;; amdgpu-corpus repo=ROCm/rocThrust kind=compiled arch=gfx942 opt=O3
	.text
	.amdgcn_target "amdgcn-amd-amdhsa--gfx942"
	.amdhsa_code_object_version 6
	.protected	_Z15PartitionKerneliPi  ; -- Begin function _Z15PartitionKerneliPi
	.globl	_Z15PartitionKerneliPi
	.p2align	8
	.type	_Z15PartitionKerneliPi,@function
_Z15PartitionKerneliPi:                 ; @_Z15PartitionKerneliPi
; %bb.0:
	v_cmp_eq_u32_e32 vcc, 0, v0
	s_and_saveexec_b64 s[2:3], vcc
	s_cbranch_execz .LBB0_12
; %bb.1:
	s_load_dword s2, s[0:1], 0x0
	s_waitcnt lgkmcnt(0)
	s_ashr_i32 s3, s2, 31
	s_lshl_b64 s[2:3], s[2:3], 2
	s_cmp_eq_u64 s[2:3], 0
	s_cbranch_scc1 .LBB0_12
; %bb.2:
	s_load_dwordx2 s[0:1], s[0:1], 0x8
	s_add_u32 s6, s2, -4
	s_addc_u32 s7, s3, -1
	s_branch .LBB0_4
.LBB0_3:                                ;   in Loop: Header=BB0_4 Depth=1
	s_andn2_b64 vcc, exec, s[10:11]
	s_cbranch_vccz .LBB0_6
.LBB0_4:                                ; =>This Inner Loop Header: Depth=1
	s_waitcnt lgkmcnt(0)
	s_mov_b64 s[4:5], s[0:1]
	s_load_dword s0, s[0:1], 0x0
	s_mov_b64 s[2:3], s[6:7]
	s_mov_b64 s[8:9], -1
	s_mov_b64 s[10:11], -1
	s_waitcnt lgkmcnt(0)
	s_and_b32 s6, s0, 1
	s_add_u32 s0, s4, 4
	s_addc_u32 s1, s5, 0
	s_cmp_eq_u32 s6, 0
                                        ; implicit-def: $sgpr6_sgpr7
	s_cbranch_scc0 .LBB0_3
; %bb.5:                                ;   in Loop: Header=BB0_4 Depth=1
	s_add_u32 s6, s2, -4
	s_addc_u32 s7, s3, -1
	s_cmp_eq_u64 s[6:7], -4
	s_mov_b64 s[8:9], 0
	s_cselect_b64 s[10:11], -1, 0
	s_branch .LBB0_3
.LBB0_6:
	s_and_b64 vcc, exec, s[8:9]
	s_cbranch_vccz .LBB0_12
; %bb.7:
	s_cmp_eq_u64 s[2:3], 0
	s_cbranch_scc1 .LBB0_12
; %bb.8:
	v_mov_b32_e32 v0, 0
	s_branch .LBB0_10
.LBB0_9:                                ;   in Loop: Header=BB0_10 Depth=1
	s_add_u32 s0, s0, 4
	s_addc_u32 s1, s1, 0
	s_add_u32 s2, s2, -4
	s_addc_u32 s3, s3, -1
	s_cmp_lg_u64 s[2:3], 0
	s_cbranch_scc0 .LBB0_12
.LBB0_10:                               ; =>This Inner Loop Header: Depth=1
	global_load_dword v1, v0, s[0:1]
	s_waitcnt vmcnt(0)
	v_readfirstlane_b32 s6, v1
	s_bitcmp1_b32 s6, 0
	s_cselect_b64 s[6:7], -1, 0
	s_and_b64 vcc, exec, s[6:7]
	s_cbranch_vccnz .LBB0_9
; %bb.11:                               ;   in Loop: Header=BB0_10 Depth=1
	global_load_dword v2, v0, s[4:5]
	s_add_u32 s6, s4, 4
	s_addc_u32 s7, s5, 0
	global_store_dword v0, v1, s[4:5]
	s_mov_b64 s[4:5], s[6:7]
	s_waitcnt vmcnt(1)
	global_store_dword v0, v2, s[0:1]
	s_branch .LBB0_9
.LBB0_12:
	s_endpgm
	.section	.rodata,"a",@progbits
	.p2align	6, 0x0
	.amdhsa_kernel _Z15PartitionKerneliPi
		.amdhsa_group_segment_fixed_size 0
		.amdhsa_private_segment_fixed_size 0
		.amdhsa_kernarg_size 16
		.amdhsa_user_sgpr_count 2
		.amdhsa_user_sgpr_dispatch_ptr 0
		.amdhsa_user_sgpr_queue_ptr 0
		.amdhsa_user_sgpr_kernarg_segment_ptr 1
		.amdhsa_user_sgpr_dispatch_id 0
		.amdhsa_user_sgpr_kernarg_preload_length 0
		.amdhsa_user_sgpr_kernarg_preload_offset 0
		.amdhsa_user_sgpr_private_segment_size 0
		.amdhsa_uses_dynamic_stack 0
		.amdhsa_enable_private_segment 0
		.amdhsa_system_sgpr_workgroup_id_x 1
		.amdhsa_system_sgpr_workgroup_id_y 0
		.amdhsa_system_sgpr_workgroup_id_z 0
		.amdhsa_system_sgpr_workgroup_info 0
		.amdhsa_system_vgpr_workitem_id 0
		.amdhsa_next_free_vgpr 3
		.amdhsa_next_free_sgpr 12
		.amdhsa_accum_offset 4
		.amdhsa_reserve_vcc 1
		.amdhsa_float_round_mode_32 0
		.amdhsa_float_round_mode_16_64 0
		.amdhsa_float_denorm_mode_32 3
		.amdhsa_float_denorm_mode_16_64 3
		.amdhsa_dx10_clamp 1
		.amdhsa_ieee_mode 1
		.amdhsa_fp16_overflow 0
		.amdhsa_tg_split 0
		.amdhsa_exception_fp_ieee_invalid_op 0
		.amdhsa_exception_fp_denorm_src 0
		.amdhsa_exception_fp_ieee_div_zero 0
		.amdhsa_exception_fp_ieee_overflow 0
		.amdhsa_exception_fp_ieee_underflow 0
		.amdhsa_exception_fp_ieee_inexact 0
		.amdhsa_exception_int_div_zero 0
	.end_amdhsa_kernel
	.text
.Lfunc_end0:
	.size	_Z15PartitionKerneliPi, .Lfunc_end0-_Z15PartitionKerneliPi
                                        ; -- End function
	.section	.AMDGPU.csdata,"",@progbits
; Kernel info:
; codeLenInByte = 272
; NumSgprs: 18
; NumVgprs: 3
; NumAgprs: 0
; TotalNumVgprs: 3
; ScratchSize: 0
; MemoryBound: 0
; FloatMode: 240
; IeeeMode: 1
; LDSByteSize: 0 bytes/workgroup (compile time only)
; SGPRBlocks: 2
; VGPRBlocks: 0
; NumSGPRsForWavesPerEU: 18
; NumVGPRsForWavesPerEU: 3
; AccumOffset: 4
; Occupancy: 8
; WaveLimiterHint : 0
; COMPUTE_PGM_RSRC2:SCRATCH_EN: 0
; COMPUTE_PGM_RSRC2:USER_SGPR: 2
; COMPUTE_PGM_RSRC2:TRAP_HANDLER: 0
; COMPUTE_PGM_RSRC2:TGID_X_EN: 1
; COMPUTE_PGM_RSRC2:TGID_Y_EN: 0
; COMPUTE_PGM_RSRC2:TGID_Z_EN: 0
; COMPUTE_PGM_RSRC2:TIDIG_COMP_CNT: 0
; COMPUTE_PGM_RSRC3_GFX90A:ACCUM_OFFSET: 0
; COMPUTE_PGM_RSRC3_GFX90A:TG_SPLIT: 0
	.text
	.protected	_Z19PartitionCopyKerneliPiS_S_S_ ; -- Begin function _Z19PartitionCopyKerneliPiS_S_S_
	.globl	_Z19PartitionCopyKerneliPiS_S_S_
	.p2align	8
	.type	_Z19PartitionCopyKerneliPiS_S_S_,@function
_Z19PartitionCopyKerneliPiS_S_S_:       ; @_Z19PartitionCopyKerneliPiS_S_S_
; %bb.0:
	v_cmp_eq_u32_e32 vcc, 0, v0
	s_and_saveexec_b64 s[2:3], vcc
	s_cbranch_execz .LBB1_9
; %bb.1:
	s_load_dword s2, s[0:1], 0x0
	s_load_dwordx8 s[4:11], s[0:1], 0x8
	s_waitcnt lgkmcnt(0)
	s_ashr_i32 s3, s2, 31
	s_lshl_b64 s[20:21], s[2:3], 2
	s_mov_b32 s12, s6
	s_mov_b32 s13, s7
	s_cmp_eq_u64 s[20:21], 0
	s_mov_b32 s14, s8
	s_mov_b32 s15, s9
	s_cbranch_scc1 .LBB1_8
; %bb.2:
	v_mov_b32_e32 v0, 0
	s_mov_b64 s[0:1], s[6:7]
	s_mov_b64 s[2:3], s[8:9]
	s_branch .LBB1_4
.LBB1_3:                                ;   in Loop: Header=BB1_4 Depth=1
	s_add_u32 s4, s4, 4
	s_addc_u32 s5, s5, 0
	s_add_u32 s20, s20, -4
	s_addc_u32 s21, s21, -1
	s_cmp_lg_u64 s[20:21], 0
	s_mov_b64 s[2:3], s[18:19]
	s_cbranch_scc0 .LBB1_8
.LBB1_4:                                ; =>This Inner Loop Header: Depth=1
	global_load_dword v1, v0, s[4:5]
	s_mov_b64 s[22:23], -1
                                        ; implicit-def: $sgpr18_sgpr19
	s_waitcnt vmcnt(0)
	v_readfirstlane_b32 s12, v1
	s_bitcmp1_b32 s12, 0
	s_cselect_b64 s[12:13], -1, 0
	s_and_b64 vcc, exec, s[12:13]
                                        ; implicit-def: $sgpr12_sgpr13_sgpr14_sgpr15
	s_cbranch_vccz .LBB1_6
; %bb.5:                                ;   in Loop: Header=BB1_4 Depth=1
	s_add_u32 s18, s2, 4
	s_mov_b32 s16, s0
	s_mov_b32 s17, s1
	v_mov_b64_e32 v[2:3], s[2:3]
	s_addc_u32 s19, s3, 0
	s_mov_b64 s[12:13], s[16:17]
	flat_store_dword v[2:3], v1
	s_mov_b64 s[22:23], 0
	s_mov_b64 s[14:15], s[18:19]
.LBB1_6:                                ;   in Loop: Header=BB1_4 Depth=1
	s_andn2_b64 vcc, exec, s[22:23]
	s_cbranch_vccnz .LBB1_3
; %bb.7:                                ;   in Loop: Header=BB1_4 Depth=1
	v_mov_b64_e32 v[2:3], s[0:1]
	s_add_u32 s0, s0, 4
	s_addc_u32 s1, s1, 0
	s_mov_b64 s[14:15], s[2:3]
	s_mov_b64 s[12:13], s[0:1]
	;; [unrolled: 1-line block ×3, first 2 shown]
	flat_store_dword v[2:3], v1
	s_branch .LBB1_3
.LBB1_8:
	s_sub_u32 s0, s12, s6
	s_subb_u32 s1, s13, s7
	s_sub_u32 s2, s14, s8
	s_subb_u32 s3, s15, s9
	v_mov_b32_e32 v0, s2
	v_alignbit_b32 v1, s3, v0, 2
	v_mov_b32_e32 v0, s0
	v_mov_b32_e32 v2, 0
	v_alignbit_b32 v0, s1, v0, 2
	global_store_dwordx2 v2, v[0:1], s[10:11]
.LBB1_9:
	s_endpgm
	.section	.rodata,"a",@progbits
	.p2align	6, 0x0
	.amdhsa_kernel _Z19PartitionCopyKerneliPiS_S_S_
		.amdhsa_group_segment_fixed_size 0
		.amdhsa_private_segment_fixed_size 0
		.amdhsa_kernarg_size 40
		.amdhsa_user_sgpr_count 2
		.amdhsa_user_sgpr_dispatch_ptr 0
		.amdhsa_user_sgpr_queue_ptr 0
		.amdhsa_user_sgpr_kernarg_segment_ptr 1
		.amdhsa_user_sgpr_dispatch_id 0
		.amdhsa_user_sgpr_kernarg_preload_length 0
		.amdhsa_user_sgpr_kernarg_preload_offset 0
		.amdhsa_user_sgpr_private_segment_size 0
		.amdhsa_uses_dynamic_stack 0
		.amdhsa_enable_private_segment 0
		.amdhsa_system_sgpr_workgroup_id_x 1
		.amdhsa_system_sgpr_workgroup_id_y 0
		.amdhsa_system_sgpr_workgroup_id_z 0
		.amdhsa_system_sgpr_workgroup_info 0
		.amdhsa_system_vgpr_workitem_id 0
		.amdhsa_next_free_vgpr 4
		.amdhsa_next_free_sgpr 24
		.amdhsa_accum_offset 4
		.amdhsa_reserve_vcc 1
		.amdhsa_float_round_mode_32 0
		.amdhsa_float_round_mode_16_64 0
		.amdhsa_float_denorm_mode_32 3
		.amdhsa_float_denorm_mode_16_64 3
		.amdhsa_dx10_clamp 1
		.amdhsa_ieee_mode 1
		.amdhsa_fp16_overflow 0
		.amdhsa_tg_split 0
		.amdhsa_exception_fp_ieee_invalid_op 0
		.amdhsa_exception_fp_denorm_src 0
		.amdhsa_exception_fp_ieee_div_zero 0
		.amdhsa_exception_fp_ieee_overflow 0
		.amdhsa_exception_fp_ieee_underflow 0
		.amdhsa_exception_fp_ieee_inexact 0
		.amdhsa_exception_int_div_zero 0
	.end_amdhsa_kernel
	.text
.Lfunc_end1:
	.size	_Z19PartitionCopyKerneliPiS_S_S_, .Lfunc_end1-_Z19PartitionCopyKerneliPiS_S_S_
                                        ; -- End function
	.section	.AMDGPU.csdata,"",@progbits
; Kernel info:
; codeLenInByte = 284
; NumSgprs: 30
; NumVgprs: 4
; NumAgprs: 0
; TotalNumVgprs: 4
; ScratchSize: 0
; MemoryBound: 0
; FloatMode: 240
; IeeeMode: 1
; LDSByteSize: 0 bytes/workgroup (compile time only)
; SGPRBlocks: 3
; VGPRBlocks: 0
; NumSGPRsForWavesPerEU: 30
; NumVGPRsForWavesPerEU: 4
; AccumOffset: 4
; Occupancy: 8
; WaveLimiterHint : 0
; COMPUTE_PGM_RSRC2:SCRATCH_EN: 0
; COMPUTE_PGM_RSRC2:USER_SGPR: 2
; COMPUTE_PGM_RSRC2:TRAP_HANDLER: 0
; COMPUTE_PGM_RSRC2:TGID_X_EN: 1
; COMPUTE_PGM_RSRC2:TGID_Y_EN: 0
; COMPUTE_PGM_RSRC2:TGID_Z_EN: 0
; COMPUTE_PGM_RSRC2:TIDIG_COMP_CNT: 0
; COMPUTE_PGM_RSRC3_GFX90A:ACCUM_OFFSET: 0
; COMPUTE_PGM_RSRC3_GFX90A:TG_SPLIT: 0
	.section	.text._ZN6thrust23THRUST_200600_302600_NS11hip_rocprim14__parallel_for6kernelILj256ENS1_20__uninitialized_fill7functorINS0_10device_ptrIxEExEEmLj1EEEvT0_T1_SA_,"axG",@progbits,_ZN6thrust23THRUST_200600_302600_NS11hip_rocprim14__parallel_for6kernelILj256ENS1_20__uninitialized_fill7functorINS0_10device_ptrIxEExEEmLj1EEEvT0_T1_SA_,comdat
	.protected	_ZN6thrust23THRUST_200600_302600_NS11hip_rocprim14__parallel_for6kernelILj256ENS1_20__uninitialized_fill7functorINS0_10device_ptrIxEExEEmLj1EEEvT0_T1_SA_ ; -- Begin function _ZN6thrust23THRUST_200600_302600_NS11hip_rocprim14__parallel_for6kernelILj256ENS1_20__uninitialized_fill7functorINS0_10device_ptrIxEExEEmLj1EEEvT0_T1_SA_
	.globl	_ZN6thrust23THRUST_200600_302600_NS11hip_rocprim14__parallel_for6kernelILj256ENS1_20__uninitialized_fill7functorINS0_10device_ptrIxEExEEmLj1EEEvT0_T1_SA_
	.p2align	8
	.type	_ZN6thrust23THRUST_200600_302600_NS11hip_rocprim14__parallel_for6kernelILj256ENS1_20__uninitialized_fill7functorINS0_10device_ptrIxEExEEmLj1EEEvT0_T1_SA_,@function
_ZN6thrust23THRUST_200600_302600_NS11hip_rocprim14__parallel_for6kernelILj256ENS1_20__uninitialized_fill7functorINS0_10device_ptrIxEExEEmLj1EEEvT0_T1_SA_: ; @_ZN6thrust23THRUST_200600_302600_NS11hip_rocprim14__parallel_for6kernelILj256ENS1_20__uninitialized_fill7functorINS0_10device_ptrIxEExEEmLj1EEEvT0_T1_SA_
; %bb.0:
	s_load_dwordx8 s[4:11], s[0:1], 0x0
	s_lshl_b32 s0, s2, 8
	v_mov_b64_e32 v[2:3], 0x100
	s_waitcnt lgkmcnt(0)
	s_add_u32 s0, s0, s10
	s_addc_u32 s1, 0, s11
	s_sub_u32 s2, s8, s0
	s_subb_u32 s3, s9, s1
	v_cmp_lt_u64_e32 vcc, s[2:3], v[2:3]
	s_cbranch_vccz .LBB2_2
; %bb.1:
	v_cmp_gt_u32_e32 vcc, s2, v0
	s_and_b64 s[2:3], vcc, exec
	s_cbranch_execz .LBB2_3
	s_branch .LBB2_4
.LBB2_2:
	s_mov_b64 s[2:3], 0
.LBB2_3:
	s_or_b64 s[2:3], s[2:3], exec
.LBB2_4:
	s_and_saveexec_b64 s[8:9], s[2:3]
	s_cbranch_execnz .LBB2_6
; %bb.5:
	s_endpgm
.LBB2_6:
	s_lshl_b64 s[0:1], s[0:1], 3
	s_add_u32 s0, s4, s0
	v_mov_b32_e32 v1, 0
	s_addc_u32 s1, s5, s1
	v_mov_b32_e32 v2, s6
	v_mov_b32_e32 v3, s7
	v_lshl_add_u64 v[0:1], v[0:1], 3, s[0:1]
	flat_store_dwordx2 v[0:1], v[2:3]
	s_endpgm
	.section	.rodata,"a",@progbits
	.p2align	6, 0x0
	.amdhsa_kernel _ZN6thrust23THRUST_200600_302600_NS11hip_rocprim14__parallel_for6kernelILj256ENS1_20__uninitialized_fill7functorINS0_10device_ptrIxEExEEmLj1EEEvT0_T1_SA_
		.amdhsa_group_segment_fixed_size 0
		.amdhsa_private_segment_fixed_size 0
		.amdhsa_kernarg_size 32
		.amdhsa_user_sgpr_count 2
		.amdhsa_user_sgpr_dispatch_ptr 0
		.amdhsa_user_sgpr_queue_ptr 0
		.amdhsa_user_sgpr_kernarg_segment_ptr 1
		.amdhsa_user_sgpr_dispatch_id 0
		.amdhsa_user_sgpr_kernarg_preload_length 0
		.amdhsa_user_sgpr_kernarg_preload_offset 0
		.amdhsa_user_sgpr_private_segment_size 0
		.amdhsa_uses_dynamic_stack 0
		.amdhsa_enable_private_segment 0
		.amdhsa_system_sgpr_workgroup_id_x 1
		.amdhsa_system_sgpr_workgroup_id_y 0
		.amdhsa_system_sgpr_workgroup_id_z 0
		.amdhsa_system_sgpr_workgroup_info 0
		.amdhsa_system_vgpr_workitem_id 0
		.amdhsa_next_free_vgpr 4
		.amdhsa_next_free_sgpr 12
		.amdhsa_accum_offset 4
		.amdhsa_reserve_vcc 1
		.amdhsa_float_round_mode_32 0
		.amdhsa_float_round_mode_16_64 0
		.amdhsa_float_denorm_mode_32 3
		.amdhsa_float_denorm_mode_16_64 3
		.amdhsa_dx10_clamp 1
		.amdhsa_ieee_mode 1
		.amdhsa_fp16_overflow 0
		.amdhsa_tg_split 0
		.amdhsa_exception_fp_ieee_invalid_op 0
		.amdhsa_exception_fp_denorm_src 0
		.amdhsa_exception_fp_ieee_div_zero 0
		.amdhsa_exception_fp_ieee_overflow 0
		.amdhsa_exception_fp_ieee_underflow 0
		.amdhsa_exception_fp_ieee_inexact 0
		.amdhsa_exception_int_div_zero 0
	.end_amdhsa_kernel
	.section	.text._ZN6thrust23THRUST_200600_302600_NS11hip_rocprim14__parallel_for6kernelILj256ENS1_20__uninitialized_fill7functorINS0_10device_ptrIxEExEEmLj1EEEvT0_T1_SA_,"axG",@progbits,_ZN6thrust23THRUST_200600_302600_NS11hip_rocprim14__parallel_for6kernelILj256ENS1_20__uninitialized_fill7functorINS0_10device_ptrIxEExEEmLj1EEEvT0_T1_SA_,comdat
.Lfunc_end2:
	.size	_ZN6thrust23THRUST_200600_302600_NS11hip_rocprim14__parallel_for6kernelILj256ENS1_20__uninitialized_fill7functorINS0_10device_ptrIxEExEEmLj1EEEvT0_T1_SA_, .Lfunc_end2-_ZN6thrust23THRUST_200600_302600_NS11hip_rocprim14__parallel_for6kernelILj256ENS1_20__uninitialized_fill7functorINS0_10device_ptrIxEExEEmLj1EEEvT0_T1_SA_
                                        ; -- End function
	.section	.AMDGPU.csdata,"",@progbits
; Kernel info:
; codeLenInByte = 128
; NumSgprs: 18
; NumVgprs: 4
; NumAgprs: 0
; TotalNumVgprs: 4
; ScratchSize: 0
; MemoryBound: 0
; FloatMode: 240
; IeeeMode: 1
; LDSByteSize: 0 bytes/workgroup (compile time only)
; SGPRBlocks: 2
; VGPRBlocks: 0
; NumSGPRsForWavesPerEU: 18
; NumVGPRsForWavesPerEU: 4
; AccumOffset: 4
; Occupancy: 8
; WaveLimiterHint : 0
; COMPUTE_PGM_RSRC2:SCRATCH_EN: 0
; COMPUTE_PGM_RSRC2:USER_SGPR: 2
; COMPUTE_PGM_RSRC2:TRAP_HANDLER: 0
; COMPUTE_PGM_RSRC2:TGID_X_EN: 1
; COMPUTE_PGM_RSRC2:TGID_Y_EN: 0
; COMPUTE_PGM_RSRC2:TGID_Z_EN: 0
; COMPUTE_PGM_RSRC2:TIDIG_COMP_CNT: 0
; COMPUTE_PGM_RSRC3_GFX90A:ACCUM_OFFSET: 0
; COMPUTE_PGM_RSRC3_GFX90A:TG_SPLIT: 0
	.section	.text._ZN6thrust23THRUST_200600_302600_NS11hip_rocprim14__parallel_for6kernelILj256ENS1_20__uninitialized_copy7functorINS0_6detail15normal_iteratorINS0_10device_ptrIxEEEENS7_INS0_7pointerIxNS1_3tagENS0_11use_defaultESD_EEEEEElLj1EEEvT0_T1_SI_,"axG",@progbits,_ZN6thrust23THRUST_200600_302600_NS11hip_rocprim14__parallel_for6kernelILj256ENS1_20__uninitialized_copy7functorINS0_6detail15normal_iteratorINS0_10device_ptrIxEEEENS7_INS0_7pointerIxNS1_3tagENS0_11use_defaultESD_EEEEEElLj1EEEvT0_T1_SI_,comdat
	.protected	_ZN6thrust23THRUST_200600_302600_NS11hip_rocprim14__parallel_for6kernelILj256ENS1_20__uninitialized_copy7functorINS0_6detail15normal_iteratorINS0_10device_ptrIxEEEENS7_INS0_7pointerIxNS1_3tagENS0_11use_defaultESD_EEEEEElLj1EEEvT0_T1_SI_ ; -- Begin function _ZN6thrust23THRUST_200600_302600_NS11hip_rocprim14__parallel_for6kernelILj256ENS1_20__uninitialized_copy7functorINS0_6detail15normal_iteratorINS0_10device_ptrIxEEEENS7_INS0_7pointerIxNS1_3tagENS0_11use_defaultESD_EEEEEElLj1EEEvT0_T1_SI_
	.globl	_ZN6thrust23THRUST_200600_302600_NS11hip_rocprim14__parallel_for6kernelILj256ENS1_20__uninitialized_copy7functorINS0_6detail15normal_iteratorINS0_10device_ptrIxEEEENS7_INS0_7pointerIxNS1_3tagENS0_11use_defaultESD_EEEEEElLj1EEEvT0_T1_SI_
	.p2align	8
	.type	_ZN6thrust23THRUST_200600_302600_NS11hip_rocprim14__parallel_for6kernelILj256ENS1_20__uninitialized_copy7functorINS0_6detail15normal_iteratorINS0_10device_ptrIxEEEENS7_INS0_7pointerIxNS1_3tagENS0_11use_defaultESD_EEEEEElLj1EEEvT0_T1_SI_,@function
_ZN6thrust23THRUST_200600_302600_NS11hip_rocprim14__parallel_for6kernelILj256ENS1_20__uninitialized_copy7functorINS0_6detail15normal_iteratorINS0_10device_ptrIxEEEENS7_INS0_7pointerIxNS1_3tagENS0_11use_defaultESD_EEEEEElLj1EEEvT0_T1_SI_: ; @_ZN6thrust23THRUST_200600_302600_NS11hip_rocprim14__parallel_for6kernelILj256ENS1_20__uninitialized_copy7functorINS0_6detail15normal_iteratorINS0_10device_ptrIxEEEENS7_INS0_7pointerIxNS1_3tagENS0_11use_defaultESD_EEEEEElLj1EEEvT0_T1_SI_
; %bb.0:
	s_load_dwordx8 s[4:11], s[0:1], 0x0
	s_lshl_b32 s0, s2, 8
	v_mov_b64_e32 v[2:3], 0x100
	s_waitcnt lgkmcnt(0)
	s_add_u32 s0, s0, s10
	s_addc_u32 s1, 0, s11
	s_sub_u32 s2, s8, s0
	s_subb_u32 s3, s9, s1
	v_cmp_lt_i64_e32 vcc, s[2:3], v[2:3]
	s_and_b64 s[8:9], vcc, exec
	s_cselect_b32 s2, s2, 0x100
	s_cmpk_lg_i32 s2, 0x100
	s_cbranch_scc0 .LBB3_4
; %bb.1:
	v_cmp_gt_u32_e32 vcc, s2, v0
	s_mov_b64 s[8:9], 0
	s_mov_b64 s[2:3], 0
                                        ; implicit-def: $vgpr2_vgpr3
                                        ; implicit-def: $vgpr4_vgpr5
	s_and_saveexec_b64 s[10:11], vcc
	s_xor_b64 s[10:11], exec, s[10:11]
; %bb.2:
	v_mov_b32_e32 v1, 0
	v_lshl_add_u64 v[2:3], s[0:1], 0, v[0:1]
	v_lshlrev_b64 v[4:5], 3, v[2:3]
	s_mov_b64 s[2:3], exec
	v_lshl_add_u64 v[2:3], s[6:7], 0, v[4:5]
	v_lshl_add_u64 v[4:5], s[4:5], 0, v[4:5]
; %bb.3:
	s_or_b64 exec, exec, s[10:11]
	s_and_b64 vcc, exec, s[8:9]
	s_cbranch_vccnz .LBB3_5
	s_branch .LBB3_6
.LBB3_4:
	s_mov_b64 s[2:3], 0
                                        ; implicit-def: $vgpr2_vgpr3
                                        ; implicit-def: $vgpr4_vgpr5
	s_cbranch_execz .LBB3_6
.LBB3_5:
	v_mov_b32_e32 v1, 0
	v_lshl_add_u64 v[0:1], s[0:1], 0, v[0:1]
	v_lshlrev_b64 v[0:1], 3, v[0:1]
	v_lshl_add_u64 v[4:5], s[4:5], 0, v[0:1]
	v_lshl_add_u64 v[2:3], s[6:7], 0, v[0:1]
	s_or_b64 s[2:3], s[2:3], exec
.LBB3_6:
	s_and_saveexec_b64 s[0:1], s[2:3]
	s_cbranch_execnz .LBB3_8
; %bb.7:
	s_endpgm
.LBB3_8:
	flat_load_dwordx2 v[0:1], v[4:5]
	s_waitcnt vmcnt(0) lgkmcnt(0)
	flat_store_dwordx2 v[2:3], v[0:1]
	s_endpgm
	.section	.rodata,"a",@progbits
	.p2align	6, 0x0
	.amdhsa_kernel _ZN6thrust23THRUST_200600_302600_NS11hip_rocprim14__parallel_for6kernelILj256ENS1_20__uninitialized_copy7functorINS0_6detail15normal_iteratorINS0_10device_ptrIxEEEENS7_INS0_7pointerIxNS1_3tagENS0_11use_defaultESD_EEEEEElLj1EEEvT0_T1_SI_
		.amdhsa_group_segment_fixed_size 0
		.amdhsa_private_segment_fixed_size 0
		.amdhsa_kernarg_size 32
		.amdhsa_user_sgpr_count 2
		.amdhsa_user_sgpr_dispatch_ptr 0
		.amdhsa_user_sgpr_queue_ptr 0
		.amdhsa_user_sgpr_kernarg_segment_ptr 1
		.amdhsa_user_sgpr_dispatch_id 0
		.amdhsa_user_sgpr_kernarg_preload_length 0
		.amdhsa_user_sgpr_kernarg_preload_offset 0
		.amdhsa_user_sgpr_private_segment_size 0
		.amdhsa_uses_dynamic_stack 0
		.amdhsa_enable_private_segment 0
		.amdhsa_system_sgpr_workgroup_id_x 1
		.amdhsa_system_sgpr_workgroup_id_y 0
		.amdhsa_system_sgpr_workgroup_id_z 0
		.amdhsa_system_sgpr_workgroup_info 0
		.amdhsa_system_vgpr_workitem_id 0
		.amdhsa_next_free_vgpr 6
		.amdhsa_next_free_sgpr 12
		.amdhsa_accum_offset 8
		.amdhsa_reserve_vcc 1
		.amdhsa_float_round_mode_32 0
		.amdhsa_float_round_mode_16_64 0
		.amdhsa_float_denorm_mode_32 3
		.amdhsa_float_denorm_mode_16_64 3
		.amdhsa_dx10_clamp 1
		.amdhsa_ieee_mode 1
		.amdhsa_fp16_overflow 0
		.amdhsa_tg_split 0
		.amdhsa_exception_fp_ieee_invalid_op 0
		.amdhsa_exception_fp_denorm_src 0
		.amdhsa_exception_fp_ieee_div_zero 0
		.amdhsa_exception_fp_ieee_overflow 0
		.amdhsa_exception_fp_ieee_underflow 0
		.amdhsa_exception_fp_ieee_inexact 0
		.amdhsa_exception_int_div_zero 0
	.end_amdhsa_kernel
	.section	.text._ZN6thrust23THRUST_200600_302600_NS11hip_rocprim14__parallel_for6kernelILj256ENS1_20__uninitialized_copy7functorINS0_6detail15normal_iteratorINS0_10device_ptrIxEEEENS7_INS0_7pointerIxNS1_3tagENS0_11use_defaultESD_EEEEEElLj1EEEvT0_T1_SI_,"axG",@progbits,_ZN6thrust23THRUST_200600_302600_NS11hip_rocprim14__parallel_for6kernelILj256ENS1_20__uninitialized_copy7functorINS0_6detail15normal_iteratorINS0_10device_ptrIxEEEENS7_INS0_7pointerIxNS1_3tagENS0_11use_defaultESD_EEEEEElLj1EEEvT0_T1_SI_,comdat
.Lfunc_end3:
	.size	_ZN6thrust23THRUST_200600_302600_NS11hip_rocprim14__parallel_for6kernelILj256ENS1_20__uninitialized_copy7functorINS0_6detail15normal_iteratorINS0_10device_ptrIxEEEENS7_INS0_7pointerIxNS1_3tagENS0_11use_defaultESD_EEEEEElLj1EEEvT0_T1_SI_, .Lfunc_end3-_ZN6thrust23THRUST_200600_302600_NS11hip_rocprim14__parallel_for6kernelILj256ENS1_20__uninitialized_copy7functorINS0_6detail15normal_iteratorINS0_10device_ptrIxEEEENS7_INS0_7pointerIxNS1_3tagENS0_11use_defaultESD_EEEEEElLj1EEEvT0_T1_SI_
                                        ; -- End function
	.section	.AMDGPU.csdata,"",@progbits
; Kernel info:
; codeLenInByte = 224
; NumSgprs: 18
; NumVgprs: 6
; NumAgprs: 0
; TotalNumVgprs: 6
; ScratchSize: 0
; MemoryBound: 1
; FloatMode: 240
; IeeeMode: 1
; LDSByteSize: 0 bytes/workgroup (compile time only)
; SGPRBlocks: 2
; VGPRBlocks: 0
; NumSGPRsForWavesPerEU: 18
; NumVGPRsForWavesPerEU: 6
; AccumOffset: 8
; Occupancy: 8
; WaveLimiterHint : 0
; COMPUTE_PGM_RSRC2:SCRATCH_EN: 0
; COMPUTE_PGM_RSRC2:USER_SGPR: 2
; COMPUTE_PGM_RSRC2:TRAP_HANDLER: 0
; COMPUTE_PGM_RSRC2:TGID_X_EN: 1
; COMPUTE_PGM_RSRC2:TGID_Y_EN: 0
; COMPUTE_PGM_RSRC2:TGID_Z_EN: 0
; COMPUTE_PGM_RSRC2:TIDIG_COMP_CNT: 0
; COMPUTE_PGM_RSRC3_GFX90A:ACCUM_OFFSET: 1
; COMPUTE_PGM_RSRC3_GFX90A:TG_SPLIT: 0
	.section	.text._ZN7rocprim17ROCPRIM_400000_NS6detail31init_lookback_scan_state_kernelINS1_19lookback_scan_stateIjLb0ELb1EEENS1_16block_id_wrapperIjLb0EEEEEvT_jT0_jPNS7_10value_typeE,"axG",@progbits,_ZN7rocprim17ROCPRIM_400000_NS6detail31init_lookback_scan_state_kernelINS1_19lookback_scan_stateIjLb0ELb1EEENS1_16block_id_wrapperIjLb0EEEEEvT_jT0_jPNS7_10value_typeE,comdat
	.protected	_ZN7rocprim17ROCPRIM_400000_NS6detail31init_lookback_scan_state_kernelINS1_19lookback_scan_stateIjLb0ELb1EEENS1_16block_id_wrapperIjLb0EEEEEvT_jT0_jPNS7_10value_typeE ; -- Begin function _ZN7rocprim17ROCPRIM_400000_NS6detail31init_lookback_scan_state_kernelINS1_19lookback_scan_stateIjLb0ELb1EEENS1_16block_id_wrapperIjLb0EEEEEvT_jT0_jPNS7_10value_typeE
	.globl	_ZN7rocprim17ROCPRIM_400000_NS6detail31init_lookback_scan_state_kernelINS1_19lookback_scan_stateIjLb0ELb1EEENS1_16block_id_wrapperIjLb0EEEEEvT_jT0_jPNS7_10value_typeE
	.p2align	8
	.type	_ZN7rocprim17ROCPRIM_400000_NS6detail31init_lookback_scan_state_kernelINS1_19lookback_scan_stateIjLb0ELb1EEENS1_16block_id_wrapperIjLb0EEEEEvT_jT0_jPNS7_10value_typeE,@function
_ZN7rocprim17ROCPRIM_400000_NS6detail31init_lookback_scan_state_kernelINS1_19lookback_scan_stateIjLb0ELb1EEENS1_16block_id_wrapperIjLb0EEEEEvT_jT0_jPNS7_10value_typeE: ; @_ZN7rocprim17ROCPRIM_400000_NS6detail31init_lookback_scan_state_kernelINS1_19lookback_scan_stateIjLb0ELb1EEENS1_16block_id_wrapperIjLb0EEEEEvT_jT0_jPNS7_10value_typeE
; %bb.0:
	s_load_dword s3, s[0:1], 0x2c
	s_load_dwordx2 s[6:7], s[0:1], 0x18
	s_load_dwordx2 s[4:5], s[0:1], 0x0
	s_load_dword s8, s[0:1], 0x8
	s_waitcnt lgkmcnt(0)
	s_and_b32 s3, s3, 0xffff
	s_mul_i32 s2, s2, s3
	s_cmp_eq_u64 s[6:7], 0
	v_add_u32_e32 v0, s2, v0
	s_cbranch_scc1 .LBB4_6
; %bb.1:
	s_load_dword s2, s[0:1], 0x10
	s_mov_b32 s3, 0
	s_waitcnt lgkmcnt(0)
	s_cmp_lt_u32 s2, s8
	s_cselect_b32 s0, s2, 0
	v_cmp_eq_u32_e32 vcc, s0, v0
	s_and_saveexec_b64 s[0:1], vcc
	s_cbranch_execz .LBB4_5
; %bb.2:
	s_add_i32 s2, s2, 64
	s_lshl_b64 s[2:3], s[2:3], 3
	s_add_u32 s2, s4, s2
	s_addc_u32 s3, s5, s3
	v_mov_b32_e32 v4, 0
	global_load_dwordx2 v[2:3], v4, s[2:3] sc1
	s_waitcnt vmcnt(0)
	v_and_b32_e32 v5, 0xff, v3
	v_cmp_ne_u64_e32 vcc, 0, v[4:5]
	s_cbranch_vccnz .LBB4_4
.LBB4_3:                                ; =>This Inner Loop Header: Depth=1
	global_load_dwordx2 v[2:3], v4, s[2:3] sc1
	s_waitcnt vmcnt(0)
	v_and_b32_e32 v5, 0xff, v3
	v_cmp_eq_u64_e32 vcc, 0, v[4:5]
	s_cbranch_vccnz .LBB4_3
.LBB4_4:
	v_mov_b32_e32 v1, 0
	global_store_dword v1, v2, s[6:7]
.LBB4_5:
	s_or_b64 exec, exec, s[0:1]
.LBB4_6:
	v_cmp_gt_u32_e32 vcc, s8, v0
	s_and_saveexec_b64 s[0:1], vcc
	s_cbranch_execnz .LBB4_9
; %bb.7:
	s_or_b64 exec, exec, s[0:1]
	v_cmp_gt_u32_e32 vcc, 64, v0
	s_and_saveexec_b64 s[0:1], vcc
	s_cbranch_execnz .LBB4_10
.LBB4_8:
	s_endpgm
.LBB4_9:
	v_add_u32_e32 v2, 64, v0
	v_mov_b32_e32 v3, 0
	v_lshl_add_u64 v[4:5], v[2:3], 3, s[4:5]
	v_mov_b32_e32 v2, v3
	global_store_dwordx2 v[4:5], v[2:3], off
	s_or_b64 exec, exec, s[0:1]
	v_cmp_gt_u32_e32 vcc, 64, v0
	s_and_saveexec_b64 s[0:1], vcc
	s_cbranch_execz .LBB4_8
.LBB4_10:
	v_mov_b32_e32 v1, 0
	v_lshl_add_u64 v[2:3], v[0:1], 3, s[4:5]
	v_mov_b32_e32 v5, 0xff
	v_mov_b32_e32 v4, v1
	global_store_dwordx2 v[2:3], v[4:5], off
	s_endpgm
	.section	.rodata,"a",@progbits
	.p2align	6, 0x0
	.amdhsa_kernel _ZN7rocprim17ROCPRIM_400000_NS6detail31init_lookback_scan_state_kernelINS1_19lookback_scan_stateIjLb0ELb1EEENS1_16block_id_wrapperIjLb0EEEEEvT_jT0_jPNS7_10value_typeE
		.amdhsa_group_segment_fixed_size 0
		.amdhsa_private_segment_fixed_size 0
		.amdhsa_kernarg_size 288
		.amdhsa_user_sgpr_count 2
		.amdhsa_user_sgpr_dispatch_ptr 0
		.amdhsa_user_sgpr_queue_ptr 0
		.amdhsa_user_sgpr_kernarg_segment_ptr 1
		.amdhsa_user_sgpr_dispatch_id 0
		.amdhsa_user_sgpr_kernarg_preload_length 0
		.amdhsa_user_sgpr_kernarg_preload_offset 0
		.amdhsa_user_sgpr_private_segment_size 0
		.amdhsa_uses_dynamic_stack 0
		.amdhsa_enable_private_segment 0
		.amdhsa_system_sgpr_workgroup_id_x 1
		.amdhsa_system_sgpr_workgroup_id_y 0
		.amdhsa_system_sgpr_workgroup_id_z 0
		.amdhsa_system_sgpr_workgroup_info 0
		.amdhsa_system_vgpr_workitem_id 0
		.amdhsa_next_free_vgpr 6
		.amdhsa_next_free_sgpr 9
		.amdhsa_accum_offset 8
		.amdhsa_reserve_vcc 1
		.amdhsa_float_round_mode_32 0
		.amdhsa_float_round_mode_16_64 0
		.amdhsa_float_denorm_mode_32 3
		.amdhsa_float_denorm_mode_16_64 3
		.amdhsa_dx10_clamp 1
		.amdhsa_ieee_mode 1
		.amdhsa_fp16_overflow 0
		.amdhsa_tg_split 0
		.amdhsa_exception_fp_ieee_invalid_op 0
		.amdhsa_exception_fp_denorm_src 0
		.amdhsa_exception_fp_ieee_div_zero 0
		.amdhsa_exception_fp_ieee_overflow 0
		.amdhsa_exception_fp_ieee_underflow 0
		.amdhsa_exception_fp_ieee_inexact 0
		.amdhsa_exception_int_div_zero 0
	.end_amdhsa_kernel
	.section	.text._ZN7rocprim17ROCPRIM_400000_NS6detail31init_lookback_scan_state_kernelINS1_19lookback_scan_stateIjLb0ELb1EEENS1_16block_id_wrapperIjLb0EEEEEvT_jT0_jPNS7_10value_typeE,"axG",@progbits,_ZN7rocprim17ROCPRIM_400000_NS6detail31init_lookback_scan_state_kernelINS1_19lookback_scan_stateIjLb0ELb1EEENS1_16block_id_wrapperIjLb0EEEEEvT_jT0_jPNS7_10value_typeE,comdat
.Lfunc_end4:
	.size	_ZN7rocprim17ROCPRIM_400000_NS6detail31init_lookback_scan_state_kernelINS1_19lookback_scan_stateIjLb0ELb1EEENS1_16block_id_wrapperIjLb0EEEEEvT_jT0_jPNS7_10value_typeE, .Lfunc_end4-_ZN7rocprim17ROCPRIM_400000_NS6detail31init_lookback_scan_state_kernelINS1_19lookback_scan_stateIjLb0ELb1EEENS1_16block_id_wrapperIjLb0EEEEEvT_jT0_jPNS7_10value_typeE
                                        ; -- End function
	.section	.AMDGPU.csdata,"",@progbits
; Kernel info:
; codeLenInByte = 300
; NumSgprs: 15
; NumVgprs: 6
; NumAgprs: 0
; TotalNumVgprs: 6
; ScratchSize: 0
; MemoryBound: 0
; FloatMode: 240
; IeeeMode: 1
; LDSByteSize: 0 bytes/workgroup (compile time only)
; SGPRBlocks: 1
; VGPRBlocks: 0
; NumSGPRsForWavesPerEU: 15
; NumVGPRsForWavesPerEU: 6
; AccumOffset: 8
; Occupancy: 8
; WaveLimiterHint : 0
; COMPUTE_PGM_RSRC2:SCRATCH_EN: 0
; COMPUTE_PGM_RSRC2:USER_SGPR: 2
; COMPUTE_PGM_RSRC2:TRAP_HANDLER: 0
; COMPUTE_PGM_RSRC2:TGID_X_EN: 1
; COMPUTE_PGM_RSRC2:TGID_Y_EN: 0
; COMPUTE_PGM_RSRC2:TGID_Z_EN: 0
; COMPUTE_PGM_RSRC2:TIDIG_COMP_CNT: 0
; COMPUTE_PGM_RSRC3_GFX90A:ACCUM_OFFSET: 1
; COMPUTE_PGM_RSRC3_GFX90A:TG_SPLIT: 0
	.section	.text._ZN7rocprim17ROCPRIM_400000_NS6detail17trampoline_kernelINS0_14default_configENS1_25partition_config_selectorILNS1_17partition_subalgoE3ExNS0_10empty_typeEbEEZZNS1_14partition_implILS5_3ELb0ES3_jN6thrust23THRUST_200600_302600_NS6detail15normal_iteratorINSA_7pointerIxNSA_11hip_rocprim3tagENSA_11use_defaultESG_EEEEPS6_SJ_NS0_5tupleIJPxSJ_EEENSK_IJSJ_SJ_EEES6_PlJ7is_evenIxEEEE10hipError_tPvRmT3_T4_T5_T6_T7_T9_mT8_P12ihipStream_tbDpT10_ENKUlT_T0_E_clISt17integral_constantIbLb0EES1A_EEDaS15_S16_EUlS15_E_NS1_11comp_targetILNS1_3genE0ELNS1_11target_archE4294967295ELNS1_3gpuE0ELNS1_3repE0EEENS1_30default_config_static_selectorELNS0_4arch9wavefront6targetE1EEEvT1_,"axG",@progbits,_ZN7rocprim17ROCPRIM_400000_NS6detail17trampoline_kernelINS0_14default_configENS1_25partition_config_selectorILNS1_17partition_subalgoE3ExNS0_10empty_typeEbEEZZNS1_14partition_implILS5_3ELb0ES3_jN6thrust23THRUST_200600_302600_NS6detail15normal_iteratorINSA_7pointerIxNSA_11hip_rocprim3tagENSA_11use_defaultESG_EEEEPS6_SJ_NS0_5tupleIJPxSJ_EEENSK_IJSJ_SJ_EEES6_PlJ7is_evenIxEEEE10hipError_tPvRmT3_T4_T5_T6_T7_T9_mT8_P12ihipStream_tbDpT10_ENKUlT_T0_E_clISt17integral_constantIbLb0EES1A_EEDaS15_S16_EUlS15_E_NS1_11comp_targetILNS1_3genE0ELNS1_11target_archE4294967295ELNS1_3gpuE0ELNS1_3repE0EEENS1_30default_config_static_selectorELNS0_4arch9wavefront6targetE1EEEvT1_,comdat
	.protected	_ZN7rocprim17ROCPRIM_400000_NS6detail17trampoline_kernelINS0_14default_configENS1_25partition_config_selectorILNS1_17partition_subalgoE3ExNS0_10empty_typeEbEEZZNS1_14partition_implILS5_3ELb0ES3_jN6thrust23THRUST_200600_302600_NS6detail15normal_iteratorINSA_7pointerIxNSA_11hip_rocprim3tagENSA_11use_defaultESG_EEEEPS6_SJ_NS0_5tupleIJPxSJ_EEENSK_IJSJ_SJ_EEES6_PlJ7is_evenIxEEEE10hipError_tPvRmT3_T4_T5_T6_T7_T9_mT8_P12ihipStream_tbDpT10_ENKUlT_T0_E_clISt17integral_constantIbLb0EES1A_EEDaS15_S16_EUlS15_E_NS1_11comp_targetILNS1_3genE0ELNS1_11target_archE4294967295ELNS1_3gpuE0ELNS1_3repE0EEENS1_30default_config_static_selectorELNS0_4arch9wavefront6targetE1EEEvT1_ ; -- Begin function _ZN7rocprim17ROCPRIM_400000_NS6detail17trampoline_kernelINS0_14default_configENS1_25partition_config_selectorILNS1_17partition_subalgoE3ExNS0_10empty_typeEbEEZZNS1_14partition_implILS5_3ELb0ES3_jN6thrust23THRUST_200600_302600_NS6detail15normal_iteratorINSA_7pointerIxNSA_11hip_rocprim3tagENSA_11use_defaultESG_EEEEPS6_SJ_NS0_5tupleIJPxSJ_EEENSK_IJSJ_SJ_EEES6_PlJ7is_evenIxEEEE10hipError_tPvRmT3_T4_T5_T6_T7_T9_mT8_P12ihipStream_tbDpT10_ENKUlT_T0_E_clISt17integral_constantIbLb0EES1A_EEDaS15_S16_EUlS15_E_NS1_11comp_targetILNS1_3genE0ELNS1_11target_archE4294967295ELNS1_3gpuE0ELNS1_3repE0EEENS1_30default_config_static_selectorELNS0_4arch9wavefront6targetE1EEEvT1_
	.globl	_ZN7rocprim17ROCPRIM_400000_NS6detail17trampoline_kernelINS0_14default_configENS1_25partition_config_selectorILNS1_17partition_subalgoE3ExNS0_10empty_typeEbEEZZNS1_14partition_implILS5_3ELb0ES3_jN6thrust23THRUST_200600_302600_NS6detail15normal_iteratorINSA_7pointerIxNSA_11hip_rocprim3tagENSA_11use_defaultESG_EEEEPS6_SJ_NS0_5tupleIJPxSJ_EEENSK_IJSJ_SJ_EEES6_PlJ7is_evenIxEEEE10hipError_tPvRmT3_T4_T5_T6_T7_T9_mT8_P12ihipStream_tbDpT10_ENKUlT_T0_E_clISt17integral_constantIbLb0EES1A_EEDaS15_S16_EUlS15_E_NS1_11comp_targetILNS1_3genE0ELNS1_11target_archE4294967295ELNS1_3gpuE0ELNS1_3repE0EEENS1_30default_config_static_selectorELNS0_4arch9wavefront6targetE1EEEvT1_
	.p2align	8
	.type	_ZN7rocprim17ROCPRIM_400000_NS6detail17trampoline_kernelINS0_14default_configENS1_25partition_config_selectorILNS1_17partition_subalgoE3ExNS0_10empty_typeEbEEZZNS1_14partition_implILS5_3ELb0ES3_jN6thrust23THRUST_200600_302600_NS6detail15normal_iteratorINSA_7pointerIxNSA_11hip_rocprim3tagENSA_11use_defaultESG_EEEEPS6_SJ_NS0_5tupleIJPxSJ_EEENSK_IJSJ_SJ_EEES6_PlJ7is_evenIxEEEE10hipError_tPvRmT3_T4_T5_T6_T7_T9_mT8_P12ihipStream_tbDpT10_ENKUlT_T0_E_clISt17integral_constantIbLb0EES1A_EEDaS15_S16_EUlS15_E_NS1_11comp_targetILNS1_3genE0ELNS1_11target_archE4294967295ELNS1_3gpuE0ELNS1_3repE0EEENS1_30default_config_static_selectorELNS0_4arch9wavefront6targetE1EEEvT1_,@function
_ZN7rocprim17ROCPRIM_400000_NS6detail17trampoline_kernelINS0_14default_configENS1_25partition_config_selectorILNS1_17partition_subalgoE3ExNS0_10empty_typeEbEEZZNS1_14partition_implILS5_3ELb0ES3_jN6thrust23THRUST_200600_302600_NS6detail15normal_iteratorINSA_7pointerIxNSA_11hip_rocprim3tagENSA_11use_defaultESG_EEEEPS6_SJ_NS0_5tupleIJPxSJ_EEENSK_IJSJ_SJ_EEES6_PlJ7is_evenIxEEEE10hipError_tPvRmT3_T4_T5_T6_T7_T9_mT8_P12ihipStream_tbDpT10_ENKUlT_T0_E_clISt17integral_constantIbLb0EES1A_EEDaS15_S16_EUlS15_E_NS1_11comp_targetILNS1_3genE0ELNS1_11target_archE4294967295ELNS1_3gpuE0ELNS1_3repE0EEENS1_30default_config_static_selectorELNS0_4arch9wavefront6targetE1EEEvT1_: ; @_ZN7rocprim17ROCPRIM_400000_NS6detail17trampoline_kernelINS0_14default_configENS1_25partition_config_selectorILNS1_17partition_subalgoE3ExNS0_10empty_typeEbEEZZNS1_14partition_implILS5_3ELb0ES3_jN6thrust23THRUST_200600_302600_NS6detail15normal_iteratorINSA_7pointerIxNSA_11hip_rocprim3tagENSA_11use_defaultESG_EEEEPS6_SJ_NS0_5tupleIJPxSJ_EEENSK_IJSJ_SJ_EEES6_PlJ7is_evenIxEEEE10hipError_tPvRmT3_T4_T5_T6_T7_T9_mT8_P12ihipStream_tbDpT10_ENKUlT_T0_E_clISt17integral_constantIbLb0EES1A_EEDaS15_S16_EUlS15_E_NS1_11comp_targetILNS1_3genE0ELNS1_11target_archE4294967295ELNS1_3gpuE0ELNS1_3repE0EEENS1_30default_config_static_selectorELNS0_4arch9wavefront6targetE1EEEvT1_
; %bb.0:
	.section	.rodata,"a",@progbits
	.p2align	6, 0x0
	.amdhsa_kernel _ZN7rocprim17ROCPRIM_400000_NS6detail17trampoline_kernelINS0_14default_configENS1_25partition_config_selectorILNS1_17partition_subalgoE3ExNS0_10empty_typeEbEEZZNS1_14partition_implILS5_3ELb0ES3_jN6thrust23THRUST_200600_302600_NS6detail15normal_iteratorINSA_7pointerIxNSA_11hip_rocprim3tagENSA_11use_defaultESG_EEEEPS6_SJ_NS0_5tupleIJPxSJ_EEENSK_IJSJ_SJ_EEES6_PlJ7is_evenIxEEEE10hipError_tPvRmT3_T4_T5_T6_T7_T9_mT8_P12ihipStream_tbDpT10_ENKUlT_T0_E_clISt17integral_constantIbLb0EES1A_EEDaS15_S16_EUlS15_E_NS1_11comp_targetILNS1_3genE0ELNS1_11target_archE4294967295ELNS1_3gpuE0ELNS1_3repE0EEENS1_30default_config_static_selectorELNS0_4arch9wavefront6targetE1EEEvT1_
		.amdhsa_group_segment_fixed_size 0
		.amdhsa_private_segment_fixed_size 0
		.amdhsa_kernarg_size 120
		.amdhsa_user_sgpr_count 2
		.amdhsa_user_sgpr_dispatch_ptr 0
		.amdhsa_user_sgpr_queue_ptr 0
		.amdhsa_user_sgpr_kernarg_segment_ptr 1
		.amdhsa_user_sgpr_dispatch_id 0
		.amdhsa_user_sgpr_kernarg_preload_length 0
		.amdhsa_user_sgpr_kernarg_preload_offset 0
		.amdhsa_user_sgpr_private_segment_size 0
		.amdhsa_uses_dynamic_stack 0
		.amdhsa_enable_private_segment 0
		.amdhsa_system_sgpr_workgroup_id_x 1
		.amdhsa_system_sgpr_workgroup_id_y 0
		.amdhsa_system_sgpr_workgroup_id_z 0
		.amdhsa_system_sgpr_workgroup_info 0
		.amdhsa_system_vgpr_workitem_id 0
		.amdhsa_next_free_vgpr 1
		.amdhsa_next_free_sgpr 0
		.amdhsa_accum_offset 4
		.amdhsa_reserve_vcc 0
		.amdhsa_float_round_mode_32 0
		.amdhsa_float_round_mode_16_64 0
		.amdhsa_float_denorm_mode_32 3
		.amdhsa_float_denorm_mode_16_64 3
		.amdhsa_dx10_clamp 1
		.amdhsa_ieee_mode 1
		.amdhsa_fp16_overflow 0
		.amdhsa_tg_split 0
		.amdhsa_exception_fp_ieee_invalid_op 0
		.amdhsa_exception_fp_denorm_src 0
		.amdhsa_exception_fp_ieee_div_zero 0
		.amdhsa_exception_fp_ieee_overflow 0
		.amdhsa_exception_fp_ieee_underflow 0
		.amdhsa_exception_fp_ieee_inexact 0
		.amdhsa_exception_int_div_zero 0
	.end_amdhsa_kernel
	.section	.text._ZN7rocprim17ROCPRIM_400000_NS6detail17trampoline_kernelINS0_14default_configENS1_25partition_config_selectorILNS1_17partition_subalgoE3ExNS0_10empty_typeEbEEZZNS1_14partition_implILS5_3ELb0ES3_jN6thrust23THRUST_200600_302600_NS6detail15normal_iteratorINSA_7pointerIxNSA_11hip_rocprim3tagENSA_11use_defaultESG_EEEEPS6_SJ_NS0_5tupleIJPxSJ_EEENSK_IJSJ_SJ_EEES6_PlJ7is_evenIxEEEE10hipError_tPvRmT3_T4_T5_T6_T7_T9_mT8_P12ihipStream_tbDpT10_ENKUlT_T0_E_clISt17integral_constantIbLb0EES1A_EEDaS15_S16_EUlS15_E_NS1_11comp_targetILNS1_3genE0ELNS1_11target_archE4294967295ELNS1_3gpuE0ELNS1_3repE0EEENS1_30default_config_static_selectorELNS0_4arch9wavefront6targetE1EEEvT1_,"axG",@progbits,_ZN7rocprim17ROCPRIM_400000_NS6detail17trampoline_kernelINS0_14default_configENS1_25partition_config_selectorILNS1_17partition_subalgoE3ExNS0_10empty_typeEbEEZZNS1_14partition_implILS5_3ELb0ES3_jN6thrust23THRUST_200600_302600_NS6detail15normal_iteratorINSA_7pointerIxNSA_11hip_rocprim3tagENSA_11use_defaultESG_EEEEPS6_SJ_NS0_5tupleIJPxSJ_EEENSK_IJSJ_SJ_EEES6_PlJ7is_evenIxEEEE10hipError_tPvRmT3_T4_T5_T6_T7_T9_mT8_P12ihipStream_tbDpT10_ENKUlT_T0_E_clISt17integral_constantIbLb0EES1A_EEDaS15_S16_EUlS15_E_NS1_11comp_targetILNS1_3genE0ELNS1_11target_archE4294967295ELNS1_3gpuE0ELNS1_3repE0EEENS1_30default_config_static_selectorELNS0_4arch9wavefront6targetE1EEEvT1_,comdat
.Lfunc_end5:
	.size	_ZN7rocprim17ROCPRIM_400000_NS6detail17trampoline_kernelINS0_14default_configENS1_25partition_config_selectorILNS1_17partition_subalgoE3ExNS0_10empty_typeEbEEZZNS1_14partition_implILS5_3ELb0ES3_jN6thrust23THRUST_200600_302600_NS6detail15normal_iteratorINSA_7pointerIxNSA_11hip_rocprim3tagENSA_11use_defaultESG_EEEEPS6_SJ_NS0_5tupleIJPxSJ_EEENSK_IJSJ_SJ_EEES6_PlJ7is_evenIxEEEE10hipError_tPvRmT3_T4_T5_T6_T7_T9_mT8_P12ihipStream_tbDpT10_ENKUlT_T0_E_clISt17integral_constantIbLb0EES1A_EEDaS15_S16_EUlS15_E_NS1_11comp_targetILNS1_3genE0ELNS1_11target_archE4294967295ELNS1_3gpuE0ELNS1_3repE0EEENS1_30default_config_static_selectorELNS0_4arch9wavefront6targetE1EEEvT1_, .Lfunc_end5-_ZN7rocprim17ROCPRIM_400000_NS6detail17trampoline_kernelINS0_14default_configENS1_25partition_config_selectorILNS1_17partition_subalgoE3ExNS0_10empty_typeEbEEZZNS1_14partition_implILS5_3ELb0ES3_jN6thrust23THRUST_200600_302600_NS6detail15normal_iteratorINSA_7pointerIxNSA_11hip_rocprim3tagENSA_11use_defaultESG_EEEEPS6_SJ_NS0_5tupleIJPxSJ_EEENSK_IJSJ_SJ_EEES6_PlJ7is_evenIxEEEE10hipError_tPvRmT3_T4_T5_T6_T7_T9_mT8_P12ihipStream_tbDpT10_ENKUlT_T0_E_clISt17integral_constantIbLb0EES1A_EEDaS15_S16_EUlS15_E_NS1_11comp_targetILNS1_3genE0ELNS1_11target_archE4294967295ELNS1_3gpuE0ELNS1_3repE0EEENS1_30default_config_static_selectorELNS0_4arch9wavefront6targetE1EEEvT1_
                                        ; -- End function
	.section	.AMDGPU.csdata,"",@progbits
; Kernel info:
; codeLenInByte = 0
; NumSgprs: 6
; NumVgprs: 0
; NumAgprs: 0
; TotalNumVgprs: 0
; ScratchSize: 0
; MemoryBound: 0
; FloatMode: 240
; IeeeMode: 1
; LDSByteSize: 0 bytes/workgroup (compile time only)
; SGPRBlocks: 0
; VGPRBlocks: 0
; NumSGPRsForWavesPerEU: 6
; NumVGPRsForWavesPerEU: 1
; AccumOffset: 4
; Occupancy: 8
; WaveLimiterHint : 0
; COMPUTE_PGM_RSRC2:SCRATCH_EN: 0
; COMPUTE_PGM_RSRC2:USER_SGPR: 2
; COMPUTE_PGM_RSRC2:TRAP_HANDLER: 0
; COMPUTE_PGM_RSRC2:TGID_X_EN: 1
; COMPUTE_PGM_RSRC2:TGID_Y_EN: 0
; COMPUTE_PGM_RSRC2:TGID_Z_EN: 0
; COMPUTE_PGM_RSRC2:TIDIG_COMP_CNT: 0
; COMPUTE_PGM_RSRC3_GFX90A:ACCUM_OFFSET: 0
; COMPUTE_PGM_RSRC3_GFX90A:TG_SPLIT: 0
	.section	.text._ZN7rocprim17ROCPRIM_400000_NS6detail17trampoline_kernelINS0_14default_configENS1_25partition_config_selectorILNS1_17partition_subalgoE3ExNS0_10empty_typeEbEEZZNS1_14partition_implILS5_3ELb0ES3_jN6thrust23THRUST_200600_302600_NS6detail15normal_iteratorINSA_7pointerIxNSA_11hip_rocprim3tagENSA_11use_defaultESG_EEEEPS6_SJ_NS0_5tupleIJPxSJ_EEENSK_IJSJ_SJ_EEES6_PlJ7is_evenIxEEEE10hipError_tPvRmT3_T4_T5_T6_T7_T9_mT8_P12ihipStream_tbDpT10_ENKUlT_T0_E_clISt17integral_constantIbLb0EES1A_EEDaS15_S16_EUlS15_E_NS1_11comp_targetILNS1_3genE5ELNS1_11target_archE942ELNS1_3gpuE9ELNS1_3repE0EEENS1_30default_config_static_selectorELNS0_4arch9wavefront6targetE1EEEvT1_,"axG",@progbits,_ZN7rocprim17ROCPRIM_400000_NS6detail17trampoline_kernelINS0_14default_configENS1_25partition_config_selectorILNS1_17partition_subalgoE3ExNS0_10empty_typeEbEEZZNS1_14partition_implILS5_3ELb0ES3_jN6thrust23THRUST_200600_302600_NS6detail15normal_iteratorINSA_7pointerIxNSA_11hip_rocprim3tagENSA_11use_defaultESG_EEEEPS6_SJ_NS0_5tupleIJPxSJ_EEENSK_IJSJ_SJ_EEES6_PlJ7is_evenIxEEEE10hipError_tPvRmT3_T4_T5_T6_T7_T9_mT8_P12ihipStream_tbDpT10_ENKUlT_T0_E_clISt17integral_constantIbLb0EES1A_EEDaS15_S16_EUlS15_E_NS1_11comp_targetILNS1_3genE5ELNS1_11target_archE942ELNS1_3gpuE9ELNS1_3repE0EEENS1_30default_config_static_selectorELNS0_4arch9wavefront6targetE1EEEvT1_,comdat
	.protected	_ZN7rocprim17ROCPRIM_400000_NS6detail17trampoline_kernelINS0_14default_configENS1_25partition_config_selectorILNS1_17partition_subalgoE3ExNS0_10empty_typeEbEEZZNS1_14partition_implILS5_3ELb0ES3_jN6thrust23THRUST_200600_302600_NS6detail15normal_iteratorINSA_7pointerIxNSA_11hip_rocprim3tagENSA_11use_defaultESG_EEEEPS6_SJ_NS0_5tupleIJPxSJ_EEENSK_IJSJ_SJ_EEES6_PlJ7is_evenIxEEEE10hipError_tPvRmT3_T4_T5_T6_T7_T9_mT8_P12ihipStream_tbDpT10_ENKUlT_T0_E_clISt17integral_constantIbLb0EES1A_EEDaS15_S16_EUlS15_E_NS1_11comp_targetILNS1_3genE5ELNS1_11target_archE942ELNS1_3gpuE9ELNS1_3repE0EEENS1_30default_config_static_selectorELNS0_4arch9wavefront6targetE1EEEvT1_ ; -- Begin function _ZN7rocprim17ROCPRIM_400000_NS6detail17trampoline_kernelINS0_14default_configENS1_25partition_config_selectorILNS1_17partition_subalgoE3ExNS0_10empty_typeEbEEZZNS1_14partition_implILS5_3ELb0ES3_jN6thrust23THRUST_200600_302600_NS6detail15normal_iteratorINSA_7pointerIxNSA_11hip_rocprim3tagENSA_11use_defaultESG_EEEEPS6_SJ_NS0_5tupleIJPxSJ_EEENSK_IJSJ_SJ_EEES6_PlJ7is_evenIxEEEE10hipError_tPvRmT3_T4_T5_T6_T7_T9_mT8_P12ihipStream_tbDpT10_ENKUlT_T0_E_clISt17integral_constantIbLb0EES1A_EEDaS15_S16_EUlS15_E_NS1_11comp_targetILNS1_3genE5ELNS1_11target_archE942ELNS1_3gpuE9ELNS1_3repE0EEENS1_30default_config_static_selectorELNS0_4arch9wavefront6targetE1EEEvT1_
	.globl	_ZN7rocprim17ROCPRIM_400000_NS6detail17trampoline_kernelINS0_14default_configENS1_25partition_config_selectorILNS1_17partition_subalgoE3ExNS0_10empty_typeEbEEZZNS1_14partition_implILS5_3ELb0ES3_jN6thrust23THRUST_200600_302600_NS6detail15normal_iteratorINSA_7pointerIxNSA_11hip_rocprim3tagENSA_11use_defaultESG_EEEEPS6_SJ_NS0_5tupleIJPxSJ_EEENSK_IJSJ_SJ_EEES6_PlJ7is_evenIxEEEE10hipError_tPvRmT3_T4_T5_T6_T7_T9_mT8_P12ihipStream_tbDpT10_ENKUlT_T0_E_clISt17integral_constantIbLb0EES1A_EEDaS15_S16_EUlS15_E_NS1_11comp_targetILNS1_3genE5ELNS1_11target_archE942ELNS1_3gpuE9ELNS1_3repE0EEENS1_30default_config_static_selectorELNS0_4arch9wavefront6targetE1EEEvT1_
	.p2align	8
	.type	_ZN7rocprim17ROCPRIM_400000_NS6detail17trampoline_kernelINS0_14default_configENS1_25partition_config_selectorILNS1_17partition_subalgoE3ExNS0_10empty_typeEbEEZZNS1_14partition_implILS5_3ELb0ES3_jN6thrust23THRUST_200600_302600_NS6detail15normal_iteratorINSA_7pointerIxNSA_11hip_rocprim3tagENSA_11use_defaultESG_EEEEPS6_SJ_NS0_5tupleIJPxSJ_EEENSK_IJSJ_SJ_EEES6_PlJ7is_evenIxEEEE10hipError_tPvRmT3_T4_T5_T6_T7_T9_mT8_P12ihipStream_tbDpT10_ENKUlT_T0_E_clISt17integral_constantIbLb0EES1A_EEDaS15_S16_EUlS15_E_NS1_11comp_targetILNS1_3genE5ELNS1_11target_archE942ELNS1_3gpuE9ELNS1_3repE0EEENS1_30default_config_static_selectorELNS0_4arch9wavefront6targetE1EEEvT1_,@function
_ZN7rocprim17ROCPRIM_400000_NS6detail17trampoline_kernelINS0_14default_configENS1_25partition_config_selectorILNS1_17partition_subalgoE3ExNS0_10empty_typeEbEEZZNS1_14partition_implILS5_3ELb0ES3_jN6thrust23THRUST_200600_302600_NS6detail15normal_iteratorINSA_7pointerIxNSA_11hip_rocprim3tagENSA_11use_defaultESG_EEEEPS6_SJ_NS0_5tupleIJPxSJ_EEENSK_IJSJ_SJ_EEES6_PlJ7is_evenIxEEEE10hipError_tPvRmT3_T4_T5_T6_T7_T9_mT8_P12ihipStream_tbDpT10_ENKUlT_T0_E_clISt17integral_constantIbLb0EES1A_EEDaS15_S16_EUlS15_E_NS1_11comp_targetILNS1_3genE5ELNS1_11target_archE942ELNS1_3gpuE9ELNS1_3repE0EEENS1_30default_config_static_selectorELNS0_4arch9wavefront6targetE1EEEvT1_: ; @_ZN7rocprim17ROCPRIM_400000_NS6detail17trampoline_kernelINS0_14default_configENS1_25partition_config_selectorILNS1_17partition_subalgoE3ExNS0_10empty_typeEbEEZZNS1_14partition_implILS5_3ELb0ES3_jN6thrust23THRUST_200600_302600_NS6detail15normal_iteratorINSA_7pointerIxNSA_11hip_rocprim3tagENSA_11use_defaultESG_EEEEPS6_SJ_NS0_5tupleIJPxSJ_EEENSK_IJSJ_SJ_EEES6_PlJ7is_evenIxEEEE10hipError_tPvRmT3_T4_T5_T6_T7_T9_mT8_P12ihipStream_tbDpT10_ENKUlT_T0_E_clISt17integral_constantIbLb0EES1A_EEDaS15_S16_EUlS15_E_NS1_11comp_targetILNS1_3genE5ELNS1_11target_archE942ELNS1_3gpuE9ELNS1_3repE0EEENS1_30default_config_static_selectorELNS0_4arch9wavefront6targetE1EEEvT1_
; %bb.0:
	s_load_dwordx4 s[20:23], s[0:1], 0x8
	s_load_dwordx4 s[24:27], s[0:1], 0x48
	s_load_dwordx2 s[28:29], s[0:1], 0x58
	s_load_dword s3, s[0:1], 0x70
	s_mul_i32 s30, s2, 0xe00
	s_waitcnt lgkmcnt(0)
	s_lshl_b64 s[4:5], s[22:23], 3
	s_add_u32 s8, s20, s4
	s_addc_u32 s9, s21, s5
	s_add_i32 s6, s3, -1
	s_mulk_i32 s3, 0xe00
	s_add_i32 s4, s3, s22
	s_sub_i32 s33, s28, s4
	s_addk_i32 s33, 0xe00
	s_add_u32 s4, s22, s3
	s_addc_u32 s5, s23, 0
	s_cmp_eq_u32 s2, s6
	s_load_dwordx2 s[34:35], s[26:27], 0x0
	v_mov_b64_e32 v[2:3], s[28:29]
	s_cselect_b64 s[26:27], -1, 0
	s_cmp_lg_u32 s2, s6
	s_mov_b32 s31, 0
	v_cmp_lt_u64_e32 vcc, s[4:5], v[2:3]
	s_cselect_b64 s[4:5], -1, 0
	s_or_b64 s[6:7], s[4:5], vcc
	s_lshl_b64 s[4:5], s[30:31], 3
	s_add_u32 s8, s8, s4
	s_addc_u32 s9, s9, s5
	s_mov_b64 s[4:5], -1
	s_and_b64 vcc, exec, s[6:7]
	v_lshlrev_b32_e32 v18, 3, v0
	s_cbranch_vccz .LBB6_2
; %bb.1:
	v_mov_b32_e32 v19, 0
	v_lshl_add_u64 v[2:3], s[8:9], 0, v[18:19]
	v_add_co_u32_e32 v4, vcc, 0x1000, v2
	s_mov_b64 s[4:5], 0
	s_nop 0
	v_addc_co_u32_e32 v5, vcc, 0, v3, vcc
	v_add_co_u32_e32 v6, vcc, 0x2000, v2
	s_nop 1
	v_addc_co_u32_e32 v7, vcc, 0, v3, vcc
	v_add_co_u32_e32 v8, vcc, 0x3000, v2
	s_nop 1
	v_addc_co_u32_e32 v9, vcc, 0, v3, vcc
	flat_load_dwordx2 v[10:11], v[2:3]
	flat_load_dwordx2 v[12:13], v[4:5]
	;; [unrolled: 1-line block ×4, first 2 shown]
	v_add_co_u32_e32 v4, vcc, 0x4000, v2
	s_nop 1
	v_addc_co_u32_e32 v5, vcc, 0, v3, vcc
	v_add_co_u32_e32 v6, vcc, 0x5000, v2
	s_nop 1
	v_addc_co_u32_e32 v7, vcc, 0, v3, vcc
	;; [unrolled: 3-line block ×3, first 2 shown]
	flat_load_dwordx2 v[8:9], v[4:5]
	flat_load_dwordx2 v[20:21], v[6:7]
	flat_load_dwordx2 v[22:23], v[2:3]
	s_waitcnt vmcnt(0) lgkmcnt(0)
	ds_write2st64_b64 v18, v[10:11], v[12:13] offset1:8
	ds_write2st64_b64 v18, v[14:15], v[16:17] offset0:16 offset1:24
	ds_write2st64_b64 v18, v[8:9], v[20:21] offset0:32 offset1:40
	ds_write_b64 v18, v[22:23] offset:24576
	s_waitcnt lgkmcnt(0)
	s_barrier
.LBB6_2:
	s_andn2_b64 vcc, exec, s[4:5]
	v_cmp_gt_u32_e64 s[4:5], s33, v0
	s_cbranch_vccnz .LBB6_18
; %bb.3:
                                        ; implicit-def: $vgpr2_vgpr3_vgpr4_vgpr5_vgpr6_vgpr7_vgpr8_vgpr9_vgpr10_vgpr11_vgpr12_vgpr13_vgpr14_vgpr15_vgpr16_vgpr17
	s_and_saveexec_b64 s[10:11], s[4:5]
	s_cbranch_execz .LBB6_5
; %bb.4:
	v_mov_b32_e32 v19, 0
	v_lshl_add_u64 v[2:3], s[8:9], 0, v[18:19]
	flat_load_dwordx2 v[2:3], v[2:3]
.LBB6_5:
	s_or_b64 exec, exec, s[10:11]
	v_or_b32_e32 v1, 0x200, v0
	v_cmp_gt_u32_e32 vcc, s33, v1
	s_and_saveexec_b64 s[4:5], vcc
	s_cbranch_execz .LBB6_7
; %bb.6:
	v_lshlrev_b32_e32 v4, 3, v1
	v_mov_b32_e32 v5, 0
	v_lshl_add_u64 v[4:5], s[8:9], 0, v[4:5]
	flat_load_dwordx2 v[4:5], v[4:5]
.LBB6_7:
	s_or_b64 exec, exec, s[4:5]
	v_or_b32_e32 v1, 0x400, v0
	v_cmp_gt_u32_e32 vcc, s33, v1
	s_and_saveexec_b64 s[4:5], vcc
	s_cbranch_execz .LBB6_9
; %bb.8:
	v_lshlrev_b32_e32 v6, 3, v1
	v_mov_b32_e32 v7, 0
	v_lshl_add_u64 v[6:7], s[8:9], 0, v[6:7]
	flat_load_dwordx2 v[6:7], v[6:7]
.LBB6_9:
	;; [unrolled: 11-line block ×6, first 2 shown]
	s_or_b64 exec, exec, s[4:5]
	s_waitcnt vmcnt(0) lgkmcnt(0)
	ds_write2st64_b64 v18, v[2:3], v[4:5] offset1:8
	ds_write2st64_b64 v18, v[6:7], v[8:9] offset0:16 offset1:24
	ds_write2st64_b64 v18, v[10:11], v[12:13] offset0:32 offset1:40
	ds_write_b64 v18, v[14:15] offset:24576
	s_waitcnt lgkmcnt(0)
	s_barrier
.LBB6_18:
	v_mul_u32_u24_e32 v1, 7, v0
	v_lshlrev_b32_e32 v32, 3, v1
	s_waitcnt lgkmcnt(0)
	ds_read2_b64 v[10:13], v32 offset1:1
	ds_read2_b64 v[6:9], v32 offset0:2 offset1:3
	ds_read2_b64 v[2:5], v32 offset0:4 offset1:5
	ds_read_b64 v[16:17], v32 offset:48
	v_cndmask_b32_e64 v14, 0, 1, s[6:7]
	v_cmp_ne_u32_e64 s[20:21], 1, v14
	s_andn2_b64 vcc, exec, s[6:7]
	s_waitcnt lgkmcnt(3)
	v_xor_b32_e32 v24, -1, v10
	v_xor_b32_e32 v23, -1, v12
	s_waitcnt lgkmcnt(2)
	v_xor_b32_e32 v22, -1, v6
	v_xor_b32_e32 v21, -1, v8
	;; [unrolled: 3-line block ×3, first 2 shown]
	s_waitcnt lgkmcnt(0)
	v_xor_b32_e32 v14, -1, v16
	s_barrier
	s_cbranch_vccnz .LBB6_20
; %bb.19:
	v_mov_b32_e32 v19, 1
	v_and_b32_e32 v25, 1, v24
	v_and_b32_sdwa v26, v23, v19 dst_sel:BYTE_1 dst_unused:UNUSED_PAD src0_sel:DWORD src1_sel:DWORD
	v_and_b32_e32 v27, 1, v22
	v_and_b32_sdwa v30, v21, v19 dst_sel:BYTE_1 dst_unused:UNUSED_PAD src0_sel:DWORD src1_sel:DWORD
	v_or_b32_e32 v25, v25, v26
	v_or_b32_sdwa v26, v27, v30 dst_sel:WORD_1 dst_unused:UNUSED_PAD src0_sel:DWORD src1_sel:DWORD
	v_and_b32_e32 v29, 1, v20
	v_and_b32_e32 v28, 1, v15
	;; [unrolled: 1-line block ×3, first 2 shown]
	v_or_b32_sdwa v30, v25, v26 dst_sel:DWORD dst_unused:UNUSED_PAD src0_sel:WORD_0 src1_sel:DWORD
	s_load_dwordx2 s[36:37], s[0:1], 0x68
	s_cbranch_execz .LBB6_21
	s_branch .LBB6_22
.LBB6_20:
                                        ; implicit-def: $vgpr19
                                        ; implicit-def: $vgpr28
                                        ; implicit-def: $vgpr29
                                        ; implicit-def: $vgpr30
	s_load_dwordx2 s[36:37], s[0:1], 0x68
.LBB6_21:
	v_add_u32_e32 v19, 1, v1
	v_cmp_gt_u32_e32 vcc, s33, v1
	v_add_u32_e32 v25, 2, v1
	v_add_u32_e32 v26, 3, v1
	v_cndmask_b32_e64 v29, 0, 1, vcc
	v_cmp_gt_u32_e32 vcc, s33, v19
	v_add_u32_e32 v27, 4, v1
	v_add_u32_e32 v28, 5, v1
	v_cndmask_b32_e64 v19, 0, 1, vcc
	v_cmp_gt_u32_e32 vcc, s33, v25
	v_and_b32_sdwa v23, v19, v23 dst_sel:BYTE_1 dst_unused:UNUSED_PAD src0_sel:DWORD src1_sel:DWORD
	v_add_u32_e32 v30, 6, v1
	v_cndmask_b32_e64 v19, 0, 1, vcc
	v_cmp_gt_u32_e32 vcc, s33, v26
	v_and_b32_e32 v22, v19, v22
	v_and_b32_e32 v24, v29, v24
	v_cndmask_b32_e64 v19, 0, 1, vcc
	v_cmp_gt_u32_e32 vcc, s33, v27
	v_and_b32_sdwa v21, v19, v21 dst_sel:BYTE_1 dst_unused:UNUSED_PAD src0_sel:DWORD src1_sel:DWORD
	s_nop 0
	v_cndmask_b32_e64 v19, 0, 1, vcc
	v_cmp_gt_u32_e32 vcc, s33, v28
	v_and_b32_e32 v29, v19, v20
	s_nop 0
	v_cndmask_b32_e64 v19, 0, 1, vcc
	v_cmp_gt_u32_e32 vcc, s33, v30
	v_and_b32_e32 v28, v19, v15
	s_nop 0
	v_cndmask_b32_e64 v15, 0, 1, vcc
	v_and_b32_e32 v19, v15, v14
	v_or_b32_e32 v14, v24, v23
	v_or_b32_sdwa v15, v22, v21 dst_sel:WORD_1 dst_unused:UNUSED_PAD src0_sel:DWORD src1_sel:DWORD
	s_nop 0
	v_or_b32_sdwa v30, v14, v15 dst_sel:DWORD dst_unused:UNUSED_PAD src0_sel:WORD_0 src1_sel:DWORD
.LBB6_22:
	v_and_b32_e32 v33, 0xff, v30
	v_bfe_u32 v34, v30, 8, 8
	v_bfe_u32 v35, v30, 16, 8
	v_lshrrev_b32_e32 v31, 24, v30
	v_and_b32_e32 v36, 0xff, v29
	v_add3_u32 v15, v34, v33, v35
	v_and_b32_e32 v37, 0xff, v28
	v_and_b32_e32 v14, 0xff, v19
	v_add3_u32 v15, v15, v31, v36
	v_add3_u32 v40, v15, v37, v14
	v_mbcnt_lo_u32_b32 v14, -1, 0
	v_mbcnt_hi_u32_b32 v38, -1, v14
	v_and_b32_e32 v14, 15, v38
	v_cmp_eq_u32_e64 s[16:17], 0, v14
	v_cmp_lt_u32_e64 s[14:15], 1, v14
	v_cmp_lt_u32_e64 s[12:13], 3, v14
	;; [unrolled: 1-line block ×3, first 2 shown]
	v_and_b32_e32 v14, 16, v38
	v_cmp_eq_u32_e64 s[8:9], 0, v14
	v_or_b32_e32 v14, 63, v0
	s_cmp_lg_u32 s2, 0
	v_cmp_lt_u32_e64 s[4:5], 31, v38
	v_lshrrev_b32_e32 v39, 6, v0
	v_cmp_eq_u32_e64 s[6:7], v14, v0
	s_cbranch_scc0 .LBB6_49
; %bb.23:
	v_mov_b32_dpp v14, v40 row_shr:1 row_mask:0xf bank_mask:0xf
	v_cndmask_b32_e64 v14, v14, 0, s[16:17]
	v_add_u32_e32 v14, v14, v40
	s_nop 1
	v_mov_b32_dpp v15, v14 row_shr:2 row_mask:0xf bank_mask:0xf
	v_cndmask_b32_e64 v15, 0, v15, s[14:15]
	v_add_u32_e32 v14, v14, v15
	s_nop 1
	;; [unrolled: 4-line block ×4, first 2 shown]
	v_mov_b32_dpp v15, v14 row_bcast:15 row_mask:0xf bank_mask:0xf
	v_cndmask_b32_e64 v15, v15, 0, s[8:9]
	v_add_u32_e32 v14, v14, v15
	s_nop 1
	v_mov_b32_dpp v15, v14 row_bcast:31 row_mask:0xf bank_mask:0xf
	v_cndmask_b32_e64 v15, 0, v15, s[4:5]
	v_add_u32_e32 v14, v14, v15
	s_and_saveexec_b64 s[18:19], s[6:7]
	s_cbranch_execz .LBB6_25
; %bb.24:
	v_lshlrev_b32_e32 v15, 2, v39
	ds_write_b32 v15, v14
.LBB6_25:
	s_or_b64 exec, exec, s[18:19]
	v_cmp_gt_u32_e32 vcc, 8, v0
	s_waitcnt lgkmcnt(0)
	s_barrier
	s_and_saveexec_b64 s[18:19], vcc
	s_cbranch_execz .LBB6_27
; %bb.26:
	v_lshlrev_b32_e32 v15, 2, v0
	ds_read_b32 v20, v15
	v_and_b32_e32 v21, 7, v38
	v_cmp_ne_u32_e32 vcc, 0, v21
	s_waitcnt lgkmcnt(0)
	v_mov_b32_dpp v22, v20 row_shr:1 row_mask:0xf bank_mask:0xf
	v_cndmask_b32_e32 v22, 0, v22, vcc
	v_add_u32_e32 v20, v22, v20
	v_cmp_lt_u32_e32 vcc, 1, v21
	s_nop 0
	v_mov_b32_dpp v22, v20 row_shr:2 row_mask:0xf bank_mask:0xf
	v_cndmask_b32_e32 v22, 0, v22, vcc
	v_add_u32_e32 v20, v20, v22
	v_cmp_lt_u32_e32 vcc, 3, v21
	s_nop 0
	v_mov_b32_dpp v22, v20 row_shr:4 row_mask:0xf bank_mask:0xf
	v_cndmask_b32_e32 v21, 0, v22, vcc
	v_add_u32_e32 v20, v20, v21
	ds_write_b32 v15, v20
.LBB6_27:
	s_or_b64 exec, exec, s[18:19]
	v_cmp_gt_u32_e32 vcc, 64, v0
	v_cmp_lt_u32_e64 s[18:19], 63, v0
	s_waitcnt lgkmcnt(0)
	s_barrier
	s_waitcnt lgkmcnt(0)
                                        ; implicit-def: $vgpr41
	s_and_saveexec_b64 s[38:39], s[18:19]
	s_cbranch_execz .LBB6_29
; %bb.28:
	v_lshl_add_u32 v15, v39, 2, -4
	ds_read_b32 v41, v15
	s_waitcnt lgkmcnt(0)
	v_add_u32_e32 v14, v41, v14
.LBB6_29:
	s_or_b64 exec, exec, s[38:39]
	v_add_u32_e32 v15, -1, v38
	v_and_b32_e32 v20, 64, v38
	v_cmp_lt_i32_e64 s[18:19], v15, v20
	s_nop 1
	v_cndmask_b32_e64 v15, v15, v38, s[18:19]
	v_lshlrev_b32_e32 v15, 2, v15
	ds_bpermute_b32 v42, v15, v14
	v_cmp_eq_u32_e64 s[18:19], 0, v38
	s_and_saveexec_b64 s[38:39], vcc
	s_cbranch_execz .LBB6_48
; %bb.30:
	v_mov_b32_e32 v25, 0
	ds_read_b32 v14, v25 offset:28
	s_and_saveexec_b64 s[40:41], s[18:19]
	s_cbranch_execz .LBB6_32
; %bb.31:
	s_add_i32 s42, s2, 64
	s_mov_b32 s43, 0
	s_lshl_b64 s[42:43], s[42:43], 3
	s_add_u32 s42, s36, s42
	v_mov_b32_e32 v15, 1
	s_addc_u32 s43, s37, s43
	s_waitcnt lgkmcnt(0)
	global_store_dwordx2 v25, v[14:15], s[42:43] sc1
.LBB6_32:
	s_or_b64 exec, exec, s[40:41]
	v_xad_u32 v20, v38, -1, s2
	v_add_u32_e32 v24, 64, v20
	v_lshl_add_u64 v[26:27], v[24:25], 3, s[36:37]
	global_load_dwordx2 v[22:23], v[26:27], off sc1
	s_waitcnt vmcnt(0)
	v_cmp_eq_u16_sdwa s[42:43], v23, v25 src0_sel:BYTE_0 src1_sel:DWORD
	s_and_saveexec_b64 s[40:41], s[42:43]
	s_cbranch_execz .LBB6_36
; %bb.33:
	s_mov_b64 s[42:43], 0
	v_mov_b32_e32 v15, 0
.LBB6_34:                               ; =>This Inner Loop Header: Depth=1
	global_load_dwordx2 v[22:23], v[26:27], off sc1
	s_waitcnt vmcnt(0)
	v_cmp_ne_u16_sdwa s[44:45], v23, v15 src0_sel:BYTE_0 src1_sel:DWORD
	s_or_b64 s[42:43], s[44:45], s[42:43]
	s_andn2_b64 exec, exec, s[42:43]
	s_cbranch_execnz .LBB6_34
; %bb.35:
	s_or_b64 exec, exec, s[42:43]
.LBB6_36:
	s_or_b64 exec, exec, s[40:41]
	v_and_b32_e32 v44, 63, v38
	v_mov_b32_e32 v43, 2
	v_cmp_ne_u32_e32 vcc, 63, v44
	v_cmp_eq_u16_sdwa s[40:41], v23, v43 src0_sel:BYTE_0 src1_sel:DWORD
	v_lshlrev_b64 v[24:25], v38, -1
	v_addc_co_u32_e32 v26, vcc, 0, v38, vcc
	v_and_b32_e32 v15, s41, v25
	v_lshlrev_b32_e32 v45, 2, v26
	v_or_b32_e32 v15, 0x80000000, v15
	ds_bpermute_b32 v26, v45, v22
	v_and_b32_e32 v21, s40, v24
	v_ffbl_b32_e32 v15, v15
	v_add_u32_e32 v15, 32, v15
	v_ffbl_b32_e32 v21, v21
	v_min_u32_e32 v15, v21, v15
	v_cmp_lt_u32_e32 vcc, v44, v15
	v_add_u32_e32 v47, 2, v44
	v_add_u32_e32 v49, 4, v44
	s_waitcnt lgkmcnt(0)
	v_cndmask_b32_e32 v21, 0, v26, vcc
	v_cmp_gt_u32_e32 vcc, 62, v44
	v_add_u32_e32 v21, v21, v22
	v_add_u32_e32 v51, 8, v44
	v_cndmask_b32_e64 v22, 0, 1, vcc
	v_lshlrev_b32_e32 v22, 1, v22
	v_add_lshl_u32 v46, v22, v38, 2
	ds_bpermute_b32 v22, v46, v21
	v_cmp_le_u32_e32 vcc, v47, v15
	v_add_u32_e32 v53, 16, v44
	v_add_u32_e32 v55, 32, v44
	s_waitcnt lgkmcnt(0)
	v_cndmask_b32_e32 v22, 0, v22, vcc
	v_cmp_gt_u32_e32 vcc, 60, v44
	v_add_u32_e32 v21, v21, v22
	s_nop 0
	v_cndmask_b32_e64 v22, 0, 1, vcc
	v_lshlrev_b32_e32 v22, 2, v22
	v_add_lshl_u32 v48, v22, v38, 2
	ds_bpermute_b32 v22, v48, v21
	v_cmp_le_u32_e32 vcc, v49, v15
	s_waitcnt lgkmcnt(0)
	s_nop 0
	v_cndmask_b32_e32 v22, 0, v22, vcc
	v_cmp_gt_u32_e32 vcc, 56, v44
	v_add_u32_e32 v21, v21, v22
	s_nop 0
	v_cndmask_b32_e64 v22, 0, 1, vcc
	v_lshlrev_b32_e32 v22, 3, v22
	v_add_lshl_u32 v50, v22, v38, 2
	ds_bpermute_b32 v22, v50, v21
	v_cmp_le_u32_e32 vcc, v51, v15
	s_waitcnt lgkmcnt(0)
	s_nop 0
	;; [unrolled: 11-line block ×4, first 2 shown]
	v_cndmask_b32_e32 v15, 0, v22, vcc
	v_add_u32_e32 v22, v21, v15
	v_mov_b32_e32 v21, 0
	s_branch .LBB6_38
.LBB6_37:                               ;   in Loop: Header=BB6_38 Depth=1
	s_or_b64 exec, exec, s[40:41]
	v_cmp_eq_u16_sdwa s[40:41], v23, v43 src0_sel:BYTE_0 src1_sel:DWORD
	ds_bpermute_b32 v56, v45, v22
	v_subrev_u32_e32 v20, 64, v20
	v_and_b32_e32 v26, s41, v25
	v_or_b32_e32 v26, 0x80000000, v26
	v_and_b32_e32 v27, s40, v24
	v_ffbl_b32_e32 v26, v26
	v_add_u32_e32 v26, 32, v26
	v_ffbl_b32_e32 v27, v27
	v_min_u32_e32 v26, v27, v26
	v_cmp_lt_u32_e32 vcc, v44, v26
	s_waitcnt lgkmcnt(0)
	s_nop 0
	v_cndmask_b32_e32 v27, 0, v56, vcc
	v_add_u32_e32 v22, v27, v22
	ds_bpermute_b32 v27, v46, v22
	v_cmp_le_u32_e32 vcc, v47, v26
	s_waitcnt lgkmcnt(0)
	s_nop 0
	v_cndmask_b32_e32 v27, 0, v27, vcc
	v_add_u32_e32 v22, v22, v27
	ds_bpermute_b32 v27, v48, v22
	v_cmp_le_u32_e32 vcc, v49, v26
	s_waitcnt lgkmcnt(0)
	s_nop 0
	v_cndmask_b32_e32 v27, 0, v27, vcc
	v_add_u32_e32 v22, v22, v27
	ds_bpermute_b32 v27, v50, v22
	v_cmp_le_u32_e32 vcc, v51, v26
	s_waitcnt lgkmcnt(0)
	s_nop 0
	v_cndmask_b32_e32 v27, 0, v27, vcc
	v_add_u32_e32 v22, v22, v27
	ds_bpermute_b32 v27, v52, v22
	v_cmp_le_u32_e32 vcc, v53, v26
	s_waitcnt lgkmcnt(0)
	s_nop 0
	v_cndmask_b32_e32 v27, 0, v27, vcc
	v_add_u32_e32 v22, v22, v27
	ds_bpermute_b32 v27, v54, v22
	v_cmp_le_u32_e32 vcc, v55, v26
	s_waitcnt lgkmcnt(0)
	s_nop 0
	v_cndmask_b32_e32 v26, 0, v27, vcc
	v_add3_u32 v22, v26, v15, v22
.LBB6_38:                               ; =>This Loop Header: Depth=1
                                        ;     Child Loop BB6_41 Depth 2
	v_cmp_ne_u16_sdwa s[40:41], v23, v43 src0_sel:BYTE_0 src1_sel:DWORD
	s_nop 1
	v_cndmask_b32_e64 v15, 0, 1, s[40:41]
	;;#ASMSTART
	;;#ASMEND
	s_nop 0
	v_cmp_ne_u32_e32 vcc, 0, v15
	s_cmp_lg_u64 vcc, exec
	v_mov_b32_e32 v15, v22
	s_cbranch_scc1 .LBB6_43
; %bb.39:                               ;   in Loop: Header=BB6_38 Depth=1
	v_lshl_add_u64 v[26:27], v[20:21], 3, s[36:37]
	global_load_dwordx2 v[22:23], v[26:27], off sc1
	s_waitcnt vmcnt(0)
	v_cmp_eq_u16_sdwa s[42:43], v23, v21 src0_sel:BYTE_0 src1_sel:DWORD
	s_and_saveexec_b64 s[40:41], s[42:43]
	s_cbranch_execz .LBB6_37
; %bb.40:                               ;   in Loop: Header=BB6_38 Depth=1
	s_mov_b64 s[42:43], 0
.LBB6_41:                               ;   Parent Loop BB6_38 Depth=1
                                        ; =>  This Inner Loop Header: Depth=2
	global_load_dwordx2 v[22:23], v[26:27], off sc1
	s_waitcnt vmcnt(0)
	v_cmp_ne_u16_sdwa s[44:45], v23, v21 src0_sel:BYTE_0 src1_sel:DWORD
	s_or_b64 s[42:43], s[44:45], s[42:43]
	s_andn2_b64 exec, exec, s[42:43]
	s_cbranch_execnz .LBB6_41
; %bb.42:                               ;   in Loop: Header=BB6_38 Depth=1
	s_or_b64 exec, exec, s[42:43]
	s_branch .LBB6_37
.LBB6_43:                               ;   in Loop: Header=BB6_38 Depth=1
                                        ; implicit-def: $vgpr22
                                        ; implicit-def: $vgpr23
	s_cbranch_execz .LBB6_38
; %bb.44:
	s_and_saveexec_b64 s[40:41], s[18:19]
	s_cbranch_execz .LBB6_46
; %bb.45:
	s_add_i32 s2, s2, 64
	s_mov_b32 s3, 0
	s_lshl_b64 s[2:3], s[2:3], 3
	s_add_u32 s2, s36, s2
	v_add_u32_e32 v20, v15, v14
	v_mov_b32_e32 v21, 2
	s_addc_u32 s3, s37, s3
	v_mov_b32_e32 v22, 0
	global_store_dwordx2 v22, v[20:21], s[2:3] sc1
	ds_write_b64 v22, v[14:15] offset:28672
.LBB6_46:
	s_or_b64 exec, exec, s[40:41]
	v_cmp_eq_u32_e32 vcc, 0, v0
	s_and_b64 exec, exec, vcc
	s_cbranch_execz .LBB6_48
; %bb.47:
	v_mov_b32_e32 v14, 0
	ds_write_b32 v14, v15 offset:28
.LBB6_48:
	s_or_b64 exec, exec, s[38:39]
	v_mov_b32_e32 v14, 0
	s_waitcnt lgkmcnt(0)
	s_barrier
	ds_read_b32 v15, v14 offset:28
	v_cndmask_b32_e64 v20, v42, v41, s[18:19]
	v_cmp_ne_u32_e32 vcc, 0, v0
	s_waitcnt lgkmcnt(0)
	s_barrier
	v_cndmask_b32_e32 v20, 0, v20, vcc
	v_add_u32_e32 v27, v15, v20
	v_add_u32_e32 v26, v27, v33
	ds_read_b64 v[14:15], v14 offset:28672
	v_add_u32_e32 v25, v26, v34
	v_add_u32_e32 v24, v25, v35
	;; [unrolled: 1-line block ×5, first 2 shown]
	s_waitcnt lgkmcnt(0)
	v_mov_b32_e32 v22, v15
	s_load_dwordx2 s[2:3], s[0:1], 0x28
	s_branch .LBB6_59
.LBB6_49:
                                        ; implicit-def: $vgpr22
                                        ; implicit-def: $vgpr14
                                        ; implicit-def: $vgpr20
                                        ; implicit-def: $vgpr21
                                        ; implicit-def: $vgpr23
                                        ; implicit-def: $vgpr24
                                        ; implicit-def: $vgpr25
                                        ; implicit-def: $vgpr26
                                        ; implicit-def: $vgpr27
	s_load_dwordx2 s[2:3], s[0:1], 0x28
	s_cbranch_execz .LBB6_59
; %bb.50:
	v_mov_b32_dpp v14, v40 row_shr:1 row_mask:0xf bank_mask:0xf
	v_cndmask_b32_e64 v14, v14, 0, s[16:17]
	v_add_u32_e32 v14, v14, v40
	s_nop 1
	v_mov_b32_dpp v15, v14 row_shr:2 row_mask:0xf bank_mask:0xf
	v_cndmask_b32_e64 v15, 0, v15, s[14:15]
	v_add_u32_e32 v14, v14, v15
	s_nop 1
	;; [unrolled: 4-line block ×4, first 2 shown]
	v_mov_b32_dpp v15, v14 row_bcast:15 row_mask:0xf bank_mask:0xf
	v_cndmask_b32_e64 v15, v15, 0, s[8:9]
	v_add_u32_e32 v14, v14, v15
	s_nop 1
	v_mov_b32_dpp v15, v14 row_bcast:31 row_mask:0xf bank_mask:0xf
	v_cndmask_b32_e64 v15, 0, v15, s[4:5]
	v_add_u32_e32 v14, v14, v15
	s_and_saveexec_b64 s[0:1], s[6:7]
	s_cbranch_execz .LBB6_52
; %bb.51:
	v_lshlrev_b32_e32 v15, 2, v39
	ds_write_b32 v15, v14
.LBB6_52:
	s_or_b64 exec, exec, s[0:1]
	v_cmp_gt_u32_e32 vcc, 8, v0
	s_waitcnt lgkmcnt(0)
	s_barrier
	s_and_saveexec_b64 s[0:1], vcc
	s_cbranch_execz .LBB6_54
; %bb.53:
	s_movk_i32 s4, 0xffcc
	v_mad_i32_i24 v15, v0, s4, v32
	ds_read_b32 v20, v15
	v_and_b32_e32 v21, 7, v38
	v_cmp_ne_u32_e32 vcc, 0, v21
	s_waitcnt lgkmcnt(0)
	v_mov_b32_dpp v22, v20 row_shr:1 row_mask:0xf bank_mask:0xf
	v_cndmask_b32_e32 v22, 0, v22, vcc
	v_add_u32_e32 v20, v22, v20
	v_cmp_lt_u32_e32 vcc, 1, v21
	s_nop 0
	v_mov_b32_dpp v22, v20 row_shr:2 row_mask:0xf bank_mask:0xf
	v_cndmask_b32_e32 v22, 0, v22, vcc
	v_add_u32_e32 v20, v20, v22
	v_cmp_lt_u32_e32 vcc, 3, v21
	s_nop 0
	v_mov_b32_dpp v22, v20 row_shr:4 row_mask:0xf bank_mask:0xf
	v_cndmask_b32_e32 v21, 0, v22, vcc
	v_add_u32_e32 v20, v20, v21
	ds_write_b32 v15, v20
.LBB6_54:
	s_or_b64 exec, exec, s[0:1]
	v_cmp_lt_u32_e32 vcc, 63, v0
	v_mov_b32_e32 v15, 0
	v_mov_b32_e32 v20, 0
	s_waitcnt lgkmcnt(0)
	s_barrier
	s_and_saveexec_b64 s[0:1], vcc
	s_cbranch_execz .LBB6_56
; %bb.55:
	v_lshl_add_u32 v20, v39, 2, -4
	ds_read_b32 v20, v20
.LBB6_56:
	s_or_b64 exec, exec, s[0:1]
	v_add_u32_e32 v21, -1, v38
	v_and_b32_e32 v22, 64, v38
	v_cmp_lt_i32_e32 vcc, v21, v22
	s_waitcnt lgkmcnt(0)
	v_add_u32_e32 v14, v20, v14
	v_cndmask_b32_e32 v21, v21, v38, vcc
	v_lshlrev_b32_e32 v21, 2, v21
	ds_bpermute_b32 v21, v21, v14
	ds_read_b32 v14, v15 offset:28
	v_cmp_eq_u32_e32 vcc, 0, v0
	s_and_saveexec_b64 s[0:1], vcc
	s_cbranch_execz .LBB6_58
; %bb.57:
	v_mov_b32_e32 v22, 0
	v_mov_b32_e32 v15, 2
	s_waitcnt lgkmcnt(0)
	global_store_dwordx2 v22, v[14:15], s[36:37] offset:512 sc1
.LBB6_58:
	s_or_b64 exec, exec, s[0:1]
	v_cmp_eq_u32_e64 s[0:1], 0, v38
	v_mov_b32_e32 v22, 0
	s_waitcnt lgkmcnt(0)
	v_cndmask_b32_e64 v15, v21, v20, s[0:1]
	v_cndmask_b32_e64 v27, v15, 0, vcc
	v_add_u32_e32 v26, v27, v33
	v_add_u32_e32 v25, v26, v34
	;; [unrolled: 1-line block ×6, first 2 shown]
	s_barrier
.LBB6_59:
	v_add_u32_e32 v1, v14, v1
	v_sub_u32_e32 v27, v27, v22
	v_and_b32_e32 v33, 1, v30
	v_sub_u32_e32 v32, v1, v27
	v_cmp_eq_u32_e32 vcc, 1, v33
	v_lshrrev_b32_e32 v15, 8, v30
	v_and_b32_e32 v15, 1, v15
	v_cndmask_b32_e32 v27, v32, v27, vcc
	v_lshlrev_b32_e32 v27, 3, v27
	ds_write_b64 v27, v[10:11]
	v_sub_u32_e32 v10, v26, v22
	v_sub_u32_e32 v11, v1, v10
	v_add_u32_e32 v11, 1, v11
	v_cmp_eq_u32_e32 vcc, 1, v15
	s_add_u32 s0, s22, s30
	s_addc_u32 s1, s23, 0
	v_cndmask_b32_e32 v10, v11, v10, vcc
	v_lshlrev_b32_e32 v10, 3, v10
	ds_write_b64 v10, v[12:13]
	v_sub_u32_e32 v10, v25, v22
	v_mov_b32_e32 v12, 1
	v_sub_u32_e32 v11, v1, v10
	v_and_b32_sdwa v12, v12, v30 dst_sel:DWORD dst_unused:UNUSED_PAD src0_sel:DWORD src1_sel:WORD_1
	v_add_u32_e32 v11, 2, v11
	v_cmp_eq_u32_e32 vcc, 1, v12
	s_sub_u32 s0, s28, s0
	s_subb_u32 s1, s29, s1
	v_cndmask_b32_e32 v10, v11, v10, vcc
	v_lshlrev_b32_e32 v10, 3, v10
	ds_write_b64 v10, v[6:7]
	v_sub_u32_e32 v6, v24, v22
	v_sub_u32_e32 v7, v1, v6
	v_and_b32_e32 v10, 1, v31
	v_add_u32_e32 v7, 3, v7
	v_cmp_eq_u32_e32 vcc, 1, v10
	v_or_b32_e32 v32, 0x200, v0
	v_or_b32_e32 v30, 0x400, v0
	v_cndmask_b32_e32 v6, v7, v6, vcc
	v_lshlrev_b32_e32 v6, 3, v6
	ds_write_b64 v6, v[8:9]
	v_sub_u32_e32 v6, v23, v22
	v_sub_u32_e32 v7, v1, v6
	v_and_b32_e32 v8, 1, v29
	v_add_u32_e32 v7, 4, v7
	v_cmp_eq_u32_e32 vcc, 1, v8
	v_or_b32_e32 v26, 0x800, v0
	v_or_b32_e32 v24, 0xa00, v0
	v_cndmask_b32_e32 v6, v7, v6, vcc
	v_lshlrev_b32_e32 v6, 3, v6
	ds_write_b64 v6, v[2:3]
	v_sub_u32_e32 v2, v21, v22
	v_sub_u32_e32 v3, v1, v2
	v_and_b32_e32 v6, 1, v28
	v_add_u32_e32 v3, 5, v3
	v_cmp_eq_u32_e32 vcc, 1, v6
	v_or_b32_e32 v28, 0x600, v0
	s_nop 0
	v_cndmask_b32_e32 v2, v3, v2, vcc
	v_lshlrev_b32_e32 v2, 3, v2
	ds_write_b64 v2, v[4:5]
	v_sub_u32_e32 v2, v20, v22
	v_sub_u32_e32 v1, v1, v2
	v_and_b32_e32 v3, 1, v19
	v_add_u32_e32 v1, 6, v1
	v_cmp_eq_u32_e32 vcc, 1, v3
	v_or_b32_e32 v20, 0xc00, v0
	s_nop 0
	v_cndmask_b32_e32 v1, v1, v2, vcc
	v_lshlrev_b32_e32 v1, 3, v1
	ds_write_b64 v1, v[16:17]
	s_waitcnt lgkmcnt(0)
	s_barrier
	ds_read2st64_b64 v[10:13], v18 offset1:8
	ds_read2st64_b64 v[6:9], v18 offset0:16 offset1:24
	ds_read2st64_b64 v[2:5], v18 offset0:32 offset1:40
	ds_read_b64 v[18:19], v18 offset:24576
	v_mov_b32_e32 v1, 0
	v_mov_b32_e32 v23, v1
	;; [unrolled: 1-line block ×3, first 2 shown]
	v_lshl_add_u64 v[16:17], s[34:35], 0, v[22:23]
	v_lshl_add_u64 v[22:23], s[0:1], 0, v[14:15]
	v_mov_b32_e32 v33, v1
	v_mov_b32_e32 v31, v1
	;; [unrolled: 1-line block ×6, first 2 shown]
	s_and_b64 vcc, exec, s[20:21]
	v_lshl_add_u64 v[22:23], v[22:23], 0, v[16:17]
	s_cbranch_vccnz .LBB6_89
; %bb.60:
	v_cmp_ge_u32_e32 vcc, v0, v14
                                        ; implicit-def: $vgpr34_vgpr35
	s_and_saveexec_b64 s[0:1], vcc
	s_xor_b64 s[0:1], exec, s[0:1]
; %bb.61:
	v_not_b32_e32 v34, v0
	v_ashrrev_i32_e32 v35, 31, v34
	v_lshl_add_u64 v[34:35], v[22:23], 0, v[34:35]
; %bb.62:
	s_andn2_saveexec_b64 s[0:1], s[0:1]
; %bb.63:
	v_lshl_add_u64 v[34:35], v[16:17], 0, v[0:1]
; %bb.64:
	s_or_b64 exec, exec, s[0:1]
	v_lshl_add_u64 v[34:35], v[34:35], 3, s[2:3]
	v_cmp_ge_u32_e32 vcc, v32, v14
	s_waitcnt lgkmcnt(3)
	global_store_dwordx2 v[34:35], v[10:11], off
                                        ; implicit-def: $vgpr34_vgpr35
	s_and_saveexec_b64 s[0:1], vcc
	s_xor_b64 s[0:1], exec, s[0:1]
; %bb.65:
	v_xor_b32_e32 v34, 0xfffffdff, v0
	v_ashrrev_i32_e32 v35, 31, v34
	v_lshl_add_u64 v[34:35], v[22:23], 0, v[34:35]
; %bb.66:
	s_andn2_saveexec_b64 s[0:1], s[0:1]
; %bb.67:
	v_lshl_add_u64 v[34:35], v[16:17], 0, v[32:33]
; %bb.68:
	s_or_b64 exec, exec, s[0:1]
	v_lshl_add_u64 v[34:35], v[34:35], 3, s[2:3]
	v_cmp_ge_u32_e32 vcc, v30, v14
	global_store_dwordx2 v[34:35], v[12:13], off
                                        ; implicit-def: $vgpr34_vgpr35
	s_and_saveexec_b64 s[0:1], vcc
	s_xor_b64 s[0:1], exec, s[0:1]
; %bb.69:
	v_xor_b32_e32 v34, 0xfffffbff, v0
	v_ashrrev_i32_e32 v35, 31, v34
	v_lshl_add_u64 v[34:35], v[22:23], 0, v[34:35]
; %bb.70:
	s_andn2_saveexec_b64 s[0:1], s[0:1]
; %bb.71:
	v_lshl_add_u64 v[34:35], v[16:17], 0, v[30:31]
; %bb.72:
	s_or_b64 exec, exec, s[0:1]
	v_lshl_add_u64 v[34:35], v[34:35], 3, s[2:3]
	v_cmp_ge_u32_e32 vcc, v28, v14
	s_waitcnt lgkmcnt(2)
	global_store_dwordx2 v[34:35], v[6:7], off
                                        ; implicit-def: $vgpr34_vgpr35
	s_and_saveexec_b64 s[0:1], vcc
	s_xor_b64 s[0:1], exec, s[0:1]
; %bb.73:
	v_xor_b32_e32 v34, 0xfffff9ff, v0
	v_ashrrev_i32_e32 v35, 31, v34
	v_lshl_add_u64 v[34:35], v[22:23], 0, v[34:35]
; %bb.74:
	s_andn2_saveexec_b64 s[0:1], s[0:1]
; %bb.75:
	v_lshl_add_u64 v[34:35], v[16:17], 0, v[28:29]
; %bb.76:
	s_or_b64 exec, exec, s[0:1]
	v_lshl_add_u64 v[34:35], v[34:35], 3, s[2:3]
	v_cmp_ge_u32_e32 vcc, v26, v14
	global_store_dwordx2 v[34:35], v[8:9], off
                                        ; implicit-def: $vgpr34_vgpr35
	s_and_saveexec_b64 s[0:1], vcc
	s_xor_b64 s[0:1], exec, s[0:1]
; %bb.77:
	v_xor_b32_e32 v34, 0xfffff7ff, v0
	;; [unrolled: 33-line block ×3, first 2 shown]
	v_ashrrev_i32_e32 v35, 31, v34
	v_lshl_add_u64 v[34:35], v[22:23], 0, v[34:35]
; %bb.86:
	s_andn2_saveexec_b64 s[0:1], s[0:1]
; %bb.87:
	v_lshl_add_u64 v[34:35], v[16:17], 0, v[20:21]
; %bb.88:
	s_or_b64 exec, exec, s[0:1]
	s_mov_b64 s[0:1], -1
	s_branch .LBB6_133
.LBB6_89:
	s_mov_b64 s[0:1], 0
                                        ; implicit-def: $vgpr34_vgpr35
	s_cbranch_execz .LBB6_133
; %bb.90:
	v_cmp_gt_u32_e32 vcc, s33, v0
	s_and_saveexec_b64 s[4:5], vcc
	s_cbranch_execz .LBB6_108
; %bb.91:
	v_cmp_ge_u32_e32 vcc, v0, v14
                                        ; implicit-def: $vgpr34_vgpr35
	s_and_saveexec_b64 s[6:7], vcc
	s_xor_b64 s[6:7], exec, s[6:7]
; %bb.92:
	v_not_b32_e32 v34, v0
	v_ashrrev_i32_e32 v35, 31, v34
	v_lshl_add_u64 v[34:35], v[22:23], 0, v[34:35]
; %bb.93:
	s_andn2_saveexec_b64 s[6:7], s[6:7]
; %bb.94:
	v_lshl_add_u64 v[34:35], v[16:17], 0, v[0:1]
; %bb.95:
	s_or_b64 exec, exec, s[6:7]
	v_lshl_add_u64 v[34:35], v[34:35], 3, s[2:3]
	s_waitcnt lgkmcnt(3)
	global_store_dwordx2 v[34:35], v[10:11], off
	s_or_b64 exec, exec, s[4:5]
	v_cmp_gt_u32_e32 vcc, s33, v32
	s_and_saveexec_b64 s[4:5], vcc
	s_cbranch_execnz .LBB6_109
.LBB6_96:
	s_or_b64 exec, exec, s[4:5]
	v_cmp_gt_u32_e32 vcc, s33, v30
	s_and_saveexec_b64 s[4:5], vcc
	s_cbranch_execz .LBB6_114
.LBB6_97:
	v_cmp_ge_u32_e32 vcc, v30, v14
                                        ; implicit-def: $vgpr10_vgpr11
	s_and_saveexec_b64 s[6:7], vcc
	s_xor_b64 s[6:7], exec, s[6:7]
	s_cbranch_execz .LBB6_99
; %bb.98:
	s_waitcnt lgkmcnt(3)
	v_xor_b32_e32 v10, 0xfffffbff, v0
	v_ashrrev_i32_e32 v11, 31, v10
	v_lshl_add_u64 v[10:11], v[22:23], 0, v[10:11]
                                        ; implicit-def: $vgpr30_vgpr31
.LBB6_99:
	s_andn2_saveexec_b64 s[6:7], s[6:7]
	s_cbranch_execz .LBB6_101
; %bb.100:
	s_waitcnt lgkmcnt(3)
	v_lshl_add_u64 v[10:11], v[16:17], 0, v[30:31]
.LBB6_101:
	s_or_b64 exec, exec, s[6:7]
	s_waitcnt lgkmcnt(3)
	v_lshl_add_u64 v[10:11], v[10:11], 3, s[2:3]
	s_waitcnt lgkmcnt(2)
	global_store_dwordx2 v[10:11], v[6:7], off
	s_or_b64 exec, exec, s[4:5]
	v_cmp_gt_u32_e32 vcc, s33, v28
	s_and_saveexec_b64 s[4:5], vcc
	s_cbranch_execnz .LBB6_115
.LBB6_102:
	s_or_b64 exec, exec, s[4:5]
	v_cmp_gt_u32_e32 vcc, s33, v26
	s_and_saveexec_b64 s[4:5], vcc
	s_cbranch_execz .LBB6_120
.LBB6_103:
	v_cmp_ge_u32_e32 vcc, v26, v14
                                        ; implicit-def: $vgpr6_vgpr7
	s_and_saveexec_b64 s[6:7], vcc
	s_xor_b64 s[6:7], exec, s[6:7]
	s_cbranch_execz .LBB6_105
; %bb.104:
	s_waitcnt lgkmcnt(2)
	v_xor_b32_e32 v6, 0xfffff7ff, v0
	v_ashrrev_i32_e32 v7, 31, v6
	v_lshl_add_u64 v[6:7], v[22:23], 0, v[6:7]
                                        ; implicit-def: $vgpr26_vgpr27
.LBB6_105:
	s_andn2_saveexec_b64 s[6:7], s[6:7]
	s_cbranch_execz .LBB6_107
; %bb.106:
	s_waitcnt lgkmcnt(2)
	v_lshl_add_u64 v[6:7], v[16:17], 0, v[26:27]
.LBB6_107:
	s_or_b64 exec, exec, s[6:7]
	s_waitcnt lgkmcnt(2)
	v_lshl_add_u64 v[6:7], v[6:7], 3, s[2:3]
	s_waitcnt lgkmcnt(1)
	global_store_dwordx2 v[6:7], v[2:3], off
	s_or_b64 exec, exec, s[4:5]
	v_cmp_gt_u32_e32 vcc, s33, v24
	s_and_saveexec_b64 s[4:5], vcc
	s_cbranch_execz .LBB6_126
	s_branch .LBB6_121
.LBB6_108:
	s_or_b64 exec, exec, s[4:5]
	v_cmp_gt_u32_e32 vcc, s33, v32
	s_and_saveexec_b64 s[4:5], vcc
	s_cbranch_execz .LBB6_96
.LBB6_109:
	v_cmp_ge_u32_e32 vcc, v32, v14
                                        ; implicit-def: $vgpr10_vgpr11
	s_and_saveexec_b64 s[6:7], vcc
	s_xor_b64 s[6:7], exec, s[6:7]
	s_cbranch_execz .LBB6_111
; %bb.110:
	s_waitcnt lgkmcnt(3)
	v_xor_b32_e32 v10, 0xfffffdff, v0
	v_ashrrev_i32_e32 v11, 31, v10
	v_lshl_add_u64 v[10:11], v[22:23], 0, v[10:11]
                                        ; implicit-def: $vgpr32_vgpr33
.LBB6_111:
	s_andn2_saveexec_b64 s[6:7], s[6:7]
	s_cbranch_execz .LBB6_113
; %bb.112:
	s_waitcnt lgkmcnt(3)
	v_lshl_add_u64 v[10:11], v[16:17], 0, v[32:33]
.LBB6_113:
	s_or_b64 exec, exec, s[6:7]
	s_waitcnt lgkmcnt(3)
	v_lshl_add_u64 v[10:11], v[10:11], 3, s[2:3]
	global_store_dwordx2 v[10:11], v[12:13], off
	s_or_b64 exec, exec, s[4:5]
	v_cmp_gt_u32_e32 vcc, s33, v30
	s_and_saveexec_b64 s[4:5], vcc
	s_cbranch_execnz .LBB6_97
.LBB6_114:
	s_or_b64 exec, exec, s[4:5]
	v_cmp_gt_u32_e32 vcc, s33, v28
	s_and_saveexec_b64 s[4:5], vcc
	s_cbranch_execz .LBB6_102
.LBB6_115:
	v_cmp_ge_u32_e32 vcc, v28, v14
                                        ; implicit-def: $vgpr6_vgpr7
	s_and_saveexec_b64 s[6:7], vcc
	s_xor_b64 s[6:7], exec, s[6:7]
	s_cbranch_execz .LBB6_117
; %bb.116:
	s_waitcnt lgkmcnt(2)
	v_xor_b32_e32 v6, 0xfffff9ff, v0
	v_ashrrev_i32_e32 v7, 31, v6
	v_lshl_add_u64 v[6:7], v[22:23], 0, v[6:7]
                                        ; implicit-def: $vgpr28_vgpr29
.LBB6_117:
	s_andn2_saveexec_b64 s[6:7], s[6:7]
	s_cbranch_execz .LBB6_119
; %bb.118:
	s_waitcnt lgkmcnt(2)
	v_lshl_add_u64 v[6:7], v[16:17], 0, v[28:29]
.LBB6_119:
	s_or_b64 exec, exec, s[6:7]
	s_waitcnt lgkmcnt(2)
	v_lshl_add_u64 v[6:7], v[6:7], 3, s[2:3]
	global_store_dwordx2 v[6:7], v[8:9], off
	s_or_b64 exec, exec, s[4:5]
	v_cmp_gt_u32_e32 vcc, s33, v26
	s_and_saveexec_b64 s[4:5], vcc
	s_cbranch_execnz .LBB6_103
.LBB6_120:
	s_or_b64 exec, exec, s[4:5]
	v_cmp_gt_u32_e32 vcc, s33, v24
	s_and_saveexec_b64 s[4:5], vcc
	s_cbranch_execz .LBB6_126
.LBB6_121:
	v_cmp_ge_u32_e32 vcc, v24, v14
                                        ; implicit-def: $vgpr2_vgpr3
	s_and_saveexec_b64 s[6:7], vcc
	s_xor_b64 s[6:7], exec, s[6:7]
	s_cbranch_execz .LBB6_123
; %bb.122:
	s_waitcnt lgkmcnt(1)
	v_xor_b32_e32 v2, 0xfffff5ff, v0
	v_ashrrev_i32_e32 v3, 31, v2
	v_lshl_add_u64 v[2:3], v[22:23], 0, v[2:3]
                                        ; implicit-def: $vgpr24_vgpr25
.LBB6_123:
	s_andn2_saveexec_b64 s[6:7], s[6:7]
	s_cbranch_execz .LBB6_125
; %bb.124:
	s_waitcnt lgkmcnt(1)
	v_lshl_add_u64 v[2:3], v[16:17], 0, v[24:25]
.LBB6_125:
	s_or_b64 exec, exec, s[6:7]
	s_waitcnt lgkmcnt(1)
	v_lshl_add_u64 v[2:3], v[2:3], 3, s[2:3]
	global_store_dwordx2 v[2:3], v[4:5], off
.LBB6_126:
	s_or_b64 exec, exec, s[4:5]
	v_cmp_gt_u32_e32 vcc, s33, v20
                                        ; implicit-def: $vgpr34_vgpr35
	s_and_saveexec_b64 s[4:5], vcc
	s_cbranch_execz .LBB6_132
; %bb.127:
	v_cmp_ge_u32_e32 vcc, v20, v14
                                        ; implicit-def: $vgpr34_vgpr35
	s_and_saveexec_b64 s[6:7], vcc
	s_xor_b64 s[6:7], exec, s[6:7]
	s_cbranch_execz .LBB6_129
; %bb.128:
	s_waitcnt lgkmcnt(1)
	v_xor_b32_e32 v2, 0xfffff3ff, v0
	v_ashrrev_i32_e32 v3, 31, v2
	v_lshl_add_u64 v[34:35], v[22:23], 0, v[2:3]
                                        ; implicit-def: $vgpr20_vgpr21
.LBB6_129:
	s_andn2_saveexec_b64 s[6:7], s[6:7]
; %bb.130:
	v_lshl_add_u64 v[34:35], v[16:17], 0, v[20:21]
; %bb.131:
	s_or_b64 exec, exec, s[6:7]
	s_or_b64 s[0:1], s[0:1], exec
.LBB6_132:
	s_or_b64 exec, exec, s[4:5]
.LBB6_133:
	s_and_saveexec_b64 s[4:5], s[0:1]
	s_cbranch_execz .LBB6_135
; %bb.134:
	s_waitcnt lgkmcnt(1)
	v_lshl_add_u64 v[2:3], v[34:35], 3, s[2:3]
	s_waitcnt lgkmcnt(0)
	global_store_dwordx2 v[2:3], v[18:19], off
.LBB6_135:
	s_or_b64 exec, exec, s[4:5]
	v_cmp_eq_u32_e32 vcc, 0, v0
	s_and_b64 s[0:1], vcc, s[26:27]
	s_and_saveexec_b64 s[2:3], s[0:1]
	s_cbranch_execz .LBB6_137
; %bb.136:
	s_waitcnt lgkmcnt(1)
	v_mov_b32_e32 v2, 0
	v_lshl_add_u64 v[0:1], v[16:17], 0, v[14:15]
	global_store_dwordx2 v2, v[0:1], s[24:25]
.LBB6_137:
	s_endpgm
	.section	.rodata,"a",@progbits
	.p2align	6, 0x0
	.amdhsa_kernel _ZN7rocprim17ROCPRIM_400000_NS6detail17trampoline_kernelINS0_14default_configENS1_25partition_config_selectorILNS1_17partition_subalgoE3ExNS0_10empty_typeEbEEZZNS1_14partition_implILS5_3ELb0ES3_jN6thrust23THRUST_200600_302600_NS6detail15normal_iteratorINSA_7pointerIxNSA_11hip_rocprim3tagENSA_11use_defaultESG_EEEEPS6_SJ_NS0_5tupleIJPxSJ_EEENSK_IJSJ_SJ_EEES6_PlJ7is_evenIxEEEE10hipError_tPvRmT3_T4_T5_T6_T7_T9_mT8_P12ihipStream_tbDpT10_ENKUlT_T0_E_clISt17integral_constantIbLb0EES1A_EEDaS15_S16_EUlS15_E_NS1_11comp_targetILNS1_3genE5ELNS1_11target_archE942ELNS1_3gpuE9ELNS1_3repE0EEENS1_30default_config_static_selectorELNS0_4arch9wavefront6targetE1EEEvT1_
		.amdhsa_group_segment_fixed_size 28680
		.amdhsa_private_segment_fixed_size 0
		.amdhsa_kernarg_size 120
		.amdhsa_user_sgpr_count 2
		.amdhsa_user_sgpr_dispatch_ptr 0
		.amdhsa_user_sgpr_queue_ptr 0
		.amdhsa_user_sgpr_kernarg_segment_ptr 1
		.amdhsa_user_sgpr_dispatch_id 0
		.amdhsa_user_sgpr_kernarg_preload_length 0
		.amdhsa_user_sgpr_kernarg_preload_offset 0
		.amdhsa_user_sgpr_private_segment_size 0
		.amdhsa_uses_dynamic_stack 0
		.amdhsa_enable_private_segment 0
		.amdhsa_system_sgpr_workgroup_id_x 1
		.amdhsa_system_sgpr_workgroup_id_y 0
		.amdhsa_system_sgpr_workgroup_id_z 0
		.amdhsa_system_sgpr_workgroup_info 0
		.amdhsa_system_vgpr_workitem_id 0
		.amdhsa_next_free_vgpr 57
		.amdhsa_next_free_sgpr 46
		.amdhsa_accum_offset 60
		.amdhsa_reserve_vcc 1
		.amdhsa_float_round_mode_32 0
		.amdhsa_float_round_mode_16_64 0
		.amdhsa_float_denorm_mode_32 3
		.amdhsa_float_denorm_mode_16_64 3
		.amdhsa_dx10_clamp 1
		.amdhsa_ieee_mode 1
		.amdhsa_fp16_overflow 0
		.amdhsa_tg_split 0
		.amdhsa_exception_fp_ieee_invalid_op 0
		.amdhsa_exception_fp_denorm_src 0
		.amdhsa_exception_fp_ieee_div_zero 0
		.amdhsa_exception_fp_ieee_overflow 0
		.amdhsa_exception_fp_ieee_underflow 0
		.amdhsa_exception_fp_ieee_inexact 0
		.amdhsa_exception_int_div_zero 0
	.end_amdhsa_kernel
	.section	.text._ZN7rocprim17ROCPRIM_400000_NS6detail17trampoline_kernelINS0_14default_configENS1_25partition_config_selectorILNS1_17partition_subalgoE3ExNS0_10empty_typeEbEEZZNS1_14partition_implILS5_3ELb0ES3_jN6thrust23THRUST_200600_302600_NS6detail15normal_iteratorINSA_7pointerIxNSA_11hip_rocprim3tagENSA_11use_defaultESG_EEEEPS6_SJ_NS0_5tupleIJPxSJ_EEENSK_IJSJ_SJ_EEES6_PlJ7is_evenIxEEEE10hipError_tPvRmT3_T4_T5_T6_T7_T9_mT8_P12ihipStream_tbDpT10_ENKUlT_T0_E_clISt17integral_constantIbLb0EES1A_EEDaS15_S16_EUlS15_E_NS1_11comp_targetILNS1_3genE5ELNS1_11target_archE942ELNS1_3gpuE9ELNS1_3repE0EEENS1_30default_config_static_selectorELNS0_4arch9wavefront6targetE1EEEvT1_,"axG",@progbits,_ZN7rocprim17ROCPRIM_400000_NS6detail17trampoline_kernelINS0_14default_configENS1_25partition_config_selectorILNS1_17partition_subalgoE3ExNS0_10empty_typeEbEEZZNS1_14partition_implILS5_3ELb0ES3_jN6thrust23THRUST_200600_302600_NS6detail15normal_iteratorINSA_7pointerIxNSA_11hip_rocprim3tagENSA_11use_defaultESG_EEEEPS6_SJ_NS0_5tupleIJPxSJ_EEENSK_IJSJ_SJ_EEES6_PlJ7is_evenIxEEEE10hipError_tPvRmT3_T4_T5_T6_T7_T9_mT8_P12ihipStream_tbDpT10_ENKUlT_T0_E_clISt17integral_constantIbLb0EES1A_EEDaS15_S16_EUlS15_E_NS1_11comp_targetILNS1_3genE5ELNS1_11target_archE942ELNS1_3gpuE9ELNS1_3repE0EEENS1_30default_config_static_selectorELNS0_4arch9wavefront6targetE1EEEvT1_,comdat
.Lfunc_end6:
	.size	_ZN7rocprim17ROCPRIM_400000_NS6detail17trampoline_kernelINS0_14default_configENS1_25partition_config_selectorILNS1_17partition_subalgoE3ExNS0_10empty_typeEbEEZZNS1_14partition_implILS5_3ELb0ES3_jN6thrust23THRUST_200600_302600_NS6detail15normal_iteratorINSA_7pointerIxNSA_11hip_rocprim3tagENSA_11use_defaultESG_EEEEPS6_SJ_NS0_5tupleIJPxSJ_EEENSK_IJSJ_SJ_EEES6_PlJ7is_evenIxEEEE10hipError_tPvRmT3_T4_T5_T6_T7_T9_mT8_P12ihipStream_tbDpT10_ENKUlT_T0_E_clISt17integral_constantIbLb0EES1A_EEDaS15_S16_EUlS15_E_NS1_11comp_targetILNS1_3genE5ELNS1_11target_archE942ELNS1_3gpuE9ELNS1_3repE0EEENS1_30default_config_static_selectorELNS0_4arch9wavefront6targetE1EEEvT1_, .Lfunc_end6-_ZN7rocprim17ROCPRIM_400000_NS6detail17trampoline_kernelINS0_14default_configENS1_25partition_config_selectorILNS1_17partition_subalgoE3ExNS0_10empty_typeEbEEZZNS1_14partition_implILS5_3ELb0ES3_jN6thrust23THRUST_200600_302600_NS6detail15normal_iteratorINSA_7pointerIxNSA_11hip_rocprim3tagENSA_11use_defaultESG_EEEEPS6_SJ_NS0_5tupleIJPxSJ_EEENSK_IJSJ_SJ_EEES6_PlJ7is_evenIxEEEE10hipError_tPvRmT3_T4_T5_T6_T7_T9_mT8_P12ihipStream_tbDpT10_ENKUlT_T0_E_clISt17integral_constantIbLb0EES1A_EEDaS15_S16_EUlS15_E_NS1_11comp_targetILNS1_3genE5ELNS1_11target_archE942ELNS1_3gpuE9ELNS1_3repE0EEENS1_30default_config_static_selectorELNS0_4arch9wavefront6targetE1EEEvT1_
                                        ; -- End function
	.section	.AMDGPU.csdata,"",@progbits
; Kernel info:
; codeLenInByte = 4996
; NumSgprs: 52
; NumVgprs: 57
; NumAgprs: 0
; TotalNumVgprs: 57
; ScratchSize: 0
; MemoryBound: 0
; FloatMode: 240
; IeeeMode: 1
; LDSByteSize: 28680 bytes/workgroup (compile time only)
; SGPRBlocks: 6
; VGPRBlocks: 7
; NumSGPRsForWavesPerEU: 52
; NumVGPRsForWavesPerEU: 57
; AccumOffset: 60
; Occupancy: 4
; WaveLimiterHint : 1
; COMPUTE_PGM_RSRC2:SCRATCH_EN: 0
; COMPUTE_PGM_RSRC2:USER_SGPR: 2
; COMPUTE_PGM_RSRC2:TRAP_HANDLER: 0
; COMPUTE_PGM_RSRC2:TGID_X_EN: 1
; COMPUTE_PGM_RSRC2:TGID_Y_EN: 0
; COMPUTE_PGM_RSRC2:TGID_Z_EN: 0
; COMPUTE_PGM_RSRC2:TIDIG_COMP_CNT: 0
; COMPUTE_PGM_RSRC3_GFX90A:ACCUM_OFFSET: 14
; COMPUTE_PGM_RSRC3_GFX90A:TG_SPLIT: 0
	.section	.text._ZN7rocprim17ROCPRIM_400000_NS6detail17trampoline_kernelINS0_14default_configENS1_25partition_config_selectorILNS1_17partition_subalgoE3ExNS0_10empty_typeEbEEZZNS1_14partition_implILS5_3ELb0ES3_jN6thrust23THRUST_200600_302600_NS6detail15normal_iteratorINSA_7pointerIxNSA_11hip_rocprim3tagENSA_11use_defaultESG_EEEEPS6_SJ_NS0_5tupleIJPxSJ_EEENSK_IJSJ_SJ_EEES6_PlJ7is_evenIxEEEE10hipError_tPvRmT3_T4_T5_T6_T7_T9_mT8_P12ihipStream_tbDpT10_ENKUlT_T0_E_clISt17integral_constantIbLb0EES1A_EEDaS15_S16_EUlS15_E_NS1_11comp_targetILNS1_3genE4ELNS1_11target_archE910ELNS1_3gpuE8ELNS1_3repE0EEENS1_30default_config_static_selectorELNS0_4arch9wavefront6targetE1EEEvT1_,"axG",@progbits,_ZN7rocprim17ROCPRIM_400000_NS6detail17trampoline_kernelINS0_14default_configENS1_25partition_config_selectorILNS1_17partition_subalgoE3ExNS0_10empty_typeEbEEZZNS1_14partition_implILS5_3ELb0ES3_jN6thrust23THRUST_200600_302600_NS6detail15normal_iteratorINSA_7pointerIxNSA_11hip_rocprim3tagENSA_11use_defaultESG_EEEEPS6_SJ_NS0_5tupleIJPxSJ_EEENSK_IJSJ_SJ_EEES6_PlJ7is_evenIxEEEE10hipError_tPvRmT3_T4_T5_T6_T7_T9_mT8_P12ihipStream_tbDpT10_ENKUlT_T0_E_clISt17integral_constantIbLb0EES1A_EEDaS15_S16_EUlS15_E_NS1_11comp_targetILNS1_3genE4ELNS1_11target_archE910ELNS1_3gpuE8ELNS1_3repE0EEENS1_30default_config_static_selectorELNS0_4arch9wavefront6targetE1EEEvT1_,comdat
	.protected	_ZN7rocprim17ROCPRIM_400000_NS6detail17trampoline_kernelINS0_14default_configENS1_25partition_config_selectorILNS1_17partition_subalgoE3ExNS0_10empty_typeEbEEZZNS1_14partition_implILS5_3ELb0ES3_jN6thrust23THRUST_200600_302600_NS6detail15normal_iteratorINSA_7pointerIxNSA_11hip_rocprim3tagENSA_11use_defaultESG_EEEEPS6_SJ_NS0_5tupleIJPxSJ_EEENSK_IJSJ_SJ_EEES6_PlJ7is_evenIxEEEE10hipError_tPvRmT3_T4_T5_T6_T7_T9_mT8_P12ihipStream_tbDpT10_ENKUlT_T0_E_clISt17integral_constantIbLb0EES1A_EEDaS15_S16_EUlS15_E_NS1_11comp_targetILNS1_3genE4ELNS1_11target_archE910ELNS1_3gpuE8ELNS1_3repE0EEENS1_30default_config_static_selectorELNS0_4arch9wavefront6targetE1EEEvT1_ ; -- Begin function _ZN7rocprim17ROCPRIM_400000_NS6detail17trampoline_kernelINS0_14default_configENS1_25partition_config_selectorILNS1_17partition_subalgoE3ExNS0_10empty_typeEbEEZZNS1_14partition_implILS5_3ELb0ES3_jN6thrust23THRUST_200600_302600_NS6detail15normal_iteratorINSA_7pointerIxNSA_11hip_rocprim3tagENSA_11use_defaultESG_EEEEPS6_SJ_NS0_5tupleIJPxSJ_EEENSK_IJSJ_SJ_EEES6_PlJ7is_evenIxEEEE10hipError_tPvRmT3_T4_T5_T6_T7_T9_mT8_P12ihipStream_tbDpT10_ENKUlT_T0_E_clISt17integral_constantIbLb0EES1A_EEDaS15_S16_EUlS15_E_NS1_11comp_targetILNS1_3genE4ELNS1_11target_archE910ELNS1_3gpuE8ELNS1_3repE0EEENS1_30default_config_static_selectorELNS0_4arch9wavefront6targetE1EEEvT1_
	.globl	_ZN7rocprim17ROCPRIM_400000_NS6detail17trampoline_kernelINS0_14default_configENS1_25partition_config_selectorILNS1_17partition_subalgoE3ExNS0_10empty_typeEbEEZZNS1_14partition_implILS5_3ELb0ES3_jN6thrust23THRUST_200600_302600_NS6detail15normal_iteratorINSA_7pointerIxNSA_11hip_rocprim3tagENSA_11use_defaultESG_EEEEPS6_SJ_NS0_5tupleIJPxSJ_EEENSK_IJSJ_SJ_EEES6_PlJ7is_evenIxEEEE10hipError_tPvRmT3_T4_T5_T6_T7_T9_mT8_P12ihipStream_tbDpT10_ENKUlT_T0_E_clISt17integral_constantIbLb0EES1A_EEDaS15_S16_EUlS15_E_NS1_11comp_targetILNS1_3genE4ELNS1_11target_archE910ELNS1_3gpuE8ELNS1_3repE0EEENS1_30default_config_static_selectorELNS0_4arch9wavefront6targetE1EEEvT1_
	.p2align	8
	.type	_ZN7rocprim17ROCPRIM_400000_NS6detail17trampoline_kernelINS0_14default_configENS1_25partition_config_selectorILNS1_17partition_subalgoE3ExNS0_10empty_typeEbEEZZNS1_14partition_implILS5_3ELb0ES3_jN6thrust23THRUST_200600_302600_NS6detail15normal_iteratorINSA_7pointerIxNSA_11hip_rocprim3tagENSA_11use_defaultESG_EEEEPS6_SJ_NS0_5tupleIJPxSJ_EEENSK_IJSJ_SJ_EEES6_PlJ7is_evenIxEEEE10hipError_tPvRmT3_T4_T5_T6_T7_T9_mT8_P12ihipStream_tbDpT10_ENKUlT_T0_E_clISt17integral_constantIbLb0EES1A_EEDaS15_S16_EUlS15_E_NS1_11comp_targetILNS1_3genE4ELNS1_11target_archE910ELNS1_3gpuE8ELNS1_3repE0EEENS1_30default_config_static_selectorELNS0_4arch9wavefront6targetE1EEEvT1_,@function
_ZN7rocprim17ROCPRIM_400000_NS6detail17trampoline_kernelINS0_14default_configENS1_25partition_config_selectorILNS1_17partition_subalgoE3ExNS0_10empty_typeEbEEZZNS1_14partition_implILS5_3ELb0ES3_jN6thrust23THRUST_200600_302600_NS6detail15normal_iteratorINSA_7pointerIxNSA_11hip_rocprim3tagENSA_11use_defaultESG_EEEEPS6_SJ_NS0_5tupleIJPxSJ_EEENSK_IJSJ_SJ_EEES6_PlJ7is_evenIxEEEE10hipError_tPvRmT3_T4_T5_T6_T7_T9_mT8_P12ihipStream_tbDpT10_ENKUlT_T0_E_clISt17integral_constantIbLb0EES1A_EEDaS15_S16_EUlS15_E_NS1_11comp_targetILNS1_3genE4ELNS1_11target_archE910ELNS1_3gpuE8ELNS1_3repE0EEENS1_30default_config_static_selectorELNS0_4arch9wavefront6targetE1EEEvT1_: ; @_ZN7rocprim17ROCPRIM_400000_NS6detail17trampoline_kernelINS0_14default_configENS1_25partition_config_selectorILNS1_17partition_subalgoE3ExNS0_10empty_typeEbEEZZNS1_14partition_implILS5_3ELb0ES3_jN6thrust23THRUST_200600_302600_NS6detail15normal_iteratorINSA_7pointerIxNSA_11hip_rocprim3tagENSA_11use_defaultESG_EEEEPS6_SJ_NS0_5tupleIJPxSJ_EEENSK_IJSJ_SJ_EEES6_PlJ7is_evenIxEEEE10hipError_tPvRmT3_T4_T5_T6_T7_T9_mT8_P12ihipStream_tbDpT10_ENKUlT_T0_E_clISt17integral_constantIbLb0EES1A_EEDaS15_S16_EUlS15_E_NS1_11comp_targetILNS1_3genE4ELNS1_11target_archE910ELNS1_3gpuE8ELNS1_3repE0EEENS1_30default_config_static_selectorELNS0_4arch9wavefront6targetE1EEEvT1_
; %bb.0:
	.section	.rodata,"a",@progbits
	.p2align	6, 0x0
	.amdhsa_kernel _ZN7rocprim17ROCPRIM_400000_NS6detail17trampoline_kernelINS0_14default_configENS1_25partition_config_selectorILNS1_17partition_subalgoE3ExNS0_10empty_typeEbEEZZNS1_14partition_implILS5_3ELb0ES3_jN6thrust23THRUST_200600_302600_NS6detail15normal_iteratorINSA_7pointerIxNSA_11hip_rocprim3tagENSA_11use_defaultESG_EEEEPS6_SJ_NS0_5tupleIJPxSJ_EEENSK_IJSJ_SJ_EEES6_PlJ7is_evenIxEEEE10hipError_tPvRmT3_T4_T5_T6_T7_T9_mT8_P12ihipStream_tbDpT10_ENKUlT_T0_E_clISt17integral_constantIbLb0EES1A_EEDaS15_S16_EUlS15_E_NS1_11comp_targetILNS1_3genE4ELNS1_11target_archE910ELNS1_3gpuE8ELNS1_3repE0EEENS1_30default_config_static_selectorELNS0_4arch9wavefront6targetE1EEEvT1_
		.amdhsa_group_segment_fixed_size 0
		.amdhsa_private_segment_fixed_size 0
		.amdhsa_kernarg_size 120
		.amdhsa_user_sgpr_count 2
		.amdhsa_user_sgpr_dispatch_ptr 0
		.amdhsa_user_sgpr_queue_ptr 0
		.amdhsa_user_sgpr_kernarg_segment_ptr 1
		.amdhsa_user_sgpr_dispatch_id 0
		.amdhsa_user_sgpr_kernarg_preload_length 0
		.amdhsa_user_sgpr_kernarg_preload_offset 0
		.amdhsa_user_sgpr_private_segment_size 0
		.amdhsa_uses_dynamic_stack 0
		.amdhsa_enable_private_segment 0
		.amdhsa_system_sgpr_workgroup_id_x 1
		.amdhsa_system_sgpr_workgroup_id_y 0
		.amdhsa_system_sgpr_workgroup_id_z 0
		.amdhsa_system_sgpr_workgroup_info 0
		.amdhsa_system_vgpr_workitem_id 0
		.amdhsa_next_free_vgpr 1
		.amdhsa_next_free_sgpr 0
		.amdhsa_accum_offset 4
		.amdhsa_reserve_vcc 0
		.amdhsa_float_round_mode_32 0
		.amdhsa_float_round_mode_16_64 0
		.amdhsa_float_denorm_mode_32 3
		.amdhsa_float_denorm_mode_16_64 3
		.amdhsa_dx10_clamp 1
		.amdhsa_ieee_mode 1
		.amdhsa_fp16_overflow 0
		.amdhsa_tg_split 0
		.amdhsa_exception_fp_ieee_invalid_op 0
		.amdhsa_exception_fp_denorm_src 0
		.amdhsa_exception_fp_ieee_div_zero 0
		.amdhsa_exception_fp_ieee_overflow 0
		.amdhsa_exception_fp_ieee_underflow 0
		.amdhsa_exception_fp_ieee_inexact 0
		.amdhsa_exception_int_div_zero 0
	.end_amdhsa_kernel
	.section	.text._ZN7rocprim17ROCPRIM_400000_NS6detail17trampoline_kernelINS0_14default_configENS1_25partition_config_selectorILNS1_17partition_subalgoE3ExNS0_10empty_typeEbEEZZNS1_14partition_implILS5_3ELb0ES3_jN6thrust23THRUST_200600_302600_NS6detail15normal_iteratorINSA_7pointerIxNSA_11hip_rocprim3tagENSA_11use_defaultESG_EEEEPS6_SJ_NS0_5tupleIJPxSJ_EEENSK_IJSJ_SJ_EEES6_PlJ7is_evenIxEEEE10hipError_tPvRmT3_T4_T5_T6_T7_T9_mT8_P12ihipStream_tbDpT10_ENKUlT_T0_E_clISt17integral_constantIbLb0EES1A_EEDaS15_S16_EUlS15_E_NS1_11comp_targetILNS1_3genE4ELNS1_11target_archE910ELNS1_3gpuE8ELNS1_3repE0EEENS1_30default_config_static_selectorELNS0_4arch9wavefront6targetE1EEEvT1_,"axG",@progbits,_ZN7rocprim17ROCPRIM_400000_NS6detail17trampoline_kernelINS0_14default_configENS1_25partition_config_selectorILNS1_17partition_subalgoE3ExNS0_10empty_typeEbEEZZNS1_14partition_implILS5_3ELb0ES3_jN6thrust23THRUST_200600_302600_NS6detail15normal_iteratorINSA_7pointerIxNSA_11hip_rocprim3tagENSA_11use_defaultESG_EEEEPS6_SJ_NS0_5tupleIJPxSJ_EEENSK_IJSJ_SJ_EEES6_PlJ7is_evenIxEEEE10hipError_tPvRmT3_T4_T5_T6_T7_T9_mT8_P12ihipStream_tbDpT10_ENKUlT_T0_E_clISt17integral_constantIbLb0EES1A_EEDaS15_S16_EUlS15_E_NS1_11comp_targetILNS1_3genE4ELNS1_11target_archE910ELNS1_3gpuE8ELNS1_3repE0EEENS1_30default_config_static_selectorELNS0_4arch9wavefront6targetE1EEEvT1_,comdat
.Lfunc_end7:
	.size	_ZN7rocprim17ROCPRIM_400000_NS6detail17trampoline_kernelINS0_14default_configENS1_25partition_config_selectorILNS1_17partition_subalgoE3ExNS0_10empty_typeEbEEZZNS1_14partition_implILS5_3ELb0ES3_jN6thrust23THRUST_200600_302600_NS6detail15normal_iteratorINSA_7pointerIxNSA_11hip_rocprim3tagENSA_11use_defaultESG_EEEEPS6_SJ_NS0_5tupleIJPxSJ_EEENSK_IJSJ_SJ_EEES6_PlJ7is_evenIxEEEE10hipError_tPvRmT3_T4_T5_T6_T7_T9_mT8_P12ihipStream_tbDpT10_ENKUlT_T0_E_clISt17integral_constantIbLb0EES1A_EEDaS15_S16_EUlS15_E_NS1_11comp_targetILNS1_3genE4ELNS1_11target_archE910ELNS1_3gpuE8ELNS1_3repE0EEENS1_30default_config_static_selectorELNS0_4arch9wavefront6targetE1EEEvT1_, .Lfunc_end7-_ZN7rocprim17ROCPRIM_400000_NS6detail17trampoline_kernelINS0_14default_configENS1_25partition_config_selectorILNS1_17partition_subalgoE3ExNS0_10empty_typeEbEEZZNS1_14partition_implILS5_3ELb0ES3_jN6thrust23THRUST_200600_302600_NS6detail15normal_iteratorINSA_7pointerIxNSA_11hip_rocprim3tagENSA_11use_defaultESG_EEEEPS6_SJ_NS0_5tupleIJPxSJ_EEENSK_IJSJ_SJ_EEES6_PlJ7is_evenIxEEEE10hipError_tPvRmT3_T4_T5_T6_T7_T9_mT8_P12ihipStream_tbDpT10_ENKUlT_T0_E_clISt17integral_constantIbLb0EES1A_EEDaS15_S16_EUlS15_E_NS1_11comp_targetILNS1_3genE4ELNS1_11target_archE910ELNS1_3gpuE8ELNS1_3repE0EEENS1_30default_config_static_selectorELNS0_4arch9wavefront6targetE1EEEvT1_
                                        ; -- End function
	.section	.AMDGPU.csdata,"",@progbits
; Kernel info:
; codeLenInByte = 0
; NumSgprs: 6
; NumVgprs: 0
; NumAgprs: 0
; TotalNumVgprs: 0
; ScratchSize: 0
; MemoryBound: 0
; FloatMode: 240
; IeeeMode: 1
; LDSByteSize: 0 bytes/workgroup (compile time only)
; SGPRBlocks: 0
; VGPRBlocks: 0
; NumSGPRsForWavesPerEU: 6
; NumVGPRsForWavesPerEU: 1
; AccumOffset: 4
; Occupancy: 8
; WaveLimiterHint : 0
; COMPUTE_PGM_RSRC2:SCRATCH_EN: 0
; COMPUTE_PGM_RSRC2:USER_SGPR: 2
; COMPUTE_PGM_RSRC2:TRAP_HANDLER: 0
; COMPUTE_PGM_RSRC2:TGID_X_EN: 1
; COMPUTE_PGM_RSRC2:TGID_Y_EN: 0
; COMPUTE_PGM_RSRC2:TGID_Z_EN: 0
; COMPUTE_PGM_RSRC2:TIDIG_COMP_CNT: 0
; COMPUTE_PGM_RSRC3_GFX90A:ACCUM_OFFSET: 0
; COMPUTE_PGM_RSRC3_GFX90A:TG_SPLIT: 0
	.section	.text._ZN7rocprim17ROCPRIM_400000_NS6detail17trampoline_kernelINS0_14default_configENS1_25partition_config_selectorILNS1_17partition_subalgoE3ExNS0_10empty_typeEbEEZZNS1_14partition_implILS5_3ELb0ES3_jN6thrust23THRUST_200600_302600_NS6detail15normal_iteratorINSA_7pointerIxNSA_11hip_rocprim3tagENSA_11use_defaultESG_EEEEPS6_SJ_NS0_5tupleIJPxSJ_EEENSK_IJSJ_SJ_EEES6_PlJ7is_evenIxEEEE10hipError_tPvRmT3_T4_T5_T6_T7_T9_mT8_P12ihipStream_tbDpT10_ENKUlT_T0_E_clISt17integral_constantIbLb0EES1A_EEDaS15_S16_EUlS15_E_NS1_11comp_targetILNS1_3genE3ELNS1_11target_archE908ELNS1_3gpuE7ELNS1_3repE0EEENS1_30default_config_static_selectorELNS0_4arch9wavefront6targetE1EEEvT1_,"axG",@progbits,_ZN7rocprim17ROCPRIM_400000_NS6detail17trampoline_kernelINS0_14default_configENS1_25partition_config_selectorILNS1_17partition_subalgoE3ExNS0_10empty_typeEbEEZZNS1_14partition_implILS5_3ELb0ES3_jN6thrust23THRUST_200600_302600_NS6detail15normal_iteratorINSA_7pointerIxNSA_11hip_rocprim3tagENSA_11use_defaultESG_EEEEPS6_SJ_NS0_5tupleIJPxSJ_EEENSK_IJSJ_SJ_EEES6_PlJ7is_evenIxEEEE10hipError_tPvRmT3_T4_T5_T6_T7_T9_mT8_P12ihipStream_tbDpT10_ENKUlT_T0_E_clISt17integral_constantIbLb0EES1A_EEDaS15_S16_EUlS15_E_NS1_11comp_targetILNS1_3genE3ELNS1_11target_archE908ELNS1_3gpuE7ELNS1_3repE0EEENS1_30default_config_static_selectorELNS0_4arch9wavefront6targetE1EEEvT1_,comdat
	.protected	_ZN7rocprim17ROCPRIM_400000_NS6detail17trampoline_kernelINS0_14default_configENS1_25partition_config_selectorILNS1_17partition_subalgoE3ExNS0_10empty_typeEbEEZZNS1_14partition_implILS5_3ELb0ES3_jN6thrust23THRUST_200600_302600_NS6detail15normal_iteratorINSA_7pointerIxNSA_11hip_rocprim3tagENSA_11use_defaultESG_EEEEPS6_SJ_NS0_5tupleIJPxSJ_EEENSK_IJSJ_SJ_EEES6_PlJ7is_evenIxEEEE10hipError_tPvRmT3_T4_T5_T6_T7_T9_mT8_P12ihipStream_tbDpT10_ENKUlT_T0_E_clISt17integral_constantIbLb0EES1A_EEDaS15_S16_EUlS15_E_NS1_11comp_targetILNS1_3genE3ELNS1_11target_archE908ELNS1_3gpuE7ELNS1_3repE0EEENS1_30default_config_static_selectorELNS0_4arch9wavefront6targetE1EEEvT1_ ; -- Begin function _ZN7rocprim17ROCPRIM_400000_NS6detail17trampoline_kernelINS0_14default_configENS1_25partition_config_selectorILNS1_17partition_subalgoE3ExNS0_10empty_typeEbEEZZNS1_14partition_implILS5_3ELb0ES3_jN6thrust23THRUST_200600_302600_NS6detail15normal_iteratorINSA_7pointerIxNSA_11hip_rocprim3tagENSA_11use_defaultESG_EEEEPS6_SJ_NS0_5tupleIJPxSJ_EEENSK_IJSJ_SJ_EEES6_PlJ7is_evenIxEEEE10hipError_tPvRmT3_T4_T5_T6_T7_T9_mT8_P12ihipStream_tbDpT10_ENKUlT_T0_E_clISt17integral_constantIbLb0EES1A_EEDaS15_S16_EUlS15_E_NS1_11comp_targetILNS1_3genE3ELNS1_11target_archE908ELNS1_3gpuE7ELNS1_3repE0EEENS1_30default_config_static_selectorELNS0_4arch9wavefront6targetE1EEEvT1_
	.globl	_ZN7rocprim17ROCPRIM_400000_NS6detail17trampoline_kernelINS0_14default_configENS1_25partition_config_selectorILNS1_17partition_subalgoE3ExNS0_10empty_typeEbEEZZNS1_14partition_implILS5_3ELb0ES3_jN6thrust23THRUST_200600_302600_NS6detail15normal_iteratorINSA_7pointerIxNSA_11hip_rocprim3tagENSA_11use_defaultESG_EEEEPS6_SJ_NS0_5tupleIJPxSJ_EEENSK_IJSJ_SJ_EEES6_PlJ7is_evenIxEEEE10hipError_tPvRmT3_T4_T5_T6_T7_T9_mT8_P12ihipStream_tbDpT10_ENKUlT_T0_E_clISt17integral_constantIbLb0EES1A_EEDaS15_S16_EUlS15_E_NS1_11comp_targetILNS1_3genE3ELNS1_11target_archE908ELNS1_3gpuE7ELNS1_3repE0EEENS1_30default_config_static_selectorELNS0_4arch9wavefront6targetE1EEEvT1_
	.p2align	8
	.type	_ZN7rocprim17ROCPRIM_400000_NS6detail17trampoline_kernelINS0_14default_configENS1_25partition_config_selectorILNS1_17partition_subalgoE3ExNS0_10empty_typeEbEEZZNS1_14partition_implILS5_3ELb0ES3_jN6thrust23THRUST_200600_302600_NS6detail15normal_iteratorINSA_7pointerIxNSA_11hip_rocprim3tagENSA_11use_defaultESG_EEEEPS6_SJ_NS0_5tupleIJPxSJ_EEENSK_IJSJ_SJ_EEES6_PlJ7is_evenIxEEEE10hipError_tPvRmT3_T4_T5_T6_T7_T9_mT8_P12ihipStream_tbDpT10_ENKUlT_T0_E_clISt17integral_constantIbLb0EES1A_EEDaS15_S16_EUlS15_E_NS1_11comp_targetILNS1_3genE3ELNS1_11target_archE908ELNS1_3gpuE7ELNS1_3repE0EEENS1_30default_config_static_selectorELNS0_4arch9wavefront6targetE1EEEvT1_,@function
_ZN7rocprim17ROCPRIM_400000_NS6detail17trampoline_kernelINS0_14default_configENS1_25partition_config_selectorILNS1_17partition_subalgoE3ExNS0_10empty_typeEbEEZZNS1_14partition_implILS5_3ELb0ES3_jN6thrust23THRUST_200600_302600_NS6detail15normal_iteratorINSA_7pointerIxNSA_11hip_rocprim3tagENSA_11use_defaultESG_EEEEPS6_SJ_NS0_5tupleIJPxSJ_EEENSK_IJSJ_SJ_EEES6_PlJ7is_evenIxEEEE10hipError_tPvRmT3_T4_T5_T6_T7_T9_mT8_P12ihipStream_tbDpT10_ENKUlT_T0_E_clISt17integral_constantIbLb0EES1A_EEDaS15_S16_EUlS15_E_NS1_11comp_targetILNS1_3genE3ELNS1_11target_archE908ELNS1_3gpuE7ELNS1_3repE0EEENS1_30default_config_static_selectorELNS0_4arch9wavefront6targetE1EEEvT1_: ; @_ZN7rocprim17ROCPRIM_400000_NS6detail17trampoline_kernelINS0_14default_configENS1_25partition_config_selectorILNS1_17partition_subalgoE3ExNS0_10empty_typeEbEEZZNS1_14partition_implILS5_3ELb0ES3_jN6thrust23THRUST_200600_302600_NS6detail15normal_iteratorINSA_7pointerIxNSA_11hip_rocprim3tagENSA_11use_defaultESG_EEEEPS6_SJ_NS0_5tupleIJPxSJ_EEENSK_IJSJ_SJ_EEES6_PlJ7is_evenIxEEEE10hipError_tPvRmT3_T4_T5_T6_T7_T9_mT8_P12ihipStream_tbDpT10_ENKUlT_T0_E_clISt17integral_constantIbLb0EES1A_EEDaS15_S16_EUlS15_E_NS1_11comp_targetILNS1_3genE3ELNS1_11target_archE908ELNS1_3gpuE7ELNS1_3repE0EEENS1_30default_config_static_selectorELNS0_4arch9wavefront6targetE1EEEvT1_
; %bb.0:
	.section	.rodata,"a",@progbits
	.p2align	6, 0x0
	.amdhsa_kernel _ZN7rocprim17ROCPRIM_400000_NS6detail17trampoline_kernelINS0_14default_configENS1_25partition_config_selectorILNS1_17partition_subalgoE3ExNS0_10empty_typeEbEEZZNS1_14partition_implILS5_3ELb0ES3_jN6thrust23THRUST_200600_302600_NS6detail15normal_iteratorINSA_7pointerIxNSA_11hip_rocprim3tagENSA_11use_defaultESG_EEEEPS6_SJ_NS0_5tupleIJPxSJ_EEENSK_IJSJ_SJ_EEES6_PlJ7is_evenIxEEEE10hipError_tPvRmT3_T4_T5_T6_T7_T9_mT8_P12ihipStream_tbDpT10_ENKUlT_T0_E_clISt17integral_constantIbLb0EES1A_EEDaS15_S16_EUlS15_E_NS1_11comp_targetILNS1_3genE3ELNS1_11target_archE908ELNS1_3gpuE7ELNS1_3repE0EEENS1_30default_config_static_selectorELNS0_4arch9wavefront6targetE1EEEvT1_
		.amdhsa_group_segment_fixed_size 0
		.amdhsa_private_segment_fixed_size 0
		.amdhsa_kernarg_size 120
		.amdhsa_user_sgpr_count 2
		.amdhsa_user_sgpr_dispatch_ptr 0
		.amdhsa_user_sgpr_queue_ptr 0
		.amdhsa_user_sgpr_kernarg_segment_ptr 1
		.amdhsa_user_sgpr_dispatch_id 0
		.amdhsa_user_sgpr_kernarg_preload_length 0
		.amdhsa_user_sgpr_kernarg_preload_offset 0
		.amdhsa_user_sgpr_private_segment_size 0
		.amdhsa_uses_dynamic_stack 0
		.amdhsa_enable_private_segment 0
		.amdhsa_system_sgpr_workgroup_id_x 1
		.amdhsa_system_sgpr_workgroup_id_y 0
		.amdhsa_system_sgpr_workgroup_id_z 0
		.amdhsa_system_sgpr_workgroup_info 0
		.amdhsa_system_vgpr_workitem_id 0
		.amdhsa_next_free_vgpr 1
		.amdhsa_next_free_sgpr 0
		.amdhsa_accum_offset 4
		.amdhsa_reserve_vcc 0
		.amdhsa_float_round_mode_32 0
		.amdhsa_float_round_mode_16_64 0
		.amdhsa_float_denorm_mode_32 3
		.amdhsa_float_denorm_mode_16_64 3
		.amdhsa_dx10_clamp 1
		.amdhsa_ieee_mode 1
		.amdhsa_fp16_overflow 0
		.amdhsa_tg_split 0
		.amdhsa_exception_fp_ieee_invalid_op 0
		.amdhsa_exception_fp_denorm_src 0
		.amdhsa_exception_fp_ieee_div_zero 0
		.amdhsa_exception_fp_ieee_overflow 0
		.amdhsa_exception_fp_ieee_underflow 0
		.amdhsa_exception_fp_ieee_inexact 0
		.amdhsa_exception_int_div_zero 0
	.end_amdhsa_kernel
	.section	.text._ZN7rocprim17ROCPRIM_400000_NS6detail17trampoline_kernelINS0_14default_configENS1_25partition_config_selectorILNS1_17partition_subalgoE3ExNS0_10empty_typeEbEEZZNS1_14partition_implILS5_3ELb0ES3_jN6thrust23THRUST_200600_302600_NS6detail15normal_iteratorINSA_7pointerIxNSA_11hip_rocprim3tagENSA_11use_defaultESG_EEEEPS6_SJ_NS0_5tupleIJPxSJ_EEENSK_IJSJ_SJ_EEES6_PlJ7is_evenIxEEEE10hipError_tPvRmT3_T4_T5_T6_T7_T9_mT8_P12ihipStream_tbDpT10_ENKUlT_T0_E_clISt17integral_constantIbLb0EES1A_EEDaS15_S16_EUlS15_E_NS1_11comp_targetILNS1_3genE3ELNS1_11target_archE908ELNS1_3gpuE7ELNS1_3repE0EEENS1_30default_config_static_selectorELNS0_4arch9wavefront6targetE1EEEvT1_,"axG",@progbits,_ZN7rocprim17ROCPRIM_400000_NS6detail17trampoline_kernelINS0_14default_configENS1_25partition_config_selectorILNS1_17partition_subalgoE3ExNS0_10empty_typeEbEEZZNS1_14partition_implILS5_3ELb0ES3_jN6thrust23THRUST_200600_302600_NS6detail15normal_iteratorINSA_7pointerIxNSA_11hip_rocprim3tagENSA_11use_defaultESG_EEEEPS6_SJ_NS0_5tupleIJPxSJ_EEENSK_IJSJ_SJ_EEES6_PlJ7is_evenIxEEEE10hipError_tPvRmT3_T4_T5_T6_T7_T9_mT8_P12ihipStream_tbDpT10_ENKUlT_T0_E_clISt17integral_constantIbLb0EES1A_EEDaS15_S16_EUlS15_E_NS1_11comp_targetILNS1_3genE3ELNS1_11target_archE908ELNS1_3gpuE7ELNS1_3repE0EEENS1_30default_config_static_selectorELNS0_4arch9wavefront6targetE1EEEvT1_,comdat
.Lfunc_end8:
	.size	_ZN7rocprim17ROCPRIM_400000_NS6detail17trampoline_kernelINS0_14default_configENS1_25partition_config_selectorILNS1_17partition_subalgoE3ExNS0_10empty_typeEbEEZZNS1_14partition_implILS5_3ELb0ES3_jN6thrust23THRUST_200600_302600_NS6detail15normal_iteratorINSA_7pointerIxNSA_11hip_rocprim3tagENSA_11use_defaultESG_EEEEPS6_SJ_NS0_5tupleIJPxSJ_EEENSK_IJSJ_SJ_EEES6_PlJ7is_evenIxEEEE10hipError_tPvRmT3_T4_T5_T6_T7_T9_mT8_P12ihipStream_tbDpT10_ENKUlT_T0_E_clISt17integral_constantIbLb0EES1A_EEDaS15_S16_EUlS15_E_NS1_11comp_targetILNS1_3genE3ELNS1_11target_archE908ELNS1_3gpuE7ELNS1_3repE0EEENS1_30default_config_static_selectorELNS0_4arch9wavefront6targetE1EEEvT1_, .Lfunc_end8-_ZN7rocprim17ROCPRIM_400000_NS6detail17trampoline_kernelINS0_14default_configENS1_25partition_config_selectorILNS1_17partition_subalgoE3ExNS0_10empty_typeEbEEZZNS1_14partition_implILS5_3ELb0ES3_jN6thrust23THRUST_200600_302600_NS6detail15normal_iteratorINSA_7pointerIxNSA_11hip_rocprim3tagENSA_11use_defaultESG_EEEEPS6_SJ_NS0_5tupleIJPxSJ_EEENSK_IJSJ_SJ_EEES6_PlJ7is_evenIxEEEE10hipError_tPvRmT3_T4_T5_T6_T7_T9_mT8_P12ihipStream_tbDpT10_ENKUlT_T0_E_clISt17integral_constantIbLb0EES1A_EEDaS15_S16_EUlS15_E_NS1_11comp_targetILNS1_3genE3ELNS1_11target_archE908ELNS1_3gpuE7ELNS1_3repE0EEENS1_30default_config_static_selectorELNS0_4arch9wavefront6targetE1EEEvT1_
                                        ; -- End function
	.section	.AMDGPU.csdata,"",@progbits
; Kernel info:
; codeLenInByte = 0
; NumSgprs: 6
; NumVgprs: 0
; NumAgprs: 0
; TotalNumVgprs: 0
; ScratchSize: 0
; MemoryBound: 0
; FloatMode: 240
; IeeeMode: 1
; LDSByteSize: 0 bytes/workgroup (compile time only)
; SGPRBlocks: 0
; VGPRBlocks: 0
; NumSGPRsForWavesPerEU: 6
; NumVGPRsForWavesPerEU: 1
; AccumOffset: 4
; Occupancy: 8
; WaveLimiterHint : 0
; COMPUTE_PGM_RSRC2:SCRATCH_EN: 0
; COMPUTE_PGM_RSRC2:USER_SGPR: 2
; COMPUTE_PGM_RSRC2:TRAP_HANDLER: 0
; COMPUTE_PGM_RSRC2:TGID_X_EN: 1
; COMPUTE_PGM_RSRC2:TGID_Y_EN: 0
; COMPUTE_PGM_RSRC2:TGID_Z_EN: 0
; COMPUTE_PGM_RSRC2:TIDIG_COMP_CNT: 0
; COMPUTE_PGM_RSRC3_GFX90A:ACCUM_OFFSET: 0
; COMPUTE_PGM_RSRC3_GFX90A:TG_SPLIT: 0
	.section	.text._ZN7rocprim17ROCPRIM_400000_NS6detail17trampoline_kernelINS0_14default_configENS1_25partition_config_selectorILNS1_17partition_subalgoE3ExNS0_10empty_typeEbEEZZNS1_14partition_implILS5_3ELb0ES3_jN6thrust23THRUST_200600_302600_NS6detail15normal_iteratorINSA_7pointerIxNSA_11hip_rocprim3tagENSA_11use_defaultESG_EEEEPS6_SJ_NS0_5tupleIJPxSJ_EEENSK_IJSJ_SJ_EEES6_PlJ7is_evenIxEEEE10hipError_tPvRmT3_T4_T5_T6_T7_T9_mT8_P12ihipStream_tbDpT10_ENKUlT_T0_E_clISt17integral_constantIbLb0EES1A_EEDaS15_S16_EUlS15_E_NS1_11comp_targetILNS1_3genE2ELNS1_11target_archE906ELNS1_3gpuE6ELNS1_3repE0EEENS1_30default_config_static_selectorELNS0_4arch9wavefront6targetE1EEEvT1_,"axG",@progbits,_ZN7rocprim17ROCPRIM_400000_NS6detail17trampoline_kernelINS0_14default_configENS1_25partition_config_selectorILNS1_17partition_subalgoE3ExNS0_10empty_typeEbEEZZNS1_14partition_implILS5_3ELb0ES3_jN6thrust23THRUST_200600_302600_NS6detail15normal_iteratorINSA_7pointerIxNSA_11hip_rocprim3tagENSA_11use_defaultESG_EEEEPS6_SJ_NS0_5tupleIJPxSJ_EEENSK_IJSJ_SJ_EEES6_PlJ7is_evenIxEEEE10hipError_tPvRmT3_T4_T5_T6_T7_T9_mT8_P12ihipStream_tbDpT10_ENKUlT_T0_E_clISt17integral_constantIbLb0EES1A_EEDaS15_S16_EUlS15_E_NS1_11comp_targetILNS1_3genE2ELNS1_11target_archE906ELNS1_3gpuE6ELNS1_3repE0EEENS1_30default_config_static_selectorELNS0_4arch9wavefront6targetE1EEEvT1_,comdat
	.protected	_ZN7rocprim17ROCPRIM_400000_NS6detail17trampoline_kernelINS0_14default_configENS1_25partition_config_selectorILNS1_17partition_subalgoE3ExNS0_10empty_typeEbEEZZNS1_14partition_implILS5_3ELb0ES3_jN6thrust23THRUST_200600_302600_NS6detail15normal_iteratorINSA_7pointerIxNSA_11hip_rocprim3tagENSA_11use_defaultESG_EEEEPS6_SJ_NS0_5tupleIJPxSJ_EEENSK_IJSJ_SJ_EEES6_PlJ7is_evenIxEEEE10hipError_tPvRmT3_T4_T5_T6_T7_T9_mT8_P12ihipStream_tbDpT10_ENKUlT_T0_E_clISt17integral_constantIbLb0EES1A_EEDaS15_S16_EUlS15_E_NS1_11comp_targetILNS1_3genE2ELNS1_11target_archE906ELNS1_3gpuE6ELNS1_3repE0EEENS1_30default_config_static_selectorELNS0_4arch9wavefront6targetE1EEEvT1_ ; -- Begin function _ZN7rocprim17ROCPRIM_400000_NS6detail17trampoline_kernelINS0_14default_configENS1_25partition_config_selectorILNS1_17partition_subalgoE3ExNS0_10empty_typeEbEEZZNS1_14partition_implILS5_3ELb0ES3_jN6thrust23THRUST_200600_302600_NS6detail15normal_iteratorINSA_7pointerIxNSA_11hip_rocprim3tagENSA_11use_defaultESG_EEEEPS6_SJ_NS0_5tupleIJPxSJ_EEENSK_IJSJ_SJ_EEES6_PlJ7is_evenIxEEEE10hipError_tPvRmT3_T4_T5_T6_T7_T9_mT8_P12ihipStream_tbDpT10_ENKUlT_T0_E_clISt17integral_constantIbLb0EES1A_EEDaS15_S16_EUlS15_E_NS1_11comp_targetILNS1_3genE2ELNS1_11target_archE906ELNS1_3gpuE6ELNS1_3repE0EEENS1_30default_config_static_selectorELNS0_4arch9wavefront6targetE1EEEvT1_
	.globl	_ZN7rocprim17ROCPRIM_400000_NS6detail17trampoline_kernelINS0_14default_configENS1_25partition_config_selectorILNS1_17partition_subalgoE3ExNS0_10empty_typeEbEEZZNS1_14partition_implILS5_3ELb0ES3_jN6thrust23THRUST_200600_302600_NS6detail15normal_iteratorINSA_7pointerIxNSA_11hip_rocprim3tagENSA_11use_defaultESG_EEEEPS6_SJ_NS0_5tupleIJPxSJ_EEENSK_IJSJ_SJ_EEES6_PlJ7is_evenIxEEEE10hipError_tPvRmT3_T4_T5_T6_T7_T9_mT8_P12ihipStream_tbDpT10_ENKUlT_T0_E_clISt17integral_constantIbLb0EES1A_EEDaS15_S16_EUlS15_E_NS1_11comp_targetILNS1_3genE2ELNS1_11target_archE906ELNS1_3gpuE6ELNS1_3repE0EEENS1_30default_config_static_selectorELNS0_4arch9wavefront6targetE1EEEvT1_
	.p2align	8
	.type	_ZN7rocprim17ROCPRIM_400000_NS6detail17trampoline_kernelINS0_14default_configENS1_25partition_config_selectorILNS1_17partition_subalgoE3ExNS0_10empty_typeEbEEZZNS1_14partition_implILS5_3ELb0ES3_jN6thrust23THRUST_200600_302600_NS6detail15normal_iteratorINSA_7pointerIxNSA_11hip_rocprim3tagENSA_11use_defaultESG_EEEEPS6_SJ_NS0_5tupleIJPxSJ_EEENSK_IJSJ_SJ_EEES6_PlJ7is_evenIxEEEE10hipError_tPvRmT3_T4_T5_T6_T7_T9_mT8_P12ihipStream_tbDpT10_ENKUlT_T0_E_clISt17integral_constantIbLb0EES1A_EEDaS15_S16_EUlS15_E_NS1_11comp_targetILNS1_3genE2ELNS1_11target_archE906ELNS1_3gpuE6ELNS1_3repE0EEENS1_30default_config_static_selectorELNS0_4arch9wavefront6targetE1EEEvT1_,@function
_ZN7rocprim17ROCPRIM_400000_NS6detail17trampoline_kernelINS0_14default_configENS1_25partition_config_selectorILNS1_17partition_subalgoE3ExNS0_10empty_typeEbEEZZNS1_14partition_implILS5_3ELb0ES3_jN6thrust23THRUST_200600_302600_NS6detail15normal_iteratorINSA_7pointerIxNSA_11hip_rocprim3tagENSA_11use_defaultESG_EEEEPS6_SJ_NS0_5tupleIJPxSJ_EEENSK_IJSJ_SJ_EEES6_PlJ7is_evenIxEEEE10hipError_tPvRmT3_T4_T5_T6_T7_T9_mT8_P12ihipStream_tbDpT10_ENKUlT_T0_E_clISt17integral_constantIbLb0EES1A_EEDaS15_S16_EUlS15_E_NS1_11comp_targetILNS1_3genE2ELNS1_11target_archE906ELNS1_3gpuE6ELNS1_3repE0EEENS1_30default_config_static_selectorELNS0_4arch9wavefront6targetE1EEEvT1_: ; @_ZN7rocprim17ROCPRIM_400000_NS6detail17trampoline_kernelINS0_14default_configENS1_25partition_config_selectorILNS1_17partition_subalgoE3ExNS0_10empty_typeEbEEZZNS1_14partition_implILS5_3ELb0ES3_jN6thrust23THRUST_200600_302600_NS6detail15normal_iteratorINSA_7pointerIxNSA_11hip_rocprim3tagENSA_11use_defaultESG_EEEEPS6_SJ_NS0_5tupleIJPxSJ_EEENSK_IJSJ_SJ_EEES6_PlJ7is_evenIxEEEE10hipError_tPvRmT3_T4_T5_T6_T7_T9_mT8_P12ihipStream_tbDpT10_ENKUlT_T0_E_clISt17integral_constantIbLb0EES1A_EEDaS15_S16_EUlS15_E_NS1_11comp_targetILNS1_3genE2ELNS1_11target_archE906ELNS1_3gpuE6ELNS1_3repE0EEENS1_30default_config_static_selectorELNS0_4arch9wavefront6targetE1EEEvT1_
; %bb.0:
	.section	.rodata,"a",@progbits
	.p2align	6, 0x0
	.amdhsa_kernel _ZN7rocprim17ROCPRIM_400000_NS6detail17trampoline_kernelINS0_14default_configENS1_25partition_config_selectorILNS1_17partition_subalgoE3ExNS0_10empty_typeEbEEZZNS1_14partition_implILS5_3ELb0ES3_jN6thrust23THRUST_200600_302600_NS6detail15normal_iteratorINSA_7pointerIxNSA_11hip_rocprim3tagENSA_11use_defaultESG_EEEEPS6_SJ_NS0_5tupleIJPxSJ_EEENSK_IJSJ_SJ_EEES6_PlJ7is_evenIxEEEE10hipError_tPvRmT3_T4_T5_T6_T7_T9_mT8_P12ihipStream_tbDpT10_ENKUlT_T0_E_clISt17integral_constantIbLb0EES1A_EEDaS15_S16_EUlS15_E_NS1_11comp_targetILNS1_3genE2ELNS1_11target_archE906ELNS1_3gpuE6ELNS1_3repE0EEENS1_30default_config_static_selectorELNS0_4arch9wavefront6targetE1EEEvT1_
		.amdhsa_group_segment_fixed_size 0
		.amdhsa_private_segment_fixed_size 0
		.amdhsa_kernarg_size 120
		.amdhsa_user_sgpr_count 2
		.amdhsa_user_sgpr_dispatch_ptr 0
		.amdhsa_user_sgpr_queue_ptr 0
		.amdhsa_user_sgpr_kernarg_segment_ptr 1
		.amdhsa_user_sgpr_dispatch_id 0
		.amdhsa_user_sgpr_kernarg_preload_length 0
		.amdhsa_user_sgpr_kernarg_preload_offset 0
		.amdhsa_user_sgpr_private_segment_size 0
		.amdhsa_uses_dynamic_stack 0
		.amdhsa_enable_private_segment 0
		.amdhsa_system_sgpr_workgroup_id_x 1
		.amdhsa_system_sgpr_workgroup_id_y 0
		.amdhsa_system_sgpr_workgroup_id_z 0
		.amdhsa_system_sgpr_workgroup_info 0
		.amdhsa_system_vgpr_workitem_id 0
		.amdhsa_next_free_vgpr 1
		.amdhsa_next_free_sgpr 0
		.amdhsa_accum_offset 4
		.amdhsa_reserve_vcc 0
		.amdhsa_float_round_mode_32 0
		.amdhsa_float_round_mode_16_64 0
		.amdhsa_float_denorm_mode_32 3
		.amdhsa_float_denorm_mode_16_64 3
		.amdhsa_dx10_clamp 1
		.amdhsa_ieee_mode 1
		.amdhsa_fp16_overflow 0
		.amdhsa_tg_split 0
		.amdhsa_exception_fp_ieee_invalid_op 0
		.amdhsa_exception_fp_denorm_src 0
		.amdhsa_exception_fp_ieee_div_zero 0
		.amdhsa_exception_fp_ieee_overflow 0
		.amdhsa_exception_fp_ieee_underflow 0
		.amdhsa_exception_fp_ieee_inexact 0
		.amdhsa_exception_int_div_zero 0
	.end_amdhsa_kernel
	.section	.text._ZN7rocprim17ROCPRIM_400000_NS6detail17trampoline_kernelINS0_14default_configENS1_25partition_config_selectorILNS1_17partition_subalgoE3ExNS0_10empty_typeEbEEZZNS1_14partition_implILS5_3ELb0ES3_jN6thrust23THRUST_200600_302600_NS6detail15normal_iteratorINSA_7pointerIxNSA_11hip_rocprim3tagENSA_11use_defaultESG_EEEEPS6_SJ_NS0_5tupleIJPxSJ_EEENSK_IJSJ_SJ_EEES6_PlJ7is_evenIxEEEE10hipError_tPvRmT3_T4_T5_T6_T7_T9_mT8_P12ihipStream_tbDpT10_ENKUlT_T0_E_clISt17integral_constantIbLb0EES1A_EEDaS15_S16_EUlS15_E_NS1_11comp_targetILNS1_3genE2ELNS1_11target_archE906ELNS1_3gpuE6ELNS1_3repE0EEENS1_30default_config_static_selectorELNS0_4arch9wavefront6targetE1EEEvT1_,"axG",@progbits,_ZN7rocprim17ROCPRIM_400000_NS6detail17trampoline_kernelINS0_14default_configENS1_25partition_config_selectorILNS1_17partition_subalgoE3ExNS0_10empty_typeEbEEZZNS1_14partition_implILS5_3ELb0ES3_jN6thrust23THRUST_200600_302600_NS6detail15normal_iteratorINSA_7pointerIxNSA_11hip_rocprim3tagENSA_11use_defaultESG_EEEEPS6_SJ_NS0_5tupleIJPxSJ_EEENSK_IJSJ_SJ_EEES6_PlJ7is_evenIxEEEE10hipError_tPvRmT3_T4_T5_T6_T7_T9_mT8_P12ihipStream_tbDpT10_ENKUlT_T0_E_clISt17integral_constantIbLb0EES1A_EEDaS15_S16_EUlS15_E_NS1_11comp_targetILNS1_3genE2ELNS1_11target_archE906ELNS1_3gpuE6ELNS1_3repE0EEENS1_30default_config_static_selectorELNS0_4arch9wavefront6targetE1EEEvT1_,comdat
.Lfunc_end9:
	.size	_ZN7rocprim17ROCPRIM_400000_NS6detail17trampoline_kernelINS0_14default_configENS1_25partition_config_selectorILNS1_17partition_subalgoE3ExNS0_10empty_typeEbEEZZNS1_14partition_implILS5_3ELb0ES3_jN6thrust23THRUST_200600_302600_NS6detail15normal_iteratorINSA_7pointerIxNSA_11hip_rocprim3tagENSA_11use_defaultESG_EEEEPS6_SJ_NS0_5tupleIJPxSJ_EEENSK_IJSJ_SJ_EEES6_PlJ7is_evenIxEEEE10hipError_tPvRmT3_T4_T5_T6_T7_T9_mT8_P12ihipStream_tbDpT10_ENKUlT_T0_E_clISt17integral_constantIbLb0EES1A_EEDaS15_S16_EUlS15_E_NS1_11comp_targetILNS1_3genE2ELNS1_11target_archE906ELNS1_3gpuE6ELNS1_3repE0EEENS1_30default_config_static_selectorELNS0_4arch9wavefront6targetE1EEEvT1_, .Lfunc_end9-_ZN7rocprim17ROCPRIM_400000_NS6detail17trampoline_kernelINS0_14default_configENS1_25partition_config_selectorILNS1_17partition_subalgoE3ExNS0_10empty_typeEbEEZZNS1_14partition_implILS5_3ELb0ES3_jN6thrust23THRUST_200600_302600_NS6detail15normal_iteratorINSA_7pointerIxNSA_11hip_rocprim3tagENSA_11use_defaultESG_EEEEPS6_SJ_NS0_5tupleIJPxSJ_EEENSK_IJSJ_SJ_EEES6_PlJ7is_evenIxEEEE10hipError_tPvRmT3_T4_T5_T6_T7_T9_mT8_P12ihipStream_tbDpT10_ENKUlT_T0_E_clISt17integral_constantIbLb0EES1A_EEDaS15_S16_EUlS15_E_NS1_11comp_targetILNS1_3genE2ELNS1_11target_archE906ELNS1_3gpuE6ELNS1_3repE0EEENS1_30default_config_static_selectorELNS0_4arch9wavefront6targetE1EEEvT1_
                                        ; -- End function
	.section	.AMDGPU.csdata,"",@progbits
; Kernel info:
; codeLenInByte = 0
; NumSgprs: 6
; NumVgprs: 0
; NumAgprs: 0
; TotalNumVgprs: 0
; ScratchSize: 0
; MemoryBound: 0
; FloatMode: 240
; IeeeMode: 1
; LDSByteSize: 0 bytes/workgroup (compile time only)
; SGPRBlocks: 0
; VGPRBlocks: 0
; NumSGPRsForWavesPerEU: 6
; NumVGPRsForWavesPerEU: 1
; AccumOffset: 4
; Occupancy: 8
; WaveLimiterHint : 0
; COMPUTE_PGM_RSRC2:SCRATCH_EN: 0
; COMPUTE_PGM_RSRC2:USER_SGPR: 2
; COMPUTE_PGM_RSRC2:TRAP_HANDLER: 0
; COMPUTE_PGM_RSRC2:TGID_X_EN: 1
; COMPUTE_PGM_RSRC2:TGID_Y_EN: 0
; COMPUTE_PGM_RSRC2:TGID_Z_EN: 0
; COMPUTE_PGM_RSRC2:TIDIG_COMP_CNT: 0
; COMPUTE_PGM_RSRC3_GFX90A:ACCUM_OFFSET: 0
; COMPUTE_PGM_RSRC3_GFX90A:TG_SPLIT: 0
	.section	.text._ZN7rocprim17ROCPRIM_400000_NS6detail17trampoline_kernelINS0_14default_configENS1_25partition_config_selectorILNS1_17partition_subalgoE3ExNS0_10empty_typeEbEEZZNS1_14partition_implILS5_3ELb0ES3_jN6thrust23THRUST_200600_302600_NS6detail15normal_iteratorINSA_7pointerIxNSA_11hip_rocprim3tagENSA_11use_defaultESG_EEEEPS6_SJ_NS0_5tupleIJPxSJ_EEENSK_IJSJ_SJ_EEES6_PlJ7is_evenIxEEEE10hipError_tPvRmT3_T4_T5_T6_T7_T9_mT8_P12ihipStream_tbDpT10_ENKUlT_T0_E_clISt17integral_constantIbLb0EES1A_EEDaS15_S16_EUlS15_E_NS1_11comp_targetILNS1_3genE10ELNS1_11target_archE1200ELNS1_3gpuE4ELNS1_3repE0EEENS1_30default_config_static_selectorELNS0_4arch9wavefront6targetE1EEEvT1_,"axG",@progbits,_ZN7rocprim17ROCPRIM_400000_NS6detail17trampoline_kernelINS0_14default_configENS1_25partition_config_selectorILNS1_17partition_subalgoE3ExNS0_10empty_typeEbEEZZNS1_14partition_implILS5_3ELb0ES3_jN6thrust23THRUST_200600_302600_NS6detail15normal_iteratorINSA_7pointerIxNSA_11hip_rocprim3tagENSA_11use_defaultESG_EEEEPS6_SJ_NS0_5tupleIJPxSJ_EEENSK_IJSJ_SJ_EEES6_PlJ7is_evenIxEEEE10hipError_tPvRmT3_T4_T5_T6_T7_T9_mT8_P12ihipStream_tbDpT10_ENKUlT_T0_E_clISt17integral_constantIbLb0EES1A_EEDaS15_S16_EUlS15_E_NS1_11comp_targetILNS1_3genE10ELNS1_11target_archE1200ELNS1_3gpuE4ELNS1_3repE0EEENS1_30default_config_static_selectorELNS0_4arch9wavefront6targetE1EEEvT1_,comdat
	.protected	_ZN7rocprim17ROCPRIM_400000_NS6detail17trampoline_kernelINS0_14default_configENS1_25partition_config_selectorILNS1_17partition_subalgoE3ExNS0_10empty_typeEbEEZZNS1_14partition_implILS5_3ELb0ES3_jN6thrust23THRUST_200600_302600_NS6detail15normal_iteratorINSA_7pointerIxNSA_11hip_rocprim3tagENSA_11use_defaultESG_EEEEPS6_SJ_NS0_5tupleIJPxSJ_EEENSK_IJSJ_SJ_EEES6_PlJ7is_evenIxEEEE10hipError_tPvRmT3_T4_T5_T6_T7_T9_mT8_P12ihipStream_tbDpT10_ENKUlT_T0_E_clISt17integral_constantIbLb0EES1A_EEDaS15_S16_EUlS15_E_NS1_11comp_targetILNS1_3genE10ELNS1_11target_archE1200ELNS1_3gpuE4ELNS1_3repE0EEENS1_30default_config_static_selectorELNS0_4arch9wavefront6targetE1EEEvT1_ ; -- Begin function _ZN7rocprim17ROCPRIM_400000_NS6detail17trampoline_kernelINS0_14default_configENS1_25partition_config_selectorILNS1_17partition_subalgoE3ExNS0_10empty_typeEbEEZZNS1_14partition_implILS5_3ELb0ES3_jN6thrust23THRUST_200600_302600_NS6detail15normal_iteratorINSA_7pointerIxNSA_11hip_rocprim3tagENSA_11use_defaultESG_EEEEPS6_SJ_NS0_5tupleIJPxSJ_EEENSK_IJSJ_SJ_EEES6_PlJ7is_evenIxEEEE10hipError_tPvRmT3_T4_T5_T6_T7_T9_mT8_P12ihipStream_tbDpT10_ENKUlT_T0_E_clISt17integral_constantIbLb0EES1A_EEDaS15_S16_EUlS15_E_NS1_11comp_targetILNS1_3genE10ELNS1_11target_archE1200ELNS1_3gpuE4ELNS1_3repE0EEENS1_30default_config_static_selectorELNS0_4arch9wavefront6targetE1EEEvT1_
	.globl	_ZN7rocprim17ROCPRIM_400000_NS6detail17trampoline_kernelINS0_14default_configENS1_25partition_config_selectorILNS1_17partition_subalgoE3ExNS0_10empty_typeEbEEZZNS1_14partition_implILS5_3ELb0ES3_jN6thrust23THRUST_200600_302600_NS6detail15normal_iteratorINSA_7pointerIxNSA_11hip_rocprim3tagENSA_11use_defaultESG_EEEEPS6_SJ_NS0_5tupleIJPxSJ_EEENSK_IJSJ_SJ_EEES6_PlJ7is_evenIxEEEE10hipError_tPvRmT3_T4_T5_T6_T7_T9_mT8_P12ihipStream_tbDpT10_ENKUlT_T0_E_clISt17integral_constantIbLb0EES1A_EEDaS15_S16_EUlS15_E_NS1_11comp_targetILNS1_3genE10ELNS1_11target_archE1200ELNS1_3gpuE4ELNS1_3repE0EEENS1_30default_config_static_selectorELNS0_4arch9wavefront6targetE1EEEvT1_
	.p2align	8
	.type	_ZN7rocprim17ROCPRIM_400000_NS6detail17trampoline_kernelINS0_14default_configENS1_25partition_config_selectorILNS1_17partition_subalgoE3ExNS0_10empty_typeEbEEZZNS1_14partition_implILS5_3ELb0ES3_jN6thrust23THRUST_200600_302600_NS6detail15normal_iteratorINSA_7pointerIxNSA_11hip_rocprim3tagENSA_11use_defaultESG_EEEEPS6_SJ_NS0_5tupleIJPxSJ_EEENSK_IJSJ_SJ_EEES6_PlJ7is_evenIxEEEE10hipError_tPvRmT3_T4_T5_T6_T7_T9_mT8_P12ihipStream_tbDpT10_ENKUlT_T0_E_clISt17integral_constantIbLb0EES1A_EEDaS15_S16_EUlS15_E_NS1_11comp_targetILNS1_3genE10ELNS1_11target_archE1200ELNS1_3gpuE4ELNS1_3repE0EEENS1_30default_config_static_selectorELNS0_4arch9wavefront6targetE1EEEvT1_,@function
_ZN7rocprim17ROCPRIM_400000_NS6detail17trampoline_kernelINS0_14default_configENS1_25partition_config_selectorILNS1_17partition_subalgoE3ExNS0_10empty_typeEbEEZZNS1_14partition_implILS5_3ELb0ES3_jN6thrust23THRUST_200600_302600_NS6detail15normal_iteratorINSA_7pointerIxNSA_11hip_rocprim3tagENSA_11use_defaultESG_EEEEPS6_SJ_NS0_5tupleIJPxSJ_EEENSK_IJSJ_SJ_EEES6_PlJ7is_evenIxEEEE10hipError_tPvRmT3_T4_T5_T6_T7_T9_mT8_P12ihipStream_tbDpT10_ENKUlT_T0_E_clISt17integral_constantIbLb0EES1A_EEDaS15_S16_EUlS15_E_NS1_11comp_targetILNS1_3genE10ELNS1_11target_archE1200ELNS1_3gpuE4ELNS1_3repE0EEENS1_30default_config_static_selectorELNS0_4arch9wavefront6targetE1EEEvT1_: ; @_ZN7rocprim17ROCPRIM_400000_NS6detail17trampoline_kernelINS0_14default_configENS1_25partition_config_selectorILNS1_17partition_subalgoE3ExNS0_10empty_typeEbEEZZNS1_14partition_implILS5_3ELb0ES3_jN6thrust23THRUST_200600_302600_NS6detail15normal_iteratorINSA_7pointerIxNSA_11hip_rocprim3tagENSA_11use_defaultESG_EEEEPS6_SJ_NS0_5tupleIJPxSJ_EEENSK_IJSJ_SJ_EEES6_PlJ7is_evenIxEEEE10hipError_tPvRmT3_T4_T5_T6_T7_T9_mT8_P12ihipStream_tbDpT10_ENKUlT_T0_E_clISt17integral_constantIbLb0EES1A_EEDaS15_S16_EUlS15_E_NS1_11comp_targetILNS1_3genE10ELNS1_11target_archE1200ELNS1_3gpuE4ELNS1_3repE0EEENS1_30default_config_static_selectorELNS0_4arch9wavefront6targetE1EEEvT1_
; %bb.0:
	.section	.rodata,"a",@progbits
	.p2align	6, 0x0
	.amdhsa_kernel _ZN7rocprim17ROCPRIM_400000_NS6detail17trampoline_kernelINS0_14default_configENS1_25partition_config_selectorILNS1_17partition_subalgoE3ExNS0_10empty_typeEbEEZZNS1_14partition_implILS5_3ELb0ES3_jN6thrust23THRUST_200600_302600_NS6detail15normal_iteratorINSA_7pointerIxNSA_11hip_rocprim3tagENSA_11use_defaultESG_EEEEPS6_SJ_NS0_5tupleIJPxSJ_EEENSK_IJSJ_SJ_EEES6_PlJ7is_evenIxEEEE10hipError_tPvRmT3_T4_T5_T6_T7_T9_mT8_P12ihipStream_tbDpT10_ENKUlT_T0_E_clISt17integral_constantIbLb0EES1A_EEDaS15_S16_EUlS15_E_NS1_11comp_targetILNS1_3genE10ELNS1_11target_archE1200ELNS1_3gpuE4ELNS1_3repE0EEENS1_30default_config_static_selectorELNS0_4arch9wavefront6targetE1EEEvT1_
		.amdhsa_group_segment_fixed_size 0
		.amdhsa_private_segment_fixed_size 0
		.amdhsa_kernarg_size 120
		.amdhsa_user_sgpr_count 2
		.amdhsa_user_sgpr_dispatch_ptr 0
		.amdhsa_user_sgpr_queue_ptr 0
		.amdhsa_user_sgpr_kernarg_segment_ptr 1
		.amdhsa_user_sgpr_dispatch_id 0
		.amdhsa_user_sgpr_kernarg_preload_length 0
		.amdhsa_user_sgpr_kernarg_preload_offset 0
		.amdhsa_user_sgpr_private_segment_size 0
		.amdhsa_uses_dynamic_stack 0
		.amdhsa_enable_private_segment 0
		.amdhsa_system_sgpr_workgroup_id_x 1
		.amdhsa_system_sgpr_workgroup_id_y 0
		.amdhsa_system_sgpr_workgroup_id_z 0
		.amdhsa_system_sgpr_workgroup_info 0
		.amdhsa_system_vgpr_workitem_id 0
		.amdhsa_next_free_vgpr 1
		.amdhsa_next_free_sgpr 0
		.amdhsa_accum_offset 4
		.amdhsa_reserve_vcc 0
		.amdhsa_float_round_mode_32 0
		.amdhsa_float_round_mode_16_64 0
		.amdhsa_float_denorm_mode_32 3
		.amdhsa_float_denorm_mode_16_64 3
		.amdhsa_dx10_clamp 1
		.amdhsa_ieee_mode 1
		.amdhsa_fp16_overflow 0
		.amdhsa_tg_split 0
		.amdhsa_exception_fp_ieee_invalid_op 0
		.amdhsa_exception_fp_denorm_src 0
		.amdhsa_exception_fp_ieee_div_zero 0
		.amdhsa_exception_fp_ieee_overflow 0
		.amdhsa_exception_fp_ieee_underflow 0
		.amdhsa_exception_fp_ieee_inexact 0
		.amdhsa_exception_int_div_zero 0
	.end_amdhsa_kernel
	.section	.text._ZN7rocprim17ROCPRIM_400000_NS6detail17trampoline_kernelINS0_14default_configENS1_25partition_config_selectorILNS1_17partition_subalgoE3ExNS0_10empty_typeEbEEZZNS1_14partition_implILS5_3ELb0ES3_jN6thrust23THRUST_200600_302600_NS6detail15normal_iteratorINSA_7pointerIxNSA_11hip_rocprim3tagENSA_11use_defaultESG_EEEEPS6_SJ_NS0_5tupleIJPxSJ_EEENSK_IJSJ_SJ_EEES6_PlJ7is_evenIxEEEE10hipError_tPvRmT3_T4_T5_T6_T7_T9_mT8_P12ihipStream_tbDpT10_ENKUlT_T0_E_clISt17integral_constantIbLb0EES1A_EEDaS15_S16_EUlS15_E_NS1_11comp_targetILNS1_3genE10ELNS1_11target_archE1200ELNS1_3gpuE4ELNS1_3repE0EEENS1_30default_config_static_selectorELNS0_4arch9wavefront6targetE1EEEvT1_,"axG",@progbits,_ZN7rocprim17ROCPRIM_400000_NS6detail17trampoline_kernelINS0_14default_configENS1_25partition_config_selectorILNS1_17partition_subalgoE3ExNS0_10empty_typeEbEEZZNS1_14partition_implILS5_3ELb0ES3_jN6thrust23THRUST_200600_302600_NS6detail15normal_iteratorINSA_7pointerIxNSA_11hip_rocprim3tagENSA_11use_defaultESG_EEEEPS6_SJ_NS0_5tupleIJPxSJ_EEENSK_IJSJ_SJ_EEES6_PlJ7is_evenIxEEEE10hipError_tPvRmT3_T4_T5_T6_T7_T9_mT8_P12ihipStream_tbDpT10_ENKUlT_T0_E_clISt17integral_constantIbLb0EES1A_EEDaS15_S16_EUlS15_E_NS1_11comp_targetILNS1_3genE10ELNS1_11target_archE1200ELNS1_3gpuE4ELNS1_3repE0EEENS1_30default_config_static_selectorELNS0_4arch9wavefront6targetE1EEEvT1_,comdat
.Lfunc_end10:
	.size	_ZN7rocprim17ROCPRIM_400000_NS6detail17trampoline_kernelINS0_14default_configENS1_25partition_config_selectorILNS1_17partition_subalgoE3ExNS0_10empty_typeEbEEZZNS1_14partition_implILS5_3ELb0ES3_jN6thrust23THRUST_200600_302600_NS6detail15normal_iteratorINSA_7pointerIxNSA_11hip_rocprim3tagENSA_11use_defaultESG_EEEEPS6_SJ_NS0_5tupleIJPxSJ_EEENSK_IJSJ_SJ_EEES6_PlJ7is_evenIxEEEE10hipError_tPvRmT3_T4_T5_T6_T7_T9_mT8_P12ihipStream_tbDpT10_ENKUlT_T0_E_clISt17integral_constantIbLb0EES1A_EEDaS15_S16_EUlS15_E_NS1_11comp_targetILNS1_3genE10ELNS1_11target_archE1200ELNS1_3gpuE4ELNS1_3repE0EEENS1_30default_config_static_selectorELNS0_4arch9wavefront6targetE1EEEvT1_, .Lfunc_end10-_ZN7rocprim17ROCPRIM_400000_NS6detail17trampoline_kernelINS0_14default_configENS1_25partition_config_selectorILNS1_17partition_subalgoE3ExNS0_10empty_typeEbEEZZNS1_14partition_implILS5_3ELb0ES3_jN6thrust23THRUST_200600_302600_NS6detail15normal_iteratorINSA_7pointerIxNSA_11hip_rocprim3tagENSA_11use_defaultESG_EEEEPS6_SJ_NS0_5tupleIJPxSJ_EEENSK_IJSJ_SJ_EEES6_PlJ7is_evenIxEEEE10hipError_tPvRmT3_T4_T5_T6_T7_T9_mT8_P12ihipStream_tbDpT10_ENKUlT_T0_E_clISt17integral_constantIbLb0EES1A_EEDaS15_S16_EUlS15_E_NS1_11comp_targetILNS1_3genE10ELNS1_11target_archE1200ELNS1_3gpuE4ELNS1_3repE0EEENS1_30default_config_static_selectorELNS0_4arch9wavefront6targetE1EEEvT1_
                                        ; -- End function
	.section	.AMDGPU.csdata,"",@progbits
; Kernel info:
; codeLenInByte = 0
; NumSgprs: 6
; NumVgprs: 0
; NumAgprs: 0
; TotalNumVgprs: 0
; ScratchSize: 0
; MemoryBound: 0
; FloatMode: 240
; IeeeMode: 1
; LDSByteSize: 0 bytes/workgroup (compile time only)
; SGPRBlocks: 0
; VGPRBlocks: 0
; NumSGPRsForWavesPerEU: 6
; NumVGPRsForWavesPerEU: 1
; AccumOffset: 4
; Occupancy: 8
; WaveLimiterHint : 0
; COMPUTE_PGM_RSRC2:SCRATCH_EN: 0
; COMPUTE_PGM_RSRC2:USER_SGPR: 2
; COMPUTE_PGM_RSRC2:TRAP_HANDLER: 0
; COMPUTE_PGM_RSRC2:TGID_X_EN: 1
; COMPUTE_PGM_RSRC2:TGID_Y_EN: 0
; COMPUTE_PGM_RSRC2:TGID_Z_EN: 0
; COMPUTE_PGM_RSRC2:TIDIG_COMP_CNT: 0
; COMPUTE_PGM_RSRC3_GFX90A:ACCUM_OFFSET: 0
; COMPUTE_PGM_RSRC3_GFX90A:TG_SPLIT: 0
	.section	.text._ZN7rocprim17ROCPRIM_400000_NS6detail17trampoline_kernelINS0_14default_configENS1_25partition_config_selectorILNS1_17partition_subalgoE3ExNS0_10empty_typeEbEEZZNS1_14partition_implILS5_3ELb0ES3_jN6thrust23THRUST_200600_302600_NS6detail15normal_iteratorINSA_7pointerIxNSA_11hip_rocprim3tagENSA_11use_defaultESG_EEEEPS6_SJ_NS0_5tupleIJPxSJ_EEENSK_IJSJ_SJ_EEES6_PlJ7is_evenIxEEEE10hipError_tPvRmT3_T4_T5_T6_T7_T9_mT8_P12ihipStream_tbDpT10_ENKUlT_T0_E_clISt17integral_constantIbLb0EES1A_EEDaS15_S16_EUlS15_E_NS1_11comp_targetILNS1_3genE9ELNS1_11target_archE1100ELNS1_3gpuE3ELNS1_3repE0EEENS1_30default_config_static_selectorELNS0_4arch9wavefront6targetE1EEEvT1_,"axG",@progbits,_ZN7rocprim17ROCPRIM_400000_NS6detail17trampoline_kernelINS0_14default_configENS1_25partition_config_selectorILNS1_17partition_subalgoE3ExNS0_10empty_typeEbEEZZNS1_14partition_implILS5_3ELb0ES3_jN6thrust23THRUST_200600_302600_NS6detail15normal_iteratorINSA_7pointerIxNSA_11hip_rocprim3tagENSA_11use_defaultESG_EEEEPS6_SJ_NS0_5tupleIJPxSJ_EEENSK_IJSJ_SJ_EEES6_PlJ7is_evenIxEEEE10hipError_tPvRmT3_T4_T5_T6_T7_T9_mT8_P12ihipStream_tbDpT10_ENKUlT_T0_E_clISt17integral_constantIbLb0EES1A_EEDaS15_S16_EUlS15_E_NS1_11comp_targetILNS1_3genE9ELNS1_11target_archE1100ELNS1_3gpuE3ELNS1_3repE0EEENS1_30default_config_static_selectorELNS0_4arch9wavefront6targetE1EEEvT1_,comdat
	.protected	_ZN7rocprim17ROCPRIM_400000_NS6detail17trampoline_kernelINS0_14default_configENS1_25partition_config_selectorILNS1_17partition_subalgoE3ExNS0_10empty_typeEbEEZZNS1_14partition_implILS5_3ELb0ES3_jN6thrust23THRUST_200600_302600_NS6detail15normal_iteratorINSA_7pointerIxNSA_11hip_rocprim3tagENSA_11use_defaultESG_EEEEPS6_SJ_NS0_5tupleIJPxSJ_EEENSK_IJSJ_SJ_EEES6_PlJ7is_evenIxEEEE10hipError_tPvRmT3_T4_T5_T6_T7_T9_mT8_P12ihipStream_tbDpT10_ENKUlT_T0_E_clISt17integral_constantIbLb0EES1A_EEDaS15_S16_EUlS15_E_NS1_11comp_targetILNS1_3genE9ELNS1_11target_archE1100ELNS1_3gpuE3ELNS1_3repE0EEENS1_30default_config_static_selectorELNS0_4arch9wavefront6targetE1EEEvT1_ ; -- Begin function _ZN7rocprim17ROCPRIM_400000_NS6detail17trampoline_kernelINS0_14default_configENS1_25partition_config_selectorILNS1_17partition_subalgoE3ExNS0_10empty_typeEbEEZZNS1_14partition_implILS5_3ELb0ES3_jN6thrust23THRUST_200600_302600_NS6detail15normal_iteratorINSA_7pointerIxNSA_11hip_rocprim3tagENSA_11use_defaultESG_EEEEPS6_SJ_NS0_5tupleIJPxSJ_EEENSK_IJSJ_SJ_EEES6_PlJ7is_evenIxEEEE10hipError_tPvRmT3_T4_T5_T6_T7_T9_mT8_P12ihipStream_tbDpT10_ENKUlT_T0_E_clISt17integral_constantIbLb0EES1A_EEDaS15_S16_EUlS15_E_NS1_11comp_targetILNS1_3genE9ELNS1_11target_archE1100ELNS1_3gpuE3ELNS1_3repE0EEENS1_30default_config_static_selectorELNS0_4arch9wavefront6targetE1EEEvT1_
	.globl	_ZN7rocprim17ROCPRIM_400000_NS6detail17trampoline_kernelINS0_14default_configENS1_25partition_config_selectorILNS1_17partition_subalgoE3ExNS0_10empty_typeEbEEZZNS1_14partition_implILS5_3ELb0ES3_jN6thrust23THRUST_200600_302600_NS6detail15normal_iteratorINSA_7pointerIxNSA_11hip_rocprim3tagENSA_11use_defaultESG_EEEEPS6_SJ_NS0_5tupleIJPxSJ_EEENSK_IJSJ_SJ_EEES6_PlJ7is_evenIxEEEE10hipError_tPvRmT3_T4_T5_T6_T7_T9_mT8_P12ihipStream_tbDpT10_ENKUlT_T0_E_clISt17integral_constantIbLb0EES1A_EEDaS15_S16_EUlS15_E_NS1_11comp_targetILNS1_3genE9ELNS1_11target_archE1100ELNS1_3gpuE3ELNS1_3repE0EEENS1_30default_config_static_selectorELNS0_4arch9wavefront6targetE1EEEvT1_
	.p2align	8
	.type	_ZN7rocprim17ROCPRIM_400000_NS6detail17trampoline_kernelINS0_14default_configENS1_25partition_config_selectorILNS1_17partition_subalgoE3ExNS0_10empty_typeEbEEZZNS1_14partition_implILS5_3ELb0ES3_jN6thrust23THRUST_200600_302600_NS6detail15normal_iteratorINSA_7pointerIxNSA_11hip_rocprim3tagENSA_11use_defaultESG_EEEEPS6_SJ_NS0_5tupleIJPxSJ_EEENSK_IJSJ_SJ_EEES6_PlJ7is_evenIxEEEE10hipError_tPvRmT3_T4_T5_T6_T7_T9_mT8_P12ihipStream_tbDpT10_ENKUlT_T0_E_clISt17integral_constantIbLb0EES1A_EEDaS15_S16_EUlS15_E_NS1_11comp_targetILNS1_3genE9ELNS1_11target_archE1100ELNS1_3gpuE3ELNS1_3repE0EEENS1_30default_config_static_selectorELNS0_4arch9wavefront6targetE1EEEvT1_,@function
_ZN7rocprim17ROCPRIM_400000_NS6detail17trampoline_kernelINS0_14default_configENS1_25partition_config_selectorILNS1_17partition_subalgoE3ExNS0_10empty_typeEbEEZZNS1_14partition_implILS5_3ELb0ES3_jN6thrust23THRUST_200600_302600_NS6detail15normal_iteratorINSA_7pointerIxNSA_11hip_rocprim3tagENSA_11use_defaultESG_EEEEPS6_SJ_NS0_5tupleIJPxSJ_EEENSK_IJSJ_SJ_EEES6_PlJ7is_evenIxEEEE10hipError_tPvRmT3_T4_T5_T6_T7_T9_mT8_P12ihipStream_tbDpT10_ENKUlT_T0_E_clISt17integral_constantIbLb0EES1A_EEDaS15_S16_EUlS15_E_NS1_11comp_targetILNS1_3genE9ELNS1_11target_archE1100ELNS1_3gpuE3ELNS1_3repE0EEENS1_30default_config_static_selectorELNS0_4arch9wavefront6targetE1EEEvT1_: ; @_ZN7rocprim17ROCPRIM_400000_NS6detail17trampoline_kernelINS0_14default_configENS1_25partition_config_selectorILNS1_17partition_subalgoE3ExNS0_10empty_typeEbEEZZNS1_14partition_implILS5_3ELb0ES3_jN6thrust23THRUST_200600_302600_NS6detail15normal_iteratorINSA_7pointerIxNSA_11hip_rocprim3tagENSA_11use_defaultESG_EEEEPS6_SJ_NS0_5tupleIJPxSJ_EEENSK_IJSJ_SJ_EEES6_PlJ7is_evenIxEEEE10hipError_tPvRmT3_T4_T5_T6_T7_T9_mT8_P12ihipStream_tbDpT10_ENKUlT_T0_E_clISt17integral_constantIbLb0EES1A_EEDaS15_S16_EUlS15_E_NS1_11comp_targetILNS1_3genE9ELNS1_11target_archE1100ELNS1_3gpuE3ELNS1_3repE0EEENS1_30default_config_static_selectorELNS0_4arch9wavefront6targetE1EEEvT1_
; %bb.0:
	.section	.rodata,"a",@progbits
	.p2align	6, 0x0
	.amdhsa_kernel _ZN7rocprim17ROCPRIM_400000_NS6detail17trampoline_kernelINS0_14default_configENS1_25partition_config_selectorILNS1_17partition_subalgoE3ExNS0_10empty_typeEbEEZZNS1_14partition_implILS5_3ELb0ES3_jN6thrust23THRUST_200600_302600_NS6detail15normal_iteratorINSA_7pointerIxNSA_11hip_rocprim3tagENSA_11use_defaultESG_EEEEPS6_SJ_NS0_5tupleIJPxSJ_EEENSK_IJSJ_SJ_EEES6_PlJ7is_evenIxEEEE10hipError_tPvRmT3_T4_T5_T6_T7_T9_mT8_P12ihipStream_tbDpT10_ENKUlT_T0_E_clISt17integral_constantIbLb0EES1A_EEDaS15_S16_EUlS15_E_NS1_11comp_targetILNS1_3genE9ELNS1_11target_archE1100ELNS1_3gpuE3ELNS1_3repE0EEENS1_30default_config_static_selectorELNS0_4arch9wavefront6targetE1EEEvT1_
		.amdhsa_group_segment_fixed_size 0
		.amdhsa_private_segment_fixed_size 0
		.amdhsa_kernarg_size 120
		.amdhsa_user_sgpr_count 2
		.amdhsa_user_sgpr_dispatch_ptr 0
		.amdhsa_user_sgpr_queue_ptr 0
		.amdhsa_user_sgpr_kernarg_segment_ptr 1
		.amdhsa_user_sgpr_dispatch_id 0
		.amdhsa_user_sgpr_kernarg_preload_length 0
		.amdhsa_user_sgpr_kernarg_preload_offset 0
		.amdhsa_user_sgpr_private_segment_size 0
		.amdhsa_uses_dynamic_stack 0
		.amdhsa_enable_private_segment 0
		.amdhsa_system_sgpr_workgroup_id_x 1
		.amdhsa_system_sgpr_workgroup_id_y 0
		.amdhsa_system_sgpr_workgroup_id_z 0
		.amdhsa_system_sgpr_workgroup_info 0
		.amdhsa_system_vgpr_workitem_id 0
		.amdhsa_next_free_vgpr 1
		.amdhsa_next_free_sgpr 0
		.amdhsa_accum_offset 4
		.amdhsa_reserve_vcc 0
		.amdhsa_float_round_mode_32 0
		.amdhsa_float_round_mode_16_64 0
		.amdhsa_float_denorm_mode_32 3
		.amdhsa_float_denorm_mode_16_64 3
		.amdhsa_dx10_clamp 1
		.amdhsa_ieee_mode 1
		.amdhsa_fp16_overflow 0
		.amdhsa_tg_split 0
		.amdhsa_exception_fp_ieee_invalid_op 0
		.amdhsa_exception_fp_denorm_src 0
		.amdhsa_exception_fp_ieee_div_zero 0
		.amdhsa_exception_fp_ieee_overflow 0
		.amdhsa_exception_fp_ieee_underflow 0
		.amdhsa_exception_fp_ieee_inexact 0
		.amdhsa_exception_int_div_zero 0
	.end_amdhsa_kernel
	.section	.text._ZN7rocprim17ROCPRIM_400000_NS6detail17trampoline_kernelINS0_14default_configENS1_25partition_config_selectorILNS1_17partition_subalgoE3ExNS0_10empty_typeEbEEZZNS1_14partition_implILS5_3ELb0ES3_jN6thrust23THRUST_200600_302600_NS6detail15normal_iteratorINSA_7pointerIxNSA_11hip_rocprim3tagENSA_11use_defaultESG_EEEEPS6_SJ_NS0_5tupleIJPxSJ_EEENSK_IJSJ_SJ_EEES6_PlJ7is_evenIxEEEE10hipError_tPvRmT3_T4_T5_T6_T7_T9_mT8_P12ihipStream_tbDpT10_ENKUlT_T0_E_clISt17integral_constantIbLb0EES1A_EEDaS15_S16_EUlS15_E_NS1_11comp_targetILNS1_3genE9ELNS1_11target_archE1100ELNS1_3gpuE3ELNS1_3repE0EEENS1_30default_config_static_selectorELNS0_4arch9wavefront6targetE1EEEvT1_,"axG",@progbits,_ZN7rocprim17ROCPRIM_400000_NS6detail17trampoline_kernelINS0_14default_configENS1_25partition_config_selectorILNS1_17partition_subalgoE3ExNS0_10empty_typeEbEEZZNS1_14partition_implILS5_3ELb0ES3_jN6thrust23THRUST_200600_302600_NS6detail15normal_iteratorINSA_7pointerIxNSA_11hip_rocprim3tagENSA_11use_defaultESG_EEEEPS6_SJ_NS0_5tupleIJPxSJ_EEENSK_IJSJ_SJ_EEES6_PlJ7is_evenIxEEEE10hipError_tPvRmT3_T4_T5_T6_T7_T9_mT8_P12ihipStream_tbDpT10_ENKUlT_T0_E_clISt17integral_constantIbLb0EES1A_EEDaS15_S16_EUlS15_E_NS1_11comp_targetILNS1_3genE9ELNS1_11target_archE1100ELNS1_3gpuE3ELNS1_3repE0EEENS1_30default_config_static_selectorELNS0_4arch9wavefront6targetE1EEEvT1_,comdat
.Lfunc_end11:
	.size	_ZN7rocprim17ROCPRIM_400000_NS6detail17trampoline_kernelINS0_14default_configENS1_25partition_config_selectorILNS1_17partition_subalgoE3ExNS0_10empty_typeEbEEZZNS1_14partition_implILS5_3ELb0ES3_jN6thrust23THRUST_200600_302600_NS6detail15normal_iteratorINSA_7pointerIxNSA_11hip_rocprim3tagENSA_11use_defaultESG_EEEEPS6_SJ_NS0_5tupleIJPxSJ_EEENSK_IJSJ_SJ_EEES6_PlJ7is_evenIxEEEE10hipError_tPvRmT3_T4_T5_T6_T7_T9_mT8_P12ihipStream_tbDpT10_ENKUlT_T0_E_clISt17integral_constantIbLb0EES1A_EEDaS15_S16_EUlS15_E_NS1_11comp_targetILNS1_3genE9ELNS1_11target_archE1100ELNS1_3gpuE3ELNS1_3repE0EEENS1_30default_config_static_selectorELNS0_4arch9wavefront6targetE1EEEvT1_, .Lfunc_end11-_ZN7rocprim17ROCPRIM_400000_NS6detail17trampoline_kernelINS0_14default_configENS1_25partition_config_selectorILNS1_17partition_subalgoE3ExNS0_10empty_typeEbEEZZNS1_14partition_implILS5_3ELb0ES3_jN6thrust23THRUST_200600_302600_NS6detail15normal_iteratorINSA_7pointerIxNSA_11hip_rocprim3tagENSA_11use_defaultESG_EEEEPS6_SJ_NS0_5tupleIJPxSJ_EEENSK_IJSJ_SJ_EEES6_PlJ7is_evenIxEEEE10hipError_tPvRmT3_T4_T5_T6_T7_T9_mT8_P12ihipStream_tbDpT10_ENKUlT_T0_E_clISt17integral_constantIbLb0EES1A_EEDaS15_S16_EUlS15_E_NS1_11comp_targetILNS1_3genE9ELNS1_11target_archE1100ELNS1_3gpuE3ELNS1_3repE0EEENS1_30default_config_static_selectorELNS0_4arch9wavefront6targetE1EEEvT1_
                                        ; -- End function
	.section	.AMDGPU.csdata,"",@progbits
; Kernel info:
; codeLenInByte = 0
; NumSgprs: 6
; NumVgprs: 0
; NumAgprs: 0
; TotalNumVgprs: 0
; ScratchSize: 0
; MemoryBound: 0
; FloatMode: 240
; IeeeMode: 1
; LDSByteSize: 0 bytes/workgroup (compile time only)
; SGPRBlocks: 0
; VGPRBlocks: 0
; NumSGPRsForWavesPerEU: 6
; NumVGPRsForWavesPerEU: 1
; AccumOffset: 4
; Occupancy: 8
; WaveLimiterHint : 0
; COMPUTE_PGM_RSRC2:SCRATCH_EN: 0
; COMPUTE_PGM_RSRC2:USER_SGPR: 2
; COMPUTE_PGM_RSRC2:TRAP_HANDLER: 0
; COMPUTE_PGM_RSRC2:TGID_X_EN: 1
; COMPUTE_PGM_RSRC2:TGID_Y_EN: 0
; COMPUTE_PGM_RSRC2:TGID_Z_EN: 0
; COMPUTE_PGM_RSRC2:TIDIG_COMP_CNT: 0
; COMPUTE_PGM_RSRC3_GFX90A:ACCUM_OFFSET: 0
; COMPUTE_PGM_RSRC3_GFX90A:TG_SPLIT: 0
	.section	.text._ZN7rocprim17ROCPRIM_400000_NS6detail17trampoline_kernelINS0_14default_configENS1_25partition_config_selectorILNS1_17partition_subalgoE3ExNS0_10empty_typeEbEEZZNS1_14partition_implILS5_3ELb0ES3_jN6thrust23THRUST_200600_302600_NS6detail15normal_iteratorINSA_7pointerIxNSA_11hip_rocprim3tagENSA_11use_defaultESG_EEEEPS6_SJ_NS0_5tupleIJPxSJ_EEENSK_IJSJ_SJ_EEES6_PlJ7is_evenIxEEEE10hipError_tPvRmT3_T4_T5_T6_T7_T9_mT8_P12ihipStream_tbDpT10_ENKUlT_T0_E_clISt17integral_constantIbLb0EES1A_EEDaS15_S16_EUlS15_E_NS1_11comp_targetILNS1_3genE8ELNS1_11target_archE1030ELNS1_3gpuE2ELNS1_3repE0EEENS1_30default_config_static_selectorELNS0_4arch9wavefront6targetE1EEEvT1_,"axG",@progbits,_ZN7rocprim17ROCPRIM_400000_NS6detail17trampoline_kernelINS0_14default_configENS1_25partition_config_selectorILNS1_17partition_subalgoE3ExNS0_10empty_typeEbEEZZNS1_14partition_implILS5_3ELb0ES3_jN6thrust23THRUST_200600_302600_NS6detail15normal_iteratorINSA_7pointerIxNSA_11hip_rocprim3tagENSA_11use_defaultESG_EEEEPS6_SJ_NS0_5tupleIJPxSJ_EEENSK_IJSJ_SJ_EEES6_PlJ7is_evenIxEEEE10hipError_tPvRmT3_T4_T5_T6_T7_T9_mT8_P12ihipStream_tbDpT10_ENKUlT_T0_E_clISt17integral_constantIbLb0EES1A_EEDaS15_S16_EUlS15_E_NS1_11comp_targetILNS1_3genE8ELNS1_11target_archE1030ELNS1_3gpuE2ELNS1_3repE0EEENS1_30default_config_static_selectorELNS0_4arch9wavefront6targetE1EEEvT1_,comdat
	.protected	_ZN7rocprim17ROCPRIM_400000_NS6detail17trampoline_kernelINS0_14default_configENS1_25partition_config_selectorILNS1_17partition_subalgoE3ExNS0_10empty_typeEbEEZZNS1_14partition_implILS5_3ELb0ES3_jN6thrust23THRUST_200600_302600_NS6detail15normal_iteratorINSA_7pointerIxNSA_11hip_rocprim3tagENSA_11use_defaultESG_EEEEPS6_SJ_NS0_5tupleIJPxSJ_EEENSK_IJSJ_SJ_EEES6_PlJ7is_evenIxEEEE10hipError_tPvRmT3_T4_T5_T6_T7_T9_mT8_P12ihipStream_tbDpT10_ENKUlT_T0_E_clISt17integral_constantIbLb0EES1A_EEDaS15_S16_EUlS15_E_NS1_11comp_targetILNS1_3genE8ELNS1_11target_archE1030ELNS1_3gpuE2ELNS1_3repE0EEENS1_30default_config_static_selectorELNS0_4arch9wavefront6targetE1EEEvT1_ ; -- Begin function _ZN7rocprim17ROCPRIM_400000_NS6detail17trampoline_kernelINS0_14default_configENS1_25partition_config_selectorILNS1_17partition_subalgoE3ExNS0_10empty_typeEbEEZZNS1_14partition_implILS5_3ELb0ES3_jN6thrust23THRUST_200600_302600_NS6detail15normal_iteratorINSA_7pointerIxNSA_11hip_rocprim3tagENSA_11use_defaultESG_EEEEPS6_SJ_NS0_5tupleIJPxSJ_EEENSK_IJSJ_SJ_EEES6_PlJ7is_evenIxEEEE10hipError_tPvRmT3_T4_T5_T6_T7_T9_mT8_P12ihipStream_tbDpT10_ENKUlT_T0_E_clISt17integral_constantIbLb0EES1A_EEDaS15_S16_EUlS15_E_NS1_11comp_targetILNS1_3genE8ELNS1_11target_archE1030ELNS1_3gpuE2ELNS1_3repE0EEENS1_30default_config_static_selectorELNS0_4arch9wavefront6targetE1EEEvT1_
	.globl	_ZN7rocprim17ROCPRIM_400000_NS6detail17trampoline_kernelINS0_14default_configENS1_25partition_config_selectorILNS1_17partition_subalgoE3ExNS0_10empty_typeEbEEZZNS1_14partition_implILS5_3ELb0ES3_jN6thrust23THRUST_200600_302600_NS6detail15normal_iteratorINSA_7pointerIxNSA_11hip_rocprim3tagENSA_11use_defaultESG_EEEEPS6_SJ_NS0_5tupleIJPxSJ_EEENSK_IJSJ_SJ_EEES6_PlJ7is_evenIxEEEE10hipError_tPvRmT3_T4_T5_T6_T7_T9_mT8_P12ihipStream_tbDpT10_ENKUlT_T0_E_clISt17integral_constantIbLb0EES1A_EEDaS15_S16_EUlS15_E_NS1_11comp_targetILNS1_3genE8ELNS1_11target_archE1030ELNS1_3gpuE2ELNS1_3repE0EEENS1_30default_config_static_selectorELNS0_4arch9wavefront6targetE1EEEvT1_
	.p2align	8
	.type	_ZN7rocprim17ROCPRIM_400000_NS6detail17trampoline_kernelINS0_14default_configENS1_25partition_config_selectorILNS1_17partition_subalgoE3ExNS0_10empty_typeEbEEZZNS1_14partition_implILS5_3ELb0ES3_jN6thrust23THRUST_200600_302600_NS6detail15normal_iteratorINSA_7pointerIxNSA_11hip_rocprim3tagENSA_11use_defaultESG_EEEEPS6_SJ_NS0_5tupleIJPxSJ_EEENSK_IJSJ_SJ_EEES6_PlJ7is_evenIxEEEE10hipError_tPvRmT3_T4_T5_T6_T7_T9_mT8_P12ihipStream_tbDpT10_ENKUlT_T0_E_clISt17integral_constantIbLb0EES1A_EEDaS15_S16_EUlS15_E_NS1_11comp_targetILNS1_3genE8ELNS1_11target_archE1030ELNS1_3gpuE2ELNS1_3repE0EEENS1_30default_config_static_selectorELNS0_4arch9wavefront6targetE1EEEvT1_,@function
_ZN7rocprim17ROCPRIM_400000_NS6detail17trampoline_kernelINS0_14default_configENS1_25partition_config_selectorILNS1_17partition_subalgoE3ExNS0_10empty_typeEbEEZZNS1_14partition_implILS5_3ELb0ES3_jN6thrust23THRUST_200600_302600_NS6detail15normal_iteratorINSA_7pointerIxNSA_11hip_rocprim3tagENSA_11use_defaultESG_EEEEPS6_SJ_NS0_5tupleIJPxSJ_EEENSK_IJSJ_SJ_EEES6_PlJ7is_evenIxEEEE10hipError_tPvRmT3_T4_T5_T6_T7_T9_mT8_P12ihipStream_tbDpT10_ENKUlT_T0_E_clISt17integral_constantIbLb0EES1A_EEDaS15_S16_EUlS15_E_NS1_11comp_targetILNS1_3genE8ELNS1_11target_archE1030ELNS1_3gpuE2ELNS1_3repE0EEENS1_30default_config_static_selectorELNS0_4arch9wavefront6targetE1EEEvT1_: ; @_ZN7rocprim17ROCPRIM_400000_NS6detail17trampoline_kernelINS0_14default_configENS1_25partition_config_selectorILNS1_17partition_subalgoE3ExNS0_10empty_typeEbEEZZNS1_14partition_implILS5_3ELb0ES3_jN6thrust23THRUST_200600_302600_NS6detail15normal_iteratorINSA_7pointerIxNSA_11hip_rocprim3tagENSA_11use_defaultESG_EEEEPS6_SJ_NS0_5tupleIJPxSJ_EEENSK_IJSJ_SJ_EEES6_PlJ7is_evenIxEEEE10hipError_tPvRmT3_T4_T5_T6_T7_T9_mT8_P12ihipStream_tbDpT10_ENKUlT_T0_E_clISt17integral_constantIbLb0EES1A_EEDaS15_S16_EUlS15_E_NS1_11comp_targetILNS1_3genE8ELNS1_11target_archE1030ELNS1_3gpuE2ELNS1_3repE0EEENS1_30default_config_static_selectorELNS0_4arch9wavefront6targetE1EEEvT1_
; %bb.0:
	.section	.rodata,"a",@progbits
	.p2align	6, 0x0
	.amdhsa_kernel _ZN7rocprim17ROCPRIM_400000_NS6detail17trampoline_kernelINS0_14default_configENS1_25partition_config_selectorILNS1_17partition_subalgoE3ExNS0_10empty_typeEbEEZZNS1_14partition_implILS5_3ELb0ES3_jN6thrust23THRUST_200600_302600_NS6detail15normal_iteratorINSA_7pointerIxNSA_11hip_rocprim3tagENSA_11use_defaultESG_EEEEPS6_SJ_NS0_5tupleIJPxSJ_EEENSK_IJSJ_SJ_EEES6_PlJ7is_evenIxEEEE10hipError_tPvRmT3_T4_T5_T6_T7_T9_mT8_P12ihipStream_tbDpT10_ENKUlT_T0_E_clISt17integral_constantIbLb0EES1A_EEDaS15_S16_EUlS15_E_NS1_11comp_targetILNS1_3genE8ELNS1_11target_archE1030ELNS1_3gpuE2ELNS1_3repE0EEENS1_30default_config_static_selectorELNS0_4arch9wavefront6targetE1EEEvT1_
		.amdhsa_group_segment_fixed_size 0
		.amdhsa_private_segment_fixed_size 0
		.amdhsa_kernarg_size 120
		.amdhsa_user_sgpr_count 2
		.amdhsa_user_sgpr_dispatch_ptr 0
		.amdhsa_user_sgpr_queue_ptr 0
		.amdhsa_user_sgpr_kernarg_segment_ptr 1
		.amdhsa_user_sgpr_dispatch_id 0
		.amdhsa_user_sgpr_kernarg_preload_length 0
		.amdhsa_user_sgpr_kernarg_preload_offset 0
		.amdhsa_user_sgpr_private_segment_size 0
		.amdhsa_uses_dynamic_stack 0
		.amdhsa_enable_private_segment 0
		.amdhsa_system_sgpr_workgroup_id_x 1
		.amdhsa_system_sgpr_workgroup_id_y 0
		.amdhsa_system_sgpr_workgroup_id_z 0
		.amdhsa_system_sgpr_workgroup_info 0
		.amdhsa_system_vgpr_workitem_id 0
		.amdhsa_next_free_vgpr 1
		.amdhsa_next_free_sgpr 0
		.amdhsa_accum_offset 4
		.amdhsa_reserve_vcc 0
		.amdhsa_float_round_mode_32 0
		.amdhsa_float_round_mode_16_64 0
		.amdhsa_float_denorm_mode_32 3
		.amdhsa_float_denorm_mode_16_64 3
		.amdhsa_dx10_clamp 1
		.amdhsa_ieee_mode 1
		.amdhsa_fp16_overflow 0
		.amdhsa_tg_split 0
		.amdhsa_exception_fp_ieee_invalid_op 0
		.amdhsa_exception_fp_denorm_src 0
		.amdhsa_exception_fp_ieee_div_zero 0
		.amdhsa_exception_fp_ieee_overflow 0
		.amdhsa_exception_fp_ieee_underflow 0
		.amdhsa_exception_fp_ieee_inexact 0
		.amdhsa_exception_int_div_zero 0
	.end_amdhsa_kernel
	.section	.text._ZN7rocprim17ROCPRIM_400000_NS6detail17trampoline_kernelINS0_14default_configENS1_25partition_config_selectorILNS1_17partition_subalgoE3ExNS0_10empty_typeEbEEZZNS1_14partition_implILS5_3ELb0ES3_jN6thrust23THRUST_200600_302600_NS6detail15normal_iteratorINSA_7pointerIxNSA_11hip_rocprim3tagENSA_11use_defaultESG_EEEEPS6_SJ_NS0_5tupleIJPxSJ_EEENSK_IJSJ_SJ_EEES6_PlJ7is_evenIxEEEE10hipError_tPvRmT3_T4_T5_T6_T7_T9_mT8_P12ihipStream_tbDpT10_ENKUlT_T0_E_clISt17integral_constantIbLb0EES1A_EEDaS15_S16_EUlS15_E_NS1_11comp_targetILNS1_3genE8ELNS1_11target_archE1030ELNS1_3gpuE2ELNS1_3repE0EEENS1_30default_config_static_selectorELNS0_4arch9wavefront6targetE1EEEvT1_,"axG",@progbits,_ZN7rocprim17ROCPRIM_400000_NS6detail17trampoline_kernelINS0_14default_configENS1_25partition_config_selectorILNS1_17partition_subalgoE3ExNS0_10empty_typeEbEEZZNS1_14partition_implILS5_3ELb0ES3_jN6thrust23THRUST_200600_302600_NS6detail15normal_iteratorINSA_7pointerIxNSA_11hip_rocprim3tagENSA_11use_defaultESG_EEEEPS6_SJ_NS0_5tupleIJPxSJ_EEENSK_IJSJ_SJ_EEES6_PlJ7is_evenIxEEEE10hipError_tPvRmT3_T4_T5_T6_T7_T9_mT8_P12ihipStream_tbDpT10_ENKUlT_T0_E_clISt17integral_constantIbLb0EES1A_EEDaS15_S16_EUlS15_E_NS1_11comp_targetILNS1_3genE8ELNS1_11target_archE1030ELNS1_3gpuE2ELNS1_3repE0EEENS1_30default_config_static_selectorELNS0_4arch9wavefront6targetE1EEEvT1_,comdat
.Lfunc_end12:
	.size	_ZN7rocprim17ROCPRIM_400000_NS6detail17trampoline_kernelINS0_14default_configENS1_25partition_config_selectorILNS1_17partition_subalgoE3ExNS0_10empty_typeEbEEZZNS1_14partition_implILS5_3ELb0ES3_jN6thrust23THRUST_200600_302600_NS6detail15normal_iteratorINSA_7pointerIxNSA_11hip_rocprim3tagENSA_11use_defaultESG_EEEEPS6_SJ_NS0_5tupleIJPxSJ_EEENSK_IJSJ_SJ_EEES6_PlJ7is_evenIxEEEE10hipError_tPvRmT3_T4_T5_T6_T7_T9_mT8_P12ihipStream_tbDpT10_ENKUlT_T0_E_clISt17integral_constantIbLb0EES1A_EEDaS15_S16_EUlS15_E_NS1_11comp_targetILNS1_3genE8ELNS1_11target_archE1030ELNS1_3gpuE2ELNS1_3repE0EEENS1_30default_config_static_selectorELNS0_4arch9wavefront6targetE1EEEvT1_, .Lfunc_end12-_ZN7rocprim17ROCPRIM_400000_NS6detail17trampoline_kernelINS0_14default_configENS1_25partition_config_selectorILNS1_17partition_subalgoE3ExNS0_10empty_typeEbEEZZNS1_14partition_implILS5_3ELb0ES3_jN6thrust23THRUST_200600_302600_NS6detail15normal_iteratorINSA_7pointerIxNSA_11hip_rocprim3tagENSA_11use_defaultESG_EEEEPS6_SJ_NS0_5tupleIJPxSJ_EEENSK_IJSJ_SJ_EEES6_PlJ7is_evenIxEEEE10hipError_tPvRmT3_T4_T5_T6_T7_T9_mT8_P12ihipStream_tbDpT10_ENKUlT_T0_E_clISt17integral_constantIbLb0EES1A_EEDaS15_S16_EUlS15_E_NS1_11comp_targetILNS1_3genE8ELNS1_11target_archE1030ELNS1_3gpuE2ELNS1_3repE0EEENS1_30default_config_static_selectorELNS0_4arch9wavefront6targetE1EEEvT1_
                                        ; -- End function
	.section	.AMDGPU.csdata,"",@progbits
; Kernel info:
; codeLenInByte = 0
; NumSgprs: 6
; NumVgprs: 0
; NumAgprs: 0
; TotalNumVgprs: 0
; ScratchSize: 0
; MemoryBound: 0
; FloatMode: 240
; IeeeMode: 1
; LDSByteSize: 0 bytes/workgroup (compile time only)
; SGPRBlocks: 0
; VGPRBlocks: 0
; NumSGPRsForWavesPerEU: 6
; NumVGPRsForWavesPerEU: 1
; AccumOffset: 4
; Occupancy: 8
; WaveLimiterHint : 0
; COMPUTE_PGM_RSRC2:SCRATCH_EN: 0
; COMPUTE_PGM_RSRC2:USER_SGPR: 2
; COMPUTE_PGM_RSRC2:TRAP_HANDLER: 0
; COMPUTE_PGM_RSRC2:TGID_X_EN: 1
; COMPUTE_PGM_RSRC2:TGID_Y_EN: 0
; COMPUTE_PGM_RSRC2:TGID_Z_EN: 0
; COMPUTE_PGM_RSRC2:TIDIG_COMP_CNT: 0
; COMPUTE_PGM_RSRC3_GFX90A:ACCUM_OFFSET: 0
; COMPUTE_PGM_RSRC3_GFX90A:TG_SPLIT: 0
	.section	.text._ZN7rocprim17ROCPRIM_400000_NS6detail17trampoline_kernelINS0_14default_configENS1_25transform_config_selectorImLb1EEEZNS1_14transform_implILb1ES3_S5_PmPlNS0_8identityIvEEEE10hipError_tT2_T3_mT4_P12ihipStream_tbEUlT_E_NS1_11comp_targetILNS1_3genE0ELNS1_11target_archE4294967295ELNS1_3gpuE0ELNS1_3repE0EEENS1_30default_config_static_selectorELNS0_4arch9wavefront6targetE1EEEvT1_,"axG",@progbits,_ZN7rocprim17ROCPRIM_400000_NS6detail17trampoline_kernelINS0_14default_configENS1_25transform_config_selectorImLb1EEEZNS1_14transform_implILb1ES3_S5_PmPlNS0_8identityIvEEEE10hipError_tT2_T3_mT4_P12ihipStream_tbEUlT_E_NS1_11comp_targetILNS1_3genE0ELNS1_11target_archE4294967295ELNS1_3gpuE0ELNS1_3repE0EEENS1_30default_config_static_selectorELNS0_4arch9wavefront6targetE1EEEvT1_,comdat
	.protected	_ZN7rocprim17ROCPRIM_400000_NS6detail17trampoline_kernelINS0_14default_configENS1_25transform_config_selectorImLb1EEEZNS1_14transform_implILb1ES3_S5_PmPlNS0_8identityIvEEEE10hipError_tT2_T3_mT4_P12ihipStream_tbEUlT_E_NS1_11comp_targetILNS1_3genE0ELNS1_11target_archE4294967295ELNS1_3gpuE0ELNS1_3repE0EEENS1_30default_config_static_selectorELNS0_4arch9wavefront6targetE1EEEvT1_ ; -- Begin function _ZN7rocprim17ROCPRIM_400000_NS6detail17trampoline_kernelINS0_14default_configENS1_25transform_config_selectorImLb1EEEZNS1_14transform_implILb1ES3_S5_PmPlNS0_8identityIvEEEE10hipError_tT2_T3_mT4_P12ihipStream_tbEUlT_E_NS1_11comp_targetILNS1_3genE0ELNS1_11target_archE4294967295ELNS1_3gpuE0ELNS1_3repE0EEENS1_30default_config_static_selectorELNS0_4arch9wavefront6targetE1EEEvT1_
	.globl	_ZN7rocprim17ROCPRIM_400000_NS6detail17trampoline_kernelINS0_14default_configENS1_25transform_config_selectorImLb1EEEZNS1_14transform_implILb1ES3_S5_PmPlNS0_8identityIvEEEE10hipError_tT2_T3_mT4_P12ihipStream_tbEUlT_E_NS1_11comp_targetILNS1_3genE0ELNS1_11target_archE4294967295ELNS1_3gpuE0ELNS1_3repE0EEENS1_30default_config_static_selectorELNS0_4arch9wavefront6targetE1EEEvT1_
	.p2align	8
	.type	_ZN7rocprim17ROCPRIM_400000_NS6detail17trampoline_kernelINS0_14default_configENS1_25transform_config_selectorImLb1EEEZNS1_14transform_implILb1ES3_S5_PmPlNS0_8identityIvEEEE10hipError_tT2_T3_mT4_P12ihipStream_tbEUlT_E_NS1_11comp_targetILNS1_3genE0ELNS1_11target_archE4294967295ELNS1_3gpuE0ELNS1_3repE0EEENS1_30default_config_static_selectorELNS0_4arch9wavefront6targetE1EEEvT1_,@function
_ZN7rocprim17ROCPRIM_400000_NS6detail17trampoline_kernelINS0_14default_configENS1_25transform_config_selectorImLb1EEEZNS1_14transform_implILb1ES3_S5_PmPlNS0_8identityIvEEEE10hipError_tT2_T3_mT4_P12ihipStream_tbEUlT_E_NS1_11comp_targetILNS1_3genE0ELNS1_11target_archE4294967295ELNS1_3gpuE0ELNS1_3repE0EEENS1_30default_config_static_selectorELNS0_4arch9wavefront6targetE1EEEvT1_: ; @_ZN7rocprim17ROCPRIM_400000_NS6detail17trampoline_kernelINS0_14default_configENS1_25transform_config_selectorImLb1EEEZNS1_14transform_implILb1ES3_S5_PmPlNS0_8identityIvEEEE10hipError_tT2_T3_mT4_P12ihipStream_tbEUlT_E_NS1_11comp_targetILNS1_3genE0ELNS1_11target_archE4294967295ELNS1_3gpuE0ELNS1_3repE0EEENS1_30default_config_static_selectorELNS0_4arch9wavefront6targetE1EEEvT1_
; %bb.0:
	.section	.rodata,"a",@progbits
	.p2align	6, 0x0
	.amdhsa_kernel _ZN7rocprim17ROCPRIM_400000_NS6detail17trampoline_kernelINS0_14default_configENS1_25transform_config_selectorImLb1EEEZNS1_14transform_implILb1ES3_S5_PmPlNS0_8identityIvEEEE10hipError_tT2_T3_mT4_P12ihipStream_tbEUlT_E_NS1_11comp_targetILNS1_3genE0ELNS1_11target_archE4294967295ELNS1_3gpuE0ELNS1_3repE0EEENS1_30default_config_static_selectorELNS0_4arch9wavefront6targetE1EEEvT1_
		.amdhsa_group_segment_fixed_size 0
		.amdhsa_private_segment_fixed_size 0
		.amdhsa_kernarg_size 40
		.amdhsa_user_sgpr_count 2
		.amdhsa_user_sgpr_dispatch_ptr 0
		.amdhsa_user_sgpr_queue_ptr 0
		.amdhsa_user_sgpr_kernarg_segment_ptr 1
		.amdhsa_user_sgpr_dispatch_id 0
		.amdhsa_user_sgpr_kernarg_preload_length 0
		.amdhsa_user_sgpr_kernarg_preload_offset 0
		.amdhsa_user_sgpr_private_segment_size 0
		.amdhsa_uses_dynamic_stack 0
		.amdhsa_enable_private_segment 0
		.amdhsa_system_sgpr_workgroup_id_x 1
		.amdhsa_system_sgpr_workgroup_id_y 0
		.amdhsa_system_sgpr_workgroup_id_z 0
		.amdhsa_system_sgpr_workgroup_info 0
		.amdhsa_system_vgpr_workitem_id 0
		.amdhsa_next_free_vgpr 1
		.amdhsa_next_free_sgpr 0
		.amdhsa_accum_offset 4
		.amdhsa_reserve_vcc 0
		.amdhsa_float_round_mode_32 0
		.amdhsa_float_round_mode_16_64 0
		.amdhsa_float_denorm_mode_32 3
		.amdhsa_float_denorm_mode_16_64 3
		.amdhsa_dx10_clamp 1
		.amdhsa_ieee_mode 1
		.amdhsa_fp16_overflow 0
		.amdhsa_tg_split 0
		.amdhsa_exception_fp_ieee_invalid_op 0
		.amdhsa_exception_fp_denorm_src 0
		.amdhsa_exception_fp_ieee_div_zero 0
		.amdhsa_exception_fp_ieee_overflow 0
		.amdhsa_exception_fp_ieee_underflow 0
		.amdhsa_exception_fp_ieee_inexact 0
		.amdhsa_exception_int_div_zero 0
	.end_amdhsa_kernel
	.section	.text._ZN7rocprim17ROCPRIM_400000_NS6detail17trampoline_kernelINS0_14default_configENS1_25transform_config_selectorImLb1EEEZNS1_14transform_implILb1ES3_S5_PmPlNS0_8identityIvEEEE10hipError_tT2_T3_mT4_P12ihipStream_tbEUlT_E_NS1_11comp_targetILNS1_3genE0ELNS1_11target_archE4294967295ELNS1_3gpuE0ELNS1_3repE0EEENS1_30default_config_static_selectorELNS0_4arch9wavefront6targetE1EEEvT1_,"axG",@progbits,_ZN7rocprim17ROCPRIM_400000_NS6detail17trampoline_kernelINS0_14default_configENS1_25transform_config_selectorImLb1EEEZNS1_14transform_implILb1ES3_S5_PmPlNS0_8identityIvEEEE10hipError_tT2_T3_mT4_P12ihipStream_tbEUlT_E_NS1_11comp_targetILNS1_3genE0ELNS1_11target_archE4294967295ELNS1_3gpuE0ELNS1_3repE0EEENS1_30default_config_static_selectorELNS0_4arch9wavefront6targetE1EEEvT1_,comdat
.Lfunc_end13:
	.size	_ZN7rocprim17ROCPRIM_400000_NS6detail17trampoline_kernelINS0_14default_configENS1_25transform_config_selectorImLb1EEEZNS1_14transform_implILb1ES3_S5_PmPlNS0_8identityIvEEEE10hipError_tT2_T3_mT4_P12ihipStream_tbEUlT_E_NS1_11comp_targetILNS1_3genE0ELNS1_11target_archE4294967295ELNS1_3gpuE0ELNS1_3repE0EEENS1_30default_config_static_selectorELNS0_4arch9wavefront6targetE1EEEvT1_, .Lfunc_end13-_ZN7rocprim17ROCPRIM_400000_NS6detail17trampoline_kernelINS0_14default_configENS1_25transform_config_selectorImLb1EEEZNS1_14transform_implILb1ES3_S5_PmPlNS0_8identityIvEEEE10hipError_tT2_T3_mT4_P12ihipStream_tbEUlT_E_NS1_11comp_targetILNS1_3genE0ELNS1_11target_archE4294967295ELNS1_3gpuE0ELNS1_3repE0EEENS1_30default_config_static_selectorELNS0_4arch9wavefront6targetE1EEEvT1_
                                        ; -- End function
	.section	.AMDGPU.csdata,"",@progbits
; Kernel info:
; codeLenInByte = 0
; NumSgprs: 6
; NumVgprs: 0
; NumAgprs: 0
; TotalNumVgprs: 0
; ScratchSize: 0
; MemoryBound: 0
; FloatMode: 240
; IeeeMode: 1
; LDSByteSize: 0 bytes/workgroup (compile time only)
; SGPRBlocks: 0
; VGPRBlocks: 0
; NumSGPRsForWavesPerEU: 6
; NumVGPRsForWavesPerEU: 1
; AccumOffset: 4
; Occupancy: 8
; WaveLimiterHint : 0
; COMPUTE_PGM_RSRC2:SCRATCH_EN: 0
; COMPUTE_PGM_RSRC2:USER_SGPR: 2
; COMPUTE_PGM_RSRC2:TRAP_HANDLER: 0
; COMPUTE_PGM_RSRC2:TGID_X_EN: 1
; COMPUTE_PGM_RSRC2:TGID_Y_EN: 0
; COMPUTE_PGM_RSRC2:TGID_Z_EN: 0
; COMPUTE_PGM_RSRC2:TIDIG_COMP_CNT: 0
; COMPUTE_PGM_RSRC3_GFX90A:ACCUM_OFFSET: 0
; COMPUTE_PGM_RSRC3_GFX90A:TG_SPLIT: 0
	.section	.text._ZN7rocprim17ROCPRIM_400000_NS6detail17trampoline_kernelINS0_14default_configENS1_25transform_config_selectorImLb1EEEZNS1_14transform_implILb1ES3_S5_PmPlNS0_8identityIvEEEE10hipError_tT2_T3_mT4_P12ihipStream_tbEUlT_E_NS1_11comp_targetILNS1_3genE10ELNS1_11target_archE1201ELNS1_3gpuE5ELNS1_3repE0EEENS1_30default_config_static_selectorELNS0_4arch9wavefront6targetE1EEEvT1_,"axG",@progbits,_ZN7rocprim17ROCPRIM_400000_NS6detail17trampoline_kernelINS0_14default_configENS1_25transform_config_selectorImLb1EEEZNS1_14transform_implILb1ES3_S5_PmPlNS0_8identityIvEEEE10hipError_tT2_T3_mT4_P12ihipStream_tbEUlT_E_NS1_11comp_targetILNS1_3genE10ELNS1_11target_archE1201ELNS1_3gpuE5ELNS1_3repE0EEENS1_30default_config_static_selectorELNS0_4arch9wavefront6targetE1EEEvT1_,comdat
	.protected	_ZN7rocprim17ROCPRIM_400000_NS6detail17trampoline_kernelINS0_14default_configENS1_25transform_config_selectorImLb1EEEZNS1_14transform_implILb1ES3_S5_PmPlNS0_8identityIvEEEE10hipError_tT2_T3_mT4_P12ihipStream_tbEUlT_E_NS1_11comp_targetILNS1_3genE10ELNS1_11target_archE1201ELNS1_3gpuE5ELNS1_3repE0EEENS1_30default_config_static_selectorELNS0_4arch9wavefront6targetE1EEEvT1_ ; -- Begin function _ZN7rocprim17ROCPRIM_400000_NS6detail17trampoline_kernelINS0_14default_configENS1_25transform_config_selectorImLb1EEEZNS1_14transform_implILb1ES3_S5_PmPlNS0_8identityIvEEEE10hipError_tT2_T3_mT4_P12ihipStream_tbEUlT_E_NS1_11comp_targetILNS1_3genE10ELNS1_11target_archE1201ELNS1_3gpuE5ELNS1_3repE0EEENS1_30default_config_static_selectorELNS0_4arch9wavefront6targetE1EEEvT1_
	.globl	_ZN7rocprim17ROCPRIM_400000_NS6detail17trampoline_kernelINS0_14default_configENS1_25transform_config_selectorImLb1EEEZNS1_14transform_implILb1ES3_S5_PmPlNS0_8identityIvEEEE10hipError_tT2_T3_mT4_P12ihipStream_tbEUlT_E_NS1_11comp_targetILNS1_3genE10ELNS1_11target_archE1201ELNS1_3gpuE5ELNS1_3repE0EEENS1_30default_config_static_selectorELNS0_4arch9wavefront6targetE1EEEvT1_
	.p2align	8
	.type	_ZN7rocprim17ROCPRIM_400000_NS6detail17trampoline_kernelINS0_14default_configENS1_25transform_config_selectorImLb1EEEZNS1_14transform_implILb1ES3_S5_PmPlNS0_8identityIvEEEE10hipError_tT2_T3_mT4_P12ihipStream_tbEUlT_E_NS1_11comp_targetILNS1_3genE10ELNS1_11target_archE1201ELNS1_3gpuE5ELNS1_3repE0EEENS1_30default_config_static_selectorELNS0_4arch9wavefront6targetE1EEEvT1_,@function
_ZN7rocprim17ROCPRIM_400000_NS6detail17trampoline_kernelINS0_14default_configENS1_25transform_config_selectorImLb1EEEZNS1_14transform_implILb1ES3_S5_PmPlNS0_8identityIvEEEE10hipError_tT2_T3_mT4_P12ihipStream_tbEUlT_E_NS1_11comp_targetILNS1_3genE10ELNS1_11target_archE1201ELNS1_3gpuE5ELNS1_3repE0EEENS1_30default_config_static_selectorELNS0_4arch9wavefront6targetE1EEEvT1_: ; @_ZN7rocprim17ROCPRIM_400000_NS6detail17trampoline_kernelINS0_14default_configENS1_25transform_config_selectorImLb1EEEZNS1_14transform_implILb1ES3_S5_PmPlNS0_8identityIvEEEE10hipError_tT2_T3_mT4_P12ihipStream_tbEUlT_E_NS1_11comp_targetILNS1_3genE10ELNS1_11target_archE1201ELNS1_3gpuE5ELNS1_3repE0EEENS1_30default_config_static_selectorELNS0_4arch9wavefront6targetE1EEEvT1_
; %bb.0:
	.section	.rodata,"a",@progbits
	.p2align	6, 0x0
	.amdhsa_kernel _ZN7rocprim17ROCPRIM_400000_NS6detail17trampoline_kernelINS0_14default_configENS1_25transform_config_selectorImLb1EEEZNS1_14transform_implILb1ES3_S5_PmPlNS0_8identityIvEEEE10hipError_tT2_T3_mT4_P12ihipStream_tbEUlT_E_NS1_11comp_targetILNS1_3genE10ELNS1_11target_archE1201ELNS1_3gpuE5ELNS1_3repE0EEENS1_30default_config_static_selectorELNS0_4arch9wavefront6targetE1EEEvT1_
		.amdhsa_group_segment_fixed_size 0
		.amdhsa_private_segment_fixed_size 0
		.amdhsa_kernarg_size 40
		.amdhsa_user_sgpr_count 2
		.amdhsa_user_sgpr_dispatch_ptr 0
		.amdhsa_user_sgpr_queue_ptr 0
		.amdhsa_user_sgpr_kernarg_segment_ptr 1
		.amdhsa_user_sgpr_dispatch_id 0
		.amdhsa_user_sgpr_kernarg_preload_length 0
		.amdhsa_user_sgpr_kernarg_preload_offset 0
		.amdhsa_user_sgpr_private_segment_size 0
		.amdhsa_uses_dynamic_stack 0
		.amdhsa_enable_private_segment 0
		.amdhsa_system_sgpr_workgroup_id_x 1
		.amdhsa_system_sgpr_workgroup_id_y 0
		.amdhsa_system_sgpr_workgroup_id_z 0
		.amdhsa_system_sgpr_workgroup_info 0
		.amdhsa_system_vgpr_workitem_id 0
		.amdhsa_next_free_vgpr 1
		.amdhsa_next_free_sgpr 0
		.amdhsa_accum_offset 4
		.amdhsa_reserve_vcc 0
		.amdhsa_float_round_mode_32 0
		.amdhsa_float_round_mode_16_64 0
		.amdhsa_float_denorm_mode_32 3
		.amdhsa_float_denorm_mode_16_64 3
		.amdhsa_dx10_clamp 1
		.amdhsa_ieee_mode 1
		.amdhsa_fp16_overflow 0
		.amdhsa_tg_split 0
		.amdhsa_exception_fp_ieee_invalid_op 0
		.amdhsa_exception_fp_denorm_src 0
		.amdhsa_exception_fp_ieee_div_zero 0
		.amdhsa_exception_fp_ieee_overflow 0
		.amdhsa_exception_fp_ieee_underflow 0
		.amdhsa_exception_fp_ieee_inexact 0
		.amdhsa_exception_int_div_zero 0
	.end_amdhsa_kernel
	.section	.text._ZN7rocprim17ROCPRIM_400000_NS6detail17trampoline_kernelINS0_14default_configENS1_25transform_config_selectorImLb1EEEZNS1_14transform_implILb1ES3_S5_PmPlNS0_8identityIvEEEE10hipError_tT2_T3_mT4_P12ihipStream_tbEUlT_E_NS1_11comp_targetILNS1_3genE10ELNS1_11target_archE1201ELNS1_3gpuE5ELNS1_3repE0EEENS1_30default_config_static_selectorELNS0_4arch9wavefront6targetE1EEEvT1_,"axG",@progbits,_ZN7rocprim17ROCPRIM_400000_NS6detail17trampoline_kernelINS0_14default_configENS1_25transform_config_selectorImLb1EEEZNS1_14transform_implILb1ES3_S5_PmPlNS0_8identityIvEEEE10hipError_tT2_T3_mT4_P12ihipStream_tbEUlT_E_NS1_11comp_targetILNS1_3genE10ELNS1_11target_archE1201ELNS1_3gpuE5ELNS1_3repE0EEENS1_30default_config_static_selectorELNS0_4arch9wavefront6targetE1EEEvT1_,comdat
.Lfunc_end14:
	.size	_ZN7rocprim17ROCPRIM_400000_NS6detail17trampoline_kernelINS0_14default_configENS1_25transform_config_selectorImLb1EEEZNS1_14transform_implILb1ES3_S5_PmPlNS0_8identityIvEEEE10hipError_tT2_T3_mT4_P12ihipStream_tbEUlT_E_NS1_11comp_targetILNS1_3genE10ELNS1_11target_archE1201ELNS1_3gpuE5ELNS1_3repE0EEENS1_30default_config_static_selectorELNS0_4arch9wavefront6targetE1EEEvT1_, .Lfunc_end14-_ZN7rocprim17ROCPRIM_400000_NS6detail17trampoline_kernelINS0_14default_configENS1_25transform_config_selectorImLb1EEEZNS1_14transform_implILb1ES3_S5_PmPlNS0_8identityIvEEEE10hipError_tT2_T3_mT4_P12ihipStream_tbEUlT_E_NS1_11comp_targetILNS1_3genE10ELNS1_11target_archE1201ELNS1_3gpuE5ELNS1_3repE0EEENS1_30default_config_static_selectorELNS0_4arch9wavefront6targetE1EEEvT1_
                                        ; -- End function
	.section	.AMDGPU.csdata,"",@progbits
; Kernel info:
; codeLenInByte = 0
; NumSgprs: 6
; NumVgprs: 0
; NumAgprs: 0
; TotalNumVgprs: 0
; ScratchSize: 0
; MemoryBound: 0
; FloatMode: 240
; IeeeMode: 1
; LDSByteSize: 0 bytes/workgroup (compile time only)
; SGPRBlocks: 0
; VGPRBlocks: 0
; NumSGPRsForWavesPerEU: 6
; NumVGPRsForWavesPerEU: 1
; AccumOffset: 4
; Occupancy: 8
; WaveLimiterHint : 0
; COMPUTE_PGM_RSRC2:SCRATCH_EN: 0
; COMPUTE_PGM_RSRC2:USER_SGPR: 2
; COMPUTE_PGM_RSRC2:TRAP_HANDLER: 0
; COMPUTE_PGM_RSRC2:TGID_X_EN: 1
; COMPUTE_PGM_RSRC2:TGID_Y_EN: 0
; COMPUTE_PGM_RSRC2:TGID_Z_EN: 0
; COMPUTE_PGM_RSRC2:TIDIG_COMP_CNT: 0
; COMPUTE_PGM_RSRC3_GFX90A:ACCUM_OFFSET: 0
; COMPUTE_PGM_RSRC3_GFX90A:TG_SPLIT: 0
	.section	.text._ZN7rocprim17ROCPRIM_400000_NS6detail17trampoline_kernelINS0_14default_configENS1_25transform_config_selectorImLb1EEEZNS1_14transform_implILb1ES3_S5_PmPlNS0_8identityIvEEEE10hipError_tT2_T3_mT4_P12ihipStream_tbEUlT_E_NS1_11comp_targetILNS1_3genE5ELNS1_11target_archE942ELNS1_3gpuE9ELNS1_3repE0EEENS1_30default_config_static_selectorELNS0_4arch9wavefront6targetE1EEEvT1_,"axG",@progbits,_ZN7rocprim17ROCPRIM_400000_NS6detail17trampoline_kernelINS0_14default_configENS1_25transform_config_selectorImLb1EEEZNS1_14transform_implILb1ES3_S5_PmPlNS0_8identityIvEEEE10hipError_tT2_T3_mT4_P12ihipStream_tbEUlT_E_NS1_11comp_targetILNS1_3genE5ELNS1_11target_archE942ELNS1_3gpuE9ELNS1_3repE0EEENS1_30default_config_static_selectorELNS0_4arch9wavefront6targetE1EEEvT1_,comdat
	.protected	_ZN7rocprim17ROCPRIM_400000_NS6detail17trampoline_kernelINS0_14default_configENS1_25transform_config_selectorImLb1EEEZNS1_14transform_implILb1ES3_S5_PmPlNS0_8identityIvEEEE10hipError_tT2_T3_mT4_P12ihipStream_tbEUlT_E_NS1_11comp_targetILNS1_3genE5ELNS1_11target_archE942ELNS1_3gpuE9ELNS1_3repE0EEENS1_30default_config_static_selectorELNS0_4arch9wavefront6targetE1EEEvT1_ ; -- Begin function _ZN7rocprim17ROCPRIM_400000_NS6detail17trampoline_kernelINS0_14default_configENS1_25transform_config_selectorImLb1EEEZNS1_14transform_implILb1ES3_S5_PmPlNS0_8identityIvEEEE10hipError_tT2_T3_mT4_P12ihipStream_tbEUlT_E_NS1_11comp_targetILNS1_3genE5ELNS1_11target_archE942ELNS1_3gpuE9ELNS1_3repE0EEENS1_30default_config_static_selectorELNS0_4arch9wavefront6targetE1EEEvT1_
	.globl	_ZN7rocprim17ROCPRIM_400000_NS6detail17trampoline_kernelINS0_14default_configENS1_25transform_config_selectorImLb1EEEZNS1_14transform_implILb1ES3_S5_PmPlNS0_8identityIvEEEE10hipError_tT2_T3_mT4_P12ihipStream_tbEUlT_E_NS1_11comp_targetILNS1_3genE5ELNS1_11target_archE942ELNS1_3gpuE9ELNS1_3repE0EEENS1_30default_config_static_selectorELNS0_4arch9wavefront6targetE1EEEvT1_
	.p2align	8
	.type	_ZN7rocprim17ROCPRIM_400000_NS6detail17trampoline_kernelINS0_14default_configENS1_25transform_config_selectorImLb1EEEZNS1_14transform_implILb1ES3_S5_PmPlNS0_8identityIvEEEE10hipError_tT2_T3_mT4_P12ihipStream_tbEUlT_E_NS1_11comp_targetILNS1_3genE5ELNS1_11target_archE942ELNS1_3gpuE9ELNS1_3repE0EEENS1_30default_config_static_selectorELNS0_4arch9wavefront6targetE1EEEvT1_,@function
_ZN7rocprim17ROCPRIM_400000_NS6detail17trampoline_kernelINS0_14default_configENS1_25transform_config_selectorImLb1EEEZNS1_14transform_implILb1ES3_S5_PmPlNS0_8identityIvEEEE10hipError_tT2_T3_mT4_P12ihipStream_tbEUlT_E_NS1_11comp_targetILNS1_3genE5ELNS1_11target_archE942ELNS1_3gpuE9ELNS1_3repE0EEENS1_30default_config_static_selectorELNS0_4arch9wavefront6targetE1EEEvT1_: ; @_ZN7rocprim17ROCPRIM_400000_NS6detail17trampoline_kernelINS0_14default_configENS1_25transform_config_selectorImLb1EEEZNS1_14transform_implILb1ES3_S5_PmPlNS0_8identityIvEEEE10hipError_tT2_T3_mT4_P12ihipStream_tbEUlT_E_NS1_11comp_targetILNS1_3genE5ELNS1_11target_archE942ELNS1_3gpuE9ELNS1_3repE0EEENS1_30default_config_static_selectorELNS0_4arch9wavefront6targetE1EEEvT1_
; %bb.0:
	s_load_dwordx8 s[4:11], s[0:1], 0x0
	s_load_dword s3, s[0:1], 0x28
	s_waitcnt lgkmcnt(0)
	s_lshl_b64 s[0:1], s[6:7], 3
	s_add_u32 s6, s4, s0
	s_addc_u32 s7, s5, s1
	s_add_u32 s9, s10, s0
	s_addc_u32 s10, s11, s1
	s_lshl_b32 s0, s2, 10
	s_mov_b32 s1, 0
	s_add_i32 s3, s3, -1
	s_lshl_b64 s[4:5], s[0:1], 3
	s_add_u32 s6, s6, s4
	s_addc_u32 s7, s7, s5
	s_cmp_lg_u32 s2, s3
	s_mov_b64 s[2:3], -1
	s_cbranch_scc0 .LBB15_2
; %bb.1:
	v_lshlrev_b32_e32 v1, 4, v0
	global_load_dwordx4 v[2:5], v1, s[6:7] nt
	s_add_u32 s2, s9, s4
	s_addc_u32 s3, s10, s5
	s_waitcnt vmcnt(0)
	global_store_dwordx4 v1, v[2:5], s[2:3]
	s_mov_b64 s[2:3], 0
.LBB15_2:
	s_andn2_b64 vcc, exec, s[2:3]
	s_cbranch_vccnz .LBB15_11
; %bb.3:
	s_sub_i32 s2, s8, s0
	v_cmp_gt_u32_e32 vcc, s2, v0
	v_lshlrev_b32_e32 v6, 3, v0
                                        ; implicit-def: $vgpr2_vgpr3_vgpr4_vgpr5
	s_and_saveexec_b64 s[0:1], vcc
	s_cbranch_execz .LBB15_5
; %bb.4:
	global_load_dwordx2 v[2:3], v6, s[6:7]
.LBB15_5:
	s_or_b64 exec, exec, s[0:1]
	v_or_b32_e32 v0, 0x200, v0
	v_cmp_gt_u32_e64 s[0:1], s2, v0
	s_and_saveexec_b64 s[2:3], s[0:1]
	s_cbranch_execz .LBB15_7
; %bb.6:
	v_lshlrev_b32_e32 v0, 3, v0
	global_load_dwordx2 v[4:5], v0, s[6:7]
.LBB15_7:
	s_or_b64 exec, exec, s[2:3]
	s_add_u32 s2, s9, s4
	s_addc_u32 s3, s10, s5
	v_mov_b32_e32 v7, 0
	v_lshl_add_u64 v[0:1], s[2:3], 0, v[6:7]
	s_and_saveexec_b64 s[2:3], vcc
	s_cbranch_execz .LBB15_9
; %bb.8:
	s_waitcnt vmcnt(0)
	global_store_dwordx2 v[0:1], v[2:3], off
.LBB15_9:
	s_or_b64 exec, exec, s[2:3]
	s_and_saveexec_b64 s[2:3], s[0:1]
	s_cbranch_execz .LBB15_11
; %bb.10:
	v_add_co_u32_e32 v0, vcc, 0x1000, v0
	s_nop 1
	v_addc_co_u32_e32 v1, vcc, 0, v1, vcc
	s_waitcnt vmcnt(0)
	global_store_dwordx2 v[0:1], v[4:5], off
.LBB15_11:
	s_endpgm
	.section	.rodata,"a",@progbits
	.p2align	6, 0x0
	.amdhsa_kernel _ZN7rocprim17ROCPRIM_400000_NS6detail17trampoline_kernelINS0_14default_configENS1_25transform_config_selectorImLb1EEEZNS1_14transform_implILb1ES3_S5_PmPlNS0_8identityIvEEEE10hipError_tT2_T3_mT4_P12ihipStream_tbEUlT_E_NS1_11comp_targetILNS1_3genE5ELNS1_11target_archE942ELNS1_3gpuE9ELNS1_3repE0EEENS1_30default_config_static_selectorELNS0_4arch9wavefront6targetE1EEEvT1_
		.amdhsa_group_segment_fixed_size 0
		.amdhsa_private_segment_fixed_size 0
		.amdhsa_kernarg_size 296
		.amdhsa_user_sgpr_count 2
		.amdhsa_user_sgpr_dispatch_ptr 0
		.amdhsa_user_sgpr_queue_ptr 0
		.amdhsa_user_sgpr_kernarg_segment_ptr 1
		.amdhsa_user_sgpr_dispatch_id 0
		.amdhsa_user_sgpr_kernarg_preload_length 0
		.amdhsa_user_sgpr_kernarg_preload_offset 0
		.amdhsa_user_sgpr_private_segment_size 0
		.amdhsa_uses_dynamic_stack 0
		.amdhsa_enable_private_segment 0
		.amdhsa_system_sgpr_workgroup_id_x 1
		.amdhsa_system_sgpr_workgroup_id_y 0
		.amdhsa_system_sgpr_workgroup_id_z 0
		.amdhsa_system_sgpr_workgroup_info 0
		.amdhsa_system_vgpr_workitem_id 0
		.amdhsa_next_free_vgpr 8
		.amdhsa_next_free_sgpr 12
		.amdhsa_accum_offset 8
		.amdhsa_reserve_vcc 1
		.amdhsa_float_round_mode_32 0
		.amdhsa_float_round_mode_16_64 0
		.amdhsa_float_denorm_mode_32 3
		.amdhsa_float_denorm_mode_16_64 3
		.amdhsa_dx10_clamp 1
		.amdhsa_ieee_mode 1
		.amdhsa_fp16_overflow 0
		.amdhsa_tg_split 0
		.amdhsa_exception_fp_ieee_invalid_op 0
		.amdhsa_exception_fp_denorm_src 0
		.amdhsa_exception_fp_ieee_div_zero 0
		.amdhsa_exception_fp_ieee_overflow 0
		.amdhsa_exception_fp_ieee_underflow 0
		.amdhsa_exception_fp_ieee_inexact 0
		.amdhsa_exception_int_div_zero 0
	.end_amdhsa_kernel
	.section	.text._ZN7rocprim17ROCPRIM_400000_NS6detail17trampoline_kernelINS0_14default_configENS1_25transform_config_selectorImLb1EEEZNS1_14transform_implILb1ES3_S5_PmPlNS0_8identityIvEEEE10hipError_tT2_T3_mT4_P12ihipStream_tbEUlT_E_NS1_11comp_targetILNS1_3genE5ELNS1_11target_archE942ELNS1_3gpuE9ELNS1_3repE0EEENS1_30default_config_static_selectorELNS0_4arch9wavefront6targetE1EEEvT1_,"axG",@progbits,_ZN7rocprim17ROCPRIM_400000_NS6detail17trampoline_kernelINS0_14default_configENS1_25transform_config_selectorImLb1EEEZNS1_14transform_implILb1ES3_S5_PmPlNS0_8identityIvEEEE10hipError_tT2_T3_mT4_P12ihipStream_tbEUlT_E_NS1_11comp_targetILNS1_3genE5ELNS1_11target_archE942ELNS1_3gpuE9ELNS1_3repE0EEENS1_30default_config_static_selectorELNS0_4arch9wavefront6targetE1EEEvT1_,comdat
.Lfunc_end15:
	.size	_ZN7rocprim17ROCPRIM_400000_NS6detail17trampoline_kernelINS0_14default_configENS1_25transform_config_selectorImLb1EEEZNS1_14transform_implILb1ES3_S5_PmPlNS0_8identityIvEEEE10hipError_tT2_T3_mT4_P12ihipStream_tbEUlT_E_NS1_11comp_targetILNS1_3genE5ELNS1_11target_archE942ELNS1_3gpuE9ELNS1_3repE0EEENS1_30default_config_static_selectorELNS0_4arch9wavefront6targetE1EEEvT1_, .Lfunc_end15-_ZN7rocprim17ROCPRIM_400000_NS6detail17trampoline_kernelINS0_14default_configENS1_25transform_config_selectorImLb1EEEZNS1_14transform_implILb1ES3_S5_PmPlNS0_8identityIvEEEE10hipError_tT2_T3_mT4_P12ihipStream_tbEUlT_E_NS1_11comp_targetILNS1_3genE5ELNS1_11target_archE942ELNS1_3gpuE9ELNS1_3repE0EEENS1_30default_config_static_selectorELNS0_4arch9wavefront6targetE1EEEvT1_
                                        ; -- End function
	.section	.AMDGPU.csdata,"",@progbits
; Kernel info:
; codeLenInByte = 276
; NumSgprs: 18
; NumVgprs: 8
; NumAgprs: 0
; TotalNumVgprs: 8
; ScratchSize: 0
; MemoryBound: 1
; FloatMode: 240
; IeeeMode: 1
; LDSByteSize: 0 bytes/workgroup (compile time only)
; SGPRBlocks: 2
; VGPRBlocks: 0
; NumSGPRsForWavesPerEU: 18
; NumVGPRsForWavesPerEU: 8
; AccumOffset: 8
; Occupancy: 8
; WaveLimiterHint : 0
; COMPUTE_PGM_RSRC2:SCRATCH_EN: 0
; COMPUTE_PGM_RSRC2:USER_SGPR: 2
; COMPUTE_PGM_RSRC2:TRAP_HANDLER: 0
; COMPUTE_PGM_RSRC2:TGID_X_EN: 1
; COMPUTE_PGM_RSRC2:TGID_Y_EN: 0
; COMPUTE_PGM_RSRC2:TGID_Z_EN: 0
; COMPUTE_PGM_RSRC2:TIDIG_COMP_CNT: 0
; COMPUTE_PGM_RSRC3_GFX90A:ACCUM_OFFSET: 1
; COMPUTE_PGM_RSRC3_GFX90A:TG_SPLIT: 0
	.section	.text._ZN7rocprim17ROCPRIM_400000_NS6detail17trampoline_kernelINS0_14default_configENS1_25transform_config_selectorImLb1EEEZNS1_14transform_implILb1ES3_S5_PmPlNS0_8identityIvEEEE10hipError_tT2_T3_mT4_P12ihipStream_tbEUlT_E_NS1_11comp_targetILNS1_3genE4ELNS1_11target_archE910ELNS1_3gpuE8ELNS1_3repE0EEENS1_30default_config_static_selectorELNS0_4arch9wavefront6targetE1EEEvT1_,"axG",@progbits,_ZN7rocprim17ROCPRIM_400000_NS6detail17trampoline_kernelINS0_14default_configENS1_25transform_config_selectorImLb1EEEZNS1_14transform_implILb1ES3_S5_PmPlNS0_8identityIvEEEE10hipError_tT2_T3_mT4_P12ihipStream_tbEUlT_E_NS1_11comp_targetILNS1_3genE4ELNS1_11target_archE910ELNS1_3gpuE8ELNS1_3repE0EEENS1_30default_config_static_selectorELNS0_4arch9wavefront6targetE1EEEvT1_,comdat
	.protected	_ZN7rocprim17ROCPRIM_400000_NS6detail17trampoline_kernelINS0_14default_configENS1_25transform_config_selectorImLb1EEEZNS1_14transform_implILb1ES3_S5_PmPlNS0_8identityIvEEEE10hipError_tT2_T3_mT4_P12ihipStream_tbEUlT_E_NS1_11comp_targetILNS1_3genE4ELNS1_11target_archE910ELNS1_3gpuE8ELNS1_3repE0EEENS1_30default_config_static_selectorELNS0_4arch9wavefront6targetE1EEEvT1_ ; -- Begin function _ZN7rocprim17ROCPRIM_400000_NS6detail17trampoline_kernelINS0_14default_configENS1_25transform_config_selectorImLb1EEEZNS1_14transform_implILb1ES3_S5_PmPlNS0_8identityIvEEEE10hipError_tT2_T3_mT4_P12ihipStream_tbEUlT_E_NS1_11comp_targetILNS1_3genE4ELNS1_11target_archE910ELNS1_3gpuE8ELNS1_3repE0EEENS1_30default_config_static_selectorELNS0_4arch9wavefront6targetE1EEEvT1_
	.globl	_ZN7rocprim17ROCPRIM_400000_NS6detail17trampoline_kernelINS0_14default_configENS1_25transform_config_selectorImLb1EEEZNS1_14transform_implILb1ES3_S5_PmPlNS0_8identityIvEEEE10hipError_tT2_T3_mT4_P12ihipStream_tbEUlT_E_NS1_11comp_targetILNS1_3genE4ELNS1_11target_archE910ELNS1_3gpuE8ELNS1_3repE0EEENS1_30default_config_static_selectorELNS0_4arch9wavefront6targetE1EEEvT1_
	.p2align	8
	.type	_ZN7rocprim17ROCPRIM_400000_NS6detail17trampoline_kernelINS0_14default_configENS1_25transform_config_selectorImLb1EEEZNS1_14transform_implILb1ES3_S5_PmPlNS0_8identityIvEEEE10hipError_tT2_T3_mT4_P12ihipStream_tbEUlT_E_NS1_11comp_targetILNS1_3genE4ELNS1_11target_archE910ELNS1_3gpuE8ELNS1_3repE0EEENS1_30default_config_static_selectorELNS0_4arch9wavefront6targetE1EEEvT1_,@function
_ZN7rocprim17ROCPRIM_400000_NS6detail17trampoline_kernelINS0_14default_configENS1_25transform_config_selectorImLb1EEEZNS1_14transform_implILb1ES3_S5_PmPlNS0_8identityIvEEEE10hipError_tT2_T3_mT4_P12ihipStream_tbEUlT_E_NS1_11comp_targetILNS1_3genE4ELNS1_11target_archE910ELNS1_3gpuE8ELNS1_3repE0EEENS1_30default_config_static_selectorELNS0_4arch9wavefront6targetE1EEEvT1_: ; @_ZN7rocprim17ROCPRIM_400000_NS6detail17trampoline_kernelINS0_14default_configENS1_25transform_config_selectorImLb1EEEZNS1_14transform_implILb1ES3_S5_PmPlNS0_8identityIvEEEE10hipError_tT2_T3_mT4_P12ihipStream_tbEUlT_E_NS1_11comp_targetILNS1_3genE4ELNS1_11target_archE910ELNS1_3gpuE8ELNS1_3repE0EEENS1_30default_config_static_selectorELNS0_4arch9wavefront6targetE1EEEvT1_
; %bb.0:
	.section	.rodata,"a",@progbits
	.p2align	6, 0x0
	.amdhsa_kernel _ZN7rocprim17ROCPRIM_400000_NS6detail17trampoline_kernelINS0_14default_configENS1_25transform_config_selectorImLb1EEEZNS1_14transform_implILb1ES3_S5_PmPlNS0_8identityIvEEEE10hipError_tT2_T3_mT4_P12ihipStream_tbEUlT_E_NS1_11comp_targetILNS1_3genE4ELNS1_11target_archE910ELNS1_3gpuE8ELNS1_3repE0EEENS1_30default_config_static_selectorELNS0_4arch9wavefront6targetE1EEEvT1_
		.amdhsa_group_segment_fixed_size 0
		.amdhsa_private_segment_fixed_size 0
		.amdhsa_kernarg_size 40
		.amdhsa_user_sgpr_count 2
		.amdhsa_user_sgpr_dispatch_ptr 0
		.amdhsa_user_sgpr_queue_ptr 0
		.amdhsa_user_sgpr_kernarg_segment_ptr 1
		.amdhsa_user_sgpr_dispatch_id 0
		.amdhsa_user_sgpr_kernarg_preload_length 0
		.amdhsa_user_sgpr_kernarg_preload_offset 0
		.amdhsa_user_sgpr_private_segment_size 0
		.amdhsa_uses_dynamic_stack 0
		.amdhsa_enable_private_segment 0
		.amdhsa_system_sgpr_workgroup_id_x 1
		.amdhsa_system_sgpr_workgroup_id_y 0
		.amdhsa_system_sgpr_workgroup_id_z 0
		.amdhsa_system_sgpr_workgroup_info 0
		.amdhsa_system_vgpr_workitem_id 0
		.amdhsa_next_free_vgpr 1
		.amdhsa_next_free_sgpr 0
		.amdhsa_accum_offset 4
		.amdhsa_reserve_vcc 0
		.amdhsa_float_round_mode_32 0
		.amdhsa_float_round_mode_16_64 0
		.amdhsa_float_denorm_mode_32 3
		.amdhsa_float_denorm_mode_16_64 3
		.amdhsa_dx10_clamp 1
		.amdhsa_ieee_mode 1
		.amdhsa_fp16_overflow 0
		.amdhsa_tg_split 0
		.amdhsa_exception_fp_ieee_invalid_op 0
		.amdhsa_exception_fp_denorm_src 0
		.amdhsa_exception_fp_ieee_div_zero 0
		.amdhsa_exception_fp_ieee_overflow 0
		.amdhsa_exception_fp_ieee_underflow 0
		.amdhsa_exception_fp_ieee_inexact 0
		.amdhsa_exception_int_div_zero 0
	.end_amdhsa_kernel
	.section	.text._ZN7rocprim17ROCPRIM_400000_NS6detail17trampoline_kernelINS0_14default_configENS1_25transform_config_selectorImLb1EEEZNS1_14transform_implILb1ES3_S5_PmPlNS0_8identityIvEEEE10hipError_tT2_T3_mT4_P12ihipStream_tbEUlT_E_NS1_11comp_targetILNS1_3genE4ELNS1_11target_archE910ELNS1_3gpuE8ELNS1_3repE0EEENS1_30default_config_static_selectorELNS0_4arch9wavefront6targetE1EEEvT1_,"axG",@progbits,_ZN7rocprim17ROCPRIM_400000_NS6detail17trampoline_kernelINS0_14default_configENS1_25transform_config_selectorImLb1EEEZNS1_14transform_implILb1ES3_S5_PmPlNS0_8identityIvEEEE10hipError_tT2_T3_mT4_P12ihipStream_tbEUlT_E_NS1_11comp_targetILNS1_3genE4ELNS1_11target_archE910ELNS1_3gpuE8ELNS1_3repE0EEENS1_30default_config_static_selectorELNS0_4arch9wavefront6targetE1EEEvT1_,comdat
.Lfunc_end16:
	.size	_ZN7rocprim17ROCPRIM_400000_NS6detail17trampoline_kernelINS0_14default_configENS1_25transform_config_selectorImLb1EEEZNS1_14transform_implILb1ES3_S5_PmPlNS0_8identityIvEEEE10hipError_tT2_T3_mT4_P12ihipStream_tbEUlT_E_NS1_11comp_targetILNS1_3genE4ELNS1_11target_archE910ELNS1_3gpuE8ELNS1_3repE0EEENS1_30default_config_static_selectorELNS0_4arch9wavefront6targetE1EEEvT1_, .Lfunc_end16-_ZN7rocprim17ROCPRIM_400000_NS6detail17trampoline_kernelINS0_14default_configENS1_25transform_config_selectorImLb1EEEZNS1_14transform_implILb1ES3_S5_PmPlNS0_8identityIvEEEE10hipError_tT2_T3_mT4_P12ihipStream_tbEUlT_E_NS1_11comp_targetILNS1_3genE4ELNS1_11target_archE910ELNS1_3gpuE8ELNS1_3repE0EEENS1_30default_config_static_selectorELNS0_4arch9wavefront6targetE1EEEvT1_
                                        ; -- End function
	.section	.AMDGPU.csdata,"",@progbits
; Kernel info:
; codeLenInByte = 0
; NumSgprs: 6
; NumVgprs: 0
; NumAgprs: 0
; TotalNumVgprs: 0
; ScratchSize: 0
; MemoryBound: 0
; FloatMode: 240
; IeeeMode: 1
; LDSByteSize: 0 bytes/workgroup (compile time only)
; SGPRBlocks: 0
; VGPRBlocks: 0
; NumSGPRsForWavesPerEU: 6
; NumVGPRsForWavesPerEU: 1
; AccumOffset: 4
; Occupancy: 8
; WaveLimiterHint : 0
; COMPUTE_PGM_RSRC2:SCRATCH_EN: 0
; COMPUTE_PGM_RSRC2:USER_SGPR: 2
; COMPUTE_PGM_RSRC2:TRAP_HANDLER: 0
; COMPUTE_PGM_RSRC2:TGID_X_EN: 1
; COMPUTE_PGM_RSRC2:TGID_Y_EN: 0
; COMPUTE_PGM_RSRC2:TGID_Z_EN: 0
; COMPUTE_PGM_RSRC2:TIDIG_COMP_CNT: 0
; COMPUTE_PGM_RSRC3_GFX90A:ACCUM_OFFSET: 0
; COMPUTE_PGM_RSRC3_GFX90A:TG_SPLIT: 0
	.section	.text._ZN7rocprim17ROCPRIM_400000_NS6detail17trampoline_kernelINS0_14default_configENS1_25transform_config_selectorImLb1EEEZNS1_14transform_implILb1ES3_S5_PmPlNS0_8identityIvEEEE10hipError_tT2_T3_mT4_P12ihipStream_tbEUlT_E_NS1_11comp_targetILNS1_3genE3ELNS1_11target_archE908ELNS1_3gpuE7ELNS1_3repE0EEENS1_30default_config_static_selectorELNS0_4arch9wavefront6targetE1EEEvT1_,"axG",@progbits,_ZN7rocprim17ROCPRIM_400000_NS6detail17trampoline_kernelINS0_14default_configENS1_25transform_config_selectorImLb1EEEZNS1_14transform_implILb1ES3_S5_PmPlNS0_8identityIvEEEE10hipError_tT2_T3_mT4_P12ihipStream_tbEUlT_E_NS1_11comp_targetILNS1_3genE3ELNS1_11target_archE908ELNS1_3gpuE7ELNS1_3repE0EEENS1_30default_config_static_selectorELNS0_4arch9wavefront6targetE1EEEvT1_,comdat
	.protected	_ZN7rocprim17ROCPRIM_400000_NS6detail17trampoline_kernelINS0_14default_configENS1_25transform_config_selectorImLb1EEEZNS1_14transform_implILb1ES3_S5_PmPlNS0_8identityIvEEEE10hipError_tT2_T3_mT4_P12ihipStream_tbEUlT_E_NS1_11comp_targetILNS1_3genE3ELNS1_11target_archE908ELNS1_3gpuE7ELNS1_3repE0EEENS1_30default_config_static_selectorELNS0_4arch9wavefront6targetE1EEEvT1_ ; -- Begin function _ZN7rocprim17ROCPRIM_400000_NS6detail17trampoline_kernelINS0_14default_configENS1_25transform_config_selectorImLb1EEEZNS1_14transform_implILb1ES3_S5_PmPlNS0_8identityIvEEEE10hipError_tT2_T3_mT4_P12ihipStream_tbEUlT_E_NS1_11comp_targetILNS1_3genE3ELNS1_11target_archE908ELNS1_3gpuE7ELNS1_3repE0EEENS1_30default_config_static_selectorELNS0_4arch9wavefront6targetE1EEEvT1_
	.globl	_ZN7rocprim17ROCPRIM_400000_NS6detail17trampoline_kernelINS0_14default_configENS1_25transform_config_selectorImLb1EEEZNS1_14transform_implILb1ES3_S5_PmPlNS0_8identityIvEEEE10hipError_tT2_T3_mT4_P12ihipStream_tbEUlT_E_NS1_11comp_targetILNS1_3genE3ELNS1_11target_archE908ELNS1_3gpuE7ELNS1_3repE0EEENS1_30default_config_static_selectorELNS0_4arch9wavefront6targetE1EEEvT1_
	.p2align	8
	.type	_ZN7rocprim17ROCPRIM_400000_NS6detail17trampoline_kernelINS0_14default_configENS1_25transform_config_selectorImLb1EEEZNS1_14transform_implILb1ES3_S5_PmPlNS0_8identityIvEEEE10hipError_tT2_T3_mT4_P12ihipStream_tbEUlT_E_NS1_11comp_targetILNS1_3genE3ELNS1_11target_archE908ELNS1_3gpuE7ELNS1_3repE0EEENS1_30default_config_static_selectorELNS0_4arch9wavefront6targetE1EEEvT1_,@function
_ZN7rocprim17ROCPRIM_400000_NS6detail17trampoline_kernelINS0_14default_configENS1_25transform_config_selectorImLb1EEEZNS1_14transform_implILb1ES3_S5_PmPlNS0_8identityIvEEEE10hipError_tT2_T3_mT4_P12ihipStream_tbEUlT_E_NS1_11comp_targetILNS1_3genE3ELNS1_11target_archE908ELNS1_3gpuE7ELNS1_3repE0EEENS1_30default_config_static_selectorELNS0_4arch9wavefront6targetE1EEEvT1_: ; @_ZN7rocprim17ROCPRIM_400000_NS6detail17trampoline_kernelINS0_14default_configENS1_25transform_config_selectorImLb1EEEZNS1_14transform_implILb1ES3_S5_PmPlNS0_8identityIvEEEE10hipError_tT2_T3_mT4_P12ihipStream_tbEUlT_E_NS1_11comp_targetILNS1_3genE3ELNS1_11target_archE908ELNS1_3gpuE7ELNS1_3repE0EEENS1_30default_config_static_selectorELNS0_4arch9wavefront6targetE1EEEvT1_
; %bb.0:
	.section	.rodata,"a",@progbits
	.p2align	6, 0x0
	.amdhsa_kernel _ZN7rocprim17ROCPRIM_400000_NS6detail17trampoline_kernelINS0_14default_configENS1_25transform_config_selectorImLb1EEEZNS1_14transform_implILb1ES3_S5_PmPlNS0_8identityIvEEEE10hipError_tT2_T3_mT4_P12ihipStream_tbEUlT_E_NS1_11comp_targetILNS1_3genE3ELNS1_11target_archE908ELNS1_3gpuE7ELNS1_3repE0EEENS1_30default_config_static_selectorELNS0_4arch9wavefront6targetE1EEEvT1_
		.amdhsa_group_segment_fixed_size 0
		.amdhsa_private_segment_fixed_size 0
		.amdhsa_kernarg_size 40
		.amdhsa_user_sgpr_count 2
		.amdhsa_user_sgpr_dispatch_ptr 0
		.amdhsa_user_sgpr_queue_ptr 0
		.amdhsa_user_sgpr_kernarg_segment_ptr 1
		.amdhsa_user_sgpr_dispatch_id 0
		.amdhsa_user_sgpr_kernarg_preload_length 0
		.amdhsa_user_sgpr_kernarg_preload_offset 0
		.amdhsa_user_sgpr_private_segment_size 0
		.amdhsa_uses_dynamic_stack 0
		.amdhsa_enable_private_segment 0
		.amdhsa_system_sgpr_workgroup_id_x 1
		.amdhsa_system_sgpr_workgroup_id_y 0
		.amdhsa_system_sgpr_workgroup_id_z 0
		.amdhsa_system_sgpr_workgroup_info 0
		.amdhsa_system_vgpr_workitem_id 0
		.amdhsa_next_free_vgpr 1
		.amdhsa_next_free_sgpr 0
		.amdhsa_accum_offset 4
		.amdhsa_reserve_vcc 0
		.amdhsa_float_round_mode_32 0
		.amdhsa_float_round_mode_16_64 0
		.amdhsa_float_denorm_mode_32 3
		.amdhsa_float_denorm_mode_16_64 3
		.amdhsa_dx10_clamp 1
		.amdhsa_ieee_mode 1
		.amdhsa_fp16_overflow 0
		.amdhsa_tg_split 0
		.amdhsa_exception_fp_ieee_invalid_op 0
		.amdhsa_exception_fp_denorm_src 0
		.amdhsa_exception_fp_ieee_div_zero 0
		.amdhsa_exception_fp_ieee_overflow 0
		.amdhsa_exception_fp_ieee_underflow 0
		.amdhsa_exception_fp_ieee_inexact 0
		.amdhsa_exception_int_div_zero 0
	.end_amdhsa_kernel
	.section	.text._ZN7rocprim17ROCPRIM_400000_NS6detail17trampoline_kernelINS0_14default_configENS1_25transform_config_selectorImLb1EEEZNS1_14transform_implILb1ES3_S5_PmPlNS0_8identityIvEEEE10hipError_tT2_T3_mT4_P12ihipStream_tbEUlT_E_NS1_11comp_targetILNS1_3genE3ELNS1_11target_archE908ELNS1_3gpuE7ELNS1_3repE0EEENS1_30default_config_static_selectorELNS0_4arch9wavefront6targetE1EEEvT1_,"axG",@progbits,_ZN7rocprim17ROCPRIM_400000_NS6detail17trampoline_kernelINS0_14default_configENS1_25transform_config_selectorImLb1EEEZNS1_14transform_implILb1ES3_S5_PmPlNS0_8identityIvEEEE10hipError_tT2_T3_mT4_P12ihipStream_tbEUlT_E_NS1_11comp_targetILNS1_3genE3ELNS1_11target_archE908ELNS1_3gpuE7ELNS1_3repE0EEENS1_30default_config_static_selectorELNS0_4arch9wavefront6targetE1EEEvT1_,comdat
.Lfunc_end17:
	.size	_ZN7rocprim17ROCPRIM_400000_NS6detail17trampoline_kernelINS0_14default_configENS1_25transform_config_selectorImLb1EEEZNS1_14transform_implILb1ES3_S5_PmPlNS0_8identityIvEEEE10hipError_tT2_T3_mT4_P12ihipStream_tbEUlT_E_NS1_11comp_targetILNS1_3genE3ELNS1_11target_archE908ELNS1_3gpuE7ELNS1_3repE0EEENS1_30default_config_static_selectorELNS0_4arch9wavefront6targetE1EEEvT1_, .Lfunc_end17-_ZN7rocprim17ROCPRIM_400000_NS6detail17trampoline_kernelINS0_14default_configENS1_25transform_config_selectorImLb1EEEZNS1_14transform_implILb1ES3_S5_PmPlNS0_8identityIvEEEE10hipError_tT2_T3_mT4_P12ihipStream_tbEUlT_E_NS1_11comp_targetILNS1_3genE3ELNS1_11target_archE908ELNS1_3gpuE7ELNS1_3repE0EEENS1_30default_config_static_selectorELNS0_4arch9wavefront6targetE1EEEvT1_
                                        ; -- End function
	.section	.AMDGPU.csdata,"",@progbits
; Kernel info:
; codeLenInByte = 0
; NumSgprs: 6
; NumVgprs: 0
; NumAgprs: 0
; TotalNumVgprs: 0
; ScratchSize: 0
; MemoryBound: 0
; FloatMode: 240
; IeeeMode: 1
; LDSByteSize: 0 bytes/workgroup (compile time only)
; SGPRBlocks: 0
; VGPRBlocks: 0
; NumSGPRsForWavesPerEU: 6
; NumVGPRsForWavesPerEU: 1
; AccumOffset: 4
; Occupancy: 8
; WaveLimiterHint : 0
; COMPUTE_PGM_RSRC2:SCRATCH_EN: 0
; COMPUTE_PGM_RSRC2:USER_SGPR: 2
; COMPUTE_PGM_RSRC2:TRAP_HANDLER: 0
; COMPUTE_PGM_RSRC2:TGID_X_EN: 1
; COMPUTE_PGM_RSRC2:TGID_Y_EN: 0
; COMPUTE_PGM_RSRC2:TGID_Z_EN: 0
; COMPUTE_PGM_RSRC2:TIDIG_COMP_CNT: 0
; COMPUTE_PGM_RSRC3_GFX90A:ACCUM_OFFSET: 0
; COMPUTE_PGM_RSRC3_GFX90A:TG_SPLIT: 0
	.section	.text._ZN7rocprim17ROCPRIM_400000_NS6detail17trampoline_kernelINS0_14default_configENS1_25transform_config_selectorImLb1EEEZNS1_14transform_implILb1ES3_S5_PmPlNS0_8identityIvEEEE10hipError_tT2_T3_mT4_P12ihipStream_tbEUlT_E_NS1_11comp_targetILNS1_3genE2ELNS1_11target_archE906ELNS1_3gpuE6ELNS1_3repE0EEENS1_30default_config_static_selectorELNS0_4arch9wavefront6targetE1EEEvT1_,"axG",@progbits,_ZN7rocprim17ROCPRIM_400000_NS6detail17trampoline_kernelINS0_14default_configENS1_25transform_config_selectorImLb1EEEZNS1_14transform_implILb1ES3_S5_PmPlNS0_8identityIvEEEE10hipError_tT2_T3_mT4_P12ihipStream_tbEUlT_E_NS1_11comp_targetILNS1_3genE2ELNS1_11target_archE906ELNS1_3gpuE6ELNS1_3repE0EEENS1_30default_config_static_selectorELNS0_4arch9wavefront6targetE1EEEvT1_,comdat
	.protected	_ZN7rocprim17ROCPRIM_400000_NS6detail17trampoline_kernelINS0_14default_configENS1_25transform_config_selectorImLb1EEEZNS1_14transform_implILb1ES3_S5_PmPlNS0_8identityIvEEEE10hipError_tT2_T3_mT4_P12ihipStream_tbEUlT_E_NS1_11comp_targetILNS1_3genE2ELNS1_11target_archE906ELNS1_3gpuE6ELNS1_3repE0EEENS1_30default_config_static_selectorELNS0_4arch9wavefront6targetE1EEEvT1_ ; -- Begin function _ZN7rocprim17ROCPRIM_400000_NS6detail17trampoline_kernelINS0_14default_configENS1_25transform_config_selectorImLb1EEEZNS1_14transform_implILb1ES3_S5_PmPlNS0_8identityIvEEEE10hipError_tT2_T3_mT4_P12ihipStream_tbEUlT_E_NS1_11comp_targetILNS1_3genE2ELNS1_11target_archE906ELNS1_3gpuE6ELNS1_3repE0EEENS1_30default_config_static_selectorELNS0_4arch9wavefront6targetE1EEEvT1_
	.globl	_ZN7rocprim17ROCPRIM_400000_NS6detail17trampoline_kernelINS0_14default_configENS1_25transform_config_selectorImLb1EEEZNS1_14transform_implILb1ES3_S5_PmPlNS0_8identityIvEEEE10hipError_tT2_T3_mT4_P12ihipStream_tbEUlT_E_NS1_11comp_targetILNS1_3genE2ELNS1_11target_archE906ELNS1_3gpuE6ELNS1_3repE0EEENS1_30default_config_static_selectorELNS0_4arch9wavefront6targetE1EEEvT1_
	.p2align	8
	.type	_ZN7rocprim17ROCPRIM_400000_NS6detail17trampoline_kernelINS0_14default_configENS1_25transform_config_selectorImLb1EEEZNS1_14transform_implILb1ES3_S5_PmPlNS0_8identityIvEEEE10hipError_tT2_T3_mT4_P12ihipStream_tbEUlT_E_NS1_11comp_targetILNS1_3genE2ELNS1_11target_archE906ELNS1_3gpuE6ELNS1_3repE0EEENS1_30default_config_static_selectorELNS0_4arch9wavefront6targetE1EEEvT1_,@function
_ZN7rocprim17ROCPRIM_400000_NS6detail17trampoline_kernelINS0_14default_configENS1_25transform_config_selectorImLb1EEEZNS1_14transform_implILb1ES3_S5_PmPlNS0_8identityIvEEEE10hipError_tT2_T3_mT4_P12ihipStream_tbEUlT_E_NS1_11comp_targetILNS1_3genE2ELNS1_11target_archE906ELNS1_3gpuE6ELNS1_3repE0EEENS1_30default_config_static_selectorELNS0_4arch9wavefront6targetE1EEEvT1_: ; @_ZN7rocprim17ROCPRIM_400000_NS6detail17trampoline_kernelINS0_14default_configENS1_25transform_config_selectorImLb1EEEZNS1_14transform_implILb1ES3_S5_PmPlNS0_8identityIvEEEE10hipError_tT2_T3_mT4_P12ihipStream_tbEUlT_E_NS1_11comp_targetILNS1_3genE2ELNS1_11target_archE906ELNS1_3gpuE6ELNS1_3repE0EEENS1_30default_config_static_selectorELNS0_4arch9wavefront6targetE1EEEvT1_
; %bb.0:
	.section	.rodata,"a",@progbits
	.p2align	6, 0x0
	.amdhsa_kernel _ZN7rocprim17ROCPRIM_400000_NS6detail17trampoline_kernelINS0_14default_configENS1_25transform_config_selectorImLb1EEEZNS1_14transform_implILb1ES3_S5_PmPlNS0_8identityIvEEEE10hipError_tT2_T3_mT4_P12ihipStream_tbEUlT_E_NS1_11comp_targetILNS1_3genE2ELNS1_11target_archE906ELNS1_3gpuE6ELNS1_3repE0EEENS1_30default_config_static_selectorELNS0_4arch9wavefront6targetE1EEEvT1_
		.amdhsa_group_segment_fixed_size 0
		.amdhsa_private_segment_fixed_size 0
		.amdhsa_kernarg_size 40
		.amdhsa_user_sgpr_count 2
		.amdhsa_user_sgpr_dispatch_ptr 0
		.amdhsa_user_sgpr_queue_ptr 0
		.amdhsa_user_sgpr_kernarg_segment_ptr 1
		.amdhsa_user_sgpr_dispatch_id 0
		.amdhsa_user_sgpr_kernarg_preload_length 0
		.amdhsa_user_sgpr_kernarg_preload_offset 0
		.amdhsa_user_sgpr_private_segment_size 0
		.amdhsa_uses_dynamic_stack 0
		.amdhsa_enable_private_segment 0
		.amdhsa_system_sgpr_workgroup_id_x 1
		.amdhsa_system_sgpr_workgroup_id_y 0
		.amdhsa_system_sgpr_workgroup_id_z 0
		.amdhsa_system_sgpr_workgroup_info 0
		.amdhsa_system_vgpr_workitem_id 0
		.amdhsa_next_free_vgpr 1
		.amdhsa_next_free_sgpr 0
		.amdhsa_accum_offset 4
		.amdhsa_reserve_vcc 0
		.amdhsa_float_round_mode_32 0
		.amdhsa_float_round_mode_16_64 0
		.amdhsa_float_denorm_mode_32 3
		.amdhsa_float_denorm_mode_16_64 3
		.amdhsa_dx10_clamp 1
		.amdhsa_ieee_mode 1
		.amdhsa_fp16_overflow 0
		.amdhsa_tg_split 0
		.amdhsa_exception_fp_ieee_invalid_op 0
		.amdhsa_exception_fp_denorm_src 0
		.amdhsa_exception_fp_ieee_div_zero 0
		.amdhsa_exception_fp_ieee_overflow 0
		.amdhsa_exception_fp_ieee_underflow 0
		.amdhsa_exception_fp_ieee_inexact 0
		.amdhsa_exception_int_div_zero 0
	.end_amdhsa_kernel
	.section	.text._ZN7rocprim17ROCPRIM_400000_NS6detail17trampoline_kernelINS0_14default_configENS1_25transform_config_selectorImLb1EEEZNS1_14transform_implILb1ES3_S5_PmPlNS0_8identityIvEEEE10hipError_tT2_T3_mT4_P12ihipStream_tbEUlT_E_NS1_11comp_targetILNS1_3genE2ELNS1_11target_archE906ELNS1_3gpuE6ELNS1_3repE0EEENS1_30default_config_static_selectorELNS0_4arch9wavefront6targetE1EEEvT1_,"axG",@progbits,_ZN7rocprim17ROCPRIM_400000_NS6detail17trampoline_kernelINS0_14default_configENS1_25transform_config_selectorImLb1EEEZNS1_14transform_implILb1ES3_S5_PmPlNS0_8identityIvEEEE10hipError_tT2_T3_mT4_P12ihipStream_tbEUlT_E_NS1_11comp_targetILNS1_3genE2ELNS1_11target_archE906ELNS1_3gpuE6ELNS1_3repE0EEENS1_30default_config_static_selectorELNS0_4arch9wavefront6targetE1EEEvT1_,comdat
.Lfunc_end18:
	.size	_ZN7rocprim17ROCPRIM_400000_NS6detail17trampoline_kernelINS0_14default_configENS1_25transform_config_selectorImLb1EEEZNS1_14transform_implILb1ES3_S5_PmPlNS0_8identityIvEEEE10hipError_tT2_T3_mT4_P12ihipStream_tbEUlT_E_NS1_11comp_targetILNS1_3genE2ELNS1_11target_archE906ELNS1_3gpuE6ELNS1_3repE0EEENS1_30default_config_static_selectorELNS0_4arch9wavefront6targetE1EEEvT1_, .Lfunc_end18-_ZN7rocprim17ROCPRIM_400000_NS6detail17trampoline_kernelINS0_14default_configENS1_25transform_config_selectorImLb1EEEZNS1_14transform_implILb1ES3_S5_PmPlNS0_8identityIvEEEE10hipError_tT2_T3_mT4_P12ihipStream_tbEUlT_E_NS1_11comp_targetILNS1_3genE2ELNS1_11target_archE906ELNS1_3gpuE6ELNS1_3repE0EEENS1_30default_config_static_selectorELNS0_4arch9wavefront6targetE1EEEvT1_
                                        ; -- End function
	.section	.AMDGPU.csdata,"",@progbits
; Kernel info:
; codeLenInByte = 0
; NumSgprs: 6
; NumVgprs: 0
; NumAgprs: 0
; TotalNumVgprs: 0
; ScratchSize: 0
; MemoryBound: 0
; FloatMode: 240
; IeeeMode: 1
; LDSByteSize: 0 bytes/workgroup (compile time only)
; SGPRBlocks: 0
; VGPRBlocks: 0
; NumSGPRsForWavesPerEU: 6
; NumVGPRsForWavesPerEU: 1
; AccumOffset: 4
; Occupancy: 8
; WaveLimiterHint : 0
; COMPUTE_PGM_RSRC2:SCRATCH_EN: 0
; COMPUTE_PGM_RSRC2:USER_SGPR: 2
; COMPUTE_PGM_RSRC2:TRAP_HANDLER: 0
; COMPUTE_PGM_RSRC2:TGID_X_EN: 1
; COMPUTE_PGM_RSRC2:TGID_Y_EN: 0
; COMPUTE_PGM_RSRC2:TGID_Z_EN: 0
; COMPUTE_PGM_RSRC2:TIDIG_COMP_CNT: 0
; COMPUTE_PGM_RSRC3_GFX90A:ACCUM_OFFSET: 0
; COMPUTE_PGM_RSRC3_GFX90A:TG_SPLIT: 0
	.section	.text._ZN7rocprim17ROCPRIM_400000_NS6detail17trampoline_kernelINS0_14default_configENS1_25transform_config_selectorImLb1EEEZNS1_14transform_implILb1ES3_S5_PmPlNS0_8identityIvEEEE10hipError_tT2_T3_mT4_P12ihipStream_tbEUlT_E_NS1_11comp_targetILNS1_3genE9ELNS1_11target_archE1100ELNS1_3gpuE3ELNS1_3repE0EEENS1_30default_config_static_selectorELNS0_4arch9wavefront6targetE1EEEvT1_,"axG",@progbits,_ZN7rocprim17ROCPRIM_400000_NS6detail17trampoline_kernelINS0_14default_configENS1_25transform_config_selectorImLb1EEEZNS1_14transform_implILb1ES3_S5_PmPlNS0_8identityIvEEEE10hipError_tT2_T3_mT4_P12ihipStream_tbEUlT_E_NS1_11comp_targetILNS1_3genE9ELNS1_11target_archE1100ELNS1_3gpuE3ELNS1_3repE0EEENS1_30default_config_static_selectorELNS0_4arch9wavefront6targetE1EEEvT1_,comdat
	.protected	_ZN7rocprim17ROCPRIM_400000_NS6detail17trampoline_kernelINS0_14default_configENS1_25transform_config_selectorImLb1EEEZNS1_14transform_implILb1ES3_S5_PmPlNS0_8identityIvEEEE10hipError_tT2_T3_mT4_P12ihipStream_tbEUlT_E_NS1_11comp_targetILNS1_3genE9ELNS1_11target_archE1100ELNS1_3gpuE3ELNS1_3repE0EEENS1_30default_config_static_selectorELNS0_4arch9wavefront6targetE1EEEvT1_ ; -- Begin function _ZN7rocprim17ROCPRIM_400000_NS6detail17trampoline_kernelINS0_14default_configENS1_25transform_config_selectorImLb1EEEZNS1_14transform_implILb1ES3_S5_PmPlNS0_8identityIvEEEE10hipError_tT2_T3_mT4_P12ihipStream_tbEUlT_E_NS1_11comp_targetILNS1_3genE9ELNS1_11target_archE1100ELNS1_3gpuE3ELNS1_3repE0EEENS1_30default_config_static_selectorELNS0_4arch9wavefront6targetE1EEEvT1_
	.globl	_ZN7rocprim17ROCPRIM_400000_NS6detail17trampoline_kernelINS0_14default_configENS1_25transform_config_selectorImLb1EEEZNS1_14transform_implILb1ES3_S5_PmPlNS0_8identityIvEEEE10hipError_tT2_T3_mT4_P12ihipStream_tbEUlT_E_NS1_11comp_targetILNS1_3genE9ELNS1_11target_archE1100ELNS1_3gpuE3ELNS1_3repE0EEENS1_30default_config_static_selectorELNS0_4arch9wavefront6targetE1EEEvT1_
	.p2align	8
	.type	_ZN7rocprim17ROCPRIM_400000_NS6detail17trampoline_kernelINS0_14default_configENS1_25transform_config_selectorImLb1EEEZNS1_14transform_implILb1ES3_S5_PmPlNS0_8identityIvEEEE10hipError_tT2_T3_mT4_P12ihipStream_tbEUlT_E_NS1_11comp_targetILNS1_3genE9ELNS1_11target_archE1100ELNS1_3gpuE3ELNS1_3repE0EEENS1_30default_config_static_selectorELNS0_4arch9wavefront6targetE1EEEvT1_,@function
_ZN7rocprim17ROCPRIM_400000_NS6detail17trampoline_kernelINS0_14default_configENS1_25transform_config_selectorImLb1EEEZNS1_14transform_implILb1ES3_S5_PmPlNS0_8identityIvEEEE10hipError_tT2_T3_mT4_P12ihipStream_tbEUlT_E_NS1_11comp_targetILNS1_3genE9ELNS1_11target_archE1100ELNS1_3gpuE3ELNS1_3repE0EEENS1_30default_config_static_selectorELNS0_4arch9wavefront6targetE1EEEvT1_: ; @_ZN7rocprim17ROCPRIM_400000_NS6detail17trampoline_kernelINS0_14default_configENS1_25transform_config_selectorImLb1EEEZNS1_14transform_implILb1ES3_S5_PmPlNS0_8identityIvEEEE10hipError_tT2_T3_mT4_P12ihipStream_tbEUlT_E_NS1_11comp_targetILNS1_3genE9ELNS1_11target_archE1100ELNS1_3gpuE3ELNS1_3repE0EEENS1_30default_config_static_selectorELNS0_4arch9wavefront6targetE1EEEvT1_
; %bb.0:
	.section	.rodata,"a",@progbits
	.p2align	6, 0x0
	.amdhsa_kernel _ZN7rocprim17ROCPRIM_400000_NS6detail17trampoline_kernelINS0_14default_configENS1_25transform_config_selectorImLb1EEEZNS1_14transform_implILb1ES3_S5_PmPlNS0_8identityIvEEEE10hipError_tT2_T3_mT4_P12ihipStream_tbEUlT_E_NS1_11comp_targetILNS1_3genE9ELNS1_11target_archE1100ELNS1_3gpuE3ELNS1_3repE0EEENS1_30default_config_static_selectorELNS0_4arch9wavefront6targetE1EEEvT1_
		.amdhsa_group_segment_fixed_size 0
		.amdhsa_private_segment_fixed_size 0
		.amdhsa_kernarg_size 40
		.amdhsa_user_sgpr_count 2
		.amdhsa_user_sgpr_dispatch_ptr 0
		.amdhsa_user_sgpr_queue_ptr 0
		.amdhsa_user_sgpr_kernarg_segment_ptr 1
		.amdhsa_user_sgpr_dispatch_id 0
		.amdhsa_user_sgpr_kernarg_preload_length 0
		.amdhsa_user_sgpr_kernarg_preload_offset 0
		.amdhsa_user_sgpr_private_segment_size 0
		.amdhsa_uses_dynamic_stack 0
		.amdhsa_enable_private_segment 0
		.amdhsa_system_sgpr_workgroup_id_x 1
		.amdhsa_system_sgpr_workgroup_id_y 0
		.amdhsa_system_sgpr_workgroup_id_z 0
		.amdhsa_system_sgpr_workgroup_info 0
		.amdhsa_system_vgpr_workitem_id 0
		.amdhsa_next_free_vgpr 1
		.amdhsa_next_free_sgpr 0
		.amdhsa_accum_offset 4
		.amdhsa_reserve_vcc 0
		.amdhsa_float_round_mode_32 0
		.amdhsa_float_round_mode_16_64 0
		.amdhsa_float_denorm_mode_32 3
		.amdhsa_float_denorm_mode_16_64 3
		.amdhsa_dx10_clamp 1
		.amdhsa_ieee_mode 1
		.amdhsa_fp16_overflow 0
		.amdhsa_tg_split 0
		.amdhsa_exception_fp_ieee_invalid_op 0
		.amdhsa_exception_fp_denorm_src 0
		.amdhsa_exception_fp_ieee_div_zero 0
		.amdhsa_exception_fp_ieee_overflow 0
		.amdhsa_exception_fp_ieee_underflow 0
		.amdhsa_exception_fp_ieee_inexact 0
		.amdhsa_exception_int_div_zero 0
	.end_amdhsa_kernel
	.section	.text._ZN7rocprim17ROCPRIM_400000_NS6detail17trampoline_kernelINS0_14default_configENS1_25transform_config_selectorImLb1EEEZNS1_14transform_implILb1ES3_S5_PmPlNS0_8identityIvEEEE10hipError_tT2_T3_mT4_P12ihipStream_tbEUlT_E_NS1_11comp_targetILNS1_3genE9ELNS1_11target_archE1100ELNS1_3gpuE3ELNS1_3repE0EEENS1_30default_config_static_selectorELNS0_4arch9wavefront6targetE1EEEvT1_,"axG",@progbits,_ZN7rocprim17ROCPRIM_400000_NS6detail17trampoline_kernelINS0_14default_configENS1_25transform_config_selectorImLb1EEEZNS1_14transform_implILb1ES3_S5_PmPlNS0_8identityIvEEEE10hipError_tT2_T3_mT4_P12ihipStream_tbEUlT_E_NS1_11comp_targetILNS1_3genE9ELNS1_11target_archE1100ELNS1_3gpuE3ELNS1_3repE0EEENS1_30default_config_static_selectorELNS0_4arch9wavefront6targetE1EEEvT1_,comdat
.Lfunc_end19:
	.size	_ZN7rocprim17ROCPRIM_400000_NS6detail17trampoline_kernelINS0_14default_configENS1_25transform_config_selectorImLb1EEEZNS1_14transform_implILb1ES3_S5_PmPlNS0_8identityIvEEEE10hipError_tT2_T3_mT4_P12ihipStream_tbEUlT_E_NS1_11comp_targetILNS1_3genE9ELNS1_11target_archE1100ELNS1_3gpuE3ELNS1_3repE0EEENS1_30default_config_static_selectorELNS0_4arch9wavefront6targetE1EEEvT1_, .Lfunc_end19-_ZN7rocprim17ROCPRIM_400000_NS6detail17trampoline_kernelINS0_14default_configENS1_25transform_config_selectorImLb1EEEZNS1_14transform_implILb1ES3_S5_PmPlNS0_8identityIvEEEE10hipError_tT2_T3_mT4_P12ihipStream_tbEUlT_E_NS1_11comp_targetILNS1_3genE9ELNS1_11target_archE1100ELNS1_3gpuE3ELNS1_3repE0EEENS1_30default_config_static_selectorELNS0_4arch9wavefront6targetE1EEEvT1_
                                        ; -- End function
	.section	.AMDGPU.csdata,"",@progbits
; Kernel info:
; codeLenInByte = 0
; NumSgprs: 6
; NumVgprs: 0
; NumAgprs: 0
; TotalNumVgprs: 0
; ScratchSize: 0
; MemoryBound: 0
; FloatMode: 240
; IeeeMode: 1
; LDSByteSize: 0 bytes/workgroup (compile time only)
; SGPRBlocks: 0
; VGPRBlocks: 0
; NumSGPRsForWavesPerEU: 6
; NumVGPRsForWavesPerEU: 1
; AccumOffset: 4
; Occupancy: 8
; WaveLimiterHint : 0
; COMPUTE_PGM_RSRC2:SCRATCH_EN: 0
; COMPUTE_PGM_RSRC2:USER_SGPR: 2
; COMPUTE_PGM_RSRC2:TRAP_HANDLER: 0
; COMPUTE_PGM_RSRC2:TGID_X_EN: 1
; COMPUTE_PGM_RSRC2:TGID_Y_EN: 0
; COMPUTE_PGM_RSRC2:TGID_Z_EN: 0
; COMPUTE_PGM_RSRC2:TIDIG_COMP_CNT: 0
; COMPUTE_PGM_RSRC3_GFX90A:ACCUM_OFFSET: 0
; COMPUTE_PGM_RSRC3_GFX90A:TG_SPLIT: 0
	.section	.text._ZN7rocprim17ROCPRIM_400000_NS6detail17trampoline_kernelINS0_14default_configENS1_25transform_config_selectorImLb1EEEZNS1_14transform_implILb1ES3_S5_PmPlNS0_8identityIvEEEE10hipError_tT2_T3_mT4_P12ihipStream_tbEUlT_E_NS1_11comp_targetILNS1_3genE8ELNS1_11target_archE1030ELNS1_3gpuE2ELNS1_3repE0EEENS1_30default_config_static_selectorELNS0_4arch9wavefront6targetE1EEEvT1_,"axG",@progbits,_ZN7rocprim17ROCPRIM_400000_NS6detail17trampoline_kernelINS0_14default_configENS1_25transform_config_selectorImLb1EEEZNS1_14transform_implILb1ES3_S5_PmPlNS0_8identityIvEEEE10hipError_tT2_T3_mT4_P12ihipStream_tbEUlT_E_NS1_11comp_targetILNS1_3genE8ELNS1_11target_archE1030ELNS1_3gpuE2ELNS1_3repE0EEENS1_30default_config_static_selectorELNS0_4arch9wavefront6targetE1EEEvT1_,comdat
	.protected	_ZN7rocprim17ROCPRIM_400000_NS6detail17trampoline_kernelINS0_14default_configENS1_25transform_config_selectorImLb1EEEZNS1_14transform_implILb1ES3_S5_PmPlNS0_8identityIvEEEE10hipError_tT2_T3_mT4_P12ihipStream_tbEUlT_E_NS1_11comp_targetILNS1_3genE8ELNS1_11target_archE1030ELNS1_3gpuE2ELNS1_3repE0EEENS1_30default_config_static_selectorELNS0_4arch9wavefront6targetE1EEEvT1_ ; -- Begin function _ZN7rocprim17ROCPRIM_400000_NS6detail17trampoline_kernelINS0_14default_configENS1_25transform_config_selectorImLb1EEEZNS1_14transform_implILb1ES3_S5_PmPlNS0_8identityIvEEEE10hipError_tT2_T3_mT4_P12ihipStream_tbEUlT_E_NS1_11comp_targetILNS1_3genE8ELNS1_11target_archE1030ELNS1_3gpuE2ELNS1_3repE0EEENS1_30default_config_static_selectorELNS0_4arch9wavefront6targetE1EEEvT1_
	.globl	_ZN7rocprim17ROCPRIM_400000_NS6detail17trampoline_kernelINS0_14default_configENS1_25transform_config_selectorImLb1EEEZNS1_14transform_implILb1ES3_S5_PmPlNS0_8identityIvEEEE10hipError_tT2_T3_mT4_P12ihipStream_tbEUlT_E_NS1_11comp_targetILNS1_3genE8ELNS1_11target_archE1030ELNS1_3gpuE2ELNS1_3repE0EEENS1_30default_config_static_selectorELNS0_4arch9wavefront6targetE1EEEvT1_
	.p2align	8
	.type	_ZN7rocprim17ROCPRIM_400000_NS6detail17trampoline_kernelINS0_14default_configENS1_25transform_config_selectorImLb1EEEZNS1_14transform_implILb1ES3_S5_PmPlNS0_8identityIvEEEE10hipError_tT2_T3_mT4_P12ihipStream_tbEUlT_E_NS1_11comp_targetILNS1_3genE8ELNS1_11target_archE1030ELNS1_3gpuE2ELNS1_3repE0EEENS1_30default_config_static_selectorELNS0_4arch9wavefront6targetE1EEEvT1_,@function
_ZN7rocprim17ROCPRIM_400000_NS6detail17trampoline_kernelINS0_14default_configENS1_25transform_config_selectorImLb1EEEZNS1_14transform_implILb1ES3_S5_PmPlNS0_8identityIvEEEE10hipError_tT2_T3_mT4_P12ihipStream_tbEUlT_E_NS1_11comp_targetILNS1_3genE8ELNS1_11target_archE1030ELNS1_3gpuE2ELNS1_3repE0EEENS1_30default_config_static_selectorELNS0_4arch9wavefront6targetE1EEEvT1_: ; @_ZN7rocprim17ROCPRIM_400000_NS6detail17trampoline_kernelINS0_14default_configENS1_25transform_config_selectorImLb1EEEZNS1_14transform_implILb1ES3_S5_PmPlNS0_8identityIvEEEE10hipError_tT2_T3_mT4_P12ihipStream_tbEUlT_E_NS1_11comp_targetILNS1_3genE8ELNS1_11target_archE1030ELNS1_3gpuE2ELNS1_3repE0EEENS1_30default_config_static_selectorELNS0_4arch9wavefront6targetE1EEEvT1_
; %bb.0:
	.section	.rodata,"a",@progbits
	.p2align	6, 0x0
	.amdhsa_kernel _ZN7rocprim17ROCPRIM_400000_NS6detail17trampoline_kernelINS0_14default_configENS1_25transform_config_selectorImLb1EEEZNS1_14transform_implILb1ES3_S5_PmPlNS0_8identityIvEEEE10hipError_tT2_T3_mT4_P12ihipStream_tbEUlT_E_NS1_11comp_targetILNS1_3genE8ELNS1_11target_archE1030ELNS1_3gpuE2ELNS1_3repE0EEENS1_30default_config_static_selectorELNS0_4arch9wavefront6targetE1EEEvT1_
		.amdhsa_group_segment_fixed_size 0
		.amdhsa_private_segment_fixed_size 0
		.amdhsa_kernarg_size 40
		.amdhsa_user_sgpr_count 2
		.amdhsa_user_sgpr_dispatch_ptr 0
		.amdhsa_user_sgpr_queue_ptr 0
		.amdhsa_user_sgpr_kernarg_segment_ptr 1
		.amdhsa_user_sgpr_dispatch_id 0
		.amdhsa_user_sgpr_kernarg_preload_length 0
		.amdhsa_user_sgpr_kernarg_preload_offset 0
		.amdhsa_user_sgpr_private_segment_size 0
		.amdhsa_uses_dynamic_stack 0
		.amdhsa_enable_private_segment 0
		.amdhsa_system_sgpr_workgroup_id_x 1
		.amdhsa_system_sgpr_workgroup_id_y 0
		.amdhsa_system_sgpr_workgroup_id_z 0
		.amdhsa_system_sgpr_workgroup_info 0
		.amdhsa_system_vgpr_workitem_id 0
		.amdhsa_next_free_vgpr 1
		.amdhsa_next_free_sgpr 0
		.amdhsa_accum_offset 4
		.amdhsa_reserve_vcc 0
		.amdhsa_float_round_mode_32 0
		.amdhsa_float_round_mode_16_64 0
		.amdhsa_float_denorm_mode_32 3
		.amdhsa_float_denorm_mode_16_64 3
		.amdhsa_dx10_clamp 1
		.amdhsa_ieee_mode 1
		.amdhsa_fp16_overflow 0
		.amdhsa_tg_split 0
		.amdhsa_exception_fp_ieee_invalid_op 0
		.amdhsa_exception_fp_denorm_src 0
		.amdhsa_exception_fp_ieee_div_zero 0
		.amdhsa_exception_fp_ieee_overflow 0
		.amdhsa_exception_fp_ieee_underflow 0
		.amdhsa_exception_fp_ieee_inexact 0
		.amdhsa_exception_int_div_zero 0
	.end_amdhsa_kernel
	.section	.text._ZN7rocprim17ROCPRIM_400000_NS6detail17trampoline_kernelINS0_14default_configENS1_25transform_config_selectorImLb1EEEZNS1_14transform_implILb1ES3_S5_PmPlNS0_8identityIvEEEE10hipError_tT2_T3_mT4_P12ihipStream_tbEUlT_E_NS1_11comp_targetILNS1_3genE8ELNS1_11target_archE1030ELNS1_3gpuE2ELNS1_3repE0EEENS1_30default_config_static_selectorELNS0_4arch9wavefront6targetE1EEEvT1_,"axG",@progbits,_ZN7rocprim17ROCPRIM_400000_NS6detail17trampoline_kernelINS0_14default_configENS1_25transform_config_selectorImLb1EEEZNS1_14transform_implILb1ES3_S5_PmPlNS0_8identityIvEEEE10hipError_tT2_T3_mT4_P12ihipStream_tbEUlT_E_NS1_11comp_targetILNS1_3genE8ELNS1_11target_archE1030ELNS1_3gpuE2ELNS1_3repE0EEENS1_30default_config_static_selectorELNS0_4arch9wavefront6targetE1EEEvT1_,comdat
.Lfunc_end20:
	.size	_ZN7rocprim17ROCPRIM_400000_NS6detail17trampoline_kernelINS0_14default_configENS1_25transform_config_selectorImLb1EEEZNS1_14transform_implILb1ES3_S5_PmPlNS0_8identityIvEEEE10hipError_tT2_T3_mT4_P12ihipStream_tbEUlT_E_NS1_11comp_targetILNS1_3genE8ELNS1_11target_archE1030ELNS1_3gpuE2ELNS1_3repE0EEENS1_30default_config_static_selectorELNS0_4arch9wavefront6targetE1EEEvT1_, .Lfunc_end20-_ZN7rocprim17ROCPRIM_400000_NS6detail17trampoline_kernelINS0_14default_configENS1_25transform_config_selectorImLb1EEEZNS1_14transform_implILb1ES3_S5_PmPlNS0_8identityIvEEEE10hipError_tT2_T3_mT4_P12ihipStream_tbEUlT_E_NS1_11comp_targetILNS1_3genE8ELNS1_11target_archE1030ELNS1_3gpuE2ELNS1_3repE0EEENS1_30default_config_static_selectorELNS0_4arch9wavefront6targetE1EEEvT1_
                                        ; -- End function
	.section	.AMDGPU.csdata,"",@progbits
; Kernel info:
; codeLenInByte = 0
; NumSgprs: 6
; NumVgprs: 0
; NumAgprs: 0
; TotalNumVgprs: 0
; ScratchSize: 0
; MemoryBound: 0
; FloatMode: 240
; IeeeMode: 1
; LDSByteSize: 0 bytes/workgroup (compile time only)
; SGPRBlocks: 0
; VGPRBlocks: 0
; NumSGPRsForWavesPerEU: 6
; NumVGPRsForWavesPerEU: 1
; AccumOffset: 4
; Occupancy: 8
; WaveLimiterHint : 0
; COMPUTE_PGM_RSRC2:SCRATCH_EN: 0
; COMPUTE_PGM_RSRC2:USER_SGPR: 2
; COMPUTE_PGM_RSRC2:TRAP_HANDLER: 0
; COMPUTE_PGM_RSRC2:TGID_X_EN: 1
; COMPUTE_PGM_RSRC2:TGID_Y_EN: 0
; COMPUTE_PGM_RSRC2:TGID_Z_EN: 0
; COMPUTE_PGM_RSRC2:TIDIG_COMP_CNT: 0
; COMPUTE_PGM_RSRC3_GFX90A:ACCUM_OFFSET: 0
; COMPUTE_PGM_RSRC3_GFX90A:TG_SPLIT: 0
	.section	.text._ZN7rocprim17ROCPRIM_400000_NS6detail31init_lookback_scan_state_kernelINS1_19lookback_scan_stateIjLb1ELb1EEENS1_16block_id_wrapperIjLb1EEEEEvT_jT0_jPNS7_10value_typeE,"axG",@progbits,_ZN7rocprim17ROCPRIM_400000_NS6detail31init_lookback_scan_state_kernelINS1_19lookback_scan_stateIjLb1ELb1EEENS1_16block_id_wrapperIjLb1EEEEEvT_jT0_jPNS7_10value_typeE,comdat
	.protected	_ZN7rocprim17ROCPRIM_400000_NS6detail31init_lookback_scan_state_kernelINS1_19lookback_scan_stateIjLb1ELb1EEENS1_16block_id_wrapperIjLb1EEEEEvT_jT0_jPNS7_10value_typeE ; -- Begin function _ZN7rocprim17ROCPRIM_400000_NS6detail31init_lookback_scan_state_kernelINS1_19lookback_scan_stateIjLb1ELb1EEENS1_16block_id_wrapperIjLb1EEEEEvT_jT0_jPNS7_10value_typeE
	.globl	_ZN7rocprim17ROCPRIM_400000_NS6detail31init_lookback_scan_state_kernelINS1_19lookback_scan_stateIjLb1ELb1EEENS1_16block_id_wrapperIjLb1EEEEEvT_jT0_jPNS7_10value_typeE
	.p2align	8
	.type	_ZN7rocprim17ROCPRIM_400000_NS6detail31init_lookback_scan_state_kernelINS1_19lookback_scan_stateIjLb1ELb1EEENS1_16block_id_wrapperIjLb1EEEEEvT_jT0_jPNS7_10value_typeE,@function
_ZN7rocprim17ROCPRIM_400000_NS6detail31init_lookback_scan_state_kernelINS1_19lookback_scan_stateIjLb1ELb1EEENS1_16block_id_wrapperIjLb1EEEEEvT_jT0_jPNS7_10value_typeE: ; @_ZN7rocprim17ROCPRIM_400000_NS6detail31init_lookback_scan_state_kernelINS1_19lookback_scan_stateIjLb1ELb1EEENS1_16block_id_wrapperIjLb1EEEEEvT_jT0_jPNS7_10value_typeE
; %bb.0:
	s_load_dword s3, s[0:1], 0x34
	s_load_dwordx2 s[6:7], s[0:1], 0x20
	s_load_dwordx2 s[4:5], s[0:1], 0x0
	s_load_dword s10, s[0:1], 0x8
	s_waitcnt lgkmcnt(0)
	s_and_b32 s3, s3, 0xffff
	s_mul_i32 s2, s2, s3
	s_cmp_eq_u64 s[6:7], 0
	v_add_u32_e32 v0, s2, v0
	s_cbranch_scc1 .LBB21_9
; %bb.1:
	s_load_dword s8, s[0:1], 0x18
	s_mov_b32 s9, 0
	s_waitcnt lgkmcnt(0)
	s_cmp_lt_u32 s8, s10
	s_cselect_b32 s2, s8, 0
	v_cmp_eq_u32_e32 vcc, s2, v0
	s_and_saveexec_b64 s[2:3], vcc
	s_cbranch_execz .LBB21_8
; %bb.2:
	s_add_i32 s8, s8, 64
	s_lshl_b64 s[8:9], s[8:9], 3
	s_add_u32 s8, s4, s8
	s_addc_u32 s9, s5, s9
	v_mov_b32_e32 v2, 0
	global_load_dwordx2 v[4:5], v2, s[8:9] sc1
	s_waitcnt vmcnt(0)
	v_and_b32_e32 v3, 0xff, v5
	v_cmp_ne_u64_e32 vcc, 0, v[2:3]
	s_cbranch_vccnz .LBB21_7
; %bb.3:
	s_mov_b32 s11, 1
.LBB21_4:                               ; =>This Loop Header: Depth=1
                                        ;     Child Loop BB21_5 Depth 2
	s_max_u32 s12, s11, 1
.LBB21_5:                               ;   Parent Loop BB21_4 Depth=1
                                        ; =>  This Inner Loop Header: Depth=2
	s_add_i32 s12, s12, -1
	s_cmp_eq_u32 s12, 0
	s_sleep 1
	s_cbranch_scc0 .LBB21_5
; %bb.6:                                ;   in Loop: Header=BB21_4 Depth=1
	global_load_dwordx2 v[4:5], v2, s[8:9] sc1
	s_cmp_lt_u32 s11, 32
	s_cselect_b64 s[12:13], -1, 0
	s_cmp_lg_u64 s[12:13], 0
	s_addc_u32 s11, s11, 0
	s_waitcnt vmcnt(0)
	v_and_b32_e32 v3, 0xff, v5
	v_cmp_ne_u64_e32 vcc, 0, v[2:3]
	s_cbranch_vccz .LBB21_4
.LBB21_7:
	v_mov_b32_e32 v1, 0
	global_store_dword v1, v4, s[6:7]
.LBB21_8:
	s_or_b64 exec, exec, s[2:3]
.LBB21_9:
	v_cmp_eq_u32_e32 vcc, 0, v0
	s_and_saveexec_b64 s[2:3], vcc
	s_cbranch_execnz .LBB21_13
; %bb.10:
	s_or_b64 exec, exec, s[2:3]
	v_cmp_gt_u32_e32 vcc, s10, v0
	s_and_saveexec_b64 s[0:1], vcc
	s_cbranch_execnz .LBB21_14
.LBB21_11:
	s_or_b64 exec, exec, s[0:1]
	v_cmp_gt_u32_e32 vcc, 64, v0
	s_and_saveexec_b64 s[0:1], vcc
	s_cbranch_execnz .LBB21_15
.LBB21_12:
	s_endpgm
.LBB21_13:
	s_load_dwordx2 s[0:1], s[0:1], 0x10
	v_mov_b32_e32 v1, 0
	s_waitcnt lgkmcnt(0)
	global_store_dword v1, v1, s[0:1]
	s_or_b64 exec, exec, s[2:3]
	v_cmp_gt_u32_e32 vcc, s10, v0
	s_and_saveexec_b64 s[0:1], vcc
	s_cbranch_execz .LBB21_11
.LBB21_14:
	v_add_u32_e32 v2, 64, v0
	v_mov_b32_e32 v3, 0
	v_lshl_add_u64 v[4:5], v[2:3], 3, s[4:5]
	v_mov_b32_e32 v2, v3
	global_store_dwordx2 v[4:5], v[2:3], off
	s_or_b64 exec, exec, s[0:1]
	v_cmp_gt_u32_e32 vcc, 64, v0
	s_and_saveexec_b64 s[0:1], vcc
	s_cbranch_execz .LBB21_12
.LBB21_15:
	v_mov_b32_e32 v1, 0
	v_lshl_add_u64 v[2:3], v[0:1], 3, s[4:5]
	v_mov_b32_e32 v5, 0xff
	v_mov_b32_e32 v4, v1
	global_store_dwordx2 v[2:3], v[4:5], off
	s_endpgm
	.section	.rodata,"a",@progbits
	.p2align	6, 0x0
	.amdhsa_kernel _ZN7rocprim17ROCPRIM_400000_NS6detail31init_lookback_scan_state_kernelINS1_19lookback_scan_stateIjLb1ELb1EEENS1_16block_id_wrapperIjLb1EEEEEvT_jT0_jPNS7_10value_typeE
		.amdhsa_group_segment_fixed_size 0
		.amdhsa_private_segment_fixed_size 0
		.amdhsa_kernarg_size 296
		.amdhsa_user_sgpr_count 2
		.amdhsa_user_sgpr_dispatch_ptr 0
		.amdhsa_user_sgpr_queue_ptr 0
		.amdhsa_user_sgpr_kernarg_segment_ptr 1
		.amdhsa_user_sgpr_dispatch_id 0
		.amdhsa_user_sgpr_kernarg_preload_length 0
		.amdhsa_user_sgpr_kernarg_preload_offset 0
		.amdhsa_user_sgpr_private_segment_size 0
		.amdhsa_uses_dynamic_stack 0
		.amdhsa_enable_private_segment 0
		.amdhsa_system_sgpr_workgroup_id_x 1
		.amdhsa_system_sgpr_workgroup_id_y 0
		.amdhsa_system_sgpr_workgroup_id_z 0
		.amdhsa_system_sgpr_workgroup_info 0
		.amdhsa_system_vgpr_workitem_id 0
		.amdhsa_next_free_vgpr 6
		.amdhsa_next_free_sgpr 14
		.amdhsa_accum_offset 8
		.amdhsa_reserve_vcc 1
		.amdhsa_float_round_mode_32 0
		.amdhsa_float_round_mode_16_64 0
		.amdhsa_float_denorm_mode_32 3
		.amdhsa_float_denorm_mode_16_64 3
		.amdhsa_dx10_clamp 1
		.amdhsa_ieee_mode 1
		.amdhsa_fp16_overflow 0
		.amdhsa_tg_split 0
		.amdhsa_exception_fp_ieee_invalid_op 0
		.amdhsa_exception_fp_denorm_src 0
		.amdhsa_exception_fp_ieee_div_zero 0
		.amdhsa_exception_fp_ieee_overflow 0
		.amdhsa_exception_fp_ieee_underflow 0
		.amdhsa_exception_fp_ieee_inexact 0
		.amdhsa_exception_int_div_zero 0
	.end_amdhsa_kernel
	.section	.text._ZN7rocprim17ROCPRIM_400000_NS6detail31init_lookback_scan_state_kernelINS1_19lookback_scan_stateIjLb1ELb1EEENS1_16block_id_wrapperIjLb1EEEEEvT_jT0_jPNS7_10value_typeE,"axG",@progbits,_ZN7rocprim17ROCPRIM_400000_NS6detail31init_lookback_scan_state_kernelINS1_19lookback_scan_stateIjLb1ELb1EEENS1_16block_id_wrapperIjLb1EEEEEvT_jT0_jPNS7_10value_typeE,comdat
.Lfunc_end21:
	.size	_ZN7rocprim17ROCPRIM_400000_NS6detail31init_lookback_scan_state_kernelINS1_19lookback_scan_stateIjLb1ELb1EEENS1_16block_id_wrapperIjLb1EEEEEvT_jT0_jPNS7_10value_typeE, .Lfunc_end21-_ZN7rocprim17ROCPRIM_400000_NS6detail31init_lookback_scan_state_kernelINS1_19lookback_scan_stateIjLb1ELb1EEENS1_16block_id_wrapperIjLb1EEEEEvT_jT0_jPNS7_10value_typeE
                                        ; -- End function
	.section	.AMDGPU.csdata,"",@progbits
; Kernel info:
; codeLenInByte = 396
; NumSgprs: 20
; NumVgprs: 6
; NumAgprs: 0
; TotalNumVgprs: 6
; ScratchSize: 0
; MemoryBound: 0
; FloatMode: 240
; IeeeMode: 1
; LDSByteSize: 0 bytes/workgroup (compile time only)
; SGPRBlocks: 2
; VGPRBlocks: 0
; NumSGPRsForWavesPerEU: 20
; NumVGPRsForWavesPerEU: 6
; AccumOffset: 8
; Occupancy: 8
; WaveLimiterHint : 0
; COMPUTE_PGM_RSRC2:SCRATCH_EN: 0
; COMPUTE_PGM_RSRC2:USER_SGPR: 2
; COMPUTE_PGM_RSRC2:TRAP_HANDLER: 0
; COMPUTE_PGM_RSRC2:TGID_X_EN: 1
; COMPUTE_PGM_RSRC2:TGID_Y_EN: 0
; COMPUTE_PGM_RSRC2:TGID_Z_EN: 0
; COMPUTE_PGM_RSRC2:TIDIG_COMP_CNT: 0
; COMPUTE_PGM_RSRC3_GFX90A:ACCUM_OFFSET: 1
; COMPUTE_PGM_RSRC3_GFX90A:TG_SPLIT: 0
	.section	.text._ZN7rocprim17ROCPRIM_400000_NS6detail17trampoline_kernelINS0_14default_configENS1_25partition_config_selectorILNS1_17partition_subalgoE3ExNS0_10empty_typeEbEEZZNS1_14partition_implILS5_3ELb0ES3_jN6thrust23THRUST_200600_302600_NS6detail15normal_iteratorINSA_7pointerIxNSA_11hip_rocprim3tagENSA_11use_defaultESG_EEEEPS6_SJ_NS0_5tupleIJPxSJ_EEENSK_IJSJ_SJ_EEES6_PlJ7is_evenIxEEEE10hipError_tPvRmT3_T4_T5_T6_T7_T9_mT8_P12ihipStream_tbDpT10_ENKUlT_T0_E_clISt17integral_constantIbLb1EES1A_EEDaS15_S16_EUlS15_E_NS1_11comp_targetILNS1_3genE0ELNS1_11target_archE4294967295ELNS1_3gpuE0ELNS1_3repE0EEENS1_30default_config_static_selectorELNS0_4arch9wavefront6targetE1EEEvT1_,"axG",@progbits,_ZN7rocprim17ROCPRIM_400000_NS6detail17trampoline_kernelINS0_14default_configENS1_25partition_config_selectorILNS1_17partition_subalgoE3ExNS0_10empty_typeEbEEZZNS1_14partition_implILS5_3ELb0ES3_jN6thrust23THRUST_200600_302600_NS6detail15normal_iteratorINSA_7pointerIxNSA_11hip_rocprim3tagENSA_11use_defaultESG_EEEEPS6_SJ_NS0_5tupleIJPxSJ_EEENSK_IJSJ_SJ_EEES6_PlJ7is_evenIxEEEE10hipError_tPvRmT3_T4_T5_T6_T7_T9_mT8_P12ihipStream_tbDpT10_ENKUlT_T0_E_clISt17integral_constantIbLb1EES1A_EEDaS15_S16_EUlS15_E_NS1_11comp_targetILNS1_3genE0ELNS1_11target_archE4294967295ELNS1_3gpuE0ELNS1_3repE0EEENS1_30default_config_static_selectorELNS0_4arch9wavefront6targetE1EEEvT1_,comdat
	.protected	_ZN7rocprim17ROCPRIM_400000_NS6detail17trampoline_kernelINS0_14default_configENS1_25partition_config_selectorILNS1_17partition_subalgoE3ExNS0_10empty_typeEbEEZZNS1_14partition_implILS5_3ELb0ES3_jN6thrust23THRUST_200600_302600_NS6detail15normal_iteratorINSA_7pointerIxNSA_11hip_rocprim3tagENSA_11use_defaultESG_EEEEPS6_SJ_NS0_5tupleIJPxSJ_EEENSK_IJSJ_SJ_EEES6_PlJ7is_evenIxEEEE10hipError_tPvRmT3_T4_T5_T6_T7_T9_mT8_P12ihipStream_tbDpT10_ENKUlT_T0_E_clISt17integral_constantIbLb1EES1A_EEDaS15_S16_EUlS15_E_NS1_11comp_targetILNS1_3genE0ELNS1_11target_archE4294967295ELNS1_3gpuE0ELNS1_3repE0EEENS1_30default_config_static_selectorELNS0_4arch9wavefront6targetE1EEEvT1_ ; -- Begin function _ZN7rocprim17ROCPRIM_400000_NS6detail17trampoline_kernelINS0_14default_configENS1_25partition_config_selectorILNS1_17partition_subalgoE3ExNS0_10empty_typeEbEEZZNS1_14partition_implILS5_3ELb0ES3_jN6thrust23THRUST_200600_302600_NS6detail15normal_iteratorINSA_7pointerIxNSA_11hip_rocprim3tagENSA_11use_defaultESG_EEEEPS6_SJ_NS0_5tupleIJPxSJ_EEENSK_IJSJ_SJ_EEES6_PlJ7is_evenIxEEEE10hipError_tPvRmT3_T4_T5_T6_T7_T9_mT8_P12ihipStream_tbDpT10_ENKUlT_T0_E_clISt17integral_constantIbLb1EES1A_EEDaS15_S16_EUlS15_E_NS1_11comp_targetILNS1_3genE0ELNS1_11target_archE4294967295ELNS1_3gpuE0ELNS1_3repE0EEENS1_30default_config_static_selectorELNS0_4arch9wavefront6targetE1EEEvT1_
	.globl	_ZN7rocprim17ROCPRIM_400000_NS6detail17trampoline_kernelINS0_14default_configENS1_25partition_config_selectorILNS1_17partition_subalgoE3ExNS0_10empty_typeEbEEZZNS1_14partition_implILS5_3ELb0ES3_jN6thrust23THRUST_200600_302600_NS6detail15normal_iteratorINSA_7pointerIxNSA_11hip_rocprim3tagENSA_11use_defaultESG_EEEEPS6_SJ_NS0_5tupleIJPxSJ_EEENSK_IJSJ_SJ_EEES6_PlJ7is_evenIxEEEE10hipError_tPvRmT3_T4_T5_T6_T7_T9_mT8_P12ihipStream_tbDpT10_ENKUlT_T0_E_clISt17integral_constantIbLb1EES1A_EEDaS15_S16_EUlS15_E_NS1_11comp_targetILNS1_3genE0ELNS1_11target_archE4294967295ELNS1_3gpuE0ELNS1_3repE0EEENS1_30default_config_static_selectorELNS0_4arch9wavefront6targetE1EEEvT1_
	.p2align	8
	.type	_ZN7rocprim17ROCPRIM_400000_NS6detail17trampoline_kernelINS0_14default_configENS1_25partition_config_selectorILNS1_17partition_subalgoE3ExNS0_10empty_typeEbEEZZNS1_14partition_implILS5_3ELb0ES3_jN6thrust23THRUST_200600_302600_NS6detail15normal_iteratorINSA_7pointerIxNSA_11hip_rocprim3tagENSA_11use_defaultESG_EEEEPS6_SJ_NS0_5tupleIJPxSJ_EEENSK_IJSJ_SJ_EEES6_PlJ7is_evenIxEEEE10hipError_tPvRmT3_T4_T5_T6_T7_T9_mT8_P12ihipStream_tbDpT10_ENKUlT_T0_E_clISt17integral_constantIbLb1EES1A_EEDaS15_S16_EUlS15_E_NS1_11comp_targetILNS1_3genE0ELNS1_11target_archE4294967295ELNS1_3gpuE0ELNS1_3repE0EEENS1_30default_config_static_selectorELNS0_4arch9wavefront6targetE1EEEvT1_,@function
_ZN7rocprim17ROCPRIM_400000_NS6detail17trampoline_kernelINS0_14default_configENS1_25partition_config_selectorILNS1_17partition_subalgoE3ExNS0_10empty_typeEbEEZZNS1_14partition_implILS5_3ELb0ES3_jN6thrust23THRUST_200600_302600_NS6detail15normal_iteratorINSA_7pointerIxNSA_11hip_rocprim3tagENSA_11use_defaultESG_EEEEPS6_SJ_NS0_5tupleIJPxSJ_EEENSK_IJSJ_SJ_EEES6_PlJ7is_evenIxEEEE10hipError_tPvRmT3_T4_T5_T6_T7_T9_mT8_P12ihipStream_tbDpT10_ENKUlT_T0_E_clISt17integral_constantIbLb1EES1A_EEDaS15_S16_EUlS15_E_NS1_11comp_targetILNS1_3genE0ELNS1_11target_archE4294967295ELNS1_3gpuE0ELNS1_3repE0EEENS1_30default_config_static_selectorELNS0_4arch9wavefront6targetE1EEEvT1_: ; @_ZN7rocprim17ROCPRIM_400000_NS6detail17trampoline_kernelINS0_14default_configENS1_25partition_config_selectorILNS1_17partition_subalgoE3ExNS0_10empty_typeEbEEZZNS1_14partition_implILS5_3ELb0ES3_jN6thrust23THRUST_200600_302600_NS6detail15normal_iteratorINSA_7pointerIxNSA_11hip_rocprim3tagENSA_11use_defaultESG_EEEEPS6_SJ_NS0_5tupleIJPxSJ_EEENSK_IJSJ_SJ_EEES6_PlJ7is_evenIxEEEE10hipError_tPvRmT3_T4_T5_T6_T7_T9_mT8_P12ihipStream_tbDpT10_ENKUlT_T0_E_clISt17integral_constantIbLb1EES1A_EEDaS15_S16_EUlS15_E_NS1_11comp_targetILNS1_3genE0ELNS1_11target_archE4294967295ELNS1_3gpuE0ELNS1_3repE0EEENS1_30default_config_static_selectorELNS0_4arch9wavefront6targetE1EEEvT1_
; %bb.0:
	.section	.rodata,"a",@progbits
	.p2align	6, 0x0
	.amdhsa_kernel _ZN7rocprim17ROCPRIM_400000_NS6detail17trampoline_kernelINS0_14default_configENS1_25partition_config_selectorILNS1_17partition_subalgoE3ExNS0_10empty_typeEbEEZZNS1_14partition_implILS5_3ELb0ES3_jN6thrust23THRUST_200600_302600_NS6detail15normal_iteratorINSA_7pointerIxNSA_11hip_rocprim3tagENSA_11use_defaultESG_EEEEPS6_SJ_NS0_5tupleIJPxSJ_EEENSK_IJSJ_SJ_EEES6_PlJ7is_evenIxEEEE10hipError_tPvRmT3_T4_T5_T6_T7_T9_mT8_P12ihipStream_tbDpT10_ENKUlT_T0_E_clISt17integral_constantIbLb1EES1A_EEDaS15_S16_EUlS15_E_NS1_11comp_targetILNS1_3genE0ELNS1_11target_archE4294967295ELNS1_3gpuE0ELNS1_3repE0EEENS1_30default_config_static_selectorELNS0_4arch9wavefront6targetE1EEEvT1_
		.amdhsa_group_segment_fixed_size 0
		.amdhsa_private_segment_fixed_size 0
		.amdhsa_kernarg_size 136
		.amdhsa_user_sgpr_count 2
		.amdhsa_user_sgpr_dispatch_ptr 0
		.amdhsa_user_sgpr_queue_ptr 0
		.amdhsa_user_sgpr_kernarg_segment_ptr 1
		.amdhsa_user_sgpr_dispatch_id 0
		.amdhsa_user_sgpr_kernarg_preload_length 0
		.amdhsa_user_sgpr_kernarg_preload_offset 0
		.amdhsa_user_sgpr_private_segment_size 0
		.amdhsa_uses_dynamic_stack 0
		.amdhsa_enable_private_segment 0
		.amdhsa_system_sgpr_workgroup_id_x 1
		.amdhsa_system_sgpr_workgroup_id_y 0
		.amdhsa_system_sgpr_workgroup_id_z 0
		.amdhsa_system_sgpr_workgroup_info 0
		.amdhsa_system_vgpr_workitem_id 0
		.amdhsa_next_free_vgpr 1
		.amdhsa_next_free_sgpr 0
		.amdhsa_accum_offset 4
		.amdhsa_reserve_vcc 0
		.amdhsa_float_round_mode_32 0
		.amdhsa_float_round_mode_16_64 0
		.amdhsa_float_denorm_mode_32 3
		.amdhsa_float_denorm_mode_16_64 3
		.amdhsa_dx10_clamp 1
		.amdhsa_ieee_mode 1
		.amdhsa_fp16_overflow 0
		.amdhsa_tg_split 0
		.amdhsa_exception_fp_ieee_invalid_op 0
		.amdhsa_exception_fp_denorm_src 0
		.amdhsa_exception_fp_ieee_div_zero 0
		.amdhsa_exception_fp_ieee_overflow 0
		.amdhsa_exception_fp_ieee_underflow 0
		.amdhsa_exception_fp_ieee_inexact 0
		.amdhsa_exception_int_div_zero 0
	.end_amdhsa_kernel
	.section	.text._ZN7rocprim17ROCPRIM_400000_NS6detail17trampoline_kernelINS0_14default_configENS1_25partition_config_selectorILNS1_17partition_subalgoE3ExNS0_10empty_typeEbEEZZNS1_14partition_implILS5_3ELb0ES3_jN6thrust23THRUST_200600_302600_NS6detail15normal_iteratorINSA_7pointerIxNSA_11hip_rocprim3tagENSA_11use_defaultESG_EEEEPS6_SJ_NS0_5tupleIJPxSJ_EEENSK_IJSJ_SJ_EEES6_PlJ7is_evenIxEEEE10hipError_tPvRmT3_T4_T5_T6_T7_T9_mT8_P12ihipStream_tbDpT10_ENKUlT_T0_E_clISt17integral_constantIbLb1EES1A_EEDaS15_S16_EUlS15_E_NS1_11comp_targetILNS1_3genE0ELNS1_11target_archE4294967295ELNS1_3gpuE0ELNS1_3repE0EEENS1_30default_config_static_selectorELNS0_4arch9wavefront6targetE1EEEvT1_,"axG",@progbits,_ZN7rocprim17ROCPRIM_400000_NS6detail17trampoline_kernelINS0_14default_configENS1_25partition_config_selectorILNS1_17partition_subalgoE3ExNS0_10empty_typeEbEEZZNS1_14partition_implILS5_3ELb0ES3_jN6thrust23THRUST_200600_302600_NS6detail15normal_iteratorINSA_7pointerIxNSA_11hip_rocprim3tagENSA_11use_defaultESG_EEEEPS6_SJ_NS0_5tupleIJPxSJ_EEENSK_IJSJ_SJ_EEES6_PlJ7is_evenIxEEEE10hipError_tPvRmT3_T4_T5_T6_T7_T9_mT8_P12ihipStream_tbDpT10_ENKUlT_T0_E_clISt17integral_constantIbLb1EES1A_EEDaS15_S16_EUlS15_E_NS1_11comp_targetILNS1_3genE0ELNS1_11target_archE4294967295ELNS1_3gpuE0ELNS1_3repE0EEENS1_30default_config_static_selectorELNS0_4arch9wavefront6targetE1EEEvT1_,comdat
.Lfunc_end22:
	.size	_ZN7rocprim17ROCPRIM_400000_NS6detail17trampoline_kernelINS0_14default_configENS1_25partition_config_selectorILNS1_17partition_subalgoE3ExNS0_10empty_typeEbEEZZNS1_14partition_implILS5_3ELb0ES3_jN6thrust23THRUST_200600_302600_NS6detail15normal_iteratorINSA_7pointerIxNSA_11hip_rocprim3tagENSA_11use_defaultESG_EEEEPS6_SJ_NS0_5tupleIJPxSJ_EEENSK_IJSJ_SJ_EEES6_PlJ7is_evenIxEEEE10hipError_tPvRmT3_T4_T5_T6_T7_T9_mT8_P12ihipStream_tbDpT10_ENKUlT_T0_E_clISt17integral_constantIbLb1EES1A_EEDaS15_S16_EUlS15_E_NS1_11comp_targetILNS1_3genE0ELNS1_11target_archE4294967295ELNS1_3gpuE0ELNS1_3repE0EEENS1_30default_config_static_selectorELNS0_4arch9wavefront6targetE1EEEvT1_, .Lfunc_end22-_ZN7rocprim17ROCPRIM_400000_NS6detail17trampoline_kernelINS0_14default_configENS1_25partition_config_selectorILNS1_17partition_subalgoE3ExNS0_10empty_typeEbEEZZNS1_14partition_implILS5_3ELb0ES3_jN6thrust23THRUST_200600_302600_NS6detail15normal_iteratorINSA_7pointerIxNSA_11hip_rocprim3tagENSA_11use_defaultESG_EEEEPS6_SJ_NS0_5tupleIJPxSJ_EEENSK_IJSJ_SJ_EEES6_PlJ7is_evenIxEEEE10hipError_tPvRmT3_T4_T5_T6_T7_T9_mT8_P12ihipStream_tbDpT10_ENKUlT_T0_E_clISt17integral_constantIbLb1EES1A_EEDaS15_S16_EUlS15_E_NS1_11comp_targetILNS1_3genE0ELNS1_11target_archE4294967295ELNS1_3gpuE0ELNS1_3repE0EEENS1_30default_config_static_selectorELNS0_4arch9wavefront6targetE1EEEvT1_
                                        ; -- End function
	.section	.AMDGPU.csdata,"",@progbits
; Kernel info:
; codeLenInByte = 0
; NumSgprs: 6
; NumVgprs: 0
; NumAgprs: 0
; TotalNumVgprs: 0
; ScratchSize: 0
; MemoryBound: 0
; FloatMode: 240
; IeeeMode: 1
; LDSByteSize: 0 bytes/workgroup (compile time only)
; SGPRBlocks: 0
; VGPRBlocks: 0
; NumSGPRsForWavesPerEU: 6
; NumVGPRsForWavesPerEU: 1
; AccumOffset: 4
; Occupancy: 8
; WaveLimiterHint : 0
; COMPUTE_PGM_RSRC2:SCRATCH_EN: 0
; COMPUTE_PGM_RSRC2:USER_SGPR: 2
; COMPUTE_PGM_RSRC2:TRAP_HANDLER: 0
; COMPUTE_PGM_RSRC2:TGID_X_EN: 1
; COMPUTE_PGM_RSRC2:TGID_Y_EN: 0
; COMPUTE_PGM_RSRC2:TGID_Z_EN: 0
; COMPUTE_PGM_RSRC2:TIDIG_COMP_CNT: 0
; COMPUTE_PGM_RSRC3_GFX90A:ACCUM_OFFSET: 0
; COMPUTE_PGM_RSRC3_GFX90A:TG_SPLIT: 0
	.section	.text._ZN7rocprim17ROCPRIM_400000_NS6detail17trampoline_kernelINS0_14default_configENS1_25partition_config_selectorILNS1_17partition_subalgoE3ExNS0_10empty_typeEbEEZZNS1_14partition_implILS5_3ELb0ES3_jN6thrust23THRUST_200600_302600_NS6detail15normal_iteratorINSA_7pointerIxNSA_11hip_rocprim3tagENSA_11use_defaultESG_EEEEPS6_SJ_NS0_5tupleIJPxSJ_EEENSK_IJSJ_SJ_EEES6_PlJ7is_evenIxEEEE10hipError_tPvRmT3_T4_T5_T6_T7_T9_mT8_P12ihipStream_tbDpT10_ENKUlT_T0_E_clISt17integral_constantIbLb1EES1A_EEDaS15_S16_EUlS15_E_NS1_11comp_targetILNS1_3genE5ELNS1_11target_archE942ELNS1_3gpuE9ELNS1_3repE0EEENS1_30default_config_static_selectorELNS0_4arch9wavefront6targetE1EEEvT1_,"axG",@progbits,_ZN7rocprim17ROCPRIM_400000_NS6detail17trampoline_kernelINS0_14default_configENS1_25partition_config_selectorILNS1_17partition_subalgoE3ExNS0_10empty_typeEbEEZZNS1_14partition_implILS5_3ELb0ES3_jN6thrust23THRUST_200600_302600_NS6detail15normal_iteratorINSA_7pointerIxNSA_11hip_rocprim3tagENSA_11use_defaultESG_EEEEPS6_SJ_NS0_5tupleIJPxSJ_EEENSK_IJSJ_SJ_EEES6_PlJ7is_evenIxEEEE10hipError_tPvRmT3_T4_T5_T6_T7_T9_mT8_P12ihipStream_tbDpT10_ENKUlT_T0_E_clISt17integral_constantIbLb1EES1A_EEDaS15_S16_EUlS15_E_NS1_11comp_targetILNS1_3genE5ELNS1_11target_archE942ELNS1_3gpuE9ELNS1_3repE0EEENS1_30default_config_static_selectorELNS0_4arch9wavefront6targetE1EEEvT1_,comdat
	.protected	_ZN7rocprim17ROCPRIM_400000_NS6detail17trampoline_kernelINS0_14default_configENS1_25partition_config_selectorILNS1_17partition_subalgoE3ExNS0_10empty_typeEbEEZZNS1_14partition_implILS5_3ELb0ES3_jN6thrust23THRUST_200600_302600_NS6detail15normal_iteratorINSA_7pointerIxNSA_11hip_rocprim3tagENSA_11use_defaultESG_EEEEPS6_SJ_NS0_5tupleIJPxSJ_EEENSK_IJSJ_SJ_EEES6_PlJ7is_evenIxEEEE10hipError_tPvRmT3_T4_T5_T6_T7_T9_mT8_P12ihipStream_tbDpT10_ENKUlT_T0_E_clISt17integral_constantIbLb1EES1A_EEDaS15_S16_EUlS15_E_NS1_11comp_targetILNS1_3genE5ELNS1_11target_archE942ELNS1_3gpuE9ELNS1_3repE0EEENS1_30default_config_static_selectorELNS0_4arch9wavefront6targetE1EEEvT1_ ; -- Begin function _ZN7rocprim17ROCPRIM_400000_NS6detail17trampoline_kernelINS0_14default_configENS1_25partition_config_selectorILNS1_17partition_subalgoE3ExNS0_10empty_typeEbEEZZNS1_14partition_implILS5_3ELb0ES3_jN6thrust23THRUST_200600_302600_NS6detail15normal_iteratorINSA_7pointerIxNSA_11hip_rocprim3tagENSA_11use_defaultESG_EEEEPS6_SJ_NS0_5tupleIJPxSJ_EEENSK_IJSJ_SJ_EEES6_PlJ7is_evenIxEEEE10hipError_tPvRmT3_T4_T5_T6_T7_T9_mT8_P12ihipStream_tbDpT10_ENKUlT_T0_E_clISt17integral_constantIbLb1EES1A_EEDaS15_S16_EUlS15_E_NS1_11comp_targetILNS1_3genE5ELNS1_11target_archE942ELNS1_3gpuE9ELNS1_3repE0EEENS1_30default_config_static_selectorELNS0_4arch9wavefront6targetE1EEEvT1_
	.globl	_ZN7rocprim17ROCPRIM_400000_NS6detail17trampoline_kernelINS0_14default_configENS1_25partition_config_selectorILNS1_17partition_subalgoE3ExNS0_10empty_typeEbEEZZNS1_14partition_implILS5_3ELb0ES3_jN6thrust23THRUST_200600_302600_NS6detail15normal_iteratorINSA_7pointerIxNSA_11hip_rocprim3tagENSA_11use_defaultESG_EEEEPS6_SJ_NS0_5tupleIJPxSJ_EEENSK_IJSJ_SJ_EEES6_PlJ7is_evenIxEEEE10hipError_tPvRmT3_T4_T5_T6_T7_T9_mT8_P12ihipStream_tbDpT10_ENKUlT_T0_E_clISt17integral_constantIbLb1EES1A_EEDaS15_S16_EUlS15_E_NS1_11comp_targetILNS1_3genE5ELNS1_11target_archE942ELNS1_3gpuE9ELNS1_3repE0EEENS1_30default_config_static_selectorELNS0_4arch9wavefront6targetE1EEEvT1_
	.p2align	8
	.type	_ZN7rocprim17ROCPRIM_400000_NS6detail17trampoline_kernelINS0_14default_configENS1_25partition_config_selectorILNS1_17partition_subalgoE3ExNS0_10empty_typeEbEEZZNS1_14partition_implILS5_3ELb0ES3_jN6thrust23THRUST_200600_302600_NS6detail15normal_iteratorINSA_7pointerIxNSA_11hip_rocprim3tagENSA_11use_defaultESG_EEEEPS6_SJ_NS0_5tupleIJPxSJ_EEENSK_IJSJ_SJ_EEES6_PlJ7is_evenIxEEEE10hipError_tPvRmT3_T4_T5_T6_T7_T9_mT8_P12ihipStream_tbDpT10_ENKUlT_T0_E_clISt17integral_constantIbLb1EES1A_EEDaS15_S16_EUlS15_E_NS1_11comp_targetILNS1_3genE5ELNS1_11target_archE942ELNS1_3gpuE9ELNS1_3repE0EEENS1_30default_config_static_selectorELNS0_4arch9wavefront6targetE1EEEvT1_,@function
_ZN7rocprim17ROCPRIM_400000_NS6detail17trampoline_kernelINS0_14default_configENS1_25partition_config_selectorILNS1_17partition_subalgoE3ExNS0_10empty_typeEbEEZZNS1_14partition_implILS5_3ELb0ES3_jN6thrust23THRUST_200600_302600_NS6detail15normal_iteratorINSA_7pointerIxNSA_11hip_rocprim3tagENSA_11use_defaultESG_EEEEPS6_SJ_NS0_5tupleIJPxSJ_EEENSK_IJSJ_SJ_EEES6_PlJ7is_evenIxEEEE10hipError_tPvRmT3_T4_T5_T6_T7_T9_mT8_P12ihipStream_tbDpT10_ENKUlT_T0_E_clISt17integral_constantIbLb1EES1A_EEDaS15_S16_EUlS15_E_NS1_11comp_targetILNS1_3genE5ELNS1_11target_archE942ELNS1_3gpuE9ELNS1_3repE0EEENS1_30default_config_static_selectorELNS0_4arch9wavefront6targetE1EEEvT1_: ; @_ZN7rocprim17ROCPRIM_400000_NS6detail17trampoline_kernelINS0_14default_configENS1_25partition_config_selectorILNS1_17partition_subalgoE3ExNS0_10empty_typeEbEEZZNS1_14partition_implILS5_3ELb0ES3_jN6thrust23THRUST_200600_302600_NS6detail15normal_iteratorINSA_7pointerIxNSA_11hip_rocprim3tagENSA_11use_defaultESG_EEEEPS6_SJ_NS0_5tupleIJPxSJ_EEENSK_IJSJ_SJ_EEES6_PlJ7is_evenIxEEEE10hipError_tPvRmT3_T4_T5_T6_T7_T9_mT8_P12ihipStream_tbDpT10_ENKUlT_T0_E_clISt17integral_constantIbLb1EES1A_EEDaS15_S16_EUlS15_E_NS1_11comp_targetILNS1_3genE5ELNS1_11target_archE942ELNS1_3gpuE9ELNS1_3repE0EEENS1_30default_config_static_selectorELNS0_4arch9wavefront6targetE1EEEvT1_
; %bb.0:
	s_load_dwordx2 s[22:23], s[0:1], 0x28
	s_load_dwordx4 s[24:27], s[0:1], 0x48
	s_load_dwordx2 s[34:35], s[0:1], 0x58
	s_load_dwordx2 s[36:37], s[0:1], 0x68
	v_cmp_eq_u32_e64 s[20:21], 0, v0
	s_and_saveexec_b64 s[2:3], s[20:21]
	s_cbranch_execz .LBB23_4
; %bb.1:
	s_mov_b64 s[6:7], exec
	v_mbcnt_lo_u32_b32 v1, s6, 0
	v_mbcnt_hi_u32_b32 v1, s7, v1
	v_cmp_eq_u32_e32 vcc, 0, v1
                                        ; implicit-def: $vgpr2
	s_and_saveexec_b64 s[4:5], vcc
	s_cbranch_execz .LBB23_3
; %bb.2:
	s_load_dwordx2 s[8:9], s[0:1], 0x78
	s_bcnt1_i32_b64 s6, s[6:7]
	v_mov_b32_e32 v2, 0
	v_mov_b32_e32 v3, s6
	s_waitcnt lgkmcnt(0)
	global_atomic_add v2, v2, v3, s[8:9] sc0
.LBB23_3:
	s_or_b64 exec, exec, s[4:5]
	s_waitcnt vmcnt(0)
	v_readfirstlane_b32 s4, v2
	v_mov_b32_e32 v2, 0
	s_nop 0
	v_add_u32_e32 v1, s4, v1
	ds_write_b32 v2, v1
.LBB23_4:
	s_or_b64 exec, exec, s[2:3]
	v_mov_b32_e32 v19, 0
	s_load_dwordx4 s[28:31], s[0:1], 0x8
	s_load_dword s2, s[0:1], 0x70
	s_waitcnt lgkmcnt(0)
	s_barrier
	ds_read_b32 v1, v19
	s_waitcnt lgkmcnt(0)
	s_barrier
	global_load_dwordx2 v[20:21], v19, s[26:27]
	s_lshl_b64 s[0:1], s[30:31], 3
	s_add_u32 s0, s28, s0
	s_addc_u32 s1, s29, s1
	s_movk_i32 s3, 0xe00
	s_add_i32 s4, s2, -1
	s_mulk_i32 s2, 0xe00
	v_mul_lo_u32 v18, v1, s3
	s_add_i32 s3, s2, s30
	s_sub_i32 s33, s34, s3
	s_addk_i32 s33, 0xe00
	s_add_u32 s2, s30, s2
	v_readfirstlane_b32 s40, v1
	s_addc_u32 s3, s31, 0
	s_cmp_eq_u32 s40, s4
	v_mov_b64_e32 v[2:3], s[34:35]
	s_cselect_b64 s[26:27], -1, 0
	s_cmp_lg_u32 s40, s4
	v_cmp_lt_u64_e32 vcc, s[2:3], v[2:3]
	s_cselect_b64 s[2:3], -1, 0
	s_or_b64 s[4:5], vcc, s[2:3]
	v_lshlrev_b64 v[2:3], 3, v[18:19]
	v_lshl_add_u64 v[24:25], s[0:1], 0, v[2:3]
	s_mov_b64 s[0:1], -1
	s_and_b64 vcc, exec, s[4:5]
	v_lshlrev_b32_e32 v22, 3, v0
	s_cbranch_vccz .LBB23_6
; %bb.5:
	v_mov_b32_e32 v23, v19
	v_lshl_add_u64 v[2:3], v[24:25], 0, v[22:23]
	v_add_co_u32_e32 v4, vcc, 0x1000, v2
	s_mov_b64 s[0:1], 0
	s_nop 0
	v_addc_co_u32_e32 v5, vcc, 0, v3, vcc
	v_add_co_u32_e32 v6, vcc, 0x2000, v2
	s_nop 1
	v_addc_co_u32_e32 v7, vcc, 0, v3, vcc
	v_add_co_u32_e32 v8, vcc, 0x3000, v2
	s_nop 1
	v_addc_co_u32_e32 v9, vcc, 0, v3, vcc
	flat_load_dwordx2 v[10:11], v[2:3]
	flat_load_dwordx2 v[12:13], v[4:5]
	;; [unrolled: 1-line block ×4, first 2 shown]
	v_add_co_u32_e32 v4, vcc, 0x4000, v2
	s_nop 1
	v_addc_co_u32_e32 v5, vcc, 0, v3, vcc
	v_add_co_u32_e32 v6, vcc, 0x5000, v2
	s_nop 1
	v_addc_co_u32_e32 v7, vcc, 0, v3, vcc
	;; [unrolled: 3-line block ×3, first 2 shown]
	flat_load_dwordx2 v[8:9], v[4:5]
	flat_load_dwordx2 v[26:27], v[6:7]
	;; [unrolled: 1-line block ×3, first 2 shown]
	s_waitcnt vmcnt(0) lgkmcnt(0)
	ds_write2st64_b64 v22, v[10:11], v[12:13] offset1:8
	ds_write2st64_b64 v22, v[14:15], v[16:17] offset0:16 offset1:24
	ds_write2st64_b64 v22, v[8:9], v[26:27] offset0:32 offset1:40
	ds_write_b64 v22, v[28:29] offset:24576
	s_waitcnt lgkmcnt(0)
	s_barrier
.LBB23_6:
	s_andn2_b64 vcc, exec, s[0:1]
	v_cmp_gt_u32_e64 s[0:1], s33, v0
	s_cbranch_vccnz .LBB23_22
; %bb.7:
                                        ; implicit-def: $vgpr2_vgpr3_vgpr4_vgpr5_vgpr6_vgpr7_vgpr8_vgpr9_vgpr10_vgpr11_vgpr12_vgpr13_vgpr14_vgpr15_vgpr16_vgpr17
	s_and_saveexec_b64 s[2:3], s[0:1]
	s_cbranch_execz .LBB23_9
; %bb.8:
	v_mov_b32_e32 v23, 0
	v_lshl_add_u64 v[2:3], v[24:25], 0, v[22:23]
	flat_load_dwordx2 v[2:3], v[2:3]
.LBB23_9:
	s_or_b64 exec, exec, s[2:3]
	v_or_b32_e32 v1, 0x200, v0
	v_cmp_gt_u32_e32 vcc, s33, v1
	s_and_saveexec_b64 s[0:1], vcc
	s_cbranch_execz .LBB23_11
; %bb.10:
	v_lshlrev_b32_e32 v4, 3, v1
	v_mov_b32_e32 v5, 0
	v_lshl_add_u64 v[4:5], v[24:25], 0, v[4:5]
	flat_load_dwordx2 v[4:5], v[4:5]
.LBB23_11:
	s_or_b64 exec, exec, s[0:1]
	v_or_b32_e32 v1, 0x400, v0
	v_cmp_gt_u32_e32 vcc, s33, v1
	s_and_saveexec_b64 s[0:1], vcc
	s_cbranch_execz .LBB23_13
; %bb.12:
	v_lshlrev_b32_e32 v6, 3, v1
	v_mov_b32_e32 v7, 0
	v_lshl_add_u64 v[6:7], v[24:25], 0, v[6:7]
	flat_load_dwordx2 v[6:7], v[6:7]
.LBB23_13:
	;; [unrolled: 11-line block ×6, first 2 shown]
	s_or_b64 exec, exec, s[0:1]
	s_waitcnt vmcnt(0) lgkmcnt(0)
	ds_write2st64_b64 v22, v[2:3], v[4:5] offset1:8
	ds_write2st64_b64 v22, v[6:7], v[8:9] offset0:16 offset1:24
	ds_write2st64_b64 v22, v[10:11], v[12:13] offset0:32 offset1:40
	ds_write_b64 v22, v[14:15] offset:24576
	s_waitcnt lgkmcnt(0)
	s_barrier
.LBB23_22:
	v_mul_u32_u24_e32 v1, 7, v0
	v_lshlrev_b32_e32 v37, 3, v1
	ds_read2_b64 v[10:13], v37 offset1:1
	ds_read2_b64 v[6:9], v37 offset0:2 offset1:3
	ds_read2_b64 v[2:5], v37 offset0:4 offset1:5
	ds_read_b64 v[14:15], v37 offset:48
	v_cndmask_b32_e64 v16, 0, 1, s[4:5]
	v_cmp_ne_u32_e64 s[2:3], 1, v16
	s_andn2_b64 vcc, exec, s[4:5]
	s_waitcnt lgkmcnt(3)
	v_xor_b32_e32 v28, -1, v10
	v_xor_b32_e32 v27, -1, v12
	s_waitcnt lgkmcnt(2)
	v_xor_b32_e32 v26, -1, v6
	v_xor_b32_e32 v25, -1, v8
	s_waitcnt lgkmcnt(1)
	v_xor_b32_e32 v24, -1, v2
	v_xor_b32_e32 v17, -1, v4
	s_waitcnt lgkmcnt(0)
	v_xor_b32_e32 v16, -1, v14
	s_barrier
	s_cbranch_vccnz .LBB23_24
; %bb.23:
	v_mov_b32_e32 v23, 1
	v_and_b32_e32 v29, 1, v28
	v_and_b32_sdwa v30, v27, v23 dst_sel:BYTE_1 dst_unused:UNUSED_PAD src0_sel:DWORD src1_sel:DWORD
	v_and_b32_e32 v31, 1, v26
	v_and_b32_sdwa v34, v25, v23 dst_sel:BYTE_1 dst_unused:UNUSED_PAD src0_sel:DWORD src1_sel:DWORD
	v_or_b32_e32 v29, v29, v30
	v_or_b32_sdwa v30, v31, v34 dst_sel:WORD_1 dst_unused:UNUSED_PAD src0_sel:DWORD src1_sel:DWORD
	v_and_b32_e32 v33, 1, v24
	v_and_b32_e32 v32, 1, v17
	;; [unrolled: 1-line block ×3, first 2 shown]
	v_or_b32_sdwa v34, v29, v30 dst_sel:DWORD dst_unused:UNUSED_PAD src0_sel:WORD_0 src1_sel:DWORD
	s_cbranch_execz .LBB23_25
	s_branch .LBB23_26
.LBB23_24:
                                        ; implicit-def: $vgpr23
                                        ; implicit-def: $vgpr32
                                        ; implicit-def: $vgpr33
                                        ; implicit-def: $vgpr34
.LBB23_25:
	v_add_u32_e32 v23, 1, v1
	v_cmp_gt_u32_e32 vcc, s33, v1
	v_add_u32_e32 v29, 2, v1
	v_add_u32_e32 v30, 3, v1
	v_cndmask_b32_e64 v33, 0, 1, vcc
	v_cmp_gt_u32_e32 vcc, s33, v23
	v_add_u32_e32 v31, 4, v1
	v_add_u32_e32 v32, 5, v1
	v_cndmask_b32_e64 v23, 0, 1, vcc
	v_cmp_gt_u32_e32 vcc, s33, v29
	v_and_b32_sdwa v27, v23, v27 dst_sel:BYTE_1 dst_unused:UNUSED_PAD src0_sel:DWORD src1_sel:DWORD
	v_add_u32_e32 v34, 6, v1
	v_cndmask_b32_e64 v23, 0, 1, vcc
	v_cmp_gt_u32_e32 vcc, s33, v30
	v_and_b32_e32 v26, v23, v26
	v_and_b32_e32 v28, v33, v28
	v_cndmask_b32_e64 v23, 0, 1, vcc
	v_cmp_gt_u32_e32 vcc, s33, v31
	v_and_b32_sdwa v25, v23, v25 dst_sel:BYTE_1 dst_unused:UNUSED_PAD src0_sel:DWORD src1_sel:DWORD
	s_nop 0
	v_cndmask_b32_e64 v23, 0, 1, vcc
	v_cmp_gt_u32_e32 vcc, s33, v32
	v_and_b32_e32 v33, v23, v24
	s_nop 0
	v_cndmask_b32_e64 v23, 0, 1, vcc
	v_cmp_gt_u32_e32 vcc, s33, v34
	v_and_b32_e32 v32, v23, v17
	s_nop 0
	v_cndmask_b32_e64 v17, 0, 1, vcc
	v_and_b32_e32 v23, v17, v16
	v_or_b32_e32 v16, v28, v27
	v_or_b32_sdwa v17, v26, v25 dst_sel:WORD_1 dst_unused:UNUSED_PAD src0_sel:DWORD src1_sel:DWORD
	s_nop 0
	v_or_b32_sdwa v34, v16, v17 dst_sel:DWORD dst_unused:UNUSED_PAD src0_sel:WORD_0 src1_sel:DWORD
.LBB23_26:
	v_and_b32_e32 v38, 0xff, v34
	v_bfe_u32 v39, v34, 8, 8
	v_bfe_u32 v40, v34, 16, 8
	v_lshrrev_b32_e32 v35, 24, v34
	v_and_b32_e32 v41, 0xff, v33
	v_add3_u32 v17, v39, v38, v40
	v_and_b32_e32 v42, 0xff, v32
	v_and_b32_e32 v16, 0xff, v23
	v_add3_u32 v17, v17, v35, v41
	v_add3_u32 v45, v17, v42, v16
	v_mbcnt_lo_u32_b32 v16, -1, 0
	v_mbcnt_hi_u32_b32 v43, -1, v16
	v_and_b32_e32 v16, 15, v43
	v_cmp_eq_u32_e64 s[16:17], 0, v16
	v_cmp_lt_u32_e64 s[14:15], 1, v16
	v_cmp_lt_u32_e64 s[12:13], 3, v16
	;; [unrolled: 1-line block ×3, first 2 shown]
	v_and_b32_e32 v16, 16, v43
	v_cmp_eq_u32_e64 s[8:9], 0, v16
	v_or_b32_e32 v16, 63, v0
	s_cmp_lg_u32 s40, 0
	v_cmp_lt_u32_e64 s[4:5], 31, v43
	v_lshrrev_b32_e32 v44, 6, v0
	v_cmp_eq_u32_e64 s[6:7], v16, v0
	s_cbranch_scc0 .LBB23_57
; %bb.27:
	v_mov_b32_dpp v16, v45 row_shr:1 row_mask:0xf bank_mask:0xf
	v_cndmask_b32_e64 v16, v16, 0, s[16:17]
	v_add_u32_e32 v16, v16, v45
	s_nop 1
	v_mov_b32_dpp v17, v16 row_shr:2 row_mask:0xf bank_mask:0xf
	v_cndmask_b32_e64 v17, 0, v17, s[14:15]
	v_add_u32_e32 v16, v16, v17
	s_nop 1
	;; [unrolled: 4-line block ×4, first 2 shown]
	v_mov_b32_dpp v17, v16 row_bcast:15 row_mask:0xf bank_mask:0xf
	v_cndmask_b32_e64 v17, v17, 0, s[8:9]
	v_add_u32_e32 v16, v16, v17
	s_nop 1
	v_mov_b32_dpp v17, v16 row_bcast:31 row_mask:0xf bank_mask:0xf
	v_cndmask_b32_e64 v17, 0, v17, s[4:5]
	v_add_u32_e32 v16, v16, v17
	s_and_saveexec_b64 s[0:1], s[6:7]
	s_cbranch_execz .LBB23_29
; %bb.28:
	v_lshlrev_b32_e32 v17, 2, v44
	ds_write_b32 v17, v16
.LBB23_29:
	s_or_b64 exec, exec, s[0:1]
	v_cmp_gt_u32_e32 vcc, 8, v0
	s_waitcnt lgkmcnt(0)
	s_barrier
	s_and_saveexec_b64 s[0:1], vcc
	s_cbranch_execz .LBB23_31
; %bb.30:
	v_lshlrev_b32_e32 v17, 2, v0
	ds_read_b32 v24, v17
	v_and_b32_e32 v25, 7, v43
	v_cmp_ne_u32_e32 vcc, 0, v25
	s_waitcnt lgkmcnt(0)
	v_mov_b32_dpp v26, v24 row_shr:1 row_mask:0xf bank_mask:0xf
	v_cndmask_b32_e32 v26, 0, v26, vcc
	v_add_u32_e32 v24, v26, v24
	v_cmp_lt_u32_e32 vcc, 1, v25
	s_nop 0
	v_mov_b32_dpp v26, v24 row_shr:2 row_mask:0xf bank_mask:0xf
	v_cndmask_b32_e32 v26, 0, v26, vcc
	v_add_u32_e32 v24, v24, v26
	v_cmp_lt_u32_e32 vcc, 3, v25
	s_nop 0
	v_mov_b32_dpp v26, v24 row_shr:4 row_mask:0xf bank_mask:0xf
	v_cndmask_b32_e32 v25, 0, v26, vcc
	v_add_u32_e32 v24, v24, v25
	ds_write_b32 v17, v24
.LBB23_31:
	s_or_b64 exec, exec, s[0:1]
	v_cmp_gt_u32_e32 vcc, 64, v0
	v_cmp_lt_u32_e64 s[0:1], 63, v0
	s_waitcnt lgkmcnt(0)
	s_barrier
	s_waitcnt lgkmcnt(0)
                                        ; implicit-def: $vgpr36
	s_and_saveexec_b64 s[18:19], s[0:1]
	s_cbranch_execz .LBB23_33
; %bb.32:
	v_lshl_add_u32 v17, v44, 2, -4
	ds_read_b32 v36, v17
	s_waitcnt lgkmcnt(0)
	v_add_u32_e32 v16, v36, v16
.LBB23_33:
	s_or_b64 exec, exec, s[18:19]
	v_add_u32_e32 v17, -1, v43
	v_and_b32_e32 v24, 64, v43
	v_cmp_lt_i32_e64 s[0:1], v17, v24
	v_cmp_eq_u32_e64 s[18:19], 0, v43
	s_nop 0
	v_cndmask_b32_e64 v17, v17, v43, s[0:1]
	v_lshlrev_b32_e32 v17, 2, v17
	ds_bpermute_b32 v46, v17, v16
	s_and_saveexec_b64 s[0:1], vcc
	s_cbranch_execz .LBB23_56
; %bb.34:
	v_mov_b32_e32 v31, 0
	ds_read_b32 v16, v31 offset:28
	s_and_saveexec_b64 s[28:29], s[18:19]
	s_cbranch_execz .LBB23_36
; %bb.35:
	s_add_i32 s38, s40, 64
	s_mov_b32 s39, 0
	s_lshl_b64 s[38:39], s[38:39], 3
	s_add_u32 s38, s36, s38
	v_mov_b32_e32 v17, 1
	s_addc_u32 s39, s37, s39
	s_waitcnt lgkmcnt(0)
	global_store_dwordx2 v31, v[16:17], s[38:39] sc1
.LBB23_36:
	s_or_b64 exec, exec, s[28:29]
	v_xad_u32 v24, v43, -1, s40
	v_add_u32_e32 v30, 64, v24
	v_lshl_add_u64 v[26:27], v[30:31], 3, s[36:37]
	global_load_dwordx2 v[28:29], v[26:27], off sc1
	s_waitcnt vmcnt(0)
	v_cmp_eq_u16_sdwa s[38:39], v29, v31 src0_sel:BYTE_0 src1_sel:DWORD
	s_and_saveexec_b64 s[28:29], s[38:39]
	s_cbranch_execz .LBB23_42
; %bb.37:
	s_mov_b32 s41, 1
	s_mov_b64 s[38:39], 0
	v_mov_b32_e32 v17, 0
.LBB23_38:                              ; =>This Loop Header: Depth=1
                                        ;     Child Loop BB23_39 Depth 2
	s_max_u32 s42, s41, 1
.LBB23_39:                              ;   Parent Loop BB23_38 Depth=1
                                        ; =>  This Inner Loop Header: Depth=2
	s_add_i32 s42, s42, -1
	s_cmp_eq_u32 s42, 0
	s_sleep 1
	s_cbranch_scc0 .LBB23_39
; %bb.40:                               ;   in Loop: Header=BB23_38 Depth=1
	global_load_dwordx2 v[28:29], v[26:27], off sc1
	s_cmp_lt_u32 s41, 32
	s_cselect_b64 s[42:43], -1, 0
	s_cmp_lg_u64 s[42:43], 0
	s_addc_u32 s41, s41, 0
	s_waitcnt vmcnt(0)
	v_cmp_ne_u16_sdwa s[42:43], v29, v17 src0_sel:BYTE_0 src1_sel:DWORD
	s_or_b64 s[38:39], s[42:43], s[38:39]
	s_andn2_b64 exec, exec, s[38:39]
	s_cbranch_execnz .LBB23_38
; %bb.41:
	s_or_b64 exec, exec, s[38:39]
.LBB23_42:
	s_or_b64 exec, exec, s[28:29]
	v_and_b32_e32 v48, 63, v43
	v_mov_b32_e32 v47, 2
	v_cmp_ne_u32_e32 vcc, 63, v48
	v_cmp_eq_u16_sdwa s[28:29], v29, v47 src0_sel:BYTE_0 src1_sel:DWORD
	v_lshlrev_b64 v[26:27], v43, -1
	v_addc_co_u32_e32 v30, vcc, 0, v43, vcc
	v_and_b32_e32 v17, s29, v27
	v_lshlrev_b32_e32 v49, 2, v30
	v_or_b32_e32 v17, 0x80000000, v17
	ds_bpermute_b32 v30, v49, v28
	v_and_b32_e32 v25, s28, v26
	v_ffbl_b32_e32 v17, v17
	v_add_u32_e32 v17, 32, v17
	v_ffbl_b32_e32 v25, v25
	v_min_u32_e32 v17, v25, v17
	v_cmp_lt_u32_e32 vcc, v48, v17
	v_add_u32_e32 v51, 2, v48
	v_add_u32_e32 v53, 4, v48
	s_waitcnt lgkmcnt(0)
	v_cndmask_b32_e32 v25, 0, v30, vcc
	v_cmp_gt_u32_e32 vcc, 62, v48
	v_add_u32_e32 v25, v25, v28
	v_add_u32_e32 v55, 8, v48
	v_cndmask_b32_e64 v28, 0, 1, vcc
	v_lshlrev_b32_e32 v28, 1, v28
	v_add_lshl_u32 v50, v28, v43, 2
	ds_bpermute_b32 v28, v50, v25
	v_cmp_le_u32_e32 vcc, v51, v17
	v_add_u32_e32 v57, 16, v48
	v_add_u32_e32 v59, 32, v48
	s_waitcnt lgkmcnt(0)
	v_cndmask_b32_e32 v28, 0, v28, vcc
	v_cmp_gt_u32_e32 vcc, 60, v48
	v_add_u32_e32 v25, v25, v28
	s_nop 0
	v_cndmask_b32_e64 v28, 0, 1, vcc
	v_lshlrev_b32_e32 v28, 2, v28
	v_add_lshl_u32 v52, v28, v43, 2
	ds_bpermute_b32 v28, v52, v25
	v_cmp_le_u32_e32 vcc, v53, v17
	s_waitcnt lgkmcnt(0)
	s_nop 0
	v_cndmask_b32_e32 v28, 0, v28, vcc
	v_cmp_gt_u32_e32 vcc, 56, v48
	v_add_u32_e32 v25, v25, v28
	s_nop 0
	v_cndmask_b32_e64 v28, 0, 1, vcc
	v_lshlrev_b32_e32 v28, 3, v28
	v_add_lshl_u32 v54, v28, v43, 2
	ds_bpermute_b32 v28, v54, v25
	v_cmp_le_u32_e32 vcc, v55, v17
	s_waitcnt lgkmcnt(0)
	s_nop 0
	;; [unrolled: 11-line block ×4, first 2 shown]
	v_cndmask_b32_e32 v17, 0, v28, vcc
	v_add_u32_e32 v28, v25, v17
	v_mov_b32_e32 v25, 0
	s_branch .LBB23_44
.LBB23_43:                              ;   in Loop: Header=BB23_44 Depth=1
	s_or_b64 exec, exec, s[28:29]
	v_cmp_eq_u16_sdwa s[28:29], v29, v47 src0_sel:BYTE_0 src1_sel:DWORD
	ds_bpermute_b32 v60, v49, v28
	v_subrev_u32_e32 v24, 64, v24
	v_and_b32_e32 v30, s29, v27
	v_or_b32_e32 v30, 0x80000000, v30
	v_and_b32_e32 v31, s28, v26
	v_ffbl_b32_e32 v30, v30
	v_add_u32_e32 v30, 32, v30
	v_ffbl_b32_e32 v31, v31
	v_min_u32_e32 v30, v31, v30
	v_cmp_lt_u32_e32 vcc, v48, v30
	s_waitcnt lgkmcnt(0)
	s_nop 0
	v_cndmask_b32_e32 v31, 0, v60, vcc
	v_add_u32_e32 v28, v31, v28
	ds_bpermute_b32 v31, v50, v28
	v_cmp_le_u32_e32 vcc, v51, v30
	s_waitcnt lgkmcnt(0)
	s_nop 0
	v_cndmask_b32_e32 v31, 0, v31, vcc
	v_add_u32_e32 v28, v28, v31
	ds_bpermute_b32 v31, v52, v28
	v_cmp_le_u32_e32 vcc, v53, v30
	;; [unrolled: 6-line block ×5, first 2 shown]
	s_waitcnt lgkmcnt(0)
	s_nop 0
	v_cndmask_b32_e32 v30, 0, v31, vcc
	v_add3_u32 v28, v30, v17, v28
.LBB23_44:                              ; =>This Loop Header: Depth=1
                                        ;     Child Loop BB23_47 Depth 2
                                        ;       Child Loop BB23_48 Depth 3
	v_cmp_ne_u16_sdwa s[28:29], v29, v47 src0_sel:BYTE_0 src1_sel:DWORD
	s_nop 1
	v_cndmask_b32_e64 v17, 0, 1, s[28:29]
	;;#ASMSTART
	;;#ASMEND
	s_nop 0
	v_cmp_ne_u32_e32 vcc, 0, v17
	s_cmp_lg_u64 vcc, exec
	v_mov_b32_e32 v17, v28
	s_cbranch_scc1 .LBB23_51
; %bb.45:                               ;   in Loop: Header=BB23_44 Depth=1
	v_lshl_add_u64 v[30:31], v[24:25], 3, s[36:37]
	global_load_dwordx2 v[28:29], v[30:31], off sc1
	s_waitcnt vmcnt(0)
	v_cmp_eq_u16_sdwa s[38:39], v29, v25 src0_sel:BYTE_0 src1_sel:DWORD
	s_and_saveexec_b64 s[28:29], s[38:39]
	s_cbranch_execz .LBB23_43
; %bb.46:                               ;   in Loop: Header=BB23_44 Depth=1
	s_mov_b32 s41, 1
	s_mov_b64 s[38:39], 0
.LBB23_47:                              ;   Parent Loop BB23_44 Depth=1
                                        ; =>  This Loop Header: Depth=2
                                        ;       Child Loop BB23_48 Depth 3
	s_max_u32 s42, s41, 1
.LBB23_48:                              ;   Parent Loop BB23_44 Depth=1
                                        ;     Parent Loop BB23_47 Depth=2
                                        ; =>    This Inner Loop Header: Depth=3
	s_add_i32 s42, s42, -1
	s_cmp_eq_u32 s42, 0
	s_sleep 1
	s_cbranch_scc0 .LBB23_48
; %bb.49:                               ;   in Loop: Header=BB23_47 Depth=2
	global_load_dwordx2 v[28:29], v[30:31], off sc1
	s_cmp_lt_u32 s41, 32
	s_cselect_b64 s[42:43], -1, 0
	s_cmp_lg_u64 s[42:43], 0
	s_addc_u32 s41, s41, 0
	s_waitcnt vmcnt(0)
	v_cmp_ne_u16_sdwa s[42:43], v29, v25 src0_sel:BYTE_0 src1_sel:DWORD
	s_or_b64 s[38:39], s[42:43], s[38:39]
	s_andn2_b64 exec, exec, s[38:39]
	s_cbranch_execnz .LBB23_47
; %bb.50:                               ;   in Loop: Header=BB23_44 Depth=1
	s_or_b64 exec, exec, s[38:39]
	s_branch .LBB23_43
.LBB23_51:                              ;   in Loop: Header=BB23_44 Depth=1
                                        ; implicit-def: $vgpr28
                                        ; implicit-def: $vgpr29
	s_cbranch_execz .LBB23_44
; %bb.52:
	s_and_saveexec_b64 s[28:29], s[18:19]
	s_cbranch_execz .LBB23_54
; %bb.53:
	s_add_i32 s38, s40, 64
	s_mov_b32 s39, 0
	s_lshl_b64 s[38:39], s[38:39], 3
	s_add_u32 s38, s36, s38
	v_add_u32_e32 v24, v17, v16
	v_mov_b32_e32 v25, 2
	s_addc_u32 s39, s37, s39
	v_mov_b32_e32 v26, 0
	global_store_dwordx2 v26, v[24:25], s[38:39] sc1
	ds_write_b64 v26, v[16:17] offset:28672
.LBB23_54:
	s_or_b64 exec, exec, s[28:29]
	s_and_b64 exec, exec, s[20:21]
	s_cbranch_execz .LBB23_56
; %bb.55:
	v_mov_b32_e32 v16, 0
	ds_write_b32 v16, v17 offset:28
.LBB23_56:
	s_or_b64 exec, exec, s[0:1]
	v_mov_b32_e32 v16, 0
	s_waitcnt lgkmcnt(0)
	s_barrier
	ds_read_b32 v17, v16 offset:28
	v_cndmask_b32_e64 v24, v46, v36, s[18:19]
	v_cndmask_b32_e64 v24, v24, 0, s[20:21]
	s_waitcnt lgkmcnt(0)
	s_barrier
	v_add_u32_e32 v30, v17, v24
	v_add_u32_e32 v29, v30, v38
	ds_read_b64 v[16:17], v16 offset:28672
	v_add_u32_e32 v28, v29, v39
	v_add_u32_e32 v27, v28, v40
	;; [unrolled: 1-line block ×5, first 2 shown]
	s_waitcnt lgkmcnt(0)
	v_mov_b32_e32 v36, v17
	s_branch .LBB23_67
.LBB23_57:
                                        ; implicit-def: $vgpr36
                                        ; implicit-def: $vgpr16
                                        ; implicit-def: $vgpr24
                                        ; implicit-def: $vgpr25
                                        ; implicit-def: $vgpr26
                                        ; implicit-def: $vgpr27
                                        ; implicit-def: $vgpr28
                                        ; implicit-def: $vgpr29
                                        ; implicit-def: $vgpr30
	s_cbranch_execz .LBB23_67
; %bb.58:
	s_nop 0
	v_mov_b32_dpp v16, v45 row_shr:1 row_mask:0xf bank_mask:0xf
	v_cndmask_b32_e64 v16, v16, 0, s[16:17]
	v_add_u32_e32 v16, v16, v45
	s_nop 1
	v_mov_b32_dpp v17, v16 row_shr:2 row_mask:0xf bank_mask:0xf
	v_cndmask_b32_e64 v17, 0, v17, s[14:15]
	v_add_u32_e32 v16, v16, v17
	;; [unrolled: 4-line block ×4, first 2 shown]
	s_nop 1
	v_mov_b32_dpp v17, v16 row_bcast:15 row_mask:0xf bank_mask:0xf
	v_cndmask_b32_e64 v17, v17, 0, s[8:9]
	v_add_u32_e32 v16, v16, v17
	s_nop 1
	v_mov_b32_dpp v17, v16 row_bcast:31 row_mask:0xf bank_mask:0xf
	v_cndmask_b32_e64 v17, 0, v17, s[4:5]
	v_add_u32_e32 v16, v16, v17
	s_and_saveexec_b64 s[0:1], s[6:7]
	s_cbranch_execz .LBB23_60
; %bb.59:
	v_lshlrev_b32_e32 v17, 2, v44
	ds_write_b32 v17, v16
.LBB23_60:
	s_or_b64 exec, exec, s[0:1]
	v_cmp_gt_u32_e32 vcc, 8, v0
	s_waitcnt lgkmcnt(0)
	s_barrier
	s_and_saveexec_b64 s[0:1], vcc
	s_cbranch_execz .LBB23_62
; %bb.61:
	s_movk_i32 s4, 0xffcc
	v_mad_i32_i24 v17, v0, s4, v37
	ds_read_b32 v24, v17
	v_and_b32_e32 v25, 7, v43
	v_cmp_ne_u32_e32 vcc, 0, v25
	s_waitcnt lgkmcnt(0)
	v_mov_b32_dpp v26, v24 row_shr:1 row_mask:0xf bank_mask:0xf
	v_cndmask_b32_e32 v26, 0, v26, vcc
	v_add_u32_e32 v24, v26, v24
	v_cmp_lt_u32_e32 vcc, 1, v25
	s_nop 0
	v_mov_b32_dpp v26, v24 row_shr:2 row_mask:0xf bank_mask:0xf
	v_cndmask_b32_e32 v26, 0, v26, vcc
	v_add_u32_e32 v24, v24, v26
	v_cmp_lt_u32_e32 vcc, 3, v25
	s_nop 0
	v_mov_b32_dpp v26, v24 row_shr:4 row_mask:0xf bank_mask:0xf
	v_cndmask_b32_e32 v25, 0, v26, vcc
	v_add_u32_e32 v24, v24, v25
	ds_write_b32 v17, v24
.LBB23_62:
	s_or_b64 exec, exec, s[0:1]
	v_cmp_lt_u32_e32 vcc, 63, v0
	v_mov_b32_e32 v17, 0
	v_mov_b32_e32 v24, 0
	s_waitcnt lgkmcnt(0)
	s_barrier
	s_and_saveexec_b64 s[0:1], vcc
	s_cbranch_execz .LBB23_64
; %bb.63:
	v_lshl_add_u32 v24, v44, 2, -4
	ds_read_b32 v24, v24
.LBB23_64:
	s_or_b64 exec, exec, s[0:1]
	v_add_u32_e32 v25, -1, v43
	v_and_b32_e32 v26, 64, v43
	v_cmp_lt_i32_e32 vcc, v25, v26
	s_waitcnt lgkmcnt(0)
	v_add_u32_e32 v16, v24, v16
	v_cndmask_b32_e32 v25, v25, v43, vcc
	v_lshlrev_b32_e32 v25, 2, v25
	ds_bpermute_b32 v25, v25, v16
	ds_read_b32 v16, v17 offset:28
	s_and_saveexec_b64 s[0:1], s[20:21]
	s_cbranch_execz .LBB23_66
; %bb.65:
	v_mov_b32_e32 v26, 0
	v_mov_b32_e32 v17, 2
	s_waitcnt lgkmcnt(0)
	global_store_dwordx2 v26, v[16:17], s[36:37] offset:512 sc1
.LBB23_66:
	s_or_b64 exec, exec, s[0:1]
	v_cmp_eq_u32_e32 vcc, 0, v43
	v_mov_b32_e32 v36, 0
	s_waitcnt lgkmcnt(0)
	v_cndmask_b32_e32 v17, v25, v24, vcc
	v_cndmask_b32_e64 v30, v17, 0, s[20:21]
	v_add_u32_e32 v29, v30, v38
	v_add_u32_e32 v28, v29, v39
	;; [unrolled: 1-line block ×6, first 2 shown]
	s_barrier
.LBB23_67:
	v_add_u32_e32 v1, v16, v1
	v_sub_u32_e32 v30, v30, v36
	v_and_b32_e32 v37, 1, v34
	v_sub_u32_e32 v31, v1, v30
	v_cmp_eq_u32_e32 vcc, 1, v37
	v_lshrrev_b32_e32 v17, 8, v34
	v_and_b32_e32 v17, 1, v17
	v_cndmask_b32_e32 v30, v31, v30, vcc
	v_lshlrev_b32_e32 v30, 3, v30
	ds_write_b64 v30, v[10:11]
	v_sub_u32_e32 v10, v29, v36
	v_sub_u32_e32 v11, v1, v10
	v_add_u32_e32 v11, 1, v11
	v_cmp_eq_u32_e32 vcc, 1, v17
	v_lshl_add_u64 v[18:19], s[30:31], 0, v[18:19]
	v_or_b32_e32 v30, 0x600, v0
	v_cndmask_b32_e32 v10, v11, v10, vcc
	v_lshlrev_b32_e32 v10, 3, v10
	ds_write_b64 v10, v[12:13]
	v_sub_u32_e32 v10, v28, v36
	v_mov_b32_e32 v12, 1
	v_sub_u32_e32 v11, v1, v10
	v_and_b32_sdwa v12, v12, v34 dst_sel:DWORD dst_unused:UNUSED_PAD src0_sel:DWORD src1_sel:WORD_1
	v_add_u32_e32 v11, 2, v11
	v_cmp_eq_u32_e32 vcc, 1, v12
	v_or_b32_e32 v34, 0x200, v0
	v_or_b32_e32 v28, 0x800, v0
	v_cndmask_b32_e32 v10, v11, v10, vcc
	v_lshlrev_b32_e32 v10, 3, v10
	ds_write_b64 v10, v[6:7]
	v_sub_u32_e32 v6, v27, v36
	v_sub_u32_e32 v7, v1, v6
	v_and_b32_e32 v10, 1, v35
	v_add_u32_e32 v7, 3, v7
	v_cmp_eq_u32_e32 vcc, 1, v10
	s_nop 1
	v_cndmask_b32_e32 v6, v7, v6, vcc
	v_lshlrev_b32_e32 v6, 3, v6
	ds_write_b64 v6, v[8:9]
	v_sub_u32_e32 v6, v26, v36
	v_sub_u32_e32 v7, v1, v6
	v_and_b32_e32 v8, 1, v33
	v_add_u32_e32 v7, 4, v7
	v_cmp_eq_u32_e32 vcc, 1, v8
	v_or_b32_e32 v26, 0xa00, v0
	s_nop 0
	v_cndmask_b32_e32 v6, v7, v6, vcc
	v_lshlrev_b32_e32 v6, 3, v6
	ds_write_b64 v6, v[2:3]
	v_sub_u32_e32 v2, v25, v36
	v_sub_u32_e32 v3, v1, v2
	v_and_b32_e32 v6, 1, v32
	v_add_u32_e32 v3, 5, v3
	v_cmp_eq_u32_e32 vcc, 1, v6
	v_or_b32_e32 v32, 0x400, v0
	;; [unrolled: 10-line block ×3, first 2 shown]
	s_nop 0
	v_cndmask_b32_e32 v1, v1, v2, vcc
	v_lshlrev_b32_e32 v1, 3, v1
	ds_write_b64 v1, v[14:15]
	v_mov_b32_e32 v1, 0
	s_waitcnt lgkmcnt(0)
	s_barrier
	ds_read2st64_b64 v[10:13], v22 offset1:8
	ds_read2st64_b64 v[6:9], v22 offset0:16 offset1:24
	ds_read2st64_b64 v[2:5], v22 offset0:32 offset1:40
	ds_read_b64 v[22:23], v22 offset:24576
	v_mov_b32_e32 v37, v1
	s_waitcnt vmcnt(0)
	v_lshl_add_u64 v[14:15], v[20:21], 0, v[36:37]
	v_mov_b32_e32 v20, s35
	v_sub_co_u32_e32 v18, vcc, s34, v18
	v_mov_b32_e32 v17, v1
	s_nop 0
	v_subb_co_u32_e32 v19, vcc, v20, v19, vcc
	v_lshl_add_u64 v[18:19], v[18:19], 0, v[16:17]
	v_mov_b32_e32 v35, v1
	v_mov_b32_e32 v33, v1
	;; [unrolled: 1-line block ×6, first 2 shown]
	s_and_b64 vcc, exec, s[2:3]
	v_lshl_add_u64 v[18:19], v[18:19], 0, v[14:15]
	s_cbranch_vccnz .LBB23_100
; %bb.68:
	v_cmp_ge_u32_e32 vcc, v0, v16
                                        ; implicit-def: $vgpr20_vgpr21
	s_and_saveexec_b64 s[0:1], vcc
	s_xor_b64 s[0:1], exec, s[0:1]
; %bb.69:
	v_not_b32_e32 v20, v0
	v_ashrrev_i32_e32 v21, 31, v20
	v_lshl_add_u64 v[20:21], v[18:19], 0, v[20:21]
; %bb.70:
	s_andn2_saveexec_b64 s[0:1], s[0:1]
; %bb.71:
	v_lshl_add_u64 v[20:21], v[14:15], 0, v[0:1]
; %bb.72:
	s_or_b64 exec, exec, s[0:1]
	v_lshl_add_u64 v[20:21], v[20:21], 3, s[22:23]
	v_cmp_ge_u32_e32 vcc, v34, v16
	s_waitcnt lgkmcnt(3)
	global_store_dwordx2 v[20:21], v[10:11], off
                                        ; implicit-def: $vgpr20_vgpr21
	s_and_saveexec_b64 s[0:1], vcc
	s_xor_b64 s[0:1], exec, s[0:1]
; %bb.73:
	v_xor_b32_e32 v20, 0xfffffdff, v0
	v_ashrrev_i32_e32 v21, 31, v20
	v_lshl_add_u64 v[20:21], v[18:19], 0, v[20:21]
; %bb.74:
	s_andn2_saveexec_b64 s[0:1], s[0:1]
; %bb.75:
	v_lshl_add_u64 v[20:21], v[14:15], 0, v[34:35]
; %bb.76:
	s_or_b64 exec, exec, s[0:1]
	v_lshl_add_u64 v[20:21], v[20:21], 3, s[22:23]
	v_cmp_ge_u32_e32 vcc, v32, v16
	global_store_dwordx2 v[20:21], v[12:13], off
                                        ; implicit-def: $vgpr20_vgpr21
	s_and_saveexec_b64 s[0:1], vcc
	s_xor_b64 s[0:1], exec, s[0:1]
; %bb.77:
	v_xor_b32_e32 v20, 0xfffffbff, v0
	v_ashrrev_i32_e32 v21, 31, v20
	v_lshl_add_u64 v[20:21], v[18:19], 0, v[20:21]
; %bb.78:
	s_andn2_saveexec_b64 s[0:1], s[0:1]
; %bb.79:
	v_lshl_add_u64 v[20:21], v[14:15], 0, v[32:33]
; %bb.80:
	s_or_b64 exec, exec, s[0:1]
	v_lshl_add_u64 v[20:21], v[20:21], 3, s[22:23]
	v_cmp_ge_u32_e32 vcc, v30, v16
	s_waitcnt lgkmcnt(2)
	global_store_dwordx2 v[20:21], v[6:7], off
                                        ; implicit-def: $vgpr20_vgpr21
	s_and_saveexec_b64 s[0:1], vcc
	s_xor_b64 s[0:1], exec, s[0:1]
; %bb.81:
	v_xor_b32_e32 v20, 0xfffff9ff, v0
	v_ashrrev_i32_e32 v21, 31, v20
	v_lshl_add_u64 v[20:21], v[18:19], 0, v[20:21]
; %bb.82:
	s_andn2_saveexec_b64 s[0:1], s[0:1]
; %bb.83:
	v_lshl_add_u64 v[20:21], v[14:15], 0, v[30:31]
; %bb.84:
	s_or_b64 exec, exec, s[0:1]
	v_lshl_add_u64 v[20:21], v[20:21], 3, s[22:23]
	v_cmp_ge_u32_e32 vcc, v28, v16
	global_store_dwordx2 v[20:21], v[8:9], off
                                        ; implicit-def: $vgpr20_vgpr21
	s_and_saveexec_b64 s[0:1], vcc
	s_xor_b64 s[0:1], exec, s[0:1]
; %bb.85:
	v_xor_b32_e32 v20, 0xfffff7ff, v0
	;; [unrolled: 33-line block ×3, first 2 shown]
	v_ashrrev_i32_e32 v21, 31, v20
	v_lshl_add_u64 v[20:21], v[18:19], 0, v[20:21]
; %bb.94:
	s_andn2_saveexec_b64 s[0:1], s[0:1]
; %bb.95:
	v_lshl_add_u64 v[20:21], v[14:15], 0, v[24:25]
; %bb.96:
	s_or_b64 exec, exec, s[0:1]
	s_mov_b64 s[0:1], -1
.LBB23_97:
	s_and_saveexec_b64 s[2:3], s[0:1]
	s_cbranch_execz .LBB23_144
.LBB23_98:
	v_lshl_add_u64 v[0:1], v[20:21], 3, s[22:23]
	s_waitcnt lgkmcnt(0)
	global_store_dwordx2 v[0:1], v[22:23], off
	s_or_b64 exec, exec, s[2:3]
	s_and_b64 s[0:1], s[20:21], s[26:27]
	s_and_saveexec_b64 s[2:3], s[0:1]
	s_cbranch_execnz .LBB23_145
.LBB23_99:
	s_endpgm
.LBB23_100:
	s_mov_b64 s[0:1], 0
                                        ; implicit-def: $vgpr20_vgpr21
	s_cbranch_execz .LBB23_97
; %bb.101:
	v_cmp_gt_u32_e32 vcc, s33, v0
	s_and_saveexec_b64 s[2:3], vcc
	s_cbranch_execz .LBB23_119
; %bb.102:
	v_cmp_ge_u32_e32 vcc, v0, v16
                                        ; implicit-def: $vgpr20_vgpr21
	s_and_saveexec_b64 s[4:5], vcc
	s_xor_b64 s[4:5], exec, s[4:5]
; %bb.103:
	v_not_b32_e32 v20, v0
	v_ashrrev_i32_e32 v21, 31, v20
	v_lshl_add_u64 v[20:21], v[18:19], 0, v[20:21]
; %bb.104:
	s_andn2_saveexec_b64 s[4:5], s[4:5]
; %bb.105:
	v_lshl_add_u64 v[20:21], v[14:15], 0, v[0:1]
; %bb.106:
	s_or_b64 exec, exec, s[4:5]
	v_lshl_add_u64 v[20:21], v[20:21], 3, s[22:23]
	s_waitcnt lgkmcnt(3)
	global_store_dwordx2 v[20:21], v[10:11], off
	s_or_b64 exec, exec, s[2:3]
	v_cmp_gt_u32_e32 vcc, s33, v34
	s_and_saveexec_b64 s[2:3], vcc
	s_cbranch_execnz .LBB23_120
.LBB23_107:
	s_or_b64 exec, exec, s[2:3]
	v_cmp_gt_u32_e32 vcc, s33, v32
	s_and_saveexec_b64 s[2:3], vcc
	s_cbranch_execz .LBB23_125
.LBB23_108:
	v_cmp_ge_u32_e32 vcc, v32, v16
                                        ; implicit-def: $vgpr10_vgpr11
	s_and_saveexec_b64 s[4:5], vcc
	s_xor_b64 s[4:5], exec, s[4:5]
	s_cbranch_execz .LBB23_110
; %bb.109:
	s_waitcnt lgkmcnt(3)
	v_xor_b32_e32 v10, 0xfffffbff, v0
	v_ashrrev_i32_e32 v11, 31, v10
	v_lshl_add_u64 v[10:11], v[18:19], 0, v[10:11]
                                        ; implicit-def: $vgpr32_vgpr33
.LBB23_110:
	s_andn2_saveexec_b64 s[4:5], s[4:5]
	s_cbranch_execz .LBB23_112
; %bb.111:
	s_waitcnt lgkmcnt(3)
	v_lshl_add_u64 v[10:11], v[14:15], 0, v[32:33]
.LBB23_112:
	s_or_b64 exec, exec, s[4:5]
	s_waitcnt lgkmcnt(3)
	v_lshl_add_u64 v[10:11], v[10:11], 3, s[22:23]
	s_waitcnt lgkmcnt(2)
	global_store_dwordx2 v[10:11], v[6:7], off
	s_or_b64 exec, exec, s[2:3]
	v_cmp_gt_u32_e32 vcc, s33, v30
	s_and_saveexec_b64 s[2:3], vcc
	s_cbranch_execnz .LBB23_126
.LBB23_113:
	s_or_b64 exec, exec, s[2:3]
	v_cmp_gt_u32_e32 vcc, s33, v28
	s_and_saveexec_b64 s[2:3], vcc
	s_cbranch_execz .LBB23_131
.LBB23_114:
	v_cmp_ge_u32_e32 vcc, v28, v16
                                        ; implicit-def: $vgpr6_vgpr7
	s_and_saveexec_b64 s[4:5], vcc
	s_xor_b64 s[4:5], exec, s[4:5]
	s_cbranch_execz .LBB23_116
; %bb.115:
	s_waitcnt lgkmcnt(2)
	v_xor_b32_e32 v6, 0xfffff7ff, v0
	v_ashrrev_i32_e32 v7, 31, v6
	v_lshl_add_u64 v[6:7], v[18:19], 0, v[6:7]
                                        ; implicit-def: $vgpr28_vgpr29
.LBB23_116:
	s_andn2_saveexec_b64 s[4:5], s[4:5]
	s_cbranch_execz .LBB23_118
; %bb.117:
	s_waitcnt lgkmcnt(2)
	v_lshl_add_u64 v[6:7], v[14:15], 0, v[28:29]
.LBB23_118:
	s_or_b64 exec, exec, s[4:5]
	s_waitcnt lgkmcnt(2)
	v_lshl_add_u64 v[6:7], v[6:7], 3, s[22:23]
	s_waitcnt lgkmcnt(1)
	global_store_dwordx2 v[6:7], v[2:3], off
	s_or_b64 exec, exec, s[2:3]
	v_cmp_gt_u32_e32 vcc, s33, v26
	s_and_saveexec_b64 s[2:3], vcc
	s_cbranch_execz .LBB23_137
	s_branch .LBB23_132
.LBB23_119:
	s_or_b64 exec, exec, s[2:3]
	v_cmp_gt_u32_e32 vcc, s33, v34
	s_and_saveexec_b64 s[2:3], vcc
	s_cbranch_execz .LBB23_107
.LBB23_120:
	v_cmp_ge_u32_e32 vcc, v34, v16
                                        ; implicit-def: $vgpr10_vgpr11
	s_and_saveexec_b64 s[4:5], vcc
	s_xor_b64 s[4:5], exec, s[4:5]
	s_cbranch_execz .LBB23_122
; %bb.121:
	s_waitcnt lgkmcnt(3)
	v_xor_b32_e32 v10, 0xfffffdff, v0
	v_ashrrev_i32_e32 v11, 31, v10
	v_lshl_add_u64 v[10:11], v[18:19], 0, v[10:11]
                                        ; implicit-def: $vgpr34_vgpr35
.LBB23_122:
	s_andn2_saveexec_b64 s[4:5], s[4:5]
	s_cbranch_execz .LBB23_124
; %bb.123:
	s_waitcnt lgkmcnt(3)
	v_lshl_add_u64 v[10:11], v[14:15], 0, v[34:35]
.LBB23_124:
	s_or_b64 exec, exec, s[4:5]
	s_waitcnt lgkmcnt(3)
	v_lshl_add_u64 v[10:11], v[10:11], 3, s[22:23]
	global_store_dwordx2 v[10:11], v[12:13], off
	s_or_b64 exec, exec, s[2:3]
	v_cmp_gt_u32_e32 vcc, s33, v32
	s_and_saveexec_b64 s[2:3], vcc
	s_cbranch_execnz .LBB23_108
.LBB23_125:
	s_or_b64 exec, exec, s[2:3]
	v_cmp_gt_u32_e32 vcc, s33, v30
	s_and_saveexec_b64 s[2:3], vcc
	s_cbranch_execz .LBB23_113
.LBB23_126:
	v_cmp_ge_u32_e32 vcc, v30, v16
                                        ; implicit-def: $vgpr6_vgpr7
	s_and_saveexec_b64 s[4:5], vcc
	s_xor_b64 s[4:5], exec, s[4:5]
	s_cbranch_execz .LBB23_128
; %bb.127:
	s_waitcnt lgkmcnt(2)
	v_xor_b32_e32 v6, 0xfffff9ff, v0
	v_ashrrev_i32_e32 v7, 31, v6
	v_lshl_add_u64 v[6:7], v[18:19], 0, v[6:7]
                                        ; implicit-def: $vgpr30_vgpr31
.LBB23_128:
	s_andn2_saveexec_b64 s[4:5], s[4:5]
	s_cbranch_execz .LBB23_130
; %bb.129:
	s_waitcnt lgkmcnt(2)
	v_lshl_add_u64 v[6:7], v[14:15], 0, v[30:31]
.LBB23_130:
	s_or_b64 exec, exec, s[4:5]
	s_waitcnt lgkmcnt(2)
	v_lshl_add_u64 v[6:7], v[6:7], 3, s[22:23]
	global_store_dwordx2 v[6:7], v[8:9], off
	s_or_b64 exec, exec, s[2:3]
	v_cmp_gt_u32_e32 vcc, s33, v28
	s_and_saveexec_b64 s[2:3], vcc
	s_cbranch_execnz .LBB23_114
.LBB23_131:
	s_or_b64 exec, exec, s[2:3]
	v_cmp_gt_u32_e32 vcc, s33, v26
	s_and_saveexec_b64 s[2:3], vcc
	s_cbranch_execz .LBB23_137
.LBB23_132:
	v_cmp_ge_u32_e32 vcc, v26, v16
                                        ; implicit-def: $vgpr2_vgpr3
	s_and_saveexec_b64 s[4:5], vcc
	s_xor_b64 s[4:5], exec, s[4:5]
	s_cbranch_execz .LBB23_134
; %bb.133:
	s_waitcnt lgkmcnt(1)
	v_xor_b32_e32 v2, 0xfffff5ff, v0
	v_ashrrev_i32_e32 v3, 31, v2
	v_lshl_add_u64 v[2:3], v[18:19], 0, v[2:3]
                                        ; implicit-def: $vgpr26_vgpr27
.LBB23_134:
	s_andn2_saveexec_b64 s[4:5], s[4:5]
	s_cbranch_execz .LBB23_136
; %bb.135:
	s_waitcnt lgkmcnt(1)
	v_lshl_add_u64 v[2:3], v[14:15], 0, v[26:27]
.LBB23_136:
	s_or_b64 exec, exec, s[4:5]
	s_waitcnt lgkmcnt(1)
	v_lshl_add_u64 v[2:3], v[2:3], 3, s[22:23]
	global_store_dwordx2 v[2:3], v[4:5], off
.LBB23_137:
	s_or_b64 exec, exec, s[2:3]
	v_cmp_gt_u32_e32 vcc, s33, v24
                                        ; implicit-def: $vgpr20_vgpr21
	s_and_saveexec_b64 s[2:3], vcc
	s_cbranch_execz .LBB23_143
; %bb.138:
	v_cmp_ge_u32_e32 vcc, v24, v16
                                        ; implicit-def: $vgpr20_vgpr21
	s_and_saveexec_b64 s[4:5], vcc
	s_xor_b64 s[4:5], exec, s[4:5]
; %bb.139:
	v_xor_b32_e32 v0, 0xfffff3ff, v0
	v_ashrrev_i32_e32 v1, 31, v0
	v_lshl_add_u64 v[20:21], v[18:19], 0, v[0:1]
                                        ; implicit-def: $vgpr24_vgpr25
; %bb.140:
	s_andn2_saveexec_b64 s[4:5], s[4:5]
; %bb.141:
	v_lshl_add_u64 v[20:21], v[14:15], 0, v[24:25]
; %bb.142:
	s_or_b64 exec, exec, s[4:5]
	s_or_b64 s[0:1], s[0:1], exec
.LBB23_143:
	s_or_b64 exec, exec, s[2:3]
	s_and_saveexec_b64 s[2:3], s[0:1]
	s_cbranch_execnz .LBB23_98
.LBB23_144:
	s_or_b64 exec, exec, s[2:3]
	s_and_b64 s[0:1], s[20:21], s[26:27]
	s_and_saveexec_b64 s[2:3], s[0:1]
	s_cbranch_execz .LBB23_99
.LBB23_145:
	s_waitcnt lgkmcnt(1)
	v_mov_b32_e32 v2, 0
	v_lshl_add_u64 v[0:1], v[14:15], 0, v[16:17]
	global_store_dwordx2 v2, v[0:1], s[24:25]
	s_endpgm
	.section	.rodata,"a",@progbits
	.p2align	6, 0x0
	.amdhsa_kernel _ZN7rocprim17ROCPRIM_400000_NS6detail17trampoline_kernelINS0_14default_configENS1_25partition_config_selectorILNS1_17partition_subalgoE3ExNS0_10empty_typeEbEEZZNS1_14partition_implILS5_3ELb0ES3_jN6thrust23THRUST_200600_302600_NS6detail15normal_iteratorINSA_7pointerIxNSA_11hip_rocprim3tagENSA_11use_defaultESG_EEEEPS6_SJ_NS0_5tupleIJPxSJ_EEENSK_IJSJ_SJ_EEES6_PlJ7is_evenIxEEEE10hipError_tPvRmT3_T4_T5_T6_T7_T9_mT8_P12ihipStream_tbDpT10_ENKUlT_T0_E_clISt17integral_constantIbLb1EES1A_EEDaS15_S16_EUlS15_E_NS1_11comp_targetILNS1_3genE5ELNS1_11target_archE942ELNS1_3gpuE9ELNS1_3repE0EEENS1_30default_config_static_selectorELNS0_4arch9wavefront6targetE1EEEvT1_
		.amdhsa_group_segment_fixed_size 28680
		.amdhsa_private_segment_fixed_size 0
		.amdhsa_kernarg_size 136
		.amdhsa_user_sgpr_count 2
		.amdhsa_user_sgpr_dispatch_ptr 0
		.amdhsa_user_sgpr_queue_ptr 0
		.amdhsa_user_sgpr_kernarg_segment_ptr 1
		.amdhsa_user_sgpr_dispatch_id 0
		.amdhsa_user_sgpr_kernarg_preload_length 0
		.amdhsa_user_sgpr_kernarg_preload_offset 0
		.amdhsa_user_sgpr_private_segment_size 0
		.amdhsa_uses_dynamic_stack 0
		.amdhsa_enable_private_segment 0
		.amdhsa_system_sgpr_workgroup_id_x 1
		.amdhsa_system_sgpr_workgroup_id_y 0
		.amdhsa_system_sgpr_workgroup_id_z 0
		.amdhsa_system_sgpr_workgroup_info 0
		.amdhsa_system_vgpr_workitem_id 0
		.amdhsa_next_free_vgpr 61
		.amdhsa_next_free_sgpr 44
		.amdhsa_accum_offset 64
		.amdhsa_reserve_vcc 1
		.amdhsa_float_round_mode_32 0
		.amdhsa_float_round_mode_16_64 0
		.amdhsa_float_denorm_mode_32 3
		.amdhsa_float_denorm_mode_16_64 3
		.amdhsa_dx10_clamp 1
		.amdhsa_ieee_mode 1
		.amdhsa_fp16_overflow 0
		.amdhsa_tg_split 0
		.amdhsa_exception_fp_ieee_invalid_op 0
		.amdhsa_exception_fp_denorm_src 0
		.amdhsa_exception_fp_ieee_div_zero 0
		.amdhsa_exception_fp_ieee_overflow 0
		.amdhsa_exception_fp_ieee_underflow 0
		.amdhsa_exception_fp_ieee_inexact 0
		.amdhsa_exception_int_div_zero 0
	.end_amdhsa_kernel
	.section	.text._ZN7rocprim17ROCPRIM_400000_NS6detail17trampoline_kernelINS0_14default_configENS1_25partition_config_selectorILNS1_17partition_subalgoE3ExNS0_10empty_typeEbEEZZNS1_14partition_implILS5_3ELb0ES3_jN6thrust23THRUST_200600_302600_NS6detail15normal_iteratorINSA_7pointerIxNSA_11hip_rocprim3tagENSA_11use_defaultESG_EEEEPS6_SJ_NS0_5tupleIJPxSJ_EEENSK_IJSJ_SJ_EEES6_PlJ7is_evenIxEEEE10hipError_tPvRmT3_T4_T5_T6_T7_T9_mT8_P12ihipStream_tbDpT10_ENKUlT_T0_E_clISt17integral_constantIbLb1EES1A_EEDaS15_S16_EUlS15_E_NS1_11comp_targetILNS1_3genE5ELNS1_11target_archE942ELNS1_3gpuE9ELNS1_3repE0EEENS1_30default_config_static_selectorELNS0_4arch9wavefront6targetE1EEEvT1_,"axG",@progbits,_ZN7rocprim17ROCPRIM_400000_NS6detail17trampoline_kernelINS0_14default_configENS1_25partition_config_selectorILNS1_17partition_subalgoE3ExNS0_10empty_typeEbEEZZNS1_14partition_implILS5_3ELb0ES3_jN6thrust23THRUST_200600_302600_NS6detail15normal_iteratorINSA_7pointerIxNSA_11hip_rocprim3tagENSA_11use_defaultESG_EEEEPS6_SJ_NS0_5tupleIJPxSJ_EEENSK_IJSJ_SJ_EEES6_PlJ7is_evenIxEEEE10hipError_tPvRmT3_T4_T5_T6_T7_T9_mT8_P12ihipStream_tbDpT10_ENKUlT_T0_E_clISt17integral_constantIbLb1EES1A_EEDaS15_S16_EUlS15_E_NS1_11comp_targetILNS1_3genE5ELNS1_11target_archE942ELNS1_3gpuE9ELNS1_3repE0EEENS1_30default_config_static_selectorELNS0_4arch9wavefront6targetE1EEEvT1_,comdat
.Lfunc_end23:
	.size	_ZN7rocprim17ROCPRIM_400000_NS6detail17trampoline_kernelINS0_14default_configENS1_25partition_config_selectorILNS1_17partition_subalgoE3ExNS0_10empty_typeEbEEZZNS1_14partition_implILS5_3ELb0ES3_jN6thrust23THRUST_200600_302600_NS6detail15normal_iteratorINSA_7pointerIxNSA_11hip_rocprim3tagENSA_11use_defaultESG_EEEEPS6_SJ_NS0_5tupleIJPxSJ_EEENSK_IJSJ_SJ_EEES6_PlJ7is_evenIxEEEE10hipError_tPvRmT3_T4_T5_T6_T7_T9_mT8_P12ihipStream_tbDpT10_ENKUlT_T0_E_clISt17integral_constantIbLb1EES1A_EEDaS15_S16_EUlS15_E_NS1_11comp_targetILNS1_3genE5ELNS1_11target_archE942ELNS1_3gpuE9ELNS1_3repE0EEENS1_30default_config_static_selectorELNS0_4arch9wavefront6targetE1EEEvT1_, .Lfunc_end23-_ZN7rocprim17ROCPRIM_400000_NS6detail17trampoline_kernelINS0_14default_configENS1_25partition_config_selectorILNS1_17partition_subalgoE3ExNS0_10empty_typeEbEEZZNS1_14partition_implILS5_3ELb0ES3_jN6thrust23THRUST_200600_302600_NS6detail15normal_iteratorINSA_7pointerIxNSA_11hip_rocprim3tagENSA_11use_defaultESG_EEEEPS6_SJ_NS0_5tupleIJPxSJ_EEENSK_IJSJ_SJ_EEES6_PlJ7is_evenIxEEEE10hipError_tPvRmT3_T4_T5_T6_T7_T9_mT8_P12ihipStream_tbDpT10_ENKUlT_T0_E_clISt17integral_constantIbLb1EES1A_EEDaS15_S16_EUlS15_E_NS1_11comp_targetILNS1_3genE5ELNS1_11target_archE942ELNS1_3gpuE9ELNS1_3repE0EEENS1_30default_config_static_selectorELNS0_4arch9wavefront6targetE1EEEvT1_
                                        ; -- End function
	.section	.AMDGPU.csdata,"",@progbits
; Kernel info:
; codeLenInByte = 5220
; NumSgprs: 50
; NumVgprs: 61
; NumAgprs: 0
; TotalNumVgprs: 61
; ScratchSize: 0
; MemoryBound: 0
; FloatMode: 240
; IeeeMode: 1
; LDSByteSize: 28680 bytes/workgroup (compile time only)
; SGPRBlocks: 6
; VGPRBlocks: 7
; NumSGPRsForWavesPerEU: 50
; NumVGPRsForWavesPerEU: 61
; AccumOffset: 64
; Occupancy: 4
; WaveLimiterHint : 1
; COMPUTE_PGM_RSRC2:SCRATCH_EN: 0
; COMPUTE_PGM_RSRC2:USER_SGPR: 2
; COMPUTE_PGM_RSRC2:TRAP_HANDLER: 0
; COMPUTE_PGM_RSRC2:TGID_X_EN: 1
; COMPUTE_PGM_RSRC2:TGID_Y_EN: 0
; COMPUTE_PGM_RSRC2:TGID_Z_EN: 0
; COMPUTE_PGM_RSRC2:TIDIG_COMP_CNT: 0
; COMPUTE_PGM_RSRC3_GFX90A:ACCUM_OFFSET: 15
; COMPUTE_PGM_RSRC3_GFX90A:TG_SPLIT: 0
	.section	.text._ZN7rocprim17ROCPRIM_400000_NS6detail17trampoline_kernelINS0_14default_configENS1_25partition_config_selectorILNS1_17partition_subalgoE3ExNS0_10empty_typeEbEEZZNS1_14partition_implILS5_3ELb0ES3_jN6thrust23THRUST_200600_302600_NS6detail15normal_iteratorINSA_7pointerIxNSA_11hip_rocprim3tagENSA_11use_defaultESG_EEEEPS6_SJ_NS0_5tupleIJPxSJ_EEENSK_IJSJ_SJ_EEES6_PlJ7is_evenIxEEEE10hipError_tPvRmT3_T4_T5_T6_T7_T9_mT8_P12ihipStream_tbDpT10_ENKUlT_T0_E_clISt17integral_constantIbLb1EES1A_EEDaS15_S16_EUlS15_E_NS1_11comp_targetILNS1_3genE4ELNS1_11target_archE910ELNS1_3gpuE8ELNS1_3repE0EEENS1_30default_config_static_selectorELNS0_4arch9wavefront6targetE1EEEvT1_,"axG",@progbits,_ZN7rocprim17ROCPRIM_400000_NS6detail17trampoline_kernelINS0_14default_configENS1_25partition_config_selectorILNS1_17partition_subalgoE3ExNS0_10empty_typeEbEEZZNS1_14partition_implILS5_3ELb0ES3_jN6thrust23THRUST_200600_302600_NS6detail15normal_iteratorINSA_7pointerIxNSA_11hip_rocprim3tagENSA_11use_defaultESG_EEEEPS6_SJ_NS0_5tupleIJPxSJ_EEENSK_IJSJ_SJ_EEES6_PlJ7is_evenIxEEEE10hipError_tPvRmT3_T4_T5_T6_T7_T9_mT8_P12ihipStream_tbDpT10_ENKUlT_T0_E_clISt17integral_constantIbLb1EES1A_EEDaS15_S16_EUlS15_E_NS1_11comp_targetILNS1_3genE4ELNS1_11target_archE910ELNS1_3gpuE8ELNS1_3repE0EEENS1_30default_config_static_selectorELNS0_4arch9wavefront6targetE1EEEvT1_,comdat
	.protected	_ZN7rocprim17ROCPRIM_400000_NS6detail17trampoline_kernelINS0_14default_configENS1_25partition_config_selectorILNS1_17partition_subalgoE3ExNS0_10empty_typeEbEEZZNS1_14partition_implILS5_3ELb0ES3_jN6thrust23THRUST_200600_302600_NS6detail15normal_iteratorINSA_7pointerIxNSA_11hip_rocprim3tagENSA_11use_defaultESG_EEEEPS6_SJ_NS0_5tupleIJPxSJ_EEENSK_IJSJ_SJ_EEES6_PlJ7is_evenIxEEEE10hipError_tPvRmT3_T4_T5_T6_T7_T9_mT8_P12ihipStream_tbDpT10_ENKUlT_T0_E_clISt17integral_constantIbLb1EES1A_EEDaS15_S16_EUlS15_E_NS1_11comp_targetILNS1_3genE4ELNS1_11target_archE910ELNS1_3gpuE8ELNS1_3repE0EEENS1_30default_config_static_selectorELNS0_4arch9wavefront6targetE1EEEvT1_ ; -- Begin function _ZN7rocprim17ROCPRIM_400000_NS6detail17trampoline_kernelINS0_14default_configENS1_25partition_config_selectorILNS1_17partition_subalgoE3ExNS0_10empty_typeEbEEZZNS1_14partition_implILS5_3ELb0ES3_jN6thrust23THRUST_200600_302600_NS6detail15normal_iteratorINSA_7pointerIxNSA_11hip_rocprim3tagENSA_11use_defaultESG_EEEEPS6_SJ_NS0_5tupleIJPxSJ_EEENSK_IJSJ_SJ_EEES6_PlJ7is_evenIxEEEE10hipError_tPvRmT3_T4_T5_T6_T7_T9_mT8_P12ihipStream_tbDpT10_ENKUlT_T0_E_clISt17integral_constantIbLb1EES1A_EEDaS15_S16_EUlS15_E_NS1_11comp_targetILNS1_3genE4ELNS1_11target_archE910ELNS1_3gpuE8ELNS1_3repE0EEENS1_30default_config_static_selectorELNS0_4arch9wavefront6targetE1EEEvT1_
	.globl	_ZN7rocprim17ROCPRIM_400000_NS6detail17trampoline_kernelINS0_14default_configENS1_25partition_config_selectorILNS1_17partition_subalgoE3ExNS0_10empty_typeEbEEZZNS1_14partition_implILS5_3ELb0ES3_jN6thrust23THRUST_200600_302600_NS6detail15normal_iteratorINSA_7pointerIxNSA_11hip_rocprim3tagENSA_11use_defaultESG_EEEEPS6_SJ_NS0_5tupleIJPxSJ_EEENSK_IJSJ_SJ_EEES6_PlJ7is_evenIxEEEE10hipError_tPvRmT3_T4_T5_T6_T7_T9_mT8_P12ihipStream_tbDpT10_ENKUlT_T0_E_clISt17integral_constantIbLb1EES1A_EEDaS15_S16_EUlS15_E_NS1_11comp_targetILNS1_3genE4ELNS1_11target_archE910ELNS1_3gpuE8ELNS1_3repE0EEENS1_30default_config_static_selectorELNS0_4arch9wavefront6targetE1EEEvT1_
	.p2align	8
	.type	_ZN7rocprim17ROCPRIM_400000_NS6detail17trampoline_kernelINS0_14default_configENS1_25partition_config_selectorILNS1_17partition_subalgoE3ExNS0_10empty_typeEbEEZZNS1_14partition_implILS5_3ELb0ES3_jN6thrust23THRUST_200600_302600_NS6detail15normal_iteratorINSA_7pointerIxNSA_11hip_rocprim3tagENSA_11use_defaultESG_EEEEPS6_SJ_NS0_5tupleIJPxSJ_EEENSK_IJSJ_SJ_EEES6_PlJ7is_evenIxEEEE10hipError_tPvRmT3_T4_T5_T6_T7_T9_mT8_P12ihipStream_tbDpT10_ENKUlT_T0_E_clISt17integral_constantIbLb1EES1A_EEDaS15_S16_EUlS15_E_NS1_11comp_targetILNS1_3genE4ELNS1_11target_archE910ELNS1_3gpuE8ELNS1_3repE0EEENS1_30default_config_static_selectorELNS0_4arch9wavefront6targetE1EEEvT1_,@function
_ZN7rocprim17ROCPRIM_400000_NS6detail17trampoline_kernelINS0_14default_configENS1_25partition_config_selectorILNS1_17partition_subalgoE3ExNS0_10empty_typeEbEEZZNS1_14partition_implILS5_3ELb0ES3_jN6thrust23THRUST_200600_302600_NS6detail15normal_iteratorINSA_7pointerIxNSA_11hip_rocprim3tagENSA_11use_defaultESG_EEEEPS6_SJ_NS0_5tupleIJPxSJ_EEENSK_IJSJ_SJ_EEES6_PlJ7is_evenIxEEEE10hipError_tPvRmT3_T4_T5_T6_T7_T9_mT8_P12ihipStream_tbDpT10_ENKUlT_T0_E_clISt17integral_constantIbLb1EES1A_EEDaS15_S16_EUlS15_E_NS1_11comp_targetILNS1_3genE4ELNS1_11target_archE910ELNS1_3gpuE8ELNS1_3repE0EEENS1_30default_config_static_selectorELNS0_4arch9wavefront6targetE1EEEvT1_: ; @_ZN7rocprim17ROCPRIM_400000_NS6detail17trampoline_kernelINS0_14default_configENS1_25partition_config_selectorILNS1_17partition_subalgoE3ExNS0_10empty_typeEbEEZZNS1_14partition_implILS5_3ELb0ES3_jN6thrust23THRUST_200600_302600_NS6detail15normal_iteratorINSA_7pointerIxNSA_11hip_rocprim3tagENSA_11use_defaultESG_EEEEPS6_SJ_NS0_5tupleIJPxSJ_EEENSK_IJSJ_SJ_EEES6_PlJ7is_evenIxEEEE10hipError_tPvRmT3_T4_T5_T6_T7_T9_mT8_P12ihipStream_tbDpT10_ENKUlT_T0_E_clISt17integral_constantIbLb1EES1A_EEDaS15_S16_EUlS15_E_NS1_11comp_targetILNS1_3genE4ELNS1_11target_archE910ELNS1_3gpuE8ELNS1_3repE0EEENS1_30default_config_static_selectorELNS0_4arch9wavefront6targetE1EEEvT1_
; %bb.0:
	.section	.rodata,"a",@progbits
	.p2align	6, 0x0
	.amdhsa_kernel _ZN7rocprim17ROCPRIM_400000_NS6detail17trampoline_kernelINS0_14default_configENS1_25partition_config_selectorILNS1_17partition_subalgoE3ExNS0_10empty_typeEbEEZZNS1_14partition_implILS5_3ELb0ES3_jN6thrust23THRUST_200600_302600_NS6detail15normal_iteratorINSA_7pointerIxNSA_11hip_rocprim3tagENSA_11use_defaultESG_EEEEPS6_SJ_NS0_5tupleIJPxSJ_EEENSK_IJSJ_SJ_EEES6_PlJ7is_evenIxEEEE10hipError_tPvRmT3_T4_T5_T6_T7_T9_mT8_P12ihipStream_tbDpT10_ENKUlT_T0_E_clISt17integral_constantIbLb1EES1A_EEDaS15_S16_EUlS15_E_NS1_11comp_targetILNS1_3genE4ELNS1_11target_archE910ELNS1_3gpuE8ELNS1_3repE0EEENS1_30default_config_static_selectorELNS0_4arch9wavefront6targetE1EEEvT1_
		.amdhsa_group_segment_fixed_size 0
		.amdhsa_private_segment_fixed_size 0
		.amdhsa_kernarg_size 136
		.amdhsa_user_sgpr_count 2
		.amdhsa_user_sgpr_dispatch_ptr 0
		.amdhsa_user_sgpr_queue_ptr 0
		.amdhsa_user_sgpr_kernarg_segment_ptr 1
		.amdhsa_user_sgpr_dispatch_id 0
		.amdhsa_user_sgpr_kernarg_preload_length 0
		.amdhsa_user_sgpr_kernarg_preload_offset 0
		.amdhsa_user_sgpr_private_segment_size 0
		.amdhsa_uses_dynamic_stack 0
		.amdhsa_enable_private_segment 0
		.amdhsa_system_sgpr_workgroup_id_x 1
		.amdhsa_system_sgpr_workgroup_id_y 0
		.amdhsa_system_sgpr_workgroup_id_z 0
		.amdhsa_system_sgpr_workgroup_info 0
		.amdhsa_system_vgpr_workitem_id 0
		.amdhsa_next_free_vgpr 1
		.amdhsa_next_free_sgpr 0
		.amdhsa_accum_offset 4
		.amdhsa_reserve_vcc 0
		.amdhsa_float_round_mode_32 0
		.amdhsa_float_round_mode_16_64 0
		.amdhsa_float_denorm_mode_32 3
		.amdhsa_float_denorm_mode_16_64 3
		.amdhsa_dx10_clamp 1
		.amdhsa_ieee_mode 1
		.amdhsa_fp16_overflow 0
		.amdhsa_tg_split 0
		.amdhsa_exception_fp_ieee_invalid_op 0
		.amdhsa_exception_fp_denorm_src 0
		.amdhsa_exception_fp_ieee_div_zero 0
		.amdhsa_exception_fp_ieee_overflow 0
		.amdhsa_exception_fp_ieee_underflow 0
		.amdhsa_exception_fp_ieee_inexact 0
		.amdhsa_exception_int_div_zero 0
	.end_amdhsa_kernel
	.section	.text._ZN7rocprim17ROCPRIM_400000_NS6detail17trampoline_kernelINS0_14default_configENS1_25partition_config_selectorILNS1_17partition_subalgoE3ExNS0_10empty_typeEbEEZZNS1_14partition_implILS5_3ELb0ES3_jN6thrust23THRUST_200600_302600_NS6detail15normal_iteratorINSA_7pointerIxNSA_11hip_rocprim3tagENSA_11use_defaultESG_EEEEPS6_SJ_NS0_5tupleIJPxSJ_EEENSK_IJSJ_SJ_EEES6_PlJ7is_evenIxEEEE10hipError_tPvRmT3_T4_T5_T6_T7_T9_mT8_P12ihipStream_tbDpT10_ENKUlT_T0_E_clISt17integral_constantIbLb1EES1A_EEDaS15_S16_EUlS15_E_NS1_11comp_targetILNS1_3genE4ELNS1_11target_archE910ELNS1_3gpuE8ELNS1_3repE0EEENS1_30default_config_static_selectorELNS0_4arch9wavefront6targetE1EEEvT1_,"axG",@progbits,_ZN7rocprim17ROCPRIM_400000_NS6detail17trampoline_kernelINS0_14default_configENS1_25partition_config_selectorILNS1_17partition_subalgoE3ExNS0_10empty_typeEbEEZZNS1_14partition_implILS5_3ELb0ES3_jN6thrust23THRUST_200600_302600_NS6detail15normal_iteratorINSA_7pointerIxNSA_11hip_rocprim3tagENSA_11use_defaultESG_EEEEPS6_SJ_NS0_5tupleIJPxSJ_EEENSK_IJSJ_SJ_EEES6_PlJ7is_evenIxEEEE10hipError_tPvRmT3_T4_T5_T6_T7_T9_mT8_P12ihipStream_tbDpT10_ENKUlT_T0_E_clISt17integral_constantIbLb1EES1A_EEDaS15_S16_EUlS15_E_NS1_11comp_targetILNS1_3genE4ELNS1_11target_archE910ELNS1_3gpuE8ELNS1_3repE0EEENS1_30default_config_static_selectorELNS0_4arch9wavefront6targetE1EEEvT1_,comdat
.Lfunc_end24:
	.size	_ZN7rocprim17ROCPRIM_400000_NS6detail17trampoline_kernelINS0_14default_configENS1_25partition_config_selectorILNS1_17partition_subalgoE3ExNS0_10empty_typeEbEEZZNS1_14partition_implILS5_3ELb0ES3_jN6thrust23THRUST_200600_302600_NS6detail15normal_iteratorINSA_7pointerIxNSA_11hip_rocprim3tagENSA_11use_defaultESG_EEEEPS6_SJ_NS0_5tupleIJPxSJ_EEENSK_IJSJ_SJ_EEES6_PlJ7is_evenIxEEEE10hipError_tPvRmT3_T4_T5_T6_T7_T9_mT8_P12ihipStream_tbDpT10_ENKUlT_T0_E_clISt17integral_constantIbLb1EES1A_EEDaS15_S16_EUlS15_E_NS1_11comp_targetILNS1_3genE4ELNS1_11target_archE910ELNS1_3gpuE8ELNS1_3repE0EEENS1_30default_config_static_selectorELNS0_4arch9wavefront6targetE1EEEvT1_, .Lfunc_end24-_ZN7rocprim17ROCPRIM_400000_NS6detail17trampoline_kernelINS0_14default_configENS1_25partition_config_selectorILNS1_17partition_subalgoE3ExNS0_10empty_typeEbEEZZNS1_14partition_implILS5_3ELb0ES3_jN6thrust23THRUST_200600_302600_NS6detail15normal_iteratorINSA_7pointerIxNSA_11hip_rocprim3tagENSA_11use_defaultESG_EEEEPS6_SJ_NS0_5tupleIJPxSJ_EEENSK_IJSJ_SJ_EEES6_PlJ7is_evenIxEEEE10hipError_tPvRmT3_T4_T5_T6_T7_T9_mT8_P12ihipStream_tbDpT10_ENKUlT_T0_E_clISt17integral_constantIbLb1EES1A_EEDaS15_S16_EUlS15_E_NS1_11comp_targetILNS1_3genE4ELNS1_11target_archE910ELNS1_3gpuE8ELNS1_3repE0EEENS1_30default_config_static_selectorELNS0_4arch9wavefront6targetE1EEEvT1_
                                        ; -- End function
	.section	.AMDGPU.csdata,"",@progbits
; Kernel info:
; codeLenInByte = 0
; NumSgprs: 6
; NumVgprs: 0
; NumAgprs: 0
; TotalNumVgprs: 0
; ScratchSize: 0
; MemoryBound: 0
; FloatMode: 240
; IeeeMode: 1
; LDSByteSize: 0 bytes/workgroup (compile time only)
; SGPRBlocks: 0
; VGPRBlocks: 0
; NumSGPRsForWavesPerEU: 6
; NumVGPRsForWavesPerEU: 1
; AccumOffset: 4
; Occupancy: 8
; WaveLimiterHint : 0
; COMPUTE_PGM_RSRC2:SCRATCH_EN: 0
; COMPUTE_PGM_RSRC2:USER_SGPR: 2
; COMPUTE_PGM_RSRC2:TRAP_HANDLER: 0
; COMPUTE_PGM_RSRC2:TGID_X_EN: 1
; COMPUTE_PGM_RSRC2:TGID_Y_EN: 0
; COMPUTE_PGM_RSRC2:TGID_Z_EN: 0
; COMPUTE_PGM_RSRC2:TIDIG_COMP_CNT: 0
; COMPUTE_PGM_RSRC3_GFX90A:ACCUM_OFFSET: 0
; COMPUTE_PGM_RSRC3_GFX90A:TG_SPLIT: 0
	.section	.text._ZN7rocprim17ROCPRIM_400000_NS6detail17trampoline_kernelINS0_14default_configENS1_25partition_config_selectorILNS1_17partition_subalgoE3ExNS0_10empty_typeEbEEZZNS1_14partition_implILS5_3ELb0ES3_jN6thrust23THRUST_200600_302600_NS6detail15normal_iteratorINSA_7pointerIxNSA_11hip_rocprim3tagENSA_11use_defaultESG_EEEEPS6_SJ_NS0_5tupleIJPxSJ_EEENSK_IJSJ_SJ_EEES6_PlJ7is_evenIxEEEE10hipError_tPvRmT3_T4_T5_T6_T7_T9_mT8_P12ihipStream_tbDpT10_ENKUlT_T0_E_clISt17integral_constantIbLb1EES1A_EEDaS15_S16_EUlS15_E_NS1_11comp_targetILNS1_3genE3ELNS1_11target_archE908ELNS1_3gpuE7ELNS1_3repE0EEENS1_30default_config_static_selectorELNS0_4arch9wavefront6targetE1EEEvT1_,"axG",@progbits,_ZN7rocprim17ROCPRIM_400000_NS6detail17trampoline_kernelINS0_14default_configENS1_25partition_config_selectorILNS1_17partition_subalgoE3ExNS0_10empty_typeEbEEZZNS1_14partition_implILS5_3ELb0ES3_jN6thrust23THRUST_200600_302600_NS6detail15normal_iteratorINSA_7pointerIxNSA_11hip_rocprim3tagENSA_11use_defaultESG_EEEEPS6_SJ_NS0_5tupleIJPxSJ_EEENSK_IJSJ_SJ_EEES6_PlJ7is_evenIxEEEE10hipError_tPvRmT3_T4_T5_T6_T7_T9_mT8_P12ihipStream_tbDpT10_ENKUlT_T0_E_clISt17integral_constantIbLb1EES1A_EEDaS15_S16_EUlS15_E_NS1_11comp_targetILNS1_3genE3ELNS1_11target_archE908ELNS1_3gpuE7ELNS1_3repE0EEENS1_30default_config_static_selectorELNS0_4arch9wavefront6targetE1EEEvT1_,comdat
	.protected	_ZN7rocprim17ROCPRIM_400000_NS6detail17trampoline_kernelINS0_14default_configENS1_25partition_config_selectorILNS1_17partition_subalgoE3ExNS0_10empty_typeEbEEZZNS1_14partition_implILS5_3ELb0ES3_jN6thrust23THRUST_200600_302600_NS6detail15normal_iteratorINSA_7pointerIxNSA_11hip_rocprim3tagENSA_11use_defaultESG_EEEEPS6_SJ_NS0_5tupleIJPxSJ_EEENSK_IJSJ_SJ_EEES6_PlJ7is_evenIxEEEE10hipError_tPvRmT3_T4_T5_T6_T7_T9_mT8_P12ihipStream_tbDpT10_ENKUlT_T0_E_clISt17integral_constantIbLb1EES1A_EEDaS15_S16_EUlS15_E_NS1_11comp_targetILNS1_3genE3ELNS1_11target_archE908ELNS1_3gpuE7ELNS1_3repE0EEENS1_30default_config_static_selectorELNS0_4arch9wavefront6targetE1EEEvT1_ ; -- Begin function _ZN7rocprim17ROCPRIM_400000_NS6detail17trampoline_kernelINS0_14default_configENS1_25partition_config_selectorILNS1_17partition_subalgoE3ExNS0_10empty_typeEbEEZZNS1_14partition_implILS5_3ELb0ES3_jN6thrust23THRUST_200600_302600_NS6detail15normal_iteratorINSA_7pointerIxNSA_11hip_rocprim3tagENSA_11use_defaultESG_EEEEPS6_SJ_NS0_5tupleIJPxSJ_EEENSK_IJSJ_SJ_EEES6_PlJ7is_evenIxEEEE10hipError_tPvRmT3_T4_T5_T6_T7_T9_mT8_P12ihipStream_tbDpT10_ENKUlT_T0_E_clISt17integral_constantIbLb1EES1A_EEDaS15_S16_EUlS15_E_NS1_11comp_targetILNS1_3genE3ELNS1_11target_archE908ELNS1_3gpuE7ELNS1_3repE0EEENS1_30default_config_static_selectorELNS0_4arch9wavefront6targetE1EEEvT1_
	.globl	_ZN7rocprim17ROCPRIM_400000_NS6detail17trampoline_kernelINS0_14default_configENS1_25partition_config_selectorILNS1_17partition_subalgoE3ExNS0_10empty_typeEbEEZZNS1_14partition_implILS5_3ELb0ES3_jN6thrust23THRUST_200600_302600_NS6detail15normal_iteratorINSA_7pointerIxNSA_11hip_rocprim3tagENSA_11use_defaultESG_EEEEPS6_SJ_NS0_5tupleIJPxSJ_EEENSK_IJSJ_SJ_EEES6_PlJ7is_evenIxEEEE10hipError_tPvRmT3_T4_T5_T6_T7_T9_mT8_P12ihipStream_tbDpT10_ENKUlT_T0_E_clISt17integral_constantIbLb1EES1A_EEDaS15_S16_EUlS15_E_NS1_11comp_targetILNS1_3genE3ELNS1_11target_archE908ELNS1_3gpuE7ELNS1_3repE0EEENS1_30default_config_static_selectorELNS0_4arch9wavefront6targetE1EEEvT1_
	.p2align	8
	.type	_ZN7rocprim17ROCPRIM_400000_NS6detail17trampoline_kernelINS0_14default_configENS1_25partition_config_selectorILNS1_17partition_subalgoE3ExNS0_10empty_typeEbEEZZNS1_14partition_implILS5_3ELb0ES3_jN6thrust23THRUST_200600_302600_NS6detail15normal_iteratorINSA_7pointerIxNSA_11hip_rocprim3tagENSA_11use_defaultESG_EEEEPS6_SJ_NS0_5tupleIJPxSJ_EEENSK_IJSJ_SJ_EEES6_PlJ7is_evenIxEEEE10hipError_tPvRmT3_T4_T5_T6_T7_T9_mT8_P12ihipStream_tbDpT10_ENKUlT_T0_E_clISt17integral_constantIbLb1EES1A_EEDaS15_S16_EUlS15_E_NS1_11comp_targetILNS1_3genE3ELNS1_11target_archE908ELNS1_3gpuE7ELNS1_3repE0EEENS1_30default_config_static_selectorELNS0_4arch9wavefront6targetE1EEEvT1_,@function
_ZN7rocprim17ROCPRIM_400000_NS6detail17trampoline_kernelINS0_14default_configENS1_25partition_config_selectorILNS1_17partition_subalgoE3ExNS0_10empty_typeEbEEZZNS1_14partition_implILS5_3ELb0ES3_jN6thrust23THRUST_200600_302600_NS6detail15normal_iteratorINSA_7pointerIxNSA_11hip_rocprim3tagENSA_11use_defaultESG_EEEEPS6_SJ_NS0_5tupleIJPxSJ_EEENSK_IJSJ_SJ_EEES6_PlJ7is_evenIxEEEE10hipError_tPvRmT3_T4_T5_T6_T7_T9_mT8_P12ihipStream_tbDpT10_ENKUlT_T0_E_clISt17integral_constantIbLb1EES1A_EEDaS15_S16_EUlS15_E_NS1_11comp_targetILNS1_3genE3ELNS1_11target_archE908ELNS1_3gpuE7ELNS1_3repE0EEENS1_30default_config_static_selectorELNS0_4arch9wavefront6targetE1EEEvT1_: ; @_ZN7rocprim17ROCPRIM_400000_NS6detail17trampoline_kernelINS0_14default_configENS1_25partition_config_selectorILNS1_17partition_subalgoE3ExNS0_10empty_typeEbEEZZNS1_14partition_implILS5_3ELb0ES3_jN6thrust23THRUST_200600_302600_NS6detail15normal_iteratorINSA_7pointerIxNSA_11hip_rocprim3tagENSA_11use_defaultESG_EEEEPS6_SJ_NS0_5tupleIJPxSJ_EEENSK_IJSJ_SJ_EEES6_PlJ7is_evenIxEEEE10hipError_tPvRmT3_T4_T5_T6_T7_T9_mT8_P12ihipStream_tbDpT10_ENKUlT_T0_E_clISt17integral_constantIbLb1EES1A_EEDaS15_S16_EUlS15_E_NS1_11comp_targetILNS1_3genE3ELNS1_11target_archE908ELNS1_3gpuE7ELNS1_3repE0EEENS1_30default_config_static_selectorELNS0_4arch9wavefront6targetE1EEEvT1_
; %bb.0:
	.section	.rodata,"a",@progbits
	.p2align	6, 0x0
	.amdhsa_kernel _ZN7rocprim17ROCPRIM_400000_NS6detail17trampoline_kernelINS0_14default_configENS1_25partition_config_selectorILNS1_17partition_subalgoE3ExNS0_10empty_typeEbEEZZNS1_14partition_implILS5_3ELb0ES3_jN6thrust23THRUST_200600_302600_NS6detail15normal_iteratorINSA_7pointerIxNSA_11hip_rocprim3tagENSA_11use_defaultESG_EEEEPS6_SJ_NS0_5tupleIJPxSJ_EEENSK_IJSJ_SJ_EEES6_PlJ7is_evenIxEEEE10hipError_tPvRmT3_T4_T5_T6_T7_T9_mT8_P12ihipStream_tbDpT10_ENKUlT_T0_E_clISt17integral_constantIbLb1EES1A_EEDaS15_S16_EUlS15_E_NS1_11comp_targetILNS1_3genE3ELNS1_11target_archE908ELNS1_3gpuE7ELNS1_3repE0EEENS1_30default_config_static_selectorELNS0_4arch9wavefront6targetE1EEEvT1_
		.amdhsa_group_segment_fixed_size 0
		.amdhsa_private_segment_fixed_size 0
		.amdhsa_kernarg_size 136
		.amdhsa_user_sgpr_count 2
		.amdhsa_user_sgpr_dispatch_ptr 0
		.amdhsa_user_sgpr_queue_ptr 0
		.amdhsa_user_sgpr_kernarg_segment_ptr 1
		.amdhsa_user_sgpr_dispatch_id 0
		.amdhsa_user_sgpr_kernarg_preload_length 0
		.amdhsa_user_sgpr_kernarg_preload_offset 0
		.amdhsa_user_sgpr_private_segment_size 0
		.amdhsa_uses_dynamic_stack 0
		.amdhsa_enable_private_segment 0
		.amdhsa_system_sgpr_workgroup_id_x 1
		.amdhsa_system_sgpr_workgroup_id_y 0
		.amdhsa_system_sgpr_workgroup_id_z 0
		.amdhsa_system_sgpr_workgroup_info 0
		.amdhsa_system_vgpr_workitem_id 0
		.amdhsa_next_free_vgpr 1
		.amdhsa_next_free_sgpr 0
		.amdhsa_accum_offset 4
		.amdhsa_reserve_vcc 0
		.amdhsa_float_round_mode_32 0
		.amdhsa_float_round_mode_16_64 0
		.amdhsa_float_denorm_mode_32 3
		.amdhsa_float_denorm_mode_16_64 3
		.amdhsa_dx10_clamp 1
		.amdhsa_ieee_mode 1
		.amdhsa_fp16_overflow 0
		.amdhsa_tg_split 0
		.amdhsa_exception_fp_ieee_invalid_op 0
		.amdhsa_exception_fp_denorm_src 0
		.amdhsa_exception_fp_ieee_div_zero 0
		.amdhsa_exception_fp_ieee_overflow 0
		.amdhsa_exception_fp_ieee_underflow 0
		.amdhsa_exception_fp_ieee_inexact 0
		.amdhsa_exception_int_div_zero 0
	.end_amdhsa_kernel
	.section	.text._ZN7rocprim17ROCPRIM_400000_NS6detail17trampoline_kernelINS0_14default_configENS1_25partition_config_selectorILNS1_17partition_subalgoE3ExNS0_10empty_typeEbEEZZNS1_14partition_implILS5_3ELb0ES3_jN6thrust23THRUST_200600_302600_NS6detail15normal_iteratorINSA_7pointerIxNSA_11hip_rocprim3tagENSA_11use_defaultESG_EEEEPS6_SJ_NS0_5tupleIJPxSJ_EEENSK_IJSJ_SJ_EEES6_PlJ7is_evenIxEEEE10hipError_tPvRmT3_T4_T5_T6_T7_T9_mT8_P12ihipStream_tbDpT10_ENKUlT_T0_E_clISt17integral_constantIbLb1EES1A_EEDaS15_S16_EUlS15_E_NS1_11comp_targetILNS1_3genE3ELNS1_11target_archE908ELNS1_3gpuE7ELNS1_3repE0EEENS1_30default_config_static_selectorELNS0_4arch9wavefront6targetE1EEEvT1_,"axG",@progbits,_ZN7rocprim17ROCPRIM_400000_NS6detail17trampoline_kernelINS0_14default_configENS1_25partition_config_selectorILNS1_17partition_subalgoE3ExNS0_10empty_typeEbEEZZNS1_14partition_implILS5_3ELb0ES3_jN6thrust23THRUST_200600_302600_NS6detail15normal_iteratorINSA_7pointerIxNSA_11hip_rocprim3tagENSA_11use_defaultESG_EEEEPS6_SJ_NS0_5tupleIJPxSJ_EEENSK_IJSJ_SJ_EEES6_PlJ7is_evenIxEEEE10hipError_tPvRmT3_T4_T5_T6_T7_T9_mT8_P12ihipStream_tbDpT10_ENKUlT_T0_E_clISt17integral_constantIbLb1EES1A_EEDaS15_S16_EUlS15_E_NS1_11comp_targetILNS1_3genE3ELNS1_11target_archE908ELNS1_3gpuE7ELNS1_3repE0EEENS1_30default_config_static_selectorELNS0_4arch9wavefront6targetE1EEEvT1_,comdat
.Lfunc_end25:
	.size	_ZN7rocprim17ROCPRIM_400000_NS6detail17trampoline_kernelINS0_14default_configENS1_25partition_config_selectorILNS1_17partition_subalgoE3ExNS0_10empty_typeEbEEZZNS1_14partition_implILS5_3ELb0ES3_jN6thrust23THRUST_200600_302600_NS6detail15normal_iteratorINSA_7pointerIxNSA_11hip_rocprim3tagENSA_11use_defaultESG_EEEEPS6_SJ_NS0_5tupleIJPxSJ_EEENSK_IJSJ_SJ_EEES6_PlJ7is_evenIxEEEE10hipError_tPvRmT3_T4_T5_T6_T7_T9_mT8_P12ihipStream_tbDpT10_ENKUlT_T0_E_clISt17integral_constantIbLb1EES1A_EEDaS15_S16_EUlS15_E_NS1_11comp_targetILNS1_3genE3ELNS1_11target_archE908ELNS1_3gpuE7ELNS1_3repE0EEENS1_30default_config_static_selectorELNS0_4arch9wavefront6targetE1EEEvT1_, .Lfunc_end25-_ZN7rocprim17ROCPRIM_400000_NS6detail17trampoline_kernelINS0_14default_configENS1_25partition_config_selectorILNS1_17partition_subalgoE3ExNS0_10empty_typeEbEEZZNS1_14partition_implILS5_3ELb0ES3_jN6thrust23THRUST_200600_302600_NS6detail15normal_iteratorINSA_7pointerIxNSA_11hip_rocprim3tagENSA_11use_defaultESG_EEEEPS6_SJ_NS0_5tupleIJPxSJ_EEENSK_IJSJ_SJ_EEES6_PlJ7is_evenIxEEEE10hipError_tPvRmT3_T4_T5_T6_T7_T9_mT8_P12ihipStream_tbDpT10_ENKUlT_T0_E_clISt17integral_constantIbLb1EES1A_EEDaS15_S16_EUlS15_E_NS1_11comp_targetILNS1_3genE3ELNS1_11target_archE908ELNS1_3gpuE7ELNS1_3repE0EEENS1_30default_config_static_selectorELNS0_4arch9wavefront6targetE1EEEvT1_
                                        ; -- End function
	.section	.AMDGPU.csdata,"",@progbits
; Kernel info:
; codeLenInByte = 0
; NumSgprs: 6
; NumVgprs: 0
; NumAgprs: 0
; TotalNumVgprs: 0
; ScratchSize: 0
; MemoryBound: 0
; FloatMode: 240
; IeeeMode: 1
; LDSByteSize: 0 bytes/workgroup (compile time only)
; SGPRBlocks: 0
; VGPRBlocks: 0
; NumSGPRsForWavesPerEU: 6
; NumVGPRsForWavesPerEU: 1
; AccumOffset: 4
; Occupancy: 8
; WaveLimiterHint : 0
; COMPUTE_PGM_RSRC2:SCRATCH_EN: 0
; COMPUTE_PGM_RSRC2:USER_SGPR: 2
; COMPUTE_PGM_RSRC2:TRAP_HANDLER: 0
; COMPUTE_PGM_RSRC2:TGID_X_EN: 1
; COMPUTE_PGM_RSRC2:TGID_Y_EN: 0
; COMPUTE_PGM_RSRC2:TGID_Z_EN: 0
; COMPUTE_PGM_RSRC2:TIDIG_COMP_CNT: 0
; COMPUTE_PGM_RSRC3_GFX90A:ACCUM_OFFSET: 0
; COMPUTE_PGM_RSRC3_GFX90A:TG_SPLIT: 0
	.section	.text._ZN7rocprim17ROCPRIM_400000_NS6detail17trampoline_kernelINS0_14default_configENS1_25partition_config_selectorILNS1_17partition_subalgoE3ExNS0_10empty_typeEbEEZZNS1_14partition_implILS5_3ELb0ES3_jN6thrust23THRUST_200600_302600_NS6detail15normal_iteratorINSA_7pointerIxNSA_11hip_rocprim3tagENSA_11use_defaultESG_EEEEPS6_SJ_NS0_5tupleIJPxSJ_EEENSK_IJSJ_SJ_EEES6_PlJ7is_evenIxEEEE10hipError_tPvRmT3_T4_T5_T6_T7_T9_mT8_P12ihipStream_tbDpT10_ENKUlT_T0_E_clISt17integral_constantIbLb1EES1A_EEDaS15_S16_EUlS15_E_NS1_11comp_targetILNS1_3genE2ELNS1_11target_archE906ELNS1_3gpuE6ELNS1_3repE0EEENS1_30default_config_static_selectorELNS0_4arch9wavefront6targetE1EEEvT1_,"axG",@progbits,_ZN7rocprim17ROCPRIM_400000_NS6detail17trampoline_kernelINS0_14default_configENS1_25partition_config_selectorILNS1_17partition_subalgoE3ExNS0_10empty_typeEbEEZZNS1_14partition_implILS5_3ELb0ES3_jN6thrust23THRUST_200600_302600_NS6detail15normal_iteratorINSA_7pointerIxNSA_11hip_rocprim3tagENSA_11use_defaultESG_EEEEPS6_SJ_NS0_5tupleIJPxSJ_EEENSK_IJSJ_SJ_EEES6_PlJ7is_evenIxEEEE10hipError_tPvRmT3_T4_T5_T6_T7_T9_mT8_P12ihipStream_tbDpT10_ENKUlT_T0_E_clISt17integral_constantIbLb1EES1A_EEDaS15_S16_EUlS15_E_NS1_11comp_targetILNS1_3genE2ELNS1_11target_archE906ELNS1_3gpuE6ELNS1_3repE0EEENS1_30default_config_static_selectorELNS0_4arch9wavefront6targetE1EEEvT1_,comdat
	.protected	_ZN7rocprim17ROCPRIM_400000_NS6detail17trampoline_kernelINS0_14default_configENS1_25partition_config_selectorILNS1_17partition_subalgoE3ExNS0_10empty_typeEbEEZZNS1_14partition_implILS5_3ELb0ES3_jN6thrust23THRUST_200600_302600_NS6detail15normal_iteratorINSA_7pointerIxNSA_11hip_rocprim3tagENSA_11use_defaultESG_EEEEPS6_SJ_NS0_5tupleIJPxSJ_EEENSK_IJSJ_SJ_EEES6_PlJ7is_evenIxEEEE10hipError_tPvRmT3_T4_T5_T6_T7_T9_mT8_P12ihipStream_tbDpT10_ENKUlT_T0_E_clISt17integral_constantIbLb1EES1A_EEDaS15_S16_EUlS15_E_NS1_11comp_targetILNS1_3genE2ELNS1_11target_archE906ELNS1_3gpuE6ELNS1_3repE0EEENS1_30default_config_static_selectorELNS0_4arch9wavefront6targetE1EEEvT1_ ; -- Begin function _ZN7rocprim17ROCPRIM_400000_NS6detail17trampoline_kernelINS0_14default_configENS1_25partition_config_selectorILNS1_17partition_subalgoE3ExNS0_10empty_typeEbEEZZNS1_14partition_implILS5_3ELb0ES3_jN6thrust23THRUST_200600_302600_NS6detail15normal_iteratorINSA_7pointerIxNSA_11hip_rocprim3tagENSA_11use_defaultESG_EEEEPS6_SJ_NS0_5tupleIJPxSJ_EEENSK_IJSJ_SJ_EEES6_PlJ7is_evenIxEEEE10hipError_tPvRmT3_T4_T5_T6_T7_T9_mT8_P12ihipStream_tbDpT10_ENKUlT_T0_E_clISt17integral_constantIbLb1EES1A_EEDaS15_S16_EUlS15_E_NS1_11comp_targetILNS1_3genE2ELNS1_11target_archE906ELNS1_3gpuE6ELNS1_3repE0EEENS1_30default_config_static_selectorELNS0_4arch9wavefront6targetE1EEEvT1_
	.globl	_ZN7rocprim17ROCPRIM_400000_NS6detail17trampoline_kernelINS0_14default_configENS1_25partition_config_selectorILNS1_17partition_subalgoE3ExNS0_10empty_typeEbEEZZNS1_14partition_implILS5_3ELb0ES3_jN6thrust23THRUST_200600_302600_NS6detail15normal_iteratorINSA_7pointerIxNSA_11hip_rocprim3tagENSA_11use_defaultESG_EEEEPS6_SJ_NS0_5tupleIJPxSJ_EEENSK_IJSJ_SJ_EEES6_PlJ7is_evenIxEEEE10hipError_tPvRmT3_T4_T5_T6_T7_T9_mT8_P12ihipStream_tbDpT10_ENKUlT_T0_E_clISt17integral_constantIbLb1EES1A_EEDaS15_S16_EUlS15_E_NS1_11comp_targetILNS1_3genE2ELNS1_11target_archE906ELNS1_3gpuE6ELNS1_3repE0EEENS1_30default_config_static_selectorELNS0_4arch9wavefront6targetE1EEEvT1_
	.p2align	8
	.type	_ZN7rocprim17ROCPRIM_400000_NS6detail17trampoline_kernelINS0_14default_configENS1_25partition_config_selectorILNS1_17partition_subalgoE3ExNS0_10empty_typeEbEEZZNS1_14partition_implILS5_3ELb0ES3_jN6thrust23THRUST_200600_302600_NS6detail15normal_iteratorINSA_7pointerIxNSA_11hip_rocprim3tagENSA_11use_defaultESG_EEEEPS6_SJ_NS0_5tupleIJPxSJ_EEENSK_IJSJ_SJ_EEES6_PlJ7is_evenIxEEEE10hipError_tPvRmT3_T4_T5_T6_T7_T9_mT8_P12ihipStream_tbDpT10_ENKUlT_T0_E_clISt17integral_constantIbLb1EES1A_EEDaS15_S16_EUlS15_E_NS1_11comp_targetILNS1_3genE2ELNS1_11target_archE906ELNS1_3gpuE6ELNS1_3repE0EEENS1_30default_config_static_selectorELNS0_4arch9wavefront6targetE1EEEvT1_,@function
_ZN7rocprim17ROCPRIM_400000_NS6detail17trampoline_kernelINS0_14default_configENS1_25partition_config_selectorILNS1_17partition_subalgoE3ExNS0_10empty_typeEbEEZZNS1_14partition_implILS5_3ELb0ES3_jN6thrust23THRUST_200600_302600_NS6detail15normal_iteratorINSA_7pointerIxNSA_11hip_rocprim3tagENSA_11use_defaultESG_EEEEPS6_SJ_NS0_5tupleIJPxSJ_EEENSK_IJSJ_SJ_EEES6_PlJ7is_evenIxEEEE10hipError_tPvRmT3_T4_T5_T6_T7_T9_mT8_P12ihipStream_tbDpT10_ENKUlT_T0_E_clISt17integral_constantIbLb1EES1A_EEDaS15_S16_EUlS15_E_NS1_11comp_targetILNS1_3genE2ELNS1_11target_archE906ELNS1_3gpuE6ELNS1_3repE0EEENS1_30default_config_static_selectorELNS0_4arch9wavefront6targetE1EEEvT1_: ; @_ZN7rocprim17ROCPRIM_400000_NS6detail17trampoline_kernelINS0_14default_configENS1_25partition_config_selectorILNS1_17partition_subalgoE3ExNS0_10empty_typeEbEEZZNS1_14partition_implILS5_3ELb0ES3_jN6thrust23THRUST_200600_302600_NS6detail15normal_iteratorINSA_7pointerIxNSA_11hip_rocprim3tagENSA_11use_defaultESG_EEEEPS6_SJ_NS0_5tupleIJPxSJ_EEENSK_IJSJ_SJ_EEES6_PlJ7is_evenIxEEEE10hipError_tPvRmT3_T4_T5_T6_T7_T9_mT8_P12ihipStream_tbDpT10_ENKUlT_T0_E_clISt17integral_constantIbLb1EES1A_EEDaS15_S16_EUlS15_E_NS1_11comp_targetILNS1_3genE2ELNS1_11target_archE906ELNS1_3gpuE6ELNS1_3repE0EEENS1_30default_config_static_selectorELNS0_4arch9wavefront6targetE1EEEvT1_
; %bb.0:
	.section	.rodata,"a",@progbits
	.p2align	6, 0x0
	.amdhsa_kernel _ZN7rocprim17ROCPRIM_400000_NS6detail17trampoline_kernelINS0_14default_configENS1_25partition_config_selectorILNS1_17partition_subalgoE3ExNS0_10empty_typeEbEEZZNS1_14partition_implILS5_3ELb0ES3_jN6thrust23THRUST_200600_302600_NS6detail15normal_iteratorINSA_7pointerIxNSA_11hip_rocprim3tagENSA_11use_defaultESG_EEEEPS6_SJ_NS0_5tupleIJPxSJ_EEENSK_IJSJ_SJ_EEES6_PlJ7is_evenIxEEEE10hipError_tPvRmT3_T4_T5_T6_T7_T9_mT8_P12ihipStream_tbDpT10_ENKUlT_T0_E_clISt17integral_constantIbLb1EES1A_EEDaS15_S16_EUlS15_E_NS1_11comp_targetILNS1_3genE2ELNS1_11target_archE906ELNS1_3gpuE6ELNS1_3repE0EEENS1_30default_config_static_selectorELNS0_4arch9wavefront6targetE1EEEvT1_
		.amdhsa_group_segment_fixed_size 0
		.amdhsa_private_segment_fixed_size 0
		.amdhsa_kernarg_size 136
		.amdhsa_user_sgpr_count 2
		.amdhsa_user_sgpr_dispatch_ptr 0
		.amdhsa_user_sgpr_queue_ptr 0
		.amdhsa_user_sgpr_kernarg_segment_ptr 1
		.amdhsa_user_sgpr_dispatch_id 0
		.amdhsa_user_sgpr_kernarg_preload_length 0
		.amdhsa_user_sgpr_kernarg_preload_offset 0
		.amdhsa_user_sgpr_private_segment_size 0
		.amdhsa_uses_dynamic_stack 0
		.amdhsa_enable_private_segment 0
		.amdhsa_system_sgpr_workgroup_id_x 1
		.amdhsa_system_sgpr_workgroup_id_y 0
		.amdhsa_system_sgpr_workgroup_id_z 0
		.amdhsa_system_sgpr_workgroup_info 0
		.amdhsa_system_vgpr_workitem_id 0
		.amdhsa_next_free_vgpr 1
		.amdhsa_next_free_sgpr 0
		.amdhsa_accum_offset 4
		.amdhsa_reserve_vcc 0
		.amdhsa_float_round_mode_32 0
		.amdhsa_float_round_mode_16_64 0
		.amdhsa_float_denorm_mode_32 3
		.amdhsa_float_denorm_mode_16_64 3
		.amdhsa_dx10_clamp 1
		.amdhsa_ieee_mode 1
		.amdhsa_fp16_overflow 0
		.amdhsa_tg_split 0
		.amdhsa_exception_fp_ieee_invalid_op 0
		.amdhsa_exception_fp_denorm_src 0
		.amdhsa_exception_fp_ieee_div_zero 0
		.amdhsa_exception_fp_ieee_overflow 0
		.amdhsa_exception_fp_ieee_underflow 0
		.amdhsa_exception_fp_ieee_inexact 0
		.amdhsa_exception_int_div_zero 0
	.end_amdhsa_kernel
	.section	.text._ZN7rocprim17ROCPRIM_400000_NS6detail17trampoline_kernelINS0_14default_configENS1_25partition_config_selectorILNS1_17partition_subalgoE3ExNS0_10empty_typeEbEEZZNS1_14partition_implILS5_3ELb0ES3_jN6thrust23THRUST_200600_302600_NS6detail15normal_iteratorINSA_7pointerIxNSA_11hip_rocprim3tagENSA_11use_defaultESG_EEEEPS6_SJ_NS0_5tupleIJPxSJ_EEENSK_IJSJ_SJ_EEES6_PlJ7is_evenIxEEEE10hipError_tPvRmT3_T4_T5_T6_T7_T9_mT8_P12ihipStream_tbDpT10_ENKUlT_T0_E_clISt17integral_constantIbLb1EES1A_EEDaS15_S16_EUlS15_E_NS1_11comp_targetILNS1_3genE2ELNS1_11target_archE906ELNS1_3gpuE6ELNS1_3repE0EEENS1_30default_config_static_selectorELNS0_4arch9wavefront6targetE1EEEvT1_,"axG",@progbits,_ZN7rocprim17ROCPRIM_400000_NS6detail17trampoline_kernelINS0_14default_configENS1_25partition_config_selectorILNS1_17partition_subalgoE3ExNS0_10empty_typeEbEEZZNS1_14partition_implILS5_3ELb0ES3_jN6thrust23THRUST_200600_302600_NS6detail15normal_iteratorINSA_7pointerIxNSA_11hip_rocprim3tagENSA_11use_defaultESG_EEEEPS6_SJ_NS0_5tupleIJPxSJ_EEENSK_IJSJ_SJ_EEES6_PlJ7is_evenIxEEEE10hipError_tPvRmT3_T4_T5_T6_T7_T9_mT8_P12ihipStream_tbDpT10_ENKUlT_T0_E_clISt17integral_constantIbLb1EES1A_EEDaS15_S16_EUlS15_E_NS1_11comp_targetILNS1_3genE2ELNS1_11target_archE906ELNS1_3gpuE6ELNS1_3repE0EEENS1_30default_config_static_selectorELNS0_4arch9wavefront6targetE1EEEvT1_,comdat
.Lfunc_end26:
	.size	_ZN7rocprim17ROCPRIM_400000_NS6detail17trampoline_kernelINS0_14default_configENS1_25partition_config_selectorILNS1_17partition_subalgoE3ExNS0_10empty_typeEbEEZZNS1_14partition_implILS5_3ELb0ES3_jN6thrust23THRUST_200600_302600_NS6detail15normal_iteratorINSA_7pointerIxNSA_11hip_rocprim3tagENSA_11use_defaultESG_EEEEPS6_SJ_NS0_5tupleIJPxSJ_EEENSK_IJSJ_SJ_EEES6_PlJ7is_evenIxEEEE10hipError_tPvRmT3_T4_T5_T6_T7_T9_mT8_P12ihipStream_tbDpT10_ENKUlT_T0_E_clISt17integral_constantIbLb1EES1A_EEDaS15_S16_EUlS15_E_NS1_11comp_targetILNS1_3genE2ELNS1_11target_archE906ELNS1_3gpuE6ELNS1_3repE0EEENS1_30default_config_static_selectorELNS0_4arch9wavefront6targetE1EEEvT1_, .Lfunc_end26-_ZN7rocprim17ROCPRIM_400000_NS6detail17trampoline_kernelINS0_14default_configENS1_25partition_config_selectorILNS1_17partition_subalgoE3ExNS0_10empty_typeEbEEZZNS1_14partition_implILS5_3ELb0ES3_jN6thrust23THRUST_200600_302600_NS6detail15normal_iteratorINSA_7pointerIxNSA_11hip_rocprim3tagENSA_11use_defaultESG_EEEEPS6_SJ_NS0_5tupleIJPxSJ_EEENSK_IJSJ_SJ_EEES6_PlJ7is_evenIxEEEE10hipError_tPvRmT3_T4_T5_T6_T7_T9_mT8_P12ihipStream_tbDpT10_ENKUlT_T0_E_clISt17integral_constantIbLb1EES1A_EEDaS15_S16_EUlS15_E_NS1_11comp_targetILNS1_3genE2ELNS1_11target_archE906ELNS1_3gpuE6ELNS1_3repE0EEENS1_30default_config_static_selectorELNS0_4arch9wavefront6targetE1EEEvT1_
                                        ; -- End function
	.section	.AMDGPU.csdata,"",@progbits
; Kernel info:
; codeLenInByte = 0
; NumSgprs: 6
; NumVgprs: 0
; NumAgprs: 0
; TotalNumVgprs: 0
; ScratchSize: 0
; MemoryBound: 0
; FloatMode: 240
; IeeeMode: 1
; LDSByteSize: 0 bytes/workgroup (compile time only)
; SGPRBlocks: 0
; VGPRBlocks: 0
; NumSGPRsForWavesPerEU: 6
; NumVGPRsForWavesPerEU: 1
; AccumOffset: 4
; Occupancy: 8
; WaveLimiterHint : 0
; COMPUTE_PGM_RSRC2:SCRATCH_EN: 0
; COMPUTE_PGM_RSRC2:USER_SGPR: 2
; COMPUTE_PGM_RSRC2:TRAP_HANDLER: 0
; COMPUTE_PGM_RSRC2:TGID_X_EN: 1
; COMPUTE_PGM_RSRC2:TGID_Y_EN: 0
; COMPUTE_PGM_RSRC2:TGID_Z_EN: 0
; COMPUTE_PGM_RSRC2:TIDIG_COMP_CNT: 0
; COMPUTE_PGM_RSRC3_GFX90A:ACCUM_OFFSET: 0
; COMPUTE_PGM_RSRC3_GFX90A:TG_SPLIT: 0
	.section	.text._ZN7rocprim17ROCPRIM_400000_NS6detail17trampoline_kernelINS0_14default_configENS1_25partition_config_selectorILNS1_17partition_subalgoE3ExNS0_10empty_typeEbEEZZNS1_14partition_implILS5_3ELb0ES3_jN6thrust23THRUST_200600_302600_NS6detail15normal_iteratorINSA_7pointerIxNSA_11hip_rocprim3tagENSA_11use_defaultESG_EEEEPS6_SJ_NS0_5tupleIJPxSJ_EEENSK_IJSJ_SJ_EEES6_PlJ7is_evenIxEEEE10hipError_tPvRmT3_T4_T5_T6_T7_T9_mT8_P12ihipStream_tbDpT10_ENKUlT_T0_E_clISt17integral_constantIbLb1EES1A_EEDaS15_S16_EUlS15_E_NS1_11comp_targetILNS1_3genE10ELNS1_11target_archE1200ELNS1_3gpuE4ELNS1_3repE0EEENS1_30default_config_static_selectorELNS0_4arch9wavefront6targetE1EEEvT1_,"axG",@progbits,_ZN7rocprim17ROCPRIM_400000_NS6detail17trampoline_kernelINS0_14default_configENS1_25partition_config_selectorILNS1_17partition_subalgoE3ExNS0_10empty_typeEbEEZZNS1_14partition_implILS5_3ELb0ES3_jN6thrust23THRUST_200600_302600_NS6detail15normal_iteratorINSA_7pointerIxNSA_11hip_rocprim3tagENSA_11use_defaultESG_EEEEPS6_SJ_NS0_5tupleIJPxSJ_EEENSK_IJSJ_SJ_EEES6_PlJ7is_evenIxEEEE10hipError_tPvRmT3_T4_T5_T6_T7_T9_mT8_P12ihipStream_tbDpT10_ENKUlT_T0_E_clISt17integral_constantIbLb1EES1A_EEDaS15_S16_EUlS15_E_NS1_11comp_targetILNS1_3genE10ELNS1_11target_archE1200ELNS1_3gpuE4ELNS1_3repE0EEENS1_30default_config_static_selectorELNS0_4arch9wavefront6targetE1EEEvT1_,comdat
	.protected	_ZN7rocprim17ROCPRIM_400000_NS6detail17trampoline_kernelINS0_14default_configENS1_25partition_config_selectorILNS1_17partition_subalgoE3ExNS0_10empty_typeEbEEZZNS1_14partition_implILS5_3ELb0ES3_jN6thrust23THRUST_200600_302600_NS6detail15normal_iteratorINSA_7pointerIxNSA_11hip_rocprim3tagENSA_11use_defaultESG_EEEEPS6_SJ_NS0_5tupleIJPxSJ_EEENSK_IJSJ_SJ_EEES6_PlJ7is_evenIxEEEE10hipError_tPvRmT3_T4_T5_T6_T7_T9_mT8_P12ihipStream_tbDpT10_ENKUlT_T0_E_clISt17integral_constantIbLb1EES1A_EEDaS15_S16_EUlS15_E_NS1_11comp_targetILNS1_3genE10ELNS1_11target_archE1200ELNS1_3gpuE4ELNS1_3repE0EEENS1_30default_config_static_selectorELNS0_4arch9wavefront6targetE1EEEvT1_ ; -- Begin function _ZN7rocprim17ROCPRIM_400000_NS6detail17trampoline_kernelINS0_14default_configENS1_25partition_config_selectorILNS1_17partition_subalgoE3ExNS0_10empty_typeEbEEZZNS1_14partition_implILS5_3ELb0ES3_jN6thrust23THRUST_200600_302600_NS6detail15normal_iteratorINSA_7pointerIxNSA_11hip_rocprim3tagENSA_11use_defaultESG_EEEEPS6_SJ_NS0_5tupleIJPxSJ_EEENSK_IJSJ_SJ_EEES6_PlJ7is_evenIxEEEE10hipError_tPvRmT3_T4_T5_T6_T7_T9_mT8_P12ihipStream_tbDpT10_ENKUlT_T0_E_clISt17integral_constantIbLb1EES1A_EEDaS15_S16_EUlS15_E_NS1_11comp_targetILNS1_3genE10ELNS1_11target_archE1200ELNS1_3gpuE4ELNS1_3repE0EEENS1_30default_config_static_selectorELNS0_4arch9wavefront6targetE1EEEvT1_
	.globl	_ZN7rocprim17ROCPRIM_400000_NS6detail17trampoline_kernelINS0_14default_configENS1_25partition_config_selectorILNS1_17partition_subalgoE3ExNS0_10empty_typeEbEEZZNS1_14partition_implILS5_3ELb0ES3_jN6thrust23THRUST_200600_302600_NS6detail15normal_iteratorINSA_7pointerIxNSA_11hip_rocprim3tagENSA_11use_defaultESG_EEEEPS6_SJ_NS0_5tupleIJPxSJ_EEENSK_IJSJ_SJ_EEES6_PlJ7is_evenIxEEEE10hipError_tPvRmT3_T4_T5_T6_T7_T9_mT8_P12ihipStream_tbDpT10_ENKUlT_T0_E_clISt17integral_constantIbLb1EES1A_EEDaS15_S16_EUlS15_E_NS1_11comp_targetILNS1_3genE10ELNS1_11target_archE1200ELNS1_3gpuE4ELNS1_3repE0EEENS1_30default_config_static_selectorELNS0_4arch9wavefront6targetE1EEEvT1_
	.p2align	8
	.type	_ZN7rocprim17ROCPRIM_400000_NS6detail17trampoline_kernelINS0_14default_configENS1_25partition_config_selectorILNS1_17partition_subalgoE3ExNS0_10empty_typeEbEEZZNS1_14partition_implILS5_3ELb0ES3_jN6thrust23THRUST_200600_302600_NS6detail15normal_iteratorINSA_7pointerIxNSA_11hip_rocprim3tagENSA_11use_defaultESG_EEEEPS6_SJ_NS0_5tupleIJPxSJ_EEENSK_IJSJ_SJ_EEES6_PlJ7is_evenIxEEEE10hipError_tPvRmT3_T4_T5_T6_T7_T9_mT8_P12ihipStream_tbDpT10_ENKUlT_T0_E_clISt17integral_constantIbLb1EES1A_EEDaS15_S16_EUlS15_E_NS1_11comp_targetILNS1_3genE10ELNS1_11target_archE1200ELNS1_3gpuE4ELNS1_3repE0EEENS1_30default_config_static_selectorELNS0_4arch9wavefront6targetE1EEEvT1_,@function
_ZN7rocprim17ROCPRIM_400000_NS6detail17trampoline_kernelINS0_14default_configENS1_25partition_config_selectorILNS1_17partition_subalgoE3ExNS0_10empty_typeEbEEZZNS1_14partition_implILS5_3ELb0ES3_jN6thrust23THRUST_200600_302600_NS6detail15normal_iteratorINSA_7pointerIxNSA_11hip_rocprim3tagENSA_11use_defaultESG_EEEEPS6_SJ_NS0_5tupleIJPxSJ_EEENSK_IJSJ_SJ_EEES6_PlJ7is_evenIxEEEE10hipError_tPvRmT3_T4_T5_T6_T7_T9_mT8_P12ihipStream_tbDpT10_ENKUlT_T0_E_clISt17integral_constantIbLb1EES1A_EEDaS15_S16_EUlS15_E_NS1_11comp_targetILNS1_3genE10ELNS1_11target_archE1200ELNS1_3gpuE4ELNS1_3repE0EEENS1_30default_config_static_selectorELNS0_4arch9wavefront6targetE1EEEvT1_: ; @_ZN7rocprim17ROCPRIM_400000_NS6detail17trampoline_kernelINS0_14default_configENS1_25partition_config_selectorILNS1_17partition_subalgoE3ExNS0_10empty_typeEbEEZZNS1_14partition_implILS5_3ELb0ES3_jN6thrust23THRUST_200600_302600_NS6detail15normal_iteratorINSA_7pointerIxNSA_11hip_rocprim3tagENSA_11use_defaultESG_EEEEPS6_SJ_NS0_5tupleIJPxSJ_EEENSK_IJSJ_SJ_EEES6_PlJ7is_evenIxEEEE10hipError_tPvRmT3_T4_T5_T6_T7_T9_mT8_P12ihipStream_tbDpT10_ENKUlT_T0_E_clISt17integral_constantIbLb1EES1A_EEDaS15_S16_EUlS15_E_NS1_11comp_targetILNS1_3genE10ELNS1_11target_archE1200ELNS1_3gpuE4ELNS1_3repE0EEENS1_30default_config_static_selectorELNS0_4arch9wavefront6targetE1EEEvT1_
; %bb.0:
	.section	.rodata,"a",@progbits
	.p2align	6, 0x0
	.amdhsa_kernel _ZN7rocprim17ROCPRIM_400000_NS6detail17trampoline_kernelINS0_14default_configENS1_25partition_config_selectorILNS1_17partition_subalgoE3ExNS0_10empty_typeEbEEZZNS1_14partition_implILS5_3ELb0ES3_jN6thrust23THRUST_200600_302600_NS6detail15normal_iteratorINSA_7pointerIxNSA_11hip_rocprim3tagENSA_11use_defaultESG_EEEEPS6_SJ_NS0_5tupleIJPxSJ_EEENSK_IJSJ_SJ_EEES6_PlJ7is_evenIxEEEE10hipError_tPvRmT3_T4_T5_T6_T7_T9_mT8_P12ihipStream_tbDpT10_ENKUlT_T0_E_clISt17integral_constantIbLb1EES1A_EEDaS15_S16_EUlS15_E_NS1_11comp_targetILNS1_3genE10ELNS1_11target_archE1200ELNS1_3gpuE4ELNS1_3repE0EEENS1_30default_config_static_selectorELNS0_4arch9wavefront6targetE1EEEvT1_
		.amdhsa_group_segment_fixed_size 0
		.amdhsa_private_segment_fixed_size 0
		.amdhsa_kernarg_size 136
		.amdhsa_user_sgpr_count 2
		.amdhsa_user_sgpr_dispatch_ptr 0
		.amdhsa_user_sgpr_queue_ptr 0
		.amdhsa_user_sgpr_kernarg_segment_ptr 1
		.amdhsa_user_sgpr_dispatch_id 0
		.amdhsa_user_sgpr_kernarg_preload_length 0
		.amdhsa_user_sgpr_kernarg_preload_offset 0
		.amdhsa_user_sgpr_private_segment_size 0
		.amdhsa_uses_dynamic_stack 0
		.amdhsa_enable_private_segment 0
		.amdhsa_system_sgpr_workgroup_id_x 1
		.amdhsa_system_sgpr_workgroup_id_y 0
		.amdhsa_system_sgpr_workgroup_id_z 0
		.amdhsa_system_sgpr_workgroup_info 0
		.amdhsa_system_vgpr_workitem_id 0
		.amdhsa_next_free_vgpr 1
		.amdhsa_next_free_sgpr 0
		.amdhsa_accum_offset 4
		.amdhsa_reserve_vcc 0
		.amdhsa_float_round_mode_32 0
		.amdhsa_float_round_mode_16_64 0
		.amdhsa_float_denorm_mode_32 3
		.amdhsa_float_denorm_mode_16_64 3
		.amdhsa_dx10_clamp 1
		.amdhsa_ieee_mode 1
		.amdhsa_fp16_overflow 0
		.amdhsa_tg_split 0
		.amdhsa_exception_fp_ieee_invalid_op 0
		.amdhsa_exception_fp_denorm_src 0
		.amdhsa_exception_fp_ieee_div_zero 0
		.amdhsa_exception_fp_ieee_overflow 0
		.amdhsa_exception_fp_ieee_underflow 0
		.amdhsa_exception_fp_ieee_inexact 0
		.amdhsa_exception_int_div_zero 0
	.end_amdhsa_kernel
	.section	.text._ZN7rocprim17ROCPRIM_400000_NS6detail17trampoline_kernelINS0_14default_configENS1_25partition_config_selectorILNS1_17partition_subalgoE3ExNS0_10empty_typeEbEEZZNS1_14partition_implILS5_3ELb0ES3_jN6thrust23THRUST_200600_302600_NS6detail15normal_iteratorINSA_7pointerIxNSA_11hip_rocprim3tagENSA_11use_defaultESG_EEEEPS6_SJ_NS0_5tupleIJPxSJ_EEENSK_IJSJ_SJ_EEES6_PlJ7is_evenIxEEEE10hipError_tPvRmT3_T4_T5_T6_T7_T9_mT8_P12ihipStream_tbDpT10_ENKUlT_T0_E_clISt17integral_constantIbLb1EES1A_EEDaS15_S16_EUlS15_E_NS1_11comp_targetILNS1_3genE10ELNS1_11target_archE1200ELNS1_3gpuE4ELNS1_3repE0EEENS1_30default_config_static_selectorELNS0_4arch9wavefront6targetE1EEEvT1_,"axG",@progbits,_ZN7rocprim17ROCPRIM_400000_NS6detail17trampoline_kernelINS0_14default_configENS1_25partition_config_selectorILNS1_17partition_subalgoE3ExNS0_10empty_typeEbEEZZNS1_14partition_implILS5_3ELb0ES3_jN6thrust23THRUST_200600_302600_NS6detail15normal_iteratorINSA_7pointerIxNSA_11hip_rocprim3tagENSA_11use_defaultESG_EEEEPS6_SJ_NS0_5tupleIJPxSJ_EEENSK_IJSJ_SJ_EEES6_PlJ7is_evenIxEEEE10hipError_tPvRmT3_T4_T5_T6_T7_T9_mT8_P12ihipStream_tbDpT10_ENKUlT_T0_E_clISt17integral_constantIbLb1EES1A_EEDaS15_S16_EUlS15_E_NS1_11comp_targetILNS1_3genE10ELNS1_11target_archE1200ELNS1_3gpuE4ELNS1_3repE0EEENS1_30default_config_static_selectorELNS0_4arch9wavefront6targetE1EEEvT1_,comdat
.Lfunc_end27:
	.size	_ZN7rocprim17ROCPRIM_400000_NS6detail17trampoline_kernelINS0_14default_configENS1_25partition_config_selectorILNS1_17partition_subalgoE3ExNS0_10empty_typeEbEEZZNS1_14partition_implILS5_3ELb0ES3_jN6thrust23THRUST_200600_302600_NS6detail15normal_iteratorINSA_7pointerIxNSA_11hip_rocprim3tagENSA_11use_defaultESG_EEEEPS6_SJ_NS0_5tupleIJPxSJ_EEENSK_IJSJ_SJ_EEES6_PlJ7is_evenIxEEEE10hipError_tPvRmT3_T4_T5_T6_T7_T9_mT8_P12ihipStream_tbDpT10_ENKUlT_T0_E_clISt17integral_constantIbLb1EES1A_EEDaS15_S16_EUlS15_E_NS1_11comp_targetILNS1_3genE10ELNS1_11target_archE1200ELNS1_3gpuE4ELNS1_3repE0EEENS1_30default_config_static_selectorELNS0_4arch9wavefront6targetE1EEEvT1_, .Lfunc_end27-_ZN7rocprim17ROCPRIM_400000_NS6detail17trampoline_kernelINS0_14default_configENS1_25partition_config_selectorILNS1_17partition_subalgoE3ExNS0_10empty_typeEbEEZZNS1_14partition_implILS5_3ELb0ES3_jN6thrust23THRUST_200600_302600_NS6detail15normal_iteratorINSA_7pointerIxNSA_11hip_rocprim3tagENSA_11use_defaultESG_EEEEPS6_SJ_NS0_5tupleIJPxSJ_EEENSK_IJSJ_SJ_EEES6_PlJ7is_evenIxEEEE10hipError_tPvRmT3_T4_T5_T6_T7_T9_mT8_P12ihipStream_tbDpT10_ENKUlT_T0_E_clISt17integral_constantIbLb1EES1A_EEDaS15_S16_EUlS15_E_NS1_11comp_targetILNS1_3genE10ELNS1_11target_archE1200ELNS1_3gpuE4ELNS1_3repE0EEENS1_30default_config_static_selectorELNS0_4arch9wavefront6targetE1EEEvT1_
                                        ; -- End function
	.section	.AMDGPU.csdata,"",@progbits
; Kernel info:
; codeLenInByte = 0
; NumSgprs: 6
; NumVgprs: 0
; NumAgprs: 0
; TotalNumVgprs: 0
; ScratchSize: 0
; MemoryBound: 0
; FloatMode: 240
; IeeeMode: 1
; LDSByteSize: 0 bytes/workgroup (compile time only)
; SGPRBlocks: 0
; VGPRBlocks: 0
; NumSGPRsForWavesPerEU: 6
; NumVGPRsForWavesPerEU: 1
; AccumOffset: 4
; Occupancy: 8
; WaveLimiterHint : 0
; COMPUTE_PGM_RSRC2:SCRATCH_EN: 0
; COMPUTE_PGM_RSRC2:USER_SGPR: 2
; COMPUTE_PGM_RSRC2:TRAP_HANDLER: 0
; COMPUTE_PGM_RSRC2:TGID_X_EN: 1
; COMPUTE_PGM_RSRC2:TGID_Y_EN: 0
; COMPUTE_PGM_RSRC2:TGID_Z_EN: 0
; COMPUTE_PGM_RSRC2:TIDIG_COMP_CNT: 0
; COMPUTE_PGM_RSRC3_GFX90A:ACCUM_OFFSET: 0
; COMPUTE_PGM_RSRC3_GFX90A:TG_SPLIT: 0
	.section	.text._ZN7rocprim17ROCPRIM_400000_NS6detail17trampoline_kernelINS0_14default_configENS1_25partition_config_selectorILNS1_17partition_subalgoE3ExNS0_10empty_typeEbEEZZNS1_14partition_implILS5_3ELb0ES3_jN6thrust23THRUST_200600_302600_NS6detail15normal_iteratorINSA_7pointerIxNSA_11hip_rocprim3tagENSA_11use_defaultESG_EEEEPS6_SJ_NS0_5tupleIJPxSJ_EEENSK_IJSJ_SJ_EEES6_PlJ7is_evenIxEEEE10hipError_tPvRmT3_T4_T5_T6_T7_T9_mT8_P12ihipStream_tbDpT10_ENKUlT_T0_E_clISt17integral_constantIbLb1EES1A_EEDaS15_S16_EUlS15_E_NS1_11comp_targetILNS1_3genE9ELNS1_11target_archE1100ELNS1_3gpuE3ELNS1_3repE0EEENS1_30default_config_static_selectorELNS0_4arch9wavefront6targetE1EEEvT1_,"axG",@progbits,_ZN7rocprim17ROCPRIM_400000_NS6detail17trampoline_kernelINS0_14default_configENS1_25partition_config_selectorILNS1_17partition_subalgoE3ExNS0_10empty_typeEbEEZZNS1_14partition_implILS5_3ELb0ES3_jN6thrust23THRUST_200600_302600_NS6detail15normal_iteratorINSA_7pointerIxNSA_11hip_rocprim3tagENSA_11use_defaultESG_EEEEPS6_SJ_NS0_5tupleIJPxSJ_EEENSK_IJSJ_SJ_EEES6_PlJ7is_evenIxEEEE10hipError_tPvRmT3_T4_T5_T6_T7_T9_mT8_P12ihipStream_tbDpT10_ENKUlT_T0_E_clISt17integral_constantIbLb1EES1A_EEDaS15_S16_EUlS15_E_NS1_11comp_targetILNS1_3genE9ELNS1_11target_archE1100ELNS1_3gpuE3ELNS1_3repE0EEENS1_30default_config_static_selectorELNS0_4arch9wavefront6targetE1EEEvT1_,comdat
	.protected	_ZN7rocprim17ROCPRIM_400000_NS6detail17trampoline_kernelINS0_14default_configENS1_25partition_config_selectorILNS1_17partition_subalgoE3ExNS0_10empty_typeEbEEZZNS1_14partition_implILS5_3ELb0ES3_jN6thrust23THRUST_200600_302600_NS6detail15normal_iteratorINSA_7pointerIxNSA_11hip_rocprim3tagENSA_11use_defaultESG_EEEEPS6_SJ_NS0_5tupleIJPxSJ_EEENSK_IJSJ_SJ_EEES6_PlJ7is_evenIxEEEE10hipError_tPvRmT3_T4_T5_T6_T7_T9_mT8_P12ihipStream_tbDpT10_ENKUlT_T0_E_clISt17integral_constantIbLb1EES1A_EEDaS15_S16_EUlS15_E_NS1_11comp_targetILNS1_3genE9ELNS1_11target_archE1100ELNS1_3gpuE3ELNS1_3repE0EEENS1_30default_config_static_selectorELNS0_4arch9wavefront6targetE1EEEvT1_ ; -- Begin function _ZN7rocprim17ROCPRIM_400000_NS6detail17trampoline_kernelINS0_14default_configENS1_25partition_config_selectorILNS1_17partition_subalgoE3ExNS0_10empty_typeEbEEZZNS1_14partition_implILS5_3ELb0ES3_jN6thrust23THRUST_200600_302600_NS6detail15normal_iteratorINSA_7pointerIxNSA_11hip_rocprim3tagENSA_11use_defaultESG_EEEEPS6_SJ_NS0_5tupleIJPxSJ_EEENSK_IJSJ_SJ_EEES6_PlJ7is_evenIxEEEE10hipError_tPvRmT3_T4_T5_T6_T7_T9_mT8_P12ihipStream_tbDpT10_ENKUlT_T0_E_clISt17integral_constantIbLb1EES1A_EEDaS15_S16_EUlS15_E_NS1_11comp_targetILNS1_3genE9ELNS1_11target_archE1100ELNS1_3gpuE3ELNS1_3repE0EEENS1_30default_config_static_selectorELNS0_4arch9wavefront6targetE1EEEvT1_
	.globl	_ZN7rocprim17ROCPRIM_400000_NS6detail17trampoline_kernelINS0_14default_configENS1_25partition_config_selectorILNS1_17partition_subalgoE3ExNS0_10empty_typeEbEEZZNS1_14partition_implILS5_3ELb0ES3_jN6thrust23THRUST_200600_302600_NS6detail15normal_iteratorINSA_7pointerIxNSA_11hip_rocprim3tagENSA_11use_defaultESG_EEEEPS6_SJ_NS0_5tupleIJPxSJ_EEENSK_IJSJ_SJ_EEES6_PlJ7is_evenIxEEEE10hipError_tPvRmT3_T4_T5_T6_T7_T9_mT8_P12ihipStream_tbDpT10_ENKUlT_T0_E_clISt17integral_constantIbLb1EES1A_EEDaS15_S16_EUlS15_E_NS1_11comp_targetILNS1_3genE9ELNS1_11target_archE1100ELNS1_3gpuE3ELNS1_3repE0EEENS1_30default_config_static_selectorELNS0_4arch9wavefront6targetE1EEEvT1_
	.p2align	8
	.type	_ZN7rocprim17ROCPRIM_400000_NS6detail17trampoline_kernelINS0_14default_configENS1_25partition_config_selectorILNS1_17partition_subalgoE3ExNS0_10empty_typeEbEEZZNS1_14partition_implILS5_3ELb0ES3_jN6thrust23THRUST_200600_302600_NS6detail15normal_iteratorINSA_7pointerIxNSA_11hip_rocprim3tagENSA_11use_defaultESG_EEEEPS6_SJ_NS0_5tupleIJPxSJ_EEENSK_IJSJ_SJ_EEES6_PlJ7is_evenIxEEEE10hipError_tPvRmT3_T4_T5_T6_T7_T9_mT8_P12ihipStream_tbDpT10_ENKUlT_T0_E_clISt17integral_constantIbLb1EES1A_EEDaS15_S16_EUlS15_E_NS1_11comp_targetILNS1_3genE9ELNS1_11target_archE1100ELNS1_3gpuE3ELNS1_3repE0EEENS1_30default_config_static_selectorELNS0_4arch9wavefront6targetE1EEEvT1_,@function
_ZN7rocprim17ROCPRIM_400000_NS6detail17trampoline_kernelINS0_14default_configENS1_25partition_config_selectorILNS1_17partition_subalgoE3ExNS0_10empty_typeEbEEZZNS1_14partition_implILS5_3ELb0ES3_jN6thrust23THRUST_200600_302600_NS6detail15normal_iteratorINSA_7pointerIxNSA_11hip_rocprim3tagENSA_11use_defaultESG_EEEEPS6_SJ_NS0_5tupleIJPxSJ_EEENSK_IJSJ_SJ_EEES6_PlJ7is_evenIxEEEE10hipError_tPvRmT3_T4_T5_T6_T7_T9_mT8_P12ihipStream_tbDpT10_ENKUlT_T0_E_clISt17integral_constantIbLb1EES1A_EEDaS15_S16_EUlS15_E_NS1_11comp_targetILNS1_3genE9ELNS1_11target_archE1100ELNS1_3gpuE3ELNS1_3repE0EEENS1_30default_config_static_selectorELNS0_4arch9wavefront6targetE1EEEvT1_: ; @_ZN7rocprim17ROCPRIM_400000_NS6detail17trampoline_kernelINS0_14default_configENS1_25partition_config_selectorILNS1_17partition_subalgoE3ExNS0_10empty_typeEbEEZZNS1_14partition_implILS5_3ELb0ES3_jN6thrust23THRUST_200600_302600_NS6detail15normal_iteratorINSA_7pointerIxNSA_11hip_rocprim3tagENSA_11use_defaultESG_EEEEPS6_SJ_NS0_5tupleIJPxSJ_EEENSK_IJSJ_SJ_EEES6_PlJ7is_evenIxEEEE10hipError_tPvRmT3_T4_T5_T6_T7_T9_mT8_P12ihipStream_tbDpT10_ENKUlT_T0_E_clISt17integral_constantIbLb1EES1A_EEDaS15_S16_EUlS15_E_NS1_11comp_targetILNS1_3genE9ELNS1_11target_archE1100ELNS1_3gpuE3ELNS1_3repE0EEENS1_30default_config_static_selectorELNS0_4arch9wavefront6targetE1EEEvT1_
; %bb.0:
	.section	.rodata,"a",@progbits
	.p2align	6, 0x0
	.amdhsa_kernel _ZN7rocprim17ROCPRIM_400000_NS6detail17trampoline_kernelINS0_14default_configENS1_25partition_config_selectorILNS1_17partition_subalgoE3ExNS0_10empty_typeEbEEZZNS1_14partition_implILS5_3ELb0ES3_jN6thrust23THRUST_200600_302600_NS6detail15normal_iteratorINSA_7pointerIxNSA_11hip_rocprim3tagENSA_11use_defaultESG_EEEEPS6_SJ_NS0_5tupleIJPxSJ_EEENSK_IJSJ_SJ_EEES6_PlJ7is_evenIxEEEE10hipError_tPvRmT3_T4_T5_T6_T7_T9_mT8_P12ihipStream_tbDpT10_ENKUlT_T0_E_clISt17integral_constantIbLb1EES1A_EEDaS15_S16_EUlS15_E_NS1_11comp_targetILNS1_3genE9ELNS1_11target_archE1100ELNS1_3gpuE3ELNS1_3repE0EEENS1_30default_config_static_selectorELNS0_4arch9wavefront6targetE1EEEvT1_
		.amdhsa_group_segment_fixed_size 0
		.amdhsa_private_segment_fixed_size 0
		.amdhsa_kernarg_size 136
		.amdhsa_user_sgpr_count 2
		.amdhsa_user_sgpr_dispatch_ptr 0
		.amdhsa_user_sgpr_queue_ptr 0
		.amdhsa_user_sgpr_kernarg_segment_ptr 1
		.amdhsa_user_sgpr_dispatch_id 0
		.amdhsa_user_sgpr_kernarg_preload_length 0
		.amdhsa_user_sgpr_kernarg_preload_offset 0
		.amdhsa_user_sgpr_private_segment_size 0
		.amdhsa_uses_dynamic_stack 0
		.amdhsa_enable_private_segment 0
		.amdhsa_system_sgpr_workgroup_id_x 1
		.amdhsa_system_sgpr_workgroup_id_y 0
		.amdhsa_system_sgpr_workgroup_id_z 0
		.amdhsa_system_sgpr_workgroup_info 0
		.amdhsa_system_vgpr_workitem_id 0
		.amdhsa_next_free_vgpr 1
		.amdhsa_next_free_sgpr 0
		.amdhsa_accum_offset 4
		.amdhsa_reserve_vcc 0
		.amdhsa_float_round_mode_32 0
		.amdhsa_float_round_mode_16_64 0
		.amdhsa_float_denorm_mode_32 3
		.amdhsa_float_denorm_mode_16_64 3
		.amdhsa_dx10_clamp 1
		.amdhsa_ieee_mode 1
		.amdhsa_fp16_overflow 0
		.amdhsa_tg_split 0
		.amdhsa_exception_fp_ieee_invalid_op 0
		.amdhsa_exception_fp_denorm_src 0
		.amdhsa_exception_fp_ieee_div_zero 0
		.amdhsa_exception_fp_ieee_overflow 0
		.amdhsa_exception_fp_ieee_underflow 0
		.amdhsa_exception_fp_ieee_inexact 0
		.amdhsa_exception_int_div_zero 0
	.end_amdhsa_kernel
	.section	.text._ZN7rocprim17ROCPRIM_400000_NS6detail17trampoline_kernelINS0_14default_configENS1_25partition_config_selectorILNS1_17partition_subalgoE3ExNS0_10empty_typeEbEEZZNS1_14partition_implILS5_3ELb0ES3_jN6thrust23THRUST_200600_302600_NS6detail15normal_iteratorINSA_7pointerIxNSA_11hip_rocprim3tagENSA_11use_defaultESG_EEEEPS6_SJ_NS0_5tupleIJPxSJ_EEENSK_IJSJ_SJ_EEES6_PlJ7is_evenIxEEEE10hipError_tPvRmT3_T4_T5_T6_T7_T9_mT8_P12ihipStream_tbDpT10_ENKUlT_T0_E_clISt17integral_constantIbLb1EES1A_EEDaS15_S16_EUlS15_E_NS1_11comp_targetILNS1_3genE9ELNS1_11target_archE1100ELNS1_3gpuE3ELNS1_3repE0EEENS1_30default_config_static_selectorELNS0_4arch9wavefront6targetE1EEEvT1_,"axG",@progbits,_ZN7rocprim17ROCPRIM_400000_NS6detail17trampoline_kernelINS0_14default_configENS1_25partition_config_selectorILNS1_17partition_subalgoE3ExNS0_10empty_typeEbEEZZNS1_14partition_implILS5_3ELb0ES3_jN6thrust23THRUST_200600_302600_NS6detail15normal_iteratorINSA_7pointerIxNSA_11hip_rocprim3tagENSA_11use_defaultESG_EEEEPS6_SJ_NS0_5tupleIJPxSJ_EEENSK_IJSJ_SJ_EEES6_PlJ7is_evenIxEEEE10hipError_tPvRmT3_T4_T5_T6_T7_T9_mT8_P12ihipStream_tbDpT10_ENKUlT_T0_E_clISt17integral_constantIbLb1EES1A_EEDaS15_S16_EUlS15_E_NS1_11comp_targetILNS1_3genE9ELNS1_11target_archE1100ELNS1_3gpuE3ELNS1_3repE0EEENS1_30default_config_static_selectorELNS0_4arch9wavefront6targetE1EEEvT1_,comdat
.Lfunc_end28:
	.size	_ZN7rocprim17ROCPRIM_400000_NS6detail17trampoline_kernelINS0_14default_configENS1_25partition_config_selectorILNS1_17partition_subalgoE3ExNS0_10empty_typeEbEEZZNS1_14partition_implILS5_3ELb0ES3_jN6thrust23THRUST_200600_302600_NS6detail15normal_iteratorINSA_7pointerIxNSA_11hip_rocprim3tagENSA_11use_defaultESG_EEEEPS6_SJ_NS0_5tupleIJPxSJ_EEENSK_IJSJ_SJ_EEES6_PlJ7is_evenIxEEEE10hipError_tPvRmT3_T4_T5_T6_T7_T9_mT8_P12ihipStream_tbDpT10_ENKUlT_T0_E_clISt17integral_constantIbLb1EES1A_EEDaS15_S16_EUlS15_E_NS1_11comp_targetILNS1_3genE9ELNS1_11target_archE1100ELNS1_3gpuE3ELNS1_3repE0EEENS1_30default_config_static_selectorELNS0_4arch9wavefront6targetE1EEEvT1_, .Lfunc_end28-_ZN7rocprim17ROCPRIM_400000_NS6detail17trampoline_kernelINS0_14default_configENS1_25partition_config_selectorILNS1_17partition_subalgoE3ExNS0_10empty_typeEbEEZZNS1_14partition_implILS5_3ELb0ES3_jN6thrust23THRUST_200600_302600_NS6detail15normal_iteratorINSA_7pointerIxNSA_11hip_rocprim3tagENSA_11use_defaultESG_EEEEPS6_SJ_NS0_5tupleIJPxSJ_EEENSK_IJSJ_SJ_EEES6_PlJ7is_evenIxEEEE10hipError_tPvRmT3_T4_T5_T6_T7_T9_mT8_P12ihipStream_tbDpT10_ENKUlT_T0_E_clISt17integral_constantIbLb1EES1A_EEDaS15_S16_EUlS15_E_NS1_11comp_targetILNS1_3genE9ELNS1_11target_archE1100ELNS1_3gpuE3ELNS1_3repE0EEENS1_30default_config_static_selectorELNS0_4arch9wavefront6targetE1EEEvT1_
                                        ; -- End function
	.section	.AMDGPU.csdata,"",@progbits
; Kernel info:
; codeLenInByte = 0
; NumSgprs: 6
; NumVgprs: 0
; NumAgprs: 0
; TotalNumVgprs: 0
; ScratchSize: 0
; MemoryBound: 0
; FloatMode: 240
; IeeeMode: 1
; LDSByteSize: 0 bytes/workgroup (compile time only)
; SGPRBlocks: 0
; VGPRBlocks: 0
; NumSGPRsForWavesPerEU: 6
; NumVGPRsForWavesPerEU: 1
; AccumOffset: 4
; Occupancy: 8
; WaveLimiterHint : 0
; COMPUTE_PGM_RSRC2:SCRATCH_EN: 0
; COMPUTE_PGM_RSRC2:USER_SGPR: 2
; COMPUTE_PGM_RSRC2:TRAP_HANDLER: 0
; COMPUTE_PGM_RSRC2:TGID_X_EN: 1
; COMPUTE_PGM_RSRC2:TGID_Y_EN: 0
; COMPUTE_PGM_RSRC2:TGID_Z_EN: 0
; COMPUTE_PGM_RSRC2:TIDIG_COMP_CNT: 0
; COMPUTE_PGM_RSRC3_GFX90A:ACCUM_OFFSET: 0
; COMPUTE_PGM_RSRC3_GFX90A:TG_SPLIT: 0
	.section	.text._ZN7rocprim17ROCPRIM_400000_NS6detail17trampoline_kernelINS0_14default_configENS1_25partition_config_selectorILNS1_17partition_subalgoE3ExNS0_10empty_typeEbEEZZNS1_14partition_implILS5_3ELb0ES3_jN6thrust23THRUST_200600_302600_NS6detail15normal_iteratorINSA_7pointerIxNSA_11hip_rocprim3tagENSA_11use_defaultESG_EEEEPS6_SJ_NS0_5tupleIJPxSJ_EEENSK_IJSJ_SJ_EEES6_PlJ7is_evenIxEEEE10hipError_tPvRmT3_T4_T5_T6_T7_T9_mT8_P12ihipStream_tbDpT10_ENKUlT_T0_E_clISt17integral_constantIbLb1EES1A_EEDaS15_S16_EUlS15_E_NS1_11comp_targetILNS1_3genE8ELNS1_11target_archE1030ELNS1_3gpuE2ELNS1_3repE0EEENS1_30default_config_static_selectorELNS0_4arch9wavefront6targetE1EEEvT1_,"axG",@progbits,_ZN7rocprim17ROCPRIM_400000_NS6detail17trampoline_kernelINS0_14default_configENS1_25partition_config_selectorILNS1_17partition_subalgoE3ExNS0_10empty_typeEbEEZZNS1_14partition_implILS5_3ELb0ES3_jN6thrust23THRUST_200600_302600_NS6detail15normal_iteratorINSA_7pointerIxNSA_11hip_rocprim3tagENSA_11use_defaultESG_EEEEPS6_SJ_NS0_5tupleIJPxSJ_EEENSK_IJSJ_SJ_EEES6_PlJ7is_evenIxEEEE10hipError_tPvRmT3_T4_T5_T6_T7_T9_mT8_P12ihipStream_tbDpT10_ENKUlT_T0_E_clISt17integral_constantIbLb1EES1A_EEDaS15_S16_EUlS15_E_NS1_11comp_targetILNS1_3genE8ELNS1_11target_archE1030ELNS1_3gpuE2ELNS1_3repE0EEENS1_30default_config_static_selectorELNS0_4arch9wavefront6targetE1EEEvT1_,comdat
	.protected	_ZN7rocprim17ROCPRIM_400000_NS6detail17trampoline_kernelINS0_14default_configENS1_25partition_config_selectorILNS1_17partition_subalgoE3ExNS0_10empty_typeEbEEZZNS1_14partition_implILS5_3ELb0ES3_jN6thrust23THRUST_200600_302600_NS6detail15normal_iteratorINSA_7pointerIxNSA_11hip_rocprim3tagENSA_11use_defaultESG_EEEEPS6_SJ_NS0_5tupleIJPxSJ_EEENSK_IJSJ_SJ_EEES6_PlJ7is_evenIxEEEE10hipError_tPvRmT3_T4_T5_T6_T7_T9_mT8_P12ihipStream_tbDpT10_ENKUlT_T0_E_clISt17integral_constantIbLb1EES1A_EEDaS15_S16_EUlS15_E_NS1_11comp_targetILNS1_3genE8ELNS1_11target_archE1030ELNS1_3gpuE2ELNS1_3repE0EEENS1_30default_config_static_selectorELNS0_4arch9wavefront6targetE1EEEvT1_ ; -- Begin function _ZN7rocprim17ROCPRIM_400000_NS6detail17trampoline_kernelINS0_14default_configENS1_25partition_config_selectorILNS1_17partition_subalgoE3ExNS0_10empty_typeEbEEZZNS1_14partition_implILS5_3ELb0ES3_jN6thrust23THRUST_200600_302600_NS6detail15normal_iteratorINSA_7pointerIxNSA_11hip_rocprim3tagENSA_11use_defaultESG_EEEEPS6_SJ_NS0_5tupleIJPxSJ_EEENSK_IJSJ_SJ_EEES6_PlJ7is_evenIxEEEE10hipError_tPvRmT3_T4_T5_T6_T7_T9_mT8_P12ihipStream_tbDpT10_ENKUlT_T0_E_clISt17integral_constantIbLb1EES1A_EEDaS15_S16_EUlS15_E_NS1_11comp_targetILNS1_3genE8ELNS1_11target_archE1030ELNS1_3gpuE2ELNS1_3repE0EEENS1_30default_config_static_selectorELNS0_4arch9wavefront6targetE1EEEvT1_
	.globl	_ZN7rocprim17ROCPRIM_400000_NS6detail17trampoline_kernelINS0_14default_configENS1_25partition_config_selectorILNS1_17partition_subalgoE3ExNS0_10empty_typeEbEEZZNS1_14partition_implILS5_3ELb0ES3_jN6thrust23THRUST_200600_302600_NS6detail15normal_iteratorINSA_7pointerIxNSA_11hip_rocprim3tagENSA_11use_defaultESG_EEEEPS6_SJ_NS0_5tupleIJPxSJ_EEENSK_IJSJ_SJ_EEES6_PlJ7is_evenIxEEEE10hipError_tPvRmT3_T4_T5_T6_T7_T9_mT8_P12ihipStream_tbDpT10_ENKUlT_T0_E_clISt17integral_constantIbLb1EES1A_EEDaS15_S16_EUlS15_E_NS1_11comp_targetILNS1_3genE8ELNS1_11target_archE1030ELNS1_3gpuE2ELNS1_3repE0EEENS1_30default_config_static_selectorELNS0_4arch9wavefront6targetE1EEEvT1_
	.p2align	8
	.type	_ZN7rocprim17ROCPRIM_400000_NS6detail17trampoline_kernelINS0_14default_configENS1_25partition_config_selectorILNS1_17partition_subalgoE3ExNS0_10empty_typeEbEEZZNS1_14partition_implILS5_3ELb0ES3_jN6thrust23THRUST_200600_302600_NS6detail15normal_iteratorINSA_7pointerIxNSA_11hip_rocprim3tagENSA_11use_defaultESG_EEEEPS6_SJ_NS0_5tupleIJPxSJ_EEENSK_IJSJ_SJ_EEES6_PlJ7is_evenIxEEEE10hipError_tPvRmT3_T4_T5_T6_T7_T9_mT8_P12ihipStream_tbDpT10_ENKUlT_T0_E_clISt17integral_constantIbLb1EES1A_EEDaS15_S16_EUlS15_E_NS1_11comp_targetILNS1_3genE8ELNS1_11target_archE1030ELNS1_3gpuE2ELNS1_3repE0EEENS1_30default_config_static_selectorELNS0_4arch9wavefront6targetE1EEEvT1_,@function
_ZN7rocprim17ROCPRIM_400000_NS6detail17trampoline_kernelINS0_14default_configENS1_25partition_config_selectorILNS1_17partition_subalgoE3ExNS0_10empty_typeEbEEZZNS1_14partition_implILS5_3ELb0ES3_jN6thrust23THRUST_200600_302600_NS6detail15normal_iteratorINSA_7pointerIxNSA_11hip_rocprim3tagENSA_11use_defaultESG_EEEEPS6_SJ_NS0_5tupleIJPxSJ_EEENSK_IJSJ_SJ_EEES6_PlJ7is_evenIxEEEE10hipError_tPvRmT3_T4_T5_T6_T7_T9_mT8_P12ihipStream_tbDpT10_ENKUlT_T0_E_clISt17integral_constantIbLb1EES1A_EEDaS15_S16_EUlS15_E_NS1_11comp_targetILNS1_3genE8ELNS1_11target_archE1030ELNS1_3gpuE2ELNS1_3repE0EEENS1_30default_config_static_selectorELNS0_4arch9wavefront6targetE1EEEvT1_: ; @_ZN7rocprim17ROCPRIM_400000_NS6detail17trampoline_kernelINS0_14default_configENS1_25partition_config_selectorILNS1_17partition_subalgoE3ExNS0_10empty_typeEbEEZZNS1_14partition_implILS5_3ELb0ES3_jN6thrust23THRUST_200600_302600_NS6detail15normal_iteratorINSA_7pointerIxNSA_11hip_rocprim3tagENSA_11use_defaultESG_EEEEPS6_SJ_NS0_5tupleIJPxSJ_EEENSK_IJSJ_SJ_EEES6_PlJ7is_evenIxEEEE10hipError_tPvRmT3_T4_T5_T6_T7_T9_mT8_P12ihipStream_tbDpT10_ENKUlT_T0_E_clISt17integral_constantIbLb1EES1A_EEDaS15_S16_EUlS15_E_NS1_11comp_targetILNS1_3genE8ELNS1_11target_archE1030ELNS1_3gpuE2ELNS1_3repE0EEENS1_30default_config_static_selectorELNS0_4arch9wavefront6targetE1EEEvT1_
; %bb.0:
	.section	.rodata,"a",@progbits
	.p2align	6, 0x0
	.amdhsa_kernel _ZN7rocprim17ROCPRIM_400000_NS6detail17trampoline_kernelINS0_14default_configENS1_25partition_config_selectorILNS1_17partition_subalgoE3ExNS0_10empty_typeEbEEZZNS1_14partition_implILS5_3ELb0ES3_jN6thrust23THRUST_200600_302600_NS6detail15normal_iteratorINSA_7pointerIxNSA_11hip_rocprim3tagENSA_11use_defaultESG_EEEEPS6_SJ_NS0_5tupleIJPxSJ_EEENSK_IJSJ_SJ_EEES6_PlJ7is_evenIxEEEE10hipError_tPvRmT3_T4_T5_T6_T7_T9_mT8_P12ihipStream_tbDpT10_ENKUlT_T0_E_clISt17integral_constantIbLb1EES1A_EEDaS15_S16_EUlS15_E_NS1_11comp_targetILNS1_3genE8ELNS1_11target_archE1030ELNS1_3gpuE2ELNS1_3repE0EEENS1_30default_config_static_selectorELNS0_4arch9wavefront6targetE1EEEvT1_
		.amdhsa_group_segment_fixed_size 0
		.amdhsa_private_segment_fixed_size 0
		.amdhsa_kernarg_size 136
		.amdhsa_user_sgpr_count 2
		.amdhsa_user_sgpr_dispatch_ptr 0
		.amdhsa_user_sgpr_queue_ptr 0
		.amdhsa_user_sgpr_kernarg_segment_ptr 1
		.amdhsa_user_sgpr_dispatch_id 0
		.amdhsa_user_sgpr_kernarg_preload_length 0
		.amdhsa_user_sgpr_kernarg_preload_offset 0
		.amdhsa_user_sgpr_private_segment_size 0
		.amdhsa_uses_dynamic_stack 0
		.amdhsa_enable_private_segment 0
		.amdhsa_system_sgpr_workgroup_id_x 1
		.amdhsa_system_sgpr_workgroup_id_y 0
		.amdhsa_system_sgpr_workgroup_id_z 0
		.amdhsa_system_sgpr_workgroup_info 0
		.amdhsa_system_vgpr_workitem_id 0
		.amdhsa_next_free_vgpr 1
		.amdhsa_next_free_sgpr 0
		.amdhsa_accum_offset 4
		.amdhsa_reserve_vcc 0
		.amdhsa_float_round_mode_32 0
		.amdhsa_float_round_mode_16_64 0
		.amdhsa_float_denorm_mode_32 3
		.amdhsa_float_denorm_mode_16_64 3
		.amdhsa_dx10_clamp 1
		.amdhsa_ieee_mode 1
		.amdhsa_fp16_overflow 0
		.amdhsa_tg_split 0
		.amdhsa_exception_fp_ieee_invalid_op 0
		.amdhsa_exception_fp_denorm_src 0
		.amdhsa_exception_fp_ieee_div_zero 0
		.amdhsa_exception_fp_ieee_overflow 0
		.amdhsa_exception_fp_ieee_underflow 0
		.amdhsa_exception_fp_ieee_inexact 0
		.amdhsa_exception_int_div_zero 0
	.end_amdhsa_kernel
	.section	.text._ZN7rocprim17ROCPRIM_400000_NS6detail17trampoline_kernelINS0_14default_configENS1_25partition_config_selectorILNS1_17partition_subalgoE3ExNS0_10empty_typeEbEEZZNS1_14partition_implILS5_3ELb0ES3_jN6thrust23THRUST_200600_302600_NS6detail15normal_iteratorINSA_7pointerIxNSA_11hip_rocprim3tagENSA_11use_defaultESG_EEEEPS6_SJ_NS0_5tupleIJPxSJ_EEENSK_IJSJ_SJ_EEES6_PlJ7is_evenIxEEEE10hipError_tPvRmT3_T4_T5_T6_T7_T9_mT8_P12ihipStream_tbDpT10_ENKUlT_T0_E_clISt17integral_constantIbLb1EES1A_EEDaS15_S16_EUlS15_E_NS1_11comp_targetILNS1_3genE8ELNS1_11target_archE1030ELNS1_3gpuE2ELNS1_3repE0EEENS1_30default_config_static_selectorELNS0_4arch9wavefront6targetE1EEEvT1_,"axG",@progbits,_ZN7rocprim17ROCPRIM_400000_NS6detail17trampoline_kernelINS0_14default_configENS1_25partition_config_selectorILNS1_17partition_subalgoE3ExNS0_10empty_typeEbEEZZNS1_14partition_implILS5_3ELb0ES3_jN6thrust23THRUST_200600_302600_NS6detail15normal_iteratorINSA_7pointerIxNSA_11hip_rocprim3tagENSA_11use_defaultESG_EEEEPS6_SJ_NS0_5tupleIJPxSJ_EEENSK_IJSJ_SJ_EEES6_PlJ7is_evenIxEEEE10hipError_tPvRmT3_T4_T5_T6_T7_T9_mT8_P12ihipStream_tbDpT10_ENKUlT_T0_E_clISt17integral_constantIbLb1EES1A_EEDaS15_S16_EUlS15_E_NS1_11comp_targetILNS1_3genE8ELNS1_11target_archE1030ELNS1_3gpuE2ELNS1_3repE0EEENS1_30default_config_static_selectorELNS0_4arch9wavefront6targetE1EEEvT1_,comdat
.Lfunc_end29:
	.size	_ZN7rocprim17ROCPRIM_400000_NS6detail17trampoline_kernelINS0_14default_configENS1_25partition_config_selectorILNS1_17partition_subalgoE3ExNS0_10empty_typeEbEEZZNS1_14partition_implILS5_3ELb0ES3_jN6thrust23THRUST_200600_302600_NS6detail15normal_iteratorINSA_7pointerIxNSA_11hip_rocprim3tagENSA_11use_defaultESG_EEEEPS6_SJ_NS0_5tupleIJPxSJ_EEENSK_IJSJ_SJ_EEES6_PlJ7is_evenIxEEEE10hipError_tPvRmT3_T4_T5_T6_T7_T9_mT8_P12ihipStream_tbDpT10_ENKUlT_T0_E_clISt17integral_constantIbLb1EES1A_EEDaS15_S16_EUlS15_E_NS1_11comp_targetILNS1_3genE8ELNS1_11target_archE1030ELNS1_3gpuE2ELNS1_3repE0EEENS1_30default_config_static_selectorELNS0_4arch9wavefront6targetE1EEEvT1_, .Lfunc_end29-_ZN7rocprim17ROCPRIM_400000_NS6detail17trampoline_kernelINS0_14default_configENS1_25partition_config_selectorILNS1_17partition_subalgoE3ExNS0_10empty_typeEbEEZZNS1_14partition_implILS5_3ELb0ES3_jN6thrust23THRUST_200600_302600_NS6detail15normal_iteratorINSA_7pointerIxNSA_11hip_rocprim3tagENSA_11use_defaultESG_EEEEPS6_SJ_NS0_5tupleIJPxSJ_EEENSK_IJSJ_SJ_EEES6_PlJ7is_evenIxEEEE10hipError_tPvRmT3_T4_T5_T6_T7_T9_mT8_P12ihipStream_tbDpT10_ENKUlT_T0_E_clISt17integral_constantIbLb1EES1A_EEDaS15_S16_EUlS15_E_NS1_11comp_targetILNS1_3genE8ELNS1_11target_archE1030ELNS1_3gpuE2ELNS1_3repE0EEENS1_30default_config_static_selectorELNS0_4arch9wavefront6targetE1EEEvT1_
                                        ; -- End function
	.section	.AMDGPU.csdata,"",@progbits
; Kernel info:
; codeLenInByte = 0
; NumSgprs: 6
; NumVgprs: 0
; NumAgprs: 0
; TotalNumVgprs: 0
; ScratchSize: 0
; MemoryBound: 0
; FloatMode: 240
; IeeeMode: 1
; LDSByteSize: 0 bytes/workgroup (compile time only)
; SGPRBlocks: 0
; VGPRBlocks: 0
; NumSGPRsForWavesPerEU: 6
; NumVGPRsForWavesPerEU: 1
; AccumOffset: 4
; Occupancy: 8
; WaveLimiterHint : 0
; COMPUTE_PGM_RSRC2:SCRATCH_EN: 0
; COMPUTE_PGM_RSRC2:USER_SGPR: 2
; COMPUTE_PGM_RSRC2:TRAP_HANDLER: 0
; COMPUTE_PGM_RSRC2:TGID_X_EN: 1
; COMPUTE_PGM_RSRC2:TGID_Y_EN: 0
; COMPUTE_PGM_RSRC2:TGID_Z_EN: 0
; COMPUTE_PGM_RSRC2:TIDIG_COMP_CNT: 0
; COMPUTE_PGM_RSRC3_GFX90A:ACCUM_OFFSET: 0
; COMPUTE_PGM_RSRC3_GFX90A:TG_SPLIT: 0
	.section	.text._ZN7rocprim17ROCPRIM_400000_NS6detail31init_lookback_scan_state_kernelINS1_19lookback_scan_stateIjLb1ELb1EEENS1_16block_id_wrapperIjLb0EEEEEvT_jT0_jPNS7_10value_typeE,"axG",@progbits,_ZN7rocprim17ROCPRIM_400000_NS6detail31init_lookback_scan_state_kernelINS1_19lookback_scan_stateIjLb1ELb1EEENS1_16block_id_wrapperIjLb0EEEEEvT_jT0_jPNS7_10value_typeE,comdat
	.protected	_ZN7rocprim17ROCPRIM_400000_NS6detail31init_lookback_scan_state_kernelINS1_19lookback_scan_stateIjLb1ELb1EEENS1_16block_id_wrapperIjLb0EEEEEvT_jT0_jPNS7_10value_typeE ; -- Begin function _ZN7rocprim17ROCPRIM_400000_NS6detail31init_lookback_scan_state_kernelINS1_19lookback_scan_stateIjLb1ELb1EEENS1_16block_id_wrapperIjLb0EEEEEvT_jT0_jPNS7_10value_typeE
	.globl	_ZN7rocprim17ROCPRIM_400000_NS6detail31init_lookback_scan_state_kernelINS1_19lookback_scan_stateIjLb1ELb1EEENS1_16block_id_wrapperIjLb0EEEEEvT_jT0_jPNS7_10value_typeE
	.p2align	8
	.type	_ZN7rocprim17ROCPRIM_400000_NS6detail31init_lookback_scan_state_kernelINS1_19lookback_scan_stateIjLb1ELb1EEENS1_16block_id_wrapperIjLb0EEEEEvT_jT0_jPNS7_10value_typeE,@function
_ZN7rocprim17ROCPRIM_400000_NS6detail31init_lookback_scan_state_kernelINS1_19lookback_scan_stateIjLb1ELb1EEENS1_16block_id_wrapperIjLb0EEEEEvT_jT0_jPNS7_10value_typeE: ; @_ZN7rocprim17ROCPRIM_400000_NS6detail31init_lookback_scan_state_kernelINS1_19lookback_scan_stateIjLb1ELb1EEENS1_16block_id_wrapperIjLb0EEEEEvT_jT0_jPNS7_10value_typeE
; %bb.0:
	s_load_dword s3, s[0:1], 0x2c
	s_load_dwordx2 s[6:7], s[0:1], 0x18
	s_load_dwordx2 s[4:5], s[0:1], 0x0
	s_load_dword s8, s[0:1], 0x8
	s_waitcnt lgkmcnt(0)
	s_and_b32 s3, s3, 0xffff
	s_mul_i32 s2, s2, s3
	s_cmp_eq_u64 s[6:7], 0
	v_add_u32_e32 v0, s2, v0
	s_cbranch_scc1 .LBB30_9
; %bb.1:
	s_load_dword s2, s[0:1], 0x10
	s_mov_b32 s3, 0
	s_waitcnt lgkmcnt(0)
	s_cmp_lt_u32 s2, s8
	s_cselect_b32 s0, s2, 0
	v_cmp_eq_u32_e32 vcc, s0, v0
	s_and_saveexec_b64 s[0:1], vcc
	s_cbranch_execz .LBB30_8
; %bb.2:
	s_add_i32 s2, s2, 64
	s_lshl_b64 s[2:3], s[2:3], 3
	s_add_u32 s2, s4, s2
	s_addc_u32 s3, s5, s3
	v_mov_b32_e32 v2, 0
	global_load_dwordx2 v[4:5], v2, s[2:3] sc1
	s_waitcnt vmcnt(0)
	v_and_b32_e32 v3, 0xff, v5
	v_cmp_ne_u64_e32 vcc, 0, v[2:3]
	s_cbranch_vccnz .LBB30_7
; %bb.3:
	s_mov_b32 s9, 1
.LBB30_4:                               ; =>This Loop Header: Depth=1
                                        ;     Child Loop BB30_5 Depth 2
	s_max_u32 s10, s9, 1
.LBB30_5:                               ;   Parent Loop BB30_4 Depth=1
                                        ; =>  This Inner Loop Header: Depth=2
	s_add_i32 s10, s10, -1
	s_cmp_eq_u32 s10, 0
	s_sleep 1
	s_cbranch_scc0 .LBB30_5
; %bb.6:                                ;   in Loop: Header=BB30_4 Depth=1
	global_load_dwordx2 v[4:5], v2, s[2:3] sc1
	s_cmp_lt_u32 s9, 32
	s_cselect_b64 s[10:11], -1, 0
	s_cmp_lg_u64 s[10:11], 0
	s_addc_u32 s9, s9, 0
	s_waitcnt vmcnt(0)
	v_and_b32_e32 v3, 0xff, v5
	v_cmp_ne_u64_e32 vcc, 0, v[2:3]
	s_cbranch_vccz .LBB30_4
.LBB30_7:
	v_mov_b32_e32 v1, 0
	global_store_dword v1, v4, s[6:7]
.LBB30_8:
	s_or_b64 exec, exec, s[0:1]
.LBB30_9:
	v_cmp_gt_u32_e32 vcc, s8, v0
	s_and_saveexec_b64 s[0:1], vcc
	s_cbranch_execnz .LBB30_12
; %bb.10:
	s_or_b64 exec, exec, s[0:1]
	v_cmp_gt_u32_e32 vcc, 64, v0
	s_and_saveexec_b64 s[0:1], vcc
	s_cbranch_execnz .LBB30_13
.LBB30_11:
	s_endpgm
.LBB30_12:
	v_add_u32_e32 v2, 64, v0
	v_mov_b32_e32 v3, 0
	v_lshl_add_u64 v[4:5], v[2:3], 3, s[4:5]
	v_mov_b32_e32 v2, v3
	global_store_dwordx2 v[4:5], v[2:3], off
	s_or_b64 exec, exec, s[0:1]
	v_cmp_gt_u32_e32 vcc, 64, v0
	s_and_saveexec_b64 s[0:1], vcc
	s_cbranch_execz .LBB30_11
.LBB30_13:
	v_mov_b32_e32 v1, 0
	v_lshl_add_u64 v[2:3], v[0:1], 3, s[4:5]
	v_mov_b32_e32 v5, 0xff
	v_mov_b32_e32 v4, v1
	global_store_dwordx2 v[2:3], v[4:5], off
	s_endpgm
	.section	.rodata,"a",@progbits
	.p2align	6, 0x0
	.amdhsa_kernel _ZN7rocprim17ROCPRIM_400000_NS6detail31init_lookback_scan_state_kernelINS1_19lookback_scan_stateIjLb1ELb1EEENS1_16block_id_wrapperIjLb0EEEEEvT_jT0_jPNS7_10value_typeE
		.amdhsa_group_segment_fixed_size 0
		.amdhsa_private_segment_fixed_size 0
		.amdhsa_kernarg_size 288
		.amdhsa_user_sgpr_count 2
		.amdhsa_user_sgpr_dispatch_ptr 0
		.amdhsa_user_sgpr_queue_ptr 0
		.amdhsa_user_sgpr_kernarg_segment_ptr 1
		.amdhsa_user_sgpr_dispatch_id 0
		.amdhsa_user_sgpr_kernarg_preload_length 0
		.amdhsa_user_sgpr_kernarg_preload_offset 0
		.amdhsa_user_sgpr_private_segment_size 0
		.amdhsa_uses_dynamic_stack 0
		.amdhsa_enable_private_segment 0
		.amdhsa_system_sgpr_workgroup_id_x 1
		.amdhsa_system_sgpr_workgroup_id_y 0
		.amdhsa_system_sgpr_workgroup_id_z 0
		.amdhsa_system_sgpr_workgroup_info 0
		.amdhsa_system_vgpr_workitem_id 0
		.amdhsa_next_free_vgpr 6
		.amdhsa_next_free_sgpr 12
		.amdhsa_accum_offset 8
		.amdhsa_reserve_vcc 1
		.amdhsa_float_round_mode_32 0
		.amdhsa_float_round_mode_16_64 0
		.amdhsa_float_denorm_mode_32 3
		.amdhsa_float_denorm_mode_16_64 3
		.amdhsa_dx10_clamp 1
		.amdhsa_ieee_mode 1
		.amdhsa_fp16_overflow 0
		.amdhsa_tg_split 0
		.amdhsa_exception_fp_ieee_invalid_op 0
		.amdhsa_exception_fp_denorm_src 0
		.amdhsa_exception_fp_ieee_div_zero 0
		.amdhsa_exception_fp_ieee_overflow 0
		.amdhsa_exception_fp_ieee_underflow 0
		.amdhsa_exception_fp_ieee_inexact 0
		.amdhsa_exception_int_div_zero 0
	.end_amdhsa_kernel
	.section	.text._ZN7rocprim17ROCPRIM_400000_NS6detail31init_lookback_scan_state_kernelINS1_19lookback_scan_stateIjLb1ELb1EEENS1_16block_id_wrapperIjLb0EEEEEvT_jT0_jPNS7_10value_typeE,"axG",@progbits,_ZN7rocprim17ROCPRIM_400000_NS6detail31init_lookback_scan_state_kernelINS1_19lookback_scan_stateIjLb1ELb1EEENS1_16block_id_wrapperIjLb0EEEEEvT_jT0_jPNS7_10value_typeE,comdat
.Lfunc_end30:
	.size	_ZN7rocprim17ROCPRIM_400000_NS6detail31init_lookback_scan_state_kernelINS1_19lookback_scan_stateIjLb1ELb1EEENS1_16block_id_wrapperIjLb0EEEEEvT_jT0_jPNS7_10value_typeE, .Lfunc_end30-_ZN7rocprim17ROCPRIM_400000_NS6detail31init_lookback_scan_state_kernelINS1_19lookback_scan_stateIjLb1ELb1EEENS1_16block_id_wrapperIjLb0EEEEEvT_jT0_jPNS7_10value_typeE
                                        ; -- End function
	.section	.AMDGPU.csdata,"",@progbits
; Kernel info:
; codeLenInByte = 340
; NumSgprs: 18
; NumVgprs: 6
; NumAgprs: 0
; TotalNumVgprs: 6
; ScratchSize: 0
; MemoryBound: 0
; FloatMode: 240
; IeeeMode: 1
; LDSByteSize: 0 bytes/workgroup (compile time only)
; SGPRBlocks: 2
; VGPRBlocks: 0
; NumSGPRsForWavesPerEU: 18
; NumVGPRsForWavesPerEU: 6
; AccumOffset: 8
; Occupancy: 8
; WaveLimiterHint : 0
; COMPUTE_PGM_RSRC2:SCRATCH_EN: 0
; COMPUTE_PGM_RSRC2:USER_SGPR: 2
; COMPUTE_PGM_RSRC2:TRAP_HANDLER: 0
; COMPUTE_PGM_RSRC2:TGID_X_EN: 1
; COMPUTE_PGM_RSRC2:TGID_Y_EN: 0
; COMPUTE_PGM_RSRC2:TGID_Z_EN: 0
; COMPUTE_PGM_RSRC2:TIDIG_COMP_CNT: 0
; COMPUTE_PGM_RSRC3_GFX90A:ACCUM_OFFSET: 1
; COMPUTE_PGM_RSRC3_GFX90A:TG_SPLIT: 0
	.section	.text._ZN7rocprim17ROCPRIM_400000_NS6detail17trampoline_kernelINS0_14default_configENS1_25partition_config_selectorILNS1_17partition_subalgoE3ExNS0_10empty_typeEbEEZZNS1_14partition_implILS5_3ELb0ES3_jN6thrust23THRUST_200600_302600_NS6detail15normal_iteratorINSA_7pointerIxNSA_11hip_rocprim3tagENSA_11use_defaultESG_EEEEPS6_SJ_NS0_5tupleIJPxSJ_EEENSK_IJSJ_SJ_EEES6_PlJ7is_evenIxEEEE10hipError_tPvRmT3_T4_T5_T6_T7_T9_mT8_P12ihipStream_tbDpT10_ENKUlT_T0_E_clISt17integral_constantIbLb1EES19_IbLb0EEEEDaS15_S16_EUlS15_E_NS1_11comp_targetILNS1_3genE0ELNS1_11target_archE4294967295ELNS1_3gpuE0ELNS1_3repE0EEENS1_30default_config_static_selectorELNS0_4arch9wavefront6targetE1EEEvT1_,"axG",@progbits,_ZN7rocprim17ROCPRIM_400000_NS6detail17trampoline_kernelINS0_14default_configENS1_25partition_config_selectorILNS1_17partition_subalgoE3ExNS0_10empty_typeEbEEZZNS1_14partition_implILS5_3ELb0ES3_jN6thrust23THRUST_200600_302600_NS6detail15normal_iteratorINSA_7pointerIxNSA_11hip_rocprim3tagENSA_11use_defaultESG_EEEEPS6_SJ_NS0_5tupleIJPxSJ_EEENSK_IJSJ_SJ_EEES6_PlJ7is_evenIxEEEE10hipError_tPvRmT3_T4_T5_T6_T7_T9_mT8_P12ihipStream_tbDpT10_ENKUlT_T0_E_clISt17integral_constantIbLb1EES19_IbLb0EEEEDaS15_S16_EUlS15_E_NS1_11comp_targetILNS1_3genE0ELNS1_11target_archE4294967295ELNS1_3gpuE0ELNS1_3repE0EEENS1_30default_config_static_selectorELNS0_4arch9wavefront6targetE1EEEvT1_,comdat
	.protected	_ZN7rocprim17ROCPRIM_400000_NS6detail17trampoline_kernelINS0_14default_configENS1_25partition_config_selectorILNS1_17partition_subalgoE3ExNS0_10empty_typeEbEEZZNS1_14partition_implILS5_3ELb0ES3_jN6thrust23THRUST_200600_302600_NS6detail15normal_iteratorINSA_7pointerIxNSA_11hip_rocprim3tagENSA_11use_defaultESG_EEEEPS6_SJ_NS0_5tupleIJPxSJ_EEENSK_IJSJ_SJ_EEES6_PlJ7is_evenIxEEEE10hipError_tPvRmT3_T4_T5_T6_T7_T9_mT8_P12ihipStream_tbDpT10_ENKUlT_T0_E_clISt17integral_constantIbLb1EES19_IbLb0EEEEDaS15_S16_EUlS15_E_NS1_11comp_targetILNS1_3genE0ELNS1_11target_archE4294967295ELNS1_3gpuE0ELNS1_3repE0EEENS1_30default_config_static_selectorELNS0_4arch9wavefront6targetE1EEEvT1_ ; -- Begin function _ZN7rocprim17ROCPRIM_400000_NS6detail17trampoline_kernelINS0_14default_configENS1_25partition_config_selectorILNS1_17partition_subalgoE3ExNS0_10empty_typeEbEEZZNS1_14partition_implILS5_3ELb0ES3_jN6thrust23THRUST_200600_302600_NS6detail15normal_iteratorINSA_7pointerIxNSA_11hip_rocprim3tagENSA_11use_defaultESG_EEEEPS6_SJ_NS0_5tupleIJPxSJ_EEENSK_IJSJ_SJ_EEES6_PlJ7is_evenIxEEEE10hipError_tPvRmT3_T4_T5_T6_T7_T9_mT8_P12ihipStream_tbDpT10_ENKUlT_T0_E_clISt17integral_constantIbLb1EES19_IbLb0EEEEDaS15_S16_EUlS15_E_NS1_11comp_targetILNS1_3genE0ELNS1_11target_archE4294967295ELNS1_3gpuE0ELNS1_3repE0EEENS1_30default_config_static_selectorELNS0_4arch9wavefront6targetE1EEEvT1_
	.globl	_ZN7rocprim17ROCPRIM_400000_NS6detail17trampoline_kernelINS0_14default_configENS1_25partition_config_selectorILNS1_17partition_subalgoE3ExNS0_10empty_typeEbEEZZNS1_14partition_implILS5_3ELb0ES3_jN6thrust23THRUST_200600_302600_NS6detail15normal_iteratorINSA_7pointerIxNSA_11hip_rocprim3tagENSA_11use_defaultESG_EEEEPS6_SJ_NS0_5tupleIJPxSJ_EEENSK_IJSJ_SJ_EEES6_PlJ7is_evenIxEEEE10hipError_tPvRmT3_T4_T5_T6_T7_T9_mT8_P12ihipStream_tbDpT10_ENKUlT_T0_E_clISt17integral_constantIbLb1EES19_IbLb0EEEEDaS15_S16_EUlS15_E_NS1_11comp_targetILNS1_3genE0ELNS1_11target_archE4294967295ELNS1_3gpuE0ELNS1_3repE0EEENS1_30default_config_static_selectorELNS0_4arch9wavefront6targetE1EEEvT1_
	.p2align	8
	.type	_ZN7rocprim17ROCPRIM_400000_NS6detail17trampoline_kernelINS0_14default_configENS1_25partition_config_selectorILNS1_17partition_subalgoE3ExNS0_10empty_typeEbEEZZNS1_14partition_implILS5_3ELb0ES3_jN6thrust23THRUST_200600_302600_NS6detail15normal_iteratorINSA_7pointerIxNSA_11hip_rocprim3tagENSA_11use_defaultESG_EEEEPS6_SJ_NS0_5tupleIJPxSJ_EEENSK_IJSJ_SJ_EEES6_PlJ7is_evenIxEEEE10hipError_tPvRmT3_T4_T5_T6_T7_T9_mT8_P12ihipStream_tbDpT10_ENKUlT_T0_E_clISt17integral_constantIbLb1EES19_IbLb0EEEEDaS15_S16_EUlS15_E_NS1_11comp_targetILNS1_3genE0ELNS1_11target_archE4294967295ELNS1_3gpuE0ELNS1_3repE0EEENS1_30default_config_static_selectorELNS0_4arch9wavefront6targetE1EEEvT1_,@function
_ZN7rocprim17ROCPRIM_400000_NS6detail17trampoline_kernelINS0_14default_configENS1_25partition_config_selectorILNS1_17partition_subalgoE3ExNS0_10empty_typeEbEEZZNS1_14partition_implILS5_3ELb0ES3_jN6thrust23THRUST_200600_302600_NS6detail15normal_iteratorINSA_7pointerIxNSA_11hip_rocprim3tagENSA_11use_defaultESG_EEEEPS6_SJ_NS0_5tupleIJPxSJ_EEENSK_IJSJ_SJ_EEES6_PlJ7is_evenIxEEEE10hipError_tPvRmT3_T4_T5_T6_T7_T9_mT8_P12ihipStream_tbDpT10_ENKUlT_T0_E_clISt17integral_constantIbLb1EES19_IbLb0EEEEDaS15_S16_EUlS15_E_NS1_11comp_targetILNS1_3genE0ELNS1_11target_archE4294967295ELNS1_3gpuE0ELNS1_3repE0EEENS1_30default_config_static_selectorELNS0_4arch9wavefront6targetE1EEEvT1_: ; @_ZN7rocprim17ROCPRIM_400000_NS6detail17trampoline_kernelINS0_14default_configENS1_25partition_config_selectorILNS1_17partition_subalgoE3ExNS0_10empty_typeEbEEZZNS1_14partition_implILS5_3ELb0ES3_jN6thrust23THRUST_200600_302600_NS6detail15normal_iteratorINSA_7pointerIxNSA_11hip_rocprim3tagENSA_11use_defaultESG_EEEEPS6_SJ_NS0_5tupleIJPxSJ_EEENSK_IJSJ_SJ_EEES6_PlJ7is_evenIxEEEE10hipError_tPvRmT3_T4_T5_T6_T7_T9_mT8_P12ihipStream_tbDpT10_ENKUlT_T0_E_clISt17integral_constantIbLb1EES19_IbLb0EEEEDaS15_S16_EUlS15_E_NS1_11comp_targetILNS1_3genE0ELNS1_11target_archE4294967295ELNS1_3gpuE0ELNS1_3repE0EEENS1_30default_config_static_selectorELNS0_4arch9wavefront6targetE1EEEvT1_
; %bb.0:
	.section	.rodata,"a",@progbits
	.p2align	6, 0x0
	.amdhsa_kernel _ZN7rocprim17ROCPRIM_400000_NS6detail17trampoline_kernelINS0_14default_configENS1_25partition_config_selectorILNS1_17partition_subalgoE3ExNS0_10empty_typeEbEEZZNS1_14partition_implILS5_3ELb0ES3_jN6thrust23THRUST_200600_302600_NS6detail15normal_iteratorINSA_7pointerIxNSA_11hip_rocprim3tagENSA_11use_defaultESG_EEEEPS6_SJ_NS0_5tupleIJPxSJ_EEENSK_IJSJ_SJ_EEES6_PlJ7is_evenIxEEEE10hipError_tPvRmT3_T4_T5_T6_T7_T9_mT8_P12ihipStream_tbDpT10_ENKUlT_T0_E_clISt17integral_constantIbLb1EES19_IbLb0EEEEDaS15_S16_EUlS15_E_NS1_11comp_targetILNS1_3genE0ELNS1_11target_archE4294967295ELNS1_3gpuE0ELNS1_3repE0EEENS1_30default_config_static_selectorELNS0_4arch9wavefront6targetE1EEEvT1_
		.amdhsa_group_segment_fixed_size 0
		.amdhsa_private_segment_fixed_size 0
		.amdhsa_kernarg_size 120
		.amdhsa_user_sgpr_count 2
		.amdhsa_user_sgpr_dispatch_ptr 0
		.amdhsa_user_sgpr_queue_ptr 0
		.amdhsa_user_sgpr_kernarg_segment_ptr 1
		.amdhsa_user_sgpr_dispatch_id 0
		.amdhsa_user_sgpr_kernarg_preload_length 0
		.amdhsa_user_sgpr_kernarg_preload_offset 0
		.amdhsa_user_sgpr_private_segment_size 0
		.amdhsa_uses_dynamic_stack 0
		.amdhsa_enable_private_segment 0
		.amdhsa_system_sgpr_workgroup_id_x 1
		.amdhsa_system_sgpr_workgroup_id_y 0
		.amdhsa_system_sgpr_workgroup_id_z 0
		.amdhsa_system_sgpr_workgroup_info 0
		.amdhsa_system_vgpr_workitem_id 0
		.amdhsa_next_free_vgpr 1
		.amdhsa_next_free_sgpr 0
		.amdhsa_accum_offset 4
		.amdhsa_reserve_vcc 0
		.amdhsa_float_round_mode_32 0
		.amdhsa_float_round_mode_16_64 0
		.amdhsa_float_denorm_mode_32 3
		.amdhsa_float_denorm_mode_16_64 3
		.amdhsa_dx10_clamp 1
		.amdhsa_ieee_mode 1
		.amdhsa_fp16_overflow 0
		.amdhsa_tg_split 0
		.amdhsa_exception_fp_ieee_invalid_op 0
		.amdhsa_exception_fp_denorm_src 0
		.amdhsa_exception_fp_ieee_div_zero 0
		.amdhsa_exception_fp_ieee_overflow 0
		.amdhsa_exception_fp_ieee_underflow 0
		.amdhsa_exception_fp_ieee_inexact 0
		.amdhsa_exception_int_div_zero 0
	.end_amdhsa_kernel
	.section	.text._ZN7rocprim17ROCPRIM_400000_NS6detail17trampoline_kernelINS0_14default_configENS1_25partition_config_selectorILNS1_17partition_subalgoE3ExNS0_10empty_typeEbEEZZNS1_14partition_implILS5_3ELb0ES3_jN6thrust23THRUST_200600_302600_NS6detail15normal_iteratorINSA_7pointerIxNSA_11hip_rocprim3tagENSA_11use_defaultESG_EEEEPS6_SJ_NS0_5tupleIJPxSJ_EEENSK_IJSJ_SJ_EEES6_PlJ7is_evenIxEEEE10hipError_tPvRmT3_T4_T5_T6_T7_T9_mT8_P12ihipStream_tbDpT10_ENKUlT_T0_E_clISt17integral_constantIbLb1EES19_IbLb0EEEEDaS15_S16_EUlS15_E_NS1_11comp_targetILNS1_3genE0ELNS1_11target_archE4294967295ELNS1_3gpuE0ELNS1_3repE0EEENS1_30default_config_static_selectorELNS0_4arch9wavefront6targetE1EEEvT1_,"axG",@progbits,_ZN7rocprim17ROCPRIM_400000_NS6detail17trampoline_kernelINS0_14default_configENS1_25partition_config_selectorILNS1_17partition_subalgoE3ExNS0_10empty_typeEbEEZZNS1_14partition_implILS5_3ELb0ES3_jN6thrust23THRUST_200600_302600_NS6detail15normal_iteratorINSA_7pointerIxNSA_11hip_rocprim3tagENSA_11use_defaultESG_EEEEPS6_SJ_NS0_5tupleIJPxSJ_EEENSK_IJSJ_SJ_EEES6_PlJ7is_evenIxEEEE10hipError_tPvRmT3_T4_T5_T6_T7_T9_mT8_P12ihipStream_tbDpT10_ENKUlT_T0_E_clISt17integral_constantIbLb1EES19_IbLb0EEEEDaS15_S16_EUlS15_E_NS1_11comp_targetILNS1_3genE0ELNS1_11target_archE4294967295ELNS1_3gpuE0ELNS1_3repE0EEENS1_30default_config_static_selectorELNS0_4arch9wavefront6targetE1EEEvT1_,comdat
.Lfunc_end31:
	.size	_ZN7rocprim17ROCPRIM_400000_NS6detail17trampoline_kernelINS0_14default_configENS1_25partition_config_selectorILNS1_17partition_subalgoE3ExNS0_10empty_typeEbEEZZNS1_14partition_implILS5_3ELb0ES3_jN6thrust23THRUST_200600_302600_NS6detail15normal_iteratorINSA_7pointerIxNSA_11hip_rocprim3tagENSA_11use_defaultESG_EEEEPS6_SJ_NS0_5tupleIJPxSJ_EEENSK_IJSJ_SJ_EEES6_PlJ7is_evenIxEEEE10hipError_tPvRmT3_T4_T5_T6_T7_T9_mT8_P12ihipStream_tbDpT10_ENKUlT_T0_E_clISt17integral_constantIbLb1EES19_IbLb0EEEEDaS15_S16_EUlS15_E_NS1_11comp_targetILNS1_3genE0ELNS1_11target_archE4294967295ELNS1_3gpuE0ELNS1_3repE0EEENS1_30default_config_static_selectorELNS0_4arch9wavefront6targetE1EEEvT1_, .Lfunc_end31-_ZN7rocprim17ROCPRIM_400000_NS6detail17trampoline_kernelINS0_14default_configENS1_25partition_config_selectorILNS1_17partition_subalgoE3ExNS0_10empty_typeEbEEZZNS1_14partition_implILS5_3ELb0ES3_jN6thrust23THRUST_200600_302600_NS6detail15normal_iteratorINSA_7pointerIxNSA_11hip_rocprim3tagENSA_11use_defaultESG_EEEEPS6_SJ_NS0_5tupleIJPxSJ_EEENSK_IJSJ_SJ_EEES6_PlJ7is_evenIxEEEE10hipError_tPvRmT3_T4_T5_T6_T7_T9_mT8_P12ihipStream_tbDpT10_ENKUlT_T0_E_clISt17integral_constantIbLb1EES19_IbLb0EEEEDaS15_S16_EUlS15_E_NS1_11comp_targetILNS1_3genE0ELNS1_11target_archE4294967295ELNS1_3gpuE0ELNS1_3repE0EEENS1_30default_config_static_selectorELNS0_4arch9wavefront6targetE1EEEvT1_
                                        ; -- End function
	.section	.AMDGPU.csdata,"",@progbits
; Kernel info:
; codeLenInByte = 0
; NumSgprs: 6
; NumVgprs: 0
; NumAgprs: 0
; TotalNumVgprs: 0
; ScratchSize: 0
; MemoryBound: 0
; FloatMode: 240
; IeeeMode: 1
; LDSByteSize: 0 bytes/workgroup (compile time only)
; SGPRBlocks: 0
; VGPRBlocks: 0
; NumSGPRsForWavesPerEU: 6
; NumVGPRsForWavesPerEU: 1
; AccumOffset: 4
; Occupancy: 8
; WaveLimiterHint : 0
; COMPUTE_PGM_RSRC2:SCRATCH_EN: 0
; COMPUTE_PGM_RSRC2:USER_SGPR: 2
; COMPUTE_PGM_RSRC2:TRAP_HANDLER: 0
; COMPUTE_PGM_RSRC2:TGID_X_EN: 1
; COMPUTE_PGM_RSRC2:TGID_Y_EN: 0
; COMPUTE_PGM_RSRC2:TGID_Z_EN: 0
; COMPUTE_PGM_RSRC2:TIDIG_COMP_CNT: 0
; COMPUTE_PGM_RSRC3_GFX90A:ACCUM_OFFSET: 0
; COMPUTE_PGM_RSRC3_GFX90A:TG_SPLIT: 0
	.section	.text._ZN7rocprim17ROCPRIM_400000_NS6detail17trampoline_kernelINS0_14default_configENS1_25partition_config_selectorILNS1_17partition_subalgoE3ExNS0_10empty_typeEbEEZZNS1_14partition_implILS5_3ELb0ES3_jN6thrust23THRUST_200600_302600_NS6detail15normal_iteratorINSA_7pointerIxNSA_11hip_rocprim3tagENSA_11use_defaultESG_EEEEPS6_SJ_NS0_5tupleIJPxSJ_EEENSK_IJSJ_SJ_EEES6_PlJ7is_evenIxEEEE10hipError_tPvRmT3_T4_T5_T6_T7_T9_mT8_P12ihipStream_tbDpT10_ENKUlT_T0_E_clISt17integral_constantIbLb1EES19_IbLb0EEEEDaS15_S16_EUlS15_E_NS1_11comp_targetILNS1_3genE5ELNS1_11target_archE942ELNS1_3gpuE9ELNS1_3repE0EEENS1_30default_config_static_selectorELNS0_4arch9wavefront6targetE1EEEvT1_,"axG",@progbits,_ZN7rocprim17ROCPRIM_400000_NS6detail17trampoline_kernelINS0_14default_configENS1_25partition_config_selectorILNS1_17partition_subalgoE3ExNS0_10empty_typeEbEEZZNS1_14partition_implILS5_3ELb0ES3_jN6thrust23THRUST_200600_302600_NS6detail15normal_iteratorINSA_7pointerIxNSA_11hip_rocprim3tagENSA_11use_defaultESG_EEEEPS6_SJ_NS0_5tupleIJPxSJ_EEENSK_IJSJ_SJ_EEES6_PlJ7is_evenIxEEEE10hipError_tPvRmT3_T4_T5_T6_T7_T9_mT8_P12ihipStream_tbDpT10_ENKUlT_T0_E_clISt17integral_constantIbLb1EES19_IbLb0EEEEDaS15_S16_EUlS15_E_NS1_11comp_targetILNS1_3genE5ELNS1_11target_archE942ELNS1_3gpuE9ELNS1_3repE0EEENS1_30default_config_static_selectorELNS0_4arch9wavefront6targetE1EEEvT1_,comdat
	.protected	_ZN7rocprim17ROCPRIM_400000_NS6detail17trampoline_kernelINS0_14default_configENS1_25partition_config_selectorILNS1_17partition_subalgoE3ExNS0_10empty_typeEbEEZZNS1_14partition_implILS5_3ELb0ES3_jN6thrust23THRUST_200600_302600_NS6detail15normal_iteratorINSA_7pointerIxNSA_11hip_rocprim3tagENSA_11use_defaultESG_EEEEPS6_SJ_NS0_5tupleIJPxSJ_EEENSK_IJSJ_SJ_EEES6_PlJ7is_evenIxEEEE10hipError_tPvRmT3_T4_T5_T6_T7_T9_mT8_P12ihipStream_tbDpT10_ENKUlT_T0_E_clISt17integral_constantIbLb1EES19_IbLb0EEEEDaS15_S16_EUlS15_E_NS1_11comp_targetILNS1_3genE5ELNS1_11target_archE942ELNS1_3gpuE9ELNS1_3repE0EEENS1_30default_config_static_selectorELNS0_4arch9wavefront6targetE1EEEvT1_ ; -- Begin function _ZN7rocprim17ROCPRIM_400000_NS6detail17trampoline_kernelINS0_14default_configENS1_25partition_config_selectorILNS1_17partition_subalgoE3ExNS0_10empty_typeEbEEZZNS1_14partition_implILS5_3ELb0ES3_jN6thrust23THRUST_200600_302600_NS6detail15normal_iteratorINSA_7pointerIxNSA_11hip_rocprim3tagENSA_11use_defaultESG_EEEEPS6_SJ_NS0_5tupleIJPxSJ_EEENSK_IJSJ_SJ_EEES6_PlJ7is_evenIxEEEE10hipError_tPvRmT3_T4_T5_T6_T7_T9_mT8_P12ihipStream_tbDpT10_ENKUlT_T0_E_clISt17integral_constantIbLb1EES19_IbLb0EEEEDaS15_S16_EUlS15_E_NS1_11comp_targetILNS1_3genE5ELNS1_11target_archE942ELNS1_3gpuE9ELNS1_3repE0EEENS1_30default_config_static_selectorELNS0_4arch9wavefront6targetE1EEEvT1_
	.globl	_ZN7rocprim17ROCPRIM_400000_NS6detail17trampoline_kernelINS0_14default_configENS1_25partition_config_selectorILNS1_17partition_subalgoE3ExNS0_10empty_typeEbEEZZNS1_14partition_implILS5_3ELb0ES3_jN6thrust23THRUST_200600_302600_NS6detail15normal_iteratorINSA_7pointerIxNSA_11hip_rocprim3tagENSA_11use_defaultESG_EEEEPS6_SJ_NS0_5tupleIJPxSJ_EEENSK_IJSJ_SJ_EEES6_PlJ7is_evenIxEEEE10hipError_tPvRmT3_T4_T5_T6_T7_T9_mT8_P12ihipStream_tbDpT10_ENKUlT_T0_E_clISt17integral_constantIbLb1EES19_IbLb0EEEEDaS15_S16_EUlS15_E_NS1_11comp_targetILNS1_3genE5ELNS1_11target_archE942ELNS1_3gpuE9ELNS1_3repE0EEENS1_30default_config_static_selectorELNS0_4arch9wavefront6targetE1EEEvT1_
	.p2align	8
	.type	_ZN7rocprim17ROCPRIM_400000_NS6detail17trampoline_kernelINS0_14default_configENS1_25partition_config_selectorILNS1_17partition_subalgoE3ExNS0_10empty_typeEbEEZZNS1_14partition_implILS5_3ELb0ES3_jN6thrust23THRUST_200600_302600_NS6detail15normal_iteratorINSA_7pointerIxNSA_11hip_rocprim3tagENSA_11use_defaultESG_EEEEPS6_SJ_NS0_5tupleIJPxSJ_EEENSK_IJSJ_SJ_EEES6_PlJ7is_evenIxEEEE10hipError_tPvRmT3_T4_T5_T6_T7_T9_mT8_P12ihipStream_tbDpT10_ENKUlT_T0_E_clISt17integral_constantIbLb1EES19_IbLb0EEEEDaS15_S16_EUlS15_E_NS1_11comp_targetILNS1_3genE5ELNS1_11target_archE942ELNS1_3gpuE9ELNS1_3repE0EEENS1_30default_config_static_selectorELNS0_4arch9wavefront6targetE1EEEvT1_,@function
_ZN7rocprim17ROCPRIM_400000_NS6detail17trampoline_kernelINS0_14default_configENS1_25partition_config_selectorILNS1_17partition_subalgoE3ExNS0_10empty_typeEbEEZZNS1_14partition_implILS5_3ELb0ES3_jN6thrust23THRUST_200600_302600_NS6detail15normal_iteratorINSA_7pointerIxNSA_11hip_rocprim3tagENSA_11use_defaultESG_EEEEPS6_SJ_NS0_5tupleIJPxSJ_EEENSK_IJSJ_SJ_EEES6_PlJ7is_evenIxEEEE10hipError_tPvRmT3_T4_T5_T6_T7_T9_mT8_P12ihipStream_tbDpT10_ENKUlT_T0_E_clISt17integral_constantIbLb1EES19_IbLb0EEEEDaS15_S16_EUlS15_E_NS1_11comp_targetILNS1_3genE5ELNS1_11target_archE942ELNS1_3gpuE9ELNS1_3repE0EEENS1_30default_config_static_selectorELNS0_4arch9wavefront6targetE1EEEvT1_: ; @_ZN7rocprim17ROCPRIM_400000_NS6detail17trampoline_kernelINS0_14default_configENS1_25partition_config_selectorILNS1_17partition_subalgoE3ExNS0_10empty_typeEbEEZZNS1_14partition_implILS5_3ELb0ES3_jN6thrust23THRUST_200600_302600_NS6detail15normal_iteratorINSA_7pointerIxNSA_11hip_rocprim3tagENSA_11use_defaultESG_EEEEPS6_SJ_NS0_5tupleIJPxSJ_EEENSK_IJSJ_SJ_EEES6_PlJ7is_evenIxEEEE10hipError_tPvRmT3_T4_T5_T6_T7_T9_mT8_P12ihipStream_tbDpT10_ENKUlT_T0_E_clISt17integral_constantIbLb1EES19_IbLb0EEEEDaS15_S16_EUlS15_E_NS1_11comp_targetILNS1_3genE5ELNS1_11target_archE942ELNS1_3gpuE9ELNS1_3repE0EEENS1_30default_config_static_selectorELNS0_4arch9wavefront6targetE1EEEvT1_
; %bb.0:
	s_load_dwordx4 s[20:23], s[0:1], 0x8
	s_load_dwordx4 s[24:27], s[0:1], 0x48
	s_load_dwordx2 s[28:29], s[0:1], 0x58
	s_load_dword s3, s[0:1], 0x70
	s_mul_i32 s30, s2, 0xe00
	s_waitcnt lgkmcnt(0)
	s_lshl_b64 s[4:5], s[22:23], 3
	s_add_u32 s8, s20, s4
	s_addc_u32 s9, s21, s5
	s_add_i32 s6, s3, -1
	s_mulk_i32 s3, 0xe00
	s_add_i32 s4, s3, s22
	s_sub_i32 s33, s28, s4
	s_addk_i32 s33, 0xe00
	s_add_u32 s4, s22, s3
	s_addc_u32 s5, s23, 0
	s_cmp_eq_u32 s2, s6
	s_load_dwordx2 s[34:35], s[26:27], 0x0
	v_mov_b64_e32 v[2:3], s[28:29]
	s_cselect_b64 s[26:27], -1, 0
	s_cmp_lg_u32 s2, s6
	s_mov_b32 s31, 0
	v_cmp_lt_u64_e32 vcc, s[4:5], v[2:3]
	s_cselect_b64 s[4:5], -1, 0
	s_or_b64 s[6:7], s[4:5], vcc
	s_lshl_b64 s[4:5], s[30:31], 3
	s_add_u32 s8, s8, s4
	s_addc_u32 s9, s9, s5
	s_mov_b64 s[4:5], -1
	s_and_b64 vcc, exec, s[6:7]
	v_lshlrev_b32_e32 v18, 3, v0
	s_cbranch_vccz .LBB32_2
; %bb.1:
	v_mov_b32_e32 v19, 0
	v_lshl_add_u64 v[2:3], s[8:9], 0, v[18:19]
	v_add_co_u32_e32 v4, vcc, 0x1000, v2
	s_mov_b64 s[4:5], 0
	s_nop 0
	v_addc_co_u32_e32 v5, vcc, 0, v3, vcc
	v_add_co_u32_e32 v6, vcc, 0x2000, v2
	s_nop 1
	v_addc_co_u32_e32 v7, vcc, 0, v3, vcc
	v_add_co_u32_e32 v8, vcc, 0x3000, v2
	s_nop 1
	v_addc_co_u32_e32 v9, vcc, 0, v3, vcc
	flat_load_dwordx2 v[10:11], v[2:3]
	flat_load_dwordx2 v[12:13], v[4:5]
	flat_load_dwordx2 v[14:15], v[6:7]
	flat_load_dwordx2 v[16:17], v[8:9]
	v_add_co_u32_e32 v4, vcc, 0x4000, v2
	s_nop 1
	v_addc_co_u32_e32 v5, vcc, 0, v3, vcc
	v_add_co_u32_e32 v6, vcc, 0x5000, v2
	s_nop 1
	v_addc_co_u32_e32 v7, vcc, 0, v3, vcc
	;; [unrolled: 3-line block ×3, first 2 shown]
	flat_load_dwordx2 v[8:9], v[4:5]
	flat_load_dwordx2 v[20:21], v[6:7]
	;; [unrolled: 1-line block ×3, first 2 shown]
	s_waitcnt vmcnt(0) lgkmcnt(0)
	ds_write2st64_b64 v18, v[10:11], v[12:13] offset1:8
	ds_write2st64_b64 v18, v[14:15], v[16:17] offset0:16 offset1:24
	ds_write2st64_b64 v18, v[8:9], v[20:21] offset0:32 offset1:40
	ds_write_b64 v18, v[22:23] offset:24576
	s_waitcnt lgkmcnt(0)
	s_barrier
.LBB32_2:
	s_andn2_b64 vcc, exec, s[4:5]
	v_cmp_gt_u32_e64 s[4:5], s33, v0
	s_cbranch_vccnz .LBB32_18
; %bb.3:
                                        ; implicit-def: $vgpr2_vgpr3_vgpr4_vgpr5_vgpr6_vgpr7_vgpr8_vgpr9_vgpr10_vgpr11_vgpr12_vgpr13_vgpr14_vgpr15_vgpr16_vgpr17
	s_and_saveexec_b64 s[10:11], s[4:5]
	s_cbranch_execz .LBB32_5
; %bb.4:
	v_mov_b32_e32 v19, 0
	v_lshl_add_u64 v[2:3], s[8:9], 0, v[18:19]
	flat_load_dwordx2 v[2:3], v[2:3]
.LBB32_5:
	s_or_b64 exec, exec, s[10:11]
	v_or_b32_e32 v1, 0x200, v0
	v_cmp_gt_u32_e32 vcc, s33, v1
	s_and_saveexec_b64 s[4:5], vcc
	s_cbranch_execz .LBB32_7
; %bb.6:
	v_lshlrev_b32_e32 v4, 3, v1
	v_mov_b32_e32 v5, 0
	v_lshl_add_u64 v[4:5], s[8:9], 0, v[4:5]
	flat_load_dwordx2 v[4:5], v[4:5]
.LBB32_7:
	s_or_b64 exec, exec, s[4:5]
	v_or_b32_e32 v1, 0x400, v0
	v_cmp_gt_u32_e32 vcc, s33, v1
	s_and_saveexec_b64 s[4:5], vcc
	s_cbranch_execz .LBB32_9
; %bb.8:
	v_lshlrev_b32_e32 v6, 3, v1
	v_mov_b32_e32 v7, 0
	v_lshl_add_u64 v[6:7], s[8:9], 0, v[6:7]
	flat_load_dwordx2 v[6:7], v[6:7]
.LBB32_9:
	;; [unrolled: 11-line block ×6, first 2 shown]
	s_or_b64 exec, exec, s[4:5]
	s_waitcnt vmcnt(0) lgkmcnt(0)
	ds_write2st64_b64 v18, v[2:3], v[4:5] offset1:8
	ds_write2st64_b64 v18, v[6:7], v[8:9] offset0:16 offset1:24
	ds_write2st64_b64 v18, v[10:11], v[12:13] offset0:32 offset1:40
	ds_write_b64 v18, v[14:15] offset:24576
	s_waitcnt lgkmcnt(0)
	s_barrier
.LBB32_18:
	v_mul_u32_u24_e32 v1, 7, v0
	v_lshlrev_b32_e32 v32, 3, v1
	s_waitcnt lgkmcnt(0)
	ds_read2_b64 v[10:13], v32 offset1:1
	ds_read2_b64 v[6:9], v32 offset0:2 offset1:3
	ds_read2_b64 v[2:5], v32 offset0:4 offset1:5
	ds_read_b64 v[14:15], v32 offset:48
	v_cndmask_b32_e64 v16, 0, 1, s[6:7]
	v_cmp_ne_u32_e64 s[20:21], 1, v16
	s_andn2_b64 vcc, exec, s[6:7]
	s_waitcnt lgkmcnt(3)
	v_xor_b32_e32 v24, -1, v10
	v_xor_b32_e32 v23, -1, v12
	s_waitcnt lgkmcnt(2)
	v_xor_b32_e32 v22, -1, v6
	v_xor_b32_e32 v21, -1, v8
	;; [unrolled: 3-line block ×3, first 2 shown]
	s_waitcnt lgkmcnt(0)
	v_xor_b32_e32 v16, -1, v14
	s_barrier
	s_cbranch_vccnz .LBB32_20
; %bb.19:
	v_mov_b32_e32 v19, 1
	v_and_b32_e32 v25, 1, v24
	v_and_b32_sdwa v26, v23, v19 dst_sel:BYTE_1 dst_unused:UNUSED_PAD src0_sel:DWORD src1_sel:DWORD
	v_and_b32_e32 v27, 1, v22
	v_and_b32_sdwa v30, v21, v19 dst_sel:BYTE_1 dst_unused:UNUSED_PAD src0_sel:DWORD src1_sel:DWORD
	v_or_b32_e32 v25, v25, v26
	v_or_b32_sdwa v26, v27, v30 dst_sel:WORD_1 dst_unused:UNUSED_PAD src0_sel:DWORD src1_sel:DWORD
	v_and_b32_e32 v29, 1, v20
	v_and_b32_e32 v28, 1, v17
	;; [unrolled: 1-line block ×3, first 2 shown]
	v_or_b32_sdwa v30, v25, v26 dst_sel:DWORD dst_unused:UNUSED_PAD src0_sel:WORD_0 src1_sel:DWORD
	s_load_dwordx2 s[36:37], s[0:1], 0x68
	s_cbranch_execz .LBB32_21
	s_branch .LBB32_22
.LBB32_20:
                                        ; implicit-def: $vgpr19
                                        ; implicit-def: $vgpr28
                                        ; implicit-def: $vgpr29
                                        ; implicit-def: $vgpr30
	s_load_dwordx2 s[36:37], s[0:1], 0x68
.LBB32_21:
	v_add_u32_e32 v19, 1, v1
	v_cmp_gt_u32_e32 vcc, s33, v1
	v_add_u32_e32 v25, 2, v1
	v_add_u32_e32 v26, 3, v1
	v_cndmask_b32_e64 v29, 0, 1, vcc
	v_cmp_gt_u32_e32 vcc, s33, v19
	v_add_u32_e32 v27, 4, v1
	v_add_u32_e32 v28, 5, v1
	v_cndmask_b32_e64 v19, 0, 1, vcc
	v_cmp_gt_u32_e32 vcc, s33, v25
	v_and_b32_sdwa v23, v19, v23 dst_sel:BYTE_1 dst_unused:UNUSED_PAD src0_sel:DWORD src1_sel:DWORD
	v_add_u32_e32 v30, 6, v1
	v_cndmask_b32_e64 v19, 0, 1, vcc
	v_cmp_gt_u32_e32 vcc, s33, v26
	v_and_b32_e32 v22, v19, v22
	v_and_b32_e32 v24, v29, v24
	v_cndmask_b32_e64 v19, 0, 1, vcc
	v_cmp_gt_u32_e32 vcc, s33, v27
	v_and_b32_sdwa v21, v19, v21 dst_sel:BYTE_1 dst_unused:UNUSED_PAD src0_sel:DWORD src1_sel:DWORD
	s_nop 0
	v_cndmask_b32_e64 v19, 0, 1, vcc
	v_cmp_gt_u32_e32 vcc, s33, v28
	v_and_b32_e32 v29, v19, v20
	s_nop 0
	v_cndmask_b32_e64 v19, 0, 1, vcc
	v_cmp_gt_u32_e32 vcc, s33, v30
	v_and_b32_e32 v28, v19, v17
	s_nop 0
	v_cndmask_b32_e64 v17, 0, 1, vcc
	v_and_b32_e32 v19, v17, v16
	v_or_b32_e32 v16, v24, v23
	v_or_b32_sdwa v17, v22, v21 dst_sel:WORD_1 dst_unused:UNUSED_PAD src0_sel:DWORD src1_sel:DWORD
	s_nop 0
	v_or_b32_sdwa v30, v16, v17 dst_sel:DWORD dst_unused:UNUSED_PAD src0_sel:WORD_0 src1_sel:DWORD
.LBB32_22:
	v_and_b32_e32 v33, 0xff, v30
	v_bfe_u32 v34, v30, 8, 8
	v_bfe_u32 v35, v30, 16, 8
	v_lshrrev_b32_e32 v31, 24, v30
	v_and_b32_e32 v36, 0xff, v29
	v_add3_u32 v17, v34, v33, v35
	v_and_b32_e32 v37, 0xff, v28
	v_and_b32_e32 v16, 0xff, v19
	v_add3_u32 v17, v17, v31, v36
	v_add3_u32 v40, v17, v37, v16
	v_mbcnt_lo_u32_b32 v16, -1, 0
	v_mbcnt_hi_u32_b32 v38, -1, v16
	v_and_b32_e32 v16, 15, v38
	v_cmp_eq_u32_e64 s[16:17], 0, v16
	v_cmp_lt_u32_e64 s[14:15], 1, v16
	v_cmp_lt_u32_e64 s[12:13], 3, v16
	;; [unrolled: 1-line block ×3, first 2 shown]
	v_and_b32_e32 v16, 16, v38
	v_cmp_eq_u32_e64 s[8:9], 0, v16
	v_or_b32_e32 v16, 63, v0
	s_cmp_lg_u32 s2, 0
	v_cmp_lt_u32_e64 s[4:5], 31, v38
	v_lshrrev_b32_e32 v39, 6, v0
	v_cmp_eq_u32_e64 s[6:7], v16, v0
	s_cbranch_scc0 .LBB32_53
; %bb.23:
	v_mov_b32_dpp v16, v40 row_shr:1 row_mask:0xf bank_mask:0xf
	v_cndmask_b32_e64 v16, v16, 0, s[16:17]
	v_add_u32_e32 v16, v16, v40
	s_nop 1
	v_mov_b32_dpp v17, v16 row_shr:2 row_mask:0xf bank_mask:0xf
	v_cndmask_b32_e64 v17, 0, v17, s[14:15]
	v_add_u32_e32 v16, v16, v17
	s_nop 1
	;; [unrolled: 4-line block ×4, first 2 shown]
	v_mov_b32_dpp v17, v16 row_bcast:15 row_mask:0xf bank_mask:0xf
	v_cndmask_b32_e64 v17, v17, 0, s[8:9]
	v_add_u32_e32 v16, v16, v17
	s_nop 1
	v_mov_b32_dpp v17, v16 row_bcast:31 row_mask:0xf bank_mask:0xf
	v_cndmask_b32_e64 v17, 0, v17, s[4:5]
	v_add_u32_e32 v16, v16, v17
	s_and_saveexec_b64 s[18:19], s[6:7]
	s_cbranch_execz .LBB32_25
; %bb.24:
	v_lshlrev_b32_e32 v17, 2, v39
	ds_write_b32 v17, v16
.LBB32_25:
	s_or_b64 exec, exec, s[18:19]
	v_cmp_gt_u32_e32 vcc, 8, v0
	s_waitcnt lgkmcnt(0)
	s_barrier
	s_and_saveexec_b64 s[18:19], vcc
	s_cbranch_execz .LBB32_27
; %bb.26:
	v_lshlrev_b32_e32 v17, 2, v0
	ds_read_b32 v20, v17
	v_and_b32_e32 v21, 7, v38
	v_cmp_ne_u32_e32 vcc, 0, v21
	s_waitcnt lgkmcnt(0)
	v_mov_b32_dpp v22, v20 row_shr:1 row_mask:0xf bank_mask:0xf
	v_cndmask_b32_e32 v22, 0, v22, vcc
	v_add_u32_e32 v20, v22, v20
	v_cmp_lt_u32_e32 vcc, 1, v21
	s_nop 0
	v_mov_b32_dpp v22, v20 row_shr:2 row_mask:0xf bank_mask:0xf
	v_cndmask_b32_e32 v22, 0, v22, vcc
	v_add_u32_e32 v20, v20, v22
	v_cmp_lt_u32_e32 vcc, 3, v21
	s_nop 0
	v_mov_b32_dpp v22, v20 row_shr:4 row_mask:0xf bank_mask:0xf
	v_cndmask_b32_e32 v21, 0, v22, vcc
	v_add_u32_e32 v20, v20, v21
	ds_write_b32 v17, v20
.LBB32_27:
	s_or_b64 exec, exec, s[18:19]
	v_cmp_gt_u32_e32 vcc, 64, v0
	v_cmp_lt_u32_e64 s[18:19], 63, v0
	s_waitcnt lgkmcnt(0)
	s_barrier
	s_waitcnt lgkmcnt(0)
                                        ; implicit-def: $vgpr41
	s_and_saveexec_b64 s[38:39], s[18:19]
	s_cbranch_execz .LBB32_29
; %bb.28:
	v_lshl_add_u32 v17, v39, 2, -4
	ds_read_b32 v41, v17
	s_waitcnt lgkmcnt(0)
	v_add_u32_e32 v16, v41, v16
.LBB32_29:
	s_or_b64 exec, exec, s[38:39]
	v_add_u32_e32 v17, -1, v38
	v_and_b32_e32 v20, 64, v38
	v_cmp_lt_i32_e64 s[18:19], v17, v20
	s_nop 1
	v_cndmask_b32_e64 v17, v17, v38, s[18:19]
	v_lshlrev_b32_e32 v17, 2, v17
	ds_bpermute_b32 v42, v17, v16
	v_cmp_eq_u32_e64 s[18:19], 0, v38
	s_and_saveexec_b64 s[38:39], vcc
	s_cbranch_execz .LBB32_52
; %bb.30:
	v_mov_b32_e32 v27, 0
	ds_read_b32 v16, v27 offset:28
	s_and_saveexec_b64 s[40:41], s[18:19]
	s_cbranch_execz .LBB32_32
; %bb.31:
	s_add_i32 s42, s2, 64
	s_mov_b32 s43, 0
	s_lshl_b64 s[42:43], s[42:43], 3
	s_add_u32 s42, s36, s42
	v_mov_b32_e32 v17, 1
	s_addc_u32 s43, s37, s43
	s_waitcnt lgkmcnt(0)
	global_store_dwordx2 v27, v[16:17], s[42:43] sc1
.LBB32_32:
	s_or_b64 exec, exec, s[40:41]
	v_xad_u32 v20, v38, -1, s2
	v_add_u32_e32 v26, 64, v20
	v_lshl_add_u64 v[22:23], v[26:27], 3, s[36:37]
	global_load_dwordx2 v[24:25], v[22:23], off sc1
	s_waitcnt vmcnt(0)
	v_cmp_eq_u16_sdwa s[42:43], v25, v27 src0_sel:BYTE_0 src1_sel:DWORD
	s_and_saveexec_b64 s[40:41], s[42:43]
	s_cbranch_execz .LBB32_38
; %bb.33:
	s_mov_b32 s3, 1
	s_mov_b64 s[42:43], 0
	v_mov_b32_e32 v17, 0
.LBB32_34:                              ; =>This Loop Header: Depth=1
                                        ;     Child Loop BB32_35 Depth 2
	s_max_u32 s31, s3, 1
.LBB32_35:                              ;   Parent Loop BB32_34 Depth=1
                                        ; =>  This Inner Loop Header: Depth=2
	s_add_i32 s31, s31, -1
	s_cmp_eq_u32 s31, 0
	s_sleep 1
	s_cbranch_scc0 .LBB32_35
; %bb.36:                               ;   in Loop: Header=BB32_34 Depth=1
	global_load_dwordx2 v[24:25], v[22:23], off sc1
	s_cmp_lt_u32 s3, 32
	s_cselect_b64 s[44:45], -1, 0
	s_cmp_lg_u64 s[44:45], 0
	s_addc_u32 s3, s3, 0
	s_waitcnt vmcnt(0)
	v_cmp_ne_u16_sdwa s[44:45], v25, v17 src0_sel:BYTE_0 src1_sel:DWORD
	s_or_b64 s[42:43], s[44:45], s[42:43]
	s_andn2_b64 exec, exec, s[42:43]
	s_cbranch_execnz .LBB32_34
; %bb.37:
	s_or_b64 exec, exec, s[42:43]
.LBB32_38:
	s_or_b64 exec, exec, s[40:41]
	v_and_b32_e32 v44, 63, v38
	v_mov_b32_e32 v43, 2
	v_cmp_ne_u32_e32 vcc, 63, v44
	v_cmp_eq_u16_sdwa s[40:41], v25, v43 src0_sel:BYTE_0 src1_sel:DWORD
	v_lshlrev_b64 v[22:23], v38, -1
	v_addc_co_u32_e32 v26, vcc, 0, v38, vcc
	v_and_b32_e32 v17, s41, v23
	v_lshlrev_b32_e32 v45, 2, v26
	v_or_b32_e32 v17, 0x80000000, v17
	ds_bpermute_b32 v26, v45, v24
	v_and_b32_e32 v21, s40, v22
	v_ffbl_b32_e32 v17, v17
	v_add_u32_e32 v17, 32, v17
	v_ffbl_b32_e32 v21, v21
	v_min_u32_e32 v17, v21, v17
	v_cmp_lt_u32_e32 vcc, v44, v17
	v_add_u32_e32 v47, 2, v44
	v_add_u32_e32 v49, 4, v44
	s_waitcnt lgkmcnt(0)
	v_cndmask_b32_e32 v21, 0, v26, vcc
	v_cmp_gt_u32_e32 vcc, 62, v44
	v_add_u32_e32 v21, v21, v24
	v_add_u32_e32 v51, 8, v44
	v_cndmask_b32_e64 v24, 0, 1, vcc
	v_lshlrev_b32_e32 v24, 1, v24
	v_add_lshl_u32 v46, v24, v38, 2
	ds_bpermute_b32 v24, v46, v21
	v_cmp_le_u32_e32 vcc, v47, v17
	v_add_u32_e32 v53, 16, v44
	v_add_u32_e32 v55, 32, v44
	s_waitcnt lgkmcnt(0)
	v_cndmask_b32_e32 v24, 0, v24, vcc
	v_cmp_gt_u32_e32 vcc, 60, v44
	v_add_u32_e32 v21, v21, v24
	s_nop 0
	v_cndmask_b32_e64 v24, 0, 1, vcc
	v_lshlrev_b32_e32 v24, 2, v24
	v_add_lshl_u32 v48, v24, v38, 2
	ds_bpermute_b32 v24, v48, v21
	v_cmp_le_u32_e32 vcc, v49, v17
	s_waitcnt lgkmcnt(0)
	s_nop 0
	v_cndmask_b32_e32 v24, 0, v24, vcc
	v_cmp_gt_u32_e32 vcc, 56, v44
	v_add_u32_e32 v21, v21, v24
	s_nop 0
	v_cndmask_b32_e64 v24, 0, 1, vcc
	v_lshlrev_b32_e32 v24, 3, v24
	v_add_lshl_u32 v50, v24, v38, 2
	ds_bpermute_b32 v24, v50, v21
	v_cmp_le_u32_e32 vcc, v51, v17
	s_waitcnt lgkmcnt(0)
	s_nop 0
	;; [unrolled: 11-line block ×4, first 2 shown]
	v_cndmask_b32_e32 v17, 0, v24, vcc
	v_add_u32_e32 v24, v21, v17
	v_mov_b32_e32 v21, 0
	s_branch .LBB32_40
.LBB32_39:                              ;   in Loop: Header=BB32_40 Depth=1
	s_or_b64 exec, exec, s[40:41]
	v_cmp_eq_u16_sdwa s[40:41], v25, v43 src0_sel:BYTE_0 src1_sel:DWORD
	ds_bpermute_b32 v56, v45, v24
	v_subrev_u32_e32 v20, 64, v20
	v_and_b32_e32 v26, s41, v23
	v_or_b32_e32 v26, 0x80000000, v26
	v_and_b32_e32 v27, s40, v22
	v_ffbl_b32_e32 v26, v26
	v_add_u32_e32 v26, 32, v26
	v_ffbl_b32_e32 v27, v27
	v_min_u32_e32 v26, v27, v26
	v_cmp_lt_u32_e32 vcc, v44, v26
	s_waitcnt lgkmcnt(0)
	s_nop 0
	v_cndmask_b32_e32 v27, 0, v56, vcc
	v_add_u32_e32 v24, v27, v24
	ds_bpermute_b32 v27, v46, v24
	v_cmp_le_u32_e32 vcc, v47, v26
	s_waitcnt lgkmcnt(0)
	s_nop 0
	v_cndmask_b32_e32 v27, 0, v27, vcc
	v_add_u32_e32 v24, v24, v27
	ds_bpermute_b32 v27, v48, v24
	v_cmp_le_u32_e32 vcc, v49, v26
	;; [unrolled: 6-line block ×5, first 2 shown]
	s_waitcnt lgkmcnt(0)
	s_nop 0
	v_cndmask_b32_e32 v26, 0, v27, vcc
	v_add3_u32 v24, v26, v17, v24
.LBB32_40:                              ; =>This Loop Header: Depth=1
                                        ;     Child Loop BB32_43 Depth 2
                                        ;       Child Loop BB32_44 Depth 3
	v_cmp_ne_u16_sdwa s[40:41], v25, v43 src0_sel:BYTE_0 src1_sel:DWORD
	s_nop 1
	v_cndmask_b32_e64 v17, 0, 1, s[40:41]
	;;#ASMSTART
	;;#ASMEND
	s_nop 0
	v_cmp_ne_u32_e32 vcc, 0, v17
	s_cmp_lg_u64 vcc, exec
	v_mov_b32_e32 v17, v24
	s_cbranch_scc1 .LBB32_47
; %bb.41:                               ;   in Loop: Header=BB32_40 Depth=1
	v_lshl_add_u64 v[26:27], v[20:21], 3, s[36:37]
	global_load_dwordx2 v[24:25], v[26:27], off sc1
	s_waitcnt vmcnt(0)
	v_cmp_eq_u16_sdwa s[42:43], v25, v21 src0_sel:BYTE_0 src1_sel:DWORD
	s_and_saveexec_b64 s[40:41], s[42:43]
	s_cbranch_execz .LBB32_39
; %bb.42:                               ;   in Loop: Header=BB32_40 Depth=1
	s_mov_b32 s3, 1
	s_mov_b64 s[42:43], 0
.LBB32_43:                              ;   Parent Loop BB32_40 Depth=1
                                        ; =>  This Loop Header: Depth=2
                                        ;       Child Loop BB32_44 Depth 3
	s_max_u32 s31, s3, 1
.LBB32_44:                              ;   Parent Loop BB32_40 Depth=1
                                        ;     Parent Loop BB32_43 Depth=2
                                        ; =>    This Inner Loop Header: Depth=3
	s_add_i32 s31, s31, -1
	s_cmp_eq_u32 s31, 0
	s_sleep 1
	s_cbranch_scc0 .LBB32_44
; %bb.45:                               ;   in Loop: Header=BB32_43 Depth=2
	global_load_dwordx2 v[24:25], v[26:27], off sc1
	s_cmp_lt_u32 s3, 32
	s_cselect_b64 s[44:45], -1, 0
	s_cmp_lg_u64 s[44:45], 0
	s_addc_u32 s3, s3, 0
	s_waitcnt vmcnt(0)
	v_cmp_ne_u16_sdwa s[44:45], v25, v21 src0_sel:BYTE_0 src1_sel:DWORD
	s_or_b64 s[42:43], s[44:45], s[42:43]
	s_andn2_b64 exec, exec, s[42:43]
	s_cbranch_execnz .LBB32_43
; %bb.46:                               ;   in Loop: Header=BB32_40 Depth=1
	s_or_b64 exec, exec, s[42:43]
	s_branch .LBB32_39
.LBB32_47:                              ;   in Loop: Header=BB32_40 Depth=1
                                        ; implicit-def: $vgpr24
                                        ; implicit-def: $vgpr25
	s_cbranch_execz .LBB32_40
; %bb.48:
	s_and_saveexec_b64 s[40:41], s[18:19]
	s_cbranch_execz .LBB32_50
; %bb.49:
	s_add_i32 s2, s2, 64
	s_mov_b32 s3, 0
	s_lshl_b64 s[2:3], s[2:3], 3
	s_add_u32 s2, s36, s2
	v_add_u32_e32 v20, v17, v16
	v_mov_b32_e32 v21, 2
	s_addc_u32 s3, s37, s3
	v_mov_b32_e32 v22, 0
	global_store_dwordx2 v22, v[20:21], s[2:3] sc1
	ds_write_b64 v22, v[16:17] offset:28672
.LBB32_50:
	s_or_b64 exec, exec, s[40:41]
	v_cmp_eq_u32_e32 vcc, 0, v0
	s_and_b64 exec, exec, vcc
	s_cbranch_execz .LBB32_52
; %bb.51:
	v_mov_b32_e32 v16, 0
	ds_write_b32 v16, v17 offset:28
.LBB32_52:
	s_or_b64 exec, exec, s[38:39]
	v_mov_b32_e32 v16, 0
	s_waitcnt lgkmcnt(0)
	s_barrier
	ds_read_b32 v17, v16 offset:28
	v_cndmask_b32_e64 v20, v42, v41, s[18:19]
	v_cmp_ne_u32_e32 vcc, 0, v0
	s_waitcnt lgkmcnt(0)
	s_barrier
	v_cndmask_b32_e32 v20, 0, v20, vcc
	v_add_u32_e32 v27, v17, v20
	v_add_u32_e32 v26, v27, v33
	ds_read_b64 v[16:17], v16 offset:28672
	v_add_u32_e32 v25, v26, v34
	v_add_u32_e32 v24, v25, v35
	v_add_u32_e32 v23, v24, v31
	v_add_u32_e32 v21, v23, v36
	v_add_u32_e32 v20, v21, v37
	s_waitcnt lgkmcnt(0)
	v_mov_b32_e32 v22, v17
	s_load_dwordx2 s[2:3], s[0:1], 0x28
	s_branch .LBB32_63
.LBB32_53:
                                        ; implicit-def: $vgpr22
                                        ; implicit-def: $vgpr16
                                        ; implicit-def: $vgpr20
                                        ; implicit-def: $vgpr21
                                        ; implicit-def: $vgpr23
                                        ; implicit-def: $vgpr24
                                        ; implicit-def: $vgpr25
                                        ; implicit-def: $vgpr26
                                        ; implicit-def: $vgpr27
	s_load_dwordx2 s[2:3], s[0:1], 0x28
	s_cbranch_execz .LBB32_63
; %bb.54:
	v_mov_b32_dpp v16, v40 row_shr:1 row_mask:0xf bank_mask:0xf
	v_cndmask_b32_e64 v16, v16, 0, s[16:17]
	v_add_u32_e32 v16, v16, v40
	s_nop 1
	v_mov_b32_dpp v17, v16 row_shr:2 row_mask:0xf bank_mask:0xf
	v_cndmask_b32_e64 v17, 0, v17, s[14:15]
	v_add_u32_e32 v16, v16, v17
	s_nop 1
	;; [unrolled: 4-line block ×4, first 2 shown]
	v_mov_b32_dpp v17, v16 row_bcast:15 row_mask:0xf bank_mask:0xf
	v_cndmask_b32_e64 v17, v17, 0, s[8:9]
	v_add_u32_e32 v16, v16, v17
	s_nop 1
	v_mov_b32_dpp v17, v16 row_bcast:31 row_mask:0xf bank_mask:0xf
	v_cndmask_b32_e64 v17, 0, v17, s[4:5]
	v_add_u32_e32 v16, v16, v17
	s_and_saveexec_b64 s[0:1], s[6:7]
	s_cbranch_execz .LBB32_56
; %bb.55:
	v_lshlrev_b32_e32 v17, 2, v39
	ds_write_b32 v17, v16
.LBB32_56:
	s_or_b64 exec, exec, s[0:1]
	v_cmp_gt_u32_e32 vcc, 8, v0
	s_waitcnt lgkmcnt(0)
	s_barrier
	s_and_saveexec_b64 s[0:1], vcc
	s_cbranch_execz .LBB32_58
; %bb.57:
	s_movk_i32 s4, 0xffcc
	v_mad_i32_i24 v17, v0, s4, v32
	ds_read_b32 v20, v17
	v_and_b32_e32 v21, 7, v38
	v_cmp_ne_u32_e32 vcc, 0, v21
	s_waitcnt lgkmcnt(0)
	v_mov_b32_dpp v22, v20 row_shr:1 row_mask:0xf bank_mask:0xf
	v_cndmask_b32_e32 v22, 0, v22, vcc
	v_add_u32_e32 v20, v22, v20
	v_cmp_lt_u32_e32 vcc, 1, v21
	s_nop 0
	v_mov_b32_dpp v22, v20 row_shr:2 row_mask:0xf bank_mask:0xf
	v_cndmask_b32_e32 v22, 0, v22, vcc
	v_add_u32_e32 v20, v20, v22
	v_cmp_lt_u32_e32 vcc, 3, v21
	s_nop 0
	v_mov_b32_dpp v22, v20 row_shr:4 row_mask:0xf bank_mask:0xf
	v_cndmask_b32_e32 v21, 0, v22, vcc
	v_add_u32_e32 v20, v20, v21
	ds_write_b32 v17, v20
.LBB32_58:
	s_or_b64 exec, exec, s[0:1]
	v_cmp_lt_u32_e32 vcc, 63, v0
	v_mov_b32_e32 v17, 0
	v_mov_b32_e32 v20, 0
	s_waitcnt lgkmcnt(0)
	s_barrier
	s_and_saveexec_b64 s[0:1], vcc
	s_cbranch_execz .LBB32_60
; %bb.59:
	v_lshl_add_u32 v20, v39, 2, -4
	ds_read_b32 v20, v20
.LBB32_60:
	s_or_b64 exec, exec, s[0:1]
	v_add_u32_e32 v21, -1, v38
	v_and_b32_e32 v22, 64, v38
	v_cmp_lt_i32_e32 vcc, v21, v22
	s_waitcnt lgkmcnt(0)
	v_add_u32_e32 v16, v20, v16
	v_cndmask_b32_e32 v21, v21, v38, vcc
	v_lshlrev_b32_e32 v21, 2, v21
	ds_bpermute_b32 v21, v21, v16
	ds_read_b32 v16, v17 offset:28
	v_cmp_eq_u32_e32 vcc, 0, v0
	s_and_saveexec_b64 s[0:1], vcc
	s_cbranch_execz .LBB32_62
; %bb.61:
	v_mov_b32_e32 v22, 0
	v_mov_b32_e32 v17, 2
	s_waitcnt lgkmcnt(0)
	global_store_dwordx2 v22, v[16:17], s[36:37] offset:512 sc1
.LBB32_62:
	s_or_b64 exec, exec, s[0:1]
	v_cmp_eq_u32_e64 s[0:1], 0, v38
	v_mov_b32_e32 v22, 0
	s_waitcnt lgkmcnt(0)
	v_cndmask_b32_e64 v17, v21, v20, s[0:1]
	v_cndmask_b32_e64 v27, v17, 0, vcc
	v_add_u32_e32 v26, v27, v33
	v_add_u32_e32 v25, v26, v34
	;; [unrolled: 1-line block ×6, first 2 shown]
	s_barrier
.LBB32_63:
	v_add_u32_e32 v1, v16, v1
	v_sub_u32_e32 v27, v27, v22
	v_and_b32_e32 v33, 1, v30
	v_sub_u32_e32 v32, v1, v27
	v_cmp_eq_u32_e32 vcc, 1, v33
	v_lshrrev_b32_e32 v17, 8, v30
	v_and_b32_e32 v17, 1, v17
	v_cndmask_b32_e32 v27, v32, v27, vcc
	v_lshlrev_b32_e32 v27, 3, v27
	ds_write_b64 v27, v[10:11]
	v_sub_u32_e32 v10, v26, v22
	v_sub_u32_e32 v11, v1, v10
	v_add_u32_e32 v11, 1, v11
	v_cmp_eq_u32_e32 vcc, 1, v17
	s_add_u32 s0, s22, s30
	s_addc_u32 s1, s23, 0
	v_cndmask_b32_e32 v10, v11, v10, vcc
	v_lshlrev_b32_e32 v10, 3, v10
	ds_write_b64 v10, v[12:13]
	v_sub_u32_e32 v10, v25, v22
	v_mov_b32_e32 v12, 1
	v_sub_u32_e32 v11, v1, v10
	v_and_b32_sdwa v12, v12, v30 dst_sel:DWORD dst_unused:UNUSED_PAD src0_sel:DWORD src1_sel:WORD_1
	v_add_u32_e32 v11, 2, v11
	v_cmp_eq_u32_e32 vcc, 1, v12
	s_sub_u32 s0, s28, s0
	s_subb_u32 s1, s29, s1
	v_cndmask_b32_e32 v10, v11, v10, vcc
	v_lshlrev_b32_e32 v10, 3, v10
	ds_write_b64 v10, v[6:7]
	v_sub_u32_e32 v6, v24, v22
	v_sub_u32_e32 v7, v1, v6
	v_and_b32_e32 v10, 1, v31
	v_add_u32_e32 v7, 3, v7
	v_cmp_eq_u32_e32 vcc, 1, v10
	v_or_b32_e32 v32, 0x200, v0
	v_or_b32_e32 v30, 0x400, v0
	v_cndmask_b32_e32 v6, v7, v6, vcc
	v_lshlrev_b32_e32 v6, 3, v6
	ds_write_b64 v6, v[8:9]
	v_sub_u32_e32 v6, v23, v22
	v_sub_u32_e32 v7, v1, v6
	v_and_b32_e32 v8, 1, v29
	v_add_u32_e32 v7, 4, v7
	v_cmp_eq_u32_e32 vcc, 1, v8
	v_or_b32_e32 v26, 0x800, v0
	v_or_b32_e32 v24, 0xa00, v0
	v_cndmask_b32_e32 v6, v7, v6, vcc
	v_lshlrev_b32_e32 v6, 3, v6
	ds_write_b64 v6, v[2:3]
	v_sub_u32_e32 v2, v21, v22
	v_sub_u32_e32 v3, v1, v2
	v_and_b32_e32 v6, 1, v28
	v_add_u32_e32 v3, 5, v3
	v_cmp_eq_u32_e32 vcc, 1, v6
	v_or_b32_e32 v28, 0x600, v0
	s_nop 0
	v_cndmask_b32_e32 v2, v3, v2, vcc
	v_lshlrev_b32_e32 v2, 3, v2
	ds_write_b64 v2, v[4:5]
	v_sub_u32_e32 v2, v20, v22
	v_sub_u32_e32 v1, v1, v2
	v_and_b32_e32 v3, 1, v19
	v_add_u32_e32 v1, 6, v1
	v_cmp_eq_u32_e32 vcc, 1, v3
	v_or_b32_e32 v20, 0xc00, v0
	s_nop 0
	v_cndmask_b32_e32 v1, v1, v2, vcc
	v_lshlrev_b32_e32 v1, 3, v1
	ds_write_b64 v1, v[14:15]
	s_waitcnt lgkmcnt(0)
	s_barrier
	ds_read2st64_b64 v[10:13], v18 offset1:8
	ds_read2st64_b64 v[6:9], v18 offset0:16 offset1:24
	ds_read2st64_b64 v[2:5], v18 offset0:32 offset1:40
	ds_read_b64 v[18:19], v18 offset:24576
	v_mov_b32_e32 v1, 0
	v_mov_b32_e32 v23, v1
	;; [unrolled: 1-line block ×3, first 2 shown]
	v_lshl_add_u64 v[14:15], s[34:35], 0, v[22:23]
	v_lshl_add_u64 v[22:23], s[0:1], 0, v[16:17]
	v_mov_b32_e32 v33, v1
	v_mov_b32_e32 v31, v1
	;; [unrolled: 1-line block ×6, first 2 shown]
	s_and_b64 vcc, exec, s[20:21]
	v_lshl_add_u64 v[22:23], v[22:23], 0, v[14:15]
	s_cbranch_vccnz .LBB32_93
; %bb.64:
	v_cmp_ge_u32_e32 vcc, v0, v16
                                        ; implicit-def: $vgpr34_vgpr35
	s_and_saveexec_b64 s[0:1], vcc
	s_xor_b64 s[0:1], exec, s[0:1]
; %bb.65:
	v_not_b32_e32 v34, v0
	v_ashrrev_i32_e32 v35, 31, v34
	v_lshl_add_u64 v[34:35], v[22:23], 0, v[34:35]
; %bb.66:
	s_andn2_saveexec_b64 s[0:1], s[0:1]
; %bb.67:
	v_lshl_add_u64 v[34:35], v[14:15], 0, v[0:1]
; %bb.68:
	s_or_b64 exec, exec, s[0:1]
	v_lshl_add_u64 v[34:35], v[34:35], 3, s[2:3]
	v_cmp_ge_u32_e32 vcc, v32, v16
	s_waitcnt lgkmcnt(3)
	global_store_dwordx2 v[34:35], v[10:11], off
                                        ; implicit-def: $vgpr34_vgpr35
	s_and_saveexec_b64 s[0:1], vcc
	s_xor_b64 s[0:1], exec, s[0:1]
; %bb.69:
	v_xor_b32_e32 v34, 0xfffffdff, v0
	v_ashrrev_i32_e32 v35, 31, v34
	v_lshl_add_u64 v[34:35], v[22:23], 0, v[34:35]
; %bb.70:
	s_andn2_saveexec_b64 s[0:1], s[0:1]
; %bb.71:
	v_lshl_add_u64 v[34:35], v[14:15], 0, v[32:33]
; %bb.72:
	s_or_b64 exec, exec, s[0:1]
	v_lshl_add_u64 v[34:35], v[34:35], 3, s[2:3]
	v_cmp_ge_u32_e32 vcc, v30, v16
	global_store_dwordx2 v[34:35], v[12:13], off
                                        ; implicit-def: $vgpr34_vgpr35
	s_and_saveexec_b64 s[0:1], vcc
	s_xor_b64 s[0:1], exec, s[0:1]
; %bb.73:
	v_xor_b32_e32 v34, 0xfffffbff, v0
	v_ashrrev_i32_e32 v35, 31, v34
	v_lshl_add_u64 v[34:35], v[22:23], 0, v[34:35]
; %bb.74:
	s_andn2_saveexec_b64 s[0:1], s[0:1]
; %bb.75:
	v_lshl_add_u64 v[34:35], v[14:15], 0, v[30:31]
; %bb.76:
	s_or_b64 exec, exec, s[0:1]
	v_lshl_add_u64 v[34:35], v[34:35], 3, s[2:3]
	v_cmp_ge_u32_e32 vcc, v28, v16
	s_waitcnt lgkmcnt(2)
	global_store_dwordx2 v[34:35], v[6:7], off
                                        ; implicit-def: $vgpr34_vgpr35
	s_and_saveexec_b64 s[0:1], vcc
	s_xor_b64 s[0:1], exec, s[0:1]
; %bb.77:
	v_xor_b32_e32 v34, 0xfffff9ff, v0
	v_ashrrev_i32_e32 v35, 31, v34
	v_lshl_add_u64 v[34:35], v[22:23], 0, v[34:35]
; %bb.78:
	s_andn2_saveexec_b64 s[0:1], s[0:1]
; %bb.79:
	v_lshl_add_u64 v[34:35], v[14:15], 0, v[28:29]
; %bb.80:
	s_or_b64 exec, exec, s[0:1]
	v_lshl_add_u64 v[34:35], v[34:35], 3, s[2:3]
	v_cmp_ge_u32_e32 vcc, v26, v16
	global_store_dwordx2 v[34:35], v[8:9], off
                                        ; implicit-def: $vgpr34_vgpr35
	s_and_saveexec_b64 s[0:1], vcc
	s_xor_b64 s[0:1], exec, s[0:1]
; %bb.81:
	v_xor_b32_e32 v34, 0xfffff7ff, v0
	v_ashrrev_i32_e32 v35, 31, v34
	v_lshl_add_u64 v[34:35], v[22:23], 0, v[34:35]
; %bb.82:
	s_andn2_saveexec_b64 s[0:1], s[0:1]
; %bb.83:
	v_lshl_add_u64 v[34:35], v[14:15], 0, v[26:27]
; %bb.84:
	s_or_b64 exec, exec, s[0:1]
	v_lshl_add_u64 v[34:35], v[34:35], 3, s[2:3]
	v_cmp_ge_u32_e32 vcc, v24, v16
	s_waitcnt lgkmcnt(1)
	global_store_dwordx2 v[34:35], v[2:3], off
                                        ; implicit-def: $vgpr34_vgpr35
	s_and_saveexec_b64 s[0:1], vcc
	s_xor_b64 s[0:1], exec, s[0:1]
; %bb.85:
	v_xor_b32_e32 v34, 0xfffff5ff, v0
	v_ashrrev_i32_e32 v35, 31, v34
	v_lshl_add_u64 v[34:35], v[22:23], 0, v[34:35]
; %bb.86:
	s_andn2_saveexec_b64 s[0:1], s[0:1]
; %bb.87:
	v_lshl_add_u64 v[34:35], v[14:15], 0, v[24:25]
; %bb.88:
	s_or_b64 exec, exec, s[0:1]
	v_lshl_add_u64 v[34:35], v[34:35], 3, s[2:3]
	v_cmp_ge_u32_e32 vcc, v20, v16
	global_store_dwordx2 v[34:35], v[4:5], off
                                        ; implicit-def: $vgpr34_vgpr35
	s_and_saveexec_b64 s[0:1], vcc
	s_xor_b64 s[0:1], exec, s[0:1]
; %bb.89:
	v_xor_b32_e32 v34, 0xfffff3ff, v0
	v_ashrrev_i32_e32 v35, 31, v34
	v_lshl_add_u64 v[34:35], v[22:23], 0, v[34:35]
; %bb.90:
	s_andn2_saveexec_b64 s[0:1], s[0:1]
; %bb.91:
	v_lshl_add_u64 v[34:35], v[14:15], 0, v[20:21]
; %bb.92:
	s_or_b64 exec, exec, s[0:1]
	s_mov_b64 s[0:1], -1
	s_branch .LBB32_137
.LBB32_93:
	s_mov_b64 s[0:1], 0
                                        ; implicit-def: $vgpr34_vgpr35
	s_cbranch_execz .LBB32_137
; %bb.94:
	v_cmp_gt_u32_e32 vcc, s33, v0
	s_and_saveexec_b64 s[4:5], vcc
	s_cbranch_execz .LBB32_112
; %bb.95:
	v_cmp_ge_u32_e32 vcc, v0, v16
                                        ; implicit-def: $vgpr34_vgpr35
	s_and_saveexec_b64 s[6:7], vcc
	s_xor_b64 s[6:7], exec, s[6:7]
; %bb.96:
	v_not_b32_e32 v34, v0
	v_ashrrev_i32_e32 v35, 31, v34
	v_lshl_add_u64 v[34:35], v[22:23], 0, v[34:35]
; %bb.97:
	s_andn2_saveexec_b64 s[6:7], s[6:7]
; %bb.98:
	v_lshl_add_u64 v[34:35], v[14:15], 0, v[0:1]
; %bb.99:
	s_or_b64 exec, exec, s[6:7]
	v_lshl_add_u64 v[34:35], v[34:35], 3, s[2:3]
	s_waitcnt lgkmcnt(3)
	global_store_dwordx2 v[34:35], v[10:11], off
	s_or_b64 exec, exec, s[4:5]
	v_cmp_gt_u32_e32 vcc, s33, v32
	s_and_saveexec_b64 s[4:5], vcc
	s_cbranch_execnz .LBB32_113
.LBB32_100:
	s_or_b64 exec, exec, s[4:5]
	v_cmp_gt_u32_e32 vcc, s33, v30
	s_and_saveexec_b64 s[4:5], vcc
	s_cbranch_execz .LBB32_118
.LBB32_101:
	v_cmp_ge_u32_e32 vcc, v30, v16
                                        ; implicit-def: $vgpr10_vgpr11
	s_and_saveexec_b64 s[6:7], vcc
	s_xor_b64 s[6:7], exec, s[6:7]
	s_cbranch_execz .LBB32_103
; %bb.102:
	s_waitcnt lgkmcnt(3)
	v_xor_b32_e32 v10, 0xfffffbff, v0
	v_ashrrev_i32_e32 v11, 31, v10
	v_lshl_add_u64 v[10:11], v[22:23], 0, v[10:11]
                                        ; implicit-def: $vgpr30_vgpr31
.LBB32_103:
	s_andn2_saveexec_b64 s[6:7], s[6:7]
	s_cbranch_execz .LBB32_105
; %bb.104:
	s_waitcnt lgkmcnt(3)
	v_lshl_add_u64 v[10:11], v[14:15], 0, v[30:31]
.LBB32_105:
	s_or_b64 exec, exec, s[6:7]
	s_waitcnt lgkmcnt(3)
	v_lshl_add_u64 v[10:11], v[10:11], 3, s[2:3]
	s_waitcnt lgkmcnt(2)
	global_store_dwordx2 v[10:11], v[6:7], off
	s_or_b64 exec, exec, s[4:5]
	v_cmp_gt_u32_e32 vcc, s33, v28
	s_and_saveexec_b64 s[4:5], vcc
	s_cbranch_execnz .LBB32_119
.LBB32_106:
	s_or_b64 exec, exec, s[4:5]
	v_cmp_gt_u32_e32 vcc, s33, v26
	s_and_saveexec_b64 s[4:5], vcc
	s_cbranch_execz .LBB32_124
.LBB32_107:
	v_cmp_ge_u32_e32 vcc, v26, v16
                                        ; implicit-def: $vgpr6_vgpr7
	s_and_saveexec_b64 s[6:7], vcc
	s_xor_b64 s[6:7], exec, s[6:7]
	s_cbranch_execz .LBB32_109
; %bb.108:
	s_waitcnt lgkmcnt(2)
	v_xor_b32_e32 v6, 0xfffff7ff, v0
	v_ashrrev_i32_e32 v7, 31, v6
	v_lshl_add_u64 v[6:7], v[22:23], 0, v[6:7]
                                        ; implicit-def: $vgpr26_vgpr27
.LBB32_109:
	s_andn2_saveexec_b64 s[6:7], s[6:7]
	s_cbranch_execz .LBB32_111
; %bb.110:
	s_waitcnt lgkmcnt(2)
	v_lshl_add_u64 v[6:7], v[14:15], 0, v[26:27]
.LBB32_111:
	s_or_b64 exec, exec, s[6:7]
	s_waitcnt lgkmcnt(2)
	v_lshl_add_u64 v[6:7], v[6:7], 3, s[2:3]
	s_waitcnt lgkmcnt(1)
	global_store_dwordx2 v[6:7], v[2:3], off
	s_or_b64 exec, exec, s[4:5]
	v_cmp_gt_u32_e32 vcc, s33, v24
	s_and_saveexec_b64 s[4:5], vcc
	s_cbranch_execz .LBB32_130
	s_branch .LBB32_125
.LBB32_112:
	s_or_b64 exec, exec, s[4:5]
	v_cmp_gt_u32_e32 vcc, s33, v32
	s_and_saveexec_b64 s[4:5], vcc
	s_cbranch_execz .LBB32_100
.LBB32_113:
	v_cmp_ge_u32_e32 vcc, v32, v16
                                        ; implicit-def: $vgpr10_vgpr11
	s_and_saveexec_b64 s[6:7], vcc
	s_xor_b64 s[6:7], exec, s[6:7]
	s_cbranch_execz .LBB32_115
; %bb.114:
	s_waitcnt lgkmcnt(3)
	v_xor_b32_e32 v10, 0xfffffdff, v0
	v_ashrrev_i32_e32 v11, 31, v10
	v_lshl_add_u64 v[10:11], v[22:23], 0, v[10:11]
                                        ; implicit-def: $vgpr32_vgpr33
.LBB32_115:
	s_andn2_saveexec_b64 s[6:7], s[6:7]
	s_cbranch_execz .LBB32_117
; %bb.116:
	s_waitcnt lgkmcnt(3)
	v_lshl_add_u64 v[10:11], v[14:15], 0, v[32:33]
.LBB32_117:
	s_or_b64 exec, exec, s[6:7]
	s_waitcnt lgkmcnt(3)
	v_lshl_add_u64 v[10:11], v[10:11], 3, s[2:3]
	global_store_dwordx2 v[10:11], v[12:13], off
	s_or_b64 exec, exec, s[4:5]
	v_cmp_gt_u32_e32 vcc, s33, v30
	s_and_saveexec_b64 s[4:5], vcc
	s_cbranch_execnz .LBB32_101
.LBB32_118:
	s_or_b64 exec, exec, s[4:5]
	v_cmp_gt_u32_e32 vcc, s33, v28
	s_and_saveexec_b64 s[4:5], vcc
	s_cbranch_execz .LBB32_106
.LBB32_119:
	v_cmp_ge_u32_e32 vcc, v28, v16
                                        ; implicit-def: $vgpr6_vgpr7
	s_and_saveexec_b64 s[6:7], vcc
	s_xor_b64 s[6:7], exec, s[6:7]
	s_cbranch_execz .LBB32_121
; %bb.120:
	s_waitcnt lgkmcnt(2)
	v_xor_b32_e32 v6, 0xfffff9ff, v0
	v_ashrrev_i32_e32 v7, 31, v6
	v_lshl_add_u64 v[6:7], v[22:23], 0, v[6:7]
                                        ; implicit-def: $vgpr28_vgpr29
.LBB32_121:
	s_andn2_saveexec_b64 s[6:7], s[6:7]
	s_cbranch_execz .LBB32_123
; %bb.122:
	s_waitcnt lgkmcnt(2)
	v_lshl_add_u64 v[6:7], v[14:15], 0, v[28:29]
.LBB32_123:
	s_or_b64 exec, exec, s[6:7]
	s_waitcnt lgkmcnt(2)
	v_lshl_add_u64 v[6:7], v[6:7], 3, s[2:3]
	global_store_dwordx2 v[6:7], v[8:9], off
	s_or_b64 exec, exec, s[4:5]
	v_cmp_gt_u32_e32 vcc, s33, v26
	s_and_saveexec_b64 s[4:5], vcc
	s_cbranch_execnz .LBB32_107
.LBB32_124:
	s_or_b64 exec, exec, s[4:5]
	v_cmp_gt_u32_e32 vcc, s33, v24
	s_and_saveexec_b64 s[4:5], vcc
	s_cbranch_execz .LBB32_130
.LBB32_125:
	v_cmp_ge_u32_e32 vcc, v24, v16
                                        ; implicit-def: $vgpr2_vgpr3
	s_and_saveexec_b64 s[6:7], vcc
	s_xor_b64 s[6:7], exec, s[6:7]
	s_cbranch_execz .LBB32_127
; %bb.126:
	s_waitcnt lgkmcnt(1)
	v_xor_b32_e32 v2, 0xfffff5ff, v0
	v_ashrrev_i32_e32 v3, 31, v2
	v_lshl_add_u64 v[2:3], v[22:23], 0, v[2:3]
                                        ; implicit-def: $vgpr24_vgpr25
.LBB32_127:
	s_andn2_saveexec_b64 s[6:7], s[6:7]
	s_cbranch_execz .LBB32_129
; %bb.128:
	s_waitcnt lgkmcnt(1)
	v_lshl_add_u64 v[2:3], v[14:15], 0, v[24:25]
.LBB32_129:
	s_or_b64 exec, exec, s[6:7]
	s_waitcnt lgkmcnt(1)
	v_lshl_add_u64 v[2:3], v[2:3], 3, s[2:3]
	global_store_dwordx2 v[2:3], v[4:5], off
.LBB32_130:
	s_or_b64 exec, exec, s[4:5]
	v_cmp_gt_u32_e32 vcc, s33, v20
                                        ; implicit-def: $vgpr34_vgpr35
	s_and_saveexec_b64 s[4:5], vcc
	s_cbranch_execz .LBB32_136
; %bb.131:
	v_cmp_ge_u32_e32 vcc, v20, v16
                                        ; implicit-def: $vgpr34_vgpr35
	s_and_saveexec_b64 s[6:7], vcc
	s_xor_b64 s[6:7], exec, s[6:7]
	s_cbranch_execz .LBB32_133
; %bb.132:
	s_waitcnt lgkmcnt(1)
	v_xor_b32_e32 v2, 0xfffff3ff, v0
	v_ashrrev_i32_e32 v3, 31, v2
	v_lshl_add_u64 v[34:35], v[22:23], 0, v[2:3]
                                        ; implicit-def: $vgpr20_vgpr21
.LBB32_133:
	s_andn2_saveexec_b64 s[6:7], s[6:7]
; %bb.134:
	v_lshl_add_u64 v[34:35], v[14:15], 0, v[20:21]
; %bb.135:
	s_or_b64 exec, exec, s[6:7]
	s_or_b64 s[0:1], s[0:1], exec
.LBB32_136:
	s_or_b64 exec, exec, s[4:5]
.LBB32_137:
	s_and_saveexec_b64 s[4:5], s[0:1]
	s_cbranch_execz .LBB32_139
; %bb.138:
	s_waitcnt lgkmcnt(1)
	v_lshl_add_u64 v[2:3], v[34:35], 3, s[2:3]
	s_waitcnt lgkmcnt(0)
	global_store_dwordx2 v[2:3], v[18:19], off
.LBB32_139:
	s_or_b64 exec, exec, s[4:5]
	v_cmp_eq_u32_e32 vcc, 0, v0
	s_and_b64 s[0:1], vcc, s[26:27]
	s_and_saveexec_b64 s[2:3], s[0:1]
	s_cbranch_execz .LBB32_141
; %bb.140:
	s_waitcnt lgkmcnt(1)
	v_mov_b32_e32 v2, 0
	v_lshl_add_u64 v[0:1], v[14:15], 0, v[16:17]
	global_store_dwordx2 v2, v[0:1], s[24:25]
.LBB32_141:
	s_endpgm
	.section	.rodata,"a",@progbits
	.p2align	6, 0x0
	.amdhsa_kernel _ZN7rocprim17ROCPRIM_400000_NS6detail17trampoline_kernelINS0_14default_configENS1_25partition_config_selectorILNS1_17partition_subalgoE3ExNS0_10empty_typeEbEEZZNS1_14partition_implILS5_3ELb0ES3_jN6thrust23THRUST_200600_302600_NS6detail15normal_iteratorINSA_7pointerIxNSA_11hip_rocprim3tagENSA_11use_defaultESG_EEEEPS6_SJ_NS0_5tupleIJPxSJ_EEENSK_IJSJ_SJ_EEES6_PlJ7is_evenIxEEEE10hipError_tPvRmT3_T4_T5_T6_T7_T9_mT8_P12ihipStream_tbDpT10_ENKUlT_T0_E_clISt17integral_constantIbLb1EES19_IbLb0EEEEDaS15_S16_EUlS15_E_NS1_11comp_targetILNS1_3genE5ELNS1_11target_archE942ELNS1_3gpuE9ELNS1_3repE0EEENS1_30default_config_static_selectorELNS0_4arch9wavefront6targetE1EEEvT1_
		.amdhsa_group_segment_fixed_size 28680
		.amdhsa_private_segment_fixed_size 0
		.amdhsa_kernarg_size 120
		.amdhsa_user_sgpr_count 2
		.amdhsa_user_sgpr_dispatch_ptr 0
		.amdhsa_user_sgpr_queue_ptr 0
		.amdhsa_user_sgpr_kernarg_segment_ptr 1
		.amdhsa_user_sgpr_dispatch_id 0
		.amdhsa_user_sgpr_kernarg_preload_length 0
		.amdhsa_user_sgpr_kernarg_preload_offset 0
		.amdhsa_user_sgpr_private_segment_size 0
		.amdhsa_uses_dynamic_stack 0
		.amdhsa_enable_private_segment 0
		.amdhsa_system_sgpr_workgroup_id_x 1
		.amdhsa_system_sgpr_workgroup_id_y 0
		.amdhsa_system_sgpr_workgroup_id_z 0
		.amdhsa_system_sgpr_workgroup_info 0
		.amdhsa_system_vgpr_workitem_id 0
		.amdhsa_next_free_vgpr 57
		.amdhsa_next_free_sgpr 46
		.amdhsa_accum_offset 60
		.amdhsa_reserve_vcc 1
		.amdhsa_float_round_mode_32 0
		.amdhsa_float_round_mode_16_64 0
		.amdhsa_float_denorm_mode_32 3
		.amdhsa_float_denorm_mode_16_64 3
		.amdhsa_dx10_clamp 1
		.amdhsa_ieee_mode 1
		.amdhsa_fp16_overflow 0
		.amdhsa_tg_split 0
		.amdhsa_exception_fp_ieee_invalid_op 0
		.amdhsa_exception_fp_denorm_src 0
		.amdhsa_exception_fp_ieee_div_zero 0
		.amdhsa_exception_fp_ieee_overflow 0
		.amdhsa_exception_fp_ieee_underflow 0
		.amdhsa_exception_fp_ieee_inexact 0
		.amdhsa_exception_int_div_zero 0
	.end_amdhsa_kernel
	.section	.text._ZN7rocprim17ROCPRIM_400000_NS6detail17trampoline_kernelINS0_14default_configENS1_25partition_config_selectorILNS1_17partition_subalgoE3ExNS0_10empty_typeEbEEZZNS1_14partition_implILS5_3ELb0ES3_jN6thrust23THRUST_200600_302600_NS6detail15normal_iteratorINSA_7pointerIxNSA_11hip_rocprim3tagENSA_11use_defaultESG_EEEEPS6_SJ_NS0_5tupleIJPxSJ_EEENSK_IJSJ_SJ_EEES6_PlJ7is_evenIxEEEE10hipError_tPvRmT3_T4_T5_T6_T7_T9_mT8_P12ihipStream_tbDpT10_ENKUlT_T0_E_clISt17integral_constantIbLb1EES19_IbLb0EEEEDaS15_S16_EUlS15_E_NS1_11comp_targetILNS1_3genE5ELNS1_11target_archE942ELNS1_3gpuE9ELNS1_3repE0EEENS1_30default_config_static_selectorELNS0_4arch9wavefront6targetE1EEEvT1_,"axG",@progbits,_ZN7rocprim17ROCPRIM_400000_NS6detail17trampoline_kernelINS0_14default_configENS1_25partition_config_selectorILNS1_17partition_subalgoE3ExNS0_10empty_typeEbEEZZNS1_14partition_implILS5_3ELb0ES3_jN6thrust23THRUST_200600_302600_NS6detail15normal_iteratorINSA_7pointerIxNSA_11hip_rocprim3tagENSA_11use_defaultESG_EEEEPS6_SJ_NS0_5tupleIJPxSJ_EEENSK_IJSJ_SJ_EEES6_PlJ7is_evenIxEEEE10hipError_tPvRmT3_T4_T5_T6_T7_T9_mT8_P12ihipStream_tbDpT10_ENKUlT_T0_E_clISt17integral_constantIbLb1EES19_IbLb0EEEEDaS15_S16_EUlS15_E_NS1_11comp_targetILNS1_3genE5ELNS1_11target_archE942ELNS1_3gpuE9ELNS1_3repE0EEENS1_30default_config_static_selectorELNS0_4arch9wavefront6targetE1EEEvT1_,comdat
.Lfunc_end32:
	.size	_ZN7rocprim17ROCPRIM_400000_NS6detail17trampoline_kernelINS0_14default_configENS1_25partition_config_selectorILNS1_17partition_subalgoE3ExNS0_10empty_typeEbEEZZNS1_14partition_implILS5_3ELb0ES3_jN6thrust23THRUST_200600_302600_NS6detail15normal_iteratorINSA_7pointerIxNSA_11hip_rocprim3tagENSA_11use_defaultESG_EEEEPS6_SJ_NS0_5tupleIJPxSJ_EEENSK_IJSJ_SJ_EEES6_PlJ7is_evenIxEEEE10hipError_tPvRmT3_T4_T5_T6_T7_T9_mT8_P12ihipStream_tbDpT10_ENKUlT_T0_E_clISt17integral_constantIbLb1EES19_IbLb0EEEEDaS15_S16_EUlS15_E_NS1_11comp_targetILNS1_3genE5ELNS1_11target_archE942ELNS1_3gpuE9ELNS1_3repE0EEENS1_30default_config_static_selectorELNS0_4arch9wavefront6targetE1EEEvT1_, .Lfunc_end32-_ZN7rocprim17ROCPRIM_400000_NS6detail17trampoline_kernelINS0_14default_configENS1_25partition_config_selectorILNS1_17partition_subalgoE3ExNS0_10empty_typeEbEEZZNS1_14partition_implILS5_3ELb0ES3_jN6thrust23THRUST_200600_302600_NS6detail15normal_iteratorINSA_7pointerIxNSA_11hip_rocprim3tagENSA_11use_defaultESG_EEEEPS6_SJ_NS0_5tupleIJPxSJ_EEENSK_IJSJ_SJ_EEES6_PlJ7is_evenIxEEEE10hipError_tPvRmT3_T4_T5_T6_T7_T9_mT8_P12ihipStream_tbDpT10_ENKUlT_T0_E_clISt17integral_constantIbLb1EES19_IbLb0EEEEDaS15_S16_EUlS15_E_NS1_11comp_targetILNS1_3genE5ELNS1_11target_archE942ELNS1_3gpuE9ELNS1_3repE0EEENS1_30default_config_static_selectorELNS0_4arch9wavefront6targetE1EEEvT1_
                                        ; -- End function
	.section	.AMDGPU.csdata,"",@progbits
; Kernel info:
; codeLenInByte = 5076
; NumSgprs: 52
; NumVgprs: 57
; NumAgprs: 0
; TotalNumVgprs: 57
; ScratchSize: 0
; MemoryBound: 0
; FloatMode: 240
; IeeeMode: 1
; LDSByteSize: 28680 bytes/workgroup (compile time only)
; SGPRBlocks: 6
; VGPRBlocks: 7
; NumSGPRsForWavesPerEU: 52
; NumVGPRsForWavesPerEU: 57
; AccumOffset: 60
; Occupancy: 4
; WaveLimiterHint : 1
; COMPUTE_PGM_RSRC2:SCRATCH_EN: 0
; COMPUTE_PGM_RSRC2:USER_SGPR: 2
; COMPUTE_PGM_RSRC2:TRAP_HANDLER: 0
; COMPUTE_PGM_RSRC2:TGID_X_EN: 1
; COMPUTE_PGM_RSRC2:TGID_Y_EN: 0
; COMPUTE_PGM_RSRC2:TGID_Z_EN: 0
; COMPUTE_PGM_RSRC2:TIDIG_COMP_CNT: 0
; COMPUTE_PGM_RSRC3_GFX90A:ACCUM_OFFSET: 14
; COMPUTE_PGM_RSRC3_GFX90A:TG_SPLIT: 0
	.section	.text._ZN7rocprim17ROCPRIM_400000_NS6detail17trampoline_kernelINS0_14default_configENS1_25partition_config_selectorILNS1_17partition_subalgoE3ExNS0_10empty_typeEbEEZZNS1_14partition_implILS5_3ELb0ES3_jN6thrust23THRUST_200600_302600_NS6detail15normal_iteratorINSA_7pointerIxNSA_11hip_rocprim3tagENSA_11use_defaultESG_EEEEPS6_SJ_NS0_5tupleIJPxSJ_EEENSK_IJSJ_SJ_EEES6_PlJ7is_evenIxEEEE10hipError_tPvRmT3_T4_T5_T6_T7_T9_mT8_P12ihipStream_tbDpT10_ENKUlT_T0_E_clISt17integral_constantIbLb1EES19_IbLb0EEEEDaS15_S16_EUlS15_E_NS1_11comp_targetILNS1_3genE4ELNS1_11target_archE910ELNS1_3gpuE8ELNS1_3repE0EEENS1_30default_config_static_selectorELNS0_4arch9wavefront6targetE1EEEvT1_,"axG",@progbits,_ZN7rocprim17ROCPRIM_400000_NS6detail17trampoline_kernelINS0_14default_configENS1_25partition_config_selectorILNS1_17partition_subalgoE3ExNS0_10empty_typeEbEEZZNS1_14partition_implILS5_3ELb0ES3_jN6thrust23THRUST_200600_302600_NS6detail15normal_iteratorINSA_7pointerIxNSA_11hip_rocprim3tagENSA_11use_defaultESG_EEEEPS6_SJ_NS0_5tupleIJPxSJ_EEENSK_IJSJ_SJ_EEES6_PlJ7is_evenIxEEEE10hipError_tPvRmT3_T4_T5_T6_T7_T9_mT8_P12ihipStream_tbDpT10_ENKUlT_T0_E_clISt17integral_constantIbLb1EES19_IbLb0EEEEDaS15_S16_EUlS15_E_NS1_11comp_targetILNS1_3genE4ELNS1_11target_archE910ELNS1_3gpuE8ELNS1_3repE0EEENS1_30default_config_static_selectorELNS0_4arch9wavefront6targetE1EEEvT1_,comdat
	.protected	_ZN7rocprim17ROCPRIM_400000_NS6detail17trampoline_kernelINS0_14default_configENS1_25partition_config_selectorILNS1_17partition_subalgoE3ExNS0_10empty_typeEbEEZZNS1_14partition_implILS5_3ELb0ES3_jN6thrust23THRUST_200600_302600_NS6detail15normal_iteratorINSA_7pointerIxNSA_11hip_rocprim3tagENSA_11use_defaultESG_EEEEPS6_SJ_NS0_5tupleIJPxSJ_EEENSK_IJSJ_SJ_EEES6_PlJ7is_evenIxEEEE10hipError_tPvRmT3_T4_T5_T6_T7_T9_mT8_P12ihipStream_tbDpT10_ENKUlT_T0_E_clISt17integral_constantIbLb1EES19_IbLb0EEEEDaS15_S16_EUlS15_E_NS1_11comp_targetILNS1_3genE4ELNS1_11target_archE910ELNS1_3gpuE8ELNS1_3repE0EEENS1_30default_config_static_selectorELNS0_4arch9wavefront6targetE1EEEvT1_ ; -- Begin function _ZN7rocprim17ROCPRIM_400000_NS6detail17trampoline_kernelINS0_14default_configENS1_25partition_config_selectorILNS1_17partition_subalgoE3ExNS0_10empty_typeEbEEZZNS1_14partition_implILS5_3ELb0ES3_jN6thrust23THRUST_200600_302600_NS6detail15normal_iteratorINSA_7pointerIxNSA_11hip_rocprim3tagENSA_11use_defaultESG_EEEEPS6_SJ_NS0_5tupleIJPxSJ_EEENSK_IJSJ_SJ_EEES6_PlJ7is_evenIxEEEE10hipError_tPvRmT3_T4_T5_T6_T7_T9_mT8_P12ihipStream_tbDpT10_ENKUlT_T0_E_clISt17integral_constantIbLb1EES19_IbLb0EEEEDaS15_S16_EUlS15_E_NS1_11comp_targetILNS1_3genE4ELNS1_11target_archE910ELNS1_3gpuE8ELNS1_3repE0EEENS1_30default_config_static_selectorELNS0_4arch9wavefront6targetE1EEEvT1_
	.globl	_ZN7rocprim17ROCPRIM_400000_NS6detail17trampoline_kernelINS0_14default_configENS1_25partition_config_selectorILNS1_17partition_subalgoE3ExNS0_10empty_typeEbEEZZNS1_14partition_implILS5_3ELb0ES3_jN6thrust23THRUST_200600_302600_NS6detail15normal_iteratorINSA_7pointerIxNSA_11hip_rocprim3tagENSA_11use_defaultESG_EEEEPS6_SJ_NS0_5tupleIJPxSJ_EEENSK_IJSJ_SJ_EEES6_PlJ7is_evenIxEEEE10hipError_tPvRmT3_T4_T5_T6_T7_T9_mT8_P12ihipStream_tbDpT10_ENKUlT_T0_E_clISt17integral_constantIbLb1EES19_IbLb0EEEEDaS15_S16_EUlS15_E_NS1_11comp_targetILNS1_3genE4ELNS1_11target_archE910ELNS1_3gpuE8ELNS1_3repE0EEENS1_30default_config_static_selectorELNS0_4arch9wavefront6targetE1EEEvT1_
	.p2align	8
	.type	_ZN7rocprim17ROCPRIM_400000_NS6detail17trampoline_kernelINS0_14default_configENS1_25partition_config_selectorILNS1_17partition_subalgoE3ExNS0_10empty_typeEbEEZZNS1_14partition_implILS5_3ELb0ES3_jN6thrust23THRUST_200600_302600_NS6detail15normal_iteratorINSA_7pointerIxNSA_11hip_rocprim3tagENSA_11use_defaultESG_EEEEPS6_SJ_NS0_5tupleIJPxSJ_EEENSK_IJSJ_SJ_EEES6_PlJ7is_evenIxEEEE10hipError_tPvRmT3_T4_T5_T6_T7_T9_mT8_P12ihipStream_tbDpT10_ENKUlT_T0_E_clISt17integral_constantIbLb1EES19_IbLb0EEEEDaS15_S16_EUlS15_E_NS1_11comp_targetILNS1_3genE4ELNS1_11target_archE910ELNS1_3gpuE8ELNS1_3repE0EEENS1_30default_config_static_selectorELNS0_4arch9wavefront6targetE1EEEvT1_,@function
_ZN7rocprim17ROCPRIM_400000_NS6detail17trampoline_kernelINS0_14default_configENS1_25partition_config_selectorILNS1_17partition_subalgoE3ExNS0_10empty_typeEbEEZZNS1_14partition_implILS5_3ELb0ES3_jN6thrust23THRUST_200600_302600_NS6detail15normal_iteratorINSA_7pointerIxNSA_11hip_rocprim3tagENSA_11use_defaultESG_EEEEPS6_SJ_NS0_5tupleIJPxSJ_EEENSK_IJSJ_SJ_EEES6_PlJ7is_evenIxEEEE10hipError_tPvRmT3_T4_T5_T6_T7_T9_mT8_P12ihipStream_tbDpT10_ENKUlT_T0_E_clISt17integral_constantIbLb1EES19_IbLb0EEEEDaS15_S16_EUlS15_E_NS1_11comp_targetILNS1_3genE4ELNS1_11target_archE910ELNS1_3gpuE8ELNS1_3repE0EEENS1_30default_config_static_selectorELNS0_4arch9wavefront6targetE1EEEvT1_: ; @_ZN7rocprim17ROCPRIM_400000_NS6detail17trampoline_kernelINS0_14default_configENS1_25partition_config_selectorILNS1_17partition_subalgoE3ExNS0_10empty_typeEbEEZZNS1_14partition_implILS5_3ELb0ES3_jN6thrust23THRUST_200600_302600_NS6detail15normal_iteratorINSA_7pointerIxNSA_11hip_rocprim3tagENSA_11use_defaultESG_EEEEPS6_SJ_NS0_5tupleIJPxSJ_EEENSK_IJSJ_SJ_EEES6_PlJ7is_evenIxEEEE10hipError_tPvRmT3_T4_T5_T6_T7_T9_mT8_P12ihipStream_tbDpT10_ENKUlT_T0_E_clISt17integral_constantIbLb1EES19_IbLb0EEEEDaS15_S16_EUlS15_E_NS1_11comp_targetILNS1_3genE4ELNS1_11target_archE910ELNS1_3gpuE8ELNS1_3repE0EEENS1_30default_config_static_selectorELNS0_4arch9wavefront6targetE1EEEvT1_
; %bb.0:
	.section	.rodata,"a",@progbits
	.p2align	6, 0x0
	.amdhsa_kernel _ZN7rocprim17ROCPRIM_400000_NS6detail17trampoline_kernelINS0_14default_configENS1_25partition_config_selectorILNS1_17partition_subalgoE3ExNS0_10empty_typeEbEEZZNS1_14partition_implILS5_3ELb0ES3_jN6thrust23THRUST_200600_302600_NS6detail15normal_iteratorINSA_7pointerIxNSA_11hip_rocprim3tagENSA_11use_defaultESG_EEEEPS6_SJ_NS0_5tupleIJPxSJ_EEENSK_IJSJ_SJ_EEES6_PlJ7is_evenIxEEEE10hipError_tPvRmT3_T4_T5_T6_T7_T9_mT8_P12ihipStream_tbDpT10_ENKUlT_T0_E_clISt17integral_constantIbLb1EES19_IbLb0EEEEDaS15_S16_EUlS15_E_NS1_11comp_targetILNS1_3genE4ELNS1_11target_archE910ELNS1_3gpuE8ELNS1_3repE0EEENS1_30default_config_static_selectorELNS0_4arch9wavefront6targetE1EEEvT1_
		.amdhsa_group_segment_fixed_size 0
		.amdhsa_private_segment_fixed_size 0
		.amdhsa_kernarg_size 120
		.amdhsa_user_sgpr_count 2
		.amdhsa_user_sgpr_dispatch_ptr 0
		.amdhsa_user_sgpr_queue_ptr 0
		.amdhsa_user_sgpr_kernarg_segment_ptr 1
		.amdhsa_user_sgpr_dispatch_id 0
		.amdhsa_user_sgpr_kernarg_preload_length 0
		.amdhsa_user_sgpr_kernarg_preload_offset 0
		.amdhsa_user_sgpr_private_segment_size 0
		.amdhsa_uses_dynamic_stack 0
		.amdhsa_enable_private_segment 0
		.amdhsa_system_sgpr_workgroup_id_x 1
		.amdhsa_system_sgpr_workgroup_id_y 0
		.amdhsa_system_sgpr_workgroup_id_z 0
		.amdhsa_system_sgpr_workgroup_info 0
		.amdhsa_system_vgpr_workitem_id 0
		.amdhsa_next_free_vgpr 1
		.amdhsa_next_free_sgpr 0
		.amdhsa_accum_offset 4
		.amdhsa_reserve_vcc 0
		.amdhsa_float_round_mode_32 0
		.amdhsa_float_round_mode_16_64 0
		.amdhsa_float_denorm_mode_32 3
		.amdhsa_float_denorm_mode_16_64 3
		.amdhsa_dx10_clamp 1
		.amdhsa_ieee_mode 1
		.amdhsa_fp16_overflow 0
		.amdhsa_tg_split 0
		.amdhsa_exception_fp_ieee_invalid_op 0
		.amdhsa_exception_fp_denorm_src 0
		.amdhsa_exception_fp_ieee_div_zero 0
		.amdhsa_exception_fp_ieee_overflow 0
		.amdhsa_exception_fp_ieee_underflow 0
		.amdhsa_exception_fp_ieee_inexact 0
		.amdhsa_exception_int_div_zero 0
	.end_amdhsa_kernel
	.section	.text._ZN7rocprim17ROCPRIM_400000_NS6detail17trampoline_kernelINS0_14default_configENS1_25partition_config_selectorILNS1_17partition_subalgoE3ExNS0_10empty_typeEbEEZZNS1_14partition_implILS5_3ELb0ES3_jN6thrust23THRUST_200600_302600_NS6detail15normal_iteratorINSA_7pointerIxNSA_11hip_rocprim3tagENSA_11use_defaultESG_EEEEPS6_SJ_NS0_5tupleIJPxSJ_EEENSK_IJSJ_SJ_EEES6_PlJ7is_evenIxEEEE10hipError_tPvRmT3_T4_T5_T6_T7_T9_mT8_P12ihipStream_tbDpT10_ENKUlT_T0_E_clISt17integral_constantIbLb1EES19_IbLb0EEEEDaS15_S16_EUlS15_E_NS1_11comp_targetILNS1_3genE4ELNS1_11target_archE910ELNS1_3gpuE8ELNS1_3repE0EEENS1_30default_config_static_selectorELNS0_4arch9wavefront6targetE1EEEvT1_,"axG",@progbits,_ZN7rocprim17ROCPRIM_400000_NS6detail17trampoline_kernelINS0_14default_configENS1_25partition_config_selectorILNS1_17partition_subalgoE3ExNS0_10empty_typeEbEEZZNS1_14partition_implILS5_3ELb0ES3_jN6thrust23THRUST_200600_302600_NS6detail15normal_iteratorINSA_7pointerIxNSA_11hip_rocprim3tagENSA_11use_defaultESG_EEEEPS6_SJ_NS0_5tupleIJPxSJ_EEENSK_IJSJ_SJ_EEES6_PlJ7is_evenIxEEEE10hipError_tPvRmT3_T4_T5_T6_T7_T9_mT8_P12ihipStream_tbDpT10_ENKUlT_T0_E_clISt17integral_constantIbLb1EES19_IbLb0EEEEDaS15_S16_EUlS15_E_NS1_11comp_targetILNS1_3genE4ELNS1_11target_archE910ELNS1_3gpuE8ELNS1_3repE0EEENS1_30default_config_static_selectorELNS0_4arch9wavefront6targetE1EEEvT1_,comdat
.Lfunc_end33:
	.size	_ZN7rocprim17ROCPRIM_400000_NS6detail17trampoline_kernelINS0_14default_configENS1_25partition_config_selectorILNS1_17partition_subalgoE3ExNS0_10empty_typeEbEEZZNS1_14partition_implILS5_3ELb0ES3_jN6thrust23THRUST_200600_302600_NS6detail15normal_iteratorINSA_7pointerIxNSA_11hip_rocprim3tagENSA_11use_defaultESG_EEEEPS6_SJ_NS0_5tupleIJPxSJ_EEENSK_IJSJ_SJ_EEES6_PlJ7is_evenIxEEEE10hipError_tPvRmT3_T4_T5_T6_T7_T9_mT8_P12ihipStream_tbDpT10_ENKUlT_T0_E_clISt17integral_constantIbLb1EES19_IbLb0EEEEDaS15_S16_EUlS15_E_NS1_11comp_targetILNS1_3genE4ELNS1_11target_archE910ELNS1_3gpuE8ELNS1_3repE0EEENS1_30default_config_static_selectorELNS0_4arch9wavefront6targetE1EEEvT1_, .Lfunc_end33-_ZN7rocprim17ROCPRIM_400000_NS6detail17trampoline_kernelINS0_14default_configENS1_25partition_config_selectorILNS1_17partition_subalgoE3ExNS0_10empty_typeEbEEZZNS1_14partition_implILS5_3ELb0ES3_jN6thrust23THRUST_200600_302600_NS6detail15normal_iteratorINSA_7pointerIxNSA_11hip_rocprim3tagENSA_11use_defaultESG_EEEEPS6_SJ_NS0_5tupleIJPxSJ_EEENSK_IJSJ_SJ_EEES6_PlJ7is_evenIxEEEE10hipError_tPvRmT3_T4_T5_T6_T7_T9_mT8_P12ihipStream_tbDpT10_ENKUlT_T0_E_clISt17integral_constantIbLb1EES19_IbLb0EEEEDaS15_S16_EUlS15_E_NS1_11comp_targetILNS1_3genE4ELNS1_11target_archE910ELNS1_3gpuE8ELNS1_3repE0EEENS1_30default_config_static_selectorELNS0_4arch9wavefront6targetE1EEEvT1_
                                        ; -- End function
	.section	.AMDGPU.csdata,"",@progbits
; Kernel info:
; codeLenInByte = 0
; NumSgprs: 6
; NumVgprs: 0
; NumAgprs: 0
; TotalNumVgprs: 0
; ScratchSize: 0
; MemoryBound: 0
; FloatMode: 240
; IeeeMode: 1
; LDSByteSize: 0 bytes/workgroup (compile time only)
; SGPRBlocks: 0
; VGPRBlocks: 0
; NumSGPRsForWavesPerEU: 6
; NumVGPRsForWavesPerEU: 1
; AccumOffset: 4
; Occupancy: 8
; WaveLimiterHint : 0
; COMPUTE_PGM_RSRC2:SCRATCH_EN: 0
; COMPUTE_PGM_RSRC2:USER_SGPR: 2
; COMPUTE_PGM_RSRC2:TRAP_HANDLER: 0
; COMPUTE_PGM_RSRC2:TGID_X_EN: 1
; COMPUTE_PGM_RSRC2:TGID_Y_EN: 0
; COMPUTE_PGM_RSRC2:TGID_Z_EN: 0
; COMPUTE_PGM_RSRC2:TIDIG_COMP_CNT: 0
; COMPUTE_PGM_RSRC3_GFX90A:ACCUM_OFFSET: 0
; COMPUTE_PGM_RSRC3_GFX90A:TG_SPLIT: 0
	.section	.text._ZN7rocprim17ROCPRIM_400000_NS6detail17trampoline_kernelINS0_14default_configENS1_25partition_config_selectorILNS1_17partition_subalgoE3ExNS0_10empty_typeEbEEZZNS1_14partition_implILS5_3ELb0ES3_jN6thrust23THRUST_200600_302600_NS6detail15normal_iteratorINSA_7pointerIxNSA_11hip_rocprim3tagENSA_11use_defaultESG_EEEEPS6_SJ_NS0_5tupleIJPxSJ_EEENSK_IJSJ_SJ_EEES6_PlJ7is_evenIxEEEE10hipError_tPvRmT3_T4_T5_T6_T7_T9_mT8_P12ihipStream_tbDpT10_ENKUlT_T0_E_clISt17integral_constantIbLb1EES19_IbLb0EEEEDaS15_S16_EUlS15_E_NS1_11comp_targetILNS1_3genE3ELNS1_11target_archE908ELNS1_3gpuE7ELNS1_3repE0EEENS1_30default_config_static_selectorELNS0_4arch9wavefront6targetE1EEEvT1_,"axG",@progbits,_ZN7rocprim17ROCPRIM_400000_NS6detail17trampoline_kernelINS0_14default_configENS1_25partition_config_selectorILNS1_17partition_subalgoE3ExNS0_10empty_typeEbEEZZNS1_14partition_implILS5_3ELb0ES3_jN6thrust23THRUST_200600_302600_NS6detail15normal_iteratorINSA_7pointerIxNSA_11hip_rocprim3tagENSA_11use_defaultESG_EEEEPS6_SJ_NS0_5tupleIJPxSJ_EEENSK_IJSJ_SJ_EEES6_PlJ7is_evenIxEEEE10hipError_tPvRmT3_T4_T5_T6_T7_T9_mT8_P12ihipStream_tbDpT10_ENKUlT_T0_E_clISt17integral_constantIbLb1EES19_IbLb0EEEEDaS15_S16_EUlS15_E_NS1_11comp_targetILNS1_3genE3ELNS1_11target_archE908ELNS1_3gpuE7ELNS1_3repE0EEENS1_30default_config_static_selectorELNS0_4arch9wavefront6targetE1EEEvT1_,comdat
	.protected	_ZN7rocprim17ROCPRIM_400000_NS6detail17trampoline_kernelINS0_14default_configENS1_25partition_config_selectorILNS1_17partition_subalgoE3ExNS0_10empty_typeEbEEZZNS1_14partition_implILS5_3ELb0ES3_jN6thrust23THRUST_200600_302600_NS6detail15normal_iteratorINSA_7pointerIxNSA_11hip_rocprim3tagENSA_11use_defaultESG_EEEEPS6_SJ_NS0_5tupleIJPxSJ_EEENSK_IJSJ_SJ_EEES6_PlJ7is_evenIxEEEE10hipError_tPvRmT3_T4_T5_T6_T7_T9_mT8_P12ihipStream_tbDpT10_ENKUlT_T0_E_clISt17integral_constantIbLb1EES19_IbLb0EEEEDaS15_S16_EUlS15_E_NS1_11comp_targetILNS1_3genE3ELNS1_11target_archE908ELNS1_3gpuE7ELNS1_3repE0EEENS1_30default_config_static_selectorELNS0_4arch9wavefront6targetE1EEEvT1_ ; -- Begin function _ZN7rocprim17ROCPRIM_400000_NS6detail17trampoline_kernelINS0_14default_configENS1_25partition_config_selectorILNS1_17partition_subalgoE3ExNS0_10empty_typeEbEEZZNS1_14partition_implILS5_3ELb0ES3_jN6thrust23THRUST_200600_302600_NS6detail15normal_iteratorINSA_7pointerIxNSA_11hip_rocprim3tagENSA_11use_defaultESG_EEEEPS6_SJ_NS0_5tupleIJPxSJ_EEENSK_IJSJ_SJ_EEES6_PlJ7is_evenIxEEEE10hipError_tPvRmT3_T4_T5_T6_T7_T9_mT8_P12ihipStream_tbDpT10_ENKUlT_T0_E_clISt17integral_constantIbLb1EES19_IbLb0EEEEDaS15_S16_EUlS15_E_NS1_11comp_targetILNS1_3genE3ELNS1_11target_archE908ELNS1_3gpuE7ELNS1_3repE0EEENS1_30default_config_static_selectorELNS0_4arch9wavefront6targetE1EEEvT1_
	.globl	_ZN7rocprim17ROCPRIM_400000_NS6detail17trampoline_kernelINS0_14default_configENS1_25partition_config_selectorILNS1_17partition_subalgoE3ExNS0_10empty_typeEbEEZZNS1_14partition_implILS5_3ELb0ES3_jN6thrust23THRUST_200600_302600_NS6detail15normal_iteratorINSA_7pointerIxNSA_11hip_rocprim3tagENSA_11use_defaultESG_EEEEPS6_SJ_NS0_5tupleIJPxSJ_EEENSK_IJSJ_SJ_EEES6_PlJ7is_evenIxEEEE10hipError_tPvRmT3_T4_T5_T6_T7_T9_mT8_P12ihipStream_tbDpT10_ENKUlT_T0_E_clISt17integral_constantIbLb1EES19_IbLb0EEEEDaS15_S16_EUlS15_E_NS1_11comp_targetILNS1_3genE3ELNS1_11target_archE908ELNS1_3gpuE7ELNS1_3repE0EEENS1_30default_config_static_selectorELNS0_4arch9wavefront6targetE1EEEvT1_
	.p2align	8
	.type	_ZN7rocprim17ROCPRIM_400000_NS6detail17trampoline_kernelINS0_14default_configENS1_25partition_config_selectorILNS1_17partition_subalgoE3ExNS0_10empty_typeEbEEZZNS1_14partition_implILS5_3ELb0ES3_jN6thrust23THRUST_200600_302600_NS6detail15normal_iteratorINSA_7pointerIxNSA_11hip_rocprim3tagENSA_11use_defaultESG_EEEEPS6_SJ_NS0_5tupleIJPxSJ_EEENSK_IJSJ_SJ_EEES6_PlJ7is_evenIxEEEE10hipError_tPvRmT3_T4_T5_T6_T7_T9_mT8_P12ihipStream_tbDpT10_ENKUlT_T0_E_clISt17integral_constantIbLb1EES19_IbLb0EEEEDaS15_S16_EUlS15_E_NS1_11comp_targetILNS1_3genE3ELNS1_11target_archE908ELNS1_3gpuE7ELNS1_3repE0EEENS1_30default_config_static_selectorELNS0_4arch9wavefront6targetE1EEEvT1_,@function
_ZN7rocprim17ROCPRIM_400000_NS6detail17trampoline_kernelINS0_14default_configENS1_25partition_config_selectorILNS1_17partition_subalgoE3ExNS0_10empty_typeEbEEZZNS1_14partition_implILS5_3ELb0ES3_jN6thrust23THRUST_200600_302600_NS6detail15normal_iteratorINSA_7pointerIxNSA_11hip_rocprim3tagENSA_11use_defaultESG_EEEEPS6_SJ_NS0_5tupleIJPxSJ_EEENSK_IJSJ_SJ_EEES6_PlJ7is_evenIxEEEE10hipError_tPvRmT3_T4_T5_T6_T7_T9_mT8_P12ihipStream_tbDpT10_ENKUlT_T0_E_clISt17integral_constantIbLb1EES19_IbLb0EEEEDaS15_S16_EUlS15_E_NS1_11comp_targetILNS1_3genE3ELNS1_11target_archE908ELNS1_3gpuE7ELNS1_3repE0EEENS1_30default_config_static_selectorELNS0_4arch9wavefront6targetE1EEEvT1_: ; @_ZN7rocprim17ROCPRIM_400000_NS6detail17trampoline_kernelINS0_14default_configENS1_25partition_config_selectorILNS1_17partition_subalgoE3ExNS0_10empty_typeEbEEZZNS1_14partition_implILS5_3ELb0ES3_jN6thrust23THRUST_200600_302600_NS6detail15normal_iteratorINSA_7pointerIxNSA_11hip_rocprim3tagENSA_11use_defaultESG_EEEEPS6_SJ_NS0_5tupleIJPxSJ_EEENSK_IJSJ_SJ_EEES6_PlJ7is_evenIxEEEE10hipError_tPvRmT3_T4_T5_T6_T7_T9_mT8_P12ihipStream_tbDpT10_ENKUlT_T0_E_clISt17integral_constantIbLb1EES19_IbLb0EEEEDaS15_S16_EUlS15_E_NS1_11comp_targetILNS1_3genE3ELNS1_11target_archE908ELNS1_3gpuE7ELNS1_3repE0EEENS1_30default_config_static_selectorELNS0_4arch9wavefront6targetE1EEEvT1_
; %bb.0:
	.section	.rodata,"a",@progbits
	.p2align	6, 0x0
	.amdhsa_kernel _ZN7rocprim17ROCPRIM_400000_NS6detail17trampoline_kernelINS0_14default_configENS1_25partition_config_selectorILNS1_17partition_subalgoE3ExNS0_10empty_typeEbEEZZNS1_14partition_implILS5_3ELb0ES3_jN6thrust23THRUST_200600_302600_NS6detail15normal_iteratorINSA_7pointerIxNSA_11hip_rocprim3tagENSA_11use_defaultESG_EEEEPS6_SJ_NS0_5tupleIJPxSJ_EEENSK_IJSJ_SJ_EEES6_PlJ7is_evenIxEEEE10hipError_tPvRmT3_T4_T5_T6_T7_T9_mT8_P12ihipStream_tbDpT10_ENKUlT_T0_E_clISt17integral_constantIbLb1EES19_IbLb0EEEEDaS15_S16_EUlS15_E_NS1_11comp_targetILNS1_3genE3ELNS1_11target_archE908ELNS1_3gpuE7ELNS1_3repE0EEENS1_30default_config_static_selectorELNS0_4arch9wavefront6targetE1EEEvT1_
		.amdhsa_group_segment_fixed_size 0
		.amdhsa_private_segment_fixed_size 0
		.amdhsa_kernarg_size 120
		.amdhsa_user_sgpr_count 2
		.amdhsa_user_sgpr_dispatch_ptr 0
		.amdhsa_user_sgpr_queue_ptr 0
		.amdhsa_user_sgpr_kernarg_segment_ptr 1
		.amdhsa_user_sgpr_dispatch_id 0
		.amdhsa_user_sgpr_kernarg_preload_length 0
		.amdhsa_user_sgpr_kernarg_preload_offset 0
		.amdhsa_user_sgpr_private_segment_size 0
		.amdhsa_uses_dynamic_stack 0
		.amdhsa_enable_private_segment 0
		.amdhsa_system_sgpr_workgroup_id_x 1
		.amdhsa_system_sgpr_workgroup_id_y 0
		.amdhsa_system_sgpr_workgroup_id_z 0
		.amdhsa_system_sgpr_workgroup_info 0
		.amdhsa_system_vgpr_workitem_id 0
		.amdhsa_next_free_vgpr 1
		.amdhsa_next_free_sgpr 0
		.amdhsa_accum_offset 4
		.amdhsa_reserve_vcc 0
		.amdhsa_float_round_mode_32 0
		.amdhsa_float_round_mode_16_64 0
		.amdhsa_float_denorm_mode_32 3
		.amdhsa_float_denorm_mode_16_64 3
		.amdhsa_dx10_clamp 1
		.amdhsa_ieee_mode 1
		.amdhsa_fp16_overflow 0
		.amdhsa_tg_split 0
		.amdhsa_exception_fp_ieee_invalid_op 0
		.amdhsa_exception_fp_denorm_src 0
		.amdhsa_exception_fp_ieee_div_zero 0
		.amdhsa_exception_fp_ieee_overflow 0
		.amdhsa_exception_fp_ieee_underflow 0
		.amdhsa_exception_fp_ieee_inexact 0
		.amdhsa_exception_int_div_zero 0
	.end_amdhsa_kernel
	.section	.text._ZN7rocprim17ROCPRIM_400000_NS6detail17trampoline_kernelINS0_14default_configENS1_25partition_config_selectorILNS1_17partition_subalgoE3ExNS0_10empty_typeEbEEZZNS1_14partition_implILS5_3ELb0ES3_jN6thrust23THRUST_200600_302600_NS6detail15normal_iteratorINSA_7pointerIxNSA_11hip_rocprim3tagENSA_11use_defaultESG_EEEEPS6_SJ_NS0_5tupleIJPxSJ_EEENSK_IJSJ_SJ_EEES6_PlJ7is_evenIxEEEE10hipError_tPvRmT3_T4_T5_T6_T7_T9_mT8_P12ihipStream_tbDpT10_ENKUlT_T0_E_clISt17integral_constantIbLb1EES19_IbLb0EEEEDaS15_S16_EUlS15_E_NS1_11comp_targetILNS1_3genE3ELNS1_11target_archE908ELNS1_3gpuE7ELNS1_3repE0EEENS1_30default_config_static_selectorELNS0_4arch9wavefront6targetE1EEEvT1_,"axG",@progbits,_ZN7rocprim17ROCPRIM_400000_NS6detail17trampoline_kernelINS0_14default_configENS1_25partition_config_selectorILNS1_17partition_subalgoE3ExNS0_10empty_typeEbEEZZNS1_14partition_implILS5_3ELb0ES3_jN6thrust23THRUST_200600_302600_NS6detail15normal_iteratorINSA_7pointerIxNSA_11hip_rocprim3tagENSA_11use_defaultESG_EEEEPS6_SJ_NS0_5tupleIJPxSJ_EEENSK_IJSJ_SJ_EEES6_PlJ7is_evenIxEEEE10hipError_tPvRmT3_T4_T5_T6_T7_T9_mT8_P12ihipStream_tbDpT10_ENKUlT_T0_E_clISt17integral_constantIbLb1EES19_IbLb0EEEEDaS15_S16_EUlS15_E_NS1_11comp_targetILNS1_3genE3ELNS1_11target_archE908ELNS1_3gpuE7ELNS1_3repE0EEENS1_30default_config_static_selectorELNS0_4arch9wavefront6targetE1EEEvT1_,comdat
.Lfunc_end34:
	.size	_ZN7rocprim17ROCPRIM_400000_NS6detail17trampoline_kernelINS0_14default_configENS1_25partition_config_selectorILNS1_17partition_subalgoE3ExNS0_10empty_typeEbEEZZNS1_14partition_implILS5_3ELb0ES3_jN6thrust23THRUST_200600_302600_NS6detail15normal_iteratorINSA_7pointerIxNSA_11hip_rocprim3tagENSA_11use_defaultESG_EEEEPS6_SJ_NS0_5tupleIJPxSJ_EEENSK_IJSJ_SJ_EEES6_PlJ7is_evenIxEEEE10hipError_tPvRmT3_T4_T5_T6_T7_T9_mT8_P12ihipStream_tbDpT10_ENKUlT_T0_E_clISt17integral_constantIbLb1EES19_IbLb0EEEEDaS15_S16_EUlS15_E_NS1_11comp_targetILNS1_3genE3ELNS1_11target_archE908ELNS1_3gpuE7ELNS1_3repE0EEENS1_30default_config_static_selectorELNS0_4arch9wavefront6targetE1EEEvT1_, .Lfunc_end34-_ZN7rocprim17ROCPRIM_400000_NS6detail17trampoline_kernelINS0_14default_configENS1_25partition_config_selectorILNS1_17partition_subalgoE3ExNS0_10empty_typeEbEEZZNS1_14partition_implILS5_3ELb0ES3_jN6thrust23THRUST_200600_302600_NS6detail15normal_iteratorINSA_7pointerIxNSA_11hip_rocprim3tagENSA_11use_defaultESG_EEEEPS6_SJ_NS0_5tupleIJPxSJ_EEENSK_IJSJ_SJ_EEES6_PlJ7is_evenIxEEEE10hipError_tPvRmT3_T4_T5_T6_T7_T9_mT8_P12ihipStream_tbDpT10_ENKUlT_T0_E_clISt17integral_constantIbLb1EES19_IbLb0EEEEDaS15_S16_EUlS15_E_NS1_11comp_targetILNS1_3genE3ELNS1_11target_archE908ELNS1_3gpuE7ELNS1_3repE0EEENS1_30default_config_static_selectorELNS0_4arch9wavefront6targetE1EEEvT1_
                                        ; -- End function
	.section	.AMDGPU.csdata,"",@progbits
; Kernel info:
; codeLenInByte = 0
; NumSgprs: 6
; NumVgprs: 0
; NumAgprs: 0
; TotalNumVgprs: 0
; ScratchSize: 0
; MemoryBound: 0
; FloatMode: 240
; IeeeMode: 1
; LDSByteSize: 0 bytes/workgroup (compile time only)
; SGPRBlocks: 0
; VGPRBlocks: 0
; NumSGPRsForWavesPerEU: 6
; NumVGPRsForWavesPerEU: 1
; AccumOffset: 4
; Occupancy: 8
; WaveLimiterHint : 0
; COMPUTE_PGM_RSRC2:SCRATCH_EN: 0
; COMPUTE_PGM_RSRC2:USER_SGPR: 2
; COMPUTE_PGM_RSRC2:TRAP_HANDLER: 0
; COMPUTE_PGM_RSRC2:TGID_X_EN: 1
; COMPUTE_PGM_RSRC2:TGID_Y_EN: 0
; COMPUTE_PGM_RSRC2:TGID_Z_EN: 0
; COMPUTE_PGM_RSRC2:TIDIG_COMP_CNT: 0
; COMPUTE_PGM_RSRC3_GFX90A:ACCUM_OFFSET: 0
; COMPUTE_PGM_RSRC3_GFX90A:TG_SPLIT: 0
	.section	.text._ZN7rocprim17ROCPRIM_400000_NS6detail17trampoline_kernelINS0_14default_configENS1_25partition_config_selectorILNS1_17partition_subalgoE3ExNS0_10empty_typeEbEEZZNS1_14partition_implILS5_3ELb0ES3_jN6thrust23THRUST_200600_302600_NS6detail15normal_iteratorINSA_7pointerIxNSA_11hip_rocprim3tagENSA_11use_defaultESG_EEEEPS6_SJ_NS0_5tupleIJPxSJ_EEENSK_IJSJ_SJ_EEES6_PlJ7is_evenIxEEEE10hipError_tPvRmT3_T4_T5_T6_T7_T9_mT8_P12ihipStream_tbDpT10_ENKUlT_T0_E_clISt17integral_constantIbLb1EES19_IbLb0EEEEDaS15_S16_EUlS15_E_NS1_11comp_targetILNS1_3genE2ELNS1_11target_archE906ELNS1_3gpuE6ELNS1_3repE0EEENS1_30default_config_static_selectorELNS0_4arch9wavefront6targetE1EEEvT1_,"axG",@progbits,_ZN7rocprim17ROCPRIM_400000_NS6detail17trampoline_kernelINS0_14default_configENS1_25partition_config_selectorILNS1_17partition_subalgoE3ExNS0_10empty_typeEbEEZZNS1_14partition_implILS5_3ELb0ES3_jN6thrust23THRUST_200600_302600_NS6detail15normal_iteratorINSA_7pointerIxNSA_11hip_rocprim3tagENSA_11use_defaultESG_EEEEPS6_SJ_NS0_5tupleIJPxSJ_EEENSK_IJSJ_SJ_EEES6_PlJ7is_evenIxEEEE10hipError_tPvRmT3_T4_T5_T6_T7_T9_mT8_P12ihipStream_tbDpT10_ENKUlT_T0_E_clISt17integral_constantIbLb1EES19_IbLb0EEEEDaS15_S16_EUlS15_E_NS1_11comp_targetILNS1_3genE2ELNS1_11target_archE906ELNS1_3gpuE6ELNS1_3repE0EEENS1_30default_config_static_selectorELNS0_4arch9wavefront6targetE1EEEvT1_,comdat
	.protected	_ZN7rocprim17ROCPRIM_400000_NS6detail17trampoline_kernelINS0_14default_configENS1_25partition_config_selectorILNS1_17partition_subalgoE3ExNS0_10empty_typeEbEEZZNS1_14partition_implILS5_3ELb0ES3_jN6thrust23THRUST_200600_302600_NS6detail15normal_iteratorINSA_7pointerIxNSA_11hip_rocprim3tagENSA_11use_defaultESG_EEEEPS6_SJ_NS0_5tupleIJPxSJ_EEENSK_IJSJ_SJ_EEES6_PlJ7is_evenIxEEEE10hipError_tPvRmT3_T4_T5_T6_T7_T9_mT8_P12ihipStream_tbDpT10_ENKUlT_T0_E_clISt17integral_constantIbLb1EES19_IbLb0EEEEDaS15_S16_EUlS15_E_NS1_11comp_targetILNS1_3genE2ELNS1_11target_archE906ELNS1_3gpuE6ELNS1_3repE0EEENS1_30default_config_static_selectorELNS0_4arch9wavefront6targetE1EEEvT1_ ; -- Begin function _ZN7rocprim17ROCPRIM_400000_NS6detail17trampoline_kernelINS0_14default_configENS1_25partition_config_selectorILNS1_17partition_subalgoE3ExNS0_10empty_typeEbEEZZNS1_14partition_implILS5_3ELb0ES3_jN6thrust23THRUST_200600_302600_NS6detail15normal_iteratorINSA_7pointerIxNSA_11hip_rocprim3tagENSA_11use_defaultESG_EEEEPS6_SJ_NS0_5tupleIJPxSJ_EEENSK_IJSJ_SJ_EEES6_PlJ7is_evenIxEEEE10hipError_tPvRmT3_T4_T5_T6_T7_T9_mT8_P12ihipStream_tbDpT10_ENKUlT_T0_E_clISt17integral_constantIbLb1EES19_IbLb0EEEEDaS15_S16_EUlS15_E_NS1_11comp_targetILNS1_3genE2ELNS1_11target_archE906ELNS1_3gpuE6ELNS1_3repE0EEENS1_30default_config_static_selectorELNS0_4arch9wavefront6targetE1EEEvT1_
	.globl	_ZN7rocprim17ROCPRIM_400000_NS6detail17trampoline_kernelINS0_14default_configENS1_25partition_config_selectorILNS1_17partition_subalgoE3ExNS0_10empty_typeEbEEZZNS1_14partition_implILS5_3ELb0ES3_jN6thrust23THRUST_200600_302600_NS6detail15normal_iteratorINSA_7pointerIxNSA_11hip_rocprim3tagENSA_11use_defaultESG_EEEEPS6_SJ_NS0_5tupleIJPxSJ_EEENSK_IJSJ_SJ_EEES6_PlJ7is_evenIxEEEE10hipError_tPvRmT3_T4_T5_T6_T7_T9_mT8_P12ihipStream_tbDpT10_ENKUlT_T0_E_clISt17integral_constantIbLb1EES19_IbLb0EEEEDaS15_S16_EUlS15_E_NS1_11comp_targetILNS1_3genE2ELNS1_11target_archE906ELNS1_3gpuE6ELNS1_3repE0EEENS1_30default_config_static_selectorELNS0_4arch9wavefront6targetE1EEEvT1_
	.p2align	8
	.type	_ZN7rocprim17ROCPRIM_400000_NS6detail17trampoline_kernelINS0_14default_configENS1_25partition_config_selectorILNS1_17partition_subalgoE3ExNS0_10empty_typeEbEEZZNS1_14partition_implILS5_3ELb0ES3_jN6thrust23THRUST_200600_302600_NS6detail15normal_iteratorINSA_7pointerIxNSA_11hip_rocprim3tagENSA_11use_defaultESG_EEEEPS6_SJ_NS0_5tupleIJPxSJ_EEENSK_IJSJ_SJ_EEES6_PlJ7is_evenIxEEEE10hipError_tPvRmT3_T4_T5_T6_T7_T9_mT8_P12ihipStream_tbDpT10_ENKUlT_T0_E_clISt17integral_constantIbLb1EES19_IbLb0EEEEDaS15_S16_EUlS15_E_NS1_11comp_targetILNS1_3genE2ELNS1_11target_archE906ELNS1_3gpuE6ELNS1_3repE0EEENS1_30default_config_static_selectorELNS0_4arch9wavefront6targetE1EEEvT1_,@function
_ZN7rocprim17ROCPRIM_400000_NS6detail17trampoline_kernelINS0_14default_configENS1_25partition_config_selectorILNS1_17partition_subalgoE3ExNS0_10empty_typeEbEEZZNS1_14partition_implILS5_3ELb0ES3_jN6thrust23THRUST_200600_302600_NS6detail15normal_iteratorINSA_7pointerIxNSA_11hip_rocprim3tagENSA_11use_defaultESG_EEEEPS6_SJ_NS0_5tupleIJPxSJ_EEENSK_IJSJ_SJ_EEES6_PlJ7is_evenIxEEEE10hipError_tPvRmT3_T4_T5_T6_T7_T9_mT8_P12ihipStream_tbDpT10_ENKUlT_T0_E_clISt17integral_constantIbLb1EES19_IbLb0EEEEDaS15_S16_EUlS15_E_NS1_11comp_targetILNS1_3genE2ELNS1_11target_archE906ELNS1_3gpuE6ELNS1_3repE0EEENS1_30default_config_static_selectorELNS0_4arch9wavefront6targetE1EEEvT1_: ; @_ZN7rocprim17ROCPRIM_400000_NS6detail17trampoline_kernelINS0_14default_configENS1_25partition_config_selectorILNS1_17partition_subalgoE3ExNS0_10empty_typeEbEEZZNS1_14partition_implILS5_3ELb0ES3_jN6thrust23THRUST_200600_302600_NS6detail15normal_iteratorINSA_7pointerIxNSA_11hip_rocprim3tagENSA_11use_defaultESG_EEEEPS6_SJ_NS0_5tupleIJPxSJ_EEENSK_IJSJ_SJ_EEES6_PlJ7is_evenIxEEEE10hipError_tPvRmT3_T4_T5_T6_T7_T9_mT8_P12ihipStream_tbDpT10_ENKUlT_T0_E_clISt17integral_constantIbLb1EES19_IbLb0EEEEDaS15_S16_EUlS15_E_NS1_11comp_targetILNS1_3genE2ELNS1_11target_archE906ELNS1_3gpuE6ELNS1_3repE0EEENS1_30default_config_static_selectorELNS0_4arch9wavefront6targetE1EEEvT1_
; %bb.0:
	.section	.rodata,"a",@progbits
	.p2align	6, 0x0
	.amdhsa_kernel _ZN7rocprim17ROCPRIM_400000_NS6detail17trampoline_kernelINS0_14default_configENS1_25partition_config_selectorILNS1_17partition_subalgoE3ExNS0_10empty_typeEbEEZZNS1_14partition_implILS5_3ELb0ES3_jN6thrust23THRUST_200600_302600_NS6detail15normal_iteratorINSA_7pointerIxNSA_11hip_rocprim3tagENSA_11use_defaultESG_EEEEPS6_SJ_NS0_5tupleIJPxSJ_EEENSK_IJSJ_SJ_EEES6_PlJ7is_evenIxEEEE10hipError_tPvRmT3_T4_T5_T6_T7_T9_mT8_P12ihipStream_tbDpT10_ENKUlT_T0_E_clISt17integral_constantIbLb1EES19_IbLb0EEEEDaS15_S16_EUlS15_E_NS1_11comp_targetILNS1_3genE2ELNS1_11target_archE906ELNS1_3gpuE6ELNS1_3repE0EEENS1_30default_config_static_selectorELNS0_4arch9wavefront6targetE1EEEvT1_
		.amdhsa_group_segment_fixed_size 0
		.amdhsa_private_segment_fixed_size 0
		.amdhsa_kernarg_size 120
		.amdhsa_user_sgpr_count 2
		.amdhsa_user_sgpr_dispatch_ptr 0
		.amdhsa_user_sgpr_queue_ptr 0
		.amdhsa_user_sgpr_kernarg_segment_ptr 1
		.amdhsa_user_sgpr_dispatch_id 0
		.amdhsa_user_sgpr_kernarg_preload_length 0
		.amdhsa_user_sgpr_kernarg_preload_offset 0
		.amdhsa_user_sgpr_private_segment_size 0
		.amdhsa_uses_dynamic_stack 0
		.amdhsa_enable_private_segment 0
		.amdhsa_system_sgpr_workgroup_id_x 1
		.amdhsa_system_sgpr_workgroup_id_y 0
		.amdhsa_system_sgpr_workgroup_id_z 0
		.amdhsa_system_sgpr_workgroup_info 0
		.amdhsa_system_vgpr_workitem_id 0
		.amdhsa_next_free_vgpr 1
		.amdhsa_next_free_sgpr 0
		.amdhsa_accum_offset 4
		.amdhsa_reserve_vcc 0
		.amdhsa_float_round_mode_32 0
		.amdhsa_float_round_mode_16_64 0
		.amdhsa_float_denorm_mode_32 3
		.amdhsa_float_denorm_mode_16_64 3
		.amdhsa_dx10_clamp 1
		.amdhsa_ieee_mode 1
		.amdhsa_fp16_overflow 0
		.amdhsa_tg_split 0
		.amdhsa_exception_fp_ieee_invalid_op 0
		.amdhsa_exception_fp_denorm_src 0
		.amdhsa_exception_fp_ieee_div_zero 0
		.amdhsa_exception_fp_ieee_overflow 0
		.amdhsa_exception_fp_ieee_underflow 0
		.amdhsa_exception_fp_ieee_inexact 0
		.amdhsa_exception_int_div_zero 0
	.end_amdhsa_kernel
	.section	.text._ZN7rocprim17ROCPRIM_400000_NS6detail17trampoline_kernelINS0_14default_configENS1_25partition_config_selectorILNS1_17partition_subalgoE3ExNS0_10empty_typeEbEEZZNS1_14partition_implILS5_3ELb0ES3_jN6thrust23THRUST_200600_302600_NS6detail15normal_iteratorINSA_7pointerIxNSA_11hip_rocprim3tagENSA_11use_defaultESG_EEEEPS6_SJ_NS0_5tupleIJPxSJ_EEENSK_IJSJ_SJ_EEES6_PlJ7is_evenIxEEEE10hipError_tPvRmT3_T4_T5_T6_T7_T9_mT8_P12ihipStream_tbDpT10_ENKUlT_T0_E_clISt17integral_constantIbLb1EES19_IbLb0EEEEDaS15_S16_EUlS15_E_NS1_11comp_targetILNS1_3genE2ELNS1_11target_archE906ELNS1_3gpuE6ELNS1_3repE0EEENS1_30default_config_static_selectorELNS0_4arch9wavefront6targetE1EEEvT1_,"axG",@progbits,_ZN7rocprim17ROCPRIM_400000_NS6detail17trampoline_kernelINS0_14default_configENS1_25partition_config_selectorILNS1_17partition_subalgoE3ExNS0_10empty_typeEbEEZZNS1_14partition_implILS5_3ELb0ES3_jN6thrust23THRUST_200600_302600_NS6detail15normal_iteratorINSA_7pointerIxNSA_11hip_rocprim3tagENSA_11use_defaultESG_EEEEPS6_SJ_NS0_5tupleIJPxSJ_EEENSK_IJSJ_SJ_EEES6_PlJ7is_evenIxEEEE10hipError_tPvRmT3_T4_T5_T6_T7_T9_mT8_P12ihipStream_tbDpT10_ENKUlT_T0_E_clISt17integral_constantIbLb1EES19_IbLb0EEEEDaS15_S16_EUlS15_E_NS1_11comp_targetILNS1_3genE2ELNS1_11target_archE906ELNS1_3gpuE6ELNS1_3repE0EEENS1_30default_config_static_selectorELNS0_4arch9wavefront6targetE1EEEvT1_,comdat
.Lfunc_end35:
	.size	_ZN7rocprim17ROCPRIM_400000_NS6detail17trampoline_kernelINS0_14default_configENS1_25partition_config_selectorILNS1_17partition_subalgoE3ExNS0_10empty_typeEbEEZZNS1_14partition_implILS5_3ELb0ES3_jN6thrust23THRUST_200600_302600_NS6detail15normal_iteratorINSA_7pointerIxNSA_11hip_rocprim3tagENSA_11use_defaultESG_EEEEPS6_SJ_NS0_5tupleIJPxSJ_EEENSK_IJSJ_SJ_EEES6_PlJ7is_evenIxEEEE10hipError_tPvRmT3_T4_T5_T6_T7_T9_mT8_P12ihipStream_tbDpT10_ENKUlT_T0_E_clISt17integral_constantIbLb1EES19_IbLb0EEEEDaS15_S16_EUlS15_E_NS1_11comp_targetILNS1_3genE2ELNS1_11target_archE906ELNS1_3gpuE6ELNS1_3repE0EEENS1_30default_config_static_selectorELNS0_4arch9wavefront6targetE1EEEvT1_, .Lfunc_end35-_ZN7rocprim17ROCPRIM_400000_NS6detail17trampoline_kernelINS0_14default_configENS1_25partition_config_selectorILNS1_17partition_subalgoE3ExNS0_10empty_typeEbEEZZNS1_14partition_implILS5_3ELb0ES3_jN6thrust23THRUST_200600_302600_NS6detail15normal_iteratorINSA_7pointerIxNSA_11hip_rocprim3tagENSA_11use_defaultESG_EEEEPS6_SJ_NS0_5tupleIJPxSJ_EEENSK_IJSJ_SJ_EEES6_PlJ7is_evenIxEEEE10hipError_tPvRmT3_T4_T5_T6_T7_T9_mT8_P12ihipStream_tbDpT10_ENKUlT_T0_E_clISt17integral_constantIbLb1EES19_IbLb0EEEEDaS15_S16_EUlS15_E_NS1_11comp_targetILNS1_3genE2ELNS1_11target_archE906ELNS1_3gpuE6ELNS1_3repE0EEENS1_30default_config_static_selectorELNS0_4arch9wavefront6targetE1EEEvT1_
                                        ; -- End function
	.section	.AMDGPU.csdata,"",@progbits
; Kernel info:
; codeLenInByte = 0
; NumSgprs: 6
; NumVgprs: 0
; NumAgprs: 0
; TotalNumVgprs: 0
; ScratchSize: 0
; MemoryBound: 0
; FloatMode: 240
; IeeeMode: 1
; LDSByteSize: 0 bytes/workgroup (compile time only)
; SGPRBlocks: 0
; VGPRBlocks: 0
; NumSGPRsForWavesPerEU: 6
; NumVGPRsForWavesPerEU: 1
; AccumOffset: 4
; Occupancy: 8
; WaveLimiterHint : 0
; COMPUTE_PGM_RSRC2:SCRATCH_EN: 0
; COMPUTE_PGM_RSRC2:USER_SGPR: 2
; COMPUTE_PGM_RSRC2:TRAP_HANDLER: 0
; COMPUTE_PGM_RSRC2:TGID_X_EN: 1
; COMPUTE_PGM_RSRC2:TGID_Y_EN: 0
; COMPUTE_PGM_RSRC2:TGID_Z_EN: 0
; COMPUTE_PGM_RSRC2:TIDIG_COMP_CNT: 0
; COMPUTE_PGM_RSRC3_GFX90A:ACCUM_OFFSET: 0
; COMPUTE_PGM_RSRC3_GFX90A:TG_SPLIT: 0
	.section	.text._ZN7rocprim17ROCPRIM_400000_NS6detail17trampoline_kernelINS0_14default_configENS1_25partition_config_selectorILNS1_17partition_subalgoE3ExNS0_10empty_typeEbEEZZNS1_14partition_implILS5_3ELb0ES3_jN6thrust23THRUST_200600_302600_NS6detail15normal_iteratorINSA_7pointerIxNSA_11hip_rocprim3tagENSA_11use_defaultESG_EEEEPS6_SJ_NS0_5tupleIJPxSJ_EEENSK_IJSJ_SJ_EEES6_PlJ7is_evenIxEEEE10hipError_tPvRmT3_T4_T5_T6_T7_T9_mT8_P12ihipStream_tbDpT10_ENKUlT_T0_E_clISt17integral_constantIbLb1EES19_IbLb0EEEEDaS15_S16_EUlS15_E_NS1_11comp_targetILNS1_3genE10ELNS1_11target_archE1200ELNS1_3gpuE4ELNS1_3repE0EEENS1_30default_config_static_selectorELNS0_4arch9wavefront6targetE1EEEvT1_,"axG",@progbits,_ZN7rocprim17ROCPRIM_400000_NS6detail17trampoline_kernelINS0_14default_configENS1_25partition_config_selectorILNS1_17partition_subalgoE3ExNS0_10empty_typeEbEEZZNS1_14partition_implILS5_3ELb0ES3_jN6thrust23THRUST_200600_302600_NS6detail15normal_iteratorINSA_7pointerIxNSA_11hip_rocprim3tagENSA_11use_defaultESG_EEEEPS6_SJ_NS0_5tupleIJPxSJ_EEENSK_IJSJ_SJ_EEES6_PlJ7is_evenIxEEEE10hipError_tPvRmT3_T4_T5_T6_T7_T9_mT8_P12ihipStream_tbDpT10_ENKUlT_T0_E_clISt17integral_constantIbLb1EES19_IbLb0EEEEDaS15_S16_EUlS15_E_NS1_11comp_targetILNS1_3genE10ELNS1_11target_archE1200ELNS1_3gpuE4ELNS1_3repE0EEENS1_30default_config_static_selectorELNS0_4arch9wavefront6targetE1EEEvT1_,comdat
	.protected	_ZN7rocprim17ROCPRIM_400000_NS6detail17trampoline_kernelINS0_14default_configENS1_25partition_config_selectorILNS1_17partition_subalgoE3ExNS0_10empty_typeEbEEZZNS1_14partition_implILS5_3ELb0ES3_jN6thrust23THRUST_200600_302600_NS6detail15normal_iteratorINSA_7pointerIxNSA_11hip_rocprim3tagENSA_11use_defaultESG_EEEEPS6_SJ_NS0_5tupleIJPxSJ_EEENSK_IJSJ_SJ_EEES6_PlJ7is_evenIxEEEE10hipError_tPvRmT3_T4_T5_T6_T7_T9_mT8_P12ihipStream_tbDpT10_ENKUlT_T0_E_clISt17integral_constantIbLb1EES19_IbLb0EEEEDaS15_S16_EUlS15_E_NS1_11comp_targetILNS1_3genE10ELNS1_11target_archE1200ELNS1_3gpuE4ELNS1_3repE0EEENS1_30default_config_static_selectorELNS0_4arch9wavefront6targetE1EEEvT1_ ; -- Begin function _ZN7rocprim17ROCPRIM_400000_NS6detail17trampoline_kernelINS0_14default_configENS1_25partition_config_selectorILNS1_17partition_subalgoE3ExNS0_10empty_typeEbEEZZNS1_14partition_implILS5_3ELb0ES3_jN6thrust23THRUST_200600_302600_NS6detail15normal_iteratorINSA_7pointerIxNSA_11hip_rocprim3tagENSA_11use_defaultESG_EEEEPS6_SJ_NS0_5tupleIJPxSJ_EEENSK_IJSJ_SJ_EEES6_PlJ7is_evenIxEEEE10hipError_tPvRmT3_T4_T5_T6_T7_T9_mT8_P12ihipStream_tbDpT10_ENKUlT_T0_E_clISt17integral_constantIbLb1EES19_IbLb0EEEEDaS15_S16_EUlS15_E_NS1_11comp_targetILNS1_3genE10ELNS1_11target_archE1200ELNS1_3gpuE4ELNS1_3repE0EEENS1_30default_config_static_selectorELNS0_4arch9wavefront6targetE1EEEvT1_
	.globl	_ZN7rocprim17ROCPRIM_400000_NS6detail17trampoline_kernelINS0_14default_configENS1_25partition_config_selectorILNS1_17partition_subalgoE3ExNS0_10empty_typeEbEEZZNS1_14partition_implILS5_3ELb0ES3_jN6thrust23THRUST_200600_302600_NS6detail15normal_iteratorINSA_7pointerIxNSA_11hip_rocprim3tagENSA_11use_defaultESG_EEEEPS6_SJ_NS0_5tupleIJPxSJ_EEENSK_IJSJ_SJ_EEES6_PlJ7is_evenIxEEEE10hipError_tPvRmT3_T4_T5_T6_T7_T9_mT8_P12ihipStream_tbDpT10_ENKUlT_T0_E_clISt17integral_constantIbLb1EES19_IbLb0EEEEDaS15_S16_EUlS15_E_NS1_11comp_targetILNS1_3genE10ELNS1_11target_archE1200ELNS1_3gpuE4ELNS1_3repE0EEENS1_30default_config_static_selectorELNS0_4arch9wavefront6targetE1EEEvT1_
	.p2align	8
	.type	_ZN7rocprim17ROCPRIM_400000_NS6detail17trampoline_kernelINS0_14default_configENS1_25partition_config_selectorILNS1_17partition_subalgoE3ExNS0_10empty_typeEbEEZZNS1_14partition_implILS5_3ELb0ES3_jN6thrust23THRUST_200600_302600_NS6detail15normal_iteratorINSA_7pointerIxNSA_11hip_rocprim3tagENSA_11use_defaultESG_EEEEPS6_SJ_NS0_5tupleIJPxSJ_EEENSK_IJSJ_SJ_EEES6_PlJ7is_evenIxEEEE10hipError_tPvRmT3_T4_T5_T6_T7_T9_mT8_P12ihipStream_tbDpT10_ENKUlT_T0_E_clISt17integral_constantIbLb1EES19_IbLb0EEEEDaS15_S16_EUlS15_E_NS1_11comp_targetILNS1_3genE10ELNS1_11target_archE1200ELNS1_3gpuE4ELNS1_3repE0EEENS1_30default_config_static_selectorELNS0_4arch9wavefront6targetE1EEEvT1_,@function
_ZN7rocprim17ROCPRIM_400000_NS6detail17trampoline_kernelINS0_14default_configENS1_25partition_config_selectorILNS1_17partition_subalgoE3ExNS0_10empty_typeEbEEZZNS1_14partition_implILS5_3ELb0ES3_jN6thrust23THRUST_200600_302600_NS6detail15normal_iteratorINSA_7pointerIxNSA_11hip_rocprim3tagENSA_11use_defaultESG_EEEEPS6_SJ_NS0_5tupleIJPxSJ_EEENSK_IJSJ_SJ_EEES6_PlJ7is_evenIxEEEE10hipError_tPvRmT3_T4_T5_T6_T7_T9_mT8_P12ihipStream_tbDpT10_ENKUlT_T0_E_clISt17integral_constantIbLb1EES19_IbLb0EEEEDaS15_S16_EUlS15_E_NS1_11comp_targetILNS1_3genE10ELNS1_11target_archE1200ELNS1_3gpuE4ELNS1_3repE0EEENS1_30default_config_static_selectorELNS0_4arch9wavefront6targetE1EEEvT1_: ; @_ZN7rocprim17ROCPRIM_400000_NS6detail17trampoline_kernelINS0_14default_configENS1_25partition_config_selectorILNS1_17partition_subalgoE3ExNS0_10empty_typeEbEEZZNS1_14partition_implILS5_3ELb0ES3_jN6thrust23THRUST_200600_302600_NS6detail15normal_iteratorINSA_7pointerIxNSA_11hip_rocprim3tagENSA_11use_defaultESG_EEEEPS6_SJ_NS0_5tupleIJPxSJ_EEENSK_IJSJ_SJ_EEES6_PlJ7is_evenIxEEEE10hipError_tPvRmT3_T4_T5_T6_T7_T9_mT8_P12ihipStream_tbDpT10_ENKUlT_T0_E_clISt17integral_constantIbLb1EES19_IbLb0EEEEDaS15_S16_EUlS15_E_NS1_11comp_targetILNS1_3genE10ELNS1_11target_archE1200ELNS1_3gpuE4ELNS1_3repE0EEENS1_30default_config_static_selectorELNS0_4arch9wavefront6targetE1EEEvT1_
; %bb.0:
	.section	.rodata,"a",@progbits
	.p2align	6, 0x0
	.amdhsa_kernel _ZN7rocprim17ROCPRIM_400000_NS6detail17trampoline_kernelINS0_14default_configENS1_25partition_config_selectorILNS1_17partition_subalgoE3ExNS0_10empty_typeEbEEZZNS1_14partition_implILS5_3ELb0ES3_jN6thrust23THRUST_200600_302600_NS6detail15normal_iteratorINSA_7pointerIxNSA_11hip_rocprim3tagENSA_11use_defaultESG_EEEEPS6_SJ_NS0_5tupleIJPxSJ_EEENSK_IJSJ_SJ_EEES6_PlJ7is_evenIxEEEE10hipError_tPvRmT3_T4_T5_T6_T7_T9_mT8_P12ihipStream_tbDpT10_ENKUlT_T0_E_clISt17integral_constantIbLb1EES19_IbLb0EEEEDaS15_S16_EUlS15_E_NS1_11comp_targetILNS1_3genE10ELNS1_11target_archE1200ELNS1_3gpuE4ELNS1_3repE0EEENS1_30default_config_static_selectorELNS0_4arch9wavefront6targetE1EEEvT1_
		.amdhsa_group_segment_fixed_size 0
		.amdhsa_private_segment_fixed_size 0
		.amdhsa_kernarg_size 120
		.amdhsa_user_sgpr_count 2
		.amdhsa_user_sgpr_dispatch_ptr 0
		.amdhsa_user_sgpr_queue_ptr 0
		.amdhsa_user_sgpr_kernarg_segment_ptr 1
		.amdhsa_user_sgpr_dispatch_id 0
		.amdhsa_user_sgpr_kernarg_preload_length 0
		.amdhsa_user_sgpr_kernarg_preload_offset 0
		.amdhsa_user_sgpr_private_segment_size 0
		.amdhsa_uses_dynamic_stack 0
		.amdhsa_enable_private_segment 0
		.amdhsa_system_sgpr_workgroup_id_x 1
		.amdhsa_system_sgpr_workgroup_id_y 0
		.amdhsa_system_sgpr_workgroup_id_z 0
		.amdhsa_system_sgpr_workgroup_info 0
		.amdhsa_system_vgpr_workitem_id 0
		.amdhsa_next_free_vgpr 1
		.amdhsa_next_free_sgpr 0
		.amdhsa_accum_offset 4
		.amdhsa_reserve_vcc 0
		.amdhsa_float_round_mode_32 0
		.amdhsa_float_round_mode_16_64 0
		.amdhsa_float_denorm_mode_32 3
		.amdhsa_float_denorm_mode_16_64 3
		.amdhsa_dx10_clamp 1
		.amdhsa_ieee_mode 1
		.amdhsa_fp16_overflow 0
		.amdhsa_tg_split 0
		.amdhsa_exception_fp_ieee_invalid_op 0
		.amdhsa_exception_fp_denorm_src 0
		.amdhsa_exception_fp_ieee_div_zero 0
		.amdhsa_exception_fp_ieee_overflow 0
		.amdhsa_exception_fp_ieee_underflow 0
		.amdhsa_exception_fp_ieee_inexact 0
		.amdhsa_exception_int_div_zero 0
	.end_amdhsa_kernel
	.section	.text._ZN7rocprim17ROCPRIM_400000_NS6detail17trampoline_kernelINS0_14default_configENS1_25partition_config_selectorILNS1_17partition_subalgoE3ExNS0_10empty_typeEbEEZZNS1_14partition_implILS5_3ELb0ES3_jN6thrust23THRUST_200600_302600_NS6detail15normal_iteratorINSA_7pointerIxNSA_11hip_rocprim3tagENSA_11use_defaultESG_EEEEPS6_SJ_NS0_5tupleIJPxSJ_EEENSK_IJSJ_SJ_EEES6_PlJ7is_evenIxEEEE10hipError_tPvRmT3_T4_T5_T6_T7_T9_mT8_P12ihipStream_tbDpT10_ENKUlT_T0_E_clISt17integral_constantIbLb1EES19_IbLb0EEEEDaS15_S16_EUlS15_E_NS1_11comp_targetILNS1_3genE10ELNS1_11target_archE1200ELNS1_3gpuE4ELNS1_3repE0EEENS1_30default_config_static_selectorELNS0_4arch9wavefront6targetE1EEEvT1_,"axG",@progbits,_ZN7rocprim17ROCPRIM_400000_NS6detail17trampoline_kernelINS0_14default_configENS1_25partition_config_selectorILNS1_17partition_subalgoE3ExNS0_10empty_typeEbEEZZNS1_14partition_implILS5_3ELb0ES3_jN6thrust23THRUST_200600_302600_NS6detail15normal_iteratorINSA_7pointerIxNSA_11hip_rocprim3tagENSA_11use_defaultESG_EEEEPS6_SJ_NS0_5tupleIJPxSJ_EEENSK_IJSJ_SJ_EEES6_PlJ7is_evenIxEEEE10hipError_tPvRmT3_T4_T5_T6_T7_T9_mT8_P12ihipStream_tbDpT10_ENKUlT_T0_E_clISt17integral_constantIbLb1EES19_IbLb0EEEEDaS15_S16_EUlS15_E_NS1_11comp_targetILNS1_3genE10ELNS1_11target_archE1200ELNS1_3gpuE4ELNS1_3repE0EEENS1_30default_config_static_selectorELNS0_4arch9wavefront6targetE1EEEvT1_,comdat
.Lfunc_end36:
	.size	_ZN7rocprim17ROCPRIM_400000_NS6detail17trampoline_kernelINS0_14default_configENS1_25partition_config_selectorILNS1_17partition_subalgoE3ExNS0_10empty_typeEbEEZZNS1_14partition_implILS5_3ELb0ES3_jN6thrust23THRUST_200600_302600_NS6detail15normal_iteratorINSA_7pointerIxNSA_11hip_rocprim3tagENSA_11use_defaultESG_EEEEPS6_SJ_NS0_5tupleIJPxSJ_EEENSK_IJSJ_SJ_EEES6_PlJ7is_evenIxEEEE10hipError_tPvRmT3_T4_T5_T6_T7_T9_mT8_P12ihipStream_tbDpT10_ENKUlT_T0_E_clISt17integral_constantIbLb1EES19_IbLb0EEEEDaS15_S16_EUlS15_E_NS1_11comp_targetILNS1_3genE10ELNS1_11target_archE1200ELNS1_3gpuE4ELNS1_3repE0EEENS1_30default_config_static_selectorELNS0_4arch9wavefront6targetE1EEEvT1_, .Lfunc_end36-_ZN7rocprim17ROCPRIM_400000_NS6detail17trampoline_kernelINS0_14default_configENS1_25partition_config_selectorILNS1_17partition_subalgoE3ExNS0_10empty_typeEbEEZZNS1_14partition_implILS5_3ELb0ES3_jN6thrust23THRUST_200600_302600_NS6detail15normal_iteratorINSA_7pointerIxNSA_11hip_rocprim3tagENSA_11use_defaultESG_EEEEPS6_SJ_NS0_5tupleIJPxSJ_EEENSK_IJSJ_SJ_EEES6_PlJ7is_evenIxEEEE10hipError_tPvRmT3_T4_T5_T6_T7_T9_mT8_P12ihipStream_tbDpT10_ENKUlT_T0_E_clISt17integral_constantIbLb1EES19_IbLb0EEEEDaS15_S16_EUlS15_E_NS1_11comp_targetILNS1_3genE10ELNS1_11target_archE1200ELNS1_3gpuE4ELNS1_3repE0EEENS1_30default_config_static_selectorELNS0_4arch9wavefront6targetE1EEEvT1_
                                        ; -- End function
	.section	.AMDGPU.csdata,"",@progbits
; Kernel info:
; codeLenInByte = 0
; NumSgprs: 6
; NumVgprs: 0
; NumAgprs: 0
; TotalNumVgprs: 0
; ScratchSize: 0
; MemoryBound: 0
; FloatMode: 240
; IeeeMode: 1
; LDSByteSize: 0 bytes/workgroup (compile time only)
; SGPRBlocks: 0
; VGPRBlocks: 0
; NumSGPRsForWavesPerEU: 6
; NumVGPRsForWavesPerEU: 1
; AccumOffset: 4
; Occupancy: 8
; WaveLimiterHint : 0
; COMPUTE_PGM_RSRC2:SCRATCH_EN: 0
; COMPUTE_PGM_RSRC2:USER_SGPR: 2
; COMPUTE_PGM_RSRC2:TRAP_HANDLER: 0
; COMPUTE_PGM_RSRC2:TGID_X_EN: 1
; COMPUTE_PGM_RSRC2:TGID_Y_EN: 0
; COMPUTE_PGM_RSRC2:TGID_Z_EN: 0
; COMPUTE_PGM_RSRC2:TIDIG_COMP_CNT: 0
; COMPUTE_PGM_RSRC3_GFX90A:ACCUM_OFFSET: 0
; COMPUTE_PGM_RSRC3_GFX90A:TG_SPLIT: 0
	.section	.text._ZN7rocprim17ROCPRIM_400000_NS6detail17trampoline_kernelINS0_14default_configENS1_25partition_config_selectorILNS1_17partition_subalgoE3ExNS0_10empty_typeEbEEZZNS1_14partition_implILS5_3ELb0ES3_jN6thrust23THRUST_200600_302600_NS6detail15normal_iteratorINSA_7pointerIxNSA_11hip_rocprim3tagENSA_11use_defaultESG_EEEEPS6_SJ_NS0_5tupleIJPxSJ_EEENSK_IJSJ_SJ_EEES6_PlJ7is_evenIxEEEE10hipError_tPvRmT3_T4_T5_T6_T7_T9_mT8_P12ihipStream_tbDpT10_ENKUlT_T0_E_clISt17integral_constantIbLb1EES19_IbLb0EEEEDaS15_S16_EUlS15_E_NS1_11comp_targetILNS1_3genE9ELNS1_11target_archE1100ELNS1_3gpuE3ELNS1_3repE0EEENS1_30default_config_static_selectorELNS0_4arch9wavefront6targetE1EEEvT1_,"axG",@progbits,_ZN7rocprim17ROCPRIM_400000_NS6detail17trampoline_kernelINS0_14default_configENS1_25partition_config_selectorILNS1_17partition_subalgoE3ExNS0_10empty_typeEbEEZZNS1_14partition_implILS5_3ELb0ES3_jN6thrust23THRUST_200600_302600_NS6detail15normal_iteratorINSA_7pointerIxNSA_11hip_rocprim3tagENSA_11use_defaultESG_EEEEPS6_SJ_NS0_5tupleIJPxSJ_EEENSK_IJSJ_SJ_EEES6_PlJ7is_evenIxEEEE10hipError_tPvRmT3_T4_T5_T6_T7_T9_mT8_P12ihipStream_tbDpT10_ENKUlT_T0_E_clISt17integral_constantIbLb1EES19_IbLb0EEEEDaS15_S16_EUlS15_E_NS1_11comp_targetILNS1_3genE9ELNS1_11target_archE1100ELNS1_3gpuE3ELNS1_3repE0EEENS1_30default_config_static_selectorELNS0_4arch9wavefront6targetE1EEEvT1_,comdat
	.protected	_ZN7rocprim17ROCPRIM_400000_NS6detail17trampoline_kernelINS0_14default_configENS1_25partition_config_selectorILNS1_17partition_subalgoE3ExNS0_10empty_typeEbEEZZNS1_14partition_implILS5_3ELb0ES3_jN6thrust23THRUST_200600_302600_NS6detail15normal_iteratorINSA_7pointerIxNSA_11hip_rocprim3tagENSA_11use_defaultESG_EEEEPS6_SJ_NS0_5tupleIJPxSJ_EEENSK_IJSJ_SJ_EEES6_PlJ7is_evenIxEEEE10hipError_tPvRmT3_T4_T5_T6_T7_T9_mT8_P12ihipStream_tbDpT10_ENKUlT_T0_E_clISt17integral_constantIbLb1EES19_IbLb0EEEEDaS15_S16_EUlS15_E_NS1_11comp_targetILNS1_3genE9ELNS1_11target_archE1100ELNS1_3gpuE3ELNS1_3repE0EEENS1_30default_config_static_selectorELNS0_4arch9wavefront6targetE1EEEvT1_ ; -- Begin function _ZN7rocprim17ROCPRIM_400000_NS6detail17trampoline_kernelINS0_14default_configENS1_25partition_config_selectorILNS1_17partition_subalgoE3ExNS0_10empty_typeEbEEZZNS1_14partition_implILS5_3ELb0ES3_jN6thrust23THRUST_200600_302600_NS6detail15normal_iteratorINSA_7pointerIxNSA_11hip_rocprim3tagENSA_11use_defaultESG_EEEEPS6_SJ_NS0_5tupleIJPxSJ_EEENSK_IJSJ_SJ_EEES6_PlJ7is_evenIxEEEE10hipError_tPvRmT3_T4_T5_T6_T7_T9_mT8_P12ihipStream_tbDpT10_ENKUlT_T0_E_clISt17integral_constantIbLb1EES19_IbLb0EEEEDaS15_S16_EUlS15_E_NS1_11comp_targetILNS1_3genE9ELNS1_11target_archE1100ELNS1_3gpuE3ELNS1_3repE0EEENS1_30default_config_static_selectorELNS0_4arch9wavefront6targetE1EEEvT1_
	.globl	_ZN7rocprim17ROCPRIM_400000_NS6detail17trampoline_kernelINS0_14default_configENS1_25partition_config_selectorILNS1_17partition_subalgoE3ExNS0_10empty_typeEbEEZZNS1_14partition_implILS5_3ELb0ES3_jN6thrust23THRUST_200600_302600_NS6detail15normal_iteratorINSA_7pointerIxNSA_11hip_rocprim3tagENSA_11use_defaultESG_EEEEPS6_SJ_NS0_5tupleIJPxSJ_EEENSK_IJSJ_SJ_EEES6_PlJ7is_evenIxEEEE10hipError_tPvRmT3_T4_T5_T6_T7_T9_mT8_P12ihipStream_tbDpT10_ENKUlT_T0_E_clISt17integral_constantIbLb1EES19_IbLb0EEEEDaS15_S16_EUlS15_E_NS1_11comp_targetILNS1_3genE9ELNS1_11target_archE1100ELNS1_3gpuE3ELNS1_3repE0EEENS1_30default_config_static_selectorELNS0_4arch9wavefront6targetE1EEEvT1_
	.p2align	8
	.type	_ZN7rocprim17ROCPRIM_400000_NS6detail17trampoline_kernelINS0_14default_configENS1_25partition_config_selectorILNS1_17partition_subalgoE3ExNS0_10empty_typeEbEEZZNS1_14partition_implILS5_3ELb0ES3_jN6thrust23THRUST_200600_302600_NS6detail15normal_iteratorINSA_7pointerIxNSA_11hip_rocprim3tagENSA_11use_defaultESG_EEEEPS6_SJ_NS0_5tupleIJPxSJ_EEENSK_IJSJ_SJ_EEES6_PlJ7is_evenIxEEEE10hipError_tPvRmT3_T4_T5_T6_T7_T9_mT8_P12ihipStream_tbDpT10_ENKUlT_T0_E_clISt17integral_constantIbLb1EES19_IbLb0EEEEDaS15_S16_EUlS15_E_NS1_11comp_targetILNS1_3genE9ELNS1_11target_archE1100ELNS1_3gpuE3ELNS1_3repE0EEENS1_30default_config_static_selectorELNS0_4arch9wavefront6targetE1EEEvT1_,@function
_ZN7rocprim17ROCPRIM_400000_NS6detail17trampoline_kernelINS0_14default_configENS1_25partition_config_selectorILNS1_17partition_subalgoE3ExNS0_10empty_typeEbEEZZNS1_14partition_implILS5_3ELb0ES3_jN6thrust23THRUST_200600_302600_NS6detail15normal_iteratorINSA_7pointerIxNSA_11hip_rocprim3tagENSA_11use_defaultESG_EEEEPS6_SJ_NS0_5tupleIJPxSJ_EEENSK_IJSJ_SJ_EEES6_PlJ7is_evenIxEEEE10hipError_tPvRmT3_T4_T5_T6_T7_T9_mT8_P12ihipStream_tbDpT10_ENKUlT_T0_E_clISt17integral_constantIbLb1EES19_IbLb0EEEEDaS15_S16_EUlS15_E_NS1_11comp_targetILNS1_3genE9ELNS1_11target_archE1100ELNS1_3gpuE3ELNS1_3repE0EEENS1_30default_config_static_selectorELNS0_4arch9wavefront6targetE1EEEvT1_: ; @_ZN7rocprim17ROCPRIM_400000_NS6detail17trampoline_kernelINS0_14default_configENS1_25partition_config_selectorILNS1_17partition_subalgoE3ExNS0_10empty_typeEbEEZZNS1_14partition_implILS5_3ELb0ES3_jN6thrust23THRUST_200600_302600_NS6detail15normal_iteratorINSA_7pointerIxNSA_11hip_rocprim3tagENSA_11use_defaultESG_EEEEPS6_SJ_NS0_5tupleIJPxSJ_EEENSK_IJSJ_SJ_EEES6_PlJ7is_evenIxEEEE10hipError_tPvRmT3_T4_T5_T6_T7_T9_mT8_P12ihipStream_tbDpT10_ENKUlT_T0_E_clISt17integral_constantIbLb1EES19_IbLb0EEEEDaS15_S16_EUlS15_E_NS1_11comp_targetILNS1_3genE9ELNS1_11target_archE1100ELNS1_3gpuE3ELNS1_3repE0EEENS1_30default_config_static_selectorELNS0_4arch9wavefront6targetE1EEEvT1_
; %bb.0:
	.section	.rodata,"a",@progbits
	.p2align	6, 0x0
	.amdhsa_kernel _ZN7rocprim17ROCPRIM_400000_NS6detail17trampoline_kernelINS0_14default_configENS1_25partition_config_selectorILNS1_17partition_subalgoE3ExNS0_10empty_typeEbEEZZNS1_14partition_implILS5_3ELb0ES3_jN6thrust23THRUST_200600_302600_NS6detail15normal_iteratorINSA_7pointerIxNSA_11hip_rocprim3tagENSA_11use_defaultESG_EEEEPS6_SJ_NS0_5tupleIJPxSJ_EEENSK_IJSJ_SJ_EEES6_PlJ7is_evenIxEEEE10hipError_tPvRmT3_T4_T5_T6_T7_T9_mT8_P12ihipStream_tbDpT10_ENKUlT_T0_E_clISt17integral_constantIbLb1EES19_IbLb0EEEEDaS15_S16_EUlS15_E_NS1_11comp_targetILNS1_3genE9ELNS1_11target_archE1100ELNS1_3gpuE3ELNS1_3repE0EEENS1_30default_config_static_selectorELNS0_4arch9wavefront6targetE1EEEvT1_
		.amdhsa_group_segment_fixed_size 0
		.amdhsa_private_segment_fixed_size 0
		.amdhsa_kernarg_size 120
		.amdhsa_user_sgpr_count 2
		.amdhsa_user_sgpr_dispatch_ptr 0
		.amdhsa_user_sgpr_queue_ptr 0
		.amdhsa_user_sgpr_kernarg_segment_ptr 1
		.amdhsa_user_sgpr_dispatch_id 0
		.amdhsa_user_sgpr_kernarg_preload_length 0
		.amdhsa_user_sgpr_kernarg_preload_offset 0
		.amdhsa_user_sgpr_private_segment_size 0
		.amdhsa_uses_dynamic_stack 0
		.amdhsa_enable_private_segment 0
		.amdhsa_system_sgpr_workgroup_id_x 1
		.amdhsa_system_sgpr_workgroup_id_y 0
		.amdhsa_system_sgpr_workgroup_id_z 0
		.amdhsa_system_sgpr_workgroup_info 0
		.amdhsa_system_vgpr_workitem_id 0
		.amdhsa_next_free_vgpr 1
		.amdhsa_next_free_sgpr 0
		.amdhsa_accum_offset 4
		.amdhsa_reserve_vcc 0
		.amdhsa_float_round_mode_32 0
		.amdhsa_float_round_mode_16_64 0
		.amdhsa_float_denorm_mode_32 3
		.amdhsa_float_denorm_mode_16_64 3
		.amdhsa_dx10_clamp 1
		.amdhsa_ieee_mode 1
		.amdhsa_fp16_overflow 0
		.amdhsa_tg_split 0
		.amdhsa_exception_fp_ieee_invalid_op 0
		.amdhsa_exception_fp_denorm_src 0
		.amdhsa_exception_fp_ieee_div_zero 0
		.amdhsa_exception_fp_ieee_overflow 0
		.amdhsa_exception_fp_ieee_underflow 0
		.amdhsa_exception_fp_ieee_inexact 0
		.amdhsa_exception_int_div_zero 0
	.end_amdhsa_kernel
	.section	.text._ZN7rocprim17ROCPRIM_400000_NS6detail17trampoline_kernelINS0_14default_configENS1_25partition_config_selectorILNS1_17partition_subalgoE3ExNS0_10empty_typeEbEEZZNS1_14partition_implILS5_3ELb0ES3_jN6thrust23THRUST_200600_302600_NS6detail15normal_iteratorINSA_7pointerIxNSA_11hip_rocprim3tagENSA_11use_defaultESG_EEEEPS6_SJ_NS0_5tupleIJPxSJ_EEENSK_IJSJ_SJ_EEES6_PlJ7is_evenIxEEEE10hipError_tPvRmT3_T4_T5_T6_T7_T9_mT8_P12ihipStream_tbDpT10_ENKUlT_T0_E_clISt17integral_constantIbLb1EES19_IbLb0EEEEDaS15_S16_EUlS15_E_NS1_11comp_targetILNS1_3genE9ELNS1_11target_archE1100ELNS1_3gpuE3ELNS1_3repE0EEENS1_30default_config_static_selectorELNS0_4arch9wavefront6targetE1EEEvT1_,"axG",@progbits,_ZN7rocprim17ROCPRIM_400000_NS6detail17trampoline_kernelINS0_14default_configENS1_25partition_config_selectorILNS1_17partition_subalgoE3ExNS0_10empty_typeEbEEZZNS1_14partition_implILS5_3ELb0ES3_jN6thrust23THRUST_200600_302600_NS6detail15normal_iteratorINSA_7pointerIxNSA_11hip_rocprim3tagENSA_11use_defaultESG_EEEEPS6_SJ_NS0_5tupleIJPxSJ_EEENSK_IJSJ_SJ_EEES6_PlJ7is_evenIxEEEE10hipError_tPvRmT3_T4_T5_T6_T7_T9_mT8_P12ihipStream_tbDpT10_ENKUlT_T0_E_clISt17integral_constantIbLb1EES19_IbLb0EEEEDaS15_S16_EUlS15_E_NS1_11comp_targetILNS1_3genE9ELNS1_11target_archE1100ELNS1_3gpuE3ELNS1_3repE0EEENS1_30default_config_static_selectorELNS0_4arch9wavefront6targetE1EEEvT1_,comdat
.Lfunc_end37:
	.size	_ZN7rocprim17ROCPRIM_400000_NS6detail17trampoline_kernelINS0_14default_configENS1_25partition_config_selectorILNS1_17partition_subalgoE3ExNS0_10empty_typeEbEEZZNS1_14partition_implILS5_3ELb0ES3_jN6thrust23THRUST_200600_302600_NS6detail15normal_iteratorINSA_7pointerIxNSA_11hip_rocprim3tagENSA_11use_defaultESG_EEEEPS6_SJ_NS0_5tupleIJPxSJ_EEENSK_IJSJ_SJ_EEES6_PlJ7is_evenIxEEEE10hipError_tPvRmT3_T4_T5_T6_T7_T9_mT8_P12ihipStream_tbDpT10_ENKUlT_T0_E_clISt17integral_constantIbLb1EES19_IbLb0EEEEDaS15_S16_EUlS15_E_NS1_11comp_targetILNS1_3genE9ELNS1_11target_archE1100ELNS1_3gpuE3ELNS1_3repE0EEENS1_30default_config_static_selectorELNS0_4arch9wavefront6targetE1EEEvT1_, .Lfunc_end37-_ZN7rocprim17ROCPRIM_400000_NS6detail17trampoline_kernelINS0_14default_configENS1_25partition_config_selectorILNS1_17partition_subalgoE3ExNS0_10empty_typeEbEEZZNS1_14partition_implILS5_3ELb0ES3_jN6thrust23THRUST_200600_302600_NS6detail15normal_iteratorINSA_7pointerIxNSA_11hip_rocprim3tagENSA_11use_defaultESG_EEEEPS6_SJ_NS0_5tupleIJPxSJ_EEENSK_IJSJ_SJ_EEES6_PlJ7is_evenIxEEEE10hipError_tPvRmT3_T4_T5_T6_T7_T9_mT8_P12ihipStream_tbDpT10_ENKUlT_T0_E_clISt17integral_constantIbLb1EES19_IbLb0EEEEDaS15_S16_EUlS15_E_NS1_11comp_targetILNS1_3genE9ELNS1_11target_archE1100ELNS1_3gpuE3ELNS1_3repE0EEENS1_30default_config_static_selectorELNS0_4arch9wavefront6targetE1EEEvT1_
                                        ; -- End function
	.section	.AMDGPU.csdata,"",@progbits
; Kernel info:
; codeLenInByte = 0
; NumSgprs: 6
; NumVgprs: 0
; NumAgprs: 0
; TotalNumVgprs: 0
; ScratchSize: 0
; MemoryBound: 0
; FloatMode: 240
; IeeeMode: 1
; LDSByteSize: 0 bytes/workgroup (compile time only)
; SGPRBlocks: 0
; VGPRBlocks: 0
; NumSGPRsForWavesPerEU: 6
; NumVGPRsForWavesPerEU: 1
; AccumOffset: 4
; Occupancy: 8
; WaveLimiterHint : 0
; COMPUTE_PGM_RSRC2:SCRATCH_EN: 0
; COMPUTE_PGM_RSRC2:USER_SGPR: 2
; COMPUTE_PGM_RSRC2:TRAP_HANDLER: 0
; COMPUTE_PGM_RSRC2:TGID_X_EN: 1
; COMPUTE_PGM_RSRC2:TGID_Y_EN: 0
; COMPUTE_PGM_RSRC2:TGID_Z_EN: 0
; COMPUTE_PGM_RSRC2:TIDIG_COMP_CNT: 0
; COMPUTE_PGM_RSRC3_GFX90A:ACCUM_OFFSET: 0
; COMPUTE_PGM_RSRC3_GFX90A:TG_SPLIT: 0
	.section	.text._ZN7rocprim17ROCPRIM_400000_NS6detail17trampoline_kernelINS0_14default_configENS1_25partition_config_selectorILNS1_17partition_subalgoE3ExNS0_10empty_typeEbEEZZNS1_14partition_implILS5_3ELb0ES3_jN6thrust23THRUST_200600_302600_NS6detail15normal_iteratorINSA_7pointerIxNSA_11hip_rocprim3tagENSA_11use_defaultESG_EEEEPS6_SJ_NS0_5tupleIJPxSJ_EEENSK_IJSJ_SJ_EEES6_PlJ7is_evenIxEEEE10hipError_tPvRmT3_T4_T5_T6_T7_T9_mT8_P12ihipStream_tbDpT10_ENKUlT_T0_E_clISt17integral_constantIbLb1EES19_IbLb0EEEEDaS15_S16_EUlS15_E_NS1_11comp_targetILNS1_3genE8ELNS1_11target_archE1030ELNS1_3gpuE2ELNS1_3repE0EEENS1_30default_config_static_selectorELNS0_4arch9wavefront6targetE1EEEvT1_,"axG",@progbits,_ZN7rocprim17ROCPRIM_400000_NS6detail17trampoline_kernelINS0_14default_configENS1_25partition_config_selectorILNS1_17partition_subalgoE3ExNS0_10empty_typeEbEEZZNS1_14partition_implILS5_3ELb0ES3_jN6thrust23THRUST_200600_302600_NS6detail15normal_iteratorINSA_7pointerIxNSA_11hip_rocprim3tagENSA_11use_defaultESG_EEEEPS6_SJ_NS0_5tupleIJPxSJ_EEENSK_IJSJ_SJ_EEES6_PlJ7is_evenIxEEEE10hipError_tPvRmT3_T4_T5_T6_T7_T9_mT8_P12ihipStream_tbDpT10_ENKUlT_T0_E_clISt17integral_constantIbLb1EES19_IbLb0EEEEDaS15_S16_EUlS15_E_NS1_11comp_targetILNS1_3genE8ELNS1_11target_archE1030ELNS1_3gpuE2ELNS1_3repE0EEENS1_30default_config_static_selectorELNS0_4arch9wavefront6targetE1EEEvT1_,comdat
	.protected	_ZN7rocprim17ROCPRIM_400000_NS6detail17trampoline_kernelINS0_14default_configENS1_25partition_config_selectorILNS1_17partition_subalgoE3ExNS0_10empty_typeEbEEZZNS1_14partition_implILS5_3ELb0ES3_jN6thrust23THRUST_200600_302600_NS6detail15normal_iteratorINSA_7pointerIxNSA_11hip_rocprim3tagENSA_11use_defaultESG_EEEEPS6_SJ_NS0_5tupleIJPxSJ_EEENSK_IJSJ_SJ_EEES6_PlJ7is_evenIxEEEE10hipError_tPvRmT3_T4_T5_T6_T7_T9_mT8_P12ihipStream_tbDpT10_ENKUlT_T0_E_clISt17integral_constantIbLb1EES19_IbLb0EEEEDaS15_S16_EUlS15_E_NS1_11comp_targetILNS1_3genE8ELNS1_11target_archE1030ELNS1_3gpuE2ELNS1_3repE0EEENS1_30default_config_static_selectorELNS0_4arch9wavefront6targetE1EEEvT1_ ; -- Begin function _ZN7rocprim17ROCPRIM_400000_NS6detail17trampoline_kernelINS0_14default_configENS1_25partition_config_selectorILNS1_17partition_subalgoE3ExNS0_10empty_typeEbEEZZNS1_14partition_implILS5_3ELb0ES3_jN6thrust23THRUST_200600_302600_NS6detail15normal_iteratorINSA_7pointerIxNSA_11hip_rocprim3tagENSA_11use_defaultESG_EEEEPS6_SJ_NS0_5tupleIJPxSJ_EEENSK_IJSJ_SJ_EEES6_PlJ7is_evenIxEEEE10hipError_tPvRmT3_T4_T5_T6_T7_T9_mT8_P12ihipStream_tbDpT10_ENKUlT_T0_E_clISt17integral_constantIbLb1EES19_IbLb0EEEEDaS15_S16_EUlS15_E_NS1_11comp_targetILNS1_3genE8ELNS1_11target_archE1030ELNS1_3gpuE2ELNS1_3repE0EEENS1_30default_config_static_selectorELNS0_4arch9wavefront6targetE1EEEvT1_
	.globl	_ZN7rocprim17ROCPRIM_400000_NS6detail17trampoline_kernelINS0_14default_configENS1_25partition_config_selectorILNS1_17partition_subalgoE3ExNS0_10empty_typeEbEEZZNS1_14partition_implILS5_3ELb0ES3_jN6thrust23THRUST_200600_302600_NS6detail15normal_iteratorINSA_7pointerIxNSA_11hip_rocprim3tagENSA_11use_defaultESG_EEEEPS6_SJ_NS0_5tupleIJPxSJ_EEENSK_IJSJ_SJ_EEES6_PlJ7is_evenIxEEEE10hipError_tPvRmT3_T4_T5_T6_T7_T9_mT8_P12ihipStream_tbDpT10_ENKUlT_T0_E_clISt17integral_constantIbLb1EES19_IbLb0EEEEDaS15_S16_EUlS15_E_NS1_11comp_targetILNS1_3genE8ELNS1_11target_archE1030ELNS1_3gpuE2ELNS1_3repE0EEENS1_30default_config_static_selectorELNS0_4arch9wavefront6targetE1EEEvT1_
	.p2align	8
	.type	_ZN7rocprim17ROCPRIM_400000_NS6detail17trampoline_kernelINS0_14default_configENS1_25partition_config_selectorILNS1_17partition_subalgoE3ExNS0_10empty_typeEbEEZZNS1_14partition_implILS5_3ELb0ES3_jN6thrust23THRUST_200600_302600_NS6detail15normal_iteratorINSA_7pointerIxNSA_11hip_rocprim3tagENSA_11use_defaultESG_EEEEPS6_SJ_NS0_5tupleIJPxSJ_EEENSK_IJSJ_SJ_EEES6_PlJ7is_evenIxEEEE10hipError_tPvRmT3_T4_T5_T6_T7_T9_mT8_P12ihipStream_tbDpT10_ENKUlT_T0_E_clISt17integral_constantIbLb1EES19_IbLb0EEEEDaS15_S16_EUlS15_E_NS1_11comp_targetILNS1_3genE8ELNS1_11target_archE1030ELNS1_3gpuE2ELNS1_3repE0EEENS1_30default_config_static_selectorELNS0_4arch9wavefront6targetE1EEEvT1_,@function
_ZN7rocprim17ROCPRIM_400000_NS6detail17trampoline_kernelINS0_14default_configENS1_25partition_config_selectorILNS1_17partition_subalgoE3ExNS0_10empty_typeEbEEZZNS1_14partition_implILS5_3ELb0ES3_jN6thrust23THRUST_200600_302600_NS6detail15normal_iteratorINSA_7pointerIxNSA_11hip_rocprim3tagENSA_11use_defaultESG_EEEEPS6_SJ_NS0_5tupleIJPxSJ_EEENSK_IJSJ_SJ_EEES6_PlJ7is_evenIxEEEE10hipError_tPvRmT3_T4_T5_T6_T7_T9_mT8_P12ihipStream_tbDpT10_ENKUlT_T0_E_clISt17integral_constantIbLb1EES19_IbLb0EEEEDaS15_S16_EUlS15_E_NS1_11comp_targetILNS1_3genE8ELNS1_11target_archE1030ELNS1_3gpuE2ELNS1_3repE0EEENS1_30default_config_static_selectorELNS0_4arch9wavefront6targetE1EEEvT1_: ; @_ZN7rocprim17ROCPRIM_400000_NS6detail17trampoline_kernelINS0_14default_configENS1_25partition_config_selectorILNS1_17partition_subalgoE3ExNS0_10empty_typeEbEEZZNS1_14partition_implILS5_3ELb0ES3_jN6thrust23THRUST_200600_302600_NS6detail15normal_iteratorINSA_7pointerIxNSA_11hip_rocprim3tagENSA_11use_defaultESG_EEEEPS6_SJ_NS0_5tupleIJPxSJ_EEENSK_IJSJ_SJ_EEES6_PlJ7is_evenIxEEEE10hipError_tPvRmT3_T4_T5_T6_T7_T9_mT8_P12ihipStream_tbDpT10_ENKUlT_T0_E_clISt17integral_constantIbLb1EES19_IbLb0EEEEDaS15_S16_EUlS15_E_NS1_11comp_targetILNS1_3genE8ELNS1_11target_archE1030ELNS1_3gpuE2ELNS1_3repE0EEENS1_30default_config_static_selectorELNS0_4arch9wavefront6targetE1EEEvT1_
; %bb.0:
	.section	.rodata,"a",@progbits
	.p2align	6, 0x0
	.amdhsa_kernel _ZN7rocprim17ROCPRIM_400000_NS6detail17trampoline_kernelINS0_14default_configENS1_25partition_config_selectorILNS1_17partition_subalgoE3ExNS0_10empty_typeEbEEZZNS1_14partition_implILS5_3ELb0ES3_jN6thrust23THRUST_200600_302600_NS6detail15normal_iteratorINSA_7pointerIxNSA_11hip_rocprim3tagENSA_11use_defaultESG_EEEEPS6_SJ_NS0_5tupleIJPxSJ_EEENSK_IJSJ_SJ_EEES6_PlJ7is_evenIxEEEE10hipError_tPvRmT3_T4_T5_T6_T7_T9_mT8_P12ihipStream_tbDpT10_ENKUlT_T0_E_clISt17integral_constantIbLb1EES19_IbLb0EEEEDaS15_S16_EUlS15_E_NS1_11comp_targetILNS1_3genE8ELNS1_11target_archE1030ELNS1_3gpuE2ELNS1_3repE0EEENS1_30default_config_static_selectorELNS0_4arch9wavefront6targetE1EEEvT1_
		.amdhsa_group_segment_fixed_size 0
		.amdhsa_private_segment_fixed_size 0
		.amdhsa_kernarg_size 120
		.amdhsa_user_sgpr_count 2
		.amdhsa_user_sgpr_dispatch_ptr 0
		.amdhsa_user_sgpr_queue_ptr 0
		.amdhsa_user_sgpr_kernarg_segment_ptr 1
		.amdhsa_user_sgpr_dispatch_id 0
		.amdhsa_user_sgpr_kernarg_preload_length 0
		.amdhsa_user_sgpr_kernarg_preload_offset 0
		.amdhsa_user_sgpr_private_segment_size 0
		.amdhsa_uses_dynamic_stack 0
		.amdhsa_enable_private_segment 0
		.amdhsa_system_sgpr_workgroup_id_x 1
		.amdhsa_system_sgpr_workgroup_id_y 0
		.amdhsa_system_sgpr_workgroup_id_z 0
		.amdhsa_system_sgpr_workgroup_info 0
		.amdhsa_system_vgpr_workitem_id 0
		.amdhsa_next_free_vgpr 1
		.amdhsa_next_free_sgpr 0
		.amdhsa_accum_offset 4
		.amdhsa_reserve_vcc 0
		.amdhsa_float_round_mode_32 0
		.amdhsa_float_round_mode_16_64 0
		.amdhsa_float_denorm_mode_32 3
		.amdhsa_float_denorm_mode_16_64 3
		.amdhsa_dx10_clamp 1
		.amdhsa_ieee_mode 1
		.amdhsa_fp16_overflow 0
		.amdhsa_tg_split 0
		.amdhsa_exception_fp_ieee_invalid_op 0
		.amdhsa_exception_fp_denorm_src 0
		.amdhsa_exception_fp_ieee_div_zero 0
		.amdhsa_exception_fp_ieee_overflow 0
		.amdhsa_exception_fp_ieee_underflow 0
		.amdhsa_exception_fp_ieee_inexact 0
		.amdhsa_exception_int_div_zero 0
	.end_amdhsa_kernel
	.section	.text._ZN7rocprim17ROCPRIM_400000_NS6detail17trampoline_kernelINS0_14default_configENS1_25partition_config_selectorILNS1_17partition_subalgoE3ExNS0_10empty_typeEbEEZZNS1_14partition_implILS5_3ELb0ES3_jN6thrust23THRUST_200600_302600_NS6detail15normal_iteratorINSA_7pointerIxNSA_11hip_rocprim3tagENSA_11use_defaultESG_EEEEPS6_SJ_NS0_5tupleIJPxSJ_EEENSK_IJSJ_SJ_EEES6_PlJ7is_evenIxEEEE10hipError_tPvRmT3_T4_T5_T6_T7_T9_mT8_P12ihipStream_tbDpT10_ENKUlT_T0_E_clISt17integral_constantIbLb1EES19_IbLb0EEEEDaS15_S16_EUlS15_E_NS1_11comp_targetILNS1_3genE8ELNS1_11target_archE1030ELNS1_3gpuE2ELNS1_3repE0EEENS1_30default_config_static_selectorELNS0_4arch9wavefront6targetE1EEEvT1_,"axG",@progbits,_ZN7rocprim17ROCPRIM_400000_NS6detail17trampoline_kernelINS0_14default_configENS1_25partition_config_selectorILNS1_17partition_subalgoE3ExNS0_10empty_typeEbEEZZNS1_14partition_implILS5_3ELb0ES3_jN6thrust23THRUST_200600_302600_NS6detail15normal_iteratorINSA_7pointerIxNSA_11hip_rocprim3tagENSA_11use_defaultESG_EEEEPS6_SJ_NS0_5tupleIJPxSJ_EEENSK_IJSJ_SJ_EEES6_PlJ7is_evenIxEEEE10hipError_tPvRmT3_T4_T5_T6_T7_T9_mT8_P12ihipStream_tbDpT10_ENKUlT_T0_E_clISt17integral_constantIbLb1EES19_IbLb0EEEEDaS15_S16_EUlS15_E_NS1_11comp_targetILNS1_3genE8ELNS1_11target_archE1030ELNS1_3gpuE2ELNS1_3repE0EEENS1_30default_config_static_selectorELNS0_4arch9wavefront6targetE1EEEvT1_,comdat
.Lfunc_end38:
	.size	_ZN7rocprim17ROCPRIM_400000_NS6detail17trampoline_kernelINS0_14default_configENS1_25partition_config_selectorILNS1_17partition_subalgoE3ExNS0_10empty_typeEbEEZZNS1_14partition_implILS5_3ELb0ES3_jN6thrust23THRUST_200600_302600_NS6detail15normal_iteratorINSA_7pointerIxNSA_11hip_rocprim3tagENSA_11use_defaultESG_EEEEPS6_SJ_NS0_5tupleIJPxSJ_EEENSK_IJSJ_SJ_EEES6_PlJ7is_evenIxEEEE10hipError_tPvRmT3_T4_T5_T6_T7_T9_mT8_P12ihipStream_tbDpT10_ENKUlT_T0_E_clISt17integral_constantIbLb1EES19_IbLb0EEEEDaS15_S16_EUlS15_E_NS1_11comp_targetILNS1_3genE8ELNS1_11target_archE1030ELNS1_3gpuE2ELNS1_3repE0EEENS1_30default_config_static_selectorELNS0_4arch9wavefront6targetE1EEEvT1_, .Lfunc_end38-_ZN7rocprim17ROCPRIM_400000_NS6detail17trampoline_kernelINS0_14default_configENS1_25partition_config_selectorILNS1_17partition_subalgoE3ExNS0_10empty_typeEbEEZZNS1_14partition_implILS5_3ELb0ES3_jN6thrust23THRUST_200600_302600_NS6detail15normal_iteratorINSA_7pointerIxNSA_11hip_rocprim3tagENSA_11use_defaultESG_EEEEPS6_SJ_NS0_5tupleIJPxSJ_EEENSK_IJSJ_SJ_EEES6_PlJ7is_evenIxEEEE10hipError_tPvRmT3_T4_T5_T6_T7_T9_mT8_P12ihipStream_tbDpT10_ENKUlT_T0_E_clISt17integral_constantIbLb1EES19_IbLb0EEEEDaS15_S16_EUlS15_E_NS1_11comp_targetILNS1_3genE8ELNS1_11target_archE1030ELNS1_3gpuE2ELNS1_3repE0EEENS1_30default_config_static_selectorELNS0_4arch9wavefront6targetE1EEEvT1_
                                        ; -- End function
	.section	.AMDGPU.csdata,"",@progbits
; Kernel info:
; codeLenInByte = 0
; NumSgprs: 6
; NumVgprs: 0
; NumAgprs: 0
; TotalNumVgprs: 0
; ScratchSize: 0
; MemoryBound: 0
; FloatMode: 240
; IeeeMode: 1
; LDSByteSize: 0 bytes/workgroup (compile time only)
; SGPRBlocks: 0
; VGPRBlocks: 0
; NumSGPRsForWavesPerEU: 6
; NumVGPRsForWavesPerEU: 1
; AccumOffset: 4
; Occupancy: 8
; WaveLimiterHint : 0
; COMPUTE_PGM_RSRC2:SCRATCH_EN: 0
; COMPUTE_PGM_RSRC2:USER_SGPR: 2
; COMPUTE_PGM_RSRC2:TRAP_HANDLER: 0
; COMPUTE_PGM_RSRC2:TGID_X_EN: 1
; COMPUTE_PGM_RSRC2:TGID_Y_EN: 0
; COMPUTE_PGM_RSRC2:TGID_Z_EN: 0
; COMPUTE_PGM_RSRC2:TIDIG_COMP_CNT: 0
; COMPUTE_PGM_RSRC3_GFX90A:ACCUM_OFFSET: 0
; COMPUTE_PGM_RSRC3_GFX90A:TG_SPLIT: 0
	.section	.text._ZN7rocprim17ROCPRIM_400000_NS6detail31init_lookback_scan_state_kernelINS1_19lookback_scan_stateIjLb0ELb1EEENS1_16block_id_wrapperIjLb1EEEEEvT_jT0_jPNS7_10value_typeE,"axG",@progbits,_ZN7rocprim17ROCPRIM_400000_NS6detail31init_lookback_scan_state_kernelINS1_19lookback_scan_stateIjLb0ELb1EEENS1_16block_id_wrapperIjLb1EEEEEvT_jT0_jPNS7_10value_typeE,comdat
	.protected	_ZN7rocprim17ROCPRIM_400000_NS6detail31init_lookback_scan_state_kernelINS1_19lookback_scan_stateIjLb0ELb1EEENS1_16block_id_wrapperIjLb1EEEEEvT_jT0_jPNS7_10value_typeE ; -- Begin function _ZN7rocprim17ROCPRIM_400000_NS6detail31init_lookback_scan_state_kernelINS1_19lookback_scan_stateIjLb0ELb1EEENS1_16block_id_wrapperIjLb1EEEEEvT_jT0_jPNS7_10value_typeE
	.globl	_ZN7rocprim17ROCPRIM_400000_NS6detail31init_lookback_scan_state_kernelINS1_19lookback_scan_stateIjLb0ELb1EEENS1_16block_id_wrapperIjLb1EEEEEvT_jT0_jPNS7_10value_typeE
	.p2align	8
	.type	_ZN7rocprim17ROCPRIM_400000_NS6detail31init_lookback_scan_state_kernelINS1_19lookback_scan_stateIjLb0ELb1EEENS1_16block_id_wrapperIjLb1EEEEEvT_jT0_jPNS7_10value_typeE,@function
_ZN7rocprim17ROCPRIM_400000_NS6detail31init_lookback_scan_state_kernelINS1_19lookback_scan_stateIjLb0ELb1EEENS1_16block_id_wrapperIjLb1EEEEEvT_jT0_jPNS7_10value_typeE: ; @_ZN7rocprim17ROCPRIM_400000_NS6detail31init_lookback_scan_state_kernelINS1_19lookback_scan_stateIjLb0ELb1EEENS1_16block_id_wrapperIjLb1EEEEEvT_jT0_jPNS7_10value_typeE
; %bb.0:
	s_load_dword s3, s[0:1], 0x34
	s_load_dwordx2 s[6:7], s[0:1], 0x20
	s_load_dwordx2 s[4:5], s[0:1], 0x0
	s_load_dword s10, s[0:1], 0x8
	s_waitcnt lgkmcnt(0)
	s_and_b32 s3, s3, 0xffff
	s_mul_i32 s2, s2, s3
	s_cmp_eq_u64 s[6:7], 0
	v_add_u32_e32 v0, s2, v0
	s_cbranch_scc1 .LBB39_6
; %bb.1:
	s_load_dword s8, s[0:1], 0x18
	s_mov_b32 s9, 0
	s_waitcnt lgkmcnt(0)
	s_cmp_lt_u32 s8, s10
	s_cselect_b32 s2, s8, 0
	v_cmp_eq_u32_e32 vcc, s2, v0
	s_and_saveexec_b64 s[2:3], vcc
	s_cbranch_execz .LBB39_5
; %bb.2:
	s_add_i32 s8, s8, 64
	s_lshl_b64 s[8:9], s[8:9], 3
	s_add_u32 s8, s4, s8
	s_addc_u32 s9, s5, s9
	v_mov_b32_e32 v4, 0
	global_load_dwordx2 v[2:3], v4, s[8:9] sc1
	s_waitcnt vmcnt(0)
	v_and_b32_e32 v5, 0xff, v3
	v_cmp_ne_u64_e32 vcc, 0, v[4:5]
	s_cbranch_vccnz .LBB39_4
.LBB39_3:                               ; =>This Inner Loop Header: Depth=1
	global_load_dwordx2 v[2:3], v4, s[8:9] sc1
	s_waitcnt vmcnt(0)
	v_and_b32_e32 v5, 0xff, v3
	v_cmp_eq_u64_e32 vcc, 0, v[4:5]
	s_cbranch_vccnz .LBB39_3
.LBB39_4:
	v_mov_b32_e32 v1, 0
	global_store_dword v1, v2, s[6:7]
.LBB39_5:
	s_or_b64 exec, exec, s[2:3]
.LBB39_6:
	v_cmp_eq_u32_e32 vcc, 0, v0
	s_and_saveexec_b64 s[2:3], vcc
	s_cbranch_execnz .LBB39_10
; %bb.7:
	s_or_b64 exec, exec, s[2:3]
	v_cmp_gt_u32_e32 vcc, s10, v0
	s_and_saveexec_b64 s[0:1], vcc
	s_cbranch_execnz .LBB39_11
.LBB39_8:
	s_or_b64 exec, exec, s[0:1]
	v_cmp_gt_u32_e32 vcc, 64, v0
	s_and_saveexec_b64 s[0:1], vcc
	s_cbranch_execnz .LBB39_12
.LBB39_9:
	s_endpgm
.LBB39_10:
	s_load_dwordx2 s[0:1], s[0:1], 0x10
	v_mov_b32_e32 v1, 0
	s_waitcnt lgkmcnt(0)
	global_store_dword v1, v1, s[0:1]
	s_or_b64 exec, exec, s[2:3]
	v_cmp_gt_u32_e32 vcc, s10, v0
	s_and_saveexec_b64 s[0:1], vcc
	s_cbranch_execz .LBB39_8
.LBB39_11:
	v_add_u32_e32 v2, 64, v0
	v_mov_b32_e32 v3, 0
	v_lshl_add_u64 v[4:5], v[2:3], 3, s[4:5]
	v_mov_b32_e32 v2, v3
	global_store_dwordx2 v[4:5], v[2:3], off
	s_or_b64 exec, exec, s[0:1]
	v_cmp_gt_u32_e32 vcc, 64, v0
	s_and_saveexec_b64 s[0:1], vcc
	s_cbranch_execz .LBB39_9
.LBB39_12:
	v_mov_b32_e32 v1, 0
	v_lshl_add_u64 v[2:3], v[0:1], 3, s[4:5]
	v_mov_b32_e32 v5, 0xff
	v_mov_b32_e32 v4, v1
	global_store_dwordx2 v[2:3], v[4:5], off
	s_endpgm
	.section	.rodata,"a",@progbits
	.p2align	6, 0x0
	.amdhsa_kernel _ZN7rocprim17ROCPRIM_400000_NS6detail31init_lookback_scan_state_kernelINS1_19lookback_scan_stateIjLb0ELb1EEENS1_16block_id_wrapperIjLb1EEEEEvT_jT0_jPNS7_10value_typeE
		.amdhsa_group_segment_fixed_size 0
		.amdhsa_private_segment_fixed_size 0
		.amdhsa_kernarg_size 296
		.amdhsa_user_sgpr_count 2
		.amdhsa_user_sgpr_dispatch_ptr 0
		.amdhsa_user_sgpr_queue_ptr 0
		.amdhsa_user_sgpr_kernarg_segment_ptr 1
		.amdhsa_user_sgpr_dispatch_id 0
		.amdhsa_user_sgpr_kernarg_preload_length 0
		.amdhsa_user_sgpr_kernarg_preload_offset 0
		.amdhsa_user_sgpr_private_segment_size 0
		.amdhsa_uses_dynamic_stack 0
		.amdhsa_enable_private_segment 0
		.amdhsa_system_sgpr_workgroup_id_x 1
		.amdhsa_system_sgpr_workgroup_id_y 0
		.amdhsa_system_sgpr_workgroup_id_z 0
		.amdhsa_system_sgpr_workgroup_info 0
		.amdhsa_system_vgpr_workitem_id 0
		.amdhsa_next_free_vgpr 6
		.amdhsa_next_free_sgpr 11
		.amdhsa_accum_offset 8
		.amdhsa_reserve_vcc 1
		.amdhsa_float_round_mode_32 0
		.amdhsa_float_round_mode_16_64 0
		.amdhsa_float_denorm_mode_32 3
		.amdhsa_float_denorm_mode_16_64 3
		.amdhsa_dx10_clamp 1
		.amdhsa_ieee_mode 1
		.amdhsa_fp16_overflow 0
		.amdhsa_tg_split 0
		.amdhsa_exception_fp_ieee_invalid_op 0
		.amdhsa_exception_fp_denorm_src 0
		.amdhsa_exception_fp_ieee_div_zero 0
		.amdhsa_exception_fp_ieee_overflow 0
		.amdhsa_exception_fp_ieee_underflow 0
		.amdhsa_exception_fp_ieee_inexact 0
		.amdhsa_exception_int_div_zero 0
	.end_amdhsa_kernel
	.section	.text._ZN7rocprim17ROCPRIM_400000_NS6detail31init_lookback_scan_state_kernelINS1_19lookback_scan_stateIjLb0ELb1EEENS1_16block_id_wrapperIjLb1EEEEEvT_jT0_jPNS7_10value_typeE,"axG",@progbits,_ZN7rocprim17ROCPRIM_400000_NS6detail31init_lookback_scan_state_kernelINS1_19lookback_scan_stateIjLb0ELb1EEENS1_16block_id_wrapperIjLb1EEEEEvT_jT0_jPNS7_10value_typeE,comdat
.Lfunc_end39:
	.size	_ZN7rocprim17ROCPRIM_400000_NS6detail31init_lookback_scan_state_kernelINS1_19lookback_scan_stateIjLb0ELb1EEENS1_16block_id_wrapperIjLb1EEEEEvT_jT0_jPNS7_10value_typeE, .Lfunc_end39-_ZN7rocprim17ROCPRIM_400000_NS6detail31init_lookback_scan_state_kernelINS1_19lookback_scan_stateIjLb0ELb1EEENS1_16block_id_wrapperIjLb1EEEEEvT_jT0_jPNS7_10value_typeE
                                        ; -- End function
	.section	.AMDGPU.csdata,"",@progbits
; Kernel info:
; codeLenInByte = 356
; NumSgprs: 17
; NumVgprs: 6
; NumAgprs: 0
; TotalNumVgprs: 6
; ScratchSize: 0
; MemoryBound: 0
; FloatMode: 240
; IeeeMode: 1
; LDSByteSize: 0 bytes/workgroup (compile time only)
; SGPRBlocks: 2
; VGPRBlocks: 0
; NumSGPRsForWavesPerEU: 17
; NumVGPRsForWavesPerEU: 6
; AccumOffset: 8
; Occupancy: 8
; WaveLimiterHint : 0
; COMPUTE_PGM_RSRC2:SCRATCH_EN: 0
; COMPUTE_PGM_RSRC2:USER_SGPR: 2
; COMPUTE_PGM_RSRC2:TRAP_HANDLER: 0
; COMPUTE_PGM_RSRC2:TGID_X_EN: 1
; COMPUTE_PGM_RSRC2:TGID_Y_EN: 0
; COMPUTE_PGM_RSRC2:TGID_Z_EN: 0
; COMPUTE_PGM_RSRC2:TIDIG_COMP_CNT: 0
; COMPUTE_PGM_RSRC3_GFX90A:ACCUM_OFFSET: 1
; COMPUTE_PGM_RSRC3_GFX90A:TG_SPLIT: 0
	.section	.text._ZN7rocprim17ROCPRIM_400000_NS6detail17trampoline_kernelINS0_14default_configENS1_25partition_config_selectorILNS1_17partition_subalgoE3ExNS0_10empty_typeEbEEZZNS1_14partition_implILS5_3ELb0ES3_jN6thrust23THRUST_200600_302600_NS6detail15normal_iteratorINSA_7pointerIxNSA_11hip_rocprim3tagENSA_11use_defaultESG_EEEEPS6_SJ_NS0_5tupleIJPxSJ_EEENSK_IJSJ_SJ_EEES6_PlJ7is_evenIxEEEE10hipError_tPvRmT3_T4_T5_T6_T7_T9_mT8_P12ihipStream_tbDpT10_ENKUlT_T0_E_clISt17integral_constantIbLb0EES19_IbLb1EEEEDaS15_S16_EUlS15_E_NS1_11comp_targetILNS1_3genE0ELNS1_11target_archE4294967295ELNS1_3gpuE0ELNS1_3repE0EEENS1_30default_config_static_selectorELNS0_4arch9wavefront6targetE1EEEvT1_,"axG",@progbits,_ZN7rocprim17ROCPRIM_400000_NS6detail17trampoline_kernelINS0_14default_configENS1_25partition_config_selectorILNS1_17partition_subalgoE3ExNS0_10empty_typeEbEEZZNS1_14partition_implILS5_3ELb0ES3_jN6thrust23THRUST_200600_302600_NS6detail15normal_iteratorINSA_7pointerIxNSA_11hip_rocprim3tagENSA_11use_defaultESG_EEEEPS6_SJ_NS0_5tupleIJPxSJ_EEENSK_IJSJ_SJ_EEES6_PlJ7is_evenIxEEEE10hipError_tPvRmT3_T4_T5_T6_T7_T9_mT8_P12ihipStream_tbDpT10_ENKUlT_T0_E_clISt17integral_constantIbLb0EES19_IbLb1EEEEDaS15_S16_EUlS15_E_NS1_11comp_targetILNS1_3genE0ELNS1_11target_archE4294967295ELNS1_3gpuE0ELNS1_3repE0EEENS1_30default_config_static_selectorELNS0_4arch9wavefront6targetE1EEEvT1_,comdat
	.protected	_ZN7rocprim17ROCPRIM_400000_NS6detail17trampoline_kernelINS0_14default_configENS1_25partition_config_selectorILNS1_17partition_subalgoE3ExNS0_10empty_typeEbEEZZNS1_14partition_implILS5_3ELb0ES3_jN6thrust23THRUST_200600_302600_NS6detail15normal_iteratorINSA_7pointerIxNSA_11hip_rocprim3tagENSA_11use_defaultESG_EEEEPS6_SJ_NS0_5tupleIJPxSJ_EEENSK_IJSJ_SJ_EEES6_PlJ7is_evenIxEEEE10hipError_tPvRmT3_T4_T5_T6_T7_T9_mT8_P12ihipStream_tbDpT10_ENKUlT_T0_E_clISt17integral_constantIbLb0EES19_IbLb1EEEEDaS15_S16_EUlS15_E_NS1_11comp_targetILNS1_3genE0ELNS1_11target_archE4294967295ELNS1_3gpuE0ELNS1_3repE0EEENS1_30default_config_static_selectorELNS0_4arch9wavefront6targetE1EEEvT1_ ; -- Begin function _ZN7rocprim17ROCPRIM_400000_NS6detail17trampoline_kernelINS0_14default_configENS1_25partition_config_selectorILNS1_17partition_subalgoE3ExNS0_10empty_typeEbEEZZNS1_14partition_implILS5_3ELb0ES3_jN6thrust23THRUST_200600_302600_NS6detail15normal_iteratorINSA_7pointerIxNSA_11hip_rocprim3tagENSA_11use_defaultESG_EEEEPS6_SJ_NS0_5tupleIJPxSJ_EEENSK_IJSJ_SJ_EEES6_PlJ7is_evenIxEEEE10hipError_tPvRmT3_T4_T5_T6_T7_T9_mT8_P12ihipStream_tbDpT10_ENKUlT_T0_E_clISt17integral_constantIbLb0EES19_IbLb1EEEEDaS15_S16_EUlS15_E_NS1_11comp_targetILNS1_3genE0ELNS1_11target_archE4294967295ELNS1_3gpuE0ELNS1_3repE0EEENS1_30default_config_static_selectorELNS0_4arch9wavefront6targetE1EEEvT1_
	.globl	_ZN7rocprim17ROCPRIM_400000_NS6detail17trampoline_kernelINS0_14default_configENS1_25partition_config_selectorILNS1_17partition_subalgoE3ExNS0_10empty_typeEbEEZZNS1_14partition_implILS5_3ELb0ES3_jN6thrust23THRUST_200600_302600_NS6detail15normal_iteratorINSA_7pointerIxNSA_11hip_rocprim3tagENSA_11use_defaultESG_EEEEPS6_SJ_NS0_5tupleIJPxSJ_EEENSK_IJSJ_SJ_EEES6_PlJ7is_evenIxEEEE10hipError_tPvRmT3_T4_T5_T6_T7_T9_mT8_P12ihipStream_tbDpT10_ENKUlT_T0_E_clISt17integral_constantIbLb0EES19_IbLb1EEEEDaS15_S16_EUlS15_E_NS1_11comp_targetILNS1_3genE0ELNS1_11target_archE4294967295ELNS1_3gpuE0ELNS1_3repE0EEENS1_30default_config_static_selectorELNS0_4arch9wavefront6targetE1EEEvT1_
	.p2align	8
	.type	_ZN7rocprim17ROCPRIM_400000_NS6detail17trampoline_kernelINS0_14default_configENS1_25partition_config_selectorILNS1_17partition_subalgoE3ExNS0_10empty_typeEbEEZZNS1_14partition_implILS5_3ELb0ES3_jN6thrust23THRUST_200600_302600_NS6detail15normal_iteratorINSA_7pointerIxNSA_11hip_rocprim3tagENSA_11use_defaultESG_EEEEPS6_SJ_NS0_5tupleIJPxSJ_EEENSK_IJSJ_SJ_EEES6_PlJ7is_evenIxEEEE10hipError_tPvRmT3_T4_T5_T6_T7_T9_mT8_P12ihipStream_tbDpT10_ENKUlT_T0_E_clISt17integral_constantIbLb0EES19_IbLb1EEEEDaS15_S16_EUlS15_E_NS1_11comp_targetILNS1_3genE0ELNS1_11target_archE4294967295ELNS1_3gpuE0ELNS1_3repE0EEENS1_30default_config_static_selectorELNS0_4arch9wavefront6targetE1EEEvT1_,@function
_ZN7rocprim17ROCPRIM_400000_NS6detail17trampoline_kernelINS0_14default_configENS1_25partition_config_selectorILNS1_17partition_subalgoE3ExNS0_10empty_typeEbEEZZNS1_14partition_implILS5_3ELb0ES3_jN6thrust23THRUST_200600_302600_NS6detail15normal_iteratorINSA_7pointerIxNSA_11hip_rocprim3tagENSA_11use_defaultESG_EEEEPS6_SJ_NS0_5tupleIJPxSJ_EEENSK_IJSJ_SJ_EEES6_PlJ7is_evenIxEEEE10hipError_tPvRmT3_T4_T5_T6_T7_T9_mT8_P12ihipStream_tbDpT10_ENKUlT_T0_E_clISt17integral_constantIbLb0EES19_IbLb1EEEEDaS15_S16_EUlS15_E_NS1_11comp_targetILNS1_3genE0ELNS1_11target_archE4294967295ELNS1_3gpuE0ELNS1_3repE0EEENS1_30default_config_static_selectorELNS0_4arch9wavefront6targetE1EEEvT1_: ; @_ZN7rocprim17ROCPRIM_400000_NS6detail17trampoline_kernelINS0_14default_configENS1_25partition_config_selectorILNS1_17partition_subalgoE3ExNS0_10empty_typeEbEEZZNS1_14partition_implILS5_3ELb0ES3_jN6thrust23THRUST_200600_302600_NS6detail15normal_iteratorINSA_7pointerIxNSA_11hip_rocprim3tagENSA_11use_defaultESG_EEEEPS6_SJ_NS0_5tupleIJPxSJ_EEENSK_IJSJ_SJ_EEES6_PlJ7is_evenIxEEEE10hipError_tPvRmT3_T4_T5_T6_T7_T9_mT8_P12ihipStream_tbDpT10_ENKUlT_T0_E_clISt17integral_constantIbLb0EES19_IbLb1EEEEDaS15_S16_EUlS15_E_NS1_11comp_targetILNS1_3genE0ELNS1_11target_archE4294967295ELNS1_3gpuE0ELNS1_3repE0EEENS1_30default_config_static_selectorELNS0_4arch9wavefront6targetE1EEEvT1_
; %bb.0:
	.section	.rodata,"a",@progbits
	.p2align	6, 0x0
	.amdhsa_kernel _ZN7rocprim17ROCPRIM_400000_NS6detail17trampoline_kernelINS0_14default_configENS1_25partition_config_selectorILNS1_17partition_subalgoE3ExNS0_10empty_typeEbEEZZNS1_14partition_implILS5_3ELb0ES3_jN6thrust23THRUST_200600_302600_NS6detail15normal_iteratorINSA_7pointerIxNSA_11hip_rocprim3tagENSA_11use_defaultESG_EEEEPS6_SJ_NS0_5tupleIJPxSJ_EEENSK_IJSJ_SJ_EEES6_PlJ7is_evenIxEEEE10hipError_tPvRmT3_T4_T5_T6_T7_T9_mT8_P12ihipStream_tbDpT10_ENKUlT_T0_E_clISt17integral_constantIbLb0EES19_IbLb1EEEEDaS15_S16_EUlS15_E_NS1_11comp_targetILNS1_3genE0ELNS1_11target_archE4294967295ELNS1_3gpuE0ELNS1_3repE0EEENS1_30default_config_static_selectorELNS0_4arch9wavefront6targetE1EEEvT1_
		.amdhsa_group_segment_fixed_size 0
		.amdhsa_private_segment_fixed_size 0
		.amdhsa_kernarg_size 136
		.amdhsa_user_sgpr_count 2
		.amdhsa_user_sgpr_dispatch_ptr 0
		.amdhsa_user_sgpr_queue_ptr 0
		.amdhsa_user_sgpr_kernarg_segment_ptr 1
		.amdhsa_user_sgpr_dispatch_id 0
		.amdhsa_user_sgpr_kernarg_preload_length 0
		.amdhsa_user_sgpr_kernarg_preload_offset 0
		.amdhsa_user_sgpr_private_segment_size 0
		.amdhsa_uses_dynamic_stack 0
		.amdhsa_enable_private_segment 0
		.amdhsa_system_sgpr_workgroup_id_x 1
		.amdhsa_system_sgpr_workgroup_id_y 0
		.amdhsa_system_sgpr_workgroup_id_z 0
		.amdhsa_system_sgpr_workgroup_info 0
		.amdhsa_system_vgpr_workitem_id 0
		.amdhsa_next_free_vgpr 1
		.amdhsa_next_free_sgpr 0
		.amdhsa_accum_offset 4
		.amdhsa_reserve_vcc 0
		.amdhsa_float_round_mode_32 0
		.amdhsa_float_round_mode_16_64 0
		.amdhsa_float_denorm_mode_32 3
		.amdhsa_float_denorm_mode_16_64 3
		.amdhsa_dx10_clamp 1
		.amdhsa_ieee_mode 1
		.amdhsa_fp16_overflow 0
		.amdhsa_tg_split 0
		.amdhsa_exception_fp_ieee_invalid_op 0
		.amdhsa_exception_fp_denorm_src 0
		.amdhsa_exception_fp_ieee_div_zero 0
		.amdhsa_exception_fp_ieee_overflow 0
		.amdhsa_exception_fp_ieee_underflow 0
		.amdhsa_exception_fp_ieee_inexact 0
		.amdhsa_exception_int_div_zero 0
	.end_amdhsa_kernel
	.section	.text._ZN7rocprim17ROCPRIM_400000_NS6detail17trampoline_kernelINS0_14default_configENS1_25partition_config_selectorILNS1_17partition_subalgoE3ExNS0_10empty_typeEbEEZZNS1_14partition_implILS5_3ELb0ES3_jN6thrust23THRUST_200600_302600_NS6detail15normal_iteratorINSA_7pointerIxNSA_11hip_rocprim3tagENSA_11use_defaultESG_EEEEPS6_SJ_NS0_5tupleIJPxSJ_EEENSK_IJSJ_SJ_EEES6_PlJ7is_evenIxEEEE10hipError_tPvRmT3_T4_T5_T6_T7_T9_mT8_P12ihipStream_tbDpT10_ENKUlT_T0_E_clISt17integral_constantIbLb0EES19_IbLb1EEEEDaS15_S16_EUlS15_E_NS1_11comp_targetILNS1_3genE0ELNS1_11target_archE4294967295ELNS1_3gpuE0ELNS1_3repE0EEENS1_30default_config_static_selectorELNS0_4arch9wavefront6targetE1EEEvT1_,"axG",@progbits,_ZN7rocprim17ROCPRIM_400000_NS6detail17trampoline_kernelINS0_14default_configENS1_25partition_config_selectorILNS1_17partition_subalgoE3ExNS0_10empty_typeEbEEZZNS1_14partition_implILS5_3ELb0ES3_jN6thrust23THRUST_200600_302600_NS6detail15normal_iteratorINSA_7pointerIxNSA_11hip_rocprim3tagENSA_11use_defaultESG_EEEEPS6_SJ_NS0_5tupleIJPxSJ_EEENSK_IJSJ_SJ_EEES6_PlJ7is_evenIxEEEE10hipError_tPvRmT3_T4_T5_T6_T7_T9_mT8_P12ihipStream_tbDpT10_ENKUlT_T0_E_clISt17integral_constantIbLb0EES19_IbLb1EEEEDaS15_S16_EUlS15_E_NS1_11comp_targetILNS1_3genE0ELNS1_11target_archE4294967295ELNS1_3gpuE0ELNS1_3repE0EEENS1_30default_config_static_selectorELNS0_4arch9wavefront6targetE1EEEvT1_,comdat
.Lfunc_end40:
	.size	_ZN7rocprim17ROCPRIM_400000_NS6detail17trampoline_kernelINS0_14default_configENS1_25partition_config_selectorILNS1_17partition_subalgoE3ExNS0_10empty_typeEbEEZZNS1_14partition_implILS5_3ELb0ES3_jN6thrust23THRUST_200600_302600_NS6detail15normal_iteratorINSA_7pointerIxNSA_11hip_rocprim3tagENSA_11use_defaultESG_EEEEPS6_SJ_NS0_5tupleIJPxSJ_EEENSK_IJSJ_SJ_EEES6_PlJ7is_evenIxEEEE10hipError_tPvRmT3_T4_T5_T6_T7_T9_mT8_P12ihipStream_tbDpT10_ENKUlT_T0_E_clISt17integral_constantIbLb0EES19_IbLb1EEEEDaS15_S16_EUlS15_E_NS1_11comp_targetILNS1_3genE0ELNS1_11target_archE4294967295ELNS1_3gpuE0ELNS1_3repE0EEENS1_30default_config_static_selectorELNS0_4arch9wavefront6targetE1EEEvT1_, .Lfunc_end40-_ZN7rocprim17ROCPRIM_400000_NS6detail17trampoline_kernelINS0_14default_configENS1_25partition_config_selectorILNS1_17partition_subalgoE3ExNS0_10empty_typeEbEEZZNS1_14partition_implILS5_3ELb0ES3_jN6thrust23THRUST_200600_302600_NS6detail15normal_iteratorINSA_7pointerIxNSA_11hip_rocprim3tagENSA_11use_defaultESG_EEEEPS6_SJ_NS0_5tupleIJPxSJ_EEENSK_IJSJ_SJ_EEES6_PlJ7is_evenIxEEEE10hipError_tPvRmT3_T4_T5_T6_T7_T9_mT8_P12ihipStream_tbDpT10_ENKUlT_T0_E_clISt17integral_constantIbLb0EES19_IbLb1EEEEDaS15_S16_EUlS15_E_NS1_11comp_targetILNS1_3genE0ELNS1_11target_archE4294967295ELNS1_3gpuE0ELNS1_3repE0EEENS1_30default_config_static_selectorELNS0_4arch9wavefront6targetE1EEEvT1_
                                        ; -- End function
	.section	.AMDGPU.csdata,"",@progbits
; Kernel info:
; codeLenInByte = 0
; NumSgprs: 6
; NumVgprs: 0
; NumAgprs: 0
; TotalNumVgprs: 0
; ScratchSize: 0
; MemoryBound: 0
; FloatMode: 240
; IeeeMode: 1
; LDSByteSize: 0 bytes/workgroup (compile time only)
; SGPRBlocks: 0
; VGPRBlocks: 0
; NumSGPRsForWavesPerEU: 6
; NumVGPRsForWavesPerEU: 1
; AccumOffset: 4
; Occupancy: 8
; WaveLimiterHint : 0
; COMPUTE_PGM_RSRC2:SCRATCH_EN: 0
; COMPUTE_PGM_RSRC2:USER_SGPR: 2
; COMPUTE_PGM_RSRC2:TRAP_HANDLER: 0
; COMPUTE_PGM_RSRC2:TGID_X_EN: 1
; COMPUTE_PGM_RSRC2:TGID_Y_EN: 0
; COMPUTE_PGM_RSRC2:TGID_Z_EN: 0
; COMPUTE_PGM_RSRC2:TIDIG_COMP_CNT: 0
; COMPUTE_PGM_RSRC3_GFX90A:ACCUM_OFFSET: 0
; COMPUTE_PGM_RSRC3_GFX90A:TG_SPLIT: 0
	.section	.text._ZN7rocprim17ROCPRIM_400000_NS6detail17trampoline_kernelINS0_14default_configENS1_25partition_config_selectorILNS1_17partition_subalgoE3ExNS0_10empty_typeEbEEZZNS1_14partition_implILS5_3ELb0ES3_jN6thrust23THRUST_200600_302600_NS6detail15normal_iteratorINSA_7pointerIxNSA_11hip_rocprim3tagENSA_11use_defaultESG_EEEEPS6_SJ_NS0_5tupleIJPxSJ_EEENSK_IJSJ_SJ_EEES6_PlJ7is_evenIxEEEE10hipError_tPvRmT3_T4_T5_T6_T7_T9_mT8_P12ihipStream_tbDpT10_ENKUlT_T0_E_clISt17integral_constantIbLb0EES19_IbLb1EEEEDaS15_S16_EUlS15_E_NS1_11comp_targetILNS1_3genE5ELNS1_11target_archE942ELNS1_3gpuE9ELNS1_3repE0EEENS1_30default_config_static_selectorELNS0_4arch9wavefront6targetE1EEEvT1_,"axG",@progbits,_ZN7rocprim17ROCPRIM_400000_NS6detail17trampoline_kernelINS0_14default_configENS1_25partition_config_selectorILNS1_17partition_subalgoE3ExNS0_10empty_typeEbEEZZNS1_14partition_implILS5_3ELb0ES3_jN6thrust23THRUST_200600_302600_NS6detail15normal_iteratorINSA_7pointerIxNSA_11hip_rocprim3tagENSA_11use_defaultESG_EEEEPS6_SJ_NS0_5tupleIJPxSJ_EEENSK_IJSJ_SJ_EEES6_PlJ7is_evenIxEEEE10hipError_tPvRmT3_T4_T5_T6_T7_T9_mT8_P12ihipStream_tbDpT10_ENKUlT_T0_E_clISt17integral_constantIbLb0EES19_IbLb1EEEEDaS15_S16_EUlS15_E_NS1_11comp_targetILNS1_3genE5ELNS1_11target_archE942ELNS1_3gpuE9ELNS1_3repE0EEENS1_30default_config_static_selectorELNS0_4arch9wavefront6targetE1EEEvT1_,comdat
	.protected	_ZN7rocprim17ROCPRIM_400000_NS6detail17trampoline_kernelINS0_14default_configENS1_25partition_config_selectorILNS1_17partition_subalgoE3ExNS0_10empty_typeEbEEZZNS1_14partition_implILS5_3ELb0ES3_jN6thrust23THRUST_200600_302600_NS6detail15normal_iteratorINSA_7pointerIxNSA_11hip_rocprim3tagENSA_11use_defaultESG_EEEEPS6_SJ_NS0_5tupleIJPxSJ_EEENSK_IJSJ_SJ_EEES6_PlJ7is_evenIxEEEE10hipError_tPvRmT3_T4_T5_T6_T7_T9_mT8_P12ihipStream_tbDpT10_ENKUlT_T0_E_clISt17integral_constantIbLb0EES19_IbLb1EEEEDaS15_S16_EUlS15_E_NS1_11comp_targetILNS1_3genE5ELNS1_11target_archE942ELNS1_3gpuE9ELNS1_3repE0EEENS1_30default_config_static_selectorELNS0_4arch9wavefront6targetE1EEEvT1_ ; -- Begin function _ZN7rocprim17ROCPRIM_400000_NS6detail17trampoline_kernelINS0_14default_configENS1_25partition_config_selectorILNS1_17partition_subalgoE3ExNS0_10empty_typeEbEEZZNS1_14partition_implILS5_3ELb0ES3_jN6thrust23THRUST_200600_302600_NS6detail15normal_iteratorINSA_7pointerIxNSA_11hip_rocprim3tagENSA_11use_defaultESG_EEEEPS6_SJ_NS0_5tupleIJPxSJ_EEENSK_IJSJ_SJ_EEES6_PlJ7is_evenIxEEEE10hipError_tPvRmT3_T4_T5_T6_T7_T9_mT8_P12ihipStream_tbDpT10_ENKUlT_T0_E_clISt17integral_constantIbLb0EES19_IbLb1EEEEDaS15_S16_EUlS15_E_NS1_11comp_targetILNS1_3genE5ELNS1_11target_archE942ELNS1_3gpuE9ELNS1_3repE0EEENS1_30default_config_static_selectorELNS0_4arch9wavefront6targetE1EEEvT1_
	.globl	_ZN7rocprim17ROCPRIM_400000_NS6detail17trampoline_kernelINS0_14default_configENS1_25partition_config_selectorILNS1_17partition_subalgoE3ExNS0_10empty_typeEbEEZZNS1_14partition_implILS5_3ELb0ES3_jN6thrust23THRUST_200600_302600_NS6detail15normal_iteratorINSA_7pointerIxNSA_11hip_rocprim3tagENSA_11use_defaultESG_EEEEPS6_SJ_NS0_5tupleIJPxSJ_EEENSK_IJSJ_SJ_EEES6_PlJ7is_evenIxEEEE10hipError_tPvRmT3_T4_T5_T6_T7_T9_mT8_P12ihipStream_tbDpT10_ENKUlT_T0_E_clISt17integral_constantIbLb0EES19_IbLb1EEEEDaS15_S16_EUlS15_E_NS1_11comp_targetILNS1_3genE5ELNS1_11target_archE942ELNS1_3gpuE9ELNS1_3repE0EEENS1_30default_config_static_selectorELNS0_4arch9wavefront6targetE1EEEvT1_
	.p2align	8
	.type	_ZN7rocprim17ROCPRIM_400000_NS6detail17trampoline_kernelINS0_14default_configENS1_25partition_config_selectorILNS1_17partition_subalgoE3ExNS0_10empty_typeEbEEZZNS1_14partition_implILS5_3ELb0ES3_jN6thrust23THRUST_200600_302600_NS6detail15normal_iteratorINSA_7pointerIxNSA_11hip_rocprim3tagENSA_11use_defaultESG_EEEEPS6_SJ_NS0_5tupleIJPxSJ_EEENSK_IJSJ_SJ_EEES6_PlJ7is_evenIxEEEE10hipError_tPvRmT3_T4_T5_T6_T7_T9_mT8_P12ihipStream_tbDpT10_ENKUlT_T0_E_clISt17integral_constantIbLb0EES19_IbLb1EEEEDaS15_S16_EUlS15_E_NS1_11comp_targetILNS1_3genE5ELNS1_11target_archE942ELNS1_3gpuE9ELNS1_3repE0EEENS1_30default_config_static_selectorELNS0_4arch9wavefront6targetE1EEEvT1_,@function
_ZN7rocprim17ROCPRIM_400000_NS6detail17trampoline_kernelINS0_14default_configENS1_25partition_config_selectorILNS1_17partition_subalgoE3ExNS0_10empty_typeEbEEZZNS1_14partition_implILS5_3ELb0ES3_jN6thrust23THRUST_200600_302600_NS6detail15normal_iteratorINSA_7pointerIxNSA_11hip_rocprim3tagENSA_11use_defaultESG_EEEEPS6_SJ_NS0_5tupleIJPxSJ_EEENSK_IJSJ_SJ_EEES6_PlJ7is_evenIxEEEE10hipError_tPvRmT3_T4_T5_T6_T7_T9_mT8_P12ihipStream_tbDpT10_ENKUlT_T0_E_clISt17integral_constantIbLb0EES19_IbLb1EEEEDaS15_S16_EUlS15_E_NS1_11comp_targetILNS1_3genE5ELNS1_11target_archE942ELNS1_3gpuE9ELNS1_3repE0EEENS1_30default_config_static_selectorELNS0_4arch9wavefront6targetE1EEEvT1_: ; @_ZN7rocprim17ROCPRIM_400000_NS6detail17trampoline_kernelINS0_14default_configENS1_25partition_config_selectorILNS1_17partition_subalgoE3ExNS0_10empty_typeEbEEZZNS1_14partition_implILS5_3ELb0ES3_jN6thrust23THRUST_200600_302600_NS6detail15normal_iteratorINSA_7pointerIxNSA_11hip_rocprim3tagENSA_11use_defaultESG_EEEEPS6_SJ_NS0_5tupleIJPxSJ_EEENSK_IJSJ_SJ_EEES6_PlJ7is_evenIxEEEE10hipError_tPvRmT3_T4_T5_T6_T7_T9_mT8_P12ihipStream_tbDpT10_ENKUlT_T0_E_clISt17integral_constantIbLb0EES19_IbLb1EEEEDaS15_S16_EUlS15_E_NS1_11comp_targetILNS1_3genE5ELNS1_11target_archE942ELNS1_3gpuE9ELNS1_3repE0EEENS1_30default_config_static_selectorELNS0_4arch9wavefront6targetE1EEEvT1_
; %bb.0:
	s_load_dwordx2 s[22:23], s[0:1], 0x28
	s_load_dwordx4 s[24:27], s[0:1], 0x48
	s_load_dwordx2 s[34:35], s[0:1], 0x58
	s_load_dwordx2 s[36:37], s[0:1], 0x68
	v_cmp_eq_u32_e64 s[20:21], 0, v0
	s_and_saveexec_b64 s[2:3], s[20:21]
	s_cbranch_execz .LBB41_4
; %bb.1:
	s_mov_b64 s[6:7], exec
	v_mbcnt_lo_u32_b32 v1, s6, 0
	v_mbcnt_hi_u32_b32 v1, s7, v1
	v_cmp_eq_u32_e32 vcc, 0, v1
                                        ; implicit-def: $vgpr2
	s_and_saveexec_b64 s[4:5], vcc
	s_cbranch_execz .LBB41_3
; %bb.2:
	s_load_dwordx2 s[8:9], s[0:1], 0x78
	s_bcnt1_i32_b64 s6, s[6:7]
	v_mov_b32_e32 v2, 0
	v_mov_b32_e32 v3, s6
	s_waitcnt lgkmcnt(0)
	global_atomic_add v2, v2, v3, s[8:9] sc0
.LBB41_3:
	s_or_b64 exec, exec, s[4:5]
	s_waitcnt vmcnt(0)
	v_readfirstlane_b32 s4, v2
	v_mov_b32_e32 v2, 0
	s_nop 0
	v_add_u32_e32 v1, s4, v1
	ds_write_b32 v2, v1
.LBB41_4:
	s_or_b64 exec, exec, s[2:3]
	v_mov_b32_e32 v19, 0
	s_load_dwordx4 s[28:31], s[0:1], 0x8
	s_load_dword s2, s[0:1], 0x70
	s_waitcnt lgkmcnt(0)
	s_barrier
	ds_read_b32 v1, v19
	s_waitcnt lgkmcnt(0)
	s_barrier
	global_load_dwordx2 v[20:21], v19, s[26:27]
	s_lshl_b64 s[0:1], s[30:31], 3
	s_add_u32 s0, s28, s0
	s_addc_u32 s1, s29, s1
	s_movk_i32 s3, 0xe00
	s_add_i32 s4, s2, -1
	s_mulk_i32 s2, 0xe00
	v_mul_lo_u32 v18, v1, s3
	s_add_i32 s3, s2, s30
	s_sub_i32 s33, s34, s3
	s_addk_i32 s33, 0xe00
	s_add_u32 s2, s30, s2
	v_readfirstlane_b32 s40, v1
	s_addc_u32 s3, s31, 0
	s_cmp_eq_u32 s40, s4
	v_mov_b64_e32 v[2:3], s[34:35]
	s_cselect_b64 s[26:27], -1, 0
	s_cmp_lg_u32 s40, s4
	v_cmp_lt_u64_e32 vcc, s[2:3], v[2:3]
	s_cselect_b64 s[2:3], -1, 0
	s_or_b64 s[4:5], vcc, s[2:3]
	v_lshlrev_b64 v[2:3], 3, v[18:19]
	v_lshl_add_u64 v[24:25], s[0:1], 0, v[2:3]
	s_mov_b64 s[0:1], -1
	s_and_b64 vcc, exec, s[4:5]
	v_lshlrev_b32_e32 v22, 3, v0
	s_cbranch_vccz .LBB41_6
; %bb.5:
	v_mov_b32_e32 v23, v19
	v_lshl_add_u64 v[2:3], v[24:25], 0, v[22:23]
	v_add_co_u32_e32 v4, vcc, 0x1000, v2
	s_mov_b64 s[0:1], 0
	s_nop 0
	v_addc_co_u32_e32 v5, vcc, 0, v3, vcc
	v_add_co_u32_e32 v6, vcc, 0x2000, v2
	s_nop 1
	v_addc_co_u32_e32 v7, vcc, 0, v3, vcc
	v_add_co_u32_e32 v8, vcc, 0x3000, v2
	s_nop 1
	v_addc_co_u32_e32 v9, vcc, 0, v3, vcc
	flat_load_dwordx2 v[10:11], v[2:3]
	flat_load_dwordx2 v[12:13], v[4:5]
	;; [unrolled: 1-line block ×4, first 2 shown]
	v_add_co_u32_e32 v4, vcc, 0x4000, v2
	s_nop 1
	v_addc_co_u32_e32 v5, vcc, 0, v3, vcc
	v_add_co_u32_e32 v6, vcc, 0x5000, v2
	s_nop 1
	v_addc_co_u32_e32 v7, vcc, 0, v3, vcc
	;; [unrolled: 3-line block ×3, first 2 shown]
	flat_load_dwordx2 v[8:9], v[4:5]
	flat_load_dwordx2 v[26:27], v[6:7]
	;; [unrolled: 1-line block ×3, first 2 shown]
	s_waitcnt vmcnt(0) lgkmcnt(0)
	ds_write2st64_b64 v22, v[10:11], v[12:13] offset1:8
	ds_write2st64_b64 v22, v[14:15], v[16:17] offset0:16 offset1:24
	ds_write2st64_b64 v22, v[8:9], v[26:27] offset0:32 offset1:40
	ds_write_b64 v22, v[28:29] offset:24576
	s_waitcnt lgkmcnt(0)
	s_barrier
.LBB41_6:
	s_andn2_b64 vcc, exec, s[0:1]
	v_cmp_gt_u32_e64 s[0:1], s33, v0
	s_cbranch_vccnz .LBB41_22
; %bb.7:
                                        ; implicit-def: $vgpr2_vgpr3_vgpr4_vgpr5_vgpr6_vgpr7_vgpr8_vgpr9_vgpr10_vgpr11_vgpr12_vgpr13_vgpr14_vgpr15_vgpr16_vgpr17
	s_and_saveexec_b64 s[2:3], s[0:1]
	s_cbranch_execz .LBB41_9
; %bb.8:
	v_mov_b32_e32 v23, 0
	v_lshl_add_u64 v[2:3], v[24:25], 0, v[22:23]
	flat_load_dwordx2 v[2:3], v[2:3]
.LBB41_9:
	s_or_b64 exec, exec, s[2:3]
	v_or_b32_e32 v1, 0x200, v0
	v_cmp_gt_u32_e32 vcc, s33, v1
	s_and_saveexec_b64 s[0:1], vcc
	s_cbranch_execz .LBB41_11
; %bb.10:
	v_lshlrev_b32_e32 v4, 3, v1
	v_mov_b32_e32 v5, 0
	v_lshl_add_u64 v[4:5], v[24:25], 0, v[4:5]
	flat_load_dwordx2 v[4:5], v[4:5]
.LBB41_11:
	s_or_b64 exec, exec, s[0:1]
	v_or_b32_e32 v1, 0x400, v0
	v_cmp_gt_u32_e32 vcc, s33, v1
	s_and_saveexec_b64 s[0:1], vcc
	s_cbranch_execz .LBB41_13
; %bb.12:
	v_lshlrev_b32_e32 v6, 3, v1
	v_mov_b32_e32 v7, 0
	v_lshl_add_u64 v[6:7], v[24:25], 0, v[6:7]
	flat_load_dwordx2 v[6:7], v[6:7]
.LBB41_13:
	;; [unrolled: 11-line block ×6, first 2 shown]
	s_or_b64 exec, exec, s[0:1]
	s_waitcnt vmcnt(0) lgkmcnt(0)
	ds_write2st64_b64 v22, v[2:3], v[4:5] offset1:8
	ds_write2st64_b64 v22, v[6:7], v[8:9] offset0:16 offset1:24
	ds_write2st64_b64 v22, v[10:11], v[12:13] offset0:32 offset1:40
	ds_write_b64 v22, v[14:15] offset:24576
	s_waitcnt lgkmcnt(0)
	s_barrier
.LBB41_22:
	v_mul_u32_u24_e32 v1, 7, v0
	v_lshlrev_b32_e32 v37, 3, v1
	ds_read2_b64 v[10:13], v37 offset1:1
	ds_read2_b64 v[6:9], v37 offset0:2 offset1:3
	ds_read2_b64 v[2:5], v37 offset0:4 offset1:5
	ds_read_b64 v[16:17], v37 offset:48
	v_cndmask_b32_e64 v14, 0, 1, s[4:5]
	v_cmp_ne_u32_e64 s[2:3], 1, v14
	s_andn2_b64 vcc, exec, s[4:5]
	s_waitcnt lgkmcnt(3)
	v_xor_b32_e32 v28, -1, v10
	v_xor_b32_e32 v27, -1, v12
	s_waitcnt lgkmcnt(2)
	v_xor_b32_e32 v26, -1, v6
	v_xor_b32_e32 v25, -1, v8
	;; [unrolled: 3-line block ×3, first 2 shown]
	s_waitcnt lgkmcnt(0)
	v_xor_b32_e32 v14, -1, v16
	s_barrier
	s_cbranch_vccnz .LBB41_24
; %bb.23:
	v_mov_b32_e32 v23, 1
	v_and_b32_e32 v29, 1, v28
	v_and_b32_sdwa v30, v27, v23 dst_sel:BYTE_1 dst_unused:UNUSED_PAD src0_sel:DWORD src1_sel:DWORD
	v_and_b32_e32 v31, 1, v26
	v_and_b32_sdwa v34, v25, v23 dst_sel:BYTE_1 dst_unused:UNUSED_PAD src0_sel:DWORD src1_sel:DWORD
	v_or_b32_e32 v29, v29, v30
	v_or_b32_sdwa v30, v31, v34 dst_sel:WORD_1 dst_unused:UNUSED_PAD src0_sel:DWORD src1_sel:DWORD
	v_and_b32_e32 v33, 1, v24
	v_and_b32_e32 v32, 1, v15
	;; [unrolled: 1-line block ×3, first 2 shown]
	v_or_b32_sdwa v34, v29, v30 dst_sel:DWORD dst_unused:UNUSED_PAD src0_sel:WORD_0 src1_sel:DWORD
	s_cbranch_execz .LBB41_25
	s_branch .LBB41_26
.LBB41_24:
                                        ; implicit-def: $vgpr23
                                        ; implicit-def: $vgpr32
                                        ; implicit-def: $vgpr33
                                        ; implicit-def: $vgpr34
.LBB41_25:
	v_add_u32_e32 v23, 1, v1
	v_cmp_gt_u32_e32 vcc, s33, v1
	v_add_u32_e32 v29, 2, v1
	v_add_u32_e32 v30, 3, v1
	v_cndmask_b32_e64 v33, 0, 1, vcc
	v_cmp_gt_u32_e32 vcc, s33, v23
	v_add_u32_e32 v31, 4, v1
	v_add_u32_e32 v32, 5, v1
	v_cndmask_b32_e64 v23, 0, 1, vcc
	v_cmp_gt_u32_e32 vcc, s33, v29
	v_and_b32_sdwa v27, v23, v27 dst_sel:BYTE_1 dst_unused:UNUSED_PAD src0_sel:DWORD src1_sel:DWORD
	v_add_u32_e32 v34, 6, v1
	v_cndmask_b32_e64 v23, 0, 1, vcc
	v_cmp_gt_u32_e32 vcc, s33, v30
	v_and_b32_e32 v26, v23, v26
	v_and_b32_e32 v28, v33, v28
	v_cndmask_b32_e64 v23, 0, 1, vcc
	v_cmp_gt_u32_e32 vcc, s33, v31
	v_and_b32_sdwa v25, v23, v25 dst_sel:BYTE_1 dst_unused:UNUSED_PAD src0_sel:DWORD src1_sel:DWORD
	s_nop 0
	v_cndmask_b32_e64 v23, 0, 1, vcc
	v_cmp_gt_u32_e32 vcc, s33, v32
	v_and_b32_e32 v33, v23, v24
	s_nop 0
	v_cndmask_b32_e64 v23, 0, 1, vcc
	v_cmp_gt_u32_e32 vcc, s33, v34
	v_and_b32_e32 v32, v23, v15
	s_nop 0
	v_cndmask_b32_e64 v15, 0, 1, vcc
	v_and_b32_e32 v23, v15, v14
	v_or_b32_e32 v14, v28, v27
	v_or_b32_sdwa v15, v26, v25 dst_sel:WORD_1 dst_unused:UNUSED_PAD src0_sel:DWORD src1_sel:DWORD
	s_nop 0
	v_or_b32_sdwa v34, v14, v15 dst_sel:DWORD dst_unused:UNUSED_PAD src0_sel:WORD_0 src1_sel:DWORD
.LBB41_26:
	v_and_b32_e32 v38, 0xff, v34
	v_bfe_u32 v39, v34, 8, 8
	v_bfe_u32 v40, v34, 16, 8
	v_lshrrev_b32_e32 v35, 24, v34
	v_and_b32_e32 v41, 0xff, v33
	v_add3_u32 v15, v39, v38, v40
	v_and_b32_e32 v42, 0xff, v32
	v_and_b32_e32 v14, 0xff, v23
	v_add3_u32 v15, v15, v35, v41
	v_add3_u32 v45, v15, v42, v14
	v_mbcnt_lo_u32_b32 v14, -1, 0
	v_mbcnt_hi_u32_b32 v43, -1, v14
	v_and_b32_e32 v14, 15, v43
	v_cmp_eq_u32_e64 s[16:17], 0, v14
	v_cmp_lt_u32_e64 s[14:15], 1, v14
	v_cmp_lt_u32_e64 s[12:13], 3, v14
	;; [unrolled: 1-line block ×3, first 2 shown]
	v_and_b32_e32 v14, 16, v43
	v_cmp_eq_u32_e64 s[8:9], 0, v14
	v_or_b32_e32 v14, 63, v0
	s_cmp_lg_u32 s40, 0
	v_cmp_lt_u32_e64 s[4:5], 31, v43
	v_lshrrev_b32_e32 v44, 6, v0
	v_cmp_eq_u32_e64 s[6:7], v14, v0
	s_cbranch_scc0 .LBB41_53
; %bb.27:
	v_mov_b32_dpp v14, v45 row_shr:1 row_mask:0xf bank_mask:0xf
	v_cndmask_b32_e64 v14, v14, 0, s[16:17]
	v_add_u32_e32 v14, v14, v45
	s_nop 1
	v_mov_b32_dpp v15, v14 row_shr:2 row_mask:0xf bank_mask:0xf
	v_cndmask_b32_e64 v15, 0, v15, s[14:15]
	v_add_u32_e32 v14, v14, v15
	s_nop 1
	;; [unrolled: 4-line block ×4, first 2 shown]
	v_mov_b32_dpp v15, v14 row_bcast:15 row_mask:0xf bank_mask:0xf
	v_cndmask_b32_e64 v15, v15, 0, s[8:9]
	v_add_u32_e32 v14, v14, v15
	s_nop 1
	v_mov_b32_dpp v15, v14 row_bcast:31 row_mask:0xf bank_mask:0xf
	v_cndmask_b32_e64 v15, 0, v15, s[4:5]
	v_add_u32_e32 v14, v14, v15
	s_and_saveexec_b64 s[0:1], s[6:7]
	s_cbranch_execz .LBB41_29
; %bb.28:
	v_lshlrev_b32_e32 v15, 2, v44
	ds_write_b32 v15, v14
.LBB41_29:
	s_or_b64 exec, exec, s[0:1]
	v_cmp_gt_u32_e32 vcc, 8, v0
	s_waitcnt lgkmcnt(0)
	s_barrier
	s_and_saveexec_b64 s[0:1], vcc
	s_cbranch_execz .LBB41_31
; %bb.30:
	v_lshlrev_b32_e32 v15, 2, v0
	ds_read_b32 v24, v15
	v_and_b32_e32 v25, 7, v43
	v_cmp_ne_u32_e32 vcc, 0, v25
	s_waitcnt lgkmcnt(0)
	v_mov_b32_dpp v26, v24 row_shr:1 row_mask:0xf bank_mask:0xf
	v_cndmask_b32_e32 v26, 0, v26, vcc
	v_add_u32_e32 v24, v26, v24
	v_cmp_lt_u32_e32 vcc, 1, v25
	s_nop 0
	v_mov_b32_dpp v26, v24 row_shr:2 row_mask:0xf bank_mask:0xf
	v_cndmask_b32_e32 v26, 0, v26, vcc
	v_add_u32_e32 v24, v24, v26
	v_cmp_lt_u32_e32 vcc, 3, v25
	s_nop 0
	v_mov_b32_dpp v26, v24 row_shr:4 row_mask:0xf bank_mask:0xf
	v_cndmask_b32_e32 v25, 0, v26, vcc
	v_add_u32_e32 v24, v24, v25
	ds_write_b32 v15, v24
.LBB41_31:
	s_or_b64 exec, exec, s[0:1]
	v_cmp_gt_u32_e32 vcc, 64, v0
	v_cmp_lt_u32_e64 s[0:1], 63, v0
	s_waitcnt lgkmcnt(0)
	s_barrier
	s_waitcnt lgkmcnt(0)
                                        ; implicit-def: $vgpr36
	s_and_saveexec_b64 s[18:19], s[0:1]
	s_cbranch_execz .LBB41_33
; %bb.32:
	v_lshl_add_u32 v15, v44, 2, -4
	ds_read_b32 v36, v15
	s_waitcnt lgkmcnt(0)
	v_add_u32_e32 v14, v36, v14
.LBB41_33:
	s_or_b64 exec, exec, s[18:19]
	v_add_u32_e32 v15, -1, v43
	v_and_b32_e32 v24, 64, v43
	v_cmp_lt_i32_e64 s[0:1], v15, v24
	v_cmp_eq_u32_e64 s[18:19], 0, v43
	s_nop 0
	v_cndmask_b32_e64 v15, v15, v43, s[0:1]
	v_lshlrev_b32_e32 v15, 2, v15
	ds_bpermute_b32 v46, v15, v14
	s_and_saveexec_b64 s[0:1], vcc
	s_cbranch_execz .LBB41_52
; %bb.34:
	v_mov_b32_e32 v29, 0
	ds_read_b32 v14, v29 offset:28
	s_and_saveexec_b64 s[28:29], s[18:19]
	s_cbranch_execz .LBB41_36
; %bb.35:
	s_add_i32 s38, s40, 64
	s_mov_b32 s39, 0
	s_lshl_b64 s[38:39], s[38:39], 3
	s_add_u32 s38, s36, s38
	v_mov_b32_e32 v15, 1
	s_addc_u32 s39, s37, s39
	s_waitcnt lgkmcnt(0)
	global_store_dwordx2 v29, v[14:15], s[38:39] sc1
.LBB41_36:
	s_or_b64 exec, exec, s[28:29]
	v_xad_u32 v24, v43, -1, s40
	v_add_u32_e32 v28, 64, v24
	v_lshl_add_u64 v[30:31], v[28:29], 3, s[36:37]
	global_load_dwordx2 v[26:27], v[30:31], off sc1
	s_waitcnt vmcnt(0)
	v_cmp_eq_u16_sdwa s[38:39], v27, v29 src0_sel:BYTE_0 src1_sel:DWORD
	s_and_saveexec_b64 s[28:29], s[38:39]
	s_cbranch_execz .LBB41_40
; %bb.37:
	s_mov_b64 s[38:39], 0
	v_mov_b32_e32 v15, 0
.LBB41_38:                              ; =>This Inner Loop Header: Depth=1
	global_load_dwordx2 v[26:27], v[30:31], off sc1
	s_waitcnt vmcnt(0)
	v_cmp_ne_u16_sdwa s[42:43], v27, v15 src0_sel:BYTE_0 src1_sel:DWORD
	s_or_b64 s[38:39], s[42:43], s[38:39]
	s_andn2_b64 exec, exec, s[38:39]
	s_cbranch_execnz .LBB41_38
; %bb.39:
	s_or_b64 exec, exec, s[38:39]
.LBB41_40:
	s_or_b64 exec, exec, s[28:29]
	v_and_b32_e32 v48, 63, v43
	v_mov_b32_e32 v47, 2
	v_cmp_ne_u32_e32 vcc, 63, v48
	v_cmp_eq_u16_sdwa s[28:29], v27, v47 src0_sel:BYTE_0 src1_sel:DWORD
	v_lshlrev_b64 v[28:29], v43, -1
	v_addc_co_u32_e32 v30, vcc, 0, v43, vcc
	v_and_b32_e32 v15, s29, v29
	v_lshlrev_b32_e32 v49, 2, v30
	v_or_b32_e32 v15, 0x80000000, v15
	ds_bpermute_b32 v30, v49, v26
	v_and_b32_e32 v25, s28, v28
	v_ffbl_b32_e32 v15, v15
	v_add_u32_e32 v15, 32, v15
	v_ffbl_b32_e32 v25, v25
	v_min_u32_e32 v15, v25, v15
	v_cmp_lt_u32_e32 vcc, v48, v15
	v_add_u32_e32 v51, 2, v48
	v_add_u32_e32 v53, 4, v48
	s_waitcnt lgkmcnt(0)
	v_cndmask_b32_e32 v25, 0, v30, vcc
	v_cmp_gt_u32_e32 vcc, 62, v48
	v_add_u32_e32 v25, v25, v26
	v_add_u32_e32 v55, 8, v48
	v_cndmask_b32_e64 v26, 0, 1, vcc
	v_lshlrev_b32_e32 v26, 1, v26
	v_add_lshl_u32 v50, v26, v43, 2
	ds_bpermute_b32 v26, v50, v25
	v_cmp_le_u32_e32 vcc, v51, v15
	v_add_u32_e32 v57, 16, v48
	v_add_u32_e32 v59, 32, v48
	s_waitcnt lgkmcnt(0)
	v_cndmask_b32_e32 v26, 0, v26, vcc
	v_cmp_gt_u32_e32 vcc, 60, v48
	v_add_u32_e32 v25, v25, v26
	s_nop 0
	v_cndmask_b32_e64 v26, 0, 1, vcc
	v_lshlrev_b32_e32 v26, 2, v26
	v_add_lshl_u32 v52, v26, v43, 2
	ds_bpermute_b32 v26, v52, v25
	v_cmp_le_u32_e32 vcc, v53, v15
	s_waitcnt lgkmcnt(0)
	s_nop 0
	v_cndmask_b32_e32 v26, 0, v26, vcc
	v_cmp_gt_u32_e32 vcc, 56, v48
	v_add_u32_e32 v25, v25, v26
	s_nop 0
	v_cndmask_b32_e64 v26, 0, 1, vcc
	v_lshlrev_b32_e32 v26, 3, v26
	v_add_lshl_u32 v54, v26, v43, 2
	ds_bpermute_b32 v26, v54, v25
	v_cmp_le_u32_e32 vcc, v55, v15
	s_waitcnt lgkmcnt(0)
	s_nop 0
	;; [unrolled: 11-line block ×4, first 2 shown]
	v_cndmask_b32_e32 v15, 0, v26, vcc
	v_add_u32_e32 v26, v25, v15
	v_mov_b32_e32 v25, 0
	s_branch .LBB41_42
.LBB41_41:                              ;   in Loop: Header=BB41_42 Depth=1
	s_or_b64 exec, exec, s[28:29]
	v_cmp_eq_u16_sdwa s[28:29], v27, v47 src0_sel:BYTE_0 src1_sel:DWORD
	ds_bpermute_b32 v60, v49, v26
	v_subrev_u32_e32 v24, 64, v24
	v_and_b32_e32 v30, s29, v29
	v_or_b32_e32 v30, 0x80000000, v30
	v_and_b32_e32 v31, s28, v28
	v_ffbl_b32_e32 v30, v30
	v_add_u32_e32 v30, 32, v30
	v_ffbl_b32_e32 v31, v31
	v_min_u32_e32 v30, v31, v30
	v_cmp_lt_u32_e32 vcc, v48, v30
	s_waitcnt lgkmcnt(0)
	s_nop 0
	v_cndmask_b32_e32 v31, 0, v60, vcc
	v_add_u32_e32 v26, v31, v26
	ds_bpermute_b32 v31, v50, v26
	v_cmp_le_u32_e32 vcc, v51, v30
	s_waitcnt lgkmcnt(0)
	s_nop 0
	v_cndmask_b32_e32 v31, 0, v31, vcc
	v_add_u32_e32 v26, v26, v31
	ds_bpermute_b32 v31, v52, v26
	v_cmp_le_u32_e32 vcc, v53, v30
	;; [unrolled: 6-line block ×5, first 2 shown]
	s_waitcnt lgkmcnt(0)
	s_nop 0
	v_cndmask_b32_e32 v30, 0, v31, vcc
	v_add3_u32 v26, v30, v15, v26
.LBB41_42:                              ; =>This Loop Header: Depth=1
                                        ;     Child Loop BB41_45 Depth 2
	v_cmp_ne_u16_sdwa s[28:29], v27, v47 src0_sel:BYTE_0 src1_sel:DWORD
	s_nop 1
	v_cndmask_b32_e64 v15, 0, 1, s[28:29]
	;;#ASMSTART
	;;#ASMEND
	s_nop 0
	v_cmp_ne_u32_e32 vcc, 0, v15
	s_cmp_lg_u64 vcc, exec
	v_mov_b32_e32 v15, v26
	s_cbranch_scc1 .LBB41_47
; %bb.43:                               ;   in Loop: Header=BB41_42 Depth=1
	v_lshl_add_u64 v[30:31], v[24:25], 3, s[36:37]
	global_load_dwordx2 v[26:27], v[30:31], off sc1
	s_waitcnt vmcnt(0)
	v_cmp_eq_u16_sdwa s[38:39], v27, v25 src0_sel:BYTE_0 src1_sel:DWORD
	s_and_saveexec_b64 s[28:29], s[38:39]
	s_cbranch_execz .LBB41_41
; %bb.44:                               ;   in Loop: Header=BB41_42 Depth=1
	s_mov_b64 s[38:39], 0
.LBB41_45:                              ;   Parent Loop BB41_42 Depth=1
                                        ; =>  This Inner Loop Header: Depth=2
	global_load_dwordx2 v[26:27], v[30:31], off sc1
	s_waitcnt vmcnt(0)
	v_cmp_ne_u16_sdwa s[42:43], v27, v25 src0_sel:BYTE_0 src1_sel:DWORD
	s_or_b64 s[38:39], s[42:43], s[38:39]
	s_andn2_b64 exec, exec, s[38:39]
	s_cbranch_execnz .LBB41_45
; %bb.46:                               ;   in Loop: Header=BB41_42 Depth=1
	s_or_b64 exec, exec, s[38:39]
	s_branch .LBB41_41
.LBB41_47:                              ;   in Loop: Header=BB41_42 Depth=1
                                        ; implicit-def: $vgpr26
                                        ; implicit-def: $vgpr27
	s_cbranch_execz .LBB41_42
; %bb.48:
	s_and_saveexec_b64 s[28:29], s[18:19]
	s_cbranch_execz .LBB41_50
; %bb.49:
	s_add_i32 s38, s40, 64
	s_mov_b32 s39, 0
	s_lshl_b64 s[38:39], s[38:39], 3
	s_add_u32 s38, s36, s38
	v_add_u32_e32 v24, v15, v14
	v_mov_b32_e32 v25, 2
	s_addc_u32 s39, s37, s39
	v_mov_b32_e32 v26, 0
	global_store_dwordx2 v26, v[24:25], s[38:39] sc1
	ds_write_b64 v26, v[14:15] offset:28672
.LBB41_50:
	s_or_b64 exec, exec, s[28:29]
	s_and_b64 exec, exec, s[20:21]
	s_cbranch_execz .LBB41_52
; %bb.51:
	v_mov_b32_e32 v14, 0
	ds_write_b32 v14, v15 offset:28
.LBB41_52:
	s_or_b64 exec, exec, s[0:1]
	v_mov_b32_e32 v14, 0
	s_waitcnt lgkmcnt(0)
	s_barrier
	ds_read_b32 v15, v14 offset:28
	v_cndmask_b32_e64 v24, v46, v36, s[18:19]
	v_cndmask_b32_e64 v24, v24, 0, s[20:21]
	s_waitcnt lgkmcnt(0)
	s_barrier
	v_add_u32_e32 v30, v15, v24
	v_add_u32_e32 v29, v30, v38
	ds_read_b64 v[14:15], v14 offset:28672
	v_add_u32_e32 v28, v29, v39
	v_add_u32_e32 v27, v28, v40
	;; [unrolled: 1-line block ×5, first 2 shown]
	s_waitcnt lgkmcnt(0)
	v_mov_b32_e32 v36, v15
	s_branch .LBB41_63
.LBB41_53:
                                        ; implicit-def: $vgpr36
                                        ; implicit-def: $vgpr14
                                        ; implicit-def: $vgpr24
                                        ; implicit-def: $vgpr25
                                        ; implicit-def: $vgpr26
                                        ; implicit-def: $vgpr27
                                        ; implicit-def: $vgpr28
                                        ; implicit-def: $vgpr29
                                        ; implicit-def: $vgpr30
	s_cbranch_execz .LBB41_63
; %bb.54:
	s_nop 0
	v_mov_b32_dpp v14, v45 row_shr:1 row_mask:0xf bank_mask:0xf
	v_cndmask_b32_e64 v14, v14, 0, s[16:17]
	v_add_u32_e32 v14, v14, v45
	s_nop 1
	v_mov_b32_dpp v15, v14 row_shr:2 row_mask:0xf bank_mask:0xf
	v_cndmask_b32_e64 v15, 0, v15, s[14:15]
	v_add_u32_e32 v14, v14, v15
	;; [unrolled: 4-line block ×4, first 2 shown]
	s_nop 1
	v_mov_b32_dpp v15, v14 row_bcast:15 row_mask:0xf bank_mask:0xf
	v_cndmask_b32_e64 v15, v15, 0, s[8:9]
	v_add_u32_e32 v14, v14, v15
	s_nop 1
	v_mov_b32_dpp v15, v14 row_bcast:31 row_mask:0xf bank_mask:0xf
	v_cndmask_b32_e64 v15, 0, v15, s[4:5]
	v_add_u32_e32 v14, v14, v15
	s_and_saveexec_b64 s[0:1], s[6:7]
	s_cbranch_execz .LBB41_56
; %bb.55:
	v_lshlrev_b32_e32 v15, 2, v44
	ds_write_b32 v15, v14
.LBB41_56:
	s_or_b64 exec, exec, s[0:1]
	v_cmp_gt_u32_e32 vcc, 8, v0
	s_waitcnt lgkmcnt(0)
	s_barrier
	s_and_saveexec_b64 s[0:1], vcc
	s_cbranch_execz .LBB41_58
; %bb.57:
	s_movk_i32 s4, 0xffcc
	v_mad_i32_i24 v15, v0, s4, v37
	ds_read_b32 v24, v15
	v_and_b32_e32 v25, 7, v43
	v_cmp_ne_u32_e32 vcc, 0, v25
	s_waitcnt lgkmcnt(0)
	v_mov_b32_dpp v26, v24 row_shr:1 row_mask:0xf bank_mask:0xf
	v_cndmask_b32_e32 v26, 0, v26, vcc
	v_add_u32_e32 v24, v26, v24
	v_cmp_lt_u32_e32 vcc, 1, v25
	s_nop 0
	v_mov_b32_dpp v26, v24 row_shr:2 row_mask:0xf bank_mask:0xf
	v_cndmask_b32_e32 v26, 0, v26, vcc
	v_add_u32_e32 v24, v24, v26
	v_cmp_lt_u32_e32 vcc, 3, v25
	s_nop 0
	v_mov_b32_dpp v26, v24 row_shr:4 row_mask:0xf bank_mask:0xf
	v_cndmask_b32_e32 v25, 0, v26, vcc
	v_add_u32_e32 v24, v24, v25
	ds_write_b32 v15, v24
.LBB41_58:
	s_or_b64 exec, exec, s[0:1]
	v_cmp_lt_u32_e32 vcc, 63, v0
	v_mov_b32_e32 v15, 0
	v_mov_b32_e32 v24, 0
	s_waitcnt lgkmcnt(0)
	s_barrier
	s_and_saveexec_b64 s[0:1], vcc
	s_cbranch_execz .LBB41_60
; %bb.59:
	v_lshl_add_u32 v24, v44, 2, -4
	ds_read_b32 v24, v24
.LBB41_60:
	s_or_b64 exec, exec, s[0:1]
	v_add_u32_e32 v25, -1, v43
	v_and_b32_e32 v26, 64, v43
	v_cmp_lt_i32_e32 vcc, v25, v26
	s_waitcnt lgkmcnt(0)
	v_add_u32_e32 v14, v24, v14
	v_cndmask_b32_e32 v25, v25, v43, vcc
	v_lshlrev_b32_e32 v25, 2, v25
	ds_bpermute_b32 v25, v25, v14
	ds_read_b32 v14, v15 offset:28
	s_and_saveexec_b64 s[0:1], s[20:21]
	s_cbranch_execz .LBB41_62
; %bb.61:
	v_mov_b32_e32 v26, 0
	v_mov_b32_e32 v15, 2
	s_waitcnt lgkmcnt(0)
	global_store_dwordx2 v26, v[14:15], s[36:37] offset:512 sc1
.LBB41_62:
	s_or_b64 exec, exec, s[0:1]
	v_cmp_eq_u32_e32 vcc, 0, v43
	v_mov_b32_e32 v36, 0
	s_waitcnt lgkmcnt(0)
	v_cndmask_b32_e32 v15, v25, v24, vcc
	v_cndmask_b32_e64 v30, v15, 0, s[20:21]
	v_add_u32_e32 v29, v30, v38
	v_add_u32_e32 v28, v29, v39
	;; [unrolled: 1-line block ×6, first 2 shown]
	s_barrier
.LBB41_63:
	v_add_u32_e32 v1, v14, v1
	v_sub_u32_e32 v30, v30, v36
	v_and_b32_e32 v37, 1, v34
	v_sub_u32_e32 v31, v1, v30
	v_cmp_eq_u32_e32 vcc, 1, v37
	v_lshrrev_b32_e32 v15, 8, v34
	v_and_b32_e32 v15, 1, v15
	v_cndmask_b32_e32 v30, v31, v30, vcc
	v_lshlrev_b32_e32 v30, 3, v30
	ds_write_b64 v30, v[10:11]
	v_sub_u32_e32 v10, v29, v36
	v_sub_u32_e32 v11, v1, v10
	v_add_u32_e32 v11, 1, v11
	v_cmp_eq_u32_e32 vcc, 1, v15
	v_lshl_add_u64 v[18:19], s[30:31], 0, v[18:19]
	v_or_b32_e32 v30, 0x600, v0
	v_cndmask_b32_e32 v10, v11, v10, vcc
	v_lshlrev_b32_e32 v10, 3, v10
	ds_write_b64 v10, v[12:13]
	v_sub_u32_e32 v10, v28, v36
	v_mov_b32_e32 v12, 1
	v_sub_u32_e32 v11, v1, v10
	v_and_b32_sdwa v12, v12, v34 dst_sel:DWORD dst_unused:UNUSED_PAD src0_sel:DWORD src1_sel:WORD_1
	v_add_u32_e32 v11, 2, v11
	v_cmp_eq_u32_e32 vcc, 1, v12
	v_or_b32_e32 v34, 0x200, v0
	v_or_b32_e32 v28, 0x800, v0
	v_cndmask_b32_e32 v10, v11, v10, vcc
	v_lshlrev_b32_e32 v10, 3, v10
	ds_write_b64 v10, v[6:7]
	v_sub_u32_e32 v6, v27, v36
	v_sub_u32_e32 v7, v1, v6
	v_and_b32_e32 v10, 1, v35
	v_add_u32_e32 v7, 3, v7
	v_cmp_eq_u32_e32 vcc, 1, v10
	s_nop 1
	v_cndmask_b32_e32 v6, v7, v6, vcc
	v_lshlrev_b32_e32 v6, 3, v6
	ds_write_b64 v6, v[8:9]
	v_sub_u32_e32 v6, v26, v36
	v_sub_u32_e32 v7, v1, v6
	v_and_b32_e32 v8, 1, v33
	v_add_u32_e32 v7, 4, v7
	v_cmp_eq_u32_e32 vcc, 1, v8
	v_or_b32_e32 v26, 0xa00, v0
	s_nop 0
	v_cndmask_b32_e32 v6, v7, v6, vcc
	v_lshlrev_b32_e32 v6, 3, v6
	ds_write_b64 v6, v[2:3]
	v_sub_u32_e32 v2, v25, v36
	v_sub_u32_e32 v3, v1, v2
	v_and_b32_e32 v6, 1, v32
	v_add_u32_e32 v3, 5, v3
	v_cmp_eq_u32_e32 vcc, 1, v6
	v_or_b32_e32 v32, 0x400, v0
	;; [unrolled: 10-line block ×3, first 2 shown]
	s_nop 0
	v_cndmask_b32_e32 v1, v1, v2, vcc
	v_lshlrev_b32_e32 v1, 3, v1
	ds_write_b64 v1, v[16:17]
	v_mov_b32_e32 v1, 0
	s_waitcnt lgkmcnt(0)
	s_barrier
	ds_read2st64_b64 v[10:13], v22 offset1:8
	ds_read2st64_b64 v[6:9], v22 offset0:16 offset1:24
	ds_read2st64_b64 v[2:5], v22 offset0:32 offset1:40
	ds_read_b64 v[22:23], v22 offset:24576
	v_mov_b32_e32 v37, v1
	s_waitcnt vmcnt(0)
	v_lshl_add_u64 v[16:17], v[20:21], 0, v[36:37]
	v_mov_b32_e32 v20, s35
	v_sub_co_u32_e32 v18, vcc, s34, v18
	v_mov_b32_e32 v15, v1
	s_nop 0
	v_subb_co_u32_e32 v19, vcc, v20, v19, vcc
	v_lshl_add_u64 v[18:19], v[18:19], 0, v[14:15]
	v_mov_b32_e32 v35, v1
	v_mov_b32_e32 v33, v1
	;; [unrolled: 1-line block ×6, first 2 shown]
	s_and_b64 vcc, exec, s[2:3]
	v_lshl_add_u64 v[18:19], v[18:19], 0, v[16:17]
	s_cbranch_vccnz .LBB41_96
; %bb.64:
	v_cmp_ge_u32_e32 vcc, v0, v14
                                        ; implicit-def: $vgpr20_vgpr21
	s_and_saveexec_b64 s[0:1], vcc
	s_xor_b64 s[0:1], exec, s[0:1]
; %bb.65:
	v_not_b32_e32 v20, v0
	v_ashrrev_i32_e32 v21, 31, v20
	v_lshl_add_u64 v[20:21], v[18:19], 0, v[20:21]
; %bb.66:
	s_andn2_saveexec_b64 s[0:1], s[0:1]
; %bb.67:
	v_lshl_add_u64 v[20:21], v[16:17], 0, v[0:1]
; %bb.68:
	s_or_b64 exec, exec, s[0:1]
	v_lshl_add_u64 v[20:21], v[20:21], 3, s[22:23]
	v_cmp_ge_u32_e32 vcc, v34, v14
	s_waitcnt lgkmcnt(3)
	global_store_dwordx2 v[20:21], v[10:11], off
                                        ; implicit-def: $vgpr20_vgpr21
	s_and_saveexec_b64 s[0:1], vcc
	s_xor_b64 s[0:1], exec, s[0:1]
; %bb.69:
	v_xor_b32_e32 v20, 0xfffffdff, v0
	v_ashrrev_i32_e32 v21, 31, v20
	v_lshl_add_u64 v[20:21], v[18:19], 0, v[20:21]
; %bb.70:
	s_andn2_saveexec_b64 s[0:1], s[0:1]
; %bb.71:
	v_lshl_add_u64 v[20:21], v[16:17], 0, v[34:35]
; %bb.72:
	s_or_b64 exec, exec, s[0:1]
	v_lshl_add_u64 v[20:21], v[20:21], 3, s[22:23]
	v_cmp_ge_u32_e32 vcc, v32, v14
	global_store_dwordx2 v[20:21], v[12:13], off
                                        ; implicit-def: $vgpr20_vgpr21
	s_and_saveexec_b64 s[0:1], vcc
	s_xor_b64 s[0:1], exec, s[0:1]
; %bb.73:
	v_xor_b32_e32 v20, 0xfffffbff, v0
	v_ashrrev_i32_e32 v21, 31, v20
	v_lshl_add_u64 v[20:21], v[18:19], 0, v[20:21]
; %bb.74:
	s_andn2_saveexec_b64 s[0:1], s[0:1]
; %bb.75:
	v_lshl_add_u64 v[20:21], v[16:17], 0, v[32:33]
; %bb.76:
	s_or_b64 exec, exec, s[0:1]
	v_lshl_add_u64 v[20:21], v[20:21], 3, s[22:23]
	v_cmp_ge_u32_e32 vcc, v30, v14
	s_waitcnt lgkmcnt(2)
	global_store_dwordx2 v[20:21], v[6:7], off
                                        ; implicit-def: $vgpr20_vgpr21
	s_and_saveexec_b64 s[0:1], vcc
	s_xor_b64 s[0:1], exec, s[0:1]
; %bb.77:
	v_xor_b32_e32 v20, 0xfffff9ff, v0
	v_ashrrev_i32_e32 v21, 31, v20
	v_lshl_add_u64 v[20:21], v[18:19], 0, v[20:21]
; %bb.78:
	s_andn2_saveexec_b64 s[0:1], s[0:1]
; %bb.79:
	v_lshl_add_u64 v[20:21], v[16:17], 0, v[30:31]
; %bb.80:
	s_or_b64 exec, exec, s[0:1]
	v_lshl_add_u64 v[20:21], v[20:21], 3, s[22:23]
	v_cmp_ge_u32_e32 vcc, v28, v14
	global_store_dwordx2 v[20:21], v[8:9], off
                                        ; implicit-def: $vgpr20_vgpr21
	s_and_saveexec_b64 s[0:1], vcc
	s_xor_b64 s[0:1], exec, s[0:1]
; %bb.81:
	v_xor_b32_e32 v20, 0xfffff7ff, v0
	;; [unrolled: 33-line block ×3, first 2 shown]
	v_ashrrev_i32_e32 v21, 31, v20
	v_lshl_add_u64 v[20:21], v[18:19], 0, v[20:21]
; %bb.90:
	s_andn2_saveexec_b64 s[0:1], s[0:1]
; %bb.91:
	v_lshl_add_u64 v[20:21], v[16:17], 0, v[24:25]
; %bb.92:
	s_or_b64 exec, exec, s[0:1]
	s_mov_b64 s[0:1], -1
.LBB41_93:
	s_and_saveexec_b64 s[2:3], s[0:1]
	s_cbranch_execz .LBB41_140
.LBB41_94:
	v_lshl_add_u64 v[0:1], v[20:21], 3, s[22:23]
	s_waitcnt lgkmcnt(0)
	global_store_dwordx2 v[0:1], v[22:23], off
	s_or_b64 exec, exec, s[2:3]
	s_and_b64 s[0:1], s[20:21], s[26:27]
	s_and_saveexec_b64 s[2:3], s[0:1]
	s_cbranch_execnz .LBB41_141
.LBB41_95:
	s_endpgm
.LBB41_96:
	s_mov_b64 s[0:1], 0
                                        ; implicit-def: $vgpr20_vgpr21
	s_cbranch_execz .LBB41_93
; %bb.97:
	v_cmp_gt_u32_e32 vcc, s33, v0
	s_and_saveexec_b64 s[2:3], vcc
	s_cbranch_execz .LBB41_115
; %bb.98:
	v_cmp_ge_u32_e32 vcc, v0, v14
                                        ; implicit-def: $vgpr20_vgpr21
	s_and_saveexec_b64 s[4:5], vcc
	s_xor_b64 s[4:5], exec, s[4:5]
; %bb.99:
	v_not_b32_e32 v20, v0
	v_ashrrev_i32_e32 v21, 31, v20
	v_lshl_add_u64 v[20:21], v[18:19], 0, v[20:21]
; %bb.100:
	s_andn2_saveexec_b64 s[4:5], s[4:5]
; %bb.101:
	v_lshl_add_u64 v[20:21], v[16:17], 0, v[0:1]
; %bb.102:
	s_or_b64 exec, exec, s[4:5]
	v_lshl_add_u64 v[20:21], v[20:21], 3, s[22:23]
	s_waitcnt lgkmcnt(3)
	global_store_dwordx2 v[20:21], v[10:11], off
	s_or_b64 exec, exec, s[2:3]
	v_cmp_gt_u32_e32 vcc, s33, v34
	s_and_saveexec_b64 s[2:3], vcc
	s_cbranch_execnz .LBB41_116
.LBB41_103:
	s_or_b64 exec, exec, s[2:3]
	v_cmp_gt_u32_e32 vcc, s33, v32
	s_and_saveexec_b64 s[2:3], vcc
	s_cbranch_execz .LBB41_121
.LBB41_104:
	v_cmp_ge_u32_e32 vcc, v32, v14
                                        ; implicit-def: $vgpr10_vgpr11
	s_and_saveexec_b64 s[4:5], vcc
	s_xor_b64 s[4:5], exec, s[4:5]
	s_cbranch_execz .LBB41_106
; %bb.105:
	s_waitcnt lgkmcnt(3)
	v_xor_b32_e32 v10, 0xfffffbff, v0
	v_ashrrev_i32_e32 v11, 31, v10
	v_lshl_add_u64 v[10:11], v[18:19], 0, v[10:11]
                                        ; implicit-def: $vgpr32_vgpr33
.LBB41_106:
	s_andn2_saveexec_b64 s[4:5], s[4:5]
	s_cbranch_execz .LBB41_108
; %bb.107:
	s_waitcnt lgkmcnt(3)
	v_lshl_add_u64 v[10:11], v[16:17], 0, v[32:33]
.LBB41_108:
	s_or_b64 exec, exec, s[4:5]
	s_waitcnt lgkmcnt(3)
	v_lshl_add_u64 v[10:11], v[10:11], 3, s[22:23]
	s_waitcnt lgkmcnt(2)
	global_store_dwordx2 v[10:11], v[6:7], off
	s_or_b64 exec, exec, s[2:3]
	v_cmp_gt_u32_e32 vcc, s33, v30
	s_and_saveexec_b64 s[2:3], vcc
	s_cbranch_execnz .LBB41_122
.LBB41_109:
	s_or_b64 exec, exec, s[2:3]
	v_cmp_gt_u32_e32 vcc, s33, v28
	s_and_saveexec_b64 s[2:3], vcc
	s_cbranch_execz .LBB41_127
.LBB41_110:
	v_cmp_ge_u32_e32 vcc, v28, v14
                                        ; implicit-def: $vgpr6_vgpr7
	s_and_saveexec_b64 s[4:5], vcc
	s_xor_b64 s[4:5], exec, s[4:5]
	s_cbranch_execz .LBB41_112
; %bb.111:
	s_waitcnt lgkmcnt(2)
	v_xor_b32_e32 v6, 0xfffff7ff, v0
	v_ashrrev_i32_e32 v7, 31, v6
	v_lshl_add_u64 v[6:7], v[18:19], 0, v[6:7]
                                        ; implicit-def: $vgpr28_vgpr29
.LBB41_112:
	s_andn2_saveexec_b64 s[4:5], s[4:5]
	s_cbranch_execz .LBB41_114
; %bb.113:
	s_waitcnt lgkmcnt(2)
	v_lshl_add_u64 v[6:7], v[16:17], 0, v[28:29]
.LBB41_114:
	s_or_b64 exec, exec, s[4:5]
	s_waitcnt lgkmcnt(2)
	v_lshl_add_u64 v[6:7], v[6:7], 3, s[22:23]
	s_waitcnt lgkmcnt(1)
	global_store_dwordx2 v[6:7], v[2:3], off
	s_or_b64 exec, exec, s[2:3]
	v_cmp_gt_u32_e32 vcc, s33, v26
	s_and_saveexec_b64 s[2:3], vcc
	s_cbranch_execz .LBB41_133
	s_branch .LBB41_128
.LBB41_115:
	s_or_b64 exec, exec, s[2:3]
	v_cmp_gt_u32_e32 vcc, s33, v34
	s_and_saveexec_b64 s[2:3], vcc
	s_cbranch_execz .LBB41_103
.LBB41_116:
	v_cmp_ge_u32_e32 vcc, v34, v14
                                        ; implicit-def: $vgpr10_vgpr11
	s_and_saveexec_b64 s[4:5], vcc
	s_xor_b64 s[4:5], exec, s[4:5]
	s_cbranch_execz .LBB41_118
; %bb.117:
	s_waitcnt lgkmcnt(3)
	v_xor_b32_e32 v10, 0xfffffdff, v0
	v_ashrrev_i32_e32 v11, 31, v10
	v_lshl_add_u64 v[10:11], v[18:19], 0, v[10:11]
                                        ; implicit-def: $vgpr34_vgpr35
.LBB41_118:
	s_andn2_saveexec_b64 s[4:5], s[4:5]
	s_cbranch_execz .LBB41_120
; %bb.119:
	s_waitcnt lgkmcnt(3)
	v_lshl_add_u64 v[10:11], v[16:17], 0, v[34:35]
.LBB41_120:
	s_or_b64 exec, exec, s[4:5]
	s_waitcnt lgkmcnt(3)
	v_lshl_add_u64 v[10:11], v[10:11], 3, s[22:23]
	global_store_dwordx2 v[10:11], v[12:13], off
	s_or_b64 exec, exec, s[2:3]
	v_cmp_gt_u32_e32 vcc, s33, v32
	s_and_saveexec_b64 s[2:3], vcc
	s_cbranch_execnz .LBB41_104
.LBB41_121:
	s_or_b64 exec, exec, s[2:3]
	v_cmp_gt_u32_e32 vcc, s33, v30
	s_and_saveexec_b64 s[2:3], vcc
	s_cbranch_execz .LBB41_109
.LBB41_122:
	v_cmp_ge_u32_e32 vcc, v30, v14
                                        ; implicit-def: $vgpr6_vgpr7
	s_and_saveexec_b64 s[4:5], vcc
	s_xor_b64 s[4:5], exec, s[4:5]
	s_cbranch_execz .LBB41_124
; %bb.123:
	s_waitcnt lgkmcnt(2)
	v_xor_b32_e32 v6, 0xfffff9ff, v0
	v_ashrrev_i32_e32 v7, 31, v6
	v_lshl_add_u64 v[6:7], v[18:19], 0, v[6:7]
                                        ; implicit-def: $vgpr30_vgpr31
.LBB41_124:
	s_andn2_saveexec_b64 s[4:5], s[4:5]
	s_cbranch_execz .LBB41_126
; %bb.125:
	s_waitcnt lgkmcnt(2)
	v_lshl_add_u64 v[6:7], v[16:17], 0, v[30:31]
.LBB41_126:
	s_or_b64 exec, exec, s[4:5]
	s_waitcnt lgkmcnt(2)
	v_lshl_add_u64 v[6:7], v[6:7], 3, s[22:23]
	global_store_dwordx2 v[6:7], v[8:9], off
	s_or_b64 exec, exec, s[2:3]
	v_cmp_gt_u32_e32 vcc, s33, v28
	s_and_saveexec_b64 s[2:3], vcc
	s_cbranch_execnz .LBB41_110
.LBB41_127:
	s_or_b64 exec, exec, s[2:3]
	v_cmp_gt_u32_e32 vcc, s33, v26
	s_and_saveexec_b64 s[2:3], vcc
	s_cbranch_execz .LBB41_133
.LBB41_128:
	v_cmp_ge_u32_e32 vcc, v26, v14
                                        ; implicit-def: $vgpr2_vgpr3
	s_and_saveexec_b64 s[4:5], vcc
	s_xor_b64 s[4:5], exec, s[4:5]
	s_cbranch_execz .LBB41_130
; %bb.129:
	s_waitcnt lgkmcnt(1)
	v_xor_b32_e32 v2, 0xfffff5ff, v0
	v_ashrrev_i32_e32 v3, 31, v2
	v_lshl_add_u64 v[2:3], v[18:19], 0, v[2:3]
                                        ; implicit-def: $vgpr26_vgpr27
.LBB41_130:
	s_andn2_saveexec_b64 s[4:5], s[4:5]
	s_cbranch_execz .LBB41_132
; %bb.131:
	s_waitcnt lgkmcnt(1)
	v_lshl_add_u64 v[2:3], v[16:17], 0, v[26:27]
.LBB41_132:
	s_or_b64 exec, exec, s[4:5]
	s_waitcnt lgkmcnt(1)
	v_lshl_add_u64 v[2:3], v[2:3], 3, s[22:23]
	global_store_dwordx2 v[2:3], v[4:5], off
.LBB41_133:
	s_or_b64 exec, exec, s[2:3]
	v_cmp_gt_u32_e32 vcc, s33, v24
                                        ; implicit-def: $vgpr20_vgpr21
	s_and_saveexec_b64 s[2:3], vcc
	s_cbranch_execz .LBB41_139
; %bb.134:
	v_cmp_ge_u32_e32 vcc, v24, v14
                                        ; implicit-def: $vgpr20_vgpr21
	s_and_saveexec_b64 s[4:5], vcc
	s_xor_b64 s[4:5], exec, s[4:5]
; %bb.135:
	v_xor_b32_e32 v0, 0xfffff3ff, v0
	v_ashrrev_i32_e32 v1, 31, v0
	v_lshl_add_u64 v[20:21], v[18:19], 0, v[0:1]
                                        ; implicit-def: $vgpr24_vgpr25
; %bb.136:
	s_andn2_saveexec_b64 s[4:5], s[4:5]
; %bb.137:
	v_lshl_add_u64 v[20:21], v[16:17], 0, v[24:25]
; %bb.138:
	s_or_b64 exec, exec, s[4:5]
	s_or_b64 s[0:1], s[0:1], exec
.LBB41_139:
	s_or_b64 exec, exec, s[2:3]
	s_and_saveexec_b64 s[2:3], s[0:1]
	s_cbranch_execnz .LBB41_94
.LBB41_140:
	s_or_b64 exec, exec, s[2:3]
	s_and_b64 s[0:1], s[20:21], s[26:27]
	s_and_saveexec_b64 s[2:3], s[0:1]
	s_cbranch_execz .LBB41_95
.LBB41_141:
	s_waitcnt lgkmcnt(1)
	v_mov_b32_e32 v2, 0
	v_lshl_add_u64 v[0:1], v[16:17], 0, v[14:15]
	global_store_dwordx2 v2, v[0:1], s[24:25]
	s_endpgm
	.section	.rodata,"a",@progbits
	.p2align	6, 0x0
	.amdhsa_kernel _ZN7rocprim17ROCPRIM_400000_NS6detail17trampoline_kernelINS0_14default_configENS1_25partition_config_selectorILNS1_17partition_subalgoE3ExNS0_10empty_typeEbEEZZNS1_14partition_implILS5_3ELb0ES3_jN6thrust23THRUST_200600_302600_NS6detail15normal_iteratorINSA_7pointerIxNSA_11hip_rocprim3tagENSA_11use_defaultESG_EEEEPS6_SJ_NS0_5tupleIJPxSJ_EEENSK_IJSJ_SJ_EEES6_PlJ7is_evenIxEEEE10hipError_tPvRmT3_T4_T5_T6_T7_T9_mT8_P12ihipStream_tbDpT10_ENKUlT_T0_E_clISt17integral_constantIbLb0EES19_IbLb1EEEEDaS15_S16_EUlS15_E_NS1_11comp_targetILNS1_3genE5ELNS1_11target_archE942ELNS1_3gpuE9ELNS1_3repE0EEENS1_30default_config_static_selectorELNS0_4arch9wavefront6targetE1EEEvT1_
		.amdhsa_group_segment_fixed_size 28680
		.amdhsa_private_segment_fixed_size 0
		.amdhsa_kernarg_size 136
		.amdhsa_user_sgpr_count 2
		.amdhsa_user_sgpr_dispatch_ptr 0
		.amdhsa_user_sgpr_queue_ptr 0
		.amdhsa_user_sgpr_kernarg_segment_ptr 1
		.amdhsa_user_sgpr_dispatch_id 0
		.amdhsa_user_sgpr_kernarg_preload_length 0
		.amdhsa_user_sgpr_kernarg_preload_offset 0
		.amdhsa_user_sgpr_private_segment_size 0
		.amdhsa_uses_dynamic_stack 0
		.amdhsa_enable_private_segment 0
		.amdhsa_system_sgpr_workgroup_id_x 1
		.amdhsa_system_sgpr_workgroup_id_y 0
		.amdhsa_system_sgpr_workgroup_id_z 0
		.amdhsa_system_sgpr_workgroup_info 0
		.amdhsa_system_vgpr_workitem_id 0
		.amdhsa_next_free_vgpr 61
		.amdhsa_next_free_sgpr 44
		.amdhsa_accum_offset 64
		.amdhsa_reserve_vcc 1
		.amdhsa_float_round_mode_32 0
		.amdhsa_float_round_mode_16_64 0
		.amdhsa_float_denorm_mode_32 3
		.amdhsa_float_denorm_mode_16_64 3
		.amdhsa_dx10_clamp 1
		.amdhsa_ieee_mode 1
		.amdhsa_fp16_overflow 0
		.amdhsa_tg_split 0
		.amdhsa_exception_fp_ieee_invalid_op 0
		.amdhsa_exception_fp_denorm_src 0
		.amdhsa_exception_fp_ieee_div_zero 0
		.amdhsa_exception_fp_ieee_overflow 0
		.amdhsa_exception_fp_ieee_underflow 0
		.amdhsa_exception_fp_ieee_inexact 0
		.amdhsa_exception_int_div_zero 0
	.end_amdhsa_kernel
	.section	.text._ZN7rocprim17ROCPRIM_400000_NS6detail17trampoline_kernelINS0_14default_configENS1_25partition_config_selectorILNS1_17partition_subalgoE3ExNS0_10empty_typeEbEEZZNS1_14partition_implILS5_3ELb0ES3_jN6thrust23THRUST_200600_302600_NS6detail15normal_iteratorINSA_7pointerIxNSA_11hip_rocprim3tagENSA_11use_defaultESG_EEEEPS6_SJ_NS0_5tupleIJPxSJ_EEENSK_IJSJ_SJ_EEES6_PlJ7is_evenIxEEEE10hipError_tPvRmT3_T4_T5_T6_T7_T9_mT8_P12ihipStream_tbDpT10_ENKUlT_T0_E_clISt17integral_constantIbLb0EES19_IbLb1EEEEDaS15_S16_EUlS15_E_NS1_11comp_targetILNS1_3genE5ELNS1_11target_archE942ELNS1_3gpuE9ELNS1_3repE0EEENS1_30default_config_static_selectorELNS0_4arch9wavefront6targetE1EEEvT1_,"axG",@progbits,_ZN7rocprim17ROCPRIM_400000_NS6detail17trampoline_kernelINS0_14default_configENS1_25partition_config_selectorILNS1_17partition_subalgoE3ExNS0_10empty_typeEbEEZZNS1_14partition_implILS5_3ELb0ES3_jN6thrust23THRUST_200600_302600_NS6detail15normal_iteratorINSA_7pointerIxNSA_11hip_rocprim3tagENSA_11use_defaultESG_EEEEPS6_SJ_NS0_5tupleIJPxSJ_EEENSK_IJSJ_SJ_EEES6_PlJ7is_evenIxEEEE10hipError_tPvRmT3_T4_T5_T6_T7_T9_mT8_P12ihipStream_tbDpT10_ENKUlT_T0_E_clISt17integral_constantIbLb0EES19_IbLb1EEEEDaS15_S16_EUlS15_E_NS1_11comp_targetILNS1_3genE5ELNS1_11target_archE942ELNS1_3gpuE9ELNS1_3repE0EEENS1_30default_config_static_selectorELNS0_4arch9wavefront6targetE1EEEvT1_,comdat
.Lfunc_end41:
	.size	_ZN7rocprim17ROCPRIM_400000_NS6detail17trampoline_kernelINS0_14default_configENS1_25partition_config_selectorILNS1_17partition_subalgoE3ExNS0_10empty_typeEbEEZZNS1_14partition_implILS5_3ELb0ES3_jN6thrust23THRUST_200600_302600_NS6detail15normal_iteratorINSA_7pointerIxNSA_11hip_rocprim3tagENSA_11use_defaultESG_EEEEPS6_SJ_NS0_5tupleIJPxSJ_EEENSK_IJSJ_SJ_EEES6_PlJ7is_evenIxEEEE10hipError_tPvRmT3_T4_T5_T6_T7_T9_mT8_P12ihipStream_tbDpT10_ENKUlT_T0_E_clISt17integral_constantIbLb0EES19_IbLb1EEEEDaS15_S16_EUlS15_E_NS1_11comp_targetILNS1_3genE5ELNS1_11target_archE942ELNS1_3gpuE9ELNS1_3repE0EEENS1_30default_config_static_selectorELNS0_4arch9wavefront6targetE1EEEvT1_, .Lfunc_end41-_ZN7rocprim17ROCPRIM_400000_NS6detail17trampoline_kernelINS0_14default_configENS1_25partition_config_selectorILNS1_17partition_subalgoE3ExNS0_10empty_typeEbEEZZNS1_14partition_implILS5_3ELb0ES3_jN6thrust23THRUST_200600_302600_NS6detail15normal_iteratorINSA_7pointerIxNSA_11hip_rocprim3tagENSA_11use_defaultESG_EEEEPS6_SJ_NS0_5tupleIJPxSJ_EEENSK_IJSJ_SJ_EEES6_PlJ7is_evenIxEEEE10hipError_tPvRmT3_T4_T5_T6_T7_T9_mT8_P12ihipStream_tbDpT10_ENKUlT_T0_E_clISt17integral_constantIbLb0EES19_IbLb1EEEEDaS15_S16_EUlS15_E_NS1_11comp_targetILNS1_3genE5ELNS1_11target_archE942ELNS1_3gpuE9ELNS1_3repE0EEENS1_30default_config_static_selectorELNS0_4arch9wavefront6targetE1EEEvT1_
                                        ; -- End function
	.section	.AMDGPU.csdata,"",@progbits
; Kernel info:
; codeLenInByte = 5140
; NumSgprs: 50
; NumVgprs: 61
; NumAgprs: 0
; TotalNumVgprs: 61
; ScratchSize: 0
; MemoryBound: 0
; FloatMode: 240
; IeeeMode: 1
; LDSByteSize: 28680 bytes/workgroup (compile time only)
; SGPRBlocks: 6
; VGPRBlocks: 7
; NumSGPRsForWavesPerEU: 50
; NumVGPRsForWavesPerEU: 61
; AccumOffset: 64
; Occupancy: 4
; WaveLimiterHint : 1
; COMPUTE_PGM_RSRC2:SCRATCH_EN: 0
; COMPUTE_PGM_RSRC2:USER_SGPR: 2
; COMPUTE_PGM_RSRC2:TRAP_HANDLER: 0
; COMPUTE_PGM_RSRC2:TGID_X_EN: 1
; COMPUTE_PGM_RSRC2:TGID_Y_EN: 0
; COMPUTE_PGM_RSRC2:TGID_Z_EN: 0
; COMPUTE_PGM_RSRC2:TIDIG_COMP_CNT: 0
; COMPUTE_PGM_RSRC3_GFX90A:ACCUM_OFFSET: 15
; COMPUTE_PGM_RSRC3_GFX90A:TG_SPLIT: 0
	.section	.text._ZN7rocprim17ROCPRIM_400000_NS6detail17trampoline_kernelINS0_14default_configENS1_25partition_config_selectorILNS1_17partition_subalgoE3ExNS0_10empty_typeEbEEZZNS1_14partition_implILS5_3ELb0ES3_jN6thrust23THRUST_200600_302600_NS6detail15normal_iteratorINSA_7pointerIxNSA_11hip_rocprim3tagENSA_11use_defaultESG_EEEEPS6_SJ_NS0_5tupleIJPxSJ_EEENSK_IJSJ_SJ_EEES6_PlJ7is_evenIxEEEE10hipError_tPvRmT3_T4_T5_T6_T7_T9_mT8_P12ihipStream_tbDpT10_ENKUlT_T0_E_clISt17integral_constantIbLb0EES19_IbLb1EEEEDaS15_S16_EUlS15_E_NS1_11comp_targetILNS1_3genE4ELNS1_11target_archE910ELNS1_3gpuE8ELNS1_3repE0EEENS1_30default_config_static_selectorELNS0_4arch9wavefront6targetE1EEEvT1_,"axG",@progbits,_ZN7rocprim17ROCPRIM_400000_NS6detail17trampoline_kernelINS0_14default_configENS1_25partition_config_selectorILNS1_17partition_subalgoE3ExNS0_10empty_typeEbEEZZNS1_14partition_implILS5_3ELb0ES3_jN6thrust23THRUST_200600_302600_NS6detail15normal_iteratorINSA_7pointerIxNSA_11hip_rocprim3tagENSA_11use_defaultESG_EEEEPS6_SJ_NS0_5tupleIJPxSJ_EEENSK_IJSJ_SJ_EEES6_PlJ7is_evenIxEEEE10hipError_tPvRmT3_T4_T5_T6_T7_T9_mT8_P12ihipStream_tbDpT10_ENKUlT_T0_E_clISt17integral_constantIbLb0EES19_IbLb1EEEEDaS15_S16_EUlS15_E_NS1_11comp_targetILNS1_3genE4ELNS1_11target_archE910ELNS1_3gpuE8ELNS1_3repE0EEENS1_30default_config_static_selectorELNS0_4arch9wavefront6targetE1EEEvT1_,comdat
	.protected	_ZN7rocprim17ROCPRIM_400000_NS6detail17trampoline_kernelINS0_14default_configENS1_25partition_config_selectorILNS1_17partition_subalgoE3ExNS0_10empty_typeEbEEZZNS1_14partition_implILS5_3ELb0ES3_jN6thrust23THRUST_200600_302600_NS6detail15normal_iteratorINSA_7pointerIxNSA_11hip_rocprim3tagENSA_11use_defaultESG_EEEEPS6_SJ_NS0_5tupleIJPxSJ_EEENSK_IJSJ_SJ_EEES6_PlJ7is_evenIxEEEE10hipError_tPvRmT3_T4_T5_T6_T7_T9_mT8_P12ihipStream_tbDpT10_ENKUlT_T0_E_clISt17integral_constantIbLb0EES19_IbLb1EEEEDaS15_S16_EUlS15_E_NS1_11comp_targetILNS1_3genE4ELNS1_11target_archE910ELNS1_3gpuE8ELNS1_3repE0EEENS1_30default_config_static_selectorELNS0_4arch9wavefront6targetE1EEEvT1_ ; -- Begin function _ZN7rocprim17ROCPRIM_400000_NS6detail17trampoline_kernelINS0_14default_configENS1_25partition_config_selectorILNS1_17partition_subalgoE3ExNS0_10empty_typeEbEEZZNS1_14partition_implILS5_3ELb0ES3_jN6thrust23THRUST_200600_302600_NS6detail15normal_iteratorINSA_7pointerIxNSA_11hip_rocprim3tagENSA_11use_defaultESG_EEEEPS6_SJ_NS0_5tupleIJPxSJ_EEENSK_IJSJ_SJ_EEES6_PlJ7is_evenIxEEEE10hipError_tPvRmT3_T4_T5_T6_T7_T9_mT8_P12ihipStream_tbDpT10_ENKUlT_T0_E_clISt17integral_constantIbLb0EES19_IbLb1EEEEDaS15_S16_EUlS15_E_NS1_11comp_targetILNS1_3genE4ELNS1_11target_archE910ELNS1_3gpuE8ELNS1_3repE0EEENS1_30default_config_static_selectorELNS0_4arch9wavefront6targetE1EEEvT1_
	.globl	_ZN7rocprim17ROCPRIM_400000_NS6detail17trampoline_kernelINS0_14default_configENS1_25partition_config_selectorILNS1_17partition_subalgoE3ExNS0_10empty_typeEbEEZZNS1_14partition_implILS5_3ELb0ES3_jN6thrust23THRUST_200600_302600_NS6detail15normal_iteratorINSA_7pointerIxNSA_11hip_rocprim3tagENSA_11use_defaultESG_EEEEPS6_SJ_NS0_5tupleIJPxSJ_EEENSK_IJSJ_SJ_EEES6_PlJ7is_evenIxEEEE10hipError_tPvRmT3_T4_T5_T6_T7_T9_mT8_P12ihipStream_tbDpT10_ENKUlT_T0_E_clISt17integral_constantIbLb0EES19_IbLb1EEEEDaS15_S16_EUlS15_E_NS1_11comp_targetILNS1_3genE4ELNS1_11target_archE910ELNS1_3gpuE8ELNS1_3repE0EEENS1_30default_config_static_selectorELNS0_4arch9wavefront6targetE1EEEvT1_
	.p2align	8
	.type	_ZN7rocprim17ROCPRIM_400000_NS6detail17trampoline_kernelINS0_14default_configENS1_25partition_config_selectorILNS1_17partition_subalgoE3ExNS0_10empty_typeEbEEZZNS1_14partition_implILS5_3ELb0ES3_jN6thrust23THRUST_200600_302600_NS6detail15normal_iteratorINSA_7pointerIxNSA_11hip_rocprim3tagENSA_11use_defaultESG_EEEEPS6_SJ_NS0_5tupleIJPxSJ_EEENSK_IJSJ_SJ_EEES6_PlJ7is_evenIxEEEE10hipError_tPvRmT3_T4_T5_T6_T7_T9_mT8_P12ihipStream_tbDpT10_ENKUlT_T0_E_clISt17integral_constantIbLb0EES19_IbLb1EEEEDaS15_S16_EUlS15_E_NS1_11comp_targetILNS1_3genE4ELNS1_11target_archE910ELNS1_3gpuE8ELNS1_3repE0EEENS1_30default_config_static_selectorELNS0_4arch9wavefront6targetE1EEEvT1_,@function
_ZN7rocprim17ROCPRIM_400000_NS6detail17trampoline_kernelINS0_14default_configENS1_25partition_config_selectorILNS1_17partition_subalgoE3ExNS0_10empty_typeEbEEZZNS1_14partition_implILS5_3ELb0ES3_jN6thrust23THRUST_200600_302600_NS6detail15normal_iteratorINSA_7pointerIxNSA_11hip_rocprim3tagENSA_11use_defaultESG_EEEEPS6_SJ_NS0_5tupleIJPxSJ_EEENSK_IJSJ_SJ_EEES6_PlJ7is_evenIxEEEE10hipError_tPvRmT3_T4_T5_T6_T7_T9_mT8_P12ihipStream_tbDpT10_ENKUlT_T0_E_clISt17integral_constantIbLb0EES19_IbLb1EEEEDaS15_S16_EUlS15_E_NS1_11comp_targetILNS1_3genE4ELNS1_11target_archE910ELNS1_3gpuE8ELNS1_3repE0EEENS1_30default_config_static_selectorELNS0_4arch9wavefront6targetE1EEEvT1_: ; @_ZN7rocprim17ROCPRIM_400000_NS6detail17trampoline_kernelINS0_14default_configENS1_25partition_config_selectorILNS1_17partition_subalgoE3ExNS0_10empty_typeEbEEZZNS1_14partition_implILS5_3ELb0ES3_jN6thrust23THRUST_200600_302600_NS6detail15normal_iteratorINSA_7pointerIxNSA_11hip_rocprim3tagENSA_11use_defaultESG_EEEEPS6_SJ_NS0_5tupleIJPxSJ_EEENSK_IJSJ_SJ_EEES6_PlJ7is_evenIxEEEE10hipError_tPvRmT3_T4_T5_T6_T7_T9_mT8_P12ihipStream_tbDpT10_ENKUlT_T0_E_clISt17integral_constantIbLb0EES19_IbLb1EEEEDaS15_S16_EUlS15_E_NS1_11comp_targetILNS1_3genE4ELNS1_11target_archE910ELNS1_3gpuE8ELNS1_3repE0EEENS1_30default_config_static_selectorELNS0_4arch9wavefront6targetE1EEEvT1_
; %bb.0:
	.section	.rodata,"a",@progbits
	.p2align	6, 0x0
	.amdhsa_kernel _ZN7rocprim17ROCPRIM_400000_NS6detail17trampoline_kernelINS0_14default_configENS1_25partition_config_selectorILNS1_17partition_subalgoE3ExNS0_10empty_typeEbEEZZNS1_14partition_implILS5_3ELb0ES3_jN6thrust23THRUST_200600_302600_NS6detail15normal_iteratorINSA_7pointerIxNSA_11hip_rocprim3tagENSA_11use_defaultESG_EEEEPS6_SJ_NS0_5tupleIJPxSJ_EEENSK_IJSJ_SJ_EEES6_PlJ7is_evenIxEEEE10hipError_tPvRmT3_T4_T5_T6_T7_T9_mT8_P12ihipStream_tbDpT10_ENKUlT_T0_E_clISt17integral_constantIbLb0EES19_IbLb1EEEEDaS15_S16_EUlS15_E_NS1_11comp_targetILNS1_3genE4ELNS1_11target_archE910ELNS1_3gpuE8ELNS1_3repE0EEENS1_30default_config_static_selectorELNS0_4arch9wavefront6targetE1EEEvT1_
		.amdhsa_group_segment_fixed_size 0
		.amdhsa_private_segment_fixed_size 0
		.amdhsa_kernarg_size 136
		.amdhsa_user_sgpr_count 2
		.amdhsa_user_sgpr_dispatch_ptr 0
		.amdhsa_user_sgpr_queue_ptr 0
		.amdhsa_user_sgpr_kernarg_segment_ptr 1
		.amdhsa_user_sgpr_dispatch_id 0
		.amdhsa_user_sgpr_kernarg_preload_length 0
		.amdhsa_user_sgpr_kernarg_preload_offset 0
		.amdhsa_user_sgpr_private_segment_size 0
		.amdhsa_uses_dynamic_stack 0
		.amdhsa_enable_private_segment 0
		.amdhsa_system_sgpr_workgroup_id_x 1
		.amdhsa_system_sgpr_workgroup_id_y 0
		.amdhsa_system_sgpr_workgroup_id_z 0
		.amdhsa_system_sgpr_workgroup_info 0
		.amdhsa_system_vgpr_workitem_id 0
		.amdhsa_next_free_vgpr 1
		.amdhsa_next_free_sgpr 0
		.amdhsa_accum_offset 4
		.amdhsa_reserve_vcc 0
		.amdhsa_float_round_mode_32 0
		.amdhsa_float_round_mode_16_64 0
		.amdhsa_float_denorm_mode_32 3
		.amdhsa_float_denorm_mode_16_64 3
		.amdhsa_dx10_clamp 1
		.amdhsa_ieee_mode 1
		.amdhsa_fp16_overflow 0
		.amdhsa_tg_split 0
		.amdhsa_exception_fp_ieee_invalid_op 0
		.amdhsa_exception_fp_denorm_src 0
		.amdhsa_exception_fp_ieee_div_zero 0
		.amdhsa_exception_fp_ieee_overflow 0
		.amdhsa_exception_fp_ieee_underflow 0
		.amdhsa_exception_fp_ieee_inexact 0
		.amdhsa_exception_int_div_zero 0
	.end_amdhsa_kernel
	.section	.text._ZN7rocprim17ROCPRIM_400000_NS6detail17trampoline_kernelINS0_14default_configENS1_25partition_config_selectorILNS1_17partition_subalgoE3ExNS0_10empty_typeEbEEZZNS1_14partition_implILS5_3ELb0ES3_jN6thrust23THRUST_200600_302600_NS6detail15normal_iteratorINSA_7pointerIxNSA_11hip_rocprim3tagENSA_11use_defaultESG_EEEEPS6_SJ_NS0_5tupleIJPxSJ_EEENSK_IJSJ_SJ_EEES6_PlJ7is_evenIxEEEE10hipError_tPvRmT3_T4_T5_T6_T7_T9_mT8_P12ihipStream_tbDpT10_ENKUlT_T0_E_clISt17integral_constantIbLb0EES19_IbLb1EEEEDaS15_S16_EUlS15_E_NS1_11comp_targetILNS1_3genE4ELNS1_11target_archE910ELNS1_3gpuE8ELNS1_3repE0EEENS1_30default_config_static_selectorELNS0_4arch9wavefront6targetE1EEEvT1_,"axG",@progbits,_ZN7rocprim17ROCPRIM_400000_NS6detail17trampoline_kernelINS0_14default_configENS1_25partition_config_selectorILNS1_17partition_subalgoE3ExNS0_10empty_typeEbEEZZNS1_14partition_implILS5_3ELb0ES3_jN6thrust23THRUST_200600_302600_NS6detail15normal_iteratorINSA_7pointerIxNSA_11hip_rocprim3tagENSA_11use_defaultESG_EEEEPS6_SJ_NS0_5tupleIJPxSJ_EEENSK_IJSJ_SJ_EEES6_PlJ7is_evenIxEEEE10hipError_tPvRmT3_T4_T5_T6_T7_T9_mT8_P12ihipStream_tbDpT10_ENKUlT_T0_E_clISt17integral_constantIbLb0EES19_IbLb1EEEEDaS15_S16_EUlS15_E_NS1_11comp_targetILNS1_3genE4ELNS1_11target_archE910ELNS1_3gpuE8ELNS1_3repE0EEENS1_30default_config_static_selectorELNS0_4arch9wavefront6targetE1EEEvT1_,comdat
.Lfunc_end42:
	.size	_ZN7rocprim17ROCPRIM_400000_NS6detail17trampoline_kernelINS0_14default_configENS1_25partition_config_selectorILNS1_17partition_subalgoE3ExNS0_10empty_typeEbEEZZNS1_14partition_implILS5_3ELb0ES3_jN6thrust23THRUST_200600_302600_NS6detail15normal_iteratorINSA_7pointerIxNSA_11hip_rocprim3tagENSA_11use_defaultESG_EEEEPS6_SJ_NS0_5tupleIJPxSJ_EEENSK_IJSJ_SJ_EEES6_PlJ7is_evenIxEEEE10hipError_tPvRmT3_T4_T5_T6_T7_T9_mT8_P12ihipStream_tbDpT10_ENKUlT_T0_E_clISt17integral_constantIbLb0EES19_IbLb1EEEEDaS15_S16_EUlS15_E_NS1_11comp_targetILNS1_3genE4ELNS1_11target_archE910ELNS1_3gpuE8ELNS1_3repE0EEENS1_30default_config_static_selectorELNS0_4arch9wavefront6targetE1EEEvT1_, .Lfunc_end42-_ZN7rocprim17ROCPRIM_400000_NS6detail17trampoline_kernelINS0_14default_configENS1_25partition_config_selectorILNS1_17partition_subalgoE3ExNS0_10empty_typeEbEEZZNS1_14partition_implILS5_3ELb0ES3_jN6thrust23THRUST_200600_302600_NS6detail15normal_iteratorINSA_7pointerIxNSA_11hip_rocprim3tagENSA_11use_defaultESG_EEEEPS6_SJ_NS0_5tupleIJPxSJ_EEENSK_IJSJ_SJ_EEES6_PlJ7is_evenIxEEEE10hipError_tPvRmT3_T4_T5_T6_T7_T9_mT8_P12ihipStream_tbDpT10_ENKUlT_T0_E_clISt17integral_constantIbLb0EES19_IbLb1EEEEDaS15_S16_EUlS15_E_NS1_11comp_targetILNS1_3genE4ELNS1_11target_archE910ELNS1_3gpuE8ELNS1_3repE0EEENS1_30default_config_static_selectorELNS0_4arch9wavefront6targetE1EEEvT1_
                                        ; -- End function
	.section	.AMDGPU.csdata,"",@progbits
; Kernel info:
; codeLenInByte = 0
; NumSgprs: 6
; NumVgprs: 0
; NumAgprs: 0
; TotalNumVgprs: 0
; ScratchSize: 0
; MemoryBound: 0
; FloatMode: 240
; IeeeMode: 1
; LDSByteSize: 0 bytes/workgroup (compile time only)
; SGPRBlocks: 0
; VGPRBlocks: 0
; NumSGPRsForWavesPerEU: 6
; NumVGPRsForWavesPerEU: 1
; AccumOffset: 4
; Occupancy: 8
; WaveLimiterHint : 0
; COMPUTE_PGM_RSRC2:SCRATCH_EN: 0
; COMPUTE_PGM_RSRC2:USER_SGPR: 2
; COMPUTE_PGM_RSRC2:TRAP_HANDLER: 0
; COMPUTE_PGM_RSRC2:TGID_X_EN: 1
; COMPUTE_PGM_RSRC2:TGID_Y_EN: 0
; COMPUTE_PGM_RSRC2:TGID_Z_EN: 0
; COMPUTE_PGM_RSRC2:TIDIG_COMP_CNT: 0
; COMPUTE_PGM_RSRC3_GFX90A:ACCUM_OFFSET: 0
; COMPUTE_PGM_RSRC3_GFX90A:TG_SPLIT: 0
	.section	.text._ZN7rocprim17ROCPRIM_400000_NS6detail17trampoline_kernelINS0_14default_configENS1_25partition_config_selectorILNS1_17partition_subalgoE3ExNS0_10empty_typeEbEEZZNS1_14partition_implILS5_3ELb0ES3_jN6thrust23THRUST_200600_302600_NS6detail15normal_iteratorINSA_7pointerIxNSA_11hip_rocprim3tagENSA_11use_defaultESG_EEEEPS6_SJ_NS0_5tupleIJPxSJ_EEENSK_IJSJ_SJ_EEES6_PlJ7is_evenIxEEEE10hipError_tPvRmT3_T4_T5_T6_T7_T9_mT8_P12ihipStream_tbDpT10_ENKUlT_T0_E_clISt17integral_constantIbLb0EES19_IbLb1EEEEDaS15_S16_EUlS15_E_NS1_11comp_targetILNS1_3genE3ELNS1_11target_archE908ELNS1_3gpuE7ELNS1_3repE0EEENS1_30default_config_static_selectorELNS0_4arch9wavefront6targetE1EEEvT1_,"axG",@progbits,_ZN7rocprim17ROCPRIM_400000_NS6detail17trampoline_kernelINS0_14default_configENS1_25partition_config_selectorILNS1_17partition_subalgoE3ExNS0_10empty_typeEbEEZZNS1_14partition_implILS5_3ELb0ES3_jN6thrust23THRUST_200600_302600_NS6detail15normal_iteratorINSA_7pointerIxNSA_11hip_rocprim3tagENSA_11use_defaultESG_EEEEPS6_SJ_NS0_5tupleIJPxSJ_EEENSK_IJSJ_SJ_EEES6_PlJ7is_evenIxEEEE10hipError_tPvRmT3_T4_T5_T6_T7_T9_mT8_P12ihipStream_tbDpT10_ENKUlT_T0_E_clISt17integral_constantIbLb0EES19_IbLb1EEEEDaS15_S16_EUlS15_E_NS1_11comp_targetILNS1_3genE3ELNS1_11target_archE908ELNS1_3gpuE7ELNS1_3repE0EEENS1_30default_config_static_selectorELNS0_4arch9wavefront6targetE1EEEvT1_,comdat
	.protected	_ZN7rocprim17ROCPRIM_400000_NS6detail17trampoline_kernelINS0_14default_configENS1_25partition_config_selectorILNS1_17partition_subalgoE3ExNS0_10empty_typeEbEEZZNS1_14partition_implILS5_3ELb0ES3_jN6thrust23THRUST_200600_302600_NS6detail15normal_iteratorINSA_7pointerIxNSA_11hip_rocprim3tagENSA_11use_defaultESG_EEEEPS6_SJ_NS0_5tupleIJPxSJ_EEENSK_IJSJ_SJ_EEES6_PlJ7is_evenIxEEEE10hipError_tPvRmT3_T4_T5_T6_T7_T9_mT8_P12ihipStream_tbDpT10_ENKUlT_T0_E_clISt17integral_constantIbLb0EES19_IbLb1EEEEDaS15_S16_EUlS15_E_NS1_11comp_targetILNS1_3genE3ELNS1_11target_archE908ELNS1_3gpuE7ELNS1_3repE0EEENS1_30default_config_static_selectorELNS0_4arch9wavefront6targetE1EEEvT1_ ; -- Begin function _ZN7rocprim17ROCPRIM_400000_NS6detail17trampoline_kernelINS0_14default_configENS1_25partition_config_selectorILNS1_17partition_subalgoE3ExNS0_10empty_typeEbEEZZNS1_14partition_implILS5_3ELb0ES3_jN6thrust23THRUST_200600_302600_NS6detail15normal_iteratorINSA_7pointerIxNSA_11hip_rocprim3tagENSA_11use_defaultESG_EEEEPS6_SJ_NS0_5tupleIJPxSJ_EEENSK_IJSJ_SJ_EEES6_PlJ7is_evenIxEEEE10hipError_tPvRmT3_T4_T5_T6_T7_T9_mT8_P12ihipStream_tbDpT10_ENKUlT_T0_E_clISt17integral_constantIbLb0EES19_IbLb1EEEEDaS15_S16_EUlS15_E_NS1_11comp_targetILNS1_3genE3ELNS1_11target_archE908ELNS1_3gpuE7ELNS1_3repE0EEENS1_30default_config_static_selectorELNS0_4arch9wavefront6targetE1EEEvT1_
	.globl	_ZN7rocprim17ROCPRIM_400000_NS6detail17trampoline_kernelINS0_14default_configENS1_25partition_config_selectorILNS1_17partition_subalgoE3ExNS0_10empty_typeEbEEZZNS1_14partition_implILS5_3ELb0ES3_jN6thrust23THRUST_200600_302600_NS6detail15normal_iteratorINSA_7pointerIxNSA_11hip_rocprim3tagENSA_11use_defaultESG_EEEEPS6_SJ_NS0_5tupleIJPxSJ_EEENSK_IJSJ_SJ_EEES6_PlJ7is_evenIxEEEE10hipError_tPvRmT3_T4_T5_T6_T7_T9_mT8_P12ihipStream_tbDpT10_ENKUlT_T0_E_clISt17integral_constantIbLb0EES19_IbLb1EEEEDaS15_S16_EUlS15_E_NS1_11comp_targetILNS1_3genE3ELNS1_11target_archE908ELNS1_3gpuE7ELNS1_3repE0EEENS1_30default_config_static_selectorELNS0_4arch9wavefront6targetE1EEEvT1_
	.p2align	8
	.type	_ZN7rocprim17ROCPRIM_400000_NS6detail17trampoline_kernelINS0_14default_configENS1_25partition_config_selectorILNS1_17partition_subalgoE3ExNS0_10empty_typeEbEEZZNS1_14partition_implILS5_3ELb0ES3_jN6thrust23THRUST_200600_302600_NS6detail15normal_iteratorINSA_7pointerIxNSA_11hip_rocprim3tagENSA_11use_defaultESG_EEEEPS6_SJ_NS0_5tupleIJPxSJ_EEENSK_IJSJ_SJ_EEES6_PlJ7is_evenIxEEEE10hipError_tPvRmT3_T4_T5_T6_T7_T9_mT8_P12ihipStream_tbDpT10_ENKUlT_T0_E_clISt17integral_constantIbLb0EES19_IbLb1EEEEDaS15_S16_EUlS15_E_NS1_11comp_targetILNS1_3genE3ELNS1_11target_archE908ELNS1_3gpuE7ELNS1_3repE0EEENS1_30default_config_static_selectorELNS0_4arch9wavefront6targetE1EEEvT1_,@function
_ZN7rocprim17ROCPRIM_400000_NS6detail17trampoline_kernelINS0_14default_configENS1_25partition_config_selectorILNS1_17partition_subalgoE3ExNS0_10empty_typeEbEEZZNS1_14partition_implILS5_3ELb0ES3_jN6thrust23THRUST_200600_302600_NS6detail15normal_iteratorINSA_7pointerIxNSA_11hip_rocprim3tagENSA_11use_defaultESG_EEEEPS6_SJ_NS0_5tupleIJPxSJ_EEENSK_IJSJ_SJ_EEES6_PlJ7is_evenIxEEEE10hipError_tPvRmT3_T4_T5_T6_T7_T9_mT8_P12ihipStream_tbDpT10_ENKUlT_T0_E_clISt17integral_constantIbLb0EES19_IbLb1EEEEDaS15_S16_EUlS15_E_NS1_11comp_targetILNS1_3genE3ELNS1_11target_archE908ELNS1_3gpuE7ELNS1_3repE0EEENS1_30default_config_static_selectorELNS0_4arch9wavefront6targetE1EEEvT1_: ; @_ZN7rocprim17ROCPRIM_400000_NS6detail17trampoline_kernelINS0_14default_configENS1_25partition_config_selectorILNS1_17partition_subalgoE3ExNS0_10empty_typeEbEEZZNS1_14partition_implILS5_3ELb0ES3_jN6thrust23THRUST_200600_302600_NS6detail15normal_iteratorINSA_7pointerIxNSA_11hip_rocprim3tagENSA_11use_defaultESG_EEEEPS6_SJ_NS0_5tupleIJPxSJ_EEENSK_IJSJ_SJ_EEES6_PlJ7is_evenIxEEEE10hipError_tPvRmT3_T4_T5_T6_T7_T9_mT8_P12ihipStream_tbDpT10_ENKUlT_T0_E_clISt17integral_constantIbLb0EES19_IbLb1EEEEDaS15_S16_EUlS15_E_NS1_11comp_targetILNS1_3genE3ELNS1_11target_archE908ELNS1_3gpuE7ELNS1_3repE0EEENS1_30default_config_static_selectorELNS0_4arch9wavefront6targetE1EEEvT1_
; %bb.0:
	.section	.rodata,"a",@progbits
	.p2align	6, 0x0
	.amdhsa_kernel _ZN7rocprim17ROCPRIM_400000_NS6detail17trampoline_kernelINS0_14default_configENS1_25partition_config_selectorILNS1_17partition_subalgoE3ExNS0_10empty_typeEbEEZZNS1_14partition_implILS5_3ELb0ES3_jN6thrust23THRUST_200600_302600_NS6detail15normal_iteratorINSA_7pointerIxNSA_11hip_rocprim3tagENSA_11use_defaultESG_EEEEPS6_SJ_NS0_5tupleIJPxSJ_EEENSK_IJSJ_SJ_EEES6_PlJ7is_evenIxEEEE10hipError_tPvRmT3_T4_T5_T6_T7_T9_mT8_P12ihipStream_tbDpT10_ENKUlT_T0_E_clISt17integral_constantIbLb0EES19_IbLb1EEEEDaS15_S16_EUlS15_E_NS1_11comp_targetILNS1_3genE3ELNS1_11target_archE908ELNS1_3gpuE7ELNS1_3repE0EEENS1_30default_config_static_selectorELNS0_4arch9wavefront6targetE1EEEvT1_
		.amdhsa_group_segment_fixed_size 0
		.amdhsa_private_segment_fixed_size 0
		.amdhsa_kernarg_size 136
		.amdhsa_user_sgpr_count 2
		.amdhsa_user_sgpr_dispatch_ptr 0
		.amdhsa_user_sgpr_queue_ptr 0
		.amdhsa_user_sgpr_kernarg_segment_ptr 1
		.amdhsa_user_sgpr_dispatch_id 0
		.amdhsa_user_sgpr_kernarg_preload_length 0
		.amdhsa_user_sgpr_kernarg_preload_offset 0
		.amdhsa_user_sgpr_private_segment_size 0
		.amdhsa_uses_dynamic_stack 0
		.amdhsa_enable_private_segment 0
		.amdhsa_system_sgpr_workgroup_id_x 1
		.amdhsa_system_sgpr_workgroup_id_y 0
		.amdhsa_system_sgpr_workgroup_id_z 0
		.amdhsa_system_sgpr_workgroup_info 0
		.amdhsa_system_vgpr_workitem_id 0
		.amdhsa_next_free_vgpr 1
		.amdhsa_next_free_sgpr 0
		.amdhsa_accum_offset 4
		.amdhsa_reserve_vcc 0
		.amdhsa_float_round_mode_32 0
		.amdhsa_float_round_mode_16_64 0
		.amdhsa_float_denorm_mode_32 3
		.amdhsa_float_denorm_mode_16_64 3
		.amdhsa_dx10_clamp 1
		.amdhsa_ieee_mode 1
		.amdhsa_fp16_overflow 0
		.amdhsa_tg_split 0
		.amdhsa_exception_fp_ieee_invalid_op 0
		.amdhsa_exception_fp_denorm_src 0
		.amdhsa_exception_fp_ieee_div_zero 0
		.amdhsa_exception_fp_ieee_overflow 0
		.amdhsa_exception_fp_ieee_underflow 0
		.amdhsa_exception_fp_ieee_inexact 0
		.amdhsa_exception_int_div_zero 0
	.end_amdhsa_kernel
	.section	.text._ZN7rocprim17ROCPRIM_400000_NS6detail17trampoline_kernelINS0_14default_configENS1_25partition_config_selectorILNS1_17partition_subalgoE3ExNS0_10empty_typeEbEEZZNS1_14partition_implILS5_3ELb0ES3_jN6thrust23THRUST_200600_302600_NS6detail15normal_iteratorINSA_7pointerIxNSA_11hip_rocprim3tagENSA_11use_defaultESG_EEEEPS6_SJ_NS0_5tupleIJPxSJ_EEENSK_IJSJ_SJ_EEES6_PlJ7is_evenIxEEEE10hipError_tPvRmT3_T4_T5_T6_T7_T9_mT8_P12ihipStream_tbDpT10_ENKUlT_T0_E_clISt17integral_constantIbLb0EES19_IbLb1EEEEDaS15_S16_EUlS15_E_NS1_11comp_targetILNS1_3genE3ELNS1_11target_archE908ELNS1_3gpuE7ELNS1_3repE0EEENS1_30default_config_static_selectorELNS0_4arch9wavefront6targetE1EEEvT1_,"axG",@progbits,_ZN7rocprim17ROCPRIM_400000_NS6detail17trampoline_kernelINS0_14default_configENS1_25partition_config_selectorILNS1_17partition_subalgoE3ExNS0_10empty_typeEbEEZZNS1_14partition_implILS5_3ELb0ES3_jN6thrust23THRUST_200600_302600_NS6detail15normal_iteratorINSA_7pointerIxNSA_11hip_rocprim3tagENSA_11use_defaultESG_EEEEPS6_SJ_NS0_5tupleIJPxSJ_EEENSK_IJSJ_SJ_EEES6_PlJ7is_evenIxEEEE10hipError_tPvRmT3_T4_T5_T6_T7_T9_mT8_P12ihipStream_tbDpT10_ENKUlT_T0_E_clISt17integral_constantIbLb0EES19_IbLb1EEEEDaS15_S16_EUlS15_E_NS1_11comp_targetILNS1_3genE3ELNS1_11target_archE908ELNS1_3gpuE7ELNS1_3repE0EEENS1_30default_config_static_selectorELNS0_4arch9wavefront6targetE1EEEvT1_,comdat
.Lfunc_end43:
	.size	_ZN7rocprim17ROCPRIM_400000_NS6detail17trampoline_kernelINS0_14default_configENS1_25partition_config_selectorILNS1_17partition_subalgoE3ExNS0_10empty_typeEbEEZZNS1_14partition_implILS5_3ELb0ES3_jN6thrust23THRUST_200600_302600_NS6detail15normal_iteratorINSA_7pointerIxNSA_11hip_rocprim3tagENSA_11use_defaultESG_EEEEPS6_SJ_NS0_5tupleIJPxSJ_EEENSK_IJSJ_SJ_EEES6_PlJ7is_evenIxEEEE10hipError_tPvRmT3_T4_T5_T6_T7_T9_mT8_P12ihipStream_tbDpT10_ENKUlT_T0_E_clISt17integral_constantIbLb0EES19_IbLb1EEEEDaS15_S16_EUlS15_E_NS1_11comp_targetILNS1_3genE3ELNS1_11target_archE908ELNS1_3gpuE7ELNS1_3repE0EEENS1_30default_config_static_selectorELNS0_4arch9wavefront6targetE1EEEvT1_, .Lfunc_end43-_ZN7rocprim17ROCPRIM_400000_NS6detail17trampoline_kernelINS0_14default_configENS1_25partition_config_selectorILNS1_17partition_subalgoE3ExNS0_10empty_typeEbEEZZNS1_14partition_implILS5_3ELb0ES3_jN6thrust23THRUST_200600_302600_NS6detail15normal_iteratorINSA_7pointerIxNSA_11hip_rocprim3tagENSA_11use_defaultESG_EEEEPS6_SJ_NS0_5tupleIJPxSJ_EEENSK_IJSJ_SJ_EEES6_PlJ7is_evenIxEEEE10hipError_tPvRmT3_T4_T5_T6_T7_T9_mT8_P12ihipStream_tbDpT10_ENKUlT_T0_E_clISt17integral_constantIbLb0EES19_IbLb1EEEEDaS15_S16_EUlS15_E_NS1_11comp_targetILNS1_3genE3ELNS1_11target_archE908ELNS1_3gpuE7ELNS1_3repE0EEENS1_30default_config_static_selectorELNS0_4arch9wavefront6targetE1EEEvT1_
                                        ; -- End function
	.section	.AMDGPU.csdata,"",@progbits
; Kernel info:
; codeLenInByte = 0
; NumSgprs: 6
; NumVgprs: 0
; NumAgprs: 0
; TotalNumVgprs: 0
; ScratchSize: 0
; MemoryBound: 0
; FloatMode: 240
; IeeeMode: 1
; LDSByteSize: 0 bytes/workgroup (compile time only)
; SGPRBlocks: 0
; VGPRBlocks: 0
; NumSGPRsForWavesPerEU: 6
; NumVGPRsForWavesPerEU: 1
; AccumOffset: 4
; Occupancy: 8
; WaveLimiterHint : 0
; COMPUTE_PGM_RSRC2:SCRATCH_EN: 0
; COMPUTE_PGM_RSRC2:USER_SGPR: 2
; COMPUTE_PGM_RSRC2:TRAP_HANDLER: 0
; COMPUTE_PGM_RSRC2:TGID_X_EN: 1
; COMPUTE_PGM_RSRC2:TGID_Y_EN: 0
; COMPUTE_PGM_RSRC2:TGID_Z_EN: 0
; COMPUTE_PGM_RSRC2:TIDIG_COMP_CNT: 0
; COMPUTE_PGM_RSRC3_GFX90A:ACCUM_OFFSET: 0
; COMPUTE_PGM_RSRC3_GFX90A:TG_SPLIT: 0
	.section	.text._ZN7rocprim17ROCPRIM_400000_NS6detail17trampoline_kernelINS0_14default_configENS1_25partition_config_selectorILNS1_17partition_subalgoE3ExNS0_10empty_typeEbEEZZNS1_14partition_implILS5_3ELb0ES3_jN6thrust23THRUST_200600_302600_NS6detail15normal_iteratorINSA_7pointerIxNSA_11hip_rocprim3tagENSA_11use_defaultESG_EEEEPS6_SJ_NS0_5tupleIJPxSJ_EEENSK_IJSJ_SJ_EEES6_PlJ7is_evenIxEEEE10hipError_tPvRmT3_T4_T5_T6_T7_T9_mT8_P12ihipStream_tbDpT10_ENKUlT_T0_E_clISt17integral_constantIbLb0EES19_IbLb1EEEEDaS15_S16_EUlS15_E_NS1_11comp_targetILNS1_3genE2ELNS1_11target_archE906ELNS1_3gpuE6ELNS1_3repE0EEENS1_30default_config_static_selectorELNS0_4arch9wavefront6targetE1EEEvT1_,"axG",@progbits,_ZN7rocprim17ROCPRIM_400000_NS6detail17trampoline_kernelINS0_14default_configENS1_25partition_config_selectorILNS1_17partition_subalgoE3ExNS0_10empty_typeEbEEZZNS1_14partition_implILS5_3ELb0ES3_jN6thrust23THRUST_200600_302600_NS6detail15normal_iteratorINSA_7pointerIxNSA_11hip_rocprim3tagENSA_11use_defaultESG_EEEEPS6_SJ_NS0_5tupleIJPxSJ_EEENSK_IJSJ_SJ_EEES6_PlJ7is_evenIxEEEE10hipError_tPvRmT3_T4_T5_T6_T7_T9_mT8_P12ihipStream_tbDpT10_ENKUlT_T0_E_clISt17integral_constantIbLb0EES19_IbLb1EEEEDaS15_S16_EUlS15_E_NS1_11comp_targetILNS1_3genE2ELNS1_11target_archE906ELNS1_3gpuE6ELNS1_3repE0EEENS1_30default_config_static_selectorELNS0_4arch9wavefront6targetE1EEEvT1_,comdat
	.protected	_ZN7rocprim17ROCPRIM_400000_NS6detail17trampoline_kernelINS0_14default_configENS1_25partition_config_selectorILNS1_17partition_subalgoE3ExNS0_10empty_typeEbEEZZNS1_14partition_implILS5_3ELb0ES3_jN6thrust23THRUST_200600_302600_NS6detail15normal_iteratorINSA_7pointerIxNSA_11hip_rocprim3tagENSA_11use_defaultESG_EEEEPS6_SJ_NS0_5tupleIJPxSJ_EEENSK_IJSJ_SJ_EEES6_PlJ7is_evenIxEEEE10hipError_tPvRmT3_T4_T5_T6_T7_T9_mT8_P12ihipStream_tbDpT10_ENKUlT_T0_E_clISt17integral_constantIbLb0EES19_IbLb1EEEEDaS15_S16_EUlS15_E_NS1_11comp_targetILNS1_3genE2ELNS1_11target_archE906ELNS1_3gpuE6ELNS1_3repE0EEENS1_30default_config_static_selectorELNS0_4arch9wavefront6targetE1EEEvT1_ ; -- Begin function _ZN7rocprim17ROCPRIM_400000_NS6detail17trampoline_kernelINS0_14default_configENS1_25partition_config_selectorILNS1_17partition_subalgoE3ExNS0_10empty_typeEbEEZZNS1_14partition_implILS5_3ELb0ES3_jN6thrust23THRUST_200600_302600_NS6detail15normal_iteratorINSA_7pointerIxNSA_11hip_rocprim3tagENSA_11use_defaultESG_EEEEPS6_SJ_NS0_5tupleIJPxSJ_EEENSK_IJSJ_SJ_EEES6_PlJ7is_evenIxEEEE10hipError_tPvRmT3_T4_T5_T6_T7_T9_mT8_P12ihipStream_tbDpT10_ENKUlT_T0_E_clISt17integral_constantIbLb0EES19_IbLb1EEEEDaS15_S16_EUlS15_E_NS1_11comp_targetILNS1_3genE2ELNS1_11target_archE906ELNS1_3gpuE6ELNS1_3repE0EEENS1_30default_config_static_selectorELNS0_4arch9wavefront6targetE1EEEvT1_
	.globl	_ZN7rocprim17ROCPRIM_400000_NS6detail17trampoline_kernelINS0_14default_configENS1_25partition_config_selectorILNS1_17partition_subalgoE3ExNS0_10empty_typeEbEEZZNS1_14partition_implILS5_3ELb0ES3_jN6thrust23THRUST_200600_302600_NS6detail15normal_iteratorINSA_7pointerIxNSA_11hip_rocprim3tagENSA_11use_defaultESG_EEEEPS6_SJ_NS0_5tupleIJPxSJ_EEENSK_IJSJ_SJ_EEES6_PlJ7is_evenIxEEEE10hipError_tPvRmT3_T4_T5_T6_T7_T9_mT8_P12ihipStream_tbDpT10_ENKUlT_T0_E_clISt17integral_constantIbLb0EES19_IbLb1EEEEDaS15_S16_EUlS15_E_NS1_11comp_targetILNS1_3genE2ELNS1_11target_archE906ELNS1_3gpuE6ELNS1_3repE0EEENS1_30default_config_static_selectorELNS0_4arch9wavefront6targetE1EEEvT1_
	.p2align	8
	.type	_ZN7rocprim17ROCPRIM_400000_NS6detail17trampoline_kernelINS0_14default_configENS1_25partition_config_selectorILNS1_17partition_subalgoE3ExNS0_10empty_typeEbEEZZNS1_14partition_implILS5_3ELb0ES3_jN6thrust23THRUST_200600_302600_NS6detail15normal_iteratorINSA_7pointerIxNSA_11hip_rocprim3tagENSA_11use_defaultESG_EEEEPS6_SJ_NS0_5tupleIJPxSJ_EEENSK_IJSJ_SJ_EEES6_PlJ7is_evenIxEEEE10hipError_tPvRmT3_T4_T5_T6_T7_T9_mT8_P12ihipStream_tbDpT10_ENKUlT_T0_E_clISt17integral_constantIbLb0EES19_IbLb1EEEEDaS15_S16_EUlS15_E_NS1_11comp_targetILNS1_3genE2ELNS1_11target_archE906ELNS1_3gpuE6ELNS1_3repE0EEENS1_30default_config_static_selectorELNS0_4arch9wavefront6targetE1EEEvT1_,@function
_ZN7rocprim17ROCPRIM_400000_NS6detail17trampoline_kernelINS0_14default_configENS1_25partition_config_selectorILNS1_17partition_subalgoE3ExNS0_10empty_typeEbEEZZNS1_14partition_implILS5_3ELb0ES3_jN6thrust23THRUST_200600_302600_NS6detail15normal_iteratorINSA_7pointerIxNSA_11hip_rocprim3tagENSA_11use_defaultESG_EEEEPS6_SJ_NS0_5tupleIJPxSJ_EEENSK_IJSJ_SJ_EEES6_PlJ7is_evenIxEEEE10hipError_tPvRmT3_T4_T5_T6_T7_T9_mT8_P12ihipStream_tbDpT10_ENKUlT_T0_E_clISt17integral_constantIbLb0EES19_IbLb1EEEEDaS15_S16_EUlS15_E_NS1_11comp_targetILNS1_3genE2ELNS1_11target_archE906ELNS1_3gpuE6ELNS1_3repE0EEENS1_30default_config_static_selectorELNS0_4arch9wavefront6targetE1EEEvT1_: ; @_ZN7rocprim17ROCPRIM_400000_NS6detail17trampoline_kernelINS0_14default_configENS1_25partition_config_selectorILNS1_17partition_subalgoE3ExNS0_10empty_typeEbEEZZNS1_14partition_implILS5_3ELb0ES3_jN6thrust23THRUST_200600_302600_NS6detail15normal_iteratorINSA_7pointerIxNSA_11hip_rocprim3tagENSA_11use_defaultESG_EEEEPS6_SJ_NS0_5tupleIJPxSJ_EEENSK_IJSJ_SJ_EEES6_PlJ7is_evenIxEEEE10hipError_tPvRmT3_T4_T5_T6_T7_T9_mT8_P12ihipStream_tbDpT10_ENKUlT_T0_E_clISt17integral_constantIbLb0EES19_IbLb1EEEEDaS15_S16_EUlS15_E_NS1_11comp_targetILNS1_3genE2ELNS1_11target_archE906ELNS1_3gpuE6ELNS1_3repE0EEENS1_30default_config_static_selectorELNS0_4arch9wavefront6targetE1EEEvT1_
; %bb.0:
	.section	.rodata,"a",@progbits
	.p2align	6, 0x0
	.amdhsa_kernel _ZN7rocprim17ROCPRIM_400000_NS6detail17trampoline_kernelINS0_14default_configENS1_25partition_config_selectorILNS1_17partition_subalgoE3ExNS0_10empty_typeEbEEZZNS1_14partition_implILS5_3ELb0ES3_jN6thrust23THRUST_200600_302600_NS6detail15normal_iteratorINSA_7pointerIxNSA_11hip_rocprim3tagENSA_11use_defaultESG_EEEEPS6_SJ_NS0_5tupleIJPxSJ_EEENSK_IJSJ_SJ_EEES6_PlJ7is_evenIxEEEE10hipError_tPvRmT3_T4_T5_T6_T7_T9_mT8_P12ihipStream_tbDpT10_ENKUlT_T0_E_clISt17integral_constantIbLb0EES19_IbLb1EEEEDaS15_S16_EUlS15_E_NS1_11comp_targetILNS1_3genE2ELNS1_11target_archE906ELNS1_3gpuE6ELNS1_3repE0EEENS1_30default_config_static_selectorELNS0_4arch9wavefront6targetE1EEEvT1_
		.amdhsa_group_segment_fixed_size 0
		.amdhsa_private_segment_fixed_size 0
		.amdhsa_kernarg_size 136
		.amdhsa_user_sgpr_count 2
		.amdhsa_user_sgpr_dispatch_ptr 0
		.amdhsa_user_sgpr_queue_ptr 0
		.amdhsa_user_sgpr_kernarg_segment_ptr 1
		.amdhsa_user_sgpr_dispatch_id 0
		.amdhsa_user_sgpr_kernarg_preload_length 0
		.amdhsa_user_sgpr_kernarg_preload_offset 0
		.amdhsa_user_sgpr_private_segment_size 0
		.amdhsa_uses_dynamic_stack 0
		.amdhsa_enable_private_segment 0
		.amdhsa_system_sgpr_workgroup_id_x 1
		.amdhsa_system_sgpr_workgroup_id_y 0
		.amdhsa_system_sgpr_workgroup_id_z 0
		.amdhsa_system_sgpr_workgroup_info 0
		.amdhsa_system_vgpr_workitem_id 0
		.amdhsa_next_free_vgpr 1
		.amdhsa_next_free_sgpr 0
		.amdhsa_accum_offset 4
		.amdhsa_reserve_vcc 0
		.amdhsa_float_round_mode_32 0
		.amdhsa_float_round_mode_16_64 0
		.amdhsa_float_denorm_mode_32 3
		.amdhsa_float_denorm_mode_16_64 3
		.amdhsa_dx10_clamp 1
		.amdhsa_ieee_mode 1
		.amdhsa_fp16_overflow 0
		.amdhsa_tg_split 0
		.amdhsa_exception_fp_ieee_invalid_op 0
		.amdhsa_exception_fp_denorm_src 0
		.amdhsa_exception_fp_ieee_div_zero 0
		.amdhsa_exception_fp_ieee_overflow 0
		.amdhsa_exception_fp_ieee_underflow 0
		.amdhsa_exception_fp_ieee_inexact 0
		.amdhsa_exception_int_div_zero 0
	.end_amdhsa_kernel
	.section	.text._ZN7rocprim17ROCPRIM_400000_NS6detail17trampoline_kernelINS0_14default_configENS1_25partition_config_selectorILNS1_17partition_subalgoE3ExNS0_10empty_typeEbEEZZNS1_14partition_implILS5_3ELb0ES3_jN6thrust23THRUST_200600_302600_NS6detail15normal_iteratorINSA_7pointerIxNSA_11hip_rocprim3tagENSA_11use_defaultESG_EEEEPS6_SJ_NS0_5tupleIJPxSJ_EEENSK_IJSJ_SJ_EEES6_PlJ7is_evenIxEEEE10hipError_tPvRmT3_T4_T5_T6_T7_T9_mT8_P12ihipStream_tbDpT10_ENKUlT_T0_E_clISt17integral_constantIbLb0EES19_IbLb1EEEEDaS15_S16_EUlS15_E_NS1_11comp_targetILNS1_3genE2ELNS1_11target_archE906ELNS1_3gpuE6ELNS1_3repE0EEENS1_30default_config_static_selectorELNS0_4arch9wavefront6targetE1EEEvT1_,"axG",@progbits,_ZN7rocprim17ROCPRIM_400000_NS6detail17trampoline_kernelINS0_14default_configENS1_25partition_config_selectorILNS1_17partition_subalgoE3ExNS0_10empty_typeEbEEZZNS1_14partition_implILS5_3ELb0ES3_jN6thrust23THRUST_200600_302600_NS6detail15normal_iteratorINSA_7pointerIxNSA_11hip_rocprim3tagENSA_11use_defaultESG_EEEEPS6_SJ_NS0_5tupleIJPxSJ_EEENSK_IJSJ_SJ_EEES6_PlJ7is_evenIxEEEE10hipError_tPvRmT3_T4_T5_T6_T7_T9_mT8_P12ihipStream_tbDpT10_ENKUlT_T0_E_clISt17integral_constantIbLb0EES19_IbLb1EEEEDaS15_S16_EUlS15_E_NS1_11comp_targetILNS1_3genE2ELNS1_11target_archE906ELNS1_3gpuE6ELNS1_3repE0EEENS1_30default_config_static_selectorELNS0_4arch9wavefront6targetE1EEEvT1_,comdat
.Lfunc_end44:
	.size	_ZN7rocprim17ROCPRIM_400000_NS6detail17trampoline_kernelINS0_14default_configENS1_25partition_config_selectorILNS1_17partition_subalgoE3ExNS0_10empty_typeEbEEZZNS1_14partition_implILS5_3ELb0ES3_jN6thrust23THRUST_200600_302600_NS6detail15normal_iteratorINSA_7pointerIxNSA_11hip_rocprim3tagENSA_11use_defaultESG_EEEEPS6_SJ_NS0_5tupleIJPxSJ_EEENSK_IJSJ_SJ_EEES6_PlJ7is_evenIxEEEE10hipError_tPvRmT3_T4_T5_T6_T7_T9_mT8_P12ihipStream_tbDpT10_ENKUlT_T0_E_clISt17integral_constantIbLb0EES19_IbLb1EEEEDaS15_S16_EUlS15_E_NS1_11comp_targetILNS1_3genE2ELNS1_11target_archE906ELNS1_3gpuE6ELNS1_3repE0EEENS1_30default_config_static_selectorELNS0_4arch9wavefront6targetE1EEEvT1_, .Lfunc_end44-_ZN7rocprim17ROCPRIM_400000_NS6detail17trampoline_kernelINS0_14default_configENS1_25partition_config_selectorILNS1_17partition_subalgoE3ExNS0_10empty_typeEbEEZZNS1_14partition_implILS5_3ELb0ES3_jN6thrust23THRUST_200600_302600_NS6detail15normal_iteratorINSA_7pointerIxNSA_11hip_rocprim3tagENSA_11use_defaultESG_EEEEPS6_SJ_NS0_5tupleIJPxSJ_EEENSK_IJSJ_SJ_EEES6_PlJ7is_evenIxEEEE10hipError_tPvRmT3_T4_T5_T6_T7_T9_mT8_P12ihipStream_tbDpT10_ENKUlT_T0_E_clISt17integral_constantIbLb0EES19_IbLb1EEEEDaS15_S16_EUlS15_E_NS1_11comp_targetILNS1_3genE2ELNS1_11target_archE906ELNS1_3gpuE6ELNS1_3repE0EEENS1_30default_config_static_selectorELNS0_4arch9wavefront6targetE1EEEvT1_
                                        ; -- End function
	.section	.AMDGPU.csdata,"",@progbits
; Kernel info:
; codeLenInByte = 0
; NumSgprs: 6
; NumVgprs: 0
; NumAgprs: 0
; TotalNumVgprs: 0
; ScratchSize: 0
; MemoryBound: 0
; FloatMode: 240
; IeeeMode: 1
; LDSByteSize: 0 bytes/workgroup (compile time only)
; SGPRBlocks: 0
; VGPRBlocks: 0
; NumSGPRsForWavesPerEU: 6
; NumVGPRsForWavesPerEU: 1
; AccumOffset: 4
; Occupancy: 8
; WaveLimiterHint : 0
; COMPUTE_PGM_RSRC2:SCRATCH_EN: 0
; COMPUTE_PGM_RSRC2:USER_SGPR: 2
; COMPUTE_PGM_RSRC2:TRAP_HANDLER: 0
; COMPUTE_PGM_RSRC2:TGID_X_EN: 1
; COMPUTE_PGM_RSRC2:TGID_Y_EN: 0
; COMPUTE_PGM_RSRC2:TGID_Z_EN: 0
; COMPUTE_PGM_RSRC2:TIDIG_COMP_CNT: 0
; COMPUTE_PGM_RSRC3_GFX90A:ACCUM_OFFSET: 0
; COMPUTE_PGM_RSRC3_GFX90A:TG_SPLIT: 0
	.section	.text._ZN7rocprim17ROCPRIM_400000_NS6detail17trampoline_kernelINS0_14default_configENS1_25partition_config_selectorILNS1_17partition_subalgoE3ExNS0_10empty_typeEbEEZZNS1_14partition_implILS5_3ELb0ES3_jN6thrust23THRUST_200600_302600_NS6detail15normal_iteratorINSA_7pointerIxNSA_11hip_rocprim3tagENSA_11use_defaultESG_EEEEPS6_SJ_NS0_5tupleIJPxSJ_EEENSK_IJSJ_SJ_EEES6_PlJ7is_evenIxEEEE10hipError_tPvRmT3_T4_T5_T6_T7_T9_mT8_P12ihipStream_tbDpT10_ENKUlT_T0_E_clISt17integral_constantIbLb0EES19_IbLb1EEEEDaS15_S16_EUlS15_E_NS1_11comp_targetILNS1_3genE10ELNS1_11target_archE1200ELNS1_3gpuE4ELNS1_3repE0EEENS1_30default_config_static_selectorELNS0_4arch9wavefront6targetE1EEEvT1_,"axG",@progbits,_ZN7rocprim17ROCPRIM_400000_NS6detail17trampoline_kernelINS0_14default_configENS1_25partition_config_selectorILNS1_17partition_subalgoE3ExNS0_10empty_typeEbEEZZNS1_14partition_implILS5_3ELb0ES3_jN6thrust23THRUST_200600_302600_NS6detail15normal_iteratorINSA_7pointerIxNSA_11hip_rocprim3tagENSA_11use_defaultESG_EEEEPS6_SJ_NS0_5tupleIJPxSJ_EEENSK_IJSJ_SJ_EEES6_PlJ7is_evenIxEEEE10hipError_tPvRmT3_T4_T5_T6_T7_T9_mT8_P12ihipStream_tbDpT10_ENKUlT_T0_E_clISt17integral_constantIbLb0EES19_IbLb1EEEEDaS15_S16_EUlS15_E_NS1_11comp_targetILNS1_3genE10ELNS1_11target_archE1200ELNS1_3gpuE4ELNS1_3repE0EEENS1_30default_config_static_selectorELNS0_4arch9wavefront6targetE1EEEvT1_,comdat
	.protected	_ZN7rocprim17ROCPRIM_400000_NS6detail17trampoline_kernelINS0_14default_configENS1_25partition_config_selectorILNS1_17partition_subalgoE3ExNS0_10empty_typeEbEEZZNS1_14partition_implILS5_3ELb0ES3_jN6thrust23THRUST_200600_302600_NS6detail15normal_iteratorINSA_7pointerIxNSA_11hip_rocprim3tagENSA_11use_defaultESG_EEEEPS6_SJ_NS0_5tupleIJPxSJ_EEENSK_IJSJ_SJ_EEES6_PlJ7is_evenIxEEEE10hipError_tPvRmT3_T4_T5_T6_T7_T9_mT8_P12ihipStream_tbDpT10_ENKUlT_T0_E_clISt17integral_constantIbLb0EES19_IbLb1EEEEDaS15_S16_EUlS15_E_NS1_11comp_targetILNS1_3genE10ELNS1_11target_archE1200ELNS1_3gpuE4ELNS1_3repE0EEENS1_30default_config_static_selectorELNS0_4arch9wavefront6targetE1EEEvT1_ ; -- Begin function _ZN7rocprim17ROCPRIM_400000_NS6detail17trampoline_kernelINS0_14default_configENS1_25partition_config_selectorILNS1_17partition_subalgoE3ExNS0_10empty_typeEbEEZZNS1_14partition_implILS5_3ELb0ES3_jN6thrust23THRUST_200600_302600_NS6detail15normal_iteratorINSA_7pointerIxNSA_11hip_rocprim3tagENSA_11use_defaultESG_EEEEPS6_SJ_NS0_5tupleIJPxSJ_EEENSK_IJSJ_SJ_EEES6_PlJ7is_evenIxEEEE10hipError_tPvRmT3_T4_T5_T6_T7_T9_mT8_P12ihipStream_tbDpT10_ENKUlT_T0_E_clISt17integral_constantIbLb0EES19_IbLb1EEEEDaS15_S16_EUlS15_E_NS1_11comp_targetILNS1_3genE10ELNS1_11target_archE1200ELNS1_3gpuE4ELNS1_3repE0EEENS1_30default_config_static_selectorELNS0_4arch9wavefront6targetE1EEEvT1_
	.globl	_ZN7rocprim17ROCPRIM_400000_NS6detail17trampoline_kernelINS0_14default_configENS1_25partition_config_selectorILNS1_17partition_subalgoE3ExNS0_10empty_typeEbEEZZNS1_14partition_implILS5_3ELb0ES3_jN6thrust23THRUST_200600_302600_NS6detail15normal_iteratorINSA_7pointerIxNSA_11hip_rocprim3tagENSA_11use_defaultESG_EEEEPS6_SJ_NS0_5tupleIJPxSJ_EEENSK_IJSJ_SJ_EEES6_PlJ7is_evenIxEEEE10hipError_tPvRmT3_T4_T5_T6_T7_T9_mT8_P12ihipStream_tbDpT10_ENKUlT_T0_E_clISt17integral_constantIbLb0EES19_IbLb1EEEEDaS15_S16_EUlS15_E_NS1_11comp_targetILNS1_3genE10ELNS1_11target_archE1200ELNS1_3gpuE4ELNS1_3repE0EEENS1_30default_config_static_selectorELNS0_4arch9wavefront6targetE1EEEvT1_
	.p2align	8
	.type	_ZN7rocprim17ROCPRIM_400000_NS6detail17trampoline_kernelINS0_14default_configENS1_25partition_config_selectorILNS1_17partition_subalgoE3ExNS0_10empty_typeEbEEZZNS1_14partition_implILS5_3ELb0ES3_jN6thrust23THRUST_200600_302600_NS6detail15normal_iteratorINSA_7pointerIxNSA_11hip_rocprim3tagENSA_11use_defaultESG_EEEEPS6_SJ_NS0_5tupleIJPxSJ_EEENSK_IJSJ_SJ_EEES6_PlJ7is_evenIxEEEE10hipError_tPvRmT3_T4_T5_T6_T7_T9_mT8_P12ihipStream_tbDpT10_ENKUlT_T0_E_clISt17integral_constantIbLb0EES19_IbLb1EEEEDaS15_S16_EUlS15_E_NS1_11comp_targetILNS1_3genE10ELNS1_11target_archE1200ELNS1_3gpuE4ELNS1_3repE0EEENS1_30default_config_static_selectorELNS0_4arch9wavefront6targetE1EEEvT1_,@function
_ZN7rocprim17ROCPRIM_400000_NS6detail17trampoline_kernelINS0_14default_configENS1_25partition_config_selectorILNS1_17partition_subalgoE3ExNS0_10empty_typeEbEEZZNS1_14partition_implILS5_3ELb0ES3_jN6thrust23THRUST_200600_302600_NS6detail15normal_iteratorINSA_7pointerIxNSA_11hip_rocprim3tagENSA_11use_defaultESG_EEEEPS6_SJ_NS0_5tupleIJPxSJ_EEENSK_IJSJ_SJ_EEES6_PlJ7is_evenIxEEEE10hipError_tPvRmT3_T4_T5_T6_T7_T9_mT8_P12ihipStream_tbDpT10_ENKUlT_T0_E_clISt17integral_constantIbLb0EES19_IbLb1EEEEDaS15_S16_EUlS15_E_NS1_11comp_targetILNS1_3genE10ELNS1_11target_archE1200ELNS1_3gpuE4ELNS1_3repE0EEENS1_30default_config_static_selectorELNS0_4arch9wavefront6targetE1EEEvT1_: ; @_ZN7rocprim17ROCPRIM_400000_NS6detail17trampoline_kernelINS0_14default_configENS1_25partition_config_selectorILNS1_17partition_subalgoE3ExNS0_10empty_typeEbEEZZNS1_14partition_implILS5_3ELb0ES3_jN6thrust23THRUST_200600_302600_NS6detail15normal_iteratorINSA_7pointerIxNSA_11hip_rocprim3tagENSA_11use_defaultESG_EEEEPS6_SJ_NS0_5tupleIJPxSJ_EEENSK_IJSJ_SJ_EEES6_PlJ7is_evenIxEEEE10hipError_tPvRmT3_T4_T5_T6_T7_T9_mT8_P12ihipStream_tbDpT10_ENKUlT_T0_E_clISt17integral_constantIbLb0EES19_IbLb1EEEEDaS15_S16_EUlS15_E_NS1_11comp_targetILNS1_3genE10ELNS1_11target_archE1200ELNS1_3gpuE4ELNS1_3repE0EEENS1_30default_config_static_selectorELNS0_4arch9wavefront6targetE1EEEvT1_
; %bb.0:
	.section	.rodata,"a",@progbits
	.p2align	6, 0x0
	.amdhsa_kernel _ZN7rocprim17ROCPRIM_400000_NS6detail17trampoline_kernelINS0_14default_configENS1_25partition_config_selectorILNS1_17partition_subalgoE3ExNS0_10empty_typeEbEEZZNS1_14partition_implILS5_3ELb0ES3_jN6thrust23THRUST_200600_302600_NS6detail15normal_iteratorINSA_7pointerIxNSA_11hip_rocprim3tagENSA_11use_defaultESG_EEEEPS6_SJ_NS0_5tupleIJPxSJ_EEENSK_IJSJ_SJ_EEES6_PlJ7is_evenIxEEEE10hipError_tPvRmT3_T4_T5_T6_T7_T9_mT8_P12ihipStream_tbDpT10_ENKUlT_T0_E_clISt17integral_constantIbLb0EES19_IbLb1EEEEDaS15_S16_EUlS15_E_NS1_11comp_targetILNS1_3genE10ELNS1_11target_archE1200ELNS1_3gpuE4ELNS1_3repE0EEENS1_30default_config_static_selectorELNS0_4arch9wavefront6targetE1EEEvT1_
		.amdhsa_group_segment_fixed_size 0
		.amdhsa_private_segment_fixed_size 0
		.amdhsa_kernarg_size 136
		.amdhsa_user_sgpr_count 2
		.amdhsa_user_sgpr_dispatch_ptr 0
		.amdhsa_user_sgpr_queue_ptr 0
		.amdhsa_user_sgpr_kernarg_segment_ptr 1
		.amdhsa_user_sgpr_dispatch_id 0
		.amdhsa_user_sgpr_kernarg_preload_length 0
		.amdhsa_user_sgpr_kernarg_preload_offset 0
		.amdhsa_user_sgpr_private_segment_size 0
		.amdhsa_uses_dynamic_stack 0
		.amdhsa_enable_private_segment 0
		.amdhsa_system_sgpr_workgroup_id_x 1
		.amdhsa_system_sgpr_workgroup_id_y 0
		.amdhsa_system_sgpr_workgroup_id_z 0
		.amdhsa_system_sgpr_workgroup_info 0
		.amdhsa_system_vgpr_workitem_id 0
		.amdhsa_next_free_vgpr 1
		.amdhsa_next_free_sgpr 0
		.amdhsa_accum_offset 4
		.amdhsa_reserve_vcc 0
		.amdhsa_float_round_mode_32 0
		.amdhsa_float_round_mode_16_64 0
		.amdhsa_float_denorm_mode_32 3
		.amdhsa_float_denorm_mode_16_64 3
		.amdhsa_dx10_clamp 1
		.amdhsa_ieee_mode 1
		.amdhsa_fp16_overflow 0
		.amdhsa_tg_split 0
		.amdhsa_exception_fp_ieee_invalid_op 0
		.amdhsa_exception_fp_denorm_src 0
		.amdhsa_exception_fp_ieee_div_zero 0
		.amdhsa_exception_fp_ieee_overflow 0
		.amdhsa_exception_fp_ieee_underflow 0
		.amdhsa_exception_fp_ieee_inexact 0
		.amdhsa_exception_int_div_zero 0
	.end_amdhsa_kernel
	.section	.text._ZN7rocprim17ROCPRIM_400000_NS6detail17trampoline_kernelINS0_14default_configENS1_25partition_config_selectorILNS1_17partition_subalgoE3ExNS0_10empty_typeEbEEZZNS1_14partition_implILS5_3ELb0ES3_jN6thrust23THRUST_200600_302600_NS6detail15normal_iteratorINSA_7pointerIxNSA_11hip_rocprim3tagENSA_11use_defaultESG_EEEEPS6_SJ_NS0_5tupleIJPxSJ_EEENSK_IJSJ_SJ_EEES6_PlJ7is_evenIxEEEE10hipError_tPvRmT3_T4_T5_T6_T7_T9_mT8_P12ihipStream_tbDpT10_ENKUlT_T0_E_clISt17integral_constantIbLb0EES19_IbLb1EEEEDaS15_S16_EUlS15_E_NS1_11comp_targetILNS1_3genE10ELNS1_11target_archE1200ELNS1_3gpuE4ELNS1_3repE0EEENS1_30default_config_static_selectorELNS0_4arch9wavefront6targetE1EEEvT1_,"axG",@progbits,_ZN7rocprim17ROCPRIM_400000_NS6detail17trampoline_kernelINS0_14default_configENS1_25partition_config_selectorILNS1_17partition_subalgoE3ExNS0_10empty_typeEbEEZZNS1_14partition_implILS5_3ELb0ES3_jN6thrust23THRUST_200600_302600_NS6detail15normal_iteratorINSA_7pointerIxNSA_11hip_rocprim3tagENSA_11use_defaultESG_EEEEPS6_SJ_NS0_5tupleIJPxSJ_EEENSK_IJSJ_SJ_EEES6_PlJ7is_evenIxEEEE10hipError_tPvRmT3_T4_T5_T6_T7_T9_mT8_P12ihipStream_tbDpT10_ENKUlT_T0_E_clISt17integral_constantIbLb0EES19_IbLb1EEEEDaS15_S16_EUlS15_E_NS1_11comp_targetILNS1_3genE10ELNS1_11target_archE1200ELNS1_3gpuE4ELNS1_3repE0EEENS1_30default_config_static_selectorELNS0_4arch9wavefront6targetE1EEEvT1_,comdat
.Lfunc_end45:
	.size	_ZN7rocprim17ROCPRIM_400000_NS6detail17trampoline_kernelINS0_14default_configENS1_25partition_config_selectorILNS1_17partition_subalgoE3ExNS0_10empty_typeEbEEZZNS1_14partition_implILS5_3ELb0ES3_jN6thrust23THRUST_200600_302600_NS6detail15normal_iteratorINSA_7pointerIxNSA_11hip_rocprim3tagENSA_11use_defaultESG_EEEEPS6_SJ_NS0_5tupleIJPxSJ_EEENSK_IJSJ_SJ_EEES6_PlJ7is_evenIxEEEE10hipError_tPvRmT3_T4_T5_T6_T7_T9_mT8_P12ihipStream_tbDpT10_ENKUlT_T0_E_clISt17integral_constantIbLb0EES19_IbLb1EEEEDaS15_S16_EUlS15_E_NS1_11comp_targetILNS1_3genE10ELNS1_11target_archE1200ELNS1_3gpuE4ELNS1_3repE0EEENS1_30default_config_static_selectorELNS0_4arch9wavefront6targetE1EEEvT1_, .Lfunc_end45-_ZN7rocprim17ROCPRIM_400000_NS6detail17trampoline_kernelINS0_14default_configENS1_25partition_config_selectorILNS1_17partition_subalgoE3ExNS0_10empty_typeEbEEZZNS1_14partition_implILS5_3ELb0ES3_jN6thrust23THRUST_200600_302600_NS6detail15normal_iteratorINSA_7pointerIxNSA_11hip_rocprim3tagENSA_11use_defaultESG_EEEEPS6_SJ_NS0_5tupleIJPxSJ_EEENSK_IJSJ_SJ_EEES6_PlJ7is_evenIxEEEE10hipError_tPvRmT3_T4_T5_T6_T7_T9_mT8_P12ihipStream_tbDpT10_ENKUlT_T0_E_clISt17integral_constantIbLb0EES19_IbLb1EEEEDaS15_S16_EUlS15_E_NS1_11comp_targetILNS1_3genE10ELNS1_11target_archE1200ELNS1_3gpuE4ELNS1_3repE0EEENS1_30default_config_static_selectorELNS0_4arch9wavefront6targetE1EEEvT1_
                                        ; -- End function
	.section	.AMDGPU.csdata,"",@progbits
; Kernel info:
; codeLenInByte = 0
; NumSgprs: 6
; NumVgprs: 0
; NumAgprs: 0
; TotalNumVgprs: 0
; ScratchSize: 0
; MemoryBound: 0
; FloatMode: 240
; IeeeMode: 1
; LDSByteSize: 0 bytes/workgroup (compile time only)
; SGPRBlocks: 0
; VGPRBlocks: 0
; NumSGPRsForWavesPerEU: 6
; NumVGPRsForWavesPerEU: 1
; AccumOffset: 4
; Occupancy: 8
; WaveLimiterHint : 0
; COMPUTE_PGM_RSRC2:SCRATCH_EN: 0
; COMPUTE_PGM_RSRC2:USER_SGPR: 2
; COMPUTE_PGM_RSRC2:TRAP_HANDLER: 0
; COMPUTE_PGM_RSRC2:TGID_X_EN: 1
; COMPUTE_PGM_RSRC2:TGID_Y_EN: 0
; COMPUTE_PGM_RSRC2:TGID_Z_EN: 0
; COMPUTE_PGM_RSRC2:TIDIG_COMP_CNT: 0
; COMPUTE_PGM_RSRC3_GFX90A:ACCUM_OFFSET: 0
; COMPUTE_PGM_RSRC3_GFX90A:TG_SPLIT: 0
	.section	.text._ZN7rocprim17ROCPRIM_400000_NS6detail17trampoline_kernelINS0_14default_configENS1_25partition_config_selectorILNS1_17partition_subalgoE3ExNS0_10empty_typeEbEEZZNS1_14partition_implILS5_3ELb0ES3_jN6thrust23THRUST_200600_302600_NS6detail15normal_iteratorINSA_7pointerIxNSA_11hip_rocprim3tagENSA_11use_defaultESG_EEEEPS6_SJ_NS0_5tupleIJPxSJ_EEENSK_IJSJ_SJ_EEES6_PlJ7is_evenIxEEEE10hipError_tPvRmT3_T4_T5_T6_T7_T9_mT8_P12ihipStream_tbDpT10_ENKUlT_T0_E_clISt17integral_constantIbLb0EES19_IbLb1EEEEDaS15_S16_EUlS15_E_NS1_11comp_targetILNS1_3genE9ELNS1_11target_archE1100ELNS1_3gpuE3ELNS1_3repE0EEENS1_30default_config_static_selectorELNS0_4arch9wavefront6targetE1EEEvT1_,"axG",@progbits,_ZN7rocprim17ROCPRIM_400000_NS6detail17trampoline_kernelINS0_14default_configENS1_25partition_config_selectorILNS1_17partition_subalgoE3ExNS0_10empty_typeEbEEZZNS1_14partition_implILS5_3ELb0ES3_jN6thrust23THRUST_200600_302600_NS6detail15normal_iteratorINSA_7pointerIxNSA_11hip_rocprim3tagENSA_11use_defaultESG_EEEEPS6_SJ_NS0_5tupleIJPxSJ_EEENSK_IJSJ_SJ_EEES6_PlJ7is_evenIxEEEE10hipError_tPvRmT3_T4_T5_T6_T7_T9_mT8_P12ihipStream_tbDpT10_ENKUlT_T0_E_clISt17integral_constantIbLb0EES19_IbLb1EEEEDaS15_S16_EUlS15_E_NS1_11comp_targetILNS1_3genE9ELNS1_11target_archE1100ELNS1_3gpuE3ELNS1_3repE0EEENS1_30default_config_static_selectorELNS0_4arch9wavefront6targetE1EEEvT1_,comdat
	.protected	_ZN7rocprim17ROCPRIM_400000_NS6detail17trampoline_kernelINS0_14default_configENS1_25partition_config_selectorILNS1_17partition_subalgoE3ExNS0_10empty_typeEbEEZZNS1_14partition_implILS5_3ELb0ES3_jN6thrust23THRUST_200600_302600_NS6detail15normal_iteratorINSA_7pointerIxNSA_11hip_rocprim3tagENSA_11use_defaultESG_EEEEPS6_SJ_NS0_5tupleIJPxSJ_EEENSK_IJSJ_SJ_EEES6_PlJ7is_evenIxEEEE10hipError_tPvRmT3_T4_T5_T6_T7_T9_mT8_P12ihipStream_tbDpT10_ENKUlT_T0_E_clISt17integral_constantIbLb0EES19_IbLb1EEEEDaS15_S16_EUlS15_E_NS1_11comp_targetILNS1_3genE9ELNS1_11target_archE1100ELNS1_3gpuE3ELNS1_3repE0EEENS1_30default_config_static_selectorELNS0_4arch9wavefront6targetE1EEEvT1_ ; -- Begin function _ZN7rocprim17ROCPRIM_400000_NS6detail17trampoline_kernelINS0_14default_configENS1_25partition_config_selectorILNS1_17partition_subalgoE3ExNS0_10empty_typeEbEEZZNS1_14partition_implILS5_3ELb0ES3_jN6thrust23THRUST_200600_302600_NS6detail15normal_iteratorINSA_7pointerIxNSA_11hip_rocprim3tagENSA_11use_defaultESG_EEEEPS6_SJ_NS0_5tupleIJPxSJ_EEENSK_IJSJ_SJ_EEES6_PlJ7is_evenIxEEEE10hipError_tPvRmT3_T4_T5_T6_T7_T9_mT8_P12ihipStream_tbDpT10_ENKUlT_T0_E_clISt17integral_constantIbLb0EES19_IbLb1EEEEDaS15_S16_EUlS15_E_NS1_11comp_targetILNS1_3genE9ELNS1_11target_archE1100ELNS1_3gpuE3ELNS1_3repE0EEENS1_30default_config_static_selectorELNS0_4arch9wavefront6targetE1EEEvT1_
	.globl	_ZN7rocprim17ROCPRIM_400000_NS6detail17trampoline_kernelINS0_14default_configENS1_25partition_config_selectorILNS1_17partition_subalgoE3ExNS0_10empty_typeEbEEZZNS1_14partition_implILS5_3ELb0ES3_jN6thrust23THRUST_200600_302600_NS6detail15normal_iteratorINSA_7pointerIxNSA_11hip_rocprim3tagENSA_11use_defaultESG_EEEEPS6_SJ_NS0_5tupleIJPxSJ_EEENSK_IJSJ_SJ_EEES6_PlJ7is_evenIxEEEE10hipError_tPvRmT3_T4_T5_T6_T7_T9_mT8_P12ihipStream_tbDpT10_ENKUlT_T0_E_clISt17integral_constantIbLb0EES19_IbLb1EEEEDaS15_S16_EUlS15_E_NS1_11comp_targetILNS1_3genE9ELNS1_11target_archE1100ELNS1_3gpuE3ELNS1_3repE0EEENS1_30default_config_static_selectorELNS0_4arch9wavefront6targetE1EEEvT1_
	.p2align	8
	.type	_ZN7rocprim17ROCPRIM_400000_NS6detail17trampoline_kernelINS0_14default_configENS1_25partition_config_selectorILNS1_17partition_subalgoE3ExNS0_10empty_typeEbEEZZNS1_14partition_implILS5_3ELb0ES3_jN6thrust23THRUST_200600_302600_NS6detail15normal_iteratorINSA_7pointerIxNSA_11hip_rocprim3tagENSA_11use_defaultESG_EEEEPS6_SJ_NS0_5tupleIJPxSJ_EEENSK_IJSJ_SJ_EEES6_PlJ7is_evenIxEEEE10hipError_tPvRmT3_T4_T5_T6_T7_T9_mT8_P12ihipStream_tbDpT10_ENKUlT_T0_E_clISt17integral_constantIbLb0EES19_IbLb1EEEEDaS15_S16_EUlS15_E_NS1_11comp_targetILNS1_3genE9ELNS1_11target_archE1100ELNS1_3gpuE3ELNS1_3repE0EEENS1_30default_config_static_selectorELNS0_4arch9wavefront6targetE1EEEvT1_,@function
_ZN7rocprim17ROCPRIM_400000_NS6detail17trampoline_kernelINS0_14default_configENS1_25partition_config_selectorILNS1_17partition_subalgoE3ExNS0_10empty_typeEbEEZZNS1_14partition_implILS5_3ELb0ES3_jN6thrust23THRUST_200600_302600_NS6detail15normal_iteratorINSA_7pointerIxNSA_11hip_rocprim3tagENSA_11use_defaultESG_EEEEPS6_SJ_NS0_5tupleIJPxSJ_EEENSK_IJSJ_SJ_EEES6_PlJ7is_evenIxEEEE10hipError_tPvRmT3_T4_T5_T6_T7_T9_mT8_P12ihipStream_tbDpT10_ENKUlT_T0_E_clISt17integral_constantIbLb0EES19_IbLb1EEEEDaS15_S16_EUlS15_E_NS1_11comp_targetILNS1_3genE9ELNS1_11target_archE1100ELNS1_3gpuE3ELNS1_3repE0EEENS1_30default_config_static_selectorELNS0_4arch9wavefront6targetE1EEEvT1_: ; @_ZN7rocprim17ROCPRIM_400000_NS6detail17trampoline_kernelINS0_14default_configENS1_25partition_config_selectorILNS1_17partition_subalgoE3ExNS0_10empty_typeEbEEZZNS1_14partition_implILS5_3ELb0ES3_jN6thrust23THRUST_200600_302600_NS6detail15normal_iteratorINSA_7pointerIxNSA_11hip_rocprim3tagENSA_11use_defaultESG_EEEEPS6_SJ_NS0_5tupleIJPxSJ_EEENSK_IJSJ_SJ_EEES6_PlJ7is_evenIxEEEE10hipError_tPvRmT3_T4_T5_T6_T7_T9_mT8_P12ihipStream_tbDpT10_ENKUlT_T0_E_clISt17integral_constantIbLb0EES19_IbLb1EEEEDaS15_S16_EUlS15_E_NS1_11comp_targetILNS1_3genE9ELNS1_11target_archE1100ELNS1_3gpuE3ELNS1_3repE0EEENS1_30default_config_static_selectorELNS0_4arch9wavefront6targetE1EEEvT1_
; %bb.0:
	.section	.rodata,"a",@progbits
	.p2align	6, 0x0
	.amdhsa_kernel _ZN7rocprim17ROCPRIM_400000_NS6detail17trampoline_kernelINS0_14default_configENS1_25partition_config_selectorILNS1_17partition_subalgoE3ExNS0_10empty_typeEbEEZZNS1_14partition_implILS5_3ELb0ES3_jN6thrust23THRUST_200600_302600_NS6detail15normal_iteratorINSA_7pointerIxNSA_11hip_rocprim3tagENSA_11use_defaultESG_EEEEPS6_SJ_NS0_5tupleIJPxSJ_EEENSK_IJSJ_SJ_EEES6_PlJ7is_evenIxEEEE10hipError_tPvRmT3_T4_T5_T6_T7_T9_mT8_P12ihipStream_tbDpT10_ENKUlT_T0_E_clISt17integral_constantIbLb0EES19_IbLb1EEEEDaS15_S16_EUlS15_E_NS1_11comp_targetILNS1_3genE9ELNS1_11target_archE1100ELNS1_3gpuE3ELNS1_3repE0EEENS1_30default_config_static_selectorELNS0_4arch9wavefront6targetE1EEEvT1_
		.amdhsa_group_segment_fixed_size 0
		.amdhsa_private_segment_fixed_size 0
		.amdhsa_kernarg_size 136
		.amdhsa_user_sgpr_count 2
		.amdhsa_user_sgpr_dispatch_ptr 0
		.amdhsa_user_sgpr_queue_ptr 0
		.amdhsa_user_sgpr_kernarg_segment_ptr 1
		.amdhsa_user_sgpr_dispatch_id 0
		.amdhsa_user_sgpr_kernarg_preload_length 0
		.amdhsa_user_sgpr_kernarg_preload_offset 0
		.amdhsa_user_sgpr_private_segment_size 0
		.amdhsa_uses_dynamic_stack 0
		.amdhsa_enable_private_segment 0
		.amdhsa_system_sgpr_workgroup_id_x 1
		.amdhsa_system_sgpr_workgroup_id_y 0
		.amdhsa_system_sgpr_workgroup_id_z 0
		.amdhsa_system_sgpr_workgroup_info 0
		.amdhsa_system_vgpr_workitem_id 0
		.amdhsa_next_free_vgpr 1
		.amdhsa_next_free_sgpr 0
		.amdhsa_accum_offset 4
		.amdhsa_reserve_vcc 0
		.amdhsa_float_round_mode_32 0
		.amdhsa_float_round_mode_16_64 0
		.amdhsa_float_denorm_mode_32 3
		.amdhsa_float_denorm_mode_16_64 3
		.amdhsa_dx10_clamp 1
		.amdhsa_ieee_mode 1
		.amdhsa_fp16_overflow 0
		.amdhsa_tg_split 0
		.amdhsa_exception_fp_ieee_invalid_op 0
		.amdhsa_exception_fp_denorm_src 0
		.amdhsa_exception_fp_ieee_div_zero 0
		.amdhsa_exception_fp_ieee_overflow 0
		.amdhsa_exception_fp_ieee_underflow 0
		.amdhsa_exception_fp_ieee_inexact 0
		.amdhsa_exception_int_div_zero 0
	.end_amdhsa_kernel
	.section	.text._ZN7rocprim17ROCPRIM_400000_NS6detail17trampoline_kernelINS0_14default_configENS1_25partition_config_selectorILNS1_17partition_subalgoE3ExNS0_10empty_typeEbEEZZNS1_14partition_implILS5_3ELb0ES3_jN6thrust23THRUST_200600_302600_NS6detail15normal_iteratorINSA_7pointerIxNSA_11hip_rocprim3tagENSA_11use_defaultESG_EEEEPS6_SJ_NS0_5tupleIJPxSJ_EEENSK_IJSJ_SJ_EEES6_PlJ7is_evenIxEEEE10hipError_tPvRmT3_T4_T5_T6_T7_T9_mT8_P12ihipStream_tbDpT10_ENKUlT_T0_E_clISt17integral_constantIbLb0EES19_IbLb1EEEEDaS15_S16_EUlS15_E_NS1_11comp_targetILNS1_3genE9ELNS1_11target_archE1100ELNS1_3gpuE3ELNS1_3repE0EEENS1_30default_config_static_selectorELNS0_4arch9wavefront6targetE1EEEvT1_,"axG",@progbits,_ZN7rocprim17ROCPRIM_400000_NS6detail17trampoline_kernelINS0_14default_configENS1_25partition_config_selectorILNS1_17partition_subalgoE3ExNS0_10empty_typeEbEEZZNS1_14partition_implILS5_3ELb0ES3_jN6thrust23THRUST_200600_302600_NS6detail15normal_iteratorINSA_7pointerIxNSA_11hip_rocprim3tagENSA_11use_defaultESG_EEEEPS6_SJ_NS0_5tupleIJPxSJ_EEENSK_IJSJ_SJ_EEES6_PlJ7is_evenIxEEEE10hipError_tPvRmT3_T4_T5_T6_T7_T9_mT8_P12ihipStream_tbDpT10_ENKUlT_T0_E_clISt17integral_constantIbLb0EES19_IbLb1EEEEDaS15_S16_EUlS15_E_NS1_11comp_targetILNS1_3genE9ELNS1_11target_archE1100ELNS1_3gpuE3ELNS1_3repE0EEENS1_30default_config_static_selectorELNS0_4arch9wavefront6targetE1EEEvT1_,comdat
.Lfunc_end46:
	.size	_ZN7rocprim17ROCPRIM_400000_NS6detail17trampoline_kernelINS0_14default_configENS1_25partition_config_selectorILNS1_17partition_subalgoE3ExNS0_10empty_typeEbEEZZNS1_14partition_implILS5_3ELb0ES3_jN6thrust23THRUST_200600_302600_NS6detail15normal_iteratorINSA_7pointerIxNSA_11hip_rocprim3tagENSA_11use_defaultESG_EEEEPS6_SJ_NS0_5tupleIJPxSJ_EEENSK_IJSJ_SJ_EEES6_PlJ7is_evenIxEEEE10hipError_tPvRmT3_T4_T5_T6_T7_T9_mT8_P12ihipStream_tbDpT10_ENKUlT_T0_E_clISt17integral_constantIbLb0EES19_IbLb1EEEEDaS15_S16_EUlS15_E_NS1_11comp_targetILNS1_3genE9ELNS1_11target_archE1100ELNS1_3gpuE3ELNS1_3repE0EEENS1_30default_config_static_selectorELNS0_4arch9wavefront6targetE1EEEvT1_, .Lfunc_end46-_ZN7rocprim17ROCPRIM_400000_NS6detail17trampoline_kernelINS0_14default_configENS1_25partition_config_selectorILNS1_17partition_subalgoE3ExNS0_10empty_typeEbEEZZNS1_14partition_implILS5_3ELb0ES3_jN6thrust23THRUST_200600_302600_NS6detail15normal_iteratorINSA_7pointerIxNSA_11hip_rocprim3tagENSA_11use_defaultESG_EEEEPS6_SJ_NS0_5tupleIJPxSJ_EEENSK_IJSJ_SJ_EEES6_PlJ7is_evenIxEEEE10hipError_tPvRmT3_T4_T5_T6_T7_T9_mT8_P12ihipStream_tbDpT10_ENKUlT_T0_E_clISt17integral_constantIbLb0EES19_IbLb1EEEEDaS15_S16_EUlS15_E_NS1_11comp_targetILNS1_3genE9ELNS1_11target_archE1100ELNS1_3gpuE3ELNS1_3repE0EEENS1_30default_config_static_selectorELNS0_4arch9wavefront6targetE1EEEvT1_
                                        ; -- End function
	.section	.AMDGPU.csdata,"",@progbits
; Kernel info:
; codeLenInByte = 0
; NumSgprs: 6
; NumVgprs: 0
; NumAgprs: 0
; TotalNumVgprs: 0
; ScratchSize: 0
; MemoryBound: 0
; FloatMode: 240
; IeeeMode: 1
; LDSByteSize: 0 bytes/workgroup (compile time only)
; SGPRBlocks: 0
; VGPRBlocks: 0
; NumSGPRsForWavesPerEU: 6
; NumVGPRsForWavesPerEU: 1
; AccumOffset: 4
; Occupancy: 8
; WaveLimiterHint : 0
; COMPUTE_PGM_RSRC2:SCRATCH_EN: 0
; COMPUTE_PGM_RSRC2:USER_SGPR: 2
; COMPUTE_PGM_RSRC2:TRAP_HANDLER: 0
; COMPUTE_PGM_RSRC2:TGID_X_EN: 1
; COMPUTE_PGM_RSRC2:TGID_Y_EN: 0
; COMPUTE_PGM_RSRC2:TGID_Z_EN: 0
; COMPUTE_PGM_RSRC2:TIDIG_COMP_CNT: 0
; COMPUTE_PGM_RSRC3_GFX90A:ACCUM_OFFSET: 0
; COMPUTE_PGM_RSRC3_GFX90A:TG_SPLIT: 0
	.section	.text._ZN7rocprim17ROCPRIM_400000_NS6detail17trampoline_kernelINS0_14default_configENS1_25partition_config_selectorILNS1_17partition_subalgoE3ExNS0_10empty_typeEbEEZZNS1_14partition_implILS5_3ELb0ES3_jN6thrust23THRUST_200600_302600_NS6detail15normal_iteratorINSA_7pointerIxNSA_11hip_rocprim3tagENSA_11use_defaultESG_EEEEPS6_SJ_NS0_5tupleIJPxSJ_EEENSK_IJSJ_SJ_EEES6_PlJ7is_evenIxEEEE10hipError_tPvRmT3_T4_T5_T6_T7_T9_mT8_P12ihipStream_tbDpT10_ENKUlT_T0_E_clISt17integral_constantIbLb0EES19_IbLb1EEEEDaS15_S16_EUlS15_E_NS1_11comp_targetILNS1_3genE8ELNS1_11target_archE1030ELNS1_3gpuE2ELNS1_3repE0EEENS1_30default_config_static_selectorELNS0_4arch9wavefront6targetE1EEEvT1_,"axG",@progbits,_ZN7rocprim17ROCPRIM_400000_NS6detail17trampoline_kernelINS0_14default_configENS1_25partition_config_selectorILNS1_17partition_subalgoE3ExNS0_10empty_typeEbEEZZNS1_14partition_implILS5_3ELb0ES3_jN6thrust23THRUST_200600_302600_NS6detail15normal_iteratorINSA_7pointerIxNSA_11hip_rocprim3tagENSA_11use_defaultESG_EEEEPS6_SJ_NS0_5tupleIJPxSJ_EEENSK_IJSJ_SJ_EEES6_PlJ7is_evenIxEEEE10hipError_tPvRmT3_T4_T5_T6_T7_T9_mT8_P12ihipStream_tbDpT10_ENKUlT_T0_E_clISt17integral_constantIbLb0EES19_IbLb1EEEEDaS15_S16_EUlS15_E_NS1_11comp_targetILNS1_3genE8ELNS1_11target_archE1030ELNS1_3gpuE2ELNS1_3repE0EEENS1_30default_config_static_selectorELNS0_4arch9wavefront6targetE1EEEvT1_,comdat
	.protected	_ZN7rocprim17ROCPRIM_400000_NS6detail17trampoline_kernelINS0_14default_configENS1_25partition_config_selectorILNS1_17partition_subalgoE3ExNS0_10empty_typeEbEEZZNS1_14partition_implILS5_3ELb0ES3_jN6thrust23THRUST_200600_302600_NS6detail15normal_iteratorINSA_7pointerIxNSA_11hip_rocprim3tagENSA_11use_defaultESG_EEEEPS6_SJ_NS0_5tupleIJPxSJ_EEENSK_IJSJ_SJ_EEES6_PlJ7is_evenIxEEEE10hipError_tPvRmT3_T4_T5_T6_T7_T9_mT8_P12ihipStream_tbDpT10_ENKUlT_T0_E_clISt17integral_constantIbLb0EES19_IbLb1EEEEDaS15_S16_EUlS15_E_NS1_11comp_targetILNS1_3genE8ELNS1_11target_archE1030ELNS1_3gpuE2ELNS1_3repE0EEENS1_30default_config_static_selectorELNS0_4arch9wavefront6targetE1EEEvT1_ ; -- Begin function _ZN7rocprim17ROCPRIM_400000_NS6detail17trampoline_kernelINS0_14default_configENS1_25partition_config_selectorILNS1_17partition_subalgoE3ExNS0_10empty_typeEbEEZZNS1_14partition_implILS5_3ELb0ES3_jN6thrust23THRUST_200600_302600_NS6detail15normal_iteratorINSA_7pointerIxNSA_11hip_rocprim3tagENSA_11use_defaultESG_EEEEPS6_SJ_NS0_5tupleIJPxSJ_EEENSK_IJSJ_SJ_EEES6_PlJ7is_evenIxEEEE10hipError_tPvRmT3_T4_T5_T6_T7_T9_mT8_P12ihipStream_tbDpT10_ENKUlT_T0_E_clISt17integral_constantIbLb0EES19_IbLb1EEEEDaS15_S16_EUlS15_E_NS1_11comp_targetILNS1_3genE8ELNS1_11target_archE1030ELNS1_3gpuE2ELNS1_3repE0EEENS1_30default_config_static_selectorELNS0_4arch9wavefront6targetE1EEEvT1_
	.globl	_ZN7rocprim17ROCPRIM_400000_NS6detail17trampoline_kernelINS0_14default_configENS1_25partition_config_selectorILNS1_17partition_subalgoE3ExNS0_10empty_typeEbEEZZNS1_14partition_implILS5_3ELb0ES3_jN6thrust23THRUST_200600_302600_NS6detail15normal_iteratorINSA_7pointerIxNSA_11hip_rocprim3tagENSA_11use_defaultESG_EEEEPS6_SJ_NS0_5tupleIJPxSJ_EEENSK_IJSJ_SJ_EEES6_PlJ7is_evenIxEEEE10hipError_tPvRmT3_T4_T5_T6_T7_T9_mT8_P12ihipStream_tbDpT10_ENKUlT_T0_E_clISt17integral_constantIbLb0EES19_IbLb1EEEEDaS15_S16_EUlS15_E_NS1_11comp_targetILNS1_3genE8ELNS1_11target_archE1030ELNS1_3gpuE2ELNS1_3repE0EEENS1_30default_config_static_selectorELNS0_4arch9wavefront6targetE1EEEvT1_
	.p2align	8
	.type	_ZN7rocprim17ROCPRIM_400000_NS6detail17trampoline_kernelINS0_14default_configENS1_25partition_config_selectorILNS1_17partition_subalgoE3ExNS0_10empty_typeEbEEZZNS1_14partition_implILS5_3ELb0ES3_jN6thrust23THRUST_200600_302600_NS6detail15normal_iteratorINSA_7pointerIxNSA_11hip_rocprim3tagENSA_11use_defaultESG_EEEEPS6_SJ_NS0_5tupleIJPxSJ_EEENSK_IJSJ_SJ_EEES6_PlJ7is_evenIxEEEE10hipError_tPvRmT3_T4_T5_T6_T7_T9_mT8_P12ihipStream_tbDpT10_ENKUlT_T0_E_clISt17integral_constantIbLb0EES19_IbLb1EEEEDaS15_S16_EUlS15_E_NS1_11comp_targetILNS1_3genE8ELNS1_11target_archE1030ELNS1_3gpuE2ELNS1_3repE0EEENS1_30default_config_static_selectorELNS0_4arch9wavefront6targetE1EEEvT1_,@function
_ZN7rocprim17ROCPRIM_400000_NS6detail17trampoline_kernelINS0_14default_configENS1_25partition_config_selectorILNS1_17partition_subalgoE3ExNS0_10empty_typeEbEEZZNS1_14partition_implILS5_3ELb0ES3_jN6thrust23THRUST_200600_302600_NS6detail15normal_iteratorINSA_7pointerIxNSA_11hip_rocprim3tagENSA_11use_defaultESG_EEEEPS6_SJ_NS0_5tupleIJPxSJ_EEENSK_IJSJ_SJ_EEES6_PlJ7is_evenIxEEEE10hipError_tPvRmT3_T4_T5_T6_T7_T9_mT8_P12ihipStream_tbDpT10_ENKUlT_T0_E_clISt17integral_constantIbLb0EES19_IbLb1EEEEDaS15_S16_EUlS15_E_NS1_11comp_targetILNS1_3genE8ELNS1_11target_archE1030ELNS1_3gpuE2ELNS1_3repE0EEENS1_30default_config_static_selectorELNS0_4arch9wavefront6targetE1EEEvT1_: ; @_ZN7rocprim17ROCPRIM_400000_NS6detail17trampoline_kernelINS0_14default_configENS1_25partition_config_selectorILNS1_17partition_subalgoE3ExNS0_10empty_typeEbEEZZNS1_14partition_implILS5_3ELb0ES3_jN6thrust23THRUST_200600_302600_NS6detail15normal_iteratorINSA_7pointerIxNSA_11hip_rocprim3tagENSA_11use_defaultESG_EEEEPS6_SJ_NS0_5tupleIJPxSJ_EEENSK_IJSJ_SJ_EEES6_PlJ7is_evenIxEEEE10hipError_tPvRmT3_T4_T5_T6_T7_T9_mT8_P12ihipStream_tbDpT10_ENKUlT_T0_E_clISt17integral_constantIbLb0EES19_IbLb1EEEEDaS15_S16_EUlS15_E_NS1_11comp_targetILNS1_3genE8ELNS1_11target_archE1030ELNS1_3gpuE2ELNS1_3repE0EEENS1_30default_config_static_selectorELNS0_4arch9wavefront6targetE1EEEvT1_
; %bb.0:
	.section	.rodata,"a",@progbits
	.p2align	6, 0x0
	.amdhsa_kernel _ZN7rocprim17ROCPRIM_400000_NS6detail17trampoline_kernelINS0_14default_configENS1_25partition_config_selectorILNS1_17partition_subalgoE3ExNS0_10empty_typeEbEEZZNS1_14partition_implILS5_3ELb0ES3_jN6thrust23THRUST_200600_302600_NS6detail15normal_iteratorINSA_7pointerIxNSA_11hip_rocprim3tagENSA_11use_defaultESG_EEEEPS6_SJ_NS0_5tupleIJPxSJ_EEENSK_IJSJ_SJ_EEES6_PlJ7is_evenIxEEEE10hipError_tPvRmT3_T4_T5_T6_T7_T9_mT8_P12ihipStream_tbDpT10_ENKUlT_T0_E_clISt17integral_constantIbLb0EES19_IbLb1EEEEDaS15_S16_EUlS15_E_NS1_11comp_targetILNS1_3genE8ELNS1_11target_archE1030ELNS1_3gpuE2ELNS1_3repE0EEENS1_30default_config_static_selectorELNS0_4arch9wavefront6targetE1EEEvT1_
		.amdhsa_group_segment_fixed_size 0
		.amdhsa_private_segment_fixed_size 0
		.amdhsa_kernarg_size 136
		.amdhsa_user_sgpr_count 2
		.amdhsa_user_sgpr_dispatch_ptr 0
		.amdhsa_user_sgpr_queue_ptr 0
		.amdhsa_user_sgpr_kernarg_segment_ptr 1
		.amdhsa_user_sgpr_dispatch_id 0
		.amdhsa_user_sgpr_kernarg_preload_length 0
		.amdhsa_user_sgpr_kernarg_preload_offset 0
		.amdhsa_user_sgpr_private_segment_size 0
		.amdhsa_uses_dynamic_stack 0
		.amdhsa_enable_private_segment 0
		.amdhsa_system_sgpr_workgroup_id_x 1
		.amdhsa_system_sgpr_workgroup_id_y 0
		.amdhsa_system_sgpr_workgroup_id_z 0
		.amdhsa_system_sgpr_workgroup_info 0
		.amdhsa_system_vgpr_workitem_id 0
		.amdhsa_next_free_vgpr 1
		.amdhsa_next_free_sgpr 0
		.amdhsa_accum_offset 4
		.amdhsa_reserve_vcc 0
		.amdhsa_float_round_mode_32 0
		.amdhsa_float_round_mode_16_64 0
		.amdhsa_float_denorm_mode_32 3
		.amdhsa_float_denorm_mode_16_64 3
		.amdhsa_dx10_clamp 1
		.amdhsa_ieee_mode 1
		.amdhsa_fp16_overflow 0
		.amdhsa_tg_split 0
		.amdhsa_exception_fp_ieee_invalid_op 0
		.amdhsa_exception_fp_denorm_src 0
		.amdhsa_exception_fp_ieee_div_zero 0
		.amdhsa_exception_fp_ieee_overflow 0
		.amdhsa_exception_fp_ieee_underflow 0
		.amdhsa_exception_fp_ieee_inexact 0
		.amdhsa_exception_int_div_zero 0
	.end_amdhsa_kernel
	.section	.text._ZN7rocprim17ROCPRIM_400000_NS6detail17trampoline_kernelINS0_14default_configENS1_25partition_config_selectorILNS1_17partition_subalgoE3ExNS0_10empty_typeEbEEZZNS1_14partition_implILS5_3ELb0ES3_jN6thrust23THRUST_200600_302600_NS6detail15normal_iteratorINSA_7pointerIxNSA_11hip_rocprim3tagENSA_11use_defaultESG_EEEEPS6_SJ_NS0_5tupleIJPxSJ_EEENSK_IJSJ_SJ_EEES6_PlJ7is_evenIxEEEE10hipError_tPvRmT3_T4_T5_T6_T7_T9_mT8_P12ihipStream_tbDpT10_ENKUlT_T0_E_clISt17integral_constantIbLb0EES19_IbLb1EEEEDaS15_S16_EUlS15_E_NS1_11comp_targetILNS1_3genE8ELNS1_11target_archE1030ELNS1_3gpuE2ELNS1_3repE0EEENS1_30default_config_static_selectorELNS0_4arch9wavefront6targetE1EEEvT1_,"axG",@progbits,_ZN7rocprim17ROCPRIM_400000_NS6detail17trampoline_kernelINS0_14default_configENS1_25partition_config_selectorILNS1_17partition_subalgoE3ExNS0_10empty_typeEbEEZZNS1_14partition_implILS5_3ELb0ES3_jN6thrust23THRUST_200600_302600_NS6detail15normal_iteratorINSA_7pointerIxNSA_11hip_rocprim3tagENSA_11use_defaultESG_EEEEPS6_SJ_NS0_5tupleIJPxSJ_EEENSK_IJSJ_SJ_EEES6_PlJ7is_evenIxEEEE10hipError_tPvRmT3_T4_T5_T6_T7_T9_mT8_P12ihipStream_tbDpT10_ENKUlT_T0_E_clISt17integral_constantIbLb0EES19_IbLb1EEEEDaS15_S16_EUlS15_E_NS1_11comp_targetILNS1_3genE8ELNS1_11target_archE1030ELNS1_3gpuE2ELNS1_3repE0EEENS1_30default_config_static_selectorELNS0_4arch9wavefront6targetE1EEEvT1_,comdat
.Lfunc_end47:
	.size	_ZN7rocprim17ROCPRIM_400000_NS6detail17trampoline_kernelINS0_14default_configENS1_25partition_config_selectorILNS1_17partition_subalgoE3ExNS0_10empty_typeEbEEZZNS1_14partition_implILS5_3ELb0ES3_jN6thrust23THRUST_200600_302600_NS6detail15normal_iteratorINSA_7pointerIxNSA_11hip_rocprim3tagENSA_11use_defaultESG_EEEEPS6_SJ_NS0_5tupleIJPxSJ_EEENSK_IJSJ_SJ_EEES6_PlJ7is_evenIxEEEE10hipError_tPvRmT3_T4_T5_T6_T7_T9_mT8_P12ihipStream_tbDpT10_ENKUlT_T0_E_clISt17integral_constantIbLb0EES19_IbLb1EEEEDaS15_S16_EUlS15_E_NS1_11comp_targetILNS1_3genE8ELNS1_11target_archE1030ELNS1_3gpuE2ELNS1_3repE0EEENS1_30default_config_static_selectorELNS0_4arch9wavefront6targetE1EEEvT1_, .Lfunc_end47-_ZN7rocprim17ROCPRIM_400000_NS6detail17trampoline_kernelINS0_14default_configENS1_25partition_config_selectorILNS1_17partition_subalgoE3ExNS0_10empty_typeEbEEZZNS1_14partition_implILS5_3ELb0ES3_jN6thrust23THRUST_200600_302600_NS6detail15normal_iteratorINSA_7pointerIxNSA_11hip_rocprim3tagENSA_11use_defaultESG_EEEEPS6_SJ_NS0_5tupleIJPxSJ_EEENSK_IJSJ_SJ_EEES6_PlJ7is_evenIxEEEE10hipError_tPvRmT3_T4_T5_T6_T7_T9_mT8_P12ihipStream_tbDpT10_ENKUlT_T0_E_clISt17integral_constantIbLb0EES19_IbLb1EEEEDaS15_S16_EUlS15_E_NS1_11comp_targetILNS1_3genE8ELNS1_11target_archE1030ELNS1_3gpuE2ELNS1_3repE0EEENS1_30default_config_static_selectorELNS0_4arch9wavefront6targetE1EEEvT1_
                                        ; -- End function
	.section	.AMDGPU.csdata,"",@progbits
; Kernel info:
; codeLenInByte = 0
; NumSgprs: 6
; NumVgprs: 0
; NumAgprs: 0
; TotalNumVgprs: 0
; ScratchSize: 0
; MemoryBound: 0
; FloatMode: 240
; IeeeMode: 1
; LDSByteSize: 0 bytes/workgroup (compile time only)
; SGPRBlocks: 0
; VGPRBlocks: 0
; NumSGPRsForWavesPerEU: 6
; NumVGPRsForWavesPerEU: 1
; AccumOffset: 4
; Occupancy: 8
; WaveLimiterHint : 0
; COMPUTE_PGM_RSRC2:SCRATCH_EN: 0
; COMPUTE_PGM_RSRC2:USER_SGPR: 2
; COMPUTE_PGM_RSRC2:TRAP_HANDLER: 0
; COMPUTE_PGM_RSRC2:TGID_X_EN: 1
; COMPUTE_PGM_RSRC2:TGID_Y_EN: 0
; COMPUTE_PGM_RSRC2:TGID_Z_EN: 0
; COMPUTE_PGM_RSRC2:TIDIG_COMP_CNT: 0
; COMPUTE_PGM_RSRC3_GFX90A:ACCUM_OFFSET: 0
; COMPUTE_PGM_RSRC3_GFX90A:TG_SPLIT: 0
	.section	.text._ZN7rocprim17ROCPRIM_400000_NS6detail17trampoline_kernelINS0_14default_configENS1_22reduce_config_selectorIN6thrust23THRUST_200600_302600_NS5tupleIblNS6_9null_typeES8_S8_S8_S8_S8_S8_S8_EEEEZNS1_11reduce_implILb1ES3_PS9_SC_S9_NS6_11hip_rocprim9__find_if7functorIS9_EEEE10hipError_tPvRmT1_T2_T3_mT4_P12ihipStream_tbEUlT_E0_NS1_11comp_targetILNS1_3genE0ELNS1_11target_archE4294967295ELNS1_3gpuE0ELNS1_3repE0EEENS1_30default_config_static_selectorELNS0_4arch9wavefront6targetE1EEEvSK_,"axG",@progbits,_ZN7rocprim17ROCPRIM_400000_NS6detail17trampoline_kernelINS0_14default_configENS1_22reduce_config_selectorIN6thrust23THRUST_200600_302600_NS5tupleIblNS6_9null_typeES8_S8_S8_S8_S8_S8_S8_EEEEZNS1_11reduce_implILb1ES3_PS9_SC_S9_NS6_11hip_rocprim9__find_if7functorIS9_EEEE10hipError_tPvRmT1_T2_T3_mT4_P12ihipStream_tbEUlT_E0_NS1_11comp_targetILNS1_3genE0ELNS1_11target_archE4294967295ELNS1_3gpuE0ELNS1_3repE0EEENS1_30default_config_static_selectorELNS0_4arch9wavefront6targetE1EEEvSK_,comdat
	.protected	_ZN7rocprim17ROCPRIM_400000_NS6detail17trampoline_kernelINS0_14default_configENS1_22reduce_config_selectorIN6thrust23THRUST_200600_302600_NS5tupleIblNS6_9null_typeES8_S8_S8_S8_S8_S8_S8_EEEEZNS1_11reduce_implILb1ES3_PS9_SC_S9_NS6_11hip_rocprim9__find_if7functorIS9_EEEE10hipError_tPvRmT1_T2_T3_mT4_P12ihipStream_tbEUlT_E0_NS1_11comp_targetILNS1_3genE0ELNS1_11target_archE4294967295ELNS1_3gpuE0ELNS1_3repE0EEENS1_30default_config_static_selectorELNS0_4arch9wavefront6targetE1EEEvSK_ ; -- Begin function _ZN7rocprim17ROCPRIM_400000_NS6detail17trampoline_kernelINS0_14default_configENS1_22reduce_config_selectorIN6thrust23THRUST_200600_302600_NS5tupleIblNS6_9null_typeES8_S8_S8_S8_S8_S8_S8_EEEEZNS1_11reduce_implILb1ES3_PS9_SC_S9_NS6_11hip_rocprim9__find_if7functorIS9_EEEE10hipError_tPvRmT1_T2_T3_mT4_P12ihipStream_tbEUlT_E0_NS1_11comp_targetILNS1_3genE0ELNS1_11target_archE4294967295ELNS1_3gpuE0ELNS1_3repE0EEENS1_30default_config_static_selectorELNS0_4arch9wavefront6targetE1EEEvSK_
	.globl	_ZN7rocprim17ROCPRIM_400000_NS6detail17trampoline_kernelINS0_14default_configENS1_22reduce_config_selectorIN6thrust23THRUST_200600_302600_NS5tupleIblNS6_9null_typeES8_S8_S8_S8_S8_S8_S8_EEEEZNS1_11reduce_implILb1ES3_PS9_SC_S9_NS6_11hip_rocprim9__find_if7functorIS9_EEEE10hipError_tPvRmT1_T2_T3_mT4_P12ihipStream_tbEUlT_E0_NS1_11comp_targetILNS1_3genE0ELNS1_11target_archE4294967295ELNS1_3gpuE0ELNS1_3repE0EEENS1_30default_config_static_selectorELNS0_4arch9wavefront6targetE1EEEvSK_
	.p2align	8
	.type	_ZN7rocprim17ROCPRIM_400000_NS6detail17trampoline_kernelINS0_14default_configENS1_22reduce_config_selectorIN6thrust23THRUST_200600_302600_NS5tupleIblNS6_9null_typeES8_S8_S8_S8_S8_S8_S8_EEEEZNS1_11reduce_implILb1ES3_PS9_SC_S9_NS6_11hip_rocprim9__find_if7functorIS9_EEEE10hipError_tPvRmT1_T2_T3_mT4_P12ihipStream_tbEUlT_E0_NS1_11comp_targetILNS1_3genE0ELNS1_11target_archE4294967295ELNS1_3gpuE0ELNS1_3repE0EEENS1_30default_config_static_selectorELNS0_4arch9wavefront6targetE1EEEvSK_,@function
_ZN7rocprim17ROCPRIM_400000_NS6detail17trampoline_kernelINS0_14default_configENS1_22reduce_config_selectorIN6thrust23THRUST_200600_302600_NS5tupleIblNS6_9null_typeES8_S8_S8_S8_S8_S8_S8_EEEEZNS1_11reduce_implILb1ES3_PS9_SC_S9_NS6_11hip_rocprim9__find_if7functorIS9_EEEE10hipError_tPvRmT1_T2_T3_mT4_P12ihipStream_tbEUlT_E0_NS1_11comp_targetILNS1_3genE0ELNS1_11target_archE4294967295ELNS1_3gpuE0ELNS1_3repE0EEENS1_30default_config_static_selectorELNS0_4arch9wavefront6targetE1EEEvSK_: ; @_ZN7rocprim17ROCPRIM_400000_NS6detail17trampoline_kernelINS0_14default_configENS1_22reduce_config_selectorIN6thrust23THRUST_200600_302600_NS5tupleIblNS6_9null_typeES8_S8_S8_S8_S8_S8_S8_EEEEZNS1_11reduce_implILb1ES3_PS9_SC_S9_NS6_11hip_rocprim9__find_if7functorIS9_EEEE10hipError_tPvRmT1_T2_T3_mT4_P12ihipStream_tbEUlT_E0_NS1_11comp_targetILNS1_3genE0ELNS1_11target_archE4294967295ELNS1_3gpuE0ELNS1_3repE0EEENS1_30default_config_static_selectorELNS0_4arch9wavefront6targetE1EEEvSK_
; %bb.0:
	.section	.rodata,"a",@progbits
	.p2align	6, 0x0
	.amdhsa_kernel _ZN7rocprim17ROCPRIM_400000_NS6detail17trampoline_kernelINS0_14default_configENS1_22reduce_config_selectorIN6thrust23THRUST_200600_302600_NS5tupleIblNS6_9null_typeES8_S8_S8_S8_S8_S8_S8_EEEEZNS1_11reduce_implILb1ES3_PS9_SC_S9_NS6_11hip_rocprim9__find_if7functorIS9_EEEE10hipError_tPvRmT1_T2_T3_mT4_P12ihipStream_tbEUlT_E0_NS1_11comp_targetILNS1_3genE0ELNS1_11target_archE4294967295ELNS1_3gpuE0ELNS1_3repE0EEENS1_30default_config_static_selectorELNS0_4arch9wavefront6targetE1EEEvSK_
		.amdhsa_group_segment_fixed_size 0
		.amdhsa_private_segment_fixed_size 0
		.amdhsa_kernarg_size 72
		.amdhsa_user_sgpr_count 2
		.amdhsa_user_sgpr_dispatch_ptr 0
		.amdhsa_user_sgpr_queue_ptr 0
		.amdhsa_user_sgpr_kernarg_segment_ptr 1
		.amdhsa_user_sgpr_dispatch_id 0
		.amdhsa_user_sgpr_kernarg_preload_length 0
		.amdhsa_user_sgpr_kernarg_preload_offset 0
		.amdhsa_user_sgpr_private_segment_size 0
		.amdhsa_uses_dynamic_stack 0
		.amdhsa_enable_private_segment 0
		.amdhsa_system_sgpr_workgroup_id_x 1
		.amdhsa_system_sgpr_workgroup_id_y 0
		.amdhsa_system_sgpr_workgroup_id_z 0
		.amdhsa_system_sgpr_workgroup_info 0
		.amdhsa_system_vgpr_workitem_id 0
		.amdhsa_next_free_vgpr 1
		.amdhsa_next_free_sgpr 0
		.amdhsa_accum_offset 4
		.amdhsa_reserve_vcc 0
		.amdhsa_float_round_mode_32 0
		.amdhsa_float_round_mode_16_64 0
		.amdhsa_float_denorm_mode_32 3
		.amdhsa_float_denorm_mode_16_64 3
		.amdhsa_dx10_clamp 1
		.amdhsa_ieee_mode 1
		.amdhsa_fp16_overflow 0
		.amdhsa_tg_split 0
		.amdhsa_exception_fp_ieee_invalid_op 0
		.amdhsa_exception_fp_denorm_src 0
		.amdhsa_exception_fp_ieee_div_zero 0
		.amdhsa_exception_fp_ieee_overflow 0
		.amdhsa_exception_fp_ieee_underflow 0
		.amdhsa_exception_fp_ieee_inexact 0
		.amdhsa_exception_int_div_zero 0
	.end_amdhsa_kernel
	.section	.text._ZN7rocprim17ROCPRIM_400000_NS6detail17trampoline_kernelINS0_14default_configENS1_22reduce_config_selectorIN6thrust23THRUST_200600_302600_NS5tupleIblNS6_9null_typeES8_S8_S8_S8_S8_S8_S8_EEEEZNS1_11reduce_implILb1ES3_PS9_SC_S9_NS6_11hip_rocprim9__find_if7functorIS9_EEEE10hipError_tPvRmT1_T2_T3_mT4_P12ihipStream_tbEUlT_E0_NS1_11comp_targetILNS1_3genE0ELNS1_11target_archE4294967295ELNS1_3gpuE0ELNS1_3repE0EEENS1_30default_config_static_selectorELNS0_4arch9wavefront6targetE1EEEvSK_,"axG",@progbits,_ZN7rocprim17ROCPRIM_400000_NS6detail17trampoline_kernelINS0_14default_configENS1_22reduce_config_selectorIN6thrust23THRUST_200600_302600_NS5tupleIblNS6_9null_typeES8_S8_S8_S8_S8_S8_S8_EEEEZNS1_11reduce_implILb1ES3_PS9_SC_S9_NS6_11hip_rocprim9__find_if7functorIS9_EEEE10hipError_tPvRmT1_T2_T3_mT4_P12ihipStream_tbEUlT_E0_NS1_11comp_targetILNS1_3genE0ELNS1_11target_archE4294967295ELNS1_3gpuE0ELNS1_3repE0EEENS1_30default_config_static_selectorELNS0_4arch9wavefront6targetE1EEEvSK_,comdat
.Lfunc_end48:
	.size	_ZN7rocprim17ROCPRIM_400000_NS6detail17trampoline_kernelINS0_14default_configENS1_22reduce_config_selectorIN6thrust23THRUST_200600_302600_NS5tupleIblNS6_9null_typeES8_S8_S8_S8_S8_S8_S8_EEEEZNS1_11reduce_implILb1ES3_PS9_SC_S9_NS6_11hip_rocprim9__find_if7functorIS9_EEEE10hipError_tPvRmT1_T2_T3_mT4_P12ihipStream_tbEUlT_E0_NS1_11comp_targetILNS1_3genE0ELNS1_11target_archE4294967295ELNS1_3gpuE0ELNS1_3repE0EEENS1_30default_config_static_selectorELNS0_4arch9wavefront6targetE1EEEvSK_, .Lfunc_end48-_ZN7rocprim17ROCPRIM_400000_NS6detail17trampoline_kernelINS0_14default_configENS1_22reduce_config_selectorIN6thrust23THRUST_200600_302600_NS5tupleIblNS6_9null_typeES8_S8_S8_S8_S8_S8_S8_EEEEZNS1_11reduce_implILb1ES3_PS9_SC_S9_NS6_11hip_rocprim9__find_if7functorIS9_EEEE10hipError_tPvRmT1_T2_T3_mT4_P12ihipStream_tbEUlT_E0_NS1_11comp_targetILNS1_3genE0ELNS1_11target_archE4294967295ELNS1_3gpuE0ELNS1_3repE0EEENS1_30default_config_static_selectorELNS0_4arch9wavefront6targetE1EEEvSK_
                                        ; -- End function
	.section	.AMDGPU.csdata,"",@progbits
; Kernel info:
; codeLenInByte = 0
; NumSgprs: 6
; NumVgprs: 0
; NumAgprs: 0
; TotalNumVgprs: 0
; ScratchSize: 0
; MemoryBound: 0
; FloatMode: 240
; IeeeMode: 1
; LDSByteSize: 0 bytes/workgroup (compile time only)
; SGPRBlocks: 0
; VGPRBlocks: 0
; NumSGPRsForWavesPerEU: 6
; NumVGPRsForWavesPerEU: 1
; AccumOffset: 4
; Occupancy: 8
; WaveLimiterHint : 0
; COMPUTE_PGM_RSRC2:SCRATCH_EN: 0
; COMPUTE_PGM_RSRC2:USER_SGPR: 2
; COMPUTE_PGM_RSRC2:TRAP_HANDLER: 0
; COMPUTE_PGM_RSRC2:TGID_X_EN: 1
; COMPUTE_PGM_RSRC2:TGID_Y_EN: 0
; COMPUTE_PGM_RSRC2:TGID_Z_EN: 0
; COMPUTE_PGM_RSRC2:TIDIG_COMP_CNT: 0
; COMPUTE_PGM_RSRC3_GFX90A:ACCUM_OFFSET: 0
; COMPUTE_PGM_RSRC3_GFX90A:TG_SPLIT: 0
	.section	.text._ZN7rocprim17ROCPRIM_400000_NS6detail17trampoline_kernelINS0_14default_configENS1_22reduce_config_selectorIN6thrust23THRUST_200600_302600_NS5tupleIblNS6_9null_typeES8_S8_S8_S8_S8_S8_S8_EEEEZNS1_11reduce_implILb1ES3_PS9_SC_S9_NS6_11hip_rocprim9__find_if7functorIS9_EEEE10hipError_tPvRmT1_T2_T3_mT4_P12ihipStream_tbEUlT_E0_NS1_11comp_targetILNS1_3genE5ELNS1_11target_archE942ELNS1_3gpuE9ELNS1_3repE0EEENS1_30default_config_static_selectorELNS0_4arch9wavefront6targetE1EEEvSK_,"axG",@progbits,_ZN7rocprim17ROCPRIM_400000_NS6detail17trampoline_kernelINS0_14default_configENS1_22reduce_config_selectorIN6thrust23THRUST_200600_302600_NS5tupleIblNS6_9null_typeES8_S8_S8_S8_S8_S8_S8_EEEEZNS1_11reduce_implILb1ES3_PS9_SC_S9_NS6_11hip_rocprim9__find_if7functorIS9_EEEE10hipError_tPvRmT1_T2_T3_mT4_P12ihipStream_tbEUlT_E0_NS1_11comp_targetILNS1_3genE5ELNS1_11target_archE942ELNS1_3gpuE9ELNS1_3repE0EEENS1_30default_config_static_selectorELNS0_4arch9wavefront6targetE1EEEvSK_,comdat
	.protected	_ZN7rocprim17ROCPRIM_400000_NS6detail17trampoline_kernelINS0_14default_configENS1_22reduce_config_selectorIN6thrust23THRUST_200600_302600_NS5tupleIblNS6_9null_typeES8_S8_S8_S8_S8_S8_S8_EEEEZNS1_11reduce_implILb1ES3_PS9_SC_S9_NS6_11hip_rocprim9__find_if7functorIS9_EEEE10hipError_tPvRmT1_T2_T3_mT4_P12ihipStream_tbEUlT_E0_NS1_11comp_targetILNS1_3genE5ELNS1_11target_archE942ELNS1_3gpuE9ELNS1_3repE0EEENS1_30default_config_static_selectorELNS0_4arch9wavefront6targetE1EEEvSK_ ; -- Begin function _ZN7rocprim17ROCPRIM_400000_NS6detail17trampoline_kernelINS0_14default_configENS1_22reduce_config_selectorIN6thrust23THRUST_200600_302600_NS5tupleIblNS6_9null_typeES8_S8_S8_S8_S8_S8_S8_EEEEZNS1_11reduce_implILb1ES3_PS9_SC_S9_NS6_11hip_rocprim9__find_if7functorIS9_EEEE10hipError_tPvRmT1_T2_T3_mT4_P12ihipStream_tbEUlT_E0_NS1_11comp_targetILNS1_3genE5ELNS1_11target_archE942ELNS1_3gpuE9ELNS1_3repE0EEENS1_30default_config_static_selectorELNS0_4arch9wavefront6targetE1EEEvSK_
	.globl	_ZN7rocprim17ROCPRIM_400000_NS6detail17trampoline_kernelINS0_14default_configENS1_22reduce_config_selectorIN6thrust23THRUST_200600_302600_NS5tupleIblNS6_9null_typeES8_S8_S8_S8_S8_S8_S8_EEEEZNS1_11reduce_implILb1ES3_PS9_SC_S9_NS6_11hip_rocprim9__find_if7functorIS9_EEEE10hipError_tPvRmT1_T2_T3_mT4_P12ihipStream_tbEUlT_E0_NS1_11comp_targetILNS1_3genE5ELNS1_11target_archE942ELNS1_3gpuE9ELNS1_3repE0EEENS1_30default_config_static_selectorELNS0_4arch9wavefront6targetE1EEEvSK_
	.p2align	8
	.type	_ZN7rocprim17ROCPRIM_400000_NS6detail17trampoline_kernelINS0_14default_configENS1_22reduce_config_selectorIN6thrust23THRUST_200600_302600_NS5tupleIblNS6_9null_typeES8_S8_S8_S8_S8_S8_S8_EEEEZNS1_11reduce_implILb1ES3_PS9_SC_S9_NS6_11hip_rocprim9__find_if7functorIS9_EEEE10hipError_tPvRmT1_T2_T3_mT4_P12ihipStream_tbEUlT_E0_NS1_11comp_targetILNS1_3genE5ELNS1_11target_archE942ELNS1_3gpuE9ELNS1_3repE0EEENS1_30default_config_static_selectorELNS0_4arch9wavefront6targetE1EEEvSK_,@function
_ZN7rocprim17ROCPRIM_400000_NS6detail17trampoline_kernelINS0_14default_configENS1_22reduce_config_selectorIN6thrust23THRUST_200600_302600_NS5tupleIblNS6_9null_typeES8_S8_S8_S8_S8_S8_S8_EEEEZNS1_11reduce_implILb1ES3_PS9_SC_S9_NS6_11hip_rocprim9__find_if7functorIS9_EEEE10hipError_tPvRmT1_T2_T3_mT4_P12ihipStream_tbEUlT_E0_NS1_11comp_targetILNS1_3genE5ELNS1_11target_archE942ELNS1_3gpuE9ELNS1_3repE0EEENS1_30default_config_static_selectorELNS0_4arch9wavefront6targetE1EEEvSK_: ; @_ZN7rocprim17ROCPRIM_400000_NS6detail17trampoline_kernelINS0_14default_configENS1_22reduce_config_selectorIN6thrust23THRUST_200600_302600_NS5tupleIblNS6_9null_typeES8_S8_S8_S8_S8_S8_S8_EEEEZNS1_11reduce_implILb1ES3_PS9_SC_S9_NS6_11hip_rocprim9__find_if7functorIS9_EEEE10hipError_tPvRmT1_T2_T3_mT4_P12ihipStream_tbEUlT_E0_NS1_11comp_targetILNS1_3genE5ELNS1_11target_archE942ELNS1_3gpuE9ELNS1_3repE0EEENS1_30default_config_static_selectorELNS0_4arch9wavefront6targetE1EEEvSK_
; %bb.0:
	s_load_dwordx8 s[36:43], s[0:1], 0x0
	s_load_dwordx4 s[44:47], s[0:1], 0x20
	s_mov_b32 s7, 0
	s_mov_b32 s3, s7
	s_waitcnt lgkmcnt(0)
	s_lshl_b64 s[4:5], s[38:39], 4
	s_add_u32 s10, s36, s4
	s_addc_u32 s11, s37, s5
	s_lshl_b32 s6, s2, 12
	s_lshr_b64 s[4:5], s[40:41], 12
	s_lshl_b64 s[8:9], s[6:7], 4
	s_add_u32 s30, s10, s8
	s_addc_u32 s31, s11, s9
	s_cmp_lg_u64 s[4:5], s[2:3]
	s_cbranch_scc0 .LBB49_20
; %bb.1:
	v_lshlrev_b32_e32 v50, 4, v0
	v_mov_b32_e32 v51, 0
	v_lshl_add_u64 v[32:33], s[30:31], 0, v[50:51]
	v_add_co_u32_e32 v2, vcc, 0x1000, v32
	s_nop 1
	v_addc_co_u32_e32 v3, vcc, 0, v33, vcc
	v_add_co_u32_e32 v4, vcc, 0x2000, v32
	s_nop 1
	v_addc_co_u32_e32 v5, vcc, 0, v33, vcc
	global_load_ubyte v47, v[2:3], off
	global_load_dwordx2 v[30:31], v[2:3], off offset:8
	global_load_ubyte v46, v[4:5], off
	global_load_dwordx2 v[28:29], v[4:5], off offset:8
	v_add_co_u32_e32 v2, vcc, 0x3000, v32
	s_nop 1
	v_addc_co_u32_e32 v3, vcc, 0, v33, vcc
	v_add_co_u32_e32 v4, vcc, 0x4000, v32
	s_nop 1
	v_addc_co_u32_e32 v5, vcc, 0, v33, vcc
	global_load_ubyte v45, v[2:3], off
	global_load_dwordx2 v[26:27], v[2:3], off offset:8
	global_load_ubyte v44, v[4:5], off
	global_load_dwordx2 v[24:25], v[4:5], off offset:8
	;; [unrolled: 10-line block ×7, first 2 shown]
	v_add_co_u32_e32 v52, vcc, 0xf000, v32
	s_nop 1
	v_addc_co_u32_e32 v53, vcc, 0, v33, vcc
	global_load_ubyte v48, v50, s[30:31]
	global_load_ubyte v1, v[52:53], off
	global_load_dwordx2 v[2:3], v[52:53], off offset:8
	s_waitcnt vmcnt(2)
	v_and_b32_e32 v49, 1, v48
	v_cmp_eq_u32_e32 vcc, 1, v49
	s_and_saveexec_b64 s[8:9], vcc
	s_cbranch_execz .LBB49_3
; %bb.2:
	global_load_dwordx2 v[32:33], v[32:33], off offset:8
	v_and_b32_e32 v47, 1, v47
	v_cmp_eq_u32_e32 vcc, 1, v47
	s_waitcnt vmcnt(0)
	v_cmp_lt_i64_e64 s[4:5], v[30:31], v[32:33]
	s_nop 1
	v_cndmask_b32_e64 v31, v33, v31, s[4:5]
	v_cndmask_b32_e64 v47, v48, 1, vcc
	v_cndmask_b32_e32 v31, v33, v31, vcc
	s_and_b64 vcc, vcc, s[4:5]
	v_cndmask_b32_e32 v30, v32, v30, vcc
.LBB49_3:
	s_or_b64 exec, exec, s[8:9]
	v_and_b32_e32 v33, 1, v46
	v_cmp_lt_i64_e32 vcc, v[28:29], v[30:31]
	v_cmp_eq_u32_e64 s[4:5], 1, v33
	v_and_b32_e32 v32, 1, v47
	s_and_b64 vcc, s[4:5], vcc
	v_cndmask_b32_e32 v30, v30, v28, vcc
	v_cndmask_b32_e32 v31, v31, v29, vcc
	v_cmp_eq_u32_e32 vcc, 1, v32
	v_cndmask_b32_e64 v33, v47, 1, s[4:5]
	s_nop 0
	v_cndmask_b32_e32 v29, v29, v31, vcc
	v_cndmask_b32_e32 v28, v28, v30, vcc
	v_and_b32_e32 v31, 1, v45
	v_cndmask_b32_e32 v32, v46, v33, vcc
	v_cmp_lt_i64_e32 vcc, v[26:27], v[28:29]
	v_cmp_eq_u32_e64 s[4:5], 1, v31
	v_and_b32_e32 v30, 1, v32
	s_and_b64 vcc, s[4:5], vcc
	v_cndmask_b32_e32 v28, v28, v26, vcc
	v_cndmask_b32_e32 v29, v29, v27, vcc
	v_cmp_eq_u32_e32 vcc, 1, v30
	v_cndmask_b32_e64 v31, v32, 1, s[4:5]
	s_nop 0
	v_cndmask_b32_e32 v27, v27, v29, vcc
	v_cndmask_b32_e32 v26, v26, v28, vcc
	v_and_b32_e32 v29, 1, v44
	v_cndmask_b32_e32 v30, v45, v31, vcc
	;; [unrolled: 13-line block ×12, first 2 shown]
	v_cmp_lt_i64_e32 vcc, v[4:5], v[6:7]
	v_cmp_eq_u32_e64 s[4:5], 1, v9
	v_and_b32_e32 v8, 1, v10
	s_and_b64 vcc, s[4:5], vcc
	v_cndmask_b32_e32 v6, v6, v4, vcc
	v_cndmask_b32_e32 v7, v7, v5, vcc
	v_cmp_eq_u32_e32 vcc, 1, v8
	v_cndmask_b32_e64 v9, v10, 1, s[4:5]
	s_nop 0
	v_cndmask_b32_e32 v5, v5, v7, vcc
	v_cndmask_b32_e32 v4, v4, v6, vcc
	s_waitcnt vmcnt(1)
	v_and_b32_e32 v7, 1, v1
	v_cndmask_b32_e32 v8, v34, v9, vcc
	s_waitcnt vmcnt(0)
	v_cmp_lt_i64_e32 vcc, v[2:3], v[4:5]
	v_cmp_eq_u32_e64 s[4:5], 1, v7
	v_and_b32_e32 v6, 1, v8
	s_and_b64 vcc, s[4:5], vcc
	v_cndmask_b32_e64 v7, v8, 1, s[4:5]
	v_cndmask_b32_e32 v4, v4, v2, vcc
	v_cndmask_b32_e32 v5, v5, v3, vcc
	v_cmp_eq_u32_e32 vcc, 1, v6
	s_nop 1
	v_cndmask_b32_e32 v7, v1, v7, vcc
	v_and_b32_e32 v1, 0xff, v7
	v_cndmask_b32_e32 v3, v3, v5, vcc
	v_cndmask_b32_e32 v2, v2, v4, vcc
	v_mov_b32_dpp v6, v1 quad_perm:[1,0,3,2] row_mask:0xf bank_mask:0xf bound_ctrl:1
	v_and_b32_e32 v8, 1, v6
	v_and_b32_e32 v7, 1, v7
	v_mov_b32_dpp v4, v2 quad_perm:[1,0,3,2] row_mask:0xf bank_mask:0xf bound_ctrl:1
	v_mov_b32_dpp v5, v3 quad_perm:[1,0,3,2] row_mask:0xf bank_mask:0xf bound_ctrl:1
	v_cmp_eq_u32_e32 vcc, 1, v8
	v_cmp_eq_u32_e64 s[4:5], 1, v7
	s_and_saveexec_b64 s[8:9], vcc
	s_xor_b64 s[8:9], exec, s[8:9]
; %bb.4:
	v_cmp_lt_i64_e32 vcc, v[2:3], v[4:5]
	v_cndmask_b32_e64 v6, v6, 1, s[4:5]
	s_and_b64 vcc, s[4:5], vcc
	v_cndmask_b32_e32 v2, v4, v2, vcc
	v_and_b32_e32 v4, 1, v6
	v_cndmask_b32_e32 v3, v5, v3, vcc
	v_cmp_eq_u32_e32 vcc, 1, v4
	s_andn2_b64 s[4:5], s[4:5], exec
	s_and_b64 s[10:11], vcc, exec
	v_and_b32_e32 v1, 0xff, v6
	s_or_b64 s[4:5], s[4:5], s[10:11]
; %bb.5:
	s_or_b64 exec, exec, s[8:9]
	v_mov_b32_dpp v6, v1 quad_perm:[2,3,0,1] row_mask:0xf bank_mask:0xf bound_ctrl:1
	v_and_b32_e32 v7, 1, v6
	v_mov_b32_dpp v4, v2 quad_perm:[2,3,0,1] row_mask:0xf bank_mask:0xf bound_ctrl:1
	v_mov_b32_dpp v5, v3 quad_perm:[2,3,0,1] row_mask:0xf bank_mask:0xf bound_ctrl:1
	v_cmp_eq_u32_e32 vcc, 1, v7
	s_and_saveexec_b64 s[8:9], vcc
; %bb.6:
	v_cmp_lt_i64_e32 vcc, v[2:3], v[4:5]
	v_cndmask_b32_e64 v6, v6, 1, s[4:5]
	s_and_b64 vcc, s[4:5], vcc
	v_cndmask_b32_e32 v2, v4, v2, vcc
	v_and_b32_e32 v4, 1, v6
	v_cndmask_b32_e32 v3, v5, v3, vcc
	v_cmp_eq_u32_e32 vcc, 1, v4
	s_andn2_b64 s[4:5], s[4:5], exec
	s_and_b64 s[10:11], vcc, exec
	v_and_b32_e32 v1, 0xff, v6
	s_or_b64 s[4:5], s[4:5], s[10:11]
; %bb.7:
	s_or_b64 exec, exec, s[8:9]
	v_mov_b32_dpp v6, v1 row_ror:4 row_mask:0xf bank_mask:0xf bound_ctrl:1
	v_and_b32_e32 v7, 1, v6
	v_mov_b32_dpp v4, v2 row_ror:4 row_mask:0xf bank_mask:0xf bound_ctrl:1
	v_mov_b32_dpp v5, v3 row_ror:4 row_mask:0xf bank_mask:0xf bound_ctrl:1
	v_cmp_eq_u32_e32 vcc, 1, v7
	s_and_saveexec_b64 s[8:9], vcc
; %bb.8:
	v_cmp_lt_i64_e32 vcc, v[2:3], v[4:5]
	v_cndmask_b32_e64 v6, v6, 1, s[4:5]
	s_and_b64 vcc, s[4:5], vcc
	v_cndmask_b32_e32 v2, v4, v2, vcc
	v_and_b32_e32 v4, 1, v6
	v_cndmask_b32_e32 v3, v5, v3, vcc
	v_cmp_eq_u32_e32 vcc, 1, v4
	s_andn2_b64 s[4:5], s[4:5], exec
	s_and_b64 s[10:11], vcc, exec
	v_and_b32_e32 v1, 0xff, v6
	s_or_b64 s[4:5], s[4:5], s[10:11]
; %bb.9:
	s_or_b64 exec, exec, s[8:9]
	v_mov_b32_dpp v6, v1 row_ror:8 row_mask:0xf bank_mask:0xf bound_ctrl:1
	v_and_b32_e32 v7, 1, v6
	v_mov_b32_dpp v4, v2 row_ror:8 row_mask:0xf bank_mask:0xf bound_ctrl:1
	v_mov_b32_dpp v5, v3 row_ror:8 row_mask:0xf bank_mask:0xf bound_ctrl:1
	v_cmp_eq_u32_e32 vcc, 1, v7
	s_and_saveexec_b64 s[8:9], vcc
; %bb.10:
	v_cmp_lt_i64_e32 vcc, v[2:3], v[4:5]
	v_cndmask_b32_e64 v6, v6, 1, s[4:5]
	s_and_b64 vcc, s[4:5], vcc
	v_cndmask_b32_e32 v2, v4, v2, vcc
	v_and_b32_e32 v4, 1, v6
	v_cndmask_b32_e32 v3, v5, v3, vcc
	v_cmp_eq_u32_e32 vcc, 1, v4
	s_andn2_b64 s[4:5], s[4:5], exec
	s_and_b64 s[10:11], vcc, exec
	v_and_b32_e32 v1, 0xff, v6
	s_or_b64 s[4:5], s[4:5], s[10:11]
; %bb.11:
	s_or_b64 exec, exec, s[8:9]
	v_mov_b32_dpp v6, v1 row_bcast:15 row_mask:0xf bank_mask:0xf bound_ctrl:1
	v_and_b32_e32 v7, 1, v6
	v_mov_b32_dpp v4, v2 row_bcast:15 row_mask:0xf bank_mask:0xf bound_ctrl:1
	v_mov_b32_dpp v5, v3 row_bcast:15 row_mask:0xf bank_mask:0xf bound_ctrl:1
	v_cmp_eq_u32_e32 vcc, 1, v7
	s_and_saveexec_b64 s[8:9], vcc
; %bb.12:
	v_cmp_lt_i64_e32 vcc, v[2:3], v[4:5]
	v_cndmask_b32_e64 v6, v6, 1, s[4:5]
	s_and_b64 vcc, s[4:5], vcc
	v_cndmask_b32_e32 v2, v4, v2, vcc
	v_and_b32_e32 v4, 1, v6
	v_cndmask_b32_e32 v3, v5, v3, vcc
	v_cmp_eq_u32_e32 vcc, 1, v4
	s_andn2_b64 s[4:5], s[4:5], exec
	s_and_b64 s[10:11], vcc, exec
	v_and_b32_e32 v1, 0xff, v6
	s_or_b64 s[4:5], s[4:5], s[10:11]
; %bb.13:
	s_or_b64 exec, exec, s[8:9]
	v_mov_b32_dpp v6, v1 row_bcast:31 row_mask:0xf bank_mask:0xf bound_ctrl:1
	v_and_b32_e32 v7, 1, v6
	v_mov_b32_dpp v4, v2 row_bcast:31 row_mask:0xf bank_mask:0xf bound_ctrl:1
	v_mov_b32_dpp v5, v3 row_bcast:31 row_mask:0xf bank_mask:0xf bound_ctrl:1
	v_cmp_eq_u32_e32 vcc, 1, v7
	s_and_saveexec_b64 s[8:9], vcc
; %bb.14:
	v_cmp_lt_i64_e32 vcc, v[2:3], v[4:5]
	v_and_b32_e32 v1, 0xff, v6
	s_and_b64 vcc, s[4:5], vcc
	v_cndmask_b32_e32 v2, v4, v2, vcc
	v_cndmask_b32_e32 v3, v5, v3, vcc
	v_cndmask_b32_e64 v1, v1, 1, s[4:5]
; %bb.15:
	s_or_b64 exec, exec, s[8:9]
	v_mbcnt_lo_u32_b32 v4, -1, 0
	v_mbcnt_hi_u32_b32 v4, -1, v4
	v_bfrev_b32_e32 v5, 0.5
	v_lshl_or_b32 v5, v4, 2, v5
	ds_bpermute_b32 v7, v5, v1
	ds_bpermute_b32 v2, v5, v2
	;; [unrolled: 1-line block ×3, first 2 shown]
	v_cmp_eq_u32_e32 vcc, 0, v4
	s_and_saveexec_b64 s[4:5], vcc
	s_cbranch_execz .LBB49_17
; %bb.16:
	v_lshrrev_b32_e32 v1, 2, v0
	v_and_b32_e32 v1, 48, v1
	s_waitcnt lgkmcnt(2)
	ds_write_b8 v1, v7
	s_waitcnt lgkmcnt(1)
	ds_write_b64 v1, v[2:3] offset:8
.LBB49_17:
	s_or_b64 exec, exec, s[4:5]
	v_cmp_gt_u32_e32 vcc, 64, v0
	s_waitcnt lgkmcnt(0)
	s_barrier
	s_and_saveexec_b64 s[8:9], vcc
	s_cbranch_execz .LBB49_19
; %bb.18:
	v_and_b32_e32 v1, 3, v4
	v_lshlrev_b32_e32 v2, 4, v1
	ds_read_u8 v5, v2
	ds_read_b64 v[2:3], v2 offset:8
	v_cmp_ne_u32_e32 vcc, 3, v1
	s_waitcnt lgkmcnt(1)
	v_and_b32_e32 v7, 0xff, v5
	v_addc_co_u32_e32 v6, vcc, 0, v4, vcc
	v_lshlrev_b32_e32 v8, 2, v6
	ds_bpermute_b32 v9, v8, v7
	s_waitcnt lgkmcnt(1)
	ds_bpermute_b32 v6, v8, v2
	ds_bpermute_b32 v7, v8, v3
	v_and_b32_e32 v8, 1, v5
	s_waitcnt lgkmcnt(2)
	v_and_b32_e32 v10, 1, v9
	v_cmp_eq_u32_e64 s[4:5], 1, v10
	s_waitcnt lgkmcnt(0)
	v_cmp_lt_i64_e32 vcc, v[6:7], v[2:3]
	s_and_b64 vcc, s[4:5], vcc
	v_cndmask_b32_e64 v5, v5, 1, s[4:5]
	v_cndmask_b32_e32 v2, v2, v6, vcc
	v_cndmask_b32_e32 v3, v3, v7, vcc
	v_cmp_eq_u32_e32 vcc, 1, v8
	s_nop 1
	v_cndmask_b32_e32 v8, v9, v5, vcc
	v_cndmask_b32_e32 v3, v7, v3, vcc
	;; [unrolled: 1-line block ×3, first 2 shown]
	v_cmp_gt_u32_e32 vcc, 2, v1
	v_and_b32_e32 v5, 0xff, v8
	s_nop 0
	v_cndmask_b32_e64 v1, 0, 1, vcc
	v_lshlrev_b32_e32 v1, 1, v1
	v_add_lshl_u32 v1, v1, v4, 2
	ds_bpermute_b32 v6, v1, v5
	ds_bpermute_b32 v4, v1, v2
	;; [unrolled: 1-line block ×3, first 2 shown]
	v_and_b32_e32 v1, 1, v8
	s_waitcnt lgkmcnt(2)
	v_and_b32_e32 v7, 1, v6
	v_cmp_eq_u32_e64 s[4:5], 1, v7
	s_waitcnt lgkmcnt(0)
	v_cmp_lt_i64_e32 vcc, v[4:5], v[2:3]
	s_and_b64 vcc, s[4:5], vcc
	v_cndmask_b32_e64 v7, v8, 1, s[4:5]
	v_cndmask_b32_e32 v2, v2, v4, vcc
	v_cndmask_b32_e32 v3, v3, v5, vcc
	v_cmp_eq_u32_e32 vcc, 1, v1
	s_nop 1
	v_cndmask_b32_e32 v1, v6, v7, vcc
	v_cndmask_b32_e32 v3, v5, v3, vcc
	;; [unrolled: 1-line block ×3, first 2 shown]
	v_and_b32_e32 v7, 0xff, v1
.LBB49_19:
	s_or_b64 exec, exec, s[8:9]
	s_load_dword s33, s[0:1], 0x30
	s_load_dwordx2 s[34:35], s[0:1], 0x38
	s_branch .LBB49_89
.LBB49_20:
                                        ; implicit-def: $vgpr2_vgpr3
                                        ; implicit-def: $vgpr7
	s_load_dword s33, s[0:1], 0x30
	s_load_dwordx2 s[34:35], s[0:1], 0x38
	s_cbranch_execz .LBB49_89
; %bb.21:
	s_sub_i32 s38, s40, s6
	v_mov_b64_e32 v[30:31], 0
	v_cmp_gt_u32_e32 vcc, s38, v0
	v_mov_b32_e32 v47, 0
	v_mov_b64_e32 v[2:3], v[30:31]
	v_mov_b32_e32 v1, 0
	s_and_saveexec_b64 s[0:1], vcc
	s_cbranch_execz .LBB49_23
; %bb.22:
	v_lshlrev_b32_e32 v4, 4, v0
	global_load_ubyte v1, v4, s[30:31]
	global_load_dwordx2 v[2:3], v4, s[30:31] offset:8
.LBB49_23:
	s_or_b64 exec, exec, s[0:1]
	v_or_b32_e32 v4, 0x100, v0
	v_cmp_gt_u32_e64 s[28:29], s38, v4
	s_and_saveexec_b64 s[0:1], s[28:29]
	s_cbranch_execz .LBB49_25
; %bb.24:
	v_lshlrev_b32_e32 v4, 4, v4
	global_load_ubyte v47, v4, s[30:31]
	global_load_dwordx2 v[30:31], v4, s[30:31] offset:8
.LBB49_25:
	s_or_b64 exec, exec, s[0:1]
	v_or_b32_e32 v4, 0x200, v0
	v_mov_b64_e32 v[26:27], 0
	v_cmp_gt_u32_e64 s[26:27], s38, v4
	v_mov_b32_e32 v45, 0
	v_mov_b64_e32 v[32:33], v[26:27]
	v_mov_b32_e32 v48, 0
	s_and_saveexec_b64 s[0:1], s[26:27]
	s_cbranch_execz .LBB49_27
; %bb.26:
	v_lshlrev_b32_e32 v4, 4, v4
	global_load_ubyte v48, v4, s[30:31]
	global_load_dwordx2 v[32:33], v4, s[30:31] offset:8
.LBB49_27:
	s_or_b64 exec, exec, s[0:1]
	v_or_b32_e32 v4, 0x300, v0
	v_cmp_gt_u32_e64 s[24:25], s38, v4
	s_and_saveexec_b64 s[0:1], s[24:25]
	s_cbranch_execz .LBB49_29
; %bb.28:
	v_lshlrev_b32_e32 v4, 4, v4
	global_load_ubyte v45, v4, s[30:31]
	global_load_dwordx2 v[26:27], v4, s[30:31] offset:8
.LBB49_29:
	s_or_b64 exec, exec, s[0:1]
	v_or_b32_e32 v4, 0x400, v0
	v_mov_b64_e32 v[22:23], 0
	v_cmp_gt_u32_e64 s[22:23], s38, v4
	v_mov_b32_e32 v43, 0
	v_mov_b64_e32 v[28:29], v[22:23]
	v_mov_b32_e32 v46, 0
	s_and_saveexec_b64 s[0:1], s[22:23]
	;; [unrolled: 24-line block ×5, first 2 shown]
	s_cbranch_execz .LBB49_43
; %bb.42:
	v_lshlrev_b32_e32 v4, 4, v4
	global_load_ubyte v40, v4, s[30:31]
	global_load_dwordx2 v[16:17], v4, s[30:31] offset:8
.LBB49_43:
	s_or_b64 exec, exec, s[0:1]
	v_or_b32_e32 v4, 0xb00, v0
	v_cmp_gt_u32_e64 s[8:9], s38, v4
	s_and_saveexec_b64 s[0:1], s[8:9]
	s_cbranch_execz .LBB49_45
; %bb.44:
	v_lshlrev_b32_e32 v4, 4, v4
	global_load_ubyte v37, v4, s[30:31]
	global_load_dwordx2 v[10:11], v4, s[30:31] offset:8
.LBB49_45:
	s_or_b64 exec, exec, s[0:1]
	v_or_b32_e32 v4, 0xc00, v0
	v_mov_b64_e32 v[6:7], 0
	v_cmp_gt_u32_e64 s[6:7], s38, v4
	v_mov_b32_e32 v35, 0
	v_mov_b32_e32 v38, 0
	v_mov_b64_e32 v[12:13], v[6:7]
	s_and_saveexec_b64 s[0:1], s[6:7]
	s_cbranch_execz .LBB49_47
; %bb.46:
	v_lshlrev_b32_e32 v4, 4, v4
	global_load_ubyte v38, v4, s[30:31]
	global_load_dwordx2 v[12:13], v4, s[30:31] offset:8
.LBB49_47:
	s_or_b64 exec, exec, s[0:1]
	v_or_b32_e32 v4, 0xd00, v0
	v_cmp_gt_u32_e64 s[4:5], s38, v4
	s_and_saveexec_b64 s[0:1], s[4:5]
	s_cbranch_execz .LBB49_49
; %bb.48:
	v_lshlrev_b32_e32 v4, 4, v4
	global_load_ubyte v35, v4, s[30:31]
	global_load_dwordx2 v[6:7], v4, s[30:31] offset:8
.LBB49_49:
	s_or_b64 exec, exec, s[0:1]
	v_or_b32_e32 v49, 0xe00, v0
	v_mov_b64_e32 v[4:5], 0
	v_cmp_gt_u32_e64 s[0:1], s38, v49
	v_mov_b32_e32 v34, 0
	v_mov_b32_e32 v36, 0
	v_mov_b64_e32 v[8:9], v[4:5]
	s_and_saveexec_b64 s[36:37], s[0:1]
	s_cbranch_execz .LBB49_51
; %bb.50:
	v_lshlrev_b32_e32 v49, 4, v49
	global_load_ubyte v36, v49, s[30:31]
	global_load_dwordx2 v[8:9], v49, s[30:31] offset:8
.LBB49_51:
	s_or_b64 exec, exec, s[36:37]
	v_or_b32_e32 v49, 0xf00, v0
	v_cmp_gt_u32_e32 vcc, s38, v49
	s_and_saveexec_b64 s[36:37], vcc
	s_cbranch_execnz .LBB49_92
; %bb.52:
	s_or_b64 exec, exec, s[36:37]
	s_and_saveexec_b64 s[36:37], s[28:29]
	s_cbranch_execnz .LBB49_93
.LBB49_53:
	s_or_b64 exec, exec, s[36:37]
	s_and_saveexec_b64 s[30:31], s[26:27]
	s_cbranch_execnz .LBB49_94
.LBB49_54:
	s_or_b64 exec, exec, s[30:31]
	s_and_saveexec_b64 s[28:29], s[24:25]
	s_cbranch_execnz .LBB49_95
.LBB49_55:
	s_or_b64 exec, exec, s[28:29]
	s_and_saveexec_b64 s[26:27], s[22:23]
	s_cbranch_execnz .LBB49_96
.LBB49_56:
	s_or_b64 exec, exec, s[26:27]
	s_and_saveexec_b64 s[24:25], s[20:21]
	s_cbranch_execnz .LBB49_97
.LBB49_57:
	s_or_b64 exec, exec, s[24:25]
	s_and_saveexec_b64 s[22:23], s[18:19]
	s_cbranch_execnz .LBB49_98
.LBB49_58:
	s_or_b64 exec, exec, s[22:23]
	s_and_saveexec_b64 s[20:21], s[16:17]
	s_cbranch_execnz .LBB49_99
.LBB49_59:
	s_or_b64 exec, exec, s[20:21]
	s_and_saveexec_b64 s[18:19], s[14:15]
	s_cbranch_execnz .LBB49_100
.LBB49_60:
	s_or_b64 exec, exec, s[18:19]
	s_and_saveexec_b64 s[16:17], s[12:13]
	s_cbranch_execnz .LBB49_101
.LBB49_61:
	s_or_b64 exec, exec, s[16:17]
	s_and_saveexec_b64 s[14:15], s[10:11]
	s_cbranch_execnz .LBB49_102
.LBB49_62:
	s_or_b64 exec, exec, s[14:15]
	s_and_saveexec_b64 s[12:13], s[8:9]
	s_cbranch_execnz .LBB49_103
.LBB49_63:
	s_or_b64 exec, exec, s[12:13]
	s_and_saveexec_b64 s[10:11], s[6:7]
	s_cbranch_execnz .LBB49_104
.LBB49_64:
	s_or_b64 exec, exec, s[10:11]
	s_and_saveexec_b64 s[8:9], s[4:5]
	s_cbranch_execnz .LBB49_105
.LBB49_65:
	s_or_b64 exec, exec, s[8:9]
	s_and_saveexec_b64 s[6:7], s[0:1]
	s_cbranch_execnz .LBB49_106
.LBB49_66:
	s_or_b64 exec, exec, s[6:7]
	s_and_saveexec_b64 s[4:5], vcc
	s_cbranch_execz .LBB49_68
.LBB49_67:
	s_waitcnt vmcnt(0)
	v_and_b32_e32 v7, 1, v34
	v_cmp_lt_i64_e32 vcc, v[4:5], v[2:3]
	v_cmp_eq_u32_e64 s[0:1], 1, v7
	v_and_b32_e32 v6, 1, v1
	s_and_b64 vcc, s[0:1], vcc
	v_cndmask_b32_e64 v1, v1, 1, s[0:1]
	v_cndmask_b32_e32 v2, v2, v4, vcc
	v_cndmask_b32_e32 v3, v3, v5, vcc
	v_cmp_eq_u32_e32 vcc, 1, v6
	s_nop 1
	v_cndmask_b32_e32 v1, v34, v1, vcc
	v_cndmask_b32_e32 v3, v5, v3, vcc
	v_cndmask_b32_e32 v2, v4, v2, vcc
.LBB49_68:
	s_or_b64 exec, exec, s[4:5]
	s_waitcnt vmcnt(0)
	v_mbcnt_lo_u32_b32 v4, -1, 0
	v_mbcnt_hi_u32_b32 v6, -1, v4
	v_and_b32_e32 v8, 63, v6
	v_cmp_ne_u32_e32 vcc, 63, v8
	v_and_b32_e32 v7, 0xff, v1
	s_min_u32 s6, s38, 0x100
	v_addc_co_u32_e32 v4, vcc, 0, v6, vcc
	v_lshlrev_b32_e32 v5, 2, v4
	ds_bpermute_b32 v11, v5, v7
	ds_bpermute_b32 v4, v5, v2
	ds_bpermute_b32 v5, v5, v3
	v_and_b32_e32 v9, 0xc0, v0
	v_sub_u32_e64 v10, s6, v9 clamp
	v_add_u32_e32 v9, 1, v8
	v_cmp_lt_u32_e32 vcc, v9, v10
	v_mov_b32_e32 v9, v7
	s_and_saveexec_b64 s[0:1], vcc
	s_xor_b64 s[4:5], exec, s[0:1]
	s_cbranch_execz .LBB49_70
; %bb.69:
	s_waitcnt lgkmcnt(0)
	v_and_b32_e32 v9, 1, v11
	v_cmp_lt_i64_e32 vcc, v[4:5], v[2:3]
	v_cmp_eq_u32_e64 s[0:1], 1, v9
	v_and_b32_e32 v1, 1, v1
	s_and_b64 vcc, s[0:1], vcc
	v_cndmask_b32_e64 v7, v7, 1, s[0:1]
	v_cndmask_b32_e32 v2, v2, v4, vcc
	v_cndmask_b32_e32 v3, v3, v5, vcc
	v_cmp_eq_u32_e32 vcc, 1, v1
	s_nop 1
	v_cndmask_b32_e32 v9, v11, v7, vcc
	v_cndmask_b32_e32 v3, v5, v3, vcc
	;; [unrolled: 1-line block ×3, first 2 shown]
	v_and_b32_e32 v7, 0xff, v9
.LBB49_70:
	s_or_b64 exec, exec, s[4:5]
	v_cmp_gt_u32_e32 vcc, 62, v8
	s_waitcnt lgkmcnt(0)
	v_add_u32_e32 v11, 2, v8
	v_cndmask_b32_e64 v1, 0, 1, vcc
	v_lshlrev_b32_e32 v1, 1, v1
	v_add_lshl_u32 v5, v1, v6, 2
	ds_bpermute_b32 v1, v5, v7
	ds_bpermute_b32 v4, v5, v2
	ds_bpermute_b32 v5, v5, v3
	v_cmp_lt_u32_e32 vcc, v11, v10
	s_and_saveexec_b64 s[4:5], vcc
	s_cbranch_execz .LBB49_72
; %bb.71:
	s_waitcnt lgkmcnt(2)
	v_and_b32_e32 v11, 1, v1
	s_waitcnt lgkmcnt(0)
	v_cmp_lt_i64_e32 vcc, v[4:5], v[2:3]
	v_cmp_eq_u32_e64 s[0:1], 1, v11
	v_and_b32_e32 v7, 1, v9
	s_and_b64 vcc, s[0:1], vcc
	v_cndmask_b32_e64 v9, v9, 1, s[0:1]
	v_cndmask_b32_e32 v2, v2, v4, vcc
	v_cndmask_b32_e32 v3, v3, v5, vcc
	v_cmp_eq_u32_e32 vcc, 1, v7
	s_nop 1
	v_cndmask_b32_e32 v9, v1, v9, vcc
	v_cndmask_b32_e32 v3, v5, v3, vcc
	v_cndmask_b32_e32 v2, v4, v2, vcc
	v_and_b32_e32 v7, 0xff, v9
.LBB49_72:
	s_or_b64 exec, exec, s[4:5]
	v_cmp_gt_u32_e32 vcc, 60, v8
	v_add_u32_e32 v11, 4, v8
	s_waitcnt lgkmcnt(2)
	v_cndmask_b32_e64 v1, 0, 1, vcc
	v_lshlrev_b32_e32 v1, 2, v1
	s_waitcnt lgkmcnt(0)
	v_add_lshl_u32 v5, v1, v6, 2
	ds_bpermute_b32 v1, v5, v7
	ds_bpermute_b32 v4, v5, v2
	ds_bpermute_b32 v5, v5, v3
	v_cmp_lt_u32_e32 vcc, v11, v10
	s_and_saveexec_b64 s[4:5], vcc
	s_cbranch_execz .LBB49_74
; %bb.73:
	s_waitcnt lgkmcnt(2)
	v_and_b32_e32 v11, 1, v1
	s_waitcnt lgkmcnt(0)
	v_cmp_lt_i64_e32 vcc, v[4:5], v[2:3]
	v_cmp_eq_u32_e64 s[0:1], 1, v11
	v_and_b32_e32 v7, 1, v9
	s_and_b64 vcc, s[0:1], vcc
	v_cndmask_b32_e64 v9, v9, 1, s[0:1]
	v_cndmask_b32_e32 v2, v2, v4, vcc
	v_cndmask_b32_e32 v3, v3, v5, vcc
	v_cmp_eq_u32_e32 vcc, 1, v7
	s_nop 1
	v_cndmask_b32_e32 v9, v1, v9, vcc
	v_cndmask_b32_e32 v3, v5, v3, vcc
	v_cndmask_b32_e32 v2, v4, v2, vcc
	v_and_b32_e32 v7, 0xff, v9
.LBB49_74:
	s_or_b64 exec, exec, s[4:5]
	v_cmp_gt_u32_e32 vcc, 56, v8
	v_add_u32_e32 v11, 8, v8
	s_waitcnt lgkmcnt(2)
	v_cndmask_b32_e64 v1, 0, 1, vcc
	v_lshlrev_b32_e32 v1, 3, v1
	s_waitcnt lgkmcnt(0)
	;; [unrolled: 32-line block ×4, first 2 shown]
	v_add_lshl_u32 v5, v1, v6, 2
	ds_bpermute_b32 v1, v5, v7
	ds_bpermute_b32 v4, v5, v2
	ds_bpermute_b32 v5, v5, v3
	v_cmp_lt_u32_e32 vcc, v8, v10
	s_and_saveexec_b64 s[4:5], vcc
	s_cbranch_execz .LBB49_80
; %bb.79:
	s_waitcnt lgkmcnt(2)
	v_and_b32_e32 v8, 1, v1
	s_waitcnt lgkmcnt(0)
	v_cmp_lt_i64_e32 vcc, v[4:5], v[2:3]
	v_cmp_eq_u32_e64 s[0:1], 1, v8
	v_and_b32_e32 v7, 1, v9
	s_and_b64 vcc, s[0:1], vcc
	v_cndmask_b32_e64 v8, v9, 1, s[0:1]
	v_cndmask_b32_e32 v2, v2, v4, vcc
	v_cndmask_b32_e32 v3, v3, v5, vcc
	v_cmp_eq_u32_e32 vcc, 1, v7
	s_nop 1
	v_cndmask_b32_e32 v9, v1, v8, vcc
	v_cndmask_b32_e32 v3, v5, v3, vcc
	;; [unrolled: 1-line block ×3, first 2 shown]
	v_and_b32_e32 v7, 0xff, v9
.LBB49_80:
	s_or_b64 exec, exec, s[4:5]
	v_cmp_eq_u32_e32 vcc, 0, v6
	s_and_saveexec_b64 s[0:1], vcc
	s_cbranch_execz .LBB49_82
; %bb.81:
	s_waitcnt lgkmcnt(2)
	v_lshrrev_b32_e32 v1, 2, v0
	v_and_b32_e32 v1, 48, v1
	ds_write_b8 v1, v9 offset:64
	ds_write_b64 v1, v[2:3] offset:72
.LBB49_82:
	s_or_b64 exec, exec, s[0:1]
	v_cmp_gt_u32_e32 vcc, 4, v0
	s_waitcnt lgkmcnt(0)
	s_barrier
	s_and_saveexec_b64 s[4:5], vcc
	s_cbranch_execz .LBB49_88
; %bb.83:
	v_lshlrev_b32_e32 v2, 4, v6
	ds_read_u8 v1, v2 offset:64
	ds_read_b64 v[2:3], v2 offset:72
	v_and_b32_e32 v8, 3, v6
	v_cmp_ne_u32_e32 vcc, 3, v8
	s_add_i32 s6, s6, 63
	s_waitcnt lgkmcnt(1)
	v_and_b32_e32 v7, 0xff, v1
	v_addc_co_u32_e32 v4, vcc, 0, v6, vcc
	v_lshlrev_b32_e32 v5, 2, v4
	ds_bpermute_b32 v9, v5, v7
	s_waitcnt lgkmcnt(1)
	ds_bpermute_b32 v4, v5, v2
	ds_bpermute_b32 v5, v5, v3
	s_lshr_b32 s8, s6, 6
	v_add_u32_e32 v10, 1, v8
	v_cmp_gt_u32_e32 vcc, s8, v10
	s_and_saveexec_b64 s[6:7], vcc
	s_cbranch_execz .LBB49_85
; %bb.84:
	s_waitcnt lgkmcnt(2)
	v_and_b32_e32 v10, 1, v9
	s_waitcnt lgkmcnt(0)
	v_cmp_lt_i64_e32 vcc, v[4:5], v[2:3]
	v_cmp_eq_u32_e64 s[0:1], 1, v10
	v_and_b32_e32 v7, 1, v1
	s_and_b64 vcc, s[0:1], vcc
	v_cndmask_b32_e64 v1, v1, 1, s[0:1]
	v_cndmask_b32_e32 v2, v2, v4, vcc
	v_cndmask_b32_e32 v3, v3, v5, vcc
	v_cmp_eq_u32_e32 vcc, 1, v7
	s_nop 1
	v_cndmask_b32_e32 v1, v9, v1, vcc
	v_cndmask_b32_e32 v3, v5, v3, vcc
	;; [unrolled: 1-line block ×3, first 2 shown]
	v_and_b32_e32 v7, 0xff, v1
.LBB49_85:
	s_or_b64 exec, exec, s[6:7]
	v_cmp_gt_u32_e32 vcc, 2, v8
	v_add_u32_e32 v8, 2, v8
	s_waitcnt lgkmcnt(1)
	v_cndmask_b32_e64 v4, 0, 1, vcc
	v_lshlrev_b32_e32 v4, 1, v4
	s_waitcnt lgkmcnt(0)
	v_add_lshl_u32 v5, v4, v6, 2
	ds_bpermute_b32 v6, v5, v7
	ds_bpermute_b32 v4, v5, v2
	;; [unrolled: 1-line block ×3, first 2 shown]
	v_cmp_gt_u32_e32 vcc, s8, v8
	s_and_saveexec_b64 s[6:7], vcc
	s_cbranch_execz .LBB49_87
; %bb.86:
	s_waitcnt lgkmcnt(2)
	v_and_b32_e32 v8, 1, v6
	s_waitcnt lgkmcnt(0)
	v_cmp_lt_i64_e32 vcc, v[4:5], v[2:3]
	v_cmp_eq_u32_e64 s[0:1], 1, v8
	v_and_b32_e32 v7, 1, v1
	s_and_b64 vcc, s[0:1], vcc
	v_cndmask_b32_e64 v1, v1, 1, s[0:1]
	v_cndmask_b32_e32 v2, v2, v4, vcc
	v_cndmask_b32_e32 v3, v3, v5, vcc
	v_cmp_eq_u32_e32 vcc, 1, v7
	s_nop 1
	v_cndmask_b32_e32 v1, v6, v1, vcc
	v_cndmask_b32_e32 v3, v5, v3, vcc
	;; [unrolled: 1-line block ×3, first 2 shown]
	v_and_b32_e32 v7, 0xff, v1
.LBB49_87:
	s_or_b64 exec, exec, s[6:7]
.LBB49_88:
	s_or_b64 exec, exec, s[4:5]
.LBB49_89:
	v_cmp_eq_u32_e32 vcc, 0, v0
	s_and_saveexec_b64 s[0:1], vcc
	s_cbranch_execnz .LBB49_91
; %bb.90:
	s_endpgm
.LBB49_91:
	s_mul_i32 s0, s46, s45
	s_mul_hi_u32 s1, s46, s44
	s_add_i32 s0, s1, s0
	s_mul_i32 s1, s47, s44
	s_add_i32 s1, s0, s1
	s_mul_i32 s0, s46, s44
	s_lshl_b64 s[0:1], s[0:1], 4
	s_add_u32 s4, s42, s0
	s_addc_u32 s5, s43, s1
	s_cmp_eq_u64 s[40:41], 0
	s_waitcnt lgkmcnt(0)
	v_mov_b32_e32 v0, s35
	s_cselect_b64 vcc, -1, 0
	v_cndmask_b32_e32 v1, v3, v0, vcc
	v_mov_b32_e32 v0, s34
	s_lshl_b64 s[0:1], s[2:3], 4
	v_cndmask_b32_e32 v0, v2, v0, vcc
	v_mov_b32_e32 v2, s33
	s_add_u32 s0, s4, s0
	v_cndmask_b32_e32 v2, v7, v2, vcc
	s_addc_u32 s1, s5, s1
	v_mov_b32_e32 v3, 0
	global_store_byte v3, v2, s[0:1]
	global_store_dwordx2 v3, v[0:1], s[0:1] offset:8
	s_endpgm
.LBB49_92:
	v_lshlrev_b32_e32 v49, 4, v49
	global_load_ubyte v34, v49, s[30:31]
	global_load_dwordx2 v[4:5], v49, s[30:31] offset:8
	s_or_b64 exec, exec, s[36:37]
	s_and_saveexec_b64 s[36:37], s[28:29]
	s_cbranch_execz .LBB49_53
.LBB49_93:
	s_waitcnt vmcnt(1)
	v_and_b32_e32 v50, 1, v47
	s_waitcnt vmcnt(0)
	v_cmp_lt_i64_e64 s[28:29], v[30:31], v[2:3]
	v_cmp_eq_u32_e64 s[30:31], 1, v50
	v_and_b32_e32 v49, 1, v1
	s_and_b64 s[28:29], s[30:31], s[28:29]
	v_cndmask_b32_e64 v1, v1, 1, s[30:31]
	v_cndmask_b32_e64 v2, v2, v30, s[28:29]
	;; [unrolled: 1-line block ×3, first 2 shown]
	v_cmp_eq_u32_e64 s[28:29], 1, v49
	s_nop 1
	v_cndmask_b32_e64 v1, v47, v1, s[28:29]
	v_cndmask_b32_e64 v3, v31, v3, s[28:29]
	;; [unrolled: 1-line block ×3, first 2 shown]
	s_or_b64 exec, exec, s[36:37]
	s_and_saveexec_b64 s[30:31], s[26:27]
	s_cbranch_execz .LBB49_54
.LBB49_94:
	s_waitcnt vmcnt(0)
	v_and_b32_e32 v31, 1, v48
	v_cmp_lt_i64_e64 s[26:27], v[32:33], v[2:3]
	v_cmp_eq_u32_e64 s[28:29], 1, v31
	v_and_b32_e32 v30, 1, v1
	s_and_b64 s[26:27], s[28:29], s[26:27]
	v_cndmask_b32_e64 v1, v1, 1, s[28:29]
	v_cndmask_b32_e64 v2, v2, v32, s[26:27]
	;; [unrolled: 1-line block ×3, first 2 shown]
	v_cmp_eq_u32_e64 s[26:27], 1, v30
	s_nop 1
	v_cndmask_b32_e64 v1, v48, v1, s[26:27]
	v_cndmask_b32_e64 v3, v33, v3, s[26:27]
	v_cndmask_b32_e64 v2, v32, v2, s[26:27]
	s_or_b64 exec, exec, s[30:31]
	s_and_saveexec_b64 s[28:29], s[24:25]
	s_cbranch_execz .LBB49_55
.LBB49_95:
	s_waitcnt vmcnt(0)
	v_and_b32_e32 v31, 1, v45
	v_cmp_lt_i64_e64 s[24:25], v[26:27], v[2:3]
	v_cmp_eq_u32_e64 s[26:27], 1, v31
	v_and_b32_e32 v30, 1, v1
	s_and_b64 s[24:25], s[26:27], s[24:25]
	v_cndmask_b32_e64 v1, v1, 1, s[26:27]
	v_cndmask_b32_e64 v2, v2, v26, s[24:25]
	;; [unrolled: 1-line block ×3, first 2 shown]
	v_cmp_eq_u32_e64 s[24:25], 1, v30
	s_nop 1
	v_cndmask_b32_e64 v1, v45, v1, s[24:25]
	v_cndmask_b32_e64 v3, v27, v3, s[24:25]
	;; [unrolled: 1-line block ×3, first 2 shown]
	s_or_b64 exec, exec, s[28:29]
	s_and_saveexec_b64 s[26:27], s[22:23]
	s_cbranch_execz .LBB49_56
.LBB49_96:
	s_waitcnt vmcnt(0)
	v_and_b32_e32 v27, 1, v46
	v_cmp_lt_i64_e64 s[22:23], v[28:29], v[2:3]
	v_cmp_eq_u32_e64 s[24:25], 1, v27
	v_and_b32_e32 v26, 1, v1
	s_and_b64 s[22:23], s[24:25], s[22:23]
	v_cndmask_b32_e64 v1, v1, 1, s[24:25]
	v_cndmask_b32_e64 v2, v2, v28, s[22:23]
	;; [unrolled: 1-line block ×3, first 2 shown]
	v_cmp_eq_u32_e64 s[22:23], 1, v26
	s_nop 1
	v_cndmask_b32_e64 v1, v46, v1, s[22:23]
	v_cndmask_b32_e64 v3, v29, v3, s[22:23]
	;; [unrolled: 1-line block ×3, first 2 shown]
	s_or_b64 exec, exec, s[26:27]
	s_and_saveexec_b64 s[24:25], s[20:21]
	s_cbranch_execz .LBB49_57
.LBB49_97:
	s_waitcnt vmcnt(0)
	v_and_b32_e32 v27, 1, v43
	v_cmp_lt_i64_e64 s[20:21], v[22:23], v[2:3]
	v_cmp_eq_u32_e64 s[22:23], 1, v27
	v_and_b32_e32 v26, 1, v1
	s_and_b64 s[20:21], s[22:23], s[20:21]
	v_cndmask_b32_e64 v1, v1, 1, s[22:23]
	v_cndmask_b32_e64 v2, v2, v22, s[20:21]
	;; [unrolled: 1-line block ×3, first 2 shown]
	v_cmp_eq_u32_e64 s[20:21], 1, v26
	s_nop 1
	v_cndmask_b32_e64 v1, v43, v1, s[20:21]
	v_cndmask_b32_e64 v3, v23, v3, s[20:21]
	;; [unrolled: 1-line block ×3, first 2 shown]
	s_or_b64 exec, exec, s[24:25]
	s_and_saveexec_b64 s[22:23], s[18:19]
	s_cbranch_execz .LBB49_58
.LBB49_98:
	s_waitcnt vmcnt(0)
	v_and_b32_e32 v23, 1, v44
	v_cmp_lt_i64_e64 s[18:19], v[24:25], v[2:3]
	v_cmp_eq_u32_e64 s[20:21], 1, v23
	v_and_b32_e32 v22, 1, v1
	s_and_b64 s[18:19], s[20:21], s[18:19]
	v_cndmask_b32_e64 v1, v1, 1, s[20:21]
	v_cndmask_b32_e64 v2, v2, v24, s[18:19]
	;; [unrolled: 1-line block ×3, first 2 shown]
	v_cmp_eq_u32_e64 s[18:19], 1, v22
	s_nop 1
	v_cndmask_b32_e64 v1, v44, v1, s[18:19]
	v_cndmask_b32_e64 v3, v25, v3, s[18:19]
	;; [unrolled: 1-line block ×3, first 2 shown]
	s_or_b64 exec, exec, s[22:23]
	s_and_saveexec_b64 s[20:21], s[16:17]
	s_cbranch_execz .LBB49_59
.LBB49_99:
	s_waitcnt vmcnt(0)
	v_and_b32_e32 v23, 1, v41
	v_cmp_lt_i64_e64 s[16:17], v[18:19], v[2:3]
	v_cmp_eq_u32_e64 s[18:19], 1, v23
	v_and_b32_e32 v22, 1, v1
	s_and_b64 s[16:17], s[18:19], s[16:17]
	v_cndmask_b32_e64 v1, v1, 1, s[18:19]
	v_cndmask_b32_e64 v2, v2, v18, s[16:17]
	;; [unrolled: 1-line block ×3, first 2 shown]
	v_cmp_eq_u32_e64 s[16:17], 1, v22
	s_nop 1
	v_cndmask_b32_e64 v1, v41, v1, s[16:17]
	v_cndmask_b32_e64 v3, v19, v3, s[16:17]
	;; [unrolled: 1-line block ×3, first 2 shown]
	s_or_b64 exec, exec, s[20:21]
	s_and_saveexec_b64 s[18:19], s[14:15]
	s_cbranch_execz .LBB49_60
.LBB49_100:
	s_waitcnt vmcnt(0)
	v_and_b32_e32 v19, 1, v42
	v_cmp_lt_i64_e64 s[14:15], v[20:21], v[2:3]
	v_cmp_eq_u32_e64 s[16:17], 1, v19
	v_and_b32_e32 v18, 1, v1
	s_and_b64 s[14:15], s[16:17], s[14:15]
	v_cndmask_b32_e64 v1, v1, 1, s[16:17]
	v_cndmask_b32_e64 v2, v2, v20, s[14:15]
	;; [unrolled: 1-line block ×3, first 2 shown]
	v_cmp_eq_u32_e64 s[14:15], 1, v18
	s_nop 1
	v_cndmask_b32_e64 v1, v42, v1, s[14:15]
	v_cndmask_b32_e64 v3, v21, v3, s[14:15]
	;; [unrolled: 1-line block ×3, first 2 shown]
	s_or_b64 exec, exec, s[18:19]
	s_and_saveexec_b64 s[16:17], s[12:13]
	s_cbranch_execz .LBB49_61
.LBB49_101:
	s_waitcnt vmcnt(0)
	v_and_b32_e32 v19, 1, v39
	v_cmp_lt_i64_e64 s[12:13], v[14:15], v[2:3]
	v_cmp_eq_u32_e64 s[14:15], 1, v19
	v_and_b32_e32 v18, 1, v1
	s_and_b64 s[12:13], s[14:15], s[12:13]
	v_cndmask_b32_e64 v1, v1, 1, s[14:15]
	v_cndmask_b32_e64 v2, v2, v14, s[12:13]
	v_cndmask_b32_e64 v3, v3, v15, s[12:13]
	v_cmp_eq_u32_e64 s[12:13], 1, v18
	s_nop 1
	v_cndmask_b32_e64 v1, v39, v1, s[12:13]
	v_cndmask_b32_e64 v3, v15, v3, s[12:13]
	;; [unrolled: 1-line block ×3, first 2 shown]
	s_or_b64 exec, exec, s[16:17]
	s_and_saveexec_b64 s[14:15], s[10:11]
	s_cbranch_execz .LBB49_62
.LBB49_102:
	s_waitcnt vmcnt(0)
	v_and_b32_e32 v15, 1, v40
	v_cmp_lt_i64_e64 s[10:11], v[16:17], v[2:3]
	v_cmp_eq_u32_e64 s[12:13], 1, v15
	v_and_b32_e32 v14, 1, v1
	s_and_b64 s[10:11], s[12:13], s[10:11]
	v_cndmask_b32_e64 v1, v1, 1, s[12:13]
	v_cndmask_b32_e64 v2, v2, v16, s[10:11]
	;; [unrolled: 1-line block ×3, first 2 shown]
	v_cmp_eq_u32_e64 s[10:11], 1, v14
	s_nop 1
	v_cndmask_b32_e64 v1, v40, v1, s[10:11]
	v_cndmask_b32_e64 v3, v17, v3, s[10:11]
	;; [unrolled: 1-line block ×3, first 2 shown]
	s_or_b64 exec, exec, s[14:15]
	s_and_saveexec_b64 s[12:13], s[8:9]
	s_cbranch_execz .LBB49_63
.LBB49_103:
	s_waitcnt vmcnt(0)
	v_and_b32_e32 v15, 1, v37
	v_cmp_lt_i64_e64 s[8:9], v[10:11], v[2:3]
	v_cmp_eq_u32_e64 s[10:11], 1, v15
	v_and_b32_e32 v14, 1, v1
	s_and_b64 s[8:9], s[10:11], s[8:9]
	v_cndmask_b32_e64 v1, v1, 1, s[10:11]
	v_cndmask_b32_e64 v2, v2, v10, s[8:9]
	;; [unrolled: 1-line block ×3, first 2 shown]
	v_cmp_eq_u32_e64 s[8:9], 1, v14
	s_nop 1
	v_cndmask_b32_e64 v1, v37, v1, s[8:9]
	v_cndmask_b32_e64 v3, v11, v3, s[8:9]
	;; [unrolled: 1-line block ×3, first 2 shown]
	s_or_b64 exec, exec, s[12:13]
	s_and_saveexec_b64 s[10:11], s[6:7]
	s_cbranch_execz .LBB49_64
.LBB49_104:
	s_waitcnt vmcnt(0)
	v_and_b32_e32 v11, 1, v38
	v_cmp_lt_i64_e64 s[6:7], v[12:13], v[2:3]
	v_cmp_eq_u32_e64 s[8:9], 1, v11
	v_and_b32_e32 v10, 1, v1
	s_and_b64 s[6:7], s[8:9], s[6:7]
	v_cndmask_b32_e64 v1, v1, 1, s[8:9]
	v_cndmask_b32_e64 v2, v2, v12, s[6:7]
	;; [unrolled: 1-line block ×3, first 2 shown]
	v_cmp_eq_u32_e64 s[6:7], 1, v10
	s_nop 1
	v_cndmask_b32_e64 v1, v38, v1, s[6:7]
	v_cndmask_b32_e64 v3, v13, v3, s[6:7]
	;; [unrolled: 1-line block ×3, first 2 shown]
	s_or_b64 exec, exec, s[10:11]
	s_and_saveexec_b64 s[8:9], s[4:5]
	s_cbranch_execz .LBB49_65
.LBB49_105:
	s_waitcnt vmcnt(0)
	v_and_b32_e32 v11, 1, v35
	v_cmp_lt_i64_e64 s[4:5], v[6:7], v[2:3]
	v_cmp_eq_u32_e64 s[6:7], 1, v11
	v_and_b32_e32 v10, 1, v1
	s_and_b64 s[4:5], s[6:7], s[4:5]
	v_cndmask_b32_e64 v1, v1, 1, s[6:7]
	v_cndmask_b32_e64 v2, v2, v6, s[4:5]
	;; [unrolled: 1-line block ×3, first 2 shown]
	v_cmp_eq_u32_e64 s[4:5], 1, v10
	s_nop 1
	v_cndmask_b32_e64 v1, v35, v1, s[4:5]
	v_cndmask_b32_e64 v3, v7, v3, s[4:5]
	v_cndmask_b32_e64 v2, v6, v2, s[4:5]
	s_or_b64 exec, exec, s[8:9]
	s_and_saveexec_b64 s[6:7], s[0:1]
	s_cbranch_execz .LBB49_66
.LBB49_106:
	s_waitcnt vmcnt(0)
	v_and_b32_e32 v7, 1, v36
	v_cmp_lt_i64_e64 s[0:1], v[8:9], v[2:3]
	v_cmp_eq_u32_e64 s[4:5], 1, v7
	v_and_b32_e32 v6, 1, v1
	s_and_b64 s[0:1], s[4:5], s[0:1]
	v_cndmask_b32_e64 v1, v1, 1, s[4:5]
	v_cndmask_b32_e64 v2, v2, v8, s[0:1]
	v_cndmask_b32_e64 v3, v3, v9, s[0:1]
	v_cmp_eq_u32_e64 s[0:1], 1, v6
	s_nop 1
	v_cndmask_b32_e64 v1, v36, v1, s[0:1]
	v_cndmask_b32_e64 v3, v9, v3, s[0:1]
	;; [unrolled: 1-line block ×3, first 2 shown]
	s_or_b64 exec, exec, s[6:7]
	s_and_saveexec_b64 s[4:5], vcc
	s_cbranch_execnz .LBB49_67
	s_branch .LBB49_68
	.section	.rodata,"a",@progbits
	.p2align	6, 0x0
	.amdhsa_kernel _ZN7rocprim17ROCPRIM_400000_NS6detail17trampoline_kernelINS0_14default_configENS1_22reduce_config_selectorIN6thrust23THRUST_200600_302600_NS5tupleIblNS6_9null_typeES8_S8_S8_S8_S8_S8_S8_EEEEZNS1_11reduce_implILb1ES3_PS9_SC_S9_NS6_11hip_rocprim9__find_if7functorIS9_EEEE10hipError_tPvRmT1_T2_T3_mT4_P12ihipStream_tbEUlT_E0_NS1_11comp_targetILNS1_3genE5ELNS1_11target_archE942ELNS1_3gpuE9ELNS1_3repE0EEENS1_30default_config_static_selectorELNS0_4arch9wavefront6targetE1EEEvSK_
		.amdhsa_group_segment_fixed_size 128
		.amdhsa_private_segment_fixed_size 0
		.amdhsa_kernarg_size 72
		.amdhsa_user_sgpr_count 2
		.amdhsa_user_sgpr_dispatch_ptr 0
		.amdhsa_user_sgpr_queue_ptr 0
		.amdhsa_user_sgpr_kernarg_segment_ptr 1
		.amdhsa_user_sgpr_dispatch_id 0
		.amdhsa_user_sgpr_kernarg_preload_length 0
		.amdhsa_user_sgpr_kernarg_preload_offset 0
		.amdhsa_user_sgpr_private_segment_size 0
		.amdhsa_uses_dynamic_stack 0
		.amdhsa_enable_private_segment 0
		.amdhsa_system_sgpr_workgroup_id_x 1
		.amdhsa_system_sgpr_workgroup_id_y 0
		.amdhsa_system_sgpr_workgroup_id_z 0
		.amdhsa_system_sgpr_workgroup_info 0
		.amdhsa_system_vgpr_workitem_id 0
		.amdhsa_next_free_vgpr 54
		.amdhsa_next_free_sgpr 48
		.amdhsa_accum_offset 56
		.amdhsa_reserve_vcc 1
		.amdhsa_float_round_mode_32 0
		.amdhsa_float_round_mode_16_64 0
		.amdhsa_float_denorm_mode_32 3
		.amdhsa_float_denorm_mode_16_64 3
		.amdhsa_dx10_clamp 1
		.amdhsa_ieee_mode 1
		.amdhsa_fp16_overflow 0
		.amdhsa_tg_split 0
		.amdhsa_exception_fp_ieee_invalid_op 0
		.amdhsa_exception_fp_denorm_src 0
		.amdhsa_exception_fp_ieee_div_zero 0
		.amdhsa_exception_fp_ieee_overflow 0
		.amdhsa_exception_fp_ieee_underflow 0
		.amdhsa_exception_fp_ieee_inexact 0
		.amdhsa_exception_int_div_zero 0
	.end_amdhsa_kernel
	.section	.text._ZN7rocprim17ROCPRIM_400000_NS6detail17trampoline_kernelINS0_14default_configENS1_22reduce_config_selectorIN6thrust23THRUST_200600_302600_NS5tupleIblNS6_9null_typeES8_S8_S8_S8_S8_S8_S8_EEEEZNS1_11reduce_implILb1ES3_PS9_SC_S9_NS6_11hip_rocprim9__find_if7functorIS9_EEEE10hipError_tPvRmT1_T2_T3_mT4_P12ihipStream_tbEUlT_E0_NS1_11comp_targetILNS1_3genE5ELNS1_11target_archE942ELNS1_3gpuE9ELNS1_3repE0EEENS1_30default_config_static_selectorELNS0_4arch9wavefront6targetE1EEEvSK_,"axG",@progbits,_ZN7rocprim17ROCPRIM_400000_NS6detail17trampoline_kernelINS0_14default_configENS1_22reduce_config_selectorIN6thrust23THRUST_200600_302600_NS5tupleIblNS6_9null_typeES8_S8_S8_S8_S8_S8_S8_EEEEZNS1_11reduce_implILb1ES3_PS9_SC_S9_NS6_11hip_rocprim9__find_if7functorIS9_EEEE10hipError_tPvRmT1_T2_T3_mT4_P12ihipStream_tbEUlT_E0_NS1_11comp_targetILNS1_3genE5ELNS1_11target_archE942ELNS1_3gpuE9ELNS1_3repE0EEENS1_30default_config_static_selectorELNS0_4arch9wavefront6targetE1EEEvSK_,comdat
.Lfunc_end49:
	.size	_ZN7rocprim17ROCPRIM_400000_NS6detail17trampoline_kernelINS0_14default_configENS1_22reduce_config_selectorIN6thrust23THRUST_200600_302600_NS5tupleIblNS6_9null_typeES8_S8_S8_S8_S8_S8_S8_EEEEZNS1_11reduce_implILb1ES3_PS9_SC_S9_NS6_11hip_rocprim9__find_if7functorIS9_EEEE10hipError_tPvRmT1_T2_T3_mT4_P12ihipStream_tbEUlT_E0_NS1_11comp_targetILNS1_3genE5ELNS1_11target_archE942ELNS1_3gpuE9ELNS1_3repE0EEENS1_30default_config_static_selectorELNS0_4arch9wavefront6targetE1EEEvSK_, .Lfunc_end49-_ZN7rocprim17ROCPRIM_400000_NS6detail17trampoline_kernelINS0_14default_configENS1_22reduce_config_selectorIN6thrust23THRUST_200600_302600_NS5tupleIblNS6_9null_typeES8_S8_S8_S8_S8_S8_S8_EEEEZNS1_11reduce_implILb1ES3_PS9_SC_S9_NS6_11hip_rocprim9__find_if7functorIS9_EEEE10hipError_tPvRmT1_T2_T3_mT4_P12ihipStream_tbEUlT_E0_NS1_11comp_targetILNS1_3genE5ELNS1_11target_archE942ELNS1_3gpuE9ELNS1_3repE0EEENS1_30default_config_static_selectorELNS0_4arch9wavefront6targetE1EEEvSK_
                                        ; -- End function
	.section	.AMDGPU.csdata,"",@progbits
; Kernel info:
; codeLenInByte = 6580
; NumSgprs: 54
; NumVgprs: 54
; NumAgprs: 0
; TotalNumVgprs: 54
; ScratchSize: 0
; MemoryBound: 0
; FloatMode: 240
; IeeeMode: 1
; LDSByteSize: 128 bytes/workgroup (compile time only)
; SGPRBlocks: 6
; VGPRBlocks: 6
; NumSGPRsForWavesPerEU: 54
; NumVGPRsForWavesPerEU: 54
; AccumOffset: 56
; Occupancy: 8
; WaveLimiterHint : 1
; COMPUTE_PGM_RSRC2:SCRATCH_EN: 0
; COMPUTE_PGM_RSRC2:USER_SGPR: 2
; COMPUTE_PGM_RSRC2:TRAP_HANDLER: 0
; COMPUTE_PGM_RSRC2:TGID_X_EN: 1
; COMPUTE_PGM_RSRC2:TGID_Y_EN: 0
; COMPUTE_PGM_RSRC2:TGID_Z_EN: 0
; COMPUTE_PGM_RSRC2:TIDIG_COMP_CNT: 0
; COMPUTE_PGM_RSRC3_GFX90A:ACCUM_OFFSET: 13
; COMPUTE_PGM_RSRC3_GFX90A:TG_SPLIT: 0
	.section	.text._ZN7rocprim17ROCPRIM_400000_NS6detail17trampoline_kernelINS0_14default_configENS1_22reduce_config_selectorIN6thrust23THRUST_200600_302600_NS5tupleIblNS6_9null_typeES8_S8_S8_S8_S8_S8_S8_EEEEZNS1_11reduce_implILb1ES3_PS9_SC_S9_NS6_11hip_rocprim9__find_if7functorIS9_EEEE10hipError_tPvRmT1_T2_T3_mT4_P12ihipStream_tbEUlT_E0_NS1_11comp_targetILNS1_3genE4ELNS1_11target_archE910ELNS1_3gpuE8ELNS1_3repE0EEENS1_30default_config_static_selectorELNS0_4arch9wavefront6targetE1EEEvSK_,"axG",@progbits,_ZN7rocprim17ROCPRIM_400000_NS6detail17trampoline_kernelINS0_14default_configENS1_22reduce_config_selectorIN6thrust23THRUST_200600_302600_NS5tupleIblNS6_9null_typeES8_S8_S8_S8_S8_S8_S8_EEEEZNS1_11reduce_implILb1ES3_PS9_SC_S9_NS6_11hip_rocprim9__find_if7functorIS9_EEEE10hipError_tPvRmT1_T2_T3_mT4_P12ihipStream_tbEUlT_E0_NS1_11comp_targetILNS1_3genE4ELNS1_11target_archE910ELNS1_3gpuE8ELNS1_3repE0EEENS1_30default_config_static_selectorELNS0_4arch9wavefront6targetE1EEEvSK_,comdat
	.protected	_ZN7rocprim17ROCPRIM_400000_NS6detail17trampoline_kernelINS0_14default_configENS1_22reduce_config_selectorIN6thrust23THRUST_200600_302600_NS5tupleIblNS6_9null_typeES8_S8_S8_S8_S8_S8_S8_EEEEZNS1_11reduce_implILb1ES3_PS9_SC_S9_NS6_11hip_rocprim9__find_if7functorIS9_EEEE10hipError_tPvRmT1_T2_T3_mT4_P12ihipStream_tbEUlT_E0_NS1_11comp_targetILNS1_3genE4ELNS1_11target_archE910ELNS1_3gpuE8ELNS1_3repE0EEENS1_30default_config_static_selectorELNS0_4arch9wavefront6targetE1EEEvSK_ ; -- Begin function _ZN7rocprim17ROCPRIM_400000_NS6detail17trampoline_kernelINS0_14default_configENS1_22reduce_config_selectorIN6thrust23THRUST_200600_302600_NS5tupleIblNS6_9null_typeES8_S8_S8_S8_S8_S8_S8_EEEEZNS1_11reduce_implILb1ES3_PS9_SC_S9_NS6_11hip_rocprim9__find_if7functorIS9_EEEE10hipError_tPvRmT1_T2_T3_mT4_P12ihipStream_tbEUlT_E0_NS1_11comp_targetILNS1_3genE4ELNS1_11target_archE910ELNS1_3gpuE8ELNS1_3repE0EEENS1_30default_config_static_selectorELNS0_4arch9wavefront6targetE1EEEvSK_
	.globl	_ZN7rocprim17ROCPRIM_400000_NS6detail17trampoline_kernelINS0_14default_configENS1_22reduce_config_selectorIN6thrust23THRUST_200600_302600_NS5tupleIblNS6_9null_typeES8_S8_S8_S8_S8_S8_S8_EEEEZNS1_11reduce_implILb1ES3_PS9_SC_S9_NS6_11hip_rocprim9__find_if7functorIS9_EEEE10hipError_tPvRmT1_T2_T3_mT4_P12ihipStream_tbEUlT_E0_NS1_11comp_targetILNS1_3genE4ELNS1_11target_archE910ELNS1_3gpuE8ELNS1_3repE0EEENS1_30default_config_static_selectorELNS0_4arch9wavefront6targetE1EEEvSK_
	.p2align	8
	.type	_ZN7rocprim17ROCPRIM_400000_NS6detail17trampoline_kernelINS0_14default_configENS1_22reduce_config_selectorIN6thrust23THRUST_200600_302600_NS5tupleIblNS6_9null_typeES8_S8_S8_S8_S8_S8_S8_EEEEZNS1_11reduce_implILb1ES3_PS9_SC_S9_NS6_11hip_rocprim9__find_if7functorIS9_EEEE10hipError_tPvRmT1_T2_T3_mT4_P12ihipStream_tbEUlT_E0_NS1_11comp_targetILNS1_3genE4ELNS1_11target_archE910ELNS1_3gpuE8ELNS1_3repE0EEENS1_30default_config_static_selectorELNS0_4arch9wavefront6targetE1EEEvSK_,@function
_ZN7rocprim17ROCPRIM_400000_NS6detail17trampoline_kernelINS0_14default_configENS1_22reduce_config_selectorIN6thrust23THRUST_200600_302600_NS5tupleIblNS6_9null_typeES8_S8_S8_S8_S8_S8_S8_EEEEZNS1_11reduce_implILb1ES3_PS9_SC_S9_NS6_11hip_rocprim9__find_if7functorIS9_EEEE10hipError_tPvRmT1_T2_T3_mT4_P12ihipStream_tbEUlT_E0_NS1_11comp_targetILNS1_3genE4ELNS1_11target_archE910ELNS1_3gpuE8ELNS1_3repE0EEENS1_30default_config_static_selectorELNS0_4arch9wavefront6targetE1EEEvSK_: ; @_ZN7rocprim17ROCPRIM_400000_NS6detail17trampoline_kernelINS0_14default_configENS1_22reduce_config_selectorIN6thrust23THRUST_200600_302600_NS5tupleIblNS6_9null_typeES8_S8_S8_S8_S8_S8_S8_EEEEZNS1_11reduce_implILb1ES3_PS9_SC_S9_NS6_11hip_rocprim9__find_if7functorIS9_EEEE10hipError_tPvRmT1_T2_T3_mT4_P12ihipStream_tbEUlT_E0_NS1_11comp_targetILNS1_3genE4ELNS1_11target_archE910ELNS1_3gpuE8ELNS1_3repE0EEENS1_30default_config_static_selectorELNS0_4arch9wavefront6targetE1EEEvSK_
; %bb.0:
	.section	.rodata,"a",@progbits
	.p2align	6, 0x0
	.amdhsa_kernel _ZN7rocprim17ROCPRIM_400000_NS6detail17trampoline_kernelINS0_14default_configENS1_22reduce_config_selectorIN6thrust23THRUST_200600_302600_NS5tupleIblNS6_9null_typeES8_S8_S8_S8_S8_S8_S8_EEEEZNS1_11reduce_implILb1ES3_PS9_SC_S9_NS6_11hip_rocprim9__find_if7functorIS9_EEEE10hipError_tPvRmT1_T2_T3_mT4_P12ihipStream_tbEUlT_E0_NS1_11comp_targetILNS1_3genE4ELNS1_11target_archE910ELNS1_3gpuE8ELNS1_3repE0EEENS1_30default_config_static_selectorELNS0_4arch9wavefront6targetE1EEEvSK_
		.amdhsa_group_segment_fixed_size 0
		.amdhsa_private_segment_fixed_size 0
		.amdhsa_kernarg_size 72
		.amdhsa_user_sgpr_count 2
		.amdhsa_user_sgpr_dispatch_ptr 0
		.amdhsa_user_sgpr_queue_ptr 0
		.amdhsa_user_sgpr_kernarg_segment_ptr 1
		.amdhsa_user_sgpr_dispatch_id 0
		.amdhsa_user_sgpr_kernarg_preload_length 0
		.amdhsa_user_sgpr_kernarg_preload_offset 0
		.amdhsa_user_sgpr_private_segment_size 0
		.amdhsa_uses_dynamic_stack 0
		.amdhsa_enable_private_segment 0
		.amdhsa_system_sgpr_workgroup_id_x 1
		.amdhsa_system_sgpr_workgroup_id_y 0
		.amdhsa_system_sgpr_workgroup_id_z 0
		.amdhsa_system_sgpr_workgroup_info 0
		.amdhsa_system_vgpr_workitem_id 0
		.amdhsa_next_free_vgpr 1
		.amdhsa_next_free_sgpr 0
		.amdhsa_accum_offset 4
		.amdhsa_reserve_vcc 0
		.amdhsa_float_round_mode_32 0
		.amdhsa_float_round_mode_16_64 0
		.amdhsa_float_denorm_mode_32 3
		.amdhsa_float_denorm_mode_16_64 3
		.amdhsa_dx10_clamp 1
		.amdhsa_ieee_mode 1
		.amdhsa_fp16_overflow 0
		.amdhsa_tg_split 0
		.amdhsa_exception_fp_ieee_invalid_op 0
		.amdhsa_exception_fp_denorm_src 0
		.amdhsa_exception_fp_ieee_div_zero 0
		.amdhsa_exception_fp_ieee_overflow 0
		.amdhsa_exception_fp_ieee_underflow 0
		.amdhsa_exception_fp_ieee_inexact 0
		.amdhsa_exception_int_div_zero 0
	.end_amdhsa_kernel
	.section	.text._ZN7rocprim17ROCPRIM_400000_NS6detail17trampoline_kernelINS0_14default_configENS1_22reduce_config_selectorIN6thrust23THRUST_200600_302600_NS5tupleIblNS6_9null_typeES8_S8_S8_S8_S8_S8_S8_EEEEZNS1_11reduce_implILb1ES3_PS9_SC_S9_NS6_11hip_rocprim9__find_if7functorIS9_EEEE10hipError_tPvRmT1_T2_T3_mT4_P12ihipStream_tbEUlT_E0_NS1_11comp_targetILNS1_3genE4ELNS1_11target_archE910ELNS1_3gpuE8ELNS1_3repE0EEENS1_30default_config_static_selectorELNS0_4arch9wavefront6targetE1EEEvSK_,"axG",@progbits,_ZN7rocprim17ROCPRIM_400000_NS6detail17trampoline_kernelINS0_14default_configENS1_22reduce_config_selectorIN6thrust23THRUST_200600_302600_NS5tupleIblNS6_9null_typeES8_S8_S8_S8_S8_S8_S8_EEEEZNS1_11reduce_implILb1ES3_PS9_SC_S9_NS6_11hip_rocprim9__find_if7functorIS9_EEEE10hipError_tPvRmT1_T2_T3_mT4_P12ihipStream_tbEUlT_E0_NS1_11comp_targetILNS1_3genE4ELNS1_11target_archE910ELNS1_3gpuE8ELNS1_3repE0EEENS1_30default_config_static_selectorELNS0_4arch9wavefront6targetE1EEEvSK_,comdat
.Lfunc_end50:
	.size	_ZN7rocprim17ROCPRIM_400000_NS6detail17trampoline_kernelINS0_14default_configENS1_22reduce_config_selectorIN6thrust23THRUST_200600_302600_NS5tupleIblNS6_9null_typeES8_S8_S8_S8_S8_S8_S8_EEEEZNS1_11reduce_implILb1ES3_PS9_SC_S9_NS6_11hip_rocprim9__find_if7functorIS9_EEEE10hipError_tPvRmT1_T2_T3_mT4_P12ihipStream_tbEUlT_E0_NS1_11comp_targetILNS1_3genE4ELNS1_11target_archE910ELNS1_3gpuE8ELNS1_3repE0EEENS1_30default_config_static_selectorELNS0_4arch9wavefront6targetE1EEEvSK_, .Lfunc_end50-_ZN7rocprim17ROCPRIM_400000_NS6detail17trampoline_kernelINS0_14default_configENS1_22reduce_config_selectorIN6thrust23THRUST_200600_302600_NS5tupleIblNS6_9null_typeES8_S8_S8_S8_S8_S8_S8_EEEEZNS1_11reduce_implILb1ES3_PS9_SC_S9_NS6_11hip_rocprim9__find_if7functorIS9_EEEE10hipError_tPvRmT1_T2_T3_mT4_P12ihipStream_tbEUlT_E0_NS1_11comp_targetILNS1_3genE4ELNS1_11target_archE910ELNS1_3gpuE8ELNS1_3repE0EEENS1_30default_config_static_selectorELNS0_4arch9wavefront6targetE1EEEvSK_
                                        ; -- End function
	.section	.AMDGPU.csdata,"",@progbits
; Kernel info:
; codeLenInByte = 0
; NumSgprs: 6
; NumVgprs: 0
; NumAgprs: 0
; TotalNumVgprs: 0
; ScratchSize: 0
; MemoryBound: 0
; FloatMode: 240
; IeeeMode: 1
; LDSByteSize: 0 bytes/workgroup (compile time only)
; SGPRBlocks: 0
; VGPRBlocks: 0
; NumSGPRsForWavesPerEU: 6
; NumVGPRsForWavesPerEU: 1
; AccumOffset: 4
; Occupancy: 8
; WaveLimiterHint : 0
; COMPUTE_PGM_RSRC2:SCRATCH_EN: 0
; COMPUTE_PGM_RSRC2:USER_SGPR: 2
; COMPUTE_PGM_RSRC2:TRAP_HANDLER: 0
; COMPUTE_PGM_RSRC2:TGID_X_EN: 1
; COMPUTE_PGM_RSRC2:TGID_Y_EN: 0
; COMPUTE_PGM_RSRC2:TGID_Z_EN: 0
; COMPUTE_PGM_RSRC2:TIDIG_COMP_CNT: 0
; COMPUTE_PGM_RSRC3_GFX90A:ACCUM_OFFSET: 0
; COMPUTE_PGM_RSRC3_GFX90A:TG_SPLIT: 0
	.section	.text._ZN7rocprim17ROCPRIM_400000_NS6detail17trampoline_kernelINS0_14default_configENS1_22reduce_config_selectorIN6thrust23THRUST_200600_302600_NS5tupleIblNS6_9null_typeES8_S8_S8_S8_S8_S8_S8_EEEEZNS1_11reduce_implILb1ES3_PS9_SC_S9_NS6_11hip_rocprim9__find_if7functorIS9_EEEE10hipError_tPvRmT1_T2_T3_mT4_P12ihipStream_tbEUlT_E0_NS1_11comp_targetILNS1_3genE3ELNS1_11target_archE908ELNS1_3gpuE7ELNS1_3repE0EEENS1_30default_config_static_selectorELNS0_4arch9wavefront6targetE1EEEvSK_,"axG",@progbits,_ZN7rocprim17ROCPRIM_400000_NS6detail17trampoline_kernelINS0_14default_configENS1_22reduce_config_selectorIN6thrust23THRUST_200600_302600_NS5tupleIblNS6_9null_typeES8_S8_S8_S8_S8_S8_S8_EEEEZNS1_11reduce_implILb1ES3_PS9_SC_S9_NS6_11hip_rocprim9__find_if7functorIS9_EEEE10hipError_tPvRmT1_T2_T3_mT4_P12ihipStream_tbEUlT_E0_NS1_11comp_targetILNS1_3genE3ELNS1_11target_archE908ELNS1_3gpuE7ELNS1_3repE0EEENS1_30default_config_static_selectorELNS0_4arch9wavefront6targetE1EEEvSK_,comdat
	.protected	_ZN7rocprim17ROCPRIM_400000_NS6detail17trampoline_kernelINS0_14default_configENS1_22reduce_config_selectorIN6thrust23THRUST_200600_302600_NS5tupleIblNS6_9null_typeES8_S8_S8_S8_S8_S8_S8_EEEEZNS1_11reduce_implILb1ES3_PS9_SC_S9_NS6_11hip_rocprim9__find_if7functorIS9_EEEE10hipError_tPvRmT1_T2_T3_mT4_P12ihipStream_tbEUlT_E0_NS1_11comp_targetILNS1_3genE3ELNS1_11target_archE908ELNS1_3gpuE7ELNS1_3repE0EEENS1_30default_config_static_selectorELNS0_4arch9wavefront6targetE1EEEvSK_ ; -- Begin function _ZN7rocprim17ROCPRIM_400000_NS6detail17trampoline_kernelINS0_14default_configENS1_22reduce_config_selectorIN6thrust23THRUST_200600_302600_NS5tupleIblNS6_9null_typeES8_S8_S8_S8_S8_S8_S8_EEEEZNS1_11reduce_implILb1ES3_PS9_SC_S9_NS6_11hip_rocprim9__find_if7functorIS9_EEEE10hipError_tPvRmT1_T2_T3_mT4_P12ihipStream_tbEUlT_E0_NS1_11comp_targetILNS1_3genE3ELNS1_11target_archE908ELNS1_3gpuE7ELNS1_3repE0EEENS1_30default_config_static_selectorELNS0_4arch9wavefront6targetE1EEEvSK_
	.globl	_ZN7rocprim17ROCPRIM_400000_NS6detail17trampoline_kernelINS0_14default_configENS1_22reduce_config_selectorIN6thrust23THRUST_200600_302600_NS5tupleIblNS6_9null_typeES8_S8_S8_S8_S8_S8_S8_EEEEZNS1_11reduce_implILb1ES3_PS9_SC_S9_NS6_11hip_rocprim9__find_if7functorIS9_EEEE10hipError_tPvRmT1_T2_T3_mT4_P12ihipStream_tbEUlT_E0_NS1_11comp_targetILNS1_3genE3ELNS1_11target_archE908ELNS1_3gpuE7ELNS1_3repE0EEENS1_30default_config_static_selectorELNS0_4arch9wavefront6targetE1EEEvSK_
	.p2align	8
	.type	_ZN7rocprim17ROCPRIM_400000_NS6detail17trampoline_kernelINS0_14default_configENS1_22reduce_config_selectorIN6thrust23THRUST_200600_302600_NS5tupleIblNS6_9null_typeES8_S8_S8_S8_S8_S8_S8_EEEEZNS1_11reduce_implILb1ES3_PS9_SC_S9_NS6_11hip_rocprim9__find_if7functorIS9_EEEE10hipError_tPvRmT1_T2_T3_mT4_P12ihipStream_tbEUlT_E0_NS1_11comp_targetILNS1_3genE3ELNS1_11target_archE908ELNS1_3gpuE7ELNS1_3repE0EEENS1_30default_config_static_selectorELNS0_4arch9wavefront6targetE1EEEvSK_,@function
_ZN7rocprim17ROCPRIM_400000_NS6detail17trampoline_kernelINS0_14default_configENS1_22reduce_config_selectorIN6thrust23THRUST_200600_302600_NS5tupleIblNS6_9null_typeES8_S8_S8_S8_S8_S8_S8_EEEEZNS1_11reduce_implILb1ES3_PS9_SC_S9_NS6_11hip_rocprim9__find_if7functorIS9_EEEE10hipError_tPvRmT1_T2_T3_mT4_P12ihipStream_tbEUlT_E0_NS1_11comp_targetILNS1_3genE3ELNS1_11target_archE908ELNS1_3gpuE7ELNS1_3repE0EEENS1_30default_config_static_selectorELNS0_4arch9wavefront6targetE1EEEvSK_: ; @_ZN7rocprim17ROCPRIM_400000_NS6detail17trampoline_kernelINS0_14default_configENS1_22reduce_config_selectorIN6thrust23THRUST_200600_302600_NS5tupleIblNS6_9null_typeES8_S8_S8_S8_S8_S8_S8_EEEEZNS1_11reduce_implILb1ES3_PS9_SC_S9_NS6_11hip_rocprim9__find_if7functorIS9_EEEE10hipError_tPvRmT1_T2_T3_mT4_P12ihipStream_tbEUlT_E0_NS1_11comp_targetILNS1_3genE3ELNS1_11target_archE908ELNS1_3gpuE7ELNS1_3repE0EEENS1_30default_config_static_selectorELNS0_4arch9wavefront6targetE1EEEvSK_
; %bb.0:
	.section	.rodata,"a",@progbits
	.p2align	6, 0x0
	.amdhsa_kernel _ZN7rocprim17ROCPRIM_400000_NS6detail17trampoline_kernelINS0_14default_configENS1_22reduce_config_selectorIN6thrust23THRUST_200600_302600_NS5tupleIblNS6_9null_typeES8_S8_S8_S8_S8_S8_S8_EEEEZNS1_11reduce_implILb1ES3_PS9_SC_S9_NS6_11hip_rocprim9__find_if7functorIS9_EEEE10hipError_tPvRmT1_T2_T3_mT4_P12ihipStream_tbEUlT_E0_NS1_11comp_targetILNS1_3genE3ELNS1_11target_archE908ELNS1_3gpuE7ELNS1_3repE0EEENS1_30default_config_static_selectorELNS0_4arch9wavefront6targetE1EEEvSK_
		.amdhsa_group_segment_fixed_size 0
		.amdhsa_private_segment_fixed_size 0
		.amdhsa_kernarg_size 72
		.amdhsa_user_sgpr_count 2
		.amdhsa_user_sgpr_dispatch_ptr 0
		.amdhsa_user_sgpr_queue_ptr 0
		.amdhsa_user_sgpr_kernarg_segment_ptr 1
		.amdhsa_user_sgpr_dispatch_id 0
		.amdhsa_user_sgpr_kernarg_preload_length 0
		.amdhsa_user_sgpr_kernarg_preload_offset 0
		.amdhsa_user_sgpr_private_segment_size 0
		.amdhsa_uses_dynamic_stack 0
		.amdhsa_enable_private_segment 0
		.amdhsa_system_sgpr_workgroup_id_x 1
		.amdhsa_system_sgpr_workgroup_id_y 0
		.amdhsa_system_sgpr_workgroup_id_z 0
		.amdhsa_system_sgpr_workgroup_info 0
		.amdhsa_system_vgpr_workitem_id 0
		.amdhsa_next_free_vgpr 1
		.amdhsa_next_free_sgpr 0
		.amdhsa_accum_offset 4
		.amdhsa_reserve_vcc 0
		.amdhsa_float_round_mode_32 0
		.amdhsa_float_round_mode_16_64 0
		.amdhsa_float_denorm_mode_32 3
		.amdhsa_float_denorm_mode_16_64 3
		.amdhsa_dx10_clamp 1
		.amdhsa_ieee_mode 1
		.amdhsa_fp16_overflow 0
		.amdhsa_tg_split 0
		.amdhsa_exception_fp_ieee_invalid_op 0
		.amdhsa_exception_fp_denorm_src 0
		.amdhsa_exception_fp_ieee_div_zero 0
		.amdhsa_exception_fp_ieee_overflow 0
		.amdhsa_exception_fp_ieee_underflow 0
		.amdhsa_exception_fp_ieee_inexact 0
		.amdhsa_exception_int_div_zero 0
	.end_amdhsa_kernel
	.section	.text._ZN7rocprim17ROCPRIM_400000_NS6detail17trampoline_kernelINS0_14default_configENS1_22reduce_config_selectorIN6thrust23THRUST_200600_302600_NS5tupleIblNS6_9null_typeES8_S8_S8_S8_S8_S8_S8_EEEEZNS1_11reduce_implILb1ES3_PS9_SC_S9_NS6_11hip_rocprim9__find_if7functorIS9_EEEE10hipError_tPvRmT1_T2_T3_mT4_P12ihipStream_tbEUlT_E0_NS1_11comp_targetILNS1_3genE3ELNS1_11target_archE908ELNS1_3gpuE7ELNS1_3repE0EEENS1_30default_config_static_selectorELNS0_4arch9wavefront6targetE1EEEvSK_,"axG",@progbits,_ZN7rocprim17ROCPRIM_400000_NS6detail17trampoline_kernelINS0_14default_configENS1_22reduce_config_selectorIN6thrust23THRUST_200600_302600_NS5tupleIblNS6_9null_typeES8_S8_S8_S8_S8_S8_S8_EEEEZNS1_11reduce_implILb1ES3_PS9_SC_S9_NS6_11hip_rocprim9__find_if7functorIS9_EEEE10hipError_tPvRmT1_T2_T3_mT4_P12ihipStream_tbEUlT_E0_NS1_11comp_targetILNS1_3genE3ELNS1_11target_archE908ELNS1_3gpuE7ELNS1_3repE0EEENS1_30default_config_static_selectorELNS0_4arch9wavefront6targetE1EEEvSK_,comdat
.Lfunc_end51:
	.size	_ZN7rocprim17ROCPRIM_400000_NS6detail17trampoline_kernelINS0_14default_configENS1_22reduce_config_selectorIN6thrust23THRUST_200600_302600_NS5tupleIblNS6_9null_typeES8_S8_S8_S8_S8_S8_S8_EEEEZNS1_11reduce_implILb1ES3_PS9_SC_S9_NS6_11hip_rocprim9__find_if7functorIS9_EEEE10hipError_tPvRmT1_T2_T3_mT4_P12ihipStream_tbEUlT_E0_NS1_11comp_targetILNS1_3genE3ELNS1_11target_archE908ELNS1_3gpuE7ELNS1_3repE0EEENS1_30default_config_static_selectorELNS0_4arch9wavefront6targetE1EEEvSK_, .Lfunc_end51-_ZN7rocprim17ROCPRIM_400000_NS6detail17trampoline_kernelINS0_14default_configENS1_22reduce_config_selectorIN6thrust23THRUST_200600_302600_NS5tupleIblNS6_9null_typeES8_S8_S8_S8_S8_S8_S8_EEEEZNS1_11reduce_implILb1ES3_PS9_SC_S9_NS6_11hip_rocprim9__find_if7functorIS9_EEEE10hipError_tPvRmT1_T2_T3_mT4_P12ihipStream_tbEUlT_E0_NS1_11comp_targetILNS1_3genE3ELNS1_11target_archE908ELNS1_3gpuE7ELNS1_3repE0EEENS1_30default_config_static_selectorELNS0_4arch9wavefront6targetE1EEEvSK_
                                        ; -- End function
	.section	.AMDGPU.csdata,"",@progbits
; Kernel info:
; codeLenInByte = 0
; NumSgprs: 6
; NumVgprs: 0
; NumAgprs: 0
; TotalNumVgprs: 0
; ScratchSize: 0
; MemoryBound: 0
; FloatMode: 240
; IeeeMode: 1
; LDSByteSize: 0 bytes/workgroup (compile time only)
; SGPRBlocks: 0
; VGPRBlocks: 0
; NumSGPRsForWavesPerEU: 6
; NumVGPRsForWavesPerEU: 1
; AccumOffset: 4
; Occupancy: 8
; WaveLimiterHint : 0
; COMPUTE_PGM_RSRC2:SCRATCH_EN: 0
; COMPUTE_PGM_RSRC2:USER_SGPR: 2
; COMPUTE_PGM_RSRC2:TRAP_HANDLER: 0
; COMPUTE_PGM_RSRC2:TGID_X_EN: 1
; COMPUTE_PGM_RSRC2:TGID_Y_EN: 0
; COMPUTE_PGM_RSRC2:TGID_Z_EN: 0
; COMPUTE_PGM_RSRC2:TIDIG_COMP_CNT: 0
; COMPUTE_PGM_RSRC3_GFX90A:ACCUM_OFFSET: 0
; COMPUTE_PGM_RSRC3_GFX90A:TG_SPLIT: 0
	.section	.text._ZN7rocprim17ROCPRIM_400000_NS6detail17trampoline_kernelINS0_14default_configENS1_22reduce_config_selectorIN6thrust23THRUST_200600_302600_NS5tupleIblNS6_9null_typeES8_S8_S8_S8_S8_S8_S8_EEEEZNS1_11reduce_implILb1ES3_PS9_SC_S9_NS6_11hip_rocprim9__find_if7functorIS9_EEEE10hipError_tPvRmT1_T2_T3_mT4_P12ihipStream_tbEUlT_E0_NS1_11comp_targetILNS1_3genE2ELNS1_11target_archE906ELNS1_3gpuE6ELNS1_3repE0EEENS1_30default_config_static_selectorELNS0_4arch9wavefront6targetE1EEEvSK_,"axG",@progbits,_ZN7rocprim17ROCPRIM_400000_NS6detail17trampoline_kernelINS0_14default_configENS1_22reduce_config_selectorIN6thrust23THRUST_200600_302600_NS5tupleIblNS6_9null_typeES8_S8_S8_S8_S8_S8_S8_EEEEZNS1_11reduce_implILb1ES3_PS9_SC_S9_NS6_11hip_rocprim9__find_if7functorIS9_EEEE10hipError_tPvRmT1_T2_T3_mT4_P12ihipStream_tbEUlT_E0_NS1_11comp_targetILNS1_3genE2ELNS1_11target_archE906ELNS1_3gpuE6ELNS1_3repE0EEENS1_30default_config_static_selectorELNS0_4arch9wavefront6targetE1EEEvSK_,comdat
	.protected	_ZN7rocprim17ROCPRIM_400000_NS6detail17trampoline_kernelINS0_14default_configENS1_22reduce_config_selectorIN6thrust23THRUST_200600_302600_NS5tupleIblNS6_9null_typeES8_S8_S8_S8_S8_S8_S8_EEEEZNS1_11reduce_implILb1ES3_PS9_SC_S9_NS6_11hip_rocprim9__find_if7functorIS9_EEEE10hipError_tPvRmT1_T2_T3_mT4_P12ihipStream_tbEUlT_E0_NS1_11comp_targetILNS1_3genE2ELNS1_11target_archE906ELNS1_3gpuE6ELNS1_3repE0EEENS1_30default_config_static_selectorELNS0_4arch9wavefront6targetE1EEEvSK_ ; -- Begin function _ZN7rocprim17ROCPRIM_400000_NS6detail17trampoline_kernelINS0_14default_configENS1_22reduce_config_selectorIN6thrust23THRUST_200600_302600_NS5tupleIblNS6_9null_typeES8_S8_S8_S8_S8_S8_S8_EEEEZNS1_11reduce_implILb1ES3_PS9_SC_S9_NS6_11hip_rocprim9__find_if7functorIS9_EEEE10hipError_tPvRmT1_T2_T3_mT4_P12ihipStream_tbEUlT_E0_NS1_11comp_targetILNS1_3genE2ELNS1_11target_archE906ELNS1_3gpuE6ELNS1_3repE0EEENS1_30default_config_static_selectorELNS0_4arch9wavefront6targetE1EEEvSK_
	.globl	_ZN7rocprim17ROCPRIM_400000_NS6detail17trampoline_kernelINS0_14default_configENS1_22reduce_config_selectorIN6thrust23THRUST_200600_302600_NS5tupleIblNS6_9null_typeES8_S8_S8_S8_S8_S8_S8_EEEEZNS1_11reduce_implILb1ES3_PS9_SC_S9_NS6_11hip_rocprim9__find_if7functorIS9_EEEE10hipError_tPvRmT1_T2_T3_mT4_P12ihipStream_tbEUlT_E0_NS1_11comp_targetILNS1_3genE2ELNS1_11target_archE906ELNS1_3gpuE6ELNS1_3repE0EEENS1_30default_config_static_selectorELNS0_4arch9wavefront6targetE1EEEvSK_
	.p2align	8
	.type	_ZN7rocprim17ROCPRIM_400000_NS6detail17trampoline_kernelINS0_14default_configENS1_22reduce_config_selectorIN6thrust23THRUST_200600_302600_NS5tupleIblNS6_9null_typeES8_S8_S8_S8_S8_S8_S8_EEEEZNS1_11reduce_implILb1ES3_PS9_SC_S9_NS6_11hip_rocprim9__find_if7functorIS9_EEEE10hipError_tPvRmT1_T2_T3_mT4_P12ihipStream_tbEUlT_E0_NS1_11comp_targetILNS1_3genE2ELNS1_11target_archE906ELNS1_3gpuE6ELNS1_3repE0EEENS1_30default_config_static_selectorELNS0_4arch9wavefront6targetE1EEEvSK_,@function
_ZN7rocprim17ROCPRIM_400000_NS6detail17trampoline_kernelINS0_14default_configENS1_22reduce_config_selectorIN6thrust23THRUST_200600_302600_NS5tupleIblNS6_9null_typeES8_S8_S8_S8_S8_S8_S8_EEEEZNS1_11reduce_implILb1ES3_PS9_SC_S9_NS6_11hip_rocprim9__find_if7functorIS9_EEEE10hipError_tPvRmT1_T2_T3_mT4_P12ihipStream_tbEUlT_E0_NS1_11comp_targetILNS1_3genE2ELNS1_11target_archE906ELNS1_3gpuE6ELNS1_3repE0EEENS1_30default_config_static_selectorELNS0_4arch9wavefront6targetE1EEEvSK_: ; @_ZN7rocprim17ROCPRIM_400000_NS6detail17trampoline_kernelINS0_14default_configENS1_22reduce_config_selectorIN6thrust23THRUST_200600_302600_NS5tupleIblNS6_9null_typeES8_S8_S8_S8_S8_S8_S8_EEEEZNS1_11reduce_implILb1ES3_PS9_SC_S9_NS6_11hip_rocprim9__find_if7functorIS9_EEEE10hipError_tPvRmT1_T2_T3_mT4_P12ihipStream_tbEUlT_E0_NS1_11comp_targetILNS1_3genE2ELNS1_11target_archE906ELNS1_3gpuE6ELNS1_3repE0EEENS1_30default_config_static_selectorELNS0_4arch9wavefront6targetE1EEEvSK_
; %bb.0:
	.section	.rodata,"a",@progbits
	.p2align	6, 0x0
	.amdhsa_kernel _ZN7rocprim17ROCPRIM_400000_NS6detail17trampoline_kernelINS0_14default_configENS1_22reduce_config_selectorIN6thrust23THRUST_200600_302600_NS5tupleIblNS6_9null_typeES8_S8_S8_S8_S8_S8_S8_EEEEZNS1_11reduce_implILb1ES3_PS9_SC_S9_NS6_11hip_rocprim9__find_if7functorIS9_EEEE10hipError_tPvRmT1_T2_T3_mT4_P12ihipStream_tbEUlT_E0_NS1_11comp_targetILNS1_3genE2ELNS1_11target_archE906ELNS1_3gpuE6ELNS1_3repE0EEENS1_30default_config_static_selectorELNS0_4arch9wavefront6targetE1EEEvSK_
		.amdhsa_group_segment_fixed_size 0
		.amdhsa_private_segment_fixed_size 0
		.amdhsa_kernarg_size 72
		.amdhsa_user_sgpr_count 2
		.amdhsa_user_sgpr_dispatch_ptr 0
		.amdhsa_user_sgpr_queue_ptr 0
		.amdhsa_user_sgpr_kernarg_segment_ptr 1
		.amdhsa_user_sgpr_dispatch_id 0
		.amdhsa_user_sgpr_kernarg_preload_length 0
		.amdhsa_user_sgpr_kernarg_preload_offset 0
		.amdhsa_user_sgpr_private_segment_size 0
		.amdhsa_uses_dynamic_stack 0
		.amdhsa_enable_private_segment 0
		.amdhsa_system_sgpr_workgroup_id_x 1
		.amdhsa_system_sgpr_workgroup_id_y 0
		.amdhsa_system_sgpr_workgroup_id_z 0
		.amdhsa_system_sgpr_workgroup_info 0
		.amdhsa_system_vgpr_workitem_id 0
		.amdhsa_next_free_vgpr 1
		.amdhsa_next_free_sgpr 0
		.amdhsa_accum_offset 4
		.amdhsa_reserve_vcc 0
		.amdhsa_float_round_mode_32 0
		.amdhsa_float_round_mode_16_64 0
		.amdhsa_float_denorm_mode_32 3
		.amdhsa_float_denorm_mode_16_64 3
		.amdhsa_dx10_clamp 1
		.amdhsa_ieee_mode 1
		.amdhsa_fp16_overflow 0
		.amdhsa_tg_split 0
		.amdhsa_exception_fp_ieee_invalid_op 0
		.amdhsa_exception_fp_denorm_src 0
		.amdhsa_exception_fp_ieee_div_zero 0
		.amdhsa_exception_fp_ieee_overflow 0
		.amdhsa_exception_fp_ieee_underflow 0
		.amdhsa_exception_fp_ieee_inexact 0
		.amdhsa_exception_int_div_zero 0
	.end_amdhsa_kernel
	.section	.text._ZN7rocprim17ROCPRIM_400000_NS6detail17trampoline_kernelINS0_14default_configENS1_22reduce_config_selectorIN6thrust23THRUST_200600_302600_NS5tupleIblNS6_9null_typeES8_S8_S8_S8_S8_S8_S8_EEEEZNS1_11reduce_implILb1ES3_PS9_SC_S9_NS6_11hip_rocprim9__find_if7functorIS9_EEEE10hipError_tPvRmT1_T2_T3_mT4_P12ihipStream_tbEUlT_E0_NS1_11comp_targetILNS1_3genE2ELNS1_11target_archE906ELNS1_3gpuE6ELNS1_3repE0EEENS1_30default_config_static_selectorELNS0_4arch9wavefront6targetE1EEEvSK_,"axG",@progbits,_ZN7rocprim17ROCPRIM_400000_NS6detail17trampoline_kernelINS0_14default_configENS1_22reduce_config_selectorIN6thrust23THRUST_200600_302600_NS5tupleIblNS6_9null_typeES8_S8_S8_S8_S8_S8_S8_EEEEZNS1_11reduce_implILb1ES3_PS9_SC_S9_NS6_11hip_rocprim9__find_if7functorIS9_EEEE10hipError_tPvRmT1_T2_T3_mT4_P12ihipStream_tbEUlT_E0_NS1_11comp_targetILNS1_3genE2ELNS1_11target_archE906ELNS1_3gpuE6ELNS1_3repE0EEENS1_30default_config_static_selectorELNS0_4arch9wavefront6targetE1EEEvSK_,comdat
.Lfunc_end52:
	.size	_ZN7rocprim17ROCPRIM_400000_NS6detail17trampoline_kernelINS0_14default_configENS1_22reduce_config_selectorIN6thrust23THRUST_200600_302600_NS5tupleIblNS6_9null_typeES8_S8_S8_S8_S8_S8_S8_EEEEZNS1_11reduce_implILb1ES3_PS9_SC_S9_NS6_11hip_rocprim9__find_if7functorIS9_EEEE10hipError_tPvRmT1_T2_T3_mT4_P12ihipStream_tbEUlT_E0_NS1_11comp_targetILNS1_3genE2ELNS1_11target_archE906ELNS1_3gpuE6ELNS1_3repE0EEENS1_30default_config_static_selectorELNS0_4arch9wavefront6targetE1EEEvSK_, .Lfunc_end52-_ZN7rocprim17ROCPRIM_400000_NS6detail17trampoline_kernelINS0_14default_configENS1_22reduce_config_selectorIN6thrust23THRUST_200600_302600_NS5tupleIblNS6_9null_typeES8_S8_S8_S8_S8_S8_S8_EEEEZNS1_11reduce_implILb1ES3_PS9_SC_S9_NS6_11hip_rocprim9__find_if7functorIS9_EEEE10hipError_tPvRmT1_T2_T3_mT4_P12ihipStream_tbEUlT_E0_NS1_11comp_targetILNS1_3genE2ELNS1_11target_archE906ELNS1_3gpuE6ELNS1_3repE0EEENS1_30default_config_static_selectorELNS0_4arch9wavefront6targetE1EEEvSK_
                                        ; -- End function
	.section	.AMDGPU.csdata,"",@progbits
; Kernel info:
; codeLenInByte = 0
; NumSgprs: 6
; NumVgprs: 0
; NumAgprs: 0
; TotalNumVgprs: 0
; ScratchSize: 0
; MemoryBound: 0
; FloatMode: 240
; IeeeMode: 1
; LDSByteSize: 0 bytes/workgroup (compile time only)
; SGPRBlocks: 0
; VGPRBlocks: 0
; NumSGPRsForWavesPerEU: 6
; NumVGPRsForWavesPerEU: 1
; AccumOffset: 4
; Occupancy: 8
; WaveLimiterHint : 0
; COMPUTE_PGM_RSRC2:SCRATCH_EN: 0
; COMPUTE_PGM_RSRC2:USER_SGPR: 2
; COMPUTE_PGM_RSRC2:TRAP_HANDLER: 0
; COMPUTE_PGM_RSRC2:TGID_X_EN: 1
; COMPUTE_PGM_RSRC2:TGID_Y_EN: 0
; COMPUTE_PGM_RSRC2:TGID_Z_EN: 0
; COMPUTE_PGM_RSRC2:TIDIG_COMP_CNT: 0
; COMPUTE_PGM_RSRC3_GFX90A:ACCUM_OFFSET: 0
; COMPUTE_PGM_RSRC3_GFX90A:TG_SPLIT: 0
	.section	.text._ZN7rocprim17ROCPRIM_400000_NS6detail17trampoline_kernelINS0_14default_configENS1_22reduce_config_selectorIN6thrust23THRUST_200600_302600_NS5tupleIblNS6_9null_typeES8_S8_S8_S8_S8_S8_S8_EEEEZNS1_11reduce_implILb1ES3_PS9_SC_S9_NS6_11hip_rocprim9__find_if7functorIS9_EEEE10hipError_tPvRmT1_T2_T3_mT4_P12ihipStream_tbEUlT_E0_NS1_11comp_targetILNS1_3genE10ELNS1_11target_archE1201ELNS1_3gpuE5ELNS1_3repE0EEENS1_30default_config_static_selectorELNS0_4arch9wavefront6targetE1EEEvSK_,"axG",@progbits,_ZN7rocprim17ROCPRIM_400000_NS6detail17trampoline_kernelINS0_14default_configENS1_22reduce_config_selectorIN6thrust23THRUST_200600_302600_NS5tupleIblNS6_9null_typeES8_S8_S8_S8_S8_S8_S8_EEEEZNS1_11reduce_implILb1ES3_PS9_SC_S9_NS6_11hip_rocprim9__find_if7functorIS9_EEEE10hipError_tPvRmT1_T2_T3_mT4_P12ihipStream_tbEUlT_E0_NS1_11comp_targetILNS1_3genE10ELNS1_11target_archE1201ELNS1_3gpuE5ELNS1_3repE0EEENS1_30default_config_static_selectorELNS0_4arch9wavefront6targetE1EEEvSK_,comdat
	.protected	_ZN7rocprim17ROCPRIM_400000_NS6detail17trampoline_kernelINS0_14default_configENS1_22reduce_config_selectorIN6thrust23THRUST_200600_302600_NS5tupleIblNS6_9null_typeES8_S8_S8_S8_S8_S8_S8_EEEEZNS1_11reduce_implILb1ES3_PS9_SC_S9_NS6_11hip_rocprim9__find_if7functorIS9_EEEE10hipError_tPvRmT1_T2_T3_mT4_P12ihipStream_tbEUlT_E0_NS1_11comp_targetILNS1_3genE10ELNS1_11target_archE1201ELNS1_3gpuE5ELNS1_3repE0EEENS1_30default_config_static_selectorELNS0_4arch9wavefront6targetE1EEEvSK_ ; -- Begin function _ZN7rocprim17ROCPRIM_400000_NS6detail17trampoline_kernelINS0_14default_configENS1_22reduce_config_selectorIN6thrust23THRUST_200600_302600_NS5tupleIblNS6_9null_typeES8_S8_S8_S8_S8_S8_S8_EEEEZNS1_11reduce_implILb1ES3_PS9_SC_S9_NS6_11hip_rocprim9__find_if7functorIS9_EEEE10hipError_tPvRmT1_T2_T3_mT4_P12ihipStream_tbEUlT_E0_NS1_11comp_targetILNS1_3genE10ELNS1_11target_archE1201ELNS1_3gpuE5ELNS1_3repE0EEENS1_30default_config_static_selectorELNS0_4arch9wavefront6targetE1EEEvSK_
	.globl	_ZN7rocprim17ROCPRIM_400000_NS6detail17trampoline_kernelINS0_14default_configENS1_22reduce_config_selectorIN6thrust23THRUST_200600_302600_NS5tupleIblNS6_9null_typeES8_S8_S8_S8_S8_S8_S8_EEEEZNS1_11reduce_implILb1ES3_PS9_SC_S9_NS6_11hip_rocprim9__find_if7functorIS9_EEEE10hipError_tPvRmT1_T2_T3_mT4_P12ihipStream_tbEUlT_E0_NS1_11comp_targetILNS1_3genE10ELNS1_11target_archE1201ELNS1_3gpuE5ELNS1_3repE0EEENS1_30default_config_static_selectorELNS0_4arch9wavefront6targetE1EEEvSK_
	.p2align	8
	.type	_ZN7rocprim17ROCPRIM_400000_NS6detail17trampoline_kernelINS0_14default_configENS1_22reduce_config_selectorIN6thrust23THRUST_200600_302600_NS5tupleIblNS6_9null_typeES8_S8_S8_S8_S8_S8_S8_EEEEZNS1_11reduce_implILb1ES3_PS9_SC_S9_NS6_11hip_rocprim9__find_if7functorIS9_EEEE10hipError_tPvRmT1_T2_T3_mT4_P12ihipStream_tbEUlT_E0_NS1_11comp_targetILNS1_3genE10ELNS1_11target_archE1201ELNS1_3gpuE5ELNS1_3repE0EEENS1_30default_config_static_selectorELNS0_4arch9wavefront6targetE1EEEvSK_,@function
_ZN7rocprim17ROCPRIM_400000_NS6detail17trampoline_kernelINS0_14default_configENS1_22reduce_config_selectorIN6thrust23THRUST_200600_302600_NS5tupleIblNS6_9null_typeES8_S8_S8_S8_S8_S8_S8_EEEEZNS1_11reduce_implILb1ES3_PS9_SC_S9_NS6_11hip_rocprim9__find_if7functorIS9_EEEE10hipError_tPvRmT1_T2_T3_mT4_P12ihipStream_tbEUlT_E0_NS1_11comp_targetILNS1_3genE10ELNS1_11target_archE1201ELNS1_3gpuE5ELNS1_3repE0EEENS1_30default_config_static_selectorELNS0_4arch9wavefront6targetE1EEEvSK_: ; @_ZN7rocprim17ROCPRIM_400000_NS6detail17trampoline_kernelINS0_14default_configENS1_22reduce_config_selectorIN6thrust23THRUST_200600_302600_NS5tupleIblNS6_9null_typeES8_S8_S8_S8_S8_S8_S8_EEEEZNS1_11reduce_implILb1ES3_PS9_SC_S9_NS6_11hip_rocprim9__find_if7functorIS9_EEEE10hipError_tPvRmT1_T2_T3_mT4_P12ihipStream_tbEUlT_E0_NS1_11comp_targetILNS1_3genE10ELNS1_11target_archE1201ELNS1_3gpuE5ELNS1_3repE0EEENS1_30default_config_static_selectorELNS0_4arch9wavefront6targetE1EEEvSK_
; %bb.0:
	.section	.rodata,"a",@progbits
	.p2align	6, 0x0
	.amdhsa_kernel _ZN7rocprim17ROCPRIM_400000_NS6detail17trampoline_kernelINS0_14default_configENS1_22reduce_config_selectorIN6thrust23THRUST_200600_302600_NS5tupleIblNS6_9null_typeES8_S8_S8_S8_S8_S8_S8_EEEEZNS1_11reduce_implILb1ES3_PS9_SC_S9_NS6_11hip_rocprim9__find_if7functorIS9_EEEE10hipError_tPvRmT1_T2_T3_mT4_P12ihipStream_tbEUlT_E0_NS1_11comp_targetILNS1_3genE10ELNS1_11target_archE1201ELNS1_3gpuE5ELNS1_3repE0EEENS1_30default_config_static_selectorELNS0_4arch9wavefront6targetE1EEEvSK_
		.amdhsa_group_segment_fixed_size 0
		.amdhsa_private_segment_fixed_size 0
		.amdhsa_kernarg_size 72
		.amdhsa_user_sgpr_count 2
		.amdhsa_user_sgpr_dispatch_ptr 0
		.amdhsa_user_sgpr_queue_ptr 0
		.amdhsa_user_sgpr_kernarg_segment_ptr 1
		.amdhsa_user_sgpr_dispatch_id 0
		.amdhsa_user_sgpr_kernarg_preload_length 0
		.amdhsa_user_sgpr_kernarg_preload_offset 0
		.amdhsa_user_sgpr_private_segment_size 0
		.amdhsa_uses_dynamic_stack 0
		.amdhsa_enable_private_segment 0
		.amdhsa_system_sgpr_workgroup_id_x 1
		.amdhsa_system_sgpr_workgroup_id_y 0
		.amdhsa_system_sgpr_workgroup_id_z 0
		.amdhsa_system_sgpr_workgroup_info 0
		.amdhsa_system_vgpr_workitem_id 0
		.amdhsa_next_free_vgpr 1
		.amdhsa_next_free_sgpr 0
		.amdhsa_accum_offset 4
		.amdhsa_reserve_vcc 0
		.amdhsa_float_round_mode_32 0
		.amdhsa_float_round_mode_16_64 0
		.amdhsa_float_denorm_mode_32 3
		.amdhsa_float_denorm_mode_16_64 3
		.amdhsa_dx10_clamp 1
		.amdhsa_ieee_mode 1
		.amdhsa_fp16_overflow 0
		.amdhsa_tg_split 0
		.amdhsa_exception_fp_ieee_invalid_op 0
		.amdhsa_exception_fp_denorm_src 0
		.amdhsa_exception_fp_ieee_div_zero 0
		.amdhsa_exception_fp_ieee_overflow 0
		.amdhsa_exception_fp_ieee_underflow 0
		.amdhsa_exception_fp_ieee_inexact 0
		.amdhsa_exception_int_div_zero 0
	.end_amdhsa_kernel
	.section	.text._ZN7rocprim17ROCPRIM_400000_NS6detail17trampoline_kernelINS0_14default_configENS1_22reduce_config_selectorIN6thrust23THRUST_200600_302600_NS5tupleIblNS6_9null_typeES8_S8_S8_S8_S8_S8_S8_EEEEZNS1_11reduce_implILb1ES3_PS9_SC_S9_NS6_11hip_rocprim9__find_if7functorIS9_EEEE10hipError_tPvRmT1_T2_T3_mT4_P12ihipStream_tbEUlT_E0_NS1_11comp_targetILNS1_3genE10ELNS1_11target_archE1201ELNS1_3gpuE5ELNS1_3repE0EEENS1_30default_config_static_selectorELNS0_4arch9wavefront6targetE1EEEvSK_,"axG",@progbits,_ZN7rocprim17ROCPRIM_400000_NS6detail17trampoline_kernelINS0_14default_configENS1_22reduce_config_selectorIN6thrust23THRUST_200600_302600_NS5tupleIblNS6_9null_typeES8_S8_S8_S8_S8_S8_S8_EEEEZNS1_11reduce_implILb1ES3_PS9_SC_S9_NS6_11hip_rocprim9__find_if7functorIS9_EEEE10hipError_tPvRmT1_T2_T3_mT4_P12ihipStream_tbEUlT_E0_NS1_11comp_targetILNS1_3genE10ELNS1_11target_archE1201ELNS1_3gpuE5ELNS1_3repE0EEENS1_30default_config_static_selectorELNS0_4arch9wavefront6targetE1EEEvSK_,comdat
.Lfunc_end53:
	.size	_ZN7rocprim17ROCPRIM_400000_NS6detail17trampoline_kernelINS0_14default_configENS1_22reduce_config_selectorIN6thrust23THRUST_200600_302600_NS5tupleIblNS6_9null_typeES8_S8_S8_S8_S8_S8_S8_EEEEZNS1_11reduce_implILb1ES3_PS9_SC_S9_NS6_11hip_rocprim9__find_if7functorIS9_EEEE10hipError_tPvRmT1_T2_T3_mT4_P12ihipStream_tbEUlT_E0_NS1_11comp_targetILNS1_3genE10ELNS1_11target_archE1201ELNS1_3gpuE5ELNS1_3repE0EEENS1_30default_config_static_selectorELNS0_4arch9wavefront6targetE1EEEvSK_, .Lfunc_end53-_ZN7rocprim17ROCPRIM_400000_NS6detail17trampoline_kernelINS0_14default_configENS1_22reduce_config_selectorIN6thrust23THRUST_200600_302600_NS5tupleIblNS6_9null_typeES8_S8_S8_S8_S8_S8_S8_EEEEZNS1_11reduce_implILb1ES3_PS9_SC_S9_NS6_11hip_rocprim9__find_if7functorIS9_EEEE10hipError_tPvRmT1_T2_T3_mT4_P12ihipStream_tbEUlT_E0_NS1_11comp_targetILNS1_3genE10ELNS1_11target_archE1201ELNS1_3gpuE5ELNS1_3repE0EEENS1_30default_config_static_selectorELNS0_4arch9wavefront6targetE1EEEvSK_
                                        ; -- End function
	.section	.AMDGPU.csdata,"",@progbits
; Kernel info:
; codeLenInByte = 0
; NumSgprs: 6
; NumVgprs: 0
; NumAgprs: 0
; TotalNumVgprs: 0
; ScratchSize: 0
; MemoryBound: 0
; FloatMode: 240
; IeeeMode: 1
; LDSByteSize: 0 bytes/workgroup (compile time only)
; SGPRBlocks: 0
; VGPRBlocks: 0
; NumSGPRsForWavesPerEU: 6
; NumVGPRsForWavesPerEU: 1
; AccumOffset: 4
; Occupancy: 8
; WaveLimiterHint : 0
; COMPUTE_PGM_RSRC2:SCRATCH_EN: 0
; COMPUTE_PGM_RSRC2:USER_SGPR: 2
; COMPUTE_PGM_RSRC2:TRAP_HANDLER: 0
; COMPUTE_PGM_RSRC2:TGID_X_EN: 1
; COMPUTE_PGM_RSRC2:TGID_Y_EN: 0
; COMPUTE_PGM_RSRC2:TGID_Z_EN: 0
; COMPUTE_PGM_RSRC2:TIDIG_COMP_CNT: 0
; COMPUTE_PGM_RSRC3_GFX90A:ACCUM_OFFSET: 0
; COMPUTE_PGM_RSRC3_GFX90A:TG_SPLIT: 0
	.section	.text._ZN7rocprim17ROCPRIM_400000_NS6detail17trampoline_kernelINS0_14default_configENS1_22reduce_config_selectorIN6thrust23THRUST_200600_302600_NS5tupleIblNS6_9null_typeES8_S8_S8_S8_S8_S8_S8_EEEEZNS1_11reduce_implILb1ES3_PS9_SC_S9_NS6_11hip_rocprim9__find_if7functorIS9_EEEE10hipError_tPvRmT1_T2_T3_mT4_P12ihipStream_tbEUlT_E0_NS1_11comp_targetILNS1_3genE10ELNS1_11target_archE1200ELNS1_3gpuE4ELNS1_3repE0EEENS1_30default_config_static_selectorELNS0_4arch9wavefront6targetE1EEEvSK_,"axG",@progbits,_ZN7rocprim17ROCPRIM_400000_NS6detail17trampoline_kernelINS0_14default_configENS1_22reduce_config_selectorIN6thrust23THRUST_200600_302600_NS5tupleIblNS6_9null_typeES8_S8_S8_S8_S8_S8_S8_EEEEZNS1_11reduce_implILb1ES3_PS9_SC_S9_NS6_11hip_rocprim9__find_if7functorIS9_EEEE10hipError_tPvRmT1_T2_T3_mT4_P12ihipStream_tbEUlT_E0_NS1_11comp_targetILNS1_3genE10ELNS1_11target_archE1200ELNS1_3gpuE4ELNS1_3repE0EEENS1_30default_config_static_selectorELNS0_4arch9wavefront6targetE1EEEvSK_,comdat
	.protected	_ZN7rocprim17ROCPRIM_400000_NS6detail17trampoline_kernelINS0_14default_configENS1_22reduce_config_selectorIN6thrust23THRUST_200600_302600_NS5tupleIblNS6_9null_typeES8_S8_S8_S8_S8_S8_S8_EEEEZNS1_11reduce_implILb1ES3_PS9_SC_S9_NS6_11hip_rocprim9__find_if7functorIS9_EEEE10hipError_tPvRmT1_T2_T3_mT4_P12ihipStream_tbEUlT_E0_NS1_11comp_targetILNS1_3genE10ELNS1_11target_archE1200ELNS1_3gpuE4ELNS1_3repE0EEENS1_30default_config_static_selectorELNS0_4arch9wavefront6targetE1EEEvSK_ ; -- Begin function _ZN7rocprim17ROCPRIM_400000_NS6detail17trampoline_kernelINS0_14default_configENS1_22reduce_config_selectorIN6thrust23THRUST_200600_302600_NS5tupleIblNS6_9null_typeES8_S8_S8_S8_S8_S8_S8_EEEEZNS1_11reduce_implILb1ES3_PS9_SC_S9_NS6_11hip_rocprim9__find_if7functorIS9_EEEE10hipError_tPvRmT1_T2_T3_mT4_P12ihipStream_tbEUlT_E0_NS1_11comp_targetILNS1_3genE10ELNS1_11target_archE1200ELNS1_3gpuE4ELNS1_3repE0EEENS1_30default_config_static_selectorELNS0_4arch9wavefront6targetE1EEEvSK_
	.globl	_ZN7rocprim17ROCPRIM_400000_NS6detail17trampoline_kernelINS0_14default_configENS1_22reduce_config_selectorIN6thrust23THRUST_200600_302600_NS5tupleIblNS6_9null_typeES8_S8_S8_S8_S8_S8_S8_EEEEZNS1_11reduce_implILb1ES3_PS9_SC_S9_NS6_11hip_rocprim9__find_if7functorIS9_EEEE10hipError_tPvRmT1_T2_T3_mT4_P12ihipStream_tbEUlT_E0_NS1_11comp_targetILNS1_3genE10ELNS1_11target_archE1200ELNS1_3gpuE4ELNS1_3repE0EEENS1_30default_config_static_selectorELNS0_4arch9wavefront6targetE1EEEvSK_
	.p2align	8
	.type	_ZN7rocprim17ROCPRIM_400000_NS6detail17trampoline_kernelINS0_14default_configENS1_22reduce_config_selectorIN6thrust23THRUST_200600_302600_NS5tupleIblNS6_9null_typeES8_S8_S8_S8_S8_S8_S8_EEEEZNS1_11reduce_implILb1ES3_PS9_SC_S9_NS6_11hip_rocprim9__find_if7functorIS9_EEEE10hipError_tPvRmT1_T2_T3_mT4_P12ihipStream_tbEUlT_E0_NS1_11comp_targetILNS1_3genE10ELNS1_11target_archE1200ELNS1_3gpuE4ELNS1_3repE0EEENS1_30default_config_static_selectorELNS0_4arch9wavefront6targetE1EEEvSK_,@function
_ZN7rocprim17ROCPRIM_400000_NS6detail17trampoline_kernelINS0_14default_configENS1_22reduce_config_selectorIN6thrust23THRUST_200600_302600_NS5tupleIblNS6_9null_typeES8_S8_S8_S8_S8_S8_S8_EEEEZNS1_11reduce_implILb1ES3_PS9_SC_S9_NS6_11hip_rocprim9__find_if7functorIS9_EEEE10hipError_tPvRmT1_T2_T3_mT4_P12ihipStream_tbEUlT_E0_NS1_11comp_targetILNS1_3genE10ELNS1_11target_archE1200ELNS1_3gpuE4ELNS1_3repE0EEENS1_30default_config_static_selectorELNS0_4arch9wavefront6targetE1EEEvSK_: ; @_ZN7rocprim17ROCPRIM_400000_NS6detail17trampoline_kernelINS0_14default_configENS1_22reduce_config_selectorIN6thrust23THRUST_200600_302600_NS5tupleIblNS6_9null_typeES8_S8_S8_S8_S8_S8_S8_EEEEZNS1_11reduce_implILb1ES3_PS9_SC_S9_NS6_11hip_rocprim9__find_if7functorIS9_EEEE10hipError_tPvRmT1_T2_T3_mT4_P12ihipStream_tbEUlT_E0_NS1_11comp_targetILNS1_3genE10ELNS1_11target_archE1200ELNS1_3gpuE4ELNS1_3repE0EEENS1_30default_config_static_selectorELNS0_4arch9wavefront6targetE1EEEvSK_
; %bb.0:
	.section	.rodata,"a",@progbits
	.p2align	6, 0x0
	.amdhsa_kernel _ZN7rocprim17ROCPRIM_400000_NS6detail17trampoline_kernelINS0_14default_configENS1_22reduce_config_selectorIN6thrust23THRUST_200600_302600_NS5tupleIblNS6_9null_typeES8_S8_S8_S8_S8_S8_S8_EEEEZNS1_11reduce_implILb1ES3_PS9_SC_S9_NS6_11hip_rocprim9__find_if7functorIS9_EEEE10hipError_tPvRmT1_T2_T3_mT4_P12ihipStream_tbEUlT_E0_NS1_11comp_targetILNS1_3genE10ELNS1_11target_archE1200ELNS1_3gpuE4ELNS1_3repE0EEENS1_30default_config_static_selectorELNS0_4arch9wavefront6targetE1EEEvSK_
		.amdhsa_group_segment_fixed_size 0
		.amdhsa_private_segment_fixed_size 0
		.amdhsa_kernarg_size 72
		.amdhsa_user_sgpr_count 2
		.amdhsa_user_sgpr_dispatch_ptr 0
		.amdhsa_user_sgpr_queue_ptr 0
		.amdhsa_user_sgpr_kernarg_segment_ptr 1
		.amdhsa_user_sgpr_dispatch_id 0
		.amdhsa_user_sgpr_kernarg_preload_length 0
		.amdhsa_user_sgpr_kernarg_preload_offset 0
		.amdhsa_user_sgpr_private_segment_size 0
		.amdhsa_uses_dynamic_stack 0
		.amdhsa_enable_private_segment 0
		.amdhsa_system_sgpr_workgroup_id_x 1
		.amdhsa_system_sgpr_workgroup_id_y 0
		.amdhsa_system_sgpr_workgroup_id_z 0
		.amdhsa_system_sgpr_workgroup_info 0
		.amdhsa_system_vgpr_workitem_id 0
		.amdhsa_next_free_vgpr 1
		.amdhsa_next_free_sgpr 0
		.amdhsa_accum_offset 4
		.amdhsa_reserve_vcc 0
		.amdhsa_float_round_mode_32 0
		.amdhsa_float_round_mode_16_64 0
		.amdhsa_float_denorm_mode_32 3
		.amdhsa_float_denorm_mode_16_64 3
		.amdhsa_dx10_clamp 1
		.amdhsa_ieee_mode 1
		.amdhsa_fp16_overflow 0
		.amdhsa_tg_split 0
		.amdhsa_exception_fp_ieee_invalid_op 0
		.amdhsa_exception_fp_denorm_src 0
		.amdhsa_exception_fp_ieee_div_zero 0
		.amdhsa_exception_fp_ieee_overflow 0
		.amdhsa_exception_fp_ieee_underflow 0
		.amdhsa_exception_fp_ieee_inexact 0
		.amdhsa_exception_int_div_zero 0
	.end_amdhsa_kernel
	.section	.text._ZN7rocprim17ROCPRIM_400000_NS6detail17trampoline_kernelINS0_14default_configENS1_22reduce_config_selectorIN6thrust23THRUST_200600_302600_NS5tupleIblNS6_9null_typeES8_S8_S8_S8_S8_S8_S8_EEEEZNS1_11reduce_implILb1ES3_PS9_SC_S9_NS6_11hip_rocprim9__find_if7functorIS9_EEEE10hipError_tPvRmT1_T2_T3_mT4_P12ihipStream_tbEUlT_E0_NS1_11comp_targetILNS1_3genE10ELNS1_11target_archE1200ELNS1_3gpuE4ELNS1_3repE0EEENS1_30default_config_static_selectorELNS0_4arch9wavefront6targetE1EEEvSK_,"axG",@progbits,_ZN7rocprim17ROCPRIM_400000_NS6detail17trampoline_kernelINS0_14default_configENS1_22reduce_config_selectorIN6thrust23THRUST_200600_302600_NS5tupleIblNS6_9null_typeES8_S8_S8_S8_S8_S8_S8_EEEEZNS1_11reduce_implILb1ES3_PS9_SC_S9_NS6_11hip_rocprim9__find_if7functorIS9_EEEE10hipError_tPvRmT1_T2_T3_mT4_P12ihipStream_tbEUlT_E0_NS1_11comp_targetILNS1_3genE10ELNS1_11target_archE1200ELNS1_3gpuE4ELNS1_3repE0EEENS1_30default_config_static_selectorELNS0_4arch9wavefront6targetE1EEEvSK_,comdat
.Lfunc_end54:
	.size	_ZN7rocprim17ROCPRIM_400000_NS6detail17trampoline_kernelINS0_14default_configENS1_22reduce_config_selectorIN6thrust23THRUST_200600_302600_NS5tupleIblNS6_9null_typeES8_S8_S8_S8_S8_S8_S8_EEEEZNS1_11reduce_implILb1ES3_PS9_SC_S9_NS6_11hip_rocprim9__find_if7functorIS9_EEEE10hipError_tPvRmT1_T2_T3_mT4_P12ihipStream_tbEUlT_E0_NS1_11comp_targetILNS1_3genE10ELNS1_11target_archE1200ELNS1_3gpuE4ELNS1_3repE0EEENS1_30default_config_static_selectorELNS0_4arch9wavefront6targetE1EEEvSK_, .Lfunc_end54-_ZN7rocprim17ROCPRIM_400000_NS6detail17trampoline_kernelINS0_14default_configENS1_22reduce_config_selectorIN6thrust23THRUST_200600_302600_NS5tupleIblNS6_9null_typeES8_S8_S8_S8_S8_S8_S8_EEEEZNS1_11reduce_implILb1ES3_PS9_SC_S9_NS6_11hip_rocprim9__find_if7functorIS9_EEEE10hipError_tPvRmT1_T2_T3_mT4_P12ihipStream_tbEUlT_E0_NS1_11comp_targetILNS1_3genE10ELNS1_11target_archE1200ELNS1_3gpuE4ELNS1_3repE0EEENS1_30default_config_static_selectorELNS0_4arch9wavefront6targetE1EEEvSK_
                                        ; -- End function
	.section	.AMDGPU.csdata,"",@progbits
; Kernel info:
; codeLenInByte = 0
; NumSgprs: 6
; NumVgprs: 0
; NumAgprs: 0
; TotalNumVgprs: 0
; ScratchSize: 0
; MemoryBound: 0
; FloatMode: 240
; IeeeMode: 1
; LDSByteSize: 0 bytes/workgroup (compile time only)
; SGPRBlocks: 0
; VGPRBlocks: 0
; NumSGPRsForWavesPerEU: 6
; NumVGPRsForWavesPerEU: 1
; AccumOffset: 4
; Occupancy: 8
; WaveLimiterHint : 0
; COMPUTE_PGM_RSRC2:SCRATCH_EN: 0
; COMPUTE_PGM_RSRC2:USER_SGPR: 2
; COMPUTE_PGM_RSRC2:TRAP_HANDLER: 0
; COMPUTE_PGM_RSRC2:TGID_X_EN: 1
; COMPUTE_PGM_RSRC2:TGID_Y_EN: 0
; COMPUTE_PGM_RSRC2:TGID_Z_EN: 0
; COMPUTE_PGM_RSRC2:TIDIG_COMP_CNT: 0
; COMPUTE_PGM_RSRC3_GFX90A:ACCUM_OFFSET: 0
; COMPUTE_PGM_RSRC3_GFX90A:TG_SPLIT: 0
	.section	.text._ZN7rocprim17ROCPRIM_400000_NS6detail17trampoline_kernelINS0_14default_configENS1_22reduce_config_selectorIN6thrust23THRUST_200600_302600_NS5tupleIblNS6_9null_typeES8_S8_S8_S8_S8_S8_S8_EEEEZNS1_11reduce_implILb1ES3_PS9_SC_S9_NS6_11hip_rocprim9__find_if7functorIS9_EEEE10hipError_tPvRmT1_T2_T3_mT4_P12ihipStream_tbEUlT_E0_NS1_11comp_targetILNS1_3genE9ELNS1_11target_archE1100ELNS1_3gpuE3ELNS1_3repE0EEENS1_30default_config_static_selectorELNS0_4arch9wavefront6targetE1EEEvSK_,"axG",@progbits,_ZN7rocprim17ROCPRIM_400000_NS6detail17trampoline_kernelINS0_14default_configENS1_22reduce_config_selectorIN6thrust23THRUST_200600_302600_NS5tupleIblNS6_9null_typeES8_S8_S8_S8_S8_S8_S8_EEEEZNS1_11reduce_implILb1ES3_PS9_SC_S9_NS6_11hip_rocprim9__find_if7functorIS9_EEEE10hipError_tPvRmT1_T2_T3_mT4_P12ihipStream_tbEUlT_E0_NS1_11comp_targetILNS1_3genE9ELNS1_11target_archE1100ELNS1_3gpuE3ELNS1_3repE0EEENS1_30default_config_static_selectorELNS0_4arch9wavefront6targetE1EEEvSK_,comdat
	.protected	_ZN7rocprim17ROCPRIM_400000_NS6detail17trampoline_kernelINS0_14default_configENS1_22reduce_config_selectorIN6thrust23THRUST_200600_302600_NS5tupleIblNS6_9null_typeES8_S8_S8_S8_S8_S8_S8_EEEEZNS1_11reduce_implILb1ES3_PS9_SC_S9_NS6_11hip_rocprim9__find_if7functorIS9_EEEE10hipError_tPvRmT1_T2_T3_mT4_P12ihipStream_tbEUlT_E0_NS1_11comp_targetILNS1_3genE9ELNS1_11target_archE1100ELNS1_3gpuE3ELNS1_3repE0EEENS1_30default_config_static_selectorELNS0_4arch9wavefront6targetE1EEEvSK_ ; -- Begin function _ZN7rocprim17ROCPRIM_400000_NS6detail17trampoline_kernelINS0_14default_configENS1_22reduce_config_selectorIN6thrust23THRUST_200600_302600_NS5tupleIblNS6_9null_typeES8_S8_S8_S8_S8_S8_S8_EEEEZNS1_11reduce_implILb1ES3_PS9_SC_S9_NS6_11hip_rocprim9__find_if7functorIS9_EEEE10hipError_tPvRmT1_T2_T3_mT4_P12ihipStream_tbEUlT_E0_NS1_11comp_targetILNS1_3genE9ELNS1_11target_archE1100ELNS1_3gpuE3ELNS1_3repE0EEENS1_30default_config_static_selectorELNS0_4arch9wavefront6targetE1EEEvSK_
	.globl	_ZN7rocprim17ROCPRIM_400000_NS6detail17trampoline_kernelINS0_14default_configENS1_22reduce_config_selectorIN6thrust23THRUST_200600_302600_NS5tupleIblNS6_9null_typeES8_S8_S8_S8_S8_S8_S8_EEEEZNS1_11reduce_implILb1ES3_PS9_SC_S9_NS6_11hip_rocprim9__find_if7functorIS9_EEEE10hipError_tPvRmT1_T2_T3_mT4_P12ihipStream_tbEUlT_E0_NS1_11comp_targetILNS1_3genE9ELNS1_11target_archE1100ELNS1_3gpuE3ELNS1_3repE0EEENS1_30default_config_static_selectorELNS0_4arch9wavefront6targetE1EEEvSK_
	.p2align	8
	.type	_ZN7rocprim17ROCPRIM_400000_NS6detail17trampoline_kernelINS0_14default_configENS1_22reduce_config_selectorIN6thrust23THRUST_200600_302600_NS5tupleIblNS6_9null_typeES8_S8_S8_S8_S8_S8_S8_EEEEZNS1_11reduce_implILb1ES3_PS9_SC_S9_NS6_11hip_rocprim9__find_if7functorIS9_EEEE10hipError_tPvRmT1_T2_T3_mT4_P12ihipStream_tbEUlT_E0_NS1_11comp_targetILNS1_3genE9ELNS1_11target_archE1100ELNS1_3gpuE3ELNS1_3repE0EEENS1_30default_config_static_selectorELNS0_4arch9wavefront6targetE1EEEvSK_,@function
_ZN7rocprim17ROCPRIM_400000_NS6detail17trampoline_kernelINS0_14default_configENS1_22reduce_config_selectorIN6thrust23THRUST_200600_302600_NS5tupleIblNS6_9null_typeES8_S8_S8_S8_S8_S8_S8_EEEEZNS1_11reduce_implILb1ES3_PS9_SC_S9_NS6_11hip_rocprim9__find_if7functorIS9_EEEE10hipError_tPvRmT1_T2_T3_mT4_P12ihipStream_tbEUlT_E0_NS1_11comp_targetILNS1_3genE9ELNS1_11target_archE1100ELNS1_3gpuE3ELNS1_3repE0EEENS1_30default_config_static_selectorELNS0_4arch9wavefront6targetE1EEEvSK_: ; @_ZN7rocprim17ROCPRIM_400000_NS6detail17trampoline_kernelINS0_14default_configENS1_22reduce_config_selectorIN6thrust23THRUST_200600_302600_NS5tupleIblNS6_9null_typeES8_S8_S8_S8_S8_S8_S8_EEEEZNS1_11reduce_implILb1ES3_PS9_SC_S9_NS6_11hip_rocprim9__find_if7functorIS9_EEEE10hipError_tPvRmT1_T2_T3_mT4_P12ihipStream_tbEUlT_E0_NS1_11comp_targetILNS1_3genE9ELNS1_11target_archE1100ELNS1_3gpuE3ELNS1_3repE0EEENS1_30default_config_static_selectorELNS0_4arch9wavefront6targetE1EEEvSK_
; %bb.0:
	.section	.rodata,"a",@progbits
	.p2align	6, 0x0
	.amdhsa_kernel _ZN7rocprim17ROCPRIM_400000_NS6detail17trampoline_kernelINS0_14default_configENS1_22reduce_config_selectorIN6thrust23THRUST_200600_302600_NS5tupleIblNS6_9null_typeES8_S8_S8_S8_S8_S8_S8_EEEEZNS1_11reduce_implILb1ES3_PS9_SC_S9_NS6_11hip_rocprim9__find_if7functorIS9_EEEE10hipError_tPvRmT1_T2_T3_mT4_P12ihipStream_tbEUlT_E0_NS1_11comp_targetILNS1_3genE9ELNS1_11target_archE1100ELNS1_3gpuE3ELNS1_3repE0EEENS1_30default_config_static_selectorELNS0_4arch9wavefront6targetE1EEEvSK_
		.amdhsa_group_segment_fixed_size 0
		.amdhsa_private_segment_fixed_size 0
		.amdhsa_kernarg_size 72
		.amdhsa_user_sgpr_count 2
		.amdhsa_user_sgpr_dispatch_ptr 0
		.amdhsa_user_sgpr_queue_ptr 0
		.amdhsa_user_sgpr_kernarg_segment_ptr 1
		.amdhsa_user_sgpr_dispatch_id 0
		.amdhsa_user_sgpr_kernarg_preload_length 0
		.amdhsa_user_sgpr_kernarg_preload_offset 0
		.amdhsa_user_sgpr_private_segment_size 0
		.amdhsa_uses_dynamic_stack 0
		.amdhsa_enable_private_segment 0
		.amdhsa_system_sgpr_workgroup_id_x 1
		.amdhsa_system_sgpr_workgroup_id_y 0
		.amdhsa_system_sgpr_workgroup_id_z 0
		.amdhsa_system_sgpr_workgroup_info 0
		.amdhsa_system_vgpr_workitem_id 0
		.amdhsa_next_free_vgpr 1
		.amdhsa_next_free_sgpr 0
		.amdhsa_accum_offset 4
		.amdhsa_reserve_vcc 0
		.amdhsa_float_round_mode_32 0
		.amdhsa_float_round_mode_16_64 0
		.amdhsa_float_denorm_mode_32 3
		.amdhsa_float_denorm_mode_16_64 3
		.amdhsa_dx10_clamp 1
		.amdhsa_ieee_mode 1
		.amdhsa_fp16_overflow 0
		.amdhsa_tg_split 0
		.amdhsa_exception_fp_ieee_invalid_op 0
		.amdhsa_exception_fp_denorm_src 0
		.amdhsa_exception_fp_ieee_div_zero 0
		.amdhsa_exception_fp_ieee_overflow 0
		.amdhsa_exception_fp_ieee_underflow 0
		.amdhsa_exception_fp_ieee_inexact 0
		.amdhsa_exception_int_div_zero 0
	.end_amdhsa_kernel
	.section	.text._ZN7rocprim17ROCPRIM_400000_NS6detail17trampoline_kernelINS0_14default_configENS1_22reduce_config_selectorIN6thrust23THRUST_200600_302600_NS5tupleIblNS6_9null_typeES8_S8_S8_S8_S8_S8_S8_EEEEZNS1_11reduce_implILb1ES3_PS9_SC_S9_NS6_11hip_rocprim9__find_if7functorIS9_EEEE10hipError_tPvRmT1_T2_T3_mT4_P12ihipStream_tbEUlT_E0_NS1_11comp_targetILNS1_3genE9ELNS1_11target_archE1100ELNS1_3gpuE3ELNS1_3repE0EEENS1_30default_config_static_selectorELNS0_4arch9wavefront6targetE1EEEvSK_,"axG",@progbits,_ZN7rocprim17ROCPRIM_400000_NS6detail17trampoline_kernelINS0_14default_configENS1_22reduce_config_selectorIN6thrust23THRUST_200600_302600_NS5tupleIblNS6_9null_typeES8_S8_S8_S8_S8_S8_S8_EEEEZNS1_11reduce_implILb1ES3_PS9_SC_S9_NS6_11hip_rocprim9__find_if7functorIS9_EEEE10hipError_tPvRmT1_T2_T3_mT4_P12ihipStream_tbEUlT_E0_NS1_11comp_targetILNS1_3genE9ELNS1_11target_archE1100ELNS1_3gpuE3ELNS1_3repE0EEENS1_30default_config_static_selectorELNS0_4arch9wavefront6targetE1EEEvSK_,comdat
.Lfunc_end55:
	.size	_ZN7rocprim17ROCPRIM_400000_NS6detail17trampoline_kernelINS0_14default_configENS1_22reduce_config_selectorIN6thrust23THRUST_200600_302600_NS5tupleIblNS6_9null_typeES8_S8_S8_S8_S8_S8_S8_EEEEZNS1_11reduce_implILb1ES3_PS9_SC_S9_NS6_11hip_rocprim9__find_if7functorIS9_EEEE10hipError_tPvRmT1_T2_T3_mT4_P12ihipStream_tbEUlT_E0_NS1_11comp_targetILNS1_3genE9ELNS1_11target_archE1100ELNS1_3gpuE3ELNS1_3repE0EEENS1_30default_config_static_selectorELNS0_4arch9wavefront6targetE1EEEvSK_, .Lfunc_end55-_ZN7rocprim17ROCPRIM_400000_NS6detail17trampoline_kernelINS0_14default_configENS1_22reduce_config_selectorIN6thrust23THRUST_200600_302600_NS5tupleIblNS6_9null_typeES8_S8_S8_S8_S8_S8_S8_EEEEZNS1_11reduce_implILb1ES3_PS9_SC_S9_NS6_11hip_rocprim9__find_if7functorIS9_EEEE10hipError_tPvRmT1_T2_T3_mT4_P12ihipStream_tbEUlT_E0_NS1_11comp_targetILNS1_3genE9ELNS1_11target_archE1100ELNS1_3gpuE3ELNS1_3repE0EEENS1_30default_config_static_selectorELNS0_4arch9wavefront6targetE1EEEvSK_
                                        ; -- End function
	.section	.AMDGPU.csdata,"",@progbits
; Kernel info:
; codeLenInByte = 0
; NumSgprs: 6
; NumVgprs: 0
; NumAgprs: 0
; TotalNumVgprs: 0
; ScratchSize: 0
; MemoryBound: 0
; FloatMode: 240
; IeeeMode: 1
; LDSByteSize: 0 bytes/workgroup (compile time only)
; SGPRBlocks: 0
; VGPRBlocks: 0
; NumSGPRsForWavesPerEU: 6
; NumVGPRsForWavesPerEU: 1
; AccumOffset: 4
; Occupancy: 8
; WaveLimiterHint : 0
; COMPUTE_PGM_RSRC2:SCRATCH_EN: 0
; COMPUTE_PGM_RSRC2:USER_SGPR: 2
; COMPUTE_PGM_RSRC2:TRAP_HANDLER: 0
; COMPUTE_PGM_RSRC2:TGID_X_EN: 1
; COMPUTE_PGM_RSRC2:TGID_Y_EN: 0
; COMPUTE_PGM_RSRC2:TGID_Z_EN: 0
; COMPUTE_PGM_RSRC2:TIDIG_COMP_CNT: 0
; COMPUTE_PGM_RSRC3_GFX90A:ACCUM_OFFSET: 0
; COMPUTE_PGM_RSRC3_GFX90A:TG_SPLIT: 0
	.section	.text._ZN7rocprim17ROCPRIM_400000_NS6detail17trampoline_kernelINS0_14default_configENS1_22reduce_config_selectorIN6thrust23THRUST_200600_302600_NS5tupleIblNS6_9null_typeES8_S8_S8_S8_S8_S8_S8_EEEEZNS1_11reduce_implILb1ES3_PS9_SC_S9_NS6_11hip_rocprim9__find_if7functorIS9_EEEE10hipError_tPvRmT1_T2_T3_mT4_P12ihipStream_tbEUlT_E0_NS1_11comp_targetILNS1_3genE8ELNS1_11target_archE1030ELNS1_3gpuE2ELNS1_3repE0EEENS1_30default_config_static_selectorELNS0_4arch9wavefront6targetE1EEEvSK_,"axG",@progbits,_ZN7rocprim17ROCPRIM_400000_NS6detail17trampoline_kernelINS0_14default_configENS1_22reduce_config_selectorIN6thrust23THRUST_200600_302600_NS5tupleIblNS6_9null_typeES8_S8_S8_S8_S8_S8_S8_EEEEZNS1_11reduce_implILb1ES3_PS9_SC_S9_NS6_11hip_rocprim9__find_if7functorIS9_EEEE10hipError_tPvRmT1_T2_T3_mT4_P12ihipStream_tbEUlT_E0_NS1_11comp_targetILNS1_3genE8ELNS1_11target_archE1030ELNS1_3gpuE2ELNS1_3repE0EEENS1_30default_config_static_selectorELNS0_4arch9wavefront6targetE1EEEvSK_,comdat
	.protected	_ZN7rocprim17ROCPRIM_400000_NS6detail17trampoline_kernelINS0_14default_configENS1_22reduce_config_selectorIN6thrust23THRUST_200600_302600_NS5tupleIblNS6_9null_typeES8_S8_S8_S8_S8_S8_S8_EEEEZNS1_11reduce_implILb1ES3_PS9_SC_S9_NS6_11hip_rocprim9__find_if7functorIS9_EEEE10hipError_tPvRmT1_T2_T3_mT4_P12ihipStream_tbEUlT_E0_NS1_11comp_targetILNS1_3genE8ELNS1_11target_archE1030ELNS1_3gpuE2ELNS1_3repE0EEENS1_30default_config_static_selectorELNS0_4arch9wavefront6targetE1EEEvSK_ ; -- Begin function _ZN7rocprim17ROCPRIM_400000_NS6detail17trampoline_kernelINS0_14default_configENS1_22reduce_config_selectorIN6thrust23THRUST_200600_302600_NS5tupleIblNS6_9null_typeES8_S8_S8_S8_S8_S8_S8_EEEEZNS1_11reduce_implILb1ES3_PS9_SC_S9_NS6_11hip_rocprim9__find_if7functorIS9_EEEE10hipError_tPvRmT1_T2_T3_mT4_P12ihipStream_tbEUlT_E0_NS1_11comp_targetILNS1_3genE8ELNS1_11target_archE1030ELNS1_3gpuE2ELNS1_3repE0EEENS1_30default_config_static_selectorELNS0_4arch9wavefront6targetE1EEEvSK_
	.globl	_ZN7rocprim17ROCPRIM_400000_NS6detail17trampoline_kernelINS0_14default_configENS1_22reduce_config_selectorIN6thrust23THRUST_200600_302600_NS5tupleIblNS6_9null_typeES8_S8_S8_S8_S8_S8_S8_EEEEZNS1_11reduce_implILb1ES3_PS9_SC_S9_NS6_11hip_rocprim9__find_if7functorIS9_EEEE10hipError_tPvRmT1_T2_T3_mT4_P12ihipStream_tbEUlT_E0_NS1_11comp_targetILNS1_3genE8ELNS1_11target_archE1030ELNS1_3gpuE2ELNS1_3repE0EEENS1_30default_config_static_selectorELNS0_4arch9wavefront6targetE1EEEvSK_
	.p2align	8
	.type	_ZN7rocprim17ROCPRIM_400000_NS6detail17trampoline_kernelINS0_14default_configENS1_22reduce_config_selectorIN6thrust23THRUST_200600_302600_NS5tupleIblNS6_9null_typeES8_S8_S8_S8_S8_S8_S8_EEEEZNS1_11reduce_implILb1ES3_PS9_SC_S9_NS6_11hip_rocprim9__find_if7functorIS9_EEEE10hipError_tPvRmT1_T2_T3_mT4_P12ihipStream_tbEUlT_E0_NS1_11comp_targetILNS1_3genE8ELNS1_11target_archE1030ELNS1_3gpuE2ELNS1_3repE0EEENS1_30default_config_static_selectorELNS0_4arch9wavefront6targetE1EEEvSK_,@function
_ZN7rocprim17ROCPRIM_400000_NS6detail17trampoline_kernelINS0_14default_configENS1_22reduce_config_selectorIN6thrust23THRUST_200600_302600_NS5tupleIblNS6_9null_typeES8_S8_S8_S8_S8_S8_S8_EEEEZNS1_11reduce_implILb1ES3_PS9_SC_S9_NS6_11hip_rocprim9__find_if7functorIS9_EEEE10hipError_tPvRmT1_T2_T3_mT4_P12ihipStream_tbEUlT_E0_NS1_11comp_targetILNS1_3genE8ELNS1_11target_archE1030ELNS1_3gpuE2ELNS1_3repE0EEENS1_30default_config_static_selectorELNS0_4arch9wavefront6targetE1EEEvSK_: ; @_ZN7rocprim17ROCPRIM_400000_NS6detail17trampoline_kernelINS0_14default_configENS1_22reduce_config_selectorIN6thrust23THRUST_200600_302600_NS5tupleIblNS6_9null_typeES8_S8_S8_S8_S8_S8_S8_EEEEZNS1_11reduce_implILb1ES3_PS9_SC_S9_NS6_11hip_rocprim9__find_if7functorIS9_EEEE10hipError_tPvRmT1_T2_T3_mT4_P12ihipStream_tbEUlT_E0_NS1_11comp_targetILNS1_3genE8ELNS1_11target_archE1030ELNS1_3gpuE2ELNS1_3repE0EEENS1_30default_config_static_selectorELNS0_4arch9wavefront6targetE1EEEvSK_
; %bb.0:
	.section	.rodata,"a",@progbits
	.p2align	6, 0x0
	.amdhsa_kernel _ZN7rocprim17ROCPRIM_400000_NS6detail17trampoline_kernelINS0_14default_configENS1_22reduce_config_selectorIN6thrust23THRUST_200600_302600_NS5tupleIblNS6_9null_typeES8_S8_S8_S8_S8_S8_S8_EEEEZNS1_11reduce_implILb1ES3_PS9_SC_S9_NS6_11hip_rocprim9__find_if7functorIS9_EEEE10hipError_tPvRmT1_T2_T3_mT4_P12ihipStream_tbEUlT_E0_NS1_11comp_targetILNS1_3genE8ELNS1_11target_archE1030ELNS1_3gpuE2ELNS1_3repE0EEENS1_30default_config_static_selectorELNS0_4arch9wavefront6targetE1EEEvSK_
		.amdhsa_group_segment_fixed_size 0
		.amdhsa_private_segment_fixed_size 0
		.amdhsa_kernarg_size 72
		.amdhsa_user_sgpr_count 2
		.amdhsa_user_sgpr_dispatch_ptr 0
		.amdhsa_user_sgpr_queue_ptr 0
		.amdhsa_user_sgpr_kernarg_segment_ptr 1
		.amdhsa_user_sgpr_dispatch_id 0
		.amdhsa_user_sgpr_kernarg_preload_length 0
		.amdhsa_user_sgpr_kernarg_preload_offset 0
		.amdhsa_user_sgpr_private_segment_size 0
		.amdhsa_uses_dynamic_stack 0
		.amdhsa_enable_private_segment 0
		.amdhsa_system_sgpr_workgroup_id_x 1
		.amdhsa_system_sgpr_workgroup_id_y 0
		.amdhsa_system_sgpr_workgroup_id_z 0
		.amdhsa_system_sgpr_workgroup_info 0
		.amdhsa_system_vgpr_workitem_id 0
		.amdhsa_next_free_vgpr 1
		.amdhsa_next_free_sgpr 0
		.amdhsa_accum_offset 4
		.amdhsa_reserve_vcc 0
		.amdhsa_float_round_mode_32 0
		.amdhsa_float_round_mode_16_64 0
		.amdhsa_float_denorm_mode_32 3
		.amdhsa_float_denorm_mode_16_64 3
		.amdhsa_dx10_clamp 1
		.amdhsa_ieee_mode 1
		.amdhsa_fp16_overflow 0
		.amdhsa_tg_split 0
		.amdhsa_exception_fp_ieee_invalid_op 0
		.amdhsa_exception_fp_denorm_src 0
		.amdhsa_exception_fp_ieee_div_zero 0
		.amdhsa_exception_fp_ieee_overflow 0
		.amdhsa_exception_fp_ieee_underflow 0
		.amdhsa_exception_fp_ieee_inexact 0
		.amdhsa_exception_int_div_zero 0
	.end_amdhsa_kernel
	.section	.text._ZN7rocprim17ROCPRIM_400000_NS6detail17trampoline_kernelINS0_14default_configENS1_22reduce_config_selectorIN6thrust23THRUST_200600_302600_NS5tupleIblNS6_9null_typeES8_S8_S8_S8_S8_S8_S8_EEEEZNS1_11reduce_implILb1ES3_PS9_SC_S9_NS6_11hip_rocprim9__find_if7functorIS9_EEEE10hipError_tPvRmT1_T2_T3_mT4_P12ihipStream_tbEUlT_E0_NS1_11comp_targetILNS1_3genE8ELNS1_11target_archE1030ELNS1_3gpuE2ELNS1_3repE0EEENS1_30default_config_static_selectorELNS0_4arch9wavefront6targetE1EEEvSK_,"axG",@progbits,_ZN7rocprim17ROCPRIM_400000_NS6detail17trampoline_kernelINS0_14default_configENS1_22reduce_config_selectorIN6thrust23THRUST_200600_302600_NS5tupleIblNS6_9null_typeES8_S8_S8_S8_S8_S8_S8_EEEEZNS1_11reduce_implILb1ES3_PS9_SC_S9_NS6_11hip_rocprim9__find_if7functorIS9_EEEE10hipError_tPvRmT1_T2_T3_mT4_P12ihipStream_tbEUlT_E0_NS1_11comp_targetILNS1_3genE8ELNS1_11target_archE1030ELNS1_3gpuE2ELNS1_3repE0EEENS1_30default_config_static_selectorELNS0_4arch9wavefront6targetE1EEEvSK_,comdat
.Lfunc_end56:
	.size	_ZN7rocprim17ROCPRIM_400000_NS6detail17trampoline_kernelINS0_14default_configENS1_22reduce_config_selectorIN6thrust23THRUST_200600_302600_NS5tupleIblNS6_9null_typeES8_S8_S8_S8_S8_S8_S8_EEEEZNS1_11reduce_implILb1ES3_PS9_SC_S9_NS6_11hip_rocprim9__find_if7functorIS9_EEEE10hipError_tPvRmT1_T2_T3_mT4_P12ihipStream_tbEUlT_E0_NS1_11comp_targetILNS1_3genE8ELNS1_11target_archE1030ELNS1_3gpuE2ELNS1_3repE0EEENS1_30default_config_static_selectorELNS0_4arch9wavefront6targetE1EEEvSK_, .Lfunc_end56-_ZN7rocprim17ROCPRIM_400000_NS6detail17trampoline_kernelINS0_14default_configENS1_22reduce_config_selectorIN6thrust23THRUST_200600_302600_NS5tupleIblNS6_9null_typeES8_S8_S8_S8_S8_S8_S8_EEEEZNS1_11reduce_implILb1ES3_PS9_SC_S9_NS6_11hip_rocprim9__find_if7functorIS9_EEEE10hipError_tPvRmT1_T2_T3_mT4_P12ihipStream_tbEUlT_E0_NS1_11comp_targetILNS1_3genE8ELNS1_11target_archE1030ELNS1_3gpuE2ELNS1_3repE0EEENS1_30default_config_static_selectorELNS0_4arch9wavefront6targetE1EEEvSK_
                                        ; -- End function
	.section	.AMDGPU.csdata,"",@progbits
; Kernel info:
; codeLenInByte = 0
; NumSgprs: 6
; NumVgprs: 0
; NumAgprs: 0
; TotalNumVgprs: 0
; ScratchSize: 0
; MemoryBound: 0
; FloatMode: 240
; IeeeMode: 1
; LDSByteSize: 0 bytes/workgroup (compile time only)
; SGPRBlocks: 0
; VGPRBlocks: 0
; NumSGPRsForWavesPerEU: 6
; NumVGPRsForWavesPerEU: 1
; AccumOffset: 4
; Occupancy: 8
; WaveLimiterHint : 0
; COMPUTE_PGM_RSRC2:SCRATCH_EN: 0
; COMPUTE_PGM_RSRC2:USER_SGPR: 2
; COMPUTE_PGM_RSRC2:TRAP_HANDLER: 0
; COMPUTE_PGM_RSRC2:TGID_X_EN: 1
; COMPUTE_PGM_RSRC2:TGID_Y_EN: 0
; COMPUTE_PGM_RSRC2:TGID_Z_EN: 0
; COMPUTE_PGM_RSRC2:TIDIG_COMP_CNT: 0
; COMPUTE_PGM_RSRC3_GFX90A:ACCUM_OFFSET: 0
; COMPUTE_PGM_RSRC3_GFX90A:TG_SPLIT: 0
	.section	.text._ZN7rocprim17ROCPRIM_400000_NS6detail17trampoline_kernelINS0_14default_configENS1_22reduce_config_selectorIN6thrust23THRUST_200600_302600_NS5tupleIblNS6_9null_typeES8_S8_S8_S8_S8_S8_S8_EEEEZNS1_11reduce_implILb1ES3_PS9_SC_S9_NS6_11hip_rocprim9__find_if7functorIS9_EEEE10hipError_tPvRmT1_T2_T3_mT4_P12ihipStream_tbEUlT_E1_NS1_11comp_targetILNS1_3genE0ELNS1_11target_archE4294967295ELNS1_3gpuE0ELNS1_3repE0EEENS1_30default_config_static_selectorELNS0_4arch9wavefront6targetE1EEEvSK_,"axG",@progbits,_ZN7rocprim17ROCPRIM_400000_NS6detail17trampoline_kernelINS0_14default_configENS1_22reduce_config_selectorIN6thrust23THRUST_200600_302600_NS5tupleIblNS6_9null_typeES8_S8_S8_S8_S8_S8_S8_EEEEZNS1_11reduce_implILb1ES3_PS9_SC_S9_NS6_11hip_rocprim9__find_if7functorIS9_EEEE10hipError_tPvRmT1_T2_T3_mT4_P12ihipStream_tbEUlT_E1_NS1_11comp_targetILNS1_3genE0ELNS1_11target_archE4294967295ELNS1_3gpuE0ELNS1_3repE0EEENS1_30default_config_static_selectorELNS0_4arch9wavefront6targetE1EEEvSK_,comdat
	.protected	_ZN7rocprim17ROCPRIM_400000_NS6detail17trampoline_kernelINS0_14default_configENS1_22reduce_config_selectorIN6thrust23THRUST_200600_302600_NS5tupleIblNS6_9null_typeES8_S8_S8_S8_S8_S8_S8_EEEEZNS1_11reduce_implILb1ES3_PS9_SC_S9_NS6_11hip_rocprim9__find_if7functorIS9_EEEE10hipError_tPvRmT1_T2_T3_mT4_P12ihipStream_tbEUlT_E1_NS1_11comp_targetILNS1_3genE0ELNS1_11target_archE4294967295ELNS1_3gpuE0ELNS1_3repE0EEENS1_30default_config_static_selectorELNS0_4arch9wavefront6targetE1EEEvSK_ ; -- Begin function _ZN7rocprim17ROCPRIM_400000_NS6detail17trampoline_kernelINS0_14default_configENS1_22reduce_config_selectorIN6thrust23THRUST_200600_302600_NS5tupleIblNS6_9null_typeES8_S8_S8_S8_S8_S8_S8_EEEEZNS1_11reduce_implILb1ES3_PS9_SC_S9_NS6_11hip_rocprim9__find_if7functorIS9_EEEE10hipError_tPvRmT1_T2_T3_mT4_P12ihipStream_tbEUlT_E1_NS1_11comp_targetILNS1_3genE0ELNS1_11target_archE4294967295ELNS1_3gpuE0ELNS1_3repE0EEENS1_30default_config_static_selectorELNS0_4arch9wavefront6targetE1EEEvSK_
	.globl	_ZN7rocprim17ROCPRIM_400000_NS6detail17trampoline_kernelINS0_14default_configENS1_22reduce_config_selectorIN6thrust23THRUST_200600_302600_NS5tupleIblNS6_9null_typeES8_S8_S8_S8_S8_S8_S8_EEEEZNS1_11reduce_implILb1ES3_PS9_SC_S9_NS6_11hip_rocprim9__find_if7functorIS9_EEEE10hipError_tPvRmT1_T2_T3_mT4_P12ihipStream_tbEUlT_E1_NS1_11comp_targetILNS1_3genE0ELNS1_11target_archE4294967295ELNS1_3gpuE0ELNS1_3repE0EEENS1_30default_config_static_selectorELNS0_4arch9wavefront6targetE1EEEvSK_
	.p2align	8
	.type	_ZN7rocprim17ROCPRIM_400000_NS6detail17trampoline_kernelINS0_14default_configENS1_22reduce_config_selectorIN6thrust23THRUST_200600_302600_NS5tupleIblNS6_9null_typeES8_S8_S8_S8_S8_S8_S8_EEEEZNS1_11reduce_implILb1ES3_PS9_SC_S9_NS6_11hip_rocprim9__find_if7functorIS9_EEEE10hipError_tPvRmT1_T2_T3_mT4_P12ihipStream_tbEUlT_E1_NS1_11comp_targetILNS1_3genE0ELNS1_11target_archE4294967295ELNS1_3gpuE0ELNS1_3repE0EEENS1_30default_config_static_selectorELNS0_4arch9wavefront6targetE1EEEvSK_,@function
_ZN7rocprim17ROCPRIM_400000_NS6detail17trampoline_kernelINS0_14default_configENS1_22reduce_config_selectorIN6thrust23THRUST_200600_302600_NS5tupleIblNS6_9null_typeES8_S8_S8_S8_S8_S8_S8_EEEEZNS1_11reduce_implILb1ES3_PS9_SC_S9_NS6_11hip_rocprim9__find_if7functorIS9_EEEE10hipError_tPvRmT1_T2_T3_mT4_P12ihipStream_tbEUlT_E1_NS1_11comp_targetILNS1_3genE0ELNS1_11target_archE4294967295ELNS1_3gpuE0ELNS1_3repE0EEENS1_30default_config_static_selectorELNS0_4arch9wavefront6targetE1EEEvSK_: ; @_ZN7rocprim17ROCPRIM_400000_NS6detail17trampoline_kernelINS0_14default_configENS1_22reduce_config_selectorIN6thrust23THRUST_200600_302600_NS5tupleIblNS6_9null_typeES8_S8_S8_S8_S8_S8_S8_EEEEZNS1_11reduce_implILb1ES3_PS9_SC_S9_NS6_11hip_rocprim9__find_if7functorIS9_EEEE10hipError_tPvRmT1_T2_T3_mT4_P12ihipStream_tbEUlT_E1_NS1_11comp_targetILNS1_3genE0ELNS1_11target_archE4294967295ELNS1_3gpuE0ELNS1_3repE0EEENS1_30default_config_static_selectorELNS0_4arch9wavefront6targetE1EEEvSK_
; %bb.0:
	.section	.rodata,"a",@progbits
	.p2align	6, 0x0
	.amdhsa_kernel _ZN7rocprim17ROCPRIM_400000_NS6detail17trampoline_kernelINS0_14default_configENS1_22reduce_config_selectorIN6thrust23THRUST_200600_302600_NS5tupleIblNS6_9null_typeES8_S8_S8_S8_S8_S8_S8_EEEEZNS1_11reduce_implILb1ES3_PS9_SC_S9_NS6_11hip_rocprim9__find_if7functorIS9_EEEE10hipError_tPvRmT1_T2_T3_mT4_P12ihipStream_tbEUlT_E1_NS1_11comp_targetILNS1_3genE0ELNS1_11target_archE4294967295ELNS1_3gpuE0ELNS1_3repE0EEENS1_30default_config_static_selectorELNS0_4arch9wavefront6targetE1EEEvSK_
		.amdhsa_group_segment_fixed_size 0
		.amdhsa_private_segment_fixed_size 0
		.amdhsa_kernarg_size 56
		.amdhsa_user_sgpr_count 2
		.amdhsa_user_sgpr_dispatch_ptr 0
		.amdhsa_user_sgpr_queue_ptr 0
		.amdhsa_user_sgpr_kernarg_segment_ptr 1
		.amdhsa_user_sgpr_dispatch_id 0
		.amdhsa_user_sgpr_kernarg_preload_length 0
		.amdhsa_user_sgpr_kernarg_preload_offset 0
		.amdhsa_user_sgpr_private_segment_size 0
		.amdhsa_uses_dynamic_stack 0
		.amdhsa_enable_private_segment 0
		.amdhsa_system_sgpr_workgroup_id_x 1
		.amdhsa_system_sgpr_workgroup_id_y 0
		.amdhsa_system_sgpr_workgroup_id_z 0
		.amdhsa_system_sgpr_workgroup_info 0
		.amdhsa_system_vgpr_workitem_id 0
		.amdhsa_next_free_vgpr 1
		.amdhsa_next_free_sgpr 0
		.amdhsa_accum_offset 4
		.amdhsa_reserve_vcc 0
		.amdhsa_float_round_mode_32 0
		.amdhsa_float_round_mode_16_64 0
		.amdhsa_float_denorm_mode_32 3
		.amdhsa_float_denorm_mode_16_64 3
		.amdhsa_dx10_clamp 1
		.amdhsa_ieee_mode 1
		.amdhsa_fp16_overflow 0
		.amdhsa_tg_split 0
		.amdhsa_exception_fp_ieee_invalid_op 0
		.amdhsa_exception_fp_denorm_src 0
		.amdhsa_exception_fp_ieee_div_zero 0
		.amdhsa_exception_fp_ieee_overflow 0
		.amdhsa_exception_fp_ieee_underflow 0
		.amdhsa_exception_fp_ieee_inexact 0
		.amdhsa_exception_int_div_zero 0
	.end_amdhsa_kernel
	.section	.text._ZN7rocprim17ROCPRIM_400000_NS6detail17trampoline_kernelINS0_14default_configENS1_22reduce_config_selectorIN6thrust23THRUST_200600_302600_NS5tupleIblNS6_9null_typeES8_S8_S8_S8_S8_S8_S8_EEEEZNS1_11reduce_implILb1ES3_PS9_SC_S9_NS6_11hip_rocprim9__find_if7functorIS9_EEEE10hipError_tPvRmT1_T2_T3_mT4_P12ihipStream_tbEUlT_E1_NS1_11comp_targetILNS1_3genE0ELNS1_11target_archE4294967295ELNS1_3gpuE0ELNS1_3repE0EEENS1_30default_config_static_selectorELNS0_4arch9wavefront6targetE1EEEvSK_,"axG",@progbits,_ZN7rocprim17ROCPRIM_400000_NS6detail17trampoline_kernelINS0_14default_configENS1_22reduce_config_selectorIN6thrust23THRUST_200600_302600_NS5tupleIblNS6_9null_typeES8_S8_S8_S8_S8_S8_S8_EEEEZNS1_11reduce_implILb1ES3_PS9_SC_S9_NS6_11hip_rocprim9__find_if7functorIS9_EEEE10hipError_tPvRmT1_T2_T3_mT4_P12ihipStream_tbEUlT_E1_NS1_11comp_targetILNS1_3genE0ELNS1_11target_archE4294967295ELNS1_3gpuE0ELNS1_3repE0EEENS1_30default_config_static_selectorELNS0_4arch9wavefront6targetE1EEEvSK_,comdat
.Lfunc_end57:
	.size	_ZN7rocprim17ROCPRIM_400000_NS6detail17trampoline_kernelINS0_14default_configENS1_22reduce_config_selectorIN6thrust23THRUST_200600_302600_NS5tupleIblNS6_9null_typeES8_S8_S8_S8_S8_S8_S8_EEEEZNS1_11reduce_implILb1ES3_PS9_SC_S9_NS6_11hip_rocprim9__find_if7functorIS9_EEEE10hipError_tPvRmT1_T2_T3_mT4_P12ihipStream_tbEUlT_E1_NS1_11comp_targetILNS1_3genE0ELNS1_11target_archE4294967295ELNS1_3gpuE0ELNS1_3repE0EEENS1_30default_config_static_selectorELNS0_4arch9wavefront6targetE1EEEvSK_, .Lfunc_end57-_ZN7rocprim17ROCPRIM_400000_NS6detail17trampoline_kernelINS0_14default_configENS1_22reduce_config_selectorIN6thrust23THRUST_200600_302600_NS5tupleIblNS6_9null_typeES8_S8_S8_S8_S8_S8_S8_EEEEZNS1_11reduce_implILb1ES3_PS9_SC_S9_NS6_11hip_rocprim9__find_if7functorIS9_EEEE10hipError_tPvRmT1_T2_T3_mT4_P12ihipStream_tbEUlT_E1_NS1_11comp_targetILNS1_3genE0ELNS1_11target_archE4294967295ELNS1_3gpuE0ELNS1_3repE0EEENS1_30default_config_static_selectorELNS0_4arch9wavefront6targetE1EEEvSK_
                                        ; -- End function
	.section	.AMDGPU.csdata,"",@progbits
; Kernel info:
; codeLenInByte = 0
; NumSgprs: 6
; NumVgprs: 0
; NumAgprs: 0
; TotalNumVgprs: 0
; ScratchSize: 0
; MemoryBound: 0
; FloatMode: 240
; IeeeMode: 1
; LDSByteSize: 0 bytes/workgroup (compile time only)
; SGPRBlocks: 0
; VGPRBlocks: 0
; NumSGPRsForWavesPerEU: 6
; NumVGPRsForWavesPerEU: 1
; AccumOffset: 4
; Occupancy: 8
; WaveLimiterHint : 0
; COMPUTE_PGM_RSRC2:SCRATCH_EN: 0
; COMPUTE_PGM_RSRC2:USER_SGPR: 2
; COMPUTE_PGM_RSRC2:TRAP_HANDLER: 0
; COMPUTE_PGM_RSRC2:TGID_X_EN: 1
; COMPUTE_PGM_RSRC2:TGID_Y_EN: 0
; COMPUTE_PGM_RSRC2:TGID_Z_EN: 0
; COMPUTE_PGM_RSRC2:TIDIG_COMP_CNT: 0
; COMPUTE_PGM_RSRC3_GFX90A:ACCUM_OFFSET: 0
; COMPUTE_PGM_RSRC3_GFX90A:TG_SPLIT: 0
	.section	.text._ZN7rocprim17ROCPRIM_400000_NS6detail17trampoline_kernelINS0_14default_configENS1_22reduce_config_selectorIN6thrust23THRUST_200600_302600_NS5tupleIblNS6_9null_typeES8_S8_S8_S8_S8_S8_S8_EEEEZNS1_11reduce_implILb1ES3_PS9_SC_S9_NS6_11hip_rocprim9__find_if7functorIS9_EEEE10hipError_tPvRmT1_T2_T3_mT4_P12ihipStream_tbEUlT_E1_NS1_11comp_targetILNS1_3genE5ELNS1_11target_archE942ELNS1_3gpuE9ELNS1_3repE0EEENS1_30default_config_static_selectorELNS0_4arch9wavefront6targetE1EEEvSK_,"axG",@progbits,_ZN7rocprim17ROCPRIM_400000_NS6detail17trampoline_kernelINS0_14default_configENS1_22reduce_config_selectorIN6thrust23THRUST_200600_302600_NS5tupleIblNS6_9null_typeES8_S8_S8_S8_S8_S8_S8_EEEEZNS1_11reduce_implILb1ES3_PS9_SC_S9_NS6_11hip_rocprim9__find_if7functorIS9_EEEE10hipError_tPvRmT1_T2_T3_mT4_P12ihipStream_tbEUlT_E1_NS1_11comp_targetILNS1_3genE5ELNS1_11target_archE942ELNS1_3gpuE9ELNS1_3repE0EEENS1_30default_config_static_selectorELNS0_4arch9wavefront6targetE1EEEvSK_,comdat
	.protected	_ZN7rocprim17ROCPRIM_400000_NS6detail17trampoline_kernelINS0_14default_configENS1_22reduce_config_selectorIN6thrust23THRUST_200600_302600_NS5tupleIblNS6_9null_typeES8_S8_S8_S8_S8_S8_S8_EEEEZNS1_11reduce_implILb1ES3_PS9_SC_S9_NS6_11hip_rocprim9__find_if7functorIS9_EEEE10hipError_tPvRmT1_T2_T3_mT4_P12ihipStream_tbEUlT_E1_NS1_11comp_targetILNS1_3genE5ELNS1_11target_archE942ELNS1_3gpuE9ELNS1_3repE0EEENS1_30default_config_static_selectorELNS0_4arch9wavefront6targetE1EEEvSK_ ; -- Begin function _ZN7rocprim17ROCPRIM_400000_NS6detail17trampoline_kernelINS0_14default_configENS1_22reduce_config_selectorIN6thrust23THRUST_200600_302600_NS5tupleIblNS6_9null_typeES8_S8_S8_S8_S8_S8_S8_EEEEZNS1_11reduce_implILb1ES3_PS9_SC_S9_NS6_11hip_rocprim9__find_if7functorIS9_EEEE10hipError_tPvRmT1_T2_T3_mT4_P12ihipStream_tbEUlT_E1_NS1_11comp_targetILNS1_3genE5ELNS1_11target_archE942ELNS1_3gpuE9ELNS1_3repE0EEENS1_30default_config_static_selectorELNS0_4arch9wavefront6targetE1EEEvSK_
	.globl	_ZN7rocprim17ROCPRIM_400000_NS6detail17trampoline_kernelINS0_14default_configENS1_22reduce_config_selectorIN6thrust23THRUST_200600_302600_NS5tupleIblNS6_9null_typeES8_S8_S8_S8_S8_S8_S8_EEEEZNS1_11reduce_implILb1ES3_PS9_SC_S9_NS6_11hip_rocprim9__find_if7functorIS9_EEEE10hipError_tPvRmT1_T2_T3_mT4_P12ihipStream_tbEUlT_E1_NS1_11comp_targetILNS1_3genE5ELNS1_11target_archE942ELNS1_3gpuE9ELNS1_3repE0EEENS1_30default_config_static_selectorELNS0_4arch9wavefront6targetE1EEEvSK_
	.p2align	8
	.type	_ZN7rocprim17ROCPRIM_400000_NS6detail17trampoline_kernelINS0_14default_configENS1_22reduce_config_selectorIN6thrust23THRUST_200600_302600_NS5tupleIblNS6_9null_typeES8_S8_S8_S8_S8_S8_S8_EEEEZNS1_11reduce_implILb1ES3_PS9_SC_S9_NS6_11hip_rocprim9__find_if7functorIS9_EEEE10hipError_tPvRmT1_T2_T3_mT4_P12ihipStream_tbEUlT_E1_NS1_11comp_targetILNS1_3genE5ELNS1_11target_archE942ELNS1_3gpuE9ELNS1_3repE0EEENS1_30default_config_static_selectorELNS0_4arch9wavefront6targetE1EEEvSK_,@function
_ZN7rocprim17ROCPRIM_400000_NS6detail17trampoline_kernelINS0_14default_configENS1_22reduce_config_selectorIN6thrust23THRUST_200600_302600_NS5tupleIblNS6_9null_typeES8_S8_S8_S8_S8_S8_S8_EEEEZNS1_11reduce_implILb1ES3_PS9_SC_S9_NS6_11hip_rocprim9__find_if7functorIS9_EEEE10hipError_tPvRmT1_T2_T3_mT4_P12ihipStream_tbEUlT_E1_NS1_11comp_targetILNS1_3genE5ELNS1_11target_archE942ELNS1_3gpuE9ELNS1_3repE0EEENS1_30default_config_static_selectorELNS0_4arch9wavefront6targetE1EEEvSK_: ; @_ZN7rocprim17ROCPRIM_400000_NS6detail17trampoline_kernelINS0_14default_configENS1_22reduce_config_selectorIN6thrust23THRUST_200600_302600_NS5tupleIblNS6_9null_typeES8_S8_S8_S8_S8_S8_S8_EEEEZNS1_11reduce_implILb1ES3_PS9_SC_S9_NS6_11hip_rocprim9__find_if7functorIS9_EEEE10hipError_tPvRmT1_T2_T3_mT4_P12ihipStream_tbEUlT_E1_NS1_11comp_targetILNS1_3genE5ELNS1_11target_archE942ELNS1_3gpuE9ELNS1_3repE0EEENS1_30default_config_static_selectorELNS0_4arch9wavefront6targetE1EEEvSK_
; %bb.0:
	s_load_dword s46, s[0:1], 0x4
	s_load_dwordx4 s[36:39], s[0:1], 0x8
	s_load_dword s33, s[0:1], 0x20
	s_load_dwordx2 s[40:41], s[0:1], 0x28
	s_waitcnt lgkmcnt(0)
	s_cmp_lt_i32 s46, 4
	s_cbranch_scc1 .LBB58_24
; %bb.1:
	s_cmp_gt_i32 s46, 7
	s_cbranch_scc0 .LBB58_25
; %bb.2:
	s_cmp_gt_i32 s46, 15
	s_cbranch_scc0 .LBB58_26
; %bb.3:
	s_cmp_eq_u32 s46, 16
	s_mov_b64 s[42:43], 0
	s_cbranch_scc0 .LBB58_27
; %bb.4:
	s_mov_b32 s3, 0
	s_lshl_b32 s6, s2, 12
	s_mov_b32 s7, s3
	s_lshr_b64 s[4:5], s[38:39], 12
	s_lshl_b64 s[8:9], s[6:7], 4
	s_add_u32 s34, s36, s8
	s_addc_u32 s35, s37, s9
	s_cmp_lg_u64 s[4:5], s[2:3]
	s_cbranch_scc0 .LBB58_50
; %bb.5:
	v_lshlrev_b32_e32 v50, 4, v0
	v_mov_b32_e32 v51, 0
	v_lshl_add_u64 v[32:33], s[34:35], 0, v[50:51]
	v_add_co_u32_e32 v2, vcc, 0x1000, v32
	s_nop 1
	v_addc_co_u32_e32 v3, vcc, 0, v33, vcc
	v_add_co_u32_e32 v4, vcc, 0x2000, v32
	s_nop 1
	v_addc_co_u32_e32 v5, vcc, 0, v33, vcc
	global_load_ubyte v47, v[2:3], off
	global_load_dwordx2 v[30:31], v[2:3], off offset:8
	global_load_ubyte v46, v[4:5], off
	global_load_dwordx2 v[28:29], v[4:5], off offset:8
	v_add_co_u32_e32 v2, vcc, 0x3000, v32
	s_nop 1
	v_addc_co_u32_e32 v3, vcc, 0, v33, vcc
	v_add_co_u32_e32 v4, vcc, 0x4000, v32
	s_nop 1
	v_addc_co_u32_e32 v5, vcc, 0, v33, vcc
	global_load_ubyte v45, v[2:3], off
	global_load_dwordx2 v[26:27], v[2:3], off offset:8
	global_load_ubyte v44, v[4:5], off
	global_load_dwordx2 v[24:25], v[4:5], off offset:8
	;; [unrolled: 10-line block ×7, first 2 shown]
	v_add_co_u32_e32 v52, vcc, 0xf000, v32
	s_nop 1
	v_addc_co_u32_e32 v53, vcc, 0, v33, vcc
	global_load_ubyte v48, v50, s[34:35]
	global_load_ubyte v1, v[52:53], off
	global_load_dwordx2 v[2:3], v[52:53], off offset:8
	s_waitcnt vmcnt(2)
	v_and_b32_e32 v49, 1, v48
	v_cmp_eq_u32_e32 vcc, 1, v49
	s_and_saveexec_b64 s[8:9], vcc
	s_cbranch_execz .LBB58_7
; %bb.6:
	global_load_dwordx2 v[32:33], v[32:33], off offset:8
	v_and_b32_e32 v47, 1, v47
	v_cmp_eq_u32_e32 vcc, 1, v47
	s_waitcnt vmcnt(0)
	v_cmp_lt_i64_e64 s[4:5], v[30:31], v[32:33]
	s_nop 1
	v_cndmask_b32_e64 v31, v33, v31, s[4:5]
	v_cndmask_b32_e64 v47, v48, 1, vcc
	v_cndmask_b32_e32 v31, v33, v31, vcc
	s_and_b64 vcc, vcc, s[4:5]
	v_cndmask_b32_e32 v30, v32, v30, vcc
.LBB58_7:
	s_or_b64 exec, exec, s[8:9]
	v_and_b32_e32 v33, 1, v46
	v_cmp_lt_i64_e32 vcc, v[28:29], v[30:31]
	v_cmp_eq_u32_e64 s[4:5], 1, v33
	v_and_b32_e32 v32, 1, v47
	s_and_b64 vcc, s[4:5], vcc
	v_cndmask_b32_e32 v30, v30, v28, vcc
	v_cndmask_b32_e32 v31, v31, v29, vcc
	v_cmp_eq_u32_e32 vcc, 1, v32
	v_cndmask_b32_e64 v33, v47, 1, s[4:5]
	s_nop 0
	v_cndmask_b32_e32 v29, v29, v31, vcc
	v_cndmask_b32_e32 v28, v28, v30, vcc
	v_and_b32_e32 v31, 1, v45
	v_cndmask_b32_e32 v32, v46, v33, vcc
	v_cmp_lt_i64_e32 vcc, v[26:27], v[28:29]
	v_cmp_eq_u32_e64 s[4:5], 1, v31
	v_and_b32_e32 v30, 1, v32
	s_and_b64 vcc, s[4:5], vcc
	v_cndmask_b32_e32 v28, v28, v26, vcc
	v_cndmask_b32_e32 v29, v29, v27, vcc
	v_cmp_eq_u32_e32 vcc, 1, v30
	v_cndmask_b32_e64 v31, v32, 1, s[4:5]
	s_nop 0
	v_cndmask_b32_e32 v27, v27, v29, vcc
	v_cndmask_b32_e32 v26, v26, v28, vcc
	v_and_b32_e32 v29, 1, v44
	v_cndmask_b32_e32 v30, v45, v31, vcc
	;; [unrolled: 13-line block ×12, first 2 shown]
	v_cmp_lt_i64_e32 vcc, v[4:5], v[6:7]
	v_cmp_eq_u32_e64 s[4:5], 1, v9
	v_and_b32_e32 v8, 1, v10
	s_and_b64 vcc, s[4:5], vcc
	v_cndmask_b32_e32 v6, v6, v4, vcc
	v_cndmask_b32_e32 v7, v7, v5, vcc
	v_cmp_eq_u32_e32 vcc, 1, v8
	v_cndmask_b32_e64 v9, v10, 1, s[4:5]
	s_nop 0
	v_cndmask_b32_e32 v5, v5, v7, vcc
	v_cndmask_b32_e32 v4, v4, v6, vcc
	s_waitcnt vmcnt(1)
	v_and_b32_e32 v7, 1, v1
	v_cndmask_b32_e32 v8, v34, v9, vcc
	s_waitcnt vmcnt(0)
	v_cmp_lt_i64_e32 vcc, v[2:3], v[4:5]
	v_cmp_eq_u32_e64 s[4:5], 1, v7
	v_and_b32_e32 v6, 1, v8
	s_and_b64 vcc, s[4:5], vcc
	v_cndmask_b32_e64 v7, v8, 1, s[4:5]
	v_cndmask_b32_e32 v4, v4, v2, vcc
	v_cndmask_b32_e32 v5, v5, v3, vcc
	v_cmp_eq_u32_e32 vcc, 1, v6
	s_nop 1
	v_cndmask_b32_e32 v7, v1, v7, vcc
	v_and_b32_e32 v1, 0xff, v7
	v_cndmask_b32_e32 v3, v3, v5, vcc
	v_cndmask_b32_e32 v2, v2, v4, vcc
	v_mov_b32_dpp v6, v1 quad_perm:[1,0,3,2] row_mask:0xf bank_mask:0xf bound_ctrl:1
	v_and_b32_e32 v8, 1, v6
	v_and_b32_e32 v7, 1, v7
	v_mov_b32_dpp v4, v2 quad_perm:[1,0,3,2] row_mask:0xf bank_mask:0xf bound_ctrl:1
	v_mov_b32_dpp v5, v3 quad_perm:[1,0,3,2] row_mask:0xf bank_mask:0xf bound_ctrl:1
	v_cmp_eq_u32_e32 vcc, 1, v8
	v_cmp_eq_u32_e64 s[4:5], 1, v7
	s_and_saveexec_b64 s[8:9], vcc
	s_xor_b64 s[8:9], exec, s[8:9]
; %bb.8:
	v_cmp_lt_i64_e32 vcc, v[2:3], v[4:5]
	v_cndmask_b32_e64 v6, v6, 1, s[4:5]
	s_and_b64 vcc, s[4:5], vcc
	v_cndmask_b32_e32 v2, v4, v2, vcc
	v_and_b32_e32 v4, 1, v6
	v_cndmask_b32_e32 v3, v5, v3, vcc
	v_cmp_eq_u32_e32 vcc, 1, v4
	s_andn2_b64 s[4:5], s[4:5], exec
	s_and_b64 s[10:11], vcc, exec
	v_and_b32_e32 v1, 0xff, v6
	s_or_b64 s[4:5], s[4:5], s[10:11]
; %bb.9:
	s_or_b64 exec, exec, s[8:9]
	v_mov_b32_dpp v6, v1 quad_perm:[2,3,0,1] row_mask:0xf bank_mask:0xf bound_ctrl:1
	v_and_b32_e32 v7, 1, v6
	v_mov_b32_dpp v4, v2 quad_perm:[2,3,0,1] row_mask:0xf bank_mask:0xf bound_ctrl:1
	v_mov_b32_dpp v5, v3 quad_perm:[2,3,0,1] row_mask:0xf bank_mask:0xf bound_ctrl:1
	v_cmp_eq_u32_e32 vcc, 1, v7
	s_and_saveexec_b64 s[8:9], vcc
; %bb.10:
	v_cmp_lt_i64_e32 vcc, v[2:3], v[4:5]
	v_cndmask_b32_e64 v6, v6, 1, s[4:5]
	s_and_b64 vcc, s[4:5], vcc
	v_cndmask_b32_e32 v2, v4, v2, vcc
	v_and_b32_e32 v4, 1, v6
	v_cndmask_b32_e32 v3, v5, v3, vcc
	v_cmp_eq_u32_e32 vcc, 1, v4
	s_andn2_b64 s[4:5], s[4:5], exec
	s_and_b64 s[10:11], vcc, exec
	v_and_b32_e32 v1, 0xff, v6
	s_or_b64 s[4:5], s[4:5], s[10:11]
; %bb.11:
	s_or_b64 exec, exec, s[8:9]
	v_mov_b32_dpp v6, v1 row_ror:4 row_mask:0xf bank_mask:0xf bound_ctrl:1
	v_and_b32_e32 v7, 1, v6
	v_mov_b32_dpp v4, v2 row_ror:4 row_mask:0xf bank_mask:0xf bound_ctrl:1
	v_mov_b32_dpp v5, v3 row_ror:4 row_mask:0xf bank_mask:0xf bound_ctrl:1
	v_cmp_eq_u32_e32 vcc, 1, v7
	s_and_saveexec_b64 s[8:9], vcc
; %bb.12:
	v_cmp_lt_i64_e32 vcc, v[2:3], v[4:5]
	v_cndmask_b32_e64 v6, v6, 1, s[4:5]
	s_and_b64 vcc, s[4:5], vcc
	v_cndmask_b32_e32 v2, v4, v2, vcc
	v_and_b32_e32 v4, 1, v6
	v_cndmask_b32_e32 v3, v5, v3, vcc
	v_cmp_eq_u32_e32 vcc, 1, v4
	s_andn2_b64 s[4:5], s[4:5], exec
	s_and_b64 s[10:11], vcc, exec
	v_and_b32_e32 v1, 0xff, v6
	s_or_b64 s[4:5], s[4:5], s[10:11]
; %bb.13:
	s_or_b64 exec, exec, s[8:9]
	v_mov_b32_dpp v6, v1 row_ror:8 row_mask:0xf bank_mask:0xf bound_ctrl:1
	v_and_b32_e32 v7, 1, v6
	v_mov_b32_dpp v4, v2 row_ror:8 row_mask:0xf bank_mask:0xf bound_ctrl:1
	v_mov_b32_dpp v5, v3 row_ror:8 row_mask:0xf bank_mask:0xf bound_ctrl:1
	v_cmp_eq_u32_e32 vcc, 1, v7
	s_and_saveexec_b64 s[8:9], vcc
; %bb.14:
	v_cmp_lt_i64_e32 vcc, v[2:3], v[4:5]
	v_cndmask_b32_e64 v6, v6, 1, s[4:5]
	s_and_b64 vcc, s[4:5], vcc
	v_cndmask_b32_e32 v2, v4, v2, vcc
	v_and_b32_e32 v4, 1, v6
	v_cndmask_b32_e32 v3, v5, v3, vcc
	v_cmp_eq_u32_e32 vcc, 1, v4
	s_andn2_b64 s[4:5], s[4:5], exec
	s_and_b64 s[10:11], vcc, exec
	v_and_b32_e32 v1, 0xff, v6
	s_or_b64 s[4:5], s[4:5], s[10:11]
; %bb.15:
	s_or_b64 exec, exec, s[8:9]
	v_mov_b32_dpp v6, v1 row_bcast:15 row_mask:0xf bank_mask:0xf bound_ctrl:1
	v_and_b32_e32 v7, 1, v6
	v_mov_b32_dpp v4, v2 row_bcast:15 row_mask:0xf bank_mask:0xf bound_ctrl:1
	v_mov_b32_dpp v5, v3 row_bcast:15 row_mask:0xf bank_mask:0xf bound_ctrl:1
	v_cmp_eq_u32_e32 vcc, 1, v7
	s_and_saveexec_b64 s[8:9], vcc
; %bb.16:
	v_cmp_lt_i64_e32 vcc, v[2:3], v[4:5]
	v_cndmask_b32_e64 v6, v6, 1, s[4:5]
	s_and_b64 vcc, s[4:5], vcc
	v_cndmask_b32_e32 v2, v4, v2, vcc
	v_and_b32_e32 v4, 1, v6
	v_cndmask_b32_e32 v3, v5, v3, vcc
	v_cmp_eq_u32_e32 vcc, 1, v4
	s_andn2_b64 s[4:5], s[4:5], exec
	s_and_b64 s[10:11], vcc, exec
	v_and_b32_e32 v1, 0xff, v6
	s_or_b64 s[4:5], s[4:5], s[10:11]
; %bb.17:
	s_or_b64 exec, exec, s[8:9]
	v_mov_b32_dpp v6, v1 row_bcast:31 row_mask:0xf bank_mask:0xf bound_ctrl:1
	v_and_b32_e32 v7, 1, v6
	v_mov_b32_dpp v4, v2 row_bcast:31 row_mask:0xf bank_mask:0xf bound_ctrl:1
	v_mov_b32_dpp v5, v3 row_bcast:31 row_mask:0xf bank_mask:0xf bound_ctrl:1
	v_cmp_eq_u32_e32 vcc, 1, v7
	s_and_saveexec_b64 s[8:9], vcc
; %bb.18:
	v_cmp_lt_i64_e32 vcc, v[2:3], v[4:5]
	v_and_b32_e32 v1, 0xff, v6
	s_and_b64 vcc, s[4:5], vcc
	v_cndmask_b32_e32 v2, v4, v2, vcc
	v_cndmask_b32_e32 v3, v5, v3, vcc
	v_cndmask_b32_e64 v1, v1, 1, s[4:5]
; %bb.19:
	s_or_b64 exec, exec, s[8:9]
	v_mbcnt_lo_u32_b32 v4, -1, 0
	v_mbcnt_hi_u32_b32 v4, -1, v4
	v_bfrev_b32_e32 v5, 0.5
	v_lshl_or_b32 v5, v4, 2, v5
	ds_bpermute_b32 v7, v5, v1
	ds_bpermute_b32 v2, v5, v2
	;; [unrolled: 1-line block ×3, first 2 shown]
	v_cmp_eq_u32_e32 vcc, 0, v4
	s_and_saveexec_b64 s[4:5], vcc
	s_cbranch_execz .LBB58_21
; %bb.20:
	v_lshrrev_b32_e32 v1, 2, v0
	v_and_b32_e32 v1, 48, v1
	s_waitcnt lgkmcnt(2)
	ds_write_b8 v1, v7
	s_waitcnt lgkmcnt(1)
	ds_write_b64 v1, v[2:3] offset:8
.LBB58_21:
	s_or_b64 exec, exec, s[4:5]
	v_cmp_gt_u32_e32 vcc, 64, v0
	s_waitcnt lgkmcnt(0)
	s_barrier
	s_and_saveexec_b64 s[8:9], vcc
	s_cbranch_execz .LBB58_23
; %bb.22:
	v_and_b32_e32 v1, 3, v4
	v_lshlrev_b32_e32 v2, 4, v1
	ds_read_u8 v5, v2
	ds_read_b64 v[2:3], v2 offset:8
	v_cmp_ne_u32_e32 vcc, 3, v1
	s_waitcnt lgkmcnt(1)
	v_and_b32_e32 v7, 0xff, v5
	v_addc_co_u32_e32 v6, vcc, 0, v4, vcc
	v_lshlrev_b32_e32 v8, 2, v6
	ds_bpermute_b32 v9, v8, v7
	s_waitcnt lgkmcnt(1)
	ds_bpermute_b32 v6, v8, v2
	ds_bpermute_b32 v7, v8, v3
	v_and_b32_e32 v8, 1, v5
	s_waitcnt lgkmcnt(2)
	v_and_b32_e32 v10, 1, v9
	v_cmp_eq_u32_e64 s[4:5], 1, v10
	s_waitcnt lgkmcnt(0)
	v_cmp_lt_i64_e32 vcc, v[6:7], v[2:3]
	s_and_b64 vcc, s[4:5], vcc
	v_cndmask_b32_e64 v5, v5, 1, s[4:5]
	v_cndmask_b32_e32 v2, v2, v6, vcc
	v_cndmask_b32_e32 v3, v3, v7, vcc
	v_cmp_eq_u32_e32 vcc, 1, v8
	s_nop 1
	v_cndmask_b32_e32 v8, v9, v5, vcc
	v_cndmask_b32_e32 v3, v7, v3, vcc
	;; [unrolled: 1-line block ×3, first 2 shown]
	v_cmp_gt_u32_e32 vcc, 2, v1
	v_and_b32_e32 v5, 0xff, v8
	s_nop 0
	v_cndmask_b32_e64 v1, 0, 1, vcc
	v_lshlrev_b32_e32 v1, 1, v1
	v_add_lshl_u32 v1, v1, v4, 2
	ds_bpermute_b32 v6, v1, v5
	ds_bpermute_b32 v4, v1, v2
	;; [unrolled: 1-line block ×3, first 2 shown]
	v_and_b32_e32 v1, 1, v8
	s_waitcnt lgkmcnt(2)
	v_and_b32_e32 v7, 1, v6
	v_cmp_eq_u32_e64 s[4:5], 1, v7
	s_waitcnt lgkmcnt(0)
	v_cmp_lt_i64_e32 vcc, v[4:5], v[2:3]
	s_and_b64 vcc, s[4:5], vcc
	v_cndmask_b32_e64 v7, v8, 1, s[4:5]
	v_cndmask_b32_e32 v2, v2, v4, vcc
	v_cndmask_b32_e32 v3, v3, v5, vcc
	v_cmp_eq_u32_e32 vcc, 1, v1
	s_nop 1
	v_cndmask_b32_e32 v1, v6, v7, vcc
	v_cndmask_b32_e32 v3, v5, v3, vcc
	;; [unrolled: 1-line block ×3, first 2 shown]
	v_and_b32_e32 v7, 0xff, v1
.LBB58_23:
	s_or_b64 exec, exec, s[8:9]
	s_mov_b64 s[4:5], 0
	s_branch .LBB58_51
.LBB58_24:
	s_mov_b64 s[18:19], 0
                                        ; implicit-def: $vgpr4_vgpr5
                                        ; implicit-def: $vgpr1
	s_cbranch_execnz .LBB58_238
	s_branch .LBB58_315
.LBB58_25:
	s_mov_b64 s[18:19], 0
                                        ; implicit-def: $vgpr4_vgpr5
                                        ; implicit-def: $vgpr1
	s_cbranch_execnz .LBB58_177
	s_branch .LBB58_199
.LBB58_26:
	s_mov_b64 s[42:43], -1
.LBB58_27:
	s_mov_b64 s[18:19], 0
                                        ; implicit-def: $vgpr4_vgpr5
                                        ; implicit-def: $vgpr1
	s_and_b64 vcc, exec, s[42:43]
	s_cbranch_vccz .LBB58_125
.LBB58_28:
	s_cmp_eq_u32 s46, 8
	s_cbranch_scc0 .LBB58_49
; %bb.29:
	s_mov_b32 s3, 0
	s_lshl_b32 s6, s2, 11
	s_mov_b32 s7, s3
	s_lshr_b64 s[4:5], s[38:39], 11
	s_lshl_b64 s[8:9], s[6:7], 4
	s_add_u32 s16, s36, s8
	s_addc_u32 s17, s37, s9
	s_cmp_lg_u64 s[4:5], s[2:3]
	s_cbranch_scc0 .LBB58_126
; %bb.30:
	v_lshlrev_b32_e32 v26, 4, v0
	v_mov_b32_e32 v27, 0
	v_lshl_add_u64 v[16:17], s[16:17], 0, v[26:27]
	v_add_co_u32_e32 v2, vcc, 0x1000, v16
	s_nop 1
	v_addc_co_u32_e32 v3, vcc, 0, v17, vcc
	s_waitcnt lgkmcnt(1)
	v_add_co_u32_e32 v4, vcc, 0x2000, v16
	s_waitcnt lgkmcnt(0)
	s_nop 0
	v_addc_co_u32_e32 v5, vcc, 0, v17, vcc
	global_load_ubyte v23, v[2:3], off
	global_load_dwordx2 v[14:15], v[2:3], off offset:8
	global_load_ubyte v22, v[4:5], off
	global_load_dwordx2 v[12:13], v[4:5], off offset:8
	v_add_co_u32_e32 v2, vcc, 0x3000, v16
	s_nop 1
	v_addc_co_u32_e32 v3, vcc, 0, v17, vcc
	v_add_co_u32_e32 v4, vcc, 0x4000, v16
	s_nop 1
	v_addc_co_u32_e32 v5, vcc, 0, v17, vcc
	global_load_ubyte v21, v[2:3], off
	global_load_dwordx2 v[10:11], v[2:3], off offset:8
	global_load_ubyte v20, v[4:5], off
	global_load_dwordx2 v[8:9], v[4:5], off offset:8
	v_add_co_u32_e32 v2, vcc, 0x5000, v16
	s_nop 1
	v_addc_co_u32_e32 v3, vcc, 0, v17, vcc
	v_add_co_u32_e32 v24, vcc, 0x6000, v16
	s_nop 1
	v_addc_co_u32_e32 v25, vcc, 0, v17, vcc
	global_load_ubyte v19, v[2:3], off
	global_load_dwordx2 v[6:7], v[2:3], off offset:8
	global_load_ubyte v18, v[24:25], off
	global_load_dwordx2 v[4:5], v[24:25], off offset:8
	v_add_co_u32_e32 v28, vcc, 0x7000, v16
	s_nop 1
	v_addc_co_u32_e32 v29, vcc, 0, v17, vcc
	global_load_ubyte v24, v26, s[16:17]
	global_load_ubyte v1, v[28:29], off
	global_load_dwordx2 v[2:3], v[28:29], off offset:8
	s_waitcnt vmcnt(2)
	v_and_b32_e32 v25, 1, v24
	v_cmp_eq_u32_e32 vcc, 1, v25
	s_and_saveexec_b64 s[8:9], vcc
	s_cbranch_execz .LBB58_32
; %bb.31:
	global_load_dwordx2 v[16:17], v[16:17], off offset:8
	v_and_b32_e32 v23, 1, v23
	v_cmp_eq_u32_e32 vcc, 1, v23
	s_waitcnt vmcnt(0)
	v_cmp_lt_i64_e64 s[4:5], v[14:15], v[16:17]
	s_nop 1
	v_cndmask_b32_e64 v15, v17, v15, s[4:5]
	v_cndmask_b32_e64 v23, v24, 1, vcc
	v_cndmask_b32_e32 v15, v17, v15, vcc
	s_and_b64 vcc, vcc, s[4:5]
	v_cndmask_b32_e32 v14, v16, v14, vcc
.LBB58_32:
	s_or_b64 exec, exec, s[8:9]
	v_and_b32_e32 v17, 1, v22
	v_cmp_lt_i64_e32 vcc, v[12:13], v[14:15]
	v_cmp_eq_u32_e64 s[4:5], 1, v17
	v_and_b32_e32 v16, 1, v23
	s_and_b64 vcc, s[4:5], vcc
	v_cndmask_b32_e32 v14, v14, v12, vcc
	v_cndmask_b32_e32 v15, v15, v13, vcc
	v_cmp_eq_u32_e32 vcc, 1, v16
	v_cndmask_b32_e64 v17, v23, 1, s[4:5]
	s_nop 0
	v_cndmask_b32_e32 v13, v13, v15, vcc
	v_cndmask_b32_e32 v12, v12, v14, vcc
	v_and_b32_e32 v15, 1, v21
	v_cndmask_b32_e32 v16, v22, v17, vcc
	v_cmp_lt_i64_e32 vcc, v[10:11], v[12:13]
	v_cmp_eq_u32_e64 s[4:5], 1, v15
	v_and_b32_e32 v14, 1, v16
	s_and_b64 vcc, s[4:5], vcc
	v_cndmask_b32_e32 v12, v12, v10, vcc
	v_cndmask_b32_e32 v13, v13, v11, vcc
	v_cmp_eq_u32_e32 vcc, 1, v14
	v_cndmask_b32_e64 v15, v16, 1, s[4:5]
	s_nop 0
	v_cndmask_b32_e32 v11, v11, v13, vcc
	v_cndmask_b32_e32 v10, v10, v12, vcc
	v_and_b32_e32 v13, 1, v20
	v_cndmask_b32_e32 v14, v21, v15, vcc
	;; [unrolled: 13-line block ×4, first 2 shown]
	v_cmp_lt_i64_e32 vcc, v[4:5], v[6:7]
	v_cmp_eq_u32_e64 s[4:5], 1, v9
	v_and_b32_e32 v8, 1, v10
	s_and_b64 vcc, s[4:5], vcc
	v_cndmask_b32_e32 v6, v6, v4, vcc
	v_cndmask_b32_e32 v7, v7, v5, vcc
	v_cmp_eq_u32_e32 vcc, 1, v8
	v_cndmask_b32_e64 v9, v10, 1, s[4:5]
	s_nop 0
	v_cndmask_b32_e32 v5, v5, v7, vcc
	v_cndmask_b32_e32 v4, v4, v6, vcc
	s_waitcnt vmcnt(1)
	v_and_b32_e32 v7, 1, v1
	v_cndmask_b32_e32 v8, v18, v9, vcc
	s_waitcnt vmcnt(0)
	v_cmp_lt_i64_e32 vcc, v[2:3], v[4:5]
	v_cmp_eq_u32_e64 s[4:5], 1, v7
	v_and_b32_e32 v6, 1, v8
	s_and_b64 vcc, s[4:5], vcc
	v_cndmask_b32_e64 v7, v8, 1, s[4:5]
	v_cndmask_b32_e32 v4, v4, v2, vcc
	v_cndmask_b32_e32 v5, v5, v3, vcc
	v_cmp_eq_u32_e32 vcc, 1, v6
	s_nop 1
	v_cndmask_b32_e32 v7, v1, v7, vcc
	v_and_b32_e32 v1, 0xff, v7
	v_cndmask_b32_e32 v3, v3, v5, vcc
	v_cndmask_b32_e32 v2, v2, v4, vcc
	v_mov_b32_dpp v6, v1 quad_perm:[1,0,3,2] row_mask:0xf bank_mask:0xf bound_ctrl:1
	v_and_b32_e32 v8, 1, v6
	v_and_b32_e32 v7, 1, v7
	v_mov_b32_dpp v4, v2 quad_perm:[1,0,3,2] row_mask:0xf bank_mask:0xf bound_ctrl:1
	v_mov_b32_dpp v5, v3 quad_perm:[1,0,3,2] row_mask:0xf bank_mask:0xf bound_ctrl:1
	v_cmp_eq_u32_e32 vcc, 1, v8
	v_cmp_eq_u32_e64 s[4:5], 1, v7
	s_and_saveexec_b64 s[8:9], vcc
	s_xor_b64 s[8:9], exec, s[8:9]
; %bb.33:
	v_cmp_lt_i64_e32 vcc, v[2:3], v[4:5]
	v_cndmask_b32_e64 v6, v6, 1, s[4:5]
	s_and_b64 vcc, s[4:5], vcc
	v_cndmask_b32_e32 v2, v4, v2, vcc
	v_and_b32_e32 v4, 1, v6
	v_cndmask_b32_e32 v3, v5, v3, vcc
	v_cmp_eq_u32_e32 vcc, 1, v4
	s_andn2_b64 s[4:5], s[4:5], exec
	s_and_b64 s[10:11], vcc, exec
	v_and_b32_e32 v1, 0xff, v6
	s_or_b64 s[4:5], s[4:5], s[10:11]
; %bb.34:
	s_or_b64 exec, exec, s[8:9]
	v_mov_b32_dpp v6, v1 quad_perm:[2,3,0,1] row_mask:0xf bank_mask:0xf bound_ctrl:1
	v_and_b32_e32 v7, 1, v6
	v_mov_b32_dpp v4, v2 quad_perm:[2,3,0,1] row_mask:0xf bank_mask:0xf bound_ctrl:1
	v_mov_b32_dpp v5, v3 quad_perm:[2,3,0,1] row_mask:0xf bank_mask:0xf bound_ctrl:1
	v_cmp_eq_u32_e32 vcc, 1, v7
	s_and_saveexec_b64 s[8:9], vcc
; %bb.35:
	v_cmp_lt_i64_e32 vcc, v[2:3], v[4:5]
	v_cndmask_b32_e64 v6, v6, 1, s[4:5]
	s_and_b64 vcc, s[4:5], vcc
	v_cndmask_b32_e32 v2, v4, v2, vcc
	v_and_b32_e32 v4, 1, v6
	v_cndmask_b32_e32 v3, v5, v3, vcc
	v_cmp_eq_u32_e32 vcc, 1, v4
	s_andn2_b64 s[4:5], s[4:5], exec
	s_and_b64 s[10:11], vcc, exec
	v_and_b32_e32 v1, 0xff, v6
	s_or_b64 s[4:5], s[4:5], s[10:11]
; %bb.36:
	s_or_b64 exec, exec, s[8:9]
	v_mov_b32_dpp v6, v1 row_ror:4 row_mask:0xf bank_mask:0xf bound_ctrl:1
	v_and_b32_e32 v7, 1, v6
	v_mov_b32_dpp v4, v2 row_ror:4 row_mask:0xf bank_mask:0xf bound_ctrl:1
	v_mov_b32_dpp v5, v3 row_ror:4 row_mask:0xf bank_mask:0xf bound_ctrl:1
	v_cmp_eq_u32_e32 vcc, 1, v7
	s_and_saveexec_b64 s[8:9], vcc
; %bb.37:
	v_cmp_lt_i64_e32 vcc, v[2:3], v[4:5]
	v_cndmask_b32_e64 v6, v6, 1, s[4:5]
	s_and_b64 vcc, s[4:5], vcc
	v_cndmask_b32_e32 v2, v4, v2, vcc
	v_and_b32_e32 v4, 1, v6
	v_cndmask_b32_e32 v3, v5, v3, vcc
	v_cmp_eq_u32_e32 vcc, 1, v4
	s_andn2_b64 s[4:5], s[4:5], exec
	s_and_b64 s[10:11], vcc, exec
	v_and_b32_e32 v1, 0xff, v6
	s_or_b64 s[4:5], s[4:5], s[10:11]
; %bb.38:
	s_or_b64 exec, exec, s[8:9]
	v_mov_b32_dpp v6, v1 row_ror:8 row_mask:0xf bank_mask:0xf bound_ctrl:1
	v_and_b32_e32 v7, 1, v6
	v_mov_b32_dpp v4, v2 row_ror:8 row_mask:0xf bank_mask:0xf bound_ctrl:1
	v_mov_b32_dpp v5, v3 row_ror:8 row_mask:0xf bank_mask:0xf bound_ctrl:1
	v_cmp_eq_u32_e32 vcc, 1, v7
	s_and_saveexec_b64 s[8:9], vcc
; %bb.39:
	v_cmp_lt_i64_e32 vcc, v[2:3], v[4:5]
	v_cndmask_b32_e64 v6, v6, 1, s[4:5]
	s_and_b64 vcc, s[4:5], vcc
	v_cndmask_b32_e32 v2, v4, v2, vcc
	v_and_b32_e32 v4, 1, v6
	v_cndmask_b32_e32 v3, v5, v3, vcc
	v_cmp_eq_u32_e32 vcc, 1, v4
	s_andn2_b64 s[4:5], s[4:5], exec
	s_and_b64 s[10:11], vcc, exec
	v_and_b32_e32 v1, 0xff, v6
	s_or_b64 s[4:5], s[4:5], s[10:11]
; %bb.40:
	s_or_b64 exec, exec, s[8:9]
	v_mov_b32_dpp v6, v1 row_bcast:15 row_mask:0xf bank_mask:0xf bound_ctrl:1
	v_and_b32_e32 v7, 1, v6
	v_mov_b32_dpp v4, v2 row_bcast:15 row_mask:0xf bank_mask:0xf bound_ctrl:1
	v_mov_b32_dpp v5, v3 row_bcast:15 row_mask:0xf bank_mask:0xf bound_ctrl:1
	v_cmp_eq_u32_e32 vcc, 1, v7
	s_and_saveexec_b64 s[8:9], vcc
; %bb.41:
	v_cmp_lt_i64_e32 vcc, v[2:3], v[4:5]
	v_cndmask_b32_e64 v6, v6, 1, s[4:5]
	s_and_b64 vcc, s[4:5], vcc
	v_cndmask_b32_e32 v2, v4, v2, vcc
	v_and_b32_e32 v4, 1, v6
	v_cndmask_b32_e32 v3, v5, v3, vcc
	v_cmp_eq_u32_e32 vcc, 1, v4
	s_andn2_b64 s[4:5], s[4:5], exec
	s_and_b64 s[10:11], vcc, exec
	v_and_b32_e32 v1, 0xff, v6
	s_or_b64 s[4:5], s[4:5], s[10:11]
; %bb.42:
	s_or_b64 exec, exec, s[8:9]
	v_mov_b32_dpp v6, v1 row_bcast:31 row_mask:0xf bank_mask:0xf bound_ctrl:1
	v_and_b32_e32 v7, 1, v6
	v_mov_b32_dpp v4, v2 row_bcast:31 row_mask:0xf bank_mask:0xf bound_ctrl:1
	v_mov_b32_dpp v5, v3 row_bcast:31 row_mask:0xf bank_mask:0xf bound_ctrl:1
	v_cmp_eq_u32_e32 vcc, 1, v7
	s_and_saveexec_b64 s[8:9], vcc
; %bb.43:
	v_cmp_lt_i64_e32 vcc, v[2:3], v[4:5]
	v_and_b32_e32 v1, 0xff, v6
	s_and_b64 vcc, s[4:5], vcc
	v_cndmask_b32_e32 v2, v4, v2, vcc
	v_cndmask_b32_e32 v3, v5, v3, vcc
	v_cndmask_b32_e64 v1, v1, 1, s[4:5]
; %bb.44:
	s_or_b64 exec, exec, s[8:9]
	v_mbcnt_lo_u32_b32 v4, -1, 0
	v_mbcnt_hi_u32_b32 v4, -1, v4
	v_bfrev_b32_e32 v5, 0.5
	v_lshl_or_b32 v5, v4, 2, v5
	ds_bpermute_b32 v6, v5, v1
	ds_bpermute_b32 v2, v5, v2
	;; [unrolled: 1-line block ×3, first 2 shown]
	v_cmp_eq_u32_e32 vcc, 0, v4
	s_and_saveexec_b64 s[4:5], vcc
	s_cbranch_execz .LBB58_46
; %bb.45:
	v_lshrrev_b32_e32 v1, 2, v0
	v_and_b32_e32 v1, 48, v1
	s_waitcnt lgkmcnt(2)
	ds_write_b8 v1, v6 offset:256
	s_waitcnt lgkmcnt(1)
	ds_write_b64 v1, v[2:3] offset:264
.LBB58_46:
	s_or_b64 exec, exec, s[4:5]
	v_cmp_gt_u32_e32 vcc, 64, v0
	s_waitcnt lgkmcnt(0)
	s_barrier
	s_and_saveexec_b64 s[8:9], vcc
	s_cbranch_execz .LBB58_48
; %bb.47:
	v_and_b32_e32 v1, 3, v4
	v_lshlrev_b32_e32 v2, 4, v1
	ds_read_u8 v5, v2 offset:256
	ds_read_b64 v[2:3], v2 offset:264
	v_cmp_ne_u32_e32 vcc, 3, v1
	s_waitcnt lgkmcnt(1)
	v_and_b32_e32 v7, 0xff, v5
	v_addc_co_u32_e32 v6, vcc, 0, v4, vcc
	v_lshlrev_b32_e32 v8, 2, v6
	ds_bpermute_b32 v9, v8, v7
	s_waitcnt lgkmcnt(1)
	ds_bpermute_b32 v6, v8, v2
	ds_bpermute_b32 v7, v8, v3
	v_and_b32_e32 v8, 1, v5
	s_waitcnt lgkmcnt(2)
	v_and_b32_e32 v10, 1, v9
	v_cmp_eq_u32_e64 s[4:5], 1, v10
	s_waitcnt lgkmcnt(0)
	v_cmp_lt_i64_e32 vcc, v[6:7], v[2:3]
	s_and_b64 vcc, s[4:5], vcc
	v_cndmask_b32_e64 v5, v5, 1, s[4:5]
	v_cndmask_b32_e32 v2, v2, v6, vcc
	v_cndmask_b32_e32 v3, v3, v7, vcc
	v_cmp_eq_u32_e32 vcc, 1, v8
	s_nop 1
	v_cndmask_b32_e32 v8, v9, v5, vcc
	v_cndmask_b32_e32 v3, v7, v3, vcc
	;; [unrolled: 1-line block ×3, first 2 shown]
	v_cmp_gt_u32_e32 vcc, 2, v1
	v_and_b32_e32 v5, 0xff, v8
	s_nop 0
	v_cndmask_b32_e64 v1, 0, 1, vcc
	v_lshlrev_b32_e32 v1, 1, v1
	v_add_lshl_u32 v1, v1, v4, 2
	ds_bpermute_b32 v6, v1, v5
	ds_bpermute_b32 v4, v1, v2
	;; [unrolled: 1-line block ×3, first 2 shown]
	v_and_b32_e32 v1, 1, v8
	s_waitcnt lgkmcnt(2)
	v_and_b32_e32 v7, 1, v6
	v_cmp_eq_u32_e64 s[4:5], 1, v7
	s_waitcnt lgkmcnt(0)
	v_cmp_lt_i64_e32 vcc, v[4:5], v[2:3]
	s_and_b64 vcc, s[4:5], vcc
	v_cndmask_b32_e64 v7, v8, 1, s[4:5]
	v_cndmask_b32_e32 v2, v2, v4, vcc
	v_cndmask_b32_e32 v3, v3, v5, vcc
	v_cmp_eq_u32_e32 vcc, 1, v1
	s_nop 1
	v_cndmask_b32_e32 v1, v6, v7, vcc
	v_cndmask_b32_e32 v3, v5, v3, vcc
	;; [unrolled: 1-line block ×3, first 2 shown]
	v_and_b32_e32 v6, 0xff, v1
.LBB58_48:
	s_or_b64 exec, exec, s[8:9]
	s_mov_b64 s[4:5], 0
	s_branch .LBB58_127
.LBB58_49:
                                        ; implicit-def: $vgpr4_vgpr5
                                        ; implicit-def: $vgpr1
	s_branch .LBB58_199
.LBB58_50:
	s_mov_b64 s[4:5], -1
                                        ; implicit-def: $vgpr2_vgpr3
                                        ; implicit-def: $vgpr7
.LBB58_51:
	s_and_b64 vcc, exec, s[4:5]
	s_cbranch_vccz .LBB58_120
; %bb.52:
	s_sub_i32 s47, s38, s6
	v_mov_b64_e32 v[30:31], 0
	v_cmp_gt_u32_e32 vcc, s47, v0
	v_mov_b32_e32 v47, 0
	v_mov_b64_e32 v[2:3], v[30:31]
	v_mov_b32_e32 v1, 0
	s_and_saveexec_b64 s[4:5], vcc
	s_cbranch_execz .LBB58_54
; %bb.53:
	v_lshlrev_b32_e32 v4, 4, v0
	global_load_ubyte v1, v4, s[34:35]
	global_load_dwordx2 v[2:3], v4, s[34:35] offset:8
.LBB58_54:
	s_or_b64 exec, exec, s[4:5]
	v_or_b32_e32 v4, 0x100, v0
	v_cmp_gt_u32_e64 s[30:31], s47, v4
	s_and_saveexec_b64 s[4:5], s[30:31]
	s_cbranch_execz .LBB58_56
; %bb.55:
	v_lshlrev_b32_e32 v4, 4, v4
	global_load_ubyte v47, v4, s[34:35]
	global_load_dwordx2 v[30:31], v4, s[34:35] offset:8
.LBB58_56:
	s_or_b64 exec, exec, s[4:5]
	v_or_b32_e32 v4, 0x200, v0
	v_mov_b64_e32 v[26:27], 0
	v_cmp_gt_u32_e64 s[28:29], s47, v4
	v_mov_b32_e32 v45, 0
	v_mov_b64_e32 v[32:33], v[26:27]
	v_mov_b32_e32 v48, 0
	s_and_saveexec_b64 s[4:5], s[28:29]
	s_cbranch_execz .LBB58_58
; %bb.57:
	v_lshlrev_b32_e32 v4, 4, v4
	global_load_ubyte v48, v4, s[34:35]
	global_load_dwordx2 v[32:33], v4, s[34:35] offset:8
.LBB58_58:
	s_or_b64 exec, exec, s[4:5]
	v_or_b32_e32 v4, 0x300, v0
	v_cmp_gt_u32_e64 s[26:27], s47, v4
	s_and_saveexec_b64 s[4:5], s[26:27]
	s_cbranch_execz .LBB58_60
; %bb.59:
	v_lshlrev_b32_e32 v4, 4, v4
	global_load_ubyte v45, v4, s[34:35]
	global_load_dwordx2 v[26:27], v4, s[34:35] offset:8
.LBB58_60:
	s_or_b64 exec, exec, s[4:5]
	v_or_b32_e32 v4, 0x400, v0
	v_mov_b64_e32 v[22:23], 0
	v_cmp_gt_u32_e64 s[24:25], s47, v4
	v_mov_b32_e32 v43, 0
	v_mov_b64_e32 v[28:29], v[22:23]
	v_mov_b32_e32 v46, 0
	s_and_saveexec_b64 s[4:5], s[24:25]
	;; [unrolled: 24-line block ×5, first 2 shown]
	s_cbranch_execz .LBB58_74
; %bb.73:
	v_lshlrev_b32_e32 v4, 4, v4
	global_load_ubyte v40, v4, s[34:35]
	global_load_dwordx2 v[16:17], v4, s[34:35] offset:8
.LBB58_74:
	s_or_b64 exec, exec, s[4:5]
	v_or_b32_e32 v4, 0xb00, v0
	v_cmp_gt_u32_e64 s[10:11], s47, v4
	s_and_saveexec_b64 s[4:5], s[10:11]
	s_cbranch_execz .LBB58_76
; %bb.75:
	v_lshlrev_b32_e32 v4, 4, v4
	global_load_ubyte v37, v4, s[34:35]
	global_load_dwordx2 v[10:11], v4, s[34:35] offset:8
.LBB58_76:
	s_or_b64 exec, exec, s[4:5]
	v_or_b32_e32 v4, 0xc00, v0
	v_mov_b64_e32 v[6:7], 0
	v_cmp_gt_u32_e64 s[8:9], s47, v4
	v_mov_b32_e32 v35, 0
	v_mov_b32_e32 v38, 0
	v_mov_b64_e32 v[12:13], v[6:7]
	s_and_saveexec_b64 s[4:5], s[8:9]
	s_cbranch_execz .LBB58_78
; %bb.77:
	v_lshlrev_b32_e32 v4, 4, v4
	global_load_ubyte v38, v4, s[34:35]
	global_load_dwordx2 v[12:13], v4, s[34:35] offset:8
.LBB58_78:
	s_or_b64 exec, exec, s[4:5]
	v_or_b32_e32 v4, 0xd00, v0
	v_cmp_gt_u32_e64 s[6:7], s47, v4
	s_and_saveexec_b64 s[4:5], s[6:7]
	s_cbranch_execz .LBB58_80
; %bb.79:
	v_lshlrev_b32_e32 v4, 4, v4
	global_load_ubyte v35, v4, s[34:35]
	global_load_dwordx2 v[6:7], v4, s[34:35] offset:8
.LBB58_80:
	s_or_b64 exec, exec, s[4:5]
	v_or_b32_e32 v49, 0xe00, v0
	v_mov_b64_e32 v[4:5], 0
	v_cmp_gt_u32_e64 s[4:5], s47, v49
	v_mov_b32_e32 v34, 0
	v_mov_b32_e32 v36, 0
	v_mov_b64_e32 v[8:9], v[4:5]
	s_and_saveexec_b64 s[44:45], s[4:5]
	s_cbranch_execz .LBB58_82
; %bb.81:
	v_lshlrev_b32_e32 v49, 4, v49
	global_load_ubyte v36, v49, s[34:35]
	global_load_dwordx2 v[8:9], v49, s[34:35] offset:8
.LBB58_82:
	s_or_b64 exec, exec, s[44:45]
	v_or_b32_e32 v49, 0xf00, v0
	v_cmp_gt_u32_e32 vcc, s47, v49
	s_and_saveexec_b64 s[44:45], vcc
	s_cbranch_execnz .LBB58_350
; %bb.83:
	s_or_b64 exec, exec, s[44:45]
	s_and_saveexec_b64 s[44:45], s[30:31]
	s_cbranch_execnz .LBB58_351
.LBB58_84:
	s_or_b64 exec, exec, s[44:45]
	s_and_saveexec_b64 s[34:35], s[28:29]
	s_cbranch_execnz .LBB58_352
.LBB58_85:
	s_or_b64 exec, exec, s[34:35]
	s_and_saveexec_b64 s[30:31], s[26:27]
	s_cbranch_execnz .LBB58_353
.LBB58_86:
	s_or_b64 exec, exec, s[30:31]
	s_and_saveexec_b64 s[28:29], s[24:25]
	s_cbranch_execnz .LBB58_354
.LBB58_87:
	s_or_b64 exec, exec, s[28:29]
	s_and_saveexec_b64 s[26:27], s[22:23]
	s_cbranch_execnz .LBB58_355
.LBB58_88:
	s_or_b64 exec, exec, s[26:27]
	s_and_saveexec_b64 s[24:25], s[20:21]
	s_cbranch_execnz .LBB58_356
.LBB58_89:
	s_or_b64 exec, exec, s[24:25]
	s_and_saveexec_b64 s[22:23], s[18:19]
	s_cbranch_execnz .LBB58_357
.LBB58_90:
	s_or_b64 exec, exec, s[22:23]
	s_and_saveexec_b64 s[20:21], s[16:17]
	s_cbranch_execnz .LBB58_358
.LBB58_91:
	s_or_b64 exec, exec, s[20:21]
	s_and_saveexec_b64 s[18:19], s[14:15]
	s_cbranch_execnz .LBB58_359
.LBB58_92:
	s_or_b64 exec, exec, s[18:19]
	s_and_saveexec_b64 s[16:17], s[12:13]
	s_cbranch_execnz .LBB58_360
.LBB58_93:
	s_or_b64 exec, exec, s[16:17]
	s_and_saveexec_b64 s[14:15], s[10:11]
	s_cbranch_execnz .LBB58_361
.LBB58_94:
	s_or_b64 exec, exec, s[14:15]
	s_and_saveexec_b64 s[12:13], s[8:9]
	s_cbranch_execnz .LBB58_362
.LBB58_95:
	s_or_b64 exec, exec, s[12:13]
	s_and_saveexec_b64 s[10:11], s[6:7]
	s_cbranch_execnz .LBB58_363
.LBB58_96:
	s_or_b64 exec, exec, s[10:11]
	s_and_saveexec_b64 s[8:9], s[4:5]
	s_cbranch_execnz .LBB58_364
.LBB58_97:
	s_or_b64 exec, exec, s[8:9]
	s_and_saveexec_b64 s[6:7], vcc
	s_cbranch_execz .LBB58_99
.LBB58_98:
	s_waitcnt vmcnt(0)
	v_and_b32_e32 v7, 1, v34
	v_cmp_lt_i64_e32 vcc, v[4:5], v[2:3]
	v_cmp_eq_u32_e64 s[4:5], 1, v7
	v_and_b32_e32 v6, 1, v1
	s_and_b64 vcc, s[4:5], vcc
	v_cndmask_b32_e64 v1, v1, 1, s[4:5]
	v_cndmask_b32_e32 v2, v2, v4, vcc
	v_cndmask_b32_e32 v3, v3, v5, vcc
	v_cmp_eq_u32_e32 vcc, 1, v6
	s_nop 1
	v_cndmask_b32_e32 v1, v34, v1, vcc
	v_cndmask_b32_e32 v3, v5, v3, vcc
	;; [unrolled: 1-line block ×3, first 2 shown]
.LBB58_99:
	s_or_b64 exec, exec, s[6:7]
	s_waitcnt vmcnt(0)
	v_mbcnt_lo_u32_b32 v4, -1, 0
	v_mbcnt_hi_u32_b32 v6, -1, v4
	v_and_b32_e32 v8, 63, v6
	v_cmp_ne_u32_e32 vcc, 63, v8
	v_and_b32_e32 v7, 0xff, v1
	s_min_u32 s8, s47, 0x100
	v_addc_co_u32_e32 v4, vcc, 0, v6, vcc
	v_lshlrev_b32_e32 v5, 2, v4
	ds_bpermute_b32 v11, v5, v7
	ds_bpermute_b32 v4, v5, v2
	;; [unrolled: 1-line block ×3, first 2 shown]
	v_and_b32_e32 v9, 0xc0, v0
	v_sub_u32_e64 v10, s8, v9 clamp
	v_add_u32_e32 v9, 1, v8
	v_cmp_lt_u32_e32 vcc, v9, v10
	v_mov_b32_e32 v9, v7
	s_and_saveexec_b64 s[4:5], vcc
	s_xor_b64 s[6:7], exec, s[4:5]
	s_cbranch_execz .LBB58_101
; %bb.100:
	s_waitcnt lgkmcnt(2)
	v_and_b32_e32 v9, 1, v11
	s_waitcnt lgkmcnt(0)
	v_cmp_lt_i64_e32 vcc, v[4:5], v[2:3]
	v_cmp_eq_u32_e64 s[4:5], 1, v9
	v_and_b32_e32 v1, 1, v1
	s_and_b64 vcc, s[4:5], vcc
	v_cndmask_b32_e64 v7, v7, 1, s[4:5]
	v_cndmask_b32_e32 v2, v2, v4, vcc
	v_cndmask_b32_e32 v3, v3, v5, vcc
	v_cmp_eq_u32_e32 vcc, 1, v1
	s_nop 1
	v_cndmask_b32_e32 v9, v11, v7, vcc
	v_cndmask_b32_e32 v3, v5, v3, vcc
	;; [unrolled: 1-line block ×3, first 2 shown]
	v_and_b32_e32 v7, 0xff, v9
.LBB58_101:
	s_or_b64 exec, exec, s[6:7]
	v_cmp_gt_u32_e32 vcc, 62, v8
	s_waitcnt lgkmcnt(2)
	v_add_u32_e32 v11, 2, v8
	v_cndmask_b32_e64 v1, 0, 1, vcc
	v_lshlrev_b32_e32 v1, 1, v1
	s_waitcnt lgkmcnt(0)
	v_add_lshl_u32 v5, v1, v6, 2
	ds_bpermute_b32 v1, v5, v7
	ds_bpermute_b32 v4, v5, v2
	ds_bpermute_b32 v5, v5, v3
	v_cmp_lt_u32_e32 vcc, v11, v10
	s_and_saveexec_b64 s[6:7], vcc
	s_cbranch_execz .LBB58_103
; %bb.102:
	s_waitcnt lgkmcnt(2)
	v_and_b32_e32 v11, 1, v1
	s_waitcnt lgkmcnt(0)
	v_cmp_lt_i64_e32 vcc, v[4:5], v[2:3]
	v_cmp_eq_u32_e64 s[4:5], 1, v11
	v_and_b32_e32 v7, 1, v9
	s_and_b64 vcc, s[4:5], vcc
	v_cndmask_b32_e64 v9, v9, 1, s[4:5]
	v_cndmask_b32_e32 v2, v2, v4, vcc
	v_cndmask_b32_e32 v3, v3, v5, vcc
	v_cmp_eq_u32_e32 vcc, 1, v7
	s_nop 1
	v_cndmask_b32_e32 v9, v1, v9, vcc
	v_cndmask_b32_e32 v3, v5, v3, vcc
	v_cndmask_b32_e32 v2, v4, v2, vcc
	v_and_b32_e32 v7, 0xff, v9
.LBB58_103:
	s_or_b64 exec, exec, s[6:7]
	v_cmp_gt_u32_e32 vcc, 60, v8
	v_add_u32_e32 v11, 4, v8
	s_waitcnt lgkmcnt(2)
	v_cndmask_b32_e64 v1, 0, 1, vcc
	v_lshlrev_b32_e32 v1, 2, v1
	s_waitcnt lgkmcnt(0)
	v_add_lshl_u32 v5, v1, v6, 2
	ds_bpermute_b32 v1, v5, v7
	ds_bpermute_b32 v4, v5, v2
	ds_bpermute_b32 v5, v5, v3
	v_cmp_lt_u32_e32 vcc, v11, v10
	s_and_saveexec_b64 s[6:7], vcc
	s_cbranch_execz .LBB58_105
; %bb.104:
	s_waitcnt lgkmcnt(2)
	v_and_b32_e32 v11, 1, v1
	s_waitcnt lgkmcnt(0)
	v_cmp_lt_i64_e32 vcc, v[4:5], v[2:3]
	v_cmp_eq_u32_e64 s[4:5], 1, v11
	v_and_b32_e32 v7, 1, v9
	s_and_b64 vcc, s[4:5], vcc
	v_cndmask_b32_e64 v9, v9, 1, s[4:5]
	v_cndmask_b32_e32 v2, v2, v4, vcc
	v_cndmask_b32_e32 v3, v3, v5, vcc
	v_cmp_eq_u32_e32 vcc, 1, v7
	s_nop 1
	v_cndmask_b32_e32 v9, v1, v9, vcc
	v_cndmask_b32_e32 v3, v5, v3, vcc
	v_cndmask_b32_e32 v2, v4, v2, vcc
	v_and_b32_e32 v7, 0xff, v9
.LBB58_105:
	s_or_b64 exec, exec, s[6:7]
	v_cmp_gt_u32_e32 vcc, 56, v8
	v_add_u32_e32 v11, 8, v8
	s_waitcnt lgkmcnt(2)
	;; [unrolled: 32-line block ×4, first 2 shown]
	v_cndmask_b32_e64 v1, 0, 1, vcc
	v_lshlrev_b32_e32 v1, 5, v1
	s_waitcnt lgkmcnt(0)
	v_add_lshl_u32 v5, v1, v6, 2
	ds_bpermute_b32 v1, v5, v7
	ds_bpermute_b32 v4, v5, v2
	;; [unrolled: 1-line block ×3, first 2 shown]
	v_cmp_lt_u32_e32 vcc, v8, v10
	s_and_saveexec_b64 s[6:7], vcc
	s_cbranch_execz .LBB58_111
; %bb.110:
	s_waitcnt lgkmcnt(2)
	v_and_b32_e32 v8, 1, v1
	s_waitcnt lgkmcnt(0)
	v_cmp_lt_i64_e32 vcc, v[4:5], v[2:3]
	v_cmp_eq_u32_e64 s[4:5], 1, v8
	v_and_b32_e32 v7, 1, v9
	s_and_b64 vcc, s[4:5], vcc
	v_cndmask_b32_e64 v8, v9, 1, s[4:5]
	v_cndmask_b32_e32 v2, v2, v4, vcc
	v_cndmask_b32_e32 v3, v3, v5, vcc
	v_cmp_eq_u32_e32 vcc, 1, v7
	s_nop 1
	v_cndmask_b32_e32 v9, v1, v8, vcc
	v_cndmask_b32_e32 v3, v5, v3, vcc
	;; [unrolled: 1-line block ×3, first 2 shown]
	v_and_b32_e32 v7, 0xff, v9
.LBB58_111:
	s_or_b64 exec, exec, s[6:7]
	v_cmp_eq_u32_e32 vcc, 0, v6
	s_and_saveexec_b64 s[4:5], vcc
	s_cbranch_execz .LBB58_113
; %bb.112:
	s_waitcnt lgkmcnt(2)
	v_lshrrev_b32_e32 v1, 2, v0
	v_and_b32_e32 v1, 48, v1
	ds_write_b8 v1, v9 offset:320
	ds_write_b64 v1, v[2:3] offset:328
.LBB58_113:
	s_or_b64 exec, exec, s[4:5]
	v_cmp_gt_u32_e32 vcc, 4, v0
	s_waitcnt lgkmcnt(0)
	s_barrier
	s_and_saveexec_b64 s[6:7], vcc
	s_cbranch_execz .LBB58_119
; %bb.114:
	v_lshlrev_b32_e32 v2, 4, v6
	ds_read_u8 v1, v2 offset:320
	ds_read_b64 v[2:3], v2 offset:328
	v_and_b32_e32 v8, 3, v6
	v_cmp_ne_u32_e32 vcc, 3, v8
	s_add_i32 s8, s8, 63
	s_waitcnt lgkmcnt(1)
	v_and_b32_e32 v7, 0xff, v1
	v_addc_co_u32_e32 v4, vcc, 0, v6, vcc
	v_lshlrev_b32_e32 v5, 2, v4
	ds_bpermute_b32 v9, v5, v7
	s_waitcnt lgkmcnt(1)
	ds_bpermute_b32 v4, v5, v2
	ds_bpermute_b32 v5, v5, v3
	s_lshr_b32 s10, s8, 6
	v_add_u32_e32 v10, 1, v8
	v_cmp_gt_u32_e32 vcc, s10, v10
	s_and_saveexec_b64 s[8:9], vcc
	s_cbranch_execz .LBB58_116
; %bb.115:
	s_waitcnt lgkmcnt(2)
	v_and_b32_e32 v10, 1, v9
	s_waitcnt lgkmcnt(0)
	v_cmp_lt_i64_e32 vcc, v[4:5], v[2:3]
	v_cmp_eq_u32_e64 s[4:5], 1, v10
	v_and_b32_e32 v7, 1, v1
	s_and_b64 vcc, s[4:5], vcc
	v_cndmask_b32_e64 v1, v1, 1, s[4:5]
	v_cndmask_b32_e32 v2, v2, v4, vcc
	v_cndmask_b32_e32 v3, v3, v5, vcc
	v_cmp_eq_u32_e32 vcc, 1, v7
	s_nop 1
	v_cndmask_b32_e32 v1, v9, v1, vcc
	v_cndmask_b32_e32 v3, v5, v3, vcc
	;; [unrolled: 1-line block ×3, first 2 shown]
	v_and_b32_e32 v7, 0xff, v1
.LBB58_116:
	s_or_b64 exec, exec, s[8:9]
	v_cmp_gt_u32_e32 vcc, 2, v8
	v_add_u32_e32 v8, 2, v8
	s_waitcnt lgkmcnt(1)
	v_cndmask_b32_e64 v4, 0, 1, vcc
	v_lshlrev_b32_e32 v4, 1, v4
	s_waitcnt lgkmcnt(0)
	v_add_lshl_u32 v5, v4, v6, 2
	ds_bpermute_b32 v6, v5, v7
	ds_bpermute_b32 v4, v5, v2
	;; [unrolled: 1-line block ×3, first 2 shown]
	v_cmp_gt_u32_e32 vcc, s10, v8
	s_and_saveexec_b64 s[8:9], vcc
	s_cbranch_execz .LBB58_118
; %bb.117:
	s_waitcnt lgkmcnt(2)
	v_and_b32_e32 v8, 1, v6
	s_waitcnt lgkmcnt(0)
	v_cmp_lt_i64_e32 vcc, v[4:5], v[2:3]
	v_cmp_eq_u32_e64 s[4:5], 1, v8
	v_and_b32_e32 v7, 1, v1
	s_and_b64 vcc, s[4:5], vcc
	v_cndmask_b32_e64 v1, v1, 1, s[4:5]
	v_cndmask_b32_e32 v2, v2, v4, vcc
	v_cndmask_b32_e32 v3, v3, v5, vcc
	v_cmp_eq_u32_e32 vcc, 1, v7
	s_nop 1
	v_cndmask_b32_e32 v1, v6, v1, vcc
	v_cndmask_b32_e32 v3, v5, v3, vcc
	;; [unrolled: 1-line block ×3, first 2 shown]
	v_and_b32_e32 v7, 0xff, v1
.LBB58_118:
	s_or_b64 exec, exec, s[8:9]
.LBB58_119:
	s_or_b64 exec, exec, s[6:7]
.LBB58_120:
	v_cmp_eq_u32_e32 vcc, 0, v0
	s_mov_b64 s[18:19], 0
                                        ; implicit-def: $vgpr4_vgpr5
                                        ; implicit-def: $vgpr1
	s_and_saveexec_b64 s[4:5], vcc
	s_xor_b64 s[8:9], exec, s[4:5]
	s_cbranch_execz .LBB58_124
; %bb.121:
	s_cmp_eq_u64 s[38:39], 0
	s_waitcnt lgkmcnt(0)
	v_mov_b64_e32 v[4:5], s[40:41]
	v_mov_b32_e32 v1, s33
	s_cbranch_scc1 .LBB58_123
; %bb.122:
	v_and_b32_e32 v1, 1, v7
	s_bitcmp1_b32 s33, 0
	v_mov_b32_e32 v4, s33
	v_cmp_eq_u32_e32 vcc, 1, v1
	v_cmp_gt_i64_e64 s[6:7], s[40:41], v[2:3]
	s_cselect_b64 s[4:5], -1, 0
	v_cndmask_b32_e64 v1, v4, 1, vcc
	v_mov_b32_e32 v4, s40
	s_and_b64 vcc, vcc, s[6:7]
	v_mov_b32_e32 v5, s41
	v_cndmask_b32_e32 v4, v4, v2, vcc
	v_cndmask_b32_e32 v5, v5, v3, vcc
	v_cndmask_b32_e64 v1, v7, v1, s[4:5]
	v_cndmask_b32_e64 v5, v3, v5, s[4:5]
	;; [unrolled: 1-line block ×3, first 2 shown]
.LBB58_123:
	s_mov_b64 s[18:19], exec
.LBB58_124:
	s_or_b64 exec, exec, s[8:9]
	s_and_b64 vcc, exec, s[42:43]
	s_cbranch_vccnz .LBB58_28
.LBB58_125:
	s_branch .LBB58_199
.LBB58_126:
	s_mov_b64 s[4:5], -1
                                        ; implicit-def: $vgpr2_vgpr3
                                        ; implicit-def: $vgpr6
.LBB58_127:
	s_and_b64 vcc, exec, s[4:5]
	s_cbranch_vccz .LBB58_172
; %bb.128:
	s_sub_i32 s22, s38, s6
	v_mov_b64_e32 v[14:15], 0
	v_cmp_gt_u32_e32 vcc, s22, v0
	v_mov_b32_e32 v23, 0
	v_mov_b64_e32 v[2:3], v[14:15]
	v_mov_b32_e32 v18, 0
	s_and_saveexec_b64 s[4:5], vcc
	s_cbranch_execz .LBB58_130
; %bb.129:
	v_lshlrev_b32_e32 v1, 4, v0
	global_load_ubyte v18, v1, s[16:17]
	global_load_dwordx2 v[2:3], v1, s[16:17] offset:8
.LBB58_130:
	s_or_b64 exec, exec, s[4:5]
	v_or_b32_e32 v1, 0x100, v0
	v_cmp_gt_u32_e64 s[14:15], s22, v1
	s_and_saveexec_b64 s[4:5], s[14:15]
	s_cbranch_execz .LBB58_132
; %bb.131:
	v_lshlrev_b32_e32 v1, 4, v1
	global_load_ubyte v23, v1, s[16:17]
	global_load_dwordx2 v[14:15], v1, s[16:17] offset:8
.LBB58_132:
	s_or_b64 exec, exec, s[4:5]
	v_or_b32_e32 v1, 0x200, v0
	v_mov_b64_e32 v[10:11], 0
	v_cmp_gt_u32_e64 s[12:13], s22, v1
	v_mov_b32_e32 v21, 0
	v_mov_b64_e32 v[16:17], v[10:11]
	v_mov_b32_e32 v24, 0
	s_and_saveexec_b64 s[4:5], s[12:13]
	s_cbranch_execz .LBB58_134
; %bb.133:
	v_lshlrev_b32_e32 v1, 4, v1
	global_load_ubyte v24, v1, s[16:17]
	global_load_dwordx2 v[16:17], v1, s[16:17] offset:8
.LBB58_134:
	s_or_b64 exec, exec, s[4:5]
	v_or_b32_e32 v1, 0x300, v0
	v_cmp_gt_u32_e64 s[10:11], s22, v1
	s_and_saveexec_b64 s[4:5], s[10:11]
	s_cbranch_execz .LBB58_136
; %bb.135:
	v_lshlrev_b32_e32 v1, 4, v1
	global_load_ubyte v21, v1, s[16:17]
	global_load_dwordx2 v[10:11], v1, s[16:17] offset:8
.LBB58_136:
	s_or_b64 exec, exec, s[4:5]
	v_or_b32_e32 v1, 0x400, v0
	s_waitcnt lgkmcnt(2)
	v_mov_b64_e32 v[6:7], 0
	v_cmp_gt_u32_e64 s[8:9], s22, v1
	v_mov_b32_e32 v19, 0
	v_mov_b64_e32 v[12:13], v[6:7]
	v_mov_b32_e32 v22, 0
	s_and_saveexec_b64 s[4:5], s[8:9]
	s_cbranch_execz .LBB58_138
; %bb.137:
	v_lshlrev_b32_e32 v1, 4, v1
	global_load_ubyte v22, v1, s[16:17]
	global_load_dwordx2 v[12:13], v1, s[16:17] offset:8
.LBB58_138:
	s_or_b64 exec, exec, s[4:5]
	v_or_b32_e32 v1, 0x500, v0
	v_cmp_gt_u32_e64 s[6:7], s22, v1
	s_and_saveexec_b64 s[4:5], s[6:7]
	s_cbranch_execz .LBB58_140
; %bb.139:
	v_lshlrev_b32_e32 v1, 4, v1
	global_load_ubyte v19, v1, s[16:17]
	global_load_dwordx2 v[6:7], v1, s[16:17] offset:8
.LBB58_140:
	s_or_b64 exec, exec, s[4:5]
	v_or_b32_e32 v25, 0x600, v0
	s_waitcnt lgkmcnt(0)
	v_mov_b64_e32 v[4:5], 0
	v_cmp_gt_u32_e64 s[4:5], s22, v25
	v_mov_b32_e32 v1, 0
	v_mov_b32_e32 v20, 0
	v_mov_b64_e32 v[8:9], v[4:5]
	s_and_saveexec_b64 s[20:21], s[4:5]
	s_cbranch_execz .LBB58_142
; %bb.141:
	v_lshlrev_b32_e32 v25, 4, v25
	global_load_ubyte v20, v25, s[16:17]
	global_load_dwordx2 v[8:9], v25, s[16:17] offset:8
.LBB58_142:
	s_or_b64 exec, exec, s[20:21]
	v_or_b32_e32 v25, 0x700, v0
	v_cmp_gt_u32_e32 vcc, s22, v25
	s_and_saveexec_b64 s[20:21], vcc
	s_cbranch_execnz .LBB58_365
; %bb.143:
	s_or_b64 exec, exec, s[20:21]
	s_and_saveexec_b64 s[20:21], s[14:15]
	s_cbranch_execnz .LBB58_366
.LBB58_144:
	s_or_b64 exec, exec, s[20:21]
	s_and_saveexec_b64 s[16:17], s[12:13]
	s_cbranch_execnz .LBB58_367
.LBB58_145:
	s_or_b64 exec, exec, s[16:17]
	s_and_saveexec_b64 s[14:15], s[10:11]
	s_cbranch_execnz .LBB58_368
.LBB58_146:
	s_or_b64 exec, exec, s[14:15]
	s_and_saveexec_b64 s[12:13], s[8:9]
	s_cbranch_execnz .LBB58_369
.LBB58_147:
	s_or_b64 exec, exec, s[12:13]
	s_and_saveexec_b64 s[10:11], s[6:7]
	s_cbranch_execnz .LBB58_370
.LBB58_148:
	s_or_b64 exec, exec, s[10:11]
	s_and_saveexec_b64 s[8:9], s[4:5]
	s_cbranch_execnz .LBB58_371
.LBB58_149:
	s_or_b64 exec, exec, s[8:9]
	s_and_saveexec_b64 s[6:7], vcc
	s_cbranch_execz .LBB58_151
.LBB58_150:
	s_waitcnt vmcnt(0)
	v_and_b32_e32 v7, 1, v1
	v_cmp_lt_i64_e32 vcc, v[4:5], v[2:3]
	v_cmp_eq_u32_e64 s[4:5], 1, v7
	v_and_b32_e32 v6, 1, v18
	s_and_b64 vcc, s[4:5], vcc
	v_cndmask_b32_e64 v7, v18, 1, s[4:5]
	v_cndmask_b32_e32 v2, v2, v4, vcc
	v_cndmask_b32_e32 v3, v3, v5, vcc
	v_cmp_eq_u32_e32 vcc, 1, v6
	s_nop 1
	v_cndmask_b32_e32 v18, v1, v7, vcc
	v_cndmask_b32_e32 v3, v5, v3, vcc
	;; [unrolled: 1-line block ×3, first 2 shown]
.LBB58_151:
	s_or_b64 exec, exec, s[6:7]
	s_waitcnt vmcnt(1)
	v_mbcnt_lo_u32_b32 v1, -1, 0
	v_mbcnt_hi_u32_b32 v1, -1, v1
	s_waitcnt vmcnt(0)
	v_and_b32_e32 v7, 63, v1
	v_cmp_ne_u32_e32 vcc, 63, v7
	v_and_b32_e32 v6, 0xff, v18
	s_min_u32 s8, s22, 0x100
	v_addc_co_u32_e32 v4, vcc, 0, v1, vcc
	v_lshlrev_b32_e32 v5, 2, v4
	ds_bpermute_b32 v10, v5, v6
	ds_bpermute_b32 v4, v5, v2
	;; [unrolled: 1-line block ×3, first 2 shown]
	v_and_b32_e32 v8, 0xc0, v0
	v_sub_u32_e64 v9, s8, v8 clamp
	v_add_u32_e32 v8, 1, v7
	v_cmp_lt_u32_e32 vcc, v8, v9
	v_mov_b32_e32 v8, v6
	s_and_saveexec_b64 s[4:5], vcc
	s_xor_b64 s[6:7], exec, s[4:5]
	s_cbranch_execz .LBB58_153
; %bb.152:
	s_waitcnt lgkmcnt(2)
	v_and_b32_e32 v11, 1, v10
	s_waitcnt lgkmcnt(0)
	v_cmp_lt_i64_e32 vcc, v[4:5], v[2:3]
	v_cmp_eq_u32_e64 s[4:5], 1, v11
	v_and_b32_e32 v8, 1, v18
	s_and_b64 vcc, s[4:5], vcc
	v_cndmask_b32_e64 v6, v6, 1, s[4:5]
	v_cndmask_b32_e32 v2, v2, v4, vcc
	v_cndmask_b32_e32 v3, v3, v5, vcc
	v_cmp_eq_u32_e32 vcc, 1, v8
	s_nop 1
	v_cndmask_b32_e32 v8, v10, v6, vcc
	v_cndmask_b32_e32 v3, v5, v3, vcc
	v_cndmask_b32_e32 v2, v4, v2, vcc
	v_and_b32_e32 v6, 0xff, v8
.LBB58_153:
	s_or_b64 exec, exec, s[6:7]
	v_cmp_gt_u32_e32 vcc, 62, v7
	v_add_u32_e32 v11, 2, v7
	s_waitcnt lgkmcnt(1)
	v_cndmask_b32_e64 v4, 0, 1, vcc
	v_lshlrev_b32_e32 v4, 1, v4
	s_waitcnt lgkmcnt(0)
	v_add_lshl_u32 v5, v4, v1, 2
	ds_bpermute_b32 v10, v5, v6
	ds_bpermute_b32 v4, v5, v2
	ds_bpermute_b32 v5, v5, v3
	v_cmp_lt_u32_e32 vcc, v11, v9
	s_and_saveexec_b64 s[6:7], vcc
	s_cbranch_execz .LBB58_155
; %bb.154:
	s_waitcnt lgkmcnt(2)
	v_and_b32_e32 v11, 1, v10
	s_waitcnt lgkmcnt(0)
	v_cmp_lt_i64_e32 vcc, v[4:5], v[2:3]
	v_cmp_eq_u32_e64 s[4:5], 1, v11
	v_and_b32_e32 v6, 1, v8
	s_and_b64 vcc, s[4:5], vcc
	v_cndmask_b32_e64 v8, v8, 1, s[4:5]
	v_cndmask_b32_e32 v2, v2, v4, vcc
	v_cndmask_b32_e32 v3, v3, v5, vcc
	v_cmp_eq_u32_e32 vcc, 1, v6
	s_nop 1
	v_cndmask_b32_e32 v8, v10, v8, vcc
	v_cndmask_b32_e32 v3, v5, v3, vcc
	v_cndmask_b32_e32 v2, v4, v2, vcc
	v_and_b32_e32 v6, 0xff, v8
.LBB58_155:
	s_or_b64 exec, exec, s[6:7]
	v_cmp_gt_u32_e32 vcc, 60, v7
	v_add_u32_e32 v11, 4, v7
	s_waitcnt lgkmcnt(1)
	v_cndmask_b32_e64 v4, 0, 1, vcc
	v_lshlrev_b32_e32 v4, 2, v4
	s_waitcnt lgkmcnt(0)
	v_add_lshl_u32 v5, v4, v1, 2
	ds_bpermute_b32 v10, v5, v6
	ds_bpermute_b32 v4, v5, v2
	ds_bpermute_b32 v5, v5, v3
	v_cmp_lt_u32_e32 vcc, v11, v9
	s_and_saveexec_b64 s[6:7], vcc
	;; [unrolled: 32-line block ×5, first 2 shown]
	s_cbranch_execz .LBB58_163
; %bb.162:
	s_waitcnt lgkmcnt(2)
	v_and_b32_e32 v7, 1, v10
	s_waitcnt lgkmcnt(0)
	v_cmp_lt_i64_e32 vcc, v[4:5], v[2:3]
	v_cmp_eq_u32_e64 s[4:5], 1, v7
	v_and_b32_e32 v6, 1, v8
	s_and_b64 vcc, s[4:5], vcc
	v_cndmask_b32_e64 v7, v8, 1, s[4:5]
	v_cndmask_b32_e32 v2, v2, v4, vcc
	v_cndmask_b32_e32 v3, v3, v5, vcc
	v_cmp_eq_u32_e32 vcc, 1, v6
	s_nop 1
	v_cndmask_b32_e32 v8, v10, v7, vcc
	v_cndmask_b32_e32 v3, v5, v3, vcc
	;; [unrolled: 1-line block ×3, first 2 shown]
	v_and_b32_e32 v6, 0xff, v8
.LBB58_163:
	s_or_b64 exec, exec, s[6:7]
	v_cmp_eq_u32_e32 vcc, 0, v1
	s_and_saveexec_b64 s[4:5], vcc
	s_cbranch_execz .LBB58_165
; %bb.164:
	s_waitcnt lgkmcnt(1)
	v_lshrrev_b32_e32 v4, 2, v0
	v_and_b32_e32 v4, 48, v4
	ds_write_b8 v4, v8 offset:320
	ds_write_b64 v4, v[2:3] offset:328
.LBB58_165:
	s_or_b64 exec, exec, s[4:5]
	v_cmp_gt_u32_e32 vcc, 4, v0
	s_waitcnt lgkmcnt(0)
	s_barrier
	s_and_saveexec_b64 s[6:7], vcc
	s_cbranch_execz .LBB58_171
; %bb.166:
	v_lshlrev_b32_e32 v2, 4, v1
	ds_read_u8 v7, v2 offset:320
	ds_read_b64 v[2:3], v2 offset:328
	v_and_b32_e32 v8, 3, v1
	v_cmp_ne_u32_e32 vcc, 3, v8
	s_add_i32 s8, s8, 63
	s_waitcnt lgkmcnt(1)
	v_and_b32_e32 v6, 0xff, v7
	v_addc_co_u32_e32 v4, vcc, 0, v1, vcc
	v_lshlrev_b32_e32 v5, 2, v4
	ds_bpermute_b32 v9, v5, v6
	s_waitcnt lgkmcnt(1)
	ds_bpermute_b32 v4, v5, v2
	ds_bpermute_b32 v5, v5, v3
	s_lshr_b32 s10, s8, 6
	v_add_u32_e32 v10, 1, v8
	v_cmp_gt_u32_e32 vcc, s10, v10
	s_and_saveexec_b64 s[8:9], vcc
	s_cbranch_execz .LBB58_168
; %bb.167:
	s_waitcnt lgkmcnt(2)
	v_and_b32_e32 v10, 1, v9
	s_waitcnt lgkmcnt(0)
	v_cmp_lt_i64_e32 vcc, v[4:5], v[2:3]
	v_cmp_eq_u32_e64 s[4:5], 1, v10
	v_and_b32_e32 v6, 1, v7
	s_and_b64 vcc, s[4:5], vcc
	v_cndmask_b32_e64 v7, v7, 1, s[4:5]
	v_cndmask_b32_e32 v2, v2, v4, vcc
	v_cndmask_b32_e32 v3, v3, v5, vcc
	v_cmp_eq_u32_e32 vcc, 1, v6
	s_nop 1
	v_cndmask_b32_e32 v7, v9, v7, vcc
	v_cndmask_b32_e32 v3, v5, v3, vcc
	v_cndmask_b32_e32 v2, v4, v2, vcc
	v_and_b32_e32 v6, 0xff, v7
.LBB58_168:
	s_or_b64 exec, exec, s[8:9]
	v_cmp_gt_u32_e32 vcc, 2, v8
	v_add_u32_e32 v8, 2, v8
	s_waitcnt lgkmcnt(1)
	v_cndmask_b32_e64 v4, 0, 1, vcc
	v_lshlrev_b32_e32 v4, 1, v4
	s_waitcnt lgkmcnt(0)
	v_add_lshl_u32 v5, v4, v1, 2
	ds_bpermute_b32 v1, v5, v6
	ds_bpermute_b32 v4, v5, v2
	;; [unrolled: 1-line block ×3, first 2 shown]
	v_cmp_gt_u32_e32 vcc, s10, v8
	s_and_saveexec_b64 s[8:9], vcc
	s_cbranch_execz .LBB58_170
; %bb.169:
	s_waitcnt lgkmcnt(2)
	v_and_b32_e32 v8, 1, v1
	s_waitcnt lgkmcnt(0)
	v_cmp_lt_i64_e32 vcc, v[4:5], v[2:3]
	v_cmp_eq_u32_e64 s[4:5], 1, v8
	v_and_b32_e32 v6, 1, v7
	s_and_b64 vcc, s[4:5], vcc
	v_cndmask_b32_e64 v7, v7, 1, s[4:5]
	v_cndmask_b32_e32 v2, v2, v4, vcc
	v_cndmask_b32_e32 v3, v3, v5, vcc
	v_cmp_eq_u32_e32 vcc, 1, v6
	s_nop 1
	v_cndmask_b32_e32 v1, v1, v7, vcc
	v_cndmask_b32_e32 v3, v5, v3, vcc
	;; [unrolled: 1-line block ×3, first 2 shown]
	v_and_b32_e32 v6, 0xff, v1
.LBB58_170:
	s_or_b64 exec, exec, s[8:9]
.LBB58_171:
	s_or_b64 exec, exec, s[6:7]
.LBB58_172:
	v_cmp_eq_u32_e32 vcc, 0, v0
                                        ; implicit-def: $vgpr4_vgpr5
                                        ; implicit-def: $vgpr1
	s_and_saveexec_b64 s[4:5], vcc
	s_xor_b64 s[8:9], exec, s[4:5]
	s_cbranch_execz .LBB58_176
; %bb.173:
	s_cmp_eq_u64 s[38:39], 0
	s_waitcnt lgkmcnt(0)
	v_mov_b64_e32 v[4:5], s[40:41]
	v_mov_b32_e32 v1, s33
	s_cbranch_scc1 .LBB58_175
; %bb.174:
	v_and_b32_e32 v1, 1, v6
	s_bitcmp1_b32 s33, 0
	v_mov_b32_e32 v4, s33
	v_cmp_eq_u32_e32 vcc, 1, v1
	v_cmp_gt_i64_e64 s[6:7], s[40:41], v[2:3]
	s_cselect_b64 s[4:5], -1, 0
	v_cndmask_b32_e64 v1, v4, 1, vcc
	v_mov_b32_e32 v4, s40
	s_and_b64 vcc, vcc, s[6:7]
	v_mov_b32_e32 v5, s41
	v_cndmask_b32_e32 v4, v4, v2, vcc
	v_cndmask_b32_e32 v5, v5, v3, vcc
	v_cndmask_b32_e64 v1, v6, v1, s[4:5]
	v_cndmask_b32_e64 v5, v3, v5, s[4:5]
	;; [unrolled: 1-line block ×3, first 2 shown]
.LBB58_175:
	s_or_b64 s[18:19], s[18:19], exec
.LBB58_176:
	s_or_b64 exec, exec, s[8:9]
	s_branch .LBB58_199
.LBB58_177:
	s_cmp_eq_u32 s46, 4
	s_cbranch_scc0 .LBB58_198
; %bb.178:
	s_mov_b32 s3, 0
	s_lshl_b32 s6, s2, 10
	s_mov_b32 s7, s3
	s_lshr_b64 s[4:5], s[38:39], 10
	s_lshl_b64 s[8:9], s[6:7], 4
	s_add_u32 s8, s36, s8
	s_addc_u32 s9, s37, s9
	s_cmp_lg_u64 s[4:5], s[2:3]
	s_cbranch_scc0 .LBB58_200
; %bb.179:
	v_lshlrev_b32_e32 v14, 4, v0
	v_mov_b32_e32 v15, 0
	v_lshl_add_u64 v[8:9], s[8:9], 0, v[14:15]
	v_add_co_u32_e32 v2, vcc, 0x1000, v8
	s_nop 1
	v_addc_co_u32_e32 v3, vcc, 0, v9, vcc
	v_add_co_u32_e32 v12, vcc, 0x2000, v8
	s_nop 1
	v_addc_co_u32_e32 v13, vcc, 0, v9, vcc
	global_load_ubyte v11, v[2:3], off
	s_waitcnt lgkmcnt(2)
	global_load_dwordx2 v[6:7], v[2:3], off offset:8
	global_load_ubyte v10, v[12:13], off
	s_waitcnt lgkmcnt(0)
	global_load_dwordx2 v[4:5], v[12:13], off offset:8
	v_add_co_u32_e32 v16, vcc, 0x3000, v8
	s_nop 1
	v_addc_co_u32_e32 v17, vcc, 0, v9, vcc
	global_load_ubyte v12, v14, s[8:9]
	global_load_ubyte v1, v[16:17], off
	global_load_dwordx2 v[2:3], v[16:17], off offset:8
	s_waitcnt vmcnt(2)
	v_and_b32_e32 v13, 1, v12
	v_cmp_eq_u32_e32 vcc, 1, v13
	s_and_saveexec_b64 s[10:11], vcc
	s_cbranch_execz .LBB58_181
; %bb.180:
	global_load_dwordx2 v[8:9], v[8:9], off offset:8
	v_and_b32_e32 v11, 1, v11
	v_cmp_eq_u32_e32 vcc, 1, v11
	s_waitcnt vmcnt(0)
	v_cmp_lt_i64_e64 s[4:5], v[6:7], v[8:9]
	s_nop 1
	v_cndmask_b32_e64 v7, v9, v7, s[4:5]
	v_cndmask_b32_e64 v11, v12, 1, vcc
	v_cndmask_b32_e32 v7, v9, v7, vcc
	s_and_b64 vcc, vcc, s[4:5]
	v_cndmask_b32_e32 v6, v8, v6, vcc
.LBB58_181:
	s_or_b64 exec, exec, s[10:11]
	v_and_b32_e32 v9, 1, v10
	v_cmp_lt_i64_e32 vcc, v[4:5], v[6:7]
	v_cmp_eq_u32_e64 s[4:5], 1, v9
	v_and_b32_e32 v8, 1, v11
	s_and_b64 vcc, s[4:5], vcc
	v_cndmask_b32_e32 v6, v6, v4, vcc
	v_cndmask_b32_e32 v7, v7, v5, vcc
	v_cmp_eq_u32_e32 vcc, 1, v8
	v_cndmask_b32_e64 v9, v11, 1, s[4:5]
	s_nop 0
	v_cndmask_b32_e32 v5, v5, v7, vcc
	v_cndmask_b32_e32 v4, v4, v6, vcc
	s_waitcnt vmcnt(1)
	v_and_b32_e32 v7, 1, v1
	v_cndmask_b32_e32 v8, v10, v9, vcc
	s_waitcnt vmcnt(0)
	v_cmp_lt_i64_e32 vcc, v[2:3], v[4:5]
	v_cmp_eq_u32_e64 s[4:5], 1, v7
	v_and_b32_e32 v6, 1, v8
	s_and_b64 vcc, s[4:5], vcc
	v_cndmask_b32_e64 v7, v8, 1, s[4:5]
	v_cndmask_b32_e32 v4, v4, v2, vcc
	v_cndmask_b32_e32 v5, v5, v3, vcc
	v_cmp_eq_u32_e32 vcc, 1, v6
	s_nop 1
	v_cndmask_b32_e32 v7, v1, v7, vcc
	v_and_b32_e32 v1, 0xff, v7
	v_cndmask_b32_e32 v3, v3, v5, vcc
	v_cndmask_b32_e32 v2, v2, v4, vcc
	v_mov_b32_dpp v6, v1 quad_perm:[1,0,3,2] row_mask:0xf bank_mask:0xf bound_ctrl:1
	v_and_b32_e32 v8, 1, v6
	v_and_b32_e32 v7, 1, v7
	v_mov_b32_dpp v4, v2 quad_perm:[1,0,3,2] row_mask:0xf bank_mask:0xf bound_ctrl:1
	v_mov_b32_dpp v5, v3 quad_perm:[1,0,3,2] row_mask:0xf bank_mask:0xf bound_ctrl:1
	v_cmp_eq_u32_e32 vcc, 1, v8
	v_cmp_eq_u32_e64 s[4:5], 1, v7
	s_and_saveexec_b64 s[10:11], vcc
	s_xor_b64 s[10:11], exec, s[10:11]
; %bb.182:
	v_cmp_lt_i64_e32 vcc, v[2:3], v[4:5]
	v_cndmask_b32_e64 v6, v6, 1, s[4:5]
	s_and_b64 vcc, s[4:5], vcc
	v_cndmask_b32_e32 v2, v4, v2, vcc
	v_and_b32_e32 v4, 1, v6
	v_cndmask_b32_e32 v3, v5, v3, vcc
	v_cmp_eq_u32_e32 vcc, 1, v4
	s_andn2_b64 s[4:5], s[4:5], exec
	s_and_b64 s[12:13], vcc, exec
	v_and_b32_e32 v1, 0xff, v6
	s_or_b64 s[4:5], s[4:5], s[12:13]
; %bb.183:
	s_or_b64 exec, exec, s[10:11]
	v_mov_b32_dpp v6, v1 quad_perm:[2,3,0,1] row_mask:0xf bank_mask:0xf bound_ctrl:1
	v_and_b32_e32 v7, 1, v6
	v_mov_b32_dpp v4, v2 quad_perm:[2,3,0,1] row_mask:0xf bank_mask:0xf bound_ctrl:1
	v_mov_b32_dpp v5, v3 quad_perm:[2,3,0,1] row_mask:0xf bank_mask:0xf bound_ctrl:1
	v_cmp_eq_u32_e32 vcc, 1, v7
	s_and_saveexec_b64 s[10:11], vcc
; %bb.184:
	v_cmp_lt_i64_e32 vcc, v[2:3], v[4:5]
	v_cndmask_b32_e64 v6, v6, 1, s[4:5]
	s_and_b64 vcc, s[4:5], vcc
	v_cndmask_b32_e32 v2, v4, v2, vcc
	v_and_b32_e32 v4, 1, v6
	v_cndmask_b32_e32 v3, v5, v3, vcc
	v_cmp_eq_u32_e32 vcc, 1, v4
	s_andn2_b64 s[4:5], s[4:5], exec
	s_and_b64 s[12:13], vcc, exec
	v_and_b32_e32 v1, 0xff, v6
	s_or_b64 s[4:5], s[4:5], s[12:13]
; %bb.185:
	s_or_b64 exec, exec, s[10:11]
	v_mov_b32_dpp v6, v1 row_ror:4 row_mask:0xf bank_mask:0xf bound_ctrl:1
	v_and_b32_e32 v7, 1, v6
	v_mov_b32_dpp v4, v2 row_ror:4 row_mask:0xf bank_mask:0xf bound_ctrl:1
	v_mov_b32_dpp v5, v3 row_ror:4 row_mask:0xf bank_mask:0xf bound_ctrl:1
	v_cmp_eq_u32_e32 vcc, 1, v7
	s_and_saveexec_b64 s[10:11], vcc
; %bb.186:
	v_cmp_lt_i64_e32 vcc, v[2:3], v[4:5]
	v_cndmask_b32_e64 v6, v6, 1, s[4:5]
	s_and_b64 vcc, s[4:5], vcc
	v_cndmask_b32_e32 v2, v4, v2, vcc
	v_and_b32_e32 v4, 1, v6
	v_cndmask_b32_e32 v3, v5, v3, vcc
	v_cmp_eq_u32_e32 vcc, 1, v4
	s_andn2_b64 s[4:5], s[4:5], exec
	s_and_b64 s[12:13], vcc, exec
	v_and_b32_e32 v1, 0xff, v6
	s_or_b64 s[4:5], s[4:5], s[12:13]
; %bb.187:
	s_or_b64 exec, exec, s[10:11]
	v_mov_b32_dpp v6, v1 row_ror:8 row_mask:0xf bank_mask:0xf bound_ctrl:1
	v_and_b32_e32 v7, 1, v6
	v_mov_b32_dpp v4, v2 row_ror:8 row_mask:0xf bank_mask:0xf bound_ctrl:1
	v_mov_b32_dpp v5, v3 row_ror:8 row_mask:0xf bank_mask:0xf bound_ctrl:1
	v_cmp_eq_u32_e32 vcc, 1, v7
	s_and_saveexec_b64 s[10:11], vcc
; %bb.188:
	v_cmp_lt_i64_e32 vcc, v[2:3], v[4:5]
	v_cndmask_b32_e64 v6, v6, 1, s[4:5]
	s_and_b64 vcc, s[4:5], vcc
	v_cndmask_b32_e32 v2, v4, v2, vcc
	v_and_b32_e32 v4, 1, v6
	v_cndmask_b32_e32 v3, v5, v3, vcc
	v_cmp_eq_u32_e32 vcc, 1, v4
	s_andn2_b64 s[4:5], s[4:5], exec
	s_and_b64 s[12:13], vcc, exec
	v_and_b32_e32 v1, 0xff, v6
	s_or_b64 s[4:5], s[4:5], s[12:13]
; %bb.189:
	s_or_b64 exec, exec, s[10:11]
	v_mov_b32_dpp v6, v1 row_bcast:15 row_mask:0xf bank_mask:0xf bound_ctrl:1
	v_and_b32_e32 v7, 1, v6
	v_mov_b32_dpp v4, v2 row_bcast:15 row_mask:0xf bank_mask:0xf bound_ctrl:1
	v_mov_b32_dpp v5, v3 row_bcast:15 row_mask:0xf bank_mask:0xf bound_ctrl:1
	v_cmp_eq_u32_e32 vcc, 1, v7
	s_and_saveexec_b64 s[10:11], vcc
; %bb.190:
	v_cmp_lt_i64_e32 vcc, v[2:3], v[4:5]
	v_cndmask_b32_e64 v6, v6, 1, s[4:5]
	s_and_b64 vcc, s[4:5], vcc
	v_cndmask_b32_e32 v2, v4, v2, vcc
	v_and_b32_e32 v4, 1, v6
	v_cndmask_b32_e32 v3, v5, v3, vcc
	v_cmp_eq_u32_e32 vcc, 1, v4
	s_andn2_b64 s[4:5], s[4:5], exec
	s_and_b64 s[12:13], vcc, exec
	v_and_b32_e32 v1, 0xff, v6
	s_or_b64 s[4:5], s[4:5], s[12:13]
; %bb.191:
	s_or_b64 exec, exec, s[10:11]
	v_mov_b32_dpp v6, v1 row_bcast:31 row_mask:0xf bank_mask:0xf bound_ctrl:1
	v_and_b32_e32 v7, 1, v6
	v_mov_b32_dpp v4, v2 row_bcast:31 row_mask:0xf bank_mask:0xf bound_ctrl:1
	v_mov_b32_dpp v5, v3 row_bcast:31 row_mask:0xf bank_mask:0xf bound_ctrl:1
	v_cmp_eq_u32_e32 vcc, 1, v7
	s_and_saveexec_b64 s[10:11], vcc
; %bb.192:
	v_cmp_lt_i64_e32 vcc, v[2:3], v[4:5]
	v_and_b32_e32 v1, 0xff, v6
	s_and_b64 vcc, s[4:5], vcc
	v_cndmask_b32_e32 v2, v4, v2, vcc
	v_cndmask_b32_e32 v3, v5, v3, vcc
	v_cndmask_b32_e64 v1, v1, 1, s[4:5]
; %bb.193:
	s_or_b64 exec, exec, s[10:11]
	v_mbcnt_lo_u32_b32 v4, -1, 0
	v_mbcnt_hi_u32_b32 v4, -1, v4
	v_bfrev_b32_e32 v5, 0.5
	v_lshl_or_b32 v5, v4, 2, v5
	ds_bpermute_b32 v6, v5, v1
	ds_bpermute_b32 v2, v5, v2
	;; [unrolled: 1-line block ×3, first 2 shown]
	v_cmp_eq_u32_e32 vcc, 0, v4
	s_and_saveexec_b64 s[4:5], vcc
	s_cbranch_execz .LBB58_195
; %bb.194:
	v_lshrrev_b32_e32 v1, 2, v0
	v_and_b32_e32 v1, 48, v1
	s_waitcnt lgkmcnt(2)
	ds_write_b8 v1, v6 offset:192
	s_waitcnt lgkmcnt(1)
	ds_write_b64 v1, v[2:3] offset:200
.LBB58_195:
	s_or_b64 exec, exec, s[4:5]
	v_cmp_gt_u32_e32 vcc, 64, v0
	s_waitcnt lgkmcnt(0)
	s_barrier
	s_and_saveexec_b64 s[10:11], vcc
	s_cbranch_execz .LBB58_197
; %bb.196:
	v_and_b32_e32 v1, 3, v4
	v_lshlrev_b32_e32 v2, 4, v1
	ds_read_u8 v5, v2 offset:192
	ds_read_b64 v[2:3], v2 offset:200
	v_cmp_ne_u32_e32 vcc, 3, v1
	s_waitcnt lgkmcnt(1)
	v_and_b32_e32 v7, 0xff, v5
	v_addc_co_u32_e32 v6, vcc, 0, v4, vcc
	v_lshlrev_b32_e32 v8, 2, v6
	ds_bpermute_b32 v9, v8, v7
	s_waitcnt lgkmcnt(1)
	ds_bpermute_b32 v6, v8, v2
	ds_bpermute_b32 v7, v8, v3
	v_and_b32_e32 v8, 1, v5
	s_waitcnt lgkmcnt(2)
	v_and_b32_e32 v10, 1, v9
	v_cmp_eq_u32_e64 s[4:5], 1, v10
	s_waitcnt lgkmcnt(0)
	v_cmp_lt_i64_e32 vcc, v[6:7], v[2:3]
	s_and_b64 vcc, s[4:5], vcc
	v_cndmask_b32_e64 v5, v5, 1, s[4:5]
	v_cndmask_b32_e32 v2, v2, v6, vcc
	v_cndmask_b32_e32 v3, v3, v7, vcc
	v_cmp_eq_u32_e32 vcc, 1, v8
	s_nop 1
	v_cndmask_b32_e32 v8, v9, v5, vcc
	v_cndmask_b32_e32 v3, v7, v3, vcc
	;; [unrolled: 1-line block ×3, first 2 shown]
	v_cmp_gt_u32_e32 vcc, 2, v1
	v_and_b32_e32 v5, 0xff, v8
	s_nop 0
	v_cndmask_b32_e64 v1, 0, 1, vcc
	v_lshlrev_b32_e32 v1, 1, v1
	v_add_lshl_u32 v1, v1, v4, 2
	ds_bpermute_b32 v6, v1, v5
	ds_bpermute_b32 v4, v1, v2
	ds_bpermute_b32 v5, v1, v3
	v_and_b32_e32 v1, 1, v8
	s_waitcnt lgkmcnt(2)
	v_and_b32_e32 v7, 1, v6
	v_cmp_eq_u32_e64 s[4:5], 1, v7
	s_waitcnt lgkmcnt(0)
	v_cmp_lt_i64_e32 vcc, v[4:5], v[2:3]
	s_and_b64 vcc, s[4:5], vcc
	v_cndmask_b32_e64 v7, v8, 1, s[4:5]
	v_cndmask_b32_e32 v2, v2, v4, vcc
	v_cndmask_b32_e32 v3, v3, v5, vcc
	v_cmp_eq_u32_e32 vcc, 1, v1
	s_nop 1
	v_cndmask_b32_e32 v1, v6, v7, vcc
	v_cndmask_b32_e32 v3, v5, v3, vcc
	;; [unrolled: 1-line block ×3, first 2 shown]
	v_and_b32_e32 v6, 0xff, v1
.LBB58_197:
	s_or_b64 exec, exec, s[10:11]
	s_branch .LBB58_233
.LBB58_198:
                                        ; implicit-def: $vgpr4_vgpr5
                                        ; implicit-def: $vgpr1
.LBB58_199:
	s_branch .LBB58_315
.LBB58_200:
                                        ; implicit-def: $vgpr2_vgpr3
                                        ; implicit-def: $vgpr6
	s_cbranch_execz .LBB58_233
; %bb.201:
	s_sub_i32 s12, s38, s6
	s_waitcnt lgkmcnt(2)
	v_mov_b64_e32 v[6:7], 0
	v_cmp_gt_u32_e32 vcc, s12, v0
	v_mov_b32_e32 v11, 0
	v_mov_b64_e32 v[2:3], v[6:7]
	v_mov_b32_e32 v10, 0
	s_and_saveexec_b64 s[4:5], vcc
	s_cbranch_execz .LBB58_203
; %bb.202:
	v_lshlrev_b32_e32 v1, 4, v0
	global_load_ubyte v10, v1, s[8:9]
	global_load_dwordx2 v[2:3], v1, s[8:9] offset:8
.LBB58_203:
	s_or_b64 exec, exec, s[4:5]
	v_or_b32_e32 v1, 0x100, v0
	v_cmp_gt_u32_e64 s[6:7], s12, v1
	s_and_saveexec_b64 s[4:5], s[6:7]
	s_cbranch_execz .LBB58_205
; %bb.204:
	v_lshlrev_b32_e32 v1, 4, v1
	global_load_ubyte v11, v1, s[8:9]
	global_load_dwordx2 v[6:7], v1, s[8:9] offset:8
.LBB58_205:
	s_or_b64 exec, exec, s[4:5]
	v_or_b32_e32 v13, 0x200, v0
	s_waitcnt lgkmcnt(0)
	v_mov_b64_e32 v[4:5], 0
	v_cmp_gt_u32_e64 s[4:5], s12, v13
	v_mov_b32_e32 v1, 0
	v_mov_b64_e32 v[8:9], v[4:5]
	v_mov_b32_e32 v12, 0
	s_and_saveexec_b64 s[10:11], s[4:5]
	s_cbranch_execz .LBB58_207
; %bb.206:
	v_lshlrev_b32_e32 v13, 4, v13
	global_load_ubyte v12, v13, s[8:9]
	global_load_dwordx2 v[8:9], v13, s[8:9] offset:8
.LBB58_207:
	s_or_b64 exec, exec, s[10:11]
	v_or_b32_e32 v13, 0x300, v0
	v_cmp_gt_u32_e32 vcc, s12, v13
	s_and_saveexec_b64 s[10:11], vcc
	s_cbranch_execnz .LBB58_347
; %bb.208:
	s_or_b64 exec, exec, s[10:11]
	s_and_saveexec_b64 s[10:11], s[6:7]
	s_cbranch_execnz .LBB58_348
.LBB58_209:
	s_or_b64 exec, exec, s[10:11]
	s_and_saveexec_b64 s[8:9], s[4:5]
	s_cbranch_execnz .LBB58_349
.LBB58_210:
	s_or_b64 exec, exec, s[8:9]
	s_and_saveexec_b64 s[6:7], vcc
	s_cbranch_execz .LBB58_212
.LBB58_211:
	s_waitcnt vmcnt(0)
	v_and_b32_e32 v7, 1, v1
	v_cmp_lt_i64_e32 vcc, v[4:5], v[2:3]
	v_cmp_eq_u32_e64 s[4:5], 1, v7
	v_and_b32_e32 v6, 1, v10
	s_and_b64 vcc, s[4:5], vcc
	v_cndmask_b32_e64 v7, v10, 1, s[4:5]
	v_cndmask_b32_e32 v2, v2, v4, vcc
	v_cndmask_b32_e32 v3, v3, v5, vcc
	v_cmp_eq_u32_e32 vcc, 1, v6
	s_nop 1
	v_cndmask_b32_e32 v10, v1, v7, vcc
	v_cndmask_b32_e32 v3, v5, v3, vcc
	;; [unrolled: 1-line block ×3, first 2 shown]
.LBB58_212:
	s_or_b64 exec, exec, s[6:7]
	s_waitcnt vmcnt(1)
	v_mbcnt_lo_u32_b32 v1, -1, 0
	v_mbcnt_hi_u32_b32 v1, -1, v1
	s_waitcnt vmcnt(0)
	v_and_b32_e32 v7, 63, v1
	v_cmp_ne_u32_e32 vcc, 63, v7
	v_and_b32_e32 v6, 0xff, v10
	s_min_u32 s8, s12, 0x100
	v_addc_co_u32_e32 v4, vcc, 0, v1, vcc
	v_lshlrev_b32_e32 v5, 2, v4
	ds_bpermute_b32 v11, v5, v6
	ds_bpermute_b32 v4, v5, v2
	;; [unrolled: 1-line block ×3, first 2 shown]
	v_and_b32_e32 v8, 0xc0, v0
	v_sub_u32_e64 v9, s8, v8 clamp
	v_add_u32_e32 v8, 1, v7
	v_cmp_lt_u32_e32 vcc, v8, v9
	v_mov_b32_e32 v8, v6
	s_and_saveexec_b64 s[4:5], vcc
	s_xor_b64 s[6:7], exec, s[4:5]
	s_cbranch_execz .LBB58_214
; %bb.213:
	v_and_b32_e32 v8, 1, v10
	s_waitcnt lgkmcnt(2)
	v_and_b32_e32 v10, 1, v11
	s_waitcnt lgkmcnt(0)
	v_cmp_lt_i64_e32 vcc, v[4:5], v[2:3]
	v_cmp_eq_u32_e64 s[4:5], 1, v10
	s_and_b64 vcc, s[4:5], vcc
	v_cndmask_b32_e32 v2, v2, v4, vcc
	v_cndmask_b32_e64 v6, v6, 1, s[4:5]
	v_cndmask_b32_e32 v3, v3, v5, vcc
	v_cmp_eq_u32_e32 vcc, 1, v8
	s_nop 1
	v_cndmask_b32_e32 v8, v11, v6, vcc
	v_cndmask_b32_e32 v3, v5, v3, vcc
	;; [unrolled: 1-line block ×3, first 2 shown]
	v_and_b32_e32 v6, 0xff, v8
.LBB58_214:
	s_or_b64 exec, exec, s[6:7]
	v_cmp_gt_u32_e32 vcc, 62, v7
	s_waitcnt lgkmcnt(2)
	v_add_u32_e32 v11, 2, v7
	s_waitcnt lgkmcnt(1)
	v_cndmask_b32_e64 v4, 0, 1, vcc
	v_lshlrev_b32_e32 v4, 1, v4
	s_waitcnt lgkmcnt(0)
	v_add_lshl_u32 v5, v4, v1, 2
	ds_bpermute_b32 v10, v5, v6
	ds_bpermute_b32 v4, v5, v2
	ds_bpermute_b32 v5, v5, v3
	v_cmp_lt_u32_e32 vcc, v11, v9
	s_and_saveexec_b64 s[6:7], vcc
	s_cbranch_execz .LBB58_216
; %bb.215:
	s_waitcnt lgkmcnt(2)
	v_and_b32_e32 v11, 1, v10
	s_waitcnt lgkmcnt(0)
	v_cmp_lt_i64_e32 vcc, v[4:5], v[2:3]
	v_cmp_eq_u32_e64 s[4:5], 1, v11
	v_and_b32_e32 v6, 1, v8
	s_and_b64 vcc, s[4:5], vcc
	v_cndmask_b32_e64 v8, v8, 1, s[4:5]
	v_cndmask_b32_e32 v2, v2, v4, vcc
	v_cndmask_b32_e32 v3, v3, v5, vcc
	v_cmp_eq_u32_e32 vcc, 1, v6
	s_nop 1
	v_cndmask_b32_e32 v8, v10, v8, vcc
	v_cndmask_b32_e32 v3, v5, v3, vcc
	v_cndmask_b32_e32 v2, v4, v2, vcc
	v_and_b32_e32 v6, 0xff, v8
.LBB58_216:
	s_or_b64 exec, exec, s[6:7]
	v_cmp_gt_u32_e32 vcc, 60, v7
	v_add_u32_e32 v11, 4, v7
	s_waitcnt lgkmcnt(1)
	v_cndmask_b32_e64 v4, 0, 1, vcc
	v_lshlrev_b32_e32 v4, 2, v4
	s_waitcnt lgkmcnt(0)
	v_add_lshl_u32 v5, v4, v1, 2
	ds_bpermute_b32 v10, v5, v6
	ds_bpermute_b32 v4, v5, v2
	ds_bpermute_b32 v5, v5, v3
	v_cmp_lt_u32_e32 vcc, v11, v9
	s_and_saveexec_b64 s[6:7], vcc
	s_cbranch_execz .LBB58_218
; %bb.217:
	s_waitcnt lgkmcnt(2)
	v_and_b32_e32 v11, 1, v10
	s_waitcnt lgkmcnt(0)
	v_cmp_lt_i64_e32 vcc, v[4:5], v[2:3]
	v_cmp_eq_u32_e64 s[4:5], 1, v11
	v_and_b32_e32 v6, 1, v8
	s_and_b64 vcc, s[4:5], vcc
	v_cndmask_b32_e64 v8, v8, 1, s[4:5]
	v_cndmask_b32_e32 v2, v2, v4, vcc
	v_cndmask_b32_e32 v3, v3, v5, vcc
	v_cmp_eq_u32_e32 vcc, 1, v6
	s_nop 1
	v_cndmask_b32_e32 v8, v10, v8, vcc
	v_cndmask_b32_e32 v3, v5, v3, vcc
	v_cndmask_b32_e32 v2, v4, v2, vcc
	v_and_b32_e32 v6, 0xff, v8
.LBB58_218:
	s_or_b64 exec, exec, s[6:7]
	v_cmp_gt_u32_e32 vcc, 56, v7
	v_add_u32_e32 v11, 8, v7
	s_waitcnt lgkmcnt(1)
	v_cndmask_b32_e64 v4, 0, 1, vcc
	v_lshlrev_b32_e32 v4, 3, v4
	s_waitcnt lgkmcnt(0)
	v_add_lshl_u32 v5, v4, v1, 2
	ds_bpermute_b32 v10, v5, v6
	ds_bpermute_b32 v4, v5, v2
	ds_bpermute_b32 v5, v5, v3
	v_cmp_lt_u32_e32 vcc, v11, v9
	s_and_saveexec_b64 s[6:7], vcc
	s_cbranch_execz .LBB58_220
; %bb.219:
	s_waitcnt lgkmcnt(2)
	v_and_b32_e32 v11, 1, v10
	s_waitcnt lgkmcnt(0)
	v_cmp_lt_i64_e32 vcc, v[4:5], v[2:3]
	v_cmp_eq_u32_e64 s[4:5], 1, v11
	v_and_b32_e32 v6, 1, v8
	s_and_b64 vcc, s[4:5], vcc
	v_cndmask_b32_e64 v8, v8, 1, s[4:5]
	v_cndmask_b32_e32 v2, v2, v4, vcc
	v_cndmask_b32_e32 v3, v3, v5, vcc
	v_cmp_eq_u32_e32 vcc, 1, v6
	s_nop 1
	v_cndmask_b32_e32 v8, v10, v8, vcc
	v_cndmask_b32_e32 v3, v5, v3, vcc
	v_cndmask_b32_e32 v2, v4, v2, vcc
	v_and_b32_e32 v6, 0xff, v8
.LBB58_220:
	s_or_b64 exec, exec, s[6:7]
	v_cmp_gt_u32_e32 vcc, 48, v7
	v_add_u32_e32 v11, 16, v7
	s_waitcnt lgkmcnt(1)
	v_cndmask_b32_e64 v4, 0, 1, vcc
	v_lshlrev_b32_e32 v4, 4, v4
	s_waitcnt lgkmcnt(0)
	v_add_lshl_u32 v5, v4, v1, 2
	ds_bpermute_b32 v10, v5, v6
	ds_bpermute_b32 v4, v5, v2
	ds_bpermute_b32 v5, v5, v3
	v_cmp_lt_u32_e32 vcc, v11, v9
	s_and_saveexec_b64 s[6:7], vcc
	s_cbranch_execz .LBB58_222
; %bb.221:
	s_waitcnt lgkmcnt(2)
	v_and_b32_e32 v11, 1, v10
	s_waitcnt lgkmcnt(0)
	v_cmp_lt_i64_e32 vcc, v[4:5], v[2:3]
	v_cmp_eq_u32_e64 s[4:5], 1, v11
	v_and_b32_e32 v6, 1, v8
	s_and_b64 vcc, s[4:5], vcc
	v_cndmask_b32_e64 v8, v8, 1, s[4:5]
	v_cndmask_b32_e32 v2, v2, v4, vcc
	v_cndmask_b32_e32 v3, v3, v5, vcc
	v_cmp_eq_u32_e32 vcc, 1, v6
	s_nop 1
	v_cndmask_b32_e32 v8, v10, v8, vcc
	v_cndmask_b32_e32 v3, v5, v3, vcc
	v_cndmask_b32_e32 v2, v4, v2, vcc
	v_and_b32_e32 v6, 0xff, v8
.LBB58_222:
	s_or_b64 exec, exec, s[6:7]
	v_cmp_gt_u32_e32 vcc, 32, v7
	v_add_u32_e32 v7, 32, v7
	s_waitcnt lgkmcnt(1)
	v_cndmask_b32_e64 v4, 0, 1, vcc
	v_lshlrev_b32_e32 v4, 5, v4
	s_waitcnt lgkmcnt(0)
	v_add_lshl_u32 v5, v4, v1, 2
	ds_bpermute_b32 v10, v5, v6
	ds_bpermute_b32 v4, v5, v2
	;; [unrolled: 1-line block ×3, first 2 shown]
	v_cmp_lt_u32_e32 vcc, v7, v9
	s_and_saveexec_b64 s[6:7], vcc
	s_cbranch_execz .LBB58_224
; %bb.223:
	s_waitcnt lgkmcnt(2)
	v_and_b32_e32 v7, 1, v10
	s_waitcnt lgkmcnt(0)
	v_cmp_lt_i64_e32 vcc, v[4:5], v[2:3]
	v_cmp_eq_u32_e64 s[4:5], 1, v7
	v_and_b32_e32 v6, 1, v8
	s_and_b64 vcc, s[4:5], vcc
	v_cndmask_b32_e64 v7, v8, 1, s[4:5]
	v_cndmask_b32_e32 v2, v2, v4, vcc
	v_cndmask_b32_e32 v3, v3, v5, vcc
	v_cmp_eq_u32_e32 vcc, 1, v6
	s_nop 1
	v_cndmask_b32_e32 v8, v10, v7, vcc
	v_cndmask_b32_e32 v3, v5, v3, vcc
	;; [unrolled: 1-line block ×3, first 2 shown]
	v_and_b32_e32 v6, 0xff, v8
.LBB58_224:
	s_or_b64 exec, exec, s[6:7]
	v_cmp_eq_u32_e32 vcc, 0, v1
	s_and_saveexec_b64 s[4:5], vcc
	s_cbranch_execz .LBB58_226
; %bb.225:
	s_waitcnt lgkmcnt(1)
	v_lshrrev_b32_e32 v4, 2, v0
	v_and_b32_e32 v4, 48, v4
	ds_write_b8 v4, v8 offset:320
	ds_write_b64 v4, v[2:3] offset:328
.LBB58_226:
	s_or_b64 exec, exec, s[4:5]
	v_cmp_gt_u32_e32 vcc, 4, v0
	s_waitcnt lgkmcnt(0)
	s_barrier
	s_and_saveexec_b64 s[6:7], vcc
	s_cbranch_execz .LBB58_232
; %bb.227:
	v_lshlrev_b32_e32 v2, 4, v1
	ds_read_u8 v7, v2 offset:320
	ds_read_b64 v[2:3], v2 offset:328
	v_and_b32_e32 v8, 3, v1
	v_cmp_ne_u32_e32 vcc, 3, v8
	s_add_i32 s8, s8, 63
	s_waitcnt lgkmcnt(1)
	v_and_b32_e32 v6, 0xff, v7
	v_addc_co_u32_e32 v4, vcc, 0, v1, vcc
	v_lshlrev_b32_e32 v5, 2, v4
	ds_bpermute_b32 v9, v5, v6
	s_waitcnt lgkmcnt(1)
	ds_bpermute_b32 v4, v5, v2
	ds_bpermute_b32 v5, v5, v3
	s_lshr_b32 s10, s8, 6
	v_add_u32_e32 v10, 1, v8
	v_cmp_gt_u32_e32 vcc, s10, v10
	s_and_saveexec_b64 s[8:9], vcc
	s_cbranch_execz .LBB58_229
; %bb.228:
	s_waitcnt lgkmcnt(2)
	v_and_b32_e32 v10, 1, v9
	s_waitcnt lgkmcnt(0)
	v_cmp_lt_i64_e32 vcc, v[4:5], v[2:3]
	v_cmp_eq_u32_e64 s[4:5], 1, v10
	v_and_b32_e32 v6, 1, v7
	s_and_b64 vcc, s[4:5], vcc
	v_cndmask_b32_e64 v7, v7, 1, s[4:5]
	v_cndmask_b32_e32 v2, v2, v4, vcc
	v_cndmask_b32_e32 v3, v3, v5, vcc
	v_cmp_eq_u32_e32 vcc, 1, v6
	s_nop 1
	v_cndmask_b32_e32 v7, v9, v7, vcc
	v_cndmask_b32_e32 v3, v5, v3, vcc
	;; [unrolled: 1-line block ×3, first 2 shown]
	v_and_b32_e32 v6, 0xff, v7
.LBB58_229:
	s_or_b64 exec, exec, s[8:9]
	v_cmp_gt_u32_e32 vcc, 2, v8
	v_add_u32_e32 v8, 2, v8
	s_waitcnt lgkmcnt(1)
	v_cndmask_b32_e64 v4, 0, 1, vcc
	v_lshlrev_b32_e32 v4, 1, v4
	s_waitcnt lgkmcnt(0)
	v_add_lshl_u32 v5, v4, v1, 2
	ds_bpermute_b32 v1, v5, v6
	ds_bpermute_b32 v4, v5, v2
	;; [unrolled: 1-line block ×3, first 2 shown]
	v_cmp_gt_u32_e32 vcc, s10, v8
	s_and_saveexec_b64 s[8:9], vcc
	s_cbranch_execz .LBB58_231
; %bb.230:
	s_waitcnt lgkmcnt(2)
	v_and_b32_e32 v8, 1, v1
	s_waitcnt lgkmcnt(0)
	v_cmp_lt_i64_e32 vcc, v[4:5], v[2:3]
	v_cmp_eq_u32_e64 s[4:5], 1, v8
	v_and_b32_e32 v6, 1, v7
	s_and_b64 vcc, s[4:5], vcc
	v_cndmask_b32_e64 v7, v7, 1, s[4:5]
	v_cndmask_b32_e32 v2, v2, v4, vcc
	v_cndmask_b32_e32 v3, v3, v5, vcc
	v_cmp_eq_u32_e32 vcc, 1, v6
	s_nop 1
	v_cndmask_b32_e32 v1, v1, v7, vcc
	v_cndmask_b32_e32 v3, v5, v3, vcc
	;; [unrolled: 1-line block ×3, first 2 shown]
	v_and_b32_e32 v6, 0xff, v1
.LBB58_231:
	s_or_b64 exec, exec, s[8:9]
.LBB58_232:
	s_or_b64 exec, exec, s[6:7]
.LBB58_233:
	v_cmp_eq_u32_e32 vcc, 0, v0
                                        ; implicit-def: $vgpr4_vgpr5
                                        ; implicit-def: $vgpr1
	s_and_saveexec_b64 s[4:5], vcc
	s_xor_b64 s[8:9], exec, s[4:5]
	s_cbranch_execz .LBB58_237
; %bb.234:
	s_cmp_eq_u64 s[38:39], 0
	s_waitcnt lgkmcnt(0)
	v_mov_b64_e32 v[4:5], s[40:41]
	v_mov_b32_e32 v1, s33
	s_cbranch_scc1 .LBB58_236
; %bb.235:
	v_and_b32_e32 v1, 1, v6
	s_bitcmp1_b32 s33, 0
	v_mov_b32_e32 v4, s33
	v_cmp_eq_u32_e32 vcc, 1, v1
	v_cmp_gt_i64_e64 s[6:7], s[40:41], v[2:3]
	s_cselect_b64 s[4:5], -1, 0
	v_cndmask_b32_e64 v1, v4, 1, vcc
	v_mov_b32_e32 v4, s40
	s_and_b64 vcc, vcc, s[6:7]
	v_mov_b32_e32 v5, s41
	v_cndmask_b32_e32 v4, v4, v2, vcc
	v_cndmask_b32_e32 v5, v5, v3, vcc
	v_cndmask_b32_e64 v1, v6, v1, s[4:5]
	v_cndmask_b32_e64 v5, v3, v5, s[4:5]
	;; [unrolled: 1-line block ×3, first 2 shown]
.LBB58_236:
	s_or_b64 s[18:19], s[18:19], exec
.LBB58_237:
	s_or_b64 exec, exec, s[8:9]
	s_branch .LBB58_315
.LBB58_238:
	s_cmp_gt_i32 s46, 1
	s_cbranch_scc0 .LBB58_260
; %bb.239:
	s_cmp_eq_u32 s46, 2
	s_cbranch_scc0 .LBB58_261
; %bb.240:
	s_mov_b32 s3, 0
	s_lshl_b32 s8, s2, 9
	s_mov_b32 s9, s3
	s_lshr_b64 s[4:5], s[38:39], 9
	s_lshl_b64 s[6:7], s[8:9], 4
	s_add_u32 s6, s36, s6
	s_addc_u32 s7, s37, s7
	s_cmp_lg_u64 s[4:5], s[2:3]
	s_cbranch_scc0 .LBB58_262
; %bb.241:
	v_lshlrev_b32_e32 v8, 4, v0
	v_mov_b32_e32 v9, 0
	s_waitcnt lgkmcnt(0)
	v_lshl_add_u64 v[4:5], s[6:7], 0, v[8:9]
	v_add_co_u32_e32 v10, vcc, 0x1000, v4
	s_nop 1
	v_addc_co_u32_e32 v11, vcc, 0, v5, vcc
	global_load_ubyte v1, v8, s[6:7]
	global_load_ubyte v6, v[10:11], off
	global_load_dwordx2 v[2:3], v[10:11], off offset:8
	s_waitcnt vmcnt(2)
	v_and_b32_e32 v7, 1, v1
	v_cmp_eq_u32_e32 vcc, 1, v7
	s_and_saveexec_b64 s[10:11], vcc
	s_cbranch_execz .LBB58_243
; %bb.242:
	global_load_dwordx2 v[4:5], v[4:5], off offset:8
	s_waitcnt vmcnt(2)
	v_and_b32_e32 v6, 1, v6
	v_cmp_eq_u32_e32 vcc, 1, v6
	s_waitcnt vmcnt(0)
	v_cmp_lt_i64_e64 s[4:5], v[2:3], v[4:5]
	v_cndmask_b32_e64 v6, v1, 1, vcc
	s_nop 0
	v_cndmask_b32_e64 v1, v5, v3, s[4:5]
	v_cndmask_b32_e32 v3, v5, v1, vcc
	s_and_b64 vcc, vcc, s[4:5]
	v_cndmask_b32_e32 v2, v4, v2, vcc
.LBB58_243:
	s_or_b64 exec, exec, s[10:11]
	s_waitcnt vmcnt(1)
	v_and_b32_e32 v1, 0xff, v6
	v_and_b32_e32 v6, 1, v6
	s_waitcnt vmcnt(0)
	v_mov_b32_dpp v4, v2 quad_perm:[1,0,3,2] row_mask:0xf bank_mask:0xf bound_ctrl:1
	v_mov_b32_dpp v7, v1 quad_perm:[1,0,3,2] row_mask:0xf bank_mask:0xf bound_ctrl:1
	v_and_b32_e32 v8, 1, v7
	v_mov_b32_dpp v5, v3 quad_perm:[1,0,3,2] row_mask:0xf bank_mask:0xf bound_ctrl:1
	v_cmp_eq_u32_e32 vcc, 1, v8
	v_cmp_eq_u32_e64 s[4:5], 1, v6
	s_and_saveexec_b64 s[10:11], vcc
; %bb.244:
	v_cmp_lt_i64_e32 vcc, v[2:3], v[4:5]
	v_cndmask_b32_e64 v6, v7, 1, s[4:5]
	s_and_b64 vcc, s[4:5], vcc
	v_cndmask_b32_e32 v2, v4, v2, vcc
	v_and_b32_e32 v4, 1, v6
	v_cndmask_b32_e32 v3, v5, v3, vcc
	v_cmp_eq_u32_e32 vcc, 1, v4
	s_andn2_b64 s[4:5], s[4:5], exec
	s_and_b64 s[12:13], vcc, exec
	v_and_b32_e32 v1, 0xff, v6
	s_or_b64 s[4:5], s[4:5], s[12:13]
; %bb.245:
	s_or_b64 exec, exec, s[10:11]
	v_mov_b32_dpp v6, v1 quad_perm:[2,3,0,1] row_mask:0xf bank_mask:0xf bound_ctrl:1
	v_and_b32_e32 v7, 1, v6
	v_mov_b32_dpp v4, v2 quad_perm:[2,3,0,1] row_mask:0xf bank_mask:0xf bound_ctrl:1
	v_mov_b32_dpp v5, v3 quad_perm:[2,3,0,1] row_mask:0xf bank_mask:0xf bound_ctrl:1
	v_cmp_eq_u32_e32 vcc, 1, v7
	s_and_saveexec_b64 s[10:11], vcc
; %bb.246:
	v_cmp_lt_i64_e32 vcc, v[2:3], v[4:5]
	v_cndmask_b32_e64 v6, v6, 1, s[4:5]
	s_and_b64 vcc, s[4:5], vcc
	v_cndmask_b32_e32 v2, v4, v2, vcc
	v_and_b32_e32 v4, 1, v6
	v_cndmask_b32_e32 v3, v5, v3, vcc
	v_cmp_eq_u32_e32 vcc, 1, v4
	s_andn2_b64 s[4:5], s[4:5], exec
	s_and_b64 s[12:13], vcc, exec
	v_and_b32_e32 v1, 0xff, v6
	s_or_b64 s[4:5], s[4:5], s[12:13]
; %bb.247:
	s_or_b64 exec, exec, s[10:11]
	v_mov_b32_dpp v6, v1 row_ror:4 row_mask:0xf bank_mask:0xf bound_ctrl:1
	v_and_b32_e32 v7, 1, v6
	v_mov_b32_dpp v4, v2 row_ror:4 row_mask:0xf bank_mask:0xf bound_ctrl:1
	v_mov_b32_dpp v5, v3 row_ror:4 row_mask:0xf bank_mask:0xf bound_ctrl:1
	v_cmp_eq_u32_e32 vcc, 1, v7
	s_and_saveexec_b64 s[10:11], vcc
; %bb.248:
	v_cmp_lt_i64_e32 vcc, v[2:3], v[4:5]
	v_cndmask_b32_e64 v6, v6, 1, s[4:5]
	s_and_b64 vcc, s[4:5], vcc
	v_cndmask_b32_e32 v2, v4, v2, vcc
	v_and_b32_e32 v4, 1, v6
	v_cndmask_b32_e32 v3, v5, v3, vcc
	v_cmp_eq_u32_e32 vcc, 1, v4
	s_andn2_b64 s[4:5], s[4:5], exec
	s_and_b64 s[12:13], vcc, exec
	v_and_b32_e32 v1, 0xff, v6
	s_or_b64 s[4:5], s[4:5], s[12:13]
; %bb.249:
	s_or_b64 exec, exec, s[10:11]
	v_mov_b32_dpp v6, v1 row_ror:8 row_mask:0xf bank_mask:0xf bound_ctrl:1
	v_and_b32_e32 v7, 1, v6
	v_mov_b32_dpp v4, v2 row_ror:8 row_mask:0xf bank_mask:0xf bound_ctrl:1
	v_mov_b32_dpp v5, v3 row_ror:8 row_mask:0xf bank_mask:0xf bound_ctrl:1
	v_cmp_eq_u32_e32 vcc, 1, v7
	s_and_saveexec_b64 s[10:11], vcc
; %bb.250:
	v_cmp_lt_i64_e32 vcc, v[2:3], v[4:5]
	v_cndmask_b32_e64 v6, v6, 1, s[4:5]
	s_and_b64 vcc, s[4:5], vcc
	v_cndmask_b32_e32 v2, v4, v2, vcc
	v_and_b32_e32 v4, 1, v6
	v_cndmask_b32_e32 v3, v5, v3, vcc
	v_cmp_eq_u32_e32 vcc, 1, v4
	s_andn2_b64 s[4:5], s[4:5], exec
	s_and_b64 s[12:13], vcc, exec
	v_and_b32_e32 v1, 0xff, v6
	s_or_b64 s[4:5], s[4:5], s[12:13]
; %bb.251:
	s_or_b64 exec, exec, s[10:11]
	v_mov_b32_dpp v6, v1 row_bcast:15 row_mask:0xf bank_mask:0xf bound_ctrl:1
	v_and_b32_e32 v7, 1, v6
	v_mov_b32_dpp v4, v2 row_bcast:15 row_mask:0xf bank_mask:0xf bound_ctrl:1
	v_mov_b32_dpp v5, v3 row_bcast:15 row_mask:0xf bank_mask:0xf bound_ctrl:1
	v_cmp_eq_u32_e32 vcc, 1, v7
	s_and_saveexec_b64 s[10:11], vcc
; %bb.252:
	v_cmp_lt_i64_e32 vcc, v[2:3], v[4:5]
	v_cndmask_b32_e64 v6, v6, 1, s[4:5]
	s_and_b64 vcc, s[4:5], vcc
	v_cndmask_b32_e32 v2, v4, v2, vcc
	v_and_b32_e32 v4, 1, v6
	v_cndmask_b32_e32 v3, v5, v3, vcc
	v_cmp_eq_u32_e32 vcc, 1, v4
	s_andn2_b64 s[4:5], s[4:5], exec
	s_and_b64 s[12:13], vcc, exec
	v_and_b32_e32 v1, 0xff, v6
	s_or_b64 s[4:5], s[4:5], s[12:13]
; %bb.253:
	s_or_b64 exec, exec, s[10:11]
	v_mov_b32_dpp v6, v1 row_bcast:31 row_mask:0xf bank_mask:0xf bound_ctrl:1
	v_and_b32_e32 v7, 1, v6
	v_mov_b32_dpp v4, v2 row_bcast:31 row_mask:0xf bank_mask:0xf bound_ctrl:1
	v_mov_b32_dpp v5, v3 row_bcast:31 row_mask:0xf bank_mask:0xf bound_ctrl:1
	v_cmp_eq_u32_e32 vcc, 1, v7
	s_and_saveexec_b64 s[10:11], vcc
; %bb.254:
	v_cmp_lt_i64_e32 vcc, v[2:3], v[4:5]
	v_and_b32_e32 v1, 0xff, v6
	s_and_b64 vcc, s[4:5], vcc
	v_cndmask_b32_e32 v2, v4, v2, vcc
	v_cndmask_b32_e32 v3, v5, v3, vcc
	v_cndmask_b32_e64 v1, v1, 1, s[4:5]
; %bb.255:
	s_or_b64 exec, exec, s[10:11]
	v_mbcnt_lo_u32_b32 v4, -1, 0
	v_mbcnt_hi_u32_b32 v4, -1, v4
	v_bfrev_b32_e32 v5, 0.5
	v_lshl_or_b32 v5, v4, 2, v5
	ds_bpermute_b32 v6, v5, v1
	ds_bpermute_b32 v2, v5, v2
	;; [unrolled: 1-line block ×3, first 2 shown]
	v_cmp_eq_u32_e32 vcc, 0, v4
	s_and_saveexec_b64 s[4:5], vcc
	s_cbranch_execz .LBB58_257
; %bb.256:
	v_lshrrev_b32_e32 v1, 2, v0
	v_and_b32_e32 v1, 48, v1
	s_waitcnt lgkmcnt(2)
	ds_write_b8 v1, v6 offset:128
	s_waitcnt lgkmcnt(1)
	ds_write_b64 v1, v[2:3] offset:136
.LBB58_257:
	s_or_b64 exec, exec, s[4:5]
	v_cmp_gt_u32_e32 vcc, 64, v0
	s_waitcnt lgkmcnt(0)
	s_barrier
	s_and_saveexec_b64 s[10:11], vcc
	s_cbranch_execz .LBB58_259
; %bb.258:
	v_and_b32_e32 v1, 3, v4
	v_lshlrev_b32_e32 v2, 4, v1
	ds_read_u8 v5, v2 offset:128
	ds_read_b64 v[2:3], v2 offset:136
	v_cmp_ne_u32_e32 vcc, 3, v1
	s_waitcnt lgkmcnt(1)
	v_and_b32_e32 v7, 0xff, v5
	v_addc_co_u32_e32 v6, vcc, 0, v4, vcc
	v_lshlrev_b32_e32 v8, 2, v6
	ds_bpermute_b32 v9, v8, v7
	s_waitcnt lgkmcnt(1)
	ds_bpermute_b32 v6, v8, v2
	ds_bpermute_b32 v7, v8, v3
	v_and_b32_e32 v8, 1, v5
	s_waitcnt lgkmcnt(2)
	v_and_b32_e32 v10, 1, v9
	v_cmp_eq_u32_e64 s[4:5], 1, v10
	s_waitcnt lgkmcnt(0)
	v_cmp_lt_i64_e32 vcc, v[6:7], v[2:3]
	s_and_b64 vcc, s[4:5], vcc
	v_cndmask_b32_e64 v5, v5, 1, s[4:5]
	v_cndmask_b32_e32 v2, v2, v6, vcc
	v_cndmask_b32_e32 v3, v3, v7, vcc
	v_cmp_eq_u32_e32 vcc, 1, v8
	s_nop 1
	v_cndmask_b32_e32 v8, v9, v5, vcc
	v_cndmask_b32_e32 v3, v7, v3, vcc
	;; [unrolled: 1-line block ×3, first 2 shown]
	v_cmp_gt_u32_e32 vcc, 2, v1
	v_and_b32_e32 v5, 0xff, v8
	s_nop 0
	v_cndmask_b32_e64 v1, 0, 1, vcc
	v_lshlrev_b32_e32 v1, 1, v1
	v_add_lshl_u32 v1, v1, v4, 2
	ds_bpermute_b32 v6, v1, v5
	ds_bpermute_b32 v4, v1, v2
	;; [unrolled: 1-line block ×3, first 2 shown]
	v_and_b32_e32 v1, 1, v8
	s_waitcnt lgkmcnt(2)
	v_and_b32_e32 v7, 1, v6
	v_cmp_eq_u32_e64 s[4:5], 1, v7
	s_waitcnt lgkmcnt(0)
	v_cmp_lt_i64_e32 vcc, v[4:5], v[2:3]
	s_and_b64 vcc, s[4:5], vcc
	v_cndmask_b32_e64 v7, v8, 1, s[4:5]
	v_cndmask_b32_e32 v2, v2, v4, vcc
	v_cndmask_b32_e32 v3, v3, v5, vcc
	v_cmp_eq_u32_e32 vcc, 1, v1
	s_nop 1
	v_cndmask_b32_e32 v1, v6, v7, vcc
	v_cndmask_b32_e32 v3, v5, v3, vcc
	;; [unrolled: 1-line block ×3, first 2 shown]
	v_and_b32_e32 v6, 0xff, v1
.LBB58_259:
	s_or_b64 exec, exec, s[10:11]
	s_branch .LBB58_290
.LBB58_260:
                                        ; implicit-def: $vgpr4_vgpr5
                                        ; implicit-def: $vgpr1
	s_cbranch_execnz .LBB58_295
	s_branch .LBB58_315
.LBB58_261:
                                        ; implicit-def: $vgpr4_vgpr5
                                        ; implicit-def: $vgpr1
	s_branch .LBB58_315
.LBB58_262:
                                        ; implicit-def: $vgpr2_vgpr3
                                        ; implicit-def: $vgpr6
	s_cbranch_execz .LBB58_290
; %bb.263:
	s_sub_i32 s8, s38, s8
	s_waitcnt lgkmcnt(0)
	v_mov_b64_e32 v[4:5], 0
	v_cmp_gt_u32_e32 vcc, s8, v0
	v_mov_b32_e32 v1, 0
	v_mov_b64_e32 v[2:3], v[4:5]
	v_mov_b32_e32 v7, 0
	s_and_saveexec_b64 s[4:5], vcc
	s_cbranch_execz .LBB58_265
; %bb.264:
	v_lshlrev_b32_e32 v6, 4, v0
	global_load_ubyte v7, v6, s[6:7]
	global_load_dwordx2 v[2:3], v6, s[6:7] offset:8
.LBB58_265:
	s_or_b64 exec, exec, s[4:5]
	v_or_b32_e32 v6, 0x100, v0
	v_cmp_gt_u32_e32 vcc, s8, v6
	s_and_saveexec_b64 s[4:5], vcc
	s_cbranch_execz .LBB58_267
; %bb.266:
	v_lshlrev_b32_e32 v6, 4, v6
	global_load_ubyte v1, v6, s[6:7]
	global_load_dwordx2 v[4:5], v6, s[6:7] offset:8
.LBB58_267:
	s_or_b64 exec, exec, s[4:5]
	s_and_saveexec_b64 s[6:7], vcc
	s_cbranch_execz .LBB58_269
; %bb.268:
	s_waitcnt vmcnt(1)
	v_and_b32_e32 v8, 1, v1
	s_waitcnt vmcnt(0)
	v_cmp_lt_i64_e32 vcc, v[4:5], v[2:3]
	v_cmp_eq_u32_e64 s[4:5], 1, v8
	v_and_b32_e32 v6, 1, v7
	s_and_b64 vcc, s[4:5], vcc
	v_cndmask_b32_e64 v7, v7, 1, s[4:5]
	v_cndmask_b32_e32 v2, v2, v4, vcc
	v_cndmask_b32_e32 v3, v3, v5, vcc
	v_cmp_eq_u32_e32 vcc, 1, v6
	s_nop 1
	v_cndmask_b32_e32 v7, v1, v7, vcc
	v_cndmask_b32_e32 v3, v5, v3, vcc
	;; [unrolled: 1-line block ×3, first 2 shown]
.LBB58_269:
	s_or_b64 exec, exec, s[6:7]
	s_waitcnt vmcnt(1)
	v_mbcnt_lo_u32_b32 v1, -1, 0
	v_mbcnt_hi_u32_b32 v1, -1, v1
	v_and_b32_e32 v8, 63, v1
	v_cmp_ne_u32_e32 vcc, 63, v8
	v_and_b32_e32 v6, 0xff, v7
	s_min_u32 s8, s8, 0x100
	s_waitcnt vmcnt(0)
	v_addc_co_u32_e32 v4, vcc, 0, v1, vcc
	v_lshlrev_b32_e32 v5, 2, v4
	ds_bpermute_b32 v10, v5, v6
	ds_bpermute_b32 v4, v5, v2
	;; [unrolled: 1-line block ×3, first 2 shown]
	v_and_b32_e32 v9, 0xc0, v0
	v_sub_u32_e64 v9, s8, v9 clamp
	v_add_u32_e32 v11, 1, v8
	v_cmp_lt_u32_e32 vcc, v11, v9
	s_and_saveexec_b64 s[6:7], vcc
	s_cbranch_execz .LBB58_271
; %bb.270:
	s_waitcnt lgkmcnt(2)
	v_and_b32_e32 v11, 1, v10
	s_waitcnt lgkmcnt(0)
	v_cmp_lt_i64_e32 vcc, v[4:5], v[2:3]
	v_cmp_eq_u32_e64 s[4:5], 1, v11
	v_and_b32_e32 v6, 1, v7
	s_and_b64 vcc, s[4:5], vcc
	v_cndmask_b32_e64 v7, v7, 1, s[4:5]
	v_cndmask_b32_e32 v2, v2, v4, vcc
	v_cndmask_b32_e32 v3, v3, v5, vcc
	v_cmp_eq_u32_e32 vcc, 1, v6
	s_nop 1
	v_cndmask_b32_e32 v7, v10, v7, vcc
	v_cndmask_b32_e32 v3, v5, v3, vcc
	v_cndmask_b32_e32 v2, v4, v2, vcc
	v_and_b32_e32 v6, 0xff, v7
.LBB58_271:
	s_or_b64 exec, exec, s[6:7]
	v_cmp_gt_u32_e32 vcc, 62, v8
	v_add_u32_e32 v11, 2, v8
	s_waitcnt lgkmcnt(1)
	v_cndmask_b32_e64 v4, 0, 1, vcc
	v_lshlrev_b32_e32 v4, 1, v4
	s_waitcnt lgkmcnt(0)
	v_add_lshl_u32 v5, v4, v1, 2
	ds_bpermute_b32 v10, v5, v6
	ds_bpermute_b32 v4, v5, v2
	ds_bpermute_b32 v5, v5, v3
	v_cmp_lt_u32_e32 vcc, v11, v9
	s_and_saveexec_b64 s[6:7], vcc
	s_cbranch_execz .LBB58_273
; %bb.272:
	s_waitcnt lgkmcnt(2)
	v_and_b32_e32 v11, 1, v10
	s_waitcnt lgkmcnt(0)
	v_cmp_lt_i64_e32 vcc, v[4:5], v[2:3]
	v_cmp_eq_u32_e64 s[4:5], 1, v11
	v_and_b32_e32 v6, 1, v7
	s_and_b64 vcc, s[4:5], vcc
	v_cndmask_b32_e64 v7, v7, 1, s[4:5]
	v_cndmask_b32_e32 v2, v2, v4, vcc
	v_cndmask_b32_e32 v3, v3, v5, vcc
	v_cmp_eq_u32_e32 vcc, 1, v6
	s_nop 1
	v_cndmask_b32_e32 v7, v10, v7, vcc
	v_cndmask_b32_e32 v3, v5, v3, vcc
	v_cndmask_b32_e32 v2, v4, v2, vcc
	v_and_b32_e32 v6, 0xff, v7
.LBB58_273:
	s_or_b64 exec, exec, s[6:7]
	v_cmp_gt_u32_e32 vcc, 60, v8
	v_add_u32_e32 v11, 4, v8
	s_waitcnt lgkmcnt(1)
	v_cndmask_b32_e64 v4, 0, 1, vcc
	v_lshlrev_b32_e32 v4, 2, v4
	s_waitcnt lgkmcnt(0)
	v_add_lshl_u32 v5, v4, v1, 2
	ds_bpermute_b32 v10, v5, v6
	ds_bpermute_b32 v4, v5, v2
	ds_bpermute_b32 v5, v5, v3
	;; [unrolled: 32-line block ×5, first 2 shown]
	v_cmp_lt_u32_e32 vcc, v8, v9
	s_and_saveexec_b64 s[6:7], vcc
	s_cbranch_execz .LBB58_281
; %bb.280:
	s_waitcnt lgkmcnt(2)
	v_and_b32_e32 v8, 1, v10
	s_waitcnt lgkmcnt(0)
	v_cmp_lt_i64_e32 vcc, v[4:5], v[2:3]
	v_cmp_eq_u32_e64 s[4:5], 1, v8
	v_and_b32_e32 v6, 1, v7
	s_and_b64 vcc, s[4:5], vcc
	v_cndmask_b32_e64 v7, v7, 1, s[4:5]
	v_cndmask_b32_e32 v2, v2, v4, vcc
	v_cndmask_b32_e32 v3, v3, v5, vcc
	v_cmp_eq_u32_e32 vcc, 1, v6
	s_nop 1
	v_cndmask_b32_e32 v7, v10, v7, vcc
	v_cndmask_b32_e32 v3, v5, v3, vcc
	;; [unrolled: 1-line block ×3, first 2 shown]
	v_and_b32_e32 v6, 0xff, v7
.LBB58_281:
	s_or_b64 exec, exec, s[6:7]
	v_cmp_eq_u32_e32 vcc, 0, v1
	s_and_saveexec_b64 s[4:5], vcc
	s_cbranch_execz .LBB58_283
; %bb.282:
	s_waitcnt lgkmcnt(1)
	v_lshrrev_b32_e32 v4, 2, v0
	v_and_b32_e32 v4, 48, v4
	ds_write_b8 v4, v7 offset:320
	ds_write_b64 v4, v[2:3] offset:328
.LBB58_283:
	s_or_b64 exec, exec, s[4:5]
	v_cmp_gt_u32_e32 vcc, 4, v0
	s_waitcnt lgkmcnt(0)
	s_barrier
	s_and_saveexec_b64 s[6:7], vcc
	s_cbranch_execz .LBB58_289
; %bb.284:
	v_lshlrev_b32_e32 v2, 4, v1
	ds_read_u8 v7, v2 offset:320
	ds_read_b64 v[2:3], v2 offset:328
	v_and_b32_e32 v8, 3, v1
	v_cmp_ne_u32_e32 vcc, 3, v8
	s_add_i32 s8, s8, 63
	s_waitcnt lgkmcnt(1)
	v_and_b32_e32 v6, 0xff, v7
	v_addc_co_u32_e32 v4, vcc, 0, v1, vcc
	v_lshlrev_b32_e32 v5, 2, v4
	ds_bpermute_b32 v9, v5, v6
	s_waitcnt lgkmcnt(1)
	ds_bpermute_b32 v4, v5, v2
	ds_bpermute_b32 v5, v5, v3
	s_lshr_b32 s10, s8, 6
	v_add_u32_e32 v10, 1, v8
	v_cmp_gt_u32_e32 vcc, s10, v10
	s_and_saveexec_b64 s[8:9], vcc
	s_cbranch_execz .LBB58_286
; %bb.285:
	s_waitcnt lgkmcnt(2)
	v_and_b32_e32 v10, 1, v9
	s_waitcnt lgkmcnt(0)
	v_cmp_lt_i64_e32 vcc, v[4:5], v[2:3]
	v_cmp_eq_u32_e64 s[4:5], 1, v10
	v_and_b32_e32 v6, 1, v7
	s_and_b64 vcc, s[4:5], vcc
	v_cndmask_b32_e64 v7, v7, 1, s[4:5]
	v_cndmask_b32_e32 v2, v2, v4, vcc
	v_cndmask_b32_e32 v3, v3, v5, vcc
	v_cmp_eq_u32_e32 vcc, 1, v6
	s_nop 1
	v_cndmask_b32_e32 v7, v9, v7, vcc
	v_cndmask_b32_e32 v3, v5, v3, vcc
	;; [unrolled: 1-line block ×3, first 2 shown]
	v_and_b32_e32 v6, 0xff, v7
.LBB58_286:
	s_or_b64 exec, exec, s[8:9]
	v_cmp_gt_u32_e32 vcc, 2, v8
	v_add_u32_e32 v8, 2, v8
	s_waitcnt lgkmcnt(1)
	v_cndmask_b32_e64 v4, 0, 1, vcc
	v_lshlrev_b32_e32 v4, 1, v4
	s_waitcnt lgkmcnt(0)
	v_add_lshl_u32 v5, v4, v1, 2
	ds_bpermute_b32 v1, v5, v6
	ds_bpermute_b32 v4, v5, v2
	;; [unrolled: 1-line block ×3, first 2 shown]
	v_cmp_gt_u32_e32 vcc, s10, v8
	s_and_saveexec_b64 s[8:9], vcc
	s_cbranch_execz .LBB58_288
; %bb.287:
	s_waitcnt lgkmcnt(2)
	v_and_b32_e32 v8, 1, v1
	s_waitcnt lgkmcnt(0)
	v_cmp_lt_i64_e32 vcc, v[4:5], v[2:3]
	v_cmp_eq_u32_e64 s[4:5], 1, v8
	v_and_b32_e32 v6, 1, v7
	s_and_b64 vcc, s[4:5], vcc
	v_cndmask_b32_e64 v7, v7, 1, s[4:5]
	v_cndmask_b32_e32 v2, v2, v4, vcc
	v_cndmask_b32_e32 v3, v3, v5, vcc
	v_cmp_eq_u32_e32 vcc, 1, v6
	s_nop 1
	v_cndmask_b32_e32 v1, v1, v7, vcc
	v_cndmask_b32_e32 v3, v5, v3, vcc
	;; [unrolled: 1-line block ×3, first 2 shown]
	v_and_b32_e32 v6, 0xff, v1
.LBB58_288:
	s_or_b64 exec, exec, s[8:9]
.LBB58_289:
	s_or_b64 exec, exec, s[6:7]
.LBB58_290:
	v_cmp_eq_u32_e32 vcc, 0, v0
                                        ; implicit-def: $vgpr4_vgpr5
                                        ; implicit-def: $vgpr1
	s_and_saveexec_b64 s[4:5], vcc
	s_xor_b64 s[8:9], exec, s[4:5]
	s_cbranch_execz .LBB58_294
; %bb.291:
	s_cmp_eq_u64 s[38:39], 0
	s_waitcnt lgkmcnt(0)
	v_mov_b64_e32 v[4:5], s[40:41]
	v_mov_b32_e32 v1, s33
	s_cbranch_scc1 .LBB58_293
; %bb.292:
	v_and_b32_e32 v1, 1, v6
	s_bitcmp1_b32 s33, 0
	v_mov_b32_e32 v4, s33
	v_cmp_eq_u32_e32 vcc, 1, v1
	v_cmp_gt_i64_e64 s[6:7], s[40:41], v[2:3]
	s_cselect_b64 s[4:5], -1, 0
	v_cndmask_b32_e64 v1, v4, 1, vcc
	v_mov_b32_e32 v4, s40
	s_and_b64 vcc, vcc, s[6:7]
	v_mov_b32_e32 v5, s41
	v_cndmask_b32_e32 v4, v4, v2, vcc
	v_cndmask_b32_e32 v5, v5, v3, vcc
	v_cndmask_b32_e64 v1, v6, v1, s[4:5]
	v_cndmask_b32_e64 v5, v3, v5, s[4:5]
	;; [unrolled: 1-line block ×3, first 2 shown]
.LBB58_293:
	s_or_b64 s[18:19], s[18:19], exec
.LBB58_294:
	s_or_b64 exec, exec, s[8:9]
	s_branch .LBB58_315
.LBB58_295:
	s_cmp_eq_u32 s46, 1
	s_cbranch_scc0 .LBB58_314
; %bb.296:
	s_mov_b32 s7, 0
	s_lshl_b32 s6, s2, 8
	s_mov_b32 s3, s7
	s_lshr_b64 s[4:5], s[38:39], 8
	s_cmp_lg_u64 s[4:5], s[2:3]
	s_cbranch_scc0 .LBB58_318
; %bb.297:
	s_lshl_b64 s[4:5], s[6:7], 4
	s_add_u32 s4, s36, s4
	s_addc_u32 s5, s37, s5
	s_waitcnt lgkmcnt(2)
	v_lshlrev_b32_e32 v1, 4, v0
	s_waitcnt lgkmcnt(1)
	global_load_ubyte v4, v1, s[4:5]
	global_load_dwordx2 v[2:3], v1, s[4:5] offset:8
	s_waitcnt vmcnt(1)
	v_and_b32_e32 v1, 1, v4
	s_nop 1
	v_mov_b32_dpp v6, v1 quad_perm:[1,0,3,2] row_mask:0xf bank_mask:0xf bound_ctrl:1
	v_and_b32_e32 v7, 1, v6
	s_waitcnt vmcnt(0)
	v_mov_b32_dpp v4, v2 quad_perm:[1,0,3,2] row_mask:0xf bank_mask:0xf bound_ctrl:1
	s_waitcnt lgkmcnt(0)
	v_mov_b32_dpp v5, v3 quad_perm:[1,0,3,2] row_mask:0xf bank_mask:0xf bound_ctrl:1
	v_cmp_eq_u32_e32 vcc, 1, v7
	v_cmp_eq_u32_e64 s[4:5], 1, v1
	s_and_saveexec_b64 s[8:9], vcc
; %bb.298:
	v_cmp_lt_i64_e32 vcc, v[2:3], v[4:5]
	v_cndmask_b32_e64 v6, v6, 1, s[4:5]
	s_and_b64 vcc, s[4:5], vcc
	v_cndmask_b32_e32 v2, v4, v2, vcc
	v_and_b32_e32 v4, 1, v6
	v_cndmask_b32_e32 v3, v5, v3, vcc
	v_cmp_eq_u32_e32 vcc, 1, v4
	s_andn2_b64 s[4:5], s[4:5], exec
	s_and_b64 s[10:11], vcc, exec
	v_and_b32_e32 v1, 0xff, v6
	s_or_b64 s[4:5], s[4:5], s[10:11]
; %bb.299:
	s_or_b64 exec, exec, s[8:9]
	v_mov_b32_dpp v6, v1 quad_perm:[2,3,0,1] row_mask:0xf bank_mask:0xf bound_ctrl:1
	v_and_b32_e32 v7, 1, v6
	v_mov_b32_dpp v4, v2 quad_perm:[2,3,0,1] row_mask:0xf bank_mask:0xf bound_ctrl:1
	v_mov_b32_dpp v5, v3 quad_perm:[2,3,0,1] row_mask:0xf bank_mask:0xf bound_ctrl:1
	v_cmp_eq_u32_e32 vcc, 1, v7
	s_and_saveexec_b64 s[8:9], vcc
; %bb.300:
	v_cmp_lt_i64_e32 vcc, v[2:3], v[4:5]
	v_cndmask_b32_e64 v6, v6, 1, s[4:5]
	s_and_b64 vcc, s[4:5], vcc
	v_cndmask_b32_e32 v2, v4, v2, vcc
	v_and_b32_e32 v4, 1, v6
	v_cndmask_b32_e32 v3, v5, v3, vcc
	v_cmp_eq_u32_e32 vcc, 1, v4
	s_andn2_b64 s[4:5], s[4:5], exec
	s_and_b64 s[10:11], vcc, exec
	v_and_b32_e32 v1, 0xff, v6
	s_or_b64 s[4:5], s[4:5], s[10:11]
; %bb.301:
	s_or_b64 exec, exec, s[8:9]
	v_mov_b32_dpp v6, v1 row_ror:4 row_mask:0xf bank_mask:0xf bound_ctrl:1
	v_and_b32_e32 v7, 1, v6
	v_mov_b32_dpp v4, v2 row_ror:4 row_mask:0xf bank_mask:0xf bound_ctrl:1
	v_mov_b32_dpp v5, v3 row_ror:4 row_mask:0xf bank_mask:0xf bound_ctrl:1
	v_cmp_eq_u32_e32 vcc, 1, v7
	s_and_saveexec_b64 s[8:9], vcc
; %bb.302:
	v_cmp_lt_i64_e32 vcc, v[2:3], v[4:5]
	v_cndmask_b32_e64 v6, v6, 1, s[4:5]
	s_and_b64 vcc, s[4:5], vcc
	v_cndmask_b32_e32 v2, v4, v2, vcc
	v_and_b32_e32 v4, 1, v6
	v_cndmask_b32_e32 v3, v5, v3, vcc
	v_cmp_eq_u32_e32 vcc, 1, v4
	s_andn2_b64 s[4:5], s[4:5], exec
	s_and_b64 s[10:11], vcc, exec
	v_and_b32_e32 v1, 0xff, v6
	s_or_b64 s[4:5], s[4:5], s[10:11]
; %bb.303:
	s_or_b64 exec, exec, s[8:9]
	v_mov_b32_dpp v6, v1 row_ror:8 row_mask:0xf bank_mask:0xf bound_ctrl:1
	v_and_b32_e32 v7, 1, v6
	v_mov_b32_dpp v4, v2 row_ror:8 row_mask:0xf bank_mask:0xf bound_ctrl:1
	v_mov_b32_dpp v5, v3 row_ror:8 row_mask:0xf bank_mask:0xf bound_ctrl:1
	v_cmp_eq_u32_e32 vcc, 1, v7
	s_and_saveexec_b64 s[8:9], vcc
; %bb.304:
	v_cmp_lt_i64_e32 vcc, v[2:3], v[4:5]
	v_cndmask_b32_e64 v6, v6, 1, s[4:5]
	s_and_b64 vcc, s[4:5], vcc
	v_cndmask_b32_e32 v2, v4, v2, vcc
	v_and_b32_e32 v4, 1, v6
	v_cndmask_b32_e32 v3, v5, v3, vcc
	v_cmp_eq_u32_e32 vcc, 1, v4
	s_andn2_b64 s[4:5], s[4:5], exec
	s_and_b64 s[10:11], vcc, exec
	v_and_b32_e32 v1, 0xff, v6
	s_or_b64 s[4:5], s[4:5], s[10:11]
; %bb.305:
	s_or_b64 exec, exec, s[8:9]
	v_mov_b32_dpp v6, v1 row_bcast:15 row_mask:0xf bank_mask:0xf bound_ctrl:1
	v_and_b32_e32 v7, 1, v6
	v_mov_b32_dpp v4, v2 row_bcast:15 row_mask:0xf bank_mask:0xf bound_ctrl:1
	v_mov_b32_dpp v5, v3 row_bcast:15 row_mask:0xf bank_mask:0xf bound_ctrl:1
	v_cmp_eq_u32_e32 vcc, 1, v7
	s_and_saveexec_b64 s[8:9], vcc
; %bb.306:
	v_cmp_lt_i64_e32 vcc, v[2:3], v[4:5]
	v_cndmask_b32_e64 v6, v6, 1, s[4:5]
	s_and_b64 vcc, s[4:5], vcc
	v_cndmask_b32_e32 v2, v4, v2, vcc
	v_and_b32_e32 v4, 1, v6
	v_cndmask_b32_e32 v3, v5, v3, vcc
	v_cmp_eq_u32_e32 vcc, 1, v4
	s_andn2_b64 s[4:5], s[4:5], exec
	s_and_b64 s[10:11], vcc, exec
	v_and_b32_e32 v1, 0xff, v6
	s_or_b64 s[4:5], s[4:5], s[10:11]
; %bb.307:
	s_or_b64 exec, exec, s[8:9]
	v_mov_b32_dpp v6, v1 row_bcast:31 row_mask:0xf bank_mask:0xf bound_ctrl:1
	v_and_b32_e32 v7, 1, v6
	v_mov_b32_dpp v4, v2 row_bcast:31 row_mask:0xf bank_mask:0xf bound_ctrl:1
	v_mov_b32_dpp v5, v3 row_bcast:31 row_mask:0xf bank_mask:0xf bound_ctrl:1
	v_cmp_eq_u32_e32 vcc, 1, v7
	s_and_saveexec_b64 s[8:9], vcc
; %bb.308:
	v_cmp_lt_i64_e32 vcc, v[2:3], v[4:5]
	v_and_b32_e32 v1, 0xff, v6
	s_and_b64 vcc, s[4:5], vcc
	v_cndmask_b32_e32 v2, v4, v2, vcc
	v_cndmask_b32_e32 v3, v5, v3, vcc
	v_cndmask_b32_e64 v1, v1, 1, s[4:5]
; %bb.309:
	s_or_b64 exec, exec, s[8:9]
	v_mbcnt_lo_u32_b32 v4, -1, 0
	v_mbcnt_hi_u32_b32 v4, -1, v4
	v_bfrev_b32_e32 v5, 0.5
	v_lshl_or_b32 v5, v4, 2, v5
	ds_bpermute_b32 v6, v5, v1
	ds_bpermute_b32 v2, v5, v2
	;; [unrolled: 1-line block ×3, first 2 shown]
	v_cmp_eq_u32_e32 vcc, 0, v4
	s_and_saveexec_b64 s[4:5], vcc
	s_cbranch_execz .LBB58_311
; %bb.310:
	v_lshrrev_b32_e32 v1, 2, v0
	v_and_b32_e32 v1, 48, v1
	s_waitcnt lgkmcnt(2)
	ds_write_b8 v1, v6 offset:64
	s_waitcnt lgkmcnt(1)
	ds_write_b64 v1, v[2:3] offset:72
.LBB58_311:
	s_or_b64 exec, exec, s[4:5]
	v_cmp_gt_u32_e32 vcc, 64, v0
	s_waitcnt lgkmcnt(0)
	s_barrier
	s_and_saveexec_b64 s[8:9], vcc
	s_cbranch_execz .LBB58_313
; %bb.312:
	v_and_b32_e32 v1, 3, v4
	v_lshlrev_b32_e32 v2, 4, v1
	ds_read_u8 v5, v2 offset:64
	ds_read_b64 v[2:3], v2 offset:72
	v_cmp_ne_u32_e32 vcc, 3, v1
	s_waitcnt lgkmcnt(1)
	v_and_b32_e32 v7, 0xff, v5
	v_addc_co_u32_e32 v6, vcc, 0, v4, vcc
	v_lshlrev_b32_e32 v8, 2, v6
	ds_bpermute_b32 v9, v8, v7
	s_waitcnt lgkmcnt(1)
	ds_bpermute_b32 v6, v8, v2
	ds_bpermute_b32 v7, v8, v3
	v_and_b32_e32 v8, 1, v5
	s_waitcnt lgkmcnt(2)
	v_and_b32_e32 v10, 1, v9
	v_cmp_eq_u32_e64 s[4:5], 1, v10
	s_waitcnt lgkmcnt(0)
	v_cmp_lt_i64_e32 vcc, v[6:7], v[2:3]
	s_and_b64 vcc, s[4:5], vcc
	v_cndmask_b32_e64 v5, v5, 1, s[4:5]
	v_cndmask_b32_e32 v2, v2, v6, vcc
	v_cndmask_b32_e32 v3, v3, v7, vcc
	v_cmp_eq_u32_e32 vcc, 1, v8
	s_nop 1
	v_cndmask_b32_e32 v8, v9, v5, vcc
	v_cndmask_b32_e32 v3, v7, v3, vcc
	;; [unrolled: 1-line block ×3, first 2 shown]
	v_cmp_gt_u32_e32 vcc, 2, v1
	v_and_b32_e32 v5, 0xff, v8
	s_nop 0
	v_cndmask_b32_e64 v1, 0, 1, vcc
	v_lshlrev_b32_e32 v1, 1, v1
	v_add_lshl_u32 v1, v1, v4, 2
	ds_bpermute_b32 v6, v1, v5
	ds_bpermute_b32 v4, v1, v2
	;; [unrolled: 1-line block ×3, first 2 shown]
	v_and_b32_e32 v1, 1, v8
	s_waitcnt lgkmcnt(2)
	v_and_b32_e32 v7, 1, v6
	v_cmp_eq_u32_e64 s[4:5], 1, v7
	s_waitcnt lgkmcnt(0)
	v_cmp_lt_i64_e32 vcc, v[4:5], v[2:3]
	s_and_b64 vcc, s[4:5], vcc
	v_cndmask_b32_e64 v7, v8, 1, s[4:5]
	v_cndmask_b32_e32 v2, v2, v4, vcc
	v_cndmask_b32_e32 v3, v3, v5, vcc
	v_cmp_eq_u32_e32 vcc, 1, v1
	s_nop 1
	v_cndmask_b32_e32 v1, v6, v7, vcc
	v_cndmask_b32_e32 v3, v5, v3, vcc
	;; [unrolled: 1-line block ×3, first 2 shown]
	v_and_b32_e32 v6, 0xff, v1
.LBB58_313:
	s_or_b64 exec, exec, s[8:9]
	s_branch .LBB58_342
.LBB58_314:
                                        ; implicit-def: $vgpr4_vgpr5
                                        ; implicit-def: $vgpr1
                                        ; implicit-def: $sgpr2_sgpr3
.LBB58_315:
	s_and_saveexec_b64 s[4:5], s[18:19]
	s_cbranch_execz .LBB58_317
.LBB58_316:
	s_load_dwordx2 s[0:1], s[0:1], 0x18
	s_lshl_b64 s[2:3], s[2:3], 4
	v_mov_b32_e32 v0, 0
	s_waitcnt lgkmcnt(0)
	s_add_u32 s0, s0, s2
	s_addc_u32 s1, s1, s3
	global_store_byte v0, v1, s[0:1]
	global_store_dwordx2 v0, v[4:5], s[0:1] offset:8
.LBB58_317:
	s_endpgm
.LBB58_318:
                                        ; implicit-def: $vgpr2_vgpr3
                                        ; implicit-def: $vgpr6
	s_cbranch_execz .LBB58_342
; %bb.319:
	s_sub_i32 s8, s38, s6
	v_cmp_gt_u32_e32 vcc, s8, v0
	v_mov_b64_e32 v[2:3], 0
	v_mov_b32_e32 v7, 0
	s_and_saveexec_b64 s[4:5], vcc
	s_cbranch_execz .LBB58_321
; %bb.320:
	s_lshl_b64 s[6:7], s[6:7], 4
	s_add_u32 s6, s36, s6
	s_addc_u32 s7, s37, s7
	s_waitcnt lgkmcnt(2)
	v_lshlrev_b32_e32 v1, 4, v0
	global_load_ubyte v7, v1, s[6:7]
	global_load_dwordx2 v[2:3], v1, s[6:7] offset:8
.LBB58_321:
	s_or_b64 exec, exec, s[4:5]
	s_waitcnt lgkmcnt(2)
	v_mbcnt_lo_u32_b32 v1, -1, 0
	v_mbcnt_hi_u32_b32 v1, -1, v1
	v_and_b32_e32 v8, 63, v1
	v_cmp_ne_u32_e32 vcc, 63, v8
	s_waitcnt vmcnt(1)
	v_and_b32_e32 v6, 0xff, v7
	s_min_u32 s8, s8, 0x100
	s_waitcnt lgkmcnt(1)
	v_addc_co_u32_e32 v4, vcc, 0, v1, vcc
	s_waitcnt lgkmcnt(0)
	v_lshlrev_b32_e32 v5, 2, v4
	ds_bpermute_b32 v10, v5, v6
	s_waitcnt vmcnt(0)
	ds_bpermute_b32 v4, v5, v2
	ds_bpermute_b32 v5, v5, v3
	v_and_b32_e32 v9, 0xc0, v0
	v_sub_u32_e64 v9, s8, v9 clamp
	v_add_u32_e32 v11, 1, v8
	v_cmp_lt_u32_e32 vcc, v11, v9
	s_and_saveexec_b64 s[6:7], vcc
	s_cbranch_execz .LBB58_323
; %bb.322:
	s_waitcnt lgkmcnt(2)
	v_and_b32_e32 v11, 1, v10
	s_waitcnt lgkmcnt(0)
	v_cmp_lt_i64_e32 vcc, v[4:5], v[2:3]
	v_cmp_eq_u32_e64 s[4:5], 1, v11
	v_and_b32_e32 v6, 1, v7
	s_and_b64 vcc, s[4:5], vcc
	v_cndmask_b32_e64 v7, v7, 1, s[4:5]
	v_cndmask_b32_e32 v2, v2, v4, vcc
	v_cndmask_b32_e32 v3, v3, v5, vcc
	v_cmp_eq_u32_e32 vcc, 1, v6
	s_nop 1
	v_cndmask_b32_e32 v7, v10, v7, vcc
	v_cndmask_b32_e32 v3, v5, v3, vcc
	v_cndmask_b32_e32 v2, v4, v2, vcc
	v_and_b32_e32 v6, 0xff, v7
.LBB58_323:
	s_or_b64 exec, exec, s[6:7]
	v_cmp_gt_u32_e32 vcc, 62, v8
	v_add_u32_e32 v11, 2, v8
	s_waitcnt lgkmcnt(1)
	v_cndmask_b32_e64 v4, 0, 1, vcc
	v_lshlrev_b32_e32 v4, 1, v4
	s_waitcnt lgkmcnt(0)
	v_add_lshl_u32 v5, v4, v1, 2
	ds_bpermute_b32 v10, v5, v6
	ds_bpermute_b32 v4, v5, v2
	ds_bpermute_b32 v5, v5, v3
	v_cmp_lt_u32_e32 vcc, v11, v9
	s_and_saveexec_b64 s[6:7], vcc
	s_cbranch_execz .LBB58_325
; %bb.324:
	s_waitcnt lgkmcnt(2)
	v_and_b32_e32 v11, 1, v10
	s_waitcnt lgkmcnt(0)
	v_cmp_lt_i64_e32 vcc, v[4:5], v[2:3]
	v_cmp_eq_u32_e64 s[4:5], 1, v11
	v_and_b32_e32 v6, 1, v7
	s_and_b64 vcc, s[4:5], vcc
	v_cndmask_b32_e64 v7, v7, 1, s[4:5]
	v_cndmask_b32_e32 v2, v2, v4, vcc
	v_cndmask_b32_e32 v3, v3, v5, vcc
	v_cmp_eq_u32_e32 vcc, 1, v6
	s_nop 1
	v_cndmask_b32_e32 v7, v10, v7, vcc
	v_cndmask_b32_e32 v3, v5, v3, vcc
	v_cndmask_b32_e32 v2, v4, v2, vcc
	v_and_b32_e32 v6, 0xff, v7
.LBB58_325:
	s_or_b64 exec, exec, s[6:7]
	v_cmp_gt_u32_e32 vcc, 60, v8
	v_add_u32_e32 v11, 4, v8
	s_waitcnt lgkmcnt(1)
	v_cndmask_b32_e64 v4, 0, 1, vcc
	v_lshlrev_b32_e32 v4, 2, v4
	s_waitcnt lgkmcnt(0)
	v_add_lshl_u32 v5, v4, v1, 2
	ds_bpermute_b32 v10, v5, v6
	ds_bpermute_b32 v4, v5, v2
	ds_bpermute_b32 v5, v5, v3
	;; [unrolled: 32-line block ×5, first 2 shown]
	v_cmp_lt_u32_e32 vcc, v8, v9
	s_and_saveexec_b64 s[6:7], vcc
	s_cbranch_execz .LBB58_333
; %bb.332:
	s_waitcnt lgkmcnt(2)
	v_and_b32_e32 v8, 1, v10
	s_waitcnt lgkmcnt(0)
	v_cmp_lt_i64_e32 vcc, v[4:5], v[2:3]
	v_cmp_eq_u32_e64 s[4:5], 1, v8
	v_and_b32_e32 v6, 1, v7
	s_and_b64 vcc, s[4:5], vcc
	v_cndmask_b32_e64 v7, v7, 1, s[4:5]
	v_cndmask_b32_e32 v2, v2, v4, vcc
	v_cndmask_b32_e32 v3, v3, v5, vcc
	v_cmp_eq_u32_e32 vcc, 1, v6
	s_nop 1
	v_cndmask_b32_e32 v7, v10, v7, vcc
	v_cndmask_b32_e32 v3, v5, v3, vcc
	;; [unrolled: 1-line block ×3, first 2 shown]
	v_and_b32_e32 v6, 0xff, v7
.LBB58_333:
	s_or_b64 exec, exec, s[6:7]
	v_cmp_eq_u32_e32 vcc, 0, v1
	s_and_saveexec_b64 s[4:5], vcc
	s_cbranch_execz .LBB58_335
; %bb.334:
	s_waitcnt lgkmcnt(1)
	v_lshrrev_b32_e32 v4, 2, v0
	v_and_b32_e32 v4, 48, v4
	ds_write_b8 v4, v7 offset:320
	ds_write_b64 v4, v[2:3] offset:328
.LBB58_335:
	s_or_b64 exec, exec, s[4:5]
	v_cmp_gt_u32_e32 vcc, 4, v0
	s_waitcnt lgkmcnt(0)
	s_barrier
	s_and_saveexec_b64 s[6:7], vcc
	s_cbranch_execz .LBB58_341
; %bb.336:
	v_lshlrev_b32_e32 v2, 4, v1
	ds_read_u8 v7, v2 offset:320
	ds_read_b64 v[2:3], v2 offset:328
	v_and_b32_e32 v8, 3, v1
	v_cmp_ne_u32_e32 vcc, 3, v8
	s_add_i32 s8, s8, 63
	s_waitcnt lgkmcnt(1)
	v_and_b32_e32 v6, 0xff, v7
	v_addc_co_u32_e32 v4, vcc, 0, v1, vcc
	v_lshlrev_b32_e32 v5, 2, v4
	ds_bpermute_b32 v9, v5, v6
	s_waitcnt lgkmcnt(1)
	ds_bpermute_b32 v4, v5, v2
	ds_bpermute_b32 v5, v5, v3
	s_lshr_b32 s10, s8, 6
	v_add_u32_e32 v10, 1, v8
	v_cmp_gt_u32_e32 vcc, s10, v10
	s_and_saveexec_b64 s[8:9], vcc
	s_cbranch_execz .LBB58_338
; %bb.337:
	s_waitcnt lgkmcnt(2)
	v_and_b32_e32 v10, 1, v9
	s_waitcnt lgkmcnt(0)
	v_cmp_lt_i64_e32 vcc, v[4:5], v[2:3]
	v_cmp_eq_u32_e64 s[4:5], 1, v10
	v_and_b32_e32 v6, 1, v7
	s_and_b64 vcc, s[4:5], vcc
	v_cndmask_b32_e64 v7, v7, 1, s[4:5]
	v_cndmask_b32_e32 v2, v2, v4, vcc
	v_cndmask_b32_e32 v3, v3, v5, vcc
	v_cmp_eq_u32_e32 vcc, 1, v6
	s_nop 1
	v_cndmask_b32_e32 v7, v9, v7, vcc
	v_cndmask_b32_e32 v3, v5, v3, vcc
	;; [unrolled: 1-line block ×3, first 2 shown]
	v_and_b32_e32 v6, 0xff, v7
.LBB58_338:
	s_or_b64 exec, exec, s[8:9]
	v_cmp_gt_u32_e32 vcc, 2, v8
	v_add_u32_e32 v8, 2, v8
	s_waitcnt lgkmcnt(1)
	v_cndmask_b32_e64 v4, 0, 1, vcc
	v_lshlrev_b32_e32 v4, 1, v4
	s_waitcnt lgkmcnt(0)
	v_add_lshl_u32 v5, v4, v1, 2
	ds_bpermute_b32 v1, v5, v6
	ds_bpermute_b32 v4, v5, v2
	;; [unrolled: 1-line block ×3, first 2 shown]
	v_cmp_gt_u32_e32 vcc, s10, v8
	s_and_saveexec_b64 s[8:9], vcc
	s_cbranch_execz .LBB58_340
; %bb.339:
	s_waitcnt lgkmcnt(2)
	v_and_b32_e32 v8, 1, v1
	s_waitcnt lgkmcnt(0)
	v_cmp_lt_i64_e32 vcc, v[4:5], v[2:3]
	v_cmp_eq_u32_e64 s[4:5], 1, v8
	v_and_b32_e32 v6, 1, v7
	s_and_b64 vcc, s[4:5], vcc
	v_cndmask_b32_e64 v7, v7, 1, s[4:5]
	v_cndmask_b32_e32 v2, v2, v4, vcc
	v_cndmask_b32_e32 v3, v3, v5, vcc
	v_cmp_eq_u32_e32 vcc, 1, v6
	s_nop 1
	v_cndmask_b32_e32 v1, v1, v7, vcc
	v_cndmask_b32_e32 v3, v5, v3, vcc
	;; [unrolled: 1-line block ×3, first 2 shown]
	v_and_b32_e32 v6, 0xff, v1
.LBB58_340:
	s_or_b64 exec, exec, s[8:9]
.LBB58_341:
	s_or_b64 exec, exec, s[6:7]
.LBB58_342:
	v_cmp_eq_u32_e32 vcc, 0, v0
                                        ; implicit-def: $vgpr4_vgpr5
                                        ; implicit-def: $vgpr1
	s_and_saveexec_b64 s[8:9], vcc
	s_cbranch_execz .LBB58_346
; %bb.343:
	s_cmp_eq_u64 s[38:39], 0
	s_waitcnt lgkmcnt(0)
	v_mov_b64_e32 v[4:5], s[40:41]
	v_mov_b32_e32 v1, s33
	s_cbranch_scc1 .LBB58_345
; %bb.344:
	v_and_b32_e32 v0, 1, v6
	s_bitcmp1_b32 s33, 0
	v_mov_b32_e32 v1, s33
	v_cmp_eq_u32_e32 vcc, 1, v0
	v_cmp_gt_i64_e64 s[6:7], s[40:41], v[2:3]
	s_cselect_b64 s[4:5], -1, 0
	v_cndmask_b32_e64 v0, v1, 1, vcc
	v_mov_b32_e32 v1, s40
	s_and_b64 vcc, vcc, s[6:7]
	v_cndmask_b32_e32 v4, v1, v2, vcc
	v_mov_b32_e32 v1, s41
	v_cndmask_b32_e32 v5, v1, v3, vcc
	v_cndmask_b32_e64 v1, v6, v0, s[4:5]
	v_cndmask_b32_e64 v5, v3, v5, s[4:5]
	v_cndmask_b32_e64 v4, v2, v4, s[4:5]
.LBB58_345:
	s_or_b64 s[18:19], s[18:19], exec
.LBB58_346:
	s_or_b64 exec, exec, s[8:9]
	s_and_saveexec_b64 s[4:5], s[18:19]
	s_cbranch_execnz .LBB58_316
	s_branch .LBB58_317
.LBB58_347:
	v_lshlrev_b32_e32 v13, 4, v13
	global_load_ubyte v1, v13, s[8:9]
	global_load_dwordx2 v[4:5], v13, s[8:9] offset:8
	s_or_b64 exec, exec, s[10:11]
	s_and_saveexec_b64 s[10:11], s[6:7]
	s_cbranch_execz .LBB58_209
.LBB58_348:
	s_waitcnt vmcnt(1)
	v_and_b32_e32 v14, 1, v11
	s_waitcnt vmcnt(0)
	v_cmp_lt_i64_e64 s[6:7], v[6:7], v[2:3]
	v_cmp_eq_u32_e64 s[8:9], 1, v14
	v_and_b32_e32 v13, 1, v10
	s_and_b64 s[6:7], s[8:9], s[6:7]
	v_cndmask_b32_e64 v10, v10, 1, s[8:9]
	v_cndmask_b32_e64 v2, v2, v6, s[6:7]
	;; [unrolled: 1-line block ×3, first 2 shown]
	v_cmp_eq_u32_e64 s[6:7], 1, v13
	s_nop 1
	v_cndmask_b32_e64 v10, v11, v10, s[6:7]
	v_cndmask_b32_e64 v3, v7, v3, s[6:7]
	;; [unrolled: 1-line block ×3, first 2 shown]
	s_or_b64 exec, exec, s[10:11]
	s_and_saveexec_b64 s[8:9], s[4:5]
	s_cbranch_execz .LBB58_210
.LBB58_349:
	s_waitcnt vmcnt(0)
	v_and_b32_e32 v7, 1, v12
	v_cmp_lt_i64_e64 s[4:5], v[8:9], v[2:3]
	v_cmp_eq_u32_e64 s[6:7], 1, v7
	v_and_b32_e32 v6, 1, v10
	s_and_b64 s[4:5], s[6:7], s[4:5]
	v_cndmask_b32_e64 v7, v10, 1, s[6:7]
	v_cndmask_b32_e64 v2, v2, v8, s[4:5]
	;; [unrolled: 1-line block ×3, first 2 shown]
	v_cmp_eq_u32_e64 s[4:5], 1, v6
	s_nop 1
	v_cndmask_b32_e64 v10, v12, v7, s[4:5]
	v_cndmask_b32_e64 v3, v9, v3, s[4:5]
	;; [unrolled: 1-line block ×3, first 2 shown]
	s_or_b64 exec, exec, s[8:9]
	s_and_saveexec_b64 s[6:7], vcc
	s_cbranch_execnz .LBB58_211
	s_branch .LBB58_212
.LBB58_350:
	v_lshlrev_b32_e32 v49, 4, v49
	global_load_ubyte v34, v49, s[34:35]
	global_load_dwordx2 v[4:5], v49, s[34:35] offset:8
	s_or_b64 exec, exec, s[44:45]
	s_and_saveexec_b64 s[44:45], s[30:31]
	s_cbranch_execz .LBB58_84
.LBB58_351:
	s_waitcnt vmcnt(1)
	v_and_b32_e32 v50, 1, v47
	s_waitcnt vmcnt(0)
	v_cmp_lt_i64_e64 s[30:31], v[30:31], v[2:3]
	v_cmp_eq_u32_e64 s[34:35], 1, v50
	v_and_b32_e32 v49, 1, v1
	s_and_b64 s[30:31], s[34:35], s[30:31]
	v_cndmask_b32_e64 v1, v1, 1, s[34:35]
	v_cndmask_b32_e64 v2, v2, v30, s[30:31]
	;; [unrolled: 1-line block ×3, first 2 shown]
	v_cmp_eq_u32_e64 s[30:31], 1, v49
	s_nop 1
	v_cndmask_b32_e64 v1, v47, v1, s[30:31]
	v_cndmask_b32_e64 v3, v31, v3, s[30:31]
	;; [unrolled: 1-line block ×3, first 2 shown]
	s_or_b64 exec, exec, s[44:45]
	s_and_saveexec_b64 s[34:35], s[28:29]
	s_cbranch_execz .LBB58_85
.LBB58_352:
	s_waitcnt vmcnt(0)
	v_and_b32_e32 v31, 1, v48
	v_cmp_lt_i64_e64 s[28:29], v[32:33], v[2:3]
	v_cmp_eq_u32_e64 s[30:31], 1, v31
	v_and_b32_e32 v30, 1, v1
	s_and_b64 s[28:29], s[30:31], s[28:29]
	v_cndmask_b32_e64 v1, v1, 1, s[30:31]
	v_cndmask_b32_e64 v2, v2, v32, s[28:29]
	;; [unrolled: 1-line block ×3, first 2 shown]
	v_cmp_eq_u32_e64 s[28:29], 1, v30
	s_nop 1
	v_cndmask_b32_e64 v1, v48, v1, s[28:29]
	v_cndmask_b32_e64 v3, v33, v3, s[28:29]
	;; [unrolled: 1-line block ×3, first 2 shown]
	s_or_b64 exec, exec, s[34:35]
	s_and_saveexec_b64 s[30:31], s[26:27]
	s_cbranch_execz .LBB58_86
.LBB58_353:
	s_waitcnt vmcnt(0)
	v_and_b32_e32 v31, 1, v45
	v_cmp_lt_i64_e64 s[26:27], v[26:27], v[2:3]
	v_cmp_eq_u32_e64 s[28:29], 1, v31
	v_and_b32_e32 v30, 1, v1
	s_and_b64 s[26:27], s[28:29], s[26:27]
	v_cndmask_b32_e64 v1, v1, 1, s[28:29]
	v_cndmask_b32_e64 v2, v2, v26, s[26:27]
	;; [unrolled: 1-line block ×3, first 2 shown]
	v_cmp_eq_u32_e64 s[26:27], 1, v30
	s_nop 1
	v_cndmask_b32_e64 v1, v45, v1, s[26:27]
	v_cndmask_b32_e64 v3, v27, v3, s[26:27]
	;; [unrolled: 1-line block ×3, first 2 shown]
	s_or_b64 exec, exec, s[30:31]
	s_and_saveexec_b64 s[28:29], s[24:25]
	s_cbranch_execz .LBB58_87
.LBB58_354:
	s_waitcnt vmcnt(0)
	v_and_b32_e32 v27, 1, v46
	v_cmp_lt_i64_e64 s[24:25], v[28:29], v[2:3]
	v_cmp_eq_u32_e64 s[26:27], 1, v27
	v_and_b32_e32 v26, 1, v1
	s_and_b64 s[24:25], s[26:27], s[24:25]
	v_cndmask_b32_e64 v1, v1, 1, s[26:27]
	v_cndmask_b32_e64 v2, v2, v28, s[24:25]
	;; [unrolled: 1-line block ×3, first 2 shown]
	v_cmp_eq_u32_e64 s[24:25], 1, v26
	s_nop 1
	v_cndmask_b32_e64 v1, v46, v1, s[24:25]
	v_cndmask_b32_e64 v3, v29, v3, s[24:25]
	;; [unrolled: 1-line block ×3, first 2 shown]
	s_or_b64 exec, exec, s[28:29]
	s_and_saveexec_b64 s[26:27], s[22:23]
	s_cbranch_execz .LBB58_88
.LBB58_355:
	s_waitcnt vmcnt(0)
	v_and_b32_e32 v27, 1, v43
	v_cmp_lt_i64_e64 s[22:23], v[22:23], v[2:3]
	v_cmp_eq_u32_e64 s[24:25], 1, v27
	v_and_b32_e32 v26, 1, v1
	s_and_b64 s[22:23], s[24:25], s[22:23]
	v_cndmask_b32_e64 v1, v1, 1, s[24:25]
	v_cndmask_b32_e64 v2, v2, v22, s[22:23]
	v_cndmask_b32_e64 v3, v3, v23, s[22:23]
	v_cmp_eq_u32_e64 s[22:23], 1, v26
	s_nop 1
	v_cndmask_b32_e64 v1, v43, v1, s[22:23]
	v_cndmask_b32_e64 v3, v23, v3, s[22:23]
	;; [unrolled: 1-line block ×3, first 2 shown]
	s_or_b64 exec, exec, s[26:27]
	s_and_saveexec_b64 s[24:25], s[20:21]
	s_cbranch_execz .LBB58_89
.LBB58_356:
	s_waitcnt vmcnt(0)
	v_and_b32_e32 v23, 1, v44
	v_cmp_lt_i64_e64 s[20:21], v[24:25], v[2:3]
	v_cmp_eq_u32_e64 s[22:23], 1, v23
	v_and_b32_e32 v22, 1, v1
	s_and_b64 s[20:21], s[22:23], s[20:21]
	v_cndmask_b32_e64 v1, v1, 1, s[22:23]
	v_cndmask_b32_e64 v2, v2, v24, s[20:21]
	;; [unrolled: 1-line block ×3, first 2 shown]
	v_cmp_eq_u32_e64 s[20:21], 1, v22
	s_nop 1
	v_cndmask_b32_e64 v1, v44, v1, s[20:21]
	v_cndmask_b32_e64 v3, v25, v3, s[20:21]
	;; [unrolled: 1-line block ×3, first 2 shown]
	s_or_b64 exec, exec, s[24:25]
	s_and_saveexec_b64 s[22:23], s[18:19]
	s_cbranch_execz .LBB58_90
.LBB58_357:
	s_waitcnt vmcnt(0)
	v_and_b32_e32 v23, 1, v41
	v_cmp_lt_i64_e64 s[18:19], v[18:19], v[2:3]
	v_cmp_eq_u32_e64 s[20:21], 1, v23
	v_and_b32_e32 v22, 1, v1
	s_and_b64 s[18:19], s[20:21], s[18:19]
	v_cndmask_b32_e64 v1, v1, 1, s[20:21]
	v_cndmask_b32_e64 v2, v2, v18, s[18:19]
	;; [unrolled: 1-line block ×3, first 2 shown]
	v_cmp_eq_u32_e64 s[18:19], 1, v22
	s_nop 1
	v_cndmask_b32_e64 v1, v41, v1, s[18:19]
	v_cndmask_b32_e64 v3, v19, v3, s[18:19]
	;; [unrolled: 1-line block ×3, first 2 shown]
	s_or_b64 exec, exec, s[22:23]
	s_and_saveexec_b64 s[20:21], s[16:17]
	s_cbranch_execz .LBB58_91
.LBB58_358:
	s_waitcnt vmcnt(0)
	v_and_b32_e32 v19, 1, v42
	v_cmp_lt_i64_e64 s[16:17], v[20:21], v[2:3]
	v_cmp_eq_u32_e64 s[18:19], 1, v19
	v_and_b32_e32 v18, 1, v1
	s_and_b64 s[16:17], s[18:19], s[16:17]
	v_cndmask_b32_e64 v1, v1, 1, s[18:19]
	v_cndmask_b32_e64 v2, v2, v20, s[16:17]
	;; [unrolled: 1-line block ×3, first 2 shown]
	v_cmp_eq_u32_e64 s[16:17], 1, v18
	s_nop 1
	v_cndmask_b32_e64 v1, v42, v1, s[16:17]
	v_cndmask_b32_e64 v3, v21, v3, s[16:17]
	;; [unrolled: 1-line block ×3, first 2 shown]
	s_or_b64 exec, exec, s[20:21]
	s_and_saveexec_b64 s[18:19], s[14:15]
	s_cbranch_execz .LBB58_92
.LBB58_359:
	s_waitcnt vmcnt(0)
	v_and_b32_e32 v19, 1, v39
	v_cmp_lt_i64_e64 s[14:15], v[14:15], v[2:3]
	v_cmp_eq_u32_e64 s[16:17], 1, v19
	v_and_b32_e32 v18, 1, v1
	s_and_b64 s[14:15], s[16:17], s[14:15]
	v_cndmask_b32_e64 v1, v1, 1, s[16:17]
	v_cndmask_b32_e64 v2, v2, v14, s[14:15]
	;; [unrolled: 1-line block ×3, first 2 shown]
	v_cmp_eq_u32_e64 s[14:15], 1, v18
	s_nop 1
	v_cndmask_b32_e64 v1, v39, v1, s[14:15]
	v_cndmask_b32_e64 v3, v15, v3, s[14:15]
	;; [unrolled: 1-line block ×3, first 2 shown]
	s_or_b64 exec, exec, s[18:19]
	s_and_saveexec_b64 s[16:17], s[12:13]
	s_cbranch_execz .LBB58_93
.LBB58_360:
	s_waitcnt vmcnt(0)
	v_and_b32_e32 v15, 1, v40
	v_cmp_lt_i64_e64 s[12:13], v[16:17], v[2:3]
	v_cmp_eq_u32_e64 s[14:15], 1, v15
	v_and_b32_e32 v14, 1, v1
	s_and_b64 s[12:13], s[14:15], s[12:13]
	v_cndmask_b32_e64 v1, v1, 1, s[14:15]
	v_cndmask_b32_e64 v2, v2, v16, s[12:13]
	;; [unrolled: 1-line block ×3, first 2 shown]
	v_cmp_eq_u32_e64 s[12:13], 1, v14
	s_nop 1
	v_cndmask_b32_e64 v1, v40, v1, s[12:13]
	v_cndmask_b32_e64 v3, v17, v3, s[12:13]
	;; [unrolled: 1-line block ×3, first 2 shown]
	s_or_b64 exec, exec, s[16:17]
	s_and_saveexec_b64 s[14:15], s[10:11]
	s_cbranch_execz .LBB58_94
.LBB58_361:
	s_waitcnt vmcnt(0)
	v_and_b32_e32 v15, 1, v37
	v_cmp_lt_i64_e64 s[10:11], v[10:11], v[2:3]
	v_cmp_eq_u32_e64 s[12:13], 1, v15
	v_and_b32_e32 v14, 1, v1
	s_and_b64 s[10:11], s[12:13], s[10:11]
	v_cndmask_b32_e64 v1, v1, 1, s[12:13]
	v_cndmask_b32_e64 v2, v2, v10, s[10:11]
	;; [unrolled: 1-line block ×3, first 2 shown]
	v_cmp_eq_u32_e64 s[10:11], 1, v14
	s_nop 1
	v_cndmask_b32_e64 v1, v37, v1, s[10:11]
	v_cndmask_b32_e64 v3, v11, v3, s[10:11]
	;; [unrolled: 1-line block ×3, first 2 shown]
	s_or_b64 exec, exec, s[14:15]
	s_and_saveexec_b64 s[12:13], s[8:9]
	s_cbranch_execz .LBB58_95
.LBB58_362:
	s_waitcnt vmcnt(0)
	v_and_b32_e32 v11, 1, v38
	v_cmp_lt_i64_e64 s[8:9], v[12:13], v[2:3]
	v_cmp_eq_u32_e64 s[10:11], 1, v11
	v_and_b32_e32 v10, 1, v1
	s_and_b64 s[8:9], s[10:11], s[8:9]
	v_cndmask_b32_e64 v1, v1, 1, s[10:11]
	v_cndmask_b32_e64 v2, v2, v12, s[8:9]
	;; [unrolled: 1-line block ×3, first 2 shown]
	v_cmp_eq_u32_e64 s[8:9], 1, v10
	s_nop 1
	v_cndmask_b32_e64 v1, v38, v1, s[8:9]
	v_cndmask_b32_e64 v3, v13, v3, s[8:9]
	;; [unrolled: 1-line block ×3, first 2 shown]
	s_or_b64 exec, exec, s[12:13]
	s_and_saveexec_b64 s[10:11], s[6:7]
	s_cbranch_execz .LBB58_96
.LBB58_363:
	s_waitcnt vmcnt(0)
	v_and_b32_e32 v11, 1, v35
	v_cmp_lt_i64_e64 s[6:7], v[6:7], v[2:3]
	v_cmp_eq_u32_e64 s[8:9], 1, v11
	v_and_b32_e32 v10, 1, v1
	s_and_b64 s[6:7], s[8:9], s[6:7]
	v_cndmask_b32_e64 v1, v1, 1, s[8:9]
	v_cndmask_b32_e64 v2, v2, v6, s[6:7]
	;; [unrolled: 1-line block ×3, first 2 shown]
	v_cmp_eq_u32_e64 s[6:7], 1, v10
	s_nop 1
	v_cndmask_b32_e64 v1, v35, v1, s[6:7]
	v_cndmask_b32_e64 v3, v7, v3, s[6:7]
	;; [unrolled: 1-line block ×3, first 2 shown]
	s_or_b64 exec, exec, s[10:11]
	s_and_saveexec_b64 s[8:9], s[4:5]
	s_cbranch_execz .LBB58_97
.LBB58_364:
	s_waitcnt vmcnt(0)
	v_and_b32_e32 v7, 1, v36
	v_cmp_lt_i64_e64 s[4:5], v[8:9], v[2:3]
	v_cmp_eq_u32_e64 s[6:7], 1, v7
	v_and_b32_e32 v6, 1, v1
	s_and_b64 s[4:5], s[6:7], s[4:5]
	v_cndmask_b32_e64 v1, v1, 1, s[6:7]
	v_cndmask_b32_e64 v2, v2, v8, s[4:5]
	;; [unrolled: 1-line block ×3, first 2 shown]
	v_cmp_eq_u32_e64 s[4:5], 1, v6
	s_nop 1
	v_cndmask_b32_e64 v1, v36, v1, s[4:5]
	v_cndmask_b32_e64 v3, v9, v3, s[4:5]
	;; [unrolled: 1-line block ×3, first 2 shown]
	s_or_b64 exec, exec, s[8:9]
	s_and_saveexec_b64 s[6:7], vcc
	s_cbranch_execnz .LBB58_98
	s_branch .LBB58_99
.LBB58_365:
	v_lshlrev_b32_e32 v25, 4, v25
	global_load_ubyte v1, v25, s[16:17]
	global_load_dwordx2 v[4:5], v25, s[16:17] offset:8
	s_or_b64 exec, exec, s[20:21]
	s_and_saveexec_b64 s[20:21], s[14:15]
	s_cbranch_execz .LBB58_144
.LBB58_366:
	s_waitcnt vmcnt(1)
	v_and_b32_e32 v26, 1, v23
	s_waitcnt vmcnt(0)
	v_cmp_lt_i64_e64 s[14:15], v[14:15], v[2:3]
	v_cmp_eq_u32_e64 s[16:17], 1, v26
	v_and_b32_e32 v25, 1, v18
	s_and_b64 s[14:15], s[16:17], s[14:15]
	v_cndmask_b32_e64 v18, v18, 1, s[16:17]
	v_cndmask_b32_e64 v2, v2, v14, s[14:15]
	;; [unrolled: 1-line block ×3, first 2 shown]
	v_cmp_eq_u32_e64 s[14:15], 1, v25
	s_nop 1
	v_cndmask_b32_e64 v18, v23, v18, s[14:15]
	v_cndmask_b32_e64 v3, v15, v3, s[14:15]
	;; [unrolled: 1-line block ×3, first 2 shown]
	s_or_b64 exec, exec, s[20:21]
	s_and_saveexec_b64 s[16:17], s[12:13]
	s_cbranch_execz .LBB58_145
.LBB58_367:
	s_waitcnt vmcnt(0)
	v_and_b32_e32 v15, 1, v24
	v_cmp_lt_i64_e64 s[12:13], v[16:17], v[2:3]
	v_cmp_eq_u32_e64 s[14:15], 1, v15
	v_and_b32_e32 v14, 1, v18
	s_and_b64 s[12:13], s[14:15], s[12:13]
	v_cndmask_b32_e64 v15, v18, 1, s[14:15]
	v_cndmask_b32_e64 v2, v2, v16, s[12:13]
	v_cndmask_b32_e64 v3, v3, v17, s[12:13]
	v_cmp_eq_u32_e64 s[12:13], 1, v14
	s_nop 1
	v_cndmask_b32_e64 v18, v24, v15, s[12:13]
	v_cndmask_b32_e64 v3, v17, v3, s[12:13]
	;; [unrolled: 1-line block ×3, first 2 shown]
	s_or_b64 exec, exec, s[16:17]
	s_and_saveexec_b64 s[14:15], s[10:11]
	s_cbranch_execz .LBB58_146
.LBB58_368:
	s_waitcnt vmcnt(0)
	v_and_b32_e32 v15, 1, v21
	v_cmp_lt_i64_e64 s[10:11], v[10:11], v[2:3]
	v_cmp_eq_u32_e64 s[12:13], 1, v15
	v_and_b32_e32 v14, 1, v18
	s_and_b64 s[10:11], s[12:13], s[10:11]
	v_cndmask_b32_e64 v15, v18, 1, s[12:13]
	v_cndmask_b32_e64 v2, v2, v10, s[10:11]
	;; [unrolled: 1-line block ×3, first 2 shown]
	v_cmp_eq_u32_e64 s[10:11], 1, v14
	s_nop 1
	v_cndmask_b32_e64 v18, v21, v15, s[10:11]
	v_cndmask_b32_e64 v3, v11, v3, s[10:11]
	;; [unrolled: 1-line block ×3, first 2 shown]
	s_or_b64 exec, exec, s[14:15]
	s_and_saveexec_b64 s[12:13], s[8:9]
	s_cbranch_execz .LBB58_147
.LBB58_369:
	s_waitcnt vmcnt(0)
	v_and_b32_e32 v11, 1, v22
	v_cmp_lt_i64_e64 s[8:9], v[12:13], v[2:3]
	v_cmp_eq_u32_e64 s[10:11], 1, v11
	v_and_b32_e32 v10, 1, v18
	s_and_b64 s[8:9], s[10:11], s[8:9]
	v_cndmask_b32_e64 v11, v18, 1, s[10:11]
	v_cndmask_b32_e64 v2, v2, v12, s[8:9]
	;; [unrolled: 1-line block ×3, first 2 shown]
	v_cmp_eq_u32_e64 s[8:9], 1, v10
	s_nop 1
	v_cndmask_b32_e64 v18, v22, v11, s[8:9]
	v_cndmask_b32_e64 v3, v13, v3, s[8:9]
	;; [unrolled: 1-line block ×3, first 2 shown]
	s_or_b64 exec, exec, s[12:13]
	s_and_saveexec_b64 s[10:11], s[6:7]
	s_cbranch_execz .LBB58_148
.LBB58_370:
	s_waitcnt vmcnt(0)
	v_and_b32_e32 v11, 1, v19
	v_cmp_lt_i64_e64 s[6:7], v[6:7], v[2:3]
	v_cmp_eq_u32_e64 s[8:9], 1, v11
	v_and_b32_e32 v10, 1, v18
	s_and_b64 s[6:7], s[8:9], s[6:7]
	v_cndmask_b32_e64 v11, v18, 1, s[8:9]
	v_cndmask_b32_e64 v2, v2, v6, s[6:7]
	;; [unrolled: 1-line block ×3, first 2 shown]
	v_cmp_eq_u32_e64 s[6:7], 1, v10
	s_nop 1
	v_cndmask_b32_e64 v18, v19, v11, s[6:7]
	v_cndmask_b32_e64 v3, v7, v3, s[6:7]
	;; [unrolled: 1-line block ×3, first 2 shown]
	s_or_b64 exec, exec, s[10:11]
	s_and_saveexec_b64 s[8:9], s[4:5]
	s_cbranch_execz .LBB58_149
.LBB58_371:
	s_waitcnt vmcnt(0)
	v_and_b32_e32 v7, 1, v20
	v_cmp_lt_i64_e64 s[4:5], v[8:9], v[2:3]
	v_cmp_eq_u32_e64 s[6:7], 1, v7
	v_and_b32_e32 v6, 1, v18
	s_and_b64 s[4:5], s[6:7], s[4:5]
	v_cndmask_b32_e64 v7, v18, 1, s[6:7]
	v_cndmask_b32_e64 v2, v2, v8, s[4:5]
	;; [unrolled: 1-line block ×3, first 2 shown]
	v_cmp_eq_u32_e64 s[4:5], 1, v6
	s_nop 1
	v_cndmask_b32_e64 v18, v20, v7, s[4:5]
	v_cndmask_b32_e64 v3, v9, v3, s[4:5]
	;; [unrolled: 1-line block ×3, first 2 shown]
	s_or_b64 exec, exec, s[8:9]
	s_and_saveexec_b64 s[6:7], vcc
	s_cbranch_execnz .LBB58_150
	s_branch .LBB58_151
	.section	.rodata,"a",@progbits
	.p2align	6, 0x0
	.amdhsa_kernel _ZN7rocprim17ROCPRIM_400000_NS6detail17trampoline_kernelINS0_14default_configENS1_22reduce_config_selectorIN6thrust23THRUST_200600_302600_NS5tupleIblNS6_9null_typeES8_S8_S8_S8_S8_S8_S8_EEEEZNS1_11reduce_implILb1ES3_PS9_SC_S9_NS6_11hip_rocprim9__find_if7functorIS9_EEEE10hipError_tPvRmT1_T2_T3_mT4_P12ihipStream_tbEUlT_E1_NS1_11comp_targetILNS1_3genE5ELNS1_11target_archE942ELNS1_3gpuE9ELNS1_3repE0EEENS1_30default_config_static_selectorELNS0_4arch9wavefront6targetE1EEEvSK_
		.amdhsa_group_segment_fixed_size 384
		.amdhsa_private_segment_fixed_size 0
		.amdhsa_kernarg_size 56
		.amdhsa_user_sgpr_count 2
		.amdhsa_user_sgpr_dispatch_ptr 0
		.amdhsa_user_sgpr_queue_ptr 0
		.amdhsa_user_sgpr_kernarg_segment_ptr 1
		.amdhsa_user_sgpr_dispatch_id 0
		.amdhsa_user_sgpr_kernarg_preload_length 0
		.amdhsa_user_sgpr_kernarg_preload_offset 0
		.amdhsa_user_sgpr_private_segment_size 0
		.amdhsa_uses_dynamic_stack 0
		.amdhsa_enable_private_segment 0
		.amdhsa_system_sgpr_workgroup_id_x 1
		.amdhsa_system_sgpr_workgroup_id_y 0
		.amdhsa_system_sgpr_workgroup_id_z 0
		.amdhsa_system_sgpr_workgroup_info 0
		.amdhsa_system_vgpr_workitem_id 0
		.amdhsa_next_free_vgpr 54
		.amdhsa_next_free_sgpr 48
		.amdhsa_accum_offset 56
		.amdhsa_reserve_vcc 1
		.amdhsa_float_round_mode_32 0
		.amdhsa_float_round_mode_16_64 0
		.amdhsa_float_denorm_mode_32 3
		.amdhsa_float_denorm_mode_16_64 3
		.amdhsa_dx10_clamp 1
		.amdhsa_ieee_mode 1
		.amdhsa_fp16_overflow 0
		.amdhsa_tg_split 0
		.amdhsa_exception_fp_ieee_invalid_op 0
		.amdhsa_exception_fp_denorm_src 0
		.amdhsa_exception_fp_ieee_div_zero 0
		.amdhsa_exception_fp_ieee_overflow 0
		.amdhsa_exception_fp_ieee_underflow 0
		.amdhsa_exception_fp_ieee_inexact 0
		.amdhsa_exception_int_div_zero 0
	.end_amdhsa_kernel
	.section	.text._ZN7rocprim17ROCPRIM_400000_NS6detail17trampoline_kernelINS0_14default_configENS1_22reduce_config_selectorIN6thrust23THRUST_200600_302600_NS5tupleIblNS6_9null_typeES8_S8_S8_S8_S8_S8_S8_EEEEZNS1_11reduce_implILb1ES3_PS9_SC_S9_NS6_11hip_rocprim9__find_if7functorIS9_EEEE10hipError_tPvRmT1_T2_T3_mT4_P12ihipStream_tbEUlT_E1_NS1_11comp_targetILNS1_3genE5ELNS1_11target_archE942ELNS1_3gpuE9ELNS1_3repE0EEENS1_30default_config_static_selectorELNS0_4arch9wavefront6targetE1EEEvSK_,"axG",@progbits,_ZN7rocprim17ROCPRIM_400000_NS6detail17trampoline_kernelINS0_14default_configENS1_22reduce_config_selectorIN6thrust23THRUST_200600_302600_NS5tupleIblNS6_9null_typeES8_S8_S8_S8_S8_S8_S8_EEEEZNS1_11reduce_implILb1ES3_PS9_SC_S9_NS6_11hip_rocprim9__find_if7functorIS9_EEEE10hipError_tPvRmT1_T2_T3_mT4_P12ihipStream_tbEUlT_E1_NS1_11comp_targetILNS1_3genE5ELNS1_11target_archE942ELNS1_3gpuE9ELNS1_3repE0EEENS1_30default_config_static_selectorELNS0_4arch9wavefront6targetE1EEEvSK_,comdat
.Lfunc_end58:
	.size	_ZN7rocprim17ROCPRIM_400000_NS6detail17trampoline_kernelINS0_14default_configENS1_22reduce_config_selectorIN6thrust23THRUST_200600_302600_NS5tupleIblNS6_9null_typeES8_S8_S8_S8_S8_S8_S8_EEEEZNS1_11reduce_implILb1ES3_PS9_SC_S9_NS6_11hip_rocprim9__find_if7functorIS9_EEEE10hipError_tPvRmT1_T2_T3_mT4_P12ihipStream_tbEUlT_E1_NS1_11comp_targetILNS1_3genE5ELNS1_11target_archE942ELNS1_3gpuE9ELNS1_3repE0EEENS1_30default_config_static_selectorELNS0_4arch9wavefront6targetE1EEEvSK_, .Lfunc_end58-_ZN7rocprim17ROCPRIM_400000_NS6detail17trampoline_kernelINS0_14default_configENS1_22reduce_config_selectorIN6thrust23THRUST_200600_302600_NS5tupleIblNS6_9null_typeES8_S8_S8_S8_S8_S8_S8_EEEEZNS1_11reduce_implILb1ES3_PS9_SC_S9_NS6_11hip_rocprim9__find_if7functorIS9_EEEE10hipError_tPvRmT1_T2_T3_mT4_P12ihipStream_tbEUlT_E1_NS1_11comp_targetILNS1_3genE5ELNS1_11target_archE942ELNS1_3gpuE9ELNS1_3repE0EEENS1_30default_config_static_selectorELNS0_4arch9wavefront6targetE1EEEvSK_
                                        ; -- End function
	.section	.AMDGPU.csdata,"",@progbits
; Kernel info:
; codeLenInByte = 20028
; NumSgprs: 54
; NumVgprs: 54
; NumAgprs: 0
; TotalNumVgprs: 54
; ScratchSize: 0
; MemoryBound: 0
; FloatMode: 240
; IeeeMode: 1
; LDSByteSize: 384 bytes/workgroup (compile time only)
; SGPRBlocks: 6
; VGPRBlocks: 6
; NumSGPRsForWavesPerEU: 54
; NumVGPRsForWavesPerEU: 54
; AccumOffset: 56
; Occupancy: 8
; WaveLimiterHint : 1
; COMPUTE_PGM_RSRC2:SCRATCH_EN: 0
; COMPUTE_PGM_RSRC2:USER_SGPR: 2
; COMPUTE_PGM_RSRC2:TRAP_HANDLER: 0
; COMPUTE_PGM_RSRC2:TGID_X_EN: 1
; COMPUTE_PGM_RSRC2:TGID_Y_EN: 0
; COMPUTE_PGM_RSRC2:TGID_Z_EN: 0
; COMPUTE_PGM_RSRC2:TIDIG_COMP_CNT: 0
; COMPUTE_PGM_RSRC3_GFX90A:ACCUM_OFFSET: 13
; COMPUTE_PGM_RSRC3_GFX90A:TG_SPLIT: 0
	.section	.text._ZN7rocprim17ROCPRIM_400000_NS6detail17trampoline_kernelINS0_14default_configENS1_22reduce_config_selectorIN6thrust23THRUST_200600_302600_NS5tupleIblNS6_9null_typeES8_S8_S8_S8_S8_S8_S8_EEEEZNS1_11reduce_implILb1ES3_PS9_SC_S9_NS6_11hip_rocprim9__find_if7functorIS9_EEEE10hipError_tPvRmT1_T2_T3_mT4_P12ihipStream_tbEUlT_E1_NS1_11comp_targetILNS1_3genE4ELNS1_11target_archE910ELNS1_3gpuE8ELNS1_3repE0EEENS1_30default_config_static_selectorELNS0_4arch9wavefront6targetE1EEEvSK_,"axG",@progbits,_ZN7rocprim17ROCPRIM_400000_NS6detail17trampoline_kernelINS0_14default_configENS1_22reduce_config_selectorIN6thrust23THRUST_200600_302600_NS5tupleIblNS6_9null_typeES8_S8_S8_S8_S8_S8_S8_EEEEZNS1_11reduce_implILb1ES3_PS9_SC_S9_NS6_11hip_rocprim9__find_if7functorIS9_EEEE10hipError_tPvRmT1_T2_T3_mT4_P12ihipStream_tbEUlT_E1_NS1_11comp_targetILNS1_3genE4ELNS1_11target_archE910ELNS1_3gpuE8ELNS1_3repE0EEENS1_30default_config_static_selectorELNS0_4arch9wavefront6targetE1EEEvSK_,comdat
	.protected	_ZN7rocprim17ROCPRIM_400000_NS6detail17trampoline_kernelINS0_14default_configENS1_22reduce_config_selectorIN6thrust23THRUST_200600_302600_NS5tupleIblNS6_9null_typeES8_S8_S8_S8_S8_S8_S8_EEEEZNS1_11reduce_implILb1ES3_PS9_SC_S9_NS6_11hip_rocprim9__find_if7functorIS9_EEEE10hipError_tPvRmT1_T2_T3_mT4_P12ihipStream_tbEUlT_E1_NS1_11comp_targetILNS1_3genE4ELNS1_11target_archE910ELNS1_3gpuE8ELNS1_3repE0EEENS1_30default_config_static_selectorELNS0_4arch9wavefront6targetE1EEEvSK_ ; -- Begin function _ZN7rocprim17ROCPRIM_400000_NS6detail17trampoline_kernelINS0_14default_configENS1_22reduce_config_selectorIN6thrust23THRUST_200600_302600_NS5tupleIblNS6_9null_typeES8_S8_S8_S8_S8_S8_S8_EEEEZNS1_11reduce_implILb1ES3_PS9_SC_S9_NS6_11hip_rocprim9__find_if7functorIS9_EEEE10hipError_tPvRmT1_T2_T3_mT4_P12ihipStream_tbEUlT_E1_NS1_11comp_targetILNS1_3genE4ELNS1_11target_archE910ELNS1_3gpuE8ELNS1_3repE0EEENS1_30default_config_static_selectorELNS0_4arch9wavefront6targetE1EEEvSK_
	.globl	_ZN7rocprim17ROCPRIM_400000_NS6detail17trampoline_kernelINS0_14default_configENS1_22reduce_config_selectorIN6thrust23THRUST_200600_302600_NS5tupleIblNS6_9null_typeES8_S8_S8_S8_S8_S8_S8_EEEEZNS1_11reduce_implILb1ES3_PS9_SC_S9_NS6_11hip_rocprim9__find_if7functorIS9_EEEE10hipError_tPvRmT1_T2_T3_mT4_P12ihipStream_tbEUlT_E1_NS1_11comp_targetILNS1_3genE4ELNS1_11target_archE910ELNS1_3gpuE8ELNS1_3repE0EEENS1_30default_config_static_selectorELNS0_4arch9wavefront6targetE1EEEvSK_
	.p2align	8
	.type	_ZN7rocprim17ROCPRIM_400000_NS6detail17trampoline_kernelINS0_14default_configENS1_22reduce_config_selectorIN6thrust23THRUST_200600_302600_NS5tupleIblNS6_9null_typeES8_S8_S8_S8_S8_S8_S8_EEEEZNS1_11reduce_implILb1ES3_PS9_SC_S9_NS6_11hip_rocprim9__find_if7functorIS9_EEEE10hipError_tPvRmT1_T2_T3_mT4_P12ihipStream_tbEUlT_E1_NS1_11comp_targetILNS1_3genE4ELNS1_11target_archE910ELNS1_3gpuE8ELNS1_3repE0EEENS1_30default_config_static_selectorELNS0_4arch9wavefront6targetE1EEEvSK_,@function
_ZN7rocprim17ROCPRIM_400000_NS6detail17trampoline_kernelINS0_14default_configENS1_22reduce_config_selectorIN6thrust23THRUST_200600_302600_NS5tupleIblNS6_9null_typeES8_S8_S8_S8_S8_S8_S8_EEEEZNS1_11reduce_implILb1ES3_PS9_SC_S9_NS6_11hip_rocprim9__find_if7functorIS9_EEEE10hipError_tPvRmT1_T2_T3_mT4_P12ihipStream_tbEUlT_E1_NS1_11comp_targetILNS1_3genE4ELNS1_11target_archE910ELNS1_3gpuE8ELNS1_3repE0EEENS1_30default_config_static_selectorELNS0_4arch9wavefront6targetE1EEEvSK_: ; @_ZN7rocprim17ROCPRIM_400000_NS6detail17trampoline_kernelINS0_14default_configENS1_22reduce_config_selectorIN6thrust23THRUST_200600_302600_NS5tupleIblNS6_9null_typeES8_S8_S8_S8_S8_S8_S8_EEEEZNS1_11reduce_implILb1ES3_PS9_SC_S9_NS6_11hip_rocprim9__find_if7functorIS9_EEEE10hipError_tPvRmT1_T2_T3_mT4_P12ihipStream_tbEUlT_E1_NS1_11comp_targetILNS1_3genE4ELNS1_11target_archE910ELNS1_3gpuE8ELNS1_3repE0EEENS1_30default_config_static_selectorELNS0_4arch9wavefront6targetE1EEEvSK_
; %bb.0:
	.section	.rodata,"a",@progbits
	.p2align	6, 0x0
	.amdhsa_kernel _ZN7rocprim17ROCPRIM_400000_NS6detail17trampoline_kernelINS0_14default_configENS1_22reduce_config_selectorIN6thrust23THRUST_200600_302600_NS5tupleIblNS6_9null_typeES8_S8_S8_S8_S8_S8_S8_EEEEZNS1_11reduce_implILb1ES3_PS9_SC_S9_NS6_11hip_rocprim9__find_if7functorIS9_EEEE10hipError_tPvRmT1_T2_T3_mT4_P12ihipStream_tbEUlT_E1_NS1_11comp_targetILNS1_3genE4ELNS1_11target_archE910ELNS1_3gpuE8ELNS1_3repE0EEENS1_30default_config_static_selectorELNS0_4arch9wavefront6targetE1EEEvSK_
		.amdhsa_group_segment_fixed_size 0
		.amdhsa_private_segment_fixed_size 0
		.amdhsa_kernarg_size 56
		.amdhsa_user_sgpr_count 2
		.amdhsa_user_sgpr_dispatch_ptr 0
		.amdhsa_user_sgpr_queue_ptr 0
		.amdhsa_user_sgpr_kernarg_segment_ptr 1
		.amdhsa_user_sgpr_dispatch_id 0
		.amdhsa_user_sgpr_kernarg_preload_length 0
		.amdhsa_user_sgpr_kernarg_preload_offset 0
		.amdhsa_user_sgpr_private_segment_size 0
		.amdhsa_uses_dynamic_stack 0
		.amdhsa_enable_private_segment 0
		.amdhsa_system_sgpr_workgroup_id_x 1
		.amdhsa_system_sgpr_workgroup_id_y 0
		.amdhsa_system_sgpr_workgroup_id_z 0
		.amdhsa_system_sgpr_workgroup_info 0
		.amdhsa_system_vgpr_workitem_id 0
		.amdhsa_next_free_vgpr 1
		.amdhsa_next_free_sgpr 0
		.amdhsa_accum_offset 4
		.amdhsa_reserve_vcc 0
		.amdhsa_float_round_mode_32 0
		.amdhsa_float_round_mode_16_64 0
		.amdhsa_float_denorm_mode_32 3
		.amdhsa_float_denorm_mode_16_64 3
		.amdhsa_dx10_clamp 1
		.amdhsa_ieee_mode 1
		.amdhsa_fp16_overflow 0
		.amdhsa_tg_split 0
		.amdhsa_exception_fp_ieee_invalid_op 0
		.amdhsa_exception_fp_denorm_src 0
		.amdhsa_exception_fp_ieee_div_zero 0
		.amdhsa_exception_fp_ieee_overflow 0
		.amdhsa_exception_fp_ieee_underflow 0
		.amdhsa_exception_fp_ieee_inexact 0
		.amdhsa_exception_int_div_zero 0
	.end_amdhsa_kernel
	.section	.text._ZN7rocprim17ROCPRIM_400000_NS6detail17trampoline_kernelINS0_14default_configENS1_22reduce_config_selectorIN6thrust23THRUST_200600_302600_NS5tupleIblNS6_9null_typeES8_S8_S8_S8_S8_S8_S8_EEEEZNS1_11reduce_implILb1ES3_PS9_SC_S9_NS6_11hip_rocprim9__find_if7functorIS9_EEEE10hipError_tPvRmT1_T2_T3_mT4_P12ihipStream_tbEUlT_E1_NS1_11comp_targetILNS1_3genE4ELNS1_11target_archE910ELNS1_3gpuE8ELNS1_3repE0EEENS1_30default_config_static_selectorELNS0_4arch9wavefront6targetE1EEEvSK_,"axG",@progbits,_ZN7rocprim17ROCPRIM_400000_NS6detail17trampoline_kernelINS0_14default_configENS1_22reduce_config_selectorIN6thrust23THRUST_200600_302600_NS5tupleIblNS6_9null_typeES8_S8_S8_S8_S8_S8_S8_EEEEZNS1_11reduce_implILb1ES3_PS9_SC_S9_NS6_11hip_rocprim9__find_if7functorIS9_EEEE10hipError_tPvRmT1_T2_T3_mT4_P12ihipStream_tbEUlT_E1_NS1_11comp_targetILNS1_3genE4ELNS1_11target_archE910ELNS1_3gpuE8ELNS1_3repE0EEENS1_30default_config_static_selectorELNS0_4arch9wavefront6targetE1EEEvSK_,comdat
.Lfunc_end59:
	.size	_ZN7rocprim17ROCPRIM_400000_NS6detail17trampoline_kernelINS0_14default_configENS1_22reduce_config_selectorIN6thrust23THRUST_200600_302600_NS5tupleIblNS6_9null_typeES8_S8_S8_S8_S8_S8_S8_EEEEZNS1_11reduce_implILb1ES3_PS9_SC_S9_NS6_11hip_rocprim9__find_if7functorIS9_EEEE10hipError_tPvRmT1_T2_T3_mT4_P12ihipStream_tbEUlT_E1_NS1_11comp_targetILNS1_3genE4ELNS1_11target_archE910ELNS1_3gpuE8ELNS1_3repE0EEENS1_30default_config_static_selectorELNS0_4arch9wavefront6targetE1EEEvSK_, .Lfunc_end59-_ZN7rocprim17ROCPRIM_400000_NS6detail17trampoline_kernelINS0_14default_configENS1_22reduce_config_selectorIN6thrust23THRUST_200600_302600_NS5tupleIblNS6_9null_typeES8_S8_S8_S8_S8_S8_S8_EEEEZNS1_11reduce_implILb1ES3_PS9_SC_S9_NS6_11hip_rocprim9__find_if7functorIS9_EEEE10hipError_tPvRmT1_T2_T3_mT4_P12ihipStream_tbEUlT_E1_NS1_11comp_targetILNS1_3genE4ELNS1_11target_archE910ELNS1_3gpuE8ELNS1_3repE0EEENS1_30default_config_static_selectorELNS0_4arch9wavefront6targetE1EEEvSK_
                                        ; -- End function
	.section	.AMDGPU.csdata,"",@progbits
; Kernel info:
; codeLenInByte = 0
; NumSgprs: 6
; NumVgprs: 0
; NumAgprs: 0
; TotalNumVgprs: 0
; ScratchSize: 0
; MemoryBound: 0
; FloatMode: 240
; IeeeMode: 1
; LDSByteSize: 0 bytes/workgroup (compile time only)
; SGPRBlocks: 0
; VGPRBlocks: 0
; NumSGPRsForWavesPerEU: 6
; NumVGPRsForWavesPerEU: 1
; AccumOffset: 4
; Occupancy: 8
; WaveLimiterHint : 0
; COMPUTE_PGM_RSRC2:SCRATCH_EN: 0
; COMPUTE_PGM_RSRC2:USER_SGPR: 2
; COMPUTE_PGM_RSRC2:TRAP_HANDLER: 0
; COMPUTE_PGM_RSRC2:TGID_X_EN: 1
; COMPUTE_PGM_RSRC2:TGID_Y_EN: 0
; COMPUTE_PGM_RSRC2:TGID_Z_EN: 0
; COMPUTE_PGM_RSRC2:TIDIG_COMP_CNT: 0
; COMPUTE_PGM_RSRC3_GFX90A:ACCUM_OFFSET: 0
; COMPUTE_PGM_RSRC3_GFX90A:TG_SPLIT: 0
	.section	.text._ZN7rocprim17ROCPRIM_400000_NS6detail17trampoline_kernelINS0_14default_configENS1_22reduce_config_selectorIN6thrust23THRUST_200600_302600_NS5tupleIblNS6_9null_typeES8_S8_S8_S8_S8_S8_S8_EEEEZNS1_11reduce_implILb1ES3_PS9_SC_S9_NS6_11hip_rocprim9__find_if7functorIS9_EEEE10hipError_tPvRmT1_T2_T3_mT4_P12ihipStream_tbEUlT_E1_NS1_11comp_targetILNS1_3genE3ELNS1_11target_archE908ELNS1_3gpuE7ELNS1_3repE0EEENS1_30default_config_static_selectorELNS0_4arch9wavefront6targetE1EEEvSK_,"axG",@progbits,_ZN7rocprim17ROCPRIM_400000_NS6detail17trampoline_kernelINS0_14default_configENS1_22reduce_config_selectorIN6thrust23THRUST_200600_302600_NS5tupleIblNS6_9null_typeES8_S8_S8_S8_S8_S8_S8_EEEEZNS1_11reduce_implILb1ES3_PS9_SC_S9_NS6_11hip_rocprim9__find_if7functorIS9_EEEE10hipError_tPvRmT1_T2_T3_mT4_P12ihipStream_tbEUlT_E1_NS1_11comp_targetILNS1_3genE3ELNS1_11target_archE908ELNS1_3gpuE7ELNS1_3repE0EEENS1_30default_config_static_selectorELNS0_4arch9wavefront6targetE1EEEvSK_,comdat
	.protected	_ZN7rocprim17ROCPRIM_400000_NS6detail17trampoline_kernelINS0_14default_configENS1_22reduce_config_selectorIN6thrust23THRUST_200600_302600_NS5tupleIblNS6_9null_typeES8_S8_S8_S8_S8_S8_S8_EEEEZNS1_11reduce_implILb1ES3_PS9_SC_S9_NS6_11hip_rocprim9__find_if7functorIS9_EEEE10hipError_tPvRmT1_T2_T3_mT4_P12ihipStream_tbEUlT_E1_NS1_11comp_targetILNS1_3genE3ELNS1_11target_archE908ELNS1_3gpuE7ELNS1_3repE0EEENS1_30default_config_static_selectorELNS0_4arch9wavefront6targetE1EEEvSK_ ; -- Begin function _ZN7rocprim17ROCPRIM_400000_NS6detail17trampoline_kernelINS0_14default_configENS1_22reduce_config_selectorIN6thrust23THRUST_200600_302600_NS5tupleIblNS6_9null_typeES8_S8_S8_S8_S8_S8_S8_EEEEZNS1_11reduce_implILb1ES3_PS9_SC_S9_NS6_11hip_rocprim9__find_if7functorIS9_EEEE10hipError_tPvRmT1_T2_T3_mT4_P12ihipStream_tbEUlT_E1_NS1_11comp_targetILNS1_3genE3ELNS1_11target_archE908ELNS1_3gpuE7ELNS1_3repE0EEENS1_30default_config_static_selectorELNS0_4arch9wavefront6targetE1EEEvSK_
	.globl	_ZN7rocprim17ROCPRIM_400000_NS6detail17trampoline_kernelINS0_14default_configENS1_22reduce_config_selectorIN6thrust23THRUST_200600_302600_NS5tupleIblNS6_9null_typeES8_S8_S8_S8_S8_S8_S8_EEEEZNS1_11reduce_implILb1ES3_PS9_SC_S9_NS6_11hip_rocprim9__find_if7functorIS9_EEEE10hipError_tPvRmT1_T2_T3_mT4_P12ihipStream_tbEUlT_E1_NS1_11comp_targetILNS1_3genE3ELNS1_11target_archE908ELNS1_3gpuE7ELNS1_3repE0EEENS1_30default_config_static_selectorELNS0_4arch9wavefront6targetE1EEEvSK_
	.p2align	8
	.type	_ZN7rocprim17ROCPRIM_400000_NS6detail17trampoline_kernelINS0_14default_configENS1_22reduce_config_selectorIN6thrust23THRUST_200600_302600_NS5tupleIblNS6_9null_typeES8_S8_S8_S8_S8_S8_S8_EEEEZNS1_11reduce_implILb1ES3_PS9_SC_S9_NS6_11hip_rocprim9__find_if7functorIS9_EEEE10hipError_tPvRmT1_T2_T3_mT4_P12ihipStream_tbEUlT_E1_NS1_11comp_targetILNS1_3genE3ELNS1_11target_archE908ELNS1_3gpuE7ELNS1_3repE0EEENS1_30default_config_static_selectorELNS0_4arch9wavefront6targetE1EEEvSK_,@function
_ZN7rocprim17ROCPRIM_400000_NS6detail17trampoline_kernelINS0_14default_configENS1_22reduce_config_selectorIN6thrust23THRUST_200600_302600_NS5tupleIblNS6_9null_typeES8_S8_S8_S8_S8_S8_S8_EEEEZNS1_11reduce_implILb1ES3_PS9_SC_S9_NS6_11hip_rocprim9__find_if7functorIS9_EEEE10hipError_tPvRmT1_T2_T3_mT4_P12ihipStream_tbEUlT_E1_NS1_11comp_targetILNS1_3genE3ELNS1_11target_archE908ELNS1_3gpuE7ELNS1_3repE0EEENS1_30default_config_static_selectorELNS0_4arch9wavefront6targetE1EEEvSK_: ; @_ZN7rocprim17ROCPRIM_400000_NS6detail17trampoline_kernelINS0_14default_configENS1_22reduce_config_selectorIN6thrust23THRUST_200600_302600_NS5tupleIblNS6_9null_typeES8_S8_S8_S8_S8_S8_S8_EEEEZNS1_11reduce_implILb1ES3_PS9_SC_S9_NS6_11hip_rocprim9__find_if7functorIS9_EEEE10hipError_tPvRmT1_T2_T3_mT4_P12ihipStream_tbEUlT_E1_NS1_11comp_targetILNS1_3genE3ELNS1_11target_archE908ELNS1_3gpuE7ELNS1_3repE0EEENS1_30default_config_static_selectorELNS0_4arch9wavefront6targetE1EEEvSK_
; %bb.0:
	.section	.rodata,"a",@progbits
	.p2align	6, 0x0
	.amdhsa_kernel _ZN7rocprim17ROCPRIM_400000_NS6detail17trampoline_kernelINS0_14default_configENS1_22reduce_config_selectorIN6thrust23THRUST_200600_302600_NS5tupleIblNS6_9null_typeES8_S8_S8_S8_S8_S8_S8_EEEEZNS1_11reduce_implILb1ES3_PS9_SC_S9_NS6_11hip_rocprim9__find_if7functorIS9_EEEE10hipError_tPvRmT1_T2_T3_mT4_P12ihipStream_tbEUlT_E1_NS1_11comp_targetILNS1_3genE3ELNS1_11target_archE908ELNS1_3gpuE7ELNS1_3repE0EEENS1_30default_config_static_selectorELNS0_4arch9wavefront6targetE1EEEvSK_
		.amdhsa_group_segment_fixed_size 0
		.amdhsa_private_segment_fixed_size 0
		.amdhsa_kernarg_size 56
		.amdhsa_user_sgpr_count 2
		.amdhsa_user_sgpr_dispatch_ptr 0
		.amdhsa_user_sgpr_queue_ptr 0
		.amdhsa_user_sgpr_kernarg_segment_ptr 1
		.amdhsa_user_sgpr_dispatch_id 0
		.amdhsa_user_sgpr_kernarg_preload_length 0
		.amdhsa_user_sgpr_kernarg_preload_offset 0
		.amdhsa_user_sgpr_private_segment_size 0
		.amdhsa_uses_dynamic_stack 0
		.amdhsa_enable_private_segment 0
		.amdhsa_system_sgpr_workgroup_id_x 1
		.amdhsa_system_sgpr_workgroup_id_y 0
		.amdhsa_system_sgpr_workgroup_id_z 0
		.amdhsa_system_sgpr_workgroup_info 0
		.amdhsa_system_vgpr_workitem_id 0
		.amdhsa_next_free_vgpr 1
		.amdhsa_next_free_sgpr 0
		.amdhsa_accum_offset 4
		.amdhsa_reserve_vcc 0
		.amdhsa_float_round_mode_32 0
		.amdhsa_float_round_mode_16_64 0
		.amdhsa_float_denorm_mode_32 3
		.amdhsa_float_denorm_mode_16_64 3
		.amdhsa_dx10_clamp 1
		.amdhsa_ieee_mode 1
		.amdhsa_fp16_overflow 0
		.amdhsa_tg_split 0
		.amdhsa_exception_fp_ieee_invalid_op 0
		.amdhsa_exception_fp_denorm_src 0
		.amdhsa_exception_fp_ieee_div_zero 0
		.amdhsa_exception_fp_ieee_overflow 0
		.amdhsa_exception_fp_ieee_underflow 0
		.amdhsa_exception_fp_ieee_inexact 0
		.amdhsa_exception_int_div_zero 0
	.end_amdhsa_kernel
	.section	.text._ZN7rocprim17ROCPRIM_400000_NS6detail17trampoline_kernelINS0_14default_configENS1_22reduce_config_selectorIN6thrust23THRUST_200600_302600_NS5tupleIblNS6_9null_typeES8_S8_S8_S8_S8_S8_S8_EEEEZNS1_11reduce_implILb1ES3_PS9_SC_S9_NS6_11hip_rocprim9__find_if7functorIS9_EEEE10hipError_tPvRmT1_T2_T3_mT4_P12ihipStream_tbEUlT_E1_NS1_11comp_targetILNS1_3genE3ELNS1_11target_archE908ELNS1_3gpuE7ELNS1_3repE0EEENS1_30default_config_static_selectorELNS0_4arch9wavefront6targetE1EEEvSK_,"axG",@progbits,_ZN7rocprim17ROCPRIM_400000_NS6detail17trampoline_kernelINS0_14default_configENS1_22reduce_config_selectorIN6thrust23THRUST_200600_302600_NS5tupleIblNS6_9null_typeES8_S8_S8_S8_S8_S8_S8_EEEEZNS1_11reduce_implILb1ES3_PS9_SC_S9_NS6_11hip_rocprim9__find_if7functorIS9_EEEE10hipError_tPvRmT1_T2_T3_mT4_P12ihipStream_tbEUlT_E1_NS1_11comp_targetILNS1_3genE3ELNS1_11target_archE908ELNS1_3gpuE7ELNS1_3repE0EEENS1_30default_config_static_selectorELNS0_4arch9wavefront6targetE1EEEvSK_,comdat
.Lfunc_end60:
	.size	_ZN7rocprim17ROCPRIM_400000_NS6detail17trampoline_kernelINS0_14default_configENS1_22reduce_config_selectorIN6thrust23THRUST_200600_302600_NS5tupleIblNS6_9null_typeES8_S8_S8_S8_S8_S8_S8_EEEEZNS1_11reduce_implILb1ES3_PS9_SC_S9_NS6_11hip_rocprim9__find_if7functorIS9_EEEE10hipError_tPvRmT1_T2_T3_mT4_P12ihipStream_tbEUlT_E1_NS1_11comp_targetILNS1_3genE3ELNS1_11target_archE908ELNS1_3gpuE7ELNS1_3repE0EEENS1_30default_config_static_selectorELNS0_4arch9wavefront6targetE1EEEvSK_, .Lfunc_end60-_ZN7rocprim17ROCPRIM_400000_NS6detail17trampoline_kernelINS0_14default_configENS1_22reduce_config_selectorIN6thrust23THRUST_200600_302600_NS5tupleIblNS6_9null_typeES8_S8_S8_S8_S8_S8_S8_EEEEZNS1_11reduce_implILb1ES3_PS9_SC_S9_NS6_11hip_rocprim9__find_if7functorIS9_EEEE10hipError_tPvRmT1_T2_T3_mT4_P12ihipStream_tbEUlT_E1_NS1_11comp_targetILNS1_3genE3ELNS1_11target_archE908ELNS1_3gpuE7ELNS1_3repE0EEENS1_30default_config_static_selectorELNS0_4arch9wavefront6targetE1EEEvSK_
                                        ; -- End function
	.section	.AMDGPU.csdata,"",@progbits
; Kernel info:
; codeLenInByte = 0
; NumSgprs: 6
; NumVgprs: 0
; NumAgprs: 0
; TotalNumVgprs: 0
; ScratchSize: 0
; MemoryBound: 0
; FloatMode: 240
; IeeeMode: 1
; LDSByteSize: 0 bytes/workgroup (compile time only)
; SGPRBlocks: 0
; VGPRBlocks: 0
; NumSGPRsForWavesPerEU: 6
; NumVGPRsForWavesPerEU: 1
; AccumOffset: 4
; Occupancy: 8
; WaveLimiterHint : 0
; COMPUTE_PGM_RSRC2:SCRATCH_EN: 0
; COMPUTE_PGM_RSRC2:USER_SGPR: 2
; COMPUTE_PGM_RSRC2:TRAP_HANDLER: 0
; COMPUTE_PGM_RSRC2:TGID_X_EN: 1
; COMPUTE_PGM_RSRC2:TGID_Y_EN: 0
; COMPUTE_PGM_RSRC2:TGID_Z_EN: 0
; COMPUTE_PGM_RSRC2:TIDIG_COMP_CNT: 0
; COMPUTE_PGM_RSRC3_GFX90A:ACCUM_OFFSET: 0
; COMPUTE_PGM_RSRC3_GFX90A:TG_SPLIT: 0
	.section	.text._ZN7rocprim17ROCPRIM_400000_NS6detail17trampoline_kernelINS0_14default_configENS1_22reduce_config_selectorIN6thrust23THRUST_200600_302600_NS5tupleIblNS6_9null_typeES8_S8_S8_S8_S8_S8_S8_EEEEZNS1_11reduce_implILb1ES3_PS9_SC_S9_NS6_11hip_rocprim9__find_if7functorIS9_EEEE10hipError_tPvRmT1_T2_T3_mT4_P12ihipStream_tbEUlT_E1_NS1_11comp_targetILNS1_3genE2ELNS1_11target_archE906ELNS1_3gpuE6ELNS1_3repE0EEENS1_30default_config_static_selectorELNS0_4arch9wavefront6targetE1EEEvSK_,"axG",@progbits,_ZN7rocprim17ROCPRIM_400000_NS6detail17trampoline_kernelINS0_14default_configENS1_22reduce_config_selectorIN6thrust23THRUST_200600_302600_NS5tupleIblNS6_9null_typeES8_S8_S8_S8_S8_S8_S8_EEEEZNS1_11reduce_implILb1ES3_PS9_SC_S9_NS6_11hip_rocprim9__find_if7functorIS9_EEEE10hipError_tPvRmT1_T2_T3_mT4_P12ihipStream_tbEUlT_E1_NS1_11comp_targetILNS1_3genE2ELNS1_11target_archE906ELNS1_3gpuE6ELNS1_3repE0EEENS1_30default_config_static_selectorELNS0_4arch9wavefront6targetE1EEEvSK_,comdat
	.protected	_ZN7rocprim17ROCPRIM_400000_NS6detail17trampoline_kernelINS0_14default_configENS1_22reduce_config_selectorIN6thrust23THRUST_200600_302600_NS5tupleIblNS6_9null_typeES8_S8_S8_S8_S8_S8_S8_EEEEZNS1_11reduce_implILb1ES3_PS9_SC_S9_NS6_11hip_rocprim9__find_if7functorIS9_EEEE10hipError_tPvRmT1_T2_T3_mT4_P12ihipStream_tbEUlT_E1_NS1_11comp_targetILNS1_3genE2ELNS1_11target_archE906ELNS1_3gpuE6ELNS1_3repE0EEENS1_30default_config_static_selectorELNS0_4arch9wavefront6targetE1EEEvSK_ ; -- Begin function _ZN7rocprim17ROCPRIM_400000_NS6detail17trampoline_kernelINS0_14default_configENS1_22reduce_config_selectorIN6thrust23THRUST_200600_302600_NS5tupleIblNS6_9null_typeES8_S8_S8_S8_S8_S8_S8_EEEEZNS1_11reduce_implILb1ES3_PS9_SC_S9_NS6_11hip_rocprim9__find_if7functorIS9_EEEE10hipError_tPvRmT1_T2_T3_mT4_P12ihipStream_tbEUlT_E1_NS1_11comp_targetILNS1_3genE2ELNS1_11target_archE906ELNS1_3gpuE6ELNS1_3repE0EEENS1_30default_config_static_selectorELNS0_4arch9wavefront6targetE1EEEvSK_
	.globl	_ZN7rocprim17ROCPRIM_400000_NS6detail17trampoline_kernelINS0_14default_configENS1_22reduce_config_selectorIN6thrust23THRUST_200600_302600_NS5tupleIblNS6_9null_typeES8_S8_S8_S8_S8_S8_S8_EEEEZNS1_11reduce_implILb1ES3_PS9_SC_S9_NS6_11hip_rocprim9__find_if7functorIS9_EEEE10hipError_tPvRmT1_T2_T3_mT4_P12ihipStream_tbEUlT_E1_NS1_11comp_targetILNS1_3genE2ELNS1_11target_archE906ELNS1_3gpuE6ELNS1_3repE0EEENS1_30default_config_static_selectorELNS0_4arch9wavefront6targetE1EEEvSK_
	.p2align	8
	.type	_ZN7rocprim17ROCPRIM_400000_NS6detail17trampoline_kernelINS0_14default_configENS1_22reduce_config_selectorIN6thrust23THRUST_200600_302600_NS5tupleIblNS6_9null_typeES8_S8_S8_S8_S8_S8_S8_EEEEZNS1_11reduce_implILb1ES3_PS9_SC_S9_NS6_11hip_rocprim9__find_if7functorIS9_EEEE10hipError_tPvRmT1_T2_T3_mT4_P12ihipStream_tbEUlT_E1_NS1_11comp_targetILNS1_3genE2ELNS1_11target_archE906ELNS1_3gpuE6ELNS1_3repE0EEENS1_30default_config_static_selectorELNS0_4arch9wavefront6targetE1EEEvSK_,@function
_ZN7rocprim17ROCPRIM_400000_NS6detail17trampoline_kernelINS0_14default_configENS1_22reduce_config_selectorIN6thrust23THRUST_200600_302600_NS5tupleIblNS6_9null_typeES8_S8_S8_S8_S8_S8_S8_EEEEZNS1_11reduce_implILb1ES3_PS9_SC_S9_NS6_11hip_rocprim9__find_if7functorIS9_EEEE10hipError_tPvRmT1_T2_T3_mT4_P12ihipStream_tbEUlT_E1_NS1_11comp_targetILNS1_3genE2ELNS1_11target_archE906ELNS1_3gpuE6ELNS1_3repE0EEENS1_30default_config_static_selectorELNS0_4arch9wavefront6targetE1EEEvSK_: ; @_ZN7rocprim17ROCPRIM_400000_NS6detail17trampoline_kernelINS0_14default_configENS1_22reduce_config_selectorIN6thrust23THRUST_200600_302600_NS5tupleIblNS6_9null_typeES8_S8_S8_S8_S8_S8_S8_EEEEZNS1_11reduce_implILb1ES3_PS9_SC_S9_NS6_11hip_rocprim9__find_if7functorIS9_EEEE10hipError_tPvRmT1_T2_T3_mT4_P12ihipStream_tbEUlT_E1_NS1_11comp_targetILNS1_3genE2ELNS1_11target_archE906ELNS1_3gpuE6ELNS1_3repE0EEENS1_30default_config_static_selectorELNS0_4arch9wavefront6targetE1EEEvSK_
; %bb.0:
	.section	.rodata,"a",@progbits
	.p2align	6, 0x0
	.amdhsa_kernel _ZN7rocprim17ROCPRIM_400000_NS6detail17trampoline_kernelINS0_14default_configENS1_22reduce_config_selectorIN6thrust23THRUST_200600_302600_NS5tupleIblNS6_9null_typeES8_S8_S8_S8_S8_S8_S8_EEEEZNS1_11reduce_implILb1ES3_PS9_SC_S9_NS6_11hip_rocprim9__find_if7functorIS9_EEEE10hipError_tPvRmT1_T2_T3_mT4_P12ihipStream_tbEUlT_E1_NS1_11comp_targetILNS1_3genE2ELNS1_11target_archE906ELNS1_3gpuE6ELNS1_3repE0EEENS1_30default_config_static_selectorELNS0_4arch9wavefront6targetE1EEEvSK_
		.amdhsa_group_segment_fixed_size 0
		.amdhsa_private_segment_fixed_size 0
		.amdhsa_kernarg_size 56
		.amdhsa_user_sgpr_count 2
		.amdhsa_user_sgpr_dispatch_ptr 0
		.amdhsa_user_sgpr_queue_ptr 0
		.amdhsa_user_sgpr_kernarg_segment_ptr 1
		.amdhsa_user_sgpr_dispatch_id 0
		.amdhsa_user_sgpr_kernarg_preload_length 0
		.amdhsa_user_sgpr_kernarg_preload_offset 0
		.amdhsa_user_sgpr_private_segment_size 0
		.amdhsa_uses_dynamic_stack 0
		.amdhsa_enable_private_segment 0
		.amdhsa_system_sgpr_workgroup_id_x 1
		.amdhsa_system_sgpr_workgroup_id_y 0
		.amdhsa_system_sgpr_workgroup_id_z 0
		.amdhsa_system_sgpr_workgroup_info 0
		.amdhsa_system_vgpr_workitem_id 0
		.amdhsa_next_free_vgpr 1
		.amdhsa_next_free_sgpr 0
		.amdhsa_accum_offset 4
		.amdhsa_reserve_vcc 0
		.amdhsa_float_round_mode_32 0
		.amdhsa_float_round_mode_16_64 0
		.amdhsa_float_denorm_mode_32 3
		.amdhsa_float_denorm_mode_16_64 3
		.amdhsa_dx10_clamp 1
		.amdhsa_ieee_mode 1
		.amdhsa_fp16_overflow 0
		.amdhsa_tg_split 0
		.amdhsa_exception_fp_ieee_invalid_op 0
		.amdhsa_exception_fp_denorm_src 0
		.amdhsa_exception_fp_ieee_div_zero 0
		.amdhsa_exception_fp_ieee_overflow 0
		.amdhsa_exception_fp_ieee_underflow 0
		.amdhsa_exception_fp_ieee_inexact 0
		.amdhsa_exception_int_div_zero 0
	.end_amdhsa_kernel
	.section	.text._ZN7rocprim17ROCPRIM_400000_NS6detail17trampoline_kernelINS0_14default_configENS1_22reduce_config_selectorIN6thrust23THRUST_200600_302600_NS5tupleIblNS6_9null_typeES8_S8_S8_S8_S8_S8_S8_EEEEZNS1_11reduce_implILb1ES3_PS9_SC_S9_NS6_11hip_rocprim9__find_if7functorIS9_EEEE10hipError_tPvRmT1_T2_T3_mT4_P12ihipStream_tbEUlT_E1_NS1_11comp_targetILNS1_3genE2ELNS1_11target_archE906ELNS1_3gpuE6ELNS1_3repE0EEENS1_30default_config_static_selectorELNS0_4arch9wavefront6targetE1EEEvSK_,"axG",@progbits,_ZN7rocprim17ROCPRIM_400000_NS6detail17trampoline_kernelINS0_14default_configENS1_22reduce_config_selectorIN6thrust23THRUST_200600_302600_NS5tupleIblNS6_9null_typeES8_S8_S8_S8_S8_S8_S8_EEEEZNS1_11reduce_implILb1ES3_PS9_SC_S9_NS6_11hip_rocprim9__find_if7functorIS9_EEEE10hipError_tPvRmT1_T2_T3_mT4_P12ihipStream_tbEUlT_E1_NS1_11comp_targetILNS1_3genE2ELNS1_11target_archE906ELNS1_3gpuE6ELNS1_3repE0EEENS1_30default_config_static_selectorELNS0_4arch9wavefront6targetE1EEEvSK_,comdat
.Lfunc_end61:
	.size	_ZN7rocprim17ROCPRIM_400000_NS6detail17trampoline_kernelINS0_14default_configENS1_22reduce_config_selectorIN6thrust23THRUST_200600_302600_NS5tupleIblNS6_9null_typeES8_S8_S8_S8_S8_S8_S8_EEEEZNS1_11reduce_implILb1ES3_PS9_SC_S9_NS6_11hip_rocprim9__find_if7functorIS9_EEEE10hipError_tPvRmT1_T2_T3_mT4_P12ihipStream_tbEUlT_E1_NS1_11comp_targetILNS1_3genE2ELNS1_11target_archE906ELNS1_3gpuE6ELNS1_3repE0EEENS1_30default_config_static_selectorELNS0_4arch9wavefront6targetE1EEEvSK_, .Lfunc_end61-_ZN7rocprim17ROCPRIM_400000_NS6detail17trampoline_kernelINS0_14default_configENS1_22reduce_config_selectorIN6thrust23THRUST_200600_302600_NS5tupleIblNS6_9null_typeES8_S8_S8_S8_S8_S8_S8_EEEEZNS1_11reduce_implILb1ES3_PS9_SC_S9_NS6_11hip_rocprim9__find_if7functorIS9_EEEE10hipError_tPvRmT1_T2_T3_mT4_P12ihipStream_tbEUlT_E1_NS1_11comp_targetILNS1_3genE2ELNS1_11target_archE906ELNS1_3gpuE6ELNS1_3repE0EEENS1_30default_config_static_selectorELNS0_4arch9wavefront6targetE1EEEvSK_
                                        ; -- End function
	.section	.AMDGPU.csdata,"",@progbits
; Kernel info:
; codeLenInByte = 0
; NumSgprs: 6
; NumVgprs: 0
; NumAgprs: 0
; TotalNumVgprs: 0
; ScratchSize: 0
; MemoryBound: 0
; FloatMode: 240
; IeeeMode: 1
; LDSByteSize: 0 bytes/workgroup (compile time only)
; SGPRBlocks: 0
; VGPRBlocks: 0
; NumSGPRsForWavesPerEU: 6
; NumVGPRsForWavesPerEU: 1
; AccumOffset: 4
; Occupancy: 8
; WaveLimiterHint : 0
; COMPUTE_PGM_RSRC2:SCRATCH_EN: 0
; COMPUTE_PGM_RSRC2:USER_SGPR: 2
; COMPUTE_PGM_RSRC2:TRAP_HANDLER: 0
; COMPUTE_PGM_RSRC2:TGID_X_EN: 1
; COMPUTE_PGM_RSRC2:TGID_Y_EN: 0
; COMPUTE_PGM_RSRC2:TGID_Z_EN: 0
; COMPUTE_PGM_RSRC2:TIDIG_COMP_CNT: 0
; COMPUTE_PGM_RSRC3_GFX90A:ACCUM_OFFSET: 0
; COMPUTE_PGM_RSRC3_GFX90A:TG_SPLIT: 0
	.section	.text._ZN7rocprim17ROCPRIM_400000_NS6detail17trampoline_kernelINS0_14default_configENS1_22reduce_config_selectorIN6thrust23THRUST_200600_302600_NS5tupleIblNS6_9null_typeES8_S8_S8_S8_S8_S8_S8_EEEEZNS1_11reduce_implILb1ES3_PS9_SC_S9_NS6_11hip_rocprim9__find_if7functorIS9_EEEE10hipError_tPvRmT1_T2_T3_mT4_P12ihipStream_tbEUlT_E1_NS1_11comp_targetILNS1_3genE10ELNS1_11target_archE1201ELNS1_3gpuE5ELNS1_3repE0EEENS1_30default_config_static_selectorELNS0_4arch9wavefront6targetE1EEEvSK_,"axG",@progbits,_ZN7rocprim17ROCPRIM_400000_NS6detail17trampoline_kernelINS0_14default_configENS1_22reduce_config_selectorIN6thrust23THRUST_200600_302600_NS5tupleIblNS6_9null_typeES8_S8_S8_S8_S8_S8_S8_EEEEZNS1_11reduce_implILb1ES3_PS9_SC_S9_NS6_11hip_rocprim9__find_if7functorIS9_EEEE10hipError_tPvRmT1_T2_T3_mT4_P12ihipStream_tbEUlT_E1_NS1_11comp_targetILNS1_3genE10ELNS1_11target_archE1201ELNS1_3gpuE5ELNS1_3repE0EEENS1_30default_config_static_selectorELNS0_4arch9wavefront6targetE1EEEvSK_,comdat
	.protected	_ZN7rocprim17ROCPRIM_400000_NS6detail17trampoline_kernelINS0_14default_configENS1_22reduce_config_selectorIN6thrust23THRUST_200600_302600_NS5tupleIblNS6_9null_typeES8_S8_S8_S8_S8_S8_S8_EEEEZNS1_11reduce_implILb1ES3_PS9_SC_S9_NS6_11hip_rocprim9__find_if7functorIS9_EEEE10hipError_tPvRmT1_T2_T3_mT4_P12ihipStream_tbEUlT_E1_NS1_11comp_targetILNS1_3genE10ELNS1_11target_archE1201ELNS1_3gpuE5ELNS1_3repE0EEENS1_30default_config_static_selectorELNS0_4arch9wavefront6targetE1EEEvSK_ ; -- Begin function _ZN7rocprim17ROCPRIM_400000_NS6detail17trampoline_kernelINS0_14default_configENS1_22reduce_config_selectorIN6thrust23THRUST_200600_302600_NS5tupleIblNS6_9null_typeES8_S8_S8_S8_S8_S8_S8_EEEEZNS1_11reduce_implILb1ES3_PS9_SC_S9_NS6_11hip_rocprim9__find_if7functorIS9_EEEE10hipError_tPvRmT1_T2_T3_mT4_P12ihipStream_tbEUlT_E1_NS1_11comp_targetILNS1_3genE10ELNS1_11target_archE1201ELNS1_3gpuE5ELNS1_3repE0EEENS1_30default_config_static_selectorELNS0_4arch9wavefront6targetE1EEEvSK_
	.globl	_ZN7rocprim17ROCPRIM_400000_NS6detail17trampoline_kernelINS0_14default_configENS1_22reduce_config_selectorIN6thrust23THRUST_200600_302600_NS5tupleIblNS6_9null_typeES8_S8_S8_S8_S8_S8_S8_EEEEZNS1_11reduce_implILb1ES3_PS9_SC_S9_NS6_11hip_rocprim9__find_if7functorIS9_EEEE10hipError_tPvRmT1_T2_T3_mT4_P12ihipStream_tbEUlT_E1_NS1_11comp_targetILNS1_3genE10ELNS1_11target_archE1201ELNS1_3gpuE5ELNS1_3repE0EEENS1_30default_config_static_selectorELNS0_4arch9wavefront6targetE1EEEvSK_
	.p2align	8
	.type	_ZN7rocprim17ROCPRIM_400000_NS6detail17trampoline_kernelINS0_14default_configENS1_22reduce_config_selectorIN6thrust23THRUST_200600_302600_NS5tupleIblNS6_9null_typeES8_S8_S8_S8_S8_S8_S8_EEEEZNS1_11reduce_implILb1ES3_PS9_SC_S9_NS6_11hip_rocprim9__find_if7functorIS9_EEEE10hipError_tPvRmT1_T2_T3_mT4_P12ihipStream_tbEUlT_E1_NS1_11comp_targetILNS1_3genE10ELNS1_11target_archE1201ELNS1_3gpuE5ELNS1_3repE0EEENS1_30default_config_static_selectorELNS0_4arch9wavefront6targetE1EEEvSK_,@function
_ZN7rocprim17ROCPRIM_400000_NS6detail17trampoline_kernelINS0_14default_configENS1_22reduce_config_selectorIN6thrust23THRUST_200600_302600_NS5tupleIblNS6_9null_typeES8_S8_S8_S8_S8_S8_S8_EEEEZNS1_11reduce_implILb1ES3_PS9_SC_S9_NS6_11hip_rocprim9__find_if7functorIS9_EEEE10hipError_tPvRmT1_T2_T3_mT4_P12ihipStream_tbEUlT_E1_NS1_11comp_targetILNS1_3genE10ELNS1_11target_archE1201ELNS1_3gpuE5ELNS1_3repE0EEENS1_30default_config_static_selectorELNS0_4arch9wavefront6targetE1EEEvSK_: ; @_ZN7rocprim17ROCPRIM_400000_NS6detail17trampoline_kernelINS0_14default_configENS1_22reduce_config_selectorIN6thrust23THRUST_200600_302600_NS5tupleIblNS6_9null_typeES8_S8_S8_S8_S8_S8_S8_EEEEZNS1_11reduce_implILb1ES3_PS9_SC_S9_NS6_11hip_rocprim9__find_if7functorIS9_EEEE10hipError_tPvRmT1_T2_T3_mT4_P12ihipStream_tbEUlT_E1_NS1_11comp_targetILNS1_3genE10ELNS1_11target_archE1201ELNS1_3gpuE5ELNS1_3repE0EEENS1_30default_config_static_selectorELNS0_4arch9wavefront6targetE1EEEvSK_
; %bb.0:
	.section	.rodata,"a",@progbits
	.p2align	6, 0x0
	.amdhsa_kernel _ZN7rocprim17ROCPRIM_400000_NS6detail17trampoline_kernelINS0_14default_configENS1_22reduce_config_selectorIN6thrust23THRUST_200600_302600_NS5tupleIblNS6_9null_typeES8_S8_S8_S8_S8_S8_S8_EEEEZNS1_11reduce_implILb1ES3_PS9_SC_S9_NS6_11hip_rocprim9__find_if7functorIS9_EEEE10hipError_tPvRmT1_T2_T3_mT4_P12ihipStream_tbEUlT_E1_NS1_11comp_targetILNS1_3genE10ELNS1_11target_archE1201ELNS1_3gpuE5ELNS1_3repE0EEENS1_30default_config_static_selectorELNS0_4arch9wavefront6targetE1EEEvSK_
		.amdhsa_group_segment_fixed_size 0
		.amdhsa_private_segment_fixed_size 0
		.amdhsa_kernarg_size 56
		.amdhsa_user_sgpr_count 2
		.amdhsa_user_sgpr_dispatch_ptr 0
		.amdhsa_user_sgpr_queue_ptr 0
		.amdhsa_user_sgpr_kernarg_segment_ptr 1
		.amdhsa_user_sgpr_dispatch_id 0
		.amdhsa_user_sgpr_kernarg_preload_length 0
		.amdhsa_user_sgpr_kernarg_preload_offset 0
		.amdhsa_user_sgpr_private_segment_size 0
		.amdhsa_uses_dynamic_stack 0
		.amdhsa_enable_private_segment 0
		.amdhsa_system_sgpr_workgroup_id_x 1
		.amdhsa_system_sgpr_workgroup_id_y 0
		.amdhsa_system_sgpr_workgroup_id_z 0
		.amdhsa_system_sgpr_workgroup_info 0
		.amdhsa_system_vgpr_workitem_id 0
		.amdhsa_next_free_vgpr 1
		.amdhsa_next_free_sgpr 0
		.amdhsa_accum_offset 4
		.amdhsa_reserve_vcc 0
		.amdhsa_float_round_mode_32 0
		.amdhsa_float_round_mode_16_64 0
		.amdhsa_float_denorm_mode_32 3
		.amdhsa_float_denorm_mode_16_64 3
		.amdhsa_dx10_clamp 1
		.amdhsa_ieee_mode 1
		.amdhsa_fp16_overflow 0
		.amdhsa_tg_split 0
		.amdhsa_exception_fp_ieee_invalid_op 0
		.amdhsa_exception_fp_denorm_src 0
		.amdhsa_exception_fp_ieee_div_zero 0
		.amdhsa_exception_fp_ieee_overflow 0
		.amdhsa_exception_fp_ieee_underflow 0
		.amdhsa_exception_fp_ieee_inexact 0
		.amdhsa_exception_int_div_zero 0
	.end_amdhsa_kernel
	.section	.text._ZN7rocprim17ROCPRIM_400000_NS6detail17trampoline_kernelINS0_14default_configENS1_22reduce_config_selectorIN6thrust23THRUST_200600_302600_NS5tupleIblNS6_9null_typeES8_S8_S8_S8_S8_S8_S8_EEEEZNS1_11reduce_implILb1ES3_PS9_SC_S9_NS6_11hip_rocprim9__find_if7functorIS9_EEEE10hipError_tPvRmT1_T2_T3_mT4_P12ihipStream_tbEUlT_E1_NS1_11comp_targetILNS1_3genE10ELNS1_11target_archE1201ELNS1_3gpuE5ELNS1_3repE0EEENS1_30default_config_static_selectorELNS0_4arch9wavefront6targetE1EEEvSK_,"axG",@progbits,_ZN7rocprim17ROCPRIM_400000_NS6detail17trampoline_kernelINS0_14default_configENS1_22reduce_config_selectorIN6thrust23THRUST_200600_302600_NS5tupleIblNS6_9null_typeES8_S8_S8_S8_S8_S8_S8_EEEEZNS1_11reduce_implILb1ES3_PS9_SC_S9_NS6_11hip_rocprim9__find_if7functorIS9_EEEE10hipError_tPvRmT1_T2_T3_mT4_P12ihipStream_tbEUlT_E1_NS1_11comp_targetILNS1_3genE10ELNS1_11target_archE1201ELNS1_3gpuE5ELNS1_3repE0EEENS1_30default_config_static_selectorELNS0_4arch9wavefront6targetE1EEEvSK_,comdat
.Lfunc_end62:
	.size	_ZN7rocprim17ROCPRIM_400000_NS6detail17trampoline_kernelINS0_14default_configENS1_22reduce_config_selectorIN6thrust23THRUST_200600_302600_NS5tupleIblNS6_9null_typeES8_S8_S8_S8_S8_S8_S8_EEEEZNS1_11reduce_implILb1ES3_PS9_SC_S9_NS6_11hip_rocprim9__find_if7functorIS9_EEEE10hipError_tPvRmT1_T2_T3_mT4_P12ihipStream_tbEUlT_E1_NS1_11comp_targetILNS1_3genE10ELNS1_11target_archE1201ELNS1_3gpuE5ELNS1_3repE0EEENS1_30default_config_static_selectorELNS0_4arch9wavefront6targetE1EEEvSK_, .Lfunc_end62-_ZN7rocprim17ROCPRIM_400000_NS6detail17trampoline_kernelINS0_14default_configENS1_22reduce_config_selectorIN6thrust23THRUST_200600_302600_NS5tupleIblNS6_9null_typeES8_S8_S8_S8_S8_S8_S8_EEEEZNS1_11reduce_implILb1ES3_PS9_SC_S9_NS6_11hip_rocprim9__find_if7functorIS9_EEEE10hipError_tPvRmT1_T2_T3_mT4_P12ihipStream_tbEUlT_E1_NS1_11comp_targetILNS1_3genE10ELNS1_11target_archE1201ELNS1_3gpuE5ELNS1_3repE0EEENS1_30default_config_static_selectorELNS0_4arch9wavefront6targetE1EEEvSK_
                                        ; -- End function
	.section	.AMDGPU.csdata,"",@progbits
; Kernel info:
; codeLenInByte = 0
; NumSgprs: 6
; NumVgprs: 0
; NumAgprs: 0
; TotalNumVgprs: 0
; ScratchSize: 0
; MemoryBound: 0
; FloatMode: 240
; IeeeMode: 1
; LDSByteSize: 0 bytes/workgroup (compile time only)
; SGPRBlocks: 0
; VGPRBlocks: 0
; NumSGPRsForWavesPerEU: 6
; NumVGPRsForWavesPerEU: 1
; AccumOffset: 4
; Occupancy: 8
; WaveLimiterHint : 0
; COMPUTE_PGM_RSRC2:SCRATCH_EN: 0
; COMPUTE_PGM_RSRC2:USER_SGPR: 2
; COMPUTE_PGM_RSRC2:TRAP_HANDLER: 0
; COMPUTE_PGM_RSRC2:TGID_X_EN: 1
; COMPUTE_PGM_RSRC2:TGID_Y_EN: 0
; COMPUTE_PGM_RSRC2:TGID_Z_EN: 0
; COMPUTE_PGM_RSRC2:TIDIG_COMP_CNT: 0
; COMPUTE_PGM_RSRC3_GFX90A:ACCUM_OFFSET: 0
; COMPUTE_PGM_RSRC3_GFX90A:TG_SPLIT: 0
	.section	.text._ZN7rocprim17ROCPRIM_400000_NS6detail17trampoline_kernelINS0_14default_configENS1_22reduce_config_selectorIN6thrust23THRUST_200600_302600_NS5tupleIblNS6_9null_typeES8_S8_S8_S8_S8_S8_S8_EEEEZNS1_11reduce_implILb1ES3_PS9_SC_S9_NS6_11hip_rocprim9__find_if7functorIS9_EEEE10hipError_tPvRmT1_T2_T3_mT4_P12ihipStream_tbEUlT_E1_NS1_11comp_targetILNS1_3genE10ELNS1_11target_archE1200ELNS1_3gpuE4ELNS1_3repE0EEENS1_30default_config_static_selectorELNS0_4arch9wavefront6targetE1EEEvSK_,"axG",@progbits,_ZN7rocprim17ROCPRIM_400000_NS6detail17trampoline_kernelINS0_14default_configENS1_22reduce_config_selectorIN6thrust23THRUST_200600_302600_NS5tupleIblNS6_9null_typeES8_S8_S8_S8_S8_S8_S8_EEEEZNS1_11reduce_implILb1ES3_PS9_SC_S9_NS6_11hip_rocprim9__find_if7functorIS9_EEEE10hipError_tPvRmT1_T2_T3_mT4_P12ihipStream_tbEUlT_E1_NS1_11comp_targetILNS1_3genE10ELNS1_11target_archE1200ELNS1_3gpuE4ELNS1_3repE0EEENS1_30default_config_static_selectorELNS0_4arch9wavefront6targetE1EEEvSK_,comdat
	.protected	_ZN7rocprim17ROCPRIM_400000_NS6detail17trampoline_kernelINS0_14default_configENS1_22reduce_config_selectorIN6thrust23THRUST_200600_302600_NS5tupleIblNS6_9null_typeES8_S8_S8_S8_S8_S8_S8_EEEEZNS1_11reduce_implILb1ES3_PS9_SC_S9_NS6_11hip_rocprim9__find_if7functorIS9_EEEE10hipError_tPvRmT1_T2_T3_mT4_P12ihipStream_tbEUlT_E1_NS1_11comp_targetILNS1_3genE10ELNS1_11target_archE1200ELNS1_3gpuE4ELNS1_3repE0EEENS1_30default_config_static_selectorELNS0_4arch9wavefront6targetE1EEEvSK_ ; -- Begin function _ZN7rocprim17ROCPRIM_400000_NS6detail17trampoline_kernelINS0_14default_configENS1_22reduce_config_selectorIN6thrust23THRUST_200600_302600_NS5tupleIblNS6_9null_typeES8_S8_S8_S8_S8_S8_S8_EEEEZNS1_11reduce_implILb1ES3_PS9_SC_S9_NS6_11hip_rocprim9__find_if7functorIS9_EEEE10hipError_tPvRmT1_T2_T3_mT4_P12ihipStream_tbEUlT_E1_NS1_11comp_targetILNS1_3genE10ELNS1_11target_archE1200ELNS1_3gpuE4ELNS1_3repE0EEENS1_30default_config_static_selectorELNS0_4arch9wavefront6targetE1EEEvSK_
	.globl	_ZN7rocprim17ROCPRIM_400000_NS6detail17trampoline_kernelINS0_14default_configENS1_22reduce_config_selectorIN6thrust23THRUST_200600_302600_NS5tupleIblNS6_9null_typeES8_S8_S8_S8_S8_S8_S8_EEEEZNS1_11reduce_implILb1ES3_PS9_SC_S9_NS6_11hip_rocprim9__find_if7functorIS9_EEEE10hipError_tPvRmT1_T2_T3_mT4_P12ihipStream_tbEUlT_E1_NS1_11comp_targetILNS1_3genE10ELNS1_11target_archE1200ELNS1_3gpuE4ELNS1_3repE0EEENS1_30default_config_static_selectorELNS0_4arch9wavefront6targetE1EEEvSK_
	.p2align	8
	.type	_ZN7rocprim17ROCPRIM_400000_NS6detail17trampoline_kernelINS0_14default_configENS1_22reduce_config_selectorIN6thrust23THRUST_200600_302600_NS5tupleIblNS6_9null_typeES8_S8_S8_S8_S8_S8_S8_EEEEZNS1_11reduce_implILb1ES3_PS9_SC_S9_NS6_11hip_rocprim9__find_if7functorIS9_EEEE10hipError_tPvRmT1_T2_T3_mT4_P12ihipStream_tbEUlT_E1_NS1_11comp_targetILNS1_3genE10ELNS1_11target_archE1200ELNS1_3gpuE4ELNS1_3repE0EEENS1_30default_config_static_selectorELNS0_4arch9wavefront6targetE1EEEvSK_,@function
_ZN7rocprim17ROCPRIM_400000_NS6detail17trampoline_kernelINS0_14default_configENS1_22reduce_config_selectorIN6thrust23THRUST_200600_302600_NS5tupleIblNS6_9null_typeES8_S8_S8_S8_S8_S8_S8_EEEEZNS1_11reduce_implILb1ES3_PS9_SC_S9_NS6_11hip_rocprim9__find_if7functorIS9_EEEE10hipError_tPvRmT1_T2_T3_mT4_P12ihipStream_tbEUlT_E1_NS1_11comp_targetILNS1_3genE10ELNS1_11target_archE1200ELNS1_3gpuE4ELNS1_3repE0EEENS1_30default_config_static_selectorELNS0_4arch9wavefront6targetE1EEEvSK_: ; @_ZN7rocprim17ROCPRIM_400000_NS6detail17trampoline_kernelINS0_14default_configENS1_22reduce_config_selectorIN6thrust23THRUST_200600_302600_NS5tupleIblNS6_9null_typeES8_S8_S8_S8_S8_S8_S8_EEEEZNS1_11reduce_implILb1ES3_PS9_SC_S9_NS6_11hip_rocprim9__find_if7functorIS9_EEEE10hipError_tPvRmT1_T2_T3_mT4_P12ihipStream_tbEUlT_E1_NS1_11comp_targetILNS1_3genE10ELNS1_11target_archE1200ELNS1_3gpuE4ELNS1_3repE0EEENS1_30default_config_static_selectorELNS0_4arch9wavefront6targetE1EEEvSK_
; %bb.0:
	.section	.rodata,"a",@progbits
	.p2align	6, 0x0
	.amdhsa_kernel _ZN7rocprim17ROCPRIM_400000_NS6detail17trampoline_kernelINS0_14default_configENS1_22reduce_config_selectorIN6thrust23THRUST_200600_302600_NS5tupleIblNS6_9null_typeES8_S8_S8_S8_S8_S8_S8_EEEEZNS1_11reduce_implILb1ES3_PS9_SC_S9_NS6_11hip_rocprim9__find_if7functorIS9_EEEE10hipError_tPvRmT1_T2_T3_mT4_P12ihipStream_tbEUlT_E1_NS1_11comp_targetILNS1_3genE10ELNS1_11target_archE1200ELNS1_3gpuE4ELNS1_3repE0EEENS1_30default_config_static_selectorELNS0_4arch9wavefront6targetE1EEEvSK_
		.amdhsa_group_segment_fixed_size 0
		.amdhsa_private_segment_fixed_size 0
		.amdhsa_kernarg_size 56
		.amdhsa_user_sgpr_count 2
		.amdhsa_user_sgpr_dispatch_ptr 0
		.amdhsa_user_sgpr_queue_ptr 0
		.amdhsa_user_sgpr_kernarg_segment_ptr 1
		.amdhsa_user_sgpr_dispatch_id 0
		.amdhsa_user_sgpr_kernarg_preload_length 0
		.amdhsa_user_sgpr_kernarg_preload_offset 0
		.amdhsa_user_sgpr_private_segment_size 0
		.amdhsa_uses_dynamic_stack 0
		.amdhsa_enable_private_segment 0
		.amdhsa_system_sgpr_workgroup_id_x 1
		.amdhsa_system_sgpr_workgroup_id_y 0
		.amdhsa_system_sgpr_workgroup_id_z 0
		.amdhsa_system_sgpr_workgroup_info 0
		.amdhsa_system_vgpr_workitem_id 0
		.amdhsa_next_free_vgpr 1
		.amdhsa_next_free_sgpr 0
		.amdhsa_accum_offset 4
		.amdhsa_reserve_vcc 0
		.amdhsa_float_round_mode_32 0
		.amdhsa_float_round_mode_16_64 0
		.amdhsa_float_denorm_mode_32 3
		.amdhsa_float_denorm_mode_16_64 3
		.amdhsa_dx10_clamp 1
		.amdhsa_ieee_mode 1
		.amdhsa_fp16_overflow 0
		.amdhsa_tg_split 0
		.amdhsa_exception_fp_ieee_invalid_op 0
		.amdhsa_exception_fp_denorm_src 0
		.amdhsa_exception_fp_ieee_div_zero 0
		.amdhsa_exception_fp_ieee_overflow 0
		.amdhsa_exception_fp_ieee_underflow 0
		.amdhsa_exception_fp_ieee_inexact 0
		.amdhsa_exception_int_div_zero 0
	.end_amdhsa_kernel
	.section	.text._ZN7rocprim17ROCPRIM_400000_NS6detail17trampoline_kernelINS0_14default_configENS1_22reduce_config_selectorIN6thrust23THRUST_200600_302600_NS5tupleIblNS6_9null_typeES8_S8_S8_S8_S8_S8_S8_EEEEZNS1_11reduce_implILb1ES3_PS9_SC_S9_NS6_11hip_rocprim9__find_if7functorIS9_EEEE10hipError_tPvRmT1_T2_T3_mT4_P12ihipStream_tbEUlT_E1_NS1_11comp_targetILNS1_3genE10ELNS1_11target_archE1200ELNS1_3gpuE4ELNS1_3repE0EEENS1_30default_config_static_selectorELNS0_4arch9wavefront6targetE1EEEvSK_,"axG",@progbits,_ZN7rocprim17ROCPRIM_400000_NS6detail17trampoline_kernelINS0_14default_configENS1_22reduce_config_selectorIN6thrust23THRUST_200600_302600_NS5tupleIblNS6_9null_typeES8_S8_S8_S8_S8_S8_S8_EEEEZNS1_11reduce_implILb1ES3_PS9_SC_S9_NS6_11hip_rocprim9__find_if7functorIS9_EEEE10hipError_tPvRmT1_T2_T3_mT4_P12ihipStream_tbEUlT_E1_NS1_11comp_targetILNS1_3genE10ELNS1_11target_archE1200ELNS1_3gpuE4ELNS1_3repE0EEENS1_30default_config_static_selectorELNS0_4arch9wavefront6targetE1EEEvSK_,comdat
.Lfunc_end63:
	.size	_ZN7rocprim17ROCPRIM_400000_NS6detail17trampoline_kernelINS0_14default_configENS1_22reduce_config_selectorIN6thrust23THRUST_200600_302600_NS5tupleIblNS6_9null_typeES8_S8_S8_S8_S8_S8_S8_EEEEZNS1_11reduce_implILb1ES3_PS9_SC_S9_NS6_11hip_rocprim9__find_if7functorIS9_EEEE10hipError_tPvRmT1_T2_T3_mT4_P12ihipStream_tbEUlT_E1_NS1_11comp_targetILNS1_3genE10ELNS1_11target_archE1200ELNS1_3gpuE4ELNS1_3repE0EEENS1_30default_config_static_selectorELNS0_4arch9wavefront6targetE1EEEvSK_, .Lfunc_end63-_ZN7rocprim17ROCPRIM_400000_NS6detail17trampoline_kernelINS0_14default_configENS1_22reduce_config_selectorIN6thrust23THRUST_200600_302600_NS5tupleIblNS6_9null_typeES8_S8_S8_S8_S8_S8_S8_EEEEZNS1_11reduce_implILb1ES3_PS9_SC_S9_NS6_11hip_rocprim9__find_if7functorIS9_EEEE10hipError_tPvRmT1_T2_T3_mT4_P12ihipStream_tbEUlT_E1_NS1_11comp_targetILNS1_3genE10ELNS1_11target_archE1200ELNS1_3gpuE4ELNS1_3repE0EEENS1_30default_config_static_selectorELNS0_4arch9wavefront6targetE1EEEvSK_
                                        ; -- End function
	.section	.AMDGPU.csdata,"",@progbits
; Kernel info:
; codeLenInByte = 0
; NumSgprs: 6
; NumVgprs: 0
; NumAgprs: 0
; TotalNumVgprs: 0
; ScratchSize: 0
; MemoryBound: 0
; FloatMode: 240
; IeeeMode: 1
; LDSByteSize: 0 bytes/workgroup (compile time only)
; SGPRBlocks: 0
; VGPRBlocks: 0
; NumSGPRsForWavesPerEU: 6
; NumVGPRsForWavesPerEU: 1
; AccumOffset: 4
; Occupancy: 8
; WaveLimiterHint : 0
; COMPUTE_PGM_RSRC2:SCRATCH_EN: 0
; COMPUTE_PGM_RSRC2:USER_SGPR: 2
; COMPUTE_PGM_RSRC2:TRAP_HANDLER: 0
; COMPUTE_PGM_RSRC2:TGID_X_EN: 1
; COMPUTE_PGM_RSRC2:TGID_Y_EN: 0
; COMPUTE_PGM_RSRC2:TGID_Z_EN: 0
; COMPUTE_PGM_RSRC2:TIDIG_COMP_CNT: 0
; COMPUTE_PGM_RSRC3_GFX90A:ACCUM_OFFSET: 0
; COMPUTE_PGM_RSRC3_GFX90A:TG_SPLIT: 0
	.section	.text._ZN7rocprim17ROCPRIM_400000_NS6detail17trampoline_kernelINS0_14default_configENS1_22reduce_config_selectorIN6thrust23THRUST_200600_302600_NS5tupleIblNS6_9null_typeES8_S8_S8_S8_S8_S8_S8_EEEEZNS1_11reduce_implILb1ES3_PS9_SC_S9_NS6_11hip_rocprim9__find_if7functorIS9_EEEE10hipError_tPvRmT1_T2_T3_mT4_P12ihipStream_tbEUlT_E1_NS1_11comp_targetILNS1_3genE9ELNS1_11target_archE1100ELNS1_3gpuE3ELNS1_3repE0EEENS1_30default_config_static_selectorELNS0_4arch9wavefront6targetE1EEEvSK_,"axG",@progbits,_ZN7rocprim17ROCPRIM_400000_NS6detail17trampoline_kernelINS0_14default_configENS1_22reduce_config_selectorIN6thrust23THRUST_200600_302600_NS5tupleIblNS6_9null_typeES8_S8_S8_S8_S8_S8_S8_EEEEZNS1_11reduce_implILb1ES3_PS9_SC_S9_NS6_11hip_rocprim9__find_if7functorIS9_EEEE10hipError_tPvRmT1_T2_T3_mT4_P12ihipStream_tbEUlT_E1_NS1_11comp_targetILNS1_3genE9ELNS1_11target_archE1100ELNS1_3gpuE3ELNS1_3repE0EEENS1_30default_config_static_selectorELNS0_4arch9wavefront6targetE1EEEvSK_,comdat
	.protected	_ZN7rocprim17ROCPRIM_400000_NS6detail17trampoline_kernelINS0_14default_configENS1_22reduce_config_selectorIN6thrust23THRUST_200600_302600_NS5tupleIblNS6_9null_typeES8_S8_S8_S8_S8_S8_S8_EEEEZNS1_11reduce_implILb1ES3_PS9_SC_S9_NS6_11hip_rocprim9__find_if7functorIS9_EEEE10hipError_tPvRmT1_T2_T3_mT4_P12ihipStream_tbEUlT_E1_NS1_11comp_targetILNS1_3genE9ELNS1_11target_archE1100ELNS1_3gpuE3ELNS1_3repE0EEENS1_30default_config_static_selectorELNS0_4arch9wavefront6targetE1EEEvSK_ ; -- Begin function _ZN7rocprim17ROCPRIM_400000_NS6detail17trampoline_kernelINS0_14default_configENS1_22reduce_config_selectorIN6thrust23THRUST_200600_302600_NS5tupleIblNS6_9null_typeES8_S8_S8_S8_S8_S8_S8_EEEEZNS1_11reduce_implILb1ES3_PS9_SC_S9_NS6_11hip_rocprim9__find_if7functorIS9_EEEE10hipError_tPvRmT1_T2_T3_mT4_P12ihipStream_tbEUlT_E1_NS1_11comp_targetILNS1_3genE9ELNS1_11target_archE1100ELNS1_3gpuE3ELNS1_3repE0EEENS1_30default_config_static_selectorELNS0_4arch9wavefront6targetE1EEEvSK_
	.globl	_ZN7rocprim17ROCPRIM_400000_NS6detail17trampoline_kernelINS0_14default_configENS1_22reduce_config_selectorIN6thrust23THRUST_200600_302600_NS5tupleIblNS6_9null_typeES8_S8_S8_S8_S8_S8_S8_EEEEZNS1_11reduce_implILb1ES3_PS9_SC_S9_NS6_11hip_rocprim9__find_if7functorIS9_EEEE10hipError_tPvRmT1_T2_T3_mT4_P12ihipStream_tbEUlT_E1_NS1_11comp_targetILNS1_3genE9ELNS1_11target_archE1100ELNS1_3gpuE3ELNS1_3repE0EEENS1_30default_config_static_selectorELNS0_4arch9wavefront6targetE1EEEvSK_
	.p2align	8
	.type	_ZN7rocprim17ROCPRIM_400000_NS6detail17trampoline_kernelINS0_14default_configENS1_22reduce_config_selectorIN6thrust23THRUST_200600_302600_NS5tupleIblNS6_9null_typeES8_S8_S8_S8_S8_S8_S8_EEEEZNS1_11reduce_implILb1ES3_PS9_SC_S9_NS6_11hip_rocprim9__find_if7functorIS9_EEEE10hipError_tPvRmT1_T2_T3_mT4_P12ihipStream_tbEUlT_E1_NS1_11comp_targetILNS1_3genE9ELNS1_11target_archE1100ELNS1_3gpuE3ELNS1_3repE0EEENS1_30default_config_static_selectorELNS0_4arch9wavefront6targetE1EEEvSK_,@function
_ZN7rocprim17ROCPRIM_400000_NS6detail17trampoline_kernelINS0_14default_configENS1_22reduce_config_selectorIN6thrust23THRUST_200600_302600_NS5tupleIblNS6_9null_typeES8_S8_S8_S8_S8_S8_S8_EEEEZNS1_11reduce_implILb1ES3_PS9_SC_S9_NS6_11hip_rocprim9__find_if7functorIS9_EEEE10hipError_tPvRmT1_T2_T3_mT4_P12ihipStream_tbEUlT_E1_NS1_11comp_targetILNS1_3genE9ELNS1_11target_archE1100ELNS1_3gpuE3ELNS1_3repE0EEENS1_30default_config_static_selectorELNS0_4arch9wavefront6targetE1EEEvSK_: ; @_ZN7rocprim17ROCPRIM_400000_NS6detail17trampoline_kernelINS0_14default_configENS1_22reduce_config_selectorIN6thrust23THRUST_200600_302600_NS5tupleIblNS6_9null_typeES8_S8_S8_S8_S8_S8_S8_EEEEZNS1_11reduce_implILb1ES3_PS9_SC_S9_NS6_11hip_rocprim9__find_if7functorIS9_EEEE10hipError_tPvRmT1_T2_T3_mT4_P12ihipStream_tbEUlT_E1_NS1_11comp_targetILNS1_3genE9ELNS1_11target_archE1100ELNS1_3gpuE3ELNS1_3repE0EEENS1_30default_config_static_selectorELNS0_4arch9wavefront6targetE1EEEvSK_
; %bb.0:
	.section	.rodata,"a",@progbits
	.p2align	6, 0x0
	.amdhsa_kernel _ZN7rocprim17ROCPRIM_400000_NS6detail17trampoline_kernelINS0_14default_configENS1_22reduce_config_selectorIN6thrust23THRUST_200600_302600_NS5tupleIblNS6_9null_typeES8_S8_S8_S8_S8_S8_S8_EEEEZNS1_11reduce_implILb1ES3_PS9_SC_S9_NS6_11hip_rocprim9__find_if7functorIS9_EEEE10hipError_tPvRmT1_T2_T3_mT4_P12ihipStream_tbEUlT_E1_NS1_11comp_targetILNS1_3genE9ELNS1_11target_archE1100ELNS1_3gpuE3ELNS1_3repE0EEENS1_30default_config_static_selectorELNS0_4arch9wavefront6targetE1EEEvSK_
		.amdhsa_group_segment_fixed_size 0
		.amdhsa_private_segment_fixed_size 0
		.amdhsa_kernarg_size 56
		.amdhsa_user_sgpr_count 2
		.amdhsa_user_sgpr_dispatch_ptr 0
		.amdhsa_user_sgpr_queue_ptr 0
		.amdhsa_user_sgpr_kernarg_segment_ptr 1
		.amdhsa_user_sgpr_dispatch_id 0
		.amdhsa_user_sgpr_kernarg_preload_length 0
		.amdhsa_user_sgpr_kernarg_preload_offset 0
		.amdhsa_user_sgpr_private_segment_size 0
		.amdhsa_uses_dynamic_stack 0
		.amdhsa_enable_private_segment 0
		.amdhsa_system_sgpr_workgroup_id_x 1
		.amdhsa_system_sgpr_workgroup_id_y 0
		.amdhsa_system_sgpr_workgroup_id_z 0
		.amdhsa_system_sgpr_workgroup_info 0
		.amdhsa_system_vgpr_workitem_id 0
		.amdhsa_next_free_vgpr 1
		.amdhsa_next_free_sgpr 0
		.amdhsa_accum_offset 4
		.amdhsa_reserve_vcc 0
		.amdhsa_float_round_mode_32 0
		.amdhsa_float_round_mode_16_64 0
		.amdhsa_float_denorm_mode_32 3
		.amdhsa_float_denorm_mode_16_64 3
		.amdhsa_dx10_clamp 1
		.amdhsa_ieee_mode 1
		.amdhsa_fp16_overflow 0
		.amdhsa_tg_split 0
		.amdhsa_exception_fp_ieee_invalid_op 0
		.amdhsa_exception_fp_denorm_src 0
		.amdhsa_exception_fp_ieee_div_zero 0
		.amdhsa_exception_fp_ieee_overflow 0
		.amdhsa_exception_fp_ieee_underflow 0
		.amdhsa_exception_fp_ieee_inexact 0
		.amdhsa_exception_int_div_zero 0
	.end_amdhsa_kernel
	.section	.text._ZN7rocprim17ROCPRIM_400000_NS6detail17trampoline_kernelINS0_14default_configENS1_22reduce_config_selectorIN6thrust23THRUST_200600_302600_NS5tupleIblNS6_9null_typeES8_S8_S8_S8_S8_S8_S8_EEEEZNS1_11reduce_implILb1ES3_PS9_SC_S9_NS6_11hip_rocprim9__find_if7functorIS9_EEEE10hipError_tPvRmT1_T2_T3_mT4_P12ihipStream_tbEUlT_E1_NS1_11comp_targetILNS1_3genE9ELNS1_11target_archE1100ELNS1_3gpuE3ELNS1_3repE0EEENS1_30default_config_static_selectorELNS0_4arch9wavefront6targetE1EEEvSK_,"axG",@progbits,_ZN7rocprim17ROCPRIM_400000_NS6detail17trampoline_kernelINS0_14default_configENS1_22reduce_config_selectorIN6thrust23THRUST_200600_302600_NS5tupleIblNS6_9null_typeES8_S8_S8_S8_S8_S8_S8_EEEEZNS1_11reduce_implILb1ES3_PS9_SC_S9_NS6_11hip_rocprim9__find_if7functorIS9_EEEE10hipError_tPvRmT1_T2_T3_mT4_P12ihipStream_tbEUlT_E1_NS1_11comp_targetILNS1_3genE9ELNS1_11target_archE1100ELNS1_3gpuE3ELNS1_3repE0EEENS1_30default_config_static_selectorELNS0_4arch9wavefront6targetE1EEEvSK_,comdat
.Lfunc_end64:
	.size	_ZN7rocprim17ROCPRIM_400000_NS6detail17trampoline_kernelINS0_14default_configENS1_22reduce_config_selectorIN6thrust23THRUST_200600_302600_NS5tupleIblNS6_9null_typeES8_S8_S8_S8_S8_S8_S8_EEEEZNS1_11reduce_implILb1ES3_PS9_SC_S9_NS6_11hip_rocprim9__find_if7functorIS9_EEEE10hipError_tPvRmT1_T2_T3_mT4_P12ihipStream_tbEUlT_E1_NS1_11comp_targetILNS1_3genE9ELNS1_11target_archE1100ELNS1_3gpuE3ELNS1_3repE0EEENS1_30default_config_static_selectorELNS0_4arch9wavefront6targetE1EEEvSK_, .Lfunc_end64-_ZN7rocprim17ROCPRIM_400000_NS6detail17trampoline_kernelINS0_14default_configENS1_22reduce_config_selectorIN6thrust23THRUST_200600_302600_NS5tupleIblNS6_9null_typeES8_S8_S8_S8_S8_S8_S8_EEEEZNS1_11reduce_implILb1ES3_PS9_SC_S9_NS6_11hip_rocprim9__find_if7functorIS9_EEEE10hipError_tPvRmT1_T2_T3_mT4_P12ihipStream_tbEUlT_E1_NS1_11comp_targetILNS1_3genE9ELNS1_11target_archE1100ELNS1_3gpuE3ELNS1_3repE0EEENS1_30default_config_static_selectorELNS0_4arch9wavefront6targetE1EEEvSK_
                                        ; -- End function
	.section	.AMDGPU.csdata,"",@progbits
; Kernel info:
; codeLenInByte = 0
; NumSgprs: 6
; NumVgprs: 0
; NumAgprs: 0
; TotalNumVgprs: 0
; ScratchSize: 0
; MemoryBound: 0
; FloatMode: 240
; IeeeMode: 1
; LDSByteSize: 0 bytes/workgroup (compile time only)
; SGPRBlocks: 0
; VGPRBlocks: 0
; NumSGPRsForWavesPerEU: 6
; NumVGPRsForWavesPerEU: 1
; AccumOffset: 4
; Occupancy: 8
; WaveLimiterHint : 0
; COMPUTE_PGM_RSRC2:SCRATCH_EN: 0
; COMPUTE_PGM_RSRC2:USER_SGPR: 2
; COMPUTE_PGM_RSRC2:TRAP_HANDLER: 0
; COMPUTE_PGM_RSRC2:TGID_X_EN: 1
; COMPUTE_PGM_RSRC2:TGID_Y_EN: 0
; COMPUTE_PGM_RSRC2:TGID_Z_EN: 0
; COMPUTE_PGM_RSRC2:TIDIG_COMP_CNT: 0
; COMPUTE_PGM_RSRC3_GFX90A:ACCUM_OFFSET: 0
; COMPUTE_PGM_RSRC3_GFX90A:TG_SPLIT: 0
	.section	.text._ZN7rocprim17ROCPRIM_400000_NS6detail17trampoline_kernelINS0_14default_configENS1_22reduce_config_selectorIN6thrust23THRUST_200600_302600_NS5tupleIblNS6_9null_typeES8_S8_S8_S8_S8_S8_S8_EEEEZNS1_11reduce_implILb1ES3_PS9_SC_S9_NS6_11hip_rocprim9__find_if7functorIS9_EEEE10hipError_tPvRmT1_T2_T3_mT4_P12ihipStream_tbEUlT_E1_NS1_11comp_targetILNS1_3genE8ELNS1_11target_archE1030ELNS1_3gpuE2ELNS1_3repE0EEENS1_30default_config_static_selectorELNS0_4arch9wavefront6targetE1EEEvSK_,"axG",@progbits,_ZN7rocprim17ROCPRIM_400000_NS6detail17trampoline_kernelINS0_14default_configENS1_22reduce_config_selectorIN6thrust23THRUST_200600_302600_NS5tupleIblNS6_9null_typeES8_S8_S8_S8_S8_S8_S8_EEEEZNS1_11reduce_implILb1ES3_PS9_SC_S9_NS6_11hip_rocprim9__find_if7functorIS9_EEEE10hipError_tPvRmT1_T2_T3_mT4_P12ihipStream_tbEUlT_E1_NS1_11comp_targetILNS1_3genE8ELNS1_11target_archE1030ELNS1_3gpuE2ELNS1_3repE0EEENS1_30default_config_static_selectorELNS0_4arch9wavefront6targetE1EEEvSK_,comdat
	.protected	_ZN7rocprim17ROCPRIM_400000_NS6detail17trampoline_kernelINS0_14default_configENS1_22reduce_config_selectorIN6thrust23THRUST_200600_302600_NS5tupleIblNS6_9null_typeES8_S8_S8_S8_S8_S8_S8_EEEEZNS1_11reduce_implILb1ES3_PS9_SC_S9_NS6_11hip_rocprim9__find_if7functorIS9_EEEE10hipError_tPvRmT1_T2_T3_mT4_P12ihipStream_tbEUlT_E1_NS1_11comp_targetILNS1_3genE8ELNS1_11target_archE1030ELNS1_3gpuE2ELNS1_3repE0EEENS1_30default_config_static_selectorELNS0_4arch9wavefront6targetE1EEEvSK_ ; -- Begin function _ZN7rocprim17ROCPRIM_400000_NS6detail17trampoline_kernelINS0_14default_configENS1_22reduce_config_selectorIN6thrust23THRUST_200600_302600_NS5tupleIblNS6_9null_typeES8_S8_S8_S8_S8_S8_S8_EEEEZNS1_11reduce_implILb1ES3_PS9_SC_S9_NS6_11hip_rocprim9__find_if7functorIS9_EEEE10hipError_tPvRmT1_T2_T3_mT4_P12ihipStream_tbEUlT_E1_NS1_11comp_targetILNS1_3genE8ELNS1_11target_archE1030ELNS1_3gpuE2ELNS1_3repE0EEENS1_30default_config_static_selectorELNS0_4arch9wavefront6targetE1EEEvSK_
	.globl	_ZN7rocprim17ROCPRIM_400000_NS6detail17trampoline_kernelINS0_14default_configENS1_22reduce_config_selectorIN6thrust23THRUST_200600_302600_NS5tupleIblNS6_9null_typeES8_S8_S8_S8_S8_S8_S8_EEEEZNS1_11reduce_implILb1ES3_PS9_SC_S9_NS6_11hip_rocprim9__find_if7functorIS9_EEEE10hipError_tPvRmT1_T2_T3_mT4_P12ihipStream_tbEUlT_E1_NS1_11comp_targetILNS1_3genE8ELNS1_11target_archE1030ELNS1_3gpuE2ELNS1_3repE0EEENS1_30default_config_static_selectorELNS0_4arch9wavefront6targetE1EEEvSK_
	.p2align	8
	.type	_ZN7rocprim17ROCPRIM_400000_NS6detail17trampoline_kernelINS0_14default_configENS1_22reduce_config_selectorIN6thrust23THRUST_200600_302600_NS5tupleIblNS6_9null_typeES8_S8_S8_S8_S8_S8_S8_EEEEZNS1_11reduce_implILb1ES3_PS9_SC_S9_NS6_11hip_rocprim9__find_if7functorIS9_EEEE10hipError_tPvRmT1_T2_T3_mT4_P12ihipStream_tbEUlT_E1_NS1_11comp_targetILNS1_3genE8ELNS1_11target_archE1030ELNS1_3gpuE2ELNS1_3repE0EEENS1_30default_config_static_selectorELNS0_4arch9wavefront6targetE1EEEvSK_,@function
_ZN7rocprim17ROCPRIM_400000_NS6detail17trampoline_kernelINS0_14default_configENS1_22reduce_config_selectorIN6thrust23THRUST_200600_302600_NS5tupleIblNS6_9null_typeES8_S8_S8_S8_S8_S8_S8_EEEEZNS1_11reduce_implILb1ES3_PS9_SC_S9_NS6_11hip_rocprim9__find_if7functorIS9_EEEE10hipError_tPvRmT1_T2_T3_mT4_P12ihipStream_tbEUlT_E1_NS1_11comp_targetILNS1_3genE8ELNS1_11target_archE1030ELNS1_3gpuE2ELNS1_3repE0EEENS1_30default_config_static_selectorELNS0_4arch9wavefront6targetE1EEEvSK_: ; @_ZN7rocprim17ROCPRIM_400000_NS6detail17trampoline_kernelINS0_14default_configENS1_22reduce_config_selectorIN6thrust23THRUST_200600_302600_NS5tupleIblNS6_9null_typeES8_S8_S8_S8_S8_S8_S8_EEEEZNS1_11reduce_implILb1ES3_PS9_SC_S9_NS6_11hip_rocprim9__find_if7functorIS9_EEEE10hipError_tPvRmT1_T2_T3_mT4_P12ihipStream_tbEUlT_E1_NS1_11comp_targetILNS1_3genE8ELNS1_11target_archE1030ELNS1_3gpuE2ELNS1_3repE0EEENS1_30default_config_static_selectorELNS0_4arch9wavefront6targetE1EEEvSK_
; %bb.0:
	.section	.rodata,"a",@progbits
	.p2align	6, 0x0
	.amdhsa_kernel _ZN7rocprim17ROCPRIM_400000_NS6detail17trampoline_kernelINS0_14default_configENS1_22reduce_config_selectorIN6thrust23THRUST_200600_302600_NS5tupleIblNS6_9null_typeES8_S8_S8_S8_S8_S8_S8_EEEEZNS1_11reduce_implILb1ES3_PS9_SC_S9_NS6_11hip_rocprim9__find_if7functorIS9_EEEE10hipError_tPvRmT1_T2_T3_mT4_P12ihipStream_tbEUlT_E1_NS1_11comp_targetILNS1_3genE8ELNS1_11target_archE1030ELNS1_3gpuE2ELNS1_3repE0EEENS1_30default_config_static_selectorELNS0_4arch9wavefront6targetE1EEEvSK_
		.amdhsa_group_segment_fixed_size 0
		.amdhsa_private_segment_fixed_size 0
		.amdhsa_kernarg_size 56
		.amdhsa_user_sgpr_count 2
		.amdhsa_user_sgpr_dispatch_ptr 0
		.amdhsa_user_sgpr_queue_ptr 0
		.amdhsa_user_sgpr_kernarg_segment_ptr 1
		.amdhsa_user_sgpr_dispatch_id 0
		.amdhsa_user_sgpr_kernarg_preload_length 0
		.amdhsa_user_sgpr_kernarg_preload_offset 0
		.amdhsa_user_sgpr_private_segment_size 0
		.amdhsa_uses_dynamic_stack 0
		.amdhsa_enable_private_segment 0
		.amdhsa_system_sgpr_workgroup_id_x 1
		.amdhsa_system_sgpr_workgroup_id_y 0
		.amdhsa_system_sgpr_workgroup_id_z 0
		.amdhsa_system_sgpr_workgroup_info 0
		.amdhsa_system_vgpr_workitem_id 0
		.amdhsa_next_free_vgpr 1
		.amdhsa_next_free_sgpr 0
		.amdhsa_accum_offset 4
		.amdhsa_reserve_vcc 0
		.amdhsa_float_round_mode_32 0
		.amdhsa_float_round_mode_16_64 0
		.amdhsa_float_denorm_mode_32 3
		.amdhsa_float_denorm_mode_16_64 3
		.amdhsa_dx10_clamp 1
		.amdhsa_ieee_mode 1
		.amdhsa_fp16_overflow 0
		.amdhsa_tg_split 0
		.amdhsa_exception_fp_ieee_invalid_op 0
		.amdhsa_exception_fp_denorm_src 0
		.amdhsa_exception_fp_ieee_div_zero 0
		.amdhsa_exception_fp_ieee_overflow 0
		.amdhsa_exception_fp_ieee_underflow 0
		.amdhsa_exception_fp_ieee_inexact 0
		.amdhsa_exception_int_div_zero 0
	.end_amdhsa_kernel
	.section	.text._ZN7rocprim17ROCPRIM_400000_NS6detail17trampoline_kernelINS0_14default_configENS1_22reduce_config_selectorIN6thrust23THRUST_200600_302600_NS5tupleIblNS6_9null_typeES8_S8_S8_S8_S8_S8_S8_EEEEZNS1_11reduce_implILb1ES3_PS9_SC_S9_NS6_11hip_rocprim9__find_if7functorIS9_EEEE10hipError_tPvRmT1_T2_T3_mT4_P12ihipStream_tbEUlT_E1_NS1_11comp_targetILNS1_3genE8ELNS1_11target_archE1030ELNS1_3gpuE2ELNS1_3repE0EEENS1_30default_config_static_selectorELNS0_4arch9wavefront6targetE1EEEvSK_,"axG",@progbits,_ZN7rocprim17ROCPRIM_400000_NS6detail17trampoline_kernelINS0_14default_configENS1_22reduce_config_selectorIN6thrust23THRUST_200600_302600_NS5tupleIblNS6_9null_typeES8_S8_S8_S8_S8_S8_S8_EEEEZNS1_11reduce_implILb1ES3_PS9_SC_S9_NS6_11hip_rocprim9__find_if7functorIS9_EEEE10hipError_tPvRmT1_T2_T3_mT4_P12ihipStream_tbEUlT_E1_NS1_11comp_targetILNS1_3genE8ELNS1_11target_archE1030ELNS1_3gpuE2ELNS1_3repE0EEENS1_30default_config_static_selectorELNS0_4arch9wavefront6targetE1EEEvSK_,comdat
.Lfunc_end65:
	.size	_ZN7rocprim17ROCPRIM_400000_NS6detail17trampoline_kernelINS0_14default_configENS1_22reduce_config_selectorIN6thrust23THRUST_200600_302600_NS5tupleIblNS6_9null_typeES8_S8_S8_S8_S8_S8_S8_EEEEZNS1_11reduce_implILb1ES3_PS9_SC_S9_NS6_11hip_rocprim9__find_if7functorIS9_EEEE10hipError_tPvRmT1_T2_T3_mT4_P12ihipStream_tbEUlT_E1_NS1_11comp_targetILNS1_3genE8ELNS1_11target_archE1030ELNS1_3gpuE2ELNS1_3repE0EEENS1_30default_config_static_selectorELNS0_4arch9wavefront6targetE1EEEvSK_, .Lfunc_end65-_ZN7rocprim17ROCPRIM_400000_NS6detail17trampoline_kernelINS0_14default_configENS1_22reduce_config_selectorIN6thrust23THRUST_200600_302600_NS5tupleIblNS6_9null_typeES8_S8_S8_S8_S8_S8_S8_EEEEZNS1_11reduce_implILb1ES3_PS9_SC_S9_NS6_11hip_rocprim9__find_if7functorIS9_EEEE10hipError_tPvRmT1_T2_T3_mT4_P12ihipStream_tbEUlT_E1_NS1_11comp_targetILNS1_3genE8ELNS1_11target_archE1030ELNS1_3gpuE2ELNS1_3repE0EEENS1_30default_config_static_selectorELNS0_4arch9wavefront6targetE1EEEvSK_
                                        ; -- End function
	.section	.AMDGPU.csdata,"",@progbits
; Kernel info:
; codeLenInByte = 0
; NumSgprs: 6
; NumVgprs: 0
; NumAgprs: 0
; TotalNumVgprs: 0
; ScratchSize: 0
; MemoryBound: 0
; FloatMode: 240
; IeeeMode: 1
; LDSByteSize: 0 bytes/workgroup (compile time only)
; SGPRBlocks: 0
; VGPRBlocks: 0
; NumSGPRsForWavesPerEU: 6
; NumVGPRsForWavesPerEU: 1
; AccumOffset: 4
; Occupancy: 8
; WaveLimiterHint : 0
; COMPUTE_PGM_RSRC2:SCRATCH_EN: 0
; COMPUTE_PGM_RSRC2:USER_SGPR: 2
; COMPUTE_PGM_RSRC2:TRAP_HANDLER: 0
; COMPUTE_PGM_RSRC2:TGID_X_EN: 1
; COMPUTE_PGM_RSRC2:TGID_Y_EN: 0
; COMPUTE_PGM_RSRC2:TGID_Z_EN: 0
; COMPUTE_PGM_RSRC2:TIDIG_COMP_CNT: 0
; COMPUTE_PGM_RSRC3_GFX90A:ACCUM_OFFSET: 0
; COMPUTE_PGM_RSRC3_GFX90A:TG_SPLIT: 0
	.section	.text._ZN7rocprim17ROCPRIM_400000_NS6detail17trampoline_kernelINS0_14default_configENS1_22reduce_config_selectorIN6thrust23THRUST_200600_302600_NS5tupleIblNS6_9null_typeES8_S8_S8_S8_S8_S8_S8_EEEEZNS1_11reduce_implILb1ES3_NS6_12zip_iteratorINS7_INS6_11hip_rocprim26transform_input_iterator_tIbNSD_35transform_pair_of_input_iterators_tIbNS6_6detail15normal_iteratorINS6_10device_ptrIKxEEEESL_NS6_8equal_toIxEEEENSG_9not_fun_tINSD_8identityEEEEENSD_19counting_iterator_tIlEES8_S8_S8_S8_S8_S8_S8_S8_EEEEPS9_S9_NSD_9__find_if7functorIS9_EEEE10hipError_tPvRmT1_T2_T3_mT4_P12ihipStream_tbEUlT_E0_NS1_11comp_targetILNS1_3genE0ELNS1_11target_archE4294967295ELNS1_3gpuE0ELNS1_3repE0EEENS1_30default_config_static_selectorELNS0_4arch9wavefront6targetE1EEEvS14_,"axG",@progbits,_ZN7rocprim17ROCPRIM_400000_NS6detail17trampoline_kernelINS0_14default_configENS1_22reduce_config_selectorIN6thrust23THRUST_200600_302600_NS5tupleIblNS6_9null_typeES8_S8_S8_S8_S8_S8_S8_EEEEZNS1_11reduce_implILb1ES3_NS6_12zip_iteratorINS7_INS6_11hip_rocprim26transform_input_iterator_tIbNSD_35transform_pair_of_input_iterators_tIbNS6_6detail15normal_iteratorINS6_10device_ptrIKxEEEESL_NS6_8equal_toIxEEEENSG_9not_fun_tINSD_8identityEEEEENSD_19counting_iterator_tIlEES8_S8_S8_S8_S8_S8_S8_S8_EEEEPS9_S9_NSD_9__find_if7functorIS9_EEEE10hipError_tPvRmT1_T2_T3_mT4_P12ihipStream_tbEUlT_E0_NS1_11comp_targetILNS1_3genE0ELNS1_11target_archE4294967295ELNS1_3gpuE0ELNS1_3repE0EEENS1_30default_config_static_selectorELNS0_4arch9wavefront6targetE1EEEvS14_,comdat
	.protected	_ZN7rocprim17ROCPRIM_400000_NS6detail17trampoline_kernelINS0_14default_configENS1_22reduce_config_selectorIN6thrust23THRUST_200600_302600_NS5tupleIblNS6_9null_typeES8_S8_S8_S8_S8_S8_S8_EEEEZNS1_11reduce_implILb1ES3_NS6_12zip_iteratorINS7_INS6_11hip_rocprim26transform_input_iterator_tIbNSD_35transform_pair_of_input_iterators_tIbNS6_6detail15normal_iteratorINS6_10device_ptrIKxEEEESL_NS6_8equal_toIxEEEENSG_9not_fun_tINSD_8identityEEEEENSD_19counting_iterator_tIlEES8_S8_S8_S8_S8_S8_S8_S8_EEEEPS9_S9_NSD_9__find_if7functorIS9_EEEE10hipError_tPvRmT1_T2_T3_mT4_P12ihipStream_tbEUlT_E0_NS1_11comp_targetILNS1_3genE0ELNS1_11target_archE4294967295ELNS1_3gpuE0ELNS1_3repE0EEENS1_30default_config_static_selectorELNS0_4arch9wavefront6targetE1EEEvS14_ ; -- Begin function _ZN7rocprim17ROCPRIM_400000_NS6detail17trampoline_kernelINS0_14default_configENS1_22reduce_config_selectorIN6thrust23THRUST_200600_302600_NS5tupleIblNS6_9null_typeES8_S8_S8_S8_S8_S8_S8_EEEEZNS1_11reduce_implILb1ES3_NS6_12zip_iteratorINS7_INS6_11hip_rocprim26transform_input_iterator_tIbNSD_35transform_pair_of_input_iterators_tIbNS6_6detail15normal_iteratorINS6_10device_ptrIKxEEEESL_NS6_8equal_toIxEEEENSG_9not_fun_tINSD_8identityEEEEENSD_19counting_iterator_tIlEES8_S8_S8_S8_S8_S8_S8_S8_EEEEPS9_S9_NSD_9__find_if7functorIS9_EEEE10hipError_tPvRmT1_T2_T3_mT4_P12ihipStream_tbEUlT_E0_NS1_11comp_targetILNS1_3genE0ELNS1_11target_archE4294967295ELNS1_3gpuE0ELNS1_3repE0EEENS1_30default_config_static_selectorELNS0_4arch9wavefront6targetE1EEEvS14_
	.globl	_ZN7rocprim17ROCPRIM_400000_NS6detail17trampoline_kernelINS0_14default_configENS1_22reduce_config_selectorIN6thrust23THRUST_200600_302600_NS5tupleIblNS6_9null_typeES8_S8_S8_S8_S8_S8_S8_EEEEZNS1_11reduce_implILb1ES3_NS6_12zip_iteratorINS7_INS6_11hip_rocprim26transform_input_iterator_tIbNSD_35transform_pair_of_input_iterators_tIbNS6_6detail15normal_iteratorINS6_10device_ptrIKxEEEESL_NS6_8equal_toIxEEEENSG_9not_fun_tINSD_8identityEEEEENSD_19counting_iterator_tIlEES8_S8_S8_S8_S8_S8_S8_S8_EEEEPS9_S9_NSD_9__find_if7functorIS9_EEEE10hipError_tPvRmT1_T2_T3_mT4_P12ihipStream_tbEUlT_E0_NS1_11comp_targetILNS1_3genE0ELNS1_11target_archE4294967295ELNS1_3gpuE0ELNS1_3repE0EEENS1_30default_config_static_selectorELNS0_4arch9wavefront6targetE1EEEvS14_
	.p2align	8
	.type	_ZN7rocprim17ROCPRIM_400000_NS6detail17trampoline_kernelINS0_14default_configENS1_22reduce_config_selectorIN6thrust23THRUST_200600_302600_NS5tupleIblNS6_9null_typeES8_S8_S8_S8_S8_S8_S8_EEEEZNS1_11reduce_implILb1ES3_NS6_12zip_iteratorINS7_INS6_11hip_rocprim26transform_input_iterator_tIbNSD_35transform_pair_of_input_iterators_tIbNS6_6detail15normal_iteratorINS6_10device_ptrIKxEEEESL_NS6_8equal_toIxEEEENSG_9not_fun_tINSD_8identityEEEEENSD_19counting_iterator_tIlEES8_S8_S8_S8_S8_S8_S8_S8_EEEEPS9_S9_NSD_9__find_if7functorIS9_EEEE10hipError_tPvRmT1_T2_T3_mT4_P12ihipStream_tbEUlT_E0_NS1_11comp_targetILNS1_3genE0ELNS1_11target_archE4294967295ELNS1_3gpuE0ELNS1_3repE0EEENS1_30default_config_static_selectorELNS0_4arch9wavefront6targetE1EEEvS14_,@function
_ZN7rocprim17ROCPRIM_400000_NS6detail17trampoline_kernelINS0_14default_configENS1_22reduce_config_selectorIN6thrust23THRUST_200600_302600_NS5tupleIblNS6_9null_typeES8_S8_S8_S8_S8_S8_S8_EEEEZNS1_11reduce_implILb1ES3_NS6_12zip_iteratorINS7_INS6_11hip_rocprim26transform_input_iterator_tIbNSD_35transform_pair_of_input_iterators_tIbNS6_6detail15normal_iteratorINS6_10device_ptrIKxEEEESL_NS6_8equal_toIxEEEENSG_9not_fun_tINSD_8identityEEEEENSD_19counting_iterator_tIlEES8_S8_S8_S8_S8_S8_S8_S8_EEEEPS9_S9_NSD_9__find_if7functorIS9_EEEE10hipError_tPvRmT1_T2_T3_mT4_P12ihipStream_tbEUlT_E0_NS1_11comp_targetILNS1_3genE0ELNS1_11target_archE4294967295ELNS1_3gpuE0ELNS1_3repE0EEENS1_30default_config_static_selectorELNS0_4arch9wavefront6targetE1EEEvS14_: ; @_ZN7rocprim17ROCPRIM_400000_NS6detail17trampoline_kernelINS0_14default_configENS1_22reduce_config_selectorIN6thrust23THRUST_200600_302600_NS5tupleIblNS6_9null_typeES8_S8_S8_S8_S8_S8_S8_EEEEZNS1_11reduce_implILb1ES3_NS6_12zip_iteratorINS7_INS6_11hip_rocprim26transform_input_iterator_tIbNSD_35transform_pair_of_input_iterators_tIbNS6_6detail15normal_iteratorINS6_10device_ptrIKxEEEESL_NS6_8equal_toIxEEEENSG_9not_fun_tINSD_8identityEEEEENSD_19counting_iterator_tIlEES8_S8_S8_S8_S8_S8_S8_S8_EEEEPS9_S9_NSD_9__find_if7functorIS9_EEEE10hipError_tPvRmT1_T2_T3_mT4_P12ihipStream_tbEUlT_E0_NS1_11comp_targetILNS1_3genE0ELNS1_11target_archE4294967295ELNS1_3gpuE0ELNS1_3repE0EEENS1_30default_config_static_selectorELNS0_4arch9wavefront6targetE1EEEvS14_
; %bb.0:
	.section	.rodata,"a",@progbits
	.p2align	6, 0x0
	.amdhsa_kernel _ZN7rocprim17ROCPRIM_400000_NS6detail17trampoline_kernelINS0_14default_configENS1_22reduce_config_selectorIN6thrust23THRUST_200600_302600_NS5tupleIblNS6_9null_typeES8_S8_S8_S8_S8_S8_S8_EEEEZNS1_11reduce_implILb1ES3_NS6_12zip_iteratorINS7_INS6_11hip_rocprim26transform_input_iterator_tIbNSD_35transform_pair_of_input_iterators_tIbNS6_6detail15normal_iteratorINS6_10device_ptrIKxEEEESL_NS6_8equal_toIxEEEENSG_9not_fun_tINSD_8identityEEEEENSD_19counting_iterator_tIlEES8_S8_S8_S8_S8_S8_S8_S8_EEEEPS9_S9_NSD_9__find_if7functorIS9_EEEE10hipError_tPvRmT1_T2_T3_mT4_P12ihipStream_tbEUlT_E0_NS1_11comp_targetILNS1_3genE0ELNS1_11target_archE4294967295ELNS1_3gpuE0ELNS1_3repE0EEENS1_30default_config_static_selectorELNS0_4arch9wavefront6targetE1EEEvS14_
		.amdhsa_group_segment_fixed_size 0
		.amdhsa_private_segment_fixed_size 0
		.amdhsa_kernarg_size 104
		.amdhsa_user_sgpr_count 2
		.amdhsa_user_sgpr_dispatch_ptr 0
		.amdhsa_user_sgpr_queue_ptr 0
		.amdhsa_user_sgpr_kernarg_segment_ptr 1
		.amdhsa_user_sgpr_dispatch_id 0
		.amdhsa_user_sgpr_kernarg_preload_length 0
		.amdhsa_user_sgpr_kernarg_preload_offset 0
		.amdhsa_user_sgpr_private_segment_size 0
		.amdhsa_uses_dynamic_stack 0
		.amdhsa_enable_private_segment 0
		.amdhsa_system_sgpr_workgroup_id_x 1
		.amdhsa_system_sgpr_workgroup_id_y 0
		.amdhsa_system_sgpr_workgroup_id_z 0
		.amdhsa_system_sgpr_workgroup_info 0
		.amdhsa_system_vgpr_workitem_id 0
		.amdhsa_next_free_vgpr 1
		.amdhsa_next_free_sgpr 0
		.amdhsa_accum_offset 4
		.amdhsa_reserve_vcc 0
		.amdhsa_float_round_mode_32 0
		.amdhsa_float_round_mode_16_64 0
		.amdhsa_float_denorm_mode_32 3
		.amdhsa_float_denorm_mode_16_64 3
		.amdhsa_dx10_clamp 1
		.amdhsa_ieee_mode 1
		.amdhsa_fp16_overflow 0
		.amdhsa_tg_split 0
		.amdhsa_exception_fp_ieee_invalid_op 0
		.amdhsa_exception_fp_denorm_src 0
		.amdhsa_exception_fp_ieee_div_zero 0
		.amdhsa_exception_fp_ieee_overflow 0
		.amdhsa_exception_fp_ieee_underflow 0
		.amdhsa_exception_fp_ieee_inexact 0
		.amdhsa_exception_int_div_zero 0
	.end_amdhsa_kernel
	.section	.text._ZN7rocprim17ROCPRIM_400000_NS6detail17trampoline_kernelINS0_14default_configENS1_22reduce_config_selectorIN6thrust23THRUST_200600_302600_NS5tupleIblNS6_9null_typeES8_S8_S8_S8_S8_S8_S8_EEEEZNS1_11reduce_implILb1ES3_NS6_12zip_iteratorINS7_INS6_11hip_rocprim26transform_input_iterator_tIbNSD_35transform_pair_of_input_iterators_tIbNS6_6detail15normal_iteratorINS6_10device_ptrIKxEEEESL_NS6_8equal_toIxEEEENSG_9not_fun_tINSD_8identityEEEEENSD_19counting_iterator_tIlEES8_S8_S8_S8_S8_S8_S8_S8_EEEEPS9_S9_NSD_9__find_if7functorIS9_EEEE10hipError_tPvRmT1_T2_T3_mT4_P12ihipStream_tbEUlT_E0_NS1_11comp_targetILNS1_3genE0ELNS1_11target_archE4294967295ELNS1_3gpuE0ELNS1_3repE0EEENS1_30default_config_static_selectorELNS0_4arch9wavefront6targetE1EEEvS14_,"axG",@progbits,_ZN7rocprim17ROCPRIM_400000_NS6detail17trampoline_kernelINS0_14default_configENS1_22reduce_config_selectorIN6thrust23THRUST_200600_302600_NS5tupleIblNS6_9null_typeES8_S8_S8_S8_S8_S8_S8_EEEEZNS1_11reduce_implILb1ES3_NS6_12zip_iteratorINS7_INS6_11hip_rocprim26transform_input_iterator_tIbNSD_35transform_pair_of_input_iterators_tIbNS6_6detail15normal_iteratorINS6_10device_ptrIKxEEEESL_NS6_8equal_toIxEEEENSG_9not_fun_tINSD_8identityEEEEENSD_19counting_iterator_tIlEES8_S8_S8_S8_S8_S8_S8_S8_EEEEPS9_S9_NSD_9__find_if7functorIS9_EEEE10hipError_tPvRmT1_T2_T3_mT4_P12ihipStream_tbEUlT_E0_NS1_11comp_targetILNS1_3genE0ELNS1_11target_archE4294967295ELNS1_3gpuE0ELNS1_3repE0EEENS1_30default_config_static_selectorELNS0_4arch9wavefront6targetE1EEEvS14_,comdat
.Lfunc_end66:
	.size	_ZN7rocprim17ROCPRIM_400000_NS6detail17trampoline_kernelINS0_14default_configENS1_22reduce_config_selectorIN6thrust23THRUST_200600_302600_NS5tupleIblNS6_9null_typeES8_S8_S8_S8_S8_S8_S8_EEEEZNS1_11reduce_implILb1ES3_NS6_12zip_iteratorINS7_INS6_11hip_rocprim26transform_input_iterator_tIbNSD_35transform_pair_of_input_iterators_tIbNS6_6detail15normal_iteratorINS6_10device_ptrIKxEEEESL_NS6_8equal_toIxEEEENSG_9not_fun_tINSD_8identityEEEEENSD_19counting_iterator_tIlEES8_S8_S8_S8_S8_S8_S8_S8_EEEEPS9_S9_NSD_9__find_if7functorIS9_EEEE10hipError_tPvRmT1_T2_T3_mT4_P12ihipStream_tbEUlT_E0_NS1_11comp_targetILNS1_3genE0ELNS1_11target_archE4294967295ELNS1_3gpuE0ELNS1_3repE0EEENS1_30default_config_static_selectorELNS0_4arch9wavefront6targetE1EEEvS14_, .Lfunc_end66-_ZN7rocprim17ROCPRIM_400000_NS6detail17trampoline_kernelINS0_14default_configENS1_22reduce_config_selectorIN6thrust23THRUST_200600_302600_NS5tupleIblNS6_9null_typeES8_S8_S8_S8_S8_S8_S8_EEEEZNS1_11reduce_implILb1ES3_NS6_12zip_iteratorINS7_INS6_11hip_rocprim26transform_input_iterator_tIbNSD_35transform_pair_of_input_iterators_tIbNS6_6detail15normal_iteratorINS6_10device_ptrIKxEEEESL_NS6_8equal_toIxEEEENSG_9not_fun_tINSD_8identityEEEEENSD_19counting_iterator_tIlEES8_S8_S8_S8_S8_S8_S8_S8_EEEEPS9_S9_NSD_9__find_if7functorIS9_EEEE10hipError_tPvRmT1_T2_T3_mT4_P12ihipStream_tbEUlT_E0_NS1_11comp_targetILNS1_3genE0ELNS1_11target_archE4294967295ELNS1_3gpuE0ELNS1_3repE0EEENS1_30default_config_static_selectorELNS0_4arch9wavefront6targetE1EEEvS14_
                                        ; -- End function
	.section	.AMDGPU.csdata,"",@progbits
; Kernel info:
; codeLenInByte = 0
; NumSgprs: 6
; NumVgprs: 0
; NumAgprs: 0
; TotalNumVgprs: 0
; ScratchSize: 0
; MemoryBound: 0
; FloatMode: 240
; IeeeMode: 1
; LDSByteSize: 0 bytes/workgroup (compile time only)
; SGPRBlocks: 0
; VGPRBlocks: 0
; NumSGPRsForWavesPerEU: 6
; NumVGPRsForWavesPerEU: 1
; AccumOffset: 4
; Occupancy: 8
; WaveLimiterHint : 0
; COMPUTE_PGM_RSRC2:SCRATCH_EN: 0
; COMPUTE_PGM_RSRC2:USER_SGPR: 2
; COMPUTE_PGM_RSRC2:TRAP_HANDLER: 0
; COMPUTE_PGM_RSRC2:TGID_X_EN: 1
; COMPUTE_PGM_RSRC2:TGID_Y_EN: 0
; COMPUTE_PGM_RSRC2:TGID_Z_EN: 0
; COMPUTE_PGM_RSRC2:TIDIG_COMP_CNT: 0
; COMPUTE_PGM_RSRC3_GFX90A:ACCUM_OFFSET: 0
; COMPUTE_PGM_RSRC3_GFX90A:TG_SPLIT: 0
	.section	.text._ZN7rocprim17ROCPRIM_400000_NS6detail17trampoline_kernelINS0_14default_configENS1_22reduce_config_selectorIN6thrust23THRUST_200600_302600_NS5tupleIblNS6_9null_typeES8_S8_S8_S8_S8_S8_S8_EEEEZNS1_11reduce_implILb1ES3_NS6_12zip_iteratorINS7_INS6_11hip_rocprim26transform_input_iterator_tIbNSD_35transform_pair_of_input_iterators_tIbNS6_6detail15normal_iteratorINS6_10device_ptrIKxEEEESL_NS6_8equal_toIxEEEENSG_9not_fun_tINSD_8identityEEEEENSD_19counting_iterator_tIlEES8_S8_S8_S8_S8_S8_S8_S8_EEEEPS9_S9_NSD_9__find_if7functorIS9_EEEE10hipError_tPvRmT1_T2_T3_mT4_P12ihipStream_tbEUlT_E0_NS1_11comp_targetILNS1_3genE5ELNS1_11target_archE942ELNS1_3gpuE9ELNS1_3repE0EEENS1_30default_config_static_selectorELNS0_4arch9wavefront6targetE1EEEvS14_,"axG",@progbits,_ZN7rocprim17ROCPRIM_400000_NS6detail17trampoline_kernelINS0_14default_configENS1_22reduce_config_selectorIN6thrust23THRUST_200600_302600_NS5tupleIblNS6_9null_typeES8_S8_S8_S8_S8_S8_S8_EEEEZNS1_11reduce_implILb1ES3_NS6_12zip_iteratorINS7_INS6_11hip_rocprim26transform_input_iterator_tIbNSD_35transform_pair_of_input_iterators_tIbNS6_6detail15normal_iteratorINS6_10device_ptrIKxEEEESL_NS6_8equal_toIxEEEENSG_9not_fun_tINSD_8identityEEEEENSD_19counting_iterator_tIlEES8_S8_S8_S8_S8_S8_S8_S8_EEEEPS9_S9_NSD_9__find_if7functorIS9_EEEE10hipError_tPvRmT1_T2_T3_mT4_P12ihipStream_tbEUlT_E0_NS1_11comp_targetILNS1_3genE5ELNS1_11target_archE942ELNS1_3gpuE9ELNS1_3repE0EEENS1_30default_config_static_selectorELNS0_4arch9wavefront6targetE1EEEvS14_,comdat
	.protected	_ZN7rocprim17ROCPRIM_400000_NS6detail17trampoline_kernelINS0_14default_configENS1_22reduce_config_selectorIN6thrust23THRUST_200600_302600_NS5tupleIblNS6_9null_typeES8_S8_S8_S8_S8_S8_S8_EEEEZNS1_11reduce_implILb1ES3_NS6_12zip_iteratorINS7_INS6_11hip_rocprim26transform_input_iterator_tIbNSD_35transform_pair_of_input_iterators_tIbNS6_6detail15normal_iteratorINS6_10device_ptrIKxEEEESL_NS6_8equal_toIxEEEENSG_9not_fun_tINSD_8identityEEEEENSD_19counting_iterator_tIlEES8_S8_S8_S8_S8_S8_S8_S8_EEEEPS9_S9_NSD_9__find_if7functorIS9_EEEE10hipError_tPvRmT1_T2_T3_mT4_P12ihipStream_tbEUlT_E0_NS1_11comp_targetILNS1_3genE5ELNS1_11target_archE942ELNS1_3gpuE9ELNS1_3repE0EEENS1_30default_config_static_selectorELNS0_4arch9wavefront6targetE1EEEvS14_ ; -- Begin function _ZN7rocprim17ROCPRIM_400000_NS6detail17trampoline_kernelINS0_14default_configENS1_22reduce_config_selectorIN6thrust23THRUST_200600_302600_NS5tupleIblNS6_9null_typeES8_S8_S8_S8_S8_S8_S8_EEEEZNS1_11reduce_implILb1ES3_NS6_12zip_iteratorINS7_INS6_11hip_rocprim26transform_input_iterator_tIbNSD_35transform_pair_of_input_iterators_tIbNS6_6detail15normal_iteratorINS6_10device_ptrIKxEEEESL_NS6_8equal_toIxEEEENSG_9not_fun_tINSD_8identityEEEEENSD_19counting_iterator_tIlEES8_S8_S8_S8_S8_S8_S8_S8_EEEEPS9_S9_NSD_9__find_if7functorIS9_EEEE10hipError_tPvRmT1_T2_T3_mT4_P12ihipStream_tbEUlT_E0_NS1_11comp_targetILNS1_3genE5ELNS1_11target_archE942ELNS1_3gpuE9ELNS1_3repE0EEENS1_30default_config_static_selectorELNS0_4arch9wavefront6targetE1EEEvS14_
	.globl	_ZN7rocprim17ROCPRIM_400000_NS6detail17trampoline_kernelINS0_14default_configENS1_22reduce_config_selectorIN6thrust23THRUST_200600_302600_NS5tupleIblNS6_9null_typeES8_S8_S8_S8_S8_S8_S8_EEEEZNS1_11reduce_implILb1ES3_NS6_12zip_iteratorINS7_INS6_11hip_rocprim26transform_input_iterator_tIbNSD_35transform_pair_of_input_iterators_tIbNS6_6detail15normal_iteratorINS6_10device_ptrIKxEEEESL_NS6_8equal_toIxEEEENSG_9not_fun_tINSD_8identityEEEEENSD_19counting_iterator_tIlEES8_S8_S8_S8_S8_S8_S8_S8_EEEEPS9_S9_NSD_9__find_if7functorIS9_EEEE10hipError_tPvRmT1_T2_T3_mT4_P12ihipStream_tbEUlT_E0_NS1_11comp_targetILNS1_3genE5ELNS1_11target_archE942ELNS1_3gpuE9ELNS1_3repE0EEENS1_30default_config_static_selectorELNS0_4arch9wavefront6targetE1EEEvS14_
	.p2align	8
	.type	_ZN7rocprim17ROCPRIM_400000_NS6detail17trampoline_kernelINS0_14default_configENS1_22reduce_config_selectorIN6thrust23THRUST_200600_302600_NS5tupleIblNS6_9null_typeES8_S8_S8_S8_S8_S8_S8_EEEEZNS1_11reduce_implILb1ES3_NS6_12zip_iteratorINS7_INS6_11hip_rocprim26transform_input_iterator_tIbNSD_35transform_pair_of_input_iterators_tIbNS6_6detail15normal_iteratorINS6_10device_ptrIKxEEEESL_NS6_8equal_toIxEEEENSG_9not_fun_tINSD_8identityEEEEENSD_19counting_iterator_tIlEES8_S8_S8_S8_S8_S8_S8_S8_EEEEPS9_S9_NSD_9__find_if7functorIS9_EEEE10hipError_tPvRmT1_T2_T3_mT4_P12ihipStream_tbEUlT_E0_NS1_11comp_targetILNS1_3genE5ELNS1_11target_archE942ELNS1_3gpuE9ELNS1_3repE0EEENS1_30default_config_static_selectorELNS0_4arch9wavefront6targetE1EEEvS14_,@function
_ZN7rocprim17ROCPRIM_400000_NS6detail17trampoline_kernelINS0_14default_configENS1_22reduce_config_selectorIN6thrust23THRUST_200600_302600_NS5tupleIblNS6_9null_typeES8_S8_S8_S8_S8_S8_S8_EEEEZNS1_11reduce_implILb1ES3_NS6_12zip_iteratorINS7_INS6_11hip_rocprim26transform_input_iterator_tIbNSD_35transform_pair_of_input_iterators_tIbNS6_6detail15normal_iteratorINS6_10device_ptrIKxEEEESL_NS6_8equal_toIxEEEENSG_9not_fun_tINSD_8identityEEEEENSD_19counting_iterator_tIlEES8_S8_S8_S8_S8_S8_S8_S8_EEEEPS9_S9_NSD_9__find_if7functorIS9_EEEE10hipError_tPvRmT1_T2_T3_mT4_P12ihipStream_tbEUlT_E0_NS1_11comp_targetILNS1_3genE5ELNS1_11target_archE942ELNS1_3gpuE9ELNS1_3repE0EEENS1_30default_config_static_selectorELNS0_4arch9wavefront6targetE1EEEvS14_: ; @_ZN7rocprim17ROCPRIM_400000_NS6detail17trampoline_kernelINS0_14default_configENS1_22reduce_config_selectorIN6thrust23THRUST_200600_302600_NS5tupleIblNS6_9null_typeES8_S8_S8_S8_S8_S8_S8_EEEEZNS1_11reduce_implILb1ES3_NS6_12zip_iteratorINS7_INS6_11hip_rocprim26transform_input_iterator_tIbNSD_35transform_pair_of_input_iterators_tIbNS6_6detail15normal_iteratorINS6_10device_ptrIKxEEEESL_NS6_8equal_toIxEEEENSG_9not_fun_tINSD_8identityEEEEENSD_19counting_iterator_tIlEES8_S8_S8_S8_S8_S8_S8_S8_EEEEPS9_S9_NSD_9__find_if7functorIS9_EEEE10hipError_tPvRmT1_T2_T3_mT4_P12ihipStream_tbEUlT_E0_NS1_11comp_targetILNS1_3genE5ELNS1_11target_archE942ELNS1_3gpuE9ELNS1_3repE0EEENS1_30default_config_static_selectorELNS0_4arch9wavefront6targetE1EEEvS14_
; %bb.0:
	s_load_dwordx8 s[36:43], s[0:1], 0x20
	s_load_dwordx4 s[4:7], s[0:1], 0x0
	s_load_dwordx4 s[44:47], s[0:1], 0x40
	s_mov_b32 s25, 0
	s_mov_b32 s3, s25
	s_waitcnt lgkmcnt(0)
	s_lshl_b64 s[8:9], s[38:39], 3
	s_add_u32 s10, s4, s8
	s_addc_u32 s11, s5, s9
	s_add_u32 s8, s6, s8
	s_addc_u32 s9, s7, s9
	s_lshl_b32 s24, s2, 12
	s_lshr_b64 s[4:5], s[40:41], 12
	s_lshl_b64 s[6:7], s[24:25], 3
	s_add_u32 s30, s10, s6
	s_addc_u32 s31, s11, s7
	s_add_u32 s48, s8, s6
	s_addc_u32 s49, s9, s7
	s_add_u32 s6, s36, s24
	s_addc_u32 s7, s37, 0
	s_add_u32 s36, s6, s38
	s_addc_u32 s37, s7, s39
	s_cmp_lg_u64 s[4:5], s[2:3]
	v_lshlrev_b32_e32 v4, 3, v0
	s_cbranch_scc0 .LBB67_18
; %bb.1:
	v_mov_b32_e32 v1, 0
	v_mov_b32_e32 v5, v1
	v_lshl_add_u64 v[2:3], s[30:31], 0, v[4:5]
	v_add_co_u32_e32 v8, vcc, 0x1000, v2
	v_lshl_add_u64 v[6:7], s[48:49], 0, v[4:5]
	s_nop 0
	v_addc_co_u32_e32 v9, vcc, 0, v3, vcc
	v_add_co_u32_e32 v12, vcc, 0x1000, v6
	global_load_dwordx2 v[10:11], v[8:9], off
	s_nop 0
	v_addc_co_u32_e32 v13, vcc, 0, v7, vcc
	global_load_dwordx2 v[14:15], v[12:13], off
	v_add_co_u32_e32 v16, vcc, 0x2000, v2
	v_mov_b32_e32 v5, 0x200
	s_nop 0
	v_addc_co_u32_e32 v17, vcc, 0, v3, vcc
	global_load_dwordx2 v[18:19], v[16:17], off
	v_add_co_u32_e32 v20, vcc, 0x2000, v6
	s_mov_b64 s[16:17], 0xe00
	s_nop 0
	v_addc_co_u32_e32 v21, vcc, 0, v7, vcc
	global_load_dwordx2 v[22:23], v[20:21], off
	global_load_dwordx2 v[24:25], v[8:9], off offset:2048
	global_load_dwordx2 v[26:27], v[12:13], off offset:2048
	v_add_co_u32_e32 v8, vcc, 0x3000, v2
	s_mov_b64 s[18:19], 0xf00
	s_nop 0
	v_addc_co_u32_e32 v9, vcc, 0, v3, vcc
	v_add_co_u32_e32 v12, vcc, 0x3000, v6
	global_load_dwordx2 v[28:29], v[8:9], off
	s_nop 0
	v_addc_co_u32_e32 v13, vcc, 0, v7, vcc
	v_add_co_u32_e32 v30, vcc, 0x4000, v2
	global_load_dwordx2 v[32:33], v[12:13], off
	;; [unrolled: 4-line block ×7, first 2 shown]
	global_load_dwordx2 v[54:55], v[46:47], off offset:2048
	v_addc_co_u32_e32 v51, vcc, 0, v7, vcc
	v_add_co_u32_e32 v2, vcc, 0x7000, v2
	global_load_dwordx2 v[46:47], v[50:51], off
	global_load_dwordx2 v[56:57], v[50:51], off offset:2048
	v_addc_co_u32_e32 v3, vcc, 0, v3, vcc
	v_add_co_u32_e32 v6, vcc, 0x7000, v6
	global_load_dwordx2 v[50:51], v[2:3], off
	s_nop 0
	v_addc_co_u32_e32 v7, vcc, 0, v7, vcc
	s_waitcnt vmcnt(15)
	v_cmp_ne_u64_e64 s[4:5], v[10:11], v[14:15]
	global_load_dwordx2 v[10:11], v[6:7], off
	global_load_dwordx2 v[14:15], v4, s[48:49] offset:2048
	global_load_dwordx2 v[58:59], v4, s[30:31] offset:2048
	global_load_dwordx2 v[60:61], v[2:3], off offset:2048
	global_load_dwordx2 v[62:63], v[6:7], off offset:2048
                                        ; kill: killed $vgpr6 killed $vgpr7
                                        ; kill: killed $vgpr2 killed $vgpr3
	s_nop 0
	global_load_dwordx2 v[2:3], v[16:17], off offset:2048
	global_load_dwordx2 v[6:7], v[20:21], off offset:2048
	s_waitcnt vmcnt(20)
	v_cmp_ne_u64_e32 vcc, v[18:19], v[22:23]
	global_load_dwordx2 v[16:17], v4, s[48:49]
	global_load_dwordx2 v[18:19], v4, s[30:31]
	global_load_dwordx2 v[20:21], v[8:9], off offset:2048
	global_load_dwordx2 v[22:23], v[12:13], off offset:2048
                                        ; kill: killed $vgpr8 killed $vgpr9
                                        ; kill: killed $vgpr12 killed $vgpr13
	s_nop 0
	global_load_dwordx2 v[8:9], v[30:31], off offset:2048
	global_load_dwordx2 v[12:13], v[34:35], off offset:2048
                                        ; kill: killed $vgpr34 killed $vgpr35
                                        ; kill: killed $vgpr30 killed $vgpr31
	s_nop 0
	global_load_dwordx2 v[30:31], v[38:39], off offset:2048
	global_load_dwordx2 v[34:35], v[42:43], off offset:2048
	s_waitcnt vmcnt(24)
	v_cmp_ne_u64_e64 s[6:7], v[28:29], v[32:33]
	v_lshl_add_u64 v[28:29], s[36:37], 0, v[0:1]
	v_lshl_add_u64 v[32:33], v[28:29], 0, s[16:17]
	s_waitcnt vmcnt(22)
	v_cmp_ne_u64_e64 s[8:9], v[36:37], v[40:41]
	v_mov_b32_e32 v36, 0x100
	s_waitcnt vmcnt(20)
	v_cmp_ne_u64_e64 s[10:11], v[44:45], v[48:49]
	s_waitcnt vmcnt(17)
	v_cmp_ne_u64_e64 s[12:13], v[52:53], v[46:47]
	;; [unrolled: 2-line block ×4, first 2 shown]
	v_lshl_add_u64 v[10:11], v[28:29], 0, s[18:19]
	s_waitcnt vmcnt(12)
	v_cmp_ne_u64_e64 s[20:21], v[58:59], v[14:15]
	v_mov_b32_e32 v14, 0x400
	v_mov_b32_e32 v15, 0x300
	v_cndmask_b32_e64 v5, v5, v36, s[20:21]
	s_waitcnt vmcnt(10)
	v_cmp_ne_u64_e64 s[18:19], v[60:61], v[62:63]
	s_waitcnt vmcnt(6)
	v_cmp_ne_u64_e64 s[22:23], v[18:19], v[16:17]
	s_nop 1
	v_cndmask_b32_e64 v5, v5, 0, s[22:23]
	s_or_b64 s[22:23], s[22:23], s[20:21]
	v_cmp_ne_u64_e64 s[20:21], v[24:25], v[26:27]
	s_or_b64 s[4:5], s[22:23], s[4:5]
	s_nop 0
	v_cndmask_b32_e64 v14, v14, v15, s[20:21]
	v_cndmask_b32_e64 v5, v14, v5, s[4:5]
	s_or_b64 s[20:21], s[4:5], s[20:21]
	v_mov_b32_e32 v14, 0x600
	v_mov_b32_e32 v15, 0x500
	v_cmp_ne_u64_e64 s[4:5], v[2:3], v[6:7]
	s_or_b64 vcc, s[20:21], vcc
	v_mov_b32_e32 v3, 0x800
	v_cndmask_b32_e64 v2, v14, v15, s[4:5]
	v_cndmask_b32_e32 v2, v2, v5, vcc
	s_or_b64 s[4:5], vcc, s[4:5]
	v_mov_b32_e32 v5, 0x700
	s_waitcnt vmcnt(4)
	v_cmp_ne_u64_e32 vcc, v[20:21], v[22:23]
	s_or_b64 s[4:5], s[4:5], s[6:7]
	s_nop 0
	v_cndmask_b32_e32 v3, v3, v5, vcc
	v_cndmask_b32_e64 v2, v3, v2, s[4:5]
	s_or_b64 s[4:5], s[4:5], vcc
	v_mov_b32_e32 v3, 0xa00
	v_mov_b32_e32 v5, 0x900
	s_waitcnt vmcnt(2)
	v_cmp_ne_u64_e32 vcc, v[8:9], v[12:13]
	s_or_b64 s[4:5], s[4:5], s[8:9]
	s_nop 0
	v_cndmask_b32_e32 v3, v3, v5, vcc
	v_cndmask_b32_e64 v2, v3, v2, s[4:5]
	s_or_b64 s[4:5], s[4:5], vcc
	v_mov_b32_e32 v3, 0xc00
	;; [unrolled: 9-line block ×3, first 2 shown]
	s_or_b64 vcc, s[4:5], s[12:13]
	v_cndmask_b32_e32 v2, v3, v2, vcc
	v_mov_b32_e32 v3, v1
	v_lshl_add_u64 v[2:3], v[2:3], 0, v[28:29]
	v_cmp_lt_i64_e64 s[4:5], v[32:33], v[2:3]
	s_and_b64 s[4:5], s[16:17], s[4:5]
	s_or_b64 vcc, vcc, s[14:15]
	v_cndmask_b32_e64 v1, v2, v32, s[4:5]
	v_cndmask_b32_e64 v2, v3, v33, s[4:5]
	v_cndmask_b32_e32 v3, v33, v2, vcc
	v_cndmask_b32_e32 v2, v32, v1, vcc
	v_cmp_lt_i64_e64 s[4:5], v[10:11], v[2:3]
	s_and_b64 s[4:5], s[18:19], s[4:5]
	s_or_b64 vcc, vcc, s[16:17]
	v_cndmask_b32_e64 v1, v2, v10, s[4:5]
	v_cndmask_b32_e64 v2, v3, v11, s[4:5]
	s_or_b64 s[4:5], vcc, s[18:19]
	v_cndmask_b32_e32 v3, v11, v2, vcc
	v_cndmask_b32_e32 v2, v10, v1, vcc
	v_cndmask_b32_e64 v1, 0, 1, s[4:5]
	v_mov_b32_dpp v7, v3 quad_perm:[1,0,3,2] row_mask:0xf bank_mask:0xf bound_ctrl:1
	v_mov_b32_dpp v6, v2 quad_perm:[1,0,3,2] row_mask:0xf bank_mask:0xf bound_ctrl:1
	;; [unrolled: 1-line block ×3, first 2 shown]
	v_and_b32_e32 v8, 1, v5
	v_cmp_eq_u32_e32 vcc, 1, v8
	s_and_saveexec_b64 s[6:7], vcc
; %bb.2:
	v_cmp_lt_i64_e32 vcc, v[2:3], v[6:7]
	v_cndmask_b32_e64 v5, v5, 1, s[4:5]
	s_and_b64 vcc, s[4:5], vcc
	v_and_b32_e32 v1, 0xff, v5
	v_and_b32_e32 v5, 1, v5
	v_cndmask_b32_e32 v3, v7, v3, vcc
	v_cndmask_b32_e32 v2, v6, v2, vcc
	v_cmp_eq_u32_e32 vcc, 1, v5
	s_andn2_b64 s[4:5], s[4:5], exec
	s_and_b64 s[8:9], vcc, exec
	s_or_b64 s[4:5], s[4:5], s[8:9]
; %bb.3:
	s_or_b64 exec, exec, s[6:7]
	v_mov_b32_dpp v5, v1 quad_perm:[2,3,0,1] row_mask:0xf bank_mask:0xf bound_ctrl:1
	v_and_b32_e32 v8, 1, v5
	v_mov_b32_dpp v6, v2 quad_perm:[2,3,0,1] row_mask:0xf bank_mask:0xf bound_ctrl:1
	v_mov_b32_dpp v7, v3 quad_perm:[2,3,0,1] row_mask:0xf bank_mask:0xf bound_ctrl:1
	v_cmp_eq_u32_e32 vcc, 1, v8
	s_and_saveexec_b64 s[6:7], vcc
; %bb.4:
	v_cmp_lt_i64_e32 vcc, v[2:3], v[6:7]
	v_cndmask_b32_e64 v5, v5, 1, s[4:5]
	s_and_b64 vcc, s[4:5], vcc
	v_and_b32_e32 v1, 0xff, v5
	v_and_b32_e32 v5, 1, v5
	v_cndmask_b32_e32 v3, v7, v3, vcc
	v_cndmask_b32_e32 v2, v6, v2, vcc
	v_cmp_eq_u32_e32 vcc, 1, v5
	s_andn2_b64 s[4:5], s[4:5], exec
	s_and_b64 s[8:9], vcc, exec
	s_or_b64 s[4:5], s[4:5], s[8:9]
; %bb.5:
	s_or_b64 exec, exec, s[6:7]
	v_mov_b32_dpp v5, v1 row_ror:4 row_mask:0xf bank_mask:0xf bound_ctrl:1
	v_and_b32_e32 v8, 1, v5
	v_mov_b32_dpp v6, v2 row_ror:4 row_mask:0xf bank_mask:0xf bound_ctrl:1
	v_mov_b32_dpp v7, v3 row_ror:4 row_mask:0xf bank_mask:0xf bound_ctrl:1
	v_cmp_eq_u32_e32 vcc, 1, v8
	s_and_saveexec_b64 s[6:7], vcc
; %bb.6:
	v_cmp_lt_i64_e32 vcc, v[2:3], v[6:7]
	v_cndmask_b32_e64 v5, v5, 1, s[4:5]
	s_and_b64 vcc, s[4:5], vcc
	v_and_b32_e32 v1, 0xff, v5
	v_and_b32_e32 v5, 1, v5
	v_cndmask_b32_e32 v3, v7, v3, vcc
	v_cndmask_b32_e32 v2, v6, v2, vcc
	v_cmp_eq_u32_e32 vcc, 1, v5
	s_andn2_b64 s[4:5], s[4:5], exec
	s_and_b64 s[8:9], vcc, exec
	s_or_b64 s[4:5], s[4:5], s[8:9]
; %bb.7:
	s_or_b64 exec, exec, s[6:7]
	v_mov_b32_dpp v5, v1 row_ror:8 row_mask:0xf bank_mask:0xf bound_ctrl:1
	v_and_b32_e32 v8, 1, v5
	v_mov_b32_dpp v6, v2 row_ror:8 row_mask:0xf bank_mask:0xf bound_ctrl:1
	v_mov_b32_dpp v7, v3 row_ror:8 row_mask:0xf bank_mask:0xf bound_ctrl:1
	v_cmp_eq_u32_e32 vcc, 1, v8
	s_and_saveexec_b64 s[6:7], vcc
; %bb.8:
	v_cmp_lt_i64_e32 vcc, v[2:3], v[6:7]
	v_cndmask_b32_e64 v5, v5, 1, s[4:5]
	s_and_b64 vcc, s[4:5], vcc
	v_and_b32_e32 v1, 0xff, v5
	v_and_b32_e32 v5, 1, v5
	v_cndmask_b32_e32 v3, v7, v3, vcc
	v_cndmask_b32_e32 v2, v6, v2, vcc
	v_cmp_eq_u32_e32 vcc, 1, v5
	s_andn2_b64 s[4:5], s[4:5], exec
	s_and_b64 s[8:9], vcc, exec
	s_or_b64 s[4:5], s[4:5], s[8:9]
; %bb.9:
	s_or_b64 exec, exec, s[6:7]
	v_mov_b32_dpp v5, v1 row_bcast:15 row_mask:0xf bank_mask:0xf bound_ctrl:1
	v_and_b32_e32 v8, 1, v5
	v_mov_b32_dpp v6, v2 row_bcast:15 row_mask:0xf bank_mask:0xf bound_ctrl:1
	v_mov_b32_dpp v7, v3 row_bcast:15 row_mask:0xf bank_mask:0xf bound_ctrl:1
	v_cmp_eq_u32_e32 vcc, 1, v8
	s_and_saveexec_b64 s[6:7], vcc
; %bb.10:
	v_cmp_lt_i64_e32 vcc, v[2:3], v[6:7]
	v_cndmask_b32_e64 v5, v5, 1, s[4:5]
	s_and_b64 vcc, s[4:5], vcc
	v_and_b32_e32 v1, 0xff, v5
	v_and_b32_e32 v5, 1, v5
	v_cndmask_b32_e32 v3, v7, v3, vcc
	v_cndmask_b32_e32 v2, v6, v2, vcc
	v_cmp_eq_u32_e32 vcc, 1, v5
	s_andn2_b64 s[4:5], s[4:5], exec
	s_and_b64 s[8:9], vcc, exec
	s_or_b64 s[4:5], s[4:5], s[8:9]
; %bb.11:
	s_or_b64 exec, exec, s[6:7]
	v_mov_b32_dpp v5, v1 row_bcast:31 row_mask:0xf bank_mask:0xf bound_ctrl:1
	v_and_b32_e32 v8, 1, v5
	v_mov_b32_dpp v6, v2 row_bcast:31 row_mask:0xf bank_mask:0xf bound_ctrl:1
	v_mov_b32_dpp v7, v3 row_bcast:31 row_mask:0xf bank_mask:0xf bound_ctrl:1
	v_cmp_eq_u32_e32 vcc, 1, v8
	s_and_saveexec_b64 s[6:7], vcc
; %bb.12:
	v_cmp_lt_i64_e32 vcc, v[2:3], v[6:7]
	v_and_b32_e32 v1, 0xff, v5
	s_and_b64 vcc, s[4:5], vcc
	v_cndmask_b32_e32 v2, v6, v2, vcc
	v_cndmask_b32_e32 v3, v7, v3, vcc
	v_cndmask_b32_e64 v1, v1, 1, s[4:5]
; %bb.13:
	s_or_b64 exec, exec, s[6:7]
	v_mbcnt_lo_u32_b32 v5, -1, 0
	v_mbcnt_hi_u32_b32 v5, -1, v5
	v_bfrev_b32_e32 v6, 0.5
	v_lshl_or_b32 v6, v5, 2, v6
	ds_bpermute_b32 v7, v6, v1
	ds_bpermute_b32 v2, v6, v2
	;; [unrolled: 1-line block ×3, first 2 shown]
	v_cmp_eq_u32_e32 vcc, 0, v5
	s_and_saveexec_b64 s[4:5], vcc
	s_cbranch_execz .LBB67_15
; %bb.14:
	v_lshrrev_b32_e32 v1, 2, v0
	v_and_b32_e32 v1, 48, v1
	s_waitcnt lgkmcnt(2)
	ds_write_b8 v1, v7
	s_waitcnt lgkmcnt(1)
	ds_write_b64 v1, v[2:3] offset:8
.LBB67_15:
	s_or_b64 exec, exec, s[4:5]
	v_cmp_gt_u32_e32 vcc, 64, v0
	s_waitcnt lgkmcnt(0)
	s_barrier
	s_and_saveexec_b64 s[6:7], vcc
	s_cbranch_execz .LBB67_17
; %bb.16:
	v_and_b32_e32 v1, 3, v5
	v_lshlrev_b32_e32 v2, 4, v1
	ds_read_u8 v8, v2
	ds_read_b64 v[2:3], v2 offset:8
	v_cmp_ne_u32_e32 vcc, 3, v1
	s_waitcnt lgkmcnt(1)
	v_and_b32_e32 v7, 0xff, v8
	v_addc_co_u32_e32 v6, vcc, 0, v5, vcc
	v_lshlrev_b32_e32 v9, 2, v6
	ds_bpermute_b32 v10, v9, v7
	s_waitcnt lgkmcnt(1)
	ds_bpermute_b32 v6, v9, v2
	ds_bpermute_b32 v7, v9, v3
	v_and_b32_e32 v9, 1, v8
	s_waitcnt lgkmcnt(2)
	v_and_b32_e32 v11, 1, v10
	v_cmp_eq_u32_e64 s[4:5], 1, v11
	s_waitcnt lgkmcnt(0)
	v_cmp_lt_i64_e32 vcc, v[6:7], v[2:3]
	s_and_b64 vcc, s[4:5], vcc
	v_cndmask_b32_e64 v8, v8, 1, s[4:5]
	v_cndmask_b32_e32 v2, v2, v6, vcc
	v_cndmask_b32_e32 v3, v3, v7, vcc
	v_cmp_eq_u32_e32 vcc, 1, v9
	s_nop 1
	v_cndmask_b32_e32 v8, v10, v8, vcc
	v_cndmask_b32_e32 v3, v7, v3, vcc
	;; [unrolled: 1-line block ×3, first 2 shown]
	v_cmp_gt_u32_e32 vcc, 2, v1
	v_and_b32_e32 v6, 0xff, v8
	s_nop 0
	v_cndmask_b32_e64 v1, 0, 1, vcc
	v_lshlrev_b32_e32 v1, 1, v1
	v_add_lshl_u32 v1, v1, v5, 2
	ds_bpermute_b32 v5, v1, v6
	ds_bpermute_b32 v6, v1, v2
	ds_bpermute_b32 v7, v1, v3
	v_and_b32_e32 v1, 1, v8
	s_waitcnt lgkmcnt(2)
	v_and_b32_e32 v9, 1, v5
	v_cmp_eq_u32_e64 s[4:5], 1, v9
	s_waitcnt lgkmcnt(0)
	v_cmp_lt_i64_e32 vcc, v[6:7], v[2:3]
	s_and_b64 vcc, s[4:5], vcc
	v_cndmask_b32_e64 v8, v8, 1, s[4:5]
	v_cndmask_b32_e32 v2, v2, v6, vcc
	v_cndmask_b32_e32 v3, v3, v7, vcc
	v_cmp_eq_u32_e32 vcc, 1, v1
	s_nop 1
	v_cndmask_b32_e32 v1, v5, v8, vcc
	v_cndmask_b32_e32 v3, v7, v3, vcc
	;; [unrolled: 1-line block ×3, first 2 shown]
	v_and_b32_e32 v7, 0xff, v1
.LBB67_17:
	s_or_b64 exec, exec, s[6:7]
	s_load_dword s33, s[0:1], 0x50
	s_load_dwordx2 s[34:35], s[0:1], 0x58
	s_branch .LBB67_87
.LBB67_18:
                                        ; implicit-def: $vgpr2_vgpr3
                                        ; implicit-def: $vgpr7
	s_load_dword s33, s[0:1], 0x50
	s_load_dwordx2 s[34:35], s[0:1], 0x58
	s_cbranch_execz .LBB67_87
; %bb.19:
	s_sub_i32 s50, s40, s24
	v_mov_b64_e32 v[18:19], 0
	v_cmp_gt_u32_e32 vcc, s50, v0
	v_mov_b32_e32 v43, 0
	v_mov_b64_e32 v[2:3], v[18:19]
	v_mov_b32_e32 v1, 0
	s_and_saveexec_b64 s[0:1], vcc
	s_cbranch_execz .LBB67_21
; %bb.20:
	global_load_dwordx2 v[6:7], v4, s[30:31]
	global_load_dwordx2 v[8:9], v4, s[48:49]
	v_mov_b32_e32 v1, 0
	v_lshl_add_u64 v[2:3], s[36:37], 0, v[0:1]
	s_waitcnt vmcnt(0)
	v_cmp_ne_u64_e32 vcc, v[6:7], v[8:9]
	s_nop 1
	v_cndmask_b32_e64 v1, 0, 1, vcc
.LBB67_21:
	s_or_b64 exec, exec, s[0:1]
	v_or_b32_e32 v6, 0x100, v0
	v_cmp_gt_u32_e64 s[28:29], s50, v6
	s_and_saveexec_b64 s[0:1], s[28:29]
	s_cbranch_execz .LBB67_23
; %bb.22:
	global_load_dwordx2 v[8:9], v4, s[30:31] offset:2048
	global_load_dwordx2 v[10:11], v4, s[48:49] offset:2048
	v_mov_b32_e32 v7, 0
	v_lshl_add_u64 v[18:19], s[36:37], 0, v[6:7]
	s_waitcnt vmcnt(0)
	v_cmp_ne_u64_e32 vcc, v[8:9], v[10:11]
	s_nop 1
	v_cndmask_b32_e64 v43, 0, 1, vcc
.LBB67_23:
	s_or_b64 exec, exec, s[0:1]
	v_or_b32_e32 v4, 0x200, v0
	v_mov_b64_e32 v[16:17], 0
	v_cmp_gt_u32_e64 s[26:27], s50, v4
	v_mov_b32_e32 v42, 0
	v_mov_b64_e32 v[32:33], v[16:17]
	v_mov_b32_e32 v50, 0
	s_and_saveexec_b64 s[0:1], s[26:27]
	s_cbranch_execz .LBB67_25
; %bb.24:
	v_lshlrev_b32_e32 v5, 3, v4
	global_load_dwordx2 v[6:7], v5, s[30:31]
	global_load_dwordx2 v[8:9], v5, s[48:49]
	v_mov_b32_e32 v5, 0
	v_lshl_add_u64 v[32:33], s[36:37], 0, v[4:5]
	s_waitcnt vmcnt(0)
	v_cmp_ne_u64_e32 vcc, v[6:7], v[8:9]
	s_nop 1
	v_cndmask_b32_e64 v50, 0, 1, vcc
.LBB67_25:
	s_or_b64 exec, exec, s[0:1]
	v_or_b32_e32 v4, 0x300, v0
	v_cmp_gt_u32_e64 s[24:25], s50, v4
	s_and_saveexec_b64 s[0:1], s[24:25]
	s_cbranch_execz .LBB67_27
; %bb.26:
	v_lshlrev_b32_e32 v5, 3, v4
	global_load_dwordx2 v[6:7], v5, s[30:31]
	global_load_dwordx2 v[8:9], v5, s[48:49]
	v_mov_b32_e32 v5, 0
	v_lshl_add_u64 v[16:17], s[36:37], 0, v[4:5]
	s_waitcnt vmcnt(0)
	v_cmp_ne_u64_e32 vcc, v[6:7], v[8:9]
	s_nop 1
	v_cndmask_b32_e64 v42, 0, 1, vcc
.LBB67_27:
	s_or_b64 exec, exec, s[0:1]
	v_or_b32_e32 v4, 0x400, v0
	v_mov_b64_e32 v[14:15], 0
	v_cmp_gt_u32_e64 s[22:23], s50, v4
	v_mov_b32_e32 v41, 0
	v_mov_b64_e32 v[30:31], v[14:15]
	v_mov_b32_e32 v49, 0
	s_and_saveexec_b64 s[0:1], s[22:23]
	s_cbranch_execz .LBB67_29
; %bb.28:
	v_lshlrev_b32_e32 v5, 3, v4
	global_load_dwordx2 v[6:7], v5, s[30:31]
	global_load_dwordx2 v[8:9], v5, s[48:49]
	v_mov_b32_e32 v5, 0
	v_lshl_add_u64 v[30:31], s[36:37], 0, v[4:5]
	s_waitcnt vmcnt(0)
	v_cmp_ne_u64_e32 vcc, v[6:7], v[8:9]
	s_nop 1
	v_cndmask_b32_e64 v49, 0, 1, vcc
.LBB67_29:
	s_or_b64 exec, exec, s[0:1]
	v_or_b32_e32 v4, 0x500, v0
	v_cmp_gt_u32_e64 s[20:21], s50, v4
	s_and_saveexec_b64 s[0:1], s[20:21]
	s_cbranch_execz .LBB67_31
; %bb.30:
	v_lshlrev_b32_e32 v5, 3, v4
	global_load_dwordx2 v[6:7], v5, s[30:31]
	global_load_dwordx2 v[8:9], v5, s[48:49]
	v_mov_b32_e32 v5, 0
	v_lshl_add_u64 v[14:15], s[36:37], 0, v[4:5]
	s_waitcnt vmcnt(0)
	v_cmp_ne_u64_e32 vcc, v[6:7], v[8:9]
	s_nop 1
	v_cndmask_b32_e64 v41, 0, 1, vcc
.LBB67_31:
	s_or_b64 exec, exec, s[0:1]
	v_or_b32_e32 v4, 0x600, v0
	v_mov_b64_e32 v[12:13], 0
	v_cmp_gt_u32_e64 s[18:19], s50, v4
	v_mov_b32_e32 v40, 0
	v_mov_b64_e32 v[28:29], v[12:13]
	v_mov_b32_e32 v48, 0
	s_and_saveexec_b64 s[0:1], s[18:19]
	s_cbranch_execz .LBB67_33
; %bb.32:
	v_lshlrev_b32_e32 v5, 3, v4
	global_load_dwordx2 v[6:7], v5, s[30:31]
	global_load_dwordx2 v[8:9], v5, s[48:49]
	v_mov_b32_e32 v5, 0
	v_lshl_add_u64 v[28:29], s[36:37], 0, v[4:5]
	s_waitcnt vmcnt(0)
	v_cmp_ne_u64_e32 vcc, v[6:7], v[8:9]
	s_nop 1
	v_cndmask_b32_e64 v48, 0, 1, vcc
.LBB67_33:
	s_or_b64 exec, exec, s[0:1]
	v_or_b32_e32 v4, 0x700, v0
	v_cmp_gt_u32_e64 s[16:17], s50, v4
	s_and_saveexec_b64 s[0:1], s[16:17]
	s_cbranch_execz .LBB67_35
; %bb.34:
	v_lshlrev_b32_e32 v5, 3, v4
	global_load_dwordx2 v[6:7], v5, s[30:31]
	global_load_dwordx2 v[8:9], v5, s[48:49]
	v_mov_b32_e32 v5, 0
	v_lshl_add_u64 v[12:13], s[36:37], 0, v[4:5]
	s_waitcnt vmcnt(0)
	v_cmp_ne_u64_e32 vcc, v[6:7], v[8:9]
	s_nop 1
	v_cndmask_b32_e64 v40, 0, 1, vcc
.LBB67_35:
	s_or_b64 exec, exec, s[0:1]
	v_or_b32_e32 v4, 0x800, v0
	v_mov_b64_e32 v[10:11], 0
	v_cmp_gt_u32_e64 s[14:15], s50, v4
	v_mov_b32_e32 v39, 0
	v_mov_b64_e32 v[26:27], v[10:11]
	v_mov_b32_e32 v47, 0
	s_and_saveexec_b64 s[0:1], s[14:15]
	s_cbranch_execz .LBB67_37
; %bb.36:
	v_lshlrev_b32_e32 v5, 3, v4
	global_load_dwordx2 v[6:7], v5, s[30:31]
	global_load_dwordx2 v[8:9], v5, s[48:49]
	v_mov_b32_e32 v5, 0
	v_lshl_add_u64 v[26:27], s[36:37], 0, v[4:5]
	s_waitcnt vmcnt(0)
	v_cmp_ne_u64_e32 vcc, v[6:7], v[8:9]
	s_nop 1
	v_cndmask_b32_e64 v47, 0, 1, vcc
.LBB67_37:
	s_or_b64 exec, exec, s[0:1]
	v_or_b32_e32 v4, 0x900, v0
	v_cmp_gt_u32_e64 s[12:13], s50, v4
	s_and_saveexec_b64 s[0:1], s[12:13]
	s_cbranch_execz .LBB67_39
; %bb.38:
	v_lshlrev_b32_e32 v5, 3, v4
	global_load_dwordx2 v[6:7], v5, s[30:31]
	global_load_dwordx2 v[8:9], v5, s[48:49]
	v_mov_b32_e32 v5, 0
	v_lshl_add_u64 v[10:11], s[36:37], 0, v[4:5]
	s_waitcnt vmcnt(0)
	v_cmp_ne_u64_e32 vcc, v[6:7], v[8:9]
	s_nop 1
	v_cndmask_b32_e64 v39, 0, 1, vcc
.LBB67_39:
	s_or_b64 exec, exec, s[0:1]
	v_or_b32_e32 v4, 0xa00, v0
	v_mov_b64_e32 v[8:9], 0
	v_cmp_gt_u32_e64 s[10:11], s50, v4
	v_mov_b32_e32 v38, 0
	v_mov_b64_e32 v[24:25], v[8:9]
	v_mov_b32_e32 v46, 0
	s_and_saveexec_b64 s[0:1], s[10:11]
	s_cbranch_execz .LBB67_41
; %bb.40:
	v_lshlrev_b32_e32 v5, 3, v4
	global_load_dwordx2 v[6:7], v5, s[30:31]
	global_load_dwordx2 v[20:21], v5, s[48:49]
	v_mov_b32_e32 v5, 0
	v_lshl_add_u64 v[24:25], s[36:37], 0, v[4:5]
	s_waitcnt vmcnt(0)
	v_cmp_ne_u64_e32 vcc, v[6:7], v[20:21]
	s_nop 1
	v_cndmask_b32_e64 v46, 0, 1, vcc
.LBB67_41:
	s_or_b64 exec, exec, s[0:1]
	v_or_b32_e32 v4, 0xb00, v0
	v_cmp_gt_u32_e64 s[8:9], s50, v4
	s_and_saveexec_b64 s[0:1], s[8:9]
	s_cbranch_execz .LBB67_43
; %bb.42:
	v_lshlrev_b32_e32 v5, 3, v4
	global_load_dwordx2 v[6:7], v5, s[30:31]
	global_load_dwordx2 v[20:21], v5, s[48:49]
	v_mov_b32_e32 v5, 0
	v_lshl_add_u64 v[8:9], s[36:37], 0, v[4:5]
	s_waitcnt vmcnt(0)
	v_cmp_ne_u64_e32 vcc, v[6:7], v[20:21]
	s_nop 1
	v_cndmask_b32_e64 v38, 0, 1, vcc
.LBB67_43:
	s_or_b64 exec, exec, s[0:1]
	v_or_b32_e32 v4, 0xc00, v0
	v_mov_b64_e32 v[6:7], 0
	v_cmp_gt_u32_e64 s[6:7], s50, v4
	v_mov_b32_e32 v37, 0
	v_mov_b32_e32 v45, 0
	v_mov_b64_e32 v[22:23], v[6:7]
	s_and_saveexec_b64 s[0:1], s[6:7]
	s_cbranch_execz .LBB67_45
; %bb.44:
	v_lshlrev_b32_e32 v5, 3, v4
	global_load_dwordx2 v[20:21], v5, s[30:31]
	global_load_dwordx2 v[34:35], v5, s[48:49]
	v_mov_b32_e32 v5, 0
	v_lshl_add_u64 v[22:23], s[36:37], 0, v[4:5]
	s_waitcnt vmcnt(0)
	v_cmp_ne_u64_e32 vcc, v[20:21], v[34:35]
	s_nop 1
	v_cndmask_b32_e64 v45, 0, 1, vcc
.LBB67_45:
	s_or_b64 exec, exec, s[0:1]
	v_or_b32_e32 v4, 0xd00, v0
	v_cmp_gt_u32_e64 s[4:5], s50, v4
	s_and_saveexec_b64 s[0:1], s[4:5]
	s_cbranch_execz .LBB67_47
; %bb.46:
	v_lshlrev_b32_e32 v5, 3, v4
	global_load_dwordx2 v[20:21], v5, s[30:31]
	global_load_dwordx2 v[34:35], v5, s[48:49]
	v_mov_b32_e32 v5, 0
	v_lshl_add_u64 v[6:7], s[36:37], 0, v[4:5]
	s_waitcnt vmcnt(0)
	v_cmp_ne_u64_e32 vcc, v[20:21], v[34:35]
	s_nop 1
	v_cndmask_b32_e64 v37, 0, 1, vcc
.LBB67_47:
	s_or_b64 exec, exec, s[0:1]
	v_or_b32_e32 v34, 0xe00, v0
	v_mov_b64_e32 v[4:5], 0
	v_cmp_gt_u32_e64 s[0:1], s50, v34
	v_mov_b32_e32 v36, 0
	v_mov_b32_e32 v44, 0
	v_mov_b64_e32 v[20:21], v[4:5]
	s_and_saveexec_b64 s[38:39], s[0:1]
	s_cbranch_execz .LBB67_49
; %bb.48:
	v_lshlrev_b32_e32 v20, 3, v34
	global_load_dwordx2 v[52:53], v20, s[30:31]
	global_load_dwordx2 v[54:55], v20, s[48:49]
	v_mov_b32_e32 v35, 0
	v_lshl_add_u64 v[20:21], s[36:37], 0, v[34:35]
	s_waitcnt vmcnt(0)
	v_cmp_ne_u64_e32 vcc, v[52:53], v[54:55]
	s_nop 1
	v_cndmask_b32_e64 v44, 0, 1, vcc
.LBB67_49:
	s_or_b64 exec, exec, s[38:39]
	v_or_b32_e32 v34, 0xf00, v0
	v_cmp_gt_u32_e32 vcc, s50, v34
	s_and_saveexec_b64 s[38:39], vcc
	s_cbranch_execnz .LBB67_90
; %bb.50:
	s_or_b64 exec, exec, s[38:39]
	s_and_saveexec_b64 s[36:37], s[28:29]
	s_cbranch_execnz .LBB67_91
.LBB67_51:
	s_or_b64 exec, exec, s[36:37]
	s_and_saveexec_b64 s[30:31], s[26:27]
	s_cbranch_execnz .LBB67_92
.LBB67_52:
	s_or_b64 exec, exec, s[30:31]
	s_and_saveexec_b64 s[28:29], s[24:25]
	s_cbranch_execnz .LBB67_93
.LBB67_53:
	s_or_b64 exec, exec, s[28:29]
	s_and_saveexec_b64 s[26:27], s[22:23]
	s_cbranch_execnz .LBB67_94
.LBB67_54:
	s_or_b64 exec, exec, s[26:27]
	s_and_saveexec_b64 s[24:25], s[20:21]
	s_cbranch_execnz .LBB67_95
.LBB67_55:
	s_or_b64 exec, exec, s[24:25]
	s_and_saveexec_b64 s[22:23], s[18:19]
	s_cbranch_execnz .LBB67_96
.LBB67_56:
	s_or_b64 exec, exec, s[22:23]
	s_and_saveexec_b64 s[20:21], s[16:17]
	s_cbranch_execnz .LBB67_97
.LBB67_57:
	s_or_b64 exec, exec, s[20:21]
	s_and_saveexec_b64 s[18:19], s[14:15]
	s_cbranch_execnz .LBB67_98
.LBB67_58:
	s_or_b64 exec, exec, s[18:19]
	s_and_saveexec_b64 s[16:17], s[12:13]
	s_cbranch_execnz .LBB67_99
.LBB67_59:
	s_or_b64 exec, exec, s[16:17]
	s_and_saveexec_b64 s[14:15], s[10:11]
	s_cbranch_execnz .LBB67_100
.LBB67_60:
	s_or_b64 exec, exec, s[14:15]
	s_and_saveexec_b64 s[12:13], s[8:9]
	s_cbranch_execnz .LBB67_101
.LBB67_61:
	s_or_b64 exec, exec, s[12:13]
	s_and_saveexec_b64 s[10:11], s[6:7]
	s_cbranch_execnz .LBB67_102
.LBB67_62:
	s_or_b64 exec, exec, s[10:11]
	s_and_saveexec_b64 s[8:9], s[4:5]
	s_cbranch_execnz .LBB67_103
.LBB67_63:
	s_or_b64 exec, exec, s[8:9]
	s_and_saveexec_b64 s[6:7], s[0:1]
	s_cbranch_execnz .LBB67_104
.LBB67_64:
	s_or_b64 exec, exec, s[6:7]
	s_and_saveexec_b64 s[4:5], vcc
	s_cbranch_execz .LBB67_66
.LBB67_65:
	v_and_b32_e32 v7, 1, v36
	v_cmp_lt_i64_e32 vcc, v[4:5], v[2:3]
	v_cmp_eq_u32_e64 s[0:1], 1, v7
	v_and_b32_e32 v6, 1, v1
	s_and_b64 vcc, s[0:1], vcc
	v_cndmask_b32_e64 v1, v1, 1, s[0:1]
	v_cndmask_b32_e32 v2, v2, v4, vcc
	v_cndmask_b32_e32 v3, v3, v5, vcc
	v_cmp_eq_u32_e32 vcc, 1, v6
	s_nop 1
	v_cndmask_b32_e32 v1, v36, v1, vcc
	v_cndmask_b32_e32 v3, v5, v3, vcc
	;; [unrolled: 1-line block ×3, first 2 shown]
.LBB67_66:
	s_or_b64 exec, exec, s[4:5]
	v_mbcnt_lo_u32_b32 v4, -1, 0
	v_mbcnt_hi_u32_b32 v6, -1, v4
	v_and_b32_e32 v8, 63, v6
	v_cmp_ne_u32_e32 vcc, 63, v8
	v_and_b32_e32 v7, 0xffff, v1
	s_min_u32 s6, s50, 0x100
	v_addc_co_u32_e32 v4, vcc, 0, v6, vcc
	v_lshlrev_b32_e32 v5, 2, v4
	ds_bpermute_b32 v11, v5, v7
	ds_bpermute_b32 v4, v5, v2
	;; [unrolled: 1-line block ×3, first 2 shown]
	v_and_b32_e32 v9, 0xc0, v0
	v_sub_u32_e64 v10, s6, v9 clamp
	v_add_u32_e32 v9, 1, v8
	v_cmp_lt_u32_e32 vcc, v9, v10
	v_mov_b32_e32 v9, v7
	s_and_saveexec_b64 s[0:1], vcc
	s_xor_b64 s[4:5], exec, s[0:1]
	s_cbranch_execz .LBB67_68
; %bb.67:
	s_waitcnt lgkmcnt(0)
	v_and_b32_e32 v9, 1, v11
	v_cmp_lt_i64_e32 vcc, v[4:5], v[2:3]
	v_cmp_eq_u32_e64 s[0:1], 1, v9
	v_and_b32_e32 v1, 1, v1
	s_and_b64 vcc, s[0:1], vcc
	v_cndmask_b32_e64 v7, v7, 1, s[0:1]
	v_cndmask_b32_e32 v2, v2, v4, vcc
	v_cndmask_b32_e32 v3, v3, v5, vcc
	v_cmp_eq_u32_e32 vcc, 1, v1
	s_nop 1
	v_cndmask_b32_e32 v9, v11, v7, vcc
	v_cndmask_b32_e32 v3, v5, v3, vcc
	;; [unrolled: 1-line block ×3, first 2 shown]
	v_and_b32_e32 v7, 0xff, v9
.LBB67_68:
	s_or_b64 exec, exec, s[4:5]
	v_cmp_gt_u32_e32 vcc, 62, v8
	s_waitcnt lgkmcnt(0)
	v_add_u32_e32 v11, 2, v8
	v_cndmask_b32_e64 v1, 0, 1, vcc
	v_lshlrev_b32_e32 v1, 1, v1
	v_add_lshl_u32 v5, v1, v6, 2
	ds_bpermute_b32 v1, v5, v7
	ds_bpermute_b32 v4, v5, v2
	ds_bpermute_b32 v5, v5, v3
	v_cmp_lt_u32_e32 vcc, v11, v10
	s_and_saveexec_b64 s[4:5], vcc
	s_cbranch_execz .LBB67_70
; %bb.69:
	s_waitcnt lgkmcnt(2)
	v_and_b32_e32 v11, 1, v1
	s_waitcnt lgkmcnt(0)
	v_cmp_lt_i64_e32 vcc, v[4:5], v[2:3]
	v_cmp_eq_u32_e64 s[0:1], 1, v11
	v_and_b32_e32 v7, 1, v9
	s_and_b64 vcc, s[0:1], vcc
	v_cndmask_b32_e64 v9, v9, 1, s[0:1]
	v_cndmask_b32_e32 v2, v2, v4, vcc
	v_cndmask_b32_e32 v3, v3, v5, vcc
	v_cmp_eq_u32_e32 vcc, 1, v7
	s_nop 1
	v_cndmask_b32_e32 v9, v1, v9, vcc
	v_cndmask_b32_e32 v3, v5, v3, vcc
	v_cndmask_b32_e32 v2, v4, v2, vcc
	v_and_b32_e32 v7, 0xff, v9
.LBB67_70:
	s_or_b64 exec, exec, s[4:5]
	v_cmp_gt_u32_e32 vcc, 60, v8
	v_add_u32_e32 v11, 4, v8
	s_waitcnt lgkmcnt(2)
	v_cndmask_b32_e64 v1, 0, 1, vcc
	v_lshlrev_b32_e32 v1, 2, v1
	s_waitcnt lgkmcnt(0)
	v_add_lshl_u32 v5, v1, v6, 2
	ds_bpermute_b32 v1, v5, v7
	ds_bpermute_b32 v4, v5, v2
	ds_bpermute_b32 v5, v5, v3
	v_cmp_lt_u32_e32 vcc, v11, v10
	s_and_saveexec_b64 s[4:5], vcc
	s_cbranch_execz .LBB67_72
; %bb.71:
	s_waitcnt lgkmcnt(2)
	v_and_b32_e32 v11, 1, v1
	s_waitcnt lgkmcnt(0)
	v_cmp_lt_i64_e32 vcc, v[4:5], v[2:3]
	v_cmp_eq_u32_e64 s[0:1], 1, v11
	v_and_b32_e32 v7, 1, v9
	s_and_b64 vcc, s[0:1], vcc
	v_cndmask_b32_e64 v9, v9, 1, s[0:1]
	v_cndmask_b32_e32 v2, v2, v4, vcc
	v_cndmask_b32_e32 v3, v3, v5, vcc
	v_cmp_eq_u32_e32 vcc, 1, v7
	s_nop 1
	v_cndmask_b32_e32 v9, v1, v9, vcc
	v_cndmask_b32_e32 v3, v5, v3, vcc
	v_cndmask_b32_e32 v2, v4, v2, vcc
	v_and_b32_e32 v7, 0xff, v9
.LBB67_72:
	s_or_b64 exec, exec, s[4:5]
	v_cmp_gt_u32_e32 vcc, 56, v8
	v_add_u32_e32 v11, 8, v8
	s_waitcnt lgkmcnt(2)
	v_cndmask_b32_e64 v1, 0, 1, vcc
	v_lshlrev_b32_e32 v1, 3, v1
	s_waitcnt lgkmcnt(0)
	;; [unrolled: 32-line block ×4, first 2 shown]
	v_add_lshl_u32 v5, v1, v6, 2
	ds_bpermute_b32 v1, v5, v7
	ds_bpermute_b32 v4, v5, v2
	;; [unrolled: 1-line block ×3, first 2 shown]
	v_cmp_lt_u32_e32 vcc, v8, v10
	s_and_saveexec_b64 s[4:5], vcc
	s_cbranch_execz .LBB67_78
; %bb.77:
	s_waitcnt lgkmcnt(2)
	v_and_b32_e32 v8, 1, v1
	s_waitcnt lgkmcnt(0)
	v_cmp_lt_i64_e32 vcc, v[4:5], v[2:3]
	v_cmp_eq_u32_e64 s[0:1], 1, v8
	v_and_b32_e32 v7, 1, v9
	s_and_b64 vcc, s[0:1], vcc
	v_cndmask_b32_e64 v8, v9, 1, s[0:1]
	v_cndmask_b32_e32 v2, v2, v4, vcc
	v_cndmask_b32_e32 v3, v3, v5, vcc
	v_cmp_eq_u32_e32 vcc, 1, v7
	s_nop 1
	v_cndmask_b32_e32 v9, v1, v8, vcc
	v_cndmask_b32_e32 v3, v5, v3, vcc
	;; [unrolled: 1-line block ×3, first 2 shown]
	v_and_b32_e32 v7, 0xff, v9
.LBB67_78:
	s_or_b64 exec, exec, s[4:5]
	v_cmp_eq_u32_e32 vcc, 0, v6
	s_and_saveexec_b64 s[0:1], vcc
	s_cbranch_execz .LBB67_80
; %bb.79:
	s_waitcnt lgkmcnt(2)
	v_lshrrev_b32_e32 v1, 2, v0
	v_and_b32_e32 v1, 48, v1
	ds_write_b8 v1, v9 offset:64
	ds_write_b64 v1, v[2:3] offset:72
.LBB67_80:
	s_or_b64 exec, exec, s[0:1]
	v_cmp_gt_u32_e32 vcc, 4, v0
	s_waitcnt lgkmcnt(0)
	s_barrier
	s_and_saveexec_b64 s[4:5], vcc
	s_cbranch_execz .LBB67_86
; %bb.81:
	v_lshlrev_b32_e32 v2, 4, v6
	ds_read_u8 v1, v2 offset:64
	ds_read_b64 v[2:3], v2 offset:72
	v_and_b32_e32 v8, 3, v6
	v_cmp_ne_u32_e32 vcc, 3, v8
	s_add_i32 s6, s6, 63
	s_waitcnt lgkmcnt(1)
	v_and_b32_e32 v7, 0xff, v1
	v_addc_co_u32_e32 v4, vcc, 0, v6, vcc
	v_lshlrev_b32_e32 v5, 2, v4
	ds_bpermute_b32 v9, v5, v7
	s_waitcnt lgkmcnt(1)
	ds_bpermute_b32 v4, v5, v2
	ds_bpermute_b32 v5, v5, v3
	s_lshr_b32 s8, s6, 6
	v_add_u32_e32 v10, 1, v8
	v_cmp_gt_u32_e32 vcc, s8, v10
	s_and_saveexec_b64 s[6:7], vcc
	s_cbranch_execz .LBB67_83
; %bb.82:
	s_waitcnt lgkmcnt(2)
	v_and_b32_e32 v10, 1, v9
	s_waitcnt lgkmcnt(0)
	v_cmp_lt_i64_e32 vcc, v[4:5], v[2:3]
	v_cmp_eq_u32_e64 s[0:1], 1, v10
	v_and_b32_e32 v7, 1, v1
	s_and_b64 vcc, s[0:1], vcc
	v_cndmask_b32_e64 v1, v1, 1, s[0:1]
	v_cndmask_b32_e32 v2, v2, v4, vcc
	v_cndmask_b32_e32 v3, v3, v5, vcc
	v_cmp_eq_u32_e32 vcc, 1, v7
	s_nop 1
	v_cndmask_b32_e32 v1, v9, v1, vcc
	v_cndmask_b32_e32 v3, v5, v3, vcc
	;; [unrolled: 1-line block ×3, first 2 shown]
	v_and_b32_e32 v7, 0xff, v1
.LBB67_83:
	s_or_b64 exec, exec, s[6:7]
	v_cmp_gt_u32_e32 vcc, 2, v8
	v_add_u32_e32 v8, 2, v8
	s_waitcnt lgkmcnt(1)
	v_cndmask_b32_e64 v4, 0, 1, vcc
	v_lshlrev_b32_e32 v4, 1, v4
	s_waitcnt lgkmcnt(0)
	v_add_lshl_u32 v5, v4, v6, 2
	ds_bpermute_b32 v6, v5, v7
	ds_bpermute_b32 v4, v5, v2
	;; [unrolled: 1-line block ×3, first 2 shown]
	v_cmp_gt_u32_e32 vcc, s8, v8
	s_and_saveexec_b64 s[6:7], vcc
	s_cbranch_execz .LBB67_85
; %bb.84:
	s_waitcnt lgkmcnt(2)
	v_and_b32_e32 v8, 1, v6
	s_waitcnt lgkmcnt(0)
	v_cmp_lt_i64_e32 vcc, v[4:5], v[2:3]
	v_cmp_eq_u32_e64 s[0:1], 1, v8
	v_and_b32_e32 v7, 1, v1
	s_and_b64 vcc, s[0:1], vcc
	v_cndmask_b32_e64 v1, v1, 1, s[0:1]
	v_cndmask_b32_e32 v2, v2, v4, vcc
	v_cndmask_b32_e32 v3, v3, v5, vcc
	v_cmp_eq_u32_e32 vcc, 1, v7
	s_nop 1
	v_cndmask_b32_e32 v1, v6, v1, vcc
	v_cndmask_b32_e32 v3, v5, v3, vcc
	;; [unrolled: 1-line block ×3, first 2 shown]
	v_and_b32_e32 v7, 0xff, v1
.LBB67_85:
	s_or_b64 exec, exec, s[6:7]
.LBB67_86:
	s_or_b64 exec, exec, s[4:5]
.LBB67_87:
	v_cmp_eq_u32_e32 vcc, 0, v0
	s_and_saveexec_b64 s[0:1], vcc
	s_cbranch_execnz .LBB67_89
; %bb.88:
	s_endpgm
.LBB67_89:
	s_mul_i32 s0, s46, s45
	s_mul_hi_u32 s1, s46, s44
	s_add_i32 s0, s1, s0
	s_mul_i32 s1, s47, s44
	s_add_i32 s1, s0, s1
	s_mul_i32 s0, s46, s44
	s_lshl_b64 s[0:1], s[0:1], 4
	s_add_u32 s4, s42, s0
	s_addc_u32 s5, s43, s1
	s_cmp_eq_u64 s[40:41], 0
	s_waitcnt lgkmcnt(0)
	v_mov_b32_e32 v0, s35
	s_cselect_b64 vcc, -1, 0
	v_cndmask_b32_e32 v1, v3, v0, vcc
	v_mov_b32_e32 v0, s34
	s_lshl_b64 s[0:1], s[2:3], 4
	v_cndmask_b32_e32 v0, v2, v0, vcc
	v_mov_b32_e32 v2, s33
	s_add_u32 s0, s4, s0
	v_cndmask_b32_e32 v2, v7, v2, vcc
	s_addc_u32 s1, s5, s1
	v_mov_b32_e32 v3, 0
	global_store_byte v3, v2, s[0:1]
	global_store_dwordx2 v3, v[0:1], s[0:1] offset:8
	s_endpgm
.LBB67_90:
	v_lshlrev_b32_e32 v4, 3, v34
	global_load_dwordx2 v[52:53], v4, s[30:31]
	global_load_dwordx2 v[54:55], v4, s[48:49]
	v_mov_b32_e32 v35, 0
	v_lshl_add_u64 v[4:5], s[36:37], 0, v[34:35]
	s_waitcnt vmcnt(0)
	v_cmp_ne_u64_e64 s[30:31], v[52:53], v[54:55]
	s_nop 1
	v_cndmask_b32_e64 v36, 0, 1, s[30:31]
	s_or_b64 exec, exec, s[38:39]
	s_and_saveexec_b64 s[36:37], s[28:29]
	s_cbranch_execz .LBB67_51
.LBB67_91:
	v_and_b32_e32 v35, 1, v43
	v_cmp_lt_i64_e64 s[28:29], v[18:19], v[2:3]
	v_cmp_eq_u32_e64 s[30:31], 1, v35
	v_and_b32_e32 v34, 1, v1
	s_and_b64 s[28:29], s[30:31], s[28:29]
	v_cndmask_b32_e64 v1, v1, 1, s[30:31]
	v_cndmask_b32_e64 v2, v2, v18, s[28:29]
	;; [unrolled: 1-line block ×3, first 2 shown]
	v_cmp_eq_u32_e64 s[28:29], 1, v34
	s_nop 1
	v_cndmask_b32_e64 v1, v43, v1, s[28:29]
	v_cndmask_b32_e64 v3, v19, v3, s[28:29]
	;; [unrolled: 1-line block ×3, first 2 shown]
	s_or_b64 exec, exec, s[36:37]
	s_and_saveexec_b64 s[30:31], s[26:27]
	s_cbranch_execz .LBB67_52
.LBB67_92:
	v_and_b32_e32 v19, 1, v50
	v_cmp_lt_i64_e64 s[26:27], v[32:33], v[2:3]
	v_cmp_eq_u32_e64 s[28:29], 1, v19
	v_and_b32_e32 v18, 1, v1
	s_and_b64 s[26:27], s[28:29], s[26:27]
	v_cndmask_b32_e64 v1, v1, 1, s[28:29]
	v_cndmask_b32_e64 v2, v2, v32, s[26:27]
	;; [unrolled: 1-line block ×3, first 2 shown]
	v_cmp_eq_u32_e64 s[26:27], 1, v18
	s_nop 1
	v_cndmask_b32_e64 v1, v50, v1, s[26:27]
	v_cndmask_b32_e64 v3, v33, v3, s[26:27]
	;; [unrolled: 1-line block ×3, first 2 shown]
	s_or_b64 exec, exec, s[30:31]
	s_and_saveexec_b64 s[28:29], s[24:25]
	s_cbranch_execz .LBB67_53
.LBB67_93:
	v_and_b32_e32 v19, 1, v42
	v_cmp_lt_i64_e64 s[24:25], v[16:17], v[2:3]
	v_cmp_eq_u32_e64 s[26:27], 1, v19
	v_and_b32_e32 v18, 1, v1
	s_and_b64 s[24:25], s[26:27], s[24:25]
	v_cndmask_b32_e64 v1, v1, 1, s[26:27]
	v_cndmask_b32_e64 v2, v2, v16, s[24:25]
	;; [unrolled: 1-line block ×3, first 2 shown]
	v_cmp_eq_u32_e64 s[24:25], 1, v18
	s_nop 1
	v_cndmask_b32_e64 v1, v42, v1, s[24:25]
	v_cndmask_b32_e64 v3, v17, v3, s[24:25]
	v_cndmask_b32_e64 v2, v16, v2, s[24:25]
	s_or_b64 exec, exec, s[28:29]
	s_and_saveexec_b64 s[26:27], s[22:23]
	s_cbranch_execz .LBB67_54
.LBB67_94:
	v_and_b32_e32 v17, 1, v49
	v_cmp_lt_i64_e64 s[22:23], v[30:31], v[2:3]
	v_cmp_eq_u32_e64 s[24:25], 1, v17
	v_and_b32_e32 v16, 1, v1
	s_and_b64 s[22:23], s[24:25], s[22:23]
	v_cndmask_b32_e64 v1, v1, 1, s[24:25]
	v_cndmask_b32_e64 v2, v2, v30, s[22:23]
	;; [unrolled: 1-line block ×3, first 2 shown]
	v_cmp_eq_u32_e64 s[22:23], 1, v16
	s_nop 1
	v_cndmask_b32_e64 v1, v49, v1, s[22:23]
	v_cndmask_b32_e64 v3, v31, v3, s[22:23]
	;; [unrolled: 1-line block ×3, first 2 shown]
	s_or_b64 exec, exec, s[26:27]
	s_and_saveexec_b64 s[24:25], s[20:21]
	s_cbranch_execz .LBB67_55
.LBB67_95:
	v_and_b32_e32 v17, 1, v41
	v_cmp_lt_i64_e64 s[20:21], v[14:15], v[2:3]
	v_cmp_eq_u32_e64 s[22:23], 1, v17
	v_and_b32_e32 v16, 1, v1
	s_and_b64 s[20:21], s[22:23], s[20:21]
	v_cndmask_b32_e64 v1, v1, 1, s[22:23]
	v_cndmask_b32_e64 v2, v2, v14, s[20:21]
	;; [unrolled: 1-line block ×3, first 2 shown]
	v_cmp_eq_u32_e64 s[20:21], 1, v16
	s_nop 1
	v_cndmask_b32_e64 v1, v41, v1, s[20:21]
	v_cndmask_b32_e64 v3, v15, v3, s[20:21]
	;; [unrolled: 1-line block ×3, first 2 shown]
	s_or_b64 exec, exec, s[24:25]
	s_and_saveexec_b64 s[22:23], s[18:19]
	s_cbranch_execz .LBB67_56
.LBB67_96:
	v_and_b32_e32 v15, 1, v48
	v_cmp_lt_i64_e64 s[18:19], v[28:29], v[2:3]
	v_cmp_eq_u32_e64 s[20:21], 1, v15
	v_and_b32_e32 v14, 1, v1
	s_and_b64 s[18:19], s[20:21], s[18:19]
	v_cndmask_b32_e64 v1, v1, 1, s[20:21]
	v_cndmask_b32_e64 v2, v2, v28, s[18:19]
	;; [unrolled: 1-line block ×3, first 2 shown]
	v_cmp_eq_u32_e64 s[18:19], 1, v14
	s_nop 1
	v_cndmask_b32_e64 v1, v48, v1, s[18:19]
	v_cndmask_b32_e64 v3, v29, v3, s[18:19]
	;; [unrolled: 1-line block ×3, first 2 shown]
	s_or_b64 exec, exec, s[22:23]
	s_and_saveexec_b64 s[20:21], s[16:17]
	s_cbranch_execz .LBB67_57
.LBB67_97:
	v_and_b32_e32 v15, 1, v40
	v_cmp_lt_i64_e64 s[16:17], v[12:13], v[2:3]
	v_cmp_eq_u32_e64 s[18:19], 1, v15
	v_and_b32_e32 v14, 1, v1
	s_and_b64 s[16:17], s[18:19], s[16:17]
	v_cndmask_b32_e64 v1, v1, 1, s[18:19]
	v_cndmask_b32_e64 v2, v2, v12, s[16:17]
	;; [unrolled: 1-line block ×3, first 2 shown]
	v_cmp_eq_u32_e64 s[16:17], 1, v14
	s_nop 1
	v_cndmask_b32_e64 v1, v40, v1, s[16:17]
	v_cndmask_b32_e64 v3, v13, v3, s[16:17]
	;; [unrolled: 1-line block ×3, first 2 shown]
	s_or_b64 exec, exec, s[20:21]
	s_and_saveexec_b64 s[18:19], s[14:15]
	s_cbranch_execz .LBB67_58
.LBB67_98:
	v_and_b32_e32 v13, 1, v47
	v_cmp_lt_i64_e64 s[14:15], v[26:27], v[2:3]
	v_cmp_eq_u32_e64 s[16:17], 1, v13
	v_and_b32_e32 v12, 1, v1
	s_and_b64 s[14:15], s[16:17], s[14:15]
	v_cndmask_b32_e64 v1, v1, 1, s[16:17]
	v_cndmask_b32_e64 v2, v2, v26, s[14:15]
	;; [unrolled: 1-line block ×3, first 2 shown]
	v_cmp_eq_u32_e64 s[14:15], 1, v12
	s_nop 1
	v_cndmask_b32_e64 v1, v47, v1, s[14:15]
	v_cndmask_b32_e64 v3, v27, v3, s[14:15]
	;; [unrolled: 1-line block ×3, first 2 shown]
	s_or_b64 exec, exec, s[18:19]
	s_and_saveexec_b64 s[16:17], s[12:13]
	s_cbranch_execz .LBB67_59
.LBB67_99:
	v_and_b32_e32 v13, 1, v39
	v_cmp_lt_i64_e64 s[12:13], v[10:11], v[2:3]
	v_cmp_eq_u32_e64 s[14:15], 1, v13
	v_and_b32_e32 v12, 1, v1
	s_and_b64 s[12:13], s[14:15], s[12:13]
	v_cndmask_b32_e64 v1, v1, 1, s[14:15]
	v_cndmask_b32_e64 v2, v2, v10, s[12:13]
	;; [unrolled: 1-line block ×3, first 2 shown]
	v_cmp_eq_u32_e64 s[12:13], 1, v12
	s_nop 1
	v_cndmask_b32_e64 v1, v39, v1, s[12:13]
	v_cndmask_b32_e64 v3, v11, v3, s[12:13]
	;; [unrolled: 1-line block ×3, first 2 shown]
	s_or_b64 exec, exec, s[16:17]
	s_and_saveexec_b64 s[14:15], s[10:11]
	s_cbranch_execz .LBB67_60
.LBB67_100:
	v_and_b32_e32 v11, 1, v46
	v_cmp_lt_i64_e64 s[10:11], v[24:25], v[2:3]
	v_cmp_eq_u32_e64 s[12:13], 1, v11
	v_and_b32_e32 v10, 1, v1
	s_and_b64 s[10:11], s[12:13], s[10:11]
	v_cndmask_b32_e64 v1, v1, 1, s[12:13]
	v_cndmask_b32_e64 v2, v2, v24, s[10:11]
	;; [unrolled: 1-line block ×3, first 2 shown]
	v_cmp_eq_u32_e64 s[10:11], 1, v10
	s_nop 1
	v_cndmask_b32_e64 v1, v46, v1, s[10:11]
	v_cndmask_b32_e64 v3, v25, v3, s[10:11]
	;; [unrolled: 1-line block ×3, first 2 shown]
	s_or_b64 exec, exec, s[14:15]
	s_and_saveexec_b64 s[12:13], s[8:9]
	s_cbranch_execz .LBB67_61
.LBB67_101:
	v_and_b32_e32 v11, 1, v38
	v_cmp_lt_i64_e64 s[8:9], v[8:9], v[2:3]
	v_cmp_eq_u32_e64 s[10:11], 1, v11
	v_and_b32_e32 v10, 1, v1
	s_and_b64 s[8:9], s[10:11], s[8:9]
	v_cndmask_b32_e64 v1, v1, 1, s[10:11]
	v_cndmask_b32_e64 v2, v2, v8, s[8:9]
	;; [unrolled: 1-line block ×3, first 2 shown]
	v_cmp_eq_u32_e64 s[8:9], 1, v10
	s_nop 1
	v_cndmask_b32_e64 v1, v38, v1, s[8:9]
	v_cndmask_b32_e64 v3, v9, v3, s[8:9]
	;; [unrolled: 1-line block ×3, first 2 shown]
	s_or_b64 exec, exec, s[12:13]
	s_and_saveexec_b64 s[10:11], s[6:7]
	s_cbranch_execz .LBB67_62
.LBB67_102:
	v_and_b32_e32 v9, 1, v45
	v_cmp_lt_i64_e64 s[6:7], v[22:23], v[2:3]
	v_cmp_eq_u32_e64 s[8:9], 1, v9
	v_and_b32_e32 v8, 1, v1
	s_and_b64 s[6:7], s[8:9], s[6:7]
	v_cndmask_b32_e64 v1, v1, 1, s[8:9]
	v_cndmask_b32_e64 v2, v2, v22, s[6:7]
	v_cndmask_b32_e64 v3, v3, v23, s[6:7]
	v_cmp_eq_u32_e64 s[6:7], 1, v8
	s_nop 1
	v_cndmask_b32_e64 v1, v45, v1, s[6:7]
	v_cndmask_b32_e64 v3, v23, v3, s[6:7]
	;; [unrolled: 1-line block ×3, first 2 shown]
	s_or_b64 exec, exec, s[10:11]
	s_and_saveexec_b64 s[8:9], s[4:5]
	s_cbranch_execz .LBB67_63
.LBB67_103:
	v_and_b32_e32 v9, 1, v37
	v_cmp_lt_i64_e64 s[4:5], v[6:7], v[2:3]
	v_cmp_eq_u32_e64 s[6:7], 1, v9
	v_and_b32_e32 v8, 1, v1
	s_and_b64 s[4:5], s[6:7], s[4:5]
	v_cndmask_b32_e64 v1, v1, 1, s[6:7]
	v_cndmask_b32_e64 v2, v2, v6, s[4:5]
	;; [unrolled: 1-line block ×3, first 2 shown]
	v_cmp_eq_u32_e64 s[4:5], 1, v8
	s_nop 1
	v_cndmask_b32_e64 v1, v37, v1, s[4:5]
	v_cndmask_b32_e64 v3, v7, v3, s[4:5]
	;; [unrolled: 1-line block ×3, first 2 shown]
	s_or_b64 exec, exec, s[8:9]
	s_and_saveexec_b64 s[6:7], s[0:1]
	s_cbranch_execz .LBB67_64
.LBB67_104:
	v_and_b32_e32 v7, 1, v44
	v_cmp_lt_i64_e64 s[0:1], v[20:21], v[2:3]
	v_cmp_eq_u32_e64 s[4:5], 1, v7
	v_and_b32_e32 v6, 1, v1
	s_and_b64 s[0:1], s[4:5], s[0:1]
	v_cndmask_b32_e64 v1, v1, 1, s[4:5]
	v_cndmask_b32_e64 v2, v2, v20, s[0:1]
	;; [unrolled: 1-line block ×3, first 2 shown]
	v_cmp_eq_u32_e64 s[0:1], 1, v6
	s_nop 1
	v_cndmask_b32_e64 v1, v44, v1, s[0:1]
	v_cndmask_b32_e64 v3, v21, v3, s[0:1]
	;; [unrolled: 1-line block ×3, first 2 shown]
	s_or_b64 exec, exec, s[6:7]
	s_and_saveexec_b64 s[4:5], vcc
	s_cbranch_execnz .LBB67_65
	s_branch .LBB67_66
	.section	.rodata,"a",@progbits
	.p2align	6, 0x0
	.amdhsa_kernel _ZN7rocprim17ROCPRIM_400000_NS6detail17trampoline_kernelINS0_14default_configENS1_22reduce_config_selectorIN6thrust23THRUST_200600_302600_NS5tupleIblNS6_9null_typeES8_S8_S8_S8_S8_S8_S8_EEEEZNS1_11reduce_implILb1ES3_NS6_12zip_iteratorINS7_INS6_11hip_rocprim26transform_input_iterator_tIbNSD_35transform_pair_of_input_iterators_tIbNS6_6detail15normal_iteratorINS6_10device_ptrIKxEEEESL_NS6_8equal_toIxEEEENSG_9not_fun_tINSD_8identityEEEEENSD_19counting_iterator_tIlEES8_S8_S8_S8_S8_S8_S8_S8_EEEEPS9_S9_NSD_9__find_if7functorIS9_EEEE10hipError_tPvRmT1_T2_T3_mT4_P12ihipStream_tbEUlT_E0_NS1_11comp_targetILNS1_3genE5ELNS1_11target_archE942ELNS1_3gpuE9ELNS1_3repE0EEENS1_30default_config_static_selectorELNS0_4arch9wavefront6targetE1EEEvS14_
		.amdhsa_group_segment_fixed_size 128
		.amdhsa_private_segment_fixed_size 0
		.amdhsa_kernarg_size 104
		.amdhsa_user_sgpr_count 2
		.amdhsa_user_sgpr_dispatch_ptr 0
		.amdhsa_user_sgpr_queue_ptr 0
		.amdhsa_user_sgpr_kernarg_segment_ptr 1
		.amdhsa_user_sgpr_dispatch_id 0
		.amdhsa_user_sgpr_kernarg_preload_length 0
		.amdhsa_user_sgpr_kernarg_preload_offset 0
		.amdhsa_user_sgpr_private_segment_size 0
		.amdhsa_uses_dynamic_stack 0
		.amdhsa_enable_private_segment 0
		.amdhsa_system_sgpr_workgroup_id_x 1
		.amdhsa_system_sgpr_workgroup_id_y 0
		.amdhsa_system_sgpr_workgroup_id_z 0
		.amdhsa_system_sgpr_workgroup_info 0
		.amdhsa_system_vgpr_workitem_id 0
		.amdhsa_next_free_vgpr 64
		.amdhsa_next_free_sgpr 51
		.amdhsa_accum_offset 64
		.amdhsa_reserve_vcc 1
		.amdhsa_float_round_mode_32 0
		.amdhsa_float_round_mode_16_64 0
		.amdhsa_float_denorm_mode_32 3
		.amdhsa_float_denorm_mode_16_64 3
		.amdhsa_dx10_clamp 1
		.amdhsa_ieee_mode 1
		.amdhsa_fp16_overflow 0
		.amdhsa_tg_split 0
		.amdhsa_exception_fp_ieee_invalid_op 0
		.amdhsa_exception_fp_denorm_src 0
		.amdhsa_exception_fp_ieee_div_zero 0
		.amdhsa_exception_fp_ieee_overflow 0
		.amdhsa_exception_fp_ieee_underflow 0
		.amdhsa_exception_fp_ieee_inexact 0
		.amdhsa_exception_int_div_zero 0
	.end_amdhsa_kernel
	.section	.text._ZN7rocprim17ROCPRIM_400000_NS6detail17trampoline_kernelINS0_14default_configENS1_22reduce_config_selectorIN6thrust23THRUST_200600_302600_NS5tupleIblNS6_9null_typeES8_S8_S8_S8_S8_S8_S8_EEEEZNS1_11reduce_implILb1ES3_NS6_12zip_iteratorINS7_INS6_11hip_rocprim26transform_input_iterator_tIbNSD_35transform_pair_of_input_iterators_tIbNS6_6detail15normal_iteratorINS6_10device_ptrIKxEEEESL_NS6_8equal_toIxEEEENSG_9not_fun_tINSD_8identityEEEEENSD_19counting_iterator_tIlEES8_S8_S8_S8_S8_S8_S8_S8_EEEEPS9_S9_NSD_9__find_if7functorIS9_EEEE10hipError_tPvRmT1_T2_T3_mT4_P12ihipStream_tbEUlT_E0_NS1_11comp_targetILNS1_3genE5ELNS1_11target_archE942ELNS1_3gpuE9ELNS1_3repE0EEENS1_30default_config_static_selectorELNS0_4arch9wavefront6targetE1EEEvS14_,"axG",@progbits,_ZN7rocprim17ROCPRIM_400000_NS6detail17trampoline_kernelINS0_14default_configENS1_22reduce_config_selectorIN6thrust23THRUST_200600_302600_NS5tupleIblNS6_9null_typeES8_S8_S8_S8_S8_S8_S8_EEEEZNS1_11reduce_implILb1ES3_NS6_12zip_iteratorINS7_INS6_11hip_rocprim26transform_input_iterator_tIbNSD_35transform_pair_of_input_iterators_tIbNS6_6detail15normal_iteratorINS6_10device_ptrIKxEEEESL_NS6_8equal_toIxEEEENSG_9not_fun_tINSD_8identityEEEEENSD_19counting_iterator_tIlEES8_S8_S8_S8_S8_S8_S8_S8_EEEEPS9_S9_NSD_9__find_if7functorIS9_EEEE10hipError_tPvRmT1_T2_T3_mT4_P12ihipStream_tbEUlT_E0_NS1_11comp_targetILNS1_3genE5ELNS1_11target_archE942ELNS1_3gpuE9ELNS1_3repE0EEENS1_30default_config_static_selectorELNS0_4arch9wavefront6targetE1EEEvS14_,comdat
.Lfunc_end67:
	.size	_ZN7rocprim17ROCPRIM_400000_NS6detail17trampoline_kernelINS0_14default_configENS1_22reduce_config_selectorIN6thrust23THRUST_200600_302600_NS5tupleIblNS6_9null_typeES8_S8_S8_S8_S8_S8_S8_EEEEZNS1_11reduce_implILb1ES3_NS6_12zip_iteratorINS7_INS6_11hip_rocprim26transform_input_iterator_tIbNSD_35transform_pair_of_input_iterators_tIbNS6_6detail15normal_iteratorINS6_10device_ptrIKxEEEESL_NS6_8equal_toIxEEEENSG_9not_fun_tINSD_8identityEEEEENSD_19counting_iterator_tIlEES8_S8_S8_S8_S8_S8_S8_S8_EEEEPS9_S9_NSD_9__find_if7functorIS9_EEEE10hipError_tPvRmT1_T2_T3_mT4_P12ihipStream_tbEUlT_E0_NS1_11comp_targetILNS1_3genE5ELNS1_11target_archE942ELNS1_3gpuE9ELNS1_3repE0EEENS1_30default_config_static_selectorELNS0_4arch9wavefront6targetE1EEEvS14_, .Lfunc_end67-_ZN7rocprim17ROCPRIM_400000_NS6detail17trampoline_kernelINS0_14default_configENS1_22reduce_config_selectorIN6thrust23THRUST_200600_302600_NS5tupleIblNS6_9null_typeES8_S8_S8_S8_S8_S8_S8_EEEEZNS1_11reduce_implILb1ES3_NS6_12zip_iteratorINS7_INS6_11hip_rocprim26transform_input_iterator_tIbNSD_35transform_pair_of_input_iterators_tIbNS6_6detail15normal_iteratorINS6_10device_ptrIKxEEEESL_NS6_8equal_toIxEEEENSG_9not_fun_tINSD_8identityEEEEENSD_19counting_iterator_tIlEES8_S8_S8_S8_S8_S8_S8_S8_EEEEPS9_S9_NSD_9__find_if7functorIS9_EEEE10hipError_tPvRmT1_T2_T3_mT4_P12ihipStream_tbEUlT_E0_NS1_11comp_targetILNS1_3genE5ELNS1_11target_archE942ELNS1_3gpuE9ELNS1_3repE0EEENS1_30default_config_static_selectorELNS0_4arch9wavefront6targetE1EEEvS14_
                                        ; -- End function
	.section	.AMDGPU.csdata,"",@progbits
; Kernel info:
; codeLenInByte = 6680
; NumSgprs: 57
; NumVgprs: 64
; NumAgprs: 0
; TotalNumVgprs: 64
; ScratchSize: 0
; MemoryBound: 0
; FloatMode: 240
; IeeeMode: 1
; LDSByteSize: 128 bytes/workgroup (compile time only)
; SGPRBlocks: 7
; VGPRBlocks: 7
; NumSGPRsForWavesPerEU: 57
; NumVGPRsForWavesPerEU: 64
; AccumOffset: 64
; Occupancy: 8
; WaveLimiterHint : 0
; COMPUTE_PGM_RSRC2:SCRATCH_EN: 0
; COMPUTE_PGM_RSRC2:USER_SGPR: 2
; COMPUTE_PGM_RSRC2:TRAP_HANDLER: 0
; COMPUTE_PGM_RSRC2:TGID_X_EN: 1
; COMPUTE_PGM_RSRC2:TGID_Y_EN: 0
; COMPUTE_PGM_RSRC2:TGID_Z_EN: 0
; COMPUTE_PGM_RSRC2:TIDIG_COMP_CNT: 0
; COMPUTE_PGM_RSRC3_GFX90A:ACCUM_OFFSET: 15
; COMPUTE_PGM_RSRC3_GFX90A:TG_SPLIT: 0
	.section	.text._ZN7rocprim17ROCPRIM_400000_NS6detail17trampoline_kernelINS0_14default_configENS1_22reduce_config_selectorIN6thrust23THRUST_200600_302600_NS5tupleIblNS6_9null_typeES8_S8_S8_S8_S8_S8_S8_EEEEZNS1_11reduce_implILb1ES3_NS6_12zip_iteratorINS7_INS6_11hip_rocprim26transform_input_iterator_tIbNSD_35transform_pair_of_input_iterators_tIbNS6_6detail15normal_iteratorINS6_10device_ptrIKxEEEESL_NS6_8equal_toIxEEEENSG_9not_fun_tINSD_8identityEEEEENSD_19counting_iterator_tIlEES8_S8_S8_S8_S8_S8_S8_S8_EEEEPS9_S9_NSD_9__find_if7functorIS9_EEEE10hipError_tPvRmT1_T2_T3_mT4_P12ihipStream_tbEUlT_E0_NS1_11comp_targetILNS1_3genE4ELNS1_11target_archE910ELNS1_3gpuE8ELNS1_3repE0EEENS1_30default_config_static_selectorELNS0_4arch9wavefront6targetE1EEEvS14_,"axG",@progbits,_ZN7rocprim17ROCPRIM_400000_NS6detail17trampoline_kernelINS0_14default_configENS1_22reduce_config_selectorIN6thrust23THRUST_200600_302600_NS5tupleIblNS6_9null_typeES8_S8_S8_S8_S8_S8_S8_EEEEZNS1_11reduce_implILb1ES3_NS6_12zip_iteratorINS7_INS6_11hip_rocprim26transform_input_iterator_tIbNSD_35transform_pair_of_input_iterators_tIbNS6_6detail15normal_iteratorINS6_10device_ptrIKxEEEESL_NS6_8equal_toIxEEEENSG_9not_fun_tINSD_8identityEEEEENSD_19counting_iterator_tIlEES8_S8_S8_S8_S8_S8_S8_S8_EEEEPS9_S9_NSD_9__find_if7functorIS9_EEEE10hipError_tPvRmT1_T2_T3_mT4_P12ihipStream_tbEUlT_E0_NS1_11comp_targetILNS1_3genE4ELNS1_11target_archE910ELNS1_3gpuE8ELNS1_3repE0EEENS1_30default_config_static_selectorELNS0_4arch9wavefront6targetE1EEEvS14_,comdat
	.protected	_ZN7rocprim17ROCPRIM_400000_NS6detail17trampoline_kernelINS0_14default_configENS1_22reduce_config_selectorIN6thrust23THRUST_200600_302600_NS5tupleIblNS6_9null_typeES8_S8_S8_S8_S8_S8_S8_EEEEZNS1_11reduce_implILb1ES3_NS6_12zip_iteratorINS7_INS6_11hip_rocprim26transform_input_iterator_tIbNSD_35transform_pair_of_input_iterators_tIbNS6_6detail15normal_iteratorINS6_10device_ptrIKxEEEESL_NS6_8equal_toIxEEEENSG_9not_fun_tINSD_8identityEEEEENSD_19counting_iterator_tIlEES8_S8_S8_S8_S8_S8_S8_S8_EEEEPS9_S9_NSD_9__find_if7functorIS9_EEEE10hipError_tPvRmT1_T2_T3_mT4_P12ihipStream_tbEUlT_E0_NS1_11comp_targetILNS1_3genE4ELNS1_11target_archE910ELNS1_3gpuE8ELNS1_3repE0EEENS1_30default_config_static_selectorELNS0_4arch9wavefront6targetE1EEEvS14_ ; -- Begin function _ZN7rocprim17ROCPRIM_400000_NS6detail17trampoline_kernelINS0_14default_configENS1_22reduce_config_selectorIN6thrust23THRUST_200600_302600_NS5tupleIblNS6_9null_typeES8_S8_S8_S8_S8_S8_S8_EEEEZNS1_11reduce_implILb1ES3_NS6_12zip_iteratorINS7_INS6_11hip_rocprim26transform_input_iterator_tIbNSD_35transform_pair_of_input_iterators_tIbNS6_6detail15normal_iteratorINS6_10device_ptrIKxEEEESL_NS6_8equal_toIxEEEENSG_9not_fun_tINSD_8identityEEEEENSD_19counting_iterator_tIlEES8_S8_S8_S8_S8_S8_S8_S8_EEEEPS9_S9_NSD_9__find_if7functorIS9_EEEE10hipError_tPvRmT1_T2_T3_mT4_P12ihipStream_tbEUlT_E0_NS1_11comp_targetILNS1_3genE4ELNS1_11target_archE910ELNS1_3gpuE8ELNS1_3repE0EEENS1_30default_config_static_selectorELNS0_4arch9wavefront6targetE1EEEvS14_
	.globl	_ZN7rocprim17ROCPRIM_400000_NS6detail17trampoline_kernelINS0_14default_configENS1_22reduce_config_selectorIN6thrust23THRUST_200600_302600_NS5tupleIblNS6_9null_typeES8_S8_S8_S8_S8_S8_S8_EEEEZNS1_11reduce_implILb1ES3_NS6_12zip_iteratorINS7_INS6_11hip_rocprim26transform_input_iterator_tIbNSD_35transform_pair_of_input_iterators_tIbNS6_6detail15normal_iteratorINS6_10device_ptrIKxEEEESL_NS6_8equal_toIxEEEENSG_9not_fun_tINSD_8identityEEEEENSD_19counting_iterator_tIlEES8_S8_S8_S8_S8_S8_S8_S8_EEEEPS9_S9_NSD_9__find_if7functorIS9_EEEE10hipError_tPvRmT1_T2_T3_mT4_P12ihipStream_tbEUlT_E0_NS1_11comp_targetILNS1_3genE4ELNS1_11target_archE910ELNS1_3gpuE8ELNS1_3repE0EEENS1_30default_config_static_selectorELNS0_4arch9wavefront6targetE1EEEvS14_
	.p2align	8
	.type	_ZN7rocprim17ROCPRIM_400000_NS6detail17trampoline_kernelINS0_14default_configENS1_22reduce_config_selectorIN6thrust23THRUST_200600_302600_NS5tupleIblNS6_9null_typeES8_S8_S8_S8_S8_S8_S8_EEEEZNS1_11reduce_implILb1ES3_NS6_12zip_iteratorINS7_INS6_11hip_rocprim26transform_input_iterator_tIbNSD_35transform_pair_of_input_iterators_tIbNS6_6detail15normal_iteratorINS6_10device_ptrIKxEEEESL_NS6_8equal_toIxEEEENSG_9not_fun_tINSD_8identityEEEEENSD_19counting_iterator_tIlEES8_S8_S8_S8_S8_S8_S8_S8_EEEEPS9_S9_NSD_9__find_if7functorIS9_EEEE10hipError_tPvRmT1_T2_T3_mT4_P12ihipStream_tbEUlT_E0_NS1_11comp_targetILNS1_3genE4ELNS1_11target_archE910ELNS1_3gpuE8ELNS1_3repE0EEENS1_30default_config_static_selectorELNS0_4arch9wavefront6targetE1EEEvS14_,@function
_ZN7rocprim17ROCPRIM_400000_NS6detail17trampoline_kernelINS0_14default_configENS1_22reduce_config_selectorIN6thrust23THRUST_200600_302600_NS5tupleIblNS6_9null_typeES8_S8_S8_S8_S8_S8_S8_EEEEZNS1_11reduce_implILb1ES3_NS6_12zip_iteratorINS7_INS6_11hip_rocprim26transform_input_iterator_tIbNSD_35transform_pair_of_input_iterators_tIbNS6_6detail15normal_iteratorINS6_10device_ptrIKxEEEESL_NS6_8equal_toIxEEEENSG_9not_fun_tINSD_8identityEEEEENSD_19counting_iterator_tIlEES8_S8_S8_S8_S8_S8_S8_S8_EEEEPS9_S9_NSD_9__find_if7functorIS9_EEEE10hipError_tPvRmT1_T2_T3_mT4_P12ihipStream_tbEUlT_E0_NS1_11comp_targetILNS1_3genE4ELNS1_11target_archE910ELNS1_3gpuE8ELNS1_3repE0EEENS1_30default_config_static_selectorELNS0_4arch9wavefront6targetE1EEEvS14_: ; @_ZN7rocprim17ROCPRIM_400000_NS6detail17trampoline_kernelINS0_14default_configENS1_22reduce_config_selectorIN6thrust23THRUST_200600_302600_NS5tupleIblNS6_9null_typeES8_S8_S8_S8_S8_S8_S8_EEEEZNS1_11reduce_implILb1ES3_NS6_12zip_iteratorINS7_INS6_11hip_rocprim26transform_input_iterator_tIbNSD_35transform_pair_of_input_iterators_tIbNS6_6detail15normal_iteratorINS6_10device_ptrIKxEEEESL_NS6_8equal_toIxEEEENSG_9not_fun_tINSD_8identityEEEEENSD_19counting_iterator_tIlEES8_S8_S8_S8_S8_S8_S8_S8_EEEEPS9_S9_NSD_9__find_if7functorIS9_EEEE10hipError_tPvRmT1_T2_T3_mT4_P12ihipStream_tbEUlT_E0_NS1_11comp_targetILNS1_3genE4ELNS1_11target_archE910ELNS1_3gpuE8ELNS1_3repE0EEENS1_30default_config_static_selectorELNS0_4arch9wavefront6targetE1EEEvS14_
; %bb.0:
	.section	.rodata,"a",@progbits
	.p2align	6, 0x0
	.amdhsa_kernel _ZN7rocprim17ROCPRIM_400000_NS6detail17trampoline_kernelINS0_14default_configENS1_22reduce_config_selectorIN6thrust23THRUST_200600_302600_NS5tupleIblNS6_9null_typeES8_S8_S8_S8_S8_S8_S8_EEEEZNS1_11reduce_implILb1ES3_NS6_12zip_iteratorINS7_INS6_11hip_rocprim26transform_input_iterator_tIbNSD_35transform_pair_of_input_iterators_tIbNS6_6detail15normal_iteratorINS6_10device_ptrIKxEEEESL_NS6_8equal_toIxEEEENSG_9not_fun_tINSD_8identityEEEEENSD_19counting_iterator_tIlEES8_S8_S8_S8_S8_S8_S8_S8_EEEEPS9_S9_NSD_9__find_if7functorIS9_EEEE10hipError_tPvRmT1_T2_T3_mT4_P12ihipStream_tbEUlT_E0_NS1_11comp_targetILNS1_3genE4ELNS1_11target_archE910ELNS1_3gpuE8ELNS1_3repE0EEENS1_30default_config_static_selectorELNS0_4arch9wavefront6targetE1EEEvS14_
		.amdhsa_group_segment_fixed_size 0
		.amdhsa_private_segment_fixed_size 0
		.amdhsa_kernarg_size 104
		.amdhsa_user_sgpr_count 2
		.amdhsa_user_sgpr_dispatch_ptr 0
		.amdhsa_user_sgpr_queue_ptr 0
		.amdhsa_user_sgpr_kernarg_segment_ptr 1
		.amdhsa_user_sgpr_dispatch_id 0
		.amdhsa_user_sgpr_kernarg_preload_length 0
		.amdhsa_user_sgpr_kernarg_preload_offset 0
		.amdhsa_user_sgpr_private_segment_size 0
		.amdhsa_uses_dynamic_stack 0
		.amdhsa_enable_private_segment 0
		.amdhsa_system_sgpr_workgroup_id_x 1
		.amdhsa_system_sgpr_workgroup_id_y 0
		.amdhsa_system_sgpr_workgroup_id_z 0
		.amdhsa_system_sgpr_workgroup_info 0
		.amdhsa_system_vgpr_workitem_id 0
		.amdhsa_next_free_vgpr 1
		.amdhsa_next_free_sgpr 0
		.amdhsa_accum_offset 4
		.amdhsa_reserve_vcc 0
		.amdhsa_float_round_mode_32 0
		.amdhsa_float_round_mode_16_64 0
		.amdhsa_float_denorm_mode_32 3
		.amdhsa_float_denorm_mode_16_64 3
		.amdhsa_dx10_clamp 1
		.amdhsa_ieee_mode 1
		.amdhsa_fp16_overflow 0
		.amdhsa_tg_split 0
		.amdhsa_exception_fp_ieee_invalid_op 0
		.amdhsa_exception_fp_denorm_src 0
		.amdhsa_exception_fp_ieee_div_zero 0
		.amdhsa_exception_fp_ieee_overflow 0
		.amdhsa_exception_fp_ieee_underflow 0
		.amdhsa_exception_fp_ieee_inexact 0
		.amdhsa_exception_int_div_zero 0
	.end_amdhsa_kernel
	.section	.text._ZN7rocprim17ROCPRIM_400000_NS6detail17trampoline_kernelINS0_14default_configENS1_22reduce_config_selectorIN6thrust23THRUST_200600_302600_NS5tupleIblNS6_9null_typeES8_S8_S8_S8_S8_S8_S8_EEEEZNS1_11reduce_implILb1ES3_NS6_12zip_iteratorINS7_INS6_11hip_rocprim26transform_input_iterator_tIbNSD_35transform_pair_of_input_iterators_tIbNS6_6detail15normal_iteratorINS6_10device_ptrIKxEEEESL_NS6_8equal_toIxEEEENSG_9not_fun_tINSD_8identityEEEEENSD_19counting_iterator_tIlEES8_S8_S8_S8_S8_S8_S8_S8_EEEEPS9_S9_NSD_9__find_if7functorIS9_EEEE10hipError_tPvRmT1_T2_T3_mT4_P12ihipStream_tbEUlT_E0_NS1_11comp_targetILNS1_3genE4ELNS1_11target_archE910ELNS1_3gpuE8ELNS1_3repE0EEENS1_30default_config_static_selectorELNS0_4arch9wavefront6targetE1EEEvS14_,"axG",@progbits,_ZN7rocprim17ROCPRIM_400000_NS6detail17trampoline_kernelINS0_14default_configENS1_22reduce_config_selectorIN6thrust23THRUST_200600_302600_NS5tupleIblNS6_9null_typeES8_S8_S8_S8_S8_S8_S8_EEEEZNS1_11reduce_implILb1ES3_NS6_12zip_iteratorINS7_INS6_11hip_rocprim26transform_input_iterator_tIbNSD_35transform_pair_of_input_iterators_tIbNS6_6detail15normal_iteratorINS6_10device_ptrIKxEEEESL_NS6_8equal_toIxEEEENSG_9not_fun_tINSD_8identityEEEEENSD_19counting_iterator_tIlEES8_S8_S8_S8_S8_S8_S8_S8_EEEEPS9_S9_NSD_9__find_if7functorIS9_EEEE10hipError_tPvRmT1_T2_T3_mT4_P12ihipStream_tbEUlT_E0_NS1_11comp_targetILNS1_3genE4ELNS1_11target_archE910ELNS1_3gpuE8ELNS1_3repE0EEENS1_30default_config_static_selectorELNS0_4arch9wavefront6targetE1EEEvS14_,comdat
.Lfunc_end68:
	.size	_ZN7rocprim17ROCPRIM_400000_NS6detail17trampoline_kernelINS0_14default_configENS1_22reduce_config_selectorIN6thrust23THRUST_200600_302600_NS5tupleIblNS6_9null_typeES8_S8_S8_S8_S8_S8_S8_EEEEZNS1_11reduce_implILb1ES3_NS6_12zip_iteratorINS7_INS6_11hip_rocprim26transform_input_iterator_tIbNSD_35transform_pair_of_input_iterators_tIbNS6_6detail15normal_iteratorINS6_10device_ptrIKxEEEESL_NS6_8equal_toIxEEEENSG_9not_fun_tINSD_8identityEEEEENSD_19counting_iterator_tIlEES8_S8_S8_S8_S8_S8_S8_S8_EEEEPS9_S9_NSD_9__find_if7functorIS9_EEEE10hipError_tPvRmT1_T2_T3_mT4_P12ihipStream_tbEUlT_E0_NS1_11comp_targetILNS1_3genE4ELNS1_11target_archE910ELNS1_3gpuE8ELNS1_3repE0EEENS1_30default_config_static_selectorELNS0_4arch9wavefront6targetE1EEEvS14_, .Lfunc_end68-_ZN7rocprim17ROCPRIM_400000_NS6detail17trampoline_kernelINS0_14default_configENS1_22reduce_config_selectorIN6thrust23THRUST_200600_302600_NS5tupleIblNS6_9null_typeES8_S8_S8_S8_S8_S8_S8_EEEEZNS1_11reduce_implILb1ES3_NS6_12zip_iteratorINS7_INS6_11hip_rocprim26transform_input_iterator_tIbNSD_35transform_pair_of_input_iterators_tIbNS6_6detail15normal_iteratorINS6_10device_ptrIKxEEEESL_NS6_8equal_toIxEEEENSG_9not_fun_tINSD_8identityEEEEENSD_19counting_iterator_tIlEES8_S8_S8_S8_S8_S8_S8_S8_EEEEPS9_S9_NSD_9__find_if7functorIS9_EEEE10hipError_tPvRmT1_T2_T3_mT4_P12ihipStream_tbEUlT_E0_NS1_11comp_targetILNS1_3genE4ELNS1_11target_archE910ELNS1_3gpuE8ELNS1_3repE0EEENS1_30default_config_static_selectorELNS0_4arch9wavefront6targetE1EEEvS14_
                                        ; -- End function
	.section	.AMDGPU.csdata,"",@progbits
; Kernel info:
; codeLenInByte = 0
; NumSgprs: 6
; NumVgprs: 0
; NumAgprs: 0
; TotalNumVgprs: 0
; ScratchSize: 0
; MemoryBound: 0
; FloatMode: 240
; IeeeMode: 1
; LDSByteSize: 0 bytes/workgroup (compile time only)
; SGPRBlocks: 0
; VGPRBlocks: 0
; NumSGPRsForWavesPerEU: 6
; NumVGPRsForWavesPerEU: 1
; AccumOffset: 4
; Occupancy: 8
; WaveLimiterHint : 0
; COMPUTE_PGM_RSRC2:SCRATCH_EN: 0
; COMPUTE_PGM_RSRC2:USER_SGPR: 2
; COMPUTE_PGM_RSRC2:TRAP_HANDLER: 0
; COMPUTE_PGM_RSRC2:TGID_X_EN: 1
; COMPUTE_PGM_RSRC2:TGID_Y_EN: 0
; COMPUTE_PGM_RSRC2:TGID_Z_EN: 0
; COMPUTE_PGM_RSRC2:TIDIG_COMP_CNT: 0
; COMPUTE_PGM_RSRC3_GFX90A:ACCUM_OFFSET: 0
; COMPUTE_PGM_RSRC3_GFX90A:TG_SPLIT: 0
	.section	.text._ZN7rocprim17ROCPRIM_400000_NS6detail17trampoline_kernelINS0_14default_configENS1_22reduce_config_selectorIN6thrust23THRUST_200600_302600_NS5tupleIblNS6_9null_typeES8_S8_S8_S8_S8_S8_S8_EEEEZNS1_11reduce_implILb1ES3_NS6_12zip_iteratorINS7_INS6_11hip_rocprim26transform_input_iterator_tIbNSD_35transform_pair_of_input_iterators_tIbNS6_6detail15normal_iteratorINS6_10device_ptrIKxEEEESL_NS6_8equal_toIxEEEENSG_9not_fun_tINSD_8identityEEEEENSD_19counting_iterator_tIlEES8_S8_S8_S8_S8_S8_S8_S8_EEEEPS9_S9_NSD_9__find_if7functorIS9_EEEE10hipError_tPvRmT1_T2_T3_mT4_P12ihipStream_tbEUlT_E0_NS1_11comp_targetILNS1_3genE3ELNS1_11target_archE908ELNS1_3gpuE7ELNS1_3repE0EEENS1_30default_config_static_selectorELNS0_4arch9wavefront6targetE1EEEvS14_,"axG",@progbits,_ZN7rocprim17ROCPRIM_400000_NS6detail17trampoline_kernelINS0_14default_configENS1_22reduce_config_selectorIN6thrust23THRUST_200600_302600_NS5tupleIblNS6_9null_typeES8_S8_S8_S8_S8_S8_S8_EEEEZNS1_11reduce_implILb1ES3_NS6_12zip_iteratorINS7_INS6_11hip_rocprim26transform_input_iterator_tIbNSD_35transform_pair_of_input_iterators_tIbNS6_6detail15normal_iteratorINS6_10device_ptrIKxEEEESL_NS6_8equal_toIxEEEENSG_9not_fun_tINSD_8identityEEEEENSD_19counting_iterator_tIlEES8_S8_S8_S8_S8_S8_S8_S8_EEEEPS9_S9_NSD_9__find_if7functorIS9_EEEE10hipError_tPvRmT1_T2_T3_mT4_P12ihipStream_tbEUlT_E0_NS1_11comp_targetILNS1_3genE3ELNS1_11target_archE908ELNS1_3gpuE7ELNS1_3repE0EEENS1_30default_config_static_selectorELNS0_4arch9wavefront6targetE1EEEvS14_,comdat
	.protected	_ZN7rocprim17ROCPRIM_400000_NS6detail17trampoline_kernelINS0_14default_configENS1_22reduce_config_selectorIN6thrust23THRUST_200600_302600_NS5tupleIblNS6_9null_typeES8_S8_S8_S8_S8_S8_S8_EEEEZNS1_11reduce_implILb1ES3_NS6_12zip_iteratorINS7_INS6_11hip_rocprim26transform_input_iterator_tIbNSD_35transform_pair_of_input_iterators_tIbNS6_6detail15normal_iteratorINS6_10device_ptrIKxEEEESL_NS6_8equal_toIxEEEENSG_9not_fun_tINSD_8identityEEEEENSD_19counting_iterator_tIlEES8_S8_S8_S8_S8_S8_S8_S8_EEEEPS9_S9_NSD_9__find_if7functorIS9_EEEE10hipError_tPvRmT1_T2_T3_mT4_P12ihipStream_tbEUlT_E0_NS1_11comp_targetILNS1_3genE3ELNS1_11target_archE908ELNS1_3gpuE7ELNS1_3repE0EEENS1_30default_config_static_selectorELNS0_4arch9wavefront6targetE1EEEvS14_ ; -- Begin function _ZN7rocprim17ROCPRIM_400000_NS6detail17trampoline_kernelINS0_14default_configENS1_22reduce_config_selectorIN6thrust23THRUST_200600_302600_NS5tupleIblNS6_9null_typeES8_S8_S8_S8_S8_S8_S8_EEEEZNS1_11reduce_implILb1ES3_NS6_12zip_iteratorINS7_INS6_11hip_rocprim26transform_input_iterator_tIbNSD_35transform_pair_of_input_iterators_tIbNS6_6detail15normal_iteratorINS6_10device_ptrIKxEEEESL_NS6_8equal_toIxEEEENSG_9not_fun_tINSD_8identityEEEEENSD_19counting_iterator_tIlEES8_S8_S8_S8_S8_S8_S8_S8_EEEEPS9_S9_NSD_9__find_if7functorIS9_EEEE10hipError_tPvRmT1_T2_T3_mT4_P12ihipStream_tbEUlT_E0_NS1_11comp_targetILNS1_3genE3ELNS1_11target_archE908ELNS1_3gpuE7ELNS1_3repE0EEENS1_30default_config_static_selectorELNS0_4arch9wavefront6targetE1EEEvS14_
	.globl	_ZN7rocprim17ROCPRIM_400000_NS6detail17trampoline_kernelINS0_14default_configENS1_22reduce_config_selectorIN6thrust23THRUST_200600_302600_NS5tupleIblNS6_9null_typeES8_S8_S8_S8_S8_S8_S8_EEEEZNS1_11reduce_implILb1ES3_NS6_12zip_iteratorINS7_INS6_11hip_rocprim26transform_input_iterator_tIbNSD_35transform_pair_of_input_iterators_tIbNS6_6detail15normal_iteratorINS6_10device_ptrIKxEEEESL_NS6_8equal_toIxEEEENSG_9not_fun_tINSD_8identityEEEEENSD_19counting_iterator_tIlEES8_S8_S8_S8_S8_S8_S8_S8_EEEEPS9_S9_NSD_9__find_if7functorIS9_EEEE10hipError_tPvRmT1_T2_T3_mT4_P12ihipStream_tbEUlT_E0_NS1_11comp_targetILNS1_3genE3ELNS1_11target_archE908ELNS1_3gpuE7ELNS1_3repE0EEENS1_30default_config_static_selectorELNS0_4arch9wavefront6targetE1EEEvS14_
	.p2align	8
	.type	_ZN7rocprim17ROCPRIM_400000_NS6detail17trampoline_kernelINS0_14default_configENS1_22reduce_config_selectorIN6thrust23THRUST_200600_302600_NS5tupleIblNS6_9null_typeES8_S8_S8_S8_S8_S8_S8_EEEEZNS1_11reduce_implILb1ES3_NS6_12zip_iteratorINS7_INS6_11hip_rocprim26transform_input_iterator_tIbNSD_35transform_pair_of_input_iterators_tIbNS6_6detail15normal_iteratorINS6_10device_ptrIKxEEEESL_NS6_8equal_toIxEEEENSG_9not_fun_tINSD_8identityEEEEENSD_19counting_iterator_tIlEES8_S8_S8_S8_S8_S8_S8_S8_EEEEPS9_S9_NSD_9__find_if7functorIS9_EEEE10hipError_tPvRmT1_T2_T3_mT4_P12ihipStream_tbEUlT_E0_NS1_11comp_targetILNS1_3genE3ELNS1_11target_archE908ELNS1_3gpuE7ELNS1_3repE0EEENS1_30default_config_static_selectorELNS0_4arch9wavefront6targetE1EEEvS14_,@function
_ZN7rocprim17ROCPRIM_400000_NS6detail17trampoline_kernelINS0_14default_configENS1_22reduce_config_selectorIN6thrust23THRUST_200600_302600_NS5tupleIblNS6_9null_typeES8_S8_S8_S8_S8_S8_S8_EEEEZNS1_11reduce_implILb1ES3_NS6_12zip_iteratorINS7_INS6_11hip_rocprim26transform_input_iterator_tIbNSD_35transform_pair_of_input_iterators_tIbNS6_6detail15normal_iteratorINS6_10device_ptrIKxEEEESL_NS6_8equal_toIxEEEENSG_9not_fun_tINSD_8identityEEEEENSD_19counting_iterator_tIlEES8_S8_S8_S8_S8_S8_S8_S8_EEEEPS9_S9_NSD_9__find_if7functorIS9_EEEE10hipError_tPvRmT1_T2_T3_mT4_P12ihipStream_tbEUlT_E0_NS1_11comp_targetILNS1_3genE3ELNS1_11target_archE908ELNS1_3gpuE7ELNS1_3repE0EEENS1_30default_config_static_selectorELNS0_4arch9wavefront6targetE1EEEvS14_: ; @_ZN7rocprim17ROCPRIM_400000_NS6detail17trampoline_kernelINS0_14default_configENS1_22reduce_config_selectorIN6thrust23THRUST_200600_302600_NS5tupleIblNS6_9null_typeES8_S8_S8_S8_S8_S8_S8_EEEEZNS1_11reduce_implILb1ES3_NS6_12zip_iteratorINS7_INS6_11hip_rocprim26transform_input_iterator_tIbNSD_35transform_pair_of_input_iterators_tIbNS6_6detail15normal_iteratorINS6_10device_ptrIKxEEEESL_NS6_8equal_toIxEEEENSG_9not_fun_tINSD_8identityEEEEENSD_19counting_iterator_tIlEES8_S8_S8_S8_S8_S8_S8_S8_EEEEPS9_S9_NSD_9__find_if7functorIS9_EEEE10hipError_tPvRmT1_T2_T3_mT4_P12ihipStream_tbEUlT_E0_NS1_11comp_targetILNS1_3genE3ELNS1_11target_archE908ELNS1_3gpuE7ELNS1_3repE0EEENS1_30default_config_static_selectorELNS0_4arch9wavefront6targetE1EEEvS14_
; %bb.0:
	.section	.rodata,"a",@progbits
	.p2align	6, 0x0
	.amdhsa_kernel _ZN7rocprim17ROCPRIM_400000_NS6detail17trampoline_kernelINS0_14default_configENS1_22reduce_config_selectorIN6thrust23THRUST_200600_302600_NS5tupleIblNS6_9null_typeES8_S8_S8_S8_S8_S8_S8_EEEEZNS1_11reduce_implILb1ES3_NS6_12zip_iteratorINS7_INS6_11hip_rocprim26transform_input_iterator_tIbNSD_35transform_pair_of_input_iterators_tIbNS6_6detail15normal_iteratorINS6_10device_ptrIKxEEEESL_NS6_8equal_toIxEEEENSG_9not_fun_tINSD_8identityEEEEENSD_19counting_iterator_tIlEES8_S8_S8_S8_S8_S8_S8_S8_EEEEPS9_S9_NSD_9__find_if7functorIS9_EEEE10hipError_tPvRmT1_T2_T3_mT4_P12ihipStream_tbEUlT_E0_NS1_11comp_targetILNS1_3genE3ELNS1_11target_archE908ELNS1_3gpuE7ELNS1_3repE0EEENS1_30default_config_static_selectorELNS0_4arch9wavefront6targetE1EEEvS14_
		.amdhsa_group_segment_fixed_size 0
		.amdhsa_private_segment_fixed_size 0
		.amdhsa_kernarg_size 104
		.amdhsa_user_sgpr_count 2
		.amdhsa_user_sgpr_dispatch_ptr 0
		.amdhsa_user_sgpr_queue_ptr 0
		.amdhsa_user_sgpr_kernarg_segment_ptr 1
		.amdhsa_user_sgpr_dispatch_id 0
		.amdhsa_user_sgpr_kernarg_preload_length 0
		.amdhsa_user_sgpr_kernarg_preload_offset 0
		.amdhsa_user_sgpr_private_segment_size 0
		.amdhsa_uses_dynamic_stack 0
		.amdhsa_enable_private_segment 0
		.amdhsa_system_sgpr_workgroup_id_x 1
		.amdhsa_system_sgpr_workgroup_id_y 0
		.amdhsa_system_sgpr_workgroup_id_z 0
		.amdhsa_system_sgpr_workgroup_info 0
		.amdhsa_system_vgpr_workitem_id 0
		.amdhsa_next_free_vgpr 1
		.amdhsa_next_free_sgpr 0
		.amdhsa_accum_offset 4
		.amdhsa_reserve_vcc 0
		.amdhsa_float_round_mode_32 0
		.amdhsa_float_round_mode_16_64 0
		.amdhsa_float_denorm_mode_32 3
		.amdhsa_float_denorm_mode_16_64 3
		.amdhsa_dx10_clamp 1
		.amdhsa_ieee_mode 1
		.amdhsa_fp16_overflow 0
		.amdhsa_tg_split 0
		.amdhsa_exception_fp_ieee_invalid_op 0
		.amdhsa_exception_fp_denorm_src 0
		.amdhsa_exception_fp_ieee_div_zero 0
		.amdhsa_exception_fp_ieee_overflow 0
		.amdhsa_exception_fp_ieee_underflow 0
		.amdhsa_exception_fp_ieee_inexact 0
		.amdhsa_exception_int_div_zero 0
	.end_amdhsa_kernel
	.section	.text._ZN7rocprim17ROCPRIM_400000_NS6detail17trampoline_kernelINS0_14default_configENS1_22reduce_config_selectorIN6thrust23THRUST_200600_302600_NS5tupleIblNS6_9null_typeES8_S8_S8_S8_S8_S8_S8_EEEEZNS1_11reduce_implILb1ES3_NS6_12zip_iteratorINS7_INS6_11hip_rocprim26transform_input_iterator_tIbNSD_35transform_pair_of_input_iterators_tIbNS6_6detail15normal_iteratorINS6_10device_ptrIKxEEEESL_NS6_8equal_toIxEEEENSG_9not_fun_tINSD_8identityEEEEENSD_19counting_iterator_tIlEES8_S8_S8_S8_S8_S8_S8_S8_EEEEPS9_S9_NSD_9__find_if7functorIS9_EEEE10hipError_tPvRmT1_T2_T3_mT4_P12ihipStream_tbEUlT_E0_NS1_11comp_targetILNS1_3genE3ELNS1_11target_archE908ELNS1_3gpuE7ELNS1_3repE0EEENS1_30default_config_static_selectorELNS0_4arch9wavefront6targetE1EEEvS14_,"axG",@progbits,_ZN7rocprim17ROCPRIM_400000_NS6detail17trampoline_kernelINS0_14default_configENS1_22reduce_config_selectorIN6thrust23THRUST_200600_302600_NS5tupleIblNS6_9null_typeES8_S8_S8_S8_S8_S8_S8_EEEEZNS1_11reduce_implILb1ES3_NS6_12zip_iteratorINS7_INS6_11hip_rocprim26transform_input_iterator_tIbNSD_35transform_pair_of_input_iterators_tIbNS6_6detail15normal_iteratorINS6_10device_ptrIKxEEEESL_NS6_8equal_toIxEEEENSG_9not_fun_tINSD_8identityEEEEENSD_19counting_iterator_tIlEES8_S8_S8_S8_S8_S8_S8_S8_EEEEPS9_S9_NSD_9__find_if7functorIS9_EEEE10hipError_tPvRmT1_T2_T3_mT4_P12ihipStream_tbEUlT_E0_NS1_11comp_targetILNS1_3genE3ELNS1_11target_archE908ELNS1_3gpuE7ELNS1_3repE0EEENS1_30default_config_static_selectorELNS0_4arch9wavefront6targetE1EEEvS14_,comdat
.Lfunc_end69:
	.size	_ZN7rocprim17ROCPRIM_400000_NS6detail17trampoline_kernelINS0_14default_configENS1_22reduce_config_selectorIN6thrust23THRUST_200600_302600_NS5tupleIblNS6_9null_typeES8_S8_S8_S8_S8_S8_S8_EEEEZNS1_11reduce_implILb1ES3_NS6_12zip_iteratorINS7_INS6_11hip_rocprim26transform_input_iterator_tIbNSD_35transform_pair_of_input_iterators_tIbNS6_6detail15normal_iteratorINS6_10device_ptrIKxEEEESL_NS6_8equal_toIxEEEENSG_9not_fun_tINSD_8identityEEEEENSD_19counting_iterator_tIlEES8_S8_S8_S8_S8_S8_S8_S8_EEEEPS9_S9_NSD_9__find_if7functorIS9_EEEE10hipError_tPvRmT1_T2_T3_mT4_P12ihipStream_tbEUlT_E0_NS1_11comp_targetILNS1_3genE3ELNS1_11target_archE908ELNS1_3gpuE7ELNS1_3repE0EEENS1_30default_config_static_selectorELNS0_4arch9wavefront6targetE1EEEvS14_, .Lfunc_end69-_ZN7rocprim17ROCPRIM_400000_NS6detail17trampoline_kernelINS0_14default_configENS1_22reduce_config_selectorIN6thrust23THRUST_200600_302600_NS5tupleIblNS6_9null_typeES8_S8_S8_S8_S8_S8_S8_EEEEZNS1_11reduce_implILb1ES3_NS6_12zip_iteratorINS7_INS6_11hip_rocprim26transform_input_iterator_tIbNSD_35transform_pair_of_input_iterators_tIbNS6_6detail15normal_iteratorINS6_10device_ptrIKxEEEESL_NS6_8equal_toIxEEEENSG_9not_fun_tINSD_8identityEEEEENSD_19counting_iterator_tIlEES8_S8_S8_S8_S8_S8_S8_S8_EEEEPS9_S9_NSD_9__find_if7functorIS9_EEEE10hipError_tPvRmT1_T2_T3_mT4_P12ihipStream_tbEUlT_E0_NS1_11comp_targetILNS1_3genE3ELNS1_11target_archE908ELNS1_3gpuE7ELNS1_3repE0EEENS1_30default_config_static_selectorELNS0_4arch9wavefront6targetE1EEEvS14_
                                        ; -- End function
	.section	.AMDGPU.csdata,"",@progbits
; Kernel info:
; codeLenInByte = 0
; NumSgprs: 6
; NumVgprs: 0
; NumAgprs: 0
; TotalNumVgprs: 0
; ScratchSize: 0
; MemoryBound: 0
; FloatMode: 240
; IeeeMode: 1
; LDSByteSize: 0 bytes/workgroup (compile time only)
; SGPRBlocks: 0
; VGPRBlocks: 0
; NumSGPRsForWavesPerEU: 6
; NumVGPRsForWavesPerEU: 1
; AccumOffset: 4
; Occupancy: 8
; WaveLimiterHint : 0
; COMPUTE_PGM_RSRC2:SCRATCH_EN: 0
; COMPUTE_PGM_RSRC2:USER_SGPR: 2
; COMPUTE_PGM_RSRC2:TRAP_HANDLER: 0
; COMPUTE_PGM_RSRC2:TGID_X_EN: 1
; COMPUTE_PGM_RSRC2:TGID_Y_EN: 0
; COMPUTE_PGM_RSRC2:TGID_Z_EN: 0
; COMPUTE_PGM_RSRC2:TIDIG_COMP_CNT: 0
; COMPUTE_PGM_RSRC3_GFX90A:ACCUM_OFFSET: 0
; COMPUTE_PGM_RSRC3_GFX90A:TG_SPLIT: 0
	.section	.text._ZN7rocprim17ROCPRIM_400000_NS6detail17trampoline_kernelINS0_14default_configENS1_22reduce_config_selectorIN6thrust23THRUST_200600_302600_NS5tupleIblNS6_9null_typeES8_S8_S8_S8_S8_S8_S8_EEEEZNS1_11reduce_implILb1ES3_NS6_12zip_iteratorINS7_INS6_11hip_rocprim26transform_input_iterator_tIbNSD_35transform_pair_of_input_iterators_tIbNS6_6detail15normal_iteratorINS6_10device_ptrIKxEEEESL_NS6_8equal_toIxEEEENSG_9not_fun_tINSD_8identityEEEEENSD_19counting_iterator_tIlEES8_S8_S8_S8_S8_S8_S8_S8_EEEEPS9_S9_NSD_9__find_if7functorIS9_EEEE10hipError_tPvRmT1_T2_T3_mT4_P12ihipStream_tbEUlT_E0_NS1_11comp_targetILNS1_3genE2ELNS1_11target_archE906ELNS1_3gpuE6ELNS1_3repE0EEENS1_30default_config_static_selectorELNS0_4arch9wavefront6targetE1EEEvS14_,"axG",@progbits,_ZN7rocprim17ROCPRIM_400000_NS6detail17trampoline_kernelINS0_14default_configENS1_22reduce_config_selectorIN6thrust23THRUST_200600_302600_NS5tupleIblNS6_9null_typeES8_S8_S8_S8_S8_S8_S8_EEEEZNS1_11reduce_implILb1ES3_NS6_12zip_iteratorINS7_INS6_11hip_rocprim26transform_input_iterator_tIbNSD_35transform_pair_of_input_iterators_tIbNS6_6detail15normal_iteratorINS6_10device_ptrIKxEEEESL_NS6_8equal_toIxEEEENSG_9not_fun_tINSD_8identityEEEEENSD_19counting_iterator_tIlEES8_S8_S8_S8_S8_S8_S8_S8_EEEEPS9_S9_NSD_9__find_if7functorIS9_EEEE10hipError_tPvRmT1_T2_T3_mT4_P12ihipStream_tbEUlT_E0_NS1_11comp_targetILNS1_3genE2ELNS1_11target_archE906ELNS1_3gpuE6ELNS1_3repE0EEENS1_30default_config_static_selectorELNS0_4arch9wavefront6targetE1EEEvS14_,comdat
	.protected	_ZN7rocprim17ROCPRIM_400000_NS6detail17trampoline_kernelINS0_14default_configENS1_22reduce_config_selectorIN6thrust23THRUST_200600_302600_NS5tupleIblNS6_9null_typeES8_S8_S8_S8_S8_S8_S8_EEEEZNS1_11reduce_implILb1ES3_NS6_12zip_iteratorINS7_INS6_11hip_rocprim26transform_input_iterator_tIbNSD_35transform_pair_of_input_iterators_tIbNS6_6detail15normal_iteratorINS6_10device_ptrIKxEEEESL_NS6_8equal_toIxEEEENSG_9not_fun_tINSD_8identityEEEEENSD_19counting_iterator_tIlEES8_S8_S8_S8_S8_S8_S8_S8_EEEEPS9_S9_NSD_9__find_if7functorIS9_EEEE10hipError_tPvRmT1_T2_T3_mT4_P12ihipStream_tbEUlT_E0_NS1_11comp_targetILNS1_3genE2ELNS1_11target_archE906ELNS1_3gpuE6ELNS1_3repE0EEENS1_30default_config_static_selectorELNS0_4arch9wavefront6targetE1EEEvS14_ ; -- Begin function _ZN7rocprim17ROCPRIM_400000_NS6detail17trampoline_kernelINS0_14default_configENS1_22reduce_config_selectorIN6thrust23THRUST_200600_302600_NS5tupleIblNS6_9null_typeES8_S8_S8_S8_S8_S8_S8_EEEEZNS1_11reduce_implILb1ES3_NS6_12zip_iteratorINS7_INS6_11hip_rocprim26transform_input_iterator_tIbNSD_35transform_pair_of_input_iterators_tIbNS6_6detail15normal_iteratorINS6_10device_ptrIKxEEEESL_NS6_8equal_toIxEEEENSG_9not_fun_tINSD_8identityEEEEENSD_19counting_iterator_tIlEES8_S8_S8_S8_S8_S8_S8_S8_EEEEPS9_S9_NSD_9__find_if7functorIS9_EEEE10hipError_tPvRmT1_T2_T3_mT4_P12ihipStream_tbEUlT_E0_NS1_11comp_targetILNS1_3genE2ELNS1_11target_archE906ELNS1_3gpuE6ELNS1_3repE0EEENS1_30default_config_static_selectorELNS0_4arch9wavefront6targetE1EEEvS14_
	.globl	_ZN7rocprim17ROCPRIM_400000_NS6detail17trampoline_kernelINS0_14default_configENS1_22reduce_config_selectorIN6thrust23THRUST_200600_302600_NS5tupleIblNS6_9null_typeES8_S8_S8_S8_S8_S8_S8_EEEEZNS1_11reduce_implILb1ES3_NS6_12zip_iteratorINS7_INS6_11hip_rocprim26transform_input_iterator_tIbNSD_35transform_pair_of_input_iterators_tIbNS6_6detail15normal_iteratorINS6_10device_ptrIKxEEEESL_NS6_8equal_toIxEEEENSG_9not_fun_tINSD_8identityEEEEENSD_19counting_iterator_tIlEES8_S8_S8_S8_S8_S8_S8_S8_EEEEPS9_S9_NSD_9__find_if7functorIS9_EEEE10hipError_tPvRmT1_T2_T3_mT4_P12ihipStream_tbEUlT_E0_NS1_11comp_targetILNS1_3genE2ELNS1_11target_archE906ELNS1_3gpuE6ELNS1_3repE0EEENS1_30default_config_static_selectorELNS0_4arch9wavefront6targetE1EEEvS14_
	.p2align	8
	.type	_ZN7rocprim17ROCPRIM_400000_NS6detail17trampoline_kernelINS0_14default_configENS1_22reduce_config_selectorIN6thrust23THRUST_200600_302600_NS5tupleIblNS6_9null_typeES8_S8_S8_S8_S8_S8_S8_EEEEZNS1_11reduce_implILb1ES3_NS6_12zip_iteratorINS7_INS6_11hip_rocprim26transform_input_iterator_tIbNSD_35transform_pair_of_input_iterators_tIbNS6_6detail15normal_iteratorINS6_10device_ptrIKxEEEESL_NS6_8equal_toIxEEEENSG_9not_fun_tINSD_8identityEEEEENSD_19counting_iterator_tIlEES8_S8_S8_S8_S8_S8_S8_S8_EEEEPS9_S9_NSD_9__find_if7functorIS9_EEEE10hipError_tPvRmT1_T2_T3_mT4_P12ihipStream_tbEUlT_E0_NS1_11comp_targetILNS1_3genE2ELNS1_11target_archE906ELNS1_3gpuE6ELNS1_3repE0EEENS1_30default_config_static_selectorELNS0_4arch9wavefront6targetE1EEEvS14_,@function
_ZN7rocprim17ROCPRIM_400000_NS6detail17trampoline_kernelINS0_14default_configENS1_22reduce_config_selectorIN6thrust23THRUST_200600_302600_NS5tupleIblNS6_9null_typeES8_S8_S8_S8_S8_S8_S8_EEEEZNS1_11reduce_implILb1ES3_NS6_12zip_iteratorINS7_INS6_11hip_rocprim26transform_input_iterator_tIbNSD_35transform_pair_of_input_iterators_tIbNS6_6detail15normal_iteratorINS6_10device_ptrIKxEEEESL_NS6_8equal_toIxEEEENSG_9not_fun_tINSD_8identityEEEEENSD_19counting_iterator_tIlEES8_S8_S8_S8_S8_S8_S8_S8_EEEEPS9_S9_NSD_9__find_if7functorIS9_EEEE10hipError_tPvRmT1_T2_T3_mT4_P12ihipStream_tbEUlT_E0_NS1_11comp_targetILNS1_3genE2ELNS1_11target_archE906ELNS1_3gpuE6ELNS1_3repE0EEENS1_30default_config_static_selectorELNS0_4arch9wavefront6targetE1EEEvS14_: ; @_ZN7rocprim17ROCPRIM_400000_NS6detail17trampoline_kernelINS0_14default_configENS1_22reduce_config_selectorIN6thrust23THRUST_200600_302600_NS5tupleIblNS6_9null_typeES8_S8_S8_S8_S8_S8_S8_EEEEZNS1_11reduce_implILb1ES3_NS6_12zip_iteratorINS7_INS6_11hip_rocprim26transform_input_iterator_tIbNSD_35transform_pair_of_input_iterators_tIbNS6_6detail15normal_iteratorINS6_10device_ptrIKxEEEESL_NS6_8equal_toIxEEEENSG_9not_fun_tINSD_8identityEEEEENSD_19counting_iterator_tIlEES8_S8_S8_S8_S8_S8_S8_S8_EEEEPS9_S9_NSD_9__find_if7functorIS9_EEEE10hipError_tPvRmT1_T2_T3_mT4_P12ihipStream_tbEUlT_E0_NS1_11comp_targetILNS1_3genE2ELNS1_11target_archE906ELNS1_3gpuE6ELNS1_3repE0EEENS1_30default_config_static_selectorELNS0_4arch9wavefront6targetE1EEEvS14_
; %bb.0:
	.section	.rodata,"a",@progbits
	.p2align	6, 0x0
	.amdhsa_kernel _ZN7rocprim17ROCPRIM_400000_NS6detail17trampoline_kernelINS0_14default_configENS1_22reduce_config_selectorIN6thrust23THRUST_200600_302600_NS5tupleIblNS6_9null_typeES8_S8_S8_S8_S8_S8_S8_EEEEZNS1_11reduce_implILb1ES3_NS6_12zip_iteratorINS7_INS6_11hip_rocprim26transform_input_iterator_tIbNSD_35transform_pair_of_input_iterators_tIbNS6_6detail15normal_iteratorINS6_10device_ptrIKxEEEESL_NS6_8equal_toIxEEEENSG_9not_fun_tINSD_8identityEEEEENSD_19counting_iterator_tIlEES8_S8_S8_S8_S8_S8_S8_S8_EEEEPS9_S9_NSD_9__find_if7functorIS9_EEEE10hipError_tPvRmT1_T2_T3_mT4_P12ihipStream_tbEUlT_E0_NS1_11comp_targetILNS1_3genE2ELNS1_11target_archE906ELNS1_3gpuE6ELNS1_3repE0EEENS1_30default_config_static_selectorELNS0_4arch9wavefront6targetE1EEEvS14_
		.amdhsa_group_segment_fixed_size 0
		.amdhsa_private_segment_fixed_size 0
		.amdhsa_kernarg_size 104
		.amdhsa_user_sgpr_count 2
		.amdhsa_user_sgpr_dispatch_ptr 0
		.amdhsa_user_sgpr_queue_ptr 0
		.amdhsa_user_sgpr_kernarg_segment_ptr 1
		.amdhsa_user_sgpr_dispatch_id 0
		.amdhsa_user_sgpr_kernarg_preload_length 0
		.amdhsa_user_sgpr_kernarg_preload_offset 0
		.amdhsa_user_sgpr_private_segment_size 0
		.amdhsa_uses_dynamic_stack 0
		.amdhsa_enable_private_segment 0
		.amdhsa_system_sgpr_workgroup_id_x 1
		.amdhsa_system_sgpr_workgroup_id_y 0
		.amdhsa_system_sgpr_workgroup_id_z 0
		.amdhsa_system_sgpr_workgroup_info 0
		.amdhsa_system_vgpr_workitem_id 0
		.amdhsa_next_free_vgpr 1
		.amdhsa_next_free_sgpr 0
		.amdhsa_accum_offset 4
		.amdhsa_reserve_vcc 0
		.amdhsa_float_round_mode_32 0
		.amdhsa_float_round_mode_16_64 0
		.amdhsa_float_denorm_mode_32 3
		.amdhsa_float_denorm_mode_16_64 3
		.amdhsa_dx10_clamp 1
		.amdhsa_ieee_mode 1
		.amdhsa_fp16_overflow 0
		.amdhsa_tg_split 0
		.amdhsa_exception_fp_ieee_invalid_op 0
		.amdhsa_exception_fp_denorm_src 0
		.amdhsa_exception_fp_ieee_div_zero 0
		.amdhsa_exception_fp_ieee_overflow 0
		.amdhsa_exception_fp_ieee_underflow 0
		.amdhsa_exception_fp_ieee_inexact 0
		.amdhsa_exception_int_div_zero 0
	.end_amdhsa_kernel
	.section	.text._ZN7rocprim17ROCPRIM_400000_NS6detail17trampoline_kernelINS0_14default_configENS1_22reduce_config_selectorIN6thrust23THRUST_200600_302600_NS5tupleIblNS6_9null_typeES8_S8_S8_S8_S8_S8_S8_EEEEZNS1_11reduce_implILb1ES3_NS6_12zip_iteratorINS7_INS6_11hip_rocprim26transform_input_iterator_tIbNSD_35transform_pair_of_input_iterators_tIbNS6_6detail15normal_iteratorINS6_10device_ptrIKxEEEESL_NS6_8equal_toIxEEEENSG_9not_fun_tINSD_8identityEEEEENSD_19counting_iterator_tIlEES8_S8_S8_S8_S8_S8_S8_S8_EEEEPS9_S9_NSD_9__find_if7functorIS9_EEEE10hipError_tPvRmT1_T2_T3_mT4_P12ihipStream_tbEUlT_E0_NS1_11comp_targetILNS1_3genE2ELNS1_11target_archE906ELNS1_3gpuE6ELNS1_3repE0EEENS1_30default_config_static_selectorELNS0_4arch9wavefront6targetE1EEEvS14_,"axG",@progbits,_ZN7rocprim17ROCPRIM_400000_NS6detail17trampoline_kernelINS0_14default_configENS1_22reduce_config_selectorIN6thrust23THRUST_200600_302600_NS5tupleIblNS6_9null_typeES8_S8_S8_S8_S8_S8_S8_EEEEZNS1_11reduce_implILb1ES3_NS6_12zip_iteratorINS7_INS6_11hip_rocprim26transform_input_iterator_tIbNSD_35transform_pair_of_input_iterators_tIbNS6_6detail15normal_iteratorINS6_10device_ptrIKxEEEESL_NS6_8equal_toIxEEEENSG_9not_fun_tINSD_8identityEEEEENSD_19counting_iterator_tIlEES8_S8_S8_S8_S8_S8_S8_S8_EEEEPS9_S9_NSD_9__find_if7functorIS9_EEEE10hipError_tPvRmT1_T2_T3_mT4_P12ihipStream_tbEUlT_E0_NS1_11comp_targetILNS1_3genE2ELNS1_11target_archE906ELNS1_3gpuE6ELNS1_3repE0EEENS1_30default_config_static_selectorELNS0_4arch9wavefront6targetE1EEEvS14_,comdat
.Lfunc_end70:
	.size	_ZN7rocprim17ROCPRIM_400000_NS6detail17trampoline_kernelINS0_14default_configENS1_22reduce_config_selectorIN6thrust23THRUST_200600_302600_NS5tupleIblNS6_9null_typeES8_S8_S8_S8_S8_S8_S8_EEEEZNS1_11reduce_implILb1ES3_NS6_12zip_iteratorINS7_INS6_11hip_rocprim26transform_input_iterator_tIbNSD_35transform_pair_of_input_iterators_tIbNS6_6detail15normal_iteratorINS6_10device_ptrIKxEEEESL_NS6_8equal_toIxEEEENSG_9not_fun_tINSD_8identityEEEEENSD_19counting_iterator_tIlEES8_S8_S8_S8_S8_S8_S8_S8_EEEEPS9_S9_NSD_9__find_if7functorIS9_EEEE10hipError_tPvRmT1_T2_T3_mT4_P12ihipStream_tbEUlT_E0_NS1_11comp_targetILNS1_3genE2ELNS1_11target_archE906ELNS1_3gpuE6ELNS1_3repE0EEENS1_30default_config_static_selectorELNS0_4arch9wavefront6targetE1EEEvS14_, .Lfunc_end70-_ZN7rocprim17ROCPRIM_400000_NS6detail17trampoline_kernelINS0_14default_configENS1_22reduce_config_selectorIN6thrust23THRUST_200600_302600_NS5tupleIblNS6_9null_typeES8_S8_S8_S8_S8_S8_S8_EEEEZNS1_11reduce_implILb1ES3_NS6_12zip_iteratorINS7_INS6_11hip_rocprim26transform_input_iterator_tIbNSD_35transform_pair_of_input_iterators_tIbNS6_6detail15normal_iteratorINS6_10device_ptrIKxEEEESL_NS6_8equal_toIxEEEENSG_9not_fun_tINSD_8identityEEEEENSD_19counting_iterator_tIlEES8_S8_S8_S8_S8_S8_S8_S8_EEEEPS9_S9_NSD_9__find_if7functorIS9_EEEE10hipError_tPvRmT1_T2_T3_mT4_P12ihipStream_tbEUlT_E0_NS1_11comp_targetILNS1_3genE2ELNS1_11target_archE906ELNS1_3gpuE6ELNS1_3repE0EEENS1_30default_config_static_selectorELNS0_4arch9wavefront6targetE1EEEvS14_
                                        ; -- End function
	.section	.AMDGPU.csdata,"",@progbits
; Kernel info:
; codeLenInByte = 0
; NumSgprs: 6
; NumVgprs: 0
; NumAgprs: 0
; TotalNumVgprs: 0
; ScratchSize: 0
; MemoryBound: 0
; FloatMode: 240
; IeeeMode: 1
; LDSByteSize: 0 bytes/workgroup (compile time only)
; SGPRBlocks: 0
; VGPRBlocks: 0
; NumSGPRsForWavesPerEU: 6
; NumVGPRsForWavesPerEU: 1
; AccumOffset: 4
; Occupancy: 8
; WaveLimiterHint : 0
; COMPUTE_PGM_RSRC2:SCRATCH_EN: 0
; COMPUTE_PGM_RSRC2:USER_SGPR: 2
; COMPUTE_PGM_RSRC2:TRAP_HANDLER: 0
; COMPUTE_PGM_RSRC2:TGID_X_EN: 1
; COMPUTE_PGM_RSRC2:TGID_Y_EN: 0
; COMPUTE_PGM_RSRC2:TGID_Z_EN: 0
; COMPUTE_PGM_RSRC2:TIDIG_COMP_CNT: 0
; COMPUTE_PGM_RSRC3_GFX90A:ACCUM_OFFSET: 0
; COMPUTE_PGM_RSRC3_GFX90A:TG_SPLIT: 0
	.section	.text._ZN7rocprim17ROCPRIM_400000_NS6detail17trampoline_kernelINS0_14default_configENS1_22reduce_config_selectorIN6thrust23THRUST_200600_302600_NS5tupleIblNS6_9null_typeES8_S8_S8_S8_S8_S8_S8_EEEEZNS1_11reduce_implILb1ES3_NS6_12zip_iteratorINS7_INS6_11hip_rocprim26transform_input_iterator_tIbNSD_35transform_pair_of_input_iterators_tIbNS6_6detail15normal_iteratorINS6_10device_ptrIKxEEEESL_NS6_8equal_toIxEEEENSG_9not_fun_tINSD_8identityEEEEENSD_19counting_iterator_tIlEES8_S8_S8_S8_S8_S8_S8_S8_EEEEPS9_S9_NSD_9__find_if7functorIS9_EEEE10hipError_tPvRmT1_T2_T3_mT4_P12ihipStream_tbEUlT_E0_NS1_11comp_targetILNS1_3genE10ELNS1_11target_archE1201ELNS1_3gpuE5ELNS1_3repE0EEENS1_30default_config_static_selectorELNS0_4arch9wavefront6targetE1EEEvS14_,"axG",@progbits,_ZN7rocprim17ROCPRIM_400000_NS6detail17trampoline_kernelINS0_14default_configENS1_22reduce_config_selectorIN6thrust23THRUST_200600_302600_NS5tupleIblNS6_9null_typeES8_S8_S8_S8_S8_S8_S8_EEEEZNS1_11reduce_implILb1ES3_NS6_12zip_iteratorINS7_INS6_11hip_rocprim26transform_input_iterator_tIbNSD_35transform_pair_of_input_iterators_tIbNS6_6detail15normal_iteratorINS6_10device_ptrIKxEEEESL_NS6_8equal_toIxEEEENSG_9not_fun_tINSD_8identityEEEEENSD_19counting_iterator_tIlEES8_S8_S8_S8_S8_S8_S8_S8_EEEEPS9_S9_NSD_9__find_if7functorIS9_EEEE10hipError_tPvRmT1_T2_T3_mT4_P12ihipStream_tbEUlT_E0_NS1_11comp_targetILNS1_3genE10ELNS1_11target_archE1201ELNS1_3gpuE5ELNS1_3repE0EEENS1_30default_config_static_selectorELNS0_4arch9wavefront6targetE1EEEvS14_,comdat
	.protected	_ZN7rocprim17ROCPRIM_400000_NS6detail17trampoline_kernelINS0_14default_configENS1_22reduce_config_selectorIN6thrust23THRUST_200600_302600_NS5tupleIblNS6_9null_typeES8_S8_S8_S8_S8_S8_S8_EEEEZNS1_11reduce_implILb1ES3_NS6_12zip_iteratorINS7_INS6_11hip_rocprim26transform_input_iterator_tIbNSD_35transform_pair_of_input_iterators_tIbNS6_6detail15normal_iteratorINS6_10device_ptrIKxEEEESL_NS6_8equal_toIxEEEENSG_9not_fun_tINSD_8identityEEEEENSD_19counting_iterator_tIlEES8_S8_S8_S8_S8_S8_S8_S8_EEEEPS9_S9_NSD_9__find_if7functorIS9_EEEE10hipError_tPvRmT1_T2_T3_mT4_P12ihipStream_tbEUlT_E0_NS1_11comp_targetILNS1_3genE10ELNS1_11target_archE1201ELNS1_3gpuE5ELNS1_3repE0EEENS1_30default_config_static_selectorELNS0_4arch9wavefront6targetE1EEEvS14_ ; -- Begin function _ZN7rocprim17ROCPRIM_400000_NS6detail17trampoline_kernelINS0_14default_configENS1_22reduce_config_selectorIN6thrust23THRUST_200600_302600_NS5tupleIblNS6_9null_typeES8_S8_S8_S8_S8_S8_S8_EEEEZNS1_11reduce_implILb1ES3_NS6_12zip_iteratorINS7_INS6_11hip_rocprim26transform_input_iterator_tIbNSD_35transform_pair_of_input_iterators_tIbNS6_6detail15normal_iteratorINS6_10device_ptrIKxEEEESL_NS6_8equal_toIxEEEENSG_9not_fun_tINSD_8identityEEEEENSD_19counting_iterator_tIlEES8_S8_S8_S8_S8_S8_S8_S8_EEEEPS9_S9_NSD_9__find_if7functorIS9_EEEE10hipError_tPvRmT1_T2_T3_mT4_P12ihipStream_tbEUlT_E0_NS1_11comp_targetILNS1_3genE10ELNS1_11target_archE1201ELNS1_3gpuE5ELNS1_3repE0EEENS1_30default_config_static_selectorELNS0_4arch9wavefront6targetE1EEEvS14_
	.globl	_ZN7rocprim17ROCPRIM_400000_NS6detail17trampoline_kernelINS0_14default_configENS1_22reduce_config_selectorIN6thrust23THRUST_200600_302600_NS5tupleIblNS6_9null_typeES8_S8_S8_S8_S8_S8_S8_EEEEZNS1_11reduce_implILb1ES3_NS6_12zip_iteratorINS7_INS6_11hip_rocprim26transform_input_iterator_tIbNSD_35transform_pair_of_input_iterators_tIbNS6_6detail15normal_iteratorINS6_10device_ptrIKxEEEESL_NS6_8equal_toIxEEEENSG_9not_fun_tINSD_8identityEEEEENSD_19counting_iterator_tIlEES8_S8_S8_S8_S8_S8_S8_S8_EEEEPS9_S9_NSD_9__find_if7functorIS9_EEEE10hipError_tPvRmT1_T2_T3_mT4_P12ihipStream_tbEUlT_E0_NS1_11comp_targetILNS1_3genE10ELNS1_11target_archE1201ELNS1_3gpuE5ELNS1_3repE0EEENS1_30default_config_static_selectorELNS0_4arch9wavefront6targetE1EEEvS14_
	.p2align	8
	.type	_ZN7rocprim17ROCPRIM_400000_NS6detail17trampoline_kernelINS0_14default_configENS1_22reduce_config_selectorIN6thrust23THRUST_200600_302600_NS5tupleIblNS6_9null_typeES8_S8_S8_S8_S8_S8_S8_EEEEZNS1_11reduce_implILb1ES3_NS6_12zip_iteratorINS7_INS6_11hip_rocprim26transform_input_iterator_tIbNSD_35transform_pair_of_input_iterators_tIbNS6_6detail15normal_iteratorINS6_10device_ptrIKxEEEESL_NS6_8equal_toIxEEEENSG_9not_fun_tINSD_8identityEEEEENSD_19counting_iterator_tIlEES8_S8_S8_S8_S8_S8_S8_S8_EEEEPS9_S9_NSD_9__find_if7functorIS9_EEEE10hipError_tPvRmT1_T2_T3_mT4_P12ihipStream_tbEUlT_E0_NS1_11comp_targetILNS1_3genE10ELNS1_11target_archE1201ELNS1_3gpuE5ELNS1_3repE0EEENS1_30default_config_static_selectorELNS0_4arch9wavefront6targetE1EEEvS14_,@function
_ZN7rocprim17ROCPRIM_400000_NS6detail17trampoline_kernelINS0_14default_configENS1_22reduce_config_selectorIN6thrust23THRUST_200600_302600_NS5tupleIblNS6_9null_typeES8_S8_S8_S8_S8_S8_S8_EEEEZNS1_11reduce_implILb1ES3_NS6_12zip_iteratorINS7_INS6_11hip_rocprim26transform_input_iterator_tIbNSD_35transform_pair_of_input_iterators_tIbNS6_6detail15normal_iteratorINS6_10device_ptrIKxEEEESL_NS6_8equal_toIxEEEENSG_9not_fun_tINSD_8identityEEEEENSD_19counting_iterator_tIlEES8_S8_S8_S8_S8_S8_S8_S8_EEEEPS9_S9_NSD_9__find_if7functorIS9_EEEE10hipError_tPvRmT1_T2_T3_mT4_P12ihipStream_tbEUlT_E0_NS1_11comp_targetILNS1_3genE10ELNS1_11target_archE1201ELNS1_3gpuE5ELNS1_3repE0EEENS1_30default_config_static_selectorELNS0_4arch9wavefront6targetE1EEEvS14_: ; @_ZN7rocprim17ROCPRIM_400000_NS6detail17trampoline_kernelINS0_14default_configENS1_22reduce_config_selectorIN6thrust23THRUST_200600_302600_NS5tupleIblNS6_9null_typeES8_S8_S8_S8_S8_S8_S8_EEEEZNS1_11reduce_implILb1ES3_NS6_12zip_iteratorINS7_INS6_11hip_rocprim26transform_input_iterator_tIbNSD_35transform_pair_of_input_iterators_tIbNS6_6detail15normal_iteratorINS6_10device_ptrIKxEEEESL_NS6_8equal_toIxEEEENSG_9not_fun_tINSD_8identityEEEEENSD_19counting_iterator_tIlEES8_S8_S8_S8_S8_S8_S8_S8_EEEEPS9_S9_NSD_9__find_if7functorIS9_EEEE10hipError_tPvRmT1_T2_T3_mT4_P12ihipStream_tbEUlT_E0_NS1_11comp_targetILNS1_3genE10ELNS1_11target_archE1201ELNS1_3gpuE5ELNS1_3repE0EEENS1_30default_config_static_selectorELNS0_4arch9wavefront6targetE1EEEvS14_
; %bb.0:
	.section	.rodata,"a",@progbits
	.p2align	6, 0x0
	.amdhsa_kernel _ZN7rocprim17ROCPRIM_400000_NS6detail17trampoline_kernelINS0_14default_configENS1_22reduce_config_selectorIN6thrust23THRUST_200600_302600_NS5tupleIblNS6_9null_typeES8_S8_S8_S8_S8_S8_S8_EEEEZNS1_11reduce_implILb1ES3_NS6_12zip_iteratorINS7_INS6_11hip_rocprim26transform_input_iterator_tIbNSD_35transform_pair_of_input_iterators_tIbNS6_6detail15normal_iteratorINS6_10device_ptrIKxEEEESL_NS6_8equal_toIxEEEENSG_9not_fun_tINSD_8identityEEEEENSD_19counting_iterator_tIlEES8_S8_S8_S8_S8_S8_S8_S8_EEEEPS9_S9_NSD_9__find_if7functorIS9_EEEE10hipError_tPvRmT1_T2_T3_mT4_P12ihipStream_tbEUlT_E0_NS1_11comp_targetILNS1_3genE10ELNS1_11target_archE1201ELNS1_3gpuE5ELNS1_3repE0EEENS1_30default_config_static_selectorELNS0_4arch9wavefront6targetE1EEEvS14_
		.amdhsa_group_segment_fixed_size 0
		.amdhsa_private_segment_fixed_size 0
		.amdhsa_kernarg_size 104
		.amdhsa_user_sgpr_count 2
		.amdhsa_user_sgpr_dispatch_ptr 0
		.amdhsa_user_sgpr_queue_ptr 0
		.amdhsa_user_sgpr_kernarg_segment_ptr 1
		.amdhsa_user_sgpr_dispatch_id 0
		.amdhsa_user_sgpr_kernarg_preload_length 0
		.amdhsa_user_sgpr_kernarg_preload_offset 0
		.amdhsa_user_sgpr_private_segment_size 0
		.amdhsa_uses_dynamic_stack 0
		.amdhsa_enable_private_segment 0
		.amdhsa_system_sgpr_workgroup_id_x 1
		.amdhsa_system_sgpr_workgroup_id_y 0
		.amdhsa_system_sgpr_workgroup_id_z 0
		.amdhsa_system_sgpr_workgroup_info 0
		.amdhsa_system_vgpr_workitem_id 0
		.amdhsa_next_free_vgpr 1
		.amdhsa_next_free_sgpr 0
		.amdhsa_accum_offset 4
		.amdhsa_reserve_vcc 0
		.amdhsa_float_round_mode_32 0
		.amdhsa_float_round_mode_16_64 0
		.amdhsa_float_denorm_mode_32 3
		.amdhsa_float_denorm_mode_16_64 3
		.amdhsa_dx10_clamp 1
		.amdhsa_ieee_mode 1
		.amdhsa_fp16_overflow 0
		.amdhsa_tg_split 0
		.amdhsa_exception_fp_ieee_invalid_op 0
		.amdhsa_exception_fp_denorm_src 0
		.amdhsa_exception_fp_ieee_div_zero 0
		.amdhsa_exception_fp_ieee_overflow 0
		.amdhsa_exception_fp_ieee_underflow 0
		.amdhsa_exception_fp_ieee_inexact 0
		.amdhsa_exception_int_div_zero 0
	.end_amdhsa_kernel
	.section	.text._ZN7rocprim17ROCPRIM_400000_NS6detail17trampoline_kernelINS0_14default_configENS1_22reduce_config_selectorIN6thrust23THRUST_200600_302600_NS5tupleIblNS6_9null_typeES8_S8_S8_S8_S8_S8_S8_EEEEZNS1_11reduce_implILb1ES3_NS6_12zip_iteratorINS7_INS6_11hip_rocprim26transform_input_iterator_tIbNSD_35transform_pair_of_input_iterators_tIbNS6_6detail15normal_iteratorINS6_10device_ptrIKxEEEESL_NS6_8equal_toIxEEEENSG_9not_fun_tINSD_8identityEEEEENSD_19counting_iterator_tIlEES8_S8_S8_S8_S8_S8_S8_S8_EEEEPS9_S9_NSD_9__find_if7functorIS9_EEEE10hipError_tPvRmT1_T2_T3_mT4_P12ihipStream_tbEUlT_E0_NS1_11comp_targetILNS1_3genE10ELNS1_11target_archE1201ELNS1_3gpuE5ELNS1_3repE0EEENS1_30default_config_static_selectorELNS0_4arch9wavefront6targetE1EEEvS14_,"axG",@progbits,_ZN7rocprim17ROCPRIM_400000_NS6detail17trampoline_kernelINS0_14default_configENS1_22reduce_config_selectorIN6thrust23THRUST_200600_302600_NS5tupleIblNS6_9null_typeES8_S8_S8_S8_S8_S8_S8_EEEEZNS1_11reduce_implILb1ES3_NS6_12zip_iteratorINS7_INS6_11hip_rocprim26transform_input_iterator_tIbNSD_35transform_pair_of_input_iterators_tIbNS6_6detail15normal_iteratorINS6_10device_ptrIKxEEEESL_NS6_8equal_toIxEEEENSG_9not_fun_tINSD_8identityEEEEENSD_19counting_iterator_tIlEES8_S8_S8_S8_S8_S8_S8_S8_EEEEPS9_S9_NSD_9__find_if7functorIS9_EEEE10hipError_tPvRmT1_T2_T3_mT4_P12ihipStream_tbEUlT_E0_NS1_11comp_targetILNS1_3genE10ELNS1_11target_archE1201ELNS1_3gpuE5ELNS1_3repE0EEENS1_30default_config_static_selectorELNS0_4arch9wavefront6targetE1EEEvS14_,comdat
.Lfunc_end71:
	.size	_ZN7rocprim17ROCPRIM_400000_NS6detail17trampoline_kernelINS0_14default_configENS1_22reduce_config_selectorIN6thrust23THRUST_200600_302600_NS5tupleIblNS6_9null_typeES8_S8_S8_S8_S8_S8_S8_EEEEZNS1_11reduce_implILb1ES3_NS6_12zip_iteratorINS7_INS6_11hip_rocprim26transform_input_iterator_tIbNSD_35transform_pair_of_input_iterators_tIbNS6_6detail15normal_iteratorINS6_10device_ptrIKxEEEESL_NS6_8equal_toIxEEEENSG_9not_fun_tINSD_8identityEEEEENSD_19counting_iterator_tIlEES8_S8_S8_S8_S8_S8_S8_S8_EEEEPS9_S9_NSD_9__find_if7functorIS9_EEEE10hipError_tPvRmT1_T2_T3_mT4_P12ihipStream_tbEUlT_E0_NS1_11comp_targetILNS1_3genE10ELNS1_11target_archE1201ELNS1_3gpuE5ELNS1_3repE0EEENS1_30default_config_static_selectorELNS0_4arch9wavefront6targetE1EEEvS14_, .Lfunc_end71-_ZN7rocprim17ROCPRIM_400000_NS6detail17trampoline_kernelINS0_14default_configENS1_22reduce_config_selectorIN6thrust23THRUST_200600_302600_NS5tupleIblNS6_9null_typeES8_S8_S8_S8_S8_S8_S8_EEEEZNS1_11reduce_implILb1ES3_NS6_12zip_iteratorINS7_INS6_11hip_rocprim26transform_input_iterator_tIbNSD_35transform_pair_of_input_iterators_tIbNS6_6detail15normal_iteratorINS6_10device_ptrIKxEEEESL_NS6_8equal_toIxEEEENSG_9not_fun_tINSD_8identityEEEEENSD_19counting_iterator_tIlEES8_S8_S8_S8_S8_S8_S8_S8_EEEEPS9_S9_NSD_9__find_if7functorIS9_EEEE10hipError_tPvRmT1_T2_T3_mT4_P12ihipStream_tbEUlT_E0_NS1_11comp_targetILNS1_3genE10ELNS1_11target_archE1201ELNS1_3gpuE5ELNS1_3repE0EEENS1_30default_config_static_selectorELNS0_4arch9wavefront6targetE1EEEvS14_
                                        ; -- End function
	.section	.AMDGPU.csdata,"",@progbits
; Kernel info:
; codeLenInByte = 0
; NumSgprs: 6
; NumVgprs: 0
; NumAgprs: 0
; TotalNumVgprs: 0
; ScratchSize: 0
; MemoryBound: 0
; FloatMode: 240
; IeeeMode: 1
; LDSByteSize: 0 bytes/workgroup (compile time only)
; SGPRBlocks: 0
; VGPRBlocks: 0
; NumSGPRsForWavesPerEU: 6
; NumVGPRsForWavesPerEU: 1
; AccumOffset: 4
; Occupancy: 8
; WaveLimiterHint : 0
; COMPUTE_PGM_RSRC2:SCRATCH_EN: 0
; COMPUTE_PGM_RSRC2:USER_SGPR: 2
; COMPUTE_PGM_RSRC2:TRAP_HANDLER: 0
; COMPUTE_PGM_RSRC2:TGID_X_EN: 1
; COMPUTE_PGM_RSRC2:TGID_Y_EN: 0
; COMPUTE_PGM_RSRC2:TGID_Z_EN: 0
; COMPUTE_PGM_RSRC2:TIDIG_COMP_CNT: 0
; COMPUTE_PGM_RSRC3_GFX90A:ACCUM_OFFSET: 0
; COMPUTE_PGM_RSRC3_GFX90A:TG_SPLIT: 0
	.section	.text._ZN7rocprim17ROCPRIM_400000_NS6detail17trampoline_kernelINS0_14default_configENS1_22reduce_config_selectorIN6thrust23THRUST_200600_302600_NS5tupleIblNS6_9null_typeES8_S8_S8_S8_S8_S8_S8_EEEEZNS1_11reduce_implILb1ES3_NS6_12zip_iteratorINS7_INS6_11hip_rocprim26transform_input_iterator_tIbNSD_35transform_pair_of_input_iterators_tIbNS6_6detail15normal_iteratorINS6_10device_ptrIKxEEEESL_NS6_8equal_toIxEEEENSG_9not_fun_tINSD_8identityEEEEENSD_19counting_iterator_tIlEES8_S8_S8_S8_S8_S8_S8_S8_EEEEPS9_S9_NSD_9__find_if7functorIS9_EEEE10hipError_tPvRmT1_T2_T3_mT4_P12ihipStream_tbEUlT_E0_NS1_11comp_targetILNS1_3genE10ELNS1_11target_archE1200ELNS1_3gpuE4ELNS1_3repE0EEENS1_30default_config_static_selectorELNS0_4arch9wavefront6targetE1EEEvS14_,"axG",@progbits,_ZN7rocprim17ROCPRIM_400000_NS6detail17trampoline_kernelINS0_14default_configENS1_22reduce_config_selectorIN6thrust23THRUST_200600_302600_NS5tupleIblNS6_9null_typeES8_S8_S8_S8_S8_S8_S8_EEEEZNS1_11reduce_implILb1ES3_NS6_12zip_iteratorINS7_INS6_11hip_rocprim26transform_input_iterator_tIbNSD_35transform_pair_of_input_iterators_tIbNS6_6detail15normal_iteratorINS6_10device_ptrIKxEEEESL_NS6_8equal_toIxEEEENSG_9not_fun_tINSD_8identityEEEEENSD_19counting_iterator_tIlEES8_S8_S8_S8_S8_S8_S8_S8_EEEEPS9_S9_NSD_9__find_if7functorIS9_EEEE10hipError_tPvRmT1_T2_T3_mT4_P12ihipStream_tbEUlT_E0_NS1_11comp_targetILNS1_3genE10ELNS1_11target_archE1200ELNS1_3gpuE4ELNS1_3repE0EEENS1_30default_config_static_selectorELNS0_4arch9wavefront6targetE1EEEvS14_,comdat
	.protected	_ZN7rocprim17ROCPRIM_400000_NS6detail17trampoline_kernelINS0_14default_configENS1_22reduce_config_selectorIN6thrust23THRUST_200600_302600_NS5tupleIblNS6_9null_typeES8_S8_S8_S8_S8_S8_S8_EEEEZNS1_11reduce_implILb1ES3_NS6_12zip_iteratorINS7_INS6_11hip_rocprim26transform_input_iterator_tIbNSD_35transform_pair_of_input_iterators_tIbNS6_6detail15normal_iteratorINS6_10device_ptrIKxEEEESL_NS6_8equal_toIxEEEENSG_9not_fun_tINSD_8identityEEEEENSD_19counting_iterator_tIlEES8_S8_S8_S8_S8_S8_S8_S8_EEEEPS9_S9_NSD_9__find_if7functorIS9_EEEE10hipError_tPvRmT1_T2_T3_mT4_P12ihipStream_tbEUlT_E0_NS1_11comp_targetILNS1_3genE10ELNS1_11target_archE1200ELNS1_3gpuE4ELNS1_3repE0EEENS1_30default_config_static_selectorELNS0_4arch9wavefront6targetE1EEEvS14_ ; -- Begin function _ZN7rocprim17ROCPRIM_400000_NS6detail17trampoline_kernelINS0_14default_configENS1_22reduce_config_selectorIN6thrust23THRUST_200600_302600_NS5tupleIblNS6_9null_typeES8_S8_S8_S8_S8_S8_S8_EEEEZNS1_11reduce_implILb1ES3_NS6_12zip_iteratorINS7_INS6_11hip_rocprim26transform_input_iterator_tIbNSD_35transform_pair_of_input_iterators_tIbNS6_6detail15normal_iteratorINS6_10device_ptrIKxEEEESL_NS6_8equal_toIxEEEENSG_9not_fun_tINSD_8identityEEEEENSD_19counting_iterator_tIlEES8_S8_S8_S8_S8_S8_S8_S8_EEEEPS9_S9_NSD_9__find_if7functorIS9_EEEE10hipError_tPvRmT1_T2_T3_mT4_P12ihipStream_tbEUlT_E0_NS1_11comp_targetILNS1_3genE10ELNS1_11target_archE1200ELNS1_3gpuE4ELNS1_3repE0EEENS1_30default_config_static_selectorELNS0_4arch9wavefront6targetE1EEEvS14_
	.globl	_ZN7rocprim17ROCPRIM_400000_NS6detail17trampoline_kernelINS0_14default_configENS1_22reduce_config_selectorIN6thrust23THRUST_200600_302600_NS5tupleIblNS6_9null_typeES8_S8_S8_S8_S8_S8_S8_EEEEZNS1_11reduce_implILb1ES3_NS6_12zip_iteratorINS7_INS6_11hip_rocprim26transform_input_iterator_tIbNSD_35transform_pair_of_input_iterators_tIbNS6_6detail15normal_iteratorINS6_10device_ptrIKxEEEESL_NS6_8equal_toIxEEEENSG_9not_fun_tINSD_8identityEEEEENSD_19counting_iterator_tIlEES8_S8_S8_S8_S8_S8_S8_S8_EEEEPS9_S9_NSD_9__find_if7functorIS9_EEEE10hipError_tPvRmT1_T2_T3_mT4_P12ihipStream_tbEUlT_E0_NS1_11comp_targetILNS1_3genE10ELNS1_11target_archE1200ELNS1_3gpuE4ELNS1_3repE0EEENS1_30default_config_static_selectorELNS0_4arch9wavefront6targetE1EEEvS14_
	.p2align	8
	.type	_ZN7rocprim17ROCPRIM_400000_NS6detail17trampoline_kernelINS0_14default_configENS1_22reduce_config_selectorIN6thrust23THRUST_200600_302600_NS5tupleIblNS6_9null_typeES8_S8_S8_S8_S8_S8_S8_EEEEZNS1_11reduce_implILb1ES3_NS6_12zip_iteratorINS7_INS6_11hip_rocprim26transform_input_iterator_tIbNSD_35transform_pair_of_input_iterators_tIbNS6_6detail15normal_iteratorINS6_10device_ptrIKxEEEESL_NS6_8equal_toIxEEEENSG_9not_fun_tINSD_8identityEEEEENSD_19counting_iterator_tIlEES8_S8_S8_S8_S8_S8_S8_S8_EEEEPS9_S9_NSD_9__find_if7functorIS9_EEEE10hipError_tPvRmT1_T2_T3_mT4_P12ihipStream_tbEUlT_E0_NS1_11comp_targetILNS1_3genE10ELNS1_11target_archE1200ELNS1_3gpuE4ELNS1_3repE0EEENS1_30default_config_static_selectorELNS0_4arch9wavefront6targetE1EEEvS14_,@function
_ZN7rocprim17ROCPRIM_400000_NS6detail17trampoline_kernelINS0_14default_configENS1_22reduce_config_selectorIN6thrust23THRUST_200600_302600_NS5tupleIblNS6_9null_typeES8_S8_S8_S8_S8_S8_S8_EEEEZNS1_11reduce_implILb1ES3_NS6_12zip_iteratorINS7_INS6_11hip_rocprim26transform_input_iterator_tIbNSD_35transform_pair_of_input_iterators_tIbNS6_6detail15normal_iteratorINS6_10device_ptrIKxEEEESL_NS6_8equal_toIxEEEENSG_9not_fun_tINSD_8identityEEEEENSD_19counting_iterator_tIlEES8_S8_S8_S8_S8_S8_S8_S8_EEEEPS9_S9_NSD_9__find_if7functorIS9_EEEE10hipError_tPvRmT1_T2_T3_mT4_P12ihipStream_tbEUlT_E0_NS1_11comp_targetILNS1_3genE10ELNS1_11target_archE1200ELNS1_3gpuE4ELNS1_3repE0EEENS1_30default_config_static_selectorELNS0_4arch9wavefront6targetE1EEEvS14_: ; @_ZN7rocprim17ROCPRIM_400000_NS6detail17trampoline_kernelINS0_14default_configENS1_22reduce_config_selectorIN6thrust23THRUST_200600_302600_NS5tupleIblNS6_9null_typeES8_S8_S8_S8_S8_S8_S8_EEEEZNS1_11reduce_implILb1ES3_NS6_12zip_iteratorINS7_INS6_11hip_rocprim26transform_input_iterator_tIbNSD_35transform_pair_of_input_iterators_tIbNS6_6detail15normal_iteratorINS6_10device_ptrIKxEEEESL_NS6_8equal_toIxEEEENSG_9not_fun_tINSD_8identityEEEEENSD_19counting_iterator_tIlEES8_S8_S8_S8_S8_S8_S8_S8_EEEEPS9_S9_NSD_9__find_if7functorIS9_EEEE10hipError_tPvRmT1_T2_T3_mT4_P12ihipStream_tbEUlT_E0_NS1_11comp_targetILNS1_3genE10ELNS1_11target_archE1200ELNS1_3gpuE4ELNS1_3repE0EEENS1_30default_config_static_selectorELNS0_4arch9wavefront6targetE1EEEvS14_
; %bb.0:
	.section	.rodata,"a",@progbits
	.p2align	6, 0x0
	.amdhsa_kernel _ZN7rocprim17ROCPRIM_400000_NS6detail17trampoline_kernelINS0_14default_configENS1_22reduce_config_selectorIN6thrust23THRUST_200600_302600_NS5tupleIblNS6_9null_typeES8_S8_S8_S8_S8_S8_S8_EEEEZNS1_11reduce_implILb1ES3_NS6_12zip_iteratorINS7_INS6_11hip_rocprim26transform_input_iterator_tIbNSD_35transform_pair_of_input_iterators_tIbNS6_6detail15normal_iteratorINS6_10device_ptrIKxEEEESL_NS6_8equal_toIxEEEENSG_9not_fun_tINSD_8identityEEEEENSD_19counting_iterator_tIlEES8_S8_S8_S8_S8_S8_S8_S8_EEEEPS9_S9_NSD_9__find_if7functorIS9_EEEE10hipError_tPvRmT1_T2_T3_mT4_P12ihipStream_tbEUlT_E0_NS1_11comp_targetILNS1_3genE10ELNS1_11target_archE1200ELNS1_3gpuE4ELNS1_3repE0EEENS1_30default_config_static_selectorELNS0_4arch9wavefront6targetE1EEEvS14_
		.amdhsa_group_segment_fixed_size 0
		.amdhsa_private_segment_fixed_size 0
		.amdhsa_kernarg_size 104
		.amdhsa_user_sgpr_count 2
		.amdhsa_user_sgpr_dispatch_ptr 0
		.amdhsa_user_sgpr_queue_ptr 0
		.amdhsa_user_sgpr_kernarg_segment_ptr 1
		.amdhsa_user_sgpr_dispatch_id 0
		.amdhsa_user_sgpr_kernarg_preload_length 0
		.amdhsa_user_sgpr_kernarg_preload_offset 0
		.amdhsa_user_sgpr_private_segment_size 0
		.amdhsa_uses_dynamic_stack 0
		.amdhsa_enable_private_segment 0
		.amdhsa_system_sgpr_workgroup_id_x 1
		.amdhsa_system_sgpr_workgroup_id_y 0
		.amdhsa_system_sgpr_workgroup_id_z 0
		.amdhsa_system_sgpr_workgroup_info 0
		.amdhsa_system_vgpr_workitem_id 0
		.amdhsa_next_free_vgpr 1
		.amdhsa_next_free_sgpr 0
		.amdhsa_accum_offset 4
		.amdhsa_reserve_vcc 0
		.amdhsa_float_round_mode_32 0
		.amdhsa_float_round_mode_16_64 0
		.amdhsa_float_denorm_mode_32 3
		.amdhsa_float_denorm_mode_16_64 3
		.amdhsa_dx10_clamp 1
		.amdhsa_ieee_mode 1
		.amdhsa_fp16_overflow 0
		.amdhsa_tg_split 0
		.amdhsa_exception_fp_ieee_invalid_op 0
		.amdhsa_exception_fp_denorm_src 0
		.amdhsa_exception_fp_ieee_div_zero 0
		.amdhsa_exception_fp_ieee_overflow 0
		.amdhsa_exception_fp_ieee_underflow 0
		.amdhsa_exception_fp_ieee_inexact 0
		.amdhsa_exception_int_div_zero 0
	.end_amdhsa_kernel
	.section	.text._ZN7rocprim17ROCPRIM_400000_NS6detail17trampoline_kernelINS0_14default_configENS1_22reduce_config_selectorIN6thrust23THRUST_200600_302600_NS5tupleIblNS6_9null_typeES8_S8_S8_S8_S8_S8_S8_EEEEZNS1_11reduce_implILb1ES3_NS6_12zip_iteratorINS7_INS6_11hip_rocprim26transform_input_iterator_tIbNSD_35transform_pair_of_input_iterators_tIbNS6_6detail15normal_iteratorINS6_10device_ptrIKxEEEESL_NS6_8equal_toIxEEEENSG_9not_fun_tINSD_8identityEEEEENSD_19counting_iterator_tIlEES8_S8_S8_S8_S8_S8_S8_S8_EEEEPS9_S9_NSD_9__find_if7functorIS9_EEEE10hipError_tPvRmT1_T2_T3_mT4_P12ihipStream_tbEUlT_E0_NS1_11comp_targetILNS1_3genE10ELNS1_11target_archE1200ELNS1_3gpuE4ELNS1_3repE0EEENS1_30default_config_static_selectorELNS0_4arch9wavefront6targetE1EEEvS14_,"axG",@progbits,_ZN7rocprim17ROCPRIM_400000_NS6detail17trampoline_kernelINS0_14default_configENS1_22reduce_config_selectorIN6thrust23THRUST_200600_302600_NS5tupleIblNS6_9null_typeES8_S8_S8_S8_S8_S8_S8_EEEEZNS1_11reduce_implILb1ES3_NS6_12zip_iteratorINS7_INS6_11hip_rocprim26transform_input_iterator_tIbNSD_35transform_pair_of_input_iterators_tIbNS6_6detail15normal_iteratorINS6_10device_ptrIKxEEEESL_NS6_8equal_toIxEEEENSG_9not_fun_tINSD_8identityEEEEENSD_19counting_iterator_tIlEES8_S8_S8_S8_S8_S8_S8_S8_EEEEPS9_S9_NSD_9__find_if7functorIS9_EEEE10hipError_tPvRmT1_T2_T3_mT4_P12ihipStream_tbEUlT_E0_NS1_11comp_targetILNS1_3genE10ELNS1_11target_archE1200ELNS1_3gpuE4ELNS1_3repE0EEENS1_30default_config_static_selectorELNS0_4arch9wavefront6targetE1EEEvS14_,comdat
.Lfunc_end72:
	.size	_ZN7rocprim17ROCPRIM_400000_NS6detail17trampoline_kernelINS0_14default_configENS1_22reduce_config_selectorIN6thrust23THRUST_200600_302600_NS5tupleIblNS6_9null_typeES8_S8_S8_S8_S8_S8_S8_EEEEZNS1_11reduce_implILb1ES3_NS6_12zip_iteratorINS7_INS6_11hip_rocprim26transform_input_iterator_tIbNSD_35transform_pair_of_input_iterators_tIbNS6_6detail15normal_iteratorINS6_10device_ptrIKxEEEESL_NS6_8equal_toIxEEEENSG_9not_fun_tINSD_8identityEEEEENSD_19counting_iterator_tIlEES8_S8_S8_S8_S8_S8_S8_S8_EEEEPS9_S9_NSD_9__find_if7functorIS9_EEEE10hipError_tPvRmT1_T2_T3_mT4_P12ihipStream_tbEUlT_E0_NS1_11comp_targetILNS1_3genE10ELNS1_11target_archE1200ELNS1_3gpuE4ELNS1_3repE0EEENS1_30default_config_static_selectorELNS0_4arch9wavefront6targetE1EEEvS14_, .Lfunc_end72-_ZN7rocprim17ROCPRIM_400000_NS6detail17trampoline_kernelINS0_14default_configENS1_22reduce_config_selectorIN6thrust23THRUST_200600_302600_NS5tupleIblNS6_9null_typeES8_S8_S8_S8_S8_S8_S8_EEEEZNS1_11reduce_implILb1ES3_NS6_12zip_iteratorINS7_INS6_11hip_rocprim26transform_input_iterator_tIbNSD_35transform_pair_of_input_iterators_tIbNS6_6detail15normal_iteratorINS6_10device_ptrIKxEEEESL_NS6_8equal_toIxEEEENSG_9not_fun_tINSD_8identityEEEEENSD_19counting_iterator_tIlEES8_S8_S8_S8_S8_S8_S8_S8_EEEEPS9_S9_NSD_9__find_if7functorIS9_EEEE10hipError_tPvRmT1_T2_T3_mT4_P12ihipStream_tbEUlT_E0_NS1_11comp_targetILNS1_3genE10ELNS1_11target_archE1200ELNS1_3gpuE4ELNS1_3repE0EEENS1_30default_config_static_selectorELNS0_4arch9wavefront6targetE1EEEvS14_
                                        ; -- End function
	.section	.AMDGPU.csdata,"",@progbits
; Kernel info:
; codeLenInByte = 0
; NumSgprs: 6
; NumVgprs: 0
; NumAgprs: 0
; TotalNumVgprs: 0
; ScratchSize: 0
; MemoryBound: 0
; FloatMode: 240
; IeeeMode: 1
; LDSByteSize: 0 bytes/workgroup (compile time only)
; SGPRBlocks: 0
; VGPRBlocks: 0
; NumSGPRsForWavesPerEU: 6
; NumVGPRsForWavesPerEU: 1
; AccumOffset: 4
; Occupancy: 8
; WaveLimiterHint : 0
; COMPUTE_PGM_RSRC2:SCRATCH_EN: 0
; COMPUTE_PGM_RSRC2:USER_SGPR: 2
; COMPUTE_PGM_RSRC2:TRAP_HANDLER: 0
; COMPUTE_PGM_RSRC2:TGID_X_EN: 1
; COMPUTE_PGM_RSRC2:TGID_Y_EN: 0
; COMPUTE_PGM_RSRC2:TGID_Z_EN: 0
; COMPUTE_PGM_RSRC2:TIDIG_COMP_CNT: 0
; COMPUTE_PGM_RSRC3_GFX90A:ACCUM_OFFSET: 0
; COMPUTE_PGM_RSRC3_GFX90A:TG_SPLIT: 0
	.section	.text._ZN7rocprim17ROCPRIM_400000_NS6detail17trampoline_kernelINS0_14default_configENS1_22reduce_config_selectorIN6thrust23THRUST_200600_302600_NS5tupleIblNS6_9null_typeES8_S8_S8_S8_S8_S8_S8_EEEEZNS1_11reduce_implILb1ES3_NS6_12zip_iteratorINS7_INS6_11hip_rocprim26transform_input_iterator_tIbNSD_35transform_pair_of_input_iterators_tIbNS6_6detail15normal_iteratorINS6_10device_ptrIKxEEEESL_NS6_8equal_toIxEEEENSG_9not_fun_tINSD_8identityEEEEENSD_19counting_iterator_tIlEES8_S8_S8_S8_S8_S8_S8_S8_EEEEPS9_S9_NSD_9__find_if7functorIS9_EEEE10hipError_tPvRmT1_T2_T3_mT4_P12ihipStream_tbEUlT_E0_NS1_11comp_targetILNS1_3genE9ELNS1_11target_archE1100ELNS1_3gpuE3ELNS1_3repE0EEENS1_30default_config_static_selectorELNS0_4arch9wavefront6targetE1EEEvS14_,"axG",@progbits,_ZN7rocprim17ROCPRIM_400000_NS6detail17trampoline_kernelINS0_14default_configENS1_22reduce_config_selectorIN6thrust23THRUST_200600_302600_NS5tupleIblNS6_9null_typeES8_S8_S8_S8_S8_S8_S8_EEEEZNS1_11reduce_implILb1ES3_NS6_12zip_iteratorINS7_INS6_11hip_rocprim26transform_input_iterator_tIbNSD_35transform_pair_of_input_iterators_tIbNS6_6detail15normal_iteratorINS6_10device_ptrIKxEEEESL_NS6_8equal_toIxEEEENSG_9not_fun_tINSD_8identityEEEEENSD_19counting_iterator_tIlEES8_S8_S8_S8_S8_S8_S8_S8_EEEEPS9_S9_NSD_9__find_if7functorIS9_EEEE10hipError_tPvRmT1_T2_T3_mT4_P12ihipStream_tbEUlT_E0_NS1_11comp_targetILNS1_3genE9ELNS1_11target_archE1100ELNS1_3gpuE3ELNS1_3repE0EEENS1_30default_config_static_selectorELNS0_4arch9wavefront6targetE1EEEvS14_,comdat
	.protected	_ZN7rocprim17ROCPRIM_400000_NS6detail17trampoline_kernelINS0_14default_configENS1_22reduce_config_selectorIN6thrust23THRUST_200600_302600_NS5tupleIblNS6_9null_typeES8_S8_S8_S8_S8_S8_S8_EEEEZNS1_11reduce_implILb1ES3_NS6_12zip_iteratorINS7_INS6_11hip_rocprim26transform_input_iterator_tIbNSD_35transform_pair_of_input_iterators_tIbNS6_6detail15normal_iteratorINS6_10device_ptrIKxEEEESL_NS6_8equal_toIxEEEENSG_9not_fun_tINSD_8identityEEEEENSD_19counting_iterator_tIlEES8_S8_S8_S8_S8_S8_S8_S8_EEEEPS9_S9_NSD_9__find_if7functorIS9_EEEE10hipError_tPvRmT1_T2_T3_mT4_P12ihipStream_tbEUlT_E0_NS1_11comp_targetILNS1_3genE9ELNS1_11target_archE1100ELNS1_3gpuE3ELNS1_3repE0EEENS1_30default_config_static_selectorELNS0_4arch9wavefront6targetE1EEEvS14_ ; -- Begin function _ZN7rocprim17ROCPRIM_400000_NS6detail17trampoline_kernelINS0_14default_configENS1_22reduce_config_selectorIN6thrust23THRUST_200600_302600_NS5tupleIblNS6_9null_typeES8_S8_S8_S8_S8_S8_S8_EEEEZNS1_11reduce_implILb1ES3_NS6_12zip_iteratorINS7_INS6_11hip_rocprim26transform_input_iterator_tIbNSD_35transform_pair_of_input_iterators_tIbNS6_6detail15normal_iteratorINS6_10device_ptrIKxEEEESL_NS6_8equal_toIxEEEENSG_9not_fun_tINSD_8identityEEEEENSD_19counting_iterator_tIlEES8_S8_S8_S8_S8_S8_S8_S8_EEEEPS9_S9_NSD_9__find_if7functorIS9_EEEE10hipError_tPvRmT1_T2_T3_mT4_P12ihipStream_tbEUlT_E0_NS1_11comp_targetILNS1_3genE9ELNS1_11target_archE1100ELNS1_3gpuE3ELNS1_3repE0EEENS1_30default_config_static_selectorELNS0_4arch9wavefront6targetE1EEEvS14_
	.globl	_ZN7rocprim17ROCPRIM_400000_NS6detail17trampoline_kernelINS0_14default_configENS1_22reduce_config_selectorIN6thrust23THRUST_200600_302600_NS5tupleIblNS6_9null_typeES8_S8_S8_S8_S8_S8_S8_EEEEZNS1_11reduce_implILb1ES3_NS6_12zip_iteratorINS7_INS6_11hip_rocprim26transform_input_iterator_tIbNSD_35transform_pair_of_input_iterators_tIbNS6_6detail15normal_iteratorINS6_10device_ptrIKxEEEESL_NS6_8equal_toIxEEEENSG_9not_fun_tINSD_8identityEEEEENSD_19counting_iterator_tIlEES8_S8_S8_S8_S8_S8_S8_S8_EEEEPS9_S9_NSD_9__find_if7functorIS9_EEEE10hipError_tPvRmT1_T2_T3_mT4_P12ihipStream_tbEUlT_E0_NS1_11comp_targetILNS1_3genE9ELNS1_11target_archE1100ELNS1_3gpuE3ELNS1_3repE0EEENS1_30default_config_static_selectorELNS0_4arch9wavefront6targetE1EEEvS14_
	.p2align	8
	.type	_ZN7rocprim17ROCPRIM_400000_NS6detail17trampoline_kernelINS0_14default_configENS1_22reduce_config_selectorIN6thrust23THRUST_200600_302600_NS5tupleIblNS6_9null_typeES8_S8_S8_S8_S8_S8_S8_EEEEZNS1_11reduce_implILb1ES3_NS6_12zip_iteratorINS7_INS6_11hip_rocprim26transform_input_iterator_tIbNSD_35transform_pair_of_input_iterators_tIbNS6_6detail15normal_iteratorINS6_10device_ptrIKxEEEESL_NS6_8equal_toIxEEEENSG_9not_fun_tINSD_8identityEEEEENSD_19counting_iterator_tIlEES8_S8_S8_S8_S8_S8_S8_S8_EEEEPS9_S9_NSD_9__find_if7functorIS9_EEEE10hipError_tPvRmT1_T2_T3_mT4_P12ihipStream_tbEUlT_E0_NS1_11comp_targetILNS1_3genE9ELNS1_11target_archE1100ELNS1_3gpuE3ELNS1_3repE0EEENS1_30default_config_static_selectorELNS0_4arch9wavefront6targetE1EEEvS14_,@function
_ZN7rocprim17ROCPRIM_400000_NS6detail17trampoline_kernelINS0_14default_configENS1_22reduce_config_selectorIN6thrust23THRUST_200600_302600_NS5tupleIblNS6_9null_typeES8_S8_S8_S8_S8_S8_S8_EEEEZNS1_11reduce_implILb1ES3_NS6_12zip_iteratorINS7_INS6_11hip_rocprim26transform_input_iterator_tIbNSD_35transform_pair_of_input_iterators_tIbNS6_6detail15normal_iteratorINS6_10device_ptrIKxEEEESL_NS6_8equal_toIxEEEENSG_9not_fun_tINSD_8identityEEEEENSD_19counting_iterator_tIlEES8_S8_S8_S8_S8_S8_S8_S8_EEEEPS9_S9_NSD_9__find_if7functorIS9_EEEE10hipError_tPvRmT1_T2_T3_mT4_P12ihipStream_tbEUlT_E0_NS1_11comp_targetILNS1_3genE9ELNS1_11target_archE1100ELNS1_3gpuE3ELNS1_3repE0EEENS1_30default_config_static_selectorELNS0_4arch9wavefront6targetE1EEEvS14_: ; @_ZN7rocprim17ROCPRIM_400000_NS6detail17trampoline_kernelINS0_14default_configENS1_22reduce_config_selectorIN6thrust23THRUST_200600_302600_NS5tupleIblNS6_9null_typeES8_S8_S8_S8_S8_S8_S8_EEEEZNS1_11reduce_implILb1ES3_NS6_12zip_iteratorINS7_INS6_11hip_rocprim26transform_input_iterator_tIbNSD_35transform_pair_of_input_iterators_tIbNS6_6detail15normal_iteratorINS6_10device_ptrIKxEEEESL_NS6_8equal_toIxEEEENSG_9not_fun_tINSD_8identityEEEEENSD_19counting_iterator_tIlEES8_S8_S8_S8_S8_S8_S8_S8_EEEEPS9_S9_NSD_9__find_if7functorIS9_EEEE10hipError_tPvRmT1_T2_T3_mT4_P12ihipStream_tbEUlT_E0_NS1_11comp_targetILNS1_3genE9ELNS1_11target_archE1100ELNS1_3gpuE3ELNS1_3repE0EEENS1_30default_config_static_selectorELNS0_4arch9wavefront6targetE1EEEvS14_
; %bb.0:
	.section	.rodata,"a",@progbits
	.p2align	6, 0x0
	.amdhsa_kernel _ZN7rocprim17ROCPRIM_400000_NS6detail17trampoline_kernelINS0_14default_configENS1_22reduce_config_selectorIN6thrust23THRUST_200600_302600_NS5tupleIblNS6_9null_typeES8_S8_S8_S8_S8_S8_S8_EEEEZNS1_11reduce_implILb1ES3_NS6_12zip_iteratorINS7_INS6_11hip_rocprim26transform_input_iterator_tIbNSD_35transform_pair_of_input_iterators_tIbNS6_6detail15normal_iteratorINS6_10device_ptrIKxEEEESL_NS6_8equal_toIxEEEENSG_9not_fun_tINSD_8identityEEEEENSD_19counting_iterator_tIlEES8_S8_S8_S8_S8_S8_S8_S8_EEEEPS9_S9_NSD_9__find_if7functorIS9_EEEE10hipError_tPvRmT1_T2_T3_mT4_P12ihipStream_tbEUlT_E0_NS1_11comp_targetILNS1_3genE9ELNS1_11target_archE1100ELNS1_3gpuE3ELNS1_3repE0EEENS1_30default_config_static_selectorELNS0_4arch9wavefront6targetE1EEEvS14_
		.amdhsa_group_segment_fixed_size 0
		.amdhsa_private_segment_fixed_size 0
		.amdhsa_kernarg_size 104
		.amdhsa_user_sgpr_count 2
		.amdhsa_user_sgpr_dispatch_ptr 0
		.amdhsa_user_sgpr_queue_ptr 0
		.amdhsa_user_sgpr_kernarg_segment_ptr 1
		.amdhsa_user_sgpr_dispatch_id 0
		.amdhsa_user_sgpr_kernarg_preload_length 0
		.amdhsa_user_sgpr_kernarg_preload_offset 0
		.amdhsa_user_sgpr_private_segment_size 0
		.amdhsa_uses_dynamic_stack 0
		.amdhsa_enable_private_segment 0
		.amdhsa_system_sgpr_workgroup_id_x 1
		.amdhsa_system_sgpr_workgroup_id_y 0
		.amdhsa_system_sgpr_workgroup_id_z 0
		.amdhsa_system_sgpr_workgroup_info 0
		.amdhsa_system_vgpr_workitem_id 0
		.amdhsa_next_free_vgpr 1
		.amdhsa_next_free_sgpr 0
		.amdhsa_accum_offset 4
		.amdhsa_reserve_vcc 0
		.amdhsa_float_round_mode_32 0
		.amdhsa_float_round_mode_16_64 0
		.amdhsa_float_denorm_mode_32 3
		.amdhsa_float_denorm_mode_16_64 3
		.amdhsa_dx10_clamp 1
		.amdhsa_ieee_mode 1
		.amdhsa_fp16_overflow 0
		.amdhsa_tg_split 0
		.amdhsa_exception_fp_ieee_invalid_op 0
		.amdhsa_exception_fp_denorm_src 0
		.amdhsa_exception_fp_ieee_div_zero 0
		.amdhsa_exception_fp_ieee_overflow 0
		.amdhsa_exception_fp_ieee_underflow 0
		.amdhsa_exception_fp_ieee_inexact 0
		.amdhsa_exception_int_div_zero 0
	.end_amdhsa_kernel
	.section	.text._ZN7rocprim17ROCPRIM_400000_NS6detail17trampoline_kernelINS0_14default_configENS1_22reduce_config_selectorIN6thrust23THRUST_200600_302600_NS5tupleIblNS6_9null_typeES8_S8_S8_S8_S8_S8_S8_EEEEZNS1_11reduce_implILb1ES3_NS6_12zip_iteratorINS7_INS6_11hip_rocprim26transform_input_iterator_tIbNSD_35transform_pair_of_input_iterators_tIbNS6_6detail15normal_iteratorINS6_10device_ptrIKxEEEESL_NS6_8equal_toIxEEEENSG_9not_fun_tINSD_8identityEEEEENSD_19counting_iterator_tIlEES8_S8_S8_S8_S8_S8_S8_S8_EEEEPS9_S9_NSD_9__find_if7functorIS9_EEEE10hipError_tPvRmT1_T2_T3_mT4_P12ihipStream_tbEUlT_E0_NS1_11comp_targetILNS1_3genE9ELNS1_11target_archE1100ELNS1_3gpuE3ELNS1_3repE0EEENS1_30default_config_static_selectorELNS0_4arch9wavefront6targetE1EEEvS14_,"axG",@progbits,_ZN7rocprim17ROCPRIM_400000_NS6detail17trampoline_kernelINS0_14default_configENS1_22reduce_config_selectorIN6thrust23THRUST_200600_302600_NS5tupleIblNS6_9null_typeES8_S8_S8_S8_S8_S8_S8_EEEEZNS1_11reduce_implILb1ES3_NS6_12zip_iteratorINS7_INS6_11hip_rocprim26transform_input_iterator_tIbNSD_35transform_pair_of_input_iterators_tIbNS6_6detail15normal_iteratorINS6_10device_ptrIKxEEEESL_NS6_8equal_toIxEEEENSG_9not_fun_tINSD_8identityEEEEENSD_19counting_iterator_tIlEES8_S8_S8_S8_S8_S8_S8_S8_EEEEPS9_S9_NSD_9__find_if7functorIS9_EEEE10hipError_tPvRmT1_T2_T3_mT4_P12ihipStream_tbEUlT_E0_NS1_11comp_targetILNS1_3genE9ELNS1_11target_archE1100ELNS1_3gpuE3ELNS1_3repE0EEENS1_30default_config_static_selectorELNS0_4arch9wavefront6targetE1EEEvS14_,comdat
.Lfunc_end73:
	.size	_ZN7rocprim17ROCPRIM_400000_NS6detail17trampoline_kernelINS0_14default_configENS1_22reduce_config_selectorIN6thrust23THRUST_200600_302600_NS5tupleIblNS6_9null_typeES8_S8_S8_S8_S8_S8_S8_EEEEZNS1_11reduce_implILb1ES3_NS6_12zip_iteratorINS7_INS6_11hip_rocprim26transform_input_iterator_tIbNSD_35transform_pair_of_input_iterators_tIbNS6_6detail15normal_iteratorINS6_10device_ptrIKxEEEESL_NS6_8equal_toIxEEEENSG_9not_fun_tINSD_8identityEEEEENSD_19counting_iterator_tIlEES8_S8_S8_S8_S8_S8_S8_S8_EEEEPS9_S9_NSD_9__find_if7functorIS9_EEEE10hipError_tPvRmT1_T2_T3_mT4_P12ihipStream_tbEUlT_E0_NS1_11comp_targetILNS1_3genE9ELNS1_11target_archE1100ELNS1_3gpuE3ELNS1_3repE0EEENS1_30default_config_static_selectorELNS0_4arch9wavefront6targetE1EEEvS14_, .Lfunc_end73-_ZN7rocprim17ROCPRIM_400000_NS6detail17trampoline_kernelINS0_14default_configENS1_22reduce_config_selectorIN6thrust23THRUST_200600_302600_NS5tupleIblNS6_9null_typeES8_S8_S8_S8_S8_S8_S8_EEEEZNS1_11reduce_implILb1ES3_NS6_12zip_iteratorINS7_INS6_11hip_rocprim26transform_input_iterator_tIbNSD_35transform_pair_of_input_iterators_tIbNS6_6detail15normal_iteratorINS6_10device_ptrIKxEEEESL_NS6_8equal_toIxEEEENSG_9not_fun_tINSD_8identityEEEEENSD_19counting_iterator_tIlEES8_S8_S8_S8_S8_S8_S8_S8_EEEEPS9_S9_NSD_9__find_if7functorIS9_EEEE10hipError_tPvRmT1_T2_T3_mT4_P12ihipStream_tbEUlT_E0_NS1_11comp_targetILNS1_3genE9ELNS1_11target_archE1100ELNS1_3gpuE3ELNS1_3repE0EEENS1_30default_config_static_selectorELNS0_4arch9wavefront6targetE1EEEvS14_
                                        ; -- End function
	.section	.AMDGPU.csdata,"",@progbits
; Kernel info:
; codeLenInByte = 0
; NumSgprs: 6
; NumVgprs: 0
; NumAgprs: 0
; TotalNumVgprs: 0
; ScratchSize: 0
; MemoryBound: 0
; FloatMode: 240
; IeeeMode: 1
; LDSByteSize: 0 bytes/workgroup (compile time only)
; SGPRBlocks: 0
; VGPRBlocks: 0
; NumSGPRsForWavesPerEU: 6
; NumVGPRsForWavesPerEU: 1
; AccumOffset: 4
; Occupancy: 8
; WaveLimiterHint : 0
; COMPUTE_PGM_RSRC2:SCRATCH_EN: 0
; COMPUTE_PGM_RSRC2:USER_SGPR: 2
; COMPUTE_PGM_RSRC2:TRAP_HANDLER: 0
; COMPUTE_PGM_RSRC2:TGID_X_EN: 1
; COMPUTE_PGM_RSRC2:TGID_Y_EN: 0
; COMPUTE_PGM_RSRC2:TGID_Z_EN: 0
; COMPUTE_PGM_RSRC2:TIDIG_COMP_CNT: 0
; COMPUTE_PGM_RSRC3_GFX90A:ACCUM_OFFSET: 0
; COMPUTE_PGM_RSRC3_GFX90A:TG_SPLIT: 0
	.section	.text._ZN7rocprim17ROCPRIM_400000_NS6detail17trampoline_kernelINS0_14default_configENS1_22reduce_config_selectorIN6thrust23THRUST_200600_302600_NS5tupleIblNS6_9null_typeES8_S8_S8_S8_S8_S8_S8_EEEEZNS1_11reduce_implILb1ES3_NS6_12zip_iteratorINS7_INS6_11hip_rocprim26transform_input_iterator_tIbNSD_35transform_pair_of_input_iterators_tIbNS6_6detail15normal_iteratorINS6_10device_ptrIKxEEEESL_NS6_8equal_toIxEEEENSG_9not_fun_tINSD_8identityEEEEENSD_19counting_iterator_tIlEES8_S8_S8_S8_S8_S8_S8_S8_EEEEPS9_S9_NSD_9__find_if7functorIS9_EEEE10hipError_tPvRmT1_T2_T3_mT4_P12ihipStream_tbEUlT_E0_NS1_11comp_targetILNS1_3genE8ELNS1_11target_archE1030ELNS1_3gpuE2ELNS1_3repE0EEENS1_30default_config_static_selectorELNS0_4arch9wavefront6targetE1EEEvS14_,"axG",@progbits,_ZN7rocprim17ROCPRIM_400000_NS6detail17trampoline_kernelINS0_14default_configENS1_22reduce_config_selectorIN6thrust23THRUST_200600_302600_NS5tupleIblNS6_9null_typeES8_S8_S8_S8_S8_S8_S8_EEEEZNS1_11reduce_implILb1ES3_NS6_12zip_iteratorINS7_INS6_11hip_rocprim26transform_input_iterator_tIbNSD_35transform_pair_of_input_iterators_tIbNS6_6detail15normal_iteratorINS6_10device_ptrIKxEEEESL_NS6_8equal_toIxEEEENSG_9not_fun_tINSD_8identityEEEEENSD_19counting_iterator_tIlEES8_S8_S8_S8_S8_S8_S8_S8_EEEEPS9_S9_NSD_9__find_if7functorIS9_EEEE10hipError_tPvRmT1_T2_T3_mT4_P12ihipStream_tbEUlT_E0_NS1_11comp_targetILNS1_3genE8ELNS1_11target_archE1030ELNS1_3gpuE2ELNS1_3repE0EEENS1_30default_config_static_selectorELNS0_4arch9wavefront6targetE1EEEvS14_,comdat
	.protected	_ZN7rocprim17ROCPRIM_400000_NS6detail17trampoline_kernelINS0_14default_configENS1_22reduce_config_selectorIN6thrust23THRUST_200600_302600_NS5tupleIblNS6_9null_typeES8_S8_S8_S8_S8_S8_S8_EEEEZNS1_11reduce_implILb1ES3_NS6_12zip_iteratorINS7_INS6_11hip_rocprim26transform_input_iterator_tIbNSD_35transform_pair_of_input_iterators_tIbNS6_6detail15normal_iteratorINS6_10device_ptrIKxEEEESL_NS6_8equal_toIxEEEENSG_9not_fun_tINSD_8identityEEEEENSD_19counting_iterator_tIlEES8_S8_S8_S8_S8_S8_S8_S8_EEEEPS9_S9_NSD_9__find_if7functorIS9_EEEE10hipError_tPvRmT1_T2_T3_mT4_P12ihipStream_tbEUlT_E0_NS1_11comp_targetILNS1_3genE8ELNS1_11target_archE1030ELNS1_3gpuE2ELNS1_3repE0EEENS1_30default_config_static_selectorELNS0_4arch9wavefront6targetE1EEEvS14_ ; -- Begin function _ZN7rocprim17ROCPRIM_400000_NS6detail17trampoline_kernelINS0_14default_configENS1_22reduce_config_selectorIN6thrust23THRUST_200600_302600_NS5tupleIblNS6_9null_typeES8_S8_S8_S8_S8_S8_S8_EEEEZNS1_11reduce_implILb1ES3_NS6_12zip_iteratorINS7_INS6_11hip_rocprim26transform_input_iterator_tIbNSD_35transform_pair_of_input_iterators_tIbNS6_6detail15normal_iteratorINS6_10device_ptrIKxEEEESL_NS6_8equal_toIxEEEENSG_9not_fun_tINSD_8identityEEEEENSD_19counting_iterator_tIlEES8_S8_S8_S8_S8_S8_S8_S8_EEEEPS9_S9_NSD_9__find_if7functorIS9_EEEE10hipError_tPvRmT1_T2_T3_mT4_P12ihipStream_tbEUlT_E0_NS1_11comp_targetILNS1_3genE8ELNS1_11target_archE1030ELNS1_3gpuE2ELNS1_3repE0EEENS1_30default_config_static_selectorELNS0_4arch9wavefront6targetE1EEEvS14_
	.globl	_ZN7rocprim17ROCPRIM_400000_NS6detail17trampoline_kernelINS0_14default_configENS1_22reduce_config_selectorIN6thrust23THRUST_200600_302600_NS5tupleIblNS6_9null_typeES8_S8_S8_S8_S8_S8_S8_EEEEZNS1_11reduce_implILb1ES3_NS6_12zip_iteratorINS7_INS6_11hip_rocprim26transform_input_iterator_tIbNSD_35transform_pair_of_input_iterators_tIbNS6_6detail15normal_iteratorINS6_10device_ptrIKxEEEESL_NS6_8equal_toIxEEEENSG_9not_fun_tINSD_8identityEEEEENSD_19counting_iterator_tIlEES8_S8_S8_S8_S8_S8_S8_S8_EEEEPS9_S9_NSD_9__find_if7functorIS9_EEEE10hipError_tPvRmT1_T2_T3_mT4_P12ihipStream_tbEUlT_E0_NS1_11comp_targetILNS1_3genE8ELNS1_11target_archE1030ELNS1_3gpuE2ELNS1_3repE0EEENS1_30default_config_static_selectorELNS0_4arch9wavefront6targetE1EEEvS14_
	.p2align	8
	.type	_ZN7rocprim17ROCPRIM_400000_NS6detail17trampoline_kernelINS0_14default_configENS1_22reduce_config_selectorIN6thrust23THRUST_200600_302600_NS5tupleIblNS6_9null_typeES8_S8_S8_S8_S8_S8_S8_EEEEZNS1_11reduce_implILb1ES3_NS6_12zip_iteratorINS7_INS6_11hip_rocprim26transform_input_iterator_tIbNSD_35transform_pair_of_input_iterators_tIbNS6_6detail15normal_iteratorINS6_10device_ptrIKxEEEESL_NS6_8equal_toIxEEEENSG_9not_fun_tINSD_8identityEEEEENSD_19counting_iterator_tIlEES8_S8_S8_S8_S8_S8_S8_S8_EEEEPS9_S9_NSD_9__find_if7functorIS9_EEEE10hipError_tPvRmT1_T2_T3_mT4_P12ihipStream_tbEUlT_E0_NS1_11comp_targetILNS1_3genE8ELNS1_11target_archE1030ELNS1_3gpuE2ELNS1_3repE0EEENS1_30default_config_static_selectorELNS0_4arch9wavefront6targetE1EEEvS14_,@function
_ZN7rocprim17ROCPRIM_400000_NS6detail17trampoline_kernelINS0_14default_configENS1_22reduce_config_selectorIN6thrust23THRUST_200600_302600_NS5tupleIblNS6_9null_typeES8_S8_S8_S8_S8_S8_S8_EEEEZNS1_11reduce_implILb1ES3_NS6_12zip_iteratorINS7_INS6_11hip_rocprim26transform_input_iterator_tIbNSD_35transform_pair_of_input_iterators_tIbNS6_6detail15normal_iteratorINS6_10device_ptrIKxEEEESL_NS6_8equal_toIxEEEENSG_9not_fun_tINSD_8identityEEEEENSD_19counting_iterator_tIlEES8_S8_S8_S8_S8_S8_S8_S8_EEEEPS9_S9_NSD_9__find_if7functorIS9_EEEE10hipError_tPvRmT1_T2_T3_mT4_P12ihipStream_tbEUlT_E0_NS1_11comp_targetILNS1_3genE8ELNS1_11target_archE1030ELNS1_3gpuE2ELNS1_3repE0EEENS1_30default_config_static_selectorELNS0_4arch9wavefront6targetE1EEEvS14_: ; @_ZN7rocprim17ROCPRIM_400000_NS6detail17trampoline_kernelINS0_14default_configENS1_22reduce_config_selectorIN6thrust23THRUST_200600_302600_NS5tupleIblNS6_9null_typeES8_S8_S8_S8_S8_S8_S8_EEEEZNS1_11reduce_implILb1ES3_NS6_12zip_iteratorINS7_INS6_11hip_rocprim26transform_input_iterator_tIbNSD_35transform_pair_of_input_iterators_tIbNS6_6detail15normal_iteratorINS6_10device_ptrIKxEEEESL_NS6_8equal_toIxEEEENSG_9not_fun_tINSD_8identityEEEEENSD_19counting_iterator_tIlEES8_S8_S8_S8_S8_S8_S8_S8_EEEEPS9_S9_NSD_9__find_if7functorIS9_EEEE10hipError_tPvRmT1_T2_T3_mT4_P12ihipStream_tbEUlT_E0_NS1_11comp_targetILNS1_3genE8ELNS1_11target_archE1030ELNS1_3gpuE2ELNS1_3repE0EEENS1_30default_config_static_selectorELNS0_4arch9wavefront6targetE1EEEvS14_
; %bb.0:
	.section	.rodata,"a",@progbits
	.p2align	6, 0x0
	.amdhsa_kernel _ZN7rocprim17ROCPRIM_400000_NS6detail17trampoline_kernelINS0_14default_configENS1_22reduce_config_selectorIN6thrust23THRUST_200600_302600_NS5tupleIblNS6_9null_typeES8_S8_S8_S8_S8_S8_S8_EEEEZNS1_11reduce_implILb1ES3_NS6_12zip_iteratorINS7_INS6_11hip_rocprim26transform_input_iterator_tIbNSD_35transform_pair_of_input_iterators_tIbNS6_6detail15normal_iteratorINS6_10device_ptrIKxEEEESL_NS6_8equal_toIxEEEENSG_9not_fun_tINSD_8identityEEEEENSD_19counting_iterator_tIlEES8_S8_S8_S8_S8_S8_S8_S8_EEEEPS9_S9_NSD_9__find_if7functorIS9_EEEE10hipError_tPvRmT1_T2_T3_mT4_P12ihipStream_tbEUlT_E0_NS1_11comp_targetILNS1_3genE8ELNS1_11target_archE1030ELNS1_3gpuE2ELNS1_3repE0EEENS1_30default_config_static_selectorELNS0_4arch9wavefront6targetE1EEEvS14_
		.amdhsa_group_segment_fixed_size 0
		.amdhsa_private_segment_fixed_size 0
		.amdhsa_kernarg_size 104
		.amdhsa_user_sgpr_count 2
		.amdhsa_user_sgpr_dispatch_ptr 0
		.amdhsa_user_sgpr_queue_ptr 0
		.amdhsa_user_sgpr_kernarg_segment_ptr 1
		.amdhsa_user_sgpr_dispatch_id 0
		.amdhsa_user_sgpr_kernarg_preload_length 0
		.amdhsa_user_sgpr_kernarg_preload_offset 0
		.amdhsa_user_sgpr_private_segment_size 0
		.amdhsa_uses_dynamic_stack 0
		.amdhsa_enable_private_segment 0
		.amdhsa_system_sgpr_workgroup_id_x 1
		.amdhsa_system_sgpr_workgroup_id_y 0
		.amdhsa_system_sgpr_workgroup_id_z 0
		.amdhsa_system_sgpr_workgroup_info 0
		.amdhsa_system_vgpr_workitem_id 0
		.amdhsa_next_free_vgpr 1
		.amdhsa_next_free_sgpr 0
		.amdhsa_accum_offset 4
		.amdhsa_reserve_vcc 0
		.amdhsa_float_round_mode_32 0
		.amdhsa_float_round_mode_16_64 0
		.amdhsa_float_denorm_mode_32 3
		.amdhsa_float_denorm_mode_16_64 3
		.amdhsa_dx10_clamp 1
		.amdhsa_ieee_mode 1
		.amdhsa_fp16_overflow 0
		.amdhsa_tg_split 0
		.amdhsa_exception_fp_ieee_invalid_op 0
		.amdhsa_exception_fp_denorm_src 0
		.amdhsa_exception_fp_ieee_div_zero 0
		.amdhsa_exception_fp_ieee_overflow 0
		.amdhsa_exception_fp_ieee_underflow 0
		.amdhsa_exception_fp_ieee_inexact 0
		.amdhsa_exception_int_div_zero 0
	.end_amdhsa_kernel
	.section	.text._ZN7rocprim17ROCPRIM_400000_NS6detail17trampoline_kernelINS0_14default_configENS1_22reduce_config_selectorIN6thrust23THRUST_200600_302600_NS5tupleIblNS6_9null_typeES8_S8_S8_S8_S8_S8_S8_EEEEZNS1_11reduce_implILb1ES3_NS6_12zip_iteratorINS7_INS6_11hip_rocprim26transform_input_iterator_tIbNSD_35transform_pair_of_input_iterators_tIbNS6_6detail15normal_iteratorINS6_10device_ptrIKxEEEESL_NS6_8equal_toIxEEEENSG_9not_fun_tINSD_8identityEEEEENSD_19counting_iterator_tIlEES8_S8_S8_S8_S8_S8_S8_S8_EEEEPS9_S9_NSD_9__find_if7functorIS9_EEEE10hipError_tPvRmT1_T2_T3_mT4_P12ihipStream_tbEUlT_E0_NS1_11comp_targetILNS1_3genE8ELNS1_11target_archE1030ELNS1_3gpuE2ELNS1_3repE0EEENS1_30default_config_static_selectorELNS0_4arch9wavefront6targetE1EEEvS14_,"axG",@progbits,_ZN7rocprim17ROCPRIM_400000_NS6detail17trampoline_kernelINS0_14default_configENS1_22reduce_config_selectorIN6thrust23THRUST_200600_302600_NS5tupleIblNS6_9null_typeES8_S8_S8_S8_S8_S8_S8_EEEEZNS1_11reduce_implILb1ES3_NS6_12zip_iteratorINS7_INS6_11hip_rocprim26transform_input_iterator_tIbNSD_35transform_pair_of_input_iterators_tIbNS6_6detail15normal_iteratorINS6_10device_ptrIKxEEEESL_NS6_8equal_toIxEEEENSG_9not_fun_tINSD_8identityEEEEENSD_19counting_iterator_tIlEES8_S8_S8_S8_S8_S8_S8_S8_EEEEPS9_S9_NSD_9__find_if7functorIS9_EEEE10hipError_tPvRmT1_T2_T3_mT4_P12ihipStream_tbEUlT_E0_NS1_11comp_targetILNS1_3genE8ELNS1_11target_archE1030ELNS1_3gpuE2ELNS1_3repE0EEENS1_30default_config_static_selectorELNS0_4arch9wavefront6targetE1EEEvS14_,comdat
.Lfunc_end74:
	.size	_ZN7rocprim17ROCPRIM_400000_NS6detail17trampoline_kernelINS0_14default_configENS1_22reduce_config_selectorIN6thrust23THRUST_200600_302600_NS5tupleIblNS6_9null_typeES8_S8_S8_S8_S8_S8_S8_EEEEZNS1_11reduce_implILb1ES3_NS6_12zip_iteratorINS7_INS6_11hip_rocprim26transform_input_iterator_tIbNSD_35transform_pair_of_input_iterators_tIbNS6_6detail15normal_iteratorINS6_10device_ptrIKxEEEESL_NS6_8equal_toIxEEEENSG_9not_fun_tINSD_8identityEEEEENSD_19counting_iterator_tIlEES8_S8_S8_S8_S8_S8_S8_S8_EEEEPS9_S9_NSD_9__find_if7functorIS9_EEEE10hipError_tPvRmT1_T2_T3_mT4_P12ihipStream_tbEUlT_E0_NS1_11comp_targetILNS1_3genE8ELNS1_11target_archE1030ELNS1_3gpuE2ELNS1_3repE0EEENS1_30default_config_static_selectorELNS0_4arch9wavefront6targetE1EEEvS14_, .Lfunc_end74-_ZN7rocprim17ROCPRIM_400000_NS6detail17trampoline_kernelINS0_14default_configENS1_22reduce_config_selectorIN6thrust23THRUST_200600_302600_NS5tupleIblNS6_9null_typeES8_S8_S8_S8_S8_S8_S8_EEEEZNS1_11reduce_implILb1ES3_NS6_12zip_iteratorINS7_INS6_11hip_rocprim26transform_input_iterator_tIbNSD_35transform_pair_of_input_iterators_tIbNS6_6detail15normal_iteratorINS6_10device_ptrIKxEEEESL_NS6_8equal_toIxEEEENSG_9not_fun_tINSD_8identityEEEEENSD_19counting_iterator_tIlEES8_S8_S8_S8_S8_S8_S8_S8_EEEEPS9_S9_NSD_9__find_if7functorIS9_EEEE10hipError_tPvRmT1_T2_T3_mT4_P12ihipStream_tbEUlT_E0_NS1_11comp_targetILNS1_3genE8ELNS1_11target_archE1030ELNS1_3gpuE2ELNS1_3repE0EEENS1_30default_config_static_selectorELNS0_4arch9wavefront6targetE1EEEvS14_
                                        ; -- End function
	.section	.AMDGPU.csdata,"",@progbits
; Kernel info:
; codeLenInByte = 0
; NumSgprs: 6
; NumVgprs: 0
; NumAgprs: 0
; TotalNumVgprs: 0
; ScratchSize: 0
; MemoryBound: 0
; FloatMode: 240
; IeeeMode: 1
; LDSByteSize: 0 bytes/workgroup (compile time only)
; SGPRBlocks: 0
; VGPRBlocks: 0
; NumSGPRsForWavesPerEU: 6
; NumVGPRsForWavesPerEU: 1
; AccumOffset: 4
; Occupancy: 8
; WaveLimiterHint : 0
; COMPUTE_PGM_RSRC2:SCRATCH_EN: 0
; COMPUTE_PGM_RSRC2:USER_SGPR: 2
; COMPUTE_PGM_RSRC2:TRAP_HANDLER: 0
; COMPUTE_PGM_RSRC2:TGID_X_EN: 1
; COMPUTE_PGM_RSRC2:TGID_Y_EN: 0
; COMPUTE_PGM_RSRC2:TGID_Z_EN: 0
; COMPUTE_PGM_RSRC2:TIDIG_COMP_CNT: 0
; COMPUTE_PGM_RSRC3_GFX90A:ACCUM_OFFSET: 0
; COMPUTE_PGM_RSRC3_GFX90A:TG_SPLIT: 0
	.section	.text._ZN7rocprim17ROCPRIM_400000_NS6detail17trampoline_kernelINS0_14default_configENS1_22reduce_config_selectorIN6thrust23THRUST_200600_302600_NS5tupleIblNS6_9null_typeES8_S8_S8_S8_S8_S8_S8_EEEEZNS1_11reduce_implILb1ES3_NS6_12zip_iteratorINS7_INS6_11hip_rocprim26transform_input_iterator_tIbNSD_35transform_pair_of_input_iterators_tIbNS6_6detail15normal_iteratorINS6_10device_ptrIKxEEEESL_NS6_8equal_toIxEEEENSG_9not_fun_tINSD_8identityEEEEENSD_19counting_iterator_tIlEES8_S8_S8_S8_S8_S8_S8_S8_EEEEPS9_S9_NSD_9__find_if7functorIS9_EEEE10hipError_tPvRmT1_T2_T3_mT4_P12ihipStream_tbEUlT_E1_NS1_11comp_targetILNS1_3genE0ELNS1_11target_archE4294967295ELNS1_3gpuE0ELNS1_3repE0EEENS1_30default_config_static_selectorELNS0_4arch9wavefront6targetE1EEEvS14_,"axG",@progbits,_ZN7rocprim17ROCPRIM_400000_NS6detail17trampoline_kernelINS0_14default_configENS1_22reduce_config_selectorIN6thrust23THRUST_200600_302600_NS5tupleIblNS6_9null_typeES8_S8_S8_S8_S8_S8_S8_EEEEZNS1_11reduce_implILb1ES3_NS6_12zip_iteratorINS7_INS6_11hip_rocprim26transform_input_iterator_tIbNSD_35transform_pair_of_input_iterators_tIbNS6_6detail15normal_iteratorINS6_10device_ptrIKxEEEESL_NS6_8equal_toIxEEEENSG_9not_fun_tINSD_8identityEEEEENSD_19counting_iterator_tIlEES8_S8_S8_S8_S8_S8_S8_S8_EEEEPS9_S9_NSD_9__find_if7functorIS9_EEEE10hipError_tPvRmT1_T2_T3_mT4_P12ihipStream_tbEUlT_E1_NS1_11comp_targetILNS1_3genE0ELNS1_11target_archE4294967295ELNS1_3gpuE0ELNS1_3repE0EEENS1_30default_config_static_selectorELNS0_4arch9wavefront6targetE1EEEvS14_,comdat
	.protected	_ZN7rocprim17ROCPRIM_400000_NS6detail17trampoline_kernelINS0_14default_configENS1_22reduce_config_selectorIN6thrust23THRUST_200600_302600_NS5tupleIblNS6_9null_typeES8_S8_S8_S8_S8_S8_S8_EEEEZNS1_11reduce_implILb1ES3_NS6_12zip_iteratorINS7_INS6_11hip_rocprim26transform_input_iterator_tIbNSD_35transform_pair_of_input_iterators_tIbNS6_6detail15normal_iteratorINS6_10device_ptrIKxEEEESL_NS6_8equal_toIxEEEENSG_9not_fun_tINSD_8identityEEEEENSD_19counting_iterator_tIlEES8_S8_S8_S8_S8_S8_S8_S8_EEEEPS9_S9_NSD_9__find_if7functorIS9_EEEE10hipError_tPvRmT1_T2_T3_mT4_P12ihipStream_tbEUlT_E1_NS1_11comp_targetILNS1_3genE0ELNS1_11target_archE4294967295ELNS1_3gpuE0ELNS1_3repE0EEENS1_30default_config_static_selectorELNS0_4arch9wavefront6targetE1EEEvS14_ ; -- Begin function _ZN7rocprim17ROCPRIM_400000_NS6detail17trampoline_kernelINS0_14default_configENS1_22reduce_config_selectorIN6thrust23THRUST_200600_302600_NS5tupleIblNS6_9null_typeES8_S8_S8_S8_S8_S8_S8_EEEEZNS1_11reduce_implILb1ES3_NS6_12zip_iteratorINS7_INS6_11hip_rocprim26transform_input_iterator_tIbNSD_35transform_pair_of_input_iterators_tIbNS6_6detail15normal_iteratorINS6_10device_ptrIKxEEEESL_NS6_8equal_toIxEEEENSG_9not_fun_tINSD_8identityEEEEENSD_19counting_iterator_tIlEES8_S8_S8_S8_S8_S8_S8_S8_EEEEPS9_S9_NSD_9__find_if7functorIS9_EEEE10hipError_tPvRmT1_T2_T3_mT4_P12ihipStream_tbEUlT_E1_NS1_11comp_targetILNS1_3genE0ELNS1_11target_archE4294967295ELNS1_3gpuE0ELNS1_3repE0EEENS1_30default_config_static_selectorELNS0_4arch9wavefront6targetE1EEEvS14_
	.globl	_ZN7rocprim17ROCPRIM_400000_NS6detail17trampoline_kernelINS0_14default_configENS1_22reduce_config_selectorIN6thrust23THRUST_200600_302600_NS5tupleIblNS6_9null_typeES8_S8_S8_S8_S8_S8_S8_EEEEZNS1_11reduce_implILb1ES3_NS6_12zip_iteratorINS7_INS6_11hip_rocprim26transform_input_iterator_tIbNSD_35transform_pair_of_input_iterators_tIbNS6_6detail15normal_iteratorINS6_10device_ptrIKxEEEESL_NS6_8equal_toIxEEEENSG_9not_fun_tINSD_8identityEEEEENSD_19counting_iterator_tIlEES8_S8_S8_S8_S8_S8_S8_S8_EEEEPS9_S9_NSD_9__find_if7functorIS9_EEEE10hipError_tPvRmT1_T2_T3_mT4_P12ihipStream_tbEUlT_E1_NS1_11comp_targetILNS1_3genE0ELNS1_11target_archE4294967295ELNS1_3gpuE0ELNS1_3repE0EEENS1_30default_config_static_selectorELNS0_4arch9wavefront6targetE1EEEvS14_
	.p2align	8
	.type	_ZN7rocprim17ROCPRIM_400000_NS6detail17trampoline_kernelINS0_14default_configENS1_22reduce_config_selectorIN6thrust23THRUST_200600_302600_NS5tupleIblNS6_9null_typeES8_S8_S8_S8_S8_S8_S8_EEEEZNS1_11reduce_implILb1ES3_NS6_12zip_iteratorINS7_INS6_11hip_rocprim26transform_input_iterator_tIbNSD_35transform_pair_of_input_iterators_tIbNS6_6detail15normal_iteratorINS6_10device_ptrIKxEEEESL_NS6_8equal_toIxEEEENSG_9not_fun_tINSD_8identityEEEEENSD_19counting_iterator_tIlEES8_S8_S8_S8_S8_S8_S8_S8_EEEEPS9_S9_NSD_9__find_if7functorIS9_EEEE10hipError_tPvRmT1_T2_T3_mT4_P12ihipStream_tbEUlT_E1_NS1_11comp_targetILNS1_3genE0ELNS1_11target_archE4294967295ELNS1_3gpuE0ELNS1_3repE0EEENS1_30default_config_static_selectorELNS0_4arch9wavefront6targetE1EEEvS14_,@function
_ZN7rocprim17ROCPRIM_400000_NS6detail17trampoline_kernelINS0_14default_configENS1_22reduce_config_selectorIN6thrust23THRUST_200600_302600_NS5tupleIblNS6_9null_typeES8_S8_S8_S8_S8_S8_S8_EEEEZNS1_11reduce_implILb1ES3_NS6_12zip_iteratorINS7_INS6_11hip_rocprim26transform_input_iterator_tIbNSD_35transform_pair_of_input_iterators_tIbNS6_6detail15normal_iteratorINS6_10device_ptrIKxEEEESL_NS6_8equal_toIxEEEENSG_9not_fun_tINSD_8identityEEEEENSD_19counting_iterator_tIlEES8_S8_S8_S8_S8_S8_S8_S8_EEEEPS9_S9_NSD_9__find_if7functorIS9_EEEE10hipError_tPvRmT1_T2_T3_mT4_P12ihipStream_tbEUlT_E1_NS1_11comp_targetILNS1_3genE0ELNS1_11target_archE4294967295ELNS1_3gpuE0ELNS1_3repE0EEENS1_30default_config_static_selectorELNS0_4arch9wavefront6targetE1EEEvS14_: ; @_ZN7rocprim17ROCPRIM_400000_NS6detail17trampoline_kernelINS0_14default_configENS1_22reduce_config_selectorIN6thrust23THRUST_200600_302600_NS5tupleIblNS6_9null_typeES8_S8_S8_S8_S8_S8_S8_EEEEZNS1_11reduce_implILb1ES3_NS6_12zip_iteratorINS7_INS6_11hip_rocprim26transform_input_iterator_tIbNSD_35transform_pair_of_input_iterators_tIbNS6_6detail15normal_iteratorINS6_10device_ptrIKxEEEESL_NS6_8equal_toIxEEEENSG_9not_fun_tINSD_8identityEEEEENSD_19counting_iterator_tIlEES8_S8_S8_S8_S8_S8_S8_S8_EEEEPS9_S9_NSD_9__find_if7functorIS9_EEEE10hipError_tPvRmT1_T2_T3_mT4_P12ihipStream_tbEUlT_E1_NS1_11comp_targetILNS1_3genE0ELNS1_11target_archE4294967295ELNS1_3gpuE0ELNS1_3repE0EEENS1_30default_config_static_selectorELNS0_4arch9wavefront6targetE1EEEvS14_
; %bb.0:
	.section	.rodata,"a",@progbits
	.p2align	6, 0x0
	.amdhsa_kernel _ZN7rocprim17ROCPRIM_400000_NS6detail17trampoline_kernelINS0_14default_configENS1_22reduce_config_selectorIN6thrust23THRUST_200600_302600_NS5tupleIblNS6_9null_typeES8_S8_S8_S8_S8_S8_S8_EEEEZNS1_11reduce_implILb1ES3_NS6_12zip_iteratorINS7_INS6_11hip_rocprim26transform_input_iterator_tIbNSD_35transform_pair_of_input_iterators_tIbNS6_6detail15normal_iteratorINS6_10device_ptrIKxEEEESL_NS6_8equal_toIxEEEENSG_9not_fun_tINSD_8identityEEEEENSD_19counting_iterator_tIlEES8_S8_S8_S8_S8_S8_S8_S8_EEEEPS9_S9_NSD_9__find_if7functorIS9_EEEE10hipError_tPvRmT1_T2_T3_mT4_P12ihipStream_tbEUlT_E1_NS1_11comp_targetILNS1_3genE0ELNS1_11target_archE4294967295ELNS1_3gpuE0ELNS1_3repE0EEENS1_30default_config_static_selectorELNS0_4arch9wavefront6targetE1EEEvS14_
		.amdhsa_group_segment_fixed_size 0
		.amdhsa_private_segment_fixed_size 0
		.amdhsa_kernarg_size 88
		.amdhsa_user_sgpr_count 2
		.amdhsa_user_sgpr_dispatch_ptr 0
		.amdhsa_user_sgpr_queue_ptr 0
		.amdhsa_user_sgpr_kernarg_segment_ptr 1
		.amdhsa_user_sgpr_dispatch_id 0
		.amdhsa_user_sgpr_kernarg_preload_length 0
		.amdhsa_user_sgpr_kernarg_preload_offset 0
		.amdhsa_user_sgpr_private_segment_size 0
		.amdhsa_uses_dynamic_stack 0
		.amdhsa_enable_private_segment 0
		.amdhsa_system_sgpr_workgroup_id_x 1
		.amdhsa_system_sgpr_workgroup_id_y 0
		.amdhsa_system_sgpr_workgroup_id_z 0
		.amdhsa_system_sgpr_workgroup_info 0
		.amdhsa_system_vgpr_workitem_id 0
		.amdhsa_next_free_vgpr 1
		.amdhsa_next_free_sgpr 0
		.amdhsa_accum_offset 4
		.amdhsa_reserve_vcc 0
		.amdhsa_float_round_mode_32 0
		.amdhsa_float_round_mode_16_64 0
		.amdhsa_float_denorm_mode_32 3
		.amdhsa_float_denorm_mode_16_64 3
		.amdhsa_dx10_clamp 1
		.amdhsa_ieee_mode 1
		.amdhsa_fp16_overflow 0
		.amdhsa_tg_split 0
		.amdhsa_exception_fp_ieee_invalid_op 0
		.amdhsa_exception_fp_denorm_src 0
		.amdhsa_exception_fp_ieee_div_zero 0
		.amdhsa_exception_fp_ieee_overflow 0
		.amdhsa_exception_fp_ieee_underflow 0
		.amdhsa_exception_fp_ieee_inexact 0
		.amdhsa_exception_int_div_zero 0
	.end_amdhsa_kernel
	.section	.text._ZN7rocprim17ROCPRIM_400000_NS6detail17trampoline_kernelINS0_14default_configENS1_22reduce_config_selectorIN6thrust23THRUST_200600_302600_NS5tupleIblNS6_9null_typeES8_S8_S8_S8_S8_S8_S8_EEEEZNS1_11reduce_implILb1ES3_NS6_12zip_iteratorINS7_INS6_11hip_rocprim26transform_input_iterator_tIbNSD_35transform_pair_of_input_iterators_tIbNS6_6detail15normal_iteratorINS6_10device_ptrIKxEEEESL_NS6_8equal_toIxEEEENSG_9not_fun_tINSD_8identityEEEEENSD_19counting_iterator_tIlEES8_S8_S8_S8_S8_S8_S8_S8_EEEEPS9_S9_NSD_9__find_if7functorIS9_EEEE10hipError_tPvRmT1_T2_T3_mT4_P12ihipStream_tbEUlT_E1_NS1_11comp_targetILNS1_3genE0ELNS1_11target_archE4294967295ELNS1_3gpuE0ELNS1_3repE0EEENS1_30default_config_static_selectorELNS0_4arch9wavefront6targetE1EEEvS14_,"axG",@progbits,_ZN7rocprim17ROCPRIM_400000_NS6detail17trampoline_kernelINS0_14default_configENS1_22reduce_config_selectorIN6thrust23THRUST_200600_302600_NS5tupleIblNS6_9null_typeES8_S8_S8_S8_S8_S8_S8_EEEEZNS1_11reduce_implILb1ES3_NS6_12zip_iteratorINS7_INS6_11hip_rocprim26transform_input_iterator_tIbNSD_35transform_pair_of_input_iterators_tIbNS6_6detail15normal_iteratorINS6_10device_ptrIKxEEEESL_NS6_8equal_toIxEEEENSG_9not_fun_tINSD_8identityEEEEENSD_19counting_iterator_tIlEES8_S8_S8_S8_S8_S8_S8_S8_EEEEPS9_S9_NSD_9__find_if7functorIS9_EEEE10hipError_tPvRmT1_T2_T3_mT4_P12ihipStream_tbEUlT_E1_NS1_11comp_targetILNS1_3genE0ELNS1_11target_archE4294967295ELNS1_3gpuE0ELNS1_3repE0EEENS1_30default_config_static_selectorELNS0_4arch9wavefront6targetE1EEEvS14_,comdat
.Lfunc_end75:
	.size	_ZN7rocprim17ROCPRIM_400000_NS6detail17trampoline_kernelINS0_14default_configENS1_22reduce_config_selectorIN6thrust23THRUST_200600_302600_NS5tupleIblNS6_9null_typeES8_S8_S8_S8_S8_S8_S8_EEEEZNS1_11reduce_implILb1ES3_NS6_12zip_iteratorINS7_INS6_11hip_rocprim26transform_input_iterator_tIbNSD_35transform_pair_of_input_iterators_tIbNS6_6detail15normal_iteratorINS6_10device_ptrIKxEEEESL_NS6_8equal_toIxEEEENSG_9not_fun_tINSD_8identityEEEEENSD_19counting_iterator_tIlEES8_S8_S8_S8_S8_S8_S8_S8_EEEEPS9_S9_NSD_9__find_if7functorIS9_EEEE10hipError_tPvRmT1_T2_T3_mT4_P12ihipStream_tbEUlT_E1_NS1_11comp_targetILNS1_3genE0ELNS1_11target_archE4294967295ELNS1_3gpuE0ELNS1_3repE0EEENS1_30default_config_static_selectorELNS0_4arch9wavefront6targetE1EEEvS14_, .Lfunc_end75-_ZN7rocprim17ROCPRIM_400000_NS6detail17trampoline_kernelINS0_14default_configENS1_22reduce_config_selectorIN6thrust23THRUST_200600_302600_NS5tupleIblNS6_9null_typeES8_S8_S8_S8_S8_S8_S8_EEEEZNS1_11reduce_implILb1ES3_NS6_12zip_iteratorINS7_INS6_11hip_rocprim26transform_input_iterator_tIbNSD_35transform_pair_of_input_iterators_tIbNS6_6detail15normal_iteratorINS6_10device_ptrIKxEEEESL_NS6_8equal_toIxEEEENSG_9not_fun_tINSD_8identityEEEEENSD_19counting_iterator_tIlEES8_S8_S8_S8_S8_S8_S8_S8_EEEEPS9_S9_NSD_9__find_if7functorIS9_EEEE10hipError_tPvRmT1_T2_T3_mT4_P12ihipStream_tbEUlT_E1_NS1_11comp_targetILNS1_3genE0ELNS1_11target_archE4294967295ELNS1_3gpuE0ELNS1_3repE0EEENS1_30default_config_static_selectorELNS0_4arch9wavefront6targetE1EEEvS14_
                                        ; -- End function
	.section	.AMDGPU.csdata,"",@progbits
; Kernel info:
; codeLenInByte = 0
; NumSgprs: 6
; NumVgprs: 0
; NumAgprs: 0
; TotalNumVgprs: 0
; ScratchSize: 0
; MemoryBound: 0
; FloatMode: 240
; IeeeMode: 1
; LDSByteSize: 0 bytes/workgroup (compile time only)
; SGPRBlocks: 0
; VGPRBlocks: 0
; NumSGPRsForWavesPerEU: 6
; NumVGPRsForWavesPerEU: 1
; AccumOffset: 4
; Occupancy: 8
; WaveLimiterHint : 0
; COMPUTE_PGM_RSRC2:SCRATCH_EN: 0
; COMPUTE_PGM_RSRC2:USER_SGPR: 2
; COMPUTE_PGM_RSRC2:TRAP_HANDLER: 0
; COMPUTE_PGM_RSRC2:TGID_X_EN: 1
; COMPUTE_PGM_RSRC2:TGID_Y_EN: 0
; COMPUTE_PGM_RSRC2:TGID_Z_EN: 0
; COMPUTE_PGM_RSRC2:TIDIG_COMP_CNT: 0
; COMPUTE_PGM_RSRC3_GFX90A:ACCUM_OFFSET: 0
; COMPUTE_PGM_RSRC3_GFX90A:TG_SPLIT: 0
	.section	.text._ZN7rocprim17ROCPRIM_400000_NS6detail17trampoline_kernelINS0_14default_configENS1_22reduce_config_selectorIN6thrust23THRUST_200600_302600_NS5tupleIblNS6_9null_typeES8_S8_S8_S8_S8_S8_S8_EEEEZNS1_11reduce_implILb1ES3_NS6_12zip_iteratorINS7_INS6_11hip_rocprim26transform_input_iterator_tIbNSD_35transform_pair_of_input_iterators_tIbNS6_6detail15normal_iteratorINS6_10device_ptrIKxEEEESL_NS6_8equal_toIxEEEENSG_9not_fun_tINSD_8identityEEEEENSD_19counting_iterator_tIlEES8_S8_S8_S8_S8_S8_S8_S8_EEEEPS9_S9_NSD_9__find_if7functorIS9_EEEE10hipError_tPvRmT1_T2_T3_mT4_P12ihipStream_tbEUlT_E1_NS1_11comp_targetILNS1_3genE5ELNS1_11target_archE942ELNS1_3gpuE9ELNS1_3repE0EEENS1_30default_config_static_selectorELNS0_4arch9wavefront6targetE1EEEvS14_,"axG",@progbits,_ZN7rocprim17ROCPRIM_400000_NS6detail17trampoline_kernelINS0_14default_configENS1_22reduce_config_selectorIN6thrust23THRUST_200600_302600_NS5tupleIblNS6_9null_typeES8_S8_S8_S8_S8_S8_S8_EEEEZNS1_11reduce_implILb1ES3_NS6_12zip_iteratorINS7_INS6_11hip_rocprim26transform_input_iterator_tIbNSD_35transform_pair_of_input_iterators_tIbNS6_6detail15normal_iteratorINS6_10device_ptrIKxEEEESL_NS6_8equal_toIxEEEENSG_9not_fun_tINSD_8identityEEEEENSD_19counting_iterator_tIlEES8_S8_S8_S8_S8_S8_S8_S8_EEEEPS9_S9_NSD_9__find_if7functorIS9_EEEE10hipError_tPvRmT1_T2_T3_mT4_P12ihipStream_tbEUlT_E1_NS1_11comp_targetILNS1_3genE5ELNS1_11target_archE942ELNS1_3gpuE9ELNS1_3repE0EEENS1_30default_config_static_selectorELNS0_4arch9wavefront6targetE1EEEvS14_,comdat
	.protected	_ZN7rocprim17ROCPRIM_400000_NS6detail17trampoline_kernelINS0_14default_configENS1_22reduce_config_selectorIN6thrust23THRUST_200600_302600_NS5tupleIblNS6_9null_typeES8_S8_S8_S8_S8_S8_S8_EEEEZNS1_11reduce_implILb1ES3_NS6_12zip_iteratorINS7_INS6_11hip_rocprim26transform_input_iterator_tIbNSD_35transform_pair_of_input_iterators_tIbNS6_6detail15normal_iteratorINS6_10device_ptrIKxEEEESL_NS6_8equal_toIxEEEENSG_9not_fun_tINSD_8identityEEEEENSD_19counting_iterator_tIlEES8_S8_S8_S8_S8_S8_S8_S8_EEEEPS9_S9_NSD_9__find_if7functorIS9_EEEE10hipError_tPvRmT1_T2_T3_mT4_P12ihipStream_tbEUlT_E1_NS1_11comp_targetILNS1_3genE5ELNS1_11target_archE942ELNS1_3gpuE9ELNS1_3repE0EEENS1_30default_config_static_selectorELNS0_4arch9wavefront6targetE1EEEvS14_ ; -- Begin function _ZN7rocprim17ROCPRIM_400000_NS6detail17trampoline_kernelINS0_14default_configENS1_22reduce_config_selectorIN6thrust23THRUST_200600_302600_NS5tupleIblNS6_9null_typeES8_S8_S8_S8_S8_S8_S8_EEEEZNS1_11reduce_implILb1ES3_NS6_12zip_iteratorINS7_INS6_11hip_rocprim26transform_input_iterator_tIbNSD_35transform_pair_of_input_iterators_tIbNS6_6detail15normal_iteratorINS6_10device_ptrIKxEEEESL_NS6_8equal_toIxEEEENSG_9not_fun_tINSD_8identityEEEEENSD_19counting_iterator_tIlEES8_S8_S8_S8_S8_S8_S8_S8_EEEEPS9_S9_NSD_9__find_if7functorIS9_EEEE10hipError_tPvRmT1_T2_T3_mT4_P12ihipStream_tbEUlT_E1_NS1_11comp_targetILNS1_3genE5ELNS1_11target_archE942ELNS1_3gpuE9ELNS1_3repE0EEENS1_30default_config_static_selectorELNS0_4arch9wavefront6targetE1EEEvS14_
	.globl	_ZN7rocprim17ROCPRIM_400000_NS6detail17trampoline_kernelINS0_14default_configENS1_22reduce_config_selectorIN6thrust23THRUST_200600_302600_NS5tupleIblNS6_9null_typeES8_S8_S8_S8_S8_S8_S8_EEEEZNS1_11reduce_implILb1ES3_NS6_12zip_iteratorINS7_INS6_11hip_rocprim26transform_input_iterator_tIbNSD_35transform_pair_of_input_iterators_tIbNS6_6detail15normal_iteratorINS6_10device_ptrIKxEEEESL_NS6_8equal_toIxEEEENSG_9not_fun_tINSD_8identityEEEEENSD_19counting_iterator_tIlEES8_S8_S8_S8_S8_S8_S8_S8_EEEEPS9_S9_NSD_9__find_if7functorIS9_EEEE10hipError_tPvRmT1_T2_T3_mT4_P12ihipStream_tbEUlT_E1_NS1_11comp_targetILNS1_3genE5ELNS1_11target_archE942ELNS1_3gpuE9ELNS1_3repE0EEENS1_30default_config_static_selectorELNS0_4arch9wavefront6targetE1EEEvS14_
	.p2align	8
	.type	_ZN7rocprim17ROCPRIM_400000_NS6detail17trampoline_kernelINS0_14default_configENS1_22reduce_config_selectorIN6thrust23THRUST_200600_302600_NS5tupleIblNS6_9null_typeES8_S8_S8_S8_S8_S8_S8_EEEEZNS1_11reduce_implILb1ES3_NS6_12zip_iteratorINS7_INS6_11hip_rocprim26transform_input_iterator_tIbNSD_35transform_pair_of_input_iterators_tIbNS6_6detail15normal_iteratorINS6_10device_ptrIKxEEEESL_NS6_8equal_toIxEEEENSG_9not_fun_tINSD_8identityEEEEENSD_19counting_iterator_tIlEES8_S8_S8_S8_S8_S8_S8_S8_EEEEPS9_S9_NSD_9__find_if7functorIS9_EEEE10hipError_tPvRmT1_T2_T3_mT4_P12ihipStream_tbEUlT_E1_NS1_11comp_targetILNS1_3genE5ELNS1_11target_archE942ELNS1_3gpuE9ELNS1_3repE0EEENS1_30default_config_static_selectorELNS0_4arch9wavefront6targetE1EEEvS14_,@function
_ZN7rocprim17ROCPRIM_400000_NS6detail17trampoline_kernelINS0_14default_configENS1_22reduce_config_selectorIN6thrust23THRUST_200600_302600_NS5tupleIblNS6_9null_typeES8_S8_S8_S8_S8_S8_S8_EEEEZNS1_11reduce_implILb1ES3_NS6_12zip_iteratorINS7_INS6_11hip_rocprim26transform_input_iterator_tIbNSD_35transform_pair_of_input_iterators_tIbNS6_6detail15normal_iteratorINS6_10device_ptrIKxEEEESL_NS6_8equal_toIxEEEENSG_9not_fun_tINSD_8identityEEEEENSD_19counting_iterator_tIlEES8_S8_S8_S8_S8_S8_S8_S8_EEEEPS9_S9_NSD_9__find_if7functorIS9_EEEE10hipError_tPvRmT1_T2_T3_mT4_P12ihipStream_tbEUlT_E1_NS1_11comp_targetILNS1_3genE5ELNS1_11target_archE942ELNS1_3gpuE9ELNS1_3repE0EEENS1_30default_config_static_selectorELNS0_4arch9wavefront6targetE1EEEvS14_: ; @_ZN7rocprim17ROCPRIM_400000_NS6detail17trampoline_kernelINS0_14default_configENS1_22reduce_config_selectorIN6thrust23THRUST_200600_302600_NS5tupleIblNS6_9null_typeES8_S8_S8_S8_S8_S8_S8_EEEEZNS1_11reduce_implILb1ES3_NS6_12zip_iteratorINS7_INS6_11hip_rocprim26transform_input_iterator_tIbNSD_35transform_pair_of_input_iterators_tIbNS6_6detail15normal_iteratorINS6_10device_ptrIKxEEEESL_NS6_8equal_toIxEEEENSG_9not_fun_tINSD_8identityEEEEENSD_19counting_iterator_tIlEES8_S8_S8_S8_S8_S8_S8_S8_EEEEPS9_S9_NSD_9__find_if7functorIS9_EEEE10hipError_tPvRmT1_T2_T3_mT4_P12ihipStream_tbEUlT_E1_NS1_11comp_targetILNS1_3genE5ELNS1_11target_archE942ELNS1_3gpuE9ELNS1_3repE0EEENS1_30default_config_static_selectorELNS0_4arch9wavefront6targetE1EEEvS14_
; %bb.0:
	s_load_dword s54, s[0:1], 0x4
	s_load_dwordx4 s[40:43], s[0:1], 0x8
	s_load_dwordx4 s[36:39], s[0:1], 0x28
	s_load_dword s33, s[0:1], 0x40
	s_load_dwordx2 s[44:45], s[0:1], 0x48
	s_waitcnt lgkmcnt(0)
	s_cmp_lt_i32 s54, 4
	s_cbranch_scc1 .LBB76_22
; %bb.1:
	s_cmp_gt_i32 s54, 7
	s_cbranch_scc0 .LBB76_23
; %bb.2:
	s_cmp_gt_i32 s54, 15
	s_cbranch_scc0 .LBB76_24
; %bb.3:
	s_cmp_eq_u32 s54, 16
	s_mov_b64 s[46:47], 0
	s_cbranch_scc0 .LBB76_25
; %bb.4:
	s_mov_b32 s3, 0
	s_lshl_b32 s24, s2, 12
	s_mov_b32 s25, s3
	s_lshr_b64 s[4:5], s[38:39], 12
	s_lshl_b64 s[6:7], s[24:25], 3
	s_add_u32 s34, s40, s6
	s_addc_u32 s35, s41, s7
	s_add_u32 s48, s42, s6
	s_addc_u32 s49, s43, s7
	;; [unrolled: 2-line block ×3, first 2 shown]
	s_cmp_lg_u64 s[4:5], s[2:3]
	s_cbranch_scc0 .LBB76_46
; %bb.5:
	v_mov_b32_e32 v1, 0
	v_lshlrev_b32_e32 v2, 3, v0
	v_mov_b32_e32 v3, v1
	v_lshl_add_u64 v[4:5], s[34:35], 0, v[2:3]
	v_add_co_u32_e32 v8, vcc, 0x1000, v4
	v_lshl_add_u64 v[6:7], s[48:49], 0, v[2:3]
	s_nop 0
	v_addc_co_u32_e32 v9, vcc, 0, v5, vcc
	v_add_co_u32_e32 v12, vcc, 0x1000, v6
	global_load_dwordx2 v[10:11], v[8:9], off
	s_nop 0
	v_addc_co_u32_e32 v13, vcc, 0, v7, vcc
	global_load_dwordx2 v[14:15], v[12:13], off
	v_add_co_u32_e32 v16, vcc, 0x2000, v4
	s_mov_b64 s[16:17], 0xe00
	s_nop 0
	v_addc_co_u32_e32 v17, vcc, 0, v5, vcc
	global_load_dwordx2 v[18:19], v[16:17], off
	v_add_co_u32_e32 v20, vcc, 0x2000, v6
	s_mov_b64 s[18:19], 0xf00
	s_nop 0
	v_addc_co_u32_e32 v21, vcc, 0, v7, vcc
	global_load_dwordx2 v[22:23], v[20:21], off
	global_load_dwordx2 v[24:25], v[8:9], off offset:2048
	global_load_dwordx2 v[26:27], v[12:13], off offset:2048
	v_add_co_u32_e32 v8, vcc, 0x3000, v4
	s_waitcnt vmcnt(4)
	v_cmp_ne_u64_e64 s[4:5], v[10:11], v[14:15]
	v_addc_co_u32_e32 v9, vcc, 0, v5, vcc
	v_add_co_u32_e32 v12, vcc, 0x3000, v6
	global_load_dwordx2 v[28:29], v[8:9], off
	s_nop 0
	v_addc_co_u32_e32 v13, vcc, 0, v7, vcc
	v_add_co_u32_e32 v30, vcc, 0x4000, v4
	global_load_dwordx2 v[32:33], v[12:13], off
	s_nop 0
	;; [unrolled: 4-line block ×6, first 2 shown]
	v_addc_co_u32_e32 v47, vcc, 0, v5, vcc
	v_add_co_u32_e32 v50, vcc, 0x6000, v6
	global_load_dwordx2 v[52:53], v[46:47], off
	global_load_dwordx2 v[54:55], v[46:47], off offset:2048
	v_addc_co_u32_e32 v51, vcc, 0, v7, vcc
	v_add_co_u32_e32 v4, vcc, 0x7000, v4
	global_load_dwordx2 v[46:47], v[50:51], off
	global_load_dwordx2 v[56:57], v[50:51], off offset:2048
	v_addc_co_u32_e32 v5, vcc, 0, v5, vcc
	global_load_dwordx2 v[10:11], v[4:5], off
	v_add_co_u32_e32 v6, vcc, 0x7000, v6
	s_waitcnt vmcnt(9)
	v_cmp_ne_u64_e64 s[6:7], v[28:29], v[32:33]
	v_addc_co_u32_e32 v7, vcc, 0, v7, vcc
	global_load_dwordx2 v[14:15], v[6:7], off
	global_load_dwordx2 v[50:51], v2, s[48:49] offset:2048
	global_load_dwordx2 v[58:59], v2, s[34:35] offset:2048
	global_load_dwordx2 v[60:61], v[4:5], off offset:2048
	global_load_dwordx2 v[62:63], v[6:7], off offset:2048
                                        ; kill: killed $vgpr6 killed $vgpr7
                                        ; kill: killed $vgpr4 killed $vgpr5
	s_nop 0
	global_load_dwordx2 v[4:5], v[16:17], off offset:2048
	global_load_dwordx2 v[6:7], v[20:21], off offset:2048
	v_cmp_ne_u64_e32 vcc, v[18:19], v[22:23]
	global_load_dwordx2 v[16:17], v2, s[48:49]
	global_load_dwordx2 v[18:19], v2, s[34:35]
	global_load_dwordx2 v[20:21], v[8:9], off offset:2048
	global_load_dwordx2 v[22:23], v[12:13], off offset:2048
                                        ; kill: killed $vgpr2
                                        ; kill: killed $vgpr8 killed $vgpr9
                                        ; kill: killed $vgpr12 killed $vgpr13
	s_nop 0
	global_load_dwordx2 v[2:3], v[30:31], off offset:2048
	global_load_dwordx2 v[8:9], v[34:35], off offset:2048
	;; [unrolled: 1-line block ×3, first 2 shown]
                                        ; kill: killed $vgpr38 killed $vgpr39
                                        ; kill: killed $vgpr34 killed $vgpr35
                                        ; kill: killed $vgpr30 killed $vgpr31
	s_nop 0
	global_load_dwordx2 v[30:31], v[42:43], off offset:2048
	v_lshl_add_u64 v[34:35], s[50:51], 0, v[0:1]
	v_lshl_add_u64 v[28:29], v[34:35], 0, s[16:17]
	s_waitcnt vmcnt(22)
	v_cmp_ne_u64_e64 s[8:9], v[36:37], v[40:41]
	s_waitcnt vmcnt(20)
	v_cmp_ne_u64_e64 s[10:11], v[44:45], v[48:49]
	;; [unrolled: 2-line block ×5, first 2 shown]
	v_mov_b32_e32 v16, 0x300
	v_cmp_ne_u64_e64 s[16:17], v[10:11], v[14:15]
	v_mov_b32_e32 v14, 0x200
	v_mov_b32_e32 v15, 0x100
	v_cmp_ne_u64_e64 s[20:21], v[58:59], v[50:51]
	v_lshl_add_u64 v[10:11], v[34:35], 0, s[18:19]
	v_cmp_ne_u64_e64 s[18:19], v[60:61], v[62:63]
	v_cndmask_b32_e64 v14, v14, v15, s[20:21]
	v_cndmask_b32_e64 v14, v14, 0, s[22:23]
	s_or_b64 s[22:23], s[22:23], s[20:21]
	v_mov_b32_e32 v15, 0x400
	v_cmp_ne_u64_e64 s[20:21], v[24:25], v[26:27]
	s_or_b64 s[4:5], s[22:23], s[4:5]
	s_nop 0
	v_cndmask_b32_e64 v15, v15, v16, s[20:21]
	v_cndmask_b32_e64 v14, v15, v14, s[4:5]
	s_or_b64 s[20:21], s[4:5], s[20:21]
	v_mov_b32_e32 v15, 0x600
	v_mov_b32_e32 v16, 0x500
	v_cmp_ne_u64_e64 s[4:5], v[4:5], v[6:7]
	s_or_b64 vcc, s[20:21], vcc
	v_mov_b32_e32 v5, 0x800
	v_cndmask_b32_e64 v4, v15, v16, s[4:5]
	v_cndmask_b32_e32 v4, v4, v14, vcc
	s_or_b64 s[4:5], vcc, s[4:5]
	v_mov_b32_e32 v6, 0x700
	s_waitcnt vmcnt(4)
	v_cmp_ne_u64_e32 vcc, v[20:21], v[22:23]
	s_or_b64 s[4:5], s[4:5], s[6:7]
	s_nop 0
	v_cndmask_b32_e32 v5, v5, v6, vcc
	v_cndmask_b32_e64 v4, v5, v4, s[4:5]
	s_or_b64 s[4:5], s[4:5], vcc
	v_mov_b32_e32 v5, 0xa00
	v_mov_b32_e32 v6, 0x900
	s_waitcnt vmcnt(2)
	v_cmp_ne_u64_e32 vcc, v[2:3], v[8:9]
	s_or_b64 s[4:5], s[4:5], s[8:9]
	v_mov_b32_e32 v3, 0xc00
	v_cndmask_b32_e32 v2, v5, v6, vcc
	v_cndmask_b32_e64 v2, v2, v4, s[4:5]
	s_or_b64 s[4:5], s[4:5], vcc
	v_mov_b32_e32 v4, 0xb00
	s_waitcnt vmcnt(0)
	v_cmp_ne_u64_e32 vcc, v[12:13], v[30:31]
	s_or_b64 s[4:5], s[4:5], s[10:11]
	s_nop 0
	v_cndmask_b32_e32 v3, v3, v4, vcc
	v_cndmask_b32_e64 v2, v3, v2, s[4:5]
	s_or_b64 s[4:5], s[4:5], vcc
	v_mov_b32_e32 v3, 0xd00
	s_or_b64 vcc, s[4:5], s[12:13]
	v_cndmask_b32_e32 v2, v3, v2, vcc
	v_mov_b32_e32 v3, v1
	v_lshl_add_u64 v[2:3], v[2:3], 0, v[34:35]
	v_cmp_lt_i64_e64 s[4:5], v[28:29], v[2:3]
	s_and_b64 s[4:5], s[16:17], s[4:5]
	s_or_b64 vcc, vcc, s[14:15]
	v_cndmask_b32_e64 v1, v2, v28, s[4:5]
	v_cndmask_b32_e64 v2, v3, v29, s[4:5]
	v_cndmask_b32_e32 v3, v29, v2, vcc
	v_cndmask_b32_e32 v2, v28, v1, vcc
	v_cmp_lt_i64_e64 s[4:5], v[10:11], v[2:3]
	s_and_b64 s[4:5], s[18:19], s[4:5]
	s_or_b64 vcc, vcc, s[16:17]
	v_cndmask_b32_e64 v1, v2, v10, s[4:5]
	v_cndmask_b32_e64 v2, v3, v11, s[4:5]
	s_or_b64 s[4:5], vcc, s[18:19]
	v_cndmask_b32_e32 v3, v11, v2, vcc
	v_cndmask_b32_e32 v2, v10, v1, vcc
	v_cndmask_b32_e64 v1, 0, 1, s[4:5]
	v_mov_b32_dpp v5, v3 quad_perm:[1,0,3,2] row_mask:0xf bank_mask:0xf bound_ctrl:1
	v_mov_b32_dpp v4, v2 quad_perm:[1,0,3,2] row_mask:0xf bank_mask:0xf bound_ctrl:1
	;; [unrolled: 1-line block ×3, first 2 shown]
	v_and_b32_e32 v7, 1, v6
	v_cmp_eq_u32_e32 vcc, 1, v7
	s_and_saveexec_b64 s[6:7], vcc
; %bb.6:
	v_cmp_lt_i64_e32 vcc, v[2:3], v[4:5]
	v_cndmask_b32_e64 v6, v6, 1, s[4:5]
	s_and_b64 vcc, s[4:5], vcc
	v_cndmask_b32_e32 v2, v4, v2, vcc
	v_and_b32_e32 v4, 1, v6
	v_cndmask_b32_e32 v3, v5, v3, vcc
	v_cmp_eq_u32_e32 vcc, 1, v4
	s_andn2_b64 s[4:5], s[4:5], exec
	s_and_b64 s[8:9], vcc, exec
	v_and_b32_e32 v1, 0xff, v6
	s_or_b64 s[4:5], s[4:5], s[8:9]
; %bb.7:
	s_or_b64 exec, exec, s[6:7]
	v_mov_b32_dpp v6, v1 quad_perm:[2,3,0,1] row_mask:0xf bank_mask:0xf bound_ctrl:1
	v_and_b32_e32 v7, 1, v6
	v_mov_b32_dpp v4, v2 quad_perm:[2,3,0,1] row_mask:0xf bank_mask:0xf bound_ctrl:1
	v_mov_b32_dpp v5, v3 quad_perm:[2,3,0,1] row_mask:0xf bank_mask:0xf bound_ctrl:1
	v_cmp_eq_u32_e32 vcc, 1, v7
	s_and_saveexec_b64 s[6:7], vcc
; %bb.8:
	v_cmp_lt_i64_e32 vcc, v[2:3], v[4:5]
	v_cndmask_b32_e64 v6, v6, 1, s[4:5]
	s_and_b64 vcc, s[4:5], vcc
	v_cndmask_b32_e32 v2, v4, v2, vcc
	v_and_b32_e32 v4, 1, v6
	v_cndmask_b32_e32 v3, v5, v3, vcc
	v_cmp_eq_u32_e32 vcc, 1, v4
	s_andn2_b64 s[4:5], s[4:5], exec
	s_and_b64 s[8:9], vcc, exec
	v_and_b32_e32 v1, 0xff, v6
	s_or_b64 s[4:5], s[4:5], s[8:9]
; %bb.9:
	s_or_b64 exec, exec, s[6:7]
	v_mov_b32_dpp v6, v1 row_ror:4 row_mask:0xf bank_mask:0xf bound_ctrl:1
	v_and_b32_e32 v7, 1, v6
	v_mov_b32_dpp v4, v2 row_ror:4 row_mask:0xf bank_mask:0xf bound_ctrl:1
	v_mov_b32_dpp v5, v3 row_ror:4 row_mask:0xf bank_mask:0xf bound_ctrl:1
	v_cmp_eq_u32_e32 vcc, 1, v7
	s_and_saveexec_b64 s[6:7], vcc
; %bb.10:
	v_cmp_lt_i64_e32 vcc, v[2:3], v[4:5]
	v_cndmask_b32_e64 v6, v6, 1, s[4:5]
	s_and_b64 vcc, s[4:5], vcc
	v_cndmask_b32_e32 v2, v4, v2, vcc
	v_and_b32_e32 v4, 1, v6
	v_cndmask_b32_e32 v3, v5, v3, vcc
	v_cmp_eq_u32_e32 vcc, 1, v4
	s_andn2_b64 s[4:5], s[4:5], exec
	s_and_b64 s[8:9], vcc, exec
	v_and_b32_e32 v1, 0xff, v6
	s_or_b64 s[4:5], s[4:5], s[8:9]
; %bb.11:
	s_or_b64 exec, exec, s[6:7]
	v_mov_b32_dpp v6, v1 row_ror:8 row_mask:0xf bank_mask:0xf bound_ctrl:1
	v_and_b32_e32 v7, 1, v6
	v_mov_b32_dpp v4, v2 row_ror:8 row_mask:0xf bank_mask:0xf bound_ctrl:1
	v_mov_b32_dpp v5, v3 row_ror:8 row_mask:0xf bank_mask:0xf bound_ctrl:1
	v_cmp_eq_u32_e32 vcc, 1, v7
	s_and_saveexec_b64 s[6:7], vcc
; %bb.12:
	v_cmp_lt_i64_e32 vcc, v[2:3], v[4:5]
	v_cndmask_b32_e64 v6, v6, 1, s[4:5]
	s_and_b64 vcc, s[4:5], vcc
	v_cndmask_b32_e32 v2, v4, v2, vcc
	v_and_b32_e32 v4, 1, v6
	v_cndmask_b32_e32 v3, v5, v3, vcc
	v_cmp_eq_u32_e32 vcc, 1, v4
	s_andn2_b64 s[4:5], s[4:5], exec
	s_and_b64 s[8:9], vcc, exec
	v_and_b32_e32 v1, 0xff, v6
	s_or_b64 s[4:5], s[4:5], s[8:9]
; %bb.13:
	s_or_b64 exec, exec, s[6:7]
	v_mov_b32_dpp v6, v1 row_bcast:15 row_mask:0xf bank_mask:0xf bound_ctrl:1
	v_and_b32_e32 v7, 1, v6
	v_mov_b32_dpp v4, v2 row_bcast:15 row_mask:0xf bank_mask:0xf bound_ctrl:1
	v_mov_b32_dpp v5, v3 row_bcast:15 row_mask:0xf bank_mask:0xf bound_ctrl:1
	v_cmp_eq_u32_e32 vcc, 1, v7
	s_and_saveexec_b64 s[6:7], vcc
; %bb.14:
	v_cmp_lt_i64_e32 vcc, v[2:3], v[4:5]
	v_cndmask_b32_e64 v6, v6, 1, s[4:5]
	s_and_b64 vcc, s[4:5], vcc
	v_cndmask_b32_e32 v2, v4, v2, vcc
	v_and_b32_e32 v4, 1, v6
	v_cndmask_b32_e32 v3, v5, v3, vcc
	v_cmp_eq_u32_e32 vcc, 1, v4
	s_andn2_b64 s[4:5], s[4:5], exec
	s_and_b64 s[8:9], vcc, exec
	v_and_b32_e32 v1, 0xff, v6
	s_or_b64 s[4:5], s[4:5], s[8:9]
; %bb.15:
	s_or_b64 exec, exec, s[6:7]
	v_mov_b32_dpp v6, v1 row_bcast:31 row_mask:0xf bank_mask:0xf bound_ctrl:1
	v_and_b32_e32 v7, 1, v6
	v_mov_b32_dpp v4, v2 row_bcast:31 row_mask:0xf bank_mask:0xf bound_ctrl:1
	v_mov_b32_dpp v5, v3 row_bcast:31 row_mask:0xf bank_mask:0xf bound_ctrl:1
	v_cmp_eq_u32_e32 vcc, 1, v7
	s_and_saveexec_b64 s[6:7], vcc
; %bb.16:
	v_cmp_lt_i64_e32 vcc, v[2:3], v[4:5]
	v_and_b32_e32 v1, 0xff, v6
	s_and_b64 vcc, s[4:5], vcc
	v_cndmask_b32_e32 v2, v4, v2, vcc
	v_cndmask_b32_e32 v3, v5, v3, vcc
	v_cndmask_b32_e64 v1, v1, 1, s[4:5]
; %bb.17:
	s_or_b64 exec, exec, s[6:7]
	v_mbcnt_lo_u32_b32 v4, -1, 0
	v_mbcnt_hi_u32_b32 v4, -1, v4
	v_bfrev_b32_e32 v5, 0.5
	v_lshl_or_b32 v5, v4, 2, v5
	ds_bpermute_b32 v7, v5, v1
	ds_bpermute_b32 v2, v5, v2
	;; [unrolled: 1-line block ×3, first 2 shown]
	v_cmp_eq_u32_e32 vcc, 0, v4
	s_and_saveexec_b64 s[4:5], vcc
	s_cbranch_execz .LBB76_19
; %bb.18:
	v_lshrrev_b32_e32 v1, 2, v0
	v_and_b32_e32 v1, 48, v1
	s_waitcnt lgkmcnt(2)
	ds_write_b8 v1, v7
	s_waitcnt lgkmcnt(1)
	ds_write_b64 v1, v[2:3] offset:8
.LBB76_19:
	s_or_b64 exec, exec, s[4:5]
	v_cmp_gt_u32_e32 vcc, 64, v0
	s_waitcnt lgkmcnt(0)
	s_barrier
	s_and_saveexec_b64 s[6:7], vcc
	s_cbranch_execz .LBB76_21
; %bb.20:
	v_and_b32_e32 v1, 3, v4
	v_lshlrev_b32_e32 v2, 4, v1
	ds_read_u8 v5, v2
	ds_read_b64 v[2:3], v2 offset:8
	v_cmp_ne_u32_e32 vcc, 3, v1
	s_waitcnt lgkmcnt(1)
	v_and_b32_e32 v7, 0xff, v5
	v_addc_co_u32_e32 v6, vcc, 0, v4, vcc
	v_lshlrev_b32_e32 v8, 2, v6
	ds_bpermute_b32 v9, v8, v7
	s_waitcnt lgkmcnt(1)
	ds_bpermute_b32 v6, v8, v2
	ds_bpermute_b32 v7, v8, v3
	v_and_b32_e32 v8, 1, v5
	s_waitcnt lgkmcnt(2)
	v_and_b32_e32 v10, 1, v9
	v_cmp_eq_u32_e64 s[4:5], 1, v10
	s_waitcnt lgkmcnt(0)
	v_cmp_lt_i64_e32 vcc, v[6:7], v[2:3]
	s_and_b64 vcc, s[4:5], vcc
	v_cndmask_b32_e64 v5, v5, 1, s[4:5]
	v_cndmask_b32_e32 v2, v2, v6, vcc
	v_cndmask_b32_e32 v3, v3, v7, vcc
	v_cmp_eq_u32_e32 vcc, 1, v8
	s_nop 1
	v_cndmask_b32_e32 v8, v9, v5, vcc
	v_cndmask_b32_e32 v3, v7, v3, vcc
	;; [unrolled: 1-line block ×3, first 2 shown]
	v_cmp_gt_u32_e32 vcc, 2, v1
	v_and_b32_e32 v5, 0xff, v8
	s_nop 0
	v_cndmask_b32_e64 v1, 0, 1, vcc
	v_lshlrev_b32_e32 v1, 1, v1
	v_add_lshl_u32 v1, v1, v4, 2
	ds_bpermute_b32 v6, v1, v5
	ds_bpermute_b32 v4, v1, v2
	;; [unrolled: 1-line block ×3, first 2 shown]
	v_and_b32_e32 v1, 1, v8
	s_waitcnt lgkmcnt(2)
	v_and_b32_e32 v7, 1, v6
	v_cmp_eq_u32_e64 s[4:5], 1, v7
	s_waitcnt lgkmcnt(0)
	v_cmp_lt_i64_e32 vcc, v[4:5], v[2:3]
	s_and_b64 vcc, s[4:5], vcc
	v_cndmask_b32_e64 v7, v8, 1, s[4:5]
	v_cndmask_b32_e32 v2, v2, v4, vcc
	v_cndmask_b32_e32 v3, v3, v5, vcc
	v_cmp_eq_u32_e32 vcc, 1, v1
	s_nop 1
	v_cndmask_b32_e32 v1, v6, v7, vcc
	v_cndmask_b32_e32 v3, v5, v3, vcc
	;; [unrolled: 1-line block ×3, first 2 shown]
	v_and_b32_e32 v7, 0xff, v1
.LBB76_21:
	s_or_b64 exec, exec, s[6:7]
	s_mov_b64 s[4:5], 0
	s_branch .LBB76_47
.LBB76_22:
	s_mov_b64 s[18:19], 0
                                        ; implicit-def: $vgpr4_vgpr5
                                        ; implicit-def: $vgpr1
	s_cbranch_execnz .LBB76_232
	s_branch .LBB76_307
.LBB76_23:
	s_mov_b64 s[18:19], 0
                                        ; implicit-def: $vgpr4_vgpr5
                                        ; implicit-def: $vgpr1
	s_cbranch_execnz .LBB76_173
	s_branch .LBB76_193
.LBB76_24:
	s_mov_b64 s[46:47], -1
.LBB76_25:
	s_mov_b64 s[18:19], 0
                                        ; implicit-def: $vgpr4_vgpr5
                                        ; implicit-def: $vgpr1
	s_and_b64 vcc, exec, s[46:47]
	s_cbranch_vccz .LBB76_121
.LBB76_26:
	s_cmp_eq_u32 s54, 8
	s_cbranch_scc0 .LBB76_45
; %bb.27:
	s_mov_b32 s3, 0
	s_lshl_b32 s10, s2, 11
	s_mov_b32 s11, s3
	s_lshr_b64 s[4:5], s[38:39], 11
	s_lshl_b64 s[6:7], s[10:11], 3
	s_add_u32 s16, s40, s6
	s_addc_u32 s17, s41, s7
	s_add_u32 s20, s42, s6
	s_addc_u32 s21, s43, s7
	;; [unrolled: 2-line block ×3, first 2 shown]
	s_cmp_lg_u64 s[4:5], s[2:3]
	s_cbranch_scc0 .LBB76_122
; %bb.28:
	v_mov_b32_e32 v1, 0
	v_lshlrev_b32_e32 v2, 3, v0
	v_mov_b32_e32 v3, v1
	s_waitcnt lgkmcnt(0)
	v_lshl_add_u64 v[4:5], s[16:17], 0, v[2:3]
	v_lshl_add_u64 v[6:7], s[20:21], 0, v[2:3]
	global_load_dwordx2 v[8:9], v2, s[16:17]
	global_load_dwordx2 v[10:11], v2, s[20:21] offset:2048
	global_load_dwordx2 v[12:13], v2, s[20:21]
	global_load_dwordx2 v[14:15], v2, s[16:17] offset:2048
	v_add_co_u32_e32 v2, vcc, 0x1000, v4
	v_mov_b32_e32 v38, 0x100
	s_nop 0
	v_addc_co_u32_e32 v3, vcc, 0, v5, vcc
	v_add_co_u32_e32 v16, vcc, 0x1000, v6
	v_mov_b32_e32 v39, 0x400
	s_nop 0
	v_addc_co_u32_e32 v17, vcc, 0, v7, vcc
	global_load_dwordx2 v[18:19], v[2:3], off
	global_load_dwordx2 v[20:21], v[2:3], off offset:2048
	global_load_dwordx2 v[22:23], v[16:17], off
	global_load_dwordx2 v[24:25], v[16:17], off offset:2048
	v_add_co_u32_e32 v2, vcc, 0x2000, v4
	v_mov_b32_e32 v40, 0x300
	s_nop 0
	v_addc_co_u32_e32 v3, vcc, 0, v5, vcc
	v_add_co_u32_e32 v16, vcc, 0x2000, v6
	v_mov_b32_e32 v41, 0x600
	s_nop 0
	v_addc_co_u32_e32 v17, vcc, 0, v7, vcc
	global_load_dwordx2 v[26:27], v[2:3], off
	global_load_dwordx2 v[28:29], v[2:3], off offset:2048
	global_load_dwordx2 v[30:31], v[16:17], off
	global_load_dwordx2 v[32:33], v[16:17], off offset:2048
	v_add_co_u32_e32 v2, vcc, 0x3000, v4
	v_mov_b32_e32 v42, 0x500
	s_nop 0
	v_addc_co_u32_e32 v3, vcc, 0, v5, vcc
	v_add_co_u32_e32 v4, vcc, 0x3000, v6
	v_mov_b32_e32 v43, 0x700
	s_nop 0
	v_addc_co_u32_e32 v5, vcc, 0, v7, vcc
	global_load_dwordx2 v[6:7], v[2:3], off
	global_load_dwordx2 v[16:17], v[2:3], off offset:2048
	global_load_dwordx2 v[34:35], v[4:5], off
	global_load_dwordx2 v[36:37], v[4:5], off offset:2048
	v_mov_b32_e32 v4, 0x200
	v_lshl_add_u64 v[2:3], s[22:23], 0, v[0:1]
	v_mov_b32_e32 v5, v1
	s_waitcnt vmcnt(13)
	v_cmp_ne_u64_e64 s[4:5], v[8:9], v[12:13]
	s_waitcnt vmcnt(12)
	v_cmp_ne_u64_e32 vcc, v[14:15], v[10:11]
	s_or_b64 s[6:7], s[4:5], vcc
	s_waitcnt vmcnt(0)
	v_cmp_ne_u64_e64 s[8:9], v[16:17], v[36:37]
	v_cndmask_b32_e32 v1, v4, v38, vcc
	v_cndmask_b32_e64 v1, v1, 0, s[4:5]
	v_cmp_ne_u64_e32 vcc, v[18:19], v[22:23]
	v_cmp_ne_u64_e64 s[4:5], v[20:21], v[24:25]
	s_or_b64 vcc, s[6:7], vcc
	v_cmp_ne_u64_e64 s[6:7], v[26:27], v[30:31]
	v_cndmask_b32_e64 v4, v39, v40, s[4:5]
	v_cndmask_b32_e32 v1, v4, v1, vcc
	s_or_b64 s[4:5], vcc, s[4:5]
	v_cmp_ne_u64_e32 vcc, v[28:29], v[32:33]
	s_or_b64 s[4:5], s[4:5], s[6:7]
	v_cmp_ne_u64_e64 s[6:7], v[6:7], v[34:35]
	v_cndmask_b32_e32 v4, v41, v42, vcc
	v_cndmask_b32_e64 v1, v4, v1, s[4:5]
	s_or_b64 s[4:5], s[4:5], vcc
	s_or_b64 vcc, s[4:5], s[6:7]
	s_or_b64 s[4:5], vcc, s[8:9]
	v_cndmask_b32_e32 v4, v43, v1, vcc
	v_cndmask_b32_e64 v1, 0, 1, s[4:5]
	v_lshl_add_u64 v[2:3], v[2:3], 0, v[4:5]
	s_nop 0
	v_mov_b32_dpp v6, v1 quad_perm:[1,0,3,2] row_mask:0xf bank_mask:0xf bound_ctrl:1
	v_and_b32_e32 v7, 1, v6
	v_mov_b32_dpp v4, v2 quad_perm:[1,0,3,2] row_mask:0xf bank_mask:0xf bound_ctrl:1
	v_mov_b32_dpp v5, v3 quad_perm:[1,0,3,2] row_mask:0xf bank_mask:0xf bound_ctrl:1
	v_cmp_eq_u32_e32 vcc, 1, v7
	s_and_saveexec_b64 s[6:7], vcc
; %bb.29:
	v_cmp_lt_i64_e32 vcc, v[2:3], v[4:5]
	v_cndmask_b32_e64 v6, v6, 1, s[4:5]
	s_and_b64 vcc, s[4:5], vcc
	v_cndmask_b32_e32 v2, v4, v2, vcc
	v_and_b32_e32 v4, 1, v6
	v_cndmask_b32_e32 v3, v5, v3, vcc
	v_cmp_eq_u32_e32 vcc, 1, v4
	s_andn2_b64 s[4:5], s[4:5], exec
	s_and_b64 s[8:9], vcc, exec
	v_and_b32_e32 v1, 0xff, v6
	s_or_b64 s[4:5], s[4:5], s[8:9]
; %bb.30:
	s_or_b64 exec, exec, s[6:7]
	v_mov_b32_dpp v6, v1 quad_perm:[2,3,0,1] row_mask:0xf bank_mask:0xf bound_ctrl:1
	v_and_b32_e32 v7, 1, v6
	v_mov_b32_dpp v4, v2 quad_perm:[2,3,0,1] row_mask:0xf bank_mask:0xf bound_ctrl:1
	v_mov_b32_dpp v5, v3 quad_perm:[2,3,0,1] row_mask:0xf bank_mask:0xf bound_ctrl:1
	v_cmp_eq_u32_e32 vcc, 1, v7
	s_and_saveexec_b64 s[6:7], vcc
; %bb.31:
	v_cmp_lt_i64_e32 vcc, v[2:3], v[4:5]
	v_cndmask_b32_e64 v6, v6, 1, s[4:5]
	s_and_b64 vcc, s[4:5], vcc
	v_cndmask_b32_e32 v2, v4, v2, vcc
	v_and_b32_e32 v4, 1, v6
	v_cndmask_b32_e32 v3, v5, v3, vcc
	v_cmp_eq_u32_e32 vcc, 1, v4
	s_andn2_b64 s[4:5], s[4:5], exec
	s_and_b64 s[8:9], vcc, exec
	v_and_b32_e32 v1, 0xff, v6
	s_or_b64 s[4:5], s[4:5], s[8:9]
; %bb.32:
	s_or_b64 exec, exec, s[6:7]
	v_mov_b32_dpp v6, v1 row_ror:4 row_mask:0xf bank_mask:0xf bound_ctrl:1
	v_and_b32_e32 v7, 1, v6
	v_mov_b32_dpp v4, v2 row_ror:4 row_mask:0xf bank_mask:0xf bound_ctrl:1
	v_mov_b32_dpp v5, v3 row_ror:4 row_mask:0xf bank_mask:0xf bound_ctrl:1
	v_cmp_eq_u32_e32 vcc, 1, v7
	s_and_saveexec_b64 s[6:7], vcc
; %bb.33:
	v_cmp_lt_i64_e32 vcc, v[2:3], v[4:5]
	v_cndmask_b32_e64 v6, v6, 1, s[4:5]
	s_and_b64 vcc, s[4:5], vcc
	v_cndmask_b32_e32 v2, v4, v2, vcc
	v_and_b32_e32 v4, 1, v6
	v_cndmask_b32_e32 v3, v5, v3, vcc
	v_cmp_eq_u32_e32 vcc, 1, v4
	s_andn2_b64 s[4:5], s[4:5], exec
	s_and_b64 s[8:9], vcc, exec
	v_and_b32_e32 v1, 0xff, v6
	s_or_b64 s[4:5], s[4:5], s[8:9]
; %bb.34:
	s_or_b64 exec, exec, s[6:7]
	v_mov_b32_dpp v6, v1 row_ror:8 row_mask:0xf bank_mask:0xf bound_ctrl:1
	v_and_b32_e32 v7, 1, v6
	v_mov_b32_dpp v4, v2 row_ror:8 row_mask:0xf bank_mask:0xf bound_ctrl:1
	v_mov_b32_dpp v5, v3 row_ror:8 row_mask:0xf bank_mask:0xf bound_ctrl:1
	v_cmp_eq_u32_e32 vcc, 1, v7
	s_and_saveexec_b64 s[6:7], vcc
; %bb.35:
	v_cmp_lt_i64_e32 vcc, v[2:3], v[4:5]
	v_cndmask_b32_e64 v6, v6, 1, s[4:5]
	s_and_b64 vcc, s[4:5], vcc
	v_cndmask_b32_e32 v2, v4, v2, vcc
	v_and_b32_e32 v4, 1, v6
	v_cndmask_b32_e32 v3, v5, v3, vcc
	v_cmp_eq_u32_e32 vcc, 1, v4
	s_andn2_b64 s[4:5], s[4:5], exec
	s_and_b64 s[8:9], vcc, exec
	v_and_b32_e32 v1, 0xff, v6
	s_or_b64 s[4:5], s[4:5], s[8:9]
; %bb.36:
	s_or_b64 exec, exec, s[6:7]
	v_mov_b32_dpp v6, v1 row_bcast:15 row_mask:0xf bank_mask:0xf bound_ctrl:1
	v_and_b32_e32 v7, 1, v6
	v_mov_b32_dpp v4, v2 row_bcast:15 row_mask:0xf bank_mask:0xf bound_ctrl:1
	v_mov_b32_dpp v5, v3 row_bcast:15 row_mask:0xf bank_mask:0xf bound_ctrl:1
	v_cmp_eq_u32_e32 vcc, 1, v7
	s_and_saveexec_b64 s[6:7], vcc
; %bb.37:
	v_cmp_lt_i64_e32 vcc, v[2:3], v[4:5]
	v_cndmask_b32_e64 v6, v6, 1, s[4:5]
	s_and_b64 vcc, s[4:5], vcc
	v_cndmask_b32_e32 v2, v4, v2, vcc
	v_and_b32_e32 v4, 1, v6
	v_cndmask_b32_e32 v3, v5, v3, vcc
	v_cmp_eq_u32_e32 vcc, 1, v4
	s_andn2_b64 s[4:5], s[4:5], exec
	s_and_b64 s[8:9], vcc, exec
	v_and_b32_e32 v1, 0xff, v6
	s_or_b64 s[4:5], s[4:5], s[8:9]
; %bb.38:
	s_or_b64 exec, exec, s[6:7]
	v_mov_b32_dpp v6, v1 row_bcast:31 row_mask:0xf bank_mask:0xf bound_ctrl:1
	v_and_b32_e32 v7, 1, v6
	v_mov_b32_dpp v4, v2 row_bcast:31 row_mask:0xf bank_mask:0xf bound_ctrl:1
	v_mov_b32_dpp v5, v3 row_bcast:31 row_mask:0xf bank_mask:0xf bound_ctrl:1
	v_cmp_eq_u32_e32 vcc, 1, v7
	s_and_saveexec_b64 s[6:7], vcc
; %bb.39:
	v_cmp_lt_i64_e32 vcc, v[2:3], v[4:5]
	v_and_b32_e32 v1, 0xff, v6
	s_and_b64 vcc, s[4:5], vcc
	v_cndmask_b32_e32 v2, v4, v2, vcc
	v_cndmask_b32_e32 v3, v5, v3, vcc
	v_cndmask_b32_e64 v1, v1, 1, s[4:5]
; %bb.40:
	s_or_b64 exec, exec, s[6:7]
	v_mbcnt_lo_u32_b32 v4, -1, 0
	v_mbcnt_hi_u32_b32 v4, -1, v4
	v_bfrev_b32_e32 v5, 0.5
	v_lshl_or_b32 v5, v4, 2, v5
	ds_bpermute_b32 v7, v5, v1
	ds_bpermute_b32 v2, v5, v2
	;; [unrolled: 1-line block ×3, first 2 shown]
	v_cmp_eq_u32_e32 vcc, 0, v4
	s_and_saveexec_b64 s[4:5], vcc
	s_cbranch_execz .LBB76_42
; %bb.41:
	v_lshrrev_b32_e32 v1, 2, v0
	v_and_b32_e32 v1, 48, v1
	s_waitcnt lgkmcnt(2)
	ds_write_b8 v1, v7 offset:256
	s_waitcnt lgkmcnt(1)
	ds_write_b64 v1, v[2:3] offset:264
.LBB76_42:
	s_or_b64 exec, exec, s[4:5]
	v_cmp_gt_u32_e32 vcc, 64, v0
	s_waitcnt lgkmcnt(0)
	s_barrier
	s_and_saveexec_b64 s[6:7], vcc
	s_cbranch_execz .LBB76_44
; %bb.43:
	v_and_b32_e32 v1, 3, v4
	v_lshlrev_b32_e32 v2, 4, v1
	ds_read_u8 v5, v2 offset:256
	ds_read_b64 v[2:3], v2 offset:264
	v_cmp_ne_u32_e32 vcc, 3, v1
	s_waitcnt lgkmcnt(1)
	v_and_b32_e32 v7, 0xff, v5
	v_addc_co_u32_e32 v6, vcc, 0, v4, vcc
	v_lshlrev_b32_e32 v8, 2, v6
	ds_bpermute_b32 v9, v8, v7
	s_waitcnt lgkmcnt(1)
	ds_bpermute_b32 v6, v8, v2
	ds_bpermute_b32 v7, v8, v3
	v_and_b32_e32 v8, 1, v5
	s_waitcnt lgkmcnt(2)
	v_and_b32_e32 v10, 1, v9
	v_cmp_eq_u32_e64 s[4:5], 1, v10
	s_waitcnt lgkmcnt(0)
	v_cmp_lt_i64_e32 vcc, v[6:7], v[2:3]
	s_and_b64 vcc, s[4:5], vcc
	v_cndmask_b32_e64 v5, v5, 1, s[4:5]
	v_cndmask_b32_e32 v2, v2, v6, vcc
	v_cndmask_b32_e32 v3, v3, v7, vcc
	v_cmp_eq_u32_e32 vcc, 1, v8
	s_nop 1
	v_cndmask_b32_e32 v8, v9, v5, vcc
	v_cndmask_b32_e32 v3, v7, v3, vcc
	;; [unrolled: 1-line block ×3, first 2 shown]
	v_cmp_gt_u32_e32 vcc, 2, v1
	v_and_b32_e32 v5, 0xff, v8
	s_nop 0
	v_cndmask_b32_e64 v1, 0, 1, vcc
	v_lshlrev_b32_e32 v1, 1, v1
	v_add_lshl_u32 v1, v1, v4, 2
	ds_bpermute_b32 v6, v1, v5
	ds_bpermute_b32 v4, v1, v2
	;; [unrolled: 1-line block ×3, first 2 shown]
	v_and_b32_e32 v1, 1, v8
	s_waitcnt lgkmcnt(2)
	v_and_b32_e32 v7, 1, v6
	v_cmp_eq_u32_e64 s[4:5], 1, v7
	s_waitcnt lgkmcnt(0)
	v_cmp_lt_i64_e32 vcc, v[4:5], v[2:3]
	s_and_b64 vcc, s[4:5], vcc
	v_cndmask_b32_e64 v7, v8, 1, s[4:5]
	v_cndmask_b32_e32 v2, v2, v4, vcc
	v_cndmask_b32_e32 v3, v3, v5, vcc
	v_cmp_eq_u32_e32 vcc, 1, v1
	s_nop 1
	v_cndmask_b32_e32 v1, v6, v7, vcc
	v_cndmask_b32_e32 v3, v5, v3, vcc
	;; [unrolled: 1-line block ×3, first 2 shown]
	v_and_b32_e32 v7, 0xff, v1
.LBB76_44:
	s_or_b64 exec, exec, s[6:7]
	s_mov_b64 s[4:5], 0
	s_branch .LBB76_123
.LBB76_45:
                                        ; implicit-def: $vgpr4_vgpr5
                                        ; implicit-def: $vgpr1
	s_branch .LBB76_193
.LBB76_46:
	s_mov_b64 s[4:5], -1
                                        ; implicit-def: $vgpr2_vgpr3
                                        ; implicit-def: $vgpr7
.LBB76_47:
	s_and_b64 vcc, exec, s[4:5]
	s_cbranch_vccz .LBB76_116
; %bb.48:
	s_sub_i32 s55, s38, s24
	v_mov_b64_e32 v[18:19], 0
	v_cmp_gt_u32_e32 vcc, s55, v0
	v_mov_b32_e32 v43, 0
	v_mov_b64_e32 v[2:3], v[18:19]
	v_mov_b32_e32 v1, 0
	s_and_saveexec_b64 s[4:5], vcc
	s_cbranch_execz .LBB76_50
; %bb.49:
	v_lshlrev_b32_e32 v1, 3, v0
	global_load_dwordx2 v[4:5], v1, s[34:35]
	global_load_dwordx2 v[6:7], v1, s[48:49]
	v_mov_b32_e32 v1, 0
	v_lshl_add_u64 v[2:3], s[50:51], 0, v[0:1]
	s_waitcnt vmcnt(0)
	v_cmp_ne_u64_e32 vcc, v[4:5], v[6:7]
	s_nop 1
	v_cndmask_b32_e64 v1, 0, 1, vcc
.LBB76_50:
	s_or_b64 exec, exec, s[4:5]
	v_or_b32_e32 v4, 0x100, v0
	v_cmp_gt_u32_e64 s[30:31], s55, v4
	s_and_saveexec_b64 s[4:5], s[30:31]
	s_cbranch_execz .LBB76_52
; %bb.51:
	v_lshlrev_b32_e32 v5, 3, v0
	global_load_dwordx2 v[6:7], v5, s[34:35] offset:2048
	global_load_dwordx2 v[8:9], v5, s[48:49] offset:2048
	v_mov_b32_e32 v5, 0
	v_lshl_add_u64 v[18:19], s[50:51], 0, v[4:5]
	s_waitcnt vmcnt(0)
	v_cmp_ne_u64_e32 vcc, v[6:7], v[8:9]
	s_nop 1
	v_cndmask_b32_e64 v43, 0, 1, vcc
.LBB76_52:
	s_or_b64 exec, exec, s[4:5]
	v_or_b32_e32 v4, 0x200, v0
	v_mov_b64_e32 v[16:17], 0
	v_cmp_gt_u32_e64 s[28:29], s55, v4
	v_mov_b32_e32 v42, 0
	v_mov_b64_e32 v[32:33], v[16:17]
	v_mov_b32_e32 v50, 0
	s_and_saveexec_b64 s[4:5], s[28:29]
	s_cbranch_execz .LBB76_54
; %bb.53:
	v_lshlrev_b32_e32 v5, 3, v4
	global_load_dwordx2 v[6:7], v5, s[34:35]
	global_load_dwordx2 v[8:9], v5, s[48:49]
	v_mov_b32_e32 v5, 0
	v_lshl_add_u64 v[32:33], s[50:51], 0, v[4:5]
	s_waitcnt vmcnt(0)
	v_cmp_ne_u64_e32 vcc, v[6:7], v[8:9]
	s_nop 1
	v_cndmask_b32_e64 v50, 0, 1, vcc
.LBB76_54:
	s_or_b64 exec, exec, s[4:5]
	v_or_b32_e32 v4, 0x300, v0
	v_cmp_gt_u32_e64 s[26:27], s55, v4
	s_and_saveexec_b64 s[4:5], s[26:27]
	s_cbranch_execz .LBB76_56
; %bb.55:
	v_lshlrev_b32_e32 v5, 3, v4
	global_load_dwordx2 v[6:7], v5, s[34:35]
	global_load_dwordx2 v[8:9], v5, s[48:49]
	v_mov_b32_e32 v5, 0
	v_lshl_add_u64 v[16:17], s[50:51], 0, v[4:5]
	s_waitcnt vmcnt(0)
	v_cmp_ne_u64_e32 vcc, v[6:7], v[8:9]
	s_nop 1
	v_cndmask_b32_e64 v42, 0, 1, vcc
.LBB76_56:
	s_or_b64 exec, exec, s[4:5]
	v_or_b32_e32 v4, 0x400, v0
	v_mov_b64_e32 v[14:15], 0
	v_cmp_gt_u32_e64 s[24:25], s55, v4
	v_mov_b32_e32 v41, 0
	v_mov_b64_e32 v[30:31], v[14:15]
	v_mov_b32_e32 v49, 0
	s_and_saveexec_b64 s[4:5], s[24:25]
	s_cbranch_execz .LBB76_58
; %bb.57:
	v_lshlrev_b32_e32 v5, 3, v4
	global_load_dwordx2 v[6:7], v5, s[34:35]
	global_load_dwordx2 v[8:9], v5, s[48:49]
	v_mov_b32_e32 v5, 0
	v_lshl_add_u64 v[30:31], s[50:51], 0, v[4:5]
	s_waitcnt vmcnt(0)
	v_cmp_ne_u64_e32 vcc, v[6:7], v[8:9]
	s_nop 1
	v_cndmask_b32_e64 v49, 0, 1, vcc
.LBB76_58:
	s_or_b64 exec, exec, s[4:5]
	v_or_b32_e32 v4, 0x500, v0
	v_cmp_gt_u32_e64 s[22:23], s55, v4
	s_and_saveexec_b64 s[4:5], s[22:23]
	s_cbranch_execz .LBB76_60
; %bb.59:
	v_lshlrev_b32_e32 v5, 3, v4
	global_load_dwordx2 v[6:7], v5, s[34:35]
	global_load_dwordx2 v[8:9], v5, s[48:49]
	v_mov_b32_e32 v5, 0
	v_lshl_add_u64 v[14:15], s[50:51], 0, v[4:5]
	s_waitcnt vmcnt(0)
	v_cmp_ne_u64_e32 vcc, v[6:7], v[8:9]
	s_nop 1
	v_cndmask_b32_e64 v41, 0, 1, vcc
.LBB76_60:
	;; [unrolled: 36-line block ×5, first 2 shown]
	s_or_b64 exec, exec, s[4:5]
	v_or_b32_e32 v4, 0xc00, v0
	v_mov_b64_e32 v[6:7], 0
	v_cmp_gt_u32_e64 s[8:9], s55, v4
	v_mov_b32_e32 v37, 0
	v_mov_b32_e32 v45, 0
	v_mov_b64_e32 v[22:23], v[6:7]
	s_and_saveexec_b64 s[4:5], s[8:9]
	s_cbranch_execz .LBB76_74
; %bb.73:
	v_lshlrev_b32_e32 v5, 3, v4
	global_load_dwordx2 v[20:21], v5, s[34:35]
	global_load_dwordx2 v[34:35], v5, s[48:49]
	v_mov_b32_e32 v5, 0
	v_lshl_add_u64 v[22:23], s[50:51], 0, v[4:5]
	s_waitcnt vmcnt(0)
	v_cmp_ne_u64_e32 vcc, v[20:21], v[34:35]
	s_nop 1
	v_cndmask_b32_e64 v45, 0, 1, vcc
.LBB76_74:
	s_or_b64 exec, exec, s[4:5]
	v_or_b32_e32 v4, 0xd00, v0
	v_cmp_gt_u32_e64 s[6:7], s55, v4
	s_and_saveexec_b64 s[4:5], s[6:7]
	s_cbranch_execz .LBB76_76
; %bb.75:
	v_lshlrev_b32_e32 v5, 3, v4
	global_load_dwordx2 v[20:21], v5, s[34:35]
	global_load_dwordx2 v[34:35], v5, s[48:49]
	v_mov_b32_e32 v5, 0
	v_lshl_add_u64 v[6:7], s[50:51], 0, v[4:5]
	s_waitcnt vmcnt(0)
	v_cmp_ne_u64_e32 vcc, v[20:21], v[34:35]
	s_nop 1
	v_cndmask_b32_e64 v37, 0, 1, vcc
.LBB76_76:
	s_or_b64 exec, exec, s[4:5]
	v_or_b32_e32 v34, 0xe00, v0
	v_mov_b64_e32 v[4:5], 0
	v_cmp_gt_u32_e64 s[4:5], s55, v34
	v_mov_b32_e32 v36, 0
	v_mov_b32_e32 v44, 0
	v_mov_b64_e32 v[20:21], v[4:5]
	s_and_saveexec_b64 s[52:53], s[4:5]
	s_cbranch_execz .LBB76_78
; %bb.77:
	v_lshlrev_b32_e32 v20, 3, v34
	global_load_dwordx2 v[52:53], v20, s[34:35]
	global_load_dwordx2 v[54:55], v20, s[48:49]
	v_mov_b32_e32 v35, 0
	v_lshl_add_u64 v[20:21], s[50:51], 0, v[34:35]
	s_waitcnt vmcnt(0)
	v_cmp_ne_u64_e32 vcc, v[52:53], v[54:55]
	s_nop 1
	v_cndmask_b32_e64 v44, 0, 1, vcc
.LBB76_78:
	s_or_b64 exec, exec, s[52:53]
	v_or_b32_e32 v34, 0xf00, v0
	v_cmp_gt_u32_e32 vcc, s55, v34
	s_and_saveexec_b64 s[52:53], vcc
	s_cbranch_execnz .LBB76_342
; %bb.79:
	s_or_b64 exec, exec, s[52:53]
	s_and_saveexec_b64 s[48:49], s[30:31]
	s_cbranch_execnz .LBB76_343
.LBB76_80:
	s_or_b64 exec, exec, s[48:49]
	s_and_saveexec_b64 s[34:35], s[28:29]
	s_cbranch_execnz .LBB76_344
.LBB76_81:
	s_or_b64 exec, exec, s[34:35]
	s_and_saveexec_b64 s[30:31], s[26:27]
	s_cbranch_execnz .LBB76_345
.LBB76_82:
	s_or_b64 exec, exec, s[30:31]
	s_and_saveexec_b64 s[28:29], s[24:25]
	s_cbranch_execnz .LBB76_346
.LBB76_83:
	s_or_b64 exec, exec, s[28:29]
	s_and_saveexec_b64 s[26:27], s[22:23]
	s_cbranch_execnz .LBB76_347
.LBB76_84:
	s_or_b64 exec, exec, s[26:27]
	s_and_saveexec_b64 s[24:25], s[20:21]
	s_cbranch_execnz .LBB76_348
.LBB76_85:
	s_or_b64 exec, exec, s[24:25]
	s_and_saveexec_b64 s[22:23], s[18:19]
	s_cbranch_execnz .LBB76_349
.LBB76_86:
	s_or_b64 exec, exec, s[22:23]
	s_and_saveexec_b64 s[20:21], s[16:17]
	s_cbranch_execnz .LBB76_350
.LBB76_87:
	s_or_b64 exec, exec, s[20:21]
	s_and_saveexec_b64 s[18:19], s[14:15]
	s_cbranch_execnz .LBB76_351
.LBB76_88:
	s_or_b64 exec, exec, s[18:19]
	s_and_saveexec_b64 s[16:17], s[12:13]
	s_cbranch_execnz .LBB76_352
.LBB76_89:
	s_or_b64 exec, exec, s[16:17]
	s_and_saveexec_b64 s[14:15], s[10:11]
	s_cbranch_execnz .LBB76_353
.LBB76_90:
	s_or_b64 exec, exec, s[14:15]
	s_and_saveexec_b64 s[12:13], s[8:9]
	s_cbranch_execnz .LBB76_354
.LBB76_91:
	s_or_b64 exec, exec, s[12:13]
	s_and_saveexec_b64 s[10:11], s[6:7]
	s_cbranch_execnz .LBB76_355
.LBB76_92:
	s_or_b64 exec, exec, s[10:11]
	s_and_saveexec_b64 s[8:9], s[4:5]
	s_cbranch_execnz .LBB76_356
.LBB76_93:
	s_or_b64 exec, exec, s[8:9]
	s_and_saveexec_b64 s[6:7], vcc
	s_cbranch_execz .LBB76_95
.LBB76_94:
	v_and_b32_e32 v7, 1, v36
	v_cmp_lt_i64_e32 vcc, v[4:5], v[2:3]
	v_cmp_eq_u32_e64 s[4:5], 1, v7
	v_and_b32_e32 v6, 1, v1
	s_and_b64 vcc, s[4:5], vcc
	v_cndmask_b32_e64 v1, v1, 1, s[4:5]
	v_cndmask_b32_e32 v2, v2, v4, vcc
	v_cndmask_b32_e32 v3, v3, v5, vcc
	v_cmp_eq_u32_e32 vcc, 1, v6
	s_nop 1
	v_cndmask_b32_e32 v1, v36, v1, vcc
	v_cndmask_b32_e32 v3, v5, v3, vcc
	;; [unrolled: 1-line block ×3, first 2 shown]
.LBB76_95:
	s_or_b64 exec, exec, s[6:7]
	v_mbcnt_lo_u32_b32 v4, -1, 0
	v_mbcnt_hi_u32_b32 v6, -1, v4
	v_and_b32_e32 v8, 63, v6
	v_cmp_ne_u32_e32 vcc, 63, v8
	v_and_b32_e32 v7, 0xffff, v1
	s_min_u32 s8, s55, 0x100
	v_addc_co_u32_e32 v4, vcc, 0, v6, vcc
	v_lshlrev_b32_e32 v5, 2, v4
	ds_bpermute_b32 v11, v5, v7
	ds_bpermute_b32 v4, v5, v2
	;; [unrolled: 1-line block ×3, first 2 shown]
	v_and_b32_e32 v9, 0xc0, v0
	v_sub_u32_e64 v10, s8, v9 clamp
	v_add_u32_e32 v9, 1, v8
	v_cmp_lt_u32_e32 vcc, v9, v10
	v_mov_b32_e32 v9, v7
	s_and_saveexec_b64 s[4:5], vcc
	s_xor_b64 s[6:7], exec, s[4:5]
	s_cbranch_execz .LBB76_97
; %bb.96:
	s_waitcnt lgkmcnt(2)
	v_and_b32_e32 v9, 1, v11
	s_waitcnt lgkmcnt(0)
	v_cmp_lt_i64_e32 vcc, v[4:5], v[2:3]
	v_cmp_eq_u32_e64 s[4:5], 1, v9
	v_and_b32_e32 v1, 1, v1
	s_and_b64 vcc, s[4:5], vcc
	v_cndmask_b32_e64 v7, v7, 1, s[4:5]
	v_cndmask_b32_e32 v2, v2, v4, vcc
	v_cndmask_b32_e32 v3, v3, v5, vcc
	v_cmp_eq_u32_e32 vcc, 1, v1
	s_nop 1
	v_cndmask_b32_e32 v9, v11, v7, vcc
	v_cndmask_b32_e32 v3, v5, v3, vcc
	;; [unrolled: 1-line block ×3, first 2 shown]
	v_and_b32_e32 v7, 0xff, v9
.LBB76_97:
	s_or_b64 exec, exec, s[6:7]
	v_cmp_gt_u32_e32 vcc, 62, v8
	s_waitcnt lgkmcnt(2)
	v_add_u32_e32 v11, 2, v8
	v_cndmask_b32_e64 v1, 0, 1, vcc
	v_lshlrev_b32_e32 v1, 1, v1
	s_waitcnt lgkmcnt(0)
	v_add_lshl_u32 v5, v1, v6, 2
	ds_bpermute_b32 v1, v5, v7
	ds_bpermute_b32 v4, v5, v2
	ds_bpermute_b32 v5, v5, v3
	v_cmp_lt_u32_e32 vcc, v11, v10
	s_and_saveexec_b64 s[6:7], vcc
	s_cbranch_execz .LBB76_99
; %bb.98:
	s_waitcnt lgkmcnt(2)
	v_and_b32_e32 v11, 1, v1
	s_waitcnt lgkmcnt(0)
	v_cmp_lt_i64_e32 vcc, v[4:5], v[2:3]
	v_cmp_eq_u32_e64 s[4:5], 1, v11
	v_and_b32_e32 v7, 1, v9
	s_and_b64 vcc, s[4:5], vcc
	v_cndmask_b32_e64 v9, v9, 1, s[4:5]
	v_cndmask_b32_e32 v2, v2, v4, vcc
	v_cndmask_b32_e32 v3, v3, v5, vcc
	v_cmp_eq_u32_e32 vcc, 1, v7
	s_nop 1
	v_cndmask_b32_e32 v9, v1, v9, vcc
	v_cndmask_b32_e32 v3, v5, v3, vcc
	v_cndmask_b32_e32 v2, v4, v2, vcc
	v_and_b32_e32 v7, 0xff, v9
.LBB76_99:
	s_or_b64 exec, exec, s[6:7]
	v_cmp_gt_u32_e32 vcc, 60, v8
	v_add_u32_e32 v11, 4, v8
	s_waitcnt lgkmcnt(2)
	v_cndmask_b32_e64 v1, 0, 1, vcc
	v_lshlrev_b32_e32 v1, 2, v1
	s_waitcnt lgkmcnt(0)
	v_add_lshl_u32 v5, v1, v6, 2
	ds_bpermute_b32 v1, v5, v7
	ds_bpermute_b32 v4, v5, v2
	ds_bpermute_b32 v5, v5, v3
	v_cmp_lt_u32_e32 vcc, v11, v10
	s_and_saveexec_b64 s[6:7], vcc
	s_cbranch_execz .LBB76_101
; %bb.100:
	s_waitcnt lgkmcnt(2)
	v_and_b32_e32 v11, 1, v1
	s_waitcnt lgkmcnt(0)
	v_cmp_lt_i64_e32 vcc, v[4:5], v[2:3]
	v_cmp_eq_u32_e64 s[4:5], 1, v11
	v_and_b32_e32 v7, 1, v9
	s_and_b64 vcc, s[4:5], vcc
	v_cndmask_b32_e64 v9, v9, 1, s[4:5]
	v_cndmask_b32_e32 v2, v2, v4, vcc
	v_cndmask_b32_e32 v3, v3, v5, vcc
	v_cmp_eq_u32_e32 vcc, 1, v7
	s_nop 1
	v_cndmask_b32_e32 v9, v1, v9, vcc
	v_cndmask_b32_e32 v3, v5, v3, vcc
	v_cndmask_b32_e32 v2, v4, v2, vcc
	v_and_b32_e32 v7, 0xff, v9
.LBB76_101:
	s_or_b64 exec, exec, s[6:7]
	v_cmp_gt_u32_e32 vcc, 56, v8
	v_add_u32_e32 v11, 8, v8
	s_waitcnt lgkmcnt(2)
	;; [unrolled: 32-line block ×4, first 2 shown]
	v_cndmask_b32_e64 v1, 0, 1, vcc
	v_lshlrev_b32_e32 v1, 5, v1
	s_waitcnt lgkmcnt(0)
	v_add_lshl_u32 v5, v1, v6, 2
	ds_bpermute_b32 v1, v5, v7
	ds_bpermute_b32 v4, v5, v2
	;; [unrolled: 1-line block ×3, first 2 shown]
	v_cmp_lt_u32_e32 vcc, v8, v10
	s_and_saveexec_b64 s[6:7], vcc
	s_cbranch_execz .LBB76_107
; %bb.106:
	s_waitcnt lgkmcnt(2)
	v_and_b32_e32 v8, 1, v1
	s_waitcnt lgkmcnt(0)
	v_cmp_lt_i64_e32 vcc, v[4:5], v[2:3]
	v_cmp_eq_u32_e64 s[4:5], 1, v8
	v_and_b32_e32 v7, 1, v9
	s_and_b64 vcc, s[4:5], vcc
	v_cndmask_b32_e64 v8, v9, 1, s[4:5]
	v_cndmask_b32_e32 v2, v2, v4, vcc
	v_cndmask_b32_e32 v3, v3, v5, vcc
	v_cmp_eq_u32_e32 vcc, 1, v7
	s_nop 1
	v_cndmask_b32_e32 v9, v1, v8, vcc
	v_cndmask_b32_e32 v3, v5, v3, vcc
	;; [unrolled: 1-line block ×3, first 2 shown]
	v_and_b32_e32 v7, 0xff, v9
.LBB76_107:
	s_or_b64 exec, exec, s[6:7]
	v_cmp_eq_u32_e32 vcc, 0, v6
	s_and_saveexec_b64 s[4:5], vcc
	s_cbranch_execz .LBB76_109
; %bb.108:
	s_waitcnt lgkmcnt(2)
	v_lshrrev_b32_e32 v1, 2, v0
	v_and_b32_e32 v1, 48, v1
	ds_write_b8 v1, v9 offset:320
	ds_write_b64 v1, v[2:3] offset:328
.LBB76_109:
	s_or_b64 exec, exec, s[4:5]
	v_cmp_gt_u32_e32 vcc, 4, v0
	s_waitcnt lgkmcnt(0)
	s_barrier
	s_and_saveexec_b64 s[6:7], vcc
	s_cbranch_execz .LBB76_115
; %bb.110:
	v_lshlrev_b32_e32 v2, 4, v6
	ds_read_u8 v1, v2 offset:320
	ds_read_b64 v[2:3], v2 offset:328
	v_and_b32_e32 v8, 3, v6
	v_cmp_ne_u32_e32 vcc, 3, v8
	s_add_i32 s8, s8, 63
	s_waitcnt lgkmcnt(1)
	v_and_b32_e32 v7, 0xff, v1
	v_addc_co_u32_e32 v4, vcc, 0, v6, vcc
	v_lshlrev_b32_e32 v5, 2, v4
	ds_bpermute_b32 v9, v5, v7
	s_waitcnt lgkmcnt(1)
	ds_bpermute_b32 v4, v5, v2
	ds_bpermute_b32 v5, v5, v3
	s_lshr_b32 s10, s8, 6
	v_add_u32_e32 v10, 1, v8
	v_cmp_gt_u32_e32 vcc, s10, v10
	s_and_saveexec_b64 s[8:9], vcc
	s_cbranch_execz .LBB76_112
; %bb.111:
	s_waitcnt lgkmcnt(2)
	v_and_b32_e32 v10, 1, v9
	s_waitcnt lgkmcnt(0)
	v_cmp_lt_i64_e32 vcc, v[4:5], v[2:3]
	v_cmp_eq_u32_e64 s[4:5], 1, v10
	v_and_b32_e32 v7, 1, v1
	s_and_b64 vcc, s[4:5], vcc
	v_cndmask_b32_e64 v1, v1, 1, s[4:5]
	v_cndmask_b32_e32 v2, v2, v4, vcc
	v_cndmask_b32_e32 v3, v3, v5, vcc
	v_cmp_eq_u32_e32 vcc, 1, v7
	s_nop 1
	v_cndmask_b32_e32 v1, v9, v1, vcc
	v_cndmask_b32_e32 v3, v5, v3, vcc
	;; [unrolled: 1-line block ×3, first 2 shown]
	v_and_b32_e32 v7, 0xff, v1
.LBB76_112:
	s_or_b64 exec, exec, s[8:9]
	v_cmp_gt_u32_e32 vcc, 2, v8
	v_add_u32_e32 v8, 2, v8
	s_waitcnt lgkmcnt(1)
	v_cndmask_b32_e64 v4, 0, 1, vcc
	v_lshlrev_b32_e32 v4, 1, v4
	s_waitcnt lgkmcnt(0)
	v_add_lshl_u32 v5, v4, v6, 2
	ds_bpermute_b32 v6, v5, v7
	ds_bpermute_b32 v4, v5, v2
	;; [unrolled: 1-line block ×3, first 2 shown]
	v_cmp_gt_u32_e32 vcc, s10, v8
	s_and_saveexec_b64 s[8:9], vcc
	s_cbranch_execz .LBB76_114
; %bb.113:
	s_waitcnt lgkmcnt(2)
	v_and_b32_e32 v8, 1, v6
	s_waitcnt lgkmcnt(0)
	v_cmp_lt_i64_e32 vcc, v[4:5], v[2:3]
	v_cmp_eq_u32_e64 s[4:5], 1, v8
	v_and_b32_e32 v7, 1, v1
	s_and_b64 vcc, s[4:5], vcc
	v_cndmask_b32_e64 v1, v1, 1, s[4:5]
	v_cndmask_b32_e32 v2, v2, v4, vcc
	v_cndmask_b32_e32 v3, v3, v5, vcc
	v_cmp_eq_u32_e32 vcc, 1, v7
	s_nop 1
	v_cndmask_b32_e32 v1, v6, v1, vcc
	v_cndmask_b32_e32 v3, v5, v3, vcc
	;; [unrolled: 1-line block ×3, first 2 shown]
	v_and_b32_e32 v7, 0xff, v1
.LBB76_114:
	s_or_b64 exec, exec, s[8:9]
.LBB76_115:
	s_or_b64 exec, exec, s[6:7]
.LBB76_116:
	v_cmp_eq_u32_e32 vcc, 0, v0
	s_mov_b64 s[18:19], 0
                                        ; implicit-def: $vgpr4_vgpr5
                                        ; implicit-def: $vgpr1
	s_and_saveexec_b64 s[4:5], vcc
	s_xor_b64 s[8:9], exec, s[4:5]
	s_cbranch_execz .LBB76_120
; %bb.117:
	s_cmp_eq_u64 s[38:39], 0
	s_waitcnt lgkmcnt(0)
	v_mov_b64_e32 v[4:5], s[44:45]
	v_mov_b32_e32 v1, s33
	s_cbranch_scc1 .LBB76_119
; %bb.118:
	v_and_b32_e32 v1, 1, v7
	s_bitcmp1_b32 s33, 0
	v_mov_b32_e32 v4, s33
	v_cmp_eq_u32_e32 vcc, 1, v1
	v_cmp_gt_i64_e64 s[6:7], s[44:45], v[2:3]
	s_cselect_b64 s[4:5], -1, 0
	v_cndmask_b32_e64 v1, v4, 1, vcc
	v_mov_b32_e32 v4, s44
	s_and_b64 vcc, vcc, s[6:7]
	v_mov_b32_e32 v5, s45
	v_cndmask_b32_e32 v4, v4, v2, vcc
	v_cndmask_b32_e32 v5, v5, v3, vcc
	v_cndmask_b32_e64 v1, v7, v1, s[4:5]
	v_cndmask_b32_e64 v5, v3, v5, s[4:5]
	;; [unrolled: 1-line block ×3, first 2 shown]
.LBB76_119:
	s_mov_b64 s[18:19], exec
.LBB76_120:
	s_or_b64 exec, exec, s[8:9]
	s_and_b64 vcc, exec, s[46:47]
	s_cbranch_vccnz .LBB76_26
.LBB76_121:
	s_branch .LBB76_193
.LBB76_122:
	s_mov_b64 s[4:5], -1
                                        ; implicit-def: $vgpr2_vgpr3
                                        ; implicit-def: $vgpr7
.LBB76_123:
	s_and_b64 vcc, exec, s[4:5]
	s_cbranch_vccz .LBB76_168
; %bb.124:
	s_sub_i32 s26, s38, s10
	v_mov_b64_e32 v[10:11], 0
	v_cmp_gt_u32_e32 vcc, s26, v0
	v_mov_b32_e32 v23, 0
	v_mov_b64_e32 v[2:3], v[10:11]
	v_mov_b32_e32 v1, 0
	s_and_saveexec_b64 s[4:5], vcc
	s_cbranch_execz .LBB76_126
; %bb.125:
	v_lshlrev_b32_e32 v1, 3, v0
	s_waitcnt lgkmcnt(0)
	global_load_dwordx2 v[4:5], v1, s[16:17]
	global_load_dwordx2 v[6:7], v1, s[20:21]
	v_mov_b32_e32 v1, 0
	v_lshl_add_u64 v[2:3], s[22:23], 0, v[0:1]
	s_waitcnt vmcnt(0)
	v_cmp_ne_u64_e32 vcc, v[4:5], v[6:7]
	s_nop 1
	v_cndmask_b32_e64 v1, 0, 1, vcc
.LBB76_126:
	s_or_b64 exec, exec, s[4:5]
	s_waitcnt lgkmcnt(1)
	v_or_b32_e32 v4, 0x100, v0
	v_cmp_gt_u32_e64 s[14:15], s26, v4
	s_and_saveexec_b64 s[4:5], s[14:15]
	s_cbranch_execz .LBB76_128
; %bb.127:
	s_waitcnt lgkmcnt(0)
	v_lshlrev_b32_e32 v5, 3, v0
	global_load_dwordx2 v[6:7], v5, s[16:17] offset:2048
	global_load_dwordx2 v[8:9], v5, s[20:21] offset:2048
	v_mov_b32_e32 v5, 0
	v_lshl_add_u64 v[10:11], s[22:23], 0, v[4:5]
	s_waitcnt vmcnt(0)
	v_cmp_ne_u64_e32 vcc, v[6:7], v[8:9]
	s_nop 1
	v_cndmask_b32_e64 v23, 0, 1, vcc
.LBB76_128:
	s_or_b64 exec, exec, s[4:5]
	v_or_b32_e32 v4, 0x200, v0
	v_mov_b64_e32 v[8:9], 0
	v_cmp_gt_u32_e64 s[12:13], s26, v4
	v_mov_b32_e32 v22, 0
	v_mov_b64_e32 v[16:17], v[8:9]
	v_mov_b32_e32 v26, 0
	s_and_saveexec_b64 s[4:5], s[12:13]
	s_cbranch_execz .LBB76_130
; %bb.129:
	s_waitcnt lgkmcnt(0)
	v_lshlrev_b32_e32 v5, 3, v4
	global_load_dwordx2 v[6:7], v5, s[16:17]
	global_load_dwordx2 v[12:13], v5, s[20:21]
	v_mov_b32_e32 v5, 0
	v_lshl_add_u64 v[16:17], s[22:23], 0, v[4:5]
	s_waitcnt vmcnt(0)
	v_cmp_ne_u64_e32 vcc, v[6:7], v[12:13]
	s_nop 1
	v_cndmask_b32_e64 v26, 0, 1, vcc
.LBB76_130:
	s_or_b64 exec, exec, s[4:5]
	v_or_b32_e32 v4, 0x300, v0
	v_cmp_gt_u32_e64 s[10:11], s26, v4
	s_and_saveexec_b64 s[4:5], s[10:11]
	s_cbranch_execz .LBB76_132
; %bb.131:
	s_waitcnt lgkmcnt(0)
	v_lshlrev_b32_e32 v5, 3, v4
	global_load_dwordx2 v[6:7], v5, s[16:17]
	global_load_dwordx2 v[12:13], v5, s[20:21]
	v_mov_b32_e32 v5, 0
	v_lshl_add_u64 v[8:9], s[22:23], 0, v[4:5]
	s_waitcnt vmcnt(0)
	v_cmp_ne_u64_e32 vcc, v[6:7], v[12:13]
	s_nop 1
	v_cndmask_b32_e64 v22, 0, 1, vcc
.LBB76_132:
	s_or_b64 exec, exec, s[4:5]
	v_or_b32_e32 v4, 0x400, v0
	v_mov_b64_e32 v[6:7], 0
	v_cmp_gt_u32_e64 s[8:9], s26, v4
	v_mov_b32_e32 v21, 0
	v_mov_b64_e32 v[14:15], v[6:7]
	v_mov_b32_e32 v25, 0
	s_and_saveexec_b64 s[4:5], s[8:9]
	s_cbranch_execz .LBB76_134
; %bb.133:
	s_waitcnt lgkmcnt(0)
	v_lshlrev_b32_e32 v5, 3, v4
	global_load_dwordx2 v[12:13], v5, s[16:17]
	global_load_dwordx2 v[18:19], v5, s[20:21]
	v_mov_b32_e32 v5, 0
	v_lshl_add_u64 v[14:15], s[22:23], 0, v[4:5]
	s_waitcnt vmcnt(0)
	v_cmp_ne_u64_e32 vcc, v[12:13], v[18:19]
	s_nop 1
	v_cndmask_b32_e64 v25, 0, 1, vcc
.LBB76_134:
	s_or_b64 exec, exec, s[4:5]
	v_or_b32_e32 v4, 0x500, v0
	v_cmp_gt_u32_e64 s[6:7], s26, v4
	s_and_saveexec_b64 s[4:5], s[6:7]
	s_cbranch_execz .LBB76_136
; %bb.135:
	s_waitcnt lgkmcnt(0)
	v_lshlrev_b32_e32 v5, 3, v4
	global_load_dwordx2 v[12:13], v5, s[16:17]
	global_load_dwordx2 v[18:19], v5, s[20:21]
	v_mov_b32_e32 v5, 0
	v_lshl_add_u64 v[6:7], s[22:23], 0, v[4:5]
	s_waitcnt vmcnt(0)
	v_cmp_ne_u64_e32 vcc, v[12:13], v[18:19]
	s_nop 1
	v_cndmask_b32_e64 v21, 0, 1, vcc
.LBB76_136:
	s_or_b64 exec, exec, s[4:5]
	v_or_b32_e32 v18, 0x600, v0
	s_waitcnt lgkmcnt(0)
	v_mov_b64_e32 v[4:5], 0
	v_cmp_gt_u32_e64 s[4:5], s26, v18
	v_mov_b32_e32 v20, 0
	v_mov_b32_e32 v24, 0
	v_mov_b64_e32 v[12:13], v[4:5]
	s_and_saveexec_b64 s[24:25], s[4:5]
	s_cbranch_execz .LBB76_138
; %bb.137:
	v_lshlrev_b32_e32 v12, 3, v18
	global_load_dwordx2 v[28:29], v12, s[16:17]
	global_load_dwordx2 v[30:31], v12, s[20:21]
	v_mov_b32_e32 v19, 0
	v_lshl_add_u64 v[12:13], s[22:23], 0, v[18:19]
	s_waitcnt vmcnt(0)
	v_cmp_ne_u64_e32 vcc, v[28:29], v[30:31]
	s_nop 1
	v_cndmask_b32_e64 v24, 0, 1, vcc
.LBB76_138:
	s_or_b64 exec, exec, s[24:25]
	v_or_b32_e32 v18, 0x700, v0
	v_cmp_gt_u32_e32 vcc, s26, v18
	s_and_saveexec_b64 s[24:25], vcc
	s_cbranch_execnz .LBB76_357
; %bb.139:
	s_or_b64 exec, exec, s[24:25]
	s_and_saveexec_b64 s[20:21], s[14:15]
	s_cbranch_execnz .LBB76_358
.LBB76_140:
	s_or_b64 exec, exec, s[20:21]
	s_and_saveexec_b64 s[16:17], s[12:13]
	s_cbranch_execnz .LBB76_359
.LBB76_141:
	s_or_b64 exec, exec, s[16:17]
	s_and_saveexec_b64 s[14:15], s[10:11]
	s_cbranch_execnz .LBB76_360
.LBB76_142:
	s_or_b64 exec, exec, s[14:15]
	s_and_saveexec_b64 s[12:13], s[8:9]
	s_cbranch_execnz .LBB76_361
.LBB76_143:
	s_or_b64 exec, exec, s[12:13]
	s_and_saveexec_b64 s[10:11], s[6:7]
	s_cbranch_execnz .LBB76_362
.LBB76_144:
	s_or_b64 exec, exec, s[10:11]
	s_and_saveexec_b64 s[8:9], s[4:5]
	s_cbranch_execnz .LBB76_363
.LBB76_145:
	s_or_b64 exec, exec, s[8:9]
	s_and_saveexec_b64 s[6:7], vcc
	s_cbranch_execz .LBB76_147
.LBB76_146:
	v_and_b32_e32 v7, 1, v20
	v_cmp_lt_i64_e32 vcc, v[4:5], v[2:3]
	v_cmp_eq_u32_e64 s[4:5], 1, v7
	v_and_b32_e32 v6, 1, v1
	s_and_b64 vcc, s[4:5], vcc
	v_cndmask_b32_e64 v1, v1, 1, s[4:5]
	v_cndmask_b32_e32 v2, v2, v4, vcc
	v_cndmask_b32_e32 v3, v3, v5, vcc
	v_cmp_eq_u32_e32 vcc, 1, v6
	s_nop 1
	v_cndmask_b32_e32 v1, v20, v1, vcc
	v_cndmask_b32_e32 v3, v5, v3, vcc
	;; [unrolled: 1-line block ×3, first 2 shown]
.LBB76_147:
	s_or_b64 exec, exec, s[6:7]
	v_mbcnt_lo_u32_b32 v4, -1, 0
	v_mbcnt_hi_u32_b32 v6, -1, v4
	v_and_b32_e32 v8, 63, v6
	v_cmp_ne_u32_e32 vcc, 63, v8
	v_and_b32_e32 v7, 0xffff, v1
	s_min_u32 s8, s26, 0x100
	v_addc_co_u32_e32 v4, vcc, 0, v6, vcc
	v_lshlrev_b32_e32 v5, 2, v4
	ds_bpermute_b32 v11, v5, v7
	ds_bpermute_b32 v4, v5, v2
	;; [unrolled: 1-line block ×3, first 2 shown]
	v_and_b32_e32 v9, 0xc0, v0
	v_sub_u32_e64 v10, s8, v9 clamp
	v_add_u32_e32 v9, 1, v8
	v_cmp_lt_u32_e32 vcc, v9, v10
	v_mov_b32_e32 v9, v7
	s_and_saveexec_b64 s[4:5], vcc
	s_xor_b64 s[6:7], exec, s[4:5]
	s_cbranch_execz .LBB76_149
; %bb.148:
	s_waitcnt lgkmcnt(2)
	v_and_b32_e32 v9, 1, v11
	s_waitcnt lgkmcnt(0)
	v_cmp_lt_i64_e32 vcc, v[4:5], v[2:3]
	v_cmp_eq_u32_e64 s[4:5], 1, v9
	v_and_b32_e32 v1, 1, v1
	s_and_b64 vcc, s[4:5], vcc
	v_cndmask_b32_e64 v7, v7, 1, s[4:5]
	v_cndmask_b32_e32 v2, v2, v4, vcc
	v_cndmask_b32_e32 v3, v3, v5, vcc
	v_cmp_eq_u32_e32 vcc, 1, v1
	s_nop 1
	v_cndmask_b32_e32 v9, v11, v7, vcc
	v_cndmask_b32_e32 v3, v5, v3, vcc
	;; [unrolled: 1-line block ×3, first 2 shown]
	v_and_b32_e32 v7, 0xff, v9
.LBB76_149:
	s_or_b64 exec, exec, s[6:7]
	v_cmp_gt_u32_e32 vcc, 62, v8
	s_waitcnt lgkmcnt(2)
	v_add_u32_e32 v11, 2, v8
	v_cndmask_b32_e64 v1, 0, 1, vcc
	v_lshlrev_b32_e32 v1, 1, v1
	s_waitcnt lgkmcnt(0)
	v_add_lshl_u32 v5, v1, v6, 2
	ds_bpermute_b32 v1, v5, v7
	ds_bpermute_b32 v4, v5, v2
	ds_bpermute_b32 v5, v5, v3
	v_cmp_lt_u32_e32 vcc, v11, v10
	s_and_saveexec_b64 s[6:7], vcc
	s_cbranch_execz .LBB76_151
; %bb.150:
	s_waitcnt lgkmcnt(2)
	v_and_b32_e32 v11, 1, v1
	s_waitcnt lgkmcnt(0)
	v_cmp_lt_i64_e32 vcc, v[4:5], v[2:3]
	v_cmp_eq_u32_e64 s[4:5], 1, v11
	v_and_b32_e32 v7, 1, v9
	s_and_b64 vcc, s[4:5], vcc
	v_cndmask_b32_e64 v9, v9, 1, s[4:5]
	v_cndmask_b32_e32 v2, v2, v4, vcc
	v_cndmask_b32_e32 v3, v3, v5, vcc
	v_cmp_eq_u32_e32 vcc, 1, v7
	s_nop 1
	v_cndmask_b32_e32 v9, v1, v9, vcc
	v_cndmask_b32_e32 v3, v5, v3, vcc
	v_cndmask_b32_e32 v2, v4, v2, vcc
	v_and_b32_e32 v7, 0xff, v9
.LBB76_151:
	s_or_b64 exec, exec, s[6:7]
	v_cmp_gt_u32_e32 vcc, 60, v8
	v_add_u32_e32 v11, 4, v8
	s_waitcnt lgkmcnt(2)
	v_cndmask_b32_e64 v1, 0, 1, vcc
	v_lshlrev_b32_e32 v1, 2, v1
	s_waitcnt lgkmcnt(0)
	v_add_lshl_u32 v5, v1, v6, 2
	ds_bpermute_b32 v1, v5, v7
	ds_bpermute_b32 v4, v5, v2
	ds_bpermute_b32 v5, v5, v3
	v_cmp_lt_u32_e32 vcc, v11, v10
	s_and_saveexec_b64 s[6:7], vcc
	s_cbranch_execz .LBB76_153
; %bb.152:
	s_waitcnt lgkmcnt(2)
	v_and_b32_e32 v11, 1, v1
	s_waitcnt lgkmcnt(0)
	v_cmp_lt_i64_e32 vcc, v[4:5], v[2:3]
	v_cmp_eq_u32_e64 s[4:5], 1, v11
	v_and_b32_e32 v7, 1, v9
	s_and_b64 vcc, s[4:5], vcc
	v_cndmask_b32_e64 v9, v9, 1, s[4:5]
	v_cndmask_b32_e32 v2, v2, v4, vcc
	v_cndmask_b32_e32 v3, v3, v5, vcc
	v_cmp_eq_u32_e32 vcc, 1, v7
	s_nop 1
	v_cndmask_b32_e32 v9, v1, v9, vcc
	v_cndmask_b32_e32 v3, v5, v3, vcc
	v_cndmask_b32_e32 v2, v4, v2, vcc
	v_and_b32_e32 v7, 0xff, v9
.LBB76_153:
	s_or_b64 exec, exec, s[6:7]
	v_cmp_gt_u32_e32 vcc, 56, v8
	v_add_u32_e32 v11, 8, v8
	s_waitcnt lgkmcnt(2)
	;; [unrolled: 32-line block ×4, first 2 shown]
	v_cndmask_b32_e64 v1, 0, 1, vcc
	v_lshlrev_b32_e32 v1, 5, v1
	s_waitcnt lgkmcnt(0)
	v_add_lshl_u32 v5, v1, v6, 2
	ds_bpermute_b32 v1, v5, v7
	ds_bpermute_b32 v4, v5, v2
	;; [unrolled: 1-line block ×3, first 2 shown]
	v_cmp_lt_u32_e32 vcc, v8, v10
	s_and_saveexec_b64 s[6:7], vcc
	s_cbranch_execz .LBB76_159
; %bb.158:
	s_waitcnt lgkmcnt(2)
	v_and_b32_e32 v8, 1, v1
	s_waitcnt lgkmcnt(0)
	v_cmp_lt_i64_e32 vcc, v[4:5], v[2:3]
	v_cmp_eq_u32_e64 s[4:5], 1, v8
	v_and_b32_e32 v7, 1, v9
	s_and_b64 vcc, s[4:5], vcc
	v_cndmask_b32_e64 v8, v9, 1, s[4:5]
	v_cndmask_b32_e32 v2, v2, v4, vcc
	v_cndmask_b32_e32 v3, v3, v5, vcc
	v_cmp_eq_u32_e32 vcc, 1, v7
	s_nop 1
	v_cndmask_b32_e32 v9, v1, v8, vcc
	v_cndmask_b32_e32 v3, v5, v3, vcc
	;; [unrolled: 1-line block ×3, first 2 shown]
	v_and_b32_e32 v7, 0xff, v9
.LBB76_159:
	s_or_b64 exec, exec, s[6:7]
	v_cmp_eq_u32_e32 vcc, 0, v6
	s_and_saveexec_b64 s[4:5], vcc
	s_cbranch_execz .LBB76_161
; %bb.160:
	s_waitcnt lgkmcnt(2)
	v_lshrrev_b32_e32 v1, 2, v0
	v_and_b32_e32 v1, 48, v1
	ds_write_b8 v1, v9 offset:320
	ds_write_b64 v1, v[2:3] offset:328
.LBB76_161:
	s_or_b64 exec, exec, s[4:5]
	v_cmp_gt_u32_e32 vcc, 4, v0
	s_waitcnt lgkmcnt(0)
	s_barrier
	s_and_saveexec_b64 s[6:7], vcc
	s_cbranch_execz .LBB76_167
; %bb.162:
	v_lshlrev_b32_e32 v2, 4, v6
	ds_read_u8 v1, v2 offset:320
	ds_read_b64 v[2:3], v2 offset:328
	v_and_b32_e32 v8, 3, v6
	v_cmp_ne_u32_e32 vcc, 3, v8
	s_add_i32 s8, s8, 63
	s_waitcnt lgkmcnt(1)
	v_and_b32_e32 v7, 0xff, v1
	v_addc_co_u32_e32 v4, vcc, 0, v6, vcc
	v_lshlrev_b32_e32 v5, 2, v4
	ds_bpermute_b32 v9, v5, v7
	s_waitcnt lgkmcnt(1)
	ds_bpermute_b32 v4, v5, v2
	ds_bpermute_b32 v5, v5, v3
	s_lshr_b32 s10, s8, 6
	v_add_u32_e32 v10, 1, v8
	v_cmp_gt_u32_e32 vcc, s10, v10
	s_and_saveexec_b64 s[8:9], vcc
	s_cbranch_execz .LBB76_164
; %bb.163:
	s_waitcnt lgkmcnt(2)
	v_and_b32_e32 v10, 1, v9
	s_waitcnt lgkmcnt(0)
	v_cmp_lt_i64_e32 vcc, v[4:5], v[2:3]
	v_cmp_eq_u32_e64 s[4:5], 1, v10
	v_and_b32_e32 v7, 1, v1
	s_and_b64 vcc, s[4:5], vcc
	v_cndmask_b32_e64 v1, v1, 1, s[4:5]
	v_cndmask_b32_e32 v2, v2, v4, vcc
	v_cndmask_b32_e32 v3, v3, v5, vcc
	v_cmp_eq_u32_e32 vcc, 1, v7
	s_nop 1
	v_cndmask_b32_e32 v1, v9, v1, vcc
	v_cndmask_b32_e32 v3, v5, v3, vcc
	;; [unrolled: 1-line block ×3, first 2 shown]
	v_and_b32_e32 v7, 0xff, v1
.LBB76_164:
	s_or_b64 exec, exec, s[8:9]
	v_cmp_gt_u32_e32 vcc, 2, v8
	v_add_u32_e32 v8, 2, v8
	s_waitcnt lgkmcnt(1)
	v_cndmask_b32_e64 v4, 0, 1, vcc
	v_lshlrev_b32_e32 v4, 1, v4
	s_waitcnt lgkmcnt(0)
	v_add_lshl_u32 v5, v4, v6, 2
	ds_bpermute_b32 v6, v5, v7
	ds_bpermute_b32 v4, v5, v2
	;; [unrolled: 1-line block ×3, first 2 shown]
	v_cmp_gt_u32_e32 vcc, s10, v8
	s_and_saveexec_b64 s[8:9], vcc
	s_cbranch_execz .LBB76_166
; %bb.165:
	s_waitcnt lgkmcnt(2)
	v_and_b32_e32 v8, 1, v6
	s_waitcnt lgkmcnt(0)
	v_cmp_lt_i64_e32 vcc, v[4:5], v[2:3]
	v_cmp_eq_u32_e64 s[4:5], 1, v8
	v_and_b32_e32 v7, 1, v1
	s_and_b64 vcc, s[4:5], vcc
	v_cndmask_b32_e64 v1, v1, 1, s[4:5]
	v_cndmask_b32_e32 v2, v2, v4, vcc
	v_cndmask_b32_e32 v3, v3, v5, vcc
	v_cmp_eq_u32_e32 vcc, 1, v7
	s_nop 1
	v_cndmask_b32_e32 v1, v6, v1, vcc
	v_cndmask_b32_e32 v3, v5, v3, vcc
	;; [unrolled: 1-line block ×3, first 2 shown]
	v_and_b32_e32 v7, 0xff, v1
.LBB76_166:
	s_or_b64 exec, exec, s[8:9]
.LBB76_167:
	s_or_b64 exec, exec, s[6:7]
.LBB76_168:
	v_cmp_eq_u32_e32 vcc, 0, v0
                                        ; implicit-def: $vgpr4_vgpr5
                                        ; implicit-def: $vgpr1
	s_and_saveexec_b64 s[4:5], vcc
	s_xor_b64 s[8:9], exec, s[4:5]
	s_cbranch_execz .LBB76_172
; %bb.169:
	s_cmp_eq_u64 s[38:39], 0
	s_waitcnt lgkmcnt(0)
	v_mov_b64_e32 v[4:5], s[44:45]
	v_mov_b32_e32 v1, s33
	s_cbranch_scc1 .LBB76_171
; %bb.170:
	v_and_b32_e32 v1, 1, v7
	s_bitcmp1_b32 s33, 0
	v_mov_b32_e32 v4, s33
	v_cmp_eq_u32_e32 vcc, 1, v1
	v_cmp_gt_i64_e64 s[6:7], s[44:45], v[2:3]
	s_cselect_b64 s[4:5], -1, 0
	v_cndmask_b32_e64 v1, v4, 1, vcc
	v_mov_b32_e32 v4, s44
	s_and_b64 vcc, vcc, s[6:7]
	v_mov_b32_e32 v5, s45
	v_cndmask_b32_e32 v4, v4, v2, vcc
	v_cndmask_b32_e32 v5, v5, v3, vcc
	v_cndmask_b32_e64 v1, v7, v1, s[4:5]
	v_cndmask_b32_e64 v5, v3, v5, s[4:5]
	v_cndmask_b32_e64 v4, v2, v4, s[4:5]
.LBB76_171:
	s_or_b64 s[18:19], s[18:19], exec
.LBB76_172:
	s_or_b64 exec, exec, s[8:9]
	s_branch .LBB76_193
.LBB76_173:
	s_cmp_eq_u32 s54, 4
	s_cbranch_scc0 .LBB76_192
; %bb.174:
	s_mov_b32 s3, 0
	s_lshl_b32 s6, s2, 10
	s_mov_b32 s7, s3
	s_lshr_b64 s[4:5], s[38:39], 10
	s_lshl_b64 s[10:11], s[6:7], 3
	s_add_u32 s8, s40, s10
	s_addc_u32 s9, s41, s11
	s_add_u32 s10, s42, s10
	s_addc_u32 s11, s43, s11
	;; [unrolled: 2-line block ×3, first 2 shown]
	s_cmp_lg_u64 s[4:5], s[2:3]
	s_cbranch_scc0 .LBB76_194
; %bb.175:
	v_mov_b32_e32 v1, 0
	v_lshlrev_b32_e32 v2, 3, v0
	v_mov_b32_e32 v3, v1
	s_waitcnt lgkmcnt(0)
	v_lshl_add_u64 v[4:5], s[8:9], 0, v[2:3]
	v_lshl_add_u64 v[6:7], s[10:11], 0, v[2:3]
	global_load_dwordx2 v[8:9], v2, s[8:9]
	global_load_dwordx2 v[10:11], v2, s[10:11] offset:2048
	global_load_dwordx2 v[12:13], v2, s[10:11]
	global_load_dwordx2 v[14:15], v2, s[8:9] offset:2048
	v_add_co_u32_e32 v2, vcc, 0x1000, v4
	v_mov_b32_e32 v22, 0x100
	s_nop 0
	v_addc_co_u32_e32 v3, vcc, 0, v5, vcc
	v_add_co_u32_e32 v4, vcc, 0x1000, v6
	v_mov_b32_e32 v23, 0x300
	s_nop 0
	v_addc_co_u32_e32 v5, vcc, 0, v7, vcc
	global_load_dwordx2 v[6:7], v[2:3], off
	global_load_dwordx2 v[16:17], v[2:3], off offset:2048
	global_load_dwordx2 v[18:19], v[4:5], off
	global_load_dwordx2 v[20:21], v[4:5], off offset:2048
	v_mov_b32_e32 v4, 0x200
	v_lshl_add_u64 v[2:3], s[12:13], 0, v[0:1]
	v_mov_b32_e32 v5, v1
	s_waitcnt vmcnt(5)
	v_cmp_ne_u64_e64 s[4:5], v[8:9], v[12:13]
	s_waitcnt vmcnt(4)
	v_cmp_ne_u64_e32 vcc, v[14:15], v[10:11]
	s_or_b64 s[14:15], s[4:5], vcc
	s_nop 0
	v_cndmask_b32_e32 v1, v4, v22, vcc
	v_cndmask_b32_e64 v1, v1, 0, s[4:5]
	s_waitcnt vmcnt(1)
	v_cmp_ne_u64_e32 vcc, v[6:7], v[18:19]
	s_waitcnt vmcnt(0)
	v_cmp_ne_u64_e64 s[4:5], v[16:17], v[20:21]
	s_or_b64 vcc, s[14:15], vcc
	s_or_b64 s[4:5], vcc, s[4:5]
	v_cndmask_b32_e32 v4, v23, v1, vcc
	v_cndmask_b32_e64 v1, 0, 1, s[4:5]
	v_lshl_add_u64 v[2:3], v[2:3], 0, v[4:5]
	s_nop 0
	v_mov_b32_dpp v6, v1 quad_perm:[1,0,3,2] row_mask:0xf bank_mask:0xf bound_ctrl:1
	v_and_b32_e32 v7, 1, v6
	v_mov_b32_dpp v4, v2 quad_perm:[1,0,3,2] row_mask:0xf bank_mask:0xf bound_ctrl:1
	v_mov_b32_dpp v5, v3 quad_perm:[1,0,3,2] row_mask:0xf bank_mask:0xf bound_ctrl:1
	v_cmp_eq_u32_e32 vcc, 1, v7
	s_and_saveexec_b64 s[14:15], vcc
; %bb.176:
	v_cmp_lt_i64_e32 vcc, v[2:3], v[4:5]
	v_cndmask_b32_e64 v6, v6, 1, s[4:5]
	s_and_b64 vcc, s[4:5], vcc
	v_cndmask_b32_e32 v2, v4, v2, vcc
	v_and_b32_e32 v4, 1, v6
	v_cndmask_b32_e32 v3, v5, v3, vcc
	v_cmp_eq_u32_e32 vcc, 1, v4
	s_andn2_b64 s[4:5], s[4:5], exec
	s_and_b64 s[16:17], vcc, exec
	v_and_b32_e32 v1, 0xff, v6
	s_or_b64 s[4:5], s[4:5], s[16:17]
; %bb.177:
	s_or_b64 exec, exec, s[14:15]
	v_mov_b32_dpp v6, v1 quad_perm:[2,3,0,1] row_mask:0xf bank_mask:0xf bound_ctrl:1
	v_and_b32_e32 v7, 1, v6
	v_mov_b32_dpp v4, v2 quad_perm:[2,3,0,1] row_mask:0xf bank_mask:0xf bound_ctrl:1
	v_mov_b32_dpp v5, v3 quad_perm:[2,3,0,1] row_mask:0xf bank_mask:0xf bound_ctrl:1
	v_cmp_eq_u32_e32 vcc, 1, v7
	s_and_saveexec_b64 s[14:15], vcc
; %bb.178:
	v_cmp_lt_i64_e32 vcc, v[2:3], v[4:5]
	v_cndmask_b32_e64 v6, v6, 1, s[4:5]
	s_and_b64 vcc, s[4:5], vcc
	v_cndmask_b32_e32 v2, v4, v2, vcc
	v_and_b32_e32 v4, 1, v6
	v_cndmask_b32_e32 v3, v5, v3, vcc
	v_cmp_eq_u32_e32 vcc, 1, v4
	s_andn2_b64 s[4:5], s[4:5], exec
	s_and_b64 s[16:17], vcc, exec
	v_and_b32_e32 v1, 0xff, v6
	s_or_b64 s[4:5], s[4:5], s[16:17]
; %bb.179:
	s_or_b64 exec, exec, s[14:15]
	v_mov_b32_dpp v6, v1 row_ror:4 row_mask:0xf bank_mask:0xf bound_ctrl:1
	v_and_b32_e32 v7, 1, v6
	v_mov_b32_dpp v4, v2 row_ror:4 row_mask:0xf bank_mask:0xf bound_ctrl:1
	v_mov_b32_dpp v5, v3 row_ror:4 row_mask:0xf bank_mask:0xf bound_ctrl:1
	v_cmp_eq_u32_e32 vcc, 1, v7
	s_and_saveexec_b64 s[14:15], vcc
; %bb.180:
	v_cmp_lt_i64_e32 vcc, v[2:3], v[4:5]
	v_cndmask_b32_e64 v6, v6, 1, s[4:5]
	s_and_b64 vcc, s[4:5], vcc
	v_cndmask_b32_e32 v2, v4, v2, vcc
	v_and_b32_e32 v4, 1, v6
	v_cndmask_b32_e32 v3, v5, v3, vcc
	v_cmp_eq_u32_e32 vcc, 1, v4
	s_andn2_b64 s[4:5], s[4:5], exec
	s_and_b64 s[16:17], vcc, exec
	v_and_b32_e32 v1, 0xff, v6
	s_or_b64 s[4:5], s[4:5], s[16:17]
; %bb.181:
	s_or_b64 exec, exec, s[14:15]
	v_mov_b32_dpp v6, v1 row_ror:8 row_mask:0xf bank_mask:0xf bound_ctrl:1
	v_and_b32_e32 v7, 1, v6
	v_mov_b32_dpp v4, v2 row_ror:8 row_mask:0xf bank_mask:0xf bound_ctrl:1
	v_mov_b32_dpp v5, v3 row_ror:8 row_mask:0xf bank_mask:0xf bound_ctrl:1
	v_cmp_eq_u32_e32 vcc, 1, v7
	s_and_saveexec_b64 s[14:15], vcc
; %bb.182:
	v_cmp_lt_i64_e32 vcc, v[2:3], v[4:5]
	v_cndmask_b32_e64 v6, v6, 1, s[4:5]
	s_and_b64 vcc, s[4:5], vcc
	v_cndmask_b32_e32 v2, v4, v2, vcc
	v_and_b32_e32 v4, 1, v6
	v_cndmask_b32_e32 v3, v5, v3, vcc
	v_cmp_eq_u32_e32 vcc, 1, v4
	s_andn2_b64 s[4:5], s[4:5], exec
	s_and_b64 s[16:17], vcc, exec
	v_and_b32_e32 v1, 0xff, v6
	s_or_b64 s[4:5], s[4:5], s[16:17]
; %bb.183:
	s_or_b64 exec, exec, s[14:15]
	v_mov_b32_dpp v6, v1 row_bcast:15 row_mask:0xf bank_mask:0xf bound_ctrl:1
	v_and_b32_e32 v7, 1, v6
	v_mov_b32_dpp v4, v2 row_bcast:15 row_mask:0xf bank_mask:0xf bound_ctrl:1
	v_mov_b32_dpp v5, v3 row_bcast:15 row_mask:0xf bank_mask:0xf bound_ctrl:1
	v_cmp_eq_u32_e32 vcc, 1, v7
	s_and_saveexec_b64 s[14:15], vcc
; %bb.184:
	v_cmp_lt_i64_e32 vcc, v[2:3], v[4:5]
	v_cndmask_b32_e64 v6, v6, 1, s[4:5]
	s_and_b64 vcc, s[4:5], vcc
	v_cndmask_b32_e32 v2, v4, v2, vcc
	v_and_b32_e32 v4, 1, v6
	v_cndmask_b32_e32 v3, v5, v3, vcc
	v_cmp_eq_u32_e32 vcc, 1, v4
	s_andn2_b64 s[4:5], s[4:5], exec
	s_and_b64 s[16:17], vcc, exec
	v_and_b32_e32 v1, 0xff, v6
	s_or_b64 s[4:5], s[4:5], s[16:17]
; %bb.185:
	s_or_b64 exec, exec, s[14:15]
	v_mov_b32_dpp v6, v1 row_bcast:31 row_mask:0xf bank_mask:0xf bound_ctrl:1
	v_and_b32_e32 v7, 1, v6
	v_mov_b32_dpp v4, v2 row_bcast:31 row_mask:0xf bank_mask:0xf bound_ctrl:1
	v_mov_b32_dpp v5, v3 row_bcast:31 row_mask:0xf bank_mask:0xf bound_ctrl:1
	v_cmp_eq_u32_e32 vcc, 1, v7
	s_and_saveexec_b64 s[14:15], vcc
; %bb.186:
	v_cmp_lt_i64_e32 vcc, v[2:3], v[4:5]
	v_and_b32_e32 v1, 0xff, v6
	s_and_b64 vcc, s[4:5], vcc
	v_cndmask_b32_e32 v2, v4, v2, vcc
	v_cndmask_b32_e32 v3, v5, v3, vcc
	v_cndmask_b32_e64 v1, v1, 1, s[4:5]
; %bb.187:
	s_or_b64 exec, exec, s[14:15]
	v_mbcnt_lo_u32_b32 v4, -1, 0
	v_mbcnt_hi_u32_b32 v4, -1, v4
	v_bfrev_b32_e32 v5, 0.5
	v_lshl_or_b32 v5, v4, 2, v5
	ds_bpermute_b32 v6, v5, v1
	ds_bpermute_b32 v2, v5, v2
	;; [unrolled: 1-line block ×3, first 2 shown]
	v_cmp_eq_u32_e32 vcc, 0, v4
	s_and_saveexec_b64 s[4:5], vcc
	s_cbranch_execz .LBB76_189
; %bb.188:
	v_lshrrev_b32_e32 v1, 2, v0
	v_and_b32_e32 v1, 48, v1
	s_waitcnt lgkmcnt(2)
	ds_write_b8 v1, v6 offset:192
	s_waitcnt lgkmcnt(1)
	ds_write_b64 v1, v[2:3] offset:200
.LBB76_189:
	s_or_b64 exec, exec, s[4:5]
	v_cmp_gt_u32_e32 vcc, 64, v0
	s_waitcnt lgkmcnt(0)
	s_barrier
	s_and_saveexec_b64 s[14:15], vcc
	s_cbranch_execz .LBB76_191
; %bb.190:
	v_and_b32_e32 v1, 3, v4
	v_lshlrev_b32_e32 v2, 4, v1
	ds_read_u8 v5, v2 offset:192
	ds_read_b64 v[2:3], v2 offset:200
	v_cmp_ne_u32_e32 vcc, 3, v1
	s_waitcnt lgkmcnt(1)
	v_and_b32_e32 v7, 0xff, v5
	v_addc_co_u32_e32 v6, vcc, 0, v4, vcc
	v_lshlrev_b32_e32 v8, 2, v6
	ds_bpermute_b32 v9, v8, v7
	s_waitcnt lgkmcnt(1)
	ds_bpermute_b32 v6, v8, v2
	ds_bpermute_b32 v7, v8, v3
	v_and_b32_e32 v8, 1, v5
	s_waitcnt lgkmcnt(2)
	v_and_b32_e32 v10, 1, v9
	v_cmp_eq_u32_e64 s[4:5], 1, v10
	s_waitcnt lgkmcnt(0)
	v_cmp_lt_i64_e32 vcc, v[6:7], v[2:3]
	s_and_b64 vcc, s[4:5], vcc
	v_cndmask_b32_e64 v5, v5, 1, s[4:5]
	v_cndmask_b32_e32 v2, v2, v6, vcc
	v_cndmask_b32_e32 v3, v3, v7, vcc
	v_cmp_eq_u32_e32 vcc, 1, v8
	s_nop 1
	v_cndmask_b32_e32 v8, v9, v5, vcc
	v_cndmask_b32_e32 v3, v7, v3, vcc
	;; [unrolled: 1-line block ×3, first 2 shown]
	v_cmp_gt_u32_e32 vcc, 2, v1
	v_and_b32_e32 v5, 0xff, v8
	s_nop 0
	v_cndmask_b32_e64 v1, 0, 1, vcc
	v_lshlrev_b32_e32 v1, 1, v1
	v_add_lshl_u32 v1, v1, v4, 2
	ds_bpermute_b32 v6, v1, v5
	ds_bpermute_b32 v4, v1, v2
	;; [unrolled: 1-line block ×3, first 2 shown]
	v_and_b32_e32 v1, 1, v8
	s_waitcnt lgkmcnt(2)
	v_and_b32_e32 v7, 1, v6
	v_cmp_eq_u32_e64 s[4:5], 1, v7
	s_waitcnt lgkmcnt(0)
	v_cmp_lt_i64_e32 vcc, v[4:5], v[2:3]
	s_and_b64 vcc, s[4:5], vcc
	v_cndmask_b32_e64 v7, v8, 1, s[4:5]
	v_cndmask_b32_e32 v2, v2, v4, vcc
	v_cndmask_b32_e32 v3, v3, v5, vcc
	v_cmp_eq_u32_e32 vcc, 1, v1
	s_nop 1
	v_cndmask_b32_e32 v1, v6, v7, vcc
	v_cndmask_b32_e32 v3, v5, v3, vcc
	;; [unrolled: 1-line block ×3, first 2 shown]
	v_and_b32_e32 v6, 0xff, v1
.LBB76_191:
	s_or_b64 exec, exec, s[14:15]
	s_branch .LBB76_227
.LBB76_192:
                                        ; implicit-def: $vgpr4_vgpr5
                                        ; implicit-def: $vgpr1
.LBB76_193:
	s_branch .LBB76_307
.LBB76_194:
                                        ; implicit-def: $vgpr2_vgpr3
                                        ; implicit-def: $vgpr6
	s_cbranch_execz .LBB76_227
; %bb.195:
	s_sub_i32 s16, s38, s6
	s_waitcnt lgkmcnt(2)
	v_mov_b64_e32 v[6:7], 0
	v_cmp_gt_u32_e32 vcc, s16, v0
	v_mov_b32_e32 v13, 0
	v_mov_b64_e32 v[2:3], v[6:7]
	v_mov_b32_e32 v12, 0
	s_and_saveexec_b64 s[4:5], vcc
	s_cbranch_execz .LBB76_197
; %bb.196:
	v_lshlrev_b32_e32 v1, 3, v0
	s_waitcnt lgkmcnt(0)
	global_load_dwordx2 v[4:5], v1, s[8:9]
	global_load_dwordx2 v[8:9], v1, s[10:11]
	v_mov_b32_e32 v1, 0
	v_lshl_add_u64 v[2:3], s[12:13], 0, v[0:1]
	s_waitcnt vmcnt(0)
	v_cmp_ne_u64_e32 vcc, v[4:5], v[8:9]
	s_nop 1
	v_cndmask_b32_e64 v12, 0, 1, vcc
.LBB76_197:
	s_or_b64 exec, exec, s[4:5]
	s_waitcnt lgkmcnt(1)
	v_or_b32_e32 v4, 0x100, v0
	v_cmp_gt_u32_e64 s[6:7], s16, v4
	s_and_saveexec_b64 s[4:5], s[6:7]
	s_cbranch_execz .LBB76_199
; %bb.198:
	v_lshlrev_b32_e32 v1, 3, v0
	global_load_dwordx2 v[8:9], v1, s[8:9] offset:2048
	global_load_dwordx2 v[10:11], v1, s[10:11] offset:2048
	s_waitcnt lgkmcnt(0)
	v_mov_b32_e32 v5, 0
	v_lshl_add_u64 v[6:7], s[12:13], 0, v[4:5]
	s_waitcnt vmcnt(0)
	v_cmp_ne_u64_e32 vcc, v[8:9], v[10:11]
	s_nop 1
	v_cndmask_b32_e64 v13, 0, 1, vcc
.LBB76_199:
	s_or_b64 exec, exec, s[4:5]
	v_or_b32_e32 v10, 0x200, v0
	s_waitcnt lgkmcnt(0)
	v_mov_b64_e32 v[4:5], 0
	v_cmp_gt_u32_e64 s[4:5], s16, v10
	v_mov_b32_e32 v1, 0
	v_mov_b64_e32 v[8:9], v[4:5]
	v_mov_b32_e32 v14, 0
	s_and_saveexec_b64 s[14:15], s[4:5]
	s_cbranch_execz .LBB76_201
; %bb.200:
	v_lshlrev_b32_e32 v8, 3, v10
	global_load_dwordx2 v[14:15], v8, s[8:9]
	global_load_dwordx2 v[16:17], v8, s[10:11]
	v_mov_b32_e32 v11, 0
	v_lshl_add_u64 v[8:9], s[12:13], 0, v[10:11]
	s_waitcnt vmcnt(0)
	v_cmp_ne_u64_e32 vcc, v[14:15], v[16:17]
	s_nop 1
	v_cndmask_b32_e64 v14, 0, 1, vcc
.LBB76_201:
	s_or_b64 exec, exec, s[14:15]
	v_or_b32_e32 v10, 0x300, v0
	v_cmp_gt_u32_e32 vcc, s16, v10
	s_and_saveexec_b64 s[14:15], vcc
	s_cbranch_execnz .LBB76_339
; %bb.202:
	s_or_b64 exec, exec, s[14:15]
	s_and_saveexec_b64 s[10:11], s[6:7]
	s_cbranch_execnz .LBB76_340
.LBB76_203:
	s_or_b64 exec, exec, s[10:11]
	s_and_saveexec_b64 s[8:9], s[4:5]
	s_cbranch_execnz .LBB76_341
.LBB76_204:
	s_or_b64 exec, exec, s[8:9]
	s_and_saveexec_b64 s[6:7], vcc
	s_cbranch_execz .LBB76_206
.LBB76_205:
	v_and_b32_e32 v7, 1, v1
	v_cmp_lt_i64_e32 vcc, v[4:5], v[2:3]
	v_cmp_eq_u32_e64 s[4:5], 1, v7
	v_and_b32_e32 v6, 1, v12
	s_and_b64 vcc, s[4:5], vcc
	v_cndmask_b32_e64 v7, v12, 1, s[4:5]
	v_cndmask_b32_e32 v2, v2, v4, vcc
	v_cndmask_b32_e32 v3, v3, v5, vcc
	v_cmp_eq_u32_e32 vcc, 1, v6
	s_nop 1
	v_cndmask_b32_e32 v12, v1, v7, vcc
	v_cndmask_b32_e32 v3, v5, v3, vcc
	;; [unrolled: 1-line block ×3, first 2 shown]
.LBB76_206:
	s_or_b64 exec, exec, s[6:7]
	v_mbcnt_lo_u32_b32 v1, -1, 0
	v_mbcnt_hi_u32_b32 v1, -1, v1
	v_and_b32_e32 v7, 63, v1
	v_cmp_ne_u32_e32 vcc, 63, v7
	v_and_b32_e32 v6, 0xffff, v12
	s_min_u32 s8, s16, 0x100
	v_addc_co_u32_e32 v4, vcc, 0, v1, vcc
	v_lshlrev_b32_e32 v5, 2, v4
	ds_bpermute_b32 v10, v5, v6
	ds_bpermute_b32 v4, v5, v2
	;; [unrolled: 1-line block ×3, first 2 shown]
	v_and_b32_e32 v8, 0xc0, v0
	v_sub_u32_e64 v9, s8, v8 clamp
	v_add_u32_e32 v8, 1, v7
	v_cmp_lt_u32_e32 vcc, v8, v9
	v_mov_b32_e32 v8, v6
	s_and_saveexec_b64 s[4:5], vcc
	s_xor_b64 s[6:7], exec, s[4:5]
	s_cbranch_execz .LBB76_208
; %bb.207:
	s_waitcnt lgkmcnt(2)
	v_and_b32_e32 v11, 1, v10
	s_waitcnt lgkmcnt(0)
	v_cmp_lt_i64_e32 vcc, v[4:5], v[2:3]
	v_cmp_eq_u32_e64 s[4:5], 1, v11
	v_and_b32_e32 v8, 1, v12
	s_and_b64 vcc, s[4:5], vcc
	v_cndmask_b32_e64 v6, v6, 1, s[4:5]
	v_cndmask_b32_e32 v2, v2, v4, vcc
	v_cndmask_b32_e32 v3, v3, v5, vcc
	v_cmp_eq_u32_e32 vcc, 1, v8
	s_nop 1
	v_cndmask_b32_e32 v8, v10, v6, vcc
	v_cndmask_b32_e32 v3, v5, v3, vcc
	v_cndmask_b32_e32 v2, v4, v2, vcc
	v_and_b32_e32 v6, 0xff, v8
.LBB76_208:
	s_or_b64 exec, exec, s[6:7]
	v_cmp_gt_u32_e32 vcc, 62, v7
	v_add_u32_e32 v11, 2, v7
	s_waitcnt lgkmcnt(1)
	v_cndmask_b32_e64 v4, 0, 1, vcc
	v_lshlrev_b32_e32 v4, 1, v4
	s_waitcnt lgkmcnt(0)
	v_add_lshl_u32 v5, v4, v1, 2
	ds_bpermute_b32 v10, v5, v6
	ds_bpermute_b32 v4, v5, v2
	ds_bpermute_b32 v5, v5, v3
	v_cmp_lt_u32_e32 vcc, v11, v9
	s_and_saveexec_b64 s[6:7], vcc
	s_cbranch_execz .LBB76_210
; %bb.209:
	s_waitcnt lgkmcnt(2)
	v_and_b32_e32 v11, 1, v10
	s_waitcnt lgkmcnt(0)
	v_cmp_lt_i64_e32 vcc, v[4:5], v[2:3]
	v_cmp_eq_u32_e64 s[4:5], 1, v11
	v_and_b32_e32 v6, 1, v8
	s_and_b64 vcc, s[4:5], vcc
	v_cndmask_b32_e64 v8, v8, 1, s[4:5]
	v_cndmask_b32_e32 v2, v2, v4, vcc
	v_cndmask_b32_e32 v3, v3, v5, vcc
	v_cmp_eq_u32_e32 vcc, 1, v6
	s_nop 1
	v_cndmask_b32_e32 v8, v10, v8, vcc
	v_cndmask_b32_e32 v3, v5, v3, vcc
	v_cndmask_b32_e32 v2, v4, v2, vcc
	v_and_b32_e32 v6, 0xff, v8
.LBB76_210:
	s_or_b64 exec, exec, s[6:7]
	v_cmp_gt_u32_e32 vcc, 60, v7
	v_add_u32_e32 v11, 4, v7
	s_waitcnt lgkmcnt(1)
	v_cndmask_b32_e64 v4, 0, 1, vcc
	v_lshlrev_b32_e32 v4, 2, v4
	s_waitcnt lgkmcnt(0)
	v_add_lshl_u32 v5, v4, v1, 2
	ds_bpermute_b32 v10, v5, v6
	ds_bpermute_b32 v4, v5, v2
	ds_bpermute_b32 v5, v5, v3
	v_cmp_lt_u32_e32 vcc, v11, v9
	s_and_saveexec_b64 s[6:7], vcc
	s_cbranch_execz .LBB76_212
; %bb.211:
	s_waitcnt lgkmcnt(2)
	v_and_b32_e32 v11, 1, v10
	s_waitcnt lgkmcnt(0)
	v_cmp_lt_i64_e32 vcc, v[4:5], v[2:3]
	v_cmp_eq_u32_e64 s[4:5], 1, v11
	v_and_b32_e32 v6, 1, v8
	s_and_b64 vcc, s[4:5], vcc
	v_cndmask_b32_e64 v8, v8, 1, s[4:5]
	v_cndmask_b32_e32 v2, v2, v4, vcc
	v_cndmask_b32_e32 v3, v3, v5, vcc
	v_cmp_eq_u32_e32 vcc, 1, v6
	s_nop 1
	v_cndmask_b32_e32 v8, v10, v8, vcc
	v_cndmask_b32_e32 v3, v5, v3, vcc
	v_cndmask_b32_e32 v2, v4, v2, vcc
	v_and_b32_e32 v6, 0xff, v8
.LBB76_212:
	s_or_b64 exec, exec, s[6:7]
	v_cmp_gt_u32_e32 vcc, 56, v7
	v_add_u32_e32 v11, 8, v7
	s_waitcnt lgkmcnt(1)
	v_cndmask_b32_e64 v4, 0, 1, vcc
	v_lshlrev_b32_e32 v4, 3, v4
	s_waitcnt lgkmcnt(0)
	v_add_lshl_u32 v5, v4, v1, 2
	ds_bpermute_b32 v10, v5, v6
	ds_bpermute_b32 v4, v5, v2
	ds_bpermute_b32 v5, v5, v3
	v_cmp_lt_u32_e32 vcc, v11, v9
	s_and_saveexec_b64 s[6:7], vcc
	s_cbranch_execz .LBB76_214
; %bb.213:
	s_waitcnt lgkmcnt(2)
	v_and_b32_e32 v11, 1, v10
	s_waitcnt lgkmcnt(0)
	v_cmp_lt_i64_e32 vcc, v[4:5], v[2:3]
	v_cmp_eq_u32_e64 s[4:5], 1, v11
	v_and_b32_e32 v6, 1, v8
	s_and_b64 vcc, s[4:5], vcc
	v_cndmask_b32_e64 v8, v8, 1, s[4:5]
	v_cndmask_b32_e32 v2, v2, v4, vcc
	v_cndmask_b32_e32 v3, v3, v5, vcc
	v_cmp_eq_u32_e32 vcc, 1, v6
	s_nop 1
	v_cndmask_b32_e32 v8, v10, v8, vcc
	v_cndmask_b32_e32 v3, v5, v3, vcc
	v_cndmask_b32_e32 v2, v4, v2, vcc
	v_and_b32_e32 v6, 0xff, v8
.LBB76_214:
	s_or_b64 exec, exec, s[6:7]
	v_cmp_gt_u32_e32 vcc, 48, v7
	v_add_u32_e32 v11, 16, v7
	s_waitcnt lgkmcnt(1)
	v_cndmask_b32_e64 v4, 0, 1, vcc
	v_lshlrev_b32_e32 v4, 4, v4
	s_waitcnt lgkmcnt(0)
	v_add_lshl_u32 v5, v4, v1, 2
	ds_bpermute_b32 v10, v5, v6
	ds_bpermute_b32 v4, v5, v2
	ds_bpermute_b32 v5, v5, v3
	v_cmp_lt_u32_e32 vcc, v11, v9
	s_and_saveexec_b64 s[6:7], vcc
	s_cbranch_execz .LBB76_216
; %bb.215:
	s_waitcnt lgkmcnt(2)
	v_and_b32_e32 v11, 1, v10
	s_waitcnt lgkmcnt(0)
	v_cmp_lt_i64_e32 vcc, v[4:5], v[2:3]
	v_cmp_eq_u32_e64 s[4:5], 1, v11
	v_and_b32_e32 v6, 1, v8
	s_and_b64 vcc, s[4:5], vcc
	v_cndmask_b32_e64 v8, v8, 1, s[4:5]
	v_cndmask_b32_e32 v2, v2, v4, vcc
	v_cndmask_b32_e32 v3, v3, v5, vcc
	v_cmp_eq_u32_e32 vcc, 1, v6
	s_nop 1
	v_cndmask_b32_e32 v8, v10, v8, vcc
	v_cndmask_b32_e32 v3, v5, v3, vcc
	v_cndmask_b32_e32 v2, v4, v2, vcc
	v_and_b32_e32 v6, 0xff, v8
.LBB76_216:
	s_or_b64 exec, exec, s[6:7]
	v_cmp_gt_u32_e32 vcc, 32, v7
	v_add_u32_e32 v7, 32, v7
	s_waitcnt lgkmcnt(1)
	v_cndmask_b32_e64 v4, 0, 1, vcc
	v_lshlrev_b32_e32 v4, 5, v4
	s_waitcnt lgkmcnt(0)
	v_add_lshl_u32 v5, v4, v1, 2
	ds_bpermute_b32 v10, v5, v6
	ds_bpermute_b32 v4, v5, v2
	ds_bpermute_b32 v5, v5, v3
	v_cmp_lt_u32_e32 vcc, v7, v9
	s_and_saveexec_b64 s[6:7], vcc
	s_cbranch_execz .LBB76_218
; %bb.217:
	s_waitcnt lgkmcnt(2)
	v_and_b32_e32 v7, 1, v10
	s_waitcnt lgkmcnt(0)
	v_cmp_lt_i64_e32 vcc, v[4:5], v[2:3]
	v_cmp_eq_u32_e64 s[4:5], 1, v7
	v_and_b32_e32 v6, 1, v8
	s_and_b64 vcc, s[4:5], vcc
	v_cndmask_b32_e64 v7, v8, 1, s[4:5]
	v_cndmask_b32_e32 v2, v2, v4, vcc
	v_cndmask_b32_e32 v3, v3, v5, vcc
	v_cmp_eq_u32_e32 vcc, 1, v6
	s_nop 1
	v_cndmask_b32_e32 v8, v10, v7, vcc
	v_cndmask_b32_e32 v3, v5, v3, vcc
	;; [unrolled: 1-line block ×3, first 2 shown]
	v_and_b32_e32 v6, 0xff, v8
.LBB76_218:
	s_or_b64 exec, exec, s[6:7]
	v_cmp_eq_u32_e32 vcc, 0, v1
	s_and_saveexec_b64 s[4:5], vcc
	s_cbranch_execz .LBB76_220
; %bb.219:
	s_waitcnt lgkmcnt(1)
	v_lshrrev_b32_e32 v4, 2, v0
	v_and_b32_e32 v4, 48, v4
	ds_write_b8 v4, v8 offset:320
	ds_write_b64 v4, v[2:3] offset:328
.LBB76_220:
	s_or_b64 exec, exec, s[4:5]
	v_cmp_gt_u32_e32 vcc, 4, v0
	s_waitcnt lgkmcnt(0)
	s_barrier
	s_and_saveexec_b64 s[6:7], vcc
	s_cbranch_execz .LBB76_226
; %bb.221:
	v_lshlrev_b32_e32 v2, 4, v1
	ds_read_u8 v7, v2 offset:320
	ds_read_b64 v[2:3], v2 offset:328
	v_and_b32_e32 v8, 3, v1
	v_cmp_ne_u32_e32 vcc, 3, v8
	s_add_i32 s8, s8, 63
	s_waitcnt lgkmcnt(1)
	v_and_b32_e32 v6, 0xff, v7
	v_addc_co_u32_e32 v4, vcc, 0, v1, vcc
	v_lshlrev_b32_e32 v5, 2, v4
	ds_bpermute_b32 v9, v5, v6
	s_waitcnt lgkmcnt(1)
	ds_bpermute_b32 v4, v5, v2
	ds_bpermute_b32 v5, v5, v3
	s_lshr_b32 s10, s8, 6
	v_add_u32_e32 v10, 1, v8
	v_cmp_gt_u32_e32 vcc, s10, v10
	s_and_saveexec_b64 s[8:9], vcc
	s_cbranch_execz .LBB76_223
; %bb.222:
	s_waitcnt lgkmcnt(2)
	v_and_b32_e32 v10, 1, v9
	s_waitcnt lgkmcnt(0)
	v_cmp_lt_i64_e32 vcc, v[4:5], v[2:3]
	v_cmp_eq_u32_e64 s[4:5], 1, v10
	v_and_b32_e32 v6, 1, v7
	s_and_b64 vcc, s[4:5], vcc
	v_cndmask_b32_e64 v7, v7, 1, s[4:5]
	v_cndmask_b32_e32 v2, v2, v4, vcc
	v_cndmask_b32_e32 v3, v3, v5, vcc
	v_cmp_eq_u32_e32 vcc, 1, v6
	s_nop 1
	v_cndmask_b32_e32 v7, v9, v7, vcc
	v_cndmask_b32_e32 v3, v5, v3, vcc
	;; [unrolled: 1-line block ×3, first 2 shown]
	v_and_b32_e32 v6, 0xff, v7
.LBB76_223:
	s_or_b64 exec, exec, s[8:9]
	v_cmp_gt_u32_e32 vcc, 2, v8
	v_add_u32_e32 v8, 2, v8
	s_waitcnt lgkmcnt(1)
	v_cndmask_b32_e64 v4, 0, 1, vcc
	v_lshlrev_b32_e32 v4, 1, v4
	s_waitcnt lgkmcnt(0)
	v_add_lshl_u32 v5, v4, v1, 2
	ds_bpermute_b32 v1, v5, v6
	ds_bpermute_b32 v4, v5, v2
	;; [unrolled: 1-line block ×3, first 2 shown]
	v_cmp_gt_u32_e32 vcc, s10, v8
	s_and_saveexec_b64 s[8:9], vcc
	s_cbranch_execz .LBB76_225
; %bb.224:
	s_waitcnt lgkmcnt(2)
	v_and_b32_e32 v8, 1, v1
	s_waitcnt lgkmcnt(0)
	v_cmp_lt_i64_e32 vcc, v[4:5], v[2:3]
	v_cmp_eq_u32_e64 s[4:5], 1, v8
	v_and_b32_e32 v6, 1, v7
	s_and_b64 vcc, s[4:5], vcc
	v_cndmask_b32_e64 v7, v7, 1, s[4:5]
	v_cndmask_b32_e32 v2, v2, v4, vcc
	v_cndmask_b32_e32 v3, v3, v5, vcc
	v_cmp_eq_u32_e32 vcc, 1, v6
	s_nop 1
	v_cndmask_b32_e32 v1, v1, v7, vcc
	v_cndmask_b32_e32 v3, v5, v3, vcc
	;; [unrolled: 1-line block ×3, first 2 shown]
	v_and_b32_e32 v6, 0xff, v1
.LBB76_225:
	s_or_b64 exec, exec, s[8:9]
.LBB76_226:
	s_or_b64 exec, exec, s[6:7]
.LBB76_227:
	v_cmp_eq_u32_e32 vcc, 0, v0
                                        ; implicit-def: $vgpr4_vgpr5
                                        ; implicit-def: $vgpr1
	s_and_saveexec_b64 s[4:5], vcc
	s_xor_b64 s[8:9], exec, s[4:5]
	s_cbranch_execz .LBB76_231
; %bb.228:
	s_cmp_eq_u64 s[38:39], 0
	s_waitcnt lgkmcnt(0)
	v_mov_b64_e32 v[4:5], s[44:45]
	v_mov_b32_e32 v1, s33
	s_cbranch_scc1 .LBB76_230
; %bb.229:
	v_and_b32_e32 v1, 1, v6
	s_bitcmp1_b32 s33, 0
	v_mov_b32_e32 v4, s33
	v_cmp_eq_u32_e32 vcc, 1, v1
	v_cmp_gt_i64_e64 s[6:7], s[44:45], v[2:3]
	s_cselect_b64 s[4:5], -1, 0
	v_cndmask_b32_e64 v1, v4, 1, vcc
	v_mov_b32_e32 v4, s44
	s_and_b64 vcc, vcc, s[6:7]
	v_mov_b32_e32 v5, s45
	v_cndmask_b32_e32 v4, v4, v2, vcc
	v_cndmask_b32_e32 v5, v5, v3, vcc
	v_cndmask_b32_e64 v1, v6, v1, s[4:5]
	v_cndmask_b32_e64 v5, v3, v5, s[4:5]
	v_cndmask_b32_e64 v4, v2, v4, s[4:5]
.LBB76_230:
	s_or_b64 s[18:19], s[18:19], exec
.LBB76_231:
	s_or_b64 exec, exec, s[8:9]
	s_branch .LBB76_307
.LBB76_232:
	s_cmp_gt_i32 s54, 1
	s_cbranch_scc0 .LBB76_252
; %bb.233:
	s_cmp_eq_u32 s54, 2
	s_cbranch_scc0 .LBB76_253
; %bb.234:
	s_mov_b32 s3, 0
	s_lshl_b32 s12, s2, 9
	s_mov_b32 s13, s3
	s_lshr_b64 s[4:5], s[38:39], 9
	s_lshl_b64 s[8:9], s[12:13], 3
	s_add_u32 s6, s40, s8
	s_addc_u32 s7, s41, s9
	s_add_u32 s8, s42, s8
	s_addc_u32 s9, s43, s9
	;; [unrolled: 2-line block ×3, first 2 shown]
	s_cmp_lg_u64 s[4:5], s[2:3]
	s_cbranch_scc0 .LBB76_254
; %bb.235:
	s_waitcnt lgkmcnt(2)
	v_lshlrev_b32_e32 v1, 3, v0
	global_load_dwordx2 v[2:3], v1, s[8:9] offset:2048
	s_waitcnt lgkmcnt(0)
	global_load_dwordx2 v[4:5], v1, s[8:9]
	global_load_dwordx2 v[6:7], v1, s[6:7] offset:2048
	global_load_dwordx2 v[8:9], v1, s[6:7]
	v_mov_b32_e32 v1, 0
	s_mov_b64 s[4:5], 0x100
	v_lshl_add_u64 v[10:11], s[10:11], 0, v[0:1]
	v_lshl_add_u64 v[12:13], v[10:11], 0, s[4:5]
	s_waitcnt vmcnt(1)
	v_cmp_ne_u64_e32 vcc, v[6:7], v[2:3]
	s_waitcnt vmcnt(0)
	v_cmp_ne_u64_e64 s[4:5], v[8:9], v[4:5]
	s_nop 1
	v_cndmask_b32_e64 v3, v13, v11, s[4:5]
	v_cndmask_b32_e64 v2, v12, v10, s[4:5]
	s_or_b64 s[4:5], s[4:5], vcc
	v_cndmask_b32_e64 v1, 0, 1, s[4:5]
	v_mov_b32_dpp v4, v2 quad_perm:[1,0,3,2] row_mask:0xf bank_mask:0xf bound_ctrl:1
	v_mov_b32_dpp v5, v3 quad_perm:[1,0,3,2] row_mask:0xf bank_mask:0xf bound_ctrl:1
	;; [unrolled: 1-line block ×3, first 2 shown]
	v_and_b32_e32 v7, 1, v6
	v_cmp_eq_u32_e32 vcc, 1, v7
	s_and_saveexec_b64 s[14:15], vcc
; %bb.236:
	v_cmp_lt_i64_e32 vcc, v[2:3], v[4:5]
	v_cndmask_b32_e64 v6, v6, 1, s[4:5]
	s_and_b64 vcc, s[4:5], vcc
	v_cndmask_b32_e32 v2, v4, v2, vcc
	v_and_b32_e32 v4, 1, v6
	v_cndmask_b32_e32 v3, v5, v3, vcc
	v_cmp_eq_u32_e32 vcc, 1, v4
	s_andn2_b64 s[4:5], s[4:5], exec
	s_and_b64 s[16:17], vcc, exec
	v_and_b32_e32 v1, 0xff, v6
	s_or_b64 s[4:5], s[4:5], s[16:17]
; %bb.237:
	s_or_b64 exec, exec, s[14:15]
	v_mov_b32_dpp v6, v1 quad_perm:[2,3,0,1] row_mask:0xf bank_mask:0xf bound_ctrl:1
	v_and_b32_e32 v7, 1, v6
	v_mov_b32_dpp v4, v2 quad_perm:[2,3,0,1] row_mask:0xf bank_mask:0xf bound_ctrl:1
	v_mov_b32_dpp v5, v3 quad_perm:[2,3,0,1] row_mask:0xf bank_mask:0xf bound_ctrl:1
	v_cmp_eq_u32_e32 vcc, 1, v7
	s_and_saveexec_b64 s[14:15], vcc
; %bb.238:
	v_cmp_lt_i64_e32 vcc, v[2:3], v[4:5]
	v_cndmask_b32_e64 v6, v6, 1, s[4:5]
	s_and_b64 vcc, s[4:5], vcc
	v_cndmask_b32_e32 v2, v4, v2, vcc
	v_and_b32_e32 v4, 1, v6
	v_cndmask_b32_e32 v3, v5, v3, vcc
	v_cmp_eq_u32_e32 vcc, 1, v4
	s_andn2_b64 s[4:5], s[4:5], exec
	s_and_b64 s[16:17], vcc, exec
	v_and_b32_e32 v1, 0xff, v6
	s_or_b64 s[4:5], s[4:5], s[16:17]
; %bb.239:
	s_or_b64 exec, exec, s[14:15]
	v_mov_b32_dpp v6, v1 row_ror:4 row_mask:0xf bank_mask:0xf bound_ctrl:1
	v_and_b32_e32 v7, 1, v6
	v_mov_b32_dpp v4, v2 row_ror:4 row_mask:0xf bank_mask:0xf bound_ctrl:1
	v_mov_b32_dpp v5, v3 row_ror:4 row_mask:0xf bank_mask:0xf bound_ctrl:1
	v_cmp_eq_u32_e32 vcc, 1, v7
	s_and_saveexec_b64 s[14:15], vcc
; %bb.240:
	v_cmp_lt_i64_e32 vcc, v[2:3], v[4:5]
	v_cndmask_b32_e64 v6, v6, 1, s[4:5]
	s_and_b64 vcc, s[4:5], vcc
	v_cndmask_b32_e32 v2, v4, v2, vcc
	v_and_b32_e32 v4, 1, v6
	v_cndmask_b32_e32 v3, v5, v3, vcc
	v_cmp_eq_u32_e32 vcc, 1, v4
	s_andn2_b64 s[4:5], s[4:5], exec
	s_and_b64 s[16:17], vcc, exec
	v_and_b32_e32 v1, 0xff, v6
	s_or_b64 s[4:5], s[4:5], s[16:17]
; %bb.241:
	s_or_b64 exec, exec, s[14:15]
	v_mov_b32_dpp v6, v1 row_ror:8 row_mask:0xf bank_mask:0xf bound_ctrl:1
	v_and_b32_e32 v7, 1, v6
	v_mov_b32_dpp v4, v2 row_ror:8 row_mask:0xf bank_mask:0xf bound_ctrl:1
	v_mov_b32_dpp v5, v3 row_ror:8 row_mask:0xf bank_mask:0xf bound_ctrl:1
	v_cmp_eq_u32_e32 vcc, 1, v7
	s_and_saveexec_b64 s[14:15], vcc
; %bb.242:
	v_cmp_lt_i64_e32 vcc, v[2:3], v[4:5]
	v_cndmask_b32_e64 v6, v6, 1, s[4:5]
	s_and_b64 vcc, s[4:5], vcc
	v_cndmask_b32_e32 v2, v4, v2, vcc
	v_and_b32_e32 v4, 1, v6
	v_cndmask_b32_e32 v3, v5, v3, vcc
	v_cmp_eq_u32_e32 vcc, 1, v4
	s_andn2_b64 s[4:5], s[4:5], exec
	s_and_b64 s[16:17], vcc, exec
	v_and_b32_e32 v1, 0xff, v6
	s_or_b64 s[4:5], s[4:5], s[16:17]
; %bb.243:
	s_or_b64 exec, exec, s[14:15]
	v_mov_b32_dpp v6, v1 row_bcast:15 row_mask:0xf bank_mask:0xf bound_ctrl:1
	v_and_b32_e32 v7, 1, v6
	v_mov_b32_dpp v4, v2 row_bcast:15 row_mask:0xf bank_mask:0xf bound_ctrl:1
	v_mov_b32_dpp v5, v3 row_bcast:15 row_mask:0xf bank_mask:0xf bound_ctrl:1
	v_cmp_eq_u32_e32 vcc, 1, v7
	s_and_saveexec_b64 s[14:15], vcc
; %bb.244:
	v_cmp_lt_i64_e32 vcc, v[2:3], v[4:5]
	v_cndmask_b32_e64 v6, v6, 1, s[4:5]
	s_and_b64 vcc, s[4:5], vcc
	v_cndmask_b32_e32 v2, v4, v2, vcc
	v_and_b32_e32 v4, 1, v6
	v_cndmask_b32_e32 v3, v5, v3, vcc
	v_cmp_eq_u32_e32 vcc, 1, v4
	s_andn2_b64 s[4:5], s[4:5], exec
	s_and_b64 s[16:17], vcc, exec
	v_and_b32_e32 v1, 0xff, v6
	s_or_b64 s[4:5], s[4:5], s[16:17]
; %bb.245:
	s_or_b64 exec, exec, s[14:15]
	v_mov_b32_dpp v6, v1 row_bcast:31 row_mask:0xf bank_mask:0xf bound_ctrl:1
	v_and_b32_e32 v7, 1, v6
	v_mov_b32_dpp v4, v2 row_bcast:31 row_mask:0xf bank_mask:0xf bound_ctrl:1
	v_mov_b32_dpp v5, v3 row_bcast:31 row_mask:0xf bank_mask:0xf bound_ctrl:1
	v_cmp_eq_u32_e32 vcc, 1, v7
	s_and_saveexec_b64 s[14:15], vcc
; %bb.246:
	v_cmp_lt_i64_e32 vcc, v[2:3], v[4:5]
	v_and_b32_e32 v1, 0xff, v6
	s_and_b64 vcc, s[4:5], vcc
	v_cndmask_b32_e32 v2, v4, v2, vcc
	v_cndmask_b32_e32 v3, v5, v3, vcc
	v_cndmask_b32_e64 v1, v1, 1, s[4:5]
; %bb.247:
	s_or_b64 exec, exec, s[14:15]
	v_mbcnt_lo_u32_b32 v4, -1, 0
	v_mbcnt_hi_u32_b32 v4, -1, v4
	v_bfrev_b32_e32 v5, 0.5
	v_lshl_or_b32 v5, v4, 2, v5
	ds_bpermute_b32 v6, v5, v1
	ds_bpermute_b32 v2, v5, v2
	;; [unrolled: 1-line block ×3, first 2 shown]
	v_cmp_eq_u32_e32 vcc, 0, v4
	s_and_saveexec_b64 s[4:5], vcc
	s_cbranch_execz .LBB76_249
; %bb.248:
	v_lshrrev_b32_e32 v1, 2, v0
	v_and_b32_e32 v1, 48, v1
	s_waitcnt lgkmcnt(2)
	ds_write_b8 v1, v6 offset:128
	s_waitcnt lgkmcnt(1)
	ds_write_b64 v1, v[2:3] offset:136
.LBB76_249:
	s_or_b64 exec, exec, s[4:5]
	v_cmp_gt_u32_e32 vcc, 64, v0
	s_waitcnt lgkmcnt(0)
	s_barrier
	s_and_saveexec_b64 s[14:15], vcc
	s_cbranch_execz .LBB76_251
; %bb.250:
	v_and_b32_e32 v1, 3, v4
	v_lshlrev_b32_e32 v2, 4, v1
	ds_read_u8 v5, v2 offset:128
	ds_read_b64 v[2:3], v2 offset:136
	v_cmp_ne_u32_e32 vcc, 3, v1
	s_waitcnt lgkmcnt(1)
	v_and_b32_e32 v7, 0xff, v5
	v_addc_co_u32_e32 v6, vcc, 0, v4, vcc
	v_lshlrev_b32_e32 v8, 2, v6
	ds_bpermute_b32 v9, v8, v7
	s_waitcnt lgkmcnt(1)
	ds_bpermute_b32 v6, v8, v2
	ds_bpermute_b32 v7, v8, v3
	v_and_b32_e32 v8, 1, v5
	s_waitcnt lgkmcnt(2)
	v_and_b32_e32 v10, 1, v9
	v_cmp_eq_u32_e64 s[4:5], 1, v10
	s_waitcnt lgkmcnt(0)
	v_cmp_lt_i64_e32 vcc, v[6:7], v[2:3]
	s_and_b64 vcc, s[4:5], vcc
	v_cndmask_b32_e64 v5, v5, 1, s[4:5]
	v_cndmask_b32_e32 v2, v2, v6, vcc
	v_cndmask_b32_e32 v3, v3, v7, vcc
	v_cmp_eq_u32_e32 vcc, 1, v8
	s_nop 1
	v_cndmask_b32_e32 v8, v9, v5, vcc
	v_cndmask_b32_e32 v3, v7, v3, vcc
	;; [unrolled: 1-line block ×3, first 2 shown]
	v_cmp_gt_u32_e32 vcc, 2, v1
	v_and_b32_e32 v5, 0xff, v8
	s_nop 0
	v_cndmask_b32_e64 v1, 0, 1, vcc
	v_lshlrev_b32_e32 v1, 1, v1
	v_add_lshl_u32 v1, v1, v4, 2
	ds_bpermute_b32 v6, v1, v5
	ds_bpermute_b32 v4, v1, v2
	;; [unrolled: 1-line block ×3, first 2 shown]
	v_and_b32_e32 v1, 1, v8
	s_waitcnt lgkmcnt(2)
	v_and_b32_e32 v7, 1, v6
	v_cmp_eq_u32_e64 s[4:5], 1, v7
	s_waitcnt lgkmcnt(0)
	v_cmp_lt_i64_e32 vcc, v[4:5], v[2:3]
	s_and_b64 vcc, s[4:5], vcc
	v_cndmask_b32_e64 v7, v8, 1, s[4:5]
	v_cndmask_b32_e32 v2, v2, v4, vcc
	v_cndmask_b32_e32 v3, v3, v5, vcc
	v_cmp_eq_u32_e32 vcc, 1, v1
	s_nop 1
	v_cndmask_b32_e32 v1, v6, v7, vcc
	v_cndmask_b32_e32 v3, v5, v3, vcc
	;; [unrolled: 1-line block ×3, first 2 shown]
	v_and_b32_e32 v6, 0xff, v1
.LBB76_251:
	s_or_b64 exec, exec, s[14:15]
	s_branch .LBB76_282
.LBB76_252:
                                        ; implicit-def: $vgpr4_vgpr5
                                        ; implicit-def: $vgpr1
	s_cbranch_execnz .LBB76_287
	s_branch .LBB76_307
.LBB76_253:
                                        ; implicit-def: $vgpr4_vgpr5
                                        ; implicit-def: $vgpr1
	s_branch .LBB76_307
.LBB76_254:
                                        ; implicit-def: $vgpr2_vgpr3
                                        ; implicit-def: $vgpr6
	s_cbranch_execz .LBB76_282
; %bb.255:
	s_sub_i32 s14, s38, s12
	s_waitcnt lgkmcnt(0)
	v_mov_b64_e32 v[4:5], 0
	v_cmp_gt_u32_e32 vcc, s14, v0
	v_mov_b32_e32 v7, 0
	v_mov_b64_e32 v[2:3], v[4:5]
	v_mov_b32_e32 v8, 0
	s_and_saveexec_b64 s[4:5], vcc
	s_cbranch_execz .LBB76_257
; %bb.256:
	v_lshlrev_b32_e32 v1, 3, v0
	global_load_dwordx2 v[8:9], v1, s[6:7]
	global_load_dwordx2 v[10:11], v1, s[8:9]
	v_mov_b32_e32 v1, 0
	v_lshl_add_u64 v[2:3], s[10:11], 0, v[0:1]
	s_waitcnt vmcnt(0)
	v_cmp_ne_u64_e32 vcc, v[8:9], v[10:11]
	s_nop 1
	v_cndmask_b32_e64 v8, 0, 1, vcc
.LBB76_257:
	s_or_b64 exec, exec, s[4:5]
	v_or_b32_e32 v6, 0x100, v0
	v_cmp_gt_u32_e32 vcc, s14, v6
	s_and_saveexec_b64 s[12:13], vcc
	s_cbranch_execz .LBB76_259
; %bb.258:
	v_lshlrev_b32_e32 v1, 3, v0
	global_load_dwordx2 v[10:11], v1, s[6:7] offset:2048
	global_load_dwordx2 v[12:13], v1, s[8:9] offset:2048
	v_mov_b32_e32 v7, 0
	v_lshl_add_u64 v[4:5], s[10:11], 0, v[6:7]
	s_waitcnt vmcnt(0)
	v_cmp_ne_u64_e64 s[4:5], v[10:11], v[12:13]
	s_nop 1
	v_cndmask_b32_e64 v7, 0, 1, s[4:5]
.LBB76_259:
	s_or_b64 exec, exec, s[12:13]
	s_and_saveexec_b64 s[6:7], vcc
	s_cbranch_execz .LBB76_261
; %bb.260:
	v_and_b32_e32 v6, 1, v7
	v_cmp_lt_i64_e32 vcc, v[4:5], v[2:3]
	v_cmp_eq_u32_e64 s[4:5], 1, v6
	v_and_b32_e32 v1, 1, v8
	s_and_b64 vcc, s[4:5], vcc
	v_cndmask_b32_e64 v6, v8, 1, s[4:5]
	v_cndmask_b32_e32 v2, v2, v4, vcc
	v_cndmask_b32_e32 v3, v3, v5, vcc
	v_cmp_eq_u32_e32 vcc, 1, v1
	s_nop 1
	v_cndmask_b32_e32 v8, v7, v6, vcc
	v_cndmask_b32_e32 v3, v5, v3, vcc
	;; [unrolled: 1-line block ×3, first 2 shown]
.LBB76_261:
	s_or_b64 exec, exec, s[6:7]
	v_mbcnt_lo_u32_b32 v1, -1, 0
	v_mbcnt_hi_u32_b32 v1, -1, v1
	v_and_b32_e32 v7, 63, v1
	v_cmp_ne_u32_e32 vcc, 63, v7
	v_and_b32_e32 v6, 0xffff, v8
	s_min_u32 s8, s14, 0x100
	v_addc_co_u32_e32 v4, vcc, 0, v1, vcc
	v_lshlrev_b32_e32 v5, 2, v4
	ds_bpermute_b32 v10, v5, v6
	ds_bpermute_b32 v4, v5, v2
	;; [unrolled: 1-line block ×3, first 2 shown]
	v_and_b32_e32 v9, 0xc0, v0
	v_sub_u32_e64 v9, s8, v9 clamp
	v_add_u32_e32 v11, 1, v7
	v_cmp_lt_u32_e32 vcc, v11, v9
	s_and_saveexec_b64 s[6:7], vcc
	s_cbranch_execz .LBB76_263
; %bb.262:
	s_waitcnt lgkmcnt(2)
	v_and_b32_e32 v11, 1, v10
	s_waitcnt lgkmcnt(0)
	v_cmp_lt_i64_e32 vcc, v[4:5], v[2:3]
	v_cmp_eq_u32_e64 s[4:5], 1, v11
	v_and_b32_e32 v6, 1, v8
	s_and_b64 vcc, s[4:5], vcc
	v_cndmask_b32_e64 v8, v8, 1, s[4:5]
	v_cndmask_b32_e32 v2, v2, v4, vcc
	v_cndmask_b32_e32 v3, v3, v5, vcc
	v_cmp_eq_u32_e32 vcc, 1, v6
	s_nop 1
	v_cndmask_b32_e32 v8, v10, v8, vcc
	v_cndmask_b32_e32 v3, v5, v3, vcc
	v_cndmask_b32_e32 v2, v4, v2, vcc
	v_and_b32_e32 v6, 0xff, v8
.LBB76_263:
	s_or_b64 exec, exec, s[6:7]
	v_cmp_gt_u32_e32 vcc, 62, v7
	v_add_u32_e32 v11, 2, v7
	s_waitcnt lgkmcnt(1)
	v_cndmask_b32_e64 v4, 0, 1, vcc
	v_lshlrev_b32_e32 v4, 1, v4
	s_waitcnt lgkmcnt(0)
	v_add_lshl_u32 v5, v4, v1, 2
	ds_bpermute_b32 v10, v5, v6
	ds_bpermute_b32 v4, v5, v2
	ds_bpermute_b32 v5, v5, v3
	v_cmp_lt_u32_e32 vcc, v11, v9
	s_and_saveexec_b64 s[6:7], vcc
	s_cbranch_execz .LBB76_265
; %bb.264:
	s_waitcnt lgkmcnt(2)
	v_and_b32_e32 v11, 1, v10
	s_waitcnt lgkmcnt(0)
	v_cmp_lt_i64_e32 vcc, v[4:5], v[2:3]
	v_cmp_eq_u32_e64 s[4:5], 1, v11
	v_and_b32_e32 v6, 1, v8
	s_and_b64 vcc, s[4:5], vcc
	v_cndmask_b32_e64 v8, v8, 1, s[4:5]
	v_cndmask_b32_e32 v2, v2, v4, vcc
	v_cndmask_b32_e32 v3, v3, v5, vcc
	v_cmp_eq_u32_e32 vcc, 1, v6
	s_nop 1
	v_cndmask_b32_e32 v8, v10, v8, vcc
	v_cndmask_b32_e32 v3, v5, v3, vcc
	v_cndmask_b32_e32 v2, v4, v2, vcc
	v_and_b32_e32 v6, 0xff, v8
.LBB76_265:
	s_or_b64 exec, exec, s[6:7]
	v_cmp_gt_u32_e32 vcc, 60, v7
	v_add_u32_e32 v11, 4, v7
	s_waitcnt lgkmcnt(1)
	v_cndmask_b32_e64 v4, 0, 1, vcc
	v_lshlrev_b32_e32 v4, 2, v4
	s_waitcnt lgkmcnt(0)
	v_add_lshl_u32 v5, v4, v1, 2
	ds_bpermute_b32 v10, v5, v6
	ds_bpermute_b32 v4, v5, v2
	ds_bpermute_b32 v5, v5, v3
	;; [unrolled: 32-line block ×5, first 2 shown]
	v_cmp_lt_u32_e32 vcc, v7, v9
	s_and_saveexec_b64 s[6:7], vcc
	s_cbranch_execz .LBB76_273
; %bb.272:
	s_waitcnt lgkmcnt(2)
	v_and_b32_e32 v7, 1, v10
	s_waitcnt lgkmcnt(0)
	v_cmp_lt_i64_e32 vcc, v[4:5], v[2:3]
	v_cmp_eq_u32_e64 s[4:5], 1, v7
	v_and_b32_e32 v6, 1, v8
	s_and_b64 vcc, s[4:5], vcc
	v_cndmask_b32_e64 v7, v8, 1, s[4:5]
	v_cndmask_b32_e32 v2, v2, v4, vcc
	v_cndmask_b32_e32 v3, v3, v5, vcc
	v_cmp_eq_u32_e32 vcc, 1, v6
	s_nop 1
	v_cndmask_b32_e32 v8, v10, v7, vcc
	v_cndmask_b32_e32 v3, v5, v3, vcc
	v_cndmask_b32_e32 v2, v4, v2, vcc
	v_and_b32_e32 v6, 0xff, v8
.LBB76_273:
	s_or_b64 exec, exec, s[6:7]
	v_cmp_eq_u32_e32 vcc, 0, v1
	s_and_saveexec_b64 s[4:5], vcc
	s_cbranch_execz .LBB76_275
; %bb.274:
	s_waitcnt lgkmcnt(1)
	v_lshrrev_b32_e32 v4, 2, v0
	v_and_b32_e32 v4, 48, v4
	ds_write_b8 v4, v8 offset:320
	ds_write_b64 v4, v[2:3] offset:328
.LBB76_275:
	s_or_b64 exec, exec, s[4:5]
	v_cmp_gt_u32_e32 vcc, 4, v0
	s_waitcnt lgkmcnt(0)
	s_barrier
	s_and_saveexec_b64 s[6:7], vcc
	s_cbranch_execz .LBB76_281
; %bb.276:
	v_lshlrev_b32_e32 v2, 4, v1
	ds_read_u8 v7, v2 offset:320
	ds_read_b64 v[2:3], v2 offset:328
	v_and_b32_e32 v8, 3, v1
	v_cmp_ne_u32_e32 vcc, 3, v8
	s_add_i32 s8, s8, 63
	s_waitcnt lgkmcnt(1)
	v_and_b32_e32 v6, 0xff, v7
	v_addc_co_u32_e32 v4, vcc, 0, v1, vcc
	v_lshlrev_b32_e32 v5, 2, v4
	ds_bpermute_b32 v9, v5, v6
	s_waitcnt lgkmcnt(1)
	ds_bpermute_b32 v4, v5, v2
	ds_bpermute_b32 v5, v5, v3
	s_lshr_b32 s10, s8, 6
	v_add_u32_e32 v10, 1, v8
	v_cmp_gt_u32_e32 vcc, s10, v10
	s_and_saveexec_b64 s[8:9], vcc
	s_cbranch_execz .LBB76_278
; %bb.277:
	s_waitcnt lgkmcnt(2)
	v_and_b32_e32 v10, 1, v9
	s_waitcnt lgkmcnt(0)
	v_cmp_lt_i64_e32 vcc, v[4:5], v[2:3]
	v_cmp_eq_u32_e64 s[4:5], 1, v10
	v_and_b32_e32 v6, 1, v7
	s_and_b64 vcc, s[4:5], vcc
	v_cndmask_b32_e64 v7, v7, 1, s[4:5]
	v_cndmask_b32_e32 v2, v2, v4, vcc
	v_cndmask_b32_e32 v3, v3, v5, vcc
	v_cmp_eq_u32_e32 vcc, 1, v6
	s_nop 1
	v_cndmask_b32_e32 v7, v9, v7, vcc
	v_cndmask_b32_e32 v3, v5, v3, vcc
	v_cndmask_b32_e32 v2, v4, v2, vcc
	v_and_b32_e32 v6, 0xff, v7
.LBB76_278:
	s_or_b64 exec, exec, s[8:9]
	v_cmp_gt_u32_e32 vcc, 2, v8
	v_add_u32_e32 v8, 2, v8
	s_waitcnt lgkmcnt(1)
	v_cndmask_b32_e64 v4, 0, 1, vcc
	v_lshlrev_b32_e32 v4, 1, v4
	s_waitcnt lgkmcnt(0)
	v_add_lshl_u32 v5, v4, v1, 2
	ds_bpermute_b32 v1, v5, v6
	ds_bpermute_b32 v4, v5, v2
	;; [unrolled: 1-line block ×3, first 2 shown]
	v_cmp_gt_u32_e32 vcc, s10, v8
	s_and_saveexec_b64 s[8:9], vcc
	s_cbranch_execz .LBB76_280
; %bb.279:
	s_waitcnt lgkmcnt(2)
	v_and_b32_e32 v8, 1, v1
	s_waitcnt lgkmcnt(0)
	v_cmp_lt_i64_e32 vcc, v[4:5], v[2:3]
	v_cmp_eq_u32_e64 s[4:5], 1, v8
	v_and_b32_e32 v6, 1, v7
	s_and_b64 vcc, s[4:5], vcc
	v_cndmask_b32_e64 v7, v7, 1, s[4:5]
	v_cndmask_b32_e32 v2, v2, v4, vcc
	v_cndmask_b32_e32 v3, v3, v5, vcc
	v_cmp_eq_u32_e32 vcc, 1, v6
	s_nop 1
	v_cndmask_b32_e32 v1, v1, v7, vcc
	v_cndmask_b32_e32 v3, v5, v3, vcc
	;; [unrolled: 1-line block ×3, first 2 shown]
	v_and_b32_e32 v6, 0xff, v1
.LBB76_280:
	s_or_b64 exec, exec, s[8:9]
.LBB76_281:
	s_or_b64 exec, exec, s[6:7]
.LBB76_282:
	v_cmp_eq_u32_e32 vcc, 0, v0
                                        ; implicit-def: $vgpr4_vgpr5
                                        ; implicit-def: $vgpr1
	s_and_saveexec_b64 s[4:5], vcc
	s_xor_b64 s[8:9], exec, s[4:5]
	s_cbranch_execz .LBB76_286
; %bb.283:
	s_cmp_eq_u64 s[38:39], 0
	s_waitcnt lgkmcnt(0)
	v_mov_b64_e32 v[4:5], s[44:45]
	v_mov_b32_e32 v1, s33
	s_cbranch_scc1 .LBB76_285
; %bb.284:
	v_and_b32_e32 v1, 1, v6
	s_bitcmp1_b32 s33, 0
	v_mov_b32_e32 v4, s33
	v_cmp_eq_u32_e32 vcc, 1, v1
	v_cmp_gt_i64_e64 s[6:7], s[44:45], v[2:3]
	s_cselect_b64 s[4:5], -1, 0
	v_cndmask_b32_e64 v1, v4, 1, vcc
	v_mov_b32_e32 v4, s44
	s_and_b64 vcc, vcc, s[6:7]
	v_mov_b32_e32 v5, s45
	v_cndmask_b32_e32 v4, v4, v2, vcc
	v_cndmask_b32_e32 v5, v5, v3, vcc
	v_cndmask_b32_e64 v1, v6, v1, s[4:5]
	v_cndmask_b32_e64 v5, v3, v5, s[4:5]
	;; [unrolled: 1-line block ×3, first 2 shown]
.LBB76_285:
	s_or_b64 s[18:19], s[18:19], exec
.LBB76_286:
	s_or_b64 exec, exec, s[8:9]
	s_branch .LBB76_307
.LBB76_287:
	s_cmp_eq_u32 s54, 1
	s_cbranch_scc0 .LBB76_306
; %bb.288:
	s_mov_b32 s7, 0
	s_lshl_b32 s6, s2, 8
	s_mov_b32 s3, s7
	s_lshr_b64 s[4:5], s[38:39], 8
	s_cmp_lg_u64 s[4:5], s[2:3]
	s_cbranch_scc0 .LBB76_310
; %bb.289:
	s_lshl_b64 s[4:5], s[6:7], 3
	s_add_u32 s8, s40, s4
	s_addc_u32 s9, s41, s5
	s_add_u32 s4, s42, s4
	s_waitcnt lgkmcnt(2)
	v_lshlrev_b32_e32 v1, 3, v0
	s_addc_u32 s5, s43, s5
	global_load_dwordx2 v[6:7], v1, s[8:9]
	global_load_dwordx2 v[8:9], v1, s[4:5]
	s_add_u32 s4, s36, s6
	v_mov_b32_e32 v1, 0
	s_addc_u32 s5, s37, 0
	v_lshl_add_u64 v[2:3], s[4:5], 0, v[0:1]
	s_waitcnt vmcnt(0)
	v_cmp_ne_u64_e32 vcc, v[6:7], v[8:9]
	s_nop 1
	v_cndmask_b32_e64 v1, 0, 1, vcc
	s_waitcnt lgkmcnt(1)
	v_mov_b32_dpp v4, v2 quad_perm:[1,0,3,2] row_mask:0xf bank_mask:0xf bound_ctrl:1
	v_cndmask_b32_e64 v6, 0, 1, vcc
	v_mov_b32_dpp v1, v1 quad_perm:[1,0,3,2] row_mask:0xf bank_mask:0xf bound_ctrl:1
	v_and_b32_e32 v7, 1, v1
	s_waitcnt lgkmcnt(0)
	v_mov_b32_dpp v5, v3 quad_perm:[1,0,3,2] row_mask:0xf bank_mask:0xf bound_ctrl:1
	v_cmp_eq_u32_e64 s[4:5], 1, v7
	s_and_saveexec_b64 s[8:9], s[4:5]
; %bb.290:
	v_cmp_lt_i64_e64 s[4:5], v[2:3], v[4:5]
	v_cndmask_b32_e64 v6, v1, 1, vcc
	s_and_b64 vcc, vcc, s[4:5]
	v_cndmask_b32_e32 v3, v5, v3, vcc
	v_cndmask_b32_e32 v2, v4, v2, vcc
; %bb.291:
	s_or_b64 exec, exec, s[8:9]
	v_and_b32_e32 v1, 0xff, v6
	v_and_b32_e32 v6, 1, v6
	v_mov_b32_dpp v4, v2 quad_perm:[2,3,0,1] row_mask:0xf bank_mask:0xf bound_ctrl:1
	v_mov_b32_dpp v7, v1 quad_perm:[2,3,0,1] row_mask:0xf bank_mask:0xf bound_ctrl:1
	v_and_b32_e32 v8, 1, v7
	v_mov_b32_dpp v5, v3 quad_perm:[2,3,0,1] row_mask:0xf bank_mask:0xf bound_ctrl:1
	v_cmp_eq_u32_e32 vcc, 1, v8
	v_cmp_eq_u32_e64 s[4:5], 1, v6
	s_and_saveexec_b64 s[8:9], vcc
; %bb.292:
	v_cmp_lt_i64_e32 vcc, v[2:3], v[4:5]
	v_cndmask_b32_e64 v6, v7, 1, s[4:5]
	s_and_b64 vcc, s[4:5], vcc
	v_cndmask_b32_e32 v2, v4, v2, vcc
	v_and_b32_e32 v4, 1, v6
	v_cndmask_b32_e32 v3, v5, v3, vcc
	v_cmp_eq_u32_e32 vcc, 1, v4
	s_andn2_b64 s[4:5], s[4:5], exec
	s_and_b64 s[10:11], vcc, exec
	v_and_b32_e32 v1, 0xff, v6
	s_or_b64 s[4:5], s[4:5], s[10:11]
; %bb.293:
	s_or_b64 exec, exec, s[8:9]
	v_mov_b32_dpp v6, v1 row_ror:4 row_mask:0xf bank_mask:0xf bound_ctrl:1
	v_and_b32_e32 v7, 1, v6
	v_mov_b32_dpp v4, v2 row_ror:4 row_mask:0xf bank_mask:0xf bound_ctrl:1
	v_mov_b32_dpp v5, v3 row_ror:4 row_mask:0xf bank_mask:0xf bound_ctrl:1
	v_cmp_eq_u32_e32 vcc, 1, v7
	s_and_saveexec_b64 s[8:9], vcc
; %bb.294:
	v_cmp_lt_i64_e32 vcc, v[2:3], v[4:5]
	v_cndmask_b32_e64 v6, v6, 1, s[4:5]
	s_and_b64 vcc, s[4:5], vcc
	v_cndmask_b32_e32 v2, v4, v2, vcc
	v_and_b32_e32 v4, 1, v6
	v_cndmask_b32_e32 v3, v5, v3, vcc
	v_cmp_eq_u32_e32 vcc, 1, v4
	s_andn2_b64 s[4:5], s[4:5], exec
	s_and_b64 s[10:11], vcc, exec
	v_and_b32_e32 v1, 0xff, v6
	s_or_b64 s[4:5], s[4:5], s[10:11]
; %bb.295:
	s_or_b64 exec, exec, s[8:9]
	v_mov_b32_dpp v6, v1 row_ror:8 row_mask:0xf bank_mask:0xf bound_ctrl:1
	v_and_b32_e32 v7, 1, v6
	v_mov_b32_dpp v4, v2 row_ror:8 row_mask:0xf bank_mask:0xf bound_ctrl:1
	v_mov_b32_dpp v5, v3 row_ror:8 row_mask:0xf bank_mask:0xf bound_ctrl:1
	v_cmp_eq_u32_e32 vcc, 1, v7
	s_and_saveexec_b64 s[8:9], vcc
; %bb.296:
	v_cmp_lt_i64_e32 vcc, v[2:3], v[4:5]
	v_cndmask_b32_e64 v6, v6, 1, s[4:5]
	s_and_b64 vcc, s[4:5], vcc
	v_cndmask_b32_e32 v2, v4, v2, vcc
	v_and_b32_e32 v4, 1, v6
	v_cndmask_b32_e32 v3, v5, v3, vcc
	v_cmp_eq_u32_e32 vcc, 1, v4
	s_andn2_b64 s[4:5], s[4:5], exec
	s_and_b64 s[10:11], vcc, exec
	v_and_b32_e32 v1, 0xff, v6
	s_or_b64 s[4:5], s[4:5], s[10:11]
; %bb.297:
	s_or_b64 exec, exec, s[8:9]
	v_mov_b32_dpp v6, v1 row_bcast:15 row_mask:0xf bank_mask:0xf bound_ctrl:1
	v_and_b32_e32 v7, 1, v6
	v_mov_b32_dpp v4, v2 row_bcast:15 row_mask:0xf bank_mask:0xf bound_ctrl:1
	v_mov_b32_dpp v5, v3 row_bcast:15 row_mask:0xf bank_mask:0xf bound_ctrl:1
	v_cmp_eq_u32_e32 vcc, 1, v7
	s_and_saveexec_b64 s[8:9], vcc
; %bb.298:
	v_cmp_lt_i64_e32 vcc, v[2:3], v[4:5]
	v_cndmask_b32_e64 v6, v6, 1, s[4:5]
	s_and_b64 vcc, s[4:5], vcc
	v_cndmask_b32_e32 v2, v4, v2, vcc
	v_and_b32_e32 v4, 1, v6
	v_cndmask_b32_e32 v3, v5, v3, vcc
	v_cmp_eq_u32_e32 vcc, 1, v4
	s_andn2_b64 s[4:5], s[4:5], exec
	s_and_b64 s[10:11], vcc, exec
	v_and_b32_e32 v1, 0xff, v6
	s_or_b64 s[4:5], s[4:5], s[10:11]
; %bb.299:
	s_or_b64 exec, exec, s[8:9]
	v_mov_b32_dpp v6, v1 row_bcast:31 row_mask:0xf bank_mask:0xf bound_ctrl:1
	v_and_b32_e32 v7, 1, v6
	v_mov_b32_dpp v4, v2 row_bcast:31 row_mask:0xf bank_mask:0xf bound_ctrl:1
	v_mov_b32_dpp v5, v3 row_bcast:31 row_mask:0xf bank_mask:0xf bound_ctrl:1
	v_cmp_eq_u32_e32 vcc, 1, v7
	s_and_saveexec_b64 s[8:9], vcc
; %bb.300:
	v_cmp_lt_i64_e32 vcc, v[2:3], v[4:5]
	v_and_b32_e32 v1, 0xff, v6
	s_and_b64 vcc, s[4:5], vcc
	v_cndmask_b32_e32 v2, v4, v2, vcc
	v_cndmask_b32_e32 v3, v5, v3, vcc
	v_cndmask_b32_e64 v1, v1, 1, s[4:5]
; %bb.301:
	s_or_b64 exec, exec, s[8:9]
	v_mbcnt_lo_u32_b32 v4, -1, 0
	v_mbcnt_hi_u32_b32 v4, -1, v4
	v_bfrev_b32_e32 v5, 0.5
	v_lshl_or_b32 v5, v4, 2, v5
	ds_bpermute_b32 v6, v5, v1
	ds_bpermute_b32 v2, v5, v2
	;; [unrolled: 1-line block ×3, first 2 shown]
	v_cmp_eq_u32_e32 vcc, 0, v4
	s_and_saveexec_b64 s[4:5], vcc
	s_cbranch_execz .LBB76_303
; %bb.302:
	v_lshrrev_b32_e32 v1, 2, v0
	v_and_b32_e32 v1, 48, v1
	s_waitcnt lgkmcnt(2)
	ds_write_b8 v1, v6 offset:64
	s_waitcnt lgkmcnt(1)
	ds_write_b64 v1, v[2:3] offset:72
.LBB76_303:
	s_or_b64 exec, exec, s[4:5]
	v_cmp_gt_u32_e32 vcc, 64, v0
	s_waitcnt lgkmcnt(0)
	s_barrier
	s_and_saveexec_b64 s[8:9], vcc
	s_cbranch_execz .LBB76_305
; %bb.304:
	v_and_b32_e32 v1, 3, v4
	v_lshlrev_b32_e32 v2, 4, v1
	ds_read_u8 v5, v2 offset:64
	ds_read_b64 v[2:3], v2 offset:72
	v_cmp_ne_u32_e32 vcc, 3, v1
	s_waitcnt lgkmcnt(1)
	v_and_b32_e32 v7, 0xff, v5
	v_addc_co_u32_e32 v6, vcc, 0, v4, vcc
	v_lshlrev_b32_e32 v8, 2, v6
	ds_bpermute_b32 v9, v8, v7
	s_waitcnt lgkmcnt(1)
	ds_bpermute_b32 v6, v8, v2
	ds_bpermute_b32 v7, v8, v3
	v_and_b32_e32 v8, 1, v5
	s_waitcnt lgkmcnt(2)
	v_and_b32_e32 v10, 1, v9
	v_cmp_eq_u32_e64 s[4:5], 1, v10
	s_waitcnt lgkmcnt(0)
	v_cmp_lt_i64_e32 vcc, v[6:7], v[2:3]
	s_and_b64 vcc, s[4:5], vcc
	v_cndmask_b32_e64 v5, v5, 1, s[4:5]
	v_cndmask_b32_e32 v2, v2, v6, vcc
	v_cndmask_b32_e32 v3, v3, v7, vcc
	v_cmp_eq_u32_e32 vcc, 1, v8
	s_nop 1
	v_cndmask_b32_e32 v8, v9, v5, vcc
	v_cndmask_b32_e32 v3, v7, v3, vcc
	;; [unrolled: 1-line block ×3, first 2 shown]
	v_cmp_gt_u32_e32 vcc, 2, v1
	v_and_b32_e32 v5, 0xff, v8
	s_nop 0
	v_cndmask_b32_e64 v1, 0, 1, vcc
	v_lshlrev_b32_e32 v1, 1, v1
	v_add_lshl_u32 v1, v1, v4, 2
	ds_bpermute_b32 v6, v1, v5
	ds_bpermute_b32 v4, v1, v2
	;; [unrolled: 1-line block ×3, first 2 shown]
	v_and_b32_e32 v1, 1, v8
	s_waitcnt lgkmcnt(2)
	v_and_b32_e32 v7, 1, v6
	v_cmp_eq_u32_e64 s[4:5], 1, v7
	s_waitcnt lgkmcnt(0)
	v_cmp_lt_i64_e32 vcc, v[4:5], v[2:3]
	s_and_b64 vcc, s[4:5], vcc
	v_cndmask_b32_e64 v7, v8, 1, s[4:5]
	v_cndmask_b32_e32 v2, v2, v4, vcc
	v_cndmask_b32_e32 v3, v3, v5, vcc
	v_cmp_eq_u32_e32 vcc, 1, v1
	s_nop 1
	v_cndmask_b32_e32 v1, v6, v7, vcc
	v_cndmask_b32_e32 v3, v5, v3, vcc
	;; [unrolled: 1-line block ×3, first 2 shown]
	v_and_b32_e32 v6, 0xff, v1
.LBB76_305:
	s_or_b64 exec, exec, s[8:9]
	s_branch .LBB76_334
.LBB76_306:
                                        ; implicit-def: $vgpr4_vgpr5
                                        ; implicit-def: $vgpr1
                                        ; implicit-def: $sgpr2_sgpr3
.LBB76_307:
	s_and_saveexec_b64 s[4:5], s[18:19]
	s_cbranch_execz .LBB76_309
.LBB76_308:
	s_load_dwordx2 s[0:1], s[0:1], 0x38
	s_lshl_b64 s[2:3], s[2:3], 4
	v_mov_b32_e32 v0, 0
	s_waitcnt lgkmcnt(0)
	s_add_u32 s0, s0, s2
	s_addc_u32 s1, s1, s3
	global_store_byte v0, v1, s[0:1]
	global_store_dwordx2 v0, v[4:5], s[0:1] offset:8
.LBB76_309:
	s_endpgm
.LBB76_310:
                                        ; implicit-def: $vgpr2_vgpr3
                                        ; implicit-def: $vgpr6
	s_cbranch_execz .LBB76_334
; %bb.311:
	s_sub_i32 s8, s38, s6
	v_cmp_gt_u32_e32 vcc, s8, v0
	v_mov_b64_e32 v[2:3], 0
	v_mov_b32_e32 v7, 0
	s_and_saveexec_b64 s[4:5], vcc
	s_cbranch_execz .LBB76_313
; %bb.312:
	s_lshl_b64 s[10:11], s[6:7], 3
	s_add_u32 s12, s42, s10
	s_addc_u32 s13, s43, s11
	s_add_u32 s10, s40, s10
	s_addc_u32 s11, s41, s11
	s_waitcnt lgkmcnt(2)
	v_lshlrev_b32_e32 v1, 3, v0
	s_waitcnt lgkmcnt(0)
	global_load_dwordx2 v[4:5], v1, s[10:11]
	global_load_dwordx2 v[6:7], v1, s[12:13]
	s_add_u32 s6, s36, s6
	v_mov_b32_e32 v1, 0
	s_addc_u32 s7, s37, 0
	v_lshl_add_u64 v[2:3], s[6:7], 0, v[0:1]
	s_waitcnt vmcnt(0)
	v_cmp_ne_u64_e32 vcc, v[4:5], v[6:7]
	s_nop 1
	v_cndmask_b32_e64 v7, 0, 1, vcc
.LBB76_313:
	s_or_b64 exec, exec, s[4:5]
	s_waitcnt lgkmcnt(2)
	v_mbcnt_lo_u32_b32 v1, -1, 0
	v_mbcnt_hi_u32_b32 v1, -1, v1
	v_and_b32_e32 v8, 63, v1
	v_cmp_ne_u32_e32 vcc, 63, v8
	v_and_b32_e32 v6, 0xffff, v7
	s_min_u32 s8, s8, 0x100
	s_waitcnt lgkmcnt(1)
	v_addc_co_u32_e32 v4, vcc, 0, v1, vcc
	s_waitcnt lgkmcnt(0)
	v_lshlrev_b32_e32 v5, 2, v4
	ds_bpermute_b32 v10, v5, v6
	ds_bpermute_b32 v4, v5, v2
	ds_bpermute_b32 v5, v5, v3
	v_and_b32_e32 v9, 0xc0, v0
	v_sub_u32_e64 v9, s8, v9 clamp
	v_add_u32_e32 v11, 1, v8
	v_cmp_lt_u32_e32 vcc, v11, v9
	s_and_saveexec_b64 s[6:7], vcc
	s_cbranch_execz .LBB76_315
; %bb.314:
	s_waitcnt lgkmcnt(2)
	v_and_b32_e32 v11, 1, v10
	s_waitcnt lgkmcnt(0)
	v_cmp_lt_i64_e32 vcc, v[4:5], v[2:3]
	v_cmp_eq_u32_e64 s[4:5], 1, v11
	v_and_b32_e32 v6, 1, v7
	s_and_b64 vcc, s[4:5], vcc
	v_cndmask_b32_e64 v7, v7, 1, s[4:5]
	v_cndmask_b32_e32 v2, v2, v4, vcc
	v_cndmask_b32_e32 v3, v3, v5, vcc
	v_cmp_eq_u32_e32 vcc, 1, v6
	s_nop 1
	v_cndmask_b32_e32 v7, v10, v7, vcc
	v_cndmask_b32_e32 v3, v5, v3, vcc
	v_cndmask_b32_e32 v2, v4, v2, vcc
	v_and_b32_e32 v6, 0xff, v7
.LBB76_315:
	s_or_b64 exec, exec, s[6:7]
	v_cmp_gt_u32_e32 vcc, 62, v8
	v_add_u32_e32 v11, 2, v8
	s_waitcnt lgkmcnt(1)
	v_cndmask_b32_e64 v4, 0, 1, vcc
	v_lshlrev_b32_e32 v4, 1, v4
	s_waitcnt lgkmcnt(0)
	v_add_lshl_u32 v5, v4, v1, 2
	ds_bpermute_b32 v10, v5, v6
	ds_bpermute_b32 v4, v5, v2
	ds_bpermute_b32 v5, v5, v3
	v_cmp_lt_u32_e32 vcc, v11, v9
	s_and_saveexec_b64 s[6:7], vcc
	s_cbranch_execz .LBB76_317
; %bb.316:
	s_waitcnt lgkmcnt(2)
	v_and_b32_e32 v11, 1, v10
	s_waitcnt lgkmcnt(0)
	v_cmp_lt_i64_e32 vcc, v[4:5], v[2:3]
	v_cmp_eq_u32_e64 s[4:5], 1, v11
	v_and_b32_e32 v6, 1, v7
	s_and_b64 vcc, s[4:5], vcc
	v_cndmask_b32_e64 v7, v7, 1, s[4:5]
	v_cndmask_b32_e32 v2, v2, v4, vcc
	v_cndmask_b32_e32 v3, v3, v5, vcc
	v_cmp_eq_u32_e32 vcc, 1, v6
	s_nop 1
	v_cndmask_b32_e32 v7, v10, v7, vcc
	v_cndmask_b32_e32 v3, v5, v3, vcc
	v_cndmask_b32_e32 v2, v4, v2, vcc
	v_and_b32_e32 v6, 0xff, v7
.LBB76_317:
	s_or_b64 exec, exec, s[6:7]
	v_cmp_gt_u32_e32 vcc, 60, v8
	v_add_u32_e32 v11, 4, v8
	s_waitcnt lgkmcnt(1)
	v_cndmask_b32_e64 v4, 0, 1, vcc
	v_lshlrev_b32_e32 v4, 2, v4
	s_waitcnt lgkmcnt(0)
	v_add_lshl_u32 v5, v4, v1, 2
	ds_bpermute_b32 v10, v5, v6
	ds_bpermute_b32 v4, v5, v2
	ds_bpermute_b32 v5, v5, v3
	;; [unrolled: 32-line block ×5, first 2 shown]
	v_cmp_lt_u32_e32 vcc, v8, v9
	s_and_saveexec_b64 s[6:7], vcc
	s_cbranch_execz .LBB76_325
; %bb.324:
	s_waitcnt lgkmcnt(2)
	v_and_b32_e32 v8, 1, v10
	s_waitcnt lgkmcnt(0)
	v_cmp_lt_i64_e32 vcc, v[4:5], v[2:3]
	v_cmp_eq_u32_e64 s[4:5], 1, v8
	v_and_b32_e32 v6, 1, v7
	s_and_b64 vcc, s[4:5], vcc
	v_cndmask_b32_e64 v7, v7, 1, s[4:5]
	v_cndmask_b32_e32 v2, v2, v4, vcc
	v_cndmask_b32_e32 v3, v3, v5, vcc
	v_cmp_eq_u32_e32 vcc, 1, v6
	s_nop 1
	v_cndmask_b32_e32 v7, v10, v7, vcc
	v_cndmask_b32_e32 v3, v5, v3, vcc
	;; [unrolled: 1-line block ×3, first 2 shown]
	v_and_b32_e32 v6, 0xff, v7
.LBB76_325:
	s_or_b64 exec, exec, s[6:7]
	v_cmp_eq_u32_e32 vcc, 0, v1
	s_and_saveexec_b64 s[4:5], vcc
	s_cbranch_execz .LBB76_327
; %bb.326:
	s_waitcnt lgkmcnt(1)
	v_lshrrev_b32_e32 v4, 2, v0
	v_and_b32_e32 v4, 48, v4
	ds_write_b8 v4, v7 offset:320
	ds_write_b64 v4, v[2:3] offset:328
.LBB76_327:
	s_or_b64 exec, exec, s[4:5]
	v_cmp_gt_u32_e32 vcc, 4, v0
	s_waitcnt lgkmcnt(0)
	s_barrier
	s_and_saveexec_b64 s[6:7], vcc
	s_cbranch_execz .LBB76_333
; %bb.328:
	v_lshlrev_b32_e32 v2, 4, v1
	ds_read_u8 v7, v2 offset:320
	ds_read_b64 v[2:3], v2 offset:328
	v_and_b32_e32 v8, 3, v1
	v_cmp_ne_u32_e32 vcc, 3, v8
	s_add_i32 s8, s8, 63
	s_waitcnt lgkmcnt(1)
	v_and_b32_e32 v6, 0xff, v7
	v_addc_co_u32_e32 v4, vcc, 0, v1, vcc
	v_lshlrev_b32_e32 v5, 2, v4
	ds_bpermute_b32 v9, v5, v6
	s_waitcnt lgkmcnt(1)
	ds_bpermute_b32 v4, v5, v2
	ds_bpermute_b32 v5, v5, v3
	s_lshr_b32 s10, s8, 6
	v_add_u32_e32 v10, 1, v8
	v_cmp_gt_u32_e32 vcc, s10, v10
	s_and_saveexec_b64 s[8:9], vcc
	s_cbranch_execz .LBB76_330
; %bb.329:
	s_waitcnt lgkmcnt(2)
	v_and_b32_e32 v10, 1, v9
	s_waitcnt lgkmcnt(0)
	v_cmp_lt_i64_e32 vcc, v[4:5], v[2:3]
	v_cmp_eq_u32_e64 s[4:5], 1, v10
	v_and_b32_e32 v6, 1, v7
	s_and_b64 vcc, s[4:5], vcc
	v_cndmask_b32_e64 v7, v7, 1, s[4:5]
	v_cndmask_b32_e32 v2, v2, v4, vcc
	v_cndmask_b32_e32 v3, v3, v5, vcc
	v_cmp_eq_u32_e32 vcc, 1, v6
	s_nop 1
	v_cndmask_b32_e32 v7, v9, v7, vcc
	v_cndmask_b32_e32 v3, v5, v3, vcc
	;; [unrolled: 1-line block ×3, first 2 shown]
	v_and_b32_e32 v6, 0xff, v7
.LBB76_330:
	s_or_b64 exec, exec, s[8:9]
	v_cmp_gt_u32_e32 vcc, 2, v8
	v_add_u32_e32 v8, 2, v8
	s_waitcnt lgkmcnt(1)
	v_cndmask_b32_e64 v4, 0, 1, vcc
	v_lshlrev_b32_e32 v4, 1, v4
	s_waitcnt lgkmcnt(0)
	v_add_lshl_u32 v5, v4, v1, 2
	ds_bpermute_b32 v1, v5, v6
	ds_bpermute_b32 v4, v5, v2
	;; [unrolled: 1-line block ×3, first 2 shown]
	v_cmp_gt_u32_e32 vcc, s10, v8
	s_and_saveexec_b64 s[8:9], vcc
	s_cbranch_execz .LBB76_332
; %bb.331:
	s_waitcnt lgkmcnt(2)
	v_and_b32_e32 v8, 1, v1
	s_waitcnt lgkmcnt(0)
	v_cmp_lt_i64_e32 vcc, v[4:5], v[2:3]
	v_cmp_eq_u32_e64 s[4:5], 1, v8
	v_and_b32_e32 v6, 1, v7
	s_and_b64 vcc, s[4:5], vcc
	v_cndmask_b32_e64 v7, v7, 1, s[4:5]
	v_cndmask_b32_e32 v2, v2, v4, vcc
	v_cndmask_b32_e32 v3, v3, v5, vcc
	v_cmp_eq_u32_e32 vcc, 1, v6
	s_nop 1
	v_cndmask_b32_e32 v1, v1, v7, vcc
	v_cndmask_b32_e32 v3, v5, v3, vcc
	v_cndmask_b32_e32 v2, v4, v2, vcc
	v_and_b32_e32 v6, 0xff, v1
.LBB76_332:
	s_or_b64 exec, exec, s[8:9]
.LBB76_333:
	s_or_b64 exec, exec, s[6:7]
.LBB76_334:
	v_cmp_eq_u32_e32 vcc, 0, v0
                                        ; implicit-def: $vgpr4_vgpr5
                                        ; implicit-def: $vgpr1
	s_and_saveexec_b64 s[8:9], vcc
	s_cbranch_execz .LBB76_338
; %bb.335:
	s_cmp_eq_u64 s[38:39], 0
	s_waitcnt lgkmcnt(0)
	v_mov_b64_e32 v[4:5], s[44:45]
	v_mov_b32_e32 v1, s33
	s_cbranch_scc1 .LBB76_337
; %bb.336:
	v_and_b32_e32 v0, 1, v6
	s_bitcmp1_b32 s33, 0
	v_mov_b32_e32 v1, s33
	v_cmp_eq_u32_e32 vcc, 1, v0
	v_cmp_gt_i64_e64 s[6:7], s[44:45], v[2:3]
	s_cselect_b64 s[4:5], -1, 0
	v_cndmask_b32_e64 v0, v1, 1, vcc
	v_mov_b32_e32 v1, s44
	s_and_b64 vcc, vcc, s[6:7]
	v_cndmask_b32_e32 v4, v1, v2, vcc
	v_mov_b32_e32 v1, s45
	v_cndmask_b32_e32 v5, v1, v3, vcc
	v_cndmask_b32_e64 v1, v6, v0, s[4:5]
	v_cndmask_b32_e64 v5, v3, v5, s[4:5]
	;; [unrolled: 1-line block ×3, first 2 shown]
.LBB76_337:
	s_or_b64 s[18:19], s[18:19], exec
.LBB76_338:
	s_or_b64 exec, exec, s[8:9]
	s_and_saveexec_b64 s[4:5], s[18:19]
	s_cbranch_execnz .LBB76_308
	s_branch .LBB76_309
.LBB76_339:
	v_lshlrev_b32_e32 v1, 3, v10
	global_load_dwordx2 v[16:17], v1, s[8:9]
	global_load_dwordx2 v[18:19], v1, s[10:11]
	v_mov_b32_e32 v11, 0
	v_lshl_add_u64 v[4:5], s[12:13], 0, v[10:11]
	s_waitcnt vmcnt(0)
	v_cmp_ne_u64_e64 s[8:9], v[16:17], v[18:19]
	s_nop 1
	v_cndmask_b32_e64 v1, 0, 1, s[8:9]
	s_or_b64 exec, exec, s[14:15]
	s_and_saveexec_b64 s[10:11], s[6:7]
	s_cbranch_execz .LBB76_203
.LBB76_340:
	v_and_b32_e32 v11, 1, v13
	v_cmp_lt_i64_e64 s[6:7], v[6:7], v[2:3]
	v_cmp_eq_u32_e64 s[8:9], 1, v11
	v_and_b32_e32 v10, 1, v12
	s_and_b64 s[6:7], s[8:9], s[6:7]
	v_cndmask_b32_e64 v11, v12, 1, s[8:9]
	v_cndmask_b32_e64 v2, v2, v6, s[6:7]
	;; [unrolled: 1-line block ×3, first 2 shown]
	v_cmp_eq_u32_e64 s[6:7], 1, v10
	s_nop 1
	v_cndmask_b32_e64 v12, v13, v11, s[6:7]
	v_cndmask_b32_e64 v3, v7, v3, s[6:7]
	;; [unrolled: 1-line block ×3, first 2 shown]
	s_or_b64 exec, exec, s[10:11]
	s_and_saveexec_b64 s[8:9], s[4:5]
	s_cbranch_execz .LBB76_204
.LBB76_341:
	v_and_b32_e32 v7, 1, v14
	v_cmp_lt_i64_e64 s[4:5], v[8:9], v[2:3]
	v_cmp_eq_u32_e64 s[6:7], 1, v7
	v_and_b32_e32 v6, 1, v12
	s_and_b64 s[4:5], s[6:7], s[4:5]
	v_cndmask_b32_e64 v7, v12, 1, s[6:7]
	v_cndmask_b32_e64 v2, v2, v8, s[4:5]
	;; [unrolled: 1-line block ×3, first 2 shown]
	v_cmp_eq_u32_e64 s[4:5], 1, v6
	s_nop 1
	v_cndmask_b32_e64 v12, v14, v7, s[4:5]
	v_cndmask_b32_e64 v3, v9, v3, s[4:5]
	;; [unrolled: 1-line block ×3, first 2 shown]
	s_or_b64 exec, exec, s[8:9]
	s_and_saveexec_b64 s[6:7], vcc
	s_cbranch_execnz .LBB76_205
	s_branch .LBB76_206
.LBB76_342:
	v_lshlrev_b32_e32 v4, 3, v34
	global_load_dwordx2 v[52:53], v4, s[34:35]
	global_load_dwordx2 v[54:55], v4, s[48:49]
	v_mov_b32_e32 v35, 0
	v_lshl_add_u64 v[4:5], s[50:51], 0, v[34:35]
	s_waitcnt vmcnt(0)
	v_cmp_ne_u64_e64 s[34:35], v[52:53], v[54:55]
	s_nop 1
	v_cndmask_b32_e64 v36, 0, 1, s[34:35]
	s_or_b64 exec, exec, s[52:53]
	s_and_saveexec_b64 s[48:49], s[30:31]
	s_cbranch_execz .LBB76_80
.LBB76_343:
	v_and_b32_e32 v35, 1, v43
	v_cmp_lt_i64_e64 s[30:31], v[18:19], v[2:3]
	v_cmp_eq_u32_e64 s[34:35], 1, v35
	v_and_b32_e32 v34, 1, v1
	s_and_b64 s[30:31], s[34:35], s[30:31]
	v_cndmask_b32_e64 v1, v1, 1, s[34:35]
	v_cndmask_b32_e64 v2, v2, v18, s[30:31]
	;; [unrolled: 1-line block ×3, first 2 shown]
	v_cmp_eq_u32_e64 s[30:31], 1, v34
	s_nop 1
	v_cndmask_b32_e64 v1, v43, v1, s[30:31]
	v_cndmask_b32_e64 v3, v19, v3, s[30:31]
	;; [unrolled: 1-line block ×3, first 2 shown]
	s_or_b64 exec, exec, s[48:49]
	s_and_saveexec_b64 s[34:35], s[28:29]
	s_cbranch_execz .LBB76_81
.LBB76_344:
	v_and_b32_e32 v19, 1, v50
	v_cmp_lt_i64_e64 s[28:29], v[32:33], v[2:3]
	v_cmp_eq_u32_e64 s[30:31], 1, v19
	v_and_b32_e32 v18, 1, v1
	s_and_b64 s[28:29], s[30:31], s[28:29]
	v_cndmask_b32_e64 v1, v1, 1, s[30:31]
	v_cndmask_b32_e64 v2, v2, v32, s[28:29]
	;; [unrolled: 1-line block ×3, first 2 shown]
	v_cmp_eq_u32_e64 s[28:29], 1, v18
	s_nop 1
	v_cndmask_b32_e64 v1, v50, v1, s[28:29]
	v_cndmask_b32_e64 v3, v33, v3, s[28:29]
	v_cndmask_b32_e64 v2, v32, v2, s[28:29]
	s_or_b64 exec, exec, s[34:35]
	s_and_saveexec_b64 s[30:31], s[26:27]
	s_cbranch_execz .LBB76_82
.LBB76_345:
	v_and_b32_e32 v19, 1, v42
	v_cmp_lt_i64_e64 s[26:27], v[16:17], v[2:3]
	v_cmp_eq_u32_e64 s[28:29], 1, v19
	v_and_b32_e32 v18, 1, v1
	s_and_b64 s[26:27], s[28:29], s[26:27]
	v_cndmask_b32_e64 v1, v1, 1, s[28:29]
	v_cndmask_b32_e64 v2, v2, v16, s[26:27]
	;; [unrolled: 1-line block ×3, first 2 shown]
	v_cmp_eq_u32_e64 s[26:27], 1, v18
	s_nop 1
	v_cndmask_b32_e64 v1, v42, v1, s[26:27]
	v_cndmask_b32_e64 v3, v17, v3, s[26:27]
	v_cndmask_b32_e64 v2, v16, v2, s[26:27]
	s_or_b64 exec, exec, s[30:31]
	s_and_saveexec_b64 s[28:29], s[24:25]
	s_cbranch_execz .LBB76_83
.LBB76_346:
	v_and_b32_e32 v17, 1, v49
	v_cmp_lt_i64_e64 s[24:25], v[30:31], v[2:3]
	v_cmp_eq_u32_e64 s[26:27], 1, v17
	v_and_b32_e32 v16, 1, v1
	s_and_b64 s[24:25], s[26:27], s[24:25]
	v_cndmask_b32_e64 v1, v1, 1, s[26:27]
	v_cndmask_b32_e64 v2, v2, v30, s[24:25]
	;; [unrolled: 1-line block ×3, first 2 shown]
	v_cmp_eq_u32_e64 s[24:25], 1, v16
	s_nop 1
	v_cndmask_b32_e64 v1, v49, v1, s[24:25]
	v_cndmask_b32_e64 v3, v31, v3, s[24:25]
	;; [unrolled: 1-line block ×3, first 2 shown]
	s_or_b64 exec, exec, s[28:29]
	s_and_saveexec_b64 s[26:27], s[22:23]
	s_cbranch_execz .LBB76_84
.LBB76_347:
	v_and_b32_e32 v17, 1, v41
	v_cmp_lt_i64_e64 s[22:23], v[14:15], v[2:3]
	v_cmp_eq_u32_e64 s[24:25], 1, v17
	v_and_b32_e32 v16, 1, v1
	s_and_b64 s[22:23], s[24:25], s[22:23]
	v_cndmask_b32_e64 v1, v1, 1, s[24:25]
	v_cndmask_b32_e64 v2, v2, v14, s[22:23]
	;; [unrolled: 1-line block ×3, first 2 shown]
	v_cmp_eq_u32_e64 s[22:23], 1, v16
	s_nop 1
	v_cndmask_b32_e64 v1, v41, v1, s[22:23]
	v_cndmask_b32_e64 v3, v15, v3, s[22:23]
	;; [unrolled: 1-line block ×3, first 2 shown]
	s_or_b64 exec, exec, s[26:27]
	s_and_saveexec_b64 s[24:25], s[20:21]
	s_cbranch_execz .LBB76_85
.LBB76_348:
	v_and_b32_e32 v15, 1, v48
	v_cmp_lt_i64_e64 s[20:21], v[28:29], v[2:3]
	v_cmp_eq_u32_e64 s[22:23], 1, v15
	v_and_b32_e32 v14, 1, v1
	s_and_b64 s[20:21], s[22:23], s[20:21]
	v_cndmask_b32_e64 v1, v1, 1, s[22:23]
	v_cndmask_b32_e64 v2, v2, v28, s[20:21]
	;; [unrolled: 1-line block ×3, first 2 shown]
	v_cmp_eq_u32_e64 s[20:21], 1, v14
	s_nop 1
	v_cndmask_b32_e64 v1, v48, v1, s[20:21]
	v_cndmask_b32_e64 v3, v29, v3, s[20:21]
	;; [unrolled: 1-line block ×3, first 2 shown]
	s_or_b64 exec, exec, s[24:25]
	s_and_saveexec_b64 s[22:23], s[18:19]
	s_cbranch_execz .LBB76_86
.LBB76_349:
	v_and_b32_e32 v15, 1, v40
	v_cmp_lt_i64_e64 s[18:19], v[12:13], v[2:3]
	v_cmp_eq_u32_e64 s[20:21], 1, v15
	v_and_b32_e32 v14, 1, v1
	s_and_b64 s[18:19], s[20:21], s[18:19]
	v_cndmask_b32_e64 v1, v1, 1, s[20:21]
	v_cndmask_b32_e64 v2, v2, v12, s[18:19]
	;; [unrolled: 1-line block ×3, first 2 shown]
	v_cmp_eq_u32_e64 s[18:19], 1, v14
	s_nop 1
	v_cndmask_b32_e64 v1, v40, v1, s[18:19]
	v_cndmask_b32_e64 v3, v13, v3, s[18:19]
	;; [unrolled: 1-line block ×3, first 2 shown]
	s_or_b64 exec, exec, s[22:23]
	s_and_saveexec_b64 s[20:21], s[16:17]
	s_cbranch_execz .LBB76_87
.LBB76_350:
	v_and_b32_e32 v13, 1, v47
	v_cmp_lt_i64_e64 s[16:17], v[26:27], v[2:3]
	v_cmp_eq_u32_e64 s[18:19], 1, v13
	v_and_b32_e32 v12, 1, v1
	s_and_b64 s[16:17], s[18:19], s[16:17]
	v_cndmask_b32_e64 v1, v1, 1, s[18:19]
	v_cndmask_b32_e64 v2, v2, v26, s[16:17]
	;; [unrolled: 1-line block ×3, first 2 shown]
	v_cmp_eq_u32_e64 s[16:17], 1, v12
	s_nop 1
	v_cndmask_b32_e64 v1, v47, v1, s[16:17]
	v_cndmask_b32_e64 v3, v27, v3, s[16:17]
	;; [unrolled: 1-line block ×3, first 2 shown]
	s_or_b64 exec, exec, s[20:21]
	s_and_saveexec_b64 s[18:19], s[14:15]
	s_cbranch_execz .LBB76_88
.LBB76_351:
	v_and_b32_e32 v13, 1, v39
	v_cmp_lt_i64_e64 s[14:15], v[10:11], v[2:3]
	v_cmp_eq_u32_e64 s[16:17], 1, v13
	v_and_b32_e32 v12, 1, v1
	s_and_b64 s[14:15], s[16:17], s[14:15]
	v_cndmask_b32_e64 v1, v1, 1, s[16:17]
	v_cndmask_b32_e64 v2, v2, v10, s[14:15]
	;; [unrolled: 1-line block ×3, first 2 shown]
	v_cmp_eq_u32_e64 s[14:15], 1, v12
	s_nop 1
	v_cndmask_b32_e64 v1, v39, v1, s[14:15]
	v_cndmask_b32_e64 v3, v11, v3, s[14:15]
	;; [unrolled: 1-line block ×3, first 2 shown]
	s_or_b64 exec, exec, s[18:19]
	s_and_saveexec_b64 s[16:17], s[12:13]
	s_cbranch_execz .LBB76_89
.LBB76_352:
	v_and_b32_e32 v11, 1, v46
	v_cmp_lt_i64_e64 s[12:13], v[24:25], v[2:3]
	v_cmp_eq_u32_e64 s[14:15], 1, v11
	v_and_b32_e32 v10, 1, v1
	s_and_b64 s[12:13], s[14:15], s[12:13]
	v_cndmask_b32_e64 v1, v1, 1, s[14:15]
	v_cndmask_b32_e64 v2, v2, v24, s[12:13]
	;; [unrolled: 1-line block ×3, first 2 shown]
	v_cmp_eq_u32_e64 s[12:13], 1, v10
	s_nop 1
	v_cndmask_b32_e64 v1, v46, v1, s[12:13]
	v_cndmask_b32_e64 v3, v25, v3, s[12:13]
	;; [unrolled: 1-line block ×3, first 2 shown]
	s_or_b64 exec, exec, s[16:17]
	s_and_saveexec_b64 s[14:15], s[10:11]
	s_cbranch_execz .LBB76_90
.LBB76_353:
	v_and_b32_e32 v11, 1, v38
	v_cmp_lt_i64_e64 s[10:11], v[8:9], v[2:3]
	v_cmp_eq_u32_e64 s[12:13], 1, v11
	v_and_b32_e32 v10, 1, v1
	s_and_b64 s[10:11], s[12:13], s[10:11]
	v_cndmask_b32_e64 v1, v1, 1, s[12:13]
	v_cndmask_b32_e64 v2, v2, v8, s[10:11]
	;; [unrolled: 1-line block ×3, first 2 shown]
	v_cmp_eq_u32_e64 s[10:11], 1, v10
	s_nop 1
	v_cndmask_b32_e64 v1, v38, v1, s[10:11]
	v_cndmask_b32_e64 v3, v9, v3, s[10:11]
	;; [unrolled: 1-line block ×3, first 2 shown]
	s_or_b64 exec, exec, s[14:15]
	s_and_saveexec_b64 s[12:13], s[8:9]
	s_cbranch_execz .LBB76_91
.LBB76_354:
	v_and_b32_e32 v9, 1, v45
	v_cmp_lt_i64_e64 s[8:9], v[22:23], v[2:3]
	v_cmp_eq_u32_e64 s[10:11], 1, v9
	v_and_b32_e32 v8, 1, v1
	s_and_b64 s[8:9], s[10:11], s[8:9]
	v_cndmask_b32_e64 v1, v1, 1, s[10:11]
	v_cndmask_b32_e64 v2, v2, v22, s[8:9]
	v_cndmask_b32_e64 v3, v3, v23, s[8:9]
	v_cmp_eq_u32_e64 s[8:9], 1, v8
	s_nop 1
	v_cndmask_b32_e64 v1, v45, v1, s[8:9]
	v_cndmask_b32_e64 v3, v23, v3, s[8:9]
	;; [unrolled: 1-line block ×3, first 2 shown]
	s_or_b64 exec, exec, s[12:13]
	s_and_saveexec_b64 s[10:11], s[6:7]
	s_cbranch_execz .LBB76_92
.LBB76_355:
	v_and_b32_e32 v9, 1, v37
	v_cmp_lt_i64_e64 s[6:7], v[6:7], v[2:3]
	v_cmp_eq_u32_e64 s[8:9], 1, v9
	v_and_b32_e32 v8, 1, v1
	s_and_b64 s[6:7], s[8:9], s[6:7]
	v_cndmask_b32_e64 v1, v1, 1, s[8:9]
	v_cndmask_b32_e64 v2, v2, v6, s[6:7]
	;; [unrolled: 1-line block ×3, first 2 shown]
	v_cmp_eq_u32_e64 s[6:7], 1, v8
	s_nop 1
	v_cndmask_b32_e64 v1, v37, v1, s[6:7]
	v_cndmask_b32_e64 v3, v7, v3, s[6:7]
	;; [unrolled: 1-line block ×3, first 2 shown]
	s_or_b64 exec, exec, s[10:11]
	s_and_saveexec_b64 s[8:9], s[4:5]
	s_cbranch_execz .LBB76_93
.LBB76_356:
	v_and_b32_e32 v7, 1, v44
	v_cmp_lt_i64_e64 s[4:5], v[20:21], v[2:3]
	v_cmp_eq_u32_e64 s[6:7], 1, v7
	v_and_b32_e32 v6, 1, v1
	s_and_b64 s[4:5], s[6:7], s[4:5]
	v_cndmask_b32_e64 v1, v1, 1, s[6:7]
	v_cndmask_b32_e64 v2, v2, v20, s[4:5]
	;; [unrolled: 1-line block ×3, first 2 shown]
	v_cmp_eq_u32_e64 s[4:5], 1, v6
	s_nop 1
	v_cndmask_b32_e64 v1, v44, v1, s[4:5]
	v_cndmask_b32_e64 v3, v21, v3, s[4:5]
	;; [unrolled: 1-line block ×3, first 2 shown]
	s_or_b64 exec, exec, s[8:9]
	s_and_saveexec_b64 s[6:7], vcc
	s_cbranch_execnz .LBB76_94
	s_branch .LBB76_95
.LBB76_357:
	v_lshlrev_b32_e32 v4, 3, v18
	global_load_dwordx2 v[28:29], v4, s[16:17]
	global_load_dwordx2 v[30:31], v4, s[20:21]
	v_mov_b32_e32 v19, 0
	v_lshl_add_u64 v[4:5], s[22:23], 0, v[18:19]
	s_waitcnt vmcnt(0)
	v_cmp_ne_u64_e64 s[16:17], v[28:29], v[30:31]
	s_nop 1
	v_cndmask_b32_e64 v20, 0, 1, s[16:17]
	s_or_b64 exec, exec, s[24:25]
	s_and_saveexec_b64 s[20:21], s[14:15]
	s_cbranch_execz .LBB76_140
.LBB76_358:
	v_and_b32_e32 v19, 1, v23
	v_cmp_lt_i64_e64 s[14:15], v[10:11], v[2:3]
	v_cmp_eq_u32_e64 s[16:17], 1, v19
	v_and_b32_e32 v18, 1, v1
	s_and_b64 s[14:15], s[16:17], s[14:15]
	v_cndmask_b32_e64 v1, v1, 1, s[16:17]
	v_cndmask_b32_e64 v2, v2, v10, s[14:15]
	;; [unrolled: 1-line block ×3, first 2 shown]
	v_cmp_eq_u32_e64 s[14:15], 1, v18
	s_nop 1
	v_cndmask_b32_e64 v1, v23, v1, s[14:15]
	v_cndmask_b32_e64 v3, v11, v3, s[14:15]
	;; [unrolled: 1-line block ×3, first 2 shown]
	s_or_b64 exec, exec, s[20:21]
	s_and_saveexec_b64 s[16:17], s[12:13]
	s_cbranch_execz .LBB76_141
.LBB76_359:
	v_and_b32_e32 v11, 1, v26
	v_cmp_lt_i64_e64 s[12:13], v[16:17], v[2:3]
	v_cmp_eq_u32_e64 s[14:15], 1, v11
	v_and_b32_e32 v10, 1, v1
	s_and_b64 s[12:13], s[14:15], s[12:13]
	v_cndmask_b32_e64 v1, v1, 1, s[14:15]
	v_cndmask_b32_e64 v2, v2, v16, s[12:13]
	;; [unrolled: 1-line block ×3, first 2 shown]
	v_cmp_eq_u32_e64 s[12:13], 1, v10
	s_nop 1
	v_cndmask_b32_e64 v1, v26, v1, s[12:13]
	v_cndmask_b32_e64 v3, v17, v3, s[12:13]
	;; [unrolled: 1-line block ×3, first 2 shown]
	s_or_b64 exec, exec, s[16:17]
	s_and_saveexec_b64 s[14:15], s[10:11]
	s_cbranch_execz .LBB76_142
.LBB76_360:
	v_and_b32_e32 v11, 1, v22
	v_cmp_lt_i64_e64 s[10:11], v[8:9], v[2:3]
	v_cmp_eq_u32_e64 s[12:13], 1, v11
	v_and_b32_e32 v10, 1, v1
	s_and_b64 s[10:11], s[12:13], s[10:11]
	v_cndmask_b32_e64 v1, v1, 1, s[12:13]
	v_cndmask_b32_e64 v2, v2, v8, s[10:11]
	;; [unrolled: 1-line block ×3, first 2 shown]
	v_cmp_eq_u32_e64 s[10:11], 1, v10
	s_nop 1
	v_cndmask_b32_e64 v1, v22, v1, s[10:11]
	v_cndmask_b32_e64 v3, v9, v3, s[10:11]
	;; [unrolled: 1-line block ×3, first 2 shown]
	s_or_b64 exec, exec, s[14:15]
	s_and_saveexec_b64 s[12:13], s[8:9]
	s_cbranch_execz .LBB76_143
.LBB76_361:
	v_and_b32_e32 v9, 1, v25
	v_cmp_lt_i64_e64 s[8:9], v[14:15], v[2:3]
	v_cmp_eq_u32_e64 s[10:11], 1, v9
	v_and_b32_e32 v8, 1, v1
	s_and_b64 s[8:9], s[10:11], s[8:9]
	v_cndmask_b32_e64 v1, v1, 1, s[10:11]
	v_cndmask_b32_e64 v2, v2, v14, s[8:9]
	;; [unrolled: 1-line block ×3, first 2 shown]
	v_cmp_eq_u32_e64 s[8:9], 1, v8
	s_nop 1
	v_cndmask_b32_e64 v1, v25, v1, s[8:9]
	v_cndmask_b32_e64 v3, v15, v3, s[8:9]
	;; [unrolled: 1-line block ×3, first 2 shown]
	s_or_b64 exec, exec, s[12:13]
	s_and_saveexec_b64 s[10:11], s[6:7]
	s_cbranch_execz .LBB76_144
.LBB76_362:
	v_and_b32_e32 v9, 1, v21
	v_cmp_lt_i64_e64 s[6:7], v[6:7], v[2:3]
	v_cmp_eq_u32_e64 s[8:9], 1, v9
	v_and_b32_e32 v8, 1, v1
	s_and_b64 s[6:7], s[8:9], s[6:7]
	v_cndmask_b32_e64 v1, v1, 1, s[8:9]
	v_cndmask_b32_e64 v2, v2, v6, s[6:7]
	v_cndmask_b32_e64 v3, v3, v7, s[6:7]
	v_cmp_eq_u32_e64 s[6:7], 1, v8
	s_nop 1
	v_cndmask_b32_e64 v1, v21, v1, s[6:7]
	v_cndmask_b32_e64 v3, v7, v3, s[6:7]
	;; [unrolled: 1-line block ×3, first 2 shown]
	s_or_b64 exec, exec, s[10:11]
	s_and_saveexec_b64 s[8:9], s[4:5]
	s_cbranch_execz .LBB76_145
.LBB76_363:
	v_and_b32_e32 v7, 1, v24
	v_cmp_lt_i64_e64 s[4:5], v[12:13], v[2:3]
	v_cmp_eq_u32_e64 s[6:7], 1, v7
	v_and_b32_e32 v6, 1, v1
	s_and_b64 s[4:5], s[6:7], s[4:5]
	v_cndmask_b32_e64 v1, v1, 1, s[6:7]
	v_cndmask_b32_e64 v2, v2, v12, s[4:5]
	;; [unrolled: 1-line block ×3, first 2 shown]
	v_cmp_eq_u32_e64 s[4:5], 1, v6
	s_nop 1
	v_cndmask_b32_e64 v1, v24, v1, s[4:5]
	v_cndmask_b32_e64 v3, v13, v3, s[4:5]
	;; [unrolled: 1-line block ×3, first 2 shown]
	s_or_b64 exec, exec, s[8:9]
	s_and_saveexec_b64 s[6:7], vcc
	s_cbranch_execnz .LBB76_146
	s_branch .LBB76_147
	.section	.rodata,"a",@progbits
	.p2align	6, 0x0
	.amdhsa_kernel _ZN7rocprim17ROCPRIM_400000_NS6detail17trampoline_kernelINS0_14default_configENS1_22reduce_config_selectorIN6thrust23THRUST_200600_302600_NS5tupleIblNS6_9null_typeES8_S8_S8_S8_S8_S8_S8_EEEEZNS1_11reduce_implILb1ES3_NS6_12zip_iteratorINS7_INS6_11hip_rocprim26transform_input_iterator_tIbNSD_35transform_pair_of_input_iterators_tIbNS6_6detail15normal_iteratorINS6_10device_ptrIKxEEEESL_NS6_8equal_toIxEEEENSG_9not_fun_tINSD_8identityEEEEENSD_19counting_iterator_tIlEES8_S8_S8_S8_S8_S8_S8_S8_EEEEPS9_S9_NSD_9__find_if7functorIS9_EEEE10hipError_tPvRmT1_T2_T3_mT4_P12ihipStream_tbEUlT_E1_NS1_11comp_targetILNS1_3genE5ELNS1_11target_archE942ELNS1_3gpuE9ELNS1_3repE0EEENS1_30default_config_static_selectorELNS0_4arch9wavefront6targetE1EEEvS14_
		.amdhsa_group_segment_fixed_size 384
		.amdhsa_private_segment_fixed_size 0
		.amdhsa_kernarg_size 88
		.amdhsa_user_sgpr_count 2
		.amdhsa_user_sgpr_dispatch_ptr 0
		.amdhsa_user_sgpr_queue_ptr 0
		.amdhsa_user_sgpr_kernarg_segment_ptr 1
		.amdhsa_user_sgpr_dispatch_id 0
		.amdhsa_user_sgpr_kernarg_preload_length 0
		.amdhsa_user_sgpr_kernarg_preload_offset 0
		.amdhsa_user_sgpr_private_segment_size 0
		.amdhsa_uses_dynamic_stack 0
		.amdhsa_enable_private_segment 0
		.amdhsa_system_sgpr_workgroup_id_x 1
		.amdhsa_system_sgpr_workgroup_id_y 0
		.amdhsa_system_sgpr_workgroup_id_z 0
		.amdhsa_system_sgpr_workgroup_info 0
		.amdhsa_system_vgpr_workitem_id 0
		.amdhsa_next_free_vgpr 64
		.amdhsa_next_free_sgpr 56
		.amdhsa_accum_offset 64
		.amdhsa_reserve_vcc 1
		.amdhsa_float_round_mode_32 0
		.amdhsa_float_round_mode_16_64 0
		.amdhsa_float_denorm_mode_32 3
		.amdhsa_float_denorm_mode_16_64 3
		.amdhsa_dx10_clamp 1
		.amdhsa_ieee_mode 1
		.amdhsa_fp16_overflow 0
		.amdhsa_tg_split 0
		.amdhsa_exception_fp_ieee_invalid_op 0
		.amdhsa_exception_fp_denorm_src 0
		.amdhsa_exception_fp_ieee_div_zero 0
		.amdhsa_exception_fp_ieee_overflow 0
		.amdhsa_exception_fp_ieee_underflow 0
		.amdhsa_exception_fp_ieee_inexact 0
		.amdhsa_exception_int_div_zero 0
	.end_amdhsa_kernel
	.section	.text._ZN7rocprim17ROCPRIM_400000_NS6detail17trampoline_kernelINS0_14default_configENS1_22reduce_config_selectorIN6thrust23THRUST_200600_302600_NS5tupleIblNS6_9null_typeES8_S8_S8_S8_S8_S8_S8_EEEEZNS1_11reduce_implILb1ES3_NS6_12zip_iteratorINS7_INS6_11hip_rocprim26transform_input_iterator_tIbNSD_35transform_pair_of_input_iterators_tIbNS6_6detail15normal_iteratorINS6_10device_ptrIKxEEEESL_NS6_8equal_toIxEEEENSG_9not_fun_tINSD_8identityEEEEENSD_19counting_iterator_tIlEES8_S8_S8_S8_S8_S8_S8_S8_EEEEPS9_S9_NSD_9__find_if7functorIS9_EEEE10hipError_tPvRmT1_T2_T3_mT4_P12ihipStream_tbEUlT_E1_NS1_11comp_targetILNS1_3genE5ELNS1_11target_archE942ELNS1_3gpuE9ELNS1_3repE0EEENS1_30default_config_static_selectorELNS0_4arch9wavefront6targetE1EEEvS14_,"axG",@progbits,_ZN7rocprim17ROCPRIM_400000_NS6detail17trampoline_kernelINS0_14default_configENS1_22reduce_config_selectorIN6thrust23THRUST_200600_302600_NS5tupleIblNS6_9null_typeES8_S8_S8_S8_S8_S8_S8_EEEEZNS1_11reduce_implILb1ES3_NS6_12zip_iteratorINS7_INS6_11hip_rocprim26transform_input_iterator_tIbNSD_35transform_pair_of_input_iterators_tIbNS6_6detail15normal_iteratorINS6_10device_ptrIKxEEEESL_NS6_8equal_toIxEEEENSG_9not_fun_tINSD_8identityEEEEENSD_19counting_iterator_tIlEES8_S8_S8_S8_S8_S8_S8_S8_EEEEPS9_S9_NSD_9__find_if7functorIS9_EEEE10hipError_tPvRmT1_T2_T3_mT4_P12ihipStream_tbEUlT_E1_NS1_11comp_targetILNS1_3genE5ELNS1_11target_archE942ELNS1_3gpuE9ELNS1_3repE0EEENS1_30default_config_static_selectorELNS0_4arch9wavefront6targetE1EEEvS14_,comdat
.Lfunc_end76:
	.size	_ZN7rocprim17ROCPRIM_400000_NS6detail17trampoline_kernelINS0_14default_configENS1_22reduce_config_selectorIN6thrust23THRUST_200600_302600_NS5tupleIblNS6_9null_typeES8_S8_S8_S8_S8_S8_S8_EEEEZNS1_11reduce_implILb1ES3_NS6_12zip_iteratorINS7_INS6_11hip_rocprim26transform_input_iterator_tIbNSD_35transform_pair_of_input_iterators_tIbNS6_6detail15normal_iteratorINS6_10device_ptrIKxEEEESL_NS6_8equal_toIxEEEENSG_9not_fun_tINSD_8identityEEEEENSD_19counting_iterator_tIlEES8_S8_S8_S8_S8_S8_S8_S8_EEEEPS9_S9_NSD_9__find_if7functorIS9_EEEE10hipError_tPvRmT1_T2_T3_mT4_P12ihipStream_tbEUlT_E1_NS1_11comp_targetILNS1_3genE5ELNS1_11target_archE942ELNS1_3gpuE9ELNS1_3repE0EEENS1_30default_config_static_selectorELNS0_4arch9wavefront6targetE1EEEvS14_, .Lfunc_end76-_ZN7rocprim17ROCPRIM_400000_NS6detail17trampoline_kernelINS0_14default_configENS1_22reduce_config_selectorIN6thrust23THRUST_200600_302600_NS5tupleIblNS6_9null_typeES8_S8_S8_S8_S8_S8_S8_EEEEZNS1_11reduce_implILb1ES3_NS6_12zip_iteratorINS7_INS6_11hip_rocprim26transform_input_iterator_tIbNSD_35transform_pair_of_input_iterators_tIbNS6_6detail15normal_iteratorINS6_10device_ptrIKxEEEESL_NS6_8equal_toIxEEEENSG_9not_fun_tINSD_8identityEEEEENSD_19counting_iterator_tIlEES8_S8_S8_S8_S8_S8_S8_S8_EEEEPS9_S9_NSD_9__find_if7functorIS9_EEEE10hipError_tPvRmT1_T2_T3_mT4_P12ihipStream_tbEUlT_E1_NS1_11comp_targetILNS1_3genE5ELNS1_11target_archE942ELNS1_3gpuE9ELNS1_3repE0EEENS1_30default_config_static_selectorELNS0_4arch9wavefront6targetE1EEEvS14_
                                        ; -- End function
	.section	.AMDGPU.csdata,"",@progbits
; Kernel info:
; codeLenInByte = 20208
; NumSgprs: 62
; NumVgprs: 64
; NumAgprs: 0
; TotalNumVgprs: 64
; ScratchSize: 0
; MemoryBound: 0
; FloatMode: 240
; IeeeMode: 1
; LDSByteSize: 384 bytes/workgroup (compile time only)
; SGPRBlocks: 7
; VGPRBlocks: 7
; NumSGPRsForWavesPerEU: 62
; NumVGPRsForWavesPerEU: 64
; AccumOffset: 64
; Occupancy: 8
; WaveLimiterHint : 0
; COMPUTE_PGM_RSRC2:SCRATCH_EN: 0
; COMPUTE_PGM_RSRC2:USER_SGPR: 2
; COMPUTE_PGM_RSRC2:TRAP_HANDLER: 0
; COMPUTE_PGM_RSRC2:TGID_X_EN: 1
; COMPUTE_PGM_RSRC2:TGID_Y_EN: 0
; COMPUTE_PGM_RSRC2:TGID_Z_EN: 0
; COMPUTE_PGM_RSRC2:TIDIG_COMP_CNT: 0
; COMPUTE_PGM_RSRC3_GFX90A:ACCUM_OFFSET: 15
; COMPUTE_PGM_RSRC3_GFX90A:TG_SPLIT: 0
	.section	.text._ZN7rocprim17ROCPRIM_400000_NS6detail17trampoline_kernelINS0_14default_configENS1_22reduce_config_selectorIN6thrust23THRUST_200600_302600_NS5tupleIblNS6_9null_typeES8_S8_S8_S8_S8_S8_S8_EEEEZNS1_11reduce_implILb1ES3_NS6_12zip_iteratorINS7_INS6_11hip_rocprim26transform_input_iterator_tIbNSD_35transform_pair_of_input_iterators_tIbNS6_6detail15normal_iteratorINS6_10device_ptrIKxEEEESL_NS6_8equal_toIxEEEENSG_9not_fun_tINSD_8identityEEEEENSD_19counting_iterator_tIlEES8_S8_S8_S8_S8_S8_S8_S8_EEEEPS9_S9_NSD_9__find_if7functorIS9_EEEE10hipError_tPvRmT1_T2_T3_mT4_P12ihipStream_tbEUlT_E1_NS1_11comp_targetILNS1_3genE4ELNS1_11target_archE910ELNS1_3gpuE8ELNS1_3repE0EEENS1_30default_config_static_selectorELNS0_4arch9wavefront6targetE1EEEvS14_,"axG",@progbits,_ZN7rocprim17ROCPRIM_400000_NS6detail17trampoline_kernelINS0_14default_configENS1_22reduce_config_selectorIN6thrust23THRUST_200600_302600_NS5tupleIblNS6_9null_typeES8_S8_S8_S8_S8_S8_S8_EEEEZNS1_11reduce_implILb1ES3_NS6_12zip_iteratorINS7_INS6_11hip_rocprim26transform_input_iterator_tIbNSD_35transform_pair_of_input_iterators_tIbNS6_6detail15normal_iteratorINS6_10device_ptrIKxEEEESL_NS6_8equal_toIxEEEENSG_9not_fun_tINSD_8identityEEEEENSD_19counting_iterator_tIlEES8_S8_S8_S8_S8_S8_S8_S8_EEEEPS9_S9_NSD_9__find_if7functorIS9_EEEE10hipError_tPvRmT1_T2_T3_mT4_P12ihipStream_tbEUlT_E1_NS1_11comp_targetILNS1_3genE4ELNS1_11target_archE910ELNS1_3gpuE8ELNS1_3repE0EEENS1_30default_config_static_selectorELNS0_4arch9wavefront6targetE1EEEvS14_,comdat
	.protected	_ZN7rocprim17ROCPRIM_400000_NS6detail17trampoline_kernelINS0_14default_configENS1_22reduce_config_selectorIN6thrust23THRUST_200600_302600_NS5tupleIblNS6_9null_typeES8_S8_S8_S8_S8_S8_S8_EEEEZNS1_11reduce_implILb1ES3_NS6_12zip_iteratorINS7_INS6_11hip_rocprim26transform_input_iterator_tIbNSD_35transform_pair_of_input_iterators_tIbNS6_6detail15normal_iteratorINS6_10device_ptrIKxEEEESL_NS6_8equal_toIxEEEENSG_9not_fun_tINSD_8identityEEEEENSD_19counting_iterator_tIlEES8_S8_S8_S8_S8_S8_S8_S8_EEEEPS9_S9_NSD_9__find_if7functorIS9_EEEE10hipError_tPvRmT1_T2_T3_mT4_P12ihipStream_tbEUlT_E1_NS1_11comp_targetILNS1_3genE4ELNS1_11target_archE910ELNS1_3gpuE8ELNS1_3repE0EEENS1_30default_config_static_selectorELNS0_4arch9wavefront6targetE1EEEvS14_ ; -- Begin function _ZN7rocprim17ROCPRIM_400000_NS6detail17trampoline_kernelINS0_14default_configENS1_22reduce_config_selectorIN6thrust23THRUST_200600_302600_NS5tupleIblNS6_9null_typeES8_S8_S8_S8_S8_S8_S8_EEEEZNS1_11reduce_implILb1ES3_NS6_12zip_iteratorINS7_INS6_11hip_rocprim26transform_input_iterator_tIbNSD_35transform_pair_of_input_iterators_tIbNS6_6detail15normal_iteratorINS6_10device_ptrIKxEEEESL_NS6_8equal_toIxEEEENSG_9not_fun_tINSD_8identityEEEEENSD_19counting_iterator_tIlEES8_S8_S8_S8_S8_S8_S8_S8_EEEEPS9_S9_NSD_9__find_if7functorIS9_EEEE10hipError_tPvRmT1_T2_T3_mT4_P12ihipStream_tbEUlT_E1_NS1_11comp_targetILNS1_3genE4ELNS1_11target_archE910ELNS1_3gpuE8ELNS1_3repE0EEENS1_30default_config_static_selectorELNS0_4arch9wavefront6targetE1EEEvS14_
	.globl	_ZN7rocprim17ROCPRIM_400000_NS6detail17trampoline_kernelINS0_14default_configENS1_22reduce_config_selectorIN6thrust23THRUST_200600_302600_NS5tupleIblNS6_9null_typeES8_S8_S8_S8_S8_S8_S8_EEEEZNS1_11reduce_implILb1ES3_NS6_12zip_iteratorINS7_INS6_11hip_rocprim26transform_input_iterator_tIbNSD_35transform_pair_of_input_iterators_tIbNS6_6detail15normal_iteratorINS6_10device_ptrIKxEEEESL_NS6_8equal_toIxEEEENSG_9not_fun_tINSD_8identityEEEEENSD_19counting_iterator_tIlEES8_S8_S8_S8_S8_S8_S8_S8_EEEEPS9_S9_NSD_9__find_if7functorIS9_EEEE10hipError_tPvRmT1_T2_T3_mT4_P12ihipStream_tbEUlT_E1_NS1_11comp_targetILNS1_3genE4ELNS1_11target_archE910ELNS1_3gpuE8ELNS1_3repE0EEENS1_30default_config_static_selectorELNS0_4arch9wavefront6targetE1EEEvS14_
	.p2align	8
	.type	_ZN7rocprim17ROCPRIM_400000_NS6detail17trampoline_kernelINS0_14default_configENS1_22reduce_config_selectorIN6thrust23THRUST_200600_302600_NS5tupleIblNS6_9null_typeES8_S8_S8_S8_S8_S8_S8_EEEEZNS1_11reduce_implILb1ES3_NS6_12zip_iteratorINS7_INS6_11hip_rocprim26transform_input_iterator_tIbNSD_35transform_pair_of_input_iterators_tIbNS6_6detail15normal_iteratorINS6_10device_ptrIKxEEEESL_NS6_8equal_toIxEEEENSG_9not_fun_tINSD_8identityEEEEENSD_19counting_iterator_tIlEES8_S8_S8_S8_S8_S8_S8_S8_EEEEPS9_S9_NSD_9__find_if7functorIS9_EEEE10hipError_tPvRmT1_T2_T3_mT4_P12ihipStream_tbEUlT_E1_NS1_11comp_targetILNS1_3genE4ELNS1_11target_archE910ELNS1_3gpuE8ELNS1_3repE0EEENS1_30default_config_static_selectorELNS0_4arch9wavefront6targetE1EEEvS14_,@function
_ZN7rocprim17ROCPRIM_400000_NS6detail17trampoline_kernelINS0_14default_configENS1_22reduce_config_selectorIN6thrust23THRUST_200600_302600_NS5tupleIblNS6_9null_typeES8_S8_S8_S8_S8_S8_S8_EEEEZNS1_11reduce_implILb1ES3_NS6_12zip_iteratorINS7_INS6_11hip_rocprim26transform_input_iterator_tIbNSD_35transform_pair_of_input_iterators_tIbNS6_6detail15normal_iteratorINS6_10device_ptrIKxEEEESL_NS6_8equal_toIxEEEENSG_9not_fun_tINSD_8identityEEEEENSD_19counting_iterator_tIlEES8_S8_S8_S8_S8_S8_S8_S8_EEEEPS9_S9_NSD_9__find_if7functorIS9_EEEE10hipError_tPvRmT1_T2_T3_mT4_P12ihipStream_tbEUlT_E1_NS1_11comp_targetILNS1_3genE4ELNS1_11target_archE910ELNS1_3gpuE8ELNS1_3repE0EEENS1_30default_config_static_selectorELNS0_4arch9wavefront6targetE1EEEvS14_: ; @_ZN7rocprim17ROCPRIM_400000_NS6detail17trampoline_kernelINS0_14default_configENS1_22reduce_config_selectorIN6thrust23THRUST_200600_302600_NS5tupleIblNS6_9null_typeES8_S8_S8_S8_S8_S8_S8_EEEEZNS1_11reduce_implILb1ES3_NS6_12zip_iteratorINS7_INS6_11hip_rocprim26transform_input_iterator_tIbNSD_35transform_pair_of_input_iterators_tIbNS6_6detail15normal_iteratorINS6_10device_ptrIKxEEEESL_NS6_8equal_toIxEEEENSG_9not_fun_tINSD_8identityEEEEENSD_19counting_iterator_tIlEES8_S8_S8_S8_S8_S8_S8_S8_EEEEPS9_S9_NSD_9__find_if7functorIS9_EEEE10hipError_tPvRmT1_T2_T3_mT4_P12ihipStream_tbEUlT_E1_NS1_11comp_targetILNS1_3genE4ELNS1_11target_archE910ELNS1_3gpuE8ELNS1_3repE0EEENS1_30default_config_static_selectorELNS0_4arch9wavefront6targetE1EEEvS14_
; %bb.0:
	.section	.rodata,"a",@progbits
	.p2align	6, 0x0
	.amdhsa_kernel _ZN7rocprim17ROCPRIM_400000_NS6detail17trampoline_kernelINS0_14default_configENS1_22reduce_config_selectorIN6thrust23THRUST_200600_302600_NS5tupleIblNS6_9null_typeES8_S8_S8_S8_S8_S8_S8_EEEEZNS1_11reduce_implILb1ES3_NS6_12zip_iteratorINS7_INS6_11hip_rocprim26transform_input_iterator_tIbNSD_35transform_pair_of_input_iterators_tIbNS6_6detail15normal_iteratorINS6_10device_ptrIKxEEEESL_NS6_8equal_toIxEEEENSG_9not_fun_tINSD_8identityEEEEENSD_19counting_iterator_tIlEES8_S8_S8_S8_S8_S8_S8_S8_EEEEPS9_S9_NSD_9__find_if7functorIS9_EEEE10hipError_tPvRmT1_T2_T3_mT4_P12ihipStream_tbEUlT_E1_NS1_11comp_targetILNS1_3genE4ELNS1_11target_archE910ELNS1_3gpuE8ELNS1_3repE0EEENS1_30default_config_static_selectorELNS0_4arch9wavefront6targetE1EEEvS14_
		.amdhsa_group_segment_fixed_size 0
		.amdhsa_private_segment_fixed_size 0
		.amdhsa_kernarg_size 88
		.amdhsa_user_sgpr_count 2
		.amdhsa_user_sgpr_dispatch_ptr 0
		.amdhsa_user_sgpr_queue_ptr 0
		.amdhsa_user_sgpr_kernarg_segment_ptr 1
		.amdhsa_user_sgpr_dispatch_id 0
		.amdhsa_user_sgpr_kernarg_preload_length 0
		.amdhsa_user_sgpr_kernarg_preload_offset 0
		.amdhsa_user_sgpr_private_segment_size 0
		.amdhsa_uses_dynamic_stack 0
		.amdhsa_enable_private_segment 0
		.amdhsa_system_sgpr_workgroup_id_x 1
		.amdhsa_system_sgpr_workgroup_id_y 0
		.amdhsa_system_sgpr_workgroup_id_z 0
		.amdhsa_system_sgpr_workgroup_info 0
		.amdhsa_system_vgpr_workitem_id 0
		.amdhsa_next_free_vgpr 1
		.amdhsa_next_free_sgpr 0
		.amdhsa_accum_offset 4
		.amdhsa_reserve_vcc 0
		.amdhsa_float_round_mode_32 0
		.amdhsa_float_round_mode_16_64 0
		.amdhsa_float_denorm_mode_32 3
		.amdhsa_float_denorm_mode_16_64 3
		.amdhsa_dx10_clamp 1
		.amdhsa_ieee_mode 1
		.amdhsa_fp16_overflow 0
		.amdhsa_tg_split 0
		.amdhsa_exception_fp_ieee_invalid_op 0
		.amdhsa_exception_fp_denorm_src 0
		.amdhsa_exception_fp_ieee_div_zero 0
		.amdhsa_exception_fp_ieee_overflow 0
		.amdhsa_exception_fp_ieee_underflow 0
		.amdhsa_exception_fp_ieee_inexact 0
		.amdhsa_exception_int_div_zero 0
	.end_amdhsa_kernel
	.section	.text._ZN7rocprim17ROCPRIM_400000_NS6detail17trampoline_kernelINS0_14default_configENS1_22reduce_config_selectorIN6thrust23THRUST_200600_302600_NS5tupleIblNS6_9null_typeES8_S8_S8_S8_S8_S8_S8_EEEEZNS1_11reduce_implILb1ES3_NS6_12zip_iteratorINS7_INS6_11hip_rocprim26transform_input_iterator_tIbNSD_35transform_pair_of_input_iterators_tIbNS6_6detail15normal_iteratorINS6_10device_ptrIKxEEEESL_NS6_8equal_toIxEEEENSG_9not_fun_tINSD_8identityEEEEENSD_19counting_iterator_tIlEES8_S8_S8_S8_S8_S8_S8_S8_EEEEPS9_S9_NSD_9__find_if7functorIS9_EEEE10hipError_tPvRmT1_T2_T3_mT4_P12ihipStream_tbEUlT_E1_NS1_11comp_targetILNS1_3genE4ELNS1_11target_archE910ELNS1_3gpuE8ELNS1_3repE0EEENS1_30default_config_static_selectorELNS0_4arch9wavefront6targetE1EEEvS14_,"axG",@progbits,_ZN7rocprim17ROCPRIM_400000_NS6detail17trampoline_kernelINS0_14default_configENS1_22reduce_config_selectorIN6thrust23THRUST_200600_302600_NS5tupleIblNS6_9null_typeES8_S8_S8_S8_S8_S8_S8_EEEEZNS1_11reduce_implILb1ES3_NS6_12zip_iteratorINS7_INS6_11hip_rocprim26transform_input_iterator_tIbNSD_35transform_pair_of_input_iterators_tIbNS6_6detail15normal_iteratorINS6_10device_ptrIKxEEEESL_NS6_8equal_toIxEEEENSG_9not_fun_tINSD_8identityEEEEENSD_19counting_iterator_tIlEES8_S8_S8_S8_S8_S8_S8_S8_EEEEPS9_S9_NSD_9__find_if7functorIS9_EEEE10hipError_tPvRmT1_T2_T3_mT4_P12ihipStream_tbEUlT_E1_NS1_11comp_targetILNS1_3genE4ELNS1_11target_archE910ELNS1_3gpuE8ELNS1_3repE0EEENS1_30default_config_static_selectorELNS0_4arch9wavefront6targetE1EEEvS14_,comdat
.Lfunc_end77:
	.size	_ZN7rocprim17ROCPRIM_400000_NS6detail17trampoline_kernelINS0_14default_configENS1_22reduce_config_selectorIN6thrust23THRUST_200600_302600_NS5tupleIblNS6_9null_typeES8_S8_S8_S8_S8_S8_S8_EEEEZNS1_11reduce_implILb1ES3_NS6_12zip_iteratorINS7_INS6_11hip_rocprim26transform_input_iterator_tIbNSD_35transform_pair_of_input_iterators_tIbNS6_6detail15normal_iteratorINS6_10device_ptrIKxEEEESL_NS6_8equal_toIxEEEENSG_9not_fun_tINSD_8identityEEEEENSD_19counting_iterator_tIlEES8_S8_S8_S8_S8_S8_S8_S8_EEEEPS9_S9_NSD_9__find_if7functorIS9_EEEE10hipError_tPvRmT1_T2_T3_mT4_P12ihipStream_tbEUlT_E1_NS1_11comp_targetILNS1_3genE4ELNS1_11target_archE910ELNS1_3gpuE8ELNS1_3repE0EEENS1_30default_config_static_selectorELNS0_4arch9wavefront6targetE1EEEvS14_, .Lfunc_end77-_ZN7rocprim17ROCPRIM_400000_NS6detail17trampoline_kernelINS0_14default_configENS1_22reduce_config_selectorIN6thrust23THRUST_200600_302600_NS5tupleIblNS6_9null_typeES8_S8_S8_S8_S8_S8_S8_EEEEZNS1_11reduce_implILb1ES3_NS6_12zip_iteratorINS7_INS6_11hip_rocprim26transform_input_iterator_tIbNSD_35transform_pair_of_input_iterators_tIbNS6_6detail15normal_iteratorINS6_10device_ptrIKxEEEESL_NS6_8equal_toIxEEEENSG_9not_fun_tINSD_8identityEEEEENSD_19counting_iterator_tIlEES8_S8_S8_S8_S8_S8_S8_S8_EEEEPS9_S9_NSD_9__find_if7functorIS9_EEEE10hipError_tPvRmT1_T2_T3_mT4_P12ihipStream_tbEUlT_E1_NS1_11comp_targetILNS1_3genE4ELNS1_11target_archE910ELNS1_3gpuE8ELNS1_3repE0EEENS1_30default_config_static_selectorELNS0_4arch9wavefront6targetE1EEEvS14_
                                        ; -- End function
	.section	.AMDGPU.csdata,"",@progbits
; Kernel info:
; codeLenInByte = 0
; NumSgprs: 6
; NumVgprs: 0
; NumAgprs: 0
; TotalNumVgprs: 0
; ScratchSize: 0
; MemoryBound: 0
; FloatMode: 240
; IeeeMode: 1
; LDSByteSize: 0 bytes/workgroup (compile time only)
; SGPRBlocks: 0
; VGPRBlocks: 0
; NumSGPRsForWavesPerEU: 6
; NumVGPRsForWavesPerEU: 1
; AccumOffset: 4
; Occupancy: 8
; WaveLimiterHint : 0
; COMPUTE_PGM_RSRC2:SCRATCH_EN: 0
; COMPUTE_PGM_RSRC2:USER_SGPR: 2
; COMPUTE_PGM_RSRC2:TRAP_HANDLER: 0
; COMPUTE_PGM_RSRC2:TGID_X_EN: 1
; COMPUTE_PGM_RSRC2:TGID_Y_EN: 0
; COMPUTE_PGM_RSRC2:TGID_Z_EN: 0
; COMPUTE_PGM_RSRC2:TIDIG_COMP_CNT: 0
; COMPUTE_PGM_RSRC3_GFX90A:ACCUM_OFFSET: 0
; COMPUTE_PGM_RSRC3_GFX90A:TG_SPLIT: 0
	.section	.text._ZN7rocprim17ROCPRIM_400000_NS6detail17trampoline_kernelINS0_14default_configENS1_22reduce_config_selectorIN6thrust23THRUST_200600_302600_NS5tupleIblNS6_9null_typeES8_S8_S8_S8_S8_S8_S8_EEEEZNS1_11reduce_implILb1ES3_NS6_12zip_iteratorINS7_INS6_11hip_rocprim26transform_input_iterator_tIbNSD_35transform_pair_of_input_iterators_tIbNS6_6detail15normal_iteratorINS6_10device_ptrIKxEEEESL_NS6_8equal_toIxEEEENSG_9not_fun_tINSD_8identityEEEEENSD_19counting_iterator_tIlEES8_S8_S8_S8_S8_S8_S8_S8_EEEEPS9_S9_NSD_9__find_if7functorIS9_EEEE10hipError_tPvRmT1_T2_T3_mT4_P12ihipStream_tbEUlT_E1_NS1_11comp_targetILNS1_3genE3ELNS1_11target_archE908ELNS1_3gpuE7ELNS1_3repE0EEENS1_30default_config_static_selectorELNS0_4arch9wavefront6targetE1EEEvS14_,"axG",@progbits,_ZN7rocprim17ROCPRIM_400000_NS6detail17trampoline_kernelINS0_14default_configENS1_22reduce_config_selectorIN6thrust23THRUST_200600_302600_NS5tupleIblNS6_9null_typeES8_S8_S8_S8_S8_S8_S8_EEEEZNS1_11reduce_implILb1ES3_NS6_12zip_iteratorINS7_INS6_11hip_rocprim26transform_input_iterator_tIbNSD_35transform_pair_of_input_iterators_tIbNS6_6detail15normal_iteratorINS6_10device_ptrIKxEEEESL_NS6_8equal_toIxEEEENSG_9not_fun_tINSD_8identityEEEEENSD_19counting_iterator_tIlEES8_S8_S8_S8_S8_S8_S8_S8_EEEEPS9_S9_NSD_9__find_if7functorIS9_EEEE10hipError_tPvRmT1_T2_T3_mT4_P12ihipStream_tbEUlT_E1_NS1_11comp_targetILNS1_3genE3ELNS1_11target_archE908ELNS1_3gpuE7ELNS1_3repE0EEENS1_30default_config_static_selectorELNS0_4arch9wavefront6targetE1EEEvS14_,comdat
	.protected	_ZN7rocprim17ROCPRIM_400000_NS6detail17trampoline_kernelINS0_14default_configENS1_22reduce_config_selectorIN6thrust23THRUST_200600_302600_NS5tupleIblNS6_9null_typeES8_S8_S8_S8_S8_S8_S8_EEEEZNS1_11reduce_implILb1ES3_NS6_12zip_iteratorINS7_INS6_11hip_rocprim26transform_input_iterator_tIbNSD_35transform_pair_of_input_iterators_tIbNS6_6detail15normal_iteratorINS6_10device_ptrIKxEEEESL_NS6_8equal_toIxEEEENSG_9not_fun_tINSD_8identityEEEEENSD_19counting_iterator_tIlEES8_S8_S8_S8_S8_S8_S8_S8_EEEEPS9_S9_NSD_9__find_if7functorIS9_EEEE10hipError_tPvRmT1_T2_T3_mT4_P12ihipStream_tbEUlT_E1_NS1_11comp_targetILNS1_3genE3ELNS1_11target_archE908ELNS1_3gpuE7ELNS1_3repE0EEENS1_30default_config_static_selectorELNS0_4arch9wavefront6targetE1EEEvS14_ ; -- Begin function _ZN7rocprim17ROCPRIM_400000_NS6detail17trampoline_kernelINS0_14default_configENS1_22reduce_config_selectorIN6thrust23THRUST_200600_302600_NS5tupleIblNS6_9null_typeES8_S8_S8_S8_S8_S8_S8_EEEEZNS1_11reduce_implILb1ES3_NS6_12zip_iteratorINS7_INS6_11hip_rocprim26transform_input_iterator_tIbNSD_35transform_pair_of_input_iterators_tIbNS6_6detail15normal_iteratorINS6_10device_ptrIKxEEEESL_NS6_8equal_toIxEEEENSG_9not_fun_tINSD_8identityEEEEENSD_19counting_iterator_tIlEES8_S8_S8_S8_S8_S8_S8_S8_EEEEPS9_S9_NSD_9__find_if7functorIS9_EEEE10hipError_tPvRmT1_T2_T3_mT4_P12ihipStream_tbEUlT_E1_NS1_11comp_targetILNS1_3genE3ELNS1_11target_archE908ELNS1_3gpuE7ELNS1_3repE0EEENS1_30default_config_static_selectorELNS0_4arch9wavefront6targetE1EEEvS14_
	.globl	_ZN7rocprim17ROCPRIM_400000_NS6detail17trampoline_kernelINS0_14default_configENS1_22reduce_config_selectorIN6thrust23THRUST_200600_302600_NS5tupleIblNS6_9null_typeES8_S8_S8_S8_S8_S8_S8_EEEEZNS1_11reduce_implILb1ES3_NS6_12zip_iteratorINS7_INS6_11hip_rocprim26transform_input_iterator_tIbNSD_35transform_pair_of_input_iterators_tIbNS6_6detail15normal_iteratorINS6_10device_ptrIKxEEEESL_NS6_8equal_toIxEEEENSG_9not_fun_tINSD_8identityEEEEENSD_19counting_iterator_tIlEES8_S8_S8_S8_S8_S8_S8_S8_EEEEPS9_S9_NSD_9__find_if7functorIS9_EEEE10hipError_tPvRmT1_T2_T3_mT4_P12ihipStream_tbEUlT_E1_NS1_11comp_targetILNS1_3genE3ELNS1_11target_archE908ELNS1_3gpuE7ELNS1_3repE0EEENS1_30default_config_static_selectorELNS0_4arch9wavefront6targetE1EEEvS14_
	.p2align	8
	.type	_ZN7rocprim17ROCPRIM_400000_NS6detail17trampoline_kernelINS0_14default_configENS1_22reduce_config_selectorIN6thrust23THRUST_200600_302600_NS5tupleIblNS6_9null_typeES8_S8_S8_S8_S8_S8_S8_EEEEZNS1_11reduce_implILb1ES3_NS6_12zip_iteratorINS7_INS6_11hip_rocprim26transform_input_iterator_tIbNSD_35transform_pair_of_input_iterators_tIbNS6_6detail15normal_iteratorINS6_10device_ptrIKxEEEESL_NS6_8equal_toIxEEEENSG_9not_fun_tINSD_8identityEEEEENSD_19counting_iterator_tIlEES8_S8_S8_S8_S8_S8_S8_S8_EEEEPS9_S9_NSD_9__find_if7functorIS9_EEEE10hipError_tPvRmT1_T2_T3_mT4_P12ihipStream_tbEUlT_E1_NS1_11comp_targetILNS1_3genE3ELNS1_11target_archE908ELNS1_3gpuE7ELNS1_3repE0EEENS1_30default_config_static_selectorELNS0_4arch9wavefront6targetE1EEEvS14_,@function
_ZN7rocprim17ROCPRIM_400000_NS6detail17trampoline_kernelINS0_14default_configENS1_22reduce_config_selectorIN6thrust23THRUST_200600_302600_NS5tupleIblNS6_9null_typeES8_S8_S8_S8_S8_S8_S8_EEEEZNS1_11reduce_implILb1ES3_NS6_12zip_iteratorINS7_INS6_11hip_rocprim26transform_input_iterator_tIbNSD_35transform_pair_of_input_iterators_tIbNS6_6detail15normal_iteratorINS6_10device_ptrIKxEEEESL_NS6_8equal_toIxEEEENSG_9not_fun_tINSD_8identityEEEEENSD_19counting_iterator_tIlEES8_S8_S8_S8_S8_S8_S8_S8_EEEEPS9_S9_NSD_9__find_if7functorIS9_EEEE10hipError_tPvRmT1_T2_T3_mT4_P12ihipStream_tbEUlT_E1_NS1_11comp_targetILNS1_3genE3ELNS1_11target_archE908ELNS1_3gpuE7ELNS1_3repE0EEENS1_30default_config_static_selectorELNS0_4arch9wavefront6targetE1EEEvS14_: ; @_ZN7rocprim17ROCPRIM_400000_NS6detail17trampoline_kernelINS0_14default_configENS1_22reduce_config_selectorIN6thrust23THRUST_200600_302600_NS5tupleIblNS6_9null_typeES8_S8_S8_S8_S8_S8_S8_EEEEZNS1_11reduce_implILb1ES3_NS6_12zip_iteratorINS7_INS6_11hip_rocprim26transform_input_iterator_tIbNSD_35transform_pair_of_input_iterators_tIbNS6_6detail15normal_iteratorINS6_10device_ptrIKxEEEESL_NS6_8equal_toIxEEEENSG_9not_fun_tINSD_8identityEEEEENSD_19counting_iterator_tIlEES8_S8_S8_S8_S8_S8_S8_S8_EEEEPS9_S9_NSD_9__find_if7functorIS9_EEEE10hipError_tPvRmT1_T2_T3_mT4_P12ihipStream_tbEUlT_E1_NS1_11comp_targetILNS1_3genE3ELNS1_11target_archE908ELNS1_3gpuE7ELNS1_3repE0EEENS1_30default_config_static_selectorELNS0_4arch9wavefront6targetE1EEEvS14_
; %bb.0:
	.section	.rodata,"a",@progbits
	.p2align	6, 0x0
	.amdhsa_kernel _ZN7rocprim17ROCPRIM_400000_NS6detail17trampoline_kernelINS0_14default_configENS1_22reduce_config_selectorIN6thrust23THRUST_200600_302600_NS5tupleIblNS6_9null_typeES8_S8_S8_S8_S8_S8_S8_EEEEZNS1_11reduce_implILb1ES3_NS6_12zip_iteratorINS7_INS6_11hip_rocprim26transform_input_iterator_tIbNSD_35transform_pair_of_input_iterators_tIbNS6_6detail15normal_iteratorINS6_10device_ptrIKxEEEESL_NS6_8equal_toIxEEEENSG_9not_fun_tINSD_8identityEEEEENSD_19counting_iterator_tIlEES8_S8_S8_S8_S8_S8_S8_S8_EEEEPS9_S9_NSD_9__find_if7functorIS9_EEEE10hipError_tPvRmT1_T2_T3_mT4_P12ihipStream_tbEUlT_E1_NS1_11comp_targetILNS1_3genE3ELNS1_11target_archE908ELNS1_3gpuE7ELNS1_3repE0EEENS1_30default_config_static_selectorELNS0_4arch9wavefront6targetE1EEEvS14_
		.amdhsa_group_segment_fixed_size 0
		.amdhsa_private_segment_fixed_size 0
		.amdhsa_kernarg_size 88
		.amdhsa_user_sgpr_count 2
		.amdhsa_user_sgpr_dispatch_ptr 0
		.amdhsa_user_sgpr_queue_ptr 0
		.amdhsa_user_sgpr_kernarg_segment_ptr 1
		.amdhsa_user_sgpr_dispatch_id 0
		.amdhsa_user_sgpr_kernarg_preload_length 0
		.amdhsa_user_sgpr_kernarg_preload_offset 0
		.amdhsa_user_sgpr_private_segment_size 0
		.amdhsa_uses_dynamic_stack 0
		.amdhsa_enable_private_segment 0
		.amdhsa_system_sgpr_workgroup_id_x 1
		.amdhsa_system_sgpr_workgroup_id_y 0
		.amdhsa_system_sgpr_workgroup_id_z 0
		.amdhsa_system_sgpr_workgroup_info 0
		.amdhsa_system_vgpr_workitem_id 0
		.amdhsa_next_free_vgpr 1
		.amdhsa_next_free_sgpr 0
		.amdhsa_accum_offset 4
		.amdhsa_reserve_vcc 0
		.amdhsa_float_round_mode_32 0
		.amdhsa_float_round_mode_16_64 0
		.amdhsa_float_denorm_mode_32 3
		.amdhsa_float_denorm_mode_16_64 3
		.amdhsa_dx10_clamp 1
		.amdhsa_ieee_mode 1
		.amdhsa_fp16_overflow 0
		.amdhsa_tg_split 0
		.amdhsa_exception_fp_ieee_invalid_op 0
		.amdhsa_exception_fp_denorm_src 0
		.amdhsa_exception_fp_ieee_div_zero 0
		.amdhsa_exception_fp_ieee_overflow 0
		.amdhsa_exception_fp_ieee_underflow 0
		.amdhsa_exception_fp_ieee_inexact 0
		.amdhsa_exception_int_div_zero 0
	.end_amdhsa_kernel
	.section	.text._ZN7rocprim17ROCPRIM_400000_NS6detail17trampoline_kernelINS0_14default_configENS1_22reduce_config_selectorIN6thrust23THRUST_200600_302600_NS5tupleIblNS6_9null_typeES8_S8_S8_S8_S8_S8_S8_EEEEZNS1_11reduce_implILb1ES3_NS6_12zip_iteratorINS7_INS6_11hip_rocprim26transform_input_iterator_tIbNSD_35transform_pair_of_input_iterators_tIbNS6_6detail15normal_iteratorINS6_10device_ptrIKxEEEESL_NS6_8equal_toIxEEEENSG_9not_fun_tINSD_8identityEEEEENSD_19counting_iterator_tIlEES8_S8_S8_S8_S8_S8_S8_S8_EEEEPS9_S9_NSD_9__find_if7functorIS9_EEEE10hipError_tPvRmT1_T2_T3_mT4_P12ihipStream_tbEUlT_E1_NS1_11comp_targetILNS1_3genE3ELNS1_11target_archE908ELNS1_3gpuE7ELNS1_3repE0EEENS1_30default_config_static_selectorELNS0_4arch9wavefront6targetE1EEEvS14_,"axG",@progbits,_ZN7rocprim17ROCPRIM_400000_NS6detail17trampoline_kernelINS0_14default_configENS1_22reduce_config_selectorIN6thrust23THRUST_200600_302600_NS5tupleIblNS6_9null_typeES8_S8_S8_S8_S8_S8_S8_EEEEZNS1_11reduce_implILb1ES3_NS6_12zip_iteratorINS7_INS6_11hip_rocprim26transform_input_iterator_tIbNSD_35transform_pair_of_input_iterators_tIbNS6_6detail15normal_iteratorINS6_10device_ptrIKxEEEESL_NS6_8equal_toIxEEEENSG_9not_fun_tINSD_8identityEEEEENSD_19counting_iterator_tIlEES8_S8_S8_S8_S8_S8_S8_S8_EEEEPS9_S9_NSD_9__find_if7functorIS9_EEEE10hipError_tPvRmT1_T2_T3_mT4_P12ihipStream_tbEUlT_E1_NS1_11comp_targetILNS1_3genE3ELNS1_11target_archE908ELNS1_3gpuE7ELNS1_3repE0EEENS1_30default_config_static_selectorELNS0_4arch9wavefront6targetE1EEEvS14_,comdat
.Lfunc_end78:
	.size	_ZN7rocprim17ROCPRIM_400000_NS6detail17trampoline_kernelINS0_14default_configENS1_22reduce_config_selectorIN6thrust23THRUST_200600_302600_NS5tupleIblNS6_9null_typeES8_S8_S8_S8_S8_S8_S8_EEEEZNS1_11reduce_implILb1ES3_NS6_12zip_iteratorINS7_INS6_11hip_rocprim26transform_input_iterator_tIbNSD_35transform_pair_of_input_iterators_tIbNS6_6detail15normal_iteratorINS6_10device_ptrIKxEEEESL_NS6_8equal_toIxEEEENSG_9not_fun_tINSD_8identityEEEEENSD_19counting_iterator_tIlEES8_S8_S8_S8_S8_S8_S8_S8_EEEEPS9_S9_NSD_9__find_if7functorIS9_EEEE10hipError_tPvRmT1_T2_T3_mT4_P12ihipStream_tbEUlT_E1_NS1_11comp_targetILNS1_3genE3ELNS1_11target_archE908ELNS1_3gpuE7ELNS1_3repE0EEENS1_30default_config_static_selectorELNS0_4arch9wavefront6targetE1EEEvS14_, .Lfunc_end78-_ZN7rocprim17ROCPRIM_400000_NS6detail17trampoline_kernelINS0_14default_configENS1_22reduce_config_selectorIN6thrust23THRUST_200600_302600_NS5tupleIblNS6_9null_typeES8_S8_S8_S8_S8_S8_S8_EEEEZNS1_11reduce_implILb1ES3_NS6_12zip_iteratorINS7_INS6_11hip_rocprim26transform_input_iterator_tIbNSD_35transform_pair_of_input_iterators_tIbNS6_6detail15normal_iteratorINS6_10device_ptrIKxEEEESL_NS6_8equal_toIxEEEENSG_9not_fun_tINSD_8identityEEEEENSD_19counting_iterator_tIlEES8_S8_S8_S8_S8_S8_S8_S8_EEEEPS9_S9_NSD_9__find_if7functorIS9_EEEE10hipError_tPvRmT1_T2_T3_mT4_P12ihipStream_tbEUlT_E1_NS1_11comp_targetILNS1_3genE3ELNS1_11target_archE908ELNS1_3gpuE7ELNS1_3repE0EEENS1_30default_config_static_selectorELNS0_4arch9wavefront6targetE1EEEvS14_
                                        ; -- End function
	.section	.AMDGPU.csdata,"",@progbits
; Kernel info:
; codeLenInByte = 0
; NumSgprs: 6
; NumVgprs: 0
; NumAgprs: 0
; TotalNumVgprs: 0
; ScratchSize: 0
; MemoryBound: 0
; FloatMode: 240
; IeeeMode: 1
; LDSByteSize: 0 bytes/workgroup (compile time only)
; SGPRBlocks: 0
; VGPRBlocks: 0
; NumSGPRsForWavesPerEU: 6
; NumVGPRsForWavesPerEU: 1
; AccumOffset: 4
; Occupancy: 8
; WaveLimiterHint : 0
; COMPUTE_PGM_RSRC2:SCRATCH_EN: 0
; COMPUTE_PGM_RSRC2:USER_SGPR: 2
; COMPUTE_PGM_RSRC2:TRAP_HANDLER: 0
; COMPUTE_PGM_RSRC2:TGID_X_EN: 1
; COMPUTE_PGM_RSRC2:TGID_Y_EN: 0
; COMPUTE_PGM_RSRC2:TGID_Z_EN: 0
; COMPUTE_PGM_RSRC2:TIDIG_COMP_CNT: 0
; COMPUTE_PGM_RSRC3_GFX90A:ACCUM_OFFSET: 0
; COMPUTE_PGM_RSRC3_GFX90A:TG_SPLIT: 0
	.section	.text._ZN7rocprim17ROCPRIM_400000_NS6detail17trampoline_kernelINS0_14default_configENS1_22reduce_config_selectorIN6thrust23THRUST_200600_302600_NS5tupleIblNS6_9null_typeES8_S8_S8_S8_S8_S8_S8_EEEEZNS1_11reduce_implILb1ES3_NS6_12zip_iteratorINS7_INS6_11hip_rocprim26transform_input_iterator_tIbNSD_35transform_pair_of_input_iterators_tIbNS6_6detail15normal_iteratorINS6_10device_ptrIKxEEEESL_NS6_8equal_toIxEEEENSG_9not_fun_tINSD_8identityEEEEENSD_19counting_iterator_tIlEES8_S8_S8_S8_S8_S8_S8_S8_EEEEPS9_S9_NSD_9__find_if7functorIS9_EEEE10hipError_tPvRmT1_T2_T3_mT4_P12ihipStream_tbEUlT_E1_NS1_11comp_targetILNS1_3genE2ELNS1_11target_archE906ELNS1_3gpuE6ELNS1_3repE0EEENS1_30default_config_static_selectorELNS0_4arch9wavefront6targetE1EEEvS14_,"axG",@progbits,_ZN7rocprim17ROCPRIM_400000_NS6detail17trampoline_kernelINS0_14default_configENS1_22reduce_config_selectorIN6thrust23THRUST_200600_302600_NS5tupleIblNS6_9null_typeES8_S8_S8_S8_S8_S8_S8_EEEEZNS1_11reduce_implILb1ES3_NS6_12zip_iteratorINS7_INS6_11hip_rocprim26transform_input_iterator_tIbNSD_35transform_pair_of_input_iterators_tIbNS6_6detail15normal_iteratorINS6_10device_ptrIKxEEEESL_NS6_8equal_toIxEEEENSG_9not_fun_tINSD_8identityEEEEENSD_19counting_iterator_tIlEES8_S8_S8_S8_S8_S8_S8_S8_EEEEPS9_S9_NSD_9__find_if7functorIS9_EEEE10hipError_tPvRmT1_T2_T3_mT4_P12ihipStream_tbEUlT_E1_NS1_11comp_targetILNS1_3genE2ELNS1_11target_archE906ELNS1_3gpuE6ELNS1_3repE0EEENS1_30default_config_static_selectorELNS0_4arch9wavefront6targetE1EEEvS14_,comdat
	.protected	_ZN7rocprim17ROCPRIM_400000_NS6detail17trampoline_kernelINS0_14default_configENS1_22reduce_config_selectorIN6thrust23THRUST_200600_302600_NS5tupleIblNS6_9null_typeES8_S8_S8_S8_S8_S8_S8_EEEEZNS1_11reduce_implILb1ES3_NS6_12zip_iteratorINS7_INS6_11hip_rocprim26transform_input_iterator_tIbNSD_35transform_pair_of_input_iterators_tIbNS6_6detail15normal_iteratorINS6_10device_ptrIKxEEEESL_NS6_8equal_toIxEEEENSG_9not_fun_tINSD_8identityEEEEENSD_19counting_iterator_tIlEES8_S8_S8_S8_S8_S8_S8_S8_EEEEPS9_S9_NSD_9__find_if7functorIS9_EEEE10hipError_tPvRmT1_T2_T3_mT4_P12ihipStream_tbEUlT_E1_NS1_11comp_targetILNS1_3genE2ELNS1_11target_archE906ELNS1_3gpuE6ELNS1_3repE0EEENS1_30default_config_static_selectorELNS0_4arch9wavefront6targetE1EEEvS14_ ; -- Begin function _ZN7rocprim17ROCPRIM_400000_NS6detail17trampoline_kernelINS0_14default_configENS1_22reduce_config_selectorIN6thrust23THRUST_200600_302600_NS5tupleIblNS6_9null_typeES8_S8_S8_S8_S8_S8_S8_EEEEZNS1_11reduce_implILb1ES3_NS6_12zip_iteratorINS7_INS6_11hip_rocprim26transform_input_iterator_tIbNSD_35transform_pair_of_input_iterators_tIbNS6_6detail15normal_iteratorINS6_10device_ptrIKxEEEESL_NS6_8equal_toIxEEEENSG_9not_fun_tINSD_8identityEEEEENSD_19counting_iterator_tIlEES8_S8_S8_S8_S8_S8_S8_S8_EEEEPS9_S9_NSD_9__find_if7functorIS9_EEEE10hipError_tPvRmT1_T2_T3_mT4_P12ihipStream_tbEUlT_E1_NS1_11comp_targetILNS1_3genE2ELNS1_11target_archE906ELNS1_3gpuE6ELNS1_3repE0EEENS1_30default_config_static_selectorELNS0_4arch9wavefront6targetE1EEEvS14_
	.globl	_ZN7rocprim17ROCPRIM_400000_NS6detail17trampoline_kernelINS0_14default_configENS1_22reduce_config_selectorIN6thrust23THRUST_200600_302600_NS5tupleIblNS6_9null_typeES8_S8_S8_S8_S8_S8_S8_EEEEZNS1_11reduce_implILb1ES3_NS6_12zip_iteratorINS7_INS6_11hip_rocprim26transform_input_iterator_tIbNSD_35transform_pair_of_input_iterators_tIbNS6_6detail15normal_iteratorINS6_10device_ptrIKxEEEESL_NS6_8equal_toIxEEEENSG_9not_fun_tINSD_8identityEEEEENSD_19counting_iterator_tIlEES8_S8_S8_S8_S8_S8_S8_S8_EEEEPS9_S9_NSD_9__find_if7functorIS9_EEEE10hipError_tPvRmT1_T2_T3_mT4_P12ihipStream_tbEUlT_E1_NS1_11comp_targetILNS1_3genE2ELNS1_11target_archE906ELNS1_3gpuE6ELNS1_3repE0EEENS1_30default_config_static_selectorELNS0_4arch9wavefront6targetE1EEEvS14_
	.p2align	8
	.type	_ZN7rocprim17ROCPRIM_400000_NS6detail17trampoline_kernelINS0_14default_configENS1_22reduce_config_selectorIN6thrust23THRUST_200600_302600_NS5tupleIblNS6_9null_typeES8_S8_S8_S8_S8_S8_S8_EEEEZNS1_11reduce_implILb1ES3_NS6_12zip_iteratorINS7_INS6_11hip_rocprim26transform_input_iterator_tIbNSD_35transform_pair_of_input_iterators_tIbNS6_6detail15normal_iteratorINS6_10device_ptrIKxEEEESL_NS6_8equal_toIxEEEENSG_9not_fun_tINSD_8identityEEEEENSD_19counting_iterator_tIlEES8_S8_S8_S8_S8_S8_S8_S8_EEEEPS9_S9_NSD_9__find_if7functorIS9_EEEE10hipError_tPvRmT1_T2_T3_mT4_P12ihipStream_tbEUlT_E1_NS1_11comp_targetILNS1_3genE2ELNS1_11target_archE906ELNS1_3gpuE6ELNS1_3repE0EEENS1_30default_config_static_selectorELNS0_4arch9wavefront6targetE1EEEvS14_,@function
_ZN7rocprim17ROCPRIM_400000_NS6detail17trampoline_kernelINS0_14default_configENS1_22reduce_config_selectorIN6thrust23THRUST_200600_302600_NS5tupleIblNS6_9null_typeES8_S8_S8_S8_S8_S8_S8_EEEEZNS1_11reduce_implILb1ES3_NS6_12zip_iteratorINS7_INS6_11hip_rocprim26transform_input_iterator_tIbNSD_35transform_pair_of_input_iterators_tIbNS6_6detail15normal_iteratorINS6_10device_ptrIKxEEEESL_NS6_8equal_toIxEEEENSG_9not_fun_tINSD_8identityEEEEENSD_19counting_iterator_tIlEES8_S8_S8_S8_S8_S8_S8_S8_EEEEPS9_S9_NSD_9__find_if7functorIS9_EEEE10hipError_tPvRmT1_T2_T3_mT4_P12ihipStream_tbEUlT_E1_NS1_11comp_targetILNS1_3genE2ELNS1_11target_archE906ELNS1_3gpuE6ELNS1_3repE0EEENS1_30default_config_static_selectorELNS0_4arch9wavefront6targetE1EEEvS14_: ; @_ZN7rocprim17ROCPRIM_400000_NS6detail17trampoline_kernelINS0_14default_configENS1_22reduce_config_selectorIN6thrust23THRUST_200600_302600_NS5tupleIblNS6_9null_typeES8_S8_S8_S8_S8_S8_S8_EEEEZNS1_11reduce_implILb1ES3_NS6_12zip_iteratorINS7_INS6_11hip_rocprim26transform_input_iterator_tIbNSD_35transform_pair_of_input_iterators_tIbNS6_6detail15normal_iteratorINS6_10device_ptrIKxEEEESL_NS6_8equal_toIxEEEENSG_9not_fun_tINSD_8identityEEEEENSD_19counting_iterator_tIlEES8_S8_S8_S8_S8_S8_S8_S8_EEEEPS9_S9_NSD_9__find_if7functorIS9_EEEE10hipError_tPvRmT1_T2_T3_mT4_P12ihipStream_tbEUlT_E1_NS1_11comp_targetILNS1_3genE2ELNS1_11target_archE906ELNS1_3gpuE6ELNS1_3repE0EEENS1_30default_config_static_selectorELNS0_4arch9wavefront6targetE1EEEvS14_
; %bb.0:
	.section	.rodata,"a",@progbits
	.p2align	6, 0x0
	.amdhsa_kernel _ZN7rocprim17ROCPRIM_400000_NS6detail17trampoline_kernelINS0_14default_configENS1_22reduce_config_selectorIN6thrust23THRUST_200600_302600_NS5tupleIblNS6_9null_typeES8_S8_S8_S8_S8_S8_S8_EEEEZNS1_11reduce_implILb1ES3_NS6_12zip_iteratorINS7_INS6_11hip_rocprim26transform_input_iterator_tIbNSD_35transform_pair_of_input_iterators_tIbNS6_6detail15normal_iteratorINS6_10device_ptrIKxEEEESL_NS6_8equal_toIxEEEENSG_9not_fun_tINSD_8identityEEEEENSD_19counting_iterator_tIlEES8_S8_S8_S8_S8_S8_S8_S8_EEEEPS9_S9_NSD_9__find_if7functorIS9_EEEE10hipError_tPvRmT1_T2_T3_mT4_P12ihipStream_tbEUlT_E1_NS1_11comp_targetILNS1_3genE2ELNS1_11target_archE906ELNS1_3gpuE6ELNS1_3repE0EEENS1_30default_config_static_selectorELNS0_4arch9wavefront6targetE1EEEvS14_
		.amdhsa_group_segment_fixed_size 0
		.amdhsa_private_segment_fixed_size 0
		.amdhsa_kernarg_size 88
		.amdhsa_user_sgpr_count 2
		.amdhsa_user_sgpr_dispatch_ptr 0
		.amdhsa_user_sgpr_queue_ptr 0
		.amdhsa_user_sgpr_kernarg_segment_ptr 1
		.amdhsa_user_sgpr_dispatch_id 0
		.amdhsa_user_sgpr_kernarg_preload_length 0
		.amdhsa_user_sgpr_kernarg_preload_offset 0
		.amdhsa_user_sgpr_private_segment_size 0
		.amdhsa_uses_dynamic_stack 0
		.amdhsa_enable_private_segment 0
		.amdhsa_system_sgpr_workgroup_id_x 1
		.amdhsa_system_sgpr_workgroup_id_y 0
		.amdhsa_system_sgpr_workgroup_id_z 0
		.amdhsa_system_sgpr_workgroup_info 0
		.amdhsa_system_vgpr_workitem_id 0
		.amdhsa_next_free_vgpr 1
		.amdhsa_next_free_sgpr 0
		.amdhsa_accum_offset 4
		.amdhsa_reserve_vcc 0
		.amdhsa_float_round_mode_32 0
		.amdhsa_float_round_mode_16_64 0
		.amdhsa_float_denorm_mode_32 3
		.amdhsa_float_denorm_mode_16_64 3
		.amdhsa_dx10_clamp 1
		.amdhsa_ieee_mode 1
		.amdhsa_fp16_overflow 0
		.amdhsa_tg_split 0
		.amdhsa_exception_fp_ieee_invalid_op 0
		.amdhsa_exception_fp_denorm_src 0
		.amdhsa_exception_fp_ieee_div_zero 0
		.amdhsa_exception_fp_ieee_overflow 0
		.amdhsa_exception_fp_ieee_underflow 0
		.amdhsa_exception_fp_ieee_inexact 0
		.amdhsa_exception_int_div_zero 0
	.end_amdhsa_kernel
	.section	.text._ZN7rocprim17ROCPRIM_400000_NS6detail17trampoline_kernelINS0_14default_configENS1_22reduce_config_selectorIN6thrust23THRUST_200600_302600_NS5tupleIblNS6_9null_typeES8_S8_S8_S8_S8_S8_S8_EEEEZNS1_11reduce_implILb1ES3_NS6_12zip_iteratorINS7_INS6_11hip_rocprim26transform_input_iterator_tIbNSD_35transform_pair_of_input_iterators_tIbNS6_6detail15normal_iteratorINS6_10device_ptrIKxEEEESL_NS6_8equal_toIxEEEENSG_9not_fun_tINSD_8identityEEEEENSD_19counting_iterator_tIlEES8_S8_S8_S8_S8_S8_S8_S8_EEEEPS9_S9_NSD_9__find_if7functorIS9_EEEE10hipError_tPvRmT1_T2_T3_mT4_P12ihipStream_tbEUlT_E1_NS1_11comp_targetILNS1_3genE2ELNS1_11target_archE906ELNS1_3gpuE6ELNS1_3repE0EEENS1_30default_config_static_selectorELNS0_4arch9wavefront6targetE1EEEvS14_,"axG",@progbits,_ZN7rocprim17ROCPRIM_400000_NS6detail17trampoline_kernelINS0_14default_configENS1_22reduce_config_selectorIN6thrust23THRUST_200600_302600_NS5tupleIblNS6_9null_typeES8_S8_S8_S8_S8_S8_S8_EEEEZNS1_11reduce_implILb1ES3_NS6_12zip_iteratorINS7_INS6_11hip_rocprim26transform_input_iterator_tIbNSD_35transform_pair_of_input_iterators_tIbNS6_6detail15normal_iteratorINS6_10device_ptrIKxEEEESL_NS6_8equal_toIxEEEENSG_9not_fun_tINSD_8identityEEEEENSD_19counting_iterator_tIlEES8_S8_S8_S8_S8_S8_S8_S8_EEEEPS9_S9_NSD_9__find_if7functorIS9_EEEE10hipError_tPvRmT1_T2_T3_mT4_P12ihipStream_tbEUlT_E1_NS1_11comp_targetILNS1_3genE2ELNS1_11target_archE906ELNS1_3gpuE6ELNS1_3repE0EEENS1_30default_config_static_selectorELNS0_4arch9wavefront6targetE1EEEvS14_,comdat
.Lfunc_end79:
	.size	_ZN7rocprim17ROCPRIM_400000_NS6detail17trampoline_kernelINS0_14default_configENS1_22reduce_config_selectorIN6thrust23THRUST_200600_302600_NS5tupleIblNS6_9null_typeES8_S8_S8_S8_S8_S8_S8_EEEEZNS1_11reduce_implILb1ES3_NS6_12zip_iteratorINS7_INS6_11hip_rocprim26transform_input_iterator_tIbNSD_35transform_pair_of_input_iterators_tIbNS6_6detail15normal_iteratorINS6_10device_ptrIKxEEEESL_NS6_8equal_toIxEEEENSG_9not_fun_tINSD_8identityEEEEENSD_19counting_iterator_tIlEES8_S8_S8_S8_S8_S8_S8_S8_EEEEPS9_S9_NSD_9__find_if7functorIS9_EEEE10hipError_tPvRmT1_T2_T3_mT4_P12ihipStream_tbEUlT_E1_NS1_11comp_targetILNS1_3genE2ELNS1_11target_archE906ELNS1_3gpuE6ELNS1_3repE0EEENS1_30default_config_static_selectorELNS0_4arch9wavefront6targetE1EEEvS14_, .Lfunc_end79-_ZN7rocprim17ROCPRIM_400000_NS6detail17trampoline_kernelINS0_14default_configENS1_22reduce_config_selectorIN6thrust23THRUST_200600_302600_NS5tupleIblNS6_9null_typeES8_S8_S8_S8_S8_S8_S8_EEEEZNS1_11reduce_implILb1ES3_NS6_12zip_iteratorINS7_INS6_11hip_rocprim26transform_input_iterator_tIbNSD_35transform_pair_of_input_iterators_tIbNS6_6detail15normal_iteratorINS6_10device_ptrIKxEEEESL_NS6_8equal_toIxEEEENSG_9not_fun_tINSD_8identityEEEEENSD_19counting_iterator_tIlEES8_S8_S8_S8_S8_S8_S8_S8_EEEEPS9_S9_NSD_9__find_if7functorIS9_EEEE10hipError_tPvRmT1_T2_T3_mT4_P12ihipStream_tbEUlT_E1_NS1_11comp_targetILNS1_3genE2ELNS1_11target_archE906ELNS1_3gpuE6ELNS1_3repE0EEENS1_30default_config_static_selectorELNS0_4arch9wavefront6targetE1EEEvS14_
                                        ; -- End function
	.section	.AMDGPU.csdata,"",@progbits
; Kernel info:
; codeLenInByte = 0
; NumSgprs: 6
; NumVgprs: 0
; NumAgprs: 0
; TotalNumVgprs: 0
; ScratchSize: 0
; MemoryBound: 0
; FloatMode: 240
; IeeeMode: 1
; LDSByteSize: 0 bytes/workgroup (compile time only)
; SGPRBlocks: 0
; VGPRBlocks: 0
; NumSGPRsForWavesPerEU: 6
; NumVGPRsForWavesPerEU: 1
; AccumOffset: 4
; Occupancy: 8
; WaveLimiterHint : 0
; COMPUTE_PGM_RSRC2:SCRATCH_EN: 0
; COMPUTE_PGM_RSRC2:USER_SGPR: 2
; COMPUTE_PGM_RSRC2:TRAP_HANDLER: 0
; COMPUTE_PGM_RSRC2:TGID_X_EN: 1
; COMPUTE_PGM_RSRC2:TGID_Y_EN: 0
; COMPUTE_PGM_RSRC2:TGID_Z_EN: 0
; COMPUTE_PGM_RSRC2:TIDIG_COMP_CNT: 0
; COMPUTE_PGM_RSRC3_GFX90A:ACCUM_OFFSET: 0
; COMPUTE_PGM_RSRC3_GFX90A:TG_SPLIT: 0
	.section	.text._ZN7rocprim17ROCPRIM_400000_NS6detail17trampoline_kernelINS0_14default_configENS1_22reduce_config_selectorIN6thrust23THRUST_200600_302600_NS5tupleIblNS6_9null_typeES8_S8_S8_S8_S8_S8_S8_EEEEZNS1_11reduce_implILb1ES3_NS6_12zip_iteratorINS7_INS6_11hip_rocprim26transform_input_iterator_tIbNSD_35transform_pair_of_input_iterators_tIbNS6_6detail15normal_iteratorINS6_10device_ptrIKxEEEESL_NS6_8equal_toIxEEEENSG_9not_fun_tINSD_8identityEEEEENSD_19counting_iterator_tIlEES8_S8_S8_S8_S8_S8_S8_S8_EEEEPS9_S9_NSD_9__find_if7functorIS9_EEEE10hipError_tPvRmT1_T2_T3_mT4_P12ihipStream_tbEUlT_E1_NS1_11comp_targetILNS1_3genE10ELNS1_11target_archE1201ELNS1_3gpuE5ELNS1_3repE0EEENS1_30default_config_static_selectorELNS0_4arch9wavefront6targetE1EEEvS14_,"axG",@progbits,_ZN7rocprim17ROCPRIM_400000_NS6detail17trampoline_kernelINS0_14default_configENS1_22reduce_config_selectorIN6thrust23THRUST_200600_302600_NS5tupleIblNS6_9null_typeES8_S8_S8_S8_S8_S8_S8_EEEEZNS1_11reduce_implILb1ES3_NS6_12zip_iteratorINS7_INS6_11hip_rocprim26transform_input_iterator_tIbNSD_35transform_pair_of_input_iterators_tIbNS6_6detail15normal_iteratorINS6_10device_ptrIKxEEEESL_NS6_8equal_toIxEEEENSG_9not_fun_tINSD_8identityEEEEENSD_19counting_iterator_tIlEES8_S8_S8_S8_S8_S8_S8_S8_EEEEPS9_S9_NSD_9__find_if7functorIS9_EEEE10hipError_tPvRmT1_T2_T3_mT4_P12ihipStream_tbEUlT_E1_NS1_11comp_targetILNS1_3genE10ELNS1_11target_archE1201ELNS1_3gpuE5ELNS1_3repE0EEENS1_30default_config_static_selectorELNS0_4arch9wavefront6targetE1EEEvS14_,comdat
	.protected	_ZN7rocprim17ROCPRIM_400000_NS6detail17trampoline_kernelINS0_14default_configENS1_22reduce_config_selectorIN6thrust23THRUST_200600_302600_NS5tupleIblNS6_9null_typeES8_S8_S8_S8_S8_S8_S8_EEEEZNS1_11reduce_implILb1ES3_NS6_12zip_iteratorINS7_INS6_11hip_rocprim26transform_input_iterator_tIbNSD_35transform_pair_of_input_iterators_tIbNS6_6detail15normal_iteratorINS6_10device_ptrIKxEEEESL_NS6_8equal_toIxEEEENSG_9not_fun_tINSD_8identityEEEEENSD_19counting_iterator_tIlEES8_S8_S8_S8_S8_S8_S8_S8_EEEEPS9_S9_NSD_9__find_if7functorIS9_EEEE10hipError_tPvRmT1_T2_T3_mT4_P12ihipStream_tbEUlT_E1_NS1_11comp_targetILNS1_3genE10ELNS1_11target_archE1201ELNS1_3gpuE5ELNS1_3repE0EEENS1_30default_config_static_selectorELNS0_4arch9wavefront6targetE1EEEvS14_ ; -- Begin function _ZN7rocprim17ROCPRIM_400000_NS6detail17trampoline_kernelINS0_14default_configENS1_22reduce_config_selectorIN6thrust23THRUST_200600_302600_NS5tupleIblNS6_9null_typeES8_S8_S8_S8_S8_S8_S8_EEEEZNS1_11reduce_implILb1ES3_NS6_12zip_iteratorINS7_INS6_11hip_rocprim26transform_input_iterator_tIbNSD_35transform_pair_of_input_iterators_tIbNS6_6detail15normal_iteratorINS6_10device_ptrIKxEEEESL_NS6_8equal_toIxEEEENSG_9not_fun_tINSD_8identityEEEEENSD_19counting_iterator_tIlEES8_S8_S8_S8_S8_S8_S8_S8_EEEEPS9_S9_NSD_9__find_if7functorIS9_EEEE10hipError_tPvRmT1_T2_T3_mT4_P12ihipStream_tbEUlT_E1_NS1_11comp_targetILNS1_3genE10ELNS1_11target_archE1201ELNS1_3gpuE5ELNS1_3repE0EEENS1_30default_config_static_selectorELNS0_4arch9wavefront6targetE1EEEvS14_
	.globl	_ZN7rocprim17ROCPRIM_400000_NS6detail17trampoline_kernelINS0_14default_configENS1_22reduce_config_selectorIN6thrust23THRUST_200600_302600_NS5tupleIblNS6_9null_typeES8_S8_S8_S8_S8_S8_S8_EEEEZNS1_11reduce_implILb1ES3_NS6_12zip_iteratorINS7_INS6_11hip_rocprim26transform_input_iterator_tIbNSD_35transform_pair_of_input_iterators_tIbNS6_6detail15normal_iteratorINS6_10device_ptrIKxEEEESL_NS6_8equal_toIxEEEENSG_9not_fun_tINSD_8identityEEEEENSD_19counting_iterator_tIlEES8_S8_S8_S8_S8_S8_S8_S8_EEEEPS9_S9_NSD_9__find_if7functorIS9_EEEE10hipError_tPvRmT1_T2_T3_mT4_P12ihipStream_tbEUlT_E1_NS1_11comp_targetILNS1_3genE10ELNS1_11target_archE1201ELNS1_3gpuE5ELNS1_3repE0EEENS1_30default_config_static_selectorELNS0_4arch9wavefront6targetE1EEEvS14_
	.p2align	8
	.type	_ZN7rocprim17ROCPRIM_400000_NS6detail17trampoline_kernelINS0_14default_configENS1_22reduce_config_selectorIN6thrust23THRUST_200600_302600_NS5tupleIblNS6_9null_typeES8_S8_S8_S8_S8_S8_S8_EEEEZNS1_11reduce_implILb1ES3_NS6_12zip_iteratorINS7_INS6_11hip_rocprim26transform_input_iterator_tIbNSD_35transform_pair_of_input_iterators_tIbNS6_6detail15normal_iteratorINS6_10device_ptrIKxEEEESL_NS6_8equal_toIxEEEENSG_9not_fun_tINSD_8identityEEEEENSD_19counting_iterator_tIlEES8_S8_S8_S8_S8_S8_S8_S8_EEEEPS9_S9_NSD_9__find_if7functorIS9_EEEE10hipError_tPvRmT1_T2_T3_mT4_P12ihipStream_tbEUlT_E1_NS1_11comp_targetILNS1_3genE10ELNS1_11target_archE1201ELNS1_3gpuE5ELNS1_3repE0EEENS1_30default_config_static_selectorELNS0_4arch9wavefront6targetE1EEEvS14_,@function
_ZN7rocprim17ROCPRIM_400000_NS6detail17trampoline_kernelINS0_14default_configENS1_22reduce_config_selectorIN6thrust23THRUST_200600_302600_NS5tupleIblNS6_9null_typeES8_S8_S8_S8_S8_S8_S8_EEEEZNS1_11reduce_implILb1ES3_NS6_12zip_iteratorINS7_INS6_11hip_rocprim26transform_input_iterator_tIbNSD_35transform_pair_of_input_iterators_tIbNS6_6detail15normal_iteratorINS6_10device_ptrIKxEEEESL_NS6_8equal_toIxEEEENSG_9not_fun_tINSD_8identityEEEEENSD_19counting_iterator_tIlEES8_S8_S8_S8_S8_S8_S8_S8_EEEEPS9_S9_NSD_9__find_if7functorIS9_EEEE10hipError_tPvRmT1_T2_T3_mT4_P12ihipStream_tbEUlT_E1_NS1_11comp_targetILNS1_3genE10ELNS1_11target_archE1201ELNS1_3gpuE5ELNS1_3repE0EEENS1_30default_config_static_selectorELNS0_4arch9wavefront6targetE1EEEvS14_: ; @_ZN7rocprim17ROCPRIM_400000_NS6detail17trampoline_kernelINS0_14default_configENS1_22reduce_config_selectorIN6thrust23THRUST_200600_302600_NS5tupleIblNS6_9null_typeES8_S8_S8_S8_S8_S8_S8_EEEEZNS1_11reduce_implILb1ES3_NS6_12zip_iteratorINS7_INS6_11hip_rocprim26transform_input_iterator_tIbNSD_35transform_pair_of_input_iterators_tIbNS6_6detail15normal_iteratorINS6_10device_ptrIKxEEEESL_NS6_8equal_toIxEEEENSG_9not_fun_tINSD_8identityEEEEENSD_19counting_iterator_tIlEES8_S8_S8_S8_S8_S8_S8_S8_EEEEPS9_S9_NSD_9__find_if7functorIS9_EEEE10hipError_tPvRmT1_T2_T3_mT4_P12ihipStream_tbEUlT_E1_NS1_11comp_targetILNS1_3genE10ELNS1_11target_archE1201ELNS1_3gpuE5ELNS1_3repE0EEENS1_30default_config_static_selectorELNS0_4arch9wavefront6targetE1EEEvS14_
; %bb.0:
	.section	.rodata,"a",@progbits
	.p2align	6, 0x0
	.amdhsa_kernel _ZN7rocprim17ROCPRIM_400000_NS6detail17trampoline_kernelINS0_14default_configENS1_22reduce_config_selectorIN6thrust23THRUST_200600_302600_NS5tupleIblNS6_9null_typeES8_S8_S8_S8_S8_S8_S8_EEEEZNS1_11reduce_implILb1ES3_NS6_12zip_iteratorINS7_INS6_11hip_rocprim26transform_input_iterator_tIbNSD_35transform_pair_of_input_iterators_tIbNS6_6detail15normal_iteratorINS6_10device_ptrIKxEEEESL_NS6_8equal_toIxEEEENSG_9not_fun_tINSD_8identityEEEEENSD_19counting_iterator_tIlEES8_S8_S8_S8_S8_S8_S8_S8_EEEEPS9_S9_NSD_9__find_if7functorIS9_EEEE10hipError_tPvRmT1_T2_T3_mT4_P12ihipStream_tbEUlT_E1_NS1_11comp_targetILNS1_3genE10ELNS1_11target_archE1201ELNS1_3gpuE5ELNS1_3repE0EEENS1_30default_config_static_selectorELNS0_4arch9wavefront6targetE1EEEvS14_
		.amdhsa_group_segment_fixed_size 0
		.amdhsa_private_segment_fixed_size 0
		.amdhsa_kernarg_size 88
		.amdhsa_user_sgpr_count 2
		.amdhsa_user_sgpr_dispatch_ptr 0
		.amdhsa_user_sgpr_queue_ptr 0
		.amdhsa_user_sgpr_kernarg_segment_ptr 1
		.amdhsa_user_sgpr_dispatch_id 0
		.amdhsa_user_sgpr_kernarg_preload_length 0
		.amdhsa_user_sgpr_kernarg_preload_offset 0
		.amdhsa_user_sgpr_private_segment_size 0
		.amdhsa_uses_dynamic_stack 0
		.amdhsa_enable_private_segment 0
		.amdhsa_system_sgpr_workgroup_id_x 1
		.amdhsa_system_sgpr_workgroup_id_y 0
		.amdhsa_system_sgpr_workgroup_id_z 0
		.amdhsa_system_sgpr_workgroup_info 0
		.amdhsa_system_vgpr_workitem_id 0
		.amdhsa_next_free_vgpr 1
		.amdhsa_next_free_sgpr 0
		.amdhsa_accum_offset 4
		.amdhsa_reserve_vcc 0
		.amdhsa_float_round_mode_32 0
		.amdhsa_float_round_mode_16_64 0
		.amdhsa_float_denorm_mode_32 3
		.amdhsa_float_denorm_mode_16_64 3
		.amdhsa_dx10_clamp 1
		.amdhsa_ieee_mode 1
		.amdhsa_fp16_overflow 0
		.amdhsa_tg_split 0
		.amdhsa_exception_fp_ieee_invalid_op 0
		.amdhsa_exception_fp_denorm_src 0
		.amdhsa_exception_fp_ieee_div_zero 0
		.amdhsa_exception_fp_ieee_overflow 0
		.amdhsa_exception_fp_ieee_underflow 0
		.amdhsa_exception_fp_ieee_inexact 0
		.amdhsa_exception_int_div_zero 0
	.end_amdhsa_kernel
	.section	.text._ZN7rocprim17ROCPRIM_400000_NS6detail17trampoline_kernelINS0_14default_configENS1_22reduce_config_selectorIN6thrust23THRUST_200600_302600_NS5tupleIblNS6_9null_typeES8_S8_S8_S8_S8_S8_S8_EEEEZNS1_11reduce_implILb1ES3_NS6_12zip_iteratorINS7_INS6_11hip_rocprim26transform_input_iterator_tIbNSD_35transform_pair_of_input_iterators_tIbNS6_6detail15normal_iteratorINS6_10device_ptrIKxEEEESL_NS6_8equal_toIxEEEENSG_9not_fun_tINSD_8identityEEEEENSD_19counting_iterator_tIlEES8_S8_S8_S8_S8_S8_S8_S8_EEEEPS9_S9_NSD_9__find_if7functorIS9_EEEE10hipError_tPvRmT1_T2_T3_mT4_P12ihipStream_tbEUlT_E1_NS1_11comp_targetILNS1_3genE10ELNS1_11target_archE1201ELNS1_3gpuE5ELNS1_3repE0EEENS1_30default_config_static_selectorELNS0_4arch9wavefront6targetE1EEEvS14_,"axG",@progbits,_ZN7rocprim17ROCPRIM_400000_NS6detail17trampoline_kernelINS0_14default_configENS1_22reduce_config_selectorIN6thrust23THRUST_200600_302600_NS5tupleIblNS6_9null_typeES8_S8_S8_S8_S8_S8_S8_EEEEZNS1_11reduce_implILb1ES3_NS6_12zip_iteratorINS7_INS6_11hip_rocprim26transform_input_iterator_tIbNSD_35transform_pair_of_input_iterators_tIbNS6_6detail15normal_iteratorINS6_10device_ptrIKxEEEESL_NS6_8equal_toIxEEEENSG_9not_fun_tINSD_8identityEEEEENSD_19counting_iterator_tIlEES8_S8_S8_S8_S8_S8_S8_S8_EEEEPS9_S9_NSD_9__find_if7functorIS9_EEEE10hipError_tPvRmT1_T2_T3_mT4_P12ihipStream_tbEUlT_E1_NS1_11comp_targetILNS1_3genE10ELNS1_11target_archE1201ELNS1_3gpuE5ELNS1_3repE0EEENS1_30default_config_static_selectorELNS0_4arch9wavefront6targetE1EEEvS14_,comdat
.Lfunc_end80:
	.size	_ZN7rocprim17ROCPRIM_400000_NS6detail17trampoline_kernelINS0_14default_configENS1_22reduce_config_selectorIN6thrust23THRUST_200600_302600_NS5tupleIblNS6_9null_typeES8_S8_S8_S8_S8_S8_S8_EEEEZNS1_11reduce_implILb1ES3_NS6_12zip_iteratorINS7_INS6_11hip_rocprim26transform_input_iterator_tIbNSD_35transform_pair_of_input_iterators_tIbNS6_6detail15normal_iteratorINS6_10device_ptrIKxEEEESL_NS6_8equal_toIxEEEENSG_9not_fun_tINSD_8identityEEEEENSD_19counting_iterator_tIlEES8_S8_S8_S8_S8_S8_S8_S8_EEEEPS9_S9_NSD_9__find_if7functorIS9_EEEE10hipError_tPvRmT1_T2_T3_mT4_P12ihipStream_tbEUlT_E1_NS1_11comp_targetILNS1_3genE10ELNS1_11target_archE1201ELNS1_3gpuE5ELNS1_3repE0EEENS1_30default_config_static_selectorELNS0_4arch9wavefront6targetE1EEEvS14_, .Lfunc_end80-_ZN7rocprim17ROCPRIM_400000_NS6detail17trampoline_kernelINS0_14default_configENS1_22reduce_config_selectorIN6thrust23THRUST_200600_302600_NS5tupleIblNS6_9null_typeES8_S8_S8_S8_S8_S8_S8_EEEEZNS1_11reduce_implILb1ES3_NS6_12zip_iteratorINS7_INS6_11hip_rocprim26transform_input_iterator_tIbNSD_35transform_pair_of_input_iterators_tIbNS6_6detail15normal_iteratorINS6_10device_ptrIKxEEEESL_NS6_8equal_toIxEEEENSG_9not_fun_tINSD_8identityEEEEENSD_19counting_iterator_tIlEES8_S8_S8_S8_S8_S8_S8_S8_EEEEPS9_S9_NSD_9__find_if7functorIS9_EEEE10hipError_tPvRmT1_T2_T3_mT4_P12ihipStream_tbEUlT_E1_NS1_11comp_targetILNS1_3genE10ELNS1_11target_archE1201ELNS1_3gpuE5ELNS1_3repE0EEENS1_30default_config_static_selectorELNS0_4arch9wavefront6targetE1EEEvS14_
                                        ; -- End function
	.section	.AMDGPU.csdata,"",@progbits
; Kernel info:
; codeLenInByte = 0
; NumSgprs: 6
; NumVgprs: 0
; NumAgprs: 0
; TotalNumVgprs: 0
; ScratchSize: 0
; MemoryBound: 0
; FloatMode: 240
; IeeeMode: 1
; LDSByteSize: 0 bytes/workgroup (compile time only)
; SGPRBlocks: 0
; VGPRBlocks: 0
; NumSGPRsForWavesPerEU: 6
; NumVGPRsForWavesPerEU: 1
; AccumOffset: 4
; Occupancy: 8
; WaveLimiterHint : 0
; COMPUTE_PGM_RSRC2:SCRATCH_EN: 0
; COMPUTE_PGM_RSRC2:USER_SGPR: 2
; COMPUTE_PGM_RSRC2:TRAP_HANDLER: 0
; COMPUTE_PGM_RSRC2:TGID_X_EN: 1
; COMPUTE_PGM_RSRC2:TGID_Y_EN: 0
; COMPUTE_PGM_RSRC2:TGID_Z_EN: 0
; COMPUTE_PGM_RSRC2:TIDIG_COMP_CNT: 0
; COMPUTE_PGM_RSRC3_GFX90A:ACCUM_OFFSET: 0
; COMPUTE_PGM_RSRC3_GFX90A:TG_SPLIT: 0
	.section	.text._ZN7rocprim17ROCPRIM_400000_NS6detail17trampoline_kernelINS0_14default_configENS1_22reduce_config_selectorIN6thrust23THRUST_200600_302600_NS5tupleIblNS6_9null_typeES8_S8_S8_S8_S8_S8_S8_EEEEZNS1_11reduce_implILb1ES3_NS6_12zip_iteratorINS7_INS6_11hip_rocprim26transform_input_iterator_tIbNSD_35transform_pair_of_input_iterators_tIbNS6_6detail15normal_iteratorINS6_10device_ptrIKxEEEESL_NS6_8equal_toIxEEEENSG_9not_fun_tINSD_8identityEEEEENSD_19counting_iterator_tIlEES8_S8_S8_S8_S8_S8_S8_S8_EEEEPS9_S9_NSD_9__find_if7functorIS9_EEEE10hipError_tPvRmT1_T2_T3_mT4_P12ihipStream_tbEUlT_E1_NS1_11comp_targetILNS1_3genE10ELNS1_11target_archE1200ELNS1_3gpuE4ELNS1_3repE0EEENS1_30default_config_static_selectorELNS0_4arch9wavefront6targetE1EEEvS14_,"axG",@progbits,_ZN7rocprim17ROCPRIM_400000_NS6detail17trampoline_kernelINS0_14default_configENS1_22reduce_config_selectorIN6thrust23THRUST_200600_302600_NS5tupleIblNS6_9null_typeES8_S8_S8_S8_S8_S8_S8_EEEEZNS1_11reduce_implILb1ES3_NS6_12zip_iteratorINS7_INS6_11hip_rocprim26transform_input_iterator_tIbNSD_35transform_pair_of_input_iterators_tIbNS6_6detail15normal_iteratorINS6_10device_ptrIKxEEEESL_NS6_8equal_toIxEEEENSG_9not_fun_tINSD_8identityEEEEENSD_19counting_iterator_tIlEES8_S8_S8_S8_S8_S8_S8_S8_EEEEPS9_S9_NSD_9__find_if7functorIS9_EEEE10hipError_tPvRmT1_T2_T3_mT4_P12ihipStream_tbEUlT_E1_NS1_11comp_targetILNS1_3genE10ELNS1_11target_archE1200ELNS1_3gpuE4ELNS1_3repE0EEENS1_30default_config_static_selectorELNS0_4arch9wavefront6targetE1EEEvS14_,comdat
	.protected	_ZN7rocprim17ROCPRIM_400000_NS6detail17trampoline_kernelINS0_14default_configENS1_22reduce_config_selectorIN6thrust23THRUST_200600_302600_NS5tupleIblNS6_9null_typeES8_S8_S8_S8_S8_S8_S8_EEEEZNS1_11reduce_implILb1ES3_NS6_12zip_iteratorINS7_INS6_11hip_rocprim26transform_input_iterator_tIbNSD_35transform_pair_of_input_iterators_tIbNS6_6detail15normal_iteratorINS6_10device_ptrIKxEEEESL_NS6_8equal_toIxEEEENSG_9not_fun_tINSD_8identityEEEEENSD_19counting_iterator_tIlEES8_S8_S8_S8_S8_S8_S8_S8_EEEEPS9_S9_NSD_9__find_if7functorIS9_EEEE10hipError_tPvRmT1_T2_T3_mT4_P12ihipStream_tbEUlT_E1_NS1_11comp_targetILNS1_3genE10ELNS1_11target_archE1200ELNS1_3gpuE4ELNS1_3repE0EEENS1_30default_config_static_selectorELNS0_4arch9wavefront6targetE1EEEvS14_ ; -- Begin function _ZN7rocprim17ROCPRIM_400000_NS6detail17trampoline_kernelINS0_14default_configENS1_22reduce_config_selectorIN6thrust23THRUST_200600_302600_NS5tupleIblNS6_9null_typeES8_S8_S8_S8_S8_S8_S8_EEEEZNS1_11reduce_implILb1ES3_NS6_12zip_iteratorINS7_INS6_11hip_rocprim26transform_input_iterator_tIbNSD_35transform_pair_of_input_iterators_tIbNS6_6detail15normal_iteratorINS6_10device_ptrIKxEEEESL_NS6_8equal_toIxEEEENSG_9not_fun_tINSD_8identityEEEEENSD_19counting_iterator_tIlEES8_S8_S8_S8_S8_S8_S8_S8_EEEEPS9_S9_NSD_9__find_if7functorIS9_EEEE10hipError_tPvRmT1_T2_T3_mT4_P12ihipStream_tbEUlT_E1_NS1_11comp_targetILNS1_3genE10ELNS1_11target_archE1200ELNS1_3gpuE4ELNS1_3repE0EEENS1_30default_config_static_selectorELNS0_4arch9wavefront6targetE1EEEvS14_
	.globl	_ZN7rocprim17ROCPRIM_400000_NS6detail17trampoline_kernelINS0_14default_configENS1_22reduce_config_selectorIN6thrust23THRUST_200600_302600_NS5tupleIblNS6_9null_typeES8_S8_S8_S8_S8_S8_S8_EEEEZNS1_11reduce_implILb1ES3_NS6_12zip_iteratorINS7_INS6_11hip_rocprim26transform_input_iterator_tIbNSD_35transform_pair_of_input_iterators_tIbNS6_6detail15normal_iteratorINS6_10device_ptrIKxEEEESL_NS6_8equal_toIxEEEENSG_9not_fun_tINSD_8identityEEEEENSD_19counting_iterator_tIlEES8_S8_S8_S8_S8_S8_S8_S8_EEEEPS9_S9_NSD_9__find_if7functorIS9_EEEE10hipError_tPvRmT1_T2_T3_mT4_P12ihipStream_tbEUlT_E1_NS1_11comp_targetILNS1_3genE10ELNS1_11target_archE1200ELNS1_3gpuE4ELNS1_3repE0EEENS1_30default_config_static_selectorELNS0_4arch9wavefront6targetE1EEEvS14_
	.p2align	8
	.type	_ZN7rocprim17ROCPRIM_400000_NS6detail17trampoline_kernelINS0_14default_configENS1_22reduce_config_selectorIN6thrust23THRUST_200600_302600_NS5tupleIblNS6_9null_typeES8_S8_S8_S8_S8_S8_S8_EEEEZNS1_11reduce_implILb1ES3_NS6_12zip_iteratorINS7_INS6_11hip_rocprim26transform_input_iterator_tIbNSD_35transform_pair_of_input_iterators_tIbNS6_6detail15normal_iteratorINS6_10device_ptrIKxEEEESL_NS6_8equal_toIxEEEENSG_9not_fun_tINSD_8identityEEEEENSD_19counting_iterator_tIlEES8_S8_S8_S8_S8_S8_S8_S8_EEEEPS9_S9_NSD_9__find_if7functorIS9_EEEE10hipError_tPvRmT1_T2_T3_mT4_P12ihipStream_tbEUlT_E1_NS1_11comp_targetILNS1_3genE10ELNS1_11target_archE1200ELNS1_3gpuE4ELNS1_3repE0EEENS1_30default_config_static_selectorELNS0_4arch9wavefront6targetE1EEEvS14_,@function
_ZN7rocprim17ROCPRIM_400000_NS6detail17trampoline_kernelINS0_14default_configENS1_22reduce_config_selectorIN6thrust23THRUST_200600_302600_NS5tupleIblNS6_9null_typeES8_S8_S8_S8_S8_S8_S8_EEEEZNS1_11reduce_implILb1ES3_NS6_12zip_iteratorINS7_INS6_11hip_rocprim26transform_input_iterator_tIbNSD_35transform_pair_of_input_iterators_tIbNS6_6detail15normal_iteratorINS6_10device_ptrIKxEEEESL_NS6_8equal_toIxEEEENSG_9not_fun_tINSD_8identityEEEEENSD_19counting_iterator_tIlEES8_S8_S8_S8_S8_S8_S8_S8_EEEEPS9_S9_NSD_9__find_if7functorIS9_EEEE10hipError_tPvRmT1_T2_T3_mT4_P12ihipStream_tbEUlT_E1_NS1_11comp_targetILNS1_3genE10ELNS1_11target_archE1200ELNS1_3gpuE4ELNS1_3repE0EEENS1_30default_config_static_selectorELNS0_4arch9wavefront6targetE1EEEvS14_: ; @_ZN7rocprim17ROCPRIM_400000_NS6detail17trampoline_kernelINS0_14default_configENS1_22reduce_config_selectorIN6thrust23THRUST_200600_302600_NS5tupleIblNS6_9null_typeES8_S8_S8_S8_S8_S8_S8_EEEEZNS1_11reduce_implILb1ES3_NS6_12zip_iteratorINS7_INS6_11hip_rocprim26transform_input_iterator_tIbNSD_35transform_pair_of_input_iterators_tIbNS6_6detail15normal_iteratorINS6_10device_ptrIKxEEEESL_NS6_8equal_toIxEEEENSG_9not_fun_tINSD_8identityEEEEENSD_19counting_iterator_tIlEES8_S8_S8_S8_S8_S8_S8_S8_EEEEPS9_S9_NSD_9__find_if7functorIS9_EEEE10hipError_tPvRmT1_T2_T3_mT4_P12ihipStream_tbEUlT_E1_NS1_11comp_targetILNS1_3genE10ELNS1_11target_archE1200ELNS1_3gpuE4ELNS1_3repE0EEENS1_30default_config_static_selectorELNS0_4arch9wavefront6targetE1EEEvS14_
; %bb.0:
	.section	.rodata,"a",@progbits
	.p2align	6, 0x0
	.amdhsa_kernel _ZN7rocprim17ROCPRIM_400000_NS6detail17trampoline_kernelINS0_14default_configENS1_22reduce_config_selectorIN6thrust23THRUST_200600_302600_NS5tupleIblNS6_9null_typeES8_S8_S8_S8_S8_S8_S8_EEEEZNS1_11reduce_implILb1ES3_NS6_12zip_iteratorINS7_INS6_11hip_rocprim26transform_input_iterator_tIbNSD_35transform_pair_of_input_iterators_tIbNS6_6detail15normal_iteratorINS6_10device_ptrIKxEEEESL_NS6_8equal_toIxEEEENSG_9not_fun_tINSD_8identityEEEEENSD_19counting_iterator_tIlEES8_S8_S8_S8_S8_S8_S8_S8_EEEEPS9_S9_NSD_9__find_if7functorIS9_EEEE10hipError_tPvRmT1_T2_T3_mT4_P12ihipStream_tbEUlT_E1_NS1_11comp_targetILNS1_3genE10ELNS1_11target_archE1200ELNS1_3gpuE4ELNS1_3repE0EEENS1_30default_config_static_selectorELNS0_4arch9wavefront6targetE1EEEvS14_
		.amdhsa_group_segment_fixed_size 0
		.amdhsa_private_segment_fixed_size 0
		.amdhsa_kernarg_size 88
		.amdhsa_user_sgpr_count 2
		.amdhsa_user_sgpr_dispatch_ptr 0
		.amdhsa_user_sgpr_queue_ptr 0
		.amdhsa_user_sgpr_kernarg_segment_ptr 1
		.amdhsa_user_sgpr_dispatch_id 0
		.amdhsa_user_sgpr_kernarg_preload_length 0
		.amdhsa_user_sgpr_kernarg_preload_offset 0
		.amdhsa_user_sgpr_private_segment_size 0
		.amdhsa_uses_dynamic_stack 0
		.amdhsa_enable_private_segment 0
		.amdhsa_system_sgpr_workgroup_id_x 1
		.amdhsa_system_sgpr_workgroup_id_y 0
		.amdhsa_system_sgpr_workgroup_id_z 0
		.amdhsa_system_sgpr_workgroup_info 0
		.amdhsa_system_vgpr_workitem_id 0
		.amdhsa_next_free_vgpr 1
		.amdhsa_next_free_sgpr 0
		.amdhsa_accum_offset 4
		.amdhsa_reserve_vcc 0
		.amdhsa_float_round_mode_32 0
		.amdhsa_float_round_mode_16_64 0
		.amdhsa_float_denorm_mode_32 3
		.amdhsa_float_denorm_mode_16_64 3
		.amdhsa_dx10_clamp 1
		.amdhsa_ieee_mode 1
		.amdhsa_fp16_overflow 0
		.amdhsa_tg_split 0
		.amdhsa_exception_fp_ieee_invalid_op 0
		.amdhsa_exception_fp_denorm_src 0
		.amdhsa_exception_fp_ieee_div_zero 0
		.amdhsa_exception_fp_ieee_overflow 0
		.amdhsa_exception_fp_ieee_underflow 0
		.amdhsa_exception_fp_ieee_inexact 0
		.amdhsa_exception_int_div_zero 0
	.end_amdhsa_kernel
	.section	.text._ZN7rocprim17ROCPRIM_400000_NS6detail17trampoline_kernelINS0_14default_configENS1_22reduce_config_selectorIN6thrust23THRUST_200600_302600_NS5tupleIblNS6_9null_typeES8_S8_S8_S8_S8_S8_S8_EEEEZNS1_11reduce_implILb1ES3_NS6_12zip_iteratorINS7_INS6_11hip_rocprim26transform_input_iterator_tIbNSD_35transform_pair_of_input_iterators_tIbNS6_6detail15normal_iteratorINS6_10device_ptrIKxEEEESL_NS6_8equal_toIxEEEENSG_9not_fun_tINSD_8identityEEEEENSD_19counting_iterator_tIlEES8_S8_S8_S8_S8_S8_S8_S8_EEEEPS9_S9_NSD_9__find_if7functorIS9_EEEE10hipError_tPvRmT1_T2_T3_mT4_P12ihipStream_tbEUlT_E1_NS1_11comp_targetILNS1_3genE10ELNS1_11target_archE1200ELNS1_3gpuE4ELNS1_3repE0EEENS1_30default_config_static_selectorELNS0_4arch9wavefront6targetE1EEEvS14_,"axG",@progbits,_ZN7rocprim17ROCPRIM_400000_NS6detail17trampoline_kernelINS0_14default_configENS1_22reduce_config_selectorIN6thrust23THRUST_200600_302600_NS5tupleIblNS6_9null_typeES8_S8_S8_S8_S8_S8_S8_EEEEZNS1_11reduce_implILb1ES3_NS6_12zip_iteratorINS7_INS6_11hip_rocprim26transform_input_iterator_tIbNSD_35transform_pair_of_input_iterators_tIbNS6_6detail15normal_iteratorINS6_10device_ptrIKxEEEESL_NS6_8equal_toIxEEEENSG_9not_fun_tINSD_8identityEEEEENSD_19counting_iterator_tIlEES8_S8_S8_S8_S8_S8_S8_S8_EEEEPS9_S9_NSD_9__find_if7functorIS9_EEEE10hipError_tPvRmT1_T2_T3_mT4_P12ihipStream_tbEUlT_E1_NS1_11comp_targetILNS1_3genE10ELNS1_11target_archE1200ELNS1_3gpuE4ELNS1_3repE0EEENS1_30default_config_static_selectorELNS0_4arch9wavefront6targetE1EEEvS14_,comdat
.Lfunc_end81:
	.size	_ZN7rocprim17ROCPRIM_400000_NS6detail17trampoline_kernelINS0_14default_configENS1_22reduce_config_selectorIN6thrust23THRUST_200600_302600_NS5tupleIblNS6_9null_typeES8_S8_S8_S8_S8_S8_S8_EEEEZNS1_11reduce_implILb1ES3_NS6_12zip_iteratorINS7_INS6_11hip_rocprim26transform_input_iterator_tIbNSD_35transform_pair_of_input_iterators_tIbNS6_6detail15normal_iteratorINS6_10device_ptrIKxEEEESL_NS6_8equal_toIxEEEENSG_9not_fun_tINSD_8identityEEEEENSD_19counting_iterator_tIlEES8_S8_S8_S8_S8_S8_S8_S8_EEEEPS9_S9_NSD_9__find_if7functorIS9_EEEE10hipError_tPvRmT1_T2_T3_mT4_P12ihipStream_tbEUlT_E1_NS1_11comp_targetILNS1_3genE10ELNS1_11target_archE1200ELNS1_3gpuE4ELNS1_3repE0EEENS1_30default_config_static_selectorELNS0_4arch9wavefront6targetE1EEEvS14_, .Lfunc_end81-_ZN7rocprim17ROCPRIM_400000_NS6detail17trampoline_kernelINS0_14default_configENS1_22reduce_config_selectorIN6thrust23THRUST_200600_302600_NS5tupleIblNS6_9null_typeES8_S8_S8_S8_S8_S8_S8_EEEEZNS1_11reduce_implILb1ES3_NS6_12zip_iteratorINS7_INS6_11hip_rocprim26transform_input_iterator_tIbNSD_35transform_pair_of_input_iterators_tIbNS6_6detail15normal_iteratorINS6_10device_ptrIKxEEEESL_NS6_8equal_toIxEEEENSG_9not_fun_tINSD_8identityEEEEENSD_19counting_iterator_tIlEES8_S8_S8_S8_S8_S8_S8_S8_EEEEPS9_S9_NSD_9__find_if7functorIS9_EEEE10hipError_tPvRmT1_T2_T3_mT4_P12ihipStream_tbEUlT_E1_NS1_11comp_targetILNS1_3genE10ELNS1_11target_archE1200ELNS1_3gpuE4ELNS1_3repE0EEENS1_30default_config_static_selectorELNS0_4arch9wavefront6targetE1EEEvS14_
                                        ; -- End function
	.section	.AMDGPU.csdata,"",@progbits
; Kernel info:
; codeLenInByte = 0
; NumSgprs: 6
; NumVgprs: 0
; NumAgprs: 0
; TotalNumVgprs: 0
; ScratchSize: 0
; MemoryBound: 0
; FloatMode: 240
; IeeeMode: 1
; LDSByteSize: 0 bytes/workgroup (compile time only)
; SGPRBlocks: 0
; VGPRBlocks: 0
; NumSGPRsForWavesPerEU: 6
; NumVGPRsForWavesPerEU: 1
; AccumOffset: 4
; Occupancy: 8
; WaveLimiterHint : 0
; COMPUTE_PGM_RSRC2:SCRATCH_EN: 0
; COMPUTE_PGM_RSRC2:USER_SGPR: 2
; COMPUTE_PGM_RSRC2:TRAP_HANDLER: 0
; COMPUTE_PGM_RSRC2:TGID_X_EN: 1
; COMPUTE_PGM_RSRC2:TGID_Y_EN: 0
; COMPUTE_PGM_RSRC2:TGID_Z_EN: 0
; COMPUTE_PGM_RSRC2:TIDIG_COMP_CNT: 0
; COMPUTE_PGM_RSRC3_GFX90A:ACCUM_OFFSET: 0
; COMPUTE_PGM_RSRC3_GFX90A:TG_SPLIT: 0
	.section	.text._ZN7rocprim17ROCPRIM_400000_NS6detail17trampoline_kernelINS0_14default_configENS1_22reduce_config_selectorIN6thrust23THRUST_200600_302600_NS5tupleIblNS6_9null_typeES8_S8_S8_S8_S8_S8_S8_EEEEZNS1_11reduce_implILb1ES3_NS6_12zip_iteratorINS7_INS6_11hip_rocprim26transform_input_iterator_tIbNSD_35transform_pair_of_input_iterators_tIbNS6_6detail15normal_iteratorINS6_10device_ptrIKxEEEESL_NS6_8equal_toIxEEEENSG_9not_fun_tINSD_8identityEEEEENSD_19counting_iterator_tIlEES8_S8_S8_S8_S8_S8_S8_S8_EEEEPS9_S9_NSD_9__find_if7functorIS9_EEEE10hipError_tPvRmT1_T2_T3_mT4_P12ihipStream_tbEUlT_E1_NS1_11comp_targetILNS1_3genE9ELNS1_11target_archE1100ELNS1_3gpuE3ELNS1_3repE0EEENS1_30default_config_static_selectorELNS0_4arch9wavefront6targetE1EEEvS14_,"axG",@progbits,_ZN7rocprim17ROCPRIM_400000_NS6detail17trampoline_kernelINS0_14default_configENS1_22reduce_config_selectorIN6thrust23THRUST_200600_302600_NS5tupleIblNS6_9null_typeES8_S8_S8_S8_S8_S8_S8_EEEEZNS1_11reduce_implILb1ES3_NS6_12zip_iteratorINS7_INS6_11hip_rocprim26transform_input_iterator_tIbNSD_35transform_pair_of_input_iterators_tIbNS6_6detail15normal_iteratorINS6_10device_ptrIKxEEEESL_NS6_8equal_toIxEEEENSG_9not_fun_tINSD_8identityEEEEENSD_19counting_iterator_tIlEES8_S8_S8_S8_S8_S8_S8_S8_EEEEPS9_S9_NSD_9__find_if7functorIS9_EEEE10hipError_tPvRmT1_T2_T3_mT4_P12ihipStream_tbEUlT_E1_NS1_11comp_targetILNS1_3genE9ELNS1_11target_archE1100ELNS1_3gpuE3ELNS1_3repE0EEENS1_30default_config_static_selectorELNS0_4arch9wavefront6targetE1EEEvS14_,comdat
	.protected	_ZN7rocprim17ROCPRIM_400000_NS6detail17trampoline_kernelINS0_14default_configENS1_22reduce_config_selectorIN6thrust23THRUST_200600_302600_NS5tupleIblNS6_9null_typeES8_S8_S8_S8_S8_S8_S8_EEEEZNS1_11reduce_implILb1ES3_NS6_12zip_iteratorINS7_INS6_11hip_rocprim26transform_input_iterator_tIbNSD_35transform_pair_of_input_iterators_tIbNS6_6detail15normal_iteratorINS6_10device_ptrIKxEEEESL_NS6_8equal_toIxEEEENSG_9not_fun_tINSD_8identityEEEEENSD_19counting_iterator_tIlEES8_S8_S8_S8_S8_S8_S8_S8_EEEEPS9_S9_NSD_9__find_if7functorIS9_EEEE10hipError_tPvRmT1_T2_T3_mT4_P12ihipStream_tbEUlT_E1_NS1_11comp_targetILNS1_3genE9ELNS1_11target_archE1100ELNS1_3gpuE3ELNS1_3repE0EEENS1_30default_config_static_selectorELNS0_4arch9wavefront6targetE1EEEvS14_ ; -- Begin function _ZN7rocprim17ROCPRIM_400000_NS6detail17trampoline_kernelINS0_14default_configENS1_22reduce_config_selectorIN6thrust23THRUST_200600_302600_NS5tupleIblNS6_9null_typeES8_S8_S8_S8_S8_S8_S8_EEEEZNS1_11reduce_implILb1ES3_NS6_12zip_iteratorINS7_INS6_11hip_rocprim26transform_input_iterator_tIbNSD_35transform_pair_of_input_iterators_tIbNS6_6detail15normal_iteratorINS6_10device_ptrIKxEEEESL_NS6_8equal_toIxEEEENSG_9not_fun_tINSD_8identityEEEEENSD_19counting_iterator_tIlEES8_S8_S8_S8_S8_S8_S8_S8_EEEEPS9_S9_NSD_9__find_if7functorIS9_EEEE10hipError_tPvRmT1_T2_T3_mT4_P12ihipStream_tbEUlT_E1_NS1_11comp_targetILNS1_3genE9ELNS1_11target_archE1100ELNS1_3gpuE3ELNS1_3repE0EEENS1_30default_config_static_selectorELNS0_4arch9wavefront6targetE1EEEvS14_
	.globl	_ZN7rocprim17ROCPRIM_400000_NS6detail17trampoline_kernelINS0_14default_configENS1_22reduce_config_selectorIN6thrust23THRUST_200600_302600_NS5tupleIblNS6_9null_typeES8_S8_S8_S8_S8_S8_S8_EEEEZNS1_11reduce_implILb1ES3_NS6_12zip_iteratorINS7_INS6_11hip_rocprim26transform_input_iterator_tIbNSD_35transform_pair_of_input_iterators_tIbNS6_6detail15normal_iteratorINS6_10device_ptrIKxEEEESL_NS6_8equal_toIxEEEENSG_9not_fun_tINSD_8identityEEEEENSD_19counting_iterator_tIlEES8_S8_S8_S8_S8_S8_S8_S8_EEEEPS9_S9_NSD_9__find_if7functorIS9_EEEE10hipError_tPvRmT1_T2_T3_mT4_P12ihipStream_tbEUlT_E1_NS1_11comp_targetILNS1_3genE9ELNS1_11target_archE1100ELNS1_3gpuE3ELNS1_3repE0EEENS1_30default_config_static_selectorELNS0_4arch9wavefront6targetE1EEEvS14_
	.p2align	8
	.type	_ZN7rocprim17ROCPRIM_400000_NS6detail17trampoline_kernelINS0_14default_configENS1_22reduce_config_selectorIN6thrust23THRUST_200600_302600_NS5tupleIblNS6_9null_typeES8_S8_S8_S8_S8_S8_S8_EEEEZNS1_11reduce_implILb1ES3_NS6_12zip_iteratorINS7_INS6_11hip_rocprim26transform_input_iterator_tIbNSD_35transform_pair_of_input_iterators_tIbNS6_6detail15normal_iteratorINS6_10device_ptrIKxEEEESL_NS6_8equal_toIxEEEENSG_9not_fun_tINSD_8identityEEEEENSD_19counting_iterator_tIlEES8_S8_S8_S8_S8_S8_S8_S8_EEEEPS9_S9_NSD_9__find_if7functorIS9_EEEE10hipError_tPvRmT1_T2_T3_mT4_P12ihipStream_tbEUlT_E1_NS1_11comp_targetILNS1_3genE9ELNS1_11target_archE1100ELNS1_3gpuE3ELNS1_3repE0EEENS1_30default_config_static_selectorELNS0_4arch9wavefront6targetE1EEEvS14_,@function
_ZN7rocprim17ROCPRIM_400000_NS6detail17trampoline_kernelINS0_14default_configENS1_22reduce_config_selectorIN6thrust23THRUST_200600_302600_NS5tupleIblNS6_9null_typeES8_S8_S8_S8_S8_S8_S8_EEEEZNS1_11reduce_implILb1ES3_NS6_12zip_iteratorINS7_INS6_11hip_rocprim26transform_input_iterator_tIbNSD_35transform_pair_of_input_iterators_tIbNS6_6detail15normal_iteratorINS6_10device_ptrIKxEEEESL_NS6_8equal_toIxEEEENSG_9not_fun_tINSD_8identityEEEEENSD_19counting_iterator_tIlEES8_S8_S8_S8_S8_S8_S8_S8_EEEEPS9_S9_NSD_9__find_if7functorIS9_EEEE10hipError_tPvRmT1_T2_T3_mT4_P12ihipStream_tbEUlT_E1_NS1_11comp_targetILNS1_3genE9ELNS1_11target_archE1100ELNS1_3gpuE3ELNS1_3repE0EEENS1_30default_config_static_selectorELNS0_4arch9wavefront6targetE1EEEvS14_: ; @_ZN7rocprim17ROCPRIM_400000_NS6detail17trampoline_kernelINS0_14default_configENS1_22reduce_config_selectorIN6thrust23THRUST_200600_302600_NS5tupleIblNS6_9null_typeES8_S8_S8_S8_S8_S8_S8_EEEEZNS1_11reduce_implILb1ES3_NS6_12zip_iteratorINS7_INS6_11hip_rocprim26transform_input_iterator_tIbNSD_35transform_pair_of_input_iterators_tIbNS6_6detail15normal_iteratorINS6_10device_ptrIKxEEEESL_NS6_8equal_toIxEEEENSG_9not_fun_tINSD_8identityEEEEENSD_19counting_iterator_tIlEES8_S8_S8_S8_S8_S8_S8_S8_EEEEPS9_S9_NSD_9__find_if7functorIS9_EEEE10hipError_tPvRmT1_T2_T3_mT4_P12ihipStream_tbEUlT_E1_NS1_11comp_targetILNS1_3genE9ELNS1_11target_archE1100ELNS1_3gpuE3ELNS1_3repE0EEENS1_30default_config_static_selectorELNS0_4arch9wavefront6targetE1EEEvS14_
; %bb.0:
	.section	.rodata,"a",@progbits
	.p2align	6, 0x0
	.amdhsa_kernel _ZN7rocprim17ROCPRIM_400000_NS6detail17trampoline_kernelINS0_14default_configENS1_22reduce_config_selectorIN6thrust23THRUST_200600_302600_NS5tupleIblNS6_9null_typeES8_S8_S8_S8_S8_S8_S8_EEEEZNS1_11reduce_implILb1ES3_NS6_12zip_iteratorINS7_INS6_11hip_rocprim26transform_input_iterator_tIbNSD_35transform_pair_of_input_iterators_tIbNS6_6detail15normal_iteratorINS6_10device_ptrIKxEEEESL_NS6_8equal_toIxEEEENSG_9not_fun_tINSD_8identityEEEEENSD_19counting_iterator_tIlEES8_S8_S8_S8_S8_S8_S8_S8_EEEEPS9_S9_NSD_9__find_if7functorIS9_EEEE10hipError_tPvRmT1_T2_T3_mT4_P12ihipStream_tbEUlT_E1_NS1_11comp_targetILNS1_3genE9ELNS1_11target_archE1100ELNS1_3gpuE3ELNS1_3repE0EEENS1_30default_config_static_selectorELNS0_4arch9wavefront6targetE1EEEvS14_
		.amdhsa_group_segment_fixed_size 0
		.amdhsa_private_segment_fixed_size 0
		.amdhsa_kernarg_size 88
		.amdhsa_user_sgpr_count 2
		.amdhsa_user_sgpr_dispatch_ptr 0
		.amdhsa_user_sgpr_queue_ptr 0
		.amdhsa_user_sgpr_kernarg_segment_ptr 1
		.amdhsa_user_sgpr_dispatch_id 0
		.amdhsa_user_sgpr_kernarg_preload_length 0
		.amdhsa_user_sgpr_kernarg_preload_offset 0
		.amdhsa_user_sgpr_private_segment_size 0
		.amdhsa_uses_dynamic_stack 0
		.amdhsa_enable_private_segment 0
		.amdhsa_system_sgpr_workgroup_id_x 1
		.amdhsa_system_sgpr_workgroup_id_y 0
		.amdhsa_system_sgpr_workgroup_id_z 0
		.amdhsa_system_sgpr_workgroup_info 0
		.amdhsa_system_vgpr_workitem_id 0
		.amdhsa_next_free_vgpr 1
		.amdhsa_next_free_sgpr 0
		.amdhsa_accum_offset 4
		.amdhsa_reserve_vcc 0
		.amdhsa_float_round_mode_32 0
		.amdhsa_float_round_mode_16_64 0
		.amdhsa_float_denorm_mode_32 3
		.amdhsa_float_denorm_mode_16_64 3
		.amdhsa_dx10_clamp 1
		.amdhsa_ieee_mode 1
		.amdhsa_fp16_overflow 0
		.amdhsa_tg_split 0
		.amdhsa_exception_fp_ieee_invalid_op 0
		.amdhsa_exception_fp_denorm_src 0
		.amdhsa_exception_fp_ieee_div_zero 0
		.amdhsa_exception_fp_ieee_overflow 0
		.amdhsa_exception_fp_ieee_underflow 0
		.amdhsa_exception_fp_ieee_inexact 0
		.amdhsa_exception_int_div_zero 0
	.end_amdhsa_kernel
	.section	.text._ZN7rocprim17ROCPRIM_400000_NS6detail17trampoline_kernelINS0_14default_configENS1_22reduce_config_selectorIN6thrust23THRUST_200600_302600_NS5tupleIblNS6_9null_typeES8_S8_S8_S8_S8_S8_S8_EEEEZNS1_11reduce_implILb1ES3_NS6_12zip_iteratorINS7_INS6_11hip_rocprim26transform_input_iterator_tIbNSD_35transform_pair_of_input_iterators_tIbNS6_6detail15normal_iteratorINS6_10device_ptrIKxEEEESL_NS6_8equal_toIxEEEENSG_9not_fun_tINSD_8identityEEEEENSD_19counting_iterator_tIlEES8_S8_S8_S8_S8_S8_S8_S8_EEEEPS9_S9_NSD_9__find_if7functorIS9_EEEE10hipError_tPvRmT1_T2_T3_mT4_P12ihipStream_tbEUlT_E1_NS1_11comp_targetILNS1_3genE9ELNS1_11target_archE1100ELNS1_3gpuE3ELNS1_3repE0EEENS1_30default_config_static_selectorELNS0_4arch9wavefront6targetE1EEEvS14_,"axG",@progbits,_ZN7rocprim17ROCPRIM_400000_NS6detail17trampoline_kernelINS0_14default_configENS1_22reduce_config_selectorIN6thrust23THRUST_200600_302600_NS5tupleIblNS6_9null_typeES8_S8_S8_S8_S8_S8_S8_EEEEZNS1_11reduce_implILb1ES3_NS6_12zip_iteratorINS7_INS6_11hip_rocprim26transform_input_iterator_tIbNSD_35transform_pair_of_input_iterators_tIbNS6_6detail15normal_iteratorINS6_10device_ptrIKxEEEESL_NS6_8equal_toIxEEEENSG_9not_fun_tINSD_8identityEEEEENSD_19counting_iterator_tIlEES8_S8_S8_S8_S8_S8_S8_S8_EEEEPS9_S9_NSD_9__find_if7functorIS9_EEEE10hipError_tPvRmT1_T2_T3_mT4_P12ihipStream_tbEUlT_E1_NS1_11comp_targetILNS1_3genE9ELNS1_11target_archE1100ELNS1_3gpuE3ELNS1_3repE0EEENS1_30default_config_static_selectorELNS0_4arch9wavefront6targetE1EEEvS14_,comdat
.Lfunc_end82:
	.size	_ZN7rocprim17ROCPRIM_400000_NS6detail17trampoline_kernelINS0_14default_configENS1_22reduce_config_selectorIN6thrust23THRUST_200600_302600_NS5tupleIblNS6_9null_typeES8_S8_S8_S8_S8_S8_S8_EEEEZNS1_11reduce_implILb1ES3_NS6_12zip_iteratorINS7_INS6_11hip_rocprim26transform_input_iterator_tIbNSD_35transform_pair_of_input_iterators_tIbNS6_6detail15normal_iteratorINS6_10device_ptrIKxEEEESL_NS6_8equal_toIxEEEENSG_9not_fun_tINSD_8identityEEEEENSD_19counting_iterator_tIlEES8_S8_S8_S8_S8_S8_S8_S8_EEEEPS9_S9_NSD_9__find_if7functorIS9_EEEE10hipError_tPvRmT1_T2_T3_mT4_P12ihipStream_tbEUlT_E1_NS1_11comp_targetILNS1_3genE9ELNS1_11target_archE1100ELNS1_3gpuE3ELNS1_3repE0EEENS1_30default_config_static_selectorELNS0_4arch9wavefront6targetE1EEEvS14_, .Lfunc_end82-_ZN7rocprim17ROCPRIM_400000_NS6detail17trampoline_kernelINS0_14default_configENS1_22reduce_config_selectorIN6thrust23THRUST_200600_302600_NS5tupleIblNS6_9null_typeES8_S8_S8_S8_S8_S8_S8_EEEEZNS1_11reduce_implILb1ES3_NS6_12zip_iteratorINS7_INS6_11hip_rocprim26transform_input_iterator_tIbNSD_35transform_pair_of_input_iterators_tIbNS6_6detail15normal_iteratorINS6_10device_ptrIKxEEEESL_NS6_8equal_toIxEEEENSG_9not_fun_tINSD_8identityEEEEENSD_19counting_iterator_tIlEES8_S8_S8_S8_S8_S8_S8_S8_EEEEPS9_S9_NSD_9__find_if7functorIS9_EEEE10hipError_tPvRmT1_T2_T3_mT4_P12ihipStream_tbEUlT_E1_NS1_11comp_targetILNS1_3genE9ELNS1_11target_archE1100ELNS1_3gpuE3ELNS1_3repE0EEENS1_30default_config_static_selectorELNS0_4arch9wavefront6targetE1EEEvS14_
                                        ; -- End function
	.section	.AMDGPU.csdata,"",@progbits
; Kernel info:
; codeLenInByte = 0
; NumSgprs: 6
; NumVgprs: 0
; NumAgprs: 0
; TotalNumVgprs: 0
; ScratchSize: 0
; MemoryBound: 0
; FloatMode: 240
; IeeeMode: 1
; LDSByteSize: 0 bytes/workgroup (compile time only)
; SGPRBlocks: 0
; VGPRBlocks: 0
; NumSGPRsForWavesPerEU: 6
; NumVGPRsForWavesPerEU: 1
; AccumOffset: 4
; Occupancy: 8
; WaveLimiterHint : 0
; COMPUTE_PGM_RSRC2:SCRATCH_EN: 0
; COMPUTE_PGM_RSRC2:USER_SGPR: 2
; COMPUTE_PGM_RSRC2:TRAP_HANDLER: 0
; COMPUTE_PGM_RSRC2:TGID_X_EN: 1
; COMPUTE_PGM_RSRC2:TGID_Y_EN: 0
; COMPUTE_PGM_RSRC2:TGID_Z_EN: 0
; COMPUTE_PGM_RSRC2:TIDIG_COMP_CNT: 0
; COMPUTE_PGM_RSRC3_GFX90A:ACCUM_OFFSET: 0
; COMPUTE_PGM_RSRC3_GFX90A:TG_SPLIT: 0
	.section	.text._ZN7rocprim17ROCPRIM_400000_NS6detail17trampoline_kernelINS0_14default_configENS1_22reduce_config_selectorIN6thrust23THRUST_200600_302600_NS5tupleIblNS6_9null_typeES8_S8_S8_S8_S8_S8_S8_EEEEZNS1_11reduce_implILb1ES3_NS6_12zip_iteratorINS7_INS6_11hip_rocprim26transform_input_iterator_tIbNSD_35transform_pair_of_input_iterators_tIbNS6_6detail15normal_iteratorINS6_10device_ptrIKxEEEESL_NS6_8equal_toIxEEEENSG_9not_fun_tINSD_8identityEEEEENSD_19counting_iterator_tIlEES8_S8_S8_S8_S8_S8_S8_S8_EEEEPS9_S9_NSD_9__find_if7functorIS9_EEEE10hipError_tPvRmT1_T2_T3_mT4_P12ihipStream_tbEUlT_E1_NS1_11comp_targetILNS1_3genE8ELNS1_11target_archE1030ELNS1_3gpuE2ELNS1_3repE0EEENS1_30default_config_static_selectorELNS0_4arch9wavefront6targetE1EEEvS14_,"axG",@progbits,_ZN7rocprim17ROCPRIM_400000_NS6detail17trampoline_kernelINS0_14default_configENS1_22reduce_config_selectorIN6thrust23THRUST_200600_302600_NS5tupleIblNS6_9null_typeES8_S8_S8_S8_S8_S8_S8_EEEEZNS1_11reduce_implILb1ES3_NS6_12zip_iteratorINS7_INS6_11hip_rocprim26transform_input_iterator_tIbNSD_35transform_pair_of_input_iterators_tIbNS6_6detail15normal_iteratorINS6_10device_ptrIKxEEEESL_NS6_8equal_toIxEEEENSG_9not_fun_tINSD_8identityEEEEENSD_19counting_iterator_tIlEES8_S8_S8_S8_S8_S8_S8_S8_EEEEPS9_S9_NSD_9__find_if7functorIS9_EEEE10hipError_tPvRmT1_T2_T3_mT4_P12ihipStream_tbEUlT_E1_NS1_11comp_targetILNS1_3genE8ELNS1_11target_archE1030ELNS1_3gpuE2ELNS1_3repE0EEENS1_30default_config_static_selectorELNS0_4arch9wavefront6targetE1EEEvS14_,comdat
	.protected	_ZN7rocprim17ROCPRIM_400000_NS6detail17trampoline_kernelINS0_14default_configENS1_22reduce_config_selectorIN6thrust23THRUST_200600_302600_NS5tupleIblNS6_9null_typeES8_S8_S8_S8_S8_S8_S8_EEEEZNS1_11reduce_implILb1ES3_NS6_12zip_iteratorINS7_INS6_11hip_rocprim26transform_input_iterator_tIbNSD_35transform_pair_of_input_iterators_tIbNS6_6detail15normal_iteratorINS6_10device_ptrIKxEEEESL_NS6_8equal_toIxEEEENSG_9not_fun_tINSD_8identityEEEEENSD_19counting_iterator_tIlEES8_S8_S8_S8_S8_S8_S8_S8_EEEEPS9_S9_NSD_9__find_if7functorIS9_EEEE10hipError_tPvRmT1_T2_T3_mT4_P12ihipStream_tbEUlT_E1_NS1_11comp_targetILNS1_3genE8ELNS1_11target_archE1030ELNS1_3gpuE2ELNS1_3repE0EEENS1_30default_config_static_selectorELNS0_4arch9wavefront6targetE1EEEvS14_ ; -- Begin function _ZN7rocprim17ROCPRIM_400000_NS6detail17trampoline_kernelINS0_14default_configENS1_22reduce_config_selectorIN6thrust23THRUST_200600_302600_NS5tupleIblNS6_9null_typeES8_S8_S8_S8_S8_S8_S8_EEEEZNS1_11reduce_implILb1ES3_NS6_12zip_iteratorINS7_INS6_11hip_rocprim26transform_input_iterator_tIbNSD_35transform_pair_of_input_iterators_tIbNS6_6detail15normal_iteratorINS6_10device_ptrIKxEEEESL_NS6_8equal_toIxEEEENSG_9not_fun_tINSD_8identityEEEEENSD_19counting_iterator_tIlEES8_S8_S8_S8_S8_S8_S8_S8_EEEEPS9_S9_NSD_9__find_if7functorIS9_EEEE10hipError_tPvRmT1_T2_T3_mT4_P12ihipStream_tbEUlT_E1_NS1_11comp_targetILNS1_3genE8ELNS1_11target_archE1030ELNS1_3gpuE2ELNS1_3repE0EEENS1_30default_config_static_selectorELNS0_4arch9wavefront6targetE1EEEvS14_
	.globl	_ZN7rocprim17ROCPRIM_400000_NS6detail17trampoline_kernelINS0_14default_configENS1_22reduce_config_selectorIN6thrust23THRUST_200600_302600_NS5tupleIblNS6_9null_typeES8_S8_S8_S8_S8_S8_S8_EEEEZNS1_11reduce_implILb1ES3_NS6_12zip_iteratorINS7_INS6_11hip_rocprim26transform_input_iterator_tIbNSD_35transform_pair_of_input_iterators_tIbNS6_6detail15normal_iteratorINS6_10device_ptrIKxEEEESL_NS6_8equal_toIxEEEENSG_9not_fun_tINSD_8identityEEEEENSD_19counting_iterator_tIlEES8_S8_S8_S8_S8_S8_S8_S8_EEEEPS9_S9_NSD_9__find_if7functorIS9_EEEE10hipError_tPvRmT1_T2_T3_mT4_P12ihipStream_tbEUlT_E1_NS1_11comp_targetILNS1_3genE8ELNS1_11target_archE1030ELNS1_3gpuE2ELNS1_3repE0EEENS1_30default_config_static_selectorELNS0_4arch9wavefront6targetE1EEEvS14_
	.p2align	8
	.type	_ZN7rocprim17ROCPRIM_400000_NS6detail17trampoline_kernelINS0_14default_configENS1_22reduce_config_selectorIN6thrust23THRUST_200600_302600_NS5tupleIblNS6_9null_typeES8_S8_S8_S8_S8_S8_S8_EEEEZNS1_11reduce_implILb1ES3_NS6_12zip_iteratorINS7_INS6_11hip_rocprim26transform_input_iterator_tIbNSD_35transform_pair_of_input_iterators_tIbNS6_6detail15normal_iteratorINS6_10device_ptrIKxEEEESL_NS6_8equal_toIxEEEENSG_9not_fun_tINSD_8identityEEEEENSD_19counting_iterator_tIlEES8_S8_S8_S8_S8_S8_S8_S8_EEEEPS9_S9_NSD_9__find_if7functorIS9_EEEE10hipError_tPvRmT1_T2_T3_mT4_P12ihipStream_tbEUlT_E1_NS1_11comp_targetILNS1_3genE8ELNS1_11target_archE1030ELNS1_3gpuE2ELNS1_3repE0EEENS1_30default_config_static_selectorELNS0_4arch9wavefront6targetE1EEEvS14_,@function
_ZN7rocprim17ROCPRIM_400000_NS6detail17trampoline_kernelINS0_14default_configENS1_22reduce_config_selectorIN6thrust23THRUST_200600_302600_NS5tupleIblNS6_9null_typeES8_S8_S8_S8_S8_S8_S8_EEEEZNS1_11reduce_implILb1ES3_NS6_12zip_iteratorINS7_INS6_11hip_rocprim26transform_input_iterator_tIbNSD_35transform_pair_of_input_iterators_tIbNS6_6detail15normal_iteratorINS6_10device_ptrIKxEEEESL_NS6_8equal_toIxEEEENSG_9not_fun_tINSD_8identityEEEEENSD_19counting_iterator_tIlEES8_S8_S8_S8_S8_S8_S8_S8_EEEEPS9_S9_NSD_9__find_if7functorIS9_EEEE10hipError_tPvRmT1_T2_T3_mT4_P12ihipStream_tbEUlT_E1_NS1_11comp_targetILNS1_3genE8ELNS1_11target_archE1030ELNS1_3gpuE2ELNS1_3repE0EEENS1_30default_config_static_selectorELNS0_4arch9wavefront6targetE1EEEvS14_: ; @_ZN7rocprim17ROCPRIM_400000_NS6detail17trampoline_kernelINS0_14default_configENS1_22reduce_config_selectorIN6thrust23THRUST_200600_302600_NS5tupleIblNS6_9null_typeES8_S8_S8_S8_S8_S8_S8_EEEEZNS1_11reduce_implILb1ES3_NS6_12zip_iteratorINS7_INS6_11hip_rocprim26transform_input_iterator_tIbNSD_35transform_pair_of_input_iterators_tIbNS6_6detail15normal_iteratorINS6_10device_ptrIKxEEEESL_NS6_8equal_toIxEEEENSG_9not_fun_tINSD_8identityEEEEENSD_19counting_iterator_tIlEES8_S8_S8_S8_S8_S8_S8_S8_EEEEPS9_S9_NSD_9__find_if7functorIS9_EEEE10hipError_tPvRmT1_T2_T3_mT4_P12ihipStream_tbEUlT_E1_NS1_11comp_targetILNS1_3genE8ELNS1_11target_archE1030ELNS1_3gpuE2ELNS1_3repE0EEENS1_30default_config_static_selectorELNS0_4arch9wavefront6targetE1EEEvS14_
; %bb.0:
	.section	.rodata,"a",@progbits
	.p2align	6, 0x0
	.amdhsa_kernel _ZN7rocprim17ROCPRIM_400000_NS6detail17trampoline_kernelINS0_14default_configENS1_22reduce_config_selectorIN6thrust23THRUST_200600_302600_NS5tupleIblNS6_9null_typeES8_S8_S8_S8_S8_S8_S8_EEEEZNS1_11reduce_implILb1ES3_NS6_12zip_iteratorINS7_INS6_11hip_rocprim26transform_input_iterator_tIbNSD_35transform_pair_of_input_iterators_tIbNS6_6detail15normal_iteratorINS6_10device_ptrIKxEEEESL_NS6_8equal_toIxEEEENSG_9not_fun_tINSD_8identityEEEEENSD_19counting_iterator_tIlEES8_S8_S8_S8_S8_S8_S8_S8_EEEEPS9_S9_NSD_9__find_if7functorIS9_EEEE10hipError_tPvRmT1_T2_T3_mT4_P12ihipStream_tbEUlT_E1_NS1_11comp_targetILNS1_3genE8ELNS1_11target_archE1030ELNS1_3gpuE2ELNS1_3repE0EEENS1_30default_config_static_selectorELNS0_4arch9wavefront6targetE1EEEvS14_
		.amdhsa_group_segment_fixed_size 0
		.amdhsa_private_segment_fixed_size 0
		.amdhsa_kernarg_size 88
		.amdhsa_user_sgpr_count 2
		.amdhsa_user_sgpr_dispatch_ptr 0
		.amdhsa_user_sgpr_queue_ptr 0
		.amdhsa_user_sgpr_kernarg_segment_ptr 1
		.amdhsa_user_sgpr_dispatch_id 0
		.amdhsa_user_sgpr_kernarg_preload_length 0
		.amdhsa_user_sgpr_kernarg_preload_offset 0
		.amdhsa_user_sgpr_private_segment_size 0
		.amdhsa_uses_dynamic_stack 0
		.amdhsa_enable_private_segment 0
		.amdhsa_system_sgpr_workgroup_id_x 1
		.amdhsa_system_sgpr_workgroup_id_y 0
		.amdhsa_system_sgpr_workgroup_id_z 0
		.amdhsa_system_sgpr_workgroup_info 0
		.amdhsa_system_vgpr_workitem_id 0
		.amdhsa_next_free_vgpr 1
		.amdhsa_next_free_sgpr 0
		.amdhsa_accum_offset 4
		.amdhsa_reserve_vcc 0
		.amdhsa_float_round_mode_32 0
		.amdhsa_float_round_mode_16_64 0
		.amdhsa_float_denorm_mode_32 3
		.amdhsa_float_denorm_mode_16_64 3
		.amdhsa_dx10_clamp 1
		.amdhsa_ieee_mode 1
		.amdhsa_fp16_overflow 0
		.amdhsa_tg_split 0
		.amdhsa_exception_fp_ieee_invalid_op 0
		.amdhsa_exception_fp_denorm_src 0
		.amdhsa_exception_fp_ieee_div_zero 0
		.amdhsa_exception_fp_ieee_overflow 0
		.amdhsa_exception_fp_ieee_underflow 0
		.amdhsa_exception_fp_ieee_inexact 0
		.amdhsa_exception_int_div_zero 0
	.end_amdhsa_kernel
	.section	.text._ZN7rocprim17ROCPRIM_400000_NS6detail17trampoline_kernelINS0_14default_configENS1_22reduce_config_selectorIN6thrust23THRUST_200600_302600_NS5tupleIblNS6_9null_typeES8_S8_S8_S8_S8_S8_S8_EEEEZNS1_11reduce_implILb1ES3_NS6_12zip_iteratorINS7_INS6_11hip_rocprim26transform_input_iterator_tIbNSD_35transform_pair_of_input_iterators_tIbNS6_6detail15normal_iteratorINS6_10device_ptrIKxEEEESL_NS6_8equal_toIxEEEENSG_9not_fun_tINSD_8identityEEEEENSD_19counting_iterator_tIlEES8_S8_S8_S8_S8_S8_S8_S8_EEEEPS9_S9_NSD_9__find_if7functorIS9_EEEE10hipError_tPvRmT1_T2_T3_mT4_P12ihipStream_tbEUlT_E1_NS1_11comp_targetILNS1_3genE8ELNS1_11target_archE1030ELNS1_3gpuE2ELNS1_3repE0EEENS1_30default_config_static_selectorELNS0_4arch9wavefront6targetE1EEEvS14_,"axG",@progbits,_ZN7rocprim17ROCPRIM_400000_NS6detail17trampoline_kernelINS0_14default_configENS1_22reduce_config_selectorIN6thrust23THRUST_200600_302600_NS5tupleIblNS6_9null_typeES8_S8_S8_S8_S8_S8_S8_EEEEZNS1_11reduce_implILb1ES3_NS6_12zip_iteratorINS7_INS6_11hip_rocprim26transform_input_iterator_tIbNSD_35transform_pair_of_input_iterators_tIbNS6_6detail15normal_iteratorINS6_10device_ptrIKxEEEESL_NS6_8equal_toIxEEEENSG_9not_fun_tINSD_8identityEEEEENSD_19counting_iterator_tIlEES8_S8_S8_S8_S8_S8_S8_S8_EEEEPS9_S9_NSD_9__find_if7functorIS9_EEEE10hipError_tPvRmT1_T2_T3_mT4_P12ihipStream_tbEUlT_E1_NS1_11comp_targetILNS1_3genE8ELNS1_11target_archE1030ELNS1_3gpuE2ELNS1_3repE0EEENS1_30default_config_static_selectorELNS0_4arch9wavefront6targetE1EEEvS14_,comdat
.Lfunc_end83:
	.size	_ZN7rocprim17ROCPRIM_400000_NS6detail17trampoline_kernelINS0_14default_configENS1_22reduce_config_selectorIN6thrust23THRUST_200600_302600_NS5tupleIblNS6_9null_typeES8_S8_S8_S8_S8_S8_S8_EEEEZNS1_11reduce_implILb1ES3_NS6_12zip_iteratorINS7_INS6_11hip_rocprim26transform_input_iterator_tIbNSD_35transform_pair_of_input_iterators_tIbNS6_6detail15normal_iteratorINS6_10device_ptrIKxEEEESL_NS6_8equal_toIxEEEENSG_9not_fun_tINSD_8identityEEEEENSD_19counting_iterator_tIlEES8_S8_S8_S8_S8_S8_S8_S8_EEEEPS9_S9_NSD_9__find_if7functorIS9_EEEE10hipError_tPvRmT1_T2_T3_mT4_P12ihipStream_tbEUlT_E1_NS1_11comp_targetILNS1_3genE8ELNS1_11target_archE1030ELNS1_3gpuE2ELNS1_3repE0EEENS1_30default_config_static_selectorELNS0_4arch9wavefront6targetE1EEEvS14_, .Lfunc_end83-_ZN7rocprim17ROCPRIM_400000_NS6detail17trampoline_kernelINS0_14default_configENS1_22reduce_config_selectorIN6thrust23THRUST_200600_302600_NS5tupleIblNS6_9null_typeES8_S8_S8_S8_S8_S8_S8_EEEEZNS1_11reduce_implILb1ES3_NS6_12zip_iteratorINS7_INS6_11hip_rocprim26transform_input_iterator_tIbNSD_35transform_pair_of_input_iterators_tIbNS6_6detail15normal_iteratorINS6_10device_ptrIKxEEEESL_NS6_8equal_toIxEEEENSG_9not_fun_tINSD_8identityEEEEENSD_19counting_iterator_tIlEES8_S8_S8_S8_S8_S8_S8_S8_EEEEPS9_S9_NSD_9__find_if7functorIS9_EEEE10hipError_tPvRmT1_T2_T3_mT4_P12ihipStream_tbEUlT_E1_NS1_11comp_targetILNS1_3genE8ELNS1_11target_archE1030ELNS1_3gpuE2ELNS1_3repE0EEENS1_30default_config_static_selectorELNS0_4arch9wavefront6targetE1EEEvS14_
                                        ; -- End function
	.section	.AMDGPU.csdata,"",@progbits
; Kernel info:
; codeLenInByte = 0
; NumSgprs: 6
; NumVgprs: 0
; NumAgprs: 0
; TotalNumVgprs: 0
; ScratchSize: 0
; MemoryBound: 0
; FloatMode: 240
; IeeeMode: 1
; LDSByteSize: 0 bytes/workgroup (compile time only)
; SGPRBlocks: 0
; VGPRBlocks: 0
; NumSGPRsForWavesPerEU: 6
; NumVGPRsForWavesPerEU: 1
; AccumOffset: 4
; Occupancy: 8
; WaveLimiterHint : 0
; COMPUTE_PGM_RSRC2:SCRATCH_EN: 0
; COMPUTE_PGM_RSRC2:USER_SGPR: 2
; COMPUTE_PGM_RSRC2:TRAP_HANDLER: 0
; COMPUTE_PGM_RSRC2:TGID_X_EN: 1
; COMPUTE_PGM_RSRC2:TGID_Y_EN: 0
; COMPUTE_PGM_RSRC2:TGID_Z_EN: 0
; COMPUTE_PGM_RSRC2:TIDIG_COMP_CNT: 0
; COMPUTE_PGM_RSRC3_GFX90A:ACCUM_OFFSET: 0
; COMPUTE_PGM_RSRC3_GFX90A:TG_SPLIT: 0
	.section	.text._ZN6thrust23THRUST_200600_302600_NS11hip_rocprim14__parallel_for6kernelILj256ENS1_10for_each_fINS0_7pointerINS0_5tupleIblNS0_9null_typeES7_S7_S7_S7_S7_S7_S7_EENS1_3tagENS0_11use_defaultESA_EENS0_6detail16wrapped_functionINSC_23allocator_traits_detail24construct1_via_allocatorINSC_18no_throw_allocatorINSC_19temporary_allocatorIS8_S9_EEEEEEvEEEEmLj1EEEvT0_T1_SO_,"axG",@progbits,_ZN6thrust23THRUST_200600_302600_NS11hip_rocprim14__parallel_for6kernelILj256ENS1_10for_each_fINS0_7pointerINS0_5tupleIblNS0_9null_typeES7_S7_S7_S7_S7_S7_S7_EENS1_3tagENS0_11use_defaultESA_EENS0_6detail16wrapped_functionINSC_23allocator_traits_detail24construct1_via_allocatorINSC_18no_throw_allocatorINSC_19temporary_allocatorIS8_S9_EEEEEEvEEEEmLj1EEEvT0_T1_SO_,comdat
	.protected	_ZN6thrust23THRUST_200600_302600_NS11hip_rocprim14__parallel_for6kernelILj256ENS1_10for_each_fINS0_7pointerINS0_5tupleIblNS0_9null_typeES7_S7_S7_S7_S7_S7_S7_EENS1_3tagENS0_11use_defaultESA_EENS0_6detail16wrapped_functionINSC_23allocator_traits_detail24construct1_via_allocatorINSC_18no_throw_allocatorINSC_19temporary_allocatorIS8_S9_EEEEEEvEEEEmLj1EEEvT0_T1_SO_ ; -- Begin function _ZN6thrust23THRUST_200600_302600_NS11hip_rocprim14__parallel_for6kernelILj256ENS1_10for_each_fINS0_7pointerINS0_5tupleIblNS0_9null_typeES7_S7_S7_S7_S7_S7_S7_EENS1_3tagENS0_11use_defaultESA_EENS0_6detail16wrapped_functionINSC_23allocator_traits_detail24construct1_via_allocatorINSC_18no_throw_allocatorINSC_19temporary_allocatorIS8_S9_EEEEEEvEEEEmLj1EEEvT0_T1_SO_
	.globl	_ZN6thrust23THRUST_200600_302600_NS11hip_rocprim14__parallel_for6kernelILj256ENS1_10for_each_fINS0_7pointerINS0_5tupleIblNS0_9null_typeES7_S7_S7_S7_S7_S7_S7_EENS1_3tagENS0_11use_defaultESA_EENS0_6detail16wrapped_functionINSC_23allocator_traits_detail24construct1_via_allocatorINSC_18no_throw_allocatorINSC_19temporary_allocatorIS8_S9_EEEEEEvEEEEmLj1EEEvT0_T1_SO_
	.p2align	8
	.type	_ZN6thrust23THRUST_200600_302600_NS11hip_rocprim14__parallel_for6kernelILj256ENS1_10for_each_fINS0_7pointerINS0_5tupleIblNS0_9null_typeES7_S7_S7_S7_S7_S7_S7_EENS1_3tagENS0_11use_defaultESA_EENS0_6detail16wrapped_functionINSC_23allocator_traits_detail24construct1_via_allocatorINSC_18no_throw_allocatorINSC_19temporary_allocatorIS8_S9_EEEEEEvEEEEmLj1EEEvT0_T1_SO_,@function
_ZN6thrust23THRUST_200600_302600_NS11hip_rocprim14__parallel_for6kernelILj256ENS1_10for_each_fINS0_7pointerINS0_5tupleIblNS0_9null_typeES7_S7_S7_S7_S7_S7_S7_EENS1_3tagENS0_11use_defaultESA_EENS0_6detail16wrapped_functionINSC_23allocator_traits_detail24construct1_via_allocatorINSC_18no_throw_allocatorINSC_19temporary_allocatorIS8_S9_EEEEEEvEEEEmLj1EEEvT0_T1_SO_: ; @_ZN6thrust23THRUST_200600_302600_NS11hip_rocprim14__parallel_for6kernelILj256ENS1_10for_each_fINS0_7pointerINS0_5tupleIblNS0_9null_typeES7_S7_S7_S7_S7_S7_S7_EENS1_3tagENS0_11use_defaultESA_EENS0_6detail16wrapped_functionINSC_23allocator_traits_detail24construct1_via_allocatorINSC_18no_throw_allocatorINSC_19temporary_allocatorIS8_S9_EEEEEEvEEEEmLj1EEEvT0_T1_SO_
; %bb.0:
	s_load_dwordx4 s[8:11], s[0:1], 0x10
	s_load_dwordx2 s[4:5], s[0:1], 0x0
	s_lshl_b32 s0, s2, 8
	v_mov_b64_e32 v[2:3], 0x100
	s_waitcnt lgkmcnt(0)
	s_add_u32 s2, s0, s10
	s_addc_u32 s3, 0, s11
	s_sub_u32 s0, s8, s2
	s_subb_u32 s1, s9, s3
	v_cmp_lt_u64_e32 vcc, s[0:1], v[2:3]
	s_cbranch_vccz .LBB84_4
; %bb.1:
	v_cmp_gt_u32_e32 vcc, s0, v0
	s_mov_b64 s[6:7], 0
	s_mov_b64 s[0:1], 0
                                        ; implicit-def: $vgpr2_vgpr3
	s_and_saveexec_b64 s[8:9], vcc
	s_xor_b64 s[8:9], exec, s[8:9]
; %bb.2:
	s_lshl_b64 s[10:11], s[2:3], 4
	s_add_u32 s10, s4, s10
	s_addc_u32 s11, s5, s11
	v_lshlrev_b32_e32 v2, 4, v0
	v_mov_b32_e32 v3, 0
	s_mov_b64 s[0:1], exec
	v_lshl_add_u64 v[2:3], s[10:11], 0, v[2:3]
; %bb.3:
	s_or_b64 exec, exec, s[8:9]
	s_and_b64 vcc, exec, s[6:7]
	s_cbranch_vccnz .LBB84_5
	s_branch .LBB84_6
.LBB84_4:
	s_mov_b64 s[0:1], 0
                                        ; implicit-def: $vgpr2_vgpr3
	s_cbranch_execz .LBB84_6
.LBB84_5:
	s_lshl_b64 s[2:3], s[2:3], 4
	s_add_u32 s2, s4, s2
	s_addc_u32 s3, s5, s3
	v_lshlrev_b32_e32 v0, 4, v0
	v_mov_b32_e32 v1, 0
	v_lshl_add_u64 v[2:3], s[2:3], 0, v[0:1]
	s_or_b64 s[0:1], s[0:1], exec
.LBB84_6:
	s_and_saveexec_b64 s[2:3], s[0:1]
	s_cbranch_execnz .LBB84_8
; %bb.7:
	s_endpgm
.LBB84_8:
	v_mov_b32_e32 v0, 0
	v_mov_b32_e32 v1, v0
	flat_store_byte v[2:3], v0
	flat_store_dwordx2 v[2:3], v[0:1] offset:8
	s_endpgm
	.section	.rodata,"a",@progbits
	.p2align	6, 0x0
	.amdhsa_kernel _ZN6thrust23THRUST_200600_302600_NS11hip_rocprim14__parallel_for6kernelILj256ENS1_10for_each_fINS0_7pointerINS0_5tupleIblNS0_9null_typeES7_S7_S7_S7_S7_S7_S7_EENS1_3tagENS0_11use_defaultESA_EENS0_6detail16wrapped_functionINSC_23allocator_traits_detail24construct1_via_allocatorINSC_18no_throw_allocatorINSC_19temporary_allocatorIS8_S9_EEEEEEvEEEEmLj1EEEvT0_T1_SO_
		.amdhsa_group_segment_fixed_size 0
		.amdhsa_private_segment_fixed_size 0
		.amdhsa_kernarg_size 32
		.amdhsa_user_sgpr_count 2
		.amdhsa_user_sgpr_dispatch_ptr 0
		.amdhsa_user_sgpr_queue_ptr 0
		.amdhsa_user_sgpr_kernarg_segment_ptr 1
		.amdhsa_user_sgpr_dispatch_id 0
		.amdhsa_user_sgpr_kernarg_preload_length 0
		.amdhsa_user_sgpr_kernarg_preload_offset 0
		.amdhsa_user_sgpr_private_segment_size 0
		.amdhsa_uses_dynamic_stack 0
		.amdhsa_enable_private_segment 0
		.amdhsa_system_sgpr_workgroup_id_x 1
		.amdhsa_system_sgpr_workgroup_id_y 0
		.amdhsa_system_sgpr_workgroup_id_z 0
		.amdhsa_system_sgpr_workgroup_info 0
		.amdhsa_system_vgpr_workitem_id 0
		.amdhsa_next_free_vgpr 4
		.amdhsa_next_free_sgpr 12
		.amdhsa_accum_offset 4
		.amdhsa_reserve_vcc 1
		.amdhsa_float_round_mode_32 0
		.amdhsa_float_round_mode_16_64 0
		.amdhsa_float_denorm_mode_32 3
		.amdhsa_float_denorm_mode_16_64 3
		.amdhsa_dx10_clamp 1
		.amdhsa_ieee_mode 1
		.amdhsa_fp16_overflow 0
		.amdhsa_tg_split 0
		.amdhsa_exception_fp_ieee_invalid_op 0
		.amdhsa_exception_fp_denorm_src 0
		.amdhsa_exception_fp_ieee_div_zero 0
		.amdhsa_exception_fp_ieee_overflow 0
		.amdhsa_exception_fp_ieee_underflow 0
		.amdhsa_exception_fp_ieee_inexact 0
		.amdhsa_exception_int_div_zero 0
	.end_amdhsa_kernel
	.section	.text._ZN6thrust23THRUST_200600_302600_NS11hip_rocprim14__parallel_for6kernelILj256ENS1_10for_each_fINS0_7pointerINS0_5tupleIblNS0_9null_typeES7_S7_S7_S7_S7_S7_S7_EENS1_3tagENS0_11use_defaultESA_EENS0_6detail16wrapped_functionINSC_23allocator_traits_detail24construct1_via_allocatorINSC_18no_throw_allocatorINSC_19temporary_allocatorIS8_S9_EEEEEEvEEEEmLj1EEEvT0_T1_SO_,"axG",@progbits,_ZN6thrust23THRUST_200600_302600_NS11hip_rocprim14__parallel_for6kernelILj256ENS1_10for_each_fINS0_7pointerINS0_5tupleIblNS0_9null_typeES7_S7_S7_S7_S7_S7_S7_EENS1_3tagENS0_11use_defaultESA_EENS0_6detail16wrapped_functionINSC_23allocator_traits_detail24construct1_via_allocatorINSC_18no_throw_allocatorINSC_19temporary_allocatorIS8_S9_EEEEEEvEEEEmLj1EEEvT0_T1_SO_,comdat
.Lfunc_end84:
	.size	_ZN6thrust23THRUST_200600_302600_NS11hip_rocprim14__parallel_for6kernelILj256ENS1_10for_each_fINS0_7pointerINS0_5tupleIblNS0_9null_typeES7_S7_S7_S7_S7_S7_S7_EENS1_3tagENS0_11use_defaultESA_EENS0_6detail16wrapped_functionINSC_23allocator_traits_detail24construct1_via_allocatorINSC_18no_throw_allocatorINSC_19temporary_allocatorIS8_S9_EEEEEEvEEEEmLj1EEEvT0_T1_SO_, .Lfunc_end84-_ZN6thrust23THRUST_200600_302600_NS11hip_rocprim14__parallel_for6kernelILj256ENS1_10for_each_fINS0_7pointerINS0_5tupleIblNS0_9null_typeES7_S7_S7_S7_S7_S7_S7_EENS1_3tagENS0_11use_defaultESA_EENS0_6detail16wrapped_functionINSC_23allocator_traits_detail24construct1_via_allocatorINSC_18no_throw_allocatorINSC_19temporary_allocatorIS8_S9_EEEEEEvEEEEmLj1EEEvT0_T1_SO_
                                        ; -- End function
	.section	.AMDGPU.csdata,"",@progbits
; Kernel info:
; codeLenInByte = 204
; NumSgprs: 18
; NumVgprs: 4
; NumAgprs: 0
; TotalNumVgprs: 4
; ScratchSize: 0
; MemoryBound: 0
; FloatMode: 240
; IeeeMode: 1
; LDSByteSize: 0 bytes/workgroup (compile time only)
; SGPRBlocks: 2
; VGPRBlocks: 0
; NumSGPRsForWavesPerEU: 18
; NumVGPRsForWavesPerEU: 4
; AccumOffset: 4
; Occupancy: 8
; WaveLimiterHint : 0
; COMPUTE_PGM_RSRC2:SCRATCH_EN: 0
; COMPUTE_PGM_RSRC2:USER_SGPR: 2
; COMPUTE_PGM_RSRC2:TRAP_HANDLER: 0
; COMPUTE_PGM_RSRC2:TGID_X_EN: 1
; COMPUTE_PGM_RSRC2:TGID_Y_EN: 0
; COMPUTE_PGM_RSRC2:TGID_Z_EN: 0
; COMPUTE_PGM_RSRC2:TIDIG_COMP_CNT: 0
; COMPUTE_PGM_RSRC3_GFX90A:ACCUM_OFFSET: 0
; COMPUTE_PGM_RSRC3_GFX90A:TG_SPLIT: 0
	.section	.text._ZN6thrust23THRUST_200600_302600_NS11hip_rocprim14__parallel_for6kernelILj256ENS1_10for_each_fINS0_7pointerINS0_5tupleIblNS0_9null_typeES7_S7_S7_S7_S7_S7_S7_EENS1_3tagENS0_11use_defaultESA_EENS0_6detail16wrapped_functionINSC_23allocator_traits_detail5gozerEvEEEElLj1EEEvT0_T1_SJ_,"axG",@progbits,_ZN6thrust23THRUST_200600_302600_NS11hip_rocprim14__parallel_for6kernelILj256ENS1_10for_each_fINS0_7pointerINS0_5tupleIblNS0_9null_typeES7_S7_S7_S7_S7_S7_S7_EENS1_3tagENS0_11use_defaultESA_EENS0_6detail16wrapped_functionINSC_23allocator_traits_detail5gozerEvEEEElLj1EEEvT0_T1_SJ_,comdat
	.protected	_ZN6thrust23THRUST_200600_302600_NS11hip_rocprim14__parallel_for6kernelILj256ENS1_10for_each_fINS0_7pointerINS0_5tupleIblNS0_9null_typeES7_S7_S7_S7_S7_S7_S7_EENS1_3tagENS0_11use_defaultESA_EENS0_6detail16wrapped_functionINSC_23allocator_traits_detail5gozerEvEEEElLj1EEEvT0_T1_SJ_ ; -- Begin function _ZN6thrust23THRUST_200600_302600_NS11hip_rocprim14__parallel_for6kernelILj256ENS1_10for_each_fINS0_7pointerINS0_5tupleIblNS0_9null_typeES7_S7_S7_S7_S7_S7_S7_EENS1_3tagENS0_11use_defaultESA_EENS0_6detail16wrapped_functionINSC_23allocator_traits_detail5gozerEvEEEElLj1EEEvT0_T1_SJ_
	.globl	_ZN6thrust23THRUST_200600_302600_NS11hip_rocprim14__parallel_for6kernelILj256ENS1_10for_each_fINS0_7pointerINS0_5tupleIblNS0_9null_typeES7_S7_S7_S7_S7_S7_S7_EENS1_3tagENS0_11use_defaultESA_EENS0_6detail16wrapped_functionINSC_23allocator_traits_detail5gozerEvEEEElLj1EEEvT0_T1_SJ_
	.p2align	8
	.type	_ZN6thrust23THRUST_200600_302600_NS11hip_rocprim14__parallel_for6kernelILj256ENS1_10for_each_fINS0_7pointerINS0_5tupleIblNS0_9null_typeES7_S7_S7_S7_S7_S7_S7_EENS1_3tagENS0_11use_defaultESA_EENS0_6detail16wrapped_functionINSC_23allocator_traits_detail5gozerEvEEEElLj1EEEvT0_T1_SJ_,@function
_ZN6thrust23THRUST_200600_302600_NS11hip_rocprim14__parallel_for6kernelILj256ENS1_10for_each_fINS0_7pointerINS0_5tupleIblNS0_9null_typeES7_S7_S7_S7_S7_S7_S7_EENS1_3tagENS0_11use_defaultESA_EENS0_6detail16wrapped_functionINSC_23allocator_traits_detail5gozerEvEEEElLj1EEEvT0_T1_SJ_: ; @_ZN6thrust23THRUST_200600_302600_NS11hip_rocprim14__parallel_for6kernelILj256ENS1_10for_each_fINS0_7pointerINS0_5tupleIblNS0_9null_typeES7_S7_S7_S7_S7_S7_S7_EENS1_3tagENS0_11use_defaultESA_EENS0_6detail16wrapped_functionINSC_23allocator_traits_detail5gozerEvEEEElLj1EEEvT0_T1_SJ_
; %bb.0:
	s_endpgm
	.section	.rodata,"a",@progbits
	.p2align	6, 0x0
	.amdhsa_kernel _ZN6thrust23THRUST_200600_302600_NS11hip_rocprim14__parallel_for6kernelILj256ENS1_10for_each_fINS0_7pointerINS0_5tupleIblNS0_9null_typeES7_S7_S7_S7_S7_S7_S7_EENS1_3tagENS0_11use_defaultESA_EENS0_6detail16wrapped_functionINSC_23allocator_traits_detail5gozerEvEEEElLj1EEEvT0_T1_SJ_
		.amdhsa_group_segment_fixed_size 0
		.amdhsa_private_segment_fixed_size 0
		.amdhsa_kernarg_size 32
		.amdhsa_user_sgpr_count 2
		.amdhsa_user_sgpr_dispatch_ptr 0
		.amdhsa_user_sgpr_queue_ptr 0
		.amdhsa_user_sgpr_kernarg_segment_ptr 1
		.amdhsa_user_sgpr_dispatch_id 0
		.amdhsa_user_sgpr_kernarg_preload_length 0
		.amdhsa_user_sgpr_kernarg_preload_offset 0
		.amdhsa_user_sgpr_private_segment_size 0
		.amdhsa_uses_dynamic_stack 0
		.amdhsa_enable_private_segment 0
		.amdhsa_system_sgpr_workgroup_id_x 1
		.amdhsa_system_sgpr_workgroup_id_y 0
		.amdhsa_system_sgpr_workgroup_id_z 0
		.amdhsa_system_sgpr_workgroup_info 0
		.amdhsa_system_vgpr_workitem_id 0
		.amdhsa_next_free_vgpr 1
		.amdhsa_next_free_sgpr 0
		.amdhsa_accum_offset 4
		.amdhsa_reserve_vcc 0
		.amdhsa_float_round_mode_32 0
		.amdhsa_float_round_mode_16_64 0
		.amdhsa_float_denorm_mode_32 3
		.amdhsa_float_denorm_mode_16_64 3
		.amdhsa_dx10_clamp 1
		.amdhsa_ieee_mode 1
		.amdhsa_fp16_overflow 0
		.amdhsa_tg_split 0
		.amdhsa_exception_fp_ieee_invalid_op 0
		.amdhsa_exception_fp_denorm_src 0
		.amdhsa_exception_fp_ieee_div_zero 0
		.amdhsa_exception_fp_ieee_overflow 0
		.amdhsa_exception_fp_ieee_underflow 0
		.amdhsa_exception_fp_ieee_inexact 0
		.amdhsa_exception_int_div_zero 0
	.end_amdhsa_kernel
	.section	.text._ZN6thrust23THRUST_200600_302600_NS11hip_rocprim14__parallel_for6kernelILj256ENS1_10for_each_fINS0_7pointerINS0_5tupleIblNS0_9null_typeES7_S7_S7_S7_S7_S7_S7_EENS1_3tagENS0_11use_defaultESA_EENS0_6detail16wrapped_functionINSC_23allocator_traits_detail5gozerEvEEEElLj1EEEvT0_T1_SJ_,"axG",@progbits,_ZN6thrust23THRUST_200600_302600_NS11hip_rocprim14__parallel_for6kernelILj256ENS1_10for_each_fINS0_7pointerINS0_5tupleIblNS0_9null_typeES7_S7_S7_S7_S7_S7_S7_EENS1_3tagENS0_11use_defaultESA_EENS0_6detail16wrapped_functionINSC_23allocator_traits_detail5gozerEvEEEElLj1EEEvT0_T1_SJ_,comdat
.Lfunc_end85:
	.size	_ZN6thrust23THRUST_200600_302600_NS11hip_rocprim14__parallel_for6kernelILj256ENS1_10for_each_fINS0_7pointerINS0_5tupleIblNS0_9null_typeES7_S7_S7_S7_S7_S7_S7_EENS1_3tagENS0_11use_defaultESA_EENS0_6detail16wrapped_functionINSC_23allocator_traits_detail5gozerEvEEEElLj1EEEvT0_T1_SJ_, .Lfunc_end85-_ZN6thrust23THRUST_200600_302600_NS11hip_rocprim14__parallel_for6kernelILj256ENS1_10for_each_fINS0_7pointerINS0_5tupleIblNS0_9null_typeES7_S7_S7_S7_S7_S7_S7_EENS1_3tagENS0_11use_defaultESA_EENS0_6detail16wrapped_functionINSC_23allocator_traits_detail5gozerEvEEEElLj1EEEvT0_T1_SJ_
                                        ; -- End function
	.section	.AMDGPU.csdata,"",@progbits
; Kernel info:
; codeLenInByte = 4
; NumSgprs: 6
; NumVgprs: 0
; NumAgprs: 0
; TotalNumVgprs: 0
; ScratchSize: 0
; MemoryBound: 0
; FloatMode: 240
; IeeeMode: 1
; LDSByteSize: 0 bytes/workgroup (compile time only)
; SGPRBlocks: 0
; VGPRBlocks: 0
; NumSGPRsForWavesPerEU: 6
; NumVGPRsForWavesPerEU: 1
; AccumOffset: 4
; Occupancy: 8
; WaveLimiterHint : 0
; COMPUTE_PGM_RSRC2:SCRATCH_EN: 0
; COMPUTE_PGM_RSRC2:USER_SGPR: 2
; COMPUTE_PGM_RSRC2:TRAP_HANDLER: 0
; COMPUTE_PGM_RSRC2:TGID_X_EN: 1
; COMPUTE_PGM_RSRC2:TGID_Y_EN: 0
; COMPUTE_PGM_RSRC2:TGID_Z_EN: 0
; COMPUTE_PGM_RSRC2:TIDIG_COMP_CNT: 0
; COMPUTE_PGM_RSRC3_GFX90A:ACCUM_OFFSET: 0
; COMPUTE_PGM_RSRC3_GFX90A:TG_SPLIT: 0
	.section	.text._ZN6thrust23THRUST_200600_302600_NS11hip_rocprim14__parallel_for6kernelILj256ENS1_20__uninitialized_copy7functorIPNS0_5tupleIblNS0_9null_typeES7_S7_S7_S7_S7_S7_S7_EENS0_7pointerIS8_NS1_3tagENS0_11use_defaultESC_EEEEmLj1EEEvT0_T1_SG_,"axG",@progbits,_ZN6thrust23THRUST_200600_302600_NS11hip_rocprim14__parallel_for6kernelILj256ENS1_20__uninitialized_copy7functorIPNS0_5tupleIblNS0_9null_typeES7_S7_S7_S7_S7_S7_S7_EENS0_7pointerIS8_NS1_3tagENS0_11use_defaultESC_EEEEmLj1EEEvT0_T1_SG_,comdat
	.protected	_ZN6thrust23THRUST_200600_302600_NS11hip_rocprim14__parallel_for6kernelILj256ENS1_20__uninitialized_copy7functorIPNS0_5tupleIblNS0_9null_typeES7_S7_S7_S7_S7_S7_S7_EENS0_7pointerIS8_NS1_3tagENS0_11use_defaultESC_EEEEmLj1EEEvT0_T1_SG_ ; -- Begin function _ZN6thrust23THRUST_200600_302600_NS11hip_rocprim14__parallel_for6kernelILj256ENS1_20__uninitialized_copy7functorIPNS0_5tupleIblNS0_9null_typeES7_S7_S7_S7_S7_S7_S7_EENS0_7pointerIS8_NS1_3tagENS0_11use_defaultESC_EEEEmLj1EEEvT0_T1_SG_
	.globl	_ZN6thrust23THRUST_200600_302600_NS11hip_rocprim14__parallel_for6kernelILj256ENS1_20__uninitialized_copy7functorIPNS0_5tupleIblNS0_9null_typeES7_S7_S7_S7_S7_S7_S7_EENS0_7pointerIS8_NS1_3tagENS0_11use_defaultESC_EEEEmLj1EEEvT0_T1_SG_
	.p2align	8
	.type	_ZN6thrust23THRUST_200600_302600_NS11hip_rocprim14__parallel_for6kernelILj256ENS1_20__uninitialized_copy7functorIPNS0_5tupleIblNS0_9null_typeES7_S7_S7_S7_S7_S7_S7_EENS0_7pointerIS8_NS1_3tagENS0_11use_defaultESC_EEEEmLj1EEEvT0_T1_SG_,@function
_ZN6thrust23THRUST_200600_302600_NS11hip_rocprim14__parallel_for6kernelILj256ENS1_20__uninitialized_copy7functorIPNS0_5tupleIblNS0_9null_typeES7_S7_S7_S7_S7_S7_S7_EENS0_7pointerIS8_NS1_3tagENS0_11use_defaultESC_EEEEmLj1EEEvT0_T1_SG_: ; @_ZN6thrust23THRUST_200600_302600_NS11hip_rocprim14__parallel_for6kernelILj256ENS1_20__uninitialized_copy7functorIPNS0_5tupleIblNS0_9null_typeES7_S7_S7_S7_S7_S7_S7_EENS0_7pointerIS8_NS1_3tagENS0_11use_defaultESC_EEEEmLj1EEEvT0_T1_SG_
; %bb.0:
	s_load_dwordx8 s[4:11], s[0:1], 0x0
	s_lshl_b32 s0, s2, 8
	v_mov_b64_e32 v[2:3], 0x100
	s_mov_b64 s[2:3], -1
	s_waitcnt lgkmcnt(0)
	s_add_u32 s0, s0, s10
	s_addc_u32 s1, 0, s11
	s_sub_u32 s8, s8, s0
	s_subb_u32 s9, s9, s1
	v_cmp_lt_u64_e32 vcc, s[8:9], v[2:3]
	s_cbranch_vccnz .LBB86_3
; %bb.1:
	s_andn2_b64 vcc, exec, s[2:3]
	s_cbranch_vccz .LBB86_6
.LBB86_2:
	s_endpgm
.LBB86_3:
	v_cmp_gt_u32_e32 vcc, s8, v0
	s_and_saveexec_b64 s[2:3], vcc
	s_cbranch_execz .LBB86_5
; %bb.4:
	v_mov_b32_e32 v1, 0
	v_lshl_add_u64 v[2:3], s[0:1], 0, v[0:1]
	v_lshlrev_b64 v[6:7], 4, v[2:3]
	v_lshl_add_u64 v[2:3], s[4:5], 0, v[6:7]
	global_load_dwordx4 v[2:5], v[2:3], off
	v_lshl_add_u64 v[6:7], s[6:7], 0, v[6:7]
	s_waitcnt vmcnt(0)
	flat_store_dwordx4 v[6:7], v[2:5]
.LBB86_5:
	s_or_b64 exec, exec, s[2:3]
	s_cbranch_execnz .LBB86_2
.LBB86_6:
	v_mov_b32_e32 v1, 0
	v_lshl_add_u64 v[0:1], s[0:1], 0, v[0:1]
	v_lshlrev_b64 v[4:5], 4, v[0:1]
	v_lshl_add_u64 v[0:1], s[4:5], 0, v[4:5]
	global_load_dwordx4 v[0:3], v[0:1], off
	v_lshl_add_u64 v[4:5], s[6:7], 0, v[4:5]
	s_waitcnt vmcnt(0)
	flat_store_dwordx4 v[4:5], v[0:3]
	s_endpgm
	.section	.rodata,"a",@progbits
	.p2align	6, 0x0
	.amdhsa_kernel _ZN6thrust23THRUST_200600_302600_NS11hip_rocprim14__parallel_for6kernelILj256ENS1_20__uninitialized_copy7functorIPNS0_5tupleIblNS0_9null_typeES7_S7_S7_S7_S7_S7_S7_EENS0_7pointerIS8_NS1_3tagENS0_11use_defaultESC_EEEEmLj1EEEvT0_T1_SG_
		.amdhsa_group_segment_fixed_size 0
		.amdhsa_private_segment_fixed_size 0
		.amdhsa_kernarg_size 32
		.amdhsa_user_sgpr_count 2
		.amdhsa_user_sgpr_dispatch_ptr 0
		.amdhsa_user_sgpr_queue_ptr 0
		.amdhsa_user_sgpr_kernarg_segment_ptr 1
		.amdhsa_user_sgpr_dispatch_id 0
		.amdhsa_user_sgpr_kernarg_preload_length 0
		.amdhsa_user_sgpr_kernarg_preload_offset 0
		.amdhsa_user_sgpr_private_segment_size 0
		.amdhsa_uses_dynamic_stack 0
		.amdhsa_enable_private_segment 0
		.amdhsa_system_sgpr_workgroup_id_x 1
		.amdhsa_system_sgpr_workgroup_id_y 0
		.amdhsa_system_sgpr_workgroup_id_z 0
		.amdhsa_system_sgpr_workgroup_info 0
		.amdhsa_system_vgpr_workitem_id 0
		.amdhsa_next_free_vgpr 8
		.amdhsa_next_free_sgpr 12
		.amdhsa_accum_offset 8
		.amdhsa_reserve_vcc 1
		.amdhsa_float_round_mode_32 0
		.amdhsa_float_round_mode_16_64 0
		.amdhsa_float_denorm_mode_32 3
		.amdhsa_float_denorm_mode_16_64 3
		.amdhsa_dx10_clamp 1
		.amdhsa_ieee_mode 1
		.amdhsa_fp16_overflow 0
		.amdhsa_tg_split 0
		.amdhsa_exception_fp_ieee_invalid_op 0
		.amdhsa_exception_fp_denorm_src 0
		.amdhsa_exception_fp_ieee_div_zero 0
		.amdhsa_exception_fp_ieee_overflow 0
		.amdhsa_exception_fp_ieee_underflow 0
		.amdhsa_exception_fp_ieee_inexact 0
		.amdhsa_exception_int_div_zero 0
	.end_amdhsa_kernel
	.section	.text._ZN6thrust23THRUST_200600_302600_NS11hip_rocprim14__parallel_for6kernelILj256ENS1_20__uninitialized_copy7functorIPNS0_5tupleIblNS0_9null_typeES7_S7_S7_S7_S7_S7_S7_EENS0_7pointerIS8_NS1_3tagENS0_11use_defaultESC_EEEEmLj1EEEvT0_T1_SG_,"axG",@progbits,_ZN6thrust23THRUST_200600_302600_NS11hip_rocprim14__parallel_for6kernelILj256ENS1_20__uninitialized_copy7functorIPNS0_5tupleIblNS0_9null_typeES7_S7_S7_S7_S7_S7_S7_EENS0_7pointerIS8_NS1_3tagENS0_11use_defaultESC_EEEEmLj1EEEvT0_T1_SG_,comdat
.Lfunc_end86:
	.size	_ZN6thrust23THRUST_200600_302600_NS11hip_rocprim14__parallel_for6kernelILj256ENS1_20__uninitialized_copy7functorIPNS0_5tupleIblNS0_9null_typeES7_S7_S7_S7_S7_S7_S7_EENS0_7pointerIS8_NS1_3tagENS0_11use_defaultESC_EEEEmLj1EEEvT0_T1_SG_, .Lfunc_end86-_ZN6thrust23THRUST_200600_302600_NS11hip_rocprim14__parallel_for6kernelILj256ENS1_20__uninitialized_copy7functorIPNS0_5tupleIblNS0_9null_typeES7_S7_S7_S7_S7_S7_S7_EENS0_7pointerIS8_NS1_3tagENS0_11use_defaultESC_EEEEmLj1EEEvT0_T1_SG_
                                        ; -- End function
	.section	.AMDGPU.csdata,"",@progbits
; Kernel info:
; codeLenInByte = 200
; NumSgprs: 18
; NumVgprs: 8
; NumAgprs: 0
; TotalNumVgprs: 8
; ScratchSize: 0
; MemoryBound: 0
; FloatMode: 240
; IeeeMode: 1
; LDSByteSize: 0 bytes/workgroup (compile time only)
; SGPRBlocks: 2
; VGPRBlocks: 0
; NumSGPRsForWavesPerEU: 18
; NumVGPRsForWavesPerEU: 8
; AccumOffset: 8
; Occupancy: 8
; WaveLimiterHint : 0
; COMPUTE_PGM_RSRC2:SCRATCH_EN: 0
; COMPUTE_PGM_RSRC2:USER_SGPR: 2
; COMPUTE_PGM_RSRC2:TRAP_HANDLER: 0
; COMPUTE_PGM_RSRC2:TGID_X_EN: 1
; COMPUTE_PGM_RSRC2:TGID_Y_EN: 0
; COMPUTE_PGM_RSRC2:TGID_Z_EN: 0
; COMPUTE_PGM_RSRC2:TIDIG_COMP_CNT: 0
; COMPUTE_PGM_RSRC3_GFX90A:ACCUM_OFFSET: 1
; COMPUTE_PGM_RSRC3_GFX90A:TG_SPLIT: 0
	.section	.text._ZN6thrust23THRUST_200600_302600_NS11hip_rocprim14__parallel_for6kernelILj256ENS1_20__uninitialized_copy7functorINS0_6detail15normal_iteratorINS0_10device_ptrIiEEEENS7_INS0_7pointerIiNS1_3tagENS0_11use_defaultESD_EEEEEElLj1EEEvT0_T1_SI_,"axG",@progbits,_ZN6thrust23THRUST_200600_302600_NS11hip_rocprim14__parallel_for6kernelILj256ENS1_20__uninitialized_copy7functorINS0_6detail15normal_iteratorINS0_10device_ptrIiEEEENS7_INS0_7pointerIiNS1_3tagENS0_11use_defaultESD_EEEEEElLj1EEEvT0_T1_SI_,comdat
	.protected	_ZN6thrust23THRUST_200600_302600_NS11hip_rocprim14__parallel_for6kernelILj256ENS1_20__uninitialized_copy7functorINS0_6detail15normal_iteratorINS0_10device_ptrIiEEEENS7_INS0_7pointerIiNS1_3tagENS0_11use_defaultESD_EEEEEElLj1EEEvT0_T1_SI_ ; -- Begin function _ZN6thrust23THRUST_200600_302600_NS11hip_rocprim14__parallel_for6kernelILj256ENS1_20__uninitialized_copy7functorINS0_6detail15normal_iteratorINS0_10device_ptrIiEEEENS7_INS0_7pointerIiNS1_3tagENS0_11use_defaultESD_EEEEEElLj1EEEvT0_T1_SI_
	.globl	_ZN6thrust23THRUST_200600_302600_NS11hip_rocprim14__parallel_for6kernelILj256ENS1_20__uninitialized_copy7functorINS0_6detail15normal_iteratorINS0_10device_ptrIiEEEENS7_INS0_7pointerIiNS1_3tagENS0_11use_defaultESD_EEEEEElLj1EEEvT0_T1_SI_
	.p2align	8
	.type	_ZN6thrust23THRUST_200600_302600_NS11hip_rocprim14__parallel_for6kernelILj256ENS1_20__uninitialized_copy7functorINS0_6detail15normal_iteratorINS0_10device_ptrIiEEEENS7_INS0_7pointerIiNS1_3tagENS0_11use_defaultESD_EEEEEElLj1EEEvT0_T1_SI_,@function
_ZN6thrust23THRUST_200600_302600_NS11hip_rocprim14__parallel_for6kernelILj256ENS1_20__uninitialized_copy7functorINS0_6detail15normal_iteratorINS0_10device_ptrIiEEEENS7_INS0_7pointerIiNS1_3tagENS0_11use_defaultESD_EEEEEElLj1EEEvT0_T1_SI_: ; @_ZN6thrust23THRUST_200600_302600_NS11hip_rocprim14__parallel_for6kernelILj256ENS1_20__uninitialized_copy7functorINS0_6detail15normal_iteratorINS0_10device_ptrIiEEEENS7_INS0_7pointerIiNS1_3tagENS0_11use_defaultESD_EEEEEElLj1EEEvT0_T1_SI_
; %bb.0:
	s_load_dwordx8 s[4:11], s[0:1], 0x0
	s_lshl_b32 s0, s2, 8
	v_mov_b64_e32 v[2:3], 0x100
	s_waitcnt lgkmcnt(0)
	s_add_u32 s0, s0, s10
	s_addc_u32 s1, 0, s11
	s_sub_u32 s2, s8, s0
	s_subb_u32 s3, s9, s1
	v_cmp_lt_i64_e32 vcc, s[2:3], v[2:3]
	s_and_b64 s[8:9], vcc, exec
	s_cselect_b32 s2, s2, 0x100
	s_cmpk_lg_i32 s2, 0x100
	s_cbranch_scc0 .LBB87_4
; %bb.1:
	v_cmp_gt_u32_e32 vcc, s2, v0
	s_mov_b64 s[8:9], 0
	s_mov_b64 s[2:3], 0
                                        ; implicit-def: $vgpr2_vgpr3
                                        ; implicit-def: $vgpr4_vgpr5
	s_and_saveexec_b64 s[10:11], vcc
	s_xor_b64 s[10:11], exec, s[10:11]
; %bb.2:
	v_mov_b32_e32 v1, 0
	v_lshl_add_u64 v[2:3], s[0:1], 0, v[0:1]
	v_lshlrev_b64 v[4:5], 2, v[2:3]
	s_mov_b64 s[2:3], exec
	v_lshl_add_u64 v[2:3], s[6:7], 0, v[4:5]
	v_lshl_add_u64 v[4:5], s[4:5], 0, v[4:5]
; %bb.3:
	s_or_b64 exec, exec, s[10:11]
	s_and_b64 vcc, exec, s[8:9]
	s_cbranch_vccnz .LBB87_5
	s_branch .LBB87_6
.LBB87_4:
	s_mov_b64 s[2:3], 0
                                        ; implicit-def: $vgpr2_vgpr3
                                        ; implicit-def: $vgpr4_vgpr5
	s_cbranch_execz .LBB87_6
.LBB87_5:
	v_mov_b32_e32 v1, 0
	v_lshl_add_u64 v[0:1], s[0:1], 0, v[0:1]
	v_lshlrev_b64 v[0:1], 2, v[0:1]
	v_lshl_add_u64 v[4:5], s[4:5], 0, v[0:1]
	v_lshl_add_u64 v[2:3], s[6:7], 0, v[0:1]
	s_or_b64 s[2:3], s[2:3], exec
.LBB87_6:
	s_and_saveexec_b64 s[0:1], s[2:3]
	s_cbranch_execnz .LBB87_8
; %bb.7:
	s_endpgm
.LBB87_8:
	flat_load_dword v0, v[4:5]
	s_waitcnt vmcnt(0) lgkmcnt(0)
	flat_store_dword v[2:3], v0
	s_endpgm
	.section	.rodata,"a",@progbits
	.p2align	6, 0x0
	.amdhsa_kernel _ZN6thrust23THRUST_200600_302600_NS11hip_rocprim14__parallel_for6kernelILj256ENS1_20__uninitialized_copy7functorINS0_6detail15normal_iteratorINS0_10device_ptrIiEEEENS7_INS0_7pointerIiNS1_3tagENS0_11use_defaultESD_EEEEEElLj1EEEvT0_T1_SI_
		.amdhsa_group_segment_fixed_size 0
		.amdhsa_private_segment_fixed_size 0
		.amdhsa_kernarg_size 32
		.amdhsa_user_sgpr_count 2
		.amdhsa_user_sgpr_dispatch_ptr 0
		.amdhsa_user_sgpr_queue_ptr 0
		.amdhsa_user_sgpr_kernarg_segment_ptr 1
		.amdhsa_user_sgpr_dispatch_id 0
		.amdhsa_user_sgpr_kernarg_preload_length 0
		.amdhsa_user_sgpr_kernarg_preload_offset 0
		.amdhsa_user_sgpr_private_segment_size 0
		.amdhsa_uses_dynamic_stack 0
		.amdhsa_enable_private_segment 0
		.amdhsa_system_sgpr_workgroup_id_x 1
		.amdhsa_system_sgpr_workgroup_id_y 0
		.amdhsa_system_sgpr_workgroup_id_z 0
		.amdhsa_system_sgpr_workgroup_info 0
		.amdhsa_system_vgpr_workitem_id 0
		.amdhsa_next_free_vgpr 6
		.amdhsa_next_free_sgpr 12
		.amdhsa_accum_offset 8
		.amdhsa_reserve_vcc 1
		.amdhsa_float_round_mode_32 0
		.amdhsa_float_round_mode_16_64 0
		.amdhsa_float_denorm_mode_32 3
		.amdhsa_float_denorm_mode_16_64 3
		.amdhsa_dx10_clamp 1
		.amdhsa_ieee_mode 1
		.amdhsa_fp16_overflow 0
		.amdhsa_tg_split 0
		.amdhsa_exception_fp_ieee_invalid_op 0
		.amdhsa_exception_fp_denorm_src 0
		.amdhsa_exception_fp_ieee_div_zero 0
		.amdhsa_exception_fp_ieee_overflow 0
		.amdhsa_exception_fp_ieee_underflow 0
		.amdhsa_exception_fp_ieee_inexact 0
		.amdhsa_exception_int_div_zero 0
	.end_amdhsa_kernel
	.section	.text._ZN6thrust23THRUST_200600_302600_NS11hip_rocprim14__parallel_for6kernelILj256ENS1_20__uninitialized_copy7functorINS0_6detail15normal_iteratorINS0_10device_ptrIiEEEENS7_INS0_7pointerIiNS1_3tagENS0_11use_defaultESD_EEEEEElLj1EEEvT0_T1_SI_,"axG",@progbits,_ZN6thrust23THRUST_200600_302600_NS11hip_rocprim14__parallel_for6kernelILj256ENS1_20__uninitialized_copy7functorINS0_6detail15normal_iteratorINS0_10device_ptrIiEEEENS7_INS0_7pointerIiNS1_3tagENS0_11use_defaultESD_EEEEEElLj1EEEvT0_T1_SI_,comdat
.Lfunc_end87:
	.size	_ZN6thrust23THRUST_200600_302600_NS11hip_rocprim14__parallel_for6kernelILj256ENS1_20__uninitialized_copy7functorINS0_6detail15normal_iteratorINS0_10device_ptrIiEEEENS7_INS0_7pointerIiNS1_3tagENS0_11use_defaultESD_EEEEEElLj1EEEvT0_T1_SI_, .Lfunc_end87-_ZN6thrust23THRUST_200600_302600_NS11hip_rocprim14__parallel_for6kernelILj256ENS1_20__uninitialized_copy7functorINS0_6detail15normal_iteratorINS0_10device_ptrIiEEEENS7_INS0_7pointerIiNS1_3tagENS0_11use_defaultESD_EEEEEElLj1EEEvT0_T1_SI_
                                        ; -- End function
	.section	.AMDGPU.csdata,"",@progbits
; Kernel info:
; codeLenInByte = 224
; NumSgprs: 18
; NumVgprs: 6
; NumAgprs: 0
; TotalNumVgprs: 6
; ScratchSize: 0
; MemoryBound: 0
; FloatMode: 240
; IeeeMode: 1
; LDSByteSize: 0 bytes/workgroup (compile time only)
; SGPRBlocks: 2
; VGPRBlocks: 0
; NumSGPRsForWavesPerEU: 18
; NumVGPRsForWavesPerEU: 6
; AccumOffset: 8
; Occupancy: 8
; WaveLimiterHint : 0
; COMPUTE_PGM_RSRC2:SCRATCH_EN: 0
; COMPUTE_PGM_RSRC2:USER_SGPR: 2
; COMPUTE_PGM_RSRC2:TRAP_HANDLER: 0
; COMPUTE_PGM_RSRC2:TGID_X_EN: 1
; COMPUTE_PGM_RSRC2:TGID_Y_EN: 0
; COMPUTE_PGM_RSRC2:TGID_Z_EN: 0
; COMPUTE_PGM_RSRC2:TIDIG_COMP_CNT: 0
; COMPUTE_PGM_RSRC3_GFX90A:ACCUM_OFFSET: 1
; COMPUTE_PGM_RSRC3_GFX90A:TG_SPLIT: 0
	.section	.text._ZN7rocprim17ROCPRIM_400000_NS6detail17trampoline_kernelINS0_14default_configENS1_25partition_config_selectorILNS1_17partition_subalgoE3EiNS0_10empty_typeEbEEZZNS1_14partition_implILS5_3ELb0ES3_jN6thrust23THRUST_200600_302600_NS6detail15normal_iteratorINSA_7pointerIiNSA_11hip_rocprim3tagENSA_11use_defaultESG_EEEEPS6_SJ_NS0_5tupleIJPiSJ_EEENSK_IJSJ_SJ_EEES6_PlJ7is_evenIiEEEE10hipError_tPvRmT3_T4_T5_T6_T7_T9_mT8_P12ihipStream_tbDpT10_ENKUlT_T0_E_clISt17integral_constantIbLb0EES1A_EEDaS15_S16_EUlS15_E_NS1_11comp_targetILNS1_3genE0ELNS1_11target_archE4294967295ELNS1_3gpuE0ELNS1_3repE0EEENS1_30default_config_static_selectorELNS0_4arch9wavefront6targetE1EEEvT1_,"axG",@progbits,_ZN7rocprim17ROCPRIM_400000_NS6detail17trampoline_kernelINS0_14default_configENS1_25partition_config_selectorILNS1_17partition_subalgoE3EiNS0_10empty_typeEbEEZZNS1_14partition_implILS5_3ELb0ES3_jN6thrust23THRUST_200600_302600_NS6detail15normal_iteratorINSA_7pointerIiNSA_11hip_rocprim3tagENSA_11use_defaultESG_EEEEPS6_SJ_NS0_5tupleIJPiSJ_EEENSK_IJSJ_SJ_EEES6_PlJ7is_evenIiEEEE10hipError_tPvRmT3_T4_T5_T6_T7_T9_mT8_P12ihipStream_tbDpT10_ENKUlT_T0_E_clISt17integral_constantIbLb0EES1A_EEDaS15_S16_EUlS15_E_NS1_11comp_targetILNS1_3genE0ELNS1_11target_archE4294967295ELNS1_3gpuE0ELNS1_3repE0EEENS1_30default_config_static_selectorELNS0_4arch9wavefront6targetE1EEEvT1_,comdat
	.protected	_ZN7rocprim17ROCPRIM_400000_NS6detail17trampoline_kernelINS0_14default_configENS1_25partition_config_selectorILNS1_17partition_subalgoE3EiNS0_10empty_typeEbEEZZNS1_14partition_implILS5_3ELb0ES3_jN6thrust23THRUST_200600_302600_NS6detail15normal_iteratorINSA_7pointerIiNSA_11hip_rocprim3tagENSA_11use_defaultESG_EEEEPS6_SJ_NS0_5tupleIJPiSJ_EEENSK_IJSJ_SJ_EEES6_PlJ7is_evenIiEEEE10hipError_tPvRmT3_T4_T5_T6_T7_T9_mT8_P12ihipStream_tbDpT10_ENKUlT_T0_E_clISt17integral_constantIbLb0EES1A_EEDaS15_S16_EUlS15_E_NS1_11comp_targetILNS1_3genE0ELNS1_11target_archE4294967295ELNS1_3gpuE0ELNS1_3repE0EEENS1_30default_config_static_selectorELNS0_4arch9wavefront6targetE1EEEvT1_ ; -- Begin function _ZN7rocprim17ROCPRIM_400000_NS6detail17trampoline_kernelINS0_14default_configENS1_25partition_config_selectorILNS1_17partition_subalgoE3EiNS0_10empty_typeEbEEZZNS1_14partition_implILS5_3ELb0ES3_jN6thrust23THRUST_200600_302600_NS6detail15normal_iteratorINSA_7pointerIiNSA_11hip_rocprim3tagENSA_11use_defaultESG_EEEEPS6_SJ_NS0_5tupleIJPiSJ_EEENSK_IJSJ_SJ_EEES6_PlJ7is_evenIiEEEE10hipError_tPvRmT3_T4_T5_T6_T7_T9_mT8_P12ihipStream_tbDpT10_ENKUlT_T0_E_clISt17integral_constantIbLb0EES1A_EEDaS15_S16_EUlS15_E_NS1_11comp_targetILNS1_3genE0ELNS1_11target_archE4294967295ELNS1_3gpuE0ELNS1_3repE0EEENS1_30default_config_static_selectorELNS0_4arch9wavefront6targetE1EEEvT1_
	.globl	_ZN7rocprim17ROCPRIM_400000_NS6detail17trampoline_kernelINS0_14default_configENS1_25partition_config_selectorILNS1_17partition_subalgoE3EiNS0_10empty_typeEbEEZZNS1_14partition_implILS5_3ELb0ES3_jN6thrust23THRUST_200600_302600_NS6detail15normal_iteratorINSA_7pointerIiNSA_11hip_rocprim3tagENSA_11use_defaultESG_EEEEPS6_SJ_NS0_5tupleIJPiSJ_EEENSK_IJSJ_SJ_EEES6_PlJ7is_evenIiEEEE10hipError_tPvRmT3_T4_T5_T6_T7_T9_mT8_P12ihipStream_tbDpT10_ENKUlT_T0_E_clISt17integral_constantIbLb0EES1A_EEDaS15_S16_EUlS15_E_NS1_11comp_targetILNS1_3genE0ELNS1_11target_archE4294967295ELNS1_3gpuE0ELNS1_3repE0EEENS1_30default_config_static_selectorELNS0_4arch9wavefront6targetE1EEEvT1_
	.p2align	8
	.type	_ZN7rocprim17ROCPRIM_400000_NS6detail17trampoline_kernelINS0_14default_configENS1_25partition_config_selectorILNS1_17partition_subalgoE3EiNS0_10empty_typeEbEEZZNS1_14partition_implILS5_3ELb0ES3_jN6thrust23THRUST_200600_302600_NS6detail15normal_iteratorINSA_7pointerIiNSA_11hip_rocprim3tagENSA_11use_defaultESG_EEEEPS6_SJ_NS0_5tupleIJPiSJ_EEENSK_IJSJ_SJ_EEES6_PlJ7is_evenIiEEEE10hipError_tPvRmT3_T4_T5_T6_T7_T9_mT8_P12ihipStream_tbDpT10_ENKUlT_T0_E_clISt17integral_constantIbLb0EES1A_EEDaS15_S16_EUlS15_E_NS1_11comp_targetILNS1_3genE0ELNS1_11target_archE4294967295ELNS1_3gpuE0ELNS1_3repE0EEENS1_30default_config_static_selectorELNS0_4arch9wavefront6targetE1EEEvT1_,@function
_ZN7rocprim17ROCPRIM_400000_NS6detail17trampoline_kernelINS0_14default_configENS1_25partition_config_selectorILNS1_17partition_subalgoE3EiNS0_10empty_typeEbEEZZNS1_14partition_implILS5_3ELb0ES3_jN6thrust23THRUST_200600_302600_NS6detail15normal_iteratorINSA_7pointerIiNSA_11hip_rocprim3tagENSA_11use_defaultESG_EEEEPS6_SJ_NS0_5tupleIJPiSJ_EEENSK_IJSJ_SJ_EEES6_PlJ7is_evenIiEEEE10hipError_tPvRmT3_T4_T5_T6_T7_T9_mT8_P12ihipStream_tbDpT10_ENKUlT_T0_E_clISt17integral_constantIbLb0EES1A_EEDaS15_S16_EUlS15_E_NS1_11comp_targetILNS1_3genE0ELNS1_11target_archE4294967295ELNS1_3gpuE0ELNS1_3repE0EEENS1_30default_config_static_selectorELNS0_4arch9wavefront6targetE1EEEvT1_: ; @_ZN7rocprim17ROCPRIM_400000_NS6detail17trampoline_kernelINS0_14default_configENS1_25partition_config_selectorILNS1_17partition_subalgoE3EiNS0_10empty_typeEbEEZZNS1_14partition_implILS5_3ELb0ES3_jN6thrust23THRUST_200600_302600_NS6detail15normal_iteratorINSA_7pointerIiNSA_11hip_rocprim3tagENSA_11use_defaultESG_EEEEPS6_SJ_NS0_5tupleIJPiSJ_EEENSK_IJSJ_SJ_EEES6_PlJ7is_evenIiEEEE10hipError_tPvRmT3_T4_T5_T6_T7_T9_mT8_P12ihipStream_tbDpT10_ENKUlT_T0_E_clISt17integral_constantIbLb0EES1A_EEDaS15_S16_EUlS15_E_NS1_11comp_targetILNS1_3genE0ELNS1_11target_archE4294967295ELNS1_3gpuE0ELNS1_3repE0EEENS1_30default_config_static_selectorELNS0_4arch9wavefront6targetE1EEEvT1_
; %bb.0:
	.section	.rodata,"a",@progbits
	.p2align	6, 0x0
	.amdhsa_kernel _ZN7rocprim17ROCPRIM_400000_NS6detail17trampoline_kernelINS0_14default_configENS1_25partition_config_selectorILNS1_17partition_subalgoE3EiNS0_10empty_typeEbEEZZNS1_14partition_implILS5_3ELb0ES3_jN6thrust23THRUST_200600_302600_NS6detail15normal_iteratorINSA_7pointerIiNSA_11hip_rocprim3tagENSA_11use_defaultESG_EEEEPS6_SJ_NS0_5tupleIJPiSJ_EEENSK_IJSJ_SJ_EEES6_PlJ7is_evenIiEEEE10hipError_tPvRmT3_T4_T5_T6_T7_T9_mT8_P12ihipStream_tbDpT10_ENKUlT_T0_E_clISt17integral_constantIbLb0EES1A_EEDaS15_S16_EUlS15_E_NS1_11comp_targetILNS1_3genE0ELNS1_11target_archE4294967295ELNS1_3gpuE0ELNS1_3repE0EEENS1_30default_config_static_selectorELNS0_4arch9wavefront6targetE1EEEvT1_
		.amdhsa_group_segment_fixed_size 0
		.amdhsa_private_segment_fixed_size 0
		.amdhsa_kernarg_size 120
		.amdhsa_user_sgpr_count 2
		.amdhsa_user_sgpr_dispatch_ptr 0
		.amdhsa_user_sgpr_queue_ptr 0
		.amdhsa_user_sgpr_kernarg_segment_ptr 1
		.amdhsa_user_sgpr_dispatch_id 0
		.amdhsa_user_sgpr_kernarg_preload_length 0
		.amdhsa_user_sgpr_kernarg_preload_offset 0
		.amdhsa_user_sgpr_private_segment_size 0
		.amdhsa_uses_dynamic_stack 0
		.amdhsa_enable_private_segment 0
		.amdhsa_system_sgpr_workgroup_id_x 1
		.amdhsa_system_sgpr_workgroup_id_y 0
		.amdhsa_system_sgpr_workgroup_id_z 0
		.amdhsa_system_sgpr_workgroup_info 0
		.amdhsa_system_vgpr_workitem_id 0
		.amdhsa_next_free_vgpr 1
		.amdhsa_next_free_sgpr 0
		.amdhsa_accum_offset 4
		.amdhsa_reserve_vcc 0
		.amdhsa_float_round_mode_32 0
		.amdhsa_float_round_mode_16_64 0
		.amdhsa_float_denorm_mode_32 3
		.amdhsa_float_denorm_mode_16_64 3
		.amdhsa_dx10_clamp 1
		.amdhsa_ieee_mode 1
		.amdhsa_fp16_overflow 0
		.amdhsa_tg_split 0
		.amdhsa_exception_fp_ieee_invalid_op 0
		.amdhsa_exception_fp_denorm_src 0
		.amdhsa_exception_fp_ieee_div_zero 0
		.amdhsa_exception_fp_ieee_overflow 0
		.amdhsa_exception_fp_ieee_underflow 0
		.amdhsa_exception_fp_ieee_inexact 0
		.amdhsa_exception_int_div_zero 0
	.end_amdhsa_kernel
	.section	.text._ZN7rocprim17ROCPRIM_400000_NS6detail17trampoline_kernelINS0_14default_configENS1_25partition_config_selectorILNS1_17partition_subalgoE3EiNS0_10empty_typeEbEEZZNS1_14partition_implILS5_3ELb0ES3_jN6thrust23THRUST_200600_302600_NS6detail15normal_iteratorINSA_7pointerIiNSA_11hip_rocprim3tagENSA_11use_defaultESG_EEEEPS6_SJ_NS0_5tupleIJPiSJ_EEENSK_IJSJ_SJ_EEES6_PlJ7is_evenIiEEEE10hipError_tPvRmT3_T4_T5_T6_T7_T9_mT8_P12ihipStream_tbDpT10_ENKUlT_T0_E_clISt17integral_constantIbLb0EES1A_EEDaS15_S16_EUlS15_E_NS1_11comp_targetILNS1_3genE0ELNS1_11target_archE4294967295ELNS1_3gpuE0ELNS1_3repE0EEENS1_30default_config_static_selectorELNS0_4arch9wavefront6targetE1EEEvT1_,"axG",@progbits,_ZN7rocprim17ROCPRIM_400000_NS6detail17trampoline_kernelINS0_14default_configENS1_25partition_config_selectorILNS1_17partition_subalgoE3EiNS0_10empty_typeEbEEZZNS1_14partition_implILS5_3ELb0ES3_jN6thrust23THRUST_200600_302600_NS6detail15normal_iteratorINSA_7pointerIiNSA_11hip_rocprim3tagENSA_11use_defaultESG_EEEEPS6_SJ_NS0_5tupleIJPiSJ_EEENSK_IJSJ_SJ_EEES6_PlJ7is_evenIiEEEE10hipError_tPvRmT3_T4_T5_T6_T7_T9_mT8_P12ihipStream_tbDpT10_ENKUlT_T0_E_clISt17integral_constantIbLb0EES1A_EEDaS15_S16_EUlS15_E_NS1_11comp_targetILNS1_3genE0ELNS1_11target_archE4294967295ELNS1_3gpuE0ELNS1_3repE0EEENS1_30default_config_static_selectorELNS0_4arch9wavefront6targetE1EEEvT1_,comdat
.Lfunc_end88:
	.size	_ZN7rocprim17ROCPRIM_400000_NS6detail17trampoline_kernelINS0_14default_configENS1_25partition_config_selectorILNS1_17partition_subalgoE3EiNS0_10empty_typeEbEEZZNS1_14partition_implILS5_3ELb0ES3_jN6thrust23THRUST_200600_302600_NS6detail15normal_iteratorINSA_7pointerIiNSA_11hip_rocprim3tagENSA_11use_defaultESG_EEEEPS6_SJ_NS0_5tupleIJPiSJ_EEENSK_IJSJ_SJ_EEES6_PlJ7is_evenIiEEEE10hipError_tPvRmT3_T4_T5_T6_T7_T9_mT8_P12ihipStream_tbDpT10_ENKUlT_T0_E_clISt17integral_constantIbLb0EES1A_EEDaS15_S16_EUlS15_E_NS1_11comp_targetILNS1_3genE0ELNS1_11target_archE4294967295ELNS1_3gpuE0ELNS1_3repE0EEENS1_30default_config_static_selectorELNS0_4arch9wavefront6targetE1EEEvT1_, .Lfunc_end88-_ZN7rocprim17ROCPRIM_400000_NS6detail17trampoline_kernelINS0_14default_configENS1_25partition_config_selectorILNS1_17partition_subalgoE3EiNS0_10empty_typeEbEEZZNS1_14partition_implILS5_3ELb0ES3_jN6thrust23THRUST_200600_302600_NS6detail15normal_iteratorINSA_7pointerIiNSA_11hip_rocprim3tagENSA_11use_defaultESG_EEEEPS6_SJ_NS0_5tupleIJPiSJ_EEENSK_IJSJ_SJ_EEES6_PlJ7is_evenIiEEEE10hipError_tPvRmT3_T4_T5_T6_T7_T9_mT8_P12ihipStream_tbDpT10_ENKUlT_T0_E_clISt17integral_constantIbLb0EES1A_EEDaS15_S16_EUlS15_E_NS1_11comp_targetILNS1_3genE0ELNS1_11target_archE4294967295ELNS1_3gpuE0ELNS1_3repE0EEENS1_30default_config_static_selectorELNS0_4arch9wavefront6targetE1EEEvT1_
                                        ; -- End function
	.section	.AMDGPU.csdata,"",@progbits
; Kernel info:
; codeLenInByte = 0
; NumSgprs: 6
; NumVgprs: 0
; NumAgprs: 0
; TotalNumVgprs: 0
; ScratchSize: 0
; MemoryBound: 0
; FloatMode: 240
; IeeeMode: 1
; LDSByteSize: 0 bytes/workgroup (compile time only)
; SGPRBlocks: 0
; VGPRBlocks: 0
; NumSGPRsForWavesPerEU: 6
; NumVGPRsForWavesPerEU: 1
; AccumOffset: 4
; Occupancy: 8
; WaveLimiterHint : 0
; COMPUTE_PGM_RSRC2:SCRATCH_EN: 0
; COMPUTE_PGM_RSRC2:USER_SGPR: 2
; COMPUTE_PGM_RSRC2:TRAP_HANDLER: 0
; COMPUTE_PGM_RSRC2:TGID_X_EN: 1
; COMPUTE_PGM_RSRC2:TGID_Y_EN: 0
; COMPUTE_PGM_RSRC2:TGID_Z_EN: 0
; COMPUTE_PGM_RSRC2:TIDIG_COMP_CNT: 0
; COMPUTE_PGM_RSRC3_GFX90A:ACCUM_OFFSET: 0
; COMPUTE_PGM_RSRC3_GFX90A:TG_SPLIT: 0
	.section	.text._ZN7rocprim17ROCPRIM_400000_NS6detail17trampoline_kernelINS0_14default_configENS1_25partition_config_selectorILNS1_17partition_subalgoE3EiNS0_10empty_typeEbEEZZNS1_14partition_implILS5_3ELb0ES3_jN6thrust23THRUST_200600_302600_NS6detail15normal_iteratorINSA_7pointerIiNSA_11hip_rocprim3tagENSA_11use_defaultESG_EEEEPS6_SJ_NS0_5tupleIJPiSJ_EEENSK_IJSJ_SJ_EEES6_PlJ7is_evenIiEEEE10hipError_tPvRmT3_T4_T5_T6_T7_T9_mT8_P12ihipStream_tbDpT10_ENKUlT_T0_E_clISt17integral_constantIbLb0EES1A_EEDaS15_S16_EUlS15_E_NS1_11comp_targetILNS1_3genE5ELNS1_11target_archE942ELNS1_3gpuE9ELNS1_3repE0EEENS1_30default_config_static_selectorELNS0_4arch9wavefront6targetE1EEEvT1_,"axG",@progbits,_ZN7rocprim17ROCPRIM_400000_NS6detail17trampoline_kernelINS0_14default_configENS1_25partition_config_selectorILNS1_17partition_subalgoE3EiNS0_10empty_typeEbEEZZNS1_14partition_implILS5_3ELb0ES3_jN6thrust23THRUST_200600_302600_NS6detail15normal_iteratorINSA_7pointerIiNSA_11hip_rocprim3tagENSA_11use_defaultESG_EEEEPS6_SJ_NS0_5tupleIJPiSJ_EEENSK_IJSJ_SJ_EEES6_PlJ7is_evenIiEEEE10hipError_tPvRmT3_T4_T5_T6_T7_T9_mT8_P12ihipStream_tbDpT10_ENKUlT_T0_E_clISt17integral_constantIbLb0EES1A_EEDaS15_S16_EUlS15_E_NS1_11comp_targetILNS1_3genE5ELNS1_11target_archE942ELNS1_3gpuE9ELNS1_3repE0EEENS1_30default_config_static_selectorELNS0_4arch9wavefront6targetE1EEEvT1_,comdat
	.protected	_ZN7rocprim17ROCPRIM_400000_NS6detail17trampoline_kernelINS0_14default_configENS1_25partition_config_selectorILNS1_17partition_subalgoE3EiNS0_10empty_typeEbEEZZNS1_14partition_implILS5_3ELb0ES3_jN6thrust23THRUST_200600_302600_NS6detail15normal_iteratorINSA_7pointerIiNSA_11hip_rocprim3tagENSA_11use_defaultESG_EEEEPS6_SJ_NS0_5tupleIJPiSJ_EEENSK_IJSJ_SJ_EEES6_PlJ7is_evenIiEEEE10hipError_tPvRmT3_T4_T5_T6_T7_T9_mT8_P12ihipStream_tbDpT10_ENKUlT_T0_E_clISt17integral_constantIbLb0EES1A_EEDaS15_S16_EUlS15_E_NS1_11comp_targetILNS1_3genE5ELNS1_11target_archE942ELNS1_3gpuE9ELNS1_3repE0EEENS1_30default_config_static_selectorELNS0_4arch9wavefront6targetE1EEEvT1_ ; -- Begin function _ZN7rocprim17ROCPRIM_400000_NS6detail17trampoline_kernelINS0_14default_configENS1_25partition_config_selectorILNS1_17partition_subalgoE3EiNS0_10empty_typeEbEEZZNS1_14partition_implILS5_3ELb0ES3_jN6thrust23THRUST_200600_302600_NS6detail15normal_iteratorINSA_7pointerIiNSA_11hip_rocprim3tagENSA_11use_defaultESG_EEEEPS6_SJ_NS0_5tupleIJPiSJ_EEENSK_IJSJ_SJ_EEES6_PlJ7is_evenIiEEEE10hipError_tPvRmT3_T4_T5_T6_T7_T9_mT8_P12ihipStream_tbDpT10_ENKUlT_T0_E_clISt17integral_constantIbLb0EES1A_EEDaS15_S16_EUlS15_E_NS1_11comp_targetILNS1_3genE5ELNS1_11target_archE942ELNS1_3gpuE9ELNS1_3repE0EEENS1_30default_config_static_selectorELNS0_4arch9wavefront6targetE1EEEvT1_
	.globl	_ZN7rocprim17ROCPRIM_400000_NS6detail17trampoline_kernelINS0_14default_configENS1_25partition_config_selectorILNS1_17partition_subalgoE3EiNS0_10empty_typeEbEEZZNS1_14partition_implILS5_3ELb0ES3_jN6thrust23THRUST_200600_302600_NS6detail15normal_iteratorINSA_7pointerIiNSA_11hip_rocprim3tagENSA_11use_defaultESG_EEEEPS6_SJ_NS0_5tupleIJPiSJ_EEENSK_IJSJ_SJ_EEES6_PlJ7is_evenIiEEEE10hipError_tPvRmT3_T4_T5_T6_T7_T9_mT8_P12ihipStream_tbDpT10_ENKUlT_T0_E_clISt17integral_constantIbLb0EES1A_EEDaS15_S16_EUlS15_E_NS1_11comp_targetILNS1_3genE5ELNS1_11target_archE942ELNS1_3gpuE9ELNS1_3repE0EEENS1_30default_config_static_selectorELNS0_4arch9wavefront6targetE1EEEvT1_
	.p2align	8
	.type	_ZN7rocprim17ROCPRIM_400000_NS6detail17trampoline_kernelINS0_14default_configENS1_25partition_config_selectorILNS1_17partition_subalgoE3EiNS0_10empty_typeEbEEZZNS1_14partition_implILS5_3ELb0ES3_jN6thrust23THRUST_200600_302600_NS6detail15normal_iteratorINSA_7pointerIiNSA_11hip_rocprim3tagENSA_11use_defaultESG_EEEEPS6_SJ_NS0_5tupleIJPiSJ_EEENSK_IJSJ_SJ_EEES6_PlJ7is_evenIiEEEE10hipError_tPvRmT3_T4_T5_T6_T7_T9_mT8_P12ihipStream_tbDpT10_ENKUlT_T0_E_clISt17integral_constantIbLb0EES1A_EEDaS15_S16_EUlS15_E_NS1_11comp_targetILNS1_3genE5ELNS1_11target_archE942ELNS1_3gpuE9ELNS1_3repE0EEENS1_30default_config_static_selectorELNS0_4arch9wavefront6targetE1EEEvT1_,@function
_ZN7rocprim17ROCPRIM_400000_NS6detail17trampoline_kernelINS0_14default_configENS1_25partition_config_selectorILNS1_17partition_subalgoE3EiNS0_10empty_typeEbEEZZNS1_14partition_implILS5_3ELb0ES3_jN6thrust23THRUST_200600_302600_NS6detail15normal_iteratorINSA_7pointerIiNSA_11hip_rocprim3tagENSA_11use_defaultESG_EEEEPS6_SJ_NS0_5tupleIJPiSJ_EEENSK_IJSJ_SJ_EEES6_PlJ7is_evenIiEEEE10hipError_tPvRmT3_T4_T5_T6_T7_T9_mT8_P12ihipStream_tbDpT10_ENKUlT_T0_E_clISt17integral_constantIbLb0EES1A_EEDaS15_S16_EUlS15_E_NS1_11comp_targetILNS1_3genE5ELNS1_11target_archE942ELNS1_3gpuE9ELNS1_3repE0EEENS1_30default_config_static_selectorELNS0_4arch9wavefront6targetE1EEEvT1_: ; @_ZN7rocprim17ROCPRIM_400000_NS6detail17trampoline_kernelINS0_14default_configENS1_25partition_config_selectorILNS1_17partition_subalgoE3EiNS0_10empty_typeEbEEZZNS1_14partition_implILS5_3ELb0ES3_jN6thrust23THRUST_200600_302600_NS6detail15normal_iteratorINSA_7pointerIiNSA_11hip_rocprim3tagENSA_11use_defaultESG_EEEEPS6_SJ_NS0_5tupleIJPiSJ_EEENSK_IJSJ_SJ_EEES6_PlJ7is_evenIiEEEE10hipError_tPvRmT3_T4_T5_T6_T7_T9_mT8_P12ihipStream_tbDpT10_ENKUlT_T0_E_clISt17integral_constantIbLb0EES1A_EEDaS15_S16_EUlS15_E_NS1_11comp_targetILNS1_3genE5ELNS1_11target_archE942ELNS1_3gpuE9ELNS1_3repE0EEENS1_30default_config_static_selectorELNS0_4arch9wavefront6targetE1EEEvT1_
; %bb.0:
	s_load_dwordx4 s[20:23], s[0:1], 0x8
	s_load_dwordx4 s[24:27], s[0:1], 0x48
	s_load_dwordx2 s[28:29], s[0:1], 0x58
	s_load_dword s3, s[0:1], 0x70
	s_mul_i32 s30, s2, 0x1e00
	s_waitcnt lgkmcnt(0)
	s_lshl_b64 s[4:5], s[22:23], 2
	s_add_u32 s8, s20, s4
	s_addc_u32 s9, s21, s5
	s_add_i32 s6, s3, -1
	s_mulk_i32 s3, 0x1e00
	s_add_i32 s4, s3, s22
	s_sub_i32 s33, s28, s4
	s_addk_i32 s33, 0x1e00
	s_add_u32 s4, s22, s3
	s_addc_u32 s5, s23, 0
	s_cmp_eq_u32 s2, s6
	s_load_dwordx2 s[34:35], s[26:27], 0x0
	v_mov_b64_e32 v[2:3], s[28:29]
	s_cselect_b64 s[26:27], -1, 0
	s_cmp_lg_u32 s2, s6
	s_mov_b32 s31, 0
	v_cmp_lt_u64_e32 vcc, s[4:5], v[2:3]
	s_cselect_b64 s[4:5], -1, 0
	s_or_b64 s[6:7], s[4:5], vcc
	s_lshl_b64 s[4:5], s[30:31], 2
	s_add_u32 s8, s8, s4
	s_addc_u32 s9, s9, s5
	s_mov_b64 s[4:5], -1
	s_and_b64 vcc, exec, s[6:7]
	v_lshlrev_b32_e32 v18, 2, v0
	s_cbranch_vccz .LBB89_2
; %bb.1:
	v_mov_b32_e32 v19, 0
	v_lshl_add_u64 v[2:3], s[8:9], 0, v[18:19]
	v_add_co_u32_e32 v4, vcc, 0x1000, v2
	s_mov_b64 s[4:5], 0
	s_nop 0
	v_addc_co_u32_e32 v5, vcc, 0, v3, vcc
	v_add_co_u32_e32 v6, vcc, 0x2000, v2
	s_nop 1
	v_addc_co_u32_e32 v7, vcc, 0, v3, vcc
	v_add_co_u32_e32 v8, vcc, 0x3000, v2
	s_nop 1
	v_addc_co_u32_e32 v9, vcc, 0, v3, vcc
	flat_load_dword v1, v[2:3]
	flat_load_dword v10, v[2:3] offset:2048
	flat_load_dword v11, v[4:5]
	flat_load_dword v12, v[4:5] offset:2048
	;; [unrolled: 2-line block ×4, first 2 shown]
	v_add_co_u32_e32 v4, vcc, 0x4000, v2
	s_nop 1
	v_addc_co_u32_e32 v5, vcc, 0, v3, vcc
	v_add_co_u32_e32 v6, vcc, 0x5000, v2
	s_nop 1
	v_addc_co_u32_e32 v7, vcc, 0, v3, vcc
	;; [unrolled: 3-line block ×4, first 2 shown]
	flat_load_dword v17, v[4:5]
	flat_load_dword v19, v[4:5] offset:2048
	flat_load_dword v20, v[6:7]
	flat_load_dword v21, v[6:7] offset:2048
	;; [unrolled: 2-line block ×3, first 2 shown]
	flat_load_dword v24, v[2:3]
	s_waitcnt vmcnt(0) lgkmcnt(0)
	ds_write2st64_b32 v18, v1, v10 offset1:8
	ds_write2st64_b32 v18, v11, v12 offset0:16 offset1:24
	ds_write2st64_b32 v18, v13, v14 offset0:32 offset1:40
	;; [unrolled: 1-line block ×6, first 2 shown]
	ds_write_b32 v18, v24 offset:28672
	s_waitcnt lgkmcnt(0)
	s_barrier
.LBB89_2:
	s_andn2_b64 vcc, exec, s[4:5]
	v_cmp_gt_u32_e64 s[4:5], s33, v0
	s_cbranch_vccnz .LBB89_34
; %bb.3:
                                        ; implicit-def: $vgpr2_vgpr3_vgpr4_vgpr5_vgpr6_vgpr7_vgpr8_vgpr9_vgpr10_vgpr11_vgpr12_vgpr13_vgpr14_vgpr15_vgpr16_vgpr17
	s_and_saveexec_b64 s[10:11], s[4:5]
	s_cbranch_execz .LBB89_5
; %bb.4:
	v_mov_b32_e32 v19, 0
	v_lshl_add_u64 v[2:3], s[8:9], 0, v[18:19]
	flat_load_dword v2, v[2:3]
.LBB89_5:
	s_or_b64 exec, exec, s[10:11]
	v_or_b32_e32 v1, 0x200, v0
	v_cmp_gt_u32_e32 vcc, s33, v1
	s_and_saveexec_b64 s[4:5], vcc
	s_cbranch_execz .LBB89_7
; %bb.6:
	v_mov_b32_e32 v19, 0
	v_lshl_add_u64 v[20:21], s[8:9], 0, v[18:19]
	flat_load_dword v3, v[20:21] offset:2048
.LBB89_7:
	s_or_b64 exec, exec, s[4:5]
	v_or_b32_e32 v1, 0x400, v0
	v_cmp_gt_u32_e32 vcc, s33, v1
	s_and_saveexec_b64 s[4:5], vcc
	s_cbranch_execz .LBB89_9
; %bb.8:
	v_lshlrev_b32_e32 v20, 2, v1
	v_mov_b32_e32 v21, 0
	v_lshl_add_u64 v[20:21], s[8:9], 0, v[20:21]
	flat_load_dword v4, v[20:21]
.LBB89_9:
	s_or_b64 exec, exec, s[4:5]
	v_or_b32_e32 v1, 0x600, v0
	v_cmp_gt_u32_e32 vcc, s33, v1
	s_and_saveexec_b64 s[4:5], vcc
	s_cbranch_execz .LBB89_11
; %bb.10:
	v_lshlrev_b32_e32 v20, 2, v1
	v_mov_b32_e32 v21, 0
	v_lshl_add_u64 v[20:21], s[8:9], 0, v[20:21]
	flat_load_dword v5, v[20:21]
.LBB89_11:
	;; [unrolled: 11-line block ×13, first 2 shown]
	s_or_b64 exec, exec, s[4:5]
	s_waitcnt vmcnt(0) lgkmcnt(0)
	ds_write2st64_b32 v18, v2, v3 offset1:8
	ds_write2st64_b32 v18, v4, v5 offset0:16 offset1:24
	ds_write2st64_b32 v18, v6, v7 offset0:32 offset1:40
	;; [unrolled: 1-line block ×6, first 2 shown]
	ds_write_b32 v18, v16 offset:28672
	s_waitcnt lgkmcnt(0)
	s_barrier
.LBB89_34:
	v_mul_u32_u24_e32 v37, 15, v0
	v_lshlrev_b32_e32 v1, 2, v37
	s_waitcnt lgkmcnt(0)
	ds_read2_b32 v[34:35], v1 offset1:1
	ds_read2_b32 v[32:33], v1 offset0:2 offset1:3
	ds_read2_b32 v[30:31], v1 offset0:4 offset1:5
	;; [unrolled: 1-line block ×6, first 2 shown]
	ds_read_b32 v1, v1 offset:56
	v_cndmask_b32_e64 v2, 0, 1, s[6:7]
	v_cmp_ne_u32_e64 s[20:21], 1, v2
	s_andn2_b64 vcc, exec, s[6:7]
	s_waitcnt lgkmcnt(7)
	v_xor_b32_e32 v16, -1, v34
	v_xor_b32_e32 v15, -1, v35
	s_waitcnt lgkmcnt(6)
	v_xor_b32_e32 v14, -1, v32
	v_xor_b32_e32 v13, -1, v33
	;; [unrolled: 3-line block ×7, first 2 shown]
	s_waitcnt lgkmcnt(0)
	v_xor_b32_e32 v2, -1, v1
	s_barrier
	s_cbranch_vccnz .LBB89_36
; %bb.35:
	v_and_b32_e32 v50, 1, v16
	v_and_b32_e32 v49, 1, v15
	;; [unrolled: 1-line block ×15, first 2 shown]
	s_load_dwordx2 s[36:37], s[0:1], 0x68
	s_cbranch_execz .LBB89_37
	s_branch .LBB89_38
.LBB89_36:
                                        ; implicit-def: $vgpr19
                                        ; implicit-def: $vgpr36
                                        ; implicit-def: $vgpr38
                                        ; implicit-def: $vgpr39
                                        ; implicit-def: $vgpr40
                                        ; implicit-def: $vgpr41
                                        ; implicit-def: $vgpr42
                                        ; implicit-def: $vgpr43
                                        ; implicit-def: $vgpr44
                                        ; implicit-def: $vgpr50
                                        ; implicit-def: $vgpr49
                                        ; implicit-def: $vgpr48
                                        ; implicit-def: $vgpr47
                                        ; implicit-def: $vgpr46
                                        ; implicit-def: $vgpr45
	s_load_dwordx2 s[36:37], s[0:1], 0x68
.LBB89_37:
	v_add_u32_e32 v44, 1, v37
	v_cmp_gt_u32_e32 vcc, s33, v37
	v_add_u32_e32 v17, 2, v37
	v_add_u32_e32 v43, 3, v37
	v_cndmask_b32_e64 v45, 0, 1, vcc
	v_cmp_gt_u32_e32 vcc, s33, v44
	v_and_b32_e32 v50, v45, v16
	v_add_u32_e32 v19, 4, v37
	v_cndmask_b32_e64 v16, 0, 1, vcc
	v_cmp_gt_u32_e32 vcc, s33, v17
	v_and_b32_e32 v49, v16, v15
	;; [unrolled: 4-line block ×12, first 2 shown]
	s_nop 0
	v_cndmask_b32_e64 v5, 0, 1, vcc
	v_cmp_gt_u32_e32 vcc, s33, v52
	v_and_b32_e32 v38, v5, v4
	s_nop 0
	v_cndmask_b32_e64 v4, 0, 1, vcc
	v_cmp_gt_u32_e32 vcc, s33, v51
	v_and_b32_e32 v36, v4, v3
	s_nop 0
	v_cndmask_b32_e64 v3, 0, 1, vcc
	v_and_b32_e32 v19, v3, v2
.LBB89_38:
	v_and_b32_e32 v55, 0xff, v47
	v_and_b32_e32 v56, 0xff, v46
	v_and_b32_e32 v57, 0xff, v45
	v_and_b32_e32 v53, 0xff, v49
	v_and_b32_e32 v54, 0xff, v48
	v_add3_u32 v3, v56, v57, v55
	v_and_b32_e32 v51, 0xff, v50
	v_and_b32_e32 v58, 0xff, v44
	v_add3_u32 v3, v3, v54, v53
	v_and_b32_e32 v59, 0xff, v43
	v_and_b32_e32 v60, 0xff, v42
	;; [unrolled: 3-line block ×5, first 2 shown]
	v_add3_u32 v3, v3, v63, v64
	v_add3_u32 v68, v3, v65, v2
	v_mbcnt_lo_u32_b32 v2, -1, 0
	v_mbcnt_hi_u32_b32 v66, -1, v2
	v_and_b32_e32 v2, 15, v66
	v_cmp_eq_u32_e64 s[16:17], 0, v2
	v_cmp_lt_u32_e64 s[14:15], 1, v2
	v_cmp_lt_u32_e64 s[12:13], 3, v2
	;; [unrolled: 1-line block ×3, first 2 shown]
	v_and_b32_e32 v2, 16, v66
	v_cmp_eq_u32_e64 s[8:9], 0, v2
	v_or_b32_e32 v2, 63, v0
	s_cmp_lg_u32 s2, 0
	v_cmp_lt_u32_e64 s[4:5], 31, v66
	v_lshrrev_b32_e32 v67, 6, v0
	v_cmp_eq_u32_e64 s[6:7], v2, v0
	s_cbranch_scc0 .LBB89_65
; %bb.39:
	v_mov_b32_dpp v2, v68 row_shr:1 row_mask:0xf bank_mask:0xf
	v_cndmask_b32_e64 v2, v2, 0, s[16:17]
	v_add_u32_e32 v2, v2, v68
	s_nop 1
	v_mov_b32_dpp v3, v2 row_shr:2 row_mask:0xf bank_mask:0xf
	v_cndmask_b32_e64 v3, 0, v3, s[14:15]
	v_add_u32_e32 v2, v2, v3
	s_nop 1
	;; [unrolled: 4-line block ×4, first 2 shown]
	v_mov_b32_dpp v3, v2 row_bcast:15 row_mask:0xf bank_mask:0xf
	v_cndmask_b32_e64 v3, v3, 0, s[8:9]
	v_add_u32_e32 v2, v2, v3
	s_nop 1
	v_mov_b32_dpp v3, v2 row_bcast:31 row_mask:0xf bank_mask:0xf
	v_cndmask_b32_e64 v3, 0, v3, s[4:5]
	v_add_u32_e32 v2, v2, v3
	s_and_saveexec_b64 s[18:19], s[6:7]
	s_cbranch_execz .LBB89_41
; %bb.40:
	v_lshlrev_b32_e32 v3, 2, v67
	ds_write_b32 v3, v2
.LBB89_41:
	s_or_b64 exec, exec, s[18:19]
	v_cmp_gt_u32_e32 vcc, 8, v0
	s_waitcnt lgkmcnt(0)
	s_barrier
	s_and_saveexec_b64 s[18:19], vcc
	s_cbranch_execz .LBB89_43
; %bb.42:
	ds_read_b32 v3, v18
	v_and_b32_e32 v4, 7, v66
	v_cmp_ne_u32_e32 vcc, 0, v4
	s_waitcnt lgkmcnt(0)
	v_mov_b32_dpp v5, v3 row_shr:1 row_mask:0xf bank_mask:0xf
	v_cndmask_b32_e32 v5, 0, v5, vcc
	v_add_u32_e32 v3, v5, v3
	v_cmp_lt_u32_e32 vcc, 1, v4
	s_nop 0
	v_mov_b32_dpp v5, v3 row_shr:2 row_mask:0xf bank_mask:0xf
	v_cndmask_b32_e32 v5, 0, v5, vcc
	v_add_u32_e32 v3, v3, v5
	v_cmp_lt_u32_e32 vcc, 3, v4
	s_nop 0
	v_mov_b32_dpp v5, v3 row_shr:4 row_mask:0xf bank_mask:0xf
	v_cndmask_b32_e32 v4, 0, v5, vcc
	v_add_u32_e32 v3, v3, v4
	ds_write_b32 v18, v3
.LBB89_43:
	s_or_b64 exec, exec, s[18:19]
	v_cmp_gt_u32_e32 vcc, 64, v0
	v_cmp_lt_u32_e64 s[18:19], 63, v0
	s_waitcnt lgkmcnt(0)
	s_barrier
	s_waitcnt lgkmcnt(0)
                                        ; implicit-def: $vgpr12
	s_and_saveexec_b64 s[38:39], s[18:19]
	s_cbranch_execz .LBB89_45
; %bb.44:
	v_lshl_add_u32 v3, v67, 2, -4
	ds_read_b32 v12, v3
	s_waitcnt lgkmcnt(0)
	v_add_u32_e32 v2, v12, v2
.LBB89_45:
	s_or_b64 exec, exec, s[38:39]
	v_add_u32_e32 v3, -1, v66
	v_and_b32_e32 v4, 64, v66
	v_cmp_lt_i32_e64 s[18:19], v3, v4
	s_nop 1
	v_cndmask_b32_e64 v3, v3, v66, s[18:19]
	v_lshlrev_b32_e32 v3, 2, v3
	ds_bpermute_b32 v13, v3, v2
	v_cmp_eq_u32_e64 s[18:19], 0, v66
	s_and_saveexec_b64 s[38:39], vcc
	s_cbranch_execz .LBB89_64
; %bb.46:
	v_mov_b32_e32 v9, 0
	ds_read_b32 v2, v9 offset:28
	s_and_saveexec_b64 s[40:41], s[18:19]
	s_cbranch_execz .LBB89_48
; %bb.47:
	s_add_i32 s42, s2, 64
	s_mov_b32 s43, 0
	s_lshl_b64 s[42:43], s[42:43], 3
	s_add_u32 s42, s36, s42
	v_mov_b32_e32 v3, 1
	s_addc_u32 s43, s37, s43
	s_waitcnt lgkmcnt(0)
	global_store_dwordx2 v9, v[2:3], s[42:43] sc1
.LBB89_48:
	s_or_b64 exec, exec, s[40:41]
	v_xad_u32 v4, v66, -1, s2
	v_add_u32_e32 v8, 64, v4
	v_lshl_add_u64 v[10:11], v[8:9], 3, s[36:37]
	global_load_dwordx2 v[6:7], v[10:11], off sc1
	s_waitcnt vmcnt(0)
	v_cmp_eq_u16_sdwa s[42:43], v7, v9 src0_sel:BYTE_0 src1_sel:DWORD
	s_and_saveexec_b64 s[40:41], s[42:43]
	s_cbranch_execz .LBB89_52
; %bb.49:
	s_mov_b64 s[42:43], 0
	v_mov_b32_e32 v3, 0
.LBB89_50:                              ; =>This Inner Loop Header: Depth=1
	global_load_dwordx2 v[6:7], v[10:11], off sc1
	s_waitcnt vmcnt(0)
	v_cmp_ne_u16_sdwa s[44:45], v7, v3 src0_sel:BYTE_0 src1_sel:DWORD
	s_or_b64 s[42:43], s[44:45], s[42:43]
	s_andn2_b64 exec, exec, s[42:43]
	s_cbranch_execnz .LBB89_50
; %bb.51:
	s_or_b64 exec, exec, s[42:43]
.LBB89_52:
	s_or_b64 exec, exec, s[40:41]
	v_and_b32_e32 v15, 63, v66
	v_mov_b32_e32 v14, 2
	v_cmp_ne_u32_e32 vcc, 63, v15
	v_cmp_eq_u16_sdwa s[40:41], v7, v14 src0_sel:BYTE_0 src1_sel:DWORD
	v_lshlrev_b64 v[8:9], v66, -1
	v_addc_co_u32_e32 v10, vcc, 0, v66, vcc
	v_and_b32_e32 v3, s41, v9
	v_lshlrev_b32_e32 v16, 2, v10
	v_or_b32_e32 v3, 0x80000000, v3
	ds_bpermute_b32 v10, v16, v6
	v_and_b32_e32 v5, s40, v8
	v_ffbl_b32_e32 v3, v3
	v_add_u32_e32 v3, 32, v3
	v_ffbl_b32_e32 v5, v5
	v_min_u32_e32 v3, v5, v3
	v_cmp_lt_u32_e32 vcc, v15, v3
	v_add_u32_e32 v20, 2, v15
	v_add_u32_e32 v52, 4, v15
	s_waitcnt lgkmcnt(0)
	v_cndmask_b32_e32 v5, 0, v10, vcc
	v_cmp_gt_u32_e32 vcc, 62, v15
	v_add_u32_e32 v5, v5, v6
	v_add_u32_e32 v70, 8, v15
	v_cndmask_b32_e64 v6, 0, 1, vcc
	v_lshlrev_b32_e32 v6, 1, v6
	v_add_lshl_u32 v17, v6, v66, 2
	ds_bpermute_b32 v6, v17, v5
	v_cmp_le_u32_e32 vcc, v20, v3
	v_add_u32_e32 v72, 16, v15
	v_add_u32_e32 v74, 32, v15
	s_waitcnt lgkmcnt(0)
	v_cndmask_b32_e32 v6, 0, v6, vcc
	v_cmp_gt_u32_e32 vcc, 60, v15
	v_add_u32_e32 v5, v5, v6
	s_nop 0
	v_cndmask_b32_e64 v6, 0, 1, vcc
	v_lshlrev_b32_e32 v6, 2, v6
	v_add_lshl_u32 v21, v6, v66, 2
	ds_bpermute_b32 v6, v21, v5
	v_cmp_le_u32_e32 vcc, v52, v3
	s_waitcnt lgkmcnt(0)
	s_nop 0
	v_cndmask_b32_e32 v6, 0, v6, vcc
	v_cmp_gt_u32_e32 vcc, 56, v15
	v_add_u32_e32 v5, v5, v6
	s_nop 0
	v_cndmask_b32_e64 v6, 0, 1, vcc
	v_lshlrev_b32_e32 v6, 3, v6
	v_add_lshl_u32 v69, v6, v66, 2
	ds_bpermute_b32 v6, v69, v5
	v_cmp_le_u32_e32 vcc, v70, v3
	s_waitcnt lgkmcnt(0)
	s_nop 0
	;; [unrolled: 11-line block ×4, first 2 shown]
	v_cndmask_b32_e32 v3, 0, v6, vcc
	v_add_u32_e32 v6, v5, v3
	v_mov_b32_e32 v5, 0
	s_branch .LBB89_54
.LBB89_53:                              ;   in Loop: Header=BB89_54 Depth=1
	s_or_b64 exec, exec, s[40:41]
	v_cmp_eq_u16_sdwa s[40:41], v7, v14 src0_sel:BYTE_0 src1_sel:DWORD
	ds_bpermute_b32 v75, v16, v6
	v_subrev_u32_e32 v4, 64, v4
	v_and_b32_e32 v10, s41, v9
	v_or_b32_e32 v10, 0x80000000, v10
	v_and_b32_e32 v11, s40, v8
	v_ffbl_b32_e32 v10, v10
	v_add_u32_e32 v10, 32, v10
	v_ffbl_b32_e32 v11, v11
	v_min_u32_e32 v10, v11, v10
	v_cmp_lt_u32_e32 vcc, v15, v10
	s_waitcnt lgkmcnt(0)
	s_nop 0
	v_cndmask_b32_e32 v11, 0, v75, vcc
	v_add_u32_e32 v6, v11, v6
	ds_bpermute_b32 v11, v17, v6
	v_cmp_le_u32_e32 vcc, v20, v10
	s_waitcnt lgkmcnt(0)
	s_nop 0
	v_cndmask_b32_e32 v11, 0, v11, vcc
	v_add_u32_e32 v6, v6, v11
	ds_bpermute_b32 v11, v21, v6
	v_cmp_le_u32_e32 vcc, v52, v10
	;; [unrolled: 6-line block ×5, first 2 shown]
	s_waitcnt lgkmcnt(0)
	s_nop 0
	v_cndmask_b32_e32 v10, 0, v11, vcc
	v_add3_u32 v6, v10, v3, v6
.LBB89_54:                              ; =>This Loop Header: Depth=1
                                        ;     Child Loop BB89_57 Depth 2
	v_cmp_ne_u16_sdwa s[40:41], v7, v14 src0_sel:BYTE_0 src1_sel:DWORD
	s_nop 1
	v_cndmask_b32_e64 v3, 0, 1, s[40:41]
	;;#ASMSTART
	;;#ASMEND
	s_nop 0
	v_cmp_ne_u32_e32 vcc, 0, v3
	s_cmp_lg_u64 vcc, exec
	v_mov_b32_e32 v3, v6
	s_cbranch_scc1 .LBB89_59
; %bb.55:                               ;   in Loop: Header=BB89_54 Depth=1
	v_lshl_add_u64 v[10:11], v[4:5], 3, s[36:37]
	global_load_dwordx2 v[6:7], v[10:11], off sc1
	s_waitcnt vmcnt(0)
	v_cmp_eq_u16_sdwa s[42:43], v7, v5 src0_sel:BYTE_0 src1_sel:DWORD
	s_and_saveexec_b64 s[40:41], s[42:43]
	s_cbranch_execz .LBB89_53
; %bb.56:                               ;   in Loop: Header=BB89_54 Depth=1
	s_mov_b64 s[42:43], 0
.LBB89_57:                              ;   Parent Loop BB89_54 Depth=1
                                        ; =>  This Inner Loop Header: Depth=2
	global_load_dwordx2 v[6:7], v[10:11], off sc1
	s_waitcnt vmcnt(0)
	v_cmp_ne_u16_sdwa s[44:45], v7, v5 src0_sel:BYTE_0 src1_sel:DWORD
	s_or_b64 s[42:43], s[44:45], s[42:43]
	s_andn2_b64 exec, exec, s[42:43]
	s_cbranch_execnz .LBB89_57
; %bb.58:                               ;   in Loop: Header=BB89_54 Depth=1
	s_or_b64 exec, exec, s[42:43]
	s_branch .LBB89_53
.LBB89_59:                              ;   in Loop: Header=BB89_54 Depth=1
                                        ; implicit-def: $vgpr6
                                        ; implicit-def: $vgpr7
	s_cbranch_execz .LBB89_54
; %bb.60:
	s_and_saveexec_b64 s[40:41], s[18:19]
	s_cbranch_execz .LBB89_62
; %bb.61:
	s_add_i32 s2, s2, 64
	s_mov_b32 s3, 0
	s_lshl_b64 s[2:3], s[2:3], 3
	s_add_u32 s2, s36, s2
	v_add_u32_e32 v4, v3, v2
	v_mov_b32_e32 v5, 2
	s_addc_u32 s3, s37, s3
	v_mov_b32_e32 v6, 0
	global_store_dwordx2 v6, v[4:5], s[2:3] sc1
	ds_write_b64 v6, v[2:3] offset:30720
.LBB89_62:
	s_or_b64 exec, exec, s[40:41]
	v_cmp_eq_u32_e32 vcc, 0, v0
	s_and_b64 exec, exec, vcc
	s_cbranch_execz .LBB89_64
; %bb.63:
	v_mov_b32_e32 v2, 0
	ds_write_b32 v2, v3 offset:28
.LBB89_64:
	s_or_b64 exec, exec, s[38:39]
	v_mov_b32_e32 v14, 0
	s_waitcnt lgkmcnt(0)
	s_barrier
	ds_read_b32 v2, v14 offset:28
	v_cndmask_b32_e64 v3, v13, v12, s[18:19]
	v_cmp_ne_u32_e32 vcc, 0, v0
	s_waitcnt lgkmcnt(0)
	s_barrier
	v_cndmask_b32_e32 v3, 0, v3, vcc
	v_add_u32_e32 v2, v2, v3
	v_add_u32_e32 v3, v2, v51
	;; [unrolled: 1-line block ×10, first 2 shown]
	ds_read_b64 v[20:21], v14 offset:30720
	v_add_u32_e32 v12, v11, v61
	v_add_u32_e32 v13, v12, v62
	v_add_u32_e32 v14, v13, v63
	v_add_u32_e32 v15, v14, v64
	v_add_u32_e32 v16, v15, v65
	s_waitcnt lgkmcnt(0)
	v_mov_b32_e32 v52, v21
	s_load_dwordx2 s[2:3], s[0:1], 0x28
	s_branch .LBB89_75
.LBB89_65:
                                        ; implicit-def: $vgpr52
                                        ; implicit-def: $vgpr20
                                        ; implicit-def: $vgpr2_vgpr3_vgpr4_vgpr5_vgpr6_vgpr7_vgpr8_vgpr9_vgpr10_vgpr11_vgpr12_vgpr13_vgpr14_vgpr15_vgpr16_vgpr17
	s_load_dwordx2 s[2:3], s[0:1], 0x28
	s_cbranch_execz .LBB89_75
; %bb.66:
	v_mov_b32_dpp v2, v68 row_shr:1 row_mask:0xf bank_mask:0xf
	v_cndmask_b32_e64 v2, v2, 0, s[16:17]
	v_add_u32_e32 v2, v2, v68
	s_nop 1
	v_mov_b32_dpp v3, v2 row_shr:2 row_mask:0xf bank_mask:0xf
	v_cndmask_b32_e64 v3, 0, v3, s[14:15]
	v_add_u32_e32 v2, v2, v3
	s_nop 1
	;; [unrolled: 4-line block ×4, first 2 shown]
	v_mov_b32_dpp v3, v2 row_bcast:15 row_mask:0xf bank_mask:0xf
	v_cndmask_b32_e64 v3, v3, 0, s[8:9]
	v_add_u32_e32 v2, v2, v3
	s_nop 1
	v_mov_b32_dpp v3, v2 row_bcast:31 row_mask:0xf bank_mask:0xf
	v_cndmask_b32_e64 v3, 0, v3, s[4:5]
	v_add_u32_e32 v2, v2, v3
	s_and_saveexec_b64 s[0:1], s[6:7]
	s_cbranch_execz .LBB89_68
; %bb.67:
	v_lshlrev_b32_e32 v3, 2, v67
	ds_write_b32 v3, v2
.LBB89_68:
	s_or_b64 exec, exec, s[0:1]
	v_cmp_gt_u32_e32 vcc, 8, v0
	s_waitcnt lgkmcnt(0)
	s_barrier
	s_and_saveexec_b64 s[0:1], vcc
	s_cbranch_execz .LBB89_70
; %bb.69:
	ds_read_b32 v3, v18
	v_and_b32_e32 v4, 7, v66
	v_cmp_ne_u32_e32 vcc, 0, v4
	s_waitcnt lgkmcnt(0)
	v_mov_b32_dpp v5, v3 row_shr:1 row_mask:0xf bank_mask:0xf
	v_cndmask_b32_e32 v5, 0, v5, vcc
	v_add_u32_e32 v3, v5, v3
	v_cmp_lt_u32_e32 vcc, 1, v4
	s_nop 0
	v_mov_b32_dpp v5, v3 row_shr:2 row_mask:0xf bank_mask:0xf
	v_cndmask_b32_e32 v5, 0, v5, vcc
	v_add_u32_e32 v3, v3, v5
	v_cmp_lt_u32_e32 vcc, 3, v4
	s_nop 0
	v_mov_b32_dpp v5, v3 row_shr:4 row_mask:0xf bank_mask:0xf
	v_cndmask_b32_e32 v4, 0, v5, vcc
	v_add_u32_e32 v3, v3, v4
	ds_write_b32 v18, v3
.LBB89_70:
	s_or_b64 exec, exec, s[0:1]
	v_cmp_lt_u32_e32 vcc, 63, v0
	v_mov_b32_e32 v4, 0
	v_mov_b32_e32 v3, 0
	s_waitcnt lgkmcnt(0)
	s_barrier
	s_and_saveexec_b64 s[0:1], vcc
	s_cbranch_execz .LBB89_72
; %bb.71:
	v_lshl_add_u32 v3, v67, 2, -4
	ds_read_b32 v3, v3
.LBB89_72:
	s_or_b64 exec, exec, s[0:1]
	v_add_u32_e32 v5, -1, v66
	v_and_b32_e32 v6, 64, v66
	v_cmp_lt_i32_e32 vcc, v5, v6
	s_waitcnt lgkmcnt(0)
	v_add_u32_e32 v2, v3, v2
	ds_read_b32 v20, v4 offset:28
	v_cndmask_b32_e32 v5, v5, v66, vcc
	v_lshlrev_b32_e32 v5, 2, v5
	ds_bpermute_b32 v2, v5, v2
	v_cmp_eq_u32_e32 vcc, 0, v0
	s_and_saveexec_b64 s[0:1], vcc
	s_cbranch_execz .LBB89_74
; %bb.73:
	v_mov_b32_e32 v4, 0
	v_mov_b32_e32 v21, 2
	s_waitcnt lgkmcnt(1)
	global_store_dwordx2 v4, v[20:21], s[36:37] offset:512 sc1
.LBB89_74:
	s_or_b64 exec, exec, s[0:1]
	v_cmp_eq_u32_e64 s[0:1], 0, v66
	v_mov_b32_e32 v52, 0
	s_waitcnt lgkmcnt(0)
	v_cndmask_b32_e64 v2, v2, v3, s[0:1]
	v_cndmask_b32_e64 v2, v2, 0, vcc
	v_add_u32_e32 v3, v2, v51
	v_add_u32_e32 v4, v3, v53
	;; [unrolled: 1-line block ×14, first 2 shown]
	s_barrier
.LBB89_75:
	v_add_u32_e32 v17, v20, v37
	v_sub_u32_e32 v2, v2, v52
	v_and_b32_e32 v37, 1, v50
	v_sub_u32_e32 v21, v17, v2
	v_cmp_eq_u32_e32 vcc, 1, v37
	s_add_u32 s0, s22, s30
	s_addc_u32 s1, s23, 0
	v_cndmask_b32_e32 v2, v21, v2, vcc
	v_lshlrev_b32_e32 v2, 2, v2
	ds_write_b32 v2, v34
	v_sub_u32_e32 v2, v3, v52
	v_sub_u32_e32 v3, v17, v2
	v_and_b32_e32 v21, 1, v49
	v_add_u32_e32 v3, 1, v3
	v_cmp_eq_u32_e32 vcc, 1, v21
	s_sub_u32 s0, s28, s0
	s_subb_u32 s1, s29, s1
	v_cndmask_b32_e32 v2, v3, v2, vcc
	v_lshlrev_b32_e32 v2, 2, v2
	ds_write_b32 v2, v35
	v_sub_u32_e32 v2, v4, v52
	v_sub_u32_e32 v3, v17, v2
	v_and_b32_e32 v4, 1, v48
	v_add_u32_e32 v3, 2, v3
	v_cmp_eq_u32_e32 vcc, 1, v4
	v_and_b32_e32 v4, 1, v47
	v_or_b32_e32 v50, 0x200, v0
	v_cndmask_b32_e32 v2, v3, v2, vcc
	v_lshlrev_b32_e32 v2, 2, v2
	ds_write_b32 v2, v32
	v_sub_u32_e32 v2, v5, v52
	v_sub_u32_e32 v3, v17, v2
	v_add_u32_e32 v3, 3, v3
	v_cmp_eq_u32_e32 vcc, 1, v4
	v_and_b32_e32 v4, 1, v46
	v_or_b32_e32 v46, 0x400, v0
	v_cndmask_b32_e32 v2, v3, v2, vcc
	v_lshlrev_b32_e32 v2, 2, v2
	ds_write_b32 v2, v33
	v_sub_u32_e32 v2, v6, v52
	v_sub_u32_e32 v3, v17, v2
	;; [unrolled: 9-line block ×12, first 2 shown]
	v_add_u32_e32 v3, 14, v3
	v_cmp_eq_u32_e32 vcc, 1, v4
	v_or_b32_e32 v16, 0x1600, v0
	v_or_b32_e32 v4, 0x1c00, v0
	v_cndmask_b32_e32 v2, v3, v2, vcc
	v_lshlrev_b32_e32 v2, 2, v2
	ds_write_b32 v2, v1
	s_waitcnt lgkmcnt(0)
	s_barrier
	ds_read2st64_b32 v[48:49], v18 offset1:8
	ds_read2st64_b32 v[42:43], v18 offset0:16 offset1:24
	ds_read2st64_b32 v[36:37], v18 offset0:32 offset1:40
	;; [unrolled: 1-line block ×6, first 2 shown]
	ds_read_b32 v54, v18 offset:28672
	v_mov_b32_e32 v1, 0
	v_mov_b32_e32 v53, v1
	;; [unrolled: 1-line block ×3, first 2 shown]
	v_lshl_add_u64 v[2:3], s[34:35], 0, v[52:53]
	v_lshl_add_u64 v[6:7], s[0:1], 0, v[20:21]
	v_mov_b32_e32 v51, v1
	v_mov_b32_e32 v47, v1
	;; [unrolled: 1-line block ×14, first 2 shown]
	s_and_b64 vcc, exec, s[20:21]
	v_lshl_add_u64 v[6:7], v[6:7], 0, v[2:3]
	s_cbranch_vccnz .LBB89_137
; %bb.76:
	v_cmp_ge_u32_e32 vcc, v0, v20
                                        ; implicit-def: $vgpr18_vgpr19
	s_and_saveexec_b64 s[0:1], vcc
	s_xor_b64 s[0:1], exec, s[0:1]
; %bb.77:
	v_not_b32_e32 v18, v0
	v_ashrrev_i32_e32 v19, 31, v18
	v_lshl_add_u64 v[18:19], v[6:7], 0, v[18:19]
; %bb.78:
	s_andn2_saveexec_b64 s[0:1], s[0:1]
; %bb.79:
	v_lshl_add_u64 v[18:19], v[2:3], 0, v[0:1]
; %bb.80:
	s_or_b64 exec, exec, s[0:1]
	v_lshl_add_u64 v[18:19], v[18:19], 2, s[2:3]
	v_cmp_ge_u32_e32 vcc, v50, v20
	s_waitcnt lgkmcnt(7)
	global_store_dword v[18:19], v48, off
                                        ; implicit-def: $vgpr18_vgpr19
	s_and_saveexec_b64 s[0:1], vcc
	s_xor_b64 s[0:1], exec, s[0:1]
; %bb.81:
	v_xor_b32_e32 v18, 0xfffffdff, v0
	v_ashrrev_i32_e32 v19, 31, v18
	v_lshl_add_u64 v[18:19], v[6:7], 0, v[18:19]
; %bb.82:
	s_andn2_saveexec_b64 s[0:1], s[0:1]
; %bb.83:
	v_lshl_add_u64 v[18:19], v[2:3], 0, v[50:51]
; %bb.84:
	s_or_b64 exec, exec, s[0:1]
	v_lshl_add_u64 v[18:19], v[18:19], 2, s[2:3]
	v_cmp_ge_u32_e32 vcc, v46, v20
	global_store_dword v[18:19], v49, off
                                        ; implicit-def: $vgpr18_vgpr19
	s_and_saveexec_b64 s[0:1], vcc
	s_xor_b64 s[0:1], exec, s[0:1]
; %bb.85:
	v_xor_b32_e32 v18, 0xfffffbff, v0
	v_ashrrev_i32_e32 v19, 31, v18
	v_lshl_add_u64 v[18:19], v[6:7], 0, v[18:19]
; %bb.86:
	s_andn2_saveexec_b64 s[0:1], s[0:1]
; %bb.87:
	v_lshl_add_u64 v[18:19], v[2:3], 0, v[46:47]
; %bb.88:
	s_or_b64 exec, exec, s[0:1]
	v_lshl_add_u64 v[18:19], v[18:19], 2, s[2:3]
	v_cmp_ge_u32_e32 vcc, v44, v20
	s_waitcnt lgkmcnt(6)
	global_store_dword v[18:19], v42, off
                                        ; implicit-def: $vgpr18_vgpr19
	s_and_saveexec_b64 s[0:1], vcc
	s_xor_b64 s[0:1], exec, s[0:1]
; %bb.89:
	v_xor_b32_e32 v18, 0xfffff9ff, v0
	v_ashrrev_i32_e32 v19, 31, v18
	v_lshl_add_u64 v[18:19], v[6:7], 0, v[18:19]
; %bb.90:
	s_andn2_saveexec_b64 s[0:1], s[0:1]
; %bb.91:
	v_lshl_add_u64 v[18:19], v[2:3], 0, v[44:45]
; %bb.92:
	s_or_b64 exec, exec, s[0:1]
	v_lshl_add_u64 v[18:19], v[18:19], 2, s[2:3]
	v_cmp_ge_u32_e32 vcc, v40, v20
	global_store_dword v[18:19], v43, off
                                        ; implicit-def: $vgpr18_vgpr19
	s_and_saveexec_b64 s[0:1], vcc
	s_xor_b64 s[0:1], exec, s[0:1]
; %bb.93:
	v_xor_b32_e32 v18, 0xfffff7ff, v0
	;; [unrolled: 33-line block ×7, first 2 shown]
	v_ashrrev_i32_e32 v19, 31, v18
	v_lshl_add_u64 v[18:19], v[6:7], 0, v[18:19]
; %bb.134:
	s_andn2_saveexec_b64 s[0:1], s[0:1]
; %bb.135:
	v_lshl_add_u64 v[18:19], v[2:3], 0, v[4:5]
; %bb.136:
	s_or_b64 exec, exec, s[0:1]
	s_mov_b64 s[0:1], -1
	s_branch .LBB89_229
.LBB89_137:
	s_mov_b64 s[0:1], 0
                                        ; implicit-def: $vgpr18_vgpr19
	s_cbranch_execz .LBB89_229
; %bb.138:
	v_cmp_gt_u32_e32 vcc, s33, v0
	s_and_saveexec_b64 s[4:5], vcc
	s_cbranch_execz .LBB89_180
; %bb.139:
	v_cmp_ge_u32_e32 vcc, v0, v20
                                        ; implicit-def: $vgpr18_vgpr19
	s_and_saveexec_b64 s[6:7], vcc
	s_xor_b64 s[6:7], exec, s[6:7]
; %bb.140:
	v_not_b32_e32 v18, v0
	v_ashrrev_i32_e32 v19, 31, v18
	v_lshl_add_u64 v[18:19], v[6:7], 0, v[18:19]
; %bb.141:
	s_andn2_saveexec_b64 s[6:7], s[6:7]
; %bb.142:
	v_lshl_add_u64 v[18:19], v[2:3], 0, v[0:1]
; %bb.143:
	s_or_b64 exec, exec, s[6:7]
	v_lshl_add_u64 v[18:19], v[18:19], 2, s[2:3]
	s_waitcnt lgkmcnt(7)
	global_store_dword v[18:19], v48, off
	s_or_b64 exec, exec, s[4:5]
	v_cmp_gt_u32_e32 vcc, s33, v50
	s_and_saveexec_b64 s[4:5], vcc
	s_cbranch_execnz .LBB89_181
.LBB89_144:
	s_or_b64 exec, exec, s[4:5]
	v_cmp_gt_u32_e32 vcc, s33, v46
	s_and_saveexec_b64 s[4:5], vcc
	s_cbranch_execz .LBB89_186
.LBB89_145:
	v_cmp_ge_u32_e32 vcc, v46, v20
                                        ; implicit-def: $vgpr18_vgpr19
	s_and_saveexec_b64 s[6:7], vcc
	s_xor_b64 s[6:7], exec, s[6:7]
; %bb.146:
	v_xor_b32_e32 v18, 0xfffffbff, v0
	v_ashrrev_i32_e32 v19, 31, v18
	v_lshl_add_u64 v[18:19], v[6:7], 0, v[18:19]
                                        ; implicit-def: $vgpr46_vgpr47
; %bb.147:
	s_andn2_saveexec_b64 s[6:7], s[6:7]
; %bb.148:
	v_lshl_add_u64 v[18:19], v[2:3], 0, v[46:47]
; %bb.149:
	s_or_b64 exec, exec, s[6:7]
	v_lshl_add_u64 v[18:19], v[18:19], 2, s[2:3]
	s_waitcnt lgkmcnt(6)
	global_store_dword v[18:19], v42, off
	s_or_b64 exec, exec, s[4:5]
	v_cmp_gt_u32_e32 vcc, s33, v44
	s_and_saveexec_b64 s[4:5], vcc
	s_cbranch_execnz .LBB89_187
.LBB89_150:
	s_or_b64 exec, exec, s[4:5]
	v_cmp_gt_u32_e32 vcc, s33, v40
	s_and_saveexec_b64 s[4:5], vcc
	s_cbranch_execz .LBB89_192
.LBB89_151:
	v_cmp_ge_u32_e32 vcc, v40, v20
                                        ; implicit-def: $vgpr18_vgpr19
	s_and_saveexec_b64 s[6:7], vcc
	s_xor_b64 s[6:7], exec, s[6:7]
; %bb.152:
	v_xor_b32_e32 v18, 0xfffff7ff, v0
	v_ashrrev_i32_e32 v19, 31, v18
	v_lshl_add_u64 v[18:19], v[6:7], 0, v[18:19]
                                        ; implicit-def: $vgpr40_vgpr41
; %bb.153:
	s_andn2_saveexec_b64 s[6:7], s[6:7]
; %bb.154:
	v_lshl_add_u64 v[18:19], v[2:3], 0, v[40:41]
; %bb.155:
	s_or_b64 exec, exec, s[6:7]
	v_lshl_add_u64 v[18:19], v[18:19], 2, s[2:3]
	s_waitcnt lgkmcnt(5)
	global_store_dword v[18:19], v36, off
	s_or_b64 exec, exec, s[4:5]
	v_cmp_gt_u32_e32 vcc, s33, v38
	s_and_saveexec_b64 s[4:5], vcc
	s_cbranch_execnz .LBB89_193
.LBB89_156:
	s_or_b64 exec, exec, s[4:5]
	v_cmp_gt_u32_e32 vcc, s33, v34
	s_and_saveexec_b64 s[4:5], vcc
	s_cbranch_execz .LBB89_198
.LBB89_157:
	v_cmp_ge_u32_e32 vcc, v34, v20
                                        ; implicit-def: $vgpr18_vgpr19
	s_and_saveexec_b64 s[6:7], vcc
	s_xor_b64 s[6:7], exec, s[6:7]
; %bb.158:
	v_xor_b32_e32 v18, 0xfffff3ff, v0
	v_ashrrev_i32_e32 v19, 31, v18
	v_lshl_add_u64 v[18:19], v[6:7], 0, v[18:19]
                                        ; implicit-def: $vgpr34_vgpr35
; %bb.159:
	s_andn2_saveexec_b64 s[6:7], s[6:7]
; %bb.160:
	v_lshl_add_u64 v[18:19], v[2:3], 0, v[34:35]
; %bb.161:
	s_or_b64 exec, exec, s[6:7]
	v_lshl_add_u64 v[18:19], v[18:19], 2, s[2:3]
	s_waitcnt lgkmcnt(4)
	global_store_dword v[18:19], v30, off
	s_or_b64 exec, exec, s[4:5]
	v_cmp_gt_u32_e32 vcc, s33, v32
	s_and_saveexec_b64 s[4:5], vcc
	s_cbranch_execnz .LBB89_199
.LBB89_162:
	s_or_b64 exec, exec, s[4:5]
	v_cmp_gt_u32_e32 vcc, s33, v28
	s_and_saveexec_b64 s[4:5], vcc
	s_cbranch_execz .LBB89_204
.LBB89_163:
	v_cmp_ge_u32_e32 vcc, v28, v20
                                        ; implicit-def: $vgpr18_vgpr19
	s_and_saveexec_b64 s[6:7], vcc
	s_xor_b64 s[6:7], exec, s[6:7]
; %bb.164:
	v_xor_b32_e32 v18, 0xffffefff, v0
	v_ashrrev_i32_e32 v19, 31, v18
	v_lshl_add_u64 v[18:19], v[6:7], 0, v[18:19]
                                        ; implicit-def: $vgpr28_vgpr29
; %bb.165:
	s_andn2_saveexec_b64 s[6:7], s[6:7]
; %bb.166:
	v_lshl_add_u64 v[18:19], v[2:3], 0, v[28:29]
; %bb.167:
	s_or_b64 exec, exec, s[6:7]
	v_lshl_add_u64 v[18:19], v[18:19], 2, s[2:3]
	s_waitcnt lgkmcnt(3)
	global_store_dword v[18:19], v24, off
	s_or_b64 exec, exec, s[4:5]
	v_cmp_gt_u32_e32 vcc, s33, v26
	s_and_saveexec_b64 s[4:5], vcc
	s_cbranch_execnz .LBB89_205
.LBB89_168:
	s_or_b64 exec, exec, s[4:5]
	v_cmp_gt_u32_e32 vcc, s33, v22
	s_and_saveexec_b64 s[4:5], vcc
	s_cbranch_execz .LBB89_210
.LBB89_169:
	v_cmp_ge_u32_e32 vcc, v22, v20
                                        ; implicit-def: $vgpr18_vgpr19
	s_and_saveexec_b64 s[6:7], vcc
	s_xor_b64 s[6:7], exec, s[6:7]
; %bb.170:
	v_xor_b32_e32 v18, 0xffffebff, v0
	v_ashrrev_i32_e32 v19, 31, v18
	v_lshl_add_u64 v[18:19], v[6:7], 0, v[18:19]
                                        ; implicit-def: $vgpr22_vgpr23
; %bb.171:
	s_andn2_saveexec_b64 s[6:7], s[6:7]
; %bb.172:
	v_lshl_add_u64 v[18:19], v[2:3], 0, v[22:23]
; %bb.173:
	s_or_b64 exec, exec, s[6:7]
	v_lshl_add_u64 v[18:19], v[18:19], 2, s[2:3]
	s_waitcnt lgkmcnt(2)
	global_store_dword v[18:19], v14, off
	s_or_b64 exec, exec, s[4:5]
	v_cmp_gt_u32_e32 vcc, s33, v16
	s_and_saveexec_b64 s[4:5], vcc
	s_cbranch_execnz .LBB89_211
.LBB89_174:
	s_or_b64 exec, exec, s[4:5]
	v_cmp_gt_u32_e32 vcc, s33, v12
	s_and_saveexec_b64 s[4:5], vcc
	s_cbranch_execz .LBB89_216
.LBB89_175:
	v_cmp_ge_u32_e32 vcc, v12, v20
                                        ; implicit-def: $vgpr14_vgpr15
	s_and_saveexec_b64 s[6:7], vcc
	s_xor_b64 s[6:7], exec, s[6:7]
	s_cbranch_execz .LBB89_177
; %bb.176:
	v_xor_b32_e32 v12, 0xffffe7ff, v0
	v_ashrrev_i32_e32 v13, 31, v12
	s_waitcnt lgkmcnt(2)
	v_lshl_add_u64 v[14:15], v[6:7], 0, v[12:13]
                                        ; implicit-def: $vgpr12_vgpr13
.LBB89_177:
	s_andn2_saveexec_b64 s[6:7], s[6:7]
	s_cbranch_execz .LBB89_179
; %bb.178:
	s_waitcnt lgkmcnt(2)
	v_lshl_add_u64 v[14:15], v[2:3], 0, v[12:13]
.LBB89_179:
	s_or_b64 exec, exec, s[6:7]
	s_waitcnt lgkmcnt(2)
	v_lshl_add_u64 v[12:13], v[14:15], 2, s[2:3]
	s_waitcnt lgkmcnt(1)
	global_store_dword v[12:13], v8, off
	s_or_b64 exec, exec, s[4:5]
	v_cmp_gt_u32_e32 vcc, s33, v10
	s_and_saveexec_b64 s[4:5], vcc
	s_cbranch_execz .LBB89_222
	s_branch .LBB89_217
.LBB89_180:
	s_or_b64 exec, exec, s[4:5]
	v_cmp_gt_u32_e32 vcc, s33, v50
	s_and_saveexec_b64 s[4:5], vcc
	s_cbranch_execz .LBB89_144
.LBB89_181:
	v_cmp_ge_u32_e32 vcc, v50, v20
                                        ; implicit-def: $vgpr18_vgpr19
	s_and_saveexec_b64 s[6:7], vcc
	s_xor_b64 s[6:7], exec, s[6:7]
; %bb.182:
	v_xor_b32_e32 v18, 0xfffffdff, v0
	v_ashrrev_i32_e32 v19, 31, v18
	v_lshl_add_u64 v[18:19], v[6:7], 0, v[18:19]
                                        ; implicit-def: $vgpr50_vgpr51
; %bb.183:
	s_andn2_saveexec_b64 s[6:7], s[6:7]
; %bb.184:
	v_lshl_add_u64 v[18:19], v[2:3], 0, v[50:51]
; %bb.185:
	s_or_b64 exec, exec, s[6:7]
	v_lshl_add_u64 v[18:19], v[18:19], 2, s[2:3]
	s_waitcnt lgkmcnt(7)
	global_store_dword v[18:19], v49, off
	s_or_b64 exec, exec, s[4:5]
	v_cmp_gt_u32_e32 vcc, s33, v46
	s_and_saveexec_b64 s[4:5], vcc
	s_cbranch_execnz .LBB89_145
.LBB89_186:
	s_or_b64 exec, exec, s[4:5]
	v_cmp_gt_u32_e32 vcc, s33, v44
	s_and_saveexec_b64 s[4:5], vcc
	s_cbranch_execz .LBB89_150
.LBB89_187:
	v_cmp_ge_u32_e32 vcc, v44, v20
                                        ; implicit-def: $vgpr18_vgpr19
	s_and_saveexec_b64 s[6:7], vcc
	s_xor_b64 s[6:7], exec, s[6:7]
; %bb.188:
	v_xor_b32_e32 v18, 0xfffff9ff, v0
	v_ashrrev_i32_e32 v19, 31, v18
	v_lshl_add_u64 v[18:19], v[6:7], 0, v[18:19]
                                        ; implicit-def: $vgpr44_vgpr45
; %bb.189:
	s_andn2_saveexec_b64 s[6:7], s[6:7]
; %bb.190:
	v_lshl_add_u64 v[18:19], v[2:3], 0, v[44:45]
; %bb.191:
	s_or_b64 exec, exec, s[6:7]
	v_lshl_add_u64 v[18:19], v[18:19], 2, s[2:3]
	s_waitcnt lgkmcnt(6)
	global_store_dword v[18:19], v43, off
	s_or_b64 exec, exec, s[4:5]
	v_cmp_gt_u32_e32 vcc, s33, v40
	s_and_saveexec_b64 s[4:5], vcc
	s_cbranch_execnz .LBB89_151
.LBB89_192:
	s_or_b64 exec, exec, s[4:5]
	v_cmp_gt_u32_e32 vcc, s33, v38
	s_and_saveexec_b64 s[4:5], vcc
	s_cbranch_execz .LBB89_156
.LBB89_193:
	v_cmp_ge_u32_e32 vcc, v38, v20
                                        ; implicit-def: $vgpr18_vgpr19
	s_and_saveexec_b64 s[6:7], vcc
	s_xor_b64 s[6:7], exec, s[6:7]
; %bb.194:
	v_xor_b32_e32 v18, 0xfffff5ff, v0
	v_ashrrev_i32_e32 v19, 31, v18
	v_lshl_add_u64 v[18:19], v[6:7], 0, v[18:19]
                                        ; implicit-def: $vgpr38_vgpr39
; %bb.195:
	s_andn2_saveexec_b64 s[6:7], s[6:7]
; %bb.196:
	v_lshl_add_u64 v[18:19], v[2:3], 0, v[38:39]
; %bb.197:
	s_or_b64 exec, exec, s[6:7]
	v_lshl_add_u64 v[18:19], v[18:19], 2, s[2:3]
	s_waitcnt lgkmcnt(5)
	global_store_dword v[18:19], v37, off
	s_or_b64 exec, exec, s[4:5]
	v_cmp_gt_u32_e32 vcc, s33, v34
	s_and_saveexec_b64 s[4:5], vcc
	s_cbranch_execnz .LBB89_157
.LBB89_198:
	s_or_b64 exec, exec, s[4:5]
	v_cmp_gt_u32_e32 vcc, s33, v32
	s_and_saveexec_b64 s[4:5], vcc
	s_cbranch_execz .LBB89_162
.LBB89_199:
	v_cmp_ge_u32_e32 vcc, v32, v20
                                        ; implicit-def: $vgpr18_vgpr19
	s_and_saveexec_b64 s[6:7], vcc
	s_xor_b64 s[6:7], exec, s[6:7]
; %bb.200:
	v_xor_b32_e32 v18, 0xfffff1ff, v0
	v_ashrrev_i32_e32 v19, 31, v18
	v_lshl_add_u64 v[18:19], v[6:7], 0, v[18:19]
                                        ; implicit-def: $vgpr32_vgpr33
; %bb.201:
	s_andn2_saveexec_b64 s[6:7], s[6:7]
; %bb.202:
	v_lshl_add_u64 v[18:19], v[2:3], 0, v[32:33]
; %bb.203:
	s_or_b64 exec, exec, s[6:7]
	v_lshl_add_u64 v[18:19], v[18:19], 2, s[2:3]
	s_waitcnt lgkmcnt(4)
	global_store_dword v[18:19], v31, off
	s_or_b64 exec, exec, s[4:5]
	v_cmp_gt_u32_e32 vcc, s33, v28
	s_and_saveexec_b64 s[4:5], vcc
	s_cbranch_execnz .LBB89_163
.LBB89_204:
	s_or_b64 exec, exec, s[4:5]
	v_cmp_gt_u32_e32 vcc, s33, v26
	s_and_saveexec_b64 s[4:5], vcc
	s_cbranch_execz .LBB89_168
.LBB89_205:
	v_cmp_ge_u32_e32 vcc, v26, v20
                                        ; implicit-def: $vgpr18_vgpr19
	s_and_saveexec_b64 s[6:7], vcc
	s_xor_b64 s[6:7], exec, s[6:7]
; %bb.206:
	v_xor_b32_e32 v18, 0xffffedff, v0
	v_ashrrev_i32_e32 v19, 31, v18
	v_lshl_add_u64 v[18:19], v[6:7], 0, v[18:19]
                                        ; implicit-def: $vgpr26_vgpr27
; %bb.207:
	s_andn2_saveexec_b64 s[6:7], s[6:7]
; %bb.208:
	v_lshl_add_u64 v[18:19], v[2:3], 0, v[26:27]
; %bb.209:
	s_or_b64 exec, exec, s[6:7]
	v_lshl_add_u64 v[18:19], v[18:19], 2, s[2:3]
	s_waitcnt lgkmcnt(3)
	global_store_dword v[18:19], v25, off
	s_or_b64 exec, exec, s[4:5]
	v_cmp_gt_u32_e32 vcc, s33, v22
	s_and_saveexec_b64 s[4:5], vcc
	s_cbranch_execnz .LBB89_169
.LBB89_210:
	s_or_b64 exec, exec, s[4:5]
	v_cmp_gt_u32_e32 vcc, s33, v16
	s_and_saveexec_b64 s[4:5], vcc
	s_cbranch_execz .LBB89_174
.LBB89_211:
	v_cmp_ge_u32_e32 vcc, v16, v20
                                        ; implicit-def: $vgpr18_vgpr19
	s_and_saveexec_b64 s[6:7], vcc
	s_xor_b64 s[6:7], exec, s[6:7]
; %bb.212:
	v_xor_b32_e32 v16, 0xffffe9ff, v0
	v_ashrrev_i32_e32 v17, 31, v16
	v_lshl_add_u64 v[18:19], v[6:7], 0, v[16:17]
                                        ; implicit-def: $vgpr16_vgpr17
; %bb.213:
	s_andn2_saveexec_b64 s[6:7], s[6:7]
; %bb.214:
	v_lshl_add_u64 v[18:19], v[2:3], 0, v[16:17]
; %bb.215:
	s_or_b64 exec, exec, s[6:7]
	v_lshl_add_u64 v[16:17], v[18:19], 2, s[2:3]
	s_waitcnt lgkmcnt(2)
	global_store_dword v[16:17], v15, off
	s_or_b64 exec, exec, s[4:5]
	v_cmp_gt_u32_e32 vcc, s33, v12
	s_and_saveexec_b64 s[4:5], vcc
	s_cbranch_execnz .LBB89_175
.LBB89_216:
	s_or_b64 exec, exec, s[4:5]
	v_cmp_gt_u32_e32 vcc, s33, v10
	s_and_saveexec_b64 s[4:5], vcc
	s_cbranch_execz .LBB89_222
.LBB89_217:
	v_cmp_ge_u32_e32 vcc, v10, v20
                                        ; implicit-def: $vgpr12_vgpr13
	s_and_saveexec_b64 s[6:7], vcc
	s_xor_b64 s[6:7], exec, s[6:7]
; %bb.218:
	v_xor_b32_e32 v10, 0xffffe5ff, v0
	v_ashrrev_i32_e32 v11, 31, v10
	v_lshl_add_u64 v[12:13], v[6:7], 0, v[10:11]
                                        ; implicit-def: $vgpr10_vgpr11
; %bb.219:
	s_andn2_saveexec_b64 s[6:7], s[6:7]
; %bb.220:
	v_lshl_add_u64 v[12:13], v[2:3], 0, v[10:11]
; %bb.221:
	s_or_b64 exec, exec, s[6:7]
	v_lshl_add_u64 v[10:11], v[12:13], 2, s[2:3]
	s_waitcnt lgkmcnt(1)
	global_store_dword v[10:11], v9, off
.LBB89_222:
	s_or_b64 exec, exec, s[4:5]
	v_cmp_gt_u32_e32 vcc, s33, v4
                                        ; implicit-def: $vgpr18_vgpr19
	s_and_saveexec_b64 s[4:5], vcc
	s_cbranch_execz .LBB89_228
; %bb.223:
	v_cmp_ge_u32_e32 vcc, v4, v20
                                        ; implicit-def: $vgpr18_vgpr19
	s_and_saveexec_b64 s[6:7], vcc
	s_xor_b64 s[6:7], exec, s[6:7]
; %bb.224:
	v_xor_b32_e32 v4, 0xffffe3ff, v0
	v_ashrrev_i32_e32 v5, 31, v4
	v_lshl_add_u64 v[18:19], v[6:7], 0, v[4:5]
                                        ; implicit-def: $vgpr4_vgpr5
; %bb.225:
	s_andn2_saveexec_b64 s[6:7], s[6:7]
; %bb.226:
	v_lshl_add_u64 v[18:19], v[2:3], 0, v[4:5]
; %bb.227:
	s_or_b64 exec, exec, s[6:7]
	s_or_b64 s[0:1], s[0:1], exec
.LBB89_228:
	s_or_b64 exec, exec, s[4:5]
.LBB89_229:
	s_and_saveexec_b64 s[4:5], s[0:1]
	s_cbranch_execz .LBB89_231
; %bb.230:
	v_lshl_add_u64 v[4:5], v[18:19], 2, s[2:3]
	s_waitcnt lgkmcnt(0)
	global_store_dword v[4:5], v54, off
.LBB89_231:
	s_or_b64 exec, exec, s[4:5]
	v_cmp_eq_u32_e32 vcc, 0, v0
	s_and_b64 s[0:1], vcc, s[26:27]
	s_and_saveexec_b64 s[2:3], s[0:1]
	s_cbranch_execz .LBB89_233
; %bb.232:
	v_mov_b32_e32 v4, 0
	v_lshl_add_u64 v[0:1], v[2:3], 0, v[20:21]
	global_store_dwordx2 v4, v[0:1], s[24:25]
.LBB89_233:
	s_endpgm
	.section	.rodata,"a",@progbits
	.p2align	6, 0x0
	.amdhsa_kernel _ZN7rocprim17ROCPRIM_400000_NS6detail17trampoline_kernelINS0_14default_configENS1_25partition_config_selectorILNS1_17partition_subalgoE3EiNS0_10empty_typeEbEEZZNS1_14partition_implILS5_3ELb0ES3_jN6thrust23THRUST_200600_302600_NS6detail15normal_iteratorINSA_7pointerIiNSA_11hip_rocprim3tagENSA_11use_defaultESG_EEEEPS6_SJ_NS0_5tupleIJPiSJ_EEENSK_IJSJ_SJ_EEES6_PlJ7is_evenIiEEEE10hipError_tPvRmT3_T4_T5_T6_T7_T9_mT8_P12ihipStream_tbDpT10_ENKUlT_T0_E_clISt17integral_constantIbLb0EES1A_EEDaS15_S16_EUlS15_E_NS1_11comp_targetILNS1_3genE5ELNS1_11target_archE942ELNS1_3gpuE9ELNS1_3repE0EEENS1_30default_config_static_selectorELNS0_4arch9wavefront6targetE1EEEvT1_
		.amdhsa_group_segment_fixed_size 30728
		.amdhsa_private_segment_fixed_size 0
		.amdhsa_kernarg_size 120
		.amdhsa_user_sgpr_count 2
		.amdhsa_user_sgpr_dispatch_ptr 0
		.amdhsa_user_sgpr_queue_ptr 0
		.amdhsa_user_sgpr_kernarg_segment_ptr 1
		.amdhsa_user_sgpr_dispatch_id 0
		.amdhsa_user_sgpr_kernarg_preload_length 0
		.amdhsa_user_sgpr_kernarg_preload_offset 0
		.amdhsa_user_sgpr_private_segment_size 0
		.amdhsa_uses_dynamic_stack 0
		.amdhsa_enable_private_segment 0
		.amdhsa_system_sgpr_workgroup_id_x 1
		.amdhsa_system_sgpr_workgroup_id_y 0
		.amdhsa_system_sgpr_workgroup_id_z 0
		.amdhsa_system_sgpr_workgroup_info 0
		.amdhsa_system_vgpr_workitem_id 0
		.amdhsa_next_free_vgpr 76
		.amdhsa_next_free_sgpr 46
		.amdhsa_accum_offset 76
		.amdhsa_reserve_vcc 1
		.amdhsa_float_round_mode_32 0
		.amdhsa_float_round_mode_16_64 0
		.amdhsa_float_denorm_mode_32 3
		.amdhsa_float_denorm_mode_16_64 3
		.amdhsa_dx10_clamp 1
		.amdhsa_ieee_mode 1
		.amdhsa_fp16_overflow 0
		.amdhsa_tg_split 0
		.amdhsa_exception_fp_ieee_invalid_op 0
		.amdhsa_exception_fp_denorm_src 0
		.amdhsa_exception_fp_ieee_div_zero 0
		.amdhsa_exception_fp_ieee_overflow 0
		.amdhsa_exception_fp_ieee_underflow 0
		.amdhsa_exception_fp_ieee_inexact 0
		.amdhsa_exception_int_div_zero 0
	.end_amdhsa_kernel
	.section	.text._ZN7rocprim17ROCPRIM_400000_NS6detail17trampoline_kernelINS0_14default_configENS1_25partition_config_selectorILNS1_17partition_subalgoE3EiNS0_10empty_typeEbEEZZNS1_14partition_implILS5_3ELb0ES3_jN6thrust23THRUST_200600_302600_NS6detail15normal_iteratorINSA_7pointerIiNSA_11hip_rocprim3tagENSA_11use_defaultESG_EEEEPS6_SJ_NS0_5tupleIJPiSJ_EEENSK_IJSJ_SJ_EEES6_PlJ7is_evenIiEEEE10hipError_tPvRmT3_T4_T5_T6_T7_T9_mT8_P12ihipStream_tbDpT10_ENKUlT_T0_E_clISt17integral_constantIbLb0EES1A_EEDaS15_S16_EUlS15_E_NS1_11comp_targetILNS1_3genE5ELNS1_11target_archE942ELNS1_3gpuE9ELNS1_3repE0EEENS1_30default_config_static_selectorELNS0_4arch9wavefront6targetE1EEEvT1_,"axG",@progbits,_ZN7rocprim17ROCPRIM_400000_NS6detail17trampoline_kernelINS0_14default_configENS1_25partition_config_selectorILNS1_17partition_subalgoE3EiNS0_10empty_typeEbEEZZNS1_14partition_implILS5_3ELb0ES3_jN6thrust23THRUST_200600_302600_NS6detail15normal_iteratorINSA_7pointerIiNSA_11hip_rocprim3tagENSA_11use_defaultESG_EEEEPS6_SJ_NS0_5tupleIJPiSJ_EEENSK_IJSJ_SJ_EEES6_PlJ7is_evenIiEEEE10hipError_tPvRmT3_T4_T5_T6_T7_T9_mT8_P12ihipStream_tbDpT10_ENKUlT_T0_E_clISt17integral_constantIbLb0EES1A_EEDaS15_S16_EUlS15_E_NS1_11comp_targetILNS1_3genE5ELNS1_11target_archE942ELNS1_3gpuE9ELNS1_3repE0EEENS1_30default_config_static_selectorELNS0_4arch9wavefront6targetE1EEEvT1_,comdat
.Lfunc_end89:
	.size	_ZN7rocprim17ROCPRIM_400000_NS6detail17trampoline_kernelINS0_14default_configENS1_25partition_config_selectorILNS1_17partition_subalgoE3EiNS0_10empty_typeEbEEZZNS1_14partition_implILS5_3ELb0ES3_jN6thrust23THRUST_200600_302600_NS6detail15normal_iteratorINSA_7pointerIiNSA_11hip_rocprim3tagENSA_11use_defaultESG_EEEEPS6_SJ_NS0_5tupleIJPiSJ_EEENSK_IJSJ_SJ_EEES6_PlJ7is_evenIiEEEE10hipError_tPvRmT3_T4_T5_T6_T7_T9_mT8_P12ihipStream_tbDpT10_ENKUlT_T0_E_clISt17integral_constantIbLb0EES1A_EEDaS15_S16_EUlS15_E_NS1_11comp_targetILNS1_3genE5ELNS1_11target_archE942ELNS1_3gpuE9ELNS1_3repE0EEENS1_30default_config_static_selectorELNS0_4arch9wavefront6targetE1EEEvT1_, .Lfunc_end89-_ZN7rocprim17ROCPRIM_400000_NS6detail17trampoline_kernelINS0_14default_configENS1_25partition_config_selectorILNS1_17partition_subalgoE3EiNS0_10empty_typeEbEEZZNS1_14partition_implILS5_3ELb0ES3_jN6thrust23THRUST_200600_302600_NS6detail15normal_iteratorINSA_7pointerIiNSA_11hip_rocprim3tagENSA_11use_defaultESG_EEEEPS6_SJ_NS0_5tupleIJPiSJ_EEENSK_IJSJ_SJ_EEES6_PlJ7is_evenIiEEEE10hipError_tPvRmT3_T4_T5_T6_T7_T9_mT8_P12ihipStream_tbDpT10_ENKUlT_T0_E_clISt17integral_constantIbLb0EES1A_EEDaS15_S16_EUlS15_E_NS1_11comp_targetILNS1_3genE5ELNS1_11target_archE942ELNS1_3gpuE9ELNS1_3repE0EEENS1_30default_config_static_selectorELNS0_4arch9wavefront6targetE1EEEvT1_
                                        ; -- End function
	.section	.AMDGPU.csdata,"",@progbits
; Kernel info:
; codeLenInByte = 7516
; NumSgprs: 52
; NumVgprs: 76
; NumAgprs: 0
; TotalNumVgprs: 76
; ScratchSize: 0
; MemoryBound: 0
; FloatMode: 240
; IeeeMode: 1
; LDSByteSize: 30728 bytes/workgroup (compile time only)
; SGPRBlocks: 6
; VGPRBlocks: 9
; NumSGPRsForWavesPerEU: 52
; NumVGPRsForWavesPerEU: 76
; AccumOffset: 76
; Occupancy: 4
; WaveLimiterHint : 1
; COMPUTE_PGM_RSRC2:SCRATCH_EN: 0
; COMPUTE_PGM_RSRC2:USER_SGPR: 2
; COMPUTE_PGM_RSRC2:TRAP_HANDLER: 0
; COMPUTE_PGM_RSRC2:TGID_X_EN: 1
; COMPUTE_PGM_RSRC2:TGID_Y_EN: 0
; COMPUTE_PGM_RSRC2:TGID_Z_EN: 0
; COMPUTE_PGM_RSRC2:TIDIG_COMP_CNT: 0
; COMPUTE_PGM_RSRC3_GFX90A:ACCUM_OFFSET: 18
; COMPUTE_PGM_RSRC3_GFX90A:TG_SPLIT: 0
	.section	.text._ZN7rocprim17ROCPRIM_400000_NS6detail17trampoline_kernelINS0_14default_configENS1_25partition_config_selectorILNS1_17partition_subalgoE3EiNS0_10empty_typeEbEEZZNS1_14partition_implILS5_3ELb0ES3_jN6thrust23THRUST_200600_302600_NS6detail15normal_iteratorINSA_7pointerIiNSA_11hip_rocprim3tagENSA_11use_defaultESG_EEEEPS6_SJ_NS0_5tupleIJPiSJ_EEENSK_IJSJ_SJ_EEES6_PlJ7is_evenIiEEEE10hipError_tPvRmT3_T4_T5_T6_T7_T9_mT8_P12ihipStream_tbDpT10_ENKUlT_T0_E_clISt17integral_constantIbLb0EES1A_EEDaS15_S16_EUlS15_E_NS1_11comp_targetILNS1_3genE4ELNS1_11target_archE910ELNS1_3gpuE8ELNS1_3repE0EEENS1_30default_config_static_selectorELNS0_4arch9wavefront6targetE1EEEvT1_,"axG",@progbits,_ZN7rocprim17ROCPRIM_400000_NS6detail17trampoline_kernelINS0_14default_configENS1_25partition_config_selectorILNS1_17partition_subalgoE3EiNS0_10empty_typeEbEEZZNS1_14partition_implILS5_3ELb0ES3_jN6thrust23THRUST_200600_302600_NS6detail15normal_iteratorINSA_7pointerIiNSA_11hip_rocprim3tagENSA_11use_defaultESG_EEEEPS6_SJ_NS0_5tupleIJPiSJ_EEENSK_IJSJ_SJ_EEES6_PlJ7is_evenIiEEEE10hipError_tPvRmT3_T4_T5_T6_T7_T9_mT8_P12ihipStream_tbDpT10_ENKUlT_T0_E_clISt17integral_constantIbLb0EES1A_EEDaS15_S16_EUlS15_E_NS1_11comp_targetILNS1_3genE4ELNS1_11target_archE910ELNS1_3gpuE8ELNS1_3repE0EEENS1_30default_config_static_selectorELNS0_4arch9wavefront6targetE1EEEvT1_,comdat
	.protected	_ZN7rocprim17ROCPRIM_400000_NS6detail17trampoline_kernelINS0_14default_configENS1_25partition_config_selectorILNS1_17partition_subalgoE3EiNS0_10empty_typeEbEEZZNS1_14partition_implILS5_3ELb0ES3_jN6thrust23THRUST_200600_302600_NS6detail15normal_iteratorINSA_7pointerIiNSA_11hip_rocprim3tagENSA_11use_defaultESG_EEEEPS6_SJ_NS0_5tupleIJPiSJ_EEENSK_IJSJ_SJ_EEES6_PlJ7is_evenIiEEEE10hipError_tPvRmT3_T4_T5_T6_T7_T9_mT8_P12ihipStream_tbDpT10_ENKUlT_T0_E_clISt17integral_constantIbLb0EES1A_EEDaS15_S16_EUlS15_E_NS1_11comp_targetILNS1_3genE4ELNS1_11target_archE910ELNS1_3gpuE8ELNS1_3repE0EEENS1_30default_config_static_selectorELNS0_4arch9wavefront6targetE1EEEvT1_ ; -- Begin function _ZN7rocprim17ROCPRIM_400000_NS6detail17trampoline_kernelINS0_14default_configENS1_25partition_config_selectorILNS1_17partition_subalgoE3EiNS0_10empty_typeEbEEZZNS1_14partition_implILS5_3ELb0ES3_jN6thrust23THRUST_200600_302600_NS6detail15normal_iteratorINSA_7pointerIiNSA_11hip_rocprim3tagENSA_11use_defaultESG_EEEEPS6_SJ_NS0_5tupleIJPiSJ_EEENSK_IJSJ_SJ_EEES6_PlJ7is_evenIiEEEE10hipError_tPvRmT3_T4_T5_T6_T7_T9_mT8_P12ihipStream_tbDpT10_ENKUlT_T0_E_clISt17integral_constantIbLb0EES1A_EEDaS15_S16_EUlS15_E_NS1_11comp_targetILNS1_3genE4ELNS1_11target_archE910ELNS1_3gpuE8ELNS1_3repE0EEENS1_30default_config_static_selectorELNS0_4arch9wavefront6targetE1EEEvT1_
	.globl	_ZN7rocprim17ROCPRIM_400000_NS6detail17trampoline_kernelINS0_14default_configENS1_25partition_config_selectorILNS1_17partition_subalgoE3EiNS0_10empty_typeEbEEZZNS1_14partition_implILS5_3ELb0ES3_jN6thrust23THRUST_200600_302600_NS6detail15normal_iteratorINSA_7pointerIiNSA_11hip_rocprim3tagENSA_11use_defaultESG_EEEEPS6_SJ_NS0_5tupleIJPiSJ_EEENSK_IJSJ_SJ_EEES6_PlJ7is_evenIiEEEE10hipError_tPvRmT3_T4_T5_T6_T7_T9_mT8_P12ihipStream_tbDpT10_ENKUlT_T0_E_clISt17integral_constantIbLb0EES1A_EEDaS15_S16_EUlS15_E_NS1_11comp_targetILNS1_3genE4ELNS1_11target_archE910ELNS1_3gpuE8ELNS1_3repE0EEENS1_30default_config_static_selectorELNS0_4arch9wavefront6targetE1EEEvT1_
	.p2align	8
	.type	_ZN7rocprim17ROCPRIM_400000_NS6detail17trampoline_kernelINS0_14default_configENS1_25partition_config_selectorILNS1_17partition_subalgoE3EiNS0_10empty_typeEbEEZZNS1_14partition_implILS5_3ELb0ES3_jN6thrust23THRUST_200600_302600_NS6detail15normal_iteratorINSA_7pointerIiNSA_11hip_rocprim3tagENSA_11use_defaultESG_EEEEPS6_SJ_NS0_5tupleIJPiSJ_EEENSK_IJSJ_SJ_EEES6_PlJ7is_evenIiEEEE10hipError_tPvRmT3_T4_T5_T6_T7_T9_mT8_P12ihipStream_tbDpT10_ENKUlT_T0_E_clISt17integral_constantIbLb0EES1A_EEDaS15_S16_EUlS15_E_NS1_11comp_targetILNS1_3genE4ELNS1_11target_archE910ELNS1_3gpuE8ELNS1_3repE0EEENS1_30default_config_static_selectorELNS0_4arch9wavefront6targetE1EEEvT1_,@function
_ZN7rocprim17ROCPRIM_400000_NS6detail17trampoline_kernelINS0_14default_configENS1_25partition_config_selectorILNS1_17partition_subalgoE3EiNS0_10empty_typeEbEEZZNS1_14partition_implILS5_3ELb0ES3_jN6thrust23THRUST_200600_302600_NS6detail15normal_iteratorINSA_7pointerIiNSA_11hip_rocprim3tagENSA_11use_defaultESG_EEEEPS6_SJ_NS0_5tupleIJPiSJ_EEENSK_IJSJ_SJ_EEES6_PlJ7is_evenIiEEEE10hipError_tPvRmT3_T4_T5_T6_T7_T9_mT8_P12ihipStream_tbDpT10_ENKUlT_T0_E_clISt17integral_constantIbLb0EES1A_EEDaS15_S16_EUlS15_E_NS1_11comp_targetILNS1_3genE4ELNS1_11target_archE910ELNS1_3gpuE8ELNS1_3repE0EEENS1_30default_config_static_selectorELNS0_4arch9wavefront6targetE1EEEvT1_: ; @_ZN7rocprim17ROCPRIM_400000_NS6detail17trampoline_kernelINS0_14default_configENS1_25partition_config_selectorILNS1_17partition_subalgoE3EiNS0_10empty_typeEbEEZZNS1_14partition_implILS5_3ELb0ES3_jN6thrust23THRUST_200600_302600_NS6detail15normal_iteratorINSA_7pointerIiNSA_11hip_rocprim3tagENSA_11use_defaultESG_EEEEPS6_SJ_NS0_5tupleIJPiSJ_EEENSK_IJSJ_SJ_EEES6_PlJ7is_evenIiEEEE10hipError_tPvRmT3_T4_T5_T6_T7_T9_mT8_P12ihipStream_tbDpT10_ENKUlT_T0_E_clISt17integral_constantIbLb0EES1A_EEDaS15_S16_EUlS15_E_NS1_11comp_targetILNS1_3genE4ELNS1_11target_archE910ELNS1_3gpuE8ELNS1_3repE0EEENS1_30default_config_static_selectorELNS0_4arch9wavefront6targetE1EEEvT1_
; %bb.0:
	.section	.rodata,"a",@progbits
	.p2align	6, 0x0
	.amdhsa_kernel _ZN7rocprim17ROCPRIM_400000_NS6detail17trampoline_kernelINS0_14default_configENS1_25partition_config_selectorILNS1_17partition_subalgoE3EiNS0_10empty_typeEbEEZZNS1_14partition_implILS5_3ELb0ES3_jN6thrust23THRUST_200600_302600_NS6detail15normal_iteratorINSA_7pointerIiNSA_11hip_rocprim3tagENSA_11use_defaultESG_EEEEPS6_SJ_NS0_5tupleIJPiSJ_EEENSK_IJSJ_SJ_EEES6_PlJ7is_evenIiEEEE10hipError_tPvRmT3_T4_T5_T6_T7_T9_mT8_P12ihipStream_tbDpT10_ENKUlT_T0_E_clISt17integral_constantIbLb0EES1A_EEDaS15_S16_EUlS15_E_NS1_11comp_targetILNS1_3genE4ELNS1_11target_archE910ELNS1_3gpuE8ELNS1_3repE0EEENS1_30default_config_static_selectorELNS0_4arch9wavefront6targetE1EEEvT1_
		.amdhsa_group_segment_fixed_size 0
		.amdhsa_private_segment_fixed_size 0
		.amdhsa_kernarg_size 120
		.amdhsa_user_sgpr_count 2
		.amdhsa_user_sgpr_dispatch_ptr 0
		.amdhsa_user_sgpr_queue_ptr 0
		.amdhsa_user_sgpr_kernarg_segment_ptr 1
		.amdhsa_user_sgpr_dispatch_id 0
		.amdhsa_user_sgpr_kernarg_preload_length 0
		.amdhsa_user_sgpr_kernarg_preload_offset 0
		.amdhsa_user_sgpr_private_segment_size 0
		.amdhsa_uses_dynamic_stack 0
		.amdhsa_enable_private_segment 0
		.amdhsa_system_sgpr_workgroup_id_x 1
		.amdhsa_system_sgpr_workgroup_id_y 0
		.amdhsa_system_sgpr_workgroup_id_z 0
		.amdhsa_system_sgpr_workgroup_info 0
		.amdhsa_system_vgpr_workitem_id 0
		.amdhsa_next_free_vgpr 1
		.amdhsa_next_free_sgpr 0
		.amdhsa_accum_offset 4
		.amdhsa_reserve_vcc 0
		.amdhsa_float_round_mode_32 0
		.amdhsa_float_round_mode_16_64 0
		.amdhsa_float_denorm_mode_32 3
		.amdhsa_float_denorm_mode_16_64 3
		.amdhsa_dx10_clamp 1
		.amdhsa_ieee_mode 1
		.amdhsa_fp16_overflow 0
		.amdhsa_tg_split 0
		.amdhsa_exception_fp_ieee_invalid_op 0
		.amdhsa_exception_fp_denorm_src 0
		.amdhsa_exception_fp_ieee_div_zero 0
		.amdhsa_exception_fp_ieee_overflow 0
		.amdhsa_exception_fp_ieee_underflow 0
		.amdhsa_exception_fp_ieee_inexact 0
		.amdhsa_exception_int_div_zero 0
	.end_amdhsa_kernel
	.section	.text._ZN7rocprim17ROCPRIM_400000_NS6detail17trampoline_kernelINS0_14default_configENS1_25partition_config_selectorILNS1_17partition_subalgoE3EiNS0_10empty_typeEbEEZZNS1_14partition_implILS5_3ELb0ES3_jN6thrust23THRUST_200600_302600_NS6detail15normal_iteratorINSA_7pointerIiNSA_11hip_rocprim3tagENSA_11use_defaultESG_EEEEPS6_SJ_NS0_5tupleIJPiSJ_EEENSK_IJSJ_SJ_EEES6_PlJ7is_evenIiEEEE10hipError_tPvRmT3_T4_T5_T6_T7_T9_mT8_P12ihipStream_tbDpT10_ENKUlT_T0_E_clISt17integral_constantIbLb0EES1A_EEDaS15_S16_EUlS15_E_NS1_11comp_targetILNS1_3genE4ELNS1_11target_archE910ELNS1_3gpuE8ELNS1_3repE0EEENS1_30default_config_static_selectorELNS0_4arch9wavefront6targetE1EEEvT1_,"axG",@progbits,_ZN7rocprim17ROCPRIM_400000_NS6detail17trampoline_kernelINS0_14default_configENS1_25partition_config_selectorILNS1_17partition_subalgoE3EiNS0_10empty_typeEbEEZZNS1_14partition_implILS5_3ELb0ES3_jN6thrust23THRUST_200600_302600_NS6detail15normal_iteratorINSA_7pointerIiNSA_11hip_rocprim3tagENSA_11use_defaultESG_EEEEPS6_SJ_NS0_5tupleIJPiSJ_EEENSK_IJSJ_SJ_EEES6_PlJ7is_evenIiEEEE10hipError_tPvRmT3_T4_T5_T6_T7_T9_mT8_P12ihipStream_tbDpT10_ENKUlT_T0_E_clISt17integral_constantIbLb0EES1A_EEDaS15_S16_EUlS15_E_NS1_11comp_targetILNS1_3genE4ELNS1_11target_archE910ELNS1_3gpuE8ELNS1_3repE0EEENS1_30default_config_static_selectorELNS0_4arch9wavefront6targetE1EEEvT1_,comdat
.Lfunc_end90:
	.size	_ZN7rocprim17ROCPRIM_400000_NS6detail17trampoline_kernelINS0_14default_configENS1_25partition_config_selectorILNS1_17partition_subalgoE3EiNS0_10empty_typeEbEEZZNS1_14partition_implILS5_3ELb0ES3_jN6thrust23THRUST_200600_302600_NS6detail15normal_iteratorINSA_7pointerIiNSA_11hip_rocprim3tagENSA_11use_defaultESG_EEEEPS6_SJ_NS0_5tupleIJPiSJ_EEENSK_IJSJ_SJ_EEES6_PlJ7is_evenIiEEEE10hipError_tPvRmT3_T4_T5_T6_T7_T9_mT8_P12ihipStream_tbDpT10_ENKUlT_T0_E_clISt17integral_constantIbLb0EES1A_EEDaS15_S16_EUlS15_E_NS1_11comp_targetILNS1_3genE4ELNS1_11target_archE910ELNS1_3gpuE8ELNS1_3repE0EEENS1_30default_config_static_selectorELNS0_4arch9wavefront6targetE1EEEvT1_, .Lfunc_end90-_ZN7rocprim17ROCPRIM_400000_NS6detail17trampoline_kernelINS0_14default_configENS1_25partition_config_selectorILNS1_17partition_subalgoE3EiNS0_10empty_typeEbEEZZNS1_14partition_implILS5_3ELb0ES3_jN6thrust23THRUST_200600_302600_NS6detail15normal_iteratorINSA_7pointerIiNSA_11hip_rocprim3tagENSA_11use_defaultESG_EEEEPS6_SJ_NS0_5tupleIJPiSJ_EEENSK_IJSJ_SJ_EEES6_PlJ7is_evenIiEEEE10hipError_tPvRmT3_T4_T5_T6_T7_T9_mT8_P12ihipStream_tbDpT10_ENKUlT_T0_E_clISt17integral_constantIbLb0EES1A_EEDaS15_S16_EUlS15_E_NS1_11comp_targetILNS1_3genE4ELNS1_11target_archE910ELNS1_3gpuE8ELNS1_3repE0EEENS1_30default_config_static_selectorELNS0_4arch9wavefront6targetE1EEEvT1_
                                        ; -- End function
	.section	.AMDGPU.csdata,"",@progbits
; Kernel info:
; codeLenInByte = 0
; NumSgprs: 6
; NumVgprs: 0
; NumAgprs: 0
; TotalNumVgprs: 0
; ScratchSize: 0
; MemoryBound: 0
; FloatMode: 240
; IeeeMode: 1
; LDSByteSize: 0 bytes/workgroup (compile time only)
; SGPRBlocks: 0
; VGPRBlocks: 0
; NumSGPRsForWavesPerEU: 6
; NumVGPRsForWavesPerEU: 1
; AccumOffset: 4
; Occupancy: 8
; WaveLimiterHint : 0
; COMPUTE_PGM_RSRC2:SCRATCH_EN: 0
; COMPUTE_PGM_RSRC2:USER_SGPR: 2
; COMPUTE_PGM_RSRC2:TRAP_HANDLER: 0
; COMPUTE_PGM_RSRC2:TGID_X_EN: 1
; COMPUTE_PGM_RSRC2:TGID_Y_EN: 0
; COMPUTE_PGM_RSRC2:TGID_Z_EN: 0
; COMPUTE_PGM_RSRC2:TIDIG_COMP_CNT: 0
; COMPUTE_PGM_RSRC3_GFX90A:ACCUM_OFFSET: 0
; COMPUTE_PGM_RSRC3_GFX90A:TG_SPLIT: 0
	.section	.text._ZN7rocprim17ROCPRIM_400000_NS6detail17trampoline_kernelINS0_14default_configENS1_25partition_config_selectorILNS1_17partition_subalgoE3EiNS0_10empty_typeEbEEZZNS1_14partition_implILS5_3ELb0ES3_jN6thrust23THRUST_200600_302600_NS6detail15normal_iteratorINSA_7pointerIiNSA_11hip_rocprim3tagENSA_11use_defaultESG_EEEEPS6_SJ_NS0_5tupleIJPiSJ_EEENSK_IJSJ_SJ_EEES6_PlJ7is_evenIiEEEE10hipError_tPvRmT3_T4_T5_T6_T7_T9_mT8_P12ihipStream_tbDpT10_ENKUlT_T0_E_clISt17integral_constantIbLb0EES1A_EEDaS15_S16_EUlS15_E_NS1_11comp_targetILNS1_3genE3ELNS1_11target_archE908ELNS1_3gpuE7ELNS1_3repE0EEENS1_30default_config_static_selectorELNS0_4arch9wavefront6targetE1EEEvT1_,"axG",@progbits,_ZN7rocprim17ROCPRIM_400000_NS6detail17trampoline_kernelINS0_14default_configENS1_25partition_config_selectorILNS1_17partition_subalgoE3EiNS0_10empty_typeEbEEZZNS1_14partition_implILS5_3ELb0ES3_jN6thrust23THRUST_200600_302600_NS6detail15normal_iteratorINSA_7pointerIiNSA_11hip_rocprim3tagENSA_11use_defaultESG_EEEEPS6_SJ_NS0_5tupleIJPiSJ_EEENSK_IJSJ_SJ_EEES6_PlJ7is_evenIiEEEE10hipError_tPvRmT3_T4_T5_T6_T7_T9_mT8_P12ihipStream_tbDpT10_ENKUlT_T0_E_clISt17integral_constantIbLb0EES1A_EEDaS15_S16_EUlS15_E_NS1_11comp_targetILNS1_3genE3ELNS1_11target_archE908ELNS1_3gpuE7ELNS1_3repE0EEENS1_30default_config_static_selectorELNS0_4arch9wavefront6targetE1EEEvT1_,comdat
	.protected	_ZN7rocprim17ROCPRIM_400000_NS6detail17trampoline_kernelINS0_14default_configENS1_25partition_config_selectorILNS1_17partition_subalgoE3EiNS0_10empty_typeEbEEZZNS1_14partition_implILS5_3ELb0ES3_jN6thrust23THRUST_200600_302600_NS6detail15normal_iteratorINSA_7pointerIiNSA_11hip_rocprim3tagENSA_11use_defaultESG_EEEEPS6_SJ_NS0_5tupleIJPiSJ_EEENSK_IJSJ_SJ_EEES6_PlJ7is_evenIiEEEE10hipError_tPvRmT3_T4_T5_T6_T7_T9_mT8_P12ihipStream_tbDpT10_ENKUlT_T0_E_clISt17integral_constantIbLb0EES1A_EEDaS15_S16_EUlS15_E_NS1_11comp_targetILNS1_3genE3ELNS1_11target_archE908ELNS1_3gpuE7ELNS1_3repE0EEENS1_30default_config_static_selectorELNS0_4arch9wavefront6targetE1EEEvT1_ ; -- Begin function _ZN7rocprim17ROCPRIM_400000_NS6detail17trampoline_kernelINS0_14default_configENS1_25partition_config_selectorILNS1_17partition_subalgoE3EiNS0_10empty_typeEbEEZZNS1_14partition_implILS5_3ELb0ES3_jN6thrust23THRUST_200600_302600_NS6detail15normal_iteratorINSA_7pointerIiNSA_11hip_rocprim3tagENSA_11use_defaultESG_EEEEPS6_SJ_NS0_5tupleIJPiSJ_EEENSK_IJSJ_SJ_EEES6_PlJ7is_evenIiEEEE10hipError_tPvRmT3_T4_T5_T6_T7_T9_mT8_P12ihipStream_tbDpT10_ENKUlT_T0_E_clISt17integral_constantIbLb0EES1A_EEDaS15_S16_EUlS15_E_NS1_11comp_targetILNS1_3genE3ELNS1_11target_archE908ELNS1_3gpuE7ELNS1_3repE0EEENS1_30default_config_static_selectorELNS0_4arch9wavefront6targetE1EEEvT1_
	.globl	_ZN7rocprim17ROCPRIM_400000_NS6detail17trampoline_kernelINS0_14default_configENS1_25partition_config_selectorILNS1_17partition_subalgoE3EiNS0_10empty_typeEbEEZZNS1_14partition_implILS5_3ELb0ES3_jN6thrust23THRUST_200600_302600_NS6detail15normal_iteratorINSA_7pointerIiNSA_11hip_rocprim3tagENSA_11use_defaultESG_EEEEPS6_SJ_NS0_5tupleIJPiSJ_EEENSK_IJSJ_SJ_EEES6_PlJ7is_evenIiEEEE10hipError_tPvRmT3_T4_T5_T6_T7_T9_mT8_P12ihipStream_tbDpT10_ENKUlT_T0_E_clISt17integral_constantIbLb0EES1A_EEDaS15_S16_EUlS15_E_NS1_11comp_targetILNS1_3genE3ELNS1_11target_archE908ELNS1_3gpuE7ELNS1_3repE0EEENS1_30default_config_static_selectorELNS0_4arch9wavefront6targetE1EEEvT1_
	.p2align	8
	.type	_ZN7rocprim17ROCPRIM_400000_NS6detail17trampoline_kernelINS0_14default_configENS1_25partition_config_selectorILNS1_17partition_subalgoE3EiNS0_10empty_typeEbEEZZNS1_14partition_implILS5_3ELb0ES3_jN6thrust23THRUST_200600_302600_NS6detail15normal_iteratorINSA_7pointerIiNSA_11hip_rocprim3tagENSA_11use_defaultESG_EEEEPS6_SJ_NS0_5tupleIJPiSJ_EEENSK_IJSJ_SJ_EEES6_PlJ7is_evenIiEEEE10hipError_tPvRmT3_T4_T5_T6_T7_T9_mT8_P12ihipStream_tbDpT10_ENKUlT_T0_E_clISt17integral_constantIbLb0EES1A_EEDaS15_S16_EUlS15_E_NS1_11comp_targetILNS1_3genE3ELNS1_11target_archE908ELNS1_3gpuE7ELNS1_3repE0EEENS1_30default_config_static_selectorELNS0_4arch9wavefront6targetE1EEEvT1_,@function
_ZN7rocprim17ROCPRIM_400000_NS6detail17trampoline_kernelINS0_14default_configENS1_25partition_config_selectorILNS1_17partition_subalgoE3EiNS0_10empty_typeEbEEZZNS1_14partition_implILS5_3ELb0ES3_jN6thrust23THRUST_200600_302600_NS6detail15normal_iteratorINSA_7pointerIiNSA_11hip_rocprim3tagENSA_11use_defaultESG_EEEEPS6_SJ_NS0_5tupleIJPiSJ_EEENSK_IJSJ_SJ_EEES6_PlJ7is_evenIiEEEE10hipError_tPvRmT3_T4_T5_T6_T7_T9_mT8_P12ihipStream_tbDpT10_ENKUlT_T0_E_clISt17integral_constantIbLb0EES1A_EEDaS15_S16_EUlS15_E_NS1_11comp_targetILNS1_3genE3ELNS1_11target_archE908ELNS1_3gpuE7ELNS1_3repE0EEENS1_30default_config_static_selectorELNS0_4arch9wavefront6targetE1EEEvT1_: ; @_ZN7rocprim17ROCPRIM_400000_NS6detail17trampoline_kernelINS0_14default_configENS1_25partition_config_selectorILNS1_17partition_subalgoE3EiNS0_10empty_typeEbEEZZNS1_14partition_implILS5_3ELb0ES3_jN6thrust23THRUST_200600_302600_NS6detail15normal_iteratorINSA_7pointerIiNSA_11hip_rocprim3tagENSA_11use_defaultESG_EEEEPS6_SJ_NS0_5tupleIJPiSJ_EEENSK_IJSJ_SJ_EEES6_PlJ7is_evenIiEEEE10hipError_tPvRmT3_T4_T5_T6_T7_T9_mT8_P12ihipStream_tbDpT10_ENKUlT_T0_E_clISt17integral_constantIbLb0EES1A_EEDaS15_S16_EUlS15_E_NS1_11comp_targetILNS1_3genE3ELNS1_11target_archE908ELNS1_3gpuE7ELNS1_3repE0EEENS1_30default_config_static_selectorELNS0_4arch9wavefront6targetE1EEEvT1_
; %bb.0:
	.section	.rodata,"a",@progbits
	.p2align	6, 0x0
	.amdhsa_kernel _ZN7rocprim17ROCPRIM_400000_NS6detail17trampoline_kernelINS0_14default_configENS1_25partition_config_selectorILNS1_17partition_subalgoE3EiNS0_10empty_typeEbEEZZNS1_14partition_implILS5_3ELb0ES3_jN6thrust23THRUST_200600_302600_NS6detail15normal_iteratorINSA_7pointerIiNSA_11hip_rocprim3tagENSA_11use_defaultESG_EEEEPS6_SJ_NS0_5tupleIJPiSJ_EEENSK_IJSJ_SJ_EEES6_PlJ7is_evenIiEEEE10hipError_tPvRmT3_T4_T5_T6_T7_T9_mT8_P12ihipStream_tbDpT10_ENKUlT_T0_E_clISt17integral_constantIbLb0EES1A_EEDaS15_S16_EUlS15_E_NS1_11comp_targetILNS1_3genE3ELNS1_11target_archE908ELNS1_3gpuE7ELNS1_3repE0EEENS1_30default_config_static_selectorELNS0_4arch9wavefront6targetE1EEEvT1_
		.amdhsa_group_segment_fixed_size 0
		.amdhsa_private_segment_fixed_size 0
		.amdhsa_kernarg_size 120
		.amdhsa_user_sgpr_count 2
		.amdhsa_user_sgpr_dispatch_ptr 0
		.amdhsa_user_sgpr_queue_ptr 0
		.amdhsa_user_sgpr_kernarg_segment_ptr 1
		.amdhsa_user_sgpr_dispatch_id 0
		.amdhsa_user_sgpr_kernarg_preload_length 0
		.amdhsa_user_sgpr_kernarg_preload_offset 0
		.amdhsa_user_sgpr_private_segment_size 0
		.amdhsa_uses_dynamic_stack 0
		.amdhsa_enable_private_segment 0
		.amdhsa_system_sgpr_workgroup_id_x 1
		.amdhsa_system_sgpr_workgroup_id_y 0
		.amdhsa_system_sgpr_workgroup_id_z 0
		.amdhsa_system_sgpr_workgroup_info 0
		.amdhsa_system_vgpr_workitem_id 0
		.amdhsa_next_free_vgpr 1
		.amdhsa_next_free_sgpr 0
		.amdhsa_accum_offset 4
		.amdhsa_reserve_vcc 0
		.amdhsa_float_round_mode_32 0
		.amdhsa_float_round_mode_16_64 0
		.amdhsa_float_denorm_mode_32 3
		.amdhsa_float_denorm_mode_16_64 3
		.amdhsa_dx10_clamp 1
		.amdhsa_ieee_mode 1
		.amdhsa_fp16_overflow 0
		.amdhsa_tg_split 0
		.amdhsa_exception_fp_ieee_invalid_op 0
		.amdhsa_exception_fp_denorm_src 0
		.amdhsa_exception_fp_ieee_div_zero 0
		.amdhsa_exception_fp_ieee_overflow 0
		.amdhsa_exception_fp_ieee_underflow 0
		.amdhsa_exception_fp_ieee_inexact 0
		.amdhsa_exception_int_div_zero 0
	.end_amdhsa_kernel
	.section	.text._ZN7rocprim17ROCPRIM_400000_NS6detail17trampoline_kernelINS0_14default_configENS1_25partition_config_selectorILNS1_17partition_subalgoE3EiNS0_10empty_typeEbEEZZNS1_14partition_implILS5_3ELb0ES3_jN6thrust23THRUST_200600_302600_NS6detail15normal_iteratorINSA_7pointerIiNSA_11hip_rocprim3tagENSA_11use_defaultESG_EEEEPS6_SJ_NS0_5tupleIJPiSJ_EEENSK_IJSJ_SJ_EEES6_PlJ7is_evenIiEEEE10hipError_tPvRmT3_T4_T5_T6_T7_T9_mT8_P12ihipStream_tbDpT10_ENKUlT_T0_E_clISt17integral_constantIbLb0EES1A_EEDaS15_S16_EUlS15_E_NS1_11comp_targetILNS1_3genE3ELNS1_11target_archE908ELNS1_3gpuE7ELNS1_3repE0EEENS1_30default_config_static_selectorELNS0_4arch9wavefront6targetE1EEEvT1_,"axG",@progbits,_ZN7rocprim17ROCPRIM_400000_NS6detail17trampoline_kernelINS0_14default_configENS1_25partition_config_selectorILNS1_17partition_subalgoE3EiNS0_10empty_typeEbEEZZNS1_14partition_implILS5_3ELb0ES3_jN6thrust23THRUST_200600_302600_NS6detail15normal_iteratorINSA_7pointerIiNSA_11hip_rocprim3tagENSA_11use_defaultESG_EEEEPS6_SJ_NS0_5tupleIJPiSJ_EEENSK_IJSJ_SJ_EEES6_PlJ7is_evenIiEEEE10hipError_tPvRmT3_T4_T5_T6_T7_T9_mT8_P12ihipStream_tbDpT10_ENKUlT_T0_E_clISt17integral_constantIbLb0EES1A_EEDaS15_S16_EUlS15_E_NS1_11comp_targetILNS1_3genE3ELNS1_11target_archE908ELNS1_3gpuE7ELNS1_3repE0EEENS1_30default_config_static_selectorELNS0_4arch9wavefront6targetE1EEEvT1_,comdat
.Lfunc_end91:
	.size	_ZN7rocprim17ROCPRIM_400000_NS6detail17trampoline_kernelINS0_14default_configENS1_25partition_config_selectorILNS1_17partition_subalgoE3EiNS0_10empty_typeEbEEZZNS1_14partition_implILS5_3ELb0ES3_jN6thrust23THRUST_200600_302600_NS6detail15normal_iteratorINSA_7pointerIiNSA_11hip_rocprim3tagENSA_11use_defaultESG_EEEEPS6_SJ_NS0_5tupleIJPiSJ_EEENSK_IJSJ_SJ_EEES6_PlJ7is_evenIiEEEE10hipError_tPvRmT3_T4_T5_T6_T7_T9_mT8_P12ihipStream_tbDpT10_ENKUlT_T0_E_clISt17integral_constantIbLb0EES1A_EEDaS15_S16_EUlS15_E_NS1_11comp_targetILNS1_3genE3ELNS1_11target_archE908ELNS1_3gpuE7ELNS1_3repE0EEENS1_30default_config_static_selectorELNS0_4arch9wavefront6targetE1EEEvT1_, .Lfunc_end91-_ZN7rocprim17ROCPRIM_400000_NS6detail17trampoline_kernelINS0_14default_configENS1_25partition_config_selectorILNS1_17partition_subalgoE3EiNS0_10empty_typeEbEEZZNS1_14partition_implILS5_3ELb0ES3_jN6thrust23THRUST_200600_302600_NS6detail15normal_iteratorINSA_7pointerIiNSA_11hip_rocprim3tagENSA_11use_defaultESG_EEEEPS6_SJ_NS0_5tupleIJPiSJ_EEENSK_IJSJ_SJ_EEES6_PlJ7is_evenIiEEEE10hipError_tPvRmT3_T4_T5_T6_T7_T9_mT8_P12ihipStream_tbDpT10_ENKUlT_T0_E_clISt17integral_constantIbLb0EES1A_EEDaS15_S16_EUlS15_E_NS1_11comp_targetILNS1_3genE3ELNS1_11target_archE908ELNS1_3gpuE7ELNS1_3repE0EEENS1_30default_config_static_selectorELNS0_4arch9wavefront6targetE1EEEvT1_
                                        ; -- End function
	.section	.AMDGPU.csdata,"",@progbits
; Kernel info:
; codeLenInByte = 0
; NumSgprs: 6
; NumVgprs: 0
; NumAgprs: 0
; TotalNumVgprs: 0
; ScratchSize: 0
; MemoryBound: 0
; FloatMode: 240
; IeeeMode: 1
; LDSByteSize: 0 bytes/workgroup (compile time only)
; SGPRBlocks: 0
; VGPRBlocks: 0
; NumSGPRsForWavesPerEU: 6
; NumVGPRsForWavesPerEU: 1
; AccumOffset: 4
; Occupancy: 8
; WaveLimiterHint : 0
; COMPUTE_PGM_RSRC2:SCRATCH_EN: 0
; COMPUTE_PGM_RSRC2:USER_SGPR: 2
; COMPUTE_PGM_RSRC2:TRAP_HANDLER: 0
; COMPUTE_PGM_RSRC2:TGID_X_EN: 1
; COMPUTE_PGM_RSRC2:TGID_Y_EN: 0
; COMPUTE_PGM_RSRC2:TGID_Z_EN: 0
; COMPUTE_PGM_RSRC2:TIDIG_COMP_CNT: 0
; COMPUTE_PGM_RSRC3_GFX90A:ACCUM_OFFSET: 0
; COMPUTE_PGM_RSRC3_GFX90A:TG_SPLIT: 0
	.section	.text._ZN7rocprim17ROCPRIM_400000_NS6detail17trampoline_kernelINS0_14default_configENS1_25partition_config_selectorILNS1_17partition_subalgoE3EiNS0_10empty_typeEbEEZZNS1_14partition_implILS5_3ELb0ES3_jN6thrust23THRUST_200600_302600_NS6detail15normal_iteratorINSA_7pointerIiNSA_11hip_rocprim3tagENSA_11use_defaultESG_EEEEPS6_SJ_NS0_5tupleIJPiSJ_EEENSK_IJSJ_SJ_EEES6_PlJ7is_evenIiEEEE10hipError_tPvRmT3_T4_T5_T6_T7_T9_mT8_P12ihipStream_tbDpT10_ENKUlT_T0_E_clISt17integral_constantIbLb0EES1A_EEDaS15_S16_EUlS15_E_NS1_11comp_targetILNS1_3genE2ELNS1_11target_archE906ELNS1_3gpuE6ELNS1_3repE0EEENS1_30default_config_static_selectorELNS0_4arch9wavefront6targetE1EEEvT1_,"axG",@progbits,_ZN7rocprim17ROCPRIM_400000_NS6detail17trampoline_kernelINS0_14default_configENS1_25partition_config_selectorILNS1_17partition_subalgoE3EiNS0_10empty_typeEbEEZZNS1_14partition_implILS5_3ELb0ES3_jN6thrust23THRUST_200600_302600_NS6detail15normal_iteratorINSA_7pointerIiNSA_11hip_rocprim3tagENSA_11use_defaultESG_EEEEPS6_SJ_NS0_5tupleIJPiSJ_EEENSK_IJSJ_SJ_EEES6_PlJ7is_evenIiEEEE10hipError_tPvRmT3_T4_T5_T6_T7_T9_mT8_P12ihipStream_tbDpT10_ENKUlT_T0_E_clISt17integral_constantIbLb0EES1A_EEDaS15_S16_EUlS15_E_NS1_11comp_targetILNS1_3genE2ELNS1_11target_archE906ELNS1_3gpuE6ELNS1_3repE0EEENS1_30default_config_static_selectorELNS0_4arch9wavefront6targetE1EEEvT1_,comdat
	.protected	_ZN7rocprim17ROCPRIM_400000_NS6detail17trampoline_kernelINS0_14default_configENS1_25partition_config_selectorILNS1_17partition_subalgoE3EiNS0_10empty_typeEbEEZZNS1_14partition_implILS5_3ELb0ES3_jN6thrust23THRUST_200600_302600_NS6detail15normal_iteratorINSA_7pointerIiNSA_11hip_rocprim3tagENSA_11use_defaultESG_EEEEPS6_SJ_NS0_5tupleIJPiSJ_EEENSK_IJSJ_SJ_EEES6_PlJ7is_evenIiEEEE10hipError_tPvRmT3_T4_T5_T6_T7_T9_mT8_P12ihipStream_tbDpT10_ENKUlT_T0_E_clISt17integral_constantIbLb0EES1A_EEDaS15_S16_EUlS15_E_NS1_11comp_targetILNS1_3genE2ELNS1_11target_archE906ELNS1_3gpuE6ELNS1_3repE0EEENS1_30default_config_static_selectorELNS0_4arch9wavefront6targetE1EEEvT1_ ; -- Begin function _ZN7rocprim17ROCPRIM_400000_NS6detail17trampoline_kernelINS0_14default_configENS1_25partition_config_selectorILNS1_17partition_subalgoE3EiNS0_10empty_typeEbEEZZNS1_14partition_implILS5_3ELb0ES3_jN6thrust23THRUST_200600_302600_NS6detail15normal_iteratorINSA_7pointerIiNSA_11hip_rocprim3tagENSA_11use_defaultESG_EEEEPS6_SJ_NS0_5tupleIJPiSJ_EEENSK_IJSJ_SJ_EEES6_PlJ7is_evenIiEEEE10hipError_tPvRmT3_T4_T5_T6_T7_T9_mT8_P12ihipStream_tbDpT10_ENKUlT_T0_E_clISt17integral_constantIbLb0EES1A_EEDaS15_S16_EUlS15_E_NS1_11comp_targetILNS1_3genE2ELNS1_11target_archE906ELNS1_3gpuE6ELNS1_3repE0EEENS1_30default_config_static_selectorELNS0_4arch9wavefront6targetE1EEEvT1_
	.globl	_ZN7rocprim17ROCPRIM_400000_NS6detail17trampoline_kernelINS0_14default_configENS1_25partition_config_selectorILNS1_17partition_subalgoE3EiNS0_10empty_typeEbEEZZNS1_14partition_implILS5_3ELb0ES3_jN6thrust23THRUST_200600_302600_NS6detail15normal_iteratorINSA_7pointerIiNSA_11hip_rocprim3tagENSA_11use_defaultESG_EEEEPS6_SJ_NS0_5tupleIJPiSJ_EEENSK_IJSJ_SJ_EEES6_PlJ7is_evenIiEEEE10hipError_tPvRmT3_T4_T5_T6_T7_T9_mT8_P12ihipStream_tbDpT10_ENKUlT_T0_E_clISt17integral_constantIbLb0EES1A_EEDaS15_S16_EUlS15_E_NS1_11comp_targetILNS1_3genE2ELNS1_11target_archE906ELNS1_3gpuE6ELNS1_3repE0EEENS1_30default_config_static_selectorELNS0_4arch9wavefront6targetE1EEEvT1_
	.p2align	8
	.type	_ZN7rocprim17ROCPRIM_400000_NS6detail17trampoline_kernelINS0_14default_configENS1_25partition_config_selectorILNS1_17partition_subalgoE3EiNS0_10empty_typeEbEEZZNS1_14partition_implILS5_3ELb0ES3_jN6thrust23THRUST_200600_302600_NS6detail15normal_iteratorINSA_7pointerIiNSA_11hip_rocprim3tagENSA_11use_defaultESG_EEEEPS6_SJ_NS0_5tupleIJPiSJ_EEENSK_IJSJ_SJ_EEES6_PlJ7is_evenIiEEEE10hipError_tPvRmT3_T4_T5_T6_T7_T9_mT8_P12ihipStream_tbDpT10_ENKUlT_T0_E_clISt17integral_constantIbLb0EES1A_EEDaS15_S16_EUlS15_E_NS1_11comp_targetILNS1_3genE2ELNS1_11target_archE906ELNS1_3gpuE6ELNS1_3repE0EEENS1_30default_config_static_selectorELNS0_4arch9wavefront6targetE1EEEvT1_,@function
_ZN7rocprim17ROCPRIM_400000_NS6detail17trampoline_kernelINS0_14default_configENS1_25partition_config_selectorILNS1_17partition_subalgoE3EiNS0_10empty_typeEbEEZZNS1_14partition_implILS5_3ELb0ES3_jN6thrust23THRUST_200600_302600_NS6detail15normal_iteratorINSA_7pointerIiNSA_11hip_rocprim3tagENSA_11use_defaultESG_EEEEPS6_SJ_NS0_5tupleIJPiSJ_EEENSK_IJSJ_SJ_EEES6_PlJ7is_evenIiEEEE10hipError_tPvRmT3_T4_T5_T6_T7_T9_mT8_P12ihipStream_tbDpT10_ENKUlT_T0_E_clISt17integral_constantIbLb0EES1A_EEDaS15_S16_EUlS15_E_NS1_11comp_targetILNS1_3genE2ELNS1_11target_archE906ELNS1_3gpuE6ELNS1_3repE0EEENS1_30default_config_static_selectorELNS0_4arch9wavefront6targetE1EEEvT1_: ; @_ZN7rocprim17ROCPRIM_400000_NS6detail17trampoline_kernelINS0_14default_configENS1_25partition_config_selectorILNS1_17partition_subalgoE3EiNS0_10empty_typeEbEEZZNS1_14partition_implILS5_3ELb0ES3_jN6thrust23THRUST_200600_302600_NS6detail15normal_iteratorINSA_7pointerIiNSA_11hip_rocprim3tagENSA_11use_defaultESG_EEEEPS6_SJ_NS0_5tupleIJPiSJ_EEENSK_IJSJ_SJ_EEES6_PlJ7is_evenIiEEEE10hipError_tPvRmT3_T4_T5_T6_T7_T9_mT8_P12ihipStream_tbDpT10_ENKUlT_T0_E_clISt17integral_constantIbLb0EES1A_EEDaS15_S16_EUlS15_E_NS1_11comp_targetILNS1_3genE2ELNS1_11target_archE906ELNS1_3gpuE6ELNS1_3repE0EEENS1_30default_config_static_selectorELNS0_4arch9wavefront6targetE1EEEvT1_
; %bb.0:
	.section	.rodata,"a",@progbits
	.p2align	6, 0x0
	.amdhsa_kernel _ZN7rocprim17ROCPRIM_400000_NS6detail17trampoline_kernelINS0_14default_configENS1_25partition_config_selectorILNS1_17partition_subalgoE3EiNS0_10empty_typeEbEEZZNS1_14partition_implILS5_3ELb0ES3_jN6thrust23THRUST_200600_302600_NS6detail15normal_iteratorINSA_7pointerIiNSA_11hip_rocprim3tagENSA_11use_defaultESG_EEEEPS6_SJ_NS0_5tupleIJPiSJ_EEENSK_IJSJ_SJ_EEES6_PlJ7is_evenIiEEEE10hipError_tPvRmT3_T4_T5_T6_T7_T9_mT8_P12ihipStream_tbDpT10_ENKUlT_T0_E_clISt17integral_constantIbLb0EES1A_EEDaS15_S16_EUlS15_E_NS1_11comp_targetILNS1_3genE2ELNS1_11target_archE906ELNS1_3gpuE6ELNS1_3repE0EEENS1_30default_config_static_selectorELNS0_4arch9wavefront6targetE1EEEvT1_
		.amdhsa_group_segment_fixed_size 0
		.amdhsa_private_segment_fixed_size 0
		.amdhsa_kernarg_size 120
		.amdhsa_user_sgpr_count 2
		.amdhsa_user_sgpr_dispatch_ptr 0
		.amdhsa_user_sgpr_queue_ptr 0
		.amdhsa_user_sgpr_kernarg_segment_ptr 1
		.amdhsa_user_sgpr_dispatch_id 0
		.amdhsa_user_sgpr_kernarg_preload_length 0
		.amdhsa_user_sgpr_kernarg_preload_offset 0
		.amdhsa_user_sgpr_private_segment_size 0
		.amdhsa_uses_dynamic_stack 0
		.amdhsa_enable_private_segment 0
		.amdhsa_system_sgpr_workgroup_id_x 1
		.amdhsa_system_sgpr_workgroup_id_y 0
		.amdhsa_system_sgpr_workgroup_id_z 0
		.amdhsa_system_sgpr_workgroup_info 0
		.amdhsa_system_vgpr_workitem_id 0
		.amdhsa_next_free_vgpr 1
		.amdhsa_next_free_sgpr 0
		.amdhsa_accum_offset 4
		.amdhsa_reserve_vcc 0
		.amdhsa_float_round_mode_32 0
		.amdhsa_float_round_mode_16_64 0
		.amdhsa_float_denorm_mode_32 3
		.amdhsa_float_denorm_mode_16_64 3
		.amdhsa_dx10_clamp 1
		.amdhsa_ieee_mode 1
		.amdhsa_fp16_overflow 0
		.amdhsa_tg_split 0
		.amdhsa_exception_fp_ieee_invalid_op 0
		.amdhsa_exception_fp_denorm_src 0
		.amdhsa_exception_fp_ieee_div_zero 0
		.amdhsa_exception_fp_ieee_overflow 0
		.amdhsa_exception_fp_ieee_underflow 0
		.amdhsa_exception_fp_ieee_inexact 0
		.amdhsa_exception_int_div_zero 0
	.end_amdhsa_kernel
	.section	.text._ZN7rocprim17ROCPRIM_400000_NS6detail17trampoline_kernelINS0_14default_configENS1_25partition_config_selectorILNS1_17partition_subalgoE3EiNS0_10empty_typeEbEEZZNS1_14partition_implILS5_3ELb0ES3_jN6thrust23THRUST_200600_302600_NS6detail15normal_iteratorINSA_7pointerIiNSA_11hip_rocprim3tagENSA_11use_defaultESG_EEEEPS6_SJ_NS0_5tupleIJPiSJ_EEENSK_IJSJ_SJ_EEES6_PlJ7is_evenIiEEEE10hipError_tPvRmT3_T4_T5_T6_T7_T9_mT8_P12ihipStream_tbDpT10_ENKUlT_T0_E_clISt17integral_constantIbLb0EES1A_EEDaS15_S16_EUlS15_E_NS1_11comp_targetILNS1_3genE2ELNS1_11target_archE906ELNS1_3gpuE6ELNS1_3repE0EEENS1_30default_config_static_selectorELNS0_4arch9wavefront6targetE1EEEvT1_,"axG",@progbits,_ZN7rocprim17ROCPRIM_400000_NS6detail17trampoline_kernelINS0_14default_configENS1_25partition_config_selectorILNS1_17partition_subalgoE3EiNS0_10empty_typeEbEEZZNS1_14partition_implILS5_3ELb0ES3_jN6thrust23THRUST_200600_302600_NS6detail15normal_iteratorINSA_7pointerIiNSA_11hip_rocprim3tagENSA_11use_defaultESG_EEEEPS6_SJ_NS0_5tupleIJPiSJ_EEENSK_IJSJ_SJ_EEES6_PlJ7is_evenIiEEEE10hipError_tPvRmT3_T4_T5_T6_T7_T9_mT8_P12ihipStream_tbDpT10_ENKUlT_T0_E_clISt17integral_constantIbLb0EES1A_EEDaS15_S16_EUlS15_E_NS1_11comp_targetILNS1_3genE2ELNS1_11target_archE906ELNS1_3gpuE6ELNS1_3repE0EEENS1_30default_config_static_selectorELNS0_4arch9wavefront6targetE1EEEvT1_,comdat
.Lfunc_end92:
	.size	_ZN7rocprim17ROCPRIM_400000_NS6detail17trampoline_kernelINS0_14default_configENS1_25partition_config_selectorILNS1_17partition_subalgoE3EiNS0_10empty_typeEbEEZZNS1_14partition_implILS5_3ELb0ES3_jN6thrust23THRUST_200600_302600_NS6detail15normal_iteratorINSA_7pointerIiNSA_11hip_rocprim3tagENSA_11use_defaultESG_EEEEPS6_SJ_NS0_5tupleIJPiSJ_EEENSK_IJSJ_SJ_EEES6_PlJ7is_evenIiEEEE10hipError_tPvRmT3_T4_T5_T6_T7_T9_mT8_P12ihipStream_tbDpT10_ENKUlT_T0_E_clISt17integral_constantIbLb0EES1A_EEDaS15_S16_EUlS15_E_NS1_11comp_targetILNS1_3genE2ELNS1_11target_archE906ELNS1_3gpuE6ELNS1_3repE0EEENS1_30default_config_static_selectorELNS0_4arch9wavefront6targetE1EEEvT1_, .Lfunc_end92-_ZN7rocprim17ROCPRIM_400000_NS6detail17trampoline_kernelINS0_14default_configENS1_25partition_config_selectorILNS1_17partition_subalgoE3EiNS0_10empty_typeEbEEZZNS1_14partition_implILS5_3ELb0ES3_jN6thrust23THRUST_200600_302600_NS6detail15normal_iteratorINSA_7pointerIiNSA_11hip_rocprim3tagENSA_11use_defaultESG_EEEEPS6_SJ_NS0_5tupleIJPiSJ_EEENSK_IJSJ_SJ_EEES6_PlJ7is_evenIiEEEE10hipError_tPvRmT3_T4_T5_T6_T7_T9_mT8_P12ihipStream_tbDpT10_ENKUlT_T0_E_clISt17integral_constantIbLb0EES1A_EEDaS15_S16_EUlS15_E_NS1_11comp_targetILNS1_3genE2ELNS1_11target_archE906ELNS1_3gpuE6ELNS1_3repE0EEENS1_30default_config_static_selectorELNS0_4arch9wavefront6targetE1EEEvT1_
                                        ; -- End function
	.section	.AMDGPU.csdata,"",@progbits
; Kernel info:
; codeLenInByte = 0
; NumSgprs: 6
; NumVgprs: 0
; NumAgprs: 0
; TotalNumVgprs: 0
; ScratchSize: 0
; MemoryBound: 0
; FloatMode: 240
; IeeeMode: 1
; LDSByteSize: 0 bytes/workgroup (compile time only)
; SGPRBlocks: 0
; VGPRBlocks: 0
; NumSGPRsForWavesPerEU: 6
; NumVGPRsForWavesPerEU: 1
; AccumOffset: 4
; Occupancy: 8
; WaveLimiterHint : 0
; COMPUTE_PGM_RSRC2:SCRATCH_EN: 0
; COMPUTE_PGM_RSRC2:USER_SGPR: 2
; COMPUTE_PGM_RSRC2:TRAP_HANDLER: 0
; COMPUTE_PGM_RSRC2:TGID_X_EN: 1
; COMPUTE_PGM_RSRC2:TGID_Y_EN: 0
; COMPUTE_PGM_RSRC2:TGID_Z_EN: 0
; COMPUTE_PGM_RSRC2:TIDIG_COMP_CNT: 0
; COMPUTE_PGM_RSRC3_GFX90A:ACCUM_OFFSET: 0
; COMPUTE_PGM_RSRC3_GFX90A:TG_SPLIT: 0
	.section	.text._ZN7rocprim17ROCPRIM_400000_NS6detail17trampoline_kernelINS0_14default_configENS1_25partition_config_selectorILNS1_17partition_subalgoE3EiNS0_10empty_typeEbEEZZNS1_14partition_implILS5_3ELb0ES3_jN6thrust23THRUST_200600_302600_NS6detail15normal_iteratorINSA_7pointerIiNSA_11hip_rocprim3tagENSA_11use_defaultESG_EEEEPS6_SJ_NS0_5tupleIJPiSJ_EEENSK_IJSJ_SJ_EEES6_PlJ7is_evenIiEEEE10hipError_tPvRmT3_T4_T5_T6_T7_T9_mT8_P12ihipStream_tbDpT10_ENKUlT_T0_E_clISt17integral_constantIbLb0EES1A_EEDaS15_S16_EUlS15_E_NS1_11comp_targetILNS1_3genE10ELNS1_11target_archE1200ELNS1_3gpuE4ELNS1_3repE0EEENS1_30default_config_static_selectorELNS0_4arch9wavefront6targetE1EEEvT1_,"axG",@progbits,_ZN7rocprim17ROCPRIM_400000_NS6detail17trampoline_kernelINS0_14default_configENS1_25partition_config_selectorILNS1_17partition_subalgoE3EiNS0_10empty_typeEbEEZZNS1_14partition_implILS5_3ELb0ES3_jN6thrust23THRUST_200600_302600_NS6detail15normal_iteratorINSA_7pointerIiNSA_11hip_rocprim3tagENSA_11use_defaultESG_EEEEPS6_SJ_NS0_5tupleIJPiSJ_EEENSK_IJSJ_SJ_EEES6_PlJ7is_evenIiEEEE10hipError_tPvRmT3_T4_T5_T6_T7_T9_mT8_P12ihipStream_tbDpT10_ENKUlT_T0_E_clISt17integral_constantIbLb0EES1A_EEDaS15_S16_EUlS15_E_NS1_11comp_targetILNS1_3genE10ELNS1_11target_archE1200ELNS1_3gpuE4ELNS1_3repE0EEENS1_30default_config_static_selectorELNS0_4arch9wavefront6targetE1EEEvT1_,comdat
	.protected	_ZN7rocprim17ROCPRIM_400000_NS6detail17trampoline_kernelINS0_14default_configENS1_25partition_config_selectorILNS1_17partition_subalgoE3EiNS0_10empty_typeEbEEZZNS1_14partition_implILS5_3ELb0ES3_jN6thrust23THRUST_200600_302600_NS6detail15normal_iteratorINSA_7pointerIiNSA_11hip_rocprim3tagENSA_11use_defaultESG_EEEEPS6_SJ_NS0_5tupleIJPiSJ_EEENSK_IJSJ_SJ_EEES6_PlJ7is_evenIiEEEE10hipError_tPvRmT3_T4_T5_T6_T7_T9_mT8_P12ihipStream_tbDpT10_ENKUlT_T0_E_clISt17integral_constantIbLb0EES1A_EEDaS15_S16_EUlS15_E_NS1_11comp_targetILNS1_3genE10ELNS1_11target_archE1200ELNS1_3gpuE4ELNS1_3repE0EEENS1_30default_config_static_selectorELNS0_4arch9wavefront6targetE1EEEvT1_ ; -- Begin function _ZN7rocprim17ROCPRIM_400000_NS6detail17trampoline_kernelINS0_14default_configENS1_25partition_config_selectorILNS1_17partition_subalgoE3EiNS0_10empty_typeEbEEZZNS1_14partition_implILS5_3ELb0ES3_jN6thrust23THRUST_200600_302600_NS6detail15normal_iteratorINSA_7pointerIiNSA_11hip_rocprim3tagENSA_11use_defaultESG_EEEEPS6_SJ_NS0_5tupleIJPiSJ_EEENSK_IJSJ_SJ_EEES6_PlJ7is_evenIiEEEE10hipError_tPvRmT3_T4_T5_T6_T7_T9_mT8_P12ihipStream_tbDpT10_ENKUlT_T0_E_clISt17integral_constantIbLb0EES1A_EEDaS15_S16_EUlS15_E_NS1_11comp_targetILNS1_3genE10ELNS1_11target_archE1200ELNS1_3gpuE4ELNS1_3repE0EEENS1_30default_config_static_selectorELNS0_4arch9wavefront6targetE1EEEvT1_
	.globl	_ZN7rocprim17ROCPRIM_400000_NS6detail17trampoline_kernelINS0_14default_configENS1_25partition_config_selectorILNS1_17partition_subalgoE3EiNS0_10empty_typeEbEEZZNS1_14partition_implILS5_3ELb0ES3_jN6thrust23THRUST_200600_302600_NS6detail15normal_iteratorINSA_7pointerIiNSA_11hip_rocprim3tagENSA_11use_defaultESG_EEEEPS6_SJ_NS0_5tupleIJPiSJ_EEENSK_IJSJ_SJ_EEES6_PlJ7is_evenIiEEEE10hipError_tPvRmT3_T4_T5_T6_T7_T9_mT8_P12ihipStream_tbDpT10_ENKUlT_T0_E_clISt17integral_constantIbLb0EES1A_EEDaS15_S16_EUlS15_E_NS1_11comp_targetILNS1_3genE10ELNS1_11target_archE1200ELNS1_3gpuE4ELNS1_3repE0EEENS1_30default_config_static_selectorELNS0_4arch9wavefront6targetE1EEEvT1_
	.p2align	8
	.type	_ZN7rocprim17ROCPRIM_400000_NS6detail17trampoline_kernelINS0_14default_configENS1_25partition_config_selectorILNS1_17partition_subalgoE3EiNS0_10empty_typeEbEEZZNS1_14partition_implILS5_3ELb0ES3_jN6thrust23THRUST_200600_302600_NS6detail15normal_iteratorINSA_7pointerIiNSA_11hip_rocprim3tagENSA_11use_defaultESG_EEEEPS6_SJ_NS0_5tupleIJPiSJ_EEENSK_IJSJ_SJ_EEES6_PlJ7is_evenIiEEEE10hipError_tPvRmT3_T4_T5_T6_T7_T9_mT8_P12ihipStream_tbDpT10_ENKUlT_T0_E_clISt17integral_constantIbLb0EES1A_EEDaS15_S16_EUlS15_E_NS1_11comp_targetILNS1_3genE10ELNS1_11target_archE1200ELNS1_3gpuE4ELNS1_3repE0EEENS1_30default_config_static_selectorELNS0_4arch9wavefront6targetE1EEEvT1_,@function
_ZN7rocprim17ROCPRIM_400000_NS6detail17trampoline_kernelINS0_14default_configENS1_25partition_config_selectorILNS1_17partition_subalgoE3EiNS0_10empty_typeEbEEZZNS1_14partition_implILS5_3ELb0ES3_jN6thrust23THRUST_200600_302600_NS6detail15normal_iteratorINSA_7pointerIiNSA_11hip_rocprim3tagENSA_11use_defaultESG_EEEEPS6_SJ_NS0_5tupleIJPiSJ_EEENSK_IJSJ_SJ_EEES6_PlJ7is_evenIiEEEE10hipError_tPvRmT3_T4_T5_T6_T7_T9_mT8_P12ihipStream_tbDpT10_ENKUlT_T0_E_clISt17integral_constantIbLb0EES1A_EEDaS15_S16_EUlS15_E_NS1_11comp_targetILNS1_3genE10ELNS1_11target_archE1200ELNS1_3gpuE4ELNS1_3repE0EEENS1_30default_config_static_selectorELNS0_4arch9wavefront6targetE1EEEvT1_: ; @_ZN7rocprim17ROCPRIM_400000_NS6detail17trampoline_kernelINS0_14default_configENS1_25partition_config_selectorILNS1_17partition_subalgoE3EiNS0_10empty_typeEbEEZZNS1_14partition_implILS5_3ELb0ES3_jN6thrust23THRUST_200600_302600_NS6detail15normal_iteratorINSA_7pointerIiNSA_11hip_rocprim3tagENSA_11use_defaultESG_EEEEPS6_SJ_NS0_5tupleIJPiSJ_EEENSK_IJSJ_SJ_EEES6_PlJ7is_evenIiEEEE10hipError_tPvRmT3_T4_T5_T6_T7_T9_mT8_P12ihipStream_tbDpT10_ENKUlT_T0_E_clISt17integral_constantIbLb0EES1A_EEDaS15_S16_EUlS15_E_NS1_11comp_targetILNS1_3genE10ELNS1_11target_archE1200ELNS1_3gpuE4ELNS1_3repE0EEENS1_30default_config_static_selectorELNS0_4arch9wavefront6targetE1EEEvT1_
; %bb.0:
	.section	.rodata,"a",@progbits
	.p2align	6, 0x0
	.amdhsa_kernel _ZN7rocprim17ROCPRIM_400000_NS6detail17trampoline_kernelINS0_14default_configENS1_25partition_config_selectorILNS1_17partition_subalgoE3EiNS0_10empty_typeEbEEZZNS1_14partition_implILS5_3ELb0ES3_jN6thrust23THRUST_200600_302600_NS6detail15normal_iteratorINSA_7pointerIiNSA_11hip_rocprim3tagENSA_11use_defaultESG_EEEEPS6_SJ_NS0_5tupleIJPiSJ_EEENSK_IJSJ_SJ_EEES6_PlJ7is_evenIiEEEE10hipError_tPvRmT3_T4_T5_T6_T7_T9_mT8_P12ihipStream_tbDpT10_ENKUlT_T0_E_clISt17integral_constantIbLb0EES1A_EEDaS15_S16_EUlS15_E_NS1_11comp_targetILNS1_3genE10ELNS1_11target_archE1200ELNS1_3gpuE4ELNS1_3repE0EEENS1_30default_config_static_selectorELNS0_4arch9wavefront6targetE1EEEvT1_
		.amdhsa_group_segment_fixed_size 0
		.amdhsa_private_segment_fixed_size 0
		.amdhsa_kernarg_size 120
		.amdhsa_user_sgpr_count 2
		.amdhsa_user_sgpr_dispatch_ptr 0
		.amdhsa_user_sgpr_queue_ptr 0
		.amdhsa_user_sgpr_kernarg_segment_ptr 1
		.amdhsa_user_sgpr_dispatch_id 0
		.amdhsa_user_sgpr_kernarg_preload_length 0
		.amdhsa_user_sgpr_kernarg_preload_offset 0
		.amdhsa_user_sgpr_private_segment_size 0
		.amdhsa_uses_dynamic_stack 0
		.amdhsa_enable_private_segment 0
		.amdhsa_system_sgpr_workgroup_id_x 1
		.amdhsa_system_sgpr_workgroup_id_y 0
		.amdhsa_system_sgpr_workgroup_id_z 0
		.amdhsa_system_sgpr_workgroup_info 0
		.amdhsa_system_vgpr_workitem_id 0
		.amdhsa_next_free_vgpr 1
		.amdhsa_next_free_sgpr 0
		.amdhsa_accum_offset 4
		.amdhsa_reserve_vcc 0
		.amdhsa_float_round_mode_32 0
		.amdhsa_float_round_mode_16_64 0
		.amdhsa_float_denorm_mode_32 3
		.amdhsa_float_denorm_mode_16_64 3
		.amdhsa_dx10_clamp 1
		.amdhsa_ieee_mode 1
		.amdhsa_fp16_overflow 0
		.amdhsa_tg_split 0
		.amdhsa_exception_fp_ieee_invalid_op 0
		.amdhsa_exception_fp_denorm_src 0
		.amdhsa_exception_fp_ieee_div_zero 0
		.amdhsa_exception_fp_ieee_overflow 0
		.amdhsa_exception_fp_ieee_underflow 0
		.amdhsa_exception_fp_ieee_inexact 0
		.amdhsa_exception_int_div_zero 0
	.end_amdhsa_kernel
	.section	.text._ZN7rocprim17ROCPRIM_400000_NS6detail17trampoline_kernelINS0_14default_configENS1_25partition_config_selectorILNS1_17partition_subalgoE3EiNS0_10empty_typeEbEEZZNS1_14partition_implILS5_3ELb0ES3_jN6thrust23THRUST_200600_302600_NS6detail15normal_iteratorINSA_7pointerIiNSA_11hip_rocprim3tagENSA_11use_defaultESG_EEEEPS6_SJ_NS0_5tupleIJPiSJ_EEENSK_IJSJ_SJ_EEES6_PlJ7is_evenIiEEEE10hipError_tPvRmT3_T4_T5_T6_T7_T9_mT8_P12ihipStream_tbDpT10_ENKUlT_T0_E_clISt17integral_constantIbLb0EES1A_EEDaS15_S16_EUlS15_E_NS1_11comp_targetILNS1_3genE10ELNS1_11target_archE1200ELNS1_3gpuE4ELNS1_3repE0EEENS1_30default_config_static_selectorELNS0_4arch9wavefront6targetE1EEEvT1_,"axG",@progbits,_ZN7rocprim17ROCPRIM_400000_NS6detail17trampoline_kernelINS0_14default_configENS1_25partition_config_selectorILNS1_17partition_subalgoE3EiNS0_10empty_typeEbEEZZNS1_14partition_implILS5_3ELb0ES3_jN6thrust23THRUST_200600_302600_NS6detail15normal_iteratorINSA_7pointerIiNSA_11hip_rocprim3tagENSA_11use_defaultESG_EEEEPS6_SJ_NS0_5tupleIJPiSJ_EEENSK_IJSJ_SJ_EEES6_PlJ7is_evenIiEEEE10hipError_tPvRmT3_T4_T5_T6_T7_T9_mT8_P12ihipStream_tbDpT10_ENKUlT_T0_E_clISt17integral_constantIbLb0EES1A_EEDaS15_S16_EUlS15_E_NS1_11comp_targetILNS1_3genE10ELNS1_11target_archE1200ELNS1_3gpuE4ELNS1_3repE0EEENS1_30default_config_static_selectorELNS0_4arch9wavefront6targetE1EEEvT1_,comdat
.Lfunc_end93:
	.size	_ZN7rocprim17ROCPRIM_400000_NS6detail17trampoline_kernelINS0_14default_configENS1_25partition_config_selectorILNS1_17partition_subalgoE3EiNS0_10empty_typeEbEEZZNS1_14partition_implILS5_3ELb0ES3_jN6thrust23THRUST_200600_302600_NS6detail15normal_iteratorINSA_7pointerIiNSA_11hip_rocprim3tagENSA_11use_defaultESG_EEEEPS6_SJ_NS0_5tupleIJPiSJ_EEENSK_IJSJ_SJ_EEES6_PlJ7is_evenIiEEEE10hipError_tPvRmT3_T4_T5_T6_T7_T9_mT8_P12ihipStream_tbDpT10_ENKUlT_T0_E_clISt17integral_constantIbLb0EES1A_EEDaS15_S16_EUlS15_E_NS1_11comp_targetILNS1_3genE10ELNS1_11target_archE1200ELNS1_3gpuE4ELNS1_3repE0EEENS1_30default_config_static_selectorELNS0_4arch9wavefront6targetE1EEEvT1_, .Lfunc_end93-_ZN7rocprim17ROCPRIM_400000_NS6detail17trampoline_kernelINS0_14default_configENS1_25partition_config_selectorILNS1_17partition_subalgoE3EiNS0_10empty_typeEbEEZZNS1_14partition_implILS5_3ELb0ES3_jN6thrust23THRUST_200600_302600_NS6detail15normal_iteratorINSA_7pointerIiNSA_11hip_rocprim3tagENSA_11use_defaultESG_EEEEPS6_SJ_NS0_5tupleIJPiSJ_EEENSK_IJSJ_SJ_EEES6_PlJ7is_evenIiEEEE10hipError_tPvRmT3_T4_T5_T6_T7_T9_mT8_P12ihipStream_tbDpT10_ENKUlT_T0_E_clISt17integral_constantIbLb0EES1A_EEDaS15_S16_EUlS15_E_NS1_11comp_targetILNS1_3genE10ELNS1_11target_archE1200ELNS1_3gpuE4ELNS1_3repE0EEENS1_30default_config_static_selectorELNS0_4arch9wavefront6targetE1EEEvT1_
                                        ; -- End function
	.section	.AMDGPU.csdata,"",@progbits
; Kernel info:
; codeLenInByte = 0
; NumSgprs: 6
; NumVgprs: 0
; NumAgprs: 0
; TotalNumVgprs: 0
; ScratchSize: 0
; MemoryBound: 0
; FloatMode: 240
; IeeeMode: 1
; LDSByteSize: 0 bytes/workgroup (compile time only)
; SGPRBlocks: 0
; VGPRBlocks: 0
; NumSGPRsForWavesPerEU: 6
; NumVGPRsForWavesPerEU: 1
; AccumOffset: 4
; Occupancy: 8
; WaveLimiterHint : 0
; COMPUTE_PGM_RSRC2:SCRATCH_EN: 0
; COMPUTE_PGM_RSRC2:USER_SGPR: 2
; COMPUTE_PGM_RSRC2:TRAP_HANDLER: 0
; COMPUTE_PGM_RSRC2:TGID_X_EN: 1
; COMPUTE_PGM_RSRC2:TGID_Y_EN: 0
; COMPUTE_PGM_RSRC2:TGID_Z_EN: 0
; COMPUTE_PGM_RSRC2:TIDIG_COMP_CNT: 0
; COMPUTE_PGM_RSRC3_GFX90A:ACCUM_OFFSET: 0
; COMPUTE_PGM_RSRC3_GFX90A:TG_SPLIT: 0
	.section	.text._ZN7rocprim17ROCPRIM_400000_NS6detail17trampoline_kernelINS0_14default_configENS1_25partition_config_selectorILNS1_17partition_subalgoE3EiNS0_10empty_typeEbEEZZNS1_14partition_implILS5_3ELb0ES3_jN6thrust23THRUST_200600_302600_NS6detail15normal_iteratorINSA_7pointerIiNSA_11hip_rocprim3tagENSA_11use_defaultESG_EEEEPS6_SJ_NS0_5tupleIJPiSJ_EEENSK_IJSJ_SJ_EEES6_PlJ7is_evenIiEEEE10hipError_tPvRmT3_T4_T5_T6_T7_T9_mT8_P12ihipStream_tbDpT10_ENKUlT_T0_E_clISt17integral_constantIbLb0EES1A_EEDaS15_S16_EUlS15_E_NS1_11comp_targetILNS1_3genE9ELNS1_11target_archE1100ELNS1_3gpuE3ELNS1_3repE0EEENS1_30default_config_static_selectorELNS0_4arch9wavefront6targetE1EEEvT1_,"axG",@progbits,_ZN7rocprim17ROCPRIM_400000_NS6detail17trampoline_kernelINS0_14default_configENS1_25partition_config_selectorILNS1_17partition_subalgoE3EiNS0_10empty_typeEbEEZZNS1_14partition_implILS5_3ELb0ES3_jN6thrust23THRUST_200600_302600_NS6detail15normal_iteratorINSA_7pointerIiNSA_11hip_rocprim3tagENSA_11use_defaultESG_EEEEPS6_SJ_NS0_5tupleIJPiSJ_EEENSK_IJSJ_SJ_EEES6_PlJ7is_evenIiEEEE10hipError_tPvRmT3_T4_T5_T6_T7_T9_mT8_P12ihipStream_tbDpT10_ENKUlT_T0_E_clISt17integral_constantIbLb0EES1A_EEDaS15_S16_EUlS15_E_NS1_11comp_targetILNS1_3genE9ELNS1_11target_archE1100ELNS1_3gpuE3ELNS1_3repE0EEENS1_30default_config_static_selectorELNS0_4arch9wavefront6targetE1EEEvT1_,comdat
	.protected	_ZN7rocprim17ROCPRIM_400000_NS6detail17trampoline_kernelINS0_14default_configENS1_25partition_config_selectorILNS1_17partition_subalgoE3EiNS0_10empty_typeEbEEZZNS1_14partition_implILS5_3ELb0ES3_jN6thrust23THRUST_200600_302600_NS6detail15normal_iteratorINSA_7pointerIiNSA_11hip_rocprim3tagENSA_11use_defaultESG_EEEEPS6_SJ_NS0_5tupleIJPiSJ_EEENSK_IJSJ_SJ_EEES6_PlJ7is_evenIiEEEE10hipError_tPvRmT3_T4_T5_T6_T7_T9_mT8_P12ihipStream_tbDpT10_ENKUlT_T0_E_clISt17integral_constantIbLb0EES1A_EEDaS15_S16_EUlS15_E_NS1_11comp_targetILNS1_3genE9ELNS1_11target_archE1100ELNS1_3gpuE3ELNS1_3repE0EEENS1_30default_config_static_selectorELNS0_4arch9wavefront6targetE1EEEvT1_ ; -- Begin function _ZN7rocprim17ROCPRIM_400000_NS6detail17trampoline_kernelINS0_14default_configENS1_25partition_config_selectorILNS1_17partition_subalgoE3EiNS0_10empty_typeEbEEZZNS1_14partition_implILS5_3ELb0ES3_jN6thrust23THRUST_200600_302600_NS6detail15normal_iteratorINSA_7pointerIiNSA_11hip_rocprim3tagENSA_11use_defaultESG_EEEEPS6_SJ_NS0_5tupleIJPiSJ_EEENSK_IJSJ_SJ_EEES6_PlJ7is_evenIiEEEE10hipError_tPvRmT3_T4_T5_T6_T7_T9_mT8_P12ihipStream_tbDpT10_ENKUlT_T0_E_clISt17integral_constantIbLb0EES1A_EEDaS15_S16_EUlS15_E_NS1_11comp_targetILNS1_3genE9ELNS1_11target_archE1100ELNS1_3gpuE3ELNS1_3repE0EEENS1_30default_config_static_selectorELNS0_4arch9wavefront6targetE1EEEvT1_
	.globl	_ZN7rocprim17ROCPRIM_400000_NS6detail17trampoline_kernelINS0_14default_configENS1_25partition_config_selectorILNS1_17partition_subalgoE3EiNS0_10empty_typeEbEEZZNS1_14partition_implILS5_3ELb0ES3_jN6thrust23THRUST_200600_302600_NS6detail15normal_iteratorINSA_7pointerIiNSA_11hip_rocprim3tagENSA_11use_defaultESG_EEEEPS6_SJ_NS0_5tupleIJPiSJ_EEENSK_IJSJ_SJ_EEES6_PlJ7is_evenIiEEEE10hipError_tPvRmT3_T4_T5_T6_T7_T9_mT8_P12ihipStream_tbDpT10_ENKUlT_T0_E_clISt17integral_constantIbLb0EES1A_EEDaS15_S16_EUlS15_E_NS1_11comp_targetILNS1_3genE9ELNS1_11target_archE1100ELNS1_3gpuE3ELNS1_3repE0EEENS1_30default_config_static_selectorELNS0_4arch9wavefront6targetE1EEEvT1_
	.p2align	8
	.type	_ZN7rocprim17ROCPRIM_400000_NS6detail17trampoline_kernelINS0_14default_configENS1_25partition_config_selectorILNS1_17partition_subalgoE3EiNS0_10empty_typeEbEEZZNS1_14partition_implILS5_3ELb0ES3_jN6thrust23THRUST_200600_302600_NS6detail15normal_iteratorINSA_7pointerIiNSA_11hip_rocprim3tagENSA_11use_defaultESG_EEEEPS6_SJ_NS0_5tupleIJPiSJ_EEENSK_IJSJ_SJ_EEES6_PlJ7is_evenIiEEEE10hipError_tPvRmT3_T4_T5_T6_T7_T9_mT8_P12ihipStream_tbDpT10_ENKUlT_T0_E_clISt17integral_constantIbLb0EES1A_EEDaS15_S16_EUlS15_E_NS1_11comp_targetILNS1_3genE9ELNS1_11target_archE1100ELNS1_3gpuE3ELNS1_3repE0EEENS1_30default_config_static_selectorELNS0_4arch9wavefront6targetE1EEEvT1_,@function
_ZN7rocprim17ROCPRIM_400000_NS6detail17trampoline_kernelINS0_14default_configENS1_25partition_config_selectorILNS1_17partition_subalgoE3EiNS0_10empty_typeEbEEZZNS1_14partition_implILS5_3ELb0ES3_jN6thrust23THRUST_200600_302600_NS6detail15normal_iteratorINSA_7pointerIiNSA_11hip_rocprim3tagENSA_11use_defaultESG_EEEEPS6_SJ_NS0_5tupleIJPiSJ_EEENSK_IJSJ_SJ_EEES6_PlJ7is_evenIiEEEE10hipError_tPvRmT3_T4_T5_T6_T7_T9_mT8_P12ihipStream_tbDpT10_ENKUlT_T0_E_clISt17integral_constantIbLb0EES1A_EEDaS15_S16_EUlS15_E_NS1_11comp_targetILNS1_3genE9ELNS1_11target_archE1100ELNS1_3gpuE3ELNS1_3repE0EEENS1_30default_config_static_selectorELNS0_4arch9wavefront6targetE1EEEvT1_: ; @_ZN7rocprim17ROCPRIM_400000_NS6detail17trampoline_kernelINS0_14default_configENS1_25partition_config_selectorILNS1_17partition_subalgoE3EiNS0_10empty_typeEbEEZZNS1_14partition_implILS5_3ELb0ES3_jN6thrust23THRUST_200600_302600_NS6detail15normal_iteratorINSA_7pointerIiNSA_11hip_rocprim3tagENSA_11use_defaultESG_EEEEPS6_SJ_NS0_5tupleIJPiSJ_EEENSK_IJSJ_SJ_EEES6_PlJ7is_evenIiEEEE10hipError_tPvRmT3_T4_T5_T6_T7_T9_mT8_P12ihipStream_tbDpT10_ENKUlT_T0_E_clISt17integral_constantIbLb0EES1A_EEDaS15_S16_EUlS15_E_NS1_11comp_targetILNS1_3genE9ELNS1_11target_archE1100ELNS1_3gpuE3ELNS1_3repE0EEENS1_30default_config_static_selectorELNS0_4arch9wavefront6targetE1EEEvT1_
; %bb.0:
	.section	.rodata,"a",@progbits
	.p2align	6, 0x0
	.amdhsa_kernel _ZN7rocprim17ROCPRIM_400000_NS6detail17trampoline_kernelINS0_14default_configENS1_25partition_config_selectorILNS1_17partition_subalgoE3EiNS0_10empty_typeEbEEZZNS1_14partition_implILS5_3ELb0ES3_jN6thrust23THRUST_200600_302600_NS6detail15normal_iteratorINSA_7pointerIiNSA_11hip_rocprim3tagENSA_11use_defaultESG_EEEEPS6_SJ_NS0_5tupleIJPiSJ_EEENSK_IJSJ_SJ_EEES6_PlJ7is_evenIiEEEE10hipError_tPvRmT3_T4_T5_T6_T7_T9_mT8_P12ihipStream_tbDpT10_ENKUlT_T0_E_clISt17integral_constantIbLb0EES1A_EEDaS15_S16_EUlS15_E_NS1_11comp_targetILNS1_3genE9ELNS1_11target_archE1100ELNS1_3gpuE3ELNS1_3repE0EEENS1_30default_config_static_selectorELNS0_4arch9wavefront6targetE1EEEvT1_
		.amdhsa_group_segment_fixed_size 0
		.amdhsa_private_segment_fixed_size 0
		.amdhsa_kernarg_size 120
		.amdhsa_user_sgpr_count 2
		.amdhsa_user_sgpr_dispatch_ptr 0
		.amdhsa_user_sgpr_queue_ptr 0
		.amdhsa_user_sgpr_kernarg_segment_ptr 1
		.amdhsa_user_sgpr_dispatch_id 0
		.amdhsa_user_sgpr_kernarg_preload_length 0
		.amdhsa_user_sgpr_kernarg_preload_offset 0
		.amdhsa_user_sgpr_private_segment_size 0
		.amdhsa_uses_dynamic_stack 0
		.amdhsa_enable_private_segment 0
		.amdhsa_system_sgpr_workgroup_id_x 1
		.amdhsa_system_sgpr_workgroup_id_y 0
		.amdhsa_system_sgpr_workgroup_id_z 0
		.amdhsa_system_sgpr_workgroup_info 0
		.amdhsa_system_vgpr_workitem_id 0
		.amdhsa_next_free_vgpr 1
		.amdhsa_next_free_sgpr 0
		.amdhsa_accum_offset 4
		.amdhsa_reserve_vcc 0
		.amdhsa_float_round_mode_32 0
		.amdhsa_float_round_mode_16_64 0
		.amdhsa_float_denorm_mode_32 3
		.amdhsa_float_denorm_mode_16_64 3
		.amdhsa_dx10_clamp 1
		.amdhsa_ieee_mode 1
		.amdhsa_fp16_overflow 0
		.amdhsa_tg_split 0
		.amdhsa_exception_fp_ieee_invalid_op 0
		.amdhsa_exception_fp_denorm_src 0
		.amdhsa_exception_fp_ieee_div_zero 0
		.amdhsa_exception_fp_ieee_overflow 0
		.amdhsa_exception_fp_ieee_underflow 0
		.amdhsa_exception_fp_ieee_inexact 0
		.amdhsa_exception_int_div_zero 0
	.end_amdhsa_kernel
	.section	.text._ZN7rocprim17ROCPRIM_400000_NS6detail17trampoline_kernelINS0_14default_configENS1_25partition_config_selectorILNS1_17partition_subalgoE3EiNS0_10empty_typeEbEEZZNS1_14partition_implILS5_3ELb0ES3_jN6thrust23THRUST_200600_302600_NS6detail15normal_iteratorINSA_7pointerIiNSA_11hip_rocprim3tagENSA_11use_defaultESG_EEEEPS6_SJ_NS0_5tupleIJPiSJ_EEENSK_IJSJ_SJ_EEES6_PlJ7is_evenIiEEEE10hipError_tPvRmT3_T4_T5_T6_T7_T9_mT8_P12ihipStream_tbDpT10_ENKUlT_T0_E_clISt17integral_constantIbLb0EES1A_EEDaS15_S16_EUlS15_E_NS1_11comp_targetILNS1_3genE9ELNS1_11target_archE1100ELNS1_3gpuE3ELNS1_3repE0EEENS1_30default_config_static_selectorELNS0_4arch9wavefront6targetE1EEEvT1_,"axG",@progbits,_ZN7rocprim17ROCPRIM_400000_NS6detail17trampoline_kernelINS0_14default_configENS1_25partition_config_selectorILNS1_17partition_subalgoE3EiNS0_10empty_typeEbEEZZNS1_14partition_implILS5_3ELb0ES3_jN6thrust23THRUST_200600_302600_NS6detail15normal_iteratorINSA_7pointerIiNSA_11hip_rocprim3tagENSA_11use_defaultESG_EEEEPS6_SJ_NS0_5tupleIJPiSJ_EEENSK_IJSJ_SJ_EEES6_PlJ7is_evenIiEEEE10hipError_tPvRmT3_T4_T5_T6_T7_T9_mT8_P12ihipStream_tbDpT10_ENKUlT_T0_E_clISt17integral_constantIbLb0EES1A_EEDaS15_S16_EUlS15_E_NS1_11comp_targetILNS1_3genE9ELNS1_11target_archE1100ELNS1_3gpuE3ELNS1_3repE0EEENS1_30default_config_static_selectorELNS0_4arch9wavefront6targetE1EEEvT1_,comdat
.Lfunc_end94:
	.size	_ZN7rocprim17ROCPRIM_400000_NS6detail17trampoline_kernelINS0_14default_configENS1_25partition_config_selectorILNS1_17partition_subalgoE3EiNS0_10empty_typeEbEEZZNS1_14partition_implILS5_3ELb0ES3_jN6thrust23THRUST_200600_302600_NS6detail15normal_iteratorINSA_7pointerIiNSA_11hip_rocprim3tagENSA_11use_defaultESG_EEEEPS6_SJ_NS0_5tupleIJPiSJ_EEENSK_IJSJ_SJ_EEES6_PlJ7is_evenIiEEEE10hipError_tPvRmT3_T4_T5_T6_T7_T9_mT8_P12ihipStream_tbDpT10_ENKUlT_T0_E_clISt17integral_constantIbLb0EES1A_EEDaS15_S16_EUlS15_E_NS1_11comp_targetILNS1_3genE9ELNS1_11target_archE1100ELNS1_3gpuE3ELNS1_3repE0EEENS1_30default_config_static_selectorELNS0_4arch9wavefront6targetE1EEEvT1_, .Lfunc_end94-_ZN7rocprim17ROCPRIM_400000_NS6detail17trampoline_kernelINS0_14default_configENS1_25partition_config_selectorILNS1_17partition_subalgoE3EiNS0_10empty_typeEbEEZZNS1_14partition_implILS5_3ELb0ES3_jN6thrust23THRUST_200600_302600_NS6detail15normal_iteratorINSA_7pointerIiNSA_11hip_rocprim3tagENSA_11use_defaultESG_EEEEPS6_SJ_NS0_5tupleIJPiSJ_EEENSK_IJSJ_SJ_EEES6_PlJ7is_evenIiEEEE10hipError_tPvRmT3_T4_T5_T6_T7_T9_mT8_P12ihipStream_tbDpT10_ENKUlT_T0_E_clISt17integral_constantIbLb0EES1A_EEDaS15_S16_EUlS15_E_NS1_11comp_targetILNS1_3genE9ELNS1_11target_archE1100ELNS1_3gpuE3ELNS1_3repE0EEENS1_30default_config_static_selectorELNS0_4arch9wavefront6targetE1EEEvT1_
                                        ; -- End function
	.section	.AMDGPU.csdata,"",@progbits
; Kernel info:
; codeLenInByte = 0
; NumSgprs: 6
; NumVgprs: 0
; NumAgprs: 0
; TotalNumVgprs: 0
; ScratchSize: 0
; MemoryBound: 0
; FloatMode: 240
; IeeeMode: 1
; LDSByteSize: 0 bytes/workgroup (compile time only)
; SGPRBlocks: 0
; VGPRBlocks: 0
; NumSGPRsForWavesPerEU: 6
; NumVGPRsForWavesPerEU: 1
; AccumOffset: 4
; Occupancy: 8
; WaveLimiterHint : 0
; COMPUTE_PGM_RSRC2:SCRATCH_EN: 0
; COMPUTE_PGM_RSRC2:USER_SGPR: 2
; COMPUTE_PGM_RSRC2:TRAP_HANDLER: 0
; COMPUTE_PGM_RSRC2:TGID_X_EN: 1
; COMPUTE_PGM_RSRC2:TGID_Y_EN: 0
; COMPUTE_PGM_RSRC2:TGID_Z_EN: 0
; COMPUTE_PGM_RSRC2:TIDIG_COMP_CNT: 0
; COMPUTE_PGM_RSRC3_GFX90A:ACCUM_OFFSET: 0
; COMPUTE_PGM_RSRC3_GFX90A:TG_SPLIT: 0
	.section	.text._ZN7rocprim17ROCPRIM_400000_NS6detail17trampoline_kernelINS0_14default_configENS1_25partition_config_selectorILNS1_17partition_subalgoE3EiNS0_10empty_typeEbEEZZNS1_14partition_implILS5_3ELb0ES3_jN6thrust23THRUST_200600_302600_NS6detail15normal_iteratorINSA_7pointerIiNSA_11hip_rocprim3tagENSA_11use_defaultESG_EEEEPS6_SJ_NS0_5tupleIJPiSJ_EEENSK_IJSJ_SJ_EEES6_PlJ7is_evenIiEEEE10hipError_tPvRmT3_T4_T5_T6_T7_T9_mT8_P12ihipStream_tbDpT10_ENKUlT_T0_E_clISt17integral_constantIbLb0EES1A_EEDaS15_S16_EUlS15_E_NS1_11comp_targetILNS1_3genE8ELNS1_11target_archE1030ELNS1_3gpuE2ELNS1_3repE0EEENS1_30default_config_static_selectorELNS0_4arch9wavefront6targetE1EEEvT1_,"axG",@progbits,_ZN7rocprim17ROCPRIM_400000_NS6detail17trampoline_kernelINS0_14default_configENS1_25partition_config_selectorILNS1_17partition_subalgoE3EiNS0_10empty_typeEbEEZZNS1_14partition_implILS5_3ELb0ES3_jN6thrust23THRUST_200600_302600_NS6detail15normal_iteratorINSA_7pointerIiNSA_11hip_rocprim3tagENSA_11use_defaultESG_EEEEPS6_SJ_NS0_5tupleIJPiSJ_EEENSK_IJSJ_SJ_EEES6_PlJ7is_evenIiEEEE10hipError_tPvRmT3_T4_T5_T6_T7_T9_mT8_P12ihipStream_tbDpT10_ENKUlT_T0_E_clISt17integral_constantIbLb0EES1A_EEDaS15_S16_EUlS15_E_NS1_11comp_targetILNS1_3genE8ELNS1_11target_archE1030ELNS1_3gpuE2ELNS1_3repE0EEENS1_30default_config_static_selectorELNS0_4arch9wavefront6targetE1EEEvT1_,comdat
	.protected	_ZN7rocprim17ROCPRIM_400000_NS6detail17trampoline_kernelINS0_14default_configENS1_25partition_config_selectorILNS1_17partition_subalgoE3EiNS0_10empty_typeEbEEZZNS1_14partition_implILS5_3ELb0ES3_jN6thrust23THRUST_200600_302600_NS6detail15normal_iteratorINSA_7pointerIiNSA_11hip_rocprim3tagENSA_11use_defaultESG_EEEEPS6_SJ_NS0_5tupleIJPiSJ_EEENSK_IJSJ_SJ_EEES6_PlJ7is_evenIiEEEE10hipError_tPvRmT3_T4_T5_T6_T7_T9_mT8_P12ihipStream_tbDpT10_ENKUlT_T0_E_clISt17integral_constantIbLb0EES1A_EEDaS15_S16_EUlS15_E_NS1_11comp_targetILNS1_3genE8ELNS1_11target_archE1030ELNS1_3gpuE2ELNS1_3repE0EEENS1_30default_config_static_selectorELNS0_4arch9wavefront6targetE1EEEvT1_ ; -- Begin function _ZN7rocprim17ROCPRIM_400000_NS6detail17trampoline_kernelINS0_14default_configENS1_25partition_config_selectorILNS1_17partition_subalgoE3EiNS0_10empty_typeEbEEZZNS1_14partition_implILS5_3ELb0ES3_jN6thrust23THRUST_200600_302600_NS6detail15normal_iteratorINSA_7pointerIiNSA_11hip_rocprim3tagENSA_11use_defaultESG_EEEEPS6_SJ_NS0_5tupleIJPiSJ_EEENSK_IJSJ_SJ_EEES6_PlJ7is_evenIiEEEE10hipError_tPvRmT3_T4_T5_T6_T7_T9_mT8_P12ihipStream_tbDpT10_ENKUlT_T0_E_clISt17integral_constantIbLb0EES1A_EEDaS15_S16_EUlS15_E_NS1_11comp_targetILNS1_3genE8ELNS1_11target_archE1030ELNS1_3gpuE2ELNS1_3repE0EEENS1_30default_config_static_selectorELNS0_4arch9wavefront6targetE1EEEvT1_
	.globl	_ZN7rocprim17ROCPRIM_400000_NS6detail17trampoline_kernelINS0_14default_configENS1_25partition_config_selectorILNS1_17partition_subalgoE3EiNS0_10empty_typeEbEEZZNS1_14partition_implILS5_3ELb0ES3_jN6thrust23THRUST_200600_302600_NS6detail15normal_iteratorINSA_7pointerIiNSA_11hip_rocprim3tagENSA_11use_defaultESG_EEEEPS6_SJ_NS0_5tupleIJPiSJ_EEENSK_IJSJ_SJ_EEES6_PlJ7is_evenIiEEEE10hipError_tPvRmT3_T4_T5_T6_T7_T9_mT8_P12ihipStream_tbDpT10_ENKUlT_T0_E_clISt17integral_constantIbLb0EES1A_EEDaS15_S16_EUlS15_E_NS1_11comp_targetILNS1_3genE8ELNS1_11target_archE1030ELNS1_3gpuE2ELNS1_3repE0EEENS1_30default_config_static_selectorELNS0_4arch9wavefront6targetE1EEEvT1_
	.p2align	8
	.type	_ZN7rocprim17ROCPRIM_400000_NS6detail17trampoline_kernelINS0_14default_configENS1_25partition_config_selectorILNS1_17partition_subalgoE3EiNS0_10empty_typeEbEEZZNS1_14partition_implILS5_3ELb0ES3_jN6thrust23THRUST_200600_302600_NS6detail15normal_iteratorINSA_7pointerIiNSA_11hip_rocprim3tagENSA_11use_defaultESG_EEEEPS6_SJ_NS0_5tupleIJPiSJ_EEENSK_IJSJ_SJ_EEES6_PlJ7is_evenIiEEEE10hipError_tPvRmT3_T4_T5_T6_T7_T9_mT8_P12ihipStream_tbDpT10_ENKUlT_T0_E_clISt17integral_constantIbLb0EES1A_EEDaS15_S16_EUlS15_E_NS1_11comp_targetILNS1_3genE8ELNS1_11target_archE1030ELNS1_3gpuE2ELNS1_3repE0EEENS1_30default_config_static_selectorELNS0_4arch9wavefront6targetE1EEEvT1_,@function
_ZN7rocprim17ROCPRIM_400000_NS6detail17trampoline_kernelINS0_14default_configENS1_25partition_config_selectorILNS1_17partition_subalgoE3EiNS0_10empty_typeEbEEZZNS1_14partition_implILS5_3ELb0ES3_jN6thrust23THRUST_200600_302600_NS6detail15normal_iteratorINSA_7pointerIiNSA_11hip_rocprim3tagENSA_11use_defaultESG_EEEEPS6_SJ_NS0_5tupleIJPiSJ_EEENSK_IJSJ_SJ_EEES6_PlJ7is_evenIiEEEE10hipError_tPvRmT3_T4_T5_T6_T7_T9_mT8_P12ihipStream_tbDpT10_ENKUlT_T0_E_clISt17integral_constantIbLb0EES1A_EEDaS15_S16_EUlS15_E_NS1_11comp_targetILNS1_3genE8ELNS1_11target_archE1030ELNS1_3gpuE2ELNS1_3repE0EEENS1_30default_config_static_selectorELNS0_4arch9wavefront6targetE1EEEvT1_: ; @_ZN7rocprim17ROCPRIM_400000_NS6detail17trampoline_kernelINS0_14default_configENS1_25partition_config_selectorILNS1_17partition_subalgoE3EiNS0_10empty_typeEbEEZZNS1_14partition_implILS5_3ELb0ES3_jN6thrust23THRUST_200600_302600_NS6detail15normal_iteratorINSA_7pointerIiNSA_11hip_rocprim3tagENSA_11use_defaultESG_EEEEPS6_SJ_NS0_5tupleIJPiSJ_EEENSK_IJSJ_SJ_EEES6_PlJ7is_evenIiEEEE10hipError_tPvRmT3_T4_T5_T6_T7_T9_mT8_P12ihipStream_tbDpT10_ENKUlT_T0_E_clISt17integral_constantIbLb0EES1A_EEDaS15_S16_EUlS15_E_NS1_11comp_targetILNS1_3genE8ELNS1_11target_archE1030ELNS1_3gpuE2ELNS1_3repE0EEENS1_30default_config_static_selectorELNS0_4arch9wavefront6targetE1EEEvT1_
; %bb.0:
	.section	.rodata,"a",@progbits
	.p2align	6, 0x0
	.amdhsa_kernel _ZN7rocprim17ROCPRIM_400000_NS6detail17trampoline_kernelINS0_14default_configENS1_25partition_config_selectorILNS1_17partition_subalgoE3EiNS0_10empty_typeEbEEZZNS1_14partition_implILS5_3ELb0ES3_jN6thrust23THRUST_200600_302600_NS6detail15normal_iteratorINSA_7pointerIiNSA_11hip_rocprim3tagENSA_11use_defaultESG_EEEEPS6_SJ_NS0_5tupleIJPiSJ_EEENSK_IJSJ_SJ_EEES6_PlJ7is_evenIiEEEE10hipError_tPvRmT3_T4_T5_T6_T7_T9_mT8_P12ihipStream_tbDpT10_ENKUlT_T0_E_clISt17integral_constantIbLb0EES1A_EEDaS15_S16_EUlS15_E_NS1_11comp_targetILNS1_3genE8ELNS1_11target_archE1030ELNS1_3gpuE2ELNS1_3repE0EEENS1_30default_config_static_selectorELNS0_4arch9wavefront6targetE1EEEvT1_
		.amdhsa_group_segment_fixed_size 0
		.amdhsa_private_segment_fixed_size 0
		.amdhsa_kernarg_size 120
		.amdhsa_user_sgpr_count 2
		.amdhsa_user_sgpr_dispatch_ptr 0
		.amdhsa_user_sgpr_queue_ptr 0
		.amdhsa_user_sgpr_kernarg_segment_ptr 1
		.amdhsa_user_sgpr_dispatch_id 0
		.amdhsa_user_sgpr_kernarg_preload_length 0
		.amdhsa_user_sgpr_kernarg_preload_offset 0
		.amdhsa_user_sgpr_private_segment_size 0
		.amdhsa_uses_dynamic_stack 0
		.amdhsa_enable_private_segment 0
		.amdhsa_system_sgpr_workgroup_id_x 1
		.amdhsa_system_sgpr_workgroup_id_y 0
		.amdhsa_system_sgpr_workgroup_id_z 0
		.amdhsa_system_sgpr_workgroup_info 0
		.amdhsa_system_vgpr_workitem_id 0
		.amdhsa_next_free_vgpr 1
		.amdhsa_next_free_sgpr 0
		.amdhsa_accum_offset 4
		.amdhsa_reserve_vcc 0
		.amdhsa_float_round_mode_32 0
		.amdhsa_float_round_mode_16_64 0
		.amdhsa_float_denorm_mode_32 3
		.amdhsa_float_denorm_mode_16_64 3
		.amdhsa_dx10_clamp 1
		.amdhsa_ieee_mode 1
		.amdhsa_fp16_overflow 0
		.amdhsa_tg_split 0
		.amdhsa_exception_fp_ieee_invalid_op 0
		.amdhsa_exception_fp_denorm_src 0
		.amdhsa_exception_fp_ieee_div_zero 0
		.amdhsa_exception_fp_ieee_overflow 0
		.amdhsa_exception_fp_ieee_underflow 0
		.amdhsa_exception_fp_ieee_inexact 0
		.amdhsa_exception_int_div_zero 0
	.end_amdhsa_kernel
	.section	.text._ZN7rocprim17ROCPRIM_400000_NS6detail17trampoline_kernelINS0_14default_configENS1_25partition_config_selectorILNS1_17partition_subalgoE3EiNS0_10empty_typeEbEEZZNS1_14partition_implILS5_3ELb0ES3_jN6thrust23THRUST_200600_302600_NS6detail15normal_iteratorINSA_7pointerIiNSA_11hip_rocprim3tagENSA_11use_defaultESG_EEEEPS6_SJ_NS0_5tupleIJPiSJ_EEENSK_IJSJ_SJ_EEES6_PlJ7is_evenIiEEEE10hipError_tPvRmT3_T4_T5_T6_T7_T9_mT8_P12ihipStream_tbDpT10_ENKUlT_T0_E_clISt17integral_constantIbLb0EES1A_EEDaS15_S16_EUlS15_E_NS1_11comp_targetILNS1_3genE8ELNS1_11target_archE1030ELNS1_3gpuE2ELNS1_3repE0EEENS1_30default_config_static_selectorELNS0_4arch9wavefront6targetE1EEEvT1_,"axG",@progbits,_ZN7rocprim17ROCPRIM_400000_NS6detail17trampoline_kernelINS0_14default_configENS1_25partition_config_selectorILNS1_17partition_subalgoE3EiNS0_10empty_typeEbEEZZNS1_14partition_implILS5_3ELb0ES3_jN6thrust23THRUST_200600_302600_NS6detail15normal_iteratorINSA_7pointerIiNSA_11hip_rocprim3tagENSA_11use_defaultESG_EEEEPS6_SJ_NS0_5tupleIJPiSJ_EEENSK_IJSJ_SJ_EEES6_PlJ7is_evenIiEEEE10hipError_tPvRmT3_T4_T5_T6_T7_T9_mT8_P12ihipStream_tbDpT10_ENKUlT_T0_E_clISt17integral_constantIbLb0EES1A_EEDaS15_S16_EUlS15_E_NS1_11comp_targetILNS1_3genE8ELNS1_11target_archE1030ELNS1_3gpuE2ELNS1_3repE0EEENS1_30default_config_static_selectorELNS0_4arch9wavefront6targetE1EEEvT1_,comdat
.Lfunc_end95:
	.size	_ZN7rocprim17ROCPRIM_400000_NS6detail17trampoline_kernelINS0_14default_configENS1_25partition_config_selectorILNS1_17partition_subalgoE3EiNS0_10empty_typeEbEEZZNS1_14partition_implILS5_3ELb0ES3_jN6thrust23THRUST_200600_302600_NS6detail15normal_iteratorINSA_7pointerIiNSA_11hip_rocprim3tagENSA_11use_defaultESG_EEEEPS6_SJ_NS0_5tupleIJPiSJ_EEENSK_IJSJ_SJ_EEES6_PlJ7is_evenIiEEEE10hipError_tPvRmT3_T4_T5_T6_T7_T9_mT8_P12ihipStream_tbDpT10_ENKUlT_T0_E_clISt17integral_constantIbLb0EES1A_EEDaS15_S16_EUlS15_E_NS1_11comp_targetILNS1_3genE8ELNS1_11target_archE1030ELNS1_3gpuE2ELNS1_3repE0EEENS1_30default_config_static_selectorELNS0_4arch9wavefront6targetE1EEEvT1_, .Lfunc_end95-_ZN7rocprim17ROCPRIM_400000_NS6detail17trampoline_kernelINS0_14default_configENS1_25partition_config_selectorILNS1_17partition_subalgoE3EiNS0_10empty_typeEbEEZZNS1_14partition_implILS5_3ELb0ES3_jN6thrust23THRUST_200600_302600_NS6detail15normal_iteratorINSA_7pointerIiNSA_11hip_rocprim3tagENSA_11use_defaultESG_EEEEPS6_SJ_NS0_5tupleIJPiSJ_EEENSK_IJSJ_SJ_EEES6_PlJ7is_evenIiEEEE10hipError_tPvRmT3_T4_T5_T6_T7_T9_mT8_P12ihipStream_tbDpT10_ENKUlT_T0_E_clISt17integral_constantIbLb0EES1A_EEDaS15_S16_EUlS15_E_NS1_11comp_targetILNS1_3genE8ELNS1_11target_archE1030ELNS1_3gpuE2ELNS1_3repE0EEENS1_30default_config_static_selectorELNS0_4arch9wavefront6targetE1EEEvT1_
                                        ; -- End function
	.section	.AMDGPU.csdata,"",@progbits
; Kernel info:
; codeLenInByte = 0
; NumSgprs: 6
; NumVgprs: 0
; NumAgprs: 0
; TotalNumVgprs: 0
; ScratchSize: 0
; MemoryBound: 0
; FloatMode: 240
; IeeeMode: 1
; LDSByteSize: 0 bytes/workgroup (compile time only)
; SGPRBlocks: 0
; VGPRBlocks: 0
; NumSGPRsForWavesPerEU: 6
; NumVGPRsForWavesPerEU: 1
; AccumOffset: 4
; Occupancy: 8
; WaveLimiterHint : 0
; COMPUTE_PGM_RSRC2:SCRATCH_EN: 0
; COMPUTE_PGM_RSRC2:USER_SGPR: 2
; COMPUTE_PGM_RSRC2:TRAP_HANDLER: 0
; COMPUTE_PGM_RSRC2:TGID_X_EN: 1
; COMPUTE_PGM_RSRC2:TGID_Y_EN: 0
; COMPUTE_PGM_RSRC2:TGID_Z_EN: 0
; COMPUTE_PGM_RSRC2:TIDIG_COMP_CNT: 0
; COMPUTE_PGM_RSRC3_GFX90A:ACCUM_OFFSET: 0
; COMPUTE_PGM_RSRC3_GFX90A:TG_SPLIT: 0
	.section	.text._ZN7rocprim17ROCPRIM_400000_NS6detail17trampoline_kernelINS0_14default_configENS1_25partition_config_selectorILNS1_17partition_subalgoE3EiNS0_10empty_typeEbEEZZNS1_14partition_implILS5_3ELb0ES3_jN6thrust23THRUST_200600_302600_NS6detail15normal_iteratorINSA_7pointerIiNSA_11hip_rocprim3tagENSA_11use_defaultESG_EEEEPS6_SJ_NS0_5tupleIJPiSJ_EEENSK_IJSJ_SJ_EEES6_PlJ7is_evenIiEEEE10hipError_tPvRmT3_T4_T5_T6_T7_T9_mT8_P12ihipStream_tbDpT10_ENKUlT_T0_E_clISt17integral_constantIbLb1EES1A_EEDaS15_S16_EUlS15_E_NS1_11comp_targetILNS1_3genE0ELNS1_11target_archE4294967295ELNS1_3gpuE0ELNS1_3repE0EEENS1_30default_config_static_selectorELNS0_4arch9wavefront6targetE1EEEvT1_,"axG",@progbits,_ZN7rocprim17ROCPRIM_400000_NS6detail17trampoline_kernelINS0_14default_configENS1_25partition_config_selectorILNS1_17partition_subalgoE3EiNS0_10empty_typeEbEEZZNS1_14partition_implILS5_3ELb0ES3_jN6thrust23THRUST_200600_302600_NS6detail15normal_iteratorINSA_7pointerIiNSA_11hip_rocprim3tagENSA_11use_defaultESG_EEEEPS6_SJ_NS0_5tupleIJPiSJ_EEENSK_IJSJ_SJ_EEES6_PlJ7is_evenIiEEEE10hipError_tPvRmT3_T4_T5_T6_T7_T9_mT8_P12ihipStream_tbDpT10_ENKUlT_T0_E_clISt17integral_constantIbLb1EES1A_EEDaS15_S16_EUlS15_E_NS1_11comp_targetILNS1_3genE0ELNS1_11target_archE4294967295ELNS1_3gpuE0ELNS1_3repE0EEENS1_30default_config_static_selectorELNS0_4arch9wavefront6targetE1EEEvT1_,comdat
	.protected	_ZN7rocprim17ROCPRIM_400000_NS6detail17trampoline_kernelINS0_14default_configENS1_25partition_config_selectorILNS1_17partition_subalgoE3EiNS0_10empty_typeEbEEZZNS1_14partition_implILS5_3ELb0ES3_jN6thrust23THRUST_200600_302600_NS6detail15normal_iteratorINSA_7pointerIiNSA_11hip_rocprim3tagENSA_11use_defaultESG_EEEEPS6_SJ_NS0_5tupleIJPiSJ_EEENSK_IJSJ_SJ_EEES6_PlJ7is_evenIiEEEE10hipError_tPvRmT3_T4_T5_T6_T7_T9_mT8_P12ihipStream_tbDpT10_ENKUlT_T0_E_clISt17integral_constantIbLb1EES1A_EEDaS15_S16_EUlS15_E_NS1_11comp_targetILNS1_3genE0ELNS1_11target_archE4294967295ELNS1_3gpuE0ELNS1_3repE0EEENS1_30default_config_static_selectorELNS0_4arch9wavefront6targetE1EEEvT1_ ; -- Begin function _ZN7rocprim17ROCPRIM_400000_NS6detail17trampoline_kernelINS0_14default_configENS1_25partition_config_selectorILNS1_17partition_subalgoE3EiNS0_10empty_typeEbEEZZNS1_14partition_implILS5_3ELb0ES3_jN6thrust23THRUST_200600_302600_NS6detail15normal_iteratorINSA_7pointerIiNSA_11hip_rocprim3tagENSA_11use_defaultESG_EEEEPS6_SJ_NS0_5tupleIJPiSJ_EEENSK_IJSJ_SJ_EEES6_PlJ7is_evenIiEEEE10hipError_tPvRmT3_T4_T5_T6_T7_T9_mT8_P12ihipStream_tbDpT10_ENKUlT_T0_E_clISt17integral_constantIbLb1EES1A_EEDaS15_S16_EUlS15_E_NS1_11comp_targetILNS1_3genE0ELNS1_11target_archE4294967295ELNS1_3gpuE0ELNS1_3repE0EEENS1_30default_config_static_selectorELNS0_4arch9wavefront6targetE1EEEvT1_
	.globl	_ZN7rocprim17ROCPRIM_400000_NS6detail17trampoline_kernelINS0_14default_configENS1_25partition_config_selectorILNS1_17partition_subalgoE3EiNS0_10empty_typeEbEEZZNS1_14partition_implILS5_3ELb0ES3_jN6thrust23THRUST_200600_302600_NS6detail15normal_iteratorINSA_7pointerIiNSA_11hip_rocprim3tagENSA_11use_defaultESG_EEEEPS6_SJ_NS0_5tupleIJPiSJ_EEENSK_IJSJ_SJ_EEES6_PlJ7is_evenIiEEEE10hipError_tPvRmT3_T4_T5_T6_T7_T9_mT8_P12ihipStream_tbDpT10_ENKUlT_T0_E_clISt17integral_constantIbLb1EES1A_EEDaS15_S16_EUlS15_E_NS1_11comp_targetILNS1_3genE0ELNS1_11target_archE4294967295ELNS1_3gpuE0ELNS1_3repE0EEENS1_30default_config_static_selectorELNS0_4arch9wavefront6targetE1EEEvT1_
	.p2align	8
	.type	_ZN7rocprim17ROCPRIM_400000_NS6detail17trampoline_kernelINS0_14default_configENS1_25partition_config_selectorILNS1_17partition_subalgoE3EiNS0_10empty_typeEbEEZZNS1_14partition_implILS5_3ELb0ES3_jN6thrust23THRUST_200600_302600_NS6detail15normal_iteratorINSA_7pointerIiNSA_11hip_rocprim3tagENSA_11use_defaultESG_EEEEPS6_SJ_NS0_5tupleIJPiSJ_EEENSK_IJSJ_SJ_EEES6_PlJ7is_evenIiEEEE10hipError_tPvRmT3_T4_T5_T6_T7_T9_mT8_P12ihipStream_tbDpT10_ENKUlT_T0_E_clISt17integral_constantIbLb1EES1A_EEDaS15_S16_EUlS15_E_NS1_11comp_targetILNS1_3genE0ELNS1_11target_archE4294967295ELNS1_3gpuE0ELNS1_3repE0EEENS1_30default_config_static_selectorELNS0_4arch9wavefront6targetE1EEEvT1_,@function
_ZN7rocprim17ROCPRIM_400000_NS6detail17trampoline_kernelINS0_14default_configENS1_25partition_config_selectorILNS1_17partition_subalgoE3EiNS0_10empty_typeEbEEZZNS1_14partition_implILS5_3ELb0ES3_jN6thrust23THRUST_200600_302600_NS6detail15normal_iteratorINSA_7pointerIiNSA_11hip_rocprim3tagENSA_11use_defaultESG_EEEEPS6_SJ_NS0_5tupleIJPiSJ_EEENSK_IJSJ_SJ_EEES6_PlJ7is_evenIiEEEE10hipError_tPvRmT3_T4_T5_T6_T7_T9_mT8_P12ihipStream_tbDpT10_ENKUlT_T0_E_clISt17integral_constantIbLb1EES1A_EEDaS15_S16_EUlS15_E_NS1_11comp_targetILNS1_3genE0ELNS1_11target_archE4294967295ELNS1_3gpuE0ELNS1_3repE0EEENS1_30default_config_static_selectorELNS0_4arch9wavefront6targetE1EEEvT1_: ; @_ZN7rocprim17ROCPRIM_400000_NS6detail17trampoline_kernelINS0_14default_configENS1_25partition_config_selectorILNS1_17partition_subalgoE3EiNS0_10empty_typeEbEEZZNS1_14partition_implILS5_3ELb0ES3_jN6thrust23THRUST_200600_302600_NS6detail15normal_iteratorINSA_7pointerIiNSA_11hip_rocprim3tagENSA_11use_defaultESG_EEEEPS6_SJ_NS0_5tupleIJPiSJ_EEENSK_IJSJ_SJ_EEES6_PlJ7is_evenIiEEEE10hipError_tPvRmT3_T4_T5_T6_T7_T9_mT8_P12ihipStream_tbDpT10_ENKUlT_T0_E_clISt17integral_constantIbLb1EES1A_EEDaS15_S16_EUlS15_E_NS1_11comp_targetILNS1_3genE0ELNS1_11target_archE4294967295ELNS1_3gpuE0ELNS1_3repE0EEENS1_30default_config_static_selectorELNS0_4arch9wavefront6targetE1EEEvT1_
; %bb.0:
	.section	.rodata,"a",@progbits
	.p2align	6, 0x0
	.amdhsa_kernel _ZN7rocprim17ROCPRIM_400000_NS6detail17trampoline_kernelINS0_14default_configENS1_25partition_config_selectorILNS1_17partition_subalgoE3EiNS0_10empty_typeEbEEZZNS1_14partition_implILS5_3ELb0ES3_jN6thrust23THRUST_200600_302600_NS6detail15normal_iteratorINSA_7pointerIiNSA_11hip_rocprim3tagENSA_11use_defaultESG_EEEEPS6_SJ_NS0_5tupleIJPiSJ_EEENSK_IJSJ_SJ_EEES6_PlJ7is_evenIiEEEE10hipError_tPvRmT3_T4_T5_T6_T7_T9_mT8_P12ihipStream_tbDpT10_ENKUlT_T0_E_clISt17integral_constantIbLb1EES1A_EEDaS15_S16_EUlS15_E_NS1_11comp_targetILNS1_3genE0ELNS1_11target_archE4294967295ELNS1_3gpuE0ELNS1_3repE0EEENS1_30default_config_static_selectorELNS0_4arch9wavefront6targetE1EEEvT1_
		.amdhsa_group_segment_fixed_size 0
		.amdhsa_private_segment_fixed_size 0
		.amdhsa_kernarg_size 136
		.amdhsa_user_sgpr_count 2
		.amdhsa_user_sgpr_dispatch_ptr 0
		.amdhsa_user_sgpr_queue_ptr 0
		.amdhsa_user_sgpr_kernarg_segment_ptr 1
		.amdhsa_user_sgpr_dispatch_id 0
		.amdhsa_user_sgpr_kernarg_preload_length 0
		.amdhsa_user_sgpr_kernarg_preload_offset 0
		.amdhsa_user_sgpr_private_segment_size 0
		.amdhsa_uses_dynamic_stack 0
		.amdhsa_enable_private_segment 0
		.amdhsa_system_sgpr_workgroup_id_x 1
		.amdhsa_system_sgpr_workgroup_id_y 0
		.amdhsa_system_sgpr_workgroup_id_z 0
		.amdhsa_system_sgpr_workgroup_info 0
		.amdhsa_system_vgpr_workitem_id 0
		.amdhsa_next_free_vgpr 1
		.amdhsa_next_free_sgpr 0
		.amdhsa_accum_offset 4
		.amdhsa_reserve_vcc 0
		.amdhsa_float_round_mode_32 0
		.amdhsa_float_round_mode_16_64 0
		.amdhsa_float_denorm_mode_32 3
		.amdhsa_float_denorm_mode_16_64 3
		.amdhsa_dx10_clamp 1
		.amdhsa_ieee_mode 1
		.amdhsa_fp16_overflow 0
		.amdhsa_tg_split 0
		.amdhsa_exception_fp_ieee_invalid_op 0
		.amdhsa_exception_fp_denorm_src 0
		.amdhsa_exception_fp_ieee_div_zero 0
		.amdhsa_exception_fp_ieee_overflow 0
		.amdhsa_exception_fp_ieee_underflow 0
		.amdhsa_exception_fp_ieee_inexact 0
		.amdhsa_exception_int_div_zero 0
	.end_amdhsa_kernel
	.section	.text._ZN7rocprim17ROCPRIM_400000_NS6detail17trampoline_kernelINS0_14default_configENS1_25partition_config_selectorILNS1_17partition_subalgoE3EiNS0_10empty_typeEbEEZZNS1_14partition_implILS5_3ELb0ES3_jN6thrust23THRUST_200600_302600_NS6detail15normal_iteratorINSA_7pointerIiNSA_11hip_rocprim3tagENSA_11use_defaultESG_EEEEPS6_SJ_NS0_5tupleIJPiSJ_EEENSK_IJSJ_SJ_EEES6_PlJ7is_evenIiEEEE10hipError_tPvRmT3_T4_T5_T6_T7_T9_mT8_P12ihipStream_tbDpT10_ENKUlT_T0_E_clISt17integral_constantIbLb1EES1A_EEDaS15_S16_EUlS15_E_NS1_11comp_targetILNS1_3genE0ELNS1_11target_archE4294967295ELNS1_3gpuE0ELNS1_3repE0EEENS1_30default_config_static_selectorELNS0_4arch9wavefront6targetE1EEEvT1_,"axG",@progbits,_ZN7rocprim17ROCPRIM_400000_NS6detail17trampoline_kernelINS0_14default_configENS1_25partition_config_selectorILNS1_17partition_subalgoE3EiNS0_10empty_typeEbEEZZNS1_14partition_implILS5_3ELb0ES3_jN6thrust23THRUST_200600_302600_NS6detail15normal_iteratorINSA_7pointerIiNSA_11hip_rocprim3tagENSA_11use_defaultESG_EEEEPS6_SJ_NS0_5tupleIJPiSJ_EEENSK_IJSJ_SJ_EEES6_PlJ7is_evenIiEEEE10hipError_tPvRmT3_T4_T5_T6_T7_T9_mT8_P12ihipStream_tbDpT10_ENKUlT_T0_E_clISt17integral_constantIbLb1EES1A_EEDaS15_S16_EUlS15_E_NS1_11comp_targetILNS1_3genE0ELNS1_11target_archE4294967295ELNS1_3gpuE0ELNS1_3repE0EEENS1_30default_config_static_selectorELNS0_4arch9wavefront6targetE1EEEvT1_,comdat
.Lfunc_end96:
	.size	_ZN7rocprim17ROCPRIM_400000_NS6detail17trampoline_kernelINS0_14default_configENS1_25partition_config_selectorILNS1_17partition_subalgoE3EiNS0_10empty_typeEbEEZZNS1_14partition_implILS5_3ELb0ES3_jN6thrust23THRUST_200600_302600_NS6detail15normal_iteratorINSA_7pointerIiNSA_11hip_rocprim3tagENSA_11use_defaultESG_EEEEPS6_SJ_NS0_5tupleIJPiSJ_EEENSK_IJSJ_SJ_EEES6_PlJ7is_evenIiEEEE10hipError_tPvRmT3_T4_T5_T6_T7_T9_mT8_P12ihipStream_tbDpT10_ENKUlT_T0_E_clISt17integral_constantIbLb1EES1A_EEDaS15_S16_EUlS15_E_NS1_11comp_targetILNS1_3genE0ELNS1_11target_archE4294967295ELNS1_3gpuE0ELNS1_3repE0EEENS1_30default_config_static_selectorELNS0_4arch9wavefront6targetE1EEEvT1_, .Lfunc_end96-_ZN7rocprim17ROCPRIM_400000_NS6detail17trampoline_kernelINS0_14default_configENS1_25partition_config_selectorILNS1_17partition_subalgoE3EiNS0_10empty_typeEbEEZZNS1_14partition_implILS5_3ELb0ES3_jN6thrust23THRUST_200600_302600_NS6detail15normal_iteratorINSA_7pointerIiNSA_11hip_rocprim3tagENSA_11use_defaultESG_EEEEPS6_SJ_NS0_5tupleIJPiSJ_EEENSK_IJSJ_SJ_EEES6_PlJ7is_evenIiEEEE10hipError_tPvRmT3_T4_T5_T6_T7_T9_mT8_P12ihipStream_tbDpT10_ENKUlT_T0_E_clISt17integral_constantIbLb1EES1A_EEDaS15_S16_EUlS15_E_NS1_11comp_targetILNS1_3genE0ELNS1_11target_archE4294967295ELNS1_3gpuE0ELNS1_3repE0EEENS1_30default_config_static_selectorELNS0_4arch9wavefront6targetE1EEEvT1_
                                        ; -- End function
	.section	.AMDGPU.csdata,"",@progbits
; Kernel info:
; codeLenInByte = 0
; NumSgprs: 6
; NumVgprs: 0
; NumAgprs: 0
; TotalNumVgprs: 0
; ScratchSize: 0
; MemoryBound: 0
; FloatMode: 240
; IeeeMode: 1
; LDSByteSize: 0 bytes/workgroup (compile time only)
; SGPRBlocks: 0
; VGPRBlocks: 0
; NumSGPRsForWavesPerEU: 6
; NumVGPRsForWavesPerEU: 1
; AccumOffset: 4
; Occupancy: 8
; WaveLimiterHint : 0
; COMPUTE_PGM_RSRC2:SCRATCH_EN: 0
; COMPUTE_PGM_RSRC2:USER_SGPR: 2
; COMPUTE_PGM_RSRC2:TRAP_HANDLER: 0
; COMPUTE_PGM_RSRC2:TGID_X_EN: 1
; COMPUTE_PGM_RSRC2:TGID_Y_EN: 0
; COMPUTE_PGM_RSRC2:TGID_Z_EN: 0
; COMPUTE_PGM_RSRC2:TIDIG_COMP_CNT: 0
; COMPUTE_PGM_RSRC3_GFX90A:ACCUM_OFFSET: 0
; COMPUTE_PGM_RSRC3_GFX90A:TG_SPLIT: 0
	.section	.text._ZN7rocprim17ROCPRIM_400000_NS6detail17trampoline_kernelINS0_14default_configENS1_25partition_config_selectorILNS1_17partition_subalgoE3EiNS0_10empty_typeEbEEZZNS1_14partition_implILS5_3ELb0ES3_jN6thrust23THRUST_200600_302600_NS6detail15normal_iteratorINSA_7pointerIiNSA_11hip_rocprim3tagENSA_11use_defaultESG_EEEEPS6_SJ_NS0_5tupleIJPiSJ_EEENSK_IJSJ_SJ_EEES6_PlJ7is_evenIiEEEE10hipError_tPvRmT3_T4_T5_T6_T7_T9_mT8_P12ihipStream_tbDpT10_ENKUlT_T0_E_clISt17integral_constantIbLb1EES1A_EEDaS15_S16_EUlS15_E_NS1_11comp_targetILNS1_3genE5ELNS1_11target_archE942ELNS1_3gpuE9ELNS1_3repE0EEENS1_30default_config_static_selectorELNS0_4arch9wavefront6targetE1EEEvT1_,"axG",@progbits,_ZN7rocprim17ROCPRIM_400000_NS6detail17trampoline_kernelINS0_14default_configENS1_25partition_config_selectorILNS1_17partition_subalgoE3EiNS0_10empty_typeEbEEZZNS1_14partition_implILS5_3ELb0ES3_jN6thrust23THRUST_200600_302600_NS6detail15normal_iteratorINSA_7pointerIiNSA_11hip_rocprim3tagENSA_11use_defaultESG_EEEEPS6_SJ_NS0_5tupleIJPiSJ_EEENSK_IJSJ_SJ_EEES6_PlJ7is_evenIiEEEE10hipError_tPvRmT3_T4_T5_T6_T7_T9_mT8_P12ihipStream_tbDpT10_ENKUlT_T0_E_clISt17integral_constantIbLb1EES1A_EEDaS15_S16_EUlS15_E_NS1_11comp_targetILNS1_3genE5ELNS1_11target_archE942ELNS1_3gpuE9ELNS1_3repE0EEENS1_30default_config_static_selectorELNS0_4arch9wavefront6targetE1EEEvT1_,comdat
	.protected	_ZN7rocprim17ROCPRIM_400000_NS6detail17trampoline_kernelINS0_14default_configENS1_25partition_config_selectorILNS1_17partition_subalgoE3EiNS0_10empty_typeEbEEZZNS1_14partition_implILS5_3ELb0ES3_jN6thrust23THRUST_200600_302600_NS6detail15normal_iteratorINSA_7pointerIiNSA_11hip_rocprim3tagENSA_11use_defaultESG_EEEEPS6_SJ_NS0_5tupleIJPiSJ_EEENSK_IJSJ_SJ_EEES6_PlJ7is_evenIiEEEE10hipError_tPvRmT3_T4_T5_T6_T7_T9_mT8_P12ihipStream_tbDpT10_ENKUlT_T0_E_clISt17integral_constantIbLb1EES1A_EEDaS15_S16_EUlS15_E_NS1_11comp_targetILNS1_3genE5ELNS1_11target_archE942ELNS1_3gpuE9ELNS1_3repE0EEENS1_30default_config_static_selectorELNS0_4arch9wavefront6targetE1EEEvT1_ ; -- Begin function _ZN7rocprim17ROCPRIM_400000_NS6detail17trampoline_kernelINS0_14default_configENS1_25partition_config_selectorILNS1_17partition_subalgoE3EiNS0_10empty_typeEbEEZZNS1_14partition_implILS5_3ELb0ES3_jN6thrust23THRUST_200600_302600_NS6detail15normal_iteratorINSA_7pointerIiNSA_11hip_rocprim3tagENSA_11use_defaultESG_EEEEPS6_SJ_NS0_5tupleIJPiSJ_EEENSK_IJSJ_SJ_EEES6_PlJ7is_evenIiEEEE10hipError_tPvRmT3_T4_T5_T6_T7_T9_mT8_P12ihipStream_tbDpT10_ENKUlT_T0_E_clISt17integral_constantIbLb1EES1A_EEDaS15_S16_EUlS15_E_NS1_11comp_targetILNS1_3genE5ELNS1_11target_archE942ELNS1_3gpuE9ELNS1_3repE0EEENS1_30default_config_static_selectorELNS0_4arch9wavefront6targetE1EEEvT1_
	.globl	_ZN7rocprim17ROCPRIM_400000_NS6detail17trampoline_kernelINS0_14default_configENS1_25partition_config_selectorILNS1_17partition_subalgoE3EiNS0_10empty_typeEbEEZZNS1_14partition_implILS5_3ELb0ES3_jN6thrust23THRUST_200600_302600_NS6detail15normal_iteratorINSA_7pointerIiNSA_11hip_rocprim3tagENSA_11use_defaultESG_EEEEPS6_SJ_NS0_5tupleIJPiSJ_EEENSK_IJSJ_SJ_EEES6_PlJ7is_evenIiEEEE10hipError_tPvRmT3_T4_T5_T6_T7_T9_mT8_P12ihipStream_tbDpT10_ENKUlT_T0_E_clISt17integral_constantIbLb1EES1A_EEDaS15_S16_EUlS15_E_NS1_11comp_targetILNS1_3genE5ELNS1_11target_archE942ELNS1_3gpuE9ELNS1_3repE0EEENS1_30default_config_static_selectorELNS0_4arch9wavefront6targetE1EEEvT1_
	.p2align	8
	.type	_ZN7rocprim17ROCPRIM_400000_NS6detail17trampoline_kernelINS0_14default_configENS1_25partition_config_selectorILNS1_17partition_subalgoE3EiNS0_10empty_typeEbEEZZNS1_14partition_implILS5_3ELb0ES3_jN6thrust23THRUST_200600_302600_NS6detail15normal_iteratorINSA_7pointerIiNSA_11hip_rocprim3tagENSA_11use_defaultESG_EEEEPS6_SJ_NS0_5tupleIJPiSJ_EEENSK_IJSJ_SJ_EEES6_PlJ7is_evenIiEEEE10hipError_tPvRmT3_T4_T5_T6_T7_T9_mT8_P12ihipStream_tbDpT10_ENKUlT_T0_E_clISt17integral_constantIbLb1EES1A_EEDaS15_S16_EUlS15_E_NS1_11comp_targetILNS1_3genE5ELNS1_11target_archE942ELNS1_3gpuE9ELNS1_3repE0EEENS1_30default_config_static_selectorELNS0_4arch9wavefront6targetE1EEEvT1_,@function
_ZN7rocprim17ROCPRIM_400000_NS6detail17trampoline_kernelINS0_14default_configENS1_25partition_config_selectorILNS1_17partition_subalgoE3EiNS0_10empty_typeEbEEZZNS1_14partition_implILS5_3ELb0ES3_jN6thrust23THRUST_200600_302600_NS6detail15normal_iteratorINSA_7pointerIiNSA_11hip_rocprim3tagENSA_11use_defaultESG_EEEEPS6_SJ_NS0_5tupleIJPiSJ_EEENSK_IJSJ_SJ_EEES6_PlJ7is_evenIiEEEE10hipError_tPvRmT3_T4_T5_T6_T7_T9_mT8_P12ihipStream_tbDpT10_ENKUlT_T0_E_clISt17integral_constantIbLb1EES1A_EEDaS15_S16_EUlS15_E_NS1_11comp_targetILNS1_3genE5ELNS1_11target_archE942ELNS1_3gpuE9ELNS1_3repE0EEENS1_30default_config_static_selectorELNS0_4arch9wavefront6targetE1EEEvT1_: ; @_ZN7rocprim17ROCPRIM_400000_NS6detail17trampoline_kernelINS0_14default_configENS1_25partition_config_selectorILNS1_17partition_subalgoE3EiNS0_10empty_typeEbEEZZNS1_14partition_implILS5_3ELb0ES3_jN6thrust23THRUST_200600_302600_NS6detail15normal_iteratorINSA_7pointerIiNSA_11hip_rocprim3tagENSA_11use_defaultESG_EEEEPS6_SJ_NS0_5tupleIJPiSJ_EEENSK_IJSJ_SJ_EEES6_PlJ7is_evenIiEEEE10hipError_tPvRmT3_T4_T5_T6_T7_T9_mT8_P12ihipStream_tbDpT10_ENKUlT_T0_E_clISt17integral_constantIbLb1EES1A_EEDaS15_S16_EUlS15_E_NS1_11comp_targetILNS1_3genE5ELNS1_11target_archE942ELNS1_3gpuE9ELNS1_3repE0EEENS1_30default_config_static_selectorELNS0_4arch9wavefront6targetE1EEEvT1_
; %bb.0:
	s_load_dwordx2 s[22:23], s[0:1], 0x28
	s_load_dwordx4 s[24:27], s[0:1], 0x48
	s_load_dwordx2 s[34:35], s[0:1], 0x58
	s_load_dwordx2 s[36:37], s[0:1], 0x68
	v_cmp_eq_u32_e64 s[20:21], 0, v0
	s_and_saveexec_b64 s[2:3], s[20:21]
	s_cbranch_execz .LBB97_4
; %bb.1:
	s_mov_b64 s[6:7], exec
	v_mbcnt_lo_u32_b32 v1, s6, 0
	v_mbcnt_hi_u32_b32 v1, s7, v1
	v_cmp_eq_u32_e32 vcc, 0, v1
                                        ; implicit-def: $vgpr2
	s_and_saveexec_b64 s[4:5], vcc
	s_cbranch_execz .LBB97_3
; %bb.2:
	s_load_dwordx2 s[8:9], s[0:1], 0x78
	s_bcnt1_i32_b64 s6, s[6:7]
	v_mov_b32_e32 v2, 0
	v_mov_b32_e32 v3, s6
	s_waitcnt lgkmcnt(0)
	global_atomic_add v2, v2, v3, s[8:9] sc0
.LBB97_3:
	s_or_b64 exec, exec, s[4:5]
	s_waitcnt vmcnt(0)
	v_readfirstlane_b32 s4, v2
	v_mov_b32_e32 v2, 0
	s_nop 0
	v_add_u32_e32 v1, s4, v1
	ds_write_b32 v2, v1
.LBB97_4:
	s_or_b64 exec, exec, s[2:3]
	v_mov_b32_e32 v19, 0
	s_load_dwordx4 s[28:31], s[0:1], 0x8
	s_load_dword s2, s[0:1], 0x70
	s_waitcnt lgkmcnt(0)
	s_barrier
	ds_read_b32 v1, v19
	s_waitcnt lgkmcnt(0)
	s_barrier
	global_load_dwordx2 v[20:21], v19, s[26:27]
	s_lshl_b64 s[0:1], s[30:31], 2
	s_add_u32 s0, s28, s0
	s_addc_u32 s1, s29, s1
	s_movk_i32 s3, 0x1e00
	s_add_i32 s4, s2, -1
	s_mulk_i32 s2, 0x1e00
	v_mul_lo_u32 v18, v1, s3
	s_add_i32 s3, s2, s30
	s_sub_i32 s33, s34, s3
	s_addk_i32 s33, 0x1e00
	s_add_u32 s2, s30, s2
	v_readfirstlane_b32 s40, v1
	s_addc_u32 s3, s31, 0
	s_cmp_eq_u32 s40, s4
	v_mov_b64_e32 v[2:3], s[34:35]
	s_cselect_b64 s[26:27], -1, 0
	s_cmp_lg_u32 s40, s4
	v_cmp_lt_u64_e32 vcc, s[2:3], v[2:3]
	s_cselect_b64 s[2:3], -1, 0
	s_or_b64 s[4:5], vcc, s[2:3]
	v_lshlrev_b64 v[2:3], 2, v[18:19]
	v_lshl_add_u64 v[24:25], s[0:1], 0, v[2:3]
	s_mov_b64 s[0:1], -1
	s_and_b64 vcc, exec, s[4:5]
	v_lshlrev_b32_e32 v22, 2, v0
	s_cbranch_vccz .LBB97_6
; %bb.5:
	v_mov_b32_e32 v23, v19
	v_lshl_add_u64 v[2:3], v[24:25], 0, v[22:23]
	v_add_co_u32_e32 v4, vcc, 0x1000, v2
	s_mov_b64 s[0:1], 0
	s_nop 0
	v_addc_co_u32_e32 v5, vcc, 0, v3, vcc
	v_add_co_u32_e32 v6, vcc, 0x2000, v2
	s_nop 1
	v_addc_co_u32_e32 v7, vcc, 0, v3, vcc
	v_add_co_u32_e32 v8, vcc, 0x3000, v2
	s_nop 1
	v_addc_co_u32_e32 v9, vcc, 0, v3, vcc
	flat_load_dword v1, v[2:3]
	flat_load_dword v10, v[2:3] offset:2048
	flat_load_dword v11, v[4:5]
	flat_load_dword v12, v[4:5] offset:2048
	;; [unrolled: 2-line block ×4, first 2 shown]
	v_add_co_u32_e32 v4, vcc, 0x4000, v2
	s_nop 1
	v_addc_co_u32_e32 v5, vcc, 0, v3, vcc
	v_add_co_u32_e32 v6, vcc, 0x5000, v2
	s_nop 1
	v_addc_co_u32_e32 v7, vcc, 0, v3, vcc
	;; [unrolled: 3-line block ×4, first 2 shown]
	flat_load_dword v17, v[4:5]
	flat_load_dword v23, v[4:5] offset:2048
	flat_load_dword v26, v[6:7]
	flat_load_dword v27, v[6:7] offset:2048
	;; [unrolled: 2-line block ×3, first 2 shown]
	flat_load_dword v30, v[2:3]
	s_waitcnt vmcnt(0) lgkmcnt(0)
	ds_write2st64_b32 v22, v1, v10 offset1:8
	ds_write2st64_b32 v22, v11, v12 offset0:16 offset1:24
	ds_write2st64_b32 v22, v13, v14 offset0:32 offset1:40
	;; [unrolled: 1-line block ×6, first 2 shown]
	ds_write_b32 v22, v30 offset:28672
	s_waitcnt lgkmcnt(0)
	s_barrier
.LBB97_6:
	s_andn2_b64 vcc, exec, s[0:1]
	v_cmp_gt_u32_e64 s[0:1], s33, v0
	s_cbranch_vccnz .LBB97_38
; %bb.7:
                                        ; implicit-def: $vgpr2_vgpr3_vgpr4_vgpr5_vgpr6_vgpr7_vgpr8_vgpr9_vgpr10_vgpr11_vgpr12_vgpr13_vgpr14_vgpr15_vgpr16_vgpr17
	s_and_saveexec_b64 s[2:3], s[0:1]
	s_cbranch_execz .LBB97_9
; %bb.8:
	v_mov_b32_e32 v23, 0
	v_lshl_add_u64 v[2:3], v[24:25], 0, v[22:23]
	flat_load_dword v2, v[2:3]
.LBB97_9:
	s_or_b64 exec, exec, s[2:3]
	v_or_b32_e32 v1, 0x200, v0
	v_cmp_gt_u32_e32 vcc, s33, v1
	s_and_saveexec_b64 s[0:1], vcc
	s_cbranch_execz .LBB97_11
; %bb.10:
	v_mov_b32_e32 v23, 0
	v_lshl_add_u64 v[26:27], v[24:25], 0, v[22:23]
	flat_load_dword v3, v[26:27] offset:2048
.LBB97_11:
	s_or_b64 exec, exec, s[0:1]
	v_or_b32_e32 v1, 0x400, v0
	v_cmp_gt_u32_e32 vcc, s33, v1
	s_and_saveexec_b64 s[0:1], vcc
	s_cbranch_execz .LBB97_13
; %bb.12:
	v_lshlrev_b32_e32 v26, 2, v1
	v_mov_b32_e32 v27, 0
	v_lshl_add_u64 v[26:27], v[24:25], 0, v[26:27]
	flat_load_dword v4, v[26:27]
.LBB97_13:
	s_or_b64 exec, exec, s[0:1]
	v_or_b32_e32 v1, 0x600, v0
	v_cmp_gt_u32_e32 vcc, s33, v1
	s_and_saveexec_b64 s[0:1], vcc
	s_cbranch_execz .LBB97_15
; %bb.14:
	v_lshlrev_b32_e32 v26, 2, v1
	v_mov_b32_e32 v27, 0
	v_lshl_add_u64 v[26:27], v[24:25], 0, v[26:27]
	flat_load_dword v5, v[26:27]
.LBB97_15:
	;; [unrolled: 11-line block ×13, first 2 shown]
	s_or_b64 exec, exec, s[0:1]
	s_waitcnt vmcnt(0) lgkmcnt(0)
	ds_write2st64_b32 v22, v2, v3 offset1:8
	ds_write2st64_b32 v22, v4, v5 offset0:16 offset1:24
	ds_write2st64_b32 v22, v6, v7 offset0:32 offset1:40
	;; [unrolled: 1-line block ×6, first 2 shown]
	ds_write_b32 v22, v16 offset:28672
	s_waitcnt lgkmcnt(0)
	s_barrier
.LBB97_38:
	v_mul_u32_u24_e32 v41, 15, v0
	v_lshlrev_b32_e32 v1, 2, v41
	ds_read2_b32 v[38:39], v1 offset1:1
	ds_read2_b32 v[36:37], v1 offset0:2 offset1:3
	ds_read2_b32 v[34:35], v1 offset0:4 offset1:5
	;; [unrolled: 1-line block ×6, first 2 shown]
	ds_read_b32 v1, v1 offset:56
	v_cndmask_b32_e64 v2, 0, 1, s[4:5]
	v_cmp_ne_u32_e64 s[2:3], 1, v2
	s_andn2_b64 vcc, exec, s[4:5]
	s_waitcnt lgkmcnt(7)
	v_xor_b32_e32 v16, -1, v38
	v_xor_b32_e32 v15, -1, v39
	s_waitcnt lgkmcnt(6)
	v_xor_b32_e32 v14, -1, v36
	v_xor_b32_e32 v13, -1, v37
	;; [unrolled: 3-line block ×7, first 2 shown]
	s_waitcnt lgkmcnt(0)
	v_xor_b32_e32 v2, -1, v1
	s_barrier
	s_cbranch_vccnz .LBB97_40
; %bb.39:
	v_and_b32_e32 v54, 1, v16
	v_and_b32_e32 v53, 1, v15
	;; [unrolled: 1-line block ×15, first 2 shown]
	s_cbranch_execz .LBB97_41
	s_branch .LBB97_42
.LBB97_40:
                                        ; implicit-def: $vgpr23
                                        ; implicit-def: $vgpr40
                                        ; implicit-def: $vgpr42
                                        ; implicit-def: $vgpr43
                                        ; implicit-def: $vgpr44
                                        ; implicit-def: $vgpr45
                                        ; implicit-def: $vgpr46
                                        ; implicit-def: $vgpr47
                                        ; implicit-def: $vgpr48
                                        ; implicit-def: $vgpr54
                                        ; implicit-def: $vgpr53
                                        ; implicit-def: $vgpr52
                                        ; implicit-def: $vgpr51
                                        ; implicit-def: $vgpr50
                                        ; implicit-def: $vgpr49
.LBB97_41:
	v_add_u32_e32 v48, 1, v41
	v_cmp_gt_u32_e32 vcc, s33, v41
	v_add_u32_e32 v17, 2, v41
	v_add_u32_e32 v47, 3, v41
	v_cndmask_b32_e64 v49, 0, 1, vcc
	v_cmp_gt_u32_e32 vcc, s33, v48
	v_and_b32_e32 v54, v49, v16
	v_add_u32_e32 v23, 4, v41
	v_cndmask_b32_e64 v16, 0, 1, vcc
	v_cmp_gt_u32_e32 vcc, s33, v17
	v_and_b32_e32 v53, v16, v15
	;; [unrolled: 4-line block ×12, first 2 shown]
	s_nop 0
	v_cndmask_b32_e64 v5, 0, 1, vcc
	v_cmp_gt_u32_e32 vcc, s33, v56
	v_and_b32_e32 v42, v5, v4
	s_nop 0
	v_cndmask_b32_e64 v4, 0, 1, vcc
	v_cmp_gt_u32_e32 vcc, s33, v55
	v_and_b32_e32 v40, v4, v3
	s_nop 0
	v_cndmask_b32_e64 v3, 0, 1, vcc
	v_and_b32_e32 v23, v3, v2
.LBB97_42:
	v_and_b32_e32 v59, 0xff, v51
	v_and_b32_e32 v60, 0xff, v50
	;; [unrolled: 1-line block ×5, first 2 shown]
	v_add3_u32 v3, v60, v61, v59
	v_and_b32_e32 v55, 0xff, v54
	v_and_b32_e32 v62, 0xff, v48
	v_add3_u32 v3, v3, v58, v57
	v_and_b32_e32 v63, 0xff, v47
	v_and_b32_e32 v64, 0xff, v46
	;; [unrolled: 3-line block ×5, first 2 shown]
	v_add3_u32 v3, v3, v67, v68
	v_add3_u32 v72, v3, v69, v2
	v_mbcnt_lo_u32_b32 v2, -1, 0
	v_mbcnt_hi_u32_b32 v70, -1, v2
	v_and_b32_e32 v2, 15, v70
	v_cmp_eq_u32_e64 s[16:17], 0, v2
	v_cmp_lt_u32_e64 s[14:15], 1, v2
	v_cmp_lt_u32_e64 s[12:13], 3, v2
	;; [unrolled: 1-line block ×3, first 2 shown]
	v_and_b32_e32 v2, 16, v70
	v_cmp_eq_u32_e64 s[8:9], 0, v2
	v_or_b32_e32 v2, 63, v0
	s_cmp_lg_u32 s40, 0
	v_cmp_lt_u32_e64 s[4:5], 31, v70
	v_lshrrev_b32_e32 v71, 6, v0
	v_cmp_eq_u32_e64 s[6:7], v2, v0
	s_cbranch_scc0 .LBB97_73
; %bb.43:
	v_mov_b32_dpp v2, v72 row_shr:1 row_mask:0xf bank_mask:0xf
	v_cndmask_b32_e64 v2, v2, 0, s[16:17]
	v_add_u32_e32 v2, v2, v72
	s_nop 1
	v_mov_b32_dpp v3, v2 row_shr:2 row_mask:0xf bank_mask:0xf
	v_cndmask_b32_e64 v3, 0, v3, s[14:15]
	v_add_u32_e32 v2, v2, v3
	s_nop 1
	v_mov_b32_dpp v3, v2 row_shr:4 row_mask:0xf bank_mask:0xf
	v_cndmask_b32_e64 v3, 0, v3, s[12:13]
	v_add_u32_e32 v2, v2, v3
	s_nop 1
	v_mov_b32_dpp v3, v2 row_shr:8 row_mask:0xf bank_mask:0xf
	v_cndmask_b32_e64 v3, 0, v3, s[10:11]
	v_add_u32_e32 v2, v2, v3
	s_nop 1
	v_mov_b32_dpp v3, v2 row_bcast:15 row_mask:0xf bank_mask:0xf
	v_cndmask_b32_e64 v3, v3, 0, s[8:9]
	v_add_u32_e32 v2, v2, v3
	s_nop 1
	v_mov_b32_dpp v3, v2 row_bcast:31 row_mask:0xf bank_mask:0xf
	v_cndmask_b32_e64 v3, 0, v3, s[4:5]
	v_add_u32_e32 v2, v2, v3
	s_and_saveexec_b64 s[0:1], s[6:7]
	s_cbranch_execz .LBB97_45
; %bb.44:
	v_lshlrev_b32_e32 v3, 2, v71
	ds_write_b32 v3, v2
.LBB97_45:
	s_or_b64 exec, exec, s[0:1]
	v_cmp_gt_u32_e32 vcc, 8, v0
	s_waitcnt lgkmcnt(0)
	s_barrier
	s_and_saveexec_b64 s[0:1], vcc
	s_cbranch_execz .LBB97_47
; %bb.46:
	ds_read_b32 v3, v22
	v_and_b32_e32 v4, 7, v70
	v_cmp_ne_u32_e32 vcc, 0, v4
	s_waitcnt lgkmcnt(0)
	v_mov_b32_dpp v5, v3 row_shr:1 row_mask:0xf bank_mask:0xf
	v_cndmask_b32_e32 v5, 0, v5, vcc
	v_add_u32_e32 v3, v5, v3
	v_cmp_lt_u32_e32 vcc, 1, v4
	s_nop 0
	v_mov_b32_dpp v5, v3 row_shr:2 row_mask:0xf bank_mask:0xf
	v_cndmask_b32_e32 v5, 0, v5, vcc
	v_add_u32_e32 v3, v3, v5
	v_cmp_lt_u32_e32 vcc, 3, v4
	s_nop 0
	v_mov_b32_dpp v5, v3 row_shr:4 row_mask:0xf bank_mask:0xf
	v_cndmask_b32_e32 v4, 0, v5, vcc
	v_add_u32_e32 v3, v3, v4
	ds_write_b32 v22, v3
.LBB97_47:
	s_or_b64 exec, exec, s[0:1]
	v_cmp_gt_u32_e32 vcc, 64, v0
	v_cmp_lt_u32_e64 s[0:1], 63, v0
	s_waitcnt lgkmcnt(0)
	s_barrier
	s_waitcnt lgkmcnt(0)
                                        ; implicit-def: $vgpr12
	s_and_saveexec_b64 s[18:19], s[0:1]
	s_cbranch_execz .LBB97_49
; %bb.48:
	v_lshl_add_u32 v3, v71, 2, -4
	ds_read_b32 v12, v3
	s_waitcnt lgkmcnt(0)
	v_add_u32_e32 v2, v12, v2
.LBB97_49:
	s_or_b64 exec, exec, s[18:19]
	v_add_u32_e32 v3, -1, v70
	v_and_b32_e32 v4, 64, v70
	v_cmp_lt_i32_e64 s[0:1], v3, v4
	v_cmp_eq_u32_e64 s[18:19], 0, v70
	s_nop 0
	v_cndmask_b32_e64 v3, v3, v70, s[0:1]
	v_lshlrev_b32_e32 v3, 2, v3
	ds_bpermute_b32 v13, v3, v2
	s_and_saveexec_b64 s[0:1], vcc
	s_cbranch_execz .LBB97_72
; %bb.50:
	v_mov_b32_e32 v11, 0
	ds_read_b32 v2, v11 offset:28
	s_and_saveexec_b64 s[28:29], s[18:19]
	s_cbranch_execz .LBB97_52
; %bb.51:
	s_add_i32 s38, s40, 64
	s_mov_b32 s39, 0
	s_lshl_b64 s[38:39], s[38:39], 3
	s_add_u32 s38, s36, s38
	v_mov_b32_e32 v3, 1
	s_addc_u32 s39, s37, s39
	s_waitcnt lgkmcnt(0)
	global_store_dwordx2 v11, v[2:3], s[38:39] sc1
.LBB97_52:
	s_or_b64 exec, exec, s[28:29]
	v_xad_u32 v4, v70, -1, s40
	v_add_u32_e32 v10, 64, v4
	v_lshl_add_u64 v[6:7], v[10:11], 3, s[36:37]
	global_load_dwordx2 v[8:9], v[6:7], off sc1
	s_waitcnt vmcnt(0)
	v_cmp_eq_u16_sdwa s[38:39], v9, v11 src0_sel:BYTE_0 src1_sel:DWORD
	s_and_saveexec_b64 s[28:29], s[38:39]
	s_cbranch_execz .LBB97_58
; %bb.53:
	s_mov_b32 s41, 1
	s_mov_b64 s[38:39], 0
	v_mov_b32_e32 v3, 0
.LBB97_54:                              ; =>This Loop Header: Depth=1
                                        ;     Child Loop BB97_55 Depth 2
	s_max_u32 s42, s41, 1
.LBB97_55:                              ;   Parent Loop BB97_54 Depth=1
                                        ; =>  This Inner Loop Header: Depth=2
	s_add_i32 s42, s42, -1
	s_cmp_eq_u32 s42, 0
	s_sleep 1
	s_cbranch_scc0 .LBB97_55
; %bb.56:                               ;   in Loop: Header=BB97_54 Depth=1
	global_load_dwordx2 v[8:9], v[6:7], off sc1
	s_cmp_lt_u32 s41, 32
	s_cselect_b64 s[42:43], -1, 0
	s_cmp_lg_u64 s[42:43], 0
	s_addc_u32 s41, s41, 0
	s_waitcnt vmcnt(0)
	v_cmp_ne_u16_sdwa s[42:43], v9, v3 src0_sel:BYTE_0 src1_sel:DWORD
	s_or_b64 s[38:39], s[42:43], s[38:39]
	s_andn2_b64 exec, exec, s[38:39]
	s_cbranch_execnz .LBB97_54
; %bb.57:
	s_or_b64 exec, exec, s[38:39]
.LBB97_58:
	s_or_b64 exec, exec, s[28:29]
	v_and_b32_e32 v15, 63, v70
	v_mov_b32_e32 v14, 2
	v_cmp_ne_u32_e32 vcc, 63, v15
	v_cmp_eq_u16_sdwa s[28:29], v9, v14 src0_sel:BYTE_0 src1_sel:DWORD
	v_lshlrev_b64 v[6:7], v70, -1
	v_addc_co_u32_e32 v10, vcc, 0, v70, vcc
	v_and_b32_e32 v3, s29, v7
	v_lshlrev_b32_e32 v16, 2, v10
	v_or_b32_e32 v3, 0x80000000, v3
	ds_bpermute_b32 v10, v16, v8
	v_and_b32_e32 v5, s28, v6
	v_ffbl_b32_e32 v3, v3
	v_add_u32_e32 v3, 32, v3
	v_ffbl_b32_e32 v5, v5
	v_min_u32_e32 v3, v5, v3
	v_cmp_lt_u32_e32 vcc, v15, v3
	v_add_u32_e32 v24, 2, v15
	v_add_u32_e32 v56, 4, v15
	s_waitcnt lgkmcnt(0)
	v_cndmask_b32_e32 v5, 0, v10, vcc
	v_cmp_gt_u32_e32 vcc, 62, v15
	v_add_u32_e32 v5, v5, v8
	v_add_u32_e32 v74, 8, v15
	v_cndmask_b32_e64 v8, 0, 1, vcc
	v_lshlrev_b32_e32 v8, 1, v8
	v_add_lshl_u32 v17, v8, v70, 2
	ds_bpermute_b32 v8, v17, v5
	v_cmp_le_u32_e32 vcc, v24, v3
	v_add_u32_e32 v76, 16, v15
	v_add_u32_e32 v78, 32, v15
	s_waitcnt lgkmcnt(0)
	v_cndmask_b32_e32 v8, 0, v8, vcc
	v_cmp_gt_u32_e32 vcc, 60, v15
	v_add_u32_e32 v5, v5, v8
	s_nop 0
	v_cndmask_b32_e64 v8, 0, 1, vcc
	v_lshlrev_b32_e32 v8, 2, v8
	v_add_lshl_u32 v25, v8, v70, 2
	ds_bpermute_b32 v8, v25, v5
	v_cmp_le_u32_e32 vcc, v56, v3
	s_waitcnt lgkmcnt(0)
	s_nop 0
	v_cndmask_b32_e32 v8, 0, v8, vcc
	v_cmp_gt_u32_e32 vcc, 56, v15
	v_add_u32_e32 v5, v5, v8
	s_nop 0
	v_cndmask_b32_e64 v8, 0, 1, vcc
	v_lshlrev_b32_e32 v8, 3, v8
	v_add_lshl_u32 v73, v8, v70, 2
	ds_bpermute_b32 v8, v73, v5
	v_cmp_le_u32_e32 vcc, v74, v3
	s_waitcnt lgkmcnt(0)
	s_nop 0
	;; [unrolled: 11-line block ×4, first 2 shown]
	v_cndmask_b32_e32 v3, 0, v8, vcc
	v_add_u32_e32 v8, v5, v3
	v_mov_b32_e32 v5, 0
	s_branch .LBB97_60
.LBB97_59:                              ;   in Loop: Header=BB97_60 Depth=1
	s_or_b64 exec, exec, s[28:29]
	v_cmp_eq_u16_sdwa s[28:29], v9, v14 src0_sel:BYTE_0 src1_sel:DWORD
	ds_bpermute_b32 v79, v16, v8
	v_subrev_u32_e32 v4, 64, v4
	v_and_b32_e32 v10, s29, v7
	v_or_b32_e32 v10, 0x80000000, v10
	v_and_b32_e32 v11, s28, v6
	v_ffbl_b32_e32 v10, v10
	v_add_u32_e32 v10, 32, v10
	v_ffbl_b32_e32 v11, v11
	v_min_u32_e32 v10, v11, v10
	v_cmp_lt_u32_e32 vcc, v15, v10
	s_waitcnt lgkmcnt(0)
	s_nop 0
	v_cndmask_b32_e32 v11, 0, v79, vcc
	v_add_u32_e32 v8, v11, v8
	ds_bpermute_b32 v11, v17, v8
	v_cmp_le_u32_e32 vcc, v24, v10
	s_waitcnt lgkmcnt(0)
	s_nop 0
	v_cndmask_b32_e32 v11, 0, v11, vcc
	v_add_u32_e32 v8, v8, v11
	ds_bpermute_b32 v11, v25, v8
	v_cmp_le_u32_e32 vcc, v56, v10
	s_waitcnt lgkmcnt(0)
	s_nop 0
	v_cndmask_b32_e32 v11, 0, v11, vcc
	v_add_u32_e32 v8, v8, v11
	ds_bpermute_b32 v11, v73, v8
	v_cmp_le_u32_e32 vcc, v74, v10
	s_waitcnt lgkmcnt(0)
	s_nop 0
	v_cndmask_b32_e32 v11, 0, v11, vcc
	v_add_u32_e32 v8, v8, v11
	ds_bpermute_b32 v11, v75, v8
	v_cmp_le_u32_e32 vcc, v76, v10
	s_waitcnt lgkmcnt(0)
	s_nop 0
	v_cndmask_b32_e32 v11, 0, v11, vcc
	v_add_u32_e32 v8, v8, v11
	ds_bpermute_b32 v11, v77, v8
	v_cmp_le_u32_e32 vcc, v78, v10
	s_waitcnt lgkmcnt(0)
	s_nop 0
	v_cndmask_b32_e32 v10, 0, v11, vcc
	v_add3_u32 v8, v10, v3, v8
.LBB97_60:                              ; =>This Loop Header: Depth=1
                                        ;     Child Loop BB97_63 Depth 2
                                        ;       Child Loop BB97_64 Depth 3
	v_cmp_ne_u16_sdwa s[28:29], v9, v14 src0_sel:BYTE_0 src1_sel:DWORD
	s_nop 1
	v_cndmask_b32_e64 v3, 0, 1, s[28:29]
	;;#ASMSTART
	;;#ASMEND
	s_nop 0
	v_cmp_ne_u32_e32 vcc, 0, v3
	s_cmp_lg_u64 vcc, exec
	v_mov_b32_e32 v3, v8
	s_cbranch_scc1 .LBB97_67
; %bb.61:                               ;   in Loop: Header=BB97_60 Depth=1
	v_lshl_add_u64 v[10:11], v[4:5], 3, s[36:37]
	global_load_dwordx2 v[8:9], v[10:11], off sc1
	s_waitcnt vmcnt(0)
	v_cmp_eq_u16_sdwa s[38:39], v9, v5 src0_sel:BYTE_0 src1_sel:DWORD
	s_and_saveexec_b64 s[28:29], s[38:39]
	s_cbranch_execz .LBB97_59
; %bb.62:                               ;   in Loop: Header=BB97_60 Depth=1
	s_mov_b32 s41, 1
	s_mov_b64 s[38:39], 0
.LBB97_63:                              ;   Parent Loop BB97_60 Depth=1
                                        ; =>  This Loop Header: Depth=2
                                        ;       Child Loop BB97_64 Depth 3
	s_max_u32 s42, s41, 1
.LBB97_64:                              ;   Parent Loop BB97_60 Depth=1
                                        ;     Parent Loop BB97_63 Depth=2
                                        ; =>    This Inner Loop Header: Depth=3
	s_add_i32 s42, s42, -1
	s_cmp_eq_u32 s42, 0
	s_sleep 1
	s_cbranch_scc0 .LBB97_64
; %bb.65:                               ;   in Loop: Header=BB97_63 Depth=2
	global_load_dwordx2 v[8:9], v[10:11], off sc1
	s_cmp_lt_u32 s41, 32
	s_cselect_b64 s[42:43], -1, 0
	s_cmp_lg_u64 s[42:43], 0
	s_addc_u32 s41, s41, 0
	s_waitcnt vmcnt(0)
	v_cmp_ne_u16_sdwa s[42:43], v9, v5 src0_sel:BYTE_0 src1_sel:DWORD
	s_or_b64 s[38:39], s[42:43], s[38:39]
	s_andn2_b64 exec, exec, s[38:39]
	s_cbranch_execnz .LBB97_63
; %bb.66:                               ;   in Loop: Header=BB97_60 Depth=1
	s_or_b64 exec, exec, s[38:39]
	s_branch .LBB97_59
.LBB97_67:                              ;   in Loop: Header=BB97_60 Depth=1
                                        ; implicit-def: $vgpr8
                                        ; implicit-def: $vgpr9
	s_cbranch_execz .LBB97_60
; %bb.68:
	s_and_saveexec_b64 s[28:29], s[18:19]
	s_cbranch_execz .LBB97_70
; %bb.69:
	s_add_i32 s38, s40, 64
	s_mov_b32 s39, 0
	s_lshl_b64 s[38:39], s[38:39], 3
	s_add_u32 s38, s36, s38
	v_add_u32_e32 v4, v3, v2
	v_mov_b32_e32 v5, 2
	s_addc_u32 s39, s37, s39
	v_mov_b32_e32 v6, 0
	global_store_dwordx2 v6, v[4:5], s[38:39] sc1
	ds_write_b64 v6, v[2:3] offset:30720
.LBB97_70:
	s_or_b64 exec, exec, s[28:29]
	s_and_b64 exec, exec, s[20:21]
	s_cbranch_execz .LBB97_72
; %bb.71:
	v_mov_b32_e32 v2, 0
	ds_write_b32 v2, v3 offset:28
.LBB97_72:
	s_or_b64 exec, exec, s[0:1]
	v_mov_b32_e32 v14, 0
	s_waitcnt lgkmcnt(0)
	s_barrier
	ds_read_b32 v2, v14 offset:28
	v_cndmask_b32_e64 v3, v13, v12, s[18:19]
	v_cndmask_b32_e64 v3, v3, 0, s[20:21]
	s_waitcnt lgkmcnt(0)
	s_barrier
	v_add_u32_e32 v2, v2, v3
	v_add_u32_e32 v3, v2, v55
	;; [unrolled: 1-line block ×10, first 2 shown]
	ds_read_b64 v[24:25], v14 offset:30720
	v_add_u32_e32 v12, v11, v65
	v_add_u32_e32 v13, v12, v66
	;; [unrolled: 1-line block ×5, first 2 shown]
	s_waitcnt lgkmcnt(0)
	v_mov_b32_e32 v56, v25
	s_branch .LBB97_83
.LBB97_73:
                                        ; implicit-def: $vgpr56
                                        ; implicit-def: $vgpr24
                                        ; implicit-def: $vgpr2_vgpr3_vgpr4_vgpr5_vgpr6_vgpr7_vgpr8_vgpr9_vgpr10_vgpr11_vgpr12_vgpr13_vgpr14_vgpr15_vgpr16_vgpr17
	s_cbranch_execz .LBB97_83
; %bb.74:
	s_nop 0
	v_mov_b32_dpp v2, v72 row_shr:1 row_mask:0xf bank_mask:0xf
	v_cndmask_b32_e64 v2, v2, 0, s[16:17]
	v_add_u32_e32 v2, v2, v72
	s_nop 1
	v_mov_b32_dpp v3, v2 row_shr:2 row_mask:0xf bank_mask:0xf
	v_cndmask_b32_e64 v3, 0, v3, s[14:15]
	v_add_u32_e32 v2, v2, v3
	;; [unrolled: 4-line block ×4, first 2 shown]
	s_nop 1
	v_mov_b32_dpp v3, v2 row_bcast:15 row_mask:0xf bank_mask:0xf
	v_cndmask_b32_e64 v3, v3, 0, s[8:9]
	v_add_u32_e32 v2, v2, v3
	s_nop 1
	v_mov_b32_dpp v3, v2 row_bcast:31 row_mask:0xf bank_mask:0xf
	v_cndmask_b32_e64 v3, 0, v3, s[4:5]
	v_add_u32_e32 v2, v2, v3
	s_and_saveexec_b64 s[0:1], s[6:7]
	s_cbranch_execz .LBB97_76
; %bb.75:
	v_lshlrev_b32_e32 v3, 2, v71
	ds_write_b32 v3, v2
.LBB97_76:
	s_or_b64 exec, exec, s[0:1]
	v_cmp_gt_u32_e32 vcc, 8, v0
	s_waitcnt lgkmcnt(0)
	s_barrier
	s_and_saveexec_b64 s[0:1], vcc
	s_cbranch_execz .LBB97_78
; %bb.77:
	ds_read_b32 v3, v22
	v_and_b32_e32 v4, 7, v70
	v_cmp_ne_u32_e32 vcc, 0, v4
	s_waitcnt lgkmcnt(0)
	v_mov_b32_dpp v5, v3 row_shr:1 row_mask:0xf bank_mask:0xf
	v_cndmask_b32_e32 v5, 0, v5, vcc
	v_add_u32_e32 v3, v5, v3
	v_cmp_lt_u32_e32 vcc, 1, v4
	s_nop 0
	v_mov_b32_dpp v5, v3 row_shr:2 row_mask:0xf bank_mask:0xf
	v_cndmask_b32_e32 v5, 0, v5, vcc
	v_add_u32_e32 v3, v3, v5
	v_cmp_lt_u32_e32 vcc, 3, v4
	s_nop 0
	v_mov_b32_dpp v5, v3 row_shr:4 row_mask:0xf bank_mask:0xf
	v_cndmask_b32_e32 v4, 0, v5, vcc
	v_add_u32_e32 v3, v3, v4
	ds_write_b32 v22, v3
.LBB97_78:
	s_or_b64 exec, exec, s[0:1]
	v_cmp_lt_u32_e32 vcc, 63, v0
	v_mov_b32_e32 v4, 0
	v_mov_b32_e32 v3, 0
	s_waitcnt lgkmcnt(0)
	s_barrier
	s_and_saveexec_b64 s[0:1], vcc
	s_cbranch_execz .LBB97_80
; %bb.79:
	v_lshl_add_u32 v3, v71, 2, -4
	ds_read_b32 v3, v3
.LBB97_80:
	s_or_b64 exec, exec, s[0:1]
	v_add_u32_e32 v5, -1, v70
	v_and_b32_e32 v6, 64, v70
	v_cmp_lt_i32_e32 vcc, v5, v6
	s_waitcnt lgkmcnt(0)
	v_add_u32_e32 v2, v3, v2
	ds_read_b32 v24, v4 offset:28
	v_cndmask_b32_e32 v5, v5, v70, vcc
	v_lshlrev_b32_e32 v5, 2, v5
	ds_bpermute_b32 v2, v5, v2
	s_and_saveexec_b64 s[0:1], s[20:21]
	s_cbranch_execz .LBB97_82
; %bb.81:
	v_mov_b32_e32 v4, 0
	v_mov_b32_e32 v25, 2
	s_waitcnt lgkmcnt(1)
	global_store_dwordx2 v4, v[24:25], s[36:37] offset:512 sc1
.LBB97_82:
	s_or_b64 exec, exec, s[0:1]
	v_cmp_eq_u32_e32 vcc, 0, v70
	v_mov_b32_e32 v56, 0
	s_waitcnt lgkmcnt(0)
	v_cndmask_b32_e32 v2, v2, v3, vcc
	v_cndmask_b32_e64 v2, v2, 0, s[20:21]
	v_add_u32_e32 v3, v2, v55
	v_add_u32_e32 v4, v3, v57
	;; [unrolled: 1-line block ×14, first 2 shown]
	s_barrier
.LBB97_83:
	v_add_u32_e32 v17, v24, v41
	v_sub_u32_e32 v2, v2, v56
	v_and_b32_e32 v41, 1, v54
	v_sub_u32_e32 v25, v17, v2
	v_cmp_eq_u32_e32 vcc, 1, v41
	v_or_b32_e32 v54, 0x200, v0
	s_nop 0
	v_cndmask_b32_e32 v2, v25, v2, vcc
	v_lshlrev_b32_e32 v2, 2, v2
	ds_write_b32 v2, v38
	v_sub_u32_e32 v2, v3, v56
	v_sub_u32_e32 v3, v17, v2
	v_and_b32_e32 v25, 1, v53
	v_add_u32_e32 v3, 1, v3
	v_cmp_eq_u32_e32 vcc, 1, v25
	v_or_b32_e32 v38, 0xc00, v0
	s_nop 0
	v_cndmask_b32_e32 v2, v3, v2, vcc
	v_lshlrev_b32_e32 v2, 2, v2
	ds_write_b32 v2, v39
	v_sub_u32_e32 v2, v4, v56
	v_sub_u32_e32 v3, v17, v2
	v_and_b32_e32 v4, 1, v52
	v_add_u32_e32 v3, 2, v3
	v_cmp_eq_u32_e32 vcc, 1, v4
	v_and_b32_e32 v4, 1, v51
	s_nop 0
	v_cndmask_b32_e32 v2, v3, v2, vcc
	v_lshlrev_b32_e32 v2, 2, v2
	ds_write_b32 v2, v36
	v_sub_u32_e32 v2, v5, v56
	v_sub_u32_e32 v3, v17, v2
	v_add_u32_e32 v3, 3, v3
	v_cmp_eq_u32_e32 vcc, 1, v4
	v_and_b32_e32 v4, 1, v50
	v_or_b32_e32 v50, 0x400, v0
	v_cndmask_b32_e32 v2, v3, v2, vcc
	v_lshlrev_b32_e32 v2, 2, v2
	ds_write_b32 v2, v37
	v_sub_u32_e32 v2, v6, v56
	v_sub_u32_e32 v3, v17, v2
	v_add_u32_e32 v3, 4, v3
	v_cmp_eq_u32_e32 vcc, 1, v4
	v_and_b32_e32 v4, 1, v49
	v_or_b32_e32 v36, 0xe00, v0
	v_cndmask_b32_e32 v2, v3, v2, vcc
	v_lshlrev_b32_e32 v2, 2, v2
	ds_write_b32 v2, v34
	v_sub_u32_e32 v2, v7, v56
	v_sub_u32_e32 v3, v17, v2
	v_add_u32_e32 v3, 5, v3
	v_cmp_eq_u32_e32 vcc, 1, v4
	v_and_b32_e32 v4, 1, v48
	v_lshl_add_u64 v[6:7], s[30:31], 0, v[18:19]
	v_cndmask_b32_e32 v2, v3, v2, vcc
	v_lshlrev_b32_e32 v2, 2, v2
	ds_write_b32 v2, v35
	v_sub_u32_e32 v2, v8, v56
	v_sub_u32_e32 v3, v17, v2
	v_add_u32_e32 v3, 6, v3
	v_cmp_eq_u32_e32 vcc, 1, v4
	v_and_b32_e32 v4, 1, v47
	v_mov_b32_e32 v18, s35
	v_cndmask_b32_e32 v2, v3, v2, vcc
	v_lshlrev_b32_e32 v2, 2, v2
	ds_write_b32 v2, v32
	v_sub_u32_e32 v2, v9, v56
	v_sub_u32_e32 v3, v17, v2
	v_add_u32_e32 v3, 7, v3
	v_cmp_eq_u32_e32 vcc, 1, v4
	v_and_b32_e32 v4, 1, v46
	v_or_b32_e32 v48, 0x600, v0
	v_cndmask_b32_e32 v2, v3, v2, vcc
	v_lshlrev_b32_e32 v2, 2, v2
	ds_write_b32 v2, v33
	v_sub_u32_e32 v2, v10, v56
	v_sub_u32_e32 v3, v17, v2
	v_add_u32_e32 v3, 8, v3
	v_cmp_eq_u32_e32 vcc, 1, v4
	v_and_b32_e32 v4, 1, v45
	v_or_b32_e32 v32, 0x1000, v0
	;; [unrolled: 9-line block ×7, first 2 shown]
	v_cndmask_b32_e32 v2, v3, v2, vcc
	v_lshlrev_b32_e32 v2, 2, v2
	ds_write_b32 v2, v27
	v_sub_u32_e32 v2, v16, v56
	v_sub_u32_e32 v3, v17, v2
	v_add_u32_e32 v3, 14, v3
	v_cmp_eq_u32_e32 vcc, 1, v4
	v_or_b32_e32 v16, 0x1600, v0
	v_or_b32_e32 v10, 0x1a00, v0
	v_cndmask_b32_e32 v2, v3, v2, vcc
	v_lshlrev_b32_e32 v2, 2, v2
	ds_write_b32 v2, v1
	s_waitcnt lgkmcnt(0)
	s_barrier
	ds_read2st64_b32 v[52:53], v22 offset1:8
	ds_read2st64_b32 v[46:47], v22 offset0:16 offset1:24
	ds_read2st64_b32 v[40:41], v22 offset0:32 offset1:40
	;; [unrolled: 1-line block ×6, first 2 shown]
	ds_read_b32 v22, v22 offset:28672
	v_mov_b32_e32 v1, 0
	v_sub_co_u32_e32 v6, vcc, s34, v6
	v_mov_b32_e32 v57, v1
	v_mov_b32_e32 v25, v1
	v_subb_co_u32_e32 v7, vcc, v18, v7, vcc
	s_waitcnt vmcnt(0)
	v_lshl_add_u64 v[2:3], v[20:21], 0, v[56:57]
	v_lshl_add_u64 v[6:7], v[6:7], 0, v[24:25]
	v_mov_b32_e32 v55, v1
	v_mov_b32_e32 v51, v1
	;; [unrolled: 1-line block ×13, first 2 shown]
	v_or_b32_e32 v4, 0x1c00, v0
	v_mov_b32_e32 v5, v1
	s_and_b64 vcc, exec, s[2:3]
	v_lshl_add_u64 v[6:7], v[6:7], 0, v[2:3]
	s_cbranch_vccnz .LBB97_148
; %bb.84:
	v_cmp_ge_u32_e32 vcc, v0, v24
                                        ; implicit-def: $vgpr18_vgpr19
	s_and_saveexec_b64 s[0:1], vcc
	s_xor_b64 s[0:1], exec, s[0:1]
; %bb.85:
	v_not_b32_e32 v18, v0
	v_ashrrev_i32_e32 v19, 31, v18
	v_lshl_add_u64 v[18:19], v[6:7], 0, v[18:19]
; %bb.86:
	s_andn2_saveexec_b64 s[0:1], s[0:1]
; %bb.87:
	v_lshl_add_u64 v[18:19], v[2:3], 0, v[0:1]
; %bb.88:
	s_or_b64 exec, exec, s[0:1]
	v_lshl_add_u64 v[18:19], v[18:19], 2, s[22:23]
	v_cmp_ge_u32_e32 vcc, v54, v24
	s_waitcnt lgkmcnt(7)
	global_store_dword v[18:19], v52, off
                                        ; implicit-def: $vgpr18_vgpr19
	s_and_saveexec_b64 s[0:1], vcc
	s_xor_b64 s[0:1], exec, s[0:1]
; %bb.89:
	v_xor_b32_e32 v18, 0xfffffdff, v0
	v_ashrrev_i32_e32 v19, 31, v18
	v_lshl_add_u64 v[18:19], v[6:7], 0, v[18:19]
; %bb.90:
	s_andn2_saveexec_b64 s[0:1], s[0:1]
; %bb.91:
	v_lshl_add_u64 v[18:19], v[2:3], 0, v[54:55]
; %bb.92:
	s_or_b64 exec, exec, s[0:1]
	v_lshl_add_u64 v[18:19], v[18:19], 2, s[22:23]
	v_cmp_ge_u32_e32 vcc, v50, v24
	global_store_dword v[18:19], v53, off
                                        ; implicit-def: $vgpr18_vgpr19
	s_and_saveexec_b64 s[0:1], vcc
	s_xor_b64 s[0:1], exec, s[0:1]
; %bb.93:
	v_xor_b32_e32 v18, 0xfffffbff, v0
	v_ashrrev_i32_e32 v19, 31, v18
	v_lshl_add_u64 v[18:19], v[6:7], 0, v[18:19]
; %bb.94:
	s_andn2_saveexec_b64 s[0:1], s[0:1]
; %bb.95:
	v_lshl_add_u64 v[18:19], v[2:3], 0, v[50:51]
; %bb.96:
	s_or_b64 exec, exec, s[0:1]
	v_lshl_add_u64 v[18:19], v[18:19], 2, s[22:23]
	v_cmp_ge_u32_e32 vcc, v48, v24
	s_waitcnt lgkmcnt(6)
	global_store_dword v[18:19], v46, off
                                        ; implicit-def: $vgpr18_vgpr19
	s_and_saveexec_b64 s[0:1], vcc
	s_xor_b64 s[0:1], exec, s[0:1]
; %bb.97:
	v_xor_b32_e32 v18, 0xfffff9ff, v0
	v_ashrrev_i32_e32 v19, 31, v18
	v_lshl_add_u64 v[18:19], v[6:7], 0, v[18:19]
; %bb.98:
	s_andn2_saveexec_b64 s[0:1], s[0:1]
; %bb.99:
	v_lshl_add_u64 v[18:19], v[2:3], 0, v[48:49]
; %bb.100:
	s_or_b64 exec, exec, s[0:1]
	v_lshl_add_u64 v[18:19], v[18:19], 2, s[22:23]
	v_cmp_ge_u32_e32 vcc, v44, v24
	global_store_dword v[18:19], v47, off
                                        ; implicit-def: $vgpr18_vgpr19
	s_and_saveexec_b64 s[0:1], vcc
	s_xor_b64 s[0:1], exec, s[0:1]
; %bb.101:
	v_xor_b32_e32 v18, 0xfffff7ff, v0
	;; [unrolled: 33-line block ×7, first 2 shown]
	v_ashrrev_i32_e32 v19, 31, v18
	v_lshl_add_u64 v[18:19], v[6:7], 0, v[18:19]
; %bb.142:
	s_andn2_saveexec_b64 s[0:1], s[0:1]
; %bb.143:
	v_lshl_add_u64 v[18:19], v[2:3], 0, v[4:5]
; %bb.144:
	s_or_b64 exec, exec, s[0:1]
	s_mov_b64 s[0:1], -1
.LBB97_145:
	s_and_saveexec_b64 s[2:3], s[0:1]
	s_cbranch_execz .LBB97_240
.LBB97_146:
	v_lshl_add_u64 v[0:1], v[18:19], 2, s[22:23]
	s_waitcnt lgkmcnt(0)
	global_store_dword v[0:1], v22, off
	s_or_b64 exec, exec, s[2:3]
	s_and_b64 s[0:1], s[20:21], s[26:27]
	s_and_saveexec_b64 s[2:3], s[0:1]
	s_cbranch_execnz .LBB97_241
.LBB97_147:
	s_endpgm
.LBB97_148:
	s_mov_b64 s[0:1], 0
                                        ; implicit-def: $vgpr18_vgpr19
	s_cbranch_execz .LBB97_145
; %bb.149:
	v_cmp_gt_u32_e32 vcc, s33, v0
	s_and_saveexec_b64 s[2:3], vcc
	s_cbranch_execz .LBB97_191
; %bb.150:
	v_cmp_ge_u32_e32 vcc, v0, v24
                                        ; implicit-def: $vgpr18_vgpr19
	s_and_saveexec_b64 s[4:5], vcc
	s_xor_b64 s[4:5], exec, s[4:5]
; %bb.151:
	v_not_b32_e32 v18, v0
	v_ashrrev_i32_e32 v19, 31, v18
	v_lshl_add_u64 v[18:19], v[6:7], 0, v[18:19]
; %bb.152:
	s_andn2_saveexec_b64 s[4:5], s[4:5]
; %bb.153:
	v_lshl_add_u64 v[18:19], v[2:3], 0, v[0:1]
; %bb.154:
	s_or_b64 exec, exec, s[4:5]
	v_lshl_add_u64 v[18:19], v[18:19], 2, s[22:23]
	s_waitcnt lgkmcnt(7)
	global_store_dword v[18:19], v52, off
	s_or_b64 exec, exec, s[2:3]
	v_cmp_gt_u32_e32 vcc, s33, v54
	s_and_saveexec_b64 s[2:3], vcc
	s_cbranch_execnz .LBB97_192
.LBB97_155:
	s_or_b64 exec, exec, s[2:3]
	v_cmp_gt_u32_e32 vcc, s33, v50
	s_and_saveexec_b64 s[2:3], vcc
	s_cbranch_execz .LBB97_197
.LBB97_156:
	v_cmp_ge_u32_e32 vcc, v50, v24
                                        ; implicit-def: $vgpr18_vgpr19
	s_and_saveexec_b64 s[4:5], vcc
	s_xor_b64 s[4:5], exec, s[4:5]
; %bb.157:
	v_xor_b32_e32 v18, 0xfffffbff, v0
	v_ashrrev_i32_e32 v19, 31, v18
	v_lshl_add_u64 v[18:19], v[6:7], 0, v[18:19]
                                        ; implicit-def: $vgpr50_vgpr51
; %bb.158:
	s_andn2_saveexec_b64 s[4:5], s[4:5]
; %bb.159:
	v_lshl_add_u64 v[18:19], v[2:3], 0, v[50:51]
; %bb.160:
	s_or_b64 exec, exec, s[4:5]
	v_lshl_add_u64 v[18:19], v[18:19], 2, s[22:23]
	s_waitcnt lgkmcnt(6)
	global_store_dword v[18:19], v46, off
	s_or_b64 exec, exec, s[2:3]
	v_cmp_gt_u32_e32 vcc, s33, v48
	s_and_saveexec_b64 s[2:3], vcc
	s_cbranch_execnz .LBB97_198
.LBB97_161:
	s_or_b64 exec, exec, s[2:3]
	v_cmp_gt_u32_e32 vcc, s33, v44
	s_and_saveexec_b64 s[2:3], vcc
	s_cbranch_execz .LBB97_203
.LBB97_162:
	v_cmp_ge_u32_e32 vcc, v44, v24
                                        ; implicit-def: $vgpr18_vgpr19
	s_and_saveexec_b64 s[4:5], vcc
	s_xor_b64 s[4:5], exec, s[4:5]
; %bb.163:
	v_xor_b32_e32 v18, 0xfffff7ff, v0
	v_ashrrev_i32_e32 v19, 31, v18
	v_lshl_add_u64 v[18:19], v[6:7], 0, v[18:19]
                                        ; implicit-def: $vgpr44_vgpr45
; %bb.164:
	s_andn2_saveexec_b64 s[4:5], s[4:5]
; %bb.165:
	v_lshl_add_u64 v[18:19], v[2:3], 0, v[44:45]
; %bb.166:
	s_or_b64 exec, exec, s[4:5]
	v_lshl_add_u64 v[18:19], v[18:19], 2, s[22:23]
	s_waitcnt lgkmcnt(5)
	global_store_dword v[18:19], v40, off
	s_or_b64 exec, exec, s[2:3]
	v_cmp_gt_u32_e32 vcc, s33, v42
	s_and_saveexec_b64 s[2:3], vcc
	s_cbranch_execnz .LBB97_204
.LBB97_167:
	s_or_b64 exec, exec, s[2:3]
	v_cmp_gt_u32_e32 vcc, s33, v38
	s_and_saveexec_b64 s[2:3], vcc
	s_cbranch_execz .LBB97_209
.LBB97_168:
	v_cmp_ge_u32_e32 vcc, v38, v24
                                        ; implicit-def: $vgpr18_vgpr19
	s_and_saveexec_b64 s[4:5], vcc
	s_xor_b64 s[4:5], exec, s[4:5]
; %bb.169:
	v_xor_b32_e32 v18, 0xfffff3ff, v0
	v_ashrrev_i32_e32 v19, 31, v18
	v_lshl_add_u64 v[18:19], v[6:7], 0, v[18:19]
                                        ; implicit-def: $vgpr38_vgpr39
; %bb.170:
	s_andn2_saveexec_b64 s[4:5], s[4:5]
; %bb.171:
	v_lshl_add_u64 v[18:19], v[2:3], 0, v[38:39]
; %bb.172:
	s_or_b64 exec, exec, s[4:5]
	v_lshl_add_u64 v[18:19], v[18:19], 2, s[22:23]
	s_waitcnt lgkmcnt(4)
	global_store_dword v[18:19], v34, off
	s_or_b64 exec, exec, s[2:3]
	v_cmp_gt_u32_e32 vcc, s33, v36
	s_and_saveexec_b64 s[2:3], vcc
	s_cbranch_execnz .LBB97_210
.LBB97_173:
	s_or_b64 exec, exec, s[2:3]
	v_cmp_gt_u32_e32 vcc, s33, v32
	s_and_saveexec_b64 s[2:3], vcc
	s_cbranch_execz .LBB97_215
.LBB97_174:
	v_cmp_ge_u32_e32 vcc, v32, v24
                                        ; implicit-def: $vgpr18_vgpr19
	s_and_saveexec_b64 s[4:5], vcc
	s_xor_b64 s[4:5], exec, s[4:5]
; %bb.175:
	v_xor_b32_e32 v18, 0xffffefff, v0
	v_ashrrev_i32_e32 v19, 31, v18
	v_lshl_add_u64 v[18:19], v[6:7], 0, v[18:19]
                                        ; implicit-def: $vgpr32_vgpr33
; %bb.176:
	s_andn2_saveexec_b64 s[4:5], s[4:5]
; %bb.177:
	v_lshl_add_u64 v[18:19], v[2:3], 0, v[32:33]
; %bb.178:
	s_or_b64 exec, exec, s[4:5]
	v_lshl_add_u64 v[18:19], v[18:19], 2, s[22:23]
	s_waitcnt lgkmcnt(3)
	global_store_dword v[18:19], v28, off
	s_or_b64 exec, exec, s[2:3]
	v_cmp_gt_u32_e32 vcc, s33, v30
	s_and_saveexec_b64 s[2:3], vcc
	s_cbranch_execnz .LBB97_216
.LBB97_179:
	s_or_b64 exec, exec, s[2:3]
	v_cmp_gt_u32_e32 vcc, s33, v26
	s_and_saveexec_b64 s[2:3], vcc
	s_cbranch_execz .LBB97_221
.LBB97_180:
	v_cmp_ge_u32_e32 vcc, v26, v24
                                        ; implicit-def: $vgpr18_vgpr19
	s_and_saveexec_b64 s[4:5], vcc
	s_xor_b64 s[4:5], exec, s[4:5]
; %bb.181:
	v_xor_b32_e32 v18, 0xffffebff, v0
	v_ashrrev_i32_e32 v19, 31, v18
	v_lshl_add_u64 v[18:19], v[6:7], 0, v[18:19]
                                        ; implicit-def: $vgpr26_vgpr27
; %bb.182:
	s_andn2_saveexec_b64 s[4:5], s[4:5]
; %bb.183:
	v_lshl_add_u64 v[18:19], v[2:3], 0, v[26:27]
; %bb.184:
	s_or_b64 exec, exec, s[4:5]
	v_lshl_add_u64 v[18:19], v[18:19], 2, s[22:23]
	s_waitcnt lgkmcnt(2)
	global_store_dword v[18:19], v14, off
	s_or_b64 exec, exec, s[2:3]
	v_cmp_gt_u32_e32 vcc, s33, v16
	s_and_saveexec_b64 s[2:3], vcc
	s_cbranch_execnz .LBB97_222
.LBB97_185:
	s_or_b64 exec, exec, s[2:3]
	v_cmp_gt_u32_e32 vcc, s33, v12
	s_and_saveexec_b64 s[2:3], vcc
	s_cbranch_execz .LBB97_227
.LBB97_186:
	v_cmp_ge_u32_e32 vcc, v12, v24
                                        ; implicit-def: $vgpr14_vgpr15
	s_and_saveexec_b64 s[4:5], vcc
	s_xor_b64 s[4:5], exec, s[4:5]
	s_cbranch_execz .LBB97_188
; %bb.187:
	v_xor_b32_e32 v12, 0xffffe7ff, v0
	v_ashrrev_i32_e32 v13, 31, v12
	s_waitcnt lgkmcnt(2)
	v_lshl_add_u64 v[14:15], v[6:7], 0, v[12:13]
                                        ; implicit-def: $vgpr12_vgpr13
.LBB97_188:
	s_andn2_saveexec_b64 s[4:5], s[4:5]
	s_cbranch_execz .LBB97_190
; %bb.189:
	s_waitcnt lgkmcnt(2)
	v_lshl_add_u64 v[14:15], v[2:3], 0, v[12:13]
.LBB97_190:
	s_or_b64 exec, exec, s[4:5]
	s_waitcnt lgkmcnt(2)
	v_lshl_add_u64 v[12:13], v[14:15], 2, s[22:23]
	s_waitcnt lgkmcnt(1)
	global_store_dword v[12:13], v8, off
	s_or_b64 exec, exec, s[2:3]
	v_cmp_gt_u32_e32 vcc, s33, v10
	s_and_saveexec_b64 s[2:3], vcc
	s_cbranch_execz .LBB97_233
	s_branch .LBB97_228
.LBB97_191:
	s_or_b64 exec, exec, s[2:3]
	v_cmp_gt_u32_e32 vcc, s33, v54
	s_and_saveexec_b64 s[2:3], vcc
	s_cbranch_execz .LBB97_155
.LBB97_192:
	v_cmp_ge_u32_e32 vcc, v54, v24
                                        ; implicit-def: $vgpr18_vgpr19
	s_and_saveexec_b64 s[4:5], vcc
	s_xor_b64 s[4:5], exec, s[4:5]
; %bb.193:
	v_xor_b32_e32 v18, 0xfffffdff, v0
	v_ashrrev_i32_e32 v19, 31, v18
	v_lshl_add_u64 v[18:19], v[6:7], 0, v[18:19]
                                        ; implicit-def: $vgpr54_vgpr55
; %bb.194:
	s_andn2_saveexec_b64 s[4:5], s[4:5]
; %bb.195:
	v_lshl_add_u64 v[18:19], v[2:3], 0, v[54:55]
; %bb.196:
	s_or_b64 exec, exec, s[4:5]
	v_lshl_add_u64 v[18:19], v[18:19], 2, s[22:23]
	s_waitcnt lgkmcnt(7)
	global_store_dword v[18:19], v53, off
	s_or_b64 exec, exec, s[2:3]
	v_cmp_gt_u32_e32 vcc, s33, v50
	s_and_saveexec_b64 s[2:3], vcc
	s_cbranch_execnz .LBB97_156
.LBB97_197:
	s_or_b64 exec, exec, s[2:3]
	v_cmp_gt_u32_e32 vcc, s33, v48
	s_and_saveexec_b64 s[2:3], vcc
	s_cbranch_execz .LBB97_161
.LBB97_198:
	v_cmp_ge_u32_e32 vcc, v48, v24
                                        ; implicit-def: $vgpr18_vgpr19
	s_and_saveexec_b64 s[4:5], vcc
	s_xor_b64 s[4:5], exec, s[4:5]
; %bb.199:
	v_xor_b32_e32 v18, 0xfffff9ff, v0
	v_ashrrev_i32_e32 v19, 31, v18
	v_lshl_add_u64 v[18:19], v[6:7], 0, v[18:19]
                                        ; implicit-def: $vgpr48_vgpr49
; %bb.200:
	s_andn2_saveexec_b64 s[4:5], s[4:5]
; %bb.201:
	v_lshl_add_u64 v[18:19], v[2:3], 0, v[48:49]
; %bb.202:
	s_or_b64 exec, exec, s[4:5]
	v_lshl_add_u64 v[18:19], v[18:19], 2, s[22:23]
	s_waitcnt lgkmcnt(6)
	global_store_dword v[18:19], v47, off
	s_or_b64 exec, exec, s[2:3]
	v_cmp_gt_u32_e32 vcc, s33, v44
	s_and_saveexec_b64 s[2:3], vcc
	s_cbranch_execnz .LBB97_162
.LBB97_203:
	s_or_b64 exec, exec, s[2:3]
	v_cmp_gt_u32_e32 vcc, s33, v42
	s_and_saveexec_b64 s[2:3], vcc
	s_cbranch_execz .LBB97_167
.LBB97_204:
	v_cmp_ge_u32_e32 vcc, v42, v24
                                        ; implicit-def: $vgpr18_vgpr19
	s_and_saveexec_b64 s[4:5], vcc
	s_xor_b64 s[4:5], exec, s[4:5]
; %bb.205:
	v_xor_b32_e32 v18, 0xfffff5ff, v0
	v_ashrrev_i32_e32 v19, 31, v18
	v_lshl_add_u64 v[18:19], v[6:7], 0, v[18:19]
                                        ; implicit-def: $vgpr42_vgpr43
; %bb.206:
	s_andn2_saveexec_b64 s[4:5], s[4:5]
; %bb.207:
	v_lshl_add_u64 v[18:19], v[2:3], 0, v[42:43]
; %bb.208:
	s_or_b64 exec, exec, s[4:5]
	v_lshl_add_u64 v[18:19], v[18:19], 2, s[22:23]
	s_waitcnt lgkmcnt(5)
	global_store_dword v[18:19], v41, off
	s_or_b64 exec, exec, s[2:3]
	v_cmp_gt_u32_e32 vcc, s33, v38
	s_and_saveexec_b64 s[2:3], vcc
	s_cbranch_execnz .LBB97_168
.LBB97_209:
	s_or_b64 exec, exec, s[2:3]
	v_cmp_gt_u32_e32 vcc, s33, v36
	s_and_saveexec_b64 s[2:3], vcc
	s_cbranch_execz .LBB97_173
.LBB97_210:
	v_cmp_ge_u32_e32 vcc, v36, v24
                                        ; implicit-def: $vgpr18_vgpr19
	s_and_saveexec_b64 s[4:5], vcc
	s_xor_b64 s[4:5], exec, s[4:5]
; %bb.211:
	v_xor_b32_e32 v18, 0xfffff1ff, v0
	v_ashrrev_i32_e32 v19, 31, v18
	v_lshl_add_u64 v[18:19], v[6:7], 0, v[18:19]
                                        ; implicit-def: $vgpr36_vgpr37
; %bb.212:
	s_andn2_saveexec_b64 s[4:5], s[4:5]
; %bb.213:
	v_lshl_add_u64 v[18:19], v[2:3], 0, v[36:37]
; %bb.214:
	s_or_b64 exec, exec, s[4:5]
	v_lshl_add_u64 v[18:19], v[18:19], 2, s[22:23]
	s_waitcnt lgkmcnt(4)
	global_store_dword v[18:19], v35, off
	s_or_b64 exec, exec, s[2:3]
	v_cmp_gt_u32_e32 vcc, s33, v32
	s_and_saveexec_b64 s[2:3], vcc
	s_cbranch_execnz .LBB97_174
.LBB97_215:
	s_or_b64 exec, exec, s[2:3]
	v_cmp_gt_u32_e32 vcc, s33, v30
	s_and_saveexec_b64 s[2:3], vcc
	s_cbranch_execz .LBB97_179
.LBB97_216:
	v_cmp_ge_u32_e32 vcc, v30, v24
                                        ; implicit-def: $vgpr18_vgpr19
	s_and_saveexec_b64 s[4:5], vcc
	s_xor_b64 s[4:5], exec, s[4:5]
; %bb.217:
	v_xor_b32_e32 v18, 0xffffedff, v0
	v_ashrrev_i32_e32 v19, 31, v18
	v_lshl_add_u64 v[18:19], v[6:7], 0, v[18:19]
                                        ; implicit-def: $vgpr30_vgpr31
; %bb.218:
	s_andn2_saveexec_b64 s[4:5], s[4:5]
; %bb.219:
	v_lshl_add_u64 v[18:19], v[2:3], 0, v[30:31]
; %bb.220:
	s_or_b64 exec, exec, s[4:5]
	v_lshl_add_u64 v[18:19], v[18:19], 2, s[22:23]
	s_waitcnt lgkmcnt(3)
	global_store_dword v[18:19], v29, off
	s_or_b64 exec, exec, s[2:3]
	v_cmp_gt_u32_e32 vcc, s33, v26
	s_and_saveexec_b64 s[2:3], vcc
	s_cbranch_execnz .LBB97_180
.LBB97_221:
	s_or_b64 exec, exec, s[2:3]
	v_cmp_gt_u32_e32 vcc, s33, v16
	s_and_saveexec_b64 s[2:3], vcc
	s_cbranch_execz .LBB97_185
.LBB97_222:
	v_cmp_ge_u32_e32 vcc, v16, v24
                                        ; implicit-def: $vgpr18_vgpr19
	s_and_saveexec_b64 s[4:5], vcc
	s_xor_b64 s[4:5], exec, s[4:5]
; %bb.223:
	v_xor_b32_e32 v16, 0xffffe9ff, v0
	v_ashrrev_i32_e32 v17, 31, v16
	v_lshl_add_u64 v[18:19], v[6:7], 0, v[16:17]
                                        ; implicit-def: $vgpr16_vgpr17
; %bb.224:
	s_andn2_saveexec_b64 s[4:5], s[4:5]
; %bb.225:
	v_lshl_add_u64 v[18:19], v[2:3], 0, v[16:17]
; %bb.226:
	s_or_b64 exec, exec, s[4:5]
	v_lshl_add_u64 v[16:17], v[18:19], 2, s[22:23]
	s_waitcnt lgkmcnt(2)
	global_store_dword v[16:17], v15, off
	s_or_b64 exec, exec, s[2:3]
	v_cmp_gt_u32_e32 vcc, s33, v12
	s_and_saveexec_b64 s[2:3], vcc
	s_cbranch_execnz .LBB97_186
.LBB97_227:
	s_or_b64 exec, exec, s[2:3]
	v_cmp_gt_u32_e32 vcc, s33, v10
	s_and_saveexec_b64 s[2:3], vcc
	s_cbranch_execz .LBB97_233
.LBB97_228:
	v_cmp_ge_u32_e32 vcc, v10, v24
                                        ; implicit-def: $vgpr12_vgpr13
	s_and_saveexec_b64 s[4:5], vcc
	s_xor_b64 s[4:5], exec, s[4:5]
; %bb.229:
	v_xor_b32_e32 v10, 0xffffe5ff, v0
	v_ashrrev_i32_e32 v11, 31, v10
	v_lshl_add_u64 v[12:13], v[6:7], 0, v[10:11]
                                        ; implicit-def: $vgpr10_vgpr11
; %bb.230:
	s_andn2_saveexec_b64 s[4:5], s[4:5]
; %bb.231:
	v_lshl_add_u64 v[12:13], v[2:3], 0, v[10:11]
; %bb.232:
	s_or_b64 exec, exec, s[4:5]
	v_lshl_add_u64 v[10:11], v[12:13], 2, s[22:23]
	s_waitcnt lgkmcnt(1)
	global_store_dword v[10:11], v9, off
.LBB97_233:
	s_or_b64 exec, exec, s[2:3]
	v_cmp_gt_u32_e32 vcc, s33, v4
                                        ; implicit-def: $vgpr18_vgpr19
	s_and_saveexec_b64 s[2:3], vcc
	s_cbranch_execz .LBB97_239
; %bb.234:
	v_cmp_ge_u32_e32 vcc, v4, v24
                                        ; implicit-def: $vgpr18_vgpr19
	s_and_saveexec_b64 s[4:5], vcc
	s_xor_b64 s[4:5], exec, s[4:5]
; %bb.235:
	v_xor_b32_e32 v0, 0xffffe3ff, v0
	v_ashrrev_i32_e32 v1, 31, v0
	v_lshl_add_u64 v[18:19], v[6:7], 0, v[0:1]
                                        ; implicit-def: $vgpr4_vgpr5
; %bb.236:
	s_andn2_saveexec_b64 s[4:5], s[4:5]
; %bb.237:
	v_lshl_add_u64 v[18:19], v[2:3], 0, v[4:5]
; %bb.238:
	s_or_b64 exec, exec, s[4:5]
	s_or_b64 s[0:1], s[0:1], exec
.LBB97_239:
	s_or_b64 exec, exec, s[2:3]
	s_and_saveexec_b64 s[2:3], s[0:1]
	s_cbranch_execnz .LBB97_146
.LBB97_240:
	s_or_b64 exec, exec, s[2:3]
	s_and_b64 s[0:1], s[20:21], s[26:27]
	s_and_saveexec_b64 s[2:3], s[0:1]
	s_cbranch_execz .LBB97_147
.LBB97_241:
	v_mov_b32_e32 v4, 0
	v_lshl_add_u64 v[0:1], v[2:3], 0, v[24:25]
	global_store_dwordx2 v4, v[0:1], s[24:25]
	s_endpgm
	.section	.rodata,"a",@progbits
	.p2align	6, 0x0
	.amdhsa_kernel _ZN7rocprim17ROCPRIM_400000_NS6detail17trampoline_kernelINS0_14default_configENS1_25partition_config_selectorILNS1_17partition_subalgoE3EiNS0_10empty_typeEbEEZZNS1_14partition_implILS5_3ELb0ES3_jN6thrust23THRUST_200600_302600_NS6detail15normal_iteratorINSA_7pointerIiNSA_11hip_rocprim3tagENSA_11use_defaultESG_EEEEPS6_SJ_NS0_5tupleIJPiSJ_EEENSK_IJSJ_SJ_EEES6_PlJ7is_evenIiEEEE10hipError_tPvRmT3_T4_T5_T6_T7_T9_mT8_P12ihipStream_tbDpT10_ENKUlT_T0_E_clISt17integral_constantIbLb1EES1A_EEDaS15_S16_EUlS15_E_NS1_11comp_targetILNS1_3genE5ELNS1_11target_archE942ELNS1_3gpuE9ELNS1_3repE0EEENS1_30default_config_static_selectorELNS0_4arch9wavefront6targetE1EEEvT1_
		.amdhsa_group_segment_fixed_size 30728
		.amdhsa_private_segment_fixed_size 0
		.amdhsa_kernarg_size 136
		.amdhsa_user_sgpr_count 2
		.amdhsa_user_sgpr_dispatch_ptr 0
		.amdhsa_user_sgpr_queue_ptr 0
		.amdhsa_user_sgpr_kernarg_segment_ptr 1
		.amdhsa_user_sgpr_dispatch_id 0
		.amdhsa_user_sgpr_kernarg_preload_length 0
		.amdhsa_user_sgpr_kernarg_preload_offset 0
		.amdhsa_user_sgpr_private_segment_size 0
		.amdhsa_uses_dynamic_stack 0
		.amdhsa_enable_private_segment 0
		.amdhsa_system_sgpr_workgroup_id_x 1
		.amdhsa_system_sgpr_workgroup_id_y 0
		.amdhsa_system_sgpr_workgroup_id_z 0
		.amdhsa_system_sgpr_workgroup_info 0
		.amdhsa_system_vgpr_workitem_id 0
		.amdhsa_next_free_vgpr 80
		.amdhsa_next_free_sgpr 44
		.amdhsa_accum_offset 80
		.amdhsa_reserve_vcc 1
		.amdhsa_float_round_mode_32 0
		.amdhsa_float_round_mode_16_64 0
		.amdhsa_float_denorm_mode_32 3
		.amdhsa_float_denorm_mode_16_64 3
		.amdhsa_dx10_clamp 1
		.amdhsa_ieee_mode 1
		.amdhsa_fp16_overflow 0
		.amdhsa_tg_split 0
		.amdhsa_exception_fp_ieee_invalid_op 0
		.amdhsa_exception_fp_denorm_src 0
		.amdhsa_exception_fp_ieee_div_zero 0
		.amdhsa_exception_fp_ieee_overflow 0
		.amdhsa_exception_fp_ieee_underflow 0
		.amdhsa_exception_fp_ieee_inexact 0
		.amdhsa_exception_int_div_zero 0
	.end_amdhsa_kernel
	.section	.text._ZN7rocprim17ROCPRIM_400000_NS6detail17trampoline_kernelINS0_14default_configENS1_25partition_config_selectorILNS1_17partition_subalgoE3EiNS0_10empty_typeEbEEZZNS1_14partition_implILS5_3ELb0ES3_jN6thrust23THRUST_200600_302600_NS6detail15normal_iteratorINSA_7pointerIiNSA_11hip_rocprim3tagENSA_11use_defaultESG_EEEEPS6_SJ_NS0_5tupleIJPiSJ_EEENSK_IJSJ_SJ_EEES6_PlJ7is_evenIiEEEE10hipError_tPvRmT3_T4_T5_T6_T7_T9_mT8_P12ihipStream_tbDpT10_ENKUlT_T0_E_clISt17integral_constantIbLb1EES1A_EEDaS15_S16_EUlS15_E_NS1_11comp_targetILNS1_3genE5ELNS1_11target_archE942ELNS1_3gpuE9ELNS1_3repE0EEENS1_30default_config_static_selectorELNS0_4arch9wavefront6targetE1EEEvT1_,"axG",@progbits,_ZN7rocprim17ROCPRIM_400000_NS6detail17trampoline_kernelINS0_14default_configENS1_25partition_config_selectorILNS1_17partition_subalgoE3EiNS0_10empty_typeEbEEZZNS1_14partition_implILS5_3ELb0ES3_jN6thrust23THRUST_200600_302600_NS6detail15normal_iteratorINSA_7pointerIiNSA_11hip_rocprim3tagENSA_11use_defaultESG_EEEEPS6_SJ_NS0_5tupleIJPiSJ_EEENSK_IJSJ_SJ_EEES6_PlJ7is_evenIiEEEE10hipError_tPvRmT3_T4_T5_T6_T7_T9_mT8_P12ihipStream_tbDpT10_ENKUlT_T0_E_clISt17integral_constantIbLb1EES1A_EEDaS15_S16_EUlS15_E_NS1_11comp_targetILNS1_3genE5ELNS1_11target_archE942ELNS1_3gpuE9ELNS1_3repE0EEENS1_30default_config_static_selectorELNS0_4arch9wavefront6targetE1EEEvT1_,comdat
.Lfunc_end97:
	.size	_ZN7rocprim17ROCPRIM_400000_NS6detail17trampoline_kernelINS0_14default_configENS1_25partition_config_selectorILNS1_17partition_subalgoE3EiNS0_10empty_typeEbEEZZNS1_14partition_implILS5_3ELb0ES3_jN6thrust23THRUST_200600_302600_NS6detail15normal_iteratorINSA_7pointerIiNSA_11hip_rocprim3tagENSA_11use_defaultESG_EEEEPS6_SJ_NS0_5tupleIJPiSJ_EEENSK_IJSJ_SJ_EEES6_PlJ7is_evenIiEEEE10hipError_tPvRmT3_T4_T5_T6_T7_T9_mT8_P12ihipStream_tbDpT10_ENKUlT_T0_E_clISt17integral_constantIbLb1EES1A_EEDaS15_S16_EUlS15_E_NS1_11comp_targetILNS1_3genE5ELNS1_11target_archE942ELNS1_3gpuE9ELNS1_3repE0EEENS1_30default_config_static_selectorELNS0_4arch9wavefront6targetE1EEEvT1_, .Lfunc_end97-_ZN7rocprim17ROCPRIM_400000_NS6detail17trampoline_kernelINS0_14default_configENS1_25partition_config_selectorILNS1_17partition_subalgoE3EiNS0_10empty_typeEbEEZZNS1_14partition_implILS5_3ELb0ES3_jN6thrust23THRUST_200600_302600_NS6detail15normal_iteratorINSA_7pointerIiNSA_11hip_rocprim3tagENSA_11use_defaultESG_EEEEPS6_SJ_NS0_5tupleIJPiSJ_EEENSK_IJSJ_SJ_EEES6_PlJ7is_evenIiEEEE10hipError_tPvRmT3_T4_T5_T6_T7_T9_mT8_P12ihipStream_tbDpT10_ENKUlT_T0_E_clISt17integral_constantIbLb1EES1A_EEDaS15_S16_EUlS15_E_NS1_11comp_targetILNS1_3genE5ELNS1_11target_archE942ELNS1_3gpuE9ELNS1_3repE0EEENS1_30default_config_static_selectorELNS0_4arch9wavefront6targetE1EEEvT1_
                                        ; -- End function
	.section	.AMDGPU.csdata,"",@progbits
; Kernel info:
; codeLenInByte = 7752
; NumSgprs: 50
; NumVgprs: 80
; NumAgprs: 0
; TotalNumVgprs: 80
; ScratchSize: 0
; MemoryBound: 0
; FloatMode: 240
; IeeeMode: 1
; LDSByteSize: 30728 bytes/workgroup (compile time only)
; SGPRBlocks: 6
; VGPRBlocks: 9
; NumSGPRsForWavesPerEU: 50
; NumVGPRsForWavesPerEU: 80
; AccumOffset: 80
; Occupancy: 4
; WaveLimiterHint : 1
; COMPUTE_PGM_RSRC2:SCRATCH_EN: 0
; COMPUTE_PGM_RSRC2:USER_SGPR: 2
; COMPUTE_PGM_RSRC2:TRAP_HANDLER: 0
; COMPUTE_PGM_RSRC2:TGID_X_EN: 1
; COMPUTE_PGM_RSRC2:TGID_Y_EN: 0
; COMPUTE_PGM_RSRC2:TGID_Z_EN: 0
; COMPUTE_PGM_RSRC2:TIDIG_COMP_CNT: 0
; COMPUTE_PGM_RSRC3_GFX90A:ACCUM_OFFSET: 19
; COMPUTE_PGM_RSRC3_GFX90A:TG_SPLIT: 0
	.section	.text._ZN7rocprim17ROCPRIM_400000_NS6detail17trampoline_kernelINS0_14default_configENS1_25partition_config_selectorILNS1_17partition_subalgoE3EiNS0_10empty_typeEbEEZZNS1_14partition_implILS5_3ELb0ES3_jN6thrust23THRUST_200600_302600_NS6detail15normal_iteratorINSA_7pointerIiNSA_11hip_rocprim3tagENSA_11use_defaultESG_EEEEPS6_SJ_NS0_5tupleIJPiSJ_EEENSK_IJSJ_SJ_EEES6_PlJ7is_evenIiEEEE10hipError_tPvRmT3_T4_T5_T6_T7_T9_mT8_P12ihipStream_tbDpT10_ENKUlT_T0_E_clISt17integral_constantIbLb1EES1A_EEDaS15_S16_EUlS15_E_NS1_11comp_targetILNS1_3genE4ELNS1_11target_archE910ELNS1_3gpuE8ELNS1_3repE0EEENS1_30default_config_static_selectorELNS0_4arch9wavefront6targetE1EEEvT1_,"axG",@progbits,_ZN7rocprim17ROCPRIM_400000_NS6detail17trampoline_kernelINS0_14default_configENS1_25partition_config_selectorILNS1_17partition_subalgoE3EiNS0_10empty_typeEbEEZZNS1_14partition_implILS5_3ELb0ES3_jN6thrust23THRUST_200600_302600_NS6detail15normal_iteratorINSA_7pointerIiNSA_11hip_rocprim3tagENSA_11use_defaultESG_EEEEPS6_SJ_NS0_5tupleIJPiSJ_EEENSK_IJSJ_SJ_EEES6_PlJ7is_evenIiEEEE10hipError_tPvRmT3_T4_T5_T6_T7_T9_mT8_P12ihipStream_tbDpT10_ENKUlT_T0_E_clISt17integral_constantIbLb1EES1A_EEDaS15_S16_EUlS15_E_NS1_11comp_targetILNS1_3genE4ELNS1_11target_archE910ELNS1_3gpuE8ELNS1_3repE0EEENS1_30default_config_static_selectorELNS0_4arch9wavefront6targetE1EEEvT1_,comdat
	.protected	_ZN7rocprim17ROCPRIM_400000_NS6detail17trampoline_kernelINS0_14default_configENS1_25partition_config_selectorILNS1_17partition_subalgoE3EiNS0_10empty_typeEbEEZZNS1_14partition_implILS5_3ELb0ES3_jN6thrust23THRUST_200600_302600_NS6detail15normal_iteratorINSA_7pointerIiNSA_11hip_rocprim3tagENSA_11use_defaultESG_EEEEPS6_SJ_NS0_5tupleIJPiSJ_EEENSK_IJSJ_SJ_EEES6_PlJ7is_evenIiEEEE10hipError_tPvRmT3_T4_T5_T6_T7_T9_mT8_P12ihipStream_tbDpT10_ENKUlT_T0_E_clISt17integral_constantIbLb1EES1A_EEDaS15_S16_EUlS15_E_NS1_11comp_targetILNS1_3genE4ELNS1_11target_archE910ELNS1_3gpuE8ELNS1_3repE0EEENS1_30default_config_static_selectorELNS0_4arch9wavefront6targetE1EEEvT1_ ; -- Begin function _ZN7rocprim17ROCPRIM_400000_NS6detail17trampoline_kernelINS0_14default_configENS1_25partition_config_selectorILNS1_17partition_subalgoE3EiNS0_10empty_typeEbEEZZNS1_14partition_implILS5_3ELb0ES3_jN6thrust23THRUST_200600_302600_NS6detail15normal_iteratorINSA_7pointerIiNSA_11hip_rocprim3tagENSA_11use_defaultESG_EEEEPS6_SJ_NS0_5tupleIJPiSJ_EEENSK_IJSJ_SJ_EEES6_PlJ7is_evenIiEEEE10hipError_tPvRmT3_T4_T5_T6_T7_T9_mT8_P12ihipStream_tbDpT10_ENKUlT_T0_E_clISt17integral_constantIbLb1EES1A_EEDaS15_S16_EUlS15_E_NS1_11comp_targetILNS1_3genE4ELNS1_11target_archE910ELNS1_3gpuE8ELNS1_3repE0EEENS1_30default_config_static_selectorELNS0_4arch9wavefront6targetE1EEEvT1_
	.globl	_ZN7rocprim17ROCPRIM_400000_NS6detail17trampoline_kernelINS0_14default_configENS1_25partition_config_selectorILNS1_17partition_subalgoE3EiNS0_10empty_typeEbEEZZNS1_14partition_implILS5_3ELb0ES3_jN6thrust23THRUST_200600_302600_NS6detail15normal_iteratorINSA_7pointerIiNSA_11hip_rocprim3tagENSA_11use_defaultESG_EEEEPS6_SJ_NS0_5tupleIJPiSJ_EEENSK_IJSJ_SJ_EEES6_PlJ7is_evenIiEEEE10hipError_tPvRmT3_T4_T5_T6_T7_T9_mT8_P12ihipStream_tbDpT10_ENKUlT_T0_E_clISt17integral_constantIbLb1EES1A_EEDaS15_S16_EUlS15_E_NS1_11comp_targetILNS1_3genE4ELNS1_11target_archE910ELNS1_3gpuE8ELNS1_3repE0EEENS1_30default_config_static_selectorELNS0_4arch9wavefront6targetE1EEEvT1_
	.p2align	8
	.type	_ZN7rocprim17ROCPRIM_400000_NS6detail17trampoline_kernelINS0_14default_configENS1_25partition_config_selectorILNS1_17partition_subalgoE3EiNS0_10empty_typeEbEEZZNS1_14partition_implILS5_3ELb0ES3_jN6thrust23THRUST_200600_302600_NS6detail15normal_iteratorINSA_7pointerIiNSA_11hip_rocprim3tagENSA_11use_defaultESG_EEEEPS6_SJ_NS0_5tupleIJPiSJ_EEENSK_IJSJ_SJ_EEES6_PlJ7is_evenIiEEEE10hipError_tPvRmT3_T4_T5_T6_T7_T9_mT8_P12ihipStream_tbDpT10_ENKUlT_T0_E_clISt17integral_constantIbLb1EES1A_EEDaS15_S16_EUlS15_E_NS1_11comp_targetILNS1_3genE4ELNS1_11target_archE910ELNS1_3gpuE8ELNS1_3repE0EEENS1_30default_config_static_selectorELNS0_4arch9wavefront6targetE1EEEvT1_,@function
_ZN7rocprim17ROCPRIM_400000_NS6detail17trampoline_kernelINS0_14default_configENS1_25partition_config_selectorILNS1_17partition_subalgoE3EiNS0_10empty_typeEbEEZZNS1_14partition_implILS5_3ELb0ES3_jN6thrust23THRUST_200600_302600_NS6detail15normal_iteratorINSA_7pointerIiNSA_11hip_rocprim3tagENSA_11use_defaultESG_EEEEPS6_SJ_NS0_5tupleIJPiSJ_EEENSK_IJSJ_SJ_EEES6_PlJ7is_evenIiEEEE10hipError_tPvRmT3_T4_T5_T6_T7_T9_mT8_P12ihipStream_tbDpT10_ENKUlT_T0_E_clISt17integral_constantIbLb1EES1A_EEDaS15_S16_EUlS15_E_NS1_11comp_targetILNS1_3genE4ELNS1_11target_archE910ELNS1_3gpuE8ELNS1_3repE0EEENS1_30default_config_static_selectorELNS0_4arch9wavefront6targetE1EEEvT1_: ; @_ZN7rocprim17ROCPRIM_400000_NS6detail17trampoline_kernelINS0_14default_configENS1_25partition_config_selectorILNS1_17partition_subalgoE3EiNS0_10empty_typeEbEEZZNS1_14partition_implILS5_3ELb0ES3_jN6thrust23THRUST_200600_302600_NS6detail15normal_iteratorINSA_7pointerIiNSA_11hip_rocprim3tagENSA_11use_defaultESG_EEEEPS6_SJ_NS0_5tupleIJPiSJ_EEENSK_IJSJ_SJ_EEES6_PlJ7is_evenIiEEEE10hipError_tPvRmT3_T4_T5_T6_T7_T9_mT8_P12ihipStream_tbDpT10_ENKUlT_T0_E_clISt17integral_constantIbLb1EES1A_EEDaS15_S16_EUlS15_E_NS1_11comp_targetILNS1_3genE4ELNS1_11target_archE910ELNS1_3gpuE8ELNS1_3repE0EEENS1_30default_config_static_selectorELNS0_4arch9wavefront6targetE1EEEvT1_
; %bb.0:
	.section	.rodata,"a",@progbits
	.p2align	6, 0x0
	.amdhsa_kernel _ZN7rocprim17ROCPRIM_400000_NS6detail17trampoline_kernelINS0_14default_configENS1_25partition_config_selectorILNS1_17partition_subalgoE3EiNS0_10empty_typeEbEEZZNS1_14partition_implILS5_3ELb0ES3_jN6thrust23THRUST_200600_302600_NS6detail15normal_iteratorINSA_7pointerIiNSA_11hip_rocprim3tagENSA_11use_defaultESG_EEEEPS6_SJ_NS0_5tupleIJPiSJ_EEENSK_IJSJ_SJ_EEES6_PlJ7is_evenIiEEEE10hipError_tPvRmT3_T4_T5_T6_T7_T9_mT8_P12ihipStream_tbDpT10_ENKUlT_T0_E_clISt17integral_constantIbLb1EES1A_EEDaS15_S16_EUlS15_E_NS1_11comp_targetILNS1_3genE4ELNS1_11target_archE910ELNS1_3gpuE8ELNS1_3repE0EEENS1_30default_config_static_selectorELNS0_4arch9wavefront6targetE1EEEvT1_
		.amdhsa_group_segment_fixed_size 0
		.amdhsa_private_segment_fixed_size 0
		.amdhsa_kernarg_size 136
		.amdhsa_user_sgpr_count 2
		.amdhsa_user_sgpr_dispatch_ptr 0
		.amdhsa_user_sgpr_queue_ptr 0
		.amdhsa_user_sgpr_kernarg_segment_ptr 1
		.amdhsa_user_sgpr_dispatch_id 0
		.amdhsa_user_sgpr_kernarg_preload_length 0
		.amdhsa_user_sgpr_kernarg_preload_offset 0
		.amdhsa_user_sgpr_private_segment_size 0
		.amdhsa_uses_dynamic_stack 0
		.amdhsa_enable_private_segment 0
		.amdhsa_system_sgpr_workgroup_id_x 1
		.amdhsa_system_sgpr_workgroup_id_y 0
		.amdhsa_system_sgpr_workgroup_id_z 0
		.amdhsa_system_sgpr_workgroup_info 0
		.amdhsa_system_vgpr_workitem_id 0
		.amdhsa_next_free_vgpr 1
		.amdhsa_next_free_sgpr 0
		.amdhsa_accum_offset 4
		.amdhsa_reserve_vcc 0
		.amdhsa_float_round_mode_32 0
		.amdhsa_float_round_mode_16_64 0
		.amdhsa_float_denorm_mode_32 3
		.amdhsa_float_denorm_mode_16_64 3
		.amdhsa_dx10_clamp 1
		.amdhsa_ieee_mode 1
		.amdhsa_fp16_overflow 0
		.amdhsa_tg_split 0
		.amdhsa_exception_fp_ieee_invalid_op 0
		.amdhsa_exception_fp_denorm_src 0
		.amdhsa_exception_fp_ieee_div_zero 0
		.amdhsa_exception_fp_ieee_overflow 0
		.amdhsa_exception_fp_ieee_underflow 0
		.amdhsa_exception_fp_ieee_inexact 0
		.amdhsa_exception_int_div_zero 0
	.end_amdhsa_kernel
	.section	.text._ZN7rocprim17ROCPRIM_400000_NS6detail17trampoline_kernelINS0_14default_configENS1_25partition_config_selectorILNS1_17partition_subalgoE3EiNS0_10empty_typeEbEEZZNS1_14partition_implILS5_3ELb0ES3_jN6thrust23THRUST_200600_302600_NS6detail15normal_iteratorINSA_7pointerIiNSA_11hip_rocprim3tagENSA_11use_defaultESG_EEEEPS6_SJ_NS0_5tupleIJPiSJ_EEENSK_IJSJ_SJ_EEES6_PlJ7is_evenIiEEEE10hipError_tPvRmT3_T4_T5_T6_T7_T9_mT8_P12ihipStream_tbDpT10_ENKUlT_T0_E_clISt17integral_constantIbLb1EES1A_EEDaS15_S16_EUlS15_E_NS1_11comp_targetILNS1_3genE4ELNS1_11target_archE910ELNS1_3gpuE8ELNS1_3repE0EEENS1_30default_config_static_selectorELNS0_4arch9wavefront6targetE1EEEvT1_,"axG",@progbits,_ZN7rocprim17ROCPRIM_400000_NS6detail17trampoline_kernelINS0_14default_configENS1_25partition_config_selectorILNS1_17partition_subalgoE3EiNS0_10empty_typeEbEEZZNS1_14partition_implILS5_3ELb0ES3_jN6thrust23THRUST_200600_302600_NS6detail15normal_iteratorINSA_7pointerIiNSA_11hip_rocprim3tagENSA_11use_defaultESG_EEEEPS6_SJ_NS0_5tupleIJPiSJ_EEENSK_IJSJ_SJ_EEES6_PlJ7is_evenIiEEEE10hipError_tPvRmT3_T4_T5_T6_T7_T9_mT8_P12ihipStream_tbDpT10_ENKUlT_T0_E_clISt17integral_constantIbLb1EES1A_EEDaS15_S16_EUlS15_E_NS1_11comp_targetILNS1_3genE4ELNS1_11target_archE910ELNS1_3gpuE8ELNS1_3repE0EEENS1_30default_config_static_selectorELNS0_4arch9wavefront6targetE1EEEvT1_,comdat
.Lfunc_end98:
	.size	_ZN7rocprim17ROCPRIM_400000_NS6detail17trampoline_kernelINS0_14default_configENS1_25partition_config_selectorILNS1_17partition_subalgoE3EiNS0_10empty_typeEbEEZZNS1_14partition_implILS5_3ELb0ES3_jN6thrust23THRUST_200600_302600_NS6detail15normal_iteratorINSA_7pointerIiNSA_11hip_rocprim3tagENSA_11use_defaultESG_EEEEPS6_SJ_NS0_5tupleIJPiSJ_EEENSK_IJSJ_SJ_EEES6_PlJ7is_evenIiEEEE10hipError_tPvRmT3_T4_T5_T6_T7_T9_mT8_P12ihipStream_tbDpT10_ENKUlT_T0_E_clISt17integral_constantIbLb1EES1A_EEDaS15_S16_EUlS15_E_NS1_11comp_targetILNS1_3genE4ELNS1_11target_archE910ELNS1_3gpuE8ELNS1_3repE0EEENS1_30default_config_static_selectorELNS0_4arch9wavefront6targetE1EEEvT1_, .Lfunc_end98-_ZN7rocprim17ROCPRIM_400000_NS6detail17trampoline_kernelINS0_14default_configENS1_25partition_config_selectorILNS1_17partition_subalgoE3EiNS0_10empty_typeEbEEZZNS1_14partition_implILS5_3ELb0ES3_jN6thrust23THRUST_200600_302600_NS6detail15normal_iteratorINSA_7pointerIiNSA_11hip_rocprim3tagENSA_11use_defaultESG_EEEEPS6_SJ_NS0_5tupleIJPiSJ_EEENSK_IJSJ_SJ_EEES6_PlJ7is_evenIiEEEE10hipError_tPvRmT3_T4_T5_T6_T7_T9_mT8_P12ihipStream_tbDpT10_ENKUlT_T0_E_clISt17integral_constantIbLb1EES1A_EEDaS15_S16_EUlS15_E_NS1_11comp_targetILNS1_3genE4ELNS1_11target_archE910ELNS1_3gpuE8ELNS1_3repE0EEENS1_30default_config_static_selectorELNS0_4arch9wavefront6targetE1EEEvT1_
                                        ; -- End function
	.section	.AMDGPU.csdata,"",@progbits
; Kernel info:
; codeLenInByte = 0
; NumSgprs: 6
; NumVgprs: 0
; NumAgprs: 0
; TotalNumVgprs: 0
; ScratchSize: 0
; MemoryBound: 0
; FloatMode: 240
; IeeeMode: 1
; LDSByteSize: 0 bytes/workgroup (compile time only)
; SGPRBlocks: 0
; VGPRBlocks: 0
; NumSGPRsForWavesPerEU: 6
; NumVGPRsForWavesPerEU: 1
; AccumOffset: 4
; Occupancy: 8
; WaveLimiterHint : 0
; COMPUTE_PGM_RSRC2:SCRATCH_EN: 0
; COMPUTE_PGM_RSRC2:USER_SGPR: 2
; COMPUTE_PGM_RSRC2:TRAP_HANDLER: 0
; COMPUTE_PGM_RSRC2:TGID_X_EN: 1
; COMPUTE_PGM_RSRC2:TGID_Y_EN: 0
; COMPUTE_PGM_RSRC2:TGID_Z_EN: 0
; COMPUTE_PGM_RSRC2:TIDIG_COMP_CNT: 0
; COMPUTE_PGM_RSRC3_GFX90A:ACCUM_OFFSET: 0
; COMPUTE_PGM_RSRC3_GFX90A:TG_SPLIT: 0
	.section	.text._ZN7rocprim17ROCPRIM_400000_NS6detail17trampoline_kernelINS0_14default_configENS1_25partition_config_selectorILNS1_17partition_subalgoE3EiNS0_10empty_typeEbEEZZNS1_14partition_implILS5_3ELb0ES3_jN6thrust23THRUST_200600_302600_NS6detail15normal_iteratorINSA_7pointerIiNSA_11hip_rocprim3tagENSA_11use_defaultESG_EEEEPS6_SJ_NS0_5tupleIJPiSJ_EEENSK_IJSJ_SJ_EEES6_PlJ7is_evenIiEEEE10hipError_tPvRmT3_T4_T5_T6_T7_T9_mT8_P12ihipStream_tbDpT10_ENKUlT_T0_E_clISt17integral_constantIbLb1EES1A_EEDaS15_S16_EUlS15_E_NS1_11comp_targetILNS1_3genE3ELNS1_11target_archE908ELNS1_3gpuE7ELNS1_3repE0EEENS1_30default_config_static_selectorELNS0_4arch9wavefront6targetE1EEEvT1_,"axG",@progbits,_ZN7rocprim17ROCPRIM_400000_NS6detail17trampoline_kernelINS0_14default_configENS1_25partition_config_selectorILNS1_17partition_subalgoE3EiNS0_10empty_typeEbEEZZNS1_14partition_implILS5_3ELb0ES3_jN6thrust23THRUST_200600_302600_NS6detail15normal_iteratorINSA_7pointerIiNSA_11hip_rocprim3tagENSA_11use_defaultESG_EEEEPS6_SJ_NS0_5tupleIJPiSJ_EEENSK_IJSJ_SJ_EEES6_PlJ7is_evenIiEEEE10hipError_tPvRmT3_T4_T5_T6_T7_T9_mT8_P12ihipStream_tbDpT10_ENKUlT_T0_E_clISt17integral_constantIbLb1EES1A_EEDaS15_S16_EUlS15_E_NS1_11comp_targetILNS1_3genE3ELNS1_11target_archE908ELNS1_3gpuE7ELNS1_3repE0EEENS1_30default_config_static_selectorELNS0_4arch9wavefront6targetE1EEEvT1_,comdat
	.protected	_ZN7rocprim17ROCPRIM_400000_NS6detail17trampoline_kernelINS0_14default_configENS1_25partition_config_selectorILNS1_17partition_subalgoE3EiNS0_10empty_typeEbEEZZNS1_14partition_implILS5_3ELb0ES3_jN6thrust23THRUST_200600_302600_NS6detail15normal_iteratorINSA_7pointerIiNSA_11hip_rocprim3tagENSA_11use_defaultESG_EEEEPS6_SJ_NS0_5tupleIJPiSJ_EEENSK_IJSJ_SJ_EEES6_PlJ7is_evenIiEEEE10hipError_tPvRmT3_T4_T5_T6_T7_T9_mT8_P12ihipStream_tbDpT10_ENKUlT_T0_E_clISt17integral_constantIbLb1EES1A_EEDaS15_S16_EUlS15_E_NS1_11comp_targetILNS1_3genE3ELNS1_11target_archE908ELNS1_3gpuE7ELNS1_3repE0EEENS1_30default_config_static_selectorELNS0_4arch9wavefront6targetE1EEEvT1_ ; -- Begin function _ZN7rocprim17ROCPRIM_400000_NS6detail17trampoline_kernelINS0_14default_configENS1_25partition_config_selectorILNS1_17partition_subalgoE3EiNS0_10empty_typeEbEEZZNS1_14partition_implILS5_3ELb0ES3_jN6thrust23THRUST_200600_302600_NS6detail15normal_iteratorINSA_7pointerIiNSA_11hip_rocprim3tagENSA_11use_defaultESG_EEEEPS6_SJ_NS0_5tupleIJPiSJ_EEENSK_IJSJ_SJ_EEES6_PlJ7is_evenIiEEEE10hipError_tPvRmT3_T4_T5_T6_T7_T9_mT8_P12ihipStream_tbDpT10_ENKUlT_T0_E_clISt17integral_constantIbLb1EES1A_EEDaS15_S16_EUlS15_E_NS1_11comp_targetILNS1_3genE3ELNS1_11target_archE908ELNS1_3gpuE7ELNS1_3repE0EEENS1_30default_config_static_selectorELNS0_4arch9wavefront6targetE1EEEvT1_
	.globl	_ZN7rocprim17ROCPRIM_400000_NS6detail17trampoline_kernelINS0_14default_configENS1_25partition_config_selectorILNS1_17partition_subalgoE3EiNS0_10empty_typeEbEEZZNS1_14partition_implILS5_3ELb0ES3_jN6thrust23THRUST_200600_302600_NS6detail15normal_iteratorINSA_7pointerIiNSA_11hip_rocprim3tagENSA_11use_defaultESG_EEEEPS6_SJ_NS0_5tupleIJPiSJ_EEENSK_IJSJ_SJ_EEES6_PlJ7is_evenIiEEEE10hipError_tPvRmT3_T4_T5_T6_T7_T9_mT8_P12ihipStream_tbDpT10_ENKUlT_T0_E_clISt17integral_constantIbLb1EES1A_EEDaS15_S16_EUlS15_E_NS1_11comp_targetILNS1_3genE3ELNS1_11target_archE908ELNS1_3gpuE7ELNS1_3repE0EEENS1_30default_config_static_selectorELNS0_4arch9wavefront6targetE1EEEvT1_
	.p2align	8
	.type	_ZN7rocprim17ROCPRIM_400000_NS6detail17trampoline_kernelINS0_14default_configENS1_25partition_config_selectorILNS1_17partition_subalgoE3EiNS0_10empty_typeEbEEZZNS1_14partition_implILS5_3ELb0ES3_jN6thrust23THRUST_200600_302600_NS6detail15normal_iteratorINSA_7pointerIiNSA_11hip_rocprim3tagENSA_11use_defaultESG_EEEEPS6_SJ_NS0_5tupleIJPiSJ_EEENSK_IJSJ_SJ_EEES6_PlJ7is_evenIiEEEE10hipError_tPvRmT3_T4_T5_T6_T7_T9_mT8_P12ihipStream_tbDpT10_ENKUlT_T0_E_clISt17integral_constantIbLb1EES1A_EEDaS15_S16_EUlS15_E_NS1_11comp_targetILNS1_3genE3ELNS1_11target_archE908ELNS1_3gpuE7ELNS1_3repE0EEENS1_30default_config_static_selectorELNS0_4arch9wavefront6targetE1EEEvT1_,@function
_ZN7rocprim17ROCPRIM_400000_NS6detail17trampoline_kernelINS0_14default_configENS1_25partition_config_selectorILNS1_17partition_subalgoE3EiNS0_10empty_typeEbEEZZNS1_14partition_implILS5_3ELb0ES3_jN6thrust23THRUST_200600_302600_NS6detail15normal_iteratorINSA_7pointerIiNSA_11hip_rocprim3tagENSA_11use_defaultESG_EEEEPS6_SJ_NS0_5tupleIJPiSJ_EEENSK_IJSJ_SJ_EEES6_PlJ7is_evenIiEEEE10hipError_tPvRmT3_T4_T5_T6_T7_T9_mT8_P12ihipStream_tbDpT10_ENKUlT_T0_E_clISt17integral_constantIbLb1EES1A_EEDaS15_S16_EUlS15_E_NS1_11comp_targetILNS1_3genE3ELNS1_11target_archE908ELNS1_3gpuE7ELNS1_3repE0EEENS1_30default_config_static_selectorELNS0_4arch9wavefront6targetE1EEEvT1_: ; @_ZN7rocprim17ROCPRIM_400000_NS6detail17trampoline_kernelINS0_14default_configENS1_25partition_config_selectorILNS1_17partition_subalgoE3EiNS0_10empty_typeEbEEZZNS1_14partition_implILS5_3ELb0ES3_jN6thrust23THRUST_200600_302600_NS6detail15normal_iteratorINSA_7pointerIiNSA_11hip_rocprim3tagENSA_11use_defaultESG_EEEEPS6_SJ_NS0_5tupleIJPiSJ_EEENSK_IJSJ_SJ_EEES6_PlJ7is_evenIiEEEE10hipError_tPvRmT3_T4_T5_T6_T7_T9_mT8_P12ihipStream_tbDpT10_ENKUlT_T0_E_clISt17integral_constantIbLb1EES1A_EEDaS15_S16_EUlS15_E_NS1_11comp_targetILNS1_3genE3ELNS1_11target_archE908ELNS1_3gpuE7ELNS1_3repE0EEENS1_30default_config_static_selectorELNS0_4arch9wavefront6targetE1EEEvT1_
; %bb.0:
	.section	.rodata,"a",@progbits
	.p2align	6, 0x0
	.amdhsa_kernel _ZN7rocprim17ROCPRIM_400000_NS6detail17trampoline_kernelINS0_14default_configENS1_25partition_config_selectorILNS1_17partition_subalgoE3EiNS0_10empty_typeEbEEZZNS1_14partition_implILS5_3ELb0ES3_jN6thrust23THRUST_200600_302600_NS6detail15normal_iteratorINSA_7pointerIiNSA_11hip_rocprim3tagENSA_11use_defaultESG_EEEEPS6_SJ_NS0_5tupleIJPiSJ_EEENSK_IJSJ_SJ_EEES6_PlJ7is_evenIiEEEE10hipError_tPvRmT3_T4_T5_T6_T7_T9_mT8_P12ihipStream_tbDpT10_ENKUlT_T0_E_clISt17integral_constantIbLb1EES1A_EEDaS15_S16_EUlS15_E_NS1_11comp_targetILNS1_3genE3ELNS1_11target_archE908ELNS1_3gpuE7ELNS1_3repE0EEENS1_30default_config_static_selectorELNS0_4arch9wavefront6targetE1EEEvT1_
		.amdhsa_group_segment_fixed_size 0
		.amdhsa_private_segment_fixed_size 0
		.amdhsa_kernarg_size 136
		.amdhsa_user_sgpr_count 2
		.amdhsa_user_sgpr_dispatch_ptr 0
		.amdhsa_user_sgpr_queue_ptr 0
		.amdhsa_user_sgpr_kernarg_segment_ptr 1
		.amdhsa_user_sgpr_dispatch_id 0
		.amdhsa_user_sgpr_kernarg_preload_length 0
		.amdhsa_user_sgpr_kernarg_preload_offset 0
		.amdhsa_user_sgpr_private_segment_size 0
		.amdhsa_uses_dynamic_stack 0
		.amdhsa_enable_private_segment 0
		.amdhsa_system_sgpr_workgroup_id_x 1
		.amdhsa_system_sgpr_workgroup_id_y 0
		.amdhsa_system_sgpr_workgroup_id_z 0
		.amdhsa_system_sgpr_workgroup_info 0
		.amdhsa_system_vgpr_workitem_id 0
		.amdhsa_next_free_vgpr 1
		.amdhsa_next_free_sgpr 0
		.amdhsa_accum_offset 4
		.amdhsa_reserve_vcc 0
		.amdhsa_float_round_mode_32 0
		.amdhsa_float_round_mode_16_64 0
		.amdhsa_float_denorm_mode_32 3
		.amdhsa_float_denorm_mode_16_64 3
		.amdhsa_dx10_clamp 1
		.amdhsa_ieee_mode 1
		.amdhsa_fp16_overflow 0
		.amdhsa_tg_split 0
		.amdhsa_exception_fp_ieee_invalid_op 0
		.amdhsa_exception_fp_denorm_src 0
		.amdhsa_exception_fp_ieee_div_zero 0
		.amdhsa_exception_fp_ieee_overflow 0
		.amdhsa_exception_fp_ieee_underflow 0
		.amdhsa_exception_fp_ieee_inexact 0
		.amdhsa_exception_int_div_zero 0
	.end_amdhsa_kernel
	.section	.text._ZN7rocprim17ROCPRIM_400000_NS6detail17trampoline_kernelINS0_14default_configENS1_25partition_config_selectorILNS1_17partition_subalgoE3EiNS0_10empty_typeEbEEZZNS1_14partition_implILS5_3ELb0ES3_jN6thrust23THRUST_200600_302600_NS6detail15normal_iteratorINSA_7pointerIiNSA_11hip_rocprim3tagENSA_11use_defaultESG_EEEEPS6_SJ_NS0_5tupleIJPiSJ_EEENSK_IJSJ_SJ_EEES6_PlJ7is_evenIiEEEE10hipError_tPvRmT3_T4_T5_T6_T7_T9_mT8_P12ihipStream_tbDpT10_ENKUlT_T0_E_clISt17integral_constantIbLb1EES1A_EEDaS15_S16_EUlS15_E_NS1_11comp_targetILNS1_3genE3ELNS1_11target_archE908ELNS1_3gpuE7ELNS1_3repE0EEENS1_30default_config_static_selectorELNS0_4arch9wavefront6targetE1EEEvT1_,"axG",@progbits,_ZN7rocprim17ROCPRIM_400000_NS6detail17trampoline_kernelINS0_14default_configENS1_25partition_config_selectorILNS1_17partition_subalgoE3EiNS0_10empty_typeEbEEZZNS1_14partition_implILS5_3ELb0ES3_jN6thrust23THRUST_200600_302600_NS6detail15normal_iteratorINSA_7pointerIiNSA_11hip_rocprim3tagENSA_11use_defaultESG_EEEEPS6_SJ_NS0_5tupleIJPiSJ_EEENSK_IJSJ_SJ_EEES6_PlJ7is_evenIiEEEE10hipError_tPvRmT3_T4_T5_T6_T7_T9_mT8_P12ihipStream_tbDpT10_ENKUlT_T0_E_clISt17integral_constantIbLb1EES1A_EEDaS15_S16_EUlS15_E_NS1_11comp_targetILNS1_3genE3ELNS1_11target_archE908ELNS1_3gpuE7ELNS1_3repE0EEENS1_30default_config_static_selectorELNS0_4arch9wavefront6targetE1EEEvT1_,comdat
.Lfunc_end99:
	.size	_ZN7rocprim17ROCPRIM_400000_NS6detail17trampoline_kernelINS0_14default_configENS1_25partition_config_selectorILNS1_17partition_subalgoE3EiNS0_10empty_typeEbEEZZNS1_14partition_implILS5_3ELb0ES3_jN6thrust23THRUST_200600_302600_NS6detail15normal_iteratorINSA_7pointerIiNSA_11hip_rocprim3tagENSA_11use_defaultESG_EEEEPS6_SJ_NS0_5tupleIJPiSJ_EEENSK_IJSJ_SJ_EEES6_PlJ7is_evenIiEEEE10hipError_tPvRmT3_T4_T5_T6_T7_T9_mT8_P12ihipStream_tbDpT10_ENKUlT_T0_E_clISt17integral_constantIbLb1EES1A_EEDaS15_S16_EUlS15_E_NS1_11comp_targetILNS1_3genE3ELNS1_11target_archE908ELNS1_3gpuE7ELNS1_3repE0EEENS1_30default_config_static_selectorELNS0_4arch9wavefront6targetE1EEEvT1_, .Lfunc_end99-_ZN7rocprim17ROCPRIM_400000_NS6detail17trampoline_kernelINS0_14default_configENS1_25partition_config_selectorILNS1_17partition_subalgoE3EiNS0_10empty_typeEbEEZZNS1_14partition_implILS5_3ELb0ES3_jN6thrust23THRUST_200600_302600_NS6detail15normal_iteratorINSA_7pointerIiNSA_11hip_rocprim3tagENSA_11use_defaultESG_EEEEPS6_SJ_NS0_5tupleIJPiSJ_EEENSK_IJSJ_SJ_EEES6_PlJ7is_evenIiEEEE10hipError_tPvRmT3_T4_T5_T6_T7_T9_mT8_P12ihipStream_tbDpT10_ENKUlT_T0_E_clISt17integral_constantIbLb1EES1A_EEDaS15_S16_EUlS15_E_NS1_11comp_targetILNS1_3genE3ELNS1_11target_archE908ELNS1_3gpuE7ELNS1_3repE0EEENS1_30default_config_static_selectorELNS0_4arch9wavefront6targetE1EEEvT1_
                                        ; -- End function
	.section	.AMDGPU.csdata,"",@progbits
; Kernel info:
; codeLenInByte = 0
; NumSgprs: 6
; NumVgprs: 0
; NumAgprs: 0
; TotalNumVgprs: 0
; ScratchSize: 0
; MemoryBound: 0
; FloatMode: 240
; IeeeMode: 1
; LDSByteSize: 0 bytes/workgroup (compile time only)
; SGPRBlocks: 0
; VGPRBlocks: 0
; NumSGPRsForWavesPerEU: 6
; NumVGPRsForWavesPerEU: 1
; AccumOffset: 4
; Occupancy: 8
; WaveLimiterHint : 0
; COMPUTE_PGM_RSRC2:SCRATCH_EN: 0
; COMPUTE_PGM_RSRC2:USER_SGPR: 2
; COMPUTE_PGM_RSRC2:TRAP_HANDLER: 0
; COMPUTE_PGM_RSRC2:TGID_X_EN: 1
; COMPUTE_PGM_RSRC2:TGID_Y_EN: 0
; COMPUTE_PGM_RSRC2:TGID_Z_EN: 0
; COMPUTE_PGM_RSRC2:TIDIG_COMP_CNT: 0
; COMPUTE_PGM_RSRC3_GFX90A:ACCUM_OFFSET: 0
; COMPUTE_PGM_RSRC3_GFX90A:TG_SPLIT: 0
	.section	.text._ZN7rocprim17ROCPRIM_400000_NS6detail17trampoline_kernelINS0_14default_configENS1_25partition_config_selectorILNS1_17partition_subalgoE3EiNS0_10empty_typeEbEEZZNS1_14partition_implILS5_3ELb0ES3_jN6thrust23THRUST_200600_302600_NS6detail15normal_iteratorINSA_7pointerIiNSA_11hip_rocprim3tagENSA_11use_defaultESG_EEEEPS6_SJ_NS0_5tupleIJPiSJ_EEENSK_IJSJ_SJ_EEES6_PlJ7is_evenIiEEEE10hipError_tPvRmT3_T4_T5_T6_T7_T9_mT8_P12ihipStream_tbDpT10_ENKUlT_T0_E_clISt17integral_constantIbLb1EES1A_EEDaS15_S16_EUlS15_E_NS1_11comp_targetILNS1_3genE2ELNS1_11target_archE906ELNS1_3gpuE6ELNS1_3repE0EEENS1_30default_config_static_selectorELNS0_4arch9wavefront6targetE1EEEvT1_,"axG",@progbits,_ZN7rocprim17ROCPRIM_400000_NS6detail17trampoline_kernelINS0_14default_configENS1_25partition_config_selectorILNS1_17partition_subalgoE3EiNS0_10empty_typeEbEEZZNS1_14partition_implILS5_3ELb0ES3_jN6thrust23THRUST_200600_302600_NS6detail15normal_iteratorINSA_7pointerIiNSA_11hip_rocprim3tagENSA_11use_defaultESG_EEEEPS6_SJ_NS0_5tupleIJPiSJ_EEENSK_IJSJ_SJ_EEES6_PlJ7is_evenIiEEEE10hipError_tPvRmT3_T4_T5_T6_T7_T9_mT8_P12ihipStream_tbDpT10_ENKUlT_T0_E_clISt17integral_constantIbLb1EES1A_EEDaS15_S16_EUlS15_E_NS1_11comp_targetILNS1_3genE2ELNS1_11target_archE906ELNS1_3gpuE6ELNS1_3repE0EEENS1_30default_config_static_selectorELNS0_4arch9wavefront6targetE1EEEvT1_,comdat
	.protected	_ZN7rocprim17ROCPRIM_400000_NS6detail17trampoline_kernelINS0_14default_configENS1_25partition_config_selectorILNS1_17partition_subalgoE3EiNS0_10empty_typeEbEEZZNS1_14partition_implILS5_3ELb0ES3_jN6thrust23THRUST_200600_302600_NS6detail15normal_iteratorINSA_7pointerIiNSA_11hip_rocprim3tagENSA_11use_defaultESG_EEEEPS6_SJ_NS0_5tupleIJPiSJ_EEENSK_IJSJ_SJ_EEES6_PlJ7is_evenIiEEEE10hipError_tPvRmT3_T4_T5_T6_T7_T9_mT8_P12ihipStream_tbDpT10_ENKUlT_T0_E_clISt17integral_constantIbLb1EES1A_EEDaS15_S16_EUlS15_E_NS1_11comp_targetILNS1_3genE2ELNS1_11target_archE906ELNS1_3gpuE6ELNS1_3repE0EEENS1_30default_config_static_selectorELNS0_4arch9wavefront6targetE1EEEvT1_ ; -- Begin function _ZN7rocprim17ROCPRIM_400000_NS6detail17trampoline_kernelINS0_14default_configENS1_25partition_config_selectorILNS1_17partition_subalgoE3EiNS0_10empty_typeEbEEZZNS1_14partition_implILS5_3ELb0ES3_jN6thrust23THRUST_200600_302600_NS6detail15normal_iteratorINSA_7pointerIiNSA_11hip_rocprim3tagENSA_11use_defaultESG_EEEEPS6_SJ_NS0_5tupleIJPiSJ_EEENSK_IJSJ_SJ_EEES6_PlJ7is_evenIiEEEE10hipError_tPvRmT3_T4_T5_T6_T7_T9_mT8_P12ihipStream_tbDpT10_ENKUlT_T0_E_clISt17integral_constantIbLb1EES1A_EEDaS15_S16_EUlS15_E_NS1_11comp_targetILNS1_3genE2ELNS1_11target_archE906ELNS1_3gpuE6ELNS1_3repE0EEENS1_30default_config_static_selectorELNS0_4arch9wavefront6targetE1EEEvT1_
	.globl	_ZN7rocprim17ROCPRIM_400000_NS6detail17trampoline_kernelINS0_14default_configENS1_25partition_config_selectorILNS1_17partition_subalgoE3EiNS0_10empty_typeEbEEZZNS1_14partition_implILS5_3ELb0ES3_jN6thrust23THRUST_200600_302600_NS6detail15normal_iteratorINSA_7pointerIiNSA_11hip_rocprim3tagENSA_11use_defaultESG_EEEEPS6_SJ_NS0_5tupleIJPiSJ_EEENSK_IJSJ_SJ_EEES6_PlJ7is_evenIiEEEE10hipError_tPvRmT3_T4_T5_T6_T7_T9_mT8_P12ihipStream_tbDpT10_ENKUlT_T0_E_clISt17integral_constantIbLb1EES1A_EEDaS15_S16_EUlS15_E_NS1_11comp_targetILNS1_3genE2ELNS1_11target_archE906ELNS1_3gpuE6ELNS1_3repE0EEENS1_30default_config_static_selectorELNS0_4arch9wavefront6targetE1EEEvT1_
	.p2align	8
	.type	_ZN7rocprim17ROCPRIM_400000_NS6detail17trampoline_kernelINS0_14default_configENS1_25partition_config_selectorILNS1_17partition_subalgoE3EiNS0_10empty_typeEbEEZZNS1_14partition_implILS5_3ELb0ES3_jN6thrust23THRUST_200600_302600_NS6detail15normal_iteratorINSA_7pointerIiNSA_11hip_rocprim3tagENSA_11use_defaultESG_EEEEPS6_SJ_NS0_5tupleIJPiSJ_EEENSK_IJSJ_SJ_EEES6_PlJ7is_evenIiEEEE10hipError_tPvRmT3_T4_T5_T6_T7_T9_mT8_P12ihipStream_tbDpT10_ENKUlT_T0_E_clISt17integral_constantIbLb1EES1A_EEDaS15_S16_EUlS15_E_NS1_11comp_targetILNS1_3genE2ELNS1_11target_archE906ELNS1_3gpuE6ELNS1_3repE0EEENS1_30default_config_static_selectorELNS0_4arch9wavefront6targetE1EEEvT1_,@function
_ZN7rocprim17ROCPRIM_400000_NS6detail17trampoline_kernelINS0_14default_configENS1_25partition_config_selectorILNS1_17partition_subalgoE3EiNS0_10empty_typeEbEEZZNS1_14partition_implILS5_3ELb0ES3_jN6thrust23THRUST_200600_302600_NS6detail15normal_iteratorINSA_7pointerIiNSA_11hip_rocprim3tagENSA_11use_defaultESG_EEEEPS6_SJ_NS0_5tupleIJPiSJ_EEENSK_IJSJ_SJ_EEES6_PlJ7is_evenIiEEEE10hipError_tPvRmT3_T4_T5_T6_T7_T9_mT8_P12ihipStream_tbDpT10_ENKUlT_T0_E_clISt17integral_constantIbLb1EES1A_EEDaS15_S16_EUlS15_E_NS1_11comp_targetILNS1_3genE2ELNS1_11target_archE906ELNS1_3gpuE6ELNS1_3repE0EEENS1_30default_config_static_selectorELNS0_4arch9wavefront6targetE1EEEvT1_: ; @_ZN7rocprim17ROCPRIM_400000_NS6detail17trampoline_kernelINS0_14default_configENS1_25partition_config_selectorILNS1_17partition_subalgoE3EiNS0_10empty_typeEbEEZZNS1_14partition_implILS5_3ELb0ES3_jN6thrust23THRUST_200600_302600_NS6detail15normal_iteratorINSA_7pointerIiNSA_11hip_rocprim3tagENSA_11use_defaultESG_EEEEPS6_SJ_NS0_5tupleIJPiSJ_EEENSK_IJSJ_SJ_EEES6_PlJ7is_evenIiEEEE10hipError_tPvRmT3_T4_T5_T6_T7_T9_mT8_P12ihipStream_tbDpT10_ENKUlT_T0_E_clISt17integral_constantIbLb1EES1A_EEDaS15_S16_EUlS15_E_NS1_11comp_targetILNS1_3genE2ELNS1_11target_archE906ELNS1_3gpuE6ELNS1_3repE0EEENS1_30default_config_static_selectorELNS0_4arch9wavefront6targetE1EEEvT1_
; %bb.0:
	.section	.rodata,"a",@progbits
	.p2align	6, 0x0
	.amdhsa_kernel _ZN7rocprim17ROCPRIM_400000_NS6detail17trampoline_kernelINS0_14default_configENS1_25partition_config_selectorILNS1_17partition_subalgoE3EiNS0_10empty_typeEbEEZZNS1_14partition_implILS5_3ELb0ES3_jN6thrust23THRUST_200600_302600_NS6detail15normal_iteratorINSA_7pointerIiNSA_11hip_rocprim3tagENSA_11use_defaultESG_EEEEPS6_SJ_NS0_5tupleIJPiSJ_EEENSK_IJSJ_SJ_EEES6_PlJ7is_evenIiEEEE10hipError_tPvRmT3_T4_T5_T6_T7_T9_mT8_P12ihipStream_tbDpT10_ENKUlT_T0_E_clISt17integral_constantIbLb1EES1A_EEDaS15_S16_EUlS15_E_NS1_11comp_targetILNS1_3genE2ELNS1_11target_archE906ELNS1_3gpuE6ELNS1_3repE0EEENS1_30default_config_static_selectorELNS0_4arch9wavefront6targetE1EEEvT1_
		.amdhsa_group_segment_fixed_size 0
		.amdhsa_private_segment_fixed_size 0
		.amdhsa_kernarg_size 136
		.amdhsa_user_sgpr_count 2
		.amdhsa_user_sgpr_dispatch_ptr 0
		.amdhsa_user_sgpr_queue_ptr 0
		.amdhsa_user_sgpr_kernarg_segment_ptr 1
		.amdhsa_user_sgpr_dispatch_id 0
		.amdhsa_user_sgpr_kernarg_preload_length 0
		.amdhsa_user_sgpr_kernarg_preload_offset 0
		.amdhsa_user_sgpr_private_segment_size 0
		.amdhsa_uses_dynamic_stack 0
		.amdhsa_enable_private_segment 0
		.amdhsa_system_sgpr_workgroup_id_x 1
		.amdhsa_system_sgpr_workgroup_id_y 0
		.amdhsa_system_sgpr_workgroup_id_z 0
		.amdhsa_system_sgpr_workgroup_info 0
		.amdhsa_system_vgpr_workitem_id 0
		.amdhsa_next_free_vgpr 1
		.amdhsa_next_free_sgpr 0
		.amdhsa_accum_offset 4
		.amdhsa_reserve_vcc 0
		.amdhsa_float_round_mode_32 0
		.amdhsa_float_round_mode_16_64 0
		.amdhsa_float_denorm_mode_32 3
		.amdhsa_float_denorm_mode_16_64 3
		.amdhsa_dx10_clamp 1
		.amdhsa_ieee_mode 1
		.amdhsa_fp16_overflow 0
		.amdhsa_tg_split 0
		.amdhsa_exception_fp_ieee_invalid_op 0
		.amdhsa_exception_fp_denorm_src 0
		.amdhsa_exception_fp_ieee_div_zero 0
		.amdhsa_exception_fp_ieee_overflow 0
		.amdhsa_exception_fp_ieee_underflow 0
		.amdhsa_exception_fp_ieee_inexact 0
		.amdhsa_exception_int_div_zero 0
	.end_amdhsa_kernel
	.section	.text._ZN7rocprim17ROCPRIM_400000_NS6detail17trampoline_kernelINS0_14default_configENS1_25partition_config_selectorILNS1_17partition_subalgoE3EiNS0_10empty_typeEbEEZZNS1_14partition_implILS5_3ELb0ES3_jN6thrust23THRUST_200600_302600_NS6detail15normal_iteratorINSA_7pointerIiNSA_11hip_rocprim3tagENSA_11use_defaultESG_EEEEPS6_SJ_NS0_5tupleIJPiSJ_EEENSK_IJSJ_SJ_EEES6_PlJ7is_evenIiEEEE10hipError_tPvRmT3_T4_T5_T6_T7_T9_mT8_P12ihipStream_tbDpT10_ENKUlT_T0_E_clISt17integral_constantIbLb1EES1A_EEDaS15_S16_EUlS15_E_NS1_11comp_targetILNS1_3genE2ELNS1_11target_archE906ELNS1_3gpuE6ELNS1_3repE0EEENS1_30default_config_static_selectorELNS0_4arch9wavefront6targetE1EEEvT1_,"axG",@progbits,_ZN7rocprim17ROCPRIM_400000_NS6detail17trampoline_kernelINS0_14default_configENS1_25partition_config_selectorILNS1_17partition_subalgoE3EiNS0_10empty_typeEbEEZZNS1_14partition_implILS5_3ELb0ES3_jN6thrust23THRUST_200600_302600_NS6detail15normal_iteratorINSA_7pointerIiNSA_11hip_rocprim3tagENSA_11use_defaultESG_EEEEPS6_SJ_NS0_5tupleIJPiSJ_EEENSK_IJSJ_SJ_EEES6_PlJ7is_evenIiEEEE10hipError_tPvRmT3_T4_T5_T6_T7_T9_mT8_P12ihipStream_tbDpT10_ENKUlT_T0_E_clISt17integral_constantIbLb1EES1A_EEDaS15_S16_EUlS15_E_NS1_11comp_targetILNS1_3genE2ELNS1_11target_archE906ELNS1_3gpuE6ELNS1_3repE0EEENS1_30default_config_static_selectorELNS0_4arch9wavefront6targetE1EEEvT1_,comdat
.Lfunc_end100:
	.size	_ZN7rocprim17ROCPRIM_400000_NS6detail17trampoline_kernelINS0_14default_configENS1_25partition_config_selectorILNS1_17partition_subalgoE3EiNS0_10empty_typeEbEEZZNS1_14partition_implILS5_3ELb0ES3_jN6thrust23THRUST_200600_302600_NS6detail15normal_iteratorINSA_7pointerIiNSA_11hip_rocprim3tagENSA_11use_defaultESG_EEEEPS6_SJ_NS0_5tupleIJPiSJ_EEENSK_IJSJ_SJ_EEES6_PlJ7is_evenIiEEEE10hipError_tPvRmT3_T4_T5_T6_T7_T9_mT8_P12ihipStream_tbDpT10_ENKUlT_T0_E_clISt17integral_constantIbLb1EES1A_EEDaS15_S16_EUlS15_E_NS1_11comp_targetILNS1_3genE2ELNS1_11target_archE906ELNS1_3gpuE6ELNS1_3repE0EEENS1_30default_config_static_selectorELNS0_4arch9wavefront6targetE1EEEvT1_, .Lfunc_end100-_ZN7rocprim17ROCPRIM_400000_NS6detail17trampoline_kernelINS0_14default_configENS1_25partition_config_selectorILNS1_17partition_subalgoE3EiNS0_10empty_typeEbEEZZNS1_14partition_implILS5_3ELb0ES3_jN6thrust23THRUST_200600_302600_NS6detail15normal_iteratorINSA_7pointerIiNSA_11hip_rocprim3tagENSA_11use_defaultESG_EEEEPS6_SJ_NS0_5tupleIJPiSJ_EEENSK_IJSJ_SJ_EEES6_PlJ7is_evenIiEEEE10hipError_tPvRmT3_T4_T5_T6_T7_T9_mT8_P12ihipStream_tbDpT10_ENKUlT_T0_E_clISt17integral_constantIbLb1EES1A_EEDaS15_S16_EUlS15_E_NS1_11comp_targetILNS1_3genE2ELNS1_11target_archE906ELNS1_3gpuE6ELNS1_3repE0EEENS1_30default_config_static_selectorELNS0_4arch9wavefront6targetE1EEEvT1_
                                        ; -- End function
	.section	.AMDGPU.csdata,"",@progbits
; Kernel info:
; codeLenInByte = 0
; NumSgprs: 6
; NumVgprs: 0
; NumAgprs: 0
; TotalNumVgprs: 0
; ScratchSize: 0
; MemoryBound: 0
; FloatMode: 240
; IeeeMode: 1
; LDSByteSize: 0 bytes/workgroup (compile time only)
; SGPRBlocks: 0
; VGPRBlocks: 0
; NumSGPRsForWavesPerEU: 6
; NumVGPRsForWavesPerEU: 1
; AccumOffset: 4
; Occupancy: 8
; WaveLimiterHint : 0
; COMPUTE_PGM_RSRC2:SCRATCH_EN: 0
; COMPUTE_PGM_RSRC2:USER_SGPR: 2
; COMPUTE_PGM_RSRC2:TRAP_HANDLER: 0
; COMPUTE_PGM_RSRC2:TGID_X_EN: 1
; COMPUTE_PGM_RSRC2:TGID_Y_EN: 0
; COMPUTE_PGM_RSRC2:TGID_Z_EN: 0
; COMPUTE_PGM_RSRC2:TIDIG_COMP_CNT: 0
; COMPUTE_PGM_RSRC3_GFX90A:ACCUM_OFFSET: 0
; COMPUTE_PGM_RSRC3_GFX90A:TG_SPLIT: 0
	.section	.text._ZN7rocprim17ROCPRIM_400000_NS6detail17trampoline_kernelINS0_14default_configENS1_25partition_config_selectorILNS1_17partition_subalgoE3EiNS0_10empty_typeEbEEZZNS1_14partition_implILS5_3ELb0ES3_jN6thrust23THRUST_200600_302600_NS6detail15normal_iteratorINSA_7pointerIiNSA_11hip_rocprim3tagENSA_11use_defaultESG_EEEEPS6_SJ_NS0_5tupleIJPiSJ_EEENSK_IJSJ_SJ_EEES6_PlJ7is_evenIiEEEE10hipError_tPvRmT3_T4_T5_T6_T7_T9_mT8_P12ihipStream_tbDpT10_ENKUlT_T0_E_clISt17integral_constantIbLb1EES1A_EEDaS15_S16_EUlS15_E_NS1_11comp_targetILNS1_3genE10ELNS1_11target_archE1200ELNS1_3gpuE4ELNS1_3repE0EEENS1_30default_config_static_selectorELNS0_4arch9wavefront6targetE1EEEvT1_,"axG",@progbits,_ZN7rocprim17ROCPRIM_400000_NS6detail17trampoline_kernelINS0_14default_configENS1_25partition_config_selectorILNS1_17partition_subalgoE3EiNS0_10empty_typeEbEEZZNS1_14partition_implILS5_3ELb0ES3_jN6thrust23THRUST_200600_302600_NS6detail15normal_iteratorINSA_7pointerIiNSA_11hip_rocprim3tagENSA_11use_defaultESG_EEEEPS6_SJ_NS0_5tupleIJPiSJ_EEENSK_IJSJ_SJ_EEES6_PlJ7is_evenIiEEEE10hipError_tPvRmT3_T4_T5_T6_T7_T9_mT8_P12ihipStream_tbDpT10_ENKUlT_T0_E_clISt17integral_constantIbLb1EES1A_EEDaS15_S16_EUlS15_E_NS1_11comp_targetILNS1_3genE10ELNS1_11target_archE1200ELNS1_3gpuE4ELNS1_3repE0EEENS1_30default_config_static_selectorELNS0_4arch9wavefront6targetE1EEEvT1_,comdat
	.protected	_ZN7rocprim17ROCPRIM_400000_NS6detail17trampoline_kernelINS0_14default_configENS1_25partition_config_selectorILNS1_17partition_subalgoE3EiNS0_10empty_typeEbEEZZNS1_14partition_implILS5_3ELb0ES3_jN6thrust23THRUST_200600_302600_NS6detail15normal_iteratorINSA_7pointerIiNSA_11hip_rocprim3tagENSA_11use_defaultESG_EEEEPS6_SJ_NS0_5tupleIJPiSJ_EEENSK_IJSJ_SJ_EEES6_PlJ7is_evenIiEEEE10hipError_tPvRmT3_T4_T5_T6_T7_T9_mT8_P12ihipStream_tbDpT10_ENKUlT_T0_E_clISt17integral_constantIbLb1EES1A_EEDaS15_S16_EUlS15_E_NS1_11comp_targetILNS1_3genE10ELNS1_11target_archE1200ELNS1_3gpuE4ELNS1_3repE0EEENS1_30default_config_static_selectorELNS0_4arch9wavefront6targetE1EEEvT1_ ; -- Begin function _ZN7rocprim17ROCPRIM_400000_NS6detail17trampoline_kernelINS0_14default_configENS1_25partition_config_selectorILNS1_17partition_subalgoE3EiNS0_10empty_typeEbEEZZNS1_14partition_implILS5_3ELb0ES3_jN6thrust23THRUST_200600_302600_NS6detail15normal_iteratorINSA_7pointerIiNSA_11hip_rocprim3tagENSA_11use_defaultESG_EEEEPS6_SJ_NS0_5tupleIJPiSJ_EEENSK_IJSJ_SJ_EEES6_PlJ7is_evenIiEEEE10hipError_tPvRmT3_T4_T5_T6_T7_T9_mT8_P12ihipStream_tbDpT10_ENKUlT_T0_E_clISt17integral_constantIbLb1EES1A_EEDaS15_S16_EUlS15_E_NS1_11comp_targetILNS1_3genE10ELNS1_11target_archE1200ELNS1_3gpuE4ELNS1_3repE0EEENS1_30default_config_static_selectorELNS0_4arch9wavefront6targetE1EEEvT1_
	.globl	_ZN7rocprim17ROCPRIM_400000_NS6detail17trampoline_kernelINS0_14default_configENS1_25partition_config_selectorILNS1_17partition_subalgoE3EiNS0_10empty_typeEbEEZZNS1_14partition_implILS5_3ELb0ES3_jN6thrust23THRUST_200600_302600_NS6detail15normal_iteratorINSA_7pointerIiNSA_11hip_rocprim3tagENSA_11use_defaultESG_EEEEPS6_SJ_NS0_5tupleIJPiSJ_EEENSK_IJSJ_SJ_EEES6_PlJ7is_evenIiEEEE10hipError_tPvRmT3_T4_T5_T6_T7_T9_mT8_P12ihipStream_tbDpT10_ENKUlT_T0_E_clISt17integral_constantIbLb1EES1A_EEDaS15_S16_EUlS15_E_NS1_11comp_targetILNS1_3genE10ELNS1_11target_archE1200ELNS1_3gpuE4ELNS1_3repE0EEENS1_30default_config_static_selectorELNS0_4arch9wavefront6targetE1EEEvT1_
	.p2align	8
	.type	_ZN7rocprim17ROCPRIM_400000_NS6detail17trampoline_kernelINS0_14default_configENS1_25partition_config_selectorILNS1_17partition_subalgoE3EiNS0_10empty_typeEbEEZZNS1_14partition_implILS5_3ELb0ES3_jN6thrust23THRUST_200600_302600_NS6detail15normal_iteratorINSA_7pointerIiNSA_11hip_rocprim3tagENSA_11use_defaultESG_EEEEPS6_SJ_NS0_5tupleIJPiSJ_EEENSK_IJSJ_SJ_EEES6_PlJ7is_evenIiEEEE10hipError_tPvRmT3_T4_T5_T6_T7_T9_mT8_P12ihipStream_tbDpT10_ENKUlT_T0_E_clISt17integral_constantIbLb1EES1A_EEDaS15_S16_EUlS15_E_NS1_11comp_targetILNS1_3genE10ELNS1_11target_archE1200ELNS1_3gpuE4ELNS1_3repE0EEENS1_30default_config_static_selectorELNS0_4arch9wavefront6targetE1EEEvT1_,@function
_ZN7rocprim17ROCPRIM_400000_NS6detail17trampoline_kernelINS0_14default_configENS1_25partition_config_selectorILNS1_17partition_subalgoE3EiNS0_10empty_typeEbEEZZNS1_14partition_implILS5_3ELb0ES3_jN6thrust23THRUST_200600_302600_NS6detail15normal_iteratorINSA_7pointerIiNSA_11hip_rocprim3tagENSA_11use_defaultESG_EEEEPS6_SJ_NS0_5tupleIJPiSJ_EEENSK_IJSJ_SJ_EEES6_PlJ7is_evenIiEEEE10hipError_tPvRmT3_T4_T5_T6_T7_T9_mT8_P12ihipStream_tbDpT10_ENKUlT_T0_E_clISt17integral_constantIbLb1EES1A_EEDaS15_S16_EUlS15_E_NS1_11comp_targetILNS1_3genE10ELNS1_11target_archE1200ELNS1_3gpuE4ELNS1_3repE0EEENS1_30default_config_static_selectorELNS0_4arch9wavefront6targetE1EEEvT1_: ; @_ZN7rocprim17ROCPRIM_400000_NS6detail17trampoline_kernelINS0_14default_configENS1_25partition_config_selectorILNS1_17partition_subalgoE3EiNS0_10empty_typeEbEEZZNS1_14partition_implILS5_3ELb0ES3_jN6thrust23THRUST_200600_302600_NS6detail15normal_iteratorINSA_7pointerIiNSA_11hip_rocprim3tagENSA_11use_defaultESG_EEEEPS6_SJ_NS0_5tupleIJPiSJ_EEENSK_IJSJ_SJ_EEES6_PlJ7is_evenIiEEEE10hipError_tPvRmT3_T4_T5_T6_T7_T9_mT8_P12ihipStream_tbDpT10_ENKUlT_T0_E_clISt17integral_constantIbLb1EES1A_EEDaS15_S16_EUlS15_E_NS1_11comp_targetILNS1_3genE10ELNS1_11target_archE1200ELNS1_3gpuE4ELNS1_3repE0EEENS1_30default_config_static_selectorELNS0_4arch9wavefront6targetE1EEEvT1_
; %bb.0:
	.section	.rodata,"a",@progbits
	.p2align	6, 0x0
	.amdhsa_kernel _ZN7rocprim17ROCPRIM_400000_NS6detail17trampoline_kernelINS0_14default_configENS1_25partition_config_selectorILNS1_17partition_subalgoE3EiNS0_10empty_typeEbEEZZNS1_14partition_implILS5_3ELb0ES3_jN6thrust23THRUST_200600_302600_NS6detail15normal_iteratorINSA_7pointerIiNSA_11hip_rocprim3tagENSA_11use_defaultESG_EEEEPS6_SJ_NS0_5tupleIJPiSJ_EEENSK_IJSJ_SJ_EEES6_PlJ7is_evenIiEEEE10hipError_tPvRmT3_T4_T5_T6_T7_T9_mT8_P12ihipStream_tbDpT10_ENKUlT_T0_E_clISt17integral_constantIbLb1EES1A_EEDaS15_S16_EUlS15_E_NS1_11comp_targetILNS1_3genE10ELNS1_11target_archE1200ELNS1_3gpuE4ELNS1_3repE0EEENS1_30default_config_static_selectorELNS0_4arch9wavefront6targetE1EEEvT1_
		.amdhsa_group_segment_fixed_size 0
		.amdhsa_private_segment_fixed_size 0
		.amdhsa_kernarg_size 136
		.amdhsa_user_sgpr_count 2
		.amdhsa_user_sgpr_dispatch_ptr 0
		.amdhsa_user_sgpr_queue_ptr 0
		.amdhsa_user_sgpr_kernarg_segment_ptr 1
		.amdhsa_user_sgpr_dispatch_id 0
		.amdhsa_user_sgpr_kernarg_preload_length 0
		.amdhsa_user_sgpr_kernarg_preload_offset 0
		.amdhsa_user_sgpr_private_segment_size 0
		.amdhsa_uses_dynamic_stack 0
		.amdhsa_enable_private_segment 0
		.amdhsa_system_sgpr_workgroup_id_x 1
		.amdhsa_system_sgpr_workgroup_id_y 0
		.amdhsa_system_sgpr_workgroup_id_z 0
		.amdhsa_system_sgpr_workgroup_info 0
		.amdhsa_system_vgpr_workitem_id 0
		.amdhsa_next_free_vgpr 1
		.amdhsa_next_free_sgpr 0
		.amdhsa_accum_offset 4
		.amdhsa_reserve_vcc 0
		.amdhsa_float_round_mode_32 0
		.amdhsa_float_round_mode_16_64 0
		.amdhsa_float_denorm_mode_32 3
		.amdhsa_float_denorm_mode_16_64 3
		.amdhsa_dx10_clamp 1
		.amdhsa_ieee_mode 1
		.amdhsa_fp16_overflow 0
		.amdhsa_tg_split 0
		.amdhsa_exception_fp_ieee_invalid_op 0
		.amdhsa_exception_fp_denorm_src 0
		.amdhsa_exception_fp_ieee_div_zero 0
		.amdhsa_exception_fp_ieee_overflow 0
		.amdhsa_exception_fp_ieee_underflow 0
		.amdhsa_exception_fp_ieee_inexact 0
		.amdhsa_exception_int_div_zero 0
	.end_amdhsa_kernel
	.section	.text._ZN7rocprim17ROCPRIM_400000_NS6detail17trampoline_kernelINS0_14default_configENS1_25partition_config_selectorILNS1_17partition_subalgoE3EiNS0_10empty_typeEbEEZZNS1_14partition_implILS5_3ELb0ES3_jN6thrust23THRUST_200600_302600_NS6detail15normal_iteratorINSA_7pointerIiNSA_11hip_rocprim3tagENSA_11use_defaultESG_EEEEPS6_SJ_NS0_5tupleIJPiSJ_EEENSK_IJSJ_SJ_EEES6_PlJ7is_evenIiEEEE10hipError_tPvRmT3_T4_T5_T6_T7_T9_mT8_P12ihipStream_tbDpT10_ENKUlT_T0_E_clISt17integral_constantIbLb1EES1A_EEDaS15_S16_EUlS15_E_NS1_11comp_targetILNS1_3genE10ELNS1_11target_archE1200ELNS1_3gpuE4ELNS1_3repE0EEENS1_30default_config_static_selectorELNS0_4arch9wavefront6targetE1EEEvT1_,"axG",@progbits,_ZN7rocprim17ROCPRIM_400000_NS6detail17trampoline_kernelINS0_14default_configENS1_25partition_config_selectorILNS1_17partition_subalgoE3EiNS0_10empty_typeEbEEZZNS1_14partition_implILS5_3ELb0ES3_jN6thrust23THRUST_200600_302600_NS6detail15normal_iteratorINSA_7pointerIiNSA_11hip_rocprim3tagENSA_11use_defaultESG_EEEEPS6_SJ_NS0_5tupleIJPiSJ_EEENSK_IJSJ_SJ_EEES6_PlJ7is_evenIiEEEE10hipError_tPvRmT3_T4_T5_T6_T7_T9_mT8_P12ihipStream_tbDpT10_ENKUlT_T0_E_clISt17integral_constantIbLb1EES1A_EEDaS15_S16_EUlS15_E_NS1_11comp_targetILNS1_3genE10ELNS1_11target_archE1200ELNS1_3gpuE4ELNS1_3repE0EEENS1_30default_config_static_selectorELNS0_4arch9wavefront6targetE1EEEvT1_,comdat
.Lfunc_end101:
	.size	_ZN7rocprim17ROCPRIM_400000_NS6detail17trampoline_kernelINS0_14default_configENS1_25partition_config_selectorILNS1_17partition_subalgoE3EiNS0_10empty_typeEbEEZZNS1_14partition_implILS5_3ELb0ES3_jN6thrust23THRUST_200600_302600_NS6detail15normal_iteratorINSA_7pointerIiNSA_11hip_rocprim3tagENSA_11use_defaultESG_EEEEPS6_SJ_NS0_5tupleIJPiSJ_EEENSK_IJSJ_SJ_EEES6_PlJ7is_evenIiEEEE10hipError_tPvRmT3_T4_T5_T6_T7_T9_mT8_P12ihipStream_tbDpT10_ENKUlT_T0_E_clISt17integral_constantIbLb1EES1A_EEDaS15_S16_EUlS15_E_NS1_11comp_targetILNS1_3genE10ELNS1_11target_archE1200ELNS1_3gpuE4ELNS1_3repE0EEENS1_30default_config_static_selectorELNS0_4arch9wavefront6targetE1EEEvT1_, .Lfunc_end101-_ZN7rocprim17ROCPRIM_400000_NS6detail17trampoline_kernelINS0_14default_configENS1_25partition_config_selectorILNS1_17partition_subalgoE3EiNS0_10empty_typeEbEEZZNS1_14partition_implILS5_3ELb0ES3_jN6thrust23THRUST_200600_302600_NS6detail15normal_iteratorINSA_7pointerIiNSA_11hip_rocprim3tagENSA_11use_defaultESG_EEEEPS6_SJ_NS0_5tupleIJPiSJ_EEENSK_IJSJ_SJ_EEES6_PlJ7is_evenIiEEEE10hipError_tPvRmT3_T4_T5_T6_T7_T9_mT8_P12ihipStream_tbDpT10_ENKUlT_T0_E_clISt17integral_constantIbLb1EES1A_EEDaS15_S16_EUlS15_E_NS1_11comp_targetILNS1_3genE10ELNS1_11target_archE1200ELNS1_3gpuE4ELNS1_3repE0EEENS1_30default_config_static_selectorELNS0_4arch9wavefront6targetE1EEEvT1_
                                        ; -- End function
	.section	.AMDGPU.csdata,"",@progbits
; Kernel info:
; codeLenInByte = 0
; NumSgprs: 6
; NumVgprs: 0
; NumAgprs: 0
; TotalNumVgprs: 0
; ScratchSize: 0
; MemoryBound: 0
; FloatMode: 240
; IeeeMode: 1
; LDSByteSize: 0 bytes/workgroup (compile time only)
; SGPRBlocks: 0
; VGPRBlocks: 0
; NumSGPRsForWavesPerEU: 6
; NumVGPRsForWavesPerEU: 1
; AccumOffset: 4
; Occupancy: 8
; WaveLimiterHint : 0
; COMPUTE_PGM_RSRC2:SCRATCH_EN: 0
; COMPUTE_PGM_RSRC2:USER_SGPR: 2
; COMPUTE_PGM_RSRC2:TRAP_HANDLER: 0
; COMPUTE_PGM_RSRC2:TGID_X_EN: 1
; COMPUTE_PGM_RSRC2:TGID_Y_EN: 0
; COMPUTE_PGM_RSRC2:TGID_Z_EN: 0
; COMPUTE_PGM_RSRC2:TIDIG_COMP_CNT: 0
; COMPUTE_PGM_RSRC3_GFX90A:ACCUM_OFFSET: 0
; COMPUTE_PGM_RSRC3_GFX90A:TG_SPLIT: 0
	.section	.text._ZN7rocprim17ROCPRIM_400000_NS6detail17trampoline_kernelINS0_14default_configENS1_25partition_config_selectorILNS1_17partition_subalgoE3EiNS0_10empty_typeEbEEZZNS1_14partition_implILS5_3ELb0ES3_jN6thrust23THRUST_200600_302600_NS6detail15normal_iteratorINSA_7pointerIiNSA_11hip_rocprim3tagENSA_11use_defaultESG_EEEEPS6_SJ_NS0_5tupleIJPiSJ_EEENSK_IJSJ_SJ_EEES6_PlJ7is_evenIiEEEE10hipError_tPvRmT3_T4_T5_T6_T7_T9_mT8_P12ihipStream_tbDpT10_ENKUlT_T0_E_clISt17integral_constantIbLb1EES1A_EEDaS15_S16_EUlS15_E_NS1_11comp_targetILNS1_3genE9ELNS1_11target_archE1100ELNS1_3gpuE3ELNS1_3repE0EEENS1_30default_config_static_selectorELNS0_4arch9wavefront6targetE1EEEvT1_,"axG",@progbits,_ZN7rocprim17ROCPRIM_400000_NS6detail17trampoline_kernelINS0_14default_configENS1_25partition_config_selectorILNS1_17partition_subalgoE3EiNS0_10empty_typeEbEEZZNS1_14partition_implILS5_3ELb0ES3_jN6thrust23THRUST_200600_302600_NS6detail15normal_iteratorINSA_7pointerIiNSA_11hip_rocprim3tagENSA_11use_defaultESG_EEEEPS6_SJ_NS0_5tupleIJPiSJ_EEENSK_IJSJ_SJ_EEES6_PlJ7is_evenIiEEEE10hipError_tPvRmT3_T4_T5_T6_T7_T9_mT8_P12ihipStream_tbDpT10_ENKUlT_T0_E_clISt17integral_constantIbLb1EES1A_EEDaS15_S16_EUlS15_E_NS1_11comp_targetILNS1_3genE9ELNS1_11target_archE1100ELNS1_3gpuE3ELNS1_3repE0EEENS1_30default_config_static_selectorELNS0_4arch9wavefront6targetE1EEEvT1_,comdat
	.protected	_ZN7rocprim17ROCPRIM_400000_NS6detail17trampoline_kernelINS0_14default_configENS1_25partition_config_selectorILNS1_17partition_subalgoE3EiNS0_10empty_typeEbEEZZNS1_14partition_implILS5_3ELb0ES3_jN6thrust23THRUST_200600_302600_NS6detail15normal_iteratorINSA_7pointerIiNSA_11hip_rocprim3tagENSA_11use_defaultESG_EEEEPS6_SJ_NS0_5tupleIJPiSJ_EEENSK_IJSJ_SJ_EEES6_PlJ7is_evenIiEEEE10hipError_tPvRmT3_T4_T5_T6_T7_T9_mT8_P12ihipStream_tbDpT10_ENKUlT_T0_E_clISt17integral_constantIbLb1EES1A_EEDaS15_S16_EUlS15_E_NS1_11comp_targetILNS1_3genE9ELNS1_11target_archE1100ELNS1_3gpuE3ELNS1_3repE0EEENS1_30default_config_static_selectorELNS0_4arch9wavefront6targetE1EEEvT1_ ; -- Begin function _ZN7rocprim17ROCPRIM_400000_NS6detail17trampoline_kernelINS0_14default_configENS1_25partition_config_selectorILNS1_17partition_subalgoE3EiNS0_10empty_typeEbEEZZNS1_14partition_implILS5_3ELb0ES3_jN6thrust23THRUST_200600_302600_NS6detail15normal_iteratorINSA_7pointerIiNSA_11hip_rocprim3tagENSA_11use_defaultESG_EEEEPS6_SJ_NS0_5tupleIJPiSJ_EEENSK_IJSJ_SJ_EEES6_PlJ7is_evenIiEEEE10hipError_tPvRmT3_T4_T5_T6_T7_T9_mT8_P12ihipStream_tbDpT10_ENKUlT_T0_E_clISt17integral_constantIbLb1EES1A_EEDaS15_S16_EUlS15_E_NS1_11comp_targetILNS1_3genE9ELNS1_11target_archE1100ELNS1_3gpuE3ELNS1_3repE0EEENS1_30default_config_static_selectorELNS0_4arch9wavefront6targetE1EEEvT1_
	.globl	_ZN7rocprim17ROCPRIM_400000_NS6detail17trampoline_kernelINS0_14default_configENS1_25partition_config_selectorILNS1_17partition_subalgoE3EiNS0_10empty_typeEbEEZZNS1_14partition_implILS5_3ELb0ES3_jN6thrust23THRUST_200600_302600_NS6detail15normal_iteratorINSA_7pointerIiNSA_11hip_rocprim3tagENSA_11use_defaultESG_EEEEPS6_SJ_NS0_5tupleIJPiSJ_EEENSK_IJSJ_SJ_EEES6_PlJ7is_evenIiEEEE10hipError_tPvRmT3_T4_T5_T6_T7_T9_mT8_P12ihipStream_tbDpT10_ENKUlT_T0_E_clISt17integral_constantIbLb1EES1A_EEDaS15_S16_EUlS15_E_NS1_11comp_targetILNS1_3genE9ELNS1_11target_archE1100ELNS1_3gpuE3ELNS1_3repE0EEENS1_30default_config_static_selectorELNS0_4arch9wavefront6targetE1EEEvT1_
	.p2align	8
	.type	_ZN7rocprim17ROCPRIM_400000_NS6detail17trampoline_kernelINS0_14default_configENS1_25partition_config_selectorILNS1_17partition_subalgoE3EiNS0_10empty_typeEbEEZZNS1_14partition_implILS5_3ELb0ES3_jN6thrust23THRUST_200600_302600_NS6detail15normal_iteratorINSA_7pointerIiNSA_11hip_rocprim3tagENSA_11use_defaultESG_EEEEPS6_SJ_NS0_5tupleIJPiSJ_EEENSK_IJSJ_SJ_EEES6_PlJ7is_evenIiEEEE10hipError_tPvRmT3_T4_T5_T6_T7_T9_mT8_P12ihipStream_tbDpT10_ENKUlT_T0_E_clISt17integral_constantIbLb1EES1A_EEDaS15_S16_EUlS15_E_NS1_11comp_targetILNS1_3genE9ELNS1_11target_archE1100ELNS1_3gpuE3ELNS1_3repE0EEENS1_30default_config_static_selectorELNS0_4arch9wavefront6targetE1EEEvT1_,@function
_ZN7rocprim17ROCPRIM_400000_NS6detail17trampoline_kernelINS0_14default_configENS1_25partition_config_selectorILNS1_17partition_subalgoE3EiNS0_10empty_typeEbEEZZNS1_14partition_implILS5_3ELb0ES3_jN6thrust23THRUST_200600_302600_NS6detail15normal_iteratorINSA_7pointerIiNSA_11hip_rocprim3tagENSA_11use_defaultESG_EEEEPS6_SJ_NS0_5tupleIJPiSJ_EEENSK_IJSJ_SJ_EEES6_PlJ7is_evenIiEEEE10hipError_tPvRmT3_T4_T5_T6_T7_T9_mT8_P12ihipStream_tbDpT10_ENKUlT_T0_E_clISt17integral_constantIbLb1EES1A_EEDaS15_S16_EUlS15_E_NS1_11comp_targetILNS1_3genE9ELNS1_11target_archE1100ELNS1_3gpuE3ELNS1_3repE0EEENS1_30default_config_static_selectorELNS0_4arch9wavefront6targetE1EEEvT1_: ; @_ZN7rocprim17ROCPRIM_400000_NS6detail17trampoline_kernelINS0_14default_configENS1_25partition_config_selectorILNS1_17partition_subalgoE3EiNS0_10empty_typeEbEEZZNS1_14partition_implILS5_3ELb0ES3_jN6thrust23THRUST_200600_302600_NS6detail15normal_iteratorINSA_7pointerIiNSA_11hip_rocprim3tagENSA_11use_defaultESG_EEEEPS6_SJ_NS0_5tupleIJPiSJ_EEENSK_IJSJ_SJ_EEES6_PlJ7is_evenIiEEEE10hipError_tPvRmT3_T4_T5_T6_T7_T9_mT8_P12ihipStream_tbDpT10_ENKUlT_T0_E_clISt17integral_constantIbLb1EES1A_EEDaS15_S16_EUlS15_E_NS1_11comp_targetILNS1_3genE9ELNS1_11target_archE1100ELNS1_3gpuE3ELNS1_3repE0EEENS1_30default_config_static_selectorELNS0_4arch9wavefront6targetE1EEEvT1_
; %bb.0:
	.section	.rodata,"a",@progbits
	.p2align	6, 0x0
	.amdhsa_kernel _ZN7rocprim17ROCPRIM_400000_NS6detail17trampoline_kernelINS0_14default_configENS1_25partition_config_selectorILNS1_17partition_subalgoE3EiNS0_10empty_typeEbEEZZNS1_14partition_implILS5_3ELb0ES3_jN6thrust23THRUST_200600_302600_NS6detail15normal_iteratorINSA_7pointerIiNSA_11hip_rocprim3tagENSA_11use_defaultESG_EEEEPS6_SJ_NS0_5tupleIJPiSJ_EEENSK_IJSJ_SJ_EEES6_PlJ7is_evenIiEEEE10hipError_tPvRmT3_T4_T5_T6_T7_T9_mT8_P12ihipStream_tbDpT10_ENKUlT_T0_E_clISt17integral_constantIbLb1EES1A_EEDaS15_S16_EUlS15_E_NS1_11comp_targetILNS1_3genE9ELNS1_11target_archE1100ELNS1_3gpuE3ELNS1_3repE0EEENS1_30default_config_static_selectorELNS0_4arch9wavefront6targetE1EEEvT1_
		.amdhsa_group_segment_fixed_size 0
		.amdhsa_private_segment_fixed_size 0
		.amdhsa_kernarg_size 136
		.amdhsa_user_sgpr_count 2
		.amdhsa_user_sgpr_dispatch_ptr 0
		.amdhsa_user_sgpr_queue_ptr 0
		.amdhsa_user_sgpr_kernarg_segment_ptr 1
		.amdhsa_user_sgpr_dispatch_id 0
		.amdhsa_user_sgpr_kernarg_preload_length 0
		.amdhsa_user_sgpr_kernarg_preload_offset 0
		.amdhsa_user_sgpr_private_segment_size 0
		.amdhsa_uses_dynamic_stack 0
		.amdhsa_enable_private_segment 0
		.amdhsa_system_sgpr_workgroup_id_x 1
		.amdhsa_system_sgpr_workgroup_id_y 0
		.amdhsa_system_sgpr_workgroup_id_z 0
		.amdhsa_system_sgpr_workgroup_info 0
		.amdhsa_system_vgpr_workitem_id 0
		.amdhsa_next_free_vgpr 1
		.amdhsa_next_free_sgpr 0
		.amdhsa_accum_offset 4
		.amdhsa_reserve_vcc 0
		.amdhsa_float_round_mode_32 0
		.amdhsa_float_round_mode_16_64 0
		.amdhsa_float_denorm_mode_32 3
		.amdhsa_float_denorm_mode_16_64 3
		.amdhsa_dx10_clamp 1
		.amdhsa_ieee_mode 1
		.amdhsa_fp16_overflow 0
		.amdhsa_tg_split 0
		.amdhsa_exception_fp_ieee_invalid_op 0
		.amdhsa_exception_fp_denorm_src 0
		.amdhsa_exception_fp_ieee_div_zero 0
		.amdhsa_exception_fp_ieee_overflow 0
		.amdhsa_exception_fp_ieee_underflow 0
		.amdhsa_exception_fp_ieee_inexact 0
		.amdhsa_exception_int_div_zero 0
	.end_amdhsa_kernel
	.section	.text._ZN7rocprim17ROCPRIM_400000_NS6detail17trampoline_kernelINS0_14default_configENS1_25partition_config_selectorILNS1_17partition_subalgoE3EiNS0_10empty_typeEbEEZZNS1_14partition_implILS5_3ELb0ES3_jN6thrust23THRUST_200600_302600_NS6detail15normal_iteratorINSA_7pointerIiNSA_11hip_rocprim3tagENSA_11use_defaultESG_EEEEPS6_SJ_NS0_5tupleIJPiSJ_EEENSK_IJSJ_SJ_EEES6_PlJ7is_evenIiEEEE10hipError_tPvRmT3_T4_T5_T6_T7_T9_mT8_P12ihipStream_tbDpT10_ENKUlT_T0_E_clISt17integral_constantIbLb1EES1A_EEDaS15_S16_EUlS15_E_NS1_11comp_targetILNS1_3genE9ELNS1_11target_archE1100ELNS1_3gpuE3ELNS1_3repE0EEENS1_30default_config_static_selectorELNS0_4arch9wavefront6targetE1EEEvT1_,"axG",@progbits,_ZN7rocprim17ROCPRIM_400000_NS6detail17trampoline_kernelINS0_14default_configENS1_25partition_config_selectorILNS1_17partition_subalgoE3EiNS0_10empty_typeEbEEZZNS1_14partition_implILS5_3ELb0ES3_jN6thrust23THRUST_200600_302600_NS6detail15normal_iteratorINSA_7pointerIiNSA_11hip_rocprim3tagENSA_11use_defaultESG_EEEEPS6_SJ_NS0_5tupleIJPiSJ_EEENSK_IJSJ_SJ_EEES6_PlJ7is_evenIiEEEE10hipError_tPvRmT3_T4_T5_T6_T7_T9_mT8_P12ihipStream_tbDpT10_ENKUlT_T0_E_clISt17integral_constantIbLb1EES1A_EEDaS15_S16_EUlS15_E_NS1_11comp_targetILNS1_3genE9ELNS1_11target_archE1100ELNS1_3gpuE3ELNS1_3repE0EEENS1_30default_config_static_selectorELNS0_4arch9wavefront6targetE1EEEvT1_,comdat
.Lfunc_end102:
	.size	_ZN7rocprim17ROCPRIM_400000_NS6detail17trampoline_kernelINS0_14default_configENS1_25partition_config_selectorILNS1_17partition_subalgoE3EiNS0_10empty_typeEbEEZZNS1_14partition_implILS5_3ELb0ES3_jN6thrust23THRUST_200600_302600_NS6detail15normal_iteratorINSA_7pointerIiNSA_11hip_rocprim3tagENSA_11use_defaultESG_EEEEPS6_SJ_NS0_5tupleIJPiSJ_EEENSK_IJSJ_SJ_EEES6_PlJ7is_evenIiEEEE10hipError_tPvRmT3_T4_T5_T6_T7_T9_mT8_P12ihipStream_tbDpT10_ENKUlT_T0_E_clISt17integral_constantIbLb1EES1A_EEDaS15_S16_EUlS15_E_NS1_11comp_targetILNS1_3genE9ELNS1_11target_archE1100ELNS1_3gpuE3ELNS1_3repE0EEENS1_30default_config_static_selectorELNS0_4arch9wavefront6targetE1EEEvT1_, .Lfunc_end102-_ZN7rocprim17ROCPRIM_400000_NS6detail17trampoline_kernelINS0_14default_configENS1_25partition_config_selectorILNS1_17partition_subalgoE3EiNS0_10empty_typeEbEEZZNS1_14partition_implILS5_3ELb0ES3_jN6thrust23THRUST_200600_302600_NS6detail15normal_iteratorINSA_7pointerIiNSA_11hip_rocprim3tagENSA_11use_defaultESG_EEEEPS6_SJ_NS0_5tupleIJPiSJ_EEENSK_IJSJ_SJ_EEES6_PlJ7is_evenIiEEEE10hipError_tPvRmT3_T4_T5_T6_T7_T9_mT8_P12ihipStream_tbDpT10_ENKUlT_T0_E_clISt17integral_constantIbLb1EES1A_EEDaS15_S16_EUlS15_E_NS1_11comp_targetILNS1_3genE9ELNS1_11target_archE1100ELNS1_3gpuE3ELNS1_3repE0EEENS1_30default_config_static_selectorELNS0_4arch9wavefront6targetE1EEEvT1_
                                        ; -- End function
	.section	.AMDGPU.csdata,"",@progbits
; Kernel info:
; codeLenInByte = 0
; NumSgprs: 6
; NumVgprs: 0
; NumAgprs: 0
; TotalNumVgprs: 0
; ScratchSize: 0
; MemoryBound: 0
; FloatMode: 240
; IeeeMode: 1
; LDSByteSize: 0 bytes/workgroup (compile time only)
; SGPRBlocks: 0
; VGPRBlocks: 0
; NumSGPRsForWavesPerEU: 6
; NumVGPRsForWavesPerEU: 1
; AccumOffset: 4
; Occupancy: 8
; WaveLimiterHint : 0
; COMPUTE_PGM_RSRC2:SCRATCH_EN: 0
; COMPUTE_PGM_RSRC2:USER_SGPR: 2
; COMPUTE_PGM_RSRC2:TRAP_HANDLER: 0
; COMPUTE_PGM_RSRC2:TGID_X_EN: 1
; COMPUTE_PGM_RSRC2:TGID_Y_EN: 0
; COMPUTE_PGM_RSRC2:TGID_Z_EN: 0
; COMPUTE_PGM_RSRC2:TIDIG_COMP_CNT: 0
; COMPUTE_PGM_RSRC3_GFX90A:ACCUM_OFFSET: 0
; COMPUTE_PGM_RSRC3_GFX90A:TG_SPLIT: 0
	.section	.text._ZN7rocprim17ROCPRIM_400000_NS6detail17trampoline_kernelINS0_14default_configENS1_25partition_config_selectorILNS1_17partition_subalgoE3EiNS0_10empty_typeEbEEZZNS1_14partition_implILS5_3ELb0ES3_jN6thrust23THRUST_200600_302600_NS6detail15normal_iteratorINSA_7pointerIiNSA_11hip_rocprim3tagENSA_11use_defaultESG_EEEEPS6_SJ_NS0_5tupleIJPiSJ_EEENSK_IJSJ_SJ_EEES6_PlJ7is_evenIiEEEE10hipError_tPvRmT3_T4_T5_T6_T7_T9_mT8_P12ihipStream_tbDpT10_ENKUlT_T0_E_clISt17integral_constantIbLb1EES1A_EEDaS15_S16_EUlS15_E_NS1_11comp_targetILNS1_3genE8ELNS1_11target_archE1030ELNS1_3gpuE2ELNS1_3repE0EEENS1_30default_config_static_selectorELNS0_4arch9wavefront6targetE1EEEvT1_,"axG",@progbits,_ZN7rocprim17ROCPRIM_400000_NS6detail17trampoline_kernelINS0_14default_configENS1_25partition_config_selectorILNS1_17partition_subalgoE3EiNS0_10empty_typeEbEEZZNS1_14partition_implILS5_3ELb0ES3_jN6thrust23THRUST_200600_302600_NS6detail15normal_iteratorINSA_7pointerIiNSA_11hip_rocprim3tagENSA_11use_defaultESG_EEEEPS6_SJ_NS0_5tupleIJPiSJ_EEENSK_IJSJ_SJ_EEES6_PlJ7is_evenIiEEEE10hipError_tPvRmT3_T4_T5_T6_T7_T9_mT8_P12ihipStream_tbDpT10_ENKUlT_T0_E_clISt17integral_constantIbLb1EES1A_EEDaS15_S16_EUlS15_E_NS1_11comp_targetILNS1_3genE8ELNS1_11target_archE1030ELNS1_3gpuE2ELNS1_3repE0EEENS1_30default_config_static_selectorELNS0_4arch9wavefront6targetE1EEEvT1_,comdat
	.protected	_ZN7rocprim17ROCPRIM_400000_NS6detail17trampoline_kernelINS0_14default_configENS1_25partition_config_selectorILNS1_17partition_subalgoE3EiNS0_10empty_typeEbEEZZNS1_14partition_implILS5_3ELb0ES3_jN6thrust23THRUST_200600_302600_NS6detail15normal_iteratorINSA_7pointerIiNSA_11hip_rocprim3tagENSA_11use_defaultESG_EEEEPS6_SJ_NS0_5tupleIJPiSJ_EEENSK_IJSJ_SJ_EEES6_PlJ7is_evenIiEEEE10hipError_tPvRmT3_T4_T5_T6_T7_T9_mT8_P12ihipStream_tbDpT10_ENKUlT_T0_E_clISt17integral_constantIbLb1EES1A_EEDaS15_S16_EUlS15_E_NS1_11comp_targetILNS1_3genE8ELNS1_11target_archE1030ELNS1_3gpuE2ELNS1_3repE0EEENS1_30default_config_static_selectorELNS0_4arch9wavefront6targetE1EEEvT1_ ; -- Begin function _ZN7rocprim17ROCPRIM_400000_NS6detail17trampoline_kernelINS0_14default_configENS1_25partition_config_selectorILNS1_17partition_subalgoE3EiNS0_10empty_typeEbEEZZNS1_14partition_implILS5_3ELb0ES3_jN6thrust23THRUST_200600_302600_NS6detail15normal_iteratorINSA_7pointerIiNSA_11hip_rocprim3tagENSA_11use_defaultESG_EEEEPS6_SJ_NS0_5tupleIJPiSJ_EEENSK_IJSJ_SJ_EEES6_PlJ7is_evenIiEEEE10hipError_tPvRmT3_T4_T5_T6_T7_T9_mT8_P12ihipStream_tbDpT10_ENKUlT_T0_E_clISt17integral_constantIbLb1EES1A_EEDaS15_S16_EUlS15_E_NS1_11comp_targetILNS1_3genE8ELNS1_11target_archE1030ELNS1_3gpuE2ELNS1_3repE0EEENS1_30default_config_static_selectorELNS0_4arch9wavefront6targetE1EEEvT1_
	.globl	_ZN7rocprim17ROCPRIM_400000_NS6detail17trampoline_kernelINS0_14default_configENS1_25partition_config_selectorILNS1_17partition_subalgoE3EiNS0_10empty_typeEbEEZZNS1_14partition_implILS5_3ELb0ES3_jN6thrust23THRUST_200600_302600_NS6detail15normal_iteratorINSA_7pointerIiNSA_11hip_rocprim3tagENSA_11use_defaultESG_EEEEPS6_SJ_NS0_5tupleIJPiSJ_EEENSK_IJSJ_SJ_EEES6_PlJ7is_evenIiEEEE10hipError_tPvRmT3_T4_T5_T6_T7_T9_mT8_P12ihipStream_tbDpT10_ENKUlT_T0_E_clISt17integral_constantIbLb1EES1A_EEDaS15_S16_EUlS15_E_NS1_11comp_targetILNS1_3genE8ELNS1_11target_archE1030ELNS1_3gpuE2ELNS1_3repE0EEENS1_30default_config_static_selectorELNS0_4arch9wavefront6targetE1EEEvT1_
	.p2align	8
	.type	_ZN7rocprim17ROCPRIM_400000_NS6detail17trampoline_kernelINS0_14default_configENS1_25partition_config_selectorILNS1_17partition_subalgoE3EiNS0_10empty_typeEbEEZZNS1_14partition_implILS5_3ELb0ES3_jN6thrust23THRUST_200600_302600_NS6detail15normal_iteratorINSA_7pointerIiNSA_11hip_rocprim3tagENSA_11use_defaultESG_EEEEPS6_SJ_NS0_5tupleIJPiSJ_EEENSK_IJSJ_SJ_EEES6_PlJ7is_evenIiEEEE10hipError_tPvRmT3_T4_T5_T6_T7_T9_mT8_P12ihipStream_tbDpT10_ENKUlT_T0_E_clISt17integral_constantIbLb1EES1A_EEDaS15_S16_EUlS15_E_NS1_11comp_targetILNS1_3genE8ELNS1_11target_archE1030ELNS1_3gpuE2ELNS1_3repE0EEENS1_30default_config_static_selectorELNS0_4arch9wavefront6targetE1EEEvT1_,@function
_ZN7rocprim17ROCPRIM_400000_NS6detail17trampoline_kernelINS0_14default_configENS1_25partition_config_selectorILNS1_17partition_subalgoE3EiNS0_10empty_typeEbEEZZNS1_14partition_implILS5_3ELb0ES3_jN6thrust23THRUST_200600_302600_NS6detail15normal_iteratorINSA_7pointerIiNSA_11hip_rocprim3tagENSA_11use_defaultESG_EEEEPS6_SJ_NS0_5tupleIJPiSJ_EEENSK_IJSJ_SJ_EEES6_PlJ7is_evenIiEEEE10hipError_tPvRmT3_T4_T5_T6_T7_T9_mT8_P12ihipStream_tbDpT10_ENKUlT_T0_E_clISt17integral_constantIbLb1EES1A_EEDaS15_S16_EUlS15_E_NS1_11comp_targetILNS1_3genE8ELNS1_11target_archE1030ELNS1_3gpuE2ELNS1_3repE0EEENS1_30default_config_static_selectorELNS0_4arch9wavefront6targetE1EEEvT1_: ; @_ZN7rocprim17ROCPRIM_400000_NS6detail17trampoline_kernelINS0_14default_configENS1_25partition_config_selectorILNS1_17partition_subalgoE3EiNS0_10empty_typeEbEEZZNS1_14partition_implILS5_3ELb0ES3_jN6thrust23THRUST_200600_302600_NS6detail15normal_iteratorINSA_7pointerIiNSA_11hip_rocprim3tagENSA_11use_defaultESG_EEEEPS6_SJ_NS0_5tupleIJPiSJ_EEENSK_IJSJ_SJ_EEES6_PlJ7is_evenIiEEEE10hipError_tPvRmT3_T4_T5_T6_T7_T9_mT8_P12ihipStream_tbDpT10_ENKUlT_T0_E_clISt17integral_constantIbLb1EES1A_EEDaS15_S16_EUlS15_E_NS1_11comp_targetILNS1_3genE8ELNS1_11target_archE1030ELNS1_3gpuE2ELNS1_3repE0EEENS1_30default_config_static_selectorELNS0_4arch9wavefront6targetE1EEEvT1_
; %bb.0:
	.section	.rodata,"a",@progbits
	.p2align	6, 0x0
	.amdhsa_kernel _ZN7rocprim17ROCPRIM_400000_NS6detail17trampoline_kernelINS0_14default_configENS1_25partition_config_selectorILNS1_17partition_subalgoE3EiNS0_10empty_typeEbEEZZNS1_14partition_implILS5_3ELb0ES3_jN6thrust23THRUST_200600_302600_NS6detail15normal_iteratorINSA_7pointerIiNSA_11hip_rocprim3tagENSA_11use_defaultESG_EEEEPS6_SJ_NS0_5tupleIJPiSJ_EEENSK_IJSJ_SJ_EEES6_PlJ7is_evenIiEEEE10hipError_tPvRmT3_T4_T5_T6_T7_T9_mT8_P12ihipStream_tbDpT10_ENKUlT_T0_E_clISt17integral_constantIbLb1EES1A_EEDaS15_S16_EUlS15_E_NS1_11comp_targetILNS1_3genE8ELNS1_11target_archE1030ELNS1_3gpuE2ELNS1_3repE0EEENS1_30default_config_static_selectorELNS0_4arch9wavefront6targetE1EEEvT1_
		.amdhsa_group_segment_fixed_size 0
		.amdhsa_private_segment_fixed_size 0
		.amdhsa_kernarg_size 136
		.amdhsa_user_sgpr_count 2
		.amdhsa_user_sgpr_dispatch_ptr 0
		.amdhsa_user_sgpr_queue_ptr 0
		.amdhsa_user_sgpr_kernarg_segment_ptr 1
		.amdhsa_user_sgpr_dispatch_id 0
		.amdhsa_user_sgpr_kernarg_preload_length 0
		.amdhsa_user_sgpr_kernarg_preload_offset 0
		.amdhsa_user_sgpr_private_segment_size 0
		.amdhsa_uses_dynamic_stack 0
		.amdhsa_enable_private_segment 0
		.amdhsa_system_sgpr_workgroup_id_x 1
		.amdhsa_system_sgpr_workgroup_id_y 0
		.amdhsa_system_sgpr_workgroup_id_z 0
		.amdhsa_system_sgpr_workgroup_info 0
		.amdhsa_system_vgpr_workitem_id 0
		.amdhsa_next_free_vgpr 1
		.amdhsa_next_free_sgpr 0
		.amdhsa_accum_offset 4
		.amdhsa_reserve_vcc 0
		.amdhsa_float_round_mode_32 0
		.amdhsa_float_round_mode_16_64 0
		.amdhsa_float_denorm_mode_32 3
		.amdhsa_float_denorm_mode_16_64 3
		.amdhsa_dx10_clamp 1
		.amdhsa_ieee_mode 1
		.amdhsa_fp16_overflow 0
		.amdhsa_tg_split 0
		.amdhsa_exception_fp_ieee_invalid_op 0
		.amdhsa_exception_fp_denorm_src 0
		.amdhsa_exception_fp_ieee_div_zero 0
		.amdhsa_exception_fp_ieee_overflow 0
		.amdhsa_exception_fp_ieee_underflow 0
		.amdhsa_exception_fp_ieee_inexact 0
		.amdhsa_exception_int_div_zero 0
	.end_amdhsa_kernel
	.section	.text._ZN7rocprim17ROCPRIM_400000_NS6detail17trampoline_kernelINS0_14default_configENS1_25partition_config_selectorILNS1_17partition_subalgoE3EiNS0_10empty_typeEbEEZZNS1_14partition_implILS5_3ELb0ES3_jN6thrust23THRUST_200600_302600_NS6detail15normal_iteratorINSA_7pointerIiNSA_11hip_rocprim3tagENSA_11use_defaultESG_EEEEPS6_SJ_NS0_5tupleIJPiSJ_EEENSK_IJSJ_SJ_EEES6_PlJ7is_evenIiEEEE10hipError_tPvRmT3_T4_T5_T6_T7_T9_mT8_P12ihipStream_tbDpT10_ENKUlT_T0_E_clISt17integral_constantIbLb1EES1A_EEDaS15_S16_EUlS15_E_NS1_11comp_targetILNS1_3genE8ELNS1_11target_archE1030ELNS1_3gpuE2ELNS1_3repE0EEENS1_30default_config_static_selectorELNS0_4arch9wavefront6targetE1EEEvT1_,"axG",@progbits,_ZN7rocprim17ROCPRIM_400000_NS6detail17trampoline_kernelINS0_14default_configENS1_25partition_config_selectorILNS1_17partition_subalgoE3EiNS0_10empty_typeEbEEZZNS1_14partition_implILS5_3ELb0ES3_jN6thrust23THRUST_200600_302600_NS6detail15normal_iteratorINSA_7pointerIiNSA_11hip_rocprim3tagENSA_11use_defaultESG_EEEEPS6_SJ_NS0_5tupleIJPiSJ_EEENSK_IJSJ_SJ_EEES6_PlJ7is_evenIiEEEE10hipError_tPvRmT3_T4_T5_T6_T7_T9_mT8_P12ihipStream_tbDpT10_ENKUlT_T0_E_clISt17integral_constantIbLb1EES1A_EEDaS15_S16_EUlS15_E_NS1_11comp_targetILNS1_3genE8ELNS1_11target_archE1030ELNS1_3gpuE2ELNS1_3repE0EEENS1_30default_config_static_selectorELNS0_4arch9wavefront6targetE1EEEvT1_,comdat
.Lfunc_end103:
	.size	_ZN7rocprim17ROCPRIM_400000_NS6detail17trampoline_kernelINS0_14default_configENS1_25partition_config_selectorILNS1_17partition_subalgoE3EiNS0_10empty_typeEbEEZZNS1_14partition_implILS5_3ELb0ES3_jN6thrust23THRUST_200600_302600_NS6detail15normal_iteratorINSA_7pointerIiNSA_11hip_rocprim3tagENSA_11use_defaultESG_EEEEPS6_SJ_NS0_5tupleIJPiSJ_EEENSK_IJSJ_SJ_EEES6_PlJ7is_evenIiEEEE10hipError_tPvRmT3_T4_T5_T6_T7_T9_mT8_P12ihipStream_tbDpT10_ENKUlT_T0_E_clISt17integral_constantIbLb1EES1A_EEDaS15_S16_EUlS15_E_NS1_11comp_targetILNS1_3genE8ELNS1_11target_archE1030ELNS1_3gpuE2ELNS1_3repE0EEENS1_30default_config_static_selectorELNS0_4arch9wavefront6targetE1EEEvT1_, .Lfunc_end103-_ZN7rocprim17ROCPRIM_400000_NS6detail17trampoline_kernelINS0_14default_configENS1_25partition_config_selectorILNS1_17partition_subalgoE3EiNS0_10empty_typeEbEEZZNS1_14partition_implILS5_3ELb0ES3_jN6thrust23THRUST_200600_302600_NS6detail15normal_iteratorINSA_7pointerIiNSA_11hip_rocprim3tagENSA_11use_defaultESG_EEEEPS6_SJ_NS0_5tupleIJPiSJ_EEENSK_IJSJ_SJ_EEES6_PlJ7is_evenIiEEEE10hipError_tPvRmT3_T4_T5_T6_T7_T9_mT8_P12ihipStream_tbDpT10_ENKUlT_T0_E_clISt17integral_constantIbLb1EES1A_EEDaS15_S16_EUlS15_E_NS1_11comp_targetILNS1_3genE8ELNS1_11target_archE1030ELNS1_3gpuE2ELNS1_3repE0EEENS1_30default_config_static_selectorELNS0_4arch9wavefront6targetE1EEEvT1_
                                        ; -- End function
	.section	.AMDGPU.csdata,"",@progbits
; Kernel info:
; codeLenInByte = 0
; NumSgprs: 6
; NumVgprs: 0
; NumAgprs: 0
; TotalNumVgprs: 0
; ScratchSize: 0
; MemoryBound: 0
; FloatMode: 240
; IeeeMode: 1
; LDSByteSize: 0 bytes/workgroup (compile time only)
; SGPRBlocks: 0
; VGPRBlocks: 0
; NumSGPRsForWavesPerEU: 6
; NumVGPRsForWavesPerEU: 1
; AccumOffset: 4
; Occupancy: 8
; WaveLimiterHint : 0
; COMPUTE_PGM_RSRC2:SCRATCH_EN: 0
; COMPUTE_PGM_RSRC2:USER_SGPR: 2
; COMPUTE_PGM_RSRC2:TRAP_HANDLER: 0
; COMPUTE_PGM_RSRC2:TGID_X_EN: 1
; COMPUTE_PGM_RSRC2:TGID_Y_EN: 0
; COMPUTE_PGM_RSRC2:TGID_Z_EN: 0
; COMPUTE_PGM_RSRC2:TIDIG_COMP_CNT: 0
; COMPUTE_PGM_RSRC3_GFX90A:ACCUM_OFFSET: 0
; COMPUTE_PGM_RSRC3_GFX90A:TG_SPLIT: 0
	.section	.text._ZN7rocprim17ROCPRIM_400000_NS6detail17trampoline_kernelINS0_14default_configENS1_25partition_config_selectorILNS1_17partition_subalgoE3EiNS0_10empty_typeEbEEZZNS1_14partition_implILS5_3ELb0ES3_jN6thrust23THRUST_200600_302600_NS6detail15normal_iteratorINSA_7pointerIiNSA_11hip_rocprim3tagENSA_11use_defaultESG_EEEEPS6_SJ_NS0_5tupleIJPiSJ_EEENSK_IJSJ_SJ_EEES6_PlJ7is_evenIiEEEE10hipError_tPvRmT3_T4_T5_T6_T7_T9_mT8_P12ihipStream_tbDpT10_ENKUlT_T0_E_clISt17integral_constantIbLb1EES19_IbLb0EEEEDaS15_S16_EUlS15_E_NS1_11comp_targetILNS1_3genE0ELNS1_11target_archE4294967295ELNS1_3gpuE0ELNS1_3repE0EEENS1_30default_config_static_selectorELNS0_4arch9wavefront6targetE1EEEvT1_,"axG",@progbits,_ZN7rocprim17ROCPRIM_400000_NS6detail17trampoline_kernelINS0_14default_configENS1_25partition_config_selectorILNS1_17partition_subalgoE3EiNS0_10empty_typeEbEEZZNS1_14partition_implILS5_3ELb0ES3_jN6thrust23THRUST_200600_302600_NS6detail15normal_iteratorINSA_7pointerIiNSA_11hip_rocprim3tagENSA_11use_defaultESG_EEEEPS6_SJ_NS0_5tupleIJPiSJ_EEENSK_IJSJ_SJ_EEES6_PlJ7is_evenIiEEEE10hipError_tPvRmT3_T4_T5_T6_T7_T9_mT8_P12ihipStream_tbDpT10_ENKUlT_T0_E_clISt17integral_constantIbLb1EES19_IbLb0EEEEDaS15_S16_EUlS15_E_NS1_11comp_targetILNS1_3genE0ELNS1_11target_archE4294967295ELNS1_3gpuE0ELNS1_3repE0EEENS1_30default_config_static_selectorELNS0_4arch9wavefront6targetE1EEEvT1_,comdat
	.protected	_ZN7rocprim17ROCPRIM_400000_NS6detail17trampoline_kernelINS0_14default_configENS1_25partition_config_selectorILNS1_17partition_subalgoE3EiNS0_10empty_typeEbEEZZNS1_14partition_implILS5_3ELb0ES3_jN6thrust23THRUST_200600_302600_NS6detail15normal_iteratorINSA_7pointerIiNSA_11hip_rocprim3tagENSA_11use_defaultESG_EEEEPS6_SJ_NS0_5tupleIJPiSJ_EEENSK_IJSJ_SJ_EEES6_PlJ7is_evenIiEEEE10hipError_tPvRmT3_T4_T5_T6_T7_T9_mT8_P12ihipStream_tbDpT10_ENKUlT_T0_E_clISt17integral_constantIbLb1EES19_IbLb0EEEEDaS15_S16_EUlS15_E_NS1_11comp_targetILNS1_3genE0ELNS1_11target_archE4294967295ELNS1_3gpuE0ELNS1_3repE0EEENS1_30default_config_static_selectorELNS0_4arch9wavefront6targetE1EEEvT1_ ; -- Begin function _ZN7rocprim17ROCPRIM_400000_NS6detail17trampoline_kernelINS0_14default_configENS1_25partition_config_selectorILNS1_17partition_subalgoE3EiNS0_10empty_typeEbEEZZNS1_14partition_implILS5_3ELb0ES3_jN6thrust23THRUST_200600_302600_NS6detail15normal_iteratorINSA_7pointerIiNSA_11hip_rocprim3tagENSA_11use_defaultESG_EEEEPS6_SJ_NS0_5tupleIJPiSJ_EEENSK_IJSJ_SJ_EEES6_PlJ7is_evenIiEEEE10hipError_tPvRmT3_T4_T5_T6_T7_T9_mT8_P12ihipStream_tbDpT10_ENKUlT_T0_E_clISt17integral_constantIbLb1EES19_IbLb0EEEEDaS15_S16_EUlS15_E_NS1_11comp_targetILNS1_3genE0ELNS1_11target_archE4294967295ELNS1_3gpuE0ELNS1_3repE0EEENS1_30default_config_static_selectorELNS0_4arch9wavefront6targetE1EEEvT1_
	.globl	_ZN7rocprim17ROCPRIM_400000_NS6detail17trampoline_kernelINS0_14default_configENS1_25partition_config_selectorILNS1_17partition_subalgoE3EiNS0_10empty_typeEbEEZZNS1_14partition_implILS5_3ELb0ES3_jN6thrust23THRUST_200600_302600_NS6detail15normal_iteratorINSA_7pointerIiNSA_11hip_rocprim3tagENSA_11use_defaultESG_EEEEPS6_SJ_NS0_5tupleIJPiSJ_EEENSK_IJSJ_SJ_EEES6_PlJ7is_evenIiEEEE10hipError_tPvRmT3_T4_T5_T6_T7_T9_mT8_P12ihipStream_tbDpT10_ENKUlT_T0_E_clISt17integral_constantIbLb1EES19_IbLb0EEEEDaS15_S16_EUlS15_E_NS1_11comp_targetILNS1_3genE0ELNS1_11target_archE4294967295ELNS1_3gpuE0ELNS1_3repE0EEENS1_30default_config_static_selectorELNS0_4arch9wavefront6targetE1EEEvT1_
	.p2align	8
	.type	_ZN7rocprim17ROCPRIM_400000_NS6detail17trampoline_kernelINS0_14default_configENS1_25partition_config_selectorILNS1_17partition_subalgoE3EiNS0_10empty_typeEbEEZZNS1_14partition_implILS5_3ELb0ES3_jN6thrust23THRUST_200600_302600_NS6detail15normal_iteratorINSA_7pointerIiNSA_11hip_rocprim3tagENSA_11use_defaultESG_EEEEPS6_SJ_NS0_5tupleIJPiSJ_EEENSK_IJSJ_SJ_EEES6_PlJ7is_evenIiEEEE10hipError_tPvRmT3_T4_T5_T6_T7_T9_mT8_P12ihipStream_tbDpT10_ENKUlT_T0_E_clISt17integral_constantIbLb1EES19_IbLb0EEEEDaS15_S16_EUlS15_E_NS1_11comp_targetILNS1_3genE0ELNS1_11target_archE4294967295ELNS1_3gpuE0ELNS1_3repE0EEENS1_30default_config_static_selectorELNS0_4arch9wavefront6targetE1EEEvT1_,@function
_ZN7rocprim17ROCPRIM_400000_NS6detail17trampoline_kernelINS0_14default_configENS1_25partition_config_selectorILNS1_17partition_subalgoE3EiNS0_10empty_typeEbEEZZNS1_14partition_implILS5_3ELb0ES3_jN6thrust23THRUST_200600_302600_NS6detail15normal_iteratorINSA_7pointerIiNSA_11hip_rocprim3tagENSA_11use_defaultESG_EEEEPS6_SJ_NS0_5tupleIJPiSJ_EEENSK_IJSJ_SJ_EEES6_PlJ7is_evenIiEEEE10hipError_tPvRmT3_T4_T5_T6_T7_T9_mT8_P12ihipStream_tbDpT10_ENKUlT_T0_E_clISt17integral_constantIbLb1EES19_IbLb0EEEEDaS15_S16_EUlS15_E_NS1_11comp_targetILNS1_3genE0ELNS1_11target_archE4294967295ELNS1_3gpuE0ELNS1_3repE0EEENS1_30default_config_static_selectorELNS0_4arch9wavefront6targetE1EEEvT1_: ; @_ZN7rocprim17ROCPRIM_400000_NS6detail17trampoline_kernelINS0_14default_configENS1_25partition_config_selectorILNS1_17partition_subalgoE3EiNS0_10empty_typeEbEEZZNS1_14partition_implILS5_3ELb0ES3_jN6thrust23THRUST_200600_302600_NS6detail15normal_iteratorINSA_7pointerIiNSA_11hip_rocprim3tagENSA_11use_defaultESG_EEEEPS6_SJ_NS0_5tupleIJPiSJ_EEENSK_IJSJ_SJ_EEES6_PlJ7is_evenIiEEEE10hipError_tPvRmT3_T4_T5_T6_T7_T9_mT8_P12ihipStream_tbDpT10_ENKUlT_T0_E_clISt17integral_constantIbLb1EES19_IbLb0EEEEDaS15_S16_EUlS15_E_NS1_11comp_targetILNS1_3genE0ELNS1_11target_archE4294967295ELNS1_3gpuE0ELNS1_3repE0EEENS1_30default_config_static_selectorELNS0_4arch9wavefront6targetE1EEEvT1_
; %bb.0:
	.section	.rodata,"a",@progbits
	.p2align	6, 0x0
	.amdhsa_kernel _ZN7rocprim17ROCPRIM_400000_NS6detail17trampoline_kernelINS0_14default_configENS1_25partition_config_selectorILNS1_17partition_subalgoE3EiNS0_10empty_typeEbEEZZNS1_14partition_implILS5_3ELb0ES3_jN6thrust23THRUST_200600_302600_NS6detail15normal_iteratorINSA_7pointerIiNSA_11hip_rocprim3tagENSA_11use_defaultESG_EEEEPS6_SJ_NS0_5tupleIJPiSJ_EEENSK_IJSJ_SJ_EEES6_PlJ7is_evenIiEEEE10hipError_tPvRmT3_T4_T5_T6_T7_T9_mT8_P12ihipStream_tbDpT10_ENKUlT_T0_E_clISt17integral_constantIbLb1EES19_IbLb0EEEEDaS15_S16_EUlS15_E_NS1_11comp_targetILNS1_3genE0ELNS1_11target_archE4294967295ELNS1_3gpuE0ELNS1_3repE0EEENS1_30default_config_static_selectorELNS0_4arch9wavefront6targetE1EEEvT1_
		.amdhsa_group_segment_fixed_size 0
		.amdhsa_private_segment_fixed_size 0
		.amdhsa_kernarg_size 120
		.amdhsa_user_sgpr_count 2
		.amdhsa_user_sgpr_dispatch_ptr 0
		.amdhsa_user_sgpr_queue_ptr 0
		.amdhsa_user_sgpr_kernarg_segment_ptr 1
		.amdhsa_user_sgpr_dispatch_id 0
		.amdhsa_user_sgpr_kernarg_preload_length 0
		.amdhsa_user_sgpr_kernarg_preload_offset 0
		.amdhsa_user_sgpr_private_segment_size 0
		.amdhsa_uses_dynamic_stack 0
		.amdhsa_enable_private_segment 0
		.amdhsa_system_sgpr_workgroup_id_x 1
		.amdhsa_system_sgpr_workgroup_id_y 0
		.amdhsa_system_sgpr_workgroup_id_z 0
		.amdhsa_system_sgpr_workgroup_info 0
		.amdhsa_system_vgpr_workitem_id 0
		.amdhsa_next_free_vgpr 1
		.amdhsa_next_free_sgpr 0
		.amdhsa_accum_offset 4
		.amdhsa_reserve_vcc 0
		.amdhsa_float_round_mode_32 0
		.amdhsa_float_round_mode_16_64 0
		.amdhsa_float_denorm_mode_32 3
		.amdhsa_float_denorm_mode_16_64 3
		.amdhsa_dx10_clamp 1
		.amdhsa_ieee_mode 1
		.amdhsa_fp16_overflow 0
		.amdhsa_tg_split 0
		.amdhsa_exception_fp_ieee_invalid_op 0
		.amdhsa_exception_fp_denorm_src 0
		.amdhsa_exception_fp_ieee_div_zero 0
		.amdhsa_exception_fp_ieee_overflow 0
		.amdhsa_exception_fp_ieee_underflow 0
		.amdhsa_exception_fp_ieee_inexact 0
		.amdhsa_exception_int_div_zero 0
	.end_amdhsa_kernel
	.section	.text._ZN7rocprim17ROCPRIM_400000_NS6detail17trampoline_kernelINS0_14default_configENS1_25partition_config_selectorILNS1_17partition_subalgoE3EiNS0_10empty_typeEbEEZZNS1_14partition_implILS5_3ELb0ES3_jN6thrust23THRUST_200600_302600_NS6detail15normal_iteratorINSA_7pointerIiNSA_11hip_rocprim3tagENSA_11use_defaultESG_EEEEPS6_SJ_NS0_5tupleIJPiSJ_EEENSK_IJSJ_SJ_EEES6_PlJ7is_evenIiEEEE10hipError_tPvRmT3_T4_T5_T6_T7_T9_mT8_P12ihipStream_tbDpT10_ENKUlT_T0_E_clISt17integral_constantIbLb1EES19_IbLb0EEEEDaS15_S16_EUlS15_E_NS1_11comp_targetILNS1_3genE0ELNS1_11target_archE4294967295ELNS1_3gpuE0ELNS1_3repE0EEENS1_30default_config_static_selectorELNS0_4arch9wavefront6targetE1EEEvT1_,"axG",@progbits,_ZN7rocprim17ROCPRIM_400000_NS6detail17trampoline_kernelINS0_14default_configENS1_25partition_config_selectorILNS1_17partition_subalgoE3EiNS0_10empty_typeEbEEZZNS1_14partition_implILS5_3ELb0ES3_jN6thrust23THRUST_200600_302600_NS6detail15normal_iteratorINSA_7pointerIiNSA_11hip_rocprim3tagENSA_11use_defaultESG_EEEEPS6_SJ_NS0_5tupleIJPiSJ_EEENSK_IJSJ_SJ_EEES6_PlJ7is_evenIiEEEE10hipError_tPvRmT3_T4_T5_T6_T7_T9_mT8_P12ihipStream_tbDpT10_ENKUlT_T0_E_clISt17integral_constantIbLb1EES19_IbLb0EEEEDaS15_S16_EUlS15_E_NS1_11comp_targetILNS1_3genE0ELNS1_11target_archE4294967295ELNS1_3gpuE0ELNS1_3repE0EEENS1_30default_config_static_selectorELNS0_4arch9wavefront6targetE1EEEvT1_,comdat
.Lfunc_end104:
	.size	_ZN7rocprim17ROCPRIM_400000_NS6detail17trampoline_kernelINS0_14default_configENS1_25partition_config_selectorILNS1_17partition_subalgoE3EiNS0_10empty_typeEbEEZZNS1_14partition_implILS5_3ELb0ES3_jN6thrust23THRUST_200600_302600_NS6detail15normal_iteratorINSA_7pointerIiNSA_11hip_rocprim3tagENSA_11use_defaultESG_EEEEPS6_SJ_NS0_5tupleIJPiSJ_EEENSK_IJSJ_SJ_EEES6_PlJ7is_evenIiEEEE10hipError_tPvRmT3_T4_T5_T6_T7_T9_mT8_P12ihipStream_tbDpT10_ENKUlT_T0_E_clISt17integral_constantIbLb1EES19_IbLb0EEEEDaS15_S16_EUlS15_E_NS1_11comp_targetILNS1_3genE0ELNS1_11target_archE4294967295ELNS1_3gpuE0ELNS1_3repE0EEENS1_30default_config_static_selectorELNS0_4arch9wavefront6targetE1EEEvT1_, .Lfunc_end104-_ZN7rocprim17ROCPRIM_400000_NS6detail17trampoline_kernelINS0_14default_configENS1_25partition_config_selectorILNS1_17partition_subalgoE3EiNS0_10empty_typeEbEEZZNS1_14partition_implILS5_3ELb0ES3_jN6thrust23THRUST_200600_302600_NS6detail15normal_iteratorINSA_7pointerIiNSA_11hip_rocprim3tagENSA_11use_defaultESG_EEEEPS6_SJ_NS0_5tupleIJPiSJ_EEENSK_IJSJ_SJ_EEES6_PlJ7is_evenIiEEEE10hipError_tPvRmT3_T4_T5_T6_T7_T9_mT8_P12ihipStream_tbDpT10_ENKUlT_T0_E_clISt17integral_constantIbLb1EES19_IbLb0EEEEDaS15_S16_EUlS15_E_NS1_11comp_targetILNS1_3genE0ELNS1_11target_archE4294967295ELNS1_3gpuE0ELNS1_3repE0EEENS1_30default_config_static_selectorELNS0_4arch9wavefront6targetE1EEEvT1_
                                        ; -- End function
	.section	.AMDGPU.csdata,"",@progbits
; Kernel info:
; codeLenInByte = 0
; NumSgprs: 6
; NumVgprs: 0
; NumAgprs: 0
; TotalNumVgprs: 0
; ScratchSize: 0
; MemoryBound: 0
; FloatMode: 240
; IeeeMode: 1
; LDSByteSize: 0 bytes/workgroup (compile time only)
; SGPRBlocks: 0
; VGPRBlocks: 0
; NumSGPRsForWavesPerEU: 6
; NumVGPRsForWavesPerEU: 1
; AccumOffset: 4
; Occupancy: 8
; WaveLimiterHint : 0
; COMPUTE_PGM_RSRC2:SCRATCH_EN: 0
; COMPUTE_PGM_RSRC2:USER_SGPR: 2
; COMPUTE_PGM_RSRC2:TRAP_HANDLER: 0
; COMPUTE_PGM_RSRC2:TGID_X_EN: 1
; COMPUTE_PGM_RSRC2:TGID_Y_EN: 0
; COMPUTE_PGM_RSRC2:TGID_Z_EN: 0
; COMPUTE_PGM_RSRC2:TIDIG_COMP_CNT: 0
; COMPUTE_PGM_RSRC3_GFX90A:ACCUM_OFFSET: 0
; COMPUTE_PGM_RSRC3_GFX90A:TG_SPLIT: 0
	.section	.text._ZN7rocprim17ROCPRIM_400000_NS6detail17trampoline_kernelINS0_14default_configENS1_25partition_config_selectorILNS1_17partition_subalgoE3EiNS0_10empty_typeEbEEZZNS1_14partition_implILS5_3ELb0ES3_jN6thrust23THRUST_200600_302600_NS6detail15normal_iteratorINSA_7pointerIiNSA_11hip_rocprim3tagENSA_11use_defaultESG_EEEEPS6_SJ_NS0_5tupleIJPiSJ_EEENSK_IJSJ_SJ_EEES6_PlJ7is_evenIiEEEE10hipError_tPvRmT3_T4_T5_T6_T7_T9_mT8_P12ihipStream_tbDpT10_ENKUlT_T0_E_clISt17integral_constantIbLb1EES19_IbLb0EEEEDaS15_S16_EUlS15_E_NS1_11comp_targetILNS1_3genE5ELNS1_11target_archE942ELNS1_3gpuE9ELNS1_3repE0EEENS1_30default_config_static_selectorELNS0_4arch9wavefront6targetE1EEEvT1_,"axG",@progbits,_ZN7rocprim17ROCPRIM_400000_NS6detail17trampoline_kernelINS0_14default_configENS1_25partition_config_selectorILNS1_17partition_subalgoE3EiNS0_10empty_typeEbEEZZNS1_14partition_implILS5_3ELb0ES3_jN6thrust23THRUST_200600_302600_NS6detail15normal_iteratorINSA_7pointerIiNSA_11hip_rocprim3tagENSA_11use_defaultESG_EEEEPS6_SJ_NS0_5tupleIJPiSJ_EEENSK_IJSJ_SJ_EEES6_PlJ7is_evenIiEEEE10hipError_tPvRmT3_T4_T5_T6_T7_T9_mT8_P12ihipStream_tbDpT10_ENKUlT_T0_E_clISt17integral_constantIbLb1EES19_IbLb0EEEEDaS15_S16_EUlS15_E_NS1_11comp_targetILNS1_3genE5ELNS1_11target_archE942ELNS1_3gpuE9ELNS1_3repE0EEENS1_30default_config_static_selectorELNS0_4arch9wavefront6targetE1EEEvT1_,comdat
	.protected	_ZN7rocprim17ROCPRIM_400000_NS6detail17trampoline_kernelINS0_14default_configENS1_25partition_config_selectorILNS1_17partition_subalgoE3EiNS0_10empty_typeEbEEZZNS1_14partition_implILS5_3ELb0ES3_jN6thrust23THRUST_200600_302600_NS6detail15normal_iteratorINSA_7pointerIiNSA_11hip_rocprim3tagENSA_11use_defaultESG_EEEEPS6_SJ_NS0_5tupleIJPiSJ_EEENSK_IJSJ_SJ_EEES6_PlJ7is_evenIiEEEE10hipError_tPvRmT3_T4_T5_T6_T7_T9_mT8_P12ihipStream_tbDpT10_ENKUlT_T0_E_clISt17integral_constantIbLb1EES19_IbLb0EEEEDaS15_S16_EUlS15_E_NS1_11comp_targetILNS1_3genE5ELNS1_11target_archE942ELNS1_3gpuE9ELNS1_3repE0EEENS1_30default_config_static_selectorELNS0_4arch9wavefront6targetE1EEEvT1_ ; -- Begin function _ZN7rocprim17ROCPRIM_400000_NS6detail17trampoline_kernelINS0_14default_configENS1_25partition_config_selectorILNS1_17partition_subalgoE3EiNS0_10empty_typeEbEEZZNS1_14partition_implILS5_3ELb0ES3_jN6thrust23THRUST_200600_302600_NS6detail15normal_iteratorINSA_7pointerIiNSA_11hip_rocprim3tagENSA_11use_defaultESG_EEEEPS6_SJ_NS0_5tupleIJPiSJ_EEENSK_IJSJ_SJ_EEES6_PlJ7is_evenIiEEEE10hipError_tPvRmT3_T4_T5_T6_T7_T9_mT8_P12ihipStream_tbDpT10_ENKUlT_T0_E_clISt17integral_constantIbLb1EES19_IbLb0EEEEDaS15_S16_EUlS15_E_NS1_11comp_targetILNS1_3genE5ELNS1_11target_archE942ELNS1_3gpuE9ELNS1_3repE0EEENS1_30default_config_static_selectorELNS0_4arch9wavefront6targetE1EEEvT1_
	.globl	_ZN7rocprim17ROCPRIM_400000_NS6detail17trampoline_kernelINS0_14default_configENS1_25partition_config_selectorILNS1_17partition_subalgoE3EiNS0_10empty_typeEbEEZZNS1_14partition_implILS5_3ELb0ES3_jN6thrust23THRUST_200600_302600_NS6detail15normal_iteratorINSA_7pointerIiNSA_11hip_rocprim3tagENSA_11use_defaultESG_EEEEPS6_SJ_NS0_5tupleIJPiSJ_EEENSK_IJSJ_SJ_EEES6_PlJ7is_evenIiEEEE10hipError_tPvRmT3_T4_T5_T6_T7_T9_mT8_P12ihipStream_tbDpT10_ENKUlT_T0_E_clISt17integral_constantIbLb1EES19_IbLb0EEEEDaS15_S16_EUlS15_E_NS1_11comp_targetILNS1_3genE5ELNS1_11target_archE942ELNS1_3gpuE9ELNS1_3repE0EEENS1_30default_config_static_selectorELNS0_4arch9wavefront6targetE1EEEvT1_
	.p2align	8
	.type	_ZN7rocprim17ROCPRIM_400000_NS6detail17trampoline_kernelINS0_14default_configENS1_25partition_config_selectorILNS1_17partition_subalgoE3EiNS0_10empty_typeEbEEZZNS1_14partition_implILS5_3ELb0ES3_jN6thrust23THRUST_200600_302600_NS6detail15normal_iteratorINSA_7pointerIiNSA_11hip_rocprim3tagENSA_11use_defaultESG_EEEEPS6_SJ_NS0_5tupleIJPiSJ_EEENSK_IJSJ_SJ_EEES6_PlJ7is_evenIiEEEE10hipError_tPvRmT3_T4_T5_T6_T7_T9_mT8_P12ihipStream_tbDpT10_ENKUlT_T0_E_clISt17integral_constantIbLb1EES19_IbLb0EEEEDaS15_S16_EUlS15_E_NS1_11comp_targetILNS1_3genE5ELNS1_11target_archE942ELNS1_3gpuE9ELNS1_3repE0EEENS1_30default_config_static_selectorELNS0_4arch9wavefront6targetE1EEEvT1_,@function
_ZN7rocprim17ROCPRIM_400000_NS6detail17trampoline_kernelINS0_14default_configENS1_25partition_config_selectorILNS1_17partition_subalgoE3EiNS0_10empty_typeEbEEZZNS1_14partition_implILS5_3ELb0ES3_jN6thrust23THRUST_200600_302600_NS6detail15normal_iteratorINSA_7pointerIiNSA_11hip_rocprim3tagENSA_11use_defaultESG_EEEEPS6_SJ_NS0_5tupleIJPiSJ_EEENSK_IJSJ_SJ_EEES6_PlJ7is_evenIiEEEE10hipError_tPvRmT3_T4_T5_T6_T7_T9_mT8_P12ihipStream_tbDpT10_ENKUlT_T0_E_clISt17integral_constantIbLb1EES19_IbLb0EEEEDaS15_S16_EUlS15_E_NS1_11comp_targetILNS1_3genE5ELNS1_11target_archE942ELNS1_3gpuE9ELNS1_3repE0EEENS1_30default_config_static_selectorELNS0_4arch9wavefront6targetE1EEEvT1_: ; @_ZN7rocprim17ROCPRIM_400000_NS6detail17trampoline_kernelINS0_14default_configENS1_25partition_config_selectorILNS1_17partition_subalgoE3EiNS0_10empty_typeEbEEZZNS1_14partition_implILS5_3ELb0ES3_jN6thrust23THRUST_200600_302600_NS6detail15normal_iteratorINSA_7pointerIiNSA_11hip_rocprim3tagENSA_11use_defaultESG_EEEEPS6_SJ_NS0_5tupleIJPiSJ_EEENSK_IJSJ_SJ_EEES6_PlJ7is_evenIiEEEE10hipError_tPvRmT3_T4_T5_T6_T7_T9_mT8_P12ihipStream_tbDpT10_ENKUlT_T0_E_clISt17integral_constantIbLb1EES19_IbLb0EEEEDaS15_S16_EUlS15_E_NS1_11comp_targetILNS1_3genE5ELNS1_11target_archE942ELNS1_3gpuE9ELNS1_3repE0EEENS1_30default_config_static_selectorELNS0_4arch9wavefront6targetE1EEEvT1_
; %bb.0:
	s_load_dwordx4 s[20:23], s[0:1], 0x8
	s_load_dwordx4 s[24:27], s[0:1], 0x48
	s_load_dwordx2 s[28:29], s[0:1], 0x58
	s_load_dword s3, s[0:1], 0x70
	s_mul_i32 s30, s2, 0x1e00
	s_waitcnt lgkmcnt(0)
	s_lshl_b64 s[4:5], s[22:23], 2
	s_add_u32 s8, s20, s4
	s_addc_u32 s9, s21, s5
	s_add_i32 s6, s3, -1
	s_mulk_i32 s3, 0x1e00
	s_add_i32 s4, s3, s22
	s_sub_i32 s33, s28, s4
	s_addk_i32 s33, 0x1e00
	s_add_u32 s4, s22, s3
	s_addc_u32 s5, s23, 0
	s_cmp_eq_u32 s2, s6
	s_load_dwordx2 s[34:35], s[26:27], 0x0
	v_mov_b64_e32 v[2:3], s[28:29]
	s_cselect_b64 s[26:27], -1, 0
	s_cmp_lg_u32 s2, s6
	s_mov_b32 s31, 0
	v_cmp_lt_u64_e32 vcc, s[4:5], v[2:3]
	s_cselect_b64 s[4:5], -1, 0
	s_or_b64 s[6:7], s[4:5], vcc
	s_lshl_b64 s[4:5], s[30:31], 2
	s_add_u32 s8, s8, s4
	s_addc_u32 s9, s9, s5
	s_mov_b64 s[4:5], -1
	s_and_b64 vcc, exec, s[6:7]
	v_lshlrev_b32_e32 v18, 2, v0
	s_cbranch_vccz .LBB105_2
; %bb.1:
	v_mov_b32_e32 v19, 0
	v_lshl_add_u64 v[2:3], s[8:9], 0, v[18:19]
	v_add_co_u32_e32 v4, vcc, 0x1000, v2
	s_mov_b64 s[4:5], 0
	s_nop 0
	v_addc_co_u32_e32 v5, vcc, 0, v3, vcc
	v_add_co_u32_e32 v6, vcc, 0x2000, v2
	s_nop 1
	v_addc_co_u32_e32 v7, vcc, 0, v3, vcc
	v_add_co_u32_e32 v8, vcc, 0x3000, v2
	s_nop 1
	v_addc_co_u32_e32 v9, vcc, 0, v3, vcc
	flat_load_dword v1, v[2:3]
	flat_load_dword v10, v[2:3] offset:2048
	flat_load_dword v11, v[4:5]
	flat_load_dword v12, v[4:5] offset:2048
	flat_load_dword v13, v[6:7]
	flat_load_dword v14, v[6:7] offset:2048
	flat_load_dword v15, v[8:9]
	flat_load_dword v16, v[8:9] offset:2048
	v_add_co_u32_e32 v4, vcc, 0x4000, v2
	s_nop 1
	v_addc_co_u32_e32 v5, vcc, 0, v3, vcc
	v_add_co_u32_e32 v6, vcc, 0x5000, v2
	s_nop 1
	v_addc_co_u32_e32 v7, vcc, 0, v3, vcc
	;; [unrolled: 3-line block ×4, first 2 shown]
	flat_load_dword v17, v[4:5]
	flat_load_dword v19, v[4:5] offset:2048
	flat_load_dword v20, v[6:7]
	flat_load_dword v21, v[6:7] offset:2048
	;; [unrolled: 2-line block ×3, first 2 shown]
	flat_load_dword v24, v[2:3]
	s_waitcnt vmcnt(0) lgkmcnt(0)
	ds_write2st64_b32 v18, v1, v10 offset1:8
	ds_write2st64_b32 v18, v11, v12 offset0:16 offset1:24
	ds_write2st64_b32 v18, v13, v14 offset0:32 offset1:40
	ds_write2st64_b32 v18, v15, v16 offset0:48 offset1:56
	ds_write2st64_b32 v18, v17, v19 offset0:64 offset1:72
	ds_write2st64_b32 v18, v20, v21 offset0:80 offset1:88
	ds_write2st64_b32 v18, v22, v23 offset0:96 offset1:104
	ds_write_b32 v18, v24 offset:28672
	s_waitcnt lgkmcnt(0)
	s_barrier
.LBB105_2:
	s_andn2_b64 vcc, exec, s[4:5]
	v_cmp_gt_u32_e64 s[4:5], s33, v0
	s_cbranch_vccnz .LBB105_34
; %bb.3:
                                        ; implicit-def: $vgpr2_vgpr3_vgpr4_vgpr5_vgpr6_vgpr7_vgpr8_vgpr9_vgpr10_vgpr11_vgpr12_vgpr13_vgpr14_vgpr15_vgpr16_vgpr17
	s_and_saveexec_b64 s[10:11], s[4:5]
	s_cbranch_execz .LBB105_5
; %bb.4:
	v_mov_b32_e32 v19, 0
	v_lshl_add_u64 v[2:3], s[8:9], 0, v[18:19]
	flat_load_dword v2, v[2:3]
.LBB105_5:
	s_or_b64 exec, exec, s[10:11]
	v_or_b32_e32 v1, 0x200, v0
	v_cmp_gt_u32_e32 vcc, s33, v1
	s_and_saveexec_b64 s[4:5], vcc
	s_cbranch_execz .LBB105_7
; %bb.6:
	v_mov_b32_e32 v19, 0
	v_lshl_add_u64 v[20:21], s[8:9], 0, v[18:19]
	flat_load_dword v3, v[20:21] offset:2048
.LBB105_7:
	s_or_b64 exec, exec, s[4:5]
	v_or_b32_e32 v1, 0x400, v0
	v_cmp_gt_u32_e32 vcc, s33, v1
	s_and_saveexec_b64 s[4:5], vcc
	s_cbranch_execz .LBB105_9
; %bb.8:
	v_lshlrev_b32_e32 v20, 2, v1
	v_mov_b32_e32 v21, 0
	v_lshl_add_u64 v[20:21], s[8:9], 0, v[20:21]
	flat_load_dword v4, v[20:21]
.LBB105_9:
	s_or_b64 exec, exec, s[4:5]
	v_or_b32_e32 v1, 0x600, v0
	v_cmp_gt_u32_e32 vcc, s33, v1
	s_and_saveexec_b64 s[4:5], vcc
	s_cbranch_execz .LBB105_11
; %bb.10:
	v_lshlrev_b32_e32 v20, 2, v1
	v_mov_b32_e32 v21, 0
	v_lshl_add_u64 v[20:21], s[8:9], 0, v[20:21]
	flat_load_dword v5, v[20:21]
.LBB105_11:
	;; [unrolled: 11-line block ×13, first 2 shown]
	s_or_b64 exec, exec, s[4:5]
	s_waitcnt vmcnt(0) lgkmcnt(0)
	ds_write2st64_b32 v18, v2, v3 offset1:8
	ds_write2st64_b32 v18, v4, v5 offset0:16 offset1:24
	ds_write2st64_b32 v18, v6, v7 offset0:32 offset1:40
	;; [unrolled: 1-line block ×6, first 2 shown]
	ds_write_b32 v18, v16 offset:28672
	s_waitcnt lgkmcnt(0)
	s_barrier
.LBB105_34:
	v_mul_u32_u24_e32 v37, 15, v0
	v_lshlrev_b32_e32 v1, 2, v37
	s_waitcnt lgkmcnt(0)
	ds_read2_b32 v[34:35], v1 offset1:1
	ds_read2_b32 v[32:33], v1 offset0:2 offset1:3
	ds_read2_b32 v[30:31], v1 offset0:4 offset1:5
	;; [unrolled: 1-line block ×6, first 2 shown]
	ds_read_b32 v1, v1 offset:56
	v_cndmask_b32_e64 v2, 0, 1, s[6:7]
	v_cmp_ne_u32_e64 s[20:21], 1, v2
	s_andn2_b64 vcc, exec, s[6:7]
	s_waitcnt lgkmcnt(7)
	v_xor_b32_e32 v16, -1, v34
	v_xor_b32_e32 v15, -1, v35
	s_waitcnt lgkmcnt(6)
	v_xor_b32_e32 v14, -1, v32
	v_xor_b32_e32 v13, -1, v33
	;; [unrolled: 3-line block ×7, first 2 shown]
	s_waitcnt lgkmcnt(0)
	v_xor_b32_e32 v2, -1, v1
	s_barrier
	s_cbranch_vccnz .LBB105_36
; %bb.35:
	v_and_b32_e32 v50, 1, v16
	v_and_b32_e32 v49, 1, v15
	;; [unrolled: 1-line block ×15, first 2 shown]
	s_load_dwordx2 s[36:37], s[0:1], 0x68
	s_cbranch_execz .LBB105_37
	s_branch .LBB105_38
.LBB105_36:
                                        ; implicit-def: $vgpr19
                                        ; implicit-def: $vgpr36
                                        ; implicit-def: $vgpr38
                                        ; implicit-def: $vgpr39
                                        ; implicit-def: $vgpr40
                                        ; implicit-def: $vgpr41
                                        ; implicit-def: $vgpr42
                                        ; implicit-def: $vgpr43
                                        ; implicit-def: $vgpr44
                                        ; implicit-def: $vgpr50
                                        ; implicit-def: $vgpr49
                                        ; implicit-def: $vgpr48
                                        ; implicit-def: $vgpr47
                                        ; implicit-def: $vgpr46
                                        ; implicit-def: $vgpr45
	s_load_dwordx2 s[36:37], s[0:1], 0x68
.LBB105_37:
	v_add_u32_e32 v44, 1, v37
	v_cmp_gt_u32_e32 vcc, s33, v37
	v_add_u32_e32 v17, 2, v37
	v_add_u32_e32 v43, 3, v37
	v_cndmask_b32_e64 v45, 0, 1, vcc
	v_cmp_gt_u32_e32 vcc, s33, v44
	v_and_b32_e32 v50, v45, v16
	v_add_u32_e32 v19, 4, v37
	v_cndmask_b32_e64 v16, 0, 1, vcc
	v_cmp_gt_u32_e32 vcc, s33, v17
	v_and_b32_e32 v49, v16, v15
	;; [unrolled: 4-line block ×12, first 2 shown]
	s_nop 0
	v_cndmask_b32_e64 v5, 0, 1, vcc
	v_cmp_gt_u32_e32 vcc, s33, v52
	v_and_b32_e32 v38, v5, v4
	s_nop 0
	v_cndmask_b32_e64 v4, 0, 1, vcc
	v_cmp_gt_u32_e32 vcc, s33, v51
	v_and_b32_e32 v36, v4, v3
	s_nop 0
	v_cndmask_b32_e64 v3, 0, 1, vcc
	v_and_b32_e32 v19, v3, v2
.LBB105_38:
	v_and_b32_e32 v55, 0xff, v47
	v_and_b32_e32 v56, 0xff, v46
	v_and_b32_e32 v57, 0xff, v45
	v_and_b32_e32 v53, 0xff, v49
	v_and_b32_e32 v54, 0xff, v48
	v_add3_u32 v3, v56, v57, v55
	v_and_b32_e32 v51, 0xff, v50
	v_and_b32_e32 v58, 0xff, v44
	v_add3_u32 v3, v3, v54, v53
	v_and_b32_e32 v59, 0xff, v43
	v_and_b32_e32 v60, 0xff, v42
	;; [unrolled: 3-line block ×5, first 2 shown]
	v_add3_u32 v3, v3, v63, v64
	v_add3_u32 v68, v3, v65, v2
	v_mbcnt_lo_u32_b32 v2, -1, 0
	v_mbcnt_hi_u32_b32 v66, -1, v2
	v_and_b32_e32 v2, 15, v66
	v_cmp_eq_u32_e64 s[16:17], 0, v2
	v_cmp_lt_u32_e64 s[14:15], 1, v2
	v_cmp_lt_u32_e64 s[12:13], 3, v2
	;; [unrolled: 1-line block ×3, first 2 shown]
	v_and_b32_e32 v2, 16, v66
	v_cmp_eq_u32_e64 s[8:9], 0, v2
	v_or_b32_e32 v2, 63, v0
	s_cmp_lg_u32 s2, 0
	v_cmp_lt_u32_e64 s[4:5], 31, v66
	v_lshrrev_b32_e32 v67, 6, v0
	v_cmp_eq_u32_e64 s[6:7], v2, v0
	s_cbranch_scc0 .LBB105_69
; %bb.39:
	v_mov_b32_dpp v2, v68 row_shr:1 row_mask:0xf bank_mask:0xf
	v_cndmask_b32_e64 v2, v2, 0, s[16:17]
	v_add_u32_e32 v2, v2, v68
	s_nop 1
	v_mov_b32_dpp v3, v2 row_shr:2 row_mask:0xf bank_mask:0xf
	v_cndmask_b32_e64 v3, 0, v3, s[14:15]
	v_add_u32_e32 v2, v2, v3
	s_nop 1
	;; [unrolled: 4-line block ×4, first 2 shown]
	v_mov_b32_dpp v3, v2 row_bcast:15 row_mask:0xf bank_mask:0xf
	v_cndmask_b32_e64 v3, v3, 0, s[8:9]
	v_add_u32_e32 v2, v2, v3
	s_nop 1
	v_mov_b32_dpp v3, v2 row_bcast:31 row_mask:0xf bank_mask:0xf
	v_cndmask_b32_e64 v3, 0, v3, s[4:5]
	v_add_u32_e32 v2, v2, v3
	s_and_saveexec_b64 s[18:19], s[6:7]
	s_cbranch_execz .LBB105_41
; %bb.40:
	v_lshlrev_b32_e32 v3, 2, v67
	ds_write_b32 v3, v2
.LBB105_41:
	s_or_b64 exec, exec, s[18:19]
	v_cmp_gt_u32_e32 vcc, 8, v0
	s_waitcnt lgkmcnt(0)
	s_barrier
	s_and_saveexec_b64 s[18:19], vcc
	s_cbranch_execz .LBB105_43
; %bb.42:
	ds_read_b32 v3, v18
	v_and_b32_e32 v4, 7, v66
	v_cmp_ne_u32_e32 vcc, 0, v4
	s_waitcnt lgkmcnt(0)
	v_mov_b32_dpp v5, v3 row_shr:1 row_mask:0xf bank_mask:0xf
	v_cndmask_b32_e32 v5, 0, v5, vcc
	v_add_u32_e32 v3, v5, v3
	v_cmp_lt_u32_e32 vcc, 1, v4
	s_nop 0
	v_mov_b32_dpp v5, v3 row_shr:2 row_mask:0xf bank_mask:0xf
	v_cndmask_b32_e32 v5, 0, v5, vcc
	v_add_u32_e32 v3, v3, v5
	v_cmp_lt_u32_e32 vcc, 3, v4
	s_nop 0
	v_mov_b32_dpp v5, v3 row_shr:4 row_mask:0xf bank_mask:0xf
	v_cndmask_b32_e32 v4, 0, v5, vcc
	v_add_u32_e32 v3, v3, v4
	ds_write_b32 v18, v3
.LBB105_43:
	s_or_b64 exec, exec, s[18:19]
	v_cmp_gt_u32_e32 vcc, 64, v0
	v_cmp_lt_u32_e64 s[18:19], 63, v0
	s_waitcnt lgkmcnt(0)
	s_barrier
	s_waitcnt lgkmcnt(0)
                                        ; implicit-def: $vgpr12
	s_and_saveexec_b64 s[38:39], s[18:19]
	s_cbranch_execz .LBB105_45
; %bb.44:
	v_lshl_add_u32 v3, v67, 2, -4
	ds_read_b32 v12, v3
	s_waitcnt lgkmcnt(0)
	v_add_u32_e32 v2, v12, v2
.LBB105_45:
	s_or_b64 exec, exec, s[38:39]
	v_add_u32_e32 v3, -1, v66
	v_and_b32_e32 v4, 64, v66
	v_cmp_lt_i32_e64 s[18:19], v3, v4
	s_nop 1
	v_cndmask_b32_e64 v3, v3, v66, s[18:19]
	v_lshlrev_b32_e32 v3, 2, v3
	ds_bpermute_b32 v13, v3, v2
	v_cmp_eq_u32_e64 s[18:19], 0, v66
	s_and_saveexec_b64 s[38:39], vcc
	s_cbranch_execz .LBB105_68
; %bb.46:
	v_mov_b32_e32 v11, 0
	ds_read_b32 v2, v11 offset:28
	s_and_saveexec_b64 s[40:41], s[18:19]
	s_cbranch_execz .LBB105_48
; %bb.47:
	s_add_i32 s42, s2, 64
	s_mov_b32 s43, 0
	s_lshl_b64 s[42:43], s[42:43], 3
	s_add_u32 s42, s36, s42
	v_mov_b32_e32 v3, 1
	s_addc_u32 s43, s37, s43
	s_waitcnt lgkmcnt(0)
	global_store_dwordx2 v11, v[2:3], s[42:43] sc1
.LBB105_48:
	s_or_b64 exec, exec, s[40:41]
	v_xad_u32 v4, v66, -1, s2
	v_add_u32_e32 v10, 64, v4
	v_lshl_add_u64 v[6:7], v[10:11], 3, s[36:37]
	global_load_dwordx2 v[8:9], v[6:7], off sc1
	s_waitcnt vmcnt(0)
	v_cmp_eq_u16_sdwa s[42:43], v9, v11 src0_sel:BYTE_0 src1_sel:DWORD
	s_and_saveexec_b64 s[40:41], s[42:43]
	s_cbranch_execz .LBB105_54
; %bb.49:
	s_mov_b32 s3, 1
	s_mov_b64 s[42:43], 0
	v_mov_b32_e32 v3, 0
.LBB105_50:                             ; =>This Loop Header: Depth=1
                                        ;     Child Loop BB105_51 Depth 2
	s_max_u32 s31, s3, 1
.LBB105_51:                             ;   Parent Loop BB105_50 Depth=1
                                        ; =>  This Inner Loop Header: Depth=2
	s_add_i32 s31, s31, -1
	s_cmp_eq_u32 s31, 0
	s_sleep 1
	s_cbranch_scc0 .LBB105_51
; %bb.52:                               ;   in Loop: Header=BB105_50 Depth=1
	global_load_dwordx2 v[8:9], v[6:7], off sc1
	s_cmp_lt_u32 s3, 32
	s_cselect_b64 s[44:45], -1, 0
	s_cmp_lg_u64 s[44:45], 0
	s_addc_u32 s3, s3, 0
	s_waitcnt vmcnt(0)
	v_cmp_ne_u16_sdwa s[44:45], v9, v3 src0_sel:BYTE_0 src1_sel:DWORD
	s_or_b64 s[42:43], s[44:45], s[42:43]
	s_andn2_b64 exec, exec, s[42:43]
	s_cbranch_execnz .LBB105_50
; %bb.53:
	s_or_b64 exec, exec, s[42:43]
.LBB105_54:
	s_or_b64 exec, exec, s[40:41]
	v_and_b32_e32 v15, 63, v66
	v_mov_b32_e32 v14, 2
	v_cmp_ne_u32_e32 vcc, 63, v15
	v_cmp_eq_u16_sdwa s[40:41], v9, v14 src0_sel:BYTE_0 src1_sel:DWORD
	v_lshlrev_b64 v[6:7], v66, -1
	v_addc_co_u32_e32 v10, vcc, 0, v66, vcc
	v_and_b32_e32 v3, s41, v7
	v_lshlrev_b32_e32 v16, 2, v10
	v_or_b32_e32 v3, 0x80000000, v3
	ds_bpermute_b32 v10, v16, v8
	v_and_b32_e32 v5, s40, v6
	v_ffbl_b32_e32 v3, v3
	v_add_u32_e32 v3, 32, v3
	v_ffbl_b32_e32 v5, v5
	v_min_u32_e32 v3, v5, v3
	v_cmp_lt_u32_e32 vcc, v15, v3
	v_add_u32_e32 v20, 2, v15
	v_add_u32_e32 v52, 4, v15
	s_waitcnt lgkmcnt(0)
	v_cndmask_b32_e32 v5, 0, v10, vcc
	v_cmp_gt_u32_e32 vcc, 62, v15
	v_add_u32_e32 v5, v5, v8
	v_add_u32_e32 v70, 8, v15
	v_cndmask_b32_e64 v8, 0, 1, vcc
	v_lshlrev_b32_e32 v8, 1, v8
	v_add_lshl_u32 v17, v8, v66, 2
	ds_bpermute_b32 v8, v17, v5
	v_cmp_le_u32_e32 vcc, v20, v3
	v_add_u32_e32 v72, 16, v15
	v_add_u32_e32 v74, 32, v15
	s_waitcnt lgkmcnt(0)
	v_cndmask_b32_e32 v8, 0, v8, vcc
	v_cmp_gt_u32_e32 vcc, 60, v15
	v_add_u32_e32 v5, v5, v8
	s_nop 0
	v_cndmask_b32_e64 v8, 0, 1, vcc
	v_lshlrev_b32_e32 v8, 2, v8
	v_add_lshl_u32 v21, v8, v66, 2
	ds_bpermute_b32 v8, v21, v5
	v_cmp_le_u32_e32 vcc, v52, v3
	s_waitcnt lgkmcnt(0)
	s_nop 0
	v_cndmask_b32_e32 v8, 0, v8, vcc
	v_cmp_gt_u32_e32 vcc, 56, v15
	v_add_u32_e32 v5, v5, v8
	s_nop 0
	v_cndmask_b32_e64 v8, 0, 1, vcc
	v_lshlrev_b32_e32 v8, 3, v8
	v_add_lshl_u32 v69, v8, v66, 2
	ds_bpermute_b32 v8, v69, v5
	v_cmp_le_u32_e32 vcc, v70, v3
	s_waitcnt lgkmcnt(0)
	s_nop 0
	;; [unrolled: 11-line block ×4, first 2 shown]
	v_cndmask_b32_e32 v3, 0, v8, vcc
	v_add_u32_e32 v8, v5, v3
	v_mov_b32_e32 v5, 0
	s_branch .LBB105_56
.LBB105_55:                             ;   in Loop: Header=BB105_56 Depth=1
	s_or_b64 exec, exec, s[40:41]
	v_cmp_eq_u16_sdwa s[40:41], v9, v14 src0_sel:BYTE_0 src1_sel:DWORD
	ds_bpermute_b32 v75, v16, v8
	v_subrev_u32_e32 v4, 64, v4
	v_and_b32_e32 v10, s41, v7
	v_or_b32_e32 v10, 0x80000000, v10
	v_and_b32_e32 v11, s40, v6
	v_ffbl_b32_e32 v10, v10
	v_add_u32_e32 v10, 32, v10
	v_ffbl_b32_e32 v11, v11
	v_min_u32_e32 v10, v11, v10
	v_cmp_lt_u32_e32 vcc, v15, v10
	s_waitcnt lgkmcnt(0)
	s_nop 0
	v_cndmask_b32_e32 v11, 0, v75, vcc
	v_add_u32_e32 v8, v11, v8
	ds_bpermute_b32 v11, v17, v8
	v_cmp_le_u32_e32 vcc, v20, v10
	s_waitcnt lgkmcnt(0)
	s_nop 0
	v_cndmask_b32_e32 v11, 0, v11, vcc
	v_add_u32_e32 v8, v8, v11
	ds_bpermute_b32 v11, v21, v8
	v_cmp_le_u32_e32 vcc, v52, v10
	;; [unrolled: 6-line block ×5, first 2 shown]
	s_waitcnt lgkmcnt(0)
	s_nop 0
	v_cndmask_b32_e32 v10, 0, v11, vcc
	v_add3_u32 v8, v10, v3, v8
.LBB105_56:                             ; =>This Loop Header: Depth=1
                                        ;     Child Loop BB105_59 Depth 2
                                        ;       Child Loop BB105_60 Depth 3
	v_cmp_ne_u16_sdwa s[40:41], v9, v14 src0_sel:BYTE_0 src1_sel:DWORD
	s_nop 1
	v_cndmask_b32_e64 v3, 0, 1, s[40:41]
	;;#ASMSTART
	;;#ASMEND
	s_nop 0
	v_cmp_ne_u32_e32 vcc, 0, v3
	s_cmp_lg_u64 vcc, exec
	v_mov_b32_e32 v3, v8
	s_cbranch_scc1 .LBB105_63
; %bb.57:                               ;   in Loop: Header=BB105_56 Depth=1
	v_lshl_add_u64 v[10:11], v[4:5], 3, s[36:37]
	global_load_dwordx2 v[8:9], v[10:11], off sc1
	s_waitcnt vmcnt(0)
	v_cmp_eq_u16_sdwa s[42:43], v9, v5 src0_sel:BYTE_0 src1_sel:DWORD
	s_and_saveexec_b64 s[40:41], s[42:43]
	s_cbranch_execz .LBB105_55
; %bb.58:                               ;   in Loop: Header=BB105_56 Depth=1
	s_mov_b32 s3, 1
	s_mov_b64 s[42:43], 0
.LBB105_59:                             ;   Parent Loop BB105_56 Depth=1
                                        ; =>  This Loop Header: Depth=2
                                        ;       Child Loop BB105_60 Depth 3
	s_max_u32 s31, s3, 1
.LBB105_60:                             ;   Parent Loop BB105_56 Depth=1
                                        ;     Parent Loop BB105_59 Depth=2
                                        ; =>    This Inner Loop Header: Depth=3
	s_add_i32 s31, s31, -1
	s_cmp_eq_u32 s31, 0
	s_sleep 1
	s_cbranch_scc0 .LBB105_60
; %bb.61:                               ;   in Loop: Header=BB105_59 Depth=2
	global_load_dwordx2 v[8:9], v[10:11], off sc1
	s_cmp_lt_u32 s3, 32
	s_cselect_b64 s[44:45], -1, 0
	s_cmp_lg_u64 s[44:45], 0
	s_addc_u32 s3, s3, 0
	s_waitcnt vmcnt(0)
	v_cmp_ne_u16_sdwa s[44:45], v9, v5 src0_sel:BYTE_0 src1_sel:DWORD
	s_or_b64 s[42:43], s[44:45], s[42:43]
	s_andn2_b64 exec, exec, s[42:43]
	s_cbranch_execnz .LBB105_59
; %bb.62:                               ;   in Loop: Header=BB105_56 Depth=1
	s_or_b64 exec, exec, s[42:43]
	s_branch .LBB105_55
.LBB105_63:                             ;   in Loop: Header=BB105_56 Depth=1
                                        ; implicit-def: $vgpr8
                                        ; implicit-def: $vgpr9
	s_cbranch_execz .LBB105_56
; %bb.64:
	s_and_saveexec_b64 s[40:41], s[18:19]
	s_cbranch_execz .LBB105_66
; %bb.65:
	s_add_i32 s2, s2, 64
	s_mov_b32 s3, 0
	s_lshl_b64 s[2:3], s[2:3], 3
	s_add_u32 s2, s36, s2
	v_add_u32_e32 v4, v3, v2
	v_mov_b32_e32 v5, 2
	s_addc_u32 s3, s37, s3
	v_mov_b32_e32 v6, 0
	global_store_dwordx2 v6, v[4:5], s[2:3] sc1
	ds_write_b64 v6, v[2:3] offset:30720
.LBB105_66:
	s_or_b64 exec, exec, s[40:41]
	v_cmp_eq_u32_e32 vcc, 0, v0
	s_and_b64 exec, exec, vcc
	s_cbranch_execz .LBB105_68
; %bb.67:
	v_mov_b32_e32 v2, 0
	ds_write_b32 v2, v3 offset:28
.LBB105_68:
	s_or_b64 exec, exec, s[38:39]
	v_mov_b32_e32 v14, 0
	s_waitcnt lgkmcnt(0)
	s_barrier
	ds_read_b32 v2, v14 offset:28
	v_cndmask_b32_e64 v3, v13, v12, s[18:19]
	v_cmp_ne_u32_e32 vcc, 0, v0
	s_waitcnt lgkmcnt(0)
	s_barrier
	v_cndmask_b32_e32 v3, 0, v3, vcc
	v_add_u32_e32 v2, v2, v3
	v_add_u32_e32 v3, v2, v51
	;; [unrolled: 1-line block ×10, first 2 shown]
	ds_read_b64 v[20:21], v14 offset:30720
	v_add_u32_e32 v12, v11, v61
	v_add_u32_e32 v13, v12, v62
	;; [unrolled: 1-line block ×5, first 2 shown]
	s_waitcnt lgkmcnt(0)
	v_mov_b32_e32 v52, v21
	s_load_dwordx2 s[2:3], s[0:1], 0x28
	s_branch .LBB105_79
.LBB105_69:
                                        ; implicit-def: $vgpr52
                                        ; implicit-def: $vgpr20
                                        ; implicit-def: $vgpr2_vgpr3_vgpr4_vgpr5_vgpr6_vgpr7_vgpr8_vgpr9_vgpr10_vgpr11_vgpr12_vgpr13_vgpr14_vgpr15_vgpr16_vgpr17
	s_load_dwordx2 s[2:3], s[0:1], 0x28
	s_cbranch_execz .LBB105_79
; %bb.70:
	v_mov_b32_dpp v2, v68 row_shr:1 row_mask:0xf bank_mask:0xf
	v_cndmask_b32_e64 v2, v2, 0, s[16:17]
	v_add_u32_e32 v2, v2, v68
	s_nop 1
	v_mov_b32_dpp v3, v2 row_shr:2 row_mask:0xf bank_mask:0xf
	v_cndmask_b32_e64 v3, 0, v3, s[14:15]
	v_add_u32_e32 v2, v2, v3
	s_nop 1
	;; [unrolled: 4-line block ×4, first 2 shown]
	v_mov_b32_dpp v3, v2 row_bcast:15 row_mask:0xf bank_mask:0xf
	v_cndmask_b32_e64 v3, v3, 0, s[8:9]
	v_add_u32_e32 v2, v2, v3
	s_nop 1
	v_mov_b32_dpp v3, v2 row_bcast:31 row_mask:0xf bank_mask:0xf
	v_cndmask_b32_e64 v3, 0, v3, s[4:5]
	v_add_u32_e32 v2, v2, v3
	s_and_saveexec_b64 s[0:1], s[6:7]
	s_cbranch_execz .LBB105_72
; %bb.71:
	v_lshlrev_b32_e32 v3, 2, v67
	ds_write_b32 v3, v2
.LBB105_72:
	s_or_b64 exec, exec, s[0:1]
	v_cmp_gt_u32_e32 vcc, 8, v0
	s_waitcnt lgkmcnt(0)
	s_barrier
	s_and_saveexec_b64 s[0:1], vcc
	s_cbranch_execz .LBB105_74
; %bb.73:
	ds_read_b32 v3, v18
	v_and_b32_e32 v4, 7, v66
	v_cmp_ne_u32_e32 vcc, 0, v4
	s_waitcnt lgkmcnt(0)
	v_mov_b32_dpp v5, v3 row_shr:1 row_mask:0xf bank_mask:0xf
	v_cndmask_b32_e32 v5, 0, v5, vcc
	v_add_u32_e32 v3, v5, v3
	v_cmp_lt_u32_e32 vcc, 1, v4
	s_nop 0
	v_mov_b32_dpp v5, v3 row_shr:2 row_mask:0xf bank_mask:0xf
	v_cndmask_b32_e32 v5, 0, v5, vcc
	v_add_u32_e32 v3, v3, v5
	v_cmp_lt_u32_e32 vcc, 3, v4
	s_nop 0
	v_mov_b32_dpp v5, v3 row_shr:4 row_mask:0xf bank_mask:0xf
	v_cndmask_b32_e32 v4, 0, v5, vcc
	v_add_u32_e32 v3, v3, v4
	ds_write_b32 v18, v3
.LBB105_74:
	s_or_b64 exec, exec, s[0:1]
	v_cmp_lt_u32_e32 vcc, 63, v0
	v_mov_b32_e32 v4, 0
	v_mov_b32_e32 v3, 0
	s_waitcnt lgkmcnt(0)
	s_barrier
	s_and_saveexec_b64 s[0:1], vcc
	s_cbranch_execz .LBB105_76
; %bb.75:
	v_lshl_add_u32 v3, v67, 2, -4
	ds_read_b32 v3, v3
.LBB105_76:
	s_or_b64 exec, exec, s[0:1]
	v_add_u32_e32 v5, -1, v66
	v_and_b32_e32 v6, 64, v66
	v_cmp_lt_i32_e32 vcc, v5, v6
	s_waitcnt lgkmcnt(0)
	v_add_u32_e32 v2, v3, v2
	ds_read_b32 v20, v4 offset:28
	v_cndmask_b32_e32 v5, v5, v66, vcc
	v_lshlrev_b32_e32 v5, 2, v5
	ds_bpermute_b32 v2, v5, v2
	v_cmp_eq_u32_e32 vcc, 0, v0
	s_and_saveexec_b64 s[0:1], vcc
	s_cbranch_execz .LBB105_78
; %bb.77:
	v_mov_b32_e32 v4, 0
	v_mov_b32_e32 v21, 2
	s_waitcnt lgkmcnt(1)
	global_store_dwordx2 v4, v[20:21], s[36:37] offset:512 sc1
.LBB105_78:
	s_or_b64 exec, exec, s[0:1]
	v_cmp_eq_u32_e64 s[0:1], 0, v66
	v_mov_b32_e32 v52, 0
	s_waitcnt lgkmcnt(0)
	v_cndmask_b32_e64 v2, v2, v3, s[0:1]
	v_cndmask_b32_e64 v2, v2, 0, vcc
	v_add_u32_e32 v3, v2, v51
	v_add_u32_e32 v4, v3, v53
	;; [unrolled: 1-line block ×14, first 2 shown]
	s_barrier
.LBB105_79:
	v_add_u32_e32 v17, v20, v37
	v_sub_u32_e32 v2, v2, v52
	v_and_b32_e32 v37, 1, v50
	v_sub_u32_e32 v21, v17, v2
	v_cmp_eq_u32_e32 vcc, 1, v37
	s_add_u32 s0, s22, s30
	s_addc_u32 s1, s23, 0
	v_cndmask_b32_e32 v2, v21, v2, vcc
	v_lshlrev_b32_e32 v2, 2, v2
	ds_write_b32 v2, v34
	v_sub_u32_e32 v2, v3, v52
	v_sub_u32_e32 v3, v17, v2
	v_and_b32_e32 v21, 1, v49
	v_add_u32_e32 v3, 1, v3
	v_cmp_eq_u32_e32 vcc, 1, v21
	s_sub_u32 s0, s28, s0
	s_subb_u32 s1, s29, s1
	v_cndmask_b32_e32 v2, v3, v2, vcc
	v_lshlrev_b32_e32 v2, 2, v2
	ds_write_b32 v2, v35
	v_sub_u32_e32 v2, v4, v52
	v_sub_u32_e32 v3, v17, v2
	v_and_b32_e32 v4, 1, v48
	v_add_u32_e32 v3, 2, v3
	v_cmp_eq_u32_e32 vcc, 1, v4
	v_and_b32_e32 v4, 1, v47
	v_or_b32_e32 v50, 0x200, v0
	v_cndmask_b32_e32 v2, v3, v2, vcc
	v_lshlrev_b32_e32 v2, 2, v2
	ds_write_b32 v2, v32
	v_sub_u32_e32 v2, v5, v52
	v_sub_u32_e32 v3, v17, v2
	v_add_u32_e32 v3, 3, v3
	v_cmp_eq_u32_e32 vcc, 1, v4
	v_and_b32_e32 v4, 1, v46
	v_or_b32_e32 v46, 0x400, v0
	v_cndmask_b32_e32 v2, v3, v2, vcc
	v_lshlrev_b32_e32 v2, 2, v2
	ds_write_b32 v2, v33
	v_sub_u32_e32 v2, v6, v52
	v_sub_u32_e32 v3, v17, v2
	;; [unrolled: 9-line block ×12, first 2 shown]
	v_add_u32_e32 v3, 14, v3
	v_cmp_eq_u32_e32 vcc, 1, v4
	v_or_b32_e32 v16, 0x1600, v0
	v_or_b32_e32 v4, 0x1c00, v0
	v_cndmask_b32_e32 v2, v3, v2, vcc
	v_lshlrev_b32_e32 v2, 2, v2
	ds_write_b32 v2, v1
	s_waitcnt lgkmcnt(0)
	s_barrier
	ds_read2st64_b32 v[48:49], v18 offset1:8
	ds_read2st64_b32 v[42:43], v18 offset0:16 offset1:24
	ds_read2st64_b32 v[36:37], v18 offset0:32 offset1:40
	;; [unrolled: 1-line block ×6, first 2 shown]
	ds_read_b32 v54, v18 offset:28672
	v_mov_b32_e32 v1, 0
	v_mov_b32_e32 v53, v1
	;; [unrolled: 1-line block ×3, first 2 shown]
	v_lshl_add_u64 v[2:3], s[34:35], 0, v[52:53]
	v_lshl_add_u64 v[6:7], s[0:1], 0, v[20:21]
	v_mov_b32_e32 v51, v1
	v_mov_b32_e32 v47, v1
	;; [unrolled: 1-line block ×14, first 2 shown]
	s_and_b64 vcc, exec, s[20:21]
	v_lshl_add_u64 v[6:7], v[6:7], 0, v[2:3]
	s_cbranch_vccnz .LBB105_141
; %bb.80:
	v_cmp_ge_u32_e32 vcc, v0, v20
                                        ; implicit-def: $vgpr18_vgpr19
	s_and_saveexec_b64 s[0:1], vcc
	s_xor_b64 s[0:1], exec, s[0:1]
; %bb.81:
	v_not_b32_e32 v18, v0
	v_ashrrev_i32_e32 v19, 31, v18
	v_lshl_add_u64 v[18:19], v[6:7], 0, v[18:19]
; %bb.82:
	s_andn2_saveexec_b64 s[0:1], s[0:1]
; %bb.83:
	v_lshl_add_u64 v[18:19], v[2:3], 0, v[0:1]
; %bb.84:
	s_or_b64 exec, exec, s[0:1]
	v_lshl_add_u64 v[18:19], v[18:19], 2, s[2:3]
	v_cmp_ge_u32_e32 vcc, v50, v20
	s_waitcnt lgkmcnt(7)
	global_store_dword v[18:19], v48, off
                                        ; implicit-def: $vgpr18_vgpr19
	s_and_saveexec_b64 s[0:1], vcc
	s_xor_b64 s[0:1], exec, s[0:1]
; %bb.85:
	v_xor_b32_e32 v18, 0xfffffdff, v0
	v_ashrrev_i32_e32 v19, 31, v18
	v_lshl_add_u64 v[18:19], v[6:7], 0, v[18:19]
; %bb.86:
	s_andn2_saveexec_b64 s[0:1], s[0:1]
; %bb.87:
	v_lshl_add_u64 v[18:19], v[2:3], 0, v[50:51]
; %bb.88:
	s_or_b64 exec, exec, s[0:1]
	v_lshl_add_u64 v[18:19], v[18:19], 2, s[2:3]
	v_cmp_ge_u32_e32 vcc, v46, v20
	global_store_dword v[18:19], v49, off
                                        ; implicit-def: $vgpr18_vgpr19
	s_and_saveexec_b64 s[0:1], vcc
	s_xor_b64 s[0:1], exec, s[0:1]
; %bb.89:
	v_xor_b32_e32 v18, 0xfffffbff, v0
	v_ashrrev_i32_e32 v19, 31, v18
	v_lshl_add_u64 v[18:19], v[6:7], 0, v[18:19]
; %bb.90:
	s_andn2_saveexec_b64 s[0:1], s[0:1]
; %bb.91:
	v_lshl_add_u64 v[18:19], v[2:3], 0, v[46:47]
; %bb.92:
	s_or_b64 exec, exec, s[0:1]
	v_lshl_add_u64 v[18:19], v[18:19], 2, s[2:3]
	v_cmp_ge_u32_e32 vcc, v44, v20
	s_waitcnt lgkmcnt(6)
	global_store_dword v[18:19], v42, off
                                        ; implicit-def: $vgpr18_vgpr19
	s_and_saveexec_b64 s[0:1], vcc
	s_xor_b64 s[0:1], exec, s[0:1]
; %bb.93:
	v_xor_b32_e32 v18, 0xfffff9ff, v0
	v_ashrrev_i32_e32 v19, 31, v18
	v_lshl_add_u64 v[18:19], v[6:7], 0, v[18:19]
; %bb.94:
	s_andn2_saveexec_b64 s[0:1], s[0:1]
; %bb.95:
	v_lshl_add_u64 v[18:19], v[2:3], 0, v[44:45]
; %bb.96:
	s_or_b64 exec, exec, s[0:1]
	v_lshl_add_u64 v[18:19], v[18:19], 2, s[2:3]
	v_cmp_ge_u32_e32 vcc, v40, v20
	global_store_dword v[18:19], v43, off
                                        ; implicit-def: $vgpr18_vgpr19
	s_and_saveexec_b64 s[0:1], vcc
	s_xor_b64 s[0:1], exec, s[0:1]
; %bb.97:
	v_xor_b32_e32 v18, 0xfffff7ff, v0
	;; [unrolled: 33-line block ×7, first 2 shown]
	v_ashrrev_i32_e32 v19, 31, v18
	v_lshl_add_u64 v[18:19], v[6:7], 0, v[18:19]
; %bb.138:
	s_andn2_saveexec_b64 s[0:1], s[0:1]
; %bb.139:
	v_lshl_add_u64 v[18:19], v[2:3], 0, v[4:5]
; %bb.140:
	s_or_b64 exec, exec, s[0:1]
	s_mov_b64 s[0:1], -1
	s_branch .LBB105_233
.LBB105_141:
	s_mov_b64 s[0:1], 0
                                        ; implicit-def: $vgpr18_vgpr19
	s_cbranch_execz .LBB105_233
; %bb.142:
	v_cmp_gt_u32_e32 vcc, s33, v0
	s_and_saveexec_b64 s[4:5], vcc
	s_cbranch_execz .LBB105_184
; %bb.143:
	v_cmp_ge_u32_e32 vcc, v0, v20
                                        ; implicit-def: $vgpr18_vgpr19
	s_and_saveexec_b64 s[6:7], vcc
	s_xor_b64 s[6:7], exec, s[6:7]
; %bb.144:
	v_not_b32_e32 v18, v0
	v_ashrrev_i32_e32 v19, 31, v18
	v_lshl_add_u64 v[18:19], v[6:7], 0, v[18:19]
; %bb.145:
	s_andn2_saveexec_b64 s[6:7], s[6:7]
; %bb.146:
	v_lshl_add_u64 v[18:19], v[2:3], 0, v[0:1]
; %bb.147:
	s_or_b64 exec, exec, s[6:7]
	v_lshl_add_u64 v[18:19], v[18:19], 2, s[2:3]
	s_waitcnt lgkmcnt(7)
	global_store_dword v[18:19], v48, off
	s_or_b64 exec, exec, s[4:5]
	v_cmp_gt_u32_e32 vcc, s33, v50
	s_and_saveexec_b64 s[4:5], vcc
	s_cbranch_execnz .LBB105_185
.LBB105_148:
	s_or_b64 exec, exec, s[4:5]
	v_cmp_gt_u32_e32 vcc, s33, v46
	s_and_saveexec_b64 s[4:5], vcc
	s_cbranch_execz .LBB105_190
.LBB105_149:
	v_cmp_ge_u32_e32 vcc, v46, v20
                                        ; implicit-def: $vgpr18_vgpr19
	s_and_saveexec_b64 s[6:7], vcc
	s_xor_b64 s[6:7], exec, s[6:7]
; %bb.150:
	v_xor_b32_e32 v18, 0xfffffbff, v0
	v_ashrrev_i32_e32 v19, 31, v18
	v_lshl_add_u64 v[18:19], v[6:7], 0, v[18:19]
                                        ; implicit-def: $vgpr46_vgpr47
; %bb.151:
	s_andn2_saveexec_b64 s[6:7], s[6:7]
; %bb.152:
	v_lshl_add_u64 v[18:19], v[2:3], 0, v[46:47]
; %bb.153:
	s_or_b64 exec, exec, s[6:7]
	v_lshl_add_u64 v[18:19], v[18:19], 2, s[2:3]
	s_waitcnt lgkmcnt(6)
	global_store_dword v[18:19], v42, off
	s_or_b64 exec, exec, s[4:5]
	v_cmp_gt_u32_e32 vcc, s33, v44
	s_and_saveexec_b64 s[4:5], vcc
	s_cbranch_execnz .LBB105_191
.LBB105_154:
	s_or_b64 exec, exec, s[4:5]
	v_cmp_gt_u32_e32 vcc, s33, v40
	s_and_saveexec_b64 s[4:5], vcc
	s_cbranch_execz .LBB105_196
.LBB105_155:
	v_cmp_ge_u32_e32 vcc, v40, v20
                                        ; implicit-def: $vgpr18_vgpr19
	s_and_saveexec_b64 s[6:7], vcc
	s_xor_b64 s[6:7], exec, s[6:7]
; %bb.156:
	v_xor_b32_e32 v18, 0xfffff7ff, v0
	v_ashrrev_i32_e32 v19, 31, v18
	v_lshl_add_u64 v[18:19], v[6:7], 0, v[18:19]
                                        ; implicit-def: $vgpr40_vgpr41
; %bb.157:
	s_andn2_saveexec_b64 s[6:7], s[6:7]
; %bb.158:
	v_lshl_add_u64 v[18:19], v[2:3], 0, v[40:41]
; %bb.159:
	s_or_b64 exec, exec, s[6:7]
	v_lshl_add_u64 v[18:19], v[18:19], 2, s[2:3]
	s_waitcnt lgkmcnt(5)
	global_store_dword v[18:19], v36, off
	s_or_b64 exec, exec, s[4:5]
	v_cmp_gt_u32_e32 vcc, s33, v38
	s_and_saveexec_b64 s[4:5], vcc
	s_cbranch_execnz .LBB105_197
.LBB105_160:
	s_or_b64 exec, exec, s[4:5]
	v_cmp_gt_u32_e32 vcc, s33, v34
	s_and_saveexec_b64 s[4:5], vcc
	s_cbranch_execz .LBB105_202
.LBB105_161:
	v_cmp_ge_u32_e32 vcc, v34, v20
                                        ; implicit-def: $vgpr18_vgpr19
	s_and_saveexec_b64 s[6:7], vcc
	s_xor_b64 s[6:7], exec, s[6:7]
; %bb.162:
	v_xor_b32_e32 v18, 0xfffff3ff, v0
	v_ashrrev_i32_e32 v19, 31, v18
	v_lshl_add_u64 v[18:19], v[6:7], 0, v[18:19]
                                        ; implicit-def: $vgpr34_vgpr35
; %bb.163:
	s_andn2_saveexec_b64 s[6:7], s[6:7]
; %bb.164:
	v_lshl_add_u64 v[18:19], v[2:3], 0, v[34:35]
; %bb.165:
	s_or_b64 exec, exec, s[6:7]
	v_lshl_add_u64 v[18:19], v[18:19], 2, s[2:3]
	s_waitcnt lgkmcnt(4)
	global_store_dword v[18:19], v30, off
	s_or_b64 exec, exec, s[4:5]
	v_cmp_gt_u32_e32 vcc, s33, v32
	s_and_saveexec_b64 s[4:5], vcc
	s_cbranch_execnz .LBB105_203
.LBB105_166:
	s_or_b64 exec, exec, s[4:5]
	v_cmp_gt_u32_e32 vcc, s33, v28
	s_and_saveexec_b64 s[4:5], vcc
	s_cbranch_execz .LBB105_208
.LBB105_167:
	v_cmp_ge_u32_e32 vcc, v28, v20
                                        ; implicit-def: $vgpr18_vgpr19
	s_and_saveexec_b64 s[6:7], vcc
	s_xor_b64 s[6:7], exec, s[6:7]
; %bb.168:
	v_xor_b32_e32 v18, 0xffffefff, v0
	v_ashrrev_i32_e32 v19, 31, v18
	v_lshl_add_u64 v[18:19], v[6:7], 0, v[18:19]
                                        ; implicit-def: $vgpr28_vgpr29
; %bb.169:
	s_andn2_saveexec_b64 s[6:7], s[6:7]
; %bb.170:
	v_lshl_add_u64 v[18:19], v[2:3], 0, v[28:29]
; %bb.171:
	s_or_b64 exec, exec, s[6:7]
	v_lshl_add_u64 v[18:19], v[18:19], 2, s[2:3]
	s_waitcnt lgkmcnt(3)
	global_store_dword v[18:19], v24, off
	s_or_b64 exec, exec, s[4:5]
	v_cmp_gt_u32_e32 vcc, s33, v26
	s_and_saveexec_b64 s[4:5], vcc
	s_cbranch_execnz .LBB105_209
.LBB105_172:
	s_or_b64 exec, exec, s[4:5]
	v_cmp_gt_u32_e32 vcc, s33, v22
	s_and_saveexec_b64 s[4:5], vcc
	s_cbranch_execz .LBB105_214
.LBB105_173:
	v_cmp_ge_u32_e32 vcc, v22, v20
                                        ; implicit-def: $vgpr18_vgpr19
	s_and_saveexec_b64 s[6:7], vcc
	s_xor_b64 s[6:7], exec, s[6:7]
; %bb.174:
	v_xor_b32_e32 v18, 0xffffebff, v0
	v_ashrrev_i32_e32 v19, 31, v18
	v_lshl_add_u64 v[18:19], v[6:7], 0, v[18:19]
                                        ; implicit-def: $vgpr22_vgpr23
; %bb.175:
	s_andn2_saveexec_b64 s[6:7], s[6:7]
; %bb.176:
	v_lshl_add_u64 v[18:19], v[2:3], 0, v[22:23]
; %bb.177:
	s_or_b64 exec, exec, s[6:7]
	v_lshl_add_u64 v[18:19], v[18:19], 2, s[2:3]
	s_waitcnt lgkmcnt(2)
	global_store_dword v[18:19], v14, off
	s_or_b64 exec, exec, s[4:5]
	v_cmp_gt_u32_e32 vcc, s33, v16
	s_and_saveexec_b64 s[4:5], vcc
	s_cbranch_execnz .LBB105_215
.LBB105_178:
	s_or_b64 exec, exec, s[4:5]
	v_cmp_gt_u32_e32 vcc, s33, v12
	s_and_saveexec_b64 s[4:5], vcc
	s_cbranch_execz .LBB105_220
.LBB105_179:
	v_cmp_ge_u32_e32 vcc, v12, v20
                                        ; implicit-def: $vgpr14_vgpr15
	s_and_saveexec_b64 s[6:7], vcc
	s_xor_b64 s[6:7], exec, s[6:7]
	s_cbranch_execz .LBB105_181
; %bb.180:
	v_xor_b32_e32 v12, 0xffffe7ff, v0
	v_ashrrev_i32_e32 v13, 31, v12
	s_waitcnt lgkmcnt(2)
	v_lshl_add_u64 v[14:15], v[6:7], 0, v[12:13]
                                        ; implicit-def: $vgpr12_vgpr13
.LBB105_181:
	s_andn2_saveexec_b64 s[6:7], s[6:7]
	s_cbranch_execz .LBB105_183
; %bb.182:
	s_waitcnt lgkmcnt(2)
	v_lshl_add_u64 v[14:15], v[2:3], 0, v[12:13]
.LBB105_183:
	s_or_b64 exec, exec, s[6:7]
	s_waitcnt lgkmcnt(2)
	v_lshl_add_u64 v[12:13], v[14:15], 2, s[2:3]
	s_waitcnt lgkmcnt(1)
	global_store_dword v[12:13], v8, off
	s_or_b64 exec, exec, s[4:5]
	v_cmp_gt_u32_e32 vcc, s33, v10
	s_and_saveexec_b64 s[4:5], vcc
	s_cbranch_execz .LBB105_226
	s_branch .LBB105_221
.LBB105_184:
	s_or_b64 exec, exec, s[4:5]
	v_cmp_gt_u32_e32 vcc, s33, v50
	s_and_saveexec_b64 s[4:5], vcc
	s_cbranch_execz .LBB105_148
.LBB105_185:
	v_cmp_ge_u32_e32 vcc, v50, v20
                                        ; implicit-def: $vgpr18_vgpr19
	s_and_saveexec_b64 s[6:7], vcc
	s_xor_b64 s[6:7], exec, s[6:7]
; %bb.186:
	v_xor_b32_e32 v18, 0xfffffdff, v0
	v_ashrrev_i32_e32 v19, 31, v18
	v_lshl_add_u64 v[18:19], v[6:7], 0, v[18:19]
                                        ; implicit-def: $vgpr50_vgpr51
; %bb.187:
	s_andn2_saveexec_b64 s[6:7], s[6:7]
; %bb.188:
	v_lshl_add_u64 v[18:19], v[2:3], 0, v[50:51]
; %bb.189:
	s_or_b64 exec, exec, s[6:7]
	v_lshl_add_u64 v[18:19], v[18:19], 2, s[2:3]
	s_waitcnt lgkmcnt(7)
	global_store_dword v[18:19], v49, off
	s_or_b64 exec, exec, s[4:5]
	v_cmp_gt_u32_e32 vcc, s33, v46
	s_and_saveexec_b64 s[4:5], vcc
	s_cbranch_execnz .LBB105_149
.LBB105_190:
	s_or_b64 exec, exec, s[4:5]
	v_cmp_gt_u32_e32 vcc, s33, v44
	s_and_saveexec_b64 s[4:5], vcc
	s_cbranch_execz .LBB105_154
.LBB105_191:
	v_cmp_ge_u32_e32 vcc, v44, v20
                                        ; implicit-def: $vgpr18_vgpr19
	s_and_saveexec_b64 s[6:7], vcc
	s_xor_b64 s[6:7], exec, s[6:7]
; %bb.192:
	v_xor_b32_e32 v18, 0xfffff9ff, v0
	v_ashrrev_i32_e32 v19, 31, v18
	v_lshl_add_u64 v[18:19], v[6:7], 0, v[18:19]
                                        ; implicit-def: $vgpr44_vgpr45
; %bb.193:
	s_andn2_saveexec_b64 s[6:7], s[6:7]
; %bb.194:
	v_lshl_add_u64 v[18:19], v[2:3], 0, v[44:45]
; %bb.195:
	s_or_b64 exec, exec, s[6:7]
	v_lshl_add_u64 v[18:19], v[18:19], 2, s[2:3]
	s_waitcnt lgkmcnt(6)
	global_store_dword v[18:19], v43, off
	s_or_b64 exec, exec, s[4:5]
	v_cmp_gt_u32_e32 vcc, s33, v40
	s_and_saveexec_b64 s[4:5], vcc
	s_cbranch_execnz .LBB105_155
.LBB105_196:
	s_or_b64 exec, exec, s[4:5]
	v_cmp_gt_u32_e32 vcc, s33, v38
	s_and_saveexec_b64 s[4:5], vcc
	s_cbranch_execz .LBB105_160
.LBB105_197:
	v_cmp_ge_u32_e32 vcc, v38, v20
                                        ; implicit-def: $vgpr18_vgpr19
	s_and_saveexec_b64 s[6:7], vcc
	s_xor_b64 s[6:7], exec, s[6:7]
; %bb.198:
	v_xor_b32_e32 v18, 0xfffff5ff, v0
	v_ashrrev_i32_e32 v19, 31, v18
	v_lshl_add_u64 v[18:19], v[6:7], 0, v[18:19]
                                        ; implicit-def: $vgpr38_vgpr39
; %bb.199:
	s_andn2_saveexec_b64 s[6:7], s[6:7]
; %bb.200:
	v_lshl_add_u64 v[18:19], v[2:3], 0, v[38:39]
; %bb.201:
	s_or_b64 exec, exec, s[6:7]
	v_lshl_add_u64 v[18:19], v[18:19], 2, s[2:3]
	s_waitcnt lgkmcnt(5)
	global_store_dword v[18:19], v37, off
	s_or_b64 exec, exec, s[4:5]
	v_cmp_gt_u32_e32 vcc, s33, v34
	s_and_saveexec_b64 s[4:5], vcc
	s_cbranch_execnz .LBB105_161
.LBB105_202:
	s_or_b64 exec, exec, s[4:5]
	v_cmp_gt_u32_e32 vcc, s33, v32
	s_and_saveexec_b64 s[4:5], vcc
	s_cbranch_execz .LBB105_166
.LBB105_203:
	v_cmp_ge_u32_e32 vcc, v32, v20
                                        ; implicit-def: $vgpr18_vgpr19
	s_and_saveexec_b64 s[6:7], vcc
	s_xor_b64 s[6:7], exec, s[6:7]
; %bb.204:
	v_xor_b32_e32 v18, 0xfffff1ff, v0
	v_ashrrev_i32_e32 v19, 31, v18
	v_lshl_add_u64 v[18:19], v[6:7], 0, v[18:19]
                                        ; implicit-def: $vgpr32_vgpr33
; %bb.205:
	s_andn2_saveexec_b64 s[6:7], s[6:7]
; %bb.206:
	v_lshl_add_u64 v[18:19], v[2:3], 0, v[32:33]
; %bb.207:
	s_or_b64 exec, exec, s[6:7]
	v_lshl_add_u64 v[18:19], v[18:19], 2, s[2:3]
	s_waitcnt lgkmcnt(4)
	global_store_dword v[18:19], v31, off
	s_or_b64 exec, exec, s[4:5]
	v_cmp_gt_u32_e32 vcc, s33, v28
	s_and_saveexec_b64 s[4:5], vcc
	s_cbranch_execnz .LBB105_167
.LBB105_208:
	s_or_b64 exec, exec, s[4:5]
	v_cmp_gt_u32_e32 vcc, s33, v26
	s_and_saveexec_b64 s[4:5], vcc
	s_cbranch_execz .LBB105_172
.LBB105_209:
	v_cmp_ge_u32_e32 vcc, v26, v20
                                        ; implicit-def: $vgpr18_vgpr19
	s_and_saveexec_b64 s[6:7], vcc
	s_xor_b64 s[6:7], exec, s[6:7]
; %bb.210:
	v_xor_b32_e32 v18, 0xffffedff, v0
	v_ashrrev_i32_e32 v19, 31, v18
	v_lshl_add_u64 v[18:19], v[6:7], 0, v[18:19]
                                        ; implicit-def: $vgpr26_vgpr27
; %bb.211:
	s_andn2_saveexec_b64 s[6:7], s[6:7]
; %bb.212:
	v_lshl_add_u64 v[18:19], v[2:3], 0, v[26:27]
; %bb.213:
	s_or_b64 exec, exec, s[6:7]
	v_lshl_add_u64 v[18:19], v[18:19], 2, s[2:3]
	s_waitcnt lgkmcnt(3)
	global_store_dword v[18:19], v25, off
	s_or_b64 exec, exec, s[4:5]
	v_cmp_gt_u32_e32 vcc, s33, v22
	s_and_saveexec_b64 s[4:5], vcc
	s_cbranch_execnz .LBB105_173
.LBB105_214:
	s_or_b64 exec, exec, s[4:5]
	v_cmp_gt_u32_e32 vcc, s33, v16
	s_and_saveexec_b64 s[4:5], vcc
	s_cbranch_execz .LBB105_178
.LBB105_215:
	v_cmp_ge_u32_e32 vcc, v16, v20
                                        ; implicit-def: $vgpr18_vgpr19
	s_and_saveexec_b64 s[6:7], vcc
	s_xor_b64 s[6:7], exec, s[6:7]
; %bb.216:
	v_xor_b32_e32 v16, 0xffffe9ff, v0
	v_ashrrev_i32_e32 v17, 31, v16
	v_lshl_add_u64 v[18:19], v[6:7], 0, v[16:17]
                                        ; implicit-def: $vgpr16_vgpr17
; %bb.217:
	s_andn2_saveexec_b64 s[6:7], s[6:7]
; %bb.218:
	v_lshl_add_u64 v[18:19], v[2:3], 0, v[16:17]
; %bb.219:
	s_or_b64 exec, exec, s[6:7]
	v_lshl_add_u64 v[16:17], v[18:19], 2, s[2:3]
	s_waitcnt lgkmcnt(2)
	global_store_dword v[16:17], v15, off
	s_or_b64 exec, exec, s[4:5]
	v_cmp_gt_u32_e32 vcc, s33, v12
	s_and_saveexec_b64 s[4:5], vcc
	s_cbranch_execnz .LBB105_179
.LBB105_220:
	s_or_b64 exec, exec, s[4:5]
	v_cmp_gt_u32_e32 vcc, s33, v10
	s_and_saveexec_b64 s[4:5], vcc
	s_cbranch_execz .LBB105_226
.LBB105_221:
	v_cmp_ge_u32_e32 vcc, v10, v20
                                        ; implicit-def: $vgpr12_vgpr13
	s_and_saveexec_b64 s[6:7], vcc
	s_xor_b64 s[6:7], exec, s[6:7]
; %bb.222:
	v_xor_b32_e32 v10, 0xffffe5ff, v0
	v_ashrrev_i32_e32 v11, 31, v10
	v_lshl_add_u64 v[12:13], v[6:7], 0, v[10:11]
                                        ; implicit-def: $vgpr10_vgpr11
; %bb.223:
	s_andn2_saveexec_b64 s[6:7], s[6:7]
; %bb.224:
	v_lshl_add_u64 v[12:13], v[2:3], 0, v[10:11]
; %bb.225:
	s_or_b64 exec, exec, s[6:7]
	v_lshl_add_u64 v[10:11], v[12:13], 2, s[2:3]
	s_waitcnt lgkmcnt(1)
	global_store_dword v[10:11], v9, off
.LBB105_226:
	s_or_b64 exec, exec, s[4:5]
	v_cmp_gt_u32_e32 vcc, s33, v4
                                        ; implicit-def: $vgpr18_vgpr19
	s_and_saveexec_b64 s[4:5], vcc
	s_cbranch_execz .LBB105_232
; %bb.227:
	v_cmp_ge_u32_e32 vcc, v4, v20
                                        ; implicit-def: $vgpr18_vgpr19
	s_and_saveexec_b64 s[6:7], vcc
	s_xor_b64 s[6:7], exec, s[6:7]
; %bb.228:
	v_xor_b32_e32 v4, 0xffffe3ff, v0
	v_ashrrev_i32_e32 v5, 31, v4
	v_lshl_add_u64 v[18:19], v[6:7], 0, v[4:5]
                                        ; implicit-def: $vgpr4_vgpr5
; %bb.229:
	s_andn2_saveexec_b64 s[6:7], s[6:7]
; %bb.230:
	v_lshl_add_u64 v[18:19], v[2:3], 0, v[4:5]
; %bb.231:
	s_or_b64 exec, exec, s[6:7]
	s_or_b64 s[0:1], s[0:1], exec
.LBB105_232:
	s_or_b64 exec, exec, s[4:5]
.LBB105_233:
	s_and_saveexec_b64 s[4:5], s[0:1]
	s_cbranch_execz .LBB105_235
; %bb.234:
	v_lshl_add_u64 v[4:5], v[18:19], 2, s[2:3]
	s_waitcnt lgkmcnt(0)
	global_store_dword v[4:5], v54, off
.LBB105_235:
	s_or_b64 exec, exec, s[4:5]
	v_cmp_eq_u32_e32 vcc, 0, v0
	s_and_b64 s[0:1], vcc, s[26:27]
	s_and_saveexec_b64 s[2:3], s[0:1]
	s_cbranch_execz .LBB105_237
; %bb.236:
	v_mov_b32_e32 v4, 0
	v_lshl_add_u64 v[0:1], v[2:3], 0, v[20:21]
	global_store_dwordx2 v4, v[0:1], s[24:25]
.LBB105_237:
	s_endpgm
	.section	.rodata,"a",@progbits
	.p2align	6, 0x0
	.amdhsa_kernel _ZN7rocprim17ROCPRIM_400000_NS6detail17trampoline_kernelINS0_14default_configENS1_25partition_config_selectorILNS1_17partition_subalgoE3EiNS0_10empty_typeEbEEZZNS1_14partition_implILS5_3ELb0ES3_jN6thrust23THRUST_200600_302600_NS6detail15normal_iteratorINSA_7pointerIiNSA_11hip_rocprim3tagENSA_11use_defaultESG_EEEEPS6_SJ_NS0_5tupleIJPiSJ_EEENSK_IJSJ_SJ_EEES6_PlJ7is_evenIiEEEE10hipError_tPvRmT3_T4_T5_T6_T7_T9_mT8_P12ihipStream_tbDpT10_ENKUlT_T0_E_clISt17integral_constantIbLb1EES19_IbLb0EEEEDaS15_S16_EUlS15_E_NS1_11comp_targetILNS1_3genE5ELNS1_11target_archE942ELNS1_3gpuE9ELNS1_3repE0EEENS1_30default_config_static_selectorELNS0_4arch9wavefront6targetE1EEEvT1_
		.amdhsa_group_segment_fixed_size 30728
		.amdhsa_private_segment_fixed_size 0
		.amdhsa_kernarg_size 120
		.amdhsa_user_sgpr_count 2
		.amdhsa_user_sgpr_dispatch_ptr 0
		.amdhsa_user_sgpr_queue_ptr 0
		.amdhsa_user_sgpr_kernarg_segment_ptr 1
		.amdhsa_user_sgpr_dispatch_id 0
		.amdhsa_user_sgpr_kernarg_preload_length 0
		.amdhsa_user_sgpr_kernarg_preload_offset 0
		.amdhsa_user_sgpr_private_segment_size 0
		.amdhsa_uses_dynamic_stack 0
		.amdhsa_enable_private_segment 0
		.amdhsa_system_sgpr_workgroup_id_x 1
		.amdhsa_system_sgpr_workgroup_id_y 0
		.amdhsa_system_sgpr_workgroup_id_z 0
		.amdhsa_system_sgpr_workgroup_info 0
		.amdhsa_system_vgpr_workitem_id 0
		.amdhsa_next_free_vgpr 76
		.amdhsa_next_free_sgpr 46
		.amdhsa_accum_offset 76
		.amdhsa_reserve_vcc 1
		.amdhsa_float_round_mode_32 0
		.amdhsa_float_round_mode_16_64 0
		.amdhsa_float_denorm_mode_32 3
		.amdhsa_float_denorm_mode_16_64 3
		.amdhsa_dx10_clamp 1
		.amdhsa_ieee_mode 1
		.amdhsa_fp16_overflow 0
		.amdhsa_tg_split 0
		.amdhsa_exception_fp_ieee_invalid_op 0
		.amdhsa_exception_fp_denorm_src 0
		.amdhsa_exception_fp_ieee_div_zero 0
		.amdhsa_exception_fp_ieee_overflow 0
		.amdhsa_exception_fp_ieee_underflow 0
		.amdhsa_exception_fp_ieee_inexact 0
		.amdhsa_exception_int_div_zero 0
	.end_amdhsa_kernel
	.section	.text._ZN7rocprim17ROCPRIM_400000_NS6detail17trampoline_kernelINS0_14default_configENS1_25partition_config_selectorILNS1_17partition_subalgoE3EiNS0_10empty_typeEbEEZZNS1_14partition_implILS5_3ELb0ES3_jN6thrust23THRUST_200600_302600_NS6detail15normal_iteratorINSA_7pointerIiNSA_11hip_rocprim3tagENSA_11use_defaultESG_EEEEPS6_SJ_NS0_5tupleIJPiSJ_EEENSK_IJSJ_SJ_EEES6_PlJ7is_evenIiEEEE10hipError_tPvRmT3_T4_T5_T6_T7_T9_mT8_P12ihipStream_tbDpT10_ENKUlT_T0_E_clISt17integral_constantIbLb1EES19_IbLb0EEEEDaS15_S16_EUlS15_E_NS1_11comp_targetILNS1_3genE5ELNS1_11target_archE942ELNS1_3gpuE9ELNS1_3repE0EEENS1_30default_config_static_selectorELNS0_4arch9wavefront6targetE1EEEvT1_,"axG",@progbits,_ZN7rocprim17ROCPRIM_400000_NS6detail17trampoline_kernelINS0_14default_configENS1_25partition_config_selectorILNS1_17partition_subalgoE3EiNS0_10empty_typeEbEEZZNS1_14partition_implILS5_3ELb0ES3_jN6thrust23THRUST_200600_302600_NS6detail15normal_iteratorINSA_7pointerIiNSA_11hip_rocprim3tagENSA_11use_defaultESG_EEEEPS6_SJ_NS0_5tupleIJPiSJ_EEENSK_IJSJ_SJ_EEES6_PlJ7is_evenIiEEEE10hipError_tPvRmT3_T4_T5_T6_T7_T9_mT8_P12ihipStream_tbDpT10_ENKUlT_T0_E_clISt17integral_constantIbLb1EES19_IbLb0EEEEDaS15_S16_EUlS15_E_NS1_11comp_targetILNS1_3genE5ELNS1_11target_archE942ELNS1_3gpuE9ELNS1_3repE0EEENS1_30default_config_static_selectorELNS0_4arch9wavefront6targetE1EEEvT1_,comdat
.Lfunc_end105:
	.size	_ZN7rocprim17ROCPRIM_400000_NS6detail17trampoline_kernelINS0_14default_configENS1_25partition_config_selectorILNS1_17partition_subalgoE3EiNS0_10empty_typeEbEEZZNS1_14partition_implILS5_3ELb0ES3_jN6thrust23THRUST_200600_302600_NS6detail15normal_iteratorINSA_7pointerIiNSA_11hip_rocprim3tagENSA_11use_defaultESG_EEEEPS6_SJ_NS0_5tupleIJPiSJ_EEENSK_IJSJ_SJ_EEES6_PlJ7is_evenIiEEEE10hipError_tPvRmT3_T4_T5_T6_T7_T9_mT8_P12ihipStream_tbDpT10_ENKUlT_T0_E_clISt17integral_constantIbLb1EES19_IbLb0EEEEDaS15_S16_EUlS15_E_NS1_11comp_targetILNS1_3genE5ELNS1_11target_archE942ELNS1_3gpuE9ELNS1_3repE0EEENS1_30default_config_static_selectorELNS0_4arch9wavefront6targetE1EEEvT1_, .Lfunc_end105-_ZN7rocprim17ROCPRIM_400000_NS6detail17trampoline_kernelINS0_14default_configENS1_25partition_config_selectorILNS1_17partition_subalgoE3EiNS0_10empty_typeEbEEZZNS1_14partition_implILS5_3ELb0ES3_jN6thrust23THRUST_200600_302600_NS6detail15normal_iteratorINSA_7pointerIiNSA_11hip_rocprim3tagENSA_11use_defaultESG_EEEEPS6_SJ_NS0_5tupleIJPiSJ_EEENSK_IJSJ_SJ_EEES6_PlJ7is_evenIiEEEE10hipError_tPvRmT3_T4_T5_T6_T7_T9_mT8_P12ihipStream_tbDpT10_ENKUlT_T0_E_clISt17integral_constantIbLb1EES19_IbLb0EEEEDaS15_S16_EUlS15_E_NS1_11comp_targetILNS1_3genE5ELNS1_11target_archE942ELNS1_3gpuE9ELNS1_3repE0EEENS1_30default_config_static_selectorELNS0_4arch9wavefront6targetE1EEEvT1_
                                        ; -- End function
	.section	.AMDGPU.csdata,"",@progbits
; Kernel info:
; codeLenInByte = 7596
; NumSgprs: 52
; NumVgprs: 76
; NumAgprs: 0
; TotalNumVgprs: 76
; ScratchSize: 0
; MemoryBound: 0
; FloatMode: 240
; IeeeMode: 1
; LDSByteSize: 30728 bytes/workgroup (compile time only)
; SGPRBlocks: 6
; VGPRBlocks: 9
; NumSGPRsForWavesPerEU: 52
; NumVGPRsForWavesPerEU: 76
; AccumOffset: 76
; Occupancy: 4
; WaveLimiterHint : 1
; COMPUTE_PGM_RSRC2:SCRATCH_EN: 0
; COMPUTE_PGM_RSRC2:USER_SGPR: 2
; COMPUTE_PGM_RSRC2:TRAP_HANDLER: 0
; COMPUTE_PGM_RSRC2:TGID_X_EN: 1
; COMPUTE_PGM_RSRC2:TGID_Y_EN: 0
; COMPUTE_PGM_RSRC2:TGID_Z_EN: 0
; COMPUTE_PGM_RSRC2:TIDIG_COMP_CNT: 0
; COMPUTE_PGM_RSRC3_GFX90A:ACCUM_OFFSET: 18
; COMPUTE_PGM_RSRC3_GFX90A:TG_SPLIT: 0
	.section	.text._ZN7rocprim17ROCPRIM_400000_NS6detail17trampoline_kernelINS0_14default_configENS1_25partition_config_selectorILNS1_17partition_subalgoE3EiNS0_10empty_typeEbEEZZNS1_14partition_implILS5_3ELb0ES3_jN6thrust23THRUST_200600_302600_NS6detail15normal_iteratorINSA_7pointerIiNSA_11hip_rocprim3tagENSA_11use_defaultESG_EEEEPS6_SJ_NS0_5tupleIJPiSJ_EEENSK_IJSJ_SJ_EEES6_PlJ7is_evenIiEEEE10hipError_tPvRmT3_T4_T5_T6_T7_T9_mT8_P12ihipStream_tbDpT10_ENKUlT_T0_E_clISt17integral_constantIbLb1EES19_IbLb0EEEEDaS15_S16_EUlS15_E_NS1_11comp_targetILNS1_3genE4ELNS1_11target_archE910ELNS1_3gpuE8ELNS1_3repE0EEENS1_30default_config_static_selectorELNS0_4arch9wavefront6targetE1EEEvT1_,"axG",@progbits,_ZN7rocprim17ROCPRIM_400000_NS6detail17trampoline_kernelINS0_14default_configENS1_25partition_config_selectorILNS1_17partition_subalgoE3EiNS0_10empty_typeEbEEZZNS1_14partition_implILS5_3ELb0ES3_jN6thrust23THRUST_200600_302600_NS6detail15normal_iteratorINSA_7pointerIiNSA_11hip_rocprim3tagENSA_11use_defaultESG_EEEEPS6_SJ_NS0_5tupleIJPiSJ_EEENSK_IJSJ_SJ_EEES6_PlJ7is_evenIiEEEE10hipError_tPvRmT3_T4_T5_T6_T7_T9_mT8_P12ihipStream_tbDpT10_ENKUlT_T0_E_clISt17integral_constantIbLb1EES19_IbLb0EEEEDaS15_S16_EUlS15_E_NS1_11comp_targetILNS1_3genE4ELNS1_11target_archE910ELNS1_3gpuE8ELNS1_3repE0EEENS1_30default_config_static_selectorELNS0_4arch9wavefront6targetE1EEEvT1_,comdat
	.protected	_ZN7rocprim17ROCPRIM_400000_NS6detail17trampoline_kernelINS0_14default_configENS1_25partition_config_selectorILNS1_17partition_subalgoE3EiNS0_10empty_typeEbEEZZNS1_14partition_implILS5_3ELb0ES3_jN6thrust23THRUST_200600_302600_NS6detail15normal_iteratorINSA_7pointerIiNSA_11hip_rocprim3tagENSA_11use_defaultESG_EEEEPS6_SJ_NS0_5tupleIJPiSJ_EEENSK_IJSJ_SJ_EEES6_PlJ7is_evenIiEEEE10hipError_tPvRmT3_T4_T5_T6_T7_T9_mT8_P12ihipStream_tbDpT10_ENKUlT_T0_E_clISt17integral_constantIbLb1EES19_IbLb0EEEEDaS15_S16_EUlS15_E_NS1_11comp_targetILNS1_3genE4ELNS1_11target_archE910ELNS1_3gpuE8ELNS1_3repE0EEENS1_30default_config_static_selectorELNS0_4arch9wavefront6targetE1EEEvT1_ ; -- Begin function _ZN7rocprim17ROCPRIM_400000_NS6detail17trampoline_kernelINS0_14default_configENS1_25partition_config_selectorILNS1_17partition_subalgoE3EiNS0_10empty_typeEbEEZZNS1_14partition_implILS5_3ELb0ES3_jN6thrust23THRUST_200600_302600_NS6detail15normal_iteratorINSA_7pointerIiNSA_11hip_rocprim3tagENSA_11use_defaultESG_EEEEPS6_SJ_NS0_5tupleIJPiSJ_EEENSK_IJSJ_SJ_EEES6_PlJ7is_evenIiEEEE10hipError_tPvRmT3_T4_T5_T6_T7_T9_mT8_P12ihipStream_tbDpT10_ENKUlT_T0_E_clISt17integral_constantIbLb1EES19_IbLb0EEEEDaS15_S16_EUlS15_E_NS1_11comp_targetILNS1_3genE4ELNS1_11target_archE910ELNS1_3gpuE8ELNS1_3repE0EEENS1_30default_config_static_selectorELNS0_4arch9wavefront6targetE1EEEvT1_
	.globl	_ZN7rocprim17ROCPRIM_400000_NS6detail17trampoline_kernelINS0_14default_configENS1_25partition_config_selectorILNS1_17partition_subalgoE3EiNS0_10empty_typeEbEEZZNS1_14partition_implILS5_3ELb0ES3_jN6thrust23THRUST_200600_302600_NS6detail15normal_iteratorINSA_7pointerIiNSA_11hip_rocprim3tagENSA_11use_defaultESG_EEEEPS6_SJ_NS0_5tupleIJPiSJ_EEENSK_IJSJ_SJ_EEES6_PlJ7is_evenIiEEEE10hipError_tPvRmT3_T4_T5_T6_T7_T9_mT8_P12ihipStream_tbDpT10_ENKUlT_T0_E_clISt17integral_constantIbLb1EES19_IbLb0EEEEDaS15_S16_EUlS15_E_NS1_11comp_targetILNS1_3genE4ELNS1_11target_archE910ELNS1_3gpuE8ELNS1_3repE0EEENS1_30default_config_static_selectorELNS0_4arch9wavefront6targetE1EEEvT1_
	.p2align	8
	.type	_ZN7rocprim17ROCPRIM_400000_NS6detail17trampoline_kernelINS0_14default_configENS1_25partition_config_selectorILNS1_17partition_subalgoE3EiNS0_10empty_typeEbEEZZNS1_14partition_implILS5_3ELb0ES3_jN6thrust23THRUST_200600_302600_NS6detail15normal_iteratorINSA_7pointerIiNSA_11hip_rocprim3tagENSA_11use_defaultESG_EEEEPS6_SJ_NS0_5tupleIJPiSJ_EEENSK_IJSJ_SJ_EEES6_PlJ7is_evenIiEEEE10hipError_tPvRmT3_T4_T5_T6_T7_T9_mT8_P12ihipStream_tbDpT10_ENKUlT_T0_E_clISt17integral_constantIbLb1EES19_IbLb0EEEEDaS15_S16_EUlS15_E_NS1_11comp_targetILNS1_3genE4ELNS1_11target_archE910ELNS1_3gpuE8ELNS1_3repE0EEENS1_30default_config_static_selectorELNS0_4arch9wavefront6targetE1EEEvT1_,@function
_ZN7rocprim17ROCPRIM_400000_NS6detail17trampoline_kernelINS0_14default_configENS1_25partition_config_selectorILNS1_17partition_subalgoE3EiNS0_10empty_typeEbEEZZNS1_14partition_implILS5_3ELb0ES3_jN6thrust23THRUST_200600_302600_NS6detail15normal_iteratorINSA_7pointerIiNSA_11hip_rocprim3tagENSA_11use_defaultESG_EEEEPS6_SJ_NS0_5tupleIJPiSJ_EEENSK_IJSJ_SJ_EEES6_PlJ7is_evenIiEEEE10hipError_tPvRmT3_T4_T5_T6_T7_T9_mT8_P12ihipStream_tbDpT10_ENKUlT_T0_E_clISt17integral_constantIbLb1EES19_IbLb0EEEEDaS15_S16_EUlS15_E_NS1_11comp_targetILNS1_3genE4ELNS1_11target_archE910ELNS1_3gpuE8ELNS1_3repE0EEENS1_30default_config_static_selectorELNS0_4arch9wavefront6targetE1EEEvT1_: ; @_ZN7rocprim17ROCPRIM_400000_NS6detail17trampoline_kernelINS0_14default_configENS1_25partition_config_selectorILNS1_17partition_subalgoE3EiNS0_10empty_typeEbEEZZNS1_14partition_implILS5_3ELb0ES3_jN6thrust23THRUST_200600_302600_NS6detail15normal_iteratorINSA_7pointerIiNSA_11hip_rocprim3tagENSA_11use_defaultESG_EEEEPS6_SJ_NS0_5tupleIJPiSJ_EEENSK_IJSJ_SJ_EEES6_PlJ7is_evenIiEEEE10hipError_tPvRmT3_T4_T5_T6_T7_T9_mT8_P12ihipStream_tbDpT10_ENKUlT_T0_E_clISt17integral_constantIbLb1EES19_IbLb0EEEEDaS15_S16_EUlS15_E_NS1_11comp_targetILNS1_3genE4ELNS1_11target_archE910ELNS1_3gpuE8ELNS1_3repE0EEENS1_30default_config_static_selectorELNS0_4arch9wavefront6targetE1EEEvT1_
; %bb.0:
	.section	.rodata,"a",@progbits
	.p2align	6, 0x0
	.amdhsa_kernel _ZN7rocprim17ROCPRIM_400000_NS6detail17trampoline_kernelINS0_14default_configENS1_25partition_config_selectorILNS1_17partition_subalgoE3EiNS0_10empty_typeEbEEZZNS1_14partition_implILS5_3ELb0ES3_jN6thrust23THRUST_200600_302600_NS6detail15normal_iteratorINSA_7pointerIiNSA_11hip_rocprim3tagENSA_11use_defaultESG_EEEEPS6_SJ_NS0_5tupleIJPiSJ_EEENSK_IJSJ_SJ_EEES6_PlJ7is_evenIiEEEE10hipError_tPvRmT3_T4_T5_T6_T7_T9_mT8_P12ihipStream_tbDpT10_ENKUlT_T0_E_clISt17integral_constantIbLb1EES19_IbLb0EEEEDaS15_S16_EUlS15_E_NS1_11comp_targetILNS1_3genE4ELNS1_11target_archE910ELNS1_3gpuE8ELNS1_3repE0EEENS1_30default_config_static_selectorELNS0_4arch9wavefront6targetE1EEEvT1_
		.amdhsa_group_segment_fixed_size 0
		.amdhsa_private_segment_fixed_size 0
		.amdhsa_kernarg_size 120
		.amdhsa_user_sgpr_count 2
		.amdhsa_user_sgpr_dispatch_ptr 0
		.amdhsa_user_sgpr_queue_ptr 0
		.amdhsa_user_sgpr_kernarg_segment_ptr 1
		.amdhsa_user_sgpr_dispatch_id 0
		.amdhsa_user_sgpr_kernarg_preload_length 0
		.amdhsa_user_sgpr_kernarg_preload_offset 0
		.amdhsa_user_sgpr_private_segment_size 0
		.amdhsa_uses_dynamic_stack 0
		.amdhsa_enable_private_segment 0
		.amdhsa_system_sgpr_workgroup_id_x 1
		.amdhsa_system_sgpr_workgroup_id_y 0
		.amdhsa_system_sgpr_workgroup_id_z 0
		.amdhsa_system_sgpr_workgroup_info 0
		.amdhsa_system_vgpr_workitem_id 0
		.amdhsa_next_free_vgpr 1
		.amdhsa_next_free_sgpr 0
		.amdhsa_accum_offset 4
		.amdhsa_reserve_vcc 0
		.amdhsa_float_round_mode_32 0
		.amdhsa_float_round_mode_16_64 0
		.amdhsa_float_denorm_mode_32 3
		.amdhsa_float_denorm_mode_16_64 3
		.amdhsa_dx10_clamp 1
		.amdhsa_ieee_mode 1
		.amdhsa_fp16_overflow 0
		.amdhsa_tg_split 0
		.amdhsa_exception_fp_ieee_invalid_op 0
		.amdhsa_exception_fp_denorm_src 0
		.amdhsa_exception_fp_ieee_div_zero 0
		.amdhsa_exception_fp_ieee_overflow 0
		.amdhsa_exception_fp_ieee_underflow 0
		.amdhsa_exception_fp_ieee_inexact 0
		.amdhsa_exception_int_div_zero 0
	.end_amdhsa_kernel
	.section	.text._ZN7rocprim17ROCPRIM_400000_NS6detail17trampoline_kernelINS0_14default_configENS1_25partition_config_selectorILNS1_17partition_subalgoE3EiNS0_10empty_typeEbEEZZNS1_14partition_implILS5_3ELb0ES3_jN6thrust23THRUST_200600_302600_NS6detail15normal_iteratorINSA_7pointerIiNSA_11hip_rocprim3tagENSA_11use_defaultESG_EEEEPS6_SJ_NS0_5tupleIJPiSJ_EEENSK_IJSJ_SJ_EEES6_PlJ7is_evenIiEEEE10hipError_tPvRmT3_T4_T5_T6_T7_T9_mT8_P12ihipStream_tbDpT10_ENKUlT_T0_E_clISt17integral_constantIbLb1EES19_IbLb0EEEEDaS15_S16_EUlS15_E_NS1_11comp_targetILNS1_3genE4ELNS1_11target_archE910ELNS1_3gpuE8ELNS1_3repE0EEENS1_30default_config_static_selectorELNS0_4arch9wavefront6targetE1EEEvT1_,"axG",@progbits,_ZN7rocprim17ROCPRIM_400000_NS6detail17trampoline_kernelINS0_14default_configENS1_25partition_config_selectorILNS1_17partition_subalgoE3EiNS0_10empty_typeEbEEZZNS1_14partition_implILS5_3ELb0ES3_jN6thrust23THRUST_200600_302600_NS6detail15normal_iteratorINSA_7pointerIiNSA_11hip_rocprim3tagENSA_11use_defaultESG_EEEEPS6_SJ_NS0_5tupleIJPiSJ_EEENSK_IJSJ_SJ_EEES6_PlJ7is_evenIiEEEE10hipError_tPvRmT3_T4_T5_T6_T7_T9_mT8_P12ihipStream_tbDpT10_ENKUlT_T0_E_clISt17integral_constantIbLb1EES19_IbLb0EEEEDaS15_S16_EUlS15_E_NS1_11comp_targetILNS1_3genE4ELNS1_11target_archE910ELNS1_3gpuE8ELNS1_3repE0EEENS1_30default_config_static_selectorELNS0_4arch9wavefront6targetE1EEEvT1_,comdat
.Lfunc_end106:
	.size	_ZN7rocprim17ROCPRIM_400000_NS6detail17trampoline_kernelINS0_14default_configENS1_25partition_config_selectorILNS1_17partition_subalgoE3EiNS0_10empty_typeEbEEZZNS1_14partition_implILS5_3ELb0ES3_jN6thrust23THRUST_200600_302600_NS6detail15normal_iteratorINSA_7pointerIiNSA_11hip_rocprim3tagENSA_11use_defaultESG_EEEEPS6_SJ_NS0_5tupleIJPiSJ_EEENSK_IJSJ_SJ_EEES6_PlJ7is_evenIiEEEE10hipError_tPvRmT3_T4_T5_T6_T7_T9_mT8_P12ihipStream_tbDpT10_ENKUlT_T0_E_clISt17integral_constantIbLb1EES19_IbLb0EEEEDaS15_S16_EUlS15_E_NS1_11comp_targetILNS1_3genE4ELNS1_11target_archE910ELNS1_3gpuE8ELNS1_3repE0EEENS1_30default_config_static_selectorELNS0_4arch9wavefront6targetE1EEEvT1_, .Lfunc_end106-_ZN7rocprim17ROCPRIM_400000_NS6detail17trampoline_kernelINS0_14default_configENS1_25partition_config_selectorILNS1_17partition_subalgoE3EiNS0_10empty_typeEbEEZZNS1_14partition_implILS5_3ELb0ES3_jN6thrust23THRUST_200600_302600_NS6detail15normal_iteratorINSA_7pointerIiNSA_11hip_rocprim3tagENSA_11use_defaultESG_EEEEPS6_SJ_NS0_5tupleIJPiSJ_EEENSK_IJSJ_SJ_EEES6_PlJ7is_evenIiEEEE10hipError_tPvRmT3_T4_T5_T6_T7_T9_mT8_P12ihipStream_tbDpT10_ENKUlT_T0_E_clISt17integral_constantIbLb1EES19_IbLb0EEEEDaS15_S16_EUlS15_E_NS1_11comp_targetILNS1_3genE4ELNS1_11target_archE910ELNS1_3gpuE8ELNS1_3repE0EEENS1_30default_config_static_selectorELNS0_4arch9wavefront6targetE1EEEvT1_
                                        ; -- End function
	.section	.AMDGPU.csdata,"",@progbits
; Kernel info:
; codeLenInByte = 0
; NumSgprs: 6
; NumVgprs: 0
; NumAgprs: 0
; TotalNumVgprs: 0
; ScratchSize: 0
; MemoryBound: 0
; FloatMode: 240
; IeeeMode: 1
; LDSByteSize: 0 bytes/workgroup (compile time only)
; SGPRBlocks: 0
; VGPRBlocks: 0
; NumSGPRsForWavesPerEU: 6
; NumVGPRsForWavesPerEU: 1
; AccumOffset: 4
; Occupancy: 8
; WaveLimiterHint : 0
; COMPUTE_PGM_RSRC2:SCRATCH_EN: 0
; COMPUTE_PGM_RSRC2:USER_SGPR: 2
; COMPUTE_PGM_RSRC2:TRAP_HANDLER: 0
; COMPUTE_PGM_RSRC2:TGID_X_EN: 1
; COMPUTE_PGM_RSRC2:TGID_Y_EN: 0
; COMPUTE_PGM_RSRC2:TGID_Z_EN: 0
; COMPUTE_PGM_RSRC2:TIDIG_COMP_CNT: 0
; COMPUTE_PGM_RSRC3_GFX90A:ACCUM_OFFSET: 0
; COMPUTE_PGM_RSRC3_GFX90A:TG_SPLIT: 0
	.section	.text._ZN7rocprim17ROCPRIM_400000_NS6detail17trampoline_kernelINS0_14default_configENS1_25partition_config_selectorILNS1_17partition_subalgoE3EiNS0_10empty_typeEbEEZZNS1_14partition_implILS5_3ELb0ES3_jN6thrust23THRUST_200600_302600_NS6detail15normal_iteratorINSA_7pointerIiNSA_11hip_rocprim3tagENSA_11use_defaultESG_EEEEPS6_SJ_NS0_5tupleIJPiSJ_EEENSK_IJSJ_SJ_EEES6_PlJ7is_evenIiEEEE10hipError_tPvRmT3_T4_T5_T6_T7_T9_mT8_P12ihipStream_tbDpT10_ENKUlT_T0_E_clISt17integral_constantIbLb1EES19_IbLb0EEEEDaS15_S16_EUlS15_E_NS1_11comp_targetILNS1_3genE3ELNS1_11target_archE908ELNS1_3gpuE7ELNS1_3repE0EEENS1_30default_config_static_selectorELNS0_4arch9wavefront6targetE1EEEvT1_,"axG",@progbits,_ZN7rocprim17ROCPRIM_400000_NS6detail17trampoline_kernelINS0_14default_configENS1_25partition_config_selectorILNS1_17partition_subalgoE3EiNS0_10empty_typeEbEEZZNS1_14partition_implILS5_3ELb0ES3_jN6thrust23THRUST_200600_302600_NS6detail15normal_iteratorINSA_7pointerIiNSA_11hip_rocprim3tagENSA_11use_defaultESG_EEEEPS6_SJ_NS0_5tupleIJPiSJ_EEENSK_IJSJ_SJ_EEES6_PlJ7is_evenIiEEEE10hipError_tPvRmT3_T4_T5_T6_T7_T9_mT8_P12ihipStream_tbDpT10_ENKUlT_T0_E_clISt17integral_constantIbLb1EES19_IbLb0EEEEDaS15_S16_EUlS15_E_NS1_11comp_targetILNS1_3genE3ELNS1_11target_archE908ELNS1_3gpuE7ELNS1_3repE0EEENS1_30default_config_static_selectorELNS0_4arch9wavefront6targetE1EEEvT1_,comdat
	.protected	_ZN7rocprim17ROCPRIM_400000_NS6detail17trampoline_kernelINS0_14default_configENS1_25partition_config_selectorILNS1_17partition_subalgoE3EiNS0_10empty_typeEbEEZZNS1_14partition_implILS5_3ELb0ES3_jN6thrust23THRUST_200600_302600_NS6detail15normal_iteratorINSA_7pointerIiNSA_11hip_rocprim3tagENSA_11use_defaultESG_EEEEPS6_SJ_NS0_5tupleIJPiSJ_EEENSK_IJSJ_SJ_EEES6_PlJ7is_evenIiEEEE10hipError_tPvRmT3_T4_T5_T6_T7_T9_mT8_P12ihipStream_tbDpT10_ENKUlT_T0_E_clISt17integral_constantIbLb1EES19_IbLb0EEEEDaS15_S16_EUlS15_E_NS1_11comp_targetILNS1_3genE3ELNS1_11target_archE908ELNS1_3gpuE7ELNS1_3repE0EEENS1_30default_config_static_selectorELNS0_4arch9wavefront6targetE1EEEvT1_ ; -- Begin function _ZN7rocprim17ROCPRIM_400000_NS6detail17trampoline_kernelINS0_14default_configENS1_25partition_config_selectorILNS1_17partition_subalgoE3EiNS0_10empty_typeEbEEZZNS1_14partition_implILS5_3ELb0ES3_jN6thrust23THRUST_200600_302600_NS6detail15normal_iteratorINSA_7pointerIiNSA_11hip_rocprim3tagENSA_11use_defaultESG_EEEEPS6_SJ_NS0_5tupleIJPiSJ_EEENSK_IJSJ_SJ_EEES6_PlJ7is_evenIiEEEE10hipError_tPvRmT3_T4_T5_T6_T7_T9_mT8_P12ihipStream_tbDpT10_ENKUlT_T0_E_clISt17integral_constantIbLb1EES19_IbLb0EEEEDaS15_S16_EUlS15_E_NS1_11comp_targetILNS1_3genE3ELNS1_11target_archE908ELNS1_3gpuE7ELNS1_3repE0EEENS1_30default_config_static_selectorELNS0_4arch9wavefront6targetE1EEEvT1_
	.globl	_ZN7rocprim17ROCPRIM_400000_NS6detail17trampoline_kernelINS0_14default_configENS1_25partition_config_selectorILNS1_17partition_subalgoE3EiNS0_10empty_typeEbEEZZNS1_14partition_implILS5_3ELb0ES3_jN6thrust23THRUST_200600_302600_NS6detail15normal_iteratorINSA_7pointerIiNSA_11hip_rocprim3tagENSA_11use_defaultESG_EEEEPS6_SJ_NS0_5tupleIJPiSJ_EEENSK_IJSJ_SJ_EEES6_PlJ7is_evenIiEEEE10hipError_tPvRmT3_T4_T5_T6_T7_T9_mT8_P12ihipStream_tbDpT10_ENKUlT_T0_E_clISt17integral_constantIbLb1EES19_IbLb0EEEEDaS15_S16_EUlS15_E_NS1_11comp_targetILNS1_3genE3ELNS1_11target_archE908ELNS1_3gpuE7ELNS1_3repE0EEENS1_30default_config_static_selectorELNS0_4arch9wavefront6targetE1EEEvT1_
	.p2align	8
	.type	_ZN7rocprim17ROCPRIM_400000_NS6detail17trampoline_kernelINS0_14default_configENS1_25partition_config_selectorILNS1_17partition_subalgoE3EiNS0_10empty_typeEbEEZZNS1_14partition_implILS5_3ELb0ES3_jN6thrust23THRUST_200600_302600_NS6detail15normal_iteratorINSA_7pointerIiNSA_11hip_rocprim3tagENSA_11use_defaultESG_EEEEPS6_SJ_NS0_5tupleIJPiSJ_EEENSK_IJSJ_SJ_EEES6_PlJ7is_evenIiEEEE10hipError_tPvRmT3_T4_T5_T6_T7_T9_mT8_P12ihipStream_tbDpT10_ENKUlT_T0_E_clISt17integral_constantIbLb1EES19_IbLb0EEEEDaS15_S16_EUlS15_E_NS1_11comp_targetILNS1_3genE3ELNS1_11target_archE908ELNS1_3gpuE7ELNS1_3repE0EEENS1_30default_config_static_selectorELNS0_4arch9wavefront6targetE1EEEvT1_,@function
_ZN7rocprim17ROCPRIM_400000_NS6detail17trampoline_kernelINS0_14default_configENS1_25partition_config_selectorILNS1_17partition_subalgoE3EiNS0_10empty_typeEbEEZZNS1_14partition_implILS5_3ELb0ES3_jN6thrust23THRUST_200600_302600_NS6detail15normal_iteratorINSA_7pointerIiNSA_11hip_rocprim3tagENSA_11use_defaultESG_EEEEPS6_SJ_NS0_5tupleIJPiSJ_EEENSK_IJSJ_SJ_EEES6_PlJ7is_evenIiEEEE10hipError_tPvRmT3_T4_T5_T6_T7_T9_mT8_P12ihipStream_tbDpT10_ENKUlT_T0_E_clISt17integral_constantIbLb1EES19_IbLb0EEEEDaS15_S16_EUlS15_E_NS1_11comp_targetILNS1_3genE3ELNS1_11target_archE908ELNS1_3gpuE7ELNS1_3repE0EEENS1_30default_config_static_selectorELNS0_4arch9wavefront6targetE1EEEvT1_: ; @_ZN7rocprim17ROCPRIM_400000_NS6detail17trampoline_kernelINS0_14default_configENS1_25partition_config_selectorILNS1_17partition_subalgoE3EiNS0_10empty_typeEbEEZZNS1_14partition_implILS5_3ELb0ES3_jN6thrust23THRUST_200600_302600_NS6detail15normal_iteratorINSA_7pointerIiNSA_11hip_rocprim3tagENSA_11use_defaultESG_EEEEPS6_SJ_NS0_5tupleIJPiSJ_EEENSK_IJSJ_SJ_EEES6_PlJ7is_evenIiEEEE10hipError_tPvRmT3_T4_T5_T6_T7_T9_mT8_P12ihipStream_tbDpT10_ENKUlT_T0_E_clISt17integral_constantIbLb1EES19_IbLb0EEEEDaS15_S16_EUlS15_E_NS1_11comp_targetILNS1_3genE3ELNS1_11target_archE908ELNS1_3gpuE7ELNS1_3repE0EEENS1_30default_config_static_selectorELNS0_4arch9wavefront6targetE1EEEvT1_
; %bb.0:
	.section	.rodata,"a",@progbits
	.p2align	6, 0x0
	.amdhsa_kernel _ZN7rocprim17ROCPRIM_400000_NS6detail17trampoline_kernelINS0_14default_configENS1_25partition_config_selectorILNS1_17partition_subalgoE3EiNS0_10empty_typeEbEEZZNS1_14partition_implILS5_3ELb0ES3_jN6thrust23THRUST_200600_302600_NS6detail15normal_iteratorINSA_7pointerIiNSA_11hip_rocprim3tagENSA_11use_defaultESG_EEEEPS6_SJ_NS0_5tupleIJPiSJ_EEENSK_IJSJ_SJ_EEES6_PlJ7is_evenIiEEEE10hipError_tPvRmT3_T4_T5_T6_T7_T9_mT8_P12ihipStream_tbDpT10_ENKUlT_T0_E_clISt17integral_constantIbLb1EES19_IbLb0EEEEDaS15_S16_EUlS15_E_NS1_11comp_targetILNS1_3genE3ELNS1_11target_archE908ELNS1_3gpuE7ELNS1_3repE0EEENS1_30default_config_static_selectorELNS0_4arch9wavefront6targetE1EEEvT1_
		.amdhsa_group_segment_fixed_size 0
		.amdhsa_private_segment_fixed_size 0
		.amdhsa_kernarg_size 120
		.amdhsa_user_sgpr_count 2
		.amdhsa_user_sgpr_dispatch_ptr 0
		.amdhsa_user_sgpr_queue_ptr 0
		.amdhsa_user_sgpr_kernarg_segment_ptr 1
		.amdhsa_user_sgpr_dispatch_id 0
		.amdhsa_user_sgpr_kernarg_preload_length 0
		.amdhsa_user_sgpr_kernarg_preload_offset 0
		.amdhsa_user_sgpr_private_segment_size 0
		.amdhsa_uses_dynamic_stack 0
		.amdhsa_enable_private_segment 0
		.amdhsa_system_sgpr_workgroup_id_x 1
		.amdhsa_system_sgpr_workgroup_id_y 0
		.amdhsa_system_sgpr_workgroup_id_z 0
		.amdhsa_system_sgpr_workgroup_info 0
		.amdhsa_system_vgpr_workitem_id 0
		.amdhsa_next_free_vgpr 1
		.amdhsa_next_free_sgpr 0
		.amdhsa_accum_offset 4
		.amdhsa_reserve_vcc 0
		.amdhsa_float_round_mode_32 0
		.amdhsa_float_round_mode_16_64 0
		.amdhsa_float_denorm_mode_32 3
		.amdhsa_float_denorm_mode_16_64 3
		.amdhsa_dx10_clamp 1
		.amdhsa_ieee_mode 1
		.amdhsa_fp16_overflow 0
		.amdhsa_tg_split 0
		.amdhsa_exception_fp_ieee_invalid_op 0
		.amdhsa_exception_fp_denorm_src 0
		.amdhsa_exception_fp_ieee_div_zero 0
		.amdhsa_exception_fp_ieee_overflow 0
		.amdhsa_exception_fp_ieee_underflow 0
		.amdhsa_exception_fp_ieee_inexact 0
		.amdhsa_exception_int_div_zero 0
	.end_amdhsa_kernel
	.section	.text._ZN7rocprim17ROCPRIM_400000_NS6detail17trampoline_kernelINS0_14default_configENS1_25partition_config_selectorILNS1_17partition_subalgoE3EiNS0_10empty_typeEbEEZZNS1_14partition_implILS5_3ELb0ES3_jN6thrust23THRUST_200600_302600_NS6detail15normal_iteratorINSA_7pointerIiNSA_11hip_rocprim3tagENSA_11use_defaultESG_EEEEPS6_SJ_NS0_5tupleIJPiSJ_EEENSK_IJSJ_SJ_EEES6_PlJ7is_evenIiEEEE10hipError_tPvRmT3_T4_T5_T6_T7_T9_mT8_P12ihipStream_tbDpT10_ENKUlT_T0_E_clISt17integral_constantIbLb1EES19_IbLb0EEEEDaS15_S16_EUlS15_E_NS1_11comp_targetILNS1_3genE3ELNS1_11target_archE908ELNS1_3gpuE7ELNS1_3repE0EEENS1_30default_config_static_selectorELNS0_4arch9wavefront6targetE1EEEvT1_,"axG",@progbits,_ZN7rocprim17ROCPRIM_400000_NS6detail17trampoline_kernelINS0_14default_configENS1_25partition_config_selectorILNS1_17partition_subalgoE3EiNS0_10empty_typeEbEEZZNS1_14partition_implILS5_3ELb0ES3_jN6thrust23THRUST_200600_302600_NS6detail15normal_iteratorINSA_7pointerIiNSA_11hip_rocprim3tagENSA_11use_defaultESG_EEEEPS6_SJ_NS0_5tupleIJPiSJ_EEENSK_IJSJ_SJ_EEES6_PlJ7is_evenIiEEEE10hipError_tPvRmT3_T4_T5_T6_T7_T9_mT8_P12ihipStream_tbDpT10_ENKUlT_T0_E_clISt17integral_constantIbLb1EES19_IbLb0EEEEDaS15_S16_EUlS15_E_NS1_11comp_targetILNS1_3genE3ELNS1_11target_archE908ELNS1_3gpuE7ELNS1_3repE0EEENS1_30default_config_static_selectorELNS0_4arch9wavefront6targetE1EEEvT1_,comdat
.Lfunc_end107:
	.size	_ZN7rocprim17ROCPRIM_400000_NS6detail17trampoline_kernelINS0_14default_configENS1_25partition_config_selectorILNS1_17partition_subalgoE3EiNS0_10empty_typeEbEEZZNS1_14partition_implILS5_3ELb0ES3_jN6thrust23THRUST_200600_302600_NS6detail15normal_iteratorINSA_7pointerIiNSA_11hip_rocprim3tagENSA_11use_defaultESG_EEEEPS6_SJ_NS0_5tupleIJPiSJ_EEENSK_IJSJ_SJ_EEES6_PlJ7is_evenIiEEEE10hipError_tPvRmT3_T4_T5_T6_T7_T9_mT8_P12ihipStream_tbDpT10_ENKUlT_T0_E_clISt17integral_constantIbLb1EES19_IbLb0EEEEDaS15_S16_EUlS15_E_NS1_11comp_targetILNS1_3genE3ELNS1_11target_archE908ELNS1_3gpuE7ELNS1_3repE0EEENS1_30default_config_static_selectorELNS0_4arch9wavefront6targetE1EEEvT1_, .Lfunc_end107-_ZN7rocprim17ROCPRIM_400000_NS6detail17trampoline_kernelINS0_14default_configENS1_25partition_config_selectorILNS1_17partition_subalgoE3EiNS0_10empty_typeEbEEZZNS1_14partition_implILS5_3ELb0ES3_jN6thrust23THRUST_200600_302600_NS6detail15normal_iteratorINSA_7pointerIiNSA_11hip_rocprim3tagENSA_11use_defaultESG_EEEEPS6_SJ_NS0_5tupleIJPiSJ_EEENSK_IJSJ_SJ_EEES6_PlJ7is_evenIiEEEE10hipError_tPvRmT3_T4_T5_T6_T7_T9_mT8_P12ihipStream_tbDpT10_ENKUlT_T0_E_clISt17integral_constantIbLb1EES19_IbLb0EEEEDaS15_S16_EUlS15_E_NS1_11comp_targetILNS1_3genE3ELNS1_11target_archE908ELNS1_3gpuE7ELNS1_3repE0EEENS1_30default_config_static_selectorELNS0_4arch9wavefront6targetE1EEEvT1_
                                        ; -- End function
	.section	.AMDGPU.csdata,"",@progbits
; Kernel info:
; codeLenInByte = 0
; NumSgprs: 6
; NumVgprs: 0
; NumAgprs: 0
; TotalNumVgprs: 0
; ScratchSize: 0
; MemoryBound: 0
; FloatMode: 240
; IeeeMode: 1
; LDSByteSize: 0 bytes/workgroup (compile time only)
; SGPRBlocks: 0
; VGPRBlocks: 0
; NumSGPRsForWavesPerEU: 6
; NumVGPRsForWavesPerEU: 1
; AccumOffset: 4
; Occupancy: 8
; WaveLimiterHint : 0
; COMPUTE_PGM_RSRC2:SCRATCH_EN: 0
; COMPUTE_PGM_RSRC2:USER_SGPR: 2
; COMPUTE_PGM_RSRC2:TRAP_HANDLER: 0
; COMPUTE_PGM_RSRC2:TGID_X_EN: 1
; COMPUTE_PGM_RSRC2:TGID_Y_EN: 0
; COMPUTE_PGM_RSRC2:TGID_Z_EN: 0
; COMPUTE_PGM_RSRC2:TIDIG_COMP_CNT: 0
; COMPUTE_PGM_RSRC3_GFX90A:ACCUM_OFFSET: 0
; COMPUTE_PGM_RSRC3_GFX90A:TG_SPLIT: 0
	.section	.text._ZN7rocprim17ROCPRIM_400000_NS6detail17trampoline_kernelINS0_14default_configENS1_25partition_config_selectorILNS1_17partition_subalgoE3EiNS0_10empty_typeEbEEZZNS1_14partition_implILS5_3ELb0ES3_jN6thrust23THRUST_200600_302600_NS6detail15normal_iteratorINSA_7pointerIiNSA_11hip_rocprim3tagENSA_11use_defaultESG_EEEEPS6_SJ_NS0_5tupleIJPiSJ_EEENSK_IJSJ_SJ_EEES6_PlJ7is_evenIiEEEE10hipError_tPvRmT3_T4_T5_T6_T7_T9_mT8_P12ihipStream_tbDpT10_ENKUlT_T0_E_clISt17integral_constantIbLb1EES19_IbLb0EEEEDaS15_S16_EUlS15_E_NS1_11comp_targetILNS1_3genE2ELNS1_11target_archE906ELNS1_3gpuE6ELNS1_3repE0EEENS1_30default_config_static_selectorELNS0_4arch9wavefront6targetE1EEEvT1_,"axG",@progbits,_ZN7rocprim17ROCPRIM_400000_NS6detail17trampoline_kernelINS0_14default_configENS1_25partition_config_selectorILNS1_17partition_subalgoE3EiNS0_10empty_typeEbEEZZNS1_14partition_implILS5_3ELb0ES3_jN6thrust23THRUST_200600_302600_NS6detail15normal_iteratorINSA_7pointerIiNSA_11hip_rocprim3tagENSA_11use_defaultESG_EEEEPS6_SJ_NS0_5tupleIJPiSJ_EEENSK_IJSJ_SJ_EEES6_PlJ7is_evenIiEEEE10hipError_tPvRmT3_T4_T5_T6_T7_T9_mT8_P12ihipStream_tbDpT10_ENKUlT_T0_E_clISt17integral_constantIbLb1EES19_IbLb0EEEEDaS15_S16_EUlS15_E_NS1_11comp_targetILNS1_3genE2ELNS1_11target_archE906ELNS1_3gpuE6ELNS1_3repE0EEENS1_30default_config_static_selectorELNS0_4arch9wavefront6targetE1EEEvT1_,comdat
	.protected	_ZN7rocprim17ROCPRIM_400000_NS6detail17trampoline_kernelINS0_14default_configENS1_25partition_config_selectorILNS1_17partition_subalgoE3EiNS0_10empty_typeEbEEZZNS1_14partition_implILS5_3ELb0ES3_jN6thrust23THRUST_200600_302600_NS6detail15normal_iteratorINSA_7pointerIiNSA_11hip_rocprim3tagENSA_11use_defaultESG_EEEEPS6_SJ_NS0_5tupleIJPiSJ_EEENSK_IJSJ_SJ_EEES6_PlJ7is_evenIiEEEE10hipError_tPvRmT3_T4_T5_T6_T7_T9_mT8_P12ihipStream_tbDpT10_ENKUlT_T0_E_clISt17integral_constantIbLb1EES19_IbLb0EEEEDaS15_S16_EUlS15_E_NS1_11comp_targetILNS1_3genE2ELNS1_11target_archE906ELNS1_3gpuE6ELNS1_3repE0EEENS1_30default_config_static_selectorELNS0_4arch9wavefront6targetE1EEEvT1_ ; -- Begin function _ZN7rocprim17ROCPRIM_400000_NS6detail17trampoline_kernelINS0_14default_configENS1_25partition_config_selectorILNS1_17partition_subalgoE3EiNS0_10empty_typeEbEEZZNS1_14partition_implILS5_3ELb0ES3_jN6thrust23THRUST_200600_302600_NS6detail15normal_iteratorINSA_7pointerIiNSA_11hip_rocprim3tagENSA_11use_defaultESG_EEEEPS6_SJ_NS0_5tupleIJPiSJ_EEENSK_IJSJ_SJ_EEES6_PlJ7is_evenIiEEEE10hipError_tPvRmT3_T4_T5_T6_T7_T9_mT8_P12ihipStream_tbDpT10_ENKUlT_T0_E_clISt17integral_constantIbLb1EES19_IbLb0EEEEDaS15_S16_EUlS15_E_NS1_11comp_targetILNS1_3genE2ELNS1_11target_archE906ELNS1_3gpuE6ELNS1_3repE0EEENS1_30default_config_static_selectorELNS0_4arch9wavefront6targetE1EEEvT1_
	.globl	_ZN7rocprim17ROCPRIM_400000_NS6detail17trampoline_kernelINS0_14default_configENS1_25partition_config_selectorILNS1_17partition_subalgoE3EiNS0_10empty_typeEbEEZZNS1_14partition_implILS5_3ELb0ES3_jN6thrust23THRUST_200600_302600_NS6detail15normal_iteratorINSA_7pointerIiNSA_11hip_rocprim3tagENSA_11use_defaultESG_EEEEPS6_SJ_NS0_5tupleIJPiSJ_EEENSK_IJSJ_SJ_EEES6_PlJ7is_evenIiEEEE10hipError_tPvRmT3_T4_T5_T6_T7_T9_mT8_P12ihipStream_tbDpT10_ENKUlT_T0_E_clISt17integral_constantIbLb1EES19_IbLb0EEEEDaS15_S16_EUlS15_E_NS1_11comp_targetILNS1_3genE2ELNS1_11target_archE906ELNS1_3gpuE6ELNS1_3repE0EEENS1_30default_config_static_selectorELNS0_4arch9wavefront6targetE1EEEvT1_
	.p2align	8
	.type	_ZN7rocprim17ROCPRIM_400000_NS6detail17trampoline_kernelINS0_14default_configENS1_25partition_config_selectorILNS1_17partition_subalgoE3EiNS0_10empty_typeEbEEZZNS1_14partition_implILS5_3ELb0ES3_jN6thrust23THRUST_200600_302600_NS6detail15normal_iteratorINSA_7pointerIiNSA_11hip_rocprim3tagENSA_11use_defaultESG_EEEEPS6_SJ_NS0_5tupleIJPiSJ_EEENSK_IJSJ_SJ_EEES6_PlJ7is_evenIiEEEE10hipError_tPvRmT3_T4_T5_T6_T7_T9_mT8_P12ihipStream_tbDpT10_ENKUlT_T0_E_clISt17integral_constantIbLb1EES19_IbLb0EEEEDaS15_S16_EUlS15_E_NS1_11comp_targetILNS1_3genE2ELNS1_11target_archE906ELNS1_3gpuE6ELNS1_3repE0EEENS1_30default_config_static_selectorELNS0_4arch9wavefront6targetE1EEEvT1_,@function
_ZN7rocprim17ROCPRIM_400000_NS6detail17trampoline_kernelINS0_14default_configENS1_25partition_config_selectorILNS1_17partition_subalgoE3EiNS0_10empty_typeEbEEZZNS1_14partition_implILS5_3ELb0ES3_jN6thrust23THRUST_200600_302600_NS6detail15normal_iteratorINSA_7pointerIiNSA_11hip_rocprim3tagENSA_11use_defaultESG_EEEEPS6_SJ_NS0_5tupleIJPiSJ_EEENSK_IJSJ_SJ_EEES6_PlJ7is_evenIiEEEE10hipError_tPvRmT3_T4_T5_T6_T7_T9_mT8_P12ihipStream_tbDpT10_ENKUlT_T0_E_clISt17integral_constantIbLb1EES19_IbLb0EEEEDaS15_S16_EUlS15_E_NS1_11comp_targetILNS1_3genE2ELNS1_11target_archE906ELNS1_3gpuE6ELNS1_3repE0EEENS1_30default_config_static_selectorELNS0_4arch9wavefront6targetE1EEEvT1_: ; @_ZN7rocprim17ROCPRIM_400000_NS6detail17trampoline_kernelINS0_14default_configENS1_25partition_config_selectorILNS1_17partition_subalgoE3EiNS0_10empty_typeEbEEZZNS1_14partition_implILS5_3ELb0ES3_jN6thrust23THRUST_200600_302600_NS6detail15normal_iteratorINSA_7pointerIiNSA_11hip_rocprim3tagENSA_11use_defaultESG_EEEEPS6_SJ_NS0_5tupleIJPiSJ_EEENSK_IJSJ_SJ_EEES6_PlJ7is_evenIiEEEE10hipError_tPvRmT3_T4_T5_T6_T7_T9_mT8_P12ihipStream_tbDpT10_ENKUlT_T0_E_clISt17integral_constantIbLb1EES19_IbLb0EEEEDaS15_S16_EUlS15_E_NS1_11comp_targetILNS1_3genE2ELNS1_11target_archE906ELNS1_3gpuE6ELNS1_3repE0EEENS1_30default_config_static_selectorELNS0_4arch9wavefront6targetE1EEEvT1_
; %bb.0:
	.section	.rodata,"a",@progbits
	.p2align	6, 0x0
	.amdhsa_kernel _ZN7rocprim17ROCPRIM_400000_NS6detail17trampoline_kernelINS0_14default_configENS1_25partition_config_selectorILNS1_17partition_subalgoE3EiNS0_10empty_typeEbEEZZNS1_14partition_implILS5_3ELb0ES3_jN6thrust23THRUST_200600_302600_NS6detail15normal_iteratorINSA_7pointerIiNSA_11hip_rocprim3tagENSA_11use_defaultESG_EEEEPS6_SJ_NS0_5tupleIJPiSJ_EEENSK_IJSJ_SJ_EEES6_PlJ7is_evenIiEEEE10hipError_tPvRmT3_T4_T5_T6_T7_T9_mT8_P12ihipStream_tbDpT10_ENKUlT_T0_E_clISt17integral_constantIbLb1EES19_IbLb0EEEEDaS15_S16_EUlS15_E_NS1_11comp_targetILNS1_3genE2ELNS1_11target_archE906ELNS1_3gpuE6ELNS1_3repE0EEENS1_30default_config_static_selectorELNS0_4arch9wavefront6targetE1EEEvT1_
		.amdhsa_group_segment_fixed_size 0
		.amdhsa_private_segment_fixed_size 0
		.amdhsa_kernarg_size 120
		.amdhsa_user_sgpr_count 2
		.amdhsa_user_sgpr_dispatch_ptr 0
		.amdhsa_user_sgpr_queue_ptr 0
		.amdhsa_user_sgpr_kernarg_segment_ptr 1
		.amdhsa_user_sgpr_dispatch_id 0
		.amdhsa_user_sgpr_kernarg_preload_length 0
		.amdhsa_user_sgpr_kernarg_preload_offset 0
		.amdhsa_user_sgpr_private_segment_size 0
		.amdhsa_uses_dynamic_stack 0
		.amdhsa_enable_private_segment 0
		.amdhsa_system_sgpr_workgroup_id_x 1
		.amdhsa_system_sgpr_workgroup_id_y 0
		.amdhsa_system_sgpr_workgroup_id_z 0
		.amdhsa_system_sgpr_workgroup_info 0
		.amdhsa_system_vgpr_workitem_id 0
		.amdhsa_next_free_vgpr 1
		.amdhsa_next_free_sgpr 0
		.amdhsa_accum_offset 4
		.amdhsa_reserve_vcc 0
		.amdhsa_float_round_mode_32 0
		.amdhsa_float_round_mode_16_64 0
		.amdhsa_float_denorm_mode_32 3
		.amdhsa_float_denorm_mode_16_64 3
		.amdhsa_dx10_clamp 1
		.amdhsa_ieee_mode 1
		.amdhsa_fp16_overflow 0
		.amdhsa_tg_split 0
		.amdhsa_exception_fp_ieee_invalid_op 0
		.amdhsa_exception_fp_denorm_src 0
		.amdhsa_exception_fp_ieee_div_zero 0
		.amdhsa_exception_fp_ieee_overflow 0
		.amdhsa_exception_fp_ieee_underflow 0
		.amdhsa_exception_fp_ieee_inexact 0
		.amdhsa_exception_int_div_zero 0
	.end_amdhsa_kernel
	.section	.text._ZN7rocprim17ROCPRIM_400000_NS6detail17trampoline_kernelINS0_14default_configENS1_25partition_config_selectorILNS1_17partition_subalgoE3EiNS0_10empty_typeEbEEZZNS1_14partition_implILS5_3ELb0ES3_jN6thrust23THRUST_200600_302600_NS6detail15normal_iteratorINSA_7pointerIiNSA_11hip_rocprim3tagENSA_11use_defaultESG_EEEEPS6_SJ_NS0_5tupleIJPiSJ_EEENSK_IJSJ_SJ_EEES6_PlJ7is_evenIiEEEE10hipError_tPvRmT3_T4_T5_T6_T7_T9_mT8_P12ihipStream_tbDpT10_ENKUlT_T0_E_clISt17integral_constantIbLb1EES19_IbLb0EEEEDaS15_S16_EUlS15_E_NS1_11comp_targetILNS1_3genE2ELNS1_11target_archE906ELNS1_3gpuE6ELNS1_3repE0EEENS1_30default_config_static_selectorELNS0_4arch9wavefront6targetE1EEEvT1_,"axG",@progbits,_ZN7rocprim17ROCPRIM_400000_NS6detail17trampoline_kernelINS0_14default_configENS1_25partition_config_selectorILNS1_17partition_subalgoE3EiNS0_10empty_typeEbEEZZNS1_14partition_implILS5_3ELb0ES3_jN6thrust23THRUST_200600_302600_NS6detail15normal_iteratorINSA_7pointerIiNSA_11hip_rocprim3tagENSA_11use_defaultESG_EEEEPS6_SJ_NS0_5tupleIJPiSJ_EEENSK_IJSJ_SJ_EEES6_PlJ7is_evenIiEEEE10hipError_tPvRmT3_T4_T5_T6_T7_T9_mT8_P12ihipStream_tbDpT10_ENKUlT_T0_E_clISt17integral_constantIbLb1EES19_IbLb0EEEEDaS15_S16_EUlS15_E_NS1_11comp_targetILNS1_3genE2ELNS1_11target_archE906ELNS1_3gpuE6ELNS1_3repE0EEENS1_30default_config_static_selectorELNS0_4arch9wavefront6targetE1EEEvT1_,comdat
.Lfunc_end108:
	.size	_ZN7rocprim17ROCPRIM_400000_NS6detail17trampoline_kernelINS0_14default_configENS1_25partition_config_selectorILNS1_17partition_subalgoE3EiNS0_10empty_typeEbEEZZNS1_14partition_implILS5_3ELb0ES3_jN6thrust23THRUST_200600_302600_NS6detail15normal_iteratorINSA_7pointerIiNSA_11hip_rocprim3tagENSA_11use_defaultESG_EEEEPS6_SJ_NS0_5tupleIJPiSJ_EEENSK_IJSJ_SJ_EEES6_PlJ7is_evenIiEEEE10hipError_tPvRmT3_T4_T5_T6_T7_T9_mT8_P12ihipStream_tbDpT10_ENKUlT_T0_E_clISt17integral_constantIbLb1EES19_IbLb0EEEEDaS15_S16_EUlS15_E_NS1_11comp_targetILNS1_3genE2ELNS1_11target_archE906ELNS1_3gpuE6ELNS1_3repE0EEENS1_30default_config_static_selectorELNS0_4arch9wavefront6targetE1EEEvT1_, .Lfunc_end108-_ZN7rocprim17ROCPRIM_400000_NS6detail17trampoline_kernelINS0_14default_configENS1_25partition_config_selectorILNS1_17partition_subalgoE3EiNS0_10empty_typeEbEEZZNS1_14partition_implILS5_3ELb0ES3_jN6thrust23THRUST_200600_302600_NS6detail15normal_iteratorINSA_7pointerIiNSA_11hip_rocprim3tagENSA_11use_defaultESG_EEEEPS6_SJ_NS0_5tupleIJPiSJ_EEENSK_IJSJ_SJ_EEES6_PlJ7is_evenIiEEEE10hipError_tPvRmT3_T4_T5_T6_T7_T9_mT8_P12ihipStream_tbDpT10_ENKUlT_T0_E_clISt17integral_constantIbLb1EES19_IbLb0EEEEDaS15_S16_EUlS15_E_NS1_11comp_targetILNS1_3genE2ELNS1_11target_archE906ELNS1_3gpuE6ELNS1_3repE0EEENS1_30default_config_static_selectorELNS0_4arch9wavefront6targetE1EEEvT1_
                                        ; -- End function
	.section	.AMDGPU.csdata,"",@progbits
; Kernel info:
; codeLenInByte = 0
; NumSgprs: 6
; NumVgprs: 0
; NumAgprs: 0
; TotalNumVgprs: 0
; ScratchSize: 0
; MemoryBound: 0
; FloatMode: 240
; IeeeMode: 1
; LDSByteSize: 0 bytes/workgroup (compile time only)
; SGPRBlocks: 0
; VGPRBlocks: 0
; NumSGPRsForWavesPerEU: 6
; NumVGPRsForWavesPerEU: 1
; AccumOffset: 4
; Occupancy: 8
; WaveLimiterHint : 0
; COMPUTE_PGM_RSRC2:SCRATCH_EN: 0
; COMPUTE_PGM_RSRC2:USER_SGPR: 2
; COMPUTE_PGM_RSRC2:TRAP_HANDLER: 0
; COMPUTE_PGM_RSRC2:TGID_X_EN: 1
; COMPUTE_PGM_RSRC2:TGID_Y_EN: 0
; COMPUTE_PGM_RSRC2:TGID_Z_EN: 0
; COMPUTE_PGM_RSRC2:TIDIG_COMP_CNT: 0
; COMPUTE_PGM_RSRC3_GFX90A:ACCUM_OFFSET: 0
; COMPUTE_PGM_RSRC3_GFX90A:TG_SPLIT: 0
	.section	.text._ZN7rocprim17ROCPRIM_400000_NS6detail17trampoline_kernelINS0_14default_configENS1_25partition_config_selectorILNS1_17partition_subalgoE3EiNS0_10empty_typeEbEEZZNS1_14partition_implILS5_3ELb0ES3_jN6thrust23THRUST_200600_302600_NS6detail15normal_iteratorINSA_7pointerIiNSA_11hip_rocprim3tagENSA_11use_defaultESG_EEEEPS6_SJ_NS0_5tupleIJPiSJ_EEENSK_IJSJ_SJ_EEES6_PlJ7is_evenIiEEEE10hipError_tPvRmT3_T4_T5_T6_T7_T9_mT8_P12ihipStream_tbDpT10_ENKUlT_T0_E_clISt17integral_constantIbLb1EES19_IbLb0EEEEDaS15_S16_EUlS15_E_NS1_11comp_targetILNS1_3genE10ELNS1_11target_archE1200ELNS1_3gpuE4ELNS1_3repE0EEENS1_30default_config_static_selectorELNS0_4arch9wavefront6targetE1EEEvT1_,"axG",@progbits,_ZN7rocprim17ROCPRIM_400000_NS6detail17trampoline_kernelINS0_14default_configENS1_25partition_config_selectorILNS1_17partition_subalgoE3EiNS0_10empty_typeEbEEZZNS1_14partition_implILS5_3ELb0ES3_jN6thrust23THRUST_200600_302600_NS6detail15normal_iteratorINSA_7pointerIiNSA_11hip_rocprim3tagENSA_11use_defaultESG_EEEEPS6_SJ_NS0_5tupleIJPiSJ_EEENSK_IJSJ_SJ_EEES6_PlJ7is_evenIiEEEE10hipError_tPvRmT3_T4_T5_T6_T7_T9_mT8_P12ihipStream_tbDpT10_ENKUlT_T0_E_clISt17integral_constantIbLb1EES19_IbLb0EEEEDaS15_S16_EUlS15_E_NS1_11comp_targetILNS1_3genE10ELNS1_11target_archE1200ELNS1_3gpuE4ELNS1_3repE0EEENS1_30default_config_static_selectorELNS0_4arch9wavefront6targetE1EEEvT1_,comdat
	.protected	_ZN7rocprim17ROCPRIM_400000_NS6detail17trampoline_kernelINS0_14default_configENS1_25partition_config_selectorILNS1_17partition_subalgoE3EiNS0_10empty_typeEbEEZZNS1_14partition_implILS5_3ELb0ES3_jN6thrust23THRUST_200600_302600_NS6detail15normal_iteratorINSA_7pointerIiNSA_11hip_rocprim3tagENSA_11use_defaultESG_EEEEPS6_SJ_NS0_5tupleIJPiSJ_EEENSK_IJSJ_SJ_EEES6_PlJ7is_evenIiEEEE10hipError_tPvRmT3_T4_T5_T6_T7_T9_mT8_P12ihipStream_tbDpT10_ENKUlT_T0_E_clISt17integral_constantIbLb1EES19_IbLb0EEEEDaS15_S16_EUlS15_E_NS1_11comp_targetILNS1_3genE10ELNS1_11target_archE1200ELNS1_3gpuE4ELNS1_3repE0EEENS1_30default_config_static_selectorELNS0_4arch9wavefront6targetE1EEEvT1_ ; -- Begin function _ZN7rocprim17ROCPRIM_400000_NS6detail17trampoline_kernelINS0_14default_configENS1_25partition_config_selectorILNS1_17partition_subalgoE3EiNS0_10empty_typeEbEEZZNS1_14partition_implILS5_3ELb0ES3_jN6thrust23THRUST_200600_302600_NS6detail15normal_iteratorINSA_7pointerIiNSA_11hip_rocprim3tagENSA_11use_defaultESG_EEEEPS6_SJ_NS0_5tupleIJPiSJ_EEENSK_IJSJ_SJ_EEES6_PlJ7is_evenIiEEEE10hipError_tPvRmT3_T4_T5_T6_T7_T9_mT8_P12ihipStream_tbDpT10_ENKUlT_T0_E_clISt17integral_constantIbLb1EES19_IbLb0EEEEDaS15_S16_EUlS15_E_NS1_11comp_targetILNS1_3genE10ELNS1_11target_archE1200ELNS1_3gpuE4ELNS1_3repE0EEENS1_30default_config_static_selectorELNS0_4arch9wavefront6targetE1EEEvT1_
	.globl	_ZN7rocprim17ROCPRIM_400000_NS6detail17trampoline_kernelINS0_14default_configENS1_25partition_config_selectorILNS1_17partition_subalgoE3EiNS0_10empty_typeEbEEZZNS1_14partition_implILS5_3ELb0ES3_jN6thrust23THRUST_200600_302600_NS6detail15normal_iteratorINSA_7pointerIiNSA_11hip_rocprim3tagENSA_11use_defaultESG_EEEEPS6_SJ_NS0_5tupleIJPiSJ_EEENSK_IJSJ_SJ_EEES6_PlJ7is_evenIiEEEE10hipError_tPvRmT3_T4_T5_T6_T7_T9_mT8_P12ihipStream_tbDpT10_ENKUlT_T0_E_clISt17integral_constantIbLb1EES19_IbLb0EEEEDaS15_S16_EUlS15_E_NS1_11comp_targetILNS1_3genE10ELNS1_11target_archE1200ELNS1_3gpuE4ELNS1_3repE0EEENS1_30default_config_static_selectorELNS0_4arch9wavefront6targetE1EEEvT1_
	.p2align	8
	.type	_ZN7rocprim17ROCPRIM_400000_NS6detail17trampoline_kernelINS0_14default_configENS1_25partition_config_selectorILNS1_17partition_subalgoE3EiNS0_10empty_typeEbEEZZNS1_14partition_implILS5_3ELb0ES3_jN6thrust23THRUST_200600_302600_NS6detail15normal_iteratorINSA_7pointerIiNSA_11hip_rocprim3tagENSA_11use_defaultESG_EEEEPS6_SJ_NS0_5tupleIJPiSJ_EEENSK_IJSJ_SJ_EEES6_PlJ7is_evenIiEEEE10hipError_tPvRmT3_T4_T5_T6_T7_T9_mT8_P12ihipStream_tbDpT10_ENKUlT_T0_E_clISt17integral_constantIbLb1EES19_IbLb0EEEEDaS15_S16_EUlS15_E_NS1_11comp_targetILNS1_3genE10ELNS1_11target_archE1200ELNS1_3gpuE4ELNS1_3repE0EEENS1_30default_config_static_selectorELNS0_4arch9wavefront6targetE1EEEvT1_,@function
_ZN7rocprim17ROCPRIM_400000_NS6detail17trampoline_kernelINS0_14default_configENS1_25partition_config_selectorILNS1_17partition_subalgoE3EiNS0_10empty_typeEbEEZZNS1_14partition_implILS5_3ELb0ES3_jN6thrust23THRUST_200600_302600_NS6detail15normal_iteratorINSA_7pointerIiNSA_11hip_rocprim3tagENSA_11use_defaultESG_EEEEPS6_SJ_NS0_5tupleIJPiSJ_EEENSK_IJSJ_SJ_EEES6_PlJ7is_evenIiEEEE10hipError_tPvRmT3_T4_T5_T6_T7_T9_mT8_P12ihipStream_tbDpT10_ENKUlT_T0_E_clISt17integral_constantIbLb1EES19_IbLb0EEEEDaS15_S16_EUlS15_E_NS1_11comp_targetILNS1_3genE10ELNS1_11target_archE1200ELNS1_3gpuE4ELNS1_3repE0EEENS1_30default_config_static_selectorELNS0_4arch9wavefront6targetE1EEEvT1_: ; @_ZN7rocprim17ROCPRIM_400000_NS6detail17trampoline_kernelINS0_14default_configENS1_25partition_config_selectorILNS1_17partition_subalgoE3EiNS0_10empty_typeEbEEZZNS1_14partition_implILS5_3ELb0ES3_jN6thrust23THRUST_200600_302600_NS6detail15normal_iteratorINSA_7pointerIiNSA_11hip_rocprim3tagENSA_11use_defaultESG_EEEEPS6_SJ_NS0_5tupleIJPiSJ_EEENSK_IJSJ_SJ_EEES6_PlJ7is_evenIiEEEE10hipError_tPvRmT3_T4_T5_T6_T7_T9_mT8_P12ihipStream_tbDpT10_ENKUlT_T0_E_clISt17integral_constantIbLb1EES19_IbLb0EEEEDaS15_S16_EUlS15_E_NS1_11comp_targetILNS1_3genE10ELNS1_11target_archE1200ELNS1_3gpuE4ELNS1_3repE0EEENS1_30default_config_static_selectorELNS0_4arch9wavefront6targetE1EEEvT1_
; %bb.0:
	.section	.rodata,"a",@progbits
	.p2align	6, 0x0
	.amdhsa_kernel _ZN7rocprim17ROCPRIM_400000_NS6detail17trampoline_kernelINS0_14default_configENS1_25partition_config_selectorILNS1_17partition_subalgoE3EiNS0_10empty_typeEbEEZZNS1_14partition_implILS5_3ELb0ES3_jN6thrust23THRUST_200600_302600_NS6detail15normal_iteratorINSA_7pointerIiNSA_11hip_rocprim3tagENSA_11use_defaultESG_EEEEPS6_SJ_NS0_5tupleIJPiSJ_EEENSK_IJSJ_SJ_EEES6_PlJ7is_evenIiEEEE10hipError_tPvRmT3_T4_T5_T6_T7_T9_mT8_P12ihipStream_tbDpT10_ENKUlT_T0_E_clISt17integral_constantIbLb1EES19_IbLb0EEEEDaS15_S16_EUlS15_E_NS1_11comp_targetILNS1_3genE10ELNS1_11target_archE1200ELNS1_3gpuE4ELNS1_3repE0EEENS1_30default_config_static_selectorELNS0_4arch9wavefront6targetE1EEEvT1_
		.amdhsa_group_segment_fixed_size 0
		.amdhsa_private_segment_fixed_size 0
		.amdhsa_kernarg_size 120
		.amdhsa_user_sgpr_count 2
		.amdhsa_user_sgpr_dispatch_ptr 0
		.amdhsa_user_sgpr_queue_ptr 0
		.amdhsa_user_sgpr_kernarg_segment_ptr 1
		.amdhsa_user_sgpr_dispatch_id 0
		.amdhsa_user_sgpr_kernarg_preload_length 0
		.amdhsa_user_sgpr_kernarg_preload_offset 0
		.amdhsa_user_sgpr_private_segment_size 0
		.amdhsa_uses_dynamic_stack 0
		.amdhsa_enable_private_segment 0
		.amdhsa_system_sgpr_workgroup_id_x 1
		.amdhsa_system_sgpr_workgroup_id_y 0
		.amdhsa_system_sgpr_workgroup_id_z 0
		.amdhsa_system_sgpr_workgroup_info 0
		.amdhsa_system_vgpr_workitem_id 0
		.amdhsa_next_free_vgpr 1
		.amdhsa_next_free_sgpr 0
		.amdhsa_accum_offset 4
		.amdhsa_reserve_vcc 0
		.amdhsa_float_round_mode_32 0
		.amdhsa_float_round_mode_16_64 0
		.amdhsa_float_denorm_mode_32 3
		.amdhsa_float_denorm_mode_16_64 3
		.amdhsa_dx10_clamp 1
		.amdhsa_ieee_mode 1
		.amdhsa_fp16_overflow 0
		.amdhsa_tg_split 0
		.amdhsa_exception_fp_ieee_invalid_op 0
		.amdhsa_exception_fp_denorm_src 0
		.amdhsa_exception_fp_ieee_div_zero 0
		.amdhsa_exception_fp_ieee_overflow 0
		.amdhsa_exception_fp_ieee_underflow 0
		.amdhsa_exception_fp_ieee_inexact 0
		.amdhsa_exception_int_div_zero 0
	.end_amdhsa_kernel
	.section	.text._ZN7rocprim17ROCPRIM_400000_NS6detail17trampoline_kernelINS0_14default_configENS1_25partition_config_selectorILNS1_17partition_subalgoE3EiNS0_10empty_typeEbEEZZNS1_14partition_implILS5_3ELb0ES3_jN6thrust23THRUST_200600_302600_NS6detail15normal_iteratorINSA_7pointerIiNSA_11hip_rocprim3tagENSA_11use_defaultESG_EEEEPS6_SJ_NS0_5tupleIJPiSJ_EEENSK_IJSJ_SJ_EEES6_PlJ7is_evenIiEEEE10hipError_tPvRmT3_T4_T5_T6_T7_T9_mT8_P12ihipStream_tbDpT10_ENKUlT_T0_E_clISt17integral_constantIbLb1EES19_IbLb0EEEEDaS15_S16_EUlS15_E_NS1_11comp_targetILNS1_3genE10ELNS1_11target_archE1200ELNS1_3gpuE4ELNS1_3repE0EEENS1_30default_config_static_selectorELNS0_4arch9wavefront6targetE1EEEvT1_,"axG",@progbits,_ZN7rocprim17ROCPRIM_400000_NS6detail17trampoline_kernelINS0_14default_configENS1_25partition_config_selectorILNS1_17partition_subalgoE3EiNS0_10empty_typeEbEEZZNS1_14partition_implILS5_3ELb0ES3_jN6thrust23THRUST_200600_302600_NS6detail15normal_iteratorINSA_7pointerIiNSA_11hip_rocprim3tagENSA_11use_defaultESG_EEEEPS6_SJ_NS0_5tupleIJPiSJ_EEENSK_IJSJ_SJ_EEES6_PlJ7is_evenIiEEEE10hipError_tPvRmT3_T4_T5_T6_T7_T9_mT8_P12ihipStream_tbDpT10_ENKUlT_T0_E_clISt17integral_constantIbLb1EES19_IbLb0EEEEDaS15_S16_EUlS15_E_NS1_11comp_targetILNS1_3genE10ELNS1_11target_archE1200ELNS1_3gpuE4ELNS1_3repE0EEENS1_30default_config_static_selectorELNS0_4arch9wavefront6targetE1EEEvT1_,comdat
.Lfunc_end109:
	.size	_ZN7rocprim17ROCPRIM_400000_NS6detail17trampoline_kernelINS0_14default_configENS1_25partition_config_selectorILNS1_17partition_subalgoE3EiNS0_10empty_typeEbEEZZNS1_14partition_implILS5_3ELb0ES3_jN6thrust23THRUST_200600_302600_NS6detail15normal_iteratorINSA_7pointerIiNSA_11hip_rocprim3tagENSA_11use_defaultESG_EEEEPS6_SJ_NS0_5tupleIJPiSJ_EEENSK_IJSJ_SJ_EEES6_PlJ7is_evenIiEEEE10hipError_tPvRmT3_T4_T5_T6_T7_T9_mT8_P12ihipStream_tbDpT10_ENKUlT_T0_E_clISt17integral_constantIbLb1EES19_IbLb0EEEEDaS15_S16_EUlS15_E_NS1_11comp_targetILNS1_3genE10ELNS1_11target_archE1200ELNS1_3gpuE4ELNS1_3repE0EEENS1_30default_config_static_selectorELNS0_4arch9wavefront6targetE1EEEvT1_, .Lfunc_end109-_ZN7rocprim17ROCPRIM_400000_NS6detail17trampoline_kernelINS0_14default_configENS1_25partition_config_selectorILNS1_17partition_subalgoE3EiNS0_10empty_typeEbEEZZNS1_14partition_implILS5_3ELb0ES3_jN6thrust23THRUST_200600_302600_NS6detail15normal_iteratorINSA_7pointerIiNSA_11hip_rocprim3tagENSA_11use_defaultESG_EEEEPS6_SJ_NS0_5tupleIJPiSJ_EEENSK_IJSJ_SJ_EEES6_PlJ7is_evenIiEEEE10hipError_tPvRmT3_T4_T5_T6_T7_T9_mT8_P12ihipStream_tbDpT10_ENKUlT_T0_E_clISt17integral_constantIbLb1EES19_IbLb0EEEEDaS15_S16_EUlS15_E_NS1_11comp_targetILNS1_3genE10ELNS1_11target_archE1200ELNS1_3gpuE4ELNS1_3repE0EEENS1_30default_config_static_selectorELNS0_4arch9wavefront6targetE1EEEvT1_
                                        ; -- End function
	.section	.AMDGPU.csdata,"",@progbits
; Kernel info:
; codeLenInByte = 0
; NumSgprs: 6
; NumVgprs: 0
; NumAgprs: 0
; TotalNumVgprs: 0
; ScratchSize: 0
; MemoryBound: 0
; FloatMode: 240
; IeeeMode: 1
; LDSByteSize: 0 bytes/workgroup (compile time only)
; SGPRBlocks: 0
; VGPRBlocks: 0
; NumSGPRsForWavesPerEU: 6
; NumVGPRsForWavesPerEU: 1
; AccumOffset: 4
; Occupancy: 8
; WaveLimiterHint : 0
; COMPUTE_PGM_RSRC2:SCRATCH_EN: 0
; COMPUTE_PGM_RSRC2:USER_SGPR: 2
; COMPUTE_PGM_RSRC2:TRAP_HANDLER: 0
; COMPUTE_PGM_RSRC2:TGID_X_EN: 1
; COMPUTE_PGM_RSRC2:TGID_Y_EN: 0
; COMPUTE_PGM_RSRC2:TGID_Z_EN: 0
; COMPUTE_PGM_RSRC2:TIDIG_COMP_CNT: 0
; COMPUTE_PGM_RSRC3_GFX90A:ACCUM_OFFSET: 0
; COMPUTE_PGM_RSRC3_GFX90A:TG_SPLIT: 0
	.section	.text._ZN7rocprim17ROCPRIM_400000_NS6detail17trampoline_kernelINS0_14default_configENS1_25partition_config_selectorILNS1_17partition_subalgoE3EiNS0_10empty_typeEbEEZZNS1_14partition_implILS5_3ELb0ES3_jN6thrust23THRUST_200600_302600_NS6detail15normal_iteratorINSA_7pointerIiNSA_11hip_rocprim3tagENSA_11use_defaultESG_EEEEPS6_SJ_NS0_5tupleIJPiSJ_EEENSK_IJSJ_SJ_EEES6_PlJ7is_evenIiEEEE10hipError_tPvRmT3_T4_T5_T6_T7_T9_mT8_P12ihipStream_tbDpT10_ENKUlT_T0_E_clISt17integral_constantIbLb1EES19_IbLb0EEEEDaS15_S16_EUlS15_E_NS1_11comp_targetILNS1_3genE9ELNS1_11target_archE1100ELNS1_3gpuE3ELNS1_3repE0EEENS1_30default_config_static_selectorELNS0_4arch9wavefront6targetE1EEEvT1_,"axG",@progbits,_ZN7rocprim17ROCPRIM_400000_NS6detail17trampoline_kernelINS0_14default_configENS1_25partition_config_selectorILNS1_17partition_subalgoE3EiNS0_10empty_typeEbEEZZNS1_14partition_implILS5_3ELb0ES3_jN6thrust23THRUST_200600_302600_NS6detail15normal_iteratorINSA_7pointerIiNSA_11hip_rocprim3tagENSA_11use_defaultESG_EEEEPS6_SJ_NS0_5tupleIJPiSJ_EEENSK_IJSJ_SJ_EEES6_PlJ7is_evenIiEEEE10hipError_tPvRmT3_T4_T5_T6_T7_T9_mT8_P12ihipStream_tbDpT10_ENKUlT_T0_E_clISt17integral_constantIbLb1EES19_IbLb0EEEEDaS15_S16_EUlS15_E_NS1_11comp_targetILNS1_3genE9ELNS1_11target_archE1100ELNS1_3gpuE3ELNS1_3repE0EEENS1_30default_config_static_selectorELNS0_4arch9wavefront6targetE1EEEvT1_,comdat
	.protected	_ZN7rocprim17ROCPRIM_400000_NS6detail17trampoline_kernelINS0_14default_configENS1_25partition_config_selectorILNS1_17partition_subalgoE3EiNS0_10empty_typeEbEEZZNS1_14partition_implILS5_3ELb0ES3_jN6thrust23THRUST_200600_302600_NS6detail15normal_iteratorINSA_7pointerIiNSA_11hip_rocprim3tagENSA_11use_defaultESG_EEEEPS6_SJ_NS0_5tupleIJPiSJ_EEENSK_IJSJ_SJ_EEES6_PlJ7is_evenIiEEEE10hipError_tPvRmT3_T4_T5_T6_T7_T9_mT8_P12ihipStream_tbDpT10_ENKUlT_T0_E_clISt17integral_constantIbLb1EES19_IbLb0EEEEDaS15_S16_EUlS15_E_NS1_11comp_targetILNS1_3genE9ELNS1_11target_archE1100ELNS1_3gpuE3ELNS1_3repE0EEENS1_30default_config_static_selectorELNS0_4arch9wavefront6targetE1EEEvT1_ ; -- Begin function _ZN7rocprim17ROCPRIM_400000_NS6detail17trampoline_kernelINS0_14default_configENS1_25partition_config_selectorILNS1_17partition_subalgoE3EiNS0_10empty_typeEbEEZZNS1_14partition_implILS5_3ELb0ES3_jN6thrust23THRUST_200600_302600_NS6detail15normal_iteratorINSA_7pointerIiNSA_11hip_rocprim3tagENSA_11use_defaultESG_EEEEPS6_SJ_NS0_5tupleIJPiSJ_EEENSK_IJSJ_SJ_EEES6_PlJ7is_evenIiEEEE10hipError_tPvRmT3_T4_T5_T6_T7_T9_mT8_P12ihipStream_tbDpT10_ENKUlT_T0_E_clISt17integral_constantIbLb1EES19_IbLb0EEEEDaS15_S16_EUlS15_E_NS1_11comp_targetILNS1_3genE9ELNS1_11target_archE1100ELNS1_3gpuE3ELNS1_3repE0EEENS1_30default_config_static_selectorELNS0_4arch9wavefront6targetE1EEEvT1_
	.globl	_ZN7rocprim17ROCPRIM_400000_NS6detail17trampoline_kernelINS0_14default_configENS1_25partition_config_selectorILNS1_17partition_subalgoE3EiNS0_10empty_typeEbEEZZNS1_14partition_implILS5_3ELb0ES3_jN6thrust23THRUST_200600_302600_NS6detail15normal_iteratorINSA_7pointerIiNSA_11hip_rocprim3tagENSA_11use_defaultESG_EEEEPS6_SJ_NS0_5tupleIJPiSJ_EEENSK_IJSJ_SJ_EEES6_PlJ7is_evenIiEEEE10hipError_tPvRmT3_T4_T5_T6_T7_T9_mT8_P12ihipStream_tbDpT10_ENKUlT_T0_E_clISt17integral_constantIbLb1EES19_IbLb0EEEEDaS15_S16_EUlS15_E_NS1_11comp_targetILNS1_3genE9ELNS1_11target_archE1100ELNS1_3gpuE3ELNS1_3repE0EEENS1_30default_config_static_selectorELNS0_4arch9wavefront6targetE1EEEvT1_
	.p2align	8
	.type	_ZN7rocprim17ROCPRIM_400000_NS6detail17trampoline_kernelINS0_14default_configENS1_25partition_config_selectorILNS1_17partition_subalgoE3EiNS0_10empty_typeEbEEZZNS1_14partition_implILS5_3ELb0ES3_jN6thrust23THRUST_200600_302600_NS6detail15normal_iteratorINSA_7pointerIiNSA_11hip_rocprim3tagENSA_11use_defaultESG_EEEEPS6_SJ_NS0_5tupleIJPiSJ_EEENSK_IJSJ_SJ_EEES6_PlJ7is_evenIiEEEE10hipError_tPvRmT3_T4_T5_T6_T7_T9_mT8_P12ihipStream_tbDpT10_ENKUlT_T0_E_clISt17integral_constantIbLb1EES19_IbLb0EEEEDaS15_S16_EUlS15_E_NS1_11comp_targetILNS1_3genE9ELNS1_11target_archE1100ELNS1_3gpuE3ELNS1_3repE0EEENS1_30default_config_static_selectorELNS0_4arch9wavefront6targetE1EEEvT1_,@function
_ZN7rocprim17ROCPRIM_400000_NS6detail17trampoline_kernelINS0_14default_configENS1_25partition_config_selectorILNS1_17partition_subalgoE3EiNS0_10empty_typeEbEEZZNS1_14partition_implILS5_3ELb0ES3_jN6thrust23THRUST_200600_302600_NS6detail15normal_iteratorINSA_7pointerIiNSA_11hip_rocprim3tagENSA_11use_defaultESG_EEEEPS6_SJ_NS0_5tupleIJPiSJ_EEENSK_IJSJ_SJ_EEES6_PlJ7is_evenIiEEEE10hipError_tPvRmT3_T4_T5_T6_T7_T9_mT8_P12ihipStream_tbDpT10_ENKUlT_T0_E_clISt17integral_constantIbLb1EES19_IbLb0EEEEDaS15_S16_EUlS15_E_NS1_11comp_targetILNS1_3genE9ELNS1_11target_archE1100ELNS1_3gpuE3ELNS1_3repE0EEENS1_30default_config_static_selectorELNS0_4arch9wavefront6targetE1EEEvT1_: ; @_ZN7rocprim17ROCPRIM_400000_NS6detail17trampoline_kernelINS0_14default_configENS1_25partition_config_selectorILNS1_17partition_subalgoE3EiNS0_10empty_typeEbEEZZNS1_14partition_implILS5_3ELb0ES3_jN6thrust23THRUST_200600_302600_NS6detail15normal_iteratorINSA_7pointerIiNSA_11hip_rocprim3tagENSA_11use_defaultESG_EEEEPS6_SJ_NS0_5tupleIJPiSJ_EEENSK_IJSJ_SJ_EEES6_PlJ7is_evenIiEEEE10hipError_tPvRmT3_T4_T5_T6_T7_T9_mT8_P12ihipStream_tbDpT10_ENKUlT_T0_E_clISt17integral_constantIbLb1EES19_IbLb0EEEEDaS15_S16_EUlS15_E_NS1_11comp_targetILNS1_3genE9ELNS1_11target_archE1100ELNS1_3gpuE3ELNS1_3repE0EEENS1_30default_config_static_selectorELNS0_4arch9wavefront6targetE1EEEvT1_
; %bb.0:
	.section	.rodata,"a",@progbits
	.p2align	6, 0x0
	.amdhsa_kernel _ZN7rocprim17ROCPRIM_400000_NS6detail17trampoline_kernelINS0_14default_configENS1_25partition_config_selectorILNS1_17partition_subalgoE3EiNS0_10empty_typeEbEEZZNS1_14partition_implILS5_3ELb0ES3_jN6thrust23THRUST_200600_302600_NS6detail15normal_iteratorINSA_7pointerIiNSA_11hip_rocprim3tagENSA_11use_defaultESG_EEEEPS6_SJ_NS0_5tupleIJPiSJ_EEENSK_IJSJ_SJ_EEES6_PlJ7is_evenIiEEEE10hipError_tPvRmT3_T4_T5_T6_T7_T9_mT8_P12ihipStream_tbDpT10_ENKUlT_T0_E_clISt17integral_constantIbLb1EES19_IbLb0EEEEDaS15_S16_EUlS15_E_NS1_11comp_targetILNS1_3genE9ELNS1_11target_archE1100ELNS1_3gpuE3ELNS1_3repE0EEENS1_30default_config_static_selectorELNS0_4arch9wavefront6targetE1EEEvT1_
		.amdhsa_group_segment_fixed_size 0
		.amdhsa_private_segment_fixed_size 0
		.amdhsa_kernarg_size 120
		.amdhsa_user_sgpr_count 2
		.amdhsa_user_sgpr_dispatch_ptr 0
		.amdhsa_user_sgpr_queue_ptr 0
		.amdhsa_user_sgpr_kernarg_segment_ptr 1
		.amdhsa_user_sgpr_dispatch_id 0
		.amdhsa_user_sgpr_kernarg_preload_length 0
		.amdhsa_user_sgpr_kernarg_preload_offset 0
		.amdhsa_user_sgpr_private_segment_size 0
		.amdhsa_uses_dynamic_stack 0
		.amdhsa_enable_private_segment 0
		.amdhsa_system_sgpr_workgroup_id_x 1
		.amdhsa_system_sgpr_workgroup_id_y 0
		.amdhsa_system_sgpr_workgroup_id_z 0
		.amdhsa_system_sgpr_workgroup_info 0
		.amdhsa_system_vgpr_workitem_id 0
		.amdhsa_next_free_vgpr 1
		.amdhsa_next_free_sgpr 0
		.amdhsa_accum_offset 4
		.amdhsa_reserve_vcc 0
		.amdhsa_float_round_mode_32 0
		.amdhsa_float_round_mode_16_64 0
		.amdhsa_float_denorm_mode_32 3
		.amdhsa_float_denorm_mode_16_64 3
		.amdhsa_dx10_clamp 1
		.amdhsa_ieee_mode 1
		.amdhsa_fp16_overflow 0
		.amdhsa_tg_split 0
		.amdhsa_exception_fp_ieee_invalid_op 0
		.amdhsa_exception_fp_denorm_src 0
		.amdhsa_exception_fp_ieee_div_zero 0
		.amdhsa_exception_fp_ieee_overflow 0
		.amdhsa_exception_fp_ieee_underflow 0
		.amdhsa_exception_fp_ieee_inexact 0
		.amdhsa_exception_int_div_zero 0
	.end_amdhsa_kernel
	.section	.text._ZN7rocprim17ROCPRIM_400000_NS6detail17trampoline_kernelINS0_14default_configENS1_25partition_config_selectorILNS1_17partition_subalgoE3EiNS0_10empty_typeEbEEZZNS1_14partition_implILS5_3ELb0ES3_jN6thrust23THRUST_200600_302600_NS6detail15normal_iteratorINSA_7pointerIiNSA_11hip_rocprim3tagENSA_11use_defaultESG_EEEEPS6_SJ_NS0_5tupleIJPiSJ_EEENSK_IJSJ_SJ_EEES6_PlJ7is_evenIiEEEE10hipError_tPvRmT3_T4_T5_T6_T7_T9_mT8_P12ihipStream_tbDpT10_ENKUlT_T0_E_clISt17integral_constantIbLb1EES19_IbLb0EEEEDaS15_S16_EUlS15_E_NS1_11comp_targetILNS1_3genE9ELNS1_11target_archE1100ELNS1_3gpuE3ELNS1_3repE0EEENS1_30default_config_static_selectorELNS0_4arch9wavefront6targetE1EEEvT1_,"axG",@progbits,_ZN7rocprim17ROCPRIM_400000_NS6detail17trampoline_kernelINS0_14default_configENS1_25partition_config_selectorILNS1_17partition_subalgoE3EiNS0_10empty_typeEbEEZZNS1_14partition_implILS5_3ELb0ES3_jN6thrust23THRUST_200600_302600_NS6detail15normal_iteratorINSA_7pointerIiNSA_11hip_rocprim3tagENSA_11use_defaultESG_EEEEPS6_SJ_NS0_5tupleIJPiSJ_EEENSK_IJSJ_SJ_EEES6_PlJ7is_evenIiEEEE10hipError_tPvRmT3_T4_T5_T6_T7_T9_mT8_P12ihipStream_tbDpT10_ENKUlT_T0_E_clISt17integral_constantIbLb1EES19_IbLb0EEEEDaS15_S16_EUlS15_E_NS1_11comp_targetILNS1_3genE9ELNS1_11target_archE1100ELNS1_3gpuE3ELNS1_3repE0EEENS1_30default_config_static_selectorELNS0_4arch9wavefront6targetE1EEEvT1_,comdat
.Lfunc_end110:
	.size	_ZN7rocprim17ROCPRIM_400000_NS6detail17trampoline_kernelINS0_14default_configENS1_25partition_config_selectorILNS1_17partition_subalgoE3EiNS0_10empty_typeEbEEZZNS1_14partition_implILS5_3ELb0ES3_jN6thrust23THRUST_200600_302600_NS6detail15normal_iteratorINSA_7pointerIiNSA_11hip_rocprim3tagENSA_11use_defaultESG_EEEEPS6_SJ_NS0_5tupleIJPiSJ_EEENSK_IJSJ_SJ_EEES6_PlJ7is_evenIiEEEE10hipError_tPvRmT3_T4_T5_T6_T7_T9_mT8_P12ihipStream_tbDpT10_ENKUlT_T0_E_clISt17integral_constantIbLb1EES19_IbLb0EEEEDaS15_S16_EUlS15_E_NS1_11comp_targetILNS1_3genE9ELNS1_11target_archE1100ELNS1_3gpuE3ELNS1_3repE0EEENS1_30default_config_static_selectorELNS0_4arch9wavefront6targetE1EEEvT1_, .Lfunc_end110-_ZN7rocprim17ROCPRIM_400000_NS6detail17trampoline_kernelINS0_14default_configENS1_25partition_config_selectorILNS1_17partition_subalgoE3EiNS0_10empty_typeEbEEZZNS1_14partition_implILS5_3ELb0ES3_jN6thrust23THRUST_200600_302600_NS6detail15normal_iteratorINSA_7pointerIiNSA_11hip_rocprim3tagENSA_11use_defaultESG_EEEEPS6_SJ_NS0_5tupleIJPiSJ_EEENSK_IJSJ_SJ_EEES6_PlJ7is_evenIiEEEE10hipError_tPvRmT3_T4_T5_T6_T7_T9_mT8_P12ihipStream_tbDpT10_ENKUlT_T0_E_clISt17integral_constantIbLb1EES19_IbLb0EEEEDaS15_S16_EUlS15_E_NS1_11comp_targetILNS1_3genE9ELNS1_11target_archE1100ELNS1_3gpuE3ELNS1_3repE0EEENS1_30default_config_static_selectorELNS0_4arch9wavefront6targetE1EEEvT1_
                                        ; -- End function
	.section	.AMDGPU.csdata,"",@progbits
; Kernel info:
; codeLenInByte = 0
; NumSgprs: 6
; NumVgprs: 0
; NumAgprs: 0
; TotalNumVgprs: 0
; ScratchSize: 0
; MemoryBound: 0
; FloatMode: 240
; IeeeMode: 1
; LDSByteSize: 0 bytes/workgroup (compile time only)
; SGPRBlocks: 0
; VGPRBlocks: 0
; NumSGPRsForWavesPerEU: 6
; NumVGPRsForWavesPerEU: 1
; AccumOffset: 4
; Occupancy: 8
; WaveLimiterHint : 0
; COMPUTE_PGM_RSRC2:SCRATCH_EN: 0
; COMPUTE_PGM_RSRC2:USER_SGPR: 2
; COMPUTE_PGM_RSRC2:TRAP_HANDLER: 0
; COMPUTE_PGM_RSRC2:TGID_X_EN: 1
; COMPUTE_PGM_RSRC2:TGID_Y_EN: 0
; COMPUTE_PGM_RSRC2:TGID_Z_EN: 0
; COMPUTE_PGM_RSRC2:TIDIG_COMP_CNT: 0
; COMPUTE_PGM_RSRC3_GFX90A:ACCUM_OFFSET: 0
; COMPUTE_PGM_RSRC3_GFX90A:TG_SPLIT: 0
	.section	.text._ZN7rocprim17ROCPRIM_400000_NS6detail17trampoline_kernelINS0_14default_configENS1_25partition_config_selectorILNS1_17partition_subalgoE3EiNS0_10empty_typeEbEEZZNS1_14partition_implILS5_3ELb0ES3_jN6thrust23THRUST_200600_302600_NS6detail15normal_iteratorINSA_7pointerIiNSA_11hip_rocprim3tagENSA_11use_defaultESG_EEEEPS6_SJ_NS0_5tupleIJPiSJ_EEENSK_IJSJ_SJ_EEES6_PlJ7is_evenIiEEEE10hipError_tPvRmT3_T4_T5_T6_T7_T9_mT8_P12ihipStream_tbDpT10_ENKUlT_T0_E_clISt17integral_constantIbLb1EES19_IbLb0EEEEDaS15_S16_EUlS15_E_NS1_11comp_targetILNS1_3genE8ELNS1_11target_archE1030ELNS1_3gpuE2ELNS1_3repE0EEENS1_30default_config_static_selectorELNS0_4arch9wavefront6targetE1EEEvT1_,"axG",@progbits,_ZN7rocprim17ROCPRIM_400000_NS6detail17trampoline_kernelINS0_14default_configENS1_25partition_config_selectorILNS1_17partition_subalgoE3EiNS0_10empty_typeEbEEZZNS1_14partition_implILS5_3ELb0ES3_jN6thrust23THRUST_200600_302600_NS6detail15normal_iteratorINSA_7pointerIiNSA_11hip_rocprim3tagENSA_11use_defaultESG_EEEEPS6_SJ_NS0_5tupleIJPiSJ_EEENSK_IJSJ_SJ_EEES6_PlJ7is_evenIiEEEE10hipError_tPvRmT3_T4_T5_T6_T7_T9_mT8_P12ihipStream_tbDpT10_ENKUlT_T0_E_clISt17integral_constantIbLb1EES19_IbLb0EEEEDaS15_S16_EUlS15_E_NS1_11comp_targetILNS1_3genE8ELNS1_11target_archE1030ELNS1_3gpuE2ELNS1_3repE0EEENS1_30default_config_static_selectorELNS0_4arch9wavefront6targetE1EEEvT1_,comdat
	.protected	_ZN7rocprim17ROCPRIM_400000_NS6detail17trampoline_kernelINS0_14default_configENS1_25partition_config_selectorILNS1_17partition_subalgoE3EiNS0_10empty_typeEbEEZZNS1_14partition_implILS5_3ELb0ES3_jN6thrust23THRUST_200600_302600_NS6detail15normal_iteratorINSA_7pointerIiNSA_11hip_rocprim3tagENSA_11use_defaultESG_EEEEPS6_SJ_NS0_5tupleIJPiSJ_EEENSK_IJSJ_SJ_EEES6_PlJ7is_evenIiEEEE10hipError_tPvRmT3_T4_T5_T6_T7_T9_mT8_P12ihipStream_tbDpT10_ENKUlT_T0_E_clISt17integral_constantIbLb1EES19_IbLb0EEEEDaS15_S16_EUlS15_E_NS1_11comp_targetILNS1_3genE8ELNS1_11target_archE1030ELNS1_3gpuE2ELNS1_3repE0EEENS1_30default_config_static_selectorELNS0_4arch9wavefront6targetE1EEEvT1_ ; -- Begin function _ZN7rocprim17ROCPRIM_400000_NS6detail17trampoline_kernelINS0_14default_configENS1_25partition_config_selectorILNS1_17partition_subalgoE3EiNS0_10empty_typeEbEEZZNS1_14partition_implILS5_3ELb0ES3_jN6thrust23THRUST_200600_302600_NS6detail15normal_iteratorINSA_7pointerIiNSA_11hip_rocprim3tagENSA_11use_defaultESG_EEEEPS6_SJ_NS0_5tupleIJPiSJ_EEENSK_IJSJ_SJ_EEES6_PlJ7is_evenIiEEEE10hipError_tPvRmT3_T4_T5_T6_T7_T9_mT8_P12ihipStream_tbDpT10_ENKUlT_T0_E_clISt17integral_constantIbLb1EES19_IbLb0EEEEDaS15_S16_EUlS15_E_NS1_11comp_targetILNS1_3genE8ELNS1_11target_archE1030ELNS1_3gpuE2ELNS1_3repE0EEENS1_30default_config_static_selectorELNS0_4arch9wavefront6targetE1EEEvT1_
	.globl	_ZN7rocprim17ROCPRIM_400000_NS6detail17trampoline_kernelINS0_14default_configENS1_25partition_config_selectorILNS1_17partition_subalgoE3EiNS0_10empty_typeEbEEZZNS1_14partition_implILS5_3ELb0ES3_jN6thrust23THRUST_200600_302600_NS6detail15normal_iteratorINSA_7pointerIiNSA_11hip_rocprim3tagENSA_11use_defaultESG_EEEEPS6_SJ_NS0_5tupleIJPiSJ_EEENSK_IJSJ_SJ_EEES6_PlJ7is_evenIiEEEE10hipError_tPvRmT3_T4_T5_T6_T7_T9_mT8_P12ihipStream_tbDpT10_ENKUlT_T0_E_clISt17integral_constantIbLb1EES19_IbLb0EEEEDaS15_S16_EUlS15_E_NS1_11comp_targetILNS1_3genE8ELNS1_11target_archE1030ELNS1_3gpuE2ELNS1_3repE0EEENS1_30default_config_static_selectorELNS0_4arch9wavefront6targetE1EEEvT1_
	.p2align	8
	.type	_ZN7rocprim17ROCPRIM_400000_NS6detail17trampoline_kernelINS0_14default_configENS1_25partition_config_selectorILNS1_17partition_subalgoE3EiNS0_10empty_typeEbEEZZNS1_14partition_implILS5_3ELb0ES3_jN6thrust23THRUST_200600_302600_NS6detail15normal_iteratorINSA_7pointerIiNSA_11hip_rocprim3tagENSA_11use_defaultESG_EEEEPS6_SJ_NS0_5tupleIJPiSJ_EEENSK_IJSJ_SJ_EEES6_PlJ7is_evenIiEEEE10hipError_tPvRmT3_T4_T5_T6_T7_T9_mT8_P12ihipStream_tbDpT10_ENKUlT_T0_E_clISt17integral_constantIbLb1EES19_IbLb0EEEEDaS15_S16_EUlS15_E_NS1_11comp_targetILNS1_3genE8ELNS1_11target_archE1030ELNS1_3gpuE2ELNS1_3repE0EEENS1_30default_config_static_selectorELNS0_4arch9wavefront6targetE1EEEvT1_,@function
_ZN7rocprim17ROCPRIM_400000_NS6detail17trampoline_kernelINS0_14default_configENS1_25partition_config_selectorILNS1_17partition_subalgoE3EiNS0_10empty_typeEbEEZZNS1_14partition_implILS5_3ELb0ES3_jN6thrust23THRUST_200600_302600_NS6detail15normal_iteratorINSA_7pointerIiNSA_11hip_rocprim3tagENSA_11use_defaultESG_EEEEPS6_SJ_NS0_5tupleIJPiSJ_EEENSK_IJSJ_SJ_EEES6_PlJ7is_evenIiEEEE10hipError_tPvRmT3_T4_T5_T6_T7_T9_mT8_P12ihipStream_tbDpT10_ENKUlT_T0_E_clISt17integral_constantIbLb1EES19_IbLb0EEEEDaS15_S16_EUlS15_E_NS1_11comp_targetILNS1_3genE8ELNS1_11target_archE1030ELNS1_3gpuE2ELNS1_3repE0EEENS1_30default_config_static_selectorELNS0_4arch9wavefront6targetE1EEEvT1_: ; @_ZN7rocprim17ROCPRIM_400000_NS6detail17trampoline_kernelINS0_14default_configENS1_25partition_config_selectorILNS1_17partition_subalgoE3EiNS0_10empty_typeEbEEZZNS1_14partition_implILS5_3ELb0ES3_jN6thrust23THRUST_200600_302600_NS6detail15normal_iteratorINSA_7pointerIiNSA_11hip_rocprim3tagENSA_11use_defaultESG_EEEEPS6_SJ_NS0_5tupleIJPiSJ_EEENSK_IJSJ_SJ_EEES6_PlJ7is_evenIiEEEE10hipError_tPvRmT3_T4_T5_T6_T7_T9_mT8_P12ihipStream_tbDpT10_ENKUlT_T0_E_clISt17integral_constantIbLb1EES19_IbLb0EEEEDaS15_S16_EUlS15_E_NS1_11comp_targetILNS1_3genE8ELNS1_11target_archE1030ELNS1_3gpuE2ELNS1_3repE0EEENS1_30default_config_static_selectorELNS0_4arch9wavefront6targetE1EEEvT1_
; %bb.0:
	.section	.rodata,"a",@progbits
	.p2align	6, 0x0
	.amdhsa_kernel _ZN7rocprim17ROCPRIM_400000_NS6detail17trampoline_kernelINS0_14default_configENS1_25partition_config_selectorILNS1_17partition_subalgoE3EiNS0_10empty_typeEbEEZZNS1_14partition_implILS5_3ELb0ES3_jN6thrust23THRUST_200600_302600_NS6detail15normal_iteratorINSA_7pointerIiNSA_11hip_rocprim3tagENSA_11use_defaultESG_EEEEPS6_SJ_NS0_5tupleIJPiSJ_EEENSK_IJSJ_SJ_EEES6_PlJ7is_evenIiEEEE10hipError_tPvRmT3_T4_T5_T6_T7_T9_mT8_P12ihipStream_tbDpT10_ENKUlT_T0_E_clISt17integral_constantIbLb1EES19_IbLb0EEEEDaS15_S16_EUlS15_E_NS1_11comp_targetILNS1_3genE8ELNS1_11target_archE1030ELNS1_3gpuE2ELNS1_3repE0EEENS1_30default_config_static_selectorELNS0_4arch9wavefront6targetE1EEEvT1_
		.amdhsa_group_segment_fixed_size 0
		.amdhsa_private_segment_fixed_size 0
		.amdhsa_kernarg_size 120
		.amdhsa_user_sgpr_count 2
		.amdhsa_user_sgpr_dispatch_ptr 0
		.amdhsa_user_sgpr_queue_ptr 0
		.amdhsa_user_sgpr_kernarg_segment_ptr 1
		.amdhsa_user_sgpr_dispatch_id 0
		.amdhsa_user_sgpr_kernarg_preload_length 0
		.amdhsa_user_sgpr_kernarg_preload_offset 0
		.amdhsa_user_sgpr_private_segment_size 0
		.amdhsa_uses_dynamic_stack 0
		.amdhsa_enable_private_segment 0
		.amdhsa_system_sgpr_workgroup_id_x 1
		.amdhsa_system_sgpr_workgroup_id_y 0
		.amdhsa_system_sgpr_workgroup_id_z 0
		.amdhsa_system_sgpr_workgroup_info 0
		.amdhsa_system_vgpr_workitem_id 0
		.amdhsa_next_free_vgpr 1
		.amdhsa_next_free_sgpr 0
		.amdhsa_accum_offset 4
		.amdhsa_reserve_vcc 0
		.amdhsa_float_round_mode_32 0
		.amdhsa_float_round_mode_16_64 0
		.amdhsa_float_denorm_mode_32 3
		.amdhsa_float_denorm_mode_16_64 3
		.amdhsa_dx10_clamp 1
		.amdhsa_ieee_mode 1
		.amdhsa_fp16_overflow 0
		.amdhsa_tg_split 0
		.amdhsa_exception_fp_ieee_invalid_op 0
		.amdhsa_exception_fp_denorm_src 0
		.amdhsa_exception_fp_ieee_div_zero 0
		.amdhsa_exception_fp_ieee_overflow 0
		.amdhsa_exception_fp_ieee_underflow 0
		.amdhsa_exception_fp_ieee_inexact 0
		.amdhsa_exception_int_div_zero 0
	.end_amdhsa_kernel
	.section	.text._ZN7rocprim17ROCPRIM_400000_NS6detail17trampoline_kernelINS0_14default_configENS1_25partition_config_selectorILNS1_17partition_subalgoE3EiNS0_10empty_typeEbEEZZNS1_14partition_implILS5_3ELb0ES3_jN6thrust23THRUST_200600_302600_NS6detail15normal_iteratorINSA_7pointerIiNSA_11hip_rocprim3tagENSA_11use_defaultESG_EEEEPS6_SJ_NS0_5tupleIJPiSJ_EEENSK_IJSJ_SJ_EEES6_PlJ7is_evenIiEEEE10hipError_tPvRmT3_T4_T5_T6_T7_T9_mT8_P12ihipStream_tbDpT10_ENKUlT_T0_E_clISt17integral_constantIbLb1EES19_IbLb0EEEEDaS15_S16_EUlS15_E_NS1_11comp_targetILNS1_3genE8ELNS1_11target_archE1030ELNS1_3gpuE2ELNS1_3repE0EEENS1_30default_config_static_selectorELNS0_4arch9wavefront6targetE1EEEvT1_,"axG",@progbits,_ZN7rocprim17ROCPRIM_400000_NS6detail17trampoline_kernelINS0_14default_configENS1_25partition_config_selectorILNS1_17partition_subalgoE3EiNS0_10empty_typeEbEEZZNS1_14partition_implILS5_3ELb0ES3_jN6thrust23THRUST_200600_302600_NS6detail15normal_iteratorINSA_7pointerIiNSA_11hip_rocprim3tagENSA_11use_defaultESG_EEEEPS6_SJ_NS0_5tupleIJPiSJ_EEENSK_IJSJ_SJ_EEES6_PlJ7is_evenIiEEEE10hipError_tPvRmT3_T4_T5_T6_T7_T9_mT8_P12ihipStream_tbDpT10_ENKUlT_T0_E_clISt17integral_constantIbLb1EES19_IbLb0EEEEDaS15_S16_EUlS15_E_NS1_11comp_targetILNS1_3genE8ELNS1_11target_archE1030ELNS1_3gpuE2ELNS1_3repE0EEENS1_30default_config_static_selectorELNS0_4arch9wavefront6targetE1EEEvT1_,comdat
.Lfunc_end111:
	.size	_ZN7rocprim17ROCPRIM_400000_NS6detail17trampoline_kernelINS0_14default_configENS1_25partition_config_selectorILNS1_17partition_subalgoE3EiNS0_10empty_typeEbEEZZNS1_14partition_implILS5_3ELb0ES3_jN6thrust23THRUST_200600_302600_NS6detail15normal_iteratorINSA_7pointerIiNSA_11hip_rocprim3tagENSA_11use_defaultESG_EEEEPS6_SJ_NS0_5tupleIJPiSJ_EEENSK_IJSJ_SJ_EEES6_PlJ7is_evenIiEEEE10hipError_tPvRmT3_T4_T5_T6_T7_T9_mT8_P12ihipStream_tbDpT10_ENKUlT_T0_E_clISt17integral_constantIbLb1EES19_IbLb0EEEEDaS15_S16_EUlS15_E_NS1_11comp_targetILNS1_3genE8ELNS1_11target_archE1030ELNS1_3gpuE2ELNS1_3repE0EEENS1_30default_config_static_selectorELNS0_4arch9wavefront6targetE1EEEvT1_, .Lfunc_end111-_ZN7rocprim17ROCPRIM_400000_NS6detail17trampoline_kernelINS0_14default_configENS1_25partition_config_selectorILNS1_17partition_subalgoE3EiNS0_10empty_typeEbEEZZNS1_14partition_implILS5_3ELb0ES3_jN6thrust23THRUST_200600_302600_NS6detail15normal_iteratorINSA_7pointerIiNSA_11hip_rocprim3tagENSA_11use_defaultESG_EEEEPS6_SJ_NS0_5tupleIJPiSJ_EEENSK_IJSJ_SJ_EEES6_PlJ7is_evenIiEEEE10hipError_tPvRmT3_T4_T5_T6_T7_T9_mT8_P12ihipStream_tbDpT10_ENKUlT_T0_E_clISt17integral_constantIbLb1EES19_IbLb0EEEEDaS15_S16_EUlS15_E_NS1_11comp_targetILNS1_3genE8ELNS1_11target_archE1030ELNS1_3gpuE2ELNS1_3repE0EEENS1_30default_config_static_selectorELNS0_4arch9wavefront6targetE1EEEvT1_
                                        ; -- End function
	.section	.AMDGPU.csdata,"",@progbits
; Kernel info:
; codeLenInByte = 0
; NumSgprs: 6
; NumVgprs: 0
; NumAgprs: 0
; TotalNumVgprs: 0
; ScratchSize: 0
; MemoryBound: 0
; FloatMode: 240
; IeeeMode: 1
; LDSByteSize: 0 bytes/workgroup (compile time only)
; SGPRBlocks: 0
; VGPRBlocks: 0
; NumSGPRsForWavesPerEU: 6
; NumVGPRsForWavesPerEU: 1
; AccumOffset: 4
; Occupancy: 8
; WaveLimiterHint : 0
; COMPUTE_PGM_RSRC2:SCRATCH_EN: 0
; COMPUTE_PGM_RSRC2:USER_SGPR: 2
; COMPUTE_PGM_RSRC2:TRAP_HANDLER: 0
; COMPUTE_PGM_RSRC2:TGID_X_EN: 1
; COMPUTE_PGM_RSRC2:TGID_Y_EN: 0
; COMPUTE_PGM_RSRC2:TGID_Z_EN: 0
; COMPUTE_PGM_RSRC2:TIDIG_COMP_CNT: 0
; COMPUTE_PGM_RSRC3_GFX90A:ACCUM_OFFSET: 0
; COMPUTE_PGM_RSRC3_GFX90A:TG_SPLIT: 0
	.section	.text._ZN7rocprim17ROCPRIM_400000_NS6detail17trampoline_kernelINS0_14default_configENS1_25partition_config_selectorILNS1_17partition_subalgoE3EiNS0_10empty_typeEbEEZZNS1_14partition_implILS5_3ELb0ES3_jN6thrust23THRUST_200600_302600_NS6detail15normal_iteratorINSA_7pointerIiNSA_11hip_rocprim3tagENSA_11use_defaultESG_EEEEPS6_SJ_NS0_5tupleIJPiSJ_EEENSK_IJSJ_SJ_EEES6_PlJ7is_evenIiEEEE10hipError_tPvRmT3_T4_T5_T6_T7_T9_mT8_P12ihipStream_tbDpT10_ENKUlT_T0_E_clISt17integral_constantIbLb0EES19_IbLb1EEEEDaS15_S16_EUlS15_E_NS1_11comp_targetILNS1_3genE0ELNS1_11target_archE4294967295ELNS1_3gpuE0ELNS1_3repE0EEENS1_30default_config_static_selectorELNS0_4arch9wavefront6targetE1EEEvT1_,"axG",@progbits,_ZN7rocprim17ROCPRIM_400000_NS6detail17trampoline_kernelINS0_14default_configENS1_25partition_config_selectorILNS1_17partition_subalgoE3EiNS0_10empty_typeEbEEZZNS1_14partition_implILS5_3ELb0ES3_jN6thrust23THRUST_200600_302600_NS6detail15normal_iteratorINSA_7pointerIiNSA_11hip_rocprim3tagENSA_11use_defaultESG_EEEEPS6_SJ_NS0_5tupleIJPiSJ_EEENSK_IJSJ_SJ_EEES6_PlJ7is_evenIiEEEE10hipError_tPvRmT3_T4_T5_T6_T7_T9_mT8_P12ihipStream_tbDpT10_ENKUlT_T0_E_clISt17integral_constantIbLb0EES19_IbLb1EEEEDaS15_S16_EUlS15_E_NS1_11comp_targetILNS1_3genE0ELNS1_11target_archE4294967295ELNS1_3gpuE0ELNS1_3repE0EEENS1_30default_config_static_selectorELNS0_4arch9wavefront6targetE1EEEvT1_,comdat
	.protected	_ZN7rocprim17ROCPRIM_400000_NS6detail17trampoline_kernelINS0_14default_configENS1_25partition_config_selectorILNS1_17partition_subalgoE3EiNS0_10empty_typeEbEEZZNS1_14partition_implILS5_3ELb0ES3_jN6thrust23THRUST_200600_302600_NS6detail15normal_iteratorINSA_7pointerIiNSA_11hip_rocprim3tagENSA_11use_defaultESG_EEEEPS6_SJ_NS0_5tupleIJPiSJ_EEENSK_IJSJ_SJ_EEES6_PlJ7is_evenIiEEEE10hipError_tPvRmT3_T4_T5_T6_T7_T9_mT8_P12ihipStream_tbDpT10_ENKUlT_T0_E_clISt17integral_constantIbLb0EES19_IbLb1EEEEDaS15_S16_EUlS15_E_NS1_11comp_targetILNS1_3genE0ELNS1_11target_archE4294967295ELNS1_3gpuE0ELNS1_3repE0EEENS1_30default_config_static_selectorELNS0_4arch9wavefront6targetE1EEEvT1_ ; -- Begin function _ZN7rocprim17ROCPRIM_400000_NS6detail17trampoline_kernelINS0_14default_configENS1_25partition_config_selectorILNS1_17partition_subalgoE3EiNS0_10empty_typeEbEEZZNS1_14partition_implILS5_3ELb0ES3_jN6thrust23THRUST_200600_302600_NS6detail15normal_iteratorINSA_7pointerIiNSA_11hip_rocprim3tagENSA_11use_defaultESG_EEEEPS6_SJ_NS0_5tupleIJPiSJ_EEENSK_IJSJ_SJ_EEES6_PlJ7is_evenIiEEEE10hipError_tPvRmT3_T4_T5_T6_T7_T9_mT8_P12ihipStream_tbDpT10_ENKUlT_T0_E_clISt17integral_constantIbLb0EES19_IbLb1EEEEDaS15_S16_EUlS15_E_NS1_11comp_targetILNS1_3genE0ELNS1_11target_archE4294967295ELNS1_3gpuE0ELNS1_3repE0EEENS1_30default_config_static_selectorELNS0_4arch9wavefront6targetE1EEEvT1_
	.globl	_ZN7rocprim17ROCPRIM_400000_NS6detail17trampoline_kernelINS0_14default_configENS1_25partition_config_selectorILNS1_17partition_subalgoE3EiNS0_10empty_typeEbEEZZNS1_14partition_implILS5_3ELb0ES3_jN6thrust23THRUST_200600_302600_NS6detail15normal_iteratorINSA_7pointerIiNSA_11hip_rocprim3tagENSA_11use_defaultESG_EEEEPS6_SJ_NS0_5tupleIJPiSJ_EEENSK_IJSJ_SJ_EEES6_PlJ7is_evenIiEEEE10hipError_tPvRmT3_T4_T5_T6_T7_T9_mT8_P12ihipStream_tbDpT10_ENKUlT_T0_E_clISt17integral_constantIbLb0EES19_IbLb1EEEEDaS15_S16_EUlS15_E_NS1_11comp_targetILNS1_3genE0ELNS1_11target_archE4294967295ELNS1_3gpuE0ELNS1_3repE0EEENS1_30default_config_static_selectorELNS0_4arch9wavefront6targetE1EEEvT1_
	.p2align	8
	.type	_ZN7rocprim17ROCPRIM_400000_NS6detail17trampoline_kernelINS0_14default_configENS1_25partition_config_selectorILNS1_17partition_subalgoE3EiNS0_10empty_typeEbEEZZNS1_14partition_implILS5_3ELb0ES3_jN6thrust23THRUST_200600_302600_NS6detail15normal_iteratorINSA_7pointerIiNSA_11hip_rocprim3tagENSA_11use_defaultESG_EEEEPS6_SJ_NS0_5tupleIJPiSJ_EEENSK_IJSJ_SJ_EEES6_PlJ7is_evenIiEEEE10hipError_tPvRmT3_T4_T5_T6_T7_T9_mT8_P12ihipStream_tbDpT10_ENKUlT_T0_E_clISt17integral_constantIbLb0EES19_IbLb1EEEEDaS15_S16_EUlS15_E_NS1_11comp_targetILNS1_3genE0ELNS1_11target_archE4294967295ELNS1_3gpuE0ELNS1_3repE0EEENS1_30default_config_static_selectorELNS0_4arch9wavefront6targetE1EEEvT1_,@function
_ZN7rocprim17ROCPRIM_400000_NS6detail17trampoline_kernelINS0_14default_configENS1_25partition_config_selectorILNS1_17partition_subalgoE3EiNS0_10empty_typeEbEEZZNS1_14partition_implILS5_3ELb0ES3_jN6thrust23THRUST_200600_302600_NS6detail15normal_iteratorINSA_7pointerIiNSA_11hip_rocprim3tagENSA_11use_defaultESG_EEEEPS6_SJ_NS0_5tupleIJPiSJ_EEENSK_IJSJ_SJ_EEES6_PlJ7is_evenIiEEEE10hipError_tPvRmT3_T4_T5_T6_T7_T9_mT8_P12ihipStream_tbDpT10_ENKUlT_T0_E_clISt17integral_constantIbLb0EES19_IbLb1EEEEDaS15_S16_EUlS15_E_NS1_11comp_targetILNS1_3genE0ELNS1_11target_archE4294967295ELNS1_3gpuE0ELNS1_3repE0EEENS1_30default_config_static_selectorELNS0_4arch9wavefront6targetE1EEEvT1_: ; @_ZN7rocprim17ROCPRIM_400000_NS6detail17trampoline_kernelINS0_14default_configENS1_25partition_config_selectorILNS1_17partition_subalgoE3EiNS0_10empty_typeEbEEZZNS1_14partition_implILS5_3ELb0ES3_jN6thrust23THRUST_200600_302600_NS6detail15normal_iteratorINSA_7pointerIiNSA_11hip_rocprim3tagENSA_11use_defaultESG_EEEEPS6_SJ_NS0_5tupleIJPiSJ_EEENSK_IJSJ_SJ_EEES6_PlJ7is_evenIiEEEE10hipError_tPvRmT3_T4_T5_T6_T7_T9_mT8_P12ihipStream_tbDpT10_ENKUlT_T0_E_clISt17integral_constantIbLb0EES19_IbLb1EEEEDaS15_S16_EUlS15_E_NS1_11comp_targetILNS1_3genE0ELNS1_11target_archE4294967295ELNS1_3gpuE0ELNS1_3repE0EEENS1_30default_config_static_selectorELNS0_4arch9wavefront6targetE1EEEvT1_
; %bb.0:
	.section	.rodata,"a",@progbits
	.p2align	6, 0x0
	.amdhsa_kernel _ZN7rocprim17ROCPRIM_400000_NS6detail17trampoline_kernelINS0_14default_configENS1_25partition_config_selectorILNS1_17partition_subalgoE3EiNS0_10empty_typeEbEEZZNS1_14partition_implILS5_3ELb0ES3_jN6thrust23THRUST_200600_302600_NS6detail15normal_iteratorINSA_7pointerIiNSA_11hip_rocprim3tagENSA_11use_defaultESG_EEEEPS6_SJ_NS0_5tupleIJPiSJ_EEENSK_IJSJ_SJ_EEES6_PlJ7is_evenIiEEEE10hipError_tPvRmT3_T4_T5_T6_T7_T9_mT8_P12ihipStream_tbDpT10_ENKUlT_T0_E_clISt17integral_constantIbLb0EES19_IbLb1EEEEDaS15_S16_EUlS15_E_NS1_11comp_targetILNS1_3genE0ELNS1_11target_archE4294967295ELNS1_3gpuE0ELNS1_3repE0EEENS1_30default_config_static_selectorELNS0_4arch9wavefront6targetE1EEEvT1_
		.amdhsa_group_segment_fixed_size 0
		.amdhsa_private_segment_fixed_size 0
		.amdhsa_kernarg_size 136
		.amdhsa_user_sgpr_count 2
		.amdhsa_user_sgpr_dispatch_ptr 0
		.amdhsa_user_sgpr_queue_ptr 0
		.amdhsa_user_sgpr_kernarg_segment_ptr 1
		.amdhsa_user_sgpr_dispatch_id 0
		.amdhsa_user_sgpr_kernarg_preload_length 0
		.amdhsa_user_sgpr_kernarg_preload_offset 0
		.amdhsa_user_sgpr_private_segment_size 0
		.amdhsa_uses_dynamic_stack 0
		.amdhsa_enable_private_segment 0
		.amdhsa_system_sgpr_workgroup_id_x 1
		.amdhsa_system_sgpr_workgroup_id_y 0
		.amdhsa_system_sgpr_workgroup_id_z 0
		.amdhsa_system_sgpr_workgroup_info 0
		.amdhsa_system_vgpr_workitem_id 0
		.amdhsa_next_free_vgpr 1
		.amdhsa_next_free_sgpr 0
		.amdhsa_accum_offset 4
		.amdhsa_reserve_vcc 0
		.amdhsa_float_round_mode_32 0
		.amdhsa_float_round_mode_16_64 0
		.amdhsa_float_denorm_mode_32 3
		.amdhsa_float_denorm_mode_16_64 3
		.amdhsa_dx10_clamp 1
		.amdhsa_ieee_mode 1
		.amdhsa_fp16_overflow 0
		.amdhsa_tg_split 0
		.amdhsa_exception_fp_ieee_invalid_op 0
		.amdhsa_exception_fp_denorm_src 0
		.amdhsa_exception_fp_ieee_div_zero 0
		.amdhsa_exception_fp_ieee_overflow 0
		.amdhsa_exception_fp_ieee_underflow 0
		.amdhsa_exception_fp_ieee_inexact 0
		.amdhsa_exception_int_div_zero 0
	.end_amdhsa_kernel
	.section	.text._ZN7rocprim17ROCPRIM_400000_NS6detail17trampoline_kernelINS0_14default_configENS1_25partition_config_selectorILNS1_17partition_subalgoE3EiNS0_10empty_typeEbEEZZNS1_14partition_implILS5_3ELb0ES3_jN6thrust23THRUST_200600_302600_NS6detail15normal_iteratorINSA_7pointerIiNSA_11hip_rocprim3tagENSA_11use_defaultESG_EEEEPS6_SJ_NS0_5tupleIJPiSJ_EEENSK_IJSJ_SJ_EEES6_PlJ7is_evenIiEEEE10hipError_tPvRmT3_T4_T5_T6_T7_T9_mT8_P12ihipStream_tbDpT10_ENKUlT_T0_E_clISt17integral_constantIbLb0EES19_IbLb1EEEEDaS15_S16_EUlS15_E_NS1_11comp_targetILNS1_3genE0ELNS1_11target_archE4294967295ELNS1_3gpuE0ELNS1_3repE0EEENS1_30default_config_static_selectorELNS0_4arch9wavefront6targetE1EEEvT1_,"axG",@progbits,_ZN7rocprim17ROCPRIM_400000_NS6detail17trampoline_kernelINS0_14default_configENS1_25partition_config_selectorILNS1_17partition_subalgoE3EiNS0_10empty_typeEbEEZZNS1_14partition_implILS5_3ELb0ES3_jN6thrust23THRUST_200600_302600_NS6detail15normal_iteratorINSA_7pointerIiNSA_11hip_rocprim3tagENSA_11use_defaultESG_EEEEPS6_SJ_NS0_5tupleIJPiSJ_EEENSK_IJSJ_SJ_EEES6_PlJ7is_evenIiEEEE10hipError_tPvRmT3_T4_T5_T6_T7_T9_mT8_P12ihipStream_tbDpT10_ENKUlT_T0_E_clISt17integral_constantIbLb0EES19_IbLb1EEEEDaS15_S16_EUlS15_E_NS1_11comp_targetILNS1_3genE0ELNS1_11target_archE4294967295ELNS1_3gpuE0ELNS1_3repE0EEENS1_30default_config_static_selectorELNS0_4arch9wavefront6targetE1EEEvT1_,comdat
.Lfunc_end112:
	.size	_ZN7rocprim17ROCPRIM_400000_NS6detail17trampoline_kernelINS0_14default_configENS1_25partition_config_selectorILNS1_17partition_subalgoE3EiNS0_10empty_typeEbEEZZNS1_14partition_implILS5_3ELb0ES3_jN6thrust23THRUST_200600_302600_NS6detail15normal_iteratorINSA_7pointerIiNSA_11hip_rocprim3tagENSA_11use_defaultESG_EEEEPS6_SJ_NS0_5tupleIJPiSJ_EEENSK_IJSJ_SJ_EEES6_PlJ7is_evenIiEEEE10hipError_tPvRmT3_T4_T5_T6_T7_T9_mT8_P12ihipStream_tbDpT10_ENKUlT_T0_E_clISt17integral_constantIbLb0EES19_IbLb1EEEEDaS15_S16_EUlS15_E_NS1_11comp_targetILNS1_3genE0ELNS1_11target_archE4294967295ELNS1_3gpuE0ELNS1_3repE0EEENS1_30default_config_static_selectorELNS0_4arch9wavefront6targetE1EEEvT1_, .Lfunc_end112-_ZN7rocprim17ROCPRIM_400000_NS6detail17trampoline_kernelINS0_14default_configENS1_25partition_config_selectorILNS1_17partition_subalgoE3EiNS0_10empty_typeEbEEZZNS1_14partition_implILS5_3ELb0ES3_jN6thrust23THRUST_200600_302600_NS6detail15normal_iteratorINSA_7pointerIiNSA_11hip_rocprim3tagENSA_11use_defaultESG_EEEEPS6_SJ_NS0_5tupleIJPiSJ_EEENSK_IJSJ_SJ_EEES6_PlJ7is_evenIiEEEE10hipError_tPvRmT3_T4_T5_T6_T7_T9_mT8_P12ihipStream_tbDpT10_ENKUlT_T0_E_clISt17integral_constantIbLb0EES19_IbLb1EEEEDaS15_S16_EUlS15_E_NS1_11comp_targetILNS1_3genE0ELNS1_11target_archE4294967295ELNS1_3gpuE0ELNS1_3repE0EEENS1_30default_config_static_selectorELNS0_4arch9wavefront6targetE1EEEvT1_
                                        ; -- End function
	.section	.AMDGPU.csdata,"",@progbits
; Kernel info:
; codeLenInByte = 0
; NumSgprs: 6
; NumVgprs: 0
; NumAgprs: 0
; TotalNumVgprs: 0
; ScratchSize: 0
; MemoryBound: 0
; FloatMode: 240
; IeeeMode: 1
; LDSByteSize: 0 bytes/workgroup (compile time only)
; SGPRBlocks: 0
; VGPRBlocks: 0
; NumSGPRsForWavesPerEU: 6
; NumVGPRsForWavesPerEU: 1
; AccumOffset: 4
; Occupancy: 8
; WaveLimiterHint : 0
; COMPUTE_PGM_RSRC2:SCRATCH_EN: 0
; COMPUTE_PGM_RSRC2:USER_SGPR: 2
; COMPUTE_PGM_RSRC2:TRAP_HANDLER: 0
; COMPUTE_PGM_RSRC2:TGID_X_EN: 1
; COMPUTE_PGM_RSRC2:TGID_Y_EN: 0
; COMPUTE_PGM_RSRC2:TGID_Z_EN: 0
; COMPUTE_PGM_RSRC2:TIDIG_COMP_CNT: 0
; COMPUTE_PGM_RSRC3_GFX90A:ACCUM_OFFSET: 0
; COMPUTE_PGM_RSRC3_GFX90A:TG_SPLIT: 0
	.section	.text._ZN7rocprim17ROCPRIM_400000_NS6detail17trampoline_kernelINS0_14default_configENS1_25partition_config_selectorILNS1_17partition_subalgoE3EiNS0_10empty_typeEbEEZZNS1_14partition_implILS5_3ELb0ES3_jN6thrust23THRUST_200600_302600_NS6detail15normal_iteratorINSA_7pointerIiNSA_11hip_rocprim3tagENSA_11use_defaultESG_EEEEPS6_SJ_NS0_5tupleIJPiSJ_EEENSK_IJSJ_SJ_EEES6_PlJ7is_evenIiEEEE10hipError_tPvRmT3_T4_T5_T6_T7_T9_mT8_P12ihipStream_tbDpT10_ENKUlT_T0_E_clISt17integral_constantIbLb0EES19_IbLb1EEEEDaS15_S16_EUlS15_E_NS1_11comp_targetILNS1_3genE5ELNS1_11target_archE942ELNS1_3gpuE9ELNS1_3repE0EEENS1_30default_config_static_selectorELNS0_4arch9wavefront6targetE1EEEvT1_,"axG",@progbits,_ZN7rocprim17ROCPRIM_400000_NS6detail17trampoline_kernelINS0_14default_configENS1_25partition_config_selectorILNS1_17partition_subalgoE3EiNS0_10empty_typeEbEEZZNS1_14partition_implILS5_3ELb0ES3_jN6thrust23THRUST_200600_302600_NS6detail15normal_iteratorINSA_7pointerIiNSA_11hip_rocprim3tagENSA_11use_defaultESG_EEEEPS6_SJ_NS0_5tupleIJPiSJ_EEENSK_IJSJ_SJ_EEES6_PlJ7is_evenIiEEEE10hipError_tPvRmT3_T4_T5_T6_T7_T9_mT8_P12ihipStream_tbDpT10_ENKUlT_T0_E_clISt17integral_constantIbLb0EES19_IbLb1EEEEDaS15_S16_EUlS15_E_NS1_11comp_targetILNS1_3genE5ELNS1_11target_archE942ELNS1_3gpuE9ELNS1_3repE0EEENS1_30default_config_static_selectorELNS0_4arch9wavefront6targetE1EEEvT1_,comdat
	.protected	_ZN7rocprim17ROCPRIM_400000_NS6detail17trampoline_kernelINS0_14default_configENS1_25partition_config_selectorILNS1_17partition_subalgoE3EiNS0_10empty_typeEbEEZZNS1_14partition_implILS5_3ELb0ES3_jN6thrust23THRUST_200600_302600_NS6detail15normal_iteratorINSA_7pointerIiNSA_11hip_rocprim3tagENSA_11use_defaultESG_EEEEPS6_SJ_NS0_5tupleIJPiSJ_EEENSK_IJSJ_SJ_EEES6_PlJ7is_evenIiEEEE10hipError_tPvRmT3_T4_T5_T6_T7_T9_mT8_P12ihipStream_tbDpT10_ENKUlT_T0_E_clISt17integral_constantIbLb0EES19_IbLb1EEEEDaS15_S16_EUlS15_E_NS1_11comp_targetILNS1_3genE5ELNS1_11target_archE942ELNS1_3gpuE9ELNS1_3repE0EEENS1_30default_config_static_selectorELNS0_4arch9wavefront6targetE1EEEvT1_ ; -- Begin function _ZN7rocprim17ROCPRIM_400000_NS6detail17trampoline_kernelINS0_14default_configENS1_25partition_config_selectorILNS1_17partition_subalgoE3EiNS0_10empty_typeEbEEZZNS1_14partition_implILS5_3ELb0ES3_jN6thrust23THRUST_200600_302600_NS6detail15normal_iteratorINSA_7pointerIiNSA_11hip_rocprim3tagENSA_11use_defaultESG_EEEEPS6_SJ_NS0_5tupleIJPiSJ_EEENSK_IJSJ_SJ_EEES6_PlJ7is_evenIiEEEE10hipError_tPvRmT3_T4_T5_T6_T7_T9_mT8_P12ihipStream_tbDpT10_ENKUlT_T0_E_clISt17integral_constantIbLb0EES19_IbLb1EEEEDaS15_S16_EUlS15_E_NS1_11comp_targetILNS1_3genE5ELNS1_11target_archE942ELNS1_3gpuE9ELNS1_3repE0EEENS1_30default_config_static_selectorELNS0_4arch9wavefront6targetE1EEEvT1_
	.globl	_ZN7rocprim17ROCPRIM_400000_NS6detail17trampoline_kernelINS0_14default_configENS1_25partition_config_selectorILNS1_17partition_subalgoE3EiNS0_10empty_typeEbEEZZNS1_14partition_implILS5_3ELb0ES3_jN6thrust23THRUST_200600_302600_NS6detail15normal_iteratorINSA_7pointerIiNSA_11hip_rocprim3tagENSA_11use_defaultESG_EEEEPS6_SJ_NS0_5tupleIJPiSJ_EEENSK_IJSJ_SJ_EEES6_PlJ7is_evenIiEEEE10hipError_tPvRmT3_T4_T5_T6_T7_T9_mT8_P12ihipStream_tbDpT10_ENKUlT_T0_E_clISt17integral_constantIbLb0EES19_IbLb1EEEEDaS15_S16_EUlS15_E_NS1_11comp_targetILNS1_3genE5ELNS1_11target_archE942ELNS1_3gpuE9ELNS1_3repE0EEENS1_30default_config_static_selectorELNS0_4arch9wavefront6targetE1EEEvT1_
	.p2align	8
	.type	_ZN7rocprim17ROCPRIM_400000_NS6detail17trampoline_kernelINS0_14default_configENS1_25partition_config_selectorILNS1_17partition_subalgoE3EiNS0_10empty_typeEbEEZZNS1_14partition_implILS5_3ELb0ES3_jN6thrust23THRUST_200600_302600_NS6detail15normal_iteratorINSA_7pointerIiNSA_11hip_rocprim3tagENSA_11use_defaultESG_EEEEPS6_SJ_NS0_5tupleIJPiSJ_EEENSK_IJSJ_SJ_EEES6_PlJ7is_evenIiEEEE10hipError_tPvRmT3_T4_T5_T6_T7_T9_mT8_P12ihipStream_tbDpT10_ENKUlT_T0_E_clISt17integral_constantIbLb0EES19_IbLb1EEEEDaS15_S16_EUlS15_E_NS1_11comp_targetILNS1_3genE5ELNS1_11target_archE942ELNS1_3gpuE9ELNS1_3repE0EEENS1_30default_config_static_selectorELNS0_4arch9wavefront6targetE1EEEvT1_,@function
_ZN7rocprim17ROCPRIM_400000_NS6detail17trampoline_kernelINS0_14default_configENS1_25partition_config_selectorILNS1_17partition_subalgoE3EiNS0_10empty_typeEbEEZZNS1_14partition_implILS5_3ELb0ES3_jN6thrust23THRUST_200600_302600_NS6detail15normal_iteratorINSA_7pointerIiNSA_11hip_rocprim3tagENSA_11use_defaultESG_EEEEPS6_SJ_NS0_5tupleIJPiSJ_EEENSK_IJSJ_SJ_EEES6_PlJ7is_evenIiEEEE10hipError_tPvRmT3_T4_T5_T6_T7_T9_mT8_P12ihipStream_tbDpT10_ENKUlT_T0_E_clISt17integral_constantIbLb0EES19_IbLb1EEEEDaS15_S16_EUlS15_E_NS1_11comp_targetILNS1_3genE5ELNS1_11target_archE942ELNS1_3gpuE9ELNS1_3repE0EEENS1_30default_config_static_selectorELNS0_4arch9wavefront6targetE1EEEvT1_: ; @_ZN7rocprim17ROCPRIM_400000_NS6detail17trampoline_kernelINS0_14default_configENS1_25partition_config_selectorILNS1_17partition_subalgoE3EiNS0_10empty_typeEbEEZZNS1_14partition_implILS5_3ELb0ES3_jN6thrust23THRUST_200600_302600_NS6detail15normal_iteratorINSA_7pointerIiNSA_11hip_rocprim3tagENSA_11use_defaultESG_EEEEPS6_SJ_NS0_5tupleIJPiSJ_EEENSK_IJSJ_SJ_EEES6_PlJ7is_evenIiEEEE10hipError_tPvRmT3_T4_T5_T6_T7_T9_mT8_P12ihipStream_tbDpT10_ENKUlT_T0_E_clISt17integral_constantIbLb0EES19_IbLb1EEEEDaS15_S16_EUlS15_E_NS1_11comp_targetILNS1_3genE5ELNS1_11target_archE942ELNS1_3gpuE9ELNS1_3repE0EEENS1_30default_config_static_selectorELNS0_4arch9wavefront6targetE1EEEvT1_
; %bb.0:
	s_load_dwordx2 s[22:23], s[0:1], 0x28
	s_load_dwordx4 s[24:27], s[0:1], 0x48
	s_load_dwordx2 s[34:35], s[0:1], 0x58
	s_load_dwordx2 s[36:37], s[0:1], 0x68
	v_cmp_eq_u32_e64 s[20:21], 0, v0
	s_and_saveexec_b64 s[2:3], s[20:21]
	s_cbranch_execz .LBB113_4
; %bb.1:
	s_mov_b64 s[6:7], exec
	v_mbcnt_lo_u32_b32 v1, s6, 0
	v_mbcnt_hi_u32_b32 v1, s7, v1
	v_cmp_eq_u32_e32 vcc, 0, v1
                                        ; implicit-def: $vgpr2
	s_and_saveexec_b64 s[4:5], vcc
	s_cbranch_execz .LBB113_3
; %bb.2:
	s_load_dwordx2 s[8:9], s[0:1], 0x78
	s_bcnt1_i32_b64 s6, s[6:7]
	v_mov_b32_e32 v2, 0
	v_mov_b32_e32 v3, s6
	s_waitcnt lgkmcnt(0)
	global_atomic_add v2, v2, v3, s[8:9] sc0
.LBB113_3:
	s_or_b64 exec, exec, s[4:5]
	s_waitcnt vmcnt(0)
	v_readfirstlane_b32 s4, v2
	v_mov_b32_e32 v2, 0
	s_nop 0
	v_add_u32_e32 v1, s4, v1
	ds_write_b32 v2, v1
.LBB113_4:
	s_or_b64 exec, exec, s[2:3]
	v_mov_b32_e32 v19, 0
	s_load_dwordx4 s[28:31], s[0:1], 0x8
	s_load_dword s2, s[0:1], 0x70
	s_waitcnt lgkmcnt(0)
	s_barrier
	ds_read_b32 v1, v19
	s_waitcnt lgkmcnt(0)
	s_barrier
	global_load_dwordx2 v[20:21], v19, s[26:27]
	s_lshl_b64 s[0:1], s[30:31], 2
	s_add_u32 s0, s28, s0
	s_addc_u32 s1, s29, s1
	s_movk_i32 s3, 0x1e00
	s_add_i32 s4, s2, -1
	s_mulk_i32 s2, 0x1e00
	v_mul_lo_u32 v18, v1, s3
	s_add_i32 s3, s2, s30
	s_sub_i32 s33, s34, s3
	s_addk_i32 s33, 0x1e00
	s_add_u32 s2, s30, s2
	v_readfirstlane_b32 s40, v1
	s_addc_u32 s3, s31, 0
	s_cmp_eq_u32 s40, s4
	v_mov_b64_e32 v[2:3], s[34:35]
	s_cselect_b64 s[26:27], -1, 0
	s_cmp_lg_u32 s40, s4
	v_cmp_lt_u64_e32 vcc, s[2:3], v[2:3]
	s_cselect_b64 s[2:3], -1, 0
	s_or_b64 s[4:5], vcc, s[2:3]
	v_lshlrev_b64 v[2:3], 2, v[18:19]
	v_lshl_add_u64 v[24:25], s[0:1], 0, v[2:3]
	s_mov_b64 s[0:1], -1
	s_and_b64 vcc, exec, s[4:5]
	v_lshlrev_b32_e32 v22, 2, v0
	s_cbranch_vccz .LBB113_6
; %bb.5:
	v_mov_b32_e32 v23, v19
	v_lshl_add_u64 v[2:3], v[24:25], 0, v[22:23]
	v_add_co_u32_e32 v4, vcc, 0x1000, v2
	s_mov_b64 s[0:1], 0
	s_nop 0
	v_addc_co_u32_e32 v5, vcc, 0, v3, vcc
	v_add_co_u32_e32 v6, vcc, 0x2000, v2
	s_nop 1
	v_addc_co_u32_e32 v7, vcc, 0, v3, vcc
	v_add_co_u32_e32 v8, vcc, 0x3000, v2
	s_nop 1
	v_addc_co_u32_e32 v9, vcc, 0, v3, vcc
	flat_load_dword v1, v[2:3]
	flat_load_dword v10, v[2:3] offset:2048
	flat_load_dword v11, v[4:5]
	flat_load_dword v12, v[4:5] offset:2048
	;; [unrolled: 2-line block ×4, first 2 shown]
	v_add_co_u32_e32 v4, vcc, 0x4000, v2
	s_nop 1
	v_addc_co_u32_e32 v5, vcc, 0, v3, vcc
	v_add_co_u32_e32 v6, vcc, 0x5000, v2
	s_nop 1
	v_addc_co_u32_e32 v7, vcc, 0, v3, vcc
	;; [unrolled: 3-line block ×4, first 2 shown]
	flat_load_dword v17, v[4:5]
	flat_load_dword v23, v[4:5] offset:2048
	flat_load_dword v26, v[6:7]
	flat_load_dword v27, v[6:7] offset:2048
	;; [unrolled: 2-line block ×3, first 2 shown]
	flat_load_dword v30, v[2:3]
	s_waitcnt vmcnt(0) lgkmcnt(0)
	ds_write2st64_b32 v22, v1, v10 offset1:8
	ds_write2st64_b32 v22, v11, v12 offset0:16 offset1:24
	ds_write2st64_b32 v22, v13, v14 offset0:32 offset1:40
	;; [unrolled: 1-line block ×6, first 2 shown]
	ds_write_b32 v22, v30 offset:28672
	s_waitcnt lgkmcnt(0)
	s_barrier
.LBB113_6:
	s_andn2_b64 vcc, exec, s[0:1]
	v_cmp_gt_u32_e64 s[0:1], s33, v0
	s_cbranch_vccnz .LBB113_38
; %bb.7:
                                        ; implicit-def: $vgpr2_vgpr3_vgpr4_vgpr5_vgpr6_vgpr7_vgpr8_vgpr9_vgpr10_vgpr11_vgpr12_vgpr13_vgpr14_vgpr15_vgpr16_vgpr17
	s_and_saveexec_b64 s[2:3], s[0:1]
	s_cbranch_execz .LBB113_9
; %bb.8:
	v_mov_b32_e32 v23, 0
	v_lshl_add_u64 v[2:3], v[24:25], 0, v[22:23]
	flat_load_dword v2, v[2:3]
.LBB113_9:
	s_or_b64 exec, exec, s[2:3]
	v_or_b32_e32 v1, 0x200, v0
	v_cmp_gt_u32_e32 vcc, s33, v1
	s_and_saveexec_b64 s[0:1], vcc
	s_cbranch_execz .LBB113_11
; %bb.10:
	v_mov_b32_e32 v23, 0
	v_lshl_add_u64 v[26:27], v[24:25], 0, v[22:23]
	flat_load_dword v3, v[26:27] offset:2048
.LBB113_11:
	s_or_b64 exec, exec, s[0:1]
	v_or_b32_e32 v1, 0x400, v0
	v_cmp_gt_u32_e32 vcc, s33, v1
	s_and_saveexec_b64 s[0:1], vcc
	s_cbranch_execz .LBB113_13
; %bb.12:
	v_lshlrev_b32_e32 v26, 2, v1
	v_mov_b32_e32 v27, 0
	v_lshl_add_u64 v[26:27], v[24:25], 0, v[26:27]
	flat_load_dword v4, v[26:27]
.LBB113_13:
	s_or_b64 exec, exec, s[0:1]
	v_or_b32_e32 v1, 0x600, v0
	v_cmp_gt_u32_e32 vcc, s33, v1
	s_and_saveexec_b64 s[0:1], vcc
	s_cbranch_execz .LBB113_15
; %bb.14:
	v_lshlrev_b32_e32 v26, 2, v1
	v_mov_b32_e32 v27, 0
	v_lshl_add_u64 v[26:27], v[24:25], 0, v[26:27]
	flat_load_dword v5, v[26:27]
.LBB113_15:
	;; [unrolled: 11-line block ×13, first 2 shown]
	s_or_b64 exec, exec, s[0:1]
	s_waitcnt vmcnt(0) lgkmcnt(0)
	ds_write2st64_b32 v22, v2, v3 offset1:8
	ds_write2st64_b32 v22, v4, v5 offset0:16 offset1:24
	ds_write2st64_b32 v22, v6, v7 offset0:32 offset1:40
	;; [unrolled: 1-line block ×6, first 2 shown]
	ds_write_b32 v22, v16 offset:28672
	s_waitcnt lgkmcnt(0)
	s_barrier
.LBB113_38:
	v_mul_u32_u24_e32 v41, 15, v0
	v_lshlrev_b32_e32 v1, 2, v41
	ds_read2_b32 v[38:39], v1 offset1:1
	ds_read2_b32 v[36:37], v1 offset0:2 offset1:3
	ds_read2_b32 v[34:35], v1 offset0:4 offset1:5
	;; [unrolled: 1-line block ×6, first 2 shown]
	ds_read_b32 v1, v1 offset:56
	v_cndmask_b32_e64 v2, 0, 1, s[4:5]
	v_cmp_ne_u32_e64 s[2:3], 1, v2
	s_andn2_b64 vcc, exec, s[4:5]
	s_waitcnt lgkmcnt(7)
	v_xor_b32_e32 v16, -1, v38
	v_xor_b32_e32 v15, -1, v39
	s_waitcnt lgkmcnt(6)
	v_xor_b32_e32 v14, -1, v36
	v_xor_b32_e32 v13, -1, v37
	;; [unrolled: 3-line block ×7, first 2 shown]
	s_waitcnt lgkmcnt(0)
	v_xor_b32_e32 v2, -1, v1
	s_barrier
	s_cbranch_vccnz .LBB113_40
; %bb.39:
	v_and_b32_e32 v54, 1, v16
	v_and_b32_e32 v53, 1, v15
	;; [unrolled: 1-line block ×15, first 2 shown]
	s_cbranch_execz .LBB113_41
	s_branch .LBB113_42
.LBB113_40:
                                        ; implicit-def: $vgpr23
                                        ; implicit-def: $vgpr40
                                        ; implicit-def: $vgpr42
                                        ; implicit-def: $vgpr43
                                        ; implicit-def: $vgpr44
                                        ; implicit-def: $vgpr45
                                        ; implicit-def: $vgpr46
                                        ; implicit-def: $vgpr47
                                        ; implicit-def: $vgpr48
                                        ; implicit-def: $vgpr54
                                        ; implicit-def: $vgpr53
                                        ; implicit-def: $vgpr52
                                        ; implicit-def: $vgpr51
                                        ; implicit-def: $vgpr50
                                        ; implicit-def: $vgpr49
.LBB113_41:
	v_add_u32_e32 v48, 1, v41
	v_cmp_gt_u32_e32 vcc, s33, v41
	v_add_u32_e32 v17, 2, v41
	v_add_u32_e32 v47, 3, v41
	v_cndmask_b32_e64 v49, 0, 1, vcc
	v_cmp_gt_u32_e32 vcc, s33, v48
	v_and_b32_e32 v54, v49, v16
	v_add_u32_e32 v23, 4, v41
	v_cndmask_b32_e64 v16, 0, 1, vcc
	v_cmp_gt_u32_e32 vcc, s33, v17
	v_and_b32_e32 v53, v16, v15
	;; [unrolled: 4-line block ×12, first 2 shown]
	s_nop 0
	v_cndmask_b32_e64 v5, 0, 1, vcc
	v_cmp_gt_u32_e32 vcc, s33, v56
	v_and_b32_e32 v42, v5, v4
	s_nop 0
	v_cndmask_b32_e64 v4, 0, 1, vcc
	v_cmp_gt_u32_e32 vcc, s33, v55
	v_and_b32_e32 v40, v4, v3
	s_nop 0
	v_cndmask_b32_e64 v3, 0, 1, vcc
	v_and_b32_e32 v23, v3, v2
.LBB113_42:
	v_and_b32_e32 v59, 0xff, v51
	v_and_b32_e32 v60, 0xff, v50
	;; [unrolled: 1-line block ×5, first 2 shown]
	v_add3_u32 v3, v60, v61, v59
	v_and_b32_e32 v55, 0xff, v54
	v_and_b32_e32 v62, 0xff, v48
	v_add3_u32 v3, v3, v58, v57
	v_and_b32_e32 v63, 0xff, v47
	v_and_b32_e32 v64, 0xff, v46
	;; [unrolled: 3-line block ×5, first 2 shown]
	v_add3_u32 v3, v3, v67, v68
	v_add3_u32 v72, v3, v69, v2
	v_mbcnt_lo_u32_b32 v2, -1, 0
	v_mbcnt_hi_u32_b32 v70, -1, v2
	v_and_b32_e32 v2, 15, v70
	v_cmp_eq_u32_e64 s[16:17], 0, v2
	v_cmp_lt_u32_e64 s[14:15], 1, v2
	v_cmp_lt_u32_e64 s[12:13], 3, v2
	;; [unrolled: 1-line block ×3, first 2 shown]
	v_and_b32_e32 v2, 16, v70
	v_cmp_eq_u32_e64 s[8:9], 0, v2
	v_or_b32_e32 v2, 63, v0
	s_cmp_lg_u32 s40, 0
	v_cmp_lt_u32_e64 s[4:5], 31, v70
	v_lshrrev_b32_e32 v71, 6, v0
	v_cmp_eq_u32_e64 s[6:7], v2, v0
	s_cbranch_scc0 .LBB113_69
; %bb.43:
	v_mov_b32_dpp v2, v72 row_shr:1 row_mask:0xf bank_mask:0xf
	v_cndmask_b32_e64 v2, v2, 0, s[16:17]
	v_add_u32_e32 v2, v2, v72
	s_nop 1
	v_mov_b32_dpp v3, v2 row_shr:2 row_mask:0xf bank_mask:0xf
	v_cndmask_b32_e64 v3, 0, v3, s[14:15]
	v_add_u32_e32 v2, v2, v3
	s_nop 1
	;; [unrolled: 4-line block ×4, first 2 shown]
	v_mov_b32_dpp v3, v2 row_bcast:15 row_mask:0xf bank_mask:0xf
	v_cndmask_b32_e64 v3, v3, 0, s[8:9]
	v_add_u32_e32 v2, v2, v3
	s_nop 1
	v_mov_b32_dpp v3, v2 row_bcast:31 row_mask:0xf bank_mask:0xf
	v_cndmask_b32_e64 v3, 0, v3, s[4:5]
	v_add_u32_e32 v2, v2, v3
	s_and_saveexec_b64 s[0:1], s[6:7]
	s_cbranch_execz .LBB113_45
; %bb.44:
	v_lshlrev_b32_e32 v3, 2, v71
	ds_write_b32 v3, v2
.LBB113_45:
	s_or_b64 exec, exec, s[0:1]
	v_cmp_gt_u32_e32 vcc, 8, v0
	s_waitcnt lgkmcnt(0)
	s_barrier
	s_and_saveexec_b64 s[0:1], vcc
	s_cbranch_execz .LBB113_47
; %bb.46:
	ds_read_b32 v3, v22
	v_and_b32_e32 v4, 7, v70
	v_cmp_ne_u32_e32 vcc, 0, v4
	s_waitcnt lgkmcnt(0)
	v_mov_b32_dpp v5, v3 row_shr:1 row_mask:0xf bank_mask:0xf
	v_cndmask_b32_e32 v5, 0, v5, vcc
	v_add_u32_e32 v3, v5, v3
	v_cmp_lt_u32_e32 vcc, 1, v4
	s_nop 0
	v_mov_b32_dpp v5, v3 row_shr:2 row_mask:0xf bank_mask:0xf
	v_cndmask_b32_e32 v5, 0, v5, vcc
	v_add_u32_e32 v3, v3, v5
	v_cmp_lt_u32_e32 vcc, 3, v4
	s_nop 0
	v_mov_b32_dpp v5, v3 row_shr:4 row_mask:0xf bank_mask:0xf
	v_cndmask_b32_e32 v4, 0, v5, vcc
	v_add_u32_e32 v3, v3, v4
	ds_write_b32 v22, v3
.LBB113_47:
	s_or_b64 exec, exec, s[0:1]
	v_cmp_gt_u32_e32 vcc, 64, v0
	v_cmp_lt_u32_e64 s[0:1], 63, v0
	s_waitcnt lgkmcnt(0)
	s_barrier
	s_waitcnt lgkmcnt(0)
                                        ; implicit-def: $vgpr12
	s_and_saveexec_b64 s[18:19], s[0:1]
	s_cbranch_execz .LBB113_49
; %bb.48:
	v_lshl_add_u32 v3, v71, 2, -4
	ds_read_b32 v12, v3
	s_waitcnt lgkmcnt(0)
	v_add_u32_e32 v2, v12, v2
.LBB113_49:
	s_or_b64 exec, exec, s[18:19]
	v_add_u32_e32 v3, -1, v70
	v_and_b32_e32 v4, 64, v70
	v_cmp_lt_i32_e64 s[0:1], v3, v4
	v_cmp_eq_u32_e64 s[18:19], 0, v70
	s_nop 0
	v_cndmask_b32_e64 v3, v3, v70, s[0:1]
	v_lshlrev_b32_e32 v3, 2, v3
	ds_bpermute_b32 v13, v3, v2
	s_and_saveexec_b64 s[0:1], vcc
	s_cbranch_execz .LBB113_68
; %bb.50:
	v_mov_b32_e32 v9, 0
	ds_read_b32 v2, v9 offset:28
	s_and_saveexec_b64 s[28:29], s[18:19]
	s_cbranch_execz .LBB113_52
; %bb.51:
	s_add_i32 s38, s40, 64
	s_mov_b32 s39, 0
	s_lshl_b64 s[38:39], s[38:39], 3
	s_add_u32 s38, s36, s38
	v_mov_b32_e32 v3, 1
	s_addc_u32 s39, s37, s39
	s_waitcnt lgkmcnt(0)
	global_store_dwordx2 v9, v[2:3], s[38:39] sc1
.LBB113_52:
	s_or_b64 exec, exec, s[28:29]
	v_xad_u32 v4, v70, -1, s40
	v_add_u32_e32 v8, 64, v4
	v_lshl_add_u64 v[10:11], v[8:9], 3, s[36:37]
	global_load_dwordx2 v[6:7], v[10:11], off sc1
	s_waitcnt vmcnt(0)
	v_cmp_eq_u16_sdwa s[38:39], v7, v9 src0_sel:BYTE_0 src1_sel:DWORD
	s_and_saveexec_b64 s[28:29], s[38:39]
	s_cbranch_execz .LBB113_56
; %bb.53:
	s_mov_b64 s[38:39], 0
	v_mov_b32_e32 v3, 0
.LBB113_54:                             ; =>This Inner Loop Header: Depth=1
	global_load_dwordx2 v[6:7], v[10:11], off sc1
	s_waitcnt vmcnt(0)
	v_cmp_ne_u16_sdwa s[42:43], v7, v3 src0_sel:BYTE_0 src1_sel:DWORD
	s_or_b64 s[38:39], s[42:43], s[38:39]
	s_andn2_b64 exec, exec, s[38:39]
	s_cbranch_execnz .LBB113_54
; %bb.55:
	s_or_b64 exec, exec, s[38:39]
.LBB113_56:
	s_or_b64 exec, exec, s[28:29]
	v_and_b32_e32 v15, 63, v70
	v_mov_b32_e32 v14, 2
	v_cmp_ne_u32_e32 vcc, 63, v15
	v_cmp_eq_u16_sdwa s[28:29], v7, v14 src0_sel:BYTE_0 src1_sel:DWORD
	v_lshlrev_b64 v[8:9], v70, -1
	v_addc_co_u32_e32 v10, vcc, 0, v70, vcc
	v_and_b32_e32 v3, s29, v9
	v_lshlrev_b32_e32 v16, 2, v10
	v_or_b32_e32 v3, 0x80000000, v3
	ds_bpermute_b32 v10, v16, v6
	v_and_b32_e32 v5, s28, v8
	v_ffbl_b32_e32 v3, v3
	v_add_u32_e32 v3, 32, v3
	v_ffbl_b32_e32 v5, v5
	v_min_u32_e32 v3, v5, v3
	v_cmp_lt_u32_e32 vcc, v15, v3
	v_add_u32_e32 v24, 2, v15
	v_add_u32_e32 v56, 4, v15
	s_waitcnt lgkmcnt(0)
	v_cndmask_b32_e32 v5, 0, v10, vcc
	v_cmp_gt_u32_e32 vcc, 62, v15
	v_add_u32_e32 v5, v5, v6
	v_add_u32_e32 v74, 8, v15
	v_cndmask_b32_e64 v6, 0, 1, vcc
	v_lshlrev_b32_e32 v6, 1, v6
	v_add_lshl_u32 v17, v6, v70, 2
	ds_bpermute_b32 v6, v17, v5
	v_cmp_le_u32_e32 vcc, v24, v3
	v_add_u32_e32 v76, 16, v15
	v_add_u32_e32 v78, 32, v15
	s_waitcnt lgkmcnt(0)
	v_cndmask_b32_e32 v6, 0, v6, vcc
	v_cmp_gt_u32_e32 vcc, 60, v15
	v_add_u32_e32 v5, v5, v6
	s_nop 0
	v_cndmask_b32_e64 v6, 0, 1, vcc
	v_lshlrev_b32_e32 v6, 2, v6
	v_add_lshl_u32 v25, v6, v70, 2
	ds_bpermute_b32 v6, v25, v5
	v_cmp_le_u32_e32 vcc, v56, v3
	s_waitcnt lgkmcnt(0)
	s_nop 0
	v_cndmask_b32_e32 v6, 0, v6, vcc
	v_cmp_gt_u32_e32 vcc, 56, v15
	v_add_u32_e32 v5, v5, v6
	s_nop 0
	v_cndmask_b32_e64 v6, 0, 1, vcc
	v_lshlrev_b32_e32 v6, 3, v6
	v_add_lshl_u32 v73, v6, v70, 2
	ds_bpermute_b32 v6, v73, v5
	v_cmp_le_u32_e32 vcc, v74, v3
	s_waitcnt lgkmcnt(0)
	s_nop 0
	;; [unrolled: 11-line block ×4, first 2 shown]
	v_cndmask_b32_e32 v3, 0, v6, vcc
	v_add_u32_e32 v6, v5, v3
	v_mov_b32_e32 v5, 0
	s_branch .LBB113_58
.LBB113_57:                             ;   in Loop: Header=BB113_58 Depth=1
	s_or_b64 exec, exec, s[28:29]
	v_cmp_eq_u16_sdwa s[28:29], v7, v14 src0_sel:BYTE_0 src1_sel:DWORD
	ds_bpermute_b32 v79, v16, v6
	v_subrev_u32_e32 v4, 64, v4
	v_and_b32_e32 v10, s29, v9
	v_or_b32_e32 v10, 0x80000000, v10
	v_and_b32_e32 v11, s28, v8
	v_ffbl_b32_e32 v10, v10
	v_add_u32_e32 v10, 32, v10
	v_ffbl_b32_e32 v11, v11
	v_min_u32_e32 v10, v11, v10
	v_cmp_lt_u32_e32 vcc, v15, v10
	s_waitcnt lgkmcnt(0)
	s_nop 0
	v_cndmask_b32_e32 v11, 0, v79, vcc
	v_add_u32_e32 v6, v11, v6
	ds_bpermute_b32 v11, v17, v6
	v_cmp_le_u32_e32 vcc, v24, v10
	s_waitcnt lgkmcnt(0)
	s_nop 0
	v_cndmask_b32_e32 v11, 0, v11, vcc
	v_add_u32_e32 v6, v6, v11
	ds_bpermute_b32 v11, v25, v6
	v_cmp_le_u32_e32 vcc, v56, v10
	;; [unrolled: 6-line block ×5, first 2 shown]
	s_waitcnt lgkmcnt(0)
	s_nop 0
	v_cndmask_b32_e32 v10, 0, v11, vcc
	v_add3_u32 v6, v10, v3, v6
.LBB113_58:                             ; =>This Loop Header: Depth=1
                                        ;     Child Loop BB113_61 Depth 2
	v_cmp_ne_u16_sdwa s[28:29], v7, v14 src0_sel:BYTE_0 src1_sel:DWORD
	s_nop 1
	v_cndmask_b32_e64 v3, 0, 1, s[28:29]
	;;#ASMSTART
	;;#ASMEND
	s_nop 0
	v_cmp_ne_u32_e32 vcc, 0, v3
	s_cmp_lg_u64 vcc, exec
	v_mov_b32_e32 v3, v6
	s_cbranch_scc1 .LBB113_63
; %bb.59:                               ;   in Loop: Header=BB113_58 Depth=1
	v_lshl_add_u64 v[10:11], v[4:5], 3, s[36:37]
	global_load_dwordx2 v[6:7], v[10:11], off sc1
	s_waitcnt vmcnt(0)
	v_cmp_eq_u16_sdwa s[38:39], v7, v5 src0_sel:BYTE_0 src1_sel:DWORD
	s_and_saveexec_b64 s[28:29], s[38:39]
	s_cbranch_execz .LBB113_57
; %bb.60:                               ;   in Loop: Header=BB113_58 Depth=1
	s_mov_b64 s[38:39], 0
.LBB113_61:                             ;   Parent Loop BB113_58 Depth=1
                                        ; =>  This Inner Loop Header: Depth=2
	global_load_dwordx2 v[6:7], v[10:11], off sc1
	s_waitcnt vmcnt(0)
	v_cmp_ne_u16_sdwa s[42:43], v7, v5 src0_sel:BYTE_0 src1_sel:DWORD
	s_or_b64 s[38:39], s[42:43], s[38:39]
	s_andn2_b64 exec, exec, s[38:39]
	s_cbranch_execnz .LBB113_61
; %bb.62:                               ;   in Loop: Header=BB113_58 Depth=1
	s_or_b64 exec, exec, s[38:39]
	s_branch .LBB113_57
.LBB113_63:                             ;   in Loop: Header=BB113_58 Depth=1
                                        ; implicit-def: $vgpr6
                                        ; implicit-def: $vgpr7
	s_cbranch_execz .LBB113_58
; %bb.64:
	s_and_saveexec_b64 s[28:29], s[18:19]
	s_cbranch_execz .LBB113_66
; %bb.65:
	s_add_i32 s38, s40, 64
	s_mov_b32 s39, 0
	s_lshl_b64 s[38:39], s[38:39], 3
	s_add_u32 s38, s36, s38
	v_add_u32_e32 v4, v3, v2
	v_mov_b32_e32 v5, 2
	s_addc_u32 s39, s37, s39
	v_mov_b32_e32 v6, 0
	global_store_dwordx2 v6, v[4:5], s[38:39] sc1
	ds_write_b64 v6, v[2:3] offset:30720
.LBB113_66:
	s_or_b64 exec, exec, s[28:29]
	s_and_b64 exec, exec, s[20:21]
	s_cbranch_execz .LBB113_68
; %bb.67:
	v_mov_b32_e32 v2, 0
	ds_write_b32 v2, v3 offset:28
.LBB113_68:
	s_or_b64 exec, exec, s[0:1]
	v_mov_b32_e32 v14, 0
	s_waitcnt lgkmcnt(0)
	s_barrier
	ds_read_b32 v2, v14 offset:28
	v_cndmask_b32_e64 v3, v13, v12, s[18:19]
	v_cndmask_b32_e64 v3, v3, 0, s[20:21]
	s_waitcnt lgkmcnt(0)
	s_barrier
	v_add_u32_e32 v2, v2, v3
	v_add_u32_e32 v3, v2, v55
	;; [unrolled: 1-line block ×10, first 2 shown]
	ds_read_b64 v[24:25], v14 offset:30720
	v_add_u32_e32 v12, v11, v65
	v_add_u32_e32 v13, v12, v66
	;; [unrolled: 1-line block ×5, first 2 shown]
	s_waitcnt lgkmcnt(0)
	v_mov_b32_e32 v56, v25
	s_branch .LBB113_79
.LBB113_69:
                                        ; implicit-def: $vgpr56
                                        ; implicit-def: $vgpr24
                                        ; implicit-def: $vgpr2_vgpr3_vgpr4_vgpr5_vgpr6_vgpr7_vgpr8_vgpr9_vgpr10_vgpr11_vgpr12_vgpr13_vgpr14_vgpr15_vgpr16_vgpr17
	s_cbranch_execz .LBB113_79
; %bb.70:
	s_nop 0
	v_mov_b32_dpp v2, v72 row_shr:1 row_mask:0xf bank_mask:0xf
	v_cndmask_b32_e64 v2, v2, 0, s[16:17]
	v_add_u32_e32 v2, v2, v72
	s_nop 1
	v_mov_b32_dpp v3, v2 row_shr:2 row_mask:0xf bank_mask:0xf
	v_cndmask_b32_e64 v3, 0, v3, s[14:15]
	v_add_u32_e32 v2, v2, v3
	;; [unrolled: 4-line block ×4, first 2 shown]
	s_nop 1
	v_mov_b32_dpp v3, v2 row_bcast:15 row_mask:0xf bank_mask:0xf
	v_cndmask_b32_e64 v3, v3, 0, s[8:9]
	v_add_u32_e32 v2, v2, v3
	s_nop 1
	v_mov_b32_dpp v3, v2 row_bcast:31 row_mask:0xf bank_mask:0xf
	v_cndmask_b32_e64 v3, 0, v3, s[4:5]
	v_add_u32_e32 v2, v2, v3
	s_and_saveexec_b64 s[0:1], s[6:7]
	s_cbranch_execz .LBB113_72
; %bb.71:
	v_lshlrev_b32_e32 v3, 2, v71
	ds_write_b32 v3, v2
.LBB113_72:
	s_or_b64 exec, exec, s[0:1]
	v_cmp_gt_u32_e32 vcc, 8, v0
	s_waitcnt lgkmcnt(0)
	s_barrier
	s_and_saveexec_b64 s[0:1], vcc
	s_cbranch_execz .LBB113_74
; %bb.73:
	ds_read_b32 v3, v22
	v_and_b32_e32 v4, 7, v70
	v_cmp_ne_u32_e32 vcc, 0, v4
	s_waitcnt lgkmcnt(0)
	v_mov_b32_dpp v5, v3 row_shr:1 row_mask:0xf bank_mask:0xf
	v_cndmask_b32_e32 v5, 0, v5, vcc
	v_add_u32_e32 v3, v5, v3
	v_cmp_lt_u32_e32 vcc, 1, v4
	s_nop 0
	v_mov_b32_dpp v5, v3 row_shr:2 row_mask:0xf bank_mask:0xf
	v_cndmask_b32_e32 v5, 0, v5, vcc
	v_add_u32_e32 v3, v3, v5
	v_cmp_lt_u32_e32 vcc, 3, v4
	s_nop 0
	v_mov_b32_dpp v5, v3 row_shr:4 row_mask:0xf bank_mask:0xf
	v_cndmask_b32_e32 v4, 0, v5, vcc
	v_add_u32_e32 v3, v3, v4
	ds_write_b32 v22, v3
.LBB113_74:
	s_or_b64 exec, exec, s[0:1]
	v_cmp_lt_u32_e32 vcc, 63, v0
	v_mov_b32_e32 v4, 0
	v_mov_b32_e32 v3, 0
	s_waitcnt lgkmcnt(0)
	s_barrier
	s_and_saveexec_b64 s[0:1], vcc
	s_cbranch_execz .LBB113_76
; %bb.75:
	v_lshl_add_u32 v3, v71, 2, -4
	ds_read_b32 v3, v3
.LBB113_76:
	s_or_b64 exec, exec, s[0:1]
	v_add_u32_e32 v5, -1, v70
	v_and_b32_e32 v6, 64, v70
	v_cmp_lt_i32_e32 vcc, v5, v6
	s_waitcnt lgkmcnt(0)
	v_add_u32_e32 v2, v3, v2
	ds_read_b32 v24, v4 offset:28
	v_cndmask_b32_e32 v5, v5, v70, vcc
	v_lshlrev_b32_e32 v5, 2, v5
	ds_bpermute_b32 v2, v5, v2
	s_and_saveexec_b64 s[0:1], s[20:21]
	s_cbranch_execz .LBB113_78
; %bb.77:
	v_mov_b32_e32 v4, 0
	v_mov_b32_e32 v25, 2
	s_waitcnt lgkmcnt(1)
	global_store_dwordx2 v4, v[24:25], s[36:37] offset:512 sc1
.LBB113_78:
	s_or_b64 exec, exec, s[0:1]
	v_cmp_eq_u32_e32 vcc, 0, v70
	v_mov_b32_e32 v56, 0
	s_waitcnt lgkmcnt(0)
	v_cndmask_b32_e32 v2, v2, v3, vcc
	v_cndmask_b32_e64 v2, v2, 0, s[20:21]
	v_add_u32_e32 v3, v2, v55
	v_add_u32_e32 v4, v3, v57
	;; [unrolled: 1-line block ×14, first 2 shown]
	s_barrier
.LBB113_79:
	v_add_u32_e32 v17, v24, v41
	v_sub_u32_e32 v2, v2, v56
	v_and_b32_e32 v41, 1, v54
	v_sub_u32_e32 v25, v17, v2
	v_cmp_eq_u32_e32 vcc, 1, v41
	v_or_b32_e32 v54, 0x200, v0
	s_nop 0
	v_cndmask_b32_e32 v2, v25, v2, vcc
	v_lshlrev_b32_e32 v2, 2, v2
	ds_write_b32 v2, v38
	v_sub_u32_e32 v2, v3, v56
	v_sub_u32_e32 v3, v17, v2
	v_and_b32_e32 v25, 1, v53
	v_add_u32_e32 v3, 1, v3
	v_cmp_eq_u32_e32 vcc, 1, v25
	v_or_b32_e32 v38, 0xc00, v0
	s_nop 0
	v_cndmask_b32_e32 v2, v3, v2, vcc
	v_lshlrev_b32_e32 v2, 2, v2
	ds_write_b32 v2, v39
	v_sub_u32_e32 v2, v4, v56
	v_sub_u32_e32 v3, v17, v2
	v_and_b32_e32 v4, 1, v52
	v_add_u32_e32 v3, 2, v3
	v_cmp_eq_u32_e32 vcc, 1, v4
	v_and_b32_e32 v4, 1, v51
	s_nop 0
	v_cndmask_b32_e32 v2, v3, v2, vcc
	v_lshlrev_b32_e32 v2, 2, v2
	ds_write_b32 v2, v36
	v_sub_u32_e32 v2, v5, v56
	v_sub_u32_e32 v3, v17, v2
	v_add_u32_e32 v3, 3, v3
	v_cmp_eq_u32_e32 vcc, 1, v4
	v_and_b32_e32 v4, 1, v50
	v_or_b32_e32 v50, 0x400, v0
	v_cndmask_b32_e32 v2, v3, v2, vcc
	v_lshlrev_b32_e32 v2, 2, v2
	ds_write_b32 v2, v37
	v_sub_u32_e32 v2, v6, v56
	v_sub_u32_e32 v3, v17, v2
	v_add_u32_e32 v3, 4, v3
	v_cmp_eq_u32_e32 vcc, 1, v4
	v_and_b32_e32 v4, 1, v49
	v_or_b32_e32 v36, 0xe00, v0
	v_cndmask_b32_e32 v2, v3, v2, vcc
	v_lshlrev_b32_e32 v2, 2, v2
	ds_write_b32 v2, v34
	v_sub_u32_e32 v2, v7, v56
	v_sub_u32_e32 v3, v17, v2
	v_add_u32_e32 v3, 5, v3
	v_cmp_eq_u32_e32 vcc, 1, v4
	v_and_b32_e32 v4, 1, v48
	v_lshl_add_u64 v[6:7], s[30:31], 0, v[18:19]
	v_cndmask_b32_e32 v2, v3, v2, vcc
	v_lshlrev_b32_e32 v2, 2, v2
	ds_write_b32 v2, v35
	v_sub_u32_e32 v2, v8, v56
	v_sub_u32_e32 v3, v17, v2
	v_add_u32_e32 v3, 6, v3
	v_cmp_eq_u32_e32 vcc, 1, v4
	v_and_b32_e32 v4, 1, v47
	v_mov_b32_e32 v18, s35
	v_cndmask_b32_e32 v2, v3, v2, vcc
	v_lshlrev_b32_e32 v2, 2, v2
	ds_write_b32 v2, v32
	v_sub_u32_e32 v2, v9, v56
	v_sub_u32_e32 v3, v17, v2
	v_add_u32_e32 v3, 7, v3
	v_cmp_eq_u32_e32 vcc, 1, v4
	v_and_b32_e32 v4, 1, v46
	v_or_b32_e32 v48, 0x600, v0
	v_cndmask_b32_e32 v2, v3, v2, vcc
	v_lshlrev_b32_e32 v2, 2, v2
	ds_write_b32 v2, v33
	v_sub_u32_e32 v2, v10, v56
	v_sub_u32_e32 v3, v17, v2
	v_add_u32_e32 v3, 8, v3
	v_cmp_eq_u32_e32 vcc, 1, v4
	v_and_b32_e32 v4, 1, v45
	v_or_b32_e32 v32, 0x1000, v0
	;; [unrolled: 9-line block ×7, first 2 shown]
	v_cndmask_b32_e32 v2, v3, v2, vcc
	v_lshlrev_b32_e32 v2, 2, v2
	ds_write_b32 v2, v27
	v_sub_u32_e32 v2, v16, v56
	v_sub_u32_e32 v3, v17, v2
	v_add_u32_e32 v3, 14, v3
	v_cmp_eq_u32_e32 vcc, 1, v4
	v_or_b32_e32 v16, 0x1600, v0
	v_or_b32_e32 v10, 0x1a00, v0
	v_cndmask_b32_e32 v2, v3, v2, vcc
	v_lshlrev_b32_e32 v2, 2, v2
	ds_write_b32 v2, v1
	s_waitcnt lgkmcnt(0)
	s_barrier
	ds_read2st64_b32 v[52:53], v22 offset1:8
	ds_read2st64_b32 v[46:47], v22 offset0:16 offset1:24
	ds_read2st64_b32 v[40:41], v22 offset0:32 offset1:40
	;; [unrolled: 1-line block ×6, first 2 shown]
	ds_read_b32 v22, v22 offset:28672
	v_mov_b32_e32 v1, 0
	v_sub_co_u32_e32 v6, vcc, s34, v6
	v_mov_b32_e32 v57, v1
	v_mov_b32_e32 v25, v1
	v_subb_co_u32_e32 v7, vcc, v18, v7, vcc
	s_waitcnt vmcnt(0)
	v_lshl_add_u64 v[2:3], v[20:21], 0, v[56:57]
	v_lshl_add_u64 v[6:7], v[6:7], 0, v[24:25]
	v_mov_b32_e32 v55, v1
	v_mov_b32_e32 v51, v1
	;; [unrolled: 1-line block ×13, first 2 shown]
	v_or_b32_e32 v4, 0x1c00, v0
	v_mov_b32_e32 v5, v1
	s_and_b64 vcc, exec, s[2:3]
	v_lshl_add_u64 v[6:7], v[6:7], 0, v[2:3]
	s_cbranch_vccnz .LBB113_144
; %bb.80:
	v_cmp_ge_u32_e32 vcc, v0, v24
                                        ; implicit-def: $vgpr18_vgpr19
	s_and_saveexec_b64 s[0:1], vcc
	s_xor_b64 s[0:1], exec, s[0:1]
; %bb.81:
	v_not_b32_e32 v18, v0
	v_ashrrev_i32_e32 v19, 31, v18
	v_lshl_add_u64 v[18:19], v[6:7], 0, v[18:19]
; %bb.82:
	s_andn2_saveexec_b64 s[0:1], s[0:1]
; %bb.83:
	v_lshl_add_u64 v[18:19], v[2:3], 0, v[0:1]
; %bb.84:
	s_or_b64 exec, exec, s[0:1]
	v_lshl_add_u64 v[18:19], v[18:19], 2, s[22:23]
	v_cmp_ge_u32_e32 vcc, v54, v24
	s_waitcnt lgkmcnt(7)
	global_store_dword v[18:19], v52, off
                                        ; implicit-def: $vgpr18_vgpr19
	s_and_saveexec_b64 s[0:1], vcc
	s_xor_b64 s[0:1], exec, s[0:1]
; %bb.85:
	v_xor_b32_e32 v18, 0xfffffdff, v0
	v_ashrrev_i32_e32 v19, 31, v18
	v_lshl_add_u64 v[18:19], v[6:7], 0, v[18:19]
; %bb.86:
	s_andn2_saveexec_b64 s[0:1], s[0:1]
; %bb.87:
	v_lshl_add_u64 v[18:19], v[2:3], 0, v[54:55]
; %bb.88:
	s_or_b64 exec, exec, s[0:1]
	v_lshl_add_u64 v[18:19], v[18:19], 2, s[22:23]
	v_cmp_ge_u32_e32 vcc, v50, v24
	global_store_dword v[18:19], v53, off
                                        ; implicit-def: $vgpr18_vgpr19
	s_and_saveexec_b64 s[0:1], vcc
	s_xor_b64 s[0:1], exec, s[0:1]
; %bb.89:
	v_xor_b32_e32 v18, 0xfffffbff, v0
	v_ashrrev_i32_e32 v19, 31, v18
	v_lshl_add_u64 v[18:19], v[6:7], 0, v[18:19]
; %bb.90:
	s_andn2_saveexec_b64 s[0:1], s[0:1]
; %bb.91:
	v_lshl_add_u64 v[18:19], v[2:3], 0, v[50:51]
; %bb.92:
	s_or_b64 exec, exec, s[0:1]
	v_lshl_add_u64 v[18:19], v[18:19], 2, s[22:23]
	v_cmp_ge_u32_e32 vcc, v48, v24
	s_waitcnt lgkmcnt(6)
	global_store_dword v[18:19], v46, off
                                        ; implicit-def: $vgpr18_vgpr19
	s_and_saveexec_b64 s[0:1], vcc
	s_xor_b64 s[0:1], exec, s[0:1]
; %bb.93:
	v_xor_b32_e32 v18, 0xfffff9ff, v0
	v_ashrrev_i32_e32 v19, 31, v18
	v_lshl_add_u64 v[18:19], v[6:7], 0, v[18:19]
; %bb.94:
	s_andn2_saveexec_b64 s[0:1], s[0:1]
; %bb.95:
	v_lshl_add_u64 v[18:19], v[2:3], 0, v[48:49]
; %bb.96:
	s_or_b64 exec, exec, s[0:1]
	v_lshl_add_u64 v[18:19], v[18:19], 2, s[22:23]
	v_cmp_ge_u32_e32 vcc, v44, v24
	global_store_dword v[18:19], v47, off
                                        ; implicit-def: $vgpr18_vgpr19
	s_and_saveexec_b64 s[0:1], vcc
	s_xor_b64 s[0:1], exec, s[0:1]
; %bb.97:
	v_xor_b32_e32 v18, 0xfffff7ff, v0
	;; [unrolled: 33-line block ×7, first 2 shown]
	v_ashrrev_i32_e32 v19, 31, v18
	v_lshl_add_u64 v[18:19], v[6:7], 0, v[18:19]
; %bb.138:
	s_andn2_saveexec_b64 s[0:1], s[0:1]
; %bb.139:
	v_lshl_add_u64 v[18:19], v[2:3], 0, v[4:5]
; %bb.140:
	s_or_b64 exec, exec, s[0:1]
	s_mov_b64 s[0:1], -1
.LBB113_141:
	s_and_saveexec_b64 s[2:3], s[0:1]
	s_cbranch_execz .LBB113_236
.LBB113_142:
	v_lshl_add_u64 v[0:1], v[18:19], 2, s[22:23]
	s_waitcnt lgkmcnt(0)
	global_store_dword v[0:1], v22, off
	s_or_b64 exec, exec, s[2:3]
	s_and_b64 s[0:1], s[20:21], s[26:27]
	s_and_saveexec_b64 s[2:3], s[0:1]
	s_cbranch_execnz .LBB113_237
.LBB113_143:
	s_endpgm
.LBB113_144:
	s_mov_b64 s[0:1], 0
                                        ; implicit-def: $vgpr18_vgpr19
	s_cbranch_execz .LBB113_141
; %bb.145:
	v_cmp_gt_u32_e32 vcc, s33, v0
	s_and_saveexec_b64 s[2:3], vcc
	s_cbranch_execz .LBB113_187
; %bb.146:
	v_cmp_ge_u32_e32 vcc, v0, v24
                                        ; implicit-def: $vgpr18_vgpr19
	s_and_saveexec_b64 s[4:5], vcc
	s_xor_b64 s[4:5], exec, s[4:5]
; %bb.147:
	v_not_b32_e32 v18, v0
	v_ashrrev_i32_e32 v19, 31, v18
	v_lshl_add_u64 v[18:19], v[6:7], 0, v[18:19]
; %bb.148:
	s_andn2_saveexec_b64 s[4:5], s[4:5]
; %bb.149:
	v_lshl_add_u64 v[18:19], v[2:3], 0, v[0:1]
; %bb.150:
	s_or_b64 exec, exec, s[4:5]
	v_lshl_add_u64 v[18:19], v[18:19], 2, s[22:23]
	s_waitcnt lgkmcnt(7)
	global_store_dword v[18:19], v52, off
	s_or_b64 exec, exec, s[2:3]
	v_cmp_gt_u32_e32 vcc, s33, v54
	s_and_saveexec_b64 s[2:3], vcc
	s_cbranch_execnz .LBB113_188
.LBB113_151:
	s_or_b64 exec, exec, s[2:3]
	v_cmp_gt_u32_e32 vcc, s33, v50
	s_and_saveexec_b64 s[2:3], vcc
	s_cbranch_execz .LBB113_193
.LBB113_152:
	v_cmp_ge_u32_e32 vcc, v50, v24
                                        ; implicit-def: $vgpr18_vgpr19
	s_and_saveexec_b64 s[4:5], vcc
	s_xor_b64 s[4:5], exec, s[4:5]
; %bb.153:
	v_xor_b32_e32 v18, 0xfffffbff, v0
	v_ashrrev_i32_e32 v19, 31, v18
	v_lshl_add_u64 v[18:19], v[6:7], 0, v[18:19]
                                        ; implicit-def: $vgpr50_vgpr51
; %bb.154:
	s_andn2_saveexec_b64 s[4:5], s[4:5]
; %bb.155:
	v_lshl_add_u64 v[18:19], v[2:3], 0, v[50:51]
; %bb.156:
	s_or_b64 exec, exec, s[4:5]
	v_lshl_add_u64 v[18:19], v[18:19], 2, s[22:23]
	s_waitcnt lgkmcnt(6)
	global_store_dword v[18:19], v46, off
	s_or_b64 exec, exec, s[2:3]
	v_cmp_gt_u32_e32 vcc, s33, v48
	s_and_saveexec_b64 s[2:3], vcc
	s_cbranch_execnz .LBB113_194
.LBB113_157:
	s_or_b64 exec, exec, s[2:3]
	v_cmp_gt_u32_e32 vcc, s33, v44
	s_and_saveexec_b64 s[2:3], vcc
	s_cbranch_execz .LBB113_199
.LBB113_158:
	v_cmp_ge_u32_e32 vcc, v44, v24
                                        ; implicit-def: $vgpr18_vgpr19
	s_and_saveexec_b64 s[4:5], vcc
	s_xor_b64 s[4:5], exec, s[4:5]
; %bb.159:
	v_xor_b32_e32 v18, 0xfffff7ff, v0
	v_ashrrev_i32_e32 v19, 31, v18
	v_lshl_add_u64 v[18:19], v[6:7], 0, v[18:19]
                                        ; implicit-def: $vgpr44_vgpr45
; %bb.160:
	s_andn2_saveexec_b64 s[4:5], s[4:5]
; %bb.161:
	v_lshl_add_u64 v[18:19], v[2:3], 0, v[44:45]
; %bb.162:
	s_or_b64 exec, exec, s[4:5]
	v_lshl_add_u64 v[18:19], v[18:19], 2, s[22:23]
	s_waitcnt lgkmcnt(5)
	global_store_dword v[18:19], v40, off
	s_or_b64 exec, exec, s[2:3]
	v_cmp_gt_u32_e32 vcc, s33, v42
	s_and_saveexec_b64 s[2:3], vcc
	s_cbranch_execnz .LBB113_200
.LBB113_163:
	s_or_b64 exec, exec, s[2:3]
	v_cmp_gt_u32_e32 vcc, s33, v38
	s_and_saveexec_b64 s[2:3], vcc
	s_cbranch_execz .LBB113_205
.LBB113_164:
	v_cmp_ge_u32_e32 vcc, v38, v24
                                        ; implicit-def: $vgpr18_vgpr19
	s_and_saveexec_b64 s[4:5], vcc
	s_xor_b64 s[4:5], exec, s[4:5]
; %bb.165:
	v_xor_b32_e32 v18, 0xfffff3ff, v0
	v_ashrrev_i32_e32 v19, 31, v18
	v_lshl_add_u64 v[18:19], v[6:7], 0, v[18:19]
                                        ; implicit-def: $vgpr38_vgpr39
; %bb.166:
	s_andn2_saveexec_b64 s[4:5], s[4:5]
; %bb.167:
	v_lshl_add_u64 v[18:19], v[2:3], 0, v[38:39]
; %bb.168:
	s_or_b64 exec, exec, s[4:5]
	v_lshl_add_u64 v[18:19], v[18:19], 2, s[22:23]
	s_waitcnt lgkmcnt(4)
	global_store_dword v[18:19], v34, off
	s_or_b64 exec, exec, s[2:3]
	v_cmp_gt_u32_e32 vcc, s33, v36
	s_and_saveexec_b64 s[2:3], vcc
	s_cbranch_execnz .LBB113_206
.LBB113_169:
	s_or_b64 exec, exec, s[2:3]
	v_cmp_gt_u32_e32 vcc, s33, v32
	s_and_saveexec_b64 s[2:3], vcc
	s_cbranch_execz .LBB113_211
.LBB113_170:
	v_cmp_ge_u32_e32 vcc, v32, v24
                                        ; implicit-def: $vgpr18_vgpr19
	s_and_saveexec_b64 s[4:5], vcc
	s_xor_b64 s[4:5], exec, s[4:5]
; %bb.171:
	v_xor_b32_e32 v18, 0xffffefff, v0
	v_ashrrev_i32_e32 v19, 31, v18
	v_lshl_add_u64 v[18:19], v[6:7], 0, v[18:19]
                                        ; implicit-def: $vgpr32_vgpr33
; %bb.172:
	s_andn2_saveexec_b64 s[4:5], s[4:5]
; %bb.173:
	v_lshl_add_u64 v[18:19], v[2:3], 0, v[32:33]
; %bb.174:
	s_or_b64 exec, exec, s[4:5]
	v_lshl_add_u64 v[18:19], v[18:19], 2, s[22:23]
	s_waitcnt lgkmcnt(3)
	global_store_dword v[18:19], v28, off
	s_or_b64 exec, exec, s[2:3]
	v_cmp_gt_u32_e32 vcc, s33, v30
	s_and_saveexec_b64 s[2:3], vcc
	s_cbranch_execnz .LBB113_212
.LBB113_175:
	s_or_b64 exec, exec, s[2:3]
	v_cmp_gt_u32_e32 vcc, s33, v26
	s_and_saveexec_b64 s[2:3], vcc
	s_cbranch_execz .LBB113_217
.LBB113_176:
	v_cmp_ge_u32_e32 vcc, v26, v24
                                        ; implicit-def: $vgpr18_vgpr19
	s_and_saveexec_b64 s[4:5], vcc
	s_xor_b64 s[4:5], exec, s[4:5]
; %bb.177:
	v_xor_b32_e32 v18, 0xffffebff, v0
	v_ashrrev_i32_e32 v19, 31, v18
	v_lshl_add_u64 v[18:19], v[6:7], 0, v[18:19]
                                        ; implicit-def: $vgpr26_vgpr27
; %bb.178:
	s_andn2_saveexec_b64 s[4:5], s[4:5]
; %bb.179:
	v_lshl_add_u64 v[18:19], v[2:3], 0, v[26:27]
; %bb.180:
	s_or_b64 exec, exec, s[4:5]
	v_lshl_add_u64 v[18:19], v[18:19], 2, s[22:23]
	s_waitcnt lgkmcnt(2)
	global_store_dword v[18:19], v14, off
	s_or_b64 exec, exec, s[2:3]
	v_cmp_gt_u32_e32 vcc, s33, v16
	s_and_saveexec_b64 s[2:3], vcc
	s_cbranch_execnz .LBB113_218
.LBB113_181:
	s_or_b64 exec, exec, s[2:3]
	v_cmp_gt_u32_e32 vcc, s33, v12
	s_and_saveexec_b64 s[2:3], vcc
	s_cbranch_execz .LBB113_223
.LBB113_182:
	v_cmp_ge_u32_e32 vcc, v12, v24
                                        ; implicit-def: $vgpr14_vgpr15
	s_and_saveexec_b64 s[4:5], vcc
	s_xor_b64 s[4:5], exec, s[4:5]
	s_cbranch_execz .LBB113_184
; %bb.183:
	v_xor_b32_e32 v12, 0xffffe7ff, v0
	v_ashrrev_i32_e32 v13, 31, v12
	s_waitcnt lgkmcnt(2)
	v_lshl_add_u64 v[14:15], v[6:7], 0, v[12:13]
                                        ; implicit-def: $vgpr12_vgpr13
.LBB113_184:
	s_andn2_saveexec_b64 s[4:5], s[4:5]
	s_cbranch_execz .LBB113_186
; %bb.185:
	s_waitcnt lgkmcnt(2)
	v_lshl_add_u64 v[14:15], v[2:3], 0, v[12:13]
.LBB113_186:
	s_or_b64 exec, exec, s[4:5]
	s_waitcnt lgkmcnt(2)
	v_lshl_add_u64 v[12:13], v[14:15], 2, s[22:23]
	s_waitcnt lgkmcnt(1)
	global_store_dword v[12:13], v8, off
	s_or_b64 exec, exec, s[2:3]
	v_cmp_gt_u32_e32 vcc, s33, v10
	s_and_saveexec_b64 s[2:3], vcc
	s_cbranch_execz .LBB113_229
	s_branch .LBB113_224
.LBB113_187:
	s_or_b64 exec, exec, s[2:3]
	v_cmp_gt_u32_e32 vcc, s33, v54
	s_and_saveexec_b64 s[2:3], vcc
	s_cbranch_execz .LBB113_151
.LBB113_188:
	v_cmp_ge_u32_e32 vcc, v54, v24
                                        ; implicit-def: $vgpr18_vgpr19
	s_and_saveexec_b64 s[4:5], vcc
	s_xor_b64 s[4:5], exec, s[4:5]
; %bb.189:
	v_xor_b32_e32 v18, 0xfffffdff, v0
	v_ashrrev_i32_e32 v19, 31, v18
	v_lshl_add_u64 v[18:19], v[6:7], 0, v[18:19]
                                        ; implicit-def: $vgpr54_vgpr55
; %bb.190:
	s_andn2_saveexec_b64 s[4:5], s[4:5]
; %bb.191:
	v_lshl_add_u64 v[18:19], v[2:3], 0, v[54:55]
; %bb.192:
	s_or_b64 exec, exec, s[4:5]
	v_lshl_add_u64 v[18:19], v[18:19], 2, s[22:23]
	s_waitcnt lgkmcnt(7)
	global_store_dword v[18:19], v53, off
	s_or_b64 exec, exec, s[2:3]
	v_cmp_gt_u32_e32 vcc, s33, v50
	s_and_saveexec_b64 s[2:3], vcc
	s_cbranch_execnz .LBB113_152
.LBB113_193:
	s_or_b64 exec, exec, s[2:3]
	v_cmp_gt_u32_e32 vcc, s33, v48
	s_and_saveexec_b64 s[2:3], vcc
	s_cbranch_execz .LBB113_157
.LBB113_194:
	v_cmp_ge_u32_e32 vcc, v48, v24
                                        ; implicit-def: $vgpr18_vgpr19
	s_and_saveexec_b64 s[4:5], vcc
	s_xor_b64 s[4:5], exec, s[4:5]
; %bb.195:
	v_xor_b32_e32 v18, 0xfffff9ff, v0
	v_ashrrev_i32_e32 v19, 31, v18
	v_lshl_add_u64 v[18:19], v[6:7], 0, v[18:19]
                                        ; implicit-def: $vgpr48_vgpr49
; %bb.196:
	s_andn2_saveexec_b64 s[4:5], s[4:5]
; %bb.197:
	v_lshl_add_u64 v[18:19], v[2:3], 0, v[48:49]
; %bb.198:
	s_or_b64 exec, exec, s[4:5]
	v_lshl_add_u64 v[18:19], v[18:19], 2, s[22:23]
	s_waitcnt lgkmcnt(6)
	global_store_dword v[18:19], v47, off
	s_or_b64 exec, exec, s[2:3]
	v_cmp_gt_u32_e32 vcc, s33, v44
	s_and_saveexec_b64 s[2:3], vcc
	s_cbranch_execnz .LBB113_158
.LBB113_199:
	s_or_b64 exec, exec, s[2:3]
	v_cmp_gt_u32_e32 vcc, s33, v42
	s_and_saveexec_b64 s[2:3], vcc
	s_cbranch_execz .LBB113_163
.LBB113_200:
	v_cmp_ge_u32_e32 vcc, v42, v24
                                        ; implicit-def: $vgpr18_vgpr19
	s_and_saveexec_b64 s[4:5], vcc
	s_xor_b64 s[4:5], exec, s[4:5]
; %bb.201:
	v_xor_b32_e32 v18, 0xfffff5ff, v0
	v_ashrrev_i32_e32 v19, 31, v18
	v_lshl_add_u64 v[18:19], v[6:7], 0, v[18:19]
                                        ; implicit-def: $vgpr42_vgpr43
; %bb.202:
	s_andn2_saveexec_b64 s[4:5], s[4:5]
; %bb.203:
	v_lshl_add_u64 v[18:19], v[2:3], 0, v[42:43]
; %bb.204:
	s_or_b64 exec, exec, s[4:5]
	v_lshl_add_u64 v[18:19], v[18:19], 2, s[22:23]
	s_waitcnt lgkmcnt(5)
	global_store_dword v[18:19], v41, off
	s_or_b64 exec, exec, s[2:3]
	v_cmp_gt_u32_e32 vcc, s33, v38
	s_and_saveexec_b64 s[2:3], vcc
	s_cbranch_execnz .LBB113_164
.LBB113_205:
	s_or_b64 exec, exec, s[2:3]
	v_cmp_gt_u32_e32 vcc, s33, v36
	s_and_saveexec_b64 s[2:3], vcc
	s_cbranch_execz .LBB113_169
.LBB113_206:
	v_cmp_ge_u32_e32 vcc, v36, v24
                                        ; implicit-def: $vgpr18_vgpr19
	s_and_saveexec_b64 s[4:5], vcc
	s_xor_b64 s[4:5], exec, s[4:5]
; %bb.207:
	v_xor_b32_e32 v18, 0xfffff1ff, v0
	v_ashrrev_i32_e32 v19, 31, v18
	v_lshl_add_u64 v[18:19], v[6:7], 0, v[18:19]
                                        ; implicit-def: $vgpr36_vgpr37
; %bb.208:
	s_andn2_saveexec_b64 s[4:5], s[4:5]
; %bb.209:
	v_lshl_add_u64 v[18:19], v[2:3], 0, v[36:37]
; %bb.210:
	s_or_b64 exec, exec, s[4:5]
	v_lshl_add_u64 v[18:19], v[18:19], 2, s[22:23]
	s_waitcnt lgkmcnt(4)
	global_store_dword v[18:19], v35, off
	s_or_b64 exec, exec, s[2:3]
	v_cmp_gt_u32_e32 vcc, s33, v32
	s_and_saveexec_b64 s[2:3], vcc
	s_cbranch_execnz .LBB113_170
.LBB113_211:
	s_or_b64 exec, exec, s[2:3]
	v_cmp_gt_u32_e32 vcc, s33, v30
	s_and_saveexec_b64 s[2:3], vcc
	s_cbranch_execz .LBB113_175
.LBB113_212:
	v_cmp_ge_u32_e32 vcc, v30, v24
                                        ; implicit-def: $vgpr18_vgpr19
	s_and_saveexec_b64 s[4:5], vcc
	s_xor_b64 s[4:5], exec, s[4:5]
; %bb.213:
	v_xor_b32_e32 v18, 0xffffedff, v0
	v_ashrrev_i32_e32 v19, 31, v18
	v_lshl_add_u64 v[18:19], v[6:7], 0, v[18:19]
                                        ; implicit-def: $vgpr30_vgpr31
; %bb.214:
	s_andn2_saveexec_b64 s[4:5], s[4:5]
; %bb.215:
	v_lshl_add_u64 v[18:19], v[2:3], 0, v[30:31]
; %bb.216:
	s_or_b64 exec, exec, s[4:5]
	v_lshl_add_u64 v[18:19], v[18:19], 2, s[22:23]
	s_waitcnt lgkmcnt(3)
	global_store_dword v[18:19], v29, off
	s_or_b64 exec, exec, s[2:3]
	v_cmp_gt_u32_e32 vcc, s33, v26
	s_and_saveexec_b64 s[2:3], vcc
	s_cbranch_execnz .LBB113_176
.LBB113_217:
	s_or_b64 exec, exec, s[2:3]
	v_cmp_gt_u32_e32 vcc, s33, v16
	s_and_saveexec_b64 s[2:3], vcc
	s_cbranch_execz .LBB113_181
.LBB113_218:
	v_cmp_ge_u32_e32 vcc, v16, v24
                                        ; implicit-def: $vgpr18_vgpr19
	s_and_saveexec_b64 s[4:5], vcc
	s_xor_b64 s[4:5], exec, s[4:5]
; %bb.219:
	v_xor_b32_e32 v16, 0xffffe9ff, v0
	v_ashrrev_i32_e32 v17, 31, v16
	v_lshl_add_u64 v[18:19], v[6:7], 0, v[16:17]
                                        ; implicit-def: $vgpr16_vgpr17
; %bb.220:
	s_andn2_saveexec_b64 s[4:5], s[4:5]
; %bb.221:
	v_lshl_add_u64 v[18:19], v[2:3], 0, v[16:17]
; %bb.222:
	s_or_b64 exec, exec, s[4:5]
	v_lshl_add_u64 v[16:17], v[18:19], 2, s[22:23]
	s_waitcnt lgkmcnt(2)
	global_store_dword v[16:17], v15, off
	s_or_b64 exec, exec, s[2:3]
	v_cmp_gt_u32_e32 vcc, s33, v12
	s_and_saveexec_b64 s[2:3], vcc
	s_cbranch_execnz .LBB113_182
.LBB113_223:
	s_or_b64 exec, exec, s[2:3]
	v_cmp_gt_u32_e32 vcc, s33, v10
	s_and_saveexec_b64 s[2:3], vcc
	s_cbranch_execz .LBB113_229
.LBB113_224:
	v_cmp_ge_u32_e32 vcc, v10, v24
                                        ; implicit-def: $vgpr12_vgpr13
	s_and_saveexec_b64 s[4:5], vcc
	s_xor_b64 s[4:5], exec, s[4:5]
; %bb.225:
	v_xor_b32_e32 v10, 0xffffe5ff, v0
	v_ashrrev_i32_e32 v11, 31, v10
	v_lshl_add_u64 v[12:13], v[6:7], 0, v[10:11]
                                        ; implicit-def: $vgpr10_vgpr11
; %bb.226:
	s_andn2_saveexec_b64 s[4:5], s[4:5]
; %bb.227:
	v_lshl_add_u64 v[12:13], v[2:3], 0, v[10:11]
; %bb.228:
	s_or_b64 exec, exec, s[4:5]
	v_lshl_add_u64 v[10:11], v[12:13], 2, s[22:23]
	s_waitcnt lgkmcnt(1)
	global_store_dword v[10:11], v9, off
.LBB113_229:
	s_or_b64 exec, exec, s[2:3]
	v_cmp_gt_u32_e32 vcc, s33, v4
                                        ; implicit-def: $vgpr18_vgpr19
	s_and_saveexec_b64 s[2:3], vcc
	s_cbranch_execz .LBB113_235
; %bb.230:
	v_cmp_ge_u32_e32 vcc, v4, v24
                                        ; implicit-def: $vgpr18_vgpr19
	s_and_saveexec_b64 s[4:5], vcc
	s_xor_b64 s[4:5], exec, s[4:5]
; %bb.231:
	v_xor_b32_e32 v0, 0xffffe3ff, v0
	v_ashrrev_i32_e32 v1, 31, v0
	v_lshl_add_u64 v[18:19], v[6:7], 0, v[0:1]
                                        ; implicit-def: $vgpr4_vgpr5
; %bb.232:
	s_andn2_saveexec_b64 s[4:5], s[4:5]
; %bb.233:
	v_lshl_add_u64 v[18:19], v[2:3], 0, v[4:5]
; %bb.234:
	s_or_b64 exec, exec, s[4:5]
	s_or_b64 s[0:1], s[0:1], exec
.LBB113_235:
	s_or_b64 exec, exec, s[2:3]
	s_and_saveexec_b64 s[2:3], s[0:1]
	s_cbranch_execnz .LBB113_142
.LBB113_236:
	s_or_b64 exec, exec, s[2:3]
	s_and_b64 s[0:1], s[20:21], s[26:27]
	s_and_saveexec_b64 s[2:3], s[0:1]
	s_cbranch_execz .LBB113_143
.LBB113_237:
	v_mov_b32_e32 v4, 0
	v_lshl_add_u64 v[0:1], v[2:3], 0, v[24:25]
	global_store_dwordx2 v4, v[0:1], s[24:25]
	s_endpgm
	.section	.rodata,"a",@progbits
	.p2align	6, 0x0
	.amdhsa_kernel _ZN7rocprim17ROCPRIM_400000_NS6detail17trampoline_kernelINS0_14default_configENS1_25partition_config_selectorILNS1_17partition_subalgoE3EiNS0_10empty_typeEbEEZZNS1_14partition_implILS5_3ELb0ES3_jN6thrust23THRUST_200600_302600_NS6detail15normal_iteratorINSA_7pointerIiNSA_11hip_rocprim3tagENSA_11use_defaultESG_EEEEPS6_SJ_NS0_5tupleIJPiSJ_EEENSK_IJSJ_SJ_EEES6_PlJ7is_evenIiEEEE10hipError_tPvRmT3_T4_T5_T6_T7_T9_mT8_P12ihipStream_tbDpT10_ENKUlT_T0_E_clISt17integral_constantIbLb0EES19_IbLb1EEEEDaS15_S16_EUlS15_E_NS1_11comp_targetILNS1_3genE5ELNS1_11target_archE942ELNS1_3gpuE9ELNS1_3repE0EEENS1_30default_config_static_selectorELNS0_4arch9wavefront6targetE1EEEvT1_
		.amdhsa_group_segment_fixed_size 30728
		.amdhsa_private_segment_fixed_size 0
		.amdhsa_kernarg_size 136
		.amdhsa_user_sgpr_count 2
		.amdhsa_user_sgpr_dispatch_ptr 0
		.amdhsa_user_sgpr_queue_ptr 0
		.amdhsa_user_sgpr_kernarg_segment_ptr 1
		.amdhsa_user_sgpr_dispatch_id 0
		.amdhsa_user_sgpr_kernarg_preload_length 0
		.amdhsa_user_sgpr_kernarg_preload_offset 0
		.amdhsa_user_sgpr_private_segment_size 0
		.amdhsa_uses_dynamic_stack 0
		.amdhsa_enable_private_segment 0
		.amdhsa_system_sgpr_workgroup_id_x 1
		.amdhsa_system_sgpr_workgroup_id_y 0
		.amdhsa_system_sgpr_workgroup_id_z 0
		.amdhsa_system_sgpr_workgroup_info 0
		.amdhsa_system_vgpr_workitem_id 0
		.amdhsa_next_free_vgpr 80
		.amdhsa_next_free_sgpr 44
		.amdhsa_accum_offset 80
		.amdhsa_reserve_vcc 1
		.amdhsa_float_round_mode_32 0
		.amdhsa_float_round_mode_16_64 0
		.amdhsa_float_denorm_mode_32 3
		.amdhsa_float_denorm_mode_16_64 3
		.amdhsa_dx10_clamp 1
		.amdhsa_ieee_mode 1
		.amdhsa_fp16_overflow 0
		.amdhsa_tg_split 0
		.amdhsa_exception_fp_ieee_invalid_op 0
		.amdhsa_exception_fp_denorm_src 0
		.amdhsa_exception_fp_ieee_div_zero 0
		.amdhsa_exception_fp_ieee_overflow 0
		.amdhsa_exception_fp_ieee_underflow 0
		.amdhsa_exception_fp_ieee_inexact 0
		.amdhsa_exception_int_div_zero 0
	.end_amdhsa_kernel
	.section	.text._ZN7rocprim17ROCPRIM_400000_NS6detail17trampoline_kernelINS0_14default_configENS1_25partition_config_selectorILNS1_17partition_subalgoE3EiNS0_10empty_typeEbEEZZNS1_14partition_implILS5_3ELb0ES3_jN6thrust23THRUST_200600_302600_NS6detail15normal_iteratorINSA_7pointerIiNSA_11hip_rocprim3tagENSA_11use_defaultESG_EEEEPS6_SJ_NS0_5tupleIJPiSJ_EEENSK_IJSJ_SJ_EEES6_PlJ7is_evenIiEEEE10hipError_tPvRmT3_T4_T5_T6_T7_T9_mT8_P12ihipStream_tbDpT10_ENKUlT_T0_E_clISt17integral_constantIbLb0EES19_IbLb1EEEEDaS15_S16_EUlS15_E_NS1_11comp_targetILNS1_3genE5ELNS1_11target_archE942ELNS1_3gpuE9ELNS1_3repE0EEENS1_30default_config_static_selectorELNS0_4arch9wavefront6targetE1EEEvT1_,"axG",@progbits,_ZN7rocprim17ROCPRIM_400000_NS6detail17trampoline_kernelINS0_14default_configENS1_25partition_config_selectorILNS1_17partition_subalgoE3EiNS0_10empty_typeEbEEZZNS1_14partition_implILS5_3ELb0ES3_jN6thrust23THRUST_200600_302600_NS6detail15normal_iteratorINSA_7pointerIiNSA_11hip_rocprim3tagENSA_11use_defaultESG_EEEEPS6_SJ_NS0_5tupleIJPiSJ_EEENSK_IJSJ_SJ_EEES6_PlJ7is_evenIiEEEE10hipError_tPvRmT3_T4_T5_T6_T7_T9_mT8_P12ihipStream_tbDpT10_ENKUlT_T0_E_clISt17integral_constantIbLb0EES19_IbLb1EEEEDaS15_S16_EUlS15_E_NS1_11comp_targetILNS1_3genE5ELNS1_11target_archE942ELNS1_3gpuE9ELNS1_3repE0EEENS1_30default_config_static_selectorELNS0_4arch9wavefront6targetE1EEEvT1_,comdat
.Lfunc_end113:
	.size	_ZN7rocprim17ROCPRIM_400000_NS6detail17trampoline_kernelINS0_14default_configENS1_25partition_config_selectorILNS1_17partition_subalgoE3EiNS0_10empty_typeEbEEZZNS1_14partition_implILS5_3ELb0ES3_jN6thrust23THRUST_200600_302600_NS6detail15normal_iteratorINSA_7pointerIiNSA_11hip_rocprim3tagENSA_11use_defaultESG_EEEEPS6_SJ_NS0_5tupleIJPiSJ_EEENSK_IJSJ_SJ_EEES6_PlJ7is_evenIiEEEE10hipError_tPvRmT3_T4_T5_T6_T7_T9_mT8_P12ihipStream_tbDpT10_ENKUlT_T0_E_clISt17integral_constantIbLb0EES19_IbLb1EEEEDaS15_S16_EUlS15_E_NS1_11comp_targetILNS1_3genE5ELNS1_11target_archE942ELNS1_3gpuE9ELNS1_3repE0EEENS1_30default_config_static_selectorELNS0_4arch9wavefront6targetE1EEEvT1_, .Lfunc_end113-_ZN7rocprim17ROCPRIM_400000_NS6detail17trampoline_kernelINS0_14default_configENS1_25partition_config_selectorILNS1_17partition_subalgoE3EiNS0_10empty_typeEbEEZZNS1_14partition_implILS5_3ELb0ES3_jN6thrust23THRUST_200600_302600_NS6detail15normal_iteratorINSA_7pointerIiNSA_11hip_rocprim3tagENSA_11use_defaultESG_EEEEPS6_SJ_NS0_5tupleIJPiSJ_EEENSK_IJSJ_SJ_EEES6_PlJ7is_evenIiEEEE10hipError_tPvRmT3_T4_T5_T6_T7_T9_mT8_P12ihipStream_tbDpT10_ENKUlT_T0_E_clISt17integral_constantIbLb0EES19_IbLb1EEEEDaS15_S16_EUlS15_E_NS1_11comp_targetILNS1_3genE5ELNS1_11target_archE942ELNS1_3gpuE9ELNS1_3repE0EEENS1_30default_config_static_selectorELNS0_4arch9wavefront6targetE1EEEvT1_
                                        ; -- End function
	.section	.AMDGPU.csdata,"",@progbits
; Kernel info:
; codeLenInByte = 7672
; NumSgprs: 50
; NumVgprs: 80
; NumAgprs: 0
; TotalNumVgprs: 80
; ScratchSize: 0
; MemoryBound: 0
; FloatMode: 240
; IeeeMode: 1
; LDSByteSize: 30728 bytes/workgroup (compile time only)
; SGPRBlocks: 6
; VGPRBlocks: 9
; NumSGPRsForWavesPerEU: 50
; NumVGPRsForWavesPerEU: 80
; AccumOffset: 80
; Occupancy: 4
; WaveLimiterHint : 1
; COMPUTE_PGM_RSRC2:SCRATCH_EN: 0
; COMPUTE_PGM_RSRC2:USER_SGPR: 2
; COMPUTE_PGM_RSRC2:TRAP_HANDLER: 0
; COMPUTE_PGM_RSRC2:TGID_X_EN: 1
; COMPUTE_PGM_RSRC2:TGID_Y_EN: 0
; COMPUTE_PGM_RSRC2:TGID_Z_EN: 0
; COMPUTE_PGM_RSRC2:TIDIG_COMP_CNT: 0
; COMPUTE_PGM_RSRC3_GFX90A:ACCUM_OFFSET: 19
; COMPUTE_PGM_RSRC3_GFX90A:TG_SPLIT: 0
	.section	.text._ZN7rocprim17ROCPRIM_400000_NS6detail17trampoline_kernelINS0_14default_configENS1_25partition_config_selectorILNS1_17partition_subalgoE3EiNS0_10empty_typeEbEEZZNS1_14partition_implILS5_3ELb0ES3_jN6thrust23THRUST_200600_302600_NS6detail15normal_iteratorINSA_7pointerIiNSA_11hip_rocprim3tagENSA_11use_defaultESG_EEEEPS6_SJ_NS0_5tupleIJPiSJ_EEENSK_IJSJ_SJ_EEES6_PlJ7is_evenIiEEEE10hipError_tPvRmT3_T4_T5_T6_T7_T9_mT8_P12ihipStream_tbDpT10_ENKUlT_T0_E_clISt17integral_constantIbLb0EES19_IbLb1EEEEDaS15_S16_EUlS15_E_NS1_11comp_targetILNS1_3genE4ELNS1_11target_archE910ELNS1_3gpuE8ELNS1_3repE0EEENS1_30default_config_static_selectorELNS0_4arch9wavefront6targetE1EEEvT1_,"axG",@progbits,_ZN7rocprim17ROCPRIM_400000_NS6detail17trampoline_kernelINS0_14default_configENS1_25partition_config_selectorILNS1_17partition_subalgoE3EiNS0_10empty_typeEbEEZZNS1_14partition_implILS5_3ELb0ES3_jN6thrust23THRUST_200600_302600_NS6detail15normal_iteratorINSA_7pointerIiNSA_11hip_rocprim3tagENSA_11use_defaultESG_EEEEPS6_SJ_NS0_5tupleIJPiSJ_EEENSK_IJSJ_SJ_EEES6_PlJ7is_evenIiEEEE10hipError_tPvRmT3_T4_T5_T6_T7_T9_mT8_P12ihipStream_tbDpT10_ENKUlT_T0_E_clISt17integral_constantIbLb0EES19_IbLb1EEEEDaS15_S16_EUlS15_E_NS1_11comp_targetILNS1_3genE4ELNS1_11target_archE910ELNS1_3gpuE8ELNS1_3repE0EEENS1_30default_config_static_selectorELNS0_4arch9wavefront6targetE1EEEvT1_,comdat
	.protected	_ZN7rocprim17ROCPRIM_400000_NS6detail17trampoline_kernelINS0_14default_configENS1_25partition_config_selectorILNS1_17partition_subalgoE3EiNS0_10empty_typeEbEEZZNS1_14partition_implILS5_3ELb0ES3_jN6thrust23THRUST_200600_302600_NS6detail15normal_iteratorINSA_7pointerIiNSA_11hip_rocprim3tagENSA_11use_defaultESG_EEEEPS6_SJ_NS0_5tupleIJPiSJ_EEENSK_IJSJ_SJ_EEES6_PlJ7is_evenIiEEEE10hipError_tPvRmT3_T4_T5_T6_T7_T9_mT8_P12ihipStream_tbDpT10_ENKUlT_T0_E_clISt17integral_constantIbLb0EES19_IbLb1EEEEDaS15_S16_EUlS15_E_NS1_11comp_targetILNS1_3genE4ELNS1_11target_archE910ELNS1_3gpuE8ELNS1_3repE0EEENS1_30default_config_static_selectorELNS0_4arch9wavefront6targetE1EEEvT1_ ; -- Begin function _ZN7rocprim17ROCPRIM_400000_NS6detail17trampoline_kernelINS0_14default_configENS1_25partition_config_selectorILNS1_17partition_subalgoE3EiNS0_10empty_typeEbEEZZNS1_14partition_implILS5_3ELb0ES3_jN6thrust23THRUST_200600_302600_NS6detail15normal_iteratorINSA_7pointerIiNSA_11hip_rocprim3tagENSA_11use_defaultESG_EEEEPS6_SJ_NS0_5tupleIJPiSJ_EEENSK_IJSJ_SJ_EEES6_PlJ7is_evenIiEEEE10hipError_tPvRmT3_T4_T5_T6_T7_T9_mT8_P12ihipStream_tbDpT10_ENKUlT_T0_E_clISt17integral_constantIbLb0EES19_IbLb1EEEEDaS15_S16_EUlS15_E_NS1_11comp_targetILNS1_3genE4ELNS1_11target_archE910ELNS1_3gpuE8ELNS1_3repE0EEENS1_30default_config_static_selectorELNS0_4arch9wavefront6targetE1EEEvT1_
	.globl	_ZN7rocprim17ROCPRIM_400000_NS6detail17trampoline_kernelINS0_14default_configENS1_25partition_config_selectorILNS1_17partition_subalgoE3EiNS0_10empty_typeEbEEZZNS1_14partition_implILS5_3ELb0ES3_jN6thrust23THRUST_200600_302600_NS6detail15normal_iteratorINSA_7pointerIiNSA_11hip_rocprim3tagENSA_11use_defaultESG_EEEEPS6_SJ_NS0_5tupleIJPiSJ_EEENSK_IJSJ_SJ_EEES6_PlJ7is_evenIiEEEE10hipError_tPvRmT3_T4_T5_T6_T7_T9_mT8_P12ihipStream_tbDpT10_ENKUlT_T0_E_clISt17integral_constantIbLb0EES19_IbLb1EEEEDaS15_S16_EUlS15_E_NS1_11comp_targetILNS1_3genE4ELNS1_11target_archE910ELNS1_3gpuE8ELNS1_3repE0EEENS1_30default_config_static_selectorELNS0_4arch9wavefront6targetE1EEEvT1_
	.p2align	8
	.type	_ZN7rocprim17ROCPRIM_400000_NS6detail17trampoline_kernelINS0_14default_configENS1_25partition_config_selectorILNS1_17partition_subalgoE3EiNS0_10empty_typeEbEEZZNS1_14partition_implILS5_3ELb0ES3_jN6thrust23THRUST_200600_302600_NS6detail15normal_iteratorINSA_7pointerIiNSA_11hip_rocprim3tagENSA_11use_defaultESG_EEEEPS6_SJ_NS0_5tupleIJPiSJ_EEENSK_IJSJ_SJ_EEES6_PlJ7is_evenIiEEEE10hipError_tPvRmT3_T4_T5_T6_T7_T9_mT8_P12ihipStream_tbDpT10_ENKUlT_T0_E_clISt17integral_constantIbLb0EES19_IbLb1EEEEDaS15_S16_EUlS15_E_NS1_11comp_targetILNS1_3genE4ELNS1_11target_archE910ELNS1_3gpuE8ELNS1_3repE0EEENS1_30default_config_static_selectorELNS0_4arch9wavefront6targetE1EEEvT1_,@function
_ZN7rocprim17ROCPRIM_400000_NS6detail17trampoline_kernelINS0_14default_configENS1_25partition_config_selectorILNS1_17partition_subalgoE3EiNS0_10empty_typeEbEEZZNS1_14partition_implILS5_3ELb0ES3_jN6thrust23THRUST_200600_302600_NS6detail15normal_iteratorINSA_7pointerIiNSA_11hip_rocprim3tagENSA_11use_defaultESG_EEEEPS6_SJ_NS0_5tupleIJPiSJ_EEENSK_IJSJ_SJ_EEES6_PlJ7is_evenIiEEEE10hipError_tPvRmT3_T4_T5_T6_T7_T9_mT8_P12ihipStream_tbDpT10_ENKUlT_T0_E_clISt17integral_constantIbLb0EES19_IbLb1EEEEDaS15_S16_EUlS15_E_NS1_11comp_targetILNS1_3genE4ELNS1_11target_archE910ELNS1_3gpuE8ELNS1_3repE0EEENS1_30default_config_static_selectorELNS0_4arch9wavefront6targetE1EEEvT1_: ; @_ZN7rocprim17ROCPRIM_400000_NS6detail17trampoline_kernelINS0_14default_configENS1_25partition_config_selectorILNS1_17partition_subalgoE3EiNS0_10empty_typeEbEEZZNS1_14partition_implILS5_3ELb0ES3_jN6thrust23THRUST_200600_302600_NS6detail15normal_iteratorINSA_7pointerIiNSA_11hip_rocprim3tagENSA_11use_defaultESG_EEEEPS6_SJ_NS0_5tupleIJPiSJ_EEENSK_IJSJ_SJ_EEES6_PlJ7is_evenIiEEEE10hipError_tPvRmT3_T4_T5_T6_T7_T9_mT8_P12ihipStream_tbDpT10_ENKUlT_T0_E_clISt17integral_constantIbLb0EES19_IbLb1EEEEDaS15_S16_EUlS15_E_NS1_11comp_targetILNS1_3genE4ELNS1_11target_archE910ELNS1_3gpuE8ELNS1_3repE0EEENS1_30default_config_static_selectorELNS0_4arch9wavefront6targetE1EEEvT1_
; %bb.0:
	.section	.rodata,"a",@progbits
	.p2align	6, 0x0
	.amdhsa_kernel _ZN7rocprim17ROCPRIM_400000_NS6detail17trampoline_kernelINS0_14default_configENS1_25partition_config_selectorILNS1_17partition_subalgoE3EiNS0_10empty_typeEbEEZZNS1_14partition_implILS5_3ELb0ES3_jN6thrust23THRUST_200600_302600_NS6detail15normal_iteratorINSA_7pointerIiNSA_11hip_rocprim3tagENSA_11use_defaultESG_EEEEPS6_SJ_NS0_5tupleIJPiSJ_EEENSK_IJSJ_SJ_EEES6_PlJ7is_evenIiEEEE10hipError_tPvRmT3_T4_T5_T6_T7_T9_mT8_P12ihipStream_tbDpT10_ENKUlT_T0_E_clISt17integral_constantIbLb0EES19_IbLb1EEEEDaS15_S16_EUlS15_E_NS1_11comp_targetILNS1_3genE4ELNS1_11target_archE910ELNS1_3gpuE8ELNS1_3repE0EEENS1_30default_config_static_selectorELNS0_4arch9wavefront6targetE1EEEvT1_
		.amdhsa_group_segment_fixed_size 0
		.amdhsa_private_segment_fixed_size 0
		.amdhsa_kernarg_size 136
		.amdhsa_user_sgpr_count 2
		.amdhsa_user_sgpr_dispatch_ptr 0
		.amdhsa_user_sgpr_queue_ptr 0
		.amdhsa_user_sgpr_kernarg_segment_ptr 1
		.amdhsa_user_sgpr_dispatch_id 0
		.amdhsa_user_sgpr_kernarg_preload_length 0
		.amdhsa_user_sgpr_kernarg_preload_offset 0
		.amdhsa_user_sgpr_private_segment_size 0
		.amdhsa_uses_dynamic_stack 0
		.amdhsa_enable_private_segment 0
		.amdhsa_system_sgpr_workgroup_id_x 1
		.amdhsa_system_sgpr_workgroup_id_y 0
		.amdhsa_system_sgpr_workgroup_id_z 0
		.amdhsa_system_sgpr_workgroup_info 0
		.amdhsa_system_vgpr_workitem_id 0
		.amdhsa_next_free_vgpr 1
		.amdhsa_next_free_sgpr 0
		.amdhsa_accum_offset 4
		.amdhsa_reserve_vcc 0
		.amdhsa_float_round_mode_32 0
		.amdhsa_float_round_mode_16_64 0
		.amdhsa_float_denorm_mode_32 3
		.amdhsa_float_denorm_mode_16_64 3
		.amdhsa_dx10_clamp 1
		.amdhsa_ieee_mode 1
		.amdhsa_fp16_overflow 0
		.amdhsa_tg_split 0
		.amdhsa_exception_fp_ieee_invalid_op 0
		.amdhsa_exception_fp_denorm_src 0
		.amdhsa_exception_fp_ieee_div_zero 0
		.amdhsa_exception_fp_ieee_overflow 0
		.amdhsa_exception_fp_ieee_underflow 0
		.amdhsa_exception_fp_ieee_inexact 0
		.amdhsa_exception_int_div_zero 0
	.end_amdhsa_kernel
	.section	.text._ZN7rocprim17ROCPRIM_400000_NS6detail17trampoline_kernelINS0_14default_configENS1_25partition_config_selectorILNS1_17partition_subalgoE3EiNS0_10empty_typeEbEEZZNS1_14partition_implILS5_3ELb0ES3_jN6thrust23THRUST_200600_302600_NS6detail15normal_iteratorINSA_7pointerIiNSA_11hip_rocprim3tagENSA_11use_defaultESG_EEEEPS6_SJ_NS0_5tupleIJPiSJ_EEENSK_IJSJ_SJ_EEES6_PlJ7is_evenIiEEEE10hipError_tPvRmT3_T4_T5_T6_T7_T9_mT8_P12ihipStream_tbDpT10_ENKUlT_T0_E_clISt17integral_constantIbLb0EES19_IbLb1EEEEDaS15_S16_EUlS15_E_NS1_11comp_targetILNS1_3genE4ELNS1_11target_archE910ELNS1_3gpuE8ELNS1_3repE0EEENS1_30default_config_static_selectorELNS0_4arch9wavefront6targetE1EEEvT1_,"axG",@progbits,_ZN7rocprim17ROCPRIM_400000_NS6detail17trampoline_kernelINS0_14default_configENS1_25partition_config_selectorILNS1_17partition_subalgoE3EiNS0_10empty_typeEbEEZZNS1_14partition_implILS5_3ELb0ES3_jN6thrust23THRUST_200600_302600_NS6detail15normal_iteratorINSA_7pointerIiNSA_11hip_rocprim3tagENSA_11use_defaultESG_EEEEPS6_SJ_NS0_5tupleIJPiSJ_EEENSK_IJSJ_SJ_EEES6_PlJ7is_evenIiEEEE10hipError_tPvRmT3_T4_T5_T6_T7_T9_mT8_P12ihipStream_tbDpT10_ENKUlT_T0_E_clISt17integral_constantIbLb0EES19_IbLb1EEEEDaS15_S16_EUlS15_E_NS1_11comp_targetILNS1_3genE4ELNS1_11target_archE910ELNS1_3gpuE8ELNS1_3repE0EEENS1_30default_config_static_selectorELNS0_4arch9wavefront6targetE1EEEvT1_,comdat
.Lfunc_end114:
	.size	_ZN7rocprim17ROCPRIM_400000_NS6detail17trampoline_kernelINS0_14default_configENS1_25partition_config_selectorILNS1_17partition_subalgoE3EiNS0_10empty_typeEbEEZZNS1_14partition_implILS5_3ELb0ES3_jN6thrust23THRUST_200600_302600_NS6detail15normal_iteratorINSA_7pointerIiNSA_11hip_rocprim3tagENSA_11use_defaultESG_EEEEPS6_SJ_NS0_5tupleIJPiSJ_EEENSK_IJSJ_SJ_EEES6_PlJ7is_evenIiEEEE10hipError_tPvRmT3_T4_T5_T6_T7_T9_mT8_P12ihipStream_tbDpT10_ENKUlT_T0_E_clISt17integral_constantIbLb0EES19_IbLb1EEEEDaS15_S16_EUlS15_E_NS1_11comp_targetILNS1_3genE4ELNS1_11target_archE910ELNS1_3gpuE8ELNS1_3repE0EEENS1_30default_config_static_selectorELNS0_4arch9wavefront6targetE1EEEvT1_, .Lfunc_end114-_ZN7rocprim17ROCPRIM_400000_NS6detail17trampoline_kernelINS0_14default_configENS1_25partition_config_selectorILNS1_17partition_subalgoE3EiNS0_10empty_typeEbEEZZNS1_14partition_implILS5_3ELb0ES3_jN6thrust23THRUST_200600_302600_NS6detail15normal_iteratorINSA_7pointerIiNSA_11hip_rocprim3tagENSA_11use_defaultESG_EEEEPS6_SJ_NS0_5tupleIJPiSJ_EEENSK_IJSJ_SJ_EEES6_PlJ7is_evenIiEEEE10hipError_tPvRmT3_T4_T5_T6_T7_T9_mT8_P12ihipStream_tbDpT10_ENKUlT_T0_E_clISt17integral_constantIbLb0EES19_IbLb1EEEEDaS15_S16_EUlS15_E_NS1_11comp_targetILNS1_3genE4ELNS1_11target_archE910ELNS1_3gpuE8ELNS1_3repE0EEENS1_30default_config_static_selectorELNS0_4arch9wavefront6targetE1EEEvT1_
                                        ; -- End function
	.section	.AMDGPU.csdata,"",@progbits
; Kernel info:
; codeLenInByte = 0
; NumSgprs: 6
; NumVgprs: 0
; NumAgprs: 0
; TotalNumVgprs: 0
; ScratchSize: 0
; MemoryBound: 0
; FloatMode: 240
; IeeeMode: 1
; LDSByteSize: 0 bytes/workgroup (compile time only)
; SGPRBlocks: 0
; VGPRBlocks: 0
; NumSGPRsForWavesPerEU: 6
; NumVGPRsForWavesPerEU: 1
; AccumOffset: 4
; Occupancy: 8
; WaveLimiterHint : 0
; COMPUTE_PGM_RSRC2:SCRATCH_EN: 0
; COMPUTE_PGM_RSRC2:USER_SGPR: 2
; COMPUTE_PGM_RSRC2:TRAP_HANDLER: 0
; COMPUTE_PGM_RSRC2:TGID_X_EN: 1
; COMPUTE_PGM_RSRC2:TGID_Y_EN: 0
; COMPUTE_PGM_RSRC2:TGID_Z_EN: 0
; COMPUTE_PGM_RSRC2:TIDIG_COMP_CNT: 0
; COMPUTE_PGM_RSRC3_GFX90A:ACCUM_OFFSET: 0
; COMPUTE_PGM_RSRC3_GFX90A:TG_SPLIT: 0
	.section	.text._ZN7rocprim17ROCPRIM_400000_NS6detail17trampoline_kernelINS0_14default_configENS1_25partition_config_selectorILNS1_17partition_subalgoE3EiNS0_10empty_typeEbEEZZNS1_14partition_implILS5_3ELb0ES3_jN6thrust23THRUST_200600_302600_NS6detail15normal_iteratorINSA_7pointerIiNSA_11hip_rocprim3tagENSA_11use_defaultESG_EEEEPS6_SJ_NS0_5tupleIJPiSJ_EEENSK_IJSJ_SJ_EEES6_PlJ7is_evenIiEEEE10hipError_tPvRmT3_T4_T5_T6_T7_T9_mT8_P12ihipStream_tbDpT10_ENKUlT_T0_E_clISt17integral_constantIbLb0EES19_IbLb1EEEEDaS15_S16_EUlS15_E_NS1_11comp_targetILNS1_3genE3ELNS1_11target_archE908ELNS1_3gpuE7ELNS1_3repE0EEENS1_30default_config_static_selectorELNS0_4arch9wavefront6targetE1EEEvT1_,"axG",@progbits,_ZN7rocprim17ROCPRIM_400000_NS6detail17trampoline_kernelINS0_14default_configENS1_25partition_config_selectorILNS1_17partition_subalgoE3EiNS0_10empty_typeEbEEZZNS1_14partition_implILS5_3ELb0ES3_jN6thrust23THRUST_200600_302600_NS6detail15normal_iteratorINSA_7pointerIiNSA_11hip_rocprim3tagENSA_11use_defaultESG_EEEEPS6_SJ_NS0_5tupleIJPiSJ_EEENSK_IJSJ_SJ_EEES6_PlJ7is_evenIiEEEE10hipError_tPvRmT3_T4_T5_T6_T7_T9_mT8_P12ihipStream_tbDpT10_ENKUlT_T0_E_clISt17integral_constantIbLb0EES19_IbLb1EEEEDaS15_S16_EUlS15_E_NS1_11comp_targetILNS1_3genE3ELNS1_11target_archE908ELNS1_3gpuE7ELNS1_3repE0EEENS1_30default_config_static_selectorELNS0_4arch9wavefront6targetE1EEEvT1_,comdat
	.protected	_ZN7rocprim17ROCPRIM_400000_NS6detail17trampoline_kernelINS0_14default_configENS1_25partition_config_selectorILNS1_17partition_subalgoE3EiNS0_10empty_typeEbEEZZNS1_14partition_implILS5_3ELb0ES3_jN6thrust23THRUST_200600_302600_NS6detail15normal_iteratorINSA_7pointerIiNSA_11hip_rocprim3tagENSA_11use_defaultESG_EEEEPS6_SJ_NS0_5tupleIJPiSJ_EEENSK_IJSJ_SJ_EEES6_PlJ7is_evenIiEEEE10hipError_tPvRmT3_T4_T5_T6_T7_T9_mT8_P12ihipStream_tbDpT10_ENKUlT_T0_E_clISt17integral_constantIbLb0EES19_IbLb1EEEEDaS15_S16_EUlS15_E_NS1_11comp_targetILNS1_3genE3ELNS1_11target_archE908ELNS1_3gpuE7ELNS1_3repE0EEENS1_30default_config_static_selectorELNS0_4arch9wavefront6targetE1EEEvT1_ ; -- Begin function _ZN7rocprim17ROCPRIM_400000_NS6detail17trampoline_kernelINS0_14default_configENS1_25partition_config_selectorILNS1_17partition_subalgoE3EiNS0_10empty_typeEbEEZZNS1_14partition_implILS5_3ELb0ES3_jN6thrust23THRUST_200600_302600_NS6detail15normal_iteratorINSA_7pointerIiNSA_11hip_rocprim3tagENSA_11use_defaultESG_EEEEPS6_SJ_NS0_5tupleIJPiSJ_EEENSK_IJSJ_SJ_EEES6_PlJ7is_evenIiEEEE10hipError_tPvRmT3_T4_T5_T6_T7_T9_mT8_P12ihipStream_tbDpT10_ENKUlT_T0_E_clISt17integral_constantIbLb0EES19_IbLb1EEEEDaS15_S16_EUlS15_E_NS1_11comp_targetILNS1_3genE3ELNS1_11target_archE908ELNS1_3gpuE7ELNS1_3repE0EEENS1_30default_config_static_selectorELNS0_4arch9wavefront6targetE1EEEvT1_
	.globl	_ZN7rocprim17ROCPRIM_400000_NS6detail17trampoline_kernelINS0_14default_configENS1_25partition_config_selectorILNS1_17partition_subalgoE3EiNS0_10empty_typeEbEEZZNS1_14partition_implILS5_3ELb0ES3_jN6thrust23THRUST_200600_302600_NS6detail15normal_iteratorINSA_7pointerIiNSA_11hip_rocprim3tagENSA_11use_defaultESG_EEEEPS6_SJ_NS0_5tupleIJPiSJ_EEENSK_IJSJ_SJ_EEES6_PlJ7is_evenIiEEEE10hipError_tPvRmT3_T4_T5_T6_T7_T9_mT8_P12ihipStream_tbDpT10_ENKUlT_T0_E_clISt17integral_constantIbLb0EES19_IbLb1EEEEDaS15_S16_EUlS15_E_NS1_11comp_targetILNS1_3genE3ELNS1_11target_archE908ELNS1_3gpuE7ELNS1_3repE0EEENS1_30default_config_static_selectorELNS0_4arch9wavefront6targetE1EEEvT1_
	.p2align	8
	.type	_ZN7rocprim17ROCPRIM_400000_NS6detail17trampoline_kernelINS0_14default_configENS1_25partition_config_selectorILNS1_17partition_subalgoE3EiNS0_10empty_typeEbEEZZNS1_14partition_implILS5_3ELb0ES3_jN6thrust23THRUST_200600_302600_NS6detail15normal_iteratorINSA_7pointerIiNSA_11hip_rocprim3tagENSA_11use_defaultESG_EEEEPS6_SJ_NS0_5tupleIJPiSJ_EEENSK_IJSJ_SJ_EEES6_PlJ7is_evenIiEEEE10hipError_tPvRmT3_T4_T5_T6_T7_T9_mT8_P12ihipStream_tbDpT10_ENKUlT_T0_E_clISt17integral_constantIbLb0EES19_IbLb1EEEEDaS15_S16_EUlS15_E_NS1_11comp_targetILNS1_3genE3ELNS1_11target_archE908ELNS1_3gpuE7ELNS1_3repE0EEENS1_30default_config_static_selectorELNS0_4arch9wavefront6targetE1EEEvT1_,@function
_ZN7rocprim17ROCPRIM_400000_NS6detail17trampoline_kernelINS0_14default_configENS1_25partition_config_selectorILNS1_17partition_subalgoE3EiNS0_10empty_typeEbEEZZNS1_14partition_implILS5_3ELb0ES3_jN6thrust23THRUST_200600_302600_NS6detail15normal_iteratorINSA_7pointerIiNSA_11hip_rocprim3tagENSA_11use_defaultESG_EEEEPS6_SJ_NS0_5tupleIJPiSJ_EEENSK_IJSJ_SJ_EEES6_PlJ7is_evenIiEEEE10hipError_tPvRmT3_T4_T5_T6_T7_T9_mT8_P12ihipStream_tbDpT10_ENKUlT_T0_E_clISt17integral_constantIbLb0EES19_IbLb1EEEEDaS15_S16_EUlS15_E_NS1_11comp_targetILNS1_3genE3ELNS1_11target_archE908ELNS1_3gpuE7ELNS1_3repE0EEENS1_30default_config_static_selectorELNS0_4arch9wavefront6targetE1EEEvT1_: ; @_ZN7rocprim17ROCPRIM_400000_NS6detail17trampoline_kernelINS0_14default_configENS1_25partition_config_selectorILNS1_17partition_subalgoE3EiNS0_10empty_typeEbEEZZNS1_14partition_implILS5_3ELb0ES3_jN6thrust23THRUST_200600_302600_NS6detail15normal_iteratorINSA_7pointerIiNSA_11hip_rocprim3tagENSA_11use_defaultESG_EEEEPS6_SJ_NS0_5tupleIJPiSJ_EEENSK_IJSJ_SJ_EEES6_PlJ7is_evenIiEEEE10hipError_tPvRmT3_T4_T5_T6_T7_T9_mT8_P12ihipStream_tbDpT10_ENKUlT_T0_E_clISt17integral_constantIbLb0EES19_IbLb1EEEEDaS15_S16_EUlS15_E_NS1_11comp_targetILNS1_3genE3ELNS1_11target_archE908ELNS1_3gpuE7ELNS1_3repE0EEENS1_30default_config_static_selectorELNS0_4arch9wavefront6targetE1EEEvT1_
; %bb.0:
	.section	.rodata,"a",@progbits
	.p2align	6, 0x0
	.amdhsa_kernel _ZN7rocprim17ROCPRIM_400000_NS6detail17trampoline_kernelINS0_14default_configENS1_25partition_config_selectorILNS1_17partition_subalgoE3EiNS0_10empty_typeEbEEZZNS1_14partition_implILS5_3ELb0ES3_jN6thrust23THRUST_200600_302600_NS6detail15normal_iteratorINSA_7pointerIiNSA_11hip_rocprim3tagENSA_11use_defaultESG_EEEEPS6_SJ_NS0_5tupleIJPiSJ_EEENSK_IJSJ_SJ_EEES6_PlJ7is_evenIiEEEE10hipError_tPvRmT3_T4_T5_T6_T7_T9_mT8_P12ihipStream_tbDpT10_ENKUlT_T0_E_clISt17integral_constantIbLb0EES19_IbLb1EEEEDaS15_S16_EUlS15_E_NS1_11comp_targetILNS1_3genE3ELNS1_11target_archE908ELNS1_3gpuE7ELNS1_3repE0EEENS1_30default_config_static_selectorELNS0_4arch9wavefront6targetE1EEEvT1_
		.amdhsa_group_segment_fixed_size 0
		.amdhsa_private_segment_fixed_size 0
		.amdhsa_kernarg_size 136
		.amdhsa_user_sgpr_count 2
		.amdhsa_user_sgpr_dispatch_ptr 0
		.amdhsa_user_sgpr_queue_ptr 0
		.amdhsa_user_sgpr_kernarg_segment_ptr 1
		.amdhsa_user_sgpr_dispatch_id 0
		.amdhsa_user_sgpr_kernarg_preload_length 0
		.amdhsa_user_sgpr_kernarg_preload_offset 0
		.amdhsa_user_sgpr_private_segment_size 0
		.amdhsa_uses_dynamic_stack 0
		.amdhsa_enable_private_segment 0
		.amdhsa_system_sgpr_workgroup_id_x 1
		.amdhsa_system_sgpr_workgroup_id_y 0
		.amdhsa_system_sgpr_workgroup_id_z 0
		.amdhsa_system_sgpr_workgroup_info 0
		.amdhsa_system_vgpr_workitem_id 0
		.amdhsa_next_free_vgpr 1
		.amdhsa_next_free_sgpr 0
		.amdhsa_accum_offset 4
		.amdhsa_reserve_vcc 0
		.amdhsa_float_round_mode_32 0
		.amdhsa_float_round_mode_16_64 0
		.amdhsa_float_denorm_mode_32 3
		.amdhsa_float_denorm_mode_16_64 3
		.amdhsa_dx10_clamp 1
		.amdhsa_ieee_mode 1
		.amdhsa_fp16_overflow 0
		.amdhsa_tg_split 0
		.amdhsa_exception_fp_ieee_invalid_op 0
		.amdhsa_exception_fp_denorm_src 0
		.amdhsa_exception_fp_ieee_div_zero 0
		.amdhsa_exception_fp_ieee_overflow 0
		.amdhsa_exception_fp_ieee_underflow 0
		.amdhsa_exception_fp_ieee_inexact 0
		.amdhsa_exception_int_div_zero 0
	.end_amdhsa_kernel
	.section	.text._ZN7rocprim17ROCPRIM_400000_NS6detail17trampoline_kernelINS0_14default_configENS1_25partition_config_selectorILNS1_17partition_subalgoE3EiNS0_10empty_typeEbEEZZNS1_14partition_implILS5_3ELb0ES3_jN6thrust23THRUST_200600_302600_NS6detail15normal_iteratorINSA_7pointerIiNSA_11hip_rocprim3tagENSA_11use_defaultESG_EEEEPS6_SJ_NS0_5tupleIJPiSJ_EEENSK_IJSJ_SJ_EEES6_PlJ7is_evenIiEEEE10hipError_tPvRmT3_T4_T5_T6_T7_T9_mT8_P12ihipStream_tbDpT10_ENKUlT_T0_E_clISt17integral_constantIbLb0EES19_IbLb1EEEEDaS15_S16_EUlS15_E_NS1_11comp_targetILNS1_3genE3ELNS1_11target_archE908ELNS1_3gpuE7ELNS1_3repE0EEENS1_30default_config_static_selectorELNS0_4arch9wavefront6targetE1EEEvT1_,"axG",@progbits,_ZN7rocprim17ROCPRIM_400000_NS6detail17trampoline_kernelINS0_14default_configENS1_25partition_config_selectorILNS1_17partition_subalgoE3EiNS0_10empty_typeEbEEZZNS1_14partition_implILS5_3ELb0ES3_jN6thrust23THRUST_200600_302600_NS6detail15normal_iteratorINSA_7pointerIiNSA_11hip_rocprim3tagENSA_11use_defaultESG_EEEEPS6_SJ_NS0_5tupleIJPiSJ_EEENSK_IJSJ_SJ_EEES6_PlJ7is_evenIiEEEE10hipError_tPvRmT3_T4_T5_T6_T7_T9_mT8_P12ihipStream_tbDpT10_ENKUlT_T0_E_clISt17integral_constantIbLb0EES19_IbLb1EEEEDaS15_S16_EUlS15_E_NS1_11comp_targetILNS1_3genE3ELNS1_11target_archE908ELNS1_3gpuE7ELNS1_3repE0EEENS1_30default_config_static_selectorELNS0_4arch9wavefront6targetE1EEEvT1_,comdat
.Lfunc_end115:
	.size	_ZN7rocprim17ROCPRIM_400000_NS6detail17trampoline_kernelINS0_14default_configENS1_25partition_config_selectorILNS1_17partition_subalgoE3EiNS0_10empty_typeEbEEZZNS1_14partition_implILS5_3ELb0ES3_jN6thrust23THRUST_200600_302600_NS6detail15normal_iteratorINSA_7pointerIiNSA_11hip_rocprim3tagENSA_11use_defaultESG_EEEEPS6_SJ_NS0_5tupleIJPiSJ_EEENSK_IJSJ_SJ_EEES6_PlJ7is_evenIiEEEE10hipError_tPvRmT3_T4_T5_T6_T7_T9_mT8_P12ihipStream_tbDpT10_ENKUlT_T0_E_clISt17integral_constantIbLb0EES19_IbLb1EEEEDaS15_S16_EUlS15_E_NS1_11comp_targetILNS1_3genE3ELNS1_11target_archE908ELNS1_3gpuE7ELNS1_3repE0EEENS1_30default_config_static_selectorELNS0_4arch9wavefront6targetE1EEEvT1_, .Lfunc_end115-_ZN7rocprim17ROCPRIM_400000_NS6detail17trampoline_kernelINS0_14default_configENS1_25partition_config_selectorILNS1_17partition_subalgoE3EiNS0_10empty_typeEbEEZZNS1_14partition_implILS5_3ELb0ES3_jN6thrust23THRUST_200600_302600_NS6detail15normal_iteratorINSA_7pointerIiNSA_11hip_rocprim3tagENSA_11use_defaultESG_EEEEPS6_SJ_NS0_5tupleIJPiSJ_EEENSK_IJSJ_SJ_EEES6_PlJ7is_evenIiEEEE10hipError_tPvRmT3_T4_T5_T6_T7_T9_mT8_P12ihipStream_tbDpT10_ENKUlT_T0_E_clISt17integral_constantIbLb0EES19_IbLb1EEEEDaS15_S16_EUlS15_E_NS1_11comp_targetILNS1_3genE3ELNS1_11target_archE908ELNS1_3gpuE7ELNS1_3repE0EEENS1_30default_config_static_selectorELNS0_4arch9wavefront6targetE1EEEvT1_
                                        ; -- End function
	.section	.AMDGPU.csdata,"",@progbits
; Kernel info:
; codeLenInByte = 0
; NumSgprs: 6
; NumVgprs: 0
; NumAgprs: 0
; TotalNumVgprs: 0
; ScratchSize: 0
; MemoryBound: 0
; FloatMode: 240
; IeeeMode: 1
; LDSByteSize: 0 bytes/workgroup (compile time only)
; SGPRBlocks: 0
; VGPRBlocks: 0
; NumSGPRsForWavesPerEU: 6
; NumVGPRsForWavesPerEU: 1
; AccumOffset: 4
; Occupancy: 8
; WaveLimiterHint : 0
; COMPUTE_PGM_RSRC2:SCRATCH_EN: 0
; COMPUTE_PGM_RSRC2:USER_SGPR: 2
; COMPUTE_PGM_RSRC2:TRAP_HANDLER: 0
; COMPUTE_PGM_RSRC2:TGID_X_EN: 1
; COMPUTE_PGM_RSRC2:TGID_Y_EN: 0
; COMPUTE_PGM_RSRC2:TGID_Z_EN: 0
; COMPUTE_PGM_RSRC2:TIDIG_COMP_CNT: 0
; COMPUTE_PGM_RSRC3_GFX90A:ACCUM_OFFSET: 0
; COMPUTE_PGM_RSRC3_GFX90A:TG_SPLIT: 0
	.section	.text._ZN7rocprim17ROCPRIM_400000_NS6detail17trampoline_kernelINS0_14default_configENS1_25partition_config_selectorILNS1_17partition_subalgoE3EiNS0_10empty_typeEbEEZZNS1_14partition_implILS5_3ELb0ES3_jN6thrust23THRUST_200600_302600_NS6detail15normal_iteratorINSA_7pointerIiNSA_11hip_rocprim3tagENSA_11use_defaultESG_EEEEPS6_SJ_NS0_5tupleIJPiSJ_EEENSK_IJSJ_SJ_EEES6_PlJ7is_evenIiEEEE10hipError_tPvRmT3_T4_T5_T6_T7_T9_mT8_P12ihipStream_tbDpT10_ENKUlT_T0_E_clISt17integral_constantIbLb0EES19_IbLb1EEEEDaS15_S16_EUlS15_E_NS1_11comp_targetILNS1_3genE2ELNS1_11target_archE906ELNS1_3gpuE6ELNS1_3repE0EEENS1_30default_config_static_selectorELNS0_4arch9wavefront6targetE1EEEvT1_,"axG",@progbits,_ZN7rocprim17ROCPRIM_400000_NS6detail17trampoline_kernelINS0_14default_configENS1_25partition_config_selectorILNS1_17partition_subalgoE3EiNS0_10empty_typeEbEEZZNS1_14partition_implILS5_3ELb0ES3_jN6thrust23THRUST_200600_302600_NS6detail15normal_iteratorINSA_7pointerIiNSA_11hip_rocprim3tagENSA_11use_defaultESG_EEEEPS6_SJ_NS0_5tupleIJPiSJ_EEENSK_IJSJ_SJ_EEES6_PlJ7is_evenIiEEEE10hipError_tPvRmT3_T4_T5_T6_T7_T9_mT8_P12ihipStream_tbDpT10_ENKUlT_T0_E_clISt17integral_constantIbLb0EES19_IbLb1EEEEDaS15_S16_EUlS15_E_NS1_11comp_targetILNS1_3genE2ELNS1_11target_archE906ELNS1_3gpuE6ELNS1_3repE0EEENS1_30default_config_static_selectorELNS0_4arch9wavefront6targetE1EEEvT1_,comdat
	.protected	_ZN7rocprim17ROCPRIM_400000_NS6detail17trampoline_kernelINS0_14default_configENS1_25partition_config_selectorILNS1_17partition_subalgoE3EiNS0_10empty_typeEbEEZZNS1_14partition_implILS5_3ELb0ES3_jN6thrust23THRUST_200600_302600_NS6detail15normal_iteratorINSA_7pointerIiNSA_11hip_rocprim3tagENSA_11use_defaultESG_EEEEPS6_SJ_NS0_5tupleIJPiSJ_EEENSK_IJSJ_SJ_EEES6_PlJ7is_evenIiEEEE10hipError_tPvRmT3_T4_T5_T6_T7_T9_mT8_P12ihipStream_tbDpT10_ENKUlT_T0_E_clISt17integral_constantIbLb0EES19_IbLb1EEEEDaS15_S16_EUlS15_E_NS1_11comp_targetILNS1_3genE2ELNS1_11target_archE906ELNS1_3gpuE6ELNS1_3repE0EEENS1_30default_config_static_selectorELNS0_4arch9wavefront6targetE1EEEvT1_ ; -- Begin function _ZN7rocprim17ROCPRIM_400000_NS6detail17trampoline_kernelINS0_14default_configENS1_25partition_config_selectorILNS1_17partition_subalgoE3EiNS0_10empty_typeEbEEZZNS1_14partition_implILS5_3ELb0ES3_jN6thrust23THRUST_200600_302600_NS6detail15normal_iteratorINSA_7pointerIiNSA_11hip_rocprim3tagENSA_11use_defaultESG_EEEEPS6_SJ_NS0_5tupleIJPiSJ_EEENSK_IJSJ_SJ_EEES6_PlJ7is_evenIiEEEE10hipError_tPvRmT3_T4_T5_T6_T7_T9_mT8_P12ihipStream_tbDpT10_ENKUlT_T0_E_clISt17integral_constantIbLb0EES19_IbLb1EEEEDaS15_S16_EUlS15_E_NS1_11comp_targetILNS1_3genE2ELNS1_11target_archE906ELNS1_3gpuE6ELNS1_3repE0EEENS1_30default_config_static_selectorELNS0_4arch9wavefront6targetE1EEEvT1_
	.globl	_ZN7rocprim17ROCPRIM_400000_NS6detail17trampoline_kernelINS0_14default_configENS1_25partition_config_selectorILNS1_17partition_subalgoE3EiNS0_10empty_typeEbEEZZNS1_14partition_implILS5_3ELb0ES3_jN6thrust23THRUST_200600_302600_NS6detail15normal_iteratorINSA_7pointerIiNSA_11hip_rocprim3tagENSA_11use_defaultESG_EEEEPS6_SJ_NS0_5tupleIJPiSJ_EEENSK_IJSJ_SJ_EEES6_PlJ7is_evenIiEEEE10hipError_tPvRmT3_T4_T5_T6_T7_T9_mT8_P12ihipStream_tbDpT10_ENKUlT_T0_E_clISt17integral_constantIbLb0EES19_IbLb1EEEEDaS15_S16_EUlS15_E_NS1_11comp_targetILNS1_3genE2ELNS1_11target_archE906ELNS1_3gpuE6ELNS1_3repE0EEENS1_30default_config_static_selectorELNS0_4arch9wavefront6targetE1EEEvT1_
	.p2align	8
	.type	_ZN7rocprim17ROCPRIM_400000_NS6detail17trampoline_kernelINS0_14default_configENS1_25partition_config_selectorILNS1_17partition_subalgoE3EiNS0_10empty_typeEbEEZZNS1_14partition_implILS5_3ELb0ES3_jN6thrust23THRUST_200600_302600_NS6detail15normal_iteratorINSA_7pointerIiNSA_11hip_rocprim3tagENSA_11use_defaultESG_EEEEPS6_SJ_NS0_5tupleIJPiSJ_EEENSK_IJSJ_SJ_EEES6_PlJ7is_evenIiEEEE10hipError_tPvRmT3_T4_T5_T6_T7_T9_mT8_P12ihipStream_tbDpT10_ENKUlT_T0_E_clISt17integral_constantIbLb0EES19_IbLb1EEEEDaS15_S16_EUlS15_E_NS1_11comp_targetILNS1_3genE2ELNS1_11target_archE906ELNS1_3gpuE6ELNS1_3repE0EEENS1_30default_config_static_selectorELNS0_4arch9wavefront6targetE1EEEvT1_,@function
_ZN7rocprim17ROCPRIM_400000_NS6detail17trampoline_kernelINS0_14default_configENS1_25partition_config_selectorILNS1_17partition_subalgoE3EiNS0_10empty_typeEbEEZZNS1_14partition_implILS5_3ELb0ES3_jN6thrust23THRUST_200600_302600_NS6detail15normal_iteratorINSA_7pointerIiNSA_11hip_rocprim3tagENSA_11use_defaultESG_EEEEPS6_SJ_NS0_5tupleIJPiSJ_EEENSK_IJSJ_SJ_EEES6_PlJ7is_evenIiEEEE10hipError_tPvRmT3_T4_T5_T6_T7_T9_mT8_P12ihipStream_tbDpT10_ENKUlT_T0_E_clISt17integral_constantIbLb0EES19_IbLb1EEEEDaS15_S16_EUlS15_E_NS1_11comp_targetILNS1_3genE2ELNS1_11target_archE906ELNS1_3gpuE6ELNS1_3repE0EEENS1_30default_config_static_selectorELNS0_4arch9wavefront6targetE1EEEvT1_: ; @_ZN7rocprim17ROCPRIM_400000_NS6detail17trampoline_kernelINS0_14default_configENS1_25partition_config_selectorILNS1_17partition_subalgoE3EiNS0_10empty_typeEbEEZZNS1_14partition_implILS5_3ELb0ES3_jN6thrust23THRUST_200600_302600_NS6detail15normal_iteratorINSA_7pointerIiNSA_11hip_rocprim3tagENSA_11use_defaultESG_EEEEPS6_SJ_NS0_5tupleIJPiSJ_EEENSK_IJSJ_SJ_EEES6_PlJ7is_evenIiEEEE10hipError_tPvRmT3_T4_T5_T6_T7_T9_mT8_P12ihipStream_tbDpT10_ENKUlT_T0_E_clISt17integral_constantIbLb0EES19_IbLb1EEEEDaS15_S16_EUlS15_E_NS1_11comp_targetILNS1_3genE2ELNS1_11target_archE906ELNS1_3gpuE6ELNS1_3repE0EEENS1_30default_config_static_selectorELNS0_4arch9wavefront6targetE1EEEvT1_
; %bb.0:
	.section	.rodata,"a",@progbits
	.p2align	6, 0x0
	.amdhsa_kernel _ZN7rocprim17ROCPRIM_400000_NS6detail17trampoline_kernelINS0_14default_configENS1_25partition_config_selectorILNS1_17partition_subalgoE3EiNS0_10empty_typeEbEEZZNS1_14partition_implILS5_3ELb0ES3_jN6thrust23THRUST_200600_302600_NS6detail15normal_iteratorINSA_7pointerIiNSA_11hip_rocprim3tagENSA_11use_defaultESG_EEEEPS6_SJ_NS0_5tupleIJPiSJ_EEENSK_IJSJ_SJ_EEES6_PlJ7is_evenIiEEEE10hipError_tPvRmT3_T4_T5_T6_T7_T9_mT8_P12ihipStream_tbDpT10_ENKUlT_T0_E_clISt17integral_constantIbLb0EES19_IbLb1EEEEDaS15_S16_EUlS15_E_NS1_11comp_targetILNS1_3genE2ELNS1_11target_archE906ELNS1_3gpuE6ELNS1_3repE0EEENS1_30default_config_static_selectorELNS0_4arch9wavefront6targetE1EEEvT1_
		.amdhsa_group_segment_fixed_size 0
		.amdhsa_private_segment_fixed_size 0
		.amdhsa_kernarg_size 136
		.amdhsa_user_sgpr_count 2
		.amdhsa_user_sgpr_dispatch_ptr 0
		.amdhsa_user_sgpr_queue_ptr 0
		.amdhsa_user_sgpr_kernarg_segment_ptr 1
		.amdhsa_user_sgpr_dispatch_id 0
		.amdhsa_user_sgpr_kernarg_preload_length 0
		.amdhsa_user_sgpr_kernarg_preload_offset 0
		.amdhsa_user_sgpr_private_segment_size 0
		.amdhsa_uses_dynamic_stack 0
		.amdhsa_enable_private_segment 0
		.amdhsa_system_sgpr_workgroup_id_x 1
		.amdhsa_system_sgpr_workgroup_id_y 0
		.amdhsa_system_sgpr_workgroup_id_z 0
		.amdhsa_system_sgpr_workgroup_info 0
		.amdhsa_system_vgpr_workitem_id 0
		.amdhsa_next_free_vgpr 1
		.amdhsa_next_free_sgpr 0
		.amdhsa_accum_offset 4
		.amdhsa_reserve_vcc 0
		.amdhsa_float_round_mode_32 0
		.amdhsa_float_round_mode_16_64 0
		.amdhsa_float_denorm_mode_32 3
		.amdhsa_float_denorm_mode_16_64 3
		.amdhsa_dx10_clamp 1
		.amdhsa_ieee_mode 1
		.amdhsa_fp16_overflow 0
		.amdhsa_tg_split 0
		.amdhsa_exception_fp_ieee_invalid_op 0
		.amdhsa_exception_fp_denorm_src 0
		.amdhsa_exception_fp_ieee_div_zero 0
		.amdhsa_exception_fp_ieee_overflow 0
		.amdhsa_exception_fp_ieee_underflow 0
		.amdhsa_exception_fp_ieee_inexact 0
		.amdhsa_exception_int_div_zero 0
	.end_amdhsa_kernel
	.section	.text._ZN7rocprim17ROCPRIM_400000_NS6detail17trampoline_kernelINS0_14default_configENS1_25partition_config_selectorILNS1_17partition_subalgoE3EiNS0_10empty_typeEbEEZZNS1_14partition_implILS5_3ELb0ES3_jN6thrust23THRUST_200600_302600_NS6detail15normal_iteratorINSA_7pointerIiNSA_11hip_rocprim3tagENSA_11use_defaultESG_EEEEPS6_SJ_NS0_5tupleIJPiSJ_EEENSK_IJSJ_SJ_EEES6_PlJ7is_evenIiEEEE10hipError_tPvRmT3_T4_T5_T6_T7_T9_mT8_P12ihipStream_tbDpT10_ENKUlT_T0_E_clISt17integral_constantIbLb0EES19_IbLb1EEEEDaS15_S16_EUlS15_E_NS1_11comp_targetILNS1_3genE2ELNS1_11target_archE906ELNS1_3gpuE6ELNS1_3repE0EEENS1_30default_config_static_selectorELNS0_4arch9wavefront6targetE1EEEvT1_,"axG",@progbits,_ZN7rocprim17ROCPRIM_400000_NS6detail17trampoline_kernelINS0_14default_configENS1_25partition_config_selectorILNS1_17partition_subalgoE3EiNS0_10empty_typeEbEEZZNS1_14partition_implILS5_3ELb0ES3_jN6thrust23THRUST_200600_302600_NS6detail15normal_iteratorINSA_7pointerIiNSA_11hip_rocprim3tagENSA_11use_defaultESG_EEEEPS6_SJ_NS0_5tupleIJPiSJ_EEENSK_IJSJ_SJ_EEES6_PlJ7is_evenIiEEEE10hipError_tPvRmT3_T4_T5_T6_T7_T9_mT8_P12ihipStream_tbDpT10_ENKUlT_T0_E_clISt17integral_constantIbLb0EES19_IbLb1EEEEDaS15_S16_EUlS15_E_NS1_11comp_targetILNS1_3genE2ELNS1_11target_archE906ELNS1_3gpuE6ELNS1_3repE0EEENS1_30default_config_static_selectorELNS0_4arch9wavefront6targetE1EEEvT1_,comdat
.Lfunc_end116:
	.size	_ZN7rocprim17ROCPRIM_400000_NS6detail17trampoline_kernelINS0_14default_configENS1_25partition_config_selectorILNS1_17partition_subalgoE3EiNS0_10empty_typeEbEEZZNS1_14partition_implILS5_3ELb0ES3_jN6thrust23THRUST_200600_302600_NS6detail15normal_iteratorINSA_7pointerIiNSA_11hip_rocprim3tagENSA_11use_defaultESG_EEEEPS6_SJ_NS0_5tupleIJPiSJ_EEENSK_IJSJ_SJ_EEES6_PlJ7is_evenIiEEEE10hipError_tPvRmT3_T4_T5_T6_T7_T9_mT8_P12ihipStream_tbDpT10_ENKUlT_T0_E_clISt17integral_constantIbLb0EES19_IbLb1EEEEDaS15_S16_EUlS15_E_NS1_11comp_targetILNS1_3genE2ELNS1_11target_archE906ELNS1_3gpuE6ELNS1_3repE0EEENS1_30default_config_static_selectorELNS0_4arch9wavefront6targetE1EEEvT1_, .Lfunc_end116-_ZN7rocprim17ROCPRIM_400000_NS6detail17trampoline_kernelINS0_14default_configENS1_25partition_config_selectorILNS1_17partition_subalgoE3EiNS0_10empty_typeEbEEZZNS1_14partition_implILS5_3ELb0ES3_jN6thrust23THRUST_200600_302600_NS6detail15normal_iteratorINSA_7pointerIiNSA_11hip_rocprim3tagENSA_11use_defaultESG_EEEEPS6_SJ_NS0_5tupleIJPiSJ_EEENSK_IJSJ_SJ_EEES6_PlJ7is_evenIiEEEE10hipError_tPvRmT3_T4_T5_T6_T7_T9_mT8_P12ihipStream_tbDpT10_ENKUlT_T0_E_clISt17integral_constantIbLb0EES19_IbLb1EEEEDaS15_S16_EUlS15_E_NS1_11comp_targetILNS1_3genE2ELNS1_11target_archE906ELNS1_3gpuE6ELNS1_3repE0EEENS1_30default_config_static_selectorELNS0_4arch9wavefront6targetE1EEEvT1_
                                        ; -- End function
	.section	.AMDGPU.csdata,"",@progbits
; Kernel info:
; codeLenInByte = 0
; NumSgprs: 6
; NumVgprs: 0
; NumAgprs: 0
; TotalNumVgprs: 0
; ScratchSize: 0
; MemoryBound: 0
; FloatMode: 240
; IeeeMode: 1
; LDSByteSize: 0 bytes/workgroup (compile time only)
; SGPRBlocks: 0
; VGPRBlocks: 0
; NumSGPRsForWavesPerEU: 6
; NumVGPRsForWavesPerEU: 1
; AccumOffset: 4
; Occupancy: 8
; WaveLimiterHint : 0
; COMPUTE_PGM_RSRC2:SCRATCH_EN: 0
; COMPUTE_PGM_RSRC2:USER_SGPR: 2
; COMPUTE_PGM_RSRC2:TRAP_HANDLER: 0
; COMPUTE_PGM_RSRC2:TGID_X_EN: 1
; COMPUTE_PGM_RSRC2:TGID_Y_EN: 0
; COMPUTE_PGM_RSRC2:TGID_Z_EN: 0
; COMPUTE_PGM_RSRC2:TIDIG_COMP_CNT: 0
; COMPUTE_PGM_RSRC3_GFX90A:ACCUM_OFFSET: 0
; COMPUTE_PGM_RSRC3_GFX90A:TG_SPLIT: 0
	.section	.text._ZN7rocprim17ROCPRIM_400000_NS6detail17trampoline_kernelINS0_14default_configENS1_25partition_config_selectorILNS1_17partition_subalgoE3EiNS0_10empty_typeEbEEZZNS1_14partition_implILS5_3ELb0ES3_jN6thrust23THRUST_200600_302600_NS6detail15normal_iteratorINSA_7pointerIiNSA_11hip_rocprim3tagENSA_11use_defaultESG_EEEEPS6_SJ_NS0_5tupleIJPiSJ_EEENSK_IJSJ_SJ_EEES6_PlJ7is_evenIiEEEE10hipError_tPvRmT3_T4_T5_T6_T7_T9_mT8_P12ihipStream_tbDpT10_ENKUlT_T0_E_clISt17integral_constantIbLb0EES19_IbLb1EEEEDaS15_S16_EUlS15_E_NS1_11comp_targetILNS1_3genE10ELNS1_11target_archE1200ELNS1_3gpuE4ELNS1_3repE0EEENS1_30default_config_static_selectorELNS0_4arch9wavefront6targetE1EEEvT1_,"axG",@progbits,_ZN7rocprim17ROCPRIM_400000_NS6detail17trampoline_kernelINS0_14default_configENS1_25partition_config_selectorILNS1_17partition_subalgoE3EiNS0_10empty_typeEbEEZZNS1_14partition_implILS5_3ELb0ES3_jN6thrust23THRUST_200600_302600_NS6detail15normal_iteratorINSA_7pointerIiNSA_11hip_rocprim3tagENSA_11use_defaultESG_EEEEPS6_SJ_NS0_5tupleIJPiSJ_EEENSK_IJSJ_SJ_EEES6_PlJ7is_evenIiEEEE10hipError_tPvRmT3_T4_T5_T6_T7_T9_mT8_P12ihipStream_tbDpT10_ENKUlT_T0_E_clISt17integral_constantIbLb0EES19_IbLb1EEEEDaS15_S16_EUlS15_E_NS1_11comp_targetILNS1_3genE10ELNS1_11target_archE1200ELNS1_3gpuE4ELNS1_3repE0EEENS1_30default_config_static_selectorELNS0_4arch9wavefront6targetE1EEEvT1_,comdat
	.protected	_ZN7rocprim17ROCPRIM_400000_NS6detail17trampoline_kernelINS0_14default_configENS1_25partition_config_selectorILNS1_17partition_subalgoE3EiNS0_10empty_typeEbEEZZNS1_14partition_implILS5_3ELb0ES3_jN6thrust23THRUST_200600_302600_NS6detail15normal_iteratorINSA_7pointerIiNSA_11hip_rocprim3tagENSA_11use_defaultESG_EEEEPS6_SJ_NS0_5tupleIJPiSJ_EEENSK_IJSJ_SJ_EEES6_PlJ7is_evenIiEEEE10hipError_tPvRmT3_T4_T5_T6_T7_T9_mT8_P12ihipStream_tbDpT10_ENKUlT_T0_E_clISt17integral_constantIbLb0EES19_IbLb1EEEEDaS15_S16_EUlS15_E_NS1_11comp_targetILNS1_3genE10ELNS1_11target_archE1200ELNS1_3gpuE4ELNS1_3repE0EEENS1_30default_config_static_selectorELNS0_4arch9wavefront6targetE1EEEvT1_ ; -- Begin function _ZN7rocprim17ROCPRIM_400000_NS6detail17trampoline_kernelINS0_14default_configENS1_25partition_config_selectorILNS1_17partition_subalgoE3EiNS0_10empty_typeEbEEZZNS1_14partition_implILS5_3ELb0ES3_jN6thrust23THRUST_200600_302600_NS6detail15normal_iteratorINSA_7pointerIiNSA_11hip_rocprim3tagENSA_11use_defaultESG_EEEEPS6_SJ_NS0_5tupleIJPiSJ_EEENSK_IJSJ_SJ_EEES6_PlJ7is_evenIiEEEE10hipError_tPvRmT3_T4_T5_T6_T7_T9_mT8_P12ihipStream_tbDpT10_ENKUlT_T0_E_clISt17integral_constantIbLb0EES19_IbLb1EEEEDaS15_S16_EUlS15_E_NS1_11comp_targetILNS1_3genE10ELNS1_11target_archE1200ELNS1_3gpuE4ELNS1_3repE0EEENS1_30default_config_static_selectorELNS0_4arch9wavefront6targetE1EEEvT1_
	.globl	_ZN7rocprim17ROCPRIM_400000_NS6detail17trampoline_kernelINS0_14default_configENS1_25partition_config_selectorILNS1_17partition_subalgoE3EiNS0_10empty_typeEbEEZZNS1_14partition_implILS5_3ELb0ES3_jN6thrust23THRUST_200600_302600_NS6detail15normal_iteratorINSA_7pointerIiNSA_11hip_rocprim3tagENSA_11use_defaultESG_EEEEPS6_SJ_NS0_5tupleIJPiSJ_EEENSK_IJSJ_SJ_EEES6_PlJ7is_evenIiEEEE10hipError_tPvRmT3_T4_T5_T6_T7_T9_mT8_P12ihipStream_tbDpT10_ENKUlT_T0_E_clISt17integral_constantIbLb0EES19_IbLb1EEEEDaS15_S16_EUlS15_E_NS1_11comp_targetILNS1_3genE10ELNS1_11target_archE1200ELNS1_3gpuE4ELNS1_3repE0EEENS1_30default_config_static_selectorELNS0_4arch9wavefront6targetE1EEEvT1_
	.p2align	8
	.type	_ZN7rocprim17ROCPRIM_400000_NS6detail17trampoline_kernelINS0_14default_configENS1_25partition_config_selectorILNS1_17partition_subalgoE3EiNS0_10empty_typeEbEEZZNS1_14partition_implILS5_3ELb0ES3_jN6thrust23THRUST_200600_302600_NS6detail15normal_iteratorINSA_7pointerIiNSA_11hip_rocprim3tagENSA_11use_defaultESG_EEEEPS6_SJ_NS0_5tupleIJPiSJ_EEENSK_IJSJ_SJ_EEES6_PlJ7is_evenIiEEEE10hipError_tPvRmT3_T4_T5_T6_T7_T9_mT8_P12ihipStream_tbDpT10_ENKUlT_T0_E_clISt17integral_constantIbLb0EES19_IbLb1EEEEDaS15_S16_EUlS15_E_NS1_11comp_targetILNS1_3genE10ELNS1_11target_archE1200ELNS1_3gpuE4ELNS1_3repE0EEENS1_30default_config_static_selectorELNS0_4arch9wavefront6targetE1EEEvT1_,@function
_ZN7rocprim17ROCPRIM_400000_NS6detail17trampoline_kernelINS0_14default_configENS1_25partition_config_selectorILNS1_17partition_subalgoE3EiNS0_10empty_typeEbEEZZNS1_14partition_implILS5_3ELb0ES3_jN6thrust23THRUST_200600_302600_NS6detail15normal_iteratorINSA_7pointerIiNSA_11hip_rocprim3tagENSA_11use_defaultESG_EEEEPS6_SJ_NS0_5tupleIJPiSJ_EEENSK_IJSJ_SJ_EEES6_PlJ7is_evenIiEEEE10hipError_tPvRmT3_T4_T5_T6_T7_T9_mT8_P12ihipStream_tbDpT10_ENKUlT_T0_E_clISt17integral_constantIbLb0EES19_IbLb1EEEEDaS15_S16_EUlS15_E_NS1_11comp_targetILNS1_3genE10ELNS1_11target_archE1200ELNS1_3gpuE4ELNS1_3repE0EEENS1_30default_config_static_selectorELNS0_4arch9wavefront6targetE1EEEvT1_: ; @_ZN7rocprim17ROCPRIM_400000_NS6detail17trampoline_kernelINS0_14default_configENS1_25partition_config_selectorILNS1_17partition_subalgoE3EiNS0_10empty_typeEbEEZZNS1_14partition_implILS5_3ELb0ES3_jN6thrust23THRUST_200600_302600_NS6detail15normal_iteratorINSA_7pointerIiNSA_11hip_rocprim3tagENSA_11use_defaultESG_EEEEPS6_SJ_NS0_5tupleIJPiSJ_EEENSK_IJSJ_SJ_EEES6_PlJ7is_evenIiEEEE10hipError_tPvRmT3_T4_T5_T6_T7_T9_mT8_P12ihipStream_tbDpT10_ENKUlT_T0_E_clISt17integral_constantIbLb0EES19_IbLb1EEEEDaS15_S16_EUlS15_E_NS1_11comp_targetILNS1_3genE10ELNS1_11target_archE1200ELNS1_3gpuE4ELNS1_3repE0EEENS1_30default_config_static_selectorELNS0_4arch9wavefront6targetE1EEEvT1_
; %bb.0:
	.section	.rodata,"a",@progbits
	.p2align	6, 0x0
	.amdhsa_kernel _ZN7rocprim17ROCPRIM_400000_NS6detail17trampoline_kernelINS0_14default_configENS1_25partition_config_selectorILNS1_17partition_subalgoE3EiNS0_10empty_typeEbEEZZNS1_14partition_implILS5_3ELb0ES3_jN6thrust23THRUST_200600_302600_NS6detail15normal_iteratorINSA_7pointerIiNSA_11hip_rocprim3tagENSA_11use_defaultESG_EEEEPS6_SJ_NS0_5tupleIJPiSJ_EEENSK_IJSJ_SJ_EEES6_PlJ7is_evenIiEEEE10hipError_tPvRmT3_T4_T5_T6_T7_T9_mT8_P12ihipStream_tbDpT10_ENKUlT_T0_E_clISt17integral_constantIbLb0EES19_IbLb1EEEEDaS15_S16_EUlS15_E_NS1_11comp_targetILNS1_3genE10ELNS1_11target_archE1200ELNS1_3gpuE4ELNS1_3repE0EEENS1_30default_config_static_selectorELNS0_4arch9wavefront6targetE1EEEvT1_
		.amdhsa_group_segment_fixed_size 0
		.amdhsa_private_segment_fixed_size 0
		.amdhsa_kernarg_size 136
		.amdhsa_user_sgpr_count 2
		.amdhsa_user_sgpr_dispatch_ptr 0
		.amdhsa_user_sgpr_queue_ptr 0
		.amdhsa_user_sgpr_kernarg_segment_ptr 1
		.amdhsa_user_sgpr_dispatch_id 0
		.amdhsa_user_sgpr_kernarg_preload_length 0
		.amdhsa_user_sgpr_kernarg_preload_offset 0
		.amdhsa_user_sgpr_private_segment_size 0
		.amdhsa_uses_dynamic_stack 0
		.amdhsa_enable_private_segment 0
		.amdhsa_system_sgpr_workgroup_id_x 1
		.amdhsa_system_sgpr_workgroup_id_y 0
		.amdhsa_system_sgpr_workgroup_id_z 0
		.amdhsa_system_sgpr_workgroup_info 0
		.amdhsa_system_vgpr_workitem_id 0
		.amdhsa_next_free_vgpr 1
		.amdhsa_next_free_sgpr 0
		.amdhsa_accum_offset 4
		.amdhsa_reserve_vcc 0
		.amdhsa_float_round_mode_32 0
		.amdhsa_float_round_mode_16_64 0
		.amdhsa_float_denorm_mode_32 3
		.amdhsa_float_denorm_mode_16_64 3
		.amdhsa_dx10_clamp 1
		.amdhsa_ieee_mode 1
		.amdhsa_fp16_overflow 0
		.amdhsa_tg_split 0
		.amdhsa_exception_fp_ieee_invalid_op 0
		.amdhsa_exception_fp_denorm_src 0
		.amdhsa_exception_fp_ieee_div_zero 0
		.amdhsa_exception_fp_ieee_overflow 0
		.amdhsa_exception_fp_ieee_underflow 0
		.amdhsa_exception_fp_ieee_inexact 0
		.amdhsa_exception_int_div_zero 0
	.end_amdhsa_kernel
	.section	.text._ZN7rocprim17ROCPRIM_400000_NS6detail17trampoline_kernelINS0_14default_configENS1_25partition_config_selectorILNS1_17partition_subalgoE3EiNS0_10empty_typeEbEEZZNS1_14partition_implILS5_3ELb0ES3_jN6thrust23THRUST_200600_302600_NS6detail15normal_iteratorINSA_7pointerIiNSA_11hip_rocprim3tagENSA_11use_defaultESG_EEEEPS6_SJ_NS0_5tupleIJPiSJ_EEENSK_IJSJ_SJ_EEES6_PlJ7is_evenIiEEEE10hipError_tPvRmT3_T4_T5_T6_T7_T9_mT8_P12ihipStream_tbDpT10_ENKUlT_T0_E_clISt17integral_constantIbLb0EES19_IbLb1EEEEDaS15_S16_EUlS15_E_NS1_11comp_targetILNS1_3genE10ELNS1_11target_archE1200ELNS1_3gpuE4ELNS1_3repE0EEENS1_30default_config_static_selectorELNS0_4arch9wavefront6targetE1EEEvT1_,"axG",@progbits,_ZN7rocprim17ROCPRIM_400000_NS6detail17trampoline_kernelINS0_14default_configENS1_25partition_config_selectorILNS1_17partition_subalgoE3EiNS0_10empty_typeEbEEZZNS1_14partition_implILS5_3ELb0ES3_jN6thrust23THRUST_200600_302600_NS6detail15normal_iteratorINSA_7pointerIiNSA_11hip_rocprim3tagENSA_11use_defaultESG_EEEEPS6_SJ_NS0_5tupleIJPiSJ_EEENSK_IJSJ_SJ_EEES6_PlJ7is_evenIiEEEE10hipError_tPvRmT3_T4_T5_T6_T7_T9_mT8_P12ihipStream_tbDpT10_ENKUlT_T0_E_clISt17integral_constantIbLb0EES19_IbLb1EEEEDaS15_S16_EUlS15_E_NS1_11comp_targetILNS1_3genE10ELNS1_11target_archE1200ELNS1_3gpuE4ELNS1_3repE0EEENS1_30default_config_static_selectorELNS0_4arch9wavefront6targetE1EEEvT1_,comdat
.Lfunc_end117:
	.size	_ZN7rocprim17ROCPRIM_400000_NS6detail17trampoline_kernelINS0_14default_configENS1_25partition_config_selectorILNS1_17partition_subalgoE3EiNS0_10empty_typeEbEEZZNS1_14partition_implILS5_3ELb0ES3_jN6thrust23THRUST_200600_302600_NS6detail15normal_iteratorINSA_7pointerIiNSA_11hip_rocprim3tagENSA_11use_defaultESG_EEEEPS6_SJ_NS0_5tupleIJPiSJ_EEENSK_IJSJ_SJ_EEES6_PlJ7is_evenIiEEEE10hipError_tPvRmT3_T4_T5_T6_T7_T9_mT8_P12ihipStream_tbDpT10_ENKUlT_T0_E_clISt17integral_constantIbLb0EES19_IbLb1EEEEDaS15_S16_EUlS15_E_NS1_11comp_targetILNS1_3genE10ELNS1_11target_archE1200ELNS1_3gpuE4ELNS1_3repE0EEENS1_30default_config_static_selectorELNS0_4arch9wavefront6targetE1EEEvT1_, .Lfunc_end117-_ZN7rocprim17ROCPRIM_400000_NS6detail17trampoline_kernelINS0_14default_configENS1_25partition_config_selectorILNS1_17partition_subalgoE3EiNS0_10empty_typeEbEEZZNS1_14partition_implILS5_3ELb0ES3_jN6thrust23THRUST_200600_302600_NS6detail15normal_iteratorINSA_7pointerIiNSA_11hip_rocprim3tagENSA_11use_defaultESG_EEEEPS6_SJ_NS0_5tupleIJPiSJ_EEENSK_IJSJ_SJ_EEES6_PlJ7is_evenIiEEEE10hipError_tPvRmT3_T4_T5_T6_T7_T9_mT8_P12ihipStream_tbDpT10_ENKUlT_T0_E_clISt17integral_constantIbLb0EES19_IbLb1EEEEDaS15_S16_EUlS15_E_NS1_11comp_targetILNS1_3genE10ELNS1_11target_archE1200ELNS1_3gpuE4ELNS1_3repE0EEENS1_30default_config_static_selectorELNS0_4arch9wavefront6targetE1EEEvT1_
                                        ; -- End function
	.section	.AMDGPU.csdata,"",@progbits
; Kernel info:
; codeLenInByte = 0
; NumSgprs: 6
; NumVgprs: 0
; NumAgprs: 0
; TotalNumVgprs: 0
; ScratchSize: 0
; MemoryBound: 0
; FloatMode: 240
; IeeeMode: 1
; LDSByteSize: 0 bytes/workgroup (compile time only)
; SGPRBlocks: 0
; VGPRBlocks: 0
; NumSGPRsForWavesPerEU: 6
; NumVGPRsForWavesPerEU: 1
; AccumOffset: 4
; Occupancy: 8
; WaveLimiterHint : 0
; COMPUTE_PGM_RSRC2:SCRATCH_EN: 0
; COMPUTE_PGM_RSRC2:USER_SGPR: 2
; COMPUTE_PGM_RSRC2:TRAP_HANDLER: 0
; COMPUTE_PGM_RSRC2:TGID_X_EN: 1
; COMPUTE_PGM_RSRC2:TGID_Y_EN: 0
; COMPUTE_PGM_RSRC2:TGID_Z_EN: 0
; COMPUTE_PGM_RSRC2:TIDIG_COMP_CNT: 0
; COMPUTE_PGM_RSRC3_GFX90A:ACCUM_OFFSET: 0
; COMPUTE_PGM_RSRC3_GFX90A:TG_SPLIT: 0
	.section	.text._ZN7rocprim17ROCPRIM_400000_NS6detail17trampoline_kernelINS0_14default_configENS1_25partition_config_selectorILNS1_17partition_subalgoE3EiNS0_10empty_typeEbEEZZNS1_14partition_implILS5_3ELb0ES3_jN6thrust23THRUST_200600_302600_NS6detail15normal_iteratorINSA_7pointerIiNSA_11hip_rocprim3tagENSA_11use_defaultESG_EEEEPS6_SJ_NS0_5tupleIJPiSJ_EEENSK_IJSJ_SJ_EEES6_PlJ7is_evenIiEEEE10hipError_tPvRmT3_T4_T5_T6_T7_T9_mT8_P12ihipStream_tbDpT10_ENKUlT_T0_E_clISt17integral_constantIbLb0EES19_IbLb1EEEEDaS15_S16_EUlS15_E_NS1_11comp_targetILNS1_3genE9ELNS1_11target_archE1100ELNS1_3gpuE3ELNS1_3repE0EEENS1_30default_config_static_selectorELNS0_4arch9wavefront6targetE1EEEvT1_,"axG",@progbits,_ZN7rocprim17ROCPRIM_400000_NS6detail17trampoline_kernelINS0_14default_configENS1_25partition_config_selectorILNS1_17partition_subalgoE3EiNS0_10empty_typeEbEEZZNS1_14partition_implILS5_3ELb0ES3_jN6thrust23THRUST_200600_302600_NS6detail15normal_iteratorINSA_7pointerIiNSA_11hip_rocprim3tagENSA_11use_defaultESG_EEEEPS6_SJ_NS0_5tupleIJPiSJ_EEENSK_IJSJ_SJ_EEES6_PlJ7is_evenIiEEEE10hipError_tPvRmT3_T4_T5_T6_T7_T9_mT8_P12ihipStream_tbDpT10_ENKUlT_T0_E_clISt17integral_constantIbLb0EES19_IbLb1EEEEDaS15_S16_EUlS15_E_NS1_11comp_targetILNS1_3genE9ELNS1_11target_archE1100ELNS1_3gpuE3ELNS1_3repE0EEENS1_30default_config_static_selectorELNS0_4arch9wavefront6targetE1EEEvT1_,comdat
	.protected	_ZN7rocprim17ROCPRIM_400000_NS6detail17trampoline_kernelINS0_14default_configENS1_25partition_config_selectorILNS1_17partition_subalgoE3EiNS0_10empty_typeEbEEZZNS1_14partition_implILS5_3ELb0ES3_jN6thrust23THRUST_200600_302600_NS6detail15normal_iteratorINSA_7pointerIiNSA_11hip_rocprim3tagENSA_11use_defaultESG_EEEEPS6_SJ_NS0_5tupleIJPiSJ_EEENSK_IJSJ_SJ_EEES6_PlJ7is_evenIiEEEE10hipError_tPvRmT3_T4_T5_T6_T7_T9_mT8_P12ihipStream_tbDpT10_ENKUlT_T0_E_clISt17integral_constantIbLb0EES19_IbLb1EEEEDaS15_S16_EUlS15_E_NS1_11comp_targetILNS1_3genE9ELNS1_11target_archE1100ELNS1_3gpuE3ELNS1_3repE0EEENS1_30default_config_static_selectorELNS0_4arch9wavefront6targetE1EEEvT1_ ; -- Begin function _ZN7rocprim17ROCPRIM_400000_NS6detail17trampoline_kernelINS0_14default_configENS1_25partition_config_selectorILNS1_17partition_subalgoE3EiNS0_10empty_typeEbEEZZNS1_14partition_implILS5_3ELb0ES3_jN6thrust23THRUST_200600_302600_NS6detail15normal_iteratorINSA_7pointerIiNSA_11hip_rocprim3tagENSA_11use_defaultESG_EEEEPS6_SJ_NS0_5tupleIJPiSJ_EEENSK_IJSJ_SJ_EEES6_PlJ7is_evenIiEEEE10hipError_tPvRmT3_T4_T5_T6_T7_T9_mT8_P12ihipStream_tbDpT10_ENKUlT_T0_E_clISt17integral_constantIbLb0EES19_IbLb1EEEEDaS15_S16_EUlS15_E_NS1_11comp_targetILNS1_3genE9ELNS1_11target_archE1100ELNS1_3gpuE3ELNS1_3repE0EEENS1_30default_config_static_selectorELNS0_4arch9wavefront6targetE1EEEvT1_
	.globl	_ZN7rocprim17ROCPRIM_400000_NS6detail17trampoline_kernelINS0_14default_configENS1_25partition_config_selectorILNS1_17partition_subalgoE3EiNS0_10empty_typeEbEEZZNS1_14partition_implILS5_3ELb0ES3_jN6thrust23THRUST_200600_302600_NS6detail15normal_iteratorINSA_7pointerIiNSA_11hip_rocprim3tagENSA_11use_defaultESG_EEEEPS6_SJ_NS0_5tupleIJPiSJ_EEENSK_IJSJ_SJ_EEES6_PlJ7is_evenIiEEEE10hipError_tPvRmT3_T4_T5_T6_T7_T9_mT8_P12ihipStream_tbDpT10_ENKUlT_T0_E_clISt17integral_constantIbLb0EES19_IbLb1EEEEDaS15_S16_EUlS15_E_NS1_11comp_targetILNS1_3genE9ELNS1_11target_archE1100ELNS1_3gpuE3ELNS1_3repE0EEENS1_30default_config_static_selectorELNS0_4arch9wavefront6targetE1EEEvT1_
	.p2align	8
	.type	_ZN7rocprim17ROCPRIM_400000_NS6detail17trampoline_kernelINS0_14default_configENS1_25partition_config_selectorILNS1_17partition_subalgoE3EiNS0_10empty_typeEbEEZZNS1_14partition_implILS5_3ELb0ES3_jN6thrust23THRUST_200600_302600_NS6detail15normal_iteratorINSA_7pointerIiNSA_11hip_rocprim3tagENSA_11use_defaultESG_EEEEPS6_SJ_NS0_5tupleIJPiSJ_EEENSK_IJSJ_SJ_EEES6_PlJ7is_evenIiEEEE10hipError_tPvRmT3_T4_T5_T6_T7_T9_mT8_P12ihipStream_tbDpT10_ENKUlT_T0_E_clISt17integral_constantIbLb0EES19_IbLb1EEEEDaS15_S16_EUlS15_E_NS1_11comp_targetILNS1_3genE9ELNS1_11target_archE1100ELNS1_3gpuE3ELNS1_3repE0EEENS1_30default_config_static_selectorELNS0_4arch9wavefront6targetE1EEEvT1_,@function
_ZN7rocprim17ROCPRIM_400000_NS6detail17trampoline_kernelINS0_14default_configENS1_25partition_config_selectorILNS1_17partition_subalgoE3EiNS0_10empty_typeEbEEZZNS1_14partition_implILS5_3ELb0ES3_jN6thrust23THRUST_200600_302600_NS6detail15normal_iteratorINSA_7pointerIiNSA_11hip_rocprim3tagENSA_11use_defaultESG_EEEEPS6_SJ_NS0_5tupleIJPiSJ_EEENSK_IJSJ_SJ_EEES6_PlJ7is_evenIiEEEE10hipError_tPvRmT3_T4_T5_T6_T7_T9_mT8_P12ihipStream_tbDpT10_ENKUlT_T0_E_clISt17integral_constantIbLb0EES19_IbLb1EEEEDaS15_S16_EUlS15_E_NS1_11comp_targetILNS1_3genE9ELNS1_11target_archE1100ELNS1_3gpuE3ELNS1_3repE0EEENS1_30default_config_static_selectorELNS0_4arch9wavefront6targetE1EEEvT1_: ; @_ZN7rocprim17ROCPRIM_400000_NS6detail17trampoline_kernelINS0_14default_configENS1_25partition_config_selectorILNS1_17partition_subalgoE3EiNS0_10empty_typeEbEEZZNS1_14partition_implILS5_3ELb0ES3_jN6thrust23THRUST_200600_302600_NS6detail15normal_iteratorINSA_7pointerIiNSA_11hip_rocprim3tagENSA_11use_defaultESG_EEEEPS6_SJ_NS0_5tupleIJPiSJ_EEENSK_IJSJ_SJ_EEES6_PlJ7is_evenIiEEEE10hipError_tPvRmT3_T4_T5_T6_T7_T9_mT8_P12ihipStream_tbDpT10_ENKUlT_T0_E_clISt17integral_constantIbLb0EES19_IbLb1EEEEDaS15_S16_EUlS15_E_NS1_11comp_targetILNS1_3genE9ELNS1_11target_archE1100ELNS1_3gpuE3ELNS1_3repE0EEENS1_30default_config_static_selectorELNS0_4arch9wavefront6targetE1EEEvT1_
; %bb.0:
	.section	.rodata,"a",@progbits
	.p2align	6, 0x0
	.amdhsa_kernel _ZN7rocprim17ROCPRIM_400000_NS6detail17trampoline_kernelINS0_14default_configENS1_25partition_config_selectorILNS1_17partition_subalgoE3EiNS0_10empty_typeEbEEZZNS1_14partition_implILS5_3ELb0ES3_jN6thrust23THRUST_200600_302600_NS6detail15normal_iteratorINSA_7pointerIiNSA_11hip_rocprim3tagENSA_11use_defaultESG_EEEEPS6_SJ_NS0_5tupleIJPiSJ_EEENSK_IJSJ_SJ_EEES6_PlJ7is_evenIiEEEE10hipError_tPvRmT3_T4_T5_T6_T7_T9_mT8_P12ihipStream_tbDpT10_ENKUlT_T0_E_clISt17integral_constantIbLb0EES19_IbLb1EEEEDaS15_S16_EUlS15_E_NS1_11comp_targetILNS1_3genE9ELNS1_11target_archE1100ELNS1_3gpuE3ELNS1_3repE0EEENS1_30default_config_static_selectorELNS0_4arch9wavefront6targetE1EEEvT1_
		.amdhsa_group_segment_fixed_size 0
		.amdhsa_private_segment_fixed_size 0
		.amdhsa_kernarg_size 136
		.amdhsa_user_sgpr_count 2
		.amdhsa_user_sgpr_dispatch_ptr 0
		.amdhsa_user_sgpr_queue_ptr 0
		.amdhsa_user_sgpr_kernarg_segment_ptr 1
		.amdhsa_user_sgpr_dispatch_id 0
		.amdhsa_user_sgpr_kernarg_preload_length 0
		.amdhsa_user_sgpr_kernarg_preload_offset 0
		.amdhsa_user_sgpr_private_segment_size 0
		.amdhsa_uses_dynamic_stack 0
		.amdhsa_enable_private_segment 0
		.amdhsa_system_sgpr_workgroup_id_x 1
		.amdhsa_system_sgpr_workgroup_id_y 0
		.amdhsa_system_sgpr_workgroup_id_z 0
		.amdhsa_system_sgpr_workgroup_info 0
		.amdhsa_system_vgpr_workitem_id 0
		.amdhsa_next_free_vgpr 1
		.amdhsa_next_free_sgpr 0
		.amdhsa_accum_offset 4
		.amdhsa_reserve_vcc 0
		.amdhsa_float_round_mode_32 0
		.amdhsa_float_round_mode_16_64 0
		.amdhsa_float_denorm_mode_32 3
		.amdhsa_float_denorm_mode_16_64 3
		.amdhsa_dx10_clamp 1
		.amdhsa_ieee_mode 1
		.amdhsa_fp16_overflow 0
		.amdhsa_tg_split 0
		.amdhsa_exception_fp_ieee_invalid_op 0
		.amdhsa_exception_fp_denorm_src 0
		.amdhsa_exception_fp_ieee_div_zero 0
		.amdhsa_exception_fp_ieee_overflow 0
		.amdhsa_exception_fp_ieee_underflow 0
		.amdhsa_exception_fp_ieee_inexact 0
		.amdhsa_exception_int_div_zero 0
	.end_amdhsa_kernel
	.section	.text._ZN7rocprim17ROCPRIM_400000_NS6detail17trampoline_kernelINS0_14default_configENS1_25partition_config_selectorILNS1_17partition_subalgoE3EiNS0_10empty_typeEbEEZZNS1_14partition_implILS5_3ELb0ES3_jN6thrust23THRUST_200600_302600_NS6detail15normal_iteratorINSA_7pointerIiNSA_11hip_rocprim3tagENSA_11use_defaultESG_EEEEPS6_SJ_NS0_5tupleIJPiSJ_EEENSK_IJSJ_SJ_EEES6_PlJ7is_evenIiEEEE10hipError_tPvRmT3_T4_T5_T6_T7_T9_mT8_P12ihipStream_tbDpT10_ENKUlT_T0_E_clISt17integral_constantIbLb0EES19_IbLb1EEEEDaS15_S16_EUlS15_E_NS1_11comp_targetILNS1_3genE9ELNS1_11target_archE1100ELNS1_3gpuE3ELNS1_3repE0EEENS1_30default_config_static_selectorELNS0_4arch9wavefront6targetE1EEEvT1_,"axG",@progbits,_ZN7rocprim17ROCPRIM_400000_NS6detail17trampoline_kernelINS0_14default_configENS1_25partition_config_selectorILNS1_17partition_subalgoE3EiNS0_10empty_typeEbEEZZNS1_14partition_implILS5_3ELb0ES3_jN6thrust23THRUST_200600_302600_NS6detail15normal_iteratorINSA_7pointerIiNSA_11hip_rocprim3tagENSA_11use_defaultESG_EEEEPS6_SJ_NS0_5tupleIJPiSJ_EEENSK_IJSJ_SJ_EEES6_PlJ7is_evenIiEEEE10hipError_tPvRmT3_T4_T5_T6_T7_T9_mT8_P12ihipStream_tbDpT10_ENKUlT_T0_E_clISt17integral_constantIbLb0EES19_IbLb1EEEEDaS15_S16_EUlS15_E_NS1_11comp_targetILNS1_3genE9ELNS1_11target_archE1100ELNS1_3gpuE3ELNS1_3repE0EEENS1_30default_config_static_selectorELNS0_4arch9wavefront6targetE1EEEvT1_,comdat
.Lfunc_end118:
	.size	_ZN7rocprim17ROCPRIM_400000_NS6detail17trampoline_kernelINS0_14default_configENS1_25partition_config_selectorILNS1_17partition_subalgoE3EiNS0_10empty_typeEbEEZZNS1_14partition_implILS5_3ELb0ES3_jN6thrust23THRUST_200600_302600_NS6detail15normal_iteratorINSA_7pointerIiNSA_11hip_rocprim3tagENSA_11use_defaultESG_EEEEPS6_SJ_NS0_5tupleIJPiSJ_EEENSK_IJSJ_SJ_EEES6_PlJ7is_evenIiEEEE10hipError_tPvRmT3_T4_T5_T6_T7_T9_mT8_P12ihipStream_tbDpT10_ENKUlT_T0_E_clISt17integral_constantIbLb0EES19_IbLb1EEEEDaS15_S16_EUlS15_E_NS1_11comp_targetILNS1_3genE9ELNS1_11target_archE1100ELNS1_3gpuE3ELNS1_3repE0EEENS1_30default_config_static_selectorELNS0_4arch9wavefront6targetE1EEEvT1_, .Lfunc_end118-_ZN7rocprim17ROCPRIM_400000_NS6detail17trampoline_kernelINS0_14default_configENS1_25partition_config_selectorILNS1_17partition_subalgoE3EiNS0_10empty_typeEbEEZZNS1_14partition_implILS5_3ELb0ES3_jN6thrust23THRUST_200600_302600_NS6detail15normal_iteratorINSA_7pointerIiNSA_11hip_rocprim3tagENSA_11use_defaultESG_EEEEPS6_SJ_NS0_5tupleIJPiSJ_EEENSK_IJSJ_SJ_EEES6_PlJ7is_evenIiEEEE10hipError_tPvRmT3_T4_T5_T6_T7_T9_mT8_P12ihipStream_tbDpT10_ENKUlT_T0_E_clISt17integral_constantIbLb0EES19_IbLb1EEEEDaS15_S16_EUlS15_E_NS1_11comp_targetILNS1_3genE9ELNS1_11target_archE1100ELNS1_3gpuE3ELNS1_3repE0EEENS1_30default_config_static_selectorELNS0_4arch9wavefront6targetE1EEEvT1_
                                        ; -- End function
	.section	.AMDGPU.csdata,"",@progbits
; Kernel info:
; codeLenInByte = 0
; NumSgprs: 6
; NumVgprs: 0
; NumAgprs: 0
; TotalNumVgprs: 0
; ScratchSize: 0
; MemoryBound: 0
; FloatMode: 240
; IeeeMode: 1
; LDSByteSize: 0 bytes/workgroup (compile time only)
; SGPRBlocks: 0
; VGPRBlocks: 0
; NumSGPRsForWavesPerEU: 6
; NumVGPRsForWavesPerEU: 1
; AccumOffset: 4
; Occupancy: 8
; WaveLimiterHint : 0
; COMPUTE_PGM_RSRC2:SCRATCH_EN: 0
; COMPUTE_PGM_RSRC2:USER_SGPR: 2
; COMPUTE_PGM_RSRC2:TRAP_HANDLER: 0
; COMPUTE_PGM_RSRC2:TGID_X_EN: 1
; COMPUTE_PGM_RSRC2:TGID_Y_EN: 0
; COMPUTE_PGM_RSRC2:TGID_Z_EN: 0
; COMPUTE_PGM_RSRC2:TIDIG_COMP_CNT: 0
; COMPUTE_PGM_RSRC3_GFX90A:ACCUM_OFFSET: 0
; COMPUTE_PGM_RSRC3_GFX90A:TG_SPLIT: 0
	.section	.text._ZN7rocprim17ROCPRIM_400000_NS6detail17trampoline_kernelINS0_14default_configENS1_25partition_config_selectorILNS1_17partition_subalgoE3EiNS0_10empty_typeEbEEZZNS1_14partition_implILS5_3ELb0ES3_jN6thrust23THRUST_200600_302600_NS6detail15normal_iteratorINSA_7pointerIiNSA_11hip_rocprim3tagENSA_11use_defaultESG_EEEEPS6_SJ_NS0_5tupleIJPiSJ_EEENSK_IJSJ_SJ_EEES6_PlJ7is_evenIiEEEE10hipError_tPvRmT3_T4_T5_T6_T7_T9_mT8_P12ihipStream_tbDpT10_ENKUlT_T0_E_clISt17integral_constantIbLb0EES19_IbLb1EEEEDaS15_S16_EUlS15_E_NS1_11comp_targetILNS1_3genE8ELNS1_11target_archE1030ELNS1_3gpuE2ELNS1_3repE0EEENS1_30default_config_static_selectorELNS0_4arch9wavefront6targetE1EEEvT1_,"axG",@progbits,_ZN7rocprim17ROCPRIM_400000_NS6detail17trampoline_kernelINS0_14default_configENS1_25partition_config_selectorILNS1_17partition_subalgoE3EiNS0_10empty_typeEbEEZZNS1_14partition_implILS5_3ELb0ES3_jN6thrust23THRUST_200600_302600_NS6detail15normal_iteratorINSA_7pointerIiNSA_11hip_rocprim3tagENSA_11use_defaultESG_EEEEPS6_SJ_NS0_5tupleIJPiSJ_EEENSK_IJSJ_SJ_EEES6_PlJ7is_evenIiEEEE10hipError_tPvRmT3_T4_T5_T6_T7_T9_mT8_P12ihipStream_tbDpT10_ENKUlT_T0_E_clISt17integral_constantIbLb0EES19_IbLb1EEEEDaS15_S16_EUlS15_E_NS1_11comp_targetILNS1_3genE8ELNS1_11target_archE1030ELNS1_3gpuE2ELNS1_3repE0EEENS1_30default_config_static_selectorELNS0_4arch9wavefront6targetE1EEEvT1_,comdat
	.protected	_ZN7rocprim17ROCPRIM_400000_NS6detail17trampoline_kernelINS0_14default_configENS1_25partition_config_selectorILNS1_17partition_subalgoE3EiNS0_10empty_typeEbEEZZNS1_14partition_implILS5_3ELb0ES3_jN6thrust23THRUST_200600_302600_NS6detail15normal_iteratorINSA_7pointerIiNSA_11hip_rocprim3tagENSA_11use_defaultESG_EEEEPS6_SJ_NS0_5tupleIJPiSJ_EEENSK_IJSJ_SJ_EEES6_PlJ7is_evenIiEEEE10hipError_tPvRmT3_T4_T5_T6_T7_T9_mT8_P12ihipStream_tbDpT10_ENKUlT_T0_E_clISt17integral_constantIbLb0EES19_IbLb1EEEEDaS15_S16_EUlS15_E_NS1_11comp_targetILNS1_3genE8ELNS1_11target_archE1030ELNS1_3gpuE2ELNS1_3repE0EEENS1_30default_config_static_selectorELNS0_4arch9wavefront6targetE1EEEvT1_ ; -- Begin function _ZN7rocprim17ROCPRIM_400000_NS6detail17trampoline_kernelINS0_14default_configENS1_25partition_config_selectorILNS1_17partition_subalgoE3EiNS0_10empty_typeEbEEZZNS1_14partition_implILS5_3ELb0ES3_jN6thrust23THRUST_200600_302600_NS6detail15normal_iteratorINSA_7pointerIiNSA_11hip_rocprim3tagENSA_11use_defaultESG_EEEEPS6_SJ_NS0_5tupleIJPiSJ_EEENSK_IJSJ_SJ_EEES6_PlJ7is_evenIiEEEE10hipError_tPvRmT3_T4_T5_T6_T7_T9_mT8_P12ihipStream_tbDpT10_ENKUlT_T0_E_clISt17integral_constantIbLb0EES19_IbLb1EEEEDaS15_S16_EUlS15_E_NS1_11comp_targetILNS1_3genE8ELNS1_11target_archE1030ELNS1_3gpuE2ELNS1_3repE0EEENS1_30default_config_static_selectorELNS0_4arch9wavefront6targetE1EEEvT1_
	.globl	_ZN7rocprim17ROCPRIM_400000_NS6detail17trampoline_kernelINS0_14default_configENS1_25partition_config_selectorILNS1_17partition_subalgoE3EiNS0_10empty_typeEbEEZZNS1_14partition_implILS5_3ELb0ES3_jN6thrust23THRUST_200600_302600_NS6detail15normal_iteratorINSA_7pointerIiNSA_11hip_rocprim3tagENSA_11use_defaultESG_EEEEPS6_SJ_NS0_5tupleIJPiSJ_EEENSK_IJSJ_SJ_EEES6_PlJ7is_evenIiEEEE10hipError_tPvRmT3_T4_T5_T6_T7_T9_mT8_P12ihipStream_tbDpT10_ENKUlT_T0_E_clISt17integral_constantIbLb0EES19_IbLb1EEEEDaS15_S16_EUlS15_E_NS1_11comp_targetILNS1_3genE8ELNS1_11target_archE1030ELNS1_3gpuE2ELNS1_3repE0EEENS1_30default_config_static_selectorELNS0_4arch9wavefront6targetE1EEEvT1_
	.p2align	8
	.type	_ZN7rocprim17ROCPRIM_400000_NS6detail17trampoline_kernelINS0_14default_configENS1_25partition_config_selectorILNS1_17partition_subalgoE3EiNS0_10empty_typeEbEEZZNS1_14partition_implILS5_3ELb0ES3_jN6thrust23THRUST_200600_302600_NS6detail15normal_iteratorINSA_7pointerIiNSA_11hip_rocprim3tagENSA_11use_defaultESG_EEEEPS6_SJ_NS0_5tupleIJPiSJ_EEENSK_IJSJ_SJ_EEES6_PlJ7is_evenIiEEEE10hipError_tPvRmT3_T4_T5_T6_T7_T9_mT8_P12ihipStream_tbDpT10_ENKUlT_T0_E_clISt17integral_constantIbLb0EES19_IbLb1EEEEDaS15_S16_EUlS15_E_NS1_11comp_targetILNS1_3genE8ELNS1_11target_archE1030ELNS1_3gpuE2ELNS1_3repE0EEENS1_30default_config_static_selectorELNS0_4arch9wavefront6targetE1EEEvT1_,@function
_ZN7rocprim17ROCPRIM_400000_NS6detail17trampoline_kernelINS0_14default_configENS1_25partition_config_selectorILNS1_17partition_subalgoE3EiNS0_10empty_typeEbEEZZNS1_14partition_implILS5_3ELb0ES3_jN6thrust23THRUST_200600_302600_NS6detail15normal_iteratorINSA_7pointerIiNSA_11hip_rocprim3tagENSA_11use_defaultESG_EEEEPS6_SJ_NS0_5tupleIJPiSJ_EEENSK_IJSJ_SJ_EEES6_PlJ7is_evenIiEEEE10hipError_tPvRmT3_T4_T5_T6_T7_T9_mT8_P12ihipStream_tbDpT10_ENKUlT_T0_E_clISt17integral_constantIbLb0EES19_IbLb1EEEEDaS15_S16_EUlS15_E_NS1_11comp_targetILNS1_3genE8ELNS1_11target_archE1030ELNS1_3gpuE2ELNS1_3repE0EEENS1_30default_config_static_selectorELNS0_4arch9wavefront6targetE1EEEvT1_: ; @_ZN7rocprim17ROCPRIM_400000_NS6detail17trampoline_kernelINS0_14default_configENS1_25partition_config_selectorILNS1_17partition_subalgoE3EiNS0_10empty_typeEbEEZZNS1_14partition_implILS5_3ELb0ES3_jN6thrust23THRUST_200600_302600_NS6detail15normal_iteratorINSA_7pointerIiNSA_11hip_rocprim3tagENSA_11use_defaultESG_EEEEPS6_SJ_NS0_5tupleIJPiSJ_EEENSK_IJSJ_SJ_EEES6_PlJ7is_evenIiEEEE10hipError_tPvRmT3_T4_T5_T6_T7_T9_mT8_P12ihipStream_tbDpT10_ENKUlT_T0_E_clISt17integral_constantIbLb0EES19_IbLb1EEEEDaS15_S16_EUlS15_E_NS1_11comp_targetILNS1_3genE8ELNS1_11target_archE1030ELNS1_3gpuE2ELNS1_3repE0EEENS1_30default_config_static_selectorELNS0_4arch9wavefront6targetE1EEEvT1_
; %bb.0:
	.section	.rodata,"a",@progbits
	.p2align	6, 0x0
	.amdhsa_kernel _ZN7rocprim17ROCPRIM_400000_NS6detail17trampoline_kernelINS0_14default_configENS1_25partition_config_selectorILNS1_17partition_subalgoE3EiNS0_10empty_typeEbEEZZNS1_14partition_implILS5_3ELb0ES3_jN6thrust23THRUST_200600_302600_NS6detail15normal_iteratorINSA_7pointerIiNSA_11hip_rocprim3tagENSA_11use_defaultESG_EEEEPS6_SJ_NS0_5tupleIJPiSJ_EEENSK_IJSJ_SJ_EEES6_PlJ7is_evenIiEEEE10hipError_tPvRmT3_T4_T5_T6_T7_T9_mT8_P12ihipStream_tbDpT10_ENKUlT_T0_E_clISt17integral_constantIbLb0EES19_IbLb1EEEEDaS15_S16_EUlS15_E_NS1_11comp_targetILNS1_3genE8ELNS1_11target_archE1030ELNS1_3gpuE2ELNS1_3repE0EEENS1_30default_config_static_selectorELNS0_4arch9wavefront6targetE1EEEvT1_
		.amdhsa_group_segment_fixed_size 0
		.amdhsa_private_segment_fixed_size 0
		.amdhsa_kernarg_size 136
		.amdhsa_user_sgpr_count 2
		.amdhsa_user_sgpr_dispatch_ptr 0
		.amdhsa_user_sgpr_queue_ptr 0
		.amdhsa_user_sgpr_kernarg_segment_ptr 1
		.amdhsa_user_sgpr_dispatch_id 0
		.amdhsa_user_sgpr_kernarg_preload_length 0
		.amdhsa_user_sgpr_kernarg_preload_offset 0
		.amdhsa_user_sgpr_private_segment_size 0
		.amdhsa_uses_dynamic_stack 0
		.amdhsa_enable_private_segment 0
		.amdhsa_system_sgpr_workgroup_id_x 1
		.amdhsa_system_sgpr_workgroup_id_y 0
		.amdhsa_system_sgpr_workgroup_id_z 0
		.amdhsa_system_sgpr_workgroup_info 0
		.amdhsa_system_vgpr_workitem_id 0
		.amdhsa_next_free_vgpr 1
		.amdhsa_next_free_sgpr 0
		.amdhsa_accum_offset 4
		.amdhsa_reserve_vcc 0
		.amdhsa_float_round_mode_32 0
		.amdhsa_float_round_mode_16_64 0
		.amdhsa_float_denorm_mode_32 3
		.amdhsa_float_denorm_mode_16_64 3
		.amdhsa_dx10_clamp 1
		.amdhsa_ieee_mode 1
		.amdhsa_fp16_overflow 0
		.amdhsa_tg_split 0
		.amdhsa_exception_fp_ieee_invalid_op 0
		.amdhsa_exception_fp_denorm_src 0
		.amdhsa_exception_fp_ieee_div_zero 0
		.amdhsa_exception_fp_ieee_overflow 0
		.amdhsa_exception_fp_ieee_underflow 0
		.amdhsa_exception_fp_ieee_inexact 0
		.amdhsa_exception_int_div_zero 0
	.end_amdhsa_kernel
	.section	.text._ZN7rocprim17ROCPRIM_400000_NS6detail17trampoline_kernelINS0_14default_configENS1_25partition_config_selectorILNS1_17partition_subalgoE3EiNS0_10empty_typeEbEEZZNS1_14partition_implILS5_3ELb0ES3_jN6thrust23THRUST_200600_302600_NS6detail15normal_iteratorINSA_7pointerIiNSA_11hip_rocprim3tagENSA_11use_defaultESG_EEEEPS6_SJ_NS0_5tupleIJPiSJ_EEENSK_IJSJ_SJ_EEES6_PlJ7is_evenIiEEEE10hipError_tPvRmT3_T4_T5_T6_T7_T9_mT8_P12ihipStream_tbDpT10_ENKUlT_T0_E_clISt17integral_constantIbLb0EES19_IbLb1EEEEDaS15_S16_EUlS15_E_NS1_11comp_targetILNS1_3genE8ELNS1_11target_archE1030ELNS1_3gpuE2ELNS1_3repE0EEENS1_30default_config_static_selectorELNS0_4arch9wavefront6targetE1EEEvT1_,"axG",@progbits,_ZN7rocprim17ROCPRIM_400000_NS6detail17trampoline_kernelINS0_14default_configENS1_25partition_config_selectorILNS1_17partition_subalgoE3EiNS0_10empty_typeEbEEZZNS1_14partition_implILS5_3ELb0ES3_jN6thrust23THRUST_200600_302600_NS6detail15normal_iteratorINSA_7pointerIiNSA_11hip_rocprim3tagENSA_11use_defaultESG_EEEEPS6_SJ_NS0_5tupleIJPiSJ_EEENSK_IJSJ_SJ_EEES6_PlJ7is_evenIiEEEE10hipError_tPvRmT3_T4_T5_T6_T7_T9_mT8_P12ihipStream_tbDpT10_ENKUlT_T0_E_clISt17integral_constantIbLb0EES19_IbLb1EEEEDaS15_S16_EUlS15_E_NS1_11comp_targetILNS1_3genE8ELNS1_11target_archE1030ELNS1_3gpuE2ELNS1_3repE0EEENS1_30default_config_static_selectorELNS0_4arch9wavefront6targetE1EEEvT1_,comdat
.Lfunc_end119:
	.size	_ZN7rocprim17ROCPRIM_400000_NS6detail17trampoline_kernelINS0_14default_configENS1_25partition_config_selectorILNS1_17partition_subalgoE3EiNS0_10empty_typeEbEEZZNS1_14partition_implILS5_3ELb0ES3_jN6thrust23THRUST_200600_302600_NS6detail15normal_iteratorINSA_7pointerIiNSA_11hip_rocprim3tagENSA_11use_defaultESG_EEEEPS6_SJ_NS0_5tupleIJPiSJ_EEENSK_IJSJ_SJ_EEES6_PlJ7is_evenIiEEEE10hipError_tPvRmT3_T4_T5_T6_T7_T9_mT8_P12ihipStream_tbDpT10_ENKUlT_T0_E_clISt17integral_constantIbLb0EES19_IbLb1EEEEDaS15_S16_EUlS15_E_NS1_11comp_targetILNS1_3genE8ELNS1_11target_archE1030ELNS1_3gpuE2ELNS1_3repE0EEENS1_30default_config_static_selectorELNS0_4arch9wavefront6targetE1EEEvT1_, .Lfunc_end119-_ZN7rocprim17ROCPRIM_400000_NS6detail17trampoline_kernelINS0_14default_configENS1_25partition_config_selectorILNS1_17partition_subalgoE3EiNS0_10empty_typeEbEEZZNS1_14partition_implILS5_3ELb0ES3_jN6thrust23THRUST_200600_302600_NS6detail15normal_iteratorINSA_7pointerIiNSA_11hip_rocprim3tagENSA_11use_defaultESG_EEEEPS6_SJ_NS0_5tupleIJPiSJ_EEENSK_IJSJ_SJ_EEES6_PlJ7is_evenIiEEEE10hipError_tPvRmT3_T4_T5_T6_T7_T9_mT8_P12ihipStream_tbDpT10_ENKUlT_T0_E_clISt17integral_constantIbLb0EES19_IbLb1EEEEDaS15_S16_EUlS15_E_NS1_11comp_targetILNS1_3genE8ELNS1_11target_archE1030ELNS1_3gpuE2ELNS1_3repE0EEENS1_30default_config_static_selectorELNS0_4arch9wavefront6targetE1EEEvT1_
                                        ; -- End function
	.section	.AMDGPU.csdata,"",@progbits
; Kernel info:
; codeLenInByte = 0
; NumSgprs: 6
; NumVgprs: 0
; NumAgprs: 0
; TotalNumVgprs: 0
; ScratchSize: 0
; MemoryBound: 0
; FloatMode: 240
; IeeeMode: 1
; LDSByteSize: 0 bytes/workgroup (compile time only)
; SGPRBlocks: 0
; VGPRBlocks: 0
; NumSGPRsForWavesPerEU: 6
; NumVGPRsForWavesPerEU: 1
; AccumOffset: 4
; Occupancy: 8
; WaveLimiterHint : 0
; COMPUTE_PGM_RSRC2:SCRATCH_EN: 0
; COMPUTE_PGM_RSRC2:USER_SGPR: 2
; COMPUTE_PGM_RSRC2:TRAP_HANDLER: 0
; COMPUTE_PGM_RSRC2:TGID_X_EN: 1
; COMPUTE_PGM_RSRC2:TGID_Y_EN: 0
; COMPUTE_PGM_RSRC2:TGID_Z_EN: 0
; COMPUTE_PGM_RSRC2:TIDIG_COMP_CNT: 0
; COMPUTE_PGM_RSRC3_GFX90A:ACCUM_OFFSET: 0
; COMPUTE_PGM_RSRC3_GFX90A:TG_SPLIT: 0
	.section	.text._ZN7rocprim17ROCPRIM_400000_NS6detail17trampoline_kernelINS0_14default_configENS1_22reduce_config_selectorIN6thrust23THRUST_200600_302600_NS5tupleIblNS6_9null_typeES8_S8_S8_S8_S8_S8_S8_EEEEZNS1_11reduce_implILb1ES3_NS6_12zip_iteratorINS7_INS6_11hip_rocprim26transform_input_iterator_tIbNSD_35transform_pair_of_input_iterators_tIbNS6_6detail15normal_iteratorINS6_10device_ptrIKiEEEESL_NS6_8equal_toIiEEEENSG_9not_fun_tINSD_8identityEEEEENSD_19counting_iterator_tIlEES8_S8_S8_S8_S8_S8_S8_S8_EEEEPS9_S9_NSD_9__find_if7functorIS9_EEEE10hipError_tPvRmT1_T2_T3_mT4_P12ihipStream_tbEUlT_E0_NS1_11comp_targetILNS1_3genE0ELNS1_11target_archE4294967295ELNS1_3gpuE0ELNS1_3repE0EEENS1_30default_config_static_selectorELNS0_4arch9wavefront6targetE1EEEvS14_,"axG",@progbits,_ZN7rocprim17ROCPRIM_400000_NS6detail17trampoline_kernelINS0_14default_configENS1_22reduce_config_selectorIN6thrust23THRUST_200600_302600_NS5tupleIblNS6_9null_typeES8_S8_S8_S8_S8_S8_S8_EEEEZNS1_11reduce_implILb1ES3_NS6_12zip_iteratorINS7_INS6_11hip_rocprim26transform_input_iterator_tIbNSD_35transform_pair_of_input_iterators_tIbNS6_6detail15normal_iteratorINS6_10device_ptrIKiEEEESL_NS6_8equal_toIiEEEENSG_9not_fun_tINSD_8identityEEEEENSD_19counting_iterator_tIlEES8_S8_S8_S8_S8_S8_S8_S8_EEEEPS9_S9_NSD_9__find_if7functorIS9_EEEE10hipError_tPvRmT1_T2_T3_mT4_P12ihipStream_tbEUlT_E0_NS1_11comp_targetILNS1_3genE0ELNS1_11target_archE4294967295ELNS1_3gpuE0ELNS1_3repE0EEENS1_30default_config_static_selectorELNS0_4arch9wavefront6targetE1EEEvS14_,comdat
	.protected	_ZN7rocprim17ROCPRIM_400000_NS6detail17trampoline_kernelINS0_14default_configENS1_22reduce_config_selectorIN6thrust23THRUST_200600_302600_NS5tupleIblNS6_9null_typeES8_S8_S8_S8_S8_S8_S8_EEEEZNS1_11reduce_implILb1ES3_NS6_12zip_iteratorINS7_INS6_11hip_rocprim26transform_input_iterator_tIbNSD_35transform_pair_of_input_iterators_tIbNS6_6detail15normal_iteratorINS6_10device_ptrIKiEEEESL_NS6_8equal_toIiEEEENSG_9not_fun_tINSD_8identityEEEEENSD_19counting_iterator_tIlEES8_S8_S8_S8_S8_S8_S8_S8_EEEEPS9_S9_NSD_9__find_if7functorIS9_EEEE10hipError_tPvRmT1_T2_T3_mT4_P12ihipStream_tbEUlT_E0_NS1_11comp_targetILNS1_3genE0ELNS1_11target_archE4294967295ELNS1_3gpuE0ELNS1_3repE0EEENS1_30default_config_static_selectorELNS0_4arch9wavefront6targetE1EEEvS14_ ; -- Begin function _ZN7rocprim17ROCPRIM_400000_NS6detail17trampoline_kernelINS0_14default_configENS1_22reduce_config_selectorIN6thrust23THRUST_200600_302600_NS5tupleIblNS6_9null_typeES8_S8_S8_S8_S8_S8_S8_EEEEZNS1_11reduce_implILb1ES3_NS6_12zip_iteratorINS7_INS6_11hip_rocprim26transform_input_iterator_tIbNSD_35transform_pair_of_input_iterators_tIbNS6_6detail15normal_iteratorINS6_10device_ptrIKiEEEESL_NS6_8equal_toIiEEEENSG_9not_fun_tINSD_8identityEEEEENSD_19counting_iterator_tIlEES8_S8_S8_S8_S8_S8_S8_S8_EEEEPS9_S9_NSD_9__find_if7functorIS9_EEEE10hipError_tPvRmT1_T2_T3_mT4_P12ihipStream_tbEUlT_E0_NS1_11comp_targetILNS1_3genE0ELNS1_11target_archE4294967295ELNS1_3gpuE0ELNS1_3repE0EEENS1_30default_config_static_selectorELNS0_4arch9wavefront6targetE1EEEvS14_
	.globl	_ZN7rocprim17ROCPRIM_400000_NS6detail17trampoline_kernelINS0_14default_configENS1_22reduce_config_selectorIN6thrust23THRUST_200600_302600_NS5tupleIblNS6_9null_typeES8_S8_S8_S8_S8_S8_S8_EEEEZNS1_11reduce_implILb1ES3_NS6_12zip_iteratorINS7_INS6_11hip_rocprim26transform_input_iterator_tIbNSD_35transform_pair_of_input_iterators_tIbNS6_6detail15normal_iteratorINS6_10device_ptrIKiEEEESL_NS6_8equal_toIiEEEENSG_9not_fun_tINSD_8identityEEEEENSD_19counting_iterator_tIlEES8_S8_S8_S8_S8_S8_S8_S8_EEEEPS9_S9_NSD_9__find_if7functorIS9_EEEE10hipError_tPvRmT1_T2_T3_mT4_P12ihipStream_tbEUlT_E0_NS1_11comp_targetILNS1_3genE0ELNS1_11target_archE4294967295ELNS1_3gpuE0ELNS1_3repE0EEENS1_30default_config_static_selectorELNS0_4arch9wavefront6targetE1EEEvS14_
	.p2align	8
	.type	_ZN7rocprim17ROCPRIM_400000_NS6detail17trampoline_kernelINS0_14default_configENS1_22reduce_config_selectorIN6thrust23THRUST_200600_302600_NS5tupleIblNS6_9null_typeES8_S8_S8_S8_S8_S8_S8_EEEEZNS1_11reduce_implILb1ES3_NS6_12zip_iteratorINS7_INS6_11hip_rocprim26transform_input_iterator_tIbNSD_35transform_pair_of_input_iterators_tIbNS6_6detail15normal_iteratorINS6_10device_ptrIKiEEEESL_NS6_8equal_toIiEEEENSG_9not_fun_tINSD_8identityEEEEENSD_19counting_iterator_tIlEES8_S8_S8_S8_S8_S8_S8_S8_EEEEPS9_S9_NSD_9__find_if7functorIS9_EEEE10hipError_tPvRmT1_T2_T3_mT4_P12ihipStream_tbEUlT_E0_NS1_11comp_targetILNS1_3genE0ELNS1_11target_archE4294967295ELNS1_3gpuE0ELNS1_3repE0EEENS1_30default_config_static_selectorELNS0_4arch9wavefront6targetE1EEEvS14_,@function
_ZN7rocprim17ROCPRIM_400000_NS6detail17trampoline_kernelINS0_14default_configENS1_22reduce_config_selectorIN6thrust23THRUST_200600_302600_NS5tupleIblNS6_9null_typeES8_S8_S8_S8_S8_S8_S8_EEEEZNS1_11reduce_implILb1ES3_NS6_12zip_iteratorINS7_INS6_11hip_rocprim26transform_input_iterator_tIbNSD_35transform_pair_of_input_iterators_tIbNS6_6detail15normal_iteratorINS6_10device_ptrIKiEEEESL_NS6_8equal_toIiEEEENSG_9not_fun_tINSD_8identityEEEEENSD_19counting_iterator_tIlEES8_S8_S8_S8_S8_S8_S8_S8_EEEEPS9_S9_NSD_9__find_if7functorIS9_EEEE10hipError_tPvRmT1_T2_T3_mT4_P12ihipStream_tbEUlT_E0_NS1_11comp_targetILNS1_3genE0ELNS1_11target_archE4294967295ELNS1_3gpuE0ELNS1_3repE0EEENS1_30default_config_static_selectorELNS0_4arch9wavefront6targetE1EEEvS14_: ; @_ZN7rocprim17ROCPRIM_400000_NS6detail17trampoline_kernelINS0_14default_configENS1_22reduce_config_selectorIN6thrust23THRUST_200600_302600_NS5tupleIblNS6_9null_typeES8_S8_S8_S8_S8_S8_S8_EEEEZNS1_11reduce_implILb1ES3_NS6_12zip_iteratorINS7_INS6_11hip_rocprim26transform_input_iterator_tIbNSD_35transform_pair_of_input_iterators_tIbNS6_6detail15normal_iteratorINS6_10device_ptrIKiEEEESL_NS6_8equal_toIiEEEENSG_9not_fun_tINSD_8identityEEEEENSD_19counting_iterator_tIlEES8_S8_S8_S8_S8_S8_S8_S8_EEEEPS9_S9_NSD_9__find_if7functorIS9_EEEE10hipError_tPvRmT1_T2_T3_mT4_P12ihipStream_tbEUlT_E0_NS1_11comp_targetILNS1_3genE0ELNS1_11target_archE4294967295ELNS1_3gpuE0ELNS1_3repE0EEENS1_30default_config_static_selectorELNS0_4arch9wavefront6targetE1EEEvS14_
; %bb.0:
	.section	.rodata,"a",@progbits
	.p2align	6, 0x0
	.amdhsa_kernel _ZN7rocprim17ROCPRIM_400000_NS6detail17trampoline_kernelINS0_14default_configENS1_22reduce_config_selectorIN6thrust23THRUST_200600_302600_NS5tupleIblNS6_9null_typeES8_S8_S8_S8_S8_S8_S8_EEEEZNS1_11reduce_implILb1ES3_NS6_12zip_iteratorINS7_INS6_11hip_rocprim26transform_input_iterator_tIbNSD_35transform_pair_of_input_iterators_tIbNS6_6detail15normal_iteratorINS6_10device_ptrIKiEEEESL_NS6_8equal_toIiEEEENSG_9not_fun_tINSD_8identityEEEEENSD_19counting_iterator_tIlEES8_S8_S8_S8_S8_S8_S8_S8_EEEEPS9_S9_NSD_9__find_if7functorIS9_EEEE10hipError_tPvRmT1_T2_T3_mT4_P12ihipStream_tbEUlT_E0_NS1_11comp_targetILNS1_3genE0ELNS1_11target_archE4294967295ELNS1_3gpuE0ELNS1_3repE0EEENS1_30default_config_static_selectorELNS0_4arch9wavefront6targetE1EEEvS14_
		.amdhsa_group_segment_fixed_size 0
		.amdhsa_private_segment_fixed_size 0
		.amdhsa_kernarg_size 104
		.amdhsa_user_sgpr_count 2
		.amdhsa_user_sgpr_dispatch_ptr 0
		.amdhsa_user_sgpr_queue_ptr 0
		.amdhsa_user_sgpr_kernarg_segment_ptr 1
		.amdhsa_user_sgpr_dispatch_id 0
		.amdhsa_user_sgpr_kernarg_preload_length 0
		.amdhsa_user_sgpr_kernarg_preload_offset 0
		.amdhsa_user_sgpr_private_segment_size 0
		.amdhsa_uses_dynamic_stack 0
		.amdhsa_enable_private_segment 0
		.amdhsa_system_sgpr_workgroup_id_x 1
		.amdhsa_system_sgpr_workgroup_id_y 0
		.amdhsa_system_sgpr_workgroup_id_z 0
		.amdhsa_system_sgpr_workgroup_info 0
		.amdhsa_system_vgpr_workitem_id 0
		.amdhsa_next_free_vgpr 1
		.amdhsa_next_free_sgpr 0
		.amdhsa_accum_offset 4
		.amdhsa_reserve_vcc 0
		.amdhsa_float_round_mode_32 0
		.amdhsa_float_round_mode_16_64 0
		.amdhsa_float_denorm_mode_32 3
		.amdhsa_float_denorm_mode_16_64 3
		.amdhsa_dx10_clamp 1
		.amdhsa_ieee_mode 1
		.amdhsa_fp16_overflow 0
		.amdhsa_tg_split 0
		.amdhsa_exception_fp_ieee_invalid_op 0
		.amdhsa_exception_fp_denorm_src 0
		.amdhsa_exception_fp_ieee_div_zero 0
		.amdhsa_exception_fp_ieee_overflow 0
		.amdhsa_exception_fp_ieee_underflow 0
		.amdhsa_exception_fp_ieee_inexact 0
		.amdhsa_exception_int_div_zero 0
	.end_amdhsa_kernel
	.section	.text._ZN7rocprim17ROCPRIM_400000_NS6detail17trampoline_kernelINS0_14default_configENS1_22reduce_config_selectorIN6thrust23THRUST_200600_302600_NS5tupleIblNS6_9null_typeES8_S8_S8_S8_S8_S8_S8_EEEEZNS1_11reduce_implILb1ES3_NS6_12zip_iteratorINS7_INS6_11hip_rocprim26transform_input_iterator_tIbNSD_35transform_pair_of_input_iterators_tIbNS6_6detail15normal_iteratorINS6_10device_ptrIKiEEEESL_NS6_8equal_toIiEEEENSG_9not_fun_tINSD_8identityEEEEENSD_19counting_iterator_tIlEES8_S8_S8_S8_S8_S8_S8_S8_EEEEPS9_S9_NSD_9__find_if7functorIS9_EEEE10hipError_tPvRmT1_T2_T3_mT4_P12ihipStream_tbEUlT_E0_NS1_11comp_targetILNS1_3genE0ELNS1_11target_archE4294967295ELNS1_3gpuE0ELNS1_3repE0EEENS1_30default_config_static_selectorELNS0_4arch9wavefront6targetE1EEEvS14_,"axG",@progbits,_ZN7rocprim17ROCPRIM_400000_NS6detail17trampoline_kernelINS0_14default_configENS1_22reduce_config_selectorIN6thrust23THRUST_200600_302600_NS5tupleIblNS6_9null_typeES8_S8_S8_S8_S8_S8_S8_EEEEZNS1_11reduce_implILb1ES3_NS6_12zip_iteratorINS7_INS6_11hip_rocprim26transform_input_iterator_tIbNSD_35transform_pair_of_input_iterators_tIbNS6_6detail15normal_iteratorINS6_10device_ptrIKiEEEESL_NS6_8equal_toIiEEEENSG_9not_fun_tINSD_8identityEEEEENSD_19counting_iterator_tIlEES8_S8_S8_S8_S8_S8_S8_S8_EEEEPS9_S9_NSD_9__find_if7functorIS9_EEEE10hipError_tPvRmT1_T2_T3_mT4_P12ihipStream_tbEUlT_E0_NS1_11comp_targetILNS1_3genE0ELNS1_11target_archE4294967295ELNS1_3gpuE0ELNS1_3repE0EEENS1_30default_config_static_selectorELNS0_4arch9wavefront6targetE1EEEvS14_,comdat
.Lfunc_end120:
	.size	_ZN7rocprim17ROCPRIM_400000_NS6detail17trampoline_kernelINS0_14default_configENS1_22reduce_config_selectorIN6thrust23THRUST_200600_302600_NS5tupleIblNS6_9null_typeES8_S8_S8_S8_S8_S8_S8_EEEEZNS1_11reduce_implILb1ES3_NS6_12zip_iteratorINS7_INS6_11hip_rocprim26transform_input_iterator_tIbNSD_35transform_pair_of_input_iterators_tIbNS6_6detail15normal_iteratorINS6_10device_ptrIKiEEEESL_NS6_8equal_toIiEEEENSG_9not_fun_tINSD_8identityEEEEENSD_19counting_iterator_tIlEES8_S8_S8_S8_S8_S8_S8_S8_EEEEPS9_S9_NSD_9__find_if7functorIS9_EEEE10hipError_tPvRmT1_T2_T3_mT4_P12ihipStream_tbEUlT_E0_NS1_11comp_targetILNS1_3genE0ELNS1_11target_archE4294967295ELNS1_3gpuE0ELNS1_3repE0EEENS1_30default_config_static_selectorELNS0_4arch9wavefront6targetE1EEEvS14_, .Lfunc_end120-_ZN7rocprim17ROCPRIM_400000_NS6detail17trampoline_kernelINS0_14default_configENS1_22reduce_config_selectorIN6thrust23THRUST_200600_302600_NS5tupleIblNS6_9null_typeES8_S8_S8_S8_S8_S8_S8_EEEEZNS1_11reduce_implILb1ES3_NS6_12zip_iteratorINS7_INS6_11hip_rocprim26transform_input_iterator_tIbNSD_35transform_pair_of_input_iterators_tIbNS6_6detail15normal_iteratorINS6_10device_ptrIKiEEEESL_NS6_8equal_toIiEEEENSG_9not_fun_tINSD_8identityEEEEENSD_19counting_iterator_tIlEES8_S8_S8_S8_S8_S8_S8_S8_EEEEPS9_S9_NSD_9__find_if7functorIS9_EEEE10hipError_tPvRmT1_T2_T3_mT4_P12ihipStream_tbEUlT_E0_NS1_11comp_targetILNS1_3genE0ELNS1_11target_archE4294967295ELNS1_3gpuE0ELNS1_3repE0EEENS1_30default_config_static_selectorELNS0_4arch9wavefront6targetE1EEEvS14_
                                        ; -- End function
	.section	.AMDGPU.csdata,"",@progbits
; Kernel info:
; codeLenInByte = 0
; NumSgprs: 6
; NumVgprs: 0
; NumAgprs: 0
; TotalNumVgprs: 0
; ScratchSize: 0
; MemoryBound: 0
; FloatMode: 240
; IeeeMode: 1
; LDSByteSize: 0 bytes/workgroup (compile time only)
; SGPRBlocks: 0
; VGPRBlocks: 0
; NumSGPRsForWavesPerEU: 6
; NumVGPRsForWavesPerEU: 1
; AccumOffset: 4
; Occupancy: 8
; WaveLimiterHint : 0
; COMPUTE_PGM_RSRC2:SCRATCH_EN: 0
; COMPUTE_PGM_RSRC2:USER_SGPR: 2
; COMPUTE_PGM_RSRC2:TRAP_HANDLER: 0
; COMPUTE_PGM_RSRC2:TGID_X_EN: 1
; COMPUTE_PGM_RSRC2:TGID_Y_EN: 0
; COMPUTE_PGM_RSRC2:TGID_Z_EN: 0
; COMPUTE_PGM_RSRC2:TIDIG_COMP_CNT: 0
; COMPUTE_PGM_RSRC3_GFX90A:ACCUM_OFFSET: 0
; COMPUTE_PGM_RSRC3_GFX90A:TG_SPLIT: 0
	.section	.text._ZN7rocprim17ROCPRIM_400000_NS6detail17trampoline_kernelINS0_14default_configENS1_22reduce_config_selectorIN6thrust23THRUST_200600_302600_NS5tupleIblNS6_9null_typeES8_S8_S8_S8_S8_S8_S8_EEEEZNS1_11reduce_implILb1ES3_NS6_12zip_iteratorINS7_INS6_11hip_rocprim26transform_input_iterator_tIbNSD_35transform_pair_of_input_iterators_tIbNS6_6detail15normal_iteratorINS6_10device_ptrIKiEEEESL_NS6_8equal_toIiEEEENSG_9not_fun_tINSD_8identityEEEEENSD_19counting_iterator_tIlEES8_S8_S8_S8_S8_S8_S8_S8_EEEEPS9_S9_NSD_9__find_if7functorIS9_EEEE10hipError_tPvRmT1_T2_T3_mT4_P12ihipStream_tbEUlT_E0_NS1_11comp_targetILNS1_3genE5ELNS1_11target_archE942ELNS1_3gpuE9ELNS1_3repE0EEENS1_30default_config_static_selectorELNS0_4arch9wavefront6targetE1EEEvS14_,"axG",@progbits,_ZN7rocprim17ROCPRIM_400000_NS6detail17trampoline_kernelINS0_14default_configENS1_22reduce_config_selectorIN6thrust23THRUST_200600_302600_NS5tupleIblNS6_9null_typeES8_S8_S8_S8_S8_S8_S8_EEEEZNS1_11reduce_implILb1ES3_NS6_12zip_iteratorINS7_INS6_11hip_rocprim26transform_input_iterator_tIbNSD_35transform_pair_of_input_iterators_tIbNS6_6detail15normal_iteratorINS6_10device_ptrIKiEEEESL_NS6_8equal_toIiEEEENSG_9not_fun_tINSD_8identityEEEEENSD_19counting_iterator_tIlEES8_S8_S8_S8_S8_S8_S8_S8_EEEEPS9_S9_NSD_9__find_if7functorIS9_EEEE10hipError_tPvRmT1_T2_T3_mT4_P12ihipStream_tbEUlT_E0_NS1_11comp_targetILNS1_3genE5ELNS1_11target_archE942ELNS1_3gpuE9ELNS1_3repE0EEENS1_30default_config_static_selectorELNS0_4arch9wavefront6targetE1EEEvS14_,comdat
	.protected	_ZN7rocprim17ROCPRIM_400000_NS6detail17trampoline_kernelINS0_14default_configENS1_22reduce_config_selectorIN6thrust23THRUST_200600_302600_NS5tupleIblNS6_9null_typeES8_S8_S8_S8_S8_S8_S8_EEEEZNS1_11reduce_implILb1ES3_NS6_12zip_iteratorINS7_INS6_11hip_rocprim26transform_input_iterator_tIbNSD_35transform_pair_of_input_iterators_tIbNS6_6detail15normal_iteratorINS6_10device_ptrIKiEEEESL_NS6_8equal_toIiEEEENSG_9not_fun_tINSD_8identityEEEEENSD_19counting_iterator_tIlEES8_S8_S8_S8_S8_S8_S8_S8_EEEEPS9_S9_NSD_9__find_if7functorIS9_EEEE10hipError_tPvRmT1_T2_T3_mT4_P12ihipStream_tbEUlT_E0_NS1_11comp_targetILNS1_3genE5ELNS1_11target_archE942ELNS1_3gpuE9ELNS1_3repE0EEENS1_30default_config_static_selectorELNS0_4arch9wavefront6targetE1EEEvS14_ ; -- Begin function _ZN7rocprim17ROCPRIM_400000_NS6detail17trampoline_kernelINS0_14default_configENS1_22reduce_config_selectorIN6thrust23THRUST_200600_302600_NS5tupleIblNS6_9null_typeES8_S8_S8_S8_S8_S8_S8_EEEEZNS1_11reduce_implILb1ES3_NS6_12zip_iteratorINS7_INS6_11hip_rocprim26transform_input_iterator_tIbNSD_35transform_pair_of_input_iterators_tIbNS6_6detail15normal_iteratorINS6_10device_ptrIKiEEEESL_NS6_8equal_toIiEEEENSG_9not_fun_tINSD_8identityEEEEENSD_19counting_iterator_tIlEES8_S8_S8_S8_S8_S8_S8_S8_EEEEPS9_S9_NSD_9__find_if7functorIS9_EEEE10hipError_tPvRmT1_T2_T3_mT4_P12ihipStream_tbEUlT_E0_NS1_11comp_targetILNS1_3genE5ELNS1_11target_archE942ELNS1_3gpuE9ELNS1_3repE0EEENS1_30default_config_static_selectorELNS0_4arch9wavefront6targetE1EEEvS14_
	.globl	_ZN7rocprim17ROCPRIM_400000_NS6detail17trampoline_kernelINS0_14default_configENS1_22reduce_config_selectorIN6thrust23THRUST_200600_302600_NS5tupleIblNS6_9null_typeES8_S8_S8_S8_S8_S8_S8_EEEEZNS1_11reduce_implILb1ES3_NS6_12zip_iteratorINS7_INS6_11hip_rocprim26transform_input_iterator_tIbNSD_35transform_pair_of_input_iterators_tIbNS6_6detail15normal_iteratorINS6_10device_ptrIKiEEEESL_NS6_8equal_toIiEEEENSG_9not_fun_tINSD_8identityEEEEENSD_19counting_iterator_tIlEES8_S8_S8_S8_S8_S8_S8_S8_EEEEPS9_S9_NSD_9__find_if7functorIS9_EEEE10hipError_tPvRmT1_T2_T3_mT4_P12ihipStream_tbEUlT_E0_NS1_11comp_targetILNS1_3genE5ELNS1_11target_archE942ELNS1_3gpuE9ELNS1_3repE0EEENS1_30default_config_static_selectorELNS0_4arch9wavefront6targetE1EEEvS14_
	.p2align	8
	.type	_ZN7rocprim17ROCPRIM_400000_NS6detail17trampoline_kernelINS0_14default_configENS1_22reduce_config_selectorIN6thrust23THRUST_200600_302600_NS5tupleIblNS6_9null_typeES8_S8_S8_S8_S8_S8_S8_EEEEZNS1_11reduce_implILb1ES3_NS6_12zip_iteratorINS7_INS6_11hip_rocprim26transform_input_iterator_tIbNSD_35transform_pair_of_input_iterators_tIbNS6_6detail15normal_iteratorINS6_10device_ptrIKiEEEESL_NS6_8equal_toIiEEEENSG_9not_fun_tINSD_8identityEEEEENSD_19counting_iterator_tIlEES8_S8_S8_S8_S8_S8_S8_S8_EEEEPS9_S9_NSD_9__find_if7functorIS9_EEEE10hipError_tPvRmT1_T2_T3_mT4_P12ihipStream_tbEUlT_E0_NS1_11comp_targetILNS1_3genE5ELNS1_11target_archE942ELNS1_3gpuE9ELNS1_3repE0EEENS1_30default_config_static_selectorELNS0_4arch9wavefront6targetE1EEEvS14_,@function
_ZN7rocprim17ROCPRIM_400000_NS6detail17trampoline_kernelINS0_14default_configENS1_22reduce_config_selectorIN6thrust23THRUST_200600_302600_NS5tupleIblNS6_9null_typeES8_S8_S8_S8_S8_S8_S8_EEEEZNS1_11reduce_implILb1ES3_NS6_12zip_iteratorINS7_INS6_11hip_rocprim26transform_input_iterator_tIbNSD_35transform_pair_of_input_iterators_tIbNS6_6detail15normal_iteratorINS6_10device_ptrIKiEEEESL_NS6_8equal_toIiEEEENSG_9not_fun_tINSD_8identityEEEEENSD_19counting_iterator_tIlEES8_S8_S8_S8_S8_S8_S8_S8_EEEEPS9_S9_NSD_9__find_if7functorIS9_EEEE10hipError_tPvRmT1_T2_T3_mT4_P12ihipStream_tbEUlT_E0_NS1_11comp_targetILNS1_3genE5ELNS1_11target_archE942ELNS1_3gpuE9ELNS1_3repE0EEENS1_30default_config_static_selectorELNS0_4arch9wavefront6targetE1EEEvS14_: ; @_ZN7rocprim17ROCPRIM_400000_NS6detail17trampoline_kernelINS0_14default_configENS1_22reduce_config_selectorIN6thrust23THRUST_200600_302600_NS5tupleIblNS6_9null_typeES8_S8_S8_S8_S8_S8_S8_EEEEZNS1_11reduce_implILb1ES3_NS6_12zip_iteratorINS7_INS6_11hip_rocprim26transform_input_iterator_tIbNSD_35transform_pair_of_input_iterators_tIbNS6_6detail15normal_iteratorINS6_10device_ptrIKiEEEESL_NS6_8equal_toIiEEEENSG_9not_fun_tINSD_8identityEEEEENSD_19counting_iterator_tIlEES8_S8_S8_S8_S8_S8_S8_S8_EEEEPS9_S9_NSD_9__find_if7functorIS9_EEEE10hipError_tPvRmT1_T2_T3_mT4_P12ihipStream_tbEUlT_E0_NS1_11comp_targetILNS1_3genE5ELNS1_11target_archE942ELNS1_3gpuE9ELNS1_3repE0EEENS1_30default_config_static_selectorELNS0_4arch9wavefront6targetE1EEEvS14_
; %bb.0:
	s_load_dwordx8 s[36:43], s[0:1], 0x20
	s_load_dwordx4 s[4:7], s[0:1], 0x0
	s_load_dwordx4 s[44:47], s[0:1], 0x40
	s_mov_b32 s25, 0
	s_mov_b32 s3, s25
	s_waitcnt lgkmcnt(0)
	s_lshl_b64 s[8:9], s[38:39], 2
	s_add_u32 s10, s4, s8
	s_addc_u32 s11, s5, s9
	s_add_u32 s8, s6, s8
	s_addc_u32 s9, s7, s9
	s_lshl_b32 s24, s2, 12
	s_lshr_b64 s[4:5], s[40:41], 12
	s_lshl_b64 s[6:7], s[24:25], 2
	s_add_u32 s30, s10, s6
	s_addc_u32 s31, s11, s7
	s_add_u32 s48, s8, s6
	s_addc_u32 s49, s9, s7
	;; [unrolled: 2-line block ×4, first 2 shown]
	s_cmp_lg_u64 s[4:5], s[2:3]
	v_lshlrev_b32_e32 v4, 2, v0
	s_cbranch_scc0 .LBB121_18
; %bb.1:
	v_mov_b32_e32 v1, 0
	v_mov_b32_e32 v5, v1
	v_lshl_add_u64 v[2:3], s[30:31], 0, v[4:5]
	s_movk_i32 s4, 0x1000
	v_add_co_u32_e32 v8, vcc, s4, v2
	s_movk_i32 s5, 0x2000
	s_nop 0
	v_addc_co_u32_e32 v9, vcc, 0, v3, vcc
	v_lshl_add_u64 v[6:7], s[48:49], 0, v[4:5]
	global_load_dword v5, v4, s[30:31]
	global_load_dword v16, v4, s[30:31] offset:1024
	global_load_dword v17, v4, s[30:31] offset:2048
	global_load_dword v18, v4, s[48:49]
	global_load_dword v19, v4, s[48:49] offset:1024
	global_load_dword v20, v4, s[48:49] offset:2048
	v_add_co_u32_e32 v10, vcc, s5, v2
	s_mov_b64 s[6:7], 0xf00
	s_nop 0
	v_addc_co_u32_e32 v11, vcc, 0, v3, vcc
	v_add_co_u32_e32 v12, vcc, s4, v6
	s_movk_i32 s4, 0x3000
	s_nop 0
	v_addc_co_u32_e32 v13, vcc, 0, v7, vcc
	v_add_co_u32_e32 v14, vcc, s5, v6
	s_nop 1
	v_addc_co_u32_e32 v15, vcc, 0, v7, vcc
	global_load_dword v21, v[8:9], off offset:2048
	global_load_dword v22, v[12:13], off offset:2048
	global_load_dword v23, v[10:11], off offset:-4096
	global_load_dword v24, v[10:11], off
	global_load_dword v25, v[14:15], off offset:-4096
	global_load_dword v26, v[14:15], off
	global_load_dword v27, v[10:11], off offset:2048
	global_load_dword v28, v[14:15], off offset:2048
	v_add_co_u32_e32 v2, vcc, s4, v2
	s_waitcnt vmcnt(6)
	v_cmp_ne_u32_e64 s[10:11], v21, v22
	v_addc_co_u32_e32 v3, vcc, 0, v3, vcc
	v_add_co_u32_e32 v6, vcc, s4, v6
	s_mov_b64 s[4:5], 0xe00
	s_nop 0
	v_addc_co_u32_e32 v7, vcc, 0, v7, vcc
	global_load_dword v29, v[2:3], off
	global_load_dword v30, v[2:3], off offset:1024
	global_load_dword v31, v[2:3], off offset:2048
	;; [unrolled: 1-line block ×3, first 2 shown]
	global_load_dword v33, v[6:7], off
	global_load_dword v34, v[6:7], off offset:1024
	global_load_dword v35, v[6:7], off offset:2048
	;; [unrolled: 1-line block ×3, first 2 shown]
	global_load_dword v37, v4, s[48:49] offset:3072
	global_load_dword v38, v4, s[30:31] offset:3072
	global_load_dword v39, v[8:9], off offset:1024
	global_load_dword v40, v[12:13], off offset:1024
	;; [unrolled: 1-line block ×5, first 2 shown]
                                        ; kill: killed $vgpr6 killed $vgpr7
                                        ; kill: killed $vgpr8 killed $vgpr9
                                        ; kill: killed $vgpr2 killed $vgpr3
                                        ; kill: killed $vgpr12 killed $vgpr13
	s_nop 0
	global_load_dword v12, v[14:15], off offset:1024
	global_load_dword v13, v[10:11], off offset:3072
	;; [unrolled: 1-line block ×3, first 2 shown]
	v_lshl_add_u64 v[2:3], s[36:37], 0, v[0:1]
	v_mov_b32_e32 v10, 0x200
	v_mov_b32_e32 v11, 0x100
	v_lshl_add_u64 v[6:7], v[2:3], 0, s[4:5]
	v_cmp_ne_u32_e64 s[4:5], v16, v19
	v_lshl_add_u64 v[8:9], v[2:3], 0, s[6:7]
	v_cmp_ne_u32_e64 s[6:7], v5, v18
	v_cndmask_b32_e64 v10, v10, v11, s[4:5]
	v_cmp_ne_u32_e32 vcc, v17, v20
	v_cndmask_b32_e64 v5, v10, 0, s[6:7]
	s_or_b64 s[6:7], s[6:7], s[4:5]
	v_mov_b32_e32 v10, 0x400
	v_mov_b32_e32 v11, 0x300
	s_or_b64 vcc, s[6:7], vcc
	s_waitcnt vmcnt(21)
	v_cmp_ne_u32_e64 s[8:9], v23, v25
	s_waitcnt vmcnt(20)
	v_cmp_ne_u32_e64 s[12:13], v24, v26
	;; [unrolled: 2-line block ×8, first 2 shown]
	s_nop 1
	v_cndmask_b32_e64 v10, v10, v11, s[4:5]
	v_cndmask_b32_e32 v5, v10, v5, vcc
	s_or_b64 s[4:5], vcc, s[4:5]
	v_mov_b32_e32 v10, 0x600
	v_mov_b32_e32 v11, 0x500
	s_waitcnt vmcnt(6)
	v_cmp_ne_u32_e32 vcc, v39, v40
	s_or_b64 s[4:5], s[4:5], s[8:9]
	s_nop 0
	v_cndmask_b32_e32 v10, v10, v11, vcc
	v_cndmask_b32_e64 v5, v10, v5, s[4:5]
	s_or_b64 s[4:5], s[4:5], vcc
	v_mov_b32_e32 v10, 0x800
	v_mov_b32_e32 v11, 0x700
	s_waitcnt vmcnt(4)
	v_cmp_ne_u32_e32 vcc, v41, v42
	s_or_b64 s[4:5], s[4:5], s[10:11]
	s_nop 0
	v_cndmask_b32_e32 v10, v10, v11, vcc
	v_cndmask_b32_e64 v5, v10, v5, s[4:5]
	s_or_b64 s[4:5], s[4:5], vcc
	;; [unrolled: 9-line block ×4, first 2 shown]
	v_mov_b32_e32 v10, 0xd00
	s_or_b64 vcc, s[4:5], s[16:17]
	v_cndmask_b32_e32 v10, v10, v5, vcc
	v_mov_b32_e32 v11, v1
	v_lshl_add_u64 v[2:3], v[10:11], 0, v[2:3]
	v_cmp_lt_i64_e64 s[4:5], v[6:7], v[2:3]
	s_and_b64 s[4:5], s[20:21], s[4:5]
	s_or_b64 vcc, vcc, s[18:19]
	v_cndmask_b32_e64 v1, v2, v6, s[4:5]
	v_cndmask_b32_e64 v2, v3, v7, s[4:5]
	v_cndmask_b32_e32 v3, v7, v2, vcc
	v_cndmask_b32_e32 v2, v6, v1, vcc
	v_cmp_lt_i64_e64 s[4:5], v[8:9], v[2:3]
	s_and_b64 s[4:5], s[22:23], s[4:5]
	s_or_b64 vcc, vcc, s[20:21]
	v_cndmask_b32_e64 v1, v2, v8, s[4:5]
	v_cndmask_b32_e64 v2, v3, v9, s[4:5]
	s_or_b64 s[4:5], vcc, s[22:23]
	v_cndmask_b32_e32 v3, v9, v2, vcc
	v_cndmask_b32_e32 v2, v8, v1, vcc
	v_cndmask_b32_e64 v1, 0, 1, s[4:5]
	v_mov_b32_dpp v7, v3 quad_perm:[1,0,3,2] row_mask:0xf bank_mask:0xf bound_ctrl:1
	v_mov_b32_dpp v6, v2 quad_perm:[1,0,3,2] row_mask:0xf bank_mask:0xf bound_ctrl:1
	;; [unrolled: 1-line block ×3, first 2 shown]
	v_and_b32_e32 v8, 1, v5
	v_cmp_eq_u32_e32 vcc, 1, v8
	s_and_saveexec_b64 s[6:7], vcc
; %bb.2:
	v_cmp_lt_i64_e32 vcc, v[2:3], v[6:7]
	v_cndmask_b32_e64 v5, v5, 1, s[4:5]
	s_and_b64 vcc, s[4:5], vcc
	v_and_b32_e32 v1, 0xff, v5
	v_and_b32_e32 v5, 1, v5
	v_cndmask_b32_e32 v3, v7, v3, vcc
	v_cndmask_b32_e32 v2, v6, v2, vcc
	v_cmp_eq_u32_e32 vcc, 1, v5
	s_andn2_b64 s[4:5], s[4:5], exec
	s_and_b64 s[8:9], vcc, exec
	s_or_b64 s[4:5], s[4:5], s[8:9]
; %bb.3:
	s_or_b64 exec, exec, s[6:7]
	v_mov_b32_dpp v5, v1 quad_perm:[2,3,0,1] row_mask:0xf bank_mask:0xf bound_ctrl:1
	v_and_b32_e32 v8, 1, v5
	v_mov_b32_dpp v6, v2 quad_perm:[2,3,0,1] row_mask:0xf bank_mask:0xf bound_ctrl:1
	v_mov_b32_dpp v7, v3 quad_perm:[2,3,0,1] row_mask:0xf bank_mask:0xf bound_ctrl:1
	v_cmp_eq_u32_e32 vcc, 1, v8
	s_and_saveexec_b64 s[6:7], vcc
; %bb.4:
	v_cmp_lt_i64_e32 vcc, v[2:3], v[6:7]
	v_cndmask_b32_e64 v5, v5, 1, s[4:5]
	s_and_b64 vcc, s[4:5], vcc
	v_and_b32_e32 v1, 0xff, v5
	v_and_b32_e32 v5, 1, v5
	v_cndmask_b32_e32 v3, v7, v3, vcc
	v_cndmask_b32_e32 v2, v6, v2, vcc
	v_cmp_eq_u32_e32 vcc, 1, v5
	s_andn2_b64 s[4:5], s[4:5], exec
	s_and_b64 s[8:9], vcc, exec
	s_or_b64 s[4:5], s[4:5], s[8:9]
; %bb.5:
	s_or_b64 exec, exec, s[6:7]
	v_mov_b32_dpp v5, v1 row_ror:4 row_mask:0xf bank_mask:0xf bound_ctrl:1
	v_and_b32_e32 v8, 1, v5
	v_mov_b32_dpp v6, v2 row_ror:4 row_mask:0xf bank_mask:0xf bound_ctrl:1
	v_mov_b32_dpp v7, v3 row_ror:4 row_mask:0xf bank_mask:0xf bound_ctrl:1
	v_cmp_eq_u32_e32 vcc, 1, v8
	s_and_saveexec_b64 s[6:7], vcc
; %bb.6:
	v_cmp_lt_i64_e32 vcc, v[2:3], v[6:7]
	v_cndmask_b32_e64 v5, v5, 1, s[4:5]
	s_and_b64 vcc, s[4:5], vcc
	v_and_b32_e32 v1, 0xff, v5
	v_and_b32_e32 v5, 1, v5
	v_cndmask_b32_e32 v3, v7, v3, vcc
	v_cndmask_b32_e32 v2, v6, v2, vcc
	v_cmp_eq_u32_e32 vcc, 1, v5
	s_andn2_b64 s[4:5], s[4:5], exec
	s_and_b64 s[8:9], vcc, exec
	s_or_b64 s[4:5], s[4:5], s[8:9]
; %bb.7:
	s_or_b64 exec, exec, s[6:7]
	v_mov_b32_dpp v5, v1 row_ror:8 row_mask:0xf bank_mask:0xf bound_ctrl:1
	v_and_b32_e32 v8, 1, v5
	v_mov_b32_dpp v6, v2 row_ror:8 row_mask:0xf bank_mask:0xf bound_ctrl:1
	v_mov_b32_dpp v7, v3 row_ror:8 row_mask:0xf bank_mask:0xf bound_ctrl:1
	v_cmp_eq_u32_e32 vcc, 1, v8
	s_and_saveexec_b64 s[6:7], vcc
; %bb.8:
	v_cmp_lt_i64_e32 vcc, v[2:3], v[6:7]
	v_cndmask_b32_e64 v5, v5, 1, s[4:5]
	s_and_b64 vcc, s[4:5], vcc
	v_and_b32_e32 v1, 0xff, v5
	v_and_b32_e32 v5, 1, v5
	v_cndmask_b32_e32 v3, v7, v3, vcc
	v_cndmask_b32_e32 v2, v6, v2, vcc
	v_cmp_eq_u32_e32 vcc, 1, v5
	s_andn2_b64 s[4:5], s[4:5], exec
	s_and_b64 s[8:9], vcc, exec
	s_or_b64 s[4:5], s[4:5], s[8:9]
; %bb.9:
	s_or_b64 exec, exec, s[6:7]
	v_mov_b32_dpp v5, v1 row_bcast:15 row_mask:0xf bank_mask:0xf bound_ctrl:1
	v_and_b32_e32 v8, 1, v5
	v_mov_b32_dpp v6, v2 row_bcast:15 row_mask:0xf bank_mask:0xf bound_ctrl:1
	v_mov_b32_dpp v7, v3 row_bcast:15 row_mask:0xf bank_mask:0xf bound_ctrl:1
	v_cmp_eq_u32_e32 vcc, 1, v8
	s_and_saveexec_b64 s[6:7], vcc
; %bb.10:
	v_cmp_lt_i64_e32 vcc, v[2:3], v[6:7]
	v_cndmask_b32_e64 v5, v5, 1, s[4:5]
	s_and_b64 vcc, s[4:5], vcc
	v_and_b32_e32 v1, 0xff, v5
	v_and_b32_e32 v5, 1, v5
	v_cndmask_b32_e32 v3, v7, v3, vcc
	v_cndmask_b32_e32 v2, v6, v2, vcc
	v_cmp_eq_u32_e32 vcc, 1, v5
	s_andn2_b64 s[4:5], s[4:5], exec
	s_and_b64 s[8:9], vcc, exec
	s_or_b64 s[4:5], s[4:5], s[8:9]
; %bb.11:
	s_or_b64 exec, exec, s[6:7]
	v_mov_b32_dpp v5, v1 row_bcast:31 row_mask:0xf bank_mask:0xf bound_ctrl:1
	v_and_b32_e32 v8, 1, v5
	v_mov_b32_dpp v6, v2 row_bcast:31 row_mask:0xf bank_mask:0xf bound_ctrl:1
	v_mov_b32_dpp v7, v3 row_bcast:31 row_mask:0xf bank_mask:0xf bound_ctrl:1
	v_cmp_eq_u32_e32 vcc, 1, v8
	s_and_saveexec_b64 s[6:7], vcc
; %bb.12:
	v_cmp_lt_i64_e32 vcc, v[2:3], v[6:7]
	v_and_b32_e32 v1, 0xff, v5
	s_and_b64 vcc, s[4:5], vcc
	v_cndmask_b32_e32 v2, v6, v2, vcc
	v_cndmask_b32_e32 v3, v7, v3, vcc
	v_cndmask_b32_e64 v1, v1, 1, s[4:5]
; %bb.13:
	s_or_b64 exec, exec, s[6:7]
	v_mbcnt_lo_u32_b32 v5, -1, 0
	v_mbcnt_hi_u32_b32 v5, -1, v5
	v_bfrev_b32_e32 v6, 0.5
	v_lshl_or_b32 v6, v5, 2, v6
	ds_bpermute_b32 v7, v6, v1
	ds_bpermute_b32 v2, v6, v2
	;; [unrolled: 1-line block ×3, first 2 shown]
	v_cmp_eq_u32_e32 vcc, 0, v5
	s_and_saveexec_b64 s[4:5], vcc
	s_cbranch_execz .LBB121_15
; %bb.14:
	v_lshrrev_b32_e32 v1, 2, v0
	v_and_b32_e32 v1, 48, v1
	s_waitcnt lgkmcnt(2)
	ds_write_b8 v1, v7
	s_waitcnt lgkmcnt(1)
	ds_write_b64 v1, v[2:3] offset:8
.LBB121_15:
	s_or_b64 exec, exec, s[4:5]
	v_cmp_gt_u32_e32 vcc, 64, v0
	s_waitcnt lgkmcnt(0)
	s_barrier
	s_and_saveexec_b64 s[6:7], vcc
	s_cbranch_execz .LBB121_17
; %bb.16:
	v_and_b32_e32 v1, 3, v5
	v_lshlrev_b32_e32 v2, 4, v1
	ds_read_u8 v8, v2
	ds_read_b64 v[2:3], v2 offset:8
	v_cmp_ne_u32_e32 vcc, 3, v1
	s_waitcnt lgkmcnt(1)
	v_and_b32_e32 v7, 0xff, v8
	v_addc_co_u32_e32 v6, vcc, 0, v5, vcc
	v_lshlrev_b32_e32 v9, 2, v6
	ds_bpermute_b32 v10, v9, v7
	s_waitcnt lgkmcnt(1)
	ds_bpermute_b32 v6, v9, v2
	ds_bpermute_b32 v7, v9, v3
	v_and_b32_e32 v9, 1, v8
	s_waitcnt lgkmcnt(2)
	v_and_b32_e32 v11, 1, v10
	v_cmp_eq_u32_e64 s[4:5], 1, v11
	s_waitcnt lgkmcnt(0)
	v_cmp_lt_i64_e32 vcc, v[6:7], v[2:3]
	s_and_b64 vcc, s[4:5], vcc
	v_cndmask_b32_e64 v8, v8, 1, s[4:5]
	v_cndmask_b32_e32 v2, v2, v6, vcc
	v_cndmask_b32_e32 v3, v3, v7, vcc
	v_cmp_eq_u32_e32 vcc, 1, v9
	s_nop 1
	v_cndmask_b32_e32 v8, v10, v8, vcc
	v_cndmask_b32_e32 v3, v7, v3, vcc
	;; [unrolled: 1-line block ×3, first 2 shown]
	v_cmp_gt_u32_e32 vcc, 2, v1
	v_and_b32_e32 v6, 0xff, v8
	s_nop 0
	v_cndmask_b32_e64 v1, 0, 1, vcc
	v_lshlrev_b32_e32 v1, 1, v1
	v_add_lshl_u32 v1, v1, v5, 2
	ds_bpermute_b32 v5, v1, v6
	ds_bpermute_b32 v6, v1, v2
	;; [unrolled: 1-line block ×3, first 2 shown]
	v_and_b32_e32 v1, 1, v8
	s_waitcnt lgkmcnt(2)
	v_and_b32_e32 v9, 1, v5
	v_cmp_eq_u32_e64 s[4:5], 1, v9
	s_waitcnt lgkmcnt(0)
	v_cmp_lt_i64_e32 vcc, v[6:7], v[2:3]
	s_and_b64 vcc, s[4:5], vcc
	v_cndmask_b32_e64 v8, v8, 1, s[4:5]
	v_cndmask_b32_e32 v2, v2, v6, vcc
	v_cndmask_b32_e32 v3, v3, v7, vcc
	v_cmp_eq_u32_e32 vcc, 1, v1
	s_nop 1
	v_cndmask_b32_e32 v1, v5, v8, vcc
	v_cndmask_b32_e32 v3, v7, v3, vcc
	;; [unrolled: 1-line block ×3, first 2 shown]
	v_and_b32_e32 v7, 0xff, v1
.LBB121_17:
	s_or_b64 exec, exec, s[6:7]
	s_load_dword s33, s[0:1], 0x50
	s_load_dwordx2 s[34:35], s[0:1], 0x58
	s_branch .LBB121_87
.LBB121_18:
                                        ; implicit-def: $vgpr2_vgpr3
                                        ; implicit-def: $vgpr7
	s_load_dword s33, s[0:1], 0x50
	s_load_dwordx2 s[34:35], s[0:1], 0x58
	s_cbranch_execz .LBB121_87
; %bb.19:
	s_sub_i32 s50, s40, s24
	v_mov_b64_e32 v[18:19], 0
	v_cmp_gt_u32_e32 vcc, s50, v0
	v_mov_b32_e32 v44, 0
	v_mov_b64_e32 v[2:3], v[18:19]
	v_mov_b32_e32 v1, 0
	s_and_saveexec_b64 s[0:1], vcc
	s_cbranch_execz .LBB121_21
; %bb.20:
	global_load_dword v5, v4, s[30:31]
	global_load_dword v6, v4, s[48:49]
	v_mov_b32_e32 v1, 0
	v_lshl_add_u64 v[2:3], s[36:37], 0, v[0:1]
	s_waitcnt vmcnt(0)
	v_cmp_ne_u32_e32 vcc, v5, v6
	s_nop 1
	v_cndmask_b32_e64 v1, 0, 1, vcc
.LBB121_21:
	s_or_b64 exec, exec, s[0:1]
	v_or_b32_e32 v6, 0x100, v0
	v_cmp_gt_u32_e64 s[28:29], s50, v6
	s_and_saveexec_b64 s[0:1], s[28:29]
	s_cbranch_execz .LBB121_23
; %bb.22:
	global_load_dword v5, v4, s[30:31] offset:1024
	global_load_dword v8, v4, s[48:49] offset:1024
	v_mov_b32_e32 v7, 0
	v_lshl_add_u64 v[18:19], s[36:37], 0, v[6:7]
	s_waitcnt vmcnt(0)
	v_cmp_ne_u32_e32 vcc, v5, v8
	s_nop 1
	v_cndmask_b32_e64 v44, 0, 1, vcc
.LBB121_23:
	s_or_b64 exec, exec, s[0:1]
	v_or_b32_e32 v6, 0x200, v0
	v_mov_b64_e32 v[16:17], 0
	v_cmp_gt_u32_e64 s[26:27], s50, v6
	v_mov_b32_e32 v42, 0
	v_mov_b64_e32 v[32:33], v[16:17]
	v_mov_b32_e32 v50, 0
	s_and_saveexec_b64 s[0:1], s[26:27]
	s_cbranch_execz .LBB121_25
; %bb.24:
	global_load_dword v5, v4, s[30:31] offset:2048
	global_load_dword v8, v4, s[48:49] offset:2048
	v_mov_b32_e32 v7, 0
	v_lshl_add_u64 v[32:33], s[36:37], 0, v[6:7]
	s_waitcnt vmcnt(0)
	v_cmp_ne_u32_e32 vcc, v5, v8
	s_nop 1
	v_cndmask_b32_e64 v50, 0, 1, vcc
.LBB121_25:
	s_or_b64 exec, exec, s[0:1]
	v_or_b32_e32 v6, 0x300, v0
	v_cmp_gt_u32_e64 s[24:25], s50, v6
	s_and_saveexec_b64 s[0:1], s[24:25]
	s_cbranch_execz .LBB121_27
; %bb.26:
	global_load_dword v5, v4, s[30:31] offset:3072
	global_load_dword v8, v4, s[48:49] offset:3072
	v_mov_b32_e32 v7, 0
	v_lshl_add_u64 v[16:17], s[36:37], 0, v[6:7]
	s_waitcnt vmcnt(0)
	v_cmp_ne_u32_e32 vcc, v5, v8
	s_nop 1
	v_cndmask_b32_e64 v42, 0, 1, vcc
.LBB121_27:
	s_or_b64 exec, exec, s[0:1]
	v_or_b32_e32 v4, 0x400, v0
	v_mov_b64_e32 v[14:15], 0
	v_cmp_gt_u32_e64 s[22:23], s50, v4
	v_mov_b32_e32 v41, 0
	v_mov_b64_e32 v[30:31], v[14:15]
	v_mov_b32_e32 v49, 0
	s_and_saveexec_b64 s[0:1], s[22:23]
	s_cbranch_execz .LBB121_29
; %bb.28:
	v_lshlrev_b32_e32 v5, 2, v4
	global_load_dword v6, v5, s[30:31]
	global_load_dword v7, v5, s[48:49]
	v_mov_b32_e32 v5, 0
	v_lshl_add_u64 v[30:31], s[36:37], 0, v[4:5]
	s_waitcnt vmcnt(0)
	v_cmp_ne_u32_e32 vcc, v6, v7
	s_nop 1
	v_cndmask_b32_e64 v49, 0, 1, vcc
.LBB121_29:
	s_or_b64 exec, exec, s[0:1]
	v_or_b32_e32 v4, 0x500, v0
	v_cmp_gt_u32_e64 s[20:21], s50, v4
	s_and_saveexec_b64 s[0:1], s[20:21]
	s_cbranch_execz .LBB121_31
; %bb.30:
	v_lshlrev_b32_e32 v5, 2, v4
	global_load_dword v6, v5, s[30:31]
	global_load_dword v7, v5, s[48:49]
	v_mov_b32_e32 v5, 0
	v_lshl_add_u64 v[14:15], s[36:37], 0, v[4:5]
	s_waitcnt vmcnt(0)
	v_cmp_ne_u32_e32 vcc, v6, v7
	s_nop 1
	v_cndmask_b32_e64 v41, 0, 1, vcc
.LBB121_31:
	s_or_b64 exec, exec, s[0:1]
	v_or_b32_e32 v4, 0x600, v0
	v_mov_b64_e32 v[12:13], 0
	v_cmp_gt_u32_e64 s[18:19], s50, v4
	v_mov_b32_e32 v40, 0
	v_mov_b64_e32 v[28:29], v[12:13]
	v_mov_b32_e32 v48, 0
	s_and_saveexec_b64 s[0:1], s[18:19]
	s_cbranch_execz .LBB121_33
; %bb.32:
	v_lshlrev_b32_e32 v5, 2, v4
	global_load_dword v6, v5, s[30:31]
	global_load_dword v7, v5, s[48:49]
	v_mov_b32_e32 v5, 0
	v_lshl_add_u64 v[28:29], s[36:37], 0, v[4:5]
	s_waitcnt vmcnt(0)
	v_cmp_ne_u32_e32 vcc, v6, v7
	s_nop 1
	v_cndmask_b32_e64 v48, 0, 1, vcc
.LBB121_33:
	s_or_b64 exec, exec, s[0:1]
	v_or_b32_e32 v4, 0x700, v0
	v_cmp_gt_u32_e64 s[16:17], s50, v4
	s_and_saveexec_b64 s[0:1], s[16:17]
	s_cbranch_execz .LBB121_35
; %bb.34:
	v_lshlrev_b32_e32 v5, 2, v4
	global_load_dword v6, v5, s[30:31]
	global_load_dword v7, v5, s[48:49]
	v_mov_b32_e32 v5, 0
	v_lshl_add_u64 v[12:13], s[36:37], 0, v[4:5]
	s_waitcnt vmcnt(0)
	v_cmp_ne_u32_e32 vcc, v6, v7
	s_nop 1
	v_cndmask_b32_e64 v40, 0, 1, vcc
.LBB121_35:
	;; [unrolled: 36-line block ×4, first 2 shown]
	s_or_b64 exec, exec, s[0:1]
	v_or_b32_e32 v4, 0xc00, v0
	v_mov_b64_e32 v[6:7], 0
	v_cmp_gt_u32_e64 s[6:7], s50, v4
	v_mov_b32_e32 v37, 0
	v_mov_b32_e32 v45, 0
	v_mov_b64_e32 v[22:23], v[6:7]
	s_and_saveexec_b64 s[0:1], s[6:7]
	s_cbranch_execz .LBB121_45
; %bb.44:
	v_lshlrev_b32_e32 v5, 2, v4
	global_load_dword v20, v5, s[30:31]
	global_load_dword v21, v5, s[48:49]
	v_mov_b32_e32 v5, 0
	v_lshl_add_u64 v[22:23], s[36:37], 0, v[4:5]
	s_waitcnt vmcnt(0)
	v_cmp_ne_u32_e32 vcc, v20, v21
	s_nop 1
	v_cndmask_b32_e64 v45, 0, 1, vcc
.LBB121_45:
	s_or_b64 exec, exec, s[0:1]
	v_or_b32_e32 v4, 0xd00, v0
	v_cmp_gt_u32_e64 s[4:5], s50, v4
	s_and_saveexec_b64 s[0:1], s[4:5]
	s_cbranch_execz .LBB121_47
; %bb.46:
	v_lshlrev_b32_e32 v5, 2, v4
	global_load_dword v20, v5, s[30:31]
	global_load_dword v21, v5, s[48:49]
	v_mov_b32_e32 v5, 0
	v_lshl_add_u64 v[6:7], s[36:37], 0, v[4:5]
	s_waitcnt vmcnt(0)
	v_cmp_ne_u32_e32 vcc, v20, v21
	s_nop 1
	v_cndmask_b32_e64 v37, 0, 1, vcc
.LBB121_47:
	s_or_b64 exec, exec, s[0:1]
	v_or_b32_e32 v34, 0xe00, v0
	v_mov_b64_e32 v[4:5], 0
	v_cmp_gt_u32_e64 s[0:1], s50, v34
	v_mov_b32_e32 v36, 0
	v_mov_b32_e32 v43, 0
	v_mov_b64_e32 v[20:21], v[4:5]
	s_and_saveexec_b64 s[38:39], s[0:1]
	s_cbranch_execz .LBB121_49
; %bb.48:
	v_lshlrev_b32_e32 v20, 2, v34
	global_load_dword v43, v20, s[30:31]
	global_load_dword v51, v20, s[48:49]
	v_mov_b32_e32 v35, 0
	v_lshl_add_u64 v[20:21], s[36:37], 0, v[34:35]
	s_waitcnt vmcnt(0)
	v_cmp_ne_u32_e32 vcc, v43, v51
	s_nop 1
	v_cndmask_b32_e64 v43, 0, 1, vcc
.LBB121_49:
	s_or_b64 exec, exec, s[38:39]
	v_or_b32_e32 v34, 0xf00, v0
	v_cmp_gt_u32_e32 vcc, s50, v34
	s_and_saveexec_b64 s[38:39], vcc
	s_cbranch_execnz .LBB121_90
; %bb.50:
	s_or_b64 exec, exec, s[38:39]
	s_and_saveexec_b64 s[36:37], s[28:29]
	s_cbranch_execnz .LBB121_91
.LBB121_51:
	s_or_b64 exec, exec, s[36:37]
	s_and_saveexec_b64 s[30:31], s[26:27]
	s_cbranch_execnz .LBB121_92
.LBB121_52:
	s_or_b64 exec, exec, s[30:31]
	s_and_saveexec_b64 s[28:29], s[24:25]
	s_cbranch_execnz .LBB121_93
.LBB121_53:
	s_or_b64 exec, exec, s[28:29]
	s_and_saveexec_b64 s[26:27], s[22:23]
	s_cbranch_execnz .LBB121_94
.LBB121_54:
	s_or_b64 exec, exec, s[26:27]
	s_and_saveexec_b64 s[24:25], s[20:21]
	s_cbranch_execnz .LBB121_95
.LBB121_55:
	s_or_b64 exec, exec, s[24:25]
	s_and_saveexec_b64 s[22:23], s[18:19]
	s_cbranch_execnz .LBB121_96
.LBB121_56:
	s_or_b64 exec, exec, s[22:23]
	s_and_saveexec_b64 s[20:21], s[16:17]
	s_cbranch_execnz .LBB121_97
.LBB121_57:
	s_or_b64 exec, exec, s[20:21]
	s_and_saveexec_b64 s[18:19], s[14:15]
	s_cbranch_execnz .LBB121_98
.LBB121_58:
	s_or_b64 exec, exec, s[18:19]
	s_and_saveexec_b64 s[16:17], s[12:13]
	s_cbranch_execnz .LBB121_99
.LBB121_59:
	s_or_b64 exec, exec, s[16:17]
	s_and_saveexec_b64 s[14:15], s[10:11]
	s_cbranch_execnz .LBB121_100
.LBB121_60:
	s_or_b64 exec, exec, s[14:15]
	s_and_saveexec_b64 s[12:13], s[8:9]
	s_cbranch_execnz .LBB121_101
.LBB121_61:
	s_or_b64 exec, exec, s[12:13]
	s_and_saveexec_b64 s[10:11], s[6:7]
	s_cbranch_execnz .LBB121_102
.LBB121_62:
	s_or_b64 exec, exec, s[10:11]
	s_and_saveexec_b64 s[8:9], s[4:5]
	s_cbranch_execnz .LBB121_103
.LBB121_63:
	s_or_b64 exec, exec, s[8:9]
	s_and_saveexec_b64 s[6:7], s[0:1]
	s_cbranch_execnz .LBB121_104
.LBB121_64:
	s_or_b64 exec, exec, s[6:7]
	s_and_saveexec_b64 s[4:5], vcc
	s_cbranch_execz .LBB121_66
.LBB121_65:
	v_and_b32_e32 v7, 1, v36
	v_cmp_lt_i64_e32 vcc, v[4:5], v[2:3]
	v_cmp_eq_u32_e64 s[0:1], 1, v7
	v_and_b32_e32 v6, 1, v1
	s_and_b64 vcc, s[0:1], vcc
	v_cndmask_b32_e64 v1, v1, 1, s[0:1]
	v_cndmask_b32_e32 v2, v2, v4, vcc
	v_cndmask_b32_e32 v3, v3, v5, vcc
	v_cmp_eq_u32_e32 vcc, 1, v6
	s_nop 1
	v_cndmask_b32_e32 v1, v36, v1, vcc
	v_cndmask_b32_e32 v3, v5, v3, vcc
	;; [unrolled: 1-line block ×3, first 2 shown]
.LBB121_66:
	s_or_b64 exec, exec, s[4:5]
	v_mbcnt_lo_u32_b32 v4, -1, 0
	v_mbcnt_hi_u32_b32 v6, -1, v4
	v_and_b32_e32 v8, 63, v6
	v_cmp_ne_u32_e32 vcc, 63, v8
	v_and_b32_e32 v7, 0xffff, v1
	s_min_u32 s6, s50, 0x100
	v_addc_co_u32_e32 v4, vcc, 0, v6, vcc
	v_lshlrev_b32_e32 v5, 2, v4
	ds_bpermute_b32 v11, v5, v7
	ds_bpermute_b32 v4, v5, v2
	;; [unrolled: 1-line block ×3, first 2 shown]
	v_and_b32_e32 v9, 0xc0, v0
	v_sub_u32_e64 v10, s6, v9 clamp
	v_add_u32_e32 v9, 1, v8
	v_cmp_lt_u32_e32 vcc, v9, v10
	v_mov_b32_e32 v9, v7
	s_and_saveexec_b64 s[0:1], vcc
	s_xor_b64 s[4:5], exec, s[0:1]
	s_cbranch_execz .LBB121_68
; %bb.67:
	s_waitcnt lgkmcnt(0)
	v_and_b32_e32 v9, 1, v11
	v_cmp_lt_i64_e32 vcc, v[4:5], v[2:3]
	v_cmp_eq_u32_e64 s[0:1], 1, v9
	v_and_b32_e32 v1, 1, v1
	s_and_b64 vcc, s[0:1], vcc
	v_cndmask_b32_e64 v7, v7, 1, s[0:1]
	v_cndmask_b32_e32 v2, v2, v4, vcc
	v_cndmask_b32_e32 v3, v3, v5, vcc
	v_cmp_eq_u32_e32 vcc, 1, v1
	s_nop 1
	v_cndmask_b32_e32 v9, v11, v7, vcc
	v_cndmask_b32_e32 v3, v5, v3, vcc
	;; [unrolled: 1-line block ×3, first 2 shown]
	v_and_b32_e32 v7, 0xff, v9
.LBB121_68:
	s_or_b64 exec, exec, s[4:5]
	v_cmp_gt_u32_e32 vcc, 62, v8
	s_waitcnt lgkmcnt(0)
	v_add_u32_e32 v11, 2, v8
	v_cndmask_b32_e64 v1, 0, 1, vcc
	v_lshlrev_b32_e32 v1, 1, v1
	v_add_lshl_u32 v5, v1, v6, 2
	ds_bpermute_b32 v1, v5, v7
	ds_bpermute_b32 v4, v5, v2
	ds_bpermute_b32 v5, v5, v3
	v_cmp_lt_u32_e32 vcc, v11, v10
	s_and_saveexec_b64 s[4:5], vcc
	s_cbranch_execz .LBB121_70
; %bb.69:
	s_waitcnt lgkmcnt(2)
	v_and_b32_e32 v11, 1, v1
	s_waitcnt lgkmcnt(0)
	v_cmp_lt_i64_e32 vcc, v[4:5], v[2:3]
	v_cmp_eq_u32_e64 s[0:1], 1, v11
	v_and_b32_e32 v7, 1, v9
	s_and_b64 vcc, s[0:1], vcc
	v_cndmask_b32_e64 v9, v9, 1, s[0:1]
	v_cndmask_b32_e32 v2, v2, v4, vcc
	v_cndmask_b32_e32 v3, v3, v5, vcc
	v_cmp_eq_u32_e32 vcc, 1, v7
	s_nop 1
	v_cndmask_b32_e32 v9, v1, v9, vcc
	v_cndmask_b32_e32 v3, v5, v3, vcc
	v_cndmask_b32_e32 v2, v4, v2, vcc
	v_and_b32_e32 v7, 0xff, v9
.LBB121_70:
	s_or_b64 exec, exec, s[4:5]
	v_cmp_gt_u32_e32 vcc, 60, v8
	v_add_u32_e32 v11, 4, v8
	s_waitcnt lgkmcnt(2)
	v_cndmask_b32_e64 v1, 0, 1, vcc
	v_lshlrev_b32_e32 v1, 2, v1
	s_waitcnt lgkmcnt(0)
	v_add_lshl_u32 v5, v1, v6, 2
	ds_bpermute_b32 v1, v5, v7
	ds_bpermute_b32 v4, v5, v2
	ds_bpermute_b32 v5, v5, v3
	v_cmp_lt_u32_e32 vcc, v11, v10
	s_and_saveexec_b64 s[4:5], vcc
	s_cbranch_execz .LBB121_72
; %bb.71:
	s_waitcnt lgkmcnt(2)
	v_and_b32_e32 v11, 1, v1
	s_waitcnt lgkmcnt(0)
	v_cmp_lt_i64_e32 vcc, v[4:5], v[2:3]
	v_cmp_eq_u32_e64 s[0:1], 1, v11
	v_and_b32_e32 v7, 1, v9
	s_and_b64 vcc, s[0:1], vcc
	v_cndmask_b32_e64 v9, v9, 1, s[0:1]
	v_cndmask_b32_e32 v2, v2, v4, vcc
	v_cndmask_b32_e32 v3, v3, v5, vcc
	v_cmp_eq_u32_e32 vcc, 1, v7
	s_nop 1
	v_cndmask_b32_e32 v9, v1, v9, vcc
	v_cndmask_b32_e32 v3, v5, v3, vcc
	v_cndmask_b32_e32 v2, v4, v2, vcc
	v_and_b32_e32 v7, 0xff, v9
.LBB121_72:
	s_or_b64 exec, exec, s[4:5]
	v_cmp_gt_u32_e32 vcc, 56, v8
	v_add_u32_e32 v11, 8, v8
	s_waitcnt lgkmcnt(2)
	v_cndmask_b32_e64 v1, 0, 1, vcc
	v_lshlrev_b32_e32 v1, 3, v1
	s_waitcnt lgkmcnt(0)
	;; [unrolled: 32-line block ×4, first 2 shown]
	v_add_lshl_u32 v5, v1, v6, 2
	ds_bpermute_b32 v1, v5, v7
	ds_bpermute_b32 v4, v5, v2
	;; [unrolled: 1-line block ×3, first 2 shown]
	v_cmp_lt_u32_e32 vcc, v8, v10
	s_and_saveexec_b64 s[4:5], vcc
	s_cbranch_execz .LBB121_78
; %bb.77:
	s_waitcnt lgkmcnt(2)
	v_and_b32_e32 v8, 1, v1
	s_waitcnt lgkmcnt(0)
	v_cmp_lt_i64_e32 vcc, v[4:5], v[2:3]
	v_cmp_eq_u32_e64 s[0:1], 1, v8
	v_and_b32_e32 v7, 1, v9
	s_and_b64 vcc, s[0:1], vcc
	v_cndmask_b32_e64 v8, v9, 1, s[0:1]
	v_cndmask_b32_e32 v2, v2, v4, vcc
	v_cndmask_b32_e32 v3, v3, v5, vcc
	v_cmp_eq_u32_e32 vcc, 1, v7
	s_nop 1
	v_cndmask_b32_e32 v9, v1, v8, vcc
	v_cndmask_b32_e32 v3, v5, v3, vcc
	;; [unrolled: 1-line block ×3, first 2 shown]
	v_and_b32_e32 v7, 0xff, v9
.LBB121_78:
	s_or_b64 exec, exec, s[4:5]
	v_cmp_eq_u32_e32 vcc, 0, v6
	s_and_saveexec_b64 s[0:1], vcc
	s_cbranch_execz .LBB121_80
; %bb.79:
	s_waitcnt lgkmcnt(2)
	v_lshrrev_b32_e32 v1, 2, v0
	v_and_b32_e32 v1, 48, v1
	ds_write_b8 v1, v9 offset:64
	ds_write_b64 v1, v[2:3] offset:72
.LBB121_80:
	s_or_b64 exec, exec, s[0:1]
	v_cmp_gt_u32_e32 vcc, 4, v0
	s_waitcnt lgkmcnt(0)
	s_barrier
	s_and_saveexec_b64 s[4:5], vcc
	s_cbranch_execz .LBB121_86
; %bb.81:
	v_lshlrev_b32_e32 v2, 4, v6
	ds_read_u8 v1, v2 offset:64
	ds_read_b64 v[2:3], v2 offset:72
	v_and_b32_e32 v8, 3, v6
	v_cmp_ne_u32_e32 vcc, 3, v8
	s_add_i32 s6, s6, 63
	s_waitcnt lgkmcnt(1)
	v_and_b32_e32 v7, 0xff, v1
	v_addc_co_u32_e32 v4, vcc, 0, v6, vcc
	v_lshlrev_b32_e32 v5, 2, v4
	ds_bpermute_b32 v9, v5, v7
	s_waitcnt lgkmcnt(1)
	ds_bpermute_b32 v4, v5, v2
	ds_bpermute_b32 v5, v5, v3
	s_lshr_b32 s8, s6, 6
	v_add_u32_e32 v10, 1, v8
	v_cmp_gt_u32_e32 vcc, s8, v10
	s_and_saveexec_b64 s[6:7], vcc
	s_cbranch_execz .LBB121_83
; %bb.82:
	s_waitcnt lgkmcnt(2)
	v_and_b32_e32 v10, 1, v9
	s_waitcnt lgkmcnt(0)
	v_cmp_lt_i64_e32 vcc, v[4:5], v[2:3]
	v_cmp_eq_u32_e64 s[0:1], 1, v10
	v_and_b32_e32 v7, 1, v1
	s_and_b64 vcc, s[0:1], vcc
	v_cndmask_b32_e64 v1, v1, 1, s[0:1]
	v_cndmask_b32_e32 v2, v2, v4, vcc
	v_cndmask_b32_e32 v3, v3, v5, vcc
	v_cmp_eq_u32_e32 vcc, 1, v7
	s_nop 1
	v_cndmask_b32_e32 v1, v9, v1, vcc
	v_cndmask_b32_e32 v3, v5, v3, vcc
	;; [unrolled: 1-line block ×3, first 2 shown]
	v_and_b32_e32 v7, 0xff, v1
.LBB121_83:
	s_or_b64 exec, exec, s[6:7]
	v_cmp_gt_u32_e32 vcc, 2, v8
	v_add_u32_e32 v8, 2, v8
	s_waitcnt lgkmcnt(1)
	v_cndmask_b32_e64 v4, 0, 1, vcc
	v_lshlrev_b32_e32 v4, 1, v4
	s_waitcnt lgkmcnt(0)
	v_add_lshl_u32 v5, v4, v6, 2
	ds_bpermute_b32 v6, v5, v7
	ds_bpermute_b32 v4, v5, v2
	;; [unrolled: 1-line block ×3, first 2 shown]
	v_cmp_gt_u32_e32 vcc, s8, v8
	s_and_saveexec_b64 s[6:7], vcc
	s_cbranch_execz .LBB121_85
; %bb.84:
	s_waitcnt lgkmcnt(2)
	v_and_b32_e32 v8, 1, v6
	s_waitcnt lgkmcnt(0)
	v_cmp_lt_i64_e32 vcc, v[4:5], v[2:3]
	v_cmp_eq_u32_e64 s[0:1], 1, v8
	v_and_b32_e32 v7, 1, v1
	s_and_b64 vcc, s[0:1], vcc
	v_cndmask_b32_e64 v1, v1, 1, s[0:1]
	v_cndmask_b32_e32 v2, v2, v4, vcc
	v_cndmask_b32_e32 v3, v3, v5, vcc
	v_cmp_eq_u32_e32 vcc, 1, v7
	s_nop 1
	v_cndmask_b32_e32 v1, v6, v1, vcc
	v_cndmask_b32_e32 v3, v5, v3, vcc
	;; [unrolled: 1-line block ×3, first 2 shown]
	v_and_b32_e32 v7, 0xff, v1
.LBB121_85:
	s_or_b64 exec, exec, s[6:7]
.LBB121_86:
	s_or_b64 exec, exec, s[4:5]
.LBB121_87:
	v_cmp_eq_u32_e32 vcc, 0, v0
	s_and_saveexec_b64 s[0:1], vcc
	s_cbranch_execnz .LBB121_89
; %bb.88:
	s_endpgm
.LBB121_89:
	s_mul_i32 s0, s46, s45
	s_mul_hi_u32 s1, s46, s44
	s_add_i32 s0, s1, s0
	s_mul_i32 s1, s47, s44
	s_add_i32 s1, s0, s1
	s_mul_i32 s0, s46, s44
	s_lshl_b64 s[0:1], s[0:1], 4
	s_add_u32 s4, s42, s0
	s_addc_u32 s5, s43, s1
	s_cmp_eq_u64 s[40:41], 0
	s_waitcnt lgkmcnt(0)
	v_mov_b32_e32 v0, s35
	s_cselect_b64 vcc, -1, 0
	v_cndmask_b32_e32 v1, v3, v0, vcc
	v_mov_b32_e32 v0, s34
	s_lshl_b64 s[0:1], s[2:3], 4
	v_cndmask_b32_e32 v0, v2, v0, vcc
	v_mov_b32_e32 v2, s33
	s_add_u32 s0, s4, s0
	v_cndmask_b32_e32 v2, v7, v2, vcc
	s_addc_u32 s1, s5, s1
	v_mov_b32_e32 v3, 0
	global_store_byte v3, v2, s[0:1]
	global_store_dwordx2 v3, v[0:1], s[0:1] offset:8
	s_endpgm
.LBB121_90:
	v_lshlrev_b32_e32 v4, 2, v34
	global_load_dword v36, v4, s[30:31]
	global_load_dword v51, v4, s[48:49]
	v_mov_b32_e32 v35, 0
	v_lshl_add_u64 v[4:5], s[36:37], 0, v[34:35]
	s_waitcnt vmcnt(0)
	v_cmp_ne_u32_e64 s[30:31], v36, v51
	s_nop 1
	v_cndmask_b32_e64 v36, 0, 1, s[30:31]
	s_or_b64 exec, exec, s[38:39]
	s_and_saveexec_b64 s[36:37], s[28:29]
	s_cbranch_execz .LBB121_51
.LBB121_91:
	v_and_b32_e32 v35, 1, v44
	v_cmp_lt_i64_e64 s[28:29], v[18:19], v[2:3]
	v_cmp_eq_u32_e64 s[30:31], 1, v35
	v_and_b32_e32 v34, 1, v1
	s_and_b64 s[28:29], s[30:31], s[28:29]
	v_cndmask_b32_e64 v1, v1, 1, s[30:31]
	v_cndmask_b32_e64 v2, v2, v18, s[28:29]
	;; [unrolled: 1-line block ×3, first 2 shown]
	v_cmp_eq_u32_e64 s[28:29], 1, v34
	s_nop 1
	v_cndmask_b32_e64 v1, v44, v1, s[28:29]
	v_cndmask_b32_e64 v3, v19, v3, s[28:29]
	;; [unrolled: 1-line block ×3, first 2 shown]
	s_or_b64 exec, exec, s[36:37]
	s_and_saveexec_b64 s[30:31], s[26:27]
	s_cbranch_execz .LBB121_52
.LBB121_92:
	v_and_b32_e32 v19, 1, v50
	v_cmp_lt_i64_e64 s[26:27], v[32:33], v[2:3]
	v_cmp_eq_u32_e64 s[28:29], 1, v19
	v_and_b32_e32 v18, 1, v1
	s_and_b64 s[26:27], s[28:29], s[26:27]
	v_cndmask_b32_e64 v1, v1, 1, s[28:29]
	v_cndmask_b32_e64 v2, v2, v32, s[26:27]
	;; [unrolled: 1-line block ×3, first 2 shown]
	v_cmp_eq_u32_e64 s[26:27], 1, v18
	s_nop 1
	v_cndmask_b32_e64 v1, v50, v1, s[26:27]
	v_cndmask_b32_e64 v3, v33, v3, s[26:27]
	;; [unrolled: 1-line block ×3, first 2 shown]
	s_or_b64 exec, exec, s[30:31]
	s_and_saveexec_b64 s[28:29], s[24:25]
	s_cbranch_execz .LBB121_53
.LBB121_93:
	v_and_b32_e32 v19, 1, v42
	v_cmp_lt_i64_e64 s[24:25], v[16:17], v[2:3]
	v_cmp_eq_u32_e64 s[26:27], 1, v19
	v_and_b32_e32 v18, 1, v1
	s_and_b64 s[24:25], s[26:27], s[24:25]
	v_cndmask_b32_e64 v1, v1, 1, s[26:27]
	v_cndmask_b32_e64 v2, v2, v16, s[24:25]
	;; [unrolled: 1-line block ×3, first 2 shown]
	v_cmp_eq_u32_e64 s[24:25], 1, v18
	s_nop 1
	v_cndmask_b32_e64 v1, v42, v1, s[24:25]
	v_cndmask_b32_e64 v3, v17, v3, s[24:25]
	;; [unrolled: 1-line block ×3, first 2 shown]
	s_or_b64 exec, exec, s[28:29]
	s_and_saveexec_b64 s[26:27], s[22:23]
	s_cbranch_execz .LBB121_54
.LBB121_94:
	v_and_b32_e32 v17, 1, v49
	v_cmp_lt_i64_e64 s[22:23], v[30:31], v[2:3]
	v_cmp_eq_u32_e64 s[24:25], 1, v17
	v_and_b32_e32 v16, 1, v1
	s_and_b64 s[22:23], s[24:25], s[22:23]
	v_cndmask_b32_e64 v1, v1, 1, s[24:25]
	v_cndmask_b32_e64 v2, v2, v30, s[22:23]
	;; [unrolled: 1-line block ×3, first 2 shown]
	v_cmp_eq_u32_e64 s[22:23], 1, v16
	s_nop 1
	v_cndmask_b32_e64 v1, v49, v1, s[22:23]
	v_cndmask_b32_e64 v3, v31, v3, s[22:23]
	;; [unrolled: 1-line block ×3, first 2 shown]
	s_or_b64 exec, exec, s[26:27]
	s_and_saveexec_b64 s[24:25], s[20:21]
	s_cbranch_execz .LBB121_55
.LBB121_95:
	v_and_b32_e32 v17, 1, v41
	v_cmp_lt_i64_e64 s[20:21], v[14:15], v[2:3]
	v_cmp_eq_u32_e64 s[22:23], 1, v17
	v_and_b32_e32 v16, 1, v1
	s_and_b64 s[20:21], s[22:23], s[20:21]
	v_cndmask_b32_e64 v1, v1, 1, s[22:23]
	v_cndmask_b32_e64 v2, v2, v14, s[20:21]
	;; [unrolled: 1-line block ×3, first 2 shown]
	v_cmp_eq_u32_e64 s[20:21], 1, v16
	s_nop 1
	v_cndmask_b32_e64 v1, v41, v1, s[20:21]
	v_cndmask_b32_e64 v3, v15, v3, s[20:21]
	;; [unrolled: 1-line block ×3, first 2 shown]
	s_or_b64 exec, exec, s[24:25]
	s_and_saveexec_b64 s[22:23], s[18:19]
	s_cbranch_execz .LBB121_56
.LBB121_96:
	v_and_b32_e32 v15, 1, v48
	v_cmp_lt_i64_e64 s[18:19], v[28:29], v[2:3]
	v_cmp_eq_u32_e64 s[20:21], 1, v15
	v_and_b32_e32 v14, 1, v1
	s_and_b64 s[18:19], s[20:21], s[18:19]
	v_cndmask_b32_e64 v1, v1, 1, s[20:21]
	v_cndmask_b32_e64 v2, v2, v28, s[18:19]
	;; [unrolled: 1-line block ×3, first 2 shown]
	v_cmp_eq_u32_e64 s[18:19], 1, v14
	s_nop 1
	v_cndmask_b32_e64 v1, v48, v1, s[18:19]
	v_cndmask_b32_e64 v3, v29, v3, s[18:19]
	;; [unrolled: 1-line block ×3, first 2 shown]
	s_or_b64 exec, exec, s[22:23]
	s_and_saveexec_b64 s[20:21], s[16:17]
	s_cbranch_execz .LBB121_57
.LBB121_97:
	v_and_b32_e32 v15, 1, v40
	v_cmp_lt_i64_e64 s[16:17], v[12:13], v[2:3]
	v_cmp_eq_u32_e64 s[18:19], 1, v15
	v_and_b32_e32 v14, 1, v1
	s_and_b64 s[16:17], s[18:19], s[16:17]
	v_cndmask_b32_e64 v1, v1, 1, s[18:19]
	v_cndmask_b32_e64 v2, v2, v12, s[16:17]
	;; [unrolled: 1-line block ×3, first 2 shown]
	v_cmp_eq_u32_e64 s[16:17], 1, v14
	s_nop 1
	v_cndmask_b32_e64 v1, v40, v1, s[16:17]
	v_cndmask_b32_e64 v3, v13, v3, s[16:17]
	;; [unrolled: 1-line block ×3, first 2 shown]
	s_or_b64 exec, exec, s[20:21]
	s_and_saveexec_b64 s[18:19], s[14:15]
	s_cbranch_execz .LBB121_58
.LBB121_98:
	v_and_b32_e32 v13, 1, v47
	v_cmp_lt_i64_e64 s[14:15], v[26:27], v[2:3]
	v_cmp_eq_u32_e64 s[16:17], 1, v13
	v_and_b32_e32 v12, 1, v1
	s_and_b64 s[14:15], s[16:17], s[14:15]
	v_cndmask_b32_e64 v1, v1, 1, s[16:17]
	v_cndmask_b32_e64 v2, v2, v26, s[14:15]
	;; [unrolled: 1-line block ×3, first 2 shown]
	v_cmp_eq_u32_e64 s[14:15], 1, v12
	s_nop 1
	v_cndmask_b32_e64 v1, v47, v1, s[14:15]
	v_cndmask_b32_e64 v3, v27, v3, s[14:15]
	;; [unrolled: 1-line block ×3, first 2 shown]
	s_or_b64 exec, exec, s[18:19]
	s_and_saveexec_b64 s[16:17], s[12:13]
	s_cbranch_execz .LBB121_59
.LBB121_99:
	v_and_b32_e32 v13, 1, v39
	v_cmp_lt_i64_e64 s[12:13], v[10:11], v[2:3]
	v_cmp_eq_u32_e64 s[14:15], 1, v13
	v_and_b32_e32 v12, 1, v1
	s_and_b64 s[12:13], s[14:15], s[12:13]
	v_cndmask_b32_e64 v1, v1, 1, s[14:15]
	v_cndmask_b32_e64 v2, v2, v10, s[12:13]
	;; [unrolled: 1-line block ×3, first 2 shown]
	v_cmp_eq_u32_e64 s[12:13], 1, v12
	s_nop 1
	v_cndmask_b32_e64 v1, v39, v1, s[12:13]
	v_cndmask_b32_e64 v3, v11, v3, s[12:13]
	v_cndmask_b32_e64 v2, v10, v2, s[12:13]
	s_or_b64 exec, exec, s[16:17]
	s_and_saveexec_b64 s[14:15], s[10:11]
	s_cbranch_execz .LBB121_60
.LBB121_100:
	v_and_b32_e32 v11, 1, v46
	v_cmp_lt_i64_e64 s[10:11], v[24:25], v[2:3]
	v_cmp_eq_u32_e64 s[12:13], 1, v11
	v_and_b32_e32 v10, 1, v1
	s_and_b64 s[10:11], s[12:13], s[10:11]
	v_cndmask_b32_e64 v1, v1, 1, s[12:13]
	v_cndmask_b32_e64 v2, v2, v24, s[10:11]
	;; [unrolled: 1-line block ×3, first 2 shown]
	v_cmp_eq_u32_e64 s[10:11], 1, v10
	s_nop 1
	v_cndmask_b32_e64 v1, v46, v1, s[10:11]
	v_cndmask_b32_e64 v3, v25, v3, s[10:11]
	;; [unrolled: 1-line block ×3, first 2 shown]
	s_or_b64 exec, exec, s[14:15]
	s_and_saveexec_b64 s[12:13], s[8:9]
	s_cbranch_execz .LBB121_61
.LBB121_101:
	v_and_b32_e32 v11, 1, v38
	v_cmp_lt_i64_e64 s[8:9], v[8:9], v[2:3]
	v_cmp_eq_u32_e64 s[10:11], 1, v11
	v_and_b32_e32 v10, 1, v1
	s_and_b64 s[8:9], s[10:11], s[8:9]
	v_cndmask_b32_e64 v1, v1, 1, s[10:11]
	v_cndmask_b32_e64 v2, v2, v8, s[8:9]
	;; [unrolled: 1-line block ×3, first 2 shown]
	v_cmp_eq_u32_e64 s[8:9], 1, v10
	s_nop 1
	v_cndmask_b32_e64 v1, v38, v1, s[8:9]
	v_cndmask_b32_e64 v3, v9, v3, s[8:9]
	;; [unrolled: 1-line block ×3, first 2 shown]
	s_or_b64 exec, exec, s[12:13]
	s_and_saveexec_b64 s[10:11], s[6:7]
	s_cbranch_execz .LBB121_62
.LBB121_102:
	v_and_b32_e32 v9, 1, v45
	v_cmp_lt_i64_e64 s[6:7], v[22:23], v[2:3]
	v_cmp_eq_u32_e64 s[8:9], 1, v9
	v_and_b32_e32 v8, 1, v1
	s_and_b64 s[6:7], s[8:9], s[6:7]
	v_cndmask_b32_e64 v1, v1, 1, s[8:9]
	v_cndmask_b32_e64 v2, v2, v22, s[6:7]
	;; [unrolled: 1-line block ×3, first 2 shown]
	v_cmp_eq_u32_e64 s[6:7], 1, v8
	s_nop 1
	v_cndmask_b32_e64 v1, v45, v1, s[6:7]
	v_cndmask_b32_e64 v3, v23, v3, s[6:7]
	;; [unrolled: 1-line block ×3, first 2 shown]
	s_or_b64 exec, exec, s[10:11]
	s_and_saveexec_b64 s[8:9], s[4:5]
	s_cbranch_execz .LBB121_63
.LBB121_103:
	v_and_b32_e32 v9, 1, v37
	v_cmp_lt_i64_e64 s[4:5], v[6:7], v[2:3]
	v_cmp_eq_u32_e64 s[6:7], 1, v9
	v_and_b32_e32 v8, 1, v1
	s_and_b64 s[4:5], s[6:7], s[4:5]
	v_cndmask_b32_e64 v1, v1, 1, s[6:7]
	v_cndmask_b32_e64 v2, v2, v6, s[4:5]
	;; [unrolled: 1-line block ×3, first 2 shown]
	v_cmp_eq_u32_e64 s[4:5], 1, v8
	s_nop 1
	v_cndmask_b32_e64 v1, v37, v1, s[4:5]
	v_cndmask_b32_e64 v3, v7, v3, s[4:5]
	;; [unrolled: 1-line block ×3, first 2 shown]
	s_or_b64 exec, exec, s[8:9]
	s_and_saveexec_b64 s[6:7], s[0:1]
	s_cbranch_execz .LBB121_64
.LBB121_104:
	v_and_b32_e32 v7, 1, v43
	v_cmp_lt_i64_e64 s[0:1], v[20:21], v[2:3]
	v_cmp_eq_u32_e64 s[4:5], 1, v7
	v_and_b32_e32 v6, 1, v1
	s_and_b64 s[0:1], s[4:5], s[0:1]
	v_cndmask_b32_e64 v1, v1, 1, s[4:5]
	v_cndmask_b32_e64 v2, v2, v20, s[0:1]
	;; [unrolled: 1-line block ×3, first 2 shown]
	v_cmp_eq_u32_e64 s[0:1], 1, v6
	s_nop 1
	v_cndmask_b32_e64 v1, v43, v1, s[0:1]
	v_cndmask_b32_e64 v3, v21, v3, s[0:1]
	;; [unrolled: 1-line block ×3, first 2 shown]
	s_or_b64 exec, exec, s[6:7]
	s_and_saveexec_b64 s[4:5], vcc
	s_cbranch_execnz .LBB121_65
	s_branch .LBB121_66
	.section	.rodata,"a",@progbits
	.p2align	6, 0x0
	.amdhsa_kernel _ZN7rocprim17ROCPRIM_400000_NS6detail17trampoline_kernelINS0_14default_configENS1_22reduce_config_selectorIN6thrust23THRUST_200600_302600_NS5tupleIblNS6_9null_typeES8_S8_S8_S8_S8_S8_S8_EEEEZNS1_11reduce_implILb1ES3_NS6_12zip_iteratorINS7_INS6_11hip_rocprim26transform_input_iterator_tIbNSD_35transform_pair_of_input_iterators_tIbNS6_6detail15normal_iteratorINS6_10device_ptrIKiEEEESL_NS6_8equal_toIiEEEENSG_9not_fun_tINSD_8identityEEEEENSD_19counting_iterator_tIlEES8_S8_S8_S8_S8_S8_S8_S8_EEEEPS9_S9_NSD_9__find_if7functorIS9_EEEE10hipError_tPvRmT1_T2_T3_mT4_P12ihipStream_tbEUlT_E0_NS1_11comp_targetILNS1_3genE5ELNS1_11target_archE942ELNS1_3gpuE9ELNS1_3repE0EEENS1_30default_config_static_selectorELNS0_4arch9wavefront6targetE1EEEvS14_
		.amdhsa_group_segment_fixed_size 128
		.amdhsa_private_segment_fixed_size 0
		.amdhsa_kernarg_size 104
		.amdhsa_user_sgpr_count 2
		.amdhsa_user_sgpr_dispatch_ptr 0
		.amdhsa_user_sgpr_queue_ptr 0
		.amdhsa_user_sgpr_kernarg_segment_ptr 1
		.amdhsa_user_sgpr_dispatch_id 0
		.amdhsa_user_sgpr_kernarg_preload_length 0
		.amdhsa_user_sgpr_kernarg_preload_offset 0
		.amdhsa_user_sgpr_private_segment_size 0
		.amdhsa_uses_dynamic_stack 0
		.amdhsa_enable_private_segment 0
		.amdhsa_system_sgpr_workgroup_id_x 1
		.amdhsa_system_sgpr_workgroup_id_y 0
		.amdhsa_system_sgpr_workgroup_id_z 0
		.amdhsa_system_sgpr_workgroup_info 0
		.amdhsa_system_vgpr_workitem_id 0
		.amdhsa_next_free_vgpr 52
		.amdhsa_next_free_sgpr 51
		.amdhsa_accum_offset 52
		.amdhsa_reserve_vcc 1
		.amdhsa_float_round_mode_32 0
		.amdhsa_float_round_mode_16_64 0
		.amdhsa_float_denorm_mode_32 3
		.amdhsa_float_denorm_mode_16_64 3
		.amdhsa_dx10_clamp 1
		.amdhsa_ieee_mode 1
		.amdhsa_fp16_overflow 0
		.amdhsa_tg_split 0
		.amdhsa_exception_fp_ieee_invalid_op 0
		.amdhsa_exception_fp_denorm_src 0
		.amdhsa_exception_fp_ieee_div_zero 0
		.amdhsa_exception_fp_ieee_overflow 0
		.amdhsa_exception_fp_ieee_underflow 0
		.amdhsa_exception_fp_ieee_inexact 0
		.amdhsa_exception_int_div_zero 0
	.end_amdhsa_kernel
	.section	.text._ZN7rocprim17ROCPRIM_400000_NS6detail17trampoline_kernelINS0_14default_configENS1_22reduce_config_selectorIN6thrust23THRUST_200600_302600_NS5tupleIblNS6_9null_typeES8_S8_S8_S8_S8_S8_S8_EEEEZNS1_11reduce_implILb1ES3_NS6_12zip_iteratorINS7_INS6_11hip_rocprim26transform_input_iterator_tIbNSD_35transform_pair_of_input_iterators_tIbNS6_6detail15normal_iteratorINS6_10device_ptrIKiEEEESL_NS6_8equal_toIiEEEENSG_9not_fun_tINSD_8identityEEEEENSD_19counting_iterator_tIlEES8_S8_S8_S8_S8_S8_S8_S8_EEEEPS9_S9_NSD_9__find_if7functorIS9_EEEE10hipError_tPvRmT1_T2_T3_mT4_P12ihipStream_tbEUlT_E0_NS1_11comp_targetILNS1_3genE5ELNS1_11target_archE942ELNS1_3gpuE9ELNS1_3repE0EEENS1_30default_config_static_selectorELNS0_4arch9wavefront6targetE1EEEvS14_,"axG",@progbits,_ZN7rocprim17ROCPRIM_400000_NS6detail17trampoline_kernelINS0_14default_configENS1_22reduce_config_selectorIN6thrust23THRUST_200600_302600_NS5tupleIblNS6_9null_typeES8_S8_S8_S8_S8_S8_S8_EEEEZNS1_11reduce_implILb1ES3_NS6_12zip_iteratorINS7_INS6_11hip_rocprim26transform_input_iterator_tIbNSD_35transform_pair_of_input_iterators_tIbNS6_6detail15normal_iteratorINS6_10device_ptrIKiEEEESL_NS6_8equal_toIiEEEENSG_9not_fun_tINSD_8identityEEEEENSD_19counting_iterator_tIlEES8_S8_S8_S8_S8_S8_S8_S8_EEEEPS9_S9_NSD_9__find_if7functorIS9_EEEE10hipError_tPvRmT1_T2_T3_mT4_P12ihipStream_tbEUlT_E0_NS1_11comp_targetILNS1_3genE5ELNS1_11target_archE942ELNS1_3gpuE9ELNS1_3repE0EEENS1_30default_config_static_selectorELNS0_4arch9wavefront6targetE1EEEvS14_,comdat
.Lfunc_end121:
	.size	_ZN7rocprim17ROCPRIM_400000_NS6detail17trampoline_kernelINS0_14default_configENS1_22reduce_config_selectorIN6thrust23THRUST_200600_302600_NS5tupleIblNS6_9null_typeES8_S8_S8_S8_S8_S8_S8_EEEEZNS1_11reduce_implILb1ES3_NS6_12zip_iteratorINS7_INS6_11hip_rocprim26transform_input_iterator_tIbNSD_35transform_pair_of_input_iterators_tIbNS6_6detail15normal_iteratorINS6_10device_ptrIKiEEEESL_NS6_8equal_toIiEEEENSG_9not_fun_tINSD_8identityEEEEENSD_19counting_iterator_tIlEES8_S8_S8_S8_S8_S8_S8_S8_EEEEPS9_S9_NSD_9__find_if7functorIS9_EEEE10hipError_tPvRmT1_T2_T3_mT4_P12ihipStream_tbEUlT_E0_NS1_11comp_targetILNS1_3genE5ELNS1_11target_archE942ELNS1_3gpuE9ELNS1_3repE0EEENS1_30default_config_static_selectorELNS0_4arch9wavefront6targetE1EEEvS14_, .Lfunc_end121-_ZN7rocprim17ROCPRIM_400000_NS6detail17trampoline_kernelINS0_14default_configENS1_22reduce_config_selectorIN6thrust23THRUST_200600_302600_NS5tupleIblNS6_9null_typeES8_S8_S8_S8_S8_S8_S8_EEEEZNS1_11reduce_implILb1ES3_NS6_12zip_iteratorINS7_INS6_11hip_rocprim26transform_input_iterator_tIbNSD_35transform_pair_of_input_iterators_tIbNS6_6detail15normal_iteratorINS6_10device_ptrIKiEEEESL_NS6_8equal_toIiEEEENSG_9not_fun_tINSD_8identityEEEEENSD_19counting_iterator_tIlEES8_S8_S8_S8_S8_S8_S8_S8_EEEEPS9_S9_NSD_9__find_if7functorIS9_EEEE10hipError_tPvRmT1_T2_T3_mT4_P12ihipStream_tbEUlT_E0_NS1_11comp_targetILNS1_3genE5ELNS1_11target_archE942ELNS1_3gpuE9ELNS1_3repE0EEENS1_30default_config_static_selectorELNS0_4arch9wavefront6targetE1EEEvS14_
                                        ; -- End function
	.section	.AMDGPU.csdata,"",@progbits
; Kernel info:
; codeLenInByte = 6516
; NumSgprs: 57
; NumVgprs: 52
; NumAgprs: 0
; TotalNumVgprs: 52
; ScratchSize: 0
; MemoryBound: 0
; FloatMode: 240
; IeeeMode: 1
; LDSByteSize: 128 bytes/workgroup (compile time only)
; SGPRBlocks: 7
; VGPRBlocks: 6
; NumSGPRsForWavesPerEU: 57
; NumVGPRsForWavesPerEU: 52
; AccumOffset: 52
; Occupancy: 8
; WaveLimiterHint : 0
; COMPUTE_PGM_RSRC2:SCRATCH_EN: 0
; COMPUTE_PGM_RSRC2:USER_SGPR: 2
; COMPUTE_PGM_RSRC2:TRAP_HANDLER: 0
; COMPUTE_PGM_RSRC2:TGID_X_EN: 1
; COMPUTE_PGM_RSRC2:TGID_Y_EN: 0
; COMPUTE_PGM_RSRC2:TGID_Z_EN: 0
; COMPUTE_PGM_RSRC2:TIDIG_COMP_CNT: 0
; COMPUTE_PGM_RSRC3_GFX90A:ACCUM_OFFSET: 12
; COMPUTE_PGM_RSRC3_GFX90A:TG_SPLIT: 0
	.section	.text._ZN7rocprim17ROCPRIM_400000_NS6detail17trampoline_kernelINS0_14default_configENS1_22reduce_config_selectorIN6thrust23THRUST_200600_302600_NS5tupleIblNS6_9null_typeES8_S8_S8_S8_S8_S8_S8_EEEEZNS1_11reduce_implILb1ES3_NS6_12zip_iteratorINS7_INS6_11hip_rocprim26transform_input_iterator_tIbNSD_35transform_pair_of_input_iterators_tIbNS6_6detail15normal_iteratorINS6_10device_ptrIKiEEEESL_NS6_8equal_toIiEEEENSG_9not_fun_tINSD_8identityEEEEENSD_19counting_iterator_tIlEES8_S8_S8_S8_S8_S8_S8_S8_EEEEPS9_S9_NSD_9__find_if7functorIS9_EEEE10hipError_tPvRmT1_T2_T3_mT4_P12ihipStream_tbEUlT_E0_NS1_11comp_targetILNS1_3genE4ELNS1_11target_archE910ELNS1_3gpuE8ELNS1_3repE0EEENS1_30default_config_static_selectorELNS0_4arch9wavefront6targetE1EEEvS14_,"axG",@progbits,_ZN7rocprim17ROCPRIM_400000_NS6detail17trampoline_kernelINS0_14default_configENS1_22reduce_config_selectorIN6thrust23THRUST_200600_302600_NS5tupleIblNS6_9null_typeES8_S8_S8_S8_S8_S8_S8_EEEEZNS1_11reduce_implILb1ES3_NS6_12zip_iteratorINS7_INS6_11hip_rocprim26transform_input_iterator_tIbNSD_35transform_pair_of_input_iterators_tIbNS6_6detail15normal_iteratorINS6_10device_ptrIKiEEEESL_NS6_8equal_toIiEEEENSG_9not_fun_tINSD_8identityEEEEENSD_19counting_iterator_tIlEES8_S8_S8_S8_S8_S8_S8_S8_EEEEPS9_S9_NSD_9__find_if7functorIS9_EEEE10hipError_tPvRmT1_T2_T3_mT4_P12ihipStream_tbEUlT_E0_NS1_11comp_targetILNS1_3genE4ELNS1_11target_archE910ELNS1_3gpuE8ELNS1_3repE0EEENS1_30default_config_static_selectorELNS0_4arch9wavefront6targetE1EEEvS14_,comdat
	.protected	_ZN7rocprim17ROCPRIM_400000_NS6detail17trampoline_kernelINS0_14default_configENS1_22reduce_config_selectorIN6thrust23THRUST_200600_302600_NS5tupleIblNS6_9null_typeES8_S8_S8_S8_S8_S8_S8_EEEEZNS1_11reduce_implILb1ES3_NS6_12zip_iteratorINS7_INS6_11hip_rocprim26transform_input_iterator_tIbNSD_35transform_pair_of_input_iterators_tIbNS6_6detail15normal_iteratorINS6_10device_ptrIKiEEEESL_NS6_8equal_toIiEEEENSG_9not_fun_tINSD_8identityEEEEENSD_19counting_iterator_tIlEES8_S8_S8_S8_S8_S8_S8_S8_EEEEPS9_S9_NSD_9__find_if7functorIS9_EEEE10hipError_tPvRmT1_T2_T3_mT4_P12ihipStream_tbEUlT_E0_NS1_11comp_targetILNS1_3genE4ELNS1_11target_archE910ELNS1_3gpuE8ELNS1_3repE0EEENS1_30default_config_static_selectorELNS0_4arch9wavefront6targetE1EEEvS14_ ; -- Begin function _ZN7rocprim17ROCPRIM_400000_NS6detail17trampoline_kernelINS0_14default_configENS1_22reduce_config_selectorIN6thrust23THRUST_200600_302600_NS5tupleIblNS6_9null_typeES8_S8_S8_S8_S8_S8_S8_EEEEZNS1_11reduce_implILb1ES3_NS6_12zip_iteratorINS7_INS6_11hip_rocprim26transform_input_iterator_tIbNSD_35transform_pair_of_input_iterators_tIbNS6_6detail15normal_iteratorINS6_10device_ptrIKiEEEESL_NS6_8equal_toIiEEEENSG_9not_fun_tINSD_8identityEEEEENSD_19counting_iterator_tIlEES8_S8_S8_S8_S8_S8_S8_S8_EEEEPS9_S9_NSD_9__find_if7functorIS9_EEEE10hipError_tPvRmT1_T2_T3_mT4_P12ihipStream_tbEUlT_E0_NS1_11comp_targetILNS1_3genE4ELNS1_11target_archE910ELNS1_3gpuE8ELNS1_3repE0EEENS1_30default_config_static_selectorELNS0_4arch9wavefront6targetE1EEEvS14_
	.globl	_ZN7rocprim17ROCPRIM_400000_NS6detail17trampoline_kernelINS0_14default_configENS1_22reduce_config_selectorIN6thrust23THRUST_200600_302600_NS5tupleIblNS6_9null_typeES8_S8_S8_S8_S8_S8_S8_EEEEZNS1_11reduce_implILb1ES3_NS6_12zip_iteratorINS7_INS6_11hip_rocprim26transform_input_iterator_tIbNSD_35transform_pair_of_input_iterators_tIbNS6_6detail15normal_iteratorINS6_10device_ptrIKiEEEESL_NS6_8equal_toIiEEEENSG_9not_fun_tINSD_8identityEEEEENSD_19counting_iterator_tIlEES8_S8_S8_S8_S8_S8_S8_S8_EEEEPS9_S9_NSD_9__find_if7functorIS9_EEEE10hipError_tPvRmT1_T2_T3_mT4_P12ihipStream_tbEUlT_E0_NS1_11comp_targetILNS1_3genE4ELNS1_11target_archE910ELNS1_3gpuE8ELNS1_3repE0EEENS1_30default_config_static_selectorELNS0_4arch9wavefront6targetE1EEEvS14_
	.p2align	8
	.type	_ZN7rocprim17ROCPRIM_400000_NS6detail17trampoline_kernelINS0_14default_configENS1_22reduce_config_selectorIN6thrust23THRUST_200600_302600_NS5tupleIblNS6_9null_typeES8_S8_S8_S8_S8_S8_S8_EEEEZNS1_11reduce_implILb1ES3_NS6_12zip_iteratorINS7_INS6_11hip_rocprim26transform_input_iterator_tIbNSD_35transform_pair_of_input_iterators_tIbNS6_6detail15normal_iteratorINS6_10device_ptrIKiEEEESL_NS6_8equal_toIiEEEENSG_9not_fun_tINSD_8identityEEEEENSD_19counting_iterator_tIlEES8_S8_S8_S8_S8_S8_S8_S8_EEEEPS9_S9_NSD_9__find_if7functorIS9_EEEE10hipError_tPvRmT1_T2_T3_mT4_P12ihipStream_tbEUlT_E0_NS1_11comp_targetILNS1_3genE4ELNS1_11target_archE910ELNS1_3gpuE8ELNS1_3repE0EEENS1_30default_config_static_selectorELNS0_4arch9wavefront6targetE1EEEvS14_,@function
_ZN7rocprim17ROCPRIM_400000_NS6detail17trampoline_kernelINS0_14default_configENS1_22reduce_config_selectorIN6thrust23THRUST_200600_302600_NS5tupleIblNS6_9null_typeES8_S8_S8_S8_S8_S8_S8_EEEEZNS1_11reduce_implILb1ES3_NS6_12zip_iteratorINS7_INS6_11hip_rocprim26transform_input_iterator_tIbNSD_35transform_pair_of_input_iterators_tIbNS6_6detail15normal_iteratorINS6_10device_ptrIKiEEEESL_NS6_8equal_toIiEEEENSG_9not_fun_tINSD_8identityEEEEENSD_19counting_iterator_tIlEES8_S8_S8_S8_S8_S8_S8_S8_EEEEPS9_S9_NSD_9__find_if7functorIS9_EEEE10hipError_tPvRmT1_T2_T3_mT4_P12ihipStream_tbEUlT_E0_NS1_11comp_targetILNS1_3genE4ELNS1_11target_archE910ELNS1_3gpuE8ELNS1_3repE0EEENS1_30default_config_static_selectorELNS0_4arch9wavefront6targetE1EEEvS14_: ; @_ZN7rocprim17ROCPRIM_400000_NS6detail17trampoline_kernelINS0_14default_configENS1_22reduce_config_selectorIN6thrust23THRUST_200600_302600_NS5tupleIblNS6_9null_typeES8_S8_S8_S8_S8_S8_S8_EEEEZNS1_11reduce_implILb1ES3_NS6_12zip_iteratorINS7_INS6_11hip_rocprim26transform_input_iterator_tIbNSD_35transform_pair_of_input_iterators_tIbNS6_6detail15normal_iteratorINS6_10device_ptrIKiEEEESL_NS6_8equal_toIiEEEENSG_9not_fun_tINSD_8identityEEEEENSD_19counting_iterator_tIlEES8_S8_S8_S8_S8_S8_S8_S8_EEEEPS9_S9_NSD_9__find_if7functorIS9_EEEE10hipError_tPvRmT1_T2_T3_mT4_P12ihipStream_tbEUlT_E0_NS1_11comp_targetILNS1_3genE4ELNS1_11target_archE910ELNS1_3gpuE8ELNS1_3repE0EEENS1_30default_config_static_selectorELNS0_4arch9wavefront6targetE1EEEvS14_
; %bb.0:
	.section	.rodata,"a",@progbits
	.p2align	6, 0x0
	.amdhsa_kernel _ZN7rocprim17ROCPRIM_400000_NS6detail17trampoline_kernelINS0_14default_configENS1_22reduce_config_selectorIN6thrust23THRUST_200600_302600_NS5tupleIblNS6_9null_typeES8_S8_S8_S8_S8_S8_S8_EEEEZNS1_11reduce_implILb1ES3_NS6_12zip_iteratorINS7_INS6_11hip_rocprim26transform_input_iterator_tIbNSD_35transform_pair_of_input_iterators_tIbNS6_6detail15normal_iteratorINS6_10device_ptrIKiEEEESL_NS6_8equal_toIiEEEENSG_9not_fun_tINSD_8identityEEEEENSD_19counting_iterator_tIlEES8_S8_S8_S8_S8_S8_S8_S8_EEEEPS9_S9_NSD_9__find_if7functorIS9_EEEE10hipError_tPvRmT1_T2_T3_mT4_P12ihipStream_tbEUlT_E0_NS1_11comp_targetILNS1_3genE4ELNS1_11target_archE910ELNS1_3gpuE8ELNS1_3repE0EEENS1_30default_config_static_selectorELNS0_4arch9wavefront6targetE1EEEvS14_
		.amdhsa_group_segment_fixed_size 0
		.amdhsa_private_segment_fixed_size 0
		.amdhsa_kernarg_size 104
		.amdhsa_user_sgpr_count 2
		.amdhsa_user_sgpr_dispatch_ptr 0
		.amdhsa_user_sgpr_queue_ptr 0
		.amdhsa_user_sgpr_kernarg_segment_ptr 1
		.amdhsa_user_sgpr_dispatch_id 0
		.amdhsa_user_sgpr_kernarg_preload_length 0
		.amdhsa_user_sgpr_kernarg_preload_offset 0
		.amdhsa_user_sgpr_private_segment_size 0
		.amdhsa_uses_dynamic_stack 0
		.amdhsa_enable_private_segment 0
		.amdhsa_system_sgpr_workgroup_id_x 1
		.amdhsa_system_sgpr_workgroup_id_y 0
		.amdhsa_system_sgpr_workgroup_id_z 0
		.amdhsa_system_sgpr_workgroup_info 0
		.amdhsa_system_vgpr_workitem_id 0
		.amdhsa_next_free_vgpr 1
		.amdhsa_next_free_sgpr 0
		.amdhsa_accum_offset 4
		.amdhsa_reserve_vcc 0
		.amdhsa_float_round_mode_32 0
		.amdhsa_float_round_mode_16_64 0
		.amdhsa_float_denorm_mode_32 3
		.amdhsa_float_denorm_mode_16_64 3
		.amdhsa_dx10_clamp 1
		.amdhsa_ieee_mode 1
		.amdhsa_fp16_overflow 0
		.amdhsa_tg_split 0
		.amdhsa_exception_fp_ieee_invalid_op 0
		.amdhsa_exception_fp_denorm_src 0
		.amdhsa_exception_fp_ieee_div_zero 0
		.amdhsa_exception_fp_ieee_overflow 0
		.amdhsa_exception_fp_ieee_underflow 0
		.amdhsa_exception_fp_ieee_inexact 0
		.amdhsa_exception_int_div_zero 0
	.end_amdhsa_kernel
	.section	.text._ZN7rocprim17ROCPRIM_400000_NS6detail17trampoline_kernelINS0_14default_configENS1_22reduce_config_selectorIN6thrust23THRUST_200600_302600_NS5tupleIblNS6_9null_typeES8_S8_S8_S8_S8_S8_S8_EEEEZNS1_11reduce_implILb1ES3_NS6_12zip_iteratorINS7_INS6_11hip_rocprim26transform_input_iterator_tIbNSD_35transform_pair_of_input_iterators_tIbNS6_6detail15normal_iteratorINS6_10device_ptrIKiEEEESL_NS6_8equal_toIiEEEENSG_9not_fun_tINSD_8identityEEEEENSD_19counting_iterator_tIlEES8_S8_S8_S8_S8_S8_S8_S8_EEEEPS9_S9_NSD_9__find_if7functorIS9_EEEE10hipError_tPvRmT1_T2_T3_mT4_P12ihipStream_tbEUlT_E0_NS1_11comp_targetILNS1_3genE4ELNS1_11target_archE910ELNS1_3gpuE8ELNS1_3repE0EEENS1_30default_config_static_selectorELNS0_4arch9wavefront6targetE1EEEvS14_,"axG",@progbits,_ZN7rocprim17ROCPRIM_400000_NS6detail17trampoline_kernelINS0_14default_configENS1_22reduce_config_selectorIN6thrust23THRUST_200600_302600_NS5tupleIblNS6_9null_typeES8_S8_S8_S8_S8_S8_S8_EEEEZNS1_11reduce_implILb1ES3_NS6_12zip_iteratorINS7_INS6_11hip_rocprim26transform_input_iterator_tIbNSD_35transform_pair_of_input_iterators_tIbNS6_6detail15normal_iteratorINS6_10device_ptrIKiEEEESL_NS6_8equal_toIiEEEENSG_9not_fun_tINSD_8identityEEEEENSD_19counting_iterator_tIlEES8_S8_S8_S8_S8_S8_S8_S8_EEEEPS9_S9_NSD_9__find_if7functorIS9_EEEE10hipError_tPvRmT1_T2_T3_mT4_P12ihipStream_tbEUlT_E0_NS1_11comp_targetILNS1_3genE4ELNS1_11target_archE910ELNS1_3gpuE8ELNS1_3repE0EEENS1_30default_config_static_selectorELNS0_4arch9wavefront6targetE1EEEvS14_,comdat
.Lfunc_end122:
	.size	_ZN7rocprim17ROCPRIM_400000_NS6detail17trampoline_kernelINS0_14default_configENS1_22reduce_config_selectorIN6thrust23THRUST_200600_302600_NS5tupleIblNS6_9null_typeES8_S8_S8_S8_S8_S8_S8_EEEEZNS1_11reduce_implILb1ES3_NS6_12zip_iteratorINS7_INS6_11hip_rocprim26transform_input_iterator_tIbNSD_35transform_pair_of_input_iterators_tIbNS6_6detail15normal_iteratorINS6_10device_ptrIKiEEEESL_NS6_8equal_toIiEEEENSG_9not_fun_tINSD_8identityEEEEENSD_19counting_iterator_tIlEES8_S8_S8_S8_S8_S8_S8_S8_EEEEPS9_S9_NSD_9__find_if7functorIS9_EEEE10hipError_tPvRmT1_T2_T3_mT4_P12ihipStream_tbEUlT_E0_NS1_11comp_targetILNS1_3genE4ELNS1_11target_archE910ELNS1_3gpuE8ELNS1_3repE0EEENS1_30default_config_static_selectorELNS0_4arch9wavefront6targetE1EEEvS14_, .Lfunc_end122-_ZN7rocprim17ROCPRIM_400000_NS6detail17trampoline_kernelINS0_14default_configENS1_22reduce_config_selectorIN6thrust23THRUST_200600_302600_NS5tupleIblNS6_9null_typeES8_S8_S8_S8_S8_S8_S8_EEEEZNS1_11reduce_implILb1ES3_NS6_12zip_iteratorINS7_INS6_11hip_rocprim26transform_input_iterator_tIbNSD_35transform_pair_of_input_iterators_tIbNS6_6detail15normal_iteratorINS6_10device_ptrIKiEEEESL_NS6_8equal_toIiEEEENSG_9not_fun_tINSD_8identityEEEEENSD_19counting_iterator_tIlEES8_S8_S8_S8_S8_S8_S8_S8_EEEEPS9_S9_NSD_9__find_if7functorIS9_EEEE10hipError_tPvRmT1_T2_T3_mT4_P12ihipStream_tbEUlT_E0_NS1_11comp_targetILNS1_3genE4ELNS1_11target_archE910ELNS1_3gpuE8ELNS1_3repE0EEENS1_30default_config_static_selectorELNS0_4arch9wavefront6targetE1EEEvS14_
                                        ; -- End function
	.section	.AMDGPU.csdata,"",@progbits
; Kernel info:
; codeLenInByte = 0
; NumSgprs: 6
; NumVgprs: 0
; NumAgprs: 0
; TotalNumVgprs: 0
; ScratchSize: 0
; MemoryBound: 0
; FloatMode: 240
; IeeeMode: 1
; LDSByteSize: 0 bytes/workgroup (compile time only)
; SGPRBlocks: 0
; VGPRBlocks: 0
; NumSGPRsForWavesPerEU: 6
; NumVGPRsForWavesPerEU: 1
; AccumOffset: 4
; Occupancy: 8
; WaveLimiterHint : 0
; COMPUTE_PGM_RSRC2:SCRATCH_EN: 0
; COMPUTE_PGM_RSRC2:USER_SGPR: 2
; COMPUTE_PGM_RSRC2:TRAP_HANDLER: 0
; COMPUTE_PGM_RSRC2:TGID_X_EN: 1
; COMPUTE_PGM_RSRC2:TGID_Y_EN: 0
; COMPUTE_PGM_RSRC2:TGID_Z_EN: 0
; COMPUTE_PGM_RSRC2:TIDIG_COMP_CNT: 0
; COMPUTE_PGM_RSRC3_GFX90A:ACCUM_OFFSET: 0
; COMPUTE_PGM_RSRC3_GFX90A:TG_SPLIT: 0
	.section	.text._ZN7rocprim17ROCPRIM_400000_NS6detail17trampoline_kernelINS0_14default_configENS1_22reduce_config_selectorIN6thrust23THRUST_200600_302600_NS5tupleIblNS6_9null_typeES8_S8_S8_S8_S8_S8_S8_EEEEZNS1_11reduce_implILb1ES3_NS6_12zip_iteratorINS7_INS6_11hip_rocprim26transform_input_iterator_tIbNSD_35transform_pair_of_input_iterators_tIbNS6_6detail15normal_iteratorINS6_10device_ptrIKiEEEESL_NS6_8equal_toIiEEEENSG_9not_fun_tINSD_8identityEEEEENSD_19counting_iterator_tIlEES8_S8_S8_S8_S8_S8_S8_S8_EEEEPS9_S9_NSD_9__find_if7functorIS9_EEEE10hipError_tPvRmT1_T2_T3_mT4_P12ihipStream_tbEUlT_E0_NS1_11comp_targetILNS1_3genE3ELNS1_11target_archE908ELNS1_3gpuE7ELNS1_3repE0EEENS1_30default_config_static_selectorELNS0_4arch9wavefront6targetE1EEEvS14_,"axG",@progbits,_ZN7rocprim17ROCPRIM_400000_NS6detail17trampoline_kernelINS0_14default_configENS1_22reduce_config_selectorIN6thrust23THRUST_200600_302600_NS5tupleIblNS6_9null_typeES8_S8_S8_S8_S8_S8_S8_EEEEZNS1_11reduce_implILb1ES3_NS6_12zip_iteratorINS7_INS6_11hip_rocprim26transform_input_iterator_tIbNSD_35transform_pair_of_input_iterators_tIbNS6_6detail15normal_iteratorINS6_10device_ptrIKiEEEESL_NS6_8equal_toIiEEEENSG_9not_fun_tINSD_8identityEEEEENSD_19counting_iterator_tIlEES8_S8_S8_S8_S8_S8_S8_S8_EEEEPS9_S9_NSD_9__find_if7functorIS9_EEEE10hipError_tPvRmT1_T2_T3_mT4_P12ihipStream_tbEUlT_E0_NS1_11comp_targetILNS1_3genE3ELNS1_11target_archE908ELNS1_3gpuE7ELNS1_3repE0EEENS1_30default_config_static_selectorELNS0_4arch9wavefront6targetE1EEEvS14_,comdat
	.protected	_ZN7rocprim17ROCPRIM_400000_NS6detail17trampoline_kernelINS0_14default_configENS1_22reduce_config_selectorIN6thrust23THRUST_200600_302600_NS5tupleIblNS6_9null_typeES8_S8_S8_S8_S8_S8_S8_EEEEZNS1_11reduce_implILb1ES3_NS6_12zip_iteratorINS7_INS6_11hip_rocprim26transform_input_iterator_tIbNSD_35transform_pair_of_input_iterators_tIbNS6_6detail15normal_iteratorINS6_10device_ptrIKiEEEESL_NS6_8equal_toIiEEEENSG_9not_fun_tINSD_8identityEEEEENSD_19counting_iterator_tIlEES8_S8_S8_S8_S8_S8_S8_S8_EEEEPS9_S9_NSD_9__find_if7functorIS9_EEEE10hipError_tPvRmT1_T2_T3_mT4_P12ihipStream_tbEUlT_E0_NS1_11comp_targetILNS1_3genE3ELNS1_11target_archE908ELNS1_3gpuE7ELNS1_3repE0EEENS1_30default_config_static_selectorELNS0_4arch9wavefront6targetE1EEEvS14_ ; -- Begin function _ZN7rocprim17ROCPRIM_400000_NS6detail17trampoline_kernelINS0_14default_configENS1_22reduce_config_selectorIN6thrust23THRUST_200600_302600_NS5tupleIblNS6_9null_typeES8_S8_S8_S8_S8_S8_S8_EEEEZNS1_11reduce_implILb1ES3_NS6_12zip_iteratorINS7_INS6_11hip_rocprim26transform_input_iterator_tIbNSD_35transform_pair_of_input_iterators_tIbNS6_6detail15normal_iteratorINS6_10device_ptrIKiEEEESL_NS6_8equal_toIiEEEENSG_9not_fun_tINSD_8identityEEEEENSD_19counting_iterator_tIlEES8_S8_S8_S8_S8_S8_S8_S8_EEEEPS9_S9_NSD_9__find_if7functorIS9_EEEE10hipError_tPvRmT1_T2_T3_mT4_P12ihipStream_tbEUlT_E0_NS1_11comp_targetILNS1_3genE3ELNS1_11target_archE908ELNS1_3gpuE7ELNS1_3repE0EEENS1_30default_config_static_selectorELNS0_4arch9wavefront6targetE1EEEvS14_
	.globl	_ZN7rocprim17ROCPRIM_400000_NS6detail17trampoline_kernelINS0_14default_configENS1_22reduce_config_selectorIN6thrust23THRUST_200600_302600_NS5tupleIblNS6_9null_typeES8_S8_S8_S8_S8_S8_S8_EEEEZNS1_11reduce_implILb1ES3_NS6_12zip_iteratorINS7_INS6_11hip_rocprim26transform_input_iterator_tIbNSD_35transform_pair_of_input_iterators_tIbNS6_6detail15normal_iteratorINS6_10device_ptrIKiEEEESL_NS6_8equal_toIiEEEENSG_9not_fun_tINSD_8identityEEEEENSD_19counting_iterator_tIlEES8_S8_S8_S8_S8_S8_S8_S8_EEEEPS9_S9_NSD_9__find_if7functorIS9_EEEE10hipError_tPvRmT1_T2_T3_mT4_P12ihipStream_tbEUlT_E0_NS1_11comp_targetILNS1_3genE3ELNS1_11target_archE908ELNS1_3gpuE7ELNS1_3repE0EEENS1_30default_config_static_selectorELNS0_4arch9wavefront6targetE1EEEvS14_
	.p2align	8
	.type	_ZN7rocprim17ROCPRIM_400000_NS6detail17trampoline_kernelINS0_14default_configENS1_22reduce_config_selectorIN6thrust23THRUST_200600_302600_NS5tupleIblNS6_9null_typeES8_S8_S8_S8_S8_S8_S8_EEEEZNS1_11reduce_implILb1ES3_NS6_12zip_iteratorINS7_INS6_11hip_rocprim26transform_input_iterator_tIbNSD_35transform_pair_of_input_iterators_tIbNS6_6detail15normal_iteratorINS6_10device_ptrIKiEEEESL_NS6_8equal_toIiEEEENSG_9not_fun_tINSD_8identityEEEEENSD_19counting_iterator_tIlEES8_S8_S8_S8_S8_S8_S8_S8_EEEEPS9_S9_NSD_9__find_if7functorIS9_EEEE10hipError_tPvRmT1_T2_T3_mT4_P12ihipStream_tbEUlT_E0_NS1_11comp_targetILNS1_3genE3ELNS1_11target_archE908ELNS1_3gpuE7ELNS1_3repE0EEENS1_30default_config_static_selectorELNS0_4arch9wavefront6targetE1EEEvS14_,@function
_ZN7rocprim17ROCPRIM_400000_NS6detail17trampoline_kernelINS0_14default_configENS1_22reduce_config_selectorIN6thrust23THRUST_200600_302600_NS5tupleIblNS6_9null_typeES8_S8_S8_S8_S8_S8_S8_EEEEZNS1_11reduce_implILb1ES3_NS6_12zip_iteratorINS7_INS6_11hip_rocprim26transform_input_iterator_tIbNSD_35transform_pair_of_input_iterators_tIbNS6_6detail15normal_iteratorINS6_10device_ptrIKiEEEESL_NS6_8equal_toIiEEEENSG_9not_fun_tINSD_8identityEEEEENSD_19counting_iterator_tIlEES8_S8_S8_S8_S8_S8_S8_S8_EEEEPS9_S9_NSD_9__find_if7functorIS9_EEEE10hipError_tPvRmT1_T2_T3_mT4_P12ihipStream_tbEUlT_E0_NS1_11comp_targetILNS1_3genE3ELNS1_11target_archE908ELNS1_3gpuE7ELNS1_3repE0EEENS1_30default_config_static_selectorELNS0_4arch9wavefront6targetE1EEEvS14_: ; @_ZN7rocprim17ROCPRIM_400000_NS6detail17trampoline_kernelINS0_14default_configENS1_22reduce_config_selectorIN6thrust23THRUST_200600_302600_NS5tupleIblNS6_9null_typeES8_S8_S8_S8_S8_S8_S8_EEEEZNS1_11reduce_implILb1ES3_NS6_12zip_iteratorINS7_INS6_11hip_rocprim26transform_input_iterator_tIbNSD_35transform_pair_of_input_iterators_tIbNS6_6detail15normal_iteratorINS6_10device_ptrIKiEEEESL_NS6_8equal_toIiEEEENSG_9not_fun_tINSD_8identityEEEEENSD_19counting_iterator_tIlEES8_S8_S8_S8_S8_S8_S8_S8_EEEEPS9_S9_NSD_9__find_if7functorIS9_EEEE10hipError_tPvRmT1_T2_T3_mT4_P12ihipStream_tbEUlT_E0_NS1_11comp_targetILNS1_3genE3ELNS1_11target_archE908ELNS1_3gpuE7ELNS1_3repE0EEENS1_30default_config_static_selectorELNS0_4arch9wavefront6targetE1EEEvS14_
; %bb.0:
	.section	.rodata,"a",@progbits
	.p2align	6, 0x0
	.amdhsa_kernel _ZN7rocprim17ROCPRIM_400000_NS6detail17trampoline_kernelINS0_14default_configENS1_22reduce_config_selectorIN6thrust23THRUST_200600_302600_NS5tupleIblNS6_9null_typeES8_S8_S8_S8_S8_S8_S8_EEEEZNS1_11reduce_implILb1ES3_NS6_12zip_iteratorINS7_INS6_11hip_rocprim26transform_input_iterator_tIbNSD_35transform_pair_of_input_iterators_tIbNS6_6detail15normal_iteratorINS6_10device_ptrIKiEEEESL_NS6_8equal_toIiEEEENSG_9not_fun_tINSD_8identityEEEEENSD_19counting_iterator_tIlEES8_S8_S8_S8_S8_S8_S8_S8_EEEEPS9_S9_NSD_9__find_if7functorIS9_EEEE10hipError_tPvRmT1_T2_T3_mT4_P12ihipStream_tbEUlT_E0_NS1_11comp_targetILNS1_3genE3ELNS1_11target_archE908ELNS1_3gpuE7ELNS1_3repE0EEENS1_30default_config_static_selectorELNS0_4arch9wavefront6targetE1EEEvS14_
		.amdhsa_group_segment_fixed_size 0
		.amdhsa_private_segment_fixed_size 0
		.amdhsa_kernarg_size 104
		.amdhsa_user_sgpr_count 2
		.amdhsa_user_sgpr_dispatch_ptr 0
		.amdhsa_user_sgpr_queue_ptr 0
		.amdhsa_user_sgpr_kernarg_segment_ptr 1
		.amdhsa_user_sgpr_dispatch_id 0
		.amdhsa_user_sgpr_kernarg_preload_length 0
		.amdhsa_user_sgpr_kernarg_preload_offset 0
		.amdhsa_user_sgpr_private_segment_size 0
		.amdhsa_uses_dynamic_stack 0
		.amdhsa_enable_private_segment 0
		.amdhsa_system_sgpr_workgroup_id_x 1
		.amdhsa_system_sgpr_workgroup_id_y 0
		.amdhsa_system_sgpr_workgroup_id_z 0
		.amdhsa_system_sgpr_workgroup_info 0
		.amdhsa_system_vgpr_workitem_id 0
		.amdhsa_next_free_vgpr 1
		.amdhsa_next_free_sgpr 0
		.amdhsa_accum_offset 4
		.amdhsa_reserve_vcc 0
		.amdhsa_float_round_mode_32 0
		.amdhsa_float_round_mode_16_64 0
		.amdhsa_float_denorm_mode_32 3
		.amdhsa_float_denorm_mode_16_64 3
		.amdhsa_dx10_clamp 1
		.amdhsa_ieee_mode 1
		.amdhsa_fp16_overflow 0
		.amdhsa_tg_split 0
		.amdhsa_exception_fp_ieee_invalid_op 0
		.amdhsa_exception_fp_denorm_src 0
		.amdhsa_exception_fp_ieee_div_zero 0
		.amdhsa_exception_fp_ieee_overflow 0
		.amdhsa_exception_fp_ieee_underflow 0
		.amdhsa_exception_fp_ieee_inexact 0
		.amdhsa_exception_int_div_zero 0
	.end_amdhsa_kernel
	.section	.text._ZN7rocprim17ROCPRIM_400000_NS6detail17trampoline_kernelINS0_14default_configENS1_22reduce_config_selectorIN6thrust23THRUST_200600_302600_NS5tupleIblNS6_9null_typeES8_S8_S8_S8_S8_S8_S8_EEEEZNS1_11reduce_implILb1ES3_NS6_12zip_iteratorINS7_INS6_11hip_rocprim26transform_input_iterator_tIbNSD_35transform_pair_of_input_iterators_tIbNS6_6detail15normal_iteratorINS6_10device_ptrIKiEEEESL_NS6_8equal_toIiEEEENSG_9not_fun_tINSD_8identityEEEEENSD_19counting_iterator_tIlEES8_S8_S8_S8_S8_S8_S8_S8_EEEEPS9_S9_NSD_9__find_if7functorIS9_EEEE10hipError_tPvRmT1_T2_T3_mT4_P12ihipStream_tbEUlT_E0_NS1_11comp_targetILNS1_3genE3ELNS1_11target_archE908ELNS1_3gpuE7ELNS1_3repE0EEENS1_30default_config_static_selectorELNS0_4arch9wavefront6targetE1EEEvS14_,"axG",@progbits,_ZN7rocprim17ROCPRIM_400000_NS6detail17trampoline_kernelINS0_14default_configENS1_22reduce_config_selectorIN6thrust23THRUST_200600_302600_NS5tupleIblNS6_9null_typeES8_S8_S8_S8_S8_S8_S8_EEEEZNS1_11reduce_implILb1ES3_NS6_12zip_iteratorINS7_INS6_11hip_rocprim26transform_input_iterator_tIbNSD_35transform_pair_of_input_iterators_tIbNS6_6detail15normal_iteratorINS6_10device_ptrIKiEEEESL_NS6_8equal_toIiEEEENSG_9not_fun_tINSD_8identityEEEEENSD_19counting_iterator_tIlEES8_S8_S8_S8_S8_S8_S8_S8_EEEEPS9_S9_NSD_9__find_if7functorIS9_EEEE10hipError_tPvRmT1_T2_T3_mT4_P12ihipStream_tbEUlT_E0_NS1_11comp_targetILNS1_3genE3ELNS1_11target_archE908ELNS1_3gpuE7ELNS1_3repE0EEENS1_30default_config_static_selectorELNS0_4arch9wavefront6targetE1EEEvS14_,comdat
.Lfunc_end123:
	.size	_ZN7rocprim17ROCPRIM_400000_NS6detail17trampoline_kernelINS0_14default_configENS1_22reduce_config_selectorIN6thrust23THRUST_200600_302600_NS5tupleIblNS6_9null_typeES8_S8_S8_S8_S8_S8_S8_EEEEZNS1_11reduce_implILb1ES3_NS6_12zip_iteratorINS7_INS6_11hip_rocprim26transform_input_iterator_tIbNSD_35transform_pair_of_input_iterators_tIbNS6_6detail15normal_iteratorINS6_10device_ptrIKiEEEESL_NS6_8equal_toIiEEEENSG_9not_fun_tINSD_8identityEEEEENSD_19counting_iterator_tIlEES8_S8_S8_S8_S8_S8_S8_S8_EEEEPS9_S9_NSD_9__find_if7functorIS9_EEEE10hipError_tPvRmT1_T2_T3_mT4_P12ihipStream_tbEUlT_E0_NS1_11comp_targetILNS1_3genE3ELNS1_11target_archE908ELNS1_3gpuE7ELNS1_3repE0EEENS1_30default_config_static_selectorELNS0_4arch9wavefront6targetE1EEEvS14_, .Lfunc_end123-_ZN7rocprim17ROCPRIM_400000_NS6detail17trampoline_kernelINS0_14default_configENS1_22reduce_config_selectorIN6thrust23THRUST_200600_302600_NS5tupleIblNS6_9null_typeES8_S8_S8_S8_S8_S8_S8_EEEEZNS1_11reduce_implILb1ES3_NS6_12zip_iteratorINS7_INS6_11hip_rocprim26transform_input_iterator_tIbNSD_35transform_pair_of_input_iterators_tIbNS6_6detail15normal_iteratorINS6_10device_ptrIKiEEEESL_NS6_8equal_toIiEEEENSG_9not_fun_tINSD_8identityEEEEENSD_19counting_iterator_tIlEES8_S8_S8_S8_S8_S8_S8_S8_EEEEPS9_S9_NSD_9__find_if7functorIS9_EEEE10hipError_tPvRmT1_T2_T3_mT4_P12ihipStream_tbEUlT_E0_NS1_11comp_targetILNS1_3genE3ELNS1_11target_archE908ELNS1_3gpuE7ELNS1_3repE0EEENS1_30default_config_static_selectorELNS0_4arch9wavefront6targetE1EEEvS14_
                                        ; -- End function
	.section	.AMDGPU.csdata,"",@progbits
; Kernel info:
; codeLenInByte = 0
; NumSgprs: 6
; NumVgprs: 0
; NumAgprs: 0
; TotalNumVgprs: 0
; ScratchSize: 0
; MemoryBound: 0
; FloatMode: 240
; IeeeMode: 1
; LDSByteSize: 0 bytes/workgroup (compile time only)
; SGPRBlocks: 0
; VGPRBlocks: 0
; NumSGPRsForWavesPerEU: 6
; NumVGPRsForWavesPerEU: 1
; AccumOffset: 4
; Occupancy: 8
; WaveLimiterHint : 0
; COMPUTE_PGM_RSRC2:SCRATCH_EN: 0
; COMPUTE_PGM_RSRC2:USER_SGPR: 2
; COMPUTE_PGM_RSRC2:TRAP_HANDLER: 0
; COMPUTE_PGM_RSRC2:TGID_X_EN: 1
; COMPUTE_PGM_RSRC2:TGID_Y_EN: 0
; COMPUTE_PGM_RSRC2:TGID_Z_EN: 0
; COMPUTE_PGM_RSRC2:TIDIG_COMP_CNT: 0
; COMPUTE_PGM_RSRC3_GFX90A:ACCUM_OFFSET: 0
; COMPUTE_PGM_RSRC3_GFX90A:TG_SPLIT: 0
	.section	.text._ZN7rocprim17ROCPRIM_400000_NS6detail17trampoline_kernelINS0_14default_configENS1_22reduce_config_selectorIN6thrust23THRUST_200600_302600_NS5tupleIblNS6_9null_typeES8_S8_S8_S8_S8_S8_S8_EEEEZNS1_11reduce_implILb1ES3_NS6_12zip_iteratorINS7_INS6_11hip_rocprim26transform_input_iterator_tIbNSD_35transform_pair_of_input_iterators_tIbNS6_6detail15normal_iteratorINS6_10device_ptrIKiEEEESL_NS6_8equal_toIiEEEENSG_9not_fun_tINSD_8identityEEEEENSD_19counting_iterator_tIlEES8_S8_S8_S8_S8_S8_S8_S8_EEEEPS9_S9_NSD_9__find_if7functorIS9_EEEE10hipError_tPvRmT1_T2_T3_mT4_P12ihipStream_tbEUlT_E0_NS1_11comp_targetILNS1_3genE2ELNS1_11target_archE906ELNS1_3gpuE6ELNS1_3repE0EEENS1_30default_config_static_selectorELNS0_4arch9wavefront6targetE1EEEvS14_,"axG",@progbits,_ZN7rocprim17ROCPRIM_400000_NS6detail17trampoline_kernelINS0_14default_configENS1_22reduce_config_selectorIN6thrust23THRUST_200600_302600_NS5tupleIblNS6_9null_typeES8_S8_S8_S8_S8_S8_S8_EEEEZNS1_11reduce_implILb1ES3_NS6_12zip_iteratorINS7_INS6_11hip_rocprim26transform_input_iterator_tIbNSD_35transform_pair_of_input_iterators_tIbNS6_6detail15normal_iteratorINS6_10device_ptrIKiEEEESL_NS6_8equal_toIiEEEENSG_9not_fun_tINSD_8identityEEEEENSD_19counting_iterator_tIlEES8_S8_S8_S8_S8_S8_S8_S8_EEEEPS9_S9_NSD_9__find_if7functorIS9_EEEE10hipError_tPvRmT1_T2_T3_mT4_P12ihipStream_tbEUlT_E0_NS1_11comp_targetILNS1_3genE2ELNS1_11target_archE906ELNS1_3gpuE6ELNS1_3repE0EEENS1_30default_config_static_selectorELNS0_4arch9wavefront6targetE1EEEvS14_,comdat
	.protected	_ZN7rocprim17ROCPRIM_400000_NS6detail17trampoline_kernelINS0_14default_configENS1_22reduce_config_selectorIN6thrust23THRUST_200600_302600_NS5tupleIblNS6_9null_typeES8_S8_S8_S8_S8_S8_S8_EEEEZNS1_11reduce_implILb1ES3_NS6_12zip_iteratorINS7_INS6_11hip_rocprim26transform_input_iterator_tIbNSD_35transform_pair_of_input_iterators_tIbNS6_6detail15normal_iteratorINS6_10device_ptrIKiEEEESL_NS6_8equal_toIiEEEENSG_9not_fun_tINSD_8identityEEEEENSD_19counting_iterator_tIlEES8_S8_S8_S8_S8_S8_S8_S8_EEEEPS9_S9_NSD_9__find_if7functorIS9_EEEE10hipError_tPvRmT1_T2_T3_mT4_P12ihipStream_tbEUlT_E0_NS1_11comp_targetILNS1_3genE2ELNS1_11target_archE906ELNS1_3gpuE6ELNS1_3repE0EEENS1_30default_config_static_selectorELNS0_4arch9wavefront6targetE1EEEvS14_ ; -- Begin function _ZN7rocprim17ROCPRIM_400000_NS6detail17trampoline_kernelINS0_14default_configENS1_22reduce_config_selectorIN6thrust23THRUST_200600_302600_NS5tupleIblNS6_9null_typeES8_S8_S8_S8_S8_S8_S8_EEEEZNS1_11reduce_implILb1ES3_NS6_12zip_iteratorINS7_INS6_11hip_rocprim26transform_input_iterator_tIbNSD_35transform_pair_of_input_iterators_tIbNS6_6detail15normal_iteratorINS6_10device_ptrIKiEEEESL_NS6_8equal_toIiEEEENSG_9not_fun_tINSD_8identityEEEEENSD_19counting_iterator_tIlEES8_S8_S8_S8_S8_S8_S8_S8_EEEEPS9_S9_NSD_9__find_if7functorIS9_EEEE10hipError_tPvRmT1_T2_T3_mT4_P12ihipStream_tbEUlT_E0_NS1_11comp_targetILNS1_3genE2ELNS1_11target_archE906ELNS1_3gpuE6ELNS1_3repE0EEENS1_30default_config_static_selectorELNS0_4arch9wavefront6targetE1EEEvS14_
	.globl	_ZN7rocprim17ROCPRIM_400000_NS6detail17trampoline_kernelINS0_14default_configENS1_22reduce_config_selectorIN6thrust23THRUST_200600_302600_NS5tupleIblNS6_9null_typeES8_S8_S8_S8_S8_S8_S8_EEEEZNS1_11reduce_implILb1ES3_NS6_12zip_iteratorINS7_INS6_11hip_rocprim26transform_input_iterator_tIbNSD_35transform_pair_of_input_iterators_tIbNS6_6detail15normal_iteratorINS6_10device_ptrIKiEEEESL_NS6_8equal_toIiEEEENSG_9not_fun_tINSD_8identityEEEEENSD_19counting_iterator_tIlEES8_S8_S8_S8_S8_S8_S8_S8_EEEEPS9_S9_NSD_9__find_if7functorIS9_EEEE10hipError_tPvRmT1_T2_T3_mT4_P12ihipStream_tbEUlT_E0_NS1_11comp_targetILNS1_3genE2ELNS1_11target_archE906ELNS1_3gpuE6ELNS1_3repE0EEENS1_30default_config_static_selectorELNS0_4arch9wavefront6targetE1EEEvS14_
	.p2align	8
	.type	_ZN7rocprim17ROCPRIM_400000_NS6detail17trampoline_kernelINS0_14default_configENS1_22reduce_config_selectorIN6thrust23THRUST_200600_302600_NS5tupleIblNS6_9null_typeES8_S8_S8_S8_S8_S8_S8_EEEEZNS1_11reduce_implILb1ES3_NS6_12zip_iteratorINS7_INS6_11hip_rocprim26transform_input_iterator_tIbNSD_35transform_pair_of_input_iterators_tIbNS6_6detail15normal_iteratorINS6_10device_ptrIKiEEEESL_NS6_8equal_toIiEEEENSG_9not_fun_tINSD_8identityEEEEENSD_19counting_iterator_tIlEES8_S8_S8_S8_S8_S8_S8_S8_EEEEPS9_S9_NSD_9__find_if7functorIS9_EEEE10hipError_tPvRmT1_T2_T3_mT4_P12ihipStream_tbEUlT_E0_NS1_11comp_targetILNS1_3genE2ELNS1_11target_archE906ELNS1_3gpuE6ELNS1_3repE0EEENS1_30default_config_static_selectorELNS0_4arch9wavefront6targetE1EEEvS14_,@function
_ZN7rocprim17ROCPRIM_400000_NS6detail17trampoline_kernelINS0_14default_configENS1_22reduce_config_selectorIN6thrust23THRUST_200600_302600_NS5tupleIblNS6_9null_typeES8_S8_S8_S8_S8_S8_S8_EEEEZNS1_11reduce_implILb1ES3_NS6_12zip_iteratorINS7_INS6_11hip_rocprim26transform_input_iterator_tIbNSD_35transform_pair_of_input_iterators_tIbNS6_6detail15normal_iteratorINS6_10device_ptrIKiEEEESL_NS6_8equal_toIiEEEENSG_9not_fun_tINSD_8identityEEEEENSD_19counting_iterator_tIlEES8_S8_S8_S8_S8_S8_S8_S8_EEEEPS9_S9_NSD_9__find_if7functorIS9_EEEE10hipError_tPvRmT1_T2_T3_mT4_P12ihipStream_tbEUlT_E0_NS1_11comp_targetILNS1_3genE2ELNS1_11target_archE906ELNS1_3gpuE6ELNS1_3repE0EEENS1_30default_config_static_selectorELNS0_4arch9wavefront6targetE1EEEvS14_: ; @_ZN7rocprim17ROCPRIM_400000_NS6detail17trampoline_kernelINS0_14default_configENS1_22reduce_config_selectorIN6thrust23THRUST_200600_302600_NS5tupleIblNS6_9null_typeES8_S8_S8_S8_S8_S8_S8_EEEEZNS1_11reduce_implILb1ES3_NS6_12zip_iteratorINS7_INS6_11hip_rocprim26transform_input_iterator_tIbNSD_35transform_pair_of_input_iterators_tIbNS6_6detail15normal_iteratorINS6_10device_ptrIKiEEEESL_NS6_8equal_toIiEEEENSG_9not_fun_tINSD_8identityEEEEENSD_19counting_iterator_tIlEES8_S8_S8_S8_S8_S8_S8_S8_EEEEPS9_S9_NSD_9__find_if7functorIS9_EEEE10hipError_tPvRmT1_T2_T3_mT4_P12ihipStream_tbEUlT_E0_NS1_11comp_targetILNS1_3genE2ELNS1_11target_archE906ELNS1_3gpuE6ELNS1_3repE0EEENS1_30default_config_static_selectorELNS0_4arch9wavefront6targetE1EEEvS14_
; %bb.0:
	.section	.rodata,"a",@progbits
	.p2align	6, 0x0
	.amdhsa_kernel _ZN7rocprim17ROCPRIM_400000_NS6detail17trampoline_kernelINS0_14default_configENS1_22reduce_config_selectorIN6thrust23THRUST_200600_302600_NS5tupleIblNS6_9null_typeES8_S8_S8_S8_S8_S8_S8_EEEEZNS1_11reduce_implILb1ES3_NS6_12zip_iteratorINS7_INS6_11hip_rocprim26transform_input_iterator_tIbNSD_35transform_pair_of_input_iterators_tIbNS6_6detail15normal_iteratorINS6_10device_ptrIKiEEEESL_NS6_8equal_toIiEEEENSG_9not_fun_tINSD_8identityEEEEENSD_19counting_iterator_tIlEES8_S8_S8_S8_S8_S8_S8_S8_EEEEPS9_S9_NSD_9__find_if7functorIS9_EEEE10hipError_tPvRmT1_T2_T3_mT4_P12ihipStream_tbEUlT_E0_NS1_11comp_targetILNS1_3genE2ELNS1_11target_archE906ELNS1_3gpuE6ELNS1_3repE0EEENS1_30default_config_static_selectorELNS0_4arch9wavefront6targetE1EEEvS14_
		.amdhsa_group_segment_fixed_size 0
		.amdhsa_private_segment_fixed_size 0
		.amdhsa_kernarg_size 104
		.amdhsa_user_sgpr_count 2
		.amdhsa_user_sgpr_dispatch_ptr 0
		.amdhsa_user_sgpr_queue_ptr 0
		.amdhsa_user_sgpr_kernarg_segment_ptr 1
		.amdhsa_user_sgpr_dispatch_id 0
		.amdhsa_user_sgpr_kernarg_preload_length 0
		.amdhsa_user_sgpr_kernarg_preload_offset 0
		.amdhsa_user_sgpr_private_segment_size 0
		.amdhsa_uses_dynamic_stack 0
		.amdhsa_enable_private_segment 0
		.amdhsa_system_sgpr_workgroup_id_x 1
		.amdhsa_system_sgpr_workgroup_id_y 0
		.amdhsa_system_sgpr_workgroup_id_z 0
		.amdhsa_system_sgpr_workgroup_info 0
		.amdhsa_system_vgpr_workitem_id 0
		.amdhsa_next_free_vgpr 1
		.amdhsa_next_free_sgpr 0
		.amdhsa_accum_offset 4
		.amdhsa_reserve_vcc 0
		.amdhsa_float_round_mode_32 0
		.amdhsa_float_round_mode_16_64 0
		.amdhsa_float_denorm_mode_32 3
		.amdhsa_float_denorm_mode_16_64 3
		.amdhsa_dx10_clamp 1
		.amdhsa_ieee_mode 1
		.amdhsa_fp16_overflow 0
		.amdhsa_tg_split 0
		.amdhsa_exception_fp_ieee_invalid_op 0
		.amdhsa_exception_fp_denorm_src 0
		.amdhsa_exception_fp_ieee_div_zero 0
		.amdhsa_exception_fp_ieee_overflow 0
		.amdhsa_exception_fp_ieee_underflow 0
		.amdhsa_exception_fp_ieee_inexact 0
		.amdhsa_exception_int_div_zero 0
	.end_amdhsa_kernel
	.section	.text._ZN7rocprim17ROCPRIM_400000_NS6detail17trampoline_kernelINS0_14default_configENS1_22reduce_config_selectorIN6thrust23THRUST_200600_302600_NS5tupleIblNS6_9null_typeES8_S8_S8_S8_S8_S8_S8_EEEEZNS1_11reduce_implILb1ES3_NS6_12zip_iteratorINS7_INS6_11hip_rocprim26transform_input_iterator_tIbNSD_35transform_pair_of_input_iterators_tIbNS6_6detail15normal_iteratorINS6_10device_ptrIKiEEEESL_NS6_8equal_toIiEEEENSG_9not_fun_tINSD_8identityEEEEENSD_19counting_iterator_tIlEES8_S8_S8_S8_S8_S8_S8_S8_EEEEPS9_S9_NSD_9__find_if7functorIS9_EEEE10hipError_tPvRmT1_T2_T3_mT4_P12ihipStream_tbEUlT_E0_NS1_11comp_targetILNS1_3genE2ELNS1_11target_archE906ELNS1_3gpuE6ELNS1_3repE0EEENS1_30default_config_static_selectorELNS0_4arch9wavefront6targetE1EEEvS14_,"axG",@progbits,_ZN7rocprim17ROCPRIM_400000_NS6detail17trampoline_kernelINS0_14default_configENS1_22reduce_config_selectorIN6thrust23THRUST_200600_302600_NS5tupleIblNS6_9null_typeES8_S8_S8_S8_S8_S8_S8_EEEEZNS1_11reduce_implILb1ES3_NS6_12zip_iteratorINS7_INS6_11hip_rocprim26transform_input_iterator_tIbNSD_35transform_pair_of_input_iterators_tIbNS6_6detail15normal_iteratorINS6_10device_ptrIKiEEEESL_NS6_8equal_toIiEEEENSG_9not_fun_tINSD_8identityEEEEENSD_19counting_iterator_tIlEES8_S8_S8_S8_S8_S8_S8_S8_EEEEPS9_S9_NSD_9__find_if7functorIS9_EEEE10hipError_tPvRmT1_T2_T3_mT4_P12ihipStream_tbEUlT_E0_NS1_11comp_targetILNS1_3genE2ELNS1_11target_archE906ELNS1_3gpuE6ELNS1_3repE0EEENS1_30default_config_static_selectorELNS0_4arch9wavefront6targetE1EEEvS14_,comdat
.Lfunc_end124:
	.size	_ZN7rocprim17ROCPRIM_400000_NS6detail17trampoline_kernelINS0_14default_configENS1_22reduce_config_selectorIN6thrust23THRUST_200600_302600_NS5tupleIblNS6_9null_typeES8_S8_S8_S8_S8_S8_S8_EEEEZNS1_11reduce_implILb1ES3_NS6_12zip_iteratorINS7_INS6_11hip_rocprim26transform_input_iterator_tIbNSD_35transform_pair_of_input_iterators_tIbNS6_6detail15normal_iteratorINS6_10device_ptrIKiEEEESL_NS6_8equal_toIiEEEENSG_9not_fun_tINSD_8identityEEEEENSD_19counting_iterator_tIlEES8_S8_S8_S8_S8_S8_S8_S8_EEEEPS9_S9_NSD_9__find_if7functorIS9_EEEE10hipError_tPvRmT1_T2_T3_mT4_P12ihipStream_tbEUlT_E0_NS1_11comp_targetILNS1_3genE2ELNS1_11target_archE906ELNS1_3gpuE6ELNS1_3repE0EEENS1_30default_config_static_selectorELNS0_4arch9wavefront6targetE1EEEvS14_, .Lfunc_end124-_ZN7rocprim17ROCPRIM_400000_NS6detail17trampoline_kernelINS0_14default_configENS1_22reduce_config_selectorIN6thrust23THRUST_200600_302600_NS5tupleIblNS6_9null_typeES8_S8_S8_S8_S8_S8_S8_EEEEZNS1_11reduce_implILb1ES3_NS6_12zip_iteratorINS7_INS6_11hip_rocprim26transform_input_iterator_tIbNSD_35transform_pair_of_input_iterators_tIbNS6_6detail15normal_iteratorINS6_10device_ptrIKiEEEESL_NS6_8equal_toIiEEEENSG_9not_fun_tINSD_8identityEEEEENSD_19counting_iterator_tIlEES8_S8_S8_S8_S8_S8_S8_S8_EEEEPS9_S9_NSD_9__find_if7functorIS9_EEEE10hipError_tPvRmT1_T2_T3_mT4_P12ihipStream_tbEUlT_E0_NS1_11comp_targetILNS1_3genE2ELNS1_11target_archE906ELNS1_3gpuE6ELNS1_3repE0EEENS1_30default_config_static_selectorELNS0_4arch9wavefront6targetE1EEEvS14_
                                        ; -- End function
	.section	.AMDGPU.csdata,"",@progbits
; Kernel info:
; codeLenInByte = 0
; NumSgprs: 6
; NumVgprs: 0
; NumAgprs: 0
; TotalNumVgprs: 0
; ScratchSize: 0
; MemoryBound: 0
; FloatMode: 240
; IeeeMode: 1
; LDSByteSize: 0 bytes/workgroup (compile time only)
; SGPRBlocks: 0
; VGPRBlocks: 0
; NumSGPRsForWavesPerEU: 6
; NumVGPRsForWavesPerEU: 1
; AccumOffset: 4
; Occupancy: 8
; WaveLimiterHint : 0
; COMPUTE_PGM_RSRC2:SCRATCH_EN: 0
; COMPUTE_PGM_RSRC2:USER_SGPR: 2
; COMPUTE_PGM_RSRC2:TRAP_HANDLER: 0
; COMPUTE_PGM_RSRC2:TGID_X_EN: 1
; COMPUTE_PGM_RSRC2:TGID_Y_EN: 0
; COMPUTE_PGM_RSRC2:TGID_Z_EN: 0
; COMPUTE_PGM_RSRC2:TIDIG_COMP_CNT: 0
; COMPUTE_PGM_RSRC3_GFX90A:ACCUM_OFFSET: 0
; COMPUTE_PGM_RSRC3_GFX90A:TG_SPLIT: 0
	.section	.text._ZN7rocprim17ROCPRIM_400000_NS6detail17trampoline_kernelINS0_14default_configENS1_22reduce_config_selectorIN6thrust23THRUST_200600_302600_NS5tupleIblNS6_9null_typeES8_S8_S8_S8_S8_S8_S8_EEEEZNS1_11reduce_implILb1ES3_NS6_12zip_iteratorINS7_INS6_11hip_rocprim26transform_input_iterator_tIbNSD_35transform_pair_of_input_iterators_tIbNS6_6detail15normal_iteratorINS6_10device_ptrIKiEEEESL_NS6_8equal_toIiEEEENSG_9not_fun_tINSD_8identityEEEEENSD_19counting_iterator_tIlEES8_S8_S8_S8_S8_S8_S8_S8_EEEEPS9_S9_NSD_9__find_if7functorIS9_EEEE10hipError_tPvRmT1_T2_T3_mT4_P12ihipStream_tbEUlT_E0_NS1_11comp_targetILNS1_3genE10ELNS1_11target_archE1201ELNS1_3gpuE5ELNS1_3repE0EEENS1_30default_config_static_selectorELNS0_4arch9wavefront6targetE1EEEvS14_,"axG",@progbits,_ZN7rocprim17ROCPRIM_400000_NS6detail17trampoline_kernelINS0_14default_configENS1_22reduce_config_selectorIN6thrust23THRUST_200600_302600_NS5tupleIblNS6_9null_typeES8_S8_S8_S8_S8_S8_S8_EEEEZNS1_11reduce_implILb1ES3_NS6_12zip_iteratorINS7_INS6_11hip_rocprim26transform_input_iterator_tIbNSD_35transform_pair_of_input_iterators_tIbNS6_6detail15normal_iteratorINS6_10device_ptrIKiEEEESL_NS6_8equal_toIiEEEENSG_9not_fun_tINSD_8identityEEEEENSD_19counting_iterator_tIlEES8_S8_S8_S8_S8_S8_S8_S8_EEEEPS9_S9_NSD_9__find_if7functorIS9_EEEE10hipError_tPvRmT1_T2_T3_mT4_P12ihipStream_tbEUlT_E0_NS1_11comp_targetILNS1_3genE10ELNS1_11target_archE1201ELNS1_3gpuE5ELNS1_3repE0EEENS1_30default_config_static_selectorELNS0_4arch9wavefront6targetE1EEEvS14_,comdat
	.protected	_ZN7rocprim17ROCPRIM_400000_NS6detail17trampoline_kernelINS0_14default_configENS1_22reduce_config_selectorIN6thrust23THRUST_200600_302600_NS5tupleIblNS6_9null_typeES8_S8_S8_S8_S8_S8_S8_EEEEZNS1_11reduce_implILb1ES3_NS6_12zip_iteratorINS7_INS6_11hip_rocprim26transform_input_iterator_tIbNSD_35transform_pair_of_input_iterators_tIbNS6_6detail15normal_iteratorINS6_10device_ptrIKiEEEESL_NS6_8equal_toIiEEEENSG_9not_fun_tINSD_8identityEEEEENSD_19counting_iterator_tIlEES8_S8_S8_S8_S8_S8_S8_S8_EEEEPS9_S9_NSD_9__find_if7functorIS9_EEEE10hipError_tPvRmT1_T2_T3_mT4_P12ihipStream_tbEUlT_E0_NS1_11comp_targetILNS1_3genE10ELNS1_11target_archE1201ELNS1_3gpuE5ELNS1_3repE0EEENS1_30default_config_static_selectorELNS0_4arch9wavefront6targetE1EEEvS14_ ; -- Begin function _ZN7rocprim17ROCPRIM_400000_NS6detail17trampoline_kernelINS0_14default_configENS1_22reduce_config_selectorIN6thrust23THRUST_200600_302600_NS5tupleIblNS6_9null_typeES8_S8_S8_S8_S8_S8_S8_EEEEZNS1_11reduce_implILb1ES3_NS6_12zip_iteratorINS7_INS6_11hip_rocprim26transform_input_iterator_tIbNSD_35transform_pair_of_input_iterators_tIbNS6_6detail15normal_iteratorINS6_10device_ptrIKiEEEESL_NS6_8equal_toIiEEEENSG_9not_fun_tINSD_8identityEEEEENSD_19counting_iterator_tIlEES8_S8_S8_S8_S8_S8_S8_S8_EEEEPS9_S9_NSD_9__find_if7functorIS9_EEEE10hipError_tPvRmT1_T2_T3_mT4_P12ihipStream_tbEUlT_E0_NS1_11comp_targetILNS1_3genE10ELNS1_11target_archE1201ELNS1_3gpuE5ELNS1_3repE0EEENS1_30default_config_static_selectorELNS0_4arch9wavefront6targetE1EEEvS14_
	.globl	_ZN7rocprim17ROCPRIM_400000_NS6detail17trampoline_kernelINS0_14default_configENS1_22reduce_config_selectorIN6thrust23THRUST_200600_302600_NS5tupleIblNS6_9null_typeES8_S8_S8_S8_S8_S8_S8_EEEEZNS1_11reduce_implILb1ES3_NS6_12zip_iteratorINS7_INS6_11hip_rocprim26transform_input_iterator_tIbNSD_35transform_pair_of_input_iterators_tIbNS6_6detail15normal_iteratorINS6_10device_ptrIKiEEEESL_NS6_8equal_toIiEEEENSG_9not_fun_tINSD_8identityEEEEENSD_19counting_iterator_tIlEES8_S8_S8_S8_S8_S8_S8_S8_EEEEPS9_S9_NSD_9__find_if7functorIS9_EEEE10hipError_tPvRmT1_T2_T3_mT4_P12ihipStream_tbEUlT_E0_NS1_11comp_targetILNS1_3genE10ELNS1_11target_archE1201ELNS1_3gpuE5ELNS1_3repE0EEENS1_30default_config_static_selectorELNS0_4arch9wavefront6targetE1EEEvS14_
	.p2align	8
	.type	_ZN7rocprim17ROCPRIM_400000_NS6detail17trampoline_kernelINS0_14default_configENS1_22reduce_config_selectorIN6thrust23THRUST_200600_302600_NS5tupleIblNS6_9null_typeES8_S8_S8_S8_S8_S8_S8_EEEEZNS1_11reduce_implILb1ES3_NS6_12zip_iteratorINS7_INS6_11hip_rocprim26transform_input_iterator_tIbNSD_35transform_pair_of_input_iterators_tIbNS6_6detail15normal_iteratorINS6_10device_ptrIKiEEEESL_NS6_8equal_toIiEEEENSG_9not_fun_tINSD_8identityEEEEENSD_19counting_iterator_tIlEES8_S8_S8_S8_S8_S8_S8_S8_EEEEPS9_S9_NSD_9__find_if7functorIS9_EEEE10hipError_tPvRmT1_T2_T3_mT4_P12ihipStream_tbEUlT_E0_NS1_11comp_targetILNS1_3genE10ELNS1_11target_archE1201ELNS1_3gpuE5ELNS1_3repE0EEENS1_30default_config_static_selectorELNS0_4arch9wavefront6targetE1EEEvS14_,@function
_ZN7rocprim17ROCPRIM_400000_NS6detail17trampoline_kernelINS0_14default_configENS1_22reduce_config_selectorIN6thrust23THRUST_200600_302600_NS5tupleIblNS6_9null_typeES8_S8_S8_S8_S8_S8_S8_EEEEZNS1_11reduce_implILb1ES3_NS6_12zip_iteratorINS7_INS6_11hip_rocprim26transform_input_iterator_tIbNSD_35transform_pair_of_input_iterators_tIbNS6_6detail15normal_iteratorINS6_10device_ptrIKiEEEESL_NS6_8equal_toIiEEEENSG_9not_fun_tINSD_8identityEEEEENSD_19counting_iterator_tIlEES8_S8_S8_S8_S8_S8_S8_S8_EEEEPS9_S9_NSD_9__find_if7functorIS9_EEEE10hipError_tPvRmT1_T2_T3_mT4_P12ihipStream_tbEUlT_E0_NS1_11comp_targetILNS1_3genE10ELNS1_11target_archE1201ELNS1_3gpuE5ELNS1_3repE0EEENS1_30default_config_static_selectorELNS0_4arch9wavefront6targetE1EEEvS14_: ; @_ZN7rocprim17ROCPRIM_400000_NS6detail17trampoline_kernelINS0_14default_configENS1_22reduce_config_selectorIN6thrust23THRUST_200600_302600_NS5tupleIblNS6_9null_typeES8_S8_S8_S8_S8_S8_S8_EEEEZNS1_11reduce_implILb1ES3_NS6_12zip_iteratorINS7_INS6_11hip_rocprim26transform_input_iterator_tIbNSD_35transform_pair_of_input_iterators_tIbNS6_6detail15normal_iteratorINS6_10device_ptrIKiEEEESL_NS6_8equal_toIiEEEENSG_9not_fun_tINSD_8identityEEEEENSD_19counting_iterator_tIlEES8_S8_S8_S8_S8_S8_S8_S8_EEEEPS9_S9_NSD_9__find_if7functorIS9_EEEE10hipError_tPvRmT1_T2_T3_mT4_P12ihipStream_tbEUlT_E0_NS1_11comp_targetILNS1_3genE10ELNS1_11target_archE1201ELNS1_3gpuE5ELNS1_3repE0EEENS1_30default_config_static_selectorELNS0_4arch9wavefront6targetE1EEEvS14_
; %bb.0:
	.section	.rodata,"a",@progbits
	.p2align	6, 0x0
	.amdhsa_kernel _ZN7rocprim17ROCPRIM_400000_NS6detail17trampoline_kernelINS0_14default_configENS1_22reduce_config_selectorIN6thrust23THRUST_200600_302600_NS5tupleIblNS6_9null_typeES8_S8_S8_S8_S8_S8_S8_EEEEZNS1_11reduce_implILb1ES3_NS6_12zip_iteratorINS7_INS6_11hip_rocprim26transform_input_iterator_tIbNSD_35transform_pair_of_input_iterators_tIbNS6_6detail15normal_iteratorINS6_10device_ptrIKiEEEESL_NS6_8equal_toIiEEEENSG_9not_fun_tINSD_8identityEEEEENSD_19counting_iterator_tIlEES8_S8_S8_S8_S8_S8_S8_S8_EEEEPS9_S9_NSD_9__find_if7functorIS9_EEEE10hipError_tPvRmT1_T2_T3_mT4_P12ihipStream_tbEUlT_E0_NS1_11comp_targetILNS1_3genE10ELNS1_11target_archE1201ELNS1_3gpuE5ELNS1_3repE0EEENS1_30default_config_static_selectorELNS0_4arch9wavefront6targetE1EEEvS14_
		.amdhsa_group_segment_fixed_size 0
		.amdhsa_private_segment_fixed_size 0
		.amdhsa_kernarg_size 104
		.amdhsa_user_sgpr_count 2
		.amdhsa_user_sgpr_dispatch_ptr 0
		.amdhsa_user_sgpr_queue_ptr 0
		.amdhsa_user_sgpr_kernarg_segment_ptr 1
		.amdhsa_user_sgpr_dispatch_id 0
		.amdhsa_user_sgpr_kernarg_preload_length 0
		.amdhsa_user_sgpr_kernarg_preload_offset 0
		.amdhsa_user_sgpr_private_segment_size 0
		.amdhsa_uses_dynamic_stack 0
		.amdhsa_enable_private_segment 0
		.amdhsa_system_sgpr_workgroup_id_x 1
		.amdhsa_system_sgpr_workgroup_id_y 0
		.amdhsa_system_sgpr_workgroup_id_z 0
		.amdhsa_system_sgpr_workgroup_info 0
		.amdhsa_system_vgpr_workitem_id 0
		.amdhsa_next_free_vgpr 1
		.amdhsa_next_free_sgpr 0
		.amdhsa_accum_offset 4
		.amdhsa_reserve_vcc 0
		.amdhsa_float_round_mode_32 0
		.amdhsa_float_round_mode_16_64 0
		.amdhsa_float_denorm_mode_32 3
		.amdhsa_float_denorm_mode_16_64 3
		.amdhsa_dx10_clamp 1
		.amdhsa_ieee_mode 1
		.amdhsa_fp16_overflow 0
		.amdhsa_tg_split 0
		.amdhsa_exception_fp_ieee_invalid_op 0
		.amdhsa_exception_fp_denorm_src 0
		.amdhsa_exception_fp_ieee_div_zero 0
		.amdhsa_exception_fp_ieee_overflow 0
		.amdhsa_exception_fp_ieee_underflow 0
		.amdhsa_exception_fp_ieee_inexact 0
		.amdhsa_exception_int_div_zero 0
	.end_amdhsa_kernel
	.section	.text._ZN7rocprim17ROCPRIM_400000_NS6detail17trampoline_kernelINS0_14default_configENS1_22reduce_config_selectorIN6thrust23THRUST_200600_302600_NS5tupleIblNS6_9null_typeES8_S8_S8_S8_S8_S8_S8_EEEEZNS1_11reduce_implILb1ES3_NS6_12zip_iteratorINS7_INS6_11hip_rocprim26transform_input_iterator_tIbNSD_35transform_pair_of_input_iterators_tIbNS6_6detail15normal_iteratorINS6_10device_ptrIKiEEEESL_NS6_8equal_toIiEEEENSG_9not_fun_tINSD_8identityEEEEENSD_19counting_iterator_tIlEES8_S8_S8_S8_S8_S8_S8_S8_EEEEPS9_S9_NSD_9__find_if7functorIS9_EEEE10hipError_tPvRmT1_T2_T3_mT4_P12ihipStream_tbEUlT_E0_NS1_11comp_targetILNS1_3genE10ELNS1_11target_archE1201ELNS1_3gpuE5ELNS1_3repE0EEENS1_30default_config_static_selectorELNS0_4arch9wavefront6targetE1EEEvS14_,"axG",@progbits,_ZN7rocprim17ROCPRIM_400000_NS6detail17trampoline_kernelINS0_14default_configENS1_22reduce_config_selectorIN6thrust23THRUST_200600_302600_NS5tupleIblNS6_9null_typeES8_S8_S8_S8_S8_S8_S8_EEEEZNS1_11reduce_implILb1ES3_NS6_12zip_iteratorINS7_INS6_11hip_rocprim26transform_input_iterator_tIbNSD_35transform_pair_of_input_iterators_tIbNS6_6detail15normal_iteratorINS6_10device_ptrIKiEEEESL_NS6_8equal_toIiEEEENSG_9not_fun_tINSD_8identityEEEEENSD_19counting_iterator_tIlEES8_S8_S8_S8_S8_S8_S8_S8_EEEEPS9_S9_NSD_9__find_if7functorIS9_EEEE10hipError_tPvRmT1_T2_T3_mT4_P12ihipStream_tbEUlT_E0_NS1_11comp_targetILNS1_3genE10ELNS1_11target_archE1201ELNS1_3gpuE5ELNS1_3repE0EEENS1_30default_config_static_selectorELNS0_4arch9wavefront6targetE1EEEvS14_,comdat
.Lfunc_end125:
	.size	_ZN7rocprim17ROCPRIM_400000_NS6detail17trampoline_kernelINS0_14default_configENS1_22reduce_config_selectorIN6thrust23THRUST_200600_302600_NS5tupleIblNS6_9null_typeES8_S8_S8_S8_S8_S8_S8_EEEEZNS1_11reduce_implILb1ES3_NS6_12zip_iteratorINS7_INS6_11hip_rocprim26transform_input_iterator_tIbNSD_35transform_pair_of_input_iterators_tIbNS6_6detail15normal_iteratorINS6_10device_ptrIKiEEEESL_NS6_8equal_toIiEEEENSG_9not_fun_tINSD_8identityEEEEENSD_19counting_iterator_tIlEES8_S8_S8_S8_S8_S8_S8_S8_EEEEPS9_S9_NSD_9__find_if7functorIS9_EEEE10hipError_tPvRmT1_T2_T3_mT4_P12ihipStream_tbEUlT_E0_NS1_11comp_targetILNS1_3genE10ELNS1_11target_archE1201ELNS1_3gpuE5ELNS1_3repE0EEENS1_30default_config_static_selectorELNS0_4arch9wavefront6targetE1EEEvS14_, .Lfunc_end125-_ZN7rocprim17ROCPRIM_400000_NS6detail17trampoline_kernelINS0_14default_configENS1_22reduce_config_selectorIN6thrust23THRUST_200600_302600_NS5tupleIblNS6_9null_typeES8_S8_S8_S8_S8_S8_S8_EEEEZNS1_11reduce_implILb1ES3_NS6_12zip_iteratorINS7_INS6_11hip_rocprim26transform_input_iterator_tIbNSD_35transform_pair_of_input_iterators_tIbNS6_6detail15normal_iteratorINS6_10device_ptrIKiEEEESL_NS6_8equal_toIiEEEENSG_9not_fun_tINSD_8identityEEEEENSD_19counting_iterator_tIlEES8_S8_S8_S8_S8_S8_S8_S8_EEEEPS9_S9_NSD_9__find_if7functorIS9_EEEE10hipError_tPvRmT1_T2_T3_mT4_P12ihipStream_tbEUlT_E0_NS1_11comp_targetILNS1_3genE10ELNS1_11target_archE1201ELNS1_3gpuE5ELNS1_3repE0EEENS1_30default_config_static_selectorELNS0_4arch9wavefront6targetE1EEEvS14_
                                        ; -- End function
	.section	.AMDGPU.csdata,"",@progbits
; Kernel info:
; codeLenInByte = 0
; NumSgprs: 6
; NumVgprs: 0
; NumAgprs: 0
; TotalNumVgprs: 0
; ScratchSize: 0
; MemoryBound: 0
; FloatMode: 240
; IeeeMode: 1
; LDSByteSize: 0 bytes/workgroup (compile time only)
; SGPRBlocks: 0
; VGPRBlocks: 0
; NumSGPRsForWavesPerEU: 6
; NumVGPRsForWavesPerEU: 1
; AccumOffset: 4
; Occupancy: 8
; WaveLimiterHint : 0
; COMPUTE_PGM_RSRC2:SCRATCH_EN: 0
; COMPUTE_PGM_RSRC2:USER_SGPR: 2
; COMPUTE_PGM_RSRC2:TRAP_HANDLER: 0
; COMPUTE_PGM_RSRC2:TGID_X_EN: 1
; COMPUTE_PGM_RSRC2:TGID_Y_EN: 0
; COMPUTE_PGM_RSRC2:TGID_Z_EN: 0
; COMPUTE_PGM_RSRC2:TIDIG_COMP_CNT: 0
; COMPUTE_PGM_RSRC3_GFX90A:ACCUM_OFFSET: 0
; COMPUTE_PGM_RSRC3_GFX90A:TG_SPLIT: 0
	.section	.text._ZN7rocprim17ROCPRIM_400000_NS6detail17trampoline_kernelINS0_14default_configENS1_22reduce_config_selectorIN6thrust23THRUST_200600_302600_NS5tupleIblNS6_9null_typeES8_S8_S8_S8_S8_S8_S8_EEEEZNS1_11reduce_implILb1ES3_NS6_12zip_iteratorINS7_INS6_11hip_rocprim26transform_input_iterator_tIbNSD_35transform_pair_of_input_iterators_tIbNS6_6detail15normal_iteratorINS6_10device_ptrIKiEEEESL_NS6_8equal_toIiEEEENSG_9not_fun_tINSD_8identityEEEEENSD_19counting_iterator_tIlEES8_S8_S8_S8_S8_S8_S8_S8_EEEEPS9_S9_NSD_9__find_if7functorIS9_EEEE10hipError_tPvRmT1_T2_T3_mT4_P12ihipStream_tbEUlT_E0_NS1_11comp_targetILNS1_3genE10ELNS1_11target_archE1200ELNS1_3gpuE4ELNS1_3repE0EEENS1_30default_config_static_selectorELNS0_4arch9wavefront6targetE1EEEvS14_,"axG",@progbits,_ZN7rocprim17ROCPRIM_400000_NS6detail17trampoline_kernelINS0_14default_configENS1_22reduce_config_selectorIN6thrust23THRUST_200600_302600_NS5tupleIblNS6_9null_typeES8_S8_S8_S8_S8_S8_S8_EEEEZNS1_11reduce_implILb1ES3_NS6_12zip_iteratorINS7_INS6_11hip_rocprim26transform_input_iterator_tIbNSD_35transform_pair_of_input_iterators_tIbNS6_6detail15normal_iteratorINS6_10device_ptrIKiEEEESL_NS6_8equal_toIiEEEENSG_9not_fun_tINSD_8identityEEEEENSD_19counting_iterator_tIlEES8_S8_S8_S8_S8_S8_S8_S8_EEEEPS9_S9_NSD_9__find_if7functorIS9_EEEE10hipError_tPvRmT1_T2_T3_mT4_P12ihipStream_tbEUlT_E0_NS1_11comp_targetILNS1_3genE10ELNS1_11target_archE1200ELNS1_3gpuE4ELNS1_3repE0EEENS1_30default_config_static_selectorELNS0_4arch9wavefront6targetE1EEEvS14_,comdat
	.protected	_ZN7rocprim17ROCPRIM_400000_NS6detail17trampoline_kernelINS0_14default_configENS1_22reduce_config_selectorIN6thrust23THRUST_200600_302600_NS5tupleIblNS6_9null_typeES8_S8_S8_S8_S8_S8_S8_EEEEZNS1_11reduce_implILb1ES3_NS6_12zip_iteratorINS7_INS6_11hip_rocprim26transform_input_iterator_tIbNSD_35transform_pair_of_input_iterators_tIbNS6_6detail15normal_iteratorINS6_10device_ptrIKiEEEESL_NS6_8equal_toIiEEEENSG_9not_fun_tINSD_8identityEEEEENSD_19counting_iterator_tIlEES8_S8_S8_S8_S8_S8_S8_S8_EEEEPS9_S9_NSD_9__find_if7functorIS9_EEEE10hipError_tPvRmT1_T2_T3_mT4_P12ihipStream_tbEUlT_E0_NS1_11comp_targetILNS1_3genE10ELNS1_11target_archE1200ELNS1_3gpuE4ELNS1_3repE0EEENS1_30default_config_static_selectorELNS0_4arch9wavefront6targetE1EEEvS14_ ; -- Begin function _ZN7rocprim17ROCPRIM_400000_NS6detail17trampoline_kernelINS0_14default_configENS1_22reduce_config_selectorIN6thrust23THRUST_200600_302600_NS5tupleIblNS6_9null_typeES8_S8_S8_S8_S8_S8_S8_EEEEZNS1_11reduce_implILb1ES3_NS6_12zip_iteratorINS7_INS6_11hip_rocprim26transform_input_iterator_tIbNSD_35transform_pair_of_input_iterators_tIbNS6_6detail15normal_iteratorINS6_10device_ptrIKiEEEESL_NS6_8equal_toIiEEEENSG_9not_fun_tINSD_8identityEEEEENSD_19counting_iterator_tIlEES8_S8_S8_S8_S8_S8_S8_S8_EEEEPS9_S9_NSD_9__find_if7functorIS9_EEEE10hipError_tPvRmT1_T2_T3_mT4_P12ihipStream_tbEUlT_E0_NS1_11comp_targetILNS1_3genE10ELNS1_11target_archE1200ELNS1_3gpuE4ELNS1_3repE0EEENS1_30default_config_static_selectorELNS0_4arch9wavefront6targetE1EEEvS14_
	.globl	_ZN7rocprim17ROCPRIM_400000_NS6detail17trampoline_kernelINS0_14default_configENS1_22reduce_config_selectorIN6thrust23THRUST_200600_302600_NS5tupleIblNS6_9null_typeES8_S8_S8_S8_S8_S8_S8_EEEEZNS1_11reduce_implILb1ES3_NS6_12zip_iteratorINS7_INS6_11hip_rocprim26transform_input_iterator_tIbNSD_35transform_pair_of_input_iterators_tIbNS6_6detail15normal_iteratorINS6_10device_ptrIKiEEEESL_NS6_8equal_toIiEEEENSG_9not_fun_tINSD_8identityEEEEENSD_19counting_iterator_tIlEES8_S8_S8_S8_S8_S8_S8_S8_EEEEPS9_S9_NSD_9__find_if7functorIS9_EEEE10hipError_tPvRmT1_T2_T3_mT4_P12ihipStream_tbEUlT_E0_NS1_11comp_targetILNS1_3genE10ELNS1_11target_archE1200ELNS1_3gpuE4ELNS1_3repE0EEENS1_30default_config_static_selectorELNS0_4arch9wavefront6targetE1EEEvS14_
	.p2align	8
	.type	_ZN7rocprim17ROCPRIM_400000_NS6detail17trampoline_kernelINS0_14default_configENS1_22reduce_config_selectorIN6thrust23THRUST_200600_302600_NS5tupleIblNS6_9null_typeES8_S8_S8_S8_S8_S8_S8_EEEEZNS1_11reduce_implILb1ES3_NS6_12zip_iteratorINS7_INS6_11hip_rocprim26transform_input_iterator_tIbNSD_35transform_pair_of_input_iterators_tIbNS6_6detail15normal_iteratorINS6_10device_ptrIKiEEEESL_NS6_8equal_toIiEEEENSG_9not_fun_tINSD_8identityEEEEENSD_19counting_iterator_tIlEES8_S8_S8_S8_S8_S8_S8_S8_EEEEPS9_S9_NSD_9__find_if7functorIS9_EEEE10hipError_tPvRmT1_T2_T3_mT4_P12ihipStream_tbEUlT_E0_NS1_11comp_targetILNS1_3genE10ELNS1_11target_archE1200ELNS1_3gpuE4ELNS1_3repE0EEENS1_30default_config_static_selectorELNS0_4arch9wavefront6targetE1EEEvS14_,@function
_ZN7rocprim17ROCPRIM_400000_NS6detail17trampoline_kernelINS0_14default_configENS1_22reduce_config_selectorIN6thrust23THRUST_200600_302600_NS5tupleIblNS6_9null_typeES8_S8_S8_S8_S8_S8_S8_EEEEZNS1_11reduce_implILb1ES3_NS6_12zip_iteratorINS7_INS6_11hip_rocprim26transform_input_iterator_tIbNSD_35transform_pair_of_input_iterators_tIbNS6_6detail15normal_iteratorINS6_10device_ptrIKiEEEESL_NS6_8equal_toIiEEEENSG_9not_fun_tINSD_8identityEEEEENSD_19counting_iterator_tIlEES8_S8_S8_S8_S8_S8_S8_S8_EEEEPS9_S9_NSD_9__find_if7functorIS9_EEEE10hipError_tPvRmT1_T2_T3_mT4_P12ihipStream_tbEUlT_E0_NS1_11comp_targetILNS1_3genE10ELNS1_11target_archE1200ELNS1_3gpuE4ELNS1_3repE0EEENS1_30default_config_static_selectorELNS0_4arch9wavefront6targetE1EEEvS14_: ; @_ZN7rocprim17ROCPRIM_400000_NS6detail17trampoline_kernelINS0_14default_configENS1_22reduce_config_selectorIN6thrust23THRUST_200600_302600_NS5tupleIblNS6_9null_typeES8_S8_S8_S8_S8_S8_S8_EEEEZNS1_11reduce_implILb1ES3_NS6_12zip_iteratorINS7_INS6_11hip_rocprim26transform_input_iterator_tIbNSD_35transform_pair_of_input_iterators_tIbNS6_6detail15normal_iteratorINS6_10device_ptrIKiEEEESL_NS6_8equal_toIiEEEENSG_9not_fun_tINSD_8identityEEEEENSD_19counting_iterator_tIlEES8_S8_S8_S8_S8_S8_S8_S8_EEEEPS9_S9_NSD_9__find_if7functorIS9_EEEE10hipError_tPvRmT1_T2_T3_mT4_P12ihipStream_tbEUlT_E0_NS1_11comp_targetILNS1_3genE10ELNS1_11target_archE1200ELNS1_3gpuE4ELNS1_3repE0EEENS1_30default_config_static_selectorELNS0_4arch9wavefront6targetE1EEEvS14_
; %bb.0:
	.section	.rodata,"a",@progbits
	.p2align	6, 0x0
	.amdhsa_kernel _ZN7rocprim17ROCPRIM_400000_NS6detail17trampoline_kernelINS0_14default_configENS1_22reduce_config_selectorIN6thrust23THRUST_200600_302600_NS5tupleIblNS6_9null_typeES8_S8_S8_S8_S8_S8_S8_EEEEZNS1_11reduce_implILb1ES3_NS6_12zip_iteratorINS7_INS6_11hip_rocprim26transform_input_iterator_tIbNSD_35transform_pair_of_input_iterators_tIbNS6_6detail15normal_iteratorINS6_10device_ptrIKiEEEESL_NS6_8equal_toIiEEEENSG_9not_fun_tINSD_8identityEEEEENSD_19counting_iterator_tIlEES8_S8_S8_S8_S8_S8_S8_S8_EEEEPS9_S9_NSD_9__find_if7functorIS9_EEEE10hipError_tPvRmT1_T2_T3_mT4_P12ihipStream_tbEUlT_E0_NS1_11comp_targetILNS1_3genE10ELNS1_11target_archE1200ELNS1_3gpuE4ELNS1_3repE0EEENS1_30default_config_static_selectorELNS0_4arch9wavefront6targetE1EEEvS14_
		.amdhsa_group_segment_fixed_size 0
		.amdhsa_private_segment_fixed_size 0
		.amdhsa_kernarg_size 104
		.amdhsa_user_sgpr_count 2
		.amdhsa_user_sgpr_dispatch_ptr 0
		.amdhsa_user_sgpr_queue_ptr 0
		.amdhsa_user_sgpr_kernarg_segment_ptr 1
		.amdhsa_user_sgpr_dispatch_id 0
		.amdhsa_user_sgpr_kernarg_preload_length 0
		.amdhsa_user_sgpr_kernarg_preload_offset 0
		.amdhsa_user_sgpr_private_segment_size 0
		.amdhsa_uses_dynamic_stack 0
		.amdhsa_enable_private_segment 0
		.amdhsa_system_sgpr_workgroup_id_x 1
		.amdhsa_system_sgpr_workgroup_id_y 0
		.amdhsa_system_sgpr_workgroup_id_z 0
		.amdhsa_system_sgpr_workgroup_info 0
		.amdhsa_system_vgpr_workitem_id 0
		.amdhsa_next_free_vgpr 1
		.amdhsa_next_free_sgpr 0
		.amdhsa_accum_offset 4
		.amdhsa_reserve_vcc 0
		.amdhsa_float_round_mode_32 0
		.amdhsa_float_round_mode_16_64 0
		.amdhsa_float_denorm_mode_32 3
		.amdhsa_float_denorm_mode_16_64 3
		.amdhsa_dx10_clamp 1
		.amdhsa_ieee_mode 1
		.amdhsa_fp16_overflow 0
		.amdhsa_tg_split 0
		.amdhsa_exception_fp_ieee_invalid_op 0
		.amdhsa_exception_fp_denorm_src 0
		.amdhsa_exception_fp_ieee_div_zero 0
		.amdhsa_exception_fp_ieee_overflow 0
		.amdhsa_exception_fp_ieee_underflow 0
		.amdhsa_exception_fp_ieee_inexact 0
		.amdhsa_exception_int_div_zero 0
	.end_amdhsa_kernel
	.section	.text._ZN7rocprim17ROCPRIM_400000_NS6detail17trampoline_kernelINS0_14default_configENS1_22reduce_config_selectorIN6thrust23THRUST_200600_302600_NS5tupleIblNS6_9null_typeES8_S8_S8_S8_S8_S8_S8_EEEEZNS1_11reduce_implILb1ES3_NS6_12zip_iteratorINS7_INS6_11hip_rocprim26transform_input_iterator_tIbNSD_35transform_pair_of_input_iterators_tIbNS6_6detail15normal_iteratorINS6_10device_ptrIKiEEEESL_NS6_8equal_toIiEEEENSG_9not_fun_tINSD_8identityEEEEENSD_19counting_iterator_tIlEES8_S8_S8_S8_S8_S8_S8_S8_EEEEPS9_S9_NSD_9__find_if7functorIS9_EEEE10hipError_tPvRmT1_T2_T3_mT4_P12ihipStream_tbEUlT_E0_NS1_11comp_targetILNS1_3genE10ELNS1_11target_archE1200ELNS1_3gpuE4ELNS1_3repE0EEENS1_30default_config_static_selectorELNS0_4arch9wavefront6targetE1EEEvS14_,"axG",@progbits,_ZN7rocprim17ROCPRIM_400000_NS6detail17trampoline_kernelINS0_14default_configENS1_22reduce_config_selectorIN6thrust23THRUST_200600_302600_NS5tupleIblNS6_9null_typeES8_S8_S8_S8_S8_S8_S8_EEEEZNS1_11reduce_implILb1ES3_NS6_12zip_iteratorINS7_INS6_11hip_rocprim26transform_input_iterator_tIbNSD_35transform_pair_of_input_iterators_tIbNS6_6detail15normal_iteratorINS6_10device_ptrIKiEEEESL_NS6_8equal_toIiEEEENSG_9not_fun_tINSD_8identityEEEEENSD_19counting_iterator_tIlEES8_S8_S8_S8_S8_S8_S8_S8_EEEEPS9_S9_NSD_9__find_if7functorIS9_EEEE10hipError_tPvRmT1_T2_T3_mT4_P12ihipStream_tbEUlT_E0_NS1_11comp_targetILNS1_3genE10ELNS1_11target_archE1200ELNS1_3gpuE4ELNS1_3repE0EEENS1_30default_config_static_selectorELNS0_4arch9wavefront6targetE1EEEvS14_,comdat
.Lfunc_end126:
	.size	_ZN7rocprim17ROCPRIM_400000_NS6detail17trampoline_kernelINS0_14default_configENS1_22reduce_config_selectorIN6thrust23THRUST_200600_302600_NS5tupleIblNS6_9null_typeES8_S8_S8_S8_S8_S8_S8_EEEEZNS1_11reduce_implILb1ES3_NS6_12zip_iteratorINS7_INS6_11hip_rocprim26transform_input_iterator_tIbNSD_35transform_pair_of_input_iterators_tIbNS6_6detail15normal_iteratorINS6_10device_ptrIKiEEEESL_NS6_8equal_toIiEEEENSG_9not_fun_tINSD_8identityEEEEENSD_19counting_iterator_tIlEES8_S8_S8_S8_S8_S8_S8_S8_EEEEPS9_S9_NSD_9__find_if7functorIS9_EEEE10hipError_tPvRmT1_T2_T3_mT4_P12ihipStream_tbEUlT_E0_NS1_11comp_targetILNS1_3genE10ELNS1_11target_archE1200ELNS1_3gpuE4ELNS1_3repE0EEENS1_30default_config_static_selectorELNS0_4arch9wavefront6targetE1EEEvS14_, .Lfunc_end126-_ZN7rocprim17ROCPRIM_400000_NS6detail17trampoline_kernelINS0_14default_configENS1_22reduce_config_selectorIN6thrust23THRUST_200600_302600_NS5tupleIblNS6_9null_typeES8_S8_S8_S8_S8_S8_S8_EEEEZNS1_11reduce_implILb1ES3_NS6_12zip_iteratorINS7_INS6_11hip_rocprim26transform_input_iterator_tIbNSD_35transform_pair_of_input_iterators_tIbNS6_6detail15normal_iteratorINS6_10device_ptrIKiEEEESL_NS6_8equal_toIiEEEENSG_9not_fun_tINSD_8identityEEEEENSD_19counting_iterator_tIlEES8_S8_S8_S8_S8_S8_S8_S8_EEEEPS9_S9_NSD_9__find_if7functorIS9_EEEE10hipError_tPvRmT1_T2_T3_mT4_P12ihipStream_tbEUlT_E0_NS1_11comp_targetILNS1_3genE10ELNS1_11target_archE1200ELNS1_3gpuE4ELNS1_3repE0EEENS1_30default_config_static_selectorELNS0_4arch9wavefront6targetE1EEEvS14_
                                        ; -- End function
	.section	.AMDGPU.csdata,"",@progbits
; Kernel info:
; codeLenInByte = 0
; NumSgprs: 6
; NumVgprs: 0
; NumAgprs: 0
; TotalNumVgprs: 0
; ScratchSize: 0
; MemoryBound: 0
; FloatMode: 240
; IeeeMode: 1
; LDSByteSize: 0 bytes/workgroup (compile time only)
; SGPRBlocks: 0
; VGPRBlocks: 0
; NumSGPRsForWavesPerEU: 6
; NumVGPRsForWavesPerEU: 1
; AccumOffset: 4
; Occupancy: 8
; WaveLimiterHint : 0
; COMPUTE_PGM_RSRC2:SCRATCH_EN: 0
; COMPUTE_PGM_RSRC2:USER_SGPR: 2
; COMPUTE_PGM_RSRC2:TRAP_HANDLER: 0
; COMPUTE_PGM_RSRC2:TGID_X_EN: 1
; COMPUTE_PGM_RSRC2:TGID_Y_EN: 0
; COMPUTE_PGM_RSRC2:TGID_Z_EN: 0
; COMPUTE_PGM_RSRC2:TIDIG_COMP_CNT: 0
; COMPUTE_PGM_RSRC3_GFX90A:ACCUM_OFFSET: 0
; COMPUTE_PGM_RSRC3_GFX90A:TG_SPLIT: 0
	.section	.text._ZN7rocprim17ROCPRIM_400000_NS6detail17trampoline_kernelINS0_14default_configENS1_22reduce_config_selectorIN6thrust23THRUST_200600_302600_NS5tupleIblNS6_9null_typeES8_S8_S8_S8_S8_S8_S8_EEEEZNS1_11reduce_implILb1ES3_NS6_12zip_iteratorINS7_INS6_11hip_rocprim26transform_input_iterator_tIbNSD_35transform_pair_of_input_iterators_tIbNS6_6detail15normal_iteratorINS6_10device_ptrIKiEEEESL_NS6_8equal_toIiEEEENSG_9not_fun_tINSD_8identityEEEEENSD_19counting_iterator_tIlEES8_S8_S8_S8_S8_S8_S8_S8_EEEEPS9_S9_NSD_9__find_if7functorIS9_EEEE10hipError_tPvRmT1_T2_T3_mT4_P12ihipStream_tbEUlT_E0_NS1_11comp_targetILNS1_3genE9ELNS1_11target_archE1100ELNS1_3gpuE3ELNS1_3repE0EEENS1_30default_config_static_selectorELNS0_4arch9wavefront6targetE1EEEvS14_,"axG",@progbits,_ZN7rocprim17ROCPRIM_400000_NS6detail17trampoline_kernelINS0_14default_configENS1_22reduce_config_selectorIN6thrust23THRUST_200600_302600_NS5tupleIblNS6_9null_typeES8_S8_S8_S8_S8_S8_S8_EEEEZNS1_11reduce_implILb1ES3_NS6_12zip_iteratorINS7_INS6_11hip_rocprim26transform_input_iterator_tIbNSD_35transform_pair_of_input_iterators_tIbNS6_6detail15normal_iteratorINS6_10device_ptrIKiEEEESL_NS6_8equal_toIiEEEENSG_9not_fun_tINSD_8identityEEEEENSD_19counting_iterator_tIlEES8_S8_S8_S8_S8_S8_S8_S8_EEEEPS9_S9_NSD_9__find_if7functorIS9_EEEE10hipError_tPvRmT1_T2_T3_mT4_P12ihipStream_tbEUlT_E0_NS1_11comp_targetILNS1_3genE9ELNS1_11target_archE1100ELNS1_3gpuE3ELNS1_3repE0EEENS1_30default_config_static_selectorELNS0_4arch9wavefront6targetE1EEEvS14_,comdat
	.protected	_ZN7rocprim17ROCPRIM_400000_NS6detail17trampoline_kernelINS0_14default_configENS1_22reduce_config_selectorIN6thrust23THRUST_200600_302600_NS5tupleIblNS6_9null_typeES8_S8_S8_S8_S8_S8_S8_EEEEZNS1_11reduce_implILb1ES3_NS6_12zip_iteratorINS7_INS6_11hip_rocprim26transform_input_iterator_tIbNSD_35transform_pair_of_input_iterators_tIbNS6_6detail15normal_iteratorINS6_10device_ptrIKiEEEESL_NS6_8equal_toIiEEEENSG_9not_fun_tINSD_8identityEEEEENSD_19counting_iterator_tIlEES8_S8_S8_S8_S8_S8_S8_S8_EEEEPS9_S9_NSD_9__find_if7functorIS9_EEEE10hipError_tPvRmT1_T2_T3_mT4_P12ihipStream_tbEUlT_E0_NS1_11comp_targetILNS1_3genE9ELNS1_11target_archE1100ELNS1_3gpuE3ELNS1_3repE0EEENS1_30default_config_static_selectorELNS0_4arch9wavefront6targetE1EEEvS14_ ; -- Begin function _ZN7rocprim17ROCPRIM_400000_NS6detail17trampoline_kernelINS0_14default_configENS1_22reduce_config_selectorIN6thrust23THRUST_200600_302600_NS5tupleIblNS6_9null_typeES8_S8_S8_S8_S8_S8_S8_EEEEZNS1_11reduce_implILb1ES3_NS6_12zip_iteratorINS7_INS6_11hip_rocprim26transform_input_iterator_tIbNSD_35transform_pair_of_input_iterators_tIbNS6_6detail15normal_iteratorINS6_10device_ptrIKiEEEESL_NS6_8equal_toIiEEEENSG_9not_fun_tINSD_8identityEEEEENSD_19counting_iterator_tIlEES8_S8_S8_S8_S8_S8_S8_S8_EEEEPS9_S9_NSD_9__find_if7functorIS9_EEEE10hipError_tPvRmT1_T2_T3_mT4_P12ihipStream_tbEUlT_E0_NS1_11comp_targetILNS1_3genE9ELNS1_11target_archE1100ELNS1_3gpuE3ELNS1_3repE0EEENS1_30default_config_static_selectorELNS0_4arch9wavefront6targetE1EEEvS14_
	.globl	_ZN7rocprim17ROCPRIM_400000_NS6detail17trampoline_kernelINS0_14default_configENS1_22reduce_config_selectorIN6thrust23THRUST_200600_302600_NS5tupleIblNS6_9null_typeES8_S8_S8_S8_S8_S8_S8_EEEEZNS1_11reduce_implILb1ES3_NS6_12zip_iteratorINS7_INS6_11hip_rocprim26transform_input_iterator_tIbNSD_35transform_pair_of_input_iterators_tIbNS6_6detail15normal_iteratorINS6_10device_ptrIKiEEEESL_NS6_8equal_toIiEEEENSG_9not_fun_tINSD_8identityEEEEENSD_19counting_iterator_tIlEES8_S8_S8_S8_S8_S8_S8_S8_EEEEPS9_S9_NSD_9__find_if7functorIS9_EEEE10hipError_tPvRmT1_T2_T3_mT4_P12ihipStream_tbEUlT_E0_NS1_11comp_targetILNS1_3genE9ELNS1_11target_archE1100ELNS1_3gpuE3ELNS1_3repE0EEENS1_30default_config_static_selectorELNS0_4arch9wavefront6targetE1EEEvS14_
	.p2align	8
	.type	_ZN7rocprim17ROCPRIM_400000_NS6detail17trampoline_kernelINS0_14default_configENS1_22reduce_config_selectorIN6thrust23THRUST_200600_302600_NS5tupleIblNS6_9null_typeES8_S8_S8_S8_S8_S8_S8_EEEEZNS1_11reduce_implILb1ES3_NS6_12zip_iteratorINS7_INS6_11hip_rocprim26transform_input_iterator_tIbNSD_35transform_pair_of_input_iterators_tIbNS6_6detail15normal_iteratorINS6_10device_ptrIKiEEEESL_NS6_8equal_toIiEEEENSG_9not_fun_tINSD_8identityEEEEENSD_19counting_iterator_tIlEES8_S8_S8_S8_S8_S8_S8_S8_EEEEPS9_S9_NSD_9__find_if7functorIS9_EEEE10hipError_tPvRmT1_T2_T3_mT4_P12ihipStream_tbEUlT_E0_NS1_11comp_targetILNS1_3genE9ELNS1_11target_archE1100ELNS1_3gpuE3ELNS1_3repE0EEENS1_30default_config_static_selectorELNS0_4arch9wavefront6targetE1EEEvS14_,@function
_ZN7rocprim17ROCPRIM_400000_NS6detail17trampoline_kernelINS0_14default_configENS1_22reduce_config_selectorIN6thrust23THRUST_200600_302600_NS5tupleIblNS6_9null_typeES8_S8_S8_S8_S8_S8_S8_EEEEZNS1_11reduce_implILb1ES3_NS6_12zip_iteratorINS7_INS6_11hip_rocprim26transform_input_iterator_tIbNSD_35transform_pair_of_input_iterators_tIbNS6_6detail15normal_iteratorINS6_10device_ptrIKiEEEESL_NS6_8equal_toIiEEEENSG_9not_fun_tINSD_8identityEEEEENSD_19counting_iterator_tIlEES8_S8_S8_S8_S8_S8_S8_S8_EEEEPS9_S9_NSD_9__find_if7functorIS9_EEEE10hipError_tPvRmT1_T2_T3_mT4_P12ihipStream_tbEUlT_E0_NS1_11comp_targetILNS1_3genE9ELNS1_11target_archE1100ELNS1_3gpuE3ELNS1_3repE0EEENS1_30default_config_static_selectorELNS0_4arch9wavefront6targetE1EEEvS14_: ; @_ZN7rocprim17ROCPRIM_400000_NS6detail17trampoline_kernelINS0_14default_configENS1_22reduce_config_selectorIN6thrust23THRUST_200600_302600_NS5tupleIblNS6_9null_typeES8_S8_S8_S8_S8_S8_S8_EEEEZNS1_11reduce_implILb1ES3_NS6_12zip_iteratorINS7_INS6_11hip_rocprim26transform_input_iterator_tIbNSD_35transform_pair_of_input_iterators_tIbNS6_6detail15normal_iteratorINS6_10device_ptrIKiEEEESL_NS6_8equal_toIiEEEENSG_9not_fun_tINSD_8identityEEEEENSD_19counting_iterator_tIlEES8_S8_S8_S8_S8_S8_S8_S8_EEEEPS9_S9_NSD_9__find_if7functorIS9_EEEE10hipError_tPvRmT1_T2_T3_mT4_P12ihipStream_tbEUlT_E0_NS1_11comp_targetILNS1_3genE9ELNS1_11target_archE1100ELNS1_3gpuE3ELNS1_3repE0EEENS1_30default_config_static_selectorELNS0_4arch9wavefront6targetE1EEEvS14_
; %bb.0:
	.section	.rodata,"a",@progbits
	.p2align	6, 0x0
	.amdhsa_kernel _ZN7rocprim17ROCPRIM_400000_NS6detail17trampoline_kernelINS0_14default_configENS1_22reduce_config_selectorIN6thrust23THRUST_200600_302600_NS5tupleIblNS6_9null_typeES8_S8_S8_S8_S8_S8_S8_EEEEZNS1_11reduce_implILb1ES3_NS6_12zip_iteratorINS7_INS6_11hip_rocprim26transform_input_iterator_tIbNSD_35transform_pair_of_input_iterators_tIbNS6_6detail15normal_iteratorINS6_10device_ptrIKiEEEESL_NS6_8equal_toIiEEEENSG_9not_fun_tINSD_8identityEEEEENSD_19counting_iterator_tIlEES8_S8_S8_S8_S8_S8_S8_S8_EEEEPS9_S9_NSD_9__find_if7functorIS9_EEEE10hipError_tPvRmT1_T2_T3_mT4_P12ihipStream_tbEUlT_E0_NS1_11comp_targetILNS1_3genE9ELNS1_11target_archE1100ELNS1_3gpuE3ELNS1_3repE0EEENS1_30default_config_static_selectorELNS0_4arch9wavefront6targetE1EEEvS14_
		.amdhsa_group_segment_fixed_size 0
		.amdhsa_private_segment_fixed_size 0
		.amdhsa_kernarg_size 104
		.amdhsa_user_sgpr_count 2
		.amdhsa_user_sgpr_dispatch_ptr 0
		.amdhsa_user_sgpr_queue_ptr 0
		.amdhsa_user_sgpr_kernarg_segment_ptr 1
		.amdhsa_user_sgpr_dispatch_id 0
		.amdhsa_user_sgpr_kernarg_preload_length 0
		.amdhsa_user_sgpr_kernarg_preload_offset 0
		.amdhsa_user_sgpr_private_segment_size 0
		.amdhsa_uses_dynamic_stack 0
		.amdhsa_enable_private_segment 0
		.amdhsa_system_sgpr_workgroup_id_x 1
		.amdhsa_system_sgpr_workgroup_id_y 0
		.amdhsa_system_sgpr_workgroup_id_z 0
		.amdhsa_system_sgpr_workgroup_info 0
		.amdhsa_system_vgpr_workitem_id 0
		.amdhsa_next_free_vgpr 1
		.amdhsa_next_free_sgpr 0
		.amdhsa_accum_offset 4
		.amdhsa_reserve_vcc 0
		.amdhsa_float_round_mode_32 0
		.amdhsa_float_round_mode_16_64 0
		.amdhsa_float_denorm_mode_32 3
		.amdhsa_float_denorm_mode_16_64 3
		.amdhsa_dx10_clamp 1
		.amdhsa_ieee_mode 1
		.amdhsa_fp16_overflow 0
		.amdhsa_tg_split 0
		.amdhsa_exception_fp_ieee_invalid_op 0
		.amdhsa_exception_fp_denorm_src 0
		.amdhsa_exception_fp_ieee_div_zero 0
		.amdhsa_exception_fp_ieee_overflow 0
		.amdhsa_exception_fp_ieee_underflow 0
		.amdhsa_exception_fp_ieee_inexact 0
		.amdhsa_exception_int_div_zero 0
	.end_amdhsa_kernel
	.section	.text._ZN7rocprim17ROCPRIM_400000_NS6detail17trampoline_kernelINS0_14default_configENS1_22reduce_config_selectorIN6thrust23THRUST_200600_302600_NS5tupleIblNS6_9null_typeES8_S8_S8_S8_S8_S8_S8_EEEEZNS1_11reduce_implILb1ES3_NS6_12zip_iteratorINS7_INS6_11hip_rocprim26transform_input_iterator_tIbNSD_35transform_pair_of_input_iterators_tIbNS6_6detail15normal_iteratorINS6_10device_ptrIKiEEEESL_NS6_8equal_toIiEEEENSG_9not_fun_tINSD_8identityEEEEENSD_19counting_iterator_tIlEES8_S8_S8_S8_S8_S8_S8_S8_EEEEPS9_S9_NSD_9__find_if7functorIS9_EEEE10hipError_tPvRmT1_T2_T3_mT4_P12ihipStream_tbEUlT_E0_NS1_11comp_targetILNS1_3genE9ELNS1_11target_archE1100ELNS1_3gpuE3ELNS1_3repE0EEENS1_30default_config_static_selectorELNS0_4arch9wavefront6targetE1EEEvS14_,"axG",@progbits,_ZN7rocprim17ROCPRIM_400000_NS6detail17trampoline_kernelINS0_14default_configENS1_22reduce_config_selectorIN6thrust23THRUST_200600_302600_NS5tupleIblNS6_9null_typeES8_S8_S8_S8_S8_S8_S8_EEEEZNS1_11reduce_implILb1ES3_NS6_12zip_iteratorINS7_INS6_11hip_rocprim26transform_input_iterator_tIbNSD_35transform_pair_of_input_iterators_tIbNS6_6detail15normal_iteratorINS6_10device_ptrIKiEEEESL_NS6_8equal_toIiEEEENSG_9not_fun_tINSD_8identityEEEEENSD_19counting_iterator_tIlEES8_S8_S8_S8_S8_S8_S8_S8_EEEEPS9_S9_NSD_9__find_if7functorIS9_EEEE10hipError_tPvRmT1_T2_T3_mT4_P12ihipStream_tbEUlT_E0_NS1_11comp_targetILNS1_3genE9ELNS1_11target_archE1100ELNS1_3gpuE3ELNS1_3repE0EEENS1_30default_config_static_selectorELNS0_4arch9wavefront6targetE1EEEvS14_,comdat
.Lfunc_end127:
	.size	_ZN7rocprim17ROCPRIM_400000_NS6detail17trampoline_kernelINS0_14default_configENS1_22reduce_config_selectorIN6thrust23THRUST_200600_302600_NS5tupleIblNS6_9null_typeES8_S8_S8_S8_S8_S8_S8_EEEEZNS1_11reduce_implILb1ES3_NS6_12zip_iteratorINS7_INS6_11hip_rocprim26transform_input_iterator_tIbNSD_35transform_pair_of_input_iterators_tIbNS6_6detail15normal_iteratorINS6_10device_ptrIKiEEEESL_NS6_8equal_toIiEEEENSG_9not_fun_tINSD_8identityEEEEENSD_19counting_iterator_tIlEES8_S8_S8_S8_S8_S8_S8_S8_EEEEPS9_S9_NSD_9__find_if7functorIS9_EEEE10hipError_tPvRmT1_T2_T3_mT4_P12ihipStream_tbEUlT_E0_NS1_11comp_targetILNS1_3genE9ELNS1_11target_archE1100ELNS1_3gpuE3ELNS1_3repE0EEENS1_30default_config_static_selectorELNS0_4arch9wavefront6targetE1EEEvS14_, .Lfunc_end127-_ZN7rocprim17ROCPRIM_400000_NS6detail17trampoline_kernelINS0_14default_configENS1_22reduce_config_selectorIN6thrust23THRUST_200600_302600_NS5tupleIblNS6_9null_typeES8_S8_S8_S8_S8_S8_S8_EEEEZNS1_11reduce_implILb1ES3_NS6_12zip_iteratorINS7_INS6_11hip_rocprim26transform_input_iterator_tIbNSD_35transform_pair_of_input_iterators_tIbNS6_6detail15normal_iteratorINS6_10device_ptrIKiEEEESL_NS6_8equal_toIiEEEENSG_9not_fun_tINSD_8identityEEEEENSD_19counting_iterator_tIlEES8_S8_S8_S8_S8_S8_S8_S8_EEEEPS9_S9_NSD_9__find_if7functorIS9_EEEE10hipError_tPvRmT1_T2_T3_mT4_P12ihipStream_tbEUlT_E0_NS1_11comp_targetILNS1_3genE9ELNS1_11target_archE1100ELNS1_3gpuE3ELNS1_3repE0EEENS1_30default_config_static_selectorELNS0_4arch9wavefront6targetE1EEEvS14_
                                        ; -- End function
	.section	.AMDGPU.csdata,"",@progbits
; Kernel info:
; codeLenInByte = 0
; NumSgprs: 6
; NumVgprs: 0
; NumAgprs: 0
; TotalNumVgprs: 0
; ScratchSize: 0
; MemoryBound: 0
; FloatMode: 240
; IeeeMode: 1
; LDSByteSize: 0 bytes/workgroup (compile time only)
; SGPRBlocks: 0
; VGPRBlocks: 0
; NumSGPRsForWavesPerEU: 6
; NumVGPRsForWavesPerEU: 1
; AccumOffset: 4
; Occupancy: 8
; WaveLimiterHint : 0
; COMPUTE_PGM_RSRC2:SCRATCH_EN: 0
; COMPUTE_PGM_RSRC2:USER_SGPR: 2
; COMPUTE_PGM_RSRC2:TRAP_HANDLER: 0
; COMPUTE_PGM_RSRC2:TGID_X_EN: 1
; COMPUTE_PGM_RSRC2:TGID_Y_EN: 0
; COMPUTE_PGM_RSRC2:TGID_Z_EN: 0
; COMPUTE_PGM_RSRC2:TIDIG_COMP_CNT: 0
; COMPUTE_PGM_RSRC3_GFX90A:ACCUM_OFFSET: 0
; COMPUTE_PGM_RSRC3_GFX90A:TG_SPLIT: 0
	.section	.text._ZN7rocprim17ROCPRIM_400000_NS6detail17trampoline_kernelINS0_14default_configENS1_22reduce_config_selectorIN6thrust23THRUST_200600_302600_NS5tupleIblNS6_9null_typeES8_S8_S8_S8_S8_S8_S8_EEEEZNS1_11reduce_implILb1ES3_NS6_12zip_iteratorINS7_INS6_11hip_rocprim26transform_input_iterator_tIbNSD_35transform_pair_of_input_iterators_tIbNS6_6detail15normal_iteratorINS6_10device_ptrIKiEEEESL_NS6_8equal_toIiEEEENSG_9not_fun_tINSD_8identityEEEEENSD_19counting_iterator_tIlEES8_S8_S8_S8_S8_S8_S8_S8_EEEEPS9_S9_NSD_9__find_if7functorIS9_EEEE10hipError_tPvRmT1_T2_T3_mT4_P12ihipStream_tbEUlT_E0_NS1_11comp_targetILNS1_3genE8ELNS1_11target_archE1030ELNS1_3gpuE2ELNS1_3repE0EEENS1_30default_config_static_selectorELNS0_4arch9wavefront6targetE1EEEvS14_,"axG",@progbits,_ZN7rocprim17ROCPRIM_400000_NS6detail17trampoline_kernelINS0_14default_configENS1_22reduce_config_selectorIN6thrust23THRUST_200600_302600_NS5tupleIblNS6_9null_typeES8_S8_S8_S8_S8_S8_S8_EEEEZNS1_11reduce_implILb1ES3_NS6_12zip_iteratorINS7_INS6_11hip_rocprim26transform_input_iterator_tIbNSD_35transform_pair_of_input_iterators_tIbNS6_6detail15normal_iteratorINS6_10device_ptrIKiEEEESL_NS6_8equal_toIiEEEENSG_9not_fun_tINSD_8identityEEEEENSD_19counting_iterator_tIlEES8_S8_S8_S8_S8_S8_S8_S8_EEEEPS9_S9_NSD_9__find_if7functorIS9_EEEE10hipError_tPvRmT1_T2_T3_mT4_P12ihipStream_tbEUlT_E0_NS1_11comp_targetILNS1_3genE8ELNS1_11target_archE1030ELNS1_3gpuE2ELNS1_3repE0EEENS1_30default_config_static_selectorELNS0_4arch9wavefront6targetE1EEEvS14_,comdat
	.protected	_ZN7rocprim17ROCPRIM_400000_NS6detail17trampoline_kernelINS0_14default_configENS1_22reduce_config_selectorIN6thrust23THRUST_200600_302600_NS5tupleIblNS6_9null_typeES8_S8_S8_S8_S8_S8_S8_EEEEZNS1_11reduce_implILb1ES3_NS6_12zip_iteratorINS7_INS6_11hip_rocprim26transform_input_iterator_tIbNSD_35transform_pair_of_input_iterators_tIbNS6_6detail15normal_iteratorINS6_10device_ptrIKiEEEESL_NS6_8equal_toIiEEEENSG_9not_fun_tINSD_8identityEEEEENSD_19counting_iterator_tIlEES8_S8_S8_S8_S8_S8_S8_S8_EEEEPS9_S9_NSD_9__find_if7functorIS9_EEEE10hipError_tPvRmT1_T2_T3_mT4_P12ihipStream_tbEUlT_E0_NS1_11comp_targetILNS1_3genE8ELNS1_11target_archE1030ELNS1_3gpuE2ELNS1_3repE0EEENS1_30default_config_static_selectorELNS0_4arch9wavefront6targetE1EEEvS14_ ; -- Begin function _ZN7rocprim17ROCPRIM_400000_NS6detail17trampoline_kernelINS0_14default_configENS1_22reduce_config_selectorIN6thrust23THRUST_200600_302600_NS5tupleIblNS6_9null_typeES8_S8_S8_S8_S8_S8_S8_EEEEZNS1_11reduce_implILb1ES3_NS6_12zip_iteratorINS7_INS6_11hip_rocprim26transform_input_iterator_tIbNSD_35transform_pair_of_input_iterators_tIbNS6_6detail15normal_iteratorINS6_10device_ptrIKiEEEESL_NS6_8equal_toIiEEEENSG_9not_fun_tINSD_8identityEEEEENSD_19counting_iterator_tIlEES8_S8_S8_S8_S8_S8_S8_S8_EEEEPS9_S9_NSD_9__find_if7functorIS9_EEEE10hipError_tPvRmT1_T2_T3_mT4_P12ihipStream_tbEUlT_E0_NS1_11comp_targetILNS1_3genE8ELNS1_11target_archE1030ELNS1_3gpuE2ELNS1_3repE0EEENS1_30default_config_static_selectorELNS0_4arch9wavefront6targetE1EEEvS14_
	.globl	_ZN7rocprim17ROCPRIM_400000_NS6detail17trampoline_kernelINS0_14default_configENS1_22reduce_config_selectorIN6thrust23THRUST_200600_302600_NS5tupleIblNS6_9null_typeES8_S8_S8_S8_S8_S8_S8_EEEEZNS1_11reduce_implILb1ES3_NS6_12zip_iteratorINS7_INS6_11hip_rocprim26transform_input_iterator_tIbNSD_35transform_pair_of_input_iterators_tIbNS6_6detail15normal_iteratorINS6_10device_ptrIKiEEEESL_NS6_8equal_toIiEEEENSG_9not_fun_tINSD_8identityEEEEENSD_19counting_iterator_tIlEES8_S8_S8_S8_S8_S8_S8_S8_EEEEPS9_S9_NSD_9__find_if7functorIS9_EEEE10hipError_tPvRmT1_T2_T3_mT4_P12ihipStream_tbEUlT_E0_NS1_11comp_targetILNS1_3genE8ELNS1_11target_archE1030ELNS1_3gpuE2ELNS1_3repE0EEENS1_30default_config_static_selectorELNS0_4arch9wavefront6targetE1EEEvS14_
	.p2align	8
	.type	_ZN7rocprim17ROCPRIM_400000_NS6detail17trampoline_kernelINS0_14default_configENS1_22reduce_config_selectorIN6thrust23THRUST_200600_302600_NS5tupleIblNS6_9null_typeES8_S8_S8_S8_S8_S8_S8_EEEEZNS1_11reduce_implILb1ES3_NS6_12zip_iteratorINS7_INS6_11hip_rocprim26transform_input_iterator_tIbNSD_35transform_pair_of_input_iterators_tIbNS6_6detail15normal_iteratorINS6_10device_ptrIKiEEEESL_NS6_8equal_toIiEEEENSG_9not_fun_tINSD_8identityEEEEENSD_19counting_iterator_tIlEES8_S8_S8_S8_S8_S8_S8_S8_EEEEPS9_S9_NSD_9__find_if7functorIS9_EEEE10hipError_tPvRmT1_T2_T3_mT4_P12ihipStream_tbEUlT_E0_NS1_11comp_targetILNS1_3genE8ELNS1_11target_archE1030ELNS1_3gpuE2ELNS1_3repE0EEENS1_30default_config_static_selectorELNS0_4arch9wavefront6targetE1EEEvS14_,@function
_ZN7rocprim17ROCPRIM_400000_NS6detail17trampoline_kernelINS0_14default_configENS1_22reduce_config_selectorIN6thrust23THRUST_200600_302600_NS5tupleIblNS6_9null_typeES8_S8_S8_S8_S8_S8_S8_EEEEZNS1_11reduce_implILb1ES3_NS6_12zip_iteratorINS7_INS6_11hip_rocprim26transform_input_iterator_tIbNSD_35transform_pair_of_input_iterators_tIbNS6_6detail15normal_iteratorINS6_10device_ptrIKiEEEESL_NS6_8equal_toIiEEEENSG_9not_fun_tINSD_8identityEEEEENSD_19counting_iterator_tIlEES8_S8_S8_S8_S8_S8_S8_S8_EEEEPS9_S9_NSD_9__find_if7functorIS9_EEEE10hipError_tPvRmT1_T2_T3_mT4_P12ihipStream_tbEUlT_E0_NS1_11comp_targetILNS1_3genE8ELNS1_11target_archE1030ELNS1_3gpuE2ELNS1_3repE0EEENS1_30default_config_static_selectorELNS0_4arch9wavefront6targetE1EEEvS14_: ; @_ZN7rocprim17ROCPRIM_400000_NS6detail17trampoline_kernelINS0_14default_configENS1_22reduce_config_selectorIN6thrust23THRUST_200600_302600_NS5tupleIblNS6_9null_typeES8_S8_S8_S8_S8_S8_S8_EEEEZNS1_11reduce_implILb1ES3_NS6_12zip_iteratorINS7_INS6_11hip_rocprim26transform_input_iterator_tIbNSD_35transform_pair_of_input_iterators_tIbNS6_6detail15normal_iteratorINS6_10device_ptrIKiEEEESL_NS6_8equal_toIiEEEENSG_9not_fun_tINSD_8identityEEEEENSD_19counting_iterator_tIlEES8_S8_S8_S8_S8_S8_S8_S8_EEEEPS9_S9_NSD_9__find_if7functorIS9_EEEE10hipError_tPvRmT1_T2_T3_mT4_P12ihipStream_tbEUlT_E0_NS1_11comp_targetILNS1_3genE8ELNS1_11target_archE1030ELNS1_3gpuE2ELNS1_3repE0EEENS1_30default_config_static_selectorELNS0_4arch9wavefront6targetE1EEEvS14_
; %bb.0:
	.section	.rodata,"a",@progbits
	.p2align	6, 0x0
	.amdhsa_kernel _ZN7rocprim17ROCPRIM_400000_NS6detail17trampoline_kernelINS0_14default_configENS1_22reduce_config_selectorIN6thrust23THRUST_200600_302600_NS5tupleIblNS6_9null_typeES8_S8_S8_S8_S8_S8_S8_EEEEZNS1_11reduce_implILb1ES3_NS6_12zip_iteratorINS7_INS6_11hip_rocprim26transform_input_iterator_tIbNSD_35transform_pair_of_input_iterators_tIbNS6_6detail15normal_iteratorINS6_10device_ptrIKiEEEESL_NS6_8equal_toIiEEEENSG_9not_fun_tINSD_8identityEEEEENSD_19counting_iterator_tIlEES8_S8_S8_S8_S8_S8_S8_S8_EEEEPS9_S9_NSD_9__find_if7functorIS9_EEEE10hipError_tPvRmT1_T2_T3_mT4_P12ihipStream_tbEUlT_E0_NS1_11comp_targetILNS1_3genE8ELNS1_11target_archE1030ELNS1_3gpuE2ELNS1_3repE0EEENS1_30default_config_static_selectorELNS0_4arch9wavefront6targetE1EEEvS14_
		.amdhsa_group_segment_fixed_size 0
		.amdhsa_private_segment_fixed_size 0
		.amdhsa_kernarg_size 104
		.amdhsa_user_sgpr_count 2
		.amdhsa_user_sgpr_dispatch_ptr 0
		.amdhsa_user_sgpr_queue_ptr 0
		.amdhsa_user_sgpr_kernarg_segment_ptr 1
		.amdhsa_user_sgpr_dispatch_id 0
		.amdhsa_user_sgpr_kernarg_preload_length 0
		.amdhsa_user_sgpr_kernarg_preload_offset 0
		.amdhsa_user_sgpr_private_segment_size 0
		.amdhsa_uses_dynamic_stack 0
		.amdhsa_enable_private_segment 0
		.amdhsa_system_sgpr_workgroup_id_x 1
		.amdhsa_system_sgpr_workgroup_id_y 0
		.amdhsa_system_sgpr_workgroup_id_z 0
		.amdhsa_system_sgpr_workgroup_info 0
		.amdhsa_system_vgpr_workitem_id 0
		.amdhsa_next_free_vgpr 1
		.amdhsa_next_free_sgpr 0
		.amdhsa_accum_offset 4
		.amdhsa_reserve_vcc 0
		.amdhsa_float_round_mode_32 0
		.amdhsa_float_round_mode_16_64 0
		.amdhsa_float_denorm_mode_32 3
		.amdhsa_float_denorm_mode_16_64 3
		.amdhsa_dx10_clamp 1
		.amdhsa_ieee_mode 1
		.amdhsa_fp16_overflow 0
		.amdhsa_tg_split 0
		.amdhsa_exception_fp_ieee_invalid_op 0
		.amdhsa_exception_fp_denorm_src 0
		.amdhsa_exception_fp_ieee_div_zero 0
		.amdhsa_exception_fp_ieee_overflow 0
		.amdhsa_exception_fp_ieee_underflow 0
		.amdhsa_exception_fp_ieee_inexact 0
		.amdhsa_exception_int_div_zero 0
	.end_amdhsa_kernel
	.section	.text._ZN7rocprim17ROCPRIM_400000_NS6detail17trampoline_kernelINS0_14default_configENS1_22reduce_config_selectorIN6thrust23THRUST_200600_302600_NS5tupleIblNS6_9null_typeES8_S8_S8_S8_S8_S8_S8_EEEEZNS1_11reduce_implILb1ES3_NS6_12zip_iteratorINS7_INS6_11hip_rocprim26transform_input_iterator_tIbNSD_35transform_pair_of_input_iterators_tIbNS6_6detail15normal_iteratorINS6_10device_ptrIKiEEEESL_NS6_8equal_toIiEEEENSG_9not_fun_tINSD_8identityEEEEENSD_19counting_iterator_tIlEES8_S8_S8_S8_S8_S8_S8_S8_EEEEPS9_S9_NSD_9__find_if7functorIS9_EEEE10hipError_tPvRmT1_T2_T3_mT4_P12ihipStream_tbEUlT_E0_NS1_11comp_targetILNS1_3genE8ELNS1_11target_archE1030ELNS1_3gpuE2ELNS1_3repE0EEENS1_30default_config_static_selectorELNS0_4arch9wavefront6targetE1EEEvS14_,"axG",@progbits,_ZN7rocprim17ROCPRIM_400000_NS6detail17trampoline_kernelINS0_14default_configENS1_22reduce_config_selectorIN6thrust23THRUST_200600_302600_NS5tupleIblNS6_9null_typeES8_S8_S8_S8_S8_S8_S8_EEEEZNS1_11reduce_implILb1ES3_NS6_12zip_iteratorINS7_INS6_11hip_rocprim26transform_input_iterator_tIbNSD_35transform_pair_of_input_iterators_tIbNS6_6detail15normal_iteratorINS6_10device_ptrIKiEEEESL_NS6_8equal_toIiEEEENSG_9not_fun_tINSD_8identityEEEEENSD_19counting_iterator_tIlEES8_S8_S8_S8_S8_S8_S8_S8_EEEEPS9_S9_NSD_9__find_if7functorIS9_EEEE10hipError_tPvRmT1_T2_T3_mT4_P12ihipStream_tbEUlT_E0_NS1_11comp_targetILNS1_3genE8ELNS1_11target_archE1030ELNS1_3gpuE2ELNS1_3repE0EEENS1_30default_config_static_selectorELNS0_4arch9wavefront6targetE1EEEvS14_,comdat
.Lfunc_end128:
	.size	_ZN7rocprim17ROCPRIM_400000_NS6detail17trampoline_kernelINS0_14default_configENS1_22reduce_config_selectorIN6thrust23THRUST_200600_302600_NS5tupleIblNS6_9null_typeES8_S8_S8_S8_S8_S8_S8_EEEEZNS1_11reduce_implILb1ES3_NS6_12zip_iteratorINS7_INS6_11hip_rocprim26transform_input_iterator_tIbNSD_35transform_pair_of_input_iterators_tIbNS6_6detail15normal_iteratorINS6_10device_ptrIKiEEEESL_NS6_8equal_toIiEEEENSG_9not_fun_tINSD_8identityEEEEENSD_19counting_iterator_tIlEES8_S8_S8_S8_S8_S8_S8_S8_EEEEPS9_S9_NSD_9__find_if7functorIS9_EEEE10hipError_tPvRmT1_T2_T3_mT4_P12ihipStream_tbEUlT_E0_NS1_11comp_targetILNS1_3genE8ELNS1_11target_archE1030ELNS1_3gpuE2ELNS1_3repE0EEENS1_30default_config_static_selectorELNS0_4arch9wavefront6targetE1EEEvS14_, .Lfunc_end128-_ZN7rocprim17ROCPRIM_400000_NS6detail17trampoline_kernelINS0_14default_configENS1_22reduce_config_selectorIN6thrust23THRUST_200600_302600_NS5tupleIblNS6_9null_typeES8_S8_S8_S8_S8_S8_S8_EEEEZNS1_11reduce_implILb1ES3_NS6_12zip_iteratorINS7_INS6_11hip_rocprim26transform_input_iterator_tIbNSD_35transform_pair_of_input_iterators_tIbNS6_6detail15normal_iteratorINS6_10device_ptrIKiEEEESL_NS6_8equal_toIiEEEENSG_9not_fun_tINSD_8identityEEEEENSD_19counting_iterator_tIlEES8_S8_S8_S8_S8_S8_S8_S8_EEEEPS9_S9_NSD_9__find_if7functorIS9_EEEE10hipError_tPvRmT1_T2_T3_mT4_P12ihipStream_tbEUlT_E0_NS1_11comp_targetILNS1_3genE8ELNS1_11target_archE1030ELNS1_3gpuE2ELNS1_3repE0EEENS1_30default_config_static_selectorELNS0_4arch9wavefront6targetE1EEEvS14_
                                        ; -- End function
	.section	.AMDGPU.csdata,"",@progbits
; Kernel info:
; codeLenInByte = 0
; NumSgprs: 6
; NumVgprs: 0
; NumAgprs: 0
; TotalNumVgprs: 0
; ScratchSize: 0
; MemoryBound: 0
; FloatMode: 240
; IeeeMode: 1
; LDSByteSize: 0 bytes/workgroup (compile time only)
; SGPRBlocks: 0
; VGPRBlocks: 0
; NumSGPRsForWavesPerEU: 6
; NumVGPRsForWavesPerEU: 1
; AccumOffset: 4
; Occupancy: 8
; WaveLimiterHint : 0
; COMPUTE_PGM_RSRC2:SCRATCH_EN: 0
; COMPUTE_PGM_RSRC2:USER_SGPR: 2
; COMPUTE_PGM_RSRC2:TRAP_HANDLER: 0
; COMPUTE_PGM_RSRC2:TGID_X_EN: 1
; COMPUTE_PGM_RSRC2:TGID_Y_EN: 0
; COMPUTE_PGM_RSRC2:TGID_Z_EN: 0
; COMPUTE_PGM_RSRC2:TIDIG_COMP_CNT: 0
; COMPUTE_PGM_RSRC3_GFX90A:ACCUM_OFFSET: 0
; COMPUTE_PGM_RSRC3_GFX90A:TG_SPLIT: 0
	.section	.text._ZN7rocprim17ROCPRIM_400000_NS6detail17trampoline_kernelINS0_14default_configENS1_22reduce_config_selectorIN6thrust23THRUST_200600_302600_NS5tupleIblNS6_9null_typeES8_S8_S8_S8_S8_S8_S8_EEEEZNS1_11reduce_implILb1ES3_NS6_12zip_iteratorINS7_INS6_11hip_rocprim26transform_input_iterator_tIbNSD_35transform_pair_of_input_iterators_tIbNS6_6detail15normal_iteratorINS6_10device_ptrIKiEEEESL_NS6_8equal_toIiEEEENSG_9not_fun_tINSD_8identityEEEEENSD_19counting_iterator_tIlEES8_S8_S8_S8_S8_S8_S8_S8_EEEEPS9_S9_NSD_9__find_if7functorIS9_EEEE10hipError_tPvRmT1_T2_T3_mT4_P12ihipStream_tbEUlT_E1_NS1_11comp_targetILNS1_3genE0ELNS1_11target_archE4294967295ELNS1_3gpuE0ELNS1_3repE0EEENS1_30default_config_static_selectorELNS0_4arch9wavefront6targetE1EEEvS14_,"axG",@progbits,_ZN7rocprim17ROCPRIM_400000_NS6detail17trampoline_kernelINS0_14default_configENS1_22reduce_config_selectorIN6thrust23THRUST_200600_302600_NS5tupleIblNS6_9null_typeES8_S8_S8_S8_S8_S8_S8_EEEEZNS1_11reduce_implILb1ES3_NS6_12zip_iteratorINS7_INS6_11hip_rocprim26transform_input_iterator_tIbNSD_35transform_pair_of_input_iterators_tIbNS6_6detail15normal_iteratorINS6_10device_ptrIKiEEEESL_NS6_8equal_toIiEEEENSG_9not_fun_tINSD_8identityEEEEENSD_19counting_iterator_tIlEES8_S8_S8_S8_S8_S8_S8_S8_EEEEPS9_S9_NSD_9__find_if7functorIS9_EEEE10hipError_tPvRmT1_T2_T3_mT4_P12ihipStream_tbEUlT_E1_NS1_11comp_targetILNS1_3genE0ELNS1_11target_archE4294967295ELNS1_3gpuE0ELNS1_3repE0EEENS1_30default_config_static_selectorELNS0_4arch9wavefront6targetE1EEEvS14_,comdat
	.protected	_ZN7rocprim17ROCPRIM_400000_NS6detail17trampoline_kernelINS0_14default_configENS1_22reduce_config_selectorIN6thrust23THRUST_200600_302600_NS5tupleIblNS6_9null_typeES8_S8_S8_S8_S8_S8_S8_EEEEZNS1_11reduce_implILb1ES3_NS6_12zip_iteratorINS7_INS6_11hip_rocprim26transform_input_iterator_tIbNSD_35transform_pair_of_input_iterators_tIbNS6_6detail15normal_iteratorINS6_10device_ptrIKiEEEESL_NS6_8equal_toIiEEEENSG_9not_fun_tINSD_8identityEEEEENSD_19counting_iterator_tIlEES8_S8_S8_S8_S8_S8_S8_S8_EEEEPS9_S9_NSD_9__find_if7functorIS9_EEEE10hipError_tPvRmT1_T2_T3_mT4_P12ihipStream_tbEUlT_E1_NS1_11comp_targetILNS1_3genE0ELNS1_11target_archE4294967295ELNS1_3gpuE0ELNS1_3repE0EEENS1_30default_config_static_selectorELNS0_4arch9wavefront6targetE1EEEvS14_ ; -- Begin function _ZN7rocprim17ROCPRIM_400000_NS6detail17trampoline_kernelINS0_14default_configENS1_22reduce_config_selectorIN6thrust23THRUST_200600_302600_NS5tupleIblNS6_9null_typeES8_S8_S8_S8_S8_S8_S8_EEEEZNS1_11reduce_implILb1ES3_NS6_12zip_iteratorINS7_INS6_11hip_rocprim26transform_input_iterator_tIbNSD_35transform_pair_of_input_iterators_tIbNS6_6detail15normal_iteratorINS6_10device_ptrIKiEEEESL_NS6_8equal_toIiEEEENSG_9not_fun_tINSD_8identityEEEEENSD_19counting_iterator_tIlEES8_S8_S8_S8_S8_S8_S8_S8_EEEEPS9_S9_NSD_9__find_if7functorIS9_EEEE10hipError_tPvRmT1_T2_T3_mT4_P12ihipStream_tbEUlT_E1_NS1_11comp_targetILNS1_3genE0ELNS1_11target_archE4294967295ELNS1_3gpuE0ELNS1_3repE0EEENS1_30default_config_static_selectorELNS0_4arch9wavefront6targetE1EEEvS14_
	.globl	_ZN7rocprim17ROCPRIM_400000_NS6detail17trampoline_kernelINS0_14default_configENS1_22reduce_config_selectorIN6thrust23THRUST_200600_302600_NS5tupleIblNS6_9null_typeES8_S8_S8_S8_S8_S8_S8_EEEEZNS1_11reduce_implILb1ES3_NS6_12zip_iteratorINS7_INS6_11hip_rocprim26transform_input_iterator_tIbNSD_35transform_pair_of_input_iterators_tIbNS6_6detail15normal_iteratorINS6_10device_ptrIKiEEEESL_NS6_8equal_toIiEEEENSG_9not_fun_tINSD_8identityEEEEENSD_19counting_iterator_tIlEES8_S8_S8_S8_S8_S8_S8_S8_EEEEPS9_S9_NSD_9__find_if7functorIS9_EEEE10hipError_tPvRmT1_T2_T3_mT4_P12ihipStream_tbEUlT_E1_NS1_11comp_targetILNS1_3genE0ELNS1_11target_archE4294967295ELNS1_3gpuE0ELNS1_3repE0EEENS1_30default_config_static_selectorELNS0_4arch9wavefront6targetE1EEEvS14_
	.p2align	8
	.type	_ZN7rocprim17ROCPRIM_400000_NS6detail17trampoline_kernelINS0_14default_configENS1_22reduce_config_selectorIN6thrust23THRUST_200600_302600_NS5tupleIblNS6_9null_typeES8_S8_S8_S8_S8_S8_S8_EEEEZNS1_11reduce_implILb1ES3_NS6_12zip_iteratorINS7_INS6_11hip_rocprim26transform_input_iterator_tIbNSD_35transform_pair_of_input_iterators_tIbNS6_6detail15normal_iteratorINS6_10device_ptrIKiEEEESL_NS6_8equal_toIiEEEENSG_9not_fun_tINSD_8identityEEEEENSD_19counting_iterator_tIlEES8_S8_S8_S8_S8_S8_S8_S8_EEEEPS9_S9_NSD_9__find_if7functorIS9_EEEE10hipError_tPvRmT1_T2_T3_mT4_P12ihipStream_tbEUlT_E1_NS1_11comp_targetILNS1_3genE0ELNS1_11target_archE4294967295ELNS1_3gpuE0ELNS1_3repE0EEENS1_30default_config_static_selectorELNS0_4arch9wavefront6targetE1EEEvS14_,@function
_ZN7rocprim17ROCPRIM_400000_NS6detail17trampoline_kernelINS0_14default_configENS1_22reduce_config_selectorIN6thrust23THRUST_200600_302600_NS5tupleIblNS6_9null_typeES8_S8_S8_S8_S8_S8_S8_EEEEZNS1_11reduce_implILb1ES3_NS6_12zip_iteratorINS7_INS6_11hip_rocprim26transform_input_iterator_tIbNSD_35transform_pair_of_input_iterators_tIbNS6_6detail15normal_iteratorINS6_10device_ptrIKiEEEESL_NS6_8equal_toIiEEEENSG_9not_fun_tINSD_8identityEEEEENSD_19counting_iterator_tIlEES8_S8_S8_S8_S8_S8_S8_S8_EEEEPS9_S9_NSD_9__find_if7functorIS9_EEEE10hipError_tPvRmT1_T2_T3_mT4_P12ihipStream_tbEUlT_E1_NS1_11comp_targetILNS1_3genE0ELNS1_11target_archE4294967295ELNS1_3gpuE0ELNS1_3repE0EEENS1_30default_config_static_selectorELNS0_4arch9wavefront6targetE1EEEvS14_: ; @_ZN7rocprim17ROCPRIM_400000_NS6detail17trampoline_kernelINS0_14default_configENS1_22reduce_config_selectorIN6thrust23THRUST_200600_302600_NS5tupleIblNS6_9null_typeES8_S8_S8_S8_S8_S8_S8_EEEEZNS1_11reduce_implILb1ES3_NS6_12zip_iteratorINS7_INS6_11hip_rocprim26transform_input_iterator_tIbNSD_35transform_pair_of_input_iterators_tIbNS6_6detail15normal_iteratorINS6_10device_ptrIKiEEEESL_NS6_8equal_toIiEEEENSG_9not_fun_tINSD_8identityEEEEENSD_19counting_iterator_tIlEES8_S8_S8_S8_S8_S8_S8_S8_EEEEPS9_S9_NSD_9__find_if7functorIS9_EEEE10hipError_tPvRmT1_T2_T3_mT4_P12ihipStream_tbEUlT_E1_NS1_11comp_targetILNS1_3genE0ELNS1_11target_archE4294967295ELNS1_3gpuE0ELNS1_3repE0EEENS1_30default_config_static_selectorELNS0_4arch9wavefront6targetE1EEEvS14_
; %bb.0:
	.section	.rodata,"a",@progbits
	.p2align	6, 0x0
	.amdhsa_kernel _ZN7rocprim17ROCPRIM_400000_NS6detail17trampoline_kernelINS0_14default_configENS1_22reduce_config_selectorIN6thrust23THRUST_200600_302600_NS5tupleIblNS6_9null_typeES8_S8_S8_S8_S8_S8_S8_EEEEZNS1_11reduce_implILb1ES3_NS6_12zip_iteratorINS7_INS6_11hip_rocprim26transform_input_iterator_tIbNSD_35transform_pair_of_input_iterators_tIbNS6_6detail15normal_iteratorINS6_10device_ptrIKiEEEESL_NS6_8equal_toIiEEEENSG_9not_fun_tINSD_8identityEEEEENSD_19counting_iterator_tIlEES8_S8_S8_S8_S8_S8_S8_S8_EEEEPS9_S9_NSD_9__find_if7functorIS9_EEEE10hipError_tPvRmT1_T2_T3_mT4_P12ihipStream_tbEUlT_E1_NS1_11comp_targetILNS1_3genE0ELNS1_11target_archE4294967295ELNS1_3gpuE0ELNS1_3repE0EEENS1_30default_config_static_selectorELNS0_4arch9wavefront6targetE1EEEvS14_
		.amdhsa_group_segment_fixed_size 0
		.amdhsa_private_segment_fixed_size 0
		.amdhsa_kernarg_size 88
		.amdhsa_user_sgpr_count 2
		.amdhsa_user_sgpr_dispatch_ptr 0
		.amdhsa_user_sgpr_queue_ptr 0
		.amdhsa_user_sgpr_kernarg_segment_ptr 1
		.amdhsa_user_sgpr_dispatch_id 0
		.amdhsa_user_sgpr_kernarg_preload_length 0
		.amdhsa_user_sgpr_kernarg_preload_offset 0
		.amdhsa_user_sgpr_private_segment_size 0
		.amdhsa_uses_dynamic_stack 0
		.amdhsa_enable_private_segment 0
		.amdhsa_system_sgpr_workgroup_id_x 1
		.amdhsa_system_sgpr_workgroup_id_y 0
		.amdhsa_system_sgpr_workgroup_id_z 0
		.amdhsa_system_sgpr_workgroup_info 0
		.amdhsa_system_vgpr_workitem_id 0
		.amdhsa_next_free_vgpr 1
		.amdhsa_next_free_sgpr 0
		.amdhsa_accum_offset 4
		.amdhsa_reserve_vcc 0
		.amdhsa_float_round_mode_32 0
		.amdhsa_float_round_mode_16_64 0
		.amdhsa_float_denorm_mode_32 3
		.amdhsa_float_denorm_mode_16_64 3
		.amdhsa_dx10_clamp 1
		.amdhsa_ieee_mode 1
		.amdhsa_fp16_overflow 0
		.amdhsa_tg_split 0
		.amdhsa_exception_fp_ieee_invalid_op 0
		.amdhsa_exception_fp_denorm_src 0
		.amdhsa_exception_fp_ieee_div_zero 0
		.amdhsa_exception_fp_ieee_overflow 0
		.amdhsa_exception_fp_ieee_underflow 0
		.amdhsa_exception_fp_ieee_inexact 0
		.amdhsa_exception_int_div_zero 0
	.end_amdhsa_kernel
	.section	.text._ZN7rocprim17ROCPRIM_400000_NS6detail17trampoline_kernelINS0_14default_configENS1_22reduce_config_selectorIN6thrust23THRUST_200600_302600_NS5tupleIblNS6_9null_typeES8_S8_S8_S8_S8_S8_S8_EEEEZNS1_11reduce_implILb1ES3_NS6_12zip_iteratorINS7_INS6_11hip_rocprim26transform_input_iterator_tIbNSD_35transform_pair_of_input_iterators_tIbNS6_6detail15normal_iteratorINS6_10device_ptrIKiEEEESL_NS6_8equal_toIiEEEENSG_9not_fun_tINSD_8identityEEEEENSD_19counting_iterator_tIlEES8_S8_S8_S8_S8_S8_S8_S8_EEEEPS9_S9_NSD_9__find_if7functorIS9_EEEE10hipError_tPvRmT1_T2_T3_mT4_P12ihipStream_tbEUlT_E1_NS1_11comp_targetILNS1_3genE0ELNS1_11target_archE4294967295ELNS1_3gpuE0ELNS1_3repE0EEENS1_30default_config_static_selectorELNS0_4arch9wavefront6targetE1EEEvS14_,"axG",@progbits,_ZN7rocprim17ROCPRIM_400000_NS6detail17trampoline_kernelINS0_14default_configENS1_22reduce_config_selectorIN6thrust23THRUST_200600_302600_NS5tupleIblNS6_9null_typeES8_S8_S8_S8_S8_S8_S8_EEEEZNS1_11reduce_implILb1ES3_NS6_12zip_iteratorINS7_INS6_11hip_rocprim26transform_input_iterator_tIbNSD_35transform_pair_of_input_iterators_tIbNS6_6detail15normal_iteratorINS6_10device_ptrIKiEEEESL_NS6_8equal_toIiEEEENSG_9not_fun_tINSD_8identityEEEEENSD_19counting_iterator_tIlEES8_S8_S8_S8_S8_S8_S8_S8_EEEEPS9_S9_NSD_9__find_if7functorIS9_EEEE10hipError_tPvRmT1_T2_T3_mT4_P12ihipStream_tbEUlT_E1_NS1_11comp_targetILNS1_3genE0ELNS1_11target_archE4294967295ELNS1_3gpuE0ELNS1_3repE0EEENS1_30default_config_static_selectorELNS0_4arch9wavefront6targetE1EEEvS14_,comdat
.Lfunc_end129:
	.size	_ZN7rocprim17ROCPRIM_400000_NS6detail17trampoline_kernelINS0_14default_configENS1_22reduce_config_selectorIN6thrust23THRUST_200600_302600_NS5tupleIblNS6_9null_typeES8_S8_S8_S8_S8_S8_S8_EEEEZNS1_11reduce_implILb1ES3_NS6_12zip_iteratorINS7_INS6_11hip_rocprim26transform_input_iterator_tIbNSD_35transform_pair_of_input_iterators_tIbNS6_6detail15normal_iteratorINS6_10device_ptrIKiEEEESL_NS6_8equal_toIiEEEENSG_9not_fun_tINSD_8identityEEEEENSD_19counting_iterator_tIlEES8_S8_S8_S8_S8_S8_S8_S8_EEEEPS9_S9_NSD_9__find_if7functorIS9_EEEE10hipError_tPvRmT1_T2_T3_mT4_P12ihipStream_tbEUlT_E1_NS1_11comp_targetILNS1_3genE0ELNS1_11target_archE4294967295ELNS1_3gpuE0ELNS1_3repE0EEENS1_30default_config_static_selectorELNS0_4arch9wavefront6targetE1EEEvS14_, .Lfunc_end129-_ZN7rocprim17ROCPRIM_400000_NS6detail17trampoline_kernelINS0_14default_configENS1_22reduce_config_selectorIN6thrust23THRUST_200600_302600_NS5tupleIblNS6_9null_typeES8_S8_S8_S8_S8_S8_S8_EEEEZNS1_11reduce_implILb1ES3_NS6_12zip_iteratorINS7_INS6_11hip_rocprim26transform_input_iterator_tIbNSD_35transform_pair_of_input_iterators_tIbNS6_6detail15normal_iteratorINS6_10device_ptrIKiEEEESL_NS6_8equal_toIiEEEENSG_9not_fun_tINSD_8identityEEEEENSD_19counting_iterator_tIlEES8_S8_S8_S8_S8_S8_S8_S8_EEEEPS9_S9_NSD_9__find_if7functorIS9_EEEE10hipError_tPvRmT1_T2_T3_mT4_P12ihipStream_tbEUlT_E1_NS1_11comp_targetILNS1_3genE0ELNS1_11target_archE4294967295ELNS1_3gpuE0ELNS1_3repE0EEENS1_30default_config_static_selectorELNS0_4arch9wavefront6targetE1EEEvS14_
                                        ; -- End function
	.section	.AMDGPU.csdata,"",@progbits
; Kernel info:
; codeLenInByte = 0
; NumSgprs: 6
; NumVgprs: 0
; NumAgprs: 0
; TotalNumVgprs: 0
; ScratchSize: 0
; MemoryBound: 0
; FloatMode: 240
; IeeeMode: 1
; LDSByteSize: 0 bytes/workgroup (compile time only)
; SGPRBlocks: 0
; VGPRBlocks: 0
; NumSGPRsForWavesPerEU: 6
; NumVGPRsForWavesPerEU: 1
; AccumOffset: 4
; Occupancy: 8
; WaveLimiterHint : 0
; COMPUTE_PGM_RSRC2:SCRATCH_EN: 0
; COMPUTE_PGM_RSRC2:USER_SGPR: 2
; COMPUTE_PGM_RSRC2:TRAP_HANDLER: 0
; COMPUTE_PGM_RSRC2:TGID_X_EN: 1
; COMPUTE_PGM_RSRC2:TGID_Y_EN: 0
; COMPUTE_PGM_RSRC2:TGID_Z_EN: 0
; COMPUTE_PGM_RSRC2:TIDIG_COMP_CNT: 0
; COMPUTE_PGM_RSRC3_GFX90A:ACCUM_OFFSET: 0
; COMPUTE_PGM_RSRC3_GFX90A:TG_SPLIT: 0
	.section	.text._ZN7rocprim17ROCPRIM_400000_NS6detail17trampoline_kernelINS0_14default_configENS1_22reduce_config_selectorIN6thrust23THRUST_200600_302600_NS5tupleIblNS6_9null_typeES8_S8_S8_S8_S8_S8_S8_EEEEZNS1_11reduce_implILb1ES3_NS6_12zip_iteratorINS7_INS6_11hip_rocprim26transform_input_iterator_tIbNSD_35transform_pair_of_input_iterators_tIbNS6_6detail15normal_iteratorINS6_10device_ptrIKiEEEESL_NS6_8equal_toIiEEEENSG_9not_fun_tINSD_8identityEEEEENSD_19counting_iterator_tIlEES8_S8_S8_S8_S8_S8_S8_S8_EEEEPS9_S9_NSD_9__find_if7functorIS9_EEEE10hipError_tPvRmT1_T2_T3_mT4_P12ihipStream_tbEUlT_E1_NS1_11comp_targetILNS1_3genE5ELNS1_11target_archE942ELNS1_3gpuE9ELNS1_3repE0EEENS1_30default_config_static_selectorELNS0_4arch9wavefront6targetE1EEEvS14_,"axG",@progbits,_ZN7rocprim17ROCPRIM_400000_NS6detail17trampoline_kernelINS0_14default_configENS1_22reduce_config_selectorIN6thrust23THRUST_200600_302600_NS5tupleIblNS6_9null_typeES8_S8_S8_S8_S8_S8_S8_EEEEZNS1_11reduce_implILb1ES3_NS6_12zip_iteratorINS7_INS6_11hip_rocprim26transform_input_iterator_tIbNSD_35transform_pair_of_input_iterators_tIbNS6_6detail15normal_iteratorINS6_10device_ptrIKiEEEESL_NS6_8equal_toIiEEEENSG_9not_fun_tINSD_8identityEEEEENSD_19counting_iterator_tIlEES8_S8_S8_S8_S8_S8_S8_S8_EEEEPS9_S9_NSD_9__find_if7functorIS9_EEEE10hipError_tPvRmT1_T2_T3_mT4_P12ihipStream_tbEUlT_E1_NS1_11comp_targetILNS1_3genE5ELNS1_11target_archE942ELNS1_3gpuE9ELNS1_3repE0EEENS1_30default_config_static_selectorELNS0_4arch9wavefront6targetE1EEEvS14_,comdat
	.protected	_ZN7rocprim17ROCPRIM_400000_NS6detail17trampoline_kernelINS0_14default_configENS1_22reduce_config_selectorIN6thrust23THRUST_200600_302600_NS5tupleIblNS6_9null_typeES8_S8_S8_S8_S8_S8_S8_EEEEZNS1_11reduce_implILb1ES3_NS6_12zip_iteratorINS7_INS6_11hip_rocprim26transform_input_iterator_tIbNSD_35transform_pair_of_input_iterators_tIbNS6_6detail15normal_iteratorINS6_10device_ptrIKiEEEESL_NS6_8equal_toIiEEEENSG_9not_fun_tINSD_8identityEEEEENSD_19counting_iterator_tIlEES8_S8_S8_S8_S8_S8_S8_S8_EEEEPS9_S9_NSD_9__find_if7functorIS9_EEEE10hipError_tPvRmT1_T2_T3_mT4_P12ihipStream_tbEUlT_E1_NS1_11comp_targetILNS1_3genE5ELNS1_11target_archE942ELNS1_3gpuE9ELNS1_3repE0EEENS1_30default_config_static_selectorELNS0_4arch9wavefront6targetE1EEEvS14_ ; -- Begin function _ZN7rocprim17ROCPRIM_400000_NS6detail17trampoline_kernelINS0_14default_configENS1_22reduce_config_selectorIN6thrust23THRUST_200600_302600_NS5tupleIblNS6_9null_typeES8_S8_S8_S8_S8_S8_S8_EEEEZNS1_11reduce_implILb1ES3_NS6_12zip_iteratorINS7_INS6_11hip_rocprim26transform_input_iterator_tIbNSD_35transform_pair_of_input_iterators_tIbNS6_6detail15normal_iteratorINS6_10device_ptrIKiEEEESL_NS6_8equal_toIiEEEENSG_9not_fun_tINSD_8identityEEEEENSD_19counting_iterator_tIlEES8_S8_S8_S8_S8_S8_S8_S8_EEEEPS9_S9_NSD_9__find_if7functorIS9_EEEE10hipError_tPvRmT1_T2_T3_mT4_P12ihipStream_tbEUlT_E1_NS1_11comp_targetILNS1_3genE5ELNS1_11target_archE942ELNS1_3gpuE9ELNS1_3repE0EEENS1_30default_config_static_selectorELNS0_4arch9wavefront6targetE1EEEvS14_
	.globl	_ZN7rocprim17ROCPRIM_400000_NS6detail17trampoline_kernelINS0_14default_configENS1_22reduce_config_selectorIN6thrust23THRUST_200600_302600_NS5tupleIblNS6_9null_typeES8_S8_S8_S8_S8_S8_S8_EEEEZNS1_11reduce_implILb1ES3_NS6_12zip_iteratorINS7_INS6_11hip_rocprim26transform_input_iterator_tIbNSD_35transform_pair_of_input_iterators_tIbNS6_6detail15normal_iteratorINS6_10device_ptrIKiEEEESL_NS6_8equal_toIiEEEENSG_9not_fun_tINSD_8identityEEEEENSD_19counting_iterator_tIlEES8_S8_S8_S8_S8_S8_S8_S8_EEEEPS9_S9_NSD_9__find_if7functorIS9_EEEE10hipError_tPvRmT1_T2_T3_mT4_P12ihipStream_tbEUlT_E1_NS1_11comp_targetILNS1_3genE5ELNS1_11target_archE942ELNS1_3gpuE9ELNS1_3repE0EEENS1_30default_config_static_selectorELNS0_4arch9wavefront6targetE1EEEvS14_
	.p2align	8
	.type	_ZN7rocprim17ROCPRIM_400000_NS6detail17trampoline_kernelINS0_14default_configENS1_22reduce_config_selectorIN6thrust23THRUST_200600_302600_NS5tupleIblNS6_9null_typeES8_S8_S8_S8_S8_S8_S8_EEEEZNS1_11reduce_implILb1ES3_NS6_12zip_iteratorINS7_INS6_11hip_rocprim26transform_input_iterator_tIbNSD_35transform_pair_of_input_iterators_tIbNS6_6detail15normal_iteratorINS6_10device_ptrIKiEEEESL_NS6_8equal_toIiEEEENSG_9not_fun_tINSD_8identityEEEEENSD_19counting_iterator_tIlEES8_S8_S8_S8_S8_S8_S8_S8_EEEEPS9_S9_NSD_9__find_if7functorIS9_EEEE10hipError_tPvRmT1_T2_T3_mT4_P12ihipStream_tbEUlT_E1_NS1_11comp_targetILNS1_3genE5ELNS1_11target_archE942ELNS1_3gpuE9ELNS1_3repE0EEENS1_30default_config_static_selectorELNS0_4arch9wavefront6targetE1EEEvS14_,@function
_ZN7rocprim17ROCPRIM_400000_NS6detail17trampoline_kernelINS0_14default_configENS1_22reduce_config_selectorIN6thrust23THRUST_200600_302600_NS5tupleIblNS6_9null_typeES8_S8_S8_S8_S8_S8_S8_EEEEZNS1_11reduce_implILb1ES3_NS6_12zip_iteratorINS7_INS6_11hip_rocprim26transform_input_iterator_tIbNSD_35transform_pair_of_input_iterators_tIbNS6_6detail15normal_iteratorINS6_10device_ptrIKiEEEESL_NS6_8equal_toIiEEEENSG_9not_fun_tINSD_8identityEEEEENSD_19counting_iterator_tIlEES8_S8_S8_S8_S8_S8_S8_S8_EEEEPS9_S9_NSD_9__find_if7functorIS9_EEEE10hipError_tPvRmT1_T2_T3_mT4_P12ihipStream_tbEUlT_E1_NS1_11comp_targetILNS1_3genE5ELNS1_11target_archE942ELNS1_3gpuE9ELNS1_3repE0EEENS1_30default_config_static_selectorELNS0_4arch9wavefront6targetE1EEEvS14_: ; @_ZN7rocprim17ROCPRIM_400000_NS6detail17trampoline_kernelINS0_14default_configENS1_22reduce_config_selectorIN6thrust23THRUST_200600_302600_NS5tupleIblNS6_9null_typeES8_S8_S8_S8_S8_S8_S8_EEEEZNS1_11reduce_implILb1ES3_NS6_12zip_iteratorINS7_INS6_11hip_rocprim26transform_input_iterator_tIbNSD_35transform_pair_of_input_iterators_tIbNS6_6detail15normal_iteratorINS6_10device_ptrIKiEEEESL_NS6_8equal_toIiEEEENSG_9not_fun_tINSD_8identityEEEEENSD_19counting_iterator_tIlEES8_S8_S8_S8_S8_S8_S8_S8_EEEEPS9_S9_NSD_9__find_if7functorIS9_EEEE10hipError_tPvRmT1_T2_T3_mT4_P12ihipStream_tbEUlT_E1_NS1_11comp_targetILNS1_3genE5ELNS1_11target_archE942ELNS1_3gpuE9ELNS1_3repE0EEENS1_30default_config_static_selectorELNS0_4arch9wavefront6targetE1EEEvS14_
; %bb.0:
	s_load_dword s54, s[0:1], 0x4
	s_load_dwordx4 s[40:43], s[0:1], 0x8
	s_load_dwordx4 s[36:39], s[0:1], 0x28
	s_load_dword s33, s[0:1], 0x40
	s_load_dwordx2 s[44:45], s[0:1], 0x48
	s_waitcnt lgkmcnt(0)
	s_cmp_lt_i32 s54, 4
	s_cbranch_scc1 .LBB130_22
; %bb.1:
	s_cmp_gt_i32 s54, 7
	s_cbranch_scc0 .LBB130_23
; %bb.2:
	s_cmp_gt_i32 s54, 15
	s_cbranch_scc0 .LBB130_24
; %bb.3:
	s_cmp_eq_u32 s54, 16
	s_mov_b64 s[46:47], 0
	s_cbranch_scc0 .LBB130_25
; %bb.4:
	s_mov_b32 s3, 0
	s_lshl_b32 s24, s2, 12
	s_mov_b32 s25, s3
	s_lshr_b64 s[4:5], s[38:39], 12
	s_lshl_b64 s[6:7], s[24:25], 2
	s_add_u32 s34, s40, s6
	s_addc_u32 s35, s41, s7
	s_add_u32 s48, s42, s6
	s_addc_u32 s49, s43, s7
	;; [unrolled: 2-line block ×3, first 2 shown]
	s_cmp_lg_u64 s[4:5], s[2:3]
	s_cbranch_scc0 .LBB130_46
; %bb.5:
	v_mov_b32_e32 v1, 0
	v_lshlrev_b32_e32 v2, 2, v0
	v_mov_b32_e32 v3, v1
	v_lshl_add_u64 v[4:5], s[34:35], 0, v[2:3]
	s_movk_i32 s4, 0x1000
	v_add_co_u32_e32 v8, vcc, s4, v4
	s_movk_i32 s5, 0x2000
	s_nop 0
	v_addc_co_u32_e32 v9, vcc, 0, v5, vcc
	global_load_dword v16, v2, s[34:35]
	global_load_dword v17, v2, s[34:35] offset:1024
	global_load_dword v18, v2, s[34:35] offset:2048
	;; [unrolled: 1-line block ×4, first 2 shown]
	v_add_co_u32_e32 v10, vcc, s5, v4
	v_lshl_add_u64 v[6:7], s[48:49], 0, v[2:3]
	s_nop 0
	v_addc_co_u32_e32 v11, vcc, 0, v5, vcc
	v_add_co_u32_e32 v12, vcc, s4, v6
	s_movk_i32 s4, 0x3000
	s_nop 0
	v_addc_co_u32_e32 v13, vcc, 0, v7, vcc
	v_add_co_u32_e32 v14, vcc, s5, v6
	s_mov_b64 s[6:7], 0xf00
	s_nop 0
	v_addc_co_u32_e32 v15, vcc, 0, v7, vcc
	global_load_dword v21, v[8:9], off offset:2048
	global_load_dword v22, v[12:13], off offset:2048
	global_load_dword v23, v[10:11], off offset:-4096
	global_load_dword v24, v[10:11], off
	global_load_dword v25, v[14:15], off offset:-4096
	global_load_dword v26, v[14:15], off
	global_load_dword v27, v[10:11], off offset:2048
	global_load_dword v28, v[14:15], off offset:2048
	v_add_co_u32_e32 v4, vcc, s4, v4
	s_waitcnt vmcnt(6)
	v_cmp_ne_u32_e64 s[8:9], v21, v22
	v_addc_co_u32_e32 v5, vcc, 0, v5, vcc
	v_add_co_u32_e32 v6, vcc, s4, v6
	s_mov_b64 s[4:5], 0xe00
	s_nop 0
	v_addc_co_u32_e32 v7, vcc, 0, v7, vcc
	global_load_dword v29, v[4:5], off
	global_load_dword v30, v[4:5], off offset:1024
	global_load_dword v31, v[4:5], off offset:2048
	;; [unrolled: 1-line block ×3, first 2 shown]
	global_load_dword v33, v[6:7], off
	global_load_dword v34, v[6:7], off offset:1024
	global_load_dword v35, v[6:7], off offset:2048
	;; [unrolled: 1-line block ×3, first 2 shown]
	global_load_dword v37, v2, s[48:49]
	global_load_dword v38, v2, s[48:49] offset:3072
	global_load_dword v39, v2, s[34:35] offset:3072
	global_load_dword v40, v[8:9], off offset:1024
	global_load_dword v41, v[12:13], off offset:1024
	;; [unrolled: 1-line block ×4, first 2 shown]
                                        ; kill: killed $vgpr12 killed $vgpr13
                                        ; kill: killed $vgpr2
                                        ; kill: killed $vgpr6 killed $vgpr7
                                        ; kill: killed $vgpr8 killed $vgpr9
                                        ; kill: killed $vgpr4 killed $vgpr5
	s_nop 0
	global_load_dword v8, v[10:11], off offset:1024
	global_load_dword v9, v[14:15], off offset:1024
	;; [unrolled: 1-line block ×4, first 2 shown]
	v_lshl_add_u64 v[2:3], s[50:51], 0, v[0:1]
	v_mov_b32_e32 v10, 0x200
	v_mov_b32_e32 v11, 0x100
	v_lshl_add_u64 v[4:5], v[2:3], 0, s[4:5]
	v_cmp_ne_u32_e64 s[4:5], v17, v19
	v_cmp_ne_u32_e32 vcc, v18, v20
	v_mov_b32_e32 v14, 0x300
	v_cndmask_b32_e64 v10, v10, v11, s[4:5]
	v_mov_b32_e32 v11, 0x400
	v_lshl_add_u64 v[6:7], v[2:3], 0, s[6:7]
	s_waitcnt vmcnt(22)
	v_cmp_ne_u32_e64 s[6:7], v23, v25
	s_waitcnt vmcnt(21)
	v_cmp_ne_u32_e64 s[10:11], v24, v26
	;; [unrolled: 2-line block ×8, first 2 shown]
	s_nop 1
	v_cndmask_b32_e64 v10, v10, 0, s[22:23]
	s_or_b64 s[22:23], s[22:23], s[4:5]
	s_waitcnt vmcnt(8)
	v_cmp_ne_u32_e64 s[4:5], v39, v38
	s_or_b64 vcc, s[22:23], vcc
	s_nop 0
	v_cndmask_b32_e64 v11, v11, v14, s[4:5]
	v_cndmask_b32_e32 v10, v11, v10, vcc
	s_or_b64 s[4:5], vcc, s[4:5]
	v_mov_b32_e32 v11, 0x600
	v_mov_b32_e32 v14, 0x500
	s_waitcnt vmcnt(6)
	v_cmp_ne_u32_e32 vcc, v40, v41
	s_or_b64 s[4:5], s[4:5], s[6:7]
	s_nop 0
	v_cndmask_b32_e32 v11, v11, v14, vcc
	v_cndmask_b32_e64 v10, v11, v10, s[4:5]
	s_or_b64 s[4:5], s[4:5], vcc
	v_mov_b32_e32 v11, 0x800
	v_mov_b32_e32 v14, 0x700
	s_waitcnt vmcnt(4)
	v_cmp_ne_u32_e32 vcc, v42, v43
	s_or_b64 s[4:5], s[4:5], s[8:9]
	s_nop 0
	v_cndmask_b32_e32 v11, v11, v14, vcc
	v_cndmask_b32_e64 v10, v11, v10, s[4:5]
	s_or_b64 s[4:5], s[4:5], vcc
	v_mov_b32_e32 v11, 0xa00
	v_mov_b32_e32 v14, 0x900
	s_waitcnt vmcnt(2)
	v_cmp_ne_u32_e32 vcc, v8, v9
	s_or_b64 s[4:5], s[4:5], s[10:11]
	v_mov_b32_e32 v9, 0xc00
	v_cndmask_b32_e32 v8, v11, v14, vcc
	v_cndmask_b32_e64 v8, v8, v10, s[4:5]
	s_or_b64 s[4:5], s[4:5], vcc
	v_mov_b32_e32 v10, 0xb00
	s_waitcnt vmcnt(0)
	v_cmp_ne_u32_e32 vcc, v12, v13
	s_or_b64 s[4:5], s[4:5], s[12:13]
	s_nop 0
	v_cndmask_b32_e32 v9, v9, v10, vcc
	v_cndmask_b32_e64 v8, v9, v8, s[4:5]
	s_or_b64 s[4:5], s[4:5], vcc
	v_mov_b32_e32 v9, 0xd00
	s_or_b64 vcc, s[4:5], s[14:15]
	v_cndmask_b32_e32 v8, v9, v8, vcc
	v_mov_b32_e32 v9, v1
	v_lshl_add_u64 v[2:3], v[8:9], 0, v[2:3]
	v_cmp_lt_i64_e64 s[4:5], v[4:5], v[2:3]
	s_and_b64 s[4:5], s[18:19], s[4:5]
	s_or_b64 vcc, vcc, s[16:17]
	v_cndmask_b32_e64 v1, v2, v4, s[4:5]
	v_cndmask_b32_e64 v2, v3, v5, s[4:5]
	v_cndmask_b32_e32 v3, v5, v2, vcc
	v_cndmask_b32_e32 v2, v4, v1, vcc
	v_cmp_lt_i64_e64 s[4:5], v[6:7], v[2:3]
	s_and_b64 s[4:5], s[20:21], s[4:5]
	s_or_b64 vcc, vcc, s[18:19]
	v_cndmask_b32_e64 v1, v2, v6, s[4:5]
	v_cndmask_b32_e64 v2, v3, v7, s[4:5]
	s_or_b64 s[4:5], vcc, s[20:21]
	v_cndmask_b32_e32 v3, v7, v2, vcc
	v_cndmask_b32_e32 v2, v6, v1, vcc
	v_cndmask_b32_e64 v1, 0, 1, s[4:5]
	v_mov_b32_dpp v5, v3 quad_perm:[1,0,3,2] row_mask:0xf bank_mask:0xf bound_ctrl:1
	v_mov_b32_dpp v4, v2 quad_perm:[1,0,3,2] row_mask:0xf bank_mask:0xf bound_ctrl:1
	;; [unrolled: 1-line block ×3, first 2 shown]
	v_and_b32_e32 v7, 1, v6
	v_cmp_eq_u32_e32 vcc, 1, v7
	s_and_saveexec_b64 s[6:7], vcc
; %bb.6:
	v_cmp_lt_i64_e32 vcc, v[2:3], v[4:5]
	v_cndmask_b32_e64 v6, v6, 1, s[4:5]
	s_and_b64 vcc, s[4:5], vcc
	v_cndmask_b32_e32 v2, v4, v2, vcc
	v_and_b32_e32 v4, 1, v6
	v_cndmask_b32_e32 v3, v5, v3, vcc
	v_cmp_eq_u32_e32 vcc, 1, v4
	s_andn2_b64 s[4:5], s[4:5], exec
	s_and_b64 s[8:9], vcc, exec
	v_and_b32_e32 v1, 0xff, v6
	s_or_b64 s[4:5], s[4:5], s[8:9]
; %bb.7:
	s_or_b64 exec, exec, s[6:7]
	v_mov_b32_dpp v6, v1 quad_perm:[2,3,0,1] row_mask:0xf bank_mask:0xf bound_ctrl:1
	v_and_b32_e32 v7, 1, v6
	v_mov_b32_dpp v4, v2 quad_perm:[2,3,0,1] row_mask:0xf bank_mask:0xf bound_ctrl:1
	v_mov_b32_dpp v5, v3 quad_perm:[2,3,0,1] row_mask:0xf bank_mask:0xf bound_ctrl:1
	v_cmp_eq_u32_e32 vcc, 1, v7
	s_and_saveexec_b64 s[6:7], vcc
; %bb.8:
	v_cmp_lt_i64_e32 vcc, v[2:3], v[4:5]
	v_cndmask_b32_e64 v6, v6, 1, s[4:5]
	s_and_b64 vcc, s[4:5], vcc
	v_cndmask_b32_e32 v2, v4, v2, vcc
	v_and_b32_e32 v4, 1, v6
	v_cndmask_b32_e32 v3, v5, v3, vcc
	v_cmp_eq_u32_e32 vcc, 1, v4
	s_andn2_b64 s[4:5], s[4:5], exec
	s_and_b64 s[8:9], vcc, exec
	v_and_b32_e32 v1, 0xff, v6
	s_or_b64 s[4:5], s[4:5], s[8:9]
; %bb.9:
	s_or_b64 exec, exec, s[6:7]
	v_mov_b32_dpp v6, v1 row_ror:4 row_mask:0xf bank_mask:0xf bound_ctrl:1
	v_and_b32_e32 v7, 1, v6
	v_mov_b32_dpp v4, v2 row_ror:4 row_mask:0xf bank_mask:0xf bound_ctrl:1
	v_mov_b32_dpp v5, v3 row_ror:4 row_mask:0xf bank_mask:0xf bound_ctrl:1
	v_cmp_eq_u32_e32 vcc, 1, v7
	s_and_saveexec_b64 s[6:7], vcc
; %bb.10:
	v_cmp_lt_i64_e32 vcc, v[2:3], v[4:5]
	v_cndmask_b32_e64 v6, v6, 1, s[4:5]
	s_and_b64 vcc, s[4:5], vcc
	v_cndmask_b32_e32 v2, v4, v2, vcc
	v_and_b32_e32 v4, 1, v6
	v_cndmask_b32_e32 v3, v5, v3, vcc
	v_cmp_eq_u32_e32 vcc, 1, v4
	s_andn2_b64 s[4:5], s[4:5], exec
	s_and_b64 s[8:9], vcc, exec
	v_and_b32_e32 v1, 0xff, v6
	s_or_b64 s[4:5], s[4:5], s[8:9]
; %bb.11:
	s_or_b64 exec, exec, s[6:7]
	v_mov_b32_dpp v6, v1 row_ror:8 row_mask:0xf bank_mask:0xf bound_ctrl:1
	v_and_b32_e32 v7, 1, v6
	v_mov_b32_dpp v4, v2 row_ror:8 row_mask:0xf bank_mask:0xf bound_ctrl:1
	v_mov_b32_dpp v5, v3 row_ror:8 row_mask:0xf bank_mask:0xf bound_ctrl:1
	v_cmp_eq_u32_e32 vcc, 1, v7
	s_and_saveexec_b64 s[6:7], vcc
; %bb.12:
	v_cmp_lt_i64_e32 vcc, v[2:3], v[4:5]
	v_cndmask_b32_e64 v6, v6, 1, s[4:5]
	s_and_b64 vcc, s[4:5], vcc
	v_cndmask_b32_e32 v2, v4, v2, vcc
	v_and_b32_e32 v4, 1, v6
	v_cndmask_b32_e32 v3, v5, v3, vcc
	v_cmp_eq_u32_e32 vcc, 1, v4
	s_andn2_b64 s[4:5], s[4:5], exec
	s_and_b64 s[8:9], vcc, exec
	v_and_b32_e32 v1, 0xff, v6
	s_or_b64 s[4:5], s[4:5], s[8:9]
; %bb.13:
	s_or_b64 exec, exec, s[6:7]
	v_mov_b32_dpp v6, v1 row_bcast:15 row_mask:0xf bank_mask:0xf bound_ctrl:1
	v_and_b32_e32 v7, 1, v6
	v_mov_b32_dpp v4, v2 row_bcast:15 row_mask:0xf bank_mask:0xf bound_ctrl:1
	v_mov_b32_dpp v5, v3 row_bcast:15 row_mask:0xf bank_mask:0xf bound_ctrl:1
	v_cmp_eq_u32_e32 vcc, 1, v7
	s_and_saveexec_b64 s[6:7], vcc
; %bb.14:
	v_cmp_lt_i64_e32 vcc, v[2:3], v[4:5]
	v_cndmask_b32_e64 v6, v6, 1, s[4:5]
	s_and_b64 vcc, s[4:5], vcc
	v_cndmask_b32_e32 v2, v4, v2, vcc
	v_and_b32_e32 v4, 1, v6
	v_cndmask_b32_e32 v3, v5, v3, vcc
	v_cmp_eq_u32_e32 vcc, 1, v4
	s_andn2_b64 s[4:5], s[4:5], exec
	s_and_b64 s[8:9], vcc, exec
	v_and_b32_e32 v1, 0xff, v6
	s_or_b64 s[4:5], s[4:5], s[8:9]
; %bb.15:
	s_or_b64 exec, exec, s[6:7]
	v_mov_b32_dpp v6, v1 row_bcast:31 row_mask:0xf bank_mask:0xf bound_ctrl:1
	v_and_b32_e32 v7, 1, v6
	v_mov_b32_dpp v4, v2 row_bcast:31 row_mask:0xf bank_mask:0xf bound_ctrl:1
	v_mov_b32_dpp v5, v3 row_bcast:31 row_mask:0xf bank_mask:0xf bound_ctrl:1
	v_cmp_eq_u32_e32 vcc, 1, v7
	s_and_saveexec_b64 s[6:7], vcc
; %bb.16:
	v_cmp_lt_i64_e32 vcc, v[2:3], v[4:5]
	v_and_b32_e32 v1, 0xff, v6
	s_and_b64 vcc, s[4:5], vcc
	v_cndmask_b32_e32 v2, v4, v2, vcc
	v_cndmask_b32_e32 v3, v5, v3, vcc
	v_cndmask_b32_e64 v1, v1, 1, s[4:5]
; %bb.17:
	s_or_b64 exec, exec, s[6:7]
	v_mbcnt_lo_u32_b32 v4, -1, 0
	v_mbcnt_hi_u32_b32 v4, -1, v4
	v_bfrev_b32_e32 v5, 0.5
	v_lshl_or_b32 v5, v4, 2, v5
	ds_bpermute_b32 v7, v5, v1
	ds_bpermute_b32 v2, v5, v2
	;; [unrolled: 1-line block ×3, first 2 shown]
	v_cmp_eq_u32_e32 vcc, 0, v4
	s_and_saveexec_b64 s[4:5], vcc
	s_cbranch_execz .LBB130_19
; %bb.18:
	v_lshrrev_b32_e32 v1, 2, v0
	v_and_b32_e32 v1, 48, v1
	s_waitcnt lgkmcnt(2)
	ds_write_b8 v1, v7
	s_waitcnt lgkmcnt(1)
	ds_write_b64 v1, v[2:3] offset:8
.LBB130_19:
	s_or_b64 exec, exec, s[4:5]
	v_cmp_gt_u32_e32 vcc, 64, v0
	s_waitcnt lgkmcnt(0)
	s_barrier
	s_and_saveexec_b64 s[6:7], vcc
	s_cbranch_execz .LBB130_21
; %bb.20:
	v_and_b32_e32 v1, 3, v4
	v_lshlrev_b32_e32 v2, 4, v1
	ds_read_u8 v5, v2
	ds_read_b64 v[2:3], v2 offset:8
	v_cmp_ne_u32_e32 vcc, 3, v1
	s_waitcnt lgkmcnt(1)
	v_and_b32_e32 v7, 0xff, v5
	v_addc_co_u32_e32 v6, vcc, 0, v4, vcc
	v_lshlrev_b32_e32 v8, 2, v6
	ds_bpermute_b32 v9, v8, v7
	s_waitcnt lgkmcnt(1)
	ds_bpermute_b32 v6, v8, v2
	ds_bpermute_b32 v7, v8, v3
	v_and_b32_e32 v8, 1, v5
	s_waitcnt lgkmcnt(2)
	v_and_b32_e32 v10, 1, v9
	v_cmp_eq_u32_e64 s[4:5], 1, v10
	s_waitcnt lgkmcnt(0)
	v_cmp_lt_i64_e32 vcc, v[6:7], v[2:3]
	s_and_b64 vcc, s[4:5], vcc
	v_cndmask_b32_e64 v5, v5, 1, s[4:5]
	v_cndmask_b32_e32 v2, v2, v6, vcc
	v_cndmask_b32_e32 v3, v3, v7, vcc
	v_cmp_eq_u32_e32 vcc, 1, v8
	s_nop 1
	v_cndmask_b32_e32 v8, v9, v5, vcc
	v_cndmask_b32_e32 v3, v7, v3, vcc
	;; [unrolled: 1-line block ×3, first 2 shown]
	v_cmp_gt_u32_e32 vcc, 2, v1
	v_and_b32_e32 v5, 0xff, v8
	s_nop 0
	v_cndmask_b32_e64 v1, 0, 1, vcc
	v_lshlrev_b32_e32 v1, 1, v1
	v_add_lshl_u32 v1, v1, v4, 2
	ds_bpermute_b32 v6, v1, v5
	ds_bpermute_b32 v4, v1, v2
	ds_bpermute_b32 v5, v1, v3
	v_and_b32_e32 v1, 1, v8
	s_waitcnt lgkmcnt(2)
	v_and_b32_e32 v7, 1, v6
	v_cmp_eq_u32_e64 s[4:5], 1, v7
	s_waitcnt lgkmcnt(0)
	v_cmp_lt_i64_e32 vcc, v[4:5], v[2:3]
	s_and_b64 vcc, s[4:5], vcc
	v_cndmask_b32_e64 v7, v8, 1, s[4:5]
	v_cndmask_b32_e32 v2, v2, v4, vcc
	v_cndmask_b32_e32 v3, v3, v5, vcc
	v_cmp_eq_u32_e32 vcc, 1, v1
	s_nop 1
	v_cndmask_b32_e32 v1, v6, v7, vcc
	v_cndmask_b32_e32 v3, v5, v3, vcc
	;; [unrolled: 1-line block ×3, first 2 shown]
	v_and_b32_e32 v7, 0xff, v1
.LBB130_21:
	s_or_b64 exec, exec, s[6:7]
	s_mov_b64 s[4:5], 0
	s_branch .LBB130_47
.LBB130_22:
	s_mov_b64 s[18:19], 0
                                        ; implicit-def: $vgpr4_vgpr5
                                        ; implicit-def: $vgpr1
	s_cbranch_execnz .LBB130_232
	s_branch .LBB130_307
.LBB130_23:
	s_mov_b64 s[18:19], 0
                                        ; implicit-def: $vgpr4_vgpr5
                                        ; implicit-def: $vgpr1
	s_cbranch_execnz .LBB130_173
	s_branch .LBB130_193
.LBB130_24:
	s_mov_b64 s[46:47], -1
.LBB130_25:
	s_mov_b64 s[18:19], 0
                                        ; implicit-def: $vgpr4_vgpr5
                                        ; implicit-def: $vgpr1
	s_and_b64 vcc, exec, s[46:47]
	s_cbranch_vccz .LBB130_121
.LBB130_26:
	s_cmp_eq_u32 s54, 8
	s_cbranch_scc0 .LBB130_45
; %bb.27:
	s_mov_b32 s3, 0
	s_lshl_b32 s12, s2, 11
	s_mov_b32 s13, s3
	s_lshr_b64 s[4:5], s[38:39], 11
	s_lshl_b64 s[6:7], s[12:13], 2
	s_add_u32 s16, s40, s6
	s_addc_u32 s17, s41, s7
	s_add_u32 s20, s42, s6
	s_addc_u32 s21, s43, s7
	;; [unrolled: 2-line block ×3, first 2 shown]
	s_cmp_lg_u64 s[4:5], s[2:3]
	s_cbranch_scc0 .LBB130_122
; %bb.28:
	v_mov_b32_e32 v1, 0
	v_lshlrev_b32_e32 v2, 2, v0
	v_mov_b32_e32 v3, v1
	s_waitcnt lgkmcnt(0)
	v_lshl_add_u64 v[4:5], s[16:17], 0, v[2:3]
	s_movk_i32 s4, 0x1000
	v_lshl_add_u64 v[6:7], s[20:21], 0, v[2:3]
	global_load_dword v8, v2, s[16:17]
	global_load_dword v9, v2, s[16:17] offset:1024
	global_load_dword v10, v2, s[16:17] offset:2048
	;; [unrolled: 1-line block ×5, first 2 shown]
	global_load_dword v14, v2, s[20:21]
	global_load_dword v15, v2, s[16:17] offset:3072
	v_add_co_u32_e32 v2, vcc, s4, v4
	v_mov_b32_e32 v22, 0x100
	s_nop 0
	v_addc_co_u32_e32 v3, vcc, 0, v5, vcc
	v_add_co_u32_e32 v4, vcc, s4, v6
	global_load_dword v16, v[2:3], off
	s_nop 0
	v_addc_co_u32_e32 v5, vcc, 0, v7, vcc
	global_load_dword v6, v[4:5], off
	global_load_dword v7, v[2:3], off offset:2048
	global_load_dword v17, v[2:3], off offset:3072
	global_load_dword v18, v[4:5], off offset:2048
	global_load_dword v19, v[4:5], off offset:3072
	global_load_dword v20, v[2:3], off offset:1024
	global_load_dword v21, v[4:5], off offset:1024
	v_mov_b32_e32 v4, 0x200
	v_mov_b32_e32 v23, 0x400
	;; [unrolled: 1-line block ×3, first 2 shown]
	v_lshl_add_u64 v[2:3], s[22:23], 0, v[0:1]
	v_mov_b32_e32 v5, v1
	v_mov_b32_e32 v25, 0x600
	;; [unrolled: 1-line block ×4, first 2 shown]
	s_waitcnt vmcnt(12)
	v_cmp_ne_u32_e64 s[4:5], v9, v11
	s_waitcnt vmcnt(11)
	v_cmp_ne_u32_e32 vcc, v10, v12
	v_cndmask_b32_e64 v1, v4, v22, s[4:5]
	s_waitcnt vmcnt(9)
	v_cmp_ne_u32_e64 s[8:9], v8, v14
	s_waitcnt vmcnt(8)
	v_cmp_ne_u32_e64 s[6:7], v15, v13
	s_or_b64 s[4:5], s[8:9], s[4:5]
	v_cndmask_b32_e64 v1, v1, 0, s[8:9]
	v_cndmask_b32_e64 v4, v23, v24, s[6:7]
	s_or_b64 vcc, s[4:5], vcc
	v_cndmask_b32_e32 v1, v4, v1, vcc
	s_or_b64 s[6:7], vcc, s[6:7]
	s_waitcnt vmcnt(6)
	v_cmp_ne_u32_e64 s[4:5], v16, v6
	s_or_b64 s[4:5], s[6:7], s[4:5]
	s_waitcnt vmcnt(3)
	v_cmp_ne_u32_e64 s[8:9], v7, v18
	s_waitcnt vmcnt(0)
	v_cmp_ne_u32_e32 vcc, v20, v21
	v_cmp_ne_u32_e64 s[10:11], v17, v19
	s_nop 0
	v_cndmask_b32_e32 v4, v25, v26, vcc
	v_cndmask_b32_e64 v1, v4, v1, s[4:5]
	s_or_b64 s[4:5], s[4:5], vcc
	s_or_b64 vcc, s[4:5], s[8:9]
	s_or_b64 s[4:5], vcc, s[10:11]
	v_cndmask_b32_e32 v4, v27, v1, vcc
	v_cndmask_b32_e64 v1, 0, 1, s[4:5]
	v_lshl_add_u64 v[2:3], v[2:3], 0, v[4:5]
	s_nop 0
	v_mov_b32_dpp v6, v1 quad_perm:[1,0,3,2] row_mask:0xf bank_mask:0xf bound_ctrl:1
	v_and_b32_e32 v7, 1, v6
	v_mov_b32_dpp v4, v2 quad_perm:[1,0,3,2] row_mask:0xf bank_mask:0xf bound_ctrl:1
	v_mov_b32_dpp v5, v3 quad_perm:[1,0,3,2] row_mask:0xf bank_mask:0xf bound_ctrl:1
	v_cmp_eq_u32_e32 vcc, 1, v7
	s_and_saveexec_b64 s[6:7], vcc
; %bb.29:
	v_cmp_lt_i64_e32 vcc, v[2:3], v[4:5]
	v_cndmask_b32_e64 v6, v6, 1, s[4:5]
	s_and_b64 vcc, s[4:5], vcc
	v_cndmask_b32_e32 v2, v4, v2, vcc
	v_and_b32_e32 v4, 1, v6
	v_cndmask_b32_e32 v3, v5, v3, vcc
	v_cmp_eq_u32_e32 vcc, 1, v4
	s_andn2_b64 s[4:5], s[4:5], exec
	s_and_b64 s[8:9], vcc, exec
	v_and_b32_e32 v1, 0xff, v6
	s_or_b64 s[4:5], s[4:5], s[8:9]
; %bb.30:
	s_or_b64 exec, exec, s[6:7]
	v_mov_b32_dpp v6, v1 quad_perm:[2,3,0,1] row_mask:0xf bank_mask:0xf bound_ctrl:1
	v_and_b32_e32 v7, 1, v6
	v_mov_b32_dpp v4, v2 quad_perm:[2,3,0,1] row_mask:0xf bank_mask:0xf bound_ctrl:1
	v_mov_b32_dpp v5, v3 quad_perm:[2,3,0,1] row_mask:0xf bank_mask:0xf bound_ctrl:1
	v_cmp_eq_u32_e32 vcc, 1, v7
	s_and_saveexec_b64 s[6:7], vcc
; %bb.31:
	v_cmp_lt_i64_e32 vcc, v[2:3], v[4:5]
	v_cndmask_b32_e64 v6, v6, 1, s[4:5]
	s_and_b64 vcc, s[4:5], vcc
	v_cndmask_b32_e32 v2, v4, v2, vcc
	v_and_b32_e32 v4, 1, v6
	v_cndmask_b32_e32 v3, v5, v3, vcc
	v_cmp_eq_u32_e32 vcc, 1, v4
	s_andn2_b64 s[4:5], s[4:5], exec
	s_and_b64 s[8:9], vcc, exec
	v_and_b32_e32 v1, 0xff, v6
	s_or_b64 s[4:5], s[4:5], s[8:9]
; %bb.32:
	s_or_b64 exec, exec, s[6:7]
	v_mov_b32_dpp v6, v1 row_ror:4 row_mask:0xf bank_mask:0xf bound_ctrl:1
	v_and_b32_e32 v7, 1, v6
	v_mov_b32_dpp v4, v2 row_ror:4 row_mask:0xf bank_mask:0xf bound_ctrl:1
	v_mov_b32_dpp v5, v3 row_ror:4 row_mask:0xf bank_mask:0xf bound_ctrl:1
	v_cmp_eq_u32_e32 vcc, 1, v7
	s_and_saveexec_b64 s[6:7], vcc
; %bb.33:
	v_cmp_lt_i64_e32 vcc, v[2:3], v[4:5]
	v_cndmask_b32_e64 v6, v6, 1, s[4:5]
	s_and_b64 vcc, s[4:5], vcc
	v_cndmask_b32_e32 v2, v4, v2, vcc
	v_and_b32_e32 v4, 1, v6
	v_cndmask_b32_e32 v3, v5, v3, vcc
	v_cmp_eq_u32_e32 vcc, 1, v4
	s_andn2_b64 s[4:5], s[4:5], exec
	s_and_b64 s[8:9], vcc, exec
	v_and_b32_e32 v1, 0xff, v6
	s_or_b64 s[4:5], s[4:5], s[8:9]
; %bb.34:
	s_or_b64 exec, exec, s[6:7]
	v_mov_b32_dpp v6, v1 row_ror:8 row_mask:0xf bank_mask:0xf bound_ctrl:1
	v_and_b32_e32 v7, 1, v6
	v_mov_b32_dpp v4, v2 row_ror:8 row_mask:0xf bank_mask:0xf bound_ctrl:1
	v_mov_b32_dpp v5, v3 row_ror:8 row_mask:0xf bank_mask:0xf bound_ctrl:1
	v_cmp_eq_u32_e32 vcc, 1, v7
	s_and_saveexec_b64 s[6:7], vcc
; %bb.35:
	v_cmp_lt_i64_e32 vcc, v[2:3], v[4:5]
	v_cndmask_b32_e64 v6, v6, 1, s[4:5]
	s_and_b64 vcc, s[4:5], vcc
	v_cndmask_b32_e32 v2, v4, v2, vcc
	v_and_b32_e32 v4, 1, v6
	v_cndmask_b32_e32 v3, v5, v3, vcc
	v_cmp_eq_u32_e32 vcc, 1, v4
	s_andn2_b64 s[4:5], s[4:5], exec
	s_and_b64 s[8:9], vcc, exec
	v_and_b32_e32 v1, 0xff, v6
	s_or_b64 s[4:5], s[4:5], s[8:9]
; %bb.36:
	s_or_b64 exec, exec, s[6:7]
	v_mov_b32_dpp v6, v1 row_bcast:15 row_mask:0xf bank_mask:0xf bound_ctrl:1
	v_and_b32_e32 v7, 1, v6
	v_mov_b32_dpp v4, v2 row_bcast:15 row_mask:0xf bank_mask:0xf bound_ctrl:1
	v_mov_b32_dpp v5, v3 row_bcast:15 row_mask:0xf bank_mask:0xf bound_ctrl:1
	v_cmp_eq_u32_e32 vcc, 1, v7
	s_and_saveexec_b64 s[6:7], vcc
; %bb.37:
	v_cmp_lt_i64_e32 vcc, v[2:3], v[4:5]
	v_cndmask_b32_e64 v6, v6, 1, s[4:5]
	s_and_b64 vcc, s[4:5], vcc
	v_cndmask_b32_e32 v2, v4, v2, vcc
	v_and_b32_e32 v4, 1, v6
	v_cndmask_b32_e32 v3, v5, v3, vcc
	v_cmp_eq_u32_e32 vcc, 1, v4
	s_andn2_b64 s[4:5], s[4:5], exec
	s_and_b64 s[8:9], vcc, exec
	v_and_b32_e32 v1, 0xff, v6
	s_or_b64 s[4:5], s[4:5], s[8:9]
; %bb.38:
	s_or_b64 exec, exec, s[6:7]
	v_mov_b32_dpp v6, v1 row_bcast:31 row_mask:0xf bank_mask:0xf bound_ctrl:1
	v_and_b32_e32 v7, 1, v6
	v_mov_b32_dpp v4, v2 row_bcast:31 row_mask:0xf bank_mask:0xf bound_ctrl:1
	v_mov_b32_dpp v5, v3 row_bcast:31 row_mask:0xf bank_mask:0xf bound_ctrl:1
	v_cmp_eq_u32_e32 vcc, 1, v7
	s_and_saveexec_b64 s[6:7], vcc
; %bb.39:
	v_cmp_lt_i64_e32 vcc, v[2:3], v[4:5]
	v_and_b32_e32 v1, 0xff, v6
	s_and_b64 vcc, s[4:5], vcc
	v_cndmask_b32_e32 v2, v4, v2, vcc
	v_cndmask_b32_e32 v3, v5, v3, vcc
	v_cndmask_b32_e64 v1, v1, 1, s[4:5]
; %bb.40:
	s_or_b64 exec, exec, s[6:7]
	v_mbcnt_lo_u32_b32 v4, -1, 0
	v_mbcnt_hi_u32_b32 v4, -1, v4
	v_bfrev_b32_e32 v5, 0.5
	v_lshl_or_b32 v5, v4, 2, v5
	ds_bpermute_b32 v7, v5, v1
	ds_bpermute_b32 v2, v5, v2
	;; [unrolled: 1-line block ×3, first 2 shown]
	v_cmp_eq_u32_e32 vcc, 0, v4
	s_and_saveexec_b64 s[4:5], vcc
	s_cbranch_execz .LBB130_42
; %bb.41:
	v_lshrrev_b32_e32 v1, 2, v0
	v_and_b32_e32 v1, 48, v1
	s_waitcnt lgkmcnt(2)
	ds_write_b8 v1, v7 offset:256
	s_waitcnt lgkmcnt(1)
	ds_write_b64 v1, v[2:3] offset:264
.LBB130_42:
	s_or_b64 exec, exec, s[4:5]
	v_cmp_gt_u32_e32 vcc, 64, v0
	s_waitcnt lgkmcnt(0)
	s_barrier
	s_and_saveexec_b64 s[6:7], vcc
	s_cbranch_execz .LBB130_44
; %bb.43:
	v_and_b32_e32 v1, 3, v4
	v_lshlrev_b32_e32 v2, 4, v1
	ds_read_u8 v5, v2 offset:256
	ds_read_b64 v[2:3], v2 offset:264
	v_cmp_ne_u32_e32 vcc, 3, v1
	s_waitcnt lgkmcnt(1)
	v_and_b32_e32 v7, 0xff, v5
	v_addc_co_u32_e32 v6, vcc, 0, v4, vcc
	v_lshlrev_b32_e32 v8, 2, v6
	ds_bpermute_b32 v9, v8, v7
	s_waitcnt lgkmcnt(1)
	ds_bpermute_b32 v6, v8, v2
	ds_bpermute_b32 v7, v8, v3
	v_and_b32_e32 v8, 1, v5
	s_waitcnt lgkmcnt(2)
	v_and_b32_e32 v10, 1, v9
	v_cmp_eq_u32_e64 s[4:5], 1, v10
	s_waitcnt lgkmcnt(0)
	v_cmp_lt_i64_e32 vcc, v[6:7], v[2:3]
	s_and_b64 vcc, s[4:5], vcc
	v_cndmask_b32_e64 v5, v5, 1, s[4:5]
	v_cndmask_b32_e32 v2, v2, v6, vcc
	v_cndmask_b32_e32 v3, v3, v7, vcc
	v_cmp_eq_u32_e32 vcc, 1, v8
	s_nop 1
	v_cndmask_b32_e32 v8, v9, v5, vcc
	v_cndmask_b32_e32 v3, v7, v3, vcc
	;; [unrolled: 1-line block ×3, first 2 shown]
	v_cmp_gt_u32_e32 vcc, 2, v1
	v_and_b32_e32 v5, 0xff, v8
	s_nop 0
	v_cndmask_b32_e64 v1, 0, 1, vcc
	v_lshlrev_b32_e32 v1, 1, v1
	v_add_lshl_u32 v1, v1, v4, 2
	ds_bpermute_b32 v6, v1, v5
	ds_bpermute_b32 v4, v1, v2
	;; [unrolled: 1-line block ×3, first 2 shown]
	v_and_b32_e32 v1, 1, v8
	s_waitcnt lgkmcnt(2)
	v_and_b32_e32 v7, 1, v6
	v_cmp_eq_u32_e64 s[4:5], 1, v7
	s_waitcnt lgkmcnt(0)
	v_cmp_lt_i64_e32 vcc, v[4:5], v[2:3]
	s_and_b64 vcc, s[4:5], vcc
	v_cndmask_b32_e64 v7, v8, 1, s[4:5]
	v_cndmask_b32_e32 v2, v2, v4, vcc
	v_cndmask_b32_e32 v3, v3, v5, vcc
	v_cmp_eq_u32_e32 vcc, 1, v1
	s_nop 1
	v_cndmask_b32_e32 v1, v6, v7, vcc
	v_cndmask_b32_e32 v3, v5, v3, vcc
	;; [unrolled: 1-line block ×3, first 2 shown]
	v_and_b32_e32 v7, 0xff, v1
.LBB130_44:
	s_or_b64 exec, exec, s[6:7]
	s_mov_b64 s[4:5], 0
	s_branch .LBB130_123
.LBB130_45:
                                        ; implicit-def: $vgpr4_vgpr5
                                        ; implicit-def: $vgpr1
	s_branch .LBB130_193
.LBB130_46:
	s_mov_b64 s[4:5], -1
                                        ; implicit-def: $vgpr2_vgpr3
                                        ; implicit-def: $vgpr7
.LBB130_47:
	s_and_b64 vcc, exec, s[4:5]
	s_cbranch_vccz .LBB130_116
; %bb.48:
	s_sub_i32 s55, s38, s24
	v_mov_b64_e32 v[18:19], 0
	v_cmp_gt_u32_e32 vcc, s55, v0
	v_mov_b32_e32 v43, 0
	v_mov_b64_e32 v[2:3], v[18:19]
	v_mov_b32_e32 v1, 0
	s_and_saveexec_b64 s[4:5], vcc
	s_cbranch_execz .LBB130_50
; %bb.49:
	v_lshlrev_b32_e32 v1, 2, v0
	global_load_dword v4, v1, s[34:35]
	global_load_dword v5, v1, s[48:49]
	v_mov_b32_e32 v1, 0
	v_lshl_add_u64 v[2:3], s[50:51], 0, v[0:1]
	s_waitcnt vmcnt(0)
	v_cmp_ne_u32_e32 vcc, v4, v5
	s_nop 1
	v_cndmask_b32_e64 v1, 0, 1, vcc
.LBB130_50:
	s_or_b64 exec, exec, s[4:5]
	v_or_b32_e32 v4, 0x100, v0
	v_cmp_gt_u32_e64 s[30:31], s55, v4
	s_and_saveexec_b64 s[4:5], s[30:31]
	s_cbranch_execz .LBB130_52
; %bb.51:
	v_lshlrev_b32_e32 v5, 2, v0
	global_load_dword v6, v5, s[34:35] offset:1024
	global_load_dword v7, v5, s[48:49] offset:1024
	v_mov_b32_e32 v5, 0
	v_lshl_add_u64 v[18:19], s[50:51], 0, v[4:5]
	s_waitcnt vmcnt(0)
	v_cmp_ne_u32_e32 vcc, v6, v7
	s_nop 1
	v_cndmask_b32_e64 v43, 0, 1, vcc
.LBB130_52:
	s_or_b64 exec, exec, s[4:5]
	v_or_b32_e32 v4, 0x200, v0
	v_mov_b64_e32 v[16:17], 0
	v_cmp_gt_u32_e64 s[28:29], s55, v4
	v_mov_b32_e32 v42, 0
	v_mov_b64_e32 v[32:33], v[16:17]
	v_mov_b32_e32 v50, 0
	s_and_saveexec_b64 s[4:5], s[28:29]
	s_cbranch_execz .LBB130_54
; %bb.53:
	v_lshlrev_b32_e32 v5, 2, v0
	global_load_dword v6, v5, s[34:35] offset:2048
	global_load_dword v7, v5, s[48:49] offset:2048
	v_mov_b32_e32 v5, 0
	v_lshl_add_u64 v[32:33], s[50:51], 0, v[4:5]
	s_waitcnt vmcnt(0)
	v_cmp_ne_u32_e32 vcc, v6, v7
	s_nop 1
	v_cndmask_b32_e64 v50, 0, 1, vcc
.LBB130_54:
	s_or_b64 exec, exec, s[4:5]
	v_or_b32_e32 v4, 0x300, v0
	v_cmp_gt_u32_e64 s[26:27], s55, v4
	s_and_saveexec_b64 s[4:5], s[26:27]
	s_cbranch_execz .LBB130_56
; %bb.55:
	v_lshlrev_b32_e32 v5, 2, v0
	global_load_dword v6, v5, s[34:35] offset:3072
	global_load_dword v7, v5, s[48:49] offset:3072
	v_mov_b32_e32 v5, 0
	v_lshl_add_u64 v[16:17], s[50:51], 0, v[4:5]
	s_waitcnt vmcnt(0)
	v_cmp_ne_u32_e32 vcc, v6, v7
	s_nop 1
	v_cndmask_b32_e64 v42, 0, 1, vcc
.LBB130_56:
	s_or_b64 exec, exec, s[4:5]
	v_or_b32_e32 v4, 0x400, v0
	v_mov_b64_e32 v[14:15], 0
	v_cmp_gt_u32_e64 s[24:25], s55, v4
	v_mov_b32_e32 v41, 0
	v_mov_b64_e32 v[30:31], v[14:15]
	v_mov_b32_e32 v49, 0
	s_and_saveexec_b64 s[4:5], s[24:25]
	s_cbranch_execz .LBB130_58
; %bb.57:
	v_lshlrev_b32_e32 v5, 2, v4
	global_load_dword v6, v5, s[34:35]
	global_load_dword v7, v5, s[48:49]
	v_mov_b32_e32 v5, 0
	v_lshl_add_u64 v[30:31], s[50:51], 0, v[4:5]
	s_waitcnt vmcnt(0)
	v_cmp_ne_u32_e32 vcc, v6, v7
	s_nop 1
	v_cndmask_b32_e64 v49, 0, 1, vcc
.LBB130_58:
	s_or_b64 exec, exec, s[4:5]
	v_or_b32_e32 v4, 0x500, v0
	v_cmp_gt_u32_e64 s[22:23], s55, v4
	s_and_saveexec_b64 s[4:5], s[22:23]
	s_cbranch_execz .LBB130_60
; %bb.59:
	v_lshlrev_b32_e32 v5, 2, v4
	global_load_dword v6, v5, s[34:35]
	global_load_dword v7, v5, s[48:49]
	v_mov_b32_e32 v5, 0
	v_lshl_add_u64 v[14:15], s[50:51], 0, v[4:5]
	s_waitcnt vmcnt(0)
	v_cmp_ne_u32_e32 vcc, v6, v7
	s_nop 1
	v_cndmask_b32_e64 v41, 0, 1, vcc
.LBB130_60:
	s_or_b64 exec, exec, s[4:5]
	v_or_b32_e32 v4, 0x600, v0
	v_mov_b64_e32 v[12:13], 0
	v_cmp_gt_u32_e64 s[20:21], s55, v4
	v_mov_b32_e32 v40, 0
	v_mov_b64_e32 v[28:29], v[12:13]
	v_mov_b32_e32 v48, 0
	s_and_saveexec_b64 s[4:5], s[20:21]
	s_cbranch_execz .LBB130_62
; %bb.61:
	v_lshlrev_b32_e32 v5, 2, v4
	global_load_dword v6, v5, s[34:35]
	global_load_dword v7, v5, s[48:49]
	v_mov_b32_e32 v5, 0
	v_lshl_add_u64 v[28:29], s[50:51], 0, v[4:5]
	s_waitcnt vmcnt(0)
	v_cmp_ne_u32_e32 vcc, v6, v7
	s_nop 1
	v_cndmask_b32_e64 v48, 0, 1, vcc
.LBB130_62:
	s_or_b64 exec, exec, s[4:5]
	v_or_b32_e32 v4, 0x700, v0
	v_cmp_gt_u32_e64 s[18:19], s55, v4
	s_and_saveexec_b64 s[4:5], s[18:19]
	s_cbranch_execz .LBB130_64
; %bb.63:
	v_lshlrev_b32_e32 v5, 2, v4
	global_load_dword v6, v5, s[34:35]
	global_load_dword v7, v5, s[48:49]
	v_mov_b32_e32 v5, 0
	v_lshl_add_u64 v[12:13], s[50:51], 0, v[4:5]
	s_waitcnt vmcnt(0)
	v_cmp_ne_u32_e32 vcc, v6, v7
	s_nop 1
	v_cndmask_b32_e64 v40, 0, 1, vcc
.LBB130_64:
	;; [unrolled: 36-line block ×4, first 2 shown]
	s_or_b64 exec, exec, s[4:5]
	v_or_b32_e32 v4, 0xc00, v0
	v_mov_b64_e32 v[6:7], 0
	v_cmp_gt_u32_e64 s[8:9], s55, v4
	v_mov_b32_e32 v37, 0
	v_mov_b32_e32 v45, 0
	v_mov_b64_e32 v[22:23], v[6:7]
	s_and_saveexec_b64 s[4:5], s[8:9]
	s_cbranch_execz .LBB130_74
; %bb.73:
	v_lshlrev_b32_e32 v5, 2, v4
	global_load_dword v20, v5, s[34:35]
	global_load_dword v21, v5, s[48:49]
	v_mov_b32_e32 v5, 0
	v_lshl_add_u64 v[22:23], s[50:51], 0, v[4:5]
	s_waitcnt vmcnt(0)
	v_cmp_ne_u32_e32 vcc, v20, v21
	s_nop 1
	v_cndmask_b32_e64 v45, 0, 1, vcc
.LBB130_74:
	s_or_b64 exec, exec, s[4:5]
	v_or_b32_e32 v4, 0xd00, v0
	v_cmp_gt_u32_e64 s[6:7], s55, v4
	s_and_saveexec_b64 s[4:5], s[6:7]
	s_cbranch_execz .LBB130_76
; %bb.75:
	v_lshlrev_b32_e32 v5, 2, v4
	global_load_dword v20, v5, s[34:35]
	global_load_dword v21, v5, s[48:49]
	v_mov_b32_e32 v5, 0
	v_lshl_add_u64 v[6:7], s[50:51], 0, v[4:5]
	s_waitcnt vmcnt(0)
	v_cmp_ne_u32_e32 vcc, v20, v21
	s_nop 1
	v_cndmask_b32_e64 v37, 0, 1, vcc
.LBB130_76:
	s_or_b64 exec, exec, s[4:5]
	v_or_b32_e32 v34, 0xe00, v0
	v_mov_b64_e32 v[4:5], 0
	v_cmp_gt_u32_e64 s[4:5], s55, v34
	v_mov_b32_e32 v36, 0
	v_mov_b32_e32 v44, 0
	v_mov_b64_e32 v[20:21], v[4:5]
	s_and_saveexec_b64 s[52:53], s[4:5]
	s_cbranch_execz .LBB130_78
; %bb.77:
	v_lshlrev_b32_e32 v20, 2, v34
	global_load_dword v44, v20, s[34:35]
	global_load_dword v51, v20, s[48:49]
	v_mov_b32_e32 v35, 0
	v_lshl_add_u64 v[20:21], s[50:51], 0, v[34:35]
	s_waitcnt vmcnt(0)
	v_cmp_ne_u32_e32 vcc, v44, v51
	s_nop 1
	v_cndmask_b32_e64 v44, 0, 1, vcc
.LBB130_78:
	s_or_b64 exec, exec, s[52:53]
	v_or_b32_e32 v34, 0xf00, v0
	v_cmp_gt_u32_e32 vcc, s55, v34
	s_and_saveexec_b64 s[52:53], vcc
	s_cbranch_execnz .LBB130_342
; %bb.79:
	s_or_b64 exec, exec, s[52:53]
	s_and_saveexec_b64 s[48:49], s[30:31]
	s_cbranch_execnz .LBB130_343
.LBB130_80:
	s_or_b64 exec, exec, s[48:49]
	s_and_saveexec_b64 s[34:35], s[28:29]
	s_cbranch_execnz .LBB130_344
.LBB130_81:
	s_or_b64 exec, exec, s[34:35]
	s_and_saveexec_b64 s[30:31], s[26:27]
	s_cbranch_execnz .LBB130_345
.LBB130_82:
	s_or_b64 exec, exec, s[30:31]
	s_and_saveexec_b64 s[28:29], s[24:25]
	s_cbranch_execnz .LBB130_346
.LBB130_83:
	s_or_b64 exec, exec, s[28:29]
	s_and_saveexec_b64 s[26:27], s[22:23]
	s_cbranch_execnz .LBB130_347
.LBB130_84:
	s_or_b64 exec, exec, s[26:27]
	s_and_saveexec_b64 s[24:25], s[20:21]
	s_cbranch_execnz .LBB130_348
.LBB130_85:
	s_or_b64 exec, exec, s[24:25]
	s_and_saveexec_b64 s[22:23], s[18:19]
	s_cbranch_execnz .LBB130_349
.LBB130_86:
	s_or_b64 exec, exec, s[22:23]
	s_and_saveexec_b64 s[20:21], s[16:17]
	s_cbranch_execnz .LBB130_350
.LBB130_87:
	s_or_b64 exec, exec, s[20:21]
	s_and_saveexec_b64 s[18:19], s[14:15]
	s_cbranch_execnz .LBB130_351
.LBB130_88:
	s_or_b64 exec, exec, s[18:19]
	s_and_saveexec_b64 s[16:17], s[12:13]
	s_cbranch_execnz .LBB130_352
.LBB130_89:
	s_or_b64 exec, exec, s[16:17]
	s_and_saveexec_b64 s[14:15], s[10:11]
	s_cbranch_execnz .LBB130_353
.LBB130_90:
	s_or_b64 exec, exec, s[14:15]
	s_and_saveexec_b64 s[12:13], s[8:9]
	s_cbranch_execnz .LBB130_354
.LBB130_91:
	s_or_b64 exec, exec, s[12:13]
	s_and_saveexec_b64 s[10:11], s[6:7]
	s_cbranch_execnz .LBB130_355
.LBB130_92:
	s_or_b64 exec, exec, s[10:11]
	s_and_saveexec_b64 s[8:9], s[4:5]
	s_cbranch_execnz .LBB130_356
.LBB130_93:
	s_or_b64 exec, exec, s[8:9]
	s_and_saveexec_b64 s[6:7], vcc
	s_cbranch_execz .LBB130_95
.LBB130_94:
	v_and_b32_e32 v7, 1, v36
	v_cmp_lt_i64_e32 vcc, v[4:5], v[2:3]
	v_cmp_eq_u32_e64 s[4:5], 1, v7
	v_and_b32_e32 v6, 1, v1
	s_and_b64 vcc, s[4:5], vcc
	v_cndmask_b32_e64 v1, v1, 1, s[4:5]
	v_cndmask_b32_e32 v2, v2, v4, vcc
	v_cndmask_b32_e32 v3, v3, v5, vcc
	v_cmp_eq_u32_e32 vcc, 1, v6
	s_nop 1
	v_cndmask_b32_e32 v1, v36, v1, vcc
	v_cndmask_b32_e32 v3, v5, v3, vcc
	;; [unrolled: 1-line block ×3, first 2 shown]
.LBB130_95:
	s_or_b64 exec, exec, s[6:7]
	v_mbcnt_lo_u32_b32 v4, -1, 0
	v_mbcnt_hi_u32_b32 v6, -1, v4
	v_and_b32_e32 v8, 63, v6
	v_cmp_ne_u32_e32 vcc, 63, v8
	v_and_b32_e32 v7, 0xffff, v1
	s_min_u32 s8, s55, 0x100
	v_addc_co_u32_e32 v4, vcc, 0, v6, vcc
	v_lshlrev_b32_e32 v5, 2, v4
	ds_bpermute_b32 v11, v5, v7
	ds_bpermute_b32 v4, v5, v2
	;; [unrolled: 1-line block ×3, first 2 shown]
	v_and_b32_e32 v9, 0xc0, v0
	v_sub_u32_e64 v10, s8, v9 clamp
	v_add_u32_e32 v9, 1, v8
	v_cmp_lt_u32_e32 vcc, v9, v10
	v_mov_b32_e32 v9, v7
	s_and_saveexec_b64 s[4:5], vcc
	s_xor_b64 s[6:7], exec, s[4:5]
	s_cbranch_execz .LBB130_97
; %bb.96:
	s_waitcnt lgkmcnt(2)
	v_and_b32_e32 v9, 1, v11
	s_waitcnt lgkmcnt(0)
	v_cmp_lt_i64_e32 vcc, v[4:5], v[2:3]
	v_cmp_eq_u32_e64 s[4:5], 1, v9
	v_and_b32_e32 v1, 1, v1
	s_and_b64 vcc, s[4:5], vcc
	v_cndmask_b32_e64 v7, v7, 1, s[4:5]
	v_cndmask_b32_e32 v2, v2, v4, vcc
	v_cndmask_b32_e32 v3, v3, v5, vcc
	v_cmp_eq_u32_e32 vcc, 1, v1
	s_nop 1
	v_cndmask_b32_e32 v9, v11, v7, vcc
	v_cndmask_b32_e32 v3, v5, v3, vcc
	;; [unrolled: 1-line block ×3, first 2 shown]
	v_and_b32_e32 v7, 0xff, v9
.LBB130_97:
	s_or_b64 exec, exec, s[6:7]
	v_cmp_gt_u32_e32 vcc, 62, v8
	s_waitcnt lgkmcnt(2)
	v_add_u32_e32 v11, 2, v8
	v_cndmask_b32_e64 v1, 0, 1, vcc
	v_lshlrev_b32_e32 v1, 1, v1
	s_waitcnt lgkmcnt(0)
	v_add_lshl_u32 v5, v1, v6, 2
	ds_bpermute_b32 v1, v5, v7
	ds_bpermute_b32 v4, v5, v2
	ds_bpermute_b32 v5, v5, v3
	v_cmp_lt_u32_e32 vcc, v11, v10
	s_and_saveexec_b64 s[6:7], vcc
	s_cbranch_execz .LBB130_99
; %bb.98:
	s_waitcnt lgkmcnt(2)
	v_and_b32_e32 v11, 1, v1
	s_waitcnt lgkmcnt(0)
	v_cmp_lt_i64_e32 vcc, v[4:5], v[2:3]
	v_cmp_eq_u32_e64 s[4:5], 1, v11
	v_and_b32_e32 v7, 1, v9
	s_and_b64 vcc, s[4:5], vcc
	v_cndmask_b32_e64 v9, v9, 1, s[4:5]
	v_cndmask_b32_e32 v2, v2, v4, vcc
	v_cndmask_b32_e32 v3, v3, v5, vcc
	v_cmp_eq_u32_e32 vcc, 1, v7
	s_nop 1
	v_cndmask_b32_e32 v9, v1, v9, vcc
	v_cndmask_b32_e32 v3, v5, v3, vcc
	v_cndmask_b32_e32 v2, v4, v2, vcc
	v_and_b32_e32 v7, 0xff, v9
.LBB130_99:
	s_or_b64 exec, exec, s[6:7]
	v_cmp_gt_u32_e32 vcc, 60, v8
	v_add_u32_e32 v11, 4, v8
	s_waitcnt lgkmcnt(2)
	v_cndmask_b32_e64 v1, 0, 1, vcc
	v_lshlrev_b32_e32 v1, 2, v1
	s_waitcnt lgkmcnt(0)
	v_add_lshl_u32 v5, v1, v6, 2
	ds_bpermute_b32 v1, v5, v7
	ds_bpermute_b32 v4, v5, v2
	ds_bpermute_b32 v5, v5, v3
	v_cmp_lt_u32_e32 vcc, v11, v10
	s_and_saveexec_b64 s[6:7], vcc
	s_cbranch_execz .LBB130_101
; %bb.100:
	s_waitcnt lgkmcnt(2)
	v_and_b32_e32 v11, 1, v1
	s_waitcnt lgkmcnt(0)
	v_cmp_lt_i64_e32 vcc, v[4:5], v[2:3]
	v_cmp_eq_u32_e64 s[4:5], 1, v11
	v_and_b32_e32 v7, 1, v9
	s_and_b64 vcc, s[4:5], vcc
	v_cndmask_b32_e64 v9, v9, 1, s[4:5]
	v_cndmask_b32_e32 v2, v2, v4, vcc
	v_cndmask_b32_e32 v3, v3, v5, vcc
	v_cmp_eq_u32_e32 vcc, 1, v7
	s_nop 1
	v_cndmask_b32_e32 v9, v1, v9, vcc
	v_cndmask_b32_e32 v3, v5, v3, vcc
	v_cndmask_b32_e32 v2, v4, v2, vcc
	v_and_b32_e32 v7, 0xff, v9
.LBB130_101:
	s_or_b64 exec, exec, s[6:7]
	v_cmp_gt_u32_e32 vcc, 56, v8
	v_add_u32_e32 v11, 8, v8
	s_waitcnt lgkmcnt(2)
	;; [unrolled: 32-line block ×4, first 2 shown]
	v_cndmask_b32_e64 v1, 0, 1, vcc
	v_lshlrev_b32_e32 v1, 5, v1
	s_waitcnt lgkmcnt(0)
	v_add_lshl_u32 v5, v1, v6, 2
	ds_bpermute_b32 v1, v5, v7
	ds_bpermute_b32 v4, v5, v2
	;; [unrolled: 1-line block ×3, first 2 shown]
	v_cmp_lt_u32_e32 vcc, v8, v10
	s_and_saveexec_b64 s[6:7], vcc
	s_cbranch_execz .LBB130_107
; %bb.106:
	s_waitcnt lgkmcnt(2)
	v_and_b32_e32 v8, 1, v1
	s_waitcnt lgkmcnt(0)
	v_cmp_lt_i64_e32 vcc, v[4:5], v[2:3]
	v_cmp_eq_u32_e64 s[4:5], 1, v8
	v_and_b32_e32 v7, 1, v9
	s_and_b64 vcc, s[4:5], vcc
	v_cndmask_b32_e64 v8, v9, 1, s[4:5]
	v_cndmask_b32_e32 v2, v2, v4, vcc
	v_cndmask_b32_e32 v3, v3, v5, vcc
	v_cmp_eq_u32_e32 vcc, 1, v7
	s_nop 1
	v_cndmask_b32_e32 v9, v1, v8, vcc
	v_cndmask_b32_e32 v3, v5, v3, vcc
	;; [unrolled: 1-line block ×3, first 2 shown]
	v_and_b32_e32 v7, 0xff, v9
.LBB130_107:
	s_or_b64 exec, exec, s[6:7]
	v_cmp_eq_u32_e32 vcc, 0, v6
	s_and_saveexec_b64 s[4:5], vcc
	s_cbranch_execz .LBB130_109
; %bb.108:
	s_waitcnt lgkmcnt(2)
	v_lshrrev_b32_e32 v1, 2, v0
	v_and_b32_e32 v1, 48, v1
	ds_write_b8 v1, v9 offset:320
	ds_write_b64 v1, v[2:3] offset:328
.LBB130_109:
	s_or_b64 exec, exec, s[4:5]
	v_cmp_gt_u32_e32 vcc, 4, v0
	s_waitcnt lgkmcnt(0)
	s_barrier
	s_and_saveexec_b64 s[6:7], vcc
	s_cbranch_execz .LBB130_115
; %bb.110:
	v_lshlrev_b32_e32 v2, 4, v6
	ds_read_u8 v1, v2 offset:320
	ds_read_b64 v[2:3], v2 offset:328
	v_and_b32_e32 v8, 3, v6
	v_cmp_ne_u32_e32 vcc, 3, v8
	s_add_i32 s8, s8, 63
	s_waitcnt lgkmcnt(1)
	v_and_b32_e32 v7, 0xff, v1
	v_addc_co_u32_e32 v4, vcc, 0, v6, vcc
	v_lshlrev_b32_e32 v5, 2, v4
	ds_bpermute_b32 v9, v5, v7
	s_waitcnt lgkmcnt(1)
	ds_bpermute_b32 v4, v5, v2
	ds_bpermute_b32 v5, v5, v3
	s_lshr_b32 s10, s8, 6
	v_add_u32_e32 v10, 1, v8
	v_cmp_gt_u32_e32 vcc, s10, v10
	s_and_saveexec_b64 s[8:9], vcc
	s_cbranch_execz .LBB130_112
; %bb.111:
	s_waitcnt lgkmcnt(2)
	v_and_b32_e32 v10, 1, v9
	s_waitcnt lgkmcnt(0)
	v_cmp_lt_i64_e32 vcc, v[4:5], v[2:3]
	v_cmp_eq_u32_e64 s[4:5], 1, v10
	v_and_b32_e32 v7, 1, v1
	s_and_b64 vcc, s[4:5], vcc
	v_cndmask_b32_e64 v1, v1, 1, s[4:5]
	v_cndmask_b32_e32 v2, v2, v4, vcc
	v_cndmask_b32_e32 v3, v3, v5, vcc
	v_cmp_eq_u32_e32 vcc, 1, v7
	s_nop 1
	v_cndmask_b32_e32 v1, v9, v1, vcc
	v_cndmask_b32_e32 v3, v5, v3, vcc
	;; [unrolled: 1-line block ×3, first 2 shown]
	v_and_b32_e32 v7, 0xff, v1
.LBB130_112:
	s_or_b64 exec, exec, s[8:9]
	v_cmp_gt_u32_e32 vcc, 2, v8
	v_add_u32_e32 v8, 2, v8
	s_waitcnt lgkmcnt(1)
	v_cndmask_b32_e64 v4, 0, 1, vcc
	v_lshlrev_b32_e32 v4, 1, v4
	s_waitcnt lgkmcnt(0)
	v_add_lshl_u32 v5, v4, v6, 2
	ds_bpermute_b32 v6, v5, v7
	ds_bpermute_b32 v4, v5, v2
	;; [unrolled: 1-line block ×3, first 2 shown]
	v_cmp_gt_u32_e32 vcc, s10, v8
	s_and_saveexec_b64 s[8:9], vcc
	s_cbranch_execz .LBB130_114
; %bb.113:
	s_waitcnt lgkmcnt(2)
	v_and_b32_e32 v8, 1, v6
	s_waitcnt lgkmcnt(0)
	v_cmp_lt_i64_e32 vcc, v[4:5], v[2:3]
	v_cmp_eq_u32_e64 s[4:5], 1, v8
	v_and_b32_e32 v7, 1, v1
	s_and_b64 vcc, s[4:5], vcc
	v_cndmask_b32_e64 v1, v1, 1, s[4:5]
	v_cndmask_b32_e32 v2, v2, v4, vcc
	v_cndmask_b32_e32 v3, v3, v5, vcc
	v_cmp_eq_u32_e32 vcc, 1, v7
	s_nop 1
	v_cndmask_b32_e32 v1, v6, v1, vcc
	v_cndmask_b32_e32 v3, v5, v3, vcc
	;; [unrolled: 1-line block ×3, first 2 shown]
	v_and_b32_e32 v7, 0xff, v1
.LBB130_114:
	s_or_b64 exec, exec, s[8:9]
.LBB130_115:
	s_or_b64 exec, exec, s[6:7]
.LBB130_116:
	v_cmp_eq_u32_e32 vcc, 0, v0
	s_mov_b64 s[18:19], 0
                                        ; implicit-def: $vgpr4_vgpr5
                                        ; implicit-def: $vgpr1
	s_and_saveexec_b64 s[4:5], vcc
	s_xor_b64 s[8:9], exec, s[4:5]
	s_cbranch_execz .LBB130_120
; %bb.117:
	s_cmp_eq_u64 s[38:39], 0
	s_waitcnt lgkmcnt(0)
	v_mov_b64_e32 v[4:5], s[44:45]
	v_mov_b32_e32 v1, s33
	s_cbranch_scc1 .LBB130_119
; %bb.118:
	v_and_b32_e32 v1, 1, v7
	s_bitcmp1_b32 s33, 0
	v_mov_b32_e32 v4, s33
	v_cmp_eq_u32_e32 vcc, 1, v1
	v_cmp_gt_i64_e64 s[6:7], s[44:45], v[2:3]
	s_cselect_b64 s[4:5], -1, 0
	v_cndmask_b32_e64 v1, v4, 1, vcc
	v_mov_b32_e32 v4, s44
	s_and_b64 vcc, vcc, s[6:7]
	v_mov_b32_e32 v5, s45
	v_cndmask_b32_e32 v4, v4, v2, vcc
	v_cndmask_b32_e32 v5, v5, v3, vcc
	v_cndmask_b32_e64 v1, v7, v1, s[4:5]
	v_cndmask_b32_e64 v5, v3, v5, s[4:5]
	;; [unrolled: 1-line block ×3, first 2 shown]
.LBB130_119:
	s_mov_b64 s[18:19], exec
.LBB130_120:
	s_or_b64 exec, exec, s[8:9]
	s_and_b64 vcc, exec, s[46:47]
	s_cbranch_vccnz .LBB130_26
.LBB130_121:
	s_branch .LBB130_193
.LBB130_122:
	s_mov_b64 s[4:5], -1
                                        ; implicit-def: $vgpr2_vgpr3
                                        ; implicit-def: $vgpr7
.LBB130_123:
	s_and_b64 vcc, exec, s[4:5]
	s_cbranch_vccz .LBB130_168
; %bb.124:
	s_sub_i32 s26, s38, s12
	v_mov_b64_e32 v[10:11], 0
	v_cmp_gt_u32_e32 vcc, s26, v0
	v_mov_b32_e32 v23, 0
	v_mov_b64_e32 v[2:3], v[10:11]
	v_mov_b32_e32 v1, 0
	s_and_saveexec_b64 s[4:5], vcc
	s_cbranch_execz .LBB130_126
; %bb.125:
	v_lshlrev_b32_e32 v1, 2, v0
	s_waitcnt lgkmcnt(1)
	global_load_dword v4, v1, s[16:17]
	s_waitcnt lgkmcnt(0)
	global_load_dword v5, v1, s[20:21]
	v_mov_b32_e32 v1, 0
	v_lshl_add_u64 v[2:3], s[22:23], 0, v[0:1]
	s_waitcnt vmcnt(0)
	v_cmp_ne_u32_e32 vcc, v4, v5
	s_nop 1
	v_cndmask_b32_e64 v1, 0, 1, vcc
.LBB130_126:
	s_or_b64 exec, exec, s[4:5]
	s_waitcnt lgkmcnt(1)
	v_or_b32_e32 v4, 0x100, v0
	v_cmp_gt_u32_e64 s[14:15], s26, v4
	s_and_saveexec_b64 s[4:5], s[14:15]
	s_cbranch_execz .LBB130_128
; %bb.127:
	s_waitcnt lgkmcnt(0)
	v_lshlrev_b32_e32 v5, 2, v0
	global_load_dword v6, v5, s[16:17] offset:1024
	global_load_dword v7, v5, s[20:21] offset:1024
	v_mov_b32_e32 v5, 0
	v_lshl_add_u64 v[10:11], s[22:23], 0, v[4:5]
	s_waitcnt vmcnt(0)
	v_cmp_ne_u32_e32 vcc, v6, v7
	s_nop 1
	v_cndmask_b32_e64 v23, 0, 1, vcc
.LBB130_128:
	s_or_b64 exec, exec, s[4:5]
	v_or_b32_e32 v4, 0x200, v0
	v_mov_b64_e32 v[8:9], 0
	v_cmp_gt_u32_e64 s[12:13], s26, v4
	v_mov_b32_e32 v22, 0
	v_mov_b64_e32 v[16:17], v[8:9]
	v_mov_b32_e32 v26, 0
	s_and_saveexec_b64 s[4:5], s[12:13]
	s_cbranch_execz .LBB130_130
; %bb.129:
	s_waitcnt lgkmcnt(0)
	v_lshlrev_b32_e32 v5, 2, v0
	global_load_dword v6, v5, s[16:17] offset:2048
	global_load_dword v7, v5, s[20:21] offset:2048
	v_mov_b32_e32 v5, 0
	v_lshl_add_u64 v[16:17], s[22:23], 0, v[4:5]
	s_waitcnt vmcnt(0)
	v_cmp_ne_u32_e32 vcc, v6, v7
	s_nop 1
	v_cndmask_b32_e64 v26, 0, 1, vcc
.LBB130_130:
	s_or_b64 exec, exec, s[4:5]
	v_or_b32_e32 v4, 0x300, v0
	v_cmp_gt_u32_e64 s[10:11], s26, v4
	s_and_saveexec_b64 s[4:5], s[10:11]
	s_cbranch_execz .LBB130_132
; %bb.131:
	s_waitcnt lgkmcnt(0)
	v_lshlrev_b32_e32 v5, 2, v0
	global_load_dword v6, v5, s[16:17] offset:3072
	global_load_dword v7, v5, s[20:21] offset:3072
	v_mov_b32_e32 v5, 0
	v_lshl_add_u64 v[8:9], s[22:23], 0, v[4:5]
	s_waitcnt vmcnt(0)
	v_cmp_ne_u32_e32 vcc, v6, v7
	s_nop 1
	v_cndmask_b32_e64 v22, 0, 1, vcc
.LBB130_132:
	s_or_b64 exec, exec, s[4:5]
	v_or_b32_e32 v4, 0x400, v0
	v_mov_b64_e32 v[6:7], 0
	v_cmp_gt_u32_e64 s[8:9], s26, v4
	v_mov_b32_e32 v21, 0
	v_mov_b64_e32 v[14:15], v[6:7]
	v_mov_b32_e32 v25, 0
	s_and_saveexec_b64 s[4:5], s[8:9]
	s_cbranch_execz .LBB130_134
; %bb.133:
	s_waitcnt lgkmcnt(0)
	v_lshlrev_b32_e32 v5, 2, v4
	global_load_dword v12, v5, s[16:17]
	global_load_dword v13, v5, s[20:21]
	v_mov_b32_e32 v5, 0
	v_lshl_add_u64 v[14:15], s[22:23], 0, v[4:5]
	s_waitcnt vmcnt(0)
	v_cmp_ne_u32_e32 vcc, v12, v13
	s_nop 1
	v_cndmask_b32_e64 v25, 0, 1, vcc
.LBB130_134:
	s_or_b64 exec, exec, s[4:5]
	v_or_b32_e32 v4, 0x500, v0
	v_cmp_gt_u32_e64 s[6:7], s26, v4
	s_and_saveexec_b64 s[4:5], s[6:7]
	s_cbranch_execz .LBB130_136
; %bb.135:
	s_waitcnt lgkmcnt(0)
	v_lshlrev_b32_e32 v5, 2, v4
	global_load_dword v12, v5, s[16:17]
	global_load_dword v13, v5, s[20:21]
	v_mov_b32_e32 v5, 0
	v_lshl_add_u64 v[6:7], s[22:23], 0, v[4:5]
	s_waitcnt vmcnt(0)
	v_cmp_ne_u32_e32 vcc, v12, v13
	s_nop 1
	v_cndmask_b32_e64 v21, 0, 1, vcc
.LBB130_136:
	s_or_b64 exec, exec, s[4:5]
	v_or_b32_e32 v18, 0x600, v0
	s_waitcnt lgkmcnt(0)
	v_mov_b64_e32 v[4:5], 0
	v_cmp_gt_u32_e64 s[4:5], s26, v18
	v_mov_b32_e32 v20, 0
	v_mov_b32_e32 v24, 0
	v_mov_b64_e32 v[12:13], v[4:5]
	s_and_saveexec_b64 s[24:25], s[4:5]
	s_cbranch_execz .LBB130_138
; %bb.137:
	v_lshlrev_b32_e32 v12, 2, v18
	global_load_dword v24, v12, s[16:17]
	global_load_dword v27, v12, s[20:21]
	v_mov_b32_e32 v19, 0
	v_lshl_add_u64 v[12:13], s[22:23], 0, v[18:19]
	s_waitcnt vmcnt(0)
	v_cmp_ne_u32_e32 vcc, v24, v27
	s_nop 1
	v_cndmask_b32_e64 v24, 0, 1, vcc
.LBB130_138:
	s_or_b64 exec, exec, s[24:25]
	v_or_b32_e32 v18, 0x700, v0
	v_cmp_gt_u32_e32 vcc, s26, v18
	s_and_saveexec_b64 s[24:25], vcc
	s_cbranch_execnz .LBB130_357
; %bb.139:
	s_or_b64 exec, exec, s[24:25]
	s_and_saveexec_b64 s[20:21], s[14:15]
	s_cbranch_execnz .LBB130_358
.LBB130_140:
	s_or_b64 exec, exec, s[20:21]
	s_and_saveexec_b64 s[16:17], s[12:13]
	s_cbranch_execnz .LBB130_359
.LBB130_141:
	s_or_b64 exec, exec, s[16:17]
	s_and_saveexec_b64 s[14:15], s[10:11]
	s_cbranch_execnz .LBB130_360
.LBB130_142:
	s_or_b64 exec, exec, s[14:15]
	s_and_saveexec_b64 s[12:13], s[8:9]
	s_cbranch_execnz .LBB130_361
.LBB130_143:
	s_or_b64 exec, exec, s[12:13]
	s_and_saveexec_b64 s[10:11], s[6:7]
	s_cbranch_execnz .LBB130_362
.LBB130_144:
	s_or_b64 exec, exec, s[10:11]
	s_and_saveexec_b64 s[8:9], s[4:5]
	s_cbranch_execnz .LBB130_363
.LBB130_145:
	s_or_b64 exec, exec, s[8:9]
	s_and_saveexec_b64 s[6:7], vcc
	s_cbranch_execz .LBB130_147
.LBB130_146:
	v_and_b32_e32 v7, 1, v20
	v_cmp_lt_i64_e32 vcc, v[4:5], v[2:3]
	v_cmp_eq_u32_e64 s[4:5], 1, v7
	v_and_b32_e32 v6, 1, v1
	s_and_b64 vcc, s[4:5], vcc
	v_cndmask_b32_e64 v1, v1, 1, s[4:5]
	v_cndmask_b32_e32 v2, v2, v4, vcc
	v_cndmask_b32_e32 v3, v3, v5, vcc
	v_cmp_eq_u32_e32 vcc, 1, v6
	s_nop 1
	v_cndmask_b32_e32 v1, v20, v1, vcc
	v_cndmask_b32_e32 v3, v5, v3, vcc
	;; [unrolled: 1-line block ×3, first 2 shown]
.LBB130_147:
	s_or_b64 exec, exec, s[6:7]
	v_mbcnt_lo_u32_b32 v4, -1, 0
	v_mbcnt_hi_u32_b32 v6, -1, v4
	v_and_b32_e32 v8, 63, v6
	v_cmp_ne_u32_e32 vcc, 63, v8
	v_and_b32_e32 v7, 0xffff, v1
	s_min_u32 s8, s26, 0x100
	v_addc_co_u32_e32 v4, vcc, 0, v6, vcc
	v_lshlrev_b32_e32 v5, 2, v4
	ds_bpermute_b32 v11, v5, v7
	ds_bpermute_b32 v4, v5, v2
	;; [unrolled: 1-line block ×3, first 2 shown]
	v_and_b32_e32 v9, 0xc0, v0
	v_sub_u32_e64 v10, s8, v9 clamp
	v_add_u32_e32 v9, 1, v8
	v_cmp_lt_u32_e32 vcc, v9, v10
	v_mov_b32_e32 v9, v7
	s_and_saveexec_b64 s[4:5], vcc
	s_xor_b64 s[6:7], exec, s[4:5]
	s_cbranch_execz .LBB130_149
; %bb.148:
	s_waitcnt lgkmcnt(2)
	v_and_b32_e32 v9, 1, v11
	s_waitcnt lgkmcnt(0)
	v_cmp_lt_i64_e32 vcc, v[4:5], v[2:3]
	v_cmp_eq_u32_e64 s[4:5], 1, v9
	v_and_b32_e32 v1, 1, v1
	s_and_b64 vcc, s[4:5], vcc
	v_cndmask_b32_e64 v7, v7, 1, s[4:5]
	v_cndmask_b32_e32 v2, v2, v4, vcc
	v_cndmask_b32_e32 v3, v3, v5, vcc
	v_cmp_eq_u32_e32 vcc, 1, v1
	s_nop 1
	v_cndmask_b32_e32 v9, v11, v7, vcc
	v_cndmask_b32_e32 v3, v5, v3, vcc
	;; [unrolled: 1-line block ×3, first 2 shown]
	v_and_b32_e32 v7, 0xff, v9
.LBB130_149:
	s_or_b64 exec, exec, s[6:7]
	v_cmp_gt_u32_e32 vcc, 62, v8
	s_waitcnt lgkmcnt(2)
	v_add_u32_e32 v11, 2, v8
	v_cndmask_b32_e64 v1, 0, 1, vcc
	v_lshlrev_b32_e32 v1, 1, v1
	s_waitcnt lgkmcnt(0)
	v_add_lshl_u32 v5, v1, v6, 2
	ds_bpermute_b32 v1, v5, v7
	ds_bpermute_b32 v4, v5, v2
	ds_bpermute_b32 v5, v5, v3
	v_cmp_lt_u32_e32 vcc, v11, v10
	s_and_saveexec_b64 s[6:7], vcc
	s_cbranch_execz .LBB130_151
; %bb.150:
	s_waitcnt lgkmcnt(2)
	v_and_b32_e32 v11, 1, v1
	s_waitcnt lgkmcnt(0)
	v_cmp_lt_i64_e32 vcc, v[4:5], v[2:3]
	v_cmp_eq_u32_e64 s[4:5], 1, v11
	v_and_b32_e32 v7, 1, v9
	s_and_b64 vcc, s[4:5], vcc
	v_cndmask_b32_e64 v9, v9, 1, s[4:5]
	v_cndmask_b32_e32 v2, v2, v4, vcc
	v_cndmask_b32_e32 v3, v3, v5, vcc
	v_cmp_eq_u32_e32 vcc, 1, v7
	s_nop 1
	v_cndmask_b32_e32 v9, v1, v9, vcc
	v_cndmask_b32_e32 v3, v5, v3, vcc
	v_cndmask_b32_e32 v2, v4, v2, vcc
	v_and_b32_e32 v7, 0xff, v9
.LBB130_151:
	s_or_b64 exec, exec, s[6:7]
	v_cmp_gt_u32_e32 vcc, 60, v8
	v_add_u32_e32 v11, 4, v8
	s_waitcnt lgkmcnt(2)
	v_cndmask_b32_e64 v1, 0, 1, vcc
	v_lshlrev_b32_e32 v1, 2, v1
	s_waitcnt lgkmcnt(0)
	v_add_lshl_u32 v5, v1, v6, 2
	ds_bpermute_b32 v1, v5, v7
	ds_bpermute_b32 v4, v5, v2
	ds_bpermute_b32 v5, v5, v3
	v_cmp_lt_u32_e32 vcc, v11, v10
	s_and_saveexec_b64 s[6:7], vcc
	s_cbranch_execz .LBB130_153
; %bb.152:
	s_waitcnt lgkmcnt(2)
	v_and_b32_e32 v11, 1, v1
	s_waitcnt lgkmcnt(0)
	v_cmp_lt_i64_e32 vcc, v[4:5], v[2:3]
	v_cmp_eq_u32_e64 s[4:5], 1, v11
	v_and_b32_e32 v7, 1, v9
	s_and_b64 vcc, s[4:5], vcc
	v_cndmask_b32_e64 v9, v9, 1, s[4:5]
	v_cndmask_b32_e32 v2, v2, v4, vcc
	v_cndmask_b32_e32 v3, v3, v5, vcc
	v_cmp_eq_u32_e32 vcc, 1, v7
	s_nop 1
	v_cndmask_b32_e32 v9, v1, v9, vcc
	v_cndmask_b32_e32 v3, v5, v3, vcc
	v_cndmask_b32_e32 v2, v4, v2, vcc
	v_and_b32_e32 v7, 0xff, v9
.LBB130_153:
	s_or_b64 exec, exec, s[6:7]
	v_cmp_gt_u32_e32 vcc, 56, v8
	v_add_u32_e32 v11, 8, v8
	s_waitcnt lgkmcnt(2)
	;; [unrolled: 32-line block ×4, first 2 shown]
	v_cndmask_b32_e64 v1, 0, 1, vcc
	v_lshlrev_b32_e32 v1, 5, v1
	s_waitcnt lgkmcnt(0)
	v_add_lshl_u32 v5, v1, v6, 2
	ds_bpermute_b32 v1, v5, v7
	ds_bpermute_b32 v4, v5, v2
	;; [unrolled: 1-line block ×3, first 2 shown]
	v_cmp_lt_u32_e32 vcc, v8, v10
	s_and_saveexec_b64 s[6:7], vcc
	s_cbranch_execz .LBB130_159
; %bb.158:
	s_waitcnt lgkmcnt(2)
	v_and_b32_e32 v8, 1, v1
	s_waitcnt lgkmcnt(0)
	v_cmp_lt_i64_e32 vcc, v[4:5], v[2:3]
	v_cmp_eq_u32_e64 s[4:5], 1, v8
	v_and_b32_e32 v7, 1, v9
	s_and_b64 vcc, s[4:5], vcc
	v_cndmask_b32_e64 v8, v9, 1, s[4:5]
	v_cndmask_b32_e32 v2, v2, v4, vcc
	v_cndmask_b32_e32 v3, v3, v5, vcc
	v_cmp_eq_u32_e32 vcc, 1, v7
	s_nop 1
	v_cndmask_b32_e32 v9, v1, v8, vcc
	v_cndmask_b32_e32 v3, v5, v3, vcc
	v_cndmask_b32_e32 v2, v4, v2, vcc
	v_and_b32_e32 v7, 0xff, v9
.LBB130_159:
	s_or_b64 exec, exec, s[6:7]
	v_cmp_eq_u32_e32 vcc, 0, v6
	s_and_saveexec_b64 s[4:5], vcc
	s_cbranch_execz .LBB130_161
; %bb.160:
	s_waitcnt lgkmcnt(2)
	v_lshrrev_b32_e32 v1, 2, v0
	v_and_b32_e32 v1, 48, v1
	ds_write_b8 v1, v9 offset:320
	ds_write_b64 v1, v[2:3] offset:328
.LBB130_161:
	s_or_b64 exec, exec, s[4:5]
	v_cmp_gt_u32_e32 vcc, 4, v0
	s_waitcnt lgkmcnt(0)
	s_barrier
	s_and_saveexec_b64 s[6:7], vcc
	s_cbranch_execz .LBB130_167
; %bb.162:
	v_lshlrev_b32_e32 v2, 4, v6
	ds_read_u8 v1, v2 offset:320
	ds_read_b64 v[2:3], v2 offset:328
	v_and_b32_e32 v8, 3, v6
	v_cmp_ne_u32_e32 vcc, 3, v8
	s_add_i32 s8, s8, 63
	s_waitcnt lgkmcnt(1)
	v_and_b32_e32 v7, 0xff, v1
	v_addc_co_u32_e32 v4, vcc, 0, v6, vcc
	v_lshlrev_b32_e32 v5, 2, v4
	ds_bpermute_b32 v9, v5, v7
	s_waitcnt lgkmcnt(1)
	ds_bpermute_b32 v4, v5, v2
	ds_bpermute_b32 v5, v5, v3
	s_lshr_b32 s10, s8, 6
	v_add_u32_e32 v10, 1, v8
	v_cmp_gt_u32_e32 vcc, s10, v10
	s_and_saveexec_b64 s[8:9], vcc
	s_cbranch_execz .LBB130_164
; %bb.163:
	s_waitcnt lgkmcnt(2)
	v_and_b32_e32 v10, 1, v9
	s_waitcnt lgkmcnt(0)
	v_cmp_lt_i64_e32 vcc, v[4:5], v[2:3]
	v_cmp_eq_u32_e64 s[4:5], 1, v10
	v_and_b32_e32 v7, 1, v1
	s_and_b64 vcc, s[4:5], vcc
	v_cndmask_b32_e64 v1, v1, 1, s[4:5]
	v_cndmask_b32_e32 v2, v2, v4, vcc
	v_cndmask_b32_e32 v3, v3, v5, vcc
	v_cmp_eq_u32_e32 vcc, 1, v7
	s_nop 1
	v_cndmask_b32_e32 v1, v9, v1, vcc
	v_cndmask_b32_e32 v3, v5, v3, vcc
	;; [unrolled: 1-line block ×3, first 2 shown]
	v_and_b32_e32 v7, 0xff, v1
.LBB130_164:
	s_or_b64 exec, exec, s[8:9]
	v_cmp_gt_u32_e32 vcc, 2, v8
	v_add_u32_e32 v8, 2, v8
	s_waitcnt lgkmcnt(1)
	v_cndmask_b32_e64 v4, 0, 1, vcc
	v_lshlrev_b32_e32 v4, 1, v4
	s_waitcnt lgkmcnt(0)
	v_add_lshl_u32 v5, v4, v6, 2
	ds_bpermute_b32 v6, v5, v7
	ds_bpermute_b32 v4, v5, v2
	;; [unrolled: 1-line block ×3, first 2 shown]
	v_cmp_gt_u32_e32 vcc, s10, v8
	s_and_saveexec_b64 s[8:9], vcc
	s_cbranch_execz .LBB130_166
; %bb.165:
	s_waitcnt lgkmcnt(2)
	v_and_b32_e32 v8, 1, v6
	s_waitcnt lgkmcnt(0)
	v_cmp_lt_i64_e32 vcc, v[4:5], v[2:3]
	v_cmp_eq_u32_e64 s[4:5], 1, v8
	v_and_b32_e32 v7, 1, v1
	s_and_b64 vcc, s[4:5], vcc
	v_cndmask_b32_e64 v1, v1, 1, s[4:5]
	v_cndmask_b32_e32 v2, v2, v4, vcc
	v_cndmask_b32_e32 v3, v3, v5, vcc
	v_cmp_eq_u32_e32 vcc, 1, v7
	s_nop 1
	v_cndmask_b32_e32 v1, v6, v1, vcc
	v_cndmask_b32_e32 v3, v5, v3, vcc
	;; [unrolled: 1-line block ×3, first 2 shown]
	v_and_b32_e32 v7, 0xff, v1
.LBB130_166:
	s_or_b64 exec, exec, s[8:9]
.LBB130_167:
	s_or_b64 exec, exec, s[6:7]
.LBB130_168:
	v_cmp_eq_u32_e32 vcc, 0, v0
                                        ; implicit-def: $vgpr4_vgpr5
                                        ; implicit-def: $vgpr1
	s_and_saveexec_b64 s[4:5], vcc
	s_xor_b64 s[8:9], exec, s[4:5]
	s_cbranch_execz .LBB130_172
; %bb.169:
	s_cmp_eq_u64 s[38:39], 0
	s_waitcnt lgkmcnt(0)
	v_mov_b64_e32 v[4:5], s[44:45]
	v_mov_b32_e32 v1, s33
	s_cbranch_scc1 .LBB130_171
; %bb.170:
	v_and_b32_e32 v1, 1, v7
	s_bitcmp1_b32 s33, 0
	v_mov_b32_e32 v4, s33
	v_cmp_eq_u32_e32 vcc, 1, v1
	v_cmp_gt_i64_e64 s[6:7], s[44:45], v[2:3]
	s_cselect_b64 s[4:5], -1, 0
	v_cndmask_b32_e64 v1, v4, 1, vcc
	v_mov_b32_e32 v4, s44
	s_and_b64 vcc, vcc, s[6:7]
	v_mov_b32_e32 v5, s45
	v_cndmask_b32_e32 v4, v4, v2, vcc
	v_cndmask_b32_e32 v5, v5, v3, vcc
	v_cndmask_b32_e64 v1, v7, v1, s[4:5]
	v_cndmask_b32_e64 v5, v3, v5, s[4:5]
	;; [unrolled: 1-line block ×3, first 2 shown]
.LBB130_171:
	s_or_b64 s[18:19], s[18:19], exec
.LBB130_172:
	s_or_b64 exec, exec, s[8:9]
	s_branch .LBB130_193
.LBB130_173:
	s_cmp_eq_u32 s54, 4
	s_cbranch_scc0 .LBB130_192
; %bb.174:
	s_mov_b32 s3, 0
	s_lshl_b32 s16, s2, 10
	s_mov_b32 s17, s3
	s_lshr_b64 s[4:5], s[38:39], 10
	s_lshl_b64 s[6:7], s[16:17], 2
	s_add_u32 s10, s40, s6
	s_addc_u32 s11, s41, s7
	s_add_u32 s12, s42, s6
	s_addc_u32 s13, s43, s7
	;; [unrolled: 2-line block ×3, first 2 shown]
	s_cmp_lg_u64 s[4:5], s[2:3]
	s_cbranch_scc0 .LBB130_194
; %bb.175:
	v_lshlrev_b32_e32 v1, 2, v0
	s_waitcnt lgkmcnt(1)
	global_load_dword v4, v1, s[10:11] offset:2048
	global_load_dword v6, v1, s[12:13] offset:1024
	;; [unrolled: 1-line block ×6, first 2 shown]
	global_load_dword v11, v1, s[12:13]
	global_load_dword v12, v1, s[10:11]
	v_mov_b32_e32 v1, 0
	v_mov_b32_e32 v13, 0x200
	;; [unrolled: 1-line block ×3, first 2 shown]
	v_lshl_add_u64 v[2:3], s[14:15], 0, v[0:1]
	s_waitcnt lgkmcnt(0)
	v_mov_b32_e32 v5, v1
	v_mov_b32_e32 v15, 0x300
	s_waitcnt vmcnt(5)
	v_cmp_ne_u32_e32 vcc, v4, v7
	s_waitcnt vmcnt(3)
	v_cmp_ne_u32_e64 s[4:5], v9, v8
	s_waitcnt vmcnt(2)
	v_cmp_ne_u32_e64 s[6:7], v10, v6
	;; [unrolled: 2-line block ×3, first 2 shown]
	v_cndmask_b32_e64 v1, v13, v14, s[6:7]
	s_or_b64 s[6:7], s[8:9], s[6:7]
	s_or_b64 vcc, s[6:7], vcc
	v_cndmask_b32_e64 v1, v1, 0, s[8:9]
	s_or_b64 s[4:5], vcc, s[4:5]
	v_cndmask_b32_e32 v4, v15, v1, vcc
	v_cndmask_b32_e64 v1, 0, 1, s[4:5]
	v_lshl_add_u64 v[2:3], v[2:3], 0, v[4:5]
	s_nop 0
	v_mov_b32_dpp v6, v1 quad_perm:[1,0,3,2] row_mask:0xf bank_mask:0xf bound_ctrl:1
	v_and_b32_e32 v7, 1, v6
	v_mov_b32_dpp v4, v2 quad_perm:[1,0,3,2] row_mask:0xf bank_mask:0xf bound_ctrl:1
	v_mov_b32_dpp v5, v3 quad_perm:[1,0,3,2] row_mask:0xf bank_mask:0xf bound_ctrl:1
	v_cmp_eq_u32_e32 vcc, 1, v7
	s_and_saveexec_b64 s[6:7], vcc
; %bb.176:
	v_cmp_lt_i64_e32 vcc, v[2:3], v[4:5]
	v_cndmask_b32_e64 v6, v6, 1, s[4:5]
	s_and_b64 vcc, s[4:5], vcc
	v_cndmask_b32_e32 v2, v4, v2, vcc
	v_and_b32_e32 v4, 1, v6
	v_cndmask_b32_e32 v3, v5, v3, vcc
	v_cmp_eq_u32_e32 vcc, 1, v4
	s_andn2_b64 s[4:5], s[4:5], exec
	s_and_b64 s[8:9], vcc, exec
	v_and_b32_e32 v1, 0xff, v6
	s_or_b64 s[4:5], s[4:5], s[8:9]
; %bb.177:
	s_or_b64 exec, exec, s[6:7]
	v_mov_b32_dpp v6, v1 quad_perm:[2,3,0,1] row_mask:0xf bank_mask:0xf bound_ctrl:1
	v_and_b32_e32 v7, 1, v6
	v_mov_b32_dpp v4, v2 quad_perm:[2,3,0,1] row_mask:0xf bank_mask:0xf bound_ctrl:1
	v_mov_b32_dpp v5, v3 quad_perm:[2,3,0,1] row_mask:0xf bank_mask:0xf bound_ctrl:1
	v_cmp_eq_u32_e32 vcc, 1, v7
	s_and_saveexec_b64 s[6:7], vcc
; %bb.178:
	v_cmp_lt_i64_e32 vcc, v[2:3], v[4:5]
	v_cndmask_b32_e64 v6, v6, 1, s[4:5]
	s_and_b64 vcc, s[4:5], vcc
	v_cndmask_b32_e32 v2, v4, v2, vcc
	v_and_b32_e32 v4, 1, v6
	v_cndmask_b32_e32 v3, v5, v3, vcc
	v_cmp_eq_u32_e32 vcc, 1, v4
	s_andn2_b64 s[4:5], s[4:5], exec
	s_and_b64 s[8:9], vcc, exec
	v_and_b32_e32 v1, 0xff, v6
	s_or_b64 s[4:5], s[4:5], s[8:9]
; %bb.179:
	s_or_b64 exec, exec, s[6:7]
	v_mov_b32_dpp v6, v1 row_ror:4 row_mask:0xf bank_mask:0xf bound_ctrl:1
	v_and_b32_e32 v7, 1, v6
	v_mov_b32_dpp v4, v2 row_ror:4 row_mask:0xf bank_mask:0xf bound_ctrl:1
	v_mov_b32_dpp v5, v3 row_ror:4 row_mask:0xf bank_mask:0xf bound_ctrl:1
	v_cmp_eq_u32_e32 vcc, 1, v7
	s_and_saveexec_b64 s[6:7], vcc
; %bb.180:
	v_cmp_lt_i64_e32 vcc, v[2:3], v[4:5]
	v_cndmask_b32_e64 v6, v6, 1, s[4:5]
	s_and_b64 vcc, s[4:5], vcc
	v_cndmask_b32_e32 v2, v4, v2, vcc
	v_and_b32_e32 v4, 1, v6
	v_cndmask_b32_e32 v3, v5, v3, vcc
	v_cmp_eq_u32_e32 vcc, 1, v4
	s_andn2_b64 s[4:5], s[4:5], exec
	s_and_b64 s[8:9], vcc, exec
	v_and_b32_e32 v1, 0xff, v6
	s_or_b64 s[4:5], s[4:5], s[8:9]
; %bb.181:
	s_or_b64 exec, exec, s[6:7]
	v_mov_b32_dpp v6, v1 row_ror:8 row_mask:0xf bank_mask:0xf bound_ctrl:1
	v_and_b32_e32 v7, 1, v6
	v_mov_b32_dpp v4, v2 row_ror:8 row_mask:0xf bank_mask:0xf bound_ctrl:1
	v_mov_b32_dpp v5, v3 row_ror:8 row_mask:0xf bank_mask:0xf bound_ctrl:1
	v_cmp_eq_u32_e32 vcc, 1, v7
	s_and_saveexec_b64 s[6:7], vcc
; %bb.182:
	v_cmp_lt_i64_e32 vcc, v[2:3], v[4:5]
	v_cndmask_b32_e64 v6, v6, 1, s[4:5]
	s_and_b64 vcc, s[4:5], vcc
	v_cndmask_b32_e32 v2, v4, v2, vcc
	v_and_b32_e32 v4, 1, v6
	v_cndmask_b32_e32 v3, v5, v3, vcc
	v_cmp_eq_u32_e32 vcc, 1, v4
	s_andn2_b64 s[4:5], s[4:5], exec
	s_and_b64 s[8:9], vcc, exec
	v_and_b32_e32 v1, 0xff, v6
	s_or_b64 s[4:5], s[4:5], s[8:9]
; %bb.183:
	s_or_b64 exec, exec, s[6:7]
	v_mov_b32_dpp v6, v1 row_bcast:15 row_mask:0xf bank_mask:0xf bound_ctrl:1
	v_and_b32_e32 v7, 1, v6
	v_mov_b32_dpp v4, v2 row_bcast:15 row_mask:0xf bank_mask:0xf bound_ctrl:1
	v_mov_b32_dpp v5, v3 row_bcast:15 row_mask:0xf bank_mask:0xf bound_ctrl:1
	v_cmp_eq_u32_e32 vcc, 1, v7
	s_and_saveexec_b64 s[6:7], vcc
; %bb.184:
	v_cmp_lt_i64_e32 vcc, v[2:3], v[4:5]
	v_cndmask_b32_e64 v6, v6, 1, s[4:5]
	s_and_b64 vcc, s[4:5], vcc
	v_cndmask_b32_e32 v2, v4, v2, vcc
	v_and_b32_e32 v4, 1, v6
	v_cndmask_b32_e32 v3, v5, v3, vcc
	v_cmp_eq_u32_e32 vcc, 1, v4
	s_andn2_b64 s[4:5], s[4:5], exec
	s_and_b64 s[8:9], vcc, exec
	v_and_b32_e32 v1, 0xff, v6
	s_or_b64 s[4:5], s[4:5], s[8:9]
; %bb.185:
	s_or_b64 exec, exec, s[6:7]
	v_mov_b32_dpp v6, v1 row_bcast:31 row_mask:0xf bank_mask:0xf bound_ctrl:1
	v_and_b32_e32 v7, 1, v6
	v_mov_b32_dpp v4, v2 row_bcast:31 row_mask:0xf bank_mask:0xf bound_ctrl:1
	v_mov_b32_dpp v5, v3 row_bcast:31 row_mask:0xf bank_mask:0xf bound_ctrl:1
	v_cmp_eq_u32_e32 vcc, 1, v7
	s_and_saveexec_b64 s[6:7], vcc
; %bb.186:
	v_cmp_lt_i64_e32 vcc, v[2:3], v[4:5]
	v_and_b32_e32 v1, 0xff, v6
	s_and_b64 vcc, s[4:5], vcc
	v_cndmask_b32_e32 v2, v4, v2, vcc
	v_cndmask_b32_e32 v3, v5, v3, vcc
	v_cndmask_b32_e64 v1, v1, 1, s[4:5]
; %bb.187:
	s_or_b64 exec, exec, s[6:7]
	v_mbcnt_lo_u32_b32 v4, -1, 0
	v_mbcnt_hi_u32_b32 v4, -1, v4
	v_bfrev_b32_e32 v5, 0.5
	v_lshl_or_b32 v5, v4, 2, v5
	ds_bpermute_b32 v6, v5, v1
	ds_bpermute_b32 v2, v5, v2
	;; [unrolled: 1-line block ×3, first 2 shown]
	v_cmp_eq_u32_e32 vcc, 0, v4
	s_and_saveexec_b64 s[4:5], vcc
	s_cbranch_execz .LBB130_189
; %bb.188:
	v_lshrrev_b32_e32 v1, 2, v0
	v_and_b32_e32 v1, 48, v1
	s_waitcnt lgkmcnt(2)
	ds_write_b8 v1, v6 offset:192
	s_waitcnt lgkmcnt(1)
	ds_write_b64 v1, v[2:3] offset:200
.LBB130_189:
	s_or_b64 exec, exec, s[4:5]
	v_cmp_gt_u32_e32 vcc, 64, v0
	s_waitcnt lgkmcnt(0)
	s_barrier
	s_and_saveexec_b64 s[6:7], vcc
	s_cbranch_execz .LBB130_191
; %bb.190:
	v_and_b32_e32 v1, 3, v4
	v_lshlrev_b32_e32 v2, 4, v1
	ds_read_u8 v5, v2 offset:192
	ds_read_b64 v[2:3], v2 offset:200
	v_cmp_ne_u32_e32 vcc, 3, v1
	s_waitcnt lgkmcnt(1)
	v_and_b32_e32 v7, 0xff, v5
	v_addc_co_u32_e32 v6, vcc, 0, v4, vcc
	v_lshlrev_b32_e32 v8, 2, v6
	ds_bpermute_b32 v9, v8, v7
	s_waitcnt lgkmcnt(1)
	ds_bpermute_b32 v6, v8, v2
	ds_bpermute_b32 v7, v8, v3
	v_and_b32_e32 v8, 1, v5
	s_waitcnt lgkmcnt(2)
	v_and_b32_e32 v10, 1, v9
	v_cmp_eq_u32_e64 s[4:5], 1, v10
	s_waitcnt lgkmcnt(0)
	v_cmp_lt_i64_e32 vcc, v[6:7], v[2:3]
	s_and_b64 vcc, s[4:5], vcc
	v_cndmask_b32_e64 v5, v5, 1, s[4:5]
	v_cndmask_b32_e32 v2, v2, v6, vcc
	v_cndmask_b32_e32 v3, v3, v7, vcc
	v_cmp_eq_u32_e32 vcc, 1, v8
	s_nop 1
	v_cndmask_b32_e32 v8, v9, v5, vcc
	v_cndmask_b32_e32 v3, v7, v3, vcc
	;; [unrolled: 1-line block ×3, first 2 shown]
	v_cmp_gt_u32_e32 vcc, 2, v1
	v_and_b32_e32 v5, 0xff, v8
	s_nop 0
	v_cndmask_b32_e64 v1, 0, 1, vcc
	v_lshlrev_b32_e32 v1, 1, v1
	v_add_lshl_u32 v1, v1, v4, 2
	ds_bpermute_b32 v6, v1, v5
	ds_bpermute_b32 v4, v1, v2
	;; [unrolled: 1-line block ×3, first 2 shown]
	v_and_b32_e32 v1, 1, v8
	s_waitcnt lgkmcnt(2)
	v_and_b32_e32 v7, 1, v6
	v_cmp_eq_u32_e64 s[4:5], 1, v7
	s_waitcnt lgkmcnt(0)
	v_cmp_lt_i64_e32 vcc, v[4:5], v[2:3]
	s_and_b64 vcc, s[4:5], vcc
	v_cndmask_b32_e64 v7, v8, 1, s[4:5]
	v_cndmask_b32_e32 v2, v2, v4, vcc
	v_cndmask_b32_e32 v3, v3, v5, vcc
	v_cmp_eq_u32_e32 vcc, 1, v1
	s_nop 1
	v_cndmask_b32_e32 v1, v6, v7, vcc
	v_cndmask_b32_e32 v3, v5, v3, vcc
	;; [unrolled: 1-line block ×3, first 2 shown]
	v_and_b32_e32 v6, 0xff, v1
.LBB130_191:
	s_or_b64 exec, exec, s[6:7]
	s_branch .LBB130_227
.LBB130_192:
                                        ; implicit-def: $vgpr4_vgpr5
                                        ; implicit-def: $vgpr1
.LBB130_193:
	s_branch .LBB130_307
.LBB130_194:
                                        ; implicit-def: $vgpr2_vgpr3
                                        ; implicit-def: $vgpr6
	s_cbranch_execz .LBB130_227
; %bb.195:
	s_sub_i32 s20, s38, s16
	s_waitcnt lgkmcnt(2)
	v_mov_b64_e32 v[6:7], 0
	v_cmp_gt_u32_e32 vcc, s20, v0
	v_mov_b32_e32 v13, 0
	v_mov_b64_e32 v[2:3], v[6:7]
	v_mov_b32_e32 v12, 0
	s_and_saveexec_b64 s[4:5], vcc
	s_cbranch_execz .LBB130_197
; %bb.196:
	v_lshlrev_b32_e32 v1, 2, v0
	s_waitcnt lgkmcnt(1)
	global_load_dword v4, v1, s[10:11]
	s_waitcnt lgkmcnt(0)
	global_load_dword v5, v1, s[12:13]
	v_mov_b32_e32 v1, 0
	v_lshl_add_u64 v[2:3], s[14:15], 0, v[0:1]
	s_waitcnt vmcnt(0)
	v_cmp_ne_u32_e32 vcc, v4, v5
	s_nop 1
	v_cndmask_b32_e64 v12, 0, 1, vcc
.LBB130_197:
	s_or_b64 exec, exec, s[4:5]
	s_waitcnt lgkmcnt(1)
	v_or_b32_e32 v4, 0x100, v0
	v_cmp_gt_u32_e64 s[6:7], s20, v4
	s_and_saveexec_b64 s[4:5], s[6:7]
	s_cbranch_execz .LBB130_199
; %bb.198:
	v_lshlrev_b32_e32 v1, 2, v0
	global_load_dword v8, v1, s[10:11] offset:1024
	global_load_dword v9, v1, s[12:13] offset:1024
	s_waitcnt lgkmcnt(0)
	v_mov_b32_e32 v5, 0
	v_lshl_add_u64 v[6:7], s[14:15], 0, v[4:5]
	s_waitcnt vmcnt(0)
	v_cmp_ne_u32_e32 vcc, v8, v9
	s_nop 1
	v_cndmask_b32_e64 v13, 0, 1, vcc
.LBB130_199:
	s_or_b64 exec, exec, s[4:5]
	v_or_b32_e32 v10, 0x200, v0
	s_waitcnt lgkmcnt(0)
	v_mov_b64_e32 v[4:5], 0
	v_cmp_gt_u32_e64 s[4:5], s20, v10
	v_mov_b32_e32 v1, 0
	v_mov_b64_e32 v[8:9], v[4:5]
	v_mov_b32_e32 v14, 0
	s_and_saveexec_b64 s[8:9], s[4:5]
	s_cbranch_execz .LBB130_201
; %bb.200:
	v_lshlrev_b32_e32 v8, 2, v0
	global_load_dword v14, v8, s[10:11] offset:2048
	global_load_dword v15, v8, s[12:13] offset:2048
	v_mov_b32_e32 v11, 0
	v_lshl_add_u64 v[8:9], s[14:15], 0, v[10:11]
	s_waitcnt vmcnt(0)
	v_cmp_ne_u32_e32 vcc, v14, v15
	s_nop 1
	v_cndmask_b32_e64 v14, 0, 1, vcc
.LBB130_201:
	s_or_b64 exec, exec, s[8:9]
	v_or_b32_e32 v10, 0x300, v0
	v_cmp_gt_u32_e32 vcc, s20, v10
	s_and_saveexec_b64 s[16:17], vcc
	s_cbranch_execnz .LBB130_339
; %bb.202:
	s_or_b64 exec, exec, s[16:17]
	s_and_saveexec_b64 s[10:11], s[6:7]
	s_cbranch_execnz .LBB130_340
.LBB130_203:
	s_or_b64 exec, exec, s[10:11]
	s_and_saveexec_b64 s[8:9], s[4:5]
	s_cbranch_execnz .LBB130_341
.LBB130_204:
	s_or_b64 exec, exec, s[8:9]
	s_and_saveexec_b64 s[6:7], vcc
	s_cbranch_execz .LBB130_206
.LBB130_205:
	v_and_b32_e32 v7, 1, v1
	v_cmp_lt_i64_e32 vcc, v[4:5], v[2:3]
	v_cmp_eq_u32_e64 s[4:5], 1, v7
	v_and_b32_e32 v6, 1, v12
	s_and_b64 vcc, s[4:5], vcc
	v_cndmask_b32_e64 v7, v12, 1, s[4:5]
	v_cndmask_b32_e32 v2, v2, v4, vcc
	v_cndmask_b32_e32 v3, v3, v5, vcc
	v_cmp_eq_u32_e32 vcc, 1, v6
	s_nop 1
	v_cndmask_b32_e32 v12, v1, v7, vcc
	v_cndmask_b32_e32 v3, v5, v3, vcc
	;; [unrolled: 1-line block ×3, first 2 shown]
.LBB130_206:
	s_or_b64 exec, exec, s[6:7]
	v_mbcnt_lo_u32_b32 v1, -1, 0
	v_mbcnt_hi_u32_b32 v1, -1, v1
	v_and_b32_e32 v7, 63, v1
	v_cmp_ne_u32_e32 vcc, 63, v7
	v_and_b32_e32 v6, 0xffff, v12
	s_min_u32 s8, s20, 0x100
	v_addc_co_u32_e32 v4, vcc, 0, v1, vcc
	v_lshlrev_b32_e32 v5, 2, v4
	ds_bpermute_b32 v10, v5, v6
	ds_bpermute_b32 v4, v5, v2
	;; [unrolled: 1-line block ×3, first 2 shown]
	v_and_b32_e32 v8, 0xc0, v0
	v_sub_u32_e64 v9, s8, v8 clamp
	v_add_u32_e32 v8, 1, v7
	v_cmp_lt_u32_e32 vcc, v8, v9
	v_mov_b32_e32 v8, v6
	s_and_saveexec_b64 s[4:5], vcc
	s_xor_b64 s[6:7], exec, s[4:5]
	s_cbranch_execz .LBB130_208
; %bb.207:
	s_waitcnt lgkmcnt(2)
	v_and_b32_e32 v11, 1, v10
	s_waitcnt lgkmcnt(0)
	v_cmp_lt_i64_e32 vcc, v[4:5], v[2:3]
	v_cmp_eq_u32_e64 s[4:5], 1, v11
	v_and_b32_e32 v8, 1, v12
	s_and_b64 vcc, s[4:5], vcc
	v_cndmask_b32_e64 v6, v6, 1, s[4:5]
	v_cndmask_b32_e32 v2, v2, v4, vcc
	v_cndmask_b32_e32 v3, v3, v5, vcc
	v_cmp_eq_u32_e32 vcc, 1, v8
	s_nop 1
	v_cndmask_b32_e32 v8, v10, v6, vcc
	v_cndmask_b32_e32 v3, v5, v3, vcc
	v_cndmask_b32_e32 v2, v4, v2, vcc
	v_and_b32_e32 v6, 0xff, v8
.LBB130_208:
	s_or_b64 exec, exec, s[6:7]
	v_cmp_gt_u32_e32 vcc, 62, v7
	v_add_u32_e32 v11, 2, v7
	s_waitcnt lgkmcnt(1)
	v_cndmask_b32_e64 v4, 0, 1, vcc
	v_lshlrev_b32_e32 v4, 1, v4
	s_waitcnt lgkmcnt(0)
	v_add_lshl_u32 v5, v4, v1, 2
	ds_bpermute_b32 v10, v5, v6
	ds_bpermute_b32 v4, v5, v2
	ds_bpermute_b32 v5, v5, v3
	v_cmp_lt_u32_e32 vcc, v11, v9
	s_and_saveexec_b64 s[6:7], vcc
	s_cbranch_execz .LBB130_210
; %bb.209:
	s_waitcnt lgkmcnt(2)
	v_and_b32_e32 v11, 1, v10
	s_waitcnt lgkmcnt(0)
	v_cmp_lt_i64_e32 vcc, v[4:5], v[2:3]
	v_cmp_eq_u32_e64 s[4:5], 1, v11
	v_and_b32_e32 v6, 1, v8
	s_and_b64 vcc, s[4:5], vcc
	v_cndmask_b32_e64 v8, v8, 1, s[4:5]
	v_cndmask_b32_e32 v2, v2, v4, vcc
	v_cndmask_b32_e32 v3, v3, v5, vcc
	v_cmp_eq_u32_e32 vcc, 1, v6
	s_nop 1
	v_cndmask_b32_e32 v8, v10, v8, vcc
	v_cndmask_b32_e32 v3, v5, v3, vcc
	v_cndmask_b32_e32 v2, v4, v2, vcc
	v_and_b32_e32 v6, 0xff, v8
.LBB130_210:
	s_or_b64 exec, exec, s[6:7]
	v_cmp_gt_u32_e32 vcc, 60, v7
	v_add_u32_e32 v11, 4, v7
	s_waitcnt lgkmcnt(1)
	v_cndmask_b32_e64 v4, 0, 1, vcc
	v_lshlrev_b32_e32 v4, 2, v4
	s_waitcnt lgkmcnt(0)
	v_add_lshl_u32 v5, v4, v1, 2
	ds_bpermute_b32 v10, v5, v6
	ds_bpermute_b32 v4, v5, v2
	ds_bpermute_b32 v5, v5, v3
	v_cmp_lt_u32_e32 vcc, v11, v9
	s_and_saveexec_b64 s[6:7], vcc
	;; [unrolled: 32-line block ×5, first 2 shown]
	s_cbranch_execz .LBB130_218
; %bb.217:
	s_waitcnt lgkmcnt(2)
	v_and_b32_e32 v7, 1, v10
	s_waitcnt lgkmcnt(0)
	v_cmp_lt_i64_e32 vcc, v[4:5], v[2:3]
	v_cmp_eq_u32_e64 s[4:5], 1, v7
	v_and_b32_e32 v6, 1, v8
	s_and_b64 vcc, s[4:5], vcc
	v_cndmask_b32_e64 v7, v8, 1, s[4:5]
	v_cndmask_b32_e32 v2, v2, v4, vcc
	v_cndmask_b32_e32 v3, v3, v5, vcc
	v_cmp_eq_u32_e32 vcc, 1, v6
	s_nop 1
	v_cndmask_b32_e32 v8, v10, v7, vcc
	v_cndmask_b32_e32 v3, v5, v3, vcc
	;; [unrolled: 1-line block ×3, first 2 shown]
	v_and_b32_e32 v6, 0xff, v8
.LBB130_218:
	s_or_b64 exec, exec, s[6:7]
	v_cmp_eq_u32_e32 vcc, 0, v1
	s_and_saveexec_b64 s[4:5], vcc
	s_cbranch_execz .LBB130_220
; %bb.219:
	s_waitcnt lgkmcnt(1)
	v_lshrrev_b32_e32 v4, 2, v0
	v_and_b32_e32 v4, 48, v4
	ds_write_b8 v4, v8 offset:320
	ds_write_b64 v4, v[2:3] offset:328
.LBB130_220:
	s_or_b64 exec, exec, s[4:5]
	v_cmp_gt_u32_e32 vcc, 4, v0
	s_waitcnt lgkmcnt(0)
	s_barrier
	s_and_saveexec_b64 s[6:7], vcc
	s_cbranch_execz .LBB130_226
; %bb.221:
	v_lshlrev_b32_e32 v2, 4, v1
	ds_read_u8 v7, v2 offset:320
	ds_read_b64 v[2:3], v2 offset:328
	v_and_b32_e32 v8, 3, v1
	v_cmp_ne_u32_e32 vcc, 3, v8
	s_add_i32 s8, s8, 63
	s_waitcnt lgkmcnt(1)
	v_and_b32_e32 v6, 0xff, v7
	v_addc_co_u32_e32 v4, vcc, 0, v1, vcc
	v_lshlrev_b32_e32 v5, 2, v4
	ds_bpermute_b32 v9, v5, v6
	s_waitcnt lgkmcnt(1)
	ds_bpermute_b32 v4, v5, v2
	ds_bpermute_b32 v5, v5, v3
	s_lshr_b32 s10, s8, 6
	v_add_u32_e32 v10, 1, v8
	v_cmp_gt_u32_e32 vcc, s10, v10
	s_and_saveexec_b64 s[8:9], vcc
	s_cbranch_execz .LBB130_223
; %bb.222:
	s_waitcnt lgkmcnt(2)
	v_and_b32_e32 v10, 1, v9
	s_waitcnt lgkmcnt(0)
	v_cmp_lt_i64_e32 vcc, v[4:5], v[2:3]
	v_cmp_eq_u32_e64 s[4:5], 1, v10
	v_and_b32_e32 v6, 1, v7
	s_and_b64 vcc, s[4:5], vcc
	v_cndmask_b32_e64 v7, v7, 1, s[4:5]
	v_cndmask_b32_e32 v2, v2, v4, vcc
	v_cndmask_b32_e32 v3, v3, v5, vcc
	v_cmp_eq_u32_e32 vcc, 1, v6
	s_nop 1
	v_cndmask_b32_e32 v7, v9, v7, vcc
	v_cndmask_b32_e32 v3, v5, v3, vcc
	;; [unrolled: 1-line block ×3, first 2 shown]
	v_and_b32_e32 v6, 0xff, v7
.LBB130_223:
	s_or_b64 exec, exec, s[8:9]
	v_cmp_gt_u32_e32 vcc, 2, v8
	v_add_u32_e32 v8, 2, v8
	s_waitcnt lgkmcnt(1)
	v_cndmask_b32_e64 v4, 0, 1, vcc
	v_lshlrev_b32_e32 v4, 1, v4
	s_waitcnt lgkmcnt(0)
	v_add_lshl_u32 v5, v4, v1, 2
	ds_bpermute_b32 v1, v5, v6
	ds_bpermute_b32 v4, v5, v2
	;; [unrolled: 1-line block ×3, first 2 shown]
	v_cmp_gt_u32_e32 vcc, s10, v8
	s_and_saveexec_b64 s[8:9], vcc
	s_cbranch_execz .LBB130_225
; %bb.224:
	s_waitcnt lgkmcnt(2)
	v_and_b32_e32 v8, 1, v1
	s_waitcnt lgkmcnt(0)
	v_cmp_lt_i64_e32 vcc, v[4:5], v[2:3]
	v_cmp_eq_u32_e64 s[4:5], 1, v8
	v_and_b32_e32 v6, 1, v7
	s_and_b64 vcc, s[4:5], vcc
	v_cndmask_b32_e64 v7, v7, 1, s[4:5]
	v_cndmask_b32_e32 v2, v2, v4, vcc
	v_cndmask_b32_e32 v3, v3, v5, vcc
	v_cmp_eq_u32_e32 vcc, 1, v6
	s_nop 1
	v_cndmask_b32_e32 v1, v1, v7, vcc
	v_cndmask_b32_e32 v3, v5, v3, vcc
	v_cndmask_b32_e32 v2, v4, v2, vcc
	v_and_b32_e32 v6, 0xff, v1
.LBB130_225:
	s_or_b64 exec, exec, s[8:9]
.LBB130_226:
	s_or_b64 exec, exec, s[6:7]
.LBB130_227:
	v_cmp_eq_u32_e32 vcc, 0, v0
                                        ; implicit-def: $vgpr4_vgpr5
                                        ; implicit-def: $vgpr1
	s_and_saveexec_b64 s[4:5], vcc
	s_xor_b64 s[8:9], exec, s[4:5]
	s_cbranch_execz .LBB130_231
; %bb.228:
	s_cmp_eq_u64 s[38:39], 0
	s_waitcnt lgkmcnt(0)
	v_mov_b64_e32 v[4:5], s[44:45]
	v_mov_b32_e32 v1, s33
	s_cbranch_scc1 .LBB130_230
; %bb.229:
	v_and_b32_e32 v1, 1, v6
	s_bitcmp1_b32 s33, 0
	v_mov_b32_e32 v4, s33
	v_cmp_eq_u32_e32 vcc, 1, v1
	v_cmp_gt_i64_e64 s[6:7], s[44:45], v[2:3]
	s_cselect_b64 s[4:5], -1, 0
	v_cndmask_b32_e64 v1, v4, 1, vcc
	v_mov_b32_e32 v4, s44
	s_and_b64 vcc, vcc, s[6:7]
	v_mov_b32_e32 v5, s45
	v_cndmask_b32_e32 v4, v4, v2, vcc
	v_cndmask_b32_e32 v5, v5, v3, vcc
	v_cndmask_b32_e64 v1, v6, v1, s[4:5]
	v_cndmask_b32_e64 v5, v3, v5, s[4:5]
	;; [unrolled: 1-line block ×3, first 2 shown]
.LBB130_230:
	s_or_b64 s[18:19], s[18:19], exec
.LBB130_231:
	s_or_b64 exec, exec, s[8:9]
	s_branch .LBB130_307
.LBB130_232:
	s_cmp_gt_i32 s54, 1
	s_cbranch_scc0 .LBB130_252
; %bb.233:
	s_cmp_eq_u32 s54, 2
	s_cbranch_scc0 .LBB130_253
; %bb.234:
	s_mov_b32 s3, 0
	s_lshl_b32 s12, s2, 9
	s_mov_b32 s13, s3
	s_lshr_b64 s[4:5], s[38:39], 9
	s_lshl_b64 s[8:9], s[12:13], 2
	s_add_u32 s6, s40, s8
	s_addc_u32 s7, s41, s9
	s_add_u32 s8, s42, s8
	s_addc_u32 s9, s43, s9
	;; [unrolled: 2-line block ×3, first 2 shown]
	s_cmp_lg_u64 s[4:5], s[2:3]
	s_cbranch_scc0 .LBB130_254
; %bb.235:
	s_waitcnt lgkmcnt(2)
	v_lshlrev_b32_e32 v1, 2, v0
	global_load_dword v6, v1, s[8:9] offset:1024
	global_load_dword v7, v1, s[8:9]
	global_load_dword v8, v1, s[6:7] offset:1024
	global_load_dword v9, v1, s[6:7]
	v_mov_b32_e32 v1, 0
	s_mov_b64 s[4:5], 0x100
	v_lshl_add_u64 v[2:3], s[10:11], 0, v[0:1]
	s_waitcnt lgkmcnt(0)
	v_lshl_add_u64 v[4:5], v[2:3], 0, s[4:5]
	s_waitcnt vmcnt(1)
	v_cmp_ne_u32_e32 vcc, v8, v6
	s_waitcnt vmcnt(0)
	v_cmp_ne_u32_e64 s[4:5], v9, v7
	s_nop 1
	v_cndmask_b32_e64 v3, v5, v3, s[4:5]
	v_cndmask_b32_e64 v2, v4, v2, s[4:5]
	s_or_b64 s[4:5], s[4:5], vcc
	v_cndmask_b32_e64 v1, 0, 1, s[4:5]
	v_mov_b32_dpp v4, v2 quad_perm:[1,0,3,2] row_mask:0xf bank_mask:0xf bound_ctrl:1
	v_mov_b32_dpp v5, v3 quad_perm:[1,0,3,2] row_mask:0xf bank_mask:0xf bound_ctrl:1
	;; [unrolled: 1-line block ×3, first 2 shown]
	v_and_b32_e32 v7, 1, v6
	v_cmp_eq_u32_e32 vcc, 1, v7
	s_and_saveexec_b64 s[14:15], vcc
; %bb.236:
	v_cmp_lt_i64_e32 vcc, v[2:3], v[4:5]
	v_cndmask_b32_e64 v6, v6, 1, s[4:5]
	s_and_b64 vcc, s[4:5], vcc
	v_cndmask_b32_e32 v2, v4, v2, vcc
	v_and_b32_e32 v4, 1, v6
	v_cndmask_b32_e32 v3, v5, v3, vcc
	v_cmp_eq_u32_e32 vcc, 1, v4
	s_andn2_b64 s[4:5], s[4:5], exec
	s_and_b64 s[16:17], vcc, exec
	v_and_b32_e32 v1, 0xff, v6
	s_or_b64 s[4:5], s[4:5], s[16:17]
; %bb.237:
	s_or_b64 exec, exec, s[14:15]
	v_mov_b32_dpp v6, v1 quad_perm:[2,3,0,1] row_mask:0xf bank_mask:0xf bound_ctrl:1
	v_and_b32_e32 v7, 1, v6
	v_mov_b32_dpp v4, v2 quad_perm:[2,3,0,1] row_mask:0xf bank_mask:0xf bound_ctrl:1
	v_mov_b32_dpp v5, v3 quad_perm:[2,3,0,1] row_mask:0xf bank_mask:0xf bound_ctrl:1
	v_cmp_eq_u32_e32 vcc, 1, v7
	s_and_saveexec_b64 s[14:15], vcc
; %bb.238:
	v_cmp_lt_i64_e32 vcc, v[2:3], v[4:5]
	v_cndmask_b32_e64 v6, v6, 1, s[4:5]
	s_and_b64 vcc, s[4:5], vcc
	v_cndmask_b32_e32 v2, v4, v2, vcc
	v_and_b32_e32 v4, 1, v6
	v_cndmask_b32_e32 v3, v5, v3, vcc
	v_cmp_eq_u32_e32 vcc, 1, v4
	s_andn2_b64 s[4:5], s[4:5], exec
	s_and_b64 s[16:17], vcc, exec
	v_and_b32_e32 v1, 0xff, v6
	s_or_b64 s[4:5], s[4:5], s[16:17]
; %bb.239:
	s_or_b64 exec, exec, s[14:15]
	v_mov_b32_dpp v6, v1 row_ror:4 row_mask:0xf bank_mask:0xf bound_ctrl:1
	v_and_b32_e32 v7, 1, v6
	v_mov_b32_dpp v4, v2 row_ror:4 row_mask:0xf bank_mask:0xf bound_ctrl:1
	v_mov_b32_dpp v5, v3 row_ror:4 row_mask:0xf bank_mask:0xf bound_ctrl:1
	v_cmp_eq_u32_e32 vcc, 1, v7
	s_and_saveexec_b64 s[14:15], vcc
; %bb.240:
	v_cmp_lt_i64_e32 vcc, v[2:3], v[4:5]
	v_cndmask_b32_e64 v6, v6, 1, s[4:5]
	s_and_b64 vcc, s[4:5], vcc
	v_cndmask_b32_e32 v2, v4, v2, vcc
	v_and_b32_e32 v4, 1, v6
	v_cndmask_b32_e32 v3, v5, v3, vcc
	v_cmp_eq_u32_e32 vcc, 1, v4
	s_andn2_b64 s[4:5], s[4:5], exec
	s_and_b64 s[16:17], vcc, exec
	v_and_b32_e32 v1, 0xff, v6
	s_or_b64 s[4:5], s[4:5], s[16:17]
; %bb.241:
	s_or_b64 exec, exec, s[14:15]
	v_mov_b32_dpp v6, v1 row_ror:8 row_mask:0xf bank_mask:0xf bound_ctrl:1
	v_and_b32_e32 v7, 1, v6
	v_mov_b32_dpp v4, v2 row_ror:8 row_mask:0xf bank_mask:0xf bound_ctrl:1
	v_mov_b32_dpp v5, v3 row_ror:8 row_mask:0xf bank_mask:0xf bound_ctrl:1
	v_cmp_eq_u32_e32 vcc, 1, v7
	s_and_saveexec_b64 s[14:15], vcc
; %bb.242:
	v_cmp_lt_i64_e32 vcc, v[2:3], v[4:5]
	v_cndmask_b32_e64 v6, v6, 1, s[4:5]
	s_and_b64 vcc, s[4:5], vcc
	v_cndmask_b32_e32 v2, v4, v2, vcc
	v_and_b32_e32 v4, 1, v6
	v_cndmask_b32_e32 v3, v5, v3, vcc
	v_cmp_eq_u32_e32 vcc, 1, v4
	s_andn2_b64 s[4:5], s[4:5], exec
	s_and_b64 s[16:17], vcc, exec
	v_and_b32_e32 v1, 0xff, v6
	s_or_b64 s[4:5], s[4:5], s[16:17]
; %bb.243:
	s_or_b64 exec, exec, s[14:15]
	v_mov_b32_dpp v6, v1 row_bcast:15 row_mask:0xf bank_mask:0xf bound_ctrl:1
	v_and_b32_e32 v7, 1, v6
	v_mov_b32_dpp v4, v2 row_bcast:15 row_mask:0xf bank_mask:0xf bound_ctrl:1
	v_mov_b32_dpp v5, v3 row_bcast:15 row_mask:0xf bank_mask:0xf bound_ctrl:1
	v_cmp_eq_u32_e32 vcc, 1, v7
	s_and_saveexec_b64 s[14:15], vcc
; %bb.244:
	v_cmp_lt_i64_e32 vcc, v[2:3], v[4:5]
	v_cndmask_b32_e64 v6, v6, 1, s[4:5]
	s_and_b64 vcc, s[4:5], vcc
	v_cndmask_b32_e32 v2, v4, v2, vcc
	v_and_b32_e32 v4, 1, v6
	v_cndmask_b32_e32 v3, v5, v3, vcc
	v_cmp_eq_u32_e32 vcc, 1, v4
	s_andn2_b64 s[4:5], s[4:5], exec
	s_and_b64 s[16:17], vcc, exec
	v_and_b32_e32 v1, 0xff, v6
	s_or_b64 s[4:5], s[4:5], s[16:17]
; %bb.245:
	s_or_b64 exec, exec, s[14:15]
	v_mov_b32_dpp v6, v1 row_bcast:31 row_mask:0xf bank_mask:0xf bound_ctrl:1
	v_and_b32_e32 v7, 1, v6
	v_mov_b32_dpp v4, v2 row_bcast:31 row_mask:0xf bank_mask:0xf bound_ctrl:1
	v_mov_b32_dpp v5, v3 row_bcast:31 row_mask:0xf bank_mask:0xf bound_ctrl:1
	v_cmp_eq_u32_e32 vcc, 1, v7
	s_and_saveexec_b64 s[14:15], vcc
; %bb.246:
	v_cmp_lt_i64_e32 vcc, v[2:3], v[4:5]
	v_and_b32_e32 v1, 0xff, v6
	s_and_b64 vcc, s[4:5], vcc
	v_cndmask_b32_e32 v2, v4, v2, vcc
	v_cndmask_b32_e32 v3, v5, v3, vcc
	v_cndmask_b32_e64 v1, v1, 1, s[4:5]
; %bb.247:
	s_or_b64 exec, exec, s[14:15]
	v_mbcnt_lo_u32_b32 v4, -1, 0
	v_mbcnt_hi_u32_b32 v4, -1, v4
	v_bfrev_b32_e32 v5, 0.5
	v_lshl_or_b32 v5, v4, 2, v5
	ds_bpermute_b32 v6, v5, v1
	ds_bpermute_b32 v2, v5, v2
	;; [unrolled: 1-line block ×3, first 2 shown]
	v_cmp_eq_u32_e32 vcc, 0, v4
	s_and_saveexec_b64 s[4:5], vcc
	s_cbranch_execz .LBB130_249
; %bb.248:
	v_lshrrev_b32_e32 v1, 2, v0
	v_and_b32_e32 v1, 48, v1
	s_waitcnt lgkmcnt(2)
	ds_write_b8 v1, v6 offset:128
	s_waitcnt lgkmcnt(1)
	ds_write_b64 v1, v[2:3] offset:136
.LBB130_249:
	s_or_b64 exec, exec, s[4:5]
	v_cmp_gt_u32_e32 vcc, 64, v0
	s_waitcnt lgkmcnt(0)
	s_barrier
	s_and_saveexec_b64 s[14:15], vcc
	s_cbranch_execz .LBB130_251
; %bb.250:
	v_and_b32_e32 v1, 3, v4
	v_lshlrev_b32_e32 v2, 4, v1
	ds_read_u8 v5, v2 offset:128
	ds_read_b64 v[2:3], v2 offset:136
	v_cmp_ne_u32_e32 vcc, 3, v1
	s_waitcnt lgkmcnt(1)
	v_and_b32_e32 v7, 0xff, v5
	v_addc_co_u32_e32 v6, vcc, 0, v4, vcc
	v_lshlrev_b32_e32 v8, 2, v6
	ds_bpermute_b32 v9, v8, v7
	s_waitcnt lgkmcnt(1)
	ds_bpermute_b32 v6, v8, v2
	ds_bpermute_b32 v7, v8, v3
	v_and_b32_e32 v8, 1, v5
	s_waitcnt lgkmcnt(2)
	v_and_b32_e32 v10, 1, v9
	v_cmp_eq_u32_e64 s[4:5], 1, v10
	s_waitcnt lgkmcnt(0)
	v_cmp_lt_i64_e32 vcc, v[6:7], v[2:3]
	s_and_b64 vcc, s[4:5], vcc
	v_cndmask_b32_e64 v5, v5, 1, s[4:5]
	v_cndmask_b32_e32 v2, v2, v6, vcc
	v_cndmask_b32_e32 v3, v3, v7, vcc
	v_cmp_eq_u32_e32 vcc, 1, v8
	s_nop 1
	v_cndmask_b32_e32 v8, v9, v5, vcc
	v_cndmask_b32_e32 v3, v7, v3, vcc
	;; [unrolled: 1-line block ×3, first 2 shown]
	v_cmp_gt_u32_e32 vcc, 2, v1
	v_and_b32_e32 v5, 0xff, v8
	s_nop 0
	v_cndmask_b32_e64 v1, 0, 1, vcc
	v_lshlrev_b32_e32 v1, 1, v1
	v_add_lshl_u32 v1, v1, v4, 2
	ds_bpermute_b32 v6, v1, v5
	ds_bpermute_b32 v4, v1, v2
	ds_bpermute_b32 v5, v1, v3
	v_and_b32_e32 v1, 1, v8
	s_waitcnt lgkmcnt(2)
	v_and_b32_e32 v7, 1, v6
	v_cmp_eq_u32_e64 s[4:5], 1, v7
	s_waitcnt lgkmcnt(0)
	v_cmp_lt_i64_e32 vcc, v[4:5], v[2:3]
	s_and_b64 vcc, s[4:5], vcc
	v_cndmask_b32_e64 v7, v8, 1, s[4:5]
	v_cndmask_b32_e32 v2, v2, v4, vcc
	v_cndmask_b32_e32 v3, v3, v5, vcc
	v_cmp_eq_u32_e32 vcc, 1, v1
	s_nop 1
	v_cndmask_b32_e32 v1, v6, v7, vcc
	v_cndmask_b32_e32 v3, v5, v3, vcc
	;; [unrolled: 1-line block ×3, first 2 shown]
	v_and_b32_e32 v6, 0xff, v1
.LBB130_251:
	s_or_b64 exec, exec, s[14:15]
	s_branch .LBB130_282
.LBB130_252:
                                        ; implicit-def: $vgpr4_vgpr5
                                        ; implicit-def: $vgpr1
	s_cbranch_execnz .LBB130_287
	s_branch .LBB130_307
.LBB130_253:
                                        ; implicit-def: $vgpr4_vgpr5
                                        ; implicit-def: $vgpr1
	s_branch .LBB130_307
.LBB130_254:
                                        ; implicit-def: $vgpr2_vgpr3
                                        ; implicit-def: $vgpr6
	s_cbranch_execz .LBB130_282
; %bb.255:
	s_sub_i32 s14, s38, s12
	s_waitcnt lgkmcnt(0)
	v_mov_b64_e32 v[4:5], 0
	v_cmp_gt_u32_e32 vcc, s14, v0
	v_mov_b32_e32 v7, 0
	v_mov_b64_e32 v[2:3], v[4:5]
	v_mov_b32_e32 v8, 0
	s_and_saveexec_b64 s[4:5], vcc
	s_cbranch_execz .LBB130_257
; %bb.256:
	v_lshlrev_b32_e32 v1, 2, v0
	global_load_dword v6, v1, s[6:7]
	global_load_dword v8, v1, s[8:9]
	v_mov_b32_e32 v1, 0
	v_lshl_add_u64 v[2:3], s[10:11], 0, v[0:1]
	s_waitcnt vmcnt(0)
	v_cmp_ne_u32_e32 vcc, v6, v8
	s_nop 1
	v_cndmask_b32_e64 v8, 0, 1, vcc
.LBB130_257:
	s_or_b64 exec, exec, s[4:5]
	v_or_b32_e32 v6, 0x100, v0
	v_cmp_gt_u32_e32 vcc, s14, v6
	s_and_saveexec_b64 s[12:13], vcc
	s_cbranch_execz .LBB130_259
; %bb.258:
	v_lshlrev_b32_e32 v1, 2, v0
	global_load_dword v9, v1, s[6:7] offset:1024
	global_load_dword v10, v1, s[8:9] offset:1024
	v_mov_b32_e32 v7, 0
	v_lshl_add_u64 v[4:5], s[10:11], 0, v[6:7]
	s_waitcnt vmcnt(0)
	v_cmp_ne_u32_e64 s[4:5], v9, v10
	s_nop 1
	v_cndmask_b32_e64 v7, 0, 1, s[4:5]
.LBB130_259:
	s_or_b64 exec, exec, s[12:13]
	s_and_saveexec_b64 s[6:7], vcc
	s_cbranch_execz .LBB130_261
; %bb.260:
	v_and_b32_e32 v6, 1, v7
	v_cmp_lt_i64_e32 vcc, v[4:5], v[2:3]
	v_cmp_eq_u32_e64 s[4:5], 1, v6
	v_and_b32_e32 v1, 1, v8
	s_and_b64 vcc, s[4:5], vcc
	v_cndmask_b32_e64 v6, v8, 1, s[4:5]
	v_cndmask_b32_e32 v2, v2, v4, vcc
	v_cndmask_b32_e32 v3, v3, v5, vcc
	v_cmp_eq_u32_e32 vcc, 1, v1
	s_nop 1
	v_cndmask_b32_e32 v8, v7, v6, vcc
	v_cndmask_b32_e32 v3, v5, v3, vcc
	v_cndmask_b32_e32 v2, v4, v2, vcc
.LBB130_261:
	s_or_b64 exec, exec, s[6:7]
	v_mbcnt_lo_u32_b32 v1, -1, 0
	v_mbcnt_hi_u32_b32 v1, -1, v1
	v_and_b32_e32 v7, 63, v1
	v_cmp_ne_u32_e32 vcc, 63, v7
	v_and_b32_e32 v6, 0xffff, v8
	s_min_u32 s8, s14, 0x100
	v_addc_co_u32_e32 v4, vcc, 0, v1, vcc
	v_lshlrev_b32_e32 v5, 2, v4
	ds_bpermute_b32 v10, v5, v6
	ds_bpermute_b32 v4, v5, v2
	;; [unrolled: 1-line block ×3, first 2 shown]
	v_and_b32_e32 v9, 0xc0, v0
	v_sub_u32_e64 v9, s8, v9 clamp
	v_add_u32_e32 v11, 1, v7
	v_cmp_lt_u32_e32 vcc, v11, v9
	s_and_saveexec_b64 s[6:7], vcc
	s_cbranch_execz .LBB130_263
; %bb.262:
	s_waitcnt lgkmcnt(2)
	v_and_b32_e32 v11, 1, v10
	s_waitcnt lgkmcnt(0)
	v_cmp_lt_i64_e32 vcc, v[4:5], v[2:3]
	v_cmp_eq_u32_e64 s[4:5], 1, v11
	v_and_b32_e32 v6, 1, v8
	s_and_b64 vcc, s[4:5], vcc
	v_cndmask_b32_e64 v8, v8, 1, s[4:5]
	v_cndmask_b32_e32 v2, v2, v4, vcc
	v_cndmask_b32_e32 v3, v3, v5, vcc
	v_cmp_eq_u32_e32 vcc, 1, v6
	s_nop 1
	v_cndmask_b32_e32 v8, v10, v8, vcc
	v_cndmask_b32_e32 v3, v5, v3, vcc
	v_cndmask_b32_e32 v2, v4, v2, vcc
	v_and_b32_e32 v6, 0xff, v8
.LBB130_263:
	s_or_b64 exec, exec, s[6:7]
	v_cmp_gt_u32_e32 vcc, 62, v7
	v_add_u32_e32 v11, 2, v7
	s_waitcnt lgkmcnt(1)
	v_cndmask_b32_e64 v4, 0, 1, vcc
	v_lshlrev_b32_e32 v4, 1, v4
	s_waitcnt lgkmcnt(0)
	v_add_lshl_u32 v5, v4, v1, 2
	ds_bpermute_b32 v10, v5, v6
	ds_bpermute_b32 v4, v5, v2
	ds_bpermute_b32 v5, v5, v3
	v_cmp_lt_u32_e32 vcc, v11, v9
	s_and_saveexec_b64 s[6:7], vcc
	s_cbranch_execz .LBB130_265
; %bb.264:
	s_waitcnt lgkmcnt(2)
	v_and_b32_e32 v11, 1, v10
	s_waitcnt lgkmcnt(0)
	v_cmp_lt_i64_e32 vcc, v[4:5], v[2:3]
	v_cmp_eq_u32_e64 s[4:5], 1, v11
	v_and_b32_e32 v6, 1, v8
	s_and_b64 vcc, s[4:5], vcc
	v_cndmask_b32_e64 v8, v8, 1, s[4:5]
	v_cndmask_b32_e32 v2, v2, v4, vcc
	v_cndmask_b32_e32 v3, v3, v5, vcc
	v_cmp_eq_u32_e32 vcc, 1, v6
	s_nop 1
	v_cndmask_b32_e32 v8, v10, v8, vcc
	v_cndmask_b32_e32 v3, v5, v3, vcc
	v_cndmask_b32_e32 v2, v4, v2, vcc
	v_and_b32_e32 v6, 0xff, v8
.LBB130_265:
	s_or_b64 exec, exec, s[6:7]
	v_cmp_gt_u32_e32 vcc, 60, v7
	v_add_u32_e32 v11, 4, v7
	s_waitcnt lgkmcnt(1)
	v_cndmask_b32_e64 v4, 0, 1, vcc
	v_lshlrev_b32_e32 v4, 2, v4
	s_waitcnt lgkmcnt(0)
	v_add_lshl_u32 v5, v4, v1, 2
	ds_bpermute_b32 v10, v5, v6
	ds_bpermute_b32 v4, v5, v2
	ds_bpermute_b32 v5, v5, v3
	;; [unrolled: 32-line block ×5, first 2 shown]
	v_cmp_lt_u32_e32 vcc, v7, v9
	s_and_saveexec_b64 s[6:7], vcc
	s_cbranch_execz .LBB130_273
; %bb.272:
	s_waitcnt lgkmcnt(2)
	v_and_b32_e32 v7, 1, v10
	s_waitcnt lgkmcnt(0)
	v_cmp_lt_i64_e32 vcc, v[4:5], v[2:3]
	v_cmp_eq_u32_e64 s[4:5], 1, v7
	v_and_b32_e32 v6, 1, v8
	s_and_b64 vcc, s[4:5], vcc
	v_cndmask_b32_e64 v7, v8, 1, s[4:5]
	v_cndmask_b32_e32 v2, v2, v4, vcc
	v_cndmask_b32_e32 v3, v3, v5, vcc
	v_cmp_eq_u32_e32 vcc, 1, v6
	s_nop 1
	v_cndmask_b32_e32 v8, v10, v7, vcc
	v_cndmask_b32_e32 v3, v5, v3, vcc
	;; [unrolled: 1-line block ×3, first 2 shown]
	v_and_b32_e32 v6, 0xff, v8
.LBB130_273:
	s_or_b64 exec, exec, s[6:7]
	v_cmp_eq_u32_e32 vcc, 0, v1
	s_and_saveexec_b64 s[4:5], vcc
	s_cbranch_execz .LBB130_275
; %bb.274:
	s_waitcnt lgkmcnt(1)
	v_lshrrev_b32_e32 v4, 2, v0
	v_and_b32_e32 v4, 48, v4
	ds_write_b8 v4, v8 offset:320
	ds_write_b64 v4, v[2:3] offset:328
.LBB130_275:
	s_or_b64 exec, exec, s[4:5]
	v_cmp_gt_u32_e32 vcc, 4, v0
	s_waitcnt lgkmcnt(0)
	s_barrier
	s_and_saveexec_b64 s[6:7], vcc
	s_cbranch_execz .LBB130_281
; %bb.276:
	v_lshlrev_b32_e32 v2, 4, v1
	ds_read_u8 v7, v2 offset:320
	ds_read_b64 v[2:3], v2 offset:328
	v_and_b32_e32 v8, 3, v1
	v_cmp_ne_u32_e32 vcc, 3, v8
	s_add_i32 s8, s8, 63
	s_waitcnt lgkmcnt(1)
	v_and_b32_e32 v6, 0xff, v7
	v_addc_co_u32_e32 v4, vcc, 0, v1, vcc
	v_lshlrev_b32_e32 v5, 2, v4
	ds_bpermute_b32 v9, v5, v6
	s_waitcnt lgkmcnt(1)
	ds_bpermute_b32 v4, v5, v2
	ds_bpermute_b32 v5, v5, v3
	s_lshr_b32 s10, s8, 6
	v_add_u32_e32 v10, 1, v8
	v_cmp_gt_u32_e32 vcc, s10, v10
	s_and_saveexec_b64 s[8:9], vcc
	s_cbranch_execz .LBB130_278
; %bb.277:
	s_waitcnt lgkmcnt(2)
	v_and_b32_e32 v10, 1, v9
	s_waitcnt lgkmcnt(0)
	v_cmp_lt_i64_e32 vcc, v[4:5], v[2:3]
	v_cmp_eq_u32_e64 s[4:5], 1, v10
	v_and_b32_e32 v6, 1, v7
	s_and_b64 vcc, s[4:5], vcc
	v_cndmask_b32_e64 v7, v7, 1, s[4:5]
	v_cndmask_b32_e32 v2, v2, v4, vcc
	v_cndmask_b32_e32 v3, v3, v5, vcc
	v_cmp_eq_u32_e32 vcc, 1, v6
	s_nop 1
	v_cndmask_b32_e32 v7, v9, v7, vcc
	v_cndmask_b32_e32 v3, v5, v3, vcc
	;; [unrolled: 1-line block ×3, first 2 shown]
	v_and_b32_e32 v6, 0xff, v7
.LBB130_278:
	s_or_b64 exec, exec, s[8:9]
	v_cmp_gt_u32_e32 vcc, 2, v8
	v_add_u32_e32 v8, 2, v8
	s_waitcnt lgkmcnt(1)
	v_cndmask_b32_e64 v4, 0, 1, vcc
	v_lshlrev_b32_e32 v4, 1, v4
	s_waitcnt lgkmcnt(0)
	v_add_lshl_u32 v5, v4, v1, 2
	ds_bpermute_b32 v1, v5, v6
	ds_bpermute_b32 v4, v5, v2
	ds_bpermute_b32 v5, v5, v3
	v_cmp_gt_u32_e32 vcc, s10, v8
	s_and_saveexec_b64 s[8:9], vcc
	s_cbranch_execz .LBB130_280
; %bb.279:
	s_waitcnt lgkmcnt(2)
	v_and_b32_e32 v8, 1, v1
	s_waitcnt lgkmcnt(0)
	v_cmp_lt_i64_e32 vcc, v[4:5], v[2:3]
	v_cmp_eq_u32_e64 s[4:5], 1, v8
	v_and_b32_e32 v6, 1, v7
	s_and_b64 vcc, s[4:5], vcc
	v_cndmask_b32_e64 v7, v7, 1, s[4:5]
	v_cndmask_b32_e32 v2, v2, v4, vcc
	v_cndmask_b32_e32 v3, v3, v5, vcc
	v_cmp_eq_u32_e32 vcc, 1, v6
	s_nop 1
	v_cndmask_b32_e32 v1, v1, v7, vcc
	v_cndmask_b32_e32 v3, v5, v3, vcc
	;; [unrolled: 1-line block ×3, first 2 shown]
	v_and_b32_e32 v6, 0xff, v1
.LBB130_280:
	s_or_b64 exec, exec, s[8:9]
.LBB130_281:
	s_or_b64 exec, exec, s[6:7]
.LBB130_282:
	v_cmp_eq_u32_e32 vcc, 0, v0
                                        ; implicit-def: $vgpr4_vgpr5
                                        ; implicit-def: $vgpr1
	s_and_saveexec_b64 s[4:5], vcc
	s_xor_b64 s[8:9], exec, s[4:5]
	s_cbranch_execz .LBB130_286
; %bb.283:
	s_cmp_eq_u64 s[38:39], 0
	s_waitcnt lgkmcnt(0)
	v_mov_b64_e32 v[4:5], s[44:45]
	v_mov_b32_e32 v1, s33
	s_cbranch_scc1 .LBB130_285
; %bb.284:
	v_and_b32_e32 v1, 1, v6
	s_bitcmp1_b32 s33, 0
	v_mov_b32_e32 v4, s33
	v_cmp_eq_u32_e32 vcc, 1, v1
	v_cmp_gt_i64_e64 s[6:7], s[44:45], v[2:3]
	s_cselect_b64 s[4:5], -1, 0
	v_cndmask_b32_e64 v1, v4, 1, vcc
	v_mov_b32_e32 v4, s44
	s_and_b64 vcc, vcc, s[6:7]
	v_mov_b32_e32 v5, s45
	v_cndmask_b32_e32 v4, v4, v2, vcc
	v_cndmask_b32_e32 v5, v5, v3, vcc
	v_cndmask_b32_e64 v1, v6, v1, s[4:5]
	v_cndmask_b32_e64 v5, v3, v5, s[4:5]
	;; [unrolled: 1-line block ×3, first 2 shown]
.LBB130_285:
	s_or_b64 s[18:19], s[18:19], exec
.LBB130_286:
	s_or_b64 exec, exec, s[8:9]
	s_branch .LBB130_307
.LBB130_287:
	s_cmp_eq_u32 s54, 1
	s_cbranch_scc0 .LBB130_306
; %bb.288:
	s_mov_b32 s7, 0
	s_lshl_b32 s6, s2, 8
	s_mov_b32 s3, s7
	s_lshr_b64 s[4:5], s[38:39], 8
	s_cmp_lg_u64 s[4:5], s[2:3]
	s_cbranch_scc0 .LBB130_310
; %bb.289:
	s_lshl_b64 s[4:5], s[6:7], 2
	s_add_u32 s8, s40, s4
	s_addc_u32 s9, s41, s5
	s_add_u32 s4, s42, s4
	s_waitcnt lgkmcnt(2)
	v_lshlrev_b32_e32 v1, 2, v0
	s_addc_u32 s5, s43, s5
	s_waitcnt lgkmcnt(0)
	global_load_dword v5, v1, s[8:9]
	global_load_dword v6, v1, s[4:5]
	s_add_u32 s4, s36, s6
	v_mov_b32_e32 v1, 0
	s_addc_u32 s5, s37, 0
	v_lshl_add_u64 v[2:3], s[4:5], 0, v[0:1]
	s_waitcnt vmcnt(0)
	v_cmp_ne_u32_e32 vcc, v5, v6
	s_nop 1
	v_cndmask_b32_e64 v1, 0, 1, vcc
	v_mov_b32_dpp v4, v2 quad_perm:[1,0,3,2] row_mask:0xf bank_mask:0xf bound_ctrl:1
	v_cndmask_b32_e64 v6, 0, 1, vcc
	v_mov_b32_dpp v1, v1 quad_perm:[1,0,3,2] row_mask:0xf bank_mask:0xf bound_ctrl:1
	v_and_b32_e32 v7, 1, v1
	v_mov_b32_dpp v5, v3 quad_perm:[1,0,3,2] row_mask:0xf bank_mask:0xf bound_ctrl:1
	v_cmp_eq_u32_e64 s[4:5], 1, v7
	s_and_saveexec_b64 s[8:9], s[4:5]
; %bb.290:
	v_cmp_lt_i64_e64 s[4:5], v[2:3], v[4:5]
	v_cndmask_b32_e64 v6, v1, 1, vcc
	s_and_b64 vcc, vcc, s[4:5]
	v_cndmask_b32_e32 v3, v5, v3, vcc
	v_cndmask_b32_e32 v2, v4, v2, vcc
; %bb.291:
	s_or_b64 exec, exec, s[8:9]
	v_and_b32_e32 v1, 0xff, v6
	v_and_b32_e32 v6, 1, v6
	v_mov_b32_dpp v4, v2 quad_perm:[2,3,0,1] row_mask:0xf bank_mask:0xf bound_ctrl:1
	v_mov_b32_dpp v7, v1 quad_perm:[2,3,0,1] row_mask:0xf bank_mask:0xf bound_ctrl:1
	v_and_b32_e32 v8, 1, v7
	v_mov_b32_dpp v5, v3 quad_perm:[2,3,0,1] row_mask:0xf bank_mask:0xf bound_ctrl:1
	v_cmp_eq_u32_e32 vcc, 1, v8
	v_cmp_eq_u32_e64 s[4:5], 1, v6
	s_and_saveexec_b64 s[8:9], vcc
; %bb.292:
	v_cmp_lt_i64_e32 vcc, v[2:3], v[4:5]
	v_cndmask_b32_e64 v6, v7, 1, s[4:5]
	s_and_b64 vcc, s[4:5], vcc
	v_cndmask_b32_e32 v2, v4, v2, vcc
	v_and_b32_e32 v4, 1, v6
	v_cndmask_b32_e32 v3, v5, v3, vcc
	v_cmp_eq_u32_e32 vcc, 1, v4
	s_andn2_b64 s[4:5], s[4:5], exec
	s_and_b64 s[10:11], vcc, exec
	v_and_b32_e32 v1, 0xff, v6
	s_or_b64 s[4:5], s[4:5], s[10:11]
; %bb.293:
	s_or_b64 exec, exec, s[8:9]
	v_mov_b32_dpp v6, v1 row_ror:4 row_mask:0xf bank_mask:0xf bound_ctrl:1
	v_and_b32_e32 v7, 1, v6
	v_mov_b32_dpp v4, v2 row_ror:4 row_mask:0xf bank_mask:0xf bound_ctrl:1
	v_mov_b32_dpp v5, v3 row_ror:4 row_mask:0xf bank_mask:0xf bound_ctrl:1
	v_cmp_eq_u32_e32 vcc, 1, v7
	s_and_saveexec_b64 s[8:9], vcc
; %bb.294:
	v_cmp_lt_i64_e32 vcc, v[2:3], v[4:5]
	v_cndmask_b32_e64 v6, v6, 1, s[4:5]
	s_and_b64 vcc, s[4:5], vcc
	v_cndmask_b32_e32 v2, v4, v2, vcc
	v_and_b32_e32 v4, 1, v6
	v_cndmask_b32_e32 v3, v5, v3, vcc
	v_cmp_eq_u32_e32 vcc, 1, v4
	s_andn2_b64 s[4:5], s[4:5], exec
	s_and_b64 s[10:11], vcc, exec
	v_and_b32_e32 v1, 0xff, v6
	s_or_b64 s[4:5], s[4:5], s[10:11]
; %bb.295:
	s_or_b64 exec, exec, s[8:9]
	v_mov_b32_dpp v6, v1 row_ror:8 row_mask:0xf bank_mask:0xf bound_ctrl:1
	v_and_b32_e32 v7, 1, v6
	v_mov_b32_dpp v4, v2 row_ror:8 row_mask:0xf bank_mask:0xf bound_ctrl:1
	v_mov_b32_dpp v5, v3 row_ror:8 row_mask:0xf bank_mask:0xf bound_ctrl:1
	v_cmp_eq_u32_e32 vcc, 1, v7
	s_and_saveexec_b64 s[8:9], vcc
; %bb.296:
	v_cmp_lt_i64_e32 vcc, v[2:3], v[4:5]
	v_cndmask_b32_e64 v6, v6, 1, s[4:5]
	s_and_b64 vcc, s[4:5], vcc
	v_cndmask_b32_e32 v2, v4, v2, vcc
	v_and_b32_e32 v4, 1, v6
	v_cndmask_b32_e32 v3, v5, v3, vcc
	v_cmp_eq_u32_e32 vcc, 1, v4
	s_andn2_b64 s[4:5], s[4:5], exec
	s_and_b64 s[10:11], vcc, exec
	v_and_b32_e32 v1, 0xff, v6
	s_or_b64 s[4:5], s[4:5], s[10:11]
; %bb.297:
	s_or_b64 exec, exec, s[8:9]
	v_mov_b32_dpp v6, v1 row_bcast:15 row_mask:0xf bank_mask:0xf bound_ctrl:1
	v_and_b32_e32 v7, 1, v6
	v_mov_b32_dpp v4, v2 row_bcast:15 row_mask:0xf bank_mask:0xf bound_ctrl:1
	v_mov_b32_dpp v5, v3 row_bcast:15 row_mask:0xf bank_mask:0xf bound_ctrl:1
	v_cmp_eq_u32_e32 vcc, 1, v7
	s_and_saveexec_b64 s[8:9], vcc
; %bb.298:
	v_cmp_lt_i64_e32 vcc, v[2:3], v[4:5]
	v_cndmask_b32_e64 v6, v6, 1, s[4:5]
	s_and_b64 vcc, s[4:5], vcc
	v_cndmask_b32_e32 v2, v4, v2, vcc
	v_and_b32_e32 v4, 1, v6
	v_cndmask_b32_e32 v3, v5, v3, vcc
	v_cmp_eq_u32_e32 vcc, 1, v4
	s_andn2_b64 s[4:5], s[4:5], exec
	s_and_b64 s[10:11], vcc, exec
	v_and_b32_e32 v1, 0xff, v6
	s_or_b64 s[4:5], s[4:5], s[10:11]
; %bb.299:
	s_or_b64 exec, exec, s[8:9]
	v_mov_b32_dpp v6, v1 row_bcast:31 row_mask:0xf bank_mask:0xf bound_ctrl:1
	v_and_b32_e32 v7, 1, v6
	v_mov_b32_dpp v4, v2 row_bcast:31 row_mask:0xf bank_mask:0xf bound_ctrl:1
	v_mov_b32_dpp v5, v3 row_bcast:31 row_mask:0xf bank_mask:0xf bound_ctrl:1
	v_cmp_eq_u32_e32 vcc, 1, v7
	s_and_saveexec_b64 s[8:9], vcc
; %bb.300:
	v_cmp_lt_i64_e32 vcc, v[2:3], v[4:5]
	v_and_b32_e32 v1, 0xff, v6
	s_and_b64 vcc, s[4:5], vcc
	v_cndmask_b32_e32 v2, v4, v2, vcc
	v_cndmask_b32_e32 v3, v5, v3, vcc
	v_cndmask_b32_e64 v1, v1, 1, s[4:5]
; %bb.301:
	s_or_b64 exec, exec, s[8:9]
	v_mbcnt_lo_u32_b32 v4, -1, 0
	v_mbcnt_hi_u32_b32 v4, -1, v4
	v_bfrev_b32_e32 v5, 0.5
	v_lshl_or_b32 v5, v4, 2, v5
	ds_bpermute_b32 v6, v5, v1
	ds_bpermute_b32 v2, v5, v2
	;; [unrolled: 1-line block ×3, first 2 shown]
	v_cmp_eq_u32_e32 vcc, 0, v4
	s_and_saveexec_b64 s[4:5], vcc
	s_cbranch_execz .LBB130_303
; %bb.302:
	v_lshrrev_b32_e32 v1, 2, v0
	v_and_b32_e32 v1, 48, v1
	s_waitcnt lgkmcnt(2)
	ds_write_b8 v1, v6 offset:64
	s_waitcnt lgkmcnt(1)
	ds_write_b64 v1, v[2:3] offset:72
.LBB130_303:
	s_or_b64 exec, exec, s[4:5]
	v_cmp_gt_u32_e32 vcc, 64, v0
	s_waitcnt lgkmcnt(0)
	s_barrier
	s_and_saveexec_b64 s[8:9], vcc
	s_cbranch_execz .LBB130_305
; %bb.304:
	v_and_b32_e32 v1, 3, v4
	v_lshlrev_b32_e32 v2, 4, v1
	ds_read_u8 v5, v2 offset:64
	ds_read_b64 v[2:3], v2 offset:72
	v_cmp_ne_u32_e32 vcc, 3, v1
	s_waitcnt lgkmcnt(1)
	v_and_b32_e32 v7, 0xff, v5
	v_addc_co_u32_e32 v6, vcc, 0, v4, vcc
	v_lshlrev_b32_e32 v8, 2, v6
	ds_bpermute_b32 v9, v8, v7
	s_waitcnt lgkmcnt(1)
	ds_bpermute_b32 v6, v8, v2
	ds_bpermute_b32 v7, v8, v3
	v_and_b32_e32 v8, 1, v5
	s_waitcnt lgkmcnt(2)
	v_and_b32_e32 v10, 1, v9
	v_cmp_eq_u32_e64 s[4:5], 1, v10
	s_waitcnt lgkmcnt(0)
	v_cmp_lt_i64_e32 vcc, v[6:7], v[2:3]
	s_and_b64 vcc, s[4:5], vcc
	v_cndmask_b32_e64 v5, v5, 1, s[4:5]
	v_cndmask_b32_e32 v2, v2, v6, vcc
	v_cndmask_b32_e32 v3, v3, v7, vcc
	v_cmp_eq_u32_e32 vcc, 1, v8
	s_nop 1
	v_cndmask_b32_e32 v8, v9, v5, vcc
	v_cndmask_b32_e32 v3, v7, v3, vcc
	;; [unrolled: 1-line block ×3, first 2 shown]
	v_cmp_gt_u32_e32 vcc, 2, v1
	v_and_b32_e32 v5, 0xff, v8
	s_nop 0
	v_cndmask_b32_e64 v1, 0, 1, vcc
	v_lshlrev_b32_e32 v1, 1, v1
	v_add_lshl_u32 v1, v1, v4, 2
	ds_bpermute_b32 v6, v1, v5
	ds_bpermute_b32 v4, v1, v2
	;; [unrolled: 1-line block ×3, first 2 shown]
	v_and_b32_e32 v1, 1, v8
	s_waitcnt lgkmcnt(2)
	v_and_b32_e32 v7, 1, v6
	v_cmp_eq_u32_e64 s[4:5], 1, v7
	s_waitcnt lgkmcnt(0)
	v_cmp_lt_i64_e32 vcc, v[4:5], v[2:3]
	s_and_b64 vcc, s[4:5], vcc
	v_cndmask_b32_e64 v7, v8, 1, s[4:5]
	v_cndmask_b32_e32 v2, v2, v4, vcc
	v_cndmask_b32_e32 v3, v3, v5, vcc
	v_cmp_eq_u32_e32 vcc, 1, v1
	s_nop 1
	v_cndmask_b32_e32 v1, v6, v7, vcc
	v_cndmask_b32_e32 v3, v5, v3, vcc
	;; [unrolled: 1-line block ×3, first 2 shown]
	v_and_b32_e32 v6, 0xff, v1
.LBB130_305:
	s_or_b64 exec, exec, s[8:9]
	s_branch .LBB130_334
.LBB130_306:
                                        ; implicit-def: $vgpr4_vgpr5
                                        ; implicit-def: $vgpr1
                                        ; implicit-def: $sgpr2_sgpr3
.LBB130_307:
	s_and_saveexec_b64 s[4:5], s[18:19]
	s_cbranch_execz .LBB130_309
.LBB130_308:
	s_load_dwordx2 s[0:1], s[0:1], 0x38
	s_lshl_b64 s[2:3], s[2:3], 4
	v_mov_b32_e32 v0, 0
	s_waitcnt lgkmcnt(0)
	s_add_u32 s0, s0, s2
	s_addc_u32 s1, s1, s3
	global_store_byte v0, v1, s[0:1]
	global_store_dwordx2 v0, v[4:5], s[0:1] offset:8
.LBB130_309:
	s_endpgm
.LBB130_310:
                                        ; implicit-def: $vgpr2_vgpr3
                                        ; implicit-def: $vgpr6
	s_cbranch_execz .LBB130_334
; %bb.311:
	s_sub_i32 s8, s38, s6
	v_cmp_gt_u32_e32 vcc, s8, v0
	v_mov_b64_e32 v[2:3], 0
	v_mov_b32_e32 v7, 0
	s_and_saveexec_b64 s[4:5], vcc
	s_cbranch_execz .LBB130_313
; %bb.312:
	s_lshl_b64 s[10:11], s[6:7], 2
	s_add_u32 s12, s42, s10
	s_addc_u32 s13, s43, s11
	s_add_u32 s10, s40, s10
	s_addc_u32 s11, s41, s11
	s_waitcnt lgkmcnt(2)
	v_lshlrev_b32_e32 v1, 2, v0
	s_waitcnt lgkmcnt(1)
	global_load_dword v4, v1, s[10:11]
	s_waitcnt lgkmcnt(0)
	global_load_dword v5, v1, s[12:13]
	s_add_u32 s6, s36, s6
	v_mov_b32_e32 v1, 0
	s_addc_u32 s7, s37, 0
	v_lshl_add_u64 v[2:3], s[6:7], 0, v[0:1]
	s_waitcnt vmcnt(0)
	v_cmp_ne_u32_e32 vcc, v4, v5
	s_nop 1
	v_cndmask_b32_e64 v7, 0, 1, vcc
.LBB130_313:
	s_or_b64 exec, exec, s[4:5]
	s_waitcnt lgkmcnt(2)
	v_mbcnt_lo_u32_b32 v1, -1, 0
	v_mbcnt_hi_u32_b32 v1, -1, v1
	v_and_b32_e32 v8, 63, v1
	v_cmp_ne_u32_e32 vcc, 63, v8
	v_and_b32_e32 v6, 0xffff, v7
	s_min_u32 s8, s8, 0x100
	s_waitcnt lgkmcnt(1)
	v_addc_co_u32_e32 v4, vcc, 0, v1, vcc
	s_waitcnt lgkmcnt(0)
	v_lshlrev_b32_e32 v5, 2, v4
	ds_bpermute_b32 v10, v5, v6
	ds_bpermute_b32 v4, v5, v2
	;; [unrolled: 1-line block ×3, first 2 shown]
	v_and_b32_e32 v9, 0xc0, v0
	v_sub_u32_e64 v9, s8, v9 clamp
	v_add_u32_e32 v11, 1, v8
	v_cmp_lt_u32_e32 vcc, v11, v9
	s_and_saveexec_b64 s[6:7], vcc
	s_cbranch_execz .LBB130_315
; %bb.314:
	s_waitcnt lgkmcnt(2)
	v_and_b32_e32 v11, 1, v10
	s_waitcnt lgkmcnt(0)
	v_cmp_lt_i64_e32 vcc, v[4:5], v[2:3]
	v_cmp_eq_u32_e64 s[4:5], 1, v11
	v_and_b32_e32 v6, 1, v7
	s_and_b64 vcc, s[4:5], vcc
	v_cndmask_b32_e64 v7, v7, 1, s[4:5]
	v_cndmask_b32_e32 v2, v2, v4, vcc
	v_cndmask_b32_e32 v3, v3, v5, vcc
	v_cmp_eq_u32_e32 vcc, 1, v6
	s_nop 1
	v_cndmask_b32_e32 v7, v10, v7, vcc
	v_cndmask_b32_e32 v3, v5, v3, vcc
	v_cndmask_b32_e32 v2, v4, v2, vcc
	v_and_b32_e32 v6, 0xff, v7
.LBB130_315:
	s_or_b64 exec, exec, s[6:7]
	v_cmp_gt_u32_e32 vcc, 62, v8
	v_add_u32_e32 v11, 2, v8
	s_waitcnt lgkmcnt(1)
	v_cndmask_b32_e64 v4, 0, 1, vcc
	v_lshlrev_b32_e32 v4, 1, v4
	s_waitcnt lgkmcnt(0)
	v_add_lshl_u32 v5, v4, v1, 2
	ds_bpermute_b32 v10, v5, v6
	ds_bpermute_b32 v4, v5, v2
	ds_bpermute_b32 v5, v5, v3
	v_cmp_lt_u32_e32 vcc, v11, v9
	s_and_saveexec_b64 s[6:7], vcc
	s_cbranch_execz .LBB130_317
; %bb.316:
	s_waitcnt lgkmcnt(2)
	v_and_b32_e32 v11, 1, v10
	s_waitcnt lgkmcnt(0)
	v_cmp_lt_i64_e32 vcc, v[4:5], v[2:3]
	v_cmp_eq_u32_e64 s[4:5], 1, v11
	v_and_b32_e32 v6, 1, v7
	s_and_b64 vcc, s[4:5], vcc
	v_cndmask_b32_e64 v7, v7, 1, s[4:5]
	v_cndmask_b32_e32 v2, v2, v4, vcc
	v_cndmask_b32_e32 v3, v3, v5, vcc
	v_cmp_eq_u32_e32 vcc, 1, v6
	s_nop 1
	v_cndmask_b32_e32 v7, v10, v7, vcc
	v_cndmask_b32_e32 v3, v5, v3, vcc
	v_cndmask_b32_e32 v2, v4, v2, vcc
	v_and_b32_e32 v6, 0xff, v7
.LBB130_317:
	s_or_b64 exec, exec, s[6:7]
	v_cmp_gt_u32_e32 vcc, 60, v8
	v_add_u32_e32 v11, 4, v8
	s_waitcnt lgkmcnt(1)
	v_cndmask_b32_e64 v4, 0, 1, vcc
	v_lshlrev_b32_e32 v4, 2, v4
	s_waitcnt lgkmcnt(0)
	v_add_lshl_u32 v5, v4, v1, 2
	ds_bpermute_b32 v10, v5, v6
	ds_bpermute_b32 v4, v5, v2
	ds_bpermute_b32 v5, v5, v3
	;; [unrolled: 32-line block ×5, first 2 shown]
	v_cmp_lt_u32_e32 vcc, v8, v9
	s_and_saveexec_b64 s[6:7], vcc
	s_cbranch_execz .LBB130_325
; %bb.324:
	s_waitcnt lgkmcnt(2)
	v_and_b32_e32 v8, 1, v10
	s_waitcnt lgkmcnt(0)
	v_cmp_lt_i64_e32 vcc, v[4:5], v[2:3]
	v_cmp_eq_u32_e64 s[4:5], 1, v8
	v_and_b32_e32 v6, 1, v7
	s_and_b64 vcc, s[4:5], vcc
	v_cndmask_b32_e64 v7, v7, 1, s[4:5]
	v_cndmask_b32_e32 v2, v2, v4, vcc
	v_cndmask_b32_e32 v3, v3, v5, vcc
	v_cmp_eq_u32_e32 vcc, 1, v6
	s_nop 1
	v_cndmask_b32_e32 v7, v10, v7, vcc
	v_cndmask_b32_e32 v3, v5, v3, vcc
	;; [unrolled: 1-line block ×3, first 2 shown]
	v_and_b32_e32 v6, 0xff, v7
.LBB130_325:
	s_or_b64 exec, exec, s[6:7]
	v_cmp_eq_u32_e32 vcc, 0, v1
	s_and_saveexec_b64 s[4:5], vcc
	s_cbranch_execz .LBB130_327
; %bb.326:
	s_waitcnt lgkmcnt(1)
	v_lshrrev_b32_e32 v4, 2, v0
	v_and_b32_e32 v4, 48, v4
	ds_write_b8 v4, v7 offset:320
	ds_write_b64 v4, v[2:3] offset:328
.LBB130_327:
	s_or_b64 exec, exec, s[4:5]
	v_cmp_gt_u32_e32 vcc, 4, v0
	s_waitcnt lgkmcnt(0)
	s_barrier
	s_and_saveexec_b64 s[6:7], vcc
	s_cbranch_execz .LBB130_333
; %bb.328:
	v_lshlrev_b32_e32 v2, 4, v1
	ds_read_u8 v7, v2 offset:320
	ds_read_b64 v[2:3], v2 offset:328
	v_and_b32_e32 v8, 3, v1
	v_cmp_ne_u32_e32 vcc, 3, v8
	s_add_i32 s8, s8, 63
	s_waitcnt lgkmcnt(1)
	v_and_b32_e32 v6, 0xff, v7
	v_addc_co_u32_e32 v4, vcc, 0, v1, vcc
	v_lshlrev_b32_e32 v5, 2, v4
	ds_bpermute_b32 v9, v5, v6
	s_waitcnt lgkmcnt(1)
	ds_bpermute_b32 v4, v5, v2
	ds_bpermute_b32 v5, v5, v3
	s_lshr_b32 s10, s8, 6
	v_add_u32_e32 v10, 1, v8
	v_cmp_gt_u32_e32 vcc, s10, v10
	s_and_saveexec_b64 s[8:9], vcc
	s_cbranch_execz .LBB130_330
; %bb.329:
	s_waitcnt lgkmcnt(2)
	v_and_b32_e32 v10, 1, v9
	s_waitcnt lgkmcnt(0)
	v_cmp_lt_i64_e32 vcc, v[4:5], v[2:3]
	v_cmp_eq_u32_e64 s[4:5], 1, v10
	v_and_b32_e32 v6, 1, v7
	s_and_b64 vcc, s[4:5], vcc
	v_cndmask_b32_e64 v7, v7, 1, s[4:5]
	v_cndmask_b32_e32 v2, v2, v4, vcc
	v_cndmask_b32_e32 v3, v3, v5, vcc
	v_cmp_eq_u32_e32 vcc, 1, v6
	s_nop 1
	v_cndmask_b32_e32 v7, v9, v7, vcc
	v_cndmask_b32_e32 v3, v5, v3, vcc
	;; [unrolled: 1-line block ×3, first 2 shown]
	v_and_b32_e32 v6, 0xff, v7
.LBB130_330:
	s_or_b64 exec, exec, s[8:9]
	v_cmp_gt_u32_e32 vcc, 2, v8
	v_add_u32_e32 v8, 2, v8
	s_waitcnt lgkmcnt(1)
	v_cndmask_b32_e64 v4, 0, 1, vcc
	v_lshlrev_b32_e32 v4, 1, v4
	s_waitcnt lgkmcnt(0)
	v_add_lshl_u32 v5, v4, v1, 2
	ds_bpermute_b32 v1, v5, v6
	ds_bpermute_b32 v4, v5, v2
	;; [unrolled: 1-line block ×3, first 2 shown]
	v_cmp_gt_u32_e32 vcc, s10, v8
	s_and_saveexec_b64 s[8:9], vcc
	s_cbranch_execz .LBB130_332
; %bb.331:
	s_waitcnt lgkmcnt(2)
	v_and_b32_e32 v8, 1, v1
	s_waitcnt lgkmcnt(0)
	v_cmp_lt_i64_e32 vcc, v[4:5], v[2:3]
	v_cmp_eq_u32_e64 s[4:5], 1, v8
	v_and_b32_e32 v6, 1, v7
	s_and_b64 vcc, s[4:5], vcc
	v_cndmask_b32_e64 v7, v7, 1, s[4:5]
	v_cndmask_b32_e32 v2, v2, v4, vcc
	v_cndmask_b32_e32 v3, v3, v5, vcc
	v_cmp_eq_u32_e32 vcc, 1, v6
	s_nop 1
	v_cndmask_b32_e32 v1, v1, v7, vcc
	v_cndmask_b32_e32 v3, v5, v3, vcc
	;; [unrolled: 1-line block ×3, first 2 shown]
	v_and_b32_e32 v6, 0xff, v1
.LBB130_332:
	s_or_b64 exec, exec, s[8:9]
.LBB130_333:
	s_or_b64 exec, exec, s[6:7]
.LBB130_334:
	v_cmp_eq_u32_e32 vcc, 0, v0
                                        ; implicit-def: $vgpr4_vgpr5
                                        ; implicit-def: $vgpr1
	s_and_saveexec_b64 s[8:9], vcc
	s_cbranch_execz .LBB130_338
; %bb.335:
	s_cmp_eq_u64 s[38:39], 0
	s_waitcnt lgkmcnt(0)
	v_mov_b64_e32 v[4:5], s[44:45]
	v_mov_b32_e32 v1, s33
	s_cbranch_scc1 .LBB130_337
; %bb.336:
	v_and_b32_e32 v0, 1, v6
	s_bitcmp1_b32 s33, 0
	v_mov_b32_e32 v1, s33
	v_cmp_eq_u32_e32 vcc, 1, v0
	v_cmp_gt_i64_e64 s[6:7], s[44:45], v[2:3]
	s_cselect_b64 s[4:5], -1, 0
	v_cndmask_b32_e64 v0, v1, 1, vcc
	v_mov_b32_e32 v1, s44
	s_and_b64 vcc, vcc, s[6:7]
	v_cndmask_b32_e32 v4, v1, v2, vcc
	v_mov_b32_e32 v1, s45
	v_cndmask_b32_e32 v5, v1, v3, vcc
	v_cndmask_b32_e64 v1, v6, v0, s[4:5]
	v_cndmask_b32_e64 v5, v3, v5, s[4:5]
	;; [unrolled: 1-line block ×3, first 2 shown]
.LBB130_337:
	s_or_b64 s[18:19], s[18:19], exec
.LBB130_338:
	s_or_b64 exec, exec, s[8:9]
	s_and_saveexec_b64 s[4:5], s[18:19]
	s_cbranch_execnz .LBB130_308
	s_branch .LBB130_309
.LBB130_339:
	v_lshlrev_b32_e32 v1, 2, v0
	global_load_dword v15, v1, s[10:11] offset:3072
	global_load_dword v16, v1, s[12:13] offset:3072
	v_mov_b32_e32 v11, 0
	v_lshl_add_u64 v[4:5], s[14:15], 0, v[10:11]
	s_waitcnt vmcnt(0)
	v_cmp_ne_u32_e64 s[8:9], v15, v16
	s_nop 1
	v_cndmask_b32_e64 v1, 0, 1, s[8:9]
	s_or_b64 exec, exec, s[16:17]
	s_and_saveexec_b64 s[10:11], s[6:7]
	s_cbranch_execz .LBB130_203
.LBB130_340:
	v_and_b32_e32 v11, 1, v13
	v_cmp_lt_i64_e64 s[6:7], v[6:7], v[2:3]
	v_cmp_eq_u32_e64 s[8:9], 1, v11
	v_and_b32_e32 v10, 1, v12
	s_and_b64 s[6:7], s[8:9], s[6:7]
	v_cndmask_b32_e64 v11, v12, 1, s[8:9]
	v_cndmask_b32_e64 v2, v2, v6, s[6:7]
	;; [unrolled: 1-line block ×3, first 2 shown]
	v_cmp_eq_u32_e64 s[6:7], 1, v10
	s_nop 1
	v_cndmask_b32_e64 v12, v13, v11, s[6:7]
	v_cndmask_b32_e64 v3, v7, v3, s[6:7]
	;; [unrolled: 1-line block ×3, first 2 shown]
	s_or_b64 exec, exec, s[10:11]
	s_and_saveexec_b64 s[8:9], s[4:5]
	s_cbranch_execz .LBB130_204
.LBB130_341:
	v_and_b32_e32 v7, 1, v14
	v_cmp_lt_i64_e64 s[4:5], v[8:9], v[2:3]
	v_cmp_eq_u32_e64 s[6:7], 1, v7
	v_and_b32_e32 v6, 1, v12
	s_and_b64 s[4:5], s[6:7], s[4:5]
	v_cndmask_b32_e64 v7, v12, 1, s[6:7]
	v_cndmask_b32_e64 v2, v2, v8, s[4:5]
	;; [unrolled: 1-line block ×3, first 2 shown]
	v_cmp_eq_u32_e64 s[4:5], 1, v6
	s_nop 1
	v_cndmask_b32_e64 v12, v14, v7, s[4:5]
	v_cndmask_b32_e64 v3, v9, v3, s[4:5]
	;; [unrolled: 1-line block ×3, first 2 shown]
	s_or_b64 exec, exec, s[8:9]
	s_and_saveexec_b64 s[6:7], vcc
	s_cbranch_execnz .LBB130_205
	s_branch .LBB130_206
.LBB130_342:
	v_lshlrev_b32_e32 v4, 2, v34
	global_load_dword v36, v4, s[34:35]
	global_load_dword v51, v4, s[48:49]
	v_mov_b32_e32 v35, 0
	v_lshl_add_u64 v[4:5], s[50:51], 0, v[34:35]
	s_waitcnt vmcnt(0)
	v_cmp_ne_u32_e64 s[34:35], v36, v51
	s_nop 1
	v_cndmask_b32_e64 v36, 0, 1, s[34:35]
	s_or_b64 exec, exec, s[52:53]
	s_and_saveexec_b64 s[48:49], s[30:31]
	s_cbranch_execz .LBB130_80
.LBB130_343:
	v_and_b32_e32 v35, 1, v43
	v_cmp_lt_i64_e64 s[30:31], v[18:19], v[2:3]
	v_cmp_eq_u32_e64 s[34:35], 1, v35
	v_and_b32_e32 v34, 1, v1
	s_and_b64 s[30:31], s[34:35], s[30:31]
	v_cndmask_b32_e64 v1, v1, 1, s[34:35]
	v_cndmask_b32_e64 v2, v2, v18, s[30:31]
	;; [unrolled: 1-line block ×3, first 2 shown]
	v_cmp_eq_u32_e64 s[30:31], 1, v34
	s_nop 1
	v_cndmask_b32_e64 v1, v43, v1, s[30:31]
	v_cndmask_b32_e64 v3, v19, v3, s[30:31]
	v_cndmask_b32_e64 v2, v18, v2, s[30:31]
	s_or_b64 exec, exec, s[48:49]
	s_and_saveexec_b64 s[34:35], s[28:29]
	s_cbranch_execz .LBB130_81
.LBB130_344:
	v_and_b32_e32 v19, 1, v50
	v_cmp_lt_i64_e64 s[28:29], v[32:33], v[2:3]
	v_cmp_eq_u32_e64 s[30:31], 1, v19
	v_and_b32_e32 v18, 1, v1
	s_and_b64 s[28:29], s[30:31], s[28:29]
	v_cndmask_b32_e64 v1, v1, 1, s[30:31]
	v_cndmask_b32_e64 v2, v2, v32, s[28:29]
	;; [unrolled: 1-line block ×3, first 2 shown]
	v_cmp_eq_u32_e64 s[28:29], 1, v18
	s_nop 1
	v_cndmask_b32_e64 v1, v50, v1, s[28:29]
	v_cndmask_b32_e64 v3, v33, v3, s[28:29]
	;; [unrolled: 1-line block ×3, first 2 shown]
	s_or_b64 exec, exec, s[34:35]
	s_and_saveexec_b64 s[30:31], s[26:27]
	s_cbranch_execz .LBB130_82
.LBB130_345:
	v_and_b32_e32 v19, 1, v42
	v_cmp_lt_i64_e64 s[26:27], v[16:17], v[2:3]
	v_cmp_eq_u32_e64 s[28:29], 1, v19
	v_and_b32_e32 v18, 1, v1
	s_and_b64 s[26:27], s[28:29], s[26:27]
	v_cndmask_b32_e64 v1, v1, 1, s[28:29]
	v_cndmask_b32_e64 v2, v2, v16, s[26:27]
	;; [unrolled: 1-line block ×3, first 2 shown]
	v_cmp_eq_u32_e64 s[26:27], 1, v18
	s_nop 1
	v_cndmask_b32_e64 v1, v42, v1, s[26:27]
	v_cndmask_b32_e64 v3, v17, v3, s[26:27]
	;; [unrolled: 1-line block ×3, first 2 shown]
	s_or_b64 exec, exec, s[30:31]
	s_and_saveexec_b64 s[28:29], s[24:25]
	s_cbranch_execz .LBB130_83
.LBB130_346:
	v_and_b32_e32 v17, 1, v49
	v_cmp_lt_i64_e64 s[24:25], v[30:31], v[2:3]
	v_cmp_eq_u32_e64 s[26:27], 1, v17
	v_and_b32_e32 v16, 1, v1
	s_and_b64 s[24:25], s[26:27], s[24:25]
	v_cndmask_b32_e64 v1, v1, 1, s[26:27]
	v_cndmask_b32_e64 v2, v2, v30, s[24:25]
	;; [unrolled: 1-line block ×3, first 2 shown]
	v_cmp_eq_u32_e64 s[24:25], 1, v16
	s_nop 1
	v_cndmask_b32_e64 v1, v49, v1, s[24:25]
	v_cndmask_b32_e64 v3, v31, v3, s[24:25]
	;; [unrolled: 1-line block ×3, first 2 shown]
	s_or_b64 exec, exec, s[28:29]
	s_and_saveexec_b64 s[26:27], s[22:23]
	s_cbranch_execz .LBB130_84
.LBB130_347:
	v_and_b32_e32 v17, 1, v41
	v_cmp_lt_i64_e64 s[22:23], v[14:15], v[2:3]
	v_cmp_eq_u32_e64 s[24:25], 1, v17
	v_and_b32_e32 v16, 1, v1
	s_and_b64 s[22:23], s[24:25], s[22:23]
	v_cndmask_b32_e64 v1, v1, 1, s[24:25]
	v_cndmask_b32_e64 v2, v2, v14, s[22:23]
	;; [unrolled: 1-line block ×3, first 2 shown]
	v_cmp_eq_u32_e64 s[22:23], 1, v16
	s_nop 1
	v_cndmask_b32_e64 v1, v41, v1, s[22:23]
	v_cndmask_b32_e64 v3, v15, v3, s[22:23]
	;; [unrolled: 1-line block ×3, first 2 shown]
	s_or_b64 exec, exec, s[26:27]
	s_and_saveexec_b64 s[24:25], s[20:21]
	s_cbranch_execz .LBB130_85
.LBB130_348:
	v_and_b32_e32 v15, 1, v48
	v_cmp_lt_i64_e64 s[20:21], v[28:29], v[2:3]
	v_cmp_eq_u32_e64 s[22:23], 1, v15
	v_and_b32_e32 v14, 1, v1
	s_and_b64 s[20:21], s[22:23], s[20:21]
	v_cndmask_b32_e64 v1, v1, 1, s[22:23]
	v_cndmask_b32_e64 v2, v2, v28, s[20:21]
	;; [unrolled: 1-line block ×3, first 2 shown]
	v_cmp_eq_u32_e64 s[20:21], 1, v14
	s_nop 1
	v_cndmask_b32_e64 v1, v48, v1, s[20:21]
	v_cndmask_b32_e64 v3, v29, v3, s[20:21]
	v_cndmask_b32_e64 v2, v28, v2, s[20:21]
	s_or_b64 exec, exec, s[24:25]
	s_and_saveexec_b64 s[22:23], s[18:19]
	s_cbranch_execz .LBB130_86
.LBB130_349:
	v_and_b32_e32 v15, 1, v40
	v_cmp_lt_i64_e64 s[18:19], v[12:13], v[2:3]
	v_cmp_eq_u32_e64 s[20:21], 1, v15
	v_and_b32_e32 v14, 1, v1
	s_and_b64 s[18:19], s[20:21], s[18:19]
	v_cndmask_b32_e64 v1, v1, 1, s[20:21]
	v_cndmask_b32_e64 v2, v2, v12, s[18:19]
	;; [unrolled: 1-line block ×3, first 2 shown]
	v_cmp_eq_u32_e64 s[18:19], 1, v14
	s_nop 1
	v_cndmask_b32_e64 v1, v40, v1, s[18:19]
	v_cndmask_b32_e64 v3, v13, v3, s[18:19]
	;; [unrolled: 1-line block ×3, first 2 shown]
	s_or_b64 exec, exec, s[22:23]
	s_and_saveexec_b64 s[20:21], s[16:17]
	s_cbranch_execz .LBB130_87
.LBB130_350:
	v_and_b32_e32 v13, 1, v47
	v_cmp_lt_i64_e64 s[16:17], v[26:27], v[2:3]
	v_cmp_eq_u32_e64 s[18:19], 1, v13
	v_and_b32_e32 v12, 1, v1
	s_and_b64 s[16:17], s[18:19], s[16:17]
	v_cndmask_b32_e64 v1, v1, 1, s[18:19]
	v_cndmask_b32_e64 v2, v2, v26, s[16:17]
	;; [unrolled: 1-line block ×3, first 2 shown]
	v_cmp_eq_u32_e64 s[16:17], 1, v12
	s_nop 1
	v_cndmask_b32_e64 v1, v47, v1, s[16:17]
	v_cndmask_b32_e64 v3, v27, v3, s[16:17]
	;; [unrolled: 1-line block ×3, first 2 shown]
	s_or_b64 exec, exec, s[20:21]
	s_and_saveexec_b64 s[18:19], s[14:15]
	s_cbranch_execz .LBB130_88
.LBB130_351:
	v_and_b32_e32 v13, 1, v39
	v_cmp_lt_i64_e64 s[14:15], v[10:11], v[2:3]
	v_cmp_eq_u32_e64 s[16:17], 1, v13
	v_and_b32_e32 v12, 1, v1
	s_and_b64 s[14:15], s[16:17], s[14:15]
	v_cndmask_b32_e64 v1, v1, 1, s[16:17]
	v_cndmask_b32_e64 v2, v2, v10, s[14:15]
	;; [unrolled: 1-line block ×3, first 2 shown]
	v_cmp_eq_u32_e64 s[14:15], 1, v12
	s_nop 1
	v_cndmask_b32_e64 v1, v39, v1, s[14:15]
	v_cndmask_b32_e64 v3, v11, v3, s[14:15]
	;; [unrolled: 1-line block ×3, first 2 shown]
	s_or_b64 exec, exec, s[18:19]
	s_and_saveexec_b64 s[16:17], s[12:13]
	s_cbranch_execz .LBB130_89
.LBB130_352:
	v_and_b32_e32 v11, 1, v46
	v_cmp_lt_i64_e64 s[12:13], v[24:25], v[2:3]
	v_cmp_eq_u32_e64 s[14:15], 1, v11
	v_and_b32_e32 v10, 1, v1
	s_and_b64 s[12:13], s[14:15], s[12:13]
	v_cndmask_b32_e64 v1, v1, 1, s[14:15]
	v_cndmask_b32_e64 v2, v2, v24, s[12:13]
	;; [unrolled: 1-line block ×3, first 2 shown]
	v_cmp_eq_u32_e64 s[12:13], 1, v10
	s_nop 1
	v_cndmask_b32_e64 v1, v46, v1, s[12:13]
	v_cndmask_b32_e64 v3, v25, v3, s[12:13]
	v_cndmask_b32_e64 v2, v24, v2, s[12:13]
	s_or_b64 exec, exec, s[16:17]
	s_and_saveexec_b64 s[14:15], s[10:11]
	s_cbranch_execz .LBB130_90
.LBB130_353:
	v_and_b32_e32 v11, 1, v38
	v_cmp_lt_i64_e64 s[10:11], v[8:9], v[2:3]
	v_cmp_eq_u32_e64 s[12:13], 1, v11
	v_and_b32_e32 v10, 1, v1
	s_and_b64 s[10:11], s[12:13], s[10:11]
	v_cndmask_b32_e64 v1, v1, 1, s[12:13]
	v_cndmask_b32_e64 v2, v2, v8, s[10:11]
	;; [unrolled: 1-line block ×3, first 2 shown]
	v_cmp_eq_u32_e64 s[10:11], 1, v10
	s_nop 1
	v_cndmask_b32_e64 v1, v38, v1, s[10:11]
	v_cndmask_b32_e64 v3, v9, v3, s[10:11]
	;; [unrolled: 1-line block ×3, first 2 shown]
	s_or_b64 exec, exec, s[14:15]
	s_and_saveexec_b64 s[12:13], s[8:9]
	s_cbranch_execz .LBB130_91
.LBB130_354:
	v_and_b32_e32 v9, 1, v45
	v_cmp_lt_i64_e64 s[8:9], v[22:23], v[2:3]
	v_cmp_eq_u32_e64 s[10:11], 1, v9
	v_and_b32_e32 v8, 1, v1
	s_and_b64 s[8:9], s[10:11], s[8:9]
	v_cndmask_b32_e64 v1, v1, 1, s[10:11]
	v_cndmask_b32_e64 v2, v2, v22, s[8:9]
	;; [unrolled: 1-line block ×3, first 2 shown]
	v_cmp_eq_u32_e64 s[8:9], 1, v8
	s_nop 1
	v_cndmask_b32_e64 v1, v45, v1, s[8:9]
	v_cndmask_b32_e64 v3, v23, v3, s[8:9]
	;; [unrolled: 1-line block ×3, first 2 shown]
	s_or_b64 exec, exec, s[12:13]
	s_and_saveexec_b64 s[10:11], s[6:7]
	s_cbranch_execz .LBB130_92
.LBB130_355:
	v_and_b32_e32 v9, 1, v37
	v_cmp_lt_i64_e64 s[6:7], v[6:7], v[2:3]
	v_cmp_eq_u32_e64 s[8:9], 1, v9
	v_and_b32_e32 v8, 1, v1
	s_and_b64 s[6:7], s[8:9], s[6:7]
	v_cndmask_b32_e64 v1, v1, 1, s[8:9]
	v_cndmask_b32_e64 v2, v2, v6, s[6:7]
	;; [unrolled: 1-line block ×3, first 2 shown]
	v_cmp_eq_u32_e64 s[6:7], 1, v8
	s_nop 1
	v_cndmask_b32_e64 v1, v37, v1, s[6:7]
	v_cndmask_b32_e64 v3, v7, v3, s[6:7]
	;; [unrolled: 1-line block ×3, first 2 shown]
	s_or_b64 exec, exec, s[10:11]
	s_and_saveexec_b64 s[8:9], s[4:5]
	s_cbranch_execz .LBB130_93
.LBB130_356:
	v_and_b32_e32 v7, 1, v44
	v_cmp_lt_i64_e64 s[4:5], v[20:21], v[2:3]
	v_cmp_eq_u32_e64 s[6:7], 1, v7
	v_and_b32_e32 v6, 1, v1
	s_and_b64 s[4:5], s[6:7], s[4:5]
	v_cndmask_b32_e64 v1, v1, 1, s[6:7]
	v_cndmask_b32_e64 v2, v2, v20, s[4:5]
	v_cndmask_b32_e64 v3, v3, v21, s[4:5]
	v_cmp_eq_u32_e64 s[4:5], 1, v6
	s_nop 1
	v_cndmask_b32_e64 v1, v44, v1, s[4:5]
	v_cndmask_b32_e64 v3, v21, v3, s[4:5]
	;; [unrolled: 1-line block ×3, first 2 shown]
	s_or_b64 exec, exec, s[8:9]
	s_and_saveexec_b64 s[6:7], vcc
	s_cbranch_execnz .LBB130_94
	s_branch .LBB130_95
.LBB130_357:
	v_lshlrev_b32_e32 v4, 2, v18
	global_load_dword v20, v4, s[16:17]
	global_load_dword v27, v4, s[20:21]
	v_mov_b32_e32 v19, 0
	v_lshl_add_u64 v[4:5], s[22:23], 0, v[18:19]
	s_waitcnt vmcnt(0)
	v_cmp_ne_u32_e64 s[16:17], v20, v27
	s_nop 1
	v_cndmask_b32_e64 v20, 0, 1, s[16:17]
	s_or_b64 exec, exec, s[24:25]
	s_and_saveexec_b64 s[20:21], s[14:15]
	s_cbranch_execz .LBB130_140
.LBB130_358:
	v_and_b32_e32 v19, 1, v23
	v_cmp_lt_i64_e64 s[14:15], v[10:11], v[2:3]
	v_cmp_eq_u32_e64 s[16:17], 1, v19
	v_and_b32_e32 v18, 1, v1
	s_and_b64 s[14:15], s[16:17], s[14:15]
	v_cndmask_b32_e64 v1, v1, 1, s[16:17]
	v_cndmask_b32_e64 v2, v2, v10, s[14:15]
	;; [unrolled: 1-line block ×3, first 2 shown]
	v_cmp_eq_u32_e64 s[14:15], 1, v18
	s_nop 1
	v_cndmask_b32_e64 v1, v23, v1, s[14:15]
	v_cndmask_b32_e64 v3, v11, v3, s[14:15]
	v_cndmask_b32_e64 v2, v10, v2, s[14:15]
	s_or_b64 exec, exec, s[20:21]
	s_and_saveexec_b64 s[16:17], s[12:13]
	s_cbranch_execz .LBB130_141
.LBB130_359:
	v_and_b32_e32 v11, 1, v26
	v_cmp_lt_i64_e64 s[12:13], v[16:17], v[2:3]
	v_cmp_eq_u32_e64 s[14:15], 1, v11
	v_and_b32_e32 v10, 1, v1
	s_and_b64 s[12:13], s[14:15], s[12:13]
	v_cndmask_b32_e64 v1, v1, 1, s[14:15]
	v_cndmask_b32_e64 v2, v2, v16, s[12:13]
	;; [unrolled: 1-line block ×3, first 2 shown]
	v_cmp_eq_u32_e64 s[12:13], 1, v10
	s_nop 1
	v_cndmask_b32_e64 v1, v26, v1, s[12:13]
	v_cndmask_b32_e64 v3, v17, v3, s[12:13]
	;; [unrolled: 1-line block ×3, first 2 shown]
	s_or_b64 exec, exec, s[16:17]
	s_and_saveexec_b64 s[14:15], s[10:11]
	s_cbranch_execz .LBB130_142
.LBB130_360:
	v_and_b32_e32 v11, 1, v22
	v_cmp_lt_i64_e64 s[10:11], v[8:9], v[2:3]
	v_cmp_eq_u32_e64 s[12:13], 1, v11
	v_and_b32_e32 v10, 1, v1
	s_and_b64 s[10:11], s[12:13], s[10:11]
	v_cndmask_b32_e64 v1, v1, 1, s[12:13]
	v_cndmask_b32_e64 v2, v2, v8, s[10:11]
	;; [unrolled: 1-line block ×3, first 2 shown]
	v_cmp_eq_u32_e64 s[10:11], 1, v10
	s_nop 1
	v_cndmask_b32_e64 v1, v22, v1, s[10:11]
	v_cndmask_b32_e64 v3, v9, v3, s[10:11]
	;; [unrolled: 1-line block ×3, first 2 shown]
	s_or_b64 exec, exec, s[14:15]
	s_and_saveexec_b64 s[12:13], s[8:9]
	s_cbranch_execz .LBB130_143
.LBB130_361:
	v_and_b32_e32 v9, 1, v25
	v_cmp_lt_i64_e64 s[8:9], v[14:15], v[2:3]
	v_cmp_eq_u32_e64 s[10:11], 1, v9
	v_and_b32_e32 v8, 1, v1
	s_and_b64 s[8:9], s[10:11], s[8:9]
	v_cndmask_b32_e64 v1, v1, 1, s[10:11]
	v_cndmask_b32_e64 v2, v2, v14, s[8:9]
	;; [unrolled: 1-line block ×3, first 2 shown]
	v_cmp_eq_u32_e64 s[8:9], 1, v8
	s_nop 1
	v_cndmask_b32_e64 v1, v25, v1, s[8:9]
	v_cndmask_b32_e64 v3, v15, v3, s[8:9]
	;; [unrolled: 1-line block ×3, first 2 shown]
	s_or_b64 exec, exec, s[12:13]
	s_and_saveexec_b64 s[10:11], s[6:7]
	s_cbranch_execz .LBB130_144
.LBB130_362:
	v_and_b32_e32 v9, 1, v21
	v_cmp_lt_i64_e64 s[6:7], v[6:7], v[2:3]
	v_cmp_eq_u32_e64 s[8:9], 1, v9
	v_and_b32_e32 v8, 1, v1
	s_and_b64 s[6:7], s[8:9], s[6:7]
	v_cndmask_b32_e64 v1, v1, 1, s[8:9]
	v_cndmask_b32_e64 v2, v2, v6, s[6:7]
	;; [unrolled: 1-line block ×3, first 2 shown]
	v_cmp_eq_u32_e64 s[6:7], 1, v8
	s_nop 1
	v_cndmask_b32_e64 v1, v21, v1, s[6:7]
	v_cndmask_b32_e64 v3, v7, v3, s[6:7]
	;; [unrolled: 1-line block ×3, first 2 shown]
	s_or_b64 exec, exec, s[10:11]
	s_and_saveexec_b64 s[8:9], s[4:5]
	s_cbranch_execz .LBB130_145
.LBB130_363:
	v_and_b32_e32 v7, 1, v24
	v_cmp_lt_i64_e64 s[4:5], v[12:13], v[2:3]
	v_cmp_eq_u32_e64 s[6:7], 1, v7
	v_and_b32_e32 v6, 1, v1
	s_and_b64 s[4:5], s[6:7], s[4:5]
	v_cndmask_b32_e64 v1, v1, 1, s[6:7]
	v_cndmask_b32_e64 v2, v2, v12, s[4:5]
	;; [unrolled: 1-line block ×3, first 2 shown]
	v_cmp_eq_u32_e64 s[4:5], 1, v6
	s_nop 1
	v_cndmask_b32_e64 v1, v24, v1, s[4:5]
	v_cndmask_b32_e64 v3, v13, v3, s[4:5]
	;; [unrolled: 1-line block ×3, first 2 shown]
	s_or_b64 exec, exec, s[8:9]
	s_and_saveexec_b64 s[6:7], vcc
	s_cbranch_execnz .LBB130_146
	s_branch .LBB130_147
	.section	.rodata,"a",@progbits
	.p2align	6, 0x0
	.amdhsa_kernel _ZN7rocprim17ROCPRIM_400000_NS6detail17trampoline_kernelINS0_14default_configENS1_22reduce_config_selectorIN6thrust23THRUST_200600_302600_NS5tupleIblNS6_9null_typeES8_S8_S8_S8_S8_S8_S8_EEEEZNS1_11reduce_implILb1ES3_NS6_12zip_iteratorINS7_INS6_11hip_rocprim26transform_input_iterator_tIbNSD_35transform_pair_of_input_iterators_tIbNS6_6detail15normal_iteratorINS6_10device_ptrIKiEEEESL_NS6_8equal_toIiEEEENSG_9not_fun_tINSD_8identityEEEEENSD_19counting_iterator_tIlEES8_S8_S8_S8_S8_S8_S8_S8_EEEEPS9_S9_NSD_9__find_if7functorIS9_EEEE10hipError_tPvRmT1_T2_T3_mT4_P12ihipStream_tbEUlT_E1_NS1_11comp_targetILNS1_3genE5ELNS1_11target_archE942ELNS1_3gpuE9ELNS1_3repE0EEENS1_30default_config_static_selectorELNS0_4arch9wavefront6targetE1EEEvS14_
		.amdhsa_group_segment_fixed_size 384
		.amdhsa_private_segment_fixed_size 0
		.amdhsa_kernarg_size 88
		.amdhsa_user_sgpr_count 2
		.amdhsa_user_sgpr_dispatch_ptr 0
		.amdhsa_user_sgpr_queue_ptr 0
		.amdhsa_user_sgpr_kernarg_segment_ptr 1
		.amdhsa_user_sgpr_dispatch_id 0
		.amdhsa_user_sgpr_kernarg_preload_length 0
		.amdhsa_user_sgpr_kernarg_preload_offset 0
		.amdhsa_user_sgpr_private_segment_size 0
		.amdhsa_uses_dynamic_stack 0
		.amdhsa_enable_private_segment 0
		.amdhsa_system_sgpr_workgroup_id_x 1
		.amdhsa_system_sgpr_workgroup_id_y 0
		.amdhsa_system_sgpr_workgroup_id_z 0
		.amdhsa_system_sgpr_workgroup_info 0
		.amdhsa_system_vgpr_workitem_id 0
		.amdhsa_next_free_vgpr 52
		.amdhsa_next_free_sgpr 56
		.amdhsa_accum_offset 52
		.amdhsa_reserve_vcc 1
		.amdhsa_float_round_mode_32 0
		.amdhsa_float_round_mode_16_64 0
		.amdhsa_float_denorm_mode_32 3
		.amdhsa_float_denorm_mode_16_64 3
		.amdhsa_dx10_clamp 1
		.amdhsa_ieee_mode 1
		.amdhsa_fp16_overflow 0
		.amdhsa_tg_split 0
		.amdhsa_exception_fp_ieee_invalid_op 0
		.amdhsa_exception_fp_denorm_src 0
		.amdhsa_exception_fp_ieee_div_zero 0
		.amdhsa_exception_fp_ieee_overflow 0
		.amdhsa_exception_fp_ieee_underflow 0
		.amdhsa_exception_fp_ieee_inexact 0
		.amdhsa_exception_int_div_zero 0
	.end_amdhsa_kernel
	.section	.text._ZN7rocprim17ROCPRIM_400000_NS6detail17trampoline_kernelINS0_14default_configENS1_22reduce_config_selectorIN6thrust23THRUST_200600_302600_NS5tupleIblNS6_9null_typeES8_S8_S8_S8_S8_S8_S8_EEEEZNS1_11reduce_implILb1ES3_NS6_12zip_iteratorINS7_INS6_11hip_rocprim26transform_input_iterator_tIbNSD_35transform_pair_of_input_iterators_tIbNS6_6detail15normal_iteratorINS6_10device_ptrIKiEEEESL_NS6_8equal_toIiEEEENSG_9not_fun_tINSD_8identityEEEEENSD_19counting_iterator_tIlEES8_S8_S8_S8_S8_S8_S8_S8_EEEEPS9_S9_NSD_9__find_if7functorIS9_EEEE10hipError_tPvRmT1_T2_T3_mT4_P12ihipStream_tbEUlT_E1_NS1_11comp_targetILNS1_3genE5ELNS1_11target_archE942ELNS1_3gpuE9ELNS1_3repE0EEENS1_30default_config_static_selectorELNS0_4arch9wavefront6targetE1EEEvS14_,"axG",@progbits,_ZN7rocprim17ROCPRIM_400000_NS6detail17trampoline_kernelINS0_14default_configENS1_22reduce_config_selectorIN6thrust23THRUST_200600_302600_NS5tupleIblNS6_9null_typeES8_S8_S8_S8_S8_S8_S8_EEEEZNS1_11reduce_implILb1ES3_NS6_12zip_iteratorINS7_INS6_11hip_rocprim26transform_input_iterator_tIbNSD_35transform_pair_of_input_iterators_tIbNS6_6detail15normal_iteratorINS6_10device_ptrIKiEEEESL_NS6_8equal_toIiEEEENSG_9not_fun_tINSD_8identityEEEEENSD_19counting_iterator_tIlEES8_S8_S8_S8_S8_S8_S8_S8_EEEEPS9_S9_NSD_9__find_if7functorIS9_EEEE10hipError_tPvRmT1_T2_T3_mT4_P12ihipStream_tbEUlT_E1_NS1_11comp_targetILNS1_3genE5ELNS1_11target_archE942ELNS1_3gpuE9ELNS1_3repE0EEENS1_30default_config_static_selectorELNS0_4arch9wavefront6targetE1EEEvS14_,comdat
.Lfunc_end130:
	.size	_ZN7rocprim17ROCPRIM_400000_NS6detail17trampoline_kernelINS0_14default_configENS1_22reduce_config_selectorIN6thrust23THRUST_200600_302600_NS5tupleIblNS6_9null_typeES8_S8_S8_S8_S8_S8_S8_EEEEZNS1_11reduce_implILb1ES3_NS6_12zip_iteratorINS7_INS6_11hip_rocprim26transform_input_iterator_tIbNSD_35transform_pair_of_input_iterators_tIbNS6_6detail15normal_iteratorINS6_10device_ptrIKiEEEESL_NS6_8equal_toIiEEEENSG_9not_fun_tINSD_8identityEEEEENSD_19counting_iterator_tIlEES8_S8_S8_S8_S8_S8_S8_S8_EEEEPS9_S9_NSD_9__find_if7functorIS9_EEEE10hipError_tPvRmT1_T2_T3_mT4_P12ihipStream_tbEUlT_E1_NS1_11comp_targetILNS1_3genE5ELNS1_11target_archE942ELNS1_3gpuE9ELNS1_3repE0EEENS1_30default_config_static_selectorELNS0_4arch9wavefront6targetE1EEEvS14_, .Lfunc_end130-_ZN7rocprim17ROCPRIM_400000_NS6detail17trampoline_kernelINS0_14default_configENS1_22reduce_config_selectorIN6thrust23THRUST_200600_302600_NS5tupleIblNS6_9null_typeES8_S8_S8_S8_S8_S8_S8_EEEEZNS1_11reduce_implILb1ES3_NS6_12zip_iteratorINS7_INS6_11hip_rocprim26transform_input_iterator_tIbNSD_35transform_pair_of_input_iterators_tIbNS6_6detail15normal_iteratorINS6_10device_ptrIKiEEEESL_NS6_8equal_toIiEEEENSG_9not_fun_tINSD_8identityEEEEENSD_19counting_iterator_tIlEES8_S8_S8_S8_S8_S8_S8_S8_EEEEPS9_S9_NSD_9__find_if7functorIS9_EEEE10hipError_tPvRmT1_T2_T3_mT4_P12ihipStream_tbEUlT_E1_NS1_11comp_targetILNS1_3genE5ELNS1_11target_archE942ELNS1_3gpuE9ELNS1_3repE0EEENS1_30default_config_static_selectorELNS0_4arch9wavefront6targetE1EEEvS14_
                                        ; -- End function
	.section	.AMDGPU.csdata,"",@progbits
; Kernel info:
; codeLenInByte = 20012
; NumSgprs: 62
; NumVgprs: 52
; NumAgprs: 0
; TotalNumVgprs: 52
; ScratchSize: 0
; MemoryBound: 0
; FloatMode: 240
; IeeeMode: 1
; LDSByteSize: 384 bytes/workgroup (compile time only)
; SGPRBlocks: 7
; VGPRBlocks: 6
; NumSGPRsForWavesPerEU: 62
; NumVGPRsForWavesPerEU: 52
; AccumOffset: 52
; Occupancy: 8
; WaveLimiterHint : 0
; COMPUTE_PGM_RSRC2:SCRATCH_EN: 0
; COMPUTE_PGM_RSRC2:USER_SGPR: 2
; COMPUTE_PGM_RSRC2:TRAP_HANDLER: 0
; COMPUTE_PGM_RSRC2:TGID_X_EN: 1
; COMPUTE_PGM_RSRC2:TGID_Y_EN: 0
; COMPUTE_PGM_RSRC2:TGID_Z_EN: 0
; COMPUTE_PGM_RSRC2:TIDIG_COMP_CNT: 0
; COMPUTE_PGM_RSRC3_GFX90A:ACCUM_OFFSET: 12
; COMPUTE_PGM_RSRC3_GFX90A:TG_SPLIT: 0
	.section	.text._ZN7rocprim17ROCPRIM_400000_NS6detail17trampoline_kernelINS0_14default_configENS1_22reduce_config_selectorIN6thrust23THRUST_200600_302600_NS5tupleIblNS6_9null_typeES8_S8_S8_S8_S8_S8_S8_EEEEZNS1_11reduce_implILb1ES3_NS6_12zip_iteratorINS7_INS6_11hip_rocprim26transform_input_iterator_tIbNSD_35transform_pair_of_input_iterators_tIbNS6_6detail15normal_iteratorINS6_10device_ptrIKiEEEESL_NS6_8equal_toIiEEEENSG_9not_fun_tINSD_8identityEEEEENSD_19counting_iterator_tIlEES8_S8_S8_S8_S8_S8_S8_S8_EEEEPS9_S9_NSD_9__find_if7functorIS9_EEEE10hipError_tPvRmT1_T2_T3_mT4_P12ihipStream_tbEUlT_E1_NS1_11comp_targetILNS1_3genE4ELNS1_11target_archE910ELNS1_3gpuE8ELNS1_3repE0EEENS1_30default_config_static_selectorELNS0_4arch9wavefront6targetE1EEEvS14_,"axG",@progbits,_ZN7rocprim17ROCPRIM_400000_NS6detail17trampoline_kernelINS0_14default_configENS1_22reduce_config_selectorIN6thrust23THRUST_200600_302600_NS5tupleIblNS6_9null_typeES8_S8_S8_S8_S8_S8_S8_EEEEZNS1_11reduce_implILb1ES3_NS6_12zip_iteratorINS7_INS6_11hip_rocprim26transform_input_iterator_tIbNSD_35transform_pair_of_input_iterators_tIbNS6_6detail15normal_iteratorINS6_10device_ptrIKiEEEESL_NS6_8equal_toIiEEEENSG_9not_fun_tINSD_8identityEEEEENSD_19counting_iterator_tIlEES8_S8_S8_S8_S8_S8_S8_S8_EEEEPS9_S9_NSD_9__find_if7functorIS9_EEEE10hipError_tPvRmT1_T2_T3_mT4_P12ihipStream_tbEUlT_E1_NS1_11comp_targetILNS1_3genE4ELNS1_11target_archE910ELNS1_3gpuE8ELNS1_3repE0EEENS1_30default_config_static_selectorELNS0_4arch9wavefront6targetE1EEEvS14_,comdat
	.protected	_ZN7rocprim17ROCPRIM_400000_NS6detail17trampoline_kernelINS0_14default_configENS1_22reduce_config_selectorIN6thrust23THRUST_200600_302600_NS5tupleIblNS6_9null_typeES8_S8_S8_S8_S8_S8_S8_EEEEZNS1_11reduce_implILb1ES3_NS6_12zip_iteratorINS7_INS6_11hip_rocprim26transform_input_iterator_tIbNSD_35transform_pair_of_input_iterators_tIbNS6_6detail15normal_iteratorINS6_10device_ptrIKiEEEESL_NS6_8equal_toIiEEEENSG_9not_fun_tINSD_8identityEEEEENSD_19counting_iterator_tIlEES8_S8_S8_S8_S8_S8_S8_S8_EEEEPS9_S9_NSD_9__find_if7functorIS9_EEEE10hipError_tPvRmT1_T2_T3_mT4_P12ihipStream_tbEUlT_E1_NS1_11comp_targetILNS1_3genE4ELNS1_11target_archE910ELNS1_3gpuE8ELNS1_3repE0EEENS1_30default_config_static_selectorELNS0_4arch9wavefront6targetE1EEEvS14_ ; -- Begin function _ZN7rocprim17ROCPRIM_400000_NS6detail17trampoline_kernelINS0_14default_configENS1_22reduce_config_selectorIN6thrust23THRUST_200600_302600_NS5tupleIblNS6_9null_typeES8_S8_S8_S8_S8_S8_S8_EEEEZNS1_11reduce_implILb1ES3_NS6_12zip_iteratorINS7_INS6_11hip_rocprim26transform_input_iterator_tIbNSD_35transform_pair_of_input_iterators_tIbNS6_6detail15normal_iteratorINS6_10device_ptrIKiEEEESL_NS6_8equal_toIiEEEENSG_9not_fun_tINSD_8identityEEEEENSD_19counting_iterator_tIlEES8_S8_S8_S8_S8_S8_S8_S8_EEEEPS9_S9_NSD_9__find_if7functorIS9_EEEE10hipError_tPvRmT1_T2_T3_mT4_P12ihipStream_tbEUlT_E1_NS1_11comp_targetILNS1_3genE4ELNS1_11target_archE910ELNS1_3gpuE8ELNS1_3repE0EEENS1_30default_config_static_selectorELNS0_4arch9wavefront6targetE1EEEvS14_
	.globl	_ZN7rocprim17ROCPRIM_400000_NS6detail17trampoline_kernelINS0_14default_configENS1_22reduce_config_selectorIN6thrust23THRUST_200600_302600_NS5tupleIblNS6_9null_typeES8_S8_S8_S8_S8_S8_S8_EEEEZNS1_11reduce_implILb1ES3_NS6_12zip_iteratorINS7_INS6_11hip_rocprim26transform_input_iterator_tIbNSD_35transform_pair_of_input_iterators_tIbNS6_6detail15normal_iteratorINS6_10device_ptrIKiEEEESL_NS6_8equal_toIiEEEENSG_9not_fun_tINSD_8identityEEEEENSD_19counting_iterator_tIlEES8_S8_S8_S8_S8_S8_S8_S8_EEEEPS9_S9_NSD_9__find_if7functorIS9_EEEE10hipError_tPvRmT1_T2_T3_mT4_P12ihipStream_tbEUlT_E1_NS1_11comp_targetILNS1_3genE4ELNS1_11target_archE910ELNS1_3gpuE8ELNS1_3repE0EEENS1_30default_config_static_selectorELNS0_4arch9wavefront6targetE1EEEvS14_
	.p2align	8
	.type	_ZN7rocprim17ROCPRIM_400000_NS6detail17trampoline_kernelINS0_14default_configENS1_22reduce_config_selectorIN6thrust23THRUST_200600_302600_NS5tupleIblNS6_9null_typeES8_S8_S8_S8_S8_S8_S8_EEEEZNS1_11reduce_implILb1ES3_NS6_12zip_iteratorINS7_INS6_11hip_rocprim26transform_input_iterator_tIbNSD_35transform_pair_of_input_iterators_tIbNS6_6detail15normal_iteratorINS6_10device_ptrIKiEEEESL_NS6_8equal_toIiEEEENSG_9not_fun_tINSD_8identityEEEEENSD_19counting_iterator_tIlEES8_S8_S8_S8_S8_S8_S8_S8_EEEEPS9_S9_NSD_9__find_if7functorIS9_EEEE10hipError_tPvRmT1_T2_T3_mT4_P12ihipStream_tbEUlT_E1_NS1_11comp_targetILNS1_3genE4ELNS1_11target_archE910ELNS1_3gpuE8ELNS1_3repE0EEENS1_30default_config_static_selectorELNS0_4arch9wavefront6targetE1EEEvS14_,@function
_ZN7rocprim17ROCPRIM_400000_NS6detail17trampoline_kernelINS0_14default_configENS1_22reduce_config_selectorIN6thrust23THRUST_200600_302600_NS5tupleIblNS6_9null_typeES8_S8_S8_S8_S8_S8_S8_EEEEZNS1_11reduce_implILb1ES3_NS6_12zip_iteratorINS7_INS6_11hip_rocprim26transform_input_iterator_tIbNSD_35transform_pair_of_input_iterators_tIbNS6_6detail15normal_iteratorINS6_10device_ptrIKiEEEESL_NS6_8equal_toIiEEEENSG_9not_fun_tINSD_8identityEEEEENSD_19counting_iterator_tIlEES8_S8_S8_S8_S8_S8_S8_S8_EEEEPS9_S9_NSD_9__find_if7functorIS9_EEEE10hipError_tPvRmT1_T2_T3_mT4_P12ihipStream_tbEUlT_E1_NS1_11comp_targetILNS1_3genE4ELNS1_11target_archE910ELNS1_3gpuE8ELNS1_3repE0EEENS1_30default_config_static_selectorELNS0_4arch9wavefront6targetE1EEEvS14_: ; @_ZN7rocprim17ROCPRIM_400000_NS6detail17trampoline_kernelINS0_14default_configENS1_22reduce_config_selectorIN6thrust23THRUST_200600_302600_NS5tupleIblNS6_9null_typeES8_S8_S8_S8_S8_S8_S8_EEEEZNS1_11reduce_implILb1ES3_NS6_12zip_iteratorINS7_INS6_11hip_rocprim26transform_input_iterator_tIbNSD_35transform_pair_of_input_iterators_tIbNS6_6detail15normal_iteratorINS6_10device_ptrIKiEEEESL_NS6_8equal_toIiEEEENSG_9not_fun_tINSD_8identityEEEEENSD_19counting_iterator_tIlEES8_S8_S8_S8_S8_S8_S8_S8_EEEEPS9_S9_NSD_9__find_if7functorIS9_EEEE10hipError_tPvRmT1_T2_T3_mT4_P12ihipStream_tbEUlT_E1_NS1_11comp_targetILNS1_3genE4ELNS1_11target_archE910ELNS1_3gpuE8ELNS1_3repE0EEENS1_30default_config_static_selectorELNS0_4arch9wavefront6targetE1EEEvS14_
; %bb.0:
	.section	.rodata,"a",@progbits
	.p2align	6, 0x0
	.amdhsa_kernel _ZN7rocprim17ROCPRIM_400000_NS6detail17trampoline_kernelINS0_14default_configENS1_22reduce_config_selectorIN6thrust23THRUST_200600_302600_NS5tupleIblNS6_9null_typeES8_S8_S8_S8_S8_S8_S8_EEEEZNS1_11reduce_implILb1ES3_NS6_12zip_iteratorINS7_INS6_11hip_rocprim26transform_input_iterator_tIbNSD_35transform_pair_of_input_iterators_tIbNS6_6detail15normal_iteratorINS6_10device_ptrIKiEEEESL_NS6_8equal_toIiEEEENSG_9not_fun_tINSD_8identityEEEEENSD_19counting_iterator_tIlEES8_S8_S8_S8_S8_S8_S8_S8_EEEEPS9_S9_NSD_9__find_if7functorIS9_EEEE10hipError_tPvRmT1_T2_T3_mT4_P12ihipStream_tbEUlT_E1_NS1_11comp_targetILNS1_3genE4ELNS1_11target_archE910ELNS1_3gpuE8ELNS1_3repE0EEENS1_30default_config_static_selectorELNS0_4arch9wavefront6targetE1EEEvS14_
		.amdhsa_group_segment_fixed_size 0
		.amdhsa_private_segment_fixed_size 0
		.amdhsa_kernarg_size 88
		.amdhsa_user_sgpr_count 2
		.amdhsa_user_sgpr_dispatch_ptr 0
		.amdhsa_user_sgpr_queue_ptr 0
		.amdhsa_user_sgpr_kernarg_segment_ptr 1
		.amdhsa_user_sgpr_dispatch_id 0
		.amdhsa_user_sgpr_kernarg_preload_length 0
		.amdhsa_user_sgpr_kernarg_preload_offset 0
		.amdhsa_user_sgpr_private_segment_size 0
		.amdhsa_uses_dynamic_stack 0
		.amdhsa_enable_private_segment 0
		.amdhsa_system_sgpr_workgroup_id_x 1
		.amdhsa_system_sgpr_workgroup_id_y 0
		.amdhsa_system_sgpr_workgroup_id_z 0
		.amdhsa_system_sgpr_workgroup_info 0
		.amdhsa_system_vgpr_workitem_id 0
		.amdhsa_next_free_vgpr 1
		.amdhsa_next_free_sgpr 0
		.amdhsa_accum_offset 4
		.amdhsa_reserve_vcc 0
		.amdhsa_float_round_mode_32 0
		.amdhsa_float_round_mode_16_64 0
		.amdhsa_float_denorm_mode_32 3
		.amdhsa_float_denorm_mode_16_64 3
		.amdhsa_dx10_clamp 1
		.amdhsa_ieee_mode 1
		.amdhsa_fp16_overflow 0
		.amdhsa_tg_split 0
		.amdhsa_exception_fp_ieee_invalid_op 0
		.amdhsa_exception_fp_denorm_src 0
		.amdhsa_exception_fp_ieee_div_zero 0
		.amdhsa_exception_fp_ieee_overflow 0
		.amdhsa_exception_fp_ieee_underflow 0
		.amdhsa_exception_fp_ieee_inexact 0
		.amdhsa_exception_int_div_zero 0
	.end_amdhsa_kernel
	.section	.text._ZN7rocprim17ROCPRIM_400000_NS6detail17trampoline_kernelINS0_14default_configENS1_22reduce_config_selectorIN6thrust23THRUST_200600_302600_NS5tupleIblNS6_9null_typeES8_S8_S8_S8_S8_S8_S8_EEEEZNS1_11reduce_implILb1ES3_NS6_12zip_iteratorINS7_INS6_11hip_rocprim26transform_input_iterator_tIbNSD_35transform_pair_of_input_iterators_tIbNS6_6detail15normal_iteratorINS6_10device_ptrIKiEEEESL_NS6_8equal_toIiEEEENSG_9not_fun_tINSD_8identityEEEEENSD_19counting_iterator_tIlEES8_S8_S8_S8_S8_S8_S8_S8_EEEEPS9_S9_NSD_9__find_if7functorIS9_EEEE10hipError_tPvRmT1_T2_T3_mT4_P12ihipStream_tbEUlT_E1_NS1_11comp_targetILNS1_3genE4ELNS1_11target_archE910ELNS1_3gpuE8ELNS1_3repE0EEENS1_30default_config_static_selectorELNS0_4arch9wavefront6targetE1EEEvS14_,"axG",@progbits,_ZN7rocprim17ROCPRIM_400000_NS6detail17trampoline_kernelINS0_14default_configENS1_22reduce_config_selectorIN6thrust23THRUST_200600_302600_NS5tupleIblNS6_9null_typeES8_S8_S8_S8_S8_S8_S8_EEEEZNS1_11reduce_implILb1ES3_NS6_12zip_iteratorINS7_INS6_11hip_rocprim26transform_input_iterator_tIbNSD_35transform_pair_of_input_iterators_tIbNS6_6detail15normal_iteratorINS6_10device_ptrIKiEEEESL_NS6_8equal_toIiEEEENSG_9not_fun_tINSD_8identityEEEEENSD_19counting_iterator_tIlEES8_S8_S8_S8_S8_S8_S8_S8_EEEEPS9_S9_NSD_9__find_if7functorIS9_EEEE10hipError_tPvRmT1_T2_T3_mT4_P12ihipStream_tbEUlT_E1_NS1_11comp_targetILNS1_3genE4ELNS1_11target_archE910ELNS1_3gpuE8ELNS1_3repE0EEENS1_30default_config_static_selectorELNS0_4arch9wavefront6targetE1EEEvS14_,comdat
.Lfunc_end131:
	.size	_ZN7rocprim17ROCPRIM_400000_NS6detail17trampoline_kernelINS0_14default_configENS1_22reduce_config_selectorIN6thrust23THRUST_200600_302600_NS5tupleIblNS6_9null_typeES8_S8_S8_S8_S8_S8_S8_EEEEZNS1_11reduce_implILb1ES3_NS6_12zip_iteratorINS7_INS6_11hip_rocprim26transform_input_iterator_tIbNSD_35transform_pair_of_input_iterators_tIbNS6_6detail15normal_iteratorINS6_10device_ptrIKiEEEESL_NS6_8equal_toIiEEEENSG_9not_fun_tINSD_8identityEEEEENSD_19counting_iterator_tIlEES8_S8_S8_S8_S8_S8_S8_S8_EEEEPS9_S9_NSD_9__find_if7functorIS9_EEEE10hipError_tPvRmT1_T2_T3_mT4_P12ihipStream_tbEUlT_E1_NS1_11comp_targetILNS1_3genE4ELNS1_11target_archE910ELNS1_3gpuE8ELNS1_3repE0EEENS1_30default_config_static_selectorELNS0_4arch9wavefront6targetE1EEEvS14_, .Lfunc_end131-_ZN7rocprim17ROCPRIM_400000_NS6detail17trampoline_kernelINS0_14default_configENS1_22reduce_config_selectorIN6thrust23THRUST_200600_302600_NS5tupleIblNS6_9null_typeES8_S8_S8_S8_S8_S8_S8_EEEEZNS1_11reduce_implILb1ES3_NS6_12zip_iteratorINS7_INS6_11hip_rocprim26transform_input_iterator_tIbNSD_35transform_pair_of_input_iterators_tIbNS6_6detail15normal_iteratorINS6_10device_ptrIKiEEEESL_NS6_8equal_toIiEEEENSG_9not_fun_tINSD_8identityEEEEENSD_19counting_iterator_tIlEES8_S8_S8_S8_S8_S8_S8_S8_EEEEPS9_S9_NSD_9__find_if7functorIS9_EEEE10hipError_tPvRmT1_T2_T3_mT4_P12ihipStream_tbEUlT_E1_NS1_11comp_targetILNS1_3genE4ELNS1_11target_archE910ELNS1_3gpuE8ELNS1_3repE0EEENS1_30default_config_static_selectorELNS0_4arch9wavefront6targetE1EEEvS14_
                                        ; -- End function
	.section	.AMDGPU.csdata,"",@progbits
; Kernel info:
; codeLenInByte = 0
; NumSgprs: 6
; NumVgprs: 0
; NumAgprs: 0
; TotalNumVgprs: 0
; ScratchSize: 0
; MemoryBound: 0
; FloatMode: 240
; IeeeMode: 1
; LDSByteSize: 0 bytes/workgroup (compile time only)
; SGPRBlocks: 0
; VGPRBlocks: 0
; NumSGPRsForWavesPerEU: 6
; NumVGPRsForWavesPerEU: 1
; AccumOffset: 4
; Occupancy: 8
; WaveLimiterHint : 0
; COMPUTE_PGM_RSRC2:SCRATCH_EN: 0
; COMPUTE_PGM_RSRC2:USER_SGPR: 2
; COMPUTE_PGM_RSRC2:TRAP_HANDLER: 0
; COMPUTE_PGM_RSRC2:TGID_X_EN: 1
; COMPUTE_PGM_RSRC2:TGID_Y_EN: 0
; COMPUTE_PGM_RSRC2:TGID_Z_EN: 0
; COMPUTE_PGM_RSRC2:TIDIG_COMP_CNT: 0
; COMPUTE_PGM_RSRC3_GFX90A:ACCUM_OFFSET: 0
; COMPUTE_PGM_RSRC3_GFX90A:TG_SPLIT: 0
	.section	.text._ZN7rocprim17ROCPRIM_400000_NS6detail17trampoline_kernelINS0_14default_configENS1_22reduce_config_selectorIN6thrust23THRUST_200600_302600_NS5tupleIblNS6_9null_typeES8_S8_S8_S8_S8_S8_S8_EEEEZNS1_11reduce_implILb1ES3_NS6_12zip_iteratorINS7_INS6_11hip_rocprim26transform_input_iterator_tIbNSD_35transform_pair_of_input_iterators_tIbNS6_6detail15normal_iteratorINS6_10device_ptrIKiEEEESL_NS6_8equal_toIiEEEENSG_9not_fun_tINSD_8identityEEEEENSD_19counting_iterator_tIlEES8_S8_S8_S8_S8_S8_S8_S8_EEEEPS9_S9_NSD_9__find_if7functorIS9_EEEE10hipError_tPvRmT1_T2_T3_mT4_P12ihipStream_tbEUlT_E1_NS1_11comp_targetILNS1_3genE3ELNS1_11target_archE908ELNS1_3gpuE7ELNS1_3repE0EEENS1_30default_config_static_selectorELNS0_4arch9wavefront6targetE1EEEvS14_,"axG",@progbits,_ZN7rocprim17ROCPRIM_400000_NS6detail17trampoline_kernelINS0_14default_configENS1_22reduce_config_selectorIN6thrust23THRUST_200600_302600_NS5tupleIblNS6_9null_typeES8_S8_S8_S8_S8_S8_S8_EEEEZNS1_11reduce_implILb1ES3_NS6_12zip_iteratorINS7_INS6_11hip_rocprim26transform_input_iterator_tIbNSD_35transform_pair_of_input_iterators_tIbNS6_6detail15normal_iteratorINS6_10device_ptrIKiEEEESL_NS6_8equal_toIiEEEENSG_9not_fun_tINSD_8identityEEEEENSD_19counting_iterator_tIlEES8_S8_S8_S8_S8_S8_S8_S8_EEEEPS9_S9_NSD_9__find_if7functorIS9_EEEE10hipError_tPvRmT1_T2_T3_mT4_P12ihipStream_tbEUlT_E1_NS1_11comp_targetILNS1_3genE3ELNS1_11target_archE908ELNS1_3gpuE7ELNS1_3repE0EEENS1_30default_config_static_selectorELNS0_4arch9wavefront6targetE1EEEvS14_,comdat
	.protected	_ZN7rocprim17ROCPRIM_400000_NS6detail17trampoline_kernelINS0_14default_configENS1_22reduce_config_selectorIN6thrust23THRUST_200600_302600_NS5tupleIblNS6_9null_typeES8_S8_S8_S8_S8_S8_S8_EEEEZNS1_11reduce_implILb1ES3_NS6_12zip_iteratorINS7_INS6_11hip_rocprim26transform_input_iterator_tIbNSD_35transform_pair_of_input_iterators_tIbNS6_6detail15normal_iteratorINS6_10device_ptrIKiEEEESL_NS6_8equal_toIiEEEENSG_9not_fun_tINSD_8identityEEEEENSD_19counting_iterator_tIlEES8_S8_S8_S8_S8_S8_S8_S8_EEEEPS9_S9_NSD_9__find_if7functorIS9_EEEE10hipError_tPvRmT1_T2_T3_mT4_P12ihipStream_tbEUlT_E1_NS1_11comp_targetILNS1_3genE3ELNS1_11target_archE908ELNS1_3gpuE7ELNS1_3repE0EEENS1_30default_config_static_selectorELNS0_4arch9wavefront6targetE1EEEvS14_ ; -- Begin function _ZN7rocprim17ROCPRIM_400000_NS6detail17trampoline_kernelINS0_14default_configENS1_22reduce_config_selectorIN6thrust23THRUST_200600_302600_NS5tupleIblNS6_9null_typeES8_S8_S8_S8_S8_S8_S8_EEEEZNS1_11reduce_implILb1ES3_NS6_12zip_iteratorINS7_INS6_11hip_rocprim26transform_input_iterator_tIbNSD_35transform_pair_of_input_iterators_tIbNS6_6detail15normal_iteratorINS6_10device_ptrIKiEEEESL_NS6_8equal_toIiEEEENSG_9not_fun_tINSD_8identityEEEEENSD_19counting_iterator_tIlEES8_S8_S8_S8_S8_S8_S8_S8_EEEEPS9_S9_NSD_9__find_if7functorIS9_EEEE10hipError_tPvRmT1_T2_T3_mT4_P12ihipStream_tbEUlT_E1_NS1_11comp_targetILNS1_3genE3ELNS1_11target_archE908ELNS1_3gpuE7ELNS1_3repE0EEENS1_30default_config_static_selectorELNS0_4arch9wavefront6targetE1EEEvS14_
	.globl	_ZN7rocprim17ROCPRIM_400000_NS6detail17trampoline_kernelINS0_14default_configENS1_22reduce_config_selectorIN6thrust23THRUST_200600_302600_NS5tupleIblNS6_9null_typeES8_S8_S8_S8_S8_S8_S8_EEEEZNS1_11reduce_implILb1ES3_NS6_12zip_iteratorINS7_INS6_11hip_rocprim26transform_input_iterator_tIbNSD_35transform_pair_of_input_iterators_tIbNS6_6detail15normal_iteratorINS6_10device_ptrIKiEEEESL_NS6_8equal_toIiEEEENSG_9not_fun_tINSD_8identityEEEEENSD_19counting_iterator_tIlEES8_S8_S8_S8_S8_S8_S8_S8_EEEEPS9_S9_NSD_9__find_if7functorIS9_EEEE10hipError_tPvRmT1_T2_T3_mT4_P12ihipStream_tbEUlT_E1_NS1_11comp_targetILNS1_3genE3ELNS1_11target_archE908ELNS1_3gpuE7ELNS1_3repE0EEENS1_30default_config_static_selectorELNS0_4arch9wavefront6targetE1EEEvS14_
	.p2align	8
	.type	_ZN7rocprim17ROCPRIM_400000_NS6detail17trampoline_kernelINS0_14default_configENS1_22reduce_config_selectorIN6thrust23THRUST_200600_302600_NS5tupleIblNS6_9null_typeES8_S8_S8_S8_S8_S8_S8_EEEEZNS1_11reduce_implILb1ES3_NS6_12zip_iteratorINS7_INS6_11hip_rocprim26transform_input_iterator_tIbNSD_35transform_pair_of_input_iterators_tIbNS6_6detail15normal_iteratorINS6_10device_ptrIKiEEEESL_NS6_8equal_toIiEEEENSG_9not_fun_tINSD_8identityEEEEENSD_19counting_iterator_tIlEES8_S8_S8_S8_S8_S8_S8_S8_EEEEPS9_S9_NSD_9__find_if7functorIS9_EEEE10hipError_tPvRmT1_T2_T3_mT4_P12ihipStream_tbEUlT_E1_NS1_11comp_targetILNS1_3genE3ELNS1_11target_archE908ELNS1_3gpuE7ELNS1_3repE0EEENS1_30default_config_static_selectorELNS0_4arch9wavefront6targetE1EEEvS14_,@function
_ZN7rocprim17ROCPRIM_400000_NS6detail17trampoline_kernelINS0_14default_configENS1_22reduce_config_selectorIN6thrust23THRUST_200600_302600_NS5tupleIblNS6_9null_typeES8_S8_S8_S8_S8_S8_S8_EEEEZNS1_11reduce_implILb1ES3_NS6_12zip_iteratorINS7_INS6_11hip_rocprim26transform_input_iterator_tIbNSD_35transform_pair_of_input_iterators_tIbNS6_6detail15normal_iteratorINS6_10device_ptrIKiEEEESL_NS6_8equal_toIiEEEENSG_9not_fun_tINSD_8identityEEEEENSD_19counting_iterator_tIlEES8_S8_S8_S8_S8_S8_S8_S8_EEEEPS9_S9_NSD_9__find_if7functorIS9_EEEE10hipError_tPvRmT1_T2_T3_mT4_P12ihipStream_tbEUlT_E1_NS1_11comp_targetILNS1_3genE3ELNS1_11target_archE908ELNS1_3gpuE7ELNS1_3repE0EEENS1_30default_config_static_selectorELNS0_4arch9wavefront6targetE1EEEvS14_: ; @_ZN7rocprim17ROCPRIM_400000_NS6detail17trampoline_kernelINS0_14default_configENS1_22reduce_config_selectorIN6thrust23THRUST_200600_302600_NS5tupleIblNS6_9null_typeES8_S8_S8_S8_S8_S8_S8_EEEEZNS1_11reduce_implILb1ES3_NS6_12zip_iteratorINS7_INS6_11hip_rocprim26transform_input_iterator_tIbNSD_35transform_pair_of_input_iterators_tIbNS6_6detail15normal_iteratorINS6_10device_ptrIKiEEEESL_NS6_8equal_toIiEEEENSG_9not_fun_tINSD_8identityEEEEENSD_19counting_iterator_tIlEES8_S8_S8_S8_S8_S8_S8_S8_EEEEPS9_S9_NSD_9__find_if7functorIS9_EEEE10hipError_tPvRmT1_T2_T3_mT4_P12ihipStream_tbEUlT_E1_NS1_11comp_targetILNS1_3genE3ELNS1_11target_archE908ELNS1_3gpuE7ELNS1_3repE0EEENS1_30default_config_static_selectorELNS0_4arch9wavefront6targetE1EEEvS14_
; %bb.0:
	.section	.rodata,"a",@progbits
	.p2align	6, 0x0
	.amdhsa_kernel _ZN7rocprim17ROCPRIM_400000_NS6detail17trampoline_kernelINS0_14default_configENS1_22reduce_config_selectorIN6thrust23THRUST_200600_302600_NS5tupleIblNS6_9null_typeES8_S8_S8_S8_S8_S8_S8_EEEEZNS1_11reduce_implILb1ES3_NS6_12zip_iteratorINS7_INS6_11hip_rocprim26transform_input_iterator_tIbNSD_35transform_pair_of_input_iterators_tIbNS6_6detail15normal_iteratorINS6_10device_ptrIKiEEEESL_NS6_8equal_toIiEEEENSG_9not_fun_tINSD_8identityEEEEENSD_19counting_iterator_tIlEES8_S8_S8_S8_S8_S8_S8_S8_EEEEPS9_S9_NSD_9__find_if7functorIS9_EEEE10hipError_tPvRmT1_T2_T3_mT4_P12ihipStream_tbEUlT_E1_NS1_11comp_targetILNS1_3genE3ELNS1_11target_archE908ELNS1_3gpuE7ELNS1_3repE0EEENS1_30default_config_static_selectorELNS0_4arch9wavefront6targetE1EEEvS14_
		.amdhsa_group_segment_fixed_size 0
		.amdhsa_private_segment_fixed_size 0
		.amdhsa_kernarg_size 88
		.amdhsa_user_sgpr_count 2
		.amdhsa_user_sgpr_dispatch_ptr 0
		.amdhsa_user_sgpr_queue_ptr 0
		.amdhsa_user_sgpr_kernarg_segment_ptr 1
		.amdhsa_user_sgpr_dispatch_id 0
		.amdhsa_user_sgpr_kernarg_preload_length 0
		.amdhsa_user_sgpr_kernarg_preload_offset 0
		.amdhsa_user_sgpr_private_segment_size 0
		.amdhsa_uses_dynamic_stack 0
		.amdhsa_enable_private_segment 0
		.amdhsa_system_sgpr_workgroup_id_x 1
		.amdhsa_system_sgpr_workgroup_id_y 0
		.amdhsa_system_sgpr_workgroup_id_z 0
		.amdhsa_system_sgpr_workgroup_info 0
		.amdhsa_system_vgpr_workitem_id 0
		.amdhsa_next_free_vgpr 1
		.amdhsa_next_free_sgpr 0
		.amdhsa_accum_offset 4
		.amdhsa_reserve_vcc 0
		.amdhsa_float_round_mode_32 0
		.amdhsa_float_round_mode_16_64 0
		.amdhsa_float_denorm_mode_32 3
		.amdhsa_float_denorm_mode_16_64 3
		.amdhsa_dx10_clamp 1
		.amdhsa_ieee_mode 1
		.amdhsa_fp16_overflow 0
		.amdhsa_tg_split 0
		.amdhsa_exception_fp_ieee_invalid_op 0
		.amdhsa_exception_fp_denorm_src 0
		.amdhsa_exception_fp_ieee_div_zero 0
		.amdhsa_exception_fp_ieee_overflow 0
		.amdhsa_exception_fp_ieee_underflow 0
		.amdhsa_exception_fp_ieee_inexact 0
		.amdhsa_exception_int_div_zero 0
	.end_amdhsa_kernel
	.section	.text._ZN7rocprim17ROCPRIM_400000_NS6detail17trampoline_kernelINS0_14default_configENS1_22reduce_config_selectorIN6thrust23THRUST_200600_302600_NS5tupleIblNS6_9null_typeES8_S8_S8_S8_S8_S8_S8_EEEEZNS1_11reduce_implILb1ES3_NS6_12zip_iteratorINS7_INS6_11hip_rocprim26transform_input_iterator_tIbNSD_35transform_pair_of_input_iterators_tIbNS6_6detail15normal_iteratorINS6_10device_ptrIKiEEEESL_NS6_8equal_toIiEEEENSG_9not_fun_tINSD_8identityEEEEENSD_19counting_iterator_tIlEES8_S8_S8_S8_S8_S8_S8_S8_EEEEPS9_S9_NSD_9__find_if7functorIS9_EEEE10hipError_tPvRmT1_T2_T3_mT4_P12ihipStream_tbEUlT_E1_NS1_11comp_targetILNS1_3genE3ELNS1_11target_archE908ELNS1_3gpuE7ELNS1_3repE0EEENS1_30default_config_static_selectorELNS0_4arch9wavefront6targetE1EEEvS14_,"axG",@progbits,_ZN7rocprim17ROCPRIM_400000_NS6detail17trampoline_kernelINS0_14default_configENS1_22reduce_config_selectorIN6thrust23THRUST_200600_302600_NS5tupleIblNS6_9null_typeES8_S8_S8_S8_S8_S8_S8_EEEEZNS1_11reduce_implILb1ES3_NS6_12zip_iteratorINS7_INS6_11hip_rocprim26transform_input_iterator_tIbNSD_35transform_pair_of_input_iterators_tIbNS6_6detail15normal_iteratorINS6_10device_ptrIKiEEEESL_NS6_8equal_toIiEEEENSG_9not_fun_tINSD_8identityEEEEENSD_19counting_iterator_tIlEES8_S8_S8_S8_S8_S8_S8_S8_EEEEPS9_S9_NSD_9__find_if7functorIS9_EEEE10hipError_tPvRmT1_T2_T3_mT4_P12ihipStream_tbEUlT_E1_NS1_11comp_targetILNS1_3genE3ELNS1_11target_archE908ELNS1_3gpuE7ELNS1_3repE0EEENS1_30default_config_static_selectorELNS0_4arch9wavefront6targetE1EEEvS14_,comdat
.Lfunc_end132:
	.size	_ZN7rocprim17ROCPRIM_400000_NS6detail17trampoline_kernelINS0_14default_configENS1_22reduce_config_selectorIN6thrust23THRUST_200600_302600_NS5tupleIblNS6_9null_typeES8_S8_S8_S8_S8_S8_S8_EEEEZNS1_11reduce_implILb1ES3_NS6_12zip_iteratorINS7_INS6_11hip_rocprim26transform_input_iterator_tIbNSD_35transform_pair_of_input_iterators_tIbNS6_6detail15normal_iteratorINS6_10device_ptrIKiEEEESL_NS6_8equal_toIiEEEENSG_9not_fun_tINSD_8identityEEEEENSD_19counting_iterator_tIlEES8_S8_S8_S8_S8_S8_S8_S8_EEEEPS9_S9_NSD_9__find_if7functorIS9_EEEE10hipError_tPvRmT1_T2_T3_mT4_P12ihipStream_tbEUlT_E1_NS1_11comp_targetILNS1_3genE3ELNS1_11target_archE908ELNS1_3gpuE7ELNS1_3repE0EEENS1_30default_config_static_selectorELNS0_4arch9wavefront6targetE1EEEvS14_, .Lfunc_end132-_ZN7rocprim17ROCPRIM_400000_NS6detail17trampoline_kernelINS0_14default_configENS1_22reduce_config_selectorIN6thrust23THRUST_200600_302600_NS5tupleIblNS6_9null_typeES8_S8_S8_S8_S8_S8_S8_EEEEZNS1_11reduce_implILb1ES3_NS6_12zip_iteratorINS7_INS6_11hip_rocprim26transform_input_iterator_tIbNSD_35transform_pair_of_input_iterators_tIbNS6_6detail15normal_iteratorINS6_10device_ptrIKiEEEESL_NS6_8equal_toIiEEEENSG_9not_fun_tINSD_8identityEEEEENSD_19counting_iterator_tIlEES8_S8_S8_S8_S8_S8_S8_S8_EEEEPS9_S9_NSD_9__find_if7functorIS9_EEEE10hipError_tPvRmT1_T2_T3_mT4_P12ihipStream_tbEUlT_E1_NS1_11comp_targetILNS1_3genE3ELNS1_11target_archE908ELNS1_3gpuE7ELNS1_3repE0EEENS1_30default_config_static_selectorELNS0_4arch9wavefront6targetE1EEEvS14_
                                        ; -- End function
	.section	.AMDGPU.csdata,"",@progbits
; Kernel info:
; codeLenInByte = 0
; NumSgprs: 6
; NumVgprs: 0
; NumAgprs: 0
; TotalNumVgprs: 0
; ScratchSize: 0
; MemoryBound: 0
; FloatMode: 240
; IeeeMode: 1
; LDSByteSize: 0 bytes/workgroup (compile time only)
; SGPRBlocks: 0
; VGPRBlocks: 0
; NumSGPRsForWavesPerEU: 6
; NumVGPRsForWavesPerEU: 1
; AccumOffset: 4
; Occupancy: 8
; WaveLimiterHint : 0
; COMPUTE_PGM_RSRC2:SCRATCH_EN: 0
; COMPUTE_PGM_RSRC2:USER_SGPR: 2
; COMPUTE_PGM_RSRC2:TRAP_HANDLER: 0
; COMPUTE_PGM_RSRC2:TGID_X_EN: 1
; COMPUTE_PGM_RSRC2:TGID_Y_EN: 0
; COMPUTE_PGM_RSRC2:TGID_Z_EN: 0
; COMPUTE_PGM_RSRC2:TIDIG_COMP_CNT: 0
; COMPUTE_PGM_RSRC3_GFX90A:ACCUM_OFFSET: 0
; COMPUTE_PGM_RSRC3_GFX90A:TG_SPLIT: 0
	.section	.text._ZN7rocprim17ROCPRIM_400000_NS6detail17trampoline_kernelINS0_14default_configENS1_22reduce_config_selectorIN6thrust23THRUST_200600_302600_NS5tupleIblNS6_9null_typeES8_S8_S8_S8_S8_S8_S8_EEEEZNS1_11reduce_implILb1ES3_NS6_12zip_iteratorINS7_INS6_11hip_rocprim26transform_input_iterator_tIbNSD_35transform_pair_of_input_iterators_tIbNS6_6detail15normal_iteratorINS6_10device_ptrIKiEEEESL_NS6_8equal_toIiEEEENSG_9not_fun_tINSD_8identityEEEEENSD_19counting_iterator_tIlEES8_S8_S8_S8_S8_S8_S8_S8_EEEEPS9_S9_NSD_9__find_if7functorIS9_EEEE10hipError_tPvRmT1_T2_T3_mT4_P12ihipStream_tbEUlT_E1_NS1_11comp_targetILNS1_3genE2ELNS1_11target_archE906ELNS1_3gpuE6ELNS1_3repE0EEENS1_30default_config_static_selectorELNS0_4arch9wavefront6targetE1EEEvS14_,"axG",@progbits,_ZN7rocprim17ROCPRIM_400000_NS6detail17trampoline_kernelINS0_14default_configENS1_22reduce_config_selectorIN6thrust23THRUST_200600_302600_NS5tupleIblNS6_9null_typeES8_S8_S8_S8_S8_S8_S8_EEEEZNS1_11reduce_implILb1ES3_NS6_12zip_iteratorINS7_INS6_11hip_rocprim26transform_input_iterator_tIbNSD_35transform_pair_of_input_iterators_tIbNS6_6detail15normal_iteratorINS6_10device_ptrIKiEEEESL_NS6_8equal_toIiEEEENSG_9not_fun_tINSD_8identityEEEEENSD_19counting_iterator_tIlEES8_S8_S8_S8_S8_S8_S8_S8_EEEEPS9_S9_NSD_9__find_if7functorIS9_EEEE10hipError_tPvRmT1_T2_T3_mT4_P12ihipStream_tbEUlT_E1_NS1_11comp_targetILNS1_3genE2ELNS1_11target_archE906ELNS1_3gpuE6ELNS1_3repE0EEENS1_30default_config_static_selectorELNS0_4arch9wavefront6targetE1EEEvS14_,comdat
	.protected	_ZN7rocprim17ROCPRIM_400000_NS6detail17trampoline_kernelINS0_14default_configENS1_22reduce_config_selectorIN6thrust23THRUST_200600_302600_NS5tupleIblNS6_9null_typeES8_S8_S8_S8_S8_S8_S8_EEEEZNS1_11reduce_implILb1ES3_NS6_12zip_iteratorINS7_INS6_11hip_rocprim26transform_input_iterator_tIbNSD_35transform_pair_of_input_iterators_tIbNS6_6detail15normal_iteratorINS6_10device_ptrIKiEEEESL_NS6_8equal_toIiEEEENSG_9not_fun_tINSD_8identityEEEEENSD_19counting_iterator_tIlEES8_S8_S8_S8_S8_S8_S8_S8_EEEEPS9_S9_NSD_9__find_if7functorIS9_EEEE10hipError_tPvRmT1_T2_T3_mT4_P12ihipStream_tbEUlT_E1_NS1_11comp_targetILNS1_3genE2ELNS1_11target_archE906ELNS1_3gpuE6ELNS1_3repE0EEENS1_30default_config_static_selectorELNS0_4arch9wavefront6targetE1EEEvS14_ ; -- Begin function _ZN7rocprim17ROCPRIM_400000_NS6detail17trampoline_kernelINS0_14default_configENS1_22reduce_config_selectorIN6thrust23THRUST_200600_302600_NS5tupleIblNS6_9null_typeES8_S8_S8_S8_S8_S8_S8_EEEEZNS1_11reduce_implILb1ES3_NS6_12zip_iteratorINS7_INS6_11hip_rocprim26transform_input_iterator_tIbNSD_35transform_pair_of_input_iterators_tIbNS6_6detail15normal_iteratorINS6_10device_ptrIKiEEEESL_NS6_8equal_toIiEEEENSG_9not_fun_tINSD_8identityEEEEENSD_19counting_iterator_tIlEES8_S8_S8_S8_S8_S8_S8_S8_EEEEPS9_S9_NSD_9__find_if7functorIS9_EEEE10hipError_tPvRmT1_T2_T3_mT4_P12ihipStream_tbEUlT_E1_NS1_11comp_targetILNS1_3genE2ELNS1_11target_archE906ELNS1_3gpuE6ELNS1_3repE0EEENS1_30default_config_static_selectorELNS0_4arch9wavefront6targetE1EEEvS14_
	.globl	_ZN7rocprim17ROCPRIM_400000_NS6detail17trampoline_kernelINS0_14default_configENS1_22reduce_config_selectorIN6thrust23THRUST_200600_302600_NS5tupleIblNS6_9null_typeES8_S8_S8_S8_S8_S8_S8_EEEEZNS1_11reduce_implILb1ES3_NS6_12zip_iteratorINS7_INS6_11hip_rocprim26transform_input_iterator_tIbNSD_35transform_pair_of_input_iterators_tIbNS6_6detail15normal_iteratorINS6_10device_ptrIKiEEEESL_NS6_8equal_toIiEEEENSG_9not_fun_tINSD_8identityEEEEENSD_19counting_iterator_tIlEES8_S8_S8_S8_S8_S8_S8_S8_EEEEPS9_S9_NSD_9__find_if7functorIS9_EEEE10hipError_tPvRmT1_T2_T3_mT4_P12ihipStream_tbEUlT_E1_NS1_11comp_targetILNS1_3genE2ELNS1_11target_archE906ELNS1_3gpuE6ELNS1_3repE0EEENS1_30default_config_static_selectorELNS0_4arch9wavefront6targetE1EEEvS14_
	.p2align	8
	.type	_ZN7rocprim17ROCPRIM_400000_NS6detail17trampoline_kernelINS0_14default_configENS1_22reduce_config_selectorIN6thrust23THRUST_200600_302600_NS5tupleIblNS6_9null_typeES8_S8_S8_S8_S8_S8_S8_EEEEZNS1_11reduce_implILb1ES3_NS6_12zip_iteratorINS7_INS6_11hip_rocprim26transform_input_iterator_tIbNSD_35transform_pair_of_input_iterators_tIbNS6_6detail15normal_iteratorINS6_10device_ptrIKiEEEESL_NS6_8equal_toIiEEEENSG_9not_fun_tINSD_8identityEEEEENSD_19counting_iterator_tIlEES8_S8_S8_S8_S8_S8_S8_S8_EEEEPS9_S9_NSD_9__find_if7functorIS9_EEEE10hipError_tPvRmT1_T2_T3_mT4_P12ihipStream_tbEUlT_E1_NS1_11comp_targetILNS1_3genE2ELNS1_11target_archE906ELNS1_3gpuE6ELNS1_3repE0EEENS1_30default_config_static_selectorELNS0_4arch9wavefront6targetE1EEEvS14_,@function
_ZN7rocprim17ROCPRIM_400000_NS6detail17trampoline_kernelINS0_14default_configENS1_22reduce_config_selectorIN6thrust23THRUST_200600_302600_NS5tupleIblNS6_9null_typeES8_S8_S8_S8_S8_S8_S8_EEEEZNS1_11reduce_implILb1ES3_NS6_12zip_iteratorINS7_INS6_11hip_rocprim26transform_input_iterator_tIbNSD_35transform_pair_of_input_iterators_tIbNS6_6detail15normal_iteratorINS6_10device_ptrIKiEEEESL_NS6_8equal_toIiEEEENSG_9not_fun_tINSD_8identityEEEEENSD_19counting_iterator_tIlEES8_S8_S8_S8_S8_S8_S8_S8_EEEEPS9_S9_NSD_9__find_if7functorIS9_EEEE10hipError_tPvRmT1_T2_T3_mT4_P12ihipStream_tbEUlT_E1_NS1_11comp_targetILNS1_3genE2ELNS1_11target_archE906ELNS1_3gpuE6ELNS1_3repE0EEENS1_30default_config_static_selectorELNS0_4arch9wavefront6targetE1EEEvS14_: ; @_ZN7rocprim17ROCPRIM_400000_NS6detail17trampoline_kernelINS0_14default_configENS1_22reduce_config_selectorIN6thrust23THRUST_200600_302600_NS5tupleIblNS6_9null_typeES8_S8_S8_S8_S8_S8_S8_EEEEZNS1_11reduce_implILb1ES3_NS6_12zip_iteratorINS7_INS6_11hip_rocprim26transform_input_iterator_tIbNSD_35transform_pair_of_input_iterators_tIbNS6_6detail15normal_iteratorINS6_10device_ptrIKiEEEESL_NS6_8equal_toIiEEEENSG_9not_fun_tINSD_8identityEEEEENSD_19counting_iterator_tIlEES8_S8_S8_S8_S8_S8_S8_S8_EEEEPS9_S9_NSD_9__find_if7functorIS9_EEEE10hipError_tPvRmT1_T2_T3_mT4_P12ihipStream_tbEUlT_E1_NS1_11comp_targetILNS1_3genE2ELNS1_11target_archE906ELNS1_3gpuE6ELNS1_3repE0EEENS1_30default_config_static_selectorELNS0_4arch9wavefront6targetE1EEEvS14_
; %bb.0:
	.section	.rodata,"a",@progbits
	.p2align	6, 0x0
	.amdhsa_kernel _ZN7rocprim17ROCPRIM_400000_NS6detail17trampoline_kernelINS0_14default_configENS1_22reduce_config_selectorIN6thrust23THRUST_200600_302600_NS5tupleIblNS6_9null_typeES8_S8_S8_S8_S8_S8_S8_EEEEZNS1_11reduce_implILb1ES3_NS6_12zip_iteratorINS7_INS6_11hip_rocprim26transform_input_iterator_tIbNSD_35transform_pair_of_input_iterators_tIbNS6_6detail15normal_iteratorINS6_10device_ptrIKiEEEESL_NS6_8equal_toIiEEEENSG_9not_fun_tINSD_8identityEEEEENSD_19counting_iterator_tIlEES8_S8_S8_S8_S8_S8_S8_S8_EEEEPS9_S9_NSD_9__find_if7functorIS9_EEEE10hipError_tPvRmT1_T2_T3_mT4_P12ihipStream_tbEUlT_E1_NS1_11comp_targetILNS1_3genE2ELNS1_11target_archE906ELNS1_3gpuE6ELNS1_3repE0EEENS1_30default_config_static_selectorELNS0_4arch9wavefront6targetE1EEEvS14_
		.amdhsa_group_segment_fixed_size 0
		.amdhsa_private_segment_fixed_size 0
		.amdhsa_kernarg_size 88
		.amdhsa_user_sgpr_count 2
		.amdhsa_user_sgpr_dispatch_ptr 0
		.amdhsa_user_sgpr_queue_ptr 0
		.amdhsa_user_sgpr_kernarg_segment_ptr 1
		.amdhsa_user_sgpr_dispatch_id 0
		.amdhsa_user_sgpr_kernarg_preload_length 0
		.amdhsa_user_sgpr_kernarg_preload_offset 0
		.amdhsa_user_sgpr_private_segment_size 0
		.amdhsa_uses_dynamic_stack 0
		.amdhsa_enable_private_segment 0
		.amdhsa_system_sgpr_workgroup_id_x 1
		.amdhsa_system_sgpr_workgroup_id_y 0
		.amdhsa_system_sgpr_workgroup_id_z 0
		.amdhsa_system_sgpr_workgroup_info 0
		.amdhsa_system_vgpr_workitem_id 0
		.amdhsa_next_free_vgpr 1
		.amdhsa_next_free_sgpr 0
		.amdhsa_accum_offset 4
		.amdhsa_reserve_vcc 0
		.amdhsa_float_round_mode_32 0
		.amdhsa_float_round_mode_16_64 0
		.amdhsa_float_denorm_mode_32 3
		.amdhsa_float_denorm_mode_16_64 3
		.amdhsa_dx10_clamp 1
		.amdhsa_ieee_mode 1
		.amdhsa_fp16_overflow 0
		.amdhsa_tg_split 0
		.amdhsa_exception_fp_ieee_invalid_op 0
		.amdhsa_exception_fp_denorm_src 0
		.amdhsa_exception_fp_ieee_div_zero 0
		.amdhsa_exception_fp_ieee_overflow 0
		.amdhsa_exception_fp_ieee_underflow 0
		.amdhsa_exception_fp_ieee_inexact 0
		.amdhsa_exception_int_div_zero 0
	.end_amdhsa_kernel
	.section	.text._ZN7rocprim17ROCPRIM_400000_NS6detail17trampoline_kernelINS0_14default_configENS1_22reduce_config_selectorIN6thrust23THRUST_200600_302600_NS5tupleIblNS6_9null_typeES8_S8_S8_S8_S8_S8_S8_EEEEZNS1_11reduce_implILb1ES3_NS6_12zip_iteratorINS7_INS6_11hip_rocprim26transform_input_iterator_tIbNSD_35transform_pair_of_input_iterators_tIbNS6_6detail15normal_iteratorINS6_10device_ptrIKiEEEESL_NS6_8equal_toIiEEEENSG_9not_fun_tINSD_8identityEEEEENSD_19counting_iterator_tIlEES8_S8_S8_S8_S8_S8_S8_S8_EEEEPS9_S9_NSD_9__find_if7functorIS9_EEEE10hipError_tPvRmT1_T2_T3_mT4_P12ihipStream_tbEUlT_E1_NS1_11comp_targetILNS1_3genE2ELNS1_11target_archE906ELNS1_3gpuE6ELNS1_3repE0EEENS1_30default_config_static_selectorELNS0_4arch9wavefront6targetE1EEEvS14_,"axG",@progbits,_ZN7rocprim17ROCPRIM_400000_NS6detail17trampoline_kernelINS0_14default_configENS1_22reduce_config_selectorIN6thrust23THRUST_200600_302600_NS5tupleIblNS6_9null_typeES8_S8_S8_S8_S8_S8_S8_EEEEZNS1_11reduce_implILb1ES3_NS6_12zip_iteratorINS7_INS6_11hip_rocprim26transform_input_iterator_tIbNSD_35transform_pair_of_input_iterators_tIbNS6_6detail15normal_iteratorINS6_10device_ptrIKiEEEESL_NS6_8equal_toIiEEEENSG_9not_fun_tINSD_8identityEEEEENSD_19counting_iterator_tIlEES8_S8_S8_S8_S8_S8_S8_S8_EEEEPS9_S9_NSD_9__find_if7functorIS9_EEEE10hipError_tPvRmT1_T2_T3_mT4_P12ihipStream_tbEUlT_E1_NS1_11comp_targetILNS1_3genE2ELNS1_11target_archE906ELNS1_3gpuE6ELNS1_3repE0EEENS1_30default_config_static_selectorELNS0_4arch9wavefront6targetE1EEEvS14_,comdat
.Lfunc_end133:
	.size	_ZN7rocprim17ROCPRIM_400000_NS6detail17trampoline_kernelINS0_14default_configENS1_22reduce_config_selectorIN6thrust23THRUST_200600_302600_NS5tupleIblNS6_9null_typeES8_S8_S8_S8_S8_S8_S8_EEEEZNS1_11reduce_implILb1ES3_NS6_12zip_iteratorINS7_INS6_11hip_rocprim26transform_input_iterator_tIbNSD_35transform_pair_of_input_iterators_tIbNS6_6detail15normal_iteratorINS6_10device_ptrIKiEEEESL_NS6_8equal_toIiEEEENSG_9not_fun_tINSD_8identityEEEEENSD_19counting_iterator_tIlEES8_S8_S8_S8_S8_S8_S8_S8_EEEEPS9_S9_NSD_9__find_if7functorIS9_EEEE10hipError_tPvRmT1_T2_T3_mT4_P12ihipStream_tbEUlT_E1_NS1_11comp_targetILNS1_3genE2ELNS1_11target_archE906ELNS1_3gpuE6ELNS1_3repE0EEENS1_30default_config_static_selectorELNS0_4arch9wavefront6targetE1EEEvS14_, .Lfunc_end133-_ZN7rocprim17ROCPRIM_400000_NS6detail17trampoline_kernelINS0_14default_configENS1_22reduce_config_selectorIN6thrust23THRUST_200600_302600_NS5tupleIblNS6_9null_typeES8_S8_S8_S8_S8_S8_S8_EEEEZNS1_11reduce_implILb1ES3_NS6_12zip_iteratorINS7_INS6_11hip_rocprim26transform_input_iterator_tIbNSD_35transform_pair_of_input_iterators_tIbNS6_6detail15normal_iteratorINS6_10device_ptrIKiEEEESL_NS6_8equal_toIiEEEENSG_9not_fun_tINSD_8identityEEEEENSD_19counting_iterator_tIlEES8_S8_S8_S8_S8_S8_S8_S8_EEEEPS9_S9_NSD_9__find_if7functorIS9_EEEE10hipError_tPvRmT1_T2_T3_mT4_P12ihipStream_tbEUlT_E1_NS1_11comp_targetILNS1_3genE2ELNS1_11target_archE906ELNS1_3gpuE6ELNS1_3repE0EEENS1_30default_config_static_selectorELNS0_4arch9wavefront6targetE1EEEvS14_
                                        ; -- End function
	.section	.AMDGPU.csdata,"",@progbits
; Kernel info:
; codeLenInByte = 0
; NumSgprs: 6
; NumVgprs: 0
; NumAgprs: 0
; TotalNumVgprs: 0
; ScratchSize: 0
; MemoryBound: 0
; FloatMode: 240
; IeeeMode: 1
; LDSByteSize: 0 bytes/workgroup (compile time only)
; SGPRBlocks: 0
; VGPRBlocks: 0
; NumSGPRsForWavesPerEU: 6
; NumVGPRsForWavesPerEU: 1
; AccumOffset: 4
; Occupancy: 8
; WaveLimiterHint : 0
; COMPUTE_PGM_RSRC2:SCRATCH_EN: 0
; COMPUTE_PGM_RSRC2:USER_SGPR: 2
; COMPUTE_PGM_RSRC2:TRAP_HANDLER: 0
; COMPUTE_PGM_RSRC2:TGID_X_EN: 1
; COMPUTE_PGM_RSRC2:TGID_Y_EN: 0
; COMPUTE_PGM_RSRC2:TGID_Z_EN: 0
; COMPUTE_PGM_RSRC2:TIDIG_COMP_CNT: 0
; COMPUTE_PGM_RSRC3_GFX90A:ACCUM_OFFSET: 0
; COMPUTE_PGM_RSRC3_GFX90A:TG_SPLIT: 0
	.section	.text._ZN7rocprim17ROCPRIM_400000_NS6detail17trampoline_kernelINS0_14default_configENS1_22reduce_config_selectorIN6thrust23THRUST_200600_302600_NS5tupleIblNS6_9null_typeES8_S8_S8_S8_S8_S8_S8_EEEEZNS1_11reduce_implILb1ES3_NS6_12zip_iteratorINS7_INS6_11hip_rocprim26transform_input_iterator_tIbNSD_35transform_pair_of_input_iterators_tIbNS6_6detail15normal_iteratorINS6_10device_ptrIKiEEEESL_NS6_8equal_toIiEEEENSG_9not_fun_tINSD_8identityEEEEENSD_19counting_iterator_tIlEES8_S8_S8_S8_S8_S8_S8_S8_EEEEPS9_S9_NSD_9__find_if7functorIS9_EEEE10hipError_tPvRmT1_T2_T3_mT4_P12ihipStream_tbEUlT_E1_NS1_11comp_targetILNS1_3genE10ELNS1_11target_archE1201ELNS1_3gpuE5ELNS1_3repE0EEENS1_30default_config_static_selectorELNS0_4arch9wavefront6targetE1EEEvS14_,"axG",@progbits,_ZN7rocprim17ROCPRIM_400000_NS6detail17trampoline_kernelINS0_14default_configENS1_22reduce_config_selectorIN6thrust23THRUST_200600_302600_NS5tupleIblNS6_9null_typeES8_S8_S8_S8_S8_S8_S8_EEEEZNS1_11reduce_implILb1ES3_NS6_12zip_iteratorINS7_INS6_11hip_rocprim26transform_input_iterator_tIbNSD_35transform_pair_of_input_iterators_tIbNS6_6detail15normal_iteratorINS6_10device_ptrIKiEEEESL_NS6_8equal_toIiEEEENSG_9not_fun_tINSD_8identityEEEEENSD_19counting_iterator_tIlEES8_S8_S8_S8_S8_S8_S8_S8_EEEEPS9_S9_NSD_9__find_if7functorIS9_EEEE10hipError_tPvRmT1_T2_T3_mT4_P12ihipStream_tbEUlT_E1_NS1_11comp_targetILNS1_3genE10ELNS1_11target_archE1201ELNS1_3gpuE5ELNS1_3repE0EEENS1_30default_config_static_selectorELNS0_4arch9wavefront6targetE1EEEvS14_,comdat
	.protected	_ZN7rocprim17ROCPRIM_400000_NS6detail17trampoline_kernelINS0_14default_configENS1_22reduce_config_selectorIN6thrust23THRUST_200600_302600_NS5tupleIblNS6_9null_typeES8_S8_S8_S8_S8_S8_S8_EEEEZNS1_11reduce_implILb1ES3_NS6_12zip_iteratorINS7_INS6_11hip_rocprim26transform_input_iterator_tIbNSD_35transform_pair_of_input_iterators_tIbNS6_6detail15normal_iteratorINS6_10device_ptrIKiEEEESL_NS6_8equal_toIiEEEENSG_9not_fun_tINSD_8identityEEEEENSD_19counting_iterator_tIlEES8_S8_S8_S8_S8_S8_S8_S8_EEEEPS9_S9_NSD_9__find_if7functorIS9_EEEE10hipError_tPvRmT1_T2_T3_mT4_P12ihipStream_tbEUlT_E1_NS1_11comp_targetILNS1_3genE10ELNS1_11target_archE1201ELNS1_3gpuE5ELNS1_3repE0EEENS1_30default_config_static_selectorELNS0_4arch9wavefront6targetE1EEEvS14_ ; -- Begin function _ZN7rocprim17ROCPRIM_400000_NS6detail17trampoline_kernelINS0_14default_configENS1_22reduce_config_selectorIN6thrust23THRUST_200600_302600_NS5tupleIblNS6_9null_typeES8_S8_S8_S8_S8_S8_S8_EEEEZNS1_11reduce_implILb1ES3_NS6_12zip_iteratorINS7_INS6_11hip_rocprim26transform_input_iterator_tIbNSD_35transform_pair_of_input_iterators_tIbNS6_6detail15normal_iteratorINS6_10device_ptrIKiEEEESL_NS6_8equal_toIiEEEENSG_9not_fun_tINSD_8identityEEEEENSD_19counting_iterator_tIlEES8_S8_S8_S8_S8_S8_S8_S8_EEEEPS9_S9_NSD_9__find_if7functorIS9_EEEE10hipError_tPvRmT1_T2_T3_mT4_P12ihipStream_tbEUlT_E1_NS1_11comp_targetILNS1_3genE10ELNS1_11target_archE1201ELNS1_3gpuE5ELNS1_3repE0EEENS1_30default_config_static_selectorELNS0_4arch9wavefront6targetE1EEEvS14_
	.globl	_ZN7rocprim17ROCPRIM_400000_NS6detail17trampoline_kernelINS0_14default_configENS1_22reduce_config_selectorIN6thrust23THRUST_200600_302600_NS5tupleIblNS6_9null_typeES8_S8_S8_S8_S8_S8_S8_EEEEZNS1_11reduce_implILb1ES3_NS6_12zip_iteratorINS7_INS6_11hip_rocprim26transform_input_iterator_tIbNSD_35transform_pair_of_input_iterators_tIbNS6_6detail15normal_iteratorINS6_10device_ptrIKiEEEESL_NS6_8equal_toIiEEEENSG_9not_fun_tINSD_8identityEEEEENSD_19counting_iterator_tIlEES8_S8_S8_S8_S8_S8_S8_S8_EEEEPS9_S9_NSD_9__find_if7functorIS9_EEEE10hipError_tPvRmT1_T2_T3_mT4_P12ihipStream_tbEUlT_E1_NS1_11comp_targetILNS1_3genE10ELNS1_11target_archE1201ELNS1_3gpuE5ELNS1_3repE0EEENS1_30default_config_static_selectorELNS0_4arch9wavefront6targetE1EEEvS14_
	.p2align	8
	.type	_ZN7rocprim17ROCPRIM_400000_NS6detail17trampoline_kernelINS0_14default_configENS1_22reduce_config_selectorIN6thrust23THRUST_200600_302600_NS5tupleIblNS6_9null_typeES8_S8_S8_S8_S8_S8_S8_EEEEZNS1_11reduce_implILb1ES3_NS6_12zip_iteratorINS7_INS6_11hip_rocprim26transform_input_iterator_tIbNSD_35transform_pair_of_input_iterators_tIbNS6_6detail15normal_iteratorINS6_10device_ptrIKiEEEESL_NS6_8equal_toIiEEEENSG_9not_fun_tINSD_8identityEEEEENSD_19counting_iterator_tIlEES8_S8_S8_S8_S8_S8_S8_S8_EEEEPS9_S9_NSD_9__find_if7functorIS9_EEEE10hipError_tPvRmT1_T2_T3_mT4_P12ihipStream_tbEUlT_E1_NS1_11comp_targetILNS1_3genE10ELNS1_11target_archE1201ELNS1_3gpuE5ELNS1_3repE0EEENS1_30default_config_static_selectorELNS0_4arch9wavefront6targetE1EEEvS14_,@function
_ZN7rocprim17ROCPRIM_400000_NS6detail17trampoline_kernelINS0_14default_configENS1_22reduce_config_selectorIN6thrust23THRUST_200600_302600_NS5tupleIblNS6_9null_typeES8_S8_S8_S8_S8_S8_S8_EEEEZNS1_11reduce_implILb1ES3_NS6_12zip_iteratorINS7_INS6_11hip_rocprim26transform_input_iterator_tIbNSD_35transform_pair_of_input_iterators_tIbNS6_6detail15normal_iteratorINS6_10device_ptrIKiEEEESL_NS6_8equal_toIiEEEENSG_9not_fun_tINSD_8identityEEEEENSD_19counting_iterator_tIlEES8_S8_S8_S8_S8_S8_S8_S8_EEEEPS9_S9_NSD_9__find_if7functorIS9_EEEE10hipError_tPvRmT1_T2_T3_mT4_P12ihipStream_tbEUlT_E1_NS1_11comp_targetILNS1_3genE10ELNS1_11target_archE1201ELNS1_3gpuE5ELNS1_3repE0EEENS1_30default_config_static_selectorELNS0_4arch9wavefront6targetE1EEEvS14_: ; @_ZN7rocprim17ROCPRIM_400000_NS6detail17trampoline_kernelINS0_14default_configENS1_22reduce_config_selectorIN6thrust23THRUST_200600_302600_NS5tupleIblNS6_9null_typeES8_S8_S8_S8_S8_S8_S8_EEEEZNS1_11reduce_implILb1ES3_NS6_12zip_iteratorINS7_INS6_11hip_rocprim26transform_input_iterator_tIbNSD_35transform_pair_of_input_iterators_tIbNS6_6detail15normal_iteratorINS6_10device_ptrIKiEEEESL_NS6_8equal_toIiEEEENSG_9not_fun_tINSD_8identityEEEEENSD_19counting_iterator_tIlEES8_S8_S8_S8_S8_S8_S8_S8_EEEEPS9_S9_NSD_9__find_if7functorIS9_EEEE10hipError_tPvRmT1_T2_T3_mT4_P12ihipStream_tbEUlT_E1_NS1_11comp_targetILNS1_3genE10ELNS1_11target_archE1201ELNS1_3gpuE5ELNS1_3repE0EEENS1_30default_config_static_selectorELNS0_4arch9wavefront6targetE1EEEvS14_
; %bb.0:
	.section	.rodata,"a",@progbits
	.p2align	6, 0x0
	.amdhsa_kernel _ZN7rocprim17ROCPRIM_400000_NS6detail17trampoline_kernelINS0_14default_configENS1_22reduce_config_selectorIN6thrust23THRUST_200600_302600_NS5tupleIblNS6_9null_typeES8_S8_S8_S8_S8_S8_S8_EEEEZNS1_11reduce_implILb1ES3_NS6_12zip_iteratorINS7_INS6_11hip_rocprim26transform_input_iterator_tIbNSD_35transform_pair_of_input_iterators_tIbNS6_6detail15normal_iteratorINS6_10device_ptrIKiEEEESL_NS6_8equal_toIiEEEENSG_9not_fun_tINSD_8identityEEEEENSD_19counting_iterator_tIlEES8_S8_S8_S8_S8_S8_S8_S8_EEEEPS9_S9_NSD_9__find_if7functorIS9_EEEE10hipError_tPvRmT1_T2_T3_mT4_P12ihipStream_tbEUlT_E1_NS1_11comp_targetILNS1_3genE10ELNS1_11target_archE1201ELNS1_3gpuE5ELNS1_3repE0EEENS1_30default_config_static_selectorELNS0_4arch9wavefront6targetE1EEEvS14_
		.amdhsa_group_segment_fixed_size 0
		.amdhsa_private_segment_fixed_size 0
		.amdhsa_kernarg_size 88
		.amdhsa_user_sgpr_count 2
		.amdhsa_user_sgpr_dispatch_ptr 0
		.amdhsa_user_sgpr_queue_ptr 0
		.amdhsa_user_sgpr_kernarg_segment_ptr 1
		.amdhsa_user_sgpr_dispatch_id 0
		.amdhsa_user_sgpr_kernarg_preload_length 0
		.amdhsa_user_sgpr_kernarg_preload_offset 0
		.amdhsa_user_sgpr_private_segment_size 0
		.amdhsa_uses_dynamic_stack 0
		.amdhsa_enable_private_segment 0
		.amdhsa_system_sgpr_workgroup_id_x 1
		.amdhsa_system_sgpr_workgroup_id_y 0
		.amdhsa_system_sgpr_workgroup_id_z 0
		.amdhsa_system_sgpr_workgroup_info 0
		.amdhsa_system_vgpr_workitem_id 0
		.amdhsa_next_free_vgpr 1
		.amdhsa_next_free_sgpr 0
		.amdhsa_accum_offset 4
		.amdhsa_reserve_vcc 0
		.amdhsa_float_round_mode_32 0
		.amdhsa_float_round_mode_16_64 0
		.amdhsa_float_denorm_mode_32 3
		.amdhsa_float_denorm_mode_16_64 3
		.amdhsa_dx10_clamp 1
		.amdhsa_ieee_mode 1
		.amdhsa_fp16_overflow 0
		.amdhsa_tg_split 0
		.amdhsa_exception_fp_ieee_invalid_op 0
		.amdhsa_exception_fp_denorm_src 0
		.amdhsa_exception_fp_ieee_div_zero 0
		.amdhsa_exception_fp_ieee_overflow 0
		.amdhsa_exception_fp_ieee_underflow 0
		.amdhsa_exception_fp_ieee_inexact 0
		.amdhsa_exception_int_div_zero 0
	.end_amdhsa_kernel
	.section	.text._ZN7rocprim17ROCPRIM_400000_NS6detail17trampoline_kernelINS0_14default_configENS1_22reduce_config_selectorIN6thrust23THRUST_200600_302600_NS5tupleIblNS6_9null_typeES8_S8_S8_S8_S8_S8_S8_EEEEZNS1_11reduce_implILb1ES3_NS6_12zip_iteratorINS7_INS6_11hip_rocprim26transform_input_iterator_tIbNSD_35transform_pair_of_input_iterators_tIbNS6_6detail15normal_iteratorINS6_10device_ptrIKiEEEESL_NS6_8equal_toIiEEEENSG_9not_fun_tINSD_8identityEEEEENSD_19counting_iterator_tIlEES8_S8_S8_S8_S8_S8_S8_S8_EEEEPS9_S9_NSD_9__find_if7functorIS9_EEEE10hipError_tPvRmT1_T2_T3_mT4_P12ihipStream_tbEUlT_E1_NS1_11comp_targetILNS1_3genE10ELNS1_11target_archE1201ELNS1_3gpuE5ELNS1_3repE0EEENS1_30default_config_static_selectorELNS0_4arch9wavefront6targetE1EEEvS14_,"axG",@progbits,_ZN7rocprim17ROCPRIM_400000_NS6detail17trampoline_kernelINS0_14default_configENS1_22reduce_config_selectorIN6thrust23THRUST_200600_302600_NS5tupleIblNS6_9null_typeES8_S8_S8_S8_S8_S8_S8_EEEEZNS1_11reduce_implILb1ES3_NS6_12zip_iteratorINS7_INS6_11hip_rocprim26transform_input_iterator_tIbNSD_35transform_pair_of_input_iterators_tIbNS6_6detail15normal_iteratorINS6_10device_ptrIKiEEEESL_NS6_8equal_toIiEEEENSG_9not_fun_tINSD_8identityEEEEENSD_19counting_iterator_tIlEES8_S8_S8_S8_S8_S8_S8_S8_EEEEPS9_S9_NSD_9__find_if7functorIS9_EEEE10hipError_tPvRmT1_T2_T3_mT4_P12ihipStream_tbEUlT_E1_NS1_11comp_targetILNS1_3genE10ELNS1_11target_archE1201ELNS1_3gpuE5ELNS1_3repE0EEENS1_30default_config_static_selectorELNS0_4arch9wavefront6targetE1EEEvS14_,comdat
.Lfunc_end134:
	.size	_ZN7rocprim17ROCPRIM_400000_NS6detail17trampoline_kernelINS0_14default_configENS1_22reduce_config_selectorIN6thrust23THRUST_200600_302600_NS5tupleIblNS6_9null_typeES8_S8_S8_S8_S8_S8_S8_EEEEZNS1_11reduce_implILb1ES3_NS6_12zip_iteratorINS7_INS6_11hip_rocprim26transform_input_iterator_tIbNSD_35transform_pair_of_input_iterators_tIbNS6_6detail15normal_iteratorINS6_10device_ptrIKiEEEESL_NS6_8equal_toIiEEEENSG_9not_fun_tINSD_8identityEEEEENSD_19counting_iterator_tIlEES8_S8_S8_S8_S8_S8_S8_S8_EEEEPS9_S9_NSD_9__find_if7functorIS9_EEEE10hipError_tPvRmT1_T2_T3_mT4_P12ihipStream_tbEUlT_E1_NS1_11comp_targetILNS1_3genE10ELNS1_11target_archE1201ELNS1_3gpuE5ELNS1_3repE0EEENS1_30default_config_static_selectorELNS0_4arch9wavefront6targetE1EEEvS14_, .Lfunc_end134-_ZN7rocprim17ROCPRIM_400000_NS6detail17trampoline_kernelINS0_14default_configENS1_22reduce_config_selectorIN6thrust23THRUST_200600_302600_NS5tupleIblNS6_9null_typeES8_S8_S8_S8_S8_S8_S8_EEEEZNS1_11reduce_implILb1ES3_NS6_12zip_iteratorINS7_INS6_11hip_rocprim26transform_input_iterator_tIbNSD_35transform_pair_of_input_iterators_tIbNS6_6detail15normal_iteratorINS6_10device_ptrIKiEEEESL_NS6_8equal_toIiEEEENSG_9not_fun_tINSD_8identityEEEEENSD_19counting_iterator_tIlEES8_S8_S8_S8_S8_S8_S8_S8_EEEEPS9_S9_NSD_9__find_if7functorIS9_EEEE10hipError_tPvRmT1_T2_T3_mT4_P12ihipStream_tbEUlT_E1_NS1_11comp_targetILNS1_3genE10ELNS1_11target_archE1201ELNS1_3gpuE5ELNS1_3repE0EEENS1_30default_config_static_selectorELNS0_4arch9wavefront6targetE1EEEvS14_
                                        ; -- End function
	.section	.AMDGPU.csdata,"",@progbits
; Kernel info:
; codeLenInByte = 0
; NumSgprs: 6
; NumVgprs: 0
; NumAgprs: 0
; TotalNumVgprs: 0
; ScratchSize: 0
; MemoryBound: 0
; FloatMode: 240
; IeeeMode: 1
; LDSByteSize: 0 bytes/workgroup (compile time only)
; SGPRBlocks: 0
; VGPRBlocks: 0
; NumSGPRsForWavesPerEU: 6
; NumVGPRsForWavesPerEU: 1
; AccumOffset: 4
; Occupancy: 8
; WaveLimiterHint : 0
; COMPUTE_PGM_RSRC2:SCRATCH_EN: 0
; COMPUTE_PGM_RSRC2:USER_SGPR: 2
; COMPUTE_PGM_RSRC2:TRAP_HANDLER: 0
; COMPUTE_PGM_RSRC2:TGID_X_EN: 1
; COMPUTE_PGM_RSRC2:TGID_Y_EN: 0
; COMPUTE_PGM_RSRC2:TGID_Z_EN: 0
; COMPUTE_PGM_RSRC2:TIDIG_COMP_CNT: 0
; COMPUTE_PGM_RSRC3_GFX90A:ACCUM_OFFSET: 0
; COMPUTE_PGM_RSRC3_GFX90A:TG_SPLIT: 0
	.section	.text._ZN7rocprim17ROCPRIM_400000_NS6detail17trampoline_kernelINS0_14default_configENS1_22reduce_config_selectorIN6thrust23THRUST_200600_302600_NS5tupleIblNS6_9null_typeES8_S8_S8_S8_S8_S8_S8_EEEEZNS1_11reduce_implILb1ES3_NS6_12zip_iteratorINS7_INS6_11hip_rocprim26transform_input_iterator_tIbNSD_35transform_pair_of_input_iterators_tIbNS6_6detail15normal_iteratorINS6_10device_ptrIKiEEEESL_NS6_8equal_toIiEEEENSG_9not_fun_tINSD_8identityEEEEENSD_19counting_iterator_tIlEES8_S8_S8_S8_S8_S8_S8_S8_EEEEPS9_S9_NSD_9__find_if7functorIS9_EEEE10hipError_tPvRmT1_T2_T3_mT4_P12ihipStream_tbEUlT_E1_NS1_11comp_targetILNS1_3genE10ELNS1_11target_archE1200ELNS1_3gpuE4ELNS1_3repE0EEENS1_30default_config_static_selectorELNS0_4arch9wavefront6targetE1EEEvS14_,"axG",@progbits,_ZN7rocprim17ROCPRIM_400000_NS6detail17trampoline_kernelINS0_14default_configENS1_22reduce_config_selectorIN6thrust23THRUST_200600_302600_NS5tupleIblNS6_9null_typeES8_S8_S8_S8_S8_S8_S8_EEEEZNS1_11reduce_implILb1ES3_NS6_12zip_iteratorINS7_INS6_11hip_rocprim26transform_input_iterator_tIbNSD_35transform_pair_of_input_iterators_tIbNS6_6detail15normal_iteratorINS6_10device_ptrIKiEEEESL_NS6_8equal_toIiEEEENSG_9not_fun_tINSD_8identityEEEEENSD_19counting_iterator_tIlEES8_S8_S8_S8_S8_S8_S8_S8_EEEEPS9_S9_NSD_9__find_if7functorIS9_EEEE10hipError_tPvRmT1_T2_T3_mT4_P12ihipStream_tbEUlT_E1_NS1_11comp_targetILNS1_3genE10ELNS1_11target_archE1200ELNS1_3gpuE4ELNS1_3repE0EEENS1_30default_config_static_selectorELNS0_4arch9wavefront6targetE1EEEvS14_,comdat
	.protected	_ZN7rocprim17ROCPRIM_400000_NS6detail17trampoline_kernelINS0_14default_configENS1_22reduce_config_selectorIN6thrust23THRUST_200600_302600_NS5tupleIblNS6_9null_typeES8_S8_S8_S8_S8_S8_S8_EEEEZNS1_11reduce_implILb1ES3_NS6_12zip_iteratorINS7_INS6_11hip_rocprim26transform_input_iterator_tIbNSD_35transform_pair_of_input_iterators_tIbNS6_6detail15normal_iteratorINS6_10device_ptrIKiEEEESL_NS6_8equal_toIiEEEENSG_9not_fun_tINSD_8identityEEEEENSD_19counting_iterator_tIlEES8_S8_S8_S8_S8_S8_S8_S8_EEEEPS9_S9_NSD_9__find_if7functorIS9_EEEE10hipError_tPvRmT1_T2_T3_mT4_P12ihipStream_tbEUlT_E1_NS1_11comp_targetILNS1_3genE10ELNS1_11target_archE1200ELNS1_3gpuE4ELNS1_3repE0EEENS1_30default_config_static_selectorELNS0_4arch9wavefront6targetE1EEEvS14_ ; -- Begin function _ZN7rocprim17ROCPRIM_400000_NS6detail17trampoline_kernelINS0_14default_configENS1_22reduce_config_selectorIN6thrust23THRUST_200600_302600_NS5tupleIblNS6_9null_typeES8_S8_S8_S8_S8_S8_S8_EEEEZNS1_11reduce_implILb1ES3_NS6_12zip_iteratorINS7_INS6_11hip_rocprim26transform_input_iterator_tIbNSD_35transform_pair_of_input_iterators_tIbNS6_6detail15normal_iteratorINS6_10device_ptrIKiEEEESL_NS6_8equal_toIiEEEENSG_9not_fun_tINSD_8identityEEEEENSD_19counting_iterator_tIlEES8_S8_S8_S8_S8_S8_S8_S8_EEEEPS9_S9_NSD_9__find_if7functorIS9_EEEE10hipError_tPvRmT1_T2_T3_mT4_P12ihipStream_tbEUlT_E1_NS1_11comp_targetILNS1_3genE10ELNS1_11target_archE1200ELNS1_3gpuE4ELNS1_3repE0EEENS1_30default_config_static_selectorELNS0_4arch9wavefront6targetE1EEEvS14_
	.globl	_ZN7rocprim17ROCPRIM_400000_NS6detail17trampoline_kernelINS0_14default_configENS1_22reduce_config_selectorIN6thrust23THRUST_200600_302600_NS5tupleIblNS6_9null_typeES8_S8_S8_S8_S8_S8_S8_EEEEZNS1_11reduce_implILb1ES3_NS6_12zip_iteratorINS7_INS6_11hip_rocprim26transform_input_iterator_tIbNSD_35transform_pair_of_input_iterators_tIbNS6_6detail15normal_iteratorINS6_10device_ptrIKiEEEESL_NS6_8equal_toIiEEEENSG_9not_fun_tINSD_8identityEEEEENSD_19counting_iterator_tIlEES8_S8_S8_S8_S8_S8_S8_S8_EEEEPS9_S9_NSD_9__find_if7functorIS9_EEEE10hipError_tPvRmT1_T2_T3_mT4_P12ihipStream_tbEUlT_E1_NS1_11comp_targetILNS1_3genE10ELNS1_11target_archE1200ELNS1_3gpuE4ELNS1_3repE0EEENS1_30default_config_static_selectorELNS0_4arch9wavefront6targetE1EEEvS14_
	.p2align	8
	.type	_ZN7rocprim17ROCPRIM_400000_NS6detail17trampoline_kernelINS0_14default_configENS1_22reduce_config_selectorIN6thrust23THRUST_200600_302600_NS5tupleIblNS6_9null_typeES8_S8_S8_S8_S8_S8_S8_EEEEZNS1_11reduce_implILb1ES3_NS6_12zip_iteratorINS7_INS6_11hip_rocprim26transform_input_iterator_tIbNSD_35transform_pair_of_input_iterators_tIbNS6_6detail15normal_iteratorINS6_10device_ptrIKiEEEESL_NS6_8equal_toIiEEEENSG_9not_fun_tINSD_8identityEEEEENSD_19counting_iterator_tIlEES8_S8_S8_S8_S8_S8_S8_S8_EEEEPS9_S9_NSD_9__find_if7functorIS9_EEEE10hipError_tPvRmT1_T2_T3_mT4_P12ihipStream_tbEUlT_E1_NS1_11comp_targetILNS1_3genE10ELNS1_11target_archE1200ELNS1_3gpuE4ELNS1_3repE0EEENS1_30default_config_static_selectorELNS0_4arch9wavefront6targetE1EEEvS14_,@function
_ZN7rocprim17ROCPRIM_400000_NS6detail17trampoline_kernelINS0_14default_configENS1_22reduce_config_selectorIN6thrust23THRUST_200600_302600_NS5tupleIblNS6_9null_typeES8_S8_S8_S8_S8_S8_S8_EEEEZNS1_11reduce_implILb1ES3_NS6_12zip_iteratorINS7_INS6_11hip_rocprim26transform_input_iterator_tIbNSD_35transform_pair_of_input_iterators_tIbNS6_6detail15normal_iteratorINS6_10device_ptrIKiEEEESL_NS6_8equal_toIiEEEENSG_9not_fun_tINSD_8identityEEEEENSD_19counting_iterator_tIlEES8_S8_S8_S8_S8_S8_S8_S8_EEEEPS9_S9_NSD_9__find_if7functorIS9_EEEE10hipError_tPvRmT1_T2_T3_mT4_P12ihipStream_tbEUlT_E1_NS1_11comp_targetILNS1_3genE10ELNS1_11target_archE1200ELNS1_3gpuE4ELNS1_3repE0EEENS1_30default_config_static_selectorELNS0_4arch9wavefront6targetE1EEEvS14_: ; @_ZN7rocprim17ROCPRIM_400000_NS6detail17trampoline_kernelINS0_14default_configENS1_22reduce_config_selectorIN6thrust23THRUST_200600_302600_NS5tupleIblNS6_9null_typeES8_S8_S8_S8_S8_S8_S8_EEEEZNS1_11reduce_implILb1ES3_NS6_12zip_iteratorINS7_INS6_11hip_rocprim26transform_input_iterator_tIbNSD_35transform_pair_of_input_iterators_tIbNS6_6detail15normal_iteratorINS6_10device_ptrIKiEEEESL_NS6_8equal_toIiEEEENSG_9not_fun_tINSD_8identityEEEEENSD_19counting_iterator_tIlEES8_S8_S8_S8_S8_S8_S8_S8_EEEEPS9_S9_NSD_9__find_if7functorIS9_EEEE10hipError_tPvRmT1_T2_T3_mT4_P12ihipStream_tbEUlT_E1_NS1_11comp_targetILNS1_3genE10ELNS1_11target_archE1200ELNS1_3gpuE4ELNS1_3repE0EEENS1_30default_config_static_selectorELNS0_4arch9wavefront6targetE1EEEvS14_
; %bb.0:
	.section	.rodata,"a",@progbits
	.p2align	6, 0x0
	.amdhsa_kernel _ZN7rocprim17ROCPRIM_400000_NS6detail17trampoline_kernelINS0_14default_configENS1_22reduce_config_selectorIN6thrust23THRUST_200600_302600_NS5tupleIblNS6_9null_typeES8_S8_S8_S8_S8_S8_S8_EEEEZNS1_11reduce_implILb1ES3_NS6_12zip_iteratorINS7_INS6_11hip_rocprim26transform_input_iterator_tIbNSD_35transform_pair_of_input_iterators_tIbNS6_6detail15normal_iteratorINS6_10device_ptrIKiEEEESL_NS6_8equal_toIiEEEENSG_9not_fun_tINSD_8identityEEEEENSD_19counting_iterator_tIlEES8_S8_S8_S8_S8_S8_S8_S8_EEEEPS9_S9_NSD_9__find_if7functorIS9_EEEE10hipError_tPvRmT1_T2_T3_mT4_P12ihipStream_tbEUlT_E1_NS1_11comp_targetILNS1_3genE10ELNS1_11target_archE1200ELNS1_3gpuE4ELNS1_3repE0EEENS1_30default_config_static_selectorELNS0_4arch9wavefront6targetE1EEEvS14_
		.amdhsa_group_segment_fixed_size 0
		.amdhsa_private_segment_fixed_size 0
		.amdhsa_kernarg_size 88
		.amdhsa_user_sgpr_count 2
		.amdhsa_user_sgpr_dispatch_ptr 0
		.amdhsa_user_sgpr_queue_ptr 0
		.amdhsa_user_sgpr_kernarg_segment_ptr 1
		.amdhsa_user_sgpr_dispatch_id 0
		.amdhsa_user_sgpr_kernarg_preload_length 0
		.amdhsa_user_sgpr_kernarg_preload_offset 0
		.amdhsa_user_sgpr_private_segment_size 0
		.amdhsa_uses_dynamic_stack 0
		.amdhsa_enable_private_segment 0
		.amdhsa_system_sgpr_workgroup_id_x 1
		.amdhsa_system_sgpr_workgroup_id_y 0
		.amdhsa_system_sgpr_workgroup_id_z 0
		.amdhsa_system_sgpr_workgroup_info 0
		.amdhsa_system_vgpr_workitem_id 0
		.amdhsa_next_free_vgpr 1
		.amdhsa_next_free_sgpr 0
		.amdhsa_accum_offset 4
		.amdhsa_reserve_vcc 0
		.amdhsa_float_round_mode_32 0
		.amdhsa_float_round_mode_16_64 0
		.amdhsa_float_denorm_mode_32 3
		.amdhsa_float_denorm_mode_16_64 3
		.amdhsa_dx10_clamp 1
		.amdhsa_ieee_mode 1
		.amdhsa_fp16_overflow 0
		.amdhsa_tg_split 0
		.amdhsa_exception_fp_ieee_invalid_op 0
		.amdhsa_exception_fp_denorm_src 0
		.amdhsa_exception_fp_ieee_div_zero 0
		.amdhsa_exception_fp_ieee_overflow 0
		.amdhsa_exception_fp_ieee_underflow 0
		.amdhsa_exception_fp_ieee_inexact 0
		.amdhsa_exception_int_div_zero 0
	.end_amdhsa_kernel
	.section	.text._ZN7rocprim17ROCPRIM_400000_NS6detail17trampoline_kernelINS0_14default_configENS1_22reduce_config_selectorIN6thrust23THRUST_200600_302600_NS5tupleIblNS6_9null_typeES8_S8_S8_S8_S8_S8_S8_EEEEZNS1_11reduce_implILb1ES3_NS6_12zip_iteratorINS7_INS6_11hip_rocprim26transform_input_iterator_tIbNSD_35transform_pair_of_input_iterators_tIbNS6_6detail15normal_iteratorINS6_10device_ptrIKiEEEESL_NS6_8equal_toIiEEEENSG_9not_fun_tINSD_8identityEEEEENSD_19counting_iterator_tIlEES8_S8_S8_S8_S8_S8_S8_S8_EEEEPS9_S9_NSD_9__find_if7functorIS9_EEEE10hipError_tPvRmT1_T2_T3_mT4_P12ihipStream_tbEUlT_E1_NS1_11comp_targetILNS1_3genE10ELNS1_11target_archE1200ELNS1_3gpuE4ELNS1_3repE0EEENS1_30default_config_static_selectorELNS0_4arch9wavefront6targetE1EEEvS14_,"axG",@progbits,_ZN7rocprim17ROCPRIM_400000_NS6detail17trampoline_kernelINS0_14default_configENS1_22reduce_config_selectorIN6thrust23THRUST_200600_302600_NS5tupleIblNS6_9null_typeES8_S8_S8_S8_S8_S8_S8_EEEEZNS1_11reduce_implILb1ES3_NS6_12zip_iteratorINS7_INS6_11hip_rocprim26transform_input_iterator_tIbNSD_35transform_pair_of_input_iterators_tIbNS6_6detail15normal_iteratorINS6_10device_ptrIKiEEEESL_NS6_8equal_toIiEEEENSG_9not_fun_tINSD_8identityEEEEENSD_19counting_iterator_tIlEES8_S8_S8_S8_S8_S8_S8_S8_EEEEPS9_S9_NSD_9__find_if7functorIS9_EEEE10hipError_tPvRmT1_T2_T3_mT4_P12ihipStream_tbEUlT_E1_NS1_11comp_targetILNS1_3genE10ELNS1_11target_archE1200ELNS1_3gpuE4ELNS1_3repE0EEENS1_30default_config_static_selectorELNS0_4arch9wavefront6targetE1EEEvS14_,comdat
.Lfunc_end135:
	.size	_ZN7rocprim17ROCPRIM_400000_NS6detail17trampoline_kernelINS0_14default_configENS1_22reduce_config_selectorIN6thrust23THRUST_200600_302600_NS5tupleIblNS6_9null_typeES8_S8_S8_S8_S8_S8_S8_EEEEZNS1_11reduce_implILb1ES3_NS6_12zip_iteratorINS7_INS6_11hip_rocprim26transform_input_iterator_tIbNSD_35transform_pair_of_input_iterators_tIbNS6_6detail15normal_iteratorINS6_10device_ptrIKiEEEESL_NS6_8equal_toIiEEEENSG_9not_fun_tINSD_8identityEEEEENSD_19counting_iterator_tIlEES8_S8_S8_S8_S8_S8_S8_S8_EEEEPS9_S9_NSD_9__find_if7functorIS9_EEEE10hipError_tPvRmT1_T2_T3_mT4_P12ihipStream_tbEUlT_E1_NS1_11comp_targetILNS1_3genE10ELNS1_11target_archE1200ELNS1_3gpuE4ELNS1_3repE0EEENS1_30default_config_static_selectorELNS0_4arch9wavefront6targetE1EEEvS14_, .Lfunc_end135-_ZN7rocprim17ROCPRIM_400000_NS6detail17trampoline_kernelINS0_14default_configENS1_22reduce_config_selectorIN6thrust23THRUST_200600_302600_NS5tupleIblNS6_9null_typeES8_S8_S8_S8_S8_S8_S8_EEEEZNS1_11reduce_implILb1ES3_NS6_12zip_iteratorINS7_INS6_11hip_rocprim26transform_input_iterator_tIbNSD_35transform_pair_of_input_iterators_tIbNS6_6detail15normal_iteratorINS6_10device_ptrIKiEEEESL_NS6_8equal_toIiEEEENSG_9not_fun_tINSD_8identityEEEEENSD_19counting_iterator_tIlEES8_S8_S8_S8_S8_S8_S8_S8_EEEEPS9_S9_NSD_9__find_if7functorIS9_EEEE10hipError_tPvRmT1_T2_T3_mT4_P12ihipStream_tbEUlT_E1_NS1_11comp_targetILNS1_3genE10ELNS1_11target_archE1200ELNS1_3gpuE4ELNS1_3repE0EEENS1_30default_config_static_selectorELNS0_4arch9wavefront6targetE1EEEvS14_
                                        ; -- End function
	.section	.AMDGPU.csdata,"",@progbits
; Kernel info:
; codeLenInByte = 0
; NumSgprs: 6
; NumVgprs: 0
; NumAgprs: 0
; TotalNumVgprs: 0
; ScratchSize: 0
; MemoryBound: 0
; FloatMode: 240
; IeeeMode: 1
; LDSByteSize: 0 bytes/workgroup (compile time only)
; SGPRBlocks: 0
; VGPRBlocks: 0
; NumSGPRsForWavesPerEU: 6
; NumVGPRsForWavesPerEU: 1
; AccumOffset: 4
; Occupancy: 8
; WaveLimiterHint : 0
; COMPUTE_PGM_RSRC2:SCRATCH_EN: 0
; COMPUTE_PGM_RSRC2:USER_SGPR: 2
; COMPUTE_PGM_RSRC2:TRAP_HANDLER: 0
; COMPUTE_PGM_RSRC2:TGID_X_EN: 1
; COMPUTE_PGM_RSRC2:TGID_Y_EN: 0
; COMPUTE_PGM_RSRC2:TGID_Z_EN: 0
; COMPUTE_PGM_RSRC2:TIDIG_COMP_CNT: 0
; COMPUTE_PGM_RSRC3_GFX90A:ACCUM_OFFSET: 0
; COMPUTE_PGM_RSRC3_GFX90A:TG_SPLIT: 0
	.section	.text._ZN7rocprim17ROCPRIM_400000_NS6detail17trampoline_kernelINS0_14default_configENS1_22reduce_config_selectorIN6thrust23THRUST_200600_302600_NS5tupleIblNS6_9null_typeES8_S8_S8_S8_S8_S8_S8_EEEEZNS1_11reduce_implILb1ES3_NS6_12zip_iteratorINS7_INS6_11hip_rocprim26transform_input_iterator_tIbNSD_35transform_pair_of_input_iterators_tIbNS6_6detail15normal_iteratorINS6_10device_ptrIKiEEEESL_NS6_8equal_toIiEEEENSG_9not_fun_tINSD_8identityEEEEENSD_19counting_iterator_tIlEES8_S8_S8_S8_S8_S8_S8_S8_EEEEPS9_S9_NSD_9__find_if7functorIS9_EEEE10hipError_tPvRmT1_T2_T3_mT4_P12ihipStream_tbEUlT_E1_NS1_11comp_targetILNS1_3genE9ELNS1_11target_archE1100ELNS1_3gpuE3ELNS1_3repE0EEENS1_30default_config_static_selectorELNS0_4arch9wavefront6targetE1EEEvS14_,"axG",@progbits,_ZN7rocprim17ROCPRIM_400000_NS6detail17trampoline_kernelINS0_14default_configENS1_22reduce_config_selectorIN6thrust23THRUST_200600_302600_NS5tupleIblNS6_9null_typeES8_S8_S8_S8_S8_S8_S8_EEEEZNS1_11reduce_implILb1ES3_NS6_12zip_iteratorINS7_INS6_11hip_rocprim26transform_input_iterator_tIbNSD_35transform_pair_of_input_iterators_tIbNS6_6detail15normal_iteratorINS6_10device_ptrIKiEEEESL_NS6_8equal_toIiEEEENSG_9not_fun_tINSD_8identityEEEEENSD_19counting_iterator_tIlEES8_S8_S8_S8_S8_S8_S8_S8_EEEEPS9_S9_NSD_9__find_if7functorIS9_EEEE10hipError_tPvRmT1_T2_T3_mT4_P12ihipStream_tbEUlT_E1_NS1_11comp_targetILNS1_3genE9ELNS1_11target_archE1100ELNS1_3gpuE3ELNS1_3repE0EEENS1_30default_config_static_selectorELNS0_4arch9wavefront6targetE1EEEvS14_,comdat
	.protected	_ZN7rocprim17ROCPRIM_400000_NS6detail17trampoline_kernelINS0_14default_configENS1_22reduce_config_selectorIN6thrust23THRUST_200600_302600_NS5tupleIblNS6_9null_typeES8_S8_S8_S8_S8_S8_S8_EEEEZNS1_11reduce_implILb1ES3_NS6_12zip_iteratorINS7_INS6_11hip_rocprim26transform_input_iterator_tIbNSD_35transform_pair_of_input_iterators_tIbNS6_6detail15normal_iteratorINS6_10device_ptrIKiEEEESL_NS6_8equal_toIiEEEENSG_9not_fun_tINSD_8identityEEEEENSD_19counting_iterator_tIlEES8_S8_S8_S8_S8_S8_S8_S8_EEEEPS9_S9_NSD_9__find_if7functorIS9_EEEE10hipError_tPvRmT1_T2_T3_mT4_P12ihipStream_tbEUlT_E1_NS1_11comp_targetILNS1_3genE9ELNS1_11target_archE1100ELNS1_3gpuE3ELNS1_3repE0EEENS1_30default_config_static_selectorELNS0_4arch9wavefront6targetE1EEEvS14_ ; -- Begin function _ZN7rocprim17ROCPRIM_400000_NS6detail17trampoline_kernelINS0_14default_configENS1_22reduce_config_selectorIN6thrust23THRUST_200600_302600_NS5tupleIblNS6_9null_typeES8_S8_S8_S8_S8_S8_S8_EEEEZNS1_11reduce_implILb1ES3_NS6_12zip_iteratorINS7_INS6_11hip_rocprim26transform_input_iterator_tIbNSD_35transform_pair_of_input_iterators_tIbNS6_6detail15normal_iteratorINS6_10device_ptrIKiEEEESL_NS6_8equal_toIiEEEENSG_9not_fun_tINSD_8identityEEEEENSD_19counting_iterator_tIlEES8_S8_S8_S8_S8_S8_S8_S8_EEEEPS9_S9_NSD_9__find_if7functorIS9_EEEE10hipError_tPvRmT1_T2_T3_mT4_P12ihipStream_tbEUlT_E1_NS1_11comp_targetILNS1_3genE9ELNS1_11target_archE1100ELNS1_3gpuE3ELNS1_3repE0EEENS1_30default_config_static_selectorELNS0_4arch9wavefront6targetE1EEEvS14_
	.globl	_ZN7rocprim17ROCPRIM_400000_NS6detail17trampoline_kernelINS0_14default_configENS1_22reduce_config_selectorIN6thrust23THRUST_200600_302600_NS5tupleIblNS6_9null_typeES8_S8_S8_S8_S8_S8_S8_EEEEZNS1_11reduce_implILb1ES3_NS6_12zip_iteratorINS7_INS6_11hip_rocprim26transform_input_iterator_tIbNSD_35transform_pair_of_input_iterators_tIbNS6_6detail15normal_iteratorINS6_10device_ptrIKiEEEESL_NS6_8equal_toIiEEEENSG_9not_fun_tINSD_8identityEEEEENSD_19counting_iterator_tIlEES8_S8_S8_S8_S8_S8_S8_S8_EEEEPS9_S9_NSD_9__find_if7functorIS9_EEEE10hipError_tPvRmT1_T2_T3_mT4_P12ihipStream_tbEUlT_E1_NS1_11comp_targetILNS1_3genE9ELNS1_11target_archE1100ELNS1_3gpuE3ELNS1_3repE0EEENS1_30default_config_static_selectorELNS0_4arch9wavefront6targetE1EEEvS14_
	.p2align	8
	.type	_ZN7rocprim17ROCPRIM_400000_NS6detail17trampoline_kernelINS0_14default_configENS1_22reduce_config_selectorIN6thrust23THRUST_200600_302600_NS5tupleIblNS6_9null_typeES8_S8_S8_S8_S8_S8_S8_EEEEZNS1_11reduce_implILb1ES3_NS6_12zip_iteratorINS7_INS6_11hip_rocprim26transform_input_iterator_tIbNSD_35transform_pair_of_input_iterators_tIbNS6_6detail15normal_iteratorINS6_10device_ptrIKiEEEESL_NS6_8equal_toIiEEEENSG_9not_fun_tINSD_8identityEEEEENSD_19counting_iterator_tIlEES8_S8_S8_S8_S8_S8_S8_S8_EEEEPS9_S9_NSD_9__find_if7functorIS9_EEEE10hipError_tPvRmT1_T2_T3_mT4_P12ihipStream_tbEUlT_E1_NS1_11comp_targetILNS1_3genE9ELNS1_11target_archE1100ELNS1_3gpuE3ELNS1_3repE0EEENS1_30default_config_static_selectorELNS0_4arch9wavefront6targetE1EEEvS14_,@function
_ZN7rocprim17ROCPRIM_400000_NS6detail17trampoline_kernelINS0_14default_configENS1_22reduce_config_selectorIN6thrust23THRUST_200600_302600_NS5tupleIblNS6_9null_typeES8_S8_S8_S8_S8_S8_S8_EEEEZNS1_11reduce_implILb1ES3_NS6_12zip_iteratorINS7_INS6_11hip_rocprim26transform_input_iterator_tIbNSD_35transform_pair_of_input_iterators_tIbNS6_6detail15normal_iteratorINS6_10device_ptrIKiEEEESL_NS6_8equal_toIiEEEENSG_9not_fun_tINSD_8identityEEEEENSD_19counting_iterator_tIlEES8_S8_S8_S8_S8_S8_S8_S8_EEEEPS9_S9_NSD_9__find_if7functorIS9_EEEE10hipError_tPvRmT1_T2_T3_mT4_P12ihipStream_tbEUlT_E1_NS1_11comp_targetILNS1_3genE9ELNS1_11target_archE1100ELNS1_3gpuE3ELNS1_3repE0EEENS1_30default_config_static_selectorELNS0_4arch9wavefront6targetE1EEEvS14_: ; @_ZN7rocprim17ROCPRIM_400000_NS6detail17trampoline_kernelINS0_14default_configENS1_22reduce_config_selectorIN6thrust23THRUST_200600_302600_NS5tupleIblNS6_9null_typeES8_S8_S8_S8_S8_S8_S8_EEEEZNS1_11reduce_implILb1ES3_NS6_12zip_iteratorINS7_INS6_11hip_rocprim26transform_input_iterator_tIbNSD_35transform_pair_of_input_iterators_tIbNS6_6detail15normal_iteratorINS6_10device_ptrIKiEEEESL_NS6_8equal_toIiEEEENSG_9not_fun_tINSD_8identityEEEEENSD_19counting_iterator_tIlEES8_S8_S8_S8_S8_S8_S8_S8_EEEEPS9_S9_NSD_9__find_if7functorIS9_EEEE10hipError_tPvRmT1_T2_T3_mT4_P12ihipStream_tbEUlT_E1_NS1_11comp_targetILNS1_3genE9ELNS1_11target_archE1100ELNS1_3gpuE3ELNS1_3repE0EEENS1_30default_config_static_selectorELNS0_4arch9wavefront6targetE1EEEvS14_
; %bb.0:
	.section	.rodata,"a",@progbits
	.p2align	6, 0x0
	.amdhsa_kernel _ZN7rocprim17ROCPRIM_400000_NS6detail17trampoline_kernelINS0_14default_configENS1_22reduce_config_selectorIN6thrust23THRUST_200600_302600_NS5tupleIblNS6_9null_typeES8_S8_S8_S8_S8_S8_S8_EEEEZNS1_11reduce_implILb1ES3_NS6_12zip_iteratorINS7_INS6_11hip_rocprim26transform_input_iterator_tIbNSD_35transform_pair_of_input_iterators_tIbNS6_6detail15normal_iteratorINS6_10device_ptrIKiEEEESL_NS6_8equal_toIiEEEENSG_9not_fun_tINSD_8identityEEEEENSD_19counting_iterator_tIlEES8_S8_S8_S8_S8_S8_S8_S8_EEEEPS9_S9_NSD_9__find_if7functorIS9_EEEE10hipError_tPvRmT1_T2_T3_mT4_P12ihipStream_tbEUlT_E1_NS1_11comp_targetILNS1_3genE9ELNS1_11target_archE1100ELNS1_3gpuE3ELNS1_3repE0EEENS1_30default_config_static_selectorELNS0_4arch9wavefront6targetE1EEEvS14_
		.amdhsa_group_segment_fixed_size 0
		.amdhsa_private_segment_fixed_size 0
		.amdhsa_kernarg_size 88
		.amdhsa_user_sgpr_count 2
		.amdhsa_user_sgpr_dispatch_ptr 0
		.amdhsa_user_sgpr_queue_ptr 0
		.amdhsa_user_sgpr_kernarg_segment_ptr 1
		.amdhsa_user_sgpr_dispatch_id 0
		.amdhsa_user_sgpr_kernarg_preload_length 0
		.amdhsa_user_sgpr_kernarg_preload_offset 0
		.amdhsa_user_sgpr_private_segment_size 0
		.amdhsa_uses_dynamic_stack 0
		.amdhsa_enable_private_segment 0
		.amdhsa_system_sgpr_workgroup_id_x 1
		.amdhsa_system_sgpr_workgroup_id_y 0
		.amdhsa_system_sgpr_workgroup_id_z 0
		.amdhsa_system_sgpr_workgroup_info 0
		.amdhsa_system_vgpr_workitem_id 0
		.amdhsa_next_free_vgpr 1
		.amdhsa_next_free_sgpr 0
		.amdhsa_accum_offset 4
		.amdhsa_reserve_vcc 0
		.amdhsa_float_round_mode_32 0
		.amdhsa_float_round_mode_16_64 0
		.amdhsa_float_denorm_mode_32 3
		.amdhsa_float_denorm_mode_16_64 3
		.amdhsa_dx10_clamp 1
		.amdhsa_ieee_mode 1
		.amdhsa_fp16_overflow 0
		.amdhsa_tg_split 0
		.amdhsa_exception_fp_ieee_invalid_op 0
		.amdhsa_exception_fp_denorm_src 0
		.amdhsa_exception_fp_ieee_div_zero 0
		.amdhsa_exception_fp_ieee_overflow 0
		.amdhsa_exception_fp_ieee_underflow 0
		.amdhsa_exception_fp_ieee_inexact 0
		.amdhsa_exception_int_div_zero 0
	.end_amdhsa_kernel
	.section	.text._ZN7rocprim17ROCPRIM_400000_NS6detail17trampoline_kernelINS0_14default_configENS1_22reduce_config_selectorIN6thrust23THRUST_200600_302600_NS5tupleIblNS6_9null_typeES8_S8_S8_S8_S8_S8_S8_EEEEZNS1_11reduce_implILb1ES3_NS6_12zip_iteratorINS7_INS6_11hip_rocprim26transform_input_iterator_tIbNSD_35transform_pair_of_input_iterators_tIbNS6_6detail15normal_iteratorINS6_10device_ptrIKiEEEESL_NS6_8equal_toIiEEEENSG_9not_fun_tINSD_8identityEEEEENSD_19counting_iterator_tIlEES8_S8_S8_S8_S8_S8_S8_S8_EEEEPS9_S9_NSD_9__find_if7functorIS9_EEEE10hipError_tPvRmT1_T2_T3_mT4_P12ihipStream_tbEUlT_E1_NS1_11comp_targetILNS1_3genE9ELNS1_11target_archE1100ELNS1_3gpuE3ELNS1_3repE0EEENS1_30default_config_static_selectorELNS0_4arch9wavefront6targetE1EEEvS14_,"axG",@progbits,_ZN7rocprim17ROCPRIM_400000_NS6detail17trampoline_kernelINS0_14default_configENS1_22reduce_config_selectorIN6thrust23THRUST_200600_302600_NS5tupleIblNS6_9null_typeES8_S8_S8_S8_S8_S8_S8_EEEEZNS1_11reduce_implILb1ES3_NS6_12zip_iteratorINS7_INS6_11hip_rocprim26transform_input_iterator_tIbNSD_35transform_pair_of_input_iterators_tIbNS6_6detail15normal_iteratorINS6_10device_ptrIKiEEEESL_NS6_8equal_toIiEEEENSG_9not_fun_tINSD_8identityEEEEENSD_19counting_iterator_tIlEES8_S8_S8_S8_S8_S8_S8_S8_EEEEPS9_S9_NSD_9__find_if7functorIS9_EEEE10hipError_tPvRmT1_T2_T3_mT4_P12ihipStream_tbEUlT_E1_NS1_11comp_targetILNS1_3genE9ELNS1_11target_archE1100ELNS1_3gpuE3ELNS1_3repE0EEENS1_30default_config_static_selectorELNS0_4arch9wavefront6targetE1EEEvS14_,comdat
.Lfunc_end136:
	.size	_ZN7rocprim17ROCPRIM_400000_NS6detail17trampoline_kernelINS0_14default_configENS1_22reduce_config_selectorIN6thrust23THRUST_200600_302600_NS5tupleIblNS6_9null_typeES8_S8_S8_S8_S8_S8_S8_EEEEZNS1_11reduce_implILb1ES3_NS6_12zip_iteratorINS7_INS6_11hip_rocprim26transform_input_iterator_tIbNSD_35transform_pair_of_input_iterators_tIbNS6_6detail15normal_iteratorINS6_10device_ptrIKiEEEESL_NS6_8equal_toIiEEEENSG_9not_fun_tINSD_8identityEEEEENSD_19counting_iterator_tIlEES8_S8_S8_S8_S8_S8_S8_S8_EEEEPS9_S9_NSD_9__find_if7functorIS9_EEEE10hipError_tPvRmT1_T2_T3_mT4_P12ihipStream_tbEUlT_E1_NS1_11comp_targetILNS1_3genE9ELNS1_11target_archE1100ELNS1_3gpuE3ELNS1_3repE0EEENS1_30default_config_static_selectorELNS0_4arch9wavefront6targetE1EEEvS14_, .Lfunc_end136-_ZN7rocprim17ROCPRIM_400000_NS6detail17trampoline_kernelINS0_14default_configENS1_22reduce_config_selectorIN6thrust23THRUST_200600_302600_NS5tupleIblNS6_9null_typeES8_S8_S8_S8_S8_S8_S8_EEEEZNS1_11reduce_implILb1ES3_NS6_12zip_iteratorINS7_INS6_11hip_rocprim26transform_input_iterator_tIbNSD_35transform_pair_of_input_iterators_tIbNS6_6detail15normal_iteratorINS6_10device_ptrIKiEEEESL_NS6_8equal_toIiEEEENSG_9not_fun_tINSD_8identityEEEEENSD_19counting_iterator_tIlEES8_S8_S8_S8_S8_S8_S8_S8_EEEEPS9_S9_NSD_9__find_if7functorIS9_EEEE10hipError_tPvRmT1_T2_T3_mT4_P12ihipStream_tbEUlT_E1_NS1_11comp_targetILNS1_3genE9ELNS1_11target_archE1100ELNS1_3gpuE3ELNS1_3repE0EEENS1_30default_config_static_selectorELNS0_4arch9wavefront6targetE1EEEvS14_
                                        ; -- End function
	.section	.AMDGPU.csdata,"",@progbits
; Kernel info:
; codeLenInByte = 0
; NumSgprs: 6
; NumVgprs: 0
; NumAgprs: 0
; TotalNumVgprs: 0
; ScratchSize: 0
; MemoryBound: 0
; FloatMode: 240
; IeeeMode: 1
; LDSByteSize: 0 bytes/workgroup (compile time only)
; SGPRBlocks: 0
; VGPRBlocks: 0
; NumSGPRsForWavesPerEU: 6
; NumVGPRsForWavesPerEU: 1
; AccumOffset: 4
; Occupancy: 8
; WaveLimiterHint : 0
; COMPUTE_PGM_RSRC2:SCRATCH_EN: 0
; COMPUTE_PGM_RSRC2:USER_SGPR: 2
; COMPUTE_PGM_RSRC2:TRAP_HANDLER: 0
; COMPUTE_PGM_RSRC2:TGID_X_EN: 1
; COMPUTE_PGM_RSRC2:TGID_Y_EN: 0
; COMPUTE_PGM_RSRC2:TGID_Z_EN: 0
; COMPUTE_PGM_RSRC2:TIDIG_COMP_CNT: 0
; COMPUTE_PGM_RSRC3_GFX90A:ACCUM_OFFSET: 0
; COMPUTE_PGM_RSRC3_GFX90A:TG_SPLIT: 0
	.section	.text._ZN7rocprim17ROCPRIM_400000_NS6detail17trampoline_kernelINS0_14default_configENS1_22reduce_config_selectorIN6thrust23THRUST_200600_302600_NS5tupleIblNS6_9null_typeES8_S8_S8_S8_S8_S8_S8_EEEEZNS1_11reduce_implILb1ES3_NS6_12zip_iteratorINS7_INS6_11hip_rocprim26transform_input_iterator_tIbNSD_35transform_pair_of_input_iterators_tIbNS6_6detail15normal_iteratorINS6_10device_ptrIKiEEEESL_NS6_8equal_toIiEEEENSG_9not_fun_tINSD_8identityEEEEENSD_19counting_iterator_tIlEES8_S8_S8_S8_S8_S8_S8_S8_EEEEPS9_S9_NSD_9__find_if7functorIS9_EEEE10hipError_tPvRmT1_T2_T3_mT4_P12ihipStream_tbEUlT_E1_NS1_11comp_targetILNS1_3genE8ELNS1_11target_archE1030ELNS1_3gpuE2ELNS1_3repE0EEENS1_30default_config_static_selectorELNS0_4arch9wavefront6targetE1EEEvS14_,"axG",@progbits,_ZN7rocprim17ROCPRIM_400000_NS6detail17trampoline_kernelINS0_14default_configENS1_22reduce_config_selectorIN6thrust23THRUST_200600_302600_NS5tupleIblNS6_9null_typeES8_S8_S8_S8_S8_S8_S8_EEEEZNS1_11reduce_implILb1ES3_NS6_12zip_iteratorINS7_INS6_11hip_rocprim26transform_input_iterator_tIbNSD_35transform_pair_of_input_iterators_tIbNS6_6detail15normal_iteratorINS6_10device_ptrIKiEEEESL_NS6_8equal_toIiEEEENSG_9not_fun_tINSD_8identityEEEEENSD_19counting_iterator_tIlEES8_S8_S8_S8_S8_S8_S8_S8_EEEEPS9_S9_NSD_9__find_if7functorIS9_EEEE10hipError_tPvRmT1_T2_T3_mT4_P12ihipStream_tbEUlT_E1_NS1_11comp_targetILNS1_3genE8ELNS1_11target_archE1030ELNS1_3gpuE2ELNS1_3repE0EEENS1_30default_config_static_selectorELNS0_4arch9wavefront6targetE1EEEvS14_,comdat
	.protected	_ZN7rocprim17ROCPRIM_400000_NS6detail17trampoline_kernelINS0_14default_configENS1_22reduce_config_selectorIN6thrust23THRUST_200600_302600_NS5tupleIblNS6_9null_typeES8_S8_S8_S8_S8_S8_S8_EEEEZNS1_11reduce_implILb1ES3_NS6_12zip_iteratorINS7_INS6_11hip_rocprim26transform_input_iterator_tIbNSD_35transform_pair_of_input_iterators_tIbNS6_6detail15normal_iteratorINS6_10device_ptrIKiEEEESL_NS6_8equal_toIiEEEENSG_9not_fun_tINSD_8identityEEEEENSD_19counting_iterator_tIlEES8_S8_S8_S8_S8_S8_S8_S8_EEEEPS9_S9_NSD_9__find_if7functorIS9_EEEE10hipError_tPvRmT1_T2_T3_mT4_P12ihipStream_tbEUlT_E1_NS1_11comp_targetILNS1_3genE8ELNS1_11target_archE1030ELNS1_3gpuE2ELNS1_3repE0EEENS1_30default_config_static_selectorELNS0_4arch9wavefront6targetE1EEEvS14_ ; -- Begin function _ZN7rocprim17ROCPRIM_400000_NS6detail17trampoline_kernelINS0_14default_configENS1_22reduce_config_selectorIN6thrust23THRUST_200600_302600_NS5tupleIblNS6_9null_typeES8_S8_S8_S8_S8_S8_S8_EEEEZNS1_11reduce_implILb1ES3_NS6_12zip_iteratorINS7_INS6_11hip_rocprim26transform_input_iterator_tIbNSD_35transform_pair_of_input_iterators_tIbNS6_6detail15normal_iteratorINS6_10device_ptrIKiEEEESL_NS6_8equal_toIiEEEENSG_9not_fun_tINSD_8identityEEEEENSD_19counting_iterator_tIlEES8_S8_S8_S8_S8_S8_S8_S8_EEEEPS9_S9_NSD_9__find_if7functorIS9_EEEE10hipError_tPvRmT1_T2_T3_mT4_P12ihipStream_tbEUlT_E1_NS1_11comp_targetILNS1_3genE8ELNS1_11target_archE1030ELNS1_3gpuE2ELNS1_3repE0EEENS1_30default_config_static_selectorELNS0_4arch9wavefront6targetE1EEEvS14_
	.globl	_ZN7rocprim17ROCPRIM_400000_NS6detail17trampoline_kernelINS0_14default_configENS1_22reduce_config_selectorIN6thrust23THRUST_200600_302600_NS5tupleIblNS6_9null_typeES8_S8_S8_S8_S8_S8_S8_EEEEZNS1_11reduce_implILb1ES3_NS6_12zip_iteratorINS7_INS6_11hip_rocprim26transform_input_iterator_tIbNSD_35transform_pair_of_input_iterators_tIbNS6_6detail15normal_iteratorINS6_10device_ptrIKiEEEESL_NS6_8equal_toIiEEEENSG_9not_fun_tINSD_8identityEEEEENSD_19counting_iterator_tIlEES8_S8_S8_S8_S8_S8_S8_S8_EEEEPS9_S9_NSD_9__find_if7functorIS9_EEEE10hipError_tPvRmT1_T2_T3_mT4_P12ihipStream_tbEUlT_E1_NS1_11comp_targetILNS1_3genE8ELNS1_11target_archE1030ELNS1_3gpuE2ELNS1_3repE0EEENS1_30default_config_static_selectorELNS0_4arch9wavefront6targetE1EEEvS14_
	.p2align	8
	.type	_ZN7rocprim17ROCPRIM_400000_NS6detail17trampoline_kernelINS0_14default_configENS1_22reduce_config_selectorIN6thrust23THRUST_200600_302600_NS5tupleIblNS6_9null_typeES8_S8_S8_S8_S8_S8_S8_EEEEZNS1_11reduce_implILb1ES3_NS6_12zip_iteratorINS7_INS6_11hip_rocprim26transform_input_iterator_tIbNSD_35transform_pair_of_input_iterators_tIbNS6_6detail15normal_iteratorINS6_10device_ptrIKiEEEESL_NS6_8equal_toIiEEEENSG_9not_fun_tINSD_8identityEEEEENSD_19counting_iterator_tIlEES8_S8_S8_S8_S8_S8_S8_S8_EEEEPS9_S9_NSD_9__find_if7functorIS9_EEEE10hipError_tPvRmT1_T2_T3_mT4_P12ihipStream_tbEUlT_E1_NS1_11comp_targetILNS1_3genE8ELNS1_11target_archE1030ELNS1_3gpuE2ELNS1_3repE0EEENS1_30default_config_static_selectorELNS0_4arch9wavefront6targetE1EEEvS14_,@function
_ZN7rocprim17ROCPRIM_400000_NS6detail17trampoline_kernelINS0_14default_configENS1_22reduce_config_selectorIN6thrust23THRUST_200600_302600_NS5tupleIblNS6_9null_typeES8_S8_S8_S8_S8_S8_S8_EEEEZNS1_11reduce_implILb1ES3_NS6_12zip_iteratorINS7_INS6_11hip_rocprim26transform_input_iterator_tIbNSD_35transform_pair_of_input_iterators_tIbNS6_6detail15normal_iteratorINS6_10device_ptrIKiEEEESL_NS6_8equal_toIiEEEENSG_9not_fun_tINSD_8identityEEEEENSD_19counting_iterator_tIlEES8_S8_S8_S8_S8_S8_S8_S8_EEEEPS9_S9_NSD_9__find_if7functorIS9_EEEE10hipError_tPvRmT1_T2_T3_mT4_P12ihipStream_tbEUlT_E1_NS1_11comp_targetILNS1_3genE8ELNS1_11target_archE1030ELNS1_3gpuE2ELNS1_3repE0EEENS1_30default_config_static_selectorELNS0_4arch9wavefront6targetE1EEEvS14_: ; @_ZN7rocprim17ROCPRIM_400000_NS6detail17trampoline_kernelINS0_14default_configENS1_22reduce_config_selectorIN6thrust23THRUST_200600_302600_NS5tupleIblNS6_9null_typeES8_S8_S8_S8_S8_S8_S8_EEEEZNS1_11reduce_implILb1ES3_NS6_12zip_iteratorINS7_INS6_11hip_rocprim26transform_input_iterator_tIbNSD_35transform_pair_of_input_iterators_tIbNS6_6detail15normal_iteratorINS6_10device_ptrIKiEEEESL_NS6_8equal_toIiEEEENSG_9not_fun_tINSD_8identityEEEEENSD_19counting_iterator_tIlEES8_S8_S8_S8_S8_S8_S8_S8_EEEEPS9_S9_NSD_9__find_if7functorIS9_EEEE10hipError_tPvRmT1_T2_T3_mT4_P12ihipStream_tbEUlT_E1_NS1_11comp_targetILNS1_3genE8ELNS1_11target_archE1030ELNS1_3gpuE2ELNS1_3repE0EEENS1_30default_config_static_selectorELNS0_4arch9wavefront6targetE1EEEvS14_
; %bb.0:
	.section	.rodata,"a",@progbits
	.p2align	6, 0x0
	.amdhsa_kernel _ZN7rocprim17ROCPRIM_400000_NS6detail17trampoline_kernelINS0_14default_configENS1_22reduce_config_selectorIN6thrust23THRUST_200600_302600_NS5tupleIblNS6_9null_typeES8_S8_S8_S8_S8_S8_S8_EEEEZNS1_11reduce_implILb1ES3_NS6_12zip_iteratorINS7_INS6_11hip_rocprim26transform_input_iterator_tIbNSD_35transform_pair_of_input_iterators_tIbNS6_6detail15normal_iteratorINS6_10device_ptrIKiEEEESL_NS6_8equal_toIiEEEENSG_9not_fun_tINSD_8identityEEEEENSD_19counting_iterator_tIlEES8_S8_S8_S8_S8_S8_S8_S8_EEEEPS9_S9_NSD_9__find_if7functorIS9_EEEE10hipError_tPvRmT1_T2_T3_mT4_P12ihipStream_tbEUlT_E1_NS1_11comp_targetILNS1_3genE8ELNS1_11target_archE1030ELNS1_3gpuE2ELNS1_3repE0EEENS1_30default_config_static_selectorELNS0_4arch9wavefront6targetE1EEEvS14_
		.amdhsa_group_segment_fixed_size 0
		.amdhsa_private_segment_fixed_size 0
		.amdhsa_kernarg_size 88
		.amdhsa_user_sgpr_count 2
		.amdhsa_user_sgpr_dispatch_ptr 0
		.amdhsa_user_sgpr_queue_ptr 0
		.amdhsa_user_sgpr_kernarg_segment_ptr 1
		.amdhsa_user_sgpr_dispatch_id 0
		.amdhsa_user_sgpr_kernarg_preload_length 0
		.amdhsa_user_sgpr_kernarg_preload_offset 0
		.amdhsa_user_sgpr_private_segment_size 0
		.amdhsa_uses_dynamic_stack 0
		.amdhsa_enable_private_segment 0
		.amdhsa_system_sgpr_workgroup_id_x 1
		.amdhsa_system_sgpr_workgroup_id_y 0
		.amdhsa_system_sgpr_workgroup_id_z 0
		.amdhsa_system_sgpr_workgroup_info 0
		.amdhsa_system_vgpr_workitem_id 0
		.amdhsa_next_free_vgpr 1
		.amdhsa_next_free_sgpr 0
		.amdhsa_accum_offset 4
		.amdhsa_reserve_vcc 0
		.amdhsa_float_round_mode_32 0
		.amdhsa_float_round_mode_16_64 0
		.amdhsa_float_denorm_mode_32 3
		.amdhsa_float_denorm_mode_16_64 3
		.amdhsa_dx10_clamp 1
		.amdhsa_ieee_mode 1
		.amdhsa_fp16_overflow 0
		.amdhsa_tg_split 0
		.amdhsa_exception_fp_ieee_invalid_op 0
		.amdhsa_exception_fp_denorm_src 0
		.amdhsa_exception_fp_ieee_div_zero 0
		.amdhsa_exception_fp_ieee_overflow 0
		.amdhsa_exception_fp_ieee_underflow 0
		.amdhsa_exception_fp_ieee_inexact 0
		.amdhsa_exception_int_div_zero 0
	.end_amdhsa_kernel
	.section	.text._ZN7rocprim17ROCPRIM_400000_NS6detail17trampoline_kernelINS0_14default_configENS1_22reduce_config_selectorIN6thrust23THRUST_200600_302600_NS5tupleIblNS6_9null_typeES8_S8_S8_S8_S8_S8_S8_EEEEZNS1_11reduce_implILb1ES3_NS6_12zip_iteratorINS7_INS6_11hip_rocprim26transform_input_iterator_tIbNSD_35transform_pair_of_input_iterators_tIbNS6_6detail15normal_iteratorINS6_10device_ptrIKiEEEESL_NS6_8equal_toIiEEEENSG_9not_fun_tINSD_8identityEEEEENSD_19counting_iterator_tIlEES8_S8_S8_S8_S8_S8_S8_S8_EEEEPS9_S9_NSD_9__find_if7functorIS9_EEEE10hipError_tPvRmT1_T2_T3_mT4_P12ihipStream_tbEUlT_E1_NS1_11comp_targetILNS1_3genE8ELNS1_11target_archE1030ELNS1_3gpuE2ELNS1_3repE0EEENS1_30default_config_static_selectorELNS0_4arch9wavefront6targetE1EEEvS14_,"axG",@progbits,_ZN7rocprim17ROCPRIM_400000_NS6detail17trampoline_kernelINS0_14default_configENS1_22reduce_config_selectorIN6thrust23THRUST_200600_302600_NS5tupleIblNS6_9null_typeES8_S8_S8_S8_S8_S8_S8_EEEEZNS1_11reduce_implILb1ES3_NS6_12zip_iteratorINS7_INS6_11hip_rocprim26transform_input_iterator_tIbNSD_35transform_pair_of_input_iterators_tIbNS6_6detail15normal_iteratorINS6_10device_ptrIKiEEEESL_NS6_8equal_toIiEEEENSG_9not_fun_tINSD_8identityEEEEENSD_19counting_iterator_tIlEES8_S8_S8_S8_S8_S8_S8_S8_EEEEPS9_S9_NSD_9__find_if7functorIS9_EEEE10hipError_tPvRmT1_T2_T3_mT4_P12ihipStream_tbEUlT_E1_NS1_11comp_targetILNS1_3genE8ELNS1_11target_archE1030ELNS1_3gpuE2ELNS1_3repE0EEENS1_30default_config_static_selectorELNS0_4arch9wavefront6targetE1EEEvS14_,comdat
.Lfunc_end137:
	.size	_ZN7rocprim17ROCPRIM_400000_NS6detail17trampoline_kernelINS0_14default_configENS1_22reduce_config_selectorIN6thrust23THRUST_200600_302600_NS5tupleIblNS6_9null_typeES8_S8_S8_S8_S8_S8_S8_EEEEZNS1_11reduce_implILb1ES3_NS6_12zip_iteratorINS7_INS6_11hip_rocprim26transform_input_iterator_tIbNSD_35transform_pair_of_input_iterators_tIbNS6_6detail15normal_iteratorINS6_10device_ptrIKiEEEESL_NS6_8equal_toIiEEEENSG_9not_fun_tINSD_8identityEEEEENSD_19counting_iterator_tIlEES8_S8_S8_S8_S8_S8_S8_S8_EEEEPS9_S9_NSD_9__find_if7functorIS9_EEEE10hipError_tPvRmT1_T2_T3_mT4_P12ihipStream_tbEUlT_E1_NS1_11comp_targetILNS1_3genE8ELNS1_11target_archE1030ELNS1_3gpuE2ELNS1_3repE0EEENS1_30default_config_static_selectorELNS0_4arch9wavefront6targetE1EEEvS14_, .Lfunc_end137-_ZN7rocprim17ROCPRIM_400000_NS6detail17trampoline_kernelINS0_14default_configENS1_22reduce_config_selectorIN6thrust23THRUST_200600_302600_NS5tupleIblNS6_9null_typeES8_S8_S8_S8_S8_S8_S8_EEEEZNS1_11reduce_implILb1ES3_NS6_12zip_iteratorINS7_INS6_11hip_rocprim26transform_input_iterator_tIbNSD_35transform_pair_of_input_iterators_tIbNS6_6detail15normal_iteratorINS6_10device_ptrIKiEEEESL_NS6_8equal_toIiEEEENSG_9not_fun_tINSD_8identityEEEEENSD_19counting_iterator_tIlEES8_S8_S8_S8_S8_S8_S8_S8_EEEEPS9_S9_NSD_9__find_if7functorIS9_EEEE10hipError_tPvRmT1_T2_T3_mT4_P12ihipStream_tbEUlT_E1_NS1_11comp_targetILNS1_3genE8ELNS1_11target_archE1030ELNS1_3gpuE2ELNS1_3repE0EEENS1_30default_config_static_selectorELNS0_4arch9wavefront6targetE1EEEvS14_
                                        ; -- End function
	.section	.AMDGPU.csdata,"",@progbits
; Kernel info:
; codeLenInByte = 0
; NumSgprs: 6
; NumVgprs: 0
; NumAgprs: 0
; TotalNumVgprs: 0
; ScratchSize: 0
; MemoryBound: 0
; FloatMode: 240
; IeeeMode: 1
; LDSByteSize: 0 bytes/workgroup (compile time only)
; SGPRBlocks: 0
; VGPRBlocks: 0
; NumSGPRsForWavesPerEU: 6
; NumVGPRsForWavesPerEU: 1
; AccumOffset: 4
; Occupancy: 8
; WaveLimiterHint : 0
; COMPUTE_PGM_RSRC2:SCRATCH_EN: 0
; COMPUTE_PGM_RSRC2:USER_SGPR: 2
; COMPUTE_PGM_RSRC2:TRAP_HANDLER: 0
; COMPUTE_PGM_RSRC2:TGID_X_EN: 1
; COMPUTE_PGM_RSRC2:TGID_Y_EN: 0
; COMPUTE_PGM_RSRC2:TGID_Z_EN: 0
; COMPUTE_PGM_RSRC2:TIDIG_COMP_CNT: 0
; COMPUTE_PGM_RSRC3_GFX90A:ACCUM_OFFSET: 0
; COMPUTE_PGM_RSRC3_GFX90A:TG_SPLIT: 0
	.section	.text._ZN6thrust23THRUST_200600_302600_NS11hip_rocprim14__parallel_for6kernelILj256ENS1_20__uninitialized_fill7functorINS0_10device_ptrIsEEsEEmLj1EEEvT0_T1_SA_,"axG",@progbits,_ZN6thrust23THRUST_200600_302600_NS11hip_rocprim14__parallel_for6kernelILj256ENS1_20__uninitialized_fill7functorINS0_10device_ptrIsEEsEEmLj1EEEvT0_T1_SA_,comdat
	.protected	_ZN6thrust23THRUST_200600_302600_NS11hip_rocprim14__parallel_for6kernelILj256ENS1_20__uninitialized_fill7functorINS0_10device_ptrIsEEsEEmLj1EEEvT0_T1_SA_ ; -- Begin function _ZN6thrust23THRUST_200600_302600_NS11hip_rocprim14__parallel_for6kernelILj256ENS1_20__uninitialized_fill7functorINS0_10device_ptrIsEEsEEmLj1EEEvT0_T1_SA_
	.globl	_ZN6thrust23THRUST_200600_302600_NS11hip_rocprim14__parallel_for6kernelILj256ENS1_20__uninitialized_fill7functorINS0_10device_ptrIsEEsEEmLj1EEEvT0_T1_SA_
	.p2align	8
	.type	_ZN6thrust23THRUST_200600_302600_NS11hip_rocprim14__parallel_for6kernelILj256ENS1_20__uninitialized_fill7functorINS0_10device_ptrIsEEsEEmLj1EEEvT0_T1_SA_,@function
_ZN6thrust23THRUST_200600_302600_NS11hip_rocprim14__parallel_for6kernelILj256ENS1_20__uninitialized_fill7functorINS0_10device_ptrIsEEsEEmLj1EEEvT0_T1_SA_: ; @_ZN6thrust23THRUST_200600_302600_NS11hip_rocprim14__parallel_for6kernelILj256ENS1_20__uninitialized_fill7functorINS0_10device_ptrIsEEsEEmLj1EEEvT0_T1_SA_
; %bb.0:
	s_load_dwordx4 s[4:7], s[0:1], 0x10
	s_lshl_b32 s2, s2, 8
	v_mov_b64_e32 v[2:3], 0x100
	s_waitcnt lgkmcnt(0)
	s_add_u32 s2, s2, s6
	s_addc_u32 s3, 0, s7
	s_sub_u32 s4, s4, s2
	s_subb_u32 s5, s5, s3
	v_cmp_lt_u64_e32 vcc, s[4:5], v[2:3]
	s_cbranch_vccz .LBB138_2
; %bb.1:
	v_cmp_gt_u32_e32 vcc, s4, v0
	s_and_b64 s[4:5], vcc, exec
	s_cbranch_execz .LBB138_3
	s_branch .LBB138_4
.LBB138_2:
	s_mov_b64 s[4:5], 0
.LBB138_3:
	s_or_b64 s[4:5], s[4:5], exec
.LBB138_4:
	s_and_saveexec_b64 s[6:7], s[4:5]
	s_cbranch_execnz .LBB138_6
; %bb.5:
	s_endpgm
.LBB138_6:
	s_load_dwordx2 s[4:5], s[0:1], 0x0
	s_load_dword s6, s[0:1], 0x8
	s_lshl_b64 s[0:1], s[2:3], 1
	v_mov_b32_e32 v1, 0
	s_waitcnt lgkmcnt(0)
	s_add_u32 s0, s4, s0
	s_addc_u32 s1, s5, s1
	v_lshl_add_u64 v[0:1], v[0:1], 1, s[0:1]
	v_mov_b32_e32 v2, s6
	flat_store_short v[0:1], v2
	s_endpgm
	.section	.rodata,"a",@progbits
	.p2align	6, 0x0
	.amdhsa_kernel _ZN6thrust23THRUST_200600_302600_NS11hip_rocprim14__parallel_for6kernelILj256ENS1_20__uninitialized_fill7functorINS0_10device_ptrIsEEsEEmLj1EEEvT0_T1_SA_
		.amdhsa_group_segment_fixed_size 0
		.amdhsa_private_segment_fixed_size 0
		.amdhsa_kernarg_size 32
		.amdhsa_user_sgpr_count 2
		.amdhsa_user_sgpr_dispatch_ptr 0
		.amdhsa_user_sgpr_queue_ptr 0
		.amdhsa_user_sgpr_kernarg_segment_ptr 1
		.amdhsa_user_sgpr_dispatch_id 0
		.amdhsa_user_sgpr_kernarg_preload_length 0
		.amdhsa_user_sgpr_kernarg_preload_offset 0
		.amdhsa_user_sgpr_private_segment_size 0
		.amdhsa_uses_dynamic_stack 0
		.amdhsa_enable_private_segment 0
		.amdhsa_system_sgpr_workgroup_id_x 1
		.amdhsa_system_sgpr_workgroup_id_y 0
		.amdhsa_system_sgpr_workgroup_id_z 0
		.amdhsa_system_sgpr_workgroup_info 0
		.amdhsa_system_vgpr_workitem_id 0
		.amdhsa_next_free_vgpr 4
		.amdhsa_next_free_sgpr 8
		.amdhsa_accum_offset 4
		.amdhsa_reserve_vcc 1
		.amdhsa_float_round_mode_32 0
		.amdhsa_float_round_mode_16_64 0
		.amdhsa_float_denorm_mode_32 3
		.amdhsa_float_denorm_mode_16_64 3
		.amdhsa_dx10_clamp 1
		.amdhsa_ieee_mode 1
		.amdhsa_fp16_overflow 0
		.amdhsa_tg_split 0
		.amdhsa_exception_fp_ieee_invalid_op 0
		.amdhsa_exception_fp_denorm_src 0
		.amdhsa_exception_fp_ieee_div_zero 0
		.amdhsa_exception_fp_ieee_overflow 0
		.amdhsa_exception_fp_ieee_underflow 0
		.amdhsa_exception_fp_ieee_inexact 0
		.amdhsa_exception_int_div_zero 0
	.end_amdhsa_kernel
	.section	.text._ZN6thrust23THRUST_200600_302600_NS11hip_rocprim14__parallel_for6kernelILj256ENS1_20__uninitialized_fill7functorINS0_10device_ptrIsEEsEEmLj1EEEvT0_T1_SA_,"axG",@progbits,_ZN6thrust23THRUST_200600_302600_NS11hip_rocprim14__parallel_for6kernelILj256ENS1_20__uninitialized_fill7functorINS0_10device_ptrIsEEsEEmLj1EEEvT0_T1_SA_,comdat
.Lfunc_end138:
	.size	_ZN6thrust23THRUST_200600_302600_NS11hip_rocprim14__parallel_for6kernelILj256ENS1_20__uninitialized_fill7functorINS0_10device_ptrIsEEsEEmLj1EEEvT0_T1_SA_, .Lfunc_end138-_ZN6thrust23THRUST_200600_302600_NS11hip_rocprim14__parallel_for6kernelILj256ENS1_20__uninitialized_fill7functorINS0_10device_ptrIsEEsEEmLj1EEEvT0_T1_SA_
                                        ; -- End function
	.section	.AMDGPU.csdata,"",@progbits
; Kernel info:
; codeLenInByte = 144
; NumSgprs: 14
; NumVgprs: 4
; NumAgprs: 0
; TotalNumVgprs: 4
; ScratchSize: 0
; MemoryBound: 0
; FloatMode: 240
; IeeeMode: 1
; LDSByteSize: 0 bytes/workgroup (compile time only)
; SGPRBlocks: 1
; VGPRBlocks: 0
; NumSGPRsForWavesPerEU: 14
; NumVGPRsForWavesPerEU: 4
; AccumOffset: 4
; Occupancy: 8
; WaveLimiterHint : 0
; COMPUTE_PGM_RSRC2:SCRATCH_EN: 0
; COMPUTE_PGM_RSRC2:USER_SGPR: 2
; COMPUTE_PGM_RSRC2:TRAP_HANDLER: 0
; COMPUTE_PGM_RSRC2:TGID_X_EN: 1
; COMPUTE_PGM_RSRC2:TGID_Y_EN: 0
; COMPUTE_PGM_RSRC2:TGID_Z_EN: 0
; COMPUTE_PGM_RSRC2:TIDIG_COMP_CNT: 0
; COMPUTE_PGM_RSRC3_GFX90A:ACCUM_OFFSET: 0
; COMPUTE_PGM_RSRC3_GFX90A:TG_SPLIT: 0
	.section	.text._ZN6thrust23THRUST_200600_302600_NS11hip_rocprim14__parallel_for6kernelILj256ENS1_20__uninitialized_copy7functorINS0_6detail15normal_iteratorINS0_10device_ptrIsEEEENS7_INS0_7pointerIsNS1_3tagENS0_11use_defaultESD_EEEEEElLj1EEEvT0_T1_SI_,"axG",@progbits,_ZN6thrust23THRUST_200600_302600_NS11hip_rocprim14__parallel_for6kernelILj256ENS1_20__uninitialized_copy7functorINS0_6detail15normal_iteratorINS0_10device_ptrIsEEEENS7_INS0_7pointerIsNS1_3tagENS0_11use_defaultESD_EEEEEElLj1EEEvT0_T1_SI_,comdat
	.protected	_ZN6thrust23THRUST_200600_302600_NS11hip_rocprim14__parallel_for6kernelILj256ENS1_20__uninitialized_copy7functorINS0_6detail15normal_iteratorINS0_10device_ptrIsEEEENS7_INS0_7pointerIsNS1_3tagENS0_11use_defaultESD_EEEEEElLj1EEEvT0_T1_SI_ ; -- Begin function _ZN6thrust23THRUST_200600_302600_NS11hip_rocprim14__parallel_for6kernelILj256ENS1_20__uninitialized_copy7functorINS0_6detail15normal_iteratorINS0_10device_ptrIsEEEENS7_INS0_7pointerIsNS1_3tagENS0_11use_defaultESD_EEEEEElLj1EEEvT0_T1_SI_
	.globl	_ZN6thrust23THRUST_200600_302600_NS11hip_rocprim14__parallel_for6kernelILj256ENS1_20__uninitialized_copy7functorINS0_6detail15normal_iteratorINS0_10device_ptrIsEEEENS7_INS0_7pointerIsNS1_3tagENS0_11use_defaultESD_EEEEEElLj1EEEvT0_T1_SI_
	.p2align	8
	.type	_ZN6thrust23THRUST_200600_302600_NS11hip_rocprim14__parallel_for6kernelILj256ENS1_20__uninitialized_copy7functorINS0_6detail15normal_iteratorINS0_10device_ptrIsEEEENS7_INS0_7pointerIsNS1_3tagENS0_11use_defaultESD_EEEEEElLj1EEEvT0_T1_SI_,@function
_ZN6thrust23THRUST_200600_302600_NS11hip_rocprim14__parallel_for6kernelILj256ENS1_20__uninitialized_copy7functorINS0_6detail15normal_iteratorINS0_10device_ptrIsEEEENS7_INS0_7pointerIsNS1_3tagENS0_11use_defaultESD_EEEEEElLj1EEEvT0_T1_SI_: ; @_ZN6thrust23THRUST_200600_302600_NS11hip_rocprim14__parallel_for6kernelILj256ENS1_20__uninitialized_copy7functorINS0_6detail15normal_iteratorINS0_10device_ptrIsEEEENS7_INS0_7pointerIsNS1_3tagENS0_11use_defaultESD_EEEEEElLj1EEEvT0_T1_SI_
; %bb.0:
	s_load_dwordx8 s[4:11], s[0:1], 0x0
	s_lshl_b32 s0, s2, 8
	v_mov_b64_e32 v[2:3], 0x100
	s_waitcnt lgkmcnt(0)
	s_add_u32 s0, s0, s10
	s_addc_u32 s1, 0, s11
	s_sub_u32 s2, s8, s0
	s_subb_u32 s3, s9, s1
	v_cmp_lt_i64_e32 vcc, s[2:3], v[2:3]
	s_and_b64 s[8:9], vcc, exec
	s_cselect_b32 s2, s2, 0x100
	s_cmpk_lg_i32 s2, 0x100
	s_cbranch_scc0 .LBB139_4
; %bb.1:
	v_cmp_gt_u32_e32 vcc, s2, v0
	s_mov_b64 s[8:9], 0
	s_mov_b64 s[2:3], 0
                                        ; implicit-def: $vgpr2_vgpr3
                                        ; implicit-def: $vgpr4_vgpr5
	s_and_saveexec_b64 s[10:11], vcc
	s_xor_b64 s[10:11], exec, s[10:11]
; %bb.2:
	v_mov_b32_e32 v1, 0
	v_lshl_add_u64 v[2:3], s[0:1], 0, v[0:1]
	v_lshlrev_b64 v[4:5], 1, v[2:3]
	s_mov_b64 s[2:3], exec
	v_lshl_add_u64 v[2:3], s[6:7], 0, v[4:5]
	v_lshl_add_u64 v[4:5], s[4:5], 0, v[4:5]
; %bb.3:
	s_or_b64 exec, exec, s[10:11]
	s_and_b64 vcc, exec, s[8:9]
	s_cbranch_vccnz .LBB139_5
	s_branch .LBB139_6
.LBB139_4:
	s_mov_b64 s[2:3], 0
                                        ; implicit-def: $vgpr2_vgpr3
                                        ; implicit-def: $vgpr4_vgpr5
	s_cbranch_execz .LBB139_6
.LBB139_5:
	v_mov_b32_e32 v1, 0
	v_lshl_add_u64 v[0:1], s[0:1], 0, v[0:1]
	v_lshlrev_b64 v[0:1], 1, v[0:1]
	v_lshl_add_u64 v[4:5], s[4:5], 0, v[0:1]
	v_lshl_add_u64 v[2:3], s[6:7], 0, v[0:1]
	s_or_b64 s[2:3], s[2:3], exec
.LBB139_6:
	s_and_saveexec_b64 s[0:1], s[2:3]
	s_cbranch_execnz .LBB139_8
; %bb.7:
	s_endpgm
.LBB139_8:
	flat_load_ushort v0, v[4:5]
	s_waitcnt vmcnt(0) lgkmcnt(0)
	flat_store_short v[2:3], v0
	s_endpgm
	.section	.rodata,"a",@progbits
	.p2align	6, 0x0
	.amdhsa_kernel _ZN6thrust23THRUST_200600_302600_NS11hip_rocprim14__parallel_for6kernelILj256ENS1_20__uninitialized_copy7functorINS0_6detail15normal_iteratorINS0_10device_ptrIsEEEENS7_INS0_7pointerIsNS1_3tagENS0_11use_defaultESD_EEEEEElLj1EEEvT0_T1_SI_
		.amdhsa_group_segment_fixed_size 0
		.amdhsa_private_segment_fixed_size 0
		.amdhsa_kernarg_size 32
		.amdhsa_user_sgpr_count 2
		.amdhsa_user_sgpr_dispatch_ptr 0
		.amdhsa_user_sgpr_queue_ptr 0
		.amdhsa_user_sgpr_kernarg_segment_ptr 1
		.amdhsa_user_sgpr_dispatch_id 0
		.amdhsa_user_sgpr_kernarg_preload_length 0
		.amdhsa_user_sgpr_kernarg_preload_offset 0
		.amdhsa_user_sgpr_private_segment_size 0
		.amdhsa_uses_dynamic_stack 0
		.amdhsa_enable_private_segment 0
		.amdhsa_system_sgpr_workgroup_id_x 1
		.amdhsa_system_sgpr_workgroup_id_y 0
		.amdhsa_system_sgpr_workgroup_id_z 0
		.amdhsa_system_sgpr_workgroup_info 0
		.amdhsa_system_vgpr_workitem_id 0
		.amdhsa_next_free_vgpr 6
		.amdhsa_next_free_sgpr 12
		.amdhsa_accum_offset 8
		.amdhsa_reserve_vcc 1
		.amdhsa_float_round_mode_32 0
		.amdhsa_float_round_mode_16_64 0
		.amdhsa_float_denorm_mode_32 3
		.amdhsa_float_denorm_mode_16_64 3
		.amdhsa_dx10_clamp 1
		.amdhsa_ieee_mode 1
		.amdhsa_fp16_overflow 0
		.amdhsa_tg_split 0
		.amdhsa_exception_fp_ieee_invalid_op 0
		.amdhsa_exception_fp_denorm_src 0
		.amdhsa_exception_fp_ieee_div_zero 0
		.amdhsa_exception_fp_ieee_overflow 0
		.amdhsa_exception_fp_ieee_underflow 0
		.amdhsa_exception_fp_ieee_inexact 0
		.amdhsa_exception_int_div_zero 0
	.end_amdhsa_kernel
	.section	.text._ZN6thrust23THRUST_200600_302600_NS11hip_rocprim14__parallel_for6kernelILj256ENS1_20__uninitialized_copy7functorINS0_6detail15normal_iteratorINS0_10device_ptrIsEEEENS7_INS0_7pointerIsNS1_3tagENS0_11use_defaultESD_EEEEEElLj1EEEvT0_T1_SI_,"axG",@progbits,_ZN6thrust23THRUST_200600_302600_NS11hip_rocprim14__parallel_for6kernelILj256ENS1_20__uninitialized_copy7functorINS0_6detail15normal_iteratorINS0_10device_ptrIsEEEENS7_INS0_7pointerIsNS1_3tagENS0_11use_defaultESD_EEEEEElLj1EEEvT0_T1_SI_,comdat
.Lfunc_end139:
	.size	_ZN6thrust23THRUST_200600_302600_NS11hip_rocprim14__parallel_for6kernelILj256ENS1_20__uninitialized_copy7functorINS0_6detail15normal_iteratorINS0_10device_ptrIsEEEENS7_INS0_7pointerIsNS1_3tagENS0_11use_defaultESD_EEEEEElLj1EEEvT0_T1_SI_, .Lfunc_end139-_ZN6thrust23THRUST_200600_302600_NS11hip_rocprim14__parallel_for6kernelILj256ENS1_20__uninitialized_copy7functorINS0_6detail15normal_iteratorINS0_10device_ptrIsEEEENS7_INS0_7pointerIsNS1_3tagENS0_11use_defaultESD_EEEEEElLj1EEEvT0_T1_SI_
                                        ; -- End function
	.section	.AMDGPU.csdata,"",@progbits
; Kernel info:
; codeLenInByte = 224
; NumSgprs: 18
; NumVgprs: 6
; NumAgprs: 0
; TotalNumVgprs: 6
; ScratchSize: 0
; MemoryBound: 0
; FloatMode: 240
; IeeeMode: 1
; LDSByteSize: 0 bytes/workgroup (compile time only)
; SGPRBlocks: 2
; VGPRBlocks: 0
; NumSGPRsForWavesPerEU: 18
; NumVGPRsForWavesPerEU: 6
; AccumOffset: 8
; Occupancy: 8
; WaveLimiterHint : 0
; COMPUTE_PGM_RSRC2:SCRATCH_EN: 0
; COMPUTE_PGM_RSRC2:USER_SGPR: 2
; COMPUTE_PGM_RSRC2:TRAP_HANDLER: 0
; COMPUTE_PGM_RSRC2:TGID_X_EN: 1
; COMPUTE_PGM_RSRC2:TGID_Y_EN: 0
; COMPUTE_PGM_RSRC2:TGID_Z_EN: 0
; COMPUTE_PGM_RSRC2:TIDIG_COMP_CNT: 0
; COMPUTE_PGM_RSRC3_GFX90A:ACCUM_OFFSET: 1
; COMPUTE_PGM_RSRC3_GFX90A:TG_SPLIT: 0
	.section	.text._ZN7rocprim17ROCPRIM_400000_NS6detail17trampoline_kernelINS0_14default_configENS1_25partition_config_selectorILNS1_17partition_subalgoE3EsNS0_10empty_typeEbEEZZNS1_14partition_implILS5_3ELb0ES3_jN6thrust23THRUST_200600_302600_NS6detail15normal_iteratorINSA_7pointerIsNSA_11hip_rocprim3tagENSA_11use_defaultESG_EEEEPS6_SJ_NS0_5tupleIJPsSJ_EEENSK_IJSJ_SJ_EEES6_PlJ7is_evenIsEEEE10hipError_tPvRmT3_T4_T5_T6_T7_T9_mT8_P12ihipStream_tbDpT10_ENKUlT_T0_E_clISt17integral_constantIbLb0EES1A_EEDaS15_S16_EUlS15_E_NS1_11comp_targetILNS1_3genE0ELNS1_11target_archE4294967295ELNS1_3gpuE0ELNS1_3repE0EEENS1_30default_config_static_selectorELNS0_4arch9wavefront6targetE1EEEvT1_,"axG",@progbits,_ZN7rocprim17ROCPRIM_400000_NS6detail17trampoline_kernelINS0_14default_configENS1_25partition_config_selectorILNS1_17partition_subalgoE3EsNS0_10empty_typeEbEEZZNS1_14partition_implILS5_3ELb0ES3_jN6thrust23THRUST_200600_302600_NS6detail15normal_iteratorINSA_7pointerIsNSA_11hip_rocprim3tagENSA_11use_defaultESG_EEEEPS6_SJ_NS0_5tupleIJPsSJ_EEENSK_IJSJ_SJ_EEES6_PlJ7is_evenIsEEEE10hipError_tPvRmT3_T4_T5_T6_T7_T9_mT8_P12ihipStream_tbDpT10_ENKUlT_T0_E_clISt17integral_constantIbLb0EES1A_EEDaS15_S16_EUlS15_E_NS1_11comp_targetILNS1_3genE0ELNS1_11target_archE4294967295ELNS1_3gpuE0ELNS1_3repE0EEENS1_30default_config_static_selectorELNS0_4arch9wavefront6targetE1EEEvT1_,comdat
	.protected	_ZN7rocprim17ROCPRIM_400000_NS6detail17trampoline_kernelINS0_14default_configENS1_25partition_config_selectorILNS1_17partition_subalgoE3EsNS0_10empty_typeEbEEZZNS1_14partition_implILS5_3ELb0ES3_jN6thrust23THRUST_200600_302600_NS6detail15normal_iteratorINSA_7pointerIsNSA_11hip_rocprim3tagENSA_11use_defaultESG_EEEEPS6_SJ_NS0_5tupleIJPsSJ_EEENSK_IJSJ_SJ_EEES6_PlJ7is_evenIsEEEE10hipError_tPvRmT3_T4_T5_T6_T7_T9_mT8_P12ihipStream_tbDpT10_ENKUlT_T0_E_clISt17integral_constantIbLb0EES1A_EEDaS15_S16_EUlS15_E_NS1_11comp_targetILNS1_3genE0ELNS1_11target_archE4294967295ELNS1_3gpuE0ELNS1_3repE0EEENS1_30default_config_static_selectorELNS0_4arch9wavefront6targetE1EEEvT1_ ; -- Begin function _ZN7rocprim17ROCPRIM_400000_NS6detail17trampoline_kernelINS0_14default_configENS1_25partition_config_selectorILNS1_17partition_subalgoE3EsNS0_10empty_typeEbEEZZNS1_14partition_implILS5_3ELb0ES3_jN6thrust23THRUST_200600_302600_NS6detail15normal_iteratorINSA_7pointerIsNSA_11hip_rocprim3tagENSA_11use_defaultESG_EEEEPS6_SJ_NS0_5tupleIJPsSJ_EEENSK_IJSJ_SJ_EEES6_PlJ7is_evenIsEEEE10hipError_tPvRmT3_T4_T5_T6_T7_T9_mT8_P12ihipStream_tbDpT10_ENKUlT_T0_E_clISt17integral_constantIbLb0EES1A_EEDaS15_S16_EUlS15_E_NS1_11comp_targetILNS1_3genE0ELNS1_11target_archE4294967295ELNS1_3gpuE0ELNS1_3repE0EEENS1_30default_config_static_selectorELNS0_4arch9wavefront6targetE1EEEvT1_
	.globl	_ZN7rocprim17ROCPRIM_400000_NS6detail17trampoline_kernelINS0_14default_configENS1_25partition_config_selectorILNS1_17partition_subalgoE3EsNS0_10empty_typeEbEEZZNS1_14partition_implILS5_3ELb0ES3_jN6thrust23THRUST_200600_302600_NS6detail15normal_iteratorINSA_7pointerIsNSA_11hip_rocprim3tagENSA_11use_defaultESG_EEEEPS6_SJ_NS0_5tupleIJPsSJ_EEENSK_IJSJ_SJ_EEES6_PlJ7is_evenIsEEEE10hipError_tPvRmT3_T4_T5_T6_T7_T9_mT8_P12ihipStream_tbDpT10_ENKUlT_T0_E_clISt17integral_constantIbLb0EES1A_EEDaS15_S16_EUlS15_E_NS1_11comp_targetILNS1_3genE0ELNS1_11target_archE4294967295ELNS1_3gpuE0ELNS1_3repE0EEENS1_30default_config_static_selectorELNS0_4arch9wavefront6targetE1EEEvT1_
	.p2align	8
	.type	_ZN7rocprim17ROCPRIM_400000_NS6detail17trampoline_kernelINS0_14default_configENS1_25partition_config_selectorILNS1_17partition_subalgoE3EsNS0_10empty_typeEbEEZZNS1_14partition_implILS5_3ELb0ES3_jN6thrust23THRUST_200600_302600_NS6detail15normal_iteratorINSA_7pointerIsNSA_11hip_rocprim3tagENSA_11use_defaultESG_EEEEPS6_SJ_NS0_5tupleIJPsSJ_EEENSK_IJSJ_SJ_EEES6_PlJ7is_evenIsEEEE10hipError_tPvRmT3_T4_T5_T6_T7_T9_mT8_P12ihipStream_tbDpT10_ENKUlT_T0_E_clISt17integral_constantIbLb0EES1A_EEDaS15_S16_EUlS15_E_NS1_11comp_targetILNS1_3genE0ELNS1_11target_archE4294967295ELNS1_3gpuE0ELNS1_3repE0EEENS1_30default_config_static_selectorELNS0_4arch9wavefront6targetE1EEEvT1_,@function
_ZN7rocprim17ROCPRIM_400000_NS6detail17trampoline_kernelINS0_14default_configENS1_25partition_config_selectorILNS1_17partition_subalgoE3EsNS0_10empty_typeEbEEZZNS1_14partition_implILS5_3ELb0ES3_jN6thrust23THRUST_200600_302600_NS6detail15normal_iteratorINSA_7pointerIsNSA_11hip_rocprim3tagENSA_11use_defaultESG_EEEEPS6_SJ_NS0_5tupleIJPsSJ_EEENSK_IJSJ_SJ_EEES6_PlJ7is_evenIsEEEE10hipError_tPvRmT3_T4_T5_T6_T7_T9_mT8_P12ihipStream_tbDpT10_ENKUlT_T0_E_clISt17integral_constantIbLb0EES1A_EEDaS15_S16_EUlS15_E_NS1_11comp_targetILNS1_3genE0ELNS1_11target_archE4294967295ELNS1_3gpuE0ELNS1_3repE0EEENS1_30default_config_static_selectorELNS0_4arch9wavefront6targetE1EEEvT1_: ; @_ZN7rocprim17ROCPRIM_400000_NS6detail17trampoline_kernelINS0_14default_configENS1_25partition_config_selectorILNS1_17partition_subalgoE3EsNS0_10empty_typeEbEEZZNS1_14partition_implILS5_3ELb0ES3_jN6thrust23THRUST_200600_302600_NS6detail15normal_iteratorINSA_7pointerIsNSA_11hip_rocprim3tagENSA_11use_defaultESG_EEEEPS6_SJ_NS0_5tupleIJPsSJ_EEENSK_IJSJ_SJ_EEES6_PlJ7is_evenIsEEEE10hipError_tPvRmT3_T4_T5_T6_T7_T9_mT8_P12ihipStream_tbDpT10_ENKUlT_T0_E_clISt17integral_constantIbLb0EES1A_EEDaS15_S16_EUlS15_E_NS1_11comp_targetILNS1_3genE0ELNS1_11target_archE4294967295ELNS1_3gpuE0ELNS1_3repE0EEENS1_30default_config_static_selectorELNS0_4arch9wavefront6targetE1EEEvT1_
; %bb.0:
	.section	.rodata,"a",@progbits
	.p2align	6, 0x0
	.amdhsa_kernel _ZN7rocprim17ROCPRIM_400000_NS6detail17trampoline_kernelINS0_14default_configENS1_25partition_config_selectorILNS1_17partition_subalgoE3EsNS0_10empty_typeEbEEZZNS1_14partition_implILS5_3ELb0ES3_jN6thrust23THRUST_200600_302600_NS6detail15normal_iteratorINSA_7pointerIsNSA_11hip_rocprim3tagENSA_11use_defaultESG_EEEEPS6_SJ_NS0_5tupleIJPsSJ_EEENSK_IJSJ_SJ_EEES6_PlJ7is_evenIsEEEE10hipError_tPvRmT3_T4_T5_T6_T7_T9_mT8_P12ihipStream_tbDpT10_ENKUlT_T0_E_clISt17integral_constantIbLb0EES1A_EEDaS15_S16_EUlS15_E_NS1_11comp_targetILNS1_3genE0ELNS1_11target_archE4294967295ELNS1_3gpuE0ELNS1_3repE0EEENS1_30default_config_static_selectorELNS0_4arch9wavefront6targetE1EEEvT1_
		.amdhsa_group_segment_fixed_size 0
		.amdhsa_private_segment_fixed_size 0
		.amdhsa_kernarg_size 120
		.amdhsa_user_sgpr_count 2
		.amdhsa_user_sgpr_dispatch_ptr 0
		.amdhsa_user_sgpr_queue_ptr 0
		.amdhsa_user_sgpr_kernarg_segment_ptr 1
		.amdhsa_user_sgpr_dispatch_id 0
		.amdhsa_user_sgpr_kernarg_preload_length 0
		.amdhsa_user_sgpr_kernarg_preload_offset 0
		.amdhsa_user_sgpr_private_segment_size 0
		.amdhsa_uses_dynamic_stack 0
		.amdhsa_enable_private_segment 0
		.amdhsa_system_sgpr_workgroup_id_x 1
		.amdhsa_system_sgpr_workgroup_id_y 0
		.amdhsa_system_sgpr_workgroup_id_z 0
		.amdhsa_system_sgpr_workgroup_info 0
		.amdhsa_system_vgpr_workitem_id 0
		.amdhsa_next_free_vgpr 1
		.amdhsa_next_free_sgpr 0
		.amdhsa_accum_offset 4
		.amdhsa_reserve_vcc 0
		.amdhsa_float_round_mode_32 0
		.amdhsa_float_round_mode_16_64 0
		.amdhsa_float_denorm_mode_32 3
		.amdhsa_float_denorm_mode_16_64 3
		.amdhsa_dx10_clamp 1
		.amdhsa_ieee_mode 1
		.amdhsa_fp16_overflow 0
		.amdhsa_tg_split 0
		.amdhsa_exception_fp_ieee_invalid_op 0
		.amdhsa_exception_fp_denorm_src 0
		.amdhsa_exception_fp_ieee_div_zero 0
		.amdhsa_exception_fp_ieee_overflow 0
		.amdhsa_exception_fp_ieee_underflow 0
		.amdhsa_exception_fp_ieee_inexact 0
		.amdhsa_exception_int_div_zero 0
	.end_amdhsa_kernel
	.section	.text._ZN7rocprim17ROCPRIM_400000_NS6detail17trampoline_kernelINS0_14default_configENS1_25partition_config_selectorILNS1_17partition_subalgoE3EsNS0_10empty_typeEbEEZZNS1_14partition_implILS5_3ELb0ES3_jN6thrust23THRUST_200600_302600_NS6detail15normal_iteratorINSA_7pointerIsNSA_11hip_rocprim3tagENSA_11use_defaultESG_EEEEPS6_SJ_NS0_5tupleIJPsSJ_EEENSK_IJSJ_SJ_EEES6_PlJ7is_evenIsEEEE10hipError_tPvRmT3_T4_T5_T6_T7_T9_mT8_P12ihipStream_tbDpT10_ENKUlT_T0_E_clISt17integral_constantIbLb0EES1A_EEDaS15_S16_EUlS15_E_NS1_11comp_targetILNS1_3genE0ELNS1_11target_archE4294967295ELNS1_3gpuE0ELNS1_3repE0EEENS1_30default_config_static_selectorELNS0_4arch9wavefront6targetE1EEEvT1_,"axG",@progbits,_ZN7rocprim17ROCPRIM_400000_NS6detail17trampoline_kernelINS0_14default_configENS1_25partition_config_selectorILNS1_17partition_subalgoE3EsNS0_10empty_typeEbEEZZNS1_14partition_implILS5_3ELb0ES3_jN6thrust23THRUST_200600_302600_NS6detail15normal_iteratorINSA_7pointerIsNSA_11hip_rocprim3tagENSA_11use_defaultESG_EEEEPS6_SJ_NS0_5tupleIJPsSJ_EEENSK_IJSJ_SJ_EEES6_PlJ7is_evenIsEEEE10hipError_tPvRmT3_T4_T5_T6_T7_T9_mT8_P12ihipStream_tbDpT10_ENKUlT_T0_E_clISt17integral_constantIbLb0EES1A_EEDaS15_S16_EUlS15_E_NS1_11comp_targetILNS1_3genE0ELNS1_11target_archE4294967295ELNS1_3gpuE0ELNS1_3repE0EEENS1_30default_config_static_selectorELNS0_4arch9wavefront6targetE1EEEvT1_,comdat
.Lfunc_end140:
	.size	_ZN7rocprim17ROCPRIM_400000_NS6detail17trampoline_kernelINS0_14default_configENS1_25partition_config_selectorILNS1_17partition_subalgoE3EsNS0_10empty_typeEbEEZZNS1_14partition_implILS5_3ELb0ES3_jN6thrust23THRUST_200600_302600_NS6detail15normal_iteratorINSA_7pointerIsNSA_11hip_rocprim3tagENSA_11use_defaultESG_EEEEPS6_SJ_NS0_5tupleIJPsSJ_EEENSK_IJSJ_SJ_EEES6_PlJ7is_evenIsEEEE10hipError_tPvRmT3_T4_T5_T6_T7_T9_mT8_P12ihipStream_tbDpT10_ENKUlT_T0_E_clISt17integral_constantIbLb0EES1A_EEDaS15_S16_EUlS15_E_NS1_11comp_targetILNS1_3genE0ELNS1_11target_archE4294967295ELNS1_3gpuE0ELNS1_3repE0EEENS1_30default_config_static_selectorELNS0_4arch9wavefront6targetE1EEEvT1_, .Lfunc_end140-_ZN7rocprim17ROCPRIM_400000_NS6detail17trampoline_kernelINS0_14default_configENS1_25partition_config_selectorILNS1_17partition_subalgoE3EsNS0_10empty_typeEbEEZZNS1_14partition_implILS5_3ELb0ES3_jN6thrust23THRUST_200600_302600_NS6detail15normal_iteratorINSA_7pointerIsNSA_11hip_rocprim3tagENSA_11use_defaultESG_EEEEPS6_SJ_NS0_5tupleIJPsSJ_EEENSK_IJSJ_SJ_EEES6_PlJ7is_evenIsEEEE10hipError_tPvRmT3_T4_T5_T6_T7_T9_mT8_P12ihipStream_tbDpT10_ENKUlT_T0_E_clISt17integral_constantIbLb0EES1A_EEDaS15_S16_EUlS15_E_NS1_11comp_targetILNS1_3genE0ELNS1_11target_archE4294967295ELNS1_3gpuE0ELNS1_3repE0EEENS1_30default_config_static_selectorELNS0_4arch9wavefront6targetE1EEEvT1_
                                        ; -- End function
	.section	.AMDGPU.csdata,"",@progbits
; Kernel info:
; codeLenInByte = 0
; NumSgprs: 6
; NumVgprs: 0
; NumAgprs: 0
; TotalNumVgprs: 0
; ScratchSize: 0
; MemoryBound: 0
; FloatMode: 240
; IeeeMode: 1
; LDSByteSize: 0 bytes/workgroup (compile time only)
; SGPRBlocks: 0
; VGPRBlocks: 0
; NumSGPRsForWavesPerEU: 6
; NumVGPRsForWavesPerEU: 1
; AccumOffset: 4
; Occupancy: 8
; WaveLimiterHint : 0
; COMPUTE_PGM_RSRC2:SCRATCH_EN: 0
; COMPUTE_PGM_RSRC2:USER_SGPR: 2
; COMPUTE_PGM_RSRC2:TRAP_HANDLER: 0
; COMPUTE_PGM_RSRC2:TGID_X_EN: 1
; COMPUTE_PGM_RSRC2:TGID_Y_EN: 0
; COMPUTE_PGM_RSRC2:TGID_Z_EN: 0
; COMPUTE_PGM_RSRC2:TIDIG_COMP_CNT: 0
; COMPUTE_PGM_RSRC3_GFX90A:ACCUM_OFFSET: 0
; COMPUTE_PGM_RSRC3_GFX90A:TG_SPLIT: 0
	.section	.text._ZN7rocprim17ROCPRIM_400000_NS6detail17trampoline_kernelINS0_14default_configENS1_25partition_config_selectorILNS1_17partition_subalgoE3EsNS0_10empty_typeEbEEZZNS1_14partition_implILS5_3ELb0ES3_jN6thrust23THRUST_200600_302600_NS6detail15normal_iteratorINSA_7pointerIsNSA_11hip_rocprim3tagENSA_11use_defaultESG_EEEEPS6_SJ_NS0_5tupleIJPsSJ_EEENSK_IJSJ_SJ_EEES6_PlJ7is_evenIsEEEE10hipError_tPvRmT3_T4_T5_T6_T7_T9_mT8_P12ihipStream_tbDpT10_ENKUlT_T0_E_clISt17integral_constantIbLb0EES1A_EEDaS15_S16_EUlS15_E_NS1_11comp_targetILNS1_3genE5ELNS1_11target_archE942ELNS1_3gpuE9ELNS1_3repE0EEENS1_30default_config_static_selectorELNS0_4arch9wavefront6targetE1EEEvT1_,"axG",@progbits,_ZN7rocprim17ROCPRIM_400000_NS6detail17trampoline_kernelINS0_14default_configENS1_25partition_config_selectorILNS1_17partition_subalgoE3EsNS0_10empty_typeEbEEZZNS1_14partition_implILS5_3ELb0ES3_jN6thrust23THRUST_200600_302600_NS6detail15normal_iteratorINSA_7pointerIsNSA_11hip_rocprim3tagENSA_11use_defaultESG_EEEEPS6_SJ_NS0_5tupleIJPsSJ_EEENSK_IJSJ_SJ_EEES6_PlJ7is_evenIsEEEE10hipError_tPvRmT3_T4_T5_T6_T7_T9_mT8_P12ihipStream_tbDpT10_ENKUlT_T0_E_clISt17integral_constantIbLb0EES1A_EEDaS15_S16_EUlS15_E_NS1_11comp_targetILNS1_3genE5ELNS1_11target_archE942ELNS1_3gpuE9ELNS1_3repE0EEENS1_30default_config_static_selectorELNS0_4arch9wavefront6targetE1EEEvT1_,comdat
	.protected	_ZN7rocprim17ROCPRIM_400000_NS6detail17trampoline_kernelINS0_14default_configENS1_25partition_config_selectorILNS1_17partition_subalgoE3EsNS0_10empty_typeEbEEZZNS1_14partition_implILS5_3ELb0ES3_jN6thrust23THRUST_200600_302600_NS6detail15normal_iteratorINSA_7pointerIsNSA_11hip_rocprim3tagENSA_11use_defaultESG_EEEEPS6_SJ_NS0_5tupleIJPsSJ_EEENSK_IJSJ_SJ_EEES6_PlJ7is_evenIsEEEE10hipError_tPvRmT3_T4_T5_T6_T7_T9_mT8_P12ihipStream_tbDpT10_ENKUlT_T0_E_clISt17integral_constantIbLb0EES1A_EEDaS15_S16_EUlS15_E_NS1_11comp_targetILNS1_3genE5ELNS1_11target_archE942ELNS1_3gpuE9ELNS1_3repE0EEENS1_30default_config_static_selectorELNS0_4arch9wavefront6targetE1EEEvT1_ ; -- Begin function _ZN7rocprim17ROCPRIM_400000_NS6detail17trampoline_kernelINS0_14default_configENS1_25partition_config_selectorILNS1_17partition_subalgoE3EsNS0_10empty_typeEbEEZZNS1_14partition_implILS5_3ELb0ES3_jN6thrust23THRUST_200600_302600_NS6detail15normal_iteratorINSA_7pointerIsNSA_11hip_rocprim3tagENSA_11use_defaultESG_EEEEPS6_SJ_NS0_5tupleIJPsSJ_EEENSK_IJSJ_SJ_EEES6_PlJ7is_evenIsEEEE10hipError_tPvRmT3_T4_T5_T6_T7_T9_mT8_P12ihipStream_tbDpT10_ENKUlT_T0_E_clISt17integral_constantIbLb0EES1A_EEDaS15_S16_EUlS15_E_NS1_11comp_targetILNS1_3genE5ELNS1_11target_archE942ELNS1_3gpuE9ELNS1_3repE0EEENS1_30default_config_static_selectorELNS0_4arch9wavefront6targetE1EEEvT1_
	.globl	_ZN7rocprim17ROCPRIM_400000_NS6detail17trampoline_kernelINS0_14default_configENS1_25partition_config_selectorILNS1_17partition_subalgoE3EsNS0_10empty_typeEbEEZZNS1_14partition_implILS5_3ELb0ES3_jN6thrust23THRUST_200600_302600_NS6detail15normal_iteratorINSA_7pointerIsNSA_11hip_rocprim3tagENSA_11use_defaultESG_EEEEPS6_SJ_NS0_5tupleIJPsSJ_EEENSK_IJSJ_SJ_EEES6_PlJ7is_evenIsEEEE10hipError_tPvRmT3_T4_T5_T6_T7_T9_mT8_P12ihipStream_tbDpT10_ENKUlT_T0_E_clISt17integral_constantIbLb0EES1A_EEDaS15_S16_EUlS15_E_NS1_11comp_targetILNS1_3genE5ELNS1_11target_archE942ELNS1_3gpuE9ELNS1_3repE0EEENS1_30default_config_static_selectorELNS0_4arch9wavefront6targetE1EEEvT1_
	.p2align	8
	.type	_ZN7rocprim17ROCPRIM_400000_NS6detail17trampoline_kernelINS0_14default_configENS1_25partition_config_selectorILNS1_17partition_subalgoE3EsNS0_10empty_typeEbEEZZNS1_14partition_implILS5_3ELb0ES3_jN6thrust23THRUST_200600_302600_NS6detail15normal_iteratorINSA_7pointerIsNSA_11hip_rocprim3tagENSA_11use_defaultESG_EEEEPS6_SJ_NS0_5tupleIJPsSJ_EEENSK_IJSJ_SJ_EEES6_PlJ7is_evenIsEEEE10hipError_tPvRmT3_T4_T5_T6_T7_T9_mT8_P12ihipStream_tbDpT10_ENKUlT_T0_E_clISt17integral_constantIbLb0EES1A_EEDaS15_S16_EUlS15_E_NS1_11comp_targetILNS1_3genE5ELNS1_11target_archE942ELNS1_3gpuE9ELNS1_3repE0EEENS1_30default_config_static_selectorELNS0_4arch9wavefront6targetE1EEEvT1_,@function
_ZN7rocprim17ROCPRIM_400000_NS6detail17trampoline_kernelINS0_14default_configENS1_25partition_config_selectorILNS1_17partition_subalgoE3EsNS0_10empty_typeEbEEZZNS1_14partition_implILS5_3ELb0ES3_jN6thrust23THRUST_200600_302600_NS6detail15normal_iteratorINSA_7pointerIsNSA_11hip_rocprim3tagENSA_11use_defaultESG_EEEEPS6_SJ_NS0_5tupleIJPsSJ_EEENSK_IJSJ_SJ_EEES6_PlJ7is_evenIsEEEE10hipError_tPvRmT3_T4_T5_T6_T7_T9_mT8_P12ihipStream_tbDpT10_ENKUlT_T0_E_clISt17integral_constantIbLb0EES1A_EEDaS15_S16_EUlS15_E_NS1_11comp_targetILNS1_3genE5ELNS1_11target_archE942ELNS1_3gpuE9ELNS1_3repE0EEENS1_30default_config_static_selectorELNS0_4arch9wavefront6targetE1EEEvT1_: ; @_ZN7rocprim17ROCPRIM_400000_NS6detail17trampoline_kernelINS0_14default_configENS1_25partition_config_selectorILNS1_17partition_subalgoE3EsNS0_10empty_typeEbEEZZNS1_14partition_implILS5_3ELb0ES3_jN6thrust23THRUST_200600_302600_NS6detail15normal_iteratorINSA_7pointerIsNSA_11hip_rocprim3tagENSA_11use_defaultESG_EEEEPS6_SJ_NS0_5tupleIJPsSJ_EEENSK_IJSJ_SJ_EEES6_PlJ7is_evenIsEEEE10hipError_tPvRmT3_T4_T5_T6_T7_T9_mT8_P12ihipStream_tbDpT10_ENKUlT_T0_E_clISt17integral_constantIbLb0EES1A_EEDaS15_S16_EUlS15_E_NS1_11comp_targetILNS1_3genE5ELNS1_11target_archE942ELNS1_3gpuE9ELNS1_3repE0EEENS1_30default_config_static_selectorELNS0_4arch9wavefront6targetE1EEEvT1_
; %bb.0:
	s_load_dwordx4 s[20:23], s[0:1], 0x8
	s_load_dwordx4 s[24:27], s[0:1], 0x48
	s_load_dwordx2 s[28:29], s[0:1], 0x58
	s_load_dword s3, s[0:1], 0x70
	s_mul_i32 s30, s2, 0x3c00
	s_waitcnt lgkmcnt(0)
	s_lshl_b64 s[4:5], s[22:23], 1
	s_add_u32 s8, s20, s4
	s_addc_u32 s9, s21, s5
	s_add_i32 s6, s3, -1
	s_mulk_i32 s3, 0x3c00
	s_add_i32 s4, s3, s22
	s_sub_i32 s33, s28, s4
	s_addk_i32 s33, 0x3c00
	s_add_u32 s4, s22, s3
	s_addc_u32 s5, s23, 0
	s_cmp_eq_u32 s2, s6
	s_load_dwordx2 s[34:35], s[26:27], 0x0
	v_mov_b64_e32 v[2:3], s[28:29]
	s_cselect_b64 s[26:27], -1, 0
	s_cmp_lg_u32 s2, s6
	s_mov_b32 s31, 0
	v_cmp_lt_u64_e32 vcc, s[4:5], v[2:3]
	s_cselect_b64 s[4:5], -1, 0
	s_or_b64 s[6:7], s[4:5], vcc
	s_lshl_b64 s[4:5], s[30:31], 1
	s_add_u32 s8, s8, s4
	s_addc_u32 s9, s9, s5
	s_mov_b64 s[4:5], -1
	s_and_b64 vcc, exec, s[6:7]
	v_lshlrev_b32_e32 v4, 1, v0
	s_cbranch_vccz .LBB141_2
; %bb.1:
	v_mov_b32_e32 v5, 0
	v_lshl_add_u64 v[2:3], s[8:9], 0, v[4:5]
	v_add_co_u32_e32 v6, vcc, 0x1000, v2
	s_mov_b64 s[4:5], 0
	s_nop 0
	v_addc_co_u32_e32 v7, vcc, 0, v3, vcc
	flat_load_ushort v1, v[2:3]
	flat_load_ushort v5, v[2:3] offset:1024
	flat_load_ushort v10, v[2:3] offset:2048
	flat_load_ushort v11, v[2:3] offset:3072
	flat_load_ushort v12, v[6:7]
	flat_load_ushort v13, v[6:7] offset:1024
	flat_load_ushort v14, v[6:7] offset:2048
	flat_load_ushort v15, v[6:7] offset:3072
	v_add_co_u32_e32 v6, vcc, 0x2000, v2
	s_nop 1
	v_addc_co_u32_e32 v7, vcc, 0, v3, vcc
	v_add_co_u32_e32 v8, vcc, 0x3000, v2
	s_nop 1
	v_addc_co_u32_e32 v9, vcc, 0, v3, vcc
	flat_load_ushort v16, v[6:7]
	flat_load_ushort v17, v[6:7] offset:1024
	flat_load_ushort v18, v[6:7] offset:2048
	flat_load_ushort v19, v[6:7] offset:3072
	flat_load_ushort v20, v[8:9]
	flat_load_ushort v21, v[8:9] offset:1024
	flat_load_ushort v22, v[8:9] offset:2048
	flat_load_ushort v23, v[8:9] offset:3072
	v_add_co_u32_e32 v6, vcc, 0x4000, v2
	s_nop 1
	v_addc_co_u32_e32 v7, vcc, 0, v3, vcc
	v_add_co_u32_e32 v8, vcc, 0x5000, v2
	s_nop 1
	v_addc_co_u32_e32 v9, vcc, 0, v3, vcc
	flat_load_ushort v24, v[6:7]
	flat_load_ushort v25, v[6:7] offset:1024
	flat_load_ushort v26, v[6:7] offset:2048
	flat_load_ushort v27, v[6:7] offset:3072
	flat_load_ushort v28, v[8:9]
	flat_load_ushort v29, v[8:9] offset:1024
	flat_load_ushort v30, v[8:9] offset:2048
	flat_load_ushort v31, v[8:9] offset:3072
	v_add_co_u32_e32 v6, vcc, 0x6000, v2
	s_nop 1
	v_addc_co_u32_e32 v7, vcc, 0, v3, vcc
	v_add_co_u32_e32 v2, vcc, 0x7000, v2
	s_nop 1
	v_addc_co_u32_e32 v3, vcc, 0, v3, vcc
	flat_load_ushort v8, v[6:7]
	flat_load_ushort v9, v[6:7] offset:1024
	flat_load_ushort v32, v[6:7] offset:2048
	;; [unrolled: 1-line block ×3, first 2 shown]
	flat_load_ushort v34, v[2:3]
	flat_load_ushort v35, v[2:3] offset:1024
	s_waitcnt vmcnt(0) lgkmcnt(0)
	ds_write_b16 v4, v1
	ds_write_b16 v4, v5 offset:1024
	ds_write_b16 v4, v10 offset:2048
	;; [unrolled: 1-line block ×29, first 2 shown]
	s_waitcnt lgkmcnt(0)
	s_barrier
.LBB141_2:
	s_andn2_b64 vcc, exec, s[4:5]
	v_cmp_gt_u32_e64 s[4:5], s33, v0
	s_cbranch_vccnz .LBB141_64
; %bb.3:
                                        ; implicit-def: $vgpr1
	s_and_saveexec_b64 s[10:11], s[4:5]
	s_cbranch_execz .LBB141_5
; %bb.4:
	v_mov_b32_e32 v5, 0
	v_lshl_add_u64 v[2:3], s[8:9], 0, v[4:5]
	flat_load_ushort v1, v[2:3]
.LBB141_5:
	s_or_b64 exec, exec, s[10:11]
	v_or_b32_e32 v2, 0x200, v0
	v_cmp_gt_u32_e32 vcc, s33, v2
                                        ; implicit-def: $vgpr2
	s_and_saveexec_b64 s[4:5], vcc
	s_cbranch_execz .LBB141_7
; %bb.6:
	v_mov_b32_e32 v5, 0
	v_lshl_add_u64 v[2:3], s[8:9], 0, v[4:5]
	flat_load_ushort v2, v[2:3] offset:1024
.LBB141_7:
	s_or_b64 exec, exec, s[4:5]
	v_or_b32_e32 v3, 0x400, v0
	v_cmp_gt_u32_e32 vcc, s33, v3
                                        ; implicit-def: $vgpr3
	s_and_saveexec_b64 s[4:5], vcc
	s_cbranch_execz .LBB141_9
; %bb.8:
	v_mov_b32_e32 v5, 0
	v_lshl_add_u64 v[6:7], s[8:9], 0, v[4:5]
	flat_load_ushort v3, v[6:7] offset:2048
.LBB141_9:
	s_or_b64 exec, exec, s[4:5]
	v_or_b32_e32 v5, 0x600, v0
	v_cmp_gt_u32_e32 vcc, s33, v5
                                        ; implicit-def: $vgpr5
	s_and_saveexec_b64 s[4:5], vcc
	s_cbranch_execz .LBB141_11
; %bb.10:
	v_mov_b32_e32 v5, 0
	v_lshl_add_u64 v[6:7], s[8:9], 0, v[4:5]
	flat_load_ushort v5, v[6:7] offset:3072
.LBB141_11:
	s_or_b64 exec, exec, s[4:5]
	v_or_b32_e32 v7, 0x800, v0
	v_cmp_gt_u32_e32 vcc, s33, v7
                                        ; implicit-def: $vgpr6
	s_and_saveexec_b64 s[4:5], vcc
	s_cbranch_execz .LBB141_13
; %bb.12:
	v_lshlrev_b32_e32 v6, 1, v7
	v_mov_b32_e32 v7, 0
	v_lshl_add_u64 v[6:7], s[8:9], 0, v[6:7]
	flat_load_ushort v6, v[6:7]
.LBB141_13:
	s_or_b64 exec, exec, s[4:5]
	v_or_b32_e32 v8, 0xa00, v0
	v_cmp_gt_u32_e32 vcc, s33, v8
                                        ; implicit-def: $vgpr7
	s_and_saveexec_b64 s[4:5], vcc
	s_cbranch_execz .LBB141_15
; %bb.14:
	v_lshlrev_b32_e32 v8, 1, v8
	v_mov_b32_e32 v9, 0
	v_lshl_add_u64 v[8:9], s[8:9], 0, v[8:9]
	flat_load_ushort v7, v[8:9]
.LBB141_15:
	s_or_b64 exec, exec, s[4:5]
	v_or_b32_e32 v9, 0xc00, v0
	v_cmp_gt_u32_e32 vcc, s33, v9
                                        ; implicit-def: $vgpr8
	s_and_saveexec_b64 s[4:5], vcc
	s_cbranch_execz .LBB141_17
; %bb.16:
	v_lshlrev_b32_e32 v8, 1, v9
	v_mov_b32_e32 v9, 0
	v_lshl_add_u64 v[8:9], s[8:9], 0, v[8:9]
	flat_load_ushort v8, v[8:9]
.LBB141_17:
	s_or_b64 exec, exec, s[4:5]
	v_or_b32_e32 v10, 0xe00, v0
	v_cmp_gt_u32_e32 vcc, s33, v10
                                        ; implicit-def: $vgpr9
	s_and_saveexec_b64 s[4:5], vcc
	s_cbranch_execz .LBB141_19
; %bb.18:
	v_lshlrev_b32_e32 v10, 1, v10
	v_mov_b32_e32 v11, 0
	v_lshl_add_u64 v[10:11], s[8:9], 0, v[10:11]
	flat_load_ushort v9, v[10:11]
.LBB141_19:
	s_or_b64 exec, exec, s[4:5]
	v_or_b32_e32 v11, 0x1000, v0
	v_cmp_gt_u32_e32 vcc, s33, v11
                                        ; implicit-def: $vgpr10
	s_and_saveexec_b64 s[4:5], vcc
	s_cbranch_execz .LBB141_21
; %bb.20:
	v_lshlrev_b32_e32 v10, 1, v11
	v_mov_b32_e32 v11, 0
	v_lshl_add_u64 v[10:11], s[8:9], 0, v[10:11]
	flat_load_ushort v10, v[10:11]
.LBB141_21:
	s_or_b64 exec, exec, s[4:5]
	v_or_b32_e32 v12, 0x1200, v0
	v_cmp_gt_u32_e32 vcc, s33, v12
                                        ; implicit-def: $vgpr11
	s_and_saveexec_b64 s[4:5], vcc
	s_cbranch_execz .LBB141_23
; %bb.22:
	v_lshlrev_b32_e32 v12, 1, v12
	v_mov_b32_e32 v13, 0
	v_lshl_add_u64 v[12:13], s[8:9], 0, v[12:13]
	flat_load_ushort v11, v[12:13]
.LBB141_23:
	s_or_b64 exec, exec, s[4:5]
	v_or_b32_e32 v13, 0x1400, v0
	v_cmp_gt_u32_e32 vcc, s33, v13
                                        ; implicit-def: $vgpr12
	s_and_saveexec_b64 s[4:5], vcc
	s_cbranch_execz .LBB141_25
; %bb.24:
	v_lshlrev_b32_e32 v12, 1, v13
	v_mov_b32_e32 v13, 0
	v_lshl_add_u64 v[12:13], s[8:9], 0, v[12:13]
	flat_load_ushort v12, v[12:13]
.LBB141_25:
	s_or_b64 exec, exec, s[4:5]
	v_or_b32_e32 v14, 0x1600, v0
	v_cmp_gt_u32_e32 vcc, s33, v14
                                        ; implicit-def: $vgpr13
	s_and_saveexec_b64 s[4:5], vcc
	s_cbranch_execz .LBB141_27
; %bb.26:
	v_lshlrev_b32_e32 v14, 1, v14
	v_mov_b32_e32 v15, 0
	v_lshl_add_u64 v[14:15], s[8:9], 0, v[14:15]
	flat_load_ushort v13, v[14:15]
.LBB141_27:
	s_or_b64 exec, exec, s[4:5]
	v_or_b32_e32 v15, 0x1800, v0
	v_cmp_gt_u32_e32 vcc, s33, v15
                                        ; implicit-def: $vgpr14
	s_and_saveexec_b64 s[4:5], vcc
	s_cbranch_execz .LBB141_29
; %bb.28:
	v_lshlrev_b32_e32 v14, 1, v15
	v_mov_b32_e32 v15, 0
	v_lshl_add_u64 v[14:15], s[8:9], 0, v[14:15]
	flat_load_ushort v14, v[14:15]
.LBB141_29:
	s_or_b64 exec, exec, s[4:5]
	v_or_b32_e32 v16, 0x1a00, v0
	v_cmp_gt_u32_e32 vcc, s33, v16
                                        ; implicit-def: $vgpr15
	s_and_saveexec_b64 s[4:5], vcc
	s_cbranch_execz .LBB141_31
; %bb.30:
	v_lshlrev_b32_e32 v16, 1, v16
	v_mov_b32_e32 v17, 0
	v_lshl_add_u64 v[16:17], s[8:9], 0, v[16:17]
	flat_load_ushort v15, v[16:17]
.LBB141_31:
	s_or_b64 exec, exec, s[4:5]
	v_or_b32_e32 v17, 0x1c00, v0
	v_cmp_gt_u32_e32 vcc, s33, v17
                                        ; implicit-def: $vgpr16
	s_and_saveexec_b64 s[4:5], vcc
	s_cbranch_execz .LBB141_33
; %bb.32:
	v_lshlrev_b32_e32 v16, 1, v17
	v_mov_b32_e32 v17, 0
	v_lshl_add_u64 v[16:17], s[8:9], 0, v[16:17]
	flat_load_ushort v16, v[16:17]
.LBB141_33:
	s_or_b64 exec, exec, s[4:5]
	v_or_b32_e32 v18, 0x1e00, v0
	v_cmp_gt_u32_e32 vcc, s33, v18
                                        ; implicit-def: $vgpr17
	s_and_saveexec_b64 s[4:5], vcc
	s_cbranch_execz .LBB141_35
; %bb.34:
	v_lshlrev_b32_e32 v18, 1, v18
	v_mov_b32_e32 v19, 0
	v_lshl_add_u64 v[18:19], s[8:9], 0, v[18:19]
	flat_load_ushort v17, v[18:19]
.LBB141_35:
	s_or_b64 exec, exec, s[4:5]
	v_or_b32_e32 v19, 0x2000, v0
	v_cmp_gt_u32_e32 vcc, s33, v19
                                        ; implicit-def: $vgpr18
	s_and_saveexec_b64 s[4:5], vcc
	s_cbranch_execz .LBB141_37
; %bb.36:
	v_lshlrev_b32_e32 v18, 1, v19
	v_mov_b32_e32 v19, 0
	v_lshl_add_u64 v[18:19], s[8:9], 0, v[18:19]
	flat_load_ushort v18, v[18:19]
.LBB141_37:
	s_or_b64 exec, exec, s[4:5]
	v_or_b32_e32 v20, 0x2200, v0
	v_cmp_gt_u32_e32 vcc, s33, v20
                                        ; implicit-def: $vgpr19
	s_and_saveexec_b64 s[4:5], vcc
	s_cbranch_execz .LBB141_39
; %bb.38:
	v_lshlrev_b32_e32 v20, 1, v20
	v_mov_b32_e32 v21, 0
	v_lshl_add_u64 v[20:21], s[8:9], 0, v[20:21]
	flat_load_ushort v19, v[20:21]
.LBB141_39:
	s_or_b64 exec, exec, s[4:5]
	v_or_b32_e32 v21, 0x2400, v0
	v_cmp_gt_u32_e32 vcc, s33, v21
                                        ; implicit-def: $vgpr20
	s_and_saveexec_b64 s[4:5], vcc
	s_cbranch_execz .LBB141_41
; %bb.40:
	v_lshlrev_b32_e32 v20, 1, v21
	v_mov_b32_e32 v21, 0
	v_lshl_add_u64 v[20:21], s[8:9], 0, v[20:21]
	flat_load_ushort v20, v[20:21]
.LBB141_41:
	s_or_b64 exec, exec, s[4:5]
	v_or_b32_e32 v22, 0x2600, v0
	v_cmp_gt_u32_e32 vcc, s33, v22
                                        ; implicit-def: $vgpr21
	s_and_saveexec_b64 s[4:5], vcc
	s_cbranch_execz .LBB141_43
; %bb.42:
	v_lshlrev_b32_e32 v22, 1, v22
	v_mov_b32_e32 v23, 0
	v_lshl_add_u64 v[22:23], s[8:9], 0, v[22:23]
	flat_load_ushort v21, v[22:23]
.LBB141_43:
	s_or_b64 exec, exec, s[4:5]
	v_or_b32_e32 v23, 0x2800, v0
	v_cmp_gt_u32_e32 vcc, s33, v23
                                        ; implicit-def: $vgpr22
	s_and_saveexec_b64 s[4:5], vcc
	s_cbranch_execz .LBB141_45
; %bb.44:
	v_lshlrev_b32_e32 v22, 1, v23
	v_mov_b32_e32 v23, 0
	v_lshl_add_u64 v[22:23], s[8:9], 0, v[22:23]
	flat_load_ushort v22, v[22:23]
.LBB141_45:
	s_or_b64 exec, exec, s[4:5]
	v_or_b32_e32 v24, 0x2a00, v0
	v_cmp_gt_u32_e32 vcc, s33, v24
                                        ; implicit-def: $vgpr23
	s_and_saveexec_b64 s[4:5], vcc
	s_cbranch_execz .LBB141_47
; %bb.46:
	v_lshlrev_b32_e32 v24, 1, v24
	v_mov_b32_e32 v25, 0
	v_lshl_add_u64 v[24:25], s[8:9], 0, v[24:25]
	flat_load_ushort v23, v[24:25]
.LBB141_47:
	s_or_b64 exec, exec, s[4:5]
	v_or_b32_e32 v25, 0x2c00, v0
	v_cmp_gt_u32_e32 vcc, s33, v25
                                        ; implicit-def: $vgpr24
	s_and_saveexec_b64 s[4:5], vcc
	s_cbranch_execz .LBB141_49
; %bb.48:
	v_lshlrev_b32_e32 v24, 1, v25
	v_mov_b32_e32 v25, 0
	v_lshl_add_u64 v[24:25], s[8:9], 0, v[24:25]
	flat_load_ushort v24, v[24:25]
.LBB141_49:
	s_or_b64 exec, exec, s[4:5]
	v_or_b32_e32 v26, 0x2e00, v0
	v_cmp_gt_u32_e32 vcc, s33, v26
                                        ; implicit-def: $vgpr25
	s_and_saveexec_b64 s[4:5], vcc
	s_cbranch_execz .LBB141_51
; %bb.50:
	v_lshlrev_b32_e32 v26, 1, v26
	v_mov_b32_e32 v27, 0
	v_lshl_add_u64 v[26:27], s[8:9], 0, v[26:27]
	flat_load_ushort v25, v[26:27]
.LBB141_51:
	s_or_b64 exec, exec, s[4:5]
	v_or_b32_e32 v27, 0x3000, v0
	v_cmp_gt_u32_e32 vcc, s33, v27
                                        ; implicit-def: $vgpr26
	s_and_saveexec_b64 s[4:5], vcc
	s_cbranch_execz .LBB141_53
; %bb.52:
	v_lshlrev_b32_e32 v26, 1, v27
	v_mov_b32_e32 v27, 0
	v_lshl_add_u64 v[26:27], s[8:9], 0, v[26:27]
	flat_load_ushort v26, v[26:27]
.LBB141_53:
	s_or_b64 exec, exec, s[4:5]
	v_or_b32_e32 v28, 0x3200, v0
	v_cmp_gt_u32_e32 vcc, s33, v28
                                        ; implicit-def: $vgpr27
	s_and_saveexec_b64 s[4:5], vcc
	s_cbranch_execz .LBB141_55
; %bb.54:
	v_lshlrev_b32_e32 v28, 1, v28
	v_mov_b32_e32 v29, 0
	v_lshl_add_u64 v[28:29], s[8:9], 0, v[28:29]
	flat_load_ushort v27, v[28:29]
.LBB141_55:
	s_or_b64 exec, exec, s[4:5]
	v_or_b32_e32 v29, 0x3400, v0
	v_cmp_gt_u32_e32 vcc, s33, v29
                                        ; implicit-def: $vgpr28
	s_and_saveexec_b64 s[4:5], vcc
	s_cbranch_execz .LBB141_57
; %bb.56:
	v_lshlrev_b32_e32 v28, 1, v29
	v_mov_b32_e32 v29, 0
	v_lshl_add_u64 v[28:29], s[8:9], 0, v[28:29]
	flat_load_ushort v28, v[28:29]
.LBB141_57:
	s_or_b64 exec, exec, s[4:5]
	v_or_b32_e32 v30, 0x3600, v0
	v_cmp_gt_u32_e32 vcc, s33, v30
                                        ; implicit-def: $vgpr29
	s_and_saveexec_b64 s[4:5], vcc
	s_cbranch_execz .LBB141_59
; %bb.58:
	v_lshlrev_b32_e32 v30, 1, v30
	v_mov_b32_e32 v31, 0
	v_lshl_add_u64 v[30:31], s[8:9], 0, v[30:31]
	flat_load_ushort v29, v[30:31]
.LBB141_59:
	s_or_b64 exec, exec, s[4:5]
	v_or_b32_e32 v31, 0x3800, v0
	v_cmp_gt_u32_e32 vcc, s33, v31
                                        ; implicit-def: $vgpr30
	s_and_saveexec_b64 s[4:5], vcc
	s_cbranch_execz .LBB141_61
; %bb.60:
	v_lshlrev_b32_e32 v30, 1, v31
	v_mov_b32_e32 v31, 0
	v_lshl_add_u64 v[30:31], s[8:9], 0, v[30:31]
	flat_load_ushort v30, v[30:31]
.LBB141_61:
	s_or_b64 exec, exec, s[4:5]
	v_or_b32_e32 v32, 0x3a00, v0
	v_cmp_gt_u32_e32 vcc, s33, v32
                                        ; implicit-def: $vgpr31
	s_and_saveexec_b64 s[4:5], vcc
	s_cbranch_execz .LBB141_63
; %bb.62:
	v_lshlrev_b32_e32 v32, 1, v32
	v_mov_b32_e32 v33, 0
	v_lshl_add_u64 v[32:33], s[8:9], 0, v[32:33]
	flat_load_ushort v31, v[32:33]
.LBB141_63:
	s_or_b64 exec, exec, s[4:5]
	s_waitcnt vmcnt(0) lgkmcnt(0)
	ds_write_b16 v4, v1
	ds_write_b16 v4, v2 offset:1024
	ds_write_b16 v4, v3 offset:2048
	;; [unrolled: 1-line block ×29, first 2 shown]
	s_waitcnt lgkmcnt(0)
	s_barrier
.LBB141_64:
	v_mul_u32_u24_e32 v40, 30, v0
	v_lshlrev_b32_e32 v2, 1, v40
	s_waitcnt lgkmcnt(0)
	ds_read_b32 v5, v2 offset:56
	ds_read2_b32 v[6:7], v2 offset0:12 offset1:13
	ds_read2_b32 v[8:9], v2 offset0:10 offset1:11
	;; [unrolled: 1-line block ×3, first 2 shown]
	ds_read2_b32 v[18:19], v2 offset1:1
	ds_read2_b32 v[16:17], v2 offset0:2 offset1:3
	ds_read2_b32 v[14:15], v2 offset0:4 offset1:5
	;; [unrolled: 1-line block ×3, first 2 shown]
	s_waitcnt lgkmcnt(7)
	v_lshrrev_b32_e32 v1, 16, v5
	s_waitcnt lgkmcnt(6)
	v_lshrrev_b32_e32 v29, 16, v6
	v_lshrrev_b32_e32 v28, 16, v7
	s_waitcnt lgkmcnt(5)
	v_lshrrev_b32_e32 v31, 16, v8
	;; [unrolled: 3-line block ×6, first 2 shown]
	v_lshrrev_b32_e32 v34, 16, v13
	v_lshrrev_b32_e32 v33, 16, v10
	;; [unrolled: 1-line block ×3, first 2 shown]
	v_cndmask_b32_e64 v2, 0, 1, s[6:7]
	v_cmp_ne_u32_e64 s[20:21], 1, v2
	s_andn2_b64 vcc, exec, s[6:7]
	v_xor_b32_e32 v92, -1, v18
	v_xor_b32_e32 v91, -1, v42
	;; [unrolled: 1-line block ×30, first 2 shown]
	s_barrier
	s_cbranch_vccnz .LBB141_66
; %bb.65:
	v_and_b32_e32 v73, 1, v92
	v_and_b32_e32 v72, 1, v91
	;; [unrolled: 1-line block ×30, first 2 shown]
	s_load_dwordx2 s[36:37], s[0:1], 0x68
	s_cbranch_execz .LBB141_67
	s_branch .LBB141_68
.LBB141_66:
                                        ; implicit-def: $vgpr73
                                        ; implicit-def: $vgpr72
                                        ; implicit-def: $vgpr71
                                        ; implicit-def: $vgpr70
                                        ; implicit-def: $vgpr69
                                        ; implicit-def: $vgpr68
                                        ; implicit-def: $vgpr67
                                        ; implicit-def: $vgpr65
                                        ; implicit-def: $vgpr64
                                        ; implicit-def: $vgpr63
                                        ; implicit-def: $vgpr62
                                        ; implicit-def: $vgpr61
                                        ; implicit-def: $vgpr60
                                        ; implicit-def: $vgpr59
                                        ; implicit-def: $vgpr58
                                        ; implicit-def: $vgpr57
                                        ; implicit-def: $vgpr56
                                        ; implicit-def: $vgpr55
                                        ; implicit-def: $vgpr54
                                        ; implicit-def: $vgpr53
                                        ; implicit-def: $vgpr52
                                        ; implicit-def: $vgpr51
                                        ; implicit-def: $vgpr50
                                        ; implicit-def: $vgpr49
                                        ; implicit-def: $vgpr48
                                        ; implicit-def: $vgpr47
                                        ; implicit-def: $vgpr46
                                        ; implicit-def: $vgpr45
                                        ; implicit-def: $vgpr43
                                        ; implicit-def: $vgpr44
	s_load_dwordx2 s[36:37], s[0:1], 0x68
.LBB141_67:
	v_or_b32_e32 v52, 1, v40
	v_cmp_gt_u32_e32 vcc, s33, v40
	v_add_u32_e32 v53, 2, v40
	v_add_u32_e32 v54, 3, v40
	v_cndmask_b32_e64 v62, 0, 1, vcc
	v_cmp_gt_u32_e32 vcc, s33, v52
	v_add_u32_e32 v55, 4, v40
	v_add_u32_e32 v56, 5, v40
	v_cndmask_b32_e64 v52, 0, 1, vcc
	v_cmp_gt_u32_e32 vcc, s33, v53
	v_and_b32_e32 v72, v52, v91
	v_add_u32_e32 v57, 6, v40
	v_cndmask_b32_e64 v52, 0, 1, vcc
	v_cmp_gt_u32_e32 vcc, s33, v54
	v_and_b32_e32 v71, v52, v90
	;; [unrolled: 4-line block ×9, first 2 shown]
	v_and_b32_e32 v73, v62, v92
	v_cndmask_b32_e64 v52, 0, 1, vcc
	v_cmp_gt_u32_e32 vcc, s33, v93
	v_and_b32_e32 v62, v52, v82
	v_add_u32_e32 v96, 14, v40
	v_cndmask_b32_e64 v52, 0, 1, vcc
	v_cmp_gt_u32_e32 vcc, s33, v94
	v_and_b32_e32 v61, v52, v81
	v_add_u32_e32 v97, 15, v40
	;; [unrolled: 4-line block ×16, first 2 shown]
	v_cndmask_b32_e64 v22, 0, 1, vcc
	v_cmp_gt_u32_e32 vcc, s33, v45
	v_and_b32_e32 v46, v22, v21
	s_nop 0
	v_cndmask_b32_e64 v21, 0, 1, vcc
	v_cmp_gt_u32_e32 vcc, s33, v43
	v_and_b32_e32 v45, v21, v20
	s_nop 0
	;; [unrolled: 4-line block ×3, first 2 shown]
	v_cndmask_b32_e64 v3, 0, 1, vcc
	v_and_b32_e32 v44, v3, v2
.LBB141_68:
	v_and_b32_e32 v100, 0xff, v46
	v_and_b32_e32 v101, 0xff, v45
	v_add_u32_sdwa v2, v43, v44 dst_sel:DWORD dst_unused:UNUSED_PAD src0_sel:BYTE_0 src1_sel:BYTE_0
	v_and_b32_e32 v98, 0xff, v48
	v_and_b32_e32 v99, 0xff, v47
	v_add3_u32 v2, v2, v101, v100
	v_and_b32_e32 v96, 0xff, v50
	v_and_b32_e32 v97, 0xff, v49
	v_add3_u32 v2, v2, v99, v98
	;; [unrolled: 3-line block ×13, first 2 shown]
	v_add3_u32 v104, v2, v75, v74
	v_mbcnt_lo_u32_b32 v2, -1, 0
	v_mbcnt_hi_u32_b32 v102, -1, v2
	v_and_b32_e32 v2, 15, v102
	v_cmp_eq_u32_e64 s[16:17], 0, v2
	v_cmp_lt_u32_e64 s[14:15], 1, v2
	v_cmp_lt_u32_e64 s[12:13], 3, v2
	;; [unrolled: 1-line block ×3, first 2 shown]
	v_and_b32_e32 v2, 16, v102
	v_cmp_eq_u32_e64 s[8:9], 0, v2
	v_or_b32_e32 v2, 63, v0
	s_cmp_lg_u32 s2, 0
	v_cmp_lt_u32_e64 s[4:5], 31, v102
	v_lshrrev_b32_e32 v103, 6, v0
	v_cmp_eq_u32_e64 s[6:7], v2, v0
	s_cbranch_scc0 .LBB141_95
; %bb.69:
	v_mov_b32_dpp v2, v104 row_shr:1 row_mask:0xf bank_mask:0xf
	v_cndmask_b32_e64 v2, v2, 0, s[16:17]
	v_add_u32_e32 v2, v2, v104
	s_nop 1
	v_mov_b32_dpp v3, v2 row_shr:2 row_mask:0xf bank_mask:0xf
	v_cndmask_b32_e64 v3, 0, v3, s[14:15]
	v_add_u32_e32 v2, v2, v3
	s_nop 1
	v_mov_b32_dpp v3, v2 row_shr:4 row_mask:0xf bank_mask:0xf
	v_cndmask_b32_e64 v3, 0, v3, s[12:13]
	v_add_u32_e32 v2, v2, v3
	s_nop 1
	v_mov_b32_dpp v3, v2 row_shr:8 row_mask:0xf bank_mask:0xf
	v_cndmask_b32_e64 v3, 0, v3, s[10:11]
	v_add_u32_e32 v2, v2, v3
	s_nop 1
	v_mov_b32_dpp v3, v2 row_bcast:15 row_mask:0xf bank_mask:0xf
	v_cndmask_b32_e64 v3, v3, 0, s[8:9]
	v_add_u32_e32 v2, v2, v3
	s_nop 1
	v_mov_b32_dpp v3, v2 row_bcast:31 row_mask:0xf bank_mask:0xf
	v_cndmask_b32_e64 v3, 0, v3, s[4:5]
	v_add_u32_e32 v2, v2, v3
	s_and_saveexec_b64 s[18:19], s[6:7]
	s_cbranch_execz .LBB141_71
; %bb.70:
	v_lshlrev_b32_e32 v3, 2, v103
	ds_write_b32 v3, v2
.LBB141_71:
	s_or_b64 exec, exec, s[18:19]
	v_cmp_gt_u32_e32 vcc, 8, v0
	s_waitcnt lgkmcnt(0)
	s_barrier
	s_and_saveexec_b64 s[18:19], vcc
	s_cbranch_execz .LBB141_73
; %bb.72:
	v_lshlrev_b32_e32 v3, 2, v0
	ds_read_b32 v20, v3
	v_and_b32_e32 v21, 7, v102
	v_cmp_ne_u32_e32 vcc, 0, v21
	s_waitcnt lgkmcnt(0)
	v_mov_b32_dpp v22, v20 row_shr:1 row_mask:0xf bank_mask:0xf
	v_cndmask_b32_e32 v22, 0, v22, vcc
	v_add_u32_e32 v20, v22, v20
	v_cmp_lt_u32_e32 vcc, 1, v21
	s_nop 0
	v_mov_b32_dpp v22, v20 row_shr:2 row_mask:0xf bank_mask:0xf
	v_cndmask_b32_e32 v22, 0, v22, vcc
	v_add_u32_e32 v20, v20, v22
	v_cmp_lt_u32_e32 vcc, 3, v21
	s_nop 0
	v_mov_b32_dpp v22, v20 row_shr:4 row_mask:0xf bank_mask:0xf
	v_cndmask_b32_e32 v21, 0, v22, vcc
	v_add_u32_e32 v20, v20, v21
	ds_write_b32 v3, v20
.LBB141_73:
	s_or_b64 exec, exec, s[18:19]
	v_cmp_gt_u32_e32 vcc, 64, v0
	v_cmp_lt_u32_e64 s[18:19], 63, v0
	s_waitcnt lgkmcnt(0)
	s_barrier
	s_waitcnt lgkmcnt(0)
                                        ; implicit-def: $vgpr66
	s_and_saveexec_b64 s[38:39], s[18:19]
	s_cbranch_execz .LBB141_75
; %bb.74:
	v_lshl_add_u32 v3, v103, 2, -4
	ds_read_b32 v66, v3
	s_waitcnt lgkmcnt(0)
	v_add_u32_e32 v2, v66, v2
.LBB141_75:
	s_or_b64 exec, exec, s[38:39]
	v_add_u32_e32 v3, -1, v102
	v_and_b32_e32 v20, 64, v102
	v_cmp_lt_i32_e64 s[18:19], v3, v20
	s_nop 1
	v_cndmask_b32_e64 v3, v3, v102, s[18:19]
	v_lshlrev_b32_e32 v3, 2, v3
	ds_bpermute_b32 v105, v3, v2
	v_cmp_eq_u32_e64 s[18:19], 0, v102
	s_and_saveexec_b64 s[38:39], vcc
	s_cbranch_execz .LBB141_94
; %bb.76:
	v_mov_b32_e32 v25, 0
	ds_read_b32 v2, v25 offset:28
	s_and_saveexec_b64 s[40:41], s[18:19]
	s_cbranch_execz .LBB141_78
; %bb.77:
	s_add_i32 s42, s2, 64
	s_mov_b32 s43, 0
	s_lshl_b64 s[42:43], s[42:43], 3
	s_add_u32 s42, s36, s42
	v_mov_b32_e32 v3, 1
	s_addc_u32 s43, s37, s43
	s_waitcnt lgkmcnt(0)
	global_store_dwordx2 v25, v[2:3], s[42:43] sc1
.LBB141_78:
	s_or_b64 exec, exec, s[40:41]
	v_xad_u32 v20, v102, -1, s2
	v_add_u32_e32 v24, 64, v20
	v_lshl_add_u64 v[26:27], v[24:25], 3, s[36:37]
	global_load_dwordx2 v[22:23], v[26:27], off sc1
	s_waitcnt vmcnt(0)
	v_cmp_eq_u16_sdwa s[42:43], v23, v25 src0_sel:BYTE_0 src1_sel:DWORD
	s_and_saveexec_b64 s[40:41], s[42:43]
	s_cbranch_execz .LBB141_82
; %bb.79:
	s_mov_b64 s[42:43], 0
	v_mov_b32_e32 v3, 0
.LBB141_80:                             ; =>This Inner Loop Header: Depth=1
	global_load_dwordx2 v[22:23], v[26:27], off sc1
	s_waitcnt vmcnt(0)
	v_cmp_ne_u16_sdwa s[44:45], v23, v3 src0_sel:BYTE_0 src1_sel:DWORD
	s_or_b64 s[42:43], s[44:45], s[42:43]
	s_andn2_b64 exec, exec, s[42:43]
	s_cbranch_execnz .LBB141_80
; %bb.81:
	s_or_b64 exec, exec, s[42:43]
.LBB141_82:
	s_or_b64 exec, exec, s[40:41]
	v_and_b32_e32 v107, 63, v102
	v_mov_b32_e32 v106, 2
	v_cmp_ne_u32_e32 vcc, 63, v107
	v_cmp_eq_u16_sdwa s[40:41], v23, v106 src0_sel:BYTE_0 src1_sel:DWORD
	v_lshlrev_b64 v[24:25], v102, -1
	v_addc_co_u32_e32 v26, vcc, 0, v102, vcc
	v_and_b32_e32 v3, s41, v25
	v_lshlrev_b32_e32 v108, 2, v26
	v_or_b32_e32 v3, 0x80000000, v3
	ds_bpermute_b32 v26, v108, v22
	v_and_b32_e32 v21, s40, v24
	v_ffbl_b32_e32 v3, v3
	v_add_u32_e32 v3, 32, v3
	v_ffbl_b32_e32 v21, v21
	v_min_u32_e32 v3, v21, v3
	v_cmp_lt_u32_e32 vcc, v107, v3
	v_add_u32_e32 v110, 2, v107
	v_add_u32_e32 v112, 4, v107
	s_waitcnt lgkmcnt(0)
	v_cndmask_b32_e32 v21, 0, v26, vcc
	v_cmp_gt_u32_e32 vcc, 62, v107
	v_add_u32_e32 v21, v21, v22
	v_add_u32_e32 v114, 8, v107
	v_cndmask_b32_e64 v22, 0, 1, vcc
	v_lshlrev_b32_e32 v22, 1, v22
	v_add_lshl_u32 v109, v22, v102, 2
	ds_bpermute_b32 v22, v109, v21
	v_cmp_le_u32_e32 vcc, v110, v3
	v_add_u32_e32 v116, 16, v107
	v_add_u32_e32 v118, 32, v107
	s_waitcnt lgkmcnt(0)
	v_cndmask_b32_e32 v22, 0, v22, vcc
	v_cmp_gt_u32_e32 vcc, 60, v107
	v_add_u32_e32 v21, v21, v22
	s_nop 0
	v_cndmask_b32_e64 v22, 0, 1, vcc
	v_lshlrev_b32_e32 v22, 2, v22
	v_add_lshl_u32 v111, v22, v102, 2
	ds_bpermute_b32 v22, v111, v21
	v_cmp_le_u32_e32 vcc, v112, v3
	s_waitcnt lgkmcnt(0)
	s_nop 0
	v_cndmask_b32_e32 v22, 0, v22, vcc
	v_cmp_gt_u32_e32 vcc, 56, v107
	v_add_u32_e32 v21, v21, v22
	s_nop 0
	v_cndmask_b32_e64 v22, 0, 1, vcc
	v_lshlrev_b32_e32 v22, 3, v22
	v_add_lshl_u32 v113, v22, v102, 2
	ds_bpermute_b32 v22, v113, v21
	v_cmp_le_u32_e32 vcc, v114, v3
	s_waitcnt lgkmcnt(0)
	s_nop 0
	;; [unrolled: 11-line block ×4, first 2 shown]
	v_cndmask_b32_e32 v3, 0, v22, vcc
	v_add_u32_e32 v22, v21, v3
	v_mov_b32_e32 v21, 0
	s_branch .LBB141_84
.LBB141_83:                             ;   in Loop: Header=BB141_84 Depth=1
	s_or_b64 exec, exec, s[40:41]
	v_cmp_eq_u16_sdwa s[40:41], v23, v106 src0_sel:BYTE_0 src1_sel:DWORD
	ds_bpermute_b32 v119, v108, v22
	v_subrev_u32_e32 v20, 64, v20
	v_and_b32_e32 v26, s41, v25
	v_or_b32_e32 v26, 0x80000000, v26
	v_and_b32_e32 v27, s40, v24
	v_ffbl_b32_e32 v26, v26
	v_add_u32_e32 v26, 32, v26
	v_ffbl_b32_e32 v27, v27
	v_min_u32_e32 v26, v27, v26
	v_cmp_lt_u32_e32 vcc, v107, v26
	s_waitcnt lgkmcnt(0)
	s_nop 0
	v_cndmask_b32_e32 v27, 0, v119, vcc
	v_add_u32_e32 v22, v27, v22
	ds_bpermute_b32 v27, v109, v22
	v_cmp_le_u32_e32 vcc, v110, v26
	s_waitcnt lgkmcnt(0)
	s_nop 0
	v_cndmask_b32_e32 v27, 0, v27, vcc
	v_add_u32_e32 v22, v22, v27
	ds_bpermute_b32 v27, v111, v22
	v_cmp_le_u32_e32 vcc, v112, v26
	;; [unrolled: 6-line block ×5, first 2 shown]
	s_waitcnt lgkmcnt(0)
	s_nop 0
	v_cndmask_b32_e32 v26, 0, v27, vcc
	v_add3_u32 v22, v26, v3, v22
.LBB141_84:                             ; =>This Loop Header: Depth=1
                                        ;     Child Loop BB141_87 Depth 2
	v_cmp_ne_u16_sdwa s[40:41], v23, v106 src0_sel:BYTE_0 src1_sel:DWORD
	s_nop 1
	v_cndmask_b32_e64 v3, 0, 1, s[40:41]
	;;#ASMSTART
	;;#ASMEND
	s_nop 0
	v_cmp_ne_u32_e32 vcc, 0, v3
	s_cmp_lg_u64 vcc, exec
	v_mov_b32_e32 v3, v22
	s_cbranch_scc1 .LBB141_89
; %bb.85:                               ;   in Loop: Header=BB141_84 Depth=1
	v_lshl_add_u64 v[26:27], v[20:21], 3, s[36:37]
	global_load_dwordx2 v[22:23], v[26:27], off sc1
	s_waitcnt vmcnt(0)
	v_cmp_eq_u16_sdwa s[42:43], v23, v21 src0_sel:BYTE_0 src1_sel:DWORD
	s_and_saveexec_b64 s[40:41], s[42:43]
	s_cbranch_execz .LBB141_83
; %bb.86:                               ;   in Loop: Header=BB141_84 Depth=1
	s_mov_b64 s[42:43], 0
.LBB141_87:                             ;   Parent Loop BB141_84 Depth=1
                                        ; =>  This Inner Loop Header: Depth=2
	global_load_dwordx2 v[22:23], v[26:27], off sc1
	s_waitcnt vmcnt(0)
	v_cmp_ne_u16_sdwa s[44:45], v23, v21 src0_sel:BYTE_0 src1_sel:DWORD
	s_or_b64 s[42:43], s[44:45], s[42:43]
	s_andn2_b64 exec, exec, s[42:43]
	s_cbranch_execnz .LBB141_87
; %bb.88:                               ;   in Loop: Header=BB141_84 Depth=1
	s_or_b64 exec, exec, s[42:43]
	s_branch .LBB141_83
.LBB141_89:                             ;   in Loop: Header=BB141_84 Depth=1
                                        ; implicit-def: $vgpr22
                                        ; implicit-def: $vgpr23
	s_cbranch_execz .LBB141_84
; %bb.90:
	s_and_saveexec_b64 s[40:41], s[18:19]
	s_cbranch_execz .LBB141_92
; %bb.91:
	s_add_i32 s2, s2, 64
	s_mov_b32 s3, 0
	s_lshl_b64 s[2:3], s[2:3], 3
	s_add_u32 s2, s36, s2
	v_add_u32_e32 v20, v3, v2
	v_mov_b32_e32 v21, 2
	s_addc_u32 s3, s37, s3
	v_mov_b32_e32 v22, 0
	global_store_dwordx2 v22, v[20:21], s[2:3] sc1
	ds_write_b64 v22, v[2:3] offset:30720
.LBB141_92:
	s_or_b64 exec, exec, s[40:41]
	v_cmp_eq_u32_e32 vcc, 0, v0
	s_and_b64 exec, exec, vcc
	s_cbranch_execz .LBB141_94
; %bb.93:
	v_mov_b32_e32 v2, 0
	ds_write_b32 v2, v3 offset:28
.LBB141_94:
	s_or_b64 exec, exec, s[38:39]
	v_mov_b32_e32 v2, 0
	s_waitcnt lgkmcnt(0)
	s_barrier
	ds_read_b32 v21, v2 offset:28
	s_waitcnt lgkmcnt(0)
	s_barrier
	ds_read_b64 v[2:3], v2 offset:30720
	v_cndmask_b32_e64 v20, v105, v66, s[18:19]
	v_cmp_ne_u32_e32 vcc, 0, v0
	s_waitcnt lgkmcnt(0)
	v_mov_b32_e32 v66, v3
	v_cndmask_b32_e32 v20, 0, v20, vcc
	v_add_u32_e32 v20, v21, v20
	s_load_dwordx2 s[2:3], s[0:1], 0x28
	s_branch .LBB141_105
.LBB141_95:
                                        ; implicit-def: $vgpr66
                                        ; implicit-def: $vgpr2
                                        ; implicit-def: $vgpr20
	s_load_dwordx2 s[2:3], s[0:1], 0x28
	s_cbranch_execz .LBB141_105
; %bb.96:
	v_mov_b32_dpp v2, v104 row_shr:1 row_mask:0xf bank_mask:0xf
	v_cndmask_b32_e64 v2, v2, 0, s[16:17]
	v_add_u32_e32 v2, v2, v104
	s_nop 1
	v_mov_b32_dpp v3, v2 row_shr:2 row_mask:0xf bank_mask:0xf
	v_cndmask_b32_e64 v3, 0, v3, s[14:15]
	v_add_u32_e32 v2, v2, v3
	s_nop 1
	;; [unrolled: 4-line block ×4, first 2 shown]
	v_mov_b32_dpp v3, v2 row_bcast:15 row_mask:0xf bank_mask:0xf
	v_cndmask_b32_e64 v3, v3, 0, s[8:9]
	v_add_u32_e32 v2, v2, v3
	s_nop 1
	v_mov_b32_dpp v3, v2 row_bcast:31 row_mask:0xf bank_mask:0xf
	v_cndmask_b32_e64 v3, 0, v3, s[4:5]
	v_add_u32_e32 v2, v2, v3
	s_and_saveexec_b64 s[0:1], s[6:7]
	s_cbranch_execz .LBB141_98
; %bb.97:
	v_lshlrev_b32_e32 v3, 2, v103
	ds_write_b32 v3, v2
.LBB141_98:
	s_or_b64 exec, exec, s[0:1]
	v_cmp_gt_u32_e32 vcc, 8, v0
	s_waitcnt lgkmcnt(0)
	s_barrier
	s_and_saveexec_b64 s[0:1], vcc
	s_cbranch_execz .LBB141_100
; %bb.99:
	v_lshlrev_b32_e32 v3, 2, v0
	ds_read_b32 v20, v3
	v_and_b32_e32 v21, 7, v102
	v_cmp_ne_u32_e32 vcc, 0, v21
	s_waitcnt lgkmcnt(0)
	v_mov_b32_dpp v22, v20 row_shr:1 row_mask:0xf bank_mask:0xf
	v_cndmask_b32_e32 v22, 0, v22, vcc
	v_add_u32_e32 v20, v22, v20
	v_cmp_lt_u32_e32 vcc, 1, v21
	s_nop 0
	v_mov_b32_dpp v22, v20 row_shr:2 row_mask:0xf bank_mask:0xf
	v_cndmask_b32_e32 v22, 0, v22, vcc
	v_add_u32_e32 v20, v20, v22
	v_cmp_lt_u32_e32 vcc, 3, v21
	s_nop 0
	v_mov_b32_dpp v22, v20 row_shr:4 row_mask:0xf bank_mask:0xf
	v_cndmask_b32_e32 v21, 0, v22, vcc
	v_add_u32_e32 v20, v20, v21
	ds_write_b32 v3, v20
.LBB141_100:
	s_or_b64 exec, exec, s[0:1]
	v_cmp_lt_u32_e32 vcc, 63, v0
	v_mov_b32_e32 v3, 0
	v_mov_b32_e32 v20, 0
	s_waitcnt lgkmcnt(0)
	s_barrier
	s_and_saveexec_b64 s[0:1], vcc
	s_cbranch_execz .LBB141_102
; %bb.101:
	v_lshl_add_u32 v20, v103, 2, -4
	ds_read_b32 v20, v20
.LBB141_102:
	s_or_b64 exec, exec, s[0:1]
	v_add_u32_e32 v21, -1, v102
	v_and_b32_e32 v22, 64, v102
	v_cmp_lt_i32_e32 vcc, v21, v22
	s_waitcnt lgkmcnt(0)
	v_add_u32_e32 v2, v20, v2
	v_cndmask_b32_e32 v21, v21, v102, vcc
	v_lshlrev_b32_e32 v21, 2, v21
	ds_bpermute_b32 v21, v21, v2
	ds_read_b32 v2, v3 offset:28
	v_cmp_eq_u32_e32 vcc, 0, v0
	s_and_saveexec_b64 s[0:1], vcc
	s_cbranch_execz .LBB141_104
; %bb.103:
	v_mov_b32_e32 v22, 0
	v_mov_b32_e32 v3, 2
	s_waitcnt lgkmcnt(0)
	global_store_dwordx2 v22, v[2:3], s[36:37] offset:512 sc1
.LBB141_104:
	s_or_b64 exec, exec, s[0:1]
	v_cmp_eq_u32_e64 s[0:1], 0, v102
	v_mov_b32_e32 v66, 0
	s_waitcnt lgkmcnt(0)
	v_cndmask_b32_e64 v3, v21, v20, s[0:1]
	v_cndmask_b32_e64 v20, v3, 0, vcc
	s_barrier
.LBB141_105:
	v_add_u32_e32 v3, v20, v74
	v_add_u32_e32 v21, v3, v75
	;; [unrolled: 1-line block ×21, first 2 shown]
	v_sub_u32_e32 v20, v20, v66
	v_and_b32_e32 v73, 1, v73
	v_add_u32_e32 v86, v85, v94
	v_sub_u32_e32 v94, v40, v20
	v_cmp_eq_u32_e32 vcc, 1, v73
	v_sub_u32_e32 v3, v3, v66
	v_add_u32_e32 v87, v86, v95
	v_cndmask_b32_e32 v20, v94, v20, vcc
	v_lshlrev_b32_e32 v20, 1, v20
	ds_write_b16 v20, v18
	v_sub_u32_e32 v18, v40, v3
	v_and_b32_e32 v20, 1, v72
	v_add_u32_e32 v18, 1, v18
	v_cmp_eq_u32_e32 vcc, 1, v20
	v_and_b32_e32 v20, 1, v71
	v_add_u32_e32 v88, v87, v96
	v_cndmask_b32_e32 v3, v18, v3, vcc
	v_lshlrev_b32_e32 v3, 1, v3
	ds_write_b16 v3, v42
	v_sub_u32_e32 v3, v21, v66
	v_sub_u32_e32 v18, v40, v3
	v_add_u32_e32 v18, 2, v18
	v_cmp_eq_u32_e32 vcc, 1, v20
	v_add_u32_e32 v89, v88, v97
	v_add_u32_e32 v90, v89, v98
	v_cndmask_b32_e32 v3, v18, v3, vcc
	v_lshlrev_b32_e32 v3, 1, v3
	ds_write_b16 v3, v19
	v_sub_u32_e32 v3, v22, v66
	v_sub_u32_e32 v18, v40, v3
	v_and_b32_e32 v19, 1, v70
	v_add_u32_e32 v18, 3, v18
	v_cmp_eq_u32_e32 vcc, 1, v19
	v_and_b32_e32 v19, 1, v69
	v_add_u32_e32 v91, v90, v99
	v_cndmask_b32_e32 v3, v18, v3, vcc
	v_lshlrev_b32_e32 v3, 1, v3
	ds_write_b16 v3, v41
	v_sub_u32_e32 v3, v23, v66
	v_sub_u32_e32 v18, v40, v3
	v_add_u32_e32 v18, 4, v18
	v_cmp_eq_u32_e32 vcc, 1, v19
	v_add_u32_e32 v92, v91, v100
	v_add_u32_e32 v93, v92, v101
	v_cndmask_b32_e32 v3, v18, v3, vcc
	v_lshlrev_b32_e32 v3, 1, v3
	ds_write_b16 v3, v16
	v_sub_u32_e32 v3, v24, v66
	v_sub_u32_e32 v16, v40, v3
	v_and_b32_e32 v18, 1, v68
	v_add_u32_e32 v16, 5, v16
	v_cmp_eq_u32_e32 vcc, 1, v18
	v_and_b32_e32 v18, 1, v67
	s_add_u32 s0, s22, s30
	v_cndmask_b32_e32 v3, v16, v3, vcc
	v_lshlrev_b32_e32 v3, 1, v3
	ds_write_b16 v3, v39
	v_sub_u32_e32 v3, v25, v66
	v_sub_u32_e32 v16, v40, v3
	v_add_u32_e32 v16, 6, v16
	v_cmp_eq_u32_e32 vcc, 1, v18
	s_addc_u32 s1, s23, 0
	s_sub_u32 s0, s28, s0
	v_cndmask_b32_e32 v3, v16, v3, vcc
	v_lshlrev_b32_e32 v3, 1, v3
	ds_write_b16 v3, v17
	v_sub_u32_e32 v3, v26, v66
	v_sub_u32_e32 v16, v40, v3
	v_and_b32_e32 v17, 1, v65
	v_add_u32_e32 v16, 7, v16
	v_cmp_eq_u32_e32 vcc, 1, v17
	v_and_b32_e32 v17, 1, v64
	s_subb_u32 s1, s29, s1
	v_cndmask_b32_e32 v3, v16, v3, vcc
	v_lshlrev_b32_e32 v3, 1, v3
	ds_write_b16 v3, v38
	v_sub_u32_e32 v3, v27, v66
	v_sub_u32_e32 v16, v40, v3
	v_add_u32_e32 v16, 8, v16
	v_cmp_eq_u32_e32 vcc, 1, v17
	v_or_b32_e32 v64, 0x200, v0
	v_or_b32_e32 v42, 0x1800, v0
	v_cndmask_b32_e32 v3, v16, v3, vcc
	v_lshlrev_b32_e32 v3, 1, v3
	ds_write_b16 v3, v14
	v_sub_u32_e32 v3, v74, v66
	v_sub_u32_e32 v14, v40, v3
	v_and_b32_e32 v16, 1, v63
	v_add_u32_e32 v14, 9, v14
	v_cmp_eq_u32_e32 vcc, 1, v16
	v_and_b32_e32 v16, 1, v62
	v_or_b32_e32 v62, 0x400, v0
	v_cndmask_b32_e32 v3, v14, v3, vcc
	v_lshlrev_b32_e32 v3, 1, v3
	ds_write_b16 v3, v37
	v_sub_u32_e32 v3, v75, v66
	v_sub_u32_e32 v14, v40, v3
	v_add_u32_e32 v14, 10, v14
	v_cmp_eq_u32_e32 vcc, 1, v16
	v_or_b32_e32 v38, 0x1c00, v0
	v_or_b32_e32 v26, 0x2800, v0
	v_cndmask_b32_e32 v3, v14, v3, vcc
	v_lshlrev_b32_e32 v3, 1, v3
	ds_write_b16 v3, v15
	v_sub_u32_e32 v3, v76, v66
	v_sub_u32_e32 v14, v40, v3
	v_and_b32_e32 v15, 1, v61
	v_add_u32_e32 v14, 11, v14
	v_cmp_eq_u32_e32 vcc, 1, v15
	v_and_b32_e32 v15, 1, v60
	v_or_b32_e32 v60, 0x600, v0
	;; [unrolled: 19-line block ×7, first 2 shown]
	v_cndmask_b32_e32 v3, v8, v3, vcc
	v_lshlrev_b32_e32 v3, 1, v3
	ds_write_b16 v3, v31
	v_sub_u32_e32 v3, v87, v66
	v_sub_u32_e32 v8, v40, v3
	v_add_u32_e32 v8, 22, v8
	v_cmp_eq_u32_e32 vcc, 1, v10
	v_or_b32_e32 v10, 0x3800, v0
	s_nop 0
	v_cndmask_b32_e32 v3, v8, v3, vcc
	v_lshlrev_b32_e32 v3, 1, v3
	ds_write_b16 v3, v9
	v_sub_u32_e32 v3, v88, v66
	v_sub_u32_e32 v8, v40, v3
	v_and_b32_e32 v9, 1, v49
	v_add_u32_e32 v8, 23, v8
	v_cmp_eq_u32_e32 vcc, 1, v9
	v_and_b32_e32 v9, 1, v48
	v_or_b32_e32 v48, 0x1200, v0
	v_cndmask_b32_e32 v3, v8, v3, vcc
	v_lshlrev_b32_e32 v3, 1, v3
	ds_write_b16 v3, v30
	v_sub_u32_e32 v3, v89, v66
	v_sub_u32_e32 v8, v40, v3
	v_add_u32_e32 v8, 24, v8
	v_cmp_eq_u32_e32 vcc, 1, v9
	v_or_b32_e32 v30, 0x2400, v0
	s_nop 0
	v_cndmask_b32_e32 v3, v8, v3, vcc
	v_lshlrev_b32_e32 v3, 1, v3
	ds_write_b16 v3, v6
	v_sub_u32_e32 v3, v90, v66
	v_sub_u32_e32 v6, v40, v3
	v_and_b32_e32 v8, 1, v47
	v_add_u32_e32 v6, 25, v6
	v_cmp_eq_u32_e32 vcc, 1, v8
	v_and_b32_e32 v8, 1, v46
	v_or_b32_e32 v46, 0x1400, v0
	v_cndmask_b32_e32 v3, v6, v3, vcc
	v_lshlrev_b32_e32 v3, 1, v3
	ds_write_b16 v3, v29
	v_sub_u32_e32 v3, v91, v66
	v_sub_u32_e32 v6, v40, v3
	v_add_u32_e32 v6, 26, v6
	v_cmp_eq_u32_e32 vcc, 1, v8
	s_nop 1
	v_cndmask_b32_e32 v3, v6, v3, vcc
	v_lshlrev_b32_e32 v3, 1, v3
	ds_write_b16 v3, v7
	v_sub_u32_e32 v3, v92, v66
	v_sub_u32_e32 v6, v40, v3
	v_and_b32_e32 v7, 1, v45
	v_add_u32_e32 v6, 27, v6
	v_cmp_eq_u32_e32 vcc, 1, v7
	v_and_b32_e32 v7, 1, v43
	s_nop 0
	v_cndmask_b32_e32 v3, v6, v3, vcc
	v_lshlrev_b32_e32 v3, 1, v3
	ds_write_b16 v3, v28
	v_sub_u32_e32 v3, v93, v66
	v_sub_u32_e32 v6, v40, v3
	v_add_u32_e32 v6, 28, v6
	v_cmp_eq_u32_e32 vcc, 1, v7
	v_or_b32_e32 v28, 0x2600, v0
	s_nop 0
	v_cndmask_b32_e32 v3, v6, v3, vcc
	v_lshlrev_b32_e32 v3, 1, v3
	ds_write_b16 v3, v5
	v_sub_u32_sdwa v3, v43, v66 dst_sel:DWORD dst_unused:UNUSED_PAD src0_sel:BYTE_0 src1_sel:DWORD
	v_add_u32_e32 v3, v93, v3
	v_sub_u32_e32 v5, v40, v3
	v_and_b32_e32 v6, 1, v44
	v_add_u32_e32 v5, 29, v5
	v_cmp_eq_u32_e32 vcc, 1, v6
	v_or_b32_e32 v44, 0x1600, v0
	v_or_b32_e32 v40, 0x1a00, v0
	v_cndmask_b32_e32 v3, v5, v3, vcc
	v_lshlrev_b32_e32 v3, 1, v3
	ds_write_b16 v3, v1
	s_waitcnt lgkmcnt(0)
	s_barrier
	ds_read_u16 v97, v4
	ds_read_u16 v96, v4 offset:1024
	ds_read_u16 v95, v4 offset:2048
	;; [unrolled: 1-line block ×29, first 2 shown]
	v_mov_b32_e32 v1, 0
	v_mov_b32_e32 v67, v1
	;; [unrolled: 1-line block ×3, first 2 shown]
	v_lshl_add_u64 v[4:5], s[34:35], 0, v[66:67]
	v_lshl_add_u64 v[8:9], s[0:1], 0, v[2:3]
	v_mov_b32_e32 v65, v1
	v_mov_b32_e32 v63, v1
	;; [unrolled: 1-line block ×28, first 2 shown]
	v_or_b32_e32 v6, 0x3a00, v0
	v_mov_b32_e32 v7, v1
	s_and_b64 vcc, exec, s[20:21]
	v_lshl_add_u64 v[8:9], v[8:9], 0, v[4:5]
	s_cbranch_vccnz .LBB141_227
; %bb.106:
	v_cmp_ge_u32_e32 vcc, v0, v2
                                        ; implicit-def: $vgpr66_vgpr67
	s_and_saveexec_b64 s[0:1], vcc
	s_xor_b64 s[0:1], exec, s[0:1]
; %bb.107:
	v_not_b32_e32 v66, v0
	v_ashrrev_i32_e32 v67, 31, v66
	v_lshl_add_u64 v[66:67], v[8:9], 0, v[66:67]
; %bb.108:
	s_andn2_saveexec_b64 s[0:1], s[0:1]
; %bb.109:
	v_lshl_add_u64 v[66:67], v[4:5], 0, v[0:1]
; %bb.110:
	s_or_b64 exec, exec, s[0:1]
	v_lshl_add_u64 v[66:67], v[66:67], 1, s[2:3]
	v_cmp_ge_u32_e32 vcc, v64, v2
	s_waitcnt lgkmcnt(14)
	global_store_short v[66:67], v97, off
                                        ; implicit-def: $vgpr66_vgpr67
	s_and_saveexec_b64 s[0:1], vcc
	s_xor_b64 s[0:1], exec, s[0:1]
; %bb.111:
	v_xor_b32_e32 v66, 0xfffffdff, v0
	v_ashrrev_i32_e32 v67, 31, v66
	v_lshl_add_u64 v[66:67], v[8:9], 0, v[66:67]
; %bb.112:
	s_andn2_saveexec_b64 s[0:1], s[0:1]
; %bb.113:
	v_lshl_add_u64 v[66:67], v[4:5], 0, v[64:65]
; %bb.114:
	s_or_b64 exec, exec, s[0:1]
	v_lshl_add_u64 v[66:67], v[66:67], 1, s[2:3]
	v_cmp_ge_u32_e32 vcc, v62, v2
	global_store_short v[66:67], v96, off
                                        ; implicit-def: $vgpr66_vgpr67
	s_and_saveexec_b64 s[0:1], vcc
	s_xor_b64 s[0:1], exec, s[0:1]
; %bb.115:
	v_xor_b32_e32 v66, 0xfffffbff, v0
	v_ashrrev_i32_e32 v67, 31, v66
	v_lshl_add_u64 v[66:67], v[8:9], 0, v[66:67]
; %bb.116:
	s_andn2_saveexec_b64 s[0:1], s[0:1]
; %bb.117:
	v_lshl_add_u64 v[66:67], v[4:5], 0, v[62:63]
; %bb.118:
	s_or_b64 exec, exec, s[0:1]
	v_lshl_add_u64 v[66:67], v[66:67], 1, s[2:3]
	v_cmp_ge_u32_e32 vcc, v60, v2
	;; [unrolled: 16-line block ×16, first 2 shown]
	s_waitcnt lgkmcnt(13)
	global_store_short v[66:67], v81, off
                                        ; implicit-def: $vgpr66_vgpr67
	s_and_saveexec_b64 s[0:1], vcc
	s_xor_b64 s[0:1], exec, s[0:1]
; %bb.175:
	v_xor_b32_e32 v66, 0xffffddff, v0
	v_ashrrev_i32_e32 v67, 31, v66
	v_lshl_add_u64 v[66:67], v[8:9], 0, v[66:67]
; %bb.176:
	s_andn2_saveexec_b64 s[0:1], s[0:1]
; %bb.177:
	v_lshl_add_u64 v[66:67], v[4:5], 0, v[32:33]
; %bb.178:
	s_or_b64 exec, exec, s[0:1]
	v_lshl_add_u64 v[66:67], v[66:67], 1, s[2:3]
	v_cmp_ge_u32_e32 vcc, v30, v2
	s_waitcnt lgkmcnt(12)
	global_store_short v[66:67], v80, off
                                        ; implicit-def: $vgpr66_vgpr67
	s_and_saveexec_b64 s[0:1], vcc
	s_xor_b64 s[0:1], exec, s[0:1]
; %bb.179:
	v_xor_b32_e32 v66, 0xffffdbff, v0
	v_ashrrev_i32_e32 v67, 31, v66
	v_lshl_add_u64 v[66:67], v[8:9], 0, v[66:67]
; %bb.180:
	s_andn2_saveexec_b64 s[0:1], s[0:1]
; %bb.181:
	v_lshl_add_u64 v[66:67], v[4:5], 0, v[30:31]
; %bb.182:
	s_or_b64 exec, exec, s[0:1]
	v_lshl_add_u64 v[66:67], v[66:67], 1, s[2:3]
	v_cmp_ge_u32_e32 vcc, v28, v2
	;; [unrolled: 17-line block ×12, first 2 shown]
	s_waitcnt lgkmcnt(1)
	global_store_short v[66:67], v69, off
                                        ; implicit-def: $vgpr66_vgpr67
	s_and_saveexec_b64 s[0:1], vcc
	s_xor_b64 s[0:1], exec, s[0:1]
; %bb.223:
	v_xor_b32_e32 v66, 0xffffc5ff, v0
	v_ashrrev_i32_e32 v67, 31, v66
	v_lshl_add_u64 v[66:67], v[8:9], 0, v[66:67]
; %bb.224:
	s_andn2_saveexec_b64 s[0:1], s[0:1]
; %bb.225:
	v_lshl_add_u64 v[66:67], v[4:5], 0, v[6:7]
; %bb.226:
	s_or_b64 exec, exec, s[0:1]
	s_mov_b64 s[0:1], -1
	s_branch .LBB141_409
.LBB141_227:
	s_mov_b64 s[0:1], 0
                                        ; implicit-def: $vgpr66_vgpr67
	s_cbranch_execz .LBB141_409
; %bb.228:
	v_cmp_gt_u32_e32 vcc, s33, v0
	s_and_saveexec_b64 s[4:5], vcc
	s_cbranch_execz .LBB141_314
; %bb.229:
	v_cmp_ge_u32_e32 vcc, v0, v2
                                        ; implicit-def: $vgpr66_vgpr67
	s_and_saveexec_b64 s[6:7], vcc
	s_xor_b64 s[6:7], exec, s[6:7]
; %bb.230:
	v_not_b32_e32 v66, v0
	v_ashrrev_i32_e32 v67, 31, v66
	v_lshl_add_u64 v[66:67], v[8:9], 0, v[66:67]
; %bb.231:
	s_andn2_saveexec_b64 s[6:7], s[6:7]
; %bb.232:
	v_lshl_add_u64 v[66:67], v[4:5], 0, v[0:1]
; %bb.233:
	s_or_b64 exec, exec, s[6:7]
	v_lshl_add_u64 v[66:67], v[66:67], 1, s[2:3]
	s_waitcnt lgkmcnt(14)
	global_store_short v[66:67], v97, off
	s_or_b64 exec, exec, s[4:5]
	v_cmp_gt_u32_e32 vcc, s33, v64
	s_and_saveexec_b64 s[4:5], vcc
	s_cbranch_execnz .LBB141_315
.LBB141_234:
	s_or_b64 exec, exec, s[4:5]
	v_cmp_gt_u32_e32 vcc, s33, v62
	s_and_saveexec_b64 s[4:5], vcc
	s_cbranch_execz .LBB141_320
.LBB141_235:
	v_cmp_ge_u32_e32 vcc, v62, v2
                                        ; implicit-def: $vgpr64_vgpr65
	s_and_saveexec_b64 s[6:7], vcc
	s_xor_b64 s[6:7], exec, s[6:7]
; %bb.236:
	v_xor_b32_e32 v62, 0xfffffbff, v0
	v_ashrrev_i32_e32 v63, 31, v62
	v_lshl_add_u64 v[64:65], v[8:9], 0, v[62:63]
                                        ; implicit-def: $vgpr62_vgpr63
; %bb.237:
	s_andn2_saveexec_b64 s[6:7], s[6:7]
; %bb.238:
	v_lshl_add_u64 v[64:65], v[4:5], 0, v[62:63]
; %bb.239:
	s_or_b64 exec, exec, s[6:7]
	v_lshl_add_u64 v[62:63], v[64:65], 1, s[2:3]
	s_waitcnt lgkmcnt(14)
	global_store_short v[62:63], v95, off
	s_or_b64 exec, exec, s[4:5]
	v_cmp_gt_u32_e32 vcc, s33, v60
	s_and_saveexec_b64 s[4:5], vcc
	s_cbranch_execnz .LBB141_321
.LBB141_240:
	s_or_b64 exec, exec, s[4:5]
	v_cmp_gt_u32_e32 vcc, s33, v58
	s_and_saveexec_b64 s[4:5], vcc
	s_cbranch_execz .LBB141_326
.LBB141_241:
	v_cmp_ge_u32_e32 vcc, v58, v2
                                        ; implicit-def: $vgpr60_vgpr61
	s_and_saveexec_b64 s[6:7], vcc
	s_xor_b64 s[6:7], exec, s[6:7]
; %bb.242:
	v_xor_b32_e32 v58, 0xfffff7ff, v0
	v_ashrrev_i32_e32 v59, 31, v58
	v_lshl_add_u64 v[60:61], v[8:9], 0, v[58:59]
                                        ; implicit-def: $vgpr58_vgpr59
; %bb.243:
	s_andn2_saveexec_b64 s[6:7], s[6:7]
; %bb.244:
	v_lshl_add_u64 v[60:61], v[4:5], 0, v[58:59]
; %bb.245:
	s_or_b64 exec, exec, s[6:7]
	v_lshl_add_u64 v[58:59], v[60:61], 1, s[2:3]
	s_waitcnt lgkmcnt(14)
	global_store_short v[58:59], v93, off
	s_or_b64 exec, exec, s[4:5]
	v_cmp_gt_u32_e32 vcc, s33, v56
	s_and_saveexec_b64 s[4:5], vcc
	s_cbranch_execnz .LBB141_327
.LBB141_246:
	s_or_b64 exec, exec, s[4:5]
	v_cmp_gt_u32_e32 vcc, s33, v54
	s_and_saveexec_b64 s[4:5], vcc
	s_cbranch_execz .LBB141_332
.LBB141_247:
	v_cmp_ge_u32_e32 vcc, v54, v2
                                        ; implicit-def: $vgpr56_vgpr57
	s_and_saveexec_b64 s[6:7], vcc
	s_xor_b64 s[6:7], exec, s[6:7]
; %bb.248:
	v_xor_b32_e32 v54, 0xfffff3ff, v0
	v_ashrrev_i32_e32 v55, 31, v54
	v_lshl_add_u64 v[56:57], v[8:9], 0, v[54:55]
                                        ; implicit-def: $vgpr54_vgpr55
; %bb.249:
	s_andn2_saveexec_b64 s[6:7], s[6:7]
; %bb.250:
	v_lshl_add_u64 v[56:57], v[4:5], 0, v[54:55]
; %bb.251:
	s_or_b64 exec, exec, s[6:7]
	v_lshl_add_u64 v[54:55], v[56:57], 1, s[2:3]
	s_waitcnt lgkmcnt(14)
	global_store_short v[54:55], v91, off
	s_or_b64 exec, exec, s[4:5]
	v_cmp_gt_u32_e32 vcc, s33, v52
	s_and_saveexec_b64 s[4:5], vcc
	s_cbranch_execnz .LBB141_333
.LBB141_252:
	s_or_b64 exec, exec, s[4:5]
	v_cmp_gt_u32_e32 vcc, s33, v50
	s_and_saveexec_b64 s[4:5], vcc
	s_cbranch_execz .LBB141_338
.LBB141_253:
	v_cmp_ge_u32_e32 vcc, v50, v2
                                        ; implicit-def: $vgpr52_vgpr53
	s_and_saveexec_b64 s[6:7], vcc
	s_xor_b64 s[6:7], exec, s[6:7]
; %bb.254:
	v_xor_b32_e32 v50, 0xffffefff, v0
	v_ashrrev_i32_e32 v51, 31, v50
	v_lshl_add_u64 v[52:53], v[8:9], 0, v[50:51]
                                        ; implicit-def: $vgpr50_vgpr51
; %bb.255:
	s_andn2_saveexec_b64 s[6:7], s[6:7]
; %bb.256:
	v_lshl_add_u64 v[52:53], v[4:5], 0, v[50:51]
; %bb.257:
	s_or_b64 exec, exec, s[6:7]
	v_lshl_add_u64 v[50:51], v[52:53], 1, s[2:3]
	s_waitcnt lgkmcnt(14)
	global_store_short v[50:51], v89, off
	s_or_b64 exec, exec, s[4:5]
	v_cmp_gt_u32_e32 vcc, s33, v48
	s_and_saveexec_b64 s[4:5], vcc
	s_cbranch_execnz .LBB141_339
.LBB141_258:
	s_or_b64 exec, exec, s[4:5]
	v_cmp_gt_u32_e32 vcc, s33, v46
	s_and_saveexec_b64 s[4:5], vcc
	s_cbranch_execz .LBB141_344
.LBB141_259:
	v_cmp_ge_u32_e32 vcc, v46, v2
                                        ; implicit-def: $vgpr48_vgpr49
	s_and_saveexec_b64 s[6:7], vcc
	s_xor_b64 s[6:7], exec, s[6:7]
; %bb.260:
	v_xor_b32_e32 v46, 0xffffebff, v0
	v_ashrrev_i32_e32 v47, 31, v46
	v_lshl_add_u64 v[48:49], v[8:9], 0, v[46:47]
                                        ; implicit-def: $vgpr46_vgpr47
; %bb.261:
	s_andn2_saveexec_b64 s[6:7], s[6:7]
; %bb.262:
	v_lshl_add_u64 v[48:49], v[4:5], 0, v[46:47]
; %bb.263:
	s_or_b64 exec, exec, s[6:7]
	v_lshl_add_u64 v[46:47], v[48:49], 1, s[2:3]
	s_waitcnt lgkmcnt(14)
	global_store_short v[46:47], v87, off
	s_or_b64 exec, exec, s[4:5]
	v_cmp_gt_u32_e32 vcc, s33, v44
	s_and_saveexec_b64 s[4:5], vcc
	s_cbranch_execnz .LBB141_345
.LBB141_264:
	s_or_b64 exec, exec, s[4:5]
	v_cmp_gt_u32_e32 vcc, s33, v42
	s_and_saveexec_b64 s[4:5], vcc
	s_cbranch_execz .LBB141_350
.LBB141_265:
	v_cmp_ge_u32_e32 vcc, v42, v2
                                        ; implicit-def: $vgpr44_vgpr45
	s_and_saveexec_b64 s[6:7], vcc
	s_xor_b64 s[6:7], exec, s[6:7]
; %bb.266:
	v_xor_b32_e32 v42, 0xffffe7ff, v0
	v_ashrrev_i32_e32 v43, 31, v42
	v_lshl_add_u64 v[44:45], v[8:9], 0, v[42:43]
                                        ; implicit-def: $vgpr42_vgpr43
; %bb.267:
	s_andn2_saveexec_b64 s[6:7], s[6:7]
; %bb.268:
	v_lshl_add_u64 v[44:45], v[4:5], 0, v[42:43]
; %bb.269:
	s_or_b64 exec, exec, s[6:7]
	v_lshl_add_u64 v[42:43], v[44:45], 1, s[2:3]
	s_waitcnt lgkmcnt(14)
	global_store_short v[42:43], v85, off
	s_or_b64 exec, exec, s[4:5]
	v_cmp_gt_u32_e32 vcc, s33, v40
	s_and_saveexec_b64 s[4:5], vcc
	s_cbranch_execnz .LBB141_351
.LBB141_270:
	s_or_b64 exec, exec, s[4:5]
	v_cmp_gt_u32_e32 vcc, s33, v38
	s_and_saveexec_b64 s[4:5], vcc
	s_cbranch_execz .LBB141_356
.LBB141_271:
	v_cmp_ge_u32_e32 vcc, v38, v2
                                        ; implicit-def: $vgpr40_vgpr41
	s_and_saveexec_b64 s[6:7], vcc
	s_xor_b64 s[6:7], exec, s[6:7]
; %bb.272:
	v_xor_b32_e32 v38, 0xffffe3ff, v0
	v_ashrrev_i32_e32 v39, 31, v38
	v_lshl_add_u64 v[40:41], v[8:9], 0, v[38:39]
                                        ; implicit-def: $vgpr38_vgpr39
; %bb.273:
	s_andn2_saveexec_b64 s[6:7], s[6:7]
; %bb.274:
	v_lshl_add_u64 v[40:41], v[4:5], 0, v[38:39]
; %bb.275:
	s_or_b64 exec, exec, s[6:7]
	v_lshl_add_u64 v[38:39], v[40:41], 1, s[2:3]
	s_waitcnt lgkmcnt(14)
	global_store_short v[38:39], v83, off
	s_or_b64 exec, exec, s[4:5]
	v_cmp_gt_u32_e32 vcc, s33, v36
	s_and_saveexec_b64 s[4:5], vcc
	s_cbranch_execnz .LBB141_357
.LBB141_276:
	s_or_b64 exec, exec, s[4:5]
	v_cmp_gt_u32_e32 vcc, s33, v34
	s_and_saveexec_b64 s[4:5], vcc
	s_cbranch_execz .LBB141_362
.LBB141_277:
	v_cmp_ge_u32_e32 vcc, v34, v2
                                        ; implicit-def: $vgpr36_vgpr37
	s_and_saveexec_b64 s[6:7], vcc
	s_xor_b64 s[6:7], exec, s[6:7]
; %bb.278:
	v_xor_b32_e32 v34, 0xffffdfff, v0
	v_ashrrev_i32_e32 v35, 31, v34
	v_lshl_add_u64 v[36:37], v[8:9], 0, v[34:35]
                                        ; implicit-def: $vgpr34_vgpr35
; %bb.279:
	s_andn2_saveexec_b64 s[6:7], s[6:7]
; %bb.280:
	v_lshl_add_u64 v[36:37], v[4:5], 0, v[34:35]
; %bb.281:
	s_or_b64 exec, exec, s[6:7]
	v_lshl_add_u64 v[34:35], v[36:37], 1, s[2:3]
	s_waitcnt lgkmcnt(13)
	global_store_short v[34:35], v81, off
	s_or_b64 exec, exec, s[4:5]
	v_cmp_gt_u32_e32 vcc, s33, v32
	s_and_saveexec_b64 s[4:5], vcc
	s_cbranch_execnz .LBB141_363
.LBB141_282:
	s_or_b64 exec, exec, s[4:5]
	v_cmp_gt_u32_e32 vcc, s33, v30
	s_and_saveexec_b64 s[4:5], vcc
	s_cbranch_execz .LBB141_368
.LBB141_283:
	v_cmp_ge_u32_e32 vcc, v30, v2
                                        ; implicit-def: $vgpr32_vgpr33
	s_and_saveexec_b64 s[6:7], vcc
	s_xor_b64 s[6:7], exec, s[6:7]
; %bb.284:
	v_xor_b32_e32 v30, 0xffffdbff, v0
	v_ashrrev_i32_e32 v31, 31, v30
	v_lshl_add_u64 v[32:33], v[8:9], 0, v[30:31]
                                        ; implicit-def: $vgpr30_vgpr31
; %bb.285:
	s_andn2_saveexec_b64 s[6:7], s[6:7]
; %bb.286:
	v_lshl_add_u64 v[32:33], v[4:5], 0, v[30:31]
; %bb.287:
	s_or_b64 exec, exec, s[6:7]
	v_lshl_add_u64 v[30:31], v[32:33], 1, s[2:3]
	s_waitcnt lgkmcnt(11)
	global_store_short v[30:31], v79, off
	s_or_b64 exec, exec, s[4:5]
	v_cmp_gt_u32_e32 vcc, s33, v28
	s_and_saveexec_b64 s[4:5], vcc
	s_cbranch_execnz .LBB141_369
.LBB141_288:
	s_or_b64 exec, exec, s[4:5]
	v_cmp_gt_u32_e32 vcc, s33, v26
	s_and_saveexec_b64 s[4:5], vcc
	s_cbranch_execz .LBB141_374
.LBB141_289:
	v_cmp_ge_u32_e32 vcc, v26, v2
                                        ; implicit-def: $vgpr28_vgpr29
	s_and_saveexec_b64 s[6:7], vcc
	s_xor_b64 s[6:7], exec, s[6:7]
; %bb.290:
	v_xor_b32_e32 v26, 0xffffd7ff, v0
	v_ashrrev_i32_e32 v27, 31, v26
	v_lshl_add_u64 v[28:29], v[8:9], 0, v[26:27]
                                        ; implicit-def: $vgpr26_vgpr27
; %bb.291:
	s_andn2_saveexec_b64 s[6:7], s[6:7]
; %bb.292:
	v_lshl_add_u64 v[28:29], v[4:5], 0, v[26:27]
; %bb.293:
	s_or_b64 exec, exec, s[6:7]
	v_lshl_add_u64 v[26:27], v[28:29], 1, s[2:3]
	s_waitcnt lgkmcnt(9)
	global_store_short v[26:27], v77, off
	s_or_b64 exec, exec, s[4:5]
	v_cmp_gt_u32_e32 vcc, s33, v24
	s_and_saveexec_b64 s[4:5], vcc
	s_cbranch_execnz .LBB141_375
.LBB141_294:
	s_or_b64 exec, exec, s[4:5]
	v_cmp_gt_u32_e32 vcc, s33, v22
	s_and_saveexec_b64 s[4:5], vcc
	s_cbranch_execz .LBB141_380
.LBB141_295:
	v_cmp_ge_u32_e32 vcc, v22, v2
                                        ; implicit-def: $vgpr24_vgpr25
	s_and_saveexec_b64 s[6:7], vcc
	s_xor_b64 s[6:7], exec, s[6:7]
; %bb.296:
	v_xor_b32_e32 v22, 0xffffd3ff, v0
	v_ashrrev_i32_e32 v23, 31, v22
	v_lshl_add_u64 v[24:25], v[8:9], 0, v[22:23]
                                        ; implicit-def: $vgpr22_vgpr23
; %bb.297:
	s_andn2_saveexec_b64 s[6:7], s[6:7]
; %bb.298:
	v_lshl_add_u64 v[24:25], v[4:5], 0, v[22:23]
; %bb.299:
	s_or_b64 exec, exec, s[6:7]
	v_lshl_add_u64 v[22:23], v[24:25], 1, s[2:3]
	s_waitcnt lgkmcnt(7)
	global_store_short v[22:23], v75, off
	s_or_b64 exec, exec, s[4:5]
	v_cmp_gt_u32_e32 vcc, s33, v20
	s_and_saveexec_b64 s[4:5], vcc
	s_cbranch_execnz .LBB141_381
.LBB141_300:
	s_or_b64 exec, exec, s[4:5]
	v_cmp_gt_u32_e32 vcc, s33, v18
	s_and_saveexec_b64 s[4:5], vcc
	s_cbranch_execz .LBB141_386
.LBB141_301:
	v_cmp_ge_u32_e32 vcc, v18, v2
                                        ; implicit-def: $vgpr20_vgpr21
	s_and_saveexec_b64 s[6:7], vcc
	s_xor_b64 s[6:7], exec, s[6:7]
; %bb.302:
	v_xor_b32_e32 v18, 0xffffcfff, v0
	v_ashrrev_i32_e32 v19, 31, v18
	v_lshl_add_u64 v[20:21], v[8:9], 0, v[18:19]
                                        ; implicit-def: $vgpr18_vgpr19
; %bb.303:
	s_andn2_saveexec_b64 s[6:7], s[6:7]
; %bb.304:
	v_lshl_add_u64 v[20:21], v[4:5], 0, v[18:19]
; %bb.305:
	s_or_b64 exec, exec, s[6:7]
	v_lshl_add_u64 v[18:19], v[20:21], 1, s[2:3]
	s_waitcnt lgkmcnt(5)
	global_store_short v[18:19], v73, off
	s_or_b64 exec, exec, s[4:5]
	v_cmp_gt_u32_e32 vcc, s33, v16
	s_and_saveexec_b64 s[4:5], vcc
	s_cbranch_execnz .LBB141_387
.LBB141_306:
	s_or_b64 exec, exec, s[4:5]
	v_cmp_gt_u32_e32 vcc, s33, v14
	s_and_saveexec_b64 s[4:5], vcc
	s_cbranch_execz .LBB141_392
.LBB141_307:
	v_cmp_ge_u32_e32 vcc, v14, v2
                                        ; implicit-def: $vgpr16_vgpr17
	s_and_saveexec_b64 s[6:7], vcc
	s_xor_b64 s[6:7], exec, s[6:7]
; %bb.308:
	v_xor_b32_e32 v14, 0xffffcbff, v0
	v_ashrrev_i32_e32 v15, 31, v14
	v_lshl_add_u64 v[16:17], v[8:9], 0, v[14:15]
                                        ; implicit-def: $vgpr14_vgpr15
; %bb.309:
	s_andn2_saveexec_b64 s[6:7], s[6:7]
; %bb.310:
	v_lshl_add_u64 v[16:17], v[4:5], 0, v[14:15]
; %bb.311:
	s_or_b64 exec, exec, s[6:7]
	v_lshl_add_u64 v[14:15], v[16:17], 1, s[2:3]
	s_waitcnt lgkmcnt(3)
	global_store_short v[14:15], v71, off
	s_or_b64 exec, exec, s[4:5]
	v_cmp_gt_u32_e32 vcc, s33, v12
	s_and_saveexec_b64 s[4:5], vcc
	s_cbranch_execnz .LBB141_393
.LBB141_312:
	s_or_b64 exec, exec, s[4:5]
	v_cmp_gt_u32_e32 vcc, s33, v10
	s_and_saveexec_b64 s[4:5], vcc
	s_cbranch_execnz .LBB141_398
.LBB141_313:
	s_or_b64 exec, exec, s[4:5]
	v_cmp_gt_u32_e32 vcc, s33, v6
                                        ; implicit-def: $vgpr66_vgpr67
	s_and_saveexec_b64 s[4:5], vcc
	s_cbranch_execz .LBB141_408
	s_branch .LBB141_403
.LBB141_314:
	s_or_b64 exec, exec, s[4:5]
	v_cmp_gt_u32_e32 vcc, s33, v64
	s_and_saveexec_b64 s[4:5], vcc
	s_cbranch_execz .LBB141_234
.LBB141_315:
	v_cmp_ge_u32_e32 vcc, v64, v2
                                        ; implicit-def: $vgpr66_vgpr67
	s_and_saveexec_b64 s[6:7], vcc
	s_xor_b64 s[6:7], exec, s[6:7]
; %bb.316:
	v_xor_b32_e32 v64, 0xfffffdff, v0
	v_ashrrev_i32_e32 v65, 31, v64
	v_lshl_add_u64 v[66:67], v[8:9], 0, v[64:65]
                                        ; implicit-def: $vgpr64_vgpr65
; %bb.317:
	s_andn2_saveexec_b64 s[6:7], s[6:7]
; %bb.318:
	v_lshl_add_u64 v[66:67], v[4:5], 0, v[64:65]
; %bb.319:
	s_or_b64 exec, exec, s[6:7]
	v_lshl_add_u64 v[64:65], v[66:67], 1, s[2:3]
	s_waitcnt lgkmcnt(14)
	global_store_short v[64:65], v96, off
	s_or_b64 exec, exec, s[4:5]
	v_cmp_gt_u32_e32 vcc, s33, v62
	s_and_saveexec_b64 s[4:5], vcc
	s_cbranch_execnz .LBB141_235
.LBB141_320:
	s_or_b64 exec, exec, s[4:5]
	v_cmp_gt_u32_e32 vcc, s33, v60
	s_and_saveexec_b64 s[4:5], vcc
	s_cbranch_execz .LBB141_240
.LBB141_321:
	v_cmp_ge_u32_e32 vcc, v60, v2
                                        ; implicit-def: $vgpr62_vgpr63
	s_and_saveexec_b64 s[6:7], vcc
	s_xor_b64 s[6:7], exec, s[6:7]
; %bb.322:
	v_xor_b32_e32 v60, 0xfffff9ff, v0
	v_ashrrev_i32_e32 v61, 31, v60
	v_lshl_add_u64 v[62:63], v[8:9], 0, v[60:61]
                                        ; implicit-def: $vgpr60_vgpr61
; %bb.323:
	s_andn2_saveexec_b64 s[6:7], s[6:7]
; %bb.324:
	v_lshl_add_u64 v[62:63], v[4:5], 0, v[60:61]
; %bb.325:
	s_or_b64 exec, exec, s[6:7]
	v_lshl_add_u64 v[60:61], v[62:63], 1, s[2:3]
	s_waitcnt lgkmcnt(14)
	global_store_short v[60:61], v94, off
	s_or_b64 exec, exec, s[4:5]
	v_cmp_gt_u32_e32 vcc, s33, v58
	s_and_saveexec_b64 s[4:5], vcc
	s_cbranch_execnz .LBB141_241
.LBB141_326:
	s_or_b64 exec, exec, s[4:5]
	v_cmp_gt_u32_e32 vcc, s33, v56
	s_and_saveexec_b64 s[4:5], vcc
	s_cbranch_execz .LBB141_246
.LBB141_327:
	v_cmp_ge_u32_e32 vcc, v56, v2
                                        ; implicit-def: $vgpr58_vgpr59
	s_and_saveexec_b64 s[6:7], vcc
	s_xor_b64 s[6:7], exec, s[6:7]
; %bb.328:
	v_xor_b32_e32 v56, 0xfffff5ff, v0
	v_ashrrev_i32_e32 v57, 31, v56
	v_lshl_add_u64 v[58:59], v[8:9], 0, v[56:57]
                                        ; implicit-def: $vgpr56_vgpr57
; %bb.329:
	s_andn2_saveexec_b64 s[6:7], s[6:7]
; %bb.330:
	v_lshl_add_u64 v[58:59], v[4:5], 0, v[56:57]
; %bb.331:
	s_or_b64 exec, exec, s[6:7]
	v_lshl_add_u64 v[56:57], v[58:59], 1, s[2:3]
	s_waitcnt lgkmcnt(14)
	global_store_short v[56:57], v92, off
	s_or_b64 exec, exec, s[4:5]
	v_cmp_gt_u32_e32 vcc, s33, v54
	s_and_saveexec_b64 s[4:5], vcc
	s_cbranch_execnz .LBB141_247
.LBB141_332:
	s_or_b64 exec, exec, s[4:5]
	v_cmp_gt_u32_e32 vcc, s33, v52
	s_and_saveexec_b64 s[4:5], vcc
	s_cbranch_execz .LBB141_252
.LBB141_333:
	v_cmp_ge_u32_e32 vcc, v52, v2
                                        ; implicit-def: $vgpr54_vgpr55
	s_and_saveexec_b64 s[6:7], vcc
	s_xor_b64 s[6:7], exec, s[6:7]
; %bb.334:
	v_xor_b32_e32 v52, 0xfffff1ff, v0
	v_ashrrev_i32_e32 v53, 31, v52
	v_lshl_add_u64 v[54:55], v[8:9], 0, v[52:53]
                                        ; implicit-def: $vgpr52_vgpr53
; %bb.335:
	s_andn2_saveexec_b64 s[6:7], s[6:7]
; %bb.336:
	v_lshl_add_u64 v[54:55], v[4:5], 0, v[52:53]
; %bb.337:
	s_or_b64 exec, exec, s[6:7]
	v_lshl_add_u64 v[52:53], v[54:55], 1, s[2:3]
	s_waitcnt lgkmcnt(14)
	global_store_short v[52:53], v90, off
	s_or_b64 exec, exec, s[4:5]
	v_cmp_gt_u32_e32 vcc, s33, v50
	s_and_saveexec_b64 s[4:5], vcc
	s_cbranch_execnz .LBB141_253
.LBB141_338:
	s_or_b64 exec, exec, s[4:5]
	v_cmp_gt_u32_e32 vcc, s33, v48
	s_and_saveexec_b64 s[4:5], vcc
	s_cbranch_execz .LBB141_258
.LBB141_339:
	v_cmp_ge_u32_e32 vcc, v48, v2
                                        ; implicit-def: $vgpr50_vgpr51
	s_and_saveexec_b64 s[6:7], vcc
	s_xor_b64 s[6:7], exec, s[6:7]
; %bb.340:
	v_xor_b32_e32 v48, 0xffffedff, v0
	v_ashrrev_i32_e32 v49, 31, v48
	v_lshl_add_u64 v[50:51], v[8:9], 0, v[48:49]
                                        ; implicit-def: $vgpr48_vgpr49
; %bb.341:
	s_andn2_saveexec_b64 s[6:7], s[6:7]
; %bb.342:
	v_lshl_add_u64 v[50:51], v[4:5], 0, v[48:49]
; %bb.343:
	s_or_b64 exec, exec, s[6:7]
	v_lshl_add_u64 v[48:49], v[50:51], 1, s[2:3]
	s_waitcnt lgkmcnt(14)
	global_store_short v[48:49], v88, off
	s_or_b64 exec, exec, s[4:5]
	v_cmp_gt_u32_e32 vcc, s33, v46
	s_and_saveexec_b64 s[4:5], vcc
	s_cbranch_execnz .LBB141_259
.LBB141_344:
	s_or_b64 exec, exec, s[4:5]
	v_cmp_gt_u32_e32 vcc, s33, v44
	s_and_saveexec_b64 s[4:5], vcc
	s_cbranch_execz .LBB141_264
.LBB141_345:
	v_cmp_ge_u32_e32 vcc, v44, v2
                                        ; implicit-def: $vgpr46_vgpr47
	s_and_saveexec_b64 s[6:7], vcc
	s_xor_b64 s[6:7], exec, s[6:7]
; %bb.346:
	v_xor_b32_e32 v44, 0xffffe9ff, v0
	v_ashrrev_i32_e32 v45, 31, v44
	v_lshl_add_u64 v[46:47], v[8:9], 0, v[44:45]
                                        ; implicit-def: $vgpr44_vgpr45
; %bb.347:
	s_andn2_saveexec_b64 s[6:7], s[6:7]
; %bb.348:
	v_lshl_add_u64 v[46:47], v[4:5], 0, v[44:45]
; %bb.349:
	s_or_b64 exec, exec, s[6:7]
	v_lshl_add_u64 v[44:45], v[46:47], 1, s[2:3]
	s_waitcnt lgkmcnt(14)
	global_store_short v[44:45], v86, off
	s_or_b64 exec, exec, s[4:5]
	v_cmp_gt_u32_e32 vcc, s33, v42
	s_and_saveexec_b64 s[4:5], vcc
	s_cbranch_execnz .LBB141_265
.LBB141_350:
	s_or_b64 exec, exec, s[4:5]
	v_cmp_gt_u32_e32 vcc, s33, v40
	s_and_saveexec_b64 s[4:5], vcc
	s_cbranch_execz .LBB141_270
.LBB141_351:
	v_cmp_ge_u32_e32 vcc, v40, v2
                                        ; implicit-def: $vgpr42_vgpr43
	s_and_saveexec_b64 s[6:7], vcc
	s_xor_b64 s[6:7], exec, s[6:7]
; %bb.352:
	v_xor_b32_e32 v40, 0xffffe5ff, v0
	v_ashrrev_i32_e32 v41, 31, v40
	v_lshl_add_u64 v[42:43], v[8:9], 0, v[40:41]
                                        ; implicit-def: $vgpr40_vgpr41
; %bb.353:
	s_andn2_saveexec_b64 s[6:7], s[6:7]
; %bb.354:
	v_lshl_add_u64 v[42:43], v[4:5], 0, v[40:41]
; %bb.355:
	s_or_b64 exec, exec, s[6:7]
	v_lshl_add_u64 v[40:41], v[42:43], 1, s[2:3]
	s_waitcnt lgkmcnt(14)
	global_store_short v[40:41], v84, off
	s_or_b64 exec, exec, s[4:5]
	v_cmp_gt_u32_e32 vcc, s33, v38
	s_and_saveexec_b64 s[4:5], vcc
	s_cbranch_execnz .LBB141_271
.LBB141_356:
	s_or_b64 exec, exec, s[4:5]
	v_cmp_gt_u32_e32 vcc, s33, v36
	s_and_saveexec_b64 s[4:5], vcc
	s_cbranch_execz .LBB141_276
.LBB141_357:
	v_cmp_ge_u32_e32 vcc, v36, v2
                                        ; implicit-def: $vgpr38_vgpr39
	s_and_saveexec_b64 s[6:7], vcc
	s_xor_b64 s[6:7], exec, s[6:7]
; %bb.358:
	v_xor_b32_e32 v36, 0xffffe1ff, v0
	v_ashrrev_i32_e32 v37, 31, v36
	v_lshl_add_u64 v[38:39], v[8:9], 0, v[36:37]
                                        ; implicit-def: $vgpr36_vgpr37
; %bb.359:
	s_andn2_saveexec_b64 s[6:7], s[6:7]
; %bb.360:
	v_lshl_add_u64 v[38:39], v[4:5], 0, v[36:37]
; %bb.361:
	s_or_b64 exec, exec, s[6:7]
	v_lshl_add_u64 v[36:37], v[38:39], 1, s[2:3]
	s_waitcnt lgkmcnt(14)
	global_store_short v[36:37], v82, off
	s_or_b64 exec, exec, s[4:5]
	v_cmp_gt_u32_e32 vcc, s33, v34
	s_and_saveexec_b64 s[4:5], vcc
	s_cbranch_execnz .LBB141_277
.LBB141_362:
	s_or_b64 exec, exec, s[4:5]
	v_cmp_gt_u32_e32 vcc, s33, v32
	s_and_saveexec_b64 s[4:5], vcc
	s_cbranch_execz .LBB141_282
.LBB141_363:
	v_cmp_ge_u32_e32 vcc, v32, v2
                                        ; implicit-def: $vgpr34_vgpr35
	s_and_saveexec_b64 s[6:7], vcc
	s_xor_b64 s[6:7], exec, s[6:7]
; %bb.364:
	v_xor_b32_e32 v32, 0xffffddff, v0
	v_ashrrev_i32_e32 v33, 31, v32
	v_lshl_add_u64 v[34:35], v[8:9], 0, v[32:33]
                                        ; implicit-def: $vgpr32_vgpr33
; %bb.365:
	s_andn2_saveexec_b64 s[6:7], s[6:7]
; %bb.366:
	v_lshl_add_u64 v[34:35], v[4:5], 0, v[32:33]
; %bb.367:
	s_or_b64 exec, exec, s[6:7]
	v_lshl_add_u64 v[32:33], v[34:35], 1, s[2:3]
	s_waitcnt lgkmcnt(12)
	global_store_short v[32:33], v80, off
	s_or_b64 exec, exec, s[4:5]
	v_cmp_gt_u32_e32 vcc, s33, v30
	s_and_saveexec_b64 s[4:5], vcc
	s_cbranch_execnz .LBB141_283
.LBB141_368:
	s_or_b64 exec, exec, s[4:5]
	v_cmp_gt_u32_e32 vcc, s33, v28
	s_and_saveexec_b64 s[4:5], vcc
	s_cbranch_execz .LBB141_288
.LBB141_369:
	v_cmp_ge_u32_e32 vcc, v28, v2
                                        ; implicit-def: $vgpr30_vgpr31
	s_and_saveexec_b64 s[6:7], vcc
	s_xor_b64 s[6:7], exec, s[6:7]
; %bb.370:
	v_xor_b32_e32 v28, 0xffffd9ff, v0
	v_ashrrev_i32_e32 v29, 31, v28
	v_lshl_add_u64 v[30:31], v[8:9], 0, v[28:29]
                                        ; implicit-def: $vgpr28_vgpr29
; %bb.371:
	s_andn2_saveexec_b64 s[6:7], s[6:7]
; %bb.372:
	v_lshl_add_u64 v[30:31], v[4:5], 0, v[28:29]
; %bb.373:
	s_or_b64 exec, exec, s[6:7]
	v_lshl_add_u64 v[28:29], v[30:31], 1, s[2:3]
	s_waitcnt lgkmcnt(10)
	global_store_short v[28:29], v78, off
	s_or_b64 exec, exec, s[4:5]
	v_cmp_gt_u32_e32 vcc, s33, v26
	s_and_saveexec_b64 s[4:5], vcc
	s_cbranch_execnz .LBB141_289
.LBB141_374:
	s_or_b64 exec, exec, s[4:5]
	v_cmp_gt_u32_e32 vcc, s33, v24
	s_and_saveexec_b64 s[4:5], vcc
	s_cbranch_execz .LBB141_294
.LBB141_375:
	v_cmp_ge_u32_e32 vcc, v24, v2
                                        ; implicit-def: $vgpr26_vgpr27
	s_and_saveexec_b64 s[6:7], vcc
	s_xor_b64 s[6:7], exec, s[6:7]
; %bb.376:
	v_xor_b32_e32 v24, 0xffffd5ff, v0
	v_ashrrev_i32_e32 v25, 31, v24
	v_lshl_add_u64 v[26:27], v[8:9], 0, v[24:25]
                                        ; implicit-def: $vgpr24_vgpr25
; %bb.377:
	s_andn2_saveexec_b64 s[6:7], s[6:7]
; %bb.378:
	v_lshl_add_u64 v[26:27], v[4:5], 0, v[24:25]
; %bb.379:
	s_or_b64 exec, exec, s[6:7]
	v_lshl_add_u64 v[24:25], v[26:27], 1, s[2:3]
	s_waitcnt lgkmcnt(8)
	global_store_short v[24:25], v76, off
	s_or_b64 exec, exec, s[4:5]
	v_cmp_gt_u32_e32 vcc, s33, v22
	s_and_saveexec_b64 s[4:5], vcc
	s_cbranch_execnz .LBB141_295
.LBB141_380:
	s_or_b64 exec, exec, s[4:5]
	v_cmp_gt_u32_e32 vcc, s33, v20
	s_and_saveexec_b64 s[4:5], vcc
	s_cbranch_execz .LBB141_300
.LBB141_381:
	v_cmp_ge_u32_e32 vcc, v20, v2
                                        ; implicit-def: $vgpr22_vgpr23
	s_and_saveexec_b64 s[6:7], vcc
	s_xor_b64 s[6:7], exec, s[6:7]
; %bb.382:
	v_xor_b32_e32 v20, 0xffffd1ff, v0
	v_ashrrev_i32_e32 v21, 31, v20
	v_lshl_add_u64 v[22:23], v[8:9], 0, v[20:21]
                                        ; implicit-def: $vgpr20_vgpr21
; %bb.383:
	s_andn2_saveexec_b64 s[6:7], s[6:7]
; %bb.384:
	v_lshl_add_u64 v[22:23], v[4:5], 0, v[20:21]
; %bb.385:
	s_or_b64 exec, exec, s[6:7]
	v_lshl_add_u64 v[20:21], v[22:23], 1, s[2:3]
	s_waitcnt lgkmcnt(6)
	global_store_short v[20:21], v74, off
	s_or_b64 exec, exec, s[4:5]
	v_cmp_gt_u32_e32 vcc, s33, v18
	s_and_saveexec_b64 s[4:5], vcc
	s_cbranch_execnz .LBB141_301
.LBB141_386:
	s_or_b64 exec, exec, s[4:5]
	v_cmp_gt_u32_e32 vcc, s33, v16
	s_and_saveexec_b64 s[4:5], vcc
	s_cbranch_execz .LBB141_306
.LBB141_387:
	v_cmp_ge_u32_e32 vcc, v16, v2
                                        ; implicit-def: $vgpr18_vgpr19
	s_and_saveexec_b64 s[6:7], vcc
	s_xor_b64 s[6:7], exec, s[6:7]
; %bb.388:
	v_xor_b32_e32 v16, 0xffffcdff, v0
	v_ashrrev_i32_e32 v17, 31, v16
	v_lshl_add_u64 v[18:19], v[8:9], 0, v[16:17]
                                        ; implicit-def: $vgpr16_vgpr17
; %bb.389:
	s_andn2_saveexec_b64 s[6:7], s[6:7]
; %bb.390:
	v_lshl_add_u64 v[18:19], v[4:5], 0, v[16:17]
; %bb.391:
	s_or_b64 exec, exec, s[6:7]
	v_lshl_add_u64 v[16:17], v[18:19], 1, s[2:3]
	s_waitcnt lgkmcnt(4)
	global_store_short v[16:17], v72, off
	s_or_b64 exec, exec, s[4:5]
	v_cmp_gt_u32_e32 vcc, s33, v14
	s_and_saveexec_b64 s[4:5], vcc
	s_cbranch_execnz .LBB141_307
.LBB141_392:
	s_or_b64 exec, exec, s[4:5]
	v_cmp_gt_u32_e32 vcc, s33, v12
	s_and_saveexec_b64 s[4:5], vcc
	s_cbranch_execz .LBB141_312
.LBB141_393:
	v_cmp_ge_u32_e32 vcc, v12, v2
                                        ; implicit-def: $vgpr14_vgpr15
	s_and_saveexec_b64 s[6:7], vcc
	s_xor_b64 s[6:7], exec, s[6:7]
; %bb.394:
	v_xor_b32_e32 v12, 0xffffc9ff, v0
	v_ashrrev_i32_e32 v13, 31, v12
	v_lshl_add_u64 v[14:15], v[8:9], 0, v[12:13]
                                        ; implicit-def: $vgpr12_vgpr13
; %bb.395:
	s_andn2_saveexec_b64 s[6:7], s[6:7]
; %bb.396:
	v_lshl_add_u64 v[14:15], v[4:5], 0, v[12:13]
; %bb.397:
	s_or_b64 exec, exec, s[6:7]
	v_lshl_add_u64 v[12:13], v[14:15], 1, s[2:3]
	s_waitcnt lgkmcnt(2)
	global_store_short v[12:13], v70, off
	s_or_b64 exec, exec, s[4:5]
	v_cmp_gt_u32_e32 vcc, s33, v10
	s_and_saveexec_b64 s[4:5], vcc
	s_cbranch_execz .LBB141_313
.LBB141_398:
	v_cmp_ge_u32_e32 vcc, v10, v2
                                        ; implicit-def: $vgpr12_vgpr13
	s_and_saveexec_b64 s[6:7], vcc
	s_xor_b64 s[6:7], exec, s[6:7]
; %bb.399:
	v_xor_b32_e32 v10, 0xffffc7ff, v0
	v_ashrrev_i32_e32 v11, 31, v10
	v_lshl_add_u64 v[12:13], v[8:9], 0, v[10:11]
                                        ; implicit-def: $vgpr10_vgpr11
; %bb.400:
	s_andn2_saveexec_b64 s[6:7], s[6:7]
; %bb.401:
	v_lshl_add_u64 v[12:13], v[4:5], 0, v[10:11]
; %bb.402:
	s_or_b64 exec, exec, s[6:7]
	v_lshl_add_u64 v[10:11], v[12:13], 1, s[2:3]
	s_waitcnt lgkmcnt(1)
	global_store_short v[10:11], v69, off
	s_or_b64 exec, exec, s[4:5]
	v_cmp_gt_u32_e32 vcc, s33, v6
                                        ; implicit-def: $vgpr66_vgpr67
	s_and_saveexec_b64 s[4:5], vcc
	s_cbranch_execz .LBB141_408
.LBB141_403:
	v_cmp_ge_u32_e32 vcc, v6, v2
                                        ; implicit-def: $vgpr66_vgpr67
	s_and_saveexec_b64 s[6:7], vcc
	s_xor_b64 s[6:7], exec, s[6:7]
; %bb.404:
	v_xor_b32_e32 v6, 0xffffc5ff, v0
	v_ashrrev_i32_e32 v7, 31, v6
	v_lshl_add_u64 v[66:67], v[8:9], 0, v[6:7]
                                        ; implicit-def: $vgpr6_vgpr7
; %bb.405:
	s_andn2_saveexec_b64 s[6:7], s[6:7]
; %bb.406:
	v_lshl_add_u64 v[66:67], v[4:5], 0, v[6:7]
; %bb.407:
	s_or_b64 exec, exec, s[6:7]
	s_or_b64 s[0:1], s[0:1], exec
.LBB141_408:
	s_or_b64 exec, exec, s[4:5]
.LBB141_409:
	s_and_saveexec_b64 s[4:5], s[0:1]
	s_cbranch_execz .LBB141_411
; %bb.410:
	v_lshl_add_u64 v[6:7], v[66:67], 1, s[2:3]
	s_waitcnt lgkmcnt(0)
	global_store_short v[6:7], v68, off
.LBB141_411:
	s_or_b64 exec, exec, s[4:5]
	v_cmp_eq_u32_e32 vcc, 0, v0
	s_and_b64 s[0:1], vcc, s[26:27]
	s_and_saveexec_b64 s[2:3], s[0:1]
	s_cbranch_execz .LBB141_413
; %bb.412:
	v_mov_b32_e32 v6, 0
	v_lshl_add_u64 v[0:1], v[4:5], 0, v[2:3]
	global_store_dwordx2 v6, v[0:1], s[24:25]
.LBB141_413:
	s_endpgm
	.section	.rodata,"a",@progbits
	.p2align	6, 0x0
	.amdhsa_kernel _ZN7rocprim17ROCPRIM_400000_NS6detail17trampoline_kernelINS0_14default_configENS1_25partition_config_selectorILNS1_17partition_subalgoE3EsNS0_10empty_typeEbEEZZNS1_14partition_implILS5_3ELb0ES3_jN6thrust23THRUST_200600_302600_NS6detail15normal_iteratorINSA_7pointerIsNSA_11hip_rocprim3tagENSA_11use_defaultESG_EEEEPS6_SJ_NS0_5tupleIJPsSJ_EEENSK_IJSJ_SJ_EEES6_PlJ7is_evenIsEEEE10hipError_tPvRmT3_T4_T5_T6_T7_T9_mT8_P12ihipStream_tbDpT10_ENKUlT_T0_E_clISt17integral_constantIbLb0EES1A_EEDaS15_S16_EUlS15_E_NS1_11comp_targetILNS1_3genE5ELNS1_11target_archE942ELNS1_3gpuE9ELNS1_3repE0EEENS1_30default_config_static_selectorELNS0_4arch9wavefront6targetE1EEEvT1_
		.amdhsa_group_segment_fixed_size 30728
		.amdhsa_private_segment_fixed_size 0
		.amdhsa_kernarg_size 120
		.amdhsa_user_sgpr_count 2
		.amdhsa_user_sgpr_dispatch_ptr 0
		.amdhsa_user_sgpr_queue_ptr 0
		.amdhsa_user_sgpr_kernarg_segment_ptr 1
		.amdhsa_user_sgpr_dispatch_id 0
		.amdhsa_user_sgpr_kernarg_preload_length 0
		.amdhsa_user_sgpr_kernarg_preload_offset 0
		.amdhsa_user_sgpr_private_segment_size 0
		.amdhsa_uses_dynamic_stack 0
		.amdhsa_enable_private_segment 0
		.amdhsa_system_sgpr_workgroup_id_x 1
		.amdhsa_system_sgpr_workgroup_id_y 0
		.amdhsa_system_sgpr_workgroup_id_z 0
		.amdhsa_system_sgpr_workgroup_info 0
		.amdhsa_system_vgpr_workitem_id 0
		.amdhsa_next_free_vgpr 120
		.amdhsa_next_free_sgpr 46
		.amdhsa_accum_offset 120
		.amdhsa_reserve_vcc 1
		.amdhsa_float_round_mode_32 0
		.amdhsa_float_round_mode_16_64 0
		.amdhsa_float_denorm_mode_32 3
		.amdhsa_float_denorm_mode_16_64 3
		.amdhsa_dx10_clamp 1
		.amdhsa_ieee_mode 1
		.amdhsa_fp16_overflow 0
		.amdhsa_tg_split 0
		.amdhsa_exception_fp_ieee_invalid_op 0
		.amdhsa_exception_fp_denorm_src 0
		.amdhsa_exception_fp_ieee_div_zero 0
		.amdhsa_exception_fp_ieee_overflow 0
		.amdhsa_exception_fp_ieee_underflow 0
		.amdhsa_exception_fp_ieee_inexact 0
		.amdhsa_exception_int_div_zero 0
	.end_amdhsa_kernel
	.section	.text._ZN7rocprim17ROCPRIM_400000_NS6detail17trampoline_kernelINS0_14default_configENS1_25partition_config_selectorILNS1_17partition_subalgoE3EsNS0_10empty_typeEbEEZZNS1_14partition_implILS5_3ELb0ES3_jN6thrust23THRUST_200600_302600_NS6detail15normal_iteratorINSA_7pointerIsNSA_11hip_rocprim3tagENSA_11use_defaultESG_EEEEPS6_SJ_NS0_5tupleIJPsSJ_EEENSK_IJSJ_SJ_EEES6_PlJ7is_evenIsEEEE10hipError_tPvRmT3_T4_T5_T6_T7_T9_mT8_P12ihipStream_tbDpT10_ENKUlT_T0_E_clISt17integral_constantIbLb0EES1A_EEDaS15_S16_EUlS15_E_NS1_11comp_targetILNS1_3genE5ELNS1_11target_archE942ELNS1_3gpuE9ELNS1_3repE0EEENS1_30default_config_static_selectorELNS0_4arch9wavefront6targetE1EEEvT1_,"axG",@progbits,_ZN7rocprim17ROCPRIM_400000_NS6detail17trampoline_kernelINS0_14default_configENS1_25partition_config_selectorILNS1_17partition_subalgoE3EsNS0_10empty_typeEbEEZZNS1_14partition_implILS5_3ELb0ES3_jN6thrust23THRUST_200600_302600_NS6detail15normal_iteratorINSA_7pointerIsNSA_11hip_rocprim3tagENSA_11use_defaultESG_EEEEPS6_SJ_NS0_5tupleIJPsSJ_EEENSK_IJSJ_SJ_EEES6_PlJ7is_evenIsEEEE10hipError_tPvRmT3_T4_T5_T6_T7_T9_mT8_P12ihipStream_tbDpT10_ENKUlT_T0_E_clISt17integral_constantIbLb0EES1A_EEDaS15_S16_EUlS15_E_NS1_11comp_targetILNS1_3genE5ELNS1_11target_archE942ELNS1_3gpuE9ELNS1_3repE0EEENS1_30default_config_static_selectorELNS0_4arch9wavefront6targetE1EEEvT1_,comdat
.Lfunc_end141:
	.size	_ZN7rocprim17ROCPRIM_400000_NS6detail17trampoline_kernelINS0_14default_configENS1_25partition_config_selectorILNS1_17partition_subalgoE3EsNS0_10empty_typeEbEEZZNS1_14partition_implILS5_3ELb0ES3_jN6thrust23THRUST_200600_302600_NS6detail15normal_iteratorINSA_7pointerIsNSA_11hip_rocprim3tagENSA_11use_defaultESG_EEEEPS6_SJ_NS0_5tupleIJPsSJ_EEENSK_IJSJ_SJ_EEES6_PlJ7is_evenIsEEEE10hipError_tPvRmT3_T4_T5_T6_T7_T9_mT8_P12ihipStream_tbDpT10_ENKUlT_T0_E_clISt17integral_constantIbLb0EES1A_EEDaS15_S16_EUlS15_E_NS1_11comp_targetILNS1_3genE5ELNS1_11target_archE942ELNS1_3gpuE9ELNS1_3repE0EEENS1_30default_config_static_selectorELNS0_4arch9wavefront6targetE1EEEvT1_, .Lfunc_end141-_ZN7rocprim17ROCPRIM_400000_NS6detail17trampoline_kernelINS0_14default_configENS1_25partition_config_selectorILNS1_17partition_subalgoE3EsNS0_10empty_typeEbEEZZNS1_14partition_implILS5_3ELb0ES3_jN6thrust23THRUST_200600_302600_NS6detail15normal_iteratorINSA_7pointerIsNSA_11hip_rocprim3tagENSA_11use_defaultESG_EEEEPS6_SJ_NS0_5tupleIJPsSJ_EEENSK_IJSJ_SJ_EEES6_PlJ7is_evenIsEEEE10hipError_tPvRmT3_T4_T5_T6_T7_T9_mT8_P12ihipStream_tbDpT10_ENKUlT_T0_E_clISt17integral_constantIbLb0EES1A_EEDaS15_S16_EUlS15_E_NS1_11comp_targetILNS1_3genE5ELNS1_11target_archE942ELNS1_3gpuE9ELNS1_3repE0EEENS1_30default_config_static_selectorELNS0_4arch9wavefront6targetE1EEEvT1_
                                        ; -- End function
	.section	.AMDGPU.csdata,"",@progbits
; Kernel info:
; codeLenInByte = 12760
; NumSgprs: 52
; NumVgprs: 120
; NumAgprs: 0
; TotalNumVgprs: 120
; ScratchSize: 0
; MemoryBound: 0
; FloatMode: 240
; IeeeMode: 1
; LDSByteSize: 30728 bytes/workgroup (compile time only)
; SGPRBlocks: 6
; VGPRBlocks: 14
; NumSGPRsForWavesPerEU: 52
; NumVGPRsForWavesPerEU: 120
; AccumOffset: 120
; Occupancy: 4
; WaveLimiterHint : 1
; COMPUTE_PGM_RSRC2:SCRATCH_EN: 0
; COMPUTE_PGM_RSRC2:USER_SGPR: 2
; COMPUTE_PGM_RSRC2:TRAP_HANDLER: 0
; COMPUTE_PGM_RSRC2:TGID_X_EN: 1
; COMPUTE_PGM_RSRC2:TGID_Y_EN: 0
; COMPUTE_PGM_RSRC2:TGID_Z_EN: 0
; COMPUTE_PGM_RSRC2:TIDIG_COMP_CNT: 0
; COMPUTE_PGM_RSRC3_GFX90A:ACCUM_OFFSET: 29
; COMPUTE_PGM_RSRC3_GFX90A:TG_SPLIT: 0
	.section	.text._ZN7rocprim17ROCPRIM_400000_NS6detail17trampoline_kernelINS0_14default_configENS1_25partition_config_selectorILNS1_17partition_subalgoE3EsNS0_10empty_typeEbEEZZNS1_14partition_implILS5_3ELb0ES3_jN6thrust23THRUST_200600_302600_NS6detail15normal_iteratorINSA_7pointerIsNSA_11hip_rocprim3tagENSA_11use_defaultESG_EEEEPS6_SJ_NS0_5tupleIJPsSJ_EEENSK_IJSJ_SJ_EEES6_PlJ7is_evenIsEEEE10hipError_tPvRmT3_T4_T5_T6_T7_T9_mT8_P12ihipStream_tbDpT10_ENKUlT_T0_E_clISt17integral_constantIbLb0EES1A_EEDaS15_S16_EUlS15_E_NS1_11comp_targetILNS1_3genE4ELNS1_11target_archE910ELNS1_3gpuE8ELNS1_3repE0EEENS1_30default_config_static_selectorELNS0_4arch9wavefront6targetE1EEEvT1_,"axG",@progbits,_ZN7rocprim17ROCPRIM_400000_NS6detail17trampoline_kernelINS0_14default_configENS1_25partition_config_selectorILNS1_17partition_subalgoE3EsNS0_10empty_typeEbEEZZNS1_14partition_implILS5_3ELb0ES3_jN6thrust23THRUST_200600_302600_NS6detail15normal_iteratorINSA_7pointerIsNSA_11hip_rocprim3tagENSA_11use_defaultESG_EEEEPS6_SJ_NS0_5tupleIJPsSJ_EEENSK_IJSJ_SJ_EEES6_PlJ7is_evenIsEEEE10hipError_tPvRmT3_T4_T5_T6_T7_T9_mT8_P12ihipStream_tbDpT10_ENKUlT_T0_E_clISt17integral_constantIbLb0EES1A_EEDaS15_S16_EUlS15_E_NS1_11comp_targetILNS1_3genE4ELNS1_11target_archE910ELNS1_3gpuE8ELNS1_3repE0EEENS1_30default_config_static_selectorELNS0_4arch9wavefront6targetE1EEEvT1_,comdat
	.protected	_ZN7rocprim17ROCPRIM_400000_NS6detail17trampoline_kernelINS0_14default_configENS1_25partition_config_selectorILNS1_17partition_subalgoE3EsNS0_10empty_typeEbEEZZNS1_14partition_implILS5_3ELb0ES3_jN6thrust23THRUST_200600_302600_NS6detail15normal_iteratorINSA_7pointerIsNSA_11hip_rocprim3tagENSA_11use_defaultESG_EEEEPS6_SJ_NS0_5tupleIJPsSJ_EEENSK_IJSJ_SJ_EEES6_PlJ7is_evenIsEEEE10hipError_tPvRmT3_T4_T5_T6_T7_T9_mT8_P12ihipStream_tbDpT10_ENKUlT_T0_E_clISt17integral_constantIbLb0EES1A_EEDaS15_S16_EUlS15_E_NS1_11comp_targetILNS1_3genE4ELNS1_11target_archE910ELNS1_3gpuE8ELNS1_3repE0EEENS1_30default_config_static_selectorELNS0_4arch9wavefront6targetE1EEEvT1_ ; -- Begin function _ZN7rocprim17ROCPRIM_400000_NS6detail17trampoline_kernelINS0_14default_configENS1_25partition_config_selectorILNS1_17partition_subalgoE3EsNS0_10empty_typeEbEEZZNS1_14partition_implILS5_3ELb0ES3_jN6thrust23THRUST_200600_302600_NS6detail15normal_iteratorINSA_7pointerIsNSA_11hip_rocprim3tagENSA_11use_defaultESG_EEEEPS6_SJ_NS0_5tupleIJPsSJ_EEENSK_IJSJ_SJ_EEES6_PlJ7is_evenIsEEEE10hipError_tPvRmT3_T4_T5_T6_T7_T9_mT8_P12ihipStream_tbDpT10_ENKUlT_T0_E_clISt17integral_constantIbLb0EES1A_EEDaS15_S16_EUlS15_E_NS1_11comp_targetILNS1_3genE4ELNS1_11target_archE910ELNS1_3gpuE8ELNS1_3repE0EEENS1_30default_config_static_selectorELNS0_4arch9wavefront6targetE1EEEvT1_
	.globl	_ZN7rocprim17ROCPRIM_400000_NS6detail17trampoline_kernelINS0_14default_configENS1_25partition_config_selectorILNS1_17partition_subalgoE3EsNS0_10empty_typeEbEEZZNS1_14partition_implILS5_3ELb0ES3_jN6thrust23THRUST_200600_302600_NS6detail15normal_iteratorINSA_7pointerIsNSA_11hip_rocprim3tagENSA_11use_defaultESG_EEEEPS6_SJ_NS0_5tupleIJPsSJ_EEENSK_IJSJ_SJ_EEES6_PlJ7is_evenIsEEEE10hipError_tPvRmT3_T4_T5_T6_T7_T9_mT8_P12ihipStream_tbDpT10_ENKUlT_T0_E_clISt17integral_constantIbLb0EES1A_EEDaS15_S16_EUlS15_E_NS1_11comp_targetILNS1_3genE4ELNS1_11target_archE910ELNS1_3gpuE8ELNS1_3repE0EEENS1_30default_config_static_selectorELNS0_4arch9wavefront6targetE1EEEvT1_
	.p2align	8
	.type	_ZN7rocprim17ROCPRIM_400000_NS6detail17trampoline_kernelINS0_14default_configENS1_25partition_config_selectorILNS1_17partition_subalgoE3EsNS0_10empty_typeEbEEZZNS1_14partition_implILS5_3ELb0ES3_jN6thrust23THRUST_200600_302600_NS6detail15normal_iteratorINSA_7pointerIsNSA_11hip_rocprim3tagENSA_11use_defaultESG_EEEEPS6_SJ_NS0_5tupleIJPsSJ_EEENSK_IJSJ_SJ_EEES6_PlJ7is_evenIsEEEE10hipError_tPvRmT3_T4_T5_T6_T7_T9_mT8_P12ihipStream_tbDpT10_ENKUlT_T0_E_clISt17integral_constantIbLb0EES1A_EEDaS15_S16_EUlS15_E_NS1_11comp_targetILNS1_3genE4ELNS1_11target_archE910ELNS1_3gpuE8ELNS1_3repE0EEENS1_30default_config_static_selectorELNS0_4arch9wavefront6targetE1EEEvT1_,@function
_ZN7rocprim17ROCPRIM_400000_NS6detail17trampoline_kernelINS0_14default_configENS1_25partition_config_selectorILNS1_17partition_subalgoE3EsNS0_10empty_typeEbEEZZNS1_14partition_implILS5_3ELb0ES3_jN6thrust23THRUST_200600_302600_NS6detail15normal_iteratorINSA_7pointerIsNSA_11hip_rocprim3tagENSA_11use_defaultESG_EEEEPS6_SJ_NS0_5tupleIJPsSJ_EEENSK_IJSJ_SJ_EEES6_PlJ7is_evenIsEEEE10hipError_tPvRmT3_T4_T5_T6_T7_T9_mT8_P12ihipStream_tbDpT10_ENKUlT_T0_E_clISt17integral_constantIbLb0EES1A_EEDaS15_S16_EUlS15_E_NS1_11comp_targetILNS1_3genE4ELNS1_11target_archE910ELNS1_3gpuE8ELNS1_3repE0EEENS1_30default_config_static_selectorELNS0_4arch9wavefront6targetE1EEEvT1_: ; @_ZN7rocprim17ROCPRIM_400000_NS6detail17trampoline_kernelINS0_14default_configENS1_25partition_config_selectorILNS1_17partition_subalgoE3EsNS0_10empty_typeEbEEZZNS1_14partition_implILS5_3ELb0ES3_jN6thrust23THRUST_200600_302600_NS6detail15normal_iteratorINSA_7pointerIsNSA_11hip_rocprim3tagENSA_11use_defaultESG_EEEEPS6_SJ_NS0_5tupleIJPsSJ_EEENSK_IJSJ_SJ_EEES6_PlJ7is_evenIsEEEE10hipError_tPvRmT3_T4_T5_T6_T7_T9_mT8_P12ihipStream_tbDpT10_ENKUlT_T0_E_clISt17integral_constantIbLb0EES1A_EEDaS15_S16_EUlS15_E_NS1_11comp_targetILNS1_3genE4ELNS1_11target_archE910ELNS1_3gpuE8ELNS1_3repE0EEENS1_30default_config_static_selectorELNS0_4arch9wavefront6targetE1EEEvT1_
; %bb.0:
	.section	.rodata,"a",@progbits
	.p2align	6, 0x0
	.amdhsa_kernel _ZN7rocprim17ROCPRIM_400000_NS6detail17trampoline_kernelINS0_14default_configENS1_25partition_config_selectorILNS1_17partition_subalgoE3EsNS0_10empty_typeEbEEZZNS1_14partition_implILS5_3ELb0ES3_jN6thrust23THRUST_200600_302600_NS6detail15normal_iteratorINSA_7pointerIsNSA_11hip_rocprim3tagENSA_11use_defaultESG_EEEEPS6_SJ_NS0_5tupleIJPsSJ_EEENSK_IJSJ_SJ_EEES6_PlJ7is_evenIsEEEE10hipError_tPvRmT3_T4_T5_T6_T7_T9_mT8_P12ihipStream_tbDpT10_ENKUlT_T0_E_clISt17integral_constantIbLb0EES1A_EEDaS15_S16_EUlS15_E_NS1_11comp_targetILNS1_3genE4ELNS1_11target_archE910ELNS1_3gpuE8ELNS1_3repE0EEENS1_30default_config_static_selectorELNS0_4arch9wavefront6targetE1EEEvT1_
		.amdhsa_group_segment_fixed_size 0
		.amdhsa_private_segment_fixed_size 0
		.amdhsa_kernarg_size 120
		.amdhsa_user_sgpr_count 2
		.amdhsa_user_sgpr_dispatch_ptr 0
		.amdhsa_user_sgpr_queue_ptr 0
		.amdhsa_user_sgpr_kernarg_segment_ptr 1
		.amdhsa_user_sgpr_dispatch_id 0
		.amdhsa_user_sgpr_kernarg_preload_length 0
		.amdhsa_user_sgpr_kernarg_preload_offset 0
		.amdhsa_user_sgpr_private_segment_size 0
		.amdhsa_uses_dynamic_stack 0
		.amdhsa_enable_private_segment 0
		.amdhsa_system_sgpr_workgroup_id_x 1
		.amdhsa_system_sgpr_workgroup_id_y 0
		.amdhsa_system_sgpr_workgroup_id_z 0
		.amdhsa_system_sgpr_workgroup_info 0
		.amdhsa_system_vgpr_workitem_id 0
		.amdhsa_next_free_vgpr 1
		.amdhsa_next_free_sgpr 0
		.amdhsa_accum_offset 4
		.amdhsa_reserve_vcc 0
		.amdhsa_float_round_mode_32 0
		.amdhsa_float_round_mode_16_64 0
		.amdhsa_float_denorm_mode_32 3
		.amdhsa_float_denorm_mode_16_64 3
		.amdhsa_dx10_clamp 1
		.amdhsa_ieee_mode 1
		.amdhsa_fp16_overflow 0
		.amdhsa_tg_split 0
		.amdhsa_exception_fp_ieee_invalid_op 0
		.amdhsa_exception_fp_denorm_src 0
		.amdhsa_exception_fp_ieee_div_zero 0
		.amdhsa_exception_fp_ieee_overflow 0
		.amdhsa_exception_fp_ieee_underflow 0
		.amdhsa_exception_fp_ieee_inexact 0
		.amdhsa_exception_int_div_zero 0
	.end_amdhsa_kernel
	.section	.text._ZN7rocprim17ROCPRIM_400000_NS6detail17trampoline_kernelINS0_14default_configENS1_25partition_config_selectorILNS1_17partition_subalgoE3EsNS0_10empty_typeEbEEZZNS1_14partition_implILS5_3ELb0ES3_jN6thrust23THRUST_200600_302600_NS6detail15normal_iteratorINSA_7pointerIsNSA_11hip_rocprim3tagENSA_11use_defaultESG_EEEEPS6_SJ_NS0_5tupleIJPsSJ_EEENSK_IJSJ_SJ_EEES6_PlJ7is_evenIsEEEE10hipError_tPvRmT3_T4_T5_T6_T7_T9_mT8_P12ihipStream_tbDpT10_ENKUlT_T0_E_clISt17integral_constantIbLb0EES1A_EEDaS15_S16_EUlS15_E_NS1_11comp_targetILNS1_3genE4ELNS1_11target_archE910ELNS1_3gpuE8ELNS1_3repE0EEENS1_30default_config_static_selectorELNS0_4arch9wavefront6targetE1EEEvT1_,"axG",@progbits,_ZN7rocprim17ROCPRIM_400000_NS6detail17trampoline_kernelINS0_14default_configENS1_25partition_config_selectorILNS1_17partition_subalgoE3EsNS0_10empty_typeEbEEZZNS1_14partition_implILS5_3ELb0ES3_jN6thrust23THRUST_200600_302600_NS6detail15normal_iteratorINSA_7pointerIsNSA_11hip_rocprim3tagENSA_11use_defaultESG_EEEEPS6_SJ_NS0_5tupleIJPsSJ_EEENSK_IJSJ_SJ_EEES6_PlJ7is_evenIsEEEE10hipError_tPvRmT3_T4_T5_T6_T7_T9_mT8_P12ihipStream_tbDpT10_ENKUlT_T0_E_clISt17integral_constantIbLb0EES1A_EEDaS15_S16_EUlS15_E_NS1_11comp_targetILNS1_3genE4ELNS1_11target_archE910ELNS1_3gpuE8ELNS1_3repE0EEENS1_30default_config_static_selectorELNS0_4arch9wavefront6targetE1EEEvT1_,comdat
.Lfunc_end142:
	.size	_ZN7rocprim17ROCPRIM_400000_NS6detail17trampoline_kernelINS0_14default_configENS1_25partition_config_selectorILNS1_17partition_subalgoE3EsNS0_10empty_typeEbEEZZNS1_14partition_implILS5_3ELb0ES3_jN6thrust23THRUST_200600_302600_NS6detail15normal_iteratorINSA_7pointerIsNSA_11hip_rocprim3tagENSA_11use_defaultESG_EEEEPS6_SJ_NS0_5tupleIJPsSJ_EEENSK_IJSJ_SJ_EEES6_PlJ7is_evenIsEEEE10hipError_tPvRmT3_T4_T5_T6_T7_T9_mT8_P12ihipStream_tbDpT10_ENKUlT_T0_E_clISt17integral_constantIbLb0EES1A_EEDaS15_S16_EUlS15_E_NS1_11comp_targetILNS1_3genE4ELNS1_11target_archE910ELNS1_3gpuE8ELNS1_3repE0EEENS1_30default_config_static_selectorELNS0_4arch9wavefront6targetE1EEEvT1_, .Lfunc_end142-_ZN7rocprim17ROCPRIM_400000_NS6detail17trampoline_kernelINS0_14default_configENS1_25partition_config_selectorILNS1_17partition_subalgoE3EsNS0_10empty_typeEbEEZZNS1_14partition_implILS5_3ELb0ES3_jN6thrust23THRUST_200600_302600_NS6detail15normal_iteratorINSA_7pointerIsNSA_11hip_rocprim3tagENSA_11use_defaultESG_EEEEPS6_SJ_NS0_5tupleIJPsSJ_EEENSK_IJSJ_SJ_EEES6_PlJ7is_evenIsEEEE10hipError_tPvRmT3_T4_T5_T6_T7_T9_mT8_P12ihipStream_tbDpT10_ENKUlT_T0_E_clISt17integral_constantIbLb0EES1A_EEDaS15_S16_EUlS15_E_NS1_11comp_targetILNS1_3genE4ELNS1_11target_archE910ELNS1_3gpuE8ELNS1_3repE0EEENS1_30default_config_static_selectorELNS0_4arch9wavefront6targetE1EEEvT1_
                                        ; -- End function
	.section	.AMDGPU.csdata,"",@progbits
; Kernel info:
; codeLenInByte = 0
; NumSgprs: 6
; NumVgprs: 0
; NumAgprs: 0
; TotalNumVgprs: 0
; ScratchSize: 0
; MemoryBound: 0
; FloatMode: 240
; IeeeMode: 1
; LDSByteSize: 0 bytes/workgroup (compile time only)
; SGPRBlocks: 0
; VGPRBlocks: 0
; NumSGPRsForWavesPerEU: 6
; NumVGPRsForWavesPerEU: 1
; AccumOffset: 4
; Occupancy: 8
; WaveLimiterHint : 0
; COMPUTE_PGM_RSRC2:SCRATCH_EN: 0
; COMPUTE_PGM_RSRC2:USER_SGPR: 2
; COMPUTE_PGM_RSRC2:TRAP_HANDLER: 0
; COMPUTE_PGM_RSRC2:TGID_X_EN: 1
; COMPUTE_PGM_RSRC2:TGID_Y_EN: 0
; COMPUTE_PGM_RSRC2:TGID_Z_EN: 0
; COMPUTE_PGM_RSRC2:TIDIG_COMP_CNT: 0
; COMPUTE_PGM_RSRC3_GFX90A:ACCUM_OFFSET: 0
; COMPUTE_PGM_RSRC3_GFX90A:TG_SPLIT: 0
	.section	.text._ZN7rocprim17ROCPRIM_400000_NS6detail17trampoline_kernelINS0_14default_configENS1_25partition_config_selectorILNS1_17partition_subalgoE3EsNS0_10empty_typeEbEEZZNS1_14partition_implILS5_3ELb0ES3_jN6thrust23THRUST_200600_302600_NS6detail15normal_iteratorINSA_7pointerIsNSA_11hip_rocprim3tagENSA_11use_defaultESG_EEEEPS6_SJ_NS0_5tupleIJPsSJ_EEENSK_IJSJ_SJ_EEES6_PlJ7is_evenIsEEEE10hipError_tPvRmT3_T4_T5_T6_T7_T9_mT8_P12ihipStream_tbDpT10_ENKUlT_T0_E_clISt17integral_constantIbLb0EES1A_EEDaS15_S16_EUlS15_E_NS1_11comp_targetILNS1_3genE3ELNS1_11target_archE908ELNS1_3gpuE7ELNS1_3repE0EEENS1_30default_config_static_selectorELNS0_4arch9wavefront6targetE1EEEvT1_,"axG",@progbits,_ZN7rocprim17ROCPRIM_400000_NS6detail17trampoline_kernelINS0_14default_configENS1_25partition_config_selectorILNS1_17partition_subalgoE3EsNS0_10empty_typeEbEEZZNS1_14partition_implILS5_3ELb0ES3_jN6thrust23THRUST_200600_302600_NS6detail15normal_iteratorINSA_7pointerIsNSA_11hip_rocprim3tagENSA_11use_defaultESG_EEEEPS6_SJ_NS0_5tupleIJPsSJ_EEENSK_IJSJ_SJ_EEES6_PlJ7is_evenIsEEEE10hipError_tPvRmT3_T4_T5_T6_T7_T9_mT8_P12ihipStream_tbDpT10_ENKUlT_T0_E_clISt17integral_constantIbLb0EES1A_EEDaS15_S16_EUlS15_E_NS1_11comp_targetILNS1_3genE3ELNS1_11target_archE908ELNS1_3gpuE7ELNS1_3repE0EEENS1_30default_config_static_selectorELNS0_4arch9wavefront6targetE1EEEvT1_,comdat
	.protected	_ZN7rocprim17ROCPRIM_400000_NS6detail17trampoline_kernelINS0_14default_configENS1_25partition_config_selectorILNS1_17partition_subalgoE3EsNS0_10empty_typeEbEEZZNS1_14partition_implILS5_3ELb0ES3_jN6thrust23THRUST_200600_302600_NS6detail15normal_iteratorINSA_7pointerIsNSA_11hip_rocprim3tagENSA_11use_defaultESG_EEEEPS6_SJ_NS0_5tupleIJPsSJ_EEENSK_IJSJ_SJ_EEES6_PlJ7is_evenIsEEEE10hipError_tPvRmT3_T4_T5_T6_T7_T9_mT8_P12ihipStream_tbDpT10_ENKUlT_T0_E_clISt17integral_constantIbLb0EES1A_EEDaS15_S16_EUlS15_E_NS1_11comp_targetILNS1_3genE3ELNS1_11target_archE908ELNS1_3gpuE7ELNS1_3repE0EEENS1_30default_config_static_selectorELNS0_4arch9wavefront6targetE1EEEvT1_ ; -- Begin function _ZN7rocprim17ROCPRIM_400000_NS6detail17trampoline_kernelINS0_14default_configENS1_25partition_config_selectorILNS1_17partition_subalgoE3EsNS0_10empty_typeEbEEZZNS1_14partition_implILS5_3ELb0ES3_jN6thrust23THRUST_200600_302600_NS6detail15normal_iteratorINSA_7pointerIsNSA_11hip_rocprim3tagENSA_11use_defaultESG_EEEEPS6_SJ_NS0_5tupleIJPsSJ_EEENSK_IJSJ_SJ_EEES6_PlJ7is_evenIsEEEE10hipError_tPvRmT3_T4_T5_T6_T7_T9_mT8_P12ihipStream_tbDpT10_ENKUlT_T0_E_clISt17integral_constantIbLb0EES1A_EEDaS15_S16_EUlS15_E_NS1_11comp_targetILNS1_3genE3ELNS1_11target_archE908ELNS1_3gpuE7ELNS1_3repE0EEENS1_30default_config_static_selectorELNS0_4arch9wavefront6targetE1EEEvT1_
	.globl	_ZN7rocprim17ROCPRIM_400000_NS6detail17trampoline_kernelINS0_14default_configENS1_25partition_config_selectorILNS1_17partition_subalgoE3EsNS0_10empty_typeEbEEZZNS1_14partition_implILS5_3ELb0ES3_jN6thrust23THRUST_200600_302600_NS6detail15normal_iteratorINSA_7pointerIsNSA_11hip_rocprim3tagENSA_11use_defaultESG_EEEEPS6_SJ_NS0_5tupleIJPsSJ_EEENSK_IJSJ_SJ_EEES6_PlJ7is_evenIsEEEE10hipError_tPvRmT3_T4_T5_T6_T7_T9_mT8_P12ihipStream_tbDpT10_ENKUlT_T0_E_clISt17integral_constantIbLb0EES1A_EEDaS15_S16_EUlS15_E_NS1_11comp_targetILNS1_3genE3ELNS1_11target_archE908ELNS1_3gpuE7ELNS1_3repE0EEENS1_30default_config_static_selectorELNS0_4arch9wavefront6targetE1EEEvT1_
	.p2align	8
	.type	_ZN7rocprim17ROCPRIM_400000_NS6detail17trampoline_kernelINS0_14default_configENS1_25partition_config_selectorILNS1_17partition_subalgoE3EsNS0_10empty_typeEbEEZZNS1_14partition_implILS5_3ELb0ES3_jN6thrust23THRUST_200600_302600_NS6detail15normal_iteratorINSA_7pointerIsNSA_11hip_rocprim3tagENSA_11use_defaultESG_EEEEPS6_SJ_NS0_5tupleIJPsSJ_EEENSK_IJSJ_SJ_EEES6_PlJ7is_evenIsEEEE10hipError_tPvRmT3_T4_T5_T6_T7_T9_mT8_P12ihipStream_tbDpT10_ENKUlT_T0_E_clISt17integral_constantIbLb0EES1A_EEDaS15_S16_EUlS15_E_NS1_11comp_targetILNS1_3genE3ELNS1_11target_archE908ELNS1_3gpuE7ELNS1_3repE0EEENS1_30default_config_static_selectorELNS0_4arch9wavefront6targetE1EEEvT1_,@function
_ZN7rocprim17ROCPRIM_400000_NS6detail17trampoline_kernelINS0_14default_configENS1_25partition_config_selectorILNS1_17partition_subalgoE3EsNS0_10empty_typeEbEEZZNS1_14partition_implILS5_3ELb0ES3_jN6thrust23THRUST_200600_302600_NS6detail15normal_iteratorINSA_7pointerIsNSA_11hip_rocprim3tagENSA_11use_defaultESG_EEEEPS6_SJ_NS0_5tupleIJPsSJ_EEENSK_IJSJ_SJ_EEES6_PlJ7is_evenIsEEEE10hipError_tPvRmT3_T4_T5_T6_T7_T9_mT8_P12ihipStream_tbDpT10_ENKUlT_T0_E_clISt17integral_constantIbLb0EES1A_EEDaS15_S16_EUlS15_E_NS1_11comp_targetILNS1_3genE3ELNS1_11target_archE908ELNS1_3gpuE7ELNS1_3repE0EEENS1_30default_config_static_selectorELNS0_4arch9wavefront6targetE1EEEvT1_: ; @_ZN7rocprim17ROCPRIM_400000_NS6detail17trampoline_kernelINS0_14default_configENS1_25partition_config_selectorILNS1_17partition_subalgoE3EsNS0_10empty_typeEbEEZZNS1_14partition_implILS5_3ELb0ES3_jN6thrust23THRUST_200600_302600_NS6detail15normal_iteratorINSA_7pointerIsNSA_11hip_rocprim3tagENSA_11use_defaultESG_EEEEPS6_SJ_NS0_5tupleIJPsSJ_EEENSK_IJSJ_SJ_EEES6_PlJ7is_evenIsEEEE10hipError_tPvRmT3_T4_T5_T6_T7_T9_mT8_P12ihipStream_tbDpT10_ENKUlT_T0_E_clISt17integral_constantIbLb0EES1A_EEDaS15_S16_EUlS15_E_NS1_11comp_targetILNS1_3genE3ELNS1_11target_archE908ELNS1_3gpuE7ELNS1_3repE0EEENS1_30default_config_static_selectorELNS0_4arch9wavefront6targetE1EEEvT1_
; %bb.0:
	.section	.rodata,"a",@progbits
	.p2align	6, 0x0
	.amdhsa_kernel _ZN7rocprim17ROCPRIM_400000_NS6detail17trampoline_kernelINS0_14default_configENS1_25partition_config_selectorILNS1_17partition_subalgoE3EsNS0_10empty_typeEbEEZZNS1_14partition_implILS5_3ELb0ES3_jN6thrust23THRUST_200600_302600_NS6detail15normal_iteratorINSA_7pointerIsNSA_11hip_rocprim3tagENSA_11use_defaultESG_EEEEPS6_SJ_NS0_5tupleIJPsSJ_EEENSK_IJSJ_SJ_EEES6_PlJ7is_evenIsEEEE10hipError_tPvRmT3_T4_T5_T6_T7_T9_mT8_P12ihipStream_tbDpT10_ENKUlT_T0_E_clISt17integral_constantIbLb0EES1A_EEDaS15_S16_EUlS15_E_NS1_11comp_targetILNS1_3genE3ELNS1_11target_archE908ELNS1_3gpuE7ELNS1_3repE0EEENS1_30default_config_static_selectorELNS0_4arch9wavefront6targetE1EEEvT1_
		.amdhsa_group_segment_fixed_size 0
		.amdhsa_private_segment_fixed_size 0
		.amdhsa_kernarg_size 120
		.amdhsa_user_sgpr_count 2
		.amdhsa_user_sgpr_dispatch_ptr 0
		.amdhsa_user_sgpr_queue_ptr 0
		.amdhsa_user_sgpr_kernarg_segment_ptr 1
		.amdhsa_user_sgpr_dispatch_id 0
		.amdhsa_user_sgpr_kernarg_preload_length 0
		.amdhsa_user_sgpr_kernarg_preload_offset 0
		.amdhsa_user_sgpr_private_segment_size 0
		.amdhsa_uses_dynamic_stack 0
		.amdhsa_enable_private_segment 0
		.amdhsa_system_sgpr_workgroup_id_x 1
		.amdhsa_system_sgpr_workgroup_id_y 0
		.amdhsa_system_sgpr_workgroup_id_z 0
		.amdhsa_system_sgpr_workgroup_info 0
		.amdhsa_system_vgpr_workitem_id 0
		.amdhsa_next_free_vgpr 1
		.amdhsa_next_free_sgpr 0
		.amdhsa_accum_offset 4
		.amdhsa_reserve_vcc 0
		.amdhsa_float_round_mode_32 0
		.amdhsa_float_round_mode_16_64 0
		.amdhsa_float_denorm_mode_32 3
		.amdhsa_float_denorm_mode_16_64 3
		.amdhsa_dx10_clamp 1
		.amdhsa_ieee_mode 1
		.amdhsa_fp16_overflow 0
		.amdhsa_tg_split 0
		.amdhsa_exception_fp_ieee_invalid_op 0
		.amdhsa_exception_fp_denorm_src 0
		.amdhsa_exception_fp_ieee_div_zero 0
		.amdhsa_exception_fp_ieee_overflow 0
		.amdhsa_exception_fp_ieee_underflow 0
		.amdhsa_exception_fp_ieee_inexact 0
		.amdhsa_exception_int_div_zero 0
	.end_amdhsa_kernel
	.section	.text._ZN7rocprim17ROCPRIM_400000_NS6detail17trampoline_kernelINS0_14default_configENS1_25partition_config_selectorILNS1_17partition_subalgoE3EsNS0_10empty_typeEbEEZZNS1_14partition_implILS5_3ELb0ES3_jN6thrust23THRUST_200600_302600_NS6detail15normal_iteratorINSA_7pointerIsNSA_11hip_rocprim3tagENSA_11use_defaultESG_EEEEPS6_SJ_NS0_5tupleIJPsSJ_EEENSK_IJSJ_SJ_EEES6_PlJ7is_evenIsEEEE10hipError_tPvRmT3_T4_T5_T6_T7_T9_mT8_P12ihipStream_tbDpT10_ENKUlT_T0_E_clISt17integral_constantIbLb0EES1A_EEDaS15_S16_EUlS15_E_NS1_11comp_targetILNS1_3genE3ELNS1_11target_archE908ELNS1_3gpuE7ELNS1_3repE0EEENS1_30default_config_static_selectorELNS0_4arch9wavefront6targetE1EEEvT1_,"axG",@progbits,_ZN7rocprim17ROCPRIM_400000_NS6detail17trampoline_kernelINS0_14default_configENS1_25partition_config_selectorILNS1_17partition_subalgoE3EsNS0_10empty_typeEbEEZZNS1_14partition_implILS5_3ELb0ES3_jN6thrust23THRUST_200600_302600_NS6detail15normal_iteratorINSA_7pointerIsNSA_11hip_rocprim3tagENSA_11use_defaultESG_EEEEPS6_SJ_NS0_5tupleIJPsSJ_EEENSK_IJSJ_SJ_EEES6_PlJ7is_evenIsEEEE10hipError_tPvRmT3_T4_T5_T6_T7_T9_mT8_P12ihipStream_tbDpT10_ENKUlT_T0_E_clISt17integral_constantIbLb0EES1A_EEDaS15_S16_EUlS15_E_NS1_11comp_targetILNS1_3genE3ELNS1_11target_archE908ELNS1_3gpuE7ELNS1_3repE0EEENS1_30default_config_static_selectorELNS0_4arch9wavefront6targetE1EEEvT1_,comdat
.Lfunc_end143:
	.size	_ZN7rocprim17ROCPRIM_400000_NS6detail17trampoline_kernelINS0_14default_configENS1_25partition_config_selectorILNS1_17partition_subalgoE3EsNS0_10empty_typeEbEEZZNS1_14partition_implILS5_3ELb0ES3_jN6thrust23THRUST_200600_302600_NS6detail15normal_iteratorINSA_7pointerIsNSA_11hip_rocprim3tagENSA_11use_defaultESG_EEEEPS6_SJ_NS0_5tupleIJPsSJ_EEENSK_IJSJ_SJ_EEES6_PlJ7is_evenIsEEEE10hipError_tPvRmT3_T4_T5_T6_T7_T9_mT8_P12ihipStream_tbDpT10_ENKUlT_T0_E_clISt17integral_constantIbLb0EES1A_EEDaS15_S16_EUlS15_E_NS1_11comp_targetILNS1_3genE3ELNS1_11target_archE908ELNS1_3gpuE7ELNS1_3repE0EEENS1_30default_config_static_selectorELNS0_4arch9wavefront6targetE1EEEvT1_, .Lfunc_end143-_ZN7rocprim17ROCPRIM_400000_NS6detail17trampoline_kernelINS0_14default_configENS1_25partition_config_selectorILNS1_17partition_subalgoE3EsNS0_10empty_typeEbEEZZNS1_14partition_implILS5_3ELb0ES3_jN6thrust23THRUST_200600_302600_NS6detail15normal_iteratorINSA_7pointerIsNSA_11hip_rocprim3tagENSA_11use_defaultESG_EEEEPS6_SJ_NS0_5tupleIJPsSJ_EEENSK_IJSJ_SJ_EEES6_PlJ7is_evenIsEEEE10hipError_tPvRmT3_T4_T5_T6_T7_T9_mT8_P12ihipStream_tbDpT10_ENKUlT_T0_E_clISt17integral_constantIbLb0EES1A_EEDaS15_S16_EUlS15_E_NS1_11comp_targetILNS1_3genE3ELNS1_11target_archE908ELNS1_3gpuE7ELNS1_3repE0EEENS1_30default_config_static_selectorELNS0_4arch9wavefront6targetE1EEEvT1_
                                        ; -- End function
	.section	.AMDGPU.csdata,"",@progbits
; Kernel info:
; codeLenInByte = 0
; NumSgprs: 6
; NumVgprs: 0
; NumAgprs: 0
; TotalNumVgprs: 0
; ScratchSize: 0
; MemoryBound: 0
; FloatMode: 240
; IeeeMode: 1
; LDSByteSize: 0 bytes/workgroup (compile time only)
; SGPRBlocks: 0
; VGPRBlocks: 0
; NumSGPRsForWavesPerEU: 6
; NumVGPRsForWavesPerEU: 1
; AccumOffset: 4
; Occupancy: 8
; WaveLimiterHint : 0
; COMPUTE_PGM_RSRC2:SCRATCH_EN: 0
; COMPUTE_PGM_RSRC2:USER_SGPR: 2
; COMPUTE_PGM_RSRC2:TRAP_HANDLER: 0
; COMPUTE_PGM_RSRC2:TGID_X_EN: 1
; COMPUTE_PGM_RSRC2:TGID_Y_EN: 0
; COMPUTE_PGM_RSRC2:TGID_Z_EN: 0
; COMPUTE_PGM_RSRC2:TIDIG_COMP_CNT: 0
; COMPUTE_PGM_RSRC3_GFX90A:ACCUM_OFFSET: 0
; COMPUTE_PGM_RSRC3_GFX90A:TG_SPLIT: 0
	.section	.text._ZN7rocprim17ROCPRIM_400000_NS6detail17trampoline_kernelINS0_14default_configENS1_25partition_config_selectorILNS1_17partition_subalgoE3EsNS0_10empty_typeEbEEZZNS1_14partition_implILS5_3ELb0ES3_jN6thrust23THRUST_200600_302600_NS6detail15normal_iteratorINSA_7pointerIsNSA_11hip_rocprim3tagENSA_11use_defaultESG_EEEEPS6_SJ_NS0_5tupleIJPsSJ_EEENSK_IJSJ_SJ_EEES6_PlJ7is_evenIsEEEE10hipError_tPvRmT3_T4_T5_T6_T7_T9_mT8_P12ihipStream_tbDpT10_ENKUlT_T0_E_clISt17integral_constantIbLb0EES1A_EEDaS15_S16_EUlS15_E_NS1_11comp_targetILNS1_3genE2ELNS1_11target_archE906ELNS1_3gpuE6ELNS1_3repE0EEENS1_30default_config_static_selectorELNS0_4arch9wavefront6targetE1EEEvT1_,"axG",@progbits,_ZN7rocprim17ROCPRIM_400000_NS6detail17trampoline_kernelINS0_14default_configENS1_25partition_config_selectorILNS1_17partition_subalgoE3EsNS0_10empty_typeEbEEZZNS1_14partition_implILS5_3ELb0ES3_jN6thrust23THRUST_200600_302600_NS6detail15normal_iteratorINSA_7pointerIsNSA_11hip_rocprim3tagENSA_11use_defaultESG_EEEEPS6_SJ_NS0_5tupleIJPsSJ_EEENSK_IJSJ_SJ_EEES6_PlJ7is_evenIsEEEE10hipError_tPvRmT3_T4_T5_T6_T7_T9_mT8_P12ihipStream_tbDpT10_ENKUlT_T0_E_clISt17integral_constantIbLb0EES1A_EEDaS15_S16_EUlS15_E_NS1_11comp_targetILNS1_3genE2ELNS1_11target_archE906ELNS1_3gpuE6ELNS1_3repE0EEENS1_30default_config_static_selectorELNS0_4arch9wavefront6targetE1EEEvT1_,comdat
	.protected	_ZN7rocprim17ROCPRIM_400000_NS6detail17trampoline_kernelINS0_14default_configENS1_25partition_config_selectorILNS1_17partition_subalgoE3EsNS0_10empty_typeEbEEZZNS1_14partition_implILS5_3ELb0ES3_jN6thrust23THRUST_200600_302600_NS6detail15normal_iteratorINSA_7pointerIsNSA_11hip_rocprim3tagENSA_11use_defaultESG_EEEEPS6_SJ_NS0_5tupleIJPsSJ_EEENSK_IJSJ_SJ_EEES6_PlJ7is_evenIsEEEE10hipError_tPvRmT3_T4_T5_T6_T7_T9_mT8_P12ihipStream_tbDpT10_ENKUlT_T0_E_clISt17integral_constantIbLb0EES1A_EEDaS15_S16_EUlS15_E_NS1_11comp_targetILNS1_3genE2ELNS1_11target_archE906ELNS1_3gpuE6ELNS1_3repE0EEENS1_30default_config_static_selectorELNS0_4arch9wavefront6targetE1EEEvT1_ ; -- Begin function _ZN7rocprim17ROCPRIM_400000_NS6detail17trampoline_kernelINS0_14default_configENS1_25partition_config_selectorILNS1_17partition_subalgoE3EsNS0_10empty_typeEbEEZZNS1_14partition_implILS5_3ELb0ES3_jN6thrust23THRUST_200600_302600_NS6detail15normal_iteratorINSA_7pointerIsNSA_11hip_rocprim3tagENSA_11use_defaultESG_EEEEPS6_SJ_NS0_5tupleIJPsSJ_EEENSK_IJSJ_SJ_EEES6_PlJ7is_evenIsEEEE10hipError_tPvRmT3_T4_T5_T6_T7_T9_mT8_P12ihipStream_tbDpT10_ENKUlT_T0_E_clISt17integral_constantIbLb0EES1A_EEDaS15_S16_EUlS15_E_NS1_11comp_targetILNS1_3genE2ELNS1_11target_archE906ELNS1_3gpuE6ELNS1_3repE0EEENS1_30default_config_static_selectorELNS0_4arch9wavefront6targetE1EEEvT1_
	.globl	_ZN7rocprim17ROCPRIM_400000_NS6detail17trampoline_kernelINS0_14default_configENS1_25partition_config_selectorILNS1_17partition_subalgoE3EsNS0_10empty_typeEbEEZZNS1_14partition_implILS5_3ELb0ES3_jN6thrust23THRUST_200600_302600_NS6detail15normal_iteratorINSA_7pointerIsNSA_11hip_rocprim3tagENSA_11use_defaultESG_EEEEPS6_SJ_NS0_5tupleIJPsSJ_EEENSK_IJSJ_SJ_EEES6_PlJ7is_evenIsEEEE10hipError_tPvRmT3_T4_T5_T6_T7_T9_mT8_P12ihipStream_tbDpT10_ENKUlT_T0_E_clISt17integral_constantIbLb0EES1A_EEDaS15_S16_EUlS15_E_NS1_11comp_targetILNS1_3genE2ELNS1_11target_archE906ELNS1_3gpuE6ELNS1_3repE0EEENS1_30default_config_static_selectorELNS0_4arch9wavefront6targetE1EEEvT1_
	.p2align	8
	.type	_ZN7rocprim17ROCPRIM_400000_NS6detail17trampoline_kernelINS0_14default_configENS1_25partition_config_selectorILNS1_17partition_subalgoE3EsNS0_10empty_typeEbEEZZNS1_14partition_implILS5_3ELb0ES3_jN6thrust23THRUST_200600_302600_NS6detail15normal_iteratorINSA_7pointerIsNSA_11hip_rocprim3tagENSA_11use_defaultESG_EEEEPS6_SJ_NS0_5tupleIJPsSJ_EEENSK_IJSJ_SJ_EEES6_PlJ7is_evenIsEEEE10hipError_tPvRmT3_T4_T5_T6_T7_T9_mT8_P12ihipStream_tbDpT10_ENKUlT_T0_E_clISt17integral_constantIbLb0EES1A_EEDaS15_S16_EUlS15_E_NS1_11comp_targetILNS1_3genE2ELNS1_11target_archE906ELNS1_3gpuE6ELNS1_3repE0EEENS1_30default_config_static_selectorELNS0_4arch9wavefront6targetE1EEEvT1_,@function
_ZN7rocprim17ROCPRIM_400000_NS6detail17trampoline_kernelINS0_14default_configENS1_25partition_config_selectorILNS1_17partition_subalgoE3EsNS0_10empty_typeEbEEZZNS1_14partition_implILS5_3ELb0ES3_jN6thrust23THRUST_200600_302600_NS6detail15normal_iteratorINSA_7pointerIsNSA_11hip_rocprim3tagENSA_11use_defaultESG_EEEEPS6_SJ_NS0_5tupleIJPsSJ_EEENSK_IJSJ_SJ_EEES6_PlJ7is_evenIsEEEE10hipError_tPvRmT3_T4_T5_T6_T7_T9_mT8_P12ihipStream_tbDpT10_ENKUlT_T0_E_clISt17integral_constantIbLb0EES1A_EEDaS15_S16_EUlS15_E_NS1_11comp_targetILNS1_3genE2ELNS1_11target_archE906ELNS1_3gpuE6ELNS1_3repE0EEENS1_30default_config_static_selectorELNS0_4arch9wavefront6targetE1EEEvT1_: ; @_ZN7rocprim17ROCPRIM_400000_NS6detail17trampoline_kernelINS0_14default_configENS1_25partition_config_selectorILNS1_17partition_subalgoE3EsNS0_10empty_typeEbEEZZNS1_14partition_implILS5_3ELb0ES3_jN6thrust23THRUST_200600_302600_NS6detail15normal_iteratorINSA_7pointerIsNSA_11hip_rocprim3tagENSA_11use_defaultESG_EEEEPS6_SJ_NS0_5tupleIJPsSJ_EEENSK_IJSJ_SJ_EEES6_PlJ7is_evenIsEEEE10hipError_tPvRmT3_T4_T5_T6_T7_T9_mT8_P12ihipStream_tbDpT10_ENKUlT_T0_E_clISt17integral_constantIbLb0EES1A_EEDaS15_S16_EUlS15_E_NS1_11comp_targetILNS1_3genE2ELNS1_11target_archE906ELNS1_3gpuE6ELNS1_3repE0EEENS1_30default_config_static_selectorELNS0_4arch9wavefront6targetE1EEEvT1_
; %bb.0:
	.section	.rodata,"a",@progbits
	.p2align	6, 0x0
	.amdhsa_kernel _ZN7rocprim17ROCPRIM_400000_NS6detail17trampoline_kernelINS0_14default_configENS1_25partition_config_selectorILNS1_17partition_subalgoE3EsNS0_10empty_typeEbEEZZNS1_14partition_implILS5_3ELb0ES3_jN6thrust23THRUST_200600_302600_NS6detail15normal_iteratorINSA_7pointerIsNSA_11hip_rocprim3tagENSA_11use_defaultESG_EEEEPS6_SJ_NS0_5tupleIJPsSJ_EEENSK_IJSJ_SJ_EEES6_PlJ7is_evenIsEEEE10hipError_tPvRmT3_T4_T5_T6_T7_T9_mT8_P12ihipStream_tbDpT10_ENKUlT_T0_E_clISt17integral_constantIbLb0EES1A_EEDaS15_S16_EUlS15_E_NS1_11comp_targetILNS1_3genE2ELNS1_11target_archE906ELNS1_3gpuE6ELNS1_3repE0EEENS1_30default_config_static_selectorELNS0_4arch9wavefront6targetE1EEEvT1_
		.amdhsa_group_segment_fixed_size 0
		.amdhsa_private_segment_fixed_size 0
		.amdhsa_kernarg_size 120
		.amdhsa_user_sgpr_count 2
		.amdhsa_user_sgpr_dispatch_ptr 0
		.amdhsa_user_sgpr_queue_ptr 0
		.amdhsa_user_sgpr_kernarg_segment_ptr 1
		.amdhsa_user_sgpr_dispatch_id 0
		.amdhsa_user_sgpr_kernarg_preload_length 0
		.amdhsa_user_sgpr_kernarg_preload_offset 0
		.amdhsa_user_sgpr_private_segment_size 0
		.amdhsa_uses_dynamic_stack 0
		.amdhsa_enable_private_segment 0
		.amdhsa_system_sgpr_workgroup_id_x 1
		.amdhsa_system_sgpr_workgroup_id_y 0
		.amdhsa_system_sgpr_workgroup_id_z 0
		.amdhsa_system_sgpr_workgroup_info 0
		.amdhsa_system_vgpr_workitem_id 0
		.amdhsa_next_free_vgpr 1
		.amdhsa_next_free_sgpr 0
		.amdhsa_accum_offset 4
		.amdhsa_reserve_vcc 0
		.amdhsa_float_round_mode_32 0
		.amdhsa_float_round_mode_16_64 0
		.amdhsa_float_denorm_mode_32 3
		.amdhsa_float_denorm_mode_16_64 3
		.amdhsa_dx10_clamp 1
		.amdhsa_ieee_mode 1
		.amdhsa_fp16_overflow 0
		.amdhsa_tg_split 0
		.amdhsa_exception_fp_ieee_invalid_op 0
		.amdhsa_exception_fp_denorm_src 0
		.amdhsa_exception_fp_ieee_div_zero 0
		.amdhsa_exception_fp_ieee_overflow 0
		.amdhsa_exception_fp_ieee_underflow 0
		.amdhsa_exception_fp_ieee_inexact 0
		.amdhsa_exception_int_div_zero 0
	.end_amdhsa_kernel
	.section	.text._ZN7rocprim17ROCPRIM_400000_NS6detail17trampoline_kernelINS0_14default_configENS1_25partition_config_selectorILNS1_17partition_subalgoE3EsNS0_10empty_typeEbEEZZNS1_14partition_implILS5_3ELb0ES3_jN6thrust23THRUST_200600_302600_NS6detail15normal_iteratorINSA_7pointerIsNSA_11hip_rocprim3tagENSA_11use_defaultESG_EEEEPS6_SJ_NS0_5tupleIJPsSJ_EEENSK_IJSJ_SJ_EEES6_PlJ7is_evenIsEEEE10hipError_tPvRmT3_T4_T5_T6_T7_T9_mT8_P12ihipStream_tbDpT10_ENKUlT_T0_E_clISt17integral_constantIbLb0EES1A_EEDaS15_S16_EUlS15_E_NS1_11comp_targetILNS1_3genE2ELNS1_11target_archE906ELNS1_3gpuE6ELNS1_3repE0EEENS1_30default_config_static_selectorELNS0_4arch9wavefront6targetE1EEEvT1_,"axG",@progbits,_ZN7rocprim17ROCPRIM_400000_NS6detail17trampoline_kernelINS0_14default_configENS1_25partition_config_selectorILNS1_17partition_subalgoE3EsNS0_10empty_typeEbEEZZNS1_14partition_implILS5_3ELb0ES3_jN6thrust23THRUST_200600_302600_NS6detail15normal_iteratorINSA_7pointerIsNSA_11hip_rocprim3tagENSA_11use_defaultESG_EEEEPS6_SJ_NS0_5tupleIJPsSJ_EEENSK_IJSJ_SJ_EEES6_PlJ7is_evenIsEEEE10hipError_tPvRmT3_T4_T5_T6_T7_T9_mT8_P12ihipStream_tbDpT10_ENKUlT_T0_E_clISt17integral_constantIbLb0EES1A_EEDaS15_S16_EUlS15_E_NS1_11comp_targetILNS1_3genE2ELNS1_11target_archE906ELNS1_3gpuE6ELNS1_3repE0EEENS1_30default_config_static_selectorELNS0_4arch9wavefront6targetE1EEEvT1_,comdat
.Lfunc_end144:
	.size	_ZN7rocprim17ROCPRIM_400000_NS6detail17trampoline_kernelINS0_14default_configENS1_25partition_config_selectorILNS1_17partition_subalgoE3EsNS0_10empty_typeEbEEZZNS1_14partition_implILS5_3ELb0ES3_jN6thrust23THRUST_200600_302600_NS6detail15normal_iteratorINSA_7pointerIsNSA_11hip_rocprim3tagENSA_11use_defaultESG_EEEEPS6_SJ_NS0_5tupleIJPsSJ_EEENSK_IJSJ_SJ_EEES6_PlJ7is_evenIsEEEE10hipError_tPvRmT3_T4_T5_T6_T7_T9_mT8_P12ihipStream_tbDpT10_ENKUlT_T0_E_clISt17integral_constantIbLb0EES1A_EEDaS15_S16_EUlS15_E_NS1_11comp_targetILNS1_3genE2ELNS1_11target_archE906ELNS1_3gpuE6ELNS1_3repE0EEENS1_30default_config_static_selectorELNS0_4arch9wavefront6targetE1EEEvT1_, .Lfunc_end144-_ZN7rocprim17ROCPRIM_400000_NS6detail17trampoline_kernelINS0_14default_configENS1_25partition_config_selectorILNS1_17partition_subalgoE3EsNS0_10empty_typeEbEEZZNS1_14partition_implILS5_3ELb0ES3_jN6thrust23THRUST_200600_302600_NS6detail15normal_iteratorINSA_7pointerIsNSA_11hip_rocprim3tagENSA_11use_defaultESG_EEEEPS6_SJ_NS0_5tupleIJPsSJ_EEENSK_IJSJ_SJ_EEES6_PlJ7is_evenIsEEEE10hipError_tPvRmT3_T4_T5_T6_T7_T9_mT8_P12ihipStream_tbDpT10_ENKUlT_T0_E_clISt17integral_constantIbLb0EES1A_EEDaS15_S16_EUlS15_E_NS1_11comp_targetILNS1_3genE2ELNS1_11target_archE906ELNS1_3gpuE6ELNS1_3repE0EEENS1_30default_config_static_selectorELNS0_4arch9wavefront6targetE1EEEvT1_
                                        ; -- End function
	.section	.AMDGPU.csdata,"",@progbits
; Kernel info:
; codeLenInByte = 0
; NumSgprs: 6
; NumVgprs: 0
; NumAgprs: 0
; TotalNumVgprs: 0
; ScratchSize: 0
; MemoryBound: 0
; FloatMode: 240
; IeeeMode: 1
; LDSByteSize: 0 bytes/workgroup (compile time only)
; SGPRBlocks: 0
; VGPRBlocks: 0
; NumSGPRsForWavesPerEU: 6
; NumVGPRsForWavesPerEU: 1
; AccumOffset: 4
; Occupancy: 8
; WaveLimiterHint : 0
; COMPUTE_PGM_RSRC2:SCRATCH_EN: 0
; COMPUTE_PGM_RSRC2:USER_SGPR: 2
; COMPUTE_PGM_RSRC2:TRAP_HANDLER: 0
; COMPUTE_PGM_RSRC2:TGID_X_EN: 1
; COMPUTE_PGM_RSRC2:TGID_Y_EN: 0
; COMPUTE_PGM_RSRC2:TGID_Z_EN: 0
; COMPUTE_PGM_RSRC2:TIDIG_COMP_CNT: 0
; COMPUTE_PGM_RSRC3_GFX90A:ACCUM_OFFSET: 0
; COMPUTE_PGM_RSRC3_GFX90A:TG_SPLIT: 0
	.section	.text._ZN7rocprim17ROCPRIM_400000_NS6detail17trampoline_kernelINS0_14default_configENS1_25partition_config_selectorILNS1_17partition_subalgoE3EsNS0_10empty_typeEbEEZZNS1_14partition_implILS5_3ELb0ES3_jN6thrust23THRUST_200600_302600_NS6detail15normal_iteratorINSA_7pointerIsNSA_11hip_rocprim3tagENSA_11use_defaultESG_EEEEPS6_SJ_NS0_5tupleIJPsSJ_EEENSK_IJSJ_SJ_EEES6_PlJ7is_evenIsEEEE10hipError_tPvRmT3_T4_T5_T6_T7_T9_mT8_P12ihipStream_tbDpT10_ENKUlT_T0_E_clISt17integral_constantIbLb0EES1A_EEDaS15_S16_EUlS15_E_NS1_11comp_targetILNS1_3genE10ELNS1_11target_archE1200ELNS1_3gpuE4ELNS1_3repE0EEENS1_30default_config_static_selectorELNS0_4arch9wavefront6targetE1EEEvT1_,"axG",@progbits,_ZN7rocprim17ROCPRIM_400000_NS6detail17trampoline_kernelINS0_14default_configENS1_25partition_config_selectorILNS1_17partition_subalgoE3EsNS0_10empty_typeEbEEZZNS1_14partition_implILS5_3ELb0ES3_jN6thrust23THRUST_200600_302600_NS6detail15normal_iteratorINSA_7pointerIsNSA_11hip_rocprim3tagENSA_11use_defaultESG_EEEEPS6_SJ_NS0_5tupleIJPsSJ_EEENSK_IJSJ_SJ_EEES6_PlJ7is_evenIsEEEE10hipError_tPvRmT3_T4_T5_T6_T7_T9_mT8_P12ihipStream_tbDpT10_ENKUlT_T0_E_clISt17integral_constantIbLb0EES1A_EEDaS15_S16_EUlS15_E_NS1_11comp_targetILNS1_3genE10ELNS1_11target_archE1200ELNS1_3gpuE4ELNS1_3repE0EEENS1_30default_config_static_selectorELNS0_4arch9wavefront6targetE1EEEvT1_,comdat
	.protected	_ZN7rocprim17ROCPRIM_400000_NS6detail17trampoline_kernelINS0_14default_configENS1_25partition_config_selectorILNS1_17partition_subalgoE3EsNS0_10empty_typeEbEEZZNS1_14partition_implILS5_3ELb0ES3_jN6thrust23THRUST_200600_302600_NS6detail15normal_iteratorINSA_7pointerIsNSA_11hip_rocprim3tagENSA_11use_defaultESG_EEEEPS6_SJ_NS0_5tupleIJPsSJ_EEENSK_IJSJ_SJ_EEES6_PlJ7is_evenIsEEEE10hipError_tPvRmT3_T4_T5_T6_T7_T9_mT8_P12ihipStream_tbDpT10_ENKUlT_T0_E_clISt17integral_constantIbLb0EES1A_EEDaS15_S16_EUlS15_E_NS1_11comp_targetILNS1_3genE10ELNS1_11target_archE1200ELNS1_3gpuE4ELNS1_3repE0EEENS1_30default_config_static_selectorELNS0_4arch9wavefront6targetE1EEEvT1_ ; -- Begin function _ZN7rocprim17ROCPRIM_400000_NS6detail17trampoline_kernelINS0_14default_configENS1_25partition_config_selectorILNS1_17partition_subalgoE3EsNS0_10empty_typeEbEEZZNS1_14partition_implILS5_3ELb0ES3_jN6thrust23THRUST_200600_302600_NS6detail15normal_iteratorINSA_7pointerIsNSA_11hip_rocprim3tagENSA_11use_defaultESG_EEEEPS6_SJ_NS0_5tupleIJPsSJ_EEENSK_IJSJ_SJ_EEES6_PlJ7is_evenIsEEEE10hipError_tPvRmT3_T4_T5_T6_T7_T9_mT8_P12ihipStream_tbDpT10_ENKUlT_T0_E_clISt17integral_constantIbLb0EES1A_EEDaS15_S16_EUlS15_E_NS1_11comp_targetILNS1_3genE10ELNS1_11target_archE1200ELNS1_3gpuE4ELNS1_3repE0EEENS1_30default_config_static_selectorELNS0_4arch9wavefront6targetE1EEEvT1_
	.globl	_ZN7rocprim17ROCPRIM_400000_NS6detail17trampoline_kernelINS0_14default_configENS1_25partition_config_selectorILNS1_17partition_subalgoE3EsNS0_10empty_typeEbEEZZNS1_14partition_implILS5_3ELb0ES3_jN6thrust23THRUST_200600_302600_NS6detail15normal_iteratorINSA_7pointerIsNSA_11hip_rocprim3tagENSA_11use_defaultESG_EEEEPS6_SJ_NS0_5tupleIJPsSJ_EEENSK_IJSJ_SJ_EEES6_PlJ7is_evenIsEEEE10hipError_tPvRmT3_T4_T5_T6_T7_T9_mT8_P12ihipStream_tbDpT10_ENKUlT_T0_E_clISt17integral_constantIbLb0EES1A_EEDaS15_S16_EUlS15_E_NS1_11comp_targetILNS1_3genE10ELNS1_11target_archE1200ELNS1_3gpuE4ELNS1_3repE0EEENS1_30default_config_static_selectorELNS0_4arch9wavefront6targetE1EEEvT1_
	.p2align	8
	.type	_ZN7rocprim17ROCPRIM_400000_NS6detail17trampoline_kernelINS0_14default_configENS1_25partition_config_selectorILNS1_17partition_subalgoE3EsNS0_10empty_typeEbEEZZNS1_14partition_implILS5_3ELb0ES3_jN6thrust23THRUST_200600_302600_NS6detail15normal_iteratorINSA_7pointerIsNSA_11hip_rocprim3tagENSA_11use_defaultESG_EEEEPS6_SJ_NS0_5tupleIJPsSJ_EEENSK_IJSJ_SJ_EEES6_PlJ7is_evenIsEEEE10hipError_tPvRmT3_T4_T5_T6_T7_T9_mT8_P12ihipStream_tbDpT10_ENKUlT_T0_E_clISt17integral_constantIbLb0EES1A_EEDaS15_S16_EUlS15_E_NS1_11comp_targetILNS1_3genE10ELNS1_11target_archE1200ELNS1_3gpuE4ELNS1_3repE0EEENS1_30default_config_static_selectorELNS0_4arch9wavefront6targetE1EEEvT1_,@function
_ZN7rocprim17ROCPRIM_400000_NS6detail17trampoline_kernelINS0_14default_configENS1_25partition_config_selectorILNS1_17partition_subalgoE3EsNS0_10empty_typeEbEEZZNS1_14partition_implILS5_3ELb0ES3_jN6thrust23THRUST_200600_302600_NS6detail15normal_iteratorINSA_7pointerIsNSA_11hip_rocprim3tagENSA_11use_defaultESG_EEEEPS6_SJ_NS0_5tupleIJPsSJ_EEENSK_IJSJ_SJ_EEES6_PlJ7is_evenIsEEEE10hipError_tPvRmT3_T4_T5_T6_T7_T9_mT8_P12ihipStream_tbDpT10_ENKUlT_T0_E_clISt17integral_constantIbLb0EES1A_EEDaS15_S16_EUlS15_E_NS1_11comp_targetILNS1_3genE10ELNS1_11target_archE1200ELNS1_3gpuE4ELNS1_3repE0EEENS1_30default_config_static_selectorELNS0_4arch9wavefront6targetE1EEEvT1_: ; @_ZN7rocprim17ROCPRIM_400000_NS6detail17trampoline_kernelINS0_14default_configENS1_25partition_config_selectorILNS1_17partition_subalgoE3EsNS0_10empty_typeEbEEZZNS1_14partition_implILS5_3ELb0ES3_jN6thrust23THRUST_200600_302600_NS6detail15normal_iteratorINSA_7pointerIsNSA_11hip_rocprim3tagENSA_11use_defaultESG_EEEEPS6_SJ_NS0_5tupleIJPsSJ_EEENSK_IJSJ_SJ_EEES6_PlJ7is_evenIsEEEE10hipError_tPvRmT3_T4_T5_T6_T7_T9_mT8_P12ihipStream_tbDpT10_ENKUlT_T0_E_clISt17integral_constantIbLb0EES1A_EEDaS15_S16_EUlS15_E_NS1_11comp_targetILNS1_3genE10ELNS1_11target_archE1200ELNS1_3gpuE4ELNS1_3repE0EEENS1_30default_config_static_selectorELNS0_4arch9wavefront6targetE1EEEvT1_
; %bb.0:
	.section	.rodata,"a",@progbits
	.p2align	6, 0x0
	.amdhsa_kernel _ZN7rocprim17ROCPRIM_400000_NS6detail17trampoline_kernelINS0_14default_configENS1_25partition_config_selectorILNS1_17partition_subalgoE3EsNS0_10empty_typeEbEEZZNS1_14partition_implILS5_3ELb0ES3_jN6thrust23THRUST_200600_302600_NS6detail15normal_iteratorINSA_7pointerIsNSA_11hip_rocprim3tagENSA_11use_defaultESG_EEEEPS6_SJ_NS0_5tupleIJPsSJ_EEENSK_IJSJ_SJ_EEES6_PlJ7is_evenIsEEEE10hipError_tPvRmT3_T4_T5_T6_T7_T9_mT8_P12ihipStream_tbDpT10_ENKUlT_T0_E_clISt17integral_constantIbLb0EES1A_EEDaS15_S16_EUlS15_E_NS1_11comp_targetILNS1_3genE10ELNS1_11target_archE1200ELNS1_3gpuE4ELNS1_3repE0EEENS1_30default_config_static_selectorELNS0_4arch9wavefront6targetE1EEEvT1_
		.amdhsa_group_segment_fixed_size 0
		.amdhsa_private_segment_fixed_size 0
		.amdhsa_kernarg_size 120
		.amdhsa_user_sgpr_count 2
		.amdhsa_user_sgpr_dispatch_ptr 0
		.amdhsa_user_sgpr_queue_ptr 0
		.amdhsa_user_sgpr_kernarg_segment_ptr 1
		.amdhsa_user_sgpr_dispatch_id 0
		.amdhsa_user_sgpr_kernarg_preload_length 0
		.amdhsa_user_sgpr_kernarg_preload_offset 0
		.amdhsa_user_sgpr_private_segment_size 0
		.amdhsa_uses_dynamic_stack 0
		.amdhsa_enable_private_segment 0
		.amdhsa_system_sgpr_workgroup_id_x 1
		.amdhsa_system_sgpr_workgroup_id_y 0
		.amdhsa_system_sgpr_workgroup_id_z 0
		.amdhsa_system_sgpr_workgroup_info 0
		.amdhsa_system_vgpr_workitem_id 0
		.amdhsa_next_free_vgpr 1
		.amdhsa_next_free_sgpr 0
		.amdhsa_accum_offset 4
		.amdhsa_reserve_vcc 0
		.amdhsa_float_round_mode_32 0
		.amdhsa_float_round_mode_16_64 0
		.amdhsa_float_denorm_mode_32 3
		.amdhsa_float_denorm_mode_16_64 3
		.amdhsa_dx10_clamp 1
		.amdhsa_ieee_mode 1
		.amdhsa_fp16_overflow 0
		.amdhsa_tg_split 0
		.amdhsa_exception_fp_ieee_invalid_op 0
		.amdhsa_exception_fp_denorm_src 0
		.amdhsa_exception_fp_ieee_div_zero 0
		.amdhsa_exception_fp_ieee_overflow 0
		.amdhsa_exception_fp_ieee_underflow 0
		.amdhsa_exception_fp_ieee_inexact 0
		.amdhsa_exception_int_div_zero 0
	.end_amdhsa_kernel
	.section	.text._ZN7rocprim17ROCPRIM_400000_NS6detail17trampoline_kernelINS0_14default_configENS1_25partition_config_selectorILNS1_17partition_subalgoE3EsNS0_10empty_typeEbEEZZNS1_14partition_implILS5_3ELb0ES3_jN6thrust23THRUST_200600_302600_NS6detail15normal_iteratorINSA_7pointerIsNSA_11hip_rocprim3tagENSA_11use_defaultESG_EEEEPS6_SJ_NS0_5tupleIJPsSJ_EEENSK_IJSJ_SJ_EEES6_PlJ7is_evenIsEEEE10hipError_tPvRmT3_T4_T5_T6_T7_T9_mT8_P12ihipStream_tbDpT10_ENKUlT_T0_E_clISt17integral_constantIbLb0EES1A_EEDaS15_S16_EUlS15_E_NS1_11comp_targetILNS1_3genE10ELNS1_11target_archE1200ELNS1_3gpuE4ELNS1_3repE0EEENS1_30default_config_static_selectorELNS0_4arch9wavefront6targetE1EEEvT1_,"axG",@progbits,_ZN7rocprim17ROCPRIM_400000_NS6detail17trampoline_kernelINS0_14default_configENS1_25partition_config_selectorILNS1_17partition_subalgoE3EsNS0_10empty_typeEbEEZZNS1_14partition_implILS5_3ELb0ES3_jN6thrust23THRUST_200600_302600_NS6detail15normal_iteratorINSA_7pointerIsNSA_11hip_rocprim3tagENSA_11use_defaultESG_EEEEPS6_SJ_NS0_5tupleIJPsSJ_EEENSK_IJSJ_SJ_EEES6_PlJ7is_evenIsEEEE10hipError_tPvRmT3_T4_T5_T6_T7_T9_mT8_P12ihipStream_tbDpT10_ENKUlT_T0_E_clISt17integral_constantIbLb0EES1A_EEDaS15_S16_EUlS15_E_NS1_11comp_targetILNS1_3genE10ELNS1_11target_archE1200ELNS1_3gpuE4ELNS1_3repE0EEENS1_30default_config_static_selectorELNS0_4arch9wavefront6targetE1EEEvT1_,comdat
.Lfunc_end145:
	.size	_ZN7rocprim17ROCPRIM_400000_NS6detail17trampoline_kernelINS0_14default_configENS1_25partition_config_selectorILNS1_17partition_subalgoE3EsNS0_10empty_typeEbEEZZNS1_14partition_implILS5_3ELb0ES3_jN6thrust23THRUST_200600_302600_NS6detail15normal_iteratorINSA_7pointerIsNSA_11hip_rocprim3tagENSA_11use_defaultESG_EEEEPS6_SJ_NS0_5tupleIJPsSJ_EEENSK_IJSJ_SJ_EEES6_PlJ7is_evenIsEEEE10hipError_tPvRmT3_T4_T5_T6_T7_T9_mT8_P12ihipStream_tbDpT10_ENKUlT_T0_E_clISt17integral_constantIbLb0EES1A_EEDaS15_S16_EUlS15_E_NS1_11comp_targetILNS1_3genE10ELNS1_11target_archE1200ELNS1_3gpuE4ELNS1_3repE0EEENS1_30default_config_static_selectorELNS0_4arch9wavefront6targetE1EEEvT1_, .Lfunc_end145-_ZN7rocprim17ROCPRIM_400000_NS6detail17trampoline_kernelINS0_14default_configENS1_25partition_config_selectorILNS1_17partition_subalgoE3EsNS0_10empty_typeEbEEZZNS1_14partition_implILS5_3ELb0ES3_jN6thrust23THRUST_200600_302600_NS6detail15normal_iteratorINSA_7pointerIsNSA_11hip_rocprim3tagENSA_11use_defaultESG_EEEEPS6_SJ_NS0_5tupleIJPsSJ_EEENSK_IJSJ_SJ_EEES6_PlJ7is_evenIsEEEE10hipError_tPvRmT3_T4_T5_T6_T7_T9_mT8_P12ihipStream_tbDpT10_ENKUlT_T0_E_clISt17integral_constantIbLb0EES1A_EEDaS15_S16_EUlS15_E_NS1_11comp_targetILNS1_3genE10ELNS1_11target_archE1200ELNS1_3gpuE4ELNS1_3repE0EEENS1_30default_config_static_selectorELNS0_4arch9wavefront6targetE1EEEvT1_
                                        ; -- End function
	.section	.AMDGPU.csdata,"",@progbits
; Kernel info:
; codeLenInByte = 0
; NumSgprs: 6
; NumVgprs: 0
; NumAgprs: 0
; TotalNumVgprs: 0
; ScratchSize: 0
; MemoryBound: 0
; FloatMode: 240
; IeeeMode: 1
; LDSByteSize: 0 bytes/workgroup (compile time only)
; SGPRBlocks: 0
; VGPRBlocks: 0
; NumSGPRsForWavesPerEU: 6
; NumVGPRsForWavesPerEU: 1
; AccumOffset: 4
; Occupancy: 8
; WaveLimiterHint : 0
; COMPUTE_PGM_RSRC2:SCRATCH_EN: 0
; COMPUTE_PGM_RSRC2:USER_SGPR: 2
; COMPUTE_PGM_RSRC2:TRAP_HANDLER: 0
; COMPUTE_PGM_RSRC2:TGID_X_EN: 1
; COMPUTE_PGM_RSRC2:TGID_Y_EN: 0
; COMPUTE_PGM_RSRC2:TGID_Z_EN: 0
; COMPUTE_PGM_RSRC2:TIDIG_COMP_CNT: 0
; COMPUTE_PGM_RSRC3_GFX90A:ACCUM_OFFSET: 0
; COMPUTE_PGM_RSRC3_GFX90A:TG_SPLIT: 0
	.section	.text._ZN7rocprim17ROCPRIM_400000_NS6detail17trampoline_kernelINS0_14default_configENS1_25partition_config_selectorILNS1_17partition_subalgoE3EsNS0_10empty_typeEbEEZZNS1_14partition_implILS5_3ELb0ES3_jN6thrust23THRUST_200600_302600_NS6detail15normal_iteratorINSA_7pointerIsNSA_11hip_rocprim3tagENSA_11use_defaultESG_EEEEPS6_SJ_NS0_5tupleIJPsSJ_EEENSK_IJSJ_SJ_EEES6_PlJ7is_evenIsEEEE10hipError_tPvRmT3_T4_T5_T6_T7_T9_mT8_P12ihipStream_tbDpT10_ENKUlT_T0_E_clISt17integral_constantIbLb0EES1A_EEDaS15_S16_EUlS15_E_NS1_11comp_targetILNS1_3genE9ELNS1_11target_archE1100ELNS1_3gpuE3ELNS1_3repE0EEENS1_30default_config_static_selectorELNS0_4arch9wavefront6targetE1EEEvT1_,"axG",@progbits,_ZN7rocprim17ROCPRIM_400000_NS6detail17trampoline_kernelINS0_14default_configENS1_25partition_config_selectorILNS1_17partition_subalgoE3EsNS0_10empty_typeEbEEZZNS1_14partition_implILS5_3ELb0ES3_jN6thrust23THRUST_200600_302600_NS6detail15normal_iteratorINSA_7pointerIsNSA_11hip_rocprim3tagENSA_11use_defaultESG_EEEEPS6_SJ_NS0_5tupleIJPsSJ_EEENSK_IJSJ_SJ_EEES6_PlJ7is_evenIsEEEE10hipError_tPvRmT3_T4_T5_T6_T7_T9_mT8_P12ihipStream_tbDpT10_ENKUlT_T0_E_clISt17integral_constantIbLb0EES1A_EEDaS15_S16_EUlS15_E_NS1_11comp_targetILNS1_3genE9ELNS1_11target_archE1100ELNS1_3gpuE3ELNS1_3repE0EEENS1_30default_config_static_selectorELNS0_4arch9wavefront6targetE1EEEvT1_,comdat
	.protected	_ZN7rocprim17ROCPRIM_400000_NS6detail17trampoline_kernelINS0_14default_configENS1_25partition_config_selectorILNS1_17partition_subalgoE3EsNS0_10empty_typeEbEEZZNS1_14partition_implILS5_3ELb0ES3_jN6thrust23THRUST_200600_302600_NS6detail15normal_iteratorINSA_7pointerIsNSA_11hip_rocprim3tagENSA_11use_defaultESG_EEEEPS6_SJ_NS0_5tupleIJPsSJ_EEENSK_IJSJ_SJ_EEES6_PlJ7is_evenIsEEEE10hipError_tPvRmT3_T4_T5_T6_T7_T9_mT8_P12ihipStream_tbDpT10_ENKUlT_T0_E_clISt17integral_constantIbLb0EES1A_EEDaS15_S16_EUlS15_E_NS1_11comp_targetILNS1_3genE9ELNS1_11target_archE1100ELNS1_3gpuE3ELNS1_3repE0EEENS1_30default_config_static_selectorELNS0_4arch9wavefront6targetE1EEEvT1_ ; -- Begin function _ZN7rocprim17ROCPRIM_400000_NS6detail17trampoline_kernelINS0_14default_configENS1_25partition_config_selectorILNS1_17partition_subalgoE3EsNS0_10empty_typeEbEEZZNS1_14partition_implILS5_3ELb0ES3_jN6thrust23THRUST_200600_302600_NS6detail15normal_iteratorINSA_7pointerIsNSA_11hip_rocprim3tagENSA_11use_defaultESG_EEEEPS6_SJ_NS0_5tupleIJPsSJ_EEENSK_IJSJ_SJ_EEES6_PlJ7is_evenIsEEEE10hipError_tPvRmT3_T4_T5_T6_T7_T9_mT8_P12ihipStream_tbDpT10_ENKUlT_T0_E_clISt17integral_constantIbLb0EES1A_EEDaS15_S16_EUlS15_E_NS1_11comp_targetILNS1_3genE9ELNS1_11target_archE1100ELNS1_3gpuE3ELNS1_3repE0EEENS1_30default_config_static_selectorELNS0_4arch9wavefront6targetE1EEEvT1_
	.globl	_ZN7rocprim17ROCPRIM_400000_NS6detail17trampoline_kernelINS0_14default_configENS1_25partition_config_selectorILNS1_17partition_subalgoE3EsNS0_10empty_typeEbEEZZNS1_14partition_implILS5_3ELb0ES3_jN6thrust23THRUST_200600_302600_NS6detail15normal_iteratorINSA_7pointerIsNSA_11hip_rocprim3tagENSA_11use_defaultESG_EEEEPS6_SJ_NS0_5tupleIJPsSJ_EEENSK_IJSJ_SJ_EEES6_PlJ7is_evenIsEEEE10hipError_tPvRmT3_T4_T5_T6_T7_T9_mT8_P12ihipStream_tbDpT10_ENKUlT_T0_E_clISt17integral_constantIbLb0EES1A_EEDaS15_S16_EUlS15_E_NS1_11comp_targetILNS1_3genE9ELNS1_11target_archE1100ELNS1_3gpuE3ELNS1_3repE0EEENS1_30default_config_static_selectorELNS0_4arch9wavefront6targetE1EEEvT1_
	.p2align	8
	.type	_ZN7rocprim17ROCPRIM_400000_NS6detail17trampoline_kernelINS0_14default_configENS1_25partition_config_selectorILNS1_17partition_subalgoE3EsNS0_10empty_typeEbEEZZNS1_14partition_implILS5_3ELb0ES3_jN6thrust23THRUST_200600_302600_NS6detail15normal_iteratorINSA_7pointerIsNSA_11hip_rocprim3tagENSA_11use_defaultESG_EEEEPS6_SJ_NS0_5tupleIJPsSJ_EEENSK_IJSJ_SJ_EEES6_PlJ7is_evenIsEEEE10hipError_tPvRmT3_T4_T5_T6_T7_T9_mT8_P12ihipStream_tbDpT10_ENKUlT_T0_E_clISt17integral_constantIbLb0EES1A_EEDaS15_S16_EUlS15_E_NS1_11comp_targetILNS1_3genE9ELNS1_11target_archE1100ELNS1_3gpuE3ELNS1_3repE0EEENS1_30default_config_static_selectorELNS0_4arch9wavefront6targetE1EEEvT1_,@function
_ZN7rocprim17ROCPRIM_400000_NS6detail17trampoline_kernelINS0_14default_configENS1_25partition_config_selectorILNS1_17partition_subalgoE3EsNS0_10empty_typeEbEEZZNS1_14partition_implILS5_3ELb0ES3_jN6thrust23THRUST_200600_302600_NS6detail15normal_iteratorINSA_7pointerIsNSA_11hip_rocprim3tagENSA_11use_defaultESG_EEEEPS6_SJ_NS0_5tupleIJPsSJ_EEENSK_IJSJ_SJ_EEES6_PlJ7is_evenIsEEEE10hipError_tPvRmT3_T4_T5_T6_T7_T9_mT8_P12ihipStream_tbDpT10_ENKUlT_T0_E_clISt17integral_constantIbLb0EES1A_EEDaS15_S16_EUlS15_E_NS1_11comp_targetILNS1_3genE9ELNS1_11target_archE1100ELNS1_3gpuE3ELNS1_3repE0EEENS1_30default_config_static_selectorELNS0_4arch9wavefront6targetE1EEEvT1_: ; @_ZN7rocprim17ROCPRIM_400000_NS6detail17trampoline_kernelINS0_14default_configENS1_25partition_config_selectorILNS1_17partition_subalgoE3EsNS0_10empty_typeEbEEZZNS1_14partition_implILS5_3ELb0ES3_jN6thrust23THRUST_200600_302600_NS6detail15normal_iteratorINSA_7pointerIsNSA_11hip_rocprim3tagENSA_11use_defaultESG_EEEEPS6_SJ_NS0_5tupleIJPsSJ_EEENSK_IJSJ_SJ_EEES6_PlJ7is_evenIsEEEE10hipError_tPvRmT3_T4_T5_T6_T7_T9_mT8_P12ihipStream_tbDpT10_ENKUlT_T0_E_clISt17integral_constantIbLb0EES1A_EEDaS15_S16_EUlS15_E_NS1_11comp_targetILNS1_3genE9ELNS1_11target_archE1100ELNS1_3gpuE3ELNS1_3repE0EEENS1_30default_config_static_selectorELNS0_4arch9wavefront6targetE1EEEvT1_
; %bb.0:
	.section	.rodata,"a",@progbits
	.p2align	6, 0x0
	.amdhsa_kernel _ZN7rocprim17ROCPRIM_400000_NS6detail17trampoline_kernelINS0_14default_configENS1_25partition_config_selectorILNS1_17partition_subalgoE3EsNS0_10empty_typeEbEEZZNS1_14partition_implILS5_3ELb0ES3_jN6thrust23THRUST_200600_302600_NS6detail15normal_iteratorINSA_7pointerIsNSA_11hip_rocprim3tagENSA_11use_defaultESG_EEEEPS6_SJ_NS0_5tupleIJPsSJ_EEENSK_IJSJ_SJ_EEES6_PlJ7is_evenIsEEEE10hipError_tPvRmT3_T4_T5_T6_T7_T9_mT8_P12ihipStream_tbDpT10_ENKUlT_T0_E_clISt17integral_constantIbLb0EES1A_EEDaS15_S16_EUlS15_E_NS1_11comp_targetILNS1_3genE9ELNS1_11target_archE1100ELNS1_3gpuE3ELNS1_3repE0EEENS1_30default_config_static_selectorELNS0_4arch9wavefront6targetE1EEEvT1_
		.amdhsa_group_segment_fixed_size 0
		.amdhsa_private_segment_fixed_size 0
		.amdhsa_kernarg_size 120
		.amdhsa_user_sgpr_count 2
		.amdhsa_user_sgpr_dispatch_ptr 0
		.amdhsa_user_sgpr_queue_ptr 0
		.amdhsa_user_sgpr_kernarg_segment_ptr 1
		.amdhsa_user_sgpr_dispatch_id 0
		.amdhsa_user_sgpr_kernarg_preload_length 0
		.amdhsa_user_sgpr_kernarg_preload_offset 0
		.amdhsa_user_sgpr_private_segment_size 0
		.amdhsa_uses_dynamic_stack 0
		.amdhsa_enable_private_segment 0
		.amdhsa_system_sgpr_workgroup_id_x 1
		.amdhsa_system_sgpr_workgroup_id_y 0
		.amdhsa_system_sgpr_workgroup_id_z 0
		.amdhsa_system_sgpr_workgroup_info 0
		.amdhsa_system_vgpr_workitem_id 0
		.amdhsa_next_free_vgpr 1
		.amdhsa_next_free_sgpr 0
		.amdhsa_accum_offset 4
		.amdhsa_reserve_vcc 0
		.amdhsa_float_round_mode_32 0
		.amdhsa_float_round_mode_16_64 0
		.amdhsa_float_denorm_mode_32 3
		.amdhsa_float_denorm_mode_16_64 3
		.amdhsa_dx10_clamp 1
		.amdhsa_ieee_mode 1
		.amdhsa_fp16_overflow 0
		.amdhsa_tg_split 0
		.amdhsa_exception_fp_ieee_invalid_op 0
		.amdhsa_exception_fp_denorm_src 0
		.amdhsa_exception_fp_ieee_div_zero 0
		.amdhsa_exception_fp_ieee_overflow 0
		.amdhsa_exception_fp_ieee_underflow 0
		.amdhsa_exception_fp_ieee_inexact 0
		.amdhsa_exception_int_div_zero 0
	.end_amdhsa_kernel
	.section	.text._ZN7rocprim17ROCPRIM_400000_NS6detail17trampoline_kernelINS0_14default_configENS1_25partition_config_selectorILNS1_17partition_subalgoE3EsNS0_10empty_typeEbEEZZNS1_14partition_implILS5_3ELb0ES3_jN6thrust23THRUST_200600_302600_NS6detail15normal_iteratorINSA_7pointerIsNSA_11hip_rocprim3tagENSA_11use_defaultESG_EEEEPS6_SJ_NS0_5tupleIJPsSJ_EEENSK_IJSJ_SJ_EEES6_PlJ7is_evenIsEEEE10hipError_tPvRmT3_T4_T5_T6_T7_T9_mT8_P12ihipStream_tbDpT10_ENKUlT_T0_E_clISt17integral_constantIbLb0EES1A_EEDaS15_S16_EUlS15_E_NS1_11comp_targetILNS1_3genE9ELNS1_11target_archE1100ELNS1_3gpuE3ELNS1_3repE0EEENS1_30default_config_static_selectorELNS0_4arch9wavefront6targetE1EEEvT1_,"axG",@progbits,_ZN7rocprim17ROCPRIM_400000_NS6detail17trampoline_kernelINS0_14default_configENS1_25partition_config_selectorILNS1_17partition_subalgoE3EsNS0_10empty_typeEbEEZZNS1_14partition_implILS5_3ELb0ES3_jN6thrust23THRUST_200600_302600_NS6detail15normal_iteratorINSA_7pointerIsNSA_11hip_rocprim3tagENSA_11use_defaultESG_EEEEPS6_SJ_NS0_5tupleIJPsSJ_EEENSK_IJSJ_SJ_EEES6_PlJ7is_evenIsEEEE10hipError_tPvRmT3_T4_T5_T6_T7_T9_mT8_P12ihipStream_tbDpT10_ENKUlT_T0_E_clISt17integral_constantIbLb0EES1A_EEDaS15_S16_EUlS15_E_NS1_11comp_targetILNS1_3genE9ELNS1_11target_archE1100ELNS1_3gpuE3ELNS1_3repE0EEENS1_30default_config_static_selectorELNS0_4arch9wavefront6targetE1EEEvT1_,comdat
.Lfunc_end146:
	.size	_ZN7rocprim17ROCPRIM_400000_NS6detail17trampoline_kernelINS0_14default_configENS1_25partition_config_selectorILNS1_17partition_subalgoE3EsNS0_10empty_typeEbEEZZNS1_14partition_implILS5_3ELb0ES3_jN6thrust23THRUST_200600_302600_NS6detail15normal_iteratorINSA_7pointerIsNSA_11hip_rocprim3tagENSA_11use_defaultESG_EEEEPS6_SJ_NS0_5tupleIJPsSJ_EEENSK_IJSJ_SJ_EEES6_PlJ7is_evenIsEEEE10hipError_tPvRmT3_T4_T5_T6_T7_T9_mT8_P12ihipStream_tbDpT10_ENKUlT_T0_E_clISt17integral_constantIbLb0EES1A_EEDaS15_S16_EUlS15_E_NS1_11comp_targetILNS1_3genE9ELNS1_11target_archE1100ELNS1_3gpuE3ELNS1_3repE0EEENS1_30default_config_static_selectorELNS0_4arch9wavefront6targetE1EEEvT1_, .Lfunc_end146-_ZN7rocprim17ROCPRIM_400000_NS6detail17trampoline_kernelINS0_14default_configENS1_25partition_config_selectorILNS1_17partition_subalgoE3EsNS0_10empty_typeEbEEZZNS1_14partition_implILS5_3ELb0ES3_jN6thrust23THRUST_200600_302600_NS6detail15normal_iteratorINSA_7pointerIsNSA_11hip_rocprim3tagENSA_11use_defaultESG_EEEEPS6_SJ_NS0_5tupleIJPsSJ_EEENSK_IJSJ_SJ_EEES6_PlJ7is_evenIsEEEE10hipError_tPvRmT3_T4_T5_T6_T7_T9_mT8_P12ihipStream_tbDpT10_ENKUlT_T0_E_clISt17integral_constantIbLb0EES1A_EEDaS15_S16_EUlS15_E_NS1_11comp_targetILNS1_3genE9ELNS1_11target_archE1100ELNS1_3gpuE3ELNS1_3repE0EEENS1_30default_config_static_selectorELNS0_4arch9wavefront6targetE1EEEvT1_
                                        ; -- End function
	.section	.AMDGPU.csdata,"",@progbits
; Kernel info:
; codeLenInByte = 0
; NumSgprs: 6
; NumVgprs: 0
; NumAgprs: 0
; TotalNumVgprs: 0
; ScratchSize: 0
; MemoryBound: 0
; FloatMode: 240
; IeeeMode: 1
; LDSByteSize: 0 bytes/workgroup (compile time only)
; SGPRBlocks: 0
; VGPRBlocks: 0
; NumSGPRsForWavesPerEU: 6
; NumVGPRsForWavesPerEU: 1
; AccumOffset: 4
; Occupancy: 8
; WaveLimiterHint : 0
; COMPUTE_PGM_RSRC2:SCRATCH_EN: 0
; COMPUTE_PGM_RSRC2:USER_SGPR: 2
; COMPUTE_PGM_RSRC2:TRAP_HANDLER: 0
; COMPUTE_PGM_RSRC2:TGID_X_EN: 1
; COMPUTE_PGM_RSRC2:TGID_Y_EN: 0
; COMPUTE_PGM_RSRC2:TGID_Z_EN: 0
; COMPUTE_PGM_RSRC2:TIDIG_COMP_CNT: 0
; COMPUTE_PGM_RSRC3_GFX90A:ACCUM_OFFSET: 0
; COMPUTE_PGM_RSRC3_GFX90A:TG_SPLIT: 0
	.section	.text._ZN7rocprim17ROCPRIM_400000_NS6detail17trampoline_kernelINS0_14default_configENS1_25partition_config_selectorILNS1_17partition_subalgoE3EsNS0_10empty_typeEbEEZZNS1_14partition_implILS5_3ELb0ES3_jN6thrust23THRUST_200600_302600_NS6detail15normal_iteratorINSA_7pointerIsNSA_11hip_rocprim3tagENSA_11use_defaultESG_EEEEPS6_SJ_NS0_5tupleIJPsSJ_EEENSK_IJSJ_SJ_EEES6_PlJ7is_evenIsEEEE10hipError_tPvRmT3_T4_T5_T6_T7_T9_mT8_P12ihipStream_tbDpT10_ENKUlT_T0_E_clISt17integral_constantIbLb0EES1A_EEDaS15_S16_EUlS15_E_NS1_11comp_targetILNS1_3genE8ELNS1_11target_archE1030ELNS1_3gpuE2ELNS1_3repE0EEENS1_30default_config_static_selectorELNS0_4arch9wavefront6targetE1EEEvT1_,"axG",@progbits,_ZN7rocprim17ROCPRIM_400000_NS6detail17trampoline_kernelINS0_14default_configENS1_25partition_config_selectorILNS1_17partition_subalgoE3EsNS0_10empty_typeEbEEZZNS1_14partition_implILS5_3ELb0ES3_jN6thrust23THRUST_200600_302600_NS6detail15normal_iteratorINSA_7pointerIsNSA_11hip_rocprim3tagENSA_11use_defaultESG_EEEEPS6_SJ_NS0_5tupleIJPsSJ_EEENSK_IJSJ_SJ_EEES6_PlJ7is_evenIsEEEE10hipError_tPvRmT3_T4_T5_T6_T7_T9_mT8_P12ihipStream_tbDpT10_ENKUlT_T0_E_clISt17integral_constantIbLb0EES1A_EEDaS15_S16_EUlS15_E_NS1_11comp_targetILNS1_3genE8ELNS1_11target_archE1030ELNS1_3gpuE2ELNS1_3repE0EEENS1_30default_config_static_selectorELNS0_4arch9wavefront6targetE1EEEvT1_,comdat
	.protected	_ZN7rocprim17ROCPRIM_400000_NS6detail17trampoline_kernelINS0_14default_configENS1_25partition_config_selectorILNS1_17partition_subalgoE3EsNS0_10empty_typeEbEEZZNS1_14partition_implILS5_3ELb0ES3_jN6thrust23THRUST_200600_302600_NS6detail15normal_iteratorINSA_7pointerIsNSA_11hip_rocprim3tagENSA_11use_defaultESG_EEEEPS6_SJ_NS0_5tupleIJPsSJ_EEENSK_IJSJ_SJ_EEES6_PlJ7is_evenIsEEEE10hipError_tPvRmT3_T4_T5_T6_T7_T9_mT8_P12ihipStream_tbDpT10_ENKUlT_T0_E_clISt17integral_constantIbLb0EES1A_EEDaS15_S16_EUlS15_E_NS1_11comp_targetILNS1_3genE8ELNS1_11target_archE1030ELNS1_3gpuE2ELNS1_3repE0EEENS1_30default_config_static_selectorELNS0_4arch9wavefront6targetE1EEEvT1_ ; -- Begin function _ZN7rocprim17ROCPRIM_400000_NS6detail17trampoline_kernelINS0_14default_configENS1_25partition_config_selectorILNS1_17partition_subalgoE3EsNS0_10empty_typeEbEEZZNS1_14partition_implILS5_3ELb0ES3_jN6thrust23THRUST_200600_302600_NS6detail15normal_iteratorINSA_7pointerIsNSA_11hip_rocprim3tagENSA_11use_defaultESG_EEEEPS6_SJ_NS0_5tupleIJPsSJ_EEENSK_IJSJ_SJ_EEES6_PlJ7is_evenIsEEEE10hipError_tPvRmT3_T4_T5_T6_T7_T9_mT8_P12ihipStream_tbDpT10_ENKUlT_T0_E_clISt17integral_constantIbLb0EES1A_EEDaS15_S16_EUlS15_E_NS1_11comp_targetILNS1_3genE8ELNS1_11target_archE1030ELNS1_3gpuE2ELNS1_3repE0EEENS1_30default_config_static_selectorELNS0_4arch9wavefront6targetE1EEEvT1_
	.globl	_ZN7rocprim17ROCPRIM_400000_NS6detail17trampoline_kernelINS0_14default_configENS1_25partition_config_selectorILNS1_17partition_subalgoE3EsNS0_10empty_typeEbEEZZNS1_14partition_implILS5_3ELb0ES3_jN6thrust23THRUST_200600_302600_NS6detail15normal_iteratorINSA_7pointerIsNSA_11hip_rocprim3tagENSA_11use_defaultESG_EEEEPS6_SJ_NS0_5tupleIJPsSJ_EEENSK_IJSJ_SJ_EEES6_PlJ7is_evenIsEEEE10hipError_tPvRmT3_T4_T5_T6_T7_T9_mT8_P12ihipStream_tbDpT10_ENKUlT_T0_E_clISt17integral_constantIbLb0EES1A_EEDaS15_S16_EUlS15_E_NS1_11comp_targetILNS1_3genE8ELNS1_11target_archE1030ELNS1_3gpuE2ELNS1_3repE0EEENS1_30default_config_static_selectorELNS0_4arch9wavefront6targetE1EEEvT1_
	.p2align	8
	.type	_ZN7rocprim17ROCPRIM_400000_NS6detail17trampoline_kernelINS0_14default_configENS1_25partition_config_selectorILNS1_17partition_subalgoE3EsNS0_10empty_typeEbEEZZNS1_14partition_implILS5_3ELb0ES3_jN6thrust23THRUST_200600_302600_NS6detail15normal_iteratorINSA_7pointerIsNSA_11hip_rocprim3tagENSA_11use_defaultESG_EEEEPS6_SJ_NS0_5tupleIJPsSJ_EEENSK_IJSJ_SJ_EEES6_PlJ7is_evenIsEEEE10hipError_tPvRmT3_T4_T5_T6_T7_T9_mT8_P12ihipStream_tbDpT10_ENKUlT_T0_E_clISt17integral_constantIbLb0EES1A_EEDaS15_S16_EUlS15_E_NS1_11comp_targetILNS1_3genE8ELNS1_11target_archE1030ELNS1_3gpuE2ELNS1_3repE0EEENS1_30default_config_static_selectorELNS0_4arch9wavefront6targetE1EEEvT1_,@function
_ZN7rocprim17ROCPRIM_400000_NS6detail17trampoline_kernelINS0_14default_configENS1_25partition_config_selectorILNS1_17partition_subalgoE3EsNS0_10empty_typeEbEEZZNS1_14partition_implILS5_3ELb0ES3_jN6thrust23THRUST_200600_302600_NS6detail15normal_iteratorINSA_7pointerIsNSA_11hip_rocprim3tagENSA_11use_defaultESG_EEEEPS6_SJ_NS0_5tupleIJPsSJ_EEENSK_IJSJ_SJ_EEES6_PlJ7is_evenIsEEEE10hipError_tPvRmT3_T4_T5_T6_T7_T9_mT8_P12ihipStream_tbDpT10_ENKUlT_T0_E_clISt17integral_constantIbLb0EES1A_EEDaS15_S16_EUlS15_E_NS1_11comp_targetILNS1_3genE8ELNS1_11target_archE1030ELNS1_3gpuE2ELNS1_3repE0EEENS1_30default_config_static_selectorELNS0_4arch9wavefront6targetE1EEEvT1_: ; @_ZN7rocprim17ROCPRIM_400000_NS6detail17trampoline_kernelINS0_14default_configENS1_25partition_config_selectorILNS1_17partition_subalgoE3EsNS0_10empty_typeEbEEZZNS1_14partition_implILS5_3ELb0ES3_jN6thrust23THRUST_200600_302600_NS6detail15normal_iteratorINSA_7pointerIsNSA_11hip_rocprim3tagENSA_11use_defaultESG_EEEEPS6_SJ_NS0_5tupleIJPsSJ_EEENSK_IJSJ_SJ_EEES6_PlJ7is_evenIsEEEE10hipError_tPvRmT3_T4_T5_T6_T7_T9_mT8_P12ihipStream_tbDpT10_ENKUlT_T0_E_clISt17integral_constantIbLb0EES1A_EEDaS15_S16_EUlS15_E_NS1_11comp_targetILNS1_3genE8ELNS1_11target_archE1030ELNS1_3gpuE2ELNS1_3repE0EEENS1_30default_config_static_selectorELNS0_4arch9wavefront6targetE1EEEvT1_
; %bb.0:
	.section	.rodata,"a",@progbits
	.p2align	6, 0x0
	.amdhsa_kernel _ZN7rocprim17ROCPRIM_400000_NS6detail17trampoline_kernelINS0_14default_configENS1_25partition_config_selectorILNS1_17partition_subalgoE3EsNS0_10empty_typeEbEEZZNS1_14partition_implILS5_3ELb0ES3_jN6thrust23THRUST_200600_302600_NS6detail15normal_iteratorINSA_7pointerIsNSA_11hip_rocprim3tagENSA_11use_defaultESG_EEEEPS6_SJ_NS0_5tupleIJPsSJ_EEENSK_IJSJ_SJ_EEES6_PlJ7is_evenIsEEEE10hipError_tPvRmT3_T4_T5_T6_T7_T9_mT8_P12ihipStream_tbDpT10_ENKUlT_T0_E_clISt17integral_constantIbLb0EES1A_EEDaS15_S16_EUlS15_E_NS1_11comp_targetILNS1_3genE8ELNS1_11target_archE1030ELNS1_3gpuE2ELNS1_3repE0EEENS1_30default_config_static_selectorELNS0_4arch9wavefront6targetE1EEEvT1_
		.amdhsa_group_segment_fixed_size 0
		.amdhsa_private_segment_fixed_size 0
		.amdhsa_kernarg_size 120
		.amdhsa_user_sgpr_count 2
		.amdhsa_user_sgpr_dispatch_ptr 0
		.amdhsa_user_sgpr_queue_ptr 0
		.amdhsa_user_sgpr_kernarg_segment_ptr 1
		.amdhsa_user_sgpr_dispatch_id 0
		.amdhsa_user_sgpr_kernarg_preload_length 0
		.amdhsa_user_sgpr_kernarg_preload_offset 0
		.amdhsa_user_sgpr_private_segment_size 0
		.amdhsa_uses_dynamic_stack 0
		.amdhsa_enable_private_segment 0
		.amdhsa_system_sgpr_workgroup_id_x 1
		.amdhsa_system_sgpr_workgroup_id_y 0
		.amdhsa_system_sgpr_workgroup_id_z 0
		.amdhsa_system_sgpr_workgroup_info 0
		.amdhsa_system_vgpr_workitem_id 0
		.amdhsa_next_free_vgpr 1
		.amdhsa_next_free_sgpr 0
		.amdhsa_accum_offset 4
		.amdhsa_reserve_vcc 0
		.amdhsa_float_round_mode_32 0
		.amdhsa_float_round_mode_16_64 0
		.amdhsa_float_denorm_mode_32 3
		.amdhsa_float_denorm_mode_16_64 3
		.amdhsa_dx10_clamp 1
		.amdhsa_ieee_mode 1
		.amdhsa_fp16_overflow 0
		.amdhsa_tg_split 0
		.amdhsa_exception_fp_ieee_invalid_op 0
		.amdhsa_exception_fp_denorm_src 0
		.amdhsa_exception_fp_ieee_div_zero 0
		.amdhsa_exception_fp_ieee_overflow 0
		.amdhsa_exception_fp_ieee_underflow 0
		.amdhsa_exception_fp_ieee_inexact 0
		.amdhsa_exception_int_div_zero 0
	.end_amdhsa_kernel
	.section	.text._ZN7rocprim17ROCPRIM_400000_NS6detail17trampoline_kernelINS0_14default_configENS1_25partition_config_selectorILNS1_17partition_subalgoE3EsNS0_10empty_typeEbEEZZNS1_14partition_implILS5_3ELb0ES3_jN6thrust23THRUST_200600_302600_NS6detail15normal_iteratorINSA_7pointerIsNSA_11hip_rocprim3tagENSA_11use_defaultESG_EEEEPS6_SJ_NS0_5tupleIJPsSJ_EEENSK_IJSJ_SJ_EEES6_PlJ7is_evenIsEEEE10hipError_tPvRmT3_T4_T5_T6_T7_T9_mT8_P12ihipStream_tbDpT10_ENKUlT_T0_E_clISt17integral_constantIbLb0EES1A_EEDaS15_S16_EUlS15_E_NS1_11comp_targetILNS1_3genE8ELNS1_11target_archE1030ELNS1_3gpuE2ELNS1_3repE0EEENS1_30default_config_static_selectorELNS0_4arch9wavefront6targetE1EEEvT1_,"axG",@progbits,_ZN7rocprim17ROCPRIM_400000_NS6detail17trampoline_kernelINS0_14default_configENS1_25partition_config_selectorILNS1_17partition_subalgoE3EsNS0_10empty_typeEbEEZZNS1_14partition_implILS5_3ELb0ES3_jN6thrust23THRUST_200600_302600_NS6detail15normal_iteratorINSA_7pointerIsNSA_11hip_rocprim3tagENSA_11use_defaultESG_EEEEPS6_SJ_NS0_5tupleIJPsSJ_EEENSK_IJSJ_SJ_EEES6_PlJ7is_evenIsEEEE10hipError_tPvRmT3_T4_T5_T6_T7_T9_mT8_P12ihipStream_tbDpT10_ENKUlT_T0_E_clISt17integral_constantIbLb0EES1A_EEDaS15_S16_EUlS15_E_NS1_11comp_targetILNS1_3genE8ELNS1_11target_archE1030ELNS1_3gpuE2ELNS1_3repE0EEENS1_30default_config_static_selectorELNS0_4arch9wavefront6targetE1EEEvT1_,comdat
.Lfunc_end147:
	.size	_ZN7rocprim17ROCPRIM_400000_NS6detail17trampoline_kernelINS0_14default_configENS1_25partition_config_selectorILNS1_17partition_subalgoE3EsNS0_10empty_typeEbEEZZNS1_14partition_implILS5_3ELb0ES3_jN6thrust23THRUST_200600_302600_NS6detail15normal_iteratorINSA_7pointerIsNSA_11hip_rocprim3tagENSA_11use_defaultESG_EEEEPS6_SJ_NS0_5tupleIJPsSJ_EEENSK_IJSJ_SJ_EEES6_PlJ7is_evenIsEEEE10hipError_tPvRmT3_T4_T5_T6_T7_T9_mT8_P12ihipStream_tbDpT10_ENKUlT_T0_E_clISt17integral_constantIbLb0EES1A_EEDaS15_S16_EUlS15_E_NS1_11comp_targetILNS1_3genE8ELNS1_11target_archE1030ELNS1_3gpuE2ELNS1_3repE0EEENS1_30default_config_static_selectorELNS0_4arch9wavefront6targetE1EEEvT1_, .Lfunc_end147-_ZN7rocprim17ROCPRIM_400000_NS6detail17trampoline_kernelINS0_14default_configENS1_25partition_config_selectorILNS1_17partition_subalgoE3EsNS0_10empty_typeEbEEZZNS1_14partition_implILS5_3ELb0ES3_jN6thrust23THRUST_200600_302600_NS6detail15normal_iteratorINSA_7pointerIsNSA_11hip_rocprim3tagENSA_11use_defaultESG_EEEEPS6_SJ_NS0_5tupleIJPsSJ_EEENSK_IJSJ_SJ_EEES6_PlJ7is_evenIsEEEE10hipError_tPvRmT3_T4_T5_T6_T7_T9_mT8_P12ihipStream_tbDpT10_ENKUlT_T0_E_clISt17integral_constantIbLb0EES1A_EEDaS15_S16_EUlS15_E_NS1_11comp_targetILNS1_3genE8ELNS1_11target_archE1030ELNS1_3gpuE2ELNS1_3repE0EEENS1_30default_config_static_selectorELNS0_4arch9wavefront6targetE1EEEvT1_
                                        ; -- End function
	.section	.AMDGPU.csdata,"",@progbits
; Kernel info:
; codeLenInByte = 0
; NumSgprs: 6
; NumVgprs: 0
; NumAgprs: 0
; TotalNumVgprs: 0
; ScratchSize: 0
; MemoryBound: 0
; FloatMode: 240
; IeeeMode: 1
; LDSByteSize: 0 bytes/workgroup (compile time only)
; SGPRBlocks: 0
; VGPRBlocks: 0
; NumSGPRsForWavesPerEU: 6
; NumVGPRsForWavesPerEU: 1
; AccumOffset: 4
; Occupancy: 8
; WaveLimiterHint : 0
; COMPUTE_PGM_RSRC2:SCRATCH_EN: 0
; COMPUTE_PGM_RSRC2:USER_SGPR: 2
; COMPUTE_PGM_RSRC2:TRAP_HANDLER: 0
; COMPUTE_PGM_RSRC2:TGID_X_EN: 1
; COMPUTE_PGM_RSRC2:TGID_Y_EN: 0
; COMPUTE_PGM_RSRC2:TGID_Z_EN: 0
; COMPUTE_PGM_RSRC2:TIDIG_COMP_CNT: 0
; COMPUTE_PGM_RSRC3_GFX90A:ACCUM_OFFSET: 0
; COMPUTE_PGM_RSRC3_GFX90A:TG_SPLIT: 0
	.section	.text._ZN7rocprim17ROCPRIM_400000_NS6detail17trampoline_kernelINS0_14default_configENS1_25partition_config_selectorILNS1_17partition_subalgoE3EsNS0_10empty_typeEbEEZZNS1_14partition_implILS5_3ELb0ES3_jN6thrust23THRUST_200600_302600_NS6detail15normal_iteratorINSA_7pointerIsNSA_11hip_rocprim3tagENSA_11use_defaultESG_EEEEPS6_SJ_NS0_5tupleIJPsSJ_EEENSK_IJSJ_SJ_EEES6_PlJ7is_evenIsEEEE10hipError_tPvRmT3_T4_T5_T6_T7_T9_mT8_P12ihipStream_tbDpT10_ENKUlT_T0_E_clISt17integral_constantIbLb1EES1A_EEDaS15_S16_EUlS15_E_NS1_11comp_targetILNS1_3genE0ELNS1_11target_archE4294967295ELNS1_3gpuE0ELNS1_3repE0EEENS1_30default_config_static_selectorELNS0_4arch9wavefront6targetE1EEEvT1_,"axG",@progbits,_ZN7rocprim17ROCPRIM_400000_NS6detail17trampoline_kernelINS0_14default_configENS1_25partition_config_selectorILNS1_17partition_subalgoE3EsNS0_10empty_typeEbEEZZNS1_14partition_implILS5_3ELb0ES3_jN6thrust23THRUST_200600_302600_NS6detail15normal_iteratorINSA_7pointerIsNSA_11hip_rocprim3tagENSA_11use_defaultESG_EEEEPS6_SJ_NS0_5tupleIJPsSJ_EEENSK_IJSJ_SJ_EEES6_PlJ7is_evenIsEEEE10hipError_tPvRmT3_T4_T5_T6_T7_T9_mT8_P12ihipStream_tbDpT10_ENKUlT_T0_E_clISt17integral_constantIbLb1EES1A_EEDaS15_S16_EUlS15_E_NS1_11comp_targetILNS1_3genE0ELNS1_11target_archE4294967295ELNS1_3gpuE0ELNS1_3repE0EEENS1_30default_config_static_selectorELNS0_4arch9wavefront6targetE1EEEvT1_,comdat
	.protected	_ZN7rocprim17ROCPRIM_400000_NS6detail17trampoline_kernelINS0_14default_configENS1_25partition_config_selectorILNS1_17partition_subalgoE3EsNS0_10empty_typeEbEEZZNS1_14partition_implILS5_3ELb0ES3_jN6thrust23THRUST_200600_302600_NS6detail15normal_iteratorINSA_7pointerIsNSA_11hip_rocprim3tagENSA_11use_defaultESG_EEEEPS6_SJ_NS0_5tupleIJPsSJ_EEENSK_IJSJ_SJ_EEES6_PlJ7is_evenIsEEEE10hipError_tPvRmT3_T4_T5_T6_T7_T9_mT8_P12ihipStream_tbDpT10_ENKUlT_T0_E_clISt17integral_constantIbLb1EES1A_EEDaS15_S16_EUlS15_E_NS1_11comp_targetILNS1_3genE0ELNS1_11target_archE4294967295ELNS1_3gpuE0ELNS1_3repE0EEENS1_30default_config_static_selectorELNS0_4arch9wavefront6targetE1EEEvT1_ ; -- Begin function _ZN7rocprim17ROCPRIM_400000_NS6detail17trampoline_kernelINS0_14default_configENS1_25partition_config_selectorILNS1_17partition_subalgoE3EsNS0_10empty_typeEbEEZZNS1_14partition_implILS5_3ELb0ES3_jN6thrust23THRUST_200600_302600_NS6detail15normal_iteratorINSA_7pointerIsNSA_11hip_rocprim3tagENSA_11use_defaultESG_EEEEPS6_SJ_NS0_5tupleIJPsSJ_EEENSK_IJSJ_SJ_EEES6_PlJ7is_evenIsEEEE10hipError_tPvRmT3_T4_T5_T6_T7_T9_mT8_P12ihipStream_tbDpT10_ENKUlT_T0_E_clISt17integral_constantIbLb1EES1A_EEDaS15_S16_EUlS15_E_NS1_11comp_targetILNS1_3genE0ELNS1_11target_archE4294967295ELNS1_3gpuE0ELNS1_3repE0EEENS1_30default_config_static_selectorELNS0_4arch9wavefront6targetE1EEEvT1_
	.globl	_ZN7rocprim17ROCPRIM_400000_NS6detail17trampoline_kernelINS0_14default_configENS1_25partition_config_selectorILNS1_17partition_subalgoE3EsNS0_10empty_typeEbEEZZNS1_14partition_implILS5_3ELb0ES3_jN6thrust23THRUST_200600_302600_NS6detail15normal_iteratorINSA_7pointerIsNSA_11hip_rocprim3tagENSA_11use_defaultESG_EEEEPS6_SJ_NS0_5tupleIJPsSJ_EEENSK_IJSJ_SJ_EEES6_PlJ7is_evenIsEEEE10hipError_tPvRmT3_T4_T5_T6_T7_T9_mT8_P12ihipStream_tbDpT10_ENKUlT_T0_E_clISt17integral_constantIbLb1EES1A_EEDaS15_S16_EUlS15_E_NS1_11comp_targetILNS1_3genE0ELNS1_11target_archE4294967295ELNS1_3gpuE0ELNS1_3repE0EEENS1_30default_config_static_selectorELNS0_4arch9wavefront6targetE1EEEvT1_
	.p2align	8
	.type	_ZN7rocprim17ROCPRIM_400000_NS6detail17trampoline_kernelINS0_14default_configENS1_25partition_config_selectorILNS1_17partition_subalgoE3EsNS0_10empty_typeEbEEZZNS1_14partition_implILS5_3ELb0ES3_jN6thrust23THRUST_200600_302600_NS6detail15normal_iteratorINSA_7pointerIsNSA_11hip_rocprim3tagENSA_11use_defaultESG_EEEEPS6_SJ_NS0_5tupleIJPsSJ_EEENSK_IJSJ_SJ_EEES6_PlJ7is_evenIsEEEE10hipError_tPvRmT3_T4_T5_T6_T7_T9_mT8_P12ihipStream_tbDpT10_ENKUlT_T0_E_clISt17integral_constantIbLb1EES1A_EEDaS15_S16_EUlS15_E_NS1_11comp_targetILNS1_3genE0ELNS1_11target_archE4294967295ELNS1_3gpuE0ELNS1_3repE0EEENS1_30default_config_static_selectorELNS0_4arch9wavefront6targetE1EEEvT1_,@function
_ZN7rocprim17ROCPRIM_400000_NS6detail17trampoline_kernelINS0_14default_configENS1_25partition_config_selectorILNS1_17partition_subalgoE3EsNS0_10empty_typeEbEEZZNS1_14partition_implILS5_3ELb0ES3_jN6thrust23THRUST_200600_302600_NS6detail15normal_iteratorINSA_7pointerIsNSA_11hip_rocprim3tagENSA_11use_defaultESG_EEEEPS6_SJ_NS0_5tupleIJPsSJ_EEENSK_IJSJ_SJ_EEES6_PlJ7is_evenIsEEEE10hipError_tPvRmT3_T4_T5_T6_T7_T9_mT8_P12ihipStream_tbDpT10_ENKUlT_T0_E_clISt17integral_constantIbLb1EES1A_EEDaS15_S16_EUlS15_E_NS1_11comp_targetILNS1_3genE0ELNS1_11target_archE4294967295ELNS1_3gpuE0ELNS1_3repE0EEENS1_30default_config_static_selectorELNS0_4arch9wavefront6targetE1EEEvT1_: ; @_ZN7rocprim17ROCPRIM_400000_NS6detail17trampoline_kernelINS0_14default_configENS1_25partition_config_selectorILNS1_17partition_subalgoE3EsNS0_10empty_typeEbEEZZNS1_14partition_implILS5_3ELb0ES3_jN6thrust23THRUST_200600_302600_NS6detail15normal_iteratorINSA_7pointerIsNSA_11hip_rocprim3tagENSA_11use_defaultESG_EEEEPS6_SJ_NS0_5tupleIJPsSJ_EEENSK_IJSJ_SJ_EEES6_PlJ7is_evenIsEEEE10hipError_tPvRmT3_T4_T5_T6_T7_T9_mT8_P12ihipStream_tbDpT10_ENKUlT_T0_E_clISt17integral_constantIbLb1EES1A_EEDaS15_S16_EUlS15_E_NS1_11comp_targetILNS1_3genE0ELNS1_11target_archE4294967295ELNS1_3gpuE0ELNS1_3repE0EEENS1_30default_config_static_selectorELNS0_4arch9wavefront6targetE1EEEvT1_
; %bb.0:
	.section	.rodata,"a",@progbits
	.p2align	6, 0x0
	.amdhsa_kernel _ZN7rocprim17ROCPRIM_400000_NS6detail17trampoline_kernelINS0_14default_configENS1_25partition_config_selectorILNS1_17partition_subalgoE3EsNS0_10empty_typeEbEEZZNS1_14partition_implILS5_3ELb0ES3_jN6thrust23THRUST_200600_302600_NS6detail15normal_iteratorINSA_7pointerIsNSA_11hip_rocprim3tagENSA_11use_defaultESG_EEEEPS6_SJ_NS0_5tupleIJPsSJ_EEENSK_IJSJ_SJ_EEES6_PlJ7is_evenIsEEEE10hipError_tPvRmT3_T4_T5_T6_T7_T9_mT8_P12ihipStream_tbDpT10_ENKUlT_T0_E_clISt17integral_constantIbLb1EES1A_EEDaS15_S16_EUlS15_E_NS1_11comp_targetILNS1_3genE0ELNS1_11target_archE4294967295ELNS1_3gpuE0ELNS1_3repE0EEENS1_30default_config_static_selectorELNS0_4arch9wavefront6targetE1EEEvT1_
		.amdhsa_group_segment_fixed_size 0
		.amdhsa_private_segment_fixed_size 0
		.amdhsa_kernarg_size 136
		.amdhsa_user_sgpr_count 2
		.amdhsa_user_sgpr_dispatch_ptr 0
		.amdhsa_user_sgpr_queue_ptr 0
		.amdhsa_user_sgpr_kernarg_segment_ptr 1
		.amdhsa_user_sgpr_dispatch_id 0
		.amdhsa_user_sgpr_kernarg_preload_length 0
		.amdhsa_user_sgpr_kernarg_preload_offset 0
		.amdhsa_user_sgpr_private_segment_size 0
		.amdhsa_uses_dynamic_stack 0
		.amdhsa_enable_private_segment 0
		.amdhsa_system_sgpr_workgroup_id_x 1
		.amdhsa_system_sgpr_workgroup_id_y 0
		.amdhsa_system_sgpr_workgroup_id_z 0
		.amdhsa_system_sgpr_workgroup_info 0
		.amdhsa_system_vgpr_workitem_id 0
		.amdhsa_next_free_vgpr 1
		.amdhsa_next_free_sgpr 0
		.amdhsa_accum_offset 4
		.amdhsa_reserve_vcc 0
		.amdhsa_float_round_mode_32 0
		.amdhsa_float_round_mode_16_64 0
		.amdhsa_float_denorm_mode_32 3
		.amdhsa_float_denorm_mode_16_64 3
		.amdhsa_dx10_clamp 1
		.amdhsa_ieee_mode 1
		.amdhsa_fp16_overflow 0
		.amdhsa_tg_split 0
		.amdhsa_exception_fp_ieee_invalid_op 0
		.amdhsa_exception_fp_denorm_src 0
		.amdhsa_exception_fp_ieee_div_zero 0
		.amdhsa_exception_fp_ieee_overflow 0
		.amdhsa_exception_fp_ieee_underflow 0
		.amdhsa_exception_fp_ieee_inexact 0
		.amdhsa_exception_int_div_zero 0
	.end_amdhsa_kernel
	.section	.text._ZN7rocprim17ROCPRIM_400000_NS6detail17trampoline_kernelINS0_14default_configENS1_25partition_config_selectorILNS1_17partition_subalgoE3EsNS0_10empty_typeEbEEZZNS1_14partition_implILS5_3ELb0ES3_jN6thrust23THRUST_200600_302600_NS6detail15normal_iteratorINSA_7pointerIsNSA_11hip_rocprim3tagENSA_11use_defaultESG_EEEEPS6_SJ_NS0_5tupleIJPsSJ_EEENSK_IJSJ_SJ_EEES6_PlJ7is_evenIsEEEE10hipError_tPvRmT3_T4_T5_T6_T7_T9_mT8_P12ihipStream_tbDpT10_ENKUlT_T0_E_clISt17integral_constantIbLb1EES1A_EEDaS15_S16_EUlS15_E_NS1_11comp_targetILNS1_3genE0ELNS1_11target_archE4294967295ELNS1_3gpuE0ELNS1_3repE0EEENS1_30default_config_static_selectorELNS0_4arch9wavefront6targetE1EEEvT1_,"axG",@progbits,_ZN7rocprim17ROCPRIM_400000_NS6detail17trampoline_kernelINS0_14default_configENS1_25partition_config_selectorILNS1_17partition_subalgoE3EsNS0_10empty_typeEbEEZZNS1_14partition_implILS5_3ELb0ES3_jN6thrust23THRUST_200600_302600_NS6detail15normal_iteratorINSA_7pointerIsNSA_11hip_rocprim3tagENSA_11use_defaultESG_EEEEPS6_SJ_NS0_5tupleIJPsSJ_EEENSK_IJSJ_SJ_EEES6_PlJ7is_evenIsEEEE10hipError_tPvRmT3_T4_T5_T6_T7_T9_mT8_P12ihipStream_tbDpT10_ENKUlT_T0_E_clISt17integral_constantIbLb1EES1A_EEDaS15_S16_EUlS15_E_NS1_11comp_targetILNS1_3genE0ELNS1_11target_archE4294967295ELNS1_3gpuE0ELNS1_3repE0EEENS1_30default_config_static_selectorELNS0_4arch9wavefront6targetE1EEEvT1_,comdat
.Lfunc_end148:
	.size	_ZN7rocprim17ROCPRIM_400000_NS6detail17trampoline_kernelINS0_14default_configENS1_25partition_config_selectorILNS1_17partition_subalgoE3EsNS0_10empty_typeEbEEZZNS1_14partition_implILS5_3ELb0ES3_jN6thrust23THRUST_200600_302600_NS6detail15normal_iteratorINSA_7pointerIsNSA_11hip_rocprim3tagENSA_11use_defaultESG_EEEEPS6_SJ_NS0_5tupleIJPsSJ_EEENSK_IJSJ_SJ_EEES6_PlJ7is_evenIsEEEE10hipError_tPvRmT3_T4_T5_T6_T7_T9_mT8_P12ihipStream_tbDpT10_ENKUlT_T0_E_clISt17integral_constantIbLb1EES1A_EEDaS15_S16_EUlS15_E_NS1_11comp_targetILNS1_3genE0ELNS1_11target_archE4294967295ELNS1_3gpuE0ELNS1_3repE0EEENS1_30default_config_static_selectorELNS0_4arch9wavefront6targetE1EEEvT1_, .Lfunc_end148-_ZN7rocprim17ROCPRIM_400000_NS6detail17trampoline_kernelINS0_14default_configENS1_25partition_config_selectorILNS1_17partition_subalgoE3EsNS0_10empty_typeEbEEZZNS1_14partition_implILS5_3ELb0ES3_jN6thrust23THRUST_200600_302600_NS6detail15normal_iteratorINSA_7pointerIsNSA_11hip_rocprim3tagENSA_11use_defaultESG_EEEEPS6_SJ_NS0_5tupleIJPsSJ_EEENSK_IJSJ_SJ_EEES6_PlJ7is_evenIsEEEE10hipError_tPvRmT3_T4_T5_T6_T7_T9_mT8_P12ihipStream_tbDpT10_ENKUlT_T0_E_clISt17integral_constantIbLb1EES1A_EEDaS15_S16_EUlS15_E_NS1_11comp_targetILNS1_3genE0ELNS1_11target_archE4294967295ELNS1_3gpuE0ELNS1_3repE0EEENS1_30default_config_static_selectorELNS0_4arch9wavefront6targetE1EEEvT1_
                                        ; -- End function
	.section	.AMDGPU.csdata,"",@progbits
; Kernel info:
; codeLenInByte = 0
; NumSgprs: 6
; NumVgprs: 0
; NumAgprs: 0
; TotalNumVgprs: 0
; ScratchSize: 0
; MemoryBound: 0
; FloatMode: 240
; IeeeMode: 1
; LDSByteSize: 0 bytes/workgroup (compile time only)
; SGPRBlocks: 0
; VGPRBlocks: 0
; NumSGPRsForWavesPerEU: 6
; NumVGPRsForWavesPerEU: 1
; AccumOffset: 4
; Occupancy: 8
; WaveLimiterHint : 0
; COMPUTE_PGM_RSRC2:SCRATCH_EN: 0
; COMPUTE_PGM_RSRC2:USER_SGPR: 2
; COMPUTE_PGM_RSRC2:TRAP_HANDLER: 0
; COMPUTE_PGM_RSRC2:TGID_X_EN: 1
; COMPUTE_PGM_RSRC2:TGID_Y_EN: 0
; COMPUTE_PGM_RSRC2:TGID_Z_EN: 0
; COMPUTE_PGM_RSRC2:TIDIG_COMP_CNT: 0
; COMPUTE_PGM_RSRC3_GFX90A:ACCUM_OFFSET: 0
; COMPUTE_PGM_RSRC3_GFX90A:TG_SPLIT: 0
	.section	.text._ZN7rocprim17ROCPRIM_400000_NS6detail17trampoline_kernelINS0_14default_configENS1_25partition_config_selectorILNS1_17partition_subalgoE3EsNS0_10empty_typeEbEEZZNS1_14partition_implILS5_3ELb0ES3_jN6thrust23THRUST_200600_302600_NS6detail15normal_iteratorINSA_7pointerIsNSA_11hip_rocprim3tagENSA_11use_defaultESG_EEEEPS6_SJ_NS0_5tupleIJPsSJ_EEENSK_IJSJ_SJ_EEES6_PlJ7is_evenIsEEEE10hipError_tPvRmT3_T4_T5_T6_T7_T9_mT8_P12ihipStream_tbDpT10_ENKUlT_T0_E_clISt17integral_constantIbLb1EES1A_EEDaS15_S16_EUlS15_E_NS1_11comp_targetILNS1_3genE5ELNS1_11target_archE942ELNS1_3gpuE9ELNS1_3repE0EEENS1_30default_config_static_selectorELNS0_4arch9wavefront6targetE1EEEvT1_,"axG",@progbits,_ZN7rocprim17ROCPRIM_400000_NS6detail17trampoline_kernelINS0_14default_configENS1_25partition_config_selectorILNS1_17partition_subalgoE3EsNS0_10empty_typeEbEEZZNS1_14partition_implILS5_3ELb0ES3_jN6thrust23THRUST_200600_302600_NS6detail15normal_iteratorINSA_7pointerIsNSA_11hip_rocprim3tagENSA_11use_defaultESG_EEEEPS6_SJ_NS0_5tupleIJPsSJ_EEENSK_IJSJ_SJ_EEES6_PlJ7is_evenIsEEEE10hipError_tPvRmT3_T4_T5_T6_T7_T9_mT8_P12ihipStream_tbDpT10_ENKUlT_T0_E_clISt17integral_constantIbLb1EES1A_EEDaS15_S16_EUlS15_E_NS1_11comp_targetILNS1_3genE5ELNS1_11target_archE942ELNS1_3gpuE9ELNS1_3repE0EEENS1_30default_config_static_selectorELNS0_4arch9wavefront6targetE1EEEvT1_,comdat
	.protected	_ZN7rocprim17ROCPRIM_400000_NS6detail17trampoline_kernelINS0_14default_configENS1_25partition_config_selectorILNS1_17partition_subalgoE3EsNS0_10empty_typeEbEEZZNS1_14partition_implILS5_3ELb0ES3_jN6thrust23THRUST_200600_302600_NS6detail15normal_iteratorINSA_7pointerIsNSA_11hip_rocprim3tagENSA_11use_defaultESG_EEEEPS6_SJ_NS0_5tupleIJPsSJ_EEENSK_IJSJ_SJ_EEES6_PlJ7is_evenIsEEEE10hipError_tPvRmT3_T4_T5_T6_T7_T9_mT8_P12ihipStream_tbDpT10_ENKUlT_T0_E_clISt17integral_constantIbLb1EES1A_EEDaS15_S16_EUlS15_E_NS1_11comp_targetILNS1_3genE5ELNS1_11target_archE942ELNS1_3gpuE9ELNS1_3repE0EEENS1_30default_config_static_selectorELNS0_4arch9wavefront6targetE1EEEvT1_ ; -- Begin function _ZN7rocprim17ROCPRIM_400000_NS6detail17trampoline_kernelINS0_14default_configENS1_25partition_config_selectorILNS1_17partition_subalgoE3EsNS0_10empty_typeEbEEZZNS1_14partition_implILS5_3ELb0ES3_jN6thrust23THRUST_200600_302600_NS6detail15normal_iteratorINSA_7pointerIsNSA_11hip_rocprim3tagENSA_11use_defaultESG_EEEEPS6_SJ_NS0_5tupleIJPsSJ_EEENSK_IJSJ_SJ_EEES6_PlJ7is_evenIsEEEE10hipError_tPvRmT3_T4_T5_T6_T7_T9_mT8_P12ihipStream_tbDpT10_ENKUlT_T0_E_clISt17integral_constantIbLb1EES1A_EEDaS15_S16_EUlS15_E_NS1_11comp_targetILNS1_3genE5ELNS1_11target_archE942ELNS1_3gpuE9ELNS1_3repE0EEENS1_30default_config_static_selectorELNS0_4arch9wavefront6targetE1EEEvT1_
	.globl	_ZN7rocprim17ROCPRIM_400000_NS6detail17trampoline_kernelINS0_14default_configENS1_25partition_config_selectorILNS1_17partition_subalgoE3EsNS0_10empty_typeEbEEZZNS1_14partition_implILS5_3ELb0ES3_jN6thrust23THRUST_200600_302600_NS6detail15normal_iteratorINSA_7pointerIsNSA_11hip_rocprim3tagENSA_11use_defaultESG_EEEEPS6_SJ_NS0_5tupleIJPsSJ_EEENSK_IJSJ_SJ_EEES6_PlJ7is_evenIsEEEE10hipError_tPvRmT3_T4_T5_T6_T7_T9_mT8_P12ihipStream_tbDpT10_ENKUlT_T0_E_clISt17integral_constantIbLb1EES1A_EEDaS15_S16_EUlS15_E_NS1_11comp_targetILNS1_3genE5ELNS1_11target_archE942ELNS1_3gpuE9ELNS1_3repE0EEENS1_30default_config_static_selectorELNS0_4arch9wavefront6targetE1EEEvT1_
	.p2align	8
	.type	_ZN7rocprim17ROCPRIM_400000_NS6detail17trampoline_kernelINS0_14default_configENS1_25partition_config_selectorILNS1_17partition_subalgoE3EsNS0_10empty_typeEbEEZZNS1_14partition_implILS5_3ELb0ES3_jN6thrust23THRUST_200600_302600_NS6detail15normal_iteratorINSA_7pointerIsNSA_11hip_rocprim3tagENSA_11use_defaultESG_EEEEPS6_SJ_NS0_5tupleIJPsSJ_EEENSK_IJSJ_SJ_EEES6_PlJ7is_evenIsEEEE10hipError_tPvRmT3_T4_T5_T6_T7_T9_mT8_P12ihipStream_tbDpT10_ENKUlT_T0_E_clISt17integral_constantIbLb1EES1A_EEDaS15_S16_EUlS15_E_NS1_11comp_targetILNS1_3genE5ELNS1_11target_archE942ELNS1_3gpuE9ELNS1_3repE0EEENS1_30default_config_static_selectorELNS0_4arch9wavefront6targetE1EEEvT1_,@function
_ZN7rocprim17ROCPRIM_400000_NS6detail17trampoline_kernelINS0_14default_configENS1_25partition_config_selectorILNS1_17partition_subalgoE3EsNS0_10empty_typeEbEEZZNS1_14partition_implILS5_3ELb0ES3_jN6thrust23THRUST_200600_302600_NS6detail15normal_iteratorINSA_7pointerIsNSA_11hip_rocprim3tagENSA_11use_defaultESG_EEEEPS6_SJ_NS0_5tupleIJPsSJ_EEENSK_IJSJ_SJ_EEES6_PlJ7is_evenIsEEEE10hipError_tPvRmT3_T4_T5_T6_T7_T9_mT8_P12ihipStream_tbDpT10_ENKUlT_T0_E_clISt17integral_constantIbLb1EES1A_EEDaS15_S16_EUlS15_E_NS1_11comp_targetILNS1_3genE5ELNS1_11target_archE942ELNS1_3gpuE9ELNS1_3repE0EEENS1_30default_config_static_selectorELNS0_4arch9wavefront6targetE1EEEvT1_: ; @_ZN7rocprim17ROCPRIM_400000_NS6detail17trampoline_kernelINS0_14default_configENS1_25partition_config_selectorILNS1_17partition_subalgoE3EsNS0_10empty_typeEbEEZZNS1_14partition_implILS5_3ELb0ES3_jN6thrust23THRUST_200600_302600_NS6detail15normal_iteratorINSA_7pointerIsNSA_11hip_rocprim3tagENSA_11use_defaultESG_EEEEPS6_SJ_NS0_5tupleIJPsSJ_EEENSK_IJSJ_SJ_EEES6_PlJ7is_evenIsEEEE10hipError_tPvRmT3_T4_T5_T6_T7_T9_mT8_P12ihipStream_tbDpT10_ENKUlT_T0_E_clISt17integral_constantIbLb1EES1A_EEDaS15_S16_EUlS15_E_NS1_11comp_targetILNS1_3genE5ELNS1_11target_archE942ELNS1_3gpuE9ELNS1_3repE0EEENS1_30default_config_static_selectorELNS0_4arch9wavefront6targetE1EEEvT1_
; %bb.0:
	s_load_dwordx2 s[22:23], s[0:1], 0x28
	s_load_dwordx4 s[24:27], s[0:1], 0x48
	s_load_dwordx2 s[34:35], s[0:1], 0x58
	s_load_dwordx2 s[36:37], s[0:1], 0x68
	v_cmp_eq_u32_e64 s[20:21], 0, v0
	s_and_saveexec_b64 s[2:3], s[20:21]
	s_cbranch_execz .LBB149_4
; %bb.1:
	s_mov_b64 s[6:7], exec
	v_mbcnt_lo_u32_b32 v1, s6, 0
	v_mbcnt_hi_u32_b32 v1, s7, v1
	v_cmp_eq_u32_e32 vcc, 0, v1
                                        ; implicit-def: $vgpr2
	s_and_saveexec_b64 s[4:5], vcc
	s_cbranch_execz .LBB149_3
; %bb.2:
	s_load_dwordx2 s[8:9], s[0:1], 0x78
	s_bcnt1_i32_b64 s6, s[6:7]
	v_mov_b32_e32 v2, 0
	v_mov_b32_e32 v3, s6
	s_waitcnt lgkmcnt(0)
	global_atomic_add v2, v2, v3, s[8:9] sc0
.LBB149_3:
	s_or_b64 exec, exec, s[4:5]
	s_waitcnt vmcnt(0)
	v_readfirstlane_b32 s4, v2
	v_mov_b32_e32 v2, 0
	s_nop 0
	v_add_u32_e32 v1, s4, v1
	ds_write_b32 v2, v1
.LBB149_4:
	s_or_b64 exec, exec, s[2:3]
	v_mov_b32_e32 v9, 0
	s_load_dwordx4 s[28:31], s[0:1], 0x8
	s_load_dword s2, s[0:1], 0x70
	s_waitcnt lgkmcnt(0)
	s_barrier
	ds_read_b32 v1, v9
	s_waitcnt lgkmcnt(0)
	s_barrier
	global_load_dwordx2 v[4:5], v9, s[26:27]
	s_lshl_b64 s[0:1], s[30:31], 1
	s_add_u32 s0, s28, s0
	s_addc_u32 s1, s29, s1
	s_movk_i32 s3, 0x3c00
	s_add_i32 s4, s2, -1
	s_mulk_i32 s2, 0x3c00
	v_mul_lo_u32 v8, v1, s3
	s_add_i32 s3, s2, s30
	s_sub_i32 s33, s34, s3
	s_addk_i32 s33, 0x3c00
	s_add_u32 s2, s30, s2
	v_readfirstlane_b32 s40, v1
	s_addc_u32 s3, s31, 0
	s_cmp_eq_u32 s40, s4
	v_mov_b64_e32 v[2:3], s[34:35]
	s_cselect_b64 s[26:27], -1, 0
	s_cmp_lg_u32 s40, s4
	v_cmp_lt_u64_e32 vcc, s[2:3], v[2:3]
	s_cselect_b64 s[2:3], -1, 0
	s_or_b64 s[4:5], vcc, s[2:3]
	v_lshlrev_b64 v[2:3], 1, v[8:9]
	v_lshl_add_u64 v[2:3], s[0:1], 0, v[2:3]
	s_mov_b64 s[0:1], -1
	s_and_b64 vcc, exec, s[4:5]
	v_lshlrev_b32_e32 v16, 1, v0
	s_cbranch_vccz .LBB149_6
; %bb.5:
	v_mov_b32_e32 v17, v9
	v_lshl_add_u64 v[6:7], v[2:3], 0, v[16:17]
	v_add_co_u32_e32 v10, vcc, 0x1000, v6
	s_mov_b64 s[0:1], 0
	s_nop 0
	v_addc_co_u32_e32 v11, vcc, 0, v7, vcc
	flat_load_ushort v1, v[6:7]
	flat_load_ushort v14, v[6:7] offset:1024
	flat_load_ushort v15, v[6:7] offset:2048
	flat_load_ushort v17, v[6:7] offset:3072
	flat_load_ushort v18, v[10:11]
	flat_load_ushort v19, v[10:11] offset:1024
	flat_load_ushort v20, v[10:11] offset:2048
	flat_load_ushort v21, v[10:11] offset:3072
	v_add_co_u32_e32 v10, vcc, 0x2000, v6
	s_nop 1
	v_addc_co_u32_e32 v11, vcc, 0, v7, vcc
	v_add_co_u32_e32 v12, vcc, 0x3000, v6
	s_nop 1
	v_addc_co_u32_e32 v13, vcc, 0, v7, vcc
	flat_load_ushort v22, v[10:11]
	flat_load_ushort v23, v[10:11] offset:1024
	flat_load_ushort v24, v[10:11] offset:2048
	flat_load_ushort v25, v[10:11] offset:3072
	flat_load_ushort v26, v[12:13]
	flat_load_ushort v27, v[12:13] offset:1024
	flat_load_ushort v28, v[12:13] offset:2048
	flat_load_ushort v29, v[12:13] offset:3072
	v_add_co_u32_e32 v10, vcc, 0x4000, v6
	s_nop 1
	v_addc_co_u32_e32 v11, vcc, 0, v7, vcc
	v_add_co_u32_e32 v12, vcc, 0x5000, v6
	;; [unrolled: 14-line block ×3, first 2 shown]
	s_nop 1
	v_addc_co_u32_e32 v7, vcc, 0, v7, vcc
	flat_load_ushort v12, v[10:11]
	flat_load_ushort v13, v[10:11] offset:1024
	flat_load_ushort v38, v[10:11] offset:2048
	;; [unrolled: 1-line block ×3, first 2 shown]
	flat_load_ushort v40, v[6:7]
	flat_load_ushort v41, v[6:7] offset:1024
	s_waitcnt vmcnt(0) lgkmcnt(0)
	ds_write_b16 v16, v1
	ds_write_b16 v16, v14 offset:1024
	ds_write_b16 v16, v15 offset:2048
	;; [unrolled: 1-line block ×29, first 2 shown]
	s_waitcnt lgkmcnt(0)
	s_barrier
.LBB149_6:
	s_andn2_b64 vcc, exec, s[0:1]
	v_cmp_gt_u32_e64 s[0:1], s33, v0
	s_cbranch_vccnz .LBB149_68
; %bb.7:
                                        ; implicit-def: $vgpr1
	s_and_saveexec_b64 s[2:3], s[0:1]
	s_cbranch_execz .LBB149_9
; %bb.8:
	v_mov_b32_e32 v17, 0
	v_lshl_add_u64 v[6:7], v[2:3], 0, v[16:17]
	flat_load_ushort v1, v[6:7]
.LBB149_9:
	s_or_b64 exec, exec, s[2:3]
	v_or_b32_e32 v6, 0x200, v0
	v_cmp_gt_u32_e32 vcc, s33, v6
                                        ; implicit-def: $vgpr6
	s_and_saveexec_b64 s[0:1], vcc
	s_cbranch_execz .LBB149_11
; %bb.10:
	v_mov_b32_e32 v17, 0
	v_lshl_add_u64 v[6:7], v[2:3], 0, v[16:17]
	flat_load_ushort v6, v[6:7] offset:1024
.LBB149_11:
	s_or_b64 exec, exec, s[0:1]
	v_or_b32_e32 v7, 0x400, v0
	v_cmp_gt_u32_e32 vcc, s33, v7
                                        ; implicit-def: $vgpr7
	s_and_saveexec_b64 s[0:1], vcc
	s_cbranch_execz .LBB149_13
; %bb.12:
	v_mov_b32_e32 v17, 0
	v_lshl_add_u64 v[10:11], v[2:3], 0, v[16:17]
	flat_load_ushort v7, v[10:11] offset:2048
.LBB149_13:
	s_or_b64 exec, exec, s[0:1]
	v_or_b32_e32 v10, 0x600, v0
	v_cmp_gt_u32_e32 vcc, s33, v10
                                        ; implicit-def: $vgpr10
	s_and_saveexec_b64 s[0:1], vcc
	s_cbranch_execz .LBB149_15
; %bb.14:
	v_mov_b32_e32 v17, 0
	v_lshl_add_u64 v[10:11], v[2:3], 0, v[16:17]
	flat_load_ushort v10, v[10:11] offset:3072
.LBB149_15:
	s_or_b64 exec, exec, s[0:1]
	v_or_b32_e32 v12, 0x800, v0
	v_cmp_gt_u32_e32 vcc, s33, v12
                                        ; implicit-def: $vgpr11
	s_and_saveexec_b64 s[0:1], vcc
	s_cbranch_execz .LBB149_17
; %bb.16:
	v_lshlrev_b32_e32 v12, 1, v12
	v_mov_b32_e32 v13, 0
	v_lshl_add_u64 v[12:13], v[2:3], 0, v[12:13]
	flat_load_ushort v11, v[12:13]
.LBB149_17:
	s_or_b64 exec, exec, s[0:1]
	v_or_b32_e32 v13, 0xa00, v0
	v_cmp_gt_u32_e32 vcc, s33, v13
                                        ; implicit-def: $vgpr12
	s_and_saveexec_b64 s[0:1], vcc
	s_cbranch_execz .LBB149_19
; %bb.18:
	v_lshlrev_b32_e32 v12, 1, v13
	v_mov_b32_e32 v13, 0
	v_lshl_add_u64 v[12:13], v[2:3], 0, v[12:13]
	flat_load_ushort v12, v[12:13]
.LBB149_19:
	s_or_b64 exec, exec, s[0:1]
	v_or_b32_e32 v14, 0xc00, v0
	v_cmp_gt_u32_e32 vcc, s33, v14
                                        ; implicit-def: $vgpr13
	s_and_saveexec_b64 s[0:1], vcc
	s_cbranch_execz .LBB149_21
; %bb.20:
	v_lshlrev_b32_e32 v14, 1, v14
	v_mov_b32_e32 v15, 0
	v_lshl_add_u64 v[14:15], v[2:3], 0, v[14:15]
	flat_load_ushort v13, v[14:15]
.LBB149_21:
	s_or_b64 exec, exec, s[0:1]
	v_or_b32_e32 v15, 0xe00, v0
	v_cmp_gt_u32_e32 vcc, s33, v15
                                        ; implicit-def: $vgpr14
	s_and_saveexec_b64 s[0:1], vcc
	s_cbranch_execz .LBB149_23
; %bb.22:
	v_lshlrev_b32_e32 v14, 1, v15
	v_mov_b32_e32 v15, 0
	v_lshl_add_u64 v[14:15], v[2:3], 0, v[14:15]
	flat_load_ushort v14, v[14:15]
.LBB149_23:
	s_or_b64 exec, exec, s[0:1]
	v_or_b32_e32 v17, 0x1000, v0
	v_cmp_gt_u32_e32 vcc, s33, v17
                                        ; implicit-def: $vgpr15
	s_and_saveexec_b64 s[0:1], vcc
	s_cbranch_execz .LBB149_25
; %bb.24:
	v_lshlrev_b32_e32 v18, 1, v17
	v_mov_b32_e32 v19, 0
	v_lshl_add_u64 v[18:19], v[2:3], 0, v[18:19]
	flat_load_ushort v15, v[18:19]
.LBB149_25:
	s_or_b64 exec, exec, s[0:1]
	v_or_b32_e32 v18, 0x1200, v0
	v_cmp_gt_u32_e32 vcc, s33, v18
                                        ; implicit-def: $vgpr17
	s_and_saveexec_b64 s[0:1], vcc
	s_cbranch_execz .LBB149_27
; %bb.26:
	v_lshlrev_b32_e32 v18, 1, v18
	v_mov_b32_e32 v19, 0
	v_lshl_add_u64 v[18:19], v[2:3], 0, v[18:19]
	flat_load_ushort v17, v[18:19]
.LBB149_27:
	s_or_b64 exec, exec, s[0:1]
	v_or_b32_e32 v19, 0x1400, v0
	v_cmp_gt_u32_e32 vcc, s33, v19
                                        ; implicit-def: $vgpr18
	s_and_saveexec_b64 s[0:1], vcc
	s_cbranch_execz .LBB149_29
; %bb.28:
	v_lshlrev_b32_e32 v18, 1, v19
	v_mov_b32_e32 v19, 0
	v_lshl_add_u64 v[18:19], v[2:3], 0, v[18:19]
	flat_load_ushort v18, v[18:19]
.LBB149_29:
	s_or_b64 exec, exec, s[0:1]
	v_or_b32_e32 v20, 0x1600, v0
	v_cmp_gt_u32_e32 vcc, s33, v20
                                        ; implicit-def: $vgpr19
	s_and_saveexec_b64 s[0:1], vcc
	s_cbranch_execz .LBB149_31
; %bb.30:
	v_lshlrev_b32_e32 v20, 1, v20
	v_mov_b32_e32 v21, 0
	v_lshl_add_u64 v[20:21], v[2:3], 0, v[20:21]
	flat_load_ushort v19, v[20:21]
.LBB149_31:
	s_or_b64 exec, exec, s[0:1]
	v_or_b32_e32 v21, 0x1800, v0
	v_cmp_gt_u32_e32 vcc, s33, v21
                                        ; implicit-def: $vgpr20
	s_and_saveexec_b64 s[0:1], vcc
	s_cbranch_execz .LBB149_33
; %bb.32:
	v_lshlrev_b32_e32 v20, 1, v21
	v_mov_b32_e32 v21, 0
	v_lshl_add_u64 v[20:21], v[2:3], 0, v[20:21]
	flat_load_ushort v20, v[20:21]
.LBB149_33:
	s_or_b64 exec, exec, s[0:1]
	v_or_b32_e32 v22, 0x1a00, v0
	v_cmp_gt_u32_e32 vcc, s33, v22
                                        ; implicit-def: $vgpr21
	s_and_saveexec_b64 s[0:1], vcc
	s_cbranch_execz .LBB149_35
; %bb.34:
	v_lshlrev_b32_e32 v22, 1, v22
	v_mov_b32_e32 v23, 0
	v_lshl_add_u64 v[22:23], v[2:3], 0, v[22:23]
	flat_load_ushort v21, v[22:23]
.LBB149_35:
	s_or_b64 exec, exec, s[0:1]
	v_or_b32_e32 v23, 0x1c00, v0
	v_cmp_gt_u32_e32 vcc, s33, v23
                                        ; implicit-def: $vgpr22
	s_and_saveexec_b64 s[0:1], vcc
	s_cbranch_execz .LBB149_37
; %bb.36:
	v_lshlrev_b32_e32 v22, 1, v23
	v_mov_b32_e32 v23, 0
	v_lshl_add_u64 v[22:23], v[2:3], 0, v[22:23]
	flat_load_ushort v22, v[22:23]
.LBB149_37:
	s_or_b64 exec, exec, s[0:1]
	v_or_b32_e32 v24, 0x1e00, v0
	v_cmp_gt_u32_e32 vcc, s33, v24
                                        ; implicit-def: $vgpr23
	s_and_saveexec_b64 s[0:1], vcc
	s_cbranch_execz .LBB149_39
; %bb.38:
	v_lshlrev_b32_e32 v24, 1, v24
	v_mov_b32_e32 v25, 0
	v_lshl_add_u64 v[24:25], v[2:3], 0, v[24:25]
	flat_load_ushort v23, v[24:25]
.LBB149_39:
	s_or_b64 exec, exec, s[0:1]
	v_or_b32_e32 v25, 0x2000, v0
	v_cmp_gt_u32_e32 vcc, s33, v25
                                        ; implicit-def: $vgpr24
	s_and_saveexec_b64 s[0:1], vcc
	s_cbranch_execz .LBB149_41
; %bb.40:
	v_lshlrev_b32_e32 v24, 1, v25
	v_mov_b32_e32 v25, 0
	v_lshl_add_u64 v[24:25], v[2:3], 0, v[24:25]
	flat_load_ushort v24, v[24:25]
.LBB149_41:
	s_or_b64 exec, exec, s[0:1]
	v_or_b32_e32 v26, 0x2200, v0
	v_cmp_gt_u32_e32 vcc, s33, v26
                                        ; implicit-def: $vgpr25
	s_and_saveexec_b64 s[0:1], vcc
	s_cbranch_execz .LBB149_43
; %bb.42:
	v_lshlrev_b32_e32 v26, 1, v26
	v_mov_b32_e32 v27, 0
	v_lshl_add_u64 v[26:27], v[2:3], 0, v[26:27]
	flat_load_ushort v25, v[26:27]
.LBB149_43:
	s_or_b64 exec, exec, s[0:1]
	v_or_b32_e32 v27, 0x2400, v0
	v_cmp_gt_u32_e32 vcc, s33, v27
                                        ; implicit-def: $vgpr26
	s_and_saveexec_b64 s[0:1], vcc
	s_cbranch_execz .LBB149_45
; %bb.44:
	v_lshlrev_b32_e32 v26, 1, v27
	v_mov_b32_e32 v27, 0
	v_lshl_add_u64 v[26:27], v[2:3], 0, v[26:27]
	flat_load_ushort v26, v[26:27]
.LBB149_45:
	s_or_b64 exec, exec, s[0:1]
	v_or_b32_e32 v28, 0x2600, v0
	v_cmp_gt_u32_e32 vcc, s33, v28
                                        ; implicit-def: $vgpr27
	s_and_saveexec_b64 s[0:1], vcc
	s_cbranch_execz .LBB149_47
; %bb.46:
	v_lshlrev_b32_e32 v28, 1, v28
	v_mov_b32_e32 v29, 0
	v_lshl_add_u64 v[28:29], v[2:3], 0, v[28:29]
	flat_load_ushort v27, v[28:29]
.LBB149_47:
	s_or_b64 exec, exec, s[0:1]
	v_or_b32_e32 v29, 0x2800, v0
	v_cmp_gt_u32_e32 vcc, s33, v29
                                        ; implicit-def: $vgpr28
	s_and_saveexec_b64 s[0:1], vcc
	s_cbranch_execz .LBB149_49
; %bb.48:
	v_lshlrev_b32_e32 v28, 1, v29
	v_mov_b32_e32 v29, 0
	v_lshl_add_u64 v[28:29], v[2:3], 0, v[28:29]
	flat_load_ushort v28, v[28:29]
.LBB149_49:
	s_or_b64 exec, exec, s[0:1]
	v_or_b32_e32 v30, 0x2a00, v0
	v_cmp_gt_u32_e32 vcc, s33, v30
                                        ; implicit-def: $vgpr29
	s_and_saveexec_b64 s[0:1], vcc
	s_cbranch_execz .LBB149_51
; %bb.50:
	v_lshlrev_b32_e32 v30, 1, v30
	v_mov_b32_e32 v31, 0
	v_lshl_add_u64 v[30:31], v[2:3], 0, v[30:31]
	flat_load_ushort v29, v[30:31]
.LBB149_51:
	s_or_b64 exec, exec, s[0:1]
	v_or_b32_e32 v31, 0x2c00, v0
	v_cmp_gt_u32_e32 vcc, s33, v31
                                        ; implicit-def: $vgpr30
	s_and_saveexec_b64 s[0:1], vcc
	s_cbranch_execz .LBB149_53
; %bb.52:
	v_lshlrev_b32_e32 v30, 1, v31
	v_mov_b32_e32 v31, 0
	v_lshl_add_u64 v[30:31], v[2:3], 0, v[30:31]
	flat_load_ushort v30, v[30:31]
.LBB149_53:
	s_or_b64 exec, exec, s[0:1]
	v_or_b32_e32 v32, 0x2e00, v0
	v_cmp_gt_u32_e32 vcc, s33, v32
                                        ; implicit-def: $vgpr31
	s_and_saveexec_b64 s[0:1], vcc
	s_cbranch_execz .LBB149_55
; %bb.54:
	v_lshlrev_b32_e32 v32, 1, v32
	v_mov_b32_e32 v33, 0
	v_lshl_add_u64 v[32:33], v[2:3], 0, v[32:33]
	flat_load_ushort v31, v[32:33]
.LBB149_55:
	s_or_b64 exec, exec, s[0:1]
	v_or_b32_e32 v33, 0x3000, v0
	v_cmp_gt_u32_e32 vcc, s33, v33
                                        ; implicit-def: $vgpr32
	s_and_saveexec_b64 s[0:1], vcc
	s_cbranch_execz .LBB149_57
; %bb.56:
	v_lshlrev_b32_e32 v32, 1, v33
	v_mov_b32_e32 v33, 0
	v_lshl_add_u64 v[32:33], v[2:3], 0, v[32:33]
	flat_load_ushort v32, v[32:33]
.LBB149_57:
	s_or_b64 exec, exec, s[0:1]
	v_or_b32_e32 v34, 0x3200, v0
	v_cmp_gt_u32_e32 vcc, s33, v34
                                        ; implicit-def: $vgpr33
	s_and_saveexec_b64 s[0:1], vcc
	s_cbranch_execz .LBB149_59
; %bb.58:
	v_lshlrev_b32_e32 v34, 1, v34
	v_mov_b32_e32 v35, 0
	v_lshl_add_u64 v[34:35], v[2:3], 0, v[34:35]
	flat_load_ushort v33, v[34:35]
.LBB149_59:
	s_or_b64 exec, exec, s[0:1]
	v_or_b32_e32 v35, 0x3400, v0
	v_cmp_gt_u32_e32 vcc, s33, v35
                                        ; implicit-def: $vgpr34
	s_and_saveexec_b64 s[0:1], vcc
	s_cbranch_execz .LBB149_61
; %bb.60:
	v_lshlrev_b32_e32 v34, 1, v35
	v_mov_b32_e32 v35, 0
	v_lshl_add_u64 v[34:35], v[2:3], 0, v[34:35]
	flat_load_ushort v34, v[34:35]
.LBB149_61:
	s_or_b64 exec, exec, s[0:1]
	v_or_b32_e32 v36, 0x3600, v0
	v_cmp_gt_u32_e32 vcc, s33, v36
                                        ; implicit-def: $vgpr35
	s_and_saveexec_b64 s[0:1], vcc
	s_cbranch_execz .LBB149_63
; %bb.62:
	v_lshlrev_b32_e32 v36, 1, v36
	v_mov_b32_e32 v37, 0
	v_lshl_add_u64 v[36:37], v[2:3], 0, v[36:37]
	flat_load_ushort v35, v[36:37]
.LBB149_63:
	s_or_b64 exec, exec, s[0:1]
	v_or_b32_e32 v37, 0x3800, v0
	v_cmp_gt_u32_e32 vcc, s33, v37
                                        ; implicit-def: $vgpr36
	s_and_saveexec_b64 s[0:1], vcc
	s_cbranch_execz .LBB149_65
; %bb.64:
	v_lshlrev_b32_e32 v36, 1, v37
	v_mov_b32_e32 v37, 0
	v_lshl_add_u64 v[36:37], v[2:3], 0, v[36:37]
	flat_load_ushort v36, v[36:37]
.LBB149_65:
	s_or_b64 exec, exec, s[0:1]
	v_or_b32_e32 v38, 0x3a00, v0
	v_cmp_gt_u32_e32 vcc, s33, v38
                                        ; implicit-def: $vgpr37
	s_and_saveexec_b64 s[0:1], vcc
	s_cbranch_execz .LBB149_67
; %bb.66:
	v_lshlrev_b32_e32 v38, 1, v38
	v_mov_b32_e32 v39, 0
	v_lshl_add_u64 v[2:3], v[2:3], 0, v[38:39]
	flat_load_ushort v37, v[2:3]
.LBB149_67:
	s_or_b64 exec, exec, s[0:1]
	s_waitcnt vmcnt(0) lgkmcnt(0)
	ds_write_b16 v16, v1
	ds_write_b16 v16, v6 offset:1024
	ds_write_b16 v16, v7 offset:2048
	;; [unrolled: 1-line block ×29, first 2 shown]
	s_waitcnt lgkmcnt(0)
	s_barrier
.LBB149_68:
	v_mul_u32_u24_e32 v44, 30, v0
	v_lshlrev_b32_e32 v2, 1, v44
	ds_read_b32 v17, v2 offset:56
	ds_read2_b32 v[6:7], v2 offset0:12 offset1:13
	ds_read2_b32 v[10:11], v2 offset0:10 offset1:11
	;; [unrolled: 1-line block ×3, first 2 shown]
	ds_read2_b32 v[22:23], v2 offset1:1
	ds_read2_b32 v[20:21], v2 offset0:2 offset1:3
	ds_read2_b32 v[18:19], v2 offset0:4 offset1:5
	ds_read2_b32 v[14:15], v2 offset0:6 offset1:7
	s_waitcnt lgkmcnt(7)
	v_lshrrev_b32_e32 v1, 16, v17
	s_waitcnt lgkmcnt(6)
	v_lshrrev_b32_e32 v33, 16, v6
	v_lshrrev_b32_e32 v32, 16, v7
	s_waitcnt lgkmcnt(5)
	v_lshrrev_b32_e32 v35, 16, v10
	;; [unrolled: 3-line block ×6, first 2 shown]
	v_lshrrev_b32_e32 v38, 16, v15
	v_lshrrev_b32_e32 v37, 16, v12
	;; [unrolled: 1-line block ×3, first 2 shown]
	v_cndmask_b32_e64 v2, 0, 1, s[4:5]
	v_cmp_ne_u32_e64 s[2:3], 1, v2
	s_andn2_b64 vcc, exec, s[4:5]
	v_xor_b32_e32 v96, -1, v22
	v_xor_b32_e32 v95, -1, v46
	;; [unrolled: 1-line block ×30, first 2 shown]
	s_barrier
	s_cbranch_vccnz .LBB149_70
; %bb.69:
	v_and_b32_e32 v77, 1, v96
	v_and_b32_e32 v76, 1, v95
	;; [unrolled: 1-line block ×30, first 2 shown]
	s_cbranch_execz .LBB149_71
	s_branch .LBB149_72
.LBB149_70:
                                        ; implicit-def: $vgpr77
                                        ; implicit-def: $vgpr76
                                        ; implicit-def: $vgpr75
                                        ; implicit-def: $vgpr74
                                        ; implicit-def: $vgpr73
                                        ; implicit-def: $vgpr72
                                        ; implicit-def: $vgpr71
                                        ; implicit-def: $vgpr70
                                        ; implicit-def: $vgpr69
                                        ; implicit-def: $vgpr67
                                        ; implicit-def: $vgpr66
                                        ; implicit-def: $vgpr65
                                        ; implicit-def: $vgpr64
                                        ; implicit-def: $vgpr63
                                        ; implicit-def: $vgpr62
                                        ; implicit-def: $vgpr61
                                        ; implicit-def: $vgpr60
                                        ; implicit-def: $vgpr59
                                        ; implicit-def: $vgpr58
                                        ; implicit-def: $vgpr57
                                        ; implicit-def: $vgpr56
                                        ; implicit-def: $vgpr55
                                        ; implicit-def: $vgpr54
                                        ; implicit-def: $vgpr53
                                        ; implicit-def: $vgpr52
                                        ; implicit-def: $vgpr51
                                        ; implicit-def: $vgpr50
                                        ; implicit-def: $vgpr49
                                        ; implicit-def: $vgpr47
                                        ; implicit-def: $vgpr48
.LBB149_71:
	v_or_b32_e32 v56, 1, v44
	v_cmp_gt_u32_e32 vcc, s33, v44
	v_add_u32_e32 v57, 2, v44
	v_add_u32_e32 v58, 3, v44
	v_cndmask_b32_e64 v66, 0, 1, vcc
	v_cmp_gt_u32_e32 vcc, s33, v56
	v_add_u32_e32 v59, 4, v44
	v_add_u32_e32 v60, 5, v44
	v_cndmask_b32_e64 v56, 0, 1, vcc
	v_cmp_gt_u32_e32 vcc, s33, v57
	v_and_b32_e32 v76, v56, v95
	v_add_u32_e32 v61, 6, v44
	v_cndmask_b32_e64 v56, 0, 1, vcc
	v_cmp_gt_u32_e32 vcc, s33, v58
	v_and_b32_e32 v75, v56, v94
	;; [unrolled: 4-line block ×9, first 2 shown]
	v_and_b32_e32 v77, v66, v96
	v_cndmask_b32_e64 v56, 0, 1, vcc
	v_cmp_gt_u32_e32 vcc, s33, v97
	v_and_b32_e32 v66, v56, v86
	v_add_u32_e32 v100, 14, v44
	v_cndmask_b32_e64 v56, 0, 1, vcc
	v_cmp_gt_u32_e32 vcc, s33, v98
	v_and_b32_e32 v65, v56, v85
	v_add_u32_e32 v101, 15, v44
	;; [unrolled: 4-line block ×16, first 2 shown]
	v_cndmask_b32_e64 v26, 0, 1, vcc
	v_cmp_gt_u32_e32 vcc, s33, v49
	v_and_b32_e32 v50, v26, v25
	s_nop 0
	v_cndmask_b32_e64 v25, 0, 1, vcc
	v_cmp_gt_u32_e32 vcc, s33, v47
	v_and_b32_e32 v49, v25, v24
	s_nop 0
	;; [unrolled: 4-line block ×3, first 2 shown]
	v_cndmask_b32_e64 v3, 0, 1, vcc
	v_and_b32_e32 v48, v3, v2
.LBB149_72:
	v_and_b32_e32 v104, 0xff, v50
	v_and_b32_e32 v105, 0xff, v49
	v_add_u32_sdwa v2, v47, v48 dst_sel:DWORD dst_unused:UNUSED_PAD src0_sel:BYTE_0 src1_sel:BYTE_0
	v_and_b32_e32 v102, 0xff, v52
	v_and_b32_e32 v103, 0xff, v51
	v_add3_u32 v2, v2, v105, v104
	v_and_b32_e32 v100, 0xff, v54
	v_and_b32_e32 v101, 0xff, v53
	v_add3_u32 v2, v2, v103, v102
	;; [unrolled: 3-line block ×13, first 2 shown]
	v_add3_u32 v108, v2, v79, v78
	v_mbcnt_lo_u32_b32 v2, -1, 0
	v_mbcnt_hi_u32_b32 v106, -1, v2
	v_and_b32_e32 v2, 15, v106
	v_cmp_eq_u32_e64 s[16:17], 0, v2
	v_cmp_lt_u32_e64 s[14:15], 1, v2
	v_cmp_lt_u32_e64 s[12:13], 3, v2
	;; [unrolled: 1-line block ×3, first 2 shown]
	v_and_b32_e32 v2, 16, v106
	v_cmp_eq_u32_e64 s[8:9], 0, v2
	v_or_b32_e32 v2, 63, v0
	s_cmp_lg_u32 s40, 0
	v_cmp_lt_u32_e64 s[4:5], 31, v106
	v_lshrrev_b32_e32 v107, 6, v0
	v_cmp_eq_u32_e64 s[6:7], v2, v0
	s_cbranch_scc0 .LBB149_103
; %bb.73:
	v_mov_b32_dpp v2, v108 row_shr:1 row_mask:0xf bank_mask:0xf
	v_cndmask_b32_e64 v2, v2, 0, s[16:17]
	v_add_u32_e32 v2, v2, v108
	s_nop 1
	v_mov_b32_dpp v3, v2 row_shr:2 row_mask:0xf bank_mask:0xf
	v_cndmask_b32_e64 v3, 0, v3, s[14:15]
	v_add_u32_e32 v2, v2, v3
	s_nop 1
	;; [unrolled: 4-line block ×4, first 2 shown]
	v_mov_b32_dpp v3, v2 row_bcast:15 row_mask:0xf bank_mask:0xf
	v_cndmask_b32_e64 v3, v3, 0, s[8:9]
	v_add_u32_e32 v2, v2, v3
	s_nop 1
	v_mov_b32_dpp v3, v2 row_bcast:31 row_mask:0xf bank_mask:0xf
	v_cndmask_b32_e64 v3, 0, v3, s[4:5]
	v_add_u32_e32 v2, v2, v3
	s_and_saveexec_b64 s[0:1], s[6:7]
	s_cbranch_execz .LBB149_75
; %bb.74:
	v_lshlrev_b32_e32 v3, 2, v107
	ds_write_b32 v3, v2
.LBB149_75:
	s_or_b64 exec, exec, s[0:1]
	v_cmp_gt_u32_e32 vcc, 8, v0
	s_waitcnt lgkmcnt(0)
	s_barrier
	s_and_saveexec_b64 s[0:1], vcc
	s_cbranch_execz .LBB149_77
; %bb.76:
	v_lshlrev_b32_e32 v3, 2, v0
	ds_read_b32 v24, v3
	v_and_b32_e32 v25, 7, v106
	v_cmp_ne_u32_e32 vcc, 0, v25
	s_waitcnt lgkmcnt(0)
	v_mov_b32_dpp v26, v24 row_shr:1 row_mask:0xf bank_mask:0xf
	v_cndmask_b32_e32 v26, 0, v26, vcc
	v_add_u32_e32 v24, v26, v24
	v_cmp_lt_u32_e32 vcc, 1, v25
	s_nop 0
	v_mov_b32_dpp v26, v24 row_shr:2 row_mask:0xf bank_mask:0xf
	v_cndmask_b32_e32 v26, 0, v26, vcc
	v_add_u32_e32 v24, v24, v26
	v_cmp_lt_u32_e32 vcc, 3, v25
	s_nop 0
	v_mov_b32_dpp v26, v24 row_shr:4 row_mask:0xf bank_mask:0xf
	v_cndmask_b32_e32 v25, 0, v26, vcc
	v_add_u32_e32 v24, v24, v25
	ds_write_b32 v3, v24
.LBB149_77:
	s_or_b64 exec, exec, s[0:1]
	v_cmp_gt_u32_e32 vcc, 64, v0
	v_cmp_lt_u32_e64 s[0:1], 63, v0
	s_waitcnt lgkmcnt(0)
	s_barrier
	s_waitcnt lgkmcnt(0)
                                        ; implicit-def: $vgpr68
	s_and_saveexec_b64 s[18:19], s[0:1]
	s_cbranch_execz .LBB149_79
; %bb.78:
	v_lshl_add_u32 v3, v107, 2, -4
	ds_read_b32 v68, v3
	s_waitcnt lgkmcnt(0)
	v_add_u32_e32 v2, v68, v2
.LBB149_79:
	s_or_b64 exec, exec, s[18:19]
	v_add_u32_e32 v3, -1, v106
	v_and_b32_e32 v24, 64, v106
	v_cmp_lt_i32_e64 s[0:1], v3, v24
	v_cmp_eq_u32_e64 s[18:19], 0, v106
	s_nop 0
	v_cndmask_b32_e64 v3, v3, v106, s[0:1]
	v_lshlrev_b32_e32 v3, 2, v3
	ds_bpermute_b32 v109, v3, v2
	s_and_saveexec_b64 s[0:1], vcc
	s_cbranch_execz .LBB149_102
; %bb.80:
	v_mov_b32_e32 v31, 0
	ds_read_b32 v2, v31 offset:28
	s_and_saveexec_b64 s[28:29], s[18:19]
	s_cbranch_execz .LBB149_82
; %bb.81:
	s_add_i32 s38, s40, 64
	s_mov_b32 s39, 0
	s_lshl_b64 s[38:39], s[38:39], 3
	s_add_u32 s38, s36, s38
	v_mov_b32_e32 v3, 1
	s_addc_u32 s39, s37, s39
	s_waitcnt lgkmcnt(0)
	global_store_dwordx2 v31, v[2:3], s[38:39] sc1
.LBB149_82:
	s_or_b64 exec, exec, s[28:29]
	v_xad_u32 v24, v106, -1, s40
	v_add_u32_e32 v30, 64, v24
	v_lshl_add_u64 v[26:27], v[30:31], 3, s[36:37]
	global_load_dwordx2 v[28:29], v[26:27], off sc1
	s_waitcnt vmcnt(0)
	v_cmp_eq_u16_sdwa s[38:39], v29, v31 src0_sel:BYTE_0 src1_sel:DWORD
	s_and_saveexec_b64 s[28:29], s[38:39]
	s_cbranch_execz .LBB149_88
; %bb.83:
	s_mov_b32 s41, 1
	s_mov_b64 s[38:39], 0
	v_mov_b32_e32 v3, 0
.LBB149_84:                             ; =>This Loop Header: Depth=1
                                        ;     Child Loop BB149_85 Depth 2
	s_max_u32 s42, s41, 1
.LBB149_85:                             ;   Parent Loop BB149_84 Depth=1
                                        ; =>  This Inner Loop Header: Depth=2
	s_add_i32 s42, s42, -1
	s_cmp_eq_u32 s42, 0
	s_sleep 1
	s_cbranch_scc0 .LBB149_85
; %bb.86:                               ;   in Loop: Header=BB149_84 Depth=1
	global_load_dwordx2 v[28:29], v[26:27], off sc1
	s_cmp_lt_u32 s41, 32
	s_cselect_b64 s[42:43], -1, 0
	s_cmp_lg_u64 s[42:43], 0
	s_addc_u32 s41, s41, 0
	s_waitcnt vmcnt(0)
	v_cmp_ne_u16_sdwa s[42:43], v29, v3 src0_sel:BYTE_0 src1_sel:DWORD
	s_or_b64 s[38:39], s[42:43], s[38:39]
	s_andn2_b64 exec, exec, s[38:39]
	s_cbranch_execnz .LBB149_84
; %bb.87:
	s_or_b64 exec, exec, s[38:39]
.LBB149_88:
	s_or_b64 exec, exec, s[28:29]
	v_and_b32_e32 v111, 63, v106
	v_mov_b32_e32 v110, 2
	v_cmp_ne_u32_e32 vcc, 63, v111
	v_cmp_eq_u16_sdwa s[28:29], v29, v110 src0_sel:BYTE_0 src1_sel:DWORD
	v_lshlrev_b64 v[26:27], v106, -1
	v_addc_co_u32_e32 v30, vcc, 0, v106, vcc
	v_and_b32_e32 v3, s29, v27
	v_lshlrev_b32_e32 v112, 2, v30
	v_or_b32_e32 v3, 0x80000000, v3
	ds_bpermute_b32 v30, v112, v28
	v_and_b32_e32 v25, s28, v26
	v_ffbl_b32_e32 v3, v3
	v_add_u32_e32 v3, 32, v3
	v_ffbl_b32_e32 v25, v25
	v_min_u32_e32 v3, v25, v3
	v_cmp_lt_u32_e32 vcc, v111, v3
	v_add_u32_e32 v114, 2, v111
	v_add_u32_e32 v116, 4, v111
	s_waitcnt lgkmcnt(0)
	v_cndmask_b32_e32 v25, 0, v30, vcc
	v_cmp_gt_u32_e32 vcc, 62, v111
	v_add_u32_e32 v25, v25, v28
	v_add_u32_e32 v118, 8, v111
	v_cndmask_b32_e64 v28, 0, 1, vcc
	v_lshlrev_b32_e32 v28, 1, v28
	v_add_lshl_u32 v113, v28, v106, 2
	ds_bpermute_b32 v28, v113, v25
	v_cmp_le_u32_e32 vcc, v114, v3
	v_add_u32_e32 v120, 16, v111
	v_add_u32_e32 v122, 32, v111
	s_waitcnt lgkmcnt(0)
	v_cndmask_b32_e32 v28, 0, v28, vcc
	v_cmp_gt_u32_e32 vcc, 60, v111
	v_add_u32_e32 v25, v25, v28
	s_nop 0
	v_cndmask_b32_e64 v28, 0, 1, vcc
	v_lshlrev_b32_e32 v28, 2, v28
	v_add_lshl_u32 v115, v28, v106, 2
	ds_bpermute_b32 v28, v115, v25
	v_cmp_le_u32_e32 vcc, v116, v3
	s_waitcnt lgkmcnt(0)
	s_nop 0
	v_cndmask_b32_e32 v28, 0, v28, vcc
	v_cmp_gt_u32_e32 vcc, 56, v111
	v_add_u32_e32 v25, v25, v28
	s_nop 0
	v_cndmask_b32_e64 v28, 0, 1, vcc
	v_lshlrev_b32_e32 v28, 3, v28
	v_add_lshl_u32 v117, v28, v106, 2
	ds_bpermute_b32 v28, v117, v25
	v_cmp_le_u32_e32 vcc, v118, v3
	s_waitcnt lgkmcnt(0)
	s_nop 0
	;; [unrolled: 11-line block ×4, first 2 shown]
	v_cndmask_b32_e32 v3, 0, v28, vcc
	v_add_u32_e32 v28, v25, v3
	v_mov_b32_e32 v25, 0
	s_branch .LBB149_90
.LBB149_89:                             ;   in Loop: Header=BB149_90 Depth=1
	s_or_b64 exec, exec, s[28:29]
	v_cmp_eq_u16_sdwa s[28:29], v29, v110 src0_sel:BYTE_0 src1_sel:DWORD
	ds_bpermute_b32 v123, v112, v28
	v_subrev_u32_e32 v24, 64, v24
	v_and_b32_e32 v30, s29, v27
	v_or_b32_e32 v30, 0x80000000, v30
	v_and_b32_e32 v31, s28, v26
	v_ffbl_b32_e32 v30, v30
	v_add_u32_e32 v30, 32, v30
	v_ffbl_b32_e32 v31, v31
	v_min_u32_e32 v30, v31, v30
	v_cmp_lt_u32_e32 vcc, v111, v30
	s_waitcnt lgkmcnt(0)
	s_nop 0
	v_cndmask_b32_e32 v31, 0, v123, vcc
	v_add_u32_e32 v28, v31, v28
	ds_bpermute_b32 v31, v113, v28
	v_cmp_le_u32_e32 vcc, v114, v30
	s_waitcnt lgkmcnt(0)
	s_nop 0
	v_cndmask_b32_e32 v31, 0, v31, vcc
	v_add_u32_e32 v28, v28, v31
	ds_bpermute_b32 v31, v115, v28
	v_cmp_le_u32_e32 vcc, v116, v30
	;; [unrolled: 6-line block ×5, first 2 shown]
	s_waitcnt lgkmcnt(0)
	s_nop 0
	v_cndmask_b32_e32 v30, 0, v31, vcc
	v_add3_u32 v28, v30, v3, v28
.LBB149_90:                             ; =>This Loop Header: Depth=1
                                        ;     Child Loop BB149_93 Depth 2
                                        ;       Child Loop BB149_94 Depth 3
	v_cmp_ne_u16_sdwa s[28:29], v29, v110 src0_sel:BYTE_0 src1_sel:DWORD
	s_nop 1
	v_cndmask_b32_e64 v3, 0, 1, s[28:29]
	;;#ASMSTART
	;;#ASMEND
	s_nop 0
	v_cmp_ne_u32_e32 vcc, 0, v3
	s_cmp_lg_u64 vcc, exec
	v_mov_b32_e32 v3, v28
	s_cbranch_scc1 .LBB149_97
; %bb.91:                               ;   in Loop: Header=BB149_90 Depth=1
	v_lshl_add_u64 v[30:31], v[24:25], 3, s[36:37]
	global_load_dwordx2 v[28:29], v[30:31], off sc1
	s_waitcnt vmcnt(0)
	v_cmp_eq_u16_sdwa s[38:39], v29, v25 src0_sel:BYTE_0 src1_sel:DWORD
	s_and_saveexec_b64 s[28:29], s[38:39]
	s_cbranch_execz .LBB149_89
; %bb.92:                               ;   in Loop: Header=BB149_90 Depth=1
	s_mov_b32 s41, 1
	s_mov_b64 s[38:39], 0
.LBB149_93:                             ;   Parent Loop BB149_90 Depth=1
                                        ; =>  This Loop Header: Depth=2
                                        ;       Child Loop BB149_94 Depth 3
	s_max_u32 s42, s41, 1
.LBB149_94:                             ;   Parent Loop BB149_90 Depth=1
                                        ;     Parent Loop BB149_93 Depth=2
                                        ; =>    This Inner Loop Header: Depth=3
	s_add_i32 s42, s42, -1
	s_cmp_eq_u32 s42, 0
	s_sleep 1
	s_cbranch_scc0 .LBB149_94
; %bb.95:                               ;   in Loop: Header=BB149_93 Depth=2
	global_load_dwordx2 v[28:29], v[30:31], off sc1
	s_cmp_lt_u32 s41, 32
	s_cselect_b64 s[42:43], -1, 0
	s_cmp_lg_u64 s[42:43], 0
	s_addc_u32 s41, s41, 0
	s_waitcnt vmcnt(0)
	v_cmp_ne_u16_sdwa s[42:43], v29, v25 src0_sel:BYTE_0 src1_sel:DWORD
	s_or_b64 s[38:39], s[42:43], s[38:39]
	s_andn2_b64 exec, exec, s[38:39]
	s_cbranch_execnz .LBB149_93
; %bb.96:                               ;   in Loop: Header=BB149_90 Depth=1
	s_or_b64 exec, exec, s[38:39]
	s_branch .LBB149_89
.LBB149_97:                             ;   in Loop: Header=BB149_90 Depth=1
                                        ; implicit-def: $vgpr28
                                        ; implicit-def: $vgpr29
	s_cbranch_execz .LBB149_90
; %bb.98:
	s_and_saveexec_b64 s[28:29], s[18:19]
	s_cbranch_execz .LBB149_100
; %bb.99:
	s_add_i32 s38, s40, 64
	s_mov_b32 s39, 0
	s_lshl_b64 s[38:39], s[38:39], 3
	s_add_u32 s38, s36, s38
	v_add_u32_e32 v24, v3, v2
	v_mov_b32_e32 v25, 2
	s_addc_u32 s39, s37, s39
	v_mov_b32_e32 v26, 0
	global_store_dwordx2 v26, v[24:25], s[38:39] sc1
	ds_write_b64 v26, v[2:3] offset:30720
.LBB149_100:
	s_or_b64 exec, exec, s[28:29]
	s_and_b64 exec, exec, s[20:21]
	s_cbranch_execz .LBB149_102
; %bb.101:
	v_mov_b32_e32 v2, 0
	ds_write_b32 v2, v3 offset:28
.LBB149_102:
	s_or_b64 exec, exec, s[0:1]
	v_mov_b32_e32 v2, 0
	s_waitcnt lgkmcnt(0)
	s_barrier
	ds_read_b32 v24, v2 offset:28
	s_waitcnt lgkmcnt(0)
	s_barrier
	ds_read_b64 v[2:3], v2 offset:30720
	v_cndmask_b32_e64 v25, v109, v68, s[18:19]
	v_cndmask_b32_e64 v25, v25, 0, s[20:21]
	v_add_u32_e32 v24, v24, v25
	s_waitcnt lgkmcnt(0)
	v_mov_b32_e32 v68, v3
	s_branch .LBB149_113
.LBB149_103:
                                        ; implicit-def: $vgpr68
                                        ; implicit-def: $vgpr2
                                        ; implicit-def: $vgpr24
	s_cbranch_execz .LBB149_113
; %bb.104:
	s_nop 0
	v_mov_b32_dpp v2, v108 row_shr:1 row_mask:0xf bank_mask:0xf
	v_cndmask_b32_e64 v2, v2, 0, s[16:17]
	v_add_u32_e32 v2, v2, v108
	s_nop 1
	v_mov_b32_dpp v3, v2 row_shr:2 row_mask:0xf bank_mask:0xf
	v_cndmask_b32_e64 v3, 0, v3, s[14:15]
	v_add_u32_e32 v2, v2, v3
	;; [unrolled: 4-line block ×4, first 2 shown]
	s_nop 1
	v_mov_b32_dpp v3, v2 row_bcast:15 row_mask:0xf bank_mask:0xf
	v_cndmask_b32_e64 v3, v3, 0, s[8:9]
	v_add_u32_e32 v2, v2, v3
	s_nop 1
	v_mov_b32_dpp v3, v2 row_bcast:31 row_mask:0xf bank_mask:0xf
	v_cndmask_b32_e64 v3, 0, v3, s[4:5]
	v_add_u32_e32 v2, v2, v3
	s_and_saveexec_b64 s[0:1], s[6:7]
	s_cbranch_execz .LBB149_106
; %bb.105:
	v_lshlrev_b32_e32 v3, 2, v107
	ds_write_b32 v3, v2
.LBB149_106:
	s_or_b64 exec, exec, s[0:1]
	v_cmp_gt_u32_e32 vcc, 8, v0
	s_waitcnt lgkmcnt(0)
	s_barrier
	s_and_saveexec_b64 s[0:1], vcc
	s_cbranch_execz .LBB149_108
; %bb.107:
	v_lshlrev_b32_e32 v3, 2, v0
	ds_read_b32 v24, v3
	v_and_b32_e32 v25, 7, v106
	v_cmp_ne_u32_e32 vcc, 0, v25
	s_waitcnt lgkmcnt(0)
	v_mov_b32_dpp v26, v24 row_shr:1 row_mask:0xf bank_mask:0xf
	v_cndmask_b32_e32 v26, 0, v26, vcc
	v_add_u32_e32 v24, v26, v24
	v_cmp_lt_u32_e32 vcc, 1, v25
	s_nop 0
	v_mov_b32_dpp v26, v24 row_shr:2 row_mask:0xf bank_mask:0xf
	v_cndmask_b32_e32 v26, 0, v26, vcc
	v_add_u32_e32 v24, v24, v26
	v_cmp_lt_u32_e32 vcc, 3, v25
	s_nop 0
	v_mov_b32_dpp v26, v24 row_shr:4 row_mask:0xf bank_mask:0xf
	v_cndmask_b32_e32 v25, 0, v26, vcc
	v_add_u32_e32 v24, v24, v25
	ds_write_b32 v3, v24
.LBB149_108:
	s_or_b64 exec, exec, s[0:1]
	v_cmp_lt_u32_e32 vcc, 63, v0
	v_mov_b32_e32 v3, 0
	v_mov_b32_e32 v24, 0
	s_waitcnt lgkmcnt(0)
	s_barrier
	s_and_saveexec_b64 s[0:1], vcc
	s_cbranch_execz .LBB149_110
; %bb.109:
	v_lshl_add_u32 v24, v107, 2, -4
	ds_read_b32 v24, v24
.LBB149_110:
	s_or_b64 exec, exec, s[0:1]
	v_add_u32_e32 v25, -1, v106
	v_and_b32_e32 v26, 64, v106
	v_cmp_lt_i32_e32 vcc, v25, v26
	s_waitcnt lgkmcnt(0)
	v_add_u32_e32 v2, v24, v2
	v_cndmask_b32_e32 v25, v25, v106, vcc
	v_lshlrev_b32_e32 v25, 2, v25
	ds_bpermute_b32 v25, v25, v2
	ds_read_b32 v2, v3 offset:28
	s_and_saveexec_b64 s[0:1], s[20:21]
	s_cbranch_execz .LBB149_112
; %bb.111:
	v_mov_b32_e32 v26, 0
	v_mov_b32_e32 v3, 2
	s_waitcnt lgkmcnt(0)
	global_store_dwordx2 v26, v[2:3], s[36:37] offset:512 sc1
.LBB149_112:
	s_or_b64 exec, exec, s[0:1]
	v_cmp_eq_u32_e32 vcc, 0, v106
	v_mov_b32_e32 v68, 0
	s_waitcnt lgkmcnt(0)
	v_cndmask_b32_e32 v3, v25, v24, vcc
	v_cndmask_b32_e64 v24, v3, 0, s[20:21]
	s_barrier
.LBB149_113:
	v_add_u32_e32 v3, v24, v78
	v_add_u32_e32 v25, v3, v79
	;; [unrolled: 1-line block ×21, first 2 shown]
	v_sub_u32_e32 v24, v24, v68
	v_and_b32_e32 v77, 1, v77
	v_add_u32_e32 v90, v89, v98
	v_sub_u32_e32 v98, v44, v24
	v_cmp_eq_u32_e32 vcc, 1, v77
	v_sub_u32_e32 v3, v3, v68
	v_add_u32_e32 v91, v90, v99
	v_cndmask_b32_e32 v24, v98, v24, vcc
	v_lshlrev_b32_e32 v24, 1, v24
	ds_write_b16 v24, v22
	v_sub_u32_e32 v22, v44, v3
	v_and_b32_e32 v24, 1, v76
	v_add_u32_e32 v22, 1, v22
	v_cmp_eq_u32_e32 vcc, 1, v24
	v_and_b32_e32 v24, 1, v75
	v_add_u32_e32 v92, v91, v100
	v_cndmask_b32_e32 v3, v22, v3, vcc
	v_lshlrev_b32_e32 v3, 1, v3
	ds_write_b16 v3, v46
	v_sub_u32_e32 v3, v25, v68
	v_sub_u32_e32 v22, v44, v3
	v_add_u32_e32 v22, 2, v22
	v_cmp_eq_u32_e32 vcc, 1, v24
	v_add_u32_e32 v93, v92, v101
	v_add_u32_e32 v94, v93, v102
	v_cndmask_b32_e32 v3, v22, v3, vcc
	v_lshlrev_b32_e32 v3, 1, v3
	ds_write_b16 v3, v23
	v_sub_u32_e32 v3, v26, v68
	v_sub_u32_e32 v22, v44, v3
	v_and_b32_e32 v23, 1, v74
	v_add_u32_e32 v22, 3, v22
	v_cmp_eq_u32_e32 vcc, 1, v23
	v_and_b32_e32 v23, 1, v73
	v_add_u32_e32 v95, v94, v103
	v_cndmask_b32_e32 v3, v22, v3, vcc
	v_lshlrev_b32_e32 v3, 1, v3
	ds_write_b16 v3, v45
	v_sub_u32_e32 v3, v27, v68
	v_sub_u32_e32 v22, v44, v3
	v_add_u32_e32 v22, 4, v22
	v_cmp_eq_u32_e32 vcc, 1, v23
	v_add_u32_e32 v96, v95, v104
	v_add_u32_e32 v97, v96, v105
	v_cndmask_b32_e32 v3, v22, v3, vcc
	v_lshlrev_b32_e32 v3, 1, v3
	ds_write_b16 v3, v20
	v_sub_u32_e32 v3, v28, v68
	v_sub_u32_e32 v20, v44, v3
	v_and_b32_e32 v22, 1, v72
	v_add_u32_e32 v20, 5, v20
	v_cmp_eq_u32_e32 vcc, 1, v22
	v_and_b32_e32 v22, 1, v71
	v_lshl_add_u64 v[8:9], s[30:31], 0, v[8:9]
	v_cndmask_b32_e32 v3, v20, v3, vcc
	v_lshlrev_b32_e32 v3, 1, v3
	ds_write_b16 v3, v43
	v_sub_u32_e32 v3, v29, v68
	v_sub_u32_e32 v20, v44, v3
	v_add_u32_e32 v20, 6, v20
	v_cmp_eq_u32_e32 vcc, 1, v22
	v_or_b32_e32 v46, 0x1600, v0
	v_or_b32_e32 v28, 0x2800, v0
	v_cndmask_b32_e32 v3, v20, v3, vcc
	v_lshlrev_b32_e32 v3, 1, v3
	ds_write_b16 v3, v21
	v_sub_u32_e32 v3, v30, v68
	v_sub_u32_e32 v20, v44, v3
	v_and_b32_e32 v21, 1, v70
	v_add_u32_e32 v20, 7, v20
	v_cmp_eq_u32_e32 vcc, 1, v21
	v_and_b32_e32 v21, 1, v69
	v_or_b32_e32 v30, 0x2600, v0
	v_cndmask_b32_e32 v3, v20, v3, vcc
	v_lshlrev_b32_e32 v3, 1, v3
	ds_write_b16 v3, v42
	v_sub_u32_e32 v3, v31, v68
	v_sub_u32_e32 v20, v44, v3
	v_add_u32_e32 v20, 8, v20
	v_cmp_eq_u32_e32 vcc, 1, v21
	v_or_b32_e32 v42, 0x1a00, v0
	v_or_b32_e32 v26, 0x2a00, v0
	v_cndmask_b32_e32 v3, v20, v3, vcc
	v_lshlrev_b32_e32 v3, 1, v3
	ds_write_b16 v3, v18
	v_sub_u32_e32 v3, v78, v68
	v_sub_u32_e32 v18, v44, v3
	v_and_b32_e32 v20, 1, v67
	v_add_u32_e32 v18, 9, v18
	v_cmp_eq_u32_e32 vcc, 1, v20
	v_and_b32_e32 v20, 1, v66
	v_or_b32_e32 v66, 0x200, v0
	v_cndmask_b32_e32 v3, v18, v3, vcc
	v_lshlrev_b32_e32 v3, 1, v3
	ds_write_b16 v3, v41
	v_sub_u32_e32 v3, v79, v68
	v_sub_u32_e32 v18, v44, v3
	v_add_u32_e32 v18, 10, v18
	v_cmp_eq_u32_e32 vcc, 1, v20
	v_or_b32_e32 v24, 0x2c00, v0
	v_or_b32_e32 v22, 0x2e00, v0
	v_cndmask_b32_e32 v3, v18, v3, vcc
	v_lshlrev_b32_e32 v3, 1, v3
	ds_write_b16 v3, v19
	v_sub_u32_e32 v3, v80, v68
	v_sub_u32_e32 v18, v44, v3
	v_and_b32_e32 v19, 1, v65
	v_add_u32_e32 v18, 11, v18
	v_cmp_eq_u32_e32 vcc, 1, v19
	v_and_b32_e32 v19, 1, v64
	v_or_b32_e32 v64, 0x400, v0
	v_cndmask_b32_e32 v3, v18, v3, vcc
	v_lshlrev_b32_e32 v3, 1, v3
	ds_write_b16 v3, v40
	v_sub_u32_e32 v3, v81, v68
	v_sub_u32_e32 v18, v44, v3
	v_add_u32_e32 v18, 12, v18
	v_cmp_eq_u32_e32 vcc, 1, v19
	v_or_b32_e32 v40, 0x1c00, v0
	v_or_b32_e32 v20, 0x3000, v0
	v_cndmask_b32_e32 v3, v18, v3, vcc
	v_lshlrev_b32_e32 v3, 1, v3
	ds_write_b16 v3, v14
	v_sub_u32_e32 v3, v82, v68
	v_sub_u32_e32 v14, v44, v3
	v_and_b32_e32 v18, 1, v63
	v_add_u32_e32 v14, 13, v14
	v_cmp_eq_u32_e32 vcc, 1, v18
	v_and_b32_e32 v18, 1, v62
	v_or_b32_e32 v62, 0x600, v0
	v_cndmask_b32_e32 v3, v14, v3, vcc
	v_lshlrev_b32_e32 v3, 1, v3
	ds_write_b16 v3, v39
	v_sub_u32_e32 v3, v83, v68
	v_sub_u32_e32 v14, v44, v3
	v_add_u32_e32 v14, 14, v14
	v_cmp_eq_u32_e32 vcc, 1, v18
	v_or_b32_e32 v18, 0x3200, v0
	s_nop 0
	v_cndmask_b32_e32 v3, v14, v3, vcc
	v_lshlrev_b32_e32 v3, 1, v3
	ds_write_b16 v3, v15
	v_sub_u32_e32 v3, v84, v68
	v_sub_u32_e32 v14, v44, v3
	v_and_b32_e32 v15, 1, v61
	v_add_u32_e32 v14, 15, v14
	v_cmp_eq_u32_e32 vcc, 1, v15
	v_and_b32_e32 v15, 1, v60
	v_or_b32_e32 v60, 0x800, v0
	v_cndmask_b32_e32 v3, v14, v3, vcc
	v_lshlrev_b32_e32 v3, 1, v3
	ds_write_b16 v3, v38
	v_sub_u32_e32 v3, v85, v68
	v_sub_u32_e32 v14, v44, v3
	v_add_u32_e32 v14, 16, v14
	v_cmp_eq_u32_e32 vcc, 1, v15
	v_or_b32_e32 v38, 0x1e00, v0
	s_nop 0
	v_cndmask_b32_e32 v3, v14, v3, vcc
	v_lshlrev_b32_e32 v3, 1, v3
	ds_write_b16 v3, v12
	v_sub_u32_e32 v3, v86, v68
	v_sub_u32_e32 v12, v44, v3
	v_and_b32_e32 v14, 1, v59
	v_add_u32_e32 v12, 17, v12
	v_cmp_eq_u32_e32 vcc, 1, v14
	v_and_b32_e32 v14, 1, v58
	v_or_b32_e32 v58, 0xa00, v0
	;; [unrolled: 19-line block ×6, first 2 shown]
	v_cndmask_b32_e32 v3, v6, v3, vcc
	v_lshlrev_b32_e32 v3, 1, v3
	ds_write_b16 v3, v33
	v_sub_u32_e32 v3, v95, v68
	v_sub_u32_e32 v6, v44, v3
	v_add_u32_e32 v6, 26, v6
	v_cmp_eq_u32_e32 vcc, 1, v10
	v_or_b32_e32 v10, 0x3800, v0
	s_nop 0
	v_cndmask_b32_e32 v3, v6, v3, vcc
	v_lshlrev_b32_e32 v3, 1, v3
	ds_write_b16 v3, v7
	v_sub_u32_e32 v3, v96, v68
	v_sub_u32_e32 v6, v44, v3
	v_and_b32_e32 v7, 1, v49
	v_add_u32_e32 v6, 27, v6
	v_cmp_eq_u32_e32 vcc, 1, v7
	v_and_b32_e32 v7, 1, v47
	s_nop 0
	v_cndmask_b32_e32 v3, v6, v3, vcc
	v_lshlrev_b32_e32 v3, 1, v3
	ds_write_b16 v3, v32
	v_sub_u32_e32 v3, v97, v68
	v_sub_u32_e32 v6, v44, v3
	v_add_u32_e32 v6, 28, v6
	v_cmp_eq_u32_e32 vcc, 1, v7
	v_and_b32_e32 v7, 1, v48
	v_or_b32_e32 v48, 0x1400, v0
	v_cndmask_b32_e32 v3, v6, v3, vcc
	v_lshlrev_b32_e32 v3, 1, v3
	ds_write_b16 v3, v17
	v_sub_u32_sdwa v3, v47, v68 dst_sel:DWORD dst_unused:UNUSED_PAD src0_sel:BYTE_0 src1_sel:DWORD
	v_add_u32_e32 v3, v97, v3
	v_sub_u32_e32 v6, v44, v3
	v_add_u32_e32 v6, 29, v6
	v_cmp_eq_u32_e32 vcc, 1, v7
	v_or_b32_e32 v44, 0x1800, v0
	v_or_b32_e32 v32, 0x2400, v0
	v_cndmask_b32_e32 v3, v6, v3, vcc
	v_lshlrev_b32_e32 v3, 1, v3
	ds_write_b16 v3, v1
	s_waitcnt lgkmcnt(0)
	s_barrier
	ds_read_u16 v99, v16
	ds_read_u16 v98, v16 offset:1024
	ds_read_u16 v97, v16 offset:2048
	;; [unrolled: 1-line block ×29, first 2 shown]
	v_mov_b32_e32 v1, 0
	v_mov_b32_e32 v16, s35
	v_sub_co_u32_e32 v8, vcc, s34, v8
	v_mov_b32_e32 v69, v1
	v_mov_b32_e32 v3, v1
	v_subb_co_u32_e32 v9, vcc, v16, v9, vcc
	s_waitcnt vmcnt(0)
	v_lshl_add_u64 v[4:5], v[4:5], 0, v[68:69]
	v_lshl_add_u64 v[8:9], v[8:9], 0, v[2:3]
	v_mov_b32_e32 v67, v1
	v_mov_b32_e32 v65, v1
	;; [unrolled: 1-line block ×28, first 2 shown]
	v_or_b32_e32 v6, 0x3a00, v0
	v_mov_b32_e32 v7, v1
	s_and_b64 vcc, exec, s[2:3]
	v_lshl_add_u64 v[8:9], v[8:9], 0, v[4:5]
	s_cbranch_vccnz .LBB149_238
; %bb.114:
	v_cmp_ge_u32_e32 vcc, v0, v2
                                        ; implicit-def: $vgpr16_vgpr17
	s_and_saveexec_b64 s[0:1], vcc
	s_xor_b64 s[0:1], exec, s[0:1]
; %bb.115:
	v_not_b32_e32 v16, v0
	v_ashrrev_i32_e32 v17, 31, v16
	v_lshl_add_u64 v[16:17], v[8:9], 0, v[16:17]
; %bb.116:
	s_andn2_saveexec_b64 s[0:1], s[0:1]
; %bb.117:
	v_lshl_add_u64 v[16:17], v[4:5], 0, v[0:1]
; %bb.118:
	s_or_b64 exec, exec, s[0:1]
	v_lshl_add_u64 v[16:17], v[16:17], 1, s[22:23]
	v_cmp_ge_u32_e32 vcc, v66, v2
	s_waitcnt lgkmcnt(14)
	global_store_short v[16:17], v99, off
                                        ; implicit-def: $vgpr16_vgpr17
	s_and_saveexec_b64 s[0:1], vcc
	s_xor_b64 s[0:1], exec, s[0:1]
; %bb.119:
	v_xor_b32_e32 v16, 0xfffffdff, v0
	v_ashrrev_i32_e32 v17, 31, v16
	v_lshl_add_u64 v[16:17], v[8:9], 0, v[16:17]
; %bb.120:
	s_andn2_saveexec_b64 s[0:1], s[0:1]
; %bb.121:
	v_lshl_add_u64 v[16:17], v[4:5], 0, v[66:67]
; %bb.122:
	s_or_b64 exec, exec, s[0:1]
	v_lshl_add_u64 v[16:17], v[16:17], 1, s[22:23]
	v_cmp_ge_u32_e32 vcc, v64, v2
	global_store_short v[16:17], v98, off
                                        ; implicit-def: $vgpr16_vgpr17
	s_and_saveexec_b64 s[0:1], vcc
	s_xor_b64 s[0:1], exec, s[0:1]
; %bb.123:
	v_xor_b32_e32 v16, 0xfffffbff, v0
	v_ashrrev_i32_e32 v17, 31, v16
	v_lshl_add_u64 v[16:17], v[8:9], 0, v[16:17]
; %bb.124:
	s_andn2_saveexec_b64 s[0:1], s[0:1]
; %bb.125:
	v_lshl_add_u64 v[16:17], v[4:5], 0, v[64:65]
; %bb.126:
	s_or_b64 exec, exec, s[0:1]
	v_lshl_add_u64 v[16:17], v[16:17], 1, s[22:23]
	v_cmp_ge_u32_e32 vcc, v62, v2
	;; [unrolled: 16-line block ×16, first 2 shown]
	s_waitcnt lgkmcnt(13)
	global_store_short v[16:17], v83, off
                                        ; implicit-def: $vgpr16_vgpr17
	s_and_saveexec_b64 s[0:1], vcc
	s_xor_b64 s[0:1], exec, s[0:1]
; %bb.183:
	v_xor_b32_e32 v16, 0xffffddff, v0
	v_ashrrev_i32_e32 v17, 31, v16
	v_lshl_add_u64 v[16:17], v[8:9], 0, v[16:17]
; %bb.184:
	s_andn2_saveexec_b64 s[0:1], s[0:1]
; %bb.185:
	v_lshl_add_u64 v[16:17], v[4:5], 0, v[34:35]
; %bb.186:
	s_or_b64 exec, exec, s[0:1]
	v_lshl_add_u64 v[16:17], v[16:17], 1, s[22:23]
	v_cmp_ge_u32_e32 vcc, v32, v2
	s_waitcnt lgkmcnt(12)
	global_store_short v[16:17], v82, off
                                        ; implicit-def: $vgpr16_vgpr17
	s_and_saveexec_b64 s[0:1], vcc
	s_xor_b64 s[0:1], exec, s[0:1]
; %bb.187:
	v_xor_b32_e32 v16, 0xffffdbff, v0
	v_ashrrev_i32_e32 v17, 31, v16
	v_lshl_add_u64 v[16:17], v[8:9], 0, v[16:17]
; %bb.188:
	s_andn2_saveexec_b64 s[0:1], s[0:1]
; %bb.189:
	v_lshl_add_u64 v[16:17], v[4:5], 0, v[32:33]
; %bb.190:
	s_or_b64 exec, exec, s[0:1]
	v_lshl_add_u64 v[16:17], v[16:17], 1, s[22:23]
	v_cmp_ge_u32_e32 vcc, v30, v2
	;; [unrolled: 17-line block ×12, first 2 shown]
	s_waitcnt lgkmcnt(1)
	global_store_short v[16:17], v71, off
                                        ; implicit-def: $vgpr16_vgpr17
	s_and_saveexec_b64 s[0:1], vcc
	s_xor_b64 s[0:1], exec, s[0:1]
; %bb.231:
	v_xor_b32_e32 v16, 0xffffc5ff, v0
	v_ashrrev_i32_e32 v17, 31, v16
	v_lshl_add_u64 v[16:17], v[8:9], 0, v[16:17]
; %bb.232:
	s_andn2_saveexec_b64 s[0:1], s[0:1]
; %bb.233:
	v_lshl_add_u64 v[16:17], v[4:5], 0, v[6:7]
; %bb.234:
	s_or_b64 exec, exec, s[0:1]
	s_mov_b64 s[0:1], -1
.LBB149_235:
	s_and_saveexec_b64 s[2:3], s[0:1]
	s_cbranch_execz .LBB149_326
.LBB149_236:
	v_lshl_add_u64 v[0:1], v[16:17], 1, s[22:23]
	s_waitcnt lgkmcnt(0)
	global_store_short v[0:1], v70, off
	s_or_b64 exec, exec, s[2:3]
	s_and_b64 s[0:1], s[20:21], s[26:27]
	s_and_saveexec_b64 s[2:3], s[0:1]
	s_cbranch_execnz .LBB149_327
.LBB149_237:
	s_endpgm
.LBB149_238:
	s_mov_b64 s[0:1], 0
                                        ; implicit-def: $vgpr16_vgpr17
	s_cbranch_execz .LBB149_235
; %bb.239:
	v_cmp_gt_u32_e32 vcc, s33, v0
	s_and_saveexec_b64 s[2:3], vcc
	s_cbranch_execz .LBB149_328
; %bb.240:
	v_cmp_ge_u32_e32 vcc, v0, v2
                                        ; implicit-def: $vgpr16_vgpr17
	s_and_saveexec_b64 s[4:5], vcc
	s_xor_b64 s[4:5], exec, s[4:5]
; %bb.241:
	v_not_b32_e32 v16, v0
	v_ashrrev_i32_e32 v17, 31, v16
	v_lshl_add_u64 v[16:17], v[8:9], 0, v[16:17]
; %bb.242:
	s_andn2_saveexec_b64 s[4:5], s[4:5]
; %bb.243:
	v_lshl_add_u64 v[16:17], v[4:5], 0, v[0:1]
; %bb.244:
	s_or_b64 exec, exec, s[4:5]
	v_lshl_add_u64 v[16:17], v[16:17], 1, s[22:23]
	s_waitcnt lgkmcnt(14)
	global_store_short v[16:17], v99, off
	s_or_b64 exec, exec, s[2:3]
	v_cmp_gt_u32_e32 vcc, s33, v66
	s_and_saveexec_b64 s[2:3], vcc
	s_cbranch_execnz .LBB149_329
.LBB149_245:
	s_or_b64 exec, exec, s[2:3]
	v_cmp_gt_u32_e32 vcc, s33, v64
	s_and_saveexec_b64 s[2:3], vcc
	s_cbranch_execz .LBB149_334
.LBB149_246:
	v_cmp_ge_u32_e32 vcc, v64, v2
                                        ; implicit-def: $vgpr16_vgpr17
	s_and_saveexec_b64 s[4:5], vcc
	s_xor_b64 s[4:5], exec, s[4:5]
; %bb.247:
	v_xor_b32_e32 v16, 0xfffffbff, v0
	v_ashrrev_i32_e32 v17, 31, v16
	v_lshl_add_u64 v[16:17], v[8:9], 0, v[16:17]
                                        ; implicit-def: $vgpr64_vgpr65
; %bb.248:
	s_andn2_saveexec_b64 s[4:5], s[4:5]
; %bb.249:
	v_lshl_add_u64 v[16:17], v[4:5], 0, v[64:65]
; %bb.250:
	s_or_b64 exec, exec, s[4:5]
	v_lshl_add_u64 v[16:17], v[16:17], 1, s[22:23]
	s_waitcnt lgkmcnt(14)
	global_store_short v[16:17], v97, off
	s_or_b64 exec, exec, s[2:3]
	v_cmp_gt_u32_e32 vcc, s33, v62
	s_and_saveexec_b64 s[2:3], vcc
	s_cbranch_execnz .LBB149_335
.LBB149_251:
	s_or_b64 exec, exec, s[2:3]
	v_cmp_gt_u32_e32 vcc, s33, v60
	s_and_saveexec_b64 s[2:3], vcc
	s_cbranch_execz .LBB149_340
.LBB149_252:
	v_cmp_ge_u32_e32 vcc, v60, v2
                                        ; implicit-def: $vgpr16_vgpr17
	s_and_saveexec_b64 s[4:5], vcc
	s_xor_b64 s[4:5], exec, s[4:5]
; %bb.253:
	v_xor_b32_e32 v16, 0xfffff7ff, v0
	v_ashrrev_i32_e32 v17, 31, v16
	v_lshl_add_u64 v[16:17], v[8:9], 0, v[16:17]
                                        ; implicit-def: $vgpr60_vgpr61
; %bb.254:
	s_andn2_saveexec_b64 s[4:5], s[4:5]
; %bb.255:
	v_lshl_add_u64 v[16:17], v[4:5], 0, v[60:61]
; %bb.256:
	s_or_b64 exec, exec, s[4:5]
	v_lshl_add_u64 v[16:17], v[16:17], 1, s[22:23]
	s_waitcnt lgkmcnt(14)
	global_store_short v[16:17], v95, off
	s_or_b64 exec, exec, s[2:3]
	v_cmp_gt_u32_e32 vcc, s33, v58
	s_and_saveexec_b64 s[2:3], vcc
	s_cbranch_execnz .LBB149_341
.LBB149_257:
	s_or_b64 exec, exec, s[2:3]
	v_cmp_gt_u32_e32 vcc, s33, v56
	s_and_saveexec_b64 s[2:3], vcc
	s_cbranch_execz .LBB149_346
.LBB149_258:
	v_cmp_ge_u32_e32 vcc, v56, v2
                                        ; implicit-def: $vgpr16_vgpr17
	s_and_saveexec_b64 s[4:5], vcc
	s_xor_b64 s[4:5], exec, s[4:5]
; %bb.259:
	v_xor_b32_e32 v16, 0xfffff3ff, v0
	v_ashrrev_i32_e32 v17, 31, v16
	v_lshl_add_u64 v[16:17], v[8:9], 0, v[16:17]
                                        ; implicit-def: $vgpr56_vgpr57
; %bb.260:
	s_andn2_saveexec_b64 s[4:5], s[4:5]
; %bb.261:
	v_lshl_add_u64 v[16:17], v[4:5], 0, v[56:57]
; %bb.262:
	s_or_b64 exec, exec, s[4:5]
	v_lshl_add_u64 v[16:17], v[16:17], 1, s[22:23]
	s_waitcnt lgkmcnt(14)
	global_store_short v[16:17], v93, off
	s_or_b64 exec, exec, s[2:3]
	v_cmp_gt_u32_e32 vcc, s33, v54
	s_and_saveexec_b64 s[2:3], vcc
	s_cbranch_execnz .LBB149_347
.LBB149_263:
	s_or_b64 exec, exec, s[2:3]
	v_cmp_gt_u32_e32 vcc, s33, v52
	s_and_saveexec_b64 s[2:3], vcc
	s_cbranch_execz .LBB149_352
.LBB149_264:
	v_cmp_ge_u32_e32 vcc, v52, v2
                                        ; implicit-def: $vgpr16_vgpr17
	s_and_saveexec_b64 s[4:5], vcc
	s_xor_b64 s[4:5], exec, s[4:5]
; %bb.265:
	v_xor_b32_e32 v16, 0xffffefff, v0
	v_ashrrev_i32_e32 v17, 31, v16
	v_lshl_add_u64 v[16:17], v[8:9], 0, v[16:17]
                                        ; implicit-def: $vgpr52_vgpr53
; %bb.266:
	s_andn2_saveexec_b64 s[4:5], s[4:5]
; %bb.267:
	v_lshl_add_u64 v[16:17], v[4:5], 0, v[52:53]
; %bb.268:
	s_or_b64 exec, exec, s[4:5]
	v_lshl_add_u64 v[16:17], v[16:17], 1, s[22:23]
	s_waitcnt lgkmcnt(14)
	global_store_short v[16:17], v91, off
	s_or_b64 exec, exec, s[2:3]
	v_cmp_gt_u32_e32 vcc, s33, v50
	s_and_saveexec_b64 s[2:3], vcc
	s_cbranch_execnz .LBB149_353
.LBB149_269:
	s_or_b64 exec, exec, s[2:3]
	v_cmp_gt_u32_e32 vcc, s33, v48
	s_and_saveexec_b64 s[2:3], vcc
	s_cbranch_execz .LBB149_358
.LBB149_270:
	v_cmp_ge_u32_e32 vcc, v48, v2
                                        ; implicit-def: $vgpr16_vgpr17
	s_and_saveexec_b64 s[4:5], vcc
	s_xor_b64 s[4:5], exec, s[4:5]
; %bb.271:
	v_xor_b32_e32 v16, 0xffffebff, v0
	v_ashrrev_i32_e32 v17, 31, v16
	v_lshl_add_u64 v[16:17], v[8:9], 0, v[16:17]
                                        ; implicit-def: $vgpr48_vgpr49
; %bb.272:
	s_andn2_saveexec_b64 s[4:5], s[4:5]
; %bb.273:
	v_lshl_add_u64 v[16:17], v[4:5], 0, v[48:49]
; %bb.274:
	s_or_b64 exec, exec, s[4:5]
	v_lshl_add_u64 v[16:17], v[16:17], 1, s[22:23]
	s_waitcnt lgkmcnt(14)
	global_store_short v[16:17], v89, off
	s_or_b64 exec, exec, s[2:3]
	v_cmp_gt_u32_e32 vcc, s33, v46
	s_and_saveexec_b64 s[2:3], vcc
	s_cbranch_execnz .LBB149_359
.LBB149_275:
	s_or_b64 exec, exec, s[2:3]
	v_cmp_gt_u32_e32 vcc, s33, v44
	s_and_saveexec_b64 s[2:3], vcc
	s_cbranch_execz .LBB149_364
.LBB149_276:
	v_cmp_ge_u32_e32 vcc, v44, v2
                                        ; implicit-def: $vgpr16_vgpr17
	s_and_saveexec_b64 s[4:5], vcc
	s_xor_b64 s[4:5], exec, s[4:5]
; %bb.277:
	v_xor_b32_e32 v16, 0xffffe7ff, v0
	v_ashrrev_i32_e32 v17, 31, v16
	v_lshl_add_u64 v[16:17], v[8:9], 0, v[16:17]
                                        ; implicit-def: $vgpr44_vgpr45
; %bb.278:
	s_andn2_saveexec_b64 s[4:5], s[4:5]
; %bb.279:
	v_lshl_add_u64 v[16:17], v[4:5], 0, v[44:45]
; %bb.280:
	s_or_b64 exec, exec, s[4:5]
	v_lshl_add_u64 v[16:17], v[16:17], 1, s[22:23]
	s_waitcnt lgkmcnt(14)
	global_store_short v[16:17], v87, off
	s_or_b64 exec, exec, s[2:3]
	v_cmp_gt_u32_e32 vcc, s33, v42
	s_and_saveexec_b64 s[2:3], vcc
	s_cbranch_execnz .LBB149_365
.LBB149_281:
	s_or_b64 exec, exec, s[2:3]
	v_cmp_gt_u32_e32 vcc, s33, v40
	s_and_saveexec_b64 s[2:3], vcc
	s_cbranch_execz .LBB149_370
.LBB149_282:
	v_cmp_ge_u32_e32 vcc, v40, v2
                                        ; implicit-def: $vgpr16_vgpr17
	s_and_saveexec_b64 s[4:5], vcc
	s_xor_b64 s[4:5], exec, s[4:5]
; %bb.283:
	v_xor_b32_e32 v16, 0xffffe3ff, v0
	v_ashrrev_i32_e32 v17, 31, v16
	v_lshl_add_u64 v[16:17], v[8:9], 0, v[16:17]
                                        ; implicit-def: $vgpr40_vgpr41
; %bb.284:
	s_andn2_saveexec_b64 s[4:5], s[4:5]
; %bb.285:
	v_lshl_add_u64 v[16:17], v[4:5], 0, v[40:41]
; %bb.286:
	s_or_b64 exec, exec, s[4:5]
	v_lshl_add_u64 v[16:17], v[16:17], 1, s[22:23]
	s_waitcnt lgkmcnt(14)
	global_store_short v[16:17], v85, off
	s_or_b64 exec, exec, s[2:3]
	v_cmp_gt_u32_e32 vcc, s33, v38
	s_and_saveexec_b64 s[2:3], vcc
	s_cbranch_execnz .LBB149_371
.LBB149_287:
	s_or_b64 exec, exec, s[2:3]
	v_cmp_gt_u32_e32 vcc, s33, v36
	s_and_saveexec_b64 s[2:3], vcc
	s_cbranch_execz .LBB149_376
.LBB149_288:
	v_cmp_ge_u32_e32 vcc, v36, v2
                                        ; implicit-def: $vgpr16_vgpr17
	s_and_saveexec_b64 s[4:5], vcc
	s_xor_b64 s[4:5], exec, s[4:5]
; %bb.289:
	v_xor_b32_e32 v16, 0xffffdfff, v0
	v_ashrrev_i32_e32 v17, 31, v16
	v_lshl_add_u64 v[16:17], v[8:9], 0, v[16:17]
                                        ; implicit-def: $vgpr36_vgpr37
; %bb.290:
	s_andn2_saveexec_b64 s[4:5], s[4:5]
; %bb.291:
	v_lshl_add_u64 v[16:17], v[4:5], 0, v[36:37]
; %bb.292:
	s_or_b64 exec, exec, s[4:5]
	v_lshl_add_u64 v[16:17], v[16:17], 1, s[22:23]
	s_waitcnt lgkmcnt(13)
	global_store_short v[16:17], v83, off
	s_or_b64 exec, exec, s[2:3]
	v_cmp_gt_u32_e32 vcc, s33, v34
	s_and_saveexec_b64 s[2:3], vcc
	s_cbranch_execnz .LBB149_377
.LBB149_293:
	s_or_b64 exec, exec, s[2:3]
	v_cmp_gt_u32_e32 vcc, s33, v32
	s_and_saveexec_b64 s[2:3], vcc
	s_cbranch_execz .LBB149_382
.LBB149_294:
	v_cmp_ge_u32_e32 vcc, v32, v2
                                        ; implicit-def: $vgpr16_vgpr17
	s_and_saveexec_b64 s[4:5], vcc
	s_xor_b64 s[4:5], exec, s[4:5]
; %bb.295:
	v_xor_b32_e32 v16, 0xffffdbff, v0
	v_ashrrev_i32_e32 v17, 31, v16
	v_lshl_add_u64 v[16:17], v[8:9], 0, v[16:17]
                                        ; implicit-def: $vgpr32_vgpr33
; %bb.296:
	s_andn2_saveexec_b64 s[4:5], s[4:5]
; %bb.297:
	v_lshl_add_u64 v[16:17], v[4:5], 0, v[32:33]
; %bb.298:
	s_or_b64 exec, exec, s[4:5]
	v_lshl_add_u64 v[16:17], v[16:17], 1, s[22:23]
	s_waitcnt lgkmcnt(11)
	global_store_short v[16:17], v81, off
	s_or_b64 exec, exec, s[2:3]
	v_cmp_gt_u32_e32 vcc, s33, v30
	s_and_saveexec_b64 s[2:3], vcc
	s_cbranch_execnz .LBB149_383
.LBB149_299:
	s_or_b64 exec, exec, s[2:3]
	v_cmp_gt_u32_e32 vcc, s33, v28
	s_and_saveexec_b64 s[2:3], vcc
	s_cbranch_execz .LBB149_388
.LBB149_300:
	v_cmp_ge_u32_e32 vcc, v28, v2
                                        ; implicit-def: $vgpr16_vgpr17
	s_and_saveexec_b64 s[4:5], vcc
	s_xor_b64 s[4:5], exec, s[4:5]
; %bb.301:
	v_xor_b32_e32 v16, 0xffffd7ff, v0
	v_ashrrev_i32_e32 v17, 31, v16
	v_lshl_add_u64 v[16:17], v[8:9], 0, v[16:17]
                                        ; implicit-def: $vgpr28_vgpr29
; %bb.302:
	s_andn2_saveexec_b64 s[4:5], s[4:5]
; %bb.303:
	v_lshl_add_u64 v[16:17], v[4:5], 0, v[28:29]
; %bb.304:
	s_or_b64 exec, exec, s[4:5]
	v_lshl_add_u64 v[16:17], v[16:17], 1, s[22:23]
	s_waitcnt lgkmcnt(9)
	global_store_short v[16:17], v79, off
	s_or_b64 exec, exec, s[2:3]
	v_cmp_gt_u32_e32 vcc, s33, v26
	s_and_saveexec_b64 s[2:3], vcc
	s_cbranch_execnz .LBB149_389
.LBB149_305:
	s_or_b64 exec, exec, s[2:3]
	v_cmp_gt_u32_e32 vcc, s33, v24
	s_and_saveexec_b64 s[2:3], vcc
	s_cbranch_execz .LBB149_394
.LBB149_306:
	v_cmp_ge_u32_e32 vcc, v24, v2
                                        ; implicit-def: $vgpr16_vgpr17
	s_and_saveexec_b64 s[4:5], vcc
	s_xor_b64 s[4:5], exec, s[4:5]
; %bb.307:
	v_xor_b32_e32 v16, 0xffffd3ff, v0
	v_ashrrev_i32_e32 v17, 31, v16
	v_lshl_add_u64 v[16:17], v[8:9], 0, v[16:17]
                                        ; implicit-def: $vgpr24_vgpr25
; %bb.308:
	s_andn2_saveexec_b64 s[4:5], s[4:5]
; %bb.309:
	v_lshl_add_u64 v[16:17], v[4:5], 0, v[24:25]
; %bb.310:
	s_or_b64 exec, exec, s[4:5]
	v_lshl_add_u64 v[16:17], v[16:17], 1, s[22:23]
	s_waitcnt lgkmcnt(7)
	global_store_short v[16:17], v77, off
	s_or_b64 exec, exec, s[2:3]
	v_cmp_gt_u32_e32 vcc, s33, v22
	s_and_saveexec_b64 s[2:3], vcc
	s_cbranch_execnz .LBB149_395
.LBB149_311:
	s_or_b64 exec, exec, s[2:3]
	v_cmp_gt_u32_e32 vcc, s33, v20
	s_and_saveexec_b64 s[2:3], vcc
	s_cbranch_execz .LBB149_400
.LBB149_312:
	v_cmp_ge_u32_e32 vcc, v20, v2
                                        ; implicit-def: $vgpr16_vgpr17
	s_and_saveexec_b64 s[4:5], vcc
	s_xor_b64 s[4:5], exec, s[4:5]
; %bb.313:
	v_xor_b32_e32 v16, 0xffffcfff, v0
	v_ashrrev_i32_e32 v17, 31, v16
	v_lshl_add_u64 v[16:17], v[8:9], 0, v[16:17]
                                        ; implicit-def: $vgpr20_vgpr21
; %bb.314:
	s_andn2_saveexec_b64 s[4:5], s[4:5]
; %bb.315:
	v_lshl_add_u64 v[16:17], v[4:5], 0, v[20:21]
; %bb.316:
	s_or_b64 exec, exec, s[4:5]
	v_lshl_add_u64 v[16:17], v[16:17], 1, s[22:23]
	s_waitcnt lgkmcnt(5)
	global_store_short v[16:17], v75, off
	s_or_b64 exec, exec, s[2:3]
	v_cmp_gt_u32_e32 vcc, s33, v18
	s_and_saveexec_b64 s[2:3], vcc
	s_cbranch_execnz .LBB149_401
.LBB149_317:
	s_or_b64 exec, exec, s[2:3]
	v_cmp_gt_u32_e32 vcc, s33, v14
	s_and_saveexec_b64 s[2:3], vcc
	s_cbranch_execz .LBB149_406
.LBB149_318:
	v_cmp_ge_u32_e32 vcc, v14, v2
                                        ; implicit-def: $vgpr16_vgpr17
	s_and_saveexec_b64 s[4:5], vcc
	s_xor_b64 s[4:5], exec, s[4:5]
; %bb.319:
	v_xor_b32_e32 v14, 0xffffcbff, v0
	v_ashrrev_i32_e32 v15, 31, v14
	v_lshl_add_u64 v[16:17], v[8:9], 0, v[14:15]
                                        ; implicit-def: $vgpr14_vgpr15
; %bb.320:
	s_andn2_saveexec_b64 s[4:5], s[4:5]
; %bb.321:
	v_lshl_add_u64 v[16:17], v[4:5], 0, v[14:15]
; %bb.322:
	s_or_b64 exec, exec, s[4:5]
	v_lshl_add_u64 v[14:15], v[16:17], 1, s[22:23]
	s_waitcnt lgkmcnt(3)
	global_store_short v[14:15], v73, off
	s_or_b64 exec, exec, s[2:3]
	v_cmp_gt_u32_e32 vcc, s33, v12
	s_and_saveexec_b64 s[2:3], vcc
	s_cbranch_execnz .LBB149_407
.LBB149_323:
	s_or_b64 exec, exec, s[2:3]
	v_cmp_gt_u32_e32 vcc, s33, v10
	s_and_saveexec_b64 s[2:3], vcc
	s_cbranch_execnz .LBB149_412
.LBB149_324:
	s_or_b64 exec, exec, s[2:3]
	v_cmp_gt_u32_e32 vcc, s33, v6
                                        ; implicit-def: $vgpr16_vgpr17
	s_and_saveexec_b64 s[2:3], vcc
	s_cbranch_execnz .LBB149_417
.LBB149_325:
	s_or_b64 exec, exec, s[2:3]
	s_and_saveexec_b64 s[2:3], s[0:1]
	s_cbranch_execnz .LBB149_236
.LBB149_326:
	s_or_b64 exec, exec, s[2:3]
	s_and_b64 s[0:1], s[20:21], s[26:27]
	s_and_saveexec_b64 s[2:3], s[0:1]
	s_cbranch_execz .LBB149_237
.LBB149_327:
	v_mov_b32_e32 v6, 0
	v_lshl_add_u64 v[0:1], v[4:5], 0, v[2:3]
	global_store_dwordx2 v6, v[0:1], s[24:25]
	s_endpgm
.LBB149_328:
	s_or_b64 exec, exec, s[2:3]
	v_cmp_gt_u32_e32 vcc, s33, v66
	s_and_saveexec_b64 s[2:3], vcc
	s_cbranch_execz .LBB149_245
.LBB149_329:
	v_cmp_ge_u32_e32 vcc, v66, v2
                                        ; implicit-def: $vgpr16_vgpr17
	s_and_saveexec_b64 s[4:5], vcc
	s_xor_b64 s[4:5], exec, s[4:5]
; %bb.330:
	v_xor_b32_e32 v16, 0xfffffdff, v0
	v_ashrrev_i32_e32 v17, 31, v16
	v_lshl_add_u64 v[16:17], v[8:9], 0, v[16:17]
                                        ; implicit-def: $vgpr66_vgpr67
; %bb.331:
	s_andn2_saveexec_b64 s[4:5], s[4:5]
; %bb.332:
	v_lshl_add_u64 v[16:17], v[4:5], 0, v[66:67]
; %bb.333:
	s_or_b64 exec, exec, s[4:5]
	v_lshl_add_u64 v[16:17], v[16:17], 1, s[22:23]
	s_waitcnt lgkmcnt(14)
	global_store_short v[16:17], v98, off
	s_or_b64 exec, exec, s[2:3]
	v_cmp_gt_u32_e32 vcc, s33, v64
	s_and_saveexec_b64 s[2:3], vcc
	s_cbranch_execnz .LBB149_246
.LBB149_334:
	s_or_b64 exec, exec, s[2:3]
	v_cmp_gt_u32_e32 vcc, s33, v62
	s_and_saveexec_b64 s[2:3], vcc
	s_cbranch_execz .LBB149_251
.LBB149_335:
	v_cmp_ge_u32_e32 vcc, v62, v2
                                        ; implicit-def: $vgpr16_vgpr17
	s_and_saveexec_b64 s[4:5], vcc
	s_xor_b64 s[4:5], exec, s[4:5]
; %bb.336:
	v_xor_b32_e32 v16, 0xfffff9ff, v0
	v_ashrrev_i32_e32 v17, 31, v16
	v_lshl_add_u64 v[16:17], v[8:9], 0, v[16:17]
                                        ; implicit-def: $vgpr62_vgpr63
; %bb.337:
	s_andn2_saveexec_b64 s[4:5], s[4:5]
; %bb.338:
	v_lshl_add_u64 v[16:17], v[4:5], 0, v[62:63]
; %bb.339:
	s_or_b64 exec, exec, s[4:5]
	v_lshl_add_u64 v[16:17], v[16:17], 1, s[22:23]
	s_waitcnt lgkmcnt(14)
	global_store_short v[16:17], v96, off
	s_or_b64 exec, exec, s[2:3]
	v_cmp_gt_u32_e32 vcc, s33, v60
	s_and_saveexec_b64 s[2:3], vcc
	s_cbranch_execnz .LBB149_252
.LBB149_340:
	s_or_b64 exec, exec, s[2:3]
	v_cmp_gt_u32_e32 vcc, s33, v58
	s_and_saveexec_b64 s[2:3], vcc
	s_cbranch_execz .LBB149_257
.LBB149_341:
	v_cmp_ge_u32_e32 vcc, v58, v2
                                        ; implicit-def: $vgpr16_vgpr17
	s_and_saveexec_b64 s[4:5], vcc
	s_xor_b64 s[4:5], exec, s[4:5]
; %bb.342:
	v_xor_b32_e32 v16, 0xfffff5ff, v0
	v_ashrrev_i32_e32 v17, 31, v16
	v_lshl_add_u64 v[16:17], v[8:9], 0, v[16:17]
                                        ; implicit-def: $vgpr58_vgpr59
; %bb.343:
	s_andn2_saveexec_b64 s[4:5], s[4:5]
; %bb.344:
	v_lshl_add_u64 v[16:17], v[4:5], 0, v[58:59]
; %bb.345:
	s_or_b64 exec, exec, s[4:5]
	v_lshl_add_u64 v[16:17], v[16:17], 1, s[22:23]
	s_waitcnt lgkmcnt(14)
	global_store_short v[16:17], v94, off
	s_or_b64 exec, exec, s[2:3]
	v_cmp_gt_u32_e32 vcc, s33, v56
	s_and_saveexec_b64 s[2:3], vcc
	s_cbranch_execnz .LBB149_258
.LBB149_346:
	s_or_b64 exec, exec, s[2:3]
	v_cmp_gt_u32_e32 vcc, s33, v54
	s_and_saveexec_b64 s[2:3], vcc
	s_cbranch_execz .LBB149_263
.LBB149_347:
	v_cmp_ge_u32_e32 vcc, v54, v2
                                        ; implicit-def: $vgpr16_vgpr17
	s_and_saveexec_b64 s[4:5], vcc
	s_xor_b64 s[4:5], exec, s[4:5]
; %bb.348:
	v_xor_b32_e32 v16, 0xfffff1ff, v0
	v_ashrrev_i32_e32 v17, 31, v16
	v_lshl_add_u64 v[16:17], v[8:9], 0, v[16:17]
                                        ; implicit-def: $vgpr54_vgpr55
; %bb.349:
	s_andn2_saveexec_b64 s[4:5], s[4:5]
; %bb.350:
	v_lshl_add_u64 v[16:17], v[4:5], 0, v[54:55]
; %bb.351:
	s_or_b64 exec, exec, s[4:5]
	v_lshl_add_u64 v[16:17], v[16:17], 1, s[22:23]
	s_waitcnt lgkmcnt(14)
	global_store_short v[16:17], v92, off
	s_or_b64 exec, exec, s[2:3]
	v_cmp_gt_u32_e32 vcc, s33, v52
	s_and_saveexec_b64 s[2:3], vcc
	s_cbranch_execnz .LBB149_264
.LBB149_352:
	s_or_b64 exec, exec, s[2:3]
	v_cmp_gt_u32_e32 vcc, s33, v50
	s_and_saveexec_b64 s[2:3], vcc
	s_cbranch_execz .LBB149_269
.LBB149_353:
	v_cmp_ge_u32_e32 vcc, v50, v2
                                        ; implicit-def: $vgpr16_vgpr17
	s_and_saveexec_b64 s[4:5], vcc
	s_xor_b64 s[4:5], exec, s[4:5]
; %bb.354:
	v_xor_b32_e32 v16, 0xffffedff, v0
	v_ashrrev_i32_e32 v17, 31, v16
	v_lshl_add_u64 v[16:17], v[8:9], 0, v[16:17]
                                        ; implicit-def: $vgpr50_vgpr51
; %bb.355:
	s_andn2_saveexec_b64 s[4:5], s[4:5]
; %bb.356:
	v_lshl_add_u64 v[16:17], v[4:5], 0, v[50:51]
; %bb.357:
	s_or_b64 exec, exec, s[4:5]
	v_lshl_add_u64 v[16:17], v[16:17], 1, s[22:23]
	s_waitcnt lgkmcnt(14)
	global_store_short v[16:17], v90, off
	s_or_b64 exec, exec, s[2:3]
	v_cmp_gt_u32_e32 vcc, s33, v48
	s_and_saveexec_b64 s[2:3], vcc
	s_cbranch_execnz .LBB149_270
.LBB149_358:
	s_or_b64 exec, exec, s[2:3]
	v_cmp_gt_u32_e32 vcc, s33, v46
	s_and_saveexec_b64 s[2:3], vcc
	s_cbranch_execz .LBB149_275
.LBB149_359:
	v_cmp_ge_u32_e32 vcc, v46, v2
                                        ; implicit-def: $vgpr16_vgpr17
	s_and_saveexec_b64 s[4:5], vcc
	s_xor_b64 s[4:5], exec, s[4:5]
; %bb.360:
	v_xor_b32_e32 v16, 0xffffe9ff, v0
	v_ashrrev_i32_e32 v17, 31, v16
	v_lshl_add_u64 v[16:17], v[8:9], 0, v[16:17]
                                        ; implicit-def: $vgpr46_vgpr47
; %bb.361:
	s_andn2_saveexec_b64 s[4:5], s[4:5]
; %bb.362:
	v_lshl_add_u64 v[16:17], v[4:5], 0, v[46:47]
; %bb.363:
	s_or_b64 exec, exec, s[4:5]
	v_lshl_add_u64 v[16:17], v[16:17], 1, s[22:23]
	s_waitcnt lgkmcnt(14)
	global_store_short v[16:17], v88, off
	s_or_b64 exec, exec, s[2:3]
	v_cmp_gt_u32_e32 vcc, s33, v44
	s_and_saveexec_b64 s[2:3], vcc
	s_cbranch_execnz .LBB149_276
.LBB149_364:
	s_or_b64 exec, exec, s[2:3]
	v_cmp_gt_u32_e32 vcc, s33, v42
	s_and_saveexec_b64 s[2:3], vcc
	s_cbranch_execz .LBB149_281
.LBB149_365:
	v_cmp_ge_u32_e32 vcc, v42, v2
                                        ; implicit-def: $vgpr16_vgpr17
	s_and_saveexec_b64 s[4:5], vcc
	s_xor_b64 s[4:5], exec, s[4:5]
; %bb.366:
	v_xor_b32_e32 v16, 0xffffe5ff, v0
	v_ashrrev_i32_e32 v17, 31, v16
	v_lshl_add_u64 v[16:17], v[8:9], 0, v[16:17]
                                        ; implicit-def: $vgpr42_vgpr43
; %bb.367:
	s_andn2_saveexec_b64 s[4:5], s[4:5]
; %bb.368:
	v_lshl_add_u64 v[16:17], v[4:5], 0, v[42:43]
; %bb.369:
	s_or_b64 exec, exec, s[4:5]
	v_lshl_add_u64 v[16:17], v[16:17], 1, s[22:23]
	s_waitcnt lgkmcnt(14)
	global_store_short v[16:17], v86, off
	s_or_b64 exec, exec, s[2:3]
	v_cmp_gt_u32_e32 vcc, s33, v40
	s_and_saveexec_b64 s[2:3], vcc
	s_cbranch_execnz .LBB149_282
.LBB149_370:
	s_or_b64 exec, exec, s[2:3]
	v_cmp_gt_u32_e32 vcc, s33, v38
	s_and_saveexec_b64 s[2:3], vcc
	s_cbranch_execz .LBB149_287
.LBB149_371:
	v_cmp_ge_u32_e32 vcc, v38, v2
                                        ; implicit-def: $vgpr16_vgpr17
	s_and_saveexec_b64 s[4:5], vcc
	s_xor_b64 s[4:5], exec, s[4:5]
; %bb.372:
	v_xor_b32_e32 v16, 0xffffe1ff, v0
	v_ashrrev_i32_e32 v17, 31, v16
	v_lshl_add_u64 v[16:17], v[8:9], 0, v[16:17]
                                        ; implicit-def: $vgpr38_vgpr39
; %bb.373:
	s_andn2_saveexec_b64 s[4:5], s[4:5]
; %bb.374:
	v_lshl_add_u64 v[16:17], v[4:5], 0, v[38:39]
; %bb.375:
	s_or_b64 exec, exec, s[4:5]
	v_lshl_add_u64 v[16:17], v[16:17], 1, s[22:23]
	s_waitcnt lgkmcnt(14)
	global_store_short v[16:17], v84, off
	s_or_b64 exec, exec, s[2:3]
	v_cmp_gt_u32_e32 vcc, s33, v36
	s_and_saveexec_b64 s[2:3], vcc
	s_cbranch_execnz .LBB149_288
.LBB149_376:
	s_or_b64 exec, exec, s[2:3]
	v_cmp_gt_u32_e32 vcc, s33, v34
	s_and_saveexec_b64 s[2:3], vcc
	s_cbranch_execz .LBB149_293
.LBB149_377:
	v_cmp_ge_u32_e32 vcc, v34, v2
                                        ; implicit-def: $vgpr16_vgpr17
	s_and_saveexec_b64 s[4:5], vcc
	s_xor_b64 s[4:5], exec, s[4:5]
; %bb.378:
	v_xor_b32_e32 v16, 0xffffddff, v0
	v_ashrrev_i32_e32 v17, 31, v16
	v_lshl_add_u64 v[16:17], v[8:9], 0, v[16:17]
                                        ; implicit-def: $vgpr34_vgpr35
; %bb.379:
	s_andn2_saveexec_b64 s[4:5], s[4:5]
; %bb.380:
	v_lshl_add_u64 v[16:17], v[4:5], 0, v[34:35]
; %bb.381:
	s_or_b64 exec, exec, s[4:5]
	v_lshl_add_u64 v[16:17], v[16:17], 1, s[22:23]
	s_waitcnt lgkmcnt(12)
	global_store_short v[16:17], v82, off
	s_or_b64 exec, exec, s[2:3]
	v_cmp_gt_u32_e32 vcc, s33, v32
	s_and_saveexec_b64 s[2:3], vcc
	s_cbranch_execnz .LBB149_294
.LBB149_382:
	s_or_b64 exec, exec, s[2:3]
	v_cmp_gt_u32_e32 vcc, s33, v30
	s_and_saveexec_b64 s[2:3], vcc
	s_cbranch_execz .LBB149_299
.LBB149_383:
	v_cmp_ge_u32_e32 vcc, v30, v2
                                        ; implicit-def: $vgpr16_vgpr17
	s_and_saveexec_b64 s[4:5], vcc
	s_xor_b64 s[4:5], exec, s[4:5]
; %bb.384:
	v_xor_b32_e32 v16, 0xffffd9ff, v0
	v_ashrrev_i32_e32 v17, 31, v16
	v_lshl_add_u64 v[16:17], v[8:9], 0, v[16:17]
                                        ; implicit-def: $vgpr30_vgpr31
; %bb.385:
	s_andn2_saveexec_b64 s[4:5], s[4:5]
; %bb.386:
	v_lshl_add_u64 v[16:17], v[4:5], 0, v[30:31]
; %bb.387:
	s_or_b64 exec, exec, s[4:5]
	v_lshl_add_u64 v[16:17], v[16:17], 1, s[22:23]
	s_waitcnt lgkmcnt(10)
	global_store_short v[16:17], v80, off
	s_or_b64 exec, exec, s[2:3]
	v_cmp_gt_u32_e32 vcc, s33, v28
	s_and_saveexec_b64 s[2:3], vcc
	s_cbranch_execnz .LBB149_300
.LBB149_388:
	s_or_b64 exec, exec, s[2:3]
	v_cmp_gt_u32_e32 vcc, s33, v26
	s_and_saveexec_b64 s[2:3], vcc
	s_cbranch_execz .LBB149_305
.LBB149_389:
	v_cmp_ge_u32_e32 vcc, v26, v2
                                        ; implicit-def: $vgpr16_vgpr17
	s_and_saveexec_b64 s[4:5], vcc
	s_xor_b64 s[4:5], exec, s[4:5]
; %bb.390:
	v_xor_b32_e32 v16, 0xffffd5ff, v0
	v_ashrrev_i32_e32 v17, 31, v16
	v_lshl_add_u64 v[16:17], v[8:9], 0, v[16:17]
                                        ; implicit-def: $vgpr26_vgpr27
; %bb.391:
	s_andn2_saveexec_b64 s[4:5], s[4:5]
; %bb.392:
	v_lshl_add_u64 v[16:17], v[4:5], 0, v[26:27]
; %bb.393:
	s_or_b64 exec, exec, s[4:5]
	v_lshl_add_u64 v[16:17], v[16:17], 1, s[22:23]
	s_waitcnt lgkmcnt(8)
	global_store_short v[16:17], v78, off
	s_or_b64 exec, exec, s[2:3]
	v_cmp_gt_u32_e32 vcc, s33, v24
	s_and_saveexec_b64 s[2:3], vcc
	s_cbranch_execnz .LBB149_306
.LBB149_394:
	s_or_b64 exec, exec, s[2:3]
	v_cmp_gt_u32_e32 vcc, s33, v22
	s_and_saveexec_b64 s[2:3], vcc
	s_cbranch_execz .LBB149_311
.LBB149_395:
	v_cmp_ge_u32_e32 vcc, v22, v2
                                        ; implicit-def: $vgpr16_vgpr17
	s_and_saveexec_b64 s[4:5], vcc
	s_xor_b64 s[4:5], exec, s[4:5]
; %bb.396:
	v_xor_b32_e32 v16, 0xffffd1ff, v0
	v_ashrrev_i32_e32 v17, 31, v16
	v_lshl_add_u64 v[16:17], v[8:9], 0, v[16:17]
                                        ; implicit-def: $vgpr22_vgpr23
; %bb.397:
	s_andn2_saveexec_b64 s[4:5], s[4:5]
; %bb.398:
	v_lshl_add_u64 v[16:17], v[4:5], 0, v[22:23]
; %bb.399:
	s_or_b64 exec, exec, s[4:5]
	v_lshl_add_u64 v[16:17], v[16:17], 1, s[22:23]
	s_waitcnt lgkmcnt(6)
	global_store_short v[16:17], v76, off
	s_or_b64 exec, exec, s[2:3]
	v_cmp_gt_u32_e32 vcc, s33, v20
	s_and_saveexec_b64 s[2:3], vcc
	s_cbranch_execnz .LBB149_312
.LBB149_400:
	s_or_b64 exec, exec, s[2:3]
	v_cmp_gt_u32_e32 vcc, s33, v18
	s_and_saveexec_b64 s[2:3], vcc
	s_cbranch_execz .LBB149_317
.LBB149_401:
	v_cmp_ge_u32_e32 vcc, v18, v2
                                        ; implicit-def: $vgpr16_vgpr17
	s_and_saveexec_b64 s[4:5], vcc
	s_xor_b64 s[4:5], exec, s[4:5]
; %bb.402:
	v_xor_b32_e32 v16, 0xffffcdff, v0
	v_ashrrev_i32_e32 v17, 31, v16
	v_lshl_add_u64 v[16:17], v[8:9], 0, v[16:17]
                                        ; implicit-def: $vgpr18_vgpr19
; %bb.403:
	s_andn2_saveexec_b64 s[4:5], s[4:5]
; %bb.404:
	v_lshl_add_u64 v[16:17], v[4:5], 0, v[18:19]
; %bb.405:
	s_or_b64 exec, exec, s[4:5]
	v_lshl_add_u64 v[16:17], v[16:17], 1, s[22:23]
	s_waitcnt lgkmcnt(4)
	global_store_short v[16:17], v74, off
	s_or_b64 exec, exec, s[2:3]
	v_cmp_gt_u32_e32 vcc, s33, v14
	s_and_saveexec_b64 s[2:3], vcc
	s_cbranch_execnz .LBB149_318
.LBB149_406:
	s_or_b64 exec, exec, s[2:3]
	v_cmp_gt_u32_e32 vcc, s33, v12
	s_and_saveexec_b64 s[2:3], vcc
	s_cbranch_execz .LBB149_323
.LBB149_407:
	v_cmp_ge_u32_e32 vcc, v12, v2
                                        ; implicit-def: $vgpr14_vgpr15
	s_and_saveexec_b64 s[4:5], vcc
	s_xor_b64 s[4:5], exec, s[4:5]
; %bb.408:
	v_xor_b32_e32 v12, 0xffffc9ff, v0
	v_ashrrev_i32_e32 v13, 31, v12
	v_lshl_add_u64 v[14:15], v[8:9], 0, v[12:13]
                                        ; implicit-def: $vgpr12_vgpr13
; %bb.409:
	s_andn2_saveexec_b64 s[4:5], s[4:5]
; %bb.410:
	v_lshl_add_u64 v[14:15], v[4:5], 0, v[12:13]
; %bb.411:
	s_or_b64 exec, exec, s[4:5]
	v_lshl_add_u64 v[12:13], v[14:15], 1, s[22:23]
	s_waitcnt lgkmcnt(2)
	global_store_short v[12:13], v72, off
	s_or_b64 exec, exec, s[2:3]
	v_cmp_gt_u32_e32 vcc, s33, v10
	s_and_saveexec_b64 s[2:3], vcc
	s_cbranch_execz .LBB149_324
.LBB149_412:
	v_cmp_ge_u32_e32 vcc, v10, v2
                                        ; implicit-def: $vgpr12_vgpr13
	s_and_saveexec_b64 s[4:5], vcc
	s_xor_b64 s[4:5], exec, s[4:5]
; %bb.413:
	v_xor_b32_e32 v10, 0xffffc7ff, v0
	v_ashrrev_i32_e32 v11, 31, v10
	v_lshl_add_u64 v[12:13], v[8:9], 0, v[10:11]
                                        ; implicit-def: $vgpr10_vgpr11
; %bb.414:
	s_andn2_saveexec_b64 s[4:5], s[4:5]
; %bb.415:
	v_lshl_add_u64 v[12:13], v[4:5], 0, v[10:11]
; %bb.416:
	s_or_b64 exec, exec, s[4:5]
	v_lshl_add_u64 v[10:11], v[12:13], 1, s[22:23]
	s_waitcnt lgkmcnt(1)
	global_store_short v[10:11], v71, off
	s_or_b64 exec, exec, s[2:3]
	v_cmp_gt_u32_e32 vcc, s33, v6
                                        ; implicit-def: $vgpr16_vgpr17
	s_and_saveexec_b64 s[2:3], vcc
	s_cbranch_execz .LBB149_325
.LBB149_417:
	v_cmp_ge_u32_e32 vcc, v6, v2
                                        ; implicit-def: $vgpr16_vgpr17
	s_and_saveexec_b64 s[4:5], vcc
	s_xor_b64 s[4:5], exec, s[4:5]
; %bb.418:
	v_xor_b32_e32 v0, 0xffffc5ff, v0
	v_ashrrev_i32_e32 v1, 31, v0
	v_lshl_add_u64 v[16:17], v[8:9], 0, v[0:1]
                                        ; implicit-def: $vgpr6_vgpr7
; %bb.419:
	s_andn2_saveexec_b64 s[4:5], s[4:5]
; %bb.420:
	v_lshl_add_u64 v[16:17], v[4:5], 0, v[6:7]
; %bb.421:
	s_or_b64 exec, exec, s[4:5]
	s_or_b64 s[0:1], s[0:1], exec
	s_or_b64 exec, exec, s[2:3]
	s_and_saveexec_b64 s[2:3], s[0:1]
	s_cbranch_execnz .LBB149_236
	s_branch .LBB149_326
	.section	.rodata,"a",@progbits
	.p2align	6, 0x0
	.amdhsa_kernel _ZN7rocprim17ROCPRIM_400000_NS6detail17trampoline_kernelINS0_14default_configENS1_25partition_config_selectorILNS1_17partition_subalgoE3EsNS0_10empty_typeEbEEZZNS1_14partition_implILS5_3ELb0ES3_jN6thrust23THRUST_200600_302600_NS6detail15normal_iteratorINSA_7pointerIsNSA_11hip_rocprim3tagENSA_11use_defaultESG_EEEEPS6_SJ_NS0_5tupleIJPsSJ_EEENSK_IJSJ_SJ_EEES6_PlJ7is_evenIsEEEE10hipError_tPvRmT3_T4_T5_T6_T7_T9_mT8_P12ihipStream_tbDpT10_ENKUlT_T0_E_clISt17integral_constantIbLb1EES1A_EEDaS15_S16_EUlS15_E_NS1_11comp_targetILNS1_3genE5ELNS1_11target_archE942ELNS1_3gpuE9ELNS1_3repE0EEENS1_30default_config_static_selectorELNS0_4arch9wavefront6targetE1EEEvT1_
		.amdhsa_group_segment_fixed_size 30728
		.amdhsa_private_segment_fixed_size 0
		.amdhsa_kernarg_size 136
		.amdhsa_user_sgpr_count 2
		.amdhsa_user_sgpr_dispatch_ptr 0
		.amdhsa_user_sgpr_queue_ptr 0
		.amdhsa_user_sgpr_kernarg_segment_ptr 1
		.amdhsa_user_sgpr_dispatch_id 0
		.amdhsa_user_sgpr_kernarg_preload_length 0
		.amdhsa_user_sgpr_kernarg_preload_offset 0
		.amdhsa_user_sgpr_private_segment_size 0
		.amdhsa_uses_dynamic_stack 0
		.amdhsa_enable_private_segment 0
		.amdhsa_system_sgpr_workgroup_id_x 1
		.amdhsa_system_sgpr_workgroup_id_y 0
		.amdhsa_system_sgpr_workgroup_id_z 0
		.amdhsa_system_sgpr_workgroup_info 0
		.amdhsa_system_vgpr_workitem_id 0
		.amdhsa_next_free_vgpr 124
		.amdhsa_next_free_sgpr 44
		.amdhsa_accum_offset 124
		.amdhsa_reserve_vcc 1
		.amdhsa_float_round_mode_32 0
		.amdhsa_float_round_mode_16_64 0
		.amdhsa_float_denorm_mode_32 3
		.amdhsa_float_denorm_mode_16_64 3
		.amdhsa_dx10_clamp 1
		.amdhsa_ieee_mode 1
		.amdhsa_fp16_overflow 0
		.amdhsa_tg_split 0
		.amdhsa_exception_fp_ieee_invalid_op 0
		.amdhsa_exception_fp_denorm_src 0
		.amdhsa_exception_fp_ieee_div_zero 0
		.amdhsa_exception_fp_ieee_overflow 0
		.amdhsa_exception_fp_ieee_underflow 0
		.amdhsa_exception_fp_ieee_inexact 0
		.amdhsa_exception_int_div_zero 0
	.end_amdhsa_kernel
	.section	.text._ZN7rocprim17ROCPRIM_400000_NS6detail17trampoline_kernelINS0_14default_configENS1_25partition_config_selectorILNS1_17partition_subalgoE3EsNS0_10empty_typeEbEEZZNS1_14partition_implILS5_3ELb0ES3_jN6thrust23THRUST_200600_302600_NS6detail15normal_iteratorINSA_7pointerIsNSA_11hip_rocprim3tagENSA_11use_defaultESG_EEEEPS6_SJ_NS0_5tupleIJPsSJ_EEENSK_IJSJ_SJ_EEES6_PlJ7is_evenIsEEEE10hipError_tPvRmT3_T4_T5_T6_T7_T9_mT8_P12ihipStream_tbDpT10_ENKUlT_T0_E_clISt17integral_constantIbLb1EES1A_EEDaS15_S16_EUlS15_E_NS1_11comp_targetILNS1_3genE5ELNS1_11target_archE942ELNS1_3gpuE9ELNS1_3repE0EEENS1_30default_config_static_selectorELNS0_4arch9wavefront6targetE1EEEvT1_,"axG",@progbits,_ZN7rocprim17ROCPRIM_400000_NS6detail17trampoline_kernelINS0_14default_configENS1_25partition_config_selectorILNS1_17partition_subalgoE3EsNS0_10empty_typeEbEEZZNS1_14partition_implILS5_3ELb0ES3_jN6thrust23THRUST_200600_302600_NS6detail15normal_iteratorINSA_7pointerIsNSA_11hip_rocprim3tagENSA_11use_defaultESG_EEEEPS6_SJ_NS0_5tupleIJPsSJ_EEENSK_IJSJ_SJ_EEES6_PlJ7is_evenIsEEEE10hipError_tPvRmT3_T4_T5_T6_T7_T9_mT8_P12ihipStream_tbDpT10_ENKUlT_T0_E_clISt17integral_constantIbLb1EES1A_EEDaS15_S16_EUlS15_E_NS1_11comp_targetILNS1_3genE5ELNS1_11target_archE942ELNS1_3gpuE9ELNS1_3repE0EEENS1_30default_config_static_selectorELNS0_4arch9wavefront6targetE1EEEvT1_,comdat
.Lfunc_end149:
	.size	_ZN7rocprim17ROCPRIM_400000_NS6detail17trampoline_kernelINS0_14default_configENS1_25partition_config_selectorILNS1_17partition_subalgoE3EsNS0_10empty_typeEbEEZZNS1_14partition_implILS5_3ELb0ES3_jN6thrust23THRUST_200600_302600_NS6detail15normal_iteratorINSA_7pointerIsNSA_11hip_rocprim3tagENSA_11use_defaultESG_EEEEPS6_SJ_NS0_5tupleIJPsSJ_EEENSK_IJSJ_SJ_EEES6_PlJ7is_evenIsEEEE10hipError_tPvRmT3_T4_T5_T6_T7_T9_mT8_P12ihipStream_tbDpT10_ENKUlT_T0_E_clISt17integral_constantIbLb1EES1A_EEDaS15_S16_EUlS15_E_NS1_11comp_targetILNS1_3genE5ELNS1_11target_archE942ELNS1_3gpuE9ELNS1_3repE0EEENS1_30default_config_static_selectorELNS0_4arch9wavefront6targetE1EEEvT1_, .Lfunc_end149-_ZN7rocprim17ROCPRIM_400000_NS6detail17trampoline_kernelINS0_14default_configENS1_25partition_config_selectorILNS1_17partition_subalgoE3EsNS0_10empty_typeEbEEZZNS1_14partition_implILS5_3ELb0ES3_jN6thrust23THRUST_200600_302600_NS6detail15normal_iteratorINSA_7pointerIsNSA_11hip_rocprim3tagENSA_11use_defaultESG_EEEEPS6_SJ_NS0_5tupleIJPsSJ_EEENSK_IJSJ_SJ_EEES6_PlJ7is_evenIsEEEE10hipError_tPvRmT3_T4_T5_T6_T7_T9_mT8_P12ihipStream_tbDpT10_ENKUlT_T0_E_clISt17integral_constantIbLb1EES1A_EEDaS15_S16_EUlS15_E_NS1_11comp_targetILNS1_3genE5ELNS1_11target_archE942ELNS1_3gpuE9ELNS1_3repE0EEENS1_30default_config_static_selectorELNS0_4arch9wavefront6targetE1EEEvT1_
                                        ; -- End function
	.section	.AMDGPU.csdata,"",@progbits
; Kernel info:
; codeLenInByte = 13008
; NumSgprs: 50
; NumVgprs: 124
; NumAgprs: 0
; TotalNumVgprs: 124
; ScratchSize: 0
; MemoryBound: 0
; FloatMode: 240
; IeeeMode: 1
; LDSByteSize: 30728 bytes/workgroup (compile time only)
; SGPRBlocks: 6
; VGPRBlocks: 15
; NumSGPRsForWavesPerEU: 50
; NumVGPRsForWavesPerEU: 124
; AccumOffset: 124
; Occupancy: 4
; WaveLimiterHint : 1
; COMPUTE_PGM_RSRC2:SCRATCH_EN: 0
; COMPUTE_PGM_RSRC2:USER_SGPR: 2
; COMPUTE_PGM_RSRC2:TRAP_HANDLER: 0
; COMPUTE_PGM_RSRC2:TGID_X_EN: 1
; COMPUTE_PGM_RSRC2:TGID_Y_EN: 0
; COMPUTE_PGM_RSRC2:TGID_Z_EN: 0
; COMPUTE_PGM_RSRC2:TIDIG_COMP_CNT: 0
; COMPUTE_PGM_RSRC3_GFX90A:ACCUM_OFFSET: 30
; COMPUTE_PGM_RSRC3_GFX90A:TG_SPLIT: 0
	.section	.text._ZN7rocprim17ROCPRIM_400000_NS6detail17trampoline_kernelINS0_14default_configENS1_25partition_config_selectorILNS1_17partition_subalgoE3EsNS0_10empty_typeEbEEZZNS1_14partition_implILS5_3ELb0ES3_jN6thrust23THRUST_200600_302600_NS6detail15normal_iteratorINSA_7pointerIsNSA_11hip_rocprim3tagENSA_11use_defaultESG_EEEEPS6_SJ_NS0_5tupleIJPsSJ_EEENSK_IJSJ_SJ_EEES6_PlJ7is_evenIsEEEE10hipError_tPvRmT3_T4_T5_T6_T7_T9_mT8_P12ihipStream_tbDpT10_ENKUlT_T0_E_clISt17integral_constantIbLb1EES1A_EEDaS15_S16_EUlS15_E_NS1_11comp_targetILNS1_3genE4ELNS1_11target_archE910ELNS1_3gpuE8ELNS1_3repE0EEENS1_30default_config_static_selectorELNS0_4arch9wavefront6targetE1EEEvT1_,"axG",@progbits,_ZN7rocprim17ROCPRIM_400000_NS6detail17trampoline_kernelINS0_14default_configENS1_25partition_config_selectorILNS1_17partition_subalgoE3EsNS0_10empty_typeEbEEZZNS1_14partition_implILS5_3ELb0ES3_jN6thrust23THRUST_200600_302600_NS6detail15normal_iteratorINSA_7pointerIsNSA_11hip_rocprim3tagENSA_11use_defaultESG_EEEEPS6_SJ_NS0_5tupleIJPsSJ_EEENSK_IJSJ_SJ_EEES6_PlJ7is_evenIsEEEE10hipError_tPvRmT3_T4_T5_T6_T7_T9_mT8_P12ihipStream_tbDpT10_ENKUlT_T0_E_clISt17integral_constantIbLb1EES1A_EEDaS15_S16_EUlS15_E_NS1_11comp_targetILNS1_3genE4ELNS1_11target_archE910ELNS1_3gpuE8ELNS1_3repE0EEENS1_30default_config_static_selectorELNS0_4arch9wavefront6targetE1EEEvT1_,comdat
	.protected	_ZN7rocprim17ROCPRIM_400000_NS6detail17trampoline_kernelINS0_14default_configENS1_25partition_config_selectorILNS1_17partition_subalgoE3EsNS0_10empty_typeEbEEZZNS1_14partition_implILS5_3ELb0ES3_jN6thrust23THRUST_200600_302600_NS6detail15normal_iteratorINSA_7pointerIsNSA_11hip_rocprim3tagENSA_11use_defaultESG_EEEEPS6_SJ_NS0_5tupleIJPsSJ_EEENSK_IJSJ_SJ_EEES6_PlJ7is_evenIsEEEE10hipError_tPvRmT3_T4_T5_T6_T7_T9_mT8_P12ihipStream_tbDpT10_ENKUlT_T0_E_clISt17integral_constantIbLb1EES1A_EEDaS15_S16_EUlS15_E_NS1_11comp_targetILNS1_3genE4ELNS1_11target_archE910ELNS1_3gpuE8ELNS1_3repE0EEENS1_30default_config_static_selectorELNS0_4arch9wavefront6targetE1EEEvT1_ ; -- Begin function _ZN7rocprim17ROCPRIM_400000_NS6detail17trampoline_kernelINS0_14default_configENS1_25partition_config_selectorILNS1_17partition_subalgoE3EsNS0_10empty_typeEbEEZZNS1_14partition_implILS5_3ELb0ES3_jN6thrust23THRUST_200600_302600_NS6detail15normal_iteratorINSA_7pointerIsNSA_11hip_rocprim3tagENSA_11use_defaultESG_EEEEPS6_SJ_NS0_5tupleIJPsSJ_EEENSK_IJSJ_SJ_EEES6_PlJ7is_evenIsEEEE10hipError_tPvRmT3_T4_T5_T6_T7_T9_mT8_P12ihipStream_tbDpT10_ENKUlT_T0_E_clISt17integral_constantIbLb1EES1A_EEDaS15_S16_EUlS15_E_NS1_11comp_targetILNS1_3genE4ELNS1_11target_archE910ELNS1_3gpuE8ELNS1_3repE0EEENS1_30default_config_static_selectorELNS0_4arch9wavefront6targetE1EEEvT1_
	.globl	_ZN7rocprim17ROCPRIM_400000_NS6detail17trampoline_kernelINS0_14default_configENS1_25partition_config_selectorILNS1_17partition_subalgoE3EsNS0_10empty_typeEbEEZZNS1_14partition_implILS5_3ELb0ES3_jN6thrust23THRUST_200600_302600_NS6detail15normal_iteratorINSA_7pointerIsNSA_11hip_rocprim3tagENSA_11use_defaultESG_EEEEPS6_SJ_NS0_5tupleIJPsSJ_EEENSK_IJSJ_SJ_EEES6_PlJ7is_evenIsEEEE10hipError_tPvRmT3_T4_T5_T6_T7_T9_mT8_P12ihipStream_tbDpT10_ENKUlT_T0_E_clISt17integral_constantIbLb1EES1A_EEDaS15_S16_EUlS15_E_NS1_11comp_targetILNS1_3genE4ELNS1_11target_archE910ELNS1_3gpuE8ELNS1_3repE0EEENS1_30default_config_static_selectorELNS0_4arch9wavefront6targetE1EEEvT1_
	.p2align	8
	.type	_ZN7rocprim17ROCPRIM_400000_NS6detail17trampoline_kernelINS0_14default_configENS1_25partition_config_selectorILNS1_17partition_subalgoE3EsNS0_10empty_typeEbEEZZNS1_14partition_implILS5_3ELb0ES3_jN6thrust23THRUST_200600_302600_NS6detail15normal_iteratorINSA_7pointerIsNSA_11hip_rocprim3tagENSA_11use_defaultESG_EEEEPS6_SJ_NS0_5tupleIJPsSJ_EEENSK_IJSJ_SJ_EEES6_PlJ7is_evenIsEEEE10hipError_tPvRmT3_T4_T5_T6_T7_T9_mT8_P12ihipStream_tbDpT10_ENKUlT_T0_E_clISt17integral_constantIbLb1EES1A_EEDaS15_S16_EUlS15_E_NS1_11comp_targetILNS1_3genE4ELNS1_11target_archE910ELNS1_3gpuE8ELNS1_3repE0EEENS1_30default_config_static_selectorELNS0_4arch9wavefront6targetE1EEEvT1_,@function
_ZN7rocprim17ROCPRIM_400000_NS6detail17trampoline_kernelINS0_14default_configENS1_25partition_config_selectorILNS1_17partition_subalgoE3EsNS0_10empty_typeEbEEZZNS1_14partition_implILS5_3ELb0ES3_jN6thrust23THRUST_200600_302600_NS6detail15normal_iteratorINSA_7pointerIsNSA_11hip_rocprim3tagENSA_11use_defaultESG_EEEEPS6_SJ_NS0_5tupleIJPsSJ_EEENSK_IJSJ_SJ_EEES6_PlJ7is_evenIsEEEE10hipError_tPvRmT3_T4_T5_T6_T7_T9_mT8_P12ihipStream_tbDpT10_ENKUlT_T0_E_clISt17integral_constantIbLb1EES1A_EEDaS15_S16_EUlS15_E_NS1_11comp_targetILNS1_3genE4ELNS1_11target_archE910ELNS1_3gpuE8ELNS1_3repE0EEENS1_30default_config_static_selectorELNS0_4arch9wavefront6targetE1EEEvT1_: ; @_ZN7rocprim17ROCPRIM_400000_NS6detail17trampoline_kernelINS0_14default_configENS1_25partition_config_selectorILNS1_17partition_subalgoE3EsNS0_10empty_typeEbEEZZNS1_14partition_implILS5_3ELb0ES3_jN6thrust23THRUST_200600_302600_NS6detail15normal_iteratorINSA_7pointerIsNSA_11hip_rocprim3tagENSA_11use_defaultESG_EEEEPS6_SJ_NS0_5tupleIJPsSJ_EEENSK_IJSJ_SJ_EEES6_PlJ7is_evenIsEEEE10hipError_tPvRmT3_T4_T5_T6_T7_T9_mT8_P12ihipStream_tbDpT10_ENKUlT_T0_E_clISt17integral_constantIbLb1EES1A_EEDaS15_S16_EUlS15_E_NS1_11comp_targetILNS1_3genE4ELNS1_11target_archE910ELNS1_3gpuE8ELNS1_3repE0EEENS1_30default_config_static_selectorELNS0_4arch9wavefront6targetE1EEEvT1_
; %bb.0:
	.section	.rodata,"a",@progbits
	.p2align	6, 0x0
	.amdhsa_kernel _ZN7rocprim17ROCPRIM_400000_NS6detail17trampoline_kernelINS0_14default_configENS1_25partition_config_selectorILNS1_17partition_subalgoE3EsNS0_10empty_typeEbEEZZNS1_14partition_implILS5_3ELb0ES3_jN6thrust23THRUST_200600_302600_NS6detail15normal_iteratorINSA_7pointerIsNSA_11hip_rocprim3tagENSA_11use_defaultESG_EEEEPS6_SJ_NS0_5tupleIJPsSJ_EEENSK_IJSJ_SJ_EEES6_PlJ7is_evenIsEEEE10hipError_tPvRmT3_T4_T5_T6_T7_T9_mT8_P12ihipStream_tbDpT10_ENKUlT_T0_E_clISt17integral_constantIbLb1EES1A_EEDaS15_S16_EUlS15_E_NS1_11comp_targetILNS1_3genE4ELNS1_11target_archE910ELNS1_3gpuE8ELNS1_3repE0EEENS1_30default_config_static_selectorELNS0_4arch9wavefront6targetE1EEEvT1_
		.amdhsa_group_segment_fixed_size 0
		.amdhsa_private_segment_fixed_size 0
		.amdhsa_kernarg_size 136
		.amdhsa_user_sgpr_count 2
		.amdhsa_user_sgpr_dispatch_ptr 0
		.amdhsa_user_sgpr_queue_ptr 0
		.amdhsa_user_sgpr_kernarg_segment_ptr 1
		.amdhsa_user_sgpr_dispatch_id 0
		.amdhsa_user_sgpr_kernarg_preload_length 0
		.amdhsa_user_sgpr_kernarg_preload_offset 0
		.amdhsa_user_sgpr_private_segment_size 0
		.amdhsa_uses_dynamic_stack 0
		.amdhsa_enable_private_segment 0
		.amdhsa_system_sgpr_workgroup_id_x 1
		.amdhsa_system_sgpr_workgroup_id_y 0
		.amdhsa_system_sgpr_workgroup_id_z 0
		.amdhsa_system_sgpr_workgroup_info 0
		.amdhsa_system_vgpr_workitem_id 0
		.amdhsa_next_free_vgpr 1
		.amdhsa_next_free_sgpr 0
		.amdhsa_accum_offset 4
		.amdhsa_reserve_vcc 0
		.amdhsa_float_round_mode_32 0
		.amdhsa_float_round_mode_16_64 0
		.amdhsa_float_denorm_mode_32 3
		.amdhsa_float_denorm_mode_16_64 3
		.amdhsa_dx10_clamp 1
		.amdhsa_ieee_mode 1
		.amdhsa_fp16_overflow 0
		.amdhsa_tg_split 0
		.amdhsa_exception_fp_ieee_invalid_op 0
		.amdhsa_exception_fp_denorm_src 0
		.amdhsa_exception_fp_ieee_div_zero 0
		.amdhsa_exception_fp_ieee_overflow 0
		.amdhsa_exception_fp_ieee_underflow 0
		.amdhsa_exception_fp_ieee_inexact 0
		.amdhsa_exception_int_div_zero 0
	.end_amdhsa_kernel
	.section	.text._ZN7rocprim17ROCPRIM_400000_NS6detail17trampoline_kernelINS0_14default_configENS1_25partition_config_selectorILNS1_17partition_subalgoE3EsNS0_10empty_typeEbEEZZNS1_14partition_implILS5_3ELb0ES3_jN6thrust23THRUST_200600_302600_NS6detail15normal_iteratorINSA_7pointerIsNSA_11hip_rocprim3tagENSA_11use_defaultESG_EEEEPS6_SJ_NS0_5tupleIJPsSJ_EEENSK_IJSJ_SJ_EEES6_PlJ7is_evenIsEEEE10hipError_tPvRmT3_T4_T5_T6_T7_T9_mT8_P12ihipStream_tbDpT10_ENKUlT_T0_E_clISt17integral_constantIbLb1EES1A_EEDaS15_S16_EUlS15_E_NS1_11comp_targetILNS1_3genE4ELNS1_11target_archE910ELNS1_3gpuE8ELNS1_3repE0EEENS1_30default_config_static_selectorELNS0_4arch9wavefront6targetE1EEEvT1_,"axG",@progbits,_ZN7rocprim17ROCPRIM_400000_NS6detail17trampoline_kernelINS0_14default_configENS1_25partition_config_selectorILNS1_17partition_subalgoE3EsNS0_10empty_typeEbEEZZNS1_14partition_implILS5_3ELb0ES3_jN6thrust23THRUST_200600_302600_NS6detail15normal_iteratorINSA_7pointerIsNSA_11hip_rocprim3tagENSA_11use_defaultESG_EEEEPS6_SJ_NS0_5tupleIJPsSJ_EEENSK_IJSJ_SJ_EEES6_PlJ7is_evenIsEEEE10hipError_tPvRmT3_T4_T5_T6_T7_T9_mT8_P12ihipStream_tbDpT10_ENKUlT_T0_E_clISt17integral_constantIbLb1EES1A_EEDaS15_S16_EUlS15_E_NS1_11comp_targetILNS1_3genE4ELNS1_11target_archE910ELNS1_3gpuE8ELNS1_3repE0EEENS1_30default_config_static_selectorELNS0_4arch9wavefront6targetE1EEEvT1_,comdat
.Lfunc_end150:
	.size	_ZN7rocprim17ROCPRIM_400000_NS6detail17trampoline_kernelINS0_14default_configENS1_25partition_config_selectorILNS1_17partition_subalgoE3EsNS0_10empty_typeEbEEZZNS1_14partition_implILS5_3ELb0ES3_jN6thrust23THRUST_200600_302600_NS6detail15normal_iteratorINSA_7pointerIsNSA_11hip_rocprim3tagENSA_11use_defaultESG_EEEEPS6_SJ_NS0_5tupleIJPsSJ_EEENSK_IJSJ_SJ_EEES6_PlJ7is_evenIsEEEE10hipError_tPvRmT3_T4_T5_T6_T7_T9_mT8_P12ihipStream_tbDpT10_ENKUlT_T0_E_clISt17integral_constantIbLb1EES1A_EEDaS15_S16_EUlS15_E_NS1_11comp_targetILNS1_3genE4ELNS1_11target_archE910ELNS1_3gpuE8ELNS1_3repE0EEENS1_30default_config_static_selectorELNS0_4arch9wavefront6targetE1EEEvT1_, .Lfunc_end150-_ZN7rocprim17ROCPRIM_400000_NS6detail17trampoline_kernelINS0_14default_configENS1_25partition_config_selectorILNS1_17partition_subalgoE3EsNS0_10empty_typeEbEEZZNS1_14partition_implILS5_3ELb0ES3_jN6thrust23THRUST_200600_302600_NS6detail15normal_iteratorINSA_7pointerIsNSA_11hip_rocprim3tagENSA_11use_defaultESG_EEEEPS6_SJ_NS0_5tupleIJPsSJ_EEENSK_IJSJ_SJ_EEES6_PlJ7is_evenIsEEEE10hipError_tPvRmT3_T4_T5_T6_T7_T9_mT8_P12ihipStream_tbDpT10_ENKUlT_T0_E_clISt17integral_constantIbLb1EES1A_EEDaS15_S16_EUlS15_E_NS1_11comp_targetILNS1_3genE4ELNS1_11target_archE910ELNS1_3gpuE8ELNS1_3repE0EEENS1_30default_config_static_selectorELNS0_4arch9wavefront6targetE1EEEvT1_
                                        ; -- End function
	.section	.AMDGPU.csdata,"",@progbits
; Kernel info:
; codeLenInByte = 0
; NumSgprs: 6
; NumVgprs: 0
; NumAgprs: 0
; TotalNumVgprs: 0
; ScratchSize: 0
; MemoryBound: 0
; FloatMode: 240
; IeeeMode: 1
; LDSByteSize: 0 bytes/workgroup (compile time only)
; SGPRBlocks: 0
; VGPRBlocks: 0
; NumSGPRsForWavesPerEU: 6
; NumVGPRsForWavesPerEU: 1
; AccumOffset: 4
; Occupancy: 8
; WaveLimiterHint : 0
; COMPUTE_PGM_RSRC2:SCRATCH_EN: 0
; COMPUTE_PGM_RSRC2:USER_SGPR: 2
; COMPUTE_PGM_RSRC2:TRAP_HANDLER: 0
; COMPUTE_PGM_RSRC2:TGID_X_EN: 1
; COMPUTE_PGM_RSRC2:TGID_Y_EN: 0
; COMPUTE_PGM_RSRC2:TGID_Z_EN: 0
; COMPUTE_PGM_RSRC2:TIDIG_COMP_CNT: 0
; COMPUTE_PGM_RSRC3_GFX90A:ACCUM_OFFSET: 0
; COMPUTE_PGM_RSRC3_GFX90A:TG_SPLIT: 0
	.section	.text._ZN7rocprim17ROCPRIM_400000_NS6detail17trampoline_kernelINS0_14default_configENS1_25partition_config_selectorILNS1_17partition_subalgoE3EsNS0_10empty_typeEbEEZZNS1_14partition_implILS5_3ELb0ES3_jN6thrust23THRUST_200600_302600_NS6detail15normal_iteratorINSA_7pointerIsNSA_11hip_rocprim3tagENSA_11use_defaultESG_EEEEPS6_SJ_NS0_5tupleIJPsSJ_EEENSK_IJSJ_SJ_EEES6_PlJ7is_evenIsEEEE10hipError_tPvRmT3_T4_T5_T6_T7_T9_mT8_P12ihipStream_tbDpT10_ENKUlT_T0_E_clISt17integral_constantIbLb1EES1A_EEDaS15_S16_EUlS15_E_NS1_11comp_targetILNS1_3genE3ELNS1_11target_archE908ELNS1_3gpuE7ELNS1_3repE0EEENS1_30default_config_static_selectorELNS0_4arch9wavefront6targetE1EEEvT1_,"axG",@progbits,_ZN7rocprim17ROCPRIM_400000_NS6detail17trampoline_kernelINS0_14default_configENS1_25partition_config_selectorILNS1_17partition_subalgoE3EsNS0_10empty_typeEbEEZZNS1_14partition_implILS5_3ELb0ES3_jN6thrust23THRUST_200600_302600_NS6detail15normal_iteratorINSA_7pointerIsNSA_11hip_rocprim3tagENSA_11use_defaultESG_EEEEPS6_SJ_NS0_5tupleIJPsSJ_EEENSK_IJSJ_SJ_EEES6_PlJ7is_evenIsEEEE10hipError_tPvRmT3_T4_T5_T6_T7_T9_mT8_P12ihipStream_tbDpT10_ENKUlT_T0_E_clISt17integral_constantIbLb1EES1A_EEDaS15_S16_EUlS15_E_NS1_11comp_targetILNS1_3genE3ELNS1_11target_archE908ELNS1_3gpuE7ELNS1_3repE0EEENS1_30default_config_static_selectorELNS0_4arch9wavefront6targetE1EEEvT1_,comdat
	.protected	_ZN7rocprim17ROCPRIM_400000_NS6detail17trampoline_kernelINS0_14default_configENS1_25partition_config_selectorILNS1_17partition_subalgoE3EsNS0_10empty_typeEbEEZZNS1_14partition_implILS5_3ELb0ES3_jN6thrust23THRUST_200600_302600_NS6detail15normal_iteratorINSA_7pointerIsNSA_11hip_rocprim3tagENSA_11use_defaultESG_EEEEPS6_SJ_NS0_5tupleIJPsSJ_EEENSK_IJSJ_SJ_EEES6_PlJ7is_evenIsEEEE10hipError_tPvRmT3_T4_T5_T6_T7_T9_mT8_P12ihipStream_tbDpT10_ENKUlT_T0_E_clISt17integral_constantIbLb1EES1A_EEDaS15_S16_EUlS15_E_NS1_11comp_targetILNS1_3genE3ELNS1_11target_archE908ELNS1_3gpuE7ELNS1_3repE0EEENS1_30default_config_static_selectorELNS0_4arch9wavefront6targetE1EEEvT1_ ; -- Begin function _ZN7rocprim17ROCPRIM_400000_NS6detail17trampoline_kernelINS0_14default_configENS1_25partition_config_selectorILNS1_17partition_subalgoE3EsNS0_10empty_typeEbEEZZNS1_14partition_implILS5_3ELb0ES3_jN6thrust23THRUST_200600_302600_NS6detail15normal_iteratorINSA_7pointerIsNSA_11hip_rocprim3tagENSA_11use_defaultESG_EEEEPS6_SJ_NS0_5tupleIJPsSJ_EEENSK_IJSJ_SJ_EEES6_PlJ7is_evenIsEEEE10hipError_tPvRmT3_T4_T5_T6_T7_T9_mT8_P12ihipStream_tbDpT10_ENKUlT_T0_E_clISt17integral_constantIbLb1EES1A_EEDaS15_S16_EUlS15_E_NS1_11comp_targetILNS1_3genE3ELNS1_11target_archE908ELNS1_3gpuE7ELNS1_3repE0EEENS1_30default_config_static_selectorELNS0_4arch9wavefront6targetE1EEEvT1_
	.globl	_ZN7rocprim17ROCPRIM_400000_NS6detail17trampoline_kernelINS0_14default_configENS1_25partition_config_selectorILNS1_17partition_subalgoE3EsNS0_10empty_typeEbEEZZNS1_14partition_implILS5_3ELb0ES3_jN6thrust23THRUST_200600_302600_NS6detail15normal_iteratorINSA_7pointerIsNSA_11hip_rocprim3tagENSA_11use_defaultESG_EEEEPS6_SJ_NS0_5tupleIJPsSJ_EEENSK_IJSJ_SJ_EEES6_PlJ7is_evenIsEEEE10hipError_tPvRmT3_T4_T5_T6_T7_T9_mT8_P12ihipStream_tbDpT10_ENKUlT_T0_E_clISt17integral_constantIbLb1EES1A_EEDaS15_S16_EUlS15_E_NS1_11comp_targetILNS1_3genE3ELNS1_11target_archE908ELNS1_3gpuE7ELNS1_3repE0EEENS1_30default_config_static_selectorELNS0_4arch9wavefront6targetE1EEEvT1_
	.p2align	8
	.type	_ZN7rocprim17ROCPRIM_400000_NS6detail17trampoline_kernelINS0_14default_configENS1_25partition_config_selectorILNS1_17partition_subalgoE3EsNS0_10empty_typeEbEEZZNS1_14partition_implILS5_3ELb0ES3_jN6thrust23THRUST_200600_302600_NS6detail15normal_iteratorINSA_7pointerIsNSA_11hip_rocprim3tagENSA_11use_defaultESG_EEEEPS6_SJ_NS0_5tupleIJPsSJ_EEENSK_IJSJ_SJ_EEES6_PlJ7is_evenIsEEEE10hipError_tPvRmT3_T4_T5_T6_T7_T9_mT8_P12ihipStream_tbDpT10_ENKUlT_T0_E_clISt17integral_constantIbLb1EES1A_EEDaS15_S16_EUlS15_E_NS1_11comp_targetILNS1_3genE3ELNS1_11target_archE908ELNS1_3gpuE7ELNS1_3repE0EEENS1_30default_config_static_selectorELNS0_4arch9wavefront6targetE1EEEvT1_,@function
_ZN7rocprim17ROCPRIM_400000_NS6detail17trampoline_kernelINS0_14default_configENS1_25partition_config_selectorILNS1_17partition_subalgoE3EsNS0_10empty_typeEbEEZZNS1_14partition_implILS5_3ELb0ES3_jN6thrust23THRUST_200600_302600_NS6detail15normal_iteratorINSA_7pointerIsNSA_11hip_rocprim3tagENSA_11use_defaultESG_EEEEPS6_SJ_NS0_5tupleIJPsSJ_EEENSK_IJSJ_SJ_EEES6_PlJ7is_evenIsEEEE10hipError_tPvRmT3_T4_T5_T6_T7_T9_mT8_P12ihipStream_tbDpT10_ENKUlT_T0_E_clISt17integral_constantIbLb1EES1A_EEDaS15_S16_EUlS15_E_NS1_11comp_targetILNS1_3genE3ELNS1_11target_archE908ELNS1_3gpuE7ELNS1_3repE0EEENS1_30default_config_static_selectorELNS0_4arch9wavefront6targetE1EEEvT1_: ; @_ZN7rocprim17ROCPRIM_400000_NS6detail17trampoline_kernelINS0_14default_configENS1_25partition_config_selectorILNS1_17partition_subalgoE3EsNS0_10empty_typeEbEEZZNS1_14partition_implILS5_3ELb0ES3_jN6thrust23THRUST_200600_302600_NS6detail15normal_iteratorINSA_7pointerIsNSA_11hip_rocprim3tagENSA_11use_defaultESG_EEEEPS6_SJ_NS0_5tupleIJPsSJ_EEENSK_IJSJ_SJ_EEES6_PlJ7is_evenIsEEEE10hipError_tPvRmT3_T4_T5_T6_T7_T9_mT8_P12ihipStream_tbDpT10_ENKUlT_T0_E_clISt17integral_constantIbLb1EES1A_EEDaS15_S16_EUlS15_E_NS1_11comp_targetILNS1_3genE3ELNS1_11target_archE908ELNS1_3gpuE7ELNS1_3repE0EEENS1_30default_config_static_selectorELNS0_4arch9wavefront6targetE1EEEvT1_
; %bb.0:
	.section	.rodata,"a",@progbits
	.p2align	6, 0x0
	.amdhsa_kernel _ZN7rocprim17ROCPRIM_400000_NS6detail17trampoline_kernelINS0_14default_configENS1_25partition_config_selectorILNS1_17partition_subalgoE3EsNS0_10empty_typeEbEEZZNS1_14partition_implILS5_3ELb0ES3_jN6thrust23THRUST_200600_302600_NS6detail15normal_iteratorINSA_7pointerIsNSA_11hip_rocprim3tagENSA_11use_defaultESG_EEEEPS6_SJ_NS0_5tupleIJPsSJ_EEENSK_IJSJ_SJ_EEES6_PlJ7is_evenIsEEEE10hipError_tPvRmT3_T4_T5_T6_T7_T9_mT8_P12ihipStream_tbDpT10_ENKUlT_T0_E_clISt17integral_constantIbLb1EES1A_EEDaS15_S16_EUlS15_E_NS1_11comp_targetILNS1_3genE3ELNS1_11target_archE908ELNS1_3gpuE7ELNS1_3repE0EEENS1_30default_config_static_selectorELNS0_4arch9wavefront6targetE1EEEvT1_
		.amdhsa_group_segment_fixed_size 0
		.amdhsa_private_segment_fixed_size 0
		.amdhsa_kernarg_size 136
		.amdhsa_user_sgpr_count 2
		.amdhsa_user_sgpr_dispatch_ptr 0
		.amdhsa_user_sgpr_queue_ptr 0
		.amdhsa_user_sgpr_kernarg_segment_ptr 1
		.amdhsa_user_sgpr_dispatch_id 0
		.amdhsa_user_sgpr_kernarg_preload_length 0
		.amdhsa_user_sgpr_kernarg_preload_offset 0
		.amdhsa_user_sgpr_private_segment_size 0
		.amdhsa_uses_dynamic_stack 0
		.amdhsa_enable_private_segment 0
		.amdhsa_system_sgpr_workgroup_id_x 1
		.amdhsa_system_sgpr_workgroup_id_y 0
		.amdhsa_system_sgpr_workgroup_id_z 0
		.amdhsa_system_sgpr_workgroup_info 0
		.amdhsa_system_vgpr_workitem_id 0
		.amdhsa_next_free_vgpr 1
		.amdhsa_next_free_sgpr 0
		.amdhsa_accum_offset 4
		.amdhsa_reserve_vcc 0
		.amdhsa_float_round_mode_32 0
		.amdhsa_float_round_mode_16_64 0
		.amdhsa_float_denorm_mode_32 3
		.amdhsa_float_denorm_mode_16_64 3
		.amdhsa_dx10_clamp 1
		.amdhsa_ieee_mode 1
		.amdhsa_fp16_overflow 0
		.amdhsa_tg_split 0
		.amdhsa_exception_fp_ieee_invalid_op 0
		.amdhsa_exception_fp_denorm_src 0
		.amdhsa_exception_fp_ieee_div_zero 0
		.amdhsa_exception_fp_ieee_overflow 0
		.amdhsa_exception_fp_ieee_underflow 0
		.amdhsa_exception_fp_ieee_inexact 0
		.amdhsa_exception_int_div_zero 0
	.end_amdhsa_kernel
	.section	.text._ZN7rocprim17ROCPRIM_400000_NS6detail17trampoline_kernelINS0_14default_configENS1_25partition_config_selectorILNS1_17partition_subalgoE3EsNS0_10empty_typeEbEEZZNS1_14partition_implILS5_3ELb0ES3_jN6thrust23THRUST_200600_302600_NS6detail15normal_iteratorINSA_7pointerIsNSA_11hip_rocprim3tagENSA_11use_defaultESG_EEEEPS6_SJ_NS0_5tupleIJPsSJ_EEENSK_IJSJ_SJ_EEES6_PlJ7is_evenIsEEEE10hipError_tPvRmT3_T4_T5_T6_T7_T9_mT8_P12ihipStream_tbDpT10_ENKUlT_T0_E_clISt17integral_constantIbLb1EES1A_EEDaS15_S16_EUlS15_E_NS1_11comp_targetILNS1_3genE3ELNS1_11target_archE908ELNS1_3gpuE7ELNS1_3repE0EEENS1_30default_config_static_selectorELNS0_4arch9wavefront6targetE1EEEvT1_,"axG",@progbits,_ZN7rocprim17ROCPRIM_400000_NS6detail17trampoline_kernelINS0_14default_configENS1_25partition_config_selectorILNS1_17partition_subalgoE3EsNS0_10empty_typeEbEEZZNS1_14partition_implILS5_3ELb0ES3_jN6thrust23THRUST_200600_302600_NS6detail15normal_iteratorINSA_7pointerIsNSA_11hip_rocprim3tagENSA_11use_defaultESG_EEEEPS6_SJ_NS0_5tupleIJPsSJ_EEENSK_IJSJ_SJ_EEES6_PlJ7is_evenIsEEEE10hipError_tPvRmT3_T4_T5_T6_T7_T9_mT8_P12ihipStream_tbDpT10_ENKUlT_T0_E_clISt17integral_constantIbLb1EES1A_EEDaS15_S16_EUlS15_E_NS1_11comp_targetILNS1_3genE3ELNS1_11target_archE908ELNS1_3gpuE7ELNS1_3repE0EEENS1_30default_config_static_selectorELNS0_4arch9wavefront6targetE1EEEvT1_,comdat
.Lfunc_end151:
	.size	_ZN7rocprim17ROCPRIM_400000_NS6detail17trampoline_kernelINS0_14default_configENS1_25partition_config_selectorILNS1_17partition_subalgoE3EsNS0_10empty_typeEbEEZZNS1_14partition_implILS5_3ELb0ES3_jN6thrust23THRUST_200600_302600_NS6detail15normal_iteratorINSA_7pointerIsNSA_11hip_rocprim3tagENSA_11use_defaultESG_EEEEPS6_SJ_NS0_5tupleIJPsSJ_EEENSK_IJSJ_SJ_EEES6_PlJ7is_evenIsEEEE10hipError_tPvRmT3_T4_T5_T6_T7_T9_mT8_P12ihipStream_tbDpT10_ENKUlT_T0_E_clISt17integral_constantIbLb1EES1A_EEDaS15_S16_EUlS15_E_NS1_11comp_targetILNS1_3genE3ELNS1_11target_archE908ELNS1_3gpuE7ELNS1_3repE0EEENS1_30default_config_static_selectorELNS0_4arch9wavefront6targetE1EEEvT1_, .Lfunc_end151-_ZN7rocprim17ROCPRIM_400000_NS6detail17trampoline_kernelINS0_14default_configENS1_25partition_config_selectorILNS1_17partition_subalgoE3EsNS0_10empty_typeEbEEZZNS1_14partition_implILS5_3ELb0ES3_jN6thrust23THRUST_200600_302600_NS6detail15normal_iteratorINSA_7pointerIsNSA_11hip_rocprim3tagENSA_11use_defaultESG_EEEEPS6_SJ_NS0_5tupleIJPsSJ_EEENSK_IJSJ_SJ_EEES6_PlJ7is_evenIsEEEE10hipError_tPvRmT3_T4_T5_T6_T7_T9_mT8_P12ihipStream_tbDpT10_ENKUlT_T0_E_clISt17integral_constantIbLb1EES1A_EEDaS15_S16_EUlS15_E_NS1_11comp_targetILNS1_3genE3ELNS1_11target_archE908ELNS1_3gpuE7ELNS1_3repE0EEENS1_30default_config_static_selectorELNS0_4arch9wavefront6targetE1EEEvT1_
                                        ; -- End function
	.section	.AMDGPU.csdata,"",@progbits
; Kernel info:
; codeLenInByte = 0
; NumSgprs: 6
; NumVgprs: 0
; NumAgprs: 0
; TotalNumVgprs: 0
; ScratchSize: 0
; MemoryBound: 0
; FloatMode: 240
; IeeeMode: 1
; LDSByteSize: 0 bytes/workgroup (compile time only)
; SGPRBlocks: 0
; VGPRBlocks: 0
; NumSGPRsForWavesPerEU: 6
; NumVGPRsForWavesPerEU: 1
; AccumOffset: 4
; Occupancy: 8
; WaveLimiterHint : 0
; COMPUTE_PGM_RSRC2:SCRATCH_EN: 0
; COMPUTE_PGM_RSRC2:USER_SGPR: 2
; COMPUTE_PGM_RSRC2:TRAP_HANDLER: 0
; COMPUTE_PGM_RSRC2:TGID_X_EN: 1
; COMPUTE_PGM_RSRC2:TGID_Y_EN: 0
; COMPUTE_PGM_RSRC2:TGID_Z_EN: 0
; COMPUTE_PGM_RSRC2:TIDIG_COMP_CNT: 0
; COMPUTE_PGM_RSRC3_GFX90A:ACCUM_OFFSET: 0
; COMPUTE_PGM_RSRC3_GFX90A:TG_SPLIT: 0
	.section	.text._ZN7rocprim17ROCPRIM_400000_NS6detail17trampoline_kernelINS0_14default_configENS1_25partition_config_selectorILNS1_17partition_subalgoE3EsNS0_10empty_typeEbEEZZNS1_14partition_implILS5_3ELb0ES3_jN6thrust23THRUST_200600_302600_NS6detail15normal_iteratorINSA_7pointerIsNSA_11hip_rocprim3tagENSA_11use_defaultESG_EEEEPS6_SJ_NS0_5tupleIJPsSJ_EEENSK_IJSJ_SJ_EEES6_PlJ7is_evenIsEEEE10hipError_tPvRmT3_T4_T5_T6_T7_T9_mT8_P12ihipStream_tbDpT10_ENKUlT_T0_E_clISt17integral_constantIbLb1EES1A_EEDaS15_S16_EUlS15_E_NS1_11comp_targetILNS1_3genE2ELNS1_11target_archE906ELNS1_3gpuE6ELNS1_3repE0EEENS1_30default_config_static_selectorELNS0_4arch9wavefront6targetE1EEEvT1_,"axG",@progbits,_ZN7rocprim17ROCPRIM_400000_NS6detail17trampoline_kernelINS0_14default_configENS1_25partition_config_selectorILNS1_17partition_subalgoE3EsNS0_10empty_typeEbEEZZNS1_14partition_implILS5_3ELb0ES3_jN6thrust23THRUST_200600_302600_NS6detail15normal_iteratorINSA_7pointerIsNSA_11hip_rocprim3tagENSA_11use_defaultESG_EEEEPS6_SJ_NS0_5tupleIJPsSJ_EEENSK_IJSJ_SJ_EEES6_PlJ7is_evenIsEEEE10hipError_tPvRmT3_T4_T5_T6_T7_T9_mT8_P12ihipStream_tbDpT10_ENKUlT_T0_E_clISt17integral_constantIbLb1EES1A_EEDaS15_S16_EUlS15_E_NS1_11comp_targetILNS1_3genE2ELNS1_11target_archE906ELNS1_3gpuE6ELNS1_3repE0EEENS1_30default_config_static_selectorELNS0_4arch9wavefront6targetE1EEEvT1_,comdat
	.protected	_ZN7rocprim17ROCPRIM_400000_NS6detail17trampoline_kernelINS0_14default_configENS1_25partition_config_selectorILNS1_17partition_subalgoE3EsNS0_10empty_typeEbEEZZNS1_14partition_implILS5_3ELb0ES3_jN6thrust23THRUST_200600_302600_NS6detail15normal_iteratorINSA_7pointerIsNSA_11hip_rocprim3tagENSA_11use_defaultESG_EEEEPS6_SJ_NS0_5tupleIJPsSJ_EEENSK_IJSJ_SJ_EEES6_PlJ7is_evenIsEEEE10hipError_tPvRmT3_T4_T5_T6_T7_T9_mT8_P12ihipStream_tbDpT10_ENKUlT_T0_E_clISt17integral_constantIbLb1EES1A_EEDaS15_S16_EUlS15_E_NS1_11comp_targetILNS1_3genE2ELNS1_11target_archE906ELNS1_3gpuE6ELNS1_3repE0EEENS1_30default_config_static_selectorELNS0_4arch9wavefront6targetE1EEEvT1_ ; -- Begin function _ZN7rocprim17ROCPRIM_400000_NS6detail17trampoline_kernelINS0_14default_configENS1_25partition_config_selectorILNS1_17partition_subalgoE3EsNS0_10empty_typeEbEEZZNS1_14partition_implILS5_3ELb0ES3_jN6thrust23THRUST_200600_302600_NS6detail15normal_iteratorINSA_7pointerIsNSA_11hip_rocprim3tagENSA_11use_defaultESG_EEEEPS6_SJ_NS0_5tupleIJPsSJ_EEENSK_IJSJ_SJ_EEES6_PlJ7is_evenIsEEEE10hipError_tPvRmT3_T4_T5_T6_T7_T9_mT8_P12ihipStream_tbDpT10_ENKUlT_T0_E_clISt17integral_constantIbLb1EES1A_EEDaS15_S16_EUlS15_E_NS1_11comp_targetILNS1_3genE2ELNS1_11target_archE906ELNS1_3gpuE6ELNS1_3repE0EEENS1_30default_config_static_selectorELNS0_4arch9wavefront6targetE1EEEvT1_
	.globl	_ZN7rocprim17ROCPRIM_400000_NS6detail17trampoline_kernelINS0_14default_configENS1_25partition_config_selectorILNS1_17partition_subalgoE3EsNS0_10empty_typeEbEEZZNS1_14partition_implILS5_3ELb0ES3_jN6thrust23THRUST_200600_302600_NS6detail15normal_iteratorINSA_7pointerIsNSA_11hip_rocprim3tagENSA_11use_defaultESG_EEEEPS6_SJ_NS0_5tupleIJPsSJ_EEENSK_IJSJ_SJ_EEES6_PlJ7is_evenIsEEEE10hipError_tPvRmT3_T4_T5_T6_T7_T9_mT8_P12ihipStream_tbDpT10_ENKUlT_T0_E_clISt17integral_constantIbLb1EES1A_EEDaS15_S16_EUlS15_E_NS1_11comp_targetILNS1_3genE2ELNS1_11target_archE906ELNS1_3gpuE6ELNS1_3repE0EEENS1_30default_config_static_selectorELNS0_4arch9wavefront6targetE1EEEvT1_
	.p2align	8
	.type	_ZN7rocprim17ROCPRIM_400000_NS6detail17trampoline_kernelINS0_14default_configENS1_25partition_config_selectorILNS1_17partition_subalgoE3EsNS0_10empty_typeEbEEZZNS1_14partition_implILS5_3ELb0ES3_jN6thrust23THRUST_200600_302600_NS6detail15normal_iteratorINSA_7pointerIsNSA_11hip_rocprim3tagENSA_11use_defaultESG_EEEEPS6_SJ_NS0_5tupleIJPsSJ_EEENSK_IJSJ_SJ_EEES6_PlJ7is_evenIsEEEE10hipError_tPvRmT3_T4_T5_T6_T7_T9_mT8_P12ihipStream_tbDpT10_ENKUlT_T0_E_clISt17integral_constantIbLb1EES1A_EEDaS15_S16_EUlS15_E_NS1_11comp_targetILNS1_3genE2ELNS1_11target_archE906ELNS1_3gpuE6ELNS1_3repE0EEENS1_30default_config_static_selectorELNS0_4arch9wavefront6targetE1EEEvT1_,@function
_ZN7rocprim17ROCPRIM_400000_NS6detail17trampoline_kernelINS0_14default_configENS1_25partition_config_selectorILNS1_17partition_subalgoE3EsNS0_10empty_typeEbEEZZNS1_14partition_implILS5_3ELb0ES3_jN6thrust23THRUST_200600_302600_NS6detail15normal_iteratorINSA_7pointerIsNSA_11hip_rocprim3tagENSA_11use_defaultESG_EEEEPS6_SJ_NS0_5tupleIJPsSJ_EEENSK_IJSJ_SJ_EEES6_PlJ7is_evenIsEEEE10hipError_tPvRmT3_T4_T5_T6_T7_T9_mT8_P12ihipStream_tbDpT10_ENKUlT_T0_E_clISt17integral_constantIbLb1EES1A_EEDaS15_S16_EUlS15_E_NS1_11comp_targetILNS1_3genE2ELNS1_11target_archE906ELNS1_3gpuE6ELNS1_3repE0EEENS1_30default_config_static_selectorELNS0_4arch9wavefront6targetE1EEEvT1_: ; @_ZN7rocprim17ROCPRIM_400000_NS6detail17trampoline_kernelINS0_14default_configENS1_25partition_config_selectorILNS1_17partition_subalgoE3EsNS0_10empty_typeEbEEZZNS1_14partition_implILS5_3ELb0ES3_jN6thrust23THRUST_200600_302600_NS6detail15normal_iteratorINSA_7pointerIsNSA_11hip_rocprim3tagENSA_11use_defaultESG_EEEEPS6_SJ_NS0_5tupleIJPsSJ_EEENSK_IJSJ_SJ_EEES6_PlJ7is_evenIsEEEE10hipError_tPvRmT3_T4_T5_T6_T7_T9_mT8_P12ihipStream_tbDpT10_ENKUlT_T0_E_clISt17integral_constantIbLb1EES1A_EEDaS15_S16_EUlS15_E_NS1_11comp_targetILNS1_3genE2ELNS1_11target_archE906ELNS1_3gpuE6ELNS1_3repE0EEENS1_30default_config_static_selectorELNS0_4arch9wavefront6targetE1EEEvT1_
; %bb.0:
	.section	.rodata,"a",@progbits
	.p2align	6, 0x0
	.amdhsa_kernel _ZN7rocprim17ROCPRIM_400000_NS6detail17trampoline_kernelINS0_14default_configENS1_25partition_config_selectorILNS1_17partition_subalgoE3EsNS0_10empty_typeEbEEZZNS1_14partition_implILS5_3ELb0ES3_jN6thrust23THRUST_200600_302600_NS6detail15normal_iteratorINSA_7pointerIsNSA_11hip_rocprim3tagENSA_11use_defaultESG_EEEEPS6_SJ_NS0_5tupleIJPsSJ_EEENSK_IJSJ_SJ_EEES6_PlJ7is_evenIsEEEE10hipError_tPvRmT3_T4_T5_T6_T7_T9_mT8_P12ihipStream_tbDpT10_ENKUlT_T0_E_clISt17integral_constantIbLb1EES1A_EEDaS15_S16_EUlS15_E_NS1_11comp_targetILNS1_3genE2ELNS1_11target_archE906ELNS1_3gpuE6ELNS1_3repE0EEENS1_30default_config_static_selectorELNS0_4arch9wavefront6targetE1EEEvT1_
		.amdhsa_group_segment_fixed_size 0
		.amdhsa_private_segment_fixed_size 0
		.amdhsa_kernarg_size 136
		.amdhsa_user_sgpr_count 2
		.amdhsa_user_sgpr_dispatch_ptr 0
		.amdhsa_user_sgpr_queue_ptr 0
		.amdhsa_user_sgpr_kernarg_segment_ptr 1
		.amdhsa_user_sgpr_dispatch_id 0
		.amdhsa_user_sgpr_kernarg_preload_length 0
		.amdhsa_user_sgpr_kernarg_preload_offset 0
		.amdhsa_user_sgpr_private_segment_size 0
		.amdhsa_uses_dynamic_stack 0
		.amdhsa_enable_private_segment 0
		.amdhsa_system_sgpr_workgroup_id_x 1
		.amdhsa_system_sgpr_workgroup_id_y 0
		.amdhsa_system_sgpr_workgroup_id_z 0
		.amdhsa_system_sgpr_workgroup_info 0
		.amdhsa_system_vgpr_workitem_id 0
		.amdhsa_next_free_vgpr 1
		.amdhsa_next_free_sgpr 0
		.amdhsa_accum_offset 4
		.amdhsa_reserve_vcc 0
		.amdhsa_float_round_mode_32 0
		.amdhsa_float_round_mode_16_64 0
		.amdhsa_float_denorm_mode_32 3
		.amdhsa_float_denorm_mode_16_64 3
		.amdhsa_dx10_clamp 1
		.amdhsa_ieee_mode 1
		.amdhsa_fp16_overflow 0
		.amdhsa_tg_split 0
		.amdhsa_exception_fp_ieee_invalid_op 0
		.amdhsa_exception_fp_denorm_src 0
		.amdhsa_exception_fp_ieee_div_zero 0
		.amdhsa_exception_fp_ieee_overflow 0
		.amdhsa_exception_fp_ieee_underflow 0
		.amdhsa_exception_fp_ieee_inexact 0
		.amdhsa_exception_int_div_zero 0
	.end_amdhsa_kernel
	.section	.text._ZN7rocprim17ROCPRIM_400000_NS6detail17trampoline_kernelINS0_14default_configENS1_25partition_config_selectorILNS1_17partition_subalgoE3EsNS0_10empty_typeEbEEZZNS1_14partition_implILS5_3ELb0ES3_jN6thrust23THRUST_200600_302600_NS6detail15normal_iteratorINSA_7pointerIsNSA_11hip_rocprim3tagENSA_11use_defaultESG_EEEEPS6_SJ_NS0_5tupleIJPsSJ_EEENSK_IJSJ_SJ_EEES6_PlJ7is_evenIsEEEE10hipError_tPvRmT3_T4_T5_T6_T7_T9_mT8_P12ihipStream_tbDpT10_ENKUlT_T0_E_clISt17integral_constantIbLb1EES1A_EEDaS15_S16_EUlS15_E_NS1_11comp_targetILNS1_3genE2ELNS1_11target_archE906ELNS1_3gpuE6ELNS1_3repE0EEENS1_30default_config_static_selectorELNS0_4arch9wavefront6targetE1EEEvT1_,"axG",@progbits,_ZN7rocprim17ROCPRIM_400000_NS6detail17trampoline_kernelINS0_14default_configENS1_25partition_config_selectorILNS1_17partition_subalgoE3EsNS0_10empty_typeEbEEZZNS1_14partition_implILS5_3ELb0ES3_jN6thrust23THRUST_200600_302600_NS6detail15normal_iteratorINSA_7pointerIsNSA_11hip_rocprim3tagENSA_11use_defaultESG_EEEEPS6_SJ_NS0_5tupleIJPsSJ_EEENSK_IJSJ_SJ_EEES6_PlJ7is_evenIsEEEE10hipError_tPvRmT3_T4_T5_T6_T7_T9_mT8_P12ihipStream_tbDpT10_ENKUlT_T0_E_clISt17integral_constantIbLb1EES1A_EEDaS15_S16_EUlS15_E_NS1_11comp_targetILNS1_3genE2ELNS1_11target_archE906ELNS1_3gpuE6ELNS1_3repE0EEENS1_30default_config_static_selectorELNS0_4arch9wavefront6targetE1EEEvT1_,comdat
.Lfunc_end152:
	.size	_ZN7rocprim17ROCPRIM_400000_NS6detail17trampoline_kernelINS0_14default_configENS1_25partition_config_selectorILNS1_17partition_subalgoE3EsNS0_10empty_typeEbEEZZNS1_14partition_implILS5_3ELb0ES3_jN6thrust23THRUST_200600_302600_NS6detail15normal_iteratorINSA_7pointerIsNSA_11hip_rocprim3tagENSA_11use_defaultESG_EEEEPS6_SJ_NS0_5tupleIJPsSJ_EEENSK_IJSJ_SJ_EEES6_PlJ7is_evenIsEEEE10hipError_tPvRmT3_T4_T5_T6_T7_T9_mT8_P12ihipStream_tbDpT10_ENKUlT_T0_E_clISt17integral_constantIbLb1EES1A_EEDaS15_S16_EUlS15_E_NS1_11comp_targetILNS1_3genE2ELNS1_11target_archE906ELNS1_3gpuE6ELNS1_3repE0EEENS1_30default_config_static_selectorELNS0_4arch9wavefront6targetE1EEEvT1_, .Lfunc_end152-_ZN7rocprim17ROCPRIM_400000_NS6detail17trampoline_kernelINS0_14default_configENS1_25partition_config_selectorILNS1_17partition_subalgoE3EsNS0_10empty_typeEbEEZZNS1_14partition_implILS5_3ELb0ES3_jN6thrust23THRUST_200600_302600_NS6detail15normal_iteratorINSA_7pointerIsNSA_11hip_rocprim3tagENSA_11use_defaultESG_EEEEPS6_SJ_NS0_5tupleIJPsSJ_EEENSK_IJSJ_SJ_EEES6_PlJ7is_evenIsEEEE10hipError_tPvRmT3_T4_T5_T6_T7_T9_mT8_P12ihipStream_tbDpT10_ENKUlT_T0_E_clISt17integral_constantIbLb1EES1A_EEDaS15_S16_EUlS15_E_NS1_11comp_targetILNS1_3genE2ELNS1_11target_archE906ELNS1_3gpuE6ELNS1_3repE0EEENS1_30default_config_static_selectorELNS0_4arch9wavefront6targetE1EEEvT1_
                                        ; -- End function
	.section	.AMDGPU.csdata,"",@progbits
; Kernel info:
; codeLenInByte = 0
; NumSgprs: 6
; NumVgprs: 0
; NumAgprs: 0
; TotalNumVgprs: 0
; ScratchSize: 0
; MemoryBound: 0
; FloatMode: 240
; IeeeMode: 1
; LDSByteSize: 0 bytes/workgroup (compile time only)
; SGPRBlocks: 0
; VGPRBlocks: 0
; NumSGPRsForWavesPerEU: 6
; NumVGPRsForWavesPerEU: 1
; AccumOffset: 4
; Occupancy: 8
; WaveLimiterHint : 0
; COMPUTE_PGM_RSRC2:SCRATCH_EN: 0
; COMPUTE_PGM_RSRC2:USER_SGPR: 2
; COMPUTE_PGM_RSRC2:TRAP_HANDLER: 0
; COMPUTE_PGM_RSRC2:TGID_X_EN: 1
; COMPUTE_PGM_RSRC2:TGID_Y_EN: 0
; COMPUTE_PGM_RSRC2:TGID_Z_EN: 0
; COMPUTE_PGM_RSRC2:TIDIG_COMP_CNT: 0
; COMPUTE_PGM_RSRC3_GFX90A:ACCUM_OFFSET: 0
; COMPUTE_PGM_RSRC3_GFX90A:TG_SPLIT: 0
	.section	.text._ZN7rocprim17ROCPRIM_400000_NS6detail17trampoline_kernelINS0_14default_configENS1_25partition_config_selectorILNS1_17partition_subalgoE3EsNS0_10empty_typeEbEEZZNS1_14partition_implILS5_3ELb0ES3_jN6thrust23THRUST_200600_302600_NS6detail15normal_iteratorINSA_7pointerIsNSA_11hip_rocprim3tagENSA_11use_defaultESG_EEEEPS6_SJ_NS0_5tupleIJPsSJ_EEENSK_IJSJ_SJ_EEES6_PlJ7is_evenIsEEEE10hipError_tPvRmT3_T4_T5_T6_T7_T9_mT8_P12ihipStream_tbDpT10_ENKUlT_T0_E_clISt17integral_constantIbLb1EES1A_EEDaS15_S16_EUlS15_E_NS1_11comp_targetILNS1_3genE10ELNS1_11target_archE1200ELNS1_3gpuE4ELNS1_3repE0EEENS1_30default_config_static_selectorELNS0_4arch9wavefront6targetE1EEEvT1_,"axG",@progbits,_ZN7rocprim17ROCPRIM_400000_NS6detail17trampoline_kernelINS0_14default_configENS1_25partition_config_selectorILNS1_17partition_subalgoE3EsNS0_10empty_typeEbEEZZNS1_14partition_implILS5_3ELb0ES3_jN6thrust23THRUST_200600_302600_NS6detail15normal_iteratorINSA_7pointerIsNSA_11hip_rocprim3tagENSA_11use_defaultESG_EEEEPS6_SJ_NS0_5tupleIJPsSJ_EEENSK_IJSJ_SJ_EEES6_PlJ7is_evenIsEEEE10hipError_tPvRmT3_T4_T5_T6_T7_T9_mT8_P12ihipStream_tbDpT10_ENKUlT_T0_E_clISt17integral_constantIbLb1EES1A_EEDaS15_S16_EUlS15_E_NS1_11comp_targetILNS1_3genE10ELNS1_11target_archE1200ELNS1_3gpuE4ELNS1_3repE0EEENS1_30default_config_static_selectorELNS0_4arch9wavefront6targetE1EEEvT1_,comdat
	.protected	_ZN7rocprim17ROCPRIM_400000_NS6detail17trampoline_kernelINS0_14default_configENS1_25partition_config_selectorILNS1_17partition_subalgoE3EsNS0_10empty_typeEbEEZZNS1_14partition_implILS5_3ELb0ES3_jN6thrust23THRUST_200600_302600_NS6detail15normal_iteratorINSA_7pointerIsNSA_11hip_rocprim3tagENSA_11use_defaultESG_EEEEPS6_SJ_NS0_5tupleIJPsSJ_EEENSK_IJSJ_SJ_EEES6_PlJ7is_evenIsEEEE10hipError_tPvRmT3_T4_T5_T6_T7_T9_mT8_P12ihipStream_tbDpT10_ENKUlT_T0_E_clISt17integral_constantIbLb1EES1A_EEDaS15_S16_EUlS15_E_NS1_11comp_targetILNS1_3genE10ELNS1_11target_archE1200ELNS1_3gpuE4ELNS1_3repE0EEENS1_30default_config_static_selectorELNS0_4arch9wavefront6targetE1EEEvT1_ ; -- Begin function _ZN7rocprim17ROCPRIM_400000_NS6detail17trampoline_kernelINS0_14default_configENS1_25partition_config_selectorILNS1_17partition_subalgoE3EsNS0_10empty_typeEbEEZZNS1_14partition_implILS5_3ELb0ES3_jN6thrust23THRUST_200600_302600_NS6detail15normal_iteratorINSA_7pointerIsNSA_11hip_rocprim3tagENSA_11use_defaultESG_EEEEPS6_SJ_NS0_5tupleIJPsSJ_EEENSK_IJSJ_SJ_EEES6_PlJ7is_evenIsEEEE10hipError_tPvRmT3_T4_T5_T6_T7_T9_mT8_P12ihipStream_tbDpT10_ENKUlT_T0_E_clISt17integral_constantIbLb1EES1A_EEDaS15_S16_EUlS15_E_NS1_11comp_targetILNS1_3genE10ELNS1_11target_archE1200ELNS1_3gpuE4ELNS1_3repE0EEENS1_30default_config_static_selectorELNS0_4arch9wavefront6targetE1EEEvT1_
	.globl	_ZN7rocprim17ROCPRIM_400000_NS6detail17trampoline_kernelINS0_14default_configENS1_25partition_config_selectorILNS1_17partition_subalgoE3EsNS0_10empty_typeEbEEZZNS1_14partition_implILS5_3ELb0ES3_jN6thrust23THRUST_200600_302600_NS6detail15normal_iteratorINSA_7pointerIsNSA_11hip_rocprim3tagENSA_11use_defaultESG_EEEEPS6_SJ_NS0_5tupleIJPsSJ_EEENSK_IJSJ_SJ_EEES6_PlJ7is_evenIsEEEE10hipError_tPvRmT3_T4_T5_T6_T7_T9_mT8_P12ihipStream_tbDpT10_ENKUlT_T0_E_clISt17integral_constantIbLb1EES1A_EEDaS15_S16_EUlS15_E_NS1_11comp_targetILNS1_3genE10ELNS1_11target_archE1200ELNS1_3gpuE4ELNS1_3repE0EEENS1_30default_config_static_selectorELNS0_4arch9wavefront6targetE1EEEvT1_
	.p2align	8
	.type	_ZN7rocprim17ROCPRIM_400000_NS6detail17trampoline_kernelINS0_14default_configENS1_25partition_config_selectorILNS1_17partition_subalgoE3EsNS0_10empty_typeEbEEZZNS1_14partition_implILS5_3ELb0ES3_jN6thrust23THRUST_200600_302600_NS6detail15normal_iteratorINSA_7pointerIsNSA_11hip_rocprim3tagENSA_11use_defaultESG_EEEEPS6_SJ_NS0_5tupleIJPsSJ_EEENSK_IJSJ_SJ_EEES6_PlJ7is_evenIsEEEE10hipError_tPvRmT3_T4_T5_T6_T7_T9_mT8_P12ihipStream_tbDpT10_ENKUlT_T0_E_clISt17integral_constantIbLb1EES1A_EEDaS15_S16_EUlS15_E_NS1_11comp_targetILNS1_3genE10ELNS1_11target_archE1200ELNS1_3gpuE4ELNS1_3repE0EEENS1_30default_config_static_selectorELNS0_4arch9wavefront6targetE1EEEvT1_,@function
_ZN7rocprim17ROCPRIM_400000_NS6detail17trampoline_kernelINS0_14default_configENS1_25partition_config_selectorILNS1_17partition_subalgoE3EsNS0_10empty_typeEbEEZZNS1_14partition_implILS5_3ELb0ES3_jN6thrust23THRUST_200600_302600_NS6detail15normal_iteratorINSA_7pointerIsNSA_11hip_rocprim3tagENSA_11use_defaultESG_EEEEPS6_SJ_NS0_5tupleIJPsSJ_EEENSK_IJSJ_SJ_EEES6_PlJ7is_evenIsEEEE10hipError_tPvRmT3_T4_T5_T6_T7_T9_mT8_P12ihipStream_tbDpT10_ENKUlT_T0_E_clISt17integral_constantIbLb1EES1A_EEDaS15_S16_EUlS15_E_NS1_11comp_targetILNS1_3genE10ELNS1_11target_archE1200ELNS1_3gpuE4ELNS1_3repE0EEENS1_30default_config_static_selectorELNS0_4arch9wavefront6targetE1EEEvT1_: ; @_ZN7rocprim17ROCPRIM_400000_NS6detail17trampoline_kernelINS0_14default_configENS1_25partition_config_selectorILNS1_17partition_subalgoE3EsNS0_10empty_typeEbEEZZNS1_14partition_implILS5_3ELb0ES3_jN6thrust23THRUST_200600_302600_NS6detail15normal_iteratorINSA_7pointerIsNSA_11hip_rocprim3tagENSA_11use_defaultESG_EEEEPS6_SJ_NS0_5tupleIJPsSJ_EEENSK_IJSJ_SJ_EEES6_PlJ7is_evenIsEEEE10hipError_tPvRmT3_T4_T5_T6_T7_T9_mT8_P12ihipStream_tbDpT10_ENKUlT_T0_E_clISt17integral_constantIbLb1EES1A_EEDaS15_S16_EUlS15_E_NS1_11comp_targetILNS1_3genE10ELNS1_11target_archE1200ELNS1_3gpuE4ELNS1_3repE0EEENS1_30default_config_static_selectorELNS0_4arch9wavefront6targetE1EEEvT1_
; %bb.0:
	.section	.rodata,"a",@progbits
	.p2align	6, 0x0
	.amdhsa_kernel _ZN7rocprim17ROCPRIM_400000_NS6detail17trampoline_kernelINS0_14default_configENS1_25partition_config_selectorILNS1_17partition_subalgoE3EsNS0_10empty_typeEbEEZZNS1_14partition_implILS5_3ELb0ES3_jN6thrust23THRUST_200600_302600_NS6detail15normal_iteratorINSA_7pointerIsNSA_11hip_rocprim3tagENSA_11use_defaultESG_EEEEPS6_SJ_NS0_5tupleIJPsSJ_EEENSK_IJSJ_SJ_EEES6_PlJ7is_evenIsEEEE10hipError_tPvRmT3_T4_T5_T6_T7_T9_mT8_P12ihipStream_tbDpT10_ENKUlT_T0_E_clISt17integral_constantIbLb1EES1A_EEDaS15_S16_EUlS15_E_NS1_11comp_targetILNS1_3genE10ELNS1_11target_archE1200ELNS1_3gpuE4ELNS1_3repE0EEENS1_30default_config_static_selectorELNS0_4arch9wavefront6targetE1EEEvT1_
		.amdhsa_group_segment_fixed_size 0
		.amdhsa_private_segment_fixed_size 0
		.amdhsa_kernarg_size 136
		.amdhsa_user_sgpr_count 2
		.amdhsa_user_sgpr_dispatch_ptr 0
		.amdhsa_user_sgpr_queue_ptr 0
		.amdhsa_user_sgpr_kernarg_segment_ptr 1
		.amdhsa_user_sgpr_dispatch_id 0
		.amdhsa_user_sgpr_kernarg_preload_length 0
		.amdhsa_user_sgpr_kernarg_preload_offset 0
		.amdhsa_user_sgpr_private_segment_size 0
		.amdhsa_uses_dynamic_stack 0
		.amdhsa_enable_private_segment 0
		.amdhsa_system_sgpr_workgroup_id_x 1
		.amdhsa_system_sgpr_workgroup_id_y 0
		.amdhsa_system_sgpr_workgroup_id_z 0
		.amdhsa_system_sgpr_workgroup_info 0
		.amdhsa_system_vgpr_workitem_id 0
		.amdhsa_next_free_vgpr 1
		.amdhsa_next_free_sgpr 0
		.amdhsa_accum_offset 4
		.amdhsa_reserve_vcc 0
		.amdhsa_float_round_mode_32 0
		.amdhsa_float_round_mode_16_64 0
		.amdhsa_float_denorm_mode_32 3
		.amdhsa_float_denorm_mode_16_64 3
		.amdhsa_dx10_clamp 1
		.amdhsa_ieee_mode 1
		.amdhsa_fp16_overflow 0
		.amdhsa_tg_split 0
		.amdhsa_exception_fp_ieee_invalid_op 0
		.amdhsa_exception_fp_denorm_src 0
		.amdhsa_exception_fp_ieee_div_zero 0
		.amdhsa_exception_fp_ieee_overflow 0
		.amdhsa_exception_fp_ieee_underflow 0
		.amdhsa_exception_fp_ieee_inexact 0
		.amdhsa_exception_int_div_zero 0
	.end_amdhsa_kernel
	.section	.text._ZN7rocprim17ROCPRIM_400000_NS6detail17trampoline_kernelINS0_14default_configENS1_25partition_config_selectorILNS1_17partition_subalgoE3EsNS0_10empty_typeEbEEZZNS1_14partition_implILS5_3ELb0ES3_jN6thrust23THRUST_200600_302600_NS6detail15normal_iteratorINSA_7pointerIsNSA_11hip_rocprim3tagENSA_11use_defaultESG_EEEEPS6_SJ_NS0_5tupleIJPsSJ_EEENSK_IJSJ_SJ_EEES6_PlJ7is_evenIsEEEE10hipError_tPvRmT3_T4_T5_T6_T7_T9_mT8_P12ihipStream_tbDpT10_ENKUlT_T0_E_clISt17integral_constantIbLb1EES1A_EEDaS15_S16_EUlS15_E_NS1_11comp_targetILNS1_3genE10ELNS1_11target_archE1200ELNS1_3gpuE4ELNS1_3repE0EEENS1_30default_config_static_selectorELNS0_4arch9wavefront6targetE1EEEvT1_,"axG",@progbits,_ZN7rocprim17ROCPRIM_400000_NS6detail17trampoline_kernelINS0_14default_configENS1_25partition_config_selectorILNS1_17partition_subalgoE3EsNS0_10empty_typeEbEEZZNS1_14partition_implILS5_3ELb0ES3_jN6thrust23THRUST_200600_302600_NS6detail15normal_iteratorINSA_7pointerIsNSA_11hip_rocprim3tagENSA_11use_defaultESG_EEEEPS6_SJ_NS0_5tupleIJPsSJ_EEENSK_IJSJ_SJ_EEES6_PlJ7is_evenIsEEEE10hipError_tPvRmT3_T4_T5_T6_T7_T9_mT8_P12ihipStream_tbDpT10_ENKUlT_T0_E_clISt17integral_constantIbLb1EES1A_EEDaS15_S16_EUlS15_E_NS1_11comp_targetILNS1_3genE10ELNS1_11target_archE1200ELNS1_3gpuE4ELNS1_3repE0EEENS1_30default_config_static_selectorELNS0_4arch9wavefront6targetE1EEEvT1_,comdat
.Lfunc_end153:
	.size	_ZN7rocprim17ROCPRIM_400000_NS6detail17trampoline_kernelINS0_14default_configENS1_25partition_config_selectorILNS1_17partition_subalgoE3EsNS0_10empty_typeEbEEZZNS1_14partition_implILS5_3ELb0ES3_jN6thrust23THRUST_200600_302600_NS6detail15normal_iteratorINSA_7pointerIsNSA_11hip_rocprim3tagENSA_11use_defaultESG_EEEEPS6_SJ_NS0_5tupleIJPsSJ_EEENSK_IJSJ_SJ_EEES6_PlJ7is_evenIsEEEE10hipError_tPvRmT3_T4_T5_T6_T7_T9_mT8_P12ihipStream_tbDpT10_ENKUlT_T0_E_clISt17integral_constantIbLb1EES1A_EEDaS15_S16_EUlS15_E_NS1_11comp_targetILNS1_3genE10ELNS1_11target_archE1200ELNS1_3gpuE4ELNS1_3repE0EEENS1_30default_config_static_selectorELNS0_4arch9wavefront6targetE1EEEvT1_, .Lfunc_end153-_ZN7rocprim17ROCPRIM_400000_NS6detail17trampoline_kernelINS0_14default_configENS1_25partition_config_selectorILNS1_17partition_subalgoE3EsNS0_10empty_typeEbEEZZNS1_14partition_implILS5_3ELb0ES3_jN6thrust23THRUST_200600_302600_NS6detail15normal_iteratorINSA_7pointerIsNSA_11hip_rocprim3tagENSA_11use_defaultESG_EEEEPS6_SJ_NS0_5tupleIJPsSJ_EEENSK_IJSJ_SJ_EEES6_PlJ7is_evenIsEEEE10hipError_tPvRmT3_T4_T5_T6_T7_T9_mT8_P12ihipStream_tbDpT10_ENKUlT_T0_E_clISt17integral_constantIbLb1EES1A_EEDaS15_S16_EUlS15_E_NS1_11comp_targetILNS1_3genE10ELNS1_11target_archE1200ELNS1_3gpuE4ELNS1_3repE0EEENS1_30default_config_static_selectorELNS0_4arch9wavefront6targetE1EEEvT1_
                                        ; -- End function
	.section	.AMDGPU.csdata,"",@progbits
; Kernel info:
; codeLenInByte = 0
; NumSgprs: 6
; NumVgprs: 0
; NumAgprs: 0
; TotalNumVgprs: 0
; ScratchSize: 0
; MemoryBound: 0
; FloatMode: 240
; IeeeMode: 1
; LDSByteSize: 0 bytes/workgroup (compile time only)
; SGPRBlocks: 0
; VGPRBlocks: 0
; NumSGPRsForWavesPerEU: 6
; NumVGPRsForWavesPerEU: 1
; AccumOffset: 4
; Occupancy: 8
; WaveLimiterHint : 0
; COMPUTE_PGM_RSRC2:SCRATCH_EN: 0
; COMPUTE_PGM_RSRC2:USER_SGPR: 2
; COMPUTE_PGM_RSRC2:TRAP_HANDLER: 0
; COMPUTE_PGM_RSRC2:TGID_X_EN: 1
; COMPUTE_PGM_RSRC2:TGID_Y_EN: 0
; COMPUTE_PGM_RSRC2:TGID_Z_EN: 0
; COMPUTE_PGM_RSRC2:TIDIG_COMP_CNT: 0
; COMPUTE_PGM_RSRC3_GFX90A:ACCUM_OFFSET: 0
; COMPUTE_PGM_RSRC3_GFX90A:TG_SPLIT: 0
	.section	.text._ZN7rocprim17ROCPRIM_400000_NS6detail17trampoline_kernelINS0_14default_configENS1_25partition_config_selectorILNS1_17partition_subalgoE3EsNS0_10empty_typeEbEEZZNS1_14partition_implILS5_3ELb0ES3_jN6thrust23THRUST_200600_302600_NS6detail15normal_iteratorINSA_7pointerIsNSA_11hip_rocprim3tagENSA_11use_defaultESG_EEEEPS6_SJ_NS0_5tupleIJPsSJ_EEENSK_IJSJ_SJ_EEES6_PlJ7is_evenIsEEEE10hipError_tPvRmT3_T4_T5_T6_T7_T9_mT8_P12ihipStream_tbDpT10_ENKUlT_T0_E_clISt17integral_constantIbLb1EES1A_EEDaS15_S16_EUlS15_E_NS1_11comp_targetILNS1_3genE9ELNS1_11target_archE1100ELNS1_3gpuE3ELNS1_3repE0EEENS1_30default_config_static_selectorELNS0_4arch9wavefront6targetE1EEEvT1_,"axG",@progbits,_ZN7rocprim17ROCPRIM_400000_NS6detail17trampoline_kernelINS0_14default_configENS1_25partition_config_selectorILNS1_17partition_subalgoE3EsNS0_10empty_typeEbEEZZNS1_14partition_implILS5_3ELb0ES3_jN6thrust23THRUST_200600_302600_NS6detail15normal_iteratorINSA_7pointerIsNSA_11hip_rocprim3tagENSA_11use_defaultESG_EEEEPS6_SJ_NS0_5tupleIJPsSJ_EEENSK_IJSJ_SJ_EEES6_PlJ7is_evenIsEEEE10hipError_tPvRmT3_T4_T5_T6_T7_T9_mT8_P12ihipStream_tbDpT10_ENKUlT_T0_E_clISt17integral_constantIbLb1EES1A_EEDaS15_S16_EUlS15_E_NS1_11comp_targetILNS1_3genE9ELNS1_11target_archE1100ELNS1_3gpuE3ELNS1_3repE0EEENS1_30default_config_static_selectorELNS0_4arch9wavefront6targetE1EEEvT1_,comdat
	.protected	_ZN7rocprim17ROCPRIM_400000_NS6detail17trampoline_kernelINS0_14default_configENS1_25partition_config_selectorILNS1_17partition_subalgoE3EsNS0_10empty_typeEbEEZZNS1_14partition_implILS5_3ELb0ES3_jN6thrust23THRUST_200600_302600_NS6detail15normal_iteratorINSA_7pointerIsNSA_11hip_rocprim3tagENSA_11use_defaultESG_EEEEPS6_SJ_NS0_5tupleIJPsSJ_EEENSK_IJSJ_SJ_EEES6_PlJ7is_evenIsEEEE10hipError_tPvRmT3_T4_T5_T6_T7_T9_mT8_P12ihipStream_tbDpT10_ENKUlT_T0_E_clISt17integral_constantIbLb1EES1A_EEDaS15_S16_EUlS15_E_NS1_11comp_targetILNS1_3genE9ELNS1_11target_archE1100ELNS1_3gpuE3ELNS1_3repE0EEENS1_30default_config_static_selectorELNS0_4arch9wavefront6targetE1EEEvT1_ ; -- Begin function _ZN7rocprim17ROCPRIM_400000_NS6detail17trampoline_kernelINS0_14default_configENS1_25partition_config_selectorILNS1_17partition_subalgoE3EsNS0_10empty_typeEbEEZZNS1_14partition_implILS5_3ELb0ES3_jN6thrust23THRUST_200600_302600_NS6detail15normal_iteratorINSA_7pointerIsNSA_11hip_rocprim3tagENSA_11use_defaultESG_EEEEPS6_SJ_NS0_5tupleIJPsSJ_EEENSK_IJSJ_SJ_EEES6_PlJ7is_evenIsEEEE10hipError_tPvRmT3_T4_T5_T6_T7_T9_mT8_P12ihipStream_tbDpT10_ENKUlT_T0_E_clISt17integral_constantIbLb1EES1A_EEDaS15_S16_EUlS15_E_NS1_11comp_targetILNS1_3genE9ELNS1_11target_archE1100ELNS1_3gpuE3ELNS1_3repE0EEENS1_30default_config_static_selectorELNS0_4arch9wavefront6targetE1EEEvT1_
	.globl	_ZN7rocprim17ROCPRIM_400000_NS6detail17trampoline_kernelINS0_14default_configENS1_25partition_config_selectorILNS1_17partition_subalgoE3EsNS0_10empty_typeEbEEZZNS1_14partition_implILS5_3ELb0ES3_jN6thrust23THRUST_200600_302600_NS6detail15normal_iteratorINSA_7pointerIsNSA_11hip_rocprim3tagENSA_11use_defaultESG_EEEEPS6_SJ_NS0_5tupleIJPsSJ_EEENSK_IJSJ_SJ_EEES6_PlJ7is_evenIsEEEE10hipError_tPvRmT3_T4_T5_T6_T7_T9_mT8_P12ihipStream_tbDpT10_ENKUlT_T0_E_clISt17integral_constantIbLb1EES1A_EEDaS15_S16_EUlS15_E_NS1_11comp_targetILNS1_3genE9ELNS1_11target_archE1100ELNS1_3gpuE3ELNS1_3repE0EEENS1_30default_config_static_selectorELNS0_4arch9wavefront6targetE1EEEvT1_
	.p2align	8
	.type	_ZN7rocprim17ROCPRIM_400000_NS6detail17trampoline_kernelINS0_14default_configENS1_25partition_config_selectorILNS1_17partition_subalgoE3EsNS0_10empty_typeEbEEZZNS1_14partition_implILS5_3ELb0ES3_jN6thrust23THRUST_200600_302600_NS6detail15normal_iteratorINSA_7pointerIsNSA_11hip_rocprim3tagENSA_11use_defaultESG_EEEEPS6_SJ_NS0_5tupleIJPsSJ_EEENSK_IJSJ_SJ_EEES6_PlJ7is_evenIsEEEE10hipError_tPvRmT3_T4_T5_T6_T7_T9_mT8_P12ihipStream_tbDpT10_ENKUlT_T0_E_clISt17integral_constantIbLb1EES1A_EEDaS15_S16_EUlS15_E_NS1_11comp_targetILNS1_3genE9ELNS1_11target_archE1100ELNS1_3gpuE3ELNS1_3repE0EEENS1_30default_config_static_selectorELNS0_4arch9wavefront6targetE1EEEvT1_,@function
_ZN7rocprim17ROCPRIM_400000_NS6detail17trampoline_kernelINS0_14default_configENS1_25partition_config_selectorILNS1_17partition_subalgoE3EsNS0_10empty_typeEbEEZZNS1_14partition_implILS5_3ELb0ES3_jN6thrust23THRUST_200600_302600_NS6detail15normal_iteratorINSA_7pointerIsNSA_11hip_rocprim3tagENSA_11use_defaultESG_EEEEPS6_SJ_NS0_5tupleIJPsSJ_EEENSK_IJSJ_SJ_EEES6_PlJ7is_evenIsEEEE10hipError_tPvRmT3_T4_T5_T6_T7_T9_mT8_P12ihipStream_tbDpT10_ENKUlT_T0_E_clISt17integral_constantIbLb1EES1A_EEDaS15_S16_EUlS15_E_NS1_11comp_targetILNS1_3genE9ELNS1_11target_archE1100ELNS1_3gpuE3ELNS1_3repE0EEENS1_30default_config_static_selectorELNS0_4arch9wavefront6targetE1EEEvT1_: ; @_ZN7rocprim17ROCPRIM_400000_NS6detail17trampoline_kernelINS0_14default_configENS1_25partition_config_selectorILNS1_17partition_subalgoE3EsNS0_10empty_typeEbEEZZNS1_14partition_implILS5_3ELb0ES3_jN6thrust23THRUST_200600_302600_NS6detail15normal_iteratorINSA_7pointerIsNSA_11hip_rocprim3tagENSA_11use_defaultESG_EEEEPS6_SJ_NS0_5tupleIJPsSJ_EEENSK_IJSJ_SJ_EEES6_PlJ7is_evenIsEEEE10hipError_tPvRmT3_T4_T5_T6_T7_T9_mT8_P12ihipStream_tbDpT10_ENKUlT_T0_E_clISt17integral_constantIbLb1EES1A_EEDaS15_S16_EUlS15_E_NS1_11comp_targetILNS1_3genE9ELNS1_11target_archE1100ELNS1_3gpuE3ELNS1_3repE0EEENS1_30default_config_static_selectorELNS0_4arch9wavefront6targetE1EEEvT1_
; %bb.0:
	.section	.rodata,"a",@progbits
	.p2align	6, 0x0
	.amdhsa_kernel _ZN7rocprim17ROCPRIM_400000_NS6detail17trampoline_kernelINS0_14default_configENS1_25partition_config_selectorILNS1_17partition_subalgoE3EsNS0_10empty_typeEbEEZZNS1_14partition_implILS5_3ELb0ES3_jN6thrust23THRUST_200600_302600_NS6detail15normal_iteratorINSA_7pointerIsNSA_11hip_rocprim3tagENSA_11use_defaultESG_EEEEPS6_SJ_NS0_5tupleIJPsSJ_EEENSK_IJSJ_SJ_EEES6_PlJ7is_evenIsEEEE10hipError_tPvRmT3_T4_T5_T6_T7_T9_mT8_P12ihipStream_tbDpT10_ENKUlT_T0_E_clISt17integral_constantIbLb1EES1A_EEDaS15_S16_EUlS15_E_NS1_11comp_targetILNS1_3genE9ELNS1_11target_archE1100ELNS1_3gpuE3ELNS1_3repE0EEENS1_30default_config_static_selectorELNS0_4arch9wavefront6targetE1EEEvT1_
		.amdhsa_group_segment_fixed_size 0
		.amdhsa_private_segment_fixed_size 0
		.amdhsa_kernarg_size 136
		.amdhsa_user_sgpr_count 2
		.amdhsa_user_sgpr_dispatch_ptr 0
		.amdhsa_user_sgpr_queue_ptr 0
		.amdhsa_user_sgpr_kernarg_segment_ptr 1
		.amdhsa_user_sgpr_dispatch_id 0
		.amdhsa_user_sgpr_kernarg_preload_length 0
		.amdhsa_user_sgpr_kernarg_preload_offset 0
		.amdhsa_user_sgpr_private_segment_size 0
		.amdhsa_uses_dynamic_stack 0
		.amdhsa_enable_private_segment 0
		.amdhsa_system_sgpr_workgroup_id_x 1
		.amdhsa_system_sgpr_workgroup_id_y 0
		.amdhsa_system_sgpr_workgroup_id_z 0
		.amdhsa_system_sgpr_workgroup_info 0
		.amdhsa_system_vgpr_workitem_id 0
		.amdhsa_next_free_vgpr 1
		.amdhsa_next_free_sgpr 0
		.amdhsa_accum_offset 4
		.amdhsa_reserve_vcc 0
		.amdhsa_float_round_mode_32 0
		.amdhsa_float_round_mode_16_64 0
		.amdhsa_float_denorm_mode_32 3
		.amdhsa_float_denorm_mode_16_64 3
		.amdhsa_dx10_clamp 1
		.amdhsa_ieee_mode 1
		.amdhsa_fp16_overflow 0
		.amdhsa_tg_split 0
		.amdhsa_exception_fp_ieee_invalid_op 0
		.amdhsa_exception_fp_denorm_src 0
		.amdhsa_exception_fp_ieee_div_zero 0
		.amdhsa_exception_fp_ieee_overflow 0
		.amdhsa_exception_fp_ieee_underflow 0
		.amdhsa_exception_fp_ieee_inexact 0
		.amdhsa_exception_int_div_zero 0
	.end_amdhsa_kernel
	.section	.text._ZN7rocprim17ROCPRIM_400000_NS6detail17trampoline_kernelINS0_14default_configENS1_25partition_config_selectorILNS1_17partition_subalgoE3EsNS0_10empty_typeEbEEZZNS1_14partition_implILS5_3ELb0ES3_jN6thrust23THRUST_200600_302600_NS6detail15normal_iteratorINSA_7pointerIsNSA_11hip_rocprim3tagENSA_11use_defaultESG_EEEEPS6_SJ_NS0_5tupleIJPsSJ_EEENSK_IJSJ_SJ_EEES6_PlJ7is_evenIsEEEE10hipError_tPvRmT3_T4_T5_T6_T7_T9_mT8_P12ihipStream_tbDpT10_ENKUlT_T0_E_clISt17integral_constantIbLb1EES1A_EEDaS15_S16_EUlS15_E_NS1_11comp_targetILNS1_3genE9ELNS1_11target_archE1100ELNS1_3gpuE3ELNS1_3repE0EEENS1_30default_config_static_selectorELNS0_4arch9wavefront6targetE1EEEvT1_,"axG",@progbits,_ZN7rocprim17ROCPRIM_400000_NS6detail17trampoline_kernelINS0_14default_configENS1_25partition_config_selectorILNS1_17partition_subalgoE3EsNS0_10empty_typeEbEEZZNS1_14partition_implILS5_3ELb0ES3_jN6thrust23THRUST_200600_302600_NS6detail15normal_iteratorINSA_7pointerIsNSA_11hip_rocprim3tagENSA_11use_defaultESG_EEEEPS6_SJ_NS0_5tupleIJPsSJ_EEENSK_IJSJ_SJ_EEES6_PlJ7is_evenIsEEEE10hipError_tPvRmT3_T4_T5_T6_T7_T9_mT8_P12ihipStream_tbDpT10_ENKUlT_T0_E_clISt17integral_constantIbLb1EES1A_EEDaS15_S16_EUlS15_E_NS1_11comp_targetILNS1_3genE9ELNS1_11target_archE1100ELNS1_3gpuE3ELNS1_3repE0EEENS1_30default_config_static_selectorELNS0_4arch9wavefront6targetE1EEEvT1_,comdat
.Lfunc_end154:
	.size	_ZN7rocprim17ROCPRIM_400000_NS6detail17trampoline_kernelINS0_14default_configENS1_25partition_config_selectorILNS1_17partition_subalgoE3EsNS0_10empty_typeEbEEZZNS1_14partition_implILS5_3ELb0ES3_jN6thrust23THRUST_200600_302600_NS6detail15normal_iteratorINSA_7pointerIsNSA_11hip_rocprim3tagENSA_11use_defaultESG_EEEEPS6_SJ_NS0_5tupleIJPsSJ_EEENSK_IJSJ_SJ_EEES6_PlJ7is_evenIsEEEE10hipError_tPvRmT3_T4_T5_T6_T7_T9_mT8_P12ihipStream_tbDpT10_ENKUlT_T0_E_clISt17integral_constantIbLb1EES1A_EEDaS15_S16_EUlS15_E_NS1_11comp_targetILNS1_3genE9ELNS1_11target_archE1100ELNS1_3gpuE3ELNS1_3repE0EEENS1_30default_config_static_selectorELNS0_4arch9wavefront6targetE1EEEvT1_, .Lfunc_end154-_ZN7rocprim17ROCPRIM_400000_NS6detail17trampoline_kernelINS0_14default_configENS1_25partition_config_selectorILNS1_17partition_subalgoE3EsNS0_10empty_typeEbEEZZNS1_14partition_implILS5_3ELb0ES3_jN6thrust23THRUST_200600_302600_NS6detail15normal_iteratorINSA_7pointerIsNSA_11hip_rocprim3tagENSA_11use_defaultESG_EEEEPS6_SJ_NS0_5tupleIJPsSJ_EEENSK_IJSJ_SJ_EEES6_PlJ7is_evenIsEEEE10hipError_tPvRmT3_T4_T5_T6_T7_T9_mT8_P12ihipStream_tbDpT10_ENKUlT_T0_E_clISt17integral_constantIbLb1EES1A_EEDaS15_S16_EUlS15_E_NS1_11comp_targetILNS1_3genE9ELNS1_11target_archE1100ELNS1_3gpuE3ELNS1_3repE0EEENS1_30default_config_static_selectorELNS0_4arch9wavefront6targetE1EEEvT1_
                                        ; -- End function
	.section	.AMDGPU.csdata,"",@progbits
; Kernel info:
; codeLenInByte = 0
; NumSgprs: 6
; NumVgprs: 0
; NumAgprs: 0
; TotalNumVgprs: 0
; ScratchSize: 0
; MemoryBound: 0
; FloatMode: 240
; IeeeMode: 1
; LDSByteSize: 0 bytes/workgroup (compile time only)
; SGPRBlocks: 0
; VGPRBlocks: 0
; NumSGPRsForWavesPerEU: 6
; NumVGPRsForWavesPerEU: 1
; AccumOffset: 4
; Occupancy: 8
; WaveLimiterHint : 0
; COMPUTE_PGM_RSRC2:SCRATCH_EN: 0
; COMPUTE_PGM_RSRC2:USER_SGPR: 2
; COMPUTE_PGM_RSRC2:TRAP_HANDLER: 0
; COMPUTE_PGM_RSRC2:TGID_X_EN: 1
; COMPUTE_PGM_RSRC2:TGID_Y_EN: 0
; COMPUTE_PGM_RSRC2:TGID_Z_EN: 0
; COMPUTE_PGM_RSRC2:TIDIG_COMP_CNT: 0
; COMPUTE_PGM_RSRC3_GFX90A:ACCUM_OFFSET: 0
; COMPUTE_PGM_RSRC3_GFX90A:TG_SPLIT: 0
	.section	.text._ZN7rocprim17ROCPRIM_400000_NS6detail17trampoline_kernelINS0_14default_configENS1_25partition_config_selectorILNS1_17partition_subalgoE3EsNS0_10empty_typeEbEEZZNS1_14partition_implILS5_3ELb0ES3_jN6thrust23THRUST_200600_302600_NS6detail15normal_iteratorINSA_7pointerIsNSA_11hip_rocprim3tagENSA_11use_defaultESG_EEEEPS6_SJ_NS0_5tupleIJPsSJ_EEENSK_IJSJ_SJ_EEES6_PlJ7is_evenIsEEEE10hipError_tPvRmT3_T4_T5_T6_T7_T9_mT8_P12ihipStream_tbDpT10_ENKUlT_T0_E_clISt17integral_constantIbLb1EES1A_EEDaS15_S16_EUlS15_E_NS1_11comp_targetILNS1_3genE8ELNS1_11target_archE1030ELNS1_3gpuE2ELNS1_3repE0EEENS1_30default_config_static_selectorELNS0_4arch9wavefront6targetE1EEEvT1_,"axG",@progbits,_ZN7rocprim17ROCPRIM_400000_NS6detail17trampoline_kernelINS0_14default_configENS1_25partition_config_selectorILNS1_17partition_subalgoE3EsNS0_10empty_typeEbEEZZNS1_14partition_implILS5_3ELb0ES3_jN6thrust23THRUST_200600_302600_NS6detail15normal_iteratorINSA_7pointerIsNSA_11hip_rocprim3tagENSA_11use_defaultESG_EEEEPS6_SJ_NS0_5tupleIJPsSJ_EEENSK_IJSJ_SJ_EEES6_PlJ7is_evenIsEEEE10hipError_tPvRmT3_T4_T5_T6_T7_T9_mT8_P12ihipStream_tbDpT10_ENKUlT_T0_E_clISt17integral_constantIbLb1EES1A_EEDaS15_S16_EUlS15_E_NS1_11comp_targetILNS1_3genE8ELNS1_11target_archE1030ELNS1_3gpuE2ELNS1_3repE0EEENS1_30default_config_static_selectorELNS0_4arch9wavefront6targetE1EEEvT1_,comdat
	.protected	_ZN7rocprim17ROCPRIM_400000_NS6detail17trampoline_kernelINS0_14default_configENS1_25partition_config_selectorILNS1_17partition_subalgoE3EsNS0_10empty_typeEbEEZZNS1_14partition_implILS5_3ELb0ES3_jN6thrust23THRUST_200600_302600_NS6detail15normal_iteratorINSA_7pointerIsNSA_11hip_rocprim3tagENSA_11use_defaultESG_EEEEPS6_SJ_NS0_5tupleIJPsSJ_EEENSK_IJSJ_SJ_EEES6_PlJ7is_evenIsEEEE10hipError_tPvRmT3_T4_T5_T6_T7_T9_mT8_P12ihipStream_tbDpT10_ENKUlT_T0_E_clISt17integral_constantIbLb1EES1A_EEDaS15_S16_EUlS15_E_NS1_11comp_targetILNS1_3genE8ELNS1_11target_archE1030ELNS1_3gpuE2ELNS1_3repE0EEENS1_30default_config_static_selectorELNS0_4arch9wavefront6targetE1EEEvT1_ ; -- Begin function _ZN7rocprim17ROCPRIM_400000_NS6detail17trampoline_kernelINS0_14default_configENS1_25partition_config_selectorILNS1_17partition_subalgoE3EsNS0_10empty_typeEbEEZZNS1_14partition_implILS5_3ELb0ES3_jN6thrust23THRUST_200600_302600_NS6detail15normal_iteratorINSA_7pointerIsNSA_11hip_rocprim3tagENSA_11use_defaultESG_EEEEPS6_SJ_NS0_5tupleIJPsSJ_EEENSK_IJSJ_SJ_EEES6_PlJ7is_evenIsEEEE10hipError_tPvRmT3_T4_T5_T6_T7_T9_mT8_P12ihipStream_tbDpT10_ENKUlT_T0_E_clISt17integral_constantIbLb1EES1A_EEDaS15_S16_EUlS15_E_NS1_11comp_targetILNS1_3genE8ELNS1_11target_archE1030ELNS1_3gpuE2ELNS1_3repE0EEENS1_30default_config_static_selectorELNS0_4arch9wavefront6targetE1EEEvT1_
	.globl	_ZN7rocprim17ROCPRIM_400000_NS6detail17trampoline_kernelINS0_14default_configENS1_25partition_config_selectorILNS1_17partition_subalgoE3EsNS0_10empty_typeEbEEZZNS1_14partition_implILS5_3ELb0ES3_jN6thrust23THRUST_200600_302600_NS6detail15normal_iteratorINSA_7pointerIsNSA_11hip_rocprim3tagENSA_11use_defaultESG_EEEEPS6_SJ_NS0_5tupleIJPsSJ_EEENSK_IJSJ_SJ_EEES6_PlJ7is_evenIsEEEE10hipError_tPvRmT3_T4_T5_T6_T7_T9_mT8_P12ihipStream_tbDpT10_ENKUlT_T0_E_clISt17integral_constantIbLb1EES1A_EEDaS15_S16_EUlS15_E_NS1_11comp_targetILNS1_3genE8ELNS1_11target_archE1030ELNS1_3gpuE2ELNS1_3repE0EEENS1_30default_config_static_selectorELNS0_4arch9wavefront6targetE1EEEvT1_
	.p2align	8
	.type	_ZN7rocprim17ROCPRIM_400000_NS6detail17trampoline_kernelINS0_14default_configENS1_25partition_config_selectorILNS1_17partition_subalgoE3EsNS0_10empty_typeEbEEZZNS1_14partition_implILS5_3ELb0ES3_jN6thrust23THRUST_200600_302600_NS6detail15normal_iteratorINSA_7pointerIsNSA_11hip_rocprim3tagENSA_11use_defaultESG_EEEEPS6_SJ_NS0_5tupleIJPsSJ_EEENSK_IJSJ_SJ_EEES6_PlJ7is_evenIsEEEE10hipError_tPvRmT3_T4_T5_T6_T7_T9_mT8_P12ihipStream_tbDpT10_ENKUlT_T0_E_clISt17integral_constantIbLb1EES1A_EEDaS15_S16_EUlS15_E_NS1_11comp_targetILNS1_3genE8ELNS1_11target_archE1030ELNS1_3gpuE2ELNS1_3repE0EEENS1_30default_config_static_selectorELNS0_4arch9wavefront6targetE1EEEvT1_,@function
_ZN7rocprim17ROCPRIM_400000_NS6detail17trampoline_kernelINS0_14default_configENS1_25partition_config_selectorILNS1_17partition_subalgoE3EsNS0_10empty_typeEbEEZZNS1_14partition_implILS5_3ELb0ES3_jN6thrust23THRUST_200600_302600_NS6detail15normal_iteratorINSA_7pointerIsNSA_11hip_rocprim3tagENSA_11use_defaultESG_EEEEPS6_SJ_NS0_5tupleIJPsSJ_EEENSK_IJSJ_SJ_EEES6_PlJ7is_evenIsEEEE10hipError_tPvRmT3_T4_T5_T6_T7_T9_mT8_P12ihipStream_tbDpT10_ENKUlT_T0_E_clISt17integral_constantIbLb1EES1A_EEDaS15_S16_EUlS15_E_NS1_11comp_targetILNS1_3genE8ELNS1_11target_archE1030ELNS1_3gpuE2ELNS1_3repE0EEENS1_30default_config_static_selectorELNS0_4arch9wavefront6targetE1EEEvT1_: ; @_ZN7rocprim17ROCPRIM_400000_NS6detail17trampoline_kernelINS0_14default_configENS1_25partition_config_selectorILNS1_17partition_subalgoE3EsNS0_10empty_typeEbEEZZNS1_14partition_implILS5_3ELb0ES3_jN6thrust23THRUST_200600_302600_NS6detail15normal_iteratorINSA_7pointerIsNSA_11hip_rocprim3tagENSA_11use_defaultESG_EEEEPS6_SJ_NS0_5tupleIJPsSJ_EEENSK_IJSJ_SJ_EEES6_PlJ7is_evenIsEEEE10hipError_tPvRmT3_T4_T5_T6_T7_T9_mT8_P12ihipStream_tbDpT10_ENKUlT_T0_E_clISt17integral_constantIbLb1EES1A_EEDaS15_S16_EUlS15_E_NS1_11comp_targetILNS1_3genE8ELNS1_11target_archE1030ELNS1_3gpuE2ELNS1_3repE0EEENS1_30default_config_static_selectorELNS0_4arch9wavefront6targetE1EEEvT1_
; %bb.0:
	.section	.rodata,"a",@progbits
	.p2align	6, 0x0
	.amdhsa_kernel _ZN7rocprim17ROCPRIM_400000_NS6detail17trampoline_kernelINS0_14default_configENS1_25partition_config_selectorILNS1_17partition_subalgoE3EsNS0_10empty_typeEbEEZZNS1_14partition_implILS5_3ELb0ES3_jN6thrust23THRUST_200600_302600_NS6detail15normal_iteratorINSA_7pointerIsNSA_11hip_rocprim3tagENSA_11use_defaultESG_EEEEPS6_SJ_NS0_5tupleIJPsSJ_EEENSK_IJSJ_SJ_EEES6_PlJ7is_evenIsEEEE10hipError_tPvRmT3_T4_T5_T6_T7_T9_mT8_P12ihipStream_tbDpT10_ENKUlT_T0_E_clISt17integral_constantIbLb1EES1A_EEDaS15_S16_EUlS15_E_NS1_11comp_targetILNS1_3genE8ELNS1_11target_archE1030ELNS1_3gpuE2ELNS1_3repE0EEENS1_30default_config_static_selectorELNS0_4arch9wavefront6targetE1EEEvT1_
		.amdhsa_group_segment_fixed_size 0
		.amdhsa_private_segment_fixed_size 0
		.amdhsa_kernarg_size 136
		.amdhsa_user_sgpr_count 2
		.amdhsa_user_sgpr_dispatch_ptr 0
		.amdhsa_user_sgpr_queue_ptr 0
		.amdhsa_user_sgpr_kernarg_segment_ptr 1
		.amdhsa_user_sgpr_dispatch_id 0
		.amdhsa_user_sgpr_kernarg_preload_length 0
		.amdhsa_user_sgpr_kernarg_preload_offset 0
		.amdhsa_user_sgpr_private_segment_size 0
		.amdhsa_uses_dynamic_stack 0
		.amdhsa_enable_private_segment 0
		.amdhsa_system_sgpr_workgroup_id_x 1
		.amdhsa_system_sgpr_workgroup_id_y 0
		.amdhsa_system_sgpr_workgroup_id_z 0
		.amdhsa_system_sgpr_workgroup_info 0
		.amdhsa_system_vgpr_workitem_id 0
		.amdhsa_next_free_vgpr 1
		.amdhsa_next_free_sgpr 0
		.amdhsa_accum_offset 4
		.amdhsa_reserve_vcc 0
		.amdhsa_float_round_mode_32 0
		.amdhsa_float_round_mode_16_64 0
		.amdhsa_float_denorm_mode_32 3
		.amdhsa_float_denorm_mode_16_64 3
		.amdhsa_dx10_clamp 1
		.amdhsa_ieee_mode 1
		.amdhsa_fp16_overflow 0
		.amdhsa_tg_split 0
		.amdhsa_exception_fp_ieee_invalid_op 0
		.amdhsa_exception_fp_denorm_src 0
		.amdhsa_exception_fp_ieee_div_zero 0
		.amdhsa_exception_fp_ieee_overflow 0
		.amdhsa_exception_fp_ieee_underflow 0
		.amdhsa_exception_fp_ieee_inexact 0
		.amdhsa_exception_int_div_zero 0
	.end_amdhsa_kernel
	.section	.text._ZN7rocprim17ROCPRIM_400000_NS6detail17trampoline_kernelINS0_14default_configENS1_25partition_config_selectorILNS1_17partition_subalgoE3EsNS0_10empty_typeEbEEZZNS1_14partition_implILS5_3ELb0ES3_jN6thrust23THRUST_200600_302600_NS6detail15normal_iteratorINSA_7pointerIsNSA_11hip_rocprim3tagENSA_11use_defaultESG_EEEEPS6_SJ_NS0_5tupleIJPsSJ_EEENSK_IJSJ_SJ_EEES6_PlJ7is_evenIsEEEE10hipError_tPvRmT3_T4_T5_T6_T7_T9_mT8_P12ihipStream_tbDpT10_ENKUlT_T0_E_clISt17integral_constantIbLb1EES1A_EEDaS15_S16_EUlS15_E_NS1_11comp_targetILNS1_3genE8ELNS1_11target_archE1030ELNS1_3gpuE2ELNS1_3repE0EEENS1_30default_config_static_selectorELNS0_4arch9wavefront6targetE1EEEvT1_,"axG",@progbits,_ZN7rocprim17ROCPRIM_400000_NS6detail17trampoline_kernelINS0_14default_configENS1_25partition_config_selectorILNS1_17partition_subalgoE3EsNS0_10empty_typeEbEEZZNS1_14partition_implILS5_3ELb0ES3_jN6thrust23THRUST_200600_302600_NS6detail15normal_iteratorINSA_7pointerIsNSA_11hip_rocprim3tagENSA_11use_defaultESG_EEEEPS6_SJ_NS0_5tupleIJPsSJ_EEENSK_IJSJ_SJ_EEES6_PlJ7is_evenIsEEEE10hipError_tPvRmT3_T4_T5_T6_T7_T9_mT8_P12ihipStream_tbDpT10_ENKUlT_T0_E_clISt17integral_constantIbLb1EES1A_EEDaS15_S16_EUlS15_E_NS1_11comp_targetILNS1_3genE8ELNS1_11target_archE1030ELNS1_3gpuE2ELNS1_3repE0EEENS1_30default_config_static_selectorELNS0_4arch9wavefront6targetE1EEEvT1_,comdat
.Lfunc_end155:
	.size	_ZN7rocprim17ROCPRIM_400000_NS6detail17trampoline_kernelINS0_14default_configENS1_25partition_config_selectorILNS1_17partition_subalgoE3EsNS0_10empty_typeEbEEZZNS1_14partition_implILS5_3ELb0ES3_jN6thrust23THRUST_200600_302600_NS6detail15normal_iteratorINSA_7pointerIsNSA_11hip_rocprim3tagENSA_11use_defaultESG_EEEEPS6_SJ_NS0_5tupleIJPsSJ_EEENSK_IJSJ_SJ_EEES6_PlJ7is_evenIsEEEE10hipError_tPvRmT3_T4_T5_T6_T7_T9_mT8_P12ihipStream_tbDpT10_ENKUlT_T0_E_clISt17integral_constantIbLb1EES1A_EEDaS15_S16_EUlS15_E_NS1_11comp_targetILNS1_3genE8ELNS1_11target_archE1030ELNS1_3gpuE2ELNS1_3repE0EEENS1_30default_config_static_selectorELNS0_4arch9wavefront6targetE1EEEvT1_, .Lfunc_end155-_ZN7rocprim17ROCPRIM_400000_NS6detail17trampoline_kernelINS0_14default_configENS1_25partition_config_selectorILNS1_17partition_subalgoE3EsNS0_10empty_typeEbEEZZNS1_14partition_implILS5_3ELb0ES3_jN6thrust23THRUST_200600_302600_NS6detail15normal_iteratorINSA_7pointerIsNSA_11hip_rocprim3tagENSA_11use_defaultESG_EEEEPS6_SJ_NS0_5tupleIJPsSJ_EEENSK_IJSJ_SJ_EEES6_PlJ7is_evenIsEEEE10hipError_tPvRmT3_T4_T5_T6_T7_T9_mT8_P12ihipStream_tbDpT10_ENKUlT_T0_E_clISt17integral_constantIbLb1EES1A_EEDaS15_S16_EUlS15_E_NS1_11comp_targetILNS1_3genE8ELNS1_11target_archE1030ELNS1_3gpuE2ELNS1_3repE0EEENS1_30default_config_static_selectorELNS0_4arch9wavefront6targetE1EEEvT1_
                                        ; -- End function
	.section	.AMDGPU.csdata,"",@progbits
; Kernel info:
; codeLenInByte = 0
; NumSgprs: 6
; NumVgprs: 0
; NumAgprs: 0
; TotalNumVgprs: 0
; ScratchSize: 0
; MemoryBound: 0
; FloatMode: 240
; IeeeMode: 1
; LDSByteSize: 0 bytes/workgroup (compile time only)
; SGPRBlocks: 0
; VGPRBlocks: 0
; NumSGPRsForWavesPerEU: 6
; NumVGPRsForWavesPerEU: 1
; AccumOffset: 4
; Occupancy: 8
; WaveLimiterHint : 0
; COMPUTE_PGM_RSRC2:SCRATCH_EN: 0
; COMPUTE_PGM_RSRC2:USER_SGPR: 2
; COMPUTE_PGM_RSRC2:TRAP_HANDLER: 0
; COMPUTE_PGM_RSRC2:TGID_X_EN: 1
; COMPUTE_PGM_RSRC2:TGID_Y_EN: 0
; COMPUTE_PGM_RSRC2:TGID_Z_EN: 0
; COMPUTE_PGM_RSRC2:TIDIG_COMP_CNT: 0
; COMPUTE_PGM_RSRC3_GFX90A:ACCUM_OFFSET: 0
; COMPUTE_PGM_RSRC3_GFX90A:TG_SPLIT: 0
	.section	.text._ZN7rocprim17ROCPRIM_400000_NS6detail17trampoline_kernelINS0_14default_configENS1_25partition_config_selectorILNS1_17partition_subalgoE3EsNS0_10empty_typeEbEEZZNS1_14partition_implILS5_3ELb0ES3_jN6thrust23THRUST_200600_302600_NS6detail15normal_iteratorINSA_7pointerIsNSA_11hip_rocprim3tagENSA_11use_defaultESG_EEEEPS6_SJ_NS0_5tupleIJPsSJ_EEENSK_IJSJ_SJ_EEES6_PlJ7is_evenIsEEEE10hipError_tPvRmT3_T4_T5_T6_T7_T9_mT8_P12ihipStream_tbDpT10_ENKUlT_T0_E_clISt17integral_constantIbLb1EES19_IbLb0EEEEDaS15_S16_EUlS15_E_NS1_11comp_targetILNS1_3genE0ELNS1_11target_archE4294967295ELNS1_3gpuE0ELNS1_3repE0EEENS1_30default_config_static_selectorELNS0_4arch9wavefront6targetE1EEEvT1_,"axG",@progbits,_ZN7rocprim17ROCPRIM_400000_NS6detail17trampoline_kernelINS0_14default_configENS1_25partition_config_selectorILNS1_17partition_subalgoE3EsNS0_10empty_typeEbEEZZNS1_14partition_implILS5_3ELb0ES3_jN6thrust23THRUST_200600_302600_NS6detail15normal_iteratorINSA_7pointerIsNSA_11hip_rocprim3tagENSA_11use_defaultESG_EEEEPS6_SJ_NS0_5tupleIJPsSJ_EEENSK_IJSJ_SJ_EEES6_PlJ7is_evenIsEEEE10hipError_tPvRmT3_T4_T5_T6_T7_T9_mT8_P12ihipStream_tbDpT10_ENKUlT_T0_E_clISt17integral_constantIbLb1EES19_IbLb0EEEEDaS15_S16_EUlS15_E_NS1_11comp_targetILNS1_3genE0ELNS1_11target_archE4294967295ELNS1_3gpuE0ELNS1_3repE0EEENS1_30default_config_static_selectorELNS0_4arch9wavefront6targetE1EEEvT1_,comdat
	.protected	_ZN7rocprim17ROCPRIM_400000_NS6detail17trampoline_kernelINS0_14default_configENS1_25partition_config_selectorILNS1_17partition_subalgoE3EsNS0_10empty_typeEbEEZZNS1_14partition_implILS5_3ELb0ES3_jN6thrust23THRUST_200600_302600_NS6detail15normal_iteratorINSA_7pointerIsNSA_11hip_rocprim3tagENSA_11use_defaultESG_EEEEPS6_SJ_NS0_5tupleIJPsSJ_EEENSK_IJSJ_SJ_EEES6_PlJ7is_evenIsEEEE10hipError_tPvRmT3_T4_T5_T6_T7_T9_mT8_P12ihipStream_tbDpT10_ENKUlT_T0_E_clISt17integral_constantIbLb1EES19_IbLb0EEEEDaS15_S16_EUlS15_E_NS1_11comp_targetILNS1_3genE0ELNS1_11target_archE4294967295ELNS1_3gpuE0ELNS1_3repE0EEENS1_30default_config_static_selectorELNS0_4arch9wavefront6targetE1EEEvT1_ ; -- Begin function _ZN7rocprim17ROCPRIM_400000_NS6detail17trampoline_kernelINS0_14default_configENS1_25partition_config_selectorILNS1_17partition_subalgoE3EsNS0_10empty_typeEbEEZZNS1_14partition_implILS5_3ELb0ES3_jN6thrust23THRUST_200600_302600_NS6detail15normal_iteratorINSA_7pointerIsNSA_11hip_rocprim3tagENSA_11use_defaultESG_EEEEPS6_SJ_NS0_5tupleIJPsSJ_EEENSK_IJSJ_SJ_EEES6_PlJ7is_evenIsEEEE10hipError_tPvRmT3_T4_T5_T6_T7_T9_mT8_P12ihipStream_tbDpT10_ENKUlT_T0_E_clISt17integral_constantIbLb1EES19_IbLb0EEEEDaS15_S16_EUlS15_E_NS1_11comp_targetILNS1_3genE0ELNS1_11target_archE4294967295ELNS1_3gpuE0ELNS1_3repE0EEENS1_30default_config_static_selectorELNS0_4arch9wavefront6targetE1EEEvT1_
	.globl	_ZN7rocprim17ROCPRIM_400000_NS6detail17trampoline_kernelINS0_14default_configENS1_25partition_config_selectorILNS1_17partition_subalgoE3EsNS0_10empty_typeEbEEZZNS1_14partition_implILS5_3ELb0ES3_jN6thrust23THRUST_200600_302600_NS6detail15normal_iteratorINSA_7pointerIsNSA_11hip_rocprim3tagENSA_11use_defaultESG_EEEEPS6_SJ_NS0_5tupleIJPsSJ_EEENSK_IJSJ_SJ_EEES6_PlJ7is_evenIsEEEE10hipError_tPvRmT3_T4_T5_T6_T7_T9_mT8_P12ihipStream_tbDpT10_ENKUlT_T0_E_clISt17integral_constantIbLb1EES19_IbLb0EEEEDaS15_S16_EUlS15_E_NS1_11comp_targetILNS1_3genE0ELNS1_11target_archE4294967295ELNS1_3gpuE0ELNS1_3repE0EEENS1_30default_config_static_selectorELNS0_4arch9wavefront6targetE1EEEvT1_
	.p2align	8
	.type	_ZN7rocprim17ROCPRIM_400000_NS6detail17trampoline_kernelINS0_14default_configENS1_25partition_config_selectorILNS1_17partition_subalgoE3EsNS0_10empty_typeEbEEZZNS1_14partition_implILS5_3ELb0ES3_jN6thrust23THRUST_200600_302600_NS6detail15normal_iteratorINSA_7pointerIsNSA_11hip_rocprim3tagENSA_11use_defaultESG_EEEEPS6_SJ_NS0_5tupleIJPsSJ_EEENSK_IJSJ_SJ_EEES6_PlJ7is_evenIsEEEE10hipError_tPvRmT3_T4_T5_T6_T7_T9_mT8_P12ihipStream_tbDpT10_ENKUlT_T0_E_clISt17integral_constantIbLb1EES19_IbLb0EEEEDaS15_S16_EUlS15_E_NS1_11comp_targetILNS1_3genE0ELNS1_11target_archE4294967295ELNS1_3gpuE0ELNS1_3repE0EEENS1_30default_config_static_selectorELNS0_4arch9wavefront6targetE1EEEvT1_,@function
_ZN7rocprim17ROCPRIM_400000_NS6detail17trampoline_kernelINS0_14default_configENS1_25partition_config_selectorILNS1_17partition_subalgoE3EsNS0_10empty_typeEbEEZZNS1_14partition_implILS5_3ELb0ES3_jN6thrust23THRUST_200600_302600_NS6detail15normal_iteratorINSA_7pointerIsNSA_11hip_rocprim3tagENSA_11use_defaultESG_EEEEPS6_SJ_NS0_5tupleIJPsSJ_EEENSK_IJSJ_SJ_EEES6_PlJ7is_evenIsEEEE10hipError_tPvRmT3_T4_T5_T6_T7_T9_mT8_P12ihipStream_tbDpT10_ENKUlT_T0_E_clISt17integral_constantIbLb1EES19_IbLb0EEEEDaS15_S16_EUlS15_E_NS1_11comp_targetILNS1_3genE0ELNS1_11target_archE4294967295ELNS1_3gpuE0ELNS1_3repE0EEENS1_30default_config_static_selectorELNS0_4arch9wavefront6targetE1EEEvT1_: ; @_ZN7rocprim17ROCPRIM_400000_NS6detail17trampoline_kernelINS0_14default_configENS1_25partition_config_selectorILNS1_17partition_subalgoE3EsNS0_10empty_typeEbEEZZNS1_14partition_implILS5_3ELb0ES3_jN6thrust23THRUST_200600_302600_NS6detail15normal_iteratorINSA_7pointerIsNSA_11hip_rocprim3tagENSA_11use_defaultESG_EEEEPS6_SJ_NS0_5tupleIJPsSJ_EEENSK_IJSJ_SJ_EEES6_PlJ7is_evenIsEEEE10hipError_tPvRmT3_T4_T5_T6_T7_T9_mT8_P12ihipStream_tbDpT10_ENKUlT_T0_E_clISt17integral_constantIbLb1EES19_IbLb0EEEEDaS15_S16_EUlS15_E_NS1_11comp_targetILNS1_3genE0ELNS1_11target_archE4294967295ELNS1_3gpuE0ELNS1_3repE0EEENS1_30default_config_static_selectorELNS0_4arch9wavefront6targetE1EEEvT1_
; %bb.0:
	.section	.rodata,"a",@progbits
	.p2align	6, 0x0
	.amdhsa_kernel _ZN7rocprim17ROCPRIM_400000_NS6detail17trampoline_kernelINS0_14default_configENS1_25partition_config_selectorILNS1_17partition_subalgoE3EsNS0_10empty_typeEbEEZZNS1_14partition_implILS5_3ELb0ES3_jN6thrust23THRUST_200600_302600_NS6detail15normal_iteratorINSA_7pointerIsNSA_11hip_rocprim3tagENSA_11use_defaultESG_EEEEPS6_SJ_NS0_5tupleIJPsSJ_EEENSK_IJSJ_SJ_EEES6_PlJ7is_evenIsEEEE10hipError_tPvRmT3_T4_T5_T6_T7_T9_mT8_P12ihipStream_tbDpT10_ENKUlT_T0_E_clISt17integral_constantIbLb1EES19_IbLb0EEEEDaS15_S16_EUlS15_E_NS1_11comp_targetILNS1_3genE0ELNS1_11target_archE4294967295ELNS1_3gpuE0ELNS1_3repE0EEENS1_30default_config_static_selectorELNS0_4arch9wavefront6targetE1EEEvT1_
		.amdhsa_group_segment_fixed_size 0
		.amdhsa_private_segment_fixed_size 0
		.amdhsa_kernarg_size 120
		.amdhsa_user_sgpr_count 2
		.amdhsa_user_sgpr_dispatch_ptr 0
		.amdhsa_user_sgpr_queue_ptr 0
		.amdhsa_user_sgpr_kernarg_segment_ptr 1
		.amdhsa_user_sgpr_dispatch_id 0
		.amdhsa_user_sgpr_kernarg_preload_length 0
		.amdhsa_user_sgpr_kernarg_preload_offset 0
		.amdhsa_user_sgpr_private_segment_size 0
		.amdhsa_uses_dynamic_stack 0
		.amdhsa_enable_private_segment 0
		.amdhsa_system_sgpr_workgroup_id_x 1
		.amdhsa_system_sgpr_workgroup_id_y 0
		.amdhsa_system_sgpr_workgroup_id_z 0
		.amdhsa_system_sgpr_workgroup_info 0
		.amdhsa_system_vgpr_workitem_id 0
		.amdhsa_next_free_vgpr 1
		.amdhsa_next_free_sgpr 0
		.amdhsa_accum_offset 4
		.amdhsa_reserve_vcc 0
		.amdhsa_float_round_mode_32 0
		.amdhsa_float_round_mode_16_64 0
		.amdhsa_float_denorm_mode_32 3
		.amdhsa_float_denorm_mode_16_64 3
		.amdhsa_dx10_clamp 1
		.amdhsa_ieee_mode 1
		.amdhsa_fp16_overflow 0
		.amdhsa_tg_split 0
		.amdhsa_exception_fp_ieee_invalid_op 0
		.amdhsa_exception_fp_denorm_src 0
		.amdhsa_exception_fp_ieee_div_zero 0
		.amdhsa_exception_fp_ieee_overflow 0
		.amdhsa_exception_fp_ieee_underflow 0
		.amdhsa_exception_fp_ieee_inexact 0
		.amdhsa_exception_int_div_zero 0
	.end_amdhsa_kernel
	.section	.text._ZN7rocprim17ROCPRIM_400000_NS6detail17trampoline_kernelINS0_14default_configENS1_25partition_config_selectorILNS1_17partition_subalgoE3EsNS0_10empty_typeEbEEZZNS1_14partition_implILS5_3ELb0ES3_jN6thrust23THRUST_200600_302600_NS6detail15normal_iteratorINSA_7pointerIsNSA_11hip_rocprim3tagENSA_11use_defaultESG_EEEEPS6_SJ_NS0_5tupleIJPsSJ_EEENSK_IJSJ_SJ_EEES6_PlJ7is_evenIsEEEE10hipError_tPvRmT3_T4_T5_T6_T7_T9_mT8_P12ihipStream_tbDpT10_ENKUlT_T0_E_clISt17integral_constantIbLb1EES19_IbLb0EEEEDaS15_S16_EUlS15_E_NS1_11comp_targetILNS1_3genE0ELNS1_11target_archE4294967295ELNS1_3gpuE0ELNS1_3repE0EEENS1_30default_config_static_selectorELNS0_4arch9wavefront6targetE1EEEvT1_,"axG",@progbits,_ZN7rocprim17ROCPRIM_400000_NS6detail17trampoline_kernelINS0_14default_configENS1_25partition_config_selectorILNS1_17partition_subalgoE3EsNS0_10empty_typeEbEEZZNS1_14partition_implILS5_3ELb0ES3_jN6thrust23THRUST_200600_302600_NS6detail15normal_iteratorINSA_7pointerIsNSA_11hip_rocprim3tagENSA_11use_defaultESG_EEEEPS6_SJ_NS0_5tupleIJPsSJ_EEENSK_IJSJ_SJ_EEES6_PlJ7is_evenIsEEEE10hipError_tPvRmT3_T4_T5_T6_T7_T9_mT8_P12ihipStream_tbDpT10_ENKUlT_T0_E_clISt17integral_constantIbLb1EES19_IbLb0EEEEDaS15_S16_EUlS15_E_NS1_11comp_targetILNS1_3genE0ELNS1_11target_archE4294967295ELNS1_3gpuE0ELNS1_3repE0EEENS1_30default_config_static_selectorELNS0_4arch9wavefront6targetE1EEEvT1_,comdat
.Lfunc_end156:
	.size	_ZN7rocprim17ROCPRIM_400000_NS6detail17trampoline_kernelINS0_14default_configENS1_25partition_config_selectorILNS1_17partition_subalgoE3EsNS0_10empty_typeEbEEZZNS1_14partition_implILS5_3ELb0ES3_jN6thrust23THRUST_200600_302600_NS6detail15normal_iteratorINSA_7pointerIsNSA_11hip_rocprim3tagENSA_11use_defaultESG_EEEEPS6_SJ_NS0_5tupleIJPsSJ_EEENSK_IJSJ_SJ_EEES6_PlJ7is_evenIsEEEE10hipError_tPvRmT3_T4_T5_T6_T7_T9_mT8_P12ihipStream_tbDpT10_ENKUlT_T0_E_clISt17integral_constantIbLb1EES19_IbLb0EEEEDaS15_S16_EUlS15_E_NS1_11comp_targetILNS1_3genE0ELNS1_11target_archE4294967295ELNS1_3gpuE0ELNS1_3repE0EEENS1_30default_config_static_selectorELNS0_4arch9wavefront6targetE1EEEvT1_, .Lfunc_end156-_ZN7rocprim17ROCPRIM_400000_NS6detail17trampoline_kernelINS0_14default_configENS1_25partition_config_selectorILNS1_17partition_subalgoE3EsNS0_10empty_typeEbEEZZNS1_14partition_implILS5_3ELb0ES3_jN6thrust23THRUST_200600_302600_NS6detail15normal_iteratorINSA_7pointerIsNSA_11hip_rocprim3tagENSA_11use_defaultESG_EEEEPS6_SJ_NS0_5tupleIJPsSJ_EEENSK_IJSJ_SJ_EEES6_PlJ7is_evenIsEEEE10hipError_tPvRmT3_T4_T5_T6_T7_T9_mT8_P12ihipStream_tbDpT10_ENKUlT_T0_E_clISt17integral_constantIbLb1EES19_IbLb0EEEEDaS15_S16_EUlS15_E_NS1_11comp_targetILNS1_3genE0ELNS1_11target_archE4294967295ELNS1_3gpuE0ELNS1_3repE0EEENS1_30default_config_static_selectorELNS0_4arch9wavefront6targetE1EEEvT1_
                                        ; -- End function
	.section	.AMDGPU.csdata,"",@progbits
; Kernel info:
; codeLenInByte = 0
; NumSgprs: 6
; NumVgprs: 0
; NumAgprs: 0
; TotalNumVgprs: 0
; ScratchSize: 0
; MemoryBound: 0
; FloatMode: 240
; IeeeMode: 1
; LDSByteSize: 0 bytes/workgroup (compile time only)
; SGPRBlocks: 0
; VGPRBlocks: 0
; NumSGPRsForWavesPerEU: 6
; NumVGPRsForWavesPerEU: 1
; AccumOffset: 4
; Occupancy: 8
; WaveLimiterHint : 0
; COMPUTE_PGM_RSRC2:SCRATCH_EN: 0
; COMPUTE_PGM_RSRC2:USER_SGPR: 2
; COMPUTE_PGM_RSRC2:TRAP_HANDLER: 0
; COMPUTE_PGM_RSRC2:TGID_X_EN: 1
; COMPUTE_PGM_RSRC2:TGID_Y_EN: 0
; COMPUTE_PGM_RSRC2:TGID_Z_EN: 0
; COMPUTE_PGM_RSRC2:TIDIG_COMP_CNT: 0
; COMPUTE_PGM_RSRC3_GFX90A:ACCUM_OFFSET: 0
; COMPUTE_PGM_RSRC3_GFX90A:TG_SPLIT: 0
	.section	.text._ZN7rocprim17ROCPRIM_400000_NS6detail17trampoline_kernelINS0_14default_configENS1_25partition_config_selectorILNS1_17partition_subalgoE3EsNS0_10empty_typeEbEEZZNS1_14partition_implILS5_3ELb0ES3_jN6thrust23THRUST_200600_302600_NS6detail15normal_iteratorINSA_7pointerIsNSA_11hip_rocprim3tagENSA_11use_defaultESG_EEEEPS6_SJ_NS0_5tupleIJPsSJ_EEENSK_IJSJ_SJ_EEES6_PlJ7is_evenIsEEEE10hipError_tPvRmT3_T4_T5_T6_T7_T9_mT8_P12ihipStream_tbDpT10_ENKUlT_T0_E_clISt17integral_constantIbLb1EES19_IbLb0EEEEDaS15_S16_EUlS15_E_NS1_11comp_targetILNS1_3genE5ELNS1_11target_archE942ELNS1_3gpuE9ELNS1_3repE0EEENS1_30default_config_static_selectorELNS0_4arch9wavefront6targetE1EEEvT1_,"axG",@progbits,_ZN7rocprim17ROCPRIM_400000_NS6detail17trampoline_kernelINS0_14default_configENS1_25partition_config_selectorILNS1_17partition_subalgoE3EsNS0_10empty_typeEbEEZZNS1_14partition_implILS5_3ELb0ES3_jN6thrust23THRUST_200600_302600_NS6detail15normal_iteratorINSA_7pointerIsNSA_11hip_rocprim3tagENSA_11use_defaultESG_EEEEPS6_SJ_NS0_5tupleIJPsSJ_EEENSK_IJSJ_SJ_EEES6_PlJ7is_evenIsEEEE10hipError_tPvRmT3_T4_T5_T6_T7_T9_mT8_P12ihipStream_tbDpT10_ENKUlT_T0_E_clISt17integral_constantIbLb1EES19_IbLb0EEEEDaS15_S16_EUlS15_E_NS1_11comp_targetILNS1_3genE5ELNS1_11target_archE942ELNS1_3gpuE9ELNS1_3repE0EEENS1_30default_config_static_selectorELNS0_4arch9wavefront6targetE1EEEvT1_,comdat
	.protected	_ZN7rocprim17ROCPRIM_400000_NS6detail17trampoline_kernelINS0_14default_configENS1_25partition_config_selectorILNS1_17partition_subalgoE3EsNS0_10empty_typeEbEEZZNS1_14partition_implILS5_3ELb0ES3_jN6thrust23THRUST_200600_302600_NS6detail15normal_iteratorINSA_7pointerIsNSA_11hip_rocprim3tagENSA_11use_defaultESG_EEEEPS6_SJ_NS0_5tupleIJPsSJ_EEENSK_IJSJ_SJ_EEES6_PlJ7is_evenIsEEEE10hipError_tPvRmT3_T4_T5_T6_T7_T9_mT8_P12ihipStream_tbDpT10_ENKUlT_T0_E_clISt17integral_constantIbLb1EES19_IbLb0EEEEDaS15_S16_EUlS15_E_NS1_11comp_targetILNS1_3genE5ELNS1_11target_archE942ELNS1_3gpuE9ELNS1_3repE0EEENS1_30default_config_static_selectorELNS0_4arch9wavefront6targetE1EEEvT1_ ; -- Begin function _ZN7rocprim17ROCPRIM_400000_NS6detail17trampoline_kernelINS0_14default_configENS1_25partition_config_selectorILNS1_17partition_subalgoE3EsNS0_10empty_typeEbEEZZNS1_14partition_implILS5_3ELb0ES3_jN6thrust23THRUST_200600_302600_NS6detail15normal_iteratorINSA_7pointerIsNSA_11hip_rocprim3tagENSA_11use_defaultESG_EEEEPS6_SJ_NS0_5tupleIJPsSJ_EEENSK_IJSJ_SJ_EEES6_PlJ7is_evenIsEEEE10hipError_tPvRmT3_T4_T5_T6_T7_T9_mT8_P12ihipStream_tbDpT10_ENKUlT_T0_E_clISt17integral_constantIbLb1EES19_IbLb0EEEEDaS15_S16_EUlS15_E_NS1_11comp_targetILNS1_3genE5ELNS1_11target_archE942ELNS1_3gpuE9ELNS1_3repE0EEENS1_30default_config_static_selectorELNS0_4arch9wavefront6targetE1EEEvT1_
	.globl	_ZN7rocprim17ROCPRIM_400000_NS6detail17trampoline_kernelINS0_14default_configENS1_25partition_config_selectorILNS1_17partition_subalgoE3EsNS0_10empty_typeEbEEZZNS1_14partition_implILS5_3ELb0ES3_jN6thrust23THRUST_200600_302600_NS6detail15normal_iteratorINSA_7pointerIsNSA_11hip_rocprim3tagENSA_11use_defaultESG_EEEEPS6_SJ_NS0_5tupleIJPsSJ_EEENSK_IJSJ_SJ_EEES6_PlJ7is_evenIsEEEE10hipError_tPvRmT3_T4_T5_T6_T7_T9_mT8_P12ihipStream_tbDpT10_ENKUlT_T0_E_clISt17integral_constantIbLb1EES19_IbLb0EEEEDaS15_S16_EUlS15_E_NS1_11comp_targetILNS1_3genE5ELNS1_11target_archE942ELNS1_3gpuE9ELNS1_3repE0EEENS1_30default_config_static_selectorELNS0_4arch9wavefront6targetE1EEEvT1_
	.p2align	8
	.type	_ZN7rocprim17ROCPRIM_400000_NS6detail17trampoline_kernelINS0_14default_configENS1_25partition_config_selectorILNS1_17partition_subalgoE3EsNS0_10empty_typeEbEEZZNS1_14partition_implILS5_3ELb0ES3_jN6thrust23THRUST_200600_302600_NS6detail15normal_iteratorINSA_7pointerIsNSA_11hip_rocprim3tagENSA_11use_defaultESG_EEEEPS6_SJ_NS0_5tupleIJPsSJ_EEENSK_IJSJ_SJ_EEES6_PlJ7is_evenIsEEEE10hipError_tPvRmT3_T4_T5_T6_T7_T9_mT8_P12ihipStream_tbDpT10_ENKUlT_T0_E_clISt17integral_constantIbLb1EES19_IbLb0EEEEDaS15_S16_EUlS15_E_NS1_11comp_targetILNS1_3genE5ELNS1_11target_archE942ELNS1_3gpuE9ELNS1_3repE0EEENS1_30default_config_static_selectorELNS0_4arch9wavefront6targetE1EEEvT1_,@function
_ZN7rocprim17ROCPRIM_400000_NS6detail17trampoline_kernelINS0_14default_configENS1_25partition_config_selectorILNS1_17partition_subalgoE3EsNS0_10empty_typeEbEEZZNS1_14partition_implILS5_3ELb0ES3_jN6thrust23THRUST_200600_302600_NS6detail15normal_iteratorINSA_7pointerIsNSA_11hip_rocprim3tagENSA_11use_defaultESG_EEEEPS6_SJ_NS0_5tupleIJPsSJ_EEENSK_IJSJ_SJ_EEES6_PlJ7is_evenIsEEEE10hipError_tPvRmT3_T4_T5_T6_T7_T9_mT8_P12ihipStream_tbDpT10_ENKUlT_T0_E_clISt17integral_constantIbLb1EES19_IbLb0EEEEDaS15_S16_EUlS15_E_NS1_11comp_targetILNS1_3genE5ELNS1_11target_archE942ELNS1_3gpuE9ELNS1_3repE0EEENS1_30default_config_static_selectorELNS0_4arch9wavefront6targetE1EEEvT1_: ; @_ZN7rocprim17ROCPRIM_400000_NS6detail17trampoline_kernelINS0_14default_configENS1_25partition_config_selectorILNS1_17partition_subalgoE3EsNS0_10empty_typeEbEEZZNS1_14partition_implILS5_3ELb0ES3_jN6thrust23THRUST_200600_302600_NS6detail15normal_iteratorINSA_7pointerIsNSA_11hip_rocprim3tagENSA_11use_defaultESG_EEEEPS6_SJ_NS0_5tupleIJPsSJ_EEENSK_IJSJ_SJ_EEES6_PlJ7is_evenIsEEEE10hipError_tPvRmT3_T4_T5_T6_T7_T9_mT8_P12ihipStream_tbDpT10_ENKUlT_T0_E_clISt17integral_constantIbLb1EES19_IbLb0EEEEDaS15_S16_EUlS15_E_NS1_11comp_targetILNS1_3genE5ELNS1_11target_archE942ELNS1_3gpuE9ELNS1_3repE0EEENS1_30default_config_static_selectorELNS0_4arch9wavefront6targetE1EEEvT1_
; %bb.0:
	s_load_dwordx4 s[20:23], s[0:1], 0x8
	s_load_dwordx4 s[24:27], s[0:1], 0x48
	s_load_dwordx2 s[28:29], s[0:1], 0x58
	s_load_dword s3, s[0:1], 0x70
	s_mul_i32 s30, s2, 0x3c00
	s_waitcnt lgkmcnt(0)
	s_lshl_b64 s[4:5], s[22:23], 1
	s_add_u32 s8, s20, s4
	s_addc_u32 s9, s21, s5
	s_add_i32 s6, s3, -1
	s_mulk_i32 s3, 0x3c00
	s_add_i32 s4, s3, s22
	s_sub_i32 s33, s28, s4
	s_addk_i32 s33, 0x3c00
	s_add_u32 s4, s22, s3
	s_addc_u32 s5, s23, 0
	s_cmp_eq_u32 s2, s6
	s_load_dwordx2 s[34:35], s[26:27], 0x0
	v_mov_b64_e32 v[2:3], s[28:29]
	s_cselect_b64 s[26:27], -1, 0
	s_cmp_lg_u32 s2, s6
	s_mov_b32 s31, 0
	v_cmp_lt_u64_e32 vcc, s[4:5], v[2:3]
	s_cselect_b64 s[4:5], -1, 0
	s_or_b64 s[6:7], s[4:5], vcc
	s_lshl_b64 s[4:5], s[30:31], 1
	s_add_u32 s8, s8, s4
	s_addc_u32 s9, s9, s5
	s_mov_b64 s[4:5], -1
	s_and_b64 vcc, exec, s[6:7]
	v_lshlrev_b32_e32 v4, 1, v0
	s_cbranch_vccz .LBB157_2
; %bb.1:
	v_mov_b32_e32 v5, 0
	v_lshl_add_u64 v[2:3], s[8:9], 0, v[4:5]
	v_add_co_u32_e32 v6, vcc, 0x1000, v2
	s_mov_b64 s[4:5], 0
	s_nop 0
	v_addc_co_u32_e32 v7, vcc, 0, v3, vcc
	flat_load_ushort v1, v[2:3]
	flat_load_ushort v5, v[2:3] offset:1024
	flat_load_ushort v10, v[2:3] offset:2048
	flat_load_ushort v11, v[2:3] offset:3072
	flat_load_ushort v12, v[6:7]
	flat_load_ushort v13, v[6:7] offset:1024
	flat_load_ushort v14, v[6:7] offset:2048
	flat_load_ushort v15, v[6:7] offset:3072
	v_add_co_u32_e32 v6, vcc, 0x2000, v2
	s_nop 1
	v_addc_co_u32_e32 v7, vcc, 0, v3, vcc
	v_add_co_u32_e32 v8, vcc, 0x3000, v2
	s_nop 1
	v_addc_co_u32_e32 v9, vcc, 0, v3, vcc
	flat_load_ushort v16, v[6:7]
	flat_load_ushort v17, v[6:7] offset:1024
	flat_load_ushort v18, v[6:7] offset:2048
	flat_load_ushort v19, v[6:7] offset:3072
	flat_load_ushort v20, v[8:9]
	flat_load_ushort v21, v[8:9] offset:1024
	flat_load_ushort v22, v[8:9] offset:2048
	flat_load_ushort v23, v[8:9] offset:3072
	v_add_co_u32_e32 v6, vcc, 0x4000, v2
	s_nop 1
	v_addc_co_u32_e32 v7, vcc, 0, v3, vcc
	v_add_co_u32_e32 v8, vcc, 0x5000, v2
	;; [unrolled: 14-line block ×3, first 2 shown]
	s_nop 1
	v_addc_co_u32_e32 v3, vcc, 0, v3, vcc
	flat_load_ushort v8, v[6:7]
	flat_load_ushort v9, v[6:7] offset:1024
	flat_load_ushort v32, v[6:7] offset:2048
	flat_load_ushort v33, v[6:7] offset:3072
	flat_load_ushort v34, v[2:3]
	flat_load_ushort v35, v[2:3] offset:1024
	s_waitcnt vmcnt(0) lgkmcnt(0)
	ds_write_b16 v4, v1
	ds_write_b16 v4, v5 offset:1024
	ds_write_b16 v4, v10 offset:2048
	;; [unrolled: 1-line block ×29, first 2 shown]
	s_waitcnt lgkmcnt(0)
	s_barrier
.LBB157_2:
	s_andn2_b64 vcc, exec, s[4:5]
	v_cmp_gt_u32_e64 s[4:5], s33, v0
	s_cbranch_vccnz .LBB157_64
; %bb.3:
                                        ; implicit-def: $vgpr1
	s_and_saveexec_b64 s[10:11], s[4:5]
	s_cbranch_execz .LBB157_5
; %bb.4:
	v_mov_b32_e32 v5, 0
	v_lshl_add_u64 v[2:3], s[8:9], 0, v[4:5]
	flat_load_ushort v1, v[2:3]
.LBB157_5:
	s_or_b64 exec, exec, s[10:11]
	v_or_b32_e32 v2, 0x200, v0
	v_cmp_gt_u32_e32 vcc, s33, v2
                                        ; implicit-def: $vgpr2
	s_and_saveexec_b64 s[4:5], vcc
	s_cbranch_execz .LBB157_7
; %bb.6:
	v_mov_b32_e32 v5, 0
	v_lshl_add_u64 v[2:3], s[8:9], 0, v[4:5]
	flat_load_ushort v2, v[2:3] offset:1024
.LBB157_7:
	s_or_b64 exec, exec, s[4:5]
	v_or_b32_e32 v3, 0x400, v0
	v_cmp_gt_u32_e32 vcc, s33, v3
                                        ; implicit-def: $vgpr3
	s_and_saveexec_b64 s[4:5], vcc
	s_cbranch_execz .LBB157_9
; %bb.8:
	v_mov_b32_e32 v5, 0
	v_lshl_add_u64 v[6:7], s[8:9], 0, v[4:5]
	flat_load_ushort v3, v[6:7] offset:2048
.LBB157_9:
	s_or_b64 exec, exec, s[4:5]
	v_or_b32_e32 v5, 0x600, v0
	v_cmp_gt_u32_e32 vcc, s33, v5
                                        ; implicit-def: $vgpr5
	s_and_saveexec_b64 s[4:5], vcc
	s_cbranch_execz .LBB157_11
; %bb.10:
	v_mov_b32_e32 v5, 0
	v_lshl_add_u64 v[6:7], s[8:9], 0, v[4:5]
	flat_load_ushort v5, v[6:7] offset:3072
.LBB157_11:
	s_or_b64 exec, exec, s[4:5]
	v_or_b32_e32 v7, 0x800, v0
	v_cmp_gt_u32_e32 vcc, s33, v7
                                        ; implicit-def: $vgpr6
	s_and_saveexec_b64 s[4:5], vcc
	s_cbranch_execz .LBB157_13
; %bb.12:
	v_lshlrev_b32_e32 v6, 1, v7
	v_mov_b32_e32 v7, 0
	v_lshl_add_u64 v[6:7], s[8:9], 0, v[6:7]
	flat_load_ushort v6, v[6:7]
.LBB157_13:
	s_or_b64 exec, exec, s[4:5]
	v_or_b32_e32 v8, 0xa00, v0
	v_cmp_gt_u32_e32 vcc, s33, v8
                                        ; implicit-def: $vgpr7
	s_and_saveexec_b64 s[4:5], vcc
	s_cbranch_execz .LBB157_15
; %bb.14:
	v_lshlrev_b32_e32 v8, 1, v8
	v_mov_b32_e32 v9, 0
	v_lshl_add_u64 v[8:9], s[8:9], 0, v[8:9]
	flat_load_ushort v7, v[8:9]
.LBB157_15:
	s_or_b64 exec, exec, s[4:5]
	v_or_b32_e32 v9, 0xc00, v0
	v_cmp_gt_u32_e32 vcc, s33, v9
                                        ; implicit-def: $vgpr8
	s_and_saveexec_b64 s[4:5], vcc
	s_cbranch_execz .LBB157_17
; %bb.16:
	v_lshlrev_b32_e32 v8, 1, v9
	v_mov_b32_e32 v9, 0
	v_lshl_add_u64 v[8:9], s[8:9], 0, v[8:9]
	flat_load_ushort v8, v[8:9]
.LBB157_17:
	s_or_b64 exec, exec, s[4:5]
	v_or_b32_e32 v10, 0xe00, v0
	v_cmp_gt_u32_e32 vcc, s33, v10
                                        ; implicit-def: $vgpr9
	s_and_saveexec_b64 s[4:5], vcc
	s_cbranch_execz .LBB157_19
; %bb.18:
	v_lshlrev_b32_e32 v10, 1, v10
	v_mov_b32_e32 v11, 0
	v_lshl_add_u64 v[10:11], s[8:9], 0, v[10:11]
	flat_load_ushort v9, v[10:11]
.LBB157_19:
	s_or_b64 exec, exec, s[4:5]
	v_or_b32_e32 v11, 0x1000, v0
	v_cmp_gt_u32_e32 vcc, s33, v11
                                        ; implicit-def: $vgpr10
	s_and_saveexec_b64 s[4:5], vcc
	s_cbranch_execz .LBB157_21
; %bb.20:
	v_lshlrev_b32_e32 v10, 1, v11
	v_mov_b32_e32 v11, 0
	v_lshl_add_u64 v[10:11], s[8:9], 0, v[10:11]
	flat_load_ushort v10, v[10:11]
.LBB157_21:
	s_or_b64 exec, exec, s[4:5]
	v_or_b32_e32 v12, 0x1200, v0
	v_cmp_gt_u32_e32 vcc, s33, v12
                                        ; implicit-def: $vgpr11
	s_and_saveexec_b64 s[4:5], vcc
	s_cbranch_execz .LBB157_23
; %bb.22:
	v_lshlrev_b32_e32 v12, 1, v12
	v_mov_b32_e32 v13, 0
	v_lshl_add_u64 v[12:13], s[8:9], 0, v[12:13]
	flat_load_ushort v11, v[12:13]
.LBB157_23:
	s_or_b64 exec, exec, s[4:5]
	v_or_b32_e32 v13, 0x1400, v0
	v_cmp_gt_u32_e32 vcc, s33, v13
                                        ; implicit-def: $vgpr12
	s_and_saveexec_b64 s[4:5], vcc
	s_cbranch_execz .LBB157_25
; %bb.24:
	v_lshlrev_b32_e32 v12, 1, v13
	v_mov_b32_e32 v13, 0
	v_lshl_add_u64 v[12:13], s[8:9], 0, v[12:13]
	flat_load_ushort v12, v[12:13]
.LBB157_25:
	s_or_b64 exec, exec, s[4:5]
	v_or_b32_e32 v14, 0x1600, v0
	v_cmp_gt_u32_e32 vcc, s33, v14
                                        ; implicit-def: $vgpr13
	s_and_saveexec_b64 s[4:5], vcc
	s_cbranch_execz .LBB157_27
; %bb.26:
	v_lshlrev_b32_e32 v14, 1, v14
	v_mov_b32_e32 v15, 0
	v_lshl_add_u64 v[14:15], s[8:9], 0, v[14:15]
	flat_load_ushort v13, v[14:15]
.LBB157_27:
	s_or_b64 exec, exec, s[4:5]
	v_or_b32_e32 v15, 0x1800, v0
	v_cmp_gt_u32_e32 vcc, s33, v15
                                        ; implicit-def: $vgpr14
	s_and_saveexec_b64 s[4:5], vcc
	s_cbranch_execz .LBB157_29
; %bb.28:
	v_lshlrev_b32_e32 v14, 1, v15
	v_mov_b32_e32 v15, 0
	v_lshl_add_u64 v[14:15], s[8:9], 0, v[14:15]
	flat_load_ushort v14, v[14:15]
.LBB157_29:
	s_or_b64 exec, exec, s[4:5]
	v_or_b32_e32 v16, 0x1a00, v0
	v_cmp_gt_u32_e32 vcc, s33, v16
                                        ; implicit-def: $vgpr15
	s_and_saveexec_b64 s[4:5], vcc
	s_cbranch_execz .LBB157_31
; %bb.30:
	v_lshlrev_b32_e32 v16, 1, v16
	v_mov_b32_e32 v17, 0
	v_lshl_add_u64 v[16:17], s[8:9], 0, v[16:17]
	flat_load_ushort v15, v[16:17]
.LBB157_31:
	s_or_b64 exec, exec, s[4:5]
	v_or_b32_e32 v17, 0x1c00, v0
	v_cmp_gt_u32_e32 vcc, s33, v17
                                        ; implicit-def: $vgpr16
	s_and_saveexec_b64 s[4:5], vcc
	s_cbranch_execz .LBB157_33
; %bb.32:
	v_lshlrev_b32_e32 v16, 1, v17
	v_mov_b32_e32 v17, 0
	v_lshl_add_u64 v[16:17], s[8:9], 0, v[16:17]
	flat_load_ushort v16, v[16:17]
.LBB157_33:
	s_or_b64 exec, exec, s[4:5]
	v_or_b32_e32 v18, 0x1e00, v0
	v_cmp_gt_u32_e32 vcc, s33, v18
                                        ; implicit-def: $vgpr17
	s_and_saveexec_b64 s[4:5], vcc
	s_cbranch_execz .LBB157_35
; %bb.34:
	v_lshlrev_b32_e32 v18, 1, v18
	v_mov_b32_e32 v19, 0
	v_lshl_add_u64 v[18:19], s[8:9], 0, v[18:19]
	flat_load_ushort v17, v[18:19]
.LBB157_35:
	s_or_b64 exec, exec, s[4:5]
	v_or_b32_e32 v19, 0x2000, v0
	v_cmp_gt_u32_e32 vcc, s33, v19
                                        ; implicit-def: $vgpr18
	s_and_saveexec_b64 s[4:5], vcc
	s_cbranch_execz .LBB157_37
; %bb.36:
	v_lshlrev_b32_e32 v18, 1, v19
	v_mov_b32_e32 v19, 0
	v_lshl_add_u64 v[18:19], s[8:9], 0, v[18:19]
	flat_load_ushort v18, v[18:19]
.LBB157_37:
	s_or_b64 exec, exec, s[4:5]
	v_or_b32_e32 v20, 0x2200, v0
	v_cmp_gt_u32_e32 vcc, s33, v20
                                        ; implicit-def: $vgpr19
	s_and_saveexec_b64 s[4:5], vcc
	s_cbranch_execz .LBB157_39
; %bb.38:
	v_lshlrev_b32_e32 v20, 1, v20
	v_mov_b32_e32 v21, 0
	v_lshl_add_u64 v[20:21], s[8:9], 0, v[20:21]
	flat_load_ushort v19, v[20:21]
.LBB157_39:
	s_or_b64 exec, exec, s[4:5]
	v_or_b32_e32 v21, 0x2400, v0
	v_cmp_gt_u32_e32 vcc, s33, v21
                                        ; implicit-def: $vgpr20
	s_and_saveexec_b64 s[4:5], vcc
	s_cbranch_execz .LBB157_41
; %bb.40:
	v_lshlrev_b32_e32 v20, 1, v21
	v_mov_b32_e32 v21, 0
	v_lshl_add_u64 v[20:21], s[8:9], 0, v[20:21]
	flat_load_ushort v20, v[20:21]
.LBB157_41:
	s_or_b64 exec, exec, s[4:5]
	v_or_b32_e32 v22, 0x2600, v0
	v_cmp_gt_u32_e32 vcc, s33, v22
                                        ; implicit-def: $vgpr21
	s_and_saveexec_b64 s[4:5], vcc
	s_cbranch_execz .LBB157_43
; %bb.42:
	v_lshlrev_b32_e32 v22, 1, v22
	v_mov_b32_e32 v23, 0
	v_lshl_add_u64 v[22:23], s[8:9], 0, v[22:23]
	flat_load_ushort v21, v[22:23]
.LBB157_43:
	s_or_b64 exec, exec, s[4:5]
	v_or_b32_e32 v23, 0x2800, v0
	v_cmp_gt_u32_e32 vcc, s33, v23
                                        ; implicit-def: $vgpr22
	s_and_saveexec_b64 s[4:5], vcc
	s_cbranch_execz .LBB157_45
; %bb.44:
	v_lshlrev_b32_e32 v22, 1, v23
	v_mov_b32_e32 v23, 0
	v_lshl_add_u64 v[22:23], s[8:9], 0, v[22:23]
	flat_load_ushort v22, v[22:23]
.LBB157_45:
	s_or_b64 exec, exec, s[4:5]
	v_or_b32_e32 v24, 0x2a00, v0
	v_cmp_gt_u32_e32 vcc, s33, v24
                                        ; implicit-def: $vgpr23
	s_and_saveexec_b64 s[4:5], vcc
	s_cbranch_execz .LBB157_47
; %bb.46:
	v_lshlrev_b32_e32 v24, 1, v24
	v_mov_b32_e32 v25, 0
	v_lshl_add_u64 v[24:25], s[8:9], 0, v[24:25]
	flat_load_ushort v23, v[24:25]
.LBB157_47:
	s_or_b64 exec, exec, s[4:5]
	v_or_b32_e32 v25, 0x2c00, v0
	v_cmp_gt_u32_e32 vcc, s33, v25
                                        ; implicit-def: $vgpr24
	s_and_saveexec_b64 s[4:5], vcc
	s_cbranch_execz .LBB157_49
; %bb.48:
	v_lshlrev_b32_e32 v24, 1, v25
	v_mov_b32_e32 v25, 0
	v_lshl_add_u64 v[24:25], s[8:9], 0, v[24:25]
	flat_load_ushort v24, v[24:25]
.LBB157_49:
	s_or_b64 exec, exec, s[4:5]
	v_or_b32_e32 v26, 0x2e00, v0
	v_cmp_gt_u32_e32 vcc, s33, v26
                                        ; implicit-def: $vgpr25
	s_and_saveexec_b64 s[4:5], vcc
	s_cbranch_execz .LBB157_51
; %bb.50:
	v_lshlrev_b32_e32 v26, 1, v26
	v_mov_b32_e32 v27, 0
	v_lshl_add_u64 v[26:27], s[8:9], 0, v[26:27]
	flat_load_ushort v25, v[26:27]
.LBB157_51:
	s_or_b64 exec, exec, s[4:5]
	v_or_b32_e32 v27, 0x3000, v0
	v_cmp_gt_u32_e32 vcc, s33, v27
                                        ; implicit-def: $vgpr26
	s_and_saveexec_b64 s[4:5], vcc
	s_cbranch_execz .LBB157_53
; %bb.52:
	v_lshlrev_b32_e32 v26, 1, v27
	v_mov_b32_e32 v27, 0
	v_lshl_add_u64 v[26:27], s[8:9], 0, v[26:27]
	flat_load_ushort v26, v[26:27]
.LBB157_53:
	s_or_b64 exec, exec, s[4:5]
	v_or_b32_e32 v28, 0x3200, v0
	v_cmp_gt_u32_e32 vcc, s33, v28
                                        ; implicit-def: $vgpr27
	s_and_saveexec_b64 s[4:5], vcc
	s_cbranch_execz .LBB157_55
; %bb.54:
	v_lshlrev_b32_e32 v28, 1, v28
	v_mov_b32_e32 v29, 0
	v_lshl_add_u64 v[28:29], s[8:9], 0, v[28:29]
	flat_load_ushort v27, v[28:29]
.LBB157_55:
	s_or_b64 exec, exec, s[4:5]
	v_or_b32_e32 v29, 0x3400, v0
	v_cmp_gt_u32_e32 vcc, s33, v29
                                        ; implicit-def: $vgpr28
	s_and_saveexec_b64 s[4:5], vcc
	s_cbranch_execz .LBB157_57
; %bb.56:
	v_lshlrev_b32_e32 v28, 1, v29
	v_mov_b32_e32 v29, 0
	v_lshl_add_u64 v[28:29], s[8:9], 0, v[28:29]
	flat_load_ushort v28, v[28:29]
.LBB157_57:
	s_or_b64 exec, exec, s[4:5]
	v_or_b32_e32 v30, 0x3600, v0
	v_cmp_gt_u32_e32 vcc, s33, v30
                                        ; implicit-def: $vgpr29
	s_and_saveexec_b64 s[4:5], vcc
	s_cbranch_execz .LBB157_59
; %bb.58:
	v_lshlrev_b32_e32 v30, 1, v30
	v_mov_b32_e32 v31, 0
	v_lshl_add_u64 v[30:31], s[8:9], 0, v[30:31]
	flat_load_ushort v29, v[30:31]
.LBB157_59:
	s_or_b64 exec, exec, s[4:5]
	v_or_b32_e32 v31, 0x3800, v0
	v_cmp_gt_u32_e32 vcc, s33, v31
                                        ; implicit-def: $vgpr30
	s_and_saveexec_b64 s[4:5], vcc
	s_cbranch_execz .LBB157_61
; %bb.60:
	v_lshlrev_b32_e32 v30, 1, v31
	v_mov_b32_e32 v31, 0
	v_lshl_add_u64 v[30:31], s[8:9], 0, v[30:31]
	flat_load_ushort v30, v[30:31]
.LBB157_61:
	s_or_b64 exec, exec, s[4:5]
	v_or_b32_e32 v32, 0x3a00, v0
	v_cmp_gt_u32_e32 vcc, s33, v32
                                        ; implicit-def: $vgpr31
	s_and_saveexec_b64 s[4:5], vcc
	s_cbranch_execz .LBB157_63
; %bb.62:
	v_lshlrev_b32_e32 v32, 1, v32
	v_mov_b32_e32 v33, 0
	v_lshl_add_u64 v[32:33], s[8:9], 0, v[32:33]
	flat_load_ushort v31, v[32:33]
.LBB157_63:
	s_or_b64 exec, exec, s[4:5]
	s_waitcnt vmcnt(0) lgkmcnt(0)
	ds_write_b16 v4, v1
	ds_write_b16 v4, v2 offset:1024
	ds_write_b16 v4, v3 offset:2048
	;; [unrolled: 1-line block ×29, first 2 shown]
	s_waitcnt lgkmcnt(0)
	s_barrier
.LBB157_64:
	v_mul_u32_u24_e32 v40, 30, v0
	v_lshlrev_b32_e32 v2, 1, v40
	s_waitcnt lgkmcnt(0)
	ds_read_b32 v5, v2 offset:56
	ds_read2_b32 v[6:7], v2 offset0:12 offset1:13
	ds_read2_b32 v[8:9], v2 offset0:10 offset1:11
	;; [unrolled: 1-line block ×3, first 2 shown]
	ds_read2_b32 v[18:19], v2 offset1:1
	ds_read2_b32 v[16:17], v2 offset0:2 offset1:3
	ds_read2_b32 v[14:15], v2 offset0:4 offset1:5
	;; [unrolled: 1-line block ×3, first 2 shown]
	s_waitcnt lgkmcnt(7)
	v_lshrrev_b32_e32 v1, 16, v5
	s_waitcnt lgkmcnt(6)
	v_lshrrev_b32_e32 v29, 16, v6
	v_lshrrev_b32_e32 v28, 16, v7
	s_waitcnt lgkmcnt(5)
	v_lshrrev_b32_e32 v31, 16, v8
	;; [unrolled: 3-line block ×6, first 2 shown]
	v_lshrrev_b32_e32 v34, 16, v13
	v_lshrrev_b32_e32 v33, 16, v10
	;; [unrolled: 1-line block ×3, first 2 shown]
	v_cndmask_b32_e64 v2, 0, 1, s[6:7]
	v_cmp_ne_u32_e64 s[20:21], 1, v2
	s_andn2_b64 vcc, exec, s[6:7]
	v_xor_b32_e32 v92, -1, v18
	v_xor_b32_e32 v91, -1, v42
	;; [unrolled: 1-line block ×30, first 2 shown]
	s_barrier
	s_cbranch_vccnz .LBB157_66
; %bb.65:
	v_and_b32_e32 v73, 1, v92
	v_and_b32_e32 v72, 1, v91
	;; [unrolled: 1-line block ×30, first 2 shown]
	s_load_dwordx2 s[36:37], s[0:1], 0x68
	s_cbranch_execz .LBB157_67
	s_branch .LBB157_68
.LBB157_66:
                                        ; implicit-def: $vgpr73
                                        ; implicit-def: $vgpr72
                                        ; implicit-def: $vgpr71
                                        ; implicit-def: $vgpr70
                                        ; implicit-def: $vgpr69
                                        ; implicit-def: $vgpr68
                                        ; implicit-def: $vgpr67
                                        ; implicit-def: $vgpr65
                                        ; implicit-def: $vgpr64
                                        ; implicit-def: $vgpr63
                                        ; implicit-def: $vgpr62
                                        ; implicit-def: $vgpr61
                                        ; implicit-def: $vgpr60
                                        ; implicit-def: $vgpr59
                                        ; implicit-def: $vgpr58
                                        ; implicit-def: $vgpr57
                                        ; implicit-def: $vgpr56
                                        ; implicit-def: $vgpr55
                                        ; implicit-def: $vgpr54
                                        ; implicit-def: $vgpr53
                                        ; implicit-def: $vgpr52
                                        ; implicit-def: $vgpr51
                                        ; implicit-def: $vgpr50
                                        ; implicit-def: $vgpr49
                                        ; implicit-def: $vgpr48
                                        ; implicit-def: $vgpr47
                                        ; implicit-def: $vgpr46
                                        ; implicit-def: $vgpr45
                                        ; implicit-def: $vgpr43
                                        ; implicit-def: $vgpr44
	s_load_dwordx2 s[36:37], s[0:1], 0x68
.LBB157_67:
	v_or_b32_e32 v52, 1, v40
	v_cmp_gt_u32_e32 vcc, s33, v40
	v_add_u32_e32 v53, 2, v40
	v_add_u32_e32 v54, 3, v40
	v_cndmask_b32_e64 v62, 0, 1, vcc
	v_cmp_gt_u32_e32 vcc, s33, v52
	v_add_u32_e32 v55, 4, v40
	v_add_u32_e32 v56, 5, v40
	v_cndmask_b32_e64 v52, 0, 1, vcc
	v_cmp_gt_u32_e32 vcc, s33, v53
	v_and_b32_e32 v72, v52, v91
	v_add_u32_e32 v57, 6, v40
	v_cndmask_b32_e64 v52, 0, 1, vcc
	v_cmp_gt_u32_e32 vcc, s33, v54
	v_and_b32_e32 v71, v52, v90
	;; [unrolled: 4-line block ×9, first 2 shown]
	v_and_b32_e32 v73, v62, v92
	v_cndmask_b32_e64 v52, 0, 1, vcc
	v_cmp_gt_u32_e32 vcc, s33, v93
	v_and_b32_e32 v62, v52, v82
	v_add_u32_e32 v96, 14, v40
	v_cndmask_b32_e64 v52, 0, 1, vcc
	v_cmp_gt_u32_e32 vcc, s33, v94
	v_and_b32_e32 v61, v52, v81
	v_add_u32_e32 v97, 15, v40
	;; [unrolled: 4-line block ×16, first 2 shown]
	v_cndmask_b32_e64 v22, 0, 1, vcc
	v_cmp_gt_u32_e32 vcc, s33, v45
	v_and_b32_e32 v46, v22, v21
	s_nop 0
	v_cndmask_b32_e64 v21, 0, 1, vcc
	v_cmp_gt_u32_e32 vcc, s33, v43
	v_and_b32_e32 v45, v21, v20
	s_nop 0
	;; [unrolled: 4-line block ×3, first 2 shown]
	v_cndmask_b32_e64 v3, 0, 1, vcc
	v_and_b32_e32 v44, v3, v2
.LBB157_68:
	v_and_b32_e32 v100, 0xff, v46
	v_and_b32_e32 v101, 0xff, v45
	v_add_u32_sdwa v2, v43, v44 dst_sel:DWORD dst_unused:UNUSED_PAD src0_sel:BYTE_0 src1_sel:BYTE_0
	v_and_b32_e32 v98, 0xff, v48
	v_and_b32_e32 v99, 0xff, v47
	v_add3_u32 v2, v2, v101, v100
	v_and_b32_e32 v96, 0xff, v50
	v_and_b32_e32 v97, 0xff, v49
	v_add3_u32 v2, v2, v99, v98
	;; [unrolled: 3-line block ×13, first 2 shown]
	v_add3_u32 v104, v2, v75, v74
	v_mbcnt_lo_u32_b32 v2, -1, 0
	v_mbcnt_hi_u32_b32 v102, -1, v2
	v_and_b32_e32 v2, 15, v102
	v_cmp_eq_u32_e64 s[16:17], 0, v2
	v_cmp_lt_u32_e64 s[14:15], 1, v2
	v_cmp_lt_u32_e64 s[12:13], 3, v2
	;; [unrolled: 1-line block ×3, first 2 shown]
	v_and_b32_e32 v2, 16, v102
	v_cmp_eq_u32_e64 s[8:9], 0, v2
	v_or_b32_e32 v2, 63, v0
	s_cmp_lg_u32 s2, 0
	v_cmp_lt_u32_e64 s[4:5], 31, v102
	v_lshrrev_b32_e32 v103, 6, v0
	v_cmp_eq_u32_e64 s[6:7], v2, v0
	s_cbranch_scc0 .LBB157_99
; %bb.69:
	v_mov_b32_dpp v2, v104 row_shr:1 row_mask:0xf bank_mask:0xf
	v_cndmask_b32_e64 v2, v2, 0, s[16:17]
	v_add_u32_e32 v2, v2, v104
	s_nop 1
	v_mov_b32_dpp v3, v2 row_shr:2 row_mask:0xf bank_mask:0xf
	v_cndmask_b32_e64 v3, 0, v3, s[14:15]
	v_add_u32_e32 v2, v2, v3
	s_nop 1
	;; [unrolled: 4-line block ×4, first 2 shown]
	v_mov_b32_dpp v3, v2 row_bcast:15 row_mask:0xf bank_mask:0xf
	v_cndmask_b32_e64 v3, v3, 0, s[8:9]
	v_add_u32_e32 v2, v2, v3
	s_nop 1
	v_mov_b32_dpp v3, v2 row_bcast:31 row_mask:0xf bank_mask:0xf
	v_cndmask_b32_e64 v3, 0, v3, s[4:5]
	v_add_u32_e32 v2, v2, v3
	s_and_saveexec_b64 s[18:19], s[6:7]
	s_cbranch_execz .LBB157_71
; %bb.70:
	v_lshlrev_b32_e32 v3, 2, v103
	ds_write_b32 v3, v2
.LBB157_71:
	s_or_b64 exec, exec, s[18:19]
	v_cmp_gt_u32_e32 vcc, 8, v0
	s_waitcnt lgkmcnt(0)
	s_barrier
	s_and_saveexec_b64 s[18:19], vcc
	s_cbranch_execz .LBB157_73
; %bb.72:
	v_lshlrev_b32_e32 v3, 2, v0
	ds_read_b32 v20, v3
	v_and_b32_e32 v21, 7, v102
	v_cmp_ne_u32_e32 vcc, 0, v21
	s_waitcnt lgkmcnt(0)
	v_mov_b32_dpp v22, v20 row_shr:1 row_mask:0xf bank_mask:0xf
	v_cndmask_b32_e32 v22, 0, v22, vcc
	v_add_u32_e32 v20, v22, v20
	v_cmp_lt_u32_e32 vcc, 1, v21
	s_nop 0
	v_mov_b32_dpp v22, v20 row_shr:2 row_mask:0xf bank_mask:0xf
	v_cndmask_b32_e32 v22, 0, v22, vcc
	v_add_u32_e32 v20, v20, v22
	v_cmp_lt_u32_e32 vcc, 3, v21
	s_nop 0
	v_mov_b32_dpp v22, v20 row_shr:4 row_mask:0xf bank_mask:0xf
	v_cndmask_b32_e32 v21, 0, v22, vcc
	v_add_u32_e32 v20, v20, v21
	ds_write_b32 v3, v20
.LBB157_73:
	s_or_b64 exec, exec, s[18:19]
	v_cmp_gt_u32_e32 vcc, 64, v0
	v_cmp_lt_u32_e64 s[18:19], 63, v0
	s_waitcnt lgkmcnt(0)
	s_barrier
	s_waitcnt lgkmcnt(0)
                                        ; implicit-def: $vgpr66
	s_and_saveexec_b64 s[38:39], s[18:19]
	s_cbranch_execz .LBB157_75
; %bb.74:
	v_lshl_add_u32 v3, v103, 2, -4
	ds_read_b32 v66, v3
	s_waitcnt lgkmcnt(0)
	v_add_u32_e32 v2, v66, v2
.LBB157_75:
	s_or_b64 exec, exec, s[38:39]
	v_add_u32_e32 v3, -1, v102
	v_and_b32_e32 v20, 64, v102
	v_cmp_lt_i32_e64 s[18:19], v3, v20
	s_nop 1
	v_cndmask_b32_e64 v3, v3, v102, s[18:19]
	v_lshlrev_b32_e32 v3, 2, v3
	ds_bpermute_b32 v105, v3, v2
	v_cmp_eq_u32_e64 s[18:19], 0, v102
	s_and_saveexec_b64 s[38:39], vcc
	s_cbranch_execz .LBB157_98
; %bb.76:
	v_mov_b32_e32 v27, 0
	ds_read_b32 v2, v27 offset:28
	s_and_saveexec_b64 s[40:41], s[18:19]
	s_cbranch_execz .LBB157_78
; %bb.77:
	s_add_i32 s42, s2, 64
	s_mov_b32 s43, 0
	s_lshl_b64 s[42:43], s[42:43], 3
	s_add_u32 s42, s36, s42
	v_mov_b32_e32 v3, 1
	s_addc_u32 s43, s37, s43
	s_waitcnt lgkmcnt(0)
	global_store_dwordx2 v27, v[2:3], s[42:43] sc1
.LBB157_78:
	s_or_b64 exec, exec, s[40:41]
	v_xad_u32 v20, v102, -1, s2
	v_add_u32_e32 v26, 64, v20
	v_lshl_add_u64 v[22:23], v[26:27], 3, s[36:37]
	global_load_dwordx2 v[24:25], v[22:23], off sc1
	s_waitcnt vmcnt(0)
	v_cmp_eq_u16_sdwa s[42:43], v25, v27 src0_sel:BYTE_0 src1_sel:DWORD
	s_and_saveexec_b64 s[40:41], s[42:43]
	s_cbranch_execz .LBB157_84
; %bb.79:
	s_mov_b32 s3, 1
	s_mov_b64 s[42:43], 0
	v_mov_b32_e32 v3, 0
.LBB157_80:                             ; =>This Loop Header: Depth=1
                                        ;     Child Loop BB157_81 Depth 2
	s_max_u32 s31, s3, 1
.LBB157_81:                             ;   Parent Loop BB157_80 Depth=1
                                        ; =>  This Inner Loop Header: Depth=2
	s_add_i32 s31, s31, -1
	s_cmp_eq_u32 s31, 0
	s_sleep 1
	s_cbranch_scc0 .LBB157_81
; %bb.82:                               ;   in Loop: Header=BB157_80 Depth=1
	global_load_dwordx2 v[24:25], v[22:23], off sc1
	s_cmp_lt_u32 s3, 32
	s_cselect_b64 s[44:45], -1, 0
	s_cmp_lg_u64 s[44:45], 0
	s_addc_u32 s3, s3, 0
	s_waitcnt vmcnt(0)
	v_cmp_ne_u16_sdwa s[44:45], v25, v3 src0_sel:BYTE_0 src1_sel:DWORD
	s_or_b64 s[42:43], s[44:45], s[42:43]
	s_andn2_b64 exec, exec, s[42:43]
	s_cbranch_execnz .LBB157_80
; %bb.83:
	s_or_b64 exec, exec, s[42:43]
.LBB157_84:
	s_or_b64 exec, exec, s[40:41]
	v_and_b32_e32 v107, 63, v102
	v_mov_b32_e32 v106, 2
	v_cmp_ne_u32_e32 vcc, 63, v107
	v_cmp_eq_u16_sdwa s[40:41], v25, v106 src0_sel:BYTE_0 src1_sel:DWORD
	v_lshlrev_b64 v[22:23], v102, -1
	v_addc_co_u32_e32 v26, vcc, 0, v102, vcc
	v_and_b32_e32 v3, s41, v23
	v_lshlrev_b32_e32 v108, 2, v26
	v_or_b32_e32 v3, 0x80000000, v3
	ds_bpermute_b32 v26, v108, v24
	v_and_b32_e32 v21, s40, v22
	v_ffbl_b32_e32 v3, v3
	v_add_u32_e32 v3, 32, v3
	v_ffbl_b32_e32 v21, v21
	v_min_u32_e32 v3, v21, v3
	v_cmp_lt_u32_e32 vcc, v107, v3
	v_add_u32_e32 v110, 2, v107
	v_add_u32_e32 v112, 4, v107
	s_waitcnt lgkmcnt(0)
	v_cndmask_b32_e32 v21, 0, v26, vcc
	v_cmp_gt_u32_e32 vcc, 62, v107
	v_add_u32_e32 v21, v21, v24
	v_add_u32_e32 v114, 8, v107
	v_cndmask_b32_e64 v24, 0, 1, vcc
	v_lshlrev_b32_e32 v24, 1, v24
	v_add_lshl_u32 v109, v24, v102, 2
	ds_bpermute_b32 v24, v109, v21
	v_cmp_le_u32_e32 vcc, v110, v3
	v_add_u32_e32 v116, 16, v107
	v_add_u32_e32 v118, 32, v107
	s_waitcnt lgkmcnt(0)
	v_cndmask_b32_e32 v24, 0, v24, vcc
	v_cmp_gt_u32_e32 vcc, 60, v107
	v_add_u32_e32 v21, v21, v24
	s_nop 0
	v_cndmask_b32_e64 v24, 0, 1, vcc
	v_lshlrev_b32_e32 v24, 2, v24
	v_add_lshl_u32 v111, v24, v102, 2
	ds_bpermute_b32 v24, v111, v21
	v_cmp_le_u32_e32 vcc, v112, v3
	s_waitcnt lgkmcnt(0)
	s_nop 0
	v_cndmask_b32_e32 v24, 0, v24, vcc
	v_cmp_gt_u32_e32 vcc, 56, v107
	v_add_u32_e32 v21, v21, v24
	s_nop 0
	v_cndmask_b32_e64 v24, 0, 1, vcc
	v_lshlrev_b32_e32 v24, 3, v24
	v_add_lshl_u32 v113, v24, v102, 2
	ds_bpermute_b32 v24, v113, v21
	v_cmp_le_u32_e32 vcc, v114, v3
	s_waitcnt lgkmcnt(0)
	s_nop 0
	v_cndmask_b32_e32 v24, 0, v24, vcc
	v_cmp_gt_u32_e32 vcc, 48, v107
	v_add_u32_e32 v21, v21, v24
	s_nop 0
	v_cndmask_b32_e64 v24, 0, 1, vcc
	v_lshlrev_b32_e32 v24, 4, v24
	v_add_lshl_u32 v115, v24, v102, 2
	ds_bpermute_b32 v24, v115, v21
	v_cmp_le_u32_e32 vcc, v116, v3
	s_waitcnt lgkmcnt(0)
	s_nop 0
	v_cndmask_b32_e32 v24, 0, v24, vcc
	v_cmp_gt_u32_e32 vcc, 32, v107
	v_add_u32_e32 v21, v21, v24
	s_nop 0
	v_cndmask_b32_e64 v24, 0, 1, vcc
	v_lshlrev_b32_e32 v24, 5, v24
	v_add_lshl_u32 v117, v24, v102, 2
	ds_bpermute_b32 v24, v117, v21
	v_cmp_le_u32_e32 vcc, v118, v3
	s_waitcnt lgkmcnt(0)
	s_nop 0
	v_cndmask_b32_e32 v3, 0, v24, vcc
	v_add_u32_e32 v24, v21, v3
	v_mov_b32_e32 v21, 0
	s_branch .LBB157_86
.LBB157_85:                             ;   in Loop: Header=BB157_86 Depth=1
	s_or_b64 exec, exec, s[40:41]
	v_cmp_eq_u16_sdwa s[40:41], v25, v106 src0_sel:BYTE_0 src1_sel:DWORD
	ds_bpermute_b32 v119, v108, v24
	v_subrev_u32_e32 v20, 64, v20
	v_and_b32_e32 v26, s41, v23
	v_or_b32_e32 v26, 0x80000000, v26
	v_and_b32_e32 v27, s40, v22
	v_ffbl_b32_e32 v26, v26
	v_add_u32_e32 v26, 32, v26
	v_ffbl_b32_e32 v27, v27
	v_min_u32_e32 v26, v27, v26
	v_cmp_lt_u32_e32 vcc, v107, v26
	s_waitcnt lgkmcnt(0)
	s_nop 0
	v_cndmask_b32_e32 v27, 0, v119, vcc
	v_add_u32_e32 v24, v27, v24
	ds_bpermute_b32 v27, v109, v24
	v_cmp_le_u32_e32 vcc, v110, v26
	s_waitcnt lgkmcnt(0)
	s_nop 0
	v_cndmask_b32_e32 v27, 0, v27, vcc
	v_add_u32_e32 v24, v24, v27
	ds_bpermute_b32 v27, v111, v24
	v_cmp_le_u32_e32 vcc, v112, v26
	;; [unrolled: 6-line block ×5, first 2 shown]
	s_waitcnt lgkmcnt(0)
	s_nop 0
	v_cndmask_b32_e32 v26, 0, v27, vcc
	v_add3_u32 v24, v26, v3, v24
.LBB157_86:                             ; =>This Loop Header: Depth=1
                                        ;     Child Loop BB157_89 Depth 2
                                        ;       Child Loop BB157_90 Depth 3
	v_cmp_ne_u16_sdwa s[40:41], v25, v106 src0_sel:BYTE_0 src1_sel:DWORD
	s_nop 1
	v_cndmask_b32_e64 v3, 0, 1, s[40:41]
	;;#ASMSTART
	;;#ASMEND
	s_nop 0
	v_cmp_ne_u32_e32 vcc, 0, v3
	s_cmp_lg_u64 vcc, exec
	v_mov_b32_e32 v3, v24
	s_cbranch_scc1 .LBB157_93
; %bb.87:                               ;   in Loop: Header=BB157_86 Depth=1
	v_lshl_add_u64 v[26:27], v[20:21], 3, s[36:37]
	global_load_dwordx2 v[24:25], v[26:27], off sc1
	s_waitcnt vmcnt(0)
	v_cmp_eq_u16_sdwa s[42:43], v25, v21 src0_sel:BYTE_0 src1_sel:DWORD
	s_and_saveexec_b64 s[40:41], s[42:43]
	s_cbranch_execz .LBB157_85
; %bb.88:                               ;   in Loop: Header=BB157_86 Depth=1
	s_mov_b32 s3, 1
	s_mov_b64 s[42:43], 0
.LBB157_89:                             ;   Parent Loop BB157_86 Depth=1
                                        ; =>  This Loop Header: Depth=2
                                        ;       Child Loop BB157_90 Depth 3
	s_max_u32 s31, s3, 1
.LBB157_90:                             ;   Parent Loop BB157_86 Depth=1
                                        ;     Parent Loop BB157_89 Depth=2
                                        ; =>    This Inner Loop Header: Depth=3
	s_add_i32 s31, s31, -1
	s_cmp_eq_u32 s31, 0
	s_sleep 1
	s_cbranch_scc0 .LBB157_90
; %bb.91:                               ;   in Loop: Header=BB157_89 Depth=2
	global_load_dwordx2 v[24:25], v[26:27], off sc1
	s_cmp_lt_u32 s3, 32
	s_cselect_b64 s[44:45], -1, 0
	s_cmp_lg_u64 s[44:45], 0
	s_addc_u32 s3, s3, 0
	s_waitcnt vmcnt(0)
	v_cmp_ne_u16_sdwa s[44:45], v25, v21 src0_sel:BYTE_0 src1_sel:DWORD
	s_or_b64 s[42:43], s[44:45], s[42:43]
	s_andn2_b64 exec, exec, s[42:43]
	s_cbranch_execnz .LBB157_89
; %bb.92:                               ;   in Loop: Header=BB157_86 Depth=1
	s_or_b64 exec, exec, s[42:43]
	s_branch .LBB157_85
.LBB157_93:                             ;   in Loop: Header=BB157_86 Depth=1
                                        ; implicit-def: $vgpr24
                                        ; implicit-def: $vgpr25
	s_cbranch_execz .LBB157_86
; %bb.94:
	s_and_saveexec_b64 s[40:41], s[18:19]
	s_cbranch_execz .LBB157_96
; %bb.95:
	s_add_i32 s2, s2, 64
	s_mov_b32 s3, 0
	s_lshl_b64 s[2:3], s[2:3], 3
	s_add_u32 s2, s36, s2
	v_add_u32_e32 v20, v3, v2
	v_mov_b32_e32 v21, 2
	s_addc_u32 s3, s37, s3
	v_mov_b32_e32 v22, 0
	global_store_dwordx2 v22, v[20:21], s[2:3] sc1
	ds_write_b64 v22, v[2:3] offset:30720
.LBB157_96:
	s_or_b64 exec, exec, s[40:41]
	v_cmp_eq_u32_e32 vcc, 0, v0
	s_and_b64 exec, exec, vcc
	s_cbranch_execz .LBB157_98
; %bb.97:
	v_mov_b32_e32 v2, 0
	ds_write_b32 v2, v3 offset:28
.LBB157_98:
	s_or_b64 exec, exec, s[38:39]
	v_mov_b32_e32 v2, 0
	s_waitcnt lgkmcnt(0)
	s_barrier
	ds_read_b32 v21, v2 offset:28
	s_waitcnt lgkmcnt(0)
	s_barrier
	ds_read_b64 v[2:3], v2 offset:30720
	v_cndmask_b32_e64 v20, v105, v66, s[18:19]
	v_cmp_ne_u32_e32 vcc, 0, v0
	s_waitcnt lgkmcnt(0)
	v_mov_b32_e32 v66, v3
	v_cndmask_b32_e32 v20, 0, v20, vcc
	v_add_u32_e32 v20, v21, v20
	s_load_dwordx2 s[2:3], s[0:1], 0x28
	s_branch .LBB157_109
.LBB157_99:
                                        ; implicit-def: $vgpr66
                                        ; implicit-def: $vgpr2
                                        ; implicit-def: $vgpr20
	s_load_dwordx2 s[2:3], s[0:1], 0x28
	s_cbranch_execz .LBB157_109
; %bb.100:
	v_mov_b32_dpp v2, v104 row_shr:1 row_mask:0xf bank_mask:0xf
	v_cndmask_b32_e64 v2, v2, 0, s[16:17]
	v_add_u32_e32 v2, v2, v104
	s_nop 1
	v_mov_b32_dpp v3, v2 row_shr:2 row_mask:0xf bank_mask:0xf
	v_cndmask_b32_e64 v3, 0, v3, s[14:15]
	v_add_u32_e32 v2, v2, v3
	s_nop 1
	;; [unrolled: 4-line block ×4, first 2 shown]
	v_mov_b32_dpp v3, v2 row_bcast:15 row_mask:0xf bank_mask:0xf
	v_cndmask_b32_e64 v3, v3, 0, s[8:9]
	v_add_u32_e32 v2, v2, v3
	s_nop 1
	v_mov_b32_dpp v3, v2 row_bcast:31 row_mask:0xf bank_mask:0xf
	v_cndmask_b32_e64 v3, 0, v3, s[4:5]
	v_add_u32_e32 v2, v2, v3
	s_and_saveexec_b64 s[0:1], s[6:7]
	s_cbranch_execz .LBB157_102
; %bb.101:
	v_lshlrev_b32_e32 v3, 2, v103
	ds_write_b32 v3, v2
.LBB157_102:
	s_or_b64 exec, exec, s[0:1]
	v_cmp_gt_u32_e32 vcc, 8, v0
	s_waitcnt lgkmcnt(0)
	s_barrier
	s_and_saveexec_b64 s[0:1], vcc
	s_cbranch_execz .LBB157_104
; %bb.103:
	v_lshlrev_b32_e32 v3, 2, v0
	ds_read_b32 v20, v3
	v_and_b32_e32 v21, 7, v102
	v_cmp_ne_u32_e32 vcc, 0, v21
	s_waitcnt lgkmcnt(0)
	v_mov_b32_dpp v22, v20 row_shr:1 row_mask:0xf bank_mask:0xf
	v_cndmask_b32_e32 v22, 0, v22, vcc
	v_add_u32_e32 v20, v22, v20
	v_cmp_lt_u32_e32 vcc, 1, v21
	s_nop 0
	v_mov_b32_dpp v22, v20 row_shr:2 row_mask:0xf bank_mask:0xf
	v_cndmask_b32_e32 v22, 0, v22, vcc
	v_add_u32_e32 v20, v20, v22
	v_cmp_lt_u32_e32 vcc, 3, v21
	s_nop 0
	v_mov_b32_dpp v22, v20 row_shr:4 row_mask:0xf bank_mask:0xf
	v_cndmask_b32_e32 v21, 0, v22, vcc
	v_add_u32_e32 v20, v20, v21
	ds_write_b32 v3, v20
.LBB157_104:
	s_or_b64 exec, exec, s[0:1]
	v_cmp_lt_u32_e32 vcc, 63, v0
	v_mov_b32_e32 v3, 0
	v_mov_b32_e32 v20, 0
	s_waitcnt lgkmcnt(0)
	s_barrier
	s_and_saveexec_b64 s[0:1], vcc
	s_cbranch_execz .LBB157_106
; %bb.105:
	v_lshl_add_u32 v20, v103, 2, -4
	ds_read_b32 v20, v20
.LBB157_106:
	s_or_b64 exec, exec, s[0:1]
	v_add_u32_e32 v21, -1, v102
	v_and_b32_e32 v22, 64, v102
	v_cmp_lt_i32_e32 vcc, v21, v22
	s_waitcnt lgkmcnt(0)
	v_add_u32_e32 v2, v20, v2
	v_cndmask_b32_e32 v21, v21, v102, vcc
	v_lshlrev_b32_e32 v21, 2, v21
	ds_bpermute_b32 v21, v21, v2
	ds_read_b32 v2, v3 offset:28
	v_cmp_eq_u32_e32 vcc, 0, v0
	s_and_saveexec_b64 s[0:1], vcc
	s_cbranch_execz .LBB157_108
; %bb.107:
	v_mov_b32_e32 v22, 0
	v_mov_b32_e32 v3, 2
	s_waitcnt lgkmcnt(0)
	global_store_dwordx2 v22, v[2:3], s[36:37] offset:512 sc1
.LBB157_108:
	s_or_b64 exec, exec, s[0:1]
	v_cmp_eq_u32_e64 s[0:1], 0, v102
	v_mov_b32_e32 v66, 0
	s_waitcnt lgkmcnt(0)
	v_cndmask_b32_e64 v3, v21, v20, s[0:1]
	v_cndmask_b32_e64 v20, v3, 0, vcc
	s_barrier
.LBB157_109:
	v_add_u32_e32 v3, v20, v74
	v_add_u32_e32 v21, v3, v75
	;; [unrolled: 1-line block ×21, first 2 shown]
	v_sub_u32_e32 v20, v20, v66
	v_and_b32_e32 v73, 1, v73
	v_add_u32_e32 v86, v85, v94
	v_sub_u32_e32 v94, v40, v20
	v_cmp_eq_u32_e32 vcc, 1, v73
	v_sub_u32_e32 v3, v3, v66
	v_add_u32_e32 v87, v86, v95
	v_cndmask_b32_e32 v20, v94, v20, vcc
	v_lshlrev_b32_e32 v20, 1, v20
	ds_write_b16 v20, v18
	v_sub_u32_e32 v18, v40, v3
	v_and_b32_e32 v20, 1, v72
	v_add_u32_e32 v18, 1, v18
	v_cmp_eq_u32_e32 vcc, 1, v20
	v_and_b32_e32 v20, 1, v71
	v_add_u32_e32 v88, v87, v96
	v_cndmask_b32_e32 v3, v18, v3, vcc
	v_lshlrev_b32_e32 v3, 1, v3
	ds_write_b16 v3, v42
	v_sub_u32_e32 v3, v21, v66
	v_sub_u32_e32 v18, v40, v3
	v_add_u32_e32 v18, 2, v18
	v_cmp_eq_u32_e32 vcc, 1, v20
	v_add_u32_e32 v89, v88, v97
	v_add_u32_e32 v90, v89, v98
	v_cndmask_b32_e32 v3, v18, v3, vcc
	v_lshlrev_b32_e32 v3, 1, v3
	ds_write_b16 v3, v19
	v_sub_u32_e32 v3, v22, v66
	v_sub_u32_e32 v18, v40, v3
	v_and_b32_e32 v19, 1, v70
	v_add_u32_e32 v18, 3, v18
	v_cmp_eq_u32_e32 vcc, 1, v19
	v_and_b32_e32 v19, 1, v69
	v_add_u32_e32 v91, v90, v99
	v_cndmask_b32_e32 v3, v18, v3, vcc
	v_lshlrev_b32_e32 v3, 1, v3
	ds_write_b16 v3, v41
	v_sub_u32_e32 v3, v23, v66
	v_sub_u32_e32 v18, v40, v3
	v_add_u32_e32 v18, 4, v18
	v_cmp_eq_u32_e32 vcc, 1, v19
	v_add_u32_e32 v92, v91, v100
	v_add_u32_e32 v93, v92, v101
	v_cndmask_b32_e32 v3, v18, v3, vcc
	v_lshlrev_b32_e32 v3, 1, v3
	ds_write_b16 v3, v16
	v_sub_u32_e32 v3, v24, v66
	v_sub_u32_e32 v16, v40, v3
	v_and_b32_e32 v18, 1, v68
	v_add_u32_e32 v16, 5, v16
	v_cmp_eq_u32_e32 vcc, 1, v18
	v_and_b32_e32 v18, 1, v67
	s_add_u32 s0, s22, s30
	v_cndmask_b32_e32 v3, v16, v3, vcc
	v_lshlrev_b32_e32 v3, 1, v3
	ds_write_b16 v3, v39
	v_sub_u32_e32 v3, v25, v66
	v_sub_u32_e32 v16, v40, v3
	v_add_u32_e32 v16, 6, v16
	v_cmp_eq_u32_e32 vcc, 1, v18
	s_addc_u32 s1, s23, 0
	s_sub_u32 s0, s28, s0
	v_cndmask_b32_e32 v3, v16, v3, vcc
	v_lshlrev_b32_e32 v3, 1, v3
	ds_write_b16 v3, v17
	v_sub_u32_e32 v3, v26, v66
	v_sub_u32_e32 v16, v40, v3
	v_and_b32_e32 v17, 1, v65
	v_add_u32_e32 v16, 7, v16
	v_cmp_eq_u32_e32 vcc, 1, v17
	v_and_b32_e32 v17, 1, v64
	s_subb_u32 s1, s29, s1
	v_cndmask_b32_e32 v3, v16, v3, vcc
	v_lshlrev_b32_e32 v3, 1, v3
	ds_write_b16 v3, v38
	v_sub_u32_e32 v3, v27, v66
	v_sub_u32_e32 v16, v40, v3
	v_add_u32_e32 v16, 8, v16
	v_cmp_eq_u32_e32 vcc, 1, v17
	v_or_b32_e32 v64, 0x200, v0
	v_or_b32_e32 v42, 0x1800, v0
	v_cndmask_b32_e32 v3, v16, v3, vcc
	v_lshlrev_b32_e32 v3, 1, v3
	ds_write_b16 v3, v14
	v_sub_u32_e32 v3, v74, v66
	v_sub_u32_e32 v14, v40, v3
	v_and_b32_e32 v16, 1, v63
	v_add_u32_e32 v14, 9, v14
	v_cmp_eq_u32_e32 vcc, 1, v16
	v_and_b32_e32 v16, 1, v62
	v_or_b32_e32 v62, 0x400, v0
	v_cndmask_b32_e32 v3, v14, v3, vcc
	v_lshlrev_b32_e32 v3, 1, v3
	ds_write_b16 v3, v37
	v_sub_u32_e32 v3, v75, v66
	v_sub_u32_e32 v14, v40, v3
	v_add_u32_e32 v14, 10, v14
	v_cmp_eq_u32_e32 vcc, 1, v16
	v_or_b32_e32 v38, 0x1c00, v0
	v_or_b32_e32 v26, 0x2800, v0
	v_cndmask_b32_e32 v3, v14, v3, vcc
	v_lshlrev_b32_e32 v3, 1, v3
	ds_write_b16 v3, v15
	v_sub_u32_e32 v3, v76, v66
	v_sub_u32_e32 v14, v40, v3
	v_and_b32_e32 v15, 1, v61
	v_add_u32_e32 v14, 11, v14
	v_cmp_eq_u32_e32 vcc, 1, v15
	v_and_b32_e32 v15, 1, v60
	v_or_b32_e32 v60, 0x600, v0
	;; [unrolled: 19-line block ×7, first 2 shown]
	v_cndmask_b32_e32 v3, v8, v3, vcc
	v_lshlrev_b32_e32 v3, 1, v3
	ds_write_b16 v3, v31
	v_sub_u32_e32 v3, v87, v66
	v_sub_u32_e32 v8, v40, v3
	v_add_u32_e32 v8, 22, v8
	v_cmp_eq_u32_e32 vcc, 1, v10
	v_or_b32_e32 v10, 0x3800, v0
	s_nop 0
	v_cndmask_b32_e32 v3, v8, v3, vcc
	v_lshlrev_b32_e32 v3, 1, v3
	ds_write_b16 v3, v9
	v_sub_u32_e32 v3, v88, v66
	v_sub_u32_e32 v8, v40, v3
	v_and_b32_e32 v9, 1, v49
	v_add_u32_e32 v8, 23, v8
	v_cmp_eq_u32_e32 vcc, 1, v9
	v_and_b32_e32 v9, 1, v48
	v_or_b32_e32 v48, 0x1200, v0
	v_cndmask_b32_e32 v3, v8, v3, vcc
	v_lshlrev_b32_e32 v3, 1, v3
	ds_write_b16 v3, v30
	v_sub_u32_e32 v3, v89, v66
	v_sub_u32_e32 v8, v40, v3
	v_add_u32_e32 v8, 24, v8
	v_cmp_eq_u32_e32 vcc, 1, v9
	v_or_b32_e32 v30, 0x2400, v0
	s_nop 0
	v_cndmask_b32_e32 v3, v8, v3, vcc
	v_lshlrev_b32_e32 v3, 1, v3
	ds_write_b16 v3, v6
	v_sub_u32_e32 v3, v90, v66
	v_sub_u32_e32 v6, v40, v3
	v_and_b32_e32 v8, 1, v47
	v_add_u32_e32 v6, 25, v6
	v_cmp_eq_u32_e32 vcc, 1, v8
	v_and_b32_e32 v8, 1, v46
	v_or_b32_e32 v46, 0x1400, v0
	v_cndmask_b32_e32 v3, v6, v3, vcc
	v_lshlrev_b32_e32 v3, 1, v3
	ds_write_b16 v3, v29
	v_sub_u32_e32 v3, v91, v66
	v_sub_u32_e32 v6, v40, v3
	v_add_u32_e32 v6, 26, v6
	v_cmp_eq_u32_e32 vcc, 1, v8
	s_nop 1
	v_cndmask_b32_e32 v3, v6, v3, vcc
	v_lshlrev_b32_e32 v3, 1, v3
	ds_write_b16 v3, v7
	v_sub_u32_e32 v3, v92, v66
	v_sub_u32_e32 v6, v40, v3
	v_and_b32_e32 v7, 1, v45
	v_add_u32_e32 v6, 27, v6
	v_cmp_eq_u32_e32 vcc, 1, v7
	v_and_b32_e32 v7, 1, v43
	s_nop 0
	v_cndmask_b32_e32 v3, v6, v3, vcc
	v_lshlrev_b32_e32 v3, 1, v3
	ds_write_b16 v3, v28
	v_sub_u32_e32 v3, v93, v66
	v_sub_u32_e32 v6, v40, v3
	v_add_u32_e32 v6, 28, v6
	v_cmp_eq_u32_e32 vcc, 1, v7
	v_or_b32_e32 v28, 0x2600, v0
	s_nop 0
	v_cndmask_b32_e32 v3, v6, v3, vcc
	v_lshlrev_b32_e32 v3, 1, v3
	ds_write_b16 v3, v5
	v_sub_u32_sdwa v3, v43, v66 dst_sel:DWORD dst_unused:UNUSED_PAD src0_sel:BYTE_0 src1_sel:DWORD
	v_add_u32_e32 v3, v93, v3
	v_sub_u32_e32 v5, v40, v3
	v_and_b32_e32 v6, 1, v44
	v_add_u32_e32 v5, 29, v5
	v_cmp_eq_u32_e32 vcc, 1, v6
	v_or_b32_e32 v44, 0x1600, v0
	v_or_b32_e32 v40, 0x1a00, v0
	v_cndmask_b32_e32 v3, v5, v3, vcc
	v_lshlrev_b32_e32 v3, 1, v3
	ds_write_b16 v3, v1
	s_waitcnt lgkmcnt(0)
	s_barrier
	ds_read_u16 v97, v4
	ds_read_u16 v96, v4 offset:1024
	ds_read_u16 v95, v4 offset:2048
	;; [unrolled: 1-line block ×29, first 2 shown]
	v_mov_b32_e32 v1, 0
	v_mov_b32_e32 v67, v1
	;; [unrolled: 1-line block ×3, first 2 shown]
	v_lshl_add_u64 v[4:5], s[34:35], 0, v[66:67]
	v_lshl_add_u64 v[8:9], s[0:1], 0, v[2:3]
	v_mov_b32_e32 v65, v1
	v_mov_b32_e32 v63, v1
	;; [unrolled: 1-line block ×28, first 2 shown]
	v_or_b32_e32 v6, 0x3a00, v0
	v_mov_b32_e32 v7, v1
	s_and_b64 vcc, exec, s[20:21]
	v_lshl_add_u64 v[8:9], v[8:9], 0, v[4:5]
	s_cbranch_vccnz .LBB157_231
; %bb.110:
	v_cmp_ge_u32_e32 vcc, v0, v2
                                        ; implicit-def: $vgpr66_vgpr67
	s_and_saveexec_b64 s[0:1], vcc
	s_xor_b64 s[0:1], exec, s[0:1]
; %bb.111:
	v_not_b32_e32 v66, v0
	v_ashrrev_i32_e32 v67, 31, v66
	v_lshl_add_u64 v[66:67], v[8:9], 0, v[66:67]
; %bb.112:
	s_andn2_saveexec_b64 s[0:1], s[0:1]
; %bb.113:
	v_lshl_add_u64 v[66:67], v[4:5], 0, v[0:1]
; %bb.114:
	s_or_b64 exec, exec, s[0:1]
	v_lshl_add_u64 v[66:67], v[66:67], 1, s[2:3]
	v_cmp_ge_u32_e32 vcc, v64, v2
	s_waitcnt lgkmcnt(14)
	global_store_short v[66:67], v97, off
                                        ; implicit-def: $vgpr66_vgpr67
	s_and_saveexec_b64 s[0:1], vcc
	s_xor_b64 s[0:1], exec, s[0:1]
; %bb.115:
	v_xor_b32_e32 v66, 0xfffffdff, v0
	v_ashrrev_i32_e32 v67, 31, v66
	v_lshl_add_u64 v[66:67], v[8:9], 0, v[66:67]
; %bb.116:
	s_andn2_saveexec_b64 s[0:1], s[0:1]
; %bb.117:
	v_lshl_add_u64 v[66:67], v[4:5], 0, v[64:65]
; %bb.118:
	s_or_b64 exec, exec, s[0:1]
	v_lshl_add_u64 v[66:67], v[66:67], 1, s[2:3]
	v_cmp_ge_u32_e32 vcc, v62, v2
	global_store_short v[66:67], v96, off
                                        ; implicit-def: $vgpr66_vgpr67
	s_and_saveexec_b64 s[0:1], vcc
	s_xor_b64 s[0:1], exec, s[0:1]
; %bb.119:
	v_xor_b32_e32 v66, 0xfffffbff, v0
	v_ashrrev_i32_e32 v67, 31, v66
	v_lshl_add_u64 v[66:67], v[8:9], 0, v[66:67]
; %bb.120:
	s_andn2_saveexec_b64 s[0:1], s[0:1]
; %bb.121:
	v_lshl_add_u64 v[66:67], v[4:5], 0, v[62:63]
; %bb.122:
	s_or_b64 exec, exec, s[0:1]
	v_lshl_add_u64 v[66:67], v[66:67], 1, s[2:3]
	v_cmp_ge_u32_e32 vcc, v60, v2
	;; [unrolled: 16-line block ×16, first 2 shown]
	s_waitcnt lgkmcnt(13)
	global_store_short v[66:67], v81, off
                                        ; implicit-def: $vgpr66_vgpr67
	s_and_saveexec_b64 s[0:1], vcc
	s_xor_b64 s[0:1], exec, s[0:1]
; %bb.179:
	v_xor_b32_e32 v66, 0xffffddff, v0
	v_ashrrev_i32_e32 v67, 31, v66
	v_lshl_add_u64 v[66:67], v[8:9], 0, v[66:67]
; %bb.180:
	s_andn2_saveexec_b64 s[0:1], s[0:1]
; %bb.181:
	v_lshl_add_u64 v[66:67], v[4:5], 0, v[32:33]
; %bb.182:
	s_or_b64 exec, exec, s[0:1]
	v_lshl_add_u64 v[66:67], v[66:67], 1, s[2:3]
	v_cmp_ge_u32_e32 vcc, v30, v2
	s_waitcnt lgkmcnt(12)
	global_store_short v[66:67], v80, off
                                        ; implicit-def: $vgpr66_vgpr67
	s_and_saveexec_b64 s[0:1], vcc
	s_xor_b64 s[0:1], exec, s[0:1]
; %bb.183:
	v_xor_b32_e32 v66, 0xffffdbff, v0
	v_ashrrev_i32_e32 v67, 31, v66
	v_lshl_add_u64 v[66:67], v[8:9], 0, v[66:67]
; %bb.184:
	s_andn2_saveexec_b64 s[0:1], s[0:1]
; %bb.185:
	v_lshl_add_u64 v[66:67], v[4:5], 0, v[30:31]
; %bb.186:
	s_or_b64 exec, exec, s[0:1]
	v_lshl_add_u64 v[66:67], v[66:67], 1, s[2:3]
	v_cmp_ge_u32_e32 vcc, v28, v2
	;; [unrolled: 17-line block ×12, first 2 shown]
	s_waitcnt lgkmcnt(1)
	global_store_short v[66:67], v69, off
                                        ; implicit-def: $vgpr66_vgpr67
	s_and_saveexec_b64 s[0:1], vcc
	s_xor_b64 s[0:1], exec, s[0:1]
; %bb.227:
	v_xor_b32_e32 v66, 0xffffc5ff, v0
	v_ashrrev_i32_e32 v67, 31, v66
	v_lshl_add_u64 v[66:67], v[8:9], 0, v[66:67]
; %bb.228:
	s_andn2_saveexec_b64 s[0:1], s[0:1]
; %bb.229:
	v_lshl_add_u64 v[66:67], v[4:5], 0, v[6:7]
; %bb.230:
	s_or_b64 exec, exec, s[0:1]
	s_mov_b64 s[0:1], -1
	s_branch .LBB157_413
.LBB157_231:
	s_mov_b64 s[0:1], 0
                                        ; implicit-def: $vgpr66_vgpr67
	s_cbranch_execz .LBB157_413
; %bb.232:
	v_cmp_gt_u32_e32 vcc, s33, v0
	s_and_saveexec_b64 s[4:5], vcc
	s_cbranch_execz .LBB157_318
; %bb.233:
	v_cmp_ge_u32_e32 vcc, v0, v2
                                        ; implicit-def: $vgpr66_vgpr67
	s_and_saveexec_b64 s[6:7], vcc
	s_xor_b64 s[6:7], exec, s[6:7]
; %bb.234:
	v_not_b32_e32 v66, v0
	v_ashrrev_i32_e32 v67, 31, v66
	v_lshl_add_u64 v[66:67], v[8:9], 0, v[66:67]
; %bb.235:
	s_andn2_saveexec_b64 s[6:7], s[6:7]
; %bb.236:
	v_lshl_add_u64 v[66:67], v[4:5], 0, v[0:1]
; %bb.237:
	s_or_b64 exec, exec, s[6:7]
	v_lshl_add_u64 v[66:67], v[66:67], 1, s[2:3]
	s_waitcnt lgkmcnt(14)
	global_store_short v[66:67], v97, off
	s_or_b64 exec, exec, s[4:5]
	v_cmp_gt_u32_e32 vcc, s33, v64
	s_and_saveexec_b64 s[4:5], vcc
	s_cbranch_execnz .LBB157_319
.LBB157_238:
	s_or_b64 exec, exec, s[4:5]
	v_cmp_gt_u32_e32 vcc, s33, v62
	s_and_saveexec_b64 s[4:5], vcc
	s_cbranch_execz .LBB157_324
.LBB157_239:
	v_cmp_ge_u32_e32 vcc, v62, v2
                                        ; implicit-def: $vgpr64_vgpr65
	s_and_saveexec_b64 s[6:7], vcc
	s_xor_b64 s[6:7], exec, s[6:7]
; %bb.240:
	v_xor_b32_e32 v62, 0xfffffbff, v0
	v_ashrrev_i32_e32 v63, 31, v62
	v_lshl_add_u64 v[64:65], v[8:9], 0, v[62:63]
                                        ; implicit-def: $vgpr62_vgpr63
; %bb.241:
	s_andn2_saveexec_b64 s[6:7], s[6:7]
; %bb.242:
	v_lshl_add_u64 v[64:65], v[4:5], 0, v[62:63]
; %bb.243:
	s_or_b64 exec, exec, s[6:7]
	v_lshl_add_u64 v[62:63], v[64:65], 1, s[2:3]
	s_waitcnt lgkmcnt(14)
	global_store_short v[62:63], v95, off
	s_or_b64 exec, exec, s[4:5]
	v_cmp_gt_u32_e32 vcc, s33, v60
	s_and_saveexec_b64 s[4:5], vcc
	s_cbranch_execnz .LBB157_325
.LBB157_244:
	s_or_b64 exec, exec, s[4:5]
	v_cmp_gt_u32_e32 vcc, s33, v58
	s_and_saveexec_b64 s[4:5], vcc
	s_cbranch_execz .LBB157_330
.LBB157_245:
	v_cmp_ge_u32_e32 vcc, v58, v2
                                        ; implicit-def: $vgpr60_vgpr61
	s_and_saveexec_b64 s[6:7], vcc
	s_xor_b64 s[6:7], exec, s[6:7]
; %bb.246:
	v_xor_b32_e32 v58, 0xfffff7ff, v0
	v_ashrrev_i32_e32 v59, 31, v58
	v_lshl_add_u64 v[60:61], v[8:9], 0, v[58:59]
                                        ; implicit-def: $vgpr58_vgpr59
; %bb.247:
	s_andn2_saveexec_b64 s[6:7], s[6:7]
; %bb.248:
	v_lshl_add_u64 v[60:61], v[4:5], 0, v[58:59]
; %bb.249:
	s_or_b64 exec, exec, s[6:7]
	v_lshl_add_u64 v[58:59], v[60:61], 1, s[2:3]
	s_waitcnt lgkmcnt(14)
	global_store_short v[58:59], v93, off
	s_or_b64 exec, exec, s[4:5]
	v_cmp_gt_u32_e32 vcc, s33, v56
	s_and_saveexec_b64 s[4:5], vcc
	s_cbranch_execnz .LBB157_331
.LBB157_250:
	s_or_b64 exec, exec, s[4:5]
	v_cmp_gt_u32_e32 vcc, s33, v54
	s_and_saveexec_b64 s[4:5], vcc
	s_cbranch_execz .LBB157_336
.LBB157_251:
	v_cmp_ge_u32_e32 vcc, v54, v2
                                        ; implicit-def: $vgpr56_vgpr57
	s_and_saveexec_b64 s[6:7], vcc
	s_xor_b64 s[6:7], exec, s[6:7]
; %bb.252:
	v_xor_b32_e32 v54, 0xfffff3ff, v0
	v_ashrrev_i32_e32 v55, 31, v54
	v_lshl_add_u64 v[56:57], v[8:9], 0, v[54:55]
                                        ; implicit-def: $vgpr54_vgpr55
; %bb.253:
	s_andn2_saveexec_b64 s[6:7], s[6:7]
; %bb.254:
	v_lshl_add_u64 v[56:57], v[4:5], 0, v[54:55]
; %bb.255:
	s_or_b64 exec, exec, s[6:7]
	v_lshl_add_u64 v[54:55], v[56:57], 1, s[2:3]
	s_waitcnt lgkmcnt(14)
	global_store_short v[54:55], v91, off
	s_or_b64 exec, exec, s[4:5]
	v_cmp_gt_u32_e32 vcc, s33, v52
	s_and_saveexec_b64 s[4:5], vcc
	s_cbranch_execnz .LBB157_337
.LBB157_256:
	s_or_b64 exec, exec, s[4:5]
	v_cmp_gt_u32_e32 vcc, s33, v50
	s_and_saveexec_b64 s[4:5], vcc
	s_cbranch_execz .LBB157_342
.LBB157_257:
	v_cmp_ge_u32_e32 vcc, v50, v2
                                        ; implicit-def: $vgpr52_vgpr53
	s_and_saveexec_b64 s[6:7], vcc
	s_xor_b64 s[6:7], exec, s[6:7]
; %bb.258:
	v_xor_b32_e32 v50, 0xffffefff, v0
	v_ashrrev_i32_e32 v51, 31, v50
	v_lshl_add_u64 v[52:53], v[8:9], 0, v[50:51]
                                        ; implicit-def: $vgpr50_vgpr51
; %bb.259:
	s_andn2_saveexec_b64 s[6:7], s[6:7]
; %bb.260:
	v_lshl_add_u64 v[52:53], v[4:5], 0, v[50:51]
; %bb.261:
	s_or_b64 exec, exec, s[6:7]
	v_lshl_add_u64 v[50:51], v[52:53], 1, s[2:3]
	s_waitcnt lgkmcnt(14)
	global_store_short v[50:51], v89, off
	s_or_b64 exec, exec, s[4:5]
	v_cmp_gt_u32_e32 vcc, s33, v48
	s_and_saveexec_b64 s[4:5], vcc
	s_cbranch_execnz .LBB157_343
.LBB157_262:
	s_or_b64 exec, exec, s[4:5]
	v_cmp_gt_u32_e32 vcc, s33, v46
	s_and_saveexec_b64 s[4:5], vcc
	s_cbranch_execz .LBB157_348
.LBB157_263:
	v_cmp_ge_u32_e32 vcc, v46, v2
                                        ; implicit-def: $vgpr48_vgpr49
	s_and_saveexec_b64 s[6:7], vcc
	s_xor_b64 s[6:7], exec, s[6:7]
; %bb.264:
	v_xor_b32_e32 v46, 0xffffebff, v0
	v_ashrrev_i32_e32 v47, 31, v46
	v_lshl_add_u64 v[48:49], v[8:9], 0, v[46:47]
                                        ; implicit-def: $vgpr46_vgpr47
; %bb.265:
	s_andn2_saveexec_b64 s[6:7], s[6:7]
; %bb.266:
	v_lshl_add_u64 v[48:49], v[4:5], 0, v[46:47]
; %bb.267:
	s_or_b64 exec, exec, s[6:7]
	v_lshl_add_u64 v[46:47], v[48:49], 1, s[2:3]
	s_waitcnt lgkmcnt(14)
	global_store_short v[46:47], v87, off
	s_or_b64 exec, exec, s[4:5]
	v_cmp_gt_u32_e32 vcc, s33, v44
	s_and_saveexec_b64 s[4:5], vcc
	s_cbranch_execnz .LBB157_349
.LBB157_268:
	s_or_b64 exec, exec, s[4:5]
	v_cmp_gt_u32_e32 vcc, s33, v42
	s_and_saveexec_b64 s[4:5], vcc
	s_cbranch_execz .LBB157_354
.LBB157_269:
	v_cmp_ge_u32_e32 vcc, v42, v2
                                        ; implicit-def: $vgpr44_vgpr45
	s_and_saveexec_b64 s[6:7], vcc
	s_xor_b64 s[6:7], exec, s[6:7]
; %bb.270:
	v_xor_b32_e32 v42, 0xffffe7ff, v0
	v_ashrrev_i32_e32 v43, 31, v42
	v_lshl_add_u64 v[44:45], v[8:9], 0, v[42:43]
                                        ; implicit-def: $vgpr42_vgpr43
; %bb.271:
	s_andn2_saveexec_b64 s[6:7], s[6:7]
; %bb.272:
	v_lshl_add_u64 v[44:45], v[4:5], 0, v[42:43]
; %bb.273:
	s_or_b64 exec, exec, s[6:7]
	v_lshl_add_u64 v[42:43], v[44:45], 1, s[2:3]
	s_waitcnt lgkmcnt(14)
	global_store_short v[42:43], v85, off
	s_or_b64 exec, exec, s[4:5]
	v_cmp_gt_u32_e32 vcc, s33, v40
	s_and_saveexec_b64 s[4:5], vcc
	s_cbranch_execnz .LBB157_355
.LBB157_274:
	s_or_b64 exec, exec, s[4:5]
	v_cmp_gt_u32_e32 vcc, s33, v38
	s_and_saveexec_b64 s[4:5], vcc
	s_cbranch_execz .LBB157_360
.LBB157_275:
	v_cmp_ge_u32_e32 vcc, v38, v2
                                        ; implicit-def: $vgpr40_vgpr41
	s_and_saveexec_b64 s[6:7], vcc
	s_xor_b64 s[6:7], exec, s[6:7]
; %bb.276:
	v_xor_b32_e32 v38, 0xffffe3ff, v0
	v_ashrrev_i32_e32 v39, 31, v38
	v_lshl_add_u64 v[40:41], v[8:9], 0, v[38:39]
                                        ; implicit-def: $vgpr38_vgpr39
; %bb.277:
	s_andn2_saveexec_b64 s[6:7], s[6:7]
; %bb.278:
	v_lshl_add_u64 v[40:41], v[4:5], 0, v[38:39]
; %bb.279:
	s_or_b64 exec, exec, s[6:7]
	v_lshl_add_u64 v[38:39], v[40:41], 1, s[2:3]
	s_waitcnt lgkmcnt(14)
	global_store_short v[38:39], v83, off
	s_or_b64 exec, exec, s[4:5]
	v_cmp_gt_u32_e32 vcc, s33, v36
	s_and_saveexec_b64 s[4:5], vcc
	s_cbranch_execnz .LBB157_361
.LBB157_280:
	s_or_b64 exec, exec, s[4:5]
	v_cmp_gt_u32_e32 vcc, s33, v34
	s_and_saveexec_b64 s[4:5], vcc
	s_cbranch_execz .LBB157_366
.LBB157_281:
	v_cmp_ge_u32_e32 vcc, v34, v2
                                        ; implicit-def: $vgpr36_vgpr37
	s_and_saveexec_b64 s[6:7], vcc
	s_xor_b64 s[6:7], exec, s[6:7]
; %bb.282:
	v_xor_b32_e32 v34, 0xffffdfff, v0
	v_ashrrev_i32_e32 v35, 31, v34
	v_lshl_add_u64 v[36:37], v[8:9], 0, v[34:35]
                                        ; implicit-def: $vgpr34_vgpr35
; %bb.283:
	s_andn2_saveexec_b64 s[6:7], s[6:7]
; %bb.284:
	v_lshl_add_u64 v[36:37], v[4:5], 0, v[34:35]
; %bb.285:
	s_or_b64 exec, exec, s[6:7]
	v_lshl_add_u64 v[34:35], v[36:37], 1, s[2:3]
	s_waitcnt lgkmcnt(13)
	global_store_short v[34:35], v81, off
	s_or_b64 exec, exec, s[4:5]
	v_cmp_gt_u32_e32 vcc, s33, v32
	s_and_saveexec_b64 s[4:5], vcc
	s_cbranch_execnz .LBB157_367
.LBB157_286:
	s_or_b64 exec, exec, s[4:5]
	v_cmp_gt_u32_e32 vcc, s33, v30
	s_and_saveexec_b64 s[4:5], vcc
	s_cbranch_execz .LBB157_372
.LBB157_287:
	v_cmp_ge_u32_e32 vcc, v30, v2
                                        ; implicit-def: $vgpr32_vgpr33
	s_and_saveexec_b64 s[6:7], vcc
	s_xor_b64 s[6:7], exec, s[6:7]
; %bb.288:
	v_xor_b32_e32 v30, 0xffffdbff, v0
	v_ashrrev_i32_e32 v31, 31, v30
	v_lshl_add_u64 v[32:33], v[8:9], 0, v[30:31]
                                        ; implicit-def: $vgpr30_vgpr31
; %bb.289:
	s_andn2_saveexec_b64 s[6:7], s[6:7]
; %bb.290:
	v_lshl_add_u64 v[32:33], v[4:5], 0, v[30:31]
; %bb.291:
	s_or_b64 exec, exec, s[6:7]
	v_lshl_add_u64 v[30:31], v[32:33], 1, s[2:3]
	s_waitcnt lgkmcnt(11)
	global_store_short v[30:31], v79, off
	s_or_b64 exec, exec, s[4:5]
	v_cmp_gt_u32_e32 vcc, s33, v28
	s_and_saveexec_b64 s[4:5], vcc
	s_cbranch_execnz .LBB157_373
.LBB157_292:
	s_or_b64 exec, exec, s[4:5]
	v_cmp_gt_u32_e32 vcc, s33, v26
	s_and_saveexec_b64 s[4:5], vcc
	s_cbranch_execz .LBB157_378
.LBB157_293:
	v_cmp_ge_u32_e32 vcc, v26, v2
                                        ; implicit-def: $vgpr28_vgpr29
	s_and_saveexec_b64 s[6:7], vcc
	s_xor_b64 s[6:7], exec, s[6:7]
; %bb.294:
	v_xor_b32_e32 v26, 0xffffd7ff, v0
	v_ashrrev_i32_e32 v27, 31, v26
	v_lshl_add_u64 v[28:29], v[8:9], 0, v[26:27]
                                        ; implicit-def: $vgpr26_vgpr27
; %bb.295:
	s_andn2_saveexec_b64 s[6:7], s[6:7]
; %bb.296:
	v_lshl_add_u64 v[28:29], v[4:5], 0, v[26:27]
; %bb.297:
	s_or_b64 exec, exec, s[6:7]
	v_lshl_add_u64 v[26:27], v[28:29], 1, s[2:3]
	s_waitcnt lgkmcnt(9)
	global_store_short v[26:27], v77, off
	s_or_b64 exec, exec, s[4:5]
	v_cmp_gt_u32_e32 vcc, s33, v24
	s_and_saveexec_b64 s[4:5], vcc
	s_cbranch_execnz .LBB157_379
.LBB157_298:
	s_or_b64 exec, exec, s[4:5]
	v_cmp_gt_u32_e32 vcc, s33, v22
	s_and_saveexec_b64 s[4:5], vcc
	s_cbranch_execz .LBB157_384
.LBB157_299:
	v_cmp_ge_u32_e32 vcc, v22, v2
                                        ; implicit-def: $vgpr24_vgpr25
	s_and_saveexec_b64 s[6:7], vcc
	s_xor_b64 s[6:7], exec, s[6:7]
; %bb.300:
	v_xor_b32_e32 v22, 0xffffd3ff, v0
	v_ashrrev_i32_e32 v23, 31, v22
	v_lshl_add_u64 v[24:25], v[8:9], 0, v[22:23]
                                        ; implicit-def: $vgpr22_vgpr23
; %bb.301:
	s_andn2_saveexec_b64 s[6:7], s[6:7]
; %bb.302:
	v_lshl_add_u64 v[24:25], v[4:5], 0, v[22:23]
; %bb.303:
	s_or_b64 exec, exec, s[6:7]
	v_lshl_add_u64 v[22:23], v[24:25], 1, s[2:3]
	s_waitcnt lgkmcnt(7)
	global_store_short v[22:23], v75, off
	s_or_b64 exec, exec, s[4:5]
	v_cmp_gt_u32_e32 vcc, s33, v20
	s_and_saveexec_b64 s[4:5], vcc
	s_cbranch_execnz .LBB157_385
.LBB157_304:
	s_or_b64 exec, exec, s[4:5]
	v_cmp_gt_u32_e32 vcc, s33, v18
	s_and_saveexec_b64 s[4:5], vcc
	s_cbranch_execz .LBB157_390
.LBB157_305:
	v_cmp_ge_u32_e32 vcc, v18, v2
                                        ; implicit-def: $vgpr20_vgpr21
	s_and_saveexec_b64 s[6:7], vcc
	s_xor_b64 s[6:7], exec, s[6:7]
; %bb.306:
	v_xor_b32_e32 v18, 0xffffcfff, v0
	v_ashrrev_i32_e32 v19, 31, v18
	v_lshl_add_u64 v[20:21], v[8:9], 0, v[18:19]
                                        ; implicit-def: $vgpr18_vgpr19
; %bb.307:
	s_andn2_saveexec_b64 s[6:7], s[6:7]
; %bb.308:
	v_lshl_add_u64 v[20:21], v[4:5], 0, v[18:19]
; %bb.309:
	s_or_b64 exec, exec, s[6:7]
	v_lshl_add_u64 v[18:19], v[20:21], 1, s[2:3]
	s_waitcnt lgkmcnt(5)
	global_store_short v[18:19], v73, off
	s_or_b64 exec, exec, s[4:5]
	v_cmp_gt_u32_e32 vcc, s33, v16
	s_and_saveexec_b64 s[4:5], vcc
	s_cbranch_execnz .LBB157_391
.LBB157_310:
	s_or_b64 exec, exec, s[4:5]
	v_cmp_gt_u32_e32 vcc, s33, v14
	s_and_saveexec_b64 s[4:5], vcc
	s_cbranch_execz .LBB157_396
.LBB157_311:
	v_cmp_ge_u32_e32 vcc, v14, v2
                                        ; implicit-def: $vgpr16_vgpr17
	s_and_saveexec_b64 s[6:7], vcc
	s_xor_b64 s[6:7], exec, s[6:7]
; %bb.312:
	v_xor_b32_e32 v14, 0xffffcbff, v0
	v_ashrrev_i32_e32 v15, 31, v14
	v_lshl_add_u64 v[16:17], v[8:9], 0, v[14:15]
                                        ; implicit-def: $vgpr14_vgpr15
; %bb.313:
	s_andn2_saveexec_b64 s[6:7], s[6:7]
; %bb.314:
	v_lshl_add_u64 v[16:17], v[4:5], 0, v[14:15]
; %bb.315:
	s_or_b64 exec, exec, s[6:7]
	v_lshl_add_u64 v[14:15], v[16:17], 1, s[2:3]
	s_waitcnt lgkmcnt(3)
	global_store_short v[14:15], v71, off
	s_or_b64 exec, exec, s[4:5]
	v_cmp_gt_u32_e32 vcc, s33, v12
	s_and_saveexec_b64 s[4:5], vcc
	s_cbranch_execnz .LBB157_397
.LBB157_316:
	s_or_b64 exec, exec, s[4:5]
	v_cmp_gt_u32_e32 vcc, s33, v10
	s_and_saveexec_b64 s[4:5], vcc
	s_cbranch_execnz .LBB157_402
.LBB157_317:
	s_or_b64 exec, exec, s[4:5]
	v_cmp_gt_u32_e32 vcc, s33, v6
                                        ; implicit-def: $vgpr66_vgpr67
	s_and_saveexec_b64 s[4:5], vcc
	s_cbranch_execz .LBB157_412
	s_branch .LBB157_407
.LBB157_318:
	s_or_b64 exec, exec, s[4:5]
	v_cmp_gt_u32_e32 vcc, s33, v64
	s_and_saveexec_b64 s[4:5], vcc
	s_cbranch_execz .LBB157_238
.LBB157_319:
	v_cmp_ge_u32_e32 vcc, v64, v2
                                        ; implicit-def: $vgpr66_vgpr67
	s_and_saveexec_b64 s[6:7], vcc
	s_xor_b64 s[6:7], exec, s[6:7]
; %bb.320:
	v_xor_b32_e32 v64, 0xfffffdff, v0
	v_ashrrev_i32_e32 v65, 31, v64
	v_lshl_add_u64 v[66:67], v[8:9], 0, v[64:65]
                                        ; implicit-def: $vgpr64_vgpr65
; %bb.321:
	s_andn2_saveexec_b64 s[6:7], s[6:7]
; %bb.322:
	v_lshl_add_u64 v[66:67], v[4:5], 0, v[64:65]
; %bb.323:
	s_or_b64 exec, exec, s[6:7]
	v_lshl_add_u64 v[64:65], v[66:67], 1, s[2:3]
	s_waitcnt lgkmcnt(14)
	global_store_short v[64:65], v96, off
	s_or_b64 exec, exec, s[4:5]
	v_cmp_gt_u32_e32 vcc, s33, v62
	s_and_saveexec_b64 s[4:5], vcc
	s_cbranch_execnz .LBB157_239
.LBB157_324:
	s_or_b64 exec, exec, s[4:5]
	v_cmp_gt_u32_e32 vcc, s33, v60
	s_and_saveexec_b64 s[4:5], vcc
	s_cbranch_execz .LBB157_244
.LBB157_325:
	v_cmp_ge_u32_e32 vcc, v60, v2
                                        ; implicit-def: $vgpr62_vgpr63
	s_and_saveexec_b64 s[6:7], vcc
	s_xor_b64 s[6:7], exec, s[6:7]
; %bb.326:
	v_xor_b32_e32 v60, 0xfffff9ff, v0
	v_ashrrev_i32_e32 v61, 31, v60
	v_lshl_add_u64 v[62:63], v[8:9], 0, v[60:61]
                                        ; implicit-def: $vgpr60_vgpr61
; %bb.327:
	s_andn2_saveexec_b64 s[6:7], s[6:7]
; %bb.328:
	v_lshl_add_u64 v[62:63], v[4:5], 0, v[60:61]
; %bb.329:
	s_or_b64 exec, exec, s[6:7]
	v_lshl_add_u64 v[60:61], v[62:63], 1, s[2:3]
	s_waitcnt lgkmcnt(14)
	global_store_short v[60:61], v94, off
	s_or_b64 exec, exec, s[4:5]
	v_cmp_gt_u32_e32 vcc, s33, v58
	s_and_saveexec_b64 s[4:5], vcc
	s_cbranch_execnz .LBB157_245
.LBB157_330:
	s_or_b64 exec, exec, s[4:5]
	v_cmp_gt_u32_e32 vcc, s33, v56
	s_and_saveexec_b64 s[4:5], vcc
	s_cbranch_execz .LBB157_250
.LBB157_331:
	v_cmp_ge_u32_e32 vcc, v56, v2
                                        ; implicit-def: $vgpr58_vgpr59
	s_and_saveexec_b64 s[6:7], vcc
	s_xor_b64 s[6:7], exec, s[6:7]
; %bb.332:
	v_xor_b32_e32 v56, 0xfffff5ff, v0
	v_ashrrev_i32_e32 v57, 31, v56
	v_lshl_add_u64 v[58:59], v[8:9], 0, v[56:57]
                                        ; implicit-def: $vgpr56_vgpr57
; %bb.333:
	s_andn2_saveexec_b64 s[6:7], s[6:7]
; %bb.334:
	v_lshl_add_u64 v[58:59], v[4:5], 0, v[56:57]
; %bb.335:
	s_or_b64 exec, exec, s[6:7]
	v_lshl_add_u64 v[56:57], v[58:59], 1, s[2:3]
	s_waitcnt lgkmcnt(14)
	global_store_short v[56:57], v92, off
	s_or_b64 exec, exec, s[4:5]
	v_cmp_gt_u32_e32 vcc, s33, v54
	s_and_saveexec_b64 s[4:5], vcc
	s_cbranch_execnz .LBB157_251
.LBB157_336:
	s_or_b64 exec, exec, s[4:5]
	v_cmp_gt_u32_e32 vcc, s33, v52
	s_and_saveexec_b64 s[4:5], vcc
	s_cbranch_execz .LBB157_256
.LBB157_337:
	v_cmp_ge_u32_e32 vcc, v52, v2
                                        ; implicit-def: $vgpr54_vgpr55
	s_and_saveexec_b64 s[6:7], vcc
	s_xor_b64 s[6:7], exec, s[6:7]
; %bb.338:
	v_xor_b32_e32 v52, 0xfffff1ff, v0
	v_ashrrev_i32_e32 v53, 31, v52
	v_lshl_add_u64 v[54:55], v[8:9], 0, v[52:53]
                                        ; implicit-def: $vgpr52_vgpr53
; %bb.339:
	s_andn2_saveexec_b64 s[6:7], s[6:7]
; %bb.340:
	v_lshl_add_u64 v[54:55], v[4:5], 0, v[52:53]
; %bb.341:
	s_or_b64 exec, exec, s[6:7]
	v_lshl_add_u64 v[52:53], v[54:55], 1, s[2:3]
	s_waitcnt lgkmcnt(14)
	global_store_short v[52:53], v90, off
	s_or_b64 exec, exec, s[4:5]
	v_cmp_gt_u32_e32 vcc, s33, v50
	s_and_saveexec_b64 s[4:5], vcc
	s_cbranch_execnz .LBB157_257
.LBB157_342:
	s_or_b64 exec, exec, s[4:5]
	v_cmp_gt_u32_e32 vcc, s33, v48
	s_and_saveexec_b64 s[4:5], vcc
	s_cbranch_execz .LBB157_262
.LBB157_343:
	v_cmp_ge_u32_e32 vcc, v48, v2
                                        ; implicit-def: $vgpr50_vgpr51
	s_and_saveexec_b64 s[6:7], vcc
	s_xor_b64 s[6:7], exec, s[6:7]
; %bb.344:
	v_xor_b32_e32 v48, 0xffffedff, v0
	v_ashrrev_i32_e32 v49, 31, v48
	v_lshl_add_u64 v[50:51], v[8:9], 0, v[48:49]
                                        ; implicit-def: $vgpr48_vgpr49
; %bb.345:
	s_andn2_saveexec_b64 s[6:7], s[6:7]
; %bb.346:
	v_lshl_add_u64 v[50:51], v[4:5], 0, v[48:49]
; %bb.347:
	s_or_b64 exec, exec, s[6:7]
	v_lshl_add_u64 v[48:49], v[50:51], 1, s[2:3]
	s_waitcnt lgkmcnt(14)
	global_store_short v[48:49], v88, off
	s_or_b64 exec, exec, s[4:5]
	v_cmp_gt_u32_e32 vcc, s33, v46
	s_and_saveexec_b64 s[4:5], vcc
	s_cbranch_execnz .LBB157_263
.LBB157_348:
	s_or_b64 exec, exec, s[4:5]
	v_cmp_gt_u32_e32 vcc, s33, v44
	s_and_saveexec_b64 s[4:5], vcc
	s_cbranch_execz .LBB157_268
.LBB157_349:
	v_cmp_ge_u32_e32 vcc, v44, v2
                                        ; implicit-def: $vgpr46_vgpr47
	s_and_saveexec_b64 s[6:7], vcc
	s_xor_b64 s[6:7], exec, s[6:7]
; %bb.350:
	v_xor_b32_e32 v44, 0xffffe9ff, v0
	v_ashrrev_i32_e32 v45, 31, v44
	v_lshl_add_u64 v[46:47], v[8:9], 0, v[44:45]
                                        ; implicit-def: $vgpr44_vgpr45
; %bb.351:
	s_andn2_saveexec_b64 s[6:7], s[6:7]
; %bb.352:
	v_lshl_add_u64 v[46:47], v[4:5], 0, v[44:45]
; %bb.353:
	s_or_b64 exec, exec, s[6:7]
	v_lshl_add_u64 v[44:45], v[46:47], 1, s[2:3]
	s_waitcnt lgkmcnt(14)
	global_store_short v[44:45], v86, off
	s_or_b64 exec, exec, s[4:5]
	v_cmp_gt_u32_e32 vcc, s33, v42
	s_and_saveexec_b64 s[4:5], vcc
	s_cbranch_execnz .LBB157_269
.LBB157_354:
	s_or_b64 exec, exec, s[4:5]
	v_cmp_gt_u32_e32 vcc, s33, v40
	s_and_saveexec_b64 s[4:5], vcc
	s_cbranch_execz .LBB157_274
.LBB157_355:
	v_cmp_ge_u32_e32 vcc, v40, v2
                                        ; implicit-def: $vgpr42_vgpr43
	s_and_saveexec_b64 s[6:7], vcc
	s_xor_b64 s[6:7], exec, s[6:7]
; %bb.356:
	v_xor_b32_e32 v40, 0xffffe5ff, v0
	v_ashrrev_i32_e32 v41, 31, v40
	v_lshl_add_u64 v[42:43], v[8:9], 0, v[40:41]
                                        ; implicit-def: $vgpr40_vgpr41
; %bb.357:
	s_andn2_saveexec_b64 s[6:7], s[6:7]
; %bb.358:
	v_lshl_add_u64 v[42:43], v[4:5], 0, v[40:41]
; %bb.359:
	s_or_b64 exec, exec, s[6:7]
	v_lshl_add_u64 v[40:41], v[42:43], 1, s[2:3]
	s_waitcnt lgkmcnt(14)
	global_store_short v[40:41], v84, off
	s_or_b64 exec, exec, s[4:5]
	v_cmp_gt_u32_e32 vcc, s33, v38
	s_and_saveexec_b64 s[4:5], vcc
	s_cbranch_execnz .LBB157_275
.LBB157_360:
	s_or_b64 exec, exec, s[4:5]
	v_cmp_gt_u32_e32 vcc, s33, v36
	s_and_saveexec_b64 s[4:5], vcc
	s_cbranch_execz .LBB157_280
.LBB157_361:
	v_cmp_ge_u32_e32 vcc, v36, v2
                                        ; implicit-def: $vgpr38_vgpr39
	s_and_saveexec_b64 s[6:7], vcc
	s_xor_b64 s[6:7], exec, s[6:7]
; %bb.362:
	v_xor_b32_e32 v36, 0xffffe1ff, v0
	v_ashrrev_i32_e32 v37, 31, v36
	v_lshl_add_u64 v[38:39], v[8:9], 0, v[36:37]
                                        ; implicit-def: $vgpr36_vgpr37
; %bb.363:
	s_andn2_saveexec_b64 s[6:7], s[6:7]
; %bb.364:
	v_lshl_add_u64 v[38:39], v[4:5], 0, v[36:37]
; %bb.365:
	s_or_b64 exec, exec, s[6:7]
	v_lshl_add_u64 v[36:37], v[38:39], 1, s[2:3]
	s_waitcnt lgkmcnt(14)
	global_store_short v[36:37], v82, off
	s_or_b64 exec, exec, s[4:5]
	v_cmp_gt_u32_e32 vcc, s33, v34
	s_and_saveexec_b64 s[4:5], vcc
	s_cbranch_execnz .LBB157_281
.LBB157_366:
	s_or_b64 exec, exec, s[4:5]
	v_cmp_gt_u32_e32 vcc, s33, v32
	s_and_saveexec_b64 s[4:5], vcc
	s_cbranch_execz .LBB157_286
.LBB157_367:
	v_cmp_ge_u32_e32 vcc, v32, v2
                                        ; implicit-def: $vgpr34_vgpr35
	s_and_saveexec_b64 s[6:7], vcc
	s_xor_b64 s[6:7], exec, s[6:7]
; %bb.368:
	v_xor_b32_e32 v32, 0xffffddff, v0
	v_ashrrev_i32_e32 v33, 31, v32
	v_lshl_add_u64 v[34:35], v[8:9], 0, v[32:33]
                                        ; implicit-def: $vgpr32_vgpr33
; %bb.369:
	s_andn2_saveexec_b64 s[6:7], s[6:7]
; %bb.370:
	v_lshl_add_u64 v[34:35], v[4:5], 0, v[32:33]
; %bb.371:
	s_or_b64 exec, exec, s[6:7]
	v_lshl_add_u64 v[32:33], v[34:35], 1, s[2:3]
	s_waitcnt lgkmcnt(12)
	global_store_short v[32:33], v80, off
	s_or_b64 exec, exec, s[4:5]
	v_cmp_gt_u32_e32 vcc, s33, v30
	s_and_saveexec_b64 s[4:5], vcc
	s_cbranch_execnz .LBB157_287
.LBB157_372:
	s_or_b64 exec, exec, s[4:5]
	v_cmp_gt_u32_e32 vcc, s33, v28
	s_and_saveexec_b64 s[4:5], vcc
	s_cbranch_execz .LBB157_292
.LBB157_373:
	v_cmp_ge_u32_e32 vcc, v28, v2
                                        ; implicit-def: $vgpr30_vgpr31
	s_and_saveexec_b64 s[6:7], vcc
	s_xor_b64 s[6:7], exec, s[6:7]
; %bb.374:
	v_xor_b32_e32 v28, 0xffffd9ff, v0
	v_ashrrev_i32_e32 v29, 31, v28
	v_lshl_add_u64 v[30:31], v[8:9], 0, v[28:29]
                                        ; implicit-def: $vgpr28_vgpr29
; %bb.375:
	s_andn2_saveexec_b64 s[6:7], s[6:7]
; %bb.376:
	v_lshl_add_u64 v[30:31], v[4:5], 0, v[28:29]
; %bb.377:
	s_or_b64 exec, exec, s[6:7]
	v_lshl_add_u64 v[28:29], v[30:31], 1, s[2:3]
	s_waitcnt lgkmcnt(10)
	global_store_short v[28:29], v78, off
	s_or_b64 exec, exec, s[4:5]
	v_cmp_gt_u32_e32 vcc, s33, v26
	s_and_saveexec_b64 s[4:5], vcc
	s_cbranch_execnz .LBB157_293
.LBB157_378:
	s_or_b64 exec, exec, s[4:5]
	v_cmp_gt_u32_e32 vcc, s33, v24
	s_and_saveexec_b64 s[4:5], vcc
	s_cbranch_execz .LBB157_298
.LBB157_379:
	v_cmp_ge_u32_e32 vcc, v24, v2
                                        ; implicit-def: $vgpr26_vgpr27
	s_and_saveexec_b64 s[6:7], vcc
	s_xor_b64 s[6:7], exec, s[6:7]
; %bb.380:
	v_xor_b32_e32 v24, 0xffffd5ff, v0
	v_ashrrev_i32_e32 v25, 31, v24
	v_lshl_add_u64 v[26:27], v[8:9], 0, v[24:25]
                                        ; implicit-def: $vgpr24_vgpr25
; %bb.381:
	s_andn2_saveexec_b64 s[6:7], s[6:7]
; %bb.382:
	v_lshl_add_u64 v[26:27], v[4:5], 0, v[24:25]
; %bb.383:
	s_or_b64 exec, exec, s[6:7]
	v_lshl_add_u64 v[24:25], v[26:27], 1, s[2:3]
	s_waitcnt lgkmcnt(8)
	global_store_short v[24:25], v76, off
	s_or_b64 exec, exec, s[4:5]
	v_cmp_gt_u32_e32 vcc, s33, v22
	s_and_saveexec_b64 s[4:5], vcc
	s_cbranch_execnz .LBB157_299
.LBB157_384:
	s_or_b64 exec, exec, s[4:5]
	v_cmp_gt_u32_e32 vcc, s33, v20
	s_and_saveexec_b64 s[4:5], vcc
	s_cbranch_execz .LBB157_304
.LBB157_385:
	v_cmp_ge_u32_e32 vcc, v20, v2
                                        ; implicit-def: $vgpr22_vgpr23
	s_and_saveexec_b64 s[6:7], vcc
	s_xor_b64 s[6:7], exec, s[6:7]
; %bb.386:
	v_xor_b32_e32 v20, 0xffffd1ff, v0
	v_ashrrev_i32_e32 v21, 31, v20
	v_lshl_add_u64 v[22:23], v[8:9], 0, v[20:21]
                                        ; implicit-def: $vgpr20_vgpr21
; %bb.387:
	s_andn2_saveexec_b64 s[6:7], s[6:7]
; %bb.388:
	v_lshl_add_u64 v[22:23], v[4:5], 0, v[20:21]
; %bb.389:
	s_or_b64 exec, exec, s[6:7]
	v_lshl_add_u64 v[20:21], v[22:23], 1, s[2:3]
	s_waitcnt lgkmcnt(6)
	global_store_short v[20:21], v74, off
	s_or_b64 exec, exec, s[4:5]
	v_cmp_gt_u32_e32 vcc, s33, v18
	s_and_saveexec_b64 s[4:5], vcc
	s_cbranch_execnz .LBB157_305
.LBB157_390:
	s_or_b64 exec, exec, s[4:5]
	v_cmp_gt_u32_e32 vcc, s33, v16
	s_and_saveexec_b64 s[4:5], vcc
	s_cbranch_execz .LBB157_310
.LBB157_391:
	v_cmp_ge_u32_e32 vcc, v16, v2
                                        ; implicit-def: $vgpr18_vgpr19
	s_and_saveexec_b64 s[6:7], vcc
	s_xor_b64 s[6:7], exec, s[6:7]
; %bb.392:
	v_xor_b32_e32 v16, 0xffffcdff, v0
	v_ashrrev_i32_e32 v17, 31, v16
	v_lshl_add_u64 v[18:19], v[8:9], 0, v[16:17]
                                        ; implicit-def: $vgpr16_vgpr17
; %bb.393:
	s_andn2_saveexec_b64 s[6:7], s[6:7]
; %bb.394:
	v_lshl_add_u64 v[18:19], v[4:5], 0, v[16:17]
; %bb.395:
	s_or_b64 exec, exec, s[6:7]
	v_lshl_add_u64 v[16:17], v[18:19], 1, s[2:3]
	s_waitcnt lgkmcnt(4)
	global_store_short v[16:17], v72, off
	s_or_b64 exec, exec, s[4:5]
	v_cmp_gt_u32_e32 vcc, s33, v14
	s_and_saveexec_b64 s[4:5], vcc
	s_cbranch_execnz .LBB157_311
.LBB157_396:
	s_or_b64 exec, exec, s[4:5]
	v_cmp_gt_u32_e32 vcc, s33, v12
	s_and_saveexec_b64 s[4:5], vcc
	s_cbranch_execz .LBB157_316
.LBB157_397:
	v_cmp_ge_u32_e32 vcc, v12, v2
                                        ; implicit-def: $vgpr14_vgpr15
	s_and_saveexec_b64 s[6:7], vcc
	s_xor_b64 s[6:7], exec, s[6:7]
; %bb.398:
	v_xor_b32_e32 v12, 0xffffc9ff, v0
	v_ashrrev_i32_e32 v13, 31, v12
	v_lshl_add_u64 v[14:15], v[8:9], 0, v[12:13]
                                        ; implicit-def: $vgpr12_vgpr13
; %bb.399:
	s_andn2_saveexec_b64 s[6:7], s[6:7]
; %bb.400:
	v_lshl_add_u64 v[14:15], v[4:5], 0, v[12:13]
; %bb.401:
	s_or_b64 exec, exec, s[6:7]
	v_lshl_add_u64 v[12:13], v[14:15], 1, s[2:3]
	s_waitcnt lgkmcnt(2)
	global_store_short v[12:13], v70, off
	s_or_b64 exec, exec, s[4:5]
	v_cmp_gt_u32_e32 vcc, s33, v10
	s_and_saveexec_b64 s[4:5], vcc
	s_cbranch_execz .LBB157_317
.LBB157_402:
	v_cmp_ge_u32_e32 vcc, v10, v2
                                        ; implicit-def: $vgpr12_vgpr13
	s_and_saveexec_b64 s[6:7], vcc
	s_xor_b64 s[6:7], exec, s[6:7]
; %bb.403:
	v_xor_b32_e32 v10, 0xffffc7ff, v0
	v_ashrrev_i32_e32 v11, 31, v10
	v_lshl_add_u64 v[12:13], v[8:9], 0, v[10:11]
                                        ; implicit-def: $vgpr10_vgpr11
; %bb.404:
	s_andn2_saveexec_b64 s[6:7], s[6:7]
; %bb.405:
	v_lshl_add_u64 v[12:13], v[4:5], 0, v[10:11]
; %bb.406:
	s_or_b64 exec, exec, s[6:7]
	v_lshl_add_u64 v[10:11], v[12:13], 1, s[2:3]
	s_waitcnt lgkmcnt(1)
	global_store_short v[10:11], v69, off
	s_or_b64 exec, exec, s[4:5]
	v_cmp_gt_u32_e32 vcc, s33, v6
                                        ; implicit-def: $vgpr66_vgpr67
	s_and_saveexec_b64 s[4:5], vcc
	s_cbranch_execz .LBB157_412
.LBB157_407:
	v_cmp_ge_u32_e32 vcc, v6, v2
                                        ; implicit-def: $vgpr66_vgpr67
	s_and_saveexec_b64 s[6:7], vcc
	s_xor_b64 s[6:7], exec, s[6:7]
; %bb.408:
	v_xor_b32_e32 v6, 0xffffc5ff, v0
	v_ashrrev_i32_e32 v7, 31, v6
	v_lshl_add_u64 v[66:67], v[8:9], 0, v[6:7]
                                        ; implicit-def: $vgpr6_vgpr7
; %bb.409:
	s_andn2_saveexec_b64 s[6:7], s[6:7]
; %bb.410:
	v_lshl_add_u64 v[66:67], v[4:5], 0, v[6:7]
; %bb.411:
	s_or_b64 exec, exec, s[6:7]
	s_or_b64 s[0:1], s[0:1], exec
.LBB157_412:
	s_or_b64 exec, exec, s[4:5]
.LBB157_413:
	s_and_saveexec_b64 s[4:5], s[0:1]
	s_cbranch_execz .LBB157_415
; %bb.414:
	v_lshl_add_u64 v[6:7], v[66:67], 1, s[2:3]
	s_waitcnt lgkmcnt(0)
	global_store_short v[6:7], v68, off
.LBB157_415:
	s_or_b64 exec, exec, s[4:5]
	v_cmp_eq_u32_e32 vcc, 0, v0
	s_and_b64 s[0:1], vcc, s[26:27]
	s_and_saveexec_b64 s[2:3], s[0:1]
	s_cbranch_execz .LBB157_417
; %bb.416:
	v_mov_b32_e32 v6, 0
	v_lshl_add_u64 v[0:1], v[4:5], 0, v[2:3]
	global_store_dwordx2 v6, v[0:1], s[24:25]
.LBB157_417:
	s_endpgm
	.section	.rodata,"a",@progbits
	.p2align	6, 0x0
	.amdhsa_kernel _ZN7rocprim17ROCPRIM_400000_NS6detail17trampoline_kernelINS0_14default_configENS1_25partition_config_selectorILNS1_17partition_subalgoE3EsNS0_10empty_typeEbEEZZNS1_14partition_implILS5_3ELb0ES3_jN6thrust23THRUST_200600_302600_NS6detail15normal_iteratorINSA_7pointerIsNSA_11hip_rocprim3tagENSA_11use_defaultESG_EEEEPS6_SJ_NS0_5tupleIJPsSJ_EEENSK_IJSJ_SJ_EEES6_PlJ7is_evenIsEEEE10hipError_tPvRmT3_T4_T5_T6_T7_T9_mT8_P12ihipStream_tbDpT10_ENKUlT_T0_E_clISt17integral_constantIbLb1EES19_IbLb0EEEEDaS15_S16_EUlS15_E_NS1_11comp_targetILNS1_3genE5ELNS1_11target_archE942ELNS1_3gpuE9ELNS1_3repE0EEENS1_30default_config_static_selectorELNS0_4arch9wavefront6targetE1EEEvT1_
		.amdhsa_group_segment_fixed_size 30728
		.amdhsa_private_segment_fixed_size 0
		.amdhsa_kernarg_size 120
		.amdhsa_user_sgpr_count 2
		.amdhsa_user_sgpr_dispatch_ptr 0
		.amdhsa_user_sgpr_queue_ptr 0
		.amdhsa_user_sgpr_kernarg_segment_ptr 1
		.amdhsa_user_sgpr_dispatch_id 0
		.amdhsa_user_sgpr_kernarg_preload_length 0
		.amdhsa_user_sgpr_kernarg_preload_offset 0
		.amdhsa_user_sgpr_private_segment_size 0
		.amdhsa_uses_dynamic_stack 0
		.amdhsa_enable_private_segment 0
		.amdhsa_system_sgpr_workgroup_id_x 1
		.amdhsa_system_sgpr_workgroup_id_y 0
		.amdhsa_system_sgpr_workgroup_id_z 0
		.amdhsa_system_sgpr_workgroup_info 0
		.amdhsa_system_vgpr_workitem_id 0
		.amdhsa_next_free_vgpr 120
		.amdhsa_next_free_sgpr 46
		.amdhsa_accum_offset 120
		.amdhsa_reserve_vcc 1
		.amdhsa_float_round_mode_32 0
		.amdhsa_float_round_mode_16_64 0
		.amdhsa_float_denorm_mode_32 3
		.amdhsa_float_denorm_mode_16_64 3
		.amdhsa_dx10_clamp 1
		.amdhsa_ieee_mode 1
		.amdhsa_fp16_overflow 0
		.amdhsa_tg_split 0
		.amdhsa_exception_fp_ieee_invalid_op 0
		.amdhsa_exception_fp_denorm_src 0
		.amdhsa_exception_fp_ieee_div_zero 0
		.amdhsa_exception_fp_ieee_overflow 0
		.amdhsa_exception_fp_ieee_underflow 0
		.amdhsa_exception_fp_ieee_inexact 0
		.amdhsa_exception_int_div_zero 0
	.end_amdhsa_kernel
	.section	.text._ZN7rocprim17ROCPRIM_400000_NS6detail17trampoline_kernelINS0_14default_configENS1_25partition_config_selectorILNS1_17partition_subalgoE3EsNS0_10empty_typeEbEEZZNS1_14partition_implILS5_3ELb0ES3_jN6thrust23THRUST_200600_302600_NS6detail15normal_iteratorINSA_7pointerIsNSA_11hip_rocprim3tagENSA_11use_defaultESG_EEEEPS6_SJ_NS0_5tupleIJPsSJ_EEENSK_IJSJ_SJ_EEES6_PlJ7is_evenIsEEEE10hipError_tPvRmT3_T4_T5_T6_T7_T9_mT8_P12ihipStream_tbDpT10_ENKUlT_T0_E_clISt17integral_constantIbLb1EES19_IbLb0EEEEDaS15_S16_EUlS15_E_NS1_11comp_targetILNS1_3genE5ELNS1_11target_archE942ELNS1_3gpuE9ELNS1_3repE0EEENS1_30default_config_static_selectorELNS0_4arch9wavefront6targetE1EEEvT1_,"axG",@progbits,_ZN7rocprim17ROCPRIM_400000_NS6detail17trampoline_kernelINS0_14default_configENS1_25partition_config_selectorILNS1_17partition_subalgoE3EsNS0_10empty_typeEbEEZZNS1_14partition_implILS5_3ELb0ES3_jN6thrust23THRUST_200600_302600_NS6detail15normal_iteratorINSA_7pointerIsNSA_11hip_rocprim3tagENSA_11use_defaultESG_EEEEPS6_SJ_NS0_5tupleIJPsSJ_EEENSK_IJSJ_SJ_EEES6_PlJ7is_evenIsEEEE10hipError_tPvRmT3_T4_T5_T6_T7_T9_mT8_P12ihipStream_tbDpT10_ENKUlT_T0_E_clISt17integral_constantIbLb1EES19_IbLb0EEEEDaS15_S16_EUlS15_E_NS1_11comp_targetILNS1_3genE5ELNS1_11target_archE942ELNS1_3gpuE9ELNS1_3repE0EEENS1_30default_config_static_selectorELNS0_4arch9wavefront6targetE1EEEvT1_,comdat
.Lfunc_end157:
	.size	_ZN7rocprim17ROCPRIM_400000_NS6detail17trampoline_kernelINS0_14default_configENS1_25partition_config_selectorILNS1_17partition_subalgoE3EsNS0_10empty_typeEbEEZZNS1_14partition_implILS5_3ELb0ES3_jN6thrust23THRUST_200600_302600_NS6detail15normal_iteratorINSA_7pointerIsNSA_11hip_rocprim3tagENSA_11use_defaultESG_EEEEPS6_SJ_NS0_5tupleIJPsSJ_EEENSK_IJSJ_SJ_EEES6_PlJ7is_evenIsEEEE10hipError_tPvRmT3_T4_T5_T6_T7_T9_mT8_P12ihipStream_tbDpT10_ENKUlT_T0_E_clISt17integral_constantIbLb1EES19_IbLb0EEEEDaS15_S16_EUlS15_E_NS1_11comp_targetILNS1_3genE5ELNS1_11target_archE942ELNS1_3gpuE9ELNS1_3repE0EEENS1_30default_config_static_selectorELNS0_4arch9wavefront6targetE1EEEvT1_, .Lfunc_end157-_ZN7rocprim17ROCPRIM_400000_NS6detail17trampoline_kernelINS0_14default_configENS1_25partition_config_selectorILNS1_17partition_subalgoE3EsNS0_10empty_typeEbEEZZNS1_14partition_implILS5_3ELb0ES3_jN6thrust23THRUST_200600_302600_NS6detail15normal_iteratorINSA_7pointerIsNSA_11hip_rocprim3tagENSA_11use_defaultESG_EEEEPS6_SJ_NS0_5tupleIJPsSJ_EEENSK_IJSJ_SJ_EEES6_PlJ7is_evenIsEEEE10hipError_tPvRmT3_T4_T5_T6_T7_T9_mT8_P12ihipStream_tbDpT10_ENKUlT_T0_E_clISt17integral_constantIbLb1EES19_IbLb0EEEEDaS15_S16_EUlS15_E_NS1_11comp_targetILNS1_3genE5ELNS1_11target_archE942ELNS1_3gpuE9ELNS1_3repE0EEENS1_30default_config_static_selectorELNS0_4arch9wavefront6targetE1EEEvT1_
                                        ; -- End function
	.section	.AMDGPU.csdata,"",@progbits
; Kernel info:
; codeLenInByte = 12840
; NumSgprs: 52
; NumVgprs: 120
; NumAgprs: 0
; TotalNumVgprs: 120
; ScratchSize: 0
; MemoryBound: 0
; FloatMode: 240
; IeeeMode: 1
; LDSByteSize: 30728 bytes/workgroup (compile time only)
; SGPRBlocks: 6
; VGPRBlocks: 14
; NumSGPRsForWavesPerEU: 52
; NumVGPRsForWavesPerEU: 120
; AccumOffset: 120
; Occupancy: 4
; WaveLimiterHint : 1
; COMPUTE_PGM_RSRC2:SCRATCH_EN: 0
; COMPUTE_PGM_RSRC2:USER_SGPR: 2
; COMPUTE_PGM_RSRC2:TRAP_HANDLER: 0
; COMPUTE_PGM_RSRC2:TGID_X_EN: 1
; COMPUTE_PGM_RSRC2:TGID_Y_EN: 0
; COMPUTE_PGM_RSRC2:TGID_Z_EN: 0
; COMPUTE_PGM_RSRC2:TIDIG_COMP_CNT: 0
; COMPUTE_PGM_RSRC3_GFX90A:ACCUM_OFFSET: 29
; COMPUTE_PGM_RSRC3_GFX90A:TG_SPLIT: 0
	.section	.text._ZN7rocprim17ROCPRIM_400000_NS6detail17trampoline_kernelINS0_14default_configENS1_25partition_config_selectorILNS1_17partition_subalgoE3EsNS0_10empty_typeEbEEZZNS1_14partition_implILS5_3ELb0ES3_jN6thrust23THRUST_200600_302600_NS6detail15normal_iteratorINSA_7pointerIsNSA_11hip_rocprim3tagENSA_11use_defaultESG_EEEEPS6_SJ_NS0_5tupleIJPsSJ_EEENSK_IJSJ_SJ_EEES6_PlJ7is_evenIsEEEE10hipError_tPvRmT3_T4_T5_T6_T7_T9_mT8_P12ihipStream_tbDpT10_ENKUlT_T0_E_clISt17integral_constantIbLb1EES19_IbLb0EEEEDaS15_S16_EUlS15_E_NS1_11comp_targetILNS1_3genE4ELNS1_11target_archE910ELNS1_3gpuE8ELNS1_3repE0EEENS1_30default_config_static_selectorELNS0_4arch9wavefront6targetE1EEEvT1_,"axG",@progbits,_ZN7rocprim17ROCPRIM_400000_NS6detail17trampoline_kernelINS0_14default_configENS1_25partition_config_selectorILNS1_17partition_subalgoE3EsNS0_10empty_typeEbEEZZNS1_14partition_implILS5_3ELb0ES3_jN6thrust23THRUST_200600_302600_NS6detail15normal_iteratorINSA_7pointerIsNSA_11hip_rocprim3tagENSA_11use_defaultESG_EEEEPS6_SJ_NS0_5tupleIJPsSJ_EEENSK_IJSJ_SJ_EEES6_PlJ7is_evenIsEEEE10hipError_tPvRmT3_T4_T5_T6_T7_T9_mT8_P12ihipStream_tbDpT10_ENKUlT_T0_E_clISt17integral_constantIbLb1EES19_IbLb0EEEEDaS15_S16_EUlS15_E_NS1_11comp_targetILNS1_3genE4ELNS1_11target_archE910ELNS1_3gpuE8ELNS1_3repE0EEENS1_30default_config_static_selectorELNS0_4arch9wavefront6targetE1EEEvT1_,comdat
	.protected	_ZN7rocprim17ROCPRIM_400000_NS6detail17trampoline_kernelINS0_14default_configENS1_25partition_config_selectorILNS1_17partition_subalgoE3EsNS0_10empty_typeEbEEZZNS1_14partition_implILS5_3ELb0ES3_jN6thrust23THRUST_200600_302600_NS6detail15normal_iteratorINSA_7pointerIsNSA_11hip_rocprim3tagENSA_11use_defaultESG_EEEEPS6_SJ_NS0_5tupleIJPsSJ_EEENSK_IJSJ_SJ_EEES6_PlJ7is_evenIsEEEE10hipError_tPvRmT3_T4_T5_T6_T7_T9_mT8_P12ihipStream_tbDpT10_ENKUlT_T0_E_clISt17integral_constantIbLb1EES19_IbLb0EEEEDaS15_S16_EUlS15_E_NS1_11comp_targetILNS1_3genE4ELNS1_11target_archE910ELNS1_3gpuE8ELNS1_3repE0EEENS1_30default_config_static_selectorELNS0_4arch9wavefront6targetE1EEEvT1_ ; -- Begin function _ZN7rocprim17ROCPRIM_400000_NS6detail17trampoline_kernelINS0_14default_configENS1_25partition_config_selectorILNS1_17partition_subalgoE3EsNS0_10empty_typeEbEEZZNS1_14partition_implILS5_3ELb0ES3_jN6thrust23THRUST_200600_302600_NS6detail15normal_iteratorINSA_7pointerIsNSA_11hip_rocprim3tagENSA_11use_defaultESG_EEEEPS6_SJ_NS0_5tupleIJPsSJ_EEENSK_IJSJ_SJ_EEES6_PlJ7is_evenIsEEEE10hipError_tPvRmT3_T4_T5_T6_T7_T9_mT8_P12ihipStream_tbDpT10_ENKUlT_T0_E_clISt17integral_constantIbLb1EES19_IbLb0EEEEDaS15_S16_EUlS15_E_NS1_11comp_targetILNS1_3genE4ELNS1_11target_archE910ELNS1_3gpuE8ELNS1_3repE0EEENS1_30default_config_static_selectorELNS0_4arch9wavefront6targetE1EEEvT1_
	.globl	_ZN7rocprim17ROCPRIM_400000_NS6detail17trampoline_kernelINS0_14default_configENS1_25partition_config_selectorILNS1_17partition_subalgoE3EsNS0_10empty_typeEbEEZZNS1_14partition_implILS5_3ELb0ES3_jN6thrust23THRUST_200600_302600_NS6detail15normal_iteratorINSA_7pointerIsNSA_11hip_rocprim3tagENSA_11use_defaultESG_EEEEPS6_SJ_NS0_5tupleIJPsSJ_EEENSK_IJSJ_SJ_EEES6_PlJ7is_evenIsEEEE10hipError_tPvRmT3_T4_T5_T6_T7_T9_mT8_P12ihipStream_tbDpT10_ENKUlT_T0_E_clISt17integral_constantIbLb1EES19_IbLb0EEEEDaS15_S16_EUlS15_E_NS1_11comp_targetILNS1_3genE4ELNS1_11target_archE910ELNS1_3gpuE8ELNS1_3repE0EEENS1_30default_config_static_selectorELNS0_4arch9wavefront6targetE1EEEvT1_
	.p2align	8
	.type	_ZN7rocprim17ROCPRIM_400000_NS6detail17trampoline_kernelINS0_14default_configENS1_25partition_config_selectorILNS1_17partition_subalgoE3EsNS0_10empty_typeEbEEZZNS1_14partition_implILS5_3ELb0ES3_jN6thrust23THRUST_200600_302600_NS6detail15normal_iteratorINSA_7pointerIsNSA_11hip_rocprim3tagENSA_11use_defaultESG_EEEEPS6_SJ_NS0_5tupleIJPsSJ_EEENSK_IJSJ_SJ_EEES6_PlJ7is_evenIsEEEE10hipError_tPvRmT3_T4_T5_T6_T7_T9_mT8_P12ihipStream_tbDpT10_ENKUlT_T0_E_clISt17integral_constantIbLb1EES19_IbLb0EEEEDaS15_S16_EUlS15_E_NS1_11comp_targetILNS1_3genE4ELNS1_11target_archE910ELNS1_3gpuE8ELNS1_3repE0EEENS1_30default_config_static_selectorELNS0_4arch9wavefront6targetE1EEEvT1_,@function
_ZN7rocprim17ROCPRIM_400000_NS6detail17trampoline_kernelINS0_14default_configENS1_25partition_config_selectorILNS1_17partition_subalgoE3EsNS0_10empty_typeEbEEZZNS1_14partition_implILS5_3ELb0ES3_jN6thrust23THRUST_200600_302600_NS6detail15normal_iteratorINSA_7pointerIsNSA_11hip_rocprim3tagENSA_11use_defaultESG_EEEEPS6_SJ_NS0_5tupleIJPsSJ_EEENSK_IJSJ_SJ_EEES6_PlJ7is_evenIsEEEE10hipError_tPvRmT3_T4_T5_T6_T7_T9_mT8_P12ihipStream_tbDpT10_ENKUlT_T0_E_clISt17integral_constantIbLb1EES19_IbLb0EEEEDaS15_S16_EUlS15_E_NS1_11comp_targetILNS1_3genE4ELNS1_11target_archE910ELNS1_3gpuE8ELNS1_3repE0EEENS1_30default_config_static_selectorELNS0_4arch9wavefront6targetE1EEEvT1_: ; @_ZN7rocprim17ROCPRIM_400000_NS6detail17trampoline_kernelINS0_14default_configENS1_25partition_config_selectorILNS1_17partition_subalgoE3EsNS0_10empty_typeEbEEZZNS1_14partition_implILS5_3ELb0ES3_jN6thrust23THRUST_200600_302600_NS6detail15normal_iteratorINSA_7pointerIsNSA_11hip_rocprim3tagENSA_11use_defaultESG_EEEEPS6_SJ_NS0_5tupleIJPsSJ_EEENSK_IJSJ_SJ_EEES6_PlJ7is_evenIsEEEE10hipError_tPvRmT3_T4_T5_T6_T7_T9_mT8_P12ihipStream_tbDpT10_ENKUlT_T0_E_clISt17integral_constantIbLb1EES19_IbLb0EEEEDaS15_S16_EUlS15_E_NS1_11comp_targetILNS1_3genE4ELNS1_11target_archE910ELNS1_3gpuE8ELNS1_3repE0EEENS1_30default_config_static_selectorELNS0_4arch9wavefront6targetE1EEEvT1_
; %bb.0:
	.section	.rodata,"a",@progbits
	.p2align	6, 0x0
	.amdhsa_kernel _ZN7rocprim17ROCPRIM_400000_NS6detail17trampoline_kernelINS0_14default_configENS1_25partition_config_selectorILNS1_17partition_subalgoE3EsNS0_10empty_typeEbEEZZNS1_14partition_implILS5_3ELb0ES3_jN6thrust23THRUST_200600_302600_NS6detail15normal_iteratorINSA_7pointerIsNSA_11hip_rocprim3tagENSA_11use_defaultESG_EEEEPS6_SJ_NS0_5tupleIJPsSJ_EEENSK_IJSJ_SJ_EEES6_PlJ7is_evenIsEEEE10hipError_tPvRmT3_T4_T5_T6_T7_T9_mT8_P12ihipStream_tbDpT10_ENKUlT_T0_E_clISt17integral_constantIbLb1EES19_IbLb0EEEEDaS15_S16_EUlS15_E_NS1_11comp_targetILNS1_3genE4ELNS1_11target_archE910ELNS1_3gpuE8ELNS1_3repE0EEENS1_30default_config_static_selectorELNS0_4arch9wavefront6targetE1EEEvT1_
		.amdhsa_group_segment_fixed_size 0
		.amdhsa_private_segment_fixed_size 0
		.amdhsa_kernarg_size 120
		.amdhsa_user_sgpr_count 2
		.amdhsa_user_sgpr_dispatch_ptr 0
		.amdhsa_user_sgpr_queue_ptr 0
		.amdhsa_user_sgpr_kernarg_segment_ptr 1
		.amdhsa_user_sgpr_dispatch_id 0
		.amdhsa_user_sgpr_kernarg_preload_length 0
		.amdhsa_user_sgpr_kernarg_preload_offset 0
		.amdhsa_user_sgpr_private_segment_size 0
		.amdhsa_uses_dynamic_stack 0
		.amdhsa_enable_private_segment 0
		.amdhsa_system_sgpr_workgroup_id_x 1
		.amdhsa_system_sgpr_workgroup_id_y 0
		.amdhsa_system_sgpr_workgroup_id_z 0
		.amdhsa_system_sgpr_workgroup_info 0
		.amdhsa_system_vgpr_workitem_id 0
		.amdhsa_next_free_vgpr 1
		.amdhsa_next_free_sgpr 0
		.amdhsa_accum_offset 4
		.amdhsa_reserve_vcc 0
		.amdhsa_float_round_mode_32 0
		.amdhsa_float_round_mode_16_64 0
		.amdhsa_float_denorm_mode_32 3
		.amdhsa_float_denorm_mode_16_64 3
		.amdhsa_dx10_clamp 1
		.amdhsa_ieee_mode 1
		.amdhsa_fp16_overflow 0
		.amdhsa_tg_split 0
		.amdhsa_exception_fp_ieee_invalid_op 0
		.amdhsa_exception_fp_denorm_src 0
		.amdhsa_exception_fp_ieee_div_zero 0
		.amdhsa_exception_fp_ieee_overflow 0
		.amdhsa_exception_fp_ieee_underflow 0
		.amdhsa_exception_fp_ieee_inexact 0
		.amdhsa_exception_int_div_zero 0
	.end_amdhsa_kernel
	.section	.text._ZN7rocprim17ROCPRIM_400000_NS6detail17trampoline_kernelINS0_14default_configENS1_25partition_config_selectorILNS1_17partition_subalgoE3EsNS0_10empty_typeEbEEZZNS1_14partition_implILS5_3ELb0ES3_jN6thrust23THRUST_200600_302600_NS6detail15normal_iteratorINSA_7pointerIsNSA_11hip_rocprim3tagENSA_11use_defaultESG_EEEEPS6_SJ_NS0_5tupleIJPsSJ_EEENSK_IJSJ_SJ_EEES6_PlJ7is_evenIsEEEE10hipError_tPvRmT3_T4_T5_T6_T7_T9_mT8_P12ihipStream_tbDpT10_ENKUlT_T0_E_clISt17integral_constantIbLb1EES19_IbLb0EEEEDaS15_S16_EUlS15_E_NS1_11comp_targetILNS1_3genE4ELNS1_11target_archE910ELNS1_3gpuE8ELNS1_3repE0EEENS1_30default_config_static_selectorELNS0_4arch9wavefront6targetE1EEEvT1_,"axG",@progbits,_ZN7rocprim17ROCPRIM_400000_NS6detail17trampoline_kernelINS0_14default_configENS1_25partition_config_selectorILNS1_17partition_subalgoE3EsNS0_10empty_typeEbEEZZNS1_14partition_implILS5_3ELb0ES3_jN6thrust23THRUST_200600_302600_NS6detail15normal_iteratorINSA_7pointerIsNSA_11hip_rocprim3tagENSA_11use_defaultESG_EEEEPS6_SJ_NS0_5tupleIJPsSJ_EEENSK_IJSJ_SJ_EEES6_PlJ7is_evenIsEEEE10hipError_tPvRmT3_T4_T5_T6_T7_T9_mT8_P12ihipStream_tbDpT10_ENKUlT_T0_E_clISt17integral_constantIbLb1EES19_IbLb0EEEEDaS15_S16_EUlS15_E_NS1_11comp_targetILNS1_3genE4ELNS1_11target_archE910ELNS1_3gpuE8ELNS1_3repE0EEENS1_30default_config_static_selectorELNS0_4arch9wavefront6targetE1EEEvT1_,comdat
.Lfunc_end158:
	.size	_ZN7rocprim17ROCPRIM_400000_NS6detail17trampoline_kernelINS0_14default_configENS1_25partition_config_selectorILNS1_17partition_subalgoE3EsNS0_10empty_typeEbEEZZNS1_14partition_implILS5_3ELb0ES3_jN6thrust23THRUST_200600_302600_NS6detail15normal_iteratorINSA_7pointerIsNSA_11hip_rocprim3tagENSA_11use_defaultESG_EEEEPS6_SJ_NS0_5tupleIJPsSJ_EEENSK_IJSJ_SJ_EEES6_PlJ7is_evenIsEEEE10hipError_tPvRmT3_T4_T5_T6_T7_T9_mT8_P12ihipStream_tbDpT10_ENKUlT_T0_E_clISt17integral_constantIbLb1EES19_IbLb0EEEEDaS15_S16_EUlS15_E_NS1_11comp_targetILNS1_3genE4ELNS1_11target_archE910ELNS1_3gpuE8ELNS1_3repE0EEENS1_30default_config_static_selectorELNS0_4arch9wavefront6targetE1EEEvT1_, .Lfunc_end158-_ZN7rocprim17ROCPRIM_400000_NS6detail17trampoline_kernelINS0_14default_configENS1_25partition_config_selectorILNS1_17partition_subalgoE3EsNS0_10empty_typeEbEEZZNS1_14partition_implILS5_3ELb0ES3_jN6thrust23THRUST_200600_302600_NS6detail15normal_iteratorINSA_7pointerIsNSA_11hip_rocprim3tagENSA_11use_defaultESG_EEEEPS6_SJ_NS0_5tupleIJPsSJ_EEENSK_IJSJ_SJ_EEES6_PlJ7is_evenIsEEEE10hipError_tPvRmT3_T4_T5_T6_T7_T9_mT8_P12ihipStream_tbDpT10_ENKUlT_T0_E_clISt17integral_constantIbLb1EES19_IbLb0EEEEDaS15_S16_EUlS15_E_NS1_11comp_targetILNS1_3genE4ELNS1_11target_archE910ELNS1_3gpuE8ELNS1_3repE0EEENS1_30default_config_static_selectorELNS0_4arch9wavefront6targetE1EEEvT1_
                                        ; -- End function
	.section	.AMDGPU.csdata,"",@progbits
; Kernel info:
; codeLenInByte = 0
; NumSgprs: 6
; NumVgprs: 0
; NumAgprs: 0
; TotalNumVgprs: 0
; ScratchSize: 0
; MemoryBound: 0
; FloatMode: 240
; IeeeMode: 1
; LDSByteSize: 0 bytes/workgroup (compile time only)
; SGPRBlocks: 0
; VGPRBlocks: 0
; NumSGPRsForWavesPerEU: 6
; NumVGPRsForWavesPerEU: 1
; AccumOffset: 4
; Occupancy: 8
; WaveLimiterHint : 0
; COMPUTE_PGM_RSRC2:SCRATCH_EN: 0
; COMPUTE_PGM_RSRC2:USER_SGPR: 2
; COMPUTE_PGM_RSRC2:TRAP_HANDLER: 0
; COMPUTE_PGM_RSRC2:TGID_X_EN: 1
; COMPUTE_PGM_RSRC2:TGID_Y_EN: 0
; COMPUTE_PGM_RSRC2:TGID_Z_EN: 0
; COMPUTE_PGM_RSRC2:TIDIG_COMP_CNT: 0
; COMPUTE_PGM_RSRC3_GFX90A:ACCUM_OFFSET: 0
; COMPUTE_PGM_RSRC3_GFX90A:TG_SPLIT: 0
	.section	.text._ZN7rocprim17ROCPRIM_400000_NS6detail17trampoline_kernelINS0_14default_configENS1_25partition_config_selectorILNS1_17partition_subalgoE3EsNS0_10empty_typeEbEEZZNS1_14partition_implILS5_3ELb0ES3_jN6thrust23THRUST_200600_302600_NS6detail15normal_iteratorINSA_7pointerIsNSA_11hip_rocprim3tagENSA_11use_defaultESG_EEEEPS6_SJ_NS0_5tupleIJPsSJ_EEENSK_IJSJ_SJ_EEES6_PlJ7is_evenIsEEEE10hipError_tPvRmT3_T4_T5_T6_T7_T9_mT8_P12ihipStream_tbDpT10_ENKUlT_T0_E_clISt17integral_constantIbLb1EES19_IbLb0EEEEDaS15_S16_EUlS15_E_NS1_11comp_targetILNS1_3genE3ELNS1_11target_archE908ELNS1_3gpuE7ELNS1_3repE0EEENS1_30default_config_static_selectorELNS0_4arch9wavefront6targetE1EEEvT1_,"axG",@progbits,_ZN7rocprim17ROCPRIM_400000_NS6detail17trampoline_kernelINS0_14default_configENS1_25partition_config_selectorILNS1_17partition_subalgoE3EsNS0_10empty_typeEbEEZZNS1_14partition_implILS5_3ELb0ES3_jN6thrust23THRUST_200600_302600_NS6detail15normal_iteratorINSA_7pointerIsNSA_11hip_rocprim3tagENSA_11use_defaultESG_EEEEPS6_SJ_NS0_5tupleIJPsSJ_EEENSK_IJSJ_SJ_EEES6_PlJ7is_evenIsEEEE10hipError_tPvRmT3_T4_T5_T6_T7_T9_mT8_P12ihipStream_tbDpT10_ENKUlT_T0_E_clISt17integral_constantIbLb1EES19_IbLb0EEEEDaS15_S16_EUlS15_E_NS1_11comp_targetILNS1_3genE3ELNS1_11target_archE908ELNS1_3gpuE7ELNS1_3repE0EEENS1_30default_config_static_selectorELNS0_4arch9wavefront6targetE1EEEvT1_,comdat
	.protected	_ZN7rocprim17ROCPRIM_400000_NS6detail17trampoline_kernelINS0_14default_configENS1_25partition_config_selectorILNS1_17partition_subalgoE3EsNS0_10empty_typeEbEEZZNS1_14partition_implILS5_3ELb0ES3_jN6thrust23THRUST_200600_302600_NS6detail15normal_iteratorINSA_7pointerIsNSA_11hip_rocprim3tagENSA_11use_defaultESG_EEEEPS6_SJ_NS0_5tupleIJPsSJ_EEENSK_IJSJ_SJ_EEES6_PlJ7is_evenIsEEEE10hipError_tPvRmT3_T4_T5_T6_T7_T9_mT8_P12ihipStream_tbDpT10_ENKUlT_T0_E_clISt17integral_constantIbLb1EES19_IbLb0EEEEDaS15_S16_EUlS15_E_NS1_11comp_targetILNS1_3genE3ELNS1_11target_archE908ELNS1_3gpuE7ELNS1_3repE0EEENS1_30default_config_static_selectorELNS0_4arch9wavefront6targetE1EEEvT1_ ; -- Begin function _ZN7rocprim17ROCPRIM_400000_NS6detail17trampoline_kernelINS0_14default_configENS1_25partition_config_selectorILNS1_17partition_subalgoE3EsNS0_10empty_typeEbEEZZNS1_14partition_implILS5_3ELb0ES3_jN6thrust23THRUST_200600_302600_NS6detail15normal_iteratorINSA_7pointerIsNSA_11hip_rocprim3tagENSA_11use_defaultESG_EEEEPS6_SJ_NS0_5tupleIJPsSJ_EEENSK_IJSJ_SJ_EEES6_PlJ7is_evenIsEEEE10hipError_tPvRmT3_T4_T5_T6_T7_T9_mT8_P12ihipStream_tbDpT10_ENKUlT_T0_E_clISt17integral_constantIbLb1EES19_IbLb0EEEEDaS15_S16_EUlS15_E_NS1_11comp_targetILNS1_3genE3ELNS1_11target_archE908ELNS1_3gpuE7ELNS1_3repE0EEENS1_30default_config_static_selectorELNS0_4arch9wavefront6targetE1EEEvT1_
	.globl	_ZN7rocprim17ROCPRIM_400000_NS6detail17trampoline_kernelINS0_14default_configENS1_25partition_config_selectorILNS1_17partition_subalgoE3EsNS0_10empty_typeEbEEZZNS1_14partition_implILS5_3ELb0ES3_jN6thrust23THRUST_200600_302600_NS6detail15normal_iteratorINSA_7pointerIsNSA_11hip_rocprim3tagENSA_11use_defaultESG_EEEEPS6_SJ_NS0_5tupleIJPsSJ_EEENSK_IJSJ_SJ_EEES6_PlJ7is_evenIsEEEE10hipError_tPvRmT3_T4_T5_T6_T7_T9_mT8_P12ihipStream_tbDpT10_ENKUlT_T0_E_clISt17integral_constantIbLb1EES19_IbLb0EEEEDaS15_S16_EUlS15_E_NS1_11comp_targetILNS1_3genE3ELNS1_11target_archE908ELNS1_3gpuE7ELNS1_3repE0EEENS1_30default_config_static_selectorELNS0_4arch9wavefront6targetE1EEEvT1_
	.p2align	8
	.type	_ZN7rocprim17ROCPRIM_400000_NS6detail17trampoline_kernelINS0_14default_configENS1_25partition_config_selectorILNS1_17partition_subalgoE3EsNS0_10empty_typeEbEEZZNS1_14partition_implILS5_3ELb0ES3_jN6thrust23THRUST_200600_302600_NS6detail15normal_iteratorINSA_7pointerIsNSA_11hip_rocprim3tagENSA_11use_defaultESG_EEEEPS6_SJ_NS0_5tupleIJPsSJ_EEENSK_IJSJ_SJ_EEES6_PlJ7is_evenIsEEEE10hipError_tPvRmT3_T4_T5_T6_T7_T9_mT8_P12ihipStream_tbDpT10_ENKUlT_T0_E_clISt17integral_constantIbLb1EES19_IbLb0EEEEDaS15_S16_EUlS15_E_NS1_11comp_targetILNS1_3genE3ELNS1_11target_archE908ELNS1_3gpuE7ELNS1_3repE0EEENS1_30default_config_static_selectorELNS0_4arch9wavefront6targetE1EEEvT1_,@function
_ZN7rocprim17ROCPRIM_400000_NS6detail17trampoline_kernelINS0_14default_configENS1_25partition_config_selectorILNS1_17partition_subalgoE3EsNS0_10empty_typeEbEEZZNS1_14partition_implILS5_3ELb0ES3_jN6thrust23THRUST_200600_302600_NS6detail15normal_iteratorINSA_7pointerIsNSA_11hip_rocprim3tagENSA_11use_defaultESG_EEEEPS6_SJ_NS0_5tupleIJPsSJ_EEENSK_IJSJ_SJ_EEES6_PlJ7is_evenIsEEEE10hipError_tPvRmT3_T4_T5_T6_T7_T9_mT8_P12ihipStream_tbDpT10_ENKUlT_T0_E_clISt17integral_constantIbLb1EES19_IbLb0EEEEDaS15_S16_EUlS15_E_NS1_11comp_targetILNS1_3genE3ELNS1_11target_archE908ELNS1_3gpuE7ELNS1_3repE0EEENS1_30default_config_static_selectorELNS0_4arch9wavefront6targetE1EEEvT1_: ; @_ZN7rocprim17ROCPRIM_400000_NS6detail17trampoline_kernelINS0_14default_configENS1_25partition_config_selectorILNS1_17partition_subalgoE3EsNS0_10empty_typeEbEEZZNS1_14partition_implILS5_3ELb0ES3_jN6thrust23THRUST_200600_302600_NS6detail15normal_iteratorINSA_7pointerIsNSA_11hip_rocprim3tagENSA_11use_defaultESG_EEEEPS6_SJ_NS0_5tupleIJPsSJ_EEENSK_IJSJ_SJ_EEES6_PlJ7is_evenIsEEEE10hipError_tPvRmT3_T4_T5_T6_T7_T9_mT8_P12ihipStream_tbDpT10_ENKUlT_T0_E_clISt17integral_constantIbLb1EES19_IbLb0EEEEDaS15_S16_EUlS15_E_NS1_11comp_targetILNS1_3genE3ELNS1_11target_archE908ELNS1_3gpuE7ELNS1_3repE0EEENS1_30default_config_static_selectorELNS0_4arch9wavefront6targetE1EEEvT1_
; %bb.0:
	.section	.rodata,"a",@progbits
	.p2align	6, 0x0
	.amdhsa_kernel _ZN7rocprim17ROCPRIM_400000_NS6detail17trampoline_kernelINS0_14default_configENS1_25partition_config_selectorILNS1_17partition_subalgoE3EsNS0_10empty_typeEbEEZZNS1_14partition_implILS5_3ELb0ES3_jN6thrust23THRUST_200600_302600_NS6detail15normal_iteratorINSA_7pointerIsNSA_11hip_rocprim3tagENSA_11use_defaultESG_EEEEPS6_SJ_NS0_5tupleIJPsSJ_EEENSK_IJSJ_SJ_EEES6_PlJ7is_evenIsEEEE10hipError_tPvRmT3_T4_T5_T6_T7_T9_mT8_P12ihipStream_tbDpT10_ENKUlT_T0_E_clISt17integral_constantIbLb1EES19_IbLb0EEEEDaS15_S16_EUlS15_E_NS1_11comp_targetILNS1_3genE3ELNS1_11target_archE908ELNS1_3gpuE7ELNS1_3repE0EEENS1_30default_config_static_selectorELNS0_4arch9wavefront6targetE1EEEvT1_
		.amdhsa_group_segment_fixed_size 0
		.amdhsa_private_segment_fixed_size 0
		.amdhsa_kernarg_size 120
		.amdhsa_user_sgpr_count 2
		.amdhsa_user_sgpr_dispatch_ptr 0
		.amdhsa_user_sgpr_queue_ptr 0
		.amdhsa_user_sgpr_kernarg_segment_ptr 1
		.amdhsa_user_sgpr_dispatch_id 0
		.amdhsa_user_sgpr_kernarg_preload_length 0
		.amdhsa_user_sgpr_kernarg_preload_offset 0
		.amdhsa_user_sgpr_private_segment_size 0
		.amdhsa_uses_dynamic_stack 0
		.amdhsa_enable_private_segment 0
		.amdhsa_system_sgpr_workgroup_id_x 1
		.amdhsa_system_sgpr_workgroup_id_y 0
		.amdhsa_system_sgpr_workgroup_id_z 0
		.amdhsa_system_sgpr_workgroup_info 0
		.amdhsa_system_vgpr_workitem_id 0
		.amdhsa_next_free_vgpr 1
		.amdhsa_next_free_sgpr 0
		.amdhsa_accum_offset 4
		.amdhsa_reserve_vcc 0
		.amdhsa_float_round_mode_32 0
		.amdhsa_float_round_mode_16_64 0
		.amdhsa_float_denorm_mode_32 3
		.amdhsa_float_denorm_mode_16_64 3
		.amdhsa_dx10_clamp 1
		.amdhsa_ieee_mode 1
		.amdhsa_fp16_overflow 0
		.amdhsa_tg_split 0
		.amdhsa_exception_fp_ieee_invalid_op 0
		.amdhsa_exception_fp_denorm_src 0
		.amdhsa_exception_fp_ieee_div_zero 0
		.amdhsa_exception_fp_ieee_overflow 0
		.amdhsa_exception_fp_ieee_underflow 0
		.amdhsa_exception_fp_ieee_inexact 0
		.amdhsa_exception_int_div_zero 0
	.end_amdhsa_kernel
	.section	.text._ZN7rocprim17ROCPRIM_400000_NS6detail17trampoline_kernelINS0_14default_configENS1_25partition_config_selectorILNS1_17partition_subalgoE3EsNS0_10empty_typeEbEEZZNS1_14partition_implILS5_3ELb0ES3_jN6thrust23THRUST_200600_302600_NS6detail15normal_iteratorINSA_7pointerIsNSA_11hip_rocprim3tagENSA_11use_defaultESG_EEEEPS6_SJ_NS0_5tupleIJPsSJ_EEENSK_IJSJ_SJ_EEES6_PlJ7is_evenIsEEEE10hipError_tPvRmT3_T4_T5_T6_T7_T9_mT8_P12ihipStream_tbDpT10_ENKUlT_T0_E_clISt17integral_constantIbLb1EES19_IbLb0EEEEDaS15_S16_EUlS15_E_NS1_11comp_targetILNS1_3genE3ELNS1_11target_archE908ELNS1_3gpuE7ELNS1_3repE0EEENS1_30default_config_static_selectorELNS0_4arch9wavefront6targetE1EEEvT1_,"axG",@progbits,_ZN7rocprim17ROCPRIM_400000_NS6detail17trampoline_kernelINS0_14default_configENS1_25partition_config_selectorILNS1_17partition_subalgoE3EsNS0_10empty_typeEbEEZZNS1_14partition_implILS5_3ELb0ES3_jN6thrust23THRUST_200600_302600_NS6detail15normal_iteratorINSA_7pointerIsNSA_11hip_rocprim3tagENSA_11use_defaultESG_EEEEPS6_SJ_NS0_5tupleIJPsSJ_EEENSK_IJSJ_SJ_EEES6_PlJ7is_evenIsEEEE10hipError_tPvRmT3_T4_T5_T6_T7_T9_mT8_P12ihipStream_tbDpT10_ENKUlT_T0_E_clISt17integral_constantIbLb1EES19_IbLb0EEEEDaS15_S16_EUlS15_E_NS1_11comp_targetILNS1_3genE3ELNS1_11target_archE908ELNS1_3gpuE7ELNS1_3repE0EEENS1_30default_config_static_selectorELNS0_4arch9wavefront6targetE1EEEvT1_,comdat
.Lfunc_end159:
	.size	_ZN7rocprim17ROCPRIM_400000_NS6detail17trampoline_kernelINS0_14default_configENS1_25partition_config_selectorILNS1_17partition_subalgoE3EsNS0_10empty_typeEbEEZZNS1_14partition_implILS5_3ELb0ES3_jN6thrust23THRUST_200600_302600_NS6detail15normal_iteratorINSA_7pointerIsNSA_11hip_rocprim3tagENSA_11use_defaultESG_EEEEPS6_SJ_NS0_5tupleIJPsSJ_EEENSK_IJSJ_SJ_EEES6_PlJ7is_evenIsEEEE10hipError_tPvRmT3_T4_T5_T6_T7_T9_mT8_P12ihipStream_tbDpT10_ENKUlT_T0_E_clISt17integral_constantIbLb1EES19_IbLb0EEEEDaS15_S16_EUlS15_E_NS1_11comp_targetILNS1_3genE3ELNS1_11target_archE908ELNS1_3gpuE7ELNS1_3repE0EEENS1_30default_config_static_selectorELNS0_4arch9wavefront6targetE1EEEvT1_, .Lfunc_end159-_ZN7rocprim17ROCPRIM_400000_NS6detail17trampoline_kernelINS0_14default_configENS1_25partition_config_selectorILNS1_17partition_subalgoE3EsNS0_10empty_typeEbEEZZNS1_14partition_implILS5_3ELb0ES3_jN6thrust23THRUST_200600_302600_NS6detail15normal_iteratorINSA_7pointerIsNSA_11hip_rocprim3tagENSA_11use_defaultESG_EEEEPS6_SJ_NS0_5tupleIJPsSJ_EEENSK_IJSJ_SJ_EEES6_PlJ7is_evenIsEEEE10hipError_tPvRmT3_T4_T5_T6_T7_T9_mT8_P12ihipStream_tbDpT10_ENKUlT_T0_E_clISt17integral_constantIbLb1EES19_IbLb0EEEEDaS15_S16_EUlS15_E_NS1_11comp_targetILNS1_3genE3ELNS1_11target_archE908ELNS1_3gpuE7ELNS1_3repE0EEENS1_30default_config_static_selectorELNS0_4arch9wavefront6targetE1EEEvT1_
                                        ; -- End function
	.section	.AMDGPU.csdata,"",@progbits
; Kernel info:
; codeLenInByte = 0
; NumSgprs: 6
; NumVgprs: 0
; NumAgprs: 0
; TotalNumVgprs: 0
; ScratchSize: 0
; MemoryBound: 0
; FloatMode: 240
; IeeeMode: 1
; LDSByteSize: 0 bytes/workgroup (compile time only)
; SGPRBlocks: 0
; VGPRBlocks: 0
; NumSGPRsForWavesPerEU: 6
; NumVGPRsForWavesPerEU: 1
; AccumOffset: 4
; Occupancy: 8
; WaveLimiterHint : 0
; COMPUTE_PGM_RSRC2:SCRATCH_EN: 0
; COMPUTE_PGM_RSRC2:USER_SGPR: 2
; COMPUTE_PGM_RSRC2:TRAP_HANDLER: 0
; COMPUTE_PGM_RSRC2:TGID_X_EN: 1
; COMPUTE_PGM_RSRC2:TGID_Y_EN: 0
; COMPUTE_PGM_RSRC2:TGID_Z_EN: 0
; COMPUTE_PGM_RSRC2:TIDIG_COMP_CNT: 0
; COMPUTE_PGM_RSRC3_GFX90A:ACCUM_OFFSET: 0
; COMPUTE_PGM_RSRC3_GFX90A:TG_SPLIT: 0
	.section	.text._ZN7rocprim17ROCPRIM_400000_NS6detail17trampoline_kernelINS0_14default_configENS1_25partition_config_selectorILNS1_17partition_subalgoE3EsNS0_10empty_typeEbEEZZNS1_14partition_implILS5_3ELb0ES3_jN6thrust23THRUST_200600_302600_NS6detail15normal_iteratorINSA_7pointerIsNSA_11hip_rocprim3tagENSA_11use_defaultESG_EEEEPS6_SJ_NS0_5tupleIJPsSJ_EEENSK_IJSJ_SJ_EEES6_PlJ7is_evenIsEEEE10hipError_tPvRmT3_T4_T5_T6_T7_T9_mT8_P12ihipStream_tbDpT10_ENKUlT_T0_E_clISt17integral_constantIbLb1EES19_IbLb0EEEEDaS15_S16_EUlS15_E_NS1_11comp_targetILNS1_3genE2ELNS1_11target_archE906ELNS1_3gpuE6ELNS1_3repE0EEENS1_30default_config_static_selectorELNS0_4arch9wavefront6targetE1EEEvT1_,"axG",@progbits,_ZN7rocprim17ROCPRIM_400000_NS6detail17trampoline_kernelINS0_14default_configENS1_25partition_config_selectorILNS1_17partition_subalgoE3EsNS0_10empty_typeEbEEZZNS1_14partition_implILS5_3ELb0ES3_jN6thrust23THRUST_200600_302600_NS6detail15normal_iteratorINSA_7pointerIsNSA_11hip_rocprim3tagENSA_11use_defaultESG_EEEEPS6_SJ_NS0_5tupleIJPsSJ_EEENSK_IJSJ_SJ_EEES6_PlJ7is_evenIsEEEE10hipError_tPvRmT3_T4_T5_T6_T7_T9_mT8_P12ihipStream_tbDpT10_ENKUlT_T0_E_clISt17integral_constantIbLb1EES19_IbLb0EEEEDaS15_S16_EUlS15_E_NS1_11comp_targetILNS1_3genE2ELNS1_11target_archE906ELNS1_3gpuE6ELNS1_3repE0EEENS1_30default_config_static_selectorELNS0_4arch9wavefront6targetE1EEEvT1_,comdat
	.protected	_ZN7rocprim17ROCPRIM_400000_NS6detail17trampoline_kernelINS0_14default_configENS1_25partition_config_selectorILNS1_17partition_subalgoE3EsNS0_10empty_typeEbEEZZNS1_14partition_implILS5_3ELb0ES3_jN6thrust23THRUST_200600_302600_NS6detail15normal_iteratorINSA_7pointerIsNSA_11hip_rocprim3tagENSA_11use_defaultESG_EEEEPS6_SJ_NS0_5tupleIJPsSJ_EEENSK_IJSJ_SJ_EEES6_PlJ7is_evenIsEEEE10hipError_tPvRmT3_T4_T5_T6_T7_T9_mT8_P12ihipStream_tbDpT10_ENKUlT_T0_E_clISt17integral_constantIbLb1EES19_IbLb0EEEEDaS15_S16_EUlS15_E_NS1_11comp_targetILNS1_3genE2ELNS1_11target_archE906ELNS1_3gpuE6ELNS1_3repE0EEENS1_30default_config_static_selectorELNS0_4arch9wavefront6targetE1EEEvT1_ ; -- Begin function _ZN7rocprim17ROCPRIM_400000_NS6detail17trampoline_kernelINS0_14default_configENS1_25partition_config_selectorILNS1_17partition_subalgoE3EsNS0_10empty_typeEbEEZZNS1_14partition_implILS5_3ELb0ES3_jN6thrust23THRUST_200600_302600_NS6detail15normal_iteratorINSA_7pointerIsNSA_11hip_rocprim3tagENSA_11use_defaultESG_EEEEPS6_SJ_NS0_5tupleIJPsSJ_EEENSK_IJSJ_SJ_EEES6_PlJ7is_evenIsEEEE10hipError_tPvRmT3_T4_T5_T6_T7_T9_mT8_P12ihipStream_tbDpT10_ENKUlT_T0_E_clISt17integral_constantIbLb1EES19_IbLb0EEEEDaS15_S16_EUlS15_E_NS1_11comp_targetILNS1_3genE2ELNS1_11target_archE906ELNS1_3gpuE6ELNS1_3repE0EEENS1_30default_config_static_selectorELNS0_4arch9wavefront6targetE1EEEvT1_
	.globl	_ZN7rocprim17ROCPRIM_400000_NS6detail17trampoline_kernelINS0_14default_configENS1_25partition_config_selectorILNS1_17partition_subalgoE3EsNS0_10empty_typeEbEEZZNS1_14partition_implILS5_3ELb0ES3_jN6thrust23THRUST_200600_302600_NS6detail15normal_iteratorINSA_7pointerIsNSA_11hip_rocprim3tagENSA_11use_defaultESG_EEEEPS6_SJ_NS0_5tupleIJPsSJ_EEENSK_IJSJ_SJ_EEES6_PlJ7is_evenIsEEEE10hipError_tPvRmT3_T4_T5_T6_T7_T9_mT8_P12ihipStream_tbDpT10_ENKUlT_T0_E_clISt17integral_constantIbLb1EES19_IbLb0EEEEDaS15_S16_EUlS15_E_NS1_11comp_targetILNS1_3genE2ELNS1_11target_archE906ELNS1_3gpuE6ELNS1_3repE0EEENS1_30default_config_static_selectorELNS0_4arch9wavefront6targetE1EEEvT1_
	.p2align	8
	.type	_ZN7rocprim17ROCPRIM_400000_NS6detail17trampoline_kernelINS0_14default_configENS1_25partition_config_selectorILNS1_17partition_subalgoE3EsNS0_10empty_typeEbEEZZNS1_14partition_implILS5_3ELb0ES3_jN6thrust23THRUST_200600_302600_NS6detail15normal_iteratorINSA_7pointerIsNSA_11hip_rocprim3tagENSA_11use_defaultESG_EEEEPS6_SJ_NS0_5tupleIJPsSJ_EEENSK_IJSJ_SJ_EEES6_PlJ7is_evenIsEEEE10hipError_tPvRmT3_T4_T5_T6_T7_T9_mT8_P12ihipStream_tbDpT10_ENKUlT_T0_E_clISt17integral_constantIbLb1EES19_IbLb0EEEEDaS15_S16_EUlS15_E_NS1_11comp_targetILNS1_3genE2ELNS1_11target_archE906ELNS1_3gpuE6ELNS1_3repE0EEENS1_30default_config_static_selectorELNS0_4arch9wavefront6targetE1EEEvT1_,@function
_ZN7rocprim17ROCPRIM_400000_NS6detail17trampoline_kernelINS0_14default_configENS1_25partition_config_selectorILNS1_17partition_subalgoE3EsNS0_10empty_typeEbEEZZNS1_14partition_implILS5_3ELb0ES3_jN6thrust23THRUST_200600_302600_NS6detail15normal_iteratorINSA_7pointerIsNSA_11hip_rocprim3tagENSA_11use_defaultESG_EEEEPS6_SJ_NS0_5tupleIJPsSJ_EEENSK_IJSJ_SJ_EEES6_PlJ7is_evenIsEEEE10hipError_tPvRmT3_T4_T5_T6_T7_T9_mT8_P12ihipStream_tbDpT10_ENKUlT_T0_E_clISt17integral_constantIbLb1EES19_IbLb0EEEEDaS15_S16_EUlS15_E_NS1_11comp_targetILNS1_3genE2ELNS1_11target_archE906ELNS1_3gpuE6ELNS1_3repE0EEENS1_30default_config_static_selectorELNS0_4arch9wavefront6targetE1EEEvT1_: ; @_ZN7rocprim17ROCPRIM_400000_NS6detail17trampoline_kernelINS0_14default_configENS1_25partition_config_selectorILNS1_17partition_subalgoE3EsNS0_10empty_typeEbEEZZNS1_14partition_implILS5_3ELb0ES3_jN6thrust23THRUST_200600_302600_NS6detail15normal_iteratorINSA_7pointerIsNSA_11hip_rocprim3tagENSA_11use_defaultESG_EEEEPS6_SJ_NS0_5tupleIJPsSJ_EEENSK_IJSJ_SJ_EEES6_PlJ7is_evenIsEEEE10hipError_tPvRmT3_T4_T5_T6_T7_T9_mT8_P12ihipStream_tbDpT10_ENKUlT_T0_E_clISt17integral_constantIbLb1EES19_IbLb0EEEEDaS15_S16_EUlS15_E_NS1_11comp_targetILNS1_3genE2ELNS1_11target_archE906ELNS1_3gpuE6ELNS1_3repE0EEENS1_30default_config_static_selectorELNS0_4arch9wavefront6targetE1EEEvT1_
; %bb.0:
	.section	.rodata,"a",@progbits
	.p2align	6, 0x0
	.amdhsa_kernel _ZN7rocprim17ROCPRIM_400000_NS6detail17trampoline_kernelINS0_14default_configENS1_25partition_config_selectorILNS1_17partition_subalgoE3EsNS0_10empty_typeEbEEZZNS1_14partition_implILS5_3ELb0ES3_jN6thrust23THRUST_200600_302600_NS6detail15normal_iteratorINSA_7pointerIsNSA_11hip_rocprim3tagENSA_11use_defaultESG_EEEEPS6_SJ_NS0_5tupleIJPsSJ_EEENSK_IJSJ_SJ_EEES6_PlJ7is_evenIsEEEE10hipError_tPvRmT3_T4_T5_T6_T7_T9_mT8_P12ihipStream_tbDpT10_ENKUlT_T0_E_clISt17integral_constantIbLb1EES19_IbLb0EEEEDaS15_S16_EUlS15_E_NS1_11comp_targetILNS1_3genE2ELNS1_11target_archE906ELNS1_3gpuE6ELNS1_3repE0EEENS1_30default_config_static_selectorELNS0_4arch9wavefront6targetE1EEEvT1_
		.amdhsa_group_segment_fixed_size 0
		.amdhsa_private_segment_fixed_size 0
		.amdhsa_kernarg_size 120
		.amdhsa_user_sgpr_count 2
		.amdhsa_user_sgpr_dispatch_ptr 0
		.amdhsa_user_sgpr_queue_ptr 0
		.amdhsa_user_sgpr_kernarg_segment_ptr 1
		.amdhsa_user_sgpr_dispatch_id 0
		.amdhsa_user_sgpr_kernarg_preload_length 0
		.amdhsa_user_sgpr_kernarg_preload_offset 0
		.amdhsa_user_sgpr_private_segment_size 0
		.amdhsa_uses_dynamic_stack 0
		.amdhsa_enable_private_segment 0
		.amdhsa_system_sgpr_workgroup_id_x 1
		.amdhsa_system_sgpr_workgroup_id_y 0
		.amdhsa_system_sgpr_workgroup_id_z 0
		.amdhsa_system_sgpr_workgroup_info 0
		.amdhsa_system_vgpr_workitem_id 0
		.amdhsa_next_free_vgpr 1
		.amdhsa_next_free_sgpr 0
		.amdhsa_accum_offset 4
		.amdhsa_reserve_vcc 0
		.amdhsa_float_round_mode_32 0
		.amdhsa_float_round_mode_16_64 0
		.amdhsa_float_denorm_mode_32 3
		.amdhsa_float_denorm_mode_16_64 3
		.amdhsa_dx10_clamp 1
		.amdhsa_ieee_mode 1
		.amdhsa_fp16_overflow 0
		.amdhsa_tg_split 0
		.amdhsa_exception_fp_ieee_invalid_op 0
		.amdhsa_exception_fp_denorm_src 0
		.amdhsa_exception_fp_ieee_div_zero 0
		.amdhsa_exception_fp_ieee_overflow 0
		.amdhsa_exception_fp_ieee_underflow 0
		.amdhsa_exception_fp_ieee_inexact 0
		.amdhsa_exception_int_div_zero 0
	.end_amdhsa_kernel
	.section	.text._ZN7rocprim17ROCPRIM_400000_NS6detail17trampoline_kernelINS0_14default_configENS1_25partition_config_selectorILNS1_17partition_subalgoE3EsNS0_10empty_typeEbEEZZNS1_14partition_implILS5_3ELb0ES3_jN6thrust23THRUST_200600_302600_NS6detail15normal_iteratorINSA_7pointerIsNSA_11hip_rocprim3tagENSA_11use_defaultESG_EEEEPS6_SJ_NS0_5tupleIJPsSJ_EEENSK_IJSJ_SJ_EEES6_PlJ7is_evenIsEEEE10hipError_tPvRmT3_T4_T5_T6_T7_T9_mT8_P12ihipStream_tbDpT10_ENKUlT_T0_E_clISt17integral_constantIbLb1EES19_IbLb0EEEEDaS15_S16_EUlS15_E_NS1_11comp_targetILNS1_3genE2ELNS1_11target_archE906ELNS1_3gpuE6ELNS1_3repE0EEENS1_30default_config_static_selectorELNS0_4arch9wavefront6targetE1EEEvT1_,"axG",@progbits,_ZN7rocprim17ROCPRIM_400000_NS6detail17trampoline_kernelINS0_14default_configENS1_25partition_config_selectorILNS1_17partition_subalgoE3EsNS0_10empty_typeEbEEZZNS1_14partition_implILS5_3ELb0ES3_jN6thrust23THRUST_200600_302600_NS6detail15normal_iteratorINSA_7pointerIsNSA_11hip_rocprim3tagENSA_11use_defaultESG_EEEEPS6_SJ_NS0_5tupleIJPsSJ_EEENSK_IJSJ_SJ_EEES6_PlJ7is_evenIsEEEE10hipError_tPvRmT3_T4_T5_T6_T7_T9_mT8_P12ihipStream_tbDpT10_ENKUlT_T0_E_clISt17integral_constantIbLb1EES19_IbLb0EEEEDaS15_S16_EUlS15_E_NS1_11comp_targetILNS1_3genE2ELNS1_11target_archE906ELNS1_3gpuE6ELNS1_3repE0EEENS1_30default_config_static_selectorELNS0_4arch9wavefront6targetE1EEEvT1_,comdat
.Lfunc_end160:
	.size	_ZN7rocprim17ROCPRIM_400000_NS6detail17trampoline_kernelINS0_14default_configENS1_25partition_config_selectorILNS1_17partition_subalgoE3EsNS0_10empty_typeEbEEZZNS1_14partition_implILS5_3ELb0ES3_jN6thrust23THRUST_200600_302600_NS6detail15normal_iteratorINSA_7pointerIsNSA_11hip_rocprim3tagENSA_11use_defaultESG_EEEEPS6_SJ_NS0_5tupleIJPsSJ_EEENSK_IJSJ_SJ_EEES6_PlJ7is_evenIsEEEE10hipError_tPvRmT3_T4_T5_T6_T7_T9_mT8_P12ihipStream_tbDpT10_ENKUlT_T0_E_clISt17integral_constantIbLb1EES19_IbLb0EEEEDaS15_S16_EUlS15_E_NS1_11comp_targetILNS1_3genE2ELNS1_11target_archE906ELNS1_3gpuE6ELNS1_3repE0EEENS1_30default_config_static_selectorELNS0_4arch9wavefront6targetE1EEEvT1_, .Lfunc_end160-_ZN7rocprim17ROCPRIM_400000_NS6detail17trampoline_kernelINS0_14default_configENS1_25partition_config_selectorILNS1_17partition_subalgoE3EsNS0_10empty_typeEbEEZZNS1_14partition_implILS5_3ELb0ES3_jN6thrust23THRUST_200600_302600_NS6detail15normal_iteratorINSA_7pointerIsNSA_11hip_rocprim3tagENSA_11use_defaultESG_EEEEPS6_SJ_NS0_5tupleIJPsSJ_EEENSK_IJSJ_SJ_EEES6_PlJ7is_evenIsEEEE10hipError_tPvRmT3_T4_T5_T6_T7_T9_mT8_P12ihipStream_tbDpT10_ENKUlT_T0_E_clISt17integral_constantIbLb1EES19_IbLb0EEEEDaS15_S16_EUlS15_E_NS1_11comp_targetILNS1_3genE2ELNS1_11target_archE906ELNS1_3gpuE6ELNS1_3repE0EEENS1_30default_config_static_selectorELNS0_4arch9wavefront6targetE1EEEvT1_
                                        ; -- End function
	.section	.AMDGPU.csdata,"",@progbits
; Kernel info:
; codeLenInByte = 0
; NumSgprs: 6
; NumVgprs: 0
; NumAgprs: 0
; TotalNumVgprs: 0
; ScratchSize: 0
; MemoryBound: 0
; FloatMode: 240
; IeeeMode: 1
; LDSByteSize: 0 bytes/workgroup (compile time only)
; SGPRBlocks: 0
; VGPRBlocks: 0
; NumSGPRsForWavesPerEU: 6
; NumVGPRsForWavesPerEU: 1
; AccumOffset: 4
; Occupancy: 8
; WaveLimiterHint : 0
; COMPUTE_PGM_RSRC2:SCRATCH_EN: 0
; COMPUTE_PGM_RSRC2:USER_SGPR: 2
; COMPUTE_PGM_RSRC2:TRAP_HANDLER: 0
; COMPUTE_PGM_RSRC2:TGID_X_EN: 1
; COMPUTE_PGM_RSRC2:TGID_Y_EN: 0
; COMPUTE_PGM_RSRC2:TGID_Z_EN: 0
; COMPUTE_PGM_RSRC2:TIDIG_COMP_CNT: 0
; COMPUTE_PGM_RSRC3_GFX90A:ACCUM_OFFSET: 0
; COMPUTE_PGM_RSRC3_GFX90A:TG_SPLIT: 0
	.section	.text._ZN7rocprim17ROCPRIM_400000_NS6detail17trampoline_kernelINS0_14default_configENS1_25partition_config_selectorILNS1_17partition_subalgoE3EsNS0_10empty_typeEbEEZZNS1_14partition_implILS5_3ELb0ES3_jN6thrust23THRUST_200600_302600_NS6detail15normal_iteratorINSA_7pointerIsNSA_11hip_rocprim3tagENSA_11use_defaultESG_EEEEPS6_SJ_NS0_5tupleIJPsSJ_EEENSK_IJSJ_SJ_EEES6_PlJ7is_evenIsEEEE10hipError_tPvRmT3_T4_T5_T6_T7_T9_mT8_P12ihipStream_tbDpT10_ENKUlT_T0_E_clISt17integral_constantIbLb1EES19_IbLb0EEEEDaS15_S16_EUlS15_E_NS1_11comp_targetILNS1_3genE10ELNS1_11target_archE1200ELNS1_3gpuE4ELNS1_3repE0EEENS1_30default_config_static_selectorELNS0_4arch9wavefront6targetE1EEEvT1_,"axG",@progbits,_ZN7rocprim17ROCPRIM_400000_NS6detail17trampoline_kernelINS0_14default_configENS1_25partition_config_selectorILNS1_17partition_subalgoE3EsNS0_10empty_typeEbEEZZNS1_14partition_implILS5_3ELb0ES3_jN6thrust23THRUST_200600_302600_NS6detail15normal_iteratorINSA_7pointerIsNSA_11hip_rocprim3tagENSA_11use_defaultESG_EEEEPS6_SJ_NS0_5tupleIJPsSJ_EEENSK_IJSJ_SJ_EEES6_PlJ7is_evenIsEEEE10hipError_tPvRmT3_T4_T5_T6_T7_T9_mT8_P12ihipStream_tbDpT10_ENKUlT_T0_E_clISt17integral_constantIbLb1EES19_IbLb0EEEEDaS15_S16_EUlS15_E_NS1_11comp_targetILNS1_3genE10ELNS1_11target_archE1200ELNS1_3gpuE4ELNS1_3repE0EEENS1_30default_config_static_selectorELNS0_4arch9wavefront6targetE1EEEvT1_,comdat
	.protected	_ZN7rocprim17ROCPRIM_400000_NS6detail17trampoline_kernelINS0_14default_configENS1_25partition_config_selectorILNS1_17partition_subalgoE3EsNS0_10empty_typeEbEEZZNS1_14partition_implILS5_3ELb0ES3_jN6thrust23THRUST_200600_302600_NS6detail15normal_iteratorINSA_7pointerIsNSA_11hip_rocprim3tagENSA_11use_defaultESG_EEEEPS6_SJ_NS0_5tupleIJPsSJ_EEENSK_IJSJ_SJ_EEES6_PlJ7is_evenIsEEEE10hipError_tPvRmT3_T4_T5_T6_T7_T9_mT8_P12ihipStream_tbDpT10_ENKUlT_T0_E_clISt17integral_constantIbLb1EES19_IbLb0EEEEDaS15_S16_EUlS15_E_NS1_11comp_targetILNS1_3genE10ELNS1_11target_archE1200ELNS1_3gpuE4ELNS1_3repE0EEENS1_30default_config_static_selectorELNS0_4arch9wavefront6targetE1EEEvT1_ ; -- Begin function _ZN7rocprim17ROCPRIM_400000_NS6detail17trampoline_kernelINS0_14default_configENS1_25partition_config_selectorILNS1_17partition_subalgoE3EsNS0_10empty_typeEbEEZZNS1_14partition_implILS5_3ELb0ES3_jN6thrust23THRUST_200600_302600_NS6detail15normal_iteratorINSA_7pointerIsNSA_11hip_rocprim3tagENSA_11use_defaultESG_EEEEPS6_SJ_NS0_5tupleIJPsSJ_EEENSK_IJSJ_SJ_EEES6_PlJ7is_evenIsEEEE10hipError_tPvRmT3_T4_T5_T6_T7_T9_mT8_P12ihipStream_tbDpT10_ENKUlT_T0_E_clISt17integral_constantIbLb1EES19_IbLb0EEEEDaS15_S16_EUlS15_E_NS1_11comp_targetILNS1_3genE10ELNS1_11target_archE1200ELNS1_3gpuE4ELNS1_3repE0EEENS1_30default_config_static_selectorELNS0_4arch9wavefront6targetE1EEEvT1_
	.globl	_ZN7rocprim17ROCPRIM_400000_NS6detail17trampoline_kernelINS0_14default_configENS1_25partition_config_selectorILNS1_17partition_subalgoE3EsNS0_10empty_typeEbEEZZNS1_14partition_implILS5_3ELb0ES3_jN6thrust23THRUST_200600_302600_NS6detail15normal_iteratorINSA_7pointerIsNSA_11hip_rocprim3tagENSA_11use_defaultESG_EEEEPS6_SJ_NS0_5tupleIJPsSJ_EEENSK_IJSJ_SJ_EEES6_PlJ7is_evenIsEEEE10hipError_tPvRmT3_T4_T5_T6_T7_T9_mT8_P12ihipStream_tbDpT10_ENKUlT_T0_E_clISt17integral_constantIbLb1EES19_IbLb0EEEEDaS15_S16_EUlS15_E_NS1_11comp_targetILNS1_3genE10ELNS1_11target_archE1200ELNS1_3gpuE4ELNS1_3repE0EEENS1_30default_config_static_selectorELNS0_4arch9wavefront6targetE1EEEvT1_
	.p2align	8
	.type	_ZN7rocprim17ROCPRIM_400000_NS6detail17trampoline_kernelINS0_14default_configENS1_25partition_config_selectorILNS1_17partition_subalgoE3EsNS0_10empty_typeEbEEZZNS1_14partition_implILS5_3ELb0ES3_jN6thrust23THRUST_200600_302600_NS6detail15normal_iteratorINSA_7pointerIsNSA_11hip_rocprim3tagENSA_11use_defaultESG_EEEEPS6_SJ_NS0_5tupleIJPsSJ_EEENSK_IJSJ_SJ_EEES6_PlJ7is_evenIsEEEE10hipError_tPvRmT3_T4_T5_T6_T7_T9_mT8_P12ihipStream_tbDpT10_ENKUlT_T0_E_clISt17integral_constantIbLb1EES19_IbLb0EEEEDaS15_S16_EUlS15_E_NS1_11comp_targetILNS1_3genE10ELNS1_11target_archE1200ELNS1_3gpuE4ELNS1_3repE0EEENS1_30default_config_static_selectorELNS0_4arch9wavefront6targetE1EEEvT1_,@function
_ZN7rocprim17ROCPRIM_400000_NS6detail17trampoline_kernelINS0_14default_configENS1_25partition_config_selectorILNS1_17partition_subalgoE3EsNS0_10empty_typeEbEEZZNS1_14partition_implILS5_3ELb0ES3_jN6thrust23THRUST_200600_302600_NS6detail15normal_iteratorINSA_7pointerIsNSA_11hip_rocprim3tagENSA_11use_defaultESG_EEEEPS6_SJ_NS0_5tupleIJPsSJ_EEENSK_IJSJ_SJ_EEES6_PlJ7is_evenIsEEEE10hipError_tPvRmT3_T4_T5_T6_T7_T9_mT8_P12ihipStream_tbDpT10_ENKUlT_T0_E_clISt17integral_constantIbLb1EES19_IbLb0EEEEDaS15_S16_EUlS15_E_NS1_11comp_targetILNS1_3genE10ELNS1_11target_archE1200ELNS1_3gpuE4ELNS1_3repE0EEENS1_30default_config_static_selectorELNS0_4arch9wavefront6targetE1EEEvT1_: ; @_ZN7rocprim17ROCPRIM_400000_NS6detail17trampoline_kernelINS0_14default_configENS1_25partition_config_selectorILNS1_17partition_subalgoE3EsNS0_10empty_typeEbEEZZNS1_14partition_implILS5_3ELb0ES3_jN6thrust23THRUST_200600_302600_NS6detail15normal_iteratorINSA_7pointerIsNSA_11hip_rocprim3tagENSA_11use_defaultESG_EEEEPS6_SJ_NS0_5tupleIJPsSJ_EEENSK_IJSJ_SJ_EEES6_PlJ7is_evenIsEEEE10hipError_tPvRmT3_T4_T5_T6_T7_T9_mT8_P12ihipStream_tbDpT10_ENKUlT_T0_E_clISt17integral_constantIbLb1EES19_IbLb0EEEEDaS15_S16_EUlS15_E_NS1_11comp_targetILNS1_3genE10ELNS1_11target_archE1200ELNS1_3gpuE4ELNS1_3repE0EEENS1_30default_config_static_selectorELNS0_4arch9wavefront6targetE1EEEvT1_
; %bb.0:
	.section	.rodata,"a",@progbits
	.p2align	6, 0x0
	.amdhsa_kernel _ZN7rocprim17ROCPRIM_400000_NS6detail17trampoline_kernelINS0_14default_configENS1_25partition_config_selectorILNS1_17partition_subalgoE3EsNS0_10empty_typeEbEEZZNS1_14partition_implILS5_3ELb0ES3_jN6thrust23THRUST_200600_302600_NS6detail15normal_iteratorINSA_7pointerIsNSA_11hip_rocprim3tagENSA_11use_defaultESG_EEEEPS6_SJ_NS0_5tupleIJPsSJ_EEENSK_IJSJ_SJ_EEES6_PlJ7is_evenIsEEEE10hipError_tPvRmT3_T4_T5_T6_T7_T9_mT8_P12ihipStream_tbDpT10_ENKUlT_T0_E_clISt17integral_constantIbLb1EES19_IbLb0EEEEDaS15_S16_EUlS15_E_NS1_11comp_targetILNS1_3genE10ELNS1_11target_archE1200ELNS1_3gpuE4ELNS1_3repE0EEENS1_30default_config_static_selectorELNS0_4arch9wavefront6targetE1EEEvT1_
		.amdhsa_group_segment_fixed_size 0
		.amdhsa_private_segment_fixed_size 0
		.amdhsa_kernarg_size 120
		.amdhsa_user_sgpr_count 2
		.amdhsa_user_sgpr_dispatch_ptr 0
		.amdhsa_user_sgpr_queue_ptr 0
		.amdhsa_user_sgpr_kernarg_segment_ptr 1
		.amdhsa_user_sgpr_dispatch_id 0
		.amdhsa_user_sgpr_kernarg_preload_length 0
		.amdhsa_user_sgpr_kernarg_preload_offset 0
		.amdhsa_user_sgpr_private_segment_size 0
		.amdhsa_uses_dynamic_stack 0
		.amdhsa_enable_private_segment 0
		.amdhsa_system_sgpr_workgroup_id_x 1
		.amdhsa_system_sgpr_workgroup_id_y 0
		.amdhsa_system_sgpr_workgroup_id_z 0
		.amdhsa_system_sgpr_workgroup_info 0
		.amdhsa_system_vgpr_workitem_id 0
		.amdhsa_next_free_vgpr 1
		.amdhsa_next_free_sgpr 0
		.amdhsa_accum_offset 4
		.amdhsa_reserve_vcc 0
		.amdhsa_float_round_mode_32 0
		.amdhsa_float_round_mode_16_64 0
		.amdhsa_float_denorm_mode_32 3
		.amdhsa_float_denorm_mode_16_64 3
		.amdhsa_dx10_clamp 1
		.amdhsa_ieee_mode 1
		.amdhsa_fp16_overflow 0
		.amdhsa_tg_split 0
		.amdhsa_exception_fp_ieee_invalid_op 0
		.amdhsa_exception_fp_denorm_src 0
		.amdhsa_exception_fp_ieee_div_zero 0
		.amdhsa_exception_fp_ieee_overflow 0
		.amdhsa_exception_fp_ieee_underflow 0
		.amdhsa_exception_fp_ieee_inexact 0
		.amdhsa_exception_int_div_zero 0
	.end_amdhsa_kernel
	.section	.text._ZN7rocprim17ROCPRIM_400000_NS6detail17trampoline_kernelINS0_14default_configENS1_25partition_config_selectorILNS1_17partition_subalgoE3EsNS0_10empty_typeEbEEZZNS1_14partition_implILS5_3ELb0ES3_jN6thrust23THRUST_200600_302600_NS6detail15normal_iteratorINSA_7pointerIsNSA_11hip_rocprim3tagENSA_11use_defaultESG_EEEEPS6_SJ_NS0_5tupleIJPsSJ_EEENSK_IJSJ_SJ_EEES6_PlJ7is_evenIsEEEE10hipError_tPvRmT3_T4_T5_T6_T7_T9_mT8_P12ihipStream_tbDpT10_ENKUlT_T0_E_clISt17integral_constantIbLb1EES19_IbLb0EEEEDaS15_S16_EUlS15_E_NS1_11comp_targetILNS1_3genE10ELNS1_11target_archE1200ELNS1_3gpuE4ELNS1_3repE0EEENS1_30default_config_static_selectorELNS0_4arch9wavefront6targetE1EEEvT1_,"axG",@progbits,_ZN7rocprim17ROCPRIM_400000_NS6detail17trampoline_kernelINS0_14default_configENS1_25partition_config_selectorILNS1_17partition_subalgoE3EsNS0_10empty_typeEbEEZZNS1_14partition_implILS5_3ELb0ES3_jN6thrust23THRUST_200600_302600_NS6detail15normal_iteratorINSA_7pointerIsNSA_11hip_rocprim3tagENSA_11use_defaultESG_EEEEPS6_SJ_NS0_5tupleIJPsSJ_EEENSK_IJSJ_SJ_EEES6_PlJ7is_evenIsEEEE10hipError_tPvRmT3_T4_T5_T6_T7_T9_mT8_P12ihipStream_tbDpT10_ENKUlT_T0_E_clISt17integral_constantIbLb1EES19_IbLb0EEEEDaS15_S16_EUlS15_E_NS1_11comp_targetILNS1_3genE10ELNS1_11target_archE1200ELNS1_3gpuE4ELNS1_3repE0EEENS1_30default_config_static_selectorELNS0_4arch9wavefront6targetE1EEEvT1_,comdat
.Lfunc_end161:
	.size	_ZN7rocprim17ROCPRIM_400000_NS6detail17trampoline_kernelINS0_14default_configENS1_25partition_config_selectorILNS1_17partition_subalgoE3EsNS0_10empty_typeEbEEZZNS1_14partition_implILS5_3ELb0ES3_jN6thrust23THRUST_200600_302600_NS6detail15normal_iteratorINSA_7pointerIsNSA_11hip_rocprim3tagENSA_11use_defaultESG_EEEEPS6_SJ_NS0_5tupleIJPsSJ_EEENSK_IJSJ_SJ_EEES6_PlJ7is_evenIsEEEE10hipError_tPvRmT3_T4_T5_T6_T7_T9_mT8_P12ihipStream_tbDpT10_ENKUlT_T0_E_clISt17integral_constantIbLb1EES19_IbLb0EEEEDaS15_S16_EUlS15_E_NS1_11comp_targetILNS1_3genE10ELNS1_11target_archE1200ELNS1_3gpuE4ELNS1_3repE0EEENS1_30default_config_static_selectorELNS0_4arch9wavefront6targetE1EEEvT1_, .Lfunc_end161-_ZN7rocprim17ROCPRIM_400000_NS6detail17trampoline_kernelINS0_14default_configENS1_25partition_config_selectorILNS1_17partition_subalgoE3EsNS0_10empty_typeEbEEZZNS1_14partition_implILS5_3ELb0ES3_jN6thrust23THRUST_200600_302600_NS6detail15normal_iteratorINSA_7pointerIsNSA_11hip_rocprim3tagENSA_11use_defaultESG_EEEEPS6_SJ_NS0_5tupleIJPsSJ_EEENSK_IJSJ_SJ_EEES6_PlJ7is_evenIsEEEE10hipError_tPvRmT3_T4_T5_T6_T7_T9_mT8_P12ihipStream_tbDpT10_ENKUlT_T0_E_clISt17integral_constantIbLb1EES19_IbLb0EEEEDaS15_S16_EUlS15_E_NS1_11comp_targetILNS1_3genE10ELNS1_11target_archE1200ELNS1_3gpuE4ELNS1_3repE0EEENS1_30default_config_static_selectorELNS0_4arch9wavefront6targetE1EEEvT1_
                                        ; -- End function
	.section	.AMDGPU.csdata,"",@progbits
; Kernel info:
; codeLenInByte = 0
; NumSgprs: 6
; NumVgprs: 0
; NumAgprs: 0
; TotalNumVgprs: 0
; ScratchSize: 0
; MemoryBound: 0
; FloatMode: 240
; IeeeMode: 1
; LDSByteSize: 0 bytes/workgroup (compile time only)
; SGPRBlocks: 0
; VGPRBlocks: 0
; NumSGPRsForWavesPerEU: 6
; NumVGPRsForWavesPerEU: 1
; AccumOffset: 4
; Occupancy: 8
; WaveLimiterHint : 0
; COMPUTE_PGM_RSRC2:SCRATCH_EN: 0
; COMPUTE_PGM_RSRC2:USER_SGPR: 2
; COMPUTE_PGM_RSRC2:TRAP_HANDLER: 0
; COMPUTE_PGM_RSRC2:TGID_X_EN: 1
; COMPUTE_PGM_RSRC2:TGID_Y_EN: 0
; COMPUTE_PGM_RSRC2:TGID_Z_EN: 0
; COMPUTE_PGM_RSRC2:TIDIG_COMP_CNT: 0
; COMPUTE_PGM_RSRC3_GFX90A:ACCUM_OFFSET: 0
; COMPUTE_PGM_RSRC3_GFX90A:TG_SPLIT: 0
	.section	.text._ZN7rocprim17ROCPRIM_400000_NS6detail17trampoline_kernelINS0_14default_configENS1_25partition_config_selectorILNS1_17partition_subalgoE3EsNS0_10empty_typeEbEEZZNS1_14partition_implILS5_3ELb0ES3_jN6thrust23THRUST_200600_302600_NS6detail15normal_iteratorINSA_7pointerIsNSA_11hip_rocprim3tagENSA_11use_defaultESG_EEEEPS6_SJ_NS0_5tupleIJPsSJ_EEENSK_IJSJ_SJ_EEES6_PlJ7is_evenIsEEEE10hipError_tPvRmT3_T4_T5_T6_T7_T9_mT8_P12ihipStream_tbDpT10_ENKUlT_T0_E_clISt17integral_constantIbLb1EES19_IbLb0EEEEDaS15_S16_EUlS15_E_NS1_11comp_targetILNS1_3genE9ELNS1_11target_archE1100ELNS1_3gpuE3ELNS1_3repE0EEENS1_30default_config_static_selectorELNS0_4arch9wavefront6targetE1EEEvT1_,"axG",@progbits,_ZN7rocprim17ROCPRIM_400000_NS6detail17trampoline_kernelINS0_14default_configENS1_25partition_config_selectorILNS1_17partition_subalgoE3EsNS0_10empty_typeEbEEZZNS1_14partition_implILS5_3ELb0ES3_jN6thrust23THRUST_200600_302600_NS6detail15normal_iteratorINSA_7pointerIsNSA_11hip_rocprim3tagENSA_11use_defaultESG_EEEEPS6_SJ_NS0_5tupleIJPsSJ_EEENSK_IJSJ_SJ_EEES6_PlJ7is_evenIsEEEE10hipError_tPvRmT3_T4_T5_T6_T7_T9_mT8_P12ihipStream_tbDpT10_ENKUlT_T0_E_clISt17integral_constantIbLb1EES19_IbLb0EEEEDaS15_S16_EUlS15_E_NS1_11comp_targetILNS1_3genE9ELNS1_11target_archE1100ELNS1_3gpuE3ELNS1_3repE0EEENS1_30default_config_static_selectorELNS0_4arch9wavefront6targetE1EEEvT1_,comdat
	.protected	_ZN7rocprim17ROCPRIM_400000_NS6detail17trampoline_kernelINS0_14default_configENS1_25partition_config_selectorILNS1_17partition_subalgoE3EsNS0_10empty_typeEbEEZZNS1_14partition_implILS5_3ELb0ES3_jN6thrust23THRUST_200600_302600_NS6detail15normal_iteratorINSA_7pointerIsNSA_11hip_rocprim3tagENSA_11use_defaultESG_EEEEPS6_SJ_NS0_5tupleIJPsSJ_EEENSK_IJSJ_SJ_EEES6_PlJ7is_evenIsEEEE10hipError_tPvRmT3_T4_T5_T6_T7_T9_mT8_P12ihipStream_tbDpT10_ENKUlT_T0_E_clISt17integral_constantIbLb1EES19_IbLb0EEEEDaS15_S16_EUlS15_E_NS1_11comp_targetILNS1_3genE9ELNS1_11target_archE1100ELNS1_3gpuE3ELNS1_3repE0EEENS1_30default_config_static_selectorELNS0_4arch9wavefront6targetE1EEEvT1_ ; -- Begin function _ZN7rocprim17ROCPRIM_400000_NS6detail17trampoline_kernelINS0_14default_configENS1_25partition_config_selectorILNS1_17partition_subalgoE3EsNS0_10empty_typeEbEEZZNS1_14partition_implILS5_3ELb0ES3_jN6thrust23THRUST_200600_302600_NS6detail15normal_iteratorINSA_7pointerIsNSA_11hip_rocprim3tagENSA_11use_defaultESG_EEEEPS6_SJ_NS0_5tupleIJPsSJ_EEENSK_IJSJ_SJ_EEES6_PlJ7is_evenIsEEEE10hipError_tPvRmT3_T4_T5_T6_T7_T9_mT8_P12ihipStream_tbDpT10_ENKUlT_T0_E_clISt17integral_constantIbLb1EES19_IbLb0EEEEDaS15_S16_EUlS15_E_NS1_11comp_targetILNS1_3genE9ELNS1_11target_archE1100ELNS1_3gpuE3ELNS1_3repE0EEENS1_30default_config_static_selectorELNS0_4arch9wavefront6targetE1EEEvT1_
	.globl	_ZN7rocprim17ROCPRIM_400000_NS6detail17trampoline_kernelINS0_14default_configENS1_25partition_config_selectorILNS1_17partition_subalgoE3EsNS0_10empty_typeEbEEZZNS1_14partition_implILS5_3ELb0ES3_jN6thrust23THRUST_200600_302600_NS6detail15normal_iteratorINSA_7pointerIsNSA_11hip_rocprim3tagENSA_11use_defaultESG_EEEEPS6_SJ_NS0_5tupleIJPsSJ_EEENSK_IJSJ_SJ_EEES6_PlJ7is_evenIsEEEE10hipError_tPvRmT3_T4_T5_T6_T7_T9_mT8_P12ihipStream_tbDpT10_ENKUlT_T0_E_clISt17integral_constantIbLb1EES19_IbLb0EEEEDaS15_S16_EUlS15_E_NS1_11comp_targetILNS1_3genE9ELNS1_11target_archE1100ELNS1_3gpuE3ELNS1_3repE0EEENS1_30default_config_static_selectorELNS0_4arch9wavefront6targetE1EEEvT1_
	.p2align	8
	.type	_ZN7rocprim17ROCPRIM_400000_NS6detail17trampoline_kernelINS0_14default_configENS1_25partition_config_selectorILNS1_17partition_subalgoE3EsNS0_10empty_typeEbEEZZNS1_14partition_implILS5_3ELb0ES3_jN6thrust23THRUST_200600_302600_NS6detail15normal_iteratorINSA_7pointerIsNSA_11hip_rocprim3tagENSA_11use_defaultESG_EEEEPS6_SJ_NS0_5tupleIJPsSJ_EEENSK_IJSJ_SJ_EEES6_PlJ7is_evenIsEEEE10hipError_tPvRmT3_T4_T5_T6_T7_T9_mT8_P12ihipStream_tbDpT10_ENKUlT_T0_E_clISt17integral_constantIbLb1EES19_IbLb0EEEEDaS15_S16_EUlS15_E_NS1_11comp_targetILNS1_3genE9ELNS1_11target_archE1100ELNS1_3gpuE3ELNS1_3repE0EEENS1_30default_config_static_selectorELNS0_4arch9wavefront6targetE1EEEvT1_,@function
_ZN7rocprim17ROCPRIM_400000_NS6detail17trampoline_kernelINS0_14default_configENS1_25partition_config_selectorILNS1_17partition_subalgoE3EsNS0_10empty_typeEbEEZZNS1_14partition_implILS5_3ELb0ES3_jN6thrust23THRUST_200600_302600_NS6detail15normal_iteratorINSA_7pointerIsNSA_11hip_rocprim3tagENSA_11use_defaultESG_EEEEPS6_SJ_NS0_5tupleIJPsSJ_EEENSK_IJSJ_SJ_EEES6_PlJ7is_evenIsEEEE10hipError_tPvRmT3_T4_T5_T6_T7_T9_mT8_P12ihipStream_tbDpT10_ENKUlT_T0_E_clISt17integral_constantIbLb1EES19_IbLb0EEEEDaS15_S16_EUlS15_E_NS1_11comp_targetILNS1_3genE9ELNS1_11target_archE1100ELNS1_3gpuE3ELNS1_3repE0EEENS1_30default_config_static_selectorELNS0_4arch9wavefront6targetE1EEEvT1_: ; @_ZN7rocprim17ROCPRIM_400000_NS6detail17trampoline_kernelINS0_14default_configENS1_25partition_config_selectorILNS1_17partition_subalgoE3EsNS0_10empty_typeEbEEZZNS1_14partition_implILS5_3ELb0ES3_jN6thrust23THRUST_200600_302600_NS6detail15normal_iteratorINSA_7pointerIsNSA_11hip_rocprim3tagENSA_11use_defaultESG_EEEEPS6_SJ_NS0_5tupleIJPsSJ_EEENSK_IJSJ_SJ_EEES6_PlJ7is_evenIsEEEE10hipError_tPvRmT3_T4_T5_T6_T7_T9_mT8_P12ihipStream_tbDpT10_ENKUlT_T0_E_clISt17integral_constantIbLb1EES19_IbLb0EEEEDaS15_S16_EUlS15_E_NS1_11comp_targetILNS1_3genE9ELNS1_11target_archE1100ELNS1_3gpuE3ELNS1_3repE0EEENS1_30default_config_static_selectorELNS0_4arch9wavefront6targetE1EEEvT1_
; %bb.0:
	.section	.rodata,"a",@progbits
	.p2align	6, 0x0
	.amdhsa_kernel _ZN7rocprim17ROCPRIM_400000_NS6detail17trampoline_kernelINS0_14default_configENS1_25partition_config_selectorILNS1_17partition_subalgoE3EsNS0_10empty_typeEbEEZZNS1_14partition_implILS5_3ELb0ES3_jN6thrust23THRUST_200600_302600_NS6detail15normal_iteratorINSA_7pointerIsNSA_11hip_rocprim3tagENSA_11use_defaultESG_EEEEPS6_SJ_NS0_5tupleIJPsSJ_EEENSK_IJSJ_SJ_EEES6_PlJ7is_evenIsEEEE10hipError_tPvRmT3_T4_T5_T6_T7_T9_mT8_P12ihipStream_tbDpT10_ENKUlT_T0_E_clISt17integral_constantIbLb1EES19_IbLb0EEEEDaS15_S16_EUlS15_E_NS1_11comp_targetILNS1_3genE9ELNS1_11target_archE1100ELNS1_3gpuE3ELNS1_3repE0EEENS1_30default_config_static_selectorELNS0_4arch9wavefront6targetE1EEEvT1_
		.amdhsa_group_segment_fixed_size 0
		.amdhsa_private_segment_fixed_size 0
		.amdhsa_kernarg_size 120
		.amdhsa_user_sgpr_count 2
		.amdhsa_user_sgpr_dispatch_ptr 0
		.amdhsa_user_sgpr_queue_ptr 0
		.amdhsa_user_sgpr_kernarg_segment_ptr 1
		.amdhsa_user_sgpr_dispatch_id 0
		.amdhsa_user_sgpr_kernarg_preload_length 0
		.amdhsa_user_sgpr_kernarg_preload_offset 0
		.amdhsa_user_sgpr_private_segment_size 0
		.amdhsa_uses_dynamic_stack 0
		.amdhsa_enable_private_segment 0
		.amdhsa_system_sgpr_workgroup_id_x 1
		.amdhsa_system_sgpr_workgroup_id_y 0
		.amdhsa_system_sgpr_workgroup_id_z 0
		.amdhsa_system_sgpr_workgroup_info 0
		.amdhsa_system_vgpr_workitem_id 0
		.amdhsa_next_free_vgpr 1
		.amdhsa_next_free_sgpr 0
		.amdhsa_accum_offset 4
		.amdhsa_reserve_vcc 0
		.amdhsa_float_round_mode_32 0
		.amdhsa_float_round_mode_16_64 0
		.amdhsa_float_denorm_mode_32 3
		.amdhsa_float_denorm_mode_16_64 3
		.amdhsa_dx10_clamp 1
		.amdhsa_ieee_mode 1
		.amdhsa_fp16_overflow 0
		.amdhsa_tg_split 0
		.amdhsa_exception_fp_ieee_invalid_op 0
		.amdhsa_exception_fp_denorm_src 0
		.amdhsa_exception_fp_ieee_div_zero 0
		.amdhsa_exception_fp_ieee_overflow 0
		.amdhsa_exception_fp_ieee_underflow 0
		.amdhsa_exception_fp_ieee_inexact 0
		.amdhsa_exception_int_div_zero 0
	.end_amdhsa_kernel
	.section	.text._ZN7rocprim17ROCPRIM_400000_NS6detail17trampoline_kernelINS0_14default_configENS1_25partition_config_selectorILNS1_17partition_subalgoE3EsNS0_10empty_typeEbEEZZNS1_14partition_implILS5_3ELb0ES3_jN6thrust23THRUST_200600_302600_NS6detail15normal_iteratorINSA_7pointerIsNSA_11hip_rocprim3tagENSA_11use_defaultESG_EEEEPS6_SJ_NS0_5tupleIJPsSJ_EEENSK_IJSJ_SJ_EEES6_PlJ7is_evenIsEEEE10hipError_tPvRmT3_T4_T5_T6_T7_T9_mT8_P12ihipStream_tbDpT10_ENKUlT_T0_E_clISt17integral_constantIbLb1EES19_IbLb0EEEEDaS15_S16_EUlS15_E_NS1_11comp_targetILNS1_3genE9ELNS1_11target_archE1100ELNS1_3gpuE3ELNS1_3repE0EEENS1_30default_config_static_selectorELNS0_4arch9wavefront6targetE1EEEvT1_,"axG",@progbits,_ZN7rocprim17ROCPRIM_400000_NS6detail17trampoline_kernelINS0_14default_configENS1_25partition_config_selectorILNS1_17partition_subalgoE3EsNS0_10empty_typeEbEEZZNS1_14partition_implILS5_3ELb0ES3_jN6thrust23THRUST_200600_302600_NS6detail15normal_iteratorINSA_7pointerIsNSA_11hip_rocprim3tagENSA_11use_defaultESG_EEEEPS6_SJ_NS0_5tupleIJPsSJ_EEENSK_IJSJ_SJ_EEES6_PlJ7is_evenIsEEEE10hipError_tPvRmT3_T4_T5_T6_T7_T9_mT8_P12ihipStream_tbDpT10_ENKUlT_T0_E_clISt17integral_constantIbLb1EES19_IbLb0EEEEDaS15_S16_EUlS15_E_NS1_11comp_targetILNS1_3genE9ELNS1_11target_archE1100ELNS1_3gpuE3ELNS1_3repE0EEENS1_30default_config_static_selectorELNS0_4arch9wavefront6targetE1EEEvT1_,comdat
.Lfunc_end162:
	.size	_ZN7rocprim17ROCPRIM_400000_NS6detail17trampoline_kernelINS0_14default_configENS1_25partition_config_selectorILNS1_17partition_subalgoE3EsNS0_10empty_typeEbEEZZNS1_14partition_implILS5_3ELb0ES3_jN6thrust23THRUST_200600_302600_NS6detail15normal_iteratorINSA_7pointerIsNSA_11hip_rocprim3tagENSA_11use_defaultESG_EEEEPS6_SJ_NS0_5tupleIJPsSJ_EEENSK_IJSJ_SJ_EEES6_PlJ7is_evenIsEEEE10hipError_tPvRmT3_T4_T5_T6_T7_T9_mT8_P12ihipStream_tbDpT10_ENKUlT_T0_E_clISt17integral_constantIbLb1EES19_IbLb0EEEEDaS15_S16_EUlS15_E_NS1_11comp_targetILNS1_3genE9ELNS1_11target_archE1100ELNS1_3gpuE3ELNS1_3repE0EEENS1_30default_config_static_selectorELNS0_4arch9wavefront6targetE1EEEvT1_, .Lfunc_end162-_ZN7rocprim17ROCPRIM_400000_NS6detail17trampoline_kernelINS0_14default_configENS1_25partition_config_selectorILNS1_17partition_subalgoE3EsNS0_10empty_typeEbEEZZNS1_14partition_implILS5_3ELb0ES3_jN6thrust23THRUST_200600_302600_NS6detail15normal_iteratorINSA_7pointerIsNSA_11hip_rocprim3tagENSA_11use_defaultESG_EEEEPS6_SJ_NS0_5tupleIJPsSJ_EEENSK_IJSJ_SJ_EEES6_PlJ7is_evenIsEEEE10hipError_tPvRmT3_T4_T5_T6_T7_T9_mT8_P12ihipStream_tbDpT10_ENKUlT_T0_E_clISt17integral_constantIbLb1EES19_IbLb0EEEEDaS15_S16_EUlS15_E_NS1_11comp_targetILNS1_3genE9ELNS1_11target_archE1100ELNS1_3gpuE3ELNS1_3repE0EEENS1_30default_config_static_selectorELNS0_4arch9wavefront6targetE1EEEvT1_
                                        ; -- End function
	.section	.AMDGPU.csdata,"",@progbits
; Kernel info:
; codeLenInByte = 0
; NumSgprs: 6
; NumVgprs: 0
; NumAgprs: 0
; TotalNumVgprs: 0
; ScratchSize: 0
; MemoryBound: 0
; FloatMode: 240
; IeeeMode: 1
; LDSByteSize: 0 bytes/workgroup (compile time only)
; SGPRBlocks: 0
; VGPRBlocks: 0
; NumSGPRsForWavesPerEU: 6
; NumVGPRsForWavesPerEU: 1
; AccumOffset: 4
; Occupancy: 8
; WaveLimiterHint : 0
; COMPUTE_PGM_RSRC2:SCRATCH_EN: 0
; COMPUTE_PGM_RSRC2:USER_SGPR: 2
; COMPUTE_PGM_RSRC2:TRAP_HANDLER: 0
; COMPUTE_PGM_RSRC2:TGID_X_EN: 1
; COMPUTE_PGM_RSRC2:TGID_Y_EN: 0
; COMPUTE_PGM_RSRC2:TGID_Z_EN: 0
; COMPUTE_PGM_RSRC2:TIDIG_COMP_CNT: 0
; COMPUTE_PGM_RSRC3_GFX90A:ACCUM_OFFSET: 0
; COMPUTE_PGM_RSRC3_GFX90A:TG_SPLIT: 0
	.section	.text._ZN7rocprim17ROCPRIM_400000_NS6detail17trampoline_kernelINS0_14default_configENS1_25partition_config_selectorILNS1_17partition_subalgoE3EsNS0_10empty_typeEbEEZZNS1_14partition_implILS5_3ELb0ES3_jN6thrust23THRUST_200600_302600_NS6detail15normal_iteratorINSA_7pointerIsNSA_11hip_rocprim3tagENSA_11use_defaultESG_EEEEPS6_SJ_NS0_5tupleIJPsSJ_EEENSK_IJSJ_SJ_EEES6_PlJ7is_evenIsEEEE10hipError_tPvRmT3_T4_T5_T6_T7_T9_mT8_P12ihipStream_tbDpT10_ENKUlT_T0_E_clISt17integral_constantIbLb1EES19_IbLb0EEEEDaS15_S16_EUlS15_E_NS1_11comp_targetILNS1_3genE8ELNS1_11target_archE1030ELNS1_3gpuE2ELNS1_3repE0EEENS1_30default_config_static_selectorELNS0_4arch9wavefront6targetE1EEEvT1_,"axG",@progbits,_ZN7rocprim17ROCPRIM_400000_NS6detail17trampoline_kernelINS0_14default_configENS1_25partition_config_selectorILNS1_17partition_subalgoE3EsNS0_10empty_typeEbEEZZNS1_14partition_implILS5_3ELb0ES3_jN6thrust23THRUST_200600_302600_NS6detail15normal_iteratorINSA_7pointerIsNSA_11hip_rocprim3tagENSA_11use_defaultESG_EEEEPS6_SJ_NS0_5tupleIJPsSJ_EEENSK_IJSJ_SJ_EEES6_PlJ7is_evenIsEEEE10hipError_tPvRmT3_T4_T5_T6_T7_T9_mT8_P12ihipStream_tbDpT10_ENKUlT_T0_E_clISt17integral_constantIbLb1EES19_IbLb0EEEEDaS15_S16_EUlS15_E_NS1_11comp_targetILNS1_3genE8ELNS1_11target_archE1030ELNS1_3gpuE2ELNS1_3repE0EEENS1_30default_config_static_selectorELNS0_4arch9wavefront6targetE1EEEvT1_,comdat
	.protected	_ZN7rocprim17ROCPRIM_400000_NS6detail17trampoline_kernelINS0_14default_configENS1_25partition_config_selectorILNS1_17partition_subalgoE3EsNS0_10empty_typeEbEEZZNS1_14partition_implILS5_3ELb0ES3_jN6thrust23THRUST_200600_302600_NS6detail15normal_iteratorINSA_7pointerIsNSA_11hip_rocprim3tagENSA_11use_defaultESG_EEEEPS6_SJ_NS0_5tupleIJPsSJ_EEENSK_IJSJ_SJ_EEES6_PlJ7is_evenIsEEEE10hipError_tPvRmT3_T4_T5_T6_T7_T9_mT8_P12ihipStream_tbDpT10_ENKUlT_T0_E_clISt17integral_constantIbLb1EES19_IbLb0EEEEDaS15_S16_EUlS15_E_NS1_11comp_targetILNS1_3genE8ELNS1_11target_archE1030ELNS1_3gpuE2ELNS1_3repE0EEENS1_30default_config_static_selectorELNS0_4arch9wavefront6targetE1EEEvT1_ ; -- Begin function _ZN7rocprim17ROCPRIM_400000_NS6detail17trampoline_kernelINS0_14default_configENS1_25partition_config_selectorILNS1_17partition_subalgoE3EsNS0_10empty_typeEbEEZZNS1_14partition_implILS5_3ELb0ES3_jN6thrust23THRUST_200600_302600_NS6detail15normal_iteratorINSA_7pointerIsNSA_11hip_rocprim3tagENSA_11use_defaultESG_EEEEPS6_SJ_NS0_5tupleIJPsSJ_EEENSK_IJSJ_SJ_EEES6_PlJ7is_evenIsEEEE10hipError_tPvRmT3_T4_T5_T6_T7_T9_mT8_P12ihipStream_tbDpT10_ENKUlT_T0_E_clISt17integral_constantIbLb1EES19_IbLb0EEEEDaS15_S16_EUlS15_E_NS1_11comp_targetILNS1_3genE8ELNS1_11target_archE1030ELNS1_3gpuE2ELNS1_3repE0EEENS1_30default_config_static_selectorELNS0_4arch9wavefront6targetE1EEEvT1_
	.globl	_ZN7rocprim17ROCPRIM_400000_NS6detail17trampoline_kernelINS0_14default_configENS1_25partition_config_selectorILNS1_17partition_subalgoE3EsNS0_10empty_typeEbEEZZNS1_14partition_implILS5_3ELb0ES3_jN6thrust23THRUST_200600_302600_NS6detail15normal_iteratorINSA_7pointerIsNSA_11hip_rocprim3tagENSA_11use_defaultESG_EEEEPS6_SJ_NS0_5tupleIJPsSJ_EEENSK_IJSJ_SJ_EEES6_PlJ7is_evenIsEEEE10hipError_tPvRmT3_T4_T5_T6_T7_T9_mT8_P12ihipStream_tbDpT10_ENKUlT_T0_E_clISt17integral_constantIbLb1EES19_IbLb0EEEEDaS15_S16_EUlS15_E_NS1_11comp_targetILNS1_3genE8ELNS1_11target_archE1030ELNS1_3gpuE2ELNS1_3repE0EEENS1_30default_config_static_selectorELNS0_4arch9wavefront6targetE1EEEvT1_
	.p2align	8
	.type	_ZN7rocprim17ROCPRIM_400000_NS6detail17trampoline_kernelINS0_14default_configENS1_25partition_config_selectorILNS1_17partition_subalgoE3EsNS0_10empty_typeEbEEZZNS1_14partition_implILS5_3ELb0ES3_jN6thrust23THRUST_200600_302600_NS6detail15normal_iteratorINSA_7pointerIsNSA_11hip_rocprim3tagENSA_11use_defaultESG_EEEEPS6_SJ_NS0_5tupleIJPsSJ_EEENSK_IJSJ_SJ_EEES6_PlJ7is_evenIsEEEE10hipError_tPvRmT3_T4_T5_T6_T7_T9_mT8_P12ihipStream_tbDpT10_ENKUlT_T0_E_clISt17integral_constantIbLb1EES19_IbLb0EEEEDaS15_S16_EUlS15_E_NS1_11comp_targetILNS1_3genE8ELNS1_11target_archE1030ELNS1_3gpuE2ELNS1_3repE0EEENS1_30default_config_static_selectorELNS0_4arch9wavefront6targetE1EEEvT1_,@function
_ZN7rocprim17ROCPRIM_400000_NS6detail17trampoline_kernelINS0_14default_configENS1_25partition_config_selectorILNS1_17partition_subalgoE3EsNS0_10empty_typeEbEEZZNS1_14partition_implILS5_3ELb0ES3_jN6thrust23THRUST_200600_302600_NS6detail15normal_iteratorINSA_7pointerIsNSA_11hip_rocprim3tagENSA_11use_defaultESG_EEEEPS6_SJ_NS0_5tupleIJPsSJ_EEENSK_IJSJ_SJ_EEES6_PlJ7is_evenIsEEEE10hipError_tPvRmT3_T4_T5_T6_T7_T9_mT8_P12ihipStream_tbDpT10_ENKUlT_T0_E_clISt17integral_constantIbLb1EES19_IbLb0EEEEDaS15_S16_EUlS15_E_NS1_11comp_targetILNS1_3genE8ELNS1_11target_archE1030ELNS1_3gpuE2ELNS1_3repE0EEENS1_30default_config_static_selectorELNS0_4arch9wavefront6targetE1EEEvT1_: ; @_ZN7rocprim17ROCPRIM_400000_NS6detail17trampoline_kernelINS0_14default_configENS1_25partition_config_selectorILNS1_17partition_subalgoE3EsNS0_10empty_typeEbEEZZNS1_14partition_implILS5_3ELb0ES3_jN6thrust23THRUST_200600_302600_NS6detail15normal_iteratorINSA_7pointerIsNSA_11hip_rocprim3tagENSA_11use_defaultESG_EEEEPS6_SJ_NS0_5tupleIJPsSJ_EEENSK_IJSJ_SJ_EEES6_PlJ7is_evenIsEEEE10hipError_tPvRmT3_T4_T5_T6_T7_T9_mT8_P12ihipStream_tbDpT10_ENKUlT_T0_E_clISt17integral_constantIbLb1EES19_IbLb0EEEEDaS15_S16_EUlS15_E_NS1_11comp_targetILNS1_3genE8ELNS1_11target_archE1030ELNS1_3gpuE2ELNS1_3repE0EEENS1_30default_config_static_selectorELNS0_4arch9wavefront6targetE1EEEvT1_
; %bb.0:
	.section	.rodata,"a",@progbits
	.p2align	6, 0x0
	.amdhsa_kernel _ZN7rocprim17ROCPRIM_400000_NS6detail17trampoline_kernelINS0_14default_configENS1_25partition_config_selectorILNS1_17partition_subalgoE3EsNS0_10empty_typeEbEEZZNS1_14partition_implILS5_3ELb0ES3_jN6thrust23THRUST_200600_302600_NS6detail15normal_iteratorINSA_7pointerIsNSA_11hip_rocprim3tagENSA_11use_defaultESG_EEEEPS6_SJ_NS0_5tupleIJPsSJ_EEENSK_IJSJ_SJ_EEES6_PlJ7is_evenIsEEEE10hipError_tPvRmT3_T4_T5_T6_T7_T9_mT8_P12ihipStream_tbDpT10_ENKUlT_T0_E_clISt17integral_constantIbLb1EES19_IbLb0EEEEDaS15_S16_EUlS15_E_NS1_11comp_targetILNS1_3genE8ELNS1_11target_archE1030ELNS1_3gpuE2ELNS1_3repE0EEENS1_30default_config_static_selectorELNS0_4arch9wavefront6targetE1EEEvT1_
		.amdhsa_group_segment_fixed_size 0
		.amdhsa_private_segment_fixed_size 0
		.amdhsa_kernarg_size 120
		.amdhsa_user_sgpr_count 2
		.amdhsa_user_sgpr_dispatch_ptr 0
		.amdhsa_user_sgpr_queue_ptr 0
		.amdhsa_user_sgpr_kernarg_segment_ptr 1
		.amdhsa_user_sgpr_dispatch_id 0
		.amdhsa_user_sgpr_kernarg_preload_length 0
		.amdhsa_user_sgpr_kernarg_preload_offset 0
		.amdhsa_user_sgpr_private_segment_size 0
		.amdhsa_uses_dynamic_stack 0
		.amdhsa_enable_private_segment 0
		.amdhsa_system_sgpr_workgroup_id_x 1
		.amdhsa_system_sgpr_workgroup_id_y 0
		.amdhsa_system_sgpr_workgroup_id_z 0
		.amdhsa_system_sgpr_workgroup_info 0
		.amdhsa_system_vgpr_workitem_id 0
		.amdhsa_next_free_vgpr 1
		.amdhsa_next_free_sgpr 0
		.amdhsa_accum_offset 4
		.amdhsa_reserve_vcc 0
		.amdhsa_float_round_mode_32 0
		.amdhsa_float_round_mode_16_64 0
		.amdhsa_float_denorm_mode_32 3
		.amdhsa_float_denorm_mode_16_64 3
		.amdhsa_dx10_clamp 1
		.amdhsa_ieee_mode 1
		.amdhsa_fp16_overflow 0
		.amdhsa_tg_split 0
		.amdhsa_exception_fp_ieee_invalid_op 0
		.amdhsa_exception_fp_denorm_src 0
		.amdhsa_exception_fp_ieee_div_zero 0
		.amdhsa_exception_fp_ieee_overflow 0
		.amdhsa_exception_fp_ieee_underflow 0
		.amdhsa_exception_fp_ieee_inexact 0
		.amdhsa_exception_int_div_zero 0
	.end_amdhsa_kernel
	.section	.text._ZN7rocprim17ROCPRIM_400000_NS6detail17trampoline_kernelINS0_14default_configENS1_25partition_config_selectorILNS1_17partition_subalgoE3EsNS0_10empty_typeEbEEZZNS1_14partition_implILS5_3ELb0ES3_jN6thrust23THRUST_200600_302600_NS6detail15normal_iteratorINSA_7pointerIsNSA_11hip_rocprim3tagENSA_11use_defaultESG_EEEEPS6_SJ_NS0_5tupleIJPsSJ_EEENSK_IJSJ_SJ_EEES6_PlJ7is_evenIsEEEE10hipError_tPvRmT3_T4_T5_T6_T7_T9_mT8_P12ihipStream_tbDpT10_ENKUlT_T0_E_clISt17integral_constantIbLb1EES19_IbLb0EEEEDaS15_S16_EUlS15_E_NS1_11comp_targetILNS1_3genE8ELNS1_11target_archE1030ELNS1_3gpuE2ELNS1_3repE0EEENS1_30default_config_static_selectorELNS0_4arch9wavefront6targetE1EEEvT1_,"axG",@progbits,_ZN7rocprim17ROCPRIM_400000_NS6detail17trampoline_kernelINS0_14default_configENS1_25partition_config_selectorILNS1_17partition_subalgoE3EsNS0_10empty_typeEbEEZZNS1_14partition_implILS5_3ELb0ES3_jN6thrust23THRUST_200600_302600_NS6detail15normal_iteratorINSA_7pointerIsNSA_11hip_rocprim3tagENSA_11use_defaultESG_EEEEPS6_SJ_NS0_5tupleIJPsSJ_EEENSK_IJSJ_SJ_EEES6_PlJ7is_evenIsEEEE10hipError_tPvRmT3_T4_T5_T6_T7_T9_mT8_P12ihipStream_tbDpT10_ENKUlT_T0_E_clISt17integral_constantIbLb1EES19_IbLb0EEEEDaS15_S16_EUlS15_E_NS1_11comp_targetILNS1_3genE8ELNS1_11target_archE1030ELNS1_3gpuE2ELNS1_3repE0EEENS1_30default_config_static_selectorELNS0_4arch9wavefront6targetE1EEEvT1_,comdat
.Lfunc_end163:
	.size	_ZN7rocprim17ROCPRIM_400000_NS6detail17trampoline_kernelINS0_14default_configENS1_25partition_config_selectorILNS1_17partition_subalgoE3EsNS0_10empty_typeEbEEZZNS1_14partition_implILS5_3ELb0ES3_jN6thrust23THRUST_200600_302600_NS6detail15normal_iteratorINSA_7pointerIsNSA_11hip_rocprim3tagENSA_11use_defaultESG_EEEEPS6_SJ_NS0_5tupleIJPsSJ_EEENSK_IJSJ_SJ_EEES6_PlJ7is_evenIsEEEE10hipError_tPvRmT3_T4_T5_T6_T7_T9_mT8_P12ihipStream_tbDpT10_ENKUlT_T0_E_clISt17integral_constantIbLb1EES19_IbLb0EEEEDaS15_S16_EUlS15_E_NS1_11comp_targetILNS1_3genE8ELNS1_11target_archE1030ELNS1_3gpuE2ELNS1_3repE0EEENS1_30default_config_static_selectorELNS0_4arch9wavefront6targetE1EEEvT1_, .Lfunc_end163-_ZN7rocprim17ROCPRIM_400000_NS6detail17trampoline_kernelINS0_14default_configENS1_25partition_config_selectorILNS1_17partition_subalgoE3EsNS0_10empty_typeEbEEZZNS1_14partition_implILS5_3ELb0ES3_jN6thrust23THRUST_200600_302600_NS6detail15normal_iteratorINSA_7pointerIsNSA_11hip_rocprim3tagENSA_11use_defaultESG_EEEEPS6_SJ_NS0_5tupleIJPsSJ_EEENSK_IJSJ_SJ_EEES6_PlJ7is_evenIsEEEE10hipError_tPvRmT3_T4_T5_T6_T7_T9_mT8_P12ihipStream_tbDpT10_ENKUlT_T0_E_clISt17integral_constantIbLb1EES19_IbLb0EEEEDaS15_S16_EUlS15_E_NS1_11comp_targetILNS1_3genE8ELNS1_11target_archE1030ELNS1_3gpuE2ELNS1_3repE0EEENS1_30default_config_static_selectorELNS0_4arch9wavefront6targetE1EEEvT1_
                                        ; -- End function
	.section	.AMDGPU.csdata,"",@progbits
; Kernel info:
; codeLenInByte = 0
; NumSgprs: 6
; NumVgprs: 0
; NumAgprs: 0
; TotalNumVgprs: 0
; ScratchSize: 0
; MemoryBound: 0
; FloatMode: 240
; IeeeMode: 1
; LDSByteSize: 0 bytes/workgroup (compile time only)
; SGPRBlocks: 0
; VGPRBlocks: 0
; NumSGPRsForWavesPerEU: 6
; NumVGPRsForWavesPerEU: 1
; AccumOffset: 4
; Occupancy: 8
; WaveLimiterHint : 0
; COMPUTE_PGM_RSRC2:SCRATCH_EN: 0
; COMPUTE_PGM_RSRC2:USER_SGPR: 2
; COMPUTE_PGM_RSRC2:TRAP_HANDLER: 0
; COMPUTE_PGM_RSRC2:TGID_X_EN: 1
; COMPUTE_PGM_RSRC2:TGID_Y_EN: 0
; COMPUTE_PGM_RSRC2:TGID_Z_EN: 0
; COMPUTE_PGM_RSRC2:TIDIG_COMP_CNT: 0
; COMPUTE_PGM_RSRC3_GFX90A:ACCUM_OFFSET: 0
; COMPUTE_PGM_RSRC3_GFX90A:TG_SPLIT: 0
	.section	.text._ZN7rocprim17ROCPRIM_400000_NS6detail17trampoline_kernelINS0_14default_configENS1_25partition_config_selectorILNS1_17partition_subalgoE3EsNS0_10empty_typeEbEEZZNS1_14partition_implILS5_3ELb0ES3_jN6thrust23THRUST_200600_302600_NS6detail15normal_iteratorINSA_7pointerIsNSA_11hip_rocprim3tagENSA_11use_defaultESG_EEEEPS6_SJ_NS0_5tupleIJPsSJ_EEENSK_IJSJ_SJ_EEES6_PlJ7is_evenIsEEEE10hipError_tPvRmT3_T4_T5_T6_T7_T9_mT8_P12ihipStream_tbDpT10_ENKUlT_T0_E_clISt17integral_constantIbLb0EES19_IbLb1EEEEDaS15_S16_EUlS15_E_NS1_11comp_targetILNS1_3genE0ELNS1_11target_archE4294967295ELNS1_3gpuE0ELNS1_3repE0EEENS1_30default_config_static_selectorELNS0_4arch9wavefront6targetE1EEEvT1_,"axG",@progbits,_ZN7rocprim17ROCPRIM_400000_NS6detail17trampoline_kernelINS0_14default_configENS1_25partition_config_selectorILNS1_17partition_subalgoE3EsNS0_10empty_typeEbEEZZNS1_14partition_implILS5_3ELb0ES3_jN6thrust23THRUST_200600_302600_NS6detail15normal_iteratorINSA_7pointerIsNSA_11hip_rocprim3tagENSA_11use_defaultESG_EEEEPS6_SJ_NS0_5tupleIJPsSJ_EEENSK_IJSJ_SJ_EEES6_PlJ7is_evenIsEEEE10hipError_tPvRmT3_T4_T5_T6_T7_T9_mT8_P12ihipStream_tbDpT10_ENKUlT_T0_E_clISt17integral_constantIbLb0EES19_IbLb1EEEEDaS15_S16_EUlS15_E_NS1_11comp_targetILNS1_3genE0ELNS1_11target_archE4294967295ELNS1_3gpuE0ELNS1_3repE0EEENS1_30default_config_static_selectorELNS0_4arch9wavefront6targetE1EEEvT1_,comdat
	.protected	_ZN7rocprim17ROCPRIM_400000_NS6detail17trampoline_kernelINS0_14default_configENS1_25partition_config_selectorILNS1_17partition_subalgoE3EsNS0_10empty_typeEbEEZZNS1_14partition_implILS5_3ELb0ES3_jN6thrust23THRUST_200600_302600_NS6detail15normal_iteratorINSA_7pointerIsNSA_11hip_rocprim3tagENSA_11use_defaultESG_EEEEPS6_SJ_NS0_5tupleIJPsSJ_EEENSK_IJSJ_SJ_EEES6_PlJ7is_evenIsEEEE10hipError_tPvRmT3_T4_T5_T6_T7_T9_mT8_P12ihipStream_tbDpT10_ENKUlT_T0_E_clISt17integral_constantIbLb0EES19_IbLb1EEEEDaS15_S16_EUlS15_E_NS1_11comp_targetILNS1_3genE0ELNS1_11target_archE4294967295ELNS1_3gpuE0ELNS1_3repE0EEENS1_30default_config_static_selectorELNS0_4arch9wavefront6targetE1EEEvT1_ ; -- Begin function _ZN7rocprim17ROCPRIM_400000_NS6detail17trampoline_kernelINS0_14default_configENS1_25partition_config_selectorILNS1_17partition_subalgoE3EsNS0_10empty_typeEbEEZZNS1_14partition_implILS5_3ELb0ES3_jN6thrust23THRUST_200600_302600_NS6detail15normal_iteratorINSA_7pointerIsNSA_11hip_rocprim3tagENSA_11use_defaultESG_EEEEPS6_SJ_NS0_5tupleIJPsSJ_EEENSK_IJSJ_SJ_EEES6_PlJ7is_evenIsEEEE10hipError_tPvRmT3_T4_T5_T6_T7_T9_mT8_P12ihipStream_tbDpT10_ENKUlT_T0_E_clISt17integral_constantIbLb0EES19_IbLb1EEEEDaS15_S16_EUlS15_E_NS1_11comp_targetILNS1_3genE0ELNS1_11target_archE4294967295ELNS1_3gpuE0ELNS1_3repE0EEENS1_30default_config_static_selectorELNS0_4arch9wavefront6targetE1EEEvT1_
	.globl	_ZN7rocprim17ROCPRIM_400000_NS6detail17trampoline_kernelINS0_14default_configENS1_25partition_config_selectorILNS1_17partition_subalgoE3EsNS0_10empty_typeEbEEZZNS1_14partition_implILS5_3ELb0ES3_jN6thrust23THRUST_200600_302600_NS6detail15normal_iteratorINSA_7pointerIsNSA_11hip_rocprim3tagENSA_11use_defaultESG_EEEEPS6_SJ_NS0_5tupleIJPsSJ_EEENSK_IJSJ_SJ_EEES6_PlJ7is_evenIsEEEE10hipError_tPvRmT3_T4_T5_T6_T7_T9_mT8_P12ihipStream_tbDpT10_ENKUlT_T0_E_clISt17integral_constantIbLb0EES19_IbLb1EEEEDaS15_S16_EUlS15_E_NS1_11comp_targetILNS1_3genE0ELNS1_11target_archE4294967295ELNS1_3gpuE0ELNS1_3repE0EEENS1_30default_config_static_selectorELNS0_4arch9wavefront6targetE1EEEvT1_
	.p2align	8
	.type	_ZN7rocprim17ROCPRIM_400000_NS6detail17trampoline_kernelINS0_14default_configENS1_25partition_config_selectorILNS1_17partition_subalgoE3EsNS0_10empty_typeEbEEZZNS1_14partition_implILS5_3ELb0ES3_jN6thrust23THRUST_200600_302600_NS6detail15normal_iteratorINSA_7pointerIsNSA_11hip_rocprim3tagENSA_11use_defaultESG_EEEEPS6_SJ_NS0_5tupleIJPsSJ_EEENSK_IJSJ_SJ_EEES6_PlJ7is_evenIsEEEE10hipError_tPvRmT3_T4_T5_T6_T7_T9_mT8_P12ihipStream_tbDpT10_ENKUlT_T0_E_clISt17integral_constantIbLb0EES19_IbLb1EEEEDaS15_S16_EUlS15_E_NS1_11comp_targetILNS1_3genE0ELNS1_11target_archE4294967295ELNS1_3gpuE0ELNS1_3repE0EEENS1_30default_config_static_selectorELNS0_4arch9wavefront6targetE1EEEvT1_,@function
_ZN7rocprim17ROCPRIM_400000_NS6detail17trampoline_kernelINS0_14default_configENS1_25partition_config_selectorILNS1_17partition_subalgoE3EsNS0_10empty_typeEbEEZZNS1_14partition_implILS5_3ELb0ES3_jN6thrust23THRUST_200600_302600_NS6detail15normal_iteratorINSA_7pointerIsNSA_11hip_rocprim3tagENSA_11use_defaultESG_EEEEPS6_SJ_NS0_5tupleIJPsSJ_EEENSK_IJSJ_SJ_EEES6_PlJ7is_evenIsEEEE10hipError_tPvRmT3_T4_T5_T6_T7_T9_mT8_P12ihipStream_tbDpT10_ENKUlT_T0_E_clISt17integral_constantIbLb0EES19_IbLb1EEEEDaS15_S16_EUlS15_E_NS1_11comp_targetILNS1_3genE0ELNS1_11target_archE4294967295ELNS1_3gpuE0ELNS1_3repE0EEENS1_30default_config_static_selectorELNS0_4arch9wavefront6targetE1EEEvT1_: ; @_ZN7rocprim17ROCPRIM_400000_NS6detail17trampoline_kernelINS0_14default_configENS1_25partition_config_selectorILNS1_17partition_subalgoE3EsNS0_10empty_typeEbEEZZNS1_14partition_implILS5_3ELb0ES3_jN6thrust23THRUST_200600_302600_NS6detail15normal_iteratorINSA_7pointerIsNSA_11hip_rocprim3tagENSA_11use_defaultESG_EEEEPS6_SJ_NS0_5tupleIJPsSJ_EEENSK_IJSJ_SJ_EEES6_PlJ7is_evenIsEEEE10hipError_tPvRmT3_T4_T5_T6_T7_T9_mT8_P12ihipStream_tbDpT10_ENKUlT_T0_E_clISt17integral_constantIbLb0EES19_IbLb1EEEEDaS15_S16_EUlS15_E_NS1_11comp_targetILNS1_3genE0ELNS1_11target_archE4294967295ELNS1_3gpuE0ELNS1_3repE0EEENS1_30default_config_static_selectorELNS0_4arch9wavefront6targetE1EEEvT1_
; %bb.0:
	.section	.rodata,"a",@progbits
	.p2align	6, 0x0
	.amdhsa_kernel _ZN7rocprim17ROCPRIM_400000_NS6detail17trampoline_kernelINS0_14default_configENS1_25partition_config_selectorILNS1_17partition_subalgoE3EsNS0_10empty_typeEbEEZZNS1_14partition_implILS5_3ELb0ES3_jN6thrust23THRUST_200600_302600_NS6detail15normal_iteratorINSA_7pointerIsNSA_11hip_rocprim3tagENSA_11use_defaultESG_EEEEPS6_SJ_NS0_5tupleIJPsSJ_EEENSK_IJSJ_SJ_EEES6_PlJ7is_evenIsEEEE10hipError_tPvRmT3_T4_T5_T6_T7_T9_mT8_P12ihipStream_tbDpT10_ENKUlT_T0_E_clISt17integral_constantIbLb0EES19_IbLb1EEEEDaS15_S16_EUlS15_E_NS1_11comp_targetILNS1_3genE0ELNS1_11target_archE4294967295ELNS1_3gpuE0ELNS1_3repE0EEENS1_30default_config_static_selectorELNS0_4arch9wavefront6targetE1EEEvT1_
		.amdhsa_group_segment_fixed_size 0
		.amdhsa_private_segment_fixed_size 0
		.amdhsa_kernarg_size 136
		.amdhsa_user_sgpr_count 2
		.amdhsa_user_sgpr_dispatch_ptr 0
		.amdhsa_user_sgpr_queue_ptr 0
		.amdhsa_user_sgpr_kernarg_segment_ptr 1
		.amdhsa_user_sgpr_dispatch_id 0
		.amdhsa_user_sgpr_kernarg_preload_length 0
		.amdhsa_user_sgpr_kernarg_preload_offset 0
		.amdhsa_user_sgpr_private_segment_size 0
		.amdhsa_uses_dynamic_stack 0
		.amdhsa_enable_private_segment 0
		.amdhsa_system_sgpr_workgroup_id_x 1
		.amdhsa_system_sgpr_workgroup_id_y 0
		.amdhsa_system_sgpr_workgroup_id_z 0
		.amdhsa_system_sgpr_workgroup_info 0
		.amdhsa_system_vgpr_workitem_id 0
		.amdhsa_next_free_vgpr 1
		.amdhsa_next_free_sgpr 0
		.amdhsa_accum_offset 4
		.amdhsa_reserve_vcc 0
		.amdhsa_float_round_mode_32 0
		.amdhsa_float_round_mode_16_64 0
		.amdhsa_float_denorm_mode_32 3
		.amdhsa_float_denorm_mode_16_64 3
		.amdhsa_dx10_clamp 1
		.amdhsa_ieee_mode 1
		.amdhsa_fp16_overflow 0
		.amdhsa_tg_split 0
		.amdhsa_exception_fp_ieee_invalid_op 0
		.amdhsa_exception_fp_denorm_src 0
		.amdhsa_exception_fp_ieee_div_zero 0
		.amdhsa_exception_fp_ieee_overflow 0
		.amdhsa_exception_fp_ieee_underflow 0
		.amdhsa_exception_fp_ieee_inexact 0
		.amdhsa_exception_int_div_zero 0
	.end_amdhsa_kernel
	.section	.text._ZN7rocprim17ROCPRIM_400000_NS6detail17trampoline_kernelINS0_14default_configENS1_25partition_config_selectorILNS1_17partition_subalgoE3EsNS0_10empty_typeEbEEZZNS1_14partition_implILS5_3ELb0ES3_jN6thrust23THRUST_200600_302600_NS6detail15normal_iteratorINSA_7pointerIsNSA_11hip_rocprim3tagENSA_11use_defaultESG_EEEEPS6_SJ_NS0_5tupleIJPsSJ_EEENSK_IJSJ_SJ_EEES6_PlJ7is_evenIsEEEE10hipError_tPvRmT3_T4_T5_T6_T7_T9_mT8_P12ihipStream_tbDpT10_ENKUlT_T0_E_clISt17integral_constantIbLb0EES19_IbLb1EEEEDaS15_S16_EUlS15_E_NS1_11comp_targetILNS1_3genE0ELNS1_11target_archE4294967295ELNS1_3gpuE0ELNS1_3repE0EEENS1_30default_config_static_selectorELNS0_4arch9wavefront6targetE1EEEvT1_,"axG",@progbits,_ZN7rocprim17ROCPRIM_400000_NS6detail17trampoline_kernelINS0_14default_configENS1_25partition_config_selectorILNS1_17partition_subalgoE3EsNS0_10empty_typeEbEEZZNS1_14partition_implILS5_3ELb0ES3_jN6thrust23THRUST_200600_302600_NS6detail15normal_iteratorINSA_7pointerIsNSA_11hip_rocprim3tagENSA_11use_defaultESG_EEEEPS6_SJ_NS0_5tupleIJPsSJ_EEENSK_IJSJ_SJ_EEES6_PlJ7is_evenIsEEEE10hipError_tPvRmT3_T4_T5_T6_T7_T9_mT8_P12ihipStream_tbDpT10_ENKUlT_T0_E_clISt17integral_constantIbLb0EES19_IbLb1EEEEDaS15_S16_EUlS15_E_NS1_11comp_targetILNS1_3genE0ELNS1_11target_archE4294967295ELNS1_3gpuE0ELNS1_3repE0EEENS1_30default_config_static_selectorELNS0_4arch9wavefront6targetE1EEEvT1_,comdat
.Lfunc_end164:
	.size	_ZN7rocprim17ROCPRIM_400000_NS6detail17trampoline_kernelINS0_14default_configENS1_25partition_config_selectorILNS1_17partition_subalgoE3EsNS0_10empty_typeEbEEZZNS1_14partition_implILS5_3ELb0ES3_jN6thrust23THRUST_200600_302600_NS6detail15normal_iteratorINSA_7pointerIsNSA_11hip_rocprim3tagENSA_11use_defaultESG_EEEEPS6_SJ_NS0_5tupleIJPsSJ_EEENSK_IJSJ_SJ_EEES6_PlJ7is_evenIsEEEE10hipError_tPvRmT3_T4_T5_T6_T7_T9_mT8_P12ihipStream_tbDpT10_ENKUlT_T0_E_clISt17integral_constantIbLb0EES19_IbLb1EEEEDaS15_S16_EUlS15_E_NS1_11comp_targetILNS1_3genE0ELNS1_11target_archE4294967295ELNS1_3gpuE0ELNS1_3repE0EEENS1_30default_config_static_selectorELNS0_4arch9wavefront6targetE1EEEvT1_, .Lfunc_end164-_ZN7rocprim17ROCPRIM_400000_NS6detail17trampoline_kernelINS0_14default_configENS1_25partition_config_selectorILNS1_17partition_subalgoE3EsNS0_10empty_typeEbEEZZNS1_14partition_implILS5_3ELb0ES3_jN6thrust23THRUST_200600_302600_NS6detail15normal_iteratorINSA_7pointerIsNSA_11hip_rocprim3tagENSA_11use_defaultESG_EEEEPS6_SJ_NS0_5tupleIJPsSJ_EEENSK_IJSJ_SJ_EEES6_PlJ7is_evenIsEEEE10hipError_tPvRmT3_T4_T5_T6_T7_T9_mT8_P12ihipStream_tbDpT10_ENKUlT_T0_E_clISt17integral_constantIbLb0EES19_IbLb1EEEEDaS15_S16_EUlS15_E_NS1_11comp_targetILNS1_3genE0ELNS1_11target_archE4294967295ELNS1_3gpuE0ELNS1_3repE0EEENS1_30default_config_static_selectorELNS0_4arch9wavefront6targetE1EEEvT1_
                                        ; -- End function
	.section	.AMDGPU.csdata,"",@progbits
; Kernel info:
; codeLenInByte = 0
; NumSgprs: 6
; NumVgprs: 0
; NumAgprs: 0
; TotalNumVgprs: 0
; ScratchSize: 0
; MemoryBound: 0
; FloatMode: 240
; IeeeMode: 1
; LDSByteSize: 0 bytes/workgroup (compile time only)
; SGPRBlocks: 0
; VGPRBlocks: 0
; NumSGPRsForWavesPerEU: 6
; NumVGPRsForWavesPerEU: 1
; AccumOffset: 4
; Occupancy: 8
; WaveLimiterHint : 0
; COMPUTE_PGM_RSRC2:SCRATCH_EN: 0
; COMPUTE_PGM_RSRC2:USER_SGPR: 2
; COMPUTE_PGM_RSRC2:TRAP_HANDLER: 0
; COMPUTE_PGM_RSRC2:TGID_X_EN: 1
; COMPUTE_PGM_RSRC2:TGID_Y_EN: 0
; COMPUTE_PGM_RSRC2:TGID_Z_EN: 0
; COMPUTE_PGM_RSRC2:TIDIG_COMP_CNT: 0
; COMPUTE_PGM_RSRC3_GFX90A:ACCUM_OFFSET: 0
; COMPUTE_PGM_RSRC3_GFX90A:TG_SPLIT: 0
	.section	.text._ZN7rocprim17ROCPRIM_400000_NS6detail17trampoline_kernelINS0_14default_configENS1_25partition_config_selectorILNS1_17partition_subalgoE3EsNS0_10empty_typeEbEEZZNS1_14partition_implILS5_3ELb0ES3_jN6thrust23THRUST_200600_302600_NS6detail15normal_iteratorINSA_7pointerIsNSA_11hip_rocprim3tagENSA_11use_defaultESG_EEEEPS6_SJ_NS0_5tupleIJPsSJ_EEENSK_IJSJ_SJ_EEES6_PlJ7is_evenIsEEEE10hipError_tPvRmT3_T4_T5_T6_T7_T9_mT8_P12ihipStream_tbDpT10_ENKUlT_T0_E_clISt17integral_constantIbLb0EES19_IbLb1EEEEDaS15_S16_EUlS15_E_NS1_11comp_targetILNS1_3genE5ELNS1_11target_archE942ELNS1_3gpuE9ELNS1_3repE0EEENS1_30default_config_static_selectorELNS0_4arch9wavefront6targetE1EEEvT1_,"axG",@progbits,_ZN7rocprim17ROCPRIM_400000_NS6detail17trampoline_kernelINS0_14default_configENS1_25partition_config_selectorILNS1_17partition_subalgoE3EsNS0_10empty_typeEbEEZZNS1_14partition_implILS5_3ELb0ES3_jN6thrust23THRUST_200600_302600_NS6detail15normal_iteratorINSA_7pointerIsNSA_11hip_rocprim3tagENSA_11use_defaultESG_EEEEPS6_SJ_NS0_5tupleIJPsSJ_EEENSK_IJSJ_SJ_EEES6_PlJ7is_evenIsEEEE10hipError_tPvRmT3_T4_T5_T6_T7_T9_mT8_P12ihipStream_tbDpT10_ENKUlT_T0_E_clISt17integral_constantIbLb0EES19_IbLb1EEEEDaS15_S16_EUlS15_E_NS1_11comp_targetILNS1_3genE5ELNS1_11target_archE942ELNS1_3gpuE9ELNS1_3repE0EEENS1_30default_config_static_selectorELNS0_4arch9wavefront6targetE1EEEvT1_,comdat
	.protected	_ZN7rocprim17ROCPRIM_400000_NS6detail17trampoline_kernelINS0_14default_configENS1_25partition_config_selectorILNS1_17partition_subalgoE3EsNS0_10empty_typeEbEEZZNS1_14partition_implILS5_3ELb0ES3_jN6thrust23THRUST_200600_302600_NS6detail15normal_iteratorINSA_7pointerIsNSA_11hip_rocprim3tagENSA_11use_defaultESG_EEEEPS6_SJ_NS0_5tupleIJPsSJ_EEENSK_IJSJ_SJ_EEES6_PlJ7is_evenIsEEEE10hipError_tPvRmT3_T4_T5_T6_T7_T9_mT8_P12ihipStream_tbDpT10_ENKUlT_T0_E_clISt17integral_constantIbLb0EES19_IbLb1EEEEDaS15_S16_EUlS15_E_NS1_11comp_targetILNS1_3genE5ELNS1_11target_archE942ELNS1_3gpuE9ELNS1_3repE0EEENS1_30default_config_static_selectorELNS0_4arch9wavefront6targetE1EEEvT1_ ; -- Begin function _ZN7rocprim17ROCPRIM_400000_NS6detail17trampoline_kernelINS0_14default_configENS1_25partition_config_selectorILNS1_17partition_subalgoE3EsNS0_10empty_typeEbEEZZNS1_14partition_implILS5_3ELb0ES3_jN6thrust23THRUST_200600_302600_NS6detail15normal_iteratorINSA_7pointerIsNSA_11hip_rocprim3tagENSA_11use_defaultESG_EEEEPS6_SJ_NS0_5tupleIJPsSJ_EEENSK_IJSJ_SJ_EEES6_PlJ7is_evenIsEEEE10hipError_tPvRmT3_T4_T5_T6_T7_T9_mT8_P12ihipStream_tbDpT10_ENKUlT_T0_E_clISt17integral_constantIbLb0EES19_IbLb1EEEEDaS15_S16_EUlS15_E_NS1_11comp_targetILNS1_3genE5ELNS1_11target_archE942ELNS1_3gpuE9ELNS1_3repE0EEENS1_30default_config_static_selectorELNS0_4arch9wavefront6targetE1EEEvT1_
	.globl	_ZN7rocprim17ROCPRIM_400000_NS6detail17trampoline_kernelINS0_14default_configENS1_25partition_config_selectorILNS1_17partition_subalgoE3EsNS0_10empty_typeEbEEZZNS1_14partition_implILS5_3ELb0ES3_jN6thrust23THRUST_200600_302600_NS6detail15normal_iteratorINSA_7pointerIsNSA_11hip_rocprim3tagENSA_11use_defaultESG_EEEEPS6_SJ_NS0_5tupleIJPsSJ_EEENSK_IJSJ_SJ_EEES6_PlJ7is_evenIsEEEE10hipError_tPvRmT3_T4_T5_T6_T7_T9_mT8_P12ihipStream_tbDpT10_ENKUlT_T0_E_clISt17integral_constantIbLb0EES19_IbLb1EEEEDaS15_S16_EUlS15_E_NS1_11comp_targetILNS1_3genE5ELNS1_11target_archE942ELNS1_3gpuE9ELNS1_3repE0EEENS1_30default_config_static_selectorELNS0_4arch9wavefront6targetE1EEEvT1_
	.p2align	8
	.type	_ZN7rocprim17ROCPRIM_400000_NS6detail17trampoline_kernelINS0_14default_configENS1_25partition_config_selectorILNS1_17partition_subalgoE3EsNS0_10empty_typeEbEEZZNS1_14partition_implILS5_3ELb0ES3_jN6thrust23THRUST_200600_302600_NS6detail15normal_iteratorINSA_7pointerIsNSA_11hip_rocprim3tagENSA_11use_defaultESG_EEEEPS6_SJ_NS0_5tupleIJPsSJ_EEENSK_IJSJ_SJ_EEES6_PlJ7is_evenIsEEEE10hipError_tPvRmT3_T4_T5_T6_T7_T9_mT8_P12ihipStream_tbDpT10_ENKUlT_T0_E_clISt17integral_constantIbLb0EES19_IbLb1EEEEDaS15_S16_EUlS15_E_NS1_11comp_targetILNS1_3genE5ELNS1_11target_archE942ELNS1_3gpuE9ELNS1_3repE0EEENS1_30default_config_static_selectorELNS0_4arch9wavefront6targetE1EEEvT1_,@function
_ZN7rocprim17ROCPRIM_400000_NS6detail17trampoline_kernelINS0_14default_configENS1_25partition_config_selectorILNS1_17partition_subalgoE3EsNS0_10empty_typeEbEEZZNS1_14partition_implILS5_3ELb0ES3_jN6thrust23THRUST_200600_302600_NS6detail15normal_iteratorINSA_7pointerIsNSA_11hip_rocprim3tagENSA_11use_defaultESG_EEEEPS6_SJ_NS0_5tupleIJPsSJ_EEENSK_IJSJ_SJ_EEES6_PlJ7is_evenIsEEEE10hipError_tPvRmT3_T4_T5_T6_T7_T9_mT8_P12ihipStream_tbDpT10_ENKUlT_T0_E_clISt17integral_constantIbLb0EES19_IbLb1EEEEDaS15_S16_EUlS15_E_NS1_11comp_targetILNS1_3genE5ELNS1_11target_archE942ELNS1_3gpuE9ELNS1_3repE0EEENS1_30default_config_static_selectorELNS0_4arch9wavefront6targetE1EEEvT1_: ; @_ZN7rocprim17ROCPRIM_400000_NS6detail17trampoline_kernelINS0_14default_configENS1_25partition_config_selectorILNS1_17partition_subalgoE3EsNS0_10empty_typeEbEEZZNS1_14partition_implILS5_3ELb0ES3_jN6thrust23THRUST_200600_302600_NS6detail15normal_iteratorINSA_7pointerIsNSA_11hip_rocprim3tagENSA_11use_defaultESG_EEEEPS6_SJ_NS0_5tupleIJPsSJ_EEENSK_IJSJ_SJ_EEES6_PlJ7is_evenIsEEEE10hipError_tPvRmT3_T4_T5_T6_T7_T9_mT8_P12ihipStream_tbDpT10_ENKUlT_T0_E_clISt17integral_constantIbLb0EES19_IbLb1EEEEDaS15_S16_EUlS15_E_NS1_11comp_targetILNS1_3genE5ELNS1_11target_archE942ELNS1_3gpuE9ELNS1_3repE0EEENS1_30default_config_static_selectorELNS0_4arch9wavefront6targetE1EEEvT1_
; %bb.0:
	s_load_dwordx2 s[22:23], s[0:1], 0x28
	s_load_dwordx4 s[24:27], s[0:1], 0x48
	s_load_dwordx2 s[34:35], s[0:1], 0x58
	s_load_dwordx2 s[36:37], s[0:1], 0x68
	v_cmp_eq_u32_e64 s[20:21], 0, v0
	s_and_saveexec_b64 s[2:3], s[20:21]
	s_cbranch_execz .LBB165_4
; %bb.1:
	s_mov_b64 s[6:7], exec
	v_mbcnt_lo_u32_b32 v1, s6, 0
	v_mbcnt_hi_u32_b32 v1, s7, v1
	v_cmp_eq_u32_e32 vcc, 0, v1
                                        ; implicit-def: $vgpr2
	s_and_saveexec_b64 s[4:5], vcc
	s_cbranch_execz .LBB165_3
; %bb.2:
	s_load_dwordx2 s[8:9], s[0:1], 0x78
	s_bcnt1_i32_b64 s6, s[6:7]
	v_mov_b32_e32 v2, 0
	v_mov_b32_e32 v3, s6
	s_waitcnt lgkmcnt(0)
	global_atomic_add v2, v2, v3, s[8:9] sc0
.LBB165_3:
	s_or_b64 exec, exec, s[4:5]
	s_waitcnt vmcnt(0)
	v_readfirstlane_b32 s4, v2
	v_mov_b32_e32 v2, 0
	s_nop 0
	v_add_u32_e32 v1, s4, v1
	ds_write_b32 v2, v1
.LBB165_4:
	s_or_b64 exec, exec, s[2:3]
	v_mov_b32_e32 v9, 0
	s_load_dwordx4 s[28:31], s[0:1], 0x8
	s_load_dword s2, s[0:1], 0x70
	s_waitcnt lgkmcnt(0)
	s_barrier
	ds_read_b32 v1, v9
	s_waitcnt lgkmcnt(0)
	s_barrier
	global_load_dwordx2 v[4:5], v9, s[26:27]
	s_lshl_b64 s[0:1], s[30:31], 1
	s_add_u32 s0, s28, s0
	s_addc_u32 s1, s29, s1
	s_movk_i32 s3, 0x3c00
	s_add_i32 s4, s2, -1
	s_mulk_i32 s2, 0x3c00
	v_mul_lo_u32 v8, v1, s3
	s_add_i32 s3, s2, s30
	s_sub_i32 s33, s34, s3
	s_addk_i32 s33, 0x3c00
	s_add_u32 s2, s30, s2
	v_readfirstlane_b32 s40, v1
	s_addc_u32 s3, s31, 0
	s_cmp_eq_u32 s40, s4
	v_mov_b64_e32 v[2:3], s[34:35]
	s_cselect_b64 s[26:27], -1, 0
	s_cmp_lg_u32 s40, s4
	v_cmp_lt_u64_e32 vcc, s[2:3], v[2:3]
	s_cselect_b64 s[2:3], -1, 0
	s_or_b64 s[4:5], vcc, s[2:3]
	v_lshlrev_b64 v[2:3], 1, v[8:9]
	v_lshl_add_u64 v[2:3], s[0:1], 0, v[2:3]
	s_mov_b64 s[0:1], -1
	s_and_b64 vcc, exec, s[4:5]
	v_lshlrev_b32_e32 v18, 1, v0
	s_cbranch_vccz .LBB165_6
; %bb.5:
	v_mov_b32_e32 v19, v9
	v_lshl_add_u64 v[6:7], v[2:3], 0, v[18:19]
	v_add_co_u32_e32 v10, vcc, 0x1000, v6
	s_mov_b64 s[0:1], 0
	s_nop 0
	v_addc_co_u32_e32 v11, vcc, 0, v7, vcc
	flat_load_ushort v1, v[6:7]
	flat_load_ushort v14, v[6:7] offset:1024
	flat_load_ushort v15, v[6:7] offset:2048
	flat_load_ushort v16, v[6:7] offset:3072
	flat_load_ushort v17, v[10:11]
	flat_load_ushort v19, v[10:11] offset:1024
	flat_load_ushort v20, v[10:11] offset:2048
	flat_load_ushort v21, v[10:11] offset:3072
	v_add_co_u32_e32 v10, vcc, 0x2000, v6
	s_nop 1
	v_addc_co_u32_e32 v11, vcc, 0, v7, vcc
	v_add_co_u32_e32 v12, vcc, 0x3000, v6
	s_nop 1
	v_addc_co_u32_e32 v13, vcc, 0, v7, vcc
	flat_load_ushort v22, v[10:11]
	flat_load_ushort v23, v[10:11] offset:1024
	flat_load_ushort v24, v[10:11] offset:2048
	flat_load_ushort v25, v[10:11] offset:3072
	flat_load_ushort v26, v[12:13]
	flat_load_ushort v27, v[12:13] offset:1024
	flat_load_ushort v28, v[12:13] offset:2048
	flat_load_ushort v29, v[12:13] offset:3072
	v_add_co_u32_e32 v10, vcc, 0x4000, v6
	s_nop 1
	v_addc_co_u32_e32 v11, vcc, 0, v7, vcc
	v_add_co_u32_e32 v12, vcc, 0x5000, v6
	;; [unrolled: 14-line block ×3, first 2 shown]
	s_nop 1
	v_addc_co_u32_e32 v7, vcc, 0, v7, vcc
	flat_load_ushort v12, v[10:11]
	flat_load_ushort v13, v[10:11] offset:1024
	flat_load_ushort v38, v[10:11] offset:2048
	;; [unrolled: 1-line block ×3, first 2 shown]
	flat_load_ushort v40, v[6:7]
	flat_load_ushort v41, v[6:7] offset:1024
	s_waitcnt vmcnt(0) lgkmcnt(0)
	ds_write_b16 v18, v1
	ds_write_b16 v18, v14 offset:1024
	ds_write_b16 v18, v15 offset:2048
	;; [unrolled: 1-line block ×29, first 2 shown]
	s_waitcnt lgkmcnt(0)
	s_barrier
.LBB165_6:
	s_andn2_b64 vcc, exec, s[0:1]
	v_cmp_gt_u32_e64 s[0:1], s33, v0
	s_cbranch_vccnz .LBB165_68
; %bb.7:
                                        ; implicit-def: $vgpr1
	s_and_saveexec_b64 s[2:3], s[0:1]
	s_cbranch_execz .LBB165_9
; %bb.8:
	v_mov_b32_e32 v19, 0
	v_lshl_add_u64 v[6:7], v[2:3], 0, v[18:19]
	flat_load_ushort v1, v[6:7]
.LBB165_9:
	s_or_b64 exec, exec, s[2:3]
	v_or_b32_e32 v6, 0x200, v0
	v_cmp_gt_u32_e32 vcc, s33, v6
                                        ; implicit-def: $vgpr6
	s_and_saveexec_b64 s[0:1], vcc
	s_cbranch_execz .LBB165_11
; %bb.10:
	v_mov_b32_e32 v19, 0
	v_lshl_add_u64 v[6:7], v[2:3], 0, v[18:19]
	flat_load_ushort v6, v[6:7] offset:1024
.LBB165_11:
	s_or_b64 exec, exec, s[0:1]
	v_or_b32_e32 v7, 0x400, v0
	v_cmp_gt_u32_e32 vcc, s33, v7
                                        ; implicit-def: $vgpr7
	s_and_saveexec_b64 s[0:1], vcc
	s_cbranch_execz .LBB165_13
; %bb.12:
	v_mov_b32_e32 v19, 0
	v_lshl_add_u64 v[10:11], v[2:3], 0, v[18:19]
	flat_load_ushort v7, v[10:11] offset:2048
.LBB165_13:
	s_or_b64 exec, exec, s[0:1]
	v_or_b32_e32 v10, 0x600, v0
	v_cmp_gt_u32_e32 vcc, s33, v10
                                        ; implicit-def: $vgpr10
	s_and_saveexec_b64 s[0:1], vcc
	s_cbranch_execz .LBB165_15
; %bb.14:
	v_mov_b32_e32 v19, 0
	v_lshl_add_u64 v[10:11], v[2:3], 0, v[18:19]
	flat_load_ushort v10, v[10:11] offset:3072
.LBB165_15:
	s_or_b64 exec, exec, s[0:1]
	v_or_b32_e32 v12, 0x800, v0
	v_cmp_gt_u32_e32 vcc, s33, v12
                                        ; implicit-def: $vgpr11
	s_and_saveexec_b64 s[0:1], vcc
	s_cbranch_execz .LBB165_17
; %bb.16:
	v_lshlrev_b32_e32 v12, 1, v12
	v_mov_b32_e32 v13, 0
	v_lshl_add_u64 v[12:13], v[2:3], 0, v[12:13]
	flat_load_ushort v11, v[12:13]
.LBB165_17:
	s_or_b64 exec, exec, s[0:1]
	v_or_b32_e32 v13, 0xa00, v0
	v_cmp_gt_u32_e32 vcc, s33, v13
                                        ; implicit-def: $vgpr12
	s_and_saveexec_b64 s[0:1], vcc
	s_cbranch_execz .LBB165_19
; %bb.18:
	v_lshlrev_b32_e32 v12, 1, v13
	v_mov_b32_e32 v13, 0
	v_lshl_add_u64 v[12:13], v[2:3], 0, v[12:13]
	flat_load_ushort v12, v[12:13]
.LBB165_19:
	s_or_b64 exec, exec, s[0:1]
	v_or_b32_e32 v14, 0xc00, v0
	v_cmp_gt_u32_e32 vcc, s33, v14
                                        ; implicit-def: $vgpr13
	s_and_saveexec_b64 s[0:1], vcc
	s_cbranch_execz .LBB165_21
; %bb.20:
	v_lshlrev_b32_e32 v14, 1, v14
	v_mov_b32_e32 v15, 0
	v_lshl_add_u64 v[14:15], v[2:3], 0, v[14:15]
	flat_load_ushort v13, v[14:15]
.LBB165_21:
	s_or_b64 exec, exec, s[0:1]
	v_or_b32_e32 v15, 0xe00, v0
	v_cmp_gt_u32_e32 vcc, s33, v15
                                        ; implicit-def: $vgpr14
	s_and_saveexec_b64 s[0:1], vcc
	s_cbranch_execz .LBB165_23
; %bb.22:
	v_lshlrev_b32_e32 v14, 1, v15
	v_mov_b32_e32 v15, 0
	v_lshl_add_u64 v[14:15], v[2:3], 0, v[14:15]
	flat_load_ushort v14, v[14:15]
.LBB165_23:
	s_or_b64 exec, exec, s[0:1]
	v_or_b32_e32 v16, 0x1000, v0
	v_cmp_gt_u32_e32 vcc, s33, v16
                                        ; implicit-def: $vgpr15
	s_and_saveexec_b64 s[0:1], vcc
	s_cbranch_execz .LBB165_25
; %bb.24:
	v_lshlrev_b32_e32 v16, 1, v16
	v_mov_b32_e32 v17, 0
	v_lshl_add_u64 v[16:17], v[2:3], 0, v[16:17]
	flat_load_ushort v15, v[16:17]
.LBB165_25:
	s_or_b64 exec, exec, s[0:1]
	v_or_b32_e32 v17, 0x1200, v0
	v_cmp_gt_u32_e32 vcc, s33, v17
                                        ; implicit-def: $vgpr16
	s_and_saveexec_b64 s[0:1], vcc
	s_cbranch_execz .LBB165_27
; %bb.26:
	v_lshlrev_b32_e32 v16, 1, v17
	v_mov_b32_e32 v17, 0
	v_lshl_add_u64 v[16:17], v[2:3], 0, v[16:17]
	flat_load_ushort v16, v[16:17]
.LBB165_27:
	s_or_b64 exec, exec, s[0:1]
	v_or_b32_e32 v19, 0x1400, v0
	v_cmp_gt_u32_e32 vcc, s33, v19
                                        ; implicit-def: $vgpr17
	s_and_saveexec_b64 s[0:1], vcc
	s_cbranch_execz .LBB165_29
; %bb.28:
	v_lshlrev_b32_e32 v20, 1, v19
	v_mov_b32_e32 v21, 0
	v_lshl_add_u64 v[20:21], v[2:3], 0, v[20:21]
	flat_load_ushort v17, v[20:21]
.LBB165_29:
	s_or_b64 exec, exec, s[0:1]
	v_or_b32_e32 v20, 0x1600, v0
	v_cmp_gt_u32_e32 vcc, s33, v20
                                        ; implicit-def: $vgpr19
	s_and_saveexec_b64 s[0:1], vcc
	s_cbranch_execz .LBB165_31
; %bb.30:
	v_lshlrev_b32_e32 v20, 1, v20
	v_mov_b32_e32 v21, 0
	v_lshl_add_u64 v[20:21], v[2:3], 0, v[20:21]
	flat_load_ushort v19, v[20:21]
.LBB165_31:
	s_or_b64 exec, exec, s[0:1]
	v_or_b32_e32 v21, 0x1800, v0
	v_cmp_gt_u32_e32 vcc, s33, v21
                                        ; implicit-def: $vgpr20
	s_and_saveexec_b64 s[0:1], vcc
	s_cbranch_execz .LBB165_33
; %bb.32:
	v_lshlrev_b32_e32 v20, 1, v21
	v_mov_b32_e32 v21, 0
	v_lshl_add_u64 v[20:21], v[2:3], 0, v[20:21]
	flat_load_ushort v20, v[20:21]
.LBB165_33:
	s_or_b64 exec, exec, s[0:1]
	v_or_b32_e32 v22, 0x1a00, v0
	v_cmp_gt_u32_e32 vcc, s33, v22
                                        ; implicit-def: $vgpr21
	s_and_saveexec_b64 s[0:1], vcc
	s_cbranch_execz .LBB165_35
; %bb.34:
	v_lshlrev_b32_e32 v22, 1, v22
	v_mov_b32_e32 v23, 0
	v_lshl_add_u64 v[22:23], v[2:3], 0, v[22:23]
	flat_load_ushort v21, v[22:23]
.LBB165_35:
	s_or_b64 exec, exec, s[0:1]
	v_or_b32_e32 v23, 0x1c00, v0
	v_cmp_gt_u32_e32 vcc, s33, v23
                                        ; implicit-def: $vgpr22
	s_and_saveexec_b64 s[0:1], vcc
	s_cbranch_execz .LBB165_37
; %bb.36:
	v_lshlrev_b32_e32 v22, 1, v23
	v_mov_b32_e32 v23, 0
	v_lshl_add_u64 v[22:23], v[2:3], 0, v[22:23]
	flat_load_ushort v22, v[22:23]
.LBB165_37:
	s_or_b64 exec, exec, s[0:1]
	v_or_b32_e32 v24, 0x1e00, v0
	v_cmp_gt_u32_e32 vcc, s33, v24
                                        ; implicit-def: $vgpr23
	s_and_saveexec_b64 s[0:1], vcc
	s_cbranch_execz .LBB165_39
; %bb.38:
	v_lshlrev_b32_e32 v24, 1, v24
	v_mov_b32_e32 v25, 0
	v_lshl_add_u64 v[24:25], v[2:3], 0, v[24:25]
	flat_load_ushort v23, v[24:25]
.LBB165_39:
	s_or_b64 exec, exec, s[0:1]
	v_or_b32_e32 v25, 0x2000, v0
	v_cmp_gt_u32_e32 vcc, s33, v25
                                        ; implicit-def: $vgpr24
	s_and_saveexec_b64 s[0:1], vcc
	s_cbranch_execz .LBB165_41
; %bb.40:
	v_lshlrev_b32_e32 v24, 1, v25
	v_mov_b32_e32 v25, 0
	v_lshl_add_u64 v[24:25], v[2:3], 0, v[24:25]
	flat_load_ushort v24, v[24:25]
.LBB165_41:
	s_or_b64 exec, exec, s[0:1]
	v_or_b32_e32 v26, 0x2200, v0
	v_cmp_gt_u32_e32 vcc, s33, v26
                                        ; implicit-def: $vgpr25
	s_and_saveexec_b64 s[0:1], vcc
	s_cbranch_execz .LBB165_43
; %bb.42:
	v_lshlrev_b32_e32 v26, 1, v26
	v_mov_b32_e32 v27, 0
	v_lshl_add_u64 v[26:27], v[2:3], 0, v[26:27]
	flat_load_ushort v25, v[26:27]
.LBB165_43:
	s_or_b64 exec, exec, s[0:1]
	v_or_b32_e32 v27, 0x2400, v0
	v_cmp_gt_u32_e32 vcc, s33, v27
                                        ; implicit-def: $vgpr26
	s_and_saveexec_b64 s[0:1], vcc
	s_cbranch_execz .LBB165_45
; %bb.44:
	v_lshlrev_b32_e32 v26, 1, v27
	v_mov_b32_e32 v27, 0
	v_lshl_add_u64 v[26:27], v[2:3], 0, v[26:27]
	flat_load_ushort v26, v[26:27]
.LBB165_45:
	s_or_b64 exec, exec, s[0:1]
	v_or_b32_e32 v28, 0x2600, v0
	v_cmp_gt_u32_e32 vcc, s33, v28
                                        ; implicit-def: $vgpr27
	s_and_saveexec_b64 s[0:1], vcc
	s_cbranch_execz .LBB165_47
; %bb.46:
	v_lshlrev_b32_e32 v28, 1, v28
	v_mov_b32_e32 v29, 0
	v_lshl_add_u64 v[28:29], v[2:3], 0, v[28:29]
	flat_load_ushort v27, v[28:29]
.LBB165_47:
	s_or_b64 exec, exec, s[0:1]
	v_or_b32_e32 v29, 0x2800, v0
	v_cmp_gt_u32_e32 vcc, s33, v29
                                        ; implicit-def: $vgpr28
	s_and_saveexec_b64 s[0:1], vcc
	s_cbranch_execz .LBB165_49
; %bb.48:
	v_lshlrev_b32_e32 v28, 1, v29
	v_mov_b32_e32 v29, 0
	v_lshl_add_u64 v[28:29], v[2:3], 0, v[28:29]
	flat_load_ushort v28, v[28:29]
.LBB165_49:
	s_or_b64 exec, exec, s[0:1]
	v_or_b32_e32 v30, 0x2a00, v0
	v_cmp_gt_u32_e32 vcc, s33, v30
                                        ; implicit-def: $vgpr29
	s_and_saveexec_b64 s[0:1], vcc
	s_cbranch_execz .LBB165_51
; %bb.50:
	v_lshlrev_b32_e32 v30, 1, v30
	v_mov_b32_e32 v31, 0
	v_lshl_add_u64 v[30:31], v[2:3], 0, v[30:31]
	flat_load_ushort v29, v[30:31]
.LBB165_51:
	s_or_b64 exec, exec, s[0:1]
	v_or_b32_e32 v31, 0x2c00, v0
	v_cmp_gt_u32_e32 vcc, s33, v31
                                        ; implicit-def: $vgpr30
	s_and_saveexec_b64 s[0:1], vcc
	s_cbranch_execz .LBB165_53
; %bb.52:
	v_lshlrev_b32_e32 v30, 1, v31
	v_mov_b32_e32 v31, 0
	v_lshl_add_u64 v[30:31], v[2:3], 0, v[30:31]
	flat_load_ushort v30, v[30:31]
.LBB165_53:
	s_or_b64 exec, exec, s[0:1]
	v_or_b32_e32 v32, 0x2e00, v0
	v_cmp_gt_u32_e32 vcc, s33, v32
                                        ; implicit-def: $vgpr31
	s_and_saveexec_b64 s[0:1], vcc
	s_cbranch_execz .LBB165_55
; %bb.54:
	v_lshlrev_b32_e32 v32, 1, v32
	v_mov_b32_e32 v33, 0
	v_lshl_add_u64 v[32:33], v[2:3], 0, v[32:33]
	flat_load_ushort v31, v[32:33]
.LBB165_55:
	s_or_b64 exec, exec, s[0:1]
	v_or_b32_e32 v33, 0x3000, v0
	v_cmp_gt_u32_e32 vcc, s33, v33
                                        ; implicit-def: $vgpr32
	s_and_saveexec_b64 s[0:1], vcc
	s_cbranch_execz .LBB165_57
; %bb.56:
	v_lshlrev_b32_e32 v32, 1, v33
	v_mov_b32_e32 v33, 0
	v_lshl_add_u64 v[32:33], v[2:3], 0, v[32:33]
	flat_load_ushort v32, v[32:33]
.LBB165_57:
	s_or_b64 exec, exec, s[0:1]
	v_or_b32_e32 v34, 0x3200, v0
	v_cmp_gt_u32_e32 vcc, s33, v34
                                        ; implicit-def: $vgpr33
	s_and_saveexec_b64 s[0:1], vcc
	s_cbranch_execz .LBB165_59
; %bb.58:
	v_lshlrev_b32_e32 v34, 1, v34
	v_mov_b32_e32 v35, 0
	v_lshl_add_u64 v[34:35], v[2:3], 0, v[34:35]
	flat_load_ushort v33, v[34:35]
.LBB165_59:
	s_or_b64 exec, exec, s[0:1]
	v_or_b32_e32 v35, 0x3400, v0
	v_cmp_gt_u32_e32 vcc, s33, v35
                                        ; implicit-def: $vgpr34
	s_and_saveexec_b64 s[0:1], vcc
	s_cbranch_execz .LBB165_61
; %bb.60:
	v_lshlrev_b32_e32 v34, 1, v35
	v_mov_b32_e32 v35, 0
	v_lshl_add_u64 v[34:35], v[2:3], 0, v[34:35]
	flat_load_ushort v34, v[34:35]
.LBB165_61:
	s_or_b64 exec, exec, s[0:1]
	v_or_b32_e32 v36, 0x3600, v0
	v_cmp_gt_u32_e32 vcc, s33, v36
                                        ; implicit-def: $vgpr35
	s_and_saveexec_b64 s[0:1], vcc
	s_cbranch_execz .LBB165_63
; %bb.62:
	v_lshlrev_b32_e32 v36, 1, v36
	v_mov_b32_e32 v37, 0
	v_lshl_add_u64 v[36:37], v[2:3], 0, v[36:37]
	flat_load_ushort v35, v[36:37]
.LBB165_63:
	s_or_b64 exec, exec, s[0:1]
	v_or_b32_e32 v37, 0x3800, v0
	v_cmp_gt_u32_e32 vcc, s33, v37
                                        ; implicit-def: $vgpr36
	s_and_saveexec_b64 s[0:1], vcc
	s_cbranch_execz .LBB165_65
; %bb.64:
	v_lshlrev_b32_e32 v36, 1, v37
	v_mov_b32_e32 v37, 0
	v_lshl_add_u64 v[36:37], v[2:3], 0, v[36:37]
	flat_load_ushort v36, v[36:37]
.LBB165_65:
	s_or_b64 exec, exec, s[0:1]
	v_or_b32_e32 v38, 0x3a00, v0
	v_cmp_gt_u32_e32 vcc, s33, v38
                                        ; implicit-def: $vgpr37
	s_and_saveexec_b64 s[0:1], vcc
	s_cbranch_execz .LBB165_67
; %bb.66:
	v_lshlrev_b32_e32 v38, 1, v38
	v_mov_b32_e32 v39, 0
	v_lshl_add_u64 v[2:3], v[2:3], 0, v[38:39]
	flat_load_ushort v37, v[2:3]
.LBB165_67:
	s_or_b64 exec, exec, s[0:1]
	s_waitcnt vmcnt(0) lgkmcnt(0)
	ds_write_b16 v18, v1
	ds_write_b16 v18, v6 offset:1024
	ds_write_b16 v18, v7 offset:2048
	;; [unrolled: 1-line block ×29, first 2 shown]
	s_waitcnt lgkmcnt(0)
	s_barrier
.LBB165_68:
	v_mul_u32_u24_e32 v44, 30, v0
	v_lshlrev_b32_e32 v2, 1, v44
	ds_read_b32 v19, v2 offset:56
	ds_read2_b32 v[6:7], v2 offset0:12 offset1:13
	ds_read2_b32 v[10:11], v2 offset0:10 offset1:11
	ds_read2_b32 v[12:13], v2 offset0:8 offset1:9
	ds_read2_b32 v[22:23], v2 offset1:1
	ds_read2_b32 v[20:21], v2 offset0:2 offset1:3
	ds_read2_b32 v[16:17], v2 offset0:4 offset1:5
	;; [unrolled: 1-line block ×3, first 2 shown]
	s_waitcnt lgkmcnt(7)
	v_lshrrev_b32_e32 v1, 16, v19
	s_waitcnt lgkmcnt(6)
	v_lshrrev_b32_e32 v33, 16, v6
	v_lshrrev_b32_e32 v32, 16, v7
	s_waitcnt lgkmcnt(5)
	v_lshrrev_b32_e32 v35, 16, v10
	;; [unrolled: 3-line block ×6, first 2 shown]
	v_lshrrev_b32_e32 v38, 16, v15
	v_lshrrev_b32_e32 v37, 16, v12
	;; [unrolled: 1-line block ×3, first 2 shown]
	v_cndmask_b32_e64 v2, 0, 1, s[4:5]
	v_cmp_ne_u32_e64 s[2:3], 1, v2
	s_andn2_b64 vcc, exec, s[4:5]
	v_xor_b32_e32 v96, -1, v22
	v_xor_b32_e32 v95, -1, v46
	;; [unrolled: 1-line block ×30, first 2 shown]
	s_barrier
	s_cbranch_vccnz .LBB165_70
; %bb.69:
	v_and_b32_e32 v77, 1, v96
	v_and_b32_e32 v76, 1, v95
	;; [unrolled: 1-line block ×30, first 2 shown]
	s_cbranch_execz .LBB165_71
	s_branch .LBB165_72
.LBB165_70:
                                        ; implicit-def: $vgpr77
                                        ; implicit-def: $vgpr76
                                        ; implicit-def: $vgpr75
                                        ; implicit-def: $vgpr74
                                        ; implicit-def: $vgpr73
                                        ; implicit-def: $vgpr72
                                        ; implicit-def: $vgpr71
                                        ; implicit-def: $vgpr70
                                        ; implicit-def: $vgpr69
                                        ; implicit-def: $vgpr67
                                        ; implicit-def: $vgpr66
                                        ; implicit-def: $vgpr65
                                        ; implicit-def: $vgpr64
                                        ; implicit-def: $vgpr63
                                        ; implicit-def: $vgpr62
                                        ; implicit-def: $vgpr61
                                        ; implicit-def: $vgpr60
                                        ; implicit-def: $vgpr59
                                        ; implicit-def: $vgpr58
                                        ; implicit-def: $vgpr57
                                        ; implicit-def: $vgpr56
                                        ; implicit-def: $vgpr55
                                        ; implicit-def: $vgpr54
                                        ; implicit-def: $vgpr53
                                        ; implicit-def: $vgpr52
                                        ; implicit-def: $vgpr51
                                        ; implicit-def: $vgpr50
                                        ; implicit-def: $vgpr49
                                        ; implicit-def: $vgpr47
                                        ; implicit-def: $vgpr48
.LBB165_71:
	v_or_b32_e32 v56, 1, v44
	v_cmp_gt_u32_e32 vcc, s33, v44
	v_add_u32_e32 v57, 2, v44
	v_add_u32_e32 v58, 3, v44
	v_cndmask_b32_e64 v66, 0, 1, vcc
	v_cmp_gt_u32_e32 vcc, s33, v56
	v_add_u32_e32 v59, 4, v44
	v_add_u32_e32 v60, 5, v44
	v_cndmask_b32_e64 v56, 0, 1, vcc
	v_cmp_gt_u32_e32 vcc, s33, v57
	v_and_b32_e32 v76, v56, v95
	v_add_u32_e32 v61, 6, v44
	v_cndmask_b32_e64 v56, 0, 1, vcc
	v_cmp_gt_u32_e32 vcc, s33, v58
	v_and_b32_e32 v75, v56, v94
	;; [unrolled: 4-line block ×9, first 2 shown]
	v_and_b32_e32 v77, v66, v96
	v_cndmask_b32_e64 v56, 0, 1, vcc
	v_cmp_gt_u32_e32 vcc, s33, v97
	v_and_b32_e32 v66, v56, v86
	v_add_u32_e32 v100, 14, v44
	v_cndmask_b32_e64 v56, 0, 1, vcc
	v_cmp_gt_u32_e32 vcc, s33, v98
	v_and_b32_e32 v65, v56, v85
	v_add_u32_e32 v101, 15, v44
	;; [unrolled: 4-line block ×16, first 2 shown]
	v_cndmask_b32_e64 v26, 0, 1, vcc
	v_cmp_gt_u32_e32 vcc, s33, v49
	v_and_b32_e32 v50, v26, v25
	s_nop 0
	v_cndmask_b32_e64 v25, 0, 1, vcc
	v_cmp_gt_u32_e32 vcc, s33, v47
	v_and_b32_e32 v49, v25, v24
	s_nop 0
	;; [unrolled: 4-line block ×3, first 2 shown]
	v_cndmask_b32_e64 v3, 0, 1, vcc
	v_and_b32_e32 v48, v3, v2
.LBB165_72:
	v_and_b32_e32 v104, 0xff, v50
	v_and_b32_e32 v105, 0xff, v49
	v_add_u32_sdwa v2, v47, v48 dst_sel:DWORD dst_unused:UNUSED_PAD src0_sel:BYTE_0 src1_sel:BYTE_0
	v_and_b32_e32 v102, 0xff, v52
	v_and_b32_e32 v103, 0xff, v51
	v_add3_u32 v2, v2, v105, v104
	v_and_b32_e32 v100, 0xff, v54
	v_and_b32_e32 v101, 0xff, v53
	v_add3_u32 v2, v2, v103, v102
	;; [unrolled: 3-line block ×13, first 2 shown]
	v_add3_u32 v108, v2, v79, v78
	v_mbcnt_lo_u32_b32 v2, -1, 0
	v_mbcnt_hi_u32_b32 v106, -1, v2
	v_and_b32_e32 v2, 15, v106
	v_cmp_eq_u32_e64 s[16:17], 0, v2
	v_cmp_lt_u32_e64 s[14:15], 1, v2
	v_cmp_lt_u32_e64 s[12:13], 3, v2
	;; [unrolled: 1-line block ×3, first 2 shown]
	v_and_b32_e32 v2, 16, v106
	v_cmp_eq_u32_e64 s[8:9], 0, v2
	v_or_b32_e32 v2, 63, v0
	s_cmp_lg_u32 s40, 0
	v_cmp_lt_u32_e64 s[4:5], 31, v106
	v_lshrrev_b32_e32 v107, 6, v0
	v_cmp_eq_u32_e64 s[6:7], v2, v0
	s_cbranch_scc0 .LBB165_99
; %bb.73:
	v_mov_b32_dpp v2, v108 row_shr:1 row_mask:0xf bank_mask:0xf
	v_cndmask_b32_e64 v2, v2, 0, s[16:17]
	v_add_u32_e32 v2, v2, v108
	s_nop 1
	v_mov_b32_dpp v3, v2 row_shr:2 row_mask:0xf bank_mask:0xf
	v_cndmask_b32_e64 v3, 0, v3, s[14:15]
	v_add_u32_e32 v2, v2, v3
	s_nop 1
	;; [unrolled: 4-line block ×4, first 2 shown]
	v_mov_b32_dpp v3, v2 row_bcast:15 row_mask:0xf bank_mask:0xf
	v_cndmask_b32_e64 v3, v3, 0, s[8:9]
	v_add_u32_e32 v2, v2, v3
	s_nop 1
	v_mov_b32_dpp v3, v2 row_bcast:31 row_mask:0xf bank_mask:0xf
	v_cndmask_b32_e64 v3, 0, v3, s[4:5]
	v_add_u32_e32 v2, v2, v3
	s_and_saveexec_b64 s[0:1], s[6:7]
	s_cbranch_execz .LBB165_75
; %bb.74:
	v_lshlrev_b32_e32 v3, 2, v107
	ds_write_b32 v3, v2
.LBB165_75:
	s_or_b64 exec, exec, s[0:1]
	v_cmp_gt_u32_e32 vcc, 8, v0
	s_waitcnt lgkmcnt(0)
	s_barrier
	s_and_saveexec_b64 s[0:1], vcc
	s_cbranch_execz .LBB165_77
; %bb.76:
	v_lshlrev_b32_e32 v3, 2, v0
	ds_read_b32 v24, v3
	v_and_b32_e32 v25, 7, v106
	v_cmp_ne_u32_e32 vcc, 0, v25
	s_waitcnt lgkmcnt(0)
	v_mov_b32_dpp v26, v24 row_shr:1 row_mask:0xf bank_mask:0xf
	v_cndmask_b32_e32 v26, 0, v26, vcc
	v_add_u32_e32 v24, v26, v24
	v_cmp_lt_u32_e32 vcc, 1, v25
	s_nop 0
	v_mov_b32_dpp v26, v24 row_shr:2 row_mask:0xf bank_mask:0xf
	v_cndmask_b32_e32 v26, 0, v26, vcc
	v_add_u32_e32 v24, v24, v26
	v_cmp_lt_u32_e32 vcc, 3, v25
	s_nop 0
	v_mov_b32_dpp v26, v24 row_shr:4 row_mask:0xf bank_mask:0xf
	v_cndmask_b32_e32 v25, 0, v26, vcc
	v_add_u32_e32 v24, v24, v25
	ds_write_b32 v3, v24
.LBB165_77:
	s_or_b64 exec, exec, s[0:1]
	v_cmp_gt_u32_e32 vcc, 64, v0
	v_cmp_lt_u32_e64 s[0:1], 63, v0
	s_waitcnt lgkmcnt(0)
	s_barrier
	s_waitcnt lgkmcnt(0)
                                        ; implicit-def: $vgpr68
	s_and_saveexec_b64 s[18:19], s[0:1]
	s_cbranch_execz .LBB165_79
; %bb.78:
	v_lshl_add_u32 v3, v107, 2, -4
	ds_read_b32 v68, v3
	s_waitcnt lgkmcnt(0)
	v_add_u32_e32 v2, v68, v2
.LBB165_79:
	s_or_b64 exec, exec, s[18:19]
	v_add_u32_e32 v3, -1, v106
	v_and_b32_e32 v24, 64, v106
	v_cmp_lt_i32_e64 s[0:1], v3, v24
	v_cmp_eq_u32_e64 s[18:19], 0, v106
	s_nop 0
	v_cndmask_b32_e64 v3, v3, v106, s[0:1]
	v_lshlrev_b32_e32 v3, 2, v3
	ds_bpermute_b32 v109, v3, v2
	s_and_saveexec_b64 s[0:1], vcc
	s_cbranch_execz .LBB165_98
; %bb.80:
	v_mov_b32_e32 v29, 0
	ds_read_b32 v2, v29 offset:28
	s_and_saveexec_b64 s[28:29], s[18:19]
	s_cbranch_execz .LBB165_82
; %bb.81:
	s_add_i32 s38, s40, 64
	s_mov_b32 s39, 0
	s_lshl_b64 s[38:39], s[38:39], 3
	s_add_u32 s38, s36, s38
	v_mov_b32_e32 v3, 1
	s_addc_u32 s39, s37, s39
	s_waitcnt lgkmcnt(0)
	global_store_dwordx2 v29, v[2:3], s[38:39] sc1
.LBB165_82:
	s_or_b64 exec, exec, s[28:29]
	v_xad_u32 v24, v106, -1, s40
	v_add_u32_e32 v28, 64, v24
	v_lshl_add_u64 v[30:31], v[28:29], 3, s[36:37]
	global_load_dwordx2 v[26:27], v[30:31], off sc1
	s_waitcnt vmcnt(0)
	v_cmp_eq_u16_sdwa s[38:39], v27, v29 src0_sel:BYTE_0 src1_sel:DWORD
	s_and_saveexec_b64 s[28:29], s[38:39]
	s_cbranch_execz .LBB165_86
; %bb.83:
	s_mov_b64 s[38:39], 0
	v_mov_b32_e32 v3, 0
.LBB165_84:                             ; =>This Inner Loop Header: Depth=1
	global_load_dwordx2 v[26:27], v[30:31], off sc1
	s_waitcnt vmcnt(0)
	v_cmp_ne_u16_sdwa s[42:43], v27, v3 src0_sel:BYTE_0 src1_sel:DWORD
	s_or_b64 s[38:39], s[42:43], s[38:39]
	s_andn2_b64 exec, exec, s[38:39]
	s_cbranch_execnz .LBB165_84
; %bb.85:
	s_or_b64 exec, exec, s[38:39]
.LBB165_86:
	s_or_b64 exec, exec, s[28:29]
	v_and_b32_e32 v111, 63, v106
	v_mov_b32_e32 v110, 2
	v_cmp_ne_u32_e32 vcc, 63, v111
	v_cmp_eq_u16_sdwa s[28:29], v27, v110 src0_sel:BYTE_0 src1_sel:DWORD
	v_lshlrev_b64 v[28:29], v106, -1
	v_addc_co_u32_e32 v30, vcc, 0, v106, vcc
	v_and_b32_e32 v3, s29, v29
	v_lshlrev_b32_e32 v112, 2, v30
	v_or_b32_e32 v3, 0x80000000, v3
	ds_bpermute_b32 v30, v112, v26
	v_and_b32_e32 v25, s28, v28
	v_ffbl_b32_e32 v3, v3
	v_add_u32_e32 v3, 32, v3
	v_ffbl_b32_e32 v25, v25
	v_min_u32_e32 v3, v25, v3
	v_cmp_lt_u32_e32 vcc, v111, v3
	v_add_u32_e32 v114, 2, v111
	v_add_u32_e32 v116, 4, v111
	s_waitcnt lgkmcnt(0)
	v_cndmask_b32_e32 v25, 0, v30, vcc
	v_cmp_gt_u32_e32 vcc, 62, v111
	v_add_u32_e32 v25, v25, v26
	v_add_u32_e32 v118, 8, v111
	v_cndmask_b32_e64 v26, 0, 1, vcc
	v_lshlrev_b32_e32 v26, 1, v26
	v_add_lshl_u32 v113, v26, v106, 2
	ds_bpermute_b32 v26, v113, v25
	v_cmp_le_u32_e32 vcc, v114, v3
	v_add_u32_e32 v120, 16, v111
	v_add_u32_e32 v122, 32, v111
	s_waitcnt lgkmcnt(0)
	v_cndmask_b32_e32 v26, 0, v26, vcc
	v_cmp_gt_u32_e32 vcc, 60, v111
	v_add_u32_e32 v25, v25, v26
	s_nop 0
	v_cndmask_b32_e64 v26, 0, 1, vcc
	v_lshlrev_b32_e32 v26, 2, v26
	v_add_lshl_u32 v115, v26, v106, 2
	ds_bpermute_b32 v26, v115, v25
	v_cmp_le_u32_e32 vcc, v116, v3
	s_waitcnt lgkmcnt(0)
	s_nop 0
	v_cndmask_b32_e32 v26, 0, v26, vcc
	v_cmp_gt_u32_e32 vcc, 56, v111
	v_add_u32_e32 v25, v25, v26
	s_nop 0
	v_cndmask_b32_e64 v26, 0, 1, vcc
	v_lshlrev_b32_e32 v26, 3, v26
	v_add_lshl_u32 v117, v26, v106, 2
	ds_bpermute_b32 v26, v117, v25
	v_cmp_le_u32_e32 vcc, v118, v3
	s_waitcnt lgkmcnt(0)
	s_nop 0
	;; [unrolled: 11-line block ×4, first 2 shown]
	v_cndmask_b32_e32 v3, 0, v26, vcc
	v_add_u32_e32 v26, v25, v3
	v_mov_b32_e32 v25, 0
	s_branch .LBB165_88
.LBB165_87:                             ;   in Loop: Header=BB165_88 Depth=1
	s_or_b64 exec, exec, s[28:29]
	v_cmp_eq_u16_sdwa s[28:29], v27, v110 src0_sel:BYTE_0 src1_sel:DWORD
	ds_bpermute_b32 v123, v112, v26
	v_subrev_u32_e32 v24, 64, v24
	v_and_b32_e32 v30, s29, v29
	v_or_b32_e32 v30, 0x80000000, v30
	v_and_b32_e32 v31, s28, v28
	v_ffbl_b32_e32 v30, v30
	v_add_u32_e32 v30, 32, v30
	v_ffbl_b32_e32 v31, v31
	v_min_u32_e32 v30, v31, v30
	v_cmp_lt_u32_e32 vcc, v111, v30
	s_waitcnt lgkmcnt(0)
	s_nop 0
	v_cndmask_b32_e32 v31, 0, v123, vcc
	v_add_u32_e32 v26, v31, v26
	ds_bpermute_b32 v31, v113, v26
	v_cmp_le_u32_e32 vcc, v114, v30
	s_waitcnt lgkmcnt(0)
	s_nop 0
	v_cndmask_b32_e32 v31, 0, v31, vcc
	v_add_u32_e32 v26, v26, v31
	ds_bpermute_b32 v31, v115, v26
	v_cmp_le_u32_e32 vcc, v116, v30
	;; [unrolled: 6-line block ×5, first 2 shown]
	s_waitcnt lgkmcnt(0)
	s_nop 0
	v_cndmask_b32_e32 v30, 0, v31, vcc
	v_add3_u32 v26, v30, v3, v26
.LBB165_88:                             ; =>This Loop Header: Depth=1
                                        ;     Child Loop BB165_91 Depth 2
	v_cmp_ne_u16_sdwa s[28:29], v27, v110 src0_sel:BYTE_0 src1_sel:DWORD
	s_nop 1
	v_cndmask_b32_e64 v3, 0, 1, s[28:29]
	;;#ASMSTART
	;;#ASMEND
	s_nop 0
	v_cmp_ne_u32_e32 vcc, 0, v3
	s_cmp_lg_u64 vcc, exec
	v_mov_b32_e32 v3, v26
	s_cbranch_scc1 .LBB165_93
; %bb.89:                               ;   in Loop: Header=BB165_88 Depth=1
	v_lshl_add_u64 v[30:31], v[24:25], 3, s[36:37]
	global_load_dwordx2 v[26:27], v[30:31], off sc1
	s_waitcnt vmcnt(0)
	v_cmp_eq_u16_sdwa s[38:39], v27, v25 src0_sel:BYTE_0 src1_sel:DWORD
	s_and_saveexec_b64 s[28:29], s[38:39]
	s_cbranch_execz .LBB165_87
; %bb.90:                               ;   in Loop: Header=BB165_88 Depth=1
	s_mov_b64 s[38:39], 0
.LBB165_91:                             ;   Parent Loop BB165_88 Depth=1
                                        ; =>  This Inner Loop Header: Depth=2
	global_load_dwordx2 v[26:27], v[30:31], off sc1
	s_waitcnt vmcnt(0)
	v_cmp_ne_u16_sdwa s[42:43], v27, v25 src0_sel:BYTE_0 src1_sel:DWORD
	s_or_b64 s[38:39], s[42:43], s[38:39]
	s_andn2_b64 exec, exec, s[38:39]
	s_cbranch_execnz .LBB165_91
; %bb.92:                               ;   in Loop: Header=BB165_88 Depth=1
	s_or_b64 exec, exec, s[38:39]
	s_branch .LBB165_87
.LBB165_93:                             ;   in Loop: Header=BB165_88 Depth=1
                                        ; implicit-def: $vgpr26
                                        ; implicit-def: $vgpr27
	s_cbranch_execz .LBB165_88
; %bb.94:
	s_and_saveexec_b64 s[28:29], s[18:19]
	s_cbranch_execz .LBB165_96
; %bb.95:
	s_add_i32 s38, s40, 64
	s_mov_b32 s39, 0
	s_lshl_b64 s[38:39], s[38:39], 3
	s_add_u32 s38, s36, s38
	v_add_u32_e32 v24, v3, v2
	v_mov_b32_e32 v25, 2
	s_addc_u32 s39, s37, s39
	v_mov_b32_e32 v26, 0
	global_store_dwordx2 v26, v[24:25], s[38:39] sc1
	ds_write_b64 v26, v[2:3] offset:30720
.LBB165_96:
	s_or_b64 exec, exec, s[28:29]
	s_and_b64 exec, exec, s[20:21]
	s_cbranch_execz .LBB165_98
; %bb.97:
	v_mov_b32_e32 v2, 0
	ds_write_b32 v2, v3 offset:28
.LBB165_98:
	s_or_b64 exec, exec, s[0:1]
	v_mov_b32_e32 v2, 0
	s_waitcnt lgkmcnt(0)
	s_barrier
	ds_read_b32 v24, v2 offset:28
	s_waitcnt lgkmcnt(0)
	s_barrier
	ds_read_b64 v[2:3], v2 offset:30720
	v_cndmask_b32_e64 v25, v109, v68, s[18:19]
	v_cndmask_b32_e64 v25, v25, 0, s[20:21]
	v_add_u32_e32 v24, v24, v25
	s_waitcnt lgkmcnt(0)
	v_mov_b32_e32 v68, v3
	s_branch .LBB165_109
.LBB165_99:
                                        ; implicit-def: $vgpr68
                                        ; implicit-def: $vgpr2
                                        ; implicit-def: $vgpr24
	s_cbranch_execz .LBB165_109
; %bb.100:
	s_nop 0
	v_mov_b32_dpp v2, v108 row_shr:1 row_mask:0xf bank_mask:0xf
	v_cndmask_b32_e64 v2, v2, 0, s[16:17]
	v_add_u32_e32 v2, v2, v108
	s_nop 1
	v_mov_b32_dpp v3, v2 row_shr:2 row_mask:0xf bank_mask:0xf
	v_cndmask_b32_e64 v3, 0, v3, s[14:15]
	v_add_u32_e32 v2, v2, v3
	;; [unrolled: 4-line block ×4, first 2 shown]
	s_nop 1
	v_mov_b32_dpp v3, v2 row_bcast:15 row_mask:0xf bank_mask:0xf
	v_cndmask_b32_e64 v3, v3, 0, s[8:9]
	v_add_u32_e32 v2, v2, v3
	s_nop 1
	v_mov_b32_dpp v3, v2 row_bcast:31 row_mask:0xf bank_mask:0xf
	v_cndmask_b32_e64 v3, 0, v3, s[4:5]
	v_add_u32_e32 v2, v2, v3
	s_and_saveexec_b64 s[0:1], s[6:7]
	s_cbranch_execz .LBB165_102
; %bb.101:
	v_lshlrev_b32_e32 v3, 2, v107
	ds_write_b32 v3, v2
.LBB165_102:
	s_or_b64 exec, exec, s[0:1]
	v_cmp_gt_u32_e32 vcc, 8, v0
	s_waitcnt lgkmcnt(0)
	s_barrier
	s_and_saveexec_b64 s[0:1], vcc
	s_cbranch_execz .LBB165_104
; %bb.103:
	v_lshlrev_b32_e32 v3, 2, v0
	ds_read_b32 v24, v3
	v_and_b32_e32 v25, 7, v106
	v_cmp_ne_u32_e32 vcc, 0, v25
	s_waitcnt lgkmcnt(0)
	v_mov_b32_dpp v26, v24 row_shr:1 row_mask:0xf bank_mask:0xf
	v_cndmask_b32_e32 v26, 0, v26, vcc
	v_add_u32_e32 v24, v26, v24
	v_cmp_lt_u32_e32 vcc, 1, v25
	s_nop 0
	v_mov_b32_dpp v26, v24 row_shr:2 row_mask:0xf bank_mask:0xf
	v_cndmask_b32_e32 v26, 0, v26, vcc
	v_add_u32_e32 v24, v24, v26
	v_cmp_lt_u32_e32 vcc, 3, v25
	s_nop 0
	v_mov_b32_dpp v26, v24 row_shr:4 row_mask:0xf bank_mask:0xf
	v_cndmask_b32_e32 v25, 0, v26, vcc
	v_add_u32_e32 v24, v24, v25
	ds_write_b32 v3, v24
.LBB165_104:
	s_or_b64 exec, exec, s[0:1]
	v_cmp_lt_u32_e32 vcc, 63, v0
	v_mov_b32_e32 v3, 0
	v_mov_b32_e32 v24, 0
	s_waitcnt lgkmcnt(0)
	s_barrier
	s_and_saveexec_b64 s[0:1], vcc
	s_cbranch_execz .LBB165_106
; %bb.105:
	v_lshl_add_u32 v24, v107, 2, -4
	ds_read_b32 v24, v24
.LBB165_106:
	s_or_b64 exec, exec, s[0:1]
	v_add_u32_e32 v25, -1, v106
	v_and_b32_e32 v26, 64, v106
	v_cmp_lt_i32_e32 vcc, v25, v26
	s_waitcnt lgkmcnt(0)
	v_add_u32_e32 v2, v24, v2
	v_cndmask_b32_e32 v25, v25, v106, vcc
	v_lshlrev_b32_e32 v25, 2, v25
	ds_bpermute_b32 v25, v25, v2
	ds_read_b32 v2, v3 offset:28
	s_and_saveexec_b64 s[0:1], s[20:21]
	s_cbranch_execz .LBB165_108
; %bb.107:
	v_mov_b32_e32 v26, 0
	v_mov_b32_e32 v3, 2
	s_waitcnt lgkmcnt(0)
	global_store_dwordx2 v26, v[2:3], s[36:37] offset:512 sc1
.LBB165_108:
	s_or_b64 exec, exec, s[0:1]
	v_cmp_eq_u32_e32 vcc, 0, v106
	v_mov_b32_e32 v68, 0
	s_waitcnt lgkmcnt(0)
	v_cndmask_b32_e32 v3, v25, v24, vcc
	v_cndmask_b32_e64 v24, v3, 0, s[20:21]
	s_barrier
.LBB165_109:
	v_add_u32_e32 v3, v24, v78
	v_add_u32_e32 v25, v3, v79
	;; [unrolled: 1-line block ×21, first 2 shown]
	v_sub_u32_e32 v24, v24, v68
	v_and_b32_e32 v77, 1, v77
	v_add_u32_e32 v90, v89, v98
	v_sub_u32_e32 v98, v44, v24
	v_cmp_eq_u32_e32 vcc, 1, v77
	v_sub_u32_e32 v3, v3, v68
	v_add_u32_e32 v91, v90, v99
	v_cndmask_b32_e32 v24, v98, v24, vcc
	v_lshlrev_b32_e32 v24, 1, v24
	ds_write_b16 v24, v22
	v_sub_u32_e32 v22, v44, v3
	v_and_b32_e32 v24, 1, v76
	v_add_u32_e32 v22, 1, v22
	v_cmp_eq_u32_e32 vcc, 1, v24
	v_and_b32_e32 v24, 1, v75
	v_add_u32_e32 v92, v91, v100
	v_cndmask_b32_e32 v3, v22, v3, vcc
	v_lshlrev_b32_e32 v3, 1, v3
	ds_write_b16 v3, v46
	v_sub_u32_e32 v3, v25, v68
	v_sub_u32_e32 v22, v44, v3
	v_add_u32_e32 v22, 2, v22
	v_cmp_eq_u32_e32 vcc, 1, v24
	v_add_u32_e32 v93, v92, v101
	v_add_u32_e32 v94, v93, v102
	v_cndmask_b32_e32 v3, v22, v3, vcc
	v_lshlrev_b32_e32 v3, 1, v3
	ds_write_b16 v3, v23
	v_sub_u32_e32 v3, v26, v68
	v_sub_u32_e32 v22, v44, v3
	v_and_b32_e32 v23, 1, v74
	v_add_u32_e32 v22, 3, v22
	v_cmp_eq_u32_e32 vcc, 1, v23
	v_and_b32_e32 v23, 1, v73
	v_add_u32_e32 v95, v94, v103
	v_cndmask_b32_e32 v3, v22, v3, vcc
	v_lshlrev_b32_e32 v3, 1, v3
	ds_write_b16 v3, v45
	v_sub_u32_e32 v3, v27, v68
	v_sub_u32_e32 v22, v44, v3
	v_add_u32_e32 v22, 4, v22
	v_cmp_eq_u32_e32 vcc, 1, v23
	v_add_u32_e32 v96, v95, v104
	v_add_u32_e32 v97, v96, v105
	v_cndmask_b32_e32 v3, v22, v3, vcc
	v_lshlrev_b32_e32 v3, 1, v3
	ds_write_b16 v3, v20
	v_sub_u32_e32 v3, v28, v68
	v_sub_u32_e32 v20, v44, v3
	v_and_b32_e32 v22, 1, v72
	v_add_u32_e32 v20, 5, v20
	v_cmp_eq_u32_e32 vcc, 1, v22
	v_and_b32_e32 v22, 1, v71
	v_lshl_add_u64 v[8:9], s[30:31], 0, v[8:9]
	v_cndmask_b32_e32 v3, v20, v3, vcc
	v_lshlrev_b32_e32 v3, 1, v3
	ds_write_b16 v3, v43
	v_sub_u32_e32 v3, v29, v68
	v_sub_u32_e32 v20, v44, v3
	v_add_u32_e32 v20, 6, v20
	v_cmp_eq_u32_e32 vcc, 1, v22
	v_or_b32_e32 v46, 0x1600, v0
	v_or_b32_e32 v28, 0x2800, v0
	v_cndmask_b32_e32 v3, v20, v3, vcc
	v_lshlrev_b32_e32 v3, 1, v3
	ds_write_b16 v3, v21
	v_sub_u32_e32 v3, v30, v68
	v_sub_u32_e32 v20, v44, v3
	v_and_b32_e32 v21, 1, v70
	v_add_u32_e32 v20, 7, v20
	v_cmp_eq_u32_e32 vcc, 1, v21
	v_and_b32_e32 v21, 1, v69
	v_or_b32_e32 v30, 0x2600, v0
	v_cndmask_b32_e32 v3, v20, v3, vcc
	v_lshlrev_b32_e32 v3, 1, v3
	ds_write_b16 v3, v42
	v_sub_u32_e32 v3, v31, v68
	v_sub_u32_e32 v20, v44, v3
	v_add_u32_e32 v20, 8, v20
	v_cmp_eq_u32_e32 vcc, 1, v21
	v_or_b32_e32 v42, 0x1a00, v0
	v_or_b32_e32 v26, 0x2a00, v0
	v_cndmask_b32_e32 v3, v20, v3, vcc
	v_lshlrev_b32_e32 v3, 1, v3
	ds_write_b16 v3, v16
	v_sub_u32_e32 v3, v78, v68
	v_sub_u32_e32 v16, v44, v3
	v_and_b32_e32 v20, 1, v67
	v_add_u32_e32 v16, 9, v16
	v_cmp_eq_u32_e32 vcc, 1, v20
	v_and_b32_e32 v20, 1, v66
	v_or_b32_e32 v66, 0x200, v0
	;; [unrolled: 19-line block ×4, first 2 shown]
	v_cndmask_b32_e32 v3, v14, v3, vcc
	v_lshlrev_b32_e32 v3, 1, v3
	ds_write_b16 v3, v39
	v_sub_u32_e32 v3, v83, v68
	v_sub_u32_e32 v14, v44, v3
	v_add_u32_e32 v14, 14, v14
	v_cmp_eq_u32_e32 vcc, 1, v16
	v_or_b32_e32 v16, 0x3200, v0
	s_nop 0
	v_cndmask_b32_e32 v3, v14, v3, vcc
	v_lshlrev_b32_e32 v3, 1, v3
	ds_write_b16 v3, v15
	v_sub_u32_e32 v3, v84, v68
	v_sub_u32_e32 v14, v44, v3
	v_and_b32_e32 v15, 1, v61
	v_add_u32_e32 v14, 15, v14
	v_cmp_eq_u32_e32 vcc, 1, v15
	v_and_b32_e32 v15, 1, v60
	v_or_b32_e32 v60, 0x800, v0
	v_cndmask_b32_e32 v3, v14, v3, vcc
	v_lshlrev_b32_e32 v3, 1, v3
	ds_write_b16 v3, v38
	v_sub_u32_e32 v3, v85, v68
	v_sub_u32_e32 v14, v44, v3
	v_add_u32_e32 v14, 16, v14
	v_cmp_eq_u32_e32 vcc, 1, v15
	v_or_b32_e32 v38, 0x1e00, v0
	s_nop 0
	v_cndmask_b32_e32 v3, v14, v3, vcc
	v_lshlrev_b32_e32 v3, 1, v3
	ds_write_b16 v3, v12
	v_sub_u32_e32 v3, v86, v68
	v_sub_u32_e32 v12, v44, v3
	v_and_b32_e32 v14, 1, v59
	v_add_u32_e32 v12, 17, v12
	v_cmp_eq_u32_e32 vcc, 1, v14
	v_and_b32_e32 v14, 1, v58
	v_or_b32_e32 v58, 0xa00, v0
	;; [unrolled: 19-line block ×6, first 2 shown]
	v_cndmask_b32_e32 v3, v6, v3, vcc
	v_lshlrev_b32_e32 v3, 1, v3
	ds_write_b16 v3, v33
	v_sub_u32_e32 v3, v95, v68
	v_sub_u32_e32 v6, v44, v3
	v_add_u32_e32 v6, 26, v6
	v_cmp_eq_u32_e32 vcc, 1, v10
	v_or_b32_e32 v10, 0x3800, v0
	s_nop 0
	v_cndmask_b32_e32 v3, v6, v3, vcc
	v_lshlrev_b32_e32 v3, 1, v3
	ds_write_b16 v3, v7
	v_sub_u32_e32 v3, v96, v68
	v_sub_u32_e32 v6, v44, v3
	v_and_b32_e32 v7, 1, v49
	v_add_u32_e32 v6, 27, v6
	v_cmp_eq_u32_e32 vcc, 1, v7
	v_and_b32_e32 v7, 1, v47
	s_nop 0
	v_cndmask_b32_e32 v3, v6, v3, vcc
	v_lshlrev_b32_e32 v3, 1, v3
	ds_write_b16 v3, v32
	v_sub_u32_e32 v3, v97, v68
	v_sub_u32_e32 v6, v44, v3
	v_add_u32_e32 v6, 28, v6
	v_cmp_eq_u32_e32 vcc, 1, v7
	v_and_b32_e32 v7, 1, v48
	v_or_b32_e32 v48, 0x1400, v0
	v_cndmask_b32_e32 v3, v6, v3, vcc
	v_lshlrev_b32_e32 v3, 1, v3
	ds_write_b16 v3, v19
	v_sub_u32_sdwa v3, v47, v68 dst_sel:DWORD dst_unused:UNUSED_PAD src0_sel:BYTE_0 src1_sel:DWORD
	v_add_u32_e32 v3, v97, v3
	v_sub_u32_e32 v6, v44, v3
	v_add_u32_e32 v6, 29, v6
	v_cmp_eq_u32_e32 vcc, 1, v7
	v_or_b32_e32 v44, 0x1800, v0
	v_or_b32_e32 v32, 0x2400, v0
	v_cndmask_b32_e32 v3, v6, v3, vcc
	v_lshlrev_b32_e32 v3, 1, v3
	ds_write_b16 v3, v1
	s_waitcnt lgkmcnt(0)
	s_barrier
	ds_read_u16 v99, v18
	ds_read_u16 v98, v18 offset:1024
	ds_read_u16 v97, v18 offset:2048
	;; [unrolled: 1-line block ×29, first 2 shown]
	v_mov_b32_e32 v1, 0
	v_mov_b32_e32 v18, s35
	v_sub_co_u32_e32 v8, vcc, s34, v8
	v_mov_b32_e32 v69, v1
	v_mov_b32_e32 v3, v1
	v_subb_co_u32_e32 v9, vcc, v18, v9, vcc
	s_waitcnt vmcnt(0)
	v_lshl_add_u64 v[4:5], v[4:5], 0, v[68:69]
	v_lshl_add_u64 v[8:9], v[8:9], 0, v[2:3]
	v_mov_b32_e32 v67, v1
	v_mov_b32_e32 v65, v1
	;; [unrolled: 1-line block ×28, first 2 shown]
	v_or_b32_e32 v6, 0x3a00, v0
	v_mov_b32_e32 v7, v1
	s_and_b64 vcc, exec, s[2:3]
	v_lshl_add_u64 v[8:9], v[8:9], 0, v[4:5]
	s_cbranch_vccnz .LBB165_234
; %bb.110:
	v_cmp_ge_u32_e32 vcc, v0, v2
                                        ; implicit-def: $vgpr18_vgpr19
	s_and_saveexec_b64 s[0:1], vcc
	s_xor_b64 s[0:1], exec, s[0:1]
; %bb.111:
	v_not_b32_e32 v18, v0
	v_ashrrev_i32_e32 v19, 31, v18
	v_lshl_add_u64 v[18:19], v[8:9], 0, v[18:19]
; %bb.112:
	s_andn2_saveexec_b64 s[0:1], s[0:1]
; %bb.113:
	v_lshl_add_u64 v[18:19], v[4:5], 0, v[0:1]
; %bb.114:
	s_or_b64 exec, exec, s[0:1]
	v_lshl_add_u64 v[18:19], v[18:19], 1, s[22:23]
	v_cmp_ge_u32_e32 vcc, v66, v2
	s_waitcnt lgkmcnt(14)
	global_store_short v[18:19], v99, off
                                        ; implicit-def: $vgpr18_vgpr19
	s_and_saveexec_b64 s[0:1], vcc
	s_xor_b64 s[0:1], exec, s[0:1]
; %bb.115:
	v_xor_b32_e32 v18, 0xfffffdff, v0
	v_ashrrev_i32_e32 v19, 31, v18
	v_lshl_add_u64 v[18:19], v[8:9], 0, v[18:19]
; %bb.116:
	s_andn2_saveexec_b64 s[0:1], s[0:1]
; %bb.117:
	v_lshl_add_u64 v[18:19], v[4:5], 0, v[66:67]
; %bb.118:
	s_or_b64 exec, exec, s[0:1]
	v_lshl_add_u64 v[18:19], v[18:19], 1, s[22:23]
	v_cmp_ge_u32_e32 vcc, v64, v2
	global_store_short v[18:19], v98, off
                                        ; implicit-def: $vgpr18_vgpr19
	s_and_saveexec_b64 s[0:1], vcc
	s_xor_b64 s[0:1], exec, s[0:1]
; %bb.119:
	v_xor_b32_e32 v18, 0xfffffbff, v0
	v_ashrrev_i32_e32 v19, 31, v18
	v_lshl_add_u64 v[18:19], v[8:9], 0, v[18:19]
; %bb.120:
	s_andn2_saveexec_b64 s[0:1], s[0:1]
; %bb.121:
	v_lshl_add_u64 v[18:19], v[4:5], 0, v[64:65]
; %bb.122:
	s_or_b64 exec, exec, s[0:1]
	v_lshl_add_u64 v[18:19], v[18:19], 1, s[22:23]
	v_cmp_ge_u32_e32 vcc, v62, v2
	;; [unrolled: 16-line block ×16, first 2 shown]
	s_waitcnt lgkmcnt(13)
	global_store_short v[18:19], v83, off
                                        ; implicit-def: $vgpr18_vgpr19
	s_and_saveexec_b64 s[0:1], vcc
	s_xor_b64 s[0:1], exec, s[0:1]
; %bb.179:
	v_xor_b32_e32 v18, 0xffffddff, v0
	v_ashrrev_i32_e32 v19, 31, v18
	v_lshl_add_u64 v[18:19], v[8:9], 0, v[18:19]
; %bb.180:
	s_andn2_saveexec_b64 s[0:1], s[0:1]
; %bb.181:
	v_lshl_add_u64 v[18:19], v[4:5], 0, v[34:35]
; %bb.182:
	s_or_b64 exec, exec, s[0:1]
	v_lshl_add_u64 v[18:19], v[18:19], 1, s[22:23]
	v_cmp_ge_u32_e32 vcc, v32, v2
	s_waitcnt lgkmcnt(12)
	global_store_short v[18:19], v82, off
                                        ; implicit-def: $vgpr18_vgpr19
	s_and_saveexec_b64 s[0:1], vcc
	s_xor_b64 s[0:1], exec, s[0:1]
; %bb.183:
	v_xor_b32_e32 v18, 0xffffdbff, v0
	v_ashrrev_i32_e32 v19, 31, v18
	v_lshl_add_u64 v[18:19], v[8:9], 0, v[18:19]
; %bb.184:
	s_andn2_saveexec_b64 s[0:1], s[0:1]
; %bb.185:
	v_lshl_add_u64 v[18:19], v[4:5], 0, v[32:33]
; %bb.186:
	s_or_b64 exec, exec, s[0:1]
	v_lshl_add_u64 v[18:19], v[18:19], 1, s[22:23]
	v_cmp_ge_u32_e32 vcc, v30, v2
	;; [unrolled: 17-line block ×12, first 2 shown]
	s_waitcnt lgkmcnt(1)
	global_store_short v[18:19], v71, off
                                        ; implicit-def: $vgpr18_vgpr19
	s_and_saveexec_b64 s[0:1], vcc
	s_xor_b64 s[0:1], exec, s[0:1]
; %bb.227:
	v_xor_b32_e32 v18, 0xffffc5ff, v0
	v_ashrrev_i32_e32 v19, 31, v18
	v_lshl_add_u64 v[18:19], v[8:9], 0, v[18:19]
; %bb.228:
	s_andn2_saveexec_b64 s[0:1], s[0:1]
; %bb.229:
	v_lshl_add_u64 v[18:19], v[4:5], 0, v[6:7]
; %bb.230:
	s_or_b64 exec, exec, s[0:1]
	s_mov_b64 s[0:1], -1
.LBB165_231:
	s_and_saveexec_b64 s[2:3], s[0:1]
	s_cbranch_execz .LBB165_322
.LBB165_232:
	v_lshl_add_u64 v[0:1], v[18:19], 1, s[22:23]
	s_waitcnt lgkmcnt(0)
	global_store_short v[0:1], v70, off
	s_or_b64 exec, exec, s[2:3]
	s_and_b64 s[0:1], s[20:21], s[26:27]
	s_and_saveexec_b64 s[2:3], s[0:1]
	s_cbranch_execnz .LBB165_323
.LBB165_233:
	s_endpgm
.LBB165_234:
	s_mov_b64 s[0:1], 0
                                        ; implicit-def: $vgpr18_vgpr19
	s_cbranch_execz .LBB165_231
; %bb.235:
	v_cmp_gt_u32_e32 vcc, s33, v0
	s_and_saveexec_b64 s[2:3], vcc
	s_cbranch_execz .LBB165_324
; %bb.236:
	v_cmp_ge_u32_e32 vcc, v0, v2
                                        ; implicit-def: $vgpr18_vgpr19
	s_and_saveexec_b64 s[4:5], vcc
	s_xor_b64 s[4:5], exec, s[4:5]
; %bb.237:
	v_not_b32_e32 v18, v0
	v_ashrrev_i32_e32 v19, 31, v18
	v_lshl_add_u64 v[18:19], v[8:9], 0, v[18:19]
; %bb.238:
	s_andn2_saveexec_b64 s[4:5], s[4:5]
; %bb.239:
	v_lshl_add_u64 v[18:19], v[4:5], 0, v[0:1]
; %bb.240:
	s_or_b64 exec, exec, s[4:5]
	v_lshl_add_u64 v[18:19], v[18:19], 1, s[22:23]
	s_waitcnt lgkmcnt(14)
	global_store_short v[18:19], v99, off
	s_or_b64 exec, exec, s[2:3]
	v_cmp_gt_u32_e32 vcc, s33, v66
	s_and_saveexec_b64 s[2:3], vcc
	s_cbranch_execnz .LBB165_325
.LBB165_241:
	s_or_b64 exec, exec, s[2:3]
	v_cmp_gt_u32_e32 vcc, s33, v64
	s_and_saveexec_b64 s[2:3], vcc
	s_cbranch_execz .LBB165_330
.LBB165_242:
	v_cmp_ge_u32_e32 vcc, v64, v2
                                        ; implicit-def: $vgpr18_vgpr19
	s_and_saveexec_b64 s[4:5], vcc
	s_xor_b64 s[4:5], exec, s[4:5]
; %bb.243:
	v_xor_b32_e32 v18, 0xfffffbff, v0
	v_ashrrev_i32_e32 v19, 31, v18
	v_lshl_add_u64 v[18:19], v[8:9], 0, v[18:19]
                                        ; implicit-def: $vgpr64_vgpr65
; %bb.244:
	s_andn2_saveexec_b64 s[4:5], s[4:5]
; %bb.245:
	v_lshl_add_u64 v[18:19], v[4:5], 0, v[64:65]
; %bb.246:
	s_or_b64 exec, exec, s[4:5]
	v_lshl_add_u64 v[18:19], v[18:19], 1, s[22:23]
	s_waitcnt lgkmcnt(14)
	global_store_short v[18:19], v97, off
	s_or_b64 exec, exec, s[2:3]
	v_cmp_gt_u32_e32 vcc, s33, v62
	s_and_saveexec_b64 s[2:3], vcc
	s_cbranch_execnz .LBB165_331
.LBB165_247:
	s_or_b64 exec, exec, s[2:3]
	v_cmp_gt_u32_e32 vcc, s33, v60
	s_and_saveexec_b64 s[2:3], vcc
	s_cbranch_execz .LBB165_336
.LBB165_248:
	v_cmp_ge_u32_e32 vcc, v60, v2
                                        ; implicit-def: $vgpr18_vgpr19
	s_and_saveexec_b64 s[4:5], vcc
	s_xor_b64 s[4:5], exec, s[4:5]
; %bb.249:
	v_xor_b32_e32 v18, 0xfffff7ff, v0
	v_ashrrev_i32_e32 v19, 31, v18
	v_lshl_add_u64 v[18:19], v[8:9], 0, v[18:19]
                                        ; implicit-def: $vgpr60_vgpr61
; %bb.250:
	s_andn2_saveexec_b64 s[4:5], s[4:5]
; %bb.251:
	v_lshl_add_u64 v[18:19], v[4:5], 0, v[60:61]
; %bb.252:
	s_or_b64 exec, exec, s[4:5]
	v_lshl_add_u64 v[18:19], v[18:19], 1, s[22:23]
	s_waitcnt lgkmcnt(14)
	global_store_short v[18:19], v95, off
	s_or_b64 exec, exec, s[2:3]
	v_cmp_gt_u32_e32 vcc, s33, v58
	s_and_saveexec_b64 s[2:3], vcc
	s_cbranch_execnz .LBB165_337
.LBB165_253:
	s_or_b64 exec, exec, s[2:3]
	v_cmp_gt_u32_e32 vcc, s33, v56
	s_and_saveexec_b64 s[2:3], vcc
	s_cbranch_execz .LBB165_342
.LBB165_254:
	v_cmp_ge_u32_e32 vcc, v56, v2
                                        ; implicit-def: $vgpr18_vgpr19
	s_and_saveexec_b64 s[4:5], vcc
	s_xor_b64 s[4:5], exec, s[4:5]
; %bb.255:
	v_xor_b32_e32 v18, 0xfffff3ff, v0
	v_ashrrev_i32_e32 v19, 31, v18
	v_lshl_add_u64 v[18:19], v[8:9], 0, v[18:19]
                                        ; implicit-def: $vgpr56_vgpr57
; %bb.256:
	s_andn2_saveexec_b64 s[4:5], s[4:5]
; %bb.257:
	v_lshl_add_u64 v[18:19], v[4:5], 0, v[56:57]
; %bb.258:
	s_or_b64 exec, exec, s[4:5]
	v_lshl_add_u64 v[18:19], v[18:19], 1, s[22:23]
	s_waitcnt lgkmcnt(14)
	global_store_short v[18:19], v93, off
	s_or_b64 exec, exec, s[2:3]
	v_cmp_gt_u32_e32 vcc, s33, v54
	s_and_saveexec_b64 s[2:3], vcc
	s_cbranch_execnz .LBB165_343
.LBB165_259:
	s_or_b64 exec, exec, s[2:3]
	v_cmp_gt_u32_e32 vcc, s33, v52
	s_and_saveexec_b64 s[2:3], vcc
	s_cbranch_execz .LBB165_348
.LBB165_260:
	v_cmp_ge_u32_e32 vcc, v52, v2
                                        ; implicit-def: $vgpr18_vgpr19
	s_and_saveexec_b64 s[4:5], vcc
	s_xor_b64 s[4:5], exec, s[4:5]
; %bb.261:
	v_xor_b32_e32 v18, 0xffffefff, v0
	v_ashrrev_i32_e32 v19, 31, v18
	v_lshl_add_u64 v[18:19], v[8:9], 0, v[18:19]
                                        ; implicit-def: $vgpr52_vgpr53
; %bb.262:
	s_andn2_saveexec_b64 s[4:5], s[4:5]
; %bb.263:
	v_lshl_add_u64 v[18:19], v[4:5], 0, v[52:53]
; %bb.264:
	s_or_b64 exec, exec, s[4:5]
	v_lshl_add_u64 v[18:19], v[18:19], 1, s[22:23]
	s_waitcnt lgkmcnt(14)
	global_store_short v[18:19], v91, off
	s_or_b64 exec, exec, s[2:3]
	v_cmp_gt_u32_e32 vcc, s33, v50
	s_and_saveexec_b64 s[2:3], vcc
	s_cbranch_execnz .LBB165_349
.LBB165_265:
	s_or_b64 exec, exec, s[2:3]
	v_cmp_gt_u32_e32 vcc, s33, v48
	s_and_saveexec_b64 s[2:3], vcc
	s_cbranch_execz .LBB165_354
.LBB165_266:
	v_cmp_ge_u32_e32 vcc, v48, v2
                                        ; implicit-def: $vgpr18_vgpr19
	s_and_saveexec_b64 s[4:5], vcc
	s_xor_b64 s[4:5], exec, s[4:5]
; %bb.267:
	v_xor_b32_e32 v18, 0xffffebff, v0
	v_ashrrev_i32_e32 v19, 31, v18
	v_lshl_add_u64 v[18:19], v[8:9], 0, v[18:19]
                                        ; implicit-def: $vgpr48_vgpr49
; %bb.268:
	s_andn2_saveexec_b64 s[4:5], s[4:5]
; %bb.269:
	v_lshl_add_u64 v[18:19], v[4:5], 0, v[48:49]
; %bb.270:
	s_or_b64 exec, exec, s[4:5]
	v_lshl_add_u64 v[18:19], v[18:19], 1, s[22:23]
	s_waitcnt lgkmcnt(14)
	global_store_short v[18:19], v89, off
	s_or_b64 exec, exec, s[2:3]
	v_cmp_gt_u32_e32 vcc, s33, v46
	s_and_saveexec_b64 s[2:3], vcc
	s_cbranch_execnz .LBB165_355
.LBB165_271:
	s_or_b64 exec, exec, s[2:3]
	v_cmp_gt_u32_e32 vcc, s33, v44
	s_and_saveexec_b64 s[2:3], vcc
	s_cbranch_execz .LBB165_360
.LBB165_272:
	v_cmp_ge_u32_e32 vcc, v44, v2
                                        ; implicit-def: $vgpr18_vgpr19
	s_and_saveexec_b64 s[4:5], vcc
	s_xor_b64 s[4:5], exec, s[4:5]
; %bb.273:
	v_xor_b32_e32 v18, 0xffffe7ff, v0
	v_ashrrev_i32_e32 v19, 31, v18
	v_lshl_add_u64 v[18:19], v[8:9], 0, v[18:19]
                                        ; implicit-def: $vgpr44_vgpr45
; %bb.274:
	s_andn2_saveexec_b64 s[4:5], s[4:5]
; %bb.275:
	v_lshl_add_u64 v[18:19], v[4:5], 0, v[44:45]
; %bb.276:
	s_or_b64 exec, exec, s[4:5]
	v_lshl_add_u64 v[18:19], v[18:19], 1, s[22:23]
	s_waitcnt lgkmcnt(14)
	global_store_short v[18:19], v87, off
	s_or_b64 exec, exec, s[2:3]
	v_cmp_gt_u32_e32 vcc, s33, v42
	s_and_saveexec_b64 s[2:3], vcc
	s_cbranch_execnz .LBB165_361
.LBB165_277:
	s_or_b64 exec, exec, s[2:3]
	v_cmp_gt_u32_e32 vcc, s33, v40
	s_and_saveexec_b64 s[2:3], vcc
	s_cbranch_execz .LBB165_366
.LBB165_278:
	v_cmp_ge_u32_e32 vcc, v40, v2
                                        ; implicit-def: $vgpr18_vgpr19
	s_and_saveexec_b64 s[4:5], vcc
	s_xor_b64 s[4:5], exec, s[4:5]
; %bb.279:
	v_xor_b32_e32 v18, 0xffffe3ff, v0
	v_ashrrev_i32_e32 v19, 31, v18
	v_lshl_add_u64 v[18:19], v[8:9], 0, v[18:19]
                                        ; implicit-def: $vgpr40_vgpr41
; %bb.280:
	s_andn2_saveexec_b64 s[4:5], s[4:5]
; %bb.281:
	v_lshl_add_u64 v[18:19], v[4:5], 0, v[40:41]
; %bb.282:
	s_or_b64 exec, exec, s[4:5]
	v_lshl_add_u64 v[18:19], v[18:19], 1, s[22:23]
	s_waitcnt lgkmcnt(14)
	global_store_short v[18:19], v85, off
	s_or_b64 exec, exec, s[2:3]
	v_cmp_gt_u32_e32 vcc, s33, v38
	s_and_saveexec_b64 s[2:3], vcc
	s_cbranch_execnz .LBB165_367
.LBB165_283:
	s_or_b64 exec, exec, s[2:3]
	v_cmp_gt_u32_e32 vcc, s33, v36
	s_and_saveexec_b64 s[2:3], vcc
	s_cbranch_execz .LBB165_372
.LBB165_284:
	v_cmp_ge_u32_e32 vcc, v36, v2
                                        ; implicit-def: $vgpr18_vgpr19
	s_and_saveexec_b64 s[4:5], vcc
	s_xor_b64 s[4:5], exec, s[4:5]
; %bb.285:
	v_xor_b32_e32 v18, 0xffffdfff, v0
	v_ashrrev_i32_e32 v19, 31, v18
	v_lshl_add_u64 v[18:19], v[8:9], 0, v[18:19]
                                        ; implicit-def: $vgpr36_vgpr37
; %bb.286:
	s_andn2_saveexec_b64 s[4:5], s[4:5]
; %bb.287:
	v_lshl_add_u64 v[18:19], v[4:5], 0, v[36:37]
; %bb.288:
	s_or_b64 exec, exec, s[4:5]
	v_lshl_add_u64 v[18:19], v[18:19], 1, s[22:23]
	s_waitcnt lgkmcnt(13)
	global_store_short v[18:19], v83, off
	s_or_b64 exec, exec, s[2:3]
	v_cmp_gt_u32_e32 vcc, s33, v34
	s_and_saveexec_b64 s[2:3], vcc
	s_cbranch_execnz .LBB165_373
.LBB165_289:
	s_or_b64 exec, exec, s[2:3]
	v_cmp_gt_u32_e32 vcc, s33, v32
	s_and_saveexec_b64 s[2:3], vcc
	s_cbranch_execz .LBB165_378
.LBB165_290:
	v_cmp_ge_u32_e32 vcc, v32, v2
                                        ; implicit-def: $vgpr18_vgpr19
	s_and_saveexec_b64 s[4:5], vcc
	s_xor_b64 s[4:5], exec, s[4:5]
; %bb.291:
	v_xor_b32_e32 v18, 0xffffdbff, v0
	v_ashrrev_i32_e32 v19, 31, v18
	v_lshl_add_u64 v[18:19], v[8:9], 0, v[18:19]
                                        ; implicit-def: $vgpr32_vgpr33
; %bb.292:
	s_andn2_saveexec_b64 s[4:5], s[4:5]
; %bb.293:
	v_lshl_add_u64 v[18:19], v[4:5], 0, v[32:33]
; %bb.294:
	s_or_b64 exec, exec, s[4:5]
	v_lshl_add_u64 v[18:19], v[18:19], 1, s[22:23]
	s_waitcnt lgkmcnt(11)
	global_store_short v[18:19], v81, off
	s_or_b64 exec, exec, s[2:3]
	v_cmp_gt_u32_e32 vcc, s33, v30
	s_and_saveexec_b64 s[2:3], vcc
	s_cbranch_execnz .LBB165_379
.LBB165_295:
	s_or_b64 exec, exec, s[2:3]
	v_cmp_gt_u32_e32 vcc, s33, v28
	s_and_saveexec_b64 s[2:3], vcc
	s_cbranch_execz .LBB165_384
.LBB165_296:
	v_cmp_ge_u32_e32 vcc, v28, v2
                                        ; implicit-def: $vgpr18_vgpr19
	s_and_saveexec_b64 s[4:5], vcc
	s_xor_b64 s[4:5], exec, s[4:5]
; %bb.297:
	v_xor_b32_e32 v18, 0xffffd7ff, v0
	v_ashrrev_i32_e32 v19, 31, v18
	v_lshl_add_u64 v[18:19], v[8:9], 0, v[18:19]
                                        ; implicit-def: $vgpr28_vgpr29
; %bb.298:
	s_andn2_saveexec_b64 s[4:5], s[4:5]
; %bb.299:
	v_lshl_add_u64 v[18:19], v[4:5], 0, v[28:29]
; %bb.300:
	s_or_b64 exec, exec, s[4:5]
	v_lshl_add_u64 v[18:19], v[18:19], 1, s[22:23]
	s_waitcnt lgkmcnt(9)
	global_store_short v[18:19], v79, off
	s_or_b64 exec, exec, s[2:3]
	v_cmp_gt_u32_e32 vcc, s33, v26
	s_and_saveexec_b64 s[2:3], vcc
	s_cbranch_execnz .LBB165_385
.LBB165_301:
	s_or_b64 exec, exec, s[2:3]
	v_cmp_gt_u32_e32 vcc, s33, v24
	s_and_saveexec_b64 s[2:3], vcc
	s_cbranch_execz .LBB165_390
.LBB165_302:
	v_cmp_ge_u32_e32 vcc, v24, v2
                                        ; implicit-def: $vgpr18_vgpr19
	s_and_saveexec_b64 s[4:5], vcc
	s_xor_b64 s[4:5], exec, s[4:5]
; %bb.303:
	v_xor_b32_e32 v18, 0xffffd3ff, v0
	v_ashrrev_i32_e32 v19, 31, v18
	v_lshl_add_u64 v[18:19], v[8:9], 0, v[18:19]
                                        ; implicit-def: $vgpr24_vgpr25
; %bb.304:
	s_andn2_saveexec_b64 s[4:5], s[4:5]
; %bb.305:
	v_lshl_add_u64 v[18:19], v[4:5], 0, v[24:25]
; %bb.306:
	s_or_b64 exec, exec, s[4:5]
	v_lshl_add_u64 v[18:19], v[18:19], 1, s[22:23]
	s_waitcnt lgkmcnt(7)
	global_store_short v[18:19], v77, off
	s_or_b64 exec, exec, s[2:3]
	v_cmp_gt_u32_e32 vcc, s33, v22
	s_and_saveexec_b64 s[2:3], vcc
	s_cbranch_execnz .LBB165_391
.LBB165_307:
	s_or_b64 exec, exec, s[2:3]
	v_cmp_gt_u32_e32 vcc, s33, v20
	s_and_saveexec_b64 s[2:3], vcc
	s_cbranch_execz .LBB165_396
.LBB165_308:
	v_cmp_ge_u32_e32 vcc, v20, v2
                                        ; implicit-def: $vgpr18_vgpr19
	s_and_saveexec_b64 s[4:5], vcc
	s_xor_b64 s[4:5], exec, s[4:5]
; %bb.309:
	v_xor_b32_e32 v18, 0xffffcfff, v0
	v_ashrrev_i32_e32 v19, 31, v18
	v_lshl_add_u64 v[18:19], v[8:9], 0, v[18:19]
                                        ; implicit-def: $vgpr20_vgpr21
; %bb.310:
	s_andn2_saveexec_b64 s[4:5], s[4:5]
; %bb.311:
	v_lshl_add_u64 v[18:19], v[4:5], 0, v[20:21]
; %bb.312:
	s_or_b64 exec, exec, s[4:5]
	v_lshl_add_u64 v[18:19], v[18:19], 1, s[22:23]
	s_waitcnt lgkmcnt(5)
	global_store_short v[18:19], v75, off
	s_or_b64 exec, exec, s[2:3]
	v_cmp_gt_u32_e32 vcc, s33, v16
	s_and_saveexec_b64 s[2:3], vcc
	s_cbranch_execnz .LBB165_397
.LBB165_313:
	s_or_b64 exec, exec, s[2:3]
	v_cmp_gt_u32_e32 vcc, s33, v14
	s_and_saveexec_b64 s[2:3], vcc
	s_cbranch_execz .LBB165_402
.LBB165_314:
	v_cmp_ge_u32_e32 vcc, v14, v2
                                        ; implicit-def: $vgpr16_vgpr17
	s_and_saveexec_b64 s[4:5], vcc
	s_xor_b64 s[4:5], exec, s[4:5]
; %bb.315:
	v_xor_b32_e32 v14, 0xffffcbff, v0
	v_ashrrev_i32_e32 v15, 31, v14
	v_lshl_add_u64 v[16:17], v[8:9], 0, v[14:15]
                                        ; implicit-def: $vgpr14_vgpr15
; %bb.316:
	s_andn2_saveexec_b64 s[4:5], s[4:5]
; %bb.317:
	v_lshl_add_u64 v[16:17], v[4:5], 0, v[14:15]
; %bb.318:
	s_or_b64 exec, exec, s[4:5]
	v_lshl_add_u64 v[14:15], v[16:17], 1, s[22:23]
	s_waitcnt lgkmcnt(3)
	global_store_short v[14:15], v73, off
	s_or_b64 exec, exec, s[2:3]
	v_cmp_gt_u32_e32 vcc, s33, v12
	s_and_saveexec_b64 s[2:3], vcc
	s_cbranch_execnz .LBB165_403
.LBB165_319:
	s_or_b64 exec, exec, s[2:3]
	v_cmp_gt_u32_e32 vcc, s33, v10
	s_and_saveexec_b64 s[2:3], vcc
	s_cbranch_execnz .LBB165_408
.LBB165_320:
	s_or_b64 exec, exec, s[2:3]
	v_cmp_gt_u32_e32 vcc, s33, v6
                                        ; implicit-def: $vgpr18_vgpr19
	s_and_saveexec_b64 s[2:3], vcc
	s_cbranch_execnz .LBB165_413
.LBB165_321:
	s_or_b64 exec, exec, s[2:3]
	s_and_saveexec_b64 s[2:3], s[0:1]
	s_cbranch_execnz .LBB165_232
.LBB165_322:
	s_or_b64 exec, exec, s[2:3]
	s_and_b64 s[0:1], s[20:21], s[26:27]
	s_and_saveexec_b64 s[2:3], s[0:1]
	s_cbranch_execz .LBB165_233
.LBB165_323:
	v_mov_b32_e32 v6, 0
	v_lshl_add_u64 v[0:1], v[4:5], 0, v[2:3]
	global_store_dwordx2 v6, v[0:1], s[24:25]
	s_endpgm
.LBB165_324:
	s_or_b64 exec, exec, s[2:3]
	v_cmp_gt_u32_e32 vcc, s33, v66
	s_and_saveexec_b64 s[2:3], vcc
	s_cbranch_execz .LBB165_241
.LBB165_325:
	v_cmp_ge_u32_e32 vcc, v66, v2
                                        ; implicit-def: $vgpr18_vgpr19
	s_and_saveexec_b64 s[4:5], vcc
	s_xor_b64 s[4:5], exec, s[4:5]
; %bb.326:
	v_xor_b32_e32 v18, 0xfffffdff, v0
	v_ashrrev_i32_e32 v19, 31, v18
	v_lshl_add_u64 v[18:19], v[8:9], 0, v[18:19]
                                        ; implicit-def: $vgpr66_vgpr67
; %bb.327:
	s_andn2_saveexec_b64 s[4:5], s[4:5]
; %bb.328:
	v_lshl_add_u64 v[18:19], v[4:5], 0, v[66:67]
; %bb.329:
	s_or_b64 exec, exec, s[4:5]
	v_lshl_add_u64 v[18:19], v[18:19], 1, s[22:23]
	s_waitcnt lgkmcnt(14)
	global_store_short v[18:19], v98, off
	s_or_b64 exec, exec, s[2:3]
	v_cmp_gt_u32_e32 vcc, s33, v64
	s_and_saveexec_b64 s[2:3], vcc
	s_cbranch_execnz .LBB165_242
.LBB165_330:
	s_or_b64 exec, exec, s[2:3]
	v_cmp_gt_u32_e32 vcc, s33, v62
	s_and_saveexec_b64 s[2:3], vcc
	s_cbranch_execz .LBB165_247
.LBB165_331:
	v_cmp_ge_u32_e32 vcc, v62, v2
                                        ; implicit-def: $vgpr18_vgpr19
	s_and_saveexec_b64 s[4:5], vcc
	s_xor_b64 s[4:5], exec, s[4:5]
; %bb.332:
	v_xor_b32_e32 v18, 0xfffff9ff, v0
	v_ashrrev_i32_e32 v19, 31, v18
	v_lshl_add_u64 v[18:19], v[8:9], 0, v[18:19]
                                        ; implicit-def: $vgpr62_vgpr63
; %bb.333:
	s_andn2_saveexec_b64 s[4:5], s[4:5]
; %bb.334:
	v_lshl_add_u64 v[18:19], v[4:5], 0, v[62:63]
; %bb.335:
	s_or_b64 exec, exec, s[4:5]
	v_lshl_add_u64 v[18:19], v[18:19], 1, s[22:23]
	s_waitcnt lgkmcnt(14)
	global_store_short v[18:19], v96, off
	s_or_b64 exec, exec, s[2:3]
	v_cmp_gt_u32_e32 vcc, s33, v60
	s_and_saveexec_b64 s[2:3], vcc
	s_cbranch_execnz .LBB165_248
.LBB165_336:
	s_or_b64 exec, exec, s[2:3]
	v_cmp_gt_u32_e32 vcc, s33, v58
	s_and_saveexec_b64 s[2:3], vcc
	s_cbranch_execz .LBB165_253
.LBB165_337:
	v_cmp_ge_u32_e32 vcc, v58, v2
                                        ; implicit-def: $vgpr18_vgpr19
	s_and_saveexec_b64 s[4:5], vcc
	s_xor_b64 s[4:5], exec, s[4:5]
; %bb.338:
	v_xor_b32_e32 v18, 0xfffff5ff, v0
	v_ashrrev_i32_e32 v19, 31, v18
	v_lshl_add_u64 v[18:19], v[8:9], 0, v[18:19]
                                        ; implicit-def: $vgpr58_vgpr59
; %bb.339:
	s_andn2_saveexec_b64 s[4:5], s[4:5]
; %bb.340:
	v_lshl_add_u64 v[18:19], v[4:5], 0, v[58:59]
; %bb.341:
	s_or_b64 exec, exec, s[4:5]
	v_lshl_add_u64 v[18:19], v[18:19], 1, s[22:23]
	s_waitcnt lgkmcnt(14)
	global_store_short v[18:19], v94, off
	s_or_b64 exec, exec, s[2:3]
	v_cmp_gt_u32_e32 vcc, s33, v56
	s_and_saveexec_b64 s[2:3], vcc
	s_cbranch_execnz .LBB165_254
.LBB165_342:
	s_or_b64 exec, exec, s[2:3]
	v_cmp_gt_u32_e32 vcc, s33, v54
	s_and_saveexec_b64 s[2:3], vcc
	s_cbranch_execz .LBB165_259
.LBB165_343:
	v_cmp_ge_u32_e32 vcc, v54, v2
                                        ; implicit-def: $vgpr18_vgpr19
	s_and_saveexec_b64 s[4:5], vcc
	s_xor_b64 s[4:5], exec, s[4:5]
; %bb.344:
	v_xor_b32_e32 v18, 0xfffff1ff, v0
	v_ashrrev_i32_e32 v19, 31, v18
	v_lshl_add_u64 v[18:19], v[8:9], 0, v[18:19]
                                        ; implicit-def: $vgpr54_vgpr55
; %bb.345:
	s_andn2_saveexec_b64 s[4:5], s[4:5]
; %bb.346:
	v_lshl_add_u64 v[18:19], v[4:5], 0, v[54:55]
; %bb.347:
	s_or_b64 exec, exec, s[4:5]
	v_lshl_add_u64 v[18:19], v[18:19], 1, s[22:23]
	s_waitcnt lgkmcnt(14)
	global_store_short v[18:19], v92, off
	s_or_b64 exec, exec, s[2:3]
	v_cmp_gt_u32_e32 vcc, s33, v52
	s_and_saveexec_b64 s[2:3], vcc
	s_cbranch_execnz .LBB165_260
.LBB165_348:
	s_or_b64 exec, exec, s[2:3]
	v_cmp_gt_u32_e32 vcc, s33, v50
	s_and_saveexec_b64 s[2:3], vcc
	s_cbranch_execz .LBB165_265
.LBB165_349:
	v_cmp_ge_u32_e32 vcc, v50, v2
                                        ; implicit-def: $vgpr18_vgpr19
	s_and_saveexec_b64 s[4:5], vcc
	s_xor_b64 s[4:5], exec, s[4:5]
; %bb.350:
	v_xor_b32_e32 v18, 0xffffedff, v0
	v_ashrrev_i32_e32 v19, 31, v18
	v_lshl_add_u64 v[18:19], v[8:9], 0, v[18:19]
                                        ; implicit-def: $vgpr50_vgpr51
; %bb.351:
	s_andn2_saveexec_b64 s[4:5], s[4:5]
; %bb.352:
	v_lshl_add_u64 v[18:19], v[4:5], 0, v[50:51]
; %bb.353:
	s_or_b64 exec, exec, s[4:5]
	v_lshl_add_u64 v[18:19], v[18:19], 1, s[22:23]
	s_waitcnt lgkmcnt(14)
	global_store_short v[18:19], v90, off
	s_or_b64 exec, exec, s[2:3]
	v_cmp_gt_u32_e32 vcc, s33, v48
	s_and_saveexec_b64 s[2:3], vcc
	s_cbranch_execnz .LBB165_266
.LBB165_354:
	s_or_b64 exec, exec, s[2:3]
	v_cmp_gt_u32_e32 vcc, s33, v46
	s_and_saveexec_b64 s[2:3], vcc
	s_cbranch_execz .LBB165_271
.LBB165_355:
	v_cmp_ge_u32_e32 vcc, v46, v2
                                        ; implicit-def: $vgpr18_vgpr19
	s_and_saveexec_b64 s[4:5], vcc
	s_xor_b64 s[4:5], exec, s[4:5]
; %bb.356:
	v_xor_b32_e32 v18, 0xffffe9ff, v0
	v_ashrrev_i32_e32 v19, 31, v18
	v_lshl_add_u64 v[18:19], v[8:9], 0, v[18:19]
                                        ; implicit-def: $vgpr46_vgpr47
; %bb.357:
	s_andn2_saveexec_b64 s[4:5], s[4:5]
; %bb.358:
	v_lshl_add_u64 v[18:19], v[4:5], 0, v[46:47]
; %bb.359:
	s_or_b64 exec, exec, s[4:5]
	v_lshl_add_u64 v[18:19], v[18:19], 1, s[22:23]
	s_waitcnt lgkmcnt(14)
	global_store_short v[18:19], v88, off
	s_or_b64 exec, exec, s[2:3]
	v_cmp_gt_u32_e32 vcc, s33, v44
	s_and_saveexec_b64 s[2:3], vcc
	s_cbranch_execnz .LBB165_272
.LBB165_360:
	s_or_b64 exec, exec, s[2:3]
	v_cmp_gt_u32_e32 vcc, s33, v42
	s_and_saveexec_b64 s[2:3], vcc
	s_cbranch_execz .LBB165_277
.LBB165_361:
	v_cmp_ge_u32_e32 vcc, v42, v2
                                        ; implicit-def: $vgpr18_vgpr19
	s_and_saveexec_b64 s[4:5], vcc
	s_xor_b64 s[4:5], exec, s[4:5]
; %bb.362:
	v_xor_b32_e32 v18, 0xffffe5ff, v0
	v_ashrrev_i32_e32 v19, 31, v18
	v_lshl_add_u64 v[18:19], v[8:9], 0, v[18:19]
                                        ; implicit-def: $vgpr42_vgpr43
; %bb.363:
	s_andn2_saveexec_b64 s[4:5], s[4:5]
; %bb.364:
	v_lshl_add_u64 v[18:19], v[4:5], 0, v[42:43]
; %bb.365:
	s_or_b64 exec, exec, s[4:5]
	v_lshl_add_u64 v[18:19], v[18:19], 1, s[22:23]
	s_waitcnt lgkmcnt(14)
	global_store_short v[18:19], v86, off
	s_or_b64 exec, exec, s[2:3]
	v_cmp_gt_u32_e32 vcc, s33, v40
	s_and_saveexec_b64 s[2:3], vcc
	s_cbranch_execnz .LBB165_278
.LBB165_366:
	s_or_b64 exec, exec, s[2:3]
	v_cmp_gt_u32_e32 vcc, s33, v38
	s_and_saveexec_b64 s[2:3], vcc
	s_cbranch_execz .LBB165_283
.LBB165_367:
	v_cmp_ge_u32_e32 vcc, v38, v2
                                        ; implicit-def: $vgpr18_vgpr19
	s_and_saveexec_b64 s[4:5], vcc
	s_xor_b64 s[4:5], exec, s[4:5]
; %bb.368:
	v_xor_b32_e32 v18, 0xffffe1ff, v0
	v_ashrrev_i32_e32 v19, 31, v18
	v_lshl_add_u64 v[18:19], v[8:9], 0, v[18:19]
                                        ; implicit-def: $vgpr38_vgpr39
; %bb.369:
	s_andn2_saveexec_b64 s[4:5], s[4:5]
; %bb.370:
	v_lshl_add_u64 v[18:19], v[4:5], 0, v[38:39]
; %bb.371:
	s_or_b64 exec, exec, s[4:5]
	v_lshl_add_u64 v[18:19], v[18:19], 1, s[22:23]
	s_waitcnt lgkmcnt(14)
	global_store_short v[18:19], v84, off
	s_or_b64 exec, exec, s[2:3]
	v_cmp_gt_u32_e32 vcc, s33, v36
	s_and_saveexec_b64 s[2:3], vcc
	s_cbranch_execnz .LBB165_284
.LBB165_372:
	s_or_b64 exec, exec, s[2:3]
	v_cmp_gt_u32_e32 vcc, s33, v34
	s_and_saveexec_b64 s[2:3], vcc
	s_cbranch_execz .LBB165_289
.LBB165_373:
	v_cmp_ge_u32_e32 vcc, v34, v2
                                        ; implicit-def: $vgpr18_vgpr19
	s_and_saveexec_b64 s[4:5], vcc
	s_xor_b64 s[4:5], exec, s[4:5]
; %bb.374:
	v_xor_b32_e32 v18, 0xffffddff, v0
	v_ashrrev_i32_e32 v19, 31, v18
	v_lshl_add_u64 v[18:19], v[8:9], 0, v[18:19]
                                        ; implicit-def: $vgpr34_vgpr35
; %bb.375:
	s_andn2_saveexec_b64 s[4:5], s[4:5]
; %bb.376:
	v_lshl_add_u64 v[18:19], v[4:5], 0, v[34:35]
; %bb.377:
	s_or_b64 exec, exec, s[4:5]
	v_lshl_add_u64 v[18:19], v[18:19], 1, s[22:23]
	s_waitcnt lgkmcnt(12)
	global_store_short v[18:19], v82, off
	s_or_b64 exec, exec, s[2:3]
	v_cmp_gt_u32_e32 vcc, s33, v32
	s_and_saveexec_b64 s[2:3], vcc
	s_cbranch_execnz .LBB165_290
.LBB165_378:
	s_or_b64 exec, exec, s[2:3]
	v_cmp_gt_u32_e32 vcc, s33, v30
	s_and_saveexec_b64 s[2:3], vcc
	s_cbranch_execz .LBB165_295
.LBB165_379:
	v_cmp_ge_u32_e32 vcc, v30, v2
                                        ; implicit-def: $vgpr18_vgpr19
	s_and_saveexec_b64 s[4:5], vcc
	s_xor_b64 s[4:5], exec, s[4:5]
; %bb.380:
	v_xor_b32_e32 v18, 0xffffd9ff, v0
	v_ashrrev_i32_e32 v19, 31, v18
	v_lshl_add_u64 v[18:19], v[8:9], 0, v[18:19]
                                        ; implicit-def: $vgpr30_vgpr31
; %bb.381:
	s_andn2_saveexec_b64 s[4:5], s[4:5]
; %bb.382:
	v_lshl_add_u64 v[18:19], v[4:5], 0, v[30:31]
; %bb.383:
	s_or_b64 exec, exec, s[4:5]
	v_lshl_add_u64 v[18:19], v[18:19], 1, s[22:23]
	s_waitcnt lgkmcnt(10)
	global_store_short v[18:19], v80, off
	s_or_b64 exec, exec, s[2:3]
	v_cmp_gt_u32_e32 vcc, s33, v28
	s_and_saveexec_b64 s[2:3], vcc
	s_cbranch_execnz .LBB165_296
.LBB165_384:
	s_or_b64 exec, exec, s[2:3]
	v_cmp_gt_u32_e32 vcc, s33, v26
	s_and_saveexec_b64 s[2:3], vcc
	s_cbranch_execz .LBB165_301
.LBB165_385:
	v_cmp_ge_u32_e32 vcc, v26, v2
                                        ; implicit-def: $vgpr18_vgpr19
	s_and_saveexec_b64 s[4:5], vcc
	s_xor_b64 s[4:5], exec, s[4:5]
; %bb.386:
	v_xor_b32_e32 v18, 0xffffd5ff, v0
	v_ashrrev_i32_e32 v19, 31, v18
	v_lshl_add_u64 v[18:19], v[8:9], 0, v[18:19]
                                        ; implicit-def: $vgpr26_vgpr27
; %bb.387:
	s_andn2_saveexec_b64 s[4:5], s[4:5]
; %bb.388:
	v_lshl_add_u64 v[18:19], v[4:5], 0, v[26:27]
; %bb.389:
	s_or_b64 exec, exec, s[4:5]
	v_lshl_add_u64 v[18:19], v[18:19], 1, s[22:23]
	s_waitcnt lgkmcnt(8)
	global_store_short v[18:19], v78, off
	s_or_b64 exec, exec, s[2:3]
	v_cmp_gt_u32_e32 vcc, s33, v24
	s_and_saveexec_b64 s[2:3], vcc
	s_cbranch_execnz .LBB165_302
.LBB165_390:
	s_or_b64 exec, exec, s[2:3]
	v_cmp_gt_u32_e32 vcc, s33, v22
	s_and_saveexec_b64 s[2:3], vcc
	s_cbranch_execz .LBB165_307
.LBB165_391:
	v_cmp_ge_u32_e32 vcc, v22, v2
                                        ; implicit-def: $vgpr18_vgpr19
	s_and_saveexec_b64 s[4:5], vcc
	s_xor_b64 s[4:5], exec, s[4:5]
; %bb.392:
	v_xor_b32_e32 v18, 0xffffd1ff, v0
	v_ashrrev_i32_e32 v19, 31, v18
	v_lshl_add_u64 v[18:19], v[8:9], 0, v[18:19]
                                        ; implicit-def: $vgpr22_vgpr23
; %bb.393:
	s_andn2_saveexec_b64 s[4:5], s[4:5]
; %bb.394:
	v_lshl_add_u64 v[18:19], v[4:5], 0, v[22:23]
; %bb.395:
	s_or_b64 exec, exec, s[4:5]
	v_lshl_add_u64 v[18:19], v[18:19], 1, s[22:23]
	s_waitcnt lgkmcnt(6)
	global_store_short v[18:19], v76, off
	s_or_b64 exec, exec, s[2:3]
	v_cmp_gt_u32_e32 vcc, s33, v20
	s_and_saveexec_b64 s[2:3], vcc
	s_cbranch_execnz .LBB165_308
.LBB165_396:
	s_or_b64 exec, exec, s[2:3]
	v_cmp_gt_u32_e32 vcc, s33, v16
	s_and_saveexec_b64 s[2:3], vcc
	s_cbranch_execz .LBB165_313
.LBB165_397:
	v_cmp_ge_u32_e32 vcc, v16, v2
                                        ; implicit-def: $vgpr18_vgpr19
	s_and_saveexec_b64 s[4:5], vcc
	s_xor_b64 s[4:5], exec, s[4:5]
; %bb.398:
	v_xor_b32_e32 v16, 0xffffcdff, v0
	v_ashrrev_i32_e32 v17, 31, v16
	v_lshl_add_u64 v[18:19], v[8:9], 0, v[16:17]
                                        ; implicit-def: $vgpr16_vgpr17
; %bb.399:
	s_andn2_saveexec_b64 s[4:5], s[4:5]
; %bb.400:
	v_lshl_add_u64 v[18:19], v[4:5], 0, v[16:17]
; %bb.401:
	s_or_b64 exec, exec, s[4:5]
	v_lshl_add_u64 v[16:17], v[18:19], 1, s[22:23]
	s_waitcnt lgkmcnt(4)
	global_store_short v[16:17], v74, off
	s_or_b64 exec, exec, s[2:3]
	v_cmp_gt_u32_e32 vcc, s33, v14
	s_and_saveexec_b64 s[2:3], vcc
	s_cbranch_execnz .LBB165_314
.LBB165_402:
	s_or_b64 exec, exec, s[2:3]
	v_cmp_gt_u32_e32 vcc, s33, v12
	s_and_saveexec_b64 s[2:3], vcc
	s_cbranch_execz .LBB165_319
.LBB165_403:
	v_cmp_ge_u32_e32 vcc, v12, v2
                                        ; implicit-def: $vgpr14_vgpr15
	s_and_saveexec_b64 s[4:5], vcc
	s_xor_b64 s[4:5], exec, s[4:5]
; %bb.404:
	v_xor_b32_e32 v12, 0xffffc9ff, v0
	v_ashrrev_i32_e32 v13, 31, v12
	v_lshl_add_u64 v[14:15], v[8:9], 0, v[12:13]
                                        ; implicit-def: $vgpr12_vgpr13
; %bb.405:
	s_andn2_saveexec_b64 s[4:5], s[4:5]
; %bb.406:
	v_lshl_add_u64 v[14:15], v[4:5], 0, v[12:13]
; %bb.407:
	s_or_b64 exec, exec, s[4:5]
	v_lshl_add_u64 v[12:13], v[14:15], 1, s[22:23]
	s_waitcnt lgkmcnt(2)
	global_store_short v[12:13], v72, off
	s_or_b64 exec, exec, s[2:3]
	v_cmp_gt_u32_e32 vcc, s33, v10
	s_and_saveexec_b64 s[2:3], vcc
	s_cbranch_execz .LBB165_320
.LBB165_408:
	v_cmp_ge_u32_e32 vcc, v10, v2
                                        ; implicit-def: $vgpr12_vgpr13
	s_and_saveexec_b64 s[4:5], vcc
	s_xor_b64 s[4:5], exec, s[4:5]
; %bb.409:
	v_xor_b32_e32 v10, 0xffffc7ff, v0
	v_ashrrev_i32_e32 v11, 31, v10
	v_lshl_add_u64 v[12:13], v[8:9], 0, v[10:11]
                                        ; implicit-def: $vgpr10_vgpr11
; %bb.410:
	s_andn2_saveexec_b64 s[4:5], s[4:5]
; %bb.411:
	v_lshl_add_u64 v[12:13], v[4:5], 0, v[10:11]
; %bb.412:
	s_or_b64 exec, exec, s[4:5]
	v_lshl_add_u64 v[10:11], v[12:13], 1, s[22:23]
	s_waitcnt lgkmcnt(1)
	global_store_short v[10:11], v71, off
	s_or_b64 exec, exec, s[2:3]
	v_cmp_gt_u32_e32 vcc, s33, v6
                                        ; implicit-def: $vgpr18_vgpr19
	s_and_saveexec_b64 s[2:3], vcc
	s_cbranch_execz .LBB165_321
.LBB165_413:
	v_cmp_ge_u32_e32 vcc, v6, v2
                                        ; implicit-def: $vgpr18_vgpr19
	s_and_saveexec_b64 s[4:5], vcc
	s_xor_b64 s[4:5], exec, s[4:5]
; %bb.414:
	v_xor_b32_e32 v0, 0xffffc5ff, v0
	v_ashrrev_i32_e32 v1, 31, v0
	v_lshl_add_u64 v[18:19], v[8:9], 0, v[0:1]
                                        ; implicit-def: $vgpr6_vgpr7
; %bb.415:
	s_andn2_saveexec_b64 s[4:5], s[4:5]
; %bb.416:
	v_lshl_add_u64 v[18:19], v[4:5], 0, v[6:7]
; %bb.417:
	s_or_b64 exec, exec, s[4:5]
	s_or_b64 s[0:1], s[0:1], exec
	s_or_b64 exec, exec, s[2:3]
	s_and_saveexec_b64 s[2:3], s[0:1]
	s_cbranch_execnz .LBB165_232
	s_branch .LBB165_322
	.section	.rodata,"a",@progbits
	.p2align	6, 0x0
	.amdhsa_kernel _ZN7rocprim17ROCPRIM_400000_NS6detail17trampoline_kernelINS0_14default_configENS1_25partition_config_selectorILNS1_17partition_subalgoE3EsNS0_10empty_typeEbEEZZNS1_14partition_implILS5_3ELb0ES3_jN6thrust23THRUST_200600_302600_NS6detail15normal_iteratorINSA_7pointerIsNSA_11hip_rocprim3tagENSA_11use_defaultESG_EEEEPS6_SJ_NS0_5tupleIJPsSJ_EEENSK_IJSJ_SJ_EEES6_PlJ7is_evenIsEEEE10hipError_tPvRmT3_T4_T5_T6_T7_T9_mT8_P12ihipStream_tbDpT10_ENKUlT_T0_E_clISt17integral_constantIbLb0EES19_IbLb1EEEEDaS15_S16_EUlS15_E_NS1_11comp_targetILNS1_3genE5ELNS1_11target_archE942ELNS1_3gpuE9ELNS1_3repE0EEENS1_30default_config_static_selectorELNS0_4arch9wavefront6targetE1EEEvT1_
		.amdhsa_group_segment_fixed_size 30728
		.amdhsa_private_segment_fixed_size 0
		.amdhsa_kernarg_size 136
		.amdhsa_user_sgpr_count 2
		.amdhsa_user_sgpr_dispatch_ptr 0
		.amdhsa_user_sgpr_queue_ptr 0
		.amdhsa_user_sgpr_kernarg_segment_ptr 1
		.amdhsa_user_sgpr_dispatch_id 0
		.amdhsa_user_sgpr_kernarg_preload_length 0
		.amdhsa_user_sgpr_kernarg_preload_offset 0
		.amdhsa_user_sgpr_private_segment_size 0
		.amdhsa_uses_dynamic_stack 0
		.amdhsa_enable_private_segment 0
		.amdhsa_system_sgpr_workgroup_id_x 1
		.amdhsa_system_sgpr_workgroup_id_y 0
		.amdhsa_system_sgpr_workgroup_id_z 0
		.amdhsa_system_sgpr_workgroup_info 0
		.amdhsa_system_vgpr_workitem_id 0
		.amdhsa_next_free_vgpr 124
		.amdhsa_next_free_sgpr 44
		.amdhsa_accum_offset 124
		.amdhsa_reserve_vcc 1
		.amdhsa_float_round_mode_32 0
		.amdhsa_float_round_mode_16_64 0
		.amdhsa_float_denorm_mode_32 3
		.amdhsa_float_denorm_mode_16_64 3
		.amdhsa_dx10_clamp 1
		.amdhsa_ieee_mode 1
		.amdhsa_fp16_overflow 0
		.amdhsa_tg_split 0
		.amdhsa_exception_fp_ieee_invalid_op 0
		.amdhsa_exception_fp_denorm_src 0
		.amdhsa_exception_fp_ieee_div_zero 0
		.amdhsa_exception_fp_ieee_overflow 0
		.amdhsa_exception_fp_ieee_underflow 0
		.amdhsa_exception_fp_ieee_inexact 0
		.amdhsa_exception_int_div_zero 0
	.end_amdhsa_kernel
	.section	.text._ZN7rocprim17ROCPRIM_400000_NS6detail17trampoline_kernelINS0_14default_configENS1_25partition_config_selectorILNS1_17partition_subalgoE3EsNS0_10empty_typeEbEEZZNS1_14partition_implILS5_3ELb0ES3_jN6thrust23THRUST_200600_302600_NS6detail15normal_iteratorINSA_7pointerIsNSA_11hip_rocprim3tagENSA_11use_defaultESG_EEEEPS6_SJ_NS0_5tupleIJPsSJ_EEENSK_IJSJ_SJ_EEES6_PlJ7is_evenIsEEEE10hipError_tPvRmT3_T4_T5_T6_T7_T9_mT8_P12ihipStream_tbDpT10_ENKUlT_T0_E_clISt17integral_constantIbLb0EES19_IbLb1EEEEDaS15_S16_EUlS15_E_NS1_11comp_targetILNS1_3genE5ELNS1_11target_archE942ELNS1_3gpuE9ELNS1_3repE0EEENS1_30default_config_static_selectorELNS0_4arch9wavefront6targetE1EEEvT1_,"axG",@progbits,_ZN7rocprim17ROCPRIM_400000_NS6detail17trampoline_kernelINS0_14default_configENS1_25partition_config_selectorILNS1_17partition_subalgoE3EsNS0_10empty_typeEbEEZZNS1_14partition_implILS5_3ELb0ES3_jN6thrust23THRUST_200600_302600_NS6detail15normal_iteratorINSA_7pointerIsNSA_11hip_rocprim3tagENSA_11use_defaultESG_EEEEPS6_SJ_NS0_5tupleIJPsSJ_EEENSK_IJSJ_SJ_EEES6_PlJ7is_evenIsEEEE10hipError_tPvRmT3_T4_T5_T6_T7_T9_mT8_P12ihipStream_tbDpT10_ENKUlT_T0_E_clISt17integral_constantIbLb0EES19_IbLb1EEEEDaS15_S16_EUlS15_E_NS1_11comp_targetILNS1_3genE5ELNS1_11target_archE942ELNS1_3gpuE9ELNS1_3repE0EEENS1_30default_config_static_selectorELNS0_4arch9wavefront6targetE1EEEvT1_,comdat
.Lfunc_end165:
	.size	_ZN7rocprim17ROCPRIM_400000_NS6detail17trampoline_kernelINS0_14default_configENS1_25partition_config_selectorILNS1_17partition_subalgoE3EsNS0_10empty_typeEbEEZZNS1_14partition_implILS5_3ELb0ES3_jN6thrust23THRUST_200600_302600_NS6detail15normal_iteratorINSA_7pointerIsNSA_11hip_rocprim3tagENSA_11use_defaultESG_EEEEPS6_SJ_NS0_5tupleIJPsSJ_EEENSK_IJSJ_SJ_EEES6_PlJ7is_evenIsEEEE10hipError_tPvRmT3_T4_T5_T6_T7_T9_mT8_P12ihipStream_tbDpT10_ENKUlT_T0_E_clISt17integral_constantIbLb0EES19_IbLb1EEEEDaS15_S16_EUlS15_E_NS1_11comp_targetILNS1_3genE5ELNS1_11target_archE942ELNS1_3gpuE9ELNS1_3repE0EEENS1_30default_config_static_selectorELNS0_4arch9wavefront6targetE1EEEvT1_, .Lfunc_end165-_ZN7rocprim17ROCPRIM_400000_NS6detail17trampoline_kernelINS0_14default_configENS1_25partition_config_selectorILNS1_17partition_subalgoE3EsNS0_10empty_typeEbEEZZNS1_14partition_implILS5_3ELb0ES3_jN6thrust23THRUST_200600_302600_NS6detail15normal_iteratorINSA_7pointerIsNSA_11hip_rocprim3tagENSA_11use_defaultESG_EEEEPS6_SJ_NS0_5tupleIJPsSJ_EEENSK_IJSJ_SJ_EEES6_PlJ7is_evenIsEEEE10hipError_tPvRmT3_T4_T5_T6_T7_T9_mT8_P12ihipStream_tbDpT10_ENKUlT_T0_E_clISt17integral_constantIbLb0EES19_IbLb1EEEEDaS15_S16_EUlS15_E_NS1_11comp_targetILNS1_3genE5ELNS1_11target_archE942ELNS1_3gpuE9ELNS1_3repE0EEENS1_30default_config_static_selectorELNS0_4arch9wavefront6targetE1EEEvT1_
                                        ; -- End function
	.section	.AMDGPU.csdata,"",@progbits
; Kernel info:
; codeLenInByte = 12928
; NumSgprs: 50
; NumVgprs: 124
; NumAgprs: 0
; TotalNumVgprs: 124
; ScratchSize: 0
; MemoryBound: 0
; FloatMode: 240
; IeeeMode: 1
; LDSByteSize: 30728 bytes/workgroup (compile time only)
; SGPRBlocks: 6
; VGPRBlocks: 15
; NumSGPRsForWavesPerEU: 50
; NumVGPRsForWavesPerEU: 124
; AccumOffset: 124
; Occupancy: 4
; WaveLimiterHint : 1
; COMPUTE_PGM_RSRC2:SCRATCH_EN: 0
; COMPUTE_PGM_RSRC2:USER_SGPR: 2
; COMPUTE_PGM_RSRC2:TRAP_HANDLER: 0
; COMPUTE_PGM_RSRC2:TGID_X_EN: 1
; COMPUTE_PGM_RSRC2:TGID_Y_EN: 0
; COMPUTE_PGM_RSRC2:TGID_Z_EN: 0
; COMPUTE_PGM_RSRC2:TIDIG_COMP_CNT: 0
; COMPUTE_PGM_RSRC3_GFX90A:ACCUM_OFFSET: 30
; COMPUTE_PGM_RSRC3_GFX90A:TG_SPLIT: 0
	.section	.text._ZN7rocprim17ROCPRIM_400000_NS6detail17trampoline_kernelINS0_14default_configENS1_25partition_config_selectorILNS1_17partition_subalgoE3EsNS0_10empty_typeEbEEZZNS1_14partition_implILS5_3ELb0ES3_jN6thrust23THRUST_200600_302600_NS6detail15normal_iteratorINSA_7pointerIsNSA_11hip_rocprim3tagENSA_11use_defaultESG_EEEEPS6_SJ_NS0_5tupleIJPsSJ_EEENSK_IJSJ_SJ_EEES6_PlJ7is_evenIsEEEE10hipError_tPvRmT3_T4_T5_T6_T7_T9_mT8_P12ihipStream_tbDpT10_ENKUlT_T0_E_clISt17integral_constantIbLb0EES19_IbLb1EEEEDaS15_S16_EUlS15_E_NS1_11comp_targetILNS1_3genE4ELNS1_11target_archE910ELNS1_3gpuE8ELNS1_3repE0EEENS1_30default_config_static_selectorELNS0_4arch9wavefront6targetE1EEEvT1_,"axG",@progbits,_ZN7rocprim17ROCPRIM_400000_NS6detail17trampoline_kernelINS0_14default_configENS1_25partition_config_selectorILNS1_17partition_subalgoE3EsNS0_10empty_typeEbEEZZNS1_14partition_implILS5_3ELb0ES3_jN6thrust23THRUST_200600_302600_NS6detail15normal_iteratorINSA_7pointerIsNSA_11hip_rocprim3tagENSA_11use_defaultESG_EEEEPS6_SJ_NS0_5tupleIJPsSJ_EEENSK_IJSJ_SJ_EEES6_PlJ7is_evenIsEEEE10hipError_tPvRmT3_T4_T5_T6_T7_T9_mT8_P12ihipStream_tbDpT10_ENKUlT_T0_E_clISt17integral_constantIbLb0EES19_IbLb1EEEEDaS15_S16_EUlS15_E_NS1_11comp_targetILNS1_3genE4ELNS1_11target_archE910ELNS1_3gpuE8ELNS1_3repE0EEENS1_30default_config_static_selectorELNS0_4arch9wavefront6targetE1EEEvT1_,comdat
	.protected	_ZN7rocprim17ROCPRIM_400000_NS6detail17trampoline_kernelINS0_14default_configENS1_25partition_config_selectorILNS1_17partition_subalgoE3EsNS0_10empty_typeEbEEZZNS1_14partition_implILS5_3ELb0ES3_jN6thrust23THRUST_200600_302600_NS6detail15normal_iteratorINSA_7pointerIsNSA_11hip_rocprim3tagENSA_11use_defaultESG_EEEEPS6_SJ_NS0_5tupleIJPsSJ_EEENSK_IJSJ_SJ_EEES6_PlJ7is_evenIsEEEE10hipError_tPvRmT3_T4_T5_T6_T7_T9_mT8_P12ihipStream_tbDpT10_ENKUlT_T0_E_clISt17integral_constantIbLb0EES19_IbLb1EEEEDaS15_S16_EUlS15_E_NS1_11comp_targetILNS1_3genE4ELNS1_11target_archE910ELNS1_3gpuE8ELNS1_3repE0EEENS1_30default_config_static_selectorELNS0_4arch9wavefront6targetE1EEEvT1_ ; -- Begin function _ZN7rocprim17ROCPRIM_400000_NS6detail17trampoline_kernelINS0_14default_configENS1_25partition_config_selectorILNS1_17partition_subalgoE3EsNS0_10empty_typeEbEEZZNS1_14partition_implILS5_3ELb0ES3_jN6thrust23THRUST_200600_302600_NS6detail15normal_iteratorINSA_7pointerIsNSA_11hip_rocprim3tagENSA_11use_defaultESG_EEEEPS6_SJ_NS0_5tupleIJPsSJ_EEENSK_IJSJ_SJ_EEES6_PlJ7is_evenIsEEEE10hipError_tPvRmT3_T4_T5_T6_T7_T9_mT8_P12ihipStream_tbDpT10_ENKUlT_T0_E_clISt17integral_constantIbLb0EES19_IbLb1EEEEDaS15_S16_EUlS15_E_NS1_11comp_targetILNS1_3genE4ELNS1_11target_archE910ELNS1_3gpuE8ELNS1_3repE0EEENS1_30default_config_static_selectorELNS0_4arch9wavefront6targetE1EEEvT1_
	.globl	_ZN7rocprim17ROCPRIM_400000_NS6detail17trampoline_kernelINS0_14default_configENS1_25partition_config_selectorILNS1_17partition_subalgoE3EsNS0_10empty_typeEbEEZZNS1_14partition_implILS5_3ELb0ES3_jN6thrust23THRUST_200600_302600_NS6detail15normal_iteratorINSA_7pointerIsNSA_11hip_rocprim3tagENSA_11use_defaultESG_EEEEPS6_SJ_NS0_5tupleIJPsSJ_EEENSK_IJSJ_SJ_EEES6_PlJ7is_evenIsEEEE10hipError_tPvRmT3_T4_T5_T6_T7_T9_mT8_P12ihipStream_tbDpT10_ENKUlT_T0_E_clISt17integral_constantIbLb0EES19_IbLb1EEEEDaS15_S16_EUlS15_E_NS1_11comp_targetILNS1_3genE4ELNS1_11target_archE910ELNS1_3gpuE8ELNS1_3repE0EEENS1_30default_config_static_selectorELNS0_4arch9wavefront6targetE1EEEvT1_
	.p2align	8
	.type	_ZN7rocprim17ROCPRIM_400000_NS6detail17trampoline_kernelINS0_14default_configENS1_25partition_config_selectorILNS1_17partition_subalgoE3EsNS0_10empty_typeEbEEZZNS1_14partition_implILS5_3ELb0ES3_jN6thrust23THRUST_200600_302600_NS6detail15normal_iteratorINSA_7pointerIsNSA_11hip_rocprim3tagENSA_11use_defaultESG_EEEEPS6_SJ_NS0_5tupleIJPsSJ_EEENSK_IJSJ_SJ_EEES6_PlJ7is_evenIsEEEE10hipError_tPvRmT3_T4_T5_T6_T7_T9_mT8_P12ihipStream_tbDpT10_ENKUlT_T0_E_clISt17integral_constantIbLb0EES19_IbLb1EEEEDaS15_S16_EUlS15_E_NS1_11comp_targetILNS1_3genE4ELNS1_11target_archE910ELNS1_3gpuE8ELNS1_3repE0EEENS1_30default_config_static_selectorELNS0_4arch9wavefront6targetE1EEEvT1_,@function
_ZN7rocprim17ROCPRIM_400000_NS6detail17trampoline_kernelINS0_14default_configENS1_25partition_config_selectorILNS1_17partition_subalgoE3EsNS0_10empty_typeEbEEZZNS1_14partition_implILS5_3ELb0ES3_jN6thrust23THRUST_200600_302600_NS6detail15normal_iteratorINSA_7pointerIsNSA_11hip_rocprim3tagENSA_11use_defaultESG_EEEEPS6_SJ_NS0_5tupleIJPsSJ_EEENSK_IJSJ_SJ_EEES6_PlJ7is_evenIsEEEE10hipError_tPvRmT3_T4_T5_T6_T7_T9_mT8_P12ihipStream_tbDpT10_ENKUlT_T0_E_clISt17integral_constantIbLb0EES19_IbLb1EEEEDaS15_S16_EUlS15_E_NS1_11comp_targetILNS1_3genE4ELNS1_11target_archE910ELNS1_3gpuE8ELNS1_3repE0EEENS1_30default_config_static_selectorELNS0_4arch9wavefront6targetE1EEEvT1_: ; @_ZN7rocprim17ROCPRIM_400000_NS6detail17trampoline_kernelINS0_14default_configENS1_25partition_config_selectorILNS1_17partition_subalgoE3EsNS0_10empty_typeEbEEZZNS1_14partition_implILS5_3ELb0ES3_jN6thrust23THRUST_200600_302600_NS6detail15normal_iteratorINSA_7pointerIsNSA_11hip_rocprim3tagENSA_11use_defaultESG_EEEEPS6_SJ_NS0_5tupleIJPsSJ_EEENSK_IJSJ_SJ_EEES6_PlJ7is_evenIsEEEE10hipError_tPvRmT3_T4_T5_T6_T7_T9_mT8_P12ihipStream_tbDpT10_ENKUlT_T0_E_clISt17integral_constantIbLb0EES19_IbLb1EEEEDaS15_S16_EUlS15_E_NS1_11comp_targetILNS1_3genE4ELNS1_11target_archE910ELNS1_3gpuE8ELNS1_3repE0EEENS1_30default_config_static_selectorELNS0_4arch9wavefront6targetE1EEEvT1_
; %bb.0:
	.section	.rodata,"a",@progbits
	.p2align	6, 0x0
	.amdhsa_kernel _ZN7rocprim17ROCPRIM_400000_NS6detail17trampoline_kernelINS0_14default_configENS1_25partition_config_selectorILNS1_17partition_subalgoE3EsNS0_10empty_typeEbEEZZNS1_14partition_implILS5_3ELb0ES3_jN6thrust23THRUST_200600_302600_NS6detail15normal_iteratorINSA_7pointerIsNSA_11hip_rocprim3tagENSA_11use_defaultESG_EEEEPS6_SJ_NS0_5tupleIJPsSJ_EEENSK_IJSJ_SJ_EEES6_PlJ7is_evenIsEEEE10hipError_tPvRmT3_T4_T5_T6_T7_T9_mT8_P12ihipStream_tbDpT10_ENKUlT_T0_E_clISt17integral_constantIbLb0EES19_IbLb1EEEEDaS15_S16_EUlS15_E_NS1_11comp_targetILNS1_3genE4ELNS1_11target_archE910ELNS1_3gpuE8ELNS1_3repE0EEENS1_30default_config_static_selectorELNS0_4arch9wavefront6targetE1EEEvT1_
		.amdhsa_group_segment_fixed_size 0
		.amdhsa_private_segment_fixed_size 0
		.amdhsa_kernarg_size 136
		.amdhsa_user_sgpr_count 2
		.amdhsa_user_sgpr_dispatch_ptr 0
		.amdhsa_user_sgpr_queue_ptr 0
		.amdhsa_user_sgpr_kernarg_segment_ptr 1
		.amdhsa_user_sgpr_dispatch_id 0
		.amdhsa_user_sgpr_kernarg_preload_length 0
		.amdhsa_user_sgpr_kernarg_preload_offset 0
		.amdhsa_user_sgpr_private_segment_size 0
		.amdhsa_uses_dynamic_stack 0
		.amdhsa_enable_private_segment 0
		.amdhsa_system_sgpr_workgroup_id_x 1
		.amdhsa_system_sgpr_workgroup_id_y 0
		.amdhsa_system_sgpr_workgroup_id_z 0
		.amdhsa_system_sgpr_workgroup_info 0
		.amdhsa_system_vgpr_workitem_id 0
		.amdhsa_next_free_vgpr 1
		.amdhsa_next_free_sgpr 0
		.amdhsa_accum_offset 4
		.amdhsa_reserve_vcc 0
		.amdhsa_float_round_mode_32 0
		.amdhsa_float_round_mode_16_64 0
		.amdhsa_float_denorm_mode_32 3
		.amdhsa_float_denorm_mode_16_64 3
		.amdhsa_dx10_clamp 1
		.amdhsa_ieee_mode 1
		.amdhsa_fp16_overflow 0
		.amdhsa_tg_split 0
		.amdhsa_exception_fp_ieee_invalid_op 0
		.amdhsa_exception_fp_denorm_src 0
		.amdhsa_exception_fp_ieee_div_zero 0
		.amdhsa_exception_fp_ieee_overflow 0
		.amdhsa_exception_fp_ieee_underflow 0
		.amdhsa_exception_fp_ieee_inexact 0
		.amdhsa_exception_int_div_zero 0
	.end_amdhsa_kernel
	.section	.text._ZN7rocprim17ROCPRIM_400000_NS6detail17trampoline_kernelINS0_14default_configENS1_25partition_config_selectorILNS1_17partition_subalgoE3EsNS0_10empty_typeEbEEZZNS1_14partition_implILS5_3ELb0ES3_jN6thrust23THRUST_200600_302600_NS6detail15normal_iteratorINSA_7pointerIsNSA_11hip_rocprim3tagENSA_11use_defaultESG_EEEEPS6_SJ_NS0_5tupleIJPsSJ_EEENSK_IJSJ_SJ_EEES6_PlJ7is_evenIsEEEE10hipError_tPvRmT3_T4_T5_T6_T7_T9_mT8_P12ihipStream_tbDpT10_ENKUlT_T0_E_clISt17integral_constantIbLb0EES19_IbLb1EEEEDaS15_S16_EUlS15_E_NS1_11comp_targetILNS1_3genE4ELNS1_11target_archE910ELNS1_3gpuE8ELNS1_3repE0EEENS1_30default_config_static_selectorELNS0_4arch9wavefront6targetE1EEEvT1_,"axG",@progbits,_ZN7rocprim17ROCPRIM_400000_NS6detail17trampoline_kernelINS0_14default_configENS1_25partition_config_selectorILNS1_17partition_subalgoE3EsNS0_10empty_typeEbEEZZNS1_14partition_implILS5_3ELb0ES3_jN6thrust23THRUST_200600_302600_NS6detail15normal_iteratorINSA_7pointerIsNSA_11hip_rocprim3tagENSA_11use_defaultESG_EEEEPS6_SJ_NS0_5tupleIJPsSJ_EEENSK_IJSJ_SJ_EEES6_PlJ7is_evenIsEEEE10hipError_tPvRmT3_T4_T5_T6_T7_T9_mT8_P12ihipStream_tbDpT10_ENKUlT_T0_E_clISt17integral_constantIbLb0EES19_IbLb1EEEEDaS15_S16_EUlS15_E_NS1_11comp_targetILNS1_3genE4ELNS1_11target_archE910ELNS1_3gpuE8ELNS1_3repE0EEENS1_30default_config_static_selectorELNS0_4arch9wavefront6targetE1EEEvT1_,comdat
.Lfunc_end166:
	.size	_ZN7rocprim17ROCPRIM_400000_NS6detail17trampoline_kernelINS0_14default_configENS1_25partition_config_selectorILNS1_17partition_subalgoE3EsNS0_10empty_typeEbEEZZNS1_14partition_implILS5_3ELb0ES3_jN6thrust23THRUST_200600_302600_NS6detail15normal_iteratorINSA_7pointerIsNSA_11hip_rocprim3tagENSA_11use_defaultESG_EEEEPS6_SJ_NS0_5tupleIJPsSJ_EEENSK_IJSJ_SJ_EEES6_PlJ7is_evenIsEEEE10hipError_tPvRmT3_T4_T5_T6_T7_T9_mT8_P12ihipStream_tbDpT10_ENKUlT_T0_E_clISt17integral_constantIbLb0EES19_IbLb1EEEEDaS15_S16_EUlS15_E_NS1_11comp_targetILNS1_3genE4ELNS1_11target_archE910ELNS1_3gpuE8ELNS1_3repE0EEENS1_30default_config_static_selectorELNS0_4arch9wavefront6targetE1EEEvT1_, .Lfunc_end166-_ZN7rocprim17ROCPRIM_400000_NS6detail17trampoline_kernelINS0_14default_configENS1_25partition_config_selectorILNS1_17partition_subalgoE3EsNS0_10empty_typeEbEEZZNS1_14partition_implILS5_3ELb0ES3_jN6thrust23THRUST_200600_302600_NS6detail15normal_iteratorINSA_7pointerIsNSA_11hip_rocprim3tagENSA_11use_defaultESG_EEEEPS6_SJ_NS0_5tupleIJPsSJ_EEENSK_IJSJ_SJ_EEES6_PlJ7is_evenIsEEEE10hipError_tPvRmT3_T4_T5_T6_T7_T9_mT8_P12ihipStream_tbDpT10_ENKUlT_T0_E_clISt17integral_constantIbLb0EES19_IbLb1EEEEDaS15_S16_EUlS15_E_NS1_11comp_targetILNS1_3genE4ELNS1_11target_archE910ELNS1_3gpuE8ELNS1_3repE0EEENS1_30default_config_static_selectorELNS0_4arch9wavefront6targetE1EEEvT1_
                                        ; -- End function
	.section	.AMDGPU.csdata,"",@progbits
; Kernel info:
; codeLenInByte = 0
; NumSgprs: 6
; NumVgprs: 0
; NumAgprs: 0
; TotalNumVgprs: 0
; ScratchSize: 0
; MemoryBound: 0
; FloatMode: 240
; IeeeMode: 1
; LDSByteSize: 0 bytes/workgroup (compile time only)
; SGPRBlocks: 0
; VGPRBlocks: 0
; NumSGPRsForWavesPerEU: 6
; NumVGPRsForWavesPerEU: 1
; AccumOffset: 4
; Occupancy: 8
; WaveLimiterHint : 0
; COMPUTE_PGM_RSRC2:SCRATCH_EN: 0
; COMPUTE_PGM_RSRC2:USER_SGPR: 2
; COMPUTE_PGM_RSRC2:TRAP_HANDLER: 0
; COMPUTE_PGM_RSRC2:TGID_X_EN: 1
; COMPUTE_PGM_RSRC2:TGID_Y_EN: 0
; COMPUTE_PGM_RSRC2:TGID_Z_EN: 0
; COMPUTE_PGM_RSRC2:TIDIG_COMP_CNT: 0
; COMPUTE_PGM_RSRC3_GFX90A:ACCUM_OFFSET: 0
; COMPUTE_PGM_RSRC3_GFX90A:TG_SPLIT: 0
	.section	.text._ZN7rocprim17ROCPRIM_400000_NS6detail17trampoline_kernelINS0_14default_configENS1_25partition_config_selectorILNS1_17partition_subalgoE3EsNS0_10empty_typeEbEEZZNS1_14partition_implILS5_3ELb0ES3_jN6thrust23THRUST_200600_302600_NS6detail15normal_iteratorINSA_7pointerIsNSA_11hip_rocprim3tagENSA_11use_defaultESG_EEEEPS6_SJ_NS0_5tupleIJPsSJ_EEENSK_IJSJ_SJ_EEES6_PlJ7is_evenIsEEEE10hipError_tPvRmT3_T4_T5_T6_T7_T9_mT8_P12ihipStream_tbDpT10_ENKUlT_T0_E_clISt17integral_constantIbLb0EES19_IbLb1EEEEDaS15_S16_EUlS15_E_NS1_11comp_targetILNS1_3genE3ELNS1_11target_archE908ELNS1_3gpuE7ELNS1_3repE0EEENS1_30default_config_static_selectorELNS0_4arch9wavefront6targetE1EEEvT1_,"axG",@progbits,_ZN7rocprim17ROCPRIM_400000_NS6detail17trampoline_kernelINS0_14default_configENS1_25partition_config_selectorILNS1_17partition_subalgoE3EsNS0_10empty_typeEbEEZZNS1_14partition_implILS5_3ELb0ES3_jN6thrust23THRUST_200600_302600_NS6detail15normal_iteratorINSA_7pointerIsNSA_11hip_rocprim3tagENSA_11use_defaultESG_EEEEPS6_SJ_NS0_5tupleIJPsSJ_EEENSK_IJSJ_SJ_EEES6_PlJ7is_evenIsEEEE10hipError_tPvRmT3_T4_T5_T6_T7_T9_mT8_P12ihipStream_tbDpT10_ENKUlT_T0_E_clISt17integral_constantIbLb0EES19_IbLb1EEEEDaS15_S16_EUlS15_E_NS1_11comp_targetILNS1_3genE3ELNS1_11target_archE908ELNS1_3gpuE7ELNS1_3repE0EEENS1_30default_config_static_selectorELNS0_4arch9wavefront6targetE1EEEvT1_,comdat
	.protected	_ZN7rocprim17ROCPRIM_400000_NS6detail17trampoline_kernelINS0_14default_configENS1_25partition_config_selectorILNS1_17partition_subalgoE3EsNS0_10empty_typeEbEEZZNS1_14partition_implILS5_3ELb0ES3_jN6thrust23THRUST_200600_302600_NS6detail15normal_iteratorINSA_7pointerIsNSA_11hip_rocprim3tagENSA_11use_defaultESG_EEEEPS6_SJ_NS0_5tupleIJPsSJ_EEENSK_IJSJ_SJ_EEES6_PlJ7is_evenIsEEEE10hipError_tPvRmT3_T4_T5_T6_T7_T9_mT8_P12ihipStream_tbDpT10_ENKUlT_T0_E_clISt17integral_constantIbLb0EES19_IbLb1EEEEDaS15_S16_EUlS15_E_NS1_11comp_targetILNS1_3genE3ELNS1_11target_archE908ELNS1_3gpuE7ELNS1_3repE0EEENS1_30default_config_static_selectorELNS0_4arch9wavefront6targetE1EEEvT1_ ; -- Begin function _ZN7rocprim17ROCPRIM_400000_NS6detail17trampoline_kernelINS0_14default_configENS1_25partition_config_selectorILNS1_17partition_subalgoE3EsNS0_10empty_typeEbEEZZNS1_14partition_implILS5_3ELb0ES3_jN6thrust23THRUST_200600_302600_NS6detail15normal_iteratorINSA_7pointerIsNSA_11hip_rocprim3tagENSA_11use_defaultESG_EEEEPS6_SJ_NS0_5tupleIJPsSJ_EEENSK_IJSJ_SJ_EEES6_PlJ7is_evenIsEEEE10hipError_tPvRmT3_T4_T5_T6_T7_T9_mT8_P12ihipStream_tbDpT10_ENKUlT_T0_E_clISt17integral_constantIbLb0EES19_IbLb1EEEEDaS15_S16_EUlS15_E_NS1_11comp_targetILNS1_3genE3ELNS1_11target_archE908ELNS1_3gpuE7ELNS1_3repE0EEENS1_30default_config_static_selectorELNS0_4arch9wavefront6targetE1EEEvT1_
	.globl	_ZN7rocprim17ROCPRIM_400000_NS6detail17trampoline_kernelINS0_14default_configENS1_25partition_config_selectorILNS1_17partition_subalgoE3EsNS0_10empty_typeEbEEZZNS1_14partition_implILS5_3ELb0ES3_jN6thrust23THRUST_200600_302600_NS6detail15normal_iteratorINSA_7pointerIsNSA_11hip_rocprim3tagENSA_11use_defaultESG_EEEEPS6_SJ_NS0_5tupleIJPsSJ_EEENSK_IJSJ_SJ_EEES6_PlJ7is_evenIsEEEE10hipError_tPvRmT3_T4_T5_T6_T7_T9_mT8_P12ihipStream_tbDpT10_ENKUlT_T0_E_clISt17integral_constantIbLb0EES19_IbLb1EEEEDaS15_S16_EUlS15_E_NS1_11comp_targetILNS1_3genE3ELNS1_11target_archE908ELNS1_3gpuE7ELNS1_3repE0EEENS1_30default_config_static_selectorELNS0_4arch9wavefront6targetE1EEEvT1_
	.p2align	8
	.type	_ZN7rocprim17ROCPRIM_400000_NS6detail17trampoline_kernelINS0_14default_configENS1_25partition_config_selectorILNS1_17partition_subalgoE3EsNS0_10empty_typeEbEEZZNS1_14partition_implILS5_3ELb0ES3_jN6thrust23THRUST_200600_302600_NS6detail15normal_iteratorINSA_7pointerIsNSA_11hip_rocprim3tagENSA_11use_defaultESG_EEEEPS6_SJ_NS0_5tupleIJPsSJ_EEENSK_IJSJ_SJ_EEES6_PlJ7is_evenIsEEEE10hipError_tPvRmT3_T4_T5_T6_T7_T9_mT8_P12ihipStream_tbDpT10_ENKUlT_T0_E_clISt17integral_constantIbLb0EES19_IbLb1EEEEDaS15_S16_EUlS15_E_NS1_11comp_targetILNS1_3genE3ELNS1_11target_archE908ELNS1_3gpuE7ELNS1_3repE0EEENS1_30default_config_static_selectorELNS0_4arch9wavefront6targetE1EEEvT1_,@function
_ZN7rocprim17ROCPRIM_400000_NS6detail17trampoline_kernelINS0_14default_configENS1_25partition_config_selectorILNS1_17partition_subalgoE3EsNS0_10empty_typeEbEEZZNS1_14partition_implILS5_3ELb0ES3_jN6thrust23THRUST_200600_302600_NS6detail15normal_iteratorINSA_7pointerIsNSA_11hip_rocprim3tagENSA_11use_defaultESG_EEEEPS6_SJ_NS0_5tupleIJPsSJ_EEENSK_IJSJ_SJ_EEES6_PlJ7is_evenIsEEEE10hipError_tPvRmT3_T4_T5_T6_T7_T9_mT8_P12ihipStream_tbDpT10_ENKUlT_T0_E_clISt17integral_constantIbLb0EES19_IbLb1EEEEDaS15_S16_EUlS15_E_NS1_11comp_targetILNS1_3genE3ELNS1_11target_archE908ELNS1_3gpuE7ELNS1_3repE0EEENS1_30default_config_static_selectorELNS0_4arch9wavefront6targetE1EEEvT1_: ; @_ZN7rocprim17ROCPRIM_400000_NS6detail17trampoline_kernelINS0_14default_configENS1_25partition_config_selectorILNS1_17partition_subalgoE3EsNS0_10empty_typeEbEEZZNS1_14partition_implILS5_3ELb0ES3_jN6thrust23THRUST_200600_302600_NS6detail15normal_iteratorINSA_7pointerIsNSA_11hip_rocprim3tagENSA_11use_defaultESG_EEEEPS6_SJ_NS0_5tupleIJPsSJ_EEENSK_IJSJ_SJ_EEES6_PlJ7is_evenIsEEEE10hipError_tPvRmT3_T4_T5_T6_T7_T9_mT8_P12ihipStream_tbDpT10_ENKUlT_T0_E_clISt17integral_constantIbLb0EES19_IbLb1EEEEDaS15_S16_EUlS15_E_NS1_11comp_targetILNS1_3genE3ELNS1_11target_archE908ELNS1_3gpuE7ELNS1_3repE0EEENS1_30default_config_static_selectorELNS0_4arch9wavefront6targetE1EEEvT1_
; %bb.0:
	.section	.rodata,"a",@progbits
	.p2align	6, 0x0
	.amdhsa_kernel _ZN7rocprim17ROCPRIM_400000_NS6detail17trampoline_kernelINS0_14default_configENS1_25partition_config_selectorILNS1_17partition_subalgoE3EsNS0_10empty_typeEbEEZZNS1_14partition_implILS5_3ELb0ES3_jN6thrust23THRUST_200600_302600_NS6detail15normal_iteratorINSA_7pointerIsNSA_11hip_rocprim3tagENSA_11use_defaultESG_EEEEPS6_SJ_NS0_5tupleIJPsSJ_EEENSK_IJSJ_SJ_EEES6_PlJ7is_evenIsEEEE10hipError_tPvRmT3_T4_T5_T6_T7_T9_mT8_P12ihipStream_tbDpT10_ENKUlT_T0_E_clISt17integral_constantIbLb0EES19_IbLb1EEEEDaS15_S16_EUlS15_E_NS1_11comp_targetILNS1_3genE3ELNS1_11target_archE908ELNS1_3gpuE7ELNS1_3repE0EEENS1_30default_config_static_selectorELNS0_4arch9wavefront6targetE1EEEvT1_
		.amdhsa_group_segment_fixed_size 0
		.amdhsa_private_segment_fixed_size 0
		.amdhsa_kernarg_size 136
		.amdhsa_user_sgpr_count 2
		.amdhsa_user_sgpr_dispatch_ptr 0
		.amdhsa_user_sgpr_queue_ptr 0
		.amdhsa_user_sgpr_kernarg_segment_ptr 1
		.amdhsa_user_sgpr_dispatch_id 0
		.amdhsa_user_sgpr_kernarg_preload_length 0
		.amdhsa_user_sgpr_kernarg_preload_offset 0
		.amdhsa_user_sgpr_private_segment_size 0
		.amdhsa_uses_dynamic_stack 0
		.amdhsa_enable_private_segment 0
		.amdhsa_system_sgpr_workgroup_id_x 1
		.amdhsa_system_sgpr_workgroup_id_y 0
		.amdhsa_system_sgpr_workgroup_id_z 0
		.amdhsa_system_sgpr_workgroup_info 0
		.amdhsa_system_vgpr_workitem_id 0
		.amdhsa_next_free_vgpr 1
		.amdhsa_next_free_sgpr 0
		.amdhsa_accum_offset 4
		.amdhsa_reserve_vcc 0
		.amdhsa_float_round_mode_32 0
		.amdhsa_float_round_mode_16_64 0
		.amdhsa_float_denorm_mode_32 3
		.amdhsa_float_denorm_mode_16_64 3
		.amdhsa_dx10_clamp 1
		.amdhsa_ieee_mode 1
		.amdhsa_fp16_overflow 0
		.amdhsa_tg_split 0
		.amdhsa_exception_fp_ieee_invalid_op 0
		.amdhsa_exception_fp_denorm_src 0
		.amdhsa_exception_fp_ieee_div_zero 0
		.amdhsa_exception_fp_ieee_overflow 0
		.amdhsa_exception_fp_ieee_underflow 0
		.amdhsa_exception_fp_ieee_inexact 0
		.amdhsa_exception_int_div_zero 0
	.end_amdhsa_kernel
	.section	.text._ZN7rocprim17ROCPRIM_400000_NS6detail17trampoline_kernelINS0_14default_configENS1_25partition_config_selectorILNS1_17partition_subalgoE3EsNS0_10empty_typeEbEEZZNS1_14partition_implILS5_3ELb0ES3_jN6thrust23THRUST_200600_302600_NS6detail15normal_iteratorINSA_7pointerIsNSA_11hip_rocprim3tagENSA_11use_defaultESG_EEEEPS6_SJ_NS0_5tupleIJPsSJ_EEENSK_IJSJ_SJ_EEES6_PlJ7is_evenIsEEEE10hipError_tPvRmT3_T4_T5_T6_T7_T9_mT8_P12ihipStream_tbDpT10_ENKUlT_T0_E_clISt17integral_constantIbLb0EES19_IbLb1EEEEDaS15_S16_EUlS15_E_NS1_11comp_targetILNS1_3genE3ELNS1_11target_archE908ELNS1_3gpuE7ELNS1_3repE0EEENS1_30default_config_static_selectorELNS0_4arch9wavefront6targetE1EEEvT1_,"axG",@progbits,_ZN7rocprim17ROCPRIM_400000_NS6detail17trampoline_kernelINS0_14default_configENS1_25partition_config_selectorILNS1_17partition_subalgoE3EsNS0_10empty_typeEbEEZZNS1_14partition_implILS5_3ELb0ES3_jN6thrust23THRUST_200600_302600_NS6detail15normal_iteratorINSA_7pointerIsNSA_11hip_rocprim3tagENSA_11use_defaultESG_EEEEPS6_SJ_NS0_5tupleIJPsSJ_EEENSK_IJSJ_SJ_EEES6_PlJ7is_evenIsEEEE10hipError_tPvRmT3_T4_T5_T6_T7_T9_mT8_P12ihipStream_tbDpT10_ENKUlT_T0_E_clISt17integral_constantIbLb0EES19_IbLb1EEEEDaS15_S16_EUlS15_E_NS1_11comp_targetILNS1_3genE3ELNS1_11target_archE908ELNS1_3gpuE7ELNS1_3repE0EEENS1_30default_config_static_selectorELNS0_4arch9wavefront6targetE1EEEvT1_,comdat
.Lfunc_end167:
	.size	_ZN7rocprim17ROCPRIM_400000_NS6detail17trampoline_kernelINS0_14default_configENS1_25partition_config_selectorILNS1_17partition_subalgoE3EsNS0_10empty_typeEbEEZZNS1_14partition_implILS5_3ELb0ES3_jN6thrust23THRUST_200600_302600_NS6detail15normal_iteratorINSA_7pointerIsNSA_11hip_rocprim3tagENSA_11use_defaultESG_EEEEPS6_SJ_NS0_5tupleIJPsSJ_EEENSK_IJSJ_SJ_EEES6_PlJ7is_evenIsEEEE10hipError_tPvRmT3_T4_T5_T6_T7_T9_mT8_P12ihipStream_tbDpT10_ENKUlT_T0_E_clISt17integral_constantIbLb0EES19_IbLb1EEEEDaS15_S16_EUlS15_E_NS1_11comp_targetILNS1_3genE3ELNS1_11target_archE908ELNS1_3gpuE7ELNS1_3repE0EEENS1_30default_config_static_selectorELNS0_4arch9wavefront6targetE1EEEvT1_, .Lfunc_end167-_ZN7rocprim17ROCPRIM_400000_NS6detail17trampoline_kernelINS0_14default_configENS1_25partition_config_selectorILNS1_17partition_subalgoE3EsNS0_10empty_typeEbEEZZNS1_14partition_implILS5_3ELb0ES3_jN6thrust23THRUST_200600_302600_NS6detail15normal_iteratorINSA_7pointerIsNSA_11hip_rocprim3tagENSA_11use_defaultESG_EEEEPS6_SJ_NS0_5tupleIJPsSJ_EEENSK_IJSJ_SJ_EEES6_PlJ7is_evenIsEEEE10hipError_tPvRmT3_T4_T5_T6_T7_T9_mT8_P12ihipStream_tbDpT10_ENKUlT_T0_E_clISt17integral_constantIbLb0EES19_IbLb1EEEEDaS15_S16_EUlS15_E_NS1_11comp_targetILNS1_3genE3ELNS1_11target_archE908ELNS1_3gpuE7ELNS1_3repE0EEENS1_30default_config_static_selectorELNS0_4arch9wavefront6targetE1EEEvT1_
                                        ; -- End function
	.section	.AMDGPU.csdata,"",@progbits
; Kernel info:
; codeLenInByte = 0
; NumSgprs: 6
; NumVgprs: 0
; NumAgprs: 0
; TotalNumVgprs: 0
; ScratchSize: 0
; MemoryBound: 0
; FloatMode: 240
; IeeeMode: 1
; LDSByteSize: 0 bytes/workgroup (compile time only)
; SGPRBlocks: 0
; VGPRBlocks: 0
; NumSGPRsForWavesPerEU: 6
; NumVGPRsForWavesPerEU: 1
; AccumOffset: 4
; Occupancy: 8
; WaveLimiterHint : 0
; COMPUTE_PGM_RSRC2:SCRATCH_EN: 0
; COMPUTE_PGM_RSRC2:USER_SGPR: 2
; COMPUTE_PGM_RSRC2:TRAP_HANDLER: 0
; COMPUTE_PGM_RSRC2:TGID_X_EN: 1
; COMPUTE_PGM_RSRC2:TGID_Y_EN: 0
; COMPUTE_PGM_RSRC2:TGID_Z_EN: 0
; COMPUTE_PGM_RSRC2:TIDIG_COMP_CNT: 0
; COMPUTE_PGM_RSRC3_GFX90A:ACCUM_OFFSET: 0
; COMPUTE_PGM_RSRC3_GFX90A:TG_SPLIT: 0
	.section	.text._ZN7rocprim17ROCPRIM_400000_NS6detail17trampoline_kernelINS0_14default_configENS1_25partition_config_selectorILNS1_17partition_subalgoE3EsNS0_10empty_typeEbEEZZNS1_14partition_implILS5_3ELb0ES3_jN6thrust23THRUST_200600_302600_NS6detail15normal_iteratorINSA_7pointerIsNSA_11hip_rocprim3tagENSA_11use_defaultESG_EEEEPS6_SJ_NS0_5tupleIJPsSJ_EEENSK_IJSJ_SJ_EEES6_PlJ7is_evenIsEEEE10hipError_tPvRmT3_T4_T5_T6_T7_T9_mT8_P12ihipStream_tbDpT10_ENKUlT_T0_E_clISt17integral_constantIbLb0EES19_IbLb1EEEEDaS15_S16_EUlS15_E_NS1_11comp_targetILNS1_3genE2ELNS1_11target_archE906ELNS1_3gpuE6ELNS1_3repE0EEENS1_30default_config_static_selectorELNS0_4arch9wavefront6targetE1EEEvT1_,"axG",@progbits,_ZN7rocprim17ROCPRIM_400000_NS6detail17trampoline_kernelINS0_14default_configENS1_25partition_config_selectorILNS1_17partition_subalgoE3EsNS0_10empty_typeEbEEZZNS1_14partition_implILS5_3ELb0ES3_jN6thrust23THRUST_200600_302600_NS6detail15normal_iteratorINSA_7pointerIsNSA_11hip_rocprim3tagENSA_11use_defaultESG_EEEEPS6_SJ_NS0_5tupleIJPsSJ_EEENSK_IJSJ_SJ_EEES6_PlJ7is_evenIsEEEE10hipError_tPvRmT3_T4_T5_T6_T7_T9_mT8_P12ihipStream_tbDpT10_ENKUlT_T0_E_clISt17integral_constantIbLb0EES19_IbLb1EEEEDaS15_S16_EUlS15_E_NS1_11comp_targetILNS1_3genE2ELNS1_11target_archE906ELNS1_3gpuE6ELNS1_3repE0EEENS1_30default_config_static_selectorELNS0_4arch9wavefront6targetE1EEEvT1_,comdat
	.protected	_ZN7rocprim17ROCPRIM_400000_NS6detail17trampoline_kernelINS0_14default_configENS1_25partition_config_selectorILNS1_17partition_subalgoE3EsNS0_10empty_typeEbEEZZNS1_14partition_implILS5_3ELb0ES3_jN6thrust23THRUST_200600_302600_NS6detail15normal_iteratorINSA_7pointerIsNSA_11hip_rocprim3tagENSA_11use_defaultESG_EEEEPS6_SJ_NS0_5tupleIJPsSJ_EEENSK_IJSJ_SJ_EEES6_PlJ7is_evenIsEEEE10hipError_tPvRmT3_T4_T5_T6_T7_T9_mT8_P12ihipStream_tbDpT10_ENKUlT_T0_E_clISt17integral_constantIbLb0EES19_IbLb1EEEEDaS15_S16_EUlS15_E_NS1_11comp_targetILNS1_3genE2ELNS1_11target_archE906ELNS1_3gpuE6ELNS1_3repE0EEENS1_30default_config_static_selectorELNS0_4arch9wavefront6targetE1EEEvT1_ ; -- Begin function _ZN7rocprim17ROCPRIM_400000_NS6detail17trampoline_kernelINS0_14default_configENS1_25partition_config_selectorILNS1_17partition_subalgoE3EsNS0_10empty_typeEbEEZZNS1_14partition_implILS5_3ELb0ES3_jN6thrust23THRUST_200600_302600_NS6detail15normal_iteratorINSA_7pointerIsNSA_11hip_rocprim3tagENSA_11use_defaultESG_EEEEPS6_SJ_NS0_5tupleIJPsSJ_EEENSK_IJSJ_SJ_EEES6_PlJ7is_evenIsEEEE10hipError_tPvRmT3_T4_T5_T6_T7_T9_mT8_P12ihipStream_tbDpT10_ENKUlT_T0_E_clISt17integral_constantIbLb0EES19_IbLb1EEEEDaS15_S16_EUlS15_E_NS1_11comp_targetILNS1_3genE2ELNS1_11target_archE906ELNS1_3gpuE6ELNS1_3repE0EEENS1_30default_config_static_selectorELNS0_4arch9wavefront6targetE1EEEvT1_
	.globl	_ZN7rocprim17ROCPRIM_400000_NS6detail17trampoline_kernelINS0_14default_configENS1_25partition_config_selectorILNS1_17partition_subalgoE3EsNS0_10empty_typeEbEEZZNS1_14partition_implILS5_3ELb0ES3_jN6thrust23THRUST_200600_302600_NS6detail15normal_iteratorINSA_7pointerIsNSA_11hip_rocprim3tagENSA_11use_defaultESG_EEEEPS6_SJ_NS0_5tupleIJPsSJ_EEENSK_IJSJ_SJ_EEES6_PlJ7is_evenIsEEEE10hipError_tPvRmT3_T4_T5_T6_T7_T9_mT8_P12ihipStream_tbDpT10_ENKUlT_T0_E_clISt17integral_constantIbLb0EES19_IbLb1EEEEDaS15_S16_EUlS15_E_NS1_11comp_targetILNS1_3genE2ELNS1_11target_archE906ELNS1_3gpuE6ELNS1_3repE0EEENS1_30default_config_static_selectorELNS0_4arch9wavefront6targetE1EEEvT1_
	.p2align	8
	.type	_ZN7rocprim17ROCPRIM_400000_NS6detail17trampoline_kernelINS0_14default_configENS1_25partition_config_selectorILNS1_17partition_subalgoE3EsNS0_10empty_typeEbEEZZNS1_14partition_implILS5_3ELb0ES3_jN6thrust23THRUST_200600_302600_NS6detail15normal_iteratorINSA_7pointerIsNSA_11hip_rocprim3tagENSA_11use_defaultESG_EEEEPS6_SJ_NS0_5tupleIJPsSJ_EEENSK_IJSJ_SJ_EEES6_PlJ7is_evenIsEEEE10hipError_tPvRmT3_T4_T5_T6_T7_T9_mT8_P12ihipStream_tbDpT10_ENKUlT_T0_E_clISt17integral_constantIbLb0EES19_IbLb1EEEEDaS15_S16_EUlS15_E_NS1_11comp_targetILNS1_3genE2ELNS1_11target_archE906ELNS1_3gpuE6ELNS1_3repE0EEENS1_30default_config_static_selectorELNS0_4arch9wavefront6targetE1EEEvT1_,@function
_ZN7rocprim17ROCPRIM_400000_NS6detail17trampoline_kernelINS0_14default_configENS1_25partition_config_selectorILNS1_17partition_subalgoE3EsNS0_10empty_typeEbEEZZNS1_14partition_implILS5_3ELb0ES3_jN6thrust23THRUST_200600_302600_NS6detail15normal_iteratorINSA_7pointerIsNSA_11hip_rocprim3tagENSA_11use_defaultESG_EEEEPS6_SJ_NS0_5tupleIJPsSJ_EEENSK_IJSJ_SJ_EEES6_PlJ7is_evenIsEEEE10hipError_tPvRmT3_T4_T5_T6_T7_T9_mT8_P12ihipStream_tbDpT10_ENKUlT_T0_E_clISt17integral_constantIbLb0EES19_IbLb1EEEEDaS15_S16_EUlS15_E_NS1_11comp_targetILNS1_3genE2ELNS1_11target_archE906ELNS1_3gpuE6ELNS1_3repE0EEENS1_30default_config_static_selectorELNS0_4arch9wavefront6targetE1EEEvT1_: ; @_ZN7rocprim17ROCPRIM_400000_NS6detail17trampoline_kernelINS0_14default_configENS1_25partition_config_selectorILNS1_17partition_subalgoE3EsNS0_10empty_typeEbEEZZNS1_14partition_implILS5_3ELb0ES3_jN6thrust23THRUST_200600_302600_NS6detail15normal_iteratorINSA_7pointerIsNSA_11hip_rocprim3tagENSA_11use_defaultESG_EEEEPS6_SJ_NS0_5tupleIJPsSJ_EEENSK_IJSJ_SJ_EEES6_PlJ7is_evenIsEEEE10hipError_tPvRmT3_T4_T5_T6_T7_T9_mT8_P12ihipStream_tbDpT10_ENKUlT_T0_E_clISt17integral_constantIbLb0EES19_IbLb1EEEEDaS15_S16_EUlS15_E_NS1_11comp_targetILNS1_3genE2ELNS1_11target_archE906ELNS1_3gpuE6ELNS1_3repE0EEENS1_30default_config_static_selectorELNS0_4arch9wavefront6targetE1EEEvT1_
; %bb.0:
	.section	.rodata,"a",@progbits
	.p2align	6, 0x0
	.amdhsa_kernel _ZN7rocprim17ROCPRIM_400000_NS6detail17trampoline_kernelINS0_14default_configENS1_25partition_config_selectorILNS1_17partition_subalgoE3EsNS0_10empty_typeEbEEZZNS1_14partition_implILS5_3ELb0ES3_jN6thrust23THRUST_200600_302600_NS6detail15normal_iteratorINSA_7pointerIsNSA_11hip_rocprim3tagENSA_11use_defaultESG_EEEEPS6_SJ_NS0_5tupleIJPsSJ_EEENSK_IJSJ_SJ_EEES6_PlJ7is_evenIsEEEE10hipError_tPvRmT3_T4_T5_T6_T7_T9_mT8_P12ihipStream_tbDpT10_ENKUlT_T0_E_clISt17integral_constantIbLb0EES19_IbLb1EEEEDaS15_S16_EUlS15_E_NS1_11comp_targetILNS1_3genE2ELNS1_11target_archE906ELNS1_3gpuE6ELNS1_3repE0EEENS1_30default_config_static_selectorELNS0_4arch9wavefront6targetE1EEEvT1_
		.amdhsa_group_segment_fixed_size 0
		.amdhsa_private_segment_fixed_size 0
		.amdhsa_kernarg_size 136
		.amdhsa_user_sgpr_count 2
		.amdhsa_user_sgpr_dispatch_ptr 0
		.amdhsa_user_sgpr_queue_ptr 0
		.amdhsa_user_sgpr_kernarg_segment_ptr 1
		.amdhsa_user_sgpr_dispatch_id 0
		.amdhsa_user_sgpr_kernarg_preload_length 0
		.amdhsa_user_sgpr_kernarg_preload_offset 0
		.amdhsa_user_sgpr_private_segment_size 0
		.amdhsa_uses_dynamic_stack 0
		.amdhsa_enable_private_segment 0
		.amdhsa_system_sgpr_workgroup_id_x 1
		.amdhsa_system_sgpr_workgroup_id_y 0
		.amdhsa_system_sgpr_workgroup_id_z 0
		.amdhsa_system_sgpr_workgroup_info 0
		.amdhsa_system_vgpr_workitem_id 0
		.amdhsa_next_free_vgpr 1
		.amdhsa_next_free_sgpr 0
		.amdhsa_accum_offset 4
		.amdhsa_reserve_vcc 0
		.amdhsa_float_round_mode_32 0
		.amdhsa_float_round_mode_16_64 0
		.amdhsa_float_denorm_mode_32 3
		.amdhsa_float_denorm_mode_16_64 3
		.amdhsa_dx10_clamp 1
		.amdhsa_ieee_mode 1
		.amdhsa_fp16_overflow 0
		.amdhsa_tg_split 0
		.amdhsa_exception_fp_ieee_invalid_op 0
		.amdhsa_exception_fp_denorm_src 0
		.amdhsa_exception_fp_ieee_div_zero 0
		.amdhsa_exception_fp_ieee_overflow 0
		.amdhsa_exception_fp_ieee_underflow 0
		.amdhsa_exception_fp_ieee_inexact 0
		.amdhsa_exception_int_div_zero 0
	.end_amdhsa_kernel
	.section	.text._ZN7rocprim17ROCPRIM_400000_NS6detail17trampoline_kernelINS0_14default_configENS1_25partition_config_selectorILNS1_17partition_subalgoE3EsNS0_10empty_typeEbEEZZNS1_14partition_implILS5_3ELb0ES3_jN6thrust23THRUST_200600_302600_NS6detail15normal_iteratorINSA_7pointerIsNSA_11hip_rocprim3tagENSA_11use_defaultESG_EEEEPS6_SJ_NS0_5tupleIJPsSJ_EEENSK_IJSJ_SJ_EEES6_PlJ7is_evenIsEEEE10hipError_tPvRmT3_T4_T5_T6_T7_T9_mT8_P12ihipStream_tbDpT10_ENKUlT_T0_E_clISt17integral_constantIbLb0EES19_IbLb1EEEEDaS15_S16_EUlS15_E_NS1_11comp_targetILNS1_3genE2ELNS1_11target_archE906ELNS1_3gpuE6ELNS1_3repE0EEENS1_30default_config_static_selectorELNS0_4arch9wavefront6targetE1EEEvT1_,"axG",@progbits,_ZN7rocprim17ROCPRIM_400000_NS6detail17trampoline_kernelINS0_14default_configENS1_25partition_config_selectorILNS1_17partition_subalgoE3EsNS0_10empty_typeEbEEZZNS1_14partition_implILS5_3ELb0ES3_jN6thrust23THRUST_200600_302600_NS6detail15normal_iteratorINSA_7pointerIsNSA_11hip_rocprim3tagENSA_11use_defaultESG_EEEEPS6_SJ_NS0_5tupleIJPsSJ_EEENSK_IJSJ_SJ_EEES6_PlJ7is_evenIsEEEE10hipError_tPvRmT3_T4_T5_T6_T7_T9_mT8_P12ihipStream_tbDpT10_ENKUlT_T0_E_clISt17integral_constantIbLb0EES19_IbLb1EEEEDaS15_S16_EUlS15_E_NS1_11comp_targetILNS1_3genE2ELNS1_11target_archE906ELNS1_3gpuE6ELNS1_3repE0EEENS1_30default_config_static_selectorELNS0_4arch9wavefront6targetE1EEEvT1_,comdat
.Lfunc_end168:
	.size	_ZN7rocprim17ROCPRIM_400000_NS6detail17trampoline_kernelINS0_14default_configENS1_25partition_config_selectorILNS1_17partition_subalgoE3EsNS0_10empty_typeEbEEZZNS1_14partition_implILS5_3ELb0ES3_jN6thrust23THRUST_200600_302600_NS6detail15normal_iteratorINSA_7pointerIsNSA_11hip_rocprim3tagENSA_11use_defaultESG_EEEEPS6_SJ_NS0_5tupleIJPsSJ_EEENSK_IJSJ_SJ_EEES6_PlJ7is_evenIsEEEE10hipError_tPvRmT3_T4_T5_T6_T7_T9_mT8_P12ihipStream_tbDpT10_ENKUlT_T0_E_clISt17integral_constantIbLb0EES19_IbLb1EEEEDaS15_S16_EUlS15_E_NS1_11comp_targetILNS1_3genE2ELNS1_11target_archE906ELNS1_3gpuE6ELNS1_3repE0EEENS1_30default_config_static_selectorELNS0_4arch9wavefront6targetE1EEEvT1_, .Lfunc_end168-_ZN7rocprim17ROCPRIM_400000_NS6detail17trampoline_kernelINS0_14default_configENS1_25partition_config_selectorILNS1_17partition_subalgoE3EsNS0_10empty_typeEbEEZZNS1_14partition_implILS5_3ELb0ES3_jN6thrust23THRUST_200600_302600_NS6detail15normal_iteratorINSA_7pointerIsNSA_11hip_rocprim3tagENSA_11use_defaultESG_EEEEPS6_SJ_NS0_5tupleIJPsSJ_EEENSK_IJSJ_SJ_EEES6_PlJ7is_evenIsEEEE10hipError_tPvRmT3_T4_T5_T6_T7_T9_mT8_P12ihipStream_tbDpT10_ENKUlT_T0_E_clISt17integral_constantIbLb0EES19_IbLb1EEEEDaS15_S16_EUlS15_E_NS1_11comp_targetILNS1_3genE2ELNS1_11target_archE906ELNS1_3gpuE6ELNS1_3repE0EEENS1_30default_config_static_selectorELNS0_4arch9wavefront6targetE1EEEvT1_
                                        ; -- End function
	.section	.AMDGPU.csdata,"",@progbits
; Kernel info:
; codeLenInByte = 0
; NumSgprs: 6
; NumVgprs: 0
; NumAgprs: 0
; TotalNumVgprs: 0
; ScratchSize: 0
; MemoryBound: 0
; FloatMode: 240
; IeeeMode: 1
; LDSByteSize: 0 bytes/workgroup (compile time only)
; SGPRBlocks: 0
; VGPRBlocks: 0
; NumSGPRsForWavesPerEU: 6
; NumVGPRsForWavesPerEU: 1
; AccumOffset: 4
; Occupancy: 8
; WaveLimiterHint : 0
; COMPUTE_PGM_RSRC2:SCRATCH_EN: 0
; COMPUTE_PGM_RSRC2:USER_SGPR: 2
; COMPUTE_PGM_RSRC2:TRAP_HANDLER: 0
; COMPUTE_PGM_RSRC2:TGID_X_EN: 1
; COMPUTE_PGM_RSRC2:TGID_Y_EN: 0
; COMPUTE_PGM_RSRC2:TGID_Z_EN: 0
; COMPUTE_PGM_RSRC2:TIDIG_COMP_CNT: 0
; COMPUTE_PGM_RSRC3_GFX90A:ACCUM_OFFSET: 0
; COMPUTE_PGM_RSRC3_GFX90A:TG_SPLIT: 0
	.section	.text._ZN7rocprim17ROCPRIM_400000_NS6detail17trampoline_kernelINS0_14default_configENS1_25partition_config_selectorILNS1_17partition_subalgoE3EsNS0_10empty_typeEbEEZZNS1_14partition_implILS5_3ELb0ES3_jN6thrust23THRUST_200600_302600_NS6detail15normal_iteratorINSA_7pointerIsNSA_11hip_rocprim3tagENSA_11use_defaultESG_EEEEPS6_SJ_NS0_5tupleIJPsSJ_EEENSK_IJSJ_SJ_EEES6_PlJ7is_evenIsEEEE10hipError_tPvRmT3_T4_T5_T6_T7_T9_mT8_P12ihipStream_tbDpT10_ENKUlT_T0_E_clISt17integral_constantIbLb0EES19_IbLb1EEEEDaS15_S16_EUlS15_E_NS1_11comp_targetILNS1_3genE10ELNS1_11target_archE1200ELNS1_3gpuE4ELNS1_3repE0EEENS1_30default_config_static_selectorELNS0_4arch9wavefront6targetE1EEEvT1_,"axG",@progbits,_ZN7rocprim17ROCPRIM_400000_NS6detail17trampoline_kernelINS0_14default_configENS1_25partition_config_selectorILNS1_17partition_subalgoE3EsNS0_10empty_typeEbEEZZNS1_14partition_implILS5_3ELb0ES3_jN6thrust23THRUST_200600_302600_NS6detail15normal_iteratorINSA_7pointerIsNSA_11hip_rocprim3tagENSA_11use_defaultESG_EEEEPS6_SJ_NS0_5tupleIJPsSJ_EEENSK_IJSJ_SJ_EEES6_PlJ7is_evenIsEEEE10hipError_tPvRmT3_T4_T5_T6_T7_T9_mT8_P12ihipStream_tbDpT10_ENKUlT_T0_E_clISt17integral_constantIbLb0EES19_IbLb1EEEEDaS15_S16_EUlS15_E_NS1_11comp_targetILNS1_3genE10ELNS1_11target_archE1200ELNS1_3gpuE4ELNS1_3repE0EEENS1_30default_config_static_selectorELNS0_4arch9wavefront6targetE1EEEvT1_,comdat
	.protected	_ZN7rocprim17ROCPRIM_400000_NS6detail17trampoline_kernelINS0_14default_configENS1_25partition_config_selectorILNS1_17partition_subalgoE3EsNS0_10empty_typeEbEEZZNS1_14partition_implILS5_3ELb0ES3_jN6thrust23THRUST_200600_302600_NS6detail15normal_iteratorINSA_7pointerIsNSA_11hip_rocprim3tagENSA_11use_defaultESG_EEEEPS6_SJ_NS0_5tupleIJPsSJ_EEENSK_IJSJ_SJ_EEES6_PlJ7is_evenIsEEEE10hipError_tPvRmT3_T4_T5_T6_T7_T9_mT8_P12ihipStream_tbDpT10_ENKUlT_T0_E_clISt17integral_constantIbLb0EES19_IbLb1EEEEDaS15_S16_EUlS15_E_NS1_11comp_targetILNS1_3genE10ELNS1_11target_archE1200ELNS1_3gpuE4ELNS1_3repE0EEENS1_30default_config_static_selectorELNS0_4arch9wavefront6targetE1EEEvT1_ ; -- Begin function _ZN7rocprim17ROCPRIM_400000_NS6detail17trampoline_kernelINS0_14default_configENS1_25partition_config_selectorILNS1_17partition_subalgoE3EsNS0_10empty_typeEbEEZZNS1_14partition_implILS5_3ELb0ES3_jN6thrust23THRUST_200600_302600_NS6detail15normal_iteratorINSA_7pointerIsNSA_11hip_rocprim3tagENSA_11use_defaultESG_EEEEPS6_SJ_NS0_5tupleIJPsSJ_EEENSK_IJSJ_SJ_EEES6_PlJ7is_evenIsEEEE10hipError_tPvRmT3_T4_T5_T6_T7_T9_mT8_P12ihipStream_tbDpT10_ENKUlT_T0_E_clISt17integral_constantIbLb0EES19_IbLb1EEEEDaS15_S16_EUlS15_E_NS1_11comp_targetILNS1_3genE10ELNS1_11target_archE1200ELNS1_3gpuE4ELNS1_3repE0EEENS1_30default_config_static_selectorELNS0_4arch9wavefront6targetE1EEEvT1_
	.globl	_ZN7rocprim17ROCPRIM_400000_NS6detail17trampoline_kernelINS0_14default_configENS1_25partition_config_selectorILNS1_17partition_subalgoE3EsNS0_10empty_typeEbEEZZNS1_14partition_implILS5_3ELb0ES3_jN6thrust23THRUST_200600_302600_NS6detail15normal_iteratorINSA_7pointerIsNSA_11hip_rocprim3tagENSA_11use_defaultESG_EEEEPS6_SJ_NS0_5tupleIJPsSJ_EEENSK_IJSJ_SJ_EEES6_PlJ7is_evenIsEEEE10hipError_tPvRmT3_T4_T5_T6_T7_T9_mT8_P12ihipStream_tbDpT10_ENKUlT_T0_E_clISt17integral_constantIbLb0EES19_IbLb1EEEEDaS15_S16_EUlS15_E_NS1_11comp_targetILNS1_3genE10ELNS1_11target_archE1200ELNS1_3gpuE4ELNS1_3repE0EEENS1_30default_config_static_selectorELNS0_4arch9wavefront6targetE1EEEvT1_
	.p2align	8
	.type	_ZN7rocprim17ROCPRIM_400000_NS6detail17trampoline_kernelINS0_14default_configENS1_25partition_config_selectorILNS1_17partition_subalgoE3EsNS0_10empty_typeEbEEZZNS1_14partition_implILS5_3ELb0ES3_jN6thrust23THRUST_200600_302600_NS6detail15normal_iteratorINSA_7pointerIsNSA_11hip_rocprim3tagENSA_11use_defaultESG_EEEEPS6_SJ_NS0_5tupleIJPsSJ_EEENSK_IJSJ_SJ_EEES6_PlJ7is_evenIsEEEE10hipError_tPvRmT3_T4_T5_T6_T7_T9_mT8_P12ihipStream_tbDpT10_ENKUlT_T0_E_clISt17integral_constantIbLb0EES19_IbLb1EEEEDaS15_S16_EUlS15_E_NS1_11comp_targetILNS1_3genE10ELNS1_11target_archE1200ELNS1_3gpuE4ELNS1_3repE0EEENS1_30default_config_static_selectorELNS0_4arch9wavefront6targetE1EEEvT1_,@function
_ZN7rocprim17ROCPRIM_400000_NS6detail17trampoline_kernelINS0_14default_configENS1_25partition_config_selectorILNS1_17partition_subalgoE3EsNS0_10empty_typeEbEEZZNS1_14partition_implILS5_3ELb0ES3_jN6thrust23THRUST_200600_302600_NS6detail15normal_iteratorINSA_7pointerIsNSA_11hip_rocprim3tagENSA_11use_defaultESG_EEEEPS6_SJ_NS0_5tupleIJPsSJ_EEENSK_IJSJ_SJ_EEES6_PlJ7is_evenIsEEEE10hipError_tPvRmT3_T4_T5_T6_T7_T9_mT8_P12ihipStream_tbDpT10_ENKUlT_T0_E_clISt17integral_constantIbLb0EES19_IbLb1EEEEDaS15_S16_EUlS15_E_NS1_11comp_targetILNS1_3genE10ELNS1_11target_archE1200ELNS1_3gpuE4ELNS1_3repE0EEENS1_30default_config_static_selectorELNS0_4arch9wavefront6targetE1EEEvT1_: ; @_ZN7rocprim17ROCPRIM_400000_NS6detail17trampoline_kernelINS0_14default_configENS1_25partition_config_selectorILNS1_17partition_subalgoE3EsNS0_10empty_typeEbEEZZNS1_14partition_implILS5_3ELb0ES3_jN6thrust23THRUST_200600_302600_NS6detail15normal_iteratorINSA_7pointerIsNSA_11hip_rocprim3tagENSA_11use_defaultESG_EEEEPS6_SJ_NS0_5tupleIJPsSJ_EEENSK_IJSJ_SJ_EEES6_PlJ7is_evenIsEEEE10hipError_tPvRmT3_T4_T5_T6_T7_T9_mT8_P12ihipStream_tbDpT10_ENKUlT_T0_E_clISt17integral_constantIbLb0EES19_IbLb1EEEEDaS15_S16_EUlS15_E_NS1_11comp_targetILNS1_3genE10ELNS1_11target_archE1200ELNS1_3gpuE4ELNS1_3repE0EEENS1_30default_config_static_selectorELNS0_4arch9wavefront6targetE1EEEvT1_
; %bb.0:
	.section	.rodata,"a",@progbits
	.p2align	6, 0x0
	.amdhsa_kernel _ZN7rocprim17ROCPRIM_400000_NS6detail17trampoline_kernelINS0_14default_configENS1_25partition_config_selectorILNS1_17partition_subalgoE3EsNS0_10empty_typeEbEEZZNS1_14partition_implILS5_3ELb0ES3_jN6thrust23THRUST_200600_302600_NS6detail15normal_iteratorINSA_7pointerIsNSA_11hip_rocprim3tagENSA_11use_defaultESG_EEEEPS6_SJ_NS0_5tupleIJPsSJ_EEENSK_IJSJ_SJ_EEES6_PlJ7is_evenIsEEEE10hipError_tPvRmT3_T4_T5_T6_T7_T9_mT8_P12ihipStream_tbDpT10_ENKUlT_T0_E_clISt17integral_constantIbLb0EES19_IbLb1EEEEDaS15_S16_EUlS15_E_NS1_11comp_targetILNS1_3genE10ELNS1_11target_archE1200ELNS1_3gpuE4ELNS1_3repE0EEENS1_30default_config_static_selectorELNS0_4arch9wavefront6targetE1EEEvT1_
		.amdhsa_group_segment_fixed_size 0
		.amdhsa_private_segment_fixed_size 0
		.amdhsa_kernarg_size 136
		.amdhsa_user_sgpr_count 2
		.amdhsa_user_sgpr_dispatch_ptr 0
		.amdhsa_user_sgpr_queue_ptr 0
		.amdhsa_user_sgpr_kernarg_segment_ptr 1
		.amdhsa_user_sgpr_dispatch_id 0
		.amdhsa_user_sgpr_kernarg_preload_length 0
		.amdhsa_user_sgpr_kernarg_preload_offset 0
		.amdhsa_user_sgpr_private_segment_size 0
		.amdhsa_uses_dynamic_stack 0
		.amdhsa_enable_private_segment 0
		.amdhsa_system_sgpr_workgroup_id_x 1
		.amdhsa_system_sgpr_workgroup_id_y 0
		.amdhsa_system_sgpr_workgroup_id_z 0
		.amdhsa_system_sgpr_workgroup_info 0
		.amdhsa_system_vgpr_workitem_id 0
		.amdhsa_next_free_vgpr 1
		.amdhsa_next_free_sgpr 0
		.amdhsa_accum_offset 4
		.amdhsa_reserve_vcc 0
		.amdhsa_float_round_mode_32 0
		.amdhsa_float_round_mode_16_64 0
		.amdhsa_float_denorm_mode_32 3
		.amdhsa_float_denorm_mode_16_64 3
		.amdhsa_dx10_clamp 1
		.amdhsa_ieee_mode 1
		.amdhsa_fp16_overflow 0
		.amdhsa_tg_split 0
		.amdhsa_exception_fp_ieee_invalid_op 0
		.amdhsa_exception_fp_denorm_src 0
		.amdhsa_exception_fp_ieee_div_zero 0
		.amdhsa_exception_fp_ieee_overflow 0
		.amdhsa_exception_fp_ieee_underflow 0
		.amdhsa_exception_fp_ieee_inexact 0
		.amdhsa_exception_int_div_zero 0
	.end_amdhsa_kernel
	.section	.text._ZN7rocprim17ROCPRIM_400000_NS6detail17trampoline_kernelINS0_14default_configENS1_25partition_config_selectorILNS1_17partition_subalgoE3EsNS0_10empty_typeEbEEZZNS1_14partition_implILS5_3ELb0ES3_jN6thrust23THRUST_200600_302600_NS6detail15normal_iteratorINSA_7pointerIsNSA_11hip_rocprim3tagENSA_11use_defaultESG_EEEEPS6_SJ_NS0_5tupleIJPsSJ_EEENSK_IJSJ_SJ_EEES6_PlJ7is_evenIsEEEE10hipError_tPvRmT3_T4_T5_T6_T7_T9_mT8_P12ihipStream_tbDpT10_ENKUlT_T0_E_clISt17integral_constantIbLb0EES19_IbLb1EEEEDaS15_S16_EUlS15_E_NS1_11comp_targetILNS1_3genE10ELNS1_11target_archE1200ELNS1_3gpuE4ELNS1_3repE0EEENS1_30default_config_static_selectorELNS0_4arch9wavefront6targetE1EEEvT1_,"axG",@progbits,_ZN7rocprim17ROCPRIM_400000_NS6detail17trampoline_kernelINS0_14default_configENS1_25partition_config_selectorILNS1_17partition_subalgoE3EsNS0_10empty_typeEbEEZZNS1_14partition_implILS5_3ELb0ES3_jN6thrust23THRUST_200600_302600_NS6detail15normal_iteratorINSA_7pointerIsNSA_11hip_rocprim3tagENSA_11use_defaultESG_EEEEPS6_SJ_NS0_5tupleIJPsSJ_EEENSK_IJSJ_SJ_EEES6_PlJ7is_evenIsEEEE10hipError_tPvRmT3_T4_T5_T6_T7_T9_mT8_P12ihipStream_tbDpT10_ENKUlT_T0_E_clISt17integral_constantIbLb0EES19_IbLb1EEEEDaS15_S16_EUlS15_E_NS1_11comp_targetILNS1_3genE10ELNS1_11target_archE1200ELNS1_3gpuE4ELNS1_3repE0EEENS1_30default_config_static_selectorELNS0_4arch9wavefront6targetE1EEEvT1_,comdat
.Lfunc_end169:
	.size	_ZN7rocprim17ROCPRIM_400000_NS6detail17trampoline_kernelINS0_14default_configENS1_25partition_config_selectorILNS1_17partition_subalgoE3EsNS0_10empty_typeEbEEZZNS1_14partition_implILS5_3ELb0ES3_jN6thrust23THRUST_200600_302600_NS6detail15normal_iteratorINSA_7pointerIsNSA_11hip_rocprim3tagENSA_11use_defaultESG_EEEEPS6_SJ_NS0_5tupleIJPsSJ_EEENSK_IJSJ_SJ_EEES6_PlJ7is_evenIsEEEE10hipError_tPvRmT3_T4_T5_T6_T7_T9_mT8_P12ihipStream_tbDpT10_ENKUlT_T0_E_clISt17integral_constantIbLb0EES19_IbLb1EEEEDaS15_S16_EUlS15_E_NS1_11comp_targetILNS1_3genE10ELNS1_11target_archE1200ELNS1_3gpuE4ELNS1_3repE0EEENS1_30default_config_static_selectorELNS0_4arch9wavefront6targetE1EEEvT1_, .Lfunc_end169-_ZN7rocprim17ROCPRIM_400000_NS6detail17trampoline_kernelINS0_14default_configENS1_25partition_config_selectorILNS1_17partition_subalgoE3EsNS0_10empty_typeEbEEZZNS1_14partition_implILS5_3ELb0ES3_jN6thrust23THRUST_200600_302600_NS6detail15normal_iteratorINSA_7pointerIsNSA_11hip_rocprim3tagENSA_11use_defaultESG_EEEEPS6_SJ_NS0_5tupleIJPsSJ_EEENSK_IJSJ_SJ_EEES6_PlJ7is_evenIsEEEE10hipError_tPvRmT3_T4_T5_T6_T7_T9_mT8_P12ihipStream_tbDpT10_ENKUlT_T0_E_clISt17integral_constantIbLb0EES19_IbLb1EEEEDaS15_S16_EUlS15_E_NS1_11comp_targetILNS1_3genE10ELNS1_11target_archE1200ELNS1_3gpuE4ELNS1_3repE0EEENS1_30default_config_static_selectorELNS0_4arch9wavefront6targetE1EEEvT1_
                                        ; -- End function
	.section	.AMDGPU.csdata,"",@progbits
; Kernel info:
; codeLenInByte = 0
; NumSgprs: 6
; NumVgprs: 0
; NumAgprs: 0
; TotalNumVgprs: 0
; ScratchSize: 0
; MemoryBound: 0
; FloatMode: 240
; IeeeMode: 1
; LDSByteSize: 0 bytes/workgroup (compile time only)
; SGPRBlocks: 0
; VGPRBlocks: 0
; NumSGPRsForWavesPerEU: 6
; NumVGPRsForWavesPerEU: 1
; AccumOffset: 4
; Occupancy: 8
; WaveLimiterHint : 0
; COMPUTE_PGM_RSRC2:SCRATCH_EN: 0
; COMPUTE_PGM_RSRC2:USER_SGPR: 2
; COMPUTE_PGM_RSRC2:TRAP_HANDLER: 0
; COMPUTE_PGM_RSRC2:TGID_X_EN: 1
; COMPUTE_PGM_RSRC2:TGID_Y_EN: 0
; COMPUTE_PGM_RSRC2:TGID_Z_EN: 0
; COMPUTE_PGM_RSRC2:TIDIG_COMP_CNT: 0
; COMPUTE_PGM_RSRC3_GFX90A:ACCUM_OFFSET: 0
; COMPUTE_PGM_RSRC3_GFX90A:TG_SPLIT: 0
	.section	.text._ZN7rocprim17ROCPRIM_400000_NS6detail17trampoline_kernelINS0_14default_configENS1_25partition_config_selectorILNS1_17partition_subalgoE3EsNS0_10empty_typeEbEEZZNS1_14partition_implILS5_3ELb0ES3_jN6thrust23THRUST_200600_302600_NS6detail15normal_iteratorINSA_7pointerIsNSA_11hip_rocprim3tagENSA_11use_defaultESG_EEEEPS6_SJ_NS0_5tupleIJPsSJ_EEENSK_IJSJ_SJ_EEES6_PlJ7is_evenIsEEEE10hipError_tPvRmT3_T4_T5_T6_T7_T9_mT8_P12ihipStream_tbDpT10_ENKUlT_T0_E_clISt17integral_constantIbLb0EES19_IbLb1EEEEDaS15_S16_EUlS15_E_NS1_11comp_targetILNS1_3genE9ELNS1_11target_archE1100ELNS1_3gpuE3ELNS1_3repE0EEENS1_30default_config_static_selectorELNS0_4arch9wavefront6targetE1EEEvT1_,"axG",@progbits,_ZN7rocprim17ROCPRIM_400000_NS6detail17trampoline_kernelINS0_14default_configENS1_25partition_config_selectorILNS1_17partition_subalgoE3EsNS0_10empty_typeEbEEZZNS1_14partition_implILS5_3ELb0ES3_jN6thrust23THRUST_200600_302600_NS6detail15normal_iteratorINSA_7pointerIsNSA_11hip_rocprim3tagENSA_11use_defaultESG_EEEEPS6_SJ_NS0_5tupleIJPsSJ_EEENSK_IJSJ_SJ_EEES6_PlJ7is_evenIsEEEE10hipError_tPvRmT3_T4_T5_T6_T7_T9_mT8_P12ihipStream_tbDpT10_ENKUlT_T0_E_clISt17integral_constantIbLb0EES19_IbLb1EEEEDaS15_S16_EUlS15_E_NS1_11comp_targetILNS1_3genE9ELNS1_11target_archE1100ELNS1_3gpuE3ELNS1_3repE0EEENS1_30default_config_static_selectorELNS0_4arch9wavefront6targetE1EEEvT1_,comdat
	.protected	_ZN7rocprim17ROCPRIM_400000_NS6detail17trampoline_kernelINS0_14default_configENS1_25partition_config_selectorILNS1_17partition_subalgoE3EsNS0_10empty_typeEbEEZZNS1_14partition_implILS5_3ELb0ES3_jN6thrust23THRUST_200600_302600_NS6detail15normal_iteratorINSA_7pointerIsNSA_11hip_rocprim3tagENSA_11use_defaultESG_EEEEPS6_SJ_NS0_5tupleIJPsSJ_EEENSK_IJSJ_SJ_EEES6_PlJ7is_evenIsEEEE10hipError_tPvRmT3_T4_T5_T6_T7_T9_mT8_P12ihipStream_tbDpT10_ENKUlT_T0_E_clISt17integral_constantIbLb0EES19_IbLb1EEEEDaS15_S16_EUlS15_E_NS1_11comp_targetILNS1_3genE9ELNS1_11target_archE1100ELNS1_3gpuE3ELNS1_3repE0EEENS1_30default_config_static_selectorELNS0_4arch9wavefront6targetE1EEEvT1_ ; -- Begin function _ZN7rocprim17ROCPRIM_400000_NS6detail17trampoline_kernelINS0_14default_configENS1_25partition_config_selectorILNS1_17partition_subalgoE3EsNS0_10empty_typeEbEEZZNS1_14partition_implILS5_3ELb0ES3_jN6thrust23THRUST_200600_302600_NS6detail15normal_iteratorINSA_7pointerIsNSA_11hip_rocprim3tagENSA_11use_defaultESG_EEEEPS6_SJ_NS0_5tupleIJPsSJ_EEENSK_IJSJ_SJ_EEES6_PlJ7is_evenIsEEEE10hipError_tPvRmT3_T4_T5_T6_T7_T9_mT8_P12ihipStream_tbDpT10_ENKUlT_T0_E_clISt17integral_constantIbLb0EES19_IbLb1EEEEDaS15_S16_EUlS15_E_NS1_11comp_targetILNS1_3genE9ELNS1_11target_archE1100ELNS1_3gpuE3ELNS1_3repE0EEENS1_30default_config_static_selectorELNS0_4arch9wavefront6targetE1EEEvT1_
	.globl	_ZN7rocprim17ROCPRIM_400000_NS6detail17trampoline_kernelINS0_14default_configENS1_25partition_config_selectorILNS1_17partition_subalgoE3EsNS0_10empty_typeEbEEZZNS1_14partition_implILS5_3ELb0ES3_jN6thrust23THRUST_200600_302600_NS6detail15normal_iteratorINSA_7pointerIsNSA_11hip_rocprim3tagENSA_11use_defaultESG_EEEEPS6_SJ_NS0_5tupleIJPsSJ_EEENSK_IJSJ_SJ_EEES6_PlJ7is_evenIsEEEE10hipError_tPvRmT3_T4_T5_T6_T7_T9_mT8_P12ihipStream_tbDpT10_ENKUlT_T0_E_clISt17integral_constantIbLb0EES19_IbLb1EEEEDaS15_S16_EUlS15_E_NS1_11comp_targetILNS1_3genE9ELNS1_11target_archE1100ELNS1_3gpuE3ELNS1_3repE0EEENS1_30default_config_static_selectorELNS0_4arch9wavefront6targetE1EEEvT1_
	.p2align	8
	.type	_ZN7rocprim17ROCPRIM_400000_NS6detail17trampoline_kernelINS0_14default_configENS1_25partition_config_selectorILNS1_17partition_subalgoE3EsNS0_10empty_typeEbEEZZNS1_14partition_implILS5_3ELb0ES3_jN6thrust23THRUST_200600_302600_NS6detail15normal_iteratorINSA_7pointerIsNSA_11hip_rocprim3tagENSA_11use_defaultESG_EEEEPS6_SJ_NS0_5tupleIJPsSJ_EEENSK_IJSJ_SJ_EEES6_PlJ7is_evenIsEEEE10hipError_tPvRmT3_T4_T5_T6_T7_T9_mT8_P12ihipStream_tbDpT10_ENKUlT_T0_E_clISt17integral_constantIbLb0EES19_IbLb1EEEEDaS15_S16_EUlS15_E_NS1_11comp_targetILNS1_3genE9ELNS1_11target_archE1100ELNS1_3gpuE3ELNS1_3repE0EEENS1_30default_config_static_selectorELNS0_4arch9wavefront6targetE1EEEvT1_,@function
_ZN7rocprim17ROCPRIM_400000_NS6detail17trampoline_kernelINS0_14default_configENS1_25partition_config_selectorILNS1_17partition_subalgoE3EsNS0_10empty_typeEbEEZZNS1_14partition_implILS5_3ELb0ES3_jN6thrust23THRUST_200600_302600_NS6detail15normal_iteratorINSA_7pointerIsNSA_11hip_rocprim3tagENSA_11use_defaultESG_EEEEPS6_SJ_NS0_5tupleIJPsSJ_EEENSK_IJSJ_SJ_EEES6_PlJ7is_evenIsEEEE10hipError_tPvRmT3_T4_T5_T6_T7_T9_mT8_P12ihipStream_tbDpT10_ENKUlT_T0_E_clISt17integral_constantIbLb0EES19_IbLb1EEEEDaS15_S16_EUlS15_E_NS1_11comp_targetILNS1_3genE9ELNS1_11target_archE1100ELNS1_3gpuE3ELNS1_3repE0EEENS1_30default_config_static_selectorELNS0_4arch9wavefront6targetE1EEEvT1_: ; @_ZN7rocprim17ROCPRIM_400000_NS6detail17trampoline_kernelINS0_14default_configENS1_25partition_config_selectorILNS1_17partition_subalgoE3EsNS0_10empty_typeEbEEZZNS1_14partition_implILS5_3ELb0ES3_jN6thrust23THRUST_200600_302600_NS6detail15normal_iteratorINSA_7pointerIsNSA_11hip_rocprim3tagENSA_11use_defaultESG_EEEEPS6_SJ_NS0_5tupleIJPsSJ_EEENSK_IJSJ_SJ_EEES6_PlJ7is_evenIsEEEE10hipError_tPvRmT3_T4_T5_T6_T7_T9_mT8_P12ihipStream_tbDpT10_ENKUlT_T0_E_clISt17integral_constantIbLb0EES19_IbLb1EEEEDaS15_S16_EUlS15_E_NS1_11comp_targetILNS1_3genE9ELNS1_11target_archE1100ELNS1_3gpuE3ELNS1_3repE0EEENS1_30default_config_static_selectorELNS0_4arch9wavefront6targetE1EEEvT1_
; %bb.0:
	.section	.rodata,"a",@progbits
	.p2align	6, 0x0
	.amdhsa_kernel _ZN7rocprim17ROCPRIM_400000_NS6detail17trampoline_kernelINS0_14default_configENS1_25partition_config_selectorILNS1_17partition_subalgoE3EsNS0_10empty_typeEbEEZZNS1_14partition_implILS5_3ELb0ES3_jN6thrust23THRUST_200600_302600_NS6detail15normal_iteratorINSA_7pointerIsNSA_11hip_rocprim3tagENSA_11use_defaultESG_EEEEPS6_SJ_NS0_5tupleIJPsSJ_EEENSK_IJSJ_SJ_EEES6_PlJ7is_evenIsEEEE10hipError_tPvRmT3_T4_T5_T6_T7_T9_mT8_P12ihipStream_tbDpT10_ENKUlT_T0_E_clISt17integral_constantIbLb0EES19_IbLb1EEEEDaS15_S16_EUlS15_E_NS1_11comp_targetILNS1_3genE9ELNS1_11target_archE1100ELNS1_3gpuE3ELNS1_3repE0EEENS1_30default_config_static_selectorELNS0_4arch9wavefront6targetE1EEEvT1_
		.amdhsa_group_segment_fixed_size 0
		.amdhsa_private_segment_fixed_size 0
		.amdhsa_kernarg_size 136
		.amdhsa_user_sgpr_count 2
		.amdhsa_user_sgpr_dispatch_ptr 0
		.amdhsa_user_sgpr_queue_ptr 0
		.amdhsa_user_sgpr_kernarg_segment_ptr 1
		.amdhsa_user_sgpr_dispatch_id 0
		.amdhsa_user_sgpr_kernarg_preload_length 0
		.amdhsa_user_sgpr_kernarg_preload_offset 0
		.amdhsa_user_sgpr_private_segment_size 0
		.amdhsa_uses_dynamic_stack 0
		.amdhsa_enable_private_segment 0
		.amdhsa_system_sgpr_workgroup_id_x 1
		.amdhsa_system_sgpr_workgroup_id_y 0
		.amdhsa_system_sgpr_workgroup_id_z 0
		.amdhsa_system_sgpr_workgroup_info 0
		.amdhsa_system_vgpr_workitem_id 0
		.amdhsa_next_free_vgpr 1
		.amdhsa_next_free_sgpr 0
		.amdhsa_accum_offset 4
		.amdhsa_reserve_vcc 0
		.amdhsa_float_round_mode_32 0
		.amdhsa_float_round_mode_16_64 0
		.amdhsa_float_denorm_mode_32 3
		.amdhsa_float_denorm_mode_16_64 3
		.amdhsa_dx10_clamp 1
		.amdhsa_ieee_mode 1
		.amdhsa_fp16_overflow 0
		.amdhsa_tg_split 0
		.amdhsa_exception_fp_ieee_invalid_op 0
		.amdhsa_exception_fp_denorm_src 0
		.amdhsa_exception_fp_ieee_div_zero 0
		.amdhsa_exception_fp_ieee_overflow 0
		.amdhsa_exception_fp_ieee_underflow 0
		.amdhsa_exception_fp_ieee_inexact 0
		.amdhsa_exception_int_div_zero 0
	.end_amdhsa_kernel
	.section	.text._ZN7rocprim17ROCPRIM_400000_NS6detail17trampoline_kernelINS0_14default_configENS1_25partition_config_selectorILNS1_17partition_subalgoE3EsNS0_10empty_typeEbEEZZNS1_14partition_implILS5_3ELb0ES3_jN6thrust23THRUST_200600_302600_NS6detail15normal_iteratorINSA_7pointerIsNSA_11hip_rocprim3tagENSA_11use_defaultESG_EEEEPS6_SJ_NS0_5tupleIJPsSJ_EEENSK_IJSJ_SJ_EEES6_PlJ7is_evenIsEEEE10hipError_tPvRmT3_T4_T5_T6_T7_T9_mT8_P12ihipStream_tbDpT10_ENKUlT_T0_E_clISt17integral_constantIbLb0EES19_IbLb1EEEEDaS15_S16_EUlS15_E_NS1_11comp_targetILNS1_3genE9ELNS1_11target_archE1100ELNS1_3gpuE3ELNS1_3repE0EEENS1_30default_config_static_selectorELNS0_4arch9wavefront6targetE1EEEvT1_,"axG",@progbits,_ZN7rocprim17ROCPRIM_400000_NS6detail17trampoline_kernelINS0_14default_configENS1_25partition_config_selectorILNS1_17partition_subalgoE3EsNS0_10empty_typeEbEEZZNS1_14partition_implILS5_3ELb0ES3_jN6thrust23THRUST_200600_302600_NS6detail15normal_iteratorINSA_7pointerIsNSA_11hip_rocprim3tagENSA_11use_defaultESG_EEEEPS6_SJ_NS0_5tupleIJPsSJ_EEENSK_IJSJ_SJ_EEES6_PlJ7is_evenIsEEEE10hipError_tPvRmT3_T4_T5_T6_T7_T9_mT8_P12ihipStream_tbDpT10_ENKUlT_T0_E_clISt17integral_constantIbLb0EES19_IbLb1EEEEDaS15_S16_EUlS15_E_NS1_11comp_targetILNS1_3genE9ELNS1_11target_archE1100ELNS1_3gpuE3ELNS1_3repE0EEENS1_30default_config_static_selectorELNS0_4arch9wavefront6targetE1EEEvT1_,comdat
.Lfunc_end170:
	.size	_ZN7rocprim17ROCPRIM_400000_NS6detail17trampoline_kernelINS0_14default_configENS1_25partition_config_selectorILNS1_17partition_subalgoE3EsNS0_10empty_typeEbEEZZNS1_14partition_implILS5_3ELb0ES3_jN6thrust23THRUST_200600_302600_NS6detail15normal_iteratorINSA_7pointerIsNSA_11hip_rocprim3tagENSA_11use_defaultESG_EEEEPS6_SJ_NS0_5tupleIJPsSJ_EEENSK_IJSJ_SJ_EEES6_PlJ7is_evenIsEEEE10hipError_tPvRmT3_T4_T5_T6_T7_T9_mT8_P12ihipStream_tbDpT10_ENKUlT_T0_E_clISt17integral_constantIbLb0EES19_IbLb1EEEEDaS15_S16_EUlS15_E_NS1_11comp_targetILNS1_3genE9ELNS1_11target_archE1100ELNS1_3gpuE3ELNS1_3repE0EEENS1_30default_config_static_selectorELNS0_4arch9wavefront6targetE1EEEvT1_, .Lfunc_end170-_ZN7rocprim17ROCPRIM_400000_NS6detail17trampoline_kernelINS0_14default_configENS1_25partition_config_selectorILNS1_17partition_subalgoE3EsNS0_10empty_typeEbEEZZNS1_14partition_implILS5_3ELb0ES3_jN6thrust23THRUST_200600_302600_NS6detail15normal_iteratorINSA_7pointerIsNSA_11hip_rocprim3tagENSA_11use_defaultESG_EEEEPS6_SJ_NS0_5tupleIJPsSJ_EEENSK_IJSJ_SJ_EEES6_PlJ7is_evenIsEEEE10hipError_tPvRmT3_T4_T5_T6_T7_T9_mT8_P12ihipStream_tbDpT10_ENKUlT_T0_E_clISt17integral_constantIbLb0EES19_IbLb1EEEEDaS15_S16_EUlS15_E_NS1_11comp_targetILNS1_3genE9ELNS1_11target_archE1100ELNS1_3gpuE3ELNS1_3repE0EEENS1_30default_config_static_selectorELNS0_4arch9wavefront6targetE1EEEvT1_
                                        ; -- End function
	.section	.AMDGPU.csdata,"",@progbits
; Kernel info:
; codeLenInByte = 0
; NumSgprs: 6
; NumVgprs: 0
; NumAgprs: 0
; TotalNumVgprs: 0
; ScratchSize: 0
; MemoryBound: 0
; FloatMode: 240
; IeeeMode: 1
; LDSByteSize: 0 bytes/workgroup (compile time only)
; SGPRBlocks: 0
; VGPRBlocks: 0
; NumSGPRsForWavesPerEU: 6
; NumVGPRsForWavesPerEU: 1
; AccumOffset: 4
; Occupancy: 8
; WaveLimiterHint : 0
; COMPUTE_PGM_RSRC2:SCRATCH_EN: 0
; COMPUTE_PGM_RSRC2:USER_SGPR: 2
; COMPUTE_PGM_RSRC2:TRAP_HANDLER: 0
; COMPUTE_PGM_RSRC2:TGID_X_EN: 1
; COMPUTE_PGM_RSRC2:TGID_Y_EN: 0
; COMPUTE_PGM_RSRC2:TGID_Z_EN: 0
; COMPUTE_PGM_RSRC2:TIDIG_COMP_CNT: 0
; COMPUTE_PGM_RSRC3_GFX90A:ACCUM_OFFSET: 0
; COMPUTE_PGM_RSRC3_GFX90A:TG_SPLIT: 0
	.section	.text._ZN7rocprim17ROCPRIM_400000_NS6detail17trampoline_kernelINS0_14default_configENS1_25partition_config_selectorILNS1_17partition_subalgoE3EsNS0_10empty_typeEbEEZZNS1_14partition_implILS5_3ELb0ES3_jN6thrust23THRUST_200600_302600_NS6detail15normal_iteratorINSA_7pointerIsNSA_11hip_rocprim3tagENSA_11use_defaultESG_EEEEPS6_SJ_NS0_5tupleIJPsSJ_EEENSK_IJSJ_SJ_EEES6_PlJ7is_evenIsEEEE10hipError_tPvRmT3_T4_T5_T6_T7_T9_mT8_P12ihipStream_tbDpT10_ENKUlT_T0_E_clISt17integral_constantIbLb0EES19_IbLb1EEEEDaS15_S16_EUlS15_E_NS1_11comp_targetILNS1_3genE8ELNS1_11target_archE1030ELNS1_3gpuE2ELNS1_3repE0EEENS1_30default_config_static_selectorELNS0_4arch9wavefront6targetE1EEEvT1_,"axG",@progbits,_ZN7rocprim17ROCPRIM_400000_NS6detail17trampoline_kernelINS0_14default_configENS1_25partition_config_selectorILNS1_17partition_subalgoE3EsNS0_10empty_typeEbEEZZNS1_14partition_implILS5_3ELb0ES3_jN6thrust23THRUST_200600_302600_NS6detail15normal_iteratorINSA_7pointerIsNSA_11hip_rocprim3tagENSA_11use_defaultESG_EEEEPS6_SJ_NS0_5tupleIJPsSJ_EEENSK_IJSJ_SJ_EEES6_PlJ7is_evenIsEEEE10hipError_tPvRmT3_T4_T5_T6_T7_T9_mT8_P12ihipStream_tbDpT10_ENKUlT_T0_E_clISt17integral_constantIbLb0EES19_IbLb1EEEEDaS15_S16_EUlS15_E_NS1_11comp_targetILNS1_3genE8ELNS1_11target_archE1030ELNS1_3gpuE2ELNS1_3repE0EEENS1_30default_config_static_selectorELNS0_4arch9wavefront6targetE1EEEvT1_,comdat
	.protected	_ZN7rocprim17ROCPRIM_400000_NS6detail17trampoline_kernelINS0_14default_configENS1_25partition_config_selectorILNS1_17partition_subalgoE3EsNS0_10empty_typeEbEEZZNS1_14partition_implILS5_3ELb0ES3_jN6thrust23THRUST_200600_302600_NS6detail15normal_iteratorINSA_7pointerIsNSA_11hip_rocprim3tagENSA_11use_defaultESG_EEEEPS6_SJ_NS0_5tupleIJPsSJ_EEENSK_IJSJ_SJ_EEES6_PlJ7is_evenIsEEEE10hipError_tPvRmT3_T4_T5_T6_T7_T9_mT8_P12ihipStream_tbDpT10_ENKUlT_T0_E_clISt17integral_constantIbLb0EES19_IbLb1EEEEDaS15_S16_EUlS15_E_NS1_11comp_targetILNS1_3genE8ELNS1_11target_archE1030ELNS1_3gpuE2ELNS1_3repE0EEENS1_30default_config_static_selectorELNS0_4arch9wavefront6targetE1EEEvT1_ ; -- Begin function _ZN7rocprim17ROCPRIM_400000_NS6detail17trampoline_kernelINS0_14default_configENS1_25partition_config_selectorILNS1_17partition_subalgoE3EsNS0_10empty_typeEbEEZZNS1_14partition_implILS5_3ELb0ES3_jN6thrust23THRUST_200600_302600_NS6detail15normal_iteratorINSA_7pointerIsNSA_11hip_rocprim3tagENSA_11use_defaultESG_EEEEPS6_SJ_NS0_5tupleIJPsSJ_EEENSK_IJSJ_SJ_EEES6_PlJ7is_evenIsEEEE10hipError_tPvRmT3_T4_T5_T6_T7_T9_mT8_P12ihipStream_tbDpT10_ENKUlT_T0_E_clISt17integral_constantIbLb0EES19_IbLb1EEEEDaS15_S16_EUlS15_E_NS1_11comp_targetILNS1_3genE8ELNS1_11target_archE1030ELNS1_3gpuE2ELNS1_3repE0EEENS1_30default_config_static_selectorELNS0_4arch9wavefront6targetE1EEEvT1_
	.globl	_ZN7rocprim17ROCPRIM_400000_NS6detail17trampoline_kernelINS0_14default_configENS1_25partition_config_selectorILNS1_17partition_subalgoE3EsNS0_10empty_typeEbEEZZNS1_14partition_implILS5_3ELb0ES3_jN6thrust23THRUST_200600_302600_NS6detail15normal_iteratorINSA_7pointerIsNSA_11hip_rocprim3tagENSA_11use_defaultESG_EEEEPS6_SJ_NS0_5tupleIJPsSJ_EEENSK_IJSJ_SJ_EEES6_PlJ7is_evenIsEEEE10hipError_tPvRmT3_T4_T5_T6_T7_T9_mT8_P12ihipStream_tbDpT10_ENKUlT_T0_E_clISt17integral_constantIbLb0EES19_IbLb1EEEEDaS15_S16_EUlS15_E_NS1_11comp_targetILNS1_3genE8ELNS1_11target_archE1030ELNS1_3gpuE2ELNS1_3repE0EEENS1_30default_config_static_selectorELNS0_4arch9wavefront6targetE1EEEvT1_
	.p2align	8
	.type	_ZN7rocprim17ROCPRIM_400000_NS6detail17trampoline_kernelINS0_14default_configENS1_25partition_config_selectorILNS1_17partition_subalgoE3EsNS0_10empty_typeEbEEZZNS1_14partition_implILS5_3ELb0ES3_jN6thrust23THRUST_200600_302600_NS6detail15normal_iteratorINSA_7pointerIsNSA_11hip_rocprim3tagENSA_11use_defaultESG_EEEEPS6_SJ_NS0_5tupleIJPsSJ_EEENSK_IJSJ_SJ_EEES6_PlJ7is_evenIsEEEE10hipError_tPvRmT3_T4_T5_T6_T7_T9_mT8_P12ihipStream_tbDpT10_ENKUlT_T0_E_clISt17integral_constantIbLb0EES19_IbLb1EEEEDaS15_S16_EUlS15_E_NS1_11comp_targetILNS1_3genE8ELNS1_11target_archE1030ELNS1_3gpuE2ELNS1_3repE0EEENS1_30default_config_static_selectorELNS0_4arch9wavefront6targetE1EEEvT1_,@function
_ZN7rocprim17ROCPRIM_400000_NS6detail17trampoline_kernelINS0_14default_configENS1_25partition_config_selectorILNS1_17partition_subalgoE3EsNS0_10empty_typeEbEEZZNS1_14partition_implILS5_3ELb0ES3_jN6thrust23THRUST_200600_302600_NS6detail15normal_iteratorINSA_7pointerIsNSA_11hip_rocprim3tagENSA_11use_defaultESG_EEEEPS6_SJ_NS0_5tupleIJPsSJ_EEENSK_IJSJ_SJ_EEES6_PlJ7is_evenIsEEEE10hipError_tPvRmT3_T4_T5_T6_T7_T9_mT8_P12ihipStream_tbDpT10_ENKUlT_T0_E_clISt17integral_constantIbLb0EES19_IbLb1EEEEDaS15_S16_EUlS15_E_NS1_11comp_targetILNS1_3genE8ELNS1_11target_archE1030ELNS1_3gpuE2ELNS1_3repE0EEENS1_30default_config_static_selectorELNS0_4arch9wavefront6targetE1EEEvT1_: ; @_ZN7rocprim17ROCPRIM_400000_NS6detail17trampoline_kernelINS0_14default_configENS1_25partition_config_selectorILNS1_17partition_subalgoE3EsNS0_10empty_typeEbEEZZNS1_14partition_implILS5_3ELb0ES3_jN6thrust23THRUST_200600_302600_NS6detail15normal_iteratorINSA_7pointerIsNSA_11hip_rocprim3tagENSA_11use_defaultESG_EEEEPS6_SJ_NS0_5tupleIJPsSJ_EEENSK_IJSJ_SJ_EEES6_PlJ7is_evenIsEEEE10hipError_tPvRmT3_T4_T5_T6_T7_T9_mT8_P12ihipStream_tbDpT10_ENKUlT_T0_E_clISt17integral_constantIbLb0EES19_IbLb1EEEEDaS15_S16_EUlS15_E_NS1_11comp_targetILNS1_3genE8ELNS1_11target_archE1030ELNS1_3gpuE2ELNS1_3repE0EEENS1_30default_config_static_selectorELNS0_4arch9wavefront6targetE1EEEvT1_
; %bb.0:
	.section	.rodata,"a",@progbits
	.p2align	6, 0x0
	.amdhsa_kernel _ZN7rocprim17ROCPRIM_400000_NS6detail17trampoline_kernelINS0_14default_configENS1_25partition_config_selectorILNS1_17partition_subalgoE3EsNS0_10empty_typeEbEEZZNS1_14partition_implILS5_3ELb0ES3_jN6thrust23THRUST_200600_302600_NS6detail15normal_iteratorINSA_7pointerIsNSA_11hip_rocprim3tagENSA_11use_defaultESG_EEEEPS6_SJ_NS0_5tupleIJPsSJ_EEENSK_IJSJ_SJ_EEES6_PlJ7is_evenIsEEEE10hipError_tPvRmT3_T4_T5_T6_T7_T9_mT8_P12ihipStream_tbDpT10_ENKUlT_T0_E_clISt17integral_constantIbLb0EES19_IbLb1EEEEDaS15_S16_EUlS15_E_NS1_11comp_targetILNS1_3genE8ELNS1_11target_archE1030ELNS1_3gpuE2ELNS1_3repE0EEENS1_30default_config_static_selectorELNS0_4arch9wavefront6targetE1EEEvT1_
		.amdhsa_group_segment_fixed_size 0
		.amdhsa_private_segment_fixed_size 0
		.amdhsa_kernarg_size 136
		.amdhsa_user_sgpr_count 2
		.amdhsa_user_sgpr_dispatch_ptr 0
		.amdhsa_user_sgpr_queue_ptr 0
		.amdhsa_user_sgpr_kernarg_segment_ptr 1
		.amdhsa_user_sgpr_dispatch_id 0
		.amdhsa_user_sgpr_kernarg_preload_length 0
		.amdhsa_user_sgpr_kernarg_preload_offset 0
		.amdhsa_user_sgpr_private_segment_size 0
		.amdhsa_uses_dynamic_stack 0
		.amdhsa_enable_private_segment 0
		.amdhsa_system_sgpr_workgroup_id_x 1
		.amdhsa_system_sgpr_workgroup_id_y 0
		.amdhsa_system_sgpr_workgroup_id_z 0
		.amdhsa_system_sgpr_workgroup_info 0
		.amdhsa_system_vgpr_workitem_id 0
		.amdhsa_next_free_vgpr 1
		.amdhsa_next_free_sgpr 0
		.amdhsa_accum_offset 4
		.amdhsa_reserve_vcc 0
		.amdhsa_float_round_mode_32 0
		.amdhsa_float_round_mode_16_64 0
		.amdhsa_float_denorm_mode_32 3
		.amdhsa_float_denorm_mode_16_64 3
		.amdhsa_dx10_clamp 1
		.amdhsa_ieee_mode 1
		.amdhsa_fp16_overflow 0
		.amdhsa_tg_split 0
		.amdhsa_exception_fp_ieee_invalid_op 0
		.amdhsa_exception_fp_denorm_src 0
		.amdhsa_exception_fp_ieee_div_zero 0
		.amdhsa_exception_fp_ieee_overflow 0
		.amdhsa_exception_fp_ieee_underflow 0
		.amdhsa_exception_fp_ieee_inexact 0
		.amdhsa_exception_int_div_zero 0
	.end_amdhsa_kernel
	.section	.text._ZN7rocprim17ROCPRIM_400000_NS6detail17trampoline_kernelINS0_14default_configENS1_25partition_config_selectorILNS1_17partition_subalgoE3EsNS0_10empty_typeEbEEZZNS1_14partition_implILS5_3ELb0ES3_jN6thrust23THRUST_200600_302600_NS6detail15normal_iteratorINSA_7pointerIsNSA_11hip_rocprim3tagENSA_11use_defaultESG_EEEEPS6_SJ_NS0_5tupleIJPsSJ_EEENSK_IJSJ_SJ_EEES6_PlJ7is_evenIsEEEE10hipError_tPvRmT3_T4_T5_T6_T7_T9_mT8_P12ihipStream_tbDpT10_ENKUlT_T0_E_clISt17integral_constantIbLb0EES19_IbLb1EEEEDaS15_S16_EUlS15_E_NS1_11comp_targetILNS1_3genE8ELNS1_11target_archE1030ELNS1_3gpuE2ELNS1_3repE0EEENS1_30default_config_static_selectorELNS0_4arch9wavefront6targetE1EEEvT1_,"axG",@progbits,_ZN7rocprim17ROCPRIM_400000_NS6detail17trampoline_kernelINS0_14default_configENS1_25partition_config_selectorILNS1_17partition_subalgoE3EsNS0_10empty_typeEbEEZZNS1_14partition_implILS5_3ELb0ES3_jN6thrust23THRUST_200600_302600_NS6detail15normal_iteratorINSA_7pointerIsNSA_11hip_rocprim3tagENSA_11use_defaultESG_EEEEPS6_SJ_NS0_5tupleIJPsSJ_EEENSK_IJSJ_SJ_EEES6_PlJ7is_evenIsEEEE10hipError_tPvRmT3_T4_T5_T6_T7_T9_mT8_P12ihipStream_tbDpT10_ENKUlT_T0_E_clISt17integral_constantIbLb0EES19_IbLb1EEEEDaS15_S16_EUlS15_E_NS1_11comp_targetILNS1_3genE8ELNS1_11target_archE1030ELNS1_3gpuE2ELNS1_3repE0EEENS1_30default_config_static_selectorELNS0_4arch9wavefront6targetE1EEEvT1_,comdat
.Lfunc_end171:
	.size	_ZN7rocprim17ROCPRIM_400000_NS6detail17trampoline_kernelINS0_14default_configENS1_25partition_config_selectorILNS1_17partition_subalgoE3EsNS0_10empty_typeEbEEZZNS1_14partition_implILS5_3ELb0ES3_jN6thrust23THRUST_200600_302600_NS6detail15normal_iteratorINSA_7pointerIsNSA_11hip_rocprim3tagENSA_11use_defaultESG_EEEEPS6_SJ_NS0_5tupleIJPsSJ_EEENSK_IJSJ_SJ_EEES6_PlJ7is_evenIsEEEE10hipError_tPvRmT3_T4_T5_T6_T7_T9_mT8_P12ihipStream_tbDpT10_ENKUlT_T0_E_clISt17integral_constantIbLb0EES19_IbLb1EEEEDaS15_S16_EUlS15_E_NS1_11comp_targetILNS1_3genE8ELNS1_11target_archE1030ELNS1_3gpuE2ELNS1_3repE0EEENS1_30default_config_static_selectorELNS0_4arch9wavefront6targetE1EEEvT1_, .Lfunc_end171-_ZN7rocprim17ROCPRIM_400000_NS6detail17trampoline_kernelINS0_14default_configENS1_25partition_config_selectorILNS1_17partition_subalgoE3EsNS0_10empty_typeEbEEZZNS1_14partition_implILS5_3ELb0ES3_jN6thrust23THRUST_200600_302600_NS6detail15normal_iteratorINSA_7pointerIsNSA_11hip_rocprim3tagENSA_11use_defaultESG_EEEEPS6_SJ_NS0_5tupleIJPsSJ_EEENSK_IJSJ_SJ_EEES6_PlJ7is_evenIsEEEE10hipError_tPvRmT3_T4_T5_T6_T7_T9_mT8_P12ihipStream_tbDpT10_ENKUlT_T0_E_clISt17integral_constantIbLb0EES19_IbLb1EEEEDaS15_S16_EUlS15_E_NS1_11comp_targetILNS1_3genE8ELNS1_11target_archE1030ELNS1_3gpuE2ELNS1_3repE0EEENS1_30default_config_static_selectorELNS0_4arch9wavefront6targetE1EEEvT1_
                                        ; -- End function
	.section	.AMDGPU.csdata,"",@progbits
; Kernel info:
; codeLenInByte = 0
; NumSgprs: 6
; NumVgprs: 0
; NumAgprs: 0
; TotalNumVgprs: 0
; ScratchSize: 0
; MemoryBound: 0
; FloatMode: 240
; IeeeMode: 1
; LDSByteSize: 0 bytes/workgroup (compile time only)
; SGPRBlocks: 0
; VGPRBlocks: 0
; NumSGPRsForWavesPerEU: 6
; NumVGPRsForWavesPerEU: 1
; AccumOffset: 4
; Occupancy: 8
; WaveLimiterHint : 0
; COMPUTE_PGM_RSRC2:SCRATCH_EN: 0
; COMPUTE_PGM_RSRC2:USER_SGPR: 2
; COMPUTE_PGM_RSRC2:TRAP_HANDLER: 0
; COMPUTE_PGM_RSRC2:TGID_X_EN: 1
; COMPUTE_PGM_RSRC2:TGID_Y_EN: 0
; COMPUTE_PGM_RSRC2:TGID_Z_EN: 0
; COMPUTE_PGM_RSRC2:TIDIG_COMP_CNT: 0
; COMPUTE_PGM_RSRC3_GFX90A:ACCUM_OFFSET: 0
; COMPUTE_PGM_RSRC3_GFX90A:TG_SPLIT: 0
	.section	.text._ZN7rocprim17ROCPRIM_400000_NS6detail17trampoline_kernelINS0_14default_configENS1_22reduce_config_selectorIN6thrust23THRUST_200600_302600_NS5tupleIblNS6_9null_typeES8_S8_S8_S8_S8_S8_S8_EEEEZNS1_11reduce_implILb1ES3_NS6_12zip_iteratorINS7_INS6_11hip_rocprim26transform_input_iterator_tIbNSD_35transform_pair_of_input_iterators_tIbNS6_6detail15normal_iteratorINS6_10device_ptrIKsEEEESL_NS6_8equal_toIsEEEENSG_9not_fun_tINSD_8identityEEEEENSD_19counting_iterator_tIlEES8_S8_S8_S8_S8_S8_S8_S8_EEEEPS9_S9_NSD_9__find_if7functorIS9_EEEE10hipError_tPvRmT1_T2_T3_mT4_P12ihipStream_tbEUlT_E0_NS1_11comp_targetILNS1_3genE0ELNS1_11target_archE4294967295ELNS1_3gpuE0ELNS1_3repE0EEENS1_30default_config_static_selectorELNS0_4arch9wavefront6targetE1EEEvS14_,"axG",@progbits,_ZN7rocprim17ROCPRIM_400000_NS6detail17trampoline_kernelINS0_14default_configENS1_22reduce_config_selectorIN6thrust23THRUST_200600_302600_NS5tupleIblNS6_9null_typeES8_S8_S8_S8_S8_S8_S8_EEEEZNS1_11reduce_implILb1ES3_NS6_12zip_iteratorINS7_INS6_11hip_rocprim26transform_input_iterator_tIbNSD_35transform_pair_of_input_iterators_tIbNS6_6detail15normal_iteratorINS6_10device_ptrIKsEEEESL_NS6_8equal_toIsEEEENSG_9not_fun_tINSD_8identityEEEEENSD_19counting_iterator_tIlEES8_S8_S8_S8_S8_S8_S8_S8_EEEEPS9_S9_NSD_9__find_if7functorIS9_EEEE10hipError_tPvRmT1_T2_T3_mT4_P12ihipStream_tbEUlT_E0_NS1_11comp_targetILNS1_3genE0ELNS1_11target_archE4294967295ELNS1_3gpuE0ELNS1_3repE0EEENS1_30default_config_static_selectorELNS0_4arch9wavefront6targetE1EEEvS14_,comdat
	.protected	_ZN7rocprim17ROCPRIM_400000_NS6detail17trampoline_kernelINS0_14default_configENS1_22reduce_config_selectorIN6thrust23THRUST_200600_302600_NS5tupleIblNS6_9null_typeES8_S8_S8_S8_S8_S8_S8_EEEEZNS1_11reduce_implILb1ES3_NS6_12zip_iteratorINS7_INS6_11hip_rocprim26transform_input_iterator_tIbNSD_35transform_pair_of_input_iterators_tIbNS6_6detail15normal_iteratorINS6_10device_ptrIKsEEEESL_NS6_8equal_toIsEEEENSG_9not_fun_tINSD_8identityEEEEENSD_19counting_iterator_tIlEES8_S8_S8_S8_S8_S8_S8_S8_EEEEPS9_S9_NSD_9__find_if7functorIS9_EEEE10hipError_tPvRmT1_T2_T3_mT4_P12ihipStream_tbEUlT_E0_NS1_11comp_targetILNS1_3genE0ELNS1_11target_archE4294967295ELNS1_3gpuE0ELNS1_3repE0EEENS1_30default_config_static_selectorELNS0_4arch9wavefront6targetE1EEEvS14_ ; -- Begin function _ZN7rocprim17ROCPRIM_400000_NS6detail17trampoline_kernelINS0_14default_configENS1_22reduce_config_selectorIN6thrust23THRUST_200600_302600_NS5tupleIblNS6_9null_typeES8_S8_S8_S8_S8_S8_S8_EEEEZNS1_11reduce_implILb1ES3_NS6_12zip_iteratorINS7_INS6_11hip_rocprim26transform_input_iterator_tIbNSD_35transform_pair_of_input_iterators_tIbNS6_6detail15normal_iteratorINS6_10device_ptrIKsEEEESL_NS6_8equal_toIsEEEENSG_9not_fun_tINSD_8identityEEEEENSD_19counting_iterator_tIlEES8_S8_S8_S8_S8_S8_S8_S8_EEEEPS9_S9_NSD_9__find_if7functorIS9_EEEE10hipError_tPvRmT1_T2_T3_mT4_P12ihipStream_tbEUlT_E0_NS1_11comp_targetILNS1_3genE0ELNS1_11target_archE4294967295ELNS1_3gpuE0ELNS1_3repE0EEENS1_30default_config_static_selectorELNS0_4arch9wavefront6targetE1EEEvS14_
	.globl	_ZN7rocprim17ROCPRIM_400000_NS6detail17trampoline_kernelINS0_14default_configENS1_22reduce_config_selectorIN6thrust23THRUST_200600_302600_NS5tupleIblNS6_9null_typeES8_S8_S8_S8_S8_S8_S8_EEEEZNS1_11reduce_implILb1ES3_NS6_12zip_iteratorINS7_INS6_11hip_rocprim26transform_input_iterator_tIbNSD_35transform_pair_of_input_iterators_tIbNS6_6detail15normal_iteratorINS6_10device_ptrIKsEEEESL_NS6_8equal_toIsEEEENSG_9not_fun_tINSD_8identityEEEEENSD_19counting_iterator_tIlEES8_S8_S8_S8_S8_S8_S8_S8_EEEEPS9_S9_NSD_9__find_if7functorIS9_EEEE10hipError_tPvRmT1_T2_T3_mT4_P12ihipStream_tbEUlT_E0_NS1_11comp_targetILNS1_3genE0ELNS1_11target_archE4294967295ELNS1_3gpuE0ELNS1_3repE0EEENS1_30default_config_static_selectorELNS0_4arch9wavefront6targetE1EEEvS14_
	.p2align	8
	.type	_ZN7rocprim17ROCPRIM_400000_NS6detail17trampoline_kernelINS0_14default_configENS1_22reduce_config_selectorIN6thrust23THRUST_200600_302600_NS5tupleIblNS6_9null_typeES8_S8_S8_S8_S8_S8_S8_EEEEZNS1_11reduce_implILb1ES3_NS6_12zip_iteratorINS7_INS6_11hip_rocprim26transform_input_iterator_tIbNSD_35transform_pair_of_input_iterators_tIbNS6_6detail15normal_iteratorINS6_10device_ptrIKsEEEESL_NS6_8equal_toIsEEEENSG_9not_fun_tINSD_8identityEEEEENSD_19counting_iterator_tIlEES8_S8_S8_S8_S8_S8_S8_S8_EEEEPS9_S9_NSD_9__find_if7functorIS9_EEEE10hipError_tPvRmT1_T2_T3_mT4_P12ihipStream_tbEUlT_E0_NS1_11comp_targetILNS1_3genE0ELNS1_11target_archE4294967295ELNS1_3gpuE0ELNS1_3repE0EEENS1_30default_config_static_selectorELNS0_4arch9wavefront6targetE1EEEvS14_,@function
_ZN7rocprim17ROCPRIM_400000_NS6detail17trampoline_kernelINS0_14default_configENS1_22reduce_config_selectorIN6thrust23THRUST_200600_302600_NS5tupleIblNS6_9null_typeES8_S8_S8_S8_S8_S8_S8_EEEEZNS1_11reduce_implILb1ES3_NS6_12zip_iteratorINS7_INS6_11hip_rocprim26transform_input_iterator_tIbNSD_35transform_pair_of_input_iterators_tIbNS6_6detail15normal_iteratorINS6_10device_ptrIKsEEEESL_NS6_8equal_toIsEEEENSG_9not_fun_tINSD_8identityEEEEENSD_19counting_iterator_tIlEES8_S8_S8_S8_S8_S8_S8_S8_EEEEPS9_S9_NSD_9__find_if7functorIS9_EEEE10hipError_tPvRmT1_T2_T3_mT4_P12ihipStream_tbEUlT_E0_NS1_11comp_targetILNS1_3genE0ELNS1_11target_archE4294967295ELNS1_3gpuE0ELNS1_3repE0EEENS1_30default_config_static_selectorELNS0_4arch9wavefront6targetE1EEEvS14_: ; @_ZN7rocprim17ROCPRIM_400000_NS6detail17trampoline_kernelINS0_14default_configENS1_22reduce_config_selectorIN6thrust23THRUST_200600_302600_NS5tupleIblNS6_9null_typeES8_S8_S8_S8_S8_S8_S8_EEEEZNS1_11reduce_implILb1ES3_NS6_12zip_iteratorINS7_INS6_11hip_rocprim26transform_input_iterator_tIbNSD_35transform_pair_of_input_iterators_tIbNS6_6detail15normal_iteratorINS6_10device_ptrIKsEEEESL_NS6_8equal_toIsEEEENSG_9not_fun_tINSD_8identityEEEEENSD_19counting_iterator_tIlEES8_S8_S8_S8_S8_S8_S8_S8_EEEEPS9_S9_NSD_9__find_if7functorIS9_EEEE10hipError_tPvRmT1_T2_T3_mT4_P12ihipStream_tbEUlT_E0_NS1_11comp_targetILNS1_3genE0ELNS1_11target_archE4294967295ELNS1_3gpuE0ELNS1_3repE0EEENS1_30default_config_static_selectorELNS0_4arch9wavefront6targetE1EEEvS14_
; %bb.0:
	.section	.rodata,"a",@progbits
	.p2align	6, 0x0
	.amdhsa_kernel _ZN7rocprim17ROCPRIM_400000_NS6detail17trampoline_kernelINS0_14default_configENS1_22reduce_config_selectorIN6thrust23THRUST_200600_302600_NS5tupleIblNS6_9null_typeES8_S8_S8_S8_S8_S8_S8_EEEEZNS1_11reduce_implILb1ES3_NS6_12zip_iteratorINS7_INS6_11hip_rocprim26transform_input_iterator_tIbNSD_35transform_pair_of_input_iterators_tIbNS6_6detail15normal_iteratorINS6_10device_ptrIKsEEEESL_NS6_8equal_toIsEEEENSG_9not_fun_tINSD_8identityEEEEENSD_19counting_iterator_tIlEES8_S8_S8_S8_S8_S8_S8_S8_EEEEPS9_S9_NSD_9__find_if7functorIS9_EEEE10hipError_tPvRmT1_T2_T3_mT4_P12ihipStream_tbEUlT_E0_NS1_11comp_targetILNS1_3genE0ELNS1_11target_archE4294967295ELNS1_3gpuE0ELNS1_3repE0EEENS1_30default_config_static_selectorELNS0_4arch9wavefront6targetE1EEEvS14_
		.amdhsa_group_segment_fixed_size 0
		.amdhsa_private_segment_fixed_size 0
		.amdhsa_kernarg_size 104
		.amdhsa_user_sgpr_count 2
		.amdhsa_user_sgpr_dispatch_ptr 0
		.amdhsa_user_sgpr_queue_ptr 0
		.amdhsa_user_sgpr_kernarg_segment_ptr 1
		.amdhsa_user_sgpr_dispatch_id 0
		.amdhsa_user_sgpr_kernarg_preload_length 0
		.amdhsa_user_sgpr_kernarg_preload_offset 0
		.amdhsa_user_sgpr_private_segment_size 0
		.amdhsa_uses_dynamic_stack 0
		.amdhsa_enable_private_segment 0
		.amdhsa_system_sgpr_workgroup_id_x 1
		.amdhsa_system_sgpr_workgroup_id_y 0
		.amdhsa_system_sgpr_workgroup_id_z 0
		.amdhsa_system_sgpr_workgroup_info 0
		.amdhsa_system_vgpr_workitem_id 0
		.amdhsa_next_free_vgpr 1
		.amdhsa_next_free_sgpr 0
		.amdhsa_accum_offset 4
		.amdhsa_reserve_vcc 0
		.amdhsa_float_round_mode_32 0
		.amdhsa_float_round_mode_16_64 0
		.amdhsa_float_denorm_mode_32 3
		.amdhsa_float_denorm_mode_16_64 3
		.amdhsa_dx10_clamp 1
		.amdhsa_ieee_mode 1
		.amdhsa_fp16_overflow 0
		.amdhsa_tg_split 0
		.amdhsa_exception_fp_ieee_invalid_op 0
		.amdhsa_exception_fp_denorm_src 0
		.amdhsa_exception_fp_ieee_div_zero 0
		.amdhsa_exception_fp_ieee_overflow 0
		.amdhsa_exception_fp_ieee_underflow 0
		.amdhsa_exception_fp_ieee_inexact 0
		.amdhsa_exception_int_div_zero 0
	.end_amdhsa_kernel
	.section	.text._ZN7rocprim17ROCPRIM_400000_NS6detail17trampoline_kernelINS0_14default_configENS1_22reduce_config_selectorIN6thrust23THRUST_200600_302600_NS5tupleIblNS6_9null_typeES8_S8_S8_S8_S8_S8_S8_EEEEZNS1_11reduce_implILb1ES3_NS6_12zip_iteratorINS7_INS6_11hip_rocprim26transform_input_iterator_tIbNSD_35transform_pair_of_input_iterators_tIbNS6_6detail15normal_iteratorINS6_10device_ptrIKsEEEESL_NS6_8equal_toIsEEEENSG_9not_fun_tINSD_8identityEEEEENSD_19counting_iterator_tIlEES8_S8_S8_S8_S8_S8_S8_S8_EEEEPS9_S9_NSD_9__find_if7functorIS9_EEEE10hipError_tPvRmT1_T2_T3_mT4_P12ihipStream_tbEUlT_E0_NS1_11comp_targetILNS1_3genE0ELNS1_11target_archE4294967295ELNS1_3gpuE0ELNS1_3repE0EEENS1_30default_config_static_selectorELNS0_4arch9wavefront6targetE1EEEvS14_,"axG",@progbits,_ZN7rocprim17ROCPRIM_400000_NS6detail17trampoline_kernelINS0_14default_configENS1_22reduce_config_selectorIN6thrust23THRUST_200600_302600_NS5tupleIblNS6_9null_typeES8_S8_S8_S8_S8_S8_S8_EEEEZNS1_11reduce_implILb1ES3_NS6_12zip_iteratorINS7_INS6_11hip_rocprim26transform_input_iterator_tIbNSD_35transform_pair_of_input_iterators_tIbNS6_6detail15normal_iteratorINS6_10device_ptrIKsEEEESL_NS6_8equal_toIsEEEENSG_9not_fun_tINSD_8identityEEEEENSD_19counting_iterator_tIlEES8_S8_S8_S8_S8_S8_S8_S8_EEEEPS9_S9_NSD_9__find_if7functorIS9_EEEE10hipError_tPvRmT1_T2_T3_mT4_P12ihipStream_tbEUlT_E0_NS1_11comp_targetILNS1_3genE0ELNS1_11target_archE4294967295ELNS1_3gpuE0ELNS1_3repE0EEENS1_30default_config_static_selectorELNS0_4arch9wavefront6targetE1EEEvS14_,comdat
.Lfunc_end172:
	.size	_ZN7rocprim17ROCPRIM_400000_NS6detail17trampoline_kernelINS0_14default_configENS1_22reduce_config_selectorIN6thrust23THRUST_200600_302600_NS5tupleIblNS6_9null_typeES8_S8_S8_S8_S8_S8_S8_EEEEZNS1_11reduce_implILb1ES3_NS6_12zip_iteratorINS7_INS6_11hip_rocprim26transform_input_iterator_tIbNSD_35transform_pair_of_input_iterators_tIbNS6_6detail15normal_iteratorINS6_10device_ptrIKsEEEESL_NS6_8equal_toIsEEEENSG_9not_fun_tINSD_8identityEEEEENSD_19counting_iterator_tIlEES8_S8_S8_S8_S8_S8_S8_S8_EEEEPS9_S9_NSD_9__find_if7functorIS9_EEEE10hipError_tPvRmT1_T2_T3_mT4_P12ihipStream_tbEUlT_E0_NS1_11comp_targetILNS1_3genE0ELNS1_11target_archE4294967295ELNS1_3gpuE0ELNS1_3repE0EEENS1_30default_config_static_selectorELNS0_4arch9wavefront6targetE1EEEvS14_, .Lfunc_end172-_ZN7rocprim17ROCPRIM_400000_NS6detail17trampoline_kernelINS0_14default_configENS1_22reduce_config_selectorIN6thrust23THRUST_200600_302600_NS5tupleIblNS6_9null_typeES8_S8_S8_S8_S8_S8_S8_EEEEZNS1_11reduce_implILb1ES3_NS6_12zip_iteratorINS7_INS6_11hip_rocprim26transform_input_iterator_tIbNSD_35transform_pair_of_input_iterators_tIbNS6_6detail15normal_iteratorINS6_10device_ptrIKsEEEESL_NS6_8equal_toIsEEEENSG_9not_fun_tINSD_8identityEEEEENSD_19counting_iterator_tIlEES8_S8_S8_S8_S8_S8_S8_S8_EEEEPS9_S9_NSD_9__find_if7functorIS9_EEEE10hipError_tPvRmT1_T2_T3_mT4_P12ihipStream_tbEUlT_E0_NS1_11comp_targetILNS1_3genE0ELNS1_11target_archE4294967295ELNS1_3gpuE0ELNS1_3repE0EEENS1_30default_config_static_selectorELNS0_4arch9wavefront6targetE1EEEvS14_
                                        ; -- End function
	.section	.AMDGPU.csdata,"",@progbits
; Kernel info:
; codeLenInByte = 0
; NumSgprs: 6
; NumVgprs: 0
; NumAgprs: 0
; TotalNumVgprs: 0
; ScratchSize: 0
; MemoryBound: 0
; FloatMode: 240
; IeeeMode: 1
; LDSByteSize: 0 bytes/workgroup (compile time only)
; SGPRBlocks: 0
; VGPRBlocks: 0
; NumSGPRsForWavesPerEU: 6
; NumVGPRsForWavesPerEU: 1
; AccumOffset: 4
; Occupancy: 8
; WaveLimiterHint : 0
; COMPUTE_PGM_RSRC2:SCRATCH_EN: 0
; COMPUTE_PGM_RSRC2:USER_SGPR: 2
; COMPUTE_PGM_RSRC2:TRAP_HANDLER: 0
; COMPUTE_PGM_RSRC2:TGID_X_EN: 1
; COMPUTE_PGM_RSRC2:TGID_Y_EN: 0
; COMPUTE_PGM_RSRC2:TGID_Z_EN: 0
; COMPUTE_PGM_RSRC2:TIDIG_COMP_CNT: 0
; COMPUTE_PGM_RSRC3_GFX90A:ACCUM_OFFSET: 0
; COMPUTE_PGM_RSRC3_GFX90A:TG_SPLIT: 0
	.section	.text._ZN7rocprim17ROCPRIM_400000_NS6detail17trampoline_kernelINS0_14default_configENS1_22reduce_config_selectorIN6thrust23THRUST_200600_302600_NS5tupleIblNS6_9null_typeES8_S8_S8_S8_S8_S8_S8_EEEEZNS1_11reduce_implILb1ES3_NS6_12zip_iteratorINS7_INS6_11hip_rocprim26transform_input_iterator_tIbNSD_35transform_pair_of_input_iterators_tIbNS6_6detail15normal_iteratorINS6_10device_ptrIKsEEEESL_NS6_8equal_toIsEEEENSG_9not_fun_tINSD_8identityEEEEENSD_19counting_iterator_tIlEES8_S8_S8_S8_S8_S8_S8_S8_EEEEPS9_S9_NSD_9__find_if7functorIS9_EEEE10hipError_tPvRmT1_T2_T3_mT4_P12ihipStream_tbEUlT_E0_NS1_11comp_targetILNS1_3genE5ELNS1_11target_archE942ELNS1_3gpuE9ELNS1_3repE0EEENS1_30default_config_static_selectorELNS0_4arch9wavefront6targetE1EEEvS14_,"axG",@progbits,_ZN7rocprim17ROCPRIM_400000_NS6detail17trampoline_kernelINS0_14default_configENS1_22reduce_config_selectorIN6thrust23THRUST_200600_302600_NS5tupleIblNS6_9null_typeES8_S8_S8_S8_S8_S8_S8_EEEEZNS1_11reduce_implILb1ES3_NS6_12zip_iteratorINS7_INS6_11hip_rocprim26transform_input_iterator_tIbNSD_35transform_pair_of_input_iterators_tIbNS6_6detail15normal_iteratorINS6_10device_ptrIKsEEEESL_NS6_8equal_toIsEEEENSG_9not_fun_tINSD_8identityEEEEENSD_19counting_iterator_tIlEES8_S8_S8_S8_S8_S8_S8_S8_EEEEPS9_S9_NSD_9__find_if7functorIS9_EEEE10hipError_tPvRmT1_T2_T3_mT4_P12ihipStream_tbEUlT_E0_NS1_11comp_targetILNS1_3genE5ELNS1_11target_archE942ELNS1_3gpuE9ELNS1_3repE0EEENS1_30default_config_static_selectorELNS0_4arch9wavefront6targetE1EEEvS14_,comdat
	.protected	_ZN7rocprim17ROCPRIM_400000_NS6detail17trampoline_kernelINS0_14default_configENS1_22reduce_config_selectorIN6thrust23THRUST_200600_302600_NS5tupleIblNS6_9null_typeES8_S8_S8_S8_S8_S8_S8_EEEEZNS1_11reduce_implILb1ES3_NS6_12zip_iteratorINS7_INS6_11hip_rocprim26transform_input_iterator_tIbNSD_35transform_pair_of_input_iterators_tIbNS6_6detail15normal_iteratorINS6_10device_ptrIKsEEEESL_NS6_8equal_toIsEEEENSG_9not_fun_tINSD_8identityEEEEENSD_19counting_iterator_tIlEES8_S8_S8_S8_S8_S8_S8_S8_EEEEPS9_S9_NSD_9__find_if7functorIS9_EEEE10hipError_tPvRmT1_T2_T3_mT4_P12ihipStream_tbEUlT_E0_NS1_11comp_targetILNS1_3genE5ELNS1_11target_archE942ELNS1_3gpuE9ELNS1_3repE0EEENS1_30default_config_static_selectorELNS0_4arch9wavefront6targetE1EEEvS14_ ; -- Begin function _ZN7rocprim17ROCPRIM_400000_NS6detail17trampoline_kernelINS0_14default_configENS1_22reduce_config_selectorIN6thrust23THRUST_200600_302600_NS5tupleIblNS6_9null_typeES8_S8_S8_S8_S8_S8_S8_EEEEZNS1_11reduce_implILb1ES3_NS6_12zip_iteratorINS7_INS6_11hip_rocprim26transform_input_iterator_tIbNSD_35transform_pair_of_input_iterators_tIbNS6_6detail15normal_iteratorINS6_10device_ptrIKsEEEESL_NS6_8equal_toIsEEEENSG_9not_fun_tINSD_8identityEEEEENSD_19counting_iterator_tIlEES8_S8_S8_S8_S8_S8_S8_S8_EEEEPS9_S9_NSD_9__find_if7functorIS9_EEEE10hipError_tPvRmT1_T2_T3_mT4_P12ihipStream_tbEUlT_E0_NS1_11comp_targetILNS1_3genE5ELNS1_11target_archE942ELNS1_3gpuE9ELNS1_3repE0EEENS1_30default_config_static_selectorELNS0_4arch9wavefront6targetE1EEEvS14_
	.globl	_ZN7rocprim17ROCPRIM_400000_NS6detail17trampoline_kernelINS0_14default_configENS1_22reduce_config_selectorIN6thrust23THRUST_200600_302600_NS5tupleIblNS6_9null_typeES8_S8_S8_S8_S8_S8_S8_EEEEZNS1_11reduce_implILb1ES3_NS6_12zip_iteratorINS7_INS6_11hip_rocprim26transform_input_iterator_tIbNSD_35transform_pair_of_input_iterators_tIbNS6_6detail15normal_iteratorINS6_10device_ptrIKsEEEESL_NS6_8equal_toIsEEEENSG_9not_fun_tINSD_8identityEEEEENSD_19counting_iterator_tIlEES8_S8_S8_S8_S8_S8_S8_S8_EEEEPS9_S9_NSD_9__find_if7functorIS9_EEEE10hipError_tPvRmT1_T2_T3_mT4_P12ihipStream_tbEUlT_E0_NS1_11comp_targetILNS1_3genE5ELNS1_11target_archE942ELNS1_3gpuE9ELNS1_3repE0EEENS1_30default_config_static_selectorELNS0_4arch9wavefront6targetE1EEEvS14_
	.p2align	8
	.type	_ZN7rocprim17ROCPRIM_400000_NS6detail17trampoline_kernelINS0_14default_configENS1_22reduce_config_selectorIN6thrust23THRUST_200600_302600_NS5tupleIblNS6_9null_typeES8_S8_S8_S8_S8_S8_S8_EEEEZNS1_11reduce_implILb1ES3_NS6_12zip_iteratorINS7_INS6_11hip_rocprim26transform_input_iterator_tIbNSD_35transform_pair_of_input_iterators_tIbNS6_6detail15normal_iteratorINS6_10device_ptrIKsEEEESL_NS6_8equal_toIsEEEENSG_9not_fun_tINSD_8identityEEEEENSD_19counting_iterator_tIlEES8_S8_S8_S8_S8_S8_S8_S8_EEEEPS9_S9_NSD_9__find_if7functorIS9_EEEE10hipError_tPvRmT1_T2_T3_mT4_P12ihipStream_tbEUlT_E0_NS1_11comp_targetILNS1_3genE5ELNS1_11target_archE942ELNS1_3gpuE9ELNS1_3repE0EEENS1_30default_config_static_selectorELNS0_4arch9wavefront6targetE1EEEvS14_,@function
_ZN7rocprim17ROCPRIM_400000_NS6detail17trampoline_kernelINS0_14default_configENS1_22reduce_config_selectorIN6thrust23THRUST_200600_302600_NS5tupleIblNS6_9null_typeES8_S8_S8_S8_S8_S8_S8_EEEEZNS1_11reduce_implILb1ES3_NS6_12zip_iteratorINS7_INS6_11hip_rocprim26transform_input_iterator_tIbNSD_35transform_pair_of_input_iterators_tIbNS6_6detail15normal_iteratorINS6_10device_ptrIKsEEEESL_NS6_8equal_toIsEEEENSG_9not_fun_tINSD_8identityEEEEENSD_19counting_iterator_tIlEES8_S8_S8_S8_S8_S8_S8_S8_EEEEPS9_S9_NSD_9__find_if7functorIS9_EEEE10hipError_tPvRmT1_T2_T3_mT4_P12ihipStream_tbEUlT_E0_NS1_11comp_targetILNS1_3genE5ELNS1_11target_archE942ELNS1_3gpuE9ELNS1_3repE0EEENS1_30default_config_static_selectorELNS0_4arch9wavefront6targetE1EEEvS14_: ; @_ZN7rocprim17ROCPRIM_400000_NS6detail17trampoline_kernelINS0_14default_configENS1_22reduce_config_selectorIN6thrust23THRUST_200600_302600_NS5tupleIblNS6_9null_typeES8_S8_S8_S8_S8_S8_S8_EEEEZNS1_11reduce_implILb1ES3_NS6_12zip_iteratorINS7_INS6_11hip_rocprim26transform_input_iterator_tIbNSD_35transform_pair_of_input_iterators_tIbNS6_6detail15normal_iteratorINS6_10device_ptrIKsEEEESL_NS6_8equal_toIsEEEENSG_9not_fun_tINSD_8identityEEEEENSD_19counting_iterator_tIlEES8_S8_S8_S8_S8_S8_S8_S8_EEEEPS9_S9_NSD_9__find_if7functorIS9_EEEE10hipError_tPvRmT1_T2_T3_mT4_P12ihipStream_tbEUlT_E0_NS1_11comp_targetILNS1_3genE5ELNS1_11target_archE942ELNS1_3gpuE9ELNS1_3repE0EEENS1_30default_config_static_selectorELNS0_4arch9wavefront6targetE1EEEvS14_
; %bb.0:
	s_load_dwordx8 s[36:43], s[0:1], 0x20
	s_load_dwordx4 s[4:7], s[0:1], 0x0
	s_load_dwordx4 s[44:47], s[0:1], 0x40
	s_mov_b32 s23, 0
	s_mov_b32 s3, s23
	s_waitcnt lgkmcnt(0)
	s_lshl_b64 s[8:9], s[38:39], 1
	s_add_u32 s10, s4, s8
	s_addc_u32 s11, s5, s9
	s_add_u32 s8, s6, s8
	s_addc_u32 s9, s7, s9
	s_lshl_b32 s22, s2, 12
	s_lshr_b64 s[4:5], s[40:41], 12
	s_lshl_b64 s[6:7], s[22:23], 1
	s_add_u32 s30, s10, s6
	s_addc_u32 s31, s11, s7
	s_add_u32 s48, s8, s6
	s_addc_u32 s49, s9, s7
	;; [unrolled: 2-line block ×4, first 2 shown]
	s_cmp_lg_u64 s[4:5], s[2:3]
	v_lshlrev_b32_e32 v4, 1, v0
	s_cbranch_scc0 .LBB173_18
; %bb.1:
	v_mov_b32_e32 v1, 0
	v_mov_b32_e32 v5, v1
	v_lshl_add_u64 v[2:3], s[30:31], 0, v[4:5]
	s_movk_i32 s4, 0x1000
	v_lshl_add_u64 v[6:7], s[48:49], 0, v[4:5]
	global_load_ushort v5, v4, s[30:31]
	global_load_ushort v10, v4, s[30:31] offset:512
	global_load_ushort v11, v4, s[30:31] offset:1024
	;; [unrolled: 1-line block ×7, first 2 shown]
	global_load_ushort v17, v4, s[48:49]
	global_load_ushort v18, v4, s[48:49] offset:512
	global_load_ushort v19, v4, s[48:49] offset:1024
	;; [unrolled: 1-line block ×7, first 2 shown]
	v_add_co_u32_e32 v2, vcc, s4, v2
	v_mov_b32_e32 v41, 0x200
	s_nop 0
	v_addc_co_u32_e32 v3, vcc, 0, v3, vcc
	global_load_ushort v25, v[2:3], off
	v_add_co_u32_e32 v6, vcc, s4, v6
	v_mov_b32_e32 v42, 0x100
	s_nop 0
	v_addc_co_u32_e32 v7, vcc, 0, v7, vcc
	global_load_ushort v26, v[6:7], off
	global_load_ushort v27, v[2:3], off offset:1024
	global_load_ushort v28, v[6:7], off offset:1024
	;; [unrolled: 1-line block ×14, first 2 shown]
	s_mov_b64 s[4:5], 0xe00
	v_mov_b32_e32 v43, 0x400
	v_mov_b32_e32 v44, 0x300
	v_lshl_add_u64 v[2:3], s[36:37], 0, v[0:1]
	v_mov_b32_e32 v45, 0x600
	v_mov_b32_e32 v46, 0x500
	v_lshl_add_u64 v[6:7], v[2:3], 0, s[4:5]
	s_mov_b64 s[6:7], 0xf00
	v_mov_b32_e32 v47, 0x800
	v_mov_b32_e32 v48, 0x700
	v_lshl_add_u64 v[8:9], v[2:3], 0, s[6:7]
	s_waitcnt vmcnt(23)
	v_cmp_ne_u16_e64 s[16:17], v5, v17
	s_waitcnt vmcnt(22)
	v_cmp_ne_u16_e64 s[8:9], v10, v18
	s_waitcnt vmcnt(21)
	v_cmp_ne_u16_e32 vcc, v11, v19
	s_waitcnt vmcnt(20)
	v_cmp_ne_u16_e64 s[10:11], v12, v20
	v_cndmask_b32_e64 v10, v41, v42, s[8:9]
	s_or_b64 s[8:9], s[16:17], s[8:9]
	s_or_b64 vcc, s[8:9], vcc
	s_waitcnt vmcnt(19)
	v_cmp_ne_u16_e64 s[4:5], v13, v21
	v_cndmask_b32_e64 v11, v43, v44, s[10:11]
	s_waitcnt vmcnt(18)
	v_cmp_ne_u16_e64 s[12:13], v14, v22
	v_cndmask_b32_e64 v5, v10, 0, s[16:17]
	s_or_b64 s[24:25], vcc, s[10:11]
	v_cndmask_b32_e64 v12, v45, v46, s[12:13]
	v_cndmask_b32_e32 v5, v11, v5, vcc
	s_or_b64 s[4:5], s[24:25], s[4:5]
	s_waitcnt vmcnt(17)
	v_cmp_ne_u16_e64 s[6:7], v15, v23
	s_waitcnt vmcnt(16)
	v_cmp_ne_u16_e64 s[14:15], v16, v24
	v_cndmask_b32_e64 v5, v12, v5, s[4:5]
	s_or_b64 s[4:5], s[4:5], s[12:13]
	v_cndmask_b32_e64 v13, v47, v48, s[14:15]
	s_or_b64 s[4:5], s[4:5], s[6:7]
	s_waitcnt vmcnt(14)
	v_cmp_ne_u16_e32 vcc, v25, v26
	v_cndmask_b32_e64 v5, v13, v5, s[4:5]
	s_or_b64 s[6:7], s[4:5], s[14:15]
	v_mov_b32_e32 v10, 0xa00
	v_mov_b32_e32 v11, 0x900
	s_waitcnt vmcnt(2)
	v_cmp_ne_u16_e64 s[4:5], v37, v38
	s_or_b64 vcc, s[6:7], vcc
	v_cmp_ne_u16_e64 s[8:9], v27, v28
	v_cndmask_b32_e64 v10, v10, v11, s[4:5]
	v_cndmask_b32_e32 v5, v10, v5, vcc
	s_or_b64 s[4:5], vcc, s[4:5]
	v_mov_b32_e32 v10, 0xc00
	v_mov_b32_e32 v11, 0xb00
	s_waitcnt vmcnt(0)
	v_cmp_ne_u16_e32 vcc, v39, v40
	s_or_b64 s[4:5], s[4:5], s[8:9]
	v_cmp_ne_u16_e64 s[10:11], v29, v33
	v_cndmask_b32_e32 v10, v10, v11, vcc
	v_cndmask_b32_e64 v5, v10, v5, s[4:5]
	s_or_b64 s[4:5], s[4:5], vcc
	v_mov_b32_e32 v10, 0xd00
	s_or_b64 vcc, s[4:5], s[10:11]
	v_cndmask_b32_e32 v10, v10, v5, vcc
	v_mov_b32_e32 v11, v1
	v_lshl_add_u64 v[2:3], v[10:11], 0, v[2:3]
	v_cmp_ne_u16_e64 s[18:19], v31, v35
	v_cmp_lt_i64_e64 s[4:5], v[6:7], v[2:3]
	v_cmp_ne_u16_e64 s[16:17], v30, v34
	s_and_b64 s[4:5], s[18:19], s[4:5]
	v_cndmask_b32_e64 v1, v2, v6, s[4:5]
	v_cndmask_b32_e64 v2, v3, v7, s[4:5]
	s_or_b64 vcc, vcc, s[16:17]
	v_cndmask_b32_e32 v3, v7, v2, vcc
	v_cndmask_b32_e32 v2, v6, v1, vcc
	v_cmp_ne_u16_e64 s[20:21], v32, v36
	v_cmp_lt_i64_e64 s[4:5], v[8:9], v[2:3]
	s_and_b64 s[4:5], s[20:21], s[4:5]
	s_or_b64 vcc, vcc, s[18:19]
	v_cndmask_b32_e64 v1, v2, v8, s[4:5]
	v_cndmask_b32_e64 v2, v3, v9, s[4:5]
	s_or_b64 s[4:5], vcc, s[20:21]
	v_cndmask_b32_e32 v3, v9, v2, vcc
	v_cndmask_b32_e32 v2, v8, v1, vcc
	v_cndmask_b32_e64 v1, 0, 1, s[4:5]
	v_mov_b32_dpp v7, v3 quad_perm:[1,0,3,2] row_mask:0xf bank_mask:0xf bound_ctrl:1
	v_mov_b32_dpp v6, v2 quad_perm:[1,0,3,2] row_mask:0xf bank_mask:0xf bound_ctrl:1
	;; [unrolled: 1-line block ×3, first 2 shown]
	v_and_b32_e32 v8, 1, v5
	v_cmp_eq_u32_e32 vcc, 1, v8
	s_and_saveexec_b64 s[6:7], vcc
; %bb.2:
	v_cmp_lt_i64_e32 vcc, v[2:3], v[6:7]
	v_cndmask_b32_e64 v5, v5, 1, s[4:5]
	s_and_b64 vcc, s[4:5], vcc
	v_and_b32_e32 v1, 0xff, v5
	v_and_b32_e32 v5, 1, v5
	v_cndmask_b32_e32 v3, v7, v3, vcc
	v_cndmask_b32_e32 v2, v6, v2, vcc
	v_cmp_eq_u32_e32 vcc, 1, v5
	s_andn2_b64 s[4:5], s[4:5], exec
	s_and_b64 s[8:9], vcc, exec
	s_or_b64 s[4:5], s[4:5], s[8:9]
; %bb.3:
	s_or_b64 exec, exec, s[6:7]
	v_mov_b32_dpp v5, v1 quad_perm:[2,3,0,1] row_mask:0xf bank_mask:0xf bound_ctrl:1
	v_and_b32_e32 v8, 1, v5
	v_mov_b32_dpp v6, v2 quad_perm:[2,3,0,1] row_mask:0xf bank_mask:0xf bound_ctrl:1
	v_mov_b32_dpp v7, v3 quad_perm:[2,3,0,1] row_mask:0xf bank_mask:0xf bound_ctrl:1
	v_cmp_eq_u32_e32 vcc, 1, v8
	s_and_saveexec_b64 s[6:7], vcc
; %bb.4:
	v_cmp_lt_i64_e32 vcc, v[2:3], v[6:7]
	v_cndmask_b32_e64 v5, v5, 1, s[4:5]
	s_and_b64 vcc, s[4:5], vcc
	v_and_b32_e32 v1, 0xff, v5
	v_and_b32_e32 v5, 1, v5
	v_cndmask_b32_e32 v3, v7, v3, vcc
	v_cndmask_b32_e32 v2, v6, v2, vcc
	v_cmp_eq_u32_e32 vcc, 1, v5
	s_andn2_b64 s[4:5], s[4:5], exec
	s_and_b64 s[8:9], vcc, exec
	s_or_b64 s[4:5], s[4:5], s[8:9]
; %bb.5:
	s_or_b64 exec, exec, s[6:7]
	v_mov_b32_dpp v5, v1 row_ror:4 row_mask:0xf bank_mask:0xf bound_ctrl:1
	v_and_b32_e32 v8, 1, v5
	v_mov_b32_dpp v6, v2 row_ror:4 row_mask:0xf bank_mask:0xf bound_ctrl:1
	v_mov_b32_dpp v7, v3 row_ror:4 row_mask:0xf bank_mask:0xf bound_ctrl:1
	v_cmp_eq_u32_e32 vcc, 1, v8
	s_and_saveexec_b64 s[6:7], vcc
; %bb.6:
	v_cmp_lt_i64_e32 vcc, v[2:3], v[6:7]
	v_cndmask_b32_e64 v5, v5, 1, s[4:5]
	s_and_b64 vcc, s[4:5], vcc
	v_and_b32_e32 v1, 0xff, v5
	v_and_b32_e32 v5, 1, v5
	v_cndmask_b32_e32 v3, v7, v3, vcc
	v_cndmask_b32_e32 v2, v6, v2, vcc
	v_cmp_eq_u32_e32 vcc, 1, v5
	s_andn2_b64 s[4:5], s[4:5], exec
	s_and_b64 s[8:9], vcc, exec
	s_or_b64 s[4:5], s[4:5], s[8:9]
; %bb.7:
	s_or_b64 exec, exec, s[6:7]
	v_mov_b32_dpp v5, v1 row_ror:8 row_mask:0xf bank_mask:0xf bound_ctrl:1
	v_and_b32_e32 v8, 1, v5
	v_mov_b32_dpp v6, v2 row_ror:8 row_mask:0xf bank_mask:0xf bound_ctrl:1
	v_mov_b32_dpp v7, v3 row_ror:8 row_mask:0xf bank_mask:0xf bound_ctrl:1
	v_cmp_eq_u32_e32 vcc, 1, v8
	s_and_saveexec_b64 s[6:7], vcc
; %bb.8:
	v_cmp_lt_i64_e32 vcc, v[2:3], v[6:7]
	v_cndmask_b32_e64 v5, v5, 1, s[4:5]
	s_and_b64 vcc, s[4:5], vcc
	v_and_b32_e32 v1, 0xff, v5
	v_and_b32_e32 v5, 1, v5
	v_cndmask_b32_e32 v3, v7, v3, vcc
	v_cndmask_b32_e32 v2, v6, v2, vcc
	v_cmp_eq_u32_e32 vcc, 1, v5
	s_andn2_b64 s[4:5], s[4:5], exec
	s_and_b64 s[8:9], vcc, exec
	s_or_b64 s[4:5], s[4:5], s[8:9]
; %bb.9:
	s_or_b64 exec, exec, s[6:7]
	v_mov_b32_dpp v5, v1 row_bcast:15 row_mask:0xf bank_mask:0xf bound_ctrl:1
	v_and_b32_e32 v8, 1, v5
	v_mov_b32_dpp v6, v2 row_bcast:15 row_mask:0xf bank_mask:0xf bound_ctrl:1
	v_mov_b32_dpp v7, v3 row_bcast:15 row_mask:0xf bank_mask:0xf bound_ctrl:1
	v_cmp_eq_u32_e32 vcc, 1, v8
	s_and_saveexec_b64 s[6:7], vcc
; %bb.10:
	v_cmp_lt_i64_e32 vcc, v[2:3], v[6:7]
	v_cndmask_b32_e64 v5, v5, 1, s[4:5]
	s_and_b64 vcc, s[4:5], vcc
	v_and_b32_e32 v1, 0xff, v5
	v_and_b32_e32 v5, 1, v5
	v_cndmask_b32_e32 v3, v7, v3, vcc
	v_cndmask_b32_e32 v2, v6, v2, vcc
	v_cmp_eq_u32_e32 vcc, 1, v5
	s_andn2_b64 s[4:5], s[4:5], exec
	s_and_b64 s[8:9], vcc, exec
	s_or_b64 s[4:5], s[4:5], s[8:9]
; %bb.11:
	s_or_b64 exec, exec, s[6:7]
	v_mov_b32_dpp v5, v1 row_bcast:31 row_mask:0xf bank_mask:0xf bound_ctrl:1
	v_and_b32_e32 v8, 1, v5
	v_mov_b32_dpp v6, v2 row_bcast:31 row_mask:0xf bank_mask:0xf bound_ctrl:1
	v_mov_b32_dpp v7, v3 row_bcast:31 row_mask:0xf bank_mask:0xf bound_ctrl:1
	v_cmp_eq_u32_e32 vcc, 1, v8
	s_and_saveexec_b64 s[6:7], vcc
; %bb.12:
	v_cmp_lt_i64_e32 vcc, v[2:3], v[6:7]
	v_and_b32_e32 v1, 0xff, v5
	s_and_b64 vcc, s[4:5], vcc
	v_cndmask_b32_e32 v2, v6, v2, vcc
	v_cndmask_b32_e32 v3, v7, v3, vcc
	v_cndmask_b32_e64 v1, v1, 1, s[4:5]
; %bb.13:
	s_or_b64 exec, exec, s[6:7]
	v_mbcnt_lo_u32_b32 v5, -1, 0
	v_mbcnt_hi_u32_b32 v5, -1, v5
	v_bfrev_b32_e32 v6, 0.5
	v_lshl_or_b32 v6, v5, 2, v6
	ds_bpermute_b32 v7, v6, v1
	ds_bpermute_b32 v2, v6, v2
	;; [unrolled: 1-line block ×3, first 2 shown]
	v_cmp_eq_u32_e32 vcc, 0, v5
	s_and_saveexec_b64 s[4:5], vcc
	s_cbranch_execz .LBB173_15
; %bb.14:
	v_lshrrev_b32_e32 v1, 2, v0
	v_and_b32_e32 v1, 48, v1
	s_waitcnt lgkmcnt(2)
	ds_write_b8 v1, v7
	s_waitcnt lgkmcnt(1)
	ds_write_b64 v1, v[2:3] offset:8
.LBB173_15:
	s_or_b64 exec, exec, s[4:5]
	v_cmp_gt_u32_e32 vcc, 64, v0
	s_waitcnt lgkmcnt(0)
	s_barrier
	s_and_saveexec_b64 s[6:7], vcc
	s_cbranch_execz .LBB173_17
; %bb.16:
	v_and_b32_e32 v1, 3, v5
	v_lshlrev_b32_e32 v2, 4, v1
	ds_read_u8 v8, v2
	ds_read_b64 v[2:3], v2 offset:8
	v_cmp_ne_u32_e32 vcc, 3, v1
	s_waitcnt lgkmcnt(1)
	v_and_b32_e32 v7, 0xff, v8
	v_addc_co_u32_e32 v6, vcc, 0, v5, vcc
	v_lshlrev_b32_e32 v9, 2, v6
	ds_bpermute_b32 v10, v9, v7
	s_waitcnt lgkmcnt(1)
	ds_bpermute_b32 v6, v9, v2
	ds_bpermute_b32 v7, v9, v3
	v_and_b32_e32 v9, 1, v8
	s_waitcnt lgkmcnt(2)
	v_and_b32_e32 v11, 1, v10
	v_cmp_eq_u32_e64 s[4:5], 1, v11
	s_waitcnt lgkmcnt(0)
	v_cmp_lt_i64_e32 vcc, v[6:7], v[2:3]
	s_and_b64 vcc, s[4:5], vcc
	v_cndmask_b32_e64 v8, v8, 1, s[4:5]
	v_cndmask_b32_e32 v2, v2, v6, vcc
	v_cndmask_b32_e32 v3, v3, v7, vcc
	v_cmp_eq_u32_e32 vcc, 1, v9
	s_nop 1
	v_cndmask_b32_e32 v8, v10, v8, vcc
	v_cndmask_b32_e32 v3, v7, v3, vcc
	;; [unrolled: 1-line block ×3, first 2 shown]
	v_cmp_gt_u32_e32 vcc, 2, v1
	v_and_b32_e32 v6, 0xff, v8
	s_nop 0
	v_cndmask_b32_e64 v1, 0, 1, vcc
	v_lshlrev_b32_e32 v1, 1, v1
	v_add_lshl_u32 v1, v1, v5, 2
	ds_bpermute_b32 v5, v1, v6
	ds_bpermute_b32 v6, v1, v2
	;; [unrolled: 1-line block ×3, first 2 shown]
	v_and_b32_e32 v1, 1, v8
	s_waitcnt lgkmcnt(2)
	v_and_b32_e32 v9, 1, v5
	v_cmp_eq_u32_e64 s[4:5], 1, v9
	s_waitcnt lgkmcnt(0)
	v_cmp_lt_i64_e32 vcc, v[6:7], v[2:3]
	s_and_b64 vcc, s[4:5], vcc
	v_cndmask_b32_e64 v8, v8, 1, s[4:5]
	v_cndmask_b32_e32 v2, v2, v6, vcc
	v_cndmask_b32_e32 v3, v3, v7, vcc
	v_cmp_eq_u32_e32 vcc, 1, v1
	s_nop 1
	v_cndmask_b32_e32 v1, v5, v8, vcc
	v_cndmask_b32_e32 v3, v7, v3, vcc
	;; [unrolled: 1-line block ×3, first 2 shown]
	v_and_b32_e32 v7, 0xff, v1
.LBB173_17:
	s_or_b64 exec, exec, s[6:7]
	s_load_dword s33, s[0:1], 0x50
	s_load_dwordx2 s[34:35], s[0:1], 0x58
	s_branch .LBB173_87
.LBB173_18:
                                        ; implicit-def: $vgpr2_vgpr3
                                        ; implicit-def: $vgpr7
	s_load_dword s33, s[0:1], 0x50
	s_load_dwordx2 s[34:35], s[0:1], 0x58
	s_cbranch_execz .LBB173_87
; %bb.19:
	s_sub_i32 s50, s40, s22
	v_mov_b64_e32 v[22:23], 0
	v_cmp_gt_u32_e32 vcc, s50, v0
	v_mov_b32_e32 v45, 0
	v_mov_b64_e32 v[2:3], v[22:23]
	v_mov_b32_e32 v1, 0
	s_and_saveexec_b64 s[0:1], vcc
	s_cbranch_execz .LBB173_21
; %bb.20:
	global_load_ushort v5, v4, s[30:31]
	global_load_ushort v6, v4, s[48:49]
	v_mov_b32_e32 v1, 0
	v_lshl_add_u64 v[2:3], s[36:37], 0, v[0:1]
	s_waitcnt vmcnt(0)
	v_cmp_ne_u16_e32 vcc, v5, v6
	s_nop 1
	v_cndmask_b32_e64 v1, 0, 1, vcc
.LBB173_21:
	s_or_b64 exec, exec, s[0:1]
	v_or_b32_e32 v6, 0x100, v0
	v_cmp_gt_u32_e64 s[28:29], s50, v6
	s_and_saveexec_b64 s[0:1], s[28:29]
	s_cbranch_execz .LBB173_23
; %bb.22:
	global_load_ushort v5, v4, s[30:31] offset:512
	global_load_ushort v8, v4, s[48:49] offset:512
	v_mov_b32_e32 v7, 0
	v_lshl_add_u64 v[22:23], s[36:37], 0, v[6:7]
	s_waitcnt vmcnt(0)
	v_cmp_ne_u16_e32 vcc, v5, v8
	s_nop 1
	v_cndmask_b32_e64 v45, 0, 1, vcc
.LBB173_23:
	s_or_b64 exec, exec, s[0:1]
	v_or_b32_e32 v6, 0x200, v0
	v_mov_b64_e32 v[16:17], 0
	v_cmp_gt_u32_e64 s[26:27], s50, v6
	v_mov_b32_e32 v43, 0
	v_mov_b64_e32 v[32:33], v[16:17]
	v_mov_b32_e32 v50, 0
	s_and_saveexec_b64 s[0:1], s[26:27]
	s_cbranch_execz .LBB173_25
; %bb.24:
	global_load_ushort v5, v4, s[30:31] offset:1024
	global_load_ushort v8, v4, s[48:49] offset:1024
	v_mov_b32_e32 v7, 0
	v_lshl_add_u64 v[32:33], s[36:37], 0, v[6:7]
	s_waitcnt vmcnt(0)
	v_cmp_ne_u16_e32 vcc, v5, v8
	s_nop 1
	v_cndmask_b32_e64 v50, 0, 1, vcc
.LBB173_25:
	s_or_b64 exec, exec, s[0:1]
	v_or_b32_e32 v6, 0x300, v0
	v_cmp_gt_u32_e64 s[24:25], s50, v6
	s_and_saveexec_b64 s[0:1], s[24:25]
	s_cbranch_execz .LBB173_27
; %bb.26:
	global_load_ushort v5, v4, s[30:31] offset:1536
	global_load_ushort v8, v4, s[48:49] offset:1536
	v_mov_b32_e32 v7, 0
	v_lshl_add_u64 v[16:17], s[36:37], 0, v[6:7]
	s_waitcnt vmcnt(0)
	v_cmp_ne_u16_e32 vcc, v5, v8
	s_nop 1
	v_cndmask_b32_e64 v43, 0, 1, vcc
.LBB173_27:
	s_or_b64 exec, exec, s[0:1]
	v_or_b32_e32 v6, 0x400, v0
	v_mov_b64_e32 v[14:15], 0
	v_cmp_gt_u32_e64 s[22:23], s50, v6
	v_mov_b32_e32 v41, 0
	v_mov_b64_e32 v[30:31], v[14:15]
	v_mov_b32_e32 v49, 0
	s_and_saveexec_b64 s[0:1], s[22:23]
	s_cbranch_execz .LBB173_29
; %bb.28:
	global_load_ushort v5, v4, s[30:31] offset:2048
	global_load_ushort v8, v4, s[48:49] offset:2048
	v_mov_b32_e32 v7, 0
	v_lshl_add_u64 v[30:31], s[36:37], 0, v[6:7]
	s_waitcnt vmcnt(0)
	v_cmp_ne_u16_e32 vcc, v5, v8
	s_nop 1
	v_cndmask_b32_e64 v49, 0, 1, vcc
.LBB173_29:
	;; [unrolled: 34-line block ×3, first 2 shown]
	s_or_b64 exec, exec, s[0:1]
	v_or_b32_e32 v6, 0x700, v0
	v_cmp_gt_u32_e64 s[16:17], s50, v6
	s_and_saveexec_b64 s[0:1], s[16:17]
	s_cbranch_execz .LBB173_35
; %bb.34:
	global_load_ushort v5, v4, s[30:31] offset:3584
	global_load_ushort v8, v4, s[48:49] offset:3584
	v_mov_b32_e32 v7, 0
	v_lshl_add_u64 v[12:13], s[36:37], 0, v[6:7]
	s_waitcnt vmcnt(0)
	v_cmp_ne_u16_e32 vcc, v5, v8
	s_nop 1
	v_cndmask_b32_e64 v40, 0, 1, vcc
.LBB173_35:
	s_or_b64 exec, exec, s[0:1]
	v_or_b32_e32 v4, 0x800, v0
	v_mov_b64_e32 v[10:11], 0
	v_cmp_gt_u32_e64 s[14:15], s50, v4
	v_mov_b32_e32 v39, 0
	v_mov_b64_e32 v[26:27], v[10:11]
	v_mov_b32_e32 v47, 0
	s_and_saveexec_b64 s[0:1], s[14:15]
	s_cbranch_execz .LBB173_37
; %bb.36:
	v_lshlrev_b32_e32 v5, 1, v4
	global_load_ushort v6, v5, s[30:31]
	global_load_ushort v7, v5, s[48:49]
	v_mov_b32_e32 v5, 0
	v_lshl_add_u64 v[26:27], s[36:37], 0, v[4:5]
	s_waitcnt vmcnt(0)
	v_cmp_ne_u16_e32 vcc, v6, v7
	s_nop 1
	v_cndmask_b32_e64 v47, 0, 1, vcc
.LBB173_37:
	s_or_b64 exec, exec, s[0:1]
	v_or_b32_e32 v4, 0x900, v0
	v_cmp_gt_u32_e64 s[12:13], s50, v4
	s_and_saveexec_b64 s[0:1], s[12:13]
	s_cbranch_execz .LBB173_39
; %bb.38:
	v_lshlrev_b32_e32 v5, 1, v4
	global_load_ushort v6, v5, s[30:31]
	global_load_ushort v7, v5, s[48:49]
	v_mov_b32_e32 v5, 0
	v_lshl_add_u64 v[10:11], s[36:37], 0, v[4:5]
	s_waitcnt vmcnt(0)
	v_cmp_ne_u16_e32 vcc, v6, v7
	s_nop 1
	v_cndmask_b32_e64 v39, 0, 1, vcc
.LBB173_39:
	s_or_b64 exec, exec, s[0:1]
	v_or_b32_e32 v4, 0xa00, v0
	v_mov_b64_e32 v[8:9], 0
	v_cmp_gt_u32_e64 s[10:11], s50, v4
	v_mov_b32_e32 v38, 0
	v_mov_b64_e32 v[24:25], v[8:9]
	v_mov_b32_e32 v46, 0
	s_and_saveexec_b64 s[0:1], s[10:11]
	s_cbranch_execz .LBB173_41
; %bb.40:
	v_lshlrev_b32_e32 v5, 1, v4
	global_load_ushort v6, v5, s[30:31]
	global_load_ushort v7, v5, s[48:49]
	v_mov_b32_e32 v5, 0
	v_lshl_add_u64 v[24:25], s[36:37], 0, v[4:5]
	s_waitcnt vmcnt(0)
	v_cmp_ne_u16_e32 vcc, v6, v7
	s_nop 1
	v_cndmask_b32_e64 v46, 0, 1, vcc
.LBB173_41:
	s_or_b64 exec, exec, s[0:1]
	v_or_b32_e32 v4, 0xb00, v0
	v_cmp_gt_u32_e64 s[8:9], s50, v4
	s_and_saveexec_b64 s[0:1], s[8:9]
	s_cbranch_execz .LBB173_43
; %bb.42:
	v_lshlrev_b32_e32 v5, 1, v4
	global_load_ushort v6, v5, s[30:31]
	global_load_ushort v7, v5, s[48:49]
	v_mov_b32_e32 v5, 0
	v_lshl_add_u64 v[8:9], s[36:37], 0, v[4:5]
	s_waitcnt vmcnt(0)
	v_cmp_ne_u16_e32 vcc, v6, v7
	s_nop 1
	v_cndmask_b32_e64 v38, 0, 1, vcc
.LBB173_43:
	s_or_b64 exec, exec, s[0:1]
	v_or_b32_e32 v4, 0xc00, v0
	v_mov_b64_e32 v[6:7], 0
	v_cmp_gt_u32_e64 s[6:7], s50, v4
	v_mov_b32_e32 v37, 0
	v_mov_b32_e32 v44, 0
	v_mov_b64_e32 v[20:21], v[6:7]
	s_and_saveexec_b64 s[0:1], s[6:7]
	s_cbranch_execz .LBB173_45
; %bb.44:
	v_lshlrev_b32_e32 v5, 1, v4
	global_load_ushort v18, v5, s[30:31]
	global_load_ushort v19, v5, s[48:49]
	v_mov_b32_e32 v5, 0
	v_lshl_add_u64 v[20:21], s[36:37], 0, v[4:5]
	s_waitcnt vmcnt(0)
	v_cmp_ne_u16_e32 vcc, v18, v19
	s_nop 1
	v_cndmask_b32_e64 v44, 0, 1, vcc
.LBB173_45:
	s_or_b64 exec, exec, s[0:1]
	v_or_b32_e32 v4, 0xd00, v0
	v_cmp_gt_u32_e64 s[4:5], s50, v4
	s_and_saveexec_b64 s[0:1], s[4:5]
	s_cbranch_execz .LBB173_47
; %bb.46:
	v_lshlrev_b32_e32 v5, 1, v4
	global_load_ushort v18, v5, s[30:31]
	global_load_ushort v19, v5, s[48:49]
	v_mov_b32_e32 v5, 0
	v_lshl_add_u64 v[6:7], s[36:37], 0, v[4:5]
	s_waitcnt vmcnt(0)
	v_cmp_ne_u16_e32 vcc, v18, v19
	s_nop 1
	v_cndmask_b32_e64 v37, 0, 1, vcc
.LBB173_47:
	s_or_b64 exec, exec, s[0:1]
	v_or_b32_e32 v34, 0xe00, v0
	v_mov_b64_e32 v[4:5], 0
	v_cmp_gt_u32_e64 s[0:1], s50, v34
	v_mov_b32_e32 v36, 0
	v_mov_b32_e32 v42, 0
	v_mov_b64_e32 v[18:19], v[4:5]
	s_and_saveexec_b64 s[38:39], s[0:1]
	s_cbranch_execz .LBB173_49
; %bb.48:
	v_lshlrev_b32_e32 v18, 1, v34
	global_load_ushort v42, v18, s[30:31]
	global_load_ushort v51, v18, s[48:49]
	v_mov_b32_e32 v35, 0
	v_lshl_add_u64 v[18:19], s[36:37], 0, v[34:35]
	s_waitcnt vmcnt(0)
	v_cmp_ne_u16_e32 vcc, v42, v51
	s_nop 1
	v_cndmask_b32_e64 v42, 0, 1, vcc
.LBB173_49:
	s_or_b64 exec, exec, s[38:39]
	v_or_b32_e32 v34, 0xf00, v0
	v_cmp_gt_u32_e32 vcc, s50, v34
	s_and_saveexec_b64 s[38:39], vcc
	s_cbranch_execnz .LBB173_90
; %bb.50:
	s_or_b64 exec, exec, s[38:39]
	s_and_saveexec_b64 s[36:37], s[28:29]
	s_cbranch_execnz .LBB173_91
.LBB173_51:
	s_or_b64 exec, exec, s[36:37]
	s_and_saveexec_b64 s[30:31], s[26:27]
	s_cbranch_execnz .LBB173_92
.LBB173_52:
	s_or_b64 exec, exec, s[30:31]
	s_and_saveexec_b64 s[28:29], s[24:25]
	s_cbranch_execnz .LBB173_93
.LBB173_53:
	s_or_b64 exec, exec, s[28:29]
	s_and_saveexec_b64 s[26:27], s[22:23]
	s_cbranch_execnz .LBB173_94
.LBB173_54:
	s_or_b64 exec, exec, s[26:27]
	s_and_saveexec_b64 s[24:25], s[20:21]
	s_cbranch_execnz .LBB173_95
.LBB173_55:
	s_or_b64 exec, exec, s[24:25]
	s_and_saveexec_b64 s[22:23], s[18:19]
	s_cbranch_execnz .LBB173_96
.LBB173_56:
	s_or_b64 exec, exec, s[22:23]
	s_and_saveexec_b64 s[20:21], s[16:17]
	s_cbranch_execnz .LBB173_97
.LBB173_57:
	s_or_b64 exec, exec, s[20:21]
	s_and_saveexec_b64 s[18:19], s[14:15]
	s_cbranch_execnz .LBB173_98
.LBB173_58:
	s_or_b64 exec, exec, s[18:19]
	s_and_saveexec_b64 s[16:17], s[12:13]
	s_cbranch_execnz .LBB173_99
.LBB173_59:
	s_or_b64 exec, exec, s[16:17]
	s_and_saveexec_b64 s[14:15], s[10:11]
	s_cbranch_execnz .LBB173_100
.LBB173_60:
	s_or_b64 exec, exec, s[14:15]
	s_and_saveexec_b64 s[12:13], s[8:9]
	s_cbranch_execnz .LBB173_101
.LBB173_61:
	s_or_b64 exec, exec, s[12:13]
	s_and_saveexec_b64 s[10:11], s[6:7]
	s_cbranch_execnz .LBB173_102
.LBB173_62:
	s_or_b64 exec, exec, s[10:11]
	s_and_saveexec_b64 s[8:9], s[4:5]
	s_cbranch_execnz .LBB173_103
.LBB173_63:
	s_or_b64 exec, exec, s[8:9]
	s_and_saveexec_b64 s[6:7], s[0:1]
	s_cbranch_execnz .LBB173_104
.LBB173_64:
	s_or_b64 exec, exec, s[6:7]
	s_and_saveexec_b64 s[4:5], vcc
	s_cbranch_execz .LBB173_66
.LBB173_65:
	v_and_b32_e32 v7, 1, v36
	v_cmp_lt_i64_e32 vcc, v[4:5], v[2:3]
	v_cmp_eq_u32_e64 s[0:1], 1, v7
	v_and_b32_e32 v6, 1, v1
	s_and_b64 vcc, s[0:1], vcc
	v_cndmask_b32_e64 v1, v1, 1, s[0:1]
	v_cndmask_b32_e32 v2, v2, v4, vcc
	v_cndmask_b32_e32 v3, v3, v5, vcc
	v_cmp_eq_u32_e32 vcc, 1, v6
	s_nop 1
	v_cndmask_b32_e32 v1, v36, v1, vcc
	v_cndmask_b32_e32 v3, v5, v3, vcc
	;; [unrolled: 1-line block ×3, first 2 shown]
.LBB173_66:
	s_or_b64 exec, exec, s[4:5]
	v_mbcnt_lo_u32_b32 v4, -1, 0
	v_mbcnt_hi_u32_b32 v6, -1, v4
	v_and_b32_e32 v8, 63, v6
	v_cmp_ne_u32_e32 vcc, 63, v8
	v_and_b32_e32 v7, 0xffff, v1
	s_min_u32 s6, s50, 0x100
	v_addc_co_u32_e32 v4, vcc, 0, v6, vcc
	v_lshlrev_b32_e32 v5, 2, v4
	ds_bpermute_b32 v11, v5, v7
	ds_bpermute_b32 v4, v5, v2
	;; [unrolled: 1-line block ×3, first 2 shown]
	v_and_b32_e32 v9, 0xc0, v0
	v_sub_u32_e64 v10, s6, v9 clamp
	v_add_u32_e32 v9, 1, v8
	v_cmp_lt_u32_e32 vcc, v9, v10
	v_mov_b32_e32 v9, v7
	s_and_saveexec_b64 s[0:1], vcc
	s_xor_b64 s[4:5], exec, s[0:1]
	s_cbranch_execz .LBB173_68
; %bb.67:
	s_waitcnt lgkmcnt(0)
	v_and_b32_e32 v9, 1, v11
	v_cmp_lt_i64_e32 vcc, v[4:5], v[2:3]
	v_cmp_eq_u32_e64 s[0:1], 1, v9
	v_and_b32_e32 v1, 1, v1
	s_and_b64 vcc, s[0:1], vcc
	v_cndmask_b32_e64 v7, v7, 1, s[0:1]
	v_cndmask_b32_e32 v2, v2, v4, vcc
	v_cndmask_b32_e32 v3, v3, v5, vcc
	v_cmp_eq_u32_e32 vcc, 1, v1
	s_nop 1
	v_cndmask_b32_e32 v9, v11, v7, vcc
	v_cndmask_b32_e32 v3, v5, v3, vcc
	;; [unrolled: 1-line block ×3, first 2 shown]
	v_and_b32_e32 v7, 0xff, v9
.LBB173_68:
	s_or_b64 exec, exec, s[4:5]
	v_cmp_gt_u32_e32 vcc, 62, v8
	s_waitcnt lgkmcnt(0)
	v_add_u32_e32 v11, 2, v8
	v_cndmask_b32_e64 v1, 0, 1, vcc
	v_lshlrev_b32_e32 v1, 1, v1
	v_add_lshl_u32 v5, v1, v6, 2
	ds_bpermute_b32 v1, v5, v7
	ds_bpermute_b32 v4, v5, v2
	ds_bpermute_b32 v5, v5, v3
	v_cmp_lt_u32_e32 vcc, v11, v10
	s_and_saveexec_b64 s[4:5], vcc
	s_cbranch_execz .LBB173_70
; %bb.69:
	s_waitcnt lgkmcnt(2)
	v_and_b32_e32 v11, 1, v1
	s_waitcnt lgkmcnt(0)
	v_cmp_lt_i64_e32 vcc, v[4:5], v[2:3]
	v_cmp_eq_u32_e64 s[0:1], 1, v11
	v_and_b32_e32 v7, 1, v9
	s_and_b64 vcc, s[0:1], vcc
	v_cndmask_b32_e64 v9, v9, 1, s[0:1]
	v_cndmask_b32_e32 v2, v2, v4, vcc
	v_cndmask_b32_e32 v3, v3, v5, vcc
	v_cmp_eq_u32_e32 vcc, 1, v7
	s_nop 1
	v_cndmask_b32_e32 v9, v1, v9, vcc
	v_cndmask_b32_e32 v3, v5, v3, vcc
	v_cndmask_b32_e32 v2, v4, v2, vcc
	v_and_b32_e32 v7, 0xff, v9
.LBB173_70:
	s_or_b64 exec, exec, s[4:5]
	v_cmp_gt_u32_e32 vcc, 60, v8
	v_add_u32_e32 v11, 4, v8
	s_waitcnt lgkmcnt(2)
	v_cndmask_b32_e64 v1, 0, 1, vcc
	v_lshlrev_b32_e32 v1, 2, v1
	s_waitcnt lgkmcnt(0)
	v_add_lshl_u32 v5, v1, v6, 2
	ds_bpermute_b32 v1, v5, v7
	ds_bpermute_b32 v4, v5, v2
	ds_bpermute_b32 v5, v5, v3
	v_cmp_lt_u32_e32 vcc, v11, v10
	s_and_saveexec_b64 s[4:5], vcc
	s_cbranch_execz .LBB173_72
; %bb.71:
	s_waitcnt lgkmcnt(2)
	v_and_b32_e32 v11, 1, v1
	s_waitcnt lgkmcnt(0)
	v_cmp_lt_i64_e32 vcc, v[4:5], v[2:3]
	v_cmp_eq_u32_e64 s[0:1], 1, v11
	v_and_b32_e32 v7, 1, v9
	s_and_b64 vcc, s[0:1], vcc
	v_cndmask_b32_e64 v9, v9, 1, s[0:1]
	v_cndmask_b32_e32 v2, v2, v4, vcc
	v_cndmask_b32_e32 v3, v3, v5, vcc
	v_cmp_eq_u32_e32 vcc, 1, v7
	s_nop 1
	v_cndmask_b32_e32 v9, v1, v9, vcc
	v_cndmask_b32_e32 v3, v5, v3, vcc
	v_cndmask_b32_e32 v2, v4, v2, vcc
	v_and_b32_e32 v7, 0xff, v9
.LBB173_72:
	s_or_b64 exec, exec, s[4:5]
	v_cmp_gt_u32_e32 vcc, 56, v8
	v_add_u32_e32 v11, 8, v8
	s_waitcnt lgkmcnt(2)
	v_cndmask_b32_e64 v1, 0, 1, vcc
	v_lshlrev_b32_e32 v1, 3, v1
	s_waitcnt lgkmcnt(0)
	;; [unrolled: 32-line block ×4, first 2 shown]
	v_add_lshl_u32 v5, v1, v6, 2
	ds_bpermute_b32 v1, v5, v7
	ds_bpermute_b32 v4, v5, v2
	;; [unrolled: 1-line block ×3, first 2 shown]
	v_cmp_lt_u32_e32 vcc, v8, v10
	s_and_saveexec_b64 s[4:5], vcc
	s_cbranch_execz .LBB173_78
; %bb.77:
	s_waitcnt lgkmcnt(2)
	v_and_b32_e32 v8, 1, v1
	s_waitcnt lgkmcnt(0)
	v_cmp_lt_i64_e32 vcc, v[4:5], v[2:3]
	v_cmp_eq_u32_e64 s[0:1], 1, v8
	v_and_b32_e32 v7, 1, v9
	s_and_b64 vcc, s[0:1], vcc
	v_cndmask_b32_e64 v8, v9, 1, s[0:1]
	v_cndmask_b32_e32 v2, v2, v4, vcc
	v_cndmask_b32_e32 v3, v3, v5, vcc
	v_cmp_eq_u32_e32 vcc, 1, v7
	s_nop 1
	v_cndmask_b32_e32 v9, v1, v8, vcc
	v_cndmask_b32_e32 v3, v5, v3, vcc
	;; [unrolled: 1-line block ×3, first 2 shown]
	v_and_b32_e32 v7, 0xff, v9
.LBB173_78:
	s_or_b64 exec, exec, s[4:5]
	v_cmp_eq_u32_e32 vcc, 0, v6
	s_and_saveexec_b64 s[0:1], vcc
	s_cbranch_execz .LBB173_80
; %bb.79:
	s_waitcnt lgkmcnt(2)
	v_lshrrev_b32_e32 v1, 2, v0
	v_and_b32_e32 v1, 48, v1
	ds_write_b8 v1, v9 offset:64
	ds_write_b64 v1, v[2:3] offset:72
.LBB173_80:
	s_or_b64 exec, exec, s[0:1]
	v_cmp_gt_u32_e32 vcc, 4, v0
	s_waitcnt lgkmcnt(0)
	s_barrier
	s_and_saveexec_b64 s[4:5], vcc
	s_cbranch_execz .LBB173_86
; %bb.81:
	v_lshlrev_b32_e32 v2, 4, v6
	ds_read_u8 v1, v2 offset:64
	ds_read_b64 v[2:3], v2 offset:72
	v_and_b32_e32 v8, 3, v6
	v_cmp_ne_u32_e32 vcc, 3, v8
	s_add_i32 s6, s6, 63
	s_waitcnt lgkmcnt(1)
	v_and_b32_e32 v7, 0xff, v1
	v_addc_co_u32_e32 v4, vcc, 0, v6, vcc
	v_lshlrev_b32_e32 v5, 2, v4
	ds_bpermute_b32 v9, v5, v7
	s_waitcnt lgkmcnt(1)
	ds_bpermute_b32 v4, v5, v2
	ds_bpermute_b32 v5, v5, v3
	s_lshr_b32 s8, s6, 6
	v_add_u32_e32 v10, 1, v8
	v_cmp_gt_u32_e32 vcc, s8, v10
	s_and_saveexec_b64 s[6:7], vcc
	s_cbranch_execz .LBB173_83
; %bb.82:
	s_waitcnt lgkmcnt(2)
	v_and_b32_e32 v10, 1, v9
	s_waitcnt lgkmcnt(0)
	v_cmp_lt_i64_e32 vcc, v[4:5], v[2:3]
	v_cmp_eq_u32_e64 s[0:1], 1, v10
	v_and_b32_e32 v7, 1, v1
	s_and_b64 vcc, s[0:1], vcc
	v_cndmask_b32_e64 v1, v1, 1, s[0:1]
	v_cndmask_b32_e32 v2, v2, v4, vcc
	v_cndmask_b32_e32 v3, v3, v5, vcc
	v_cmp_eq_u32_e32 vcc, 1, v7
	s_nop 1
	v_cndmask_b32_e32 v1, v9, v1, vcc
	v_cndmask_b32_e32 v3, v5, v3, vcc
	;; [unrolled: 1-line block ×3, first 2 shown]
	v_and_b32_e32 v7, 0xff, v1
.LBB173_83:
	s_or_b64 exec, exec, s[6:7]
	v_cmp_gt_u32_e32 vcc, 2, v8
	v_add_u32_e32 v8, 2, v8
	s_waitcnt lgkmcnt(1)
	v_cndmask_b32_e64 v4, 0, 1, vcc
	v_lshlrev_b32_e32 v4, 1, v4
	s_waitcnt lgkmcnt(0)
	v_add_lshl_u32 v5, v4, v6, 2
	ds_bpermute_b32 v6, v5, v7
	ds_bpermute_b32 v4, v5, v2
	;; [unrolled: 1-line block ×3, first 2 shown]
	v_cmp_gt_u32_e32 vcc, s8, v8
	s_and_saveexec_b64 s[6:7], vcc
	s_cbranch_execz .LBB173_85
; %bb.84:
	s_waitcnt lgkmcnt(2)
	v_and_b32_e32 v8, 1, v6
	s_waitcnt lgkmcnt(0)
	v_cmp_lt_i64_e32 vcc, v[4:5], v[2:3]
	v_cmp_eq_u32_e64 s[0:1], 1, v8
	v_and_b32_e32 v7, 1, v1
	s_and_b64 vcc, s[0:1], vcc
	v_cndmask_b32_e64 v1, v1, 1, s[0:1]
	v_cndmask_b32_e32 v2, v2, v4, vcc
	v_cndmask_b32_e32 v3, v3, v5, vcc
	v_cmp_eq_u32_e32 vcc, 1, v7
	s_nop 1
	v_cndmask_b32_e32 v1, v6, v1, vcc
	v_cndmask_b32_e32 v3, v5, v3, vcc
	;; [unrolled: 1-line block ×3, first 2 shown]
	v_and_b32_e32 v7, 0xff, v1
.LBB173_85:
	s_or_b64 exec, exec, s[6:7]
.LBB173_86:
	s_or_b64 exec, exec, s[4:5]
.LBB173_87:
	v_cmp_eq_u32_e32 vcc, 0, v0
	s_and_saveexec_b64 s[0:1], vcc
	s_cbranch_execnz .LBB173_89
; %bb.88:
	s_endpgm
.LBB173_89:
	s_mul_i32 s0, s46, s45
	s_mul_hi_u32 s1, s46, s44
	s_add_i32 s0, s1, s0
	s_mul_i32 s1, s47, s44
	s_add_i32 s1, s0, s1
	s_mul_i32 s0, s46, s44
	s_lshl_b64 s[0:1], s[0:1], 4
	s_add_u32 s4, s42, s0
	s_addc_u32 s5, s43, s1
	s_cmp_eq_u64 s[40:41], 0
	s_waitcnt lgkmcnt(0)
	v_mov_b32_e32 v0, s35
	s_cselect_b64 vcc, -1, 0
	v_cndmask_b32_e32 v1, v3, v0, vcc
	v_mov_b32_e32 v0, s34
	s_lshl_b64 s[0:1], s[2:3], 4
	v_cndmask_b32_e32 v0, v2, v0, vcc
	v_mov_b32_e32 v2, s33
	s_add_u32 s0, s4, s0
	v_cndmask_b32_e32 v2, v7, v2, vcc
	s_addc_u32 s1, s5, s1
	v_mov_b32_e32 v3, 0
	global_store_byte v3, v2, s[0:1]
	global_store_dwordx2 v3, v[0:1], s[0:1] offset:8
	s_endpgm
.LBB173_90:
	v_lshlrev_b32_e32 v4, 1, v34
	global_load_ushort v36, v4, s[30:31]
	global_load_ushort v51, v4, s[48:49]
	v_mov_b32_e32 v35, 0
	v_lshl_add_u64 v[4:5], s[36:37], 0, v[34:35]
	s_waitcnt vmcnt(0)
	v_cmp_ne_u16_e64 s[30:31], v36, v51
	s_nop 1
	v_cndmask_b32_e64 v36, 0, 1, s[30:31]
	s_or_b64 exec, exec, s[38:39]
	s_and_saveexec_b64 s[36:37], s[28:29]
	s_cbranch_execz .LBB173_51
.LBB173_91:
	v_and_b32_e32 v35, 1, v45
	v_cmp_lt_i64_e64 s[28:29], v[22:23], v[2:3]
	v_cmp_eq_u32_e64 s[30:31], 1, v35
	v_and_b32_e32 v34, 1, v1
	s_and_b64 s[28:29], s[30:31], s[28:29]
	v_cndmask_b32_e64 v1, v1, 1, s[30:31]
	v_cndmask_b32_e64 v2, v2, v22, s[28:29]
	;; [unrolled: 1-line block ×3, first 2 shown]
	v_cmp_eq_u32_e64 s[28:29], 1, v34
	s_nop 1
	v_cndmask_b32_e64 v1, v45, v1, s[28:29]
	v_cndmask_b32_e64 v3, v23, v3, s[28:29]
	;; [unrolled: 1-line block ×3, first 2 shown]
	s_or_b64 exec, exec, s[36:37]
	s_and_saveexec_b64 s[30:31], s[26:27]
	s_cbranch_execz .LBB173_52
.LBB173_92:
	v_and_b32_e32 v23, 1, v50
	v_cmp_lt_i64_e64 s[26:27], v[32:33], v[2:3]
	v_cmp_eq_u32_e64 s[28:29], 1, v23
	v_and_b32_e32 v22, 1, v1
	s_and_b64 s[26:27], s[28:29], s[26:27]
	v_cndmask_b32_e64 v1, v1, 1, s[28:29]
	v_cndmask_b32_e64 v2, v2, v32, s[26:27]
	v_cndmask_b32_e64 v3, v3, v33, s[26:27]
	v_cmp_eq_u32_e64 s[26:27], 1, v22
	s_nop 1
	v_cndmask_b32_e64 v1, v50, v1, s[26:27]
	v_cndmask_b32_e64 v3, v33, v3, s[26:27]
	;; [unrolled: 1-line block ×3, first 2 shown]
	s_or_b64 exec, exec, s[30:31]
	s_and_saveexec_b64 s[28:29], s[24:25]
	s_cbranch_execz .LBB173_53
.LBB173_93:
	v_and_b32_e32 v23, 1, v43
	v_cmp_lt_i64_e64 s[24:25], v[16:17], v[2:3]
	v_cmp_eq_u32_e64 s[26:27], 1, v23
	v_and_b32_e32 v22, 1, v1
	s_and_b64 s[24:25], s[26:27], s[24:25]
	v_cndmask_b32_e64 v1, v1, 1, s[26:27]
	v_cndmask_b32_e64 v2, v2, v16, s[24:25]
	;; [unrolled: 1-line block ×3, first 2 shown]
	v_cmp_eq_u32_e64 s[24:25], 1, v22
	s_nop 1
	v_cndmask_b32_e64 v1, v43, v1, s[24:25]
	v_cndmask_b32_e64 v3, v17, v3, s[24:25]
	;; [unrolled: 1-line block ×3, first 2 shown]
	s_or_b64 exec, exec, s[28:29]
	s_and_saveexec_b64 s[26:27], s[22:23]
	s_cbranch_execz .LBB173_54
.LBB173_94:
	v_and_b32_e32 v17, 1, v49
	v_cmp_lt_i64_e64 s[22:23], v[30:31], v[2:3]
	v_cmp_eq_u32_e64 s[24:25], 1, v17
	v_and_b32_e32 v16, 1, v1
	s_and_b64 s[22:23], s[24:25], s[22:23]
	v_cndmask_b32_e64 v1, v1, 1, s[24:25]
	v_cndmask_b32_e64 v2, v2, v30, s[22:23]
	;; [unrolled: 1-line block ×3, first 2 shown]
	v_cmp_eq_u32_e64 s[22:23], 1, v16
	s_nop 1
	v_cndmask_b32_e64 v1, v49, v1, s[22:23]
	v_cndmask_b32_e64 v3, v31, v3, s[22:23]
	;; [unrolled: 1-line block ×3, first 2 shown]
	s_or_b64 exec, exec, s[26:27]
	s_and_saveexec_b64 s[24:25], s[20:21]
	s_cbranch_execz .LBB173_55
.LBB173_95:
	v_and_b32_e32 v17, 1, v41
	v_cmp_lt_i64_e64 s[20:21], v[14:15], v[2:3]
	v_cmp_eq_u32_e64 s[22:23], 1, v17
	v_and_b32_e32 v16, 1, v1
	s_and_b64 s[20:21], s[22:23], s[20:21]
	v_cndmask_b32_e64 v1, v1, 1, s[22:23]
	v_cndmask_b32_e64 v2, v2, v14, s[20:21]
	;; [unrolled: 1-line block ×3, first 2 shown]
	v_cmp_eq_u32_e64 s[20:21], 1, v16
	s_nop 1
	v_cndmask_b32_e64 v1, v41, v1, s[20:21]
	v_cndmask_b32_e64 v3, v15, v3, s[20:21]
	;; [unrolled: 1-line block ×3, first 2 shown]
	s_or_b64 exec, exec, s[24:25]
	s_and_saveexec_b64 s[22:23], s[18:19]
	s_cbranch_execz .LBB173_56
.LBB173_96:
	v_and_b32_e32 v15, 1, v48
	v_cmp_lt_i64_e64 s[18:19], v[28:29], v[2:3]
	v_cmp_eq_u32_e64 s[20:21], 1, v15
	v_and_b32_e32 v14, 1, v1
	s_and_b64 s[18:19], s[20:21], s[18:19]
	v_cndmask_b32_e64 v1, v1, 1, s[20:21]
	v_cndmask_b32_e64 v2, v2, v28, s[18:19]
	;; [unrolled: 1-line block ×3, first 2 shown]
	v_cmp_eq_u32_e64 s[18:19], 1, v14
	s_nop 1
	v_cndmask_b32_e64 v1, v48, v1, s[18:19]
	v_cndmask_b32_e64 v3, v29, v3, s[18:19]
	v_cndmask_b32_e64 v2, v28, v2, s[18:19]
	s_or_b64 exec, exec, s[22:23]
	s_and_saveexec_b64 s[20:21], s[16:17]
	s_cbranch_execz .LBB173_57
.LBB173_97:
	v_and_b32_e32 v15, 1, v40
	v_cmp_lt_i64_e64 s[16:17], v[12:13], v[2:3]
	v_cmp_eq_u32_e64 s[18:19], 1, v15
	v_and_b32_e32 v14, 1, v1
	s_and_b64 s[16:17], s[18:19], s[16:17]
	v_cndmask_b32_e64 v1, v1, 1, s[18:19]
	v_cndmask_b32_e64 v2, v2, v12, s[16:17]
	;; [unrolled: 1-line block ×3, first 2 shown]
	v_cmp_eq_u32_e64 s[16:17], 1, v14
	s_nop 1
	v_cndmask_b32_e64 v1, v40, v1, s[16:17]
	v_cndmask_b32_e64 v3, v13, v3, s[16:17]
	;; [unrolled: 1-line block ×3, first 2 shown]
	s_or_b64 exec, exec, s[20:21]
	s_and_saveexec_b64 s[18:19], s[14:15]
	s_cbranch_execz .LBB173_58
.LBB173_98:
	v_and_b32_e32 v13, 1, v47
	v_cmp_lt_i64_e64 s[14:15], v[26:27], v[2:3]
	v_cmp_eq_u32_e64 s[16:17], 1, v13
	v_and_b32_e32 v12, 1, v1
	s_and_b64 s[14:15], s[16:17], s[14:15]
	v_cndmask_b32_e64 v1, v1, 1, s[16:17]
	v_cndmask_b32_e64 v2, v2, v26, s[14:15]
	;; [unrolled: 1-line block ×3, first 2 shown]
	v_cmp_eq_u32_e64 s[14:15], 1, v12
	s_nop 1
	v_cndmask_b32_e64 v1, v47, v1, s[14:15]
	v_cndmask_b32_e64 v3, v27, v3, s[14:15]
	;; [unrolled: 1-line block ×3, first 2 shown]
	s_or_b64 exec, exec, s[18:19]
	s_and_saveexec_b64 s[16:17], s[12:13]
	s_cbranch_execz .LBB173_59
.LBB173_99:
	v_and_b32_e32 v13, 1, v39
	v_cmp_lt_i64_e64 s[12:13], v[10:11], v[2:3]
	v_cmp_eq_u32_e64 s[14:15], 1, v13
	v_and_b32_e32 v12, 1, v1
	s_and_b64 s[12:13], s[14:15], s[12:13]
	v_cndmask_b32_e64 v1, v1, 1, s[14:15]
	v_cndmask_b32_e64 v2, v2, v10, s[12:13]
	;; [unrolled: 1-line block ×3, first 2 shown]
	v_cmp_eq_u32_e64 s[12:13], 1, v12
	s_nop 1
	v_cndmask_b32_e64 v1, v39, v1, s[12:13]
	v_cndmask_b32_e64 v3, v11, v3, s[12:13]
	;; [unrolled: 1-line block ×3, first 2 shown]
	s_or_b64 exec, exec, s[16:17]
	s_and_saveexec_b64 s[14:15], s[10:11]
	s_cbranch_execz .LBB173_60
.LBB173_100:
	v_and_b32_e32 v11, 1, v46
	v_cmp_lt_i64_e64 s[10:11], v[24:25], v[2:3]
	v_cmp_eq_u32_e64 s[12:13], 1, v11
	v_and_b32_e32 v10, 1, v1
	s_and_b64 s[10:11], s[12:13], s[10:11]
	v_cndmask_b32_e64 v1, v1, 1, s[12:13]
	v_cndmask_b32_e64 v2, v2, v24, s[10:11]
	;; [unrolled: 1-line block ×3, first 2 shown]
	v_cmp_eq_u32_e64 s[10:11], 1, v10
	s_nop 1
	v_cndmask_b32_e64 v1, v46, v1, s[10:11]
	v_cndmask_b32_e64 v3, v25, v3, s[10:11]
	v_cndmask_b32_e64 v2, v24, v2, s[10:11]
	s_or_b64 exec, exec, s[14:15]
	s_and_saveexec_b64 s[12:13], s[8:9]
	s_cbranch_execz .LBB173_61
.LBB173_101:
	v_and_b32_e32 v11, 1, v38
	v_cmp_lt_i64_e64 s[8:9], v[8:9], v[2:3]
	v_cmp_eq_u32_e64 s[10:11], 1, v11
	v_and_b32_e32 v10, 1, v1
	s_and_b64 s[8:9], s[10:11], s[8:9]
	v_cndmask_b32_e64 v1, v1, 1, s[10:11]
	v_cndmask_b32_e64 v2, v2, v8, s[8:9]
	v_cndmask_b32_e64 v3, v3, v9, s[8:9]
	v_cmp_eq_u32_e64 s[8:9], 1, v10
	s_nop 1
	v_cndmask_b32_e64 v1, v38, v1, s[8:9]
	v_cndmask_b32_e64 v3, v9, v3, s[8:9]
	;; [unrolled: 1-line block ×3, first 2 shown]
	s_or_b64 exec, exec, s[12:13]
	s_and_saveexec_b64 s[10:11], s[6:7]
	s_cbranch_execz .LBB173_62
.LBB173_102:
	v_and_b32_e32 v9, 1, v44
	v_cmp_lt_i64_e64 s[6:7], v[20:21], v[2:3]
	v_cmp_eq_u32_e64 s[8:9], 1, v9
	v_and_b32_e32 v8, 1, v1
	s_and_b64 s[6:7], s[8:9], s[6:7]
	v_cndmask_b32_e64 v1, v1, 1, s[8:9]
	v_cndmask_b32_e64 v2, v2, v20, s[6:7]
	;; [unrolled: 1-line block ×3, first 2 shown]
	v_cmp_eq_u32_e64 s[6:7], 1, v8
	s_nop 1
	v_cndmask_b32_e64 v1, v44, v1, s[6:7]
	v_cndmask_b32_e64 v3, v21, v3, s[6:7]
	;; [unrolled: 1-line block ×3, first 2 shown]
	s_or_b64 exec, exec, s[10:11]
	s_and_saveexec_b64 s[8:9], s[4:5]
	s_cbranch_execz .LBB173_63
.LBB173_103:
	v_and_b32_e32 v9, 1, v37
	v_cmp_lt_i64_e64 s[4:5], v[6:7], v[2:3]
	v_cmp_eq_u32_e64 s[6:7], 1, v9
	v_and_b32_e32 v8, 1, v1
	s_and_b64 s[4:5], s[6:7], s[4:5]
	v_cndmask_b32_e64 v1, v1, 1, s[6:7]
	v_cndmask_b32_e64 v2, v2, v6, s[4:5]
	;; [unrolled: 1-line block ×3, first 2 shown]
	v_cmp_eq_u32_e64 s[4:5], 1, v8
	s_nop 1
	v_cndmask_b32_e64 v1, v37, v1, s[4:5]
	v_cndmask_b32_e64 v3, v7, v3, s[4:5]
	;; [unrolled: 1-line block ×3, first 2 shown]
	s_or_b64 exec, exec, s[8:9]
	s_and_saveexec_b64 s[6:7], s[0:1]
	s_cbranch_execz .LBB173_64
.LBB173_104:
	v_and_b32_e32 v7, 1, v42
	v_cmp_lt_i64_e64 s[0:1], v[18:19], v[2:3]
	v_cmp_eq_u32_e64 s[4:5], 1, v7
	v_and_b32_e32 v6, 1, v1
	s_and_b64 s[0:1], s[4:5], s[0:1]
	v_cndmask_b32_e64 v1, v1, 1, s[4:5]
	v_cndmask_b32_e64 v2, v2, v18, s[0:1]
	;; [unrolled: 1-line block ×3, first 2 shown]
	v_cmp_eq_u32_e64 s[0:1], 1, v6
	s_nop 1
	v_cndmask_b32_e64 v1, v42, v1, s[0:1]
	v_cndmask_b32_e64 v3, v19, v3, s[0:1]
	v_cndmask_b32_e64 v2, v18, v2, s[0:1]
	s_or_b64 exec, exec, s[6:7]
	s_and_saveexec_b64 s[4:5], vcc
	s_cbranch_execnz .LBB173_65
	s_branch .LBB173_66
	.section	.rodata,"a",@progbits
	.p2align	6, 0x0
	.amdhsa_kernel _ZN7rocprim17ROCPRIM_400000_NS6detail17trampoline_kernelINS0_14default_configENS1_22reduce_config_selectorIN6thrust23THRUST_200600_302600_NS5tupleIblNS6_9null_typeES8_S8_S8_S8_S8_S8_S8_EEEEZNS1_11reduce_implILb1ES3_NS6_12zip_iteratorINS7_INS6_11hip_rocprim26transform_input_iterator_tIbNSD_35transform_pair_of_input_iterators_tIbNS6_6detail15normal_iteratorINS6_10device_ptrIKsEEEESL_NS6_8equal_toIsEEEENSG_9not_fun_tINSD_8identityEEEEENSD_19counting_iterator_tIlEES8_S8_S8_S8_S8_S8_S8_S8_EEEEPS9_S9_NSD_9__find_if7functorIS9_EEEE10hipError_tPvRmT1_T2_T3_mT4_P12ihipStream_tbEUlT_E0_NS1_11comp_targetILNS1_3genE5ELNS1_11target_archE942ELNS1_3gpuE9ELNS1_3repE0EEENS1_30default_config_static_selectorELNS0_4arch9wavefront6targetE1EEEvS14_
		.amdhsa_group_segment_fixed_size 128
		.amdhsa_private_segment_fixed_size 0
		.amdhsa_kernarg_size 104
		.amdhsa_user_sgpr_count 2
		.amdhsa_user_sgpr_dispatch_ptr 0
		.amdhsa_user_sgpr_queue_ptr 0
		.amdhsa_user_sgpr_kernarg_segment_ptr 1
		.amdhsa_user_sgpr_dispatch_id 0
		.amdhsa_user_sgpr_kernarg_preload_length 0
		.amdhsa_user_sgpr_kernarg_preload_offset 0
		.amdhsa_user_sgpr_private_segment_size 0
		.amdhsa_uses_dynamic_stack 0
		.amdhsa_enable_private_segment 0
		.amdhsa_system_sgpr_workgroup_id_x 1
		.amdhsa_system_sgpr_workgroup_id_y 0
		.amdhsa_system_sgpr_workgroup_id_z 0
		.amdhsa_system_sgpr_workgroup_info 0
		.amdhsa_system_vgpr_workitem_id 0
		.amdhsa_next_free_vgpr 52
		.amdhsa_next_free_sgpr 51
		.amdhsa_accum_offset 52
		.amdhsa_reserve_vcc 1
		.amdhsa_float_round_mode_32 0
		.amdhsa_float_round_mode_16_64 0
		.amdhsa_float_denorm_mode_32 3
		.amdhsa_float_denorm_mode_16_64 3
		.amdhsa_dx10_clamp 1
		.amdhsa_ieee_mode 1
		.amdhsa_fp16_overflow 0
		.amdhsa_tg_split 0
		.amdhsa_exception_fp_ieee_invalid_op 0
		.amdhsa_exception_fp_denorm_src 0
		.amdhsa_exception_fp_ieee_div_zero 0
		.amdhsa_exception_fp_ieee_overflow 0
		.amdhsa_exception_fp_ieee_underflow 0
		.amdhsa_exception_fp_ieee_inexact 0
		.amdhsa_exception_int_div_zero 0
	.end_amdhsa_kernel
	.section	.text._ZN7rocprim17ROCPRIM_400000_NS6detail17trampoline_kernelINS0_14default_configENS1_22reduce_config_selectorIN6thrust23THRUST_200600_302600_NS5tupleIblNS6_9null_typeES8_S8_S8_S8_S8_S8_S8_EEEEZNS1_11reduce_implILb1ES3_NS6_12zip_iteratorINS7_INS6_11hip_rocprim26transform_input_iterator_tIbNSD_35transform_pair_of_input_iterators_tIbNS6_6detail15normal_iteratorINS6_10device_ptrIKsEEEESL_NS6_8equal_toIsEEEENSG_9not_fun_tINSD_8identityEEEEENSD_19counting_iterator_tIlEES8_S8_S8_S8_S8_S8_S8_S8_EEEEPS9_S9_NSD_9__find_if7functorIS9_EEEE10hipError_tPvRmT1_T2_T3_mT4_P12ihipStream_tbEUlT_E0_NS1_11comp_targetILNS1_3genE5ELNS1_11target_archE942ELNS1_3gpuE9ELNS1_3repE0EEENS1_30default_config_static_selectorELNS0_4arch9wavefront6targetE1EEEvS14_,"axG",@progbits,_ZN7rocprim17ROCPRIM_400000_NS6detail17trampoline_kernelINS0_14default_configENS1_22reduce_config_selectorIN6thrust23THRUST_200600_302600_NS5tupleIblNS6_9null_typeES8_S8_S8_S8_S8_S8_S8_EEEEZNS1_11reduce_implILb1ES3_NS6_12zip_iteratorINS7_INS6_11hip_rocprim26transform_input_iterator_tIbNSD_35transform_pair_of_input_iterators_tIbNS6_6detail15normal_iteratorINS6_10device_ptrIKsEEEESL_NS6_8equal_toIsEEEENSG_9not_fun_tINSD_8identityEEEEENSD_19counting_iterator_tIlEES8_S8_S8_S8_S8_S8_S8_S8_EEEEPS9_S9_NSD_9__find_if7functorIS9_EEEE10hipError_tPvRmT1_T2_T3_mT4_P12ihipStream_tbEUlT_E0_NS1_11comp_targetILNS1_3genE5ELNS1_11target_archE942ELNS1_3gpuE9ELNS1_3repE0EEENS1_30default_config_static_selectorELNS0_4arch9wavefront6targetE1EEEvS14_,comdat
.Lfunc_end173:
	.size	_ZN7rocprim17ROCPRIM_400000_NS6detail17trampoline_kernelINS0_14default_configENS1_22reduce_config_selectorIN6thrust23THRUST_200600_302600_NS5tupleIblNS6_9null_typeES8_S8_S8_S8_S8_S8_S8_EEEEZNS1_11reduce_implILb1ES3_NS6_12zip_iteratorINS7_INS6_11hip_rocprim26transform_input_iterator_tIbNSD_35transform_pair_of_input_iterators_tIbNS6_6detail15normal_iteratorINS6_10device_ptrIKsEEEESL_NS6_8equal_toIsEEEENSG_9not_fun_tINSD_8identityEEEEENSD_19counting_iterator_tIlEES8_S8_S8_S8_S8_S8_S8_S8_EEEEPS9_S9_NSD_9__find_if7functorIS9_EEEE10hipError_tPvRmT1_T2_T3_mT4_P12ihipStream_tbEUlT_E0_NS1_11comp_targetILNS1_3genE5ELNS1_11target_archE942ELNS1_3gpuE9ELNS1_3repE0EEENS1_30default_config_static_selectorELNS0_4arch9wavefront6targetE1EEEvS14_, .Lfunc_end173-_ZN7rocprim17ROCPRIM_400000_NS6detail17trampoline_kernelINS0_14default_configENS1_22reduce_config_selectorIN6thrust23THRUST_200600_302600_NS5tupleIblNS6_9null_typeES8_S8_S8_S8_S8_S8_S8_EEEEZNS1_11reduce_implILb1ES3_NS6_12zip_iteratorINS7_INS6_11hip_rocprim26transform_input_iterator_tIbNSD_35transform_pair_of_input_iterators_tIbNS6_6detail15normal_iteratorINS6_10device_ptrIKsEEEESL_NS6_8equal_toIsEEEENSG_9not_fun_tINSD_8identityEEEEENSD_19counting_iterator_tIlEES8_S8_S8_S8_S8_S8_S8_S8_EEEEPS9_S9_NSD_9__find_if7functorIS9_EEEE10hipError_tPvRmT1_T2_T3_mT4_P12ihipStream_tbEUlT_E0_NS1_11comp_targetILNS1_3genE5ELNS1_11target_archE942ELNS1_3gpuE9ELNS1_3repE0EEENS1_30default_config_static_selectorELNS0_4arch9wavefront6targetE1EEEvS14_
                                        ; -- End function
	.section	.AMDGPU.csdata,"",@progbits
; Kernel info:
; codeLenInByte = 6432
; NumSgprs: 57
; NumVgprs: 52
; NumAgprs: 0
; TotalNumVgprs: 52
; ScratchSize: 0
; MemoryBound: 0
; FloatMode: 240
; IeeeMode: 1
; LDSByteSize: 128 bytes/workgroup (compile time only)
; SGPRBlocks: 7
; VGPRBlocks: 6
; NumSGPRsForWavesPerEU: 57
; NumVGPRsForWavesPerEU: 52
; AccumOffset: 52
; Occupancy: 8
; WaveLimiterHint : 0
; COMPUTE_PGM_RSRC2:SCRATCH_EN: 0
; COMPUTE_PGM_RSRC2:USER_SGPR: 2
; COMPUTE_PGM_RSRC2:TRAP_HANDLER: 0
; COMPUTE_PGM_RSRC2:TGID_X_EN: 1
; COMPUTE_PGM_RSRC2:TGID_Y_EN: 0
; COMPUTE_PGM_RSRC2:TGID_Z_EN: 0
; COMPUTE_PGM_RSRC2:TIDIG_COMP_CNT: 0
; COMPUTE_PGM_RSRC3_GFX90A:ACCUM_OFFSET: 12
; COMPUTE_PGM_RSRC3_GFX90A:TG_SPLIT: 0
	.section	.text._ZN7rocprim17ROCPRIM_400000_NS6detail17trampoline_kernelINS0_14default_configENS1_22reduce_config_selectorIN6thrust23THRUST_200600_302600_NS5tupleIblNS6_9null_typeES8_S8_S8_S8_S8_S8_S8_EEEEZNS1_11reduce_implILb1ES3_NS6_12zip_iteratorINS7_INS6_11hip_rocprim26transform_input_iterator_tIbNSD_35transform_pair_of_input_iterators_tIbNS6_6detail15normal_iteratorINS6_10device_ptrIKsEEEESL_NS6_8equal_toIsEEEENSG_9not_fun_tINSD_8identityEEEEENSD_19counting_iterator_tIlEES8_S8_S8_S8_S8_S8_S8_S8_EEEEPS9_S9_NSD_9__find_if7functorIS9_EEEE10hipError_tPvRmT1_T2_T3_mT4_P12ihipStream_tbEUlT_E0_NS1_11comp_targetILNS1_3genE4ELNS1_11target_archE910ELNS1_3gpuE8ELNS1_3repE0EEENS1_30default_config_static_selectorELNS0_4arch9wavefront6targetE1EEEvS14_,"axG",@progbits,_ZN7rocprim17ROCPRIM_400000_NS6detail17trampoline_kernelINS0_14default_configENS1_22reduce_config_selectorIN6thrust23THRUST_200600_302600_NS5tupleIblNS6_9null_typeES8_S8_S8_S8_S8_S8_S8_EEEEZNS1_11reduce_implILb1ES3_NS6_12zip_iteratorINS7_INS6_11hip_rocprim26transform_input_iterator_tIbNSD_35transform_pair_of_input_iterators_tIbNS6_6detail15normal_iteratorINS6_10device_ptrIKsEEEESL_NS6_8equal_toIsEEEENSG_9not_fun_tINSD_8identityEEEEENSD_19counting_iterator_tIlEES8_S8_S8_S8_S8_S8_S8_S8_EEEEPS9_S9_NSD_9__find_if7functorIS9_EEEE10hipError_tPvRmT1_T2_T3_mT4_P12ihipStream_tbEUlT_E0_NS1_11comp_targetILNS1_3genE4ELNS1_11target_archE910ELNS1_3gpuE8ELNS1_3repE0EEENS1_30default_config_static_selectorELNS0_4arch9wavefront6targetE1EEEvS14_,comdat
	.protected	_ZN7rocprim17ROCPRIM_400000_NS6detail17trampoline_kernelINS0_14default_configENS1_22reduce_config_selectorIN6thrust23THRUST_200600_302600_NS5tupleIblNS6_9null_typeES8_S8_S8_S8_S8_S8_S8_EEEEZNS1_11reduce_implILb1ES3_NS6_12zip_iteratorINS7_INS6_11hip_rocprim26transform_input_iterator_tIbNSD_35transform_pair_of_input_iterators_tIbNS6_6detail15normal_iteratorINS6_10device_ptrIKsEEEESL_NS6_8equal_toIsEEEENSG_9not_fun_tINSD_8identityEEEEENSD_19counting_iterator_tIlEES8_S8_S8_S8_S8_S8_S8_S8_EEEEPS9_S9_NSD_9__find_if7functorIS9_EEEE10hipError_tPvRmT1_T2_T3_mT4_P12ihipStream_tbEUlT_E0_NS1_11comp_targetILNS1_3genE4ELNS1_11target_archE910ELNS1_3gpuE8ELNS1_3repE0EEENS1_30default_config_static_selectorELNS0_4arch9wavefront6targetE1EEEvS14_ ; -- Begin function _ZN7rocprim17ROCPRIM_400000_NS6detail17trampoline_kernelINS0_14default_configENS1_22reduce_config_selectorIN6thrust23THRUST_200600_302600_NS5tupleIblNS6_9null_typeES8_S8_S8_S8_S8_S8_S8_EEEEZNS1_11reduce_implILb1ES3_NS6_12zip_iteratorINS7_INS6_11hip_rocprim26transform_input_iterator_tIbNSD_35transform_pair_of_input_iterators_tIbNS6_6detail15normal_iteratorINS6_10device_ptrIKsEEEESL_NS6_8equal_toIsEEEENSG_9not_fun_tINSD_8identityEEEEENSD_19counting_iterator_tIlEES8_S8_S8_S8_S8_S8_S8_S8_EEEEPS9_S9_NSD_9__find_if7functorIS9_EEEE10hipError_tPvRmT1_T2_T3_mT4_P12ihipStream_tbEUlT_E0_NS1_11comp_targetILNS1_3genE4ELNS1_11target_archE910ELNS1_3gpuE8ELNS1_3repE0EEENS1_30default_config_static_selectorELNS0_4arch9wavefront6targetE1EEEvS14_
	.globl	_ZN7rocprim17ROCPRIM_400000_NS6detail17trampoline_kernelINS0_14default_configENS1_22reduce_config_selectorIN6thrust23THRUST_200600_302600_NS5tupleIblNS6_9null_typeES8_S8_S8_S8_S8_S8_S8_EEEEZNS1_11reduce_implILb1ES3_NS6_12zip_iteratorINS7_INS6_11hip_rocprim26transform_input_iterator_tIbNSD_35transform_pair_of_input_iterators_tIbNS6_6detail15normal_iteratorINS6_10device_ptrIKsEEEESL_NS6_8equal_toIsEEEENSG_9not_fun_tINSD_8identityEEEEENSD_19counting_iterator_tIlEES8_S8_S8_S8_S8_S8_S8_S8_EEEEPS9_S9_NSD_9__find_if7functorIS9_EEEE10hipError_tPvRmT1_T2_T3_mT4_P12ihipStream_tbEUlT_E0_NS1_11comp_targetILNS1_3genE4ELNS1_11target_archE910ELNS1_3gpuE8ELNS1_3repE0EEENS1_30default_config_static_selectorELNS0_4arch9wavefront6targetE1EEEvS14_
	.p2align	8
	.type	_ZN7rocprim17ROCPRIM_400000_NS6detail17trampoline_kernelINS0_14default_configENS1_22reduce_config_selectorIN6thrust23THRUST_200600_302600_NS5tupleIblNS6_9null_typeES8_S8_S8_S8_S8_S8_S8_EEEEZNS1_11reduce_implILb1ES3_NS6_12zip_iteratorINS7_INS6_11hip_rocprim26transform_input_iterator_tIbNSD_35transform_pair_of_input_iterators_tIbNS6_6detail15normal_iteratorINS6_10device_ptrIKsEEEESL_NS6_8equal_toIsEEEENSG_9not_fun_tINSD_8identityEEEEENSD_19counting_iterator_tIlEES8_S8_S8_S8_S8_S8_S8_S8_EEEEPS9_S9_NSD_9__find_if7functorIS9_EEEE10hipError_tPvRmT1_T2_T3_mT4_P12ihipStream_tbEUlT_E0_NS1_11comp_targetILNS1_3genE4ELNS1_11target_archE910ELNS1_3gpuE8ELNS1_3repE0EEENS1_30default_config_static_selectorELNS0_4arch9wavefront6targetE1EEEvS14_,@function
_ZN7rocprim17ROCPRIM_400000_NS6detail17trampoline_kernelINS0_14default_configENS1_22reduce_config_selectorIN6thrust23THRUST_200600_302600_NS5tupleIblNS6_9null_typeES8_S8_S8_S8_S8_S8_S8_EEEEZNS1_11reduce_implILb1ES3_NS6_12zip_iteratorINS7_INS6_11hip_rocprim26transform_input_iterator_tIbNSD_35transform_pair_of_input_iterators_tIbNS6_6detail15normal_iteratorINS6_10device_ptrIKsEEEESL_NS6_8equal_toIsEEEENSG_9not_fun_tINSD_8identityEEEEENSD_19counting_iterator_tIlEES8_S8_S8_S8_S8_S8_S8_S8_EEEEPS9_S9_NSD_9__find_if7functorIS9_EEEE10hipError_tPvRmT1_T2_T3_mT4_P12ihipStream_tbEUlT_E0_NS1_11comp_targetILNS1_3genE4ELNS1_11target_archE910ELNS1_3gpuE8ELNS1_3repE0EEENS1_30default_config_static_selectorELNS0_4arch9wavefront6targetE1EEEvS14_: ; @_ZN7rocprim17ROCPRIM_400000_NS6detail17trampoline_kernelINS0_14default_configENS1_22reduce_config_selectorIN6thrust23THRUST_200600_302600_NS5tupleIblNS6_9null_typeES8_S8_S8_S8_S8_S8_S8_EEEEZNS1_11reduce_implILb1ES3_NS6_12zip_iteratorINS7_INS6_11hip_rocprim26transform_input_iterator_tIbNSD_35transform_pair_of_input_iterators_tIbNS6_6detail15normal_iteratorINS6_10device_ptrIKsEEEESL_NS6_8equal_toIsEEEENSG_9not_fun_tINSD_8identityEEEEENSD_19counting_iterator_tIlEES8_S8_S8_S8_S8_S8_S8_S8_EEEEPS9_S9_NSD_9__find_if7functorIS9_EEEE10hipError_tPvRmT1_T2_T3_mT4_P12ihipStream_tbEUlT_E0_NS1_11comp_targetILNS1_3genE4ELNS1_11target_archE910ELNS1_3gpuE8ELNS1_3repE0EEENS1_30default_config_static_selectorELNS0_4arch9wavefront6targetE1EEEvS14_
; %bb.0:
	.section	.rodata,"a",@progbits
	.p2align	6, 0x0
	.amdhsa_kernel _ZN7rocprim17ROCPRIM_400000_NS6detail17trampoline_kernelINS0_14default_configENS1_22reduce_config_selectorIN6thrust23THRUST_200600_302600_NS5tupleIblNS6_9null_typeES8_S8_S8_S8_S8_S8_S8_EEEEZNS1_11reduce_implILb1ES3_NS6_12zip_iteratorINS7_INS6_11hip_rocprim26transform_input_iterator_tIbNSD_35transform_pair_of_input_iterators_tIbNS6_6detail15normal_iteratorINS6_10device_ptrIKsEEEESL_NS6_8equal_toIsEEEENSG_9not_fun_tINSD_8identityEEEEENSD_19counting_iterator_tIlEES8_S8_S8_S8_S8_S8_S8_S8_EEEEPS9_S9_NSD_9__find_if7functorIS9_EEEE10hipError_tPvRmT1_T2_T3_mT4_P12ihipStream_tbEUlT_E0_NS1_11comp_targetILNS1_3genE4ELNS1_11target_archE910ELNS1_3gpuE8ELNS1_3repE0EEENS1_30default_config_static_selectorELNS0_4arch9wavefront6targetE1EEEvS14_
		.amdhsa_group_segment_fixed_size 0
		.amdhsa_private_segment_fixed_size 0
		.amdhsa_kernarg_size 104
		.amdhsa_user_sgpr_count 2
		.amdhsa_user_sgpr_dispatch_ptr 0
		.amdhsa_user_sgpr_queue_ptr 0
		.amdhsa_user_sgpr_kernarg_segment_ptr 1
		.amdhsa_user_sgpr_dispatch_id 0
		.amdhsa_user_sgpr_kernarg_preload_length 0
		.amdhsa_user_sgpr_kernarg_preload_offset 0
		.amdhsa_user_sgpr_private_segment_size 0
		.amdhsa_uses_dynamic_stack 0
		.amdhsa_enable_private_segment 0
		.amdhsa_system_sgpr_workgroup_id_x 1
		.amdhsa_system_sgpr_workgroup_id_y 0
		.amdhsa_system_sgpr_workgroup_id_z 0
		.amdhsa_system_sgpr_workgroup_info 0
		.amdhsa_system_vgpr_workitem_id 0
		.amdhsa_next_free_vgpr 1
		.amdhsa_next_free_sgpr 0
		.amdhsa_accum_offset 4
		.amdhsa_reserve_vcc 0
		.amdhsa_float_round_mode_32 0
		.amdhsa_float_round_mode_16_64 0
		.amdhsa_float_denorm_mode_32 3
		.amdhsa_float_denorm_mode_16_64 3
		.amdhsa_dx10_clamp 1
		.amdhsa_ieee_mode 1
		.amdhsa_fp16_overflow 0
		.amdhsa_tg_split 0
		.amdhsa_exception_fp_ieee_invalid_op 0
		.amdhsa_exception_fp_denorm_src 0
		.amdhsa_exception_fp_ieee_div_zero 0
		.amdhsa_exception_fp_ieee_overflow 0
		.amdhsa_exception_fp_ieee_underflow 0
		.amdhsa_exception_fp_ieee_inexact 0
		.amdhsa_exception_int_div_zero 0
	.end_amdhsa_kernel
	.section	.text._ZN7rocprim17ROCPRIM_400000_NS6detail17trampoline_kernelINS0_14default_configENS1_22reduce_config_selectorIN6thrust23THRUST_200600_302600_NS5tupleIblNS6_9null_typeES8_S8_S8_S8_S8_S8_S8_EEEEZNS1_11reduce_implILb1ES3_NS6_12zip_iteratorINS7_INS6_11hip_rocprim26transform_input_iterator_tIbNSD_35transform_pair_of_input_iterators_tIbNS6_6detail15normal_iteratorINS6_10device_ptrIKsEEEESL_NS6_8equal_toIsEEEENSG_9not_fun_tINSD_8identityEEEEENSD_19counting_iterator_tIlEES8_S8_S8_S8_S8_S8_S8_S8_EEEEPS9_S9_NSD_9__find_if7functorIS9_EEEE10hipError_tPvRmT1_T2_T3_mT4_P12ihipStream_tbEUlT_E0_NS1_11comp_targetILNS1_3genE4ELNS1_11target_archE910ELNS1_3gpuE8ELNS1_3repE0EEENS1_30default_config_static_selectorELNS0_4arch9wavefront6targetE1EEEvS14_,"axG",@progbits,_ZN7rocprim17ROCPRIM_400000_NS6detail17trampoline_kernelINS0_14default_configENS1_22reduce_config_selectorIN6thrust23THRUST_200600_302600_NS5tupleIblNS6_9null_typeES8_S8_S8_S8_S8_S8_S8_EEEEZNS1_11reduce_implILb1ES3_NS6_12zip_iteratorINS7_INS6_11hip_rocprim26transform_input_iterator_tIbNSD_35transform_pair_of_input_iterators_tIbNS6_6detail15normal_iteratorINS6_10device_ptrIKsEEEESL_NS6_8equal_toIsEEEENSG_9not_fun_tINSD_8identityEEEEENSD_19counting_iterator_tIlEES8_S8_S8_S8_S8_S8_S8_S8_EEEEPS9_S9_NSD_9__find_if7functorIS9_EEEE10hipError_tPvRmT1_T2_T3_mT4_P12ihipStream_tbEUlT_E0_NS1_11comp_targetILNS1_3genE4ELNS1_11target_archE910ELNS1_3gpuE8ELNS1_3repE0EEENS1_30default_config_static_selectorELNS0_4arch9wavefront6targetE1EEEvS14_,comdat
.Lfunc_end174:
	.size	_ZN7rocprim17ROCPRIM_400000_NS6detail17trampoline_kernelINS0_14default_configENS1_22reduce_config_selectorIN6thrust23THRUST_200600_302600_NS5tupleIblNS6_9null_typeES8_S8_S8_S8_S8_S8_S8_EEEEZNS1_11reduce_implILb1ES3_NS6_12zip_iteratorINS7_INS6_11hip_rocprim26transform_input_iterator_tIbNSD_35transform_pair_of_input_iterators_tIbNS6_6detail15normal_iteratorINS6_10device_ptrIKsEEEESL_NS6_8equal_toIsEEEENSG_9not_fun_tINSD_8identityEEEEENSD_19counting_iterator_tIlEES8_S8_S8_S8_S8_S8_S8_S8_EEEEPS9_S9_NSD_9__find_if7functorIS9_EEEE10hipError_tPvRmT1_T2_T3_mT4_P12ihipStream_tbEUlT_E0_NS1_11comp_targetILNS1_3genE4ELNS1_11target_archE910ELNS1_3gpuE8ELNS1_3repE0EEENS1_30default_config_static_selectorELNS0_4arch9wavefront6targetE1EEEvS14_, .Lfunc_end174-_ZN7rocprim17ROCPRIM_400000_NS6detail17trampoline_kernelINS0_14default_configENS1_22reduce_config_selectorIN6thrust23THRUST_200600_302600_NS5tupleIblNS6_9null_typeES8_S8_S8_S8_S8_S8_S8_EEEEZNS1_11reduce_implILb1ES3_NS6_12zip_iteratorINS7_INS6_11hip_rocprim26transform_input_iterator_tIbNSD_35transform_pair_of_input_iterators_tIbNS6_6detail15normal_iteratorINS6_10device_ptrIKsEEEESL_NS6_8equal_toIsEEEENSG_9not_fun_tINSD_8identityEEEEENSD_19counting_iterator_tIlEES8_S8_S8_S8_S8_S8_S8_S8_EEEEPS9_S9_NSD_9__find_if7functorIS9_EEEE10hipError_tPvRmT1_T2_T3_mT4_P12ihipStream_tbEUlT_E0_NS1_11comp_targetILNS1_3genE4ELNS1_11target_archE910ELNS1_3gpuE8ELNS1_3repE0EEENS1_30default_config_static_selectorELNS0_4arch9wavefront6targetE1EEEvS14_
                                        ; -- End function
	.section	.AMDGPU.csdata,"",@progbits
; Kernel info:
; codeLenInByte = 0
; NumSgprs: 6
; NumVgprs: 0
; NumAgprs: 0
; TotalNumVgprs: 0
; ScratchSize: 0
; MemoryBound: 0
; FloatMode: 240
; IeeeMode: 1
; LDSByteSize: 0 bytes/workgroup (compile time only)
; SGPRBlocks: 0
; VGPRBlocks: 0
; NumSGPRsForWavesPerEU: 6
; NumVGPRsForWavesPerEU: 1
; AccumOffset: 4
; Occupancy: 8
; WaveLimiterHint : 0
; COMPUTE_PGM_RSRC2:SCRATCH_EN: 0
; COMPUTE_PGM_RSRC2:USER_SGPR: 2
; COMPUTE_PGM_RSRC2:TRAP_HANDLER: 0
; COMPUTE_PGM_RSRC2:TGID_X_EN: 1
; COMPUTE_PGM_RSRC2:TGID_Y_EN: 0
; COMPUTE_PGM_RSRC2:TGID_Z_EN: 0
; COMPUTE_PGM_RSRC2:TIDIG_COMP_CNT: 0
; COMPUTE_PGM_RSRC3_GFX90A:ACCUM_OFFSET: 0
; COMPUTE_PGM_RSRC3_GFX90A:TG_SPLIT: 0
	.section	.text._ZN7rocprim17ROCPRIM_400000_NS6detail17trampoline_kernelINS0_14default_configENS1_22reduce_config_selectorIN6thrust23THRUST_200600_302600_NS5tupleIblNS6_9null_typeES8_S8_S8_S8_S8_S8_S8_EEEEZNS1_11reduce_implILb1ES3_NS6_12zip_iteratorINS7_INS6_11hip_rocprim26transform_input_iterator_tIbNSD_35transform_pair_of_input_iterators_tIbNS6_6detail15normal_iteratorINS6_10device_ptrIKsEEEESL_NS6_8equal_toIsEEEENSG_9not_fun_tINSD_8identityEEEEENSD_19counting_iterator_tIlEES8_S8_S8_S8_S8_S8_S8_S8_EEEEPS9_S9_NSD_9__find_if7functorIS9_EEEE10hipError_tPvRmT1_T2_T3_mT4_P12ihipStream_tbEUlT_E0_NS1_11comp_targetILNS1_3genE3ELNS1_11target_archE908ELNS1_3gpuE7ELNS1_3repE0EEENS1_30default_config_static_selectorELNS0_4arch9wavefront6targetE1EEEvS14_,"axG",@progbits,_ZN7rocprim17ROCPRIM_400000_NS6detail17trampoline_kernelINS0_14default_configENS1_22reduce_config_selectorIN6thrust23THRUST_200600_302600_NS5tupleIblNS6_9null_typeES8_S8_S8_S8_S8_S8_S8_EEEEZNS1_11reduce_implILb1ES3_NS6_12zip_iteratorINS7_INS6_11hip_rocprim26transform_input_iterator_tIbNSD_35transform_pair_of_input_iterators_tIbNS6_6detail15normal_iteratorINS6_10device_ptrIKsEEEESL_NS6_8equal_toIsEEEENSG_9not_fun_tINSD_8identityEEEEENSD_19counting_iterator_tIlEES8_S8_S8_S8_S8_S8_S8_S8_EEEEPS9_S9_NSD_9__find_if7functorIS9_EEEE10hipError_tPvRmT1_T2_T3_mT4_P12ihipStream_tbEUlT_E0_NS1_11comp_targetILNS1_3genE3ELNS1_11target_archE908ELNS1_3gpuE7ELNS1_3repE0EEENS1_30default_config_static_selectorELNS0_4arch9wavefront6targetE1EEEvS14_,comdat
	.protected	_ZN7rocprim17ROCPRIM_400000_NS6detail17trampoline_kernelINS0_14default_configENS1_22reduce_config_selectorIN6thrust23THRUST_200600_302600_NS5tupleIblNS6_9null_typeES8_S8_S8_S8_S8_S8_S8_EEEEZNS1_11reduce_implILb1ES3_NS6_12zip_iteratorINS7_INS6_11hip_rocprim26transform_input_iterator_tIbNSD_35transform_pair_of_input_iterators_tIbNS6_6detail15normal_iteratorINS6_10device_ptrIKsEEEESL_NS6_8equal_toIsEEEENSG_9not_fun_tINSD_8identityEEEEENSD_19counting_iterator_tIlEES8_S8_S8_S8_S8_S8_S8_S8_EEEEPS9_S9_NSD_9__find_if7functorIS9_EEEE10hipError_tPvRmT1_T2_T3_mT4_P12ihipStream_tbEUlT_E0_NS1_11comp_targetILNS1_3genE3ELNS1_11target_archE908ELNS1_3gpuE7ELNS1_3repE0EEENS1_30default_config_static_selectorELNS0_4arch9wavefront6targetE1EEEvS14_ ; -- Begin function _ZN7rocprim17ROCPRIM_400000_NS6detail17trampoline_kernelINS0_14default_configENS1_22reduce_config_selectorIN6thrust23THRUST_200600_302600_NS5tupleIblNS6_9null_typeES8_S8_S8_S8_S8_S8_S8_EEEEZNS1_11reduce_implILb1ES3_NS6_12zip_iteratorINS7_INS6_11hip_rocprim26transform_input_iterator_tIbNSD_35transform_pair_of_input_iterators_tIbNS6_6detail15normal_iteratorINS6_10device_ptrIKsEEEESL_NS6_8equal_toIsEEEENSG_9not_fun_tINSD_8identityEEEEENSD_19counting_iterator_tIlEES8_S8_S8_S8_S8_S8_S8_S8_EEEEPS9_S9_NSD_9__find_if7functorIS9_EEEE10hipError_tPvRmT1_T2_T3_mT4_P12ihipStream_tbEUlT_E0_NS1_11comp_targetILNS1_3genE3ELNS1_11target_archE908ELNS1_3gpuE7ELNS1_3repE0EEENS1_30default_config_static_selectorELNS0_4arch9wavefront6targetE1EEEvS14_
	.globl	_ZN7rocprim17ROCPRIM_400000_NS6detail17trampoline_kernelINS0_14default_configENS1_22reduce_config_selectorIN6thrust23THRUST_200600_302600_NS5tupleIblNS6_9null_typeES8_S8_S8_S8_S8_S8_S8_EEEEZNS1_11reduce_implILb1ES3_NS6_12zip_iteratorINS7_INS6_11hip_rocprim26transform_input_iterator_tIbNSD_35transform_pair_of_input_iterators_tIbNS6_6detail15normal_iteratorINS6_10device_ptrIKsEEEESL_NS6_8equal_toIsEEEENSG_9not_fun_tINSD_8identityEEEEENSD_19counting_iterator_tIlEES8_S8_S8_S8_S8_S8_S8_S8_EEEEPS9_S9_NSD_9__find_if7functorIS9_EEEE10hipError_tPvRmT1_T2_T3_mT4_P12ihipStream_tbEUlT_E0_NS1_11comp_targetILNS1_3genE3ELNS1_11target_archE908ELNS1_3gpuE7ELNS1_3repE0EEENS1_30default_config_static_selectorELNS0_4arch9wavefront6targetE1EEEvS14_
	.p2align	8
	.type	_ZN7rocprim17ROCPRIM_400000_NS6detail17trampoline_kernelINS0_14default_configENS1_22reduce_config_selectorIN6thrust23THRUST_200600_302600_NS5tupleIblNS6_9null_typeES8_S8_S8_S8_S8_S8_S8_EEEEZNS1_11reduce_implILb1ES3_NS6_12zip_iteratorINS7_INS6_11hip_rocprim26transform_input_iterator_tIbNSD_35transform_pair_of_input_iterators_tIbNS6_6detail15normal_iteratorINS6_10device_ptrIKsEEEESL_NS6_8equal_toIsEEEENSG_9not_fun_tINSD_8identityEEEEENSD_19counting_iterator_tIlEES8_S8_S8_S8_S8_S8_S8_S8_EEEEPS9_S9_NSD_9__find_if7functorIS9_EEEE10hipError_tPvRmT1_T2_T3_mT4_P12ihipStream_tbEUlT_E0_NS1_11comp_targetILNS1_3genE3ELNS1_11target_archE908ELNS1_3gpuE7ELNS1_3repE0EEENS1_30default_config_static_selectorELNS0_4arch9wavefront6targetE1EEEvS14_,@function
_ZN7rocprim17ROCPRIM_400000_NS6detail17trampoline_kernelINS0_14default_configENS1_22reduce_config_selectorIN6thrust23THRUST_200600_302600_NS5tupleIblNS6_9null_typeES8_S8_S8_S8_S8_S8_S8_EEEEZNS1_11reduce_implILb1ES3_NS6_12zip_iteratorINS7_INS6_11hip_rocprim26transform_input_iterator_tIbNSD_35transform_pair_of_input_iterators_tIbNS6_6detail15normal_iteratorINS6_10device_ptrIKsEEEESL_NS6_8equal_toIsEEEENSG_9not_fun_tINSD_8identityEEEEENSD_19counting_iterator_tIlEES8_S8_S8_S8_S8_S8_S8_S8_EEEEPS9_S9_NSD_9__find_if7functorIS9_EEEE10hipError_tPvRmT1_T2_T3_mT4_P12ihipStream_tbEUlT_E0_NS1_11comp_targetILNS1_3genE3ELNS1_11target_archE908ELNS1_3gpuE7ELNS1_3repE0EEENS1_30default_config_static_selectorELNS0_4arch9wavefront6targetE1EEEvS14_: ; @_ZN7rocprim17ROCPRIM_400000_NS6detail17trampoline_kernelINS0_14default_configENS1_22reduce_config_selectorIN6thrust23THRUST_200600_302600_NS5tupleIblNS6_9null_typeES8_S8_S8_S8_S8_S8_S8_EEEEZNS1_11reduce_implILb1ES3_NS6_12zip_iteratorINS7_INS6_11hip_rocprim26transform_input_iterator_tIbNSD_35transform_pair_of_input_iterators_tIbNS6_6detail15normal_iteratorINS6_10device_ptrIKsEEEESL_NS6_8equal_toIsEEEENSG_9not_fun_tINSD_8identityEEEEENSD_19counting_iterator_tIlEES8_S8_S8_S8_S8_S8_S8_S8_EEEEPS9_S9_NSD_9__find_if7functorIS9_EEEE10hipError_tPvRmT1_T2_T3_mT4_P12ihipStream_tbEUlT_E0_NS1_11comp_targetILNS1_3genE3ELNS1_11target_archE908ELNS1_3gpuE7ELNS1_3repE0EEENS1_30default_config_static_selectorELNS0_4arch9wavefront6targetE1EEEvS14_
; %bb.0:
	.section	.rodata,"a",@progbits
	.p2align	6, 0x0
	.amdhsa_kernel _ZN7rocprim17ROCPRIM_400000_NS6detail17trampoline_kernelINS0_14default_configENS1_22reduce_config_selectorIN6thrust23THRUST_200600_302600_NS5tupleIblNS6_9null_typeES8_S8_S8_S8_S8_S8_S8_EEEEZNS1_11reduce_implILb1ES3_NS6_12zip_iteratorINS7_INS6_11hip_rocprim26transform_input_iterator_tIbNSD_35transform_pair_of_input_iterators_tIbNS6_6detail15normal_iteratorINS6_10device_ptrIKsEEEESL_NS6_8equal_toIsEEEENSG_9not_fun_tINSD_8identityEEEEENSD_19counting_iterator_tIlEES8_S8_S8_S8_S8_S8_S8_S8_EEEEPS9_S9_NSD_9__find_if7functorIS9_EEEE10hipError_tPvRmT1_T2_T3_mT4_P12ihipStream_tbEUlT_E0_NS1_11comp_targetILNS1_3genE3ELNS1_11target_archE908ELNS1_3gpuE7ELNS1_3repE0EEENS1_30default_config_static_selectorELNS0_4arch9wavefront6targetE1EEEvS14_
		.amdhsa_group_segment_fixed_size 0
		.amdhsa_private_segment_fixed_size 0
		.amdhsa_kernarg_size 104
		.amdhsa_user_sgpr_count 2
		.amdhsa_user_sgpr_dispatch_ptr 0
		.amdhsa_user_sgpr_queue_ptr 0
		.amdhsa_user_sgpr_kernarg_segment_ptr 1
		.amdhsa_user_sgpr_dispatch_id 0
		.amdhsa_user_sgpr_kernarg_preload_length 0
		.amdhsa_user_sgpr_kernarg_preload_offset 0
		.amdhsa_user_sgpr_private_segment_size 0
		.amdhsa_uses_dynamic_stack 0
		.amdhsa_enable_private_segment 0
		.amdhsa_system_sgpr_workgroup_id_x 1
		.amdhsa_system_sgpr_workgroup_id_y 0
		.amdhsa_system_sgpr_workgroup_id_z 0
		.amdhsa_system_sgpr_workgroup_info 0
		.amdhsa_system_vgpr_workitem_id 0
		.amdhsa_next_free_vgpr 1
		.amdhsa_next_free_sgpr 0
		.amdhsa_accum_offset 4
		.amdhsa_reserve_vcc 0
		.amdhsa_float_round_mode_32 0
		.amdhsa_float_round_mode_16_64 0
		.amdhsa_float_denorm_mode_32 3
		.amdhsa_float_denorm_mode_16_64 3
		.amdhsa_dx10_clamp 1
		.amdhsa_ieee_mode 1
		.amdhsa_fp16_overflow 0
		.amdhsa_tg_split 0
		.amdhsa_exception_fp_ieee_invalid_op 0
		.amdhsa_exception_fp_denorm_src 0
		.amdhsa_exception_fp_ieee_div_zero 0
		.amdhsa_exception_fp_ieee_overflow 0
		.amdhsa_exception_fp_ieee_underflow 0
		.amdhsa_exception_fp_ieee_inexact 0
		.amdhsa_exception_int_div_zero 0
	.end_amdhsa_kernel
	.section	.text._ZN7rocprim17ROCPRIM_400000_NS6detail17trampoline_kernelINS0_14default_configENS1_22reduce_config_selectorIN6thrust23THRUST_200600_302600_NS5tupleIblNS6_9null_typeES8_S8_S8_S8_S8_S8_S8_EEEEZNS1_11reduce_implILb1ES3_NS6_12zip_iteratorINS7_INS6_11hip_rocprim26transform_input_iterator_tIbNSD_35transform_pair_of_input_iterators_tIbNS6_6detail15normal_iteratorINS6_10device_ptrIKsEEEESL_NS6_8equal_toIsEEEENSG_9not_fun_tINSD_8identityEEEEENSD_19counting_iterator_tIlEES8_S8_S8_S8_S8_S8_S8_S8_EEEEPS9_S9_NSD_9__find_if7functorIS9_EEEE10hipError_tPvRmT1_T2_T3_mT4_P12ihipStream_tbEUlT_E0_NS1_11comp_targetILNS1_3genE3ELNS1_11target_archE908ELNS1_3gpuE7ELNS1_3repE0EEENS1_30default_config_static_selectorELNS0_4arch9wavefront6targetE1EEEvS14_,"axG",@progbits,_ZN7rocprim17ROCPRIM_400000_NS6detail17trampoline_kernelINS0_14default_configENS1_22reduce_config_selectorIN6thrust23THRUST_200600_302600_NS5tupleIblNS6_9null_typeES8_S8_S8_S8_S8_S8_S8_EEEEZNS1_11reduce_implILb1ES3_NS6_12zip_iteratorINS7_INS6_11hip_rocprim26transform_input_iterator_tIbNSD_35transform_pair_of_input_iterators_tIbNS6_6detail15normal_iteratorINS6_10device_ptrIKsEEEESL_NS6_8equal_toIsEEEENSG_9not_fun_tINSD_8identityEEEEENSD_19counting_iterator_tIlEES8_S8_S8_S8_S8_S8_S8_S8_EEEEPS9_S9_NSD_9__find_if7functorIS9_EEEE10hipError_tPvRmT1_T2_T3_mT4_P12ihipStream_tbEUlT_E0_NS1_11comp_targetILNS1_3genE3ELNS1_11target_archE908ELNS1_3gpuE7ELNS1_3repE0EEENS1_30default_config_static_selectorELNS0_4arch9wavefront6targetE1EEEvS14_,comdat
.Lfunc_end175:
	.size	_ZN7rocprim17ROCPRIM_400000_NS6detail17trampoline_kernelINS0_14default_configENS1_22reduce_config_selectorIN6thrust23THRUST_200600_302600_NS5tupleIblNS6_9null_typeES8_S8_S8_S8_S8_S8_S8_EEEEZNS1_11reduce_implILb1ES3_NS6_12zip_iteratorINS7_INS6_11hip_rocprim26transform_input_iterator_tIbNSD_35transform_pair_of_input_iterators_tIbNS6_6detail15normal_iteratorINS6_10device_ptrIKsEEEESL_NS6_8equal_toIsEEEENSG_9not_fun_tINSD_8identityEEEEENSD_19counting_iterator_tIlEES8_S8_S8_S8_S8_S8_S8_S8_EEEEPS9_S9_NSD_9__find_if7functorIS9_EEEE10hipError_tPvRmT1_T2_T3_mT4_P12ihipStream_tbEUlT_E0_NS1_11comp_targetILNS1_3genE3ELNS1_11target_archE908ELNS1_3gpuE7ELNS1_3repE0EEENS1_30default_config_static_selectorELNS0_4arch9wavefront6targetE1EEEvS14_, .Lfunc_end175-_ZN7rocprim17ROCPRIM_400000_NS6detail17trampoline_kernelINS0_14default_configENS1_22reduce_config_selectorIN6thrust23THRUST_200600_302600_NS5tupleIblNS6_9null_typeES8_S8_S8_S8_S8_S8_S8_EEEEZNS1_11reduce_implILb1ES3_NS6_12zip_iteratorINS7_INS6_11hip_rocprim26transform_input_iterator_tIbNSD_35transform_pair_of_input_iterators_tIbNS6_6detail15normal_iteratorINS6_10device_ptrIKsEEEESL_NS6_8equal_toIsEEEENSG_9not_fun_tINSD_8identityEEEEENSD_19counting_iterator_tIlEES8_S8_S8_S8_S8_S8_S8_S8_EEEEPS9_S9_NSD_9__find_if7functorIS9_EEEE10hipError_tPvRmT1_T2_T3_mT4_P12ihipStream_tbEUlT_E0_NS1_11comp_targetILNS1_3genE3ELNS1_11target_archE908ELNS1_3gpuE7ELNS1_3repE0EEENS1_30default_config_static_selectorELNS0_4arch9wavefront6targetE1EEEvS14_
                                        ; -- End function
	.section	.AMDGPU.csdata,"",@progbits
; Kernel info:
; codeLenInByte = 0
; NumSgprs: 6
; NumVgprs: 0
; NumAgprs: 0
; TotalNumVgprs: 0
; ScratchSize: 0
; MemoryBound: 0
; FloatMode: 240
; IeeeMode: 1
; LDSByteSize: 0 bytes/workgroup (compile time only)
; SGPRBlocks: 0
; VGPRBlocks: 0
; NumSGPRsForWavesPerEU: 6
; NumVGPRsForWavesPerEU: 1
; AccumOffset: 4
; Occupancy: 8
; WaveLimiterHint : 0
; COMPUTE_PGM_RSRC2:SCRATCH_EN: 0
; COMPUTE_PGM_RSRC2:USER_SGPR: 2
; COMPUTE_PGM_RSRC2:TRAP_HANDLER: 0
; COMPUTE_PGM_RSRC2:TGID_X_EN: 1
; COMPUTE_PGM_RSRC2:TGID_Y_EN: 0
; COMPUTE_PGM_RSRC2:TGID_Z_EN: 0
; COMPUTE_PGM_RSRC2:TIDIG_COMP_CNT: 0
; COMPUTE_PGM_RSRC3_GFX90A:ACCUM_OFFSET: 0
; COMPUTE_PGM_RSRC3_GFX90A:TG_SPLIT: 0
	.section	.text._ZN7rocprim17ROCPRIM_400000_NS6detail17trampoline_kernelINS0_14default_configENS1_22reduce_config_selectorIN6thrust23THRUST_200600_302600_NS5tupleIblNS6_9null_typeES8_S8_S8_S8_S8_S8_S8_EEEEZNS1_11reduce_implILb1ES3_NS6_12zip_iteratorINS7_INS6_11hip_rocprim26transform_input_iterator_tIbNSD_35transform_pair_of_input_iterators_tIbNS6_6detail15normal_iteratorINS6_10device_ptrIKsEEEESL_NS6_8equal_toIsEEEENSG_9not_fun_tINSD_8identityEEEEENSD_19counting_iterator_tIlEES8_S8_S8_S8_S8_S8_S8_S8_EEEEPS9_S9_NSD_9__find_if7functorIS9_EEEE10hipError_tPvRmT1_T2_T3_mT4_P12ihipStream_tbEUlT_E0_NS1_11comp_targetILNS1_3genE2ELNS1_11target_archE906ELNS1_3gpuE6ELNS1_3repE0EEENS1_30default_config_static_selectorELNS0_4arch9wavefront6targetE1EEEvS14_,"axG",@progbits,_ZN7rocprim17ROCPRIM_400000_NS6detail17trampoline_kernelINS0_14default_configENS1_22reduce_config_selectorIN6thrust23THRUST_200600_302600_NS5tupleIblNS6_9null_typeES8_S8_S8_S8_S8_S8_S8_EEEEZNS1_11reduce_implILb1ES3_NS6_12zip_iteratorINS7_INS6_11hip_rocprim26transform_input_iterator_tIbNSD_35transform_pair_of_input_iterators_tIbNS6_6detail15normal_iteratorINS6_10device_ptrIKsEEEESL_NS6_8equal_toIsEEEENSG_9not_fun_tINSD_8identityEEEEENSD_19counting_iterator_tIlEES8_S8_S8_S8_S8_S8_S8_S8_EEEEPS9_S9_NSD_9__find_if7functorIS9_EEEE10hipError_tPvRmT1_T2_T3_mT4_P12ihipStream_tbEUlT_E0_NS1_11comp_targetILNS1_3genE2ELNS1_11target_archE906ELNS1_3gpuE6ELNS1_3repE0EEENS1_30default_config_static_selectorELNS0_4arch9wavefront6targetE1EEEvS14_,comdat
	.protected	_ZN7rocprim17ROCPRIM_400000_NS6detail17trampoline_kernelINS0_14default_configENS1_22reduce_config_selectorIN6thrust23THRUST_200600_302600_NS5tupleIblNS6_9null_typeES8_S8_S8_S8_S8_S8_S8_EEEEZNS1_11reduce_implILb1ES3_NS6_12zip_iteratorINS7_INS6_11hip_rocprim26transform_input_iterator_tIbNSD_35transform_pair_of_input_iterators_tIbNS6_6detail15normal_iteratorINS6_10device_ptrIKsEEEESL_NS6_8equal_toIsEEEENSG_9not_fun_tINSD_8identityEEEEENSD_19counting_iterator_tIlEES8_S8_S8_S8_S8_S8_S8_S8_EEEEPS9_S9_NSD_9__find_if7functorIS9_EEEE10hipError_tPvRmT1_T2_T3_mT4_P12ihipStream_tbEUlT_E0_NS1_11comp_targetILNS1_3genE2ELNS1_11target_archE906ELNS1_3gpuE6ELNS1_3repE0EEENS1_30default_config_static_selectorELNS0_4arch9wavefront6targetE1EEEvS14_ ; -- Begin function _ZN7rocprim17ROCPRIM_400000_NS6detail17trampoline_kernelINS0_14default_configENS1_22reduce_config_selectorIN6thrust23THRUST_200600_302600_NS5tupleIblNS6_9null_typeES8_S8_S8_S8_S8_S8_S8_EEEEZNS1_11reduce_implILb1ES3_NS6_12zip_iteratorINS7_INS6_11hip_rocprim26transform_input_iterator_tIbNSD_35transform_pair_of_input_iterators_tIbNS6_6detail15normal_iteratorINS6_10device_ptrIKsEEEESL_NS6_8equal_toIsEEEENSG_9not_fun_tINSD_8identityEEEEENSD_19counting_iterator_tIlEES8_S8_S8_S8_S8_S8_S8_S8_EEEEPS9_S9_NSD_9__find_if7functorIS9_EEEE10hipError_tPvRmT1_T2_T3_mT4_P12ihipStream_tbEUlT_E0_NS1_11comp_targetILNS1_3genE2ELNS1_11target_archE906ELNS1_3gpuE6ELNS1_3repE0EEENS1_30default_config_static_selectorELNS0_4arch9wavefront6targetE1EEEvS14_
	.globl	_ZN7rocprim17ROCPRIM_400000_NS6detail17trampoline_kernelINS0_14default_configENS1_22reduce_config_selectorIN6thrust23THRUST_200600_302600_NS5tupleIblNS6_9null_typeES8_S8_S8_S8_S8_S8_S8_EEEEZNS1_11reduce_implILb1ES3_NS6_12zip_iteratorINS7_INS6_11hip_rocprim26transform_input_iterator_tIbNSD_35transform_pair_of_input_iterators_tIbNS6_6detail15normal_iteratorINS6_10device_ptrIKsEEEESL_NS6_8equal_toIsEEEENSG_9not_fun_tINSD_8identityEEEEENSD_19counting_iterator_tIlEES8_S8_S8_S8_S8_S8_S8_S8_EEEEPS9_S9_NSD_9__find_if7functorIS9_EEEE10hipError_tPvRmT1_T2_T3_mT4_P12ihipStream_tbEUlT_E0_NS1_11comp_targetILNS1_3genE2ELNS1_11target_archE906ELNS1_3gpuE6ELNS1_3repE0EEENS1_30default_config_static_selectorELNS0_4arch9wavefront6targetE1EEEvS14_
	.p2align	8
	.type	_ZN7rocprim17ROCPRIM_400000_NS6detail17trampoline_kernelINS0_14default_configENS1_22reduce_config_selectorIN6thrust23THRUST_200600_302600_NS5tupleIblNS6_9null_typeES8_S8_S8_S8_S8_S8_S8_EEEEZNS1_11reduce_implILb1ES3_NS6_12zip_iteratorINS7_INS6_11hip_rocprim26transform_input_iterator_tIbNSD_35transform_pair_of_input_iterators_tIbNS6_6detail15normal_iteratorINS6_10device_ptrIKsEEEESL_NS6_8equal_toIsEEEENSG_9not_fun_tINSD_8identityEEEEENSD_19counting_iterator_tIlEES8_S8_S8_S8_S8_S8_S8_S8_EEEEPS9_S9_NSD_9__find_if7functorIS9_EEEE10hipError_tPvRmT1_T2_T3_mT4_P12ihipStream_tbEUlT_E0_NS1_11comp_targetILNS1_3genE2ELNS1_11target_archE906ELNS1_3gpuE6ELNS1_3repE0EEENS1_30default_config_static_selectorELNS0_4arch9wavefront6targetE1EEEvS14_,@function
_ZN7rocprim17ROCPRIM_400000_NS6detail17trampoline_kernelINS0_14default_configENS1_22reduce_config_selectorIN6thrust23THRUST_200600_302600_NS5tupleIblNS6_9null_typeES8_S8_S8_S8_S8_S8_S8_EEEEZNS1_11reduce_implILb1ES3_NS6_12zip_iteratorINS7_INS6_11hip_rocprim26transform_input_iterator_tIbNSD_35transform_pair_of_input_iterators_tIbNS6_6detail15normal_iteratorINS6_10device_ptrIKsEEEESL_NS6_8equal_toIsEEEENSG_9not_fun_tINSD_8identityEEEEENSD_19counting_iterator_tIlEES8_S8_S8_S8_S8_S8_S8_S8_EEEEPS9_S9_NSD_9__find_if7functorIS9_EEEE10hipError_tPvRmT1_T2_T3_mT4_P12ihipStream_tbEUlT_E0_NS1_11comp_targetILNS1_3genE2ELNS1_11target_archE906ELNS1_3gpuE6ELNS1_3repE0EEENS1_30default_config_static_selectorELNS0_4arch9wavefront6targetE1EEEvS14_: ; @_ZN7rocprim17ROCPRIM_400000_NS6detail17trampoline_kernelINS0_14default_configENS1_22reduce_config_selectorIN6thrust23THRUST_200600_302600_NS5tupleIblNS6_9null_typeES8_S8_S8_S8_S8_S8_S8_EEEEZNS1_11reduce_implILb1ES3_NS6_12zip_iteratorINS7_INS6_11hip_rocprim26transform_input_iterator_tIbNSD_35transform_pair_of_input_iterators_tIbNS6_6detail15normal_iteratorINS6_10device_ptrIKsEEEESL_NS6_8equal_toIsEEEENSG_9not_fun_tINSD_8identityEEEEENSD_19counting_iterator_tIlEES8_S8_S8_S8_S8_S8_S8_S8_EEEEPS9_S9_NSD_9__find_if7functorIS9_EEEE10hipError_tPvRmT1_T2_T3_mT4_P12ihipStream_tbEUlT_E0_NS1_11comp_targetILNS1_3genE2ELNS1_11target_archE906ELNS1_3gpuE6ELNS1_3repE0EEENS1_30default_config_static_selectorELNS0_4arch9wavefront6targetE1EEEvS14_
; %bb.0:
	.section	.rodata,"a",@progbits
	.p2align	6, 0x0
	.amdhsa_kernel _ZN7rocprim17ROCPRIM_400000_NS6detail17trampoline_kernelINS0_14default_configENS1_22reduce_config_selectorIN6thrust23THRUST_200600_302600_NS5tupleIblNS6_9null_typeES8_S8_S8_S8_S8_S8_S8_EEEEZNS1_11reduce_implILb1ES3_NS6_12zip_iteratorINS7_INS6_11hip_rocprim26transform_input_iterator_tIbNSD_35transform_pair_of_input_iterators_tIbNS6_6detail15normal_iteratorINS6_10device_ptrIKsEEEESL_NS6_8equal_toIsEEEENSG_9not_fun_tINSD_8identityEEEEENSD_19counting_iterator_tIlEES8_S8_S8_S8_S8_S8_S8_S8_EEEEPS9_S9_NSD_9__find_if7functorIS9_EEEE10hipError_tPvRmT1_T2_T3_mT4_P12ihipStream_tbEUlT_E0_NS1_11comp_targetILNS1_3genE2ELNS1_11target_archE906ELNS1_3gpuE6ELNS1_3repE0EEENS1_30default_config_static_selectorELNS0_4arch9wavefront6targetE1EEEvS14_
		.amdhsa_group_segment_fixed_size 0
		.amdhsa_private_segment_fixed_size 0
		.amdhsa_kernarg_size 104
		.amdhsa_user_sgpr_count 2
		.amdhsa_user_sgpr_dispatch_ptr 0
		.amdhsa_user_sgpr_queue_ptr 0
		.amdhsa_user_sgpr_kernarg_segment_ptr 1
		.amdhsa_user_sgpr_dispatch_id 0
		.amdhsa_user_sgpr_kernarg_preload_length 0
		.amdhsa_user_sgpr_kernarg_preload_offset 0
		.amdhsa_user_sgpr_private_segment_size 0
		.amdhsa_uses_dynamic_stack 0
		.amdhsa_enable_private_segment 0
		.amdhsa_system_sgpr_workgroup_id_x 1
		.amdhsa_system_sgpr_workgroup_id_y 0
		.amdhsa_system_sgpr_workgroup_id_z 0
		.amdhsa_system_sgpr_workgroup_info 0
		.amdhsa_system_vgpr_workitem_id 0
		.amdhsa_next_free_vgpr 1
		.amdhsa_next_free_sgpr 0
		.amdhsa_accum_offset 4
		.amdhsa_reserve_vcc 0
		.amdhsa_float_round_mode_32 0
		.amdhsa_float_round_mode_16_64 0
		.amdhsa_float_denorm_mode_32 3
		.amdhsa_float_denorm_mode_16_64 3
		.amdhsa_dx10_clamp 1
		.amdhsa_ieee_mode 1
		.amdhsa_fp16_overflow 0
		.amdhsa_tg_split 0
		.amdhsa_exception_fp_ieee_invalid_op 0
		.amdhsa_exception_fp_denorm_src 0
		.amdhsa_exception_fp_ieee_div_zero 0
		.amdhsa_exception_fp_ieee_overflow 0
		.amdhsa_exception_fp_ieee_underflow 0
		.amdhsa_exception_fp_ieee_inexact 0
		.amdhsa_exception_int_div_zero 0
	.end_amdhsa_kernel
	.section	.text._ZN7rocprim17ROCPRIM_400000_NS6detail17trampoline_kernelINS0_14default_configENS1_22reduce_config_selectorIN6thrust23THRUST_200600_302600_NS5tupleIblNS6_9null_typeES8_S8_S8_S8_S8_S8_S8_EEEEZNS1_11reduce_implILb1ES3_NS6_12zip_iteratorINS7_INS6_11hip_rocprim26transform_input_iterator_tIbNSD_35transform_pair_of_input_iterators_tIbNS6_6detail15normal_iteratorINS6_10device_ptrIKsEEEESL_NS6_8equal_toIsEEEENSG_9not_fun_tINSD_8identityEEEEENSD_19counting_iterator_tIlEES8_S8_S8_S8_S8_S8_S8_S8_EEEEPS9_S9_NSD_9__find_if7functorIS9_EEEE10hipError_tPvRmT1_T2_T3_mT4_P12ihipStream_tbEUlT_E0_NS1_11comp_targetILNS1_3genE2ELNS1_11target_archE906ELNS1_3gpuE6ELNS1_3repE0EEENS1_30default_config_static_selectorELNS0_4arch9wavefront6targetE1EEEvS14_,"axG",@progbits,_ZN7rocprim17ROCPRIM_400000_NS6detail17trampoline_kernelINS0_14default_configENS1_22reduce_config_selectorIN6thrust23THRUST_200600_302600_NS5tupleIblNS6_9null_typeES8_S8_S8_S8_S8_S8_S8_EEEEZNS1_11reduce_implILb1ES3_NS6_12zip_iteratorINS7_INS6_11hip_rocprim26transform_input_iterator_tIbNSD_35transform_pair_of_input_iterators_tIbNS6_6detail15normal_iteratorINS6_10device_ptrIKsEEEESL_NS6_8equal_toIsEEEENSG_9not_fun_tINSD_8identityEEEEENSD_19counting_iterator_tIlEES8_S8_S8_S8_S8_S8_S8_S8_EEEEPS9_S9_NSD_9__find_if7functorIS9_EEEE10hipError_tPvRmT1_T2_T3_mT4_P12ihipStream_tbEUlT_E0_NS1_11comp_targetILNS1_3genE2ELNS1_11target_archE906ELNS1_3gpuE6ELNS1_3repE0EEENS1_30default_config_static_selectorELNS0_4arch9wavefront6targetE1EEEvS14_,comdat
.Lfunc_end176:
	.size	_ZN7rocprim17ROCPRIM_400000_NS6detail17trampoline_kernelINS0_14default_configENS1_22reduce_config_selectorIN6thrust23THRUST_200600_302600_NS5tupleIblNS6_9null_typeES8_S8_S8_S8_S8_S8_S8_EEEEZNS1_11reduce_implILb1ES3_NS6_12zip_iteratorINS7_INS6_11hip_rocprim26transform_input_iterator_tIbNSD_35transform_pair_of_input_iterators_tIbNS6_6detail15normal_iteratorINS6_10device_ptrIKsEEEESL_NS6_8equal_toIsEEEENSG_9not_fun_tINSD_8identityEEEEENSD_19counting_iterator_tIlEES8_S8_S8_S8_S8_S8_S8_S8_EEEEPS9_S9_NSD_9__find_if7functorIS9_EEEE10hipError_tPvRmT1_T2_T3_mT4_P12ihipStream_tbEUlT_E0_NS1_11comp_targetILNS1_3genE2ELNS1_11target_archE906ELNS1_3gpuE6ELNS1_3repE0EEENS1_30default_config_static_selectorELNS0_4arch9wavefront6targetE1EEEvS14_, .Lfunc_end176-_ZN7rocprim17ROCPRIM_400000_NS6detail17trampoline_kernelINS0_14default_configENS1_22reduce_config_selectorIN6thrust23THRUST_200600_302600_NS5tupleIblNS6_9null_typeES8_S8_S8_S8_S8_S8_S8_EEEEZNS1_11reduce_implILb1ES3_NS6_12zip_iteratorINS7_INS6_11hip_rocprim26transform_input_iterator_tIbNSD_35transform_pair_of_input_iterators_tIbNS6_6detail15normal_iteratorINS6_10device_ptrIKsEEEESL_NS6_8equal_toIsEEEENSG_9not_fun_tINSD_8identityEEEEENSD_19counting_iterator_tIlEES8_S8_S8_S8_S8_S8_S8_S8_EEEEPS9_S9_NSD_9__find_if7functorIS9_EEEE10hipError_tPvRmT1_T2_T3_mT4_P12ihipStream_tbEUlT_E0_NS1_11comp_targetILNS1_3genE2ELNS1_11target_archE906ELNS1_3gpuE6ELNS1_3repE0EEENS1_30default_config_static_selectorELNS0_4arch9wavefront6targetE1EEEvS14_
                                        ; -- End function
	.section	.AMDGPU.csdata,"",@progbits
; Kernel info:
; codeLenInByte = 0
; NumSgprs: 6
; NumVgprs: 0
; NumAgprs: 0
; TotalNumVgprs: 0
; ScratchSize: 0
; MemoryBound: 0
; FloatMode: 240
; IeeeMode: 1
; LDSByteSize: 0 bytes/workgroup (compile time only)
; SGPRBlocks: 0
; VGPRBlocks: 0
; NumSGPRsForWavesPerEU: 6
; NumVGPRsForWavesPerEU: 1
; AccumOffset: 4
; Occupancy: 8
; WaveLimiterHint : 0
; COMPUTE_PGM_RSRC2:SCRATCH_EN: 0
; COMPUTE_PGM_RSRC2:USER_SGPR: 2
; COMPUTE_PGM_RSRC2:TRAP_HANDLER: 0
; COMPUTE_PGM_RSRC2:TGID_X_EN: 1
; COMPUTE_PGM_RSRC2:TGID_Y_EN: 0
; COMPUTE_PGM_RSRC2:TGID_Z_EN: 0
; COMPUTE_PGM_RSRC2:TIDIG_COMP_CNT: 0
; COMPUTE_PGM_RSRC3_GFX90A:ACCUM_OFFSET: 0
; COMPUTE_PGM_RSRC3_GFX90A:TG_SPLIT: 0
	.section	.text._ZN7rocprim17ROCPRIM_400000_NS6detail17trampoline_kernelINS0_14default_configENS1_22reduce_config_selectorIN6thrust23THRUST_200600_302600_NS5tupleIblNS6_9null_typeES8_S8_S8_S8_S8_S8_S8_EEEEZNS1_11reduce_implILb1ES3_NS6_12zip_iteratorINS7_INS6_11hip_rocprim26transform_input_iterator_tIbNSD_35transform_pair_of_input_iterators_tIbNS6_6detail15normal_iteratorINS6_10device_ptrIKsEEEESL_NS6_8equal_toIsEEEENSG_9not_fun_tINSD_8identityEEEEENSD_19counting_iterator_tIlEES8_S8_S8_S8_S8_S8_S8_S8_EEEEPS9_S9_NSD_9__find_if7functorIS9_EEEE10hipError_tPvRmT1_T2_T3_mT4_P12ihipStream_tbEUlT_E0_NS1_11comp_targetILNS1_3genE10ELNS1_11target_archE1201ELNS1_3gpuE5ELNS1_3repE0EEENS1_30default_config_static_selectorELNS0_4arch9wavefront6targetE1EEEvS14_,"axG",@progbits,_ZN7rocprim17ROCPRIM_400000_NS6detail17trampoline_kernelINS0_14default_configENS1_22reduce_config_selectorIN6thrust23THRUST_200600_302600_NS5tupleIblNS6_9null_typeES8_S8_S8_S8_S8_S8_S8_EEEEZNS1_11reduce_implILb1ES3_NS6_12zip_iteratorINS7_INS6_11hip_rocprim26transform_input_iterator_tIbNSD_35transform_pair_of_input_iterators_tIbNS6_6detail15normal_iteratorINS6_10device_ptrIKsEEEESL_NS6_8equal_toIsEEEENSG_9not_fun_tINSD_8identityEEEEENSD_19counting_iterator_tIlEES8_S8_S8_S8_S8_S8_S8_S8_EEEEPS9_S9_NSD_9__find_if7functorIS9_EEEE10hipError_tPvRmT1_T2_T3_mT4_P12ihipStream_tbEUlT_E0_NS1_11comp_targetILNS1_3genE10ELNS1_11target_archE1201ELNS1_3gpuE5ELNS1_3repE0EEENS1_30default_config_static_selectorELNS0_4arch9wavefront6targetE1EEEvS14_,comdat
	.protected	_ZN7rocprim17ROCPRIM_400000_NS6detail17trampoline_kernelINS0_14default_configENS1_22reduce_config_selectorIN6thrust23THRUST_200600_302600_NS5tupleIblNS6_9null_typeES8_S8_S8_S8_S8_S8_S8_EEEEZNS1_11reduce_implILb1ES3_NS6_12zip_iteratorINS7_INS6_11hip_rocprim26transform_input_iterator_tIbNSD_35transform_pair_of_input_iterators_tIbNS6_6detail15normal_iteratorINS6_10device_ptrIKsEEEESL_NS6_8equal_toIsEEEENSG_9not_fun_tINSD_8identityEEEEENSD_19counting_iterator_tIlEES8_S8_S8_S8_S8_S8_S8_S8_EEEEPS9_S9_NSD_9__find_if7functorIS9_EEEE10hipError_tPvRmT1_T2_T3_mT4_P12ihipStream_tbEUlT_E0_NS1_11comp_targetILNS1_3genE10ELNS1_11target_archE1201ELNS1_3gpuE5ELNS1_3repE0EEENS1_30default_config_static_selectorELNS0_4arch9wavefront6targetE1EEEvS14_ ; -- Begin function _ZN7rocprim17ROCPRIM_400000_NS6detail17trampoline_kernelINS0_14default_configENS1_22reduce_config_selectorIN6thrust23THRUST_200600_302600_NS5tupleIblNS6_9null_typeES8_S8_S8_S8_S8_S8_S8_EEEEZNS1_11reduce_implILb1ES3_NS6_12zip_iteratorINS7_INS6_11hip_rocprim26transform_input_iterator_tIbNSD_35transform_pair_of_input_iterators_tIbNS6_6detail15normal_iteratorINS6_10device_ptrIKsEEEESL_NS6_8equal_toIsEEEENSG_9not_fun_tINSD_8identityEEEEENSD_19counting_iterator_tIlEES8_S8_S8_S8_S8_S8_S8_S8_EEEEPS9_S9_NSD_9__find_if7functorIS9_EEEE10hipError_tPvRmT1_T2_T3_mT4_P12ihipStream_tbEUlT_E0_NS1_11comp_targetILNS1_3genE10ELNS1_11target_archE1201ELNS1_3gpuE5ELNS1_3repE0EEENS1_30default_config_static_selectorELNS0_4arch9wavefront6targetE1EEEvS14_
	.globl	_ZN7rocprim17ROCPRIM_400000_NS6detail17trampoline_kernelINS0_14default_configENS1_22reduce_config_selectorIN6thrust23THRUST_200600_302600_NS5tupleIblNS6_9null_typeES8_S8_S8_S8_S8_S8_S8_EEEEZNS1_11reduce_implILb1ES3_NS6_12zip_iteratorINS7_INS6_11hip_rocprim26transform_input_iterator_tIbNSD_35transform_pair_of_input_iterators_tIbNS6_6detail15normal_iteratorINS6_10device_ptrIKsEEEESL_NS6_8equal_toIsEEEENSG_9not_fun_tINSD_8identityEEEEENSD_19counting_iterator_tIlEES8_S8_S8_S8_S8_S8_S8_S8_EEEEPS9_S9_NSD_9__find_if7functorIS9_EEEE10hipError_tPvRmT1_T2_T3_mT4_P12ihipStream_tbEUlT_E0_NS1_11comp_targetILNS1_3genE10ELNS1_11target_archE1201ELNS1_3gpuE5ELNS1_3repE0EEENS1_30default_config_static_selectorELNS0_4arch9wavefront6targetE1EEEvS14_
	.p2align	8
	.type	_ZN7rocprim17ROCPRIM_400000_NS6detail17trampoline_kernelINS0_14default_configENS1_22reduce_config_selectorIN6thrust23THRUST_200600_302600_NS5tupleIblNS6_9null_typeES8_S8_S8_S8_S8_S8_S8_EEEEZNS1_11reduce_implILb1ES3_NS6_12zip_iteratorINS7_INS6_11hip_rocprim26transform_input_iterator_tIbNSD_35transform_pair_of_input_iterators_tIbNS6_6detail15normal_iteratorINS6_10device_ptrIKsEEEESL_NS6_8equal_toIsEEEENSG_9not_fun_tINSD_8identityEEEEENSD_19counting_iterator_tIlEES8_S8_S8_S8_S8_S8_S8_S8_EEEEPS9_S9_NSD_9__find_if7functorIS9_EEEE10hipError_tPvRmT1_T2_T3_mT4_P12ihipStream_tbEUlT_E0_NS1_11comp_targetILNS1_3genE10ELNS1_11target_archE1201ELNS1_3gpuE5ELNS1_3repE0EEENS1_30default_config_static_selectorELNS0_4arch9wavefront6targetE1EEEvS14_,@function
_ZN7rocprim17ROCPRIM_400000_NS6detail17trampoline_kernelINS0_14default_configENS1_22reduce_config_selectorIN6thrust23THRUST_200600_302600_NS5tupleIblNS6_9null_typeES8_S8_S8_S8_S8_S8_S8_EEEEZNS1_11reduce_implILb1ES3_NS6_12zip_iteratorINS7_INS6_11hip_rocprim26transform_input_iterator_tIbNSD_35transform_pair_of_input_iterators_tIbNS6_6detail15normal_iteratorINS6_10device_ptrIKsEEEESL_NS6_8equal_toIsEEEENSG_9not_fun_tINSD_8identityEEEEENSD_19counting_iterator_tIlEES8_S8_S8_S8_S8_S8_S8_S8_EEEEPS9_S9_NSD_9__find_if7functorIS9_EEEE10hipError_tPvRmT1_T2_T3_mT4_P12ihipStream_tbEUlT_E0_NS1_11comp_targetILNS1_3genE10ELNS1_11target_archE1201ELNS1_3gpuE5ELNS1_3repE0EEENS1_30default_config_static_selectorELNS0_4arch9wavefront6targetE1EEEvS14_: ; @_ZN7rocprim17ROCPRIM_400000_NS6detail17trampoline_kernelINS0_14default_configENS1_22reduce_config_selectorIN6thrust23THRUST_200600_302600_NS5tupleIblNS6_9null_typeES8_S8_S8_S8_S8_S8_S8_EEEEZNS1_11reduce_implILb1ES3_NS6_12zip_iteratorINS7_INS6_11hip_rocprim26transform_input_iterator_tIbNSD_35transform_pair_of_input_iterators_tIbNS6_6detail15normal_iteratorINS6_10device_ptrIKsEEEESL_NS6_8equal_toIsEEEENSG_9not_fun_tINSD_8identityEEEEENSD_19counting_iterator_tIlEES8_S8_S8_S8_S8_S8_S8_S8_EEEEPS9_S9_NSD_9__find_if7functorIS9_EEEE10hipError_tPvRmT1_T2_T3_mT4_P12ihipStream_tbEUlT_E0_NS1_11comp_targetILNS1_3genE10ELNS1_11target_archE1201ELNS1_3gpuE5ELNS1_3repE0EEENS1_30default_config_static_selectorELNS0_4arch9wavefront6targetE1EEEvS14_
; %bb.0:
	.section	.rodata,"a",@progbits
	.p2align	6, 0x0
	.amdhsa_kernel _ZN7rocprim17ROCPRIM_400000_NS6detail17trampoline_kernelINS0_14default_configENS1_22reduce_config_selectorIN6thrust23THRUST_200600_302600_NS5tupleIblNS6_9null_typeES8_S8_S8_S8_S8_S8_S8_EEEEZNS1_11reduce_implILb1ES3_NS6_12zip_iteratorINS7_INS6_11hip_rocprim26transform_input_iterator_tIbNSD_35transform_pair_of_input_iterators_tIbNS6_6detail15normal_iteratorINS6_10device_ptrIKsEEEESL_NS6_8equal_toIsEEEENSG_9not_fun_tINSD_8identityEEEEENSD_19counting_iterator_tIlEES8_S8_S8_S8_S8_S8_S8_S8_EEEEPS9_S9_NSD_9__find_if7functorIS9_EEEE10hipError_tPvRmT1_T2_T3_mT4_P12ihipStream_tbEUlT_E0_NS1_11comp_targetILNS1_3genE10ELNS1_11target_archE1201ELNS1_3gpuE5ELNS1_3repE0EEENS1_30default_config_static_selectorELNS0_4arch9wavefront6targetE1EEEvS14_
		.amdhsa_group_segment_fixed_size 0
		.amdhsa_private_segment_fixed_size 0
		.amdhsa_kernarg_size 104
		.amdhsa_user_sgpr_count 2
		.amdhsa_user_sgpr_dispatch_ptr 0
		.amdhsa_user_sgpr_queue_ptr 0
		.amdhsa_user_sgpr_kernarg_segment_ptr 1
		.amdhsa_user_sgpr_dispatch_id 0
		.amdhsa_user_sgpr_kernarg_preload_length 0
		.amdhsa_user_sgpr_kernarg_preload_offset 0
		.amdhsa_user_sgpr_private_segment_size 0
		.amdhsa_uses_dynamic_stack 0
		.amdhsa_enable_private_segment 0
		.amdhsa_system_sgpr_workgroup_id_x 1
		.amdhsa_system_sgpr_workgroup_id_y 0
		.amdhsa_system_sgpr_workgroup_id_z 0
		.amdhsa_system_sgpr_workgroup_info 0
		.amdhsa_system_vgpr_workitem_id 0
		.amdhsa_next_free_vgpr 1
		.amdhsa_next_free_sgpr 0
		.amdhsa_accum_offset 4
		.amdhsa_reserve_vcc 0
		.amdhsa_float_round_mode_32 0
		.amdhsa_float_round_mode_16_64 0
		.amdhsa_float_denorm_mode_32 3
		.amdhsa_float_denorm_mode_16_64 3
		.amdhsa_dx10_clamp 1
		.amdhsa_ieee_mode 1
		.amdhsa_fp16_overflow 0
		.amdhsa_tg_split 0
		.amdhsa_exception_fp_ieee_invalid_op 0
		.amdhsa_exception_fp_denorm_src 0
		.amdhsa_exception_fp_ieee_div_zero 0
		.amdhsa_exception_fp_ieee_overflow 0
		.amdhsa_exception_fp_ieee_underflow 0
		.amdhsa_exception_fp_ieee_inexact 0
		.amdhsa_exception_int_div_zero 0
	.end_amdhsa_kernel
	.section	.text._ZN7rocprim17ROCPRIM_400000_NS6detail17trampoline_kernelINS0_14default_configENS1_22reduce_config_selectorIN6thrust23THRUST_200600_302600_NS5tupleIblNS6_9null_typeES8_S8_S8_S8_S8_S8_S8_EEEEZNS1_11reduce_implILb1ES3_NS6_12zip_iteratorINS7_INS6_11hip_rocprim26transform_input_iterator_tIbNSD_35transform_pair_of_input_iterators_tIbNS6_6detail15normal_iteratorINS6_10device_ptrIKsEEEESL_NS6_8equal_toIsEEEENSG_9not_fun_tINSD_8identityEEEEENSD_19counting_iterator_tIlEES8_S8_S8_S8_S8_S8_S8_S8_EEEEPS9_S9_NSD_9__find_if7functorIS9_EEEE10hipError_tPvRmT1_T2_T3_mT4_P12ihipStream_tbEUlT_E0_NS1_11comp_targetILNS1_3genE10ELNS1_11target_archE1201ELNS1_3gpuE5ELNS1_3repE0EEENS1_30default_config_static_selectorELNS0_4arch9wavefront6targetE1EEEvS14_,"axG",@progbits,_ZN7rocprim17ROCPRIM_400000_NS6detail17trampoline_kernelINS0_14default_configENS1_22reduce_config_selectorIN6thrust23THRUST_200600_302600_NS5tupleIblNS6_9null_typeES8_S8_S8_S8_S8_S8_S8_EEEEZNS1_11reduce_implILb1ES3_NS6_12zip_iteratorINS7_INS6_11hip_rocprim26transform_input_iterator_tIbNSD_35transform_pair_of_input_iterators_tIbNS6_6detail15normal_iteratorINS6_10device_ptrIKsEEEESL_NS6_8equal_toIsEEEENSG_9not_fun_tINSD_8identityEEEEENSD_19counting_iterator_tIlEES8_S8_S8_S8_S8_S8_S8_S8_EEEEPS9_S9_NSD_9__find_if7functorIS9_EEEE10hipError_tPvRmT1_T2_T3_mT4_P12ihipStream_tbEUlT_E0_NS1_11comp_targetILNS1_3genE10ELNS1_11target_archE1201ELNS1_3gpuE5ELNS1_3repE0EEENS1_30default_config_static_selectorELNS0_4arch9wavefront6targetE1EEEvS14_,comdat
.Lfunc_end177:
	.size	_ZN7rocprim17ROCPRIM_400000_NS6detail17trampoline_kernelINS0_14default_configENS1_22reduce_config_selectorIN6thrust23THRUST_200600_302600_NS5tupleIblNS6_9null_typeES8_S8_S8_S8_S8_S8_S8_EEEEZNS1_11reduce_implILb1ES3_NS6_12zip_iteratorINS7_INS6_11hip_rocprim26transform_input_iterator_tIbNSD_35transform_pair_of_input_iterators_tIbNS6_6detail15normal_iteratorINS6_10device_ptrIKsEEEESL_NS6_8equal_toIsEEEENSG_9not_fun_tINSD_8identityEEEEENSD_19counting_iterator_tIlEES8_S8_S8_S8_S8_S8_S8_S8_EEEEPS9_S9_NSD_9__find_if7functorIS9_EEEE10hipError_tPvRmT1_T2_T3_mT4_P12ihipStream_tbEUlT_E0_NS1_11comp_targetILNS1_3genE10ELNS1_11target_archE1201ELNS1_3gpuE5ELNS1_3repE0EEENS1_30default_config_static_selectorELNS0_4arch9wavefront6targetE1EEEvS14_, .Lfunc_end177-_ZN7rocprim17ROCPRIM_400000_NS6detail17trampoline_kernelINS0_14default_configENS1_22reduce_config_selectorIN6thrust23THRUST_200600_302600_NS5tupleIblNS6_9null_typeES8_S8_S8_S8_S8_S8_S8_EEEEZNS1_11reduce_implILb1ES3_NS6_12zip_iteratorINS7_INS6_11hip_rocprim26transform_input_iterator_tIbNSD_35transform_pair_of_input_iterators_tIbNS6_6detail15normal_iteratorINS6_10device_ptrIKsEEEESL_NS6_8equal_toIsEEEENSG_9not_fun_tINSD_8identityEEEEENSD_19counting_iterator_tIlEES8_S8_S8_S8_S8_S8_S8_S8_EEEEPS9_S9_NSD_9__find_if7functorIS9_EEEE10hipError_tPvRmT1_T2_T3_mT4_P12ihipStream_tbEUlT_E0_NS1_11comp_targetILNS1_3genE10ELNS1_11target_archE1201ELNS1_3gpuE5ELNS1_3repE0EEENS1_30default_config_static_selectorELNS0_4arch9wavefront6targetE1EEEvS14_
                                        ; -- End function
	.section	.AMDGPU.csdata,"",@progbits
; Kernel info:
; codeLenInByte = 0
; NumSgprs: 6
; NumVgprs: 0
; NumAgprs: 0
; TotalNumVgprs: 0
; ScratchSize: 0
; MemoryBound: 0
; FloatMode: 240
; IeeeMode: 1
; LDSByteSize: 0 bytes/workgroup (compile time only)
; SGPRBlocks: 0
; VGPRBlocks: 0
; NumSGPRsForWavesPerEU: 6
; NumVGPRsForWavesPerEU: 1
; AccumOffset: 4
; Occupancy: 8
; WaveLimiterHint : 0
; COMPUTE_PGM_RSRC2:SCRATCH_EN: 0
; COMPUTE_PGM_RSRC2:USER_SGPR: 2
; COMPUTE_PGM_RSRC2:TRAP_HANDLER: 0
; COMPUTE_PGM_RSRC2:TGID_X_EN: 1
; COMPUTE_PGM_RSRC2:TGID_Y_EN: 0
; COMPUTE_PGM_RSRC2:TGID_Z_EN: 0
; COMPUTE_PGM_RSRC2:TIDIG_COMP_CNT: 0
; COMPUTE_PGM_RSRC3_GFX90A:ACCUM_OFFSET: 0
; COMPUTE_PGM_RSRC3_GFX90A:TG_SPLIT: 0
	.section	.text._ZN7rocprim17ROCPRIM_400000_NS6detail17trampoline_kernelINS0_14default_configENS1_22reduce_config_selectorIN6thrust23THRUST_200600_302600_NS5tupleIblNS6_9null_typeES8_S8_S8_S8_S8_S8_S8_EEEEZNS1_11reduce_implILb1ES3_NS6_12zip_iteratorINS7_INS6_11hip_rocprim26transform_input_iterator_tIbNSD_35transform_pair_of_input_iterators_tIbNS6_6detail15normal_iteratorINS6_10device_ptrIKsEEEESL_NS6_8equal_toIsEEEENSG_9not_fun_tINSD_8identityEEEEENSD_19counting_iterator_tIlEES8_S8_S8_S8_S8_S8_S8_S8_EEEEPS9_S9_NSD_9__find_if7functorIS9_EEEE10hipError_tPvRmT1_T2_T3_mT4_P12ihipStream_tbEUlT_E0_NS1_11comp_targetILNS1_3genE10ELNS1_11target_archE1200ELNS1_3gpuE4ELNS1_3repE0EEENS1_30default_config_static_selectorELNS0_4arch9wavefront6targetE1EEEvS14_,"axG",@progbits,_ZN7rocprim17ROCPRIM_400000_NS6detail17trampoline_kernelINS0_14default_configENS1_22reduce_config_selectorIN6thrust23THRUST_200600_302600_NS5tupleIblNS6_9null_typeES8_S8_S8_S8_S8_S8_S8_EEEEZNS1_11reduce_implILb1ES3_NS6_12zip_iteratorINS7_INS6_11hip_rocprim26transform_input_iterator_tIbNSD_35transform_pair_of_input_iterators_tIbNS6_6detail15normal_iteratorINS6_10device_ptrIKsEEEESL_NS6_8equal_toIsEEEENSG_9not_fun_tINSD_8identityEEEEENSD_19counting_iterator_tIlEES8_S8_S8_S8_S8_S8_S8_S8_EEEEPS9_S9_NSD_9__find_if7functorIS9_EEEE10hipError_tPvRmT1_T2_T3_mT4_P12ihipStream_tbEUlT_E0_NS1_11comp_targetILNS1_3genE10ELNS1_11target_archE1200ELNS1_3gpuE4ELNS1_3repE0EEENS1_30default_config_static_selectorELNS0_4arch9wavefront6targetE1EEEvS14_,comdat
	.protected	_ZN7rocprim17ROCPRIM_400000_NS6detail17trampoline_kernelINS0_14default_configENS1_22reduce_config_selectorIN6thrust23THRUST_200600_302600_NS5tupleIblNS6_9null_typeES8_S8_S8_S8_S8_S8_S8_EEEEZNS1_11reduce_implILb1ES3_NS6_12zip_iteratorINS7_INS6_11hip_rocprim26transform_input_iterator_tIbNSD_35transform_pair_of_input_iterators_tIbNS6_6detail15normal_iteratorINS6_10device_ptrIKsEEEESL_NS6_8equal_toIsEEEENSG_9not_fun_tINSD_8identityEEEEENSD_19counting_iterator_tIlEES8_S8_S8_S8_S8_S8_S8_S8_EEEEPS9_S9_NSD_9__find_if7functorIS9_EEEE10hipError_tPvRmT1_T2_T3_mT4_P12ihipStream_tbEUlT_E0_NS1_11comp_targetILNS1_3genE10ELNS1_11target_archE1200ELNS1_3gpuE4ELNS1_3repE0EEENS1_30default_config_static_selectorELNS0_4arch9wavefront6targetE1EEEvS14_ ; -- Begin function _ZN7rocprim17ROCPRIM_400000_NS6detail17trampoline_kernelINS0_14default_configENS1_22reduce_config_selectorIN6thrust23THRUST_200600_302600_NS5tupleIblNS6_9null_typeES8_S8_S8_S8_S8_S8_S8_EEEEZNS1_11reduce_implILb1ES3_NS6_12zip_iteratorINS7_INS6_11hip_rocprim26transform_input_iterator_tIbNSD_35transform_pair_of_input_iterators_tIbNS6_6detail15normal_iteratorINS6_10device_ptrIKsEEEESL_NS6_8equal_toIsEEEENSG_9not_fun_tINSD_8identityEEEEENSD_19counting_iterator_tIlEES8_S8_S8_S8_S8_S8_S8_S8_EEEEPS9_S9_NSD_9__find_if7functorIS9_EEEE10hipError_tPvRmT1_T2_T3_mT4_P12ihipStream_tbEUlT_E0_NS1_11comp_targetILNS1_3genE10ELNS1_11target_archE1200ELNS1_3gpuE4ELNS1_3repE0EEENS1_30default_config_static_selectorELNS0_4arch9wavefront6targetE1EEEvS14_
	.globl	_ZN7rocprim17ROCPRIM_400000_NS6detail17trampoline_kernelINS0_14default_configENS1_22reduce_config_selectorIN6thrust23THRUST_200600_302600_NS5tupleIblNS6_9null_typeES8_S8_S8_S8_S8_S8_S8_EEEEZNS1_11reduce_implILb1ES3_NS6_12zip_iteratorINS7_INS6_11hip_rocprim26transform_input_iterator_tIbNSD_35transform_pair_of_input_iterators_tIbNS6_6detail15normal_iteratorINS6_10device_ptrIKsEEEESL_NS6_8equal_toIsEEEENSG_9not_fun_tINSD_8identityEEEEENSD_19counting_iterator_tIlEES8_S8_S8_S8_S8_S8_S8_S8_EEEEPS9_S9_NSD_9__find_if7functorIS9_EEEE10hipError_tPvRmT1_T2_T3_mT4_P12ihipStream_tbEUlT_E0_NS1_11comp_targetILNS1_3genE10ELNS1_11target_archE1200ELNS1_3gpuE4ELNS1_3repE0EEENS1_30default_config_static_selectorELNS0_4arch9wavefront6targetE1EEEvS14_
	.p2align	8
	.type	_ZN7rocprim17ROCPRIM_400000_NS6detail17trampoline_kernelINS0_14default_configENS1_22reduce_config_selectorIN6thrust23THRUST_200600_302600_NS5tupleIblNS6_9null_typeES8_S8_S8_S8_S8_S8_S8_EEEEZNS1_11reduce_implILb1ES3_NS6_12zip_iteratorINS7_INS6_11hip_rocprim26transform_input_iterator_tIbNSD_35transform_pair_of_input_iterators_tIbNS6_6detail15normal_iteratorINS6_10device_ptrIKsEEEESL_NS6_8equal_toIsEEEENSG_9not_fun_tINSD_8identityEEEEENSD_19counting_iterator_tIlEES8_S8_S8_S8_S8_S8_S8_S8_EEEEPS9_S9_NSD_9__find_if7functorIS9_EEEE10hipError_tPvRmT1_T2_T3_mT4_P12ihipStream_tbEUlT_E0_NS1_11comp_targetILNS1_3genE10ELNS1_11target_archE1200ELNS1_3gpuE4ELNS1_3repE0EEENS1_30default_config_static_selectorELNS0_4arch9wavefront6targetE1EEEvS14_,@function
_ZN7rocprim17ROCPRIM_400000_NS6detail17trampoline_kernelINS0_14default_configENS1_22reduce_config_selectorIN6thrust23THRUST_200600_302600_NS5tupleIblNS6_9null_typeES8_S8_S8_S8_S8_S8_S8_EEEEZNS1_11reduce_implILb1ES3_NS6_12zip_iteratorINS7_INS6_11hip_rocprim26transform_input_iterator_tIbNSD_35transform_pair_of_input_iterators_tIbNS6_6detail15normal_iteratorINS6_10device_ptrIKsEEEESL_NS6_8equal_toIsEEEENSG_9not_fun_tINSD_8identityEEEEENSD_19counting_iterator_tIlEES8_S8_S8_S8_S8_S8_S8_S8_EEEEPS9_S9_NSD_9__find_if7functorIS9_EEEE10hipError_tPvRmT1_T2_T3_mT4_P12ihipStream_tbEUlT_E0_NS1_11comp_targetILNS1_3genE10ELNS1_11target_archE1200ELNS1_3gpuE4ELNS1_3repE0EEENS1_30default_config_static_selectorELNS0_4arch9wavefront6targetE1EEEvS14_: ; @_ZN7rocprim17ROCPRIM_400000_NS6detail17trampoline_kernelINS0_14default_configENS1_22reduce_config_selectorIN6thrust23THRUST_200600_302600_NS5tupleIblNS6_9null_typeES8_S8_S8_S8_S8_S8_S8_EEEEZNS1_11reduce_implILb1ES3_NS6_12zip_iteratorINS7_INS6_11hip_rocprim26transform_input_iterator_tIbNSD_35transform_pair_of_input_iterators_tIbNS6_6detail15normal_iteratorINS6_10device_ptrIKsEEEESL_NS6_8equal_toIsEEEENSG_9not_fun_tINSD_8identityEEEEENSD_19counting_iterator_tIlEES8_S8_S8_S8_S8_S8_S8_S8_EEEEPS9_S9_NSD_9__find_if7functorIS9_EEEE10hipError_tPvRmT1_T2_T3_mT4_P12ihipStream_tbEUlT_E0_NS1_11comp_targetILNS1_3genE10ELNS1_11target_archE1200ELNS1_3gpuE4ELNS1_3repE0EEENS1_30default_config_static_selectorELNS0_4arch9wavefront6targetE1EEEvS14_
; %bb.0:
	.section	.rodata,"a",@progbits
	.p2align	6, 0x0
	.amdhsa_kernel _ZN7rocprim17ROCPRIM_400000_NS6detail17trampoline_kernelINS0_14default_configENS1_22reduce_config_selectorIN6thrust23THRUST_200600_302600_NS5tupleIblNS6_9null_typeES8_S8_S8_S8_S8_S8_S8_EEEEZNS1_11reduce_implILb1ES3_NS6_12zip_iteratorINS7_INS6_11hip_rocprim26transform_input_iterator_tIbNSD_35transform_pair_of_input_iterators_tIbNS6_6detail15normal_iteratorINS6_10device_ptrIKsEEEESL_NS6_8equal_toIsEEEENSG_9not_fun_tINSD_8identityEEEEENSD_19counting_iterator_tIlEES8_S8_S8_S8_S8_S8_S8_S8_EEEEPS9_S9_NSD_9__find_if7functorIS9_EEEE10hipError_tPvRmT1_T2_T3_mT4_P12ihipStream_tbEUlT_E0_NS1_11comp_targetILNS1_3genE10ELNS1_11target_archE1200ELNS1_3gpuE4ELNS1_3repE0EEENS1_30default_config_static_selectorELNS0_4arch9wavefront6targetE1EEEvS14_
		.amdhsa_group_segment_fixed_size 0
		.amdhsa_private_segment_fixed_size 0
		.amdhsa_kernarg_size 104
		.amdhsa_user_sgpr_count 2
		.amdhsa_user_sgpr_dispatch_ptr 0
		.amdhsa_user_sgpr_queue_ptr 0
		.amdhsa_user_sgpr_kernarg_segment_ptr 1
		.amdhsa_user_sgpr_dispatch_id 0
		.amdhsa_user_sgpr_kernarg_preload_length 0
		.amdhsa_user_sgpr_kernarg_preload_offset 0
		.amdhsa_user_sgpr_private_segment_size 0
		.amdhsa_uses_dynamic_stack 0
		.amdhsa_enable_private_segment 0
		.amdhsa_system_sgpr_workgroup_id_x 1
		.amdhsa_system_sgpr_workgroup_id_y 0
		.amdhsa_system_sgpr_workgroup_id_z 0
		.amdhsa_system_sgpr_workgroup_info 0
		.amdhsa_system_vgpr_workitem_id 0
		.amdhsa_next_free_vgpr 1
		.amdhsa_next_free_sgpr 0
		.amdhsa_accum_offset 4
		.amdhsa_reserve_vcc 0
		.amdhsa_float_round_mode_32 0
		.amdhsa_float_round_mode_16_64 0
		.amdhsa_float_denorm_mode_32 3
		.amdhsa_float_denorm_mode_16_64 3
		.amdhsa_dx10_clamp 1
		.amdhsa_ieee_mode 1
		.amdhsa_fp16_overflow 0
		.amdhsa_tg_split 0
		.amdhsa_exception_fp_ieee_invalid_op 0
		.amdhsa_exception_fp_denorm_src 0
		.amdhsa_exception_fp_ieee_div_zero 0
		.amdhsa_exception_fp_ieee_overflow 0
		.amdhsa_exception_fp_ieee_underflow 0
		.amdhsa_exception_fp_ieee_inexact 0
		.amdhsa_exception_int_div_zero 0
	.end_amdhsa_kernel
	.section	.text._ZN7rocprim17ROCPRIM_400000_NS6detail17trampoline_kernelINS0_14default_configENS1_22reduce_config_selectorIN6thrust23THRUST_200600_302600_NS5tupleIblNS6_9null_typeES8_S8_S8_S8_S8_S8_S8_EEEEZNS1_11reduce_implILb1ES3_NS6_12zip_iteratorINS7_INS6_11hip_rocprim26transform_input_iterator_tIbNSD_35transform_pair_of_input_iterators_tIbNS6_6detail15normal_iteratorINS6_10device_ptrIKsEEEESL_NS6_8equal_toIsEEEENSG_9not_fun_tINSD_8identityEEEEENSD_19counting_iterator_tIlEES8_S8_S8_S8_S8_S8_S8_S8_EEEEPS9_S9_NSD_9__find_if7functorIS9_EEEE10hipError_tPvRmT1_T2_T3_mT4_P12ihipStream_tbEUlT_E0_NS1_11comp_targetILNS1_3genE10ELNS1_11target_archE1200ELNS1_3gpuE4ELNS1_3repE0EEENS1_30default_config_static_selectorELNS0_4arch9wavefront6targetE1EEEvS14_,"axG",@progbits,_ZN7rocprim17ROCPRIM_400000_NS6detail17trampoline_kernelINS0_14default_configENS1_22reduce_config_selectorIN6thrust23THRUST_200600_302600_NS5tupleIblNS6_9null_typeES8_S8_S8_S8_S8_S8_S8_EEEEZNS1_11reduce_implILb1ES3_NS6_12zip_iteratorINS7_INS6_11hip_rocprim26transform_input_iterator_tIbNSD_35transform_pair_of_input_iterators_tIbNS6_6detail15normal_iteratorINS6_10device_ptrIKsEEEESL_NS6_8equal_toIsEEEENSG_9not_fun_tINSD_8identityEEEEENSD_19counting_iterator_tIlEES8_S8_S8_S8_S8_S8_S8_S8_EEEEPS9_S9_NSD_9__find_if7functorIS9_EEEE10hipError_tPvRmT1_T2_T3_mT4_P12ihipStream_tbEUlT_E0_NS1_11comp_targetILNS1_3genE10ELNS1_11target_archE1200ELNS1_3gpuE4ELNS1_3repE0EEENS1_30default_config_static_selectorELNS0_4arch9wavefront6targetE1EEEvS14_,comdat
.Lfunc_end178:
	.size	_ZN7rocprim17ROCPRIM_400000_NS6detail17trampoline_kernelINS0_14default_configENS1_22reduce_config_selectorIN6thrust23THRUST_200600_302600_NS5tupleIblNS6_9null_typeES8_S8_S8_S8_S8_S8_S8_EEEEZNS1_11reduce_implILb1ES3_NS6_12zip_iteratorINS7_INS6_11hip_rocprim26transform_input_iterator_tIbNSD_35transform_pair_of_input_iterators_tIbNS6_6detail15normal_iteratorINS6_10device_ptrIKsEEEESL_NS6_8equal_toIsEEEENSG_9not_fun_tINSD_8identityEEEEENSD_19counting_iterator_tIlEES8_S8_S8_S8_S8_S8_S8_S8_EEEEPS9_S9_NSD_9__find_if7functorIS9_EEEE10hipError_tPvRmT1_T2_T3_mT4_P12ihipStream_tbEUlT_E0_NS1_11comp_targetILNS1_3genE10ELNS1_11target_archE1200ELNS1_3gpuE4ELNS1_3repE0EEENS1_30default_config_static_selectorELNS0_4arch9wavefront6targetE1EEEvS14_, .Lfunc_end178-_ZN7rocprim17ROCPRIM_400000_NS6detail17trampoline_kernelINS0_14default_configENS1_22reduce_config_selectorIN6thrust23THRUST_200600_302600_NS5tupleIblNS6_9null_typeES8_S8_S8_S8_S8_S8_S8_EEEEZNS1_11reduce_implILb1ES3_NS6_12zip_iteratorINS7_INS6_11hip_rocprim26transform_input_iterator_tIbNSD_35transform_pair_of_input_iterators_tIbNS6_6detail15normal_iteratorINS6_10device_ptrIKsEEEESL_NS6_8equal_toIsEEEENSG_9not_fun_tINSD_8identityEEEEENSD_19counting_iterator_tIlEES8_S8_S8_S8_S8_S8_S8_S8_EEEEPS9_S9_NSD_9__find_if7functorIS9_EEEE10hipError_tPvRmT1_T2_T3_mT4_P12ihipStream_tbEUlT_E0_NS1_11comp_targetILNS1_3genE10ELNS1_11target_archE1200ELNS1_3gpuE4ELNS1_3repE0EEENS1_30default_config_static_selectorELNS0_4arch9wavefront6targetE1EEEvS14_
                                        ; -- End function
	.section	.AMDGPU.csdata,"",@progbits
; Kernel info:
; codeLenInByte = 0
; NumSgprs: 6
; NumVgprs: 0
; NumAgprs: 0
; TotalNumVgprs: 0
; ScratchSize: 0
; MemoryBound: 0
; FloatMode: 240
; IeeeMode: 1
; LDSByteSize: 0 bytes/workgroup (compile time only)
; SGPRBlocks: 0
; VGPRBlocks: 0
; NumSGPRsForWavesPerEU: 6
; NumVGPRsForWavesPerEU: 1
; AccumOffset: 4
; Occupancy: 8
; WaveLimiterHint : 0
; COMPUTE_PGM_RSRC2:SCRATCH_EN: 0
; COMPUTE_PGM_RSRC2:USER_SGPR: 2
; COMPUTE_PGM_RSRC2:TRAP_HANDLER: 0
; COMPUTE_PGM_RSRC2:TGID_X_EN: 1
; COMPUTE_PGM_RSRC2:TGID_Y_EN: 0
; COMPUTE_PGM_RSRC2:TGID_Z_EN: 0
; COMPUTE_PGM_RSRC2:TIDIG_COMP_CNT: 0
; COMPUTE_PGM_RSRC3_GFX90A:ACCUM_OFFSET: 0
; COMPUTE_PGM_RSRC3_GFX90A:TG_SPLIT: 0
	.section	.text._ZN7rocprim17ROCPRIM_400000_NS6detail17trampoline_kernelINS0_14default_configENS1_22reduce_config_selectorIN6thrust23THRUST_200600_302600_NS5tupleIblNS6_9null_typeES8_S8_S8_S8_S8_S8_S8_EEEEZNS1_11reduce_implILb1ES3_NS6_12zip_iteratorINS7_INS6_11hip_rocprim26transform_input_iterator_tIbNSD_35transform_pair_of_input_iterators_tIbNS6_6detail15normal_iteratorINS6_10device_ptrIKsEEEESL_NS6_8equal_toIsEEEENSG_9not_fun_tINSD_8identityEEEEENSD_19counting_iterator_tIlEES8_S8_S8_S8_S8_S8_S8_S8_EEEEPS9_S9_NSD_9__find_if7functorIS9_EEEE10hipError_tPvRmT1_T2_T3_mT4_P12ihipStream_tbEUlT_E0_NS1_11comp_targetILNS1_3genE9ELNS1_11target_archE1100ELNS1_3gpuE3ELNS1_3repE0EEENS1_30default_config_static_selectorELNS0_4arch9wavefront6targetE1EEEvS14_,"axG",@progbits,_ZN7rocprim17ROCPRIM_400000_NS6detail17trampoline_kernelINS0_14default_configENS1_22reduce_config_selectorIN6thrust23THRUST_200600_302600_NS5tupleIblNS6_9null_typeES8_S8_S8_S8_S8_S8_S8_EEEEZNS1_11reduce_implILb1ES3_NS6_12zip_iteratorINS7_INS6_11hip_rocprim26transform_input_iterator_tIbNSD_35transform_pair_of_input_iterators_tIbNS6_6detail15normal_iteratorINS6_10device_ptrIKsEEEESL_NS6_8equal_toIsEEEENSG_9not_fun_tINSD_8identityEEEEENSD_19counting_iterator_tIlEES8_S8_S8_S8_S8_S8_S8_S8_EEEEPS9_S9_NSD_9__find_if7functorIS9_EEEE10hipError_tPvRmT1_T2_T3_mT4_P12ihipStream_tbEUlT_E0_NS1_11comp_targetILNS1_3genE9ELNS1_11target_archE1100ELNS1_3gpuE3ELNS1_3repE0EEENS1_30default_config_static_selectorELNS0_4arch9wavefront6targetE1EEEvS14_,comdat
	.protected	_ZN7rocprim17ROCPRIM_400000_NS6detail17trampoline_kernelINS0_14default_configENS1_22reduce_config_selectorIN6thrust23THRUST_200600_302600_NS5tupleIblNS6_9null_typeES8_S8_S8_S8_S8_S8_S8_EEEEZNS1_11reduce_implILb1ES3_NS6_12zip_iteratorINS7_INS6_11hip_rocprim26transform_input_iterator_tIbNSD_35transform_pair_of_input_iterators_tIbNS6_6detail15normal_iteratorINS6_10device_ptrIKsEEEESL_NS6_8equal_toIsEEEENSG_9not_fun_tINSD_8identityEEEEENSD_19counting_iterator_tIlEES8_S8_S8_S8_S8_S8_S8_S8_EEEEPS9_S9_NSD_9__find_if7functorIS9_EEEE10hipError_tPvRmT1_T2_T3_mT4_P12ihipStream_tbEUlT_E0_NS1_11comp_targetILNS1_3genE9ELNS1_11target_archE1100ELNS1_3gpuE3ELNS1_3repE0EEENS1_30default_config_static_selectorELNS0_4arch9wavefront6targetE1EEEvS14_ ; -- Begin function _ZN7rocprim17ROCPRIM_400000_NS6detail17trampoline_kernelINS0_14default_configENS1_22reduce_config_selectorIN6thrust23THRUST_200600_302600_NS5tupleIblNS6_9null_typeES8_S8_S8_S8_S8_S8_S8_EEEEZNS1_11reduce_implILb1ES3_NS6_12zip_iteratorINS7_INS6_11hip_rocprim26transform_input_iterator_tIbNSD_35transform_pair_of_input_iterators_tIbNS6_6detail15normal_iteratorINS6_10device_ptrIKsEEEESL_NS6_8equal_toIsEEEENSG_9not_fun_tINSD_8identityEEEEENSD_19counting_iterator_tIlEES8_S8_S8_S8_S8_S8_S8_S8_EEEEPS9_S9_NSD_9__find_if7functorIS9_EEEE10hipError_tPvRmT1_T2_T3_mT4_P12ihipStream_tbEUlT_E0_NS1_11comp_targetILNS1_3genE9ELNS1_11target_archE1100ELNS1_3gpuE3ELNS1_3repE0EEENS1_30default_config_static_selectorELNS0_4arch9wavefront6targetE1EEEvS14_
	.globl	_ZN7rocprim17ROCPRIM_400000_NS6detail17trampoline_kernelINS0_14default_configENS1_22reduce_config_selectorIN6thrust23THRUST_200600_302600_NS5tupleIblNS6_9null_typeES8_S8_S8_S8_S8_S8_S8_EEEEZNS1_11reduce_implILb1ES3_NS6_12zip_iteratorINS7_INS6_11hip_rocprim26transform_input_iterator_tIbNSD_35transform_pair_of_input_iterators_tIbNS6_6detail15normal_iteratorINS6_10device_ptrIKsEEEESL_NS6_8equal_toIsEEEENSG_9not_fun_tINSD_8identityEEEEENSD_19counting_iterator_tIlEES8_S8_S8_S8_S8_S8_S8_S8_EEEEPS9_S9_NSD_9__find_if7functorIS9_EEEE10hipError_tPvRmT1_T2_T3_mT4_P12ihipStream_tbEUlT_E0_NS1_11comp_targetILNS1_3genE9ELNS1_11target_archE1100ELNS1_3gpuE3ELNS1_3repE0EEENS1_30default_config_static_selectorELNS0_4arch9wavefront6targetE1EEEvS14_
	.p2align	8
	.type	_ZN7rocprim17ROCPRIM_400000_NS6detail17trampoline_kernelINS0_14default_configENS1_22reduce_config_selectorIN6thrust23THRUST_200600_302600_NS5tupleIblNS6_9null_typeES8_S8_S8_S8_S8_S8_S8_EEEEZNS1_11reduce_implILb1ES3_NS6_12zip_iteratorINS7_INS6_11hip_rocprim26transform_input_iterator_tIbNSD_35transform_pair_of_input_iterators_tIbNS6_6detail15normal_iteratorINS6_10device_ptrIKsEEEESL_NS6_8equal_toIsEEEENSG_9not_fun_tINSD_8identityEEEEENSD_19counting_iterator_tIlEES8_S8_S8_S8_S8_S8_S8_S8_EEEEPS9_S9_NSD_9__find_if7functorIS9_EEEE10hipError_tPvRmT1_T2_T3_mT4_P12ihipStream_tbEUlT_E0_NS1_11comp_targetILNS1_3genE9ELNS1_11target_archE1100ELNS1_3gpuE3ELNS1_3repE0EEENS1_30default_config_static_selectorELNS0_4arch9wavefront6targetE1EEEvS14_,@function
_ZN7rocprim17ROCPRIM_400000_NS6detail17trampoline_kernelINS0_14default_configENS1_22reduce_config_selectorIN6thrust23THRUST_200600_302600_NS5tupleIblNS6_9null_typeES8_S8_S8_S8_S8_S8_S8_EEEEZNS1_11reduce_implILb1ES3_NS6_12zip_iteratorINS7_INS6_11hip_rocprim26transform_input_iterator_tIbNSD_35transform_pair_of_input_iterators_tIbNS6_6detail15normal_iteratorINS6_10device_ptrIKsEEEESL_NS6_8equal_toIsEEEENSG_9not_fun_tINSD_8identityEEEEENSD_19counting_iterator_tIlEES8_S8_S8_S8_S8_S8_S8_S8_EEEEPS9_S9_NSD_9__find_if7functorIS9_EEEE10hipError_tPvRmT1_T2_T3_mT4_P12ihipStream_tbEUlT_E0_NS1_11comp_targetILNS1_3genE9ELNS1_11target_archE1100ELNS1_3gpuE3ELNS1_3repE0EEENS1_30default_config_static_selectorELNS0_4arch9wavefront6targetE1EEEvS14_: ; @_ZN7rocprim17ROCPRIM_400000_NS6detail17trampoline_kernelINS0_14default_configENS1_22reduce_config_selectorIN6thrust23THRUST_200600_302600_NS5tupleIblNS6_9null_typeES8_S8_S8_S8_S8_S8_S8_EEEEZNS1_11reduce_implILb1ES3_NS6_12zip_iteratorINS7_INS6_11hip_rocprim26transform_input_iterator_tIbNSD_35transform_pair_of_input_iterators_tIbNS6_6detail15normal_iteratorINS6_10device_ptrIKsEEEESL_NS6_8equal_toIsEEEENSG_9not_fun_tINSD_8identityEEEEENSD_19counting_iterator_tIlEES8_S8_S8_S8_S8_S8_S8_S8_EEEEPS9_S9_NSD_9__find_if7functorIS9_EEEE10hipError_tPvRmT1_T2_T3_mT4_P12ihipStream_tbEUlT_E0_NS1_11comp_targetILNS1_3genE9ELNS1_11target_archE1100ELNS1_3gpuE3ELNS1_3repE0EEENS1_30default_config_static_selectorELNS0_4arch9wavefront6targetE1EEEvS14_
; %bb.0:
	.section	.rodata,"a",@progbits
	.p2align	6, 0x0
	.amdhsa_kernel _ZN7rocprim17ROCPRIM_400000_NS6detail17trampoline_kernelINS0_14default_configENS1_22reduce_config_selectorIN6thrust23THRUST_200600_302600_NS5tupleIblNS6_9null_typeES8_S8_S8_S8_S8_S8_S8_EEEEZNS1_11reduce_implILb1ES3_NS6_12zip_iteratorINS7_INS6_11hip_rocprim26transform_input_iterator_tIbNSD_35transform_pair_of_input_iterators_tIbNS6_6detail15normal_iteratorINS6_10device_ptrIKsEEEESL_NS6_8equal_toIsEEEENSG_9not_fun_tINSD_8identityEEEEENSD_19counting_iterator_tIlEES8_S8_S8_S8_S8_S8_S8_S8_EEEEPS9_S9_NSD_9__find_if7functorIS9_EEEE10hipError_tPvRmT1_T2_T3_mT4_P12ihipStream_tbEUlT_E0_NS1_11comp_targetILNS1_3genE9ELNS1_11target_archE1100ELNS1_3gpuE3ELNS1_3repE0EEENS1_30default_config_static_selectorELNS0_4arch9wavefront6targetE1EEEvS14_
		.amdhsa_group_segment_fixed_size 0
		.amdhsa_private_segment_fixed_size 0
		.amdhsa_kernarg_size 104
		.amdhsa_user_sgpr_count 2
		.amdhsa_user_sgpr_dispatch_ptr 0
		.amdhsa_user_sgpr_queue_ptr 0
		.amdhsa_user_sgpr_kernarg_segment_ptr 1
		.amdhsa_user_sgpr_dispatch_id 0
		.amdhsa_user_sgpr_kernarg_preload_length 0
		.amdhsa_user_sgpr_kernarg_preload_offset 0
		.amdhsa_user_sgpr_private_segment_size 0
		.amdhsa_uses_dynamic_stack 0
		.amdhsa_enable_private_segment 0
		.amdhsa_system_sgpr_workgroup_id_x 1
		.amdhsa_system_sgpr_workgroup_id_y 0
		.amdhsa_system_sgpr_workgroup_id_z 0
		.amdhsa_system_sgpr_workgroup_info 0
		.amdhsa_system_vgpr_workitem_id 0
		.amdhsa_next_free_vgpr 1
		.amdhsa_next_free_sgpr 0
		.amdhsa_accum_offset 4
		.amdhsa_reserve_vcc 0
		.amdhsa_float_round_mode_32 0
		.amdhsa_float_round_mode_16_64 0
		.amdhsa_float_denorm_mode_32 3
		.amdhsa_float_denorm_mode_16_64 3
		.amdhsa_dx10_clamp 1
		.amdhsa_ieee_mode 1
		.amdhsa_fp16_overflow 0
		.amdhsa_tg_split 0
		.amdhsa_exception_fp_ieee_invalid_op 0
		.amdhsa_exception_fp_denorm_src 0
		.amdhsa_exception_fp_ieee_div_zero 0
		.amdhsa_exception_fp_ieee_overflow 0
		.amdhsa_exception_fp_ieee_underflow 0
		.amdhsa_exception_fp_ieee_inexact 0
		.amdhsa_exception_int_div_zero 0
	.end_amdhsa_kernel
	.section	.text._ZN7rocprim17ROCPRIM_400000_NS6detail17trampoline_kernelINS0_14default_configENS1_22reduce_config_selectorIN6thrust23THRUST_200600_302600_NS5tupleIblNS6_9null_typeES8_S8_S8_S8_S8_S8_S8_EEEEZNS1_11reduce_implILb1ES3_NS6_12zip_iteratorINS7_INS6_11hip_rocprim26transform_input_iterator_tIbNSD_35transform_pair_of_input_iterators_tIbNS6_6detail15normal_iteratorINS6_10device_ptrIKsEEEESL_NS6_8equal_toIsEEEENSG_9not_fun_tINSD_8identityEEEEENSD_19counting_iterator_tIlEES8_S8_S8_S8_S8_S8_S8_S8_EEEEPS9_S9_NSD_9__find_if7functorIS9_EEEE10hipError_tPvRmT1_T2_T3_mT4_P12ihipStream_tbEUlT_E0_NS1_11comp_targetILNS1_3genE9ELNS1_11target_archE1100ELNS1_3gpuE3ELNS1_3repE0EEENS1_30default_config_static_selectorELNS0_4arch9wavefront6targetE1EEEvS14_,"axG",@progbits,_ZN7rocprim17ROCPRIM_400000_NS6detail17trampoline_kernelINS0_14default_configENS1_22reduce_config_selectorIN6thrust23THRUST_200600_302600_NS5tupleIblNS6_9null_typeES8_S8_S8_S8_S8_S8_S8_EEEEZNS1_11reduce_implILb1ES3_NS6_12zip_iteratorINS7_INS6_11hip_rocprim26transform_input_iterator_tIbNSD_35transform_pair_of_input_iterators_tIbNS6_6detail15normal_iteratorINS6_10device_ptrIKsEEEESL_NS6_8equal_toIsEEEENSG_9not_fun_tINSD_8identityEEEEENSD_19counting_iterator_tIlEES8_S8_S8_S8_S8_S8_S8_S8_EEEEPS9_S9_NSD_9__find_if7functorIS9_EEEE10hipError_tPvRmT1_T2_T3_mT4_P12ihipStream_tbEUlT_E0_NS1_11comp_targetILNS1_3genE9ELNS1_11target_archE1100ELNS1_3gpuE3ELNS1_3repE0EEENS1_30default_config_static_selectorELNS0_4arch9wavefront6targetE1EEEvS14_,comdat
.Lfunc_end179:
	.size	_ZN7rocprim17ROCPRIM_400000_NS6detail17trampoline_kernelINS0_14default_configENS1_22reduce_config_selectorIN6thrust23THRUST_200600_302600_NS5tupleIblNS6_9null_typeES8_S8_S8_S8_S8_S8_S8_EEEEZNS1_11reduce_implILb1ES3_NS6_12zip_iteratorINS7_INS6_11hip_rocprim26transform_input_iterator_tIbNSD_35transform_pair_of_input_iterators_tIbNS6_6detail15normal_iteratorINS6_10device_ptrIKsEEEESL_NS6_8equal_toIsEEEENSG_9not_fun_tINSD_8identityEEEEENSD_19counting_iterator_tIlEES8_S8_S8_S8_S8_S8_S8_S8_EEEEPS9_S9_NSD_9__find_if7functorIS9_EEEE10hipError_tPvRmT1_T2_T3_mT4_P12ihipStream_tbEUlT_E0_NS1_11comp_targetILNS1_3genE9ELNS1_11target_archE1100ELNS1_3gpuE3ELNS1_3repE0EEENS1_30default_config_static_selectorELNS0_4arch9wavefront6targetE1EEEvS14_, .Lfunc_end179-_ZN7rocprim17ROCPRIM_400000_NS6detail17trampoline_kernelINS0_14default_configENS1_22reduce_config_selectorIN6thrust23THRUST_200600_302600_NS5tupleIblNS6_9null_typeES8_S8_S8_S8_S8_S8_S8_EEEEZNS1_11reduce_implILb1ES3_NS6_12zip_iteratorINS7_INS6_11hip_rocprim26transform_input_iterator_tIbNSD_35transform_pair_of_input_iterators_tIbNS6_6detail15normal_iteratorINS6_10device_ptrIKsEEEESL_NS6_8equal_toIsEEEENSG_9not_fun_tINSD_8identityEEEEENSD_19counting_iterator_tIlEES8_S8_S8_S8_S8_S8_S8_S8_EEEEPS9_S9_NSD_9__find_if7functorIS9_EEEE10hipError_tPvRmT1_T2_T3_mT4_P12ihipStream_tbEUlT_E0_NS1_11comp_targetILNS1_3genE9ELNS1_11target_archE1100ELNS1_3gpuE3ELNS1_3repE0EEENS1_30default_config_static_selectorELNS0_4arch9wavefront6targetE1EEEvS14_
                                        ; -- End function
	.section	.AMDGPU.csdata,"",@progbits
; Kernel info:
; codeLenInByte = 0
; NumSgprs: 6
; NumVgprs: 0
; NumAgprs: 0
; TotalNumVgprs: 0
; ScratchSize: 0
; MemoryBound: 0
; FloatMode: 240
; IeeeMode: 1
; LDSByteSize: 0 bytes/workgroup (compile time only)
; SGPRBlocks: 0
; VGPRBlocks: 0
; NumSGPRsForWavesPerEU: 6
; NumVGPRsForWavesPerEU: 1
; AccumOffset: 4
; Occupancy: 8
; WaveLimiterHint : 0
; COMPUTE_PGM_RSRC2:SCRATCH_EN: 0
; COMPUTE_PGM_RSRC2:USER_SGPR: 2
; COMPUTE_PGM_RSRC2:TRAP_HANDLER: 0
; COMPUTE_PGM_RSRC2:TGID_X_EN: 1
; COMPUTE_PGM_RSRC2:TGID_Y_EN: 0
; COMPUTE_PGM_RSRC2:TGID_Z_EN: 0
; COMPUTE_PGM_RSRC2:TIDIG_COMP_CNT: 0
; COMPUTE_PGM_RSRC3_GFX90A:ACCUM_OFFSET: 0
; COMPUTE_PGM_RSRC3_GFX90A:TG_SPLIT: 0
	.section	.text._ZN7rocprim17ROCPRIM_400000_NS6detail17trampoline_kernelINS0_14default_configENS1_22reduce_config_selectorIN6thrust23THRUST_200600_302600_NS5tupleIblNS6_9null_typeES8_S8_S8_S8_S8_S8_S8_EEEEZNS1_11reduce_implILb1ES3_NS6_12zip_iteratorINS7_INS6_11hip_rocprim26transform_input_iterator_tIbNSD_35transform_pair_of_input_iterators_tIbNS6_6detail15normal_iteratorINS6_10device_ptrIKsEEEESL_NS6_8equal_toIsEEEENSG_9not_fun_tINSD_8identityEEEEENSD_19counting_iterator_tIlEES8_S8_S8_S8_S8_S8_S8_S8_EEEEPS9_S9_NSD_9__find_if7functorIS9_EEEE10hipError_tPvRmT1_T2_T3_mT4_P12ihipStream_tbEUlT_E0_NS1_11comp_targetILNS1_3genE8ELNS1_11target_archE1030ELNS1_3gpuE2ELNS1_3repE0EEENS1_30default_config_static_selectorELNS0_4arch9wavefront6targetE1EEEvS14_,"axG",@progbits,_ZN7rocprim17ROCPRIM_400000_NS6detail17trampoline_kernelINS0_14default_configENS1_22reduce_config_selectorIN6thrust23THRUST_200600_302600_NS5tupleIblNS6_9null_typeES8_S8_S8_S8_S8_S8_S8_EEEEZNS1_11reduce_implILb1ES3_NS6_12zip_iteratorINS7_INS6_11hip_rocprim26transform_input_iterator_tIbNSD_35transform_pair_of_input_iterators_tIbNS6_6detail15normal_iteratorINS6_10device_ptrIKsEEEESL_NS6_8equal_toIsEEEENSG_9not_fun_tINSD_8identityEEEEENSD_19counting_iterator_tIlEES8_S8_S8_S8_S8_S8_S8_S8_EEEEPS9_S9_NSD_9__find_if7functorIS9_EEEE10hipError_tPvRmT1_T2_T3_mT4_P12ihipStream_tbEUlT_E0_NS1_11comp_targetILNS1_3genE8ELNS1_11target_archE1030ELNS1_3gpuE2ELNS1_3repE0EEENS1_30default_config_static_selectorELNS0_4arch9wavefront6targetE1EEEvS14_,comdat
	.protected	_ZN7rocprim17ROCPRIM_400000_NS6detail17trampoline_kernelINS0_14default_configENS1_22reduce_config_selectorIN6thrust23THRUST_200600_302600_NS5tupleIblNS6_9null_typeES8_S8_S8_S8_S8_S8_S8_EEEEZNS1_11reduce_implILb1ES3_NS6_12zip_iteratorINS7_INS6_11hip_rocprim26transform_input_iterator_tIbNSD_35transform_pair_of_input_iterators_tIbNS6_6detail15normal_iteratorINS6_10device_ptrIKsEEEESL_NS6_8equal_toIsEEEENSG_9not_fun_tINSD_8identityEEEEENSD_19counting_iterator_tIlEES8_S8_S8_S8_S8_S8_S8_S8_EEEEPS9_S9_NSD_9__find_if7functorIS9_EEEE10hipError_tPvRmT1_T2_T3_mT4_P12ihipStream_tbEUlT_E0_NS1_11comp_targetILNS1_3genE8ELNS1_11target_archE1030ELNS1_3gpuE2ELNS1_3repE0EEENS1_30default_config_static_selectorELNS0_4arch9wavefront6targetE1EEEvS14_ ; -- Begin function _ZN7rocprim17ROCPRIM_400000_NS6detail17trampoline_kernelINS0_14default_configENS1_22reduce_config_selectorIN6thrust23THRUST_200600_302600_NS5tupleIblNS6_9null_typeES8_S8_S8_S8_S8_S8_S8_EEEEZNS1_11reduce_implILb1ES3_NS6_12zip_iteratorINS7_INS6_11hip_rocprim26transform_input_iterator_tIbNSD_35transform_pair_of_input_iterators_tIbNS6_6detail15normal_iteratorINS6_10device_ptrIKsEEEESL_NS6_8equal_toIsEEEENSG_9not_fun_tINSD_8identityEEEEENSD_19counting_iterator_tIlEES8_S8_S8_S8_S8_S8_S8_S8_EEEEPS9_S9_NSD_9__find_if7functorIS9_EEEE10hipError_tPvRmT1_T2_T3_mT4_P12ihipStream_tbEUlT_E0_NS1_11comp_targetILNS1_3genE8ELNS1_11target_archE1030ELNS1_3gpuE2ELNS1_3repE0EEENS1_30default_config_static_selectorELNS0_4arch9wavefront6targetE1EEEvS14_
	.globl	_ZN7rocprim17ROCPRIM_400000_NS6detail17trampoline_kernelINS0_14default_configENS1_22reduce_config_selectorIN6thrust23THRUST_200600_302600_NS5tupleIblNS6_9null_typeES8_S8_S8_S8_S8_S8_S8_EEEEZNS1_11reduce_implILb1ES3_NS6_12zip_iteratorINS7_INS6_11hip_rocprim26transform_input_iterator_tIbNSD_35transform_pair_of_input_iterators_tIbNS6_6detail15normal_iteratorINS6_10device_ptrIKsEEEESL_NS6_8equal_toIsEEEENSG_9not_fun_tINSD_8identityEEEEENSD_19counting_iterator_tIlEES8_S8_S8_S8_S8_S8_S8_S8_EEEEPS9_S9_NSD_9__find_if7functorIS9_EEEE10hipError_tPvRmT1_T2_T3_mT4_P12ihipStream_tbEUlT_E0_NS1_11comp_targetILNS1_3genE8ELNS1_11target_archE1030ELNS1_3gpuE2ELNS1_3repE0EEENS1_30default_config_static_selectorELNS0_4arch9wavefront6targetE1EEEvS14_
	.p2align	8
	.type	_ZN7rocprim17ROCPRIM_400000_NS6detail17trampoline_kernelINS0_14default_configENS1_22reduce_config_selectorIN6thrust23THRUST_200600_302600_NS5tupleIblNS6_9null_typeES8_S8_S8_S8_S8_S8_S8_EEEEZNS1_11reduce_implILb1ES3_NS6_12zip_iteratorINS7_INS6_11hip_rocprim26transform_input_iterator_tIbNSD_35transform_pair_of_input_iterators_tIbNS6_6detail15normal_iteratorINS6_10device_ptrIKsEEEESL_NS6_8equal_toIsEEEENSG_9not_fun_tINSD_8identityEEEEENSD_19counting_iterator_tIlEES8_S8_S8_S8_S8_S8_S8_S8_EEEEPS9_S9_NSD_9__find_if7functorIS9_EEEE10hipError_tPvRmT1_T2_T3_mT4_P12ihipStream_tbEUlT_E0_NS1_11comp_targetILNS1_3genE8ELNS1_11target_archE1030ELNS1_3gpuE2ELNS1_3repE0EEENS1_30default_config_static_selectorELNS0_4arch9wavefront6targetE1EEEvS14_,@function
_ZN7rocprim17ROCPRIM_400000_NS6detail17trampoline_kernelINS0_14default_configENS1_22reduce_config_selectorIN6thrust23THRUST_200600_302600_NS5tupleIblNS6_9null_typeES8_S8_S8_S8_S8_S8_S8_EEEEZNS1_11reduce_implILb1ES3_NS6_12zip_iteratorINS7_INS6_11hip_rocprim26transform_input_iterator_tIbNSD_35transform_pair_of_input_iterators_tIbNS6_6detail15normal_iteratorINS6_10device_ptrIKsEEEESL_NS6_8equal_toIsEEEENSG_9not_fun_tINSD_8identityEEEEENSD_19counting_iterator_tIlEES8_S8_S8_S8_S8_S8_S8_S8_EEEEPS9_S9_NSD_9__find_if7functorIS9_EEEE10hipError_tPvRmT1_T2_T3_mT4_P12ihipStream_tbEUlT_E0_NS1_11comp_targetILNS1_3genE8ELNS1_11target_archE1030ELNS1_3gpuE2ELNS1_3repE0EEENS1_30default_config_static_selectorELNS0_4arch9wavefront6targetE1EEEvS14_: ; @_ZN7rocprim17ROCPRIM_400000_NS6detail17trampoline_kernelINS0_14default_configENS1_22reduce_config_selectorIN6thrust23THRUST_200600_302600_NS5tupleIblNS6_9null_typeES8_S8_S8_S8_S8_S8_S8_EEEEZNS1_11reduce_implILb1ES3_NS6_12zip_iteratorINS7_INS6_11hip_rocprim26transform_input_iterator_tIbNSD_35transform_pair_of_input_iterators_tIbNS6_6detail15normal_iteratorINS6_10device_ptrIKsEEEESL_NS6_8equal_toIsEEEENSG_9not_fun_tINSD_8identityEEEEENSD_19counting_iterator_tIlEES8_S8_S8_S8_S8_S8_S8_S8_EEEEPS9_S9_NSD_9__find_if7functorIS9_EEEE10hipError_tPvRmT1_T2_T3_mT4_P12ihipStream_tbEUlT_E0_NS1_11comp_targetILNS1_3genE8ELNS1_11target_archE1030ELNS1_3gpuE2ELNS1_3repE0EEENS1_30default_config_static_selectorELNS0_4arch9wavefront6targetE1EEEvS14_
; %bb.0:
	.section	.rodata,"a",@progbits
	.p2align	6, 0x0
	.amdhsa_kernel _ZN7rocprim17ROCPRIM_400000_NS6detail17trampoline_kernelINS0_14default_configENS1_22reduce_config_selectorIN6thrust23THRUST_200600_302600_NS5tupleIblNS6_9null_typeES8_S8_S8_S8_S8_S8_S8_EEEEZNS1_11reduce_implILb1ES3_NS6_12zip_iteratorINS7_INS6_11hip_rocprim26transform_input_iterator_tIbNSD_35transform_pair_of_input_iterators_tIbNS6_6detail15normal_iteratorINS6_10device_ptrIKsEEEESL_NS6_8equal_toIsEEEENSG_9not_fun_tINSD_8identityEEEEENSD_19counting_iterator_tIlEES8_S8_S8_S8_S8_S8_S8_S8_EEEEPS9_S9_NSD_9__find_if7functorIS9_EEEE10hipError_tPvRmT1_T2_T3_mT4_P12ihipStream_tbEUlT_E0_NS1_11comp_targetILNS1_3genE8ELNS1_11target_archE1030ELNS1_3gpuE2ELNS1_3repE0EEENS1_30default_config_static_selectorELNS0_4arch9wavefront6targetE1EEEvS14_
		.amdhsa_group_segment_fixed_size 0
		.amdhsa_private_segment_fixed_size 0
		.amdhsa_kernarg_size 104
		.amdhsa_user_sgpr_count 2
		.amdhsa_user_sgpr_dispatch_ptr 0
		.amdhsa_user_sgpr_queue_ptr 0
		.amdhsa_user_sgpr_kernarg_segment_ptr 1
		.amdhsa_user_sgpr_dispatch_id 0
		.amdhsa_user_sgpr_kernarg_preload_length 0
		.amdhsa_user_sgpr_kernarg_preload_offset 0
		.amdhsa_user_sgpr_private_segment_size 0
		.amdhsa_uses_dynamic_stack 0
		.amdhsa_enable_private_segment 0
		.amdhsa_system_sgpr_workgroup_id_x 1
		.amdhsa_system_sgpr_workgroup_id_y 0
		.amdhsa_system_sgpr_workgroup_id_z 0
		.amdhsa_system_sgpr_workgroup_info 0
		.amdhsa_system_vgpr_workitem_id 0
		.amdhsa_next_free_vgpr 1
		.amdhsa_next_free_sgpr 0
		.amdhsa_accum_offset 4
		.amdhsa_reserve_vcc 0
		.amdhsa_float_round_mode_32 0
		.amdhsa_float_round_mode_16_64 0
		.amdhsa_float_denorm_mode_32 3
		.amdhsa_float_denorm_mode_16_64 3
		.amdhsa_dx10_clamp 1
		.amdhsa_ieee_mode 1
		.amdhsa_fp16_overflow 0
		.amdhsa_tg_split 0
		.amdhsa_exception_fp_ieee_invalid_op 0
		.amdhsa_exception_fp_denorm_src 0
		.amdhsa_exception_fp_ieee_div_zero 0
		.amdhsa_exception_fp_ieee_overflow 0
		.amdhsa_exception_fp_ieee_underflow 0
		.amdhsa_exception_fp_ieee_inexact 0
		.amdhsa_exception_int_div_zero 0
	.end_amdhsa_kernel
	.section	.text._ZN7rocprim17ROCPRIM_400000_NS6detail17trampoline_kernelINS0_14default_configENS1_22reduce_config_selectorIN6thrust23THRUST_200600_302600_NS5tupleIblNS6_9null_typeES8_S8_S8_S8_S8_S8_S8_EEEEZNS1_11reduce_implILb1ES3_NS6_12zip_iteratorINS7_INS6_11hip_rocprim26transform_input_iterator_tIbNSD_35transform_pair_of_input_iterators_tIbNS6_6detail15normal_iteratorINS6_10device_ptrIKsEEEESL_NS6_8equal_toIsEEEENSG_9not_fun_tINSD_8identityEEEEENSD_19counting_iterator_tIlEES8_S8_S8_S8_S8_S8_S8_S8_EEEEPS9_S9_NSD_9__find_if7functorIS9_EEEE10hipError_tPvRmT1_T2_T3_mT4_P12ihipStream_tbEUlT_E0_NS1_11comp_targetILNS1_3genE8ELNS1_11target_archE1030ELNS1_3gpuE2ELNS1_3repE0EEENS1_30default_config_static_selectorELNS0_4arch9wavefront6targetE1EEEvS14_,"axG",@progbits,_ZN7rocprim17ROCPRIM_400000_NS6detail17trampoline_kernelINS0_14default_configENS1_22reduce_config_selectorIN6thrust23THRUST_200600_302600_NS5tupleIblNS6_9null_typeES8_S8_S8_S8_S8_S8_S8_EEEEZNS1_11reduce_implILb1ES3_NS6_12zip_iteratorINS7_INS6_11hip_rocprim26transform_input_iterator_tIbNSD_35transform_pair_of_input_iterators_tIbNS6_6detail15normal_iteratorINS6_10device_ptrIKsEEEESL_NS6_8equal_toIsEEEENSG_9not_fun_tINSD_8identityEEEEENSD_19counting_iterator_tIlEES8_S8_S8_S8_S8_S8_S8_S8_EEEEPS9_S9_NSD_9__find_if7functorIS9_EEEE10hipError_tPvRmT1_T2_T3_mT4_P12ihipStream_tbEUlT_E0_NS1_11comp_targetILNS1_3genE8ELNS1_11target_archE1030ELNS1_3gpuE2ELNS1_3repE0EEENS1_30default_config_static_selectorELNS0_4arch9wavefront6targetE1EEEvS14_,comdat
.Lfunc_end180:
	.size	_ZN7rocprim17ROCPRIM_400000_NS6detail17trampoline_kernelINS0_14default_configENS1_22reduce_config_selectorIN6thrust23THRUST_200600_302600_NS5tupleIblNS6_9null_typeES8_S8_S8_S8_S8_S8_S8_EEEEZNS1_11reduce_implILb1ES3_NS6_12zip_iteratorINS7_INS6_11hip_rocprim26transform_input_iterator_tIbNSD_35transform_pair_of_input_iterators_tIbNS6_6detail15normal_iteratorINS6_10device_ptrIKsEEEESL_NS6_8equal_toIsEEEENSG_9not_fun_tINSD_8identityEEEEENSD_19counting_iterator_tIlEES8_S8_S8_S8_S8_S8_S8_S8_EEEEPS9_S9_NSD_9__find_if7functorIS9_EEEE10hipError_tPvRmT1_T2_T3_mT4_P12ihipStream_tbEUlT_E0_NS1_11comp_targetILNS1_3genE8ELNS1_11target_archE1030ELNS1_3gpuE2ELNS1_3repE0EEENS1_30default_config_static_selectorELNS0_4arch9wavefront6targetE1EEEvS14_, .Lfunc_end180-_ZN7rocprim17ROCPRIM_400000_NS6detail17trampoline_kernelINS0_14default_configENS1_22reduce_config_selectorIN6thrust23THRUST_200600_302600_NS5tupleIblNS6_9null_typeES8_S8_S8_S8_S8_S8_S8_EEEEZNS1_11reduce_implILb1ES3_NS6_12zip_iteratorINS7_INS6_11hip_rocprim26transform_input_iterator_tIbNSD_35transform_pair_of_input_iterators_tIbNS6_6detail15normal_iteratorINS6_10device_ptrIKsEEEESL_NS6_8equal_toIsEEEENSG_9not_fun_tINSD_8identityEEEEENSD_19counting_iterator_tIlEES8_S8_S8_S8_S8_S8_S8_S8_EEEEPS9_S9_NSD_9__find_if7functorIS9_EEEE10hipError_tPvRmT1_T2_T3_mT4_P12ihipStream_tbEUlT_E0_NS1_11comp_targetILNS1_3genE8ELNS1_11target_archE1030ELNS1_3gpuE2ELNS1_3repE0EEENS1_30default_config_static_selectorELNS0_4arch9wavefront6targetE1EEEvS14_
                                        ; -- End function
	.section	.AMDGPU.csdata,"",@progbits
; Kernel info:
; codeLenInByte = 0
; NumSgprs: 6
; NumVgprs: 0
; NumAgprs: 0
; TotalNumVgprs: 0
; ScratchSize: 0
; MemoryBound: 0
; FloatMode: 240
; IeeeMode: 1
; LDSByteSize: 0 bytes/workgroup (compile time only)
; SGPRBlocks: 0
; VGPRBlocks: 0
; NumSGPRsForWavesPerEU: 6
; NumVGPRsForWavesPerEU: 1
; AccumOffset: 4
; Occupancy: 8
; WaveLimiterHint : 0
; COMPUTE_PGM_RSRC2:SCRATCH_EN: 0
; COMPUTE_PGM_RSRC2:USER_SGPR: 2
; COMPUTE_PGM_RSRC2:TRAP_HANDLER: 0
; COMPUTE_PGM_RSRC2:TGID_X_EN: 1
; COMPUTE_PGM_RSRC2:TGID_Y_EN: 0
; COMPUTE_PGM_RSRC2:TGID_Z_EN: 0
; COMPUTE_PGM_RSRC2:TIDIG_COMP_CNT: 0
; COMPUTE_PGM_RSRC3_GFX90A:ACCUM_OFFSET: 0
; COMPUTE_PGM_RSRC3_GFX90A:TG_SPLIT: 0
	.section	.text._ZN7rocprim17ROCPRIM_400000_NS6detail17trampoline_kernelINS0_14default_configENS1_22reduce_config_selectorIN6thrust23THRUST_200600_302600_NS5tupleIblNS6_9null_typeES8_S8_S8_S8_S8_S8_S8_EEEEZNS1_11reduce_implILb1ES3_NS6_12zip_iteratorINS7_INS6_11hip_rocprim26transform_input_iterator_tIbNSD_35transform_pair_of_input_iterators_tIbNS6_6detail15normal_iteratorINS6_10device_ptrIKsEEEESL_NS6_8equal_toIsEEEENSG_9not_fun_tINSD_8identityEEEEENSD_19counting_iterator_tIlEES8_S8_S8_S8_S8_S8_S8_S8_EEEEPS9_S9_NSD_9__find_if7functorIS9_EEEE10hipError_tPvRmT1_T2_T3_mT4_P12ihipStream_tbEUlT_E1_NS1_11comp_targetILNS1_3genE0ELNS1_11target_archE4294967295ELNS1_3gpuE0ELNS1_3repE0EEENS1_30default_config_static_selectorELNS0_4arch9wavefront6targetE1EEEvS14_,"axG",@progbits,_ZN7rocprim17ROCPRIM_400000_NS6detail17trampoline_kernelINS0_14default_configENS1_22reduce_config_selectorIN6thrust23THRUST_200600_302600_NS5tupleIblNS6_9null_typeES8_S8_S8_S8_S8_S8_S8_EEEEZNS1_11reduce_implILb1ES3_NS6_12zip_iteratorINS7_INS6_11hip_rocprim26transform_input_iterator_tIbNSD_35transform_pair_of_input_iterators_tIbNS6_6detail15normal_iteratorINS6_10device_ptrIKsEEEESL_NS6_8equal_toIsEEEENSG_9not_fun_tINSD_8identityEEEEENSD_19counting_iterator_tIlEES8_S8_S8_S8_S8_S8_S8_S8_EEEEPS9_S9_NSD_9__find_if7functorIS9_EEEE10hipError_tPvRmT1_T2_T3_mT4_P12ihipStream_tbEUlT_E1_NS1_11comp_targetILNS1_3genE0ELNS1_11target_archE4294967295ELNS1_3gpuE0ELNS1_3repE0EEENS1_30default_config_static_selectorELNS0_4arch9wavefront6targetE1EEEvS14_,comdat
	.protected	_ZN7rocprim17ROCPRIM_400000_NS6detail17trampoline_kernelINS0_14default_configENS1_22reduce_config_selectorIN6thrust23THRUST_200600_302600_NS5tupleIblNS6_9null_typeES8_S8_S8_S8_S8_S8_S8_EEEEZNS1_11reduce_implILb1ES3_NS6_12zip_iteratorINS7_INS6_11hip_rocprim26transform_input_iterator_tIbNSD_35transform_pair_of_input_iterators_tIbNS6_6detail15normal_iteratorINS6_10device_ptrIKsEEEESL_NS6_8equal_toIsEEEENSG_9not_fun_tINSD_8identityEEEEENSD_19counting_iterator_tIlEES8_S8_S8_S8_S8_S8_S8_S8_EEEEPS9_S9_NSD_9__find_if7functorIS9_EEEE10hipError_tPvRmT1_T2_T3_mT4_P12ihipStream_tbEUlT_E1_NS1_11comp_targetILNS1_3genE0ELNS1_11target_archE4294967295ELNS1_3gpuE0ELNS1_3repE0EEENS1_30default_config_static_selectorELNS0_4arch9wavefront6targetE1EEEvS14_ ; -- Begin function _ZN7rocprim17ROCPRIM_400000_NS6detail17trampoline_kernelINS0_14default_configENS1_22reduce_config_selectorIN6thrust23THRUST_200600_302600_NS5tupleIblNS6_9null_typeES8_S8_S8_S8_S8_S8_S8_EEEEZNS1_11reduce_implILb1ES3_NS6_12zip_iteratorINS7_INS6_11hip_rocprim26transform_input_iterator_tIbNSD_35transform_pair_of_input_iterators_tIbNS6_6detail15normal_iteratorINS6_10device_ptrIKsEEEESL_NS6_8equal_toIsEEEENSG_9not_fun_tINSD_8identityEEEEENSD_19counting_iterator_tIlEES8_S8_S8_S8_S8_S8_S8_S8_EEEEPS9_S9_NSD_9__find_if7functorIS9_EEEE10hipError_tPvRmT1_T2_T3_mT4_P12ihipStream_tbEUlT_E1_NS1_11comp_targetILNS1_3genE0ELNS1_11target_archE4294967295ELNS1_3gpuE0ELNS1_3repE0EEENS1_30default_config_static_selectorELNS0_4arch9wavefront6targetE1EEEvS14_
	.globl	_ZN7rocprim17ROCPRIM_400000_NS6detail17trampoline_kernelINS0_14default_configENS1_22reduce_config_selectorIN6thrust23THRUST_200600_302600_NS5tupleIblNS6_9null_typeES8_S8_S8_S8_S8_S8_S8_EEEEZNS1_11reduce_implILb1ES3_NS6_12zip_iteratorINS7_INS6_11hip_rocprim26transform_input_iterator_tIbNSD_35transform_pair_of_input_iterators_tIbNS6_6detail15normal_iteratorINS6_10device_ptrIKsEEEESL_NS6_8equal_toIsEEEENSG_9not_fun_tINSD_8identityEEEEENSD_19counting_iterator_tIlEES8_S8_S8_S8_S8_S8_S8_S8_EEEEPS9_S9_NSD_9__find_if7functorIS9_EEEE10hipError_tPvRmT1_T2_T3_mT4_P12ihipStream_tbEUlT_E1_NS1_11comp_targetILNS1_3genE0ELNS1_11target_archE4294967295ELNS1_3gpuE0ELNS1_3repE0EEENS1_30default_config_static_selectorELNS0_4arch9wavefront6targetE1EEEvS14_
	.p2align	8
	.type	_ZN7rocprim17ROCPRIM_400000_NS6detail17trampoline_kernelINS0_14default_configENS1_22reduce_config_selectorIN6thrust23THRUST_200600_302600_NS5tupleIblNS6_9null_typeES8_S8_S8_S8_S8_S8_S8_EEEEZNS1_11reduce_implILb1ES3_NS6_12zip_iteratorINS7_INS6_11hip_rocprim26transform_input_iterator_tIbNSD_35transform_pair_of_input_iterators_tIbNS6_6detail15normal_iteratorINS6_10device_ptrIKsEEEESL_NS6_8equal_toIsEEEENSG_9not_fun_tINSD_8identityEEEEENSD_19counting_iterator_tIlEES8_S8_S8_S8_S8_S8_S8_S8_EEEEPS9_S9_NSD_9__find_if7functorIS9_EEEE10hipError_tPvRmT1_T2_T3_mT4_P12ihipStream_tbEUlT_E1_NS1_11comp_targetILNS1_3genE0ELNS1_11target_archE4294967295ELNS1_3gpuE0ELNS1_3repE0EEENS1_30default_config_static_selectorELNS0_4arch9wavefront6targetE1EEEvS14_,@function
_ZN7rocprim17ROCPRIM_400000_NS6detail17trampoline_kernelINS0_14default_configENS1_22reduce_config_selectorIN6thrust23THRUST_200600_302600_NS5tupleIblNS6_9null_typeES8_S8_S8_S8_S8_S8_S8_EEEEZNS1_11reduce_implILb1ES3_NS6_12zip_iteratorINS7_INS6_11hip_rocprim26transform_input_iterator_tIbNSD_35transform_pair_of_input_iterators_tIbNS6_6detail15normal_iteratorINS6_10device_ptrIKsEEEESL_NS6_8equal_toIsEEEENSG_9not_fun_tINSD_8identityEEEEENSD_19counting_iterator_tIlEES8_S8_S8_S8_S8_S8_S8_S8_EEEEPS9_S9_NSD_9__find_if7functorIS9_EEEE10hipError_tPvRmT1_T2_T3_mT4_P12ihipStream_tbEUlT_E1_NS1_11comp_targetILNS1_3genE0ELNS1_11target_archE4294967295ELNS1_3gpuE0ELNS1_3repE0EEENS1_30default_config_static_selectorELNS0_4arch9wavefront6targetE1EEEvS14_: ; @_ZN7rocprim17ROCPRIM_400000_NS6detail17trampoline_kernelINS0_14default_configENS1_22reduce_config_selectorIN6thrust23THRUST_200600_302600_NS5tupleIblNS6_9null_typeES8_S8_S8_S8_S8_S8_S8_EEEEZNS1_11reduce_implILb1ES3_NS6_12zip_iteratorINS7_INS6_11hip_rocprim26transform_input_iterator_tIbNSD_35transform_pair_of_input_iterators_tIbNS6_6detail15normal_iteratorINS6_10device_ptrIKsEEEESL_NS6_8equal_toIsEEEENSG_9not_fun_tINSD_8identityEEEEENSD_19counting_iterator_tIlEES8_S8_S8_S8_S8_S8_S8_S8_EEEEPS9_S9_NSD_9__find_if7functorIS9_EEEE10hipError_tPvRmT1_T2_T3_mT4_P12ihipStream_tbEUlT_E1_NS1_11comp_targetILNS1_3genE0ELNS1_11target_archE4294967295ELNS1_3gpuE0ELNS1_3repE0EEENS1_30default_config_static_selectorELNS0_4arch9wavefront6targetE1EEEvS14_
; %bb.0:
	.section	.rodata,"a",@progbits
	.p2align	6, 0x0
	.amdhsa_kernel _ZN7rocprim17ROCPRIM_400000_NS6detail17trampoline_kernelINS0_14default_configENS1_22reduce_config_selectorIN6thrust23THRUST_200600_302600_NS5tupleIblNS6_9null_typeES8_S8_S8_S8_S8_S8_S8_EEEEZNS1_11reduce_implILb1ES3_NS6_12zip_iteratorINS7_INS6_11hip_rocprim26transform_input_iterator_tIbNSD_35transform_pair_of_input_iterators_tIbNS6_6detail15normal_iteratorINS6_10device_ptrIKsEEEESL_NS6_8equal_toIsEEEENSG_9not_fun_tINSD_8identityEEEEENSD_19counting_iterator_tIlEES8_S8_S8_S8_S8_S8_S8_S8_EEEEPS9_S9_NSD_9__find_if7functorIS9_EEEE10hipError_tPvRmT1_T2_T3_mT4_P12ihipStream_tbEUlT_E1_NS1_11comp_targetILNS1_3genE0ELNS1_11target_archE4294967295ELNS1_3gpuE0ELNS1_3repE0EEENS1_30default_config_static_selectorELNS0_4arch9wavefront6targetE1EEEvS14_
		.amdhsa_group_segment_fixed_size 0
		.amdhsa_private_segment_fixed_size 0
		.amdhsa_kernarg_size 88
		.amdhsa_user_sgpr_count 2
		.amdhsa_user_sgpr_dispatch_ptr 0
		.amdhsa_user_sgpr_queue_ptr 0
		.amdhsa_user_sgpr_kernarg_segment_ptr 1
		.amdhsa_user_sgpr_dispatch_id 0
		.amdhsa_user_sgpr_kernarg_preload_length 0
		.amdhsa_user_sgpr_kernarg_preload_offset 0
		.amdhsa_user_sgpr_private_segment_size 0
		.amdhsa_uses_dynamic_stack 0
		.amdhsa_enable_private_segment 0
		.amdhsa_system_sgpr_workgroup_id_x 1
		.amdhsa_system_sgpr_workgroup_id_y 0
		.amdhsa_system_sgpr_workgroup_id_z 0
		.amdhsa_system_sgpr_workgroup_info 0
		.amdhsa_system_vgpr_workitem_id 0
		.amdhsa_next_free_vgpr 1
		.amdhsa_next_free_sgpr 0
		.amdhsa_accum_offset 4
		.amdhsa_reserve_vcc 0
		.amdhsa_float_round_mode_32 0
		.amdhsa_float_round_mode_16_64 0
		.amdhsa_float_denorm_mode_32 3
		.amdhsa_float_denorm_mode_16_64 3
		.amdhsa_dx10_clamp 1
		.amdhsa_ieee_mode 1
		.amdhsa_fp16_overflow 0
		.amdhsa_tg_split 0
		.amdhsa_exception_fp_ieee_invalid_op 0
		.amdhsa_exception_fp_denorm_src 0
		.amdhsa_exception_fp_ieee_div_zero 0
		.amdhsa_exception_fp_ieee_overflow 0
		.amdhsa_exception_fp_ieee_underflow 0
		.amdhsa_exception_fp_ieee_inexact 0
		.amdhsa_exception_int_div_zero 0
	.end_amdhsa_kernel
	.section	.text._ZN7rocprim17ROCPRIM_400000_NS6detail17trampoline_kernelINS0_14default_configENS1_22reduce_config_selectorIN6thrust23THRUST_200600_302600_NS5tupleIblNS6_9null_typeES8_S8_S8_S8_S8_S8_S8_EEEEZNS1_11reduce_implILb1ES3_NS6_12zip_iteratorINS7_INS6_11hip_rocprim26transform_input_iterator_tIbNSD_35transform_pair_of_input_iterators_tIbNS6_6detail15normal_iteratorINS6_10device_ptrIKsEEEESL_NS6_8equal_toIsEEEENSG_9not_fun_tINSD_8identityEEEEENSD_19counting_iterator_tIlEES8_S8_S8_S8_S8_S8_S8_S8_EEEEPS9_S9_NSD_9__find_if7functorIS9_EEEE10hipError_tPvRmT1_T2_T3_mT4_P12ihipStream_tbEUlT_E1_NS1_11comp_targetILNS1_3genE0ELNS1_11target_archE4294967295ELNS1_3gpuE0ELNS1_3repE0EEENS1_30default_config_static_selectorELNS0_4arch9wavefront6targetE1EEEvS14_,"axG",@progbits,_ZN7rocprim17ROCPRIM_400000_NS6detail17trampoline_kernelINS0_14default_configENS1_22reduce_config_selectorIN6thrust23THRUST_200600_302600_NS5tupleIblNS6_9null_typeES8_S8_S8_S8_S8_S8_S8_EEEEZNS1_11reduce_implILb1ES3_NS6_12zip_iteratorINS7_INS6_11hip_rocprim26transform_input_iterator_tIbNSD_35transform_pair_of_input_iterators_tIbNS6_6detail15normal_iteratorINS6_10device_ptrIKsEEEESL_NS6_8equal_toIsEEEENSG_9not_fun_tINSD_8identityEEEEENSD_19counting_iterator_tIlEES8_S8_S8_S8_S8_S8_S8_S8_EEEEPS9_S9_NSD_9__find_if7functorIS9_EEEE10hipError_tPvRmT1_T2_T3_mT4_P12ihipStream_tbEUlT_E1_NS1_11comp_targetILNS1_3genE0ELNS1_11target_archE4294967295ELNS1_3gpuE0ELNS1_3repE0EEENS1_30default_config_static_selectorELNS0_4arch9wavefront6targetE1EEEvS14_,comdat
.Lfunc_end181:
	.size	_ZN7rocprim17ROCPRIM_400000_NS6detail17trampoline_kernelINS0_14default_configENS1_22reduce_config_selectorIN6thrust23THRUST_200600_302600_NS5tupleIblNS6_9null_typeES8_S8_S8_S8_S8_S8_S8_EEEEZNS1_11reduce_implILb1ES3_NS6_12zip_iteratorINS7_INS6_11hip_rocprim26transform_input_iterator_tIbNSD_35transform_pair_of_input_iterators_tIbNS6_6detail15normal_iteratorINS6_10device_ptrIKsEEEESL_NS6_8equal_toIsEEEENSG_9not_fun_tINSD_8identityEEEEENSD_19counting_iterator_tIlEES8_S8_S8_S8_S8_S8_S8_S8_EEEEPS9_S9_NSD_9__find_if7functorIS9_EEEE10hipError_tPvRmT1_T2_T3_mT4_P12ihipStream_tbEUlT_E1_NS1_11comp_targetILNS1_3genE0ELNS1_11target_archE4294967295ELNS1_3gpuE0ELNS1_3repE0EEENS1_30default_config_static_selectorELNS0_4arch9wavefront6targetE1EEEvS14_, .Lfunc_end181-_ZN7rocprim17ROCPRIM_400000_NS6detail17trampoline_kernelINS0_14default_configENS1_22reduce_config_selectorIN6thrust23THRUST_200600_302600_NS5tupleIblNS6_9null_typeES8_S8_S8_S8_S8_S8_S8_EEEEZNS1_11reduce_implILb1ES3_NS6_12zip_iteratorINS7_INS6_11hip_rocprim26transform_input_iterator_tIbNSD_35transform_pair_of_input_iterators_tIbNS6_6detail15normal_iteratorINS6_10device_ptrIKsEEEESL_NS6_8equal_toIsEEEENSG_9not_fun_tINSD_8identityEEEEENSD_19counting_iterator_tIlEES8_S8_S8_S8_S8_S8_S8_S8_EEEEPS9_S9_NSD_9__find_if7functorIS9_EEEE10hipError_tPvRmT1_T2_T3_mT4_P12ihipStream_tbEUlT_E1_NS1_11comp_targetILNS1_3genE0ELNS1_11target_archE4294967295ELNS1_3gpuE0ELNS1_3repE0EEENS1_30default_config_static_selectorELNS0_4arch9wavefront6targetE1EEEvS14_
                                        ; -- End function
	.section	.AMDGPU.csdata,"",@progbits
; Kernel info:
; codeLenInByte = 0
; NumSgprs: 6
; NumVgprs: 0
; NumAgprs: 0
; TotalNumVgprs: 0
; ScratchSize: 0
; MemoryBound: 0
; FloatMode: 240
; IeeeMode: 1
; LDSByteSize: 0 bytes/workgroup (compile time only)
; SGPRBlocks: 0
; VGPRBlocks: 0
; NumSGPRsForWavesPerEU: 6
; NumVGPRsForWavesPerEU: 1
; AccumOffset: 4
; Occupancy: 8
; WaveLimiterHint : 0
; COMPUTE_PGM_RSRC2:SCRATCH_EN: 0
; COMPUTE_PGM_RSRC2:USER_SGPR: 2
; COMPUTE_PGM_RSRC2:TRAP_HANDLER: 0
; COMPUTE_PGM_RSRC2:TGID_X_EN: 1
; COMPUTE_PGM_RSRC2:TGID_Y_EN: 0
; COMPUTE_PGM_RSRC2:TGID_Z_EN: 0
; COMPUTE_PGM_RSRC2:TIDIG_COMP_CNT: 0
; COMPUTE_PGM_RSRC3_GFX90A:ACCUM_OFFSET: 0
; COMPUTE_PGM_RSRC3_GFX90A:TG_SPLIT: 0
	.section	.text._ZN7rocprim17ROCPRIM_400000_NS6detail17trampoline_kernelINS0_14default_configENS1_22reduce_config_selectorIN6thrust23THRUST_200600_302600_NS5tupleIblNS6_9null_typeES8_S8_S8_S8_S8_S8_S8_EEEEZNS1_11reduce_implILb1ES3_NS6_12zip_iteratorINS7_INS6_11hip_rocprim26transform_input_iterator_tIbNSD_35transform_pair_of_input_iterators_tIbNS6_6detail15normal_iteratorINS6_10device_ptrIKsEEEESL_NS6_8equal_toIsEEEENSG_9not_fun_tINSD_8identityEEEEENSD_19counting_iterator_tIlEES8_S8_S8_S8_S8_S8_S8_S8_EEEEPS9_S9_NSD_9__find_if7functorIS9_EEEE10hipError_tPvRmT1_T2_T3_mT4_P12ihipStream_tbEUlT_E1_NS1_11comp_targetILNS1_3genE5ELNS1_11target_archE942ELNS1_3gpuE9ELNS1_3repE0EEENS1_30default_config_static_selectorELNS0_4arch9wavefront6targetE1EEEvS14_,"axG",@progbits,_ZN7rocprim17ROCPRIM_400000_NS6detail17trampoline_kernelINS0_14default_configENS1_22reduce_config_selectorIN6thrust23THRUST_200600_302600_NS5tupleIblNS6_9null_typeES8_S8_S8_S8_S8_S8_S8_EEEEZNS1_11reduce_implILb1ES3_NS6_12zip_iteratorINS7_INS6_11hip_rocprim26transform_input_iterator_tIbNSD_35transform_pair_of_input_iterators_tIbNS6_6detail15normal_iteratorINS6_10device_ptrIKsEEEESL_NS6_8equal_toIsEEEENSG_9not_fun_tINSD_8identityEEEEENSD_19counting_iterator_tIlEES8_S8_S8_S8_S8_S8_S8_S8_EEEEPS9_S9_NSD_9__find_if7functorIS9_EEEE10hipError_tPvRmT1_T2_T3_mT4_P12ihipStream_tbEUlT_E1_NS1_11comp_targetILNS1_3genE5ELNS1_11target_archE942ELNS1_3gpuE9ELNS1_3repE0EEENS1_30default_config_static_selectorELNS0_4arch9wavefront6targetE1EEEvS14_,comdat
	.protected	_ZN7rocprim17ROCPRIM_400000_NS6detail17trampoline_kernelINS0_14default_configENS1_22reduce_config_selectorIN6thrust23THRUST_200600_302600_NS5tupleIblNS6_9null_typeES8_S8_S8_S8_S8_S8_S8_EEEEZNS1_11reduce_implILb1ES3_NS6_12zip_iteratorINS7_INS6_11hip_rocprim26transform_input_iterator_tIbNSD_35transform_pair_of_input_iterators_tIbNS6_6detail15normal_iteratorINS6_10device_ptrIKsEEEESL_NS6_8equal_toIsEEEENSG_9not_fun_tINSD_8identityEEEEENSD_19counting_iterator_tIlEES8_S8_S8_S8_S8_S8_S8_S8_EEEEPS9_S9_NSD_9__find_if7functorIS9_EEEE10hipError_tPvRmT1_T2_T3_mT4_P12ihipStream_tbEUlT_E1_NS1_11comp_targetILNS1_3genE5ELNS1_11target_archE942ELNS1_3gpuE9ELNS1_3repE0EEENS1_30default_config_static_selectorELNS0_4arch9wavefront6targetE1EEEvS14_ ; -- Begin function _ZN7rocprim17ROCPRIM_400000_NS6detail17trampoline_kernelINS0_14default_configENS1_22reduce_config_selectorIN6thrust23THRUST_200600_302600_NS5tupleIblNS6_9null_typeES8_S8_S8_S8_S8_S8_S8_EEEEZNS1_11reduce_implILb1ES3_NS6_12zip_iteratorINS7_INS6_11hip_rocprim26transform_input_iterator_tIbNSD_35transform_pair_of_input_iterators_tIbNS6_6detail15normal_iteratorINS6_10device_ptrIKsEEEESL_NS6_8equal_toIsEEEENSG_9not_fun_tINSD_8identityEEEEENSD_19counting_iterator_tIlEES8_S8_S8_S8_S8_S8_S8_S8_EEEEPS9_S9_NSD_9__find_if7functorIS9_EEEE10hipError_tPvRmT1_T2_T3_mT4_P12ihipStream_tbEUlT_E1_NS1_11comp_targetILNS1_3genE5ELNS1_11target_archE942ELNS1_3gpuE9ELNS1_3repE0EEENS1_30default_config_static_selectorELNS0_4arch9wavefront6targetE1EEEvS14_
	.globl	_ZN7rocprim17ROCPRIM_400000_NS6detail17trampoline_kernelINS0_14default_configENS1_22reduce_config_selectorIN6thrust23THRUST_200600_302600_NS5tupleIblNS6_9null_typeES8_S8_S8_S8_S8_S8_S8_EEEEZNS1_11reduce_implILb1ES3_NS6_12zip_iteratorINS7_INS6_11hip_rocprim26transform_input_iterator_tIbNSD_35transform_pair_of_input_iterators_tIbNS6_6detail15normal_iteratorINS6_10device_ptrIKsEEEESL_NS6_8equal_toIsEEEENSG_9not_fun_tINSD_8identityEEEEENSD_19counting_iterator_tIlEES8_S8_S8_S8_S8_S8_S8_S8_EEEEPS9_S9_NSD_9__find_if7functorIS9_EEEE10hipError_tPvRmT1_T2_T3_mT4_P12ihipStream_tbEUlT_E1_NS1_11comp_targetILNS1_3genE5ELNS1_11target_archE942ELNS1_3gpuE9ELNS1_3repE0EEENS1_30default_config_static_selectorELNS0_4arch9wavefront6targetE1EEEvS14_
	.p2align	8
	.type	_ZN7rocprim17ROCPRIM_400000_NS6detail17trampoline_kernelINS0_14default_configENS1_22reduce_config_selectorIN6thrust23THRUST_200600_302600_NS5tupleIblNS6_9null_typeES8_S8_S8_S8_S8_S8_S8_EEEEZNS1_11reduce_implILb1ES3_NS6_12zip_iteratorINS7_INS6_11hip_rocprim26transform_input_iterator_tIbNSD_35transform_pair_of_input_iterators_tIbNS6_6detail15normal_iteratorINS6_10device_ptrIKsEEEESL_NS6_8equal_toIsEEEENSG_9not_fun_tINSD_8identityEEEEENSD_19counting_iterator_tIlEES8_S8_S8_S8_S8_S8_S8_S8_EEEEPS9_S9_NSD_9__find_if7functorIS9_EEEE10hipError_tPvRmT1_T2_T3_mT4_P12ihipStream_tbEUlT_E1_NS1_11comp_targetILNS1_3genE5ELNS1_11target_archE942ELNS1_3gpuE9ELNS1_3repE0EEENS1_30default_config_static_selectorELNS0_4arch9wavefront6targetE1EEEvS14_,@function
_ZN7rocprim17ROCPRIM_400000_NS6detail17trampoline_kernelINS0_14default_configENS1_22reduce_config_selectorIN6thrust23THRUST_200600_302600_NS5tupleIblNS6_9null_typeES8_S8_S8_S8_S8_S8_S8_EEEEZNS1_11reduce_implILb1ES3_NS6_12zip_iteratorINS7_INS6_11hip_rocprim26transform_input_iterator_tIbNSD_35transform_pair_of_input_iterators_tIbNS6_6detail15normal_iteratorINS6_10device_ptrIKsEEEESL_NS6_8equal_toIsEEEENSG_9not_fun_tINSD_8identityEEEEENSD_19counting_iterator_tIlEES8_S8_S8_S8_S8_S8_S8_S8_EEEEPS9_S9_NSD_9__find_if7functorIS9_EEEE10hipError_tPvRmT1_T2_T3_mT4_P12ihipStream_tbEUlT_E1_NS1_11comp_targetILNS1_3genE5ELNS1_11target_archE942ELNS1_3gpuE9ELNS1_3repE0EEENS1_30default_config_static_selectorELNS0_4arch9wavefront6targetE1EEEvS14_: ; @_ZN7rocprim17ROCPRIM_400000_NS6detail17trampoline_kernelINS0_14default_configENS1_22reduce_config_selectorIN6thrust23THRUST_200600_302600_NS5tupleIblNS6_9null_typeES8_S8_S8_S8_S8_S8_S8_EEEEZNS1_11reduce_implILb1ES3_NS6_12zip_iteratorINS7_INS6_11hip_rocprim26transform_input_iterator_tIbNSD_35transform_pair_of_input_iterators_tIbNS6_6detail15normal_iteratorINS6_10device_ptrIKsEEEESL_NS6_8equal_toIsEEEENSG_9not_fun_tINSD_8identityEEEEENSD_19counting_iterator_tIlEES8_S8_S8_S8_S8_S8_S8_S8_EEEEPS9_S9_NSD_9__find_if7functorIS9_EEEE10hipError_tPvRmT1_T2_T3_mT4_P12ihipStream_tbEUlT_E1_NS1_11comp_targetILNS1_3genE5ELNS1_11target_archE942ELNS1_3gpuE9ELNS1_3repE0EEENS1_30default_config_static_selectorELNS0_4arch9wavefront6targetE1EEEvS14_
; %bb.0:
	s_load_dword s54, s[0:1], 0x4
	s_load_dwordx4 s[40:43], s[0:1], 0x8
	s_load_dwordx4 s[36:39], s[0:1], 0x28
	s_load_dword s33, s[0:1], 0x40
	s_load_dwordx2 s[44:45], s[0:1], 0x48
	s_waitcnt lgkmcnt(0)
	s_cmp_lt_i32 s54, 4
	s_cbranch_scc1 .LBB182_22
; %bb.1:
	s_cmp_gt_i32 s54, 7
	s_cbranch_scc0 .LBB182_23
; %bb.2:
	s_cmp_gt_i32 s54, 15
	s_cbranch_scc0 .LBB182_24
; %bb.3:
	s_cmp_eq_u32 s54, 16
	s_mov_b64 s[46:47], 0
	s_cbranch_scc0 .LBB182_25
; %bb.4:
	s_mov_b32 s3, 0
	s_lshl_b32 s26, s2, 12
	s_mov_b32 s27, s3
	s_lshr_b64 s[4:5], s[38:39], 12
	s_lshl_b64 s[6:7], s[26:27], 1
	s_add_u32 s34, s40, s6
	s_addc_u32 s35, s41, s7
	s_add_u32 s48, s42, s6
	s_addc_u32 s49, s43, s7
	s_add_u32 s50, s36, s26
	s_addc_u32 s51, s37, 0
	s_cmp_lg_u64 s[4:5], s[2:3]
	s_cbranch_scc0 .LBB182_46
; %bb.5:
	v_mov_b32_e32 v1, 0
	v_lshlrev_b32_e32 v2, 1, v0
	v_mov_b32_e32 v3, v1
	v_lshl_add_u64 v[4:5], s[34:35], 0, v[2:3]
	s_movk_i32 s4, 0x1000
	v_lshl_add_u64 v[6:7], s[48:49], 0, v[2:3]
	global_load_ushort v8, v2, s[34:35]
	global_load_ushort v9, v2, s[34:35] offset:512
	global_load_ushort v10, v2, s[34:35] offset:1024
	;; [unrolled: 1-line block ×7, first 2 shown]
	global_load_ushort v16, v2, s[48:49]
	global_load_ushort v17, v2, s[48:49] offset:512
	global_load_ushort v18, v2, s[48:49] offset:1024
	;; [unrolled: 1-line block ×7, first 2 shown]
	v_add_co_u32_e32 v2, vcc, s4, v4
	v_mov_b32_e32 v40, 0x200
	s_nop 0
	v_addc_co_u32_e32 v3, vcc, 0, v5, vcc
	global_load_ushort v24, v[2:3], off
	v_add_co_u32_e32 v4, vcc, s4, v6
	v_mov_b32_e32 v41, 0x100
	s_nop 0
	v_addc_co_u32_e32 v5, vcc, 0, v7, vcc
	global_load_ushort v25, v[4:5], off
	global_load_ushort v26, v[2:3], off offset:1024
	global_load_ushort v27, v[4:5], off offset:1024
	;; [unrolled: 1-line block ×14, first 2 shown]
	s_mov_b64 s[4:5], 0xe00
	v_mov_b32_e32 v42, 0x400
	v_mov_b32_e32 v43, 0x300
	v_lshl_add_u64 v[2:3], s[50:51], 0, v[0:1]
	v_lshl_add_u64 v[4:5], v[2:3], 0, s[4:5]
	s_mov_b64 s[6:7], 0xf00
	v_mov_b32_e32 v44, 0x600
	v_mov_b32_e32 v45, 0x500
	;; [unrolled: 1-line block ×4, first 2 shown]
	v_lshl_add_u64 v[6:7], v[2:3], 0, s[6:7]
	s_waitcnt vmcnt(23)
	v_cmp_ne_u16_e64 s[16:17], v8, v16
	s_waitcnt vmcnt(22)
	v_cmp_ne_u16_e64 s[8:9], v9, v17
	s_waitcnt vmcnt(21)
	v_cmp_ne_u16_e32 vcc, v10, v18
	s_waitcnt vmcnt(20)
	v_cmp_ne_u16_e64 s[10:11], v11, v19
	v_cndmask_b32_e64 v9, v40, v41, s[8:9]
	s_or_b64 s[8:9], s[16:17], s[8:9]
	s_or_b64 vcc, s[8:9], vcc
	s_waitcnt vmcnt(19)
	v_cmp_ne_u16_e64 s[4:5], v12, v20
	v_cndmask_b32_e64 v10, v42, v43, s[10:11]
	v_cndmask_b32_e64 v8, v9, 0, s[16:17]
	s_or_b64 s[10:11], vcc, s[10:11]
	s_waitcnt vmcnt(18)
	v_cmp_ne_u16_e64 s[12:13], v13, v21
	v_cndmask_b32_e32 v8, v10, v8, vcc
	s_or_b64 vcc, s[10:11], s[4:5]
	s_waitcnt vmcnt(17)
	v_cmp_ne_u16_e64 s[6:7], v14, v22
	v_cndmask_b32_e64 v11, v44, v45, s[12:13]
	s_waitcnt vmcnt(16)
	v_cmp_ne_u16_e64 s[14:15], v15, v23
	s_or_b64 s[4:5], vcc, s[12:13]
	v_cndmask_b32_e32 v8, v11, v8, vcc
	v_cndmask_b32_e64 v12, v46, v47, s[14:15]
	s_or_b64 vcc, s[4:5], s[6:7]
	s_waitcnt vmcnt(14)
	v_cmp_ne_u16_e64 s[8:9], v24, v25
	v_cndmask_b32_e32 v8, v12, v8, vcc
	s_or_b64 s[4:5], vcc, s[14:15]
	v_mov_b32_e32 v9, 0xa00
	v_mov_b32_e32 v10, 0x900
	s_waitcnt vmcnt(2)
	v_cmp_ne_u16_e32 vcc, v36, v37
	s_or_b64 s[4:5], s[4:5], s[8:9]
	v_cmp_ne_u16_e64 s[16:17], v26, v27
	v_cndmask_b32_e32 v9, v9, v10, vcc
	v_cndmask_b32_e64 v8, v9, v8, s[4:5]
	s_or_b64 s[4:5], s[4:5], vcc
	v_mov_b32_e32 v9, 0xc00
	v_mov_b32_e32 v10, 0xb00
	s_waitcnt vmcnt(0)
	v_cmp_ne_u16_e32 vcc, v38, v39
	s_or_b64 s[4:5], s[4:5], s[16:17]
	v_cmp_ne_u16_e64 s[18:19], v28, v32
	v_cndmask_b32_e32 v9, v9, v10, vcc
	v_cndmask_b32_e64 v8, v9, v8, s[4:5]
	s_or_b64 s[4:5], s[4:5], vcc
	v_mov_b32_e32 v9, 0xd00
	s_or_b64 vcc, s[4:5], s[18:19]
	v_cndmask_b32_e32 v8, v9, v8, vcc
	v_mov_b32_e32 v9, v1
	v_lshl_add_u64 v[2:3], v[8:9], 0, v[2:3]
	v_cmp_ne_u16_e64 s[22:23], v30, v34
	v_cmp_lt_i64_e64 s[4:5], v[4:5], v[2:3]
	v_cmp_ne_u16_e64 s[20:21], v29, v33
	s_and_b64 s[4:5], s[22:23], s[4:5]
	v_cndmask_b32_e64 v1, v2, v4, s[4:5]
	v_cndmask_b32_e64 v2, v3, v5, s[4:5]
	s_or_b64 vcc, vcc, s[20:21]
	v_cndmask_b32_e32 v3, v5, v2, vcc
	v_cndmask_b32_e32 v2, v4, v1, vcc
	v_cmp_ne_u16_e64 s[24:25], v31, v35
	v_cmp_lt_i64_e64 s[4:5], v[6:7], v[2:3]
	s_and_b64 s[4:5], s[24:25], s[4:5]
	s_or_b64 vcc, vcc, s[22:23]
	v_cndmask_b32_e64 v1, v2, v6, s[4:5]
	v_cndmask_b32_e64 v2, v3, v7, s[4:5]
	s_or_b64 s[4:5], vcc, s[24:25]
	v_cndmask_b32_e32 v3, v7, v2, vcc
	v_cndmask_b32_e32 v2, v6, v1, vcc
	v_cndmask_b32_e64 v1, 0, 1, s[4:5]
	v_mov_b32_dpp v5, v3 quad_perm:[1,0,3,2] row_mask:0xf bank_mask:0xf bound_ctrl:1
	v_mov_b32_dpp v4, v2 quad_perm:[1,0,3,2] row_mask:0xf bank_mask:0xf bound_ctrl:1
	;; [unrolled: 1-line block ×3, first 2 shown]
	v_and_b32_e32 v7, 1, v6
	v_cmp_eq_u32_e32 vcc, 1, v7
	s_and_saveexec_b64 s[6:7], vcc
; %bb.6:
	v_cmp_lt_i64_e32 vcc, v[2:3], v[4:5]
	v_cndmask_b32_e64 v6, v6, 1, s[4:5]
	s_and_b64 vcc, s[4:5], vcc
	v_cndmask_b32_e32 v2, v4, v2, vcc
	v_and_b32_e32 v4, 1, v6
	v_cndmask_b32_e32 v3, v5, v3, vcc
	v_cmp_eq_u32_e32 vcc, 1, v4
	s_andn2_b64 s[4:5], s[4:5], exec
	s_and_b64 s[8:9], vcc, exec
	v_and_b32_e32 v1, 0xff, v6
	s_or_b64 s[4:5], s[4:5], s[8:9]
; %bb.7:
	s_or_b64 exec, exec, s[6:7]
	v_mov_b32_dpp v6, v1 quad_perm:[2,3,0,1] row_mask:0xf bank_mask:0xf bound_ctrl:1
	v_and_b32_e32 v7, 1, v6
	v_mov_b32_dpp v4, v2 quad_perm:[2,3,0,1] row_mask:0xf bank_mask:0xf bound_ctrl:1
	v_mov_b32_dpp v5, v3 quad_perm:[2,3,0,1] row_mask:0xf bank_mask:0xf bound_ctrl:1
	v_cmp_eq_u32_e32 vcc, 1, v7
	s_and_saveexec_b64 s[6:7], vcc
; %bb.8:
	v_cmp_lt_i64_e32 vcc, v[2:3], v[4:5]
	v_cndmask_b32_e64 v6, v6, 1, s[4:5]
	s_and_b64 vcc, s[4:5], vcc
	v_cndmask_b32_e32 v2, v4, v2, vcc
	v_and_b32_e32 v4, 1, v6
	v_cndmask_b32_e32 v3, v5, v3, vcc
	v_cmp_eq_u32_e32 vcc, 1, v4
	s_andn2_b64 s[4:5], s[4:5], exec
	s_and_b64 s[8:9], vcc, exec
	v_and_b32_e32 v1, 0xff, v6
	s_or_b64 s[4:5], s[4:5], s[8:9]
; %bb.9:
	s_or_b64 exec, exec, s[6:7]
	v_mov_b32_dpp v6, v1 row_ror:4 row_mask:0xf bank_mask:0xf bound_ctrl:1
	v_and_b32_e32 v7, 1, v6
	v_mov_b32_dpp v4, v2 row_ror:4 row_mask:0xf bank_mask:0xf bound_ctrl:1
	v_mov_b32_dpp v5, v3 row_ror:4 row_mask:0xf bank_mask:0xf bound_ctrl:1
	v_cmp_eq_u32_e32 vcc, 1, v7
	s_and_saveexec_b64 s[6:7], vcc
; %bb.10:
	v_cmp_lt_i64_e32 vcc, v[2:3], v[4:5]
	v_cndmask_b32_e64 v6, v6, 1, s[4:5]
	s_and_b64 vcc, s[4:5], vcc
	v_cndmask_b32_e32 v2, v4, v2, vcc
	v_and_b32_e32 v4, 1, v6
	v_cndmask_b32_e32 v3, v5, v3, vcc
	v_cmp_eq_u32_e32 vcc, 1, v4
	s_andn2_b64 s[4:5], s[4:5], exec
	s_and_b64 s[8:9], vcc, exec
	v_and_b32_e32 v1, 0xff, v6
	s_or_b64 s[4:5], s[4:5], s[8:9]
; %bb.11:
	s_or_b64 exec, exec, s[6:7]
	v_mov_b32_dpp v6, v1 row_ror:8 row_mask:0xf bank_mask:0xf bound_ctrl:1
	v_and_b32_e32 v7, 1, v6
	v_mov_b32_dpp v4, v2 row_ror:8 row_mask:0xf bank_mask:0xf bound_ctrl:1
	v_mov_b32_dpp v5, v3 row_ror:8 row_mask:0xf bank_mask:0xf bound_ctrl:1
	v_cmp_eq_u32_e32 vcc, 1, v7
	s_and_saveexec_b64 s[6:7], vcc
; %bb.12:
	v_cmp_lt_i64_e32 vcc, v[2:3], v[4:5]
	v_cndmask_b32_e64 v6, v6, 1, s[4:5]
	s_and_b64 vcc, s[4:5], vcc
	v_cndmask_b32_e32 v2, v4, v2, vcc
	v_and_b32_e32 v4, 1, v6
	v_cndmask_b32_e32 v3, v5, v3, vcc
	v_cmp_eq_u32_e32 vcc, 1, v4
	s_andn2_b64 s[4:5], s[4:5], exec
	s_and_b64 s[8:9], vcc, exec
	v_and_b32_e32 v1, 0xff, v6
	s_or_b64 s[4:5], s[4:5], s[8:9]
; %bb.13:
	s_or_b64 exec, exec, s[6:7]
	v_mov_b32_dpp v6, v1 row_bcast:15 row_mask:0xf bank_mask:0xf bound_ctrl:1
	v_and_b32_e32 v7, 1, v6
	v_mov_b32_dpp v4, v2 row_bcast:15 row_mask:0xf bank_mask:0xf bound_ctrl:1
	v_mov_b32_dpp v5, v3 row_bcast:15 row_mask:0xf bank_mask:0xf bound_ctrl:1
	v_cmp_eq_u32_e32 vcc, 1, v7
	s_and_saveexec_b64 s[6:7], vcc
; %bb.14:
	v_cmp_lt_i64_e32 vcc, v[2:3], v[4:5]
	v_cndmask_b32_e64 v6, v6, 1, s[4:5]
	s_and_b64 vcc, s[4:5], vcc
	v_cndmask_b32_e32 v2, v4, v2, vcc
	v_and_b32_e32 v4, 1, v6
	v_cndmask_b32_e32 v3, v5, v3, vcc
	v_cmp_eq_u32_e32 vcc, 1, v4
	s_andn2_b64 s[4:5], s[4:5], exec
	s_and_b64 s[8:9], vcc, exec
	v_and_b32_e32 v1, 0xff, v6
	s_or_b64 s[4:5], s[4:5], s[8:9]
; %bb.15:
	s_or_b64 exec, exec, s[6:7]
	v_mov_b32_dpp v6, v1 row_bcast:31 row_mask:0xf bank_mask:0xf bound_ctrl:1
	v_and_b32_e32 v7, 1, v6
	v_mov_b32_dpp v4, v2 row_bcast:31 row_mask:0xf bank_mask:0xf bound_ctrl:1
	v_mov_b32_dpp v5, v3 row_bcast:31 row_mask:0xf bank_mask:0xf bound_ctrl:1
	v_cmp_eq_u32_e32 vcc, 1, v7
	s_and_saveexec_b64 s[6:7], vcc
; %bb.16:
	v_cmp_lt_i64_e32 vcc, v[2:3], v[4:5]
	v_and_b32_e32 v1, 0xff, v6
	s_and_b64 vcc, s[4:5], vcc
	v_cndmask_b32_e32 v2, v4, v2, vcc
	v_cndmask_b32_e32 v3, v5, v3, vcc
	v_cndmask_b32_e64 v1, v1, 1, s[4:5]
; %bb.17:
	s_or_b64 exec, exec, s[6:7]
	v_mbcnt_lo_u32_b32 v4, -1, 0
	v_mbcnt_hi_u32_b32 v4, -1, v4
	v_bfrev_b32_e32 v5, 0.5
	v_lshl_or_b32 v5, v4, 2, v5
	ds_bpermute_b32 v7, v5, v1
	ds_bpermute_b32 v2, v5, v2
	;; [unrolled: 1-line block ×3, first 2 shown]
	v_cmp_eq_u32_e32 vcc, 0, v4
	s_and_saveexec_b64 s[4:5], vcc
	s_cbranch_execz .LBB182_19
; %bb.18:
	v_lshrrev_b32_e32 v1, 2, v0
	v_and_b32_e32 v1, 48, v1
	s_waitcnt lgkmcnt(2)
	ds_write_b8 v1, v7
	s_waitcnt lgkmcnt(1)
	ds_write_b64 v1, v[2:3] offset:8
.LBB182_19:
	s_or_b64 exec, exec, s[4:5]
	v_cmp_gt_u32_e32 vcc, 64, v0
	s_waitcnt lgkmcnt(0)
	s_barrier
	s_and_saveexec_b64 s[6:7], vcc
	s_cbranch_execz .LBB182_21
; %bb.20:
	v_and_b32_e32 v1, 3, v4
	v_lshlrev_b32_e32 v2, 4, v1
	ds_read_u8 v5, v2
	ds_read_b64 v[2:3], v2 offset:8
	v_cmp_ne_u32_e32 vcc, 3, v1
	s_waitcnt lgkmcnt(1)
	v_and_b32_e32 v7, 0xff, v5
	v_addc_co_u32_e32 v6, vcc, 0, v4, vcc
	v_lshlrev_b32_e32 v8, 2, v6
	ds_bpermute_b32 v9, v8, v7
	s_waitcnt lgkmcnt(1)
	ds_bpermute_b32 v6, v8, v2
	ds_bpermute_b32 v7, v8, v3
	v_and_b32_e32 v8, 1, v5
	s_waitcnt lgkmcnt(2)
	v_and_b32_e32 v10, 1, v9
	v_cmp_eq_u32_e64 s[4:5], 1, v10
	s_waitcnt lgkmcnt(0)
	v_cmp_lt_i64_e32 vcc, v[6:7], v[2:3]
	s_and_b64 vcc, s[4:5], vcc
	v_cndmask_b32_e64 v5, v5, 1, s[4:5]
	v_cndmask_b32_e32 v2, v2, v6, vcc
	v_cndmask_b32_e32 v3, v3, v7, vcc
	v_cmp_eq_u32_e32 vcc, 1, v8
	s_nop 1
	v_cndmask_b32_e32 v8, v9, v5, vcc
	v_cndmask_b32_e32 v3, v7, v3, vcc
	;; [unrolled: 1-line block ×3, first 2 shown]
	v_cmp_gt_u32_e32 vcc, 2, v1
	v_and_b32_e32 v5, 0xff, v8
	s_nop 0
	v_cndmask_b32_e64 v1, 0, 1, vcc
	v_lshlrev_b32_e32 v1, 1, v1
	v_add_lshl_u32 v1, v1, v4, 2
	ds_bpermute_b32 v6, v1, v5
	ds_bpermute_b32 v4, v1, v2
	;; [unrolled: 1-line block ×3, first 2 shown]
	v_and_b32_e32 v1, 1, v8
	s_waitcnt lgkmcnt(2)
	v_and_b32_e32 v7, 1, v6
	v_cmp_eq_u32_e64 s[4:5], 1, v7
	s_waitcnt lgkmcnt(0)
	v_cmp_lt_i64_e32 vcc, v[4:5], v[2:3]
	s_and_b64 vcc, s[4:5], vcc
	v_cndmask_b32_e64 v7, v8, 1, s[4:5]
	v_cndmask_b32_e32 v2, v2, v4, vcc
	v_cndmask_b32_e32 v3, v3, v5, vcc
	v_cmp_eq_u32_e32 vcc, 1, v1
	s_nop 1
	v_cndmask_b32_e32 v1, v6, v7, vcc
	v_cndmask_b32_e32 v3, v5, v3, vcc
	v_cndmask_b32_e32 v2, v4, v2, vcc
	v_and_b32_e32 v7, 0xff, v1
.LBB182_21:
	s_or_b64 exec, exec, s[6:7]
	s_mov_b64 s[4:5], 0
	s_branch .LBB182_47
.LBB182_22:
	s_mov_b64 s[18:19], 0
                                        ; implicit-def: $vgpr4_vgpr5
                                        ; implicit-def: $vgpr1
	s_cbranch_execnz .LBB182_232
	s_branch .LBB182_307
.LBB182_23:
	s_mov_b64 s[18:19], 0
                                        ; implicit-def: $vgpr4_vgpr5
                                        ; implicit-def: $vgpr1
	s_cbranch_execnz .LBB182_173
	s_branch .LBB182_193
.LBB182_24:
	s_mov_b64 s[46:47], -1
.LBB182_25:
	s_mov_b64 s[18:19], 0
                                        ; implicit-def: $vgpr4_vgpr5
                                        ; implicit-def: $vgpr1
	s_and_b64 vcc, exec, s[46:47]
	s_cbranch_vccz .LBB182_121
.LBB182_26:
	s_cmp_eq_u32 s54, 8
	s_cbranch_scc0 .LBB182_45
; %bb.27:
	s_mov_b32 s3, 0
	s_lshl_b32 s26, s2, 11
	s_mov_b32 s27, s3
	s_lshr_b64 s[4:5], s[38:39], 11
	s_lshl_b64 s[6:7], s[26:27], 1
	s_add_u32 s20, s40, s6
	s_addc_u32 s21, s41, s7
	s_add_u32 s22, s42, s6
	s_addc_u32 s23, s43, s7
	s_add_u32 s24, s36, s26
	s_addc_u32 s25, s37, 0
	s_cmp_lg_u64 s[4:5], s[2:3]
	s_cbranch_scc0 .LBB182_122
; %bb.28:
	v_lshlrev_b32_e32 v1, 1, v0
	s_waitcnt lgkmcnt(1)
	global_load_ushort v4, v1, s[20:21] offset:512
	global_load_ushort v6, v1, s[20:21] offset:1024
	;; [unrolled: 1-line block ×14, first 2 shown]
	global_load_ushort v19, v1, s[20:21]
	global_load_ushort v20, v1, s[22:23]
	v_mov_b32_e32 v1, 0
	v_mov_b32_e32 v21, 0x200
	;; [unrolled: 1-line block ×3, first 2 shown]
	v_lshl_add_u64 v[2:3], s[24:25], 0, v[0:1]
	s_waitcnt lgkmcnt(0)
	v_mov_b32_e32 v5, v1
	v_mov_b32_e32 v23, 0x400
	;; [unrolled: 1-line block ×6, first 2 shown]
	s_waitcnt vmcnt(13)
	v_cmp_ne_u16_e32 vcc, v6, v7
	s_waitcnt vmcnt(11)
	v_cmp_ne_u16_e64 s[4:5], v8, v9
	s_waitcnt vmcnt(8)
	v_cmp_ne_u16_e64 s[6:7], v10, v12
	s_waitcnt vmcnt(7)
	v_cmp_ne_u16_e64 s[8:9], v11, v13
	s_waitcnt vmcnt(6)
	v_cmp_ne_u16_e64 s[10:11], v4, v14
	s_waitcnt vmcnt(4)
	v_cmp_ne_u16_e64 s[12:13], v15, v16
	v_cndmask_b32_e64 v1, v21, v22, s[10:11]
	s_nop 0
	v_cndmask_b32_e64 v4, v23, v24, s[12:13]
	s_waitcnt vmcnt(2)
	v_cmp_ne_u16_e64 s[14:15], v17, v18
	s_waitcnt vmcnt(0)
	v_cmp_ne_u16_e64 s[16:17], v19, v20
	s_or_b64 s[10:11], s[16:17], s[10:11]
	s_or_b64 vcc, s[10:11], vcc
	v_cndmask_b32_e64 v1, v1, 0, s[16:17]
	s_or_b64 s[10:11], vcc, s[12:13]
	v_cndmask_b32_e32 v1, v4, v1, vcc
	s_or_b64 vcc, s[10:11], s[4:5]
	v_cndmask_b32_e64 v6, v25, v26, s[14:15]
	s_or_b64 s[4:5], vcc, s[14:15]
	v_cndmask_b32_e32 v1, v6, v1, vcc
	s_or_b64 vcc, s[4:5], s[6:7]
	s_or_b64 s[4:5], vcc, s[8:9]
	v_cndmask_b32_e32 v4, v27, v1, vcc
	v_cndmask_b32_e64 v1, 0, 1, s[4:5]
	v_lshl_add_u64 v[2:3], v[2:3], 0, v[4:5]
	s_nop 0
	v_mov_b32_dpp v6, v1 quad_perm:[1,0,3,2] row_mask:0xf bank_mask:0xf bound_ctrl:1
	v_and_b32_e32 v7, 1, v6
	v_mov_b32_dpp v4, v2 quad_perm:[1,0,3,2] row_mask:0xf bank_mask:0xf bound_ctrl:1
	v_mov_b32_dpp v5, v3 quad_perm:[1,0,3,2] row_mask:0xf bank_mask:0xf bound_ctrl:1
	v_cmp_eq_u32_e32 vcc, 1, v7
	s_and_saveexec_b64 s[6:7], vcc
; %bb.29:
	v_cmp_lt_i64_e32 vcc, v[2:3], v[4:5]
	v_cndmask_b32_e64 v6, v6, 1, s[4:5]
	s_and_b64 vcc, s[4:5], vcc
	v_cndmask_b32_e32 v2, v4, v2, vcc
	v_and_b32_e32 v4, 1, v6
	v_cndmask_b32_e32 v3, v5, v3, vcc
	v_cmp_eq_u32_e32 vcc, 1, v4
	s_andn2_b64 s[4:5], s[4:5], exec
	s_and_b64 s[8:9], vcc, exec
	v_and_b32_e32 v1, 0xff, v6
	s_or_b64 s[4:5], s[4:5], s[8:9]
; %bb.30:
	s_or_b64 exec, exec, s[6:7]
	v_mov_b32_dpp v6, v1 quad_perm:[2,3,0,1] row_mask:0xf bank_mask:0xf bound_ctrl:1
	v_and_b32_e32 v7, 1, v6
	v_mov_b32_dpp v4, v2 quad_perm:[2,3,0,1] row_mask:0xf bank_mask:0xf bound_ctrl:1
	v_mov_b32_dpp v5, v3 quad_perm:[2,3,0,1] row_mask:0xf bank_mask:0xf bound_ctrl:1
	v_cmp_eq_u32_e32 vcc, 1, v7
	s_and_saveexec_b64 s[6:7], vcc
; %bb.31:
	v_cmp_lt_i64_e32 vcc, v[2:3], v[4:5]
	v_cndmask_b32_e64 v6, v6, 1, s[4:5]
	s_and_b64 vcc, s[4:5], vcc
	v_cndmask_b32_e32 v2, v4, v2, vcc
	v_and_b32_e32 v4, 1, v6
	v_cndmask_b32_e32 v3, v5, v3, vcc
	v_cmp_eq_u32_e32 vcc, 1, v4
	s_andn2_b64 s[4:5], s[4:5], exec
	s_and_b64 s[8:9], vcc, exec
	v_and_b32_e32 v1, 0xff, v6
	s_or_b64 s[4:5], s[4:5], s[8:9]
; %bb.32:
	s_or_b64 exec, exec, s[6:7]
	v_mov_b32_dpp v6, v1 row_ror:4 row_mask:0xf bank_mask:0xf bound_ctrl:1
	v_and_b32_e32 v7, 1, v6
	v_mov_b32_dpp v4, v2 row_ror:4 row_mask:0xf bank_mask:0xf bound_ctrl:1
	v_mov_b32_dpp v5, v3 row_ror:4 row_mask:0xf bank_mask:0xf bound_ctrl:1
	v_cmp_eq_u32_e32 vcc, 1, v7
	s_and_saveexec_b64 s[6:7], vcc
; %bb.33:
	v_cmp_lt_i64_e32 vcc, v[2:3], v[4:5]
	v_cndmask_b32_e64 v6, v6, 1, s[4:5]
	s_and_b64 vcc, s[4:5], vcc
	v_cndmask_b32_e32 v2, v4, v2, vcc
	v_and_b32_e32 v4, 1, v6
	v_cndmask_b32_e32 v3, v5, v3, vcc
	v_cmp_eq_u32_e32 vcc, 1, v4
	s_andn2_b64 s[4:5], s[4:5], exec
	s_and_b64 s[8:9], vcc, exec
	v_and_b32_e32 v1, 0xff, v6
	s_or_b64 s[4:5], s[4:5], s[8:9]
; %bb.34:
	s_or_b64 exec, exec, s[6:7]
	v_mov_b32_dpp v6, v1 row_ror:8 row_mask:0xf bank_mask:0xf bound_ctrl:1
	v_and_b32_e32 v7, 1, v6
	v_mov_b32_dpp v4, v2 row_ror:8 row_mask:0xf bank_mask:0xf bound_ctrl:1
	v_mov_b32_dpp v5, v3 row_ror:8 row_mask:0xf bank_mask:0xf bound_ctrl:1
	v_cmp_eq_u32_e32 vcc, 1, v7
	s_and_saveexec_b64 s[6:7], vcc
; %bb.35:
	v_cmp_lt_i64_e32 vcc, v[2:3], v[4:5]
	v_cndmask_b32_e64 v6, v6, 1, s[4:5]
	s_and_b64 vcc, s[4:5], vcc
	v_cndmask_b32_e32 v2, v4, v2, vcc
	v_and_b32_e32 v4, 1, v6
	v_cndmask_b32_e32 v3, v5, v3, vcc
	v_cmp_eq_u32_e32 vcc, 1, v4
	s_andn2_b64 s[4:5], s[4:5], exec
	s_and_b64 s[8:9], vcc, exec
	v_and_b32_e32 v1, 0xff, v6
	s_or_b64 s[4:5], s[4:5], s[8:9]
; %bb.36:
	s_or_b64 exec, exec, s[6:7]
	v_mov_b32_dpp v6, v1 row_bcast:15 row_mask:0xf bank_mask:0xf bound_ctrl:1
	v_and_b32_e32 v7, 1, v6
	v_mov_b32_dpp v4, v2 row_bcast:15 row_mask:0xf bank_mask:0xf bound_ctrl:1
	v_mov_b32_dpp v5, v3 row_bcast:15 row_mask:0xf bank_mask:0xf bound_ctrl:1
	v_cmp_eq_u32_e32 vcc, 1, v7
	s_and_saveexec_b64 s[6:7], vcc
; %bb.37:
	v_cmp_lt_i64_e32 vcc, v[2:3], v[4:5]
	v_cndmask_b32_e64 v6, v6, 1, s[4:5]
	s_and_b64 vcc, s[4:5], vcc
	v_cndmask_b32_e32 v2, v4, v2, vcc
	v_and_b32_e32 v4, 1, v6
	v_cndmask_b32_e32 v3, v5, v3, vcc
	v_cmp_eq_u32_e32 vcc, 1, v4
	s_andn2_b64 s[4:5], s[4:5], exec
	s_and_b64 s[8:9], vcc, exec
	v_and_b32_e32 v1, 0xff, v6
	s_or_b64 s[4:5], s[4:5], s[8:9]
; %bb.38:
	s_or_b64 exec, exec, s[6:7]
	v_mov_b32_dpp v6, v1 row_bcast:31 row_mask:0xf bank_mask:0xf bound_ctrl:1
	v_and_b32_e32 v7, 1, v6
	v_mov_b32_dpp v4, v2 row_bcast:31 row_mask:0xf bank_mask:0xf bound_ctrl:1
	v_mov_b32_dpp v5, v3 row_bcast:31 row_mask:0xf bank_mask:0xf bound_ctrl:1
	v_cmp_eq_u32_e32 vcc, 1, v7
	s_and_saveexec_b64 s[6:7], vcc
; %bb.39:
	v_cmp_lt_i64_e32 vcc, v[2:3], v[4:5]
	v_and_b32_e32 v1, 0xff, v6
	s_and_b64 vcc, s[4:5], vcc
	v_cndmask_b32_e32 v2, v4, v2, vcc
	v_cndmask_b32_e32 v3, v5, v3, vcc
	v_cndmask_b32_e64 v1, v1, 1, s[4:5]
; %bb.40:
	s_or_b64 exec, exec, s[6:7]
	v_mbcnt_lo_u32_b32 v4, -1, 0
	v_mbcnt_hi_u32_b32 v4, -1, v4
	v_bfrev_b32_e32 v5, 0.5
	v_lshl_or_b32 v5, v4, 2, v5
	ds_bpermute_b32 v7, v5, v1
	ds_bpermute_b32 v2, v5, v2
	;; [unrolled: 1-line block ×3, first 2 shown]
	v_cmp_eq_u32_e32 vcc, 0, v4
	s_and_saveexec_b64 s[4:5], vcc
	s_cbranch_execz .LBB182_42
; %bb.41:
	v_lshrrev_b32_e32 v1, 2, v0
	v_and_b32_e32 v1, 48, v1
	s_waitcnt lgkmcnt(2)
	ds_write_b8 v1, v7 offset:256
	s_waitcnt lgkmcnt(1)
	ds_write_b64 v1, v[2:3] offset:264
.LBB182_42:
	s_or_b64 exec, exec, s[4:5]
	v_cmp_gt_u32_e32 vcc, 64, v0
	s_waitcnt lgkmcnt(0)
	s_barrier
	s_and_saveexec_b64 s[6:7], vcc
	s_cbranch_execz .LBB182_44
; %bb.43:
	v_and_b32_e32 v1, 3, v4
	v_lshlrev_b32_e32 v2, 4, v1
	ds_read_u8 v5, v2 offset:256
	ds_read_b64 v[2:3], v2 offset:264
	v_cmp_ne_u32_e32 vcc, 3, v1
	s_waitcnt lgkmcnt(1)
	v_and_b32_e32 v7, 0xff, v5
	v_addc_co_u32_e32 v6, vcc, 0, v4, vcc
	v_lshlrev_b32_e32 v8, 2, v6
	ds_bpermute_b32 v9, v8, v7
	s_waitcnt lgkmcnt(1)
	ds_bpermute_b32 v6, v8, v2
	ds_bpermute_b32 v7, v8, v3
	v_and_b32_e32 v8, 1, v5
	s_waitcnt lgkmcnt(2)
	v_and_b32_e32 v10, 1, v9
	v_cmp_eq_u32_e64 s[4:5], 1, v10
	s_waitcnt lgkmcnt(0)
	v_cmp_lt_i64_e32 vcc, v[6:7], v[2:3]
	s_and_b64 vcc, s[4:5], vcc
	v_cndmask_b32_e64 v5, v5, 1, s[4:5]
	v_cndmask_b32_e32 v2, v2, v6, vcc
	v_cndmask_b32_e32 v3, v3, v7, vcc
	v_cmp_eq_u32_e32 vcc, 1, v8
	s_nop 1
	v_cndmask_b32_e32 v8, v9, v5, vcc
	v_cndmask_b32_e32 v3, v7, v3, vcc
	;; [unrolled: 1-line block ×3, first 2 shown]
	v_cmp_gt_u32_e32 vcc, 2, v1
	v_and_b32_e32 v5, 0xff, v8
	s_nop 0
	v_cndmask_b32_e64 v1, 0, 1, vcc
	v_lshlrev_b32_e32 v1, 1, v1
	v_add_lshl_u32 v1, v1, v4, 2
	ds_bpermute_b32 v6, v1, v5
	ds_bpermute_b32 v4, v1, v2
	;; [unrolled: 1-line block ×3, first 2 shown]
	v_and_b32_e32 v1, 1, v8
	s_waitcnt lgkmcnt(2)
	v_and_b32_e32 v7, 1, v6
	v_cmp_eq_u32_e64 s[4:5], 1, v7
	s_waitcnt lgkmcnt(0)
	v_cmp_lt_i64_e32 vcc, v[4:5], v[2:3]
	s_and_b64 vcc, s[4:5], vcc
	v_cndmask_b32_e64 v7, v8, 1, s[4:5]
	v_cndmask_b32_e32 v2, v2, v4, vcc
	v_cndmask_b32_e32 v3, v3, v5, vcc
	v_cmp_eq_u32_e32 vcc, 1, v1
	s_nop 1
	v_cndmask_b32_e32 v1, v6, v7, vcc
	v_cndmask_b32_e32 v3, v5, v3, vcc
	;; [unrolled: 1-line block ×3, first 2 shown]
	v_and_b32_e32 v7, 0xff, v1
.LBB182_44:
	s_or_b64 exec, exec, s[6:7]
	s_mov_b64 s[4:5], 0
	s_branch .LBB182_123
.LBB182_45:
                                        ; implicit-def: $vgpr4_vgpr5
                                        ; implicit-def: $vgpr1
	s_branch .LBB182_193
.LBB182_46:
	s_mov_b64 s[4:5], -1
                                        ; implicit-def: $vgpr2_vgpr3
                                        ; implicit-def: $vgpr7
.LBB182_47:
	s_and_b64 vcc, exec, s[4:5]
	s_cbranch_vccz .LBB182_116
; %bb.48:
	s_sub_i32 s55, s38, s26
	v_mov_b64_e32 v[18:19], 0
	v_cmp_gt_u32_e32 vcc, s55, v0
	v_mov_b32_e32 v43, 0
	v_mov_b64_e32 v[2:3], v[18:19]
	v_mov_b32_e32 v1, 0
	s_and_saveexec_b64 s[4:5], vcc
	s_cbranch_execz .LBB182_50
; %bb.49:
	v_lshlrev_b32_e32 v1, 1, v0
	global_load_ushort v4, v1, s[34:35]
	global_load_ushort v5, v1, s[48:49]
	v_mov_b32_e32 v1, 0
	v_lshl_add_u64 v[2:3], s[50:51], 0, v[0:1]
	s_waitcnt vmcnt(0)
	v_cmp_ne_u16_e32 vcc, v4, v5
	s_nop 1
	v_cndmask_b32_e64 v1, 0, 1, vcc
.LBB182_50:
	s_or_b64 exec, exec, s[4:5]
	v_or_b32_e32 v4, 0x100, v0
	v_cmp_gt_u32_e64 s[30:31], s55, v4
	s_and_saveexec_b64 s[4:5], s[30:31]
	s_cbranch_execz .LBB182_52
; %bb.51:
	v_lshlrev_b32_e32 v5, 1, v0
	global_load_ushort v6, v5, s[34:35] offset:512
	global_load_ushort v7, v5, s[48:49] offset:512
	v_mov_b32_e32 v5, 0
	v_lshl_add_u64 v[18:19], s[50:51], 0, v[4:5]
	s_waitcnt vmcnt(0)
	v_cmp_ne_u16_e32 vcc, v6, v7
	s_nop 1
	v_cndmask_b32_e64 v43, 0, 1, vcc
.LBB182_52:
	s_or_b64 exec, exec, s[4:5]
	v_or_b32_e32 v4, 0x200, v0
	v_mov_b64_e32 v[16:17], 0
	v_cmp_gt_u32_e64 s[28:29], s55, v4
	v_mov_b32_e32 v42, 0
	v_mov_b64_e32 v[32:33], v[16:17]
	v_mov_b32_e32 v50, 0
	s_and_saveexec_b64 s[4:5], s[28:29]
	s_cbranch_execz .LBB182_54
; %bb.53:
	v_lshlrev_b32_e32 v5, 1, v0
	global_load_ushort v6, v5, s[34:35] offset:1024
	global_load_ushort v7, v5, s[48:49] offset:1024
	v_mov_b32_e32 v5, 0
	v_lshl_add_u64 v[32:33], s[50:51], 0, v[4:5]
	s_waitcnt vmcnt(0)
	v_cmp_ne_u16_e32 vcc, v6, v7
	s_nop 1
	v_cndmask_b32_e64 v50, 0, 1, vcc
.LBB182_54:
	s_or_b64 exec, exec, s[4:5]
	v_or_b32_e32 v4, 0x300, v0
	v_cmp_gt_u32_e64 s[26:27], s55, v4
	s_and_saveexec_b64 s[4:5], s[26:27]
	s_cbranch_execz .LBB182_56
; %bb.55:
	v_lshlrev_b32_e32 v5, 1, v0
	global_load_ushort v6, v5, s[34:35] offset:1536
	global_load_ushort v7, v5, s[48:49] offset:1536
	v_mov_b32_e32 v5, 0
	v_lshl_add_u64 v[16:17], s[50:51], 0, v[4:5]
	s_waitcnt vmcnt(0)
	v_cmp_ne_u16_e32 vcc, v6, v7
	s_nop 1
	v_cndmask_b32_e64 v42, 0, 1, vcc
.LBB182_56:
	s_or_b64 exec, exec, s[4:5]
	v_or_b32_e32 v4, 0x400, v0
	v_mov_b64_e32 v[14:15], 0
	v_cmp_gt_u32_e64 s[24:25], s55, v4
	v_mov_b32_e32 v41, 0
	v_mov_b64_e32 v[30:31], v[14:15]
	v_mov_b32_e32 v49, 0
	s_and_saveexec_b64 s[4:5], s[24:25]
	s_cbranch_execz .LBB182_58
; %bb.57:
	v_lshlrev_b32_e32 v5, 1, v0
	global_load_ushort v6, v5, s[34:35] offset:2048
	global_load_ushort v7, v5, s[48:49] offset:2048
	v_mov_b32_e32 v5, 0
	v_lshl_add_u64 v[30:31], s[50:51], 0, v[4:5]
	s_waitcnt vmcnt(0)
	v_cmp_ne_u16_e32 vcc, v6, v7
	s_nop 1
	v_cndmask_b32_e64 v49, 0, 1, vcc
.LBB182_58:
	;; [unrolled: 36-line block ×3, first 2 shown]
	s_or_b64 exec, exec, s[4:5]
	v_or_b32_e32 v4, 0x700, v0
	v_cmp_gt_u32_e64 s[18:19], s55, v4
	s_and_saveexec_b64 s[4:5], s[18:19]
	s_cbranch_execz .LBB182_64
; %bb.63:
	v_lshlrev_b32_e32 v5, 1, v0
	global_load_ushort v6, v5, s[34:35] offset:3584
	global_load_ushort v7, v5, s[48:49] offset:3584
	v_mov_b32_e32 v5, 0
	v_lshl_add_u64 v[12:13], s[50:51], 0, v[4:5]
	s_waitcnt vmcnt(0)
	v_cmp_ne_u16_e32 vcc, v6, v7
	s_nop 1
	v_cndmask_b32_e64 v40, 0, 1, vcc
.LBB182_64:
	s_or_b64 exec, exec, s[4:5]
	v_or_b32_e32 v4, 0x800, v0
	v_mov_b64_e32 v[10:11], 0
	v_cmp_gt_u32_e64 s[16:17], s55, v4
	v_mov_b32_e32 v39, 0
	v_mov_b64_e32 v[26:27], v[10:11]
	v_mov_b32_e32 v47, 0
	s_and_saveexec_b64 s[4:5], s[16:17]
	s_cbranch_execz .LBB182_66
; %bb.65:
	v_lshlrev_b32_e32 v5, 1, v4
	global_load_ushort v6, v5, s[34:35]
	global_load_ushort v7, v5, s[48:49]
	v_mov_b32_e32 v5, 0
	v_lshl_add_u64 v[26:27], s[50:51], 0, v[4:5]
	s_waitcnt vmcnt(0)
	v_cmp_ne_u16_e32 vcc, v6, v7
	s_nop 1
	v_cndmask_b32_e64 v47, 0, 1, vcc
.LBB182_66:
	s_or_b64 exec, exec, s[4:5]
	v_or_b32_e32 v4, 0x900, v0
	v_cmp_gt_u32_e64 s[14:15], s55, v4
	s_and_saveexec_b64 s[4:5], s[14:15]
	s_cbranch_execz .LBB182_68
; %bb.67:
	v_lshlrev_b32_e32 v5, 1, v4
	global_load_ushort v6, v5, s[34:35]
	global_load_ushort v7, v5, s[48:49]
	v_mov_b32_e32 v5, 0
	v_lshl_add_u64 v[10:11], s[50:51], 0, v[4:5]
	s_waitcnt vmcnt(0)
	v_cmp_ne_u16_e32 vcc, v6, v7
	s_nop 1
	v_cndmask_b32_e64 v39, 0, 1, vcc
.LBB182_68:
	s_or_b64 exec, exec, s[4:5]
	v_or_b32_e32 v4, 0xa00, v0
	v_mov_b64_e32 v[8:9], 0
	v_cmp_gt_u32_e64 s[12:13], s55, v4
	v_mov_b32_e32 v38, 0
	v_mov_b64_e32 v[24:25], v[8:9]
	v_mov_b32_e32 v46, 0
	s_and_saveexec_b64 s[4:5], s[12:13]
	s_cbranch_execz .LBB182_70
; %bb.69:
	v_lshlrev_b32_e32 v5, 1, v4
	global_load_ushort v6, v5, s[34:35]
	global_load_ushort v7, v5, s[48:49]
	v_mov_b32_e32 v5, 0
	v_lshl_add_u64 v[24:25], s[50:51], 0, v[4:5]
	s_waitcnt vmcnt(0)
	v_cmp_ne_u16_e32 vcc, v6, v7
	s_nop 1
	v_cndmask_b32_e64 v46, 0, 1, vcc
.LBB182_70:
	s_or_b64 exec, exec, s[4:5]
	v_or_b32_e32 v4, 0xb00, v0
	v_cmp_gt_u32_e64 s[10:11], s55, v4
	s_and_saveexec_b64 s[4:5], s[10:11]
	s_cbranch_execz .LBB182_72
; %bb.71:
	v_lshlrev_b32_e32 v5, 1, v4
	global_load_ushort v6, v5, s[34:35]
	global_load_ushort v7, v5, s[48:49]
	v_mov_b32_e32 v5, 0
	v_lshl_add_u64 v[8:9], s[50:51], 0, v[4:5]
	s_waitcnt vmcnt(0)
	v_cmp_ne_u16_e32 vcc, v6, v7
	s_nop 1
	v_cndmask_b32_e64 v38, 0, 1, vcc
.LBB182_72:
	s_or_b64 exec, exec, s[4:5]
	v_or_b32_e32 v4, 0xc00, v0
	v_mov_b64_e32 v[6:7], 0
	v_cmp_gt_u32_e64 s[8:9], s55, v4
	v_mov_b32_e32 v37, 0
	v_mov_b32_e32 v45, 0
	v_mov_b64_e32 v[22:23], v[6:7]
	s_and_saveexec_b64 s[4:5], s[8:9]
	s_cbranch_execz .LBB182_74
; %bb.73:
	v_lshlrev_b32_e32 v5, 1, v4
	global_load_ushort v20, v5, s[34:35]
	global_load_ushort v21, v5, s[48:49]
	v_mov_b32_e32 v5, 0
	v_lshl_add_u64 v[22:23], s[50:51], 0, v[4:5]
	s_waitcnt vmcnt(0)
	v_cmp_ne_u16_e32 vcc, v20, v21
	s_nop 1
	v_cndmask_b32_e64 v45, 0, 1, vcc
.LBB182_74:
	s_or_b64 exec, exec, s[4:5]
	v_or_b32_e32 v4, 0xd00, v0
	v_cmp_gt_u32_e64 s[6:7], s55, v4
	s_and_saveexec_b64 s[4:5], s[6:7]
	s_cbranch_execz .LBB182_76
; %bb.75:
	v_lshlrev_b32_e32 v5, 1, v4
	global_load_ushort v20, v5, s[34:35]
	global_load_ushort v21, v5, s[48:49]
	v_mov_b32_e32 v5, 0
	v_lshl_add_u64 v[6:7], s[50:51], 0, v[4:5]
	s_waitcnt vmcnt(0)
	v_cmp_ne_u16_e32 vcc, v20, v21
	s_nop 1
	v_cndmask_b32_e64 v37, 0, 1, vcc
.LBB182_76:
	s_or_b64 exec, exec, s[4:5]
	v_or_b32_e32 v34, 0xe00, v0
	v_mov_b64_e32 v[4:5], 0
	v_cmp_gt_u32_e64 s[4:5], s55, v34
	v_mov_b32_e32 v36, 0
	v_mov_b32_e32 v44, 0
	v_mov_b64_e32 v[20:21], v[4:5]
	s_and_saveexec_b64 s[52:53], s[4:5]
	s_cbranch_execz .LBB182_78
; %bb.77:
	v_lshlrev_b32_e32 v20, 1, v34
	global_load_ushort v44, v20, s[34:35]
	global_load_ushort v51, v20, s[48:49]
	v_mov_b32_e32 v35, 0
	v_lshl_add_u64 v[20:21], s[50:51], 0, v[34:35]
	s_waitcnt vmcnt(0)
	v_cmp_ne_u16_e32 vcc, v44, v51
	s_nop 1
	v_cndmask_b32_e64 v44, 0, 1, vcc
.LBB182_78:
	s_or_b64 exec, exec, s[52:53]
	v_or_b32_e32 v34, 0xf00, v0
	v_cmp_gt_u32_e32 vcc, s55, v34
	s_and_saveexec_b64 s[52:53], vcc
	s_cbranch_execnz .LBB182_342
; %bb.79:
	s_or_b64 exec, exec, s[52:53]
	s_and_saveexec_b64 s[48:49], s[30:31]
	s_cbranch_execnz .LBB182_343
.LBB182_80:
	s_or_b64 exec, exec, s[48:49]
	s_and_saveexec_b64 s[34:35], s[28:29]
	s_cbranch_execnz .LBB182_344
.LBB182_81:
	s_or_b64 exec, exec, s[34:35]
	s_and_saveexec_b64 s[30:31], s[26:27]
	s_cbranch_execnz .LBB182_345
.LBB182_82:
	s_or_b64 exec, exec, s[30:31]
	s_and_saveexec_b64 s[28:29], s[24:25]
	s_cbranch_execnz .LBB182_346
.LBB182_83:
	s_or_b64 exec, exec, s[28:29]
	s_and_saveexec_b64 s[26:27], s[22:23]
	s_cbranch_execnz .LBB182_347
.LBB182_84:
	s_or_b64 exec, exec, s[26:27]
	s_and_saveexec_b64 s[24:25], s[20:21]
	s_cbranch_execnz .LBB182_348
.LBB182_85:
	s_or_b64 exec, exec, s[24:25]
	s_and_saveexec_b64 s[22:23], s[18:19]
	s_cbranch_execnz .LBB182_349
.LBB182_86:
	s_or_b64 exec, exec, s[22:23]
	s_and_saveexec_b64 s[20:21], s[16:17]
	s_cbranch_execnz .LBB182_350
.LBB182_87:
	s_or_b64 exec, exec, s[20:21]
	s_and_saveexec_b64 s[18:19], s[14:15]
	s_cbranch_execnz .LBB182_351
.LBB182_88:
	s_or_b64 exec, exec, s[18:19]
	s_and_saveexec_b64 s[16:17], s[12:13]
	s_cbranch_execnz .LBB182_352
.LBB182_89:
	s_or_b64 exec, exec, s[16:17]
	s_and_saveexec_b64 s[14:15], s[10:11]
	s_cbranch_execnz .LBB182_353
.LBB182_90:
	s_or_b64 exec, exec, s[14:15]
	s_and_saveexec_b64 s[12:13], s[8:9]
	s_cbranch_execnz .LBB182_354
.LBB182_91:
	s_or_b64 exec, exec, s[12:13]
	s_and_saveexec_b64 s[10:11], s[6:7]
	s_cbranch_execnz .LBB182_355
.LBB182_92:
	s_or_b64 exec, exec, s[10:11]
	s_and_saveexec_b64 s[8:9], s[4:5]
	s_cbranch_execnz .LBB182_356
.LBB182_93:
	s_or_b64 exec, exec, s[8:9]
	s_and_saveexec_b64 s[6:7], vcc
	s_cbranch_execz .LBB182_95
.LBB182_94:
	v_and_b32_e32 v7, 1, v36
	v_cmp_lt_i64_e32 vcc, v[4:5], v[2:3]
	v_cmp_eq_u32_e64 s[4:5], 1, v7
	v_and_b32_e32 v6, 1, v1
	s_and_b64 vcc, s[4:5], vcc
	v_cndmask_b32_e64 v1, v1, 1, s[4:5]
	v_cndmask_b32_e32 v2, v2, v4, vcc
	v_cndmask_b32_e32 v3, v3, v5, vcc
	v_cmp_eq_u32_e32 vcc, 1, v6
	s_nop 1
	v_cndmask_b32_e32 v1, v36, v1, vcc
	v_cndmask_b32_e32 v3, v5, v3, vcc
	;; [unrolled: 1-line block ×3, first 2 shown]
.LBB182_95:
	s_or_b64 exec, exec, s[6:7]
	v_mbcnt_lo_u32_b32 v4, -1, 0
	v_mbcnt_hi_u32_b32 v6, -1, v4
	v_and_b32_e32 v8, 63, v6
	v_cmp_ne_u32_e32 vcc, 63, v8
	v_and_b32_e32 v7, 0xffff, v1
	s_min_u32 s8, s55, 0x100
	v_addc_co_u32_e32 v4, vcc, 0, v6, vcc
	v_lshlrev_b32_e32 v5, 2, v4
	ds_bpermute_b32 v11, v5, v7
	ds_bpermute_b32 v4, v5, v2
	;; [unrolled: 1-line block ×3, first 2 shown]
	v_and_b32_e32 v9, 0xc0, v0
	v_sub_u32_e64 v10, s8, v9 clamp
	v_add_u32_e32 v9, 1, v8
	v_cmp_lt_u32_e32 vcc, v9, v10
	v_mov_b32_e32 v9, v7
	s_and_saveexec_b64 s[4:5], vcc
	s_xor_b64 s[6:7], exec, s[4:5]
	s_cbranch_execz .LBB182_97
; %bb.96:
	s_waitcnt lgkmcnt(2)
	v_and_b32_e32 v9, 1, v11
	s_waitcnt lgkmcnt(0)
	v_cmp_lt_i64_e32 vcc, v[4:5], v[2:3]
	v_cmp_eq_u32_e64 s[4:5], 1, v9
	v_and_b32_e32 v1, 1, v1
	s_and_b64 vcc, s[4:5], vcc
	v_cndmask_b32_e64 v7, v7, 1, s[4:5]
	v_cndmask_b32_e32 v2, v2, v4, vcc
	v_cndmask_b32_e32 v3, v3, v5, vcc
	v_cmp_eq_u32_e32 vcc, 1, v1
	s_nop 1
	v_cndmask_b32_e32 v9, v11, v7, vcc
	v_cndmask_b32_e32 v3, v5, v3, vcc
	;; [unrolled: 1-line block ×3, first 2 shown]
	v_and_b32_e32 v7, 0xff, v9
.LBB182_97:
	s_or_b64 exec, exec, s[6:7]
	v_cmp_gt_u32_e32 vcc, 62, v8
	s_waitcnt lgkmcnt(2)
	v_add_u32_e32 v11, 2, v8
	v_cndmask_b32_e64 v1, 0, 1, vcc
	v_lshlrev_b32_e32 v1, 1, v1
	s_waitcnt lgkmcnt(0)
	v_add_lshl_u32 v5, v1, v6, 2
	ds_bpermute_b32 v1, v5, v7
	ds_bpermute_b32 v4, v5, v2
	ds_bpermute_b32 v5, v5, v3
	v_cmp_lt_u32_e32 vcc, v11, v10
	s_and_saveexec_b64 s[6:7], vcc
	s_cbranch_execz .LBB182_99
; %bb.98:
	s_waitcnt lgkmcnt(2)
	v_and_b32_e32 v11, 1, v1
	s_waitcnt lgkmcnt(0)
	v_cmp_lt_i64_e32 vcc, v[4:5], v[2:3]
	v_cmp_eq_u32_e64 s[4:5], 1, v11
	v_and_b32_e32 v7, 1, v9
	s_and_b64 vcc, s[4:5], vcc
	v_cndmask_b32_e64 v9, v9, 1, s[4:5]
	v_cndmask_b32_e32 v2, v2, v4, vcc
	v_cndmask_b32_e32 v3, v3, v5, vcc
	v_cmp_eq_u32_e32 vcc, 1, v7
	s_nop 1
	v_cndmask_b32_e32 v9, v1, v9, vcc
	v_cndmask_b32_e32 v3, v5, v3, vcc
	v_cndmask_b32_e32 v2, v4, v2, vcc
	v_and_b32_e32 v7, 0xff, v9
.LBB182_99:
	s_or_b64 exec, exec, s[6:7]
	v_cmp_gt_u32_e32 vcc, 60, v8
	v_add_u32_e32 v11, 4, v8
	s_waitcnt lgkmcnt(2)
	v_cndmask_b32_e64 v1, 0, 1, vcc
	v_lshlrev_b32_e32 v1, 2, v1
	s_waitcnt lgkmcnt(0)
	v_add_lshl_u32 v5, v1, v6, 2
	ds_bpermute_b32 v1, v5, v7
	ds_bpermute_b32 v4, v5, v2
	ds_bpermute_b32 v5, v5, v3
	v_cmp_lt_u32_e32 vcc, v11, v10
	s_and_saveexec_b64 s[6:7], vcc
	s_cbranch_execz .LBB182_101
; %bb.100:
	s_waitcnt lgkmcnt(2)
	v_and_b32_e32 v11, 1, v1
	s_waitcnt lgkmcnt(0)
	v_cmp_lt_i64_e32 vcc, v[4:5], v[2:3]
	v_cmp_eq_u32_e64 s[4:5], 1, v11
	v_and_b32_e32 v7, 1, v9
	s_and_b64 vcc, s[4:5], vcc
	v_cndmask_b32_e64 v9, v9, 1, s[4:5]
	v_cndmask_b32_e32 v2, v2, v4, vcc
	v_cndmask_b32_e32 v3, v3, v5, vcc
	v_cmp_eq_u32_e32 vcc, 1, v7
	s_nop 1
	v_cndmask_b32_e32 v9, v1, v9, vcc
	v_cndmask_b32_e32 v3, v5, v3, vcc
	v_cndmask_b32_e32 v2, v4, v2, vcc
	v_and_b32_e32 v7, 0xff, v9
.LBB182_101:
	s_or_b64 exec, exec, s[6:7]
	v_cmp_gt_u32_e32 vcc, 56, v8
	v_add_u32_e32 v11, 8, v8
	s_waitcnt lgkmcnt(2)
	;; [unrolled: 32-line block ×4, first 2 shown]
	v_cndmask_b32_e64 v1, 0, 1, vcc
	v_lshlrev_b32_e32 v1, 5, v1
	s_waitcnt lgkmcnt(0)
	v_add_lshl_u32 v5, v1, v6, 2
	ds_bpermute_b32 v1, v5, v7
	ds_bpermute_b32 v4, v5, v2
	;; [unrolled: 1-line block ×3, first 2 shown]
	v_cmp_lt_u32_e32 vcc, v8, v10
	s_and_saveexec_b64 s[6:7], vcc
	s_cbranch_execz .LBB182_107
; %bb.106:
	s_waitcnt lgkmcnt(2)
	v_and_b32_e32 v8, 1, v1
	s_waitcnt lgkmcnt(0)
	v_cmp_lt_i64_e32 vcc, v[4:5], v[2:3]
	v_cmp_eq_u32_e64 s[4:5], 1, v8
	v_and_b32_e32 v7, 1, v9
	s_and_b64 vcc, s[4:5], vcc
	v_cndmask_b32_e64 v8, v9, 1, s[4:5]
	v_cndmask_b32_e32 v2, v2, v4, vcc
	v_cndmask_b32_e32 v3, v3, v5, vcc
	v_cmp_eq_u32_e32 vcc, 1, v7
	s_nop 1
	v_cndmask_b32_e32 v9, v1, v8, vcc
	v_cndmask_b32_e32 v3, v5, v3, vcc
	;; [unrolled: 1-line block ×3, first 2 shown]
	v_and_b32_e32 v7, 0xff, v9
.LBB182_107:
	s_or_b64 exec, exec, s[6:7]
	v_cmp_eq_u32_e32 vcc, 0, v6
	s_and_saveexec_b64 s[4:5], vcc
	s_cbranch_execz .LBB182_109
; %bb.108:
	s_waitcnt lgkmcnt(2)
	v_lshrrev_b32_e32 v1, 2, v0
	v_and_b32_e32 v1, 48, v1
	ds_write_b8 v1, v9 offset:320
	ds_write_b64 v1, v[2:3] offset:328
.LBB182_109:
	s_or_b64 exec, exec, s[4:5]
	v_cmp_gt_u32_e32 vcc, 4, v0
	s_waitcnt lgkmcnt(0)
	s_barrier
	s_and_saveexec_b64 s[6:7], vcc
	s_cbranch_execz .LBB182_115
; %bb.110:
	v_lshlrev_b32_e32 v2, 4, v6
	ds_read_u8 v1, v2 offset:320
	ds_read_b64 v[2:3], v2 offset:328
	v_and_b32_e32 v8, 3, v6
	v_cmp_ne_u32_e32 vcc, 3, v8
	s_add_i32 s8, s8, 63
	s_waitcnt lgkmcnt(1)
	v_and_b32_e32 v7, 0xff, v1
	v_addc_co_u32_e32 v4, vcc, 0, v6, vcc
	v_lshlrev_b32_e32 v5, 2, v4
	ds_bpermute_b32 v9, v5, v7
	s_waitcnt lgkmcnt(1)
	ds_bpermute_b32 v4, v5, v2
	ds_bpermute_b32 v5, v5, v3
	s_lshr_b32 s10, s8, 6
	v_add_u32_e32 v10, 1, v8
	v_cmp_gt_u32_e32 vcc, s10, v10
	s_and_saveexec_b64 s[8:9], vcc
	s_cbranch_execz .LBB182_112
; %bb.111:
	s_waitcnt lgkmcnt(2)
	v_and_b32_e32 v10, 1, v9
	s_waitcnt lgkmcnt(0)
	v_cmp_lt_i64_e32 vcc, v[4:5], v[2:3]
	v_cmp_eq_u32_e64 s[4:5], 1, v10
	v_and_b32_e32 v7, 1, v1
	s_and_b64 vcc, s[4:5], vcc
	v_cndmask_b32_e64 v1, v1, 1, s[4:5]
	v_cndmask_b32_e32 v2, v2, v4, vcc
	v_cndmask_b32_e32 v3, v3, v5, vcc
	v_cmp_eq_u32_e32 vcc, 1, v7
	s_nop 1
	v_cndmask_b32_e32 v1, v9, v1, vcc
	v_cndmask_b32_e32 v3, v5, v3, vcc
	;; [unrolled: 1-line block ×3, first 2 shown]
	v_and_b32_e32 v7, 0xff, v1
.LBB182_112:
	s_or_b64 exec, exec, s[8:9]
	v_cmp_gt_u32_e32 vcc, 2, v8
	v_add_u32_e32 v8, 2, v8
	s_waitcnt lgkmcnt(1)
	v_cndmask_b32_e64 v4, 0, 1, vcc
	v_lshlrev_b32_e32 v4, 1, v4
	s_waitcnt lgkmcnt(0)
	v_add_lshl_u32 v5, v4, v6, 2
	ds_bpermute_b32 v6, v5, v7
	ds_bpermute_b32 v4, v5, v2
	ds_bpermute_b32 v5, v5, v3
	v_cmp_gt_u32_e32 vcc, s10, v8
	s_and_saveexec_b64 s[8:9], vcc
	s_cbranch_execz .LBB182_114
; %bb.113:
	s_waitcnt lgkmcnt(2)
	v_and_b32_e32 v8, 1, v6
	s_waitcnt lgkmcnt(0)
	v_cmp_lt_i64_e32 vcc, v[4:5], v[2:3]
	v_cmp_eq_u32_e64 s[4:5], 1, v8
	v_and_b32_e32 v7, 1, v1
	s_and_b64 vcc, s[4:5], vcc
	v_cndmask_b32_e64 v1, v1, 1, s[4:5]
	v_cndmask_b32_e32 v2, v2, v4, vcc
	v_cndmask_b32_e32 v3, v3, v5, vcc
	v_cmp_eq_u32_e32 vcc, 1, v7
	s_nop 1
	v_cndmask_b32_e32 v1, v6, v1, vcc
	v_cndmask_b32_e32 v3, v5, v3, vcc
	;; [unrolled: 1-line block ×3, first 2 shown]
	v_and_b32_e32 v7, 0xff, v1
.LBB182_114:
	s_or_b64 exec, exec, s[8:9]
.LBB182_115:
	s_or_b64 exec, exec, s[6:7]
.LBB182_116:
	v_cmp_eq_u32_e32 vcc, 0, v0
	s_mov_b64 s[18:19], 0
                                        ; implicit-def: $vgpr4_vgpr5
                                        ; implicit-def: $vgpr1
	s_and_saveexec_b64 s[4:5], vcc
	s_xor_b64 s[8:9], exec, s[4:5]
	s_cbranch_execz .LBB182_120
; %bb.117:
	s_cmp_eq_u64 s[38:39], 0
	s_waitcnt lgkmcnt(0)
	v_mov_b64_e32 v[4:5], s[44:45]
	v_mov_b32_e32 v1, s33
	s_cbranch_scc1 .LBB182_119
; %bb.118:
	v_and_b32_e32 v1, 1, v7
	s_bitcmp1_b32 s33, 0
	v_mov_b32_e32 v4, s33
	v_cmp_eq_u32_e32 vcc, 1, v1
	v_cmp_gt_i64_e64 s[6:7], s[44:45], v[2:3]
	s_cselect_b64 s[4:5], -1, 0
	v_cndmask_b32_e64 v1, v4, 1, vcc
	v_mov_b32_e32 v4, s44
	s_and_b64 vcc, vcc, s[6:7]
	v_mov_b32_e32 v5, s45
	v_cndmask_b32_e32 v4, v4, v2, vcc
	v_cndmask_b32_e32 v5, v5, v3, vcc
	v_cndmask_b32_e64 v1, v7, v1, s[4:5]
	v_cndmask_b32_e64 v5, v3, v5, s[4:5]
	;; [unrolled: 1-line block ×3, first 2 shown]
.LBB182_119:
	s_mov_b64 s[18:19], exec
.LBB182_120:
	s_or_b64 exec, exec, s[8:9]
	s_and_b64 vcc, exec, s[46:47]
	s_cbranch_vccnz .LBB182_26
.LBB182_121:
	s_branch .LBB182_193
.LBB182_122:
	s_mov_b64 s[4:5], -1
                                        ; implicit-def: $vgpr2_vgpr3
                                        ; implicit-def: $vgpr7
.LBB182_123:
	s_and_b64 vcc, exec, s[4:5]
	s_cbranch_vccz .LBB182_168
; %bb.124:
	s_sub_i32 s28, s38, s26
	v_mov_b64_e32 v[10:11], 0
	v_cmp_gt_u32_e32 vcc, s28, v0
	v_mov_b32_e32 v23, 0
	v_mov_b64_e32 v[2:3], v[10:11]
	v_mov_b32_e32 v1, 0
	s_and_saveexec_b64 s[4:5], vcc
	s_cbranch_execz .LBB182_126
; %bb.125:
	v_lshlrev_b32_e32 v1, 1, v0
	s_waitcnt lgkmcnt(1)
	global_load_ushort v4, v1, s[20:21]
	s_waitcnt lgkmcnt(0)
	global_load_ushort v5, v1, s[22:23]
	v_mov_b32_e32 v1, 0
	v_lshl_add_u64 v[2:3], s[24:25], 0, v[0:1]
	s_waitcnt vmcnt(0)
	v_cmp_ne_u16_e32 vcc, v4, v5
	s_nop 1
	v_cndmask_b32_e64 v1, 0, 1, vcc
.LBB182_126:
	s_or_b64 exec, exec, s[4:5]
	s_waitcnt lgkmcnt(1)
	v_or_b32_e32 v4, 0x100, v0
	v_cmp_gt_u32_e64 s[14:15], s28, v4
	s_and_saveexec_b64 s[4:5], s[14:15]
	s_cbranch_execz .LBB182_128
; %bb.127:
	s_waitcnt lgkmcnt(0)
	v_lshlrev_b32_e32 v5, 1, v0
	global_load_ushort v6, v5, s[20:21] offset:512
	global_load_ushort v7, v5, s[22:23] offset:512
	v_mov_b32_e32 v5, 0
	v_lshl_add_u64 v[10:11], s[24:25], 0, v[4:5]
	s_waitcnt vmcnt(0)
	v_cmp_ne_u16_e32 vcc, v6, v7
	s_nop 1
	v_cndmask_b32_e64 v23, 0, 1, vcc
.LBB182_128:
	s_or_b64 exec, exec, s[4:5]
	v_or_b32_e32 v4, 0x200, v0
	v_mov_b64_e32 v[8:9], 0
	v_cmp_gt_u32_e64 s[12:13], s28, v4
	v_mov_b32_e32 v22, 0
	v_mov_b64_e32 v[16:17], v[8:9]
	v_mov_b32_e32 v26, 0
	s_and_saveexec_b64 s[4:5], s[12:13]
	s_cbranch_execz .LBB182_130
; %bb.129:
	s_waitcnt lgkmcnt(0)
	v_lshlrev_b32_e32 v5, 1, v0
	global_load_ushort v6, v5, s[20:21] offset:1024
	global_load_ushort v7, v5, s[22:23] offset:1024
	v_mov_b32_e32 v5, 0
	v_lshl_add_u64 v[16:17], s[24:25], 0, v[4:5]
	s_waitcnt vmcnt(0)
	v_cmp_ne_u16_e32 vcc, v6, v7
	s_nop 1
	v_cndmask_b32_e64 v26, 0, 1, vcc
.LBB182_130:
	s_or_b64 exec, exec, s[4:5]
	v_or_b32_e32 v4, 0x300, v0
	v_cmp_gt_u32_e64 s[10:11], s28, v4
	s_and_saveexec_b64 s[4:5], s[10:11]
	s_cbranch_execz .LBB182_132
; %bb.131:
	s_waitcnt lgkmcnt(0)
	v_lshlrev_b32_e32 v5, 1, v0
	global_load_ushort v6, v5, s[20:21] offset:1536
	global_load_ushort v7, v5, s[22:23] offset:1536
	v_mov_b32_e32 v5, 0
	v_lshl_add_u64 v[8:9], s[24:25], 0, v[4:5]
	s_waitcnt vmcnt(0)
	v_cmp_ne_u16_e32 vcc, v6, v7
	s_nop 1
	v_cndmask_b32_e64 v22, 0, 1, vcc
.LBB182_132:
	s_or_b64 exec, exec, s[4:5]
	v_or_b32_e32 v4, 0x400, v0
	v_mov_b64_e32 v[6:7], 0
	v_cmp_gt_u32_e64 s[8:9], s28, v4
	v_mov_b32_e32 v21, 0
	v_mov_b64_e32 v[14:15], v[6:7]
	v_mov_b32_e32 v25, 0
	s_and_saveexec_b64 s[4:5], s[8:9]
	s_cbranch_execz .LBB182_134
; %bb.133:
	s_waitcnt lgkmcnt(0)
	v_lshlrev_b32_e32 v5, 1, v0
	global_load_ushort v12, v5, s[20:21] offset:2048
	global_load_ushort v13, v5, s[22:23] offset:2048
	v_mov_b32_e32 v5, 0
	v_lshl_add_u64 v[14:15], s[24:25], 0, v[4:5]
	s_waitcnt vmcnt(0)
	v_cmp_ne_u16_e32 vcc, v12, v13
	s_nop 1
	v_cndmask_b32_e64 v25, 0, 1, vcc
.LBB182_134:
	s_or_b64 exec, exec, s[4:5]
	v_or_b32_e32 v4, 0x500, v0
	v_cmp_gt_u32_e64 s[6:7], s28, v4
	s_and_saveexec_b64 s[4:5], s[6:7]
	s_cbranch_execz .LBB182_136
; %bb.135:
	s_waitcnt lgkmcnt(0)
	v_lshlrev_b32_e32 v5, 1, v0
	global_load_ushort v12, v5, s[20:21] offset:2560
	global_load_ushort v13, v5, s[22:23] offset:2560
	v_mov_b32_e32 v5, 0
	v_lshl_add_u64 v[6:7], s[24:25], 0, v[4:5]
	s_waitcnt vmcnt(0)
	v_cmp_ne_u16_e32 vcc, v12, v13
	s_nop 1
	v_cndmask_b32_e64 v21, 0, 1, vcc
.LBB182_136:
	s_or_b64 exec, exec, s[4:5]
	v_or_b32_e32 v18, 0x600, v0
	s_waitcnt lgkmcnt(0)
	v_mov_b64_e32 v[4:5], 0
	v_cmp_gt_u32_e64 s[4:5], s28, v18
	v_mov_b32_e32 v20, 0
	v_mov_b32_e32 v24, 0
	v_mov_b64_e32 v[12:13], v[4:5]
	s_and_saveexec_b64 s[16:17], s[4:5]
	s_cbranch_execz .LBB182_138
; %bb.137:
	v_lshlrev_b32_e32 v12, 1, v0
	global_load_ushort v24, v12, s[20:21] offset:3072
	global_load_ushort v27, v12, s[22:23] offset:3072
	v_mov_b32_e32 v19, 0
	v_lshl_add_u64 v[12:13], s[24:25], 0, v[18:19]
	s_waitcnt vmcnt(0)
	v_cmp_ne_u16_e32 vcc, v24, v27
	s_nop 1
	v_cndmask_b32_e64 v24, 0, 1, vcc
.LBB182_138:
	s_or_b64 exec, exec, s[16:17]
	v_or_b32_e32 v18, 0x700, v0
	v_cmp_gt_u32_e32 vcc, s28, v18
	s_and_saveexec_b64 s[26:27], vcc
	s_cbranch_execnz .LBB182_357
; %bb.139:
	s_or_b64 exec, exec, s[26:27]
	s_and_saveexec_b64 s[20:21], s[14:15]
	s_cbranch_execnz .LBB182_358
.LBB182_140:
	s_or_b64 exec, exec, s[20:21]
	s_and_saveexec_b64 s[16:17], s[12:13]
	s_cbranch_execnz .LBB182_359
.LBB182_141:
	s_or_b64 exec, exec, s[16:17]
	s_and_saveexec_b64 s[14:15], s[10:11]
	s_cbranch_execnz .LBB182_360
.LBB182_142:
	s_or_b64 exec, exec, s[14:15]
	s_and_saveexec_b64 s[12:13], s[8:9]
	s_cbranch_execnz .LBB182_361
.LBB182_143:
	s_or_b64 exec, exec, s[12:13]
	s_and_saveexec_b64 s[10:11], s[6:7]
	s_cbranch_execnz .LBB182_362
.LBB182_144:
	s_or_b64 exec, exec, s[10:11]
	s_and_saveexec_b64 s[8:9], s[4:5]
	s_cbranch_execnz .LBB182_363
.LBB182_145:
	s_or_b64 exec, exec, s[8:9]
	s_and_saveexec_b64 s[6:7], vcc
	s_cbranch_execz .LBB182_147
.LBB182_146:
	v_and_b32_e32 v7, 1, v20
	v_cmp_lt_i64_e32 vcc, v[4:5], v[2:3]
	v_cmp_eq_u32_e64 s[4:5], 1, v7
	v_and_b32_e32 v6, 1, v1
	s_and_b64 vcc, s[4:5], vcc
	v_cndmask_b32_e64 v1, v1, 1, s[4:5]
	v_cndmask_b32_e32 v2, v2, v4, vcc
	v_cndmask_b32_e32 v3, v3, v5, vcc
	v_cmp_eq_u32_e32 vcc, 1, v6
	s_nop 1
	v_cndmask_b32_e32 v1, v20, v1, vcc
	v_cndmask_b32_e32 v3, v5, v3, vcc
	;; [unrolled: 1-line block ×3, first 2 shown]
.LBB182_147:
	s_or_b64 exec, exec, s[6:7]
	v_mbcnt_lo_u32_b32 v4, -1, 0
	v_mbcnt_hi_u32_b32 v6, -1, v4
	v_and_b32_e32 v8, 63, v6
	v_cmp_ne_u32_e32 vcc, 63, v8
	v_and_b32_e32 v7, 0xffff, v1
	s_min_u32 s8, s28, 0x100
	v_addc_co_u32_e32 v4, vcc, 0, v6, vcc
	v_lshlrev_b32_e32 v5, 2, v4
	ds_bpermute_b32 v11, v5, v7
	ds_bpermute_b32 v4, v5, v2
	;; [unrolled: 1-line block ×3, first 2 shown]
	v_and_b32_e32 v9, 0xc0, v0
	v_sub_u32_e64 v10, s8, v9 clamp
	v_add_u32_e32 v9, 1, v8
	v_cmp_lt_u32_e32 vcc, v9, v10
	v_mov_b32_e32 v9, v7
	s_and_saveexec_b64 s[4:5], vcc
	s_xor_b64 s[6:7], exec, s[4:5]
	s_cbranch_execz .LBB182_149
; %bb.148:
	s_waitcnt lgkmcnt(2)
	v_and_b32_e32 v9, 1, v11
	s_waitcnt lgkmcnt(0)
	v_cmp_lt_i64_e32 vcc, v[4:5], v[2:3]
	v_cmp_eq_u32_e64 s[4:5], 1, v9
	v_and_b32_e32 v1, 1, v1
	s_and_b64 vcc, s[4:5], vcc
	v_cndmask_b32_e64 v7, v7, 1, s[4:5]
	v_cndmask_b32_e32 v2, v2, v4, vcc
	v_cndmask_b32_e32 v3, v3, v5, vcc
	v_cmp_eq_u32_e32 vcc, 1, v1
	s_nop 1
	v_cndmask_b32_e32 v9, v11, v7, vcc
	v_cndmask_b32_e32 v3, v5, v3, vcc
	;; [unrolled: 1-line block ×3, first 2 shown]
	v_and_b32_e32 v7, 0xff, v9
.LBB182_149:
	s_or_b64 exec, exec, s[6:7]
	v_cmp_gt_u32_e32 vcc, 62, v8
	s_waitcnt lgkmcnt(2)
	v_add_u32_e32 v11, 2, v8
	v_cndmask_b32_e64 v1, 0, 1, vcc
	v_lshlrev_b32_e32 v1, 1, v1
	s_waitcnt lgkmcnt(0)
	v_add_lshl_u32 v5, v1, v6, 2
	ds_bpermute_b32 v1, v5, v7
	ds_bpermute_b32 v4, v5, v2
	ds_bpermute_b32 v5, v5, v3
	v_cmp_lt_u32_e32 vcc, v11, v10
	s_and_saveexec_b64 s[6:7], vcc
	s_cbranch_execz .LBB182_151
; %bb.150:
	s_waitcnt lgkmcnt(2)
	v_and_b32_e32 v11, 1, v1
	s_waitcnt lgkmcnt(0)
	v_cmp_lt_i64_e32 vcc, v[4:5], v[2:3]
	v_cmp_eq_u32_e64 s[4:5], 1, v11
	v_and_b32_e32 v7, 1, v9
	s_and_b64 vcc, s[4:5], vcc
	v_cndmask_b32_e64 v9, v9, 1, s[4:5]
	v_cndmask_b32_e32 v2, v2, v4, vcc
	v_cndmask_b32_e32 v3, v3, v5, vcc
	v_cmp_eq_u32_e32 vcc, 1, v7
	s_nop 1
	v_cndmask_b32_e32 v9, v1, v9, vcc
	v_cndmask_b32_e32 v3, v5, v3, vcc
	v_cndmask_b32_e32 v2, v4, v2, vcc
	v_and_b32_e32 v7, 0xff, v9
.LBB182_151:
	s_or_b64 exec, exec, s[6:7]
	v_cmp_gt_u32_e32 vcc, 60, v8
	v_add_u32_e32 v11, 4, v8
	s_waitcnt lgkmcnt(2)
	v_cndmask_b32_e64 v1, 0, 1, vcc
	v_lshlrev_b32_e32 v1, 2, v1
	s_waitcnt lgkmcnt(0)
	v_add_lshl_u32 v5, v1, v6, 2
	ds_bpermute_b32 v1, v5, v7
	ds_bpermute_b32 v4, v5, v2
	ds_bpermute_b32 v5, v5, v3
	v_cmp_lt_u32_e32 vcc, v11, v10
	s_and_saveexec_b64 s[6:7], vcc
	s_cbranch_execz .LBB182_153
; %bb.152:
	s_waitcnt lgkmcnt(2)
	v_and_b32_e32 v11, 1, v1
	s_waitcnt lgkmcnt(0)
	v_cmp_lt_i64_e32 vcc, v[4:5], v[2:3]
	v_cmp_eq_u32_e64 s[4:5], 1, v11
	v_and_b32_e32 v7, 1, v9
	s_and_b64 vcc, s[4:5], vcc
	v_cndmask_b32_e64 v9, v9, 1, s[4:5]
	v_cndmask_b32_e32 v2, v2, v4, vcc
	v_cndmask_b32_e32 v3, v3, v5, vcc
	v_cmp_eq_u32_e32 vcc, 1, v7
	s_nop 1
	v_cndmask_b32_e32 v9, v1, v9, vcc
	v_cndmask_b32_e32 v3, v5, v3, vcc
	v_cndmask_b32_e32 v2, v4, v2, vcc
	v_and_b32_e32 v7, 0xff, v9
.LBB182_153:
	s_or_b64 exec, exec, s[6:7]
	v_cmp_gt_u32_e32 vcc, 56, v8
	v_add_u32_e32 v11, 8, v8
	s_waitcnt lgkmcnt(2)
	v_cndmask_b32_e64 v1, 0, 1, vcc
	v_lshlrev_b32_e32 v1, 3, v1
	s_waitcnt lgkmcnt(0)
	v_add_lshl_u32 v5, v1, v6, 2
	ds_bpermute_b32 v1, v5, v7
	ds_bpermute_b32 v4, v5, v2
	ds_bpermute_b32 v5, v5, v3
	v_cmp_lt_u32_e32 vcc, v11, v10
	s_and_saveexec_b64 s[6:7], vcc
	s_cbranch_execz .LBB182_155
; %bb.154:
	s_waitcnt lgkmcnt(2)
	v_and_b32_e32 v11, 1, v1
	s_waitcnt lgkmcnt(0)
	v_cmp_lt_i64_e32 vcc, v[4:5], v[2:3]
	v_cmp_eq_u32_e64 s[4:5], 1, v11
	v_and_b32_e32 v7, 1, v9
	s_and_b64 vcc, s[4:5], vcc
	v_cndmask_b32_e64 v9, v9, 1, s[4:5]
	v_cndmask_b32_e32 v2, v2, v4, vcc
	v_cndmask_b32_e32 v3, v3, v5, vcc
	v_cmp_eq_u32_e32 vcc, 1, v7
	s_nop 1
	v_cndmask_b32_e32 v9, v1, v9, vcc
	v_cndmask_b32_e32 v3, v5, v3, vcc
	v_cndmask_b32_e32 v2, v4, v2, vcc
	v_and_b32_e32 v7, 0xff, v9
.LBB182_155:
	s_or_b64 exec, exec, s[6:7]
	v_cmp_gt_u32_e32 vcc, 48, v8
	v_add_u32_e32 v11, 16, v8
	s_waitcnt lgkmcnt(2)
	v_cndmask_b32_e64 v1, 0, 1, vcc
	v_lshlrev_b32_e32 v1, 4, v1
	s_waitcnt lgkmcnt(0)
	v_add_lshl_u32 v5, v1, v6, 2
	ds_bpermute_b32 v1, v5, v7
	ds_bpermute_b32 v4, v5, v2
	ds_bpermute_b32 v5, v5, v3
	v_cmp_lt_u32_e32 vcc, v11, v10
	s_and_saveexec_b64 s[6:7], vcc
	s_cbranch_execz .LBB182_157
; %bb.156:
	s_waitcnt lgkmcnt(2)
	v_and_b32_e32 v11, 1, v1
	s_waitcnt lgkmcnt(0)
	v_cmp_lt_i64_e32 vcc, v[4:5], v[2:3]
	v_cmp_eq_u32_e64 s[4:5], 1, v11
	v_and_b32_e32 v7, 1, v9
	s_and_b64 vcc, s[4:5], vcc
	v_cndmask_b32_e64 v9, v9, 1, s[4:5]
	v_cndmask_b32_e32 v2, v2, v4, vcc
	v_cndmask_b32_e32 v3, v3, v5, vcc
	v_cmp_eq_u32_e32 vcc, 1, v7
	s_nop 1
	v_cndmask_b32_e32 v9, v1, v9, vcc
	v_cndmask_b32_e32 v3, v5, v3, vcc
	v_cndmask_b32_e32 v2, v4, v2, vcc
	v_and_b32_e32 v7, 0xff, v9
.LBB182_157:
	s_or_b64 exec, exec, s[6:7]
	v_cmp_gt_u32_e32 vcc, 32, v8
	v_add_u32_e32 v8, 32, v8
	s_waitcnt lgkmcnt(2)
	v_cndmask_b32_e64 v1, 0, 1, vcc
	v_lshlrev_b32_e32 v1, 5, v1
	s_waitcnt lgkmcnt(0)
	v_add_lshl_u32 v5, v1, v6, 2
	ds_bpermute_b32 v1, v5, v7
	ds_bpermute_b32 v4, v5, v2
	;; [unrolled: 1-line block ×3, first 2 shown]
	v_cmp_lt_u32_e32 vcc, v8, v10
	s_and_saveexec_b64 s[6:7], vcc
	s_cbranch_execz .LBB182_159
; %bb.158:
	s_waitcnt lgkmcnt(2)
	v_and_b32_e32 v8, 1, v1
	s_waitcnt lgkmcnt(0)
	v_cmp_lt_i64_e32 vcc, v[4:5], v[2:3]
	v_cmp_eq_u32_e64 s[4:5], 1, v8
	v_and_b32_e32 v7, 1, v9
	s_and_b64 vcc, s[4:5], vcc
	v_cndmask_b32_e64 v8, v9, 1, s[4:5]
	v_cndmask_b32_e32 v2, v2, v4, vcc
	v_cndmask_b32_e32 v3, v3, v5, vcc
	v_cmp_eq_u32_e32 vcc, 1, v7
	s_nop 1
	v_cndmask_b32_e32 v9, v1, v8, vcc
	v_cndmask_b32_e32 v3, v5, v3, vcc
	;; [unrolled: 1-line block ×3, first 2 shown]
	v_and_b32_e32 v7, 0xff, v9
.LBB182_159:
	s_or_b64 exec, exec, s[6:7]
	v_cmp_eq_u32_e32 vcc, 0, v6
	s_and_saveexec_b64 s[4:5], vcc
	s_cbranch_execz .LBB182_161
; %bb.160:
	s_waitcnt lgkmcnt(2)
	v_lshrrev_b32_e32 v1, 2, v0
	v_and_b32_e32 v1, 48, v1
	ds_write_b8 v1, v9 offset:320
	ds_write_b64 v1, v[2:3] offset:328
.LBB182_161:
	s_or_b64 exec, exec, s[4:5]
	v_cmp_gt_u32_e32 vcc, 4, v0
	s_waitcnt lgkmcnt(0)
	s_barrier
	s_and_saveexec_b64 s[6:7], vcc
	s_cbranch_execz .LBB182_167
; %bb.162:
	v_lshlrev_b32_e32 v2, 4, v6
	ds_read_u8 v1, v2 offset:320
	ds_read_b64 v[2:3], v2 offset:328
	v_and_b32_e32 v8, 3, v6
	v_cmp_ne_u32_e32 vcc, 3, v8
	s_add_i32 s8, s8, 63
	s_waitcnt lgkmcnt(1)
	v_and_b32_e32 v7, 0xff, v1
	v_addc_co_u32_e32 v4, vcc, 0, v6, vcc
	v_lshlrev_b32_e32 v5, 2, v4
	ds_bpermute_b32 v9, v5, v7
	s_waitcnt lgkmcnt(1)
	ds_bpermute_b32 v4, v5, v2
	ds_bpermute_b32 v5, v5, v3
	s_lshr_b32 s10, s8, 6
	v_add_u32_e32 v10, 1, v8
	v_cmp_gt_u32_e32 vcc, s10, v10
	s_and_saveexec_b64 s[8:9], vcc
	s_cbranch_execz .LBB182_164
; %bb.163:
	s_waitcnt lgkmcnt(2)
	v_and_b32_e32 v10, 1, v9
	s_waitcnt lgkmcnt(0)
	v_cmp_lt_i64_e32 vcc, v[4:5], v[2:3]
	v_cmp_eq_u32_e64 s[4:5], 1, v10
	v_and_b32_e32 v7, 1, v1
	s_and_b64 vcc, s[4:5], vcc
	v_cndmask_b32_e64 v1, v1, 1, s[4:5]
	v_cndmask_b32_e32 v2, v2, v4, vcc
	v_cndmask_b32_e32 v3, v3, v5, vcc
	v_cmp_eq_u32_e32 vcc, 1, v7
	s_nop 1
	v_cndmask_b32_e32 v1, v9, v1, vcc
	v_cndmask_b32_e32 v3, v5, v3, vcc
	;; [unrolled: 1-line block ×3, first 2 shown]
	v_and_b32_e32 v7, 0xff, v1
.LBB182_164:
	s_or_b64 exec, exec, s[8:9]
	v_cmp_gt_u32_e32 vcc, 2, v8
	v_add_u32_e32 v8, 2, v8
	s_waitcnt lgkmcnt(1)
	v_cndmask_b32_e64 v4, 0, 1, vcc
	v_lshlrev_b32_e32 v4, 1, v4
	s_waitcnt lgkmcnt(0)
	v_add_lshl_u32 v5, v4, v6, 2
	ds_bpermute_b32 v6, v5, v7
	ds_bpermute_b32 v4, v5, v2
	;; [unrolled: 1-line block ×3, first 2 shown]
	v_cmp_gt_u32_e32 vcc, s10, v8
	s_and_saveexec_b64 s[8:9], vcc
	s_cbranch_execz .LBB182_166
; %bb.165:
	s_waitcnt lgkmcnt(2)
	v_and_b32_e32 v8, 1, v6
	s_waitcnt lgkmcnt(0)
	v_cmp_lt_i64_e32 vcc, v[4:5], v[2:3]
	v_cmp_eq_u32_e64 s[4:5], 1, v8
	v_and_b32_e32 v7, 1, v1
	s_and_b64 vcc, s[4:5], vcc
	v_cndmask_b32_e64 v1, v1, 1, s[4:5]
	v_cndmask_b32_e32 v2, v2, v4, vcc
	v_cndmask_b32_e32 v3, v3, v5, vcc
	v_cmp_eq_u32_e32 vcc, 1, v7
	s_nop 1
	v_cndmask_b32_e32 v1, v6, v1, vcc
	v_cndmask_b32_e32 v3, v5, v3, vcc
	;; [unrolled: 1-line block ×3, first 2 shown]
	v_and_b32_e32 v7, 0xff, v1
.LBB182_166:
	s_or_b64 exec, exec, s[8:9]
.LBB182_167:
	s_or_b64 exec, exec, s[6:7]
.LBB182_168:
	v_cmp_eq_u32_e32 vcc, 0, v0
                                        ; implicit-def: $vgpr4_vgpr5
                                        ; implicit-def: $vgpr1
	s_and_saveexec_b64 s[4:5], vcc
	s_xor_b64 s[8:9], exec, s[4:5]
	s_cbranch_execz .LBB182_172
; %bb.169:
	s_cmp_eq_u64 s[38:39], 0
	s_waitcnt lgkmcnt(0)
	v_mov_b64_e32 v[4:5], s[44:45]
	v_mov_b32_e32 v1, s33
	s_cbranch_scc1 .LBB182_171
; %bb.170:
	v_and_b32_e32 v1, 1, v7
	s_bitcmp1_b32 s33, 0
	v_mov_b32_e32 v4, s33
	v_cmp_eq_u32_e32 vcc, 1, v1
	v_cmp_gt_i64_e64 s[6:7], s[44:45], v[2:3]
	s_cselect_b64 s[4:5], -1, 0
	v_cndmask_b32_e64 v1, v4, 1, vcc
	v_mov_b32_e32 v4, s44
	s_and_b64 vcc, vcc, s[6:7]
	v_mov_b32_e32 v5, s45
	v_cndmask_b32_e32 v4, v4, v2, vcc
	v_cndmask_b32_e32 v5, v5, v3, vcc
	v_cndmask_b32_e64 v1, v7, v1, s[4:5]
	v_cndmask_b32_e64 v5, v3, v5, s[4:5]
	;; [unrolled: 1-line block ×3, first 2 shown]
.LBB182_171:
	s_or_b64 s[18:19], s[18:19], exec
.LBB182_172:
	s_or_b64 exec, exec, s[8:9]
	s_branch .LBB182_193
.LBB182_173:
	s_cmp_eq_u32 s54, 4
	s_cbranch_scc0 .LBB182_192
; %bb.174:
	s_mov_b32 s3, 0
	s_lshl_b32 s16, s2, 10
	s_mov_b32 s17, s3
	s_lshr_b64 s[4:5], s[38:39], 10
	s_lshl_b64 s[6:7], s[16:17], 1
	s_add_u32 s10, s40, s6
	s_addc_u32 s11, s41, s7
	s_add_u32 s12, s42, s6
	s_addc_u32 s13, s43, s7
	;; [unrolled: 2-line block ×3, first 2 shown]
	s_cmp_lg_u64 s[4:5], s[2:3]
	s_cbranch_scc0 .LBB182_194
; %bb.175:
	v_lshlrev_b32_e32 v1, 1, v0
	s_waitcnt lgkmcnt(1)
	global_load_ushort v4, v1, s[10:11] offset:1024
	global_load_ushort v6, v1, s[12:13] offset:512
	;; [unrolled: 1-line block ×6, first 2 shown]
	global_load_ushort v11, v1, s[12:13]
	global_load_ushort v12, v1, s[10:11]
	v_mov_b32_e32 v1, 0
	v_mov_b32_e32 v13, 0x200
	;; [unrolled: 1-line block ×3, first 2 shown]
	v_lshl_add_u64 v[2:3], s[14:15], 0, v[0:1]
	s_waitcnt lgkmcnt(0)
	v_mov_b32_e32 v5, v1
	v_mov_b32_e32 v15, 0x300
	s_waitcnt vmcnt(5)
	v_cmp_ne_u16_e32 vcc, v4, v7
	s_waitcnt vmcnt(3)
	v_cmp_ne_u16_e64 s[4:5], v9, v8
	s_waitcnt vmcnt(2)
	v_cmp_ne_u16_e64 s[6:7], v10, v6
	;; [unrolled: 2-line block ×3, first 2 shown]
	v_cndmask_b32_e64 v1, v13, v14, s[6:7]
	s_or_b64 s[6:7], s[8:9], s[6:7]
	s_or_b64 vcc, s[6:7], vcc
	v_cndmask_b32_e64 v1, v1, 0, s[8:9]
	s_or_b64 s[4:5], vcc, s[4:5]
	v_cndmask_b32_e32 v4, v15, v1, vcc
	v_cndmask_b32_e64 v1, 0, 1, s[4:5]
	v_lshl_add_u64 v[2:3], v[2:3], 0, v[4:5]
	s_nop 0
	v_mov_b32_dpp v6, v1 quad_perm:[1,0,3,2] row_mask:0xf bank_mask:0xf bound_ctrl:1
	v_and_b32_e32 v7, 1, v6
	v_mov_b32_dpp v4, v2 quad_perm:[1,0,3,2] row_mask:0xf bank_mask:0xf bound_ctrl:1
	v_mov_b32_dpp v5, v3 quad_perm:[1,0,3,2] row_mask:0xf bank_mask:0xf bound_ctrl:1
	v_cmp_eq_u32_e32 vcc, 1, v7
	s_and_saveexec_b64 s[6:7], vcc
; %bb.176:
	v_cmp_lt_i64_e32 vcc, v[2:3], v[4:5]
	v_cndmask_b32_e64 v6, v6, 1, s[4:5]
	s_and_b64 vcc, s[4:5], vcc
	v_cndmask_b32_e32 v2, v4, v2, vcc
	v_and_b32_e32 v4, 1, v6
	v_cndmask_b32_e32 v3, v5, v3, vcc
	v_cmp_eq_u32_e32 vcc, 1, v4
	s_andn2_b64 s[4:5], s[4:5], exec
	s_and_b64 s[8:9], vcc, exec
	v_and_b32_e32 v1, 0xff, v6
	s_or_b64 s[4:5], s[4:5], s[8:9]
; %bb.177:
	s_or_b64 exec, exec, s[6:7]
	v_mov_b32_dpp v6, v1 quad_perm:[2,3,0,1] row_mask:0xf bank_mask:0xf bound_ctrl:1
	v_and_b32_e32 v7, 1, v6
	v_mov_b32_dpp v4, v2 quad_perm:[2,3,0,1] row_mask:0xf bank_mask:0xf bound_ctrl:1
	v_mov_b32_dpp v5, v3 quad_perm:[2,3,0,1] row_mask:0xf bank_mask:0xf bound_ctrl:1
	v_cmp_eq_u32_e32 vcc, 1, v7
	s_and_saveexec_b64 s[6:7], vcc
; %bb.178:
	v_cmp_lt_i64_e32 vcc, v[2:3], v[4:5]
	v_cndmask_b32_e64 v6, v6, 1, s[4:5]
	s_and_b64 vcc, s[4:5], vcc
	v_cndmask_b32_e32 v2, v4, v2, vcc
	v_and_b32_e32 v4, 1, v6
	v_cndmask_b32_e32 v3, v5, v3, vcc
	v_cmp_eq_u32_e32 vcc, 1, v4
	s_andn2_b64 s[4:5], s[4:5], exec
	s_and_b64 s[8:9], vcc, exec
	v_and_b32_e32 v1, 0xff, v6
	s_or_b64 s[4:5], s[4:5], s[8:9]
; %bb.179:
	s_or_b64 exec, exec, s[6:7]
	v_mov_b32_dpp v6, v1 row_ror:4 row_mask:0xf bank_mask:0xf bound_ctrl:1
	v_and_b32_e32 v7, 1, v6
	v_mov_b32_dpp v4, v2 row_ror:4 row_mask:0xf bank_mask:0xf bound_ctrl:1
	v_mov_b32_dpp v5, v3 row_ror:4 row_mask:0xf bank_mask:0xf bound_ctrl:1
	v_cmp_eq_u32_e32 vcc, 1, v7
	s_and_saveexec_b64 s[6:7], vcc
; %bb.180:
	v_cmp_lt_i64_e32 vcc, v[2:3], v[4:5]
	v_cndmask_b32_e64 v6, v6, 1, s[4:5]
	s_and_b64 vcc, s[4:5], vcc
	v_cndmask_b32_e32 v2, v4, v2, vcc
	v_and_b32_e32 v4, 1, v6
	v_cndmask_b32_e32 v3, v5, v3, vcc
	v_cmp_eq_u32_e32 vcc, 1, v4
	s_andn2_b64 s[4:5], s[4:5], exec
	s_and_b64 s[8:9], vcc, exec
	v_and_b32_e32 v1, 0xff, v6
	s_or_b64 s[4:5], s[4:5], s[8:9]
; %bb.181:
	s_or_b64 exec, exec, s[6:7]
	v_mov_b32_dpp v6, v1 row_ror:8 row_mask:0xf bank_mask:0xf bound_ctrl:1
	v_and_b32_e32 v7, 1, v6
	v_mov_b32_dpp v4, v2 row_ror:8 row_mask:0xf bank_mask:0xf bound_ctrl:1
	v_mov_b32_dpp v5, v3 row_ror:8 row_mask:0xf bank_mask:0xf bound_ctrl:1
	v_cmp_eq_u32_e32 vcc, 1, v7
	s_and_saveexec_b64 s[6:7], vcc
; %bb.182:
	v_cmp_lt_i64_e32 vcc, v[2:3], v[4:5]
	v_cndmask_b32_e64 v6, v6, 1, s[4:5]
	s_and_b64 vcc, s[4:5], vcc
	v_cndmask_b32_e32 v2, v4, v2, vcc
	v_and_b32_e32 v4, 1, v6
	v_cndmask_b32_e32 v3, v5, v3, vcc
	v_cmp_eq_u32_e32 vcc, 1, v4
	s_andn2_b64 s[4:5], s[4:5], exec
	s_and_b64 s[8:9], vcc, exec
	v_and_b32_e32 v1, 0xff, v6
	s_or_b64 s[4:5], s[4:5], s[8:9]
; %bb.183:
	s_or_b64 exec, exec, s[6:7]
	v_mov_b32_dpp v6, v1 row_bcast:15 row_mask:0xf bank_mask:0xf bound_ctrl:1
	v_and_b32_e32 v7, 1, v6
	v_mov_b32_dpp v4, v2 row_bcast:15 row_mask:0xf bank_mask:0xf bound_ctrl:1
	v_mov_b32_dpp v5, v3 row_bcast:15 row_mask:0xf bank_mask:0xf bound_ctrl:1
	v_cmp_eq_u32_e32 vcc, 1, v7
	s_and_saveexec_b64 s[6:7], vcc
; %bb.184:
	v_cmp_lt_i64_e32 vcc, v[2:3], v[4:5]
	v_cndmask_b32_e64 v6, v6, 1, s[4:5]
	s_and_b64 vcc, s[4:5], vcc
	v_cndmask_b32_e32 v2, v4, v2, vcc
	v_and_b32_e32 v4, 1, v6
	v_cndmask_b32_e32 v3, v5, v3, vcc
	v_cmp_eq_u32_e32 vcc, 1, v4
	s_andn2_b64 s[4:5], s[4:5], exec
	s_and_b64 s[8:9], vcc, exec
	v_and_b32_e32 v1, 0xff, v6
	s_or_b64 s[4:5], s[4:5], s[8:9]
; %bb.185:
	s_or_b64 exec, exec, s[6:7]
	v_mov_b32_dpp v6, v1 row_bcast:31 row_mask:0xf bank_mask:0xf bound_ctrl:1
	v_and_b32_e32 v7, 1, v6
	v_mov_b32_dpp v4, v2 row_bcast:31 row_mask:0xf bank_mask:0xf bound_ctrl:1
	v_mov_b32_dpp v5, v3 row_bcast:31 row_mask:0xf bank_mask:0xf bound_ctrl:1
	v_cmp_eq_u32_e32 vcc, 1, v7
	s_and_saveexec_b64 s[6:7], vcc
; %bb.186:
	v_cmp_lt_i64_e32 vcc, v[2:3], v[4:5]
	v_and_b32_e32 v1, 0xff, v6
	s_and_b64 vcc, s[4:5], vcc
	v_cndmask_b32_e32 v2, v4, v2, vcc
	v_cndmask_b32_e32 v3, v5, v3, vcc
	v_cndmask_b32_e64 v1, v1, 1, s[4:5]
; %bb.187:
	s_or_b64 exec, exec, s[6:7]
	v_mbcnt_lo_u32_b32 v4, -1, 0
	v_mbcnt_hi_u32_b32 v4, -1, v4
	v_bfrev_b32_e32 v5, 0.5
	v_lshl_or_b32 v5, v4, 2, v5
	ds_bpermute_b32 v6, v5, v1
	ds_bpermute_b32 v2, v5, v2
	;; [unrolled: 1-line block ×3, first 2 shown]
	v_cmp_eq_u32_e32 vcc, 0, v4
	s_and_saveexec_b64 s[4:5], vcc
	s_cbranch_execz .LBB182_189
; %bb.188:
	v_lshrrev_b32_e32 v1, 2, v0
	v_and_b32_e32 v1, 48, v1
	s_waitcnt lgkmcnt(2)
	ds_write_b8 v1, v6 offset:192
	s_waitcnt lgkmcnt(1)
	ds_write_b64 v1, v[2:3] offset:200
.LBB182_189:
	s_or_b64 exec, exec, s[4:5]
	v_cmp_gt_u32_e32 vcc, 64, v0
	s_waitcnt lgkmcnt(0)
	s_barrier
	s_and_saveexec_b64 s[6:7], vcc
	s_cbranch_execz .LBB182_191
; %bb.190:
	v_and_b32_e32 v1, 3, v4
	v_lshlrev_b32_e32 v2, 4, v1
	ds_read_u8 v5, v2 offset:192
	ds_read_b64 v[2:3], v2 offset:200
	v_cmp_ne_u32_e32 vcc, 3, v1
	s_waitcnt lgkmcnt(1)
	v_and_b32_e32 v7, 0xff, v5
	v_addc_co_u32_e32 v6, vcc, 0, v4, vcc
	v_lshlrev_b32_e32 v8, 2, v6
	ds_bpermute_b32 v9, v8, v7
	s_waitcnt lgkmcnt(1)
	ds_bpermute_b32 v6, v8, v2
	ds_bpermute_b32 v7, v8, v3
	v_and_b32_e32 v8, 1, v5
	s_waitcnt lgkmcnt(2)
	v_and_b32_e32 v10, 1, v9
	v_cmp_eq_u32_e64 s[4:5], 1, v10
	s_waitcnt lgkmcnt(0)
	v_cmp_lt_i64_e32 vcc, v[6:7], v[2:3]
	s_and_b64 vcc, s[4:5], vcc
	v_cndmask_b32_e64 v5, v5, 1, s[4:5]
	v_cndmask_b32_e32 v2, v2, v6, vcc
	v_cndmask_b32_e32 v3, v3, v7, vcc
	v_cmp_eq_u32_e32 vcc, 1, v8
	s_nop 1
	v_cndmask_b32_e32 v8, v9, v5, vcc
	v_cndmask_b32_e32 v3, v7, v3, vcc
	;; [unrolled: 1-line block ×3, first 2 shown]
	v_cmp_gt_u32_e32 vcc, 2, v1
	v_and_b32_e32 v5, 0xff, v8
	s_nop 0
	v_cndmask_b32_e64 v1, 0, 1, vcc
	v_lshlrev_b32_e32 v1, 1, v1
	v_add_lshl_u32 v1, v1, v4, 2
	ds_bpermute_b32 v6, v1, v5
	ds_bpermute_b32 v4, v1, v2
	;; [unrolled: 1-line block ×3, first 2 shown]
	v_and_b32_e32 v1, 1, v8
	s_waitcnt lgkmcnt(2)
	v_and_b32_e32 v7, 1, v6
	v_cmp_eq_u32_e64 s[4:5], 1, v7
	s_waitcnt lgkmcnt(0)
	v_cmp_lt_i64_e32 vcc, v[4:5], v[2:3]
	s_and_b64 vcc, s[4:5], vcc
	v_cndmask_b32_e64 v7, v8, 1, s[4:5]
	v_cndmask_b32_e32 v2, v2, v4, vcc
	v_cndmask_b32_e32 v3, v3, v5, vcc
	v_cmp_eq_u32_e32 vcc, 1, v1
	s_nop 1
	v_cndmask_b32_e32 v1, v6, v7, vcc
	v_cndmask_b32_e32 v3, v5, v3, vcc
	;; [unrolled: 1-line block ×3, first 2 shown]
	v_and_b32_e32 v6, 0xff, v1
.LBB182_191:
	s_or_b64 exec, exec, s[6:7]
	s_branch .LBB182_227
.LBB182_192:
                                        ; implicit-def: $vgpr4_vgpr5
                                        ; implicit-def: $vgpr1
.LBB182_193:
	s_branch .LBB182_307
.LBB182_194:
                                        ; implicit-def: $vgpr2_vgpr3
                                        ; implicit-def: $vgpr6
	s_cbranch_execz .LBB182_227
; %bb.195:
	s_sub_i32 s20, s38, s16
	s_waitcnt lgkmcnt(2)
	v_mov_b64_e32 v[6:7], 0
	v_cmp_gt_u32_e32 vcc, s20, v0
	v_mov_b32_e32 v13, 0
	v_mov_b64_e32 v[2:3], v[6:7]
	v_mov_b32_e32 v12, 0
	s_and_saveexec_b64 s[4:5], vcc
	s_cbranch_execz .LBB182_197
; %bb.196:
	v_lshlrev_b32_e32 v1, 1, v0
	s_waitcnt lgkmcnt(1)
	global_load_ushort v4, v1, s[10:11]
	s_waitcnt lgkmcnt(0)
	global_load_ushort v5, v1, s[12:13]
	v_mov_b32_e32 v1, 0
	v_lshl_add_u64 v[2:3], s[14:15], 0, v[0:1]
	s_waitcnt vmcnt(0)
	v_cmp_ne_u16_e32 vcc, v4, v5
	s_nop 1
	v_cndmask_b32_e64 v12, 0, 1, vcc
.LBB182_197:
	s_or_b64 exec, exec, s[4:5]
	s_waitcnt lgkmcnt(1)
	v_or_b32_e32 v4, 0x100, v0
	v_cmp_gt_u32_e64 s[6:7], s20, v4
	s_and_saveexec_b64 s[4:5], s[6:7]
	s_cbranch_execz .LBB182_199
; %bb.198:
	v_lshlrev_b32_e32 v1, 1, v0
	global_load_ushort v8, v1, s[10:11] offset:512
	global_load_ushort v9, v1, s[12:13] offset:512
	s_waitcnt lgkmcnt(0)
	v_mov_b32_e32 v5, 0
	v_lshl_add_u64 v[6:7], s[14:15], 0, v[4:5]
	s_waitcnt vmcnt(0)
	v_cmp_ne_u16_e32 vcc, v8, v9
	s_nop 1
	v_cndmask_b32_e64 v13, 0, 1, vcc
.LBB182_199:
	s_or_b64 exec, exec, s[4:5]
	v_or_b32_e32 v10, 0x200, v0
	s_waitcnt lgkmcnt(0)
	v_mov_b64_e32 v[4:5], 0
	v_cmp_gt_u32_e64 s[4:5], s20, v10
	v_mov_b32_e32 v1, 0
	v_mov_b64_e32 v[8:9], v[4:5]
	v_mov_b32_e32 v14, 0
	s_and_saveexec_b64 s[8:9], s[4:5]
	s_cbranch_execz .LBB182_201
; %bb.200:
	v_lshlrev_b32_e32 v8, 1, v0
	global_load_ushort v14, v8, s[10:11] offset:1024
	global_load_ushort v15, v8, s[12:13] offset:1024
	v_mov_b32_e32 v11, 0
	v_lshl_add_u64 v[8:9], s[14:15], 0, v[10:11]
	s_waitcnt vmcnt(0)
	v_cmp_ne_u16_e32 vcc, v14, v15
	s_nop 1
	v_cndmask_b32_e64 v14, 0, 1, vcc
.LBB182_201:
	s_or_b64 exec, exec, s[8:9]
	v_or_b32_e32 v10, 0x300, v0
	v_cmp_gt_u32_e32 vcc, s20, v10
	s_and_saveexec_b64 s[16:17], vcc
	s_cbranch_execnz .LBB182_339
; %bb.202:
	s_or_b64 exec, exec, s[16:17]
	s_and_saveexec_b64 s[10:11], s[6:7]
	s_cbranch_execnz .LBB182_340
.LBB182_203:
	s_or_b64 exec, exec, s[10:11]
	s_and_saveexec_b64 s[8:9], s[4:5]
	s_cbranch_execnz .LBB182_341
.LBB182_204:
	s_or_b64 exec, exec, s[8:9]
	s_and_saveexec_b64 s[6:7], vcc
	s_cbranch_execz .LBB182_206
.LBB182_205:
	v_and_b32_e32 v7, 1, v1
	v_cmp_lt_i64_e32 vcc, v[4:5], v[2:3]
	v_cmp_eq_u32_e64 s[4:5], 1, v7
	v_and_b32_e32 v6, 1, v12
	s_and_b64 vcc, s[4:5], vcc
	v_cndmask_b32_e64 v7, v12, 1, s[4:5]
	v_cndmask_b32_e32 v2, v2, v4, vcc
	v_cndmask_b32_e32 v3, v3, v5, vcc
	v_cmp_eq_u32_e32 vcc, 1, v6
	s_nop 1
	v_cndmask_b32_e32 v12, v1, v7, vcc
	v_cndmask_b32_e32 v3, v5, v3, vcc
	;; [unrolled: 1-line block ×3, first 2 shown]
.LBB182_206:
	s_or_b64 exec, exec, s[6:7]
	v_mbcnt_lo_u32_b32 v1, -1, 0
	v_mbcnt_hi_u32_b32 v1, -1, v1
	v_and_b32_e32 v7, 63, v1
	v_cmp_ne_u32_e32 vcc, 63, v7
	v_and_b32_e32 v6, 0xffff, v12
	s_min_u32 s8, s20, 0x100
	v_addc_co_u32_e32 v4, vcc, 0, v1, vcc
	v_lshlrev_b32_e32 v5, 2, v4
	ds_bpermute_b32 v10, v5, v6
	ds_bpermute_b32 v4, v5, v2
	;; [unrolled: 1-line block ×3, first 2 shown]
	v_and_b32_e32 v8, 0xc0, v0
	v_sub_u32_e64 v9, s8, v8 clamp
	v_add_u32_e32 v8, 1, v7
	v_cmp_lt_u32_e32 vcc, v8, v9
	v_mov_b32_e32 v8, v6
	s_and_saveexec_b64 s[4:5], vcc
	s_xor_b64 s[6:7], exec, s[4:5]
	s_cbranch_execz .LBB182_208
; %bb.207:
	s_waitcnt lgkmcnt(2)
	v_and_b32_e32 v11, 1, v10
	s_waitcnt lgkmcnt(0)
	v_cmp_lt_i64_e32 vcc, v[4:5], v[2:3]
	v_cmp_eq_u32_e64 s[4:5], 1, v11
	v_and_b32_e32 v8, 1, v12
	s_and_b64 vcc, s[4:5], vcc
	v_cndmask_b32_e64 v6, v6, 1, s[4:5]
	v_cndmask_b32_e32 v2, v2, v4, vcc
	v_cndmask_b32_e32 v3, v3, v5, vcc
	v_cmp_eq_u32_e32 vcc, 1, v8
	s_nop 1
	v_cndmask_b32_e32 v8, v10, v6, vcc
	v_cndmask_b32_e32 v3, v5, v3, vcc
	v_cndmask_b32_e32 v2, v4, v2, vcc
	v_and_b32_e32 v6, 0xff, v8
.LBB182_208:
	s_or_b64 exec, exec, s[6:7]
	v_cmp_gt_u32_e32 vcc, 62, v7
	v_add_u32_e32 v11, 2, v7
	s_waitcnt lgkmcnt(1)
	v_cndmask_b32_e64 v4, 0, 1, vcc
	v_lshlrev_b32_e32 v4, 1, v4
	s_waitcnt lgkmcnt(0)
	v_add_lshl_u32 v5, v4, v1, 2
	ds_bpermute_b32 v10, v5, v6
	ds_bpermute_b32 v4, v5, v2
	ds_bpermute_b32 v5, v5, v3
	v_cmp_lt_u32_e32 vcc, v11, v9
	s_and_saveexec_b64 s[6:7], vcc
	s_cbranch_execz .LBB182_210
; %bb.209:
	s_waitcnt lgkmcnt(2)
	v_and_b32_e32 v11, 1, v10
	s_waitcnt lgkmcnt(0)
	v_cmp_lt_i64_e32 vcc, v[4:5], v[2:3]
	v_cmp_eq_u32_e64 s[4:5], 1, v11
	v_and_b32_e32 v6, 1, v8
	s_and_b64 vcc, s[4:5], vcc
	v_cndmask_b32_e64 v8, v8, 1, s[4:5]
	v_cndmask_b32_e32 v2, v2, v4, vcc
	v_cndmask_b32_e32 v3, v3, v5, vcc
	v_cmp_eq_u32_e32 vcc, 1, v6
	s_nop 1
	v_cndmask_b32_e32 v8, v10, v8, vcc
	v_cndmask_b32_e32 v3, v5, v3, vcc
	v_cndmask_b32_e32 v2, v4, v2, vcc
	v_and_b32_e32 v6, 0xff, v8
.LBB182_210:
	s_or_b64 exec, exec, s[6:7]
	v_cmp_gt_u32_e32 vcc, 60, v7
	v_add_u32_e32 v11, 4, v7
	s_waitcnt lgkmcnt(1)
	v_cndmask_b32_e64 v4, 0, 1, vcc
	v_lshlrev_b32_e32 v4, 2, v4
	s_waitcnt lgkmcnt(0)
	v_add_lshl_u32 v5, v4, v1, 2
	ds_bpermute_b32 v10, v5, v6
	ds_bpermute_b32 v4, v5, v2
	ds_bpermute_b32 v5, v5, v3
	v_cmp_lt_u32_e32 vcc, v11, v9
	s_and_saveexec_b64 s[6:7], vcc
	;; [unrolled: 32-line block ×5, first 2 shown]
	s_cbranch_execz .LBB182_218
; %bb.217:
	s_waitcnt lgkmcnt(2)
	v_and_b32_e32 v7, 1, v10
	s_waitcnt lgkmcnt(0)
	v_cmp_lt_i64_e32 vcc, v[4:5], v[2:3]
	v_cmp_eq_u32_e64 s[4:5], 1, v7
	v_and_b32_e32 v6, 1, v8
	s_and_b64 vcc, s[4:5], vcc
	v_cndmask_b32_e64 v7, v8, 1, s[4:5]
	v_cndmask_b32_e32 v2, v2, v4, vcc
	v_cndmask_b32_e32 v3, v3, v5, vcc
	v_cmp_eq_u32_e32 vcc, 1, v6
	s_nop 1
	v_cndmask_b32_e32 v8, v10, v7, vcc
	v_cndmask_b32_e32 v3, v5, v3, vcc
	;; [unrolled: 1-line block ×3, first 2 shown]
	v_and_b32_e32 v6, 0xff, v8
.LBB182_218:
	s_or_b64 exec, exec, s[6:7]
	v_cmp_eq_u32_e32 vcc, 0, v1
	s_and_saveexec_b64 s[4:5], vcc
	s_cbranch_execz .LBB182_220
; %bb.219:
	s_waitcnt lgkmcnt(1)
	v_lshrrev_b32_e32 v4, 2, v0
	v_and_b32_e32 v4, 48, v4
	ds_write_b8 v4, v8 offset:320
	ds_write_b64 v4, v[2:3] offset:328
.LBB182_220:
	s_or_b64 exec, exec, s[4:5]
	v_cmp_gt_u32_e32 vcc, 4, v0
	s_waitcnt lgkmcnt(0)
	s_barrier
	s_and_saveexec_b64 s[6:7], vcc
	s_cbranch_execz .LBB182_226
; %bb.221:
	v_lshlrev_b32_e32 v2, 4, v1
	ds_read_u8 v7, v2 offset:320
	ds_read_b64 v[2:3], v2 offset:328
	v_and_b32_e32 v8, 3, v1
	v_cmp_ne_u32_e32 vcc, 3, v8
	s_add_i32 s8, s8, 63
	s_waitcnt lgkmcnt(1)
	v_and_b32_e32 v6, 0xff, v7
	v_addc_co_u32_e32 v4, vcc, 0, v1, vcc
	v_lshlrev_b32_e32 v5, 2, v4
	ds_bpermute_b32 v9, v5, v6
	s_waitcnt lgkmcnt(1)
	ds_bpermute_b32 v4, v5, v2
	ds_bpermute_b32 v5, v5, v3
	s_lshr_b32 s10, s8, 6
	v_add_u32_e32 v10, 1, v8
	v_cmp_gt_u32_e32 vcc, s10, v10
	s_and_saveexec_b64 s[8:9], vcc
	s_cbranch_execz .LBB182_223
; %bb.222:
	s_waitcnt lgkmcnt(2)
	v_and_b32_e32 v10, 1, v9
	s_waitcnt lgkmcnt(0)
	v_cmp_lt_i64_e32 vcc, v[4:5], v[2:3]
	v_cmp_eq_u32_e64 s[4:5], 1, v10
	v_and_b32_e32 v6, 1, v7
	s_and_b64 vcc, s[4:5], vcc
	v_cndmask_b32_e64 v7, v7, 1, s[4:5]
	v_cndmask_b32_e32 v2, v2, v4, vcc
	v_cndmask_b32_e32 v3, v3, v5, vcc
	v_cmp_eq_u32_e32 vcc, 1, v6
	s_nop 1
	v_cndmask_b32_e32 v7, v9, v7, vcc
	v_cndmask_b32_e32 v3, v5, v3, vcc
	;; [unrolled: 1-line block ×3, first 2 shown]
	v_and_b32_e32 v6, 0xff, v7
.LBB182_223:
	s_or_b64 exec, exec, s[8:9]
	v_cmp_gt_u32_e32 vcc, 2, v8
	v_add_u32_e32 v8, 2, v8
	s_waitcnt lgkmcnt(1)
	v_cndmask_b32_e64 v4, 0, 1, vcc
	v_lshlrev_b32_e32 v4, 1, v4
	s_waitcnt lgkmcnt(0)
	v_add_lshl_u32 v5, v4, v1, 2
	ds_bpermute_b32 v1, v5, v6
	ds_bpermute_b32 v4, v5, v2
	;; [unrolled: 1-line block ×3, first 2 shown]
	v_cmp_gt_u32_e32 vcc, s10, v8
	s_and_saveexec_b64 s[8:9], vcc
	s_cbranch_execz .LBB182_225
; %bb.224:
	s_waitcnt lgkmcnt(2)
	v_and_b32_e32 v8, 1, v1
	s_waitcnt lgkmcnt(0)
	v_cmp_lt_i64_e32 vcc, v[4:5], v[2:3]
	v_cmp_eq_u32_e64 s[4:5], 1, v8
	v_and_b32_e32 v6, 1, v7
	s_and_b64 vcc, s[4:5], vcc
	v_cndmask_b32_e64 v7, v7, 1, s[4:5]
	v_cndmask_b32_e32 v2, v2, v4, vcc
	v_cndmask_b32_e32 v3, v3, v5, vcc
	v_cmp_eq_u32_e32 vcc, 1, v6
	s_nop 1
	v_cndmask_b32_e32 v1, v1, v7, vcc
	v_cndmask_b32_e32 v3, v5, v3, vcc
	;; [unrolled: 1-line block ×3, first 2 shown]
	v_and_b32_e32 v6, 0xff, v1
.LBB182_225:
	s_or_b64 exec, exec, s[8:9]
.LBB182_226:
	s_or_b64 exec, exec, s[6:7]
.LBB182_227:
	v_cmp_eq_u32_e32 vcc, 0, v0
                                        ; implicit-def: $vgpr4_vgpr5
                                        ; implicit-def: $vgpr1
	s_and_saveexec_b64 s[4:5], vcc
	s_xor_b64 s[8:9], exec, s[4:5]
	s_cbranch_execz .LBB182_231
; %bb.228:
	s_cmp_eq_u64 s[38:39], 0
	s_waitcnt lgkmcnt(0)
	v_mov_b64_e32 v[4:5], s[44:45]
	v_mov_b32_e32 v1, s33
	s_cbranch_scc1 .LBB182_230
; %bb.229:
	v_and_b32_e32 v1, 1, v6
	s_bitcmp1_b32 s33, 0
	v_mov_b32_e32 v4, s33
	v_cmp_eq_u32_e32 vcc, 1, v1
	v_cmp_gt_i64_e64 s[6:7], s[44:45], v[2:3]
	s_cselect_b64 s[4:5], -1, 0
	v_cndmask_b32_e64 v1, v4, 1, vcc
	v_mov_b32_e32 v4, s44
	s_and_b64 vcc, vcc, s[6:7]
	v_mov_b32_e32 v5, s45
	v_cndmask_b32_e32 v4, v4, v2, vcc
	v_cndmask_b32_e32 v5, v5, v3, vcc
	v_cndmask_b32_e64 v1, v6, v1, s[4:5]
	v_cndmask_b32_e64 v5, v3, v5, s[4:5]
	;; [unrolled: 1-line block ×3, first 2 shown]
.LBB182_230:
	s_or_b64 s[18:19], s[18:19], exec
.LBB182_231:
	s_or_b64 exec, exec, s[8:9]
	s_branch .LBB182_307
.LBB182_232:
	s_cmp_gt_i32 s54, 1
	s_cbranch_scc0 .LBB182_252
; %bb.233:
	s_cmp_eq_u32 s54, 2
	s_cbranch_scc0 .LBB182_253
; %bb.234:
	s_mov_b32 s3, 0
	s_lshl_b32 s12, s2, 9
	s_mov_b32 s13, s3
	s_lshr_b64 s[4:5], s[38:39], 9
	s_lshl_b64 s[8:9], s[12:13], 1
	s_add_u32 s6, s40, s8
	s_addc_u32 s7, s41, s9
	s_add_u32 s8, s42, s8
	s_addc_u32 s9, s43, s9
	;; [unrolled: 2-line block ×3, first 2 shown]
	s_cmp_lg_u64 s[4:5], s[2:3]
	s_cbranch_scc0 .LBB182_254
; %bb.235:
	s_waitcnt lgkmcnt(2)
	v_lshlrev_b32_e32 v1, 1, v0
	global_load_ushort v6, v1, s[8:9] offset:512
	global_load_ushort v7, v1, s[8:9]
	global_load_ushort v8, v1, s[6:7] offset:512
	global_load_ushort v9, v1, s[6:7]
	v_mov_b32_e32 v1, 0
	s_mov_b64 s[4:5], 0x100
	v_lshl_add_u64 v[2:3], s[10:11], 0, v[0:1]
	s_waitcnt lgkmcnt(0)
	v_lshl_add_u64 v[4:5], v[2:3], 0, s[4:5]
	s_waitcnt vmcnt(1)
	v_cmp_ne_u16_e32 vcc, v8, v6
	s_waitcnt vmcnt(0)
	v_cmp_ne_u16_e64 s[4:5], v9, v7
	s_nop 1
	v_cndmask_b32_e64 v3, v5, v3, s[4:5]
	v_cndmask_b32_e64 v2, v4, v2, s[4:5]
	s_or_b64 s[4:5], s[4:5], vcc
	v_cndmask_b32_e64 v1, 0, 1, s[4:5]
	v_mov_b32_dpp v4, v2 quad_perm:[1,0,3,2] row_mask:0xf bank_mask:0xf bound_ctrl:1
	v_mov_b32_dpp v5, v3 quad_perm:[1,0,3,2] row_mask:0xf bank_mask:0xf bound_ctrl:1
	;; [unrolled: 1-line block ×3, first 2 shown]
	v_and_b32_e32 v7, 1, v6
	v_cmp_eq_u32_e32 vcc, 1, v7
	s_and_saveexec_b64 s[14:15], vcc
; %bb.236:
	v_cmp_lt_i64_e32 vcc, v[2:3], v[4:5]
	v_cndmask_b32_e64 v6, v6, 1, s[4:5]
	s_and_b64 vcc, s[4:5], vcc
	v_cndmask_b32_e32 v2, v4, v2, vcc
	v_and_b32_e32 v4, 1, v6
	v_cndmask_b32_e32 v3, v5, v3, vcc
	v_cmp_eq_u32_e32 vcc, 1, v4
	s_andn2_b64 s[4:5], s[4:5], exec
	s_and_b64 s[16:17], vcc, exec
	v_and_b32_e32 v1, 0xff, v6
	s_or_b64 s[4:5], s[4:5], s[16:17]
; %bb.237:
	s_or_b64 exec, exec, s[14:15]
	v_mov_b32_dpp v6, v1 quad_perm:[2,3,0,1] row_mask:0xf bank_mask:0xf bound_ctrl:1
	v_and_b32_e32 v7, 1, v6
	v_mov_b32_dpp v4, v2 quad_perm:[2,3,0,1] row_mask:0xf bank_mask:0xf bound_ctrl:1
	v_mov_b32_dpp v5, v3 quad_perm:[2,3,0,1] row_mask:0xf bank_mask:0xf bound_ctrl:1
	v_cmp_eq_u32_e32 vcc, 1, v7
	s_and_saveexec_b64 s[14:15], vcc
; %bb.238:
	v_cmp_lt_i64_e32 vcc, v[2:3], v[4:5]
	v_cndmask_b32_e64 v6, v6, 1, s[4:5]
	s_and_b64 vcc, s[4:5], vcc
	v_cndmask_b32_e32 v2, v4, v2, vcc
	v_and_b32_e32 v4, 1, v6
	v_cndmask_b32_e32 v3, v5, v3, vcc
	v_cmp_eq_u32_e32 vcc, 1, v4
	s_andn2_b64 s[4:5], s[4:5], exec
	s_and_b64 s[16:17], vcc, exec
	v_and_b32_e32 v1, 0xff, v6
	s_or_b64 s[4:5], s[4:5], s[16:17]
; %bb.239:
	s_or_b64 exec, exec, s[14:15]
	v_mov_b32_dpp v6, v1 row_ror:4 row_mask:0xf bank_mask:0xf bound_ctrl:1
	v_and_b32_e32 v7, 1, v6
	v_mov_b32_dpp v4, v2 row_ror:4 row_mask:0xf bank_mask:0xf bound_ctrl:1
	v_mov_b32_dpp v5, v3 row_ror:4 row_mask:0xf bank_mask:0xf bound_ctrl:1
	v_cmp_eq_u32_e32 vcc, 1, v7
	s_and_saveexec_b64 s[14:15], vcc
; %bb.240:
	v_cmp_lt_i64_e32 vcc, v[2:3], v[4:5]
	v_cndmask_b32_e64 v6, v6, 1, s[4:5]
	s_and_b64 vcc, s[4:5], vcc
	v_cndmask_b32_e32 v2, v4, v2, vcc
	v_and_b32_e32 v4, 1, v6
	v_cndmask_b32_e32 v3, v5, v3, vcc
	v_cmp_eq_u32_e32 vcc, 1, v4
	s_andn2_b64 s[4:5], s[4:5], exec
	s_and_b64 s[16:17], vcc, exec
	v_and_b32_e32 v1, 0xff, v6
	s_or_b64 s[4:5], s[4:5], s[16:17]
; %bb.241:
	s_or_b64 exec, exec, s[14:15]
	v_mov_b32_dpp v6, v1 row_ror:8 row_mask:0xf bank_mask:0xf bound_ctrl:1
	v_and_b32_e32 v7, 1, v6
	v_mov_b32_dpp v4, v2 row_ror:8 row_mask:0xf bank_mask:0xf bound_ctrl:1
	v_mov_b32_dpp v5, v3 row_ror:8 row_mask:0xf bank_mask:0xf bound_ctrl:1
	v_cmp_eq_u32_e32 vcc, 1, v7
	s_and_saveexec_b64 s[14:15], vcc
; %bb.242:
	v_cmp_lt_i64_e32 vcc, v[2:3], v[4:5]
	v_cndmask_b32_e64 v6, v6, 1, s[4:5]
	s_and_b64 vcc, s[4:5], vcc
	v_cndmask_b32_e32 v2, v4, v2, vcc
	v_and_b32_e32 v4, 1, v6
	v_cndmask_b32_e32 v3, v5, v3, vcc
	v_cmp_eq_u32_e32 vcc, 1, v4
	s_andn2_b64 s[4:5], s[4:5], exec
	s_and_b64 s[16:17], vcc, exec
	v_and_b32_e32 v1, 0xff, v6
	s_or_b64 s[4:5], s[4:5], s[16:17]
; %bb.243:
	s_or_b64 exec, exec, s[14:15]
	v_mov_b32_dpp v6, v1 row_bcast:15 row_mask:0xf bank_mask:0xf bound_ctrl:1
	v_and_b32_e32 v7, 1, v6
	v_mov_b32_dpp v4, v2 row_bcast:15 row_mask:0xf bank_mask:0xf bound_ctrl:1
	v_mov_b32_dpp v5, v3 row_bcast:15 row_mask:0xf bank_mask:0xf bound_ctrl:1
	v_cmp_eq_u32_e32 vcc, 1, v7
	s_and_saveexec_b64 s[14:15], vcc
; %bb.244:
	v_cmp_lt_i64_e32 vcc, v[2:3], v[4:5]
	v_cndmask_b32_e64 v6, v6, 1, s[4:5]
	s_and_b64 vcc, s[4:5], vcc
	v_cndmask_b32_e32 v2, v4, v2, vcc
	v_and_b32_e32 v4, 1, v6
	v_cndmask_b32_e32 v3, v5, v3, vcc
	v_cmp_eq_u32_e32 vcc, 1, v4
	s_andn2_b64 s[4:5], s[4:5], exec
	s_and_b64 s[16:17], vcc, exec
	v_and_b32_e32 v1, 0xff, v6
	s_or_b64 s[4:5], s[4:5], s[16:17]
; %bb.245:
	s_or_b64 exec, exec, s[14:15]
	v_mov_b32_dpp v6, v1 row_bcast:31 row_mask:0xf bank_mask:0xf bound_ctrl:1
	v_and_b32_e32 v7, 1, v6
	v_mov_b32_dpp v4, v2 row_bcast:31 row_mask:0xf bank_mask:0xf bound_ctrl:1
	v_mov_b32_dpp v5, v3 row_bcast:31 row_mask:0xf bank_mask:0xf bound_ctrl:1
	v_cmp_eq_u32_e32 vcc, 1, v7
	s_and_saveexec_b64 s[14:15], vcc
; %bb.246:
	v_cmp_lt_i64_e32 vcc, v[2:3], v[4:5]
	v_and_b32_e32 v1, 0xff, v6
	s_and_b64 vcc, s[4:5], vcc
	v_cndmask_b32_e32 v2, v4, v2, vcc
	v_cndmask_b32_e32 v3, v5, v3, vcc
	v_cndmask_b32_e64 v1, v1, 1, s[4:5]
; %bb.247:
	s_or_b64 exec, exec, s[14:15]
	v_mbcnt_lo_u32_b32 v4, -1, 0
	v_mbcnt_hi_u32_b32 v4, -1, v4
	v_bfrev_b32_e32 v5, 0.5
	v_lshl_or_b32 v5, v4, 2, v5
	ds_bpermute_b32 v6, v5, v1
	ds_bpermute_b32 v2, v5, v2
	;; [unrolled: 1-line block ×3, first 2 shown]
	v_cmp_eq_u32_e32 vcc, 0, v4
	s_and_saveexec_b64 s[4:5], vcc
	s_cbranch_execz .LBB182_249
; %bb.248:
	v_lshrrev_b32_e32 v1, 2, v0
	v_and_b32_e32 v1, 48, v1
	s_waitcnt lgkmcnt(2)
	ds_write_b8 v1, v6 offset:128
	s_waitcnt lgkmcnt(1)
	ds_write_b64 v1, v[2:3] offset:136
.LBB182_249:
	s_or_b64 exec, exec, s[4:5]
	v_cmp_gt_u32_e32 vcc, 64, v0
	s_waitcnt lgkmcnt(0)
	s_barrier
	s_and_saveexec_b64 s[14:15], vcc
	s_cbranch_execz .LBB182_251
; %bb.250:
	v_and_b32_e32 v1, 3, v4
	v_lshlrev_b32_e32 v2, 4, v1
	ds_read_u8 v5, v2 offset:128
	ds_read_b64 v[2:3], v2 offset:136
	v_cmp_ne_u32_e32 vcc, 3, v1
	s_waitcnt lgkmcnt(1)
	v_and_b32_e32 v7, 0xff, v5
	v_addc_co_u32_e32 v6, vcc, 0, v4, vcc
	v_lshlrev_b32_e32 v8, 2, v6
	ds_bpermute_b32 v9, v8, v7
	s_waitcnt lgkmcnt(1)
	ds_bpermute_b32 v6, v8, v2
	ds_bpermute_b32 v7, v8, v3
	v_and_b32_e32 v8, 1, v5
	s_waitcnt lgkmcnt(2)
	v_and_b32_e32 v10, 1, v9
	v_cmp_eq_u32_e64 s[4:5], 1, v10
	s_waitcnt lgkmcnt(0)
	v_cmp_lt_i64_e32 vcc, v[6:7], v[2:3]
	s_and_b64 vcc, s[4:5], vcc
	v_cndmask_b32_e64 v5, v5, 1, s[4:5]
	v_cndmask_b32_e32 v2, v2, v6, vcc
	v_cndmask_b32_e32 v3, v3, v7, vcc
	v_cmp_eq_u32_e32 vcc, 1, v8
	s_nop 1
	v_cndmask_b32_e32 v8, v9, v5, vcc
	v_cndmask_b32_e32 v3, v7, v3, vcc
	;; [unrolled: 1-line block ×3, first 2 shown]
	v_cmp_gt_u32_e32 vcc, 2, v1
	v_and_b32_e32 v5, 0xff, v8
	s_nop 0
	v_cndmask_b32_e64 v1, 0, 1, vcc
	v_lshlrev_b32_e32 v1, 1, v1
	v_add_lshl_u32 v1, v1, v4, 2
	ds_bpermute_b32 v6, v1, v5
	ds_bpermute_b32 v4, v1, v2
	;; [unrolled: 1-line block ×3, first 2 shown]
	v_and_b32_e32 v1, 1, v8
	s_waitcnt lgkmcnt(2)
	v_and_b32_e32 v7, 1, v6
	v_cmp_eq_u32_e64 s[4:5], 1, v7
	s_waitcnt lgkmcnt(0)
	v_cmp_lt_i64_e32 vcc, v[4:5], v[2:3]
	s_and_b64 vcc, s[4:5], vcc
	v_cndmask_b32_e64 v7, v8, 1, s[4:5]
	v_cndmask_b32_e32 v2, v2, v4, vcc
	v_cndmask_b32_e32 v3, v3, v5, vcc
	v_cmp_eq_u32_e32 vcc, 1, v1
	s_nop 1
	v_cndmask_b32_e32 v1, v6, v7, vcc
	v_cndmask_b32_e32 v3, v5, v3, vcc
	;; [unrolled: 1-line block ×3, first 2 shown]
	v_and_b32_e32 v6, 0xff, v1
.LBB182_251:
	s_or_b64 exec, exec, s[14:15]
	s_branch .LBB182_282
.LBB182_252:
                                        ; implicit-def: $vgpr4_vgpr5
                                        ; implicit-def: $vgpr1
	s_cbranch_execnz .LBB182_287
	s_branch .LBB182_307
.LBB182_253:
                                        ; implicit-def: $vgpr4_vgpr5
                                        ; implicit-def: $vgpr1
	s_branch .LBB182_307
.LBB182_254:
                                        ; implicit-def: $vgpr2_vgpr3
                                        ; implicit-def: $vgpr6
	s_cbranch_execz .LBB182_282
; %bb.255:
	s_sub_i32 s14, s38, s12
	s_waitcnt lgkmcnt(0)
	v_mov_b64_e32 v[4:5], 0
	v_cmp_gt_u32_e32 vcc, s14, v0
	v_mov_b32_e32 v7, 0
	v_mov_b64_e32 v[2:3], v[4:5]
	v_mov_b32_e32 v8, 0
	s_and_saveexec_b64 s[4:5], vcc
	s_cbranch_execz .LBB182_257
; %bb.256:
	v_lshlrev_b32_e32 v1, 1, v0
	global_load_ushort v6, v1, s[6:7]
	global_load_ushort v8, v1, s[8:9]
	v_mov_b32_e32 v1, 0
	v_lshl_add_u64 v[2:3], s[10:11], 0, v[0:1]
	s_waitcnt vmcnt(0)
	v_cmp_ne_u16_e32 vcc, v6, v8
	s_nop 1
	v_cndmask_b32_e64 v8, 0, 1, vcc
.LBB182_257:
	s_or_b64 exec, exec, s[4:5]
	v_or_b32_e32 v6, 0x100, v0
	v_cmp_gt_u32_e32 vcc, s14, v6
	s_and_saveexec_b64 s[12:13], vcc
	s_cbranch_execz .LBB182_259
; %bb.258:
	v_lshlrev_b32_e32 v1, 1, v0
	global_load_ushort v9, v1, s[6:7] offset:512
	global_load_ushort v10, v1, s[8:9] offset:512
	v_mov_b32_e32 v7, 0
	v_lshl_add_u64 v[4:5], s[10:11], 0, v[6:7]
	s_waitcnt vmcnt(0)
	v_cmp_ne_u16_e64 s[4:5], v9, v10
	s_nop 1
	v_cndmask_b32_e64 v7, 0, 1, s[4:5]
.LBB182_259:
	s_or_b64 exec, exec, s[12:13]
	s_and_saveexec_b64 s[6:7], vcc
	s_cbranch_execz .LBB182_261
; %bb.260:
	v_and_b32_e32 v6, 1, v7
	v_cmp_lt_i64_e32 vcc, v[4:5], v[2:3]
	v_cmp_eq_u32_e64 s[4:5], 1, v6
	v_and_b32_e32 v1, 1, v8
	s_and_b64 vcc, s[4:5], vcc
	v_cndmask_b32_e64 v6, v8, 1, s[4:5]
	v_cndmask_b32_e32 v2, v2, v4, vcc
	v_cndmask_b32_e32 v3, v3, v5, vcc
	v_cmp_eq_u32_e32 vcc, 1, v1
	s_nop 1
	v_cndmask_b32_e32 v8, v7, v6, vcc
	v_cndmask_b32_e32 v3, v5, v3, vcc
	;; [unrolled: 1-line block ×3, first 2 shown]
.LBB182_261:
	s_or_b64 exec, exec, s[6:7]
	v_mbcnt_lo_u32_b32 v1, -1, 0
	v_mbcnt_hi_u32_b32 v1, -1, v1
	v_and_b32_e32 v7, 63, v1
	v_cmp_ne_u32_e32 vcc, 63, v7
	v_and_b32_e32 v6, 0xffff, v8
	s_min_u32 s8, s14, 0x100
	v_addc_co_u32_e32 v4, vcc, 0, v1, vcc
	v_lshlrev_b32_e32 v5, 2, v4
	ds_bpermute_b32 v10, v5, v6
	ds_bpermute_b32 v4, v5, v2
	;; [unrolled: 1-line block ×3, first 2 shown]
	v_and_b32_e32 v9, 0xc0, v0
	v_sub_u32_e64 v9, s8, v9 clamp
	v_add_u32_e32 v11, 1, v7
	v_cmp_lt_u32_e32 vcc, v11, v9
	s_and_saveexec_b64 s[6:7], vcc
	s_cbranch_execz .LBB182_263
; %bb.262:
	s_waitcnt lgkmcnt(2)
	v_and_b32_e32 v11, 1, v10
	s_waitcnt lgkmcnt(0)
	v_cmp_lt_i64_e32 vcc, v[4:5], v[2:3]
	v_cmp_eq_u32_e64 s[4:5], 1, v11
	v_and_b32_e32 v6, 1, v8
	s_and_b64 vcc, s[4:5], vcc
	v_cndmask_b32_e64 v8, v8, 1, s[4:5]
	v_cndmask_b32_e32 v2, v2, v4, vcc
	v_cndmask_b32_e32 v3, v3, v5, vcc
	v_cmp_eq_u32_e32 vcc, 1, v6
	s_nop 1
	v_cndmask_b32_e32 v8, v10, v8, vcc
	v_cndmask_b32_e32 v3, v5, v3, vcc
	v_cndmask_b32_e32 v2, v4, v2, vcc
	v_and_b32_e32 v6, 0xff, v8
.LBB182_263:
	s_or_b64 exec, exec, s[6:7]
	v_cmp_gt_u32_e32 vcc, 62, v7
	v_add_u32_e32 v11, 2, v7
	s_waitcnt lgkmcnt(1)
	v_cndmask_b32_e64 v4, 0, 1, vcc
	v_lshlrev_b32_e32 v4, 1, v4
	s_waitcnt lgkmcnt(0)
	v_add_lshl_u32 v5, v4, v1, 2
	ds_bpermute_b32 v10, v5, v6
	ds_bpermute_b32 v4, v5, v2
	ds_bpermute_b32 v5, v5, v3
	v_cmp_lt_u32_e32 vcc, v11, v9
	s_and_saveexec_b64 s[6:7], vcc
	s_cbranch_execz .LBB182_265
; %bb.264:
	s_waitcnt lgkmcnt(2)
	v_and_b32_e32 v11, 1, v10
	s_waitcnt lgkmcnt(0)
	v_cmp_lt_i64_e32 vcc, v[4:5], v[2:3]
	v_cmp_eq_u32_e64 s[4:5], 1, v11
	v_and_b32_e32 v6, 1, v8
	s_and_b64 vcc, s[4:5], vcc
	v_cndmask_b32_e64 v8, v8, 1, s[4:5]
	v_cndmask_b32_e32 v2, v2, v4, vcc
	v_cndmask_b32_e32 v3, v3, v5, vcc
	v_cmp_eq_u32_e32 vcc, 1, v6
	s_nop 1
	v_cndmask_b32_e32 v8, v10, v8, vcc
	v_cndmask_b32_e32 v3, v5, v3, vcc
	v_cndmask_b32_e32 v2, v4, v2, vcc
	v_and_b32_e32 v6, 0xff, v8
.LBB182_265:
	s_or_b64 exec, exec, s[6:7]
	v_cmp_gt_u32_e32 vcc, 60, v7
	v_add_u32_e32 v11, 4, v7
	s_waitcnt lgkmcnt(1)
	v_cndmask_b32_e64 v4, 0, 1, vcc
	v_lshlrev_b32_e32 v4, 2, v4
	s_waitcnt lgkmcnt(0)
	v_add_lshl_u32 v5, v4, v1, 2
	ds_bpermute_b32 v10, v5, v6
	ds_bpermute_b32 v4, v5, v2
	ds_bpermute_b32 v5, v5, v3
	;; [unrolled: 32-line block ×5, first 2 shown]
	v_cmp_lt_u32_e32 vcc, v7, v9
	s_and_saveexec_b64 s[6:7], vcc
	s_cbranch_execz .LBB182_273
; %bb.272:
	s_waitcnt lgkmcnt(2)
	v_and_b32_e32 v7, 1, v10
	s_waitcnt lgkmcnt(0)
	v_cmp_lt_i64_e32 vcc, v[4:5], v[2:3]
	v_cmp_eq_u32_e64 s[4:5], 1, v7
	v_and_b32_e32 v6, 1, v8
	s_and_b64 vcc, s[4:5], vcc
	v_cndmask_b32_e64 v7, v8, 1, s[4:5]
	v_cndmask_b32_e32 v2, v2, v4, vcc
	v_cndmask_b32_e32 v3, v3, v5, vcc
	v_cmp_eq_u32_e32 vcc, 1, v6
	s_nop 1
	v_cndmask_b32_e32 v8, v10, v7, vcc
	v_cndmask_b32_e32 v3, v5, v3, vcc
	;; [unrolled: 1-line block ×3, first 2 shown]
	v_and_b32_e32 v6, 0xff, v8
.LBB182_273:
	s_or_b64 exec, exec, s[6:7]
	v_cmp_eq_u32_e32 vcc, 0, v1
	s_and_saveexec_b64 s[4:5], vcc
	s_cbranch_execz .LBB182_275
; %bb.274:
	s_waitcnt lgkmcnt(1)
	v_lshrrev_b32_e32 v4, 2, v0
	v_and_b32_e32 v4, 48, v4
	ds_write_b8 v4, v8 offset:320
	ds_write_b64 v4, v[2:3] offset:328
.LBB182_275:
	s_or_b64 exec, exec, s[4:5]
	v_cmp_gt_u32_e32 vcc, 4, v0
	s_waitcnt lgkmcnt(0)
	s_barrier
	s_and_saveexec_b64 s[6:7], vcc
	s_cbranch_execz .LBB182_281
; %bb.276:
	v_lshlrev_b32_e32 v2, 4, v1
	ds_read_u8 v7, v2 offset:320
	ds_read_b64 v[2:3], v2 offset:328
	v_and_b32_e32 v8, 3, v1
	v_cmp_ne_u32_e32 vcc, 3, v8
	s_add_i32 s8, s8, 63
	s_waitcnt lgkmcnt(1)
	v_and_b32_e32 v6, 0xff, v7
	v_addc_co_u32_e32 v4, vcc, 0, v1, vcc
	v_lshlrev_b32_e32 v5, 2, v4
	ds_bpermute_b32 v9, v5, v6
	s_waitcnt lgkmcnt(1)
	ds_bpermute_b32 v4, v5, v2
	ds_bpermute_b32 v5, v5, v3
	s_lshr_b32 s10, s8, 6
	v_add_u32_e32 v10, 1, v8
	v_cmp_gt_u32_e32 vcc, s10, v10
	s_and_saveexec_b64 s[8:9], vcc
	s_cbranch_execz .LBB182_278
; %bb.277:
	s_waitcnt lgkmcnt(2)
	v_and_b32_e32 v10, 1, v9
	s_waitcnt lgkmcnt(0)
	v_cmp_lt_i64_e32 vcc, v[4:5], v[2:3]
	v_cmp_eq_u32_e64 s[4:5], 1, v10
	v_and_b32_e32 v6, 1, v7
	s_and_b64 vcc, s[4:5], vcc
	v_cndmask_b32_e64 v7, v7, 1, s[4:5]
	v_cndmask_b32_e32 v2, v2, v4, vcc
	v_cndmask_b32_e32 v3, v3, v5, vcc
	v_cmp_eq_u32_e32 vcc, 1, v6
	s_nop 1
	v_cndmask_b32_e32 v7, v9, v7, vcc
	v_cndmask_b32_e32 v3, v5, v3, vcc
	;; [unrolled: 1-line block ×3, first 2 shown]
	v_and_b32_e32 v6, 0xff, v7
.LBB182_278:
	s_or_b64 exec, exec, s[8:9]
	v_cmp_gt_u32_e32 vcc, 2, v8
	v_add_u32_e32 v8, 2, v8
	s_waitcnt lgkmcnt(1)
	v_cndmask_b32_e64 v4, 0, 1, vcc
	v_lshlrev_b32_e32 v4, 1, v4
	s_waitcnt lgkmcnt(0)
	v_add_lshl_u32 v5, v4, v1, 2
	ds_bpermute_b32 v1, v5, v6
	ds_bpermute_b32 v4, v5, v2
	;; [unrolled: 1-line block ×3, first 2 shown]
	v_cmp_gt_u32_e32 vcc, s10, v8
	s_and_saveexec_b64 s[8:9], vcc
	s_cbranch_execz .LBB182_280
; %bb.279:
	s_waitcnt lgkmcnt(2)
	v_and_b32_e32 v8, 1, v1
	s_waitcnt lgkmcnt(0)
	v_cmp_lt_i64_e32 vcc, v[4:5], v[2:3]
	v_cmp_eq_u32_e64 s[4:5], 1, v8
	v_and_b32_e32 v6, 1, v7
	s_and_b64 vcc, s[4:5], vcc
	v_cndmask_b32_e64 v7, v7, 1, s[4:5]
	v_cndmask_b32_e32 v2, v2, v4, vcc
	v_cndmask_b32_e32 v3, v3, v5, vcc
	v_cmp_eq_u32_e32 vcc, 1, v6
	s_nop 1
	v_cndmask_b32_e32 v1, v1, v7, vcc
	v_cndmask_b32_e32 v3, v5, v3, vcc
	;; [unrolled: 1-line block ×3, first 2 shown]
	v_and_b32_e32 v6, 0xff, v1
.LBB182_280:
	s_or_b64 exec, exec, s[8:9]
.LBB182_281:
	s_or_b64 exec, exec, s[6:7]
.LBB182_282:
	v_cmp_eq_u32_e32 vcc, 0, v0
                                        ; implicit-def: $vgpr4_vgpr5
                                        ; implicit-def: $vgpr1
	s_and_saveexec_b64 s[4:5], vcc
	s_xor_b64 s[8:9], exec, s[4:5]
	s_cbranch_execz .LBB182_286
; %bb.283:
	s_cmp_eq_u64 s[38:39], 0
	s_waitcnt lgkmcnt(0)
	v_mov_b64_e32 v[4:5], s[44:45]
	v_mov_b32_e32 v1, s33
	s_cbranch_scc1 .LBB182_285
; %bb.284:
	v_and_b32_e32 v1, 1, v6
	s_bitcmp1_b32 s33, 0
	v_mov_b32_e32 v4, s33
	v_cmp_eq_u32_e32 vcc, 1, v1
	v_cmp_gt_i64_e64 s[6:7], s[44:45], v[2:3]
	s_cselect_b64 s[4:5], -1, 0
	v_cndmask_b32_e64 v1, v4, 1, vcc
	v_mov_b32_e32 v4, s44
	s_and_b64 vcc, vcc, s[6:7]
	v_mov_b32_e32 v5, s45
	v_cndmask_b32_e32 v4, v4, v2, vcc
	v_cndmask_b32_e32 v5, v5, v3, vcc
	v_cndmask_b32_e64 v1, v6, v1, s[4:5]
	v_cndmask_b32_e64 v5, v3, v5, s[4:5]
	;; [unrolled: 1-line block ×3, first 2 shown]
.LBB182_285:
	s_or_b64 s[18:19], s[18:19], exec
.LBB182_286:
	s_or_b64 exec, exec, s[8:9]
	s_branch .LBB182_307
.LBB182_287:
	s_cmp_eq_u32 s54, 1
	s_cbranch_scc0 .LBB182_306
; %bb.288:
	s_mov_b32 s7, 0
	s_lshl_b32 s6, s2, 8
	s_mov_b32 s3, s7
	s_lshr_b64 s[4:5], s[38:39], 8
	s_cmp_lg_u64 s[4:5], s[2:3]
	s_cbranch_scc0 .LBB182_310
; %bb.289:
	s_lshl_b64 s[4:5], s[6:7], 1
	s_add_u32 s8, s40, s4
	s_addc_u32 s9, s41, s5
	s_add_u32 s4, s42, s4
	s_waitcnt lgkmcnt(2)
	v_lshlrev_b32_e32 v1, 1, v0
	s_addc_u32 s5, s43, s5
	s_waitcnt lgkmcnt(0)
	global_load_ushort v5, v1, s[8:9]
	global_load_ushort v6, v1, s[4:5]
	s_add_u32 s4, s36, s6
	v_mov_b32_e32 v1, 0
	s_addc_u32 s5, s37, 0
	v_lshl_add_u64 v[2:3], s[4:5], 0, v[0:1]
	s_waitcnt vmcnt(0)
	v_cmp_ne_u16_e32 vcc, v5, v6
	s_nop 1
	v_cndmask_b32_e64 v1, 0, 1, vcc
	v_mov_b32_dpp v4, v2 quad_perm:[1,0,3,2] row_mask:0xf bank_mask:0xf bound_ctrl:1
	v_cndmask_b32_e64 v6, 0, 1, vcc
	v_mov_b32_dpp v1, v1 quad_perm:[1,0,3,2] row_mask:0xf bank_mask:0xf bound_ctrl:1
	v_and_b32_e32 v7, 1, v1
	v_mov_b32_dpp v5, v3 quad_perm:[1,0,3,2] row_mask:0xf bank_mask:0xf bound_ctrl:1
	v_cmp_eq_u32_e64 s[4:5], 1, v7
	s_and_saveexec_b64 s[8:9], s[4:5]
; %bb.290:
	v_cmp_lt_i64_e64 s[4:5], v[2:3], v[4:5]
	v_cndmask_b32_e64 v6, v1, 1, vcc
	s_and_b64 vcc, vcc, s[4:5]
	v_cndmask_b32_e32 v3, v5, v3, vcc
	v_cndmask_b32_e32 v2, v4, v2, vcc
; %bb.291:
	s_or_b64 exec, exec, s[8:9]
	v_and_b32_e32 v1, 0xff, v6
	v_and_b32_e32 v6, 1, v6
	v_mov_b32_dpp v4, v2 quad_perm:[2,3,0,1] row_mask:0xf bank_mask:0xf bound_ctrl:1
	v_mov_b32_dpp v7, v1 quad_perm:[2,3,0,1] row_mask:0xf bank_mask:0xf bound_ctrl:1
	v_and_b32_e32 v8, 1, v7
	v_mov_b32_dpp v5, v3 quad_perm:[2,3,0,1] row_mask:0xf bank_mask:0xf bound_ctrl:1
	v_cmp_eq_u32_e32 vcc, 1, v8
	v_cmp_eq_u32_e64 s[4:5], 1, v6
	s_and_saveexec_b64 s[8:9], vcc
; %bb.292:
	v_cmp_lt_i64_e32 vcc, v[2:3], v[4:5]
	v_cndmask_b32_e64 v6, v7, 1, s[4:5]
	s_and_b64 vcc, s[4:5], vcc
	v_cndmask_b32_e32 v2, v4, v2, vcc
	v_and_b32_e32 v4, 1, v6
	v_cndmask_b32_e32 v3, v5, v3, vcc
	v_cmp_eq_u32_e32 vcc, 1, v4
	s_andn2_b64 s[4:5], s[4:5], exec
	s_and_b64 s[10:11], vcc, exec
	v_and_b32_e32 v1, 0xff, v6
	s_or_b64 s[4:5], s[4:5], s[10:11]
; %bb.293:
	s_or_b64 exec, exec, s[8:9]
	v_mov_b32_dpp v6, v1 row_ror:4 row_mask:0xf bank_mask:0xf bound_ctrl:1
	v_and_b32_e32 v7, 1, v6
	v_mov_b32_dpp v4, v2 row_ror:4 row_mask:0xf bank_mask:0xf bound_ctrl:1
	v_mov_b32_dpp v5, v3 row_ror:4 row_mask:0xf bank_mask:0xf bound_ctrl:1
	v_cmp_eq_u32_e32 vcc, 1, v7
	s_and_saveexec_b64 s[8:9], vcc
; %bb.294:
	v_cmp_lt_i64_e32 vcc, v[2:3], v[4:5]
	v_cndmask_b32_e64 v6, v6, 1, s[4:5]
	s_and_b64 vcc, s[4:5], vcc
	v_cndmask_b32_e32 v2, v4, v2, vcc
	v_and_b32_e32 v4, 1, v6
	v_cndmask_b32_e32 v3, v5, v3, vcc
	v_cmp_eq_u32_e32 vcc, 1, v4
	s_andn2_b64 s[4:5], s[4:5], exec
	s_and_b64 s[10:11], vcc, exec
	v_and_b32_e32 v1, 0xff, v6
	s_or_b64 s[4:5], s[4:5], s[10:11]
; %bb.295:
	s_or_b64 exec, exec, s[8:9]
	v_mov_b32_dpp v6, v1 row_ror:8 row_mask:0xf bank_mask:0xf bound_ctrl:1
	v_and_b32_e32 v7, 1, v6
	v_mov_b32_dpp v4, v2 row_ror:8 row_mask:0xf bank_mask:0xf bound_ctrl:1
	v_mov_b32_dpp v5, v3 row_ror:8 row_mask:0xf bank_mask:0xf bound_ctrl:1
	v_cmp_eq_u32_e32 vcc, 1, v7
	s_and_saveexec_b64 s[8:9], vcc
; %bb.296:
	v_cmp_lt_i64_e32 vcc, v[2:3], v[4:5]
	v_cndmask_b32_e64 v6, v6, 1, s[4:5]
	s_and_b64 vcc, s[4:5], vcc
	v_cndmask_b32_e32 v2, v4, v2, vcc
	v_and_b32_e32 v4, 1, v6
	v_cndmask_b32_e32 v3, v5, v3, vcc
	v_cmp_eq_u32_e32 vcc, 1, v4
	s_andn2_b64 s[4:5], s[4:5], exec
	s_and_b64 s[10:11], vcc, exec
	v_and_b32_e32 v1, 0xff, v6
	s_or_b64 s[4:5], s[4:5], s[10:11]
; %bb.297:
	s_or_b64 exec, exec, s[8:9]
	v_mov_b32_dpp v6, v1 row_bcast:15 row_mask:0xf bank_mask:0xf bound_ctrl:1
	v_and_b32_e32 v7, 1, v6
	v_mov_b32_dpp v4, v2 row_bcast:15 row_mask:0xf bank_mask:0xf bound_ctrl:1
	v_mov_b32_dpp v5, v3 row_bcast:15 row_mask:0xf bank_mask:0xf bound_ctrl:1
	v_cmp_eq_u32_e32 vcc, 1, v7
	s_and_saveexec_b64 s[8:9], vcc
; %bb.298:
	v_cmp_lt_i64_e32 vcc, v[2:3], v[4:5]
	v_cndmask_b32_e64 v6, v6, 1, s[4:5]
	s_and_b64 vcc, s[4:5], vcc
	v_cndmask_b32_e32 v2, v4, v2, vcc
	v_and_b32_e32 v4, 1, v6
	v_cndmask_b32_e32 v3, v5, v3, vcc
	v_cmp_eq_u32_e32 vcc, 1, v4
	s_andn2_b64 s[4:5], s[4:5], exec
	s_and_b64 s[10:11], vcc, exec
	v_and_b32_e32 v1, 0xff, v6
	s_or_b64 s[4:5], s[4:5], s[10:11]
; %bb.299:
	s_or_b64 exec, exec, s[8:9]
	v_mov_b32_dpp v6, v1 row_bcast:31 row_mask:0xf bank_mask:0xf bound_ctrl:1
	v_and_b32_e32 v7, 1, v6
	v_mov_b32_dpp v4, v2 row_bcast:31 row_mask:0xf bank_mask:0xf bound_ctrl:1
	v_mov_b32_dpp v5, v3 row_bcast:31 row_mask:0xf bank_mask:0xf bound_ctrl:1
	v_cmp_eq_u32_e32 vcc, 1, v7
	s_and_saveexec_b64 s[8:9], vcc
; %bb.300:
	v_cmp_lt_i64_e32 vcc, v[2:3], v[4:5]
	v_and_b32_e32 v1, 0xff, v6
	s_and_b64 vcc, s[4:5], vcc
	v_cndmask_b32_e32 v2, v4, v2, vcc
	v_cndmask_b32_e32 v3, v5, v3, vcc
	v_cndmask_b32_e64 v1, v1, 1, s[4:5]
; %bb.301:
	s_or_b64 exec, exec, s[8:9]
	v_mbcnt_lo_u32_b32 v4, -1, 0
	v_mbcnt_hi_u32_b32 v4, -1, v4
	v_bfrev_b32_e32 v5, 0.5
	v_lshl_or_b32 v5, v4, 2, v5
	ds_bpermute_b32 v6, v5, v1
	ds_bpermute_b32 v2, v5, v2
	;; [unrolled: 1-line block ×3, first 2 shown]
	v_cmp_eq_u32_e32 vcc, 0, v4
	s_and_saveexec_b64 s[4:5], vcc
	s_cbranch_execz .LBB182_303
; %bb.302:
	v_lshrrev_b32_e32 v1, 2, v0
	v_and_b32_e32 v1, 48, v1
	s_waitcnt lgkmcnt(2)
	ds_write_b8 v1, v6 offset:64
	s_waitcnt lgkmcnt(1)
	ds_write_b64 v1, v[2:3] offset:72
.LBB182_303:
	s_or_b64 exec, exec, s[4:5]
	v_cmp_gt_u32_e32 vcc, 64, v0
	s_waitcnt lgkmcnt(0)
	s_barrier
	s_and_saveexec_b64 s[8:9], vcc
	s_cbranch_execz .LBB182_305
; %bb.304:
	v_and_b32_e32 v1, 3, v4
	v_lshlrev_b32_e32 v2, 4, v1
	ds_read_u8 v5, v2 offset:64
	ds_read_b64 v[2:3], v2 offset:72
	v_cmp_ne_u32_e32 vcc, 3, v1
	s_waitcnt lgkmcnt(1)
	v_and_b32_e32 v7, 0xff, v5
	v_addc_co_u32_e32 v6, vcc, 0, v4, vcc
	v_lshlrev_b32_e32 v8, 2, v6
	ds_bpermute_b32 v9, v8, v7
	s_waitcnt lgkmcnt(1)
	ds_bpermute_b32 v6, v8, v2
	ds_bpermute_b32 v7, v8, v3
	v_and_b32_e32 v8, 1, v5
	s_waitcnt lgkmcnt(2)
	v_and_b32_e32 v10, 1, v9
	v_cmp_eq_u32_e64 s[4:5], 1, v10
	s_waitcnt lgkmcnt(0)
	v_cmp_lt_i64_e32 vcc, v[6:7], v[2:3]
	s_and_b64 vcc, s[4:5], vcc
	v_cndmask_b32_e64 v5, v5, 1, s[4:5]
	v_cndmask_b32_e32 v2, v2, v6, vcc
	v_cndmask_b32_e32 v3, v3, v7, vcc
	v_cmp_eq_u32_e32 vcc, 1, v8
	s_nop 1
	v_cndmask_b32_e32 v8, v9, v5, vcc
	v_cndmask_b32_e32 v3, v7, v3, vcc
	;; [unrolled: 1-line block ×3, first 2 shown]
	v_cmp_gt_u32_e32 vcc, 2, v1
	v_and_b32_e32 v5, 0xff, v8
	s_nop 0
	v_cndmask_b32_e64 v1, 0, 1, vcc
	v_lshlrev_b32_e32 v1, 1, v1
	v_add_lshl_u32 v1, v1, v4, 2
	ds_bpermute_b32 v6, v1, v5
	ds_bpermute_b32 v4, v1, v2
	;; [unrolled: 1-line block ×3, first 2 shown]
	v_and_b32_e32 v1, 1, v8
	s_waitcnt lgkmcnt(2)
	v_and_b32_e32 v7, 1, v6
	v_cmp_eq_u32_e64 s[4:5], 1, v7
	s_waitcnt lgkmcnt(0)
	v_cmp_lt_i64_e32 vcc, v[4:5], v[2:3]
	s_and_b64 vcc, s[4:5], vcc
	v_cndmask_b32_e64 v7, v8, 1, s[4:5]
	v_cndmask_b32_e32 v2, v2, v4, vcc
	v_cndmask_b32_e32 v3, v3, v5, vcc
	v_cmp_eq_u32_e32 vcc, 1, v1
	s_nop 1
	v_cndmask_b32_e32 v1, v6, v7, vcc
	v_cndmask_b32_e32 v3, v5, v3, vcc
	;; [unrolled: 1-line block ×3, first 2 shown]
	v_and_b32_e32 v6, 0xff, v1
.LBB182_305:
	s_or_b64 exec, exec, s[8:9]
	s_branch .LBB182_334
.LBB182_306:
                                        ; implicit-def: $vgpr4_vgpr5
                                        ; implicit-def: $vgpr1
                                        ; implicit-def: $sgpr2_sgpr3
.LBB182_307:
	s_and_saveexec_b64 s[4:5], s[18:19]
	s_cbranch_execz .LBB182_309
.LBB182_308:
	s_load_dwordx2 s[0:1], s[0:1], 0x38
	s_lshl_b64 s[2:3], s[2:3], 4
	v_mov_b32_e32 v0, 0
	s_waitcnt lgkmcnt(0)
	s_add_u32 s0, s0, s2
	s_addc_u32 s1, s1, s3
	global_store_byte v0, v1, s[0:1]
	global_store_dwordx2 v0, v[4:5], s[0:1] offset:8
.LBB182_309:
	s_endpgm
.LBB182_310:
                                        ; implicit-def: $vgpr2_vgpr3
                                        ; implicit-def: $vgpr6
	s_cbranch_execz .LBB182_334
; %bb.311:
	s_sub_i32 s8, s38, s6
	v_cmp_gt_u32_e32 vcc, s8, v0
	v_mov_b64_e32 v[2:3], 0
	v_mov_b32_e32 v7, 0
	s_and_saveexec_b64 s[4:5], vcc
	s_cbranch_execz .LBB182_313
; %bb.312:
	s_lshl_b64 s[10:11], s[6:7], 1
	s_add_u32 s12, s42, s10
	s_addc_u32 s13, s43, s11
	s_add_u32 s10, s40, s10
	s_addc_u32 s11, s41, s11
	s_waitcnt lgkmcnt(2)
	v_lshlrev_b32_e32 v1, 1, v0
	s_waitcnt lgkmcnt(1)
	global_load_ushort v4, v1, s[10:11]
	s_waitcnt lgkmcnt(0)
	global_load_ushort v5, v1, s[12:13]
	s_add_u32 s6, s36, s6
	v_mov_b32_e32 v1, 0
	s_addc_u32 s7, s37, 0
	v_lshl_add_u64 v[2:3], s[6:7], 0, v[0:1]
	s_waitcnt vmcnt(0)
	v_cmp_ne_u16_e32 vcc, v4, v5
	s_nop 1
	v_cndmask_b32_e64 v7, 0, 1, vcc
.LBB182_313:
	s_or_b64 exec, exec, s[4:5]
	s_waitcnt lgkmcnt(2)
	v_mbcnt_lo_u32_b32 v1, -1, 0
	v_mbcnt_hi_u32_b32 v1, -1, v1
	v_and_b32_e32 v8, 63, v1
	v_cmp_ne_u32_e32 vcc, 63, v8
	v_and_b32_e32 v6, 0xffff, v7
	s_min_u32 s8, s8, 0x100
	s_waitcnt lgkmcnt(1)
	v_addc_co_u32_e32 v4, vcc, 0, v1, vcc
	s_waitcnt lgkmcnt(0)
	v_lshlrev_b32_e32 v5, 2, v4
	ds_bpermute_b32 v10, v5, v6
	ds_bpermute_b32 v4, v5, v2
	;; [unrolled: 1-line block ×3, first 2 shown]
	v_and_b32_e32 v9, 0xc0, v0
	v_sub_u32_e64 v9, s8, v9 clamp
	v_add_u32_e32 v11, 1, v8
	v_cmp_lt_u32_e32 vcc, v11, v9
	s_and_saveexec_b64 s[6:7], vcc
	s_cbranch_execz .LBB182_315
; %bb.314:
	s_waitcnt lgkmcnt(2)
	v_and_b32_e32 v11, 1, v10
	s_waitcnt lgkmcnt(0)
	v_cmp_lt_i64_e32 vcc, v[4:5], v[2:3]
	v_cmp_eq_u32_e64 s[4:5], 1, v11
	v_and_b32_e32 v6, 1, v7
	s_and_b64 vcc, s[4:5], vcc
	v_cndmask_b32_e64 v7, v7, 1, s[4:5]
	v_cndmask_b32_e32 v2, v2, v4, vcc
	v_cndmask_b32_e32 v3, v3, v5, vcc
	v_cmp_eq_u32_e32 vcc, 1, v6
	s_nop 1
	v_cndmask_b32_e32 v7, v10, v7, vcc
	v_cndmask_b32_e32 v3, v5, v3, vcc
	v_cndmask_b32_e32 v2, v4, v2, vcc
	v_and_b32_e32 v6, 0xff, v7
.LBB182_315:
	s_or_b64 exec, exec, s[6:7]
	v_cmp_gt_u32_e32 vcc, 62, v8
	v_add_u32_e32 v11, 2, v8
	s_waitcnt lgkmcnt(1)
	v_cndmask_b32_e64 v4, 0, 1, vcc
	v_lshlrev_b32_e32 v4, 1, v4
	s_waitcnt lgkmcnt(0)
	v_add_lshl_u32 v5, v4, v1, 2
	ds_bpermute_b32 v10, v5, v6
	ds_bpermute_b32 v4, v5, v2
	ds_bpermute_b32 v5, v5, v3
	v_cmp_lt_u32_e32 vcc, v11, v9
	s_and_saveexec_b64 s[6:7], vcc
	s_cbranch_execz .LBB182_317
; %bb.316:
	s_waitcnt lgkmcnt(2)
	v_and_b32_e32 v11, 1, v10
	s_waitcnt lgkmcnt(0)
	v_cmp_lt_i64_e32 vcc, v[4:5], v[2:3]
	v_cmp_eq_u32_e64 s[4:5], 1, v11
	v_and_b32_e32 v6, 1, v7
	s_and_b64 vcc, s[4:5], vcc
	v_cndmask_b32_e64 v7, v7, 1, s[4:5]
	v_cndmask_b32_e32 v2, v2, v4, vcc
	v_cndmask_b32_e32 v3, v3, v5, vcc
	v_cmp_eq_u32_e32 vcc, 1, v6
	s_nop 1
	v_cndmask_b32_e32 v7, v10, v7, vcc
	v_cndmask_b32_e32 v3, v5, v3, vcc
	v_cndmask_b32_e32 v2, v4, v2, vcc
	v_and_b32_e32 v6, 0xff, v7
.LBB182_317:
	s_or_b64 exec, exec, s[6:7]
	v_cmp_gt_u32_e32 vcc, 60, v8
	v_add_u32_e32 v11, 4, v8
	s_waitcnt lgkmcnt(1)
	v_cndmask_b32_e64 v4, 0, 1, vcc
	v_lshlrev_b32_e32 v4, 2, v4
	s_waitcnt lgkmcnt(0)
	v_add_lshl_u32 v5, v4, v1, 2
	ds_bpermute_b32 v10, v5, v6
	ds_bpermute_b32 v4, v5, v2
	ds_bpermute_b32 v5, v5, v3
	;; [unrolled: 32-line block ×5, first 2 shown]
	v_cmp_lt_u32_e32 vcc, v8, v9
	s_and_saveexec_b64 s[6:7], vcc
	s_cbranch_execz .LBB182_325
; %bb.324:
	s_waitcnt lgkmcnt(2)
	v_and_b32_e32 v8, 1, v10
	s_waitcnt lgkmcnt(0)
	v_cmp_lt_i64_e32 vcc, v[4:5], v[2:3]
	v_cmp_eq_u32_e64 s[4:5], 1, v8
	v_and_b32_e32 v6, 1, v7
	s_and_b64 vcc, s[4:5], vcc
	v_cndmask_b32_e64 v7, v7, 1, s[4:5]
	v_cndmask_b32_e32 v2, v2, v4, vcc
	v_cndmask_b32_e32 v3, v3, v5, vcc
	v_cmp_eq_u32_e32 vcc, 1, v6
	s_nop 1
	v_cndmask_b32_e32 v7, v10, v7, vcc
	v_cndmask_b32_e32 v3, v5, v3, vcc
	;; [unrolled: 1-line block ×3, first 2 shown]
	v_and_b32_e32 v6, 0xff, v7
.LBB182_325:
	s_or_b64 exec, exec, s[6:7]
	v_cmp_eq_u32_e32 vcc, 0, v1
	s_and_saveexec_b64 s[4:5], vcc
	s_cbranch_execz .LBB182_327
; %bb.326:
	s_waitcnt lgkmcnt(1)
	v_lshrrev_b32_e32 v4, 2, v0
	v_and_b32_e32 v4, 48, v4
	ds_write_b8 v4, v7 offset:320
	ds_write_b64 v4, v[2:3] offset:328
.LBB182_327:
	s_or_b64 exec, exec, s[4:5]
	v_cmp_gt_u32_e32 vcc, 4, v0
	s_waitcnt lgkmcnt(0)
	s_barrier
	s_and_saveexec_b64 s[6:7], vcc
	s_cbranch_execz .LBB182_333
; %bb.328:
	v_lshlrev_b32_e32 v2, 4, v1
	ds_read_u8 v7, v2 offset:320
	ds_read_b64 v[2:3], v2 offset:328
	v_and_b32_e32 v8, 3, v1
	v_cmp_ne_u32_e32 vcc, 3, v8
	s_add_i32 s8, s8, 63
	s_waitcnt lgkmcnt(1)
	v_and_b32_e32 v6, 0xff, v7
	v_addc_co_u32_e32 v4, vcc, 0, v1, vcc
	v_lshlrev_b32_e32 v5, 2, v4
	ds_bpermute_b32 v9, v5, v6
	s_waitcnt lgkmcnt(1)
	ds_bpermute_b32 v4, v5, v2
	ds_bpermute_b32 v5, v5, v3
	s_lshr_b32 s10, s8, 6
	v_add_u32_e32 v10, 1, v8
	v_cmp_gt_u32_e32 vcc, s10, v10
	s_and_saveexec_b64 s[8:9], vcc
	s_cbranch_execz .LBB182_330
; %bb.329:
	s_waitcnt lgkmcnt(2)
	v_and_b32_e32 v10, 1, v9
	s_waitcnt lgkmcnt(0)
	v_cmp_lt_i64_e32 vcc, v[4:5], v[2:3]
	v_cmp_eq_u32_e64 s[4:5], 1, v10
	v_and_b32_e32 v6, 1, v7
	s_and_b64 vcc, s[4:5], vcc
	v_cndmask_b32_e64 v7, v7, 1, s[4:5]
	v_cndmask_b32_e32 v2, v2, v4, vcc
	v_cndmask_b32_e32 v3, v3, v5, vcc
	v_cmp_eq_u32_e32 vcc, 1, v6
	s_nop 1
	v_cndmask_b32_e32 v7, v9, v7, vcc
	v_cndmask_b32_e32 v3, v5, v3, vcc
	;; [unrolled: 1-line block ×3, first 2 shown]
	v_and_b32_e32 v6, 0xff, v7
.LBB182_330:
	s_or_b64 exec, exec, s[8:9]
	v_cmp_gt_u32_e32 vcc, 2, v8
	v_add_u32_e32 v8, 2, v8
	s_waitcnt lgkmcnt(1)
	v_cndmask_b32_e64 v4, 0, 1, vcc
	v_lshlrev_b32_e32 v4, 1, v4
	s_waitcnt lgkmcnt(0)
	v_add_lshl_u32 v5, v4, v1, 2
	ds_bpermute_b32 v1, v5, v6
	ds_bpermute_b32 v4, v5, v2
	ds_bpermute_b32 v5, v5, v3
	v_cmp_gt_u32_e32 vcc, s10, v8
	s_and_saveexec_b64 s[8:9], vcc
	s_cbranch_execz .LBB182_332
; %bb.331:
	s_waitcnt lgkmcnt(2)
	v_and_b32_e32 v8, 1, v1
	s_waitcnt lgkmcnt(0)
	v_cmp_lt_i64_e32 vcc, v[4:5], v[2:3]
	v_cmp_eq_u32_e64 s[4:5], 1, v8
	v_and_b32_e32 v6, 1, v7
	s_and_b64 vcc, s[4:5], vcc
	v_cndmask_b32_e64 v7, v7, 1, s[4:5]
	v_cndmask_b32_e32 v2, v2, v4, vcc
	v_cndmask_b32_e32 v3, v3, v5, vcc
	v_cmp_eq_u32_e32 vcc, 1, v6
	s_nop 1
	v_cndmask_b32_e32 v1, v1, v7, vcc
	v_cndmask_b32_e32 v3, v5, v3, vcc
	;; [unrolled: 1-line block ×3, first 2 shown]
	v_and_b32_e32 v6, 0xff, v1
.LBB182_332:
	s_or_b64 exec, exec, s[8:9]
.LBB182_333:
	s_or_b64 exec, exec, s[6:7]
.LBB182_334:
	v_cmp_eq_u32_e32 vcc, 0, v0
                                        ; implicit-def: $vgpr4_vgpr5
                                        ; implicit-def: $vgpr1
	s_and_saveexec_b64 s[8:9], vcc
	s_cbranch_execz .LBB182_338
; %bb.335:
	s_cmp_eq_u64 s[38:39], 0
	s_waitcnt lgkmcnt(0)
	v_mov_b64_e32 v[4:5], s[44:45]
	v_mov_b32_e32 v1, s33
	s_cbranch_scc1 .LBB182_337
; %bb.336:
	v_and_b32_e32 v0, 1, v6
	s_bitcmp1_b32 s33, 0
	v_mov_b32_e32 v1, s33
	v_cmp_eq_u32_e32 vcc, 1, v0
	v_cmp_gt_i64_e64 s[6:7], s[44:45], v[2:3]
	s_cselect_b64 s[4:5], -1, 0
	v_cndmask_b32_e64 v0, v1, 1, vcc
	v_mov_b32_e32 v1, s44
	s_and_b64 vcc, vcc, s[6:7]
	v_cndmask_b32_e32 v4, v1, v2, vcc
	v_mov_b32_e32 v1, s45
	v_cndmask_b32_e32 v5, v1, v3, vcc
	v_cndmask_b32_e64 v1, v6, v0, s[4:5]
	v_cndmask_b32_e64 v5, v3, v5, s[4:5]
	;; [unrolled: 1-line block ×3, first 2 shown]
.LBB182_337:
	s_or_b64 s[18:19], s[18:19], exec
.LBB182_338:
	s_or_b64 exec, exec, s[8:9]
	s_and_saveexec_b64 s[4:5], s[18:19]
	s_cbranch_execnz .LBB182_308
	s_branch .LBB182_309
.LBB182_339:
	v_lshlrev_b32_e32 v1, 1, v0
	global_load_ushort v15, v1, s[10:11] offset:1536
	global_load_ushort v16, v1, s[12:13] offset:1536
	v_mov_b32_e32 v11, 0
	v_lshl_add_u64 v[4:5], s[14:15], 0, v[10:11]
	s_waitcnt vmcnt(0)
	v_cmp_ne_u16_e64 s[8:9], v15, v16
	s_nop 1
	v_cndmask_b32_e64 v1, 0, 1, s[8:9]
	s_or_b64 exec, exec, s[16:17]
	s_and_saveexec_b64 s[10:11], s[6:7]
	s_cbranch_execz .LBB182_203
.LBB182_340:
	v_and_b32_e32 v11, 1, v13
	v_cmp_lt_i64_e64 s[6:7], v[6:7], v[2:3]
	v_cmp_eq_u32_e64 s[8:9], 1, v11
	v_and_b32_e32 v10, 1, v12
	s_and_b64 s[6:7], s[8:9], s[6:7]
	v_cndmask_b32_e64 v11, v12, 1, s[8:9]
	v_cndmask_b32_e64 v2, v2, v6, s[6:7]
	;; [unrolled: 1-line block ×3, first 2 shown]
	v_cmp_eq_u32_e64 s[6:7], 1, v10
	s_nop 1
	v_cndmask_b32_e64 v12, v13, v11, s[6:7]
	v_cndmask_b32_e64 v3, v7, v3, s[6:7]
	;; [unrolled: 1-line block ×3, first 2 shown]
	s_or_b64 exec, exec, s[10:11]
	s_and_saveexec_b64 s[8:9], s[4:5]
	s_cbranch_execz .LBB182_204
.LBB182_341:
	v_and_b32_e32 v7, 1, v14
	v_cmp_lt_i64_e64 s[4:5], v[8:9], v[2:3]
	v_cmp_eq_u32_e64 s[6:7], 1, v7
	v_and_b32_e32 v6, 1, v12
	s_and_b64 s[4:5], s[6:7], s[4:5]
	v_cndmask_b32_e64 v7, v12, 1, s[6:7]
	v_cndmask_b32_e64 v2, v2, v8, s[4:5]
	;; [unrolled: 1-line block ×3, first 2 shown]
	v_cmp_eq_u32_e64 s[4:5], 1, v6
	s_nop 1
	v_cndmask_b32_e64 v12, v14, v7, s[4:5]
	v_cndmask_b32_e64 v3, v9, v3, s[4:5]
	;; [unrolled: 1-line block ×3, first 2 shown]
	s_or_b64 exec, exec, s[8:9]
	s_and_saveexec_b64 s[6:7], vcc
	s_cbranch_execnz .LBB182_205
	s_branch .LBB182_206
.LBB182_342:
	v_lshlrev_b32_e32 v4, 1, v34
	global_load_ushort v36, v4, s[34:35]
	global_load_ushort v51, v4, s[48:49]
	v_mov_b32_e32 v35, 0
	v_lshl_add_u64 v[4:5], s[50:51], 0, v[34:35]
	s_waitcnt vmcnt(0)
	v_cmp_ne_u16_e64 s[34:35], v36, v51
	s_nop 1
	v_cndmask_b32_e64 v36, 0, 1, s[34:35]
	s_or_b64 exec, exec, s[52:53]
	s_and_saveexec_b64 s[48:49], s[30:31]
	s_cbranch_execz .LBB182_80
.LBB182_343:
	v_and_b32_e32 v35, 1, v43
	v_cmp_lt_i64_e64 s[30:31], v[18:19], v[2:3]
	v_cmp_eq_u32_e64 s[34:35], 1, v35
	v_and_b32_e32 v34, 1, v1
	s_and_b64 s[30:31], s[34:35], s[30:31]
	v_cndmask_b32_e64 v1, v1, 1, s[34:35]
	v_cndmask_b32_e64 v2, v2, v18, s[30:31]
	;; [unrolled: 1-line block ×3, first 2 shown]
	v_cmp_eq_u32_e64 s[30:31], 1, v34
	s_nop 1
	v_cndmask_b32_e64 v1, v43, v1, s[30:31]
	v_cndmask_b32_e64 v3, v19, v3, s[30:31]
	;; [unrolled: 1-line block ×3, first 2 shown]
	s_or_b64 exec, exec, s[48:49]
	s_and_saveexec_b64 s[34:35], s[28:29]
	s_cbranch_execz .LBB182_81
.LBB182_344:
	v_and_b32_e32 v19, 1, v50
	v_cmp_lt_i64_e64 s[28:29], v[32:33], v[2:3]
	v_cmp_eq_u32_e64 s[30:31], 1, v19
	v_and_b32_e32 v18, 1, v1
	s_and_b64 s[28:29], s[30:31], s[28:29]
	v_cndmask_b32_e64 v1, v1, 1, s[30:31]
	v_cndmask_b32_e64 v2, v2, v32, s[28:29]
	;; [unrolled: 1-line block ×3, first 2 shown]
	v_cmp_eq_u32_e64 s[28:29], 1, v18
	s_nop 1
	v_cndmask_b32_e64 v1, v50, v1, s[28:29]
	v_cndmask_b32_e64 v3, v33, v3, s[28:29]
	;; [unrolled: 1-line block ×3, first 2 shown]
	s_or_b64 exec, exec, s[34:35]
	s_and_saveexec_b64 s[30:31], s[26:27]
	s_cbranch_execz .LBB182_82
.LBB182_345:
	v_and_b32_e32 v19, 1, v42
	v_cmp_lt_i64_e64 s[26:27], v[16:17], v[2:3]
	v_cmp_eq_u32_e64 s[28:29], 1, v19
	v_and_b32_e32 v18, 1, v1
	s_and_b64 s[26:27], s[28:29], s[26:27]
	v_cndmask_b32_e64 v1, v1, 1, s[28:29]
	v_cndmask_b32_e64 v2, v2, v16, s[26:27]
	;; [unrolled: 1-line block ×3, first 2 shown]
	v_cmp_eq_u32_e64 s[26:27], 1, v18
	s_nop 1
	v_cndmask_b32_e64 v1, v42, v1, s[26:27]
	v_cndmask_b32_e64 v3, v17, v3, s[26:27]
	;; [unrolled: 1-line block ×3, first 2 shown]
	s_or_b64 exec, exec, s[30:31]
	s_and_saveexec_b64 s[28:29], s[24:25]
	s_cbranch_execz .LBB182_83
.LBB182_346:
	v_and_b32_e32 v17, 1, v49
	v_cmp_lt_i64_e64 s[24:25], v[30:31], v[2:3]
	v_cmp_eq_u32_e64 s[26:27], 1, v17
	v_and_b32_e32 v16, 1, v1
	s_and_b64 s[24:25], s[26:27], s[24:25]
	v_cndmask_b32_e64 v1, v1, 1, s[26:27]
	v_cndmask_b32_e64 v2, v2, v30, s[24:25]
	;; [unrolled: 1-line block ×3, first 2 shown]
	v_cmp_eq_u32_e64 s[24:25], 1, v16
	s_nop 1
	v_cndmask_b32_e64 v1, v49, v1, s[24:25]
	v_cndmask_b32_e64 v3, v31, v3, s[24:25]
	v_cndmask_b32_e64 v2, v30, v2, s[24:25]
	s_or_b64 exec, exec, s[28:29]
	s_and_saveexec_b64 s[26:27], s[22:23]
	s_cbranch_execz .LBB182_84
.LBB182_347:
	v_and_b32_e32 v17, 1, v41
	v_cmp_lt_i64_e64 s[22:23], v[14:15], v[2:3]
	v_cmp_eq_u32_e64 s[24:25], 1, v17
	v_and_b32_e32 v16, 1, v1
	s_and_b64 s[22:23], s[24:25], s[22:23]
	v_cndmask_b32_e64 v1, v1, 1, s[24:25]
	v_cndmask_b32_e64 v2, v2, v14, s[22:23]
	;; [unrolled: 1-line block ×3, first 2 shown]
	v_cmp_eq_u32_e64 s[22:23], 1, v16
	s_nop 1
	v_cndmask_b32_e64 v1, v41, v1, s[22:23]
	v_cndmask_b32_e64 v3, v15, v3, s[22:23]
	;; [unrolled: 1-line block ×3, first 2 shown]
	s_or_b64 exec, exec, s[26:27]
	s_and_saveexec_b64 s[24:25], s[20:21]
	s_cbranch_execz .LBB182_85
.LBB182_348:
	v_and_b32_e32 v15, 1, v48
	v_cmp_lt_i64_e64 s[20:21], v[28:29], v[2:3]
	v_cmp_eq_u32_e64 s[22:23], 1, v15
	v_and_b32_e32 v14, 1, v1
	s_and_b64 s[20:21], s[22:23], s[20:21]
	v_cndmask_b32_e64 v1, v1, 1, s[22:23]
	v_cndmask_b32_e64 v2, v2, v28, s[20:21]
	;; [unrolled: 1-line block ×3, first 2 shown]
	v_cmp_eq_u32_e64 s[20:21], 1, v14
	s_nop 1
	v_cndmask_b32_e64 v1, v48, v1, s[20:21]
	v_cndmask_b32_e64 v3, v29, v3, s[20:21]
	;; [unrolled: 1-line block ×3, first 2 shown]
	s_or_b64 exec, exec, s[24:25]
	s_and_saveexec_b64 s[22:23], s[18:19]
	s_cbranch_execz .LBB182_86
.LBB182_349:
	v_and_b32_e32 v15, 1, v40
	v_cmp_lt_i64_e64 s[18:19], v[12:13], v[2:3]
	v_cmp_eq_u32_e64 s[20:21], 1, v15
	v_and_b32_e32 v14, 1, v1
	s_and_b64 s[18:19], s[20:21], s[18:19]
	v_cndmask_b32_e64 v1, v1, 1, s[20:21]
	v_cndmask_b32_e64 v2, v2, v12, s[18:19]
	;; [unrolled: 1-line block ×3, first 2 shown]
	v_cmp_eq_u32_e64 s[18:19], 1, v14
	s_nop 1
	v_cndmask_b32_e64 v1, v40, v1, s[18:19]
	v_cndmask_b32_e64 v3, v13, v3, s[18:19]
	v_cndmask_b32_e64 v2, v12, v2, s[18:19]
	s_or_b64 exec, exec, s[22:23]
	s_and_saveexec_b64 s[20:21], s[16:17]
	s_cbranch_execz .LBB182_87
.LBB182_350:
	v_and_b32_e32 v13, 1, v47
	v_cmp_lt_i64_e64 s[16:17], v[26:27], v[2:3]
	v_cmp_eq_u32_e64 s[18:19], 1, v13
	v_and_b32_e32 v12, 1, v1
	s_and_b64 s[16:17], s[18:19], s[16:17]
	v_cndmask_b32_e64 v1, v1, 1, s[18:19]
	v_cndmask_b32_e64 v2, v2, v26, s[16:17]
	;; [unrolled: 1-line block ×3, first 2 shown]
	v_cmp_eq_u32_e64 s[16:17], 1, v12
	s_nop 1
	v_cndmask_b32_e64 v1, v47, v1, s[16:17]
	v_cndmask_b32_e64 v3, v27, v3, s[16:17]
	;; [unrolled: 1-line block ×3, first 2 shown]
	s_or_b64 exec, exec, s[20:21]
	s_and_saveexec_b64 s[18:19], s[14:15]
	s_cbranch_execz .LBB182_88
.LBB182_351:
	v_and_b32_e32 v13, 1, v39
	v_cmp_lt_i64_e64 s[14:15], v[10:11], v[2:3]
	v_cmp_eq_u32_e64 s[16:17], 1, v13
	v_and_b32_e32 v12, 1, v1
	s_and_b64 s[14:15], s[16:17], s[14:15]
	v_cndmask_b32_e64 v1, v1, 1, s[16:17]
	v_cndmask_b32_e64 v2, v2, v10, s[14:15]
	;; [unrolled: 1-line block ×3, first 2 shown]
	v_cmp_eq_u32_e64 s[14:15], 1, v12
	s_nop 1
	v_cndmask_b32_e64 v1, v39, v1, s[14:15]
	v_cndmask_b32_e64 v3, v11, v3, s[14:15]
	v_cndmask_b32_e64 v2, v10, v2, s[14:15]
	s_or_b64 exec, exec, s[18:19]
	s_and_saveexec_b64 s[16:17], s[12:13]
	s_cbranch_execz .LBB182_89
.LBB182_352:
	v_and_b32_e32 v11, 1, v46
	v_cmp_lt_i64_e64 s[12:13], v[24:25], v[2:3]
	v_cmp_eq_u32_e64 s[14:15], 1, v11
	v_and_b32_e32 v10, 1, v1
	s_and_b64 s[12:13], s[14:15], s[12:13]
	v_cndmask_b32_e64 v1, v1, 1, s[14:15]
	v_cndmask_b32_e64 v2, v2, v24, s[12:13]
	;; [unrolled: 1-line block ×3, first 2 shown]
	v_cmp_eq_u32_e64 s[12:13], 1, v10
	s_nop 1
	v_cndmask_b32_e64 v1, v46, v1, s[12:13]
	v_cndmask_b32_e64 v3, v25, v3, s[12:13]
	;; [unrolled: 1-line block ×3, first 2 shown]
	s_or_b64 exec, exec, s[16:17]
	s_and_saveexec_b64 s[14:15], s[10:11]
	s_cbranch_execz .LBB182_90
.LBB182_353:
	v_and_b32_e32 v11, 1, v38
	v_cmp_lt_i64_e64 s[10:11], v[8:9], v[2:3]
	v_cmp_eq_u32_e64 s[12:13], 1, v11
	v_and_b32_e32 v10, 1, v1
	s_and_b64 s[10:11], s[12:13], s[10:11]
	v_cndmask_b32_e64 v1, v1, 1, s[12:13]
	v_cndmask_b32_e64 v2, v2, v8, s[10:11]
	;; [unrolled: 1-line block ×3, first 2 shown]
	v_cmp_eq_u32_e64 s[10:11], 1, v10
	s_nop 1
	v_cndmask_b32_e64 v1, v38, v1, s[10:11]
	v_cndmask_b32_e64 v3, v9, v3, s[10:11]
	;; [unrolled: 1-line block ×3, first 2 shown]
	s_or_b64 exec, exec, s[14:15]
	s_and_saveexec_b64 s[12:13], s[8:9]
	s_cbranch_execz .LBB182_91
.LBB182_354:
	v_and_b32_e32 v9, 1, v45
	v_cmp_lt_i64_e64 s[8:9], v[22:23], v[2:3]
	v_cmp_eq_u32_e64 s[10:11], 1, v9
	v_and_b32_e32 v8, 1, v1
	s_and_b64 s[8:9], s[10:11], s[8:9]
	v_cndmask_b32_e64 v1, v1, 1, s[10:11]
	v_cndmask_b32_e64 v2, v2, v22, s[8:9]
	;; [unrolled: 1-line block ×3, first 2 shown]
	v_cmp_eq_u32_e64 s[8:9], 1, v8
	s_nop 1
	v_cndmask_b32_e64 v1, v45, v1, s[8:9]
	v_cndmask_b32_e64 v3, v23, v3, s[8:9]
	;; [unrolled: 1-line block ×3, first 2 shown]
	s_or_b64 exec, exec, s[12:13]
	s_and_saveexec_b64 s[10:11], s[6:7]
	s_cbranch_execz .LBB182_92
.LBB182_355:
	v_and_b32_e32 v9, 1, v37
	v_cmp_lt_i64_e64 s[6:7], v[6:7], v[2:3]
	v_cmp_eq_u32_e64 s[8:9], 1, v9
	v_and_b32_e32 v8, 1, v1
	s_and_b64 s[6:7], s[8:9], s[6:7]
	v_cndmask_b32_e64 v1, v1, 1, s[8:9]
	v_cndmask_b32_e64 v2, v2, v6, s[6:7]
	;; [unrolled: 1-line block ×3, first 2 shown]
	v_cmp_eq_u32_e64 s[6:7], 1, v8
	s_nop 1
	v_cndmask_b32_e64 v1, v37, v1, s[6:7]
	v_cndmask_b32_e64 v3, v7, v3, s[6:7]
	v_cndmask_b32_e64 v2, v6, v2, s[6:7]
	s_or_b64 exec, exec, s[10:11]
	s_and_saveexec_b64 s[8:9], s[4:5]
	s_cbranch_execz .LBB182_93
.LBB182_356:
	v_and_b32_e32 v7, 1, v44
	v_cmp_lt_i64_e64 s[4:5], v[20:21], v[2:3]
	v_cmp_eq_u32_e64 s[6:7], 1, v7
	v_and_b32_e32 v6, 1, v1
	s_and_b64 s[4:5], s[6:7], s[4:5]
	v_cndmask_b32_e64 v1, v1, 1, s[6:7]
	v_cndmask_b32_e64 v2, v2, v20, s[4:5]
	;; [unrolled: 1-line block ×3, first 2 shown]
	v_cmp_eq_u32_e64 s[4:5], 1, v6
	s_nop 1
	v_cndmask_b32_e64 v1, v44, v1, s[4:5]
	v_cndmask_b32_e64 v3, v21, v3, s[4:5]
	v_cndmask_b32_e64 v2, v20, v2, s[4:5]
	s_or_b64 exec, exec, s[8:9]
	s_and_saveexec_b64 s[6:7], vcc
	s_cbranch_execnz .LBB182_94
	s_branch .LBB182_95
.LBB182_357:
	v_lshlrev_b32_e32 v4, 1, v0
	global_load_ushort v20, v4, s[20:21] offset:3584
	global_load_ushort v27, v4, s[22:23] offset:3584
	v_mov_b32_e32 v19, 0
	v_lshl_add_u64 v[4:5], s[24:25], 0, v[18:19]
	s_waitcnt vmcnt(0)
	v_cmp_ne_u16_e64 s[16:17], v20, v27
	s_nop 1
	v_cndmask_b32_e64 v20, 0, 1, s[16:17]
	s_or_b64 exec, exec, s[26:27]
	s_and_saveexec_b64 s[20:21], s[14:15]
	s_cbranch_execz .LBB182_140
.LBB182_358:
	v_and_b32_e32 v19, 1, v23
	v_cmp_lt_i64_e64 s[14:15], v[10:11], v[2:3]
	v_cmp_eq_u32_e64 s[16:17], 1, v19
	v_and_b32_e32 v18, 1, v1
	s_and_b64 s[14:15], s[16:17], s[14:15]
	v_cndmask_b32_e64 v1, v1, 1, s[16:17]
	v_cndmask_b32_e64 v2, v2, v10, s[14:15]
	;; [unrolled: 1-line block ×3, first 2 shown]
	v_cmp_eq_u32_e64 s[14:15], 1, v18
	s_nop 1
	v_cndmask_b32_e64 v1, v23, v1, s[14:15]
	v_cndmask_b32_e64 v3, v11, v3, s[14:15]
	;; [unrolled: 1-line block ×3, first 2 shown]
	s_or_b64 exec, exec, s[20:21]
	s_and_saveexec_b64 s[16:17], s[12:13]
	s_cbranch_execz .LBB182_141
.LBB182_359:
	v_and_b32_e32 v11, 1, v26
	v_cmp_lt_i64_e64 s[12:13], v[16:17], v[2:3]
	v_cmp_eq_u32_e64 s[14:15], 1, v11
	v_and_b32_e32 v10, 1, v1
	s_and_b64 s[12:13], s[14:15], s[12:13]
	v_cndmask_b32_e64 v1, v1, 1, s[14:15]
	v_cndmask_b32_e64 v2, v2, v16, s[12:13]
	v_cndmask_b32_e64 v3, v3, v17, s[12:13]
	v_cmp_eq_u32_e64 s[12:13], 1, v10
	s_nop 1
	v_cndmask_b32_e64 v1, v26, v1, s[12:13]
	v_cndmask_b32_e64 v3, v17, v3, s[12:13]
	;; [unrolled: 1-line block ×3, first 2 shown]
	s_or_b64 exec, exec, s[16:17]
	s_and_saveexec_b64 s[14:15], s[10:11]
	s_cbranch_execz .LBB182_142
.LBB182_360:
	v_and_b32_e32 v11, 1, v22
	v_cmp_lt_i64_e64 s[10:11], v[8:9], v[2:3]
	v_cmp_eq_u32_e64 s[12:13], 1, v11
	v_and_b32_e32 v10, 1, v1
	s_and_b64 s[10:11], s[12:13], s[10:11]
	v_cndmask_b32_e64 v1, v1, 1, s[12:13]
	v_cndmask_b32_e64 v2, v2, v8, s[10:11]
	;; [unrolled: 1-line block ×3, first 2 shown]
	v_cmp_eq_u32_e64 s[10:11], 1, v10
	s_nop 1
	v_cndmask_b32_e64 v1, v22, v1, s[10:11]
	v_cndmask_b32_e64 v3, v9, v3, s[10:11]
	v_cndmask_b32_e64 v2, v8, v2, s[10:11]
	s_or_b64 exec, exec, s[14:15]
	s_and_saveexec_b64 s[12:13], s[8:9]
	s_cbranch_execz .LBB182_143
.LBB182_361:
	v_and_b32_e32 v9, 1, v25
	v_cmp_lt_i64_e64 s[8:9], v[14:15], v[2:3]
	v_cmp_eq_u32_e64 s[10:11], 1, v9
	v_and_b32_e32 v8, 1, v1
	s_and_b64 s[8:9], s[10:11], s[8:9]
	v_cndmask_b32_e64 v1, v1, 1, s[10:11]
	v_cndmask_b32_e64 v2, v2, v14, s[8:9]
	;; [unrolled: 1-line block ×3, first 2 shown]
	v_cmp_eq_u32_e64 s[8:9], 1, v8
	s_nop 1
	v_cndmask_b32_e64 v1, v25, v1, s[8:9]
	v_cndmask_b32_e64 v3, v15, v3, s[8:9]
	;; [unrolled: 1-line block ×3, first 2 shown]
	s_or_b64 exec, exec, s[12:13]
	s_and_saveexec_b64 s[10:11], s[6:7]
	s_cbranch_execz .LBB182_144
.LBB182_362:
	v_and_b32_e32 v9, 1, v21
	v_cmp_lt_i64_e64 s[6:7], v[6:7], v[2:3]
	v_cmp_eq_u32_e64 s[8:9], 1, v9
	v_and_b32_e32 v8, 1, v1
	s_and_b64 s[6:7], s[8:9], s[6:7]
	v_cndmask_b32_e64 v1, v1, 1, s[8:9]
	v_cndmask_b32_e64 v2, v2, v6, s[6:7]
	;; [unrolled: 1-line block ×3, first 2 shown]
	v_cmp_eq_u32_e64 s[6:7], 1, v8
	s_nop 1
	v_cndmask_b32_e64 v1, v21, v1, s[6:7]
	v_cndmask_b32_e64 v3, v7, v3, s[6:7]
	;; [unrolled: 1-line block ×3, first 2 shown]
	s_or_b64 exec, exec, s[10:11]
	s_and_saveexec_b64 s[8:9], s[4:5]
	s_cbranch_execz .LBB182_145
.LBB182_363:
	v_and_b32_e32 v7, 1, v24
	v_cmp_lt_i64_e64 s[4:5], v[12:13], v[2:3]
	v_cmp_eq_u32_e64 s[6:7], 1, v7
	v_and_b32_e32 v6, 1, v1
	s_and_b64 s[4:5], s[6:7], s[4:5]
	v_cndmask_b32_e64 v1, v1, 1, s[6:7]
	v_cndmask_b32_e64 v2, v2, v12, s[4:5]
	;; [unrolled: 1-line block ×3, first 2 shown]
	v_cmp_eq_u32_e64 s[4:5], 1, v6
	s_nop 1
	v_cndmask_b32_e64 v1, v24, v1, s[4:5]
	v_cndmask_b32_e64 v3, v13, v3, s[4:5]
	;; [unrolled: 1-line block ×3, first 2 shown]
	s_or_b64 exec, exec, s[8:9]
	s_and_saveexec_b64 s[6:7], vcc
	s_cbranch_execnz .LBB182_146
	s_branch .LBB182_147
	.section	.rodata,"a",@progbits
	.p2align	6, 0x0
	.amdhsa_kernel _ZN7rocprim17ROCPRIM_400000_NS6detail17trampoline_kernelINS0_14default_configENS1_22reduce_config_selectorIN6thrust23THRUST_200600_302600_NS5tupleIblNS6_9null_typeES8_S8_S8_S8_S8_S8_S8_EEEEZNS1_11reduce_implILb1ES3_NS6_12zip_iteratorINS7_INS6_11hip_rocprim26transform_input_iterator_tIbNSD_35transform_pair_of_input_iterators_tIbNS6_6detail15normal_iteratorINS6_10device_ptrIKsEEEESL_NS6_8equal_toIsEEEENSG_9not_fun_tINSD_8identityEEEEENSD_19counting_iterator_tIlEES8_S8_S8_S8_S8_S8_S8_S8_EEEEPS9_S9_NSD_9__find_if7functorIS9_EEEE10hipError_tPvRmT1_T2_T3_mT4_P12ihipStream_tbEUlT_E1_NS1_11comp_targetILNS1_3genE5ELNS1_11target_archE942ELNS1_3gpuE9ELNS1_3repE0EEENS1_30default_config_static_selectorELNS0_4arch9wavefront6targetE1EEEvS14_
		.amdhsa_group_segment_fixed_size 384
		.amdhsa_private_segment_fixed_size 0
		.amdhsa_kernarg_size 88
		.amdhsa_user_sgpr_count 2
		.amdhsa_user_sgpr_dispatch_ptr 0
		.amdhsa_user_sgpr_queue_ptr 0
		.amdhsa_user_sgpr_kernarg_segment_ptr 1
		.amdhsa_user_sgpr_dispatch_id 0
		.amdhsa_user_sgpr_kernarg_preload_length 0
		.amdhsa_user_sgpr_kernarg_preload_offset 0
		.amdhsa_user_sgpr_private_segment_size 0
		.amdhsa_uses_dynamic_stack 0
		.amdhsa_enable_private_segment 0
		.amdhsa_system_sgpr_workgroup_id_x 1
		.amdhsa_system_sgpr_workgroup_id_y 0
		.amdhsa_system_sgpr_workgroup_id_z 0
		.amdhsa_system_sgpr_workgroup_info 0
		.amdhsa_system_vgpr_workitem_id 0
		.amdhsa_next_free_vgpr 52
		.amdhsa_next_free_sgpr 56
		.amdhsa_accum_offset 52
		.amdhsa_reserve_vcc 1
		.amdhsa_float_round_mode_32 0
		.amdhsa_float_round_mode_16_64 0
		.amdhsa_float_denorm_mode_32 3
		.amdhsa_float_denorm_mode_16_64 3
		.amdhsa_dx10_clamp 1
		.amdhsa_ieee_mode 1
		.amdhsa_fp16_overflow 0
		.amdhsa_tg_split 0
		.amdhsa_exception_fp_ieee_invalid_op 0
		.amdhsa_exception_fp_denorm_src 0
		.amdhsa_exception_fp_ieee_div_zero 0
		.amdhsa_exception_fp_ieee_overflow 0
		.amdhsa_exception_fp_ieee_underflow 0
		.amdhsa_exception_fp_ieee_inexact 0
		.amdhsa_exception_int_div_zero 0
	.end_amdhsa_kernel
	.section	.text._ZN7rocprim17ROCPRIM_400000_NS6detail17trampoline_kernelINS0_14default_configENS1_22reduce_config_selectorIN6thrust23THRUST_200600_302600_NS5tupleIblNS6_9null_typeES8_S8_S8_S8_S8_S8_S8_EEEEZNS1_11reduce_implILb1ES3_NS6_12zip_iteratorINS7_INS6_11hip_rocprim26transform_input_iterator_tIbNSD_35transform_pair_of_input_iterators_tIbNS6_6detail15normal_iteratorINS6_10device_ptrIKsEEEESL_NS6_8equal_toIsEEEENSG_9not_fun_tINSD_8identityEEEEENSD_19counting_iterator_tIlEES8_S8_S8_S8_S8_S8_S8_S8_EEEEPS9_S9_NSD_9__find_if7functorIS9_EEEE10hipError_tPvRmT1_T2_T3_mT4_P12ihipStream_tbEUlT_E1_NS1_11comp_targetILNS1_3genE5ELNS1_11target_archE942ELNS1_3gpuE9ELNS1_3repE0EEENS1_30default_config_static_selectorELNS0_4arch9wavefront6targetE1EEEvS14_,"axG",@progbits,_ZN7rocprim17ROCPRIM_400000_NS6detail17trampoline_kernelINS0_14default_configENS1_22reduce_config_selectorIN6thrust23THRUST_200600_302600_NS5tupleIblNS6_9null_typeES8_S8_S8_S8_S8_S8_S8_EEEEZNS1_11reduce_implILb1ES3_NS6_12zip_iteratorINS7_INS6_11hip_rocprim26transform_input_iterator_tIbNSD_35transform_pair_of_input_iterators_tIbNS6_6detail15normal_iteratorINS6_10device_ptrIKsEEEESL_NS6_8equal_toIsEEEENSG_9not_fun_tINSD_8identityEEEEENSD_19counting_iterator_tIlEES8_S8_S8_S8_S8_S8_S8_S8_EEEEPS9_S9_NSD_9__find_if7functorIS9_EEEE10hipError_tPvRmT1_T2_T3_mT4_P12ihipStream_tbEUlT_E1_NS1_11comp_targetILNS1_3genE5ELNS1_11target_archE942ELNS1_3gpuE9ELNS1_3repE0EEENS1_30default_config_static_selectorELNS0_4arch9wavefront6targetE1EEEvS14_,comdat
.Lfunc_end182:
	.size	_ZN7rocprim17ROCPRIM_400000_NS6detail17trampoline_kernelINS0_14default_configENS1_22reduce_config_selectorIN6thrust23THRUST_200600_302600_NS5tupleIblNS6_9null_typeES8_S8_S8_S8_S8_S8_S8_EEEEZNS1_11reduce_implILb1ES3_NS6_12zip_iteratorINS7_INS6_11hip_rocprim26transform_input_iterator_tIbNSD_35transform_pair_of_input_iterators_tIbNS6_6detail15normal_iteratorINS6_10device_ptrIKsEEEESL_NS6_8equal_toIsEEEENSG_9not_fun_tINSD_8identityEEEEENSD_19counting_iterator_tIlEES8_S8_S8_S8_S8_S8_S8_S8_EEEEPS9_S9_NSD_9__find_if7functorIS9_EEEE10hipError_tPvRmT1_T2_T3_mT4_P12ihipStream_tbEUlT_E1_NS1_11comp_targetILNS1_3genE5ELNS1_11target_archE942ELNS1_3gpuE9ELNS1_3repE0EEENS1_30default_config_static_selectorELNS0_4arch9wavefront6targetE1EEEvS14_, .Lfunc_end182-_ZN7rocprim17ROCPRIM_400000_NS6detail17trampoline_kernelINS0_14default_configENS1_22reduce_config_selectorIN6thrust23THRUST_200600_302600_NS5tupleIblNS6_9null_typeES8_S8_S8_S8_S8_S8_S8_EEEEZNS1_11reduce_implILb1ES3_NS6_12zip_iteratorINS7_INS6_11hip_rocprim26transform_input_iterator_tIbNSD_35transform_pair_of_input_iterators_tIbNS6_6detail15normal_iteratorINS6_10device_ptrIKsEEEESL_NS6_8equal_toIsEEEENSG_9not_fun_tINSD_8identityEEEEENSD_19counting_iterator_tIlEES8_S8_S8_S8_S8_S8_S8_S8_EEEEPS9_S9_NSD_9__find_if7functorIS9_EEEE10hipError_tPvRmT1_T2_T3_mT4_P12ihipStream_tbEUlT_E1_NS1_11comp_targetILNS1_3genE5ELNS1_11target_archE942ELNS1_3gpuE9ELNS1_3repE0EEENS1_30default_config_static_selectorELNS0_4arch9wavefront6targetE1EEEvS14_
                                        ; -- End function
	.section	.AMDGPU.csdata,"",@progbits
; Kernel info:
; codeLenInByte = 19896
; NumSgprs: 62
; NumVgprs: 52
; NumAgprs: 0
; TotalNumVgprs: 52
; ScratchSize: 0
; MemoryBound: 0
; FloatMode: 240
; IeeeMode: 1
; LDSByteSize: 384 bytes/workgroup (compile time only)
; SGPRBlocks: 7
; VGPRBlocks: 6
; NumSGPRsForWavesPerEU: 62
; NumVGPRsForWavesPerEU: 52
; AccumOffset: 52
; Occupancy: 8
; WaveLimiterHint : 0
; COMPUTE_PGM_RSRC2:SCRATCH_EN: 0
; COMPUTE_PGM_RSRC2:USER_SGPR: 2
; COMPUTE_PGM_RSRC2:TRAP_HANDLER: 0
; COMPUTE_PGM_RSRC2:TGID_X_EN: 1
; COMPUTE_PGM_RSRC2:TGID_Y_EN: 0
; COMPUTE_PGM_RSRC2:TGID_Z_EN: 0
; COMPUTE_PGM_RSRC2:TIDIG_COMP_CNT: 0
; COMPUTE_PGM_RSRC3_GFX90A:ACCUM_OFFSET: 12
; COMPUTE_PGM_RSRC3_GFX90A:TG_SPLIT: 0
	.section	.text._ZN7rocprim17ROCPRIM_400000_NS6detail17trampoline_kernelINS0_14default_configENS1_22reduce_config_selectorIN6thrust23THRUST_200600_302600_NS5tupleIblNS6_9null_typeES8_S8_S8_S8_S8_S8_S8_EEEEZNS1_11reduce_implILb1ES3_NS6_12zip_iteratorINS7_INS6_11hip_rocprim26transform_input_iterator_tIbNSD_35transform_pair_of_input_iterators_tIbNS6_6detail15normal_iteratorINS6_10device_ptrIKsEEEESL_NS6_8equal_toIsEEEENSG_9not_fun_tINSD_8identityEEEEENSD_19counting_iterator_tIlEES8_S8_S8_S8_S8_S8_S8_S8_EEEEPS9_S9_NSD_9__find_if7functorIS9_EEEE10hipError_tPvRmT1_T2_T3_mT4_P12ihipStream_tbEUlT_E1_NS1_11comp_targetILNS1_3genE4ELNS1_11target_archE910ELNS1_3gpuE8ELNS1_3repE0EEENS1_30default_config_static_selectorELNS0_4arch9wavefront6targetE1EEEvS14_,"axG",@progbits,_ZN7rocprim17ROCPRIM_400000_NS6detail17trampoline_kernelINS0_14default_configENS1_22reduce_config_selectorIN6thrust23THRUST_200600_302600_NS5tupleIblNS6_9null_typeES8_S8_S8_S8_S8_S8_S8_EEEEZNS1_11reduce_implILb1ES3_NS6_12zip_iteratorINS7_INS6_11hip_rocprim26transform_input_iterator_tIbNSD_35transform_pair_of_input_iterators_tIbNS6_6detail15normal_iteratorINS6_10device_ptrIKsEEEESL_NS6_8equal_toIsEEEENSG_9not_fun_tINSD_8identityEEEEENSD_19counting_iterator_tIlEES8_S8_S8_S8_S8_S8_S8_S8_EEEEPS9_S9_NSD_9__find_if7functorIS9_EEEE10hipError_tPvRmT1_T2_T3_mT4_P12ihipStream_tbEUlT_E1_NS1_11comp_targetILNS1_3genE4ELNS1_11target_archE910ELNS1_3gpuE8ELNS1_3repE0EEENS1_30default_config_static_selectorELNS0_4arch9wavefront6targetE1EEEvS14_,comdat
	.protected	_ZN7rocprim17ROCPRIM_400000_NS6detail17trampoline_kernelINS0_14default_configENS1_22reduce_config_selectorIN6thrust23THRUST_200600_302600_NS5tupleIblNS6_9null_typeES8_S8_S8_S8_S8_S8_S8_EEEEZNS1_11reduce_implILb1ES3_NS6_12zip_iteratorINS7_INS6_11hip_rocprim26transform_input_iterator_tIbNSD_35transform_pair_of_input_iterators_tIbNS6_6detail15normal_iteratorINS6_10device_ptrIKsEEEESL_NS6_8equal_toIsEEEENSG_9not_fun_tINSD_8identityEEEEENSD_19counting_iterator_tIlEES8_S8_S8_S8_S8_S8_S8_S8_EEEEPS9_S9_NSD_9__find_if7functorIS9_EEEE10hipError_tPvRmT1_T2_T3_mT4_P12ihipStream_tbEUlT_E1_NS1_11comp_targetILNS1_3genE4ELNS1_11target_archE910ELNS1_3gpuE8ELNS1_3repE0EEENS1_30default_config_static_selectorELNS0_4arch9wavefront6targetE1EEEvS14_ ; -- Begin function _ZN7rocprim17ROCPRIM_400000_NS6detail17trampoline_kernelINS0_14default_configENS1_22reduce_config_selectorIN6thrust23THRUST_200600_302600_NS5tupleIblNS6_9null_typeES8_S8_S8_S8_S8_S8_S8_EEEEZNS1_11reduce_implILb1ES3_NS6_12zip_iteratorINS7_INS6_11hip_rocprim26transform_input_iterator_tIbNSD_35transform_pair_of_input_iterators_tIbNS6_6detail15normal_iteratorINS6_10device_ptrIKsEEEESL_NS6_8equal_toIsEEEENSG_9not_fun_tINSD_8identityEEEEENSD_19counting_iterator_tIlEES8_S8_S8_S8_S8_S8_S8_S8_EEEEPS9_S9_NSD_9__find_if7functorIS9_EEEE10hipError_tPvRmT1_T2_T3_mT4_P12ihipStream_tbEUlT_E1_NS1_11comp_targetILNS1_3genE4ELNS1_11target_archE910ELNS1_3gpuE8ELNS1_3repE0EEENS1_30default_config_static_selectorELNS0_4arch9wavefront6targetE1EEEvS14_
	.globl	_ZN7rocprim17ROCPRIM_400000_NS6detail17trampoline_kernelINS0_14default_configENS1_22reduce_config_selectorIN6thrust23THRUST_200600_302600_NS5tupleIblNS6_9null_typeES8_S8_S8_S8_S8_S8_S8_EEEEZNS1_11reduce_implILb1ES3_NS6_12zip_iteratorINS7_INS6_11hip_rocprim26transform_input_iterator_tIbNSD_35transform_pair_of_input_iterators_tIbNS6_6detail15normal_iteratorINS6_10device_ptrIKsEEEESL_NS6_8equal_toIsEEEENSG_9not_fun_tINSD_8identityEEEEENSD_19counting_iterator_tIlEES8_S8_S8_S8_S8_S8_S8_S8_EEEEPS9_S9_NSD_9__find_if7functorIS9_EEEE10hipError_tPvRmT1_T2_T3_mT4_P12ihipStream_tbEUlT_E1_NS1_11comp_targetILNS1_3genE4ELNS1_11target_archE910ELNS1_3gpuE8ELNS1_3repE0EEENS1_30default_config_static_selectorELNS0_4arch9wavefront6targetE1EEEvS14_
	.p2align	8
	.type	_ZN7rocprim17ROCPRIM_400000_NS6detail17trampoline_kernelINS0_14default_configENS1_22reduce_config_selectorIN6thrust23THRUST_200600_302600_NS5tupleIblNS6_9null_typeES8_S8_S8_S8_S8_S8_S8_EEEEZNS1_11reduce_implILb1ES3_NS6_12zip_iteratorINS7_INS6_11hip_rocprim26transform_input_iterator_tIbNSD_35transform_pair_of_input_iterators_tIbNS6_6detail15normal_iteratorINS6_10device_ptrIKsEEEESL_NS6_8equal_toIsEEEENSG_9not_fun_tINSD_8identityEEEEENSD_19counting_iterator_tIlEES8_S8_S8_S8_S8_S8_S8_S8_EEEEPS9_S9_NSD_9__find_if7functorIS9_EEEE10hipError_tPvRmT1_T2_T3_mT4_P12ihipStream_tbEUlT_E1_NS1_11comp_targetILNS1_3genE4ELNS1_11target_archE910ELNS1_3gpuE8ELNS1_3repE0EEENS1_30default_config_static_selectorELNS0_4arch9wavefront6targetE1EEEvS14_,@function
_ZN7rocprim17ROCPRIM_400000_NS6detail17trampoline_kernelINS0_14default_configENS1_22reduce_config_selectorIN6thrust23THRUST_200600_302600_NS5tupleIblNS6_9null_typeES8_S8_S8_S8_S8_S8_S8_EEEEZNS1_11reduce_implILb1ES3_NS6_12zip_iteratorINS7_INS6_11hip_rocprim26transform_input_iterator_tIbNSD_35transform_pair_of_input_iterators_tIbNS6_6detail15normal_iteratorINS6_10device_ptrIKsEEEESL_NS6_8equal_toIsEEEENSG_9not_fun_tINSD_8identityEEEEENSD_19counting_iterator_tIlEES8_S8_S8_S8_S8_S8_S8_S8_EEEEPS9_S9_NSD_9__find_if7functorIS9_EEEE10hipError_tPvRmT1_T2_T3_mT4_P12ihipStream_tbEUlT_E1_NS1_11comp_targetILNS1_3genE4ELNS1_11target_archE910ELNS1_3gpuE8ELNS1_3repE0EEENS1_30default_config_static_selectorELNS0_4arch9wavefront6targetE1EEEvS14_: ; @_ZN7rocprim17ROCPRIM_400000_NS6detail17trampoline_kernelINS0_14default_configENS1_22reduce_config_selectorIN6thrust23THRUST_200600_302600_NS5tupleIblNS6_9null_typeES8_S8_S8_S8_S8_S8_S8_EEEEZNS1_11reduce_implILb1ES3_NS6_12zip_iteratorINS7_INS6_11hip_rocprim26transform_input_iterator_tIbNSD_35transform_pair_of_input_iterators_tIbNS6_6detail15normal_iteratorINS6_10device_ptrIKsEEEESL_NS6_8equal_toIsEEEENSG_9not_fun_tINSD_8identityEEEEENSD_19counting_iterator_tIlEES8_S8_S8_S8_S8_S8_S8_S8_EEEEPS9_S9_NSD_9__find_if7functorIS9_EEEE10hipError_tPvRmT1_T2_T3_mT4_P12ihipStream_tbEUlT_E1_NS1_11comp_targetILNS1_3genE4ELNS1_11target_archE910ELNS1_3gpuE8ELNS1_3repE0EEENS1_30default_config_static_selectorELNS0_4arch9wavefront6targetE1EEEvS14_
; %bb.0:
	.section	.rodata,"a",@progbits
	.p2align	6, 0x0
	.amdhsa_kernel _ZN7rocprim17ROCPRIM_400000_NS6detail17trampoline_kernelINS0_14default_configENS1_22reduce_config_selectorIN6thrust23THRUST_200600_302600_NS5tupleIblNS6_9null_typeES8_S8_S8_S8_S8_S8_S8_EEEEZNS1_11reduce_implILb1ES3_NS6_12zip_iteratorINS7_INS6_11hip_rocprim26transform_input_iterator_tIbNSD_35transform_pair_of_input_iterators_tIbNS6_6detail15normal_iteratorINS6_10device_ptrIKsEEEESL_NS6_8equal_toIsEEEENSG_9not_fun_tINSD_8identityEEEEENSD_19counting_iterator_tIlEES8_S8_S8_S8_S8_S8_S8_S8_EEEEPS9_S9_NSD_9__find_if7functorIS9_EEEE10hipError_tPvRmT1_T2_T3_mT4_P12ihipStream_tbEUlT_E1_NS1_11comp_targetILNS1_3genE4ELNS1_11target_archE910ELNS1_3gpuE8ELNS1_3repE0EEENS1_30default_config_static_selectorELNS0_4arch9wavefront6targetE1EEEvS14_
		.amdhsa_group_segment_fixed_size 0
		.amdhsa_private_segment_fixed_size 0
		.amdhsa_kernarg_size 88
		.amdhsa_user_sgpr_count 2
		.amdhsa_user_sgpr_dispatch_ptr 0
		.amdhsa_user_sgpr_queue_ptr 0
		.amdhsa_user_sgpr_kernarg_segment_ptr 1
		.amdhsa_user_sgpr_dispatch_id 0
		.amdhsa_user_sgpr_kernarg_preload_length 0
		.amdhsa_user_sgpr_kernarg_preload_offset 0
		.amdhsa_user_sgpr_private_segment_size 0
		.amdhsa_uses_dynamic_stack 0
		.amdhsa_enable_private_segment 0
		.amdhsa_system_sgpr_workgroup_id_x 1
		.amdhsa_system_sgpr_workgroup_id_y 0
		.amdhsa_system_sgpr_workgroup_id_z 0
		.amdhsa_system_sgpr_workgroup_info 0
		.amdhsa_system_vgpr_workitem_id 0
		.amdhsa_next_free_vgpr 1
		.amdhsa_next_free_sgpr 0
		.amdhsa_accum_offset 4
		.amdhsa_reserve_vcc 0
		.amdhsa_float_round_mode_32 0
		.amdhsa_float_round_mode_16_64 0
		.amdhsa_float_denorm_mode_32 3
		.amdhsa_float_denorm_mode_16_64 3
		.amdhsa_dx10_clamp 1
		.amdhsa_ieee_mode 1
		.amdhsa_fp16_overflow 0
		.amdhsa_tg_split 0
		.amdhsa_exception_fp_ieee_invalid_op 0
		.amdhsa_exception_fp_denorm_src 0
		.amdhsa_exception_fp_ieee_div_zero 0
		.amdhsa_exception_fp_ieee_overflow 0
		.amdhsa_exception_fp_ieee_underflow 0
		.amdhsa_exception_fp_ieee_inexact 0
		.amdhsa_exception_int_div_zero 0
	.end_amdhsa_kernel
	.section	.text._ZN7rocprim17ROCPRIM_400000_NS6detail17trampoline_kernelINS0_14default_configENS1_22reduce_config_selectorIN6thrust23THRUST_200600_302600_NS5tupleIblNS6_9null_typeES8_S8_S8_S8_S8_S8_S8_EEEEZNS1_11reduce_implILb1ES3_NS6_12zip_iteratorINS7_INS6_11hip_rocprim26transform_input_iterator_tIbNSD_35transform_pair_of_input_iterators_tIbNS6_6detail15normal_iteratorINS6_10device_ptrIKsEEEESL_NS6_8equal_toIsEEEENSG_9not_fun_tINSD_8identityEEEEENSD_19counting_iterator_tIlEES8_S8_S8_S8_S8_S8_S8_S8_EEEEPS9_S9_NSD_9__find_if7functorIS9_EEEE10hipError_tPvRmT1_T2_T3_mT4_P12ihipStream_tbEUlT_E1_NS1_11comp_targetILNS1_3genE4ELNS1_11target_archE910ELNS1_3gpuE8ELNS1_3repE0EEENS1_30default_config_static_selectorELNS0_4arch9wavefront6targetE1EEEvS14_,"axG",@progbits,_ZN7rocprim17ROCPRIM_400000_NS6detail17trampoline_kernelINS0_14default_configENS1_22reduce_config_selectorIN6thrust23THRUST_200600_302600_NS5tupleIblNS6_9null_typeES8_S8_S8_S8_S8_S8_S8_EEEEZNS1_11reduce_implILb1ES3_NS6_12zip_iteratorINS7_INS6_11hip_rocprim26transform_input_iterator_tIbNSD_35transform_pair_of_input_iterators_tIbNS6_6detail15normal_iteratorINS6_10device_ptrIKsEEEESL_NS6_8equal_toIsEEEENSG_9not_fun_tINSD_8identityEEEEENSD_19counting_iterator_tIlEES8_S8_S8_S8_S8_S8_S8_S8_EEEEPS9_S9_NSD_9__find_if7functorIS9_EEEE10hipError_tPvRmT1_T2_T3_mT4_P12ihipStream_tbEUlT_E1_NS1_11comp_targetILNS1_3genE4ELNS1_11target_archE910ELNS1_3gpuE8ELNS1_3repE0EEENS1_30default_config_static_selectorELNS0_4arch9wavefront6targetE1EEEvS14_,comdat
.Lfunc_end183:
	.size	_ZN7rocprim17ROCPRIM_400000_NS6detail17trampoline_kernelINS0_14default_configENS1_22reduce_config_selectorIN6thrust23THRUST_200600_302600_NS5tupleIblNS6_9null_typeES8_S8_S8_S8_S8_S8_S8_EEEEZNS1_11reduce_implILb1ES3_NS6_12zip_iteratorINS7_INS6_11hip_rocprim26transform_input_iterator_tIbNSD_35transform_pair_of_input_iterators_tIbNS6_6detail15normal_iteratorINS6_10device_ptrIKsEEEESL_NS6_8equal_toIsEEEENSG_9not_fun_tINSD_8identityEEEEENSD_19counting_iterator_tIlEES8_S8_S8_S8_S8_S8_S8_S8_EEEEPS9_S9_NSD_9__find_if7functorIS9_EEEE10hipError_tPvRmT1_T2_T3_mT4_P12ihipStream_tbEUlT_E1_NS1_11comp_targetILNS1_3genE4ELNS1_11target_archE910ELNS1_3gpuE8ELNS1_3repE0EEENS1_30default_config_static_selectorELNS0_4arch9wavefront6targetE1EEEvS14_, .Lfunc_end183-_ZN7rocprim17ROCPRIM_400000_NS6detail17trampoline_kernelINS0_14default_configENS1_22reduce_config_selectorIN6thrust23THRUST_200600_302600_NS5tupleIblNS6_9null_typeES8_S8_S8_S8_S8_S8_S8_EEEEZNS1_11reduce_implILb1ES3_NS6_12zip_iteratorINS7_INS6_11hip_rocprim26transform_input_iterator_tIbNSD_35transform_pair_of_input_iterators_tIbNS6_6detail15normal_iteratorINS6_10device_ptrIKsEEEESL_NS6_8equal_toIsEEEENSG_9not_fun_tINSD_8identityEEEEENSD_19counting_iterator_tIlEES8_S8_S8_S8_S8_S8_S8_S8_EEEEPS9_S9_NSD_9__find_if7functorIS9_EEEE10hipError_tPvRmT1_T2_T3_mT4_P12ihipStream_tbEUlT_E1_NS1_11comp_targetILNS1_3genE4ELNS1_11target_archE910ELNS1_3gpuE8ELNS1_3repE0EEENS1_30default_config_static_selectorELNS0_4arch9wavefront6targetE1EEEvS14_
                                        ; -- End function
	.section	.AMDGPU.csdata,"",@progbits
; Kernel info:
; codeLenInByte = 0
; NumSgprs: 6
; NumVgprs: 0
; NumAgprs: 0
; TotalNumVgprs: 0
; ScratchSize: 0
; MemoryBound: 0
; FloatMode: 240
; IeeeMode: 1
; LDSByteSize: 0 bytes/workgroup (compile time only)
; SGPRBlocks: 0
; VGPRBlocks: 0
; NumSGPRsForWavesPerEU: 6
; NumVGPRsForWavesPerEU: 1
; AccumOffset: 4
; Occupancy: 8
; WaveLimiterHint : 0
; COMPUTE_PGM_RSRC2:SCRATCH_EN: 0
; COMPUTE_PGM_RSRC2:USER_SGPR: 2
; COMPUTE_PGM_RSRC2:TRAP_HANDLER: 0
; COMPUTE_PGM_RSRC2:TGID_X_EN: 1
; COMPUTE_PGM_RSRC2:TGID_Y_EN: 0
; COMPUTE_PGM_RSRC2:TGID_Z_EN: 0
; COMPUTE_PGM_RSRC2:TIDIG_COMP_CNT: 0
; COMPUTE_PGM_RSRC3_GFX90A:ACCUM_OFFSET: 0
; COMPUTE_PGM_RSRC3_GFX90A:TG_SPLIT: 0
	.section	.text._ZN7rocprim17ROCPRIM_400000_NS6detail17trampoline_kernelINS0_14default_configENS1_22reduce_config_selectorIN6thrust23THRUST_200600_302600_NS5tupleIblNS6_9null_typeES8_S8_S8_S8_S8_S8_S8_EEEEZNS1_11reduce_implILb1ES3_NS6_12zip_iteratorINS7_INS6_11hip_rocprim26transform_input_iterator_tIbNSD_35transform_pair_of_input_iterators_tIbNS6_6detail15normal_iteratorINS6_10device_ptrIKsEEEESL_NS6_8equal_toIsEEEENSG_9not_fun_tINSD_8identityEEEEENSD_19counting_iterator_tIlEES8_S8_S8_S8_S8_S8_S8_S8_EEEEPS9_S9_NSD_9__find_if7functorIS9_EEEE10hipError_tPvRmT1_T2_T3_mT4_P12ihipStream_tbEUlT_E1_NS1_11comp_targetILNS1_3genE3ELNS1_11target_archE908ELNS1_3gpuE7ELNS1_3repE0EEENS1_30default_config_static_selectorELNS0_4arch9wavefront6targetE1EEEvS14_,"axG",@progbits,_ZN7rocprim17ROCPRIM_400000_NS6detail17trampoline_kernelINS0_14default_configENS1_22reduce_config_selectorIN6thrust23THRUST_200600_302600_NS5tupleIblNS6_9null_typeES8_S8_S8_S8_S8_S8_S8_EEEEZNS1_11reduce_implILb1ES3_NS6_12zip_iteratorINS7_INS6_11hip_rocprim26transform_input_iterator_tIbNSD_35transform_pair_of_input_iterators_tIbNS6_6detail15normal_iteratorINS6_10device_ptrIKsEEEESL_NS6_8equal_toIsEEEENSG_9not_fun_tINSD_8identityEEEEENSD_19counting_iterator_tIlEES8_S8_S8_S8_S8_S8_S8_S8_EEEEPS9_S9_NSD_9__find_if7functorIS9_EEEE10hipError_tPvRmT1_T2_T3_mT4_P12ihipStream_tbEUlT_E1_NS1_11comp_targetILNS1_3genE3ELNS1_11target_archE908ELNS1_3gpuE7ELNS1_3repE0EEENS1_30default_config_static_selectorELNS0_4arch9wavefront6targetE1EEEvS14_,comdat
	.protected	_ZN7rocprim17ROCPRIM_400000_NS6detail17trampoline_kernelINS0_14default_configENS1_22reduce_config_selectorIN6thrust23THRUST_200600_302600_NS5tupleIblNS6_9null_typeES8_S8_S8_S8_S8_S8_S8_EEEEZNS1_11reduce_implILb1ES3_NS6_12zip_iteratorINS7_INS6_11hip_rocprim26transform_input_iterator_tIbNSD_35transform_pair_of_input_iterators_tIbNS6_6detail15normal_iteratorINS6_10device_ptrIKsEEEESL_NS6_8equal_toIsEEEENSG_9not_fun_tINSD_8identityEEEEENSD_19counting_iterator_tIlEES8_S8_S8_S8_S8_S8_S8_S8_EEEEPS9_S9_NSD_9__find_if7functorIS9_EEEE10hipError_tPvRmT1_T2_T3_mT4_P12ihipStream_tbEUlT_E1_NS1_11comp_targetILNS1_3genE3ELNS1_11target_archE908ELNS1_3gpuE7ELNS1_3repE0EEENS1_30default_config_static_selectorELNS0_4arch9wavefront6targetE1EEEvS14_ ; -- Begin function _ZN7rocprim17ROCPRIM_400000_NS6detail17trampoline_kernelINS0_14default_configENS1_22reduce_config_selectorIN6thrust23THRUST_200600_302600_NS5tupleIblNS6_9null_typeES8_S8_S8_S8_S8_S8_S8_EEEEZNS1_11reduce_implILb1ES3_NS6_12zip_iteratorINS7_INS6_11hip_rocprim26transform_input_iterator_tIbNSD_35transform_pair_of_input_iterators_tIbNS6_6detail15normal_iteratorINS6_10device_ptrIKsEEEESL_NS6_8equal_toIsEEEENSG_9not_fun_tINSD_8identityEEEEENSD_19counting_iterator_tIlEES8_S8_S8_S8_S8_S8_S8_S8_EEEEPS9_S9_NSD_9__find_if7functorIS9_EEEE10hipError_tPvRmT1_T2_T3_mT4_P12ihipStream_tbEUlT_E1_NS1_11comp_targetILNS1_3genE3ELNS1_11target_archE908ELNS1_3gpuE7ELNS1_3repE0EEENS1_30default_config_static_selectorELNS0_4arch9wavefront6targetE1EEEvS14_
	.globl	_ZN7rocprim17ROCPRIM_400000_NS6detail17trampoline_kernelINS0_14default_configENS1_22reduce_config_selectorIN6thrust23THRUST_200600_302600_NS5tupleIblNS6_9null_typeES8_S8_S8_S8_S8_S8_S8_EEEEZNS1_11reduce_implILb1ES3_NS6_12zip_iteratorINS7_INS6_11hip_rocprim26transform_input_iterator_tIbNSD_35transform_pair_of_input_iterators_tIbNS6_6detail15normal_iteratorINS6_10device_ptrIKsEEEESL_NS6_8equal_toIsEEEENSG_9not_fun_tINSD_8identityEEEEENSD_19counting_iterator_tIlEES8_S8_S8_S8_S8_S8_S8_S8_EEEEPS9_S9_NSD_9__find_if7functorIS9_EEEE10hipError_tPvRmT1_T2_T3_mT4_P12ihipStream_tbEUlT_E1_NS1_11comp_targetILNS1_3genE3ELNS1_11target_archE908ELNS1_3gpuE7ELNS1_3repE0EEENS1_30default_config_static_selectorELNS0_4arch9wavefront6targetE1EEEvS14_
	.p2align	8
	.type	_ZN7rocprim17ROCPRIM_400000_NS6detail17trampoline_kernelINS0_14default_configENS1_22reduce_config_selectorIN6thrust23THRUST_200600_302600_NS5tupleIblNS6_9null_typeES8_S8_S8_S8_S8_S8_S8_EEEEZNS1_11reduce_implILb1ES3_NS6_12zip_iteratorINS7_INS6_11hip_rocprim26transform_input_iterator_tIbNSD_35transform_pair_of_input_iterators_tIbNS6_6detail15normal_iteratorINS6_10device_ptrIKsEEEESL_NS6_8equal_toIsEEEENSG_9not_fun_tINSD_8identityEEEEENSD_19counting_iterator_tIlEES8_S8_S8_S8_S8_S8_S8_S8_EEEEPS9_S9_NSD_9__find_if7functorIS9_EEEE10hipError_tPvRmT1_T2_T3_mT4_P12ihipStream_tbEUlT_E1_NS1_11comp_targetILNS1_3genE3ELNS1_11target_archE908ELNS1_3gpuE7ELNS1_3repE0EEENS1_30default_config_static_selectorELNS0_4arch9wavefront6targetE1EEEvS14_,@function
_ZN7rocprim17ROCPRIM_400000_NS6detail17trampoline_kernelINS0_14default_configENS1_22reduce_config_selectorIN6thrust23THRUST_200600_302600_NS5tupleIblNS6_9null_typeES8_S8_S8_S8_S8_S8_S8_EEEEZNS1_11reduce_implILb1ES3_NS6_12zip_iteratorINS7_INS6_11hip_rocprim26transform_input_iterator_tIbNSD_35transform_pair_of_input_iterators_tIbNS6_6detail15normal_iteratorINS6_10device_ptrIKsEEEESL_NS6_8equal_toIsEEEENSG_9not_fun_tINSD_8identityEEEEENSD_19counting_iterator_tIlEES8_S8_S8_S8_S8_S8_S8_S8_EEEEPS9_S9_NSD_9__find_if7functorIS9_EEEE10hipError_tPvRmT1_T2_T3_mT4_P12ihipStream_tbEUlT_E1_NS1_11comp_targetILNS1_3genE3ELNS1_11target_archE908ELNS1_3gpuE7ELNS1_3repE0EEENS1_30default_config_static_selectorELNS0_4arch9wavefront6targetE1EEEvS14_: ; @_ZN7rocprim17ROCPRIM_400000_NS6detail17trampoline_kernelINS0_14default_configENS1_22reduce_config_selectorIN6thrust23THRUST_200600_302600_NS5tupleIblNS6_9null_typeES8_S8_S8_S8_S8_S8_S8_EEEEZNS1_11reduce_implILb1ES3_NS6_12zip_iteratorINS7_INS6_11hip_rocprim26transform_input_iterator_tIbNSD_35transform_pair_of_input_iterators_tIbNS6_6detail15normal_iteratorINS6_10device_ptrIKsEEEESL_NS6_8equal_toIsEEEENSG_9not_fun_tINSD_8identityEEEEENSD_19counting_iterator_tIlEES8_S8_S8_S8_S8_S8_S8_S8_EEEEPS9_S9_NSD_9__find_if7functorIS9_EEEE10hipError_tPvRmT1_T2_T3_mT4_P12ihipStream_tbEUlT_E1_NS1_11comp_targetILNS1_3genE3ELNS1_11target_archE908ELNS1_3gpuE7ELNS1_3repE0EEENS1_30default_config_static_selectorELNS0_4arch9wavefront6targetE1EEEvS14_
; %bb.0:
	.section	.rodata,"a",@progbits
	.p2align	6, 0x0
	.amdhsa_kernel _ZN7rocprim17ROCPRIM_400000_NS6detail17trampoline_kernelINS0_14default_configENS1_22reduce_config_selectorIN6thrust23THRUST_200600_302600_NS5tupleIblNS6_9null_typeES8_S8_S8_S8_S8_S8_S8_EEEEZNS1_11reduce_implILb1ES3_NS6_12zip_iteratorINS7_INS6_11hip_rocprim26transform_input_iterator_tIbNSD_35transform_pair_of_input_iterators_tIbNS6_6detail15normal_iteratorINS6_10device_ptrIKsEEEESL_NS6_8equal_toIsEEEENSG_9not_fun_tINSD_8identityEEEEENSD_19counting_iterator_tIlEES8_S8_S8_S8_S8_S8_S8_S8_EEEEPS9_S9_NSD_9__find_if7functorIS9_EEEE10hipError_tPvRmT1_T2_T3_mT4_P12ihipStream_tbEUlT_E1_NS1_11comp_targetILNS1_3genE3ELNS1_11target_archE908ELNS1_3gpuE7ELNS1_3repE0EEENS1_30default_config_static_selectorELNS0_4arch9wavefront6targetE1EEEvS14_
		.amdhsa_group_segment_fixed_size 0
		.amdhsa_private_segment_fixed_size 0
		.amdhsa_kernarg_size 88
		.amdhsa_user_sgpr_count 2
		.amdhsa_user_sgpr_dispatch_ptr 0
		.amdhsa_user_sgpr_queue_ptr 0
		.amdhsa_user_sgpr_kernarg_segment_ptr 1
		.amdhsa_user_sgpr_dispatch_id 0
		.amdhsa_user_sgpr_kernarg_preload_length 0
		.amdhsa_user_sgpr_kernarg_preload_offset 0
		.amdhsa_user_sgpr_private_segment_size 0
		.amdhsa_uses_dynamic_stack 0
		.amdhsa_enable_private_segment 0
		.amdhsa_system_sgpr_workgroup_id_x 1
		.amdhsa_system_sgpr_workgroup_id_y 0
		.amdhsa_system_sgpr_workgroup_id_z 0
		.amdhsa_system_sgpr_workgroup_info 0
		.amdhsa_system_vgpr_workitem_id 0
		.amdhsa_next_free_vgpr 1
		.amdhsa_next_free_sgpr 0
		.amdhsa_accum_offset 4
		.amdhsa_reserve_vcc 0
		.amdhsa_float_round_mode_32 0
		.amdhsa_float_round_mode_16_64 0
		.amdhsa_float_denorm_mode_32 3
		.amdhsa_float_denorm_mode_16_64 3
		.amdhsa_dx10_clamp 1
		.amdhsa_ieee_mode 1
		.amdhsa_fp16_overflow 0
		.amdhsa_tg_split 0
		.amdhsa_exception_fp_ieee_invalid_op 0
		.amdhsa_exception_fp_denorm_src 0
		.amdhsa_exception_fp_ieee_div_zero 0
		.amdhsa_exception_fp_ieee_overflow 0
		.amdhsa_exception_fp_ieee_underflow 0
		.amdhsa_exception_fp_ieee_inexact 0
		.amdhsa_exception_int_div_zero 0
	.end_amdhsa_kernel
	.section	.text._ZN7rocprim17ROCPRIM_400000_NS6detail17trampoline_kernelINS0_14default_configENS1_22reduce_config_selectorIN6thrust23THRUST_200600_302600_NS5tupleIblNS6_9null_typeES8_S8_S8_S8_S8_S8_S8_EEEEZNS1_11reduce_implILb1ES3_NS6_12zip_iteratorINS7_INS6_11hip_rocprim26transform_input_iterator_tIbNSD_35transform_pair_of_input_iterators_tIbNS6_6detail15normal_iteratorINS6_10device_ptrIKsEEEESL_NS6_8equal_toIsEEEENSG_9not_fun_tINSD_8identityEEEEENSD_19counting_iterator_tIlEES8_S8_S8_S8_S8_S8_S8_S8_EEEEPS9_S9_NSD_9__find_if7functorIS9_EEEE10hipError_tPvRmT1_T2_T3_mT4_P12ihipStream_tbEUlT_E1_NS1_11comp_targetILNS1_3genE3ELNS1_11target_archE908ELNS1_3gpuE7ELNS1_3repE0EEENS1_30default_config_static_selectorELNS0_4arch9wavefront6targetE1EEEvS14_,"axG",@progbits,_ZN7rocprim17ROCPRIM_400000_NS6detail17trampoline_kernelINS0_14default_configENS1_22reduce_config_selectorIN6thrust23THRUST_200600_302600_NS5tupleIblNS6_9null_typeES8_S8_S8_S8_S8_S8_S8_EEEEZNS1_11reduce_implILb1ES3_NS6_12zip_iteratorINS7_INS6_11hip_rocprim26transform_input_iterator_tIbNSD_35transform_pair_of_input_iterators_tIbNS6_6detail15normal_iteratorINS6_10device_ptrIKsEEEESL_NS6_8equal_toIsEEEENSG_9not_fun_tINSD_8identityEEEEENSD_19counting_iterator_tIlEES8_S8_S8_S8_S8_S8_S8_S8_EEEEPS9_S9_NSD_9__find_if7functorIS9_EEEE10hipError_tPvRmT1_T2_T3_mT4_P12ihipStream_tbEUlT_E1_NS1_11comp_targetILNS1_3genE3ELNS1_11target_archE908ELNS1_3gpuE7ELNS1_3repE0EEENS1_30default_config_static_selectorELNS0_4arch9wavefront6targetE1EEEvS14_,comdat
.Lfunc_end184:
	.size	_ZN7rocprim17ROCPRIM_400000_NS6detail17trampoline_kernelINS0_14default_configENS1_22reduce_config_selectorIN6thrust23THRUST_200600_302600_NS5tupleIblNS6_9null_typeES8_S8_S8_S8_S8_S8_S8_EEEEZNS1_11reduce_implILb1ES3_NS6_12zip_iteratorINS7_INS6_11hip_rocprim26transform_input_iterator_tIbNSD_35transform_pair_of_input_iterators_tIbNS6_6detail15normal_iteratorINS6_10device_ptrIKsEEEESL_NS6_8equal_toIsEEEENSG_9not_fun_tINSD_8identityEEEEENSD_19counting_iterator_tIlEES8_S8_S8_S8_S8_S8_S8_S8_EEEEPS9_S9_NSD_9__find_if7functorIS9_EEEE10hipError_tPvRmT1_T2_T3_mT4_P12ihipStream_tbEUlT_E1_NS1_11comp_targetILNS1_3genE3ELNS1_11target_archE908ELNS1_3gpuE7ELNS1_3repE0EEENS1_30default_config_static_selectorELNS0_4arch9wavefront6targetE1EEEvS14_, .Lfunc_end184-_ZN7rocprim17ROCPRIM_400000_NS6detail17trampoline_kernelINS0_14default_configENS1_22reduce_config_selectorIN6thrust23THRUST_200600_302600_NS5tupleIblNS6_9null_typeES8_S8_S8_S8_S8_S8_S8_EEEEZNS1_11reduce_implILb1ES3_NS6_12zip_iteratorINS7_INS6_11hip_rocprim26transform_input_iterator_tIbNSD_35transform_pair_of_input_iterators_tIbNS6_6detail15normal_iteratorINS6_10device_ptrIKsEEEESL_NS6_8equal_toIsEEEENSG_9not_fun_tINSD_8identityEEEEENSD_19counting_iterator_tIlEES8_S8_S8_S8_S8_S8_S8_S8_EEEEPS9_S9_NSD_9__find_if7functorIS9_EEEE10hipError_tPvRmT1_T2_T3_mT4_P12ihipStream_tbEUlT_E1_NS1_11comp_targetILNS1_3genE3ELNS1_11target_archE908ELNS1_3gpuE7ELNS1_3repE0EEENS1_30default_config_static_selectorELNS0_4arch9wavefront6targetE1EEEvS14_
                                        ; -- End function
	.section	.AMDGPU.csdata,"",@progbits
; Kernel info:
; codeLenInByte = 0
; NumSgprs: 6
; NumVgprs: 0
; NumAgprs: 0
; TotalNumVgprs: 0
; ScratchSize: 0
; MemoryBound: 0
; FloatMode: 240
; IeeeMode: 1
; LDSByteSize: 0 bytes/workgroup (compile time only)
; SGPRBlocks: 0
; VGPRBlocks: 0
; NumSGPRsForWavesPerEU: 6
; NumVGPRsForWavesPerEU: 1
; AccumOffset: 4
; Occupancy: 8
; WaveLimiterHint : 0
; COMPUTE_PGM_RSRC2:SCRATCH_EN: 0
; COMPUTE_PGM_RSRC2:USER_SGPR: 2
; COMPUTE_PGM_RSRC2:TRAP_HANDLER: 0
; COMPUTE_PGM_RSRC2:TGID_X_EN: 1
; COMPUTE_PGM_RSRC2:TGID_Y_EN: 0
; COMPUTE_PGM_RSRC2:TGID_Z_EN: 0
; COMPUTE_PGM_RSRC2:TIDIG_COMP_CNT: 0
; COMPUTE_PGM_RSRC3_GFX90A:ACCUM_OFFSET: 0
; COMPUTE_PGM_RSRC3_GFX90A:TG_SPLIT: 0
	.section	.text._ZN7rocprim17ROCPRIM_400000_NS6detail17trampoline_kernelINS0_14default_configENS1_22reduce_config_selectorIN6thrust23THRUST_200600_302600_NS5tupleIblNS6_9null_typeES8_S8_S8_S8_S8_S8_S8_EEEEZNS1_11reduce_implILb1ES3_NS6_12zip_iteratorINS7_INS6_11hip_rocprim26transform_input_iterator_tIbNSD_35transform_pair_of_input_iterators_tIbNS6_6detail15normal_iteratorINS6_10device_ptrIKsEEEESL_NS6_8equal_toIsEEEENSG_9not_fun_tINSD_8identityEEEEENSD_19counting_iterator_tIlEES8_S8_S8_S8_S8_S8_S8_S8_EEEEPS9_S9_NSD_9__find_if7functorIS9_EEEE10hipError_tPvRmT1_T2_T3_mT4_P12ihipStream_tbEUlT_E1_NS1_11comp_targetILNS1_3genE2ELNS1_11target_archE906ELNS1_3gpuE6ELNS1_3repE0EEENS1_30default_config_static_selectorELNS0_4arch9wavefront6targetE1EEEvS14_,"axG",@progbits,_ZN7rocprim17ROCPRIM_400000_NS6detail17trampoline_kernelINS0_14default_configENS1_22reduce_config_selectorIN6thrust23THRUST_200600_302600_NS5tupleIblNS6_9null_typeES8_S8_S8_S8_S8_S8_S8_EEEEZNS1_11reduce_implILb1ES3_NS6_12zip_iteratorINS7_INS6_11hip_rocprim26transform_input_iterator_tIbNSD_35transform_pair_of_input_iterators_tIbNS6_6detail15normal_iteratorINS6_10device_ptrIKsEEEESL_NS6_8equal_toIsEEEENSG_9not_fun_tINSD_8identityEEEEENSD_19counting_iterator_tIlEES8_S8_S8_S8_S8_S8_S8_S8_EEEEPS9_S9_NSD_9__find_if7functorIS9_EEEE10hipError_tPvRmT1_T2_T3_mT4_P12ihipStream_tbEUlT_E1_NS1_11comp_targetILNS1_3genE2ELNS1_11target_archE906ELNS1_3gpuE6ELNS1_3repE0EEENS1_30default_config_static_selectorELNS0_4arch9wavefront6targetE1EEEvS14_,comdat
	.protected	_ZN7rocprim17ROCPRIM_400000_NS6detail17trampoline_kernelINS0_14default_configENS1_22reduce_config_selectorIN6thrust23THRUST_200600_302600_NS5tupleIblNS6_9null_typeES8_S8_S8_S8_S8_S8_S8_EEEEZNS1_11reduce_implILb1ES3_NS6_12zip_iteratorINS7_INS6_11hip_rocprim26transform_input_iterator_tIbNSD_35transform_pair_of_input_iterators_tIbNS6_6detail15normal_iteratorINS6_10device_ptrIKsEEEESL_NS6_8equal_toIsEEEENSG_9not_fun_tINSD_8identityEEEEENSD_19counting_iterator_tIlEES8_S8_S8_S8_S8_S8_S8_S8_EEEEPS9_S9_NSD_9__find_if7functorIS9_EEEE10hipError_tPvRmT1_T2_T3_mT4_P12ihipStream_tbEUlT_E1_NS1_11comp_targetILNS1_3genE2ELNS1_11target_archE906ELNS1_3gpuE6ELNS1_3repE0EEENS1_30default_config_static_selectorELNS0_4arch9wavefront6targetE1EEEvS14_ ; -- Begin function _ZN7rocprim17ROCPRIM_400000_NS6detail17trampoline_kernelINS0_14default_configENS1_22reduce_config_selectorIN6thrust23THRUST_200600_302600_NS5tupleIblNS6_9null_typeES8_S8_S8_S8_S8_S8_S8_EEEEZNS1_11reduce_implILb1ES3_NS6_12zip_iteratorINS7_INS6_11hip_rocprim26transform_input_iterator_tIbNSD_35transform_pair_of_input_iterators_tIbNS6_6detail15normal_iteratorINS6_10device_ptrIKsEEEESL_NS6_8equal_toIsEEEENSG_9not_fun_tINSD_8identityEEEEENSD_19counting_iterator_tIlEES8_S8_S8_S8_S8_S8_S8_S8_EEEEPS9_S9_NSD_9__find_if7functorIS9_EEEE10hipError_tPvRmT1_T2_T3_mT4_P12ihipStream_tbEUlT_E1_NS1_11comp_targetILNS1_3genE2ELNS1_11target_archE906ELNS1_3gpuE6ELNS1_3repE0EEENS1_30default_config_static_selectorELNS0_4arch9wavefront6targetE1EEEvS14_
	.globl	_ZN7rocprim17ROCPRIM_400000_NS6detail17trampoline_kernelINS0_14default_configENS1_22reduce_config_selectorIN6thrust23THRUST_200600_302600_NS5tupleIblNS6_9null_typeES8_S8_S8_S8_S8_S8_S8_EEEEZNS1_11reduce_implILb1ES3_NS6_12zip_iteratorINS7_INS6_11hip_rocprim26transform_input_iterator_tIbNSD_35transform_pair_of_input_iterators_tIbNS6_6detail15normal_iteratorINS6_10device_ptrIKsEEEESL_NS6_8equal_toIsEEEENSG_9not_fun_tINSD_8identityEEEEENSD_19counting_iterator_tIlEES8_S8_S8_S8_S8_S8_S8_S8_EEEEPS9_S9_NSD_9__find_if7functorIS9_EEEE10hipError_tPvRmT1_T2_T3_mT4_P12ihipStream_tbEUlT_E1_NS1_11comp_targetILNS1_3genE2ELNS1_11target_archE906ELNS1_3gpuE6ELNS1_3repE0EEENS1_30default_config_static_selectorELNS0_4arch9wavefront6targetE1EEEvS14_
	.p2align	8
	.type	_ZN7rocprim17ROCPRIM_400000_NS6detail17trampoline_kernelINS0_14default_configENS1_22reduce_config_selectorIN6thrust23THRUST_200600_302600_NS5tupleIblNS6_9null_typeES8_S8_S8_S8_S8_S8_S8_EEEEZNS1_11reduce_implILb1ES3_NS6_12zip_iteratorINS7_INS6_11hip_rocprim26transform_input_iterator_tIbNSD_35transform_pair_of_input_iterators_tIbNS6_6detail15normal_iteratorINS6_10device_ptrIKsEEEESL_NS6_8equal_toIsEEEENSG_9not_fun_tINSD_8identityEEEEENSD_19counting_iterator_tIlEES8_S8_S8_S8_S8_S8_S8_S8_EEEEPS9_S9_NSD_9__find_if7functorIS9_EEEE10hipError_tPvRmT1_T2_T3_mT4_P12ihipStream_tbEUlT_E1_NS1_11comp_targetILNS1_3genE2ELNS1_11target_archE906ELNS1_3gpuE6ELNS1_3repE0EEENS1_30default_config_static_selectorELNS0_4arch9wavefront6targetE1EEEvS14_,@function
_ZN7rocprim17ROCPRIM_400000_NS6detail17trampoline_kernelINS0_14default_configENS1_22reduce_config_selectorIN6thrust23THRUST_200600_302600_NS5tupleIblNS6_9null_typeES8_S8_S8_S8_S8_S8_S8_EEEEZNS1_11reduce_implILb1ES3_NS6_12zip_iteratorINS7_INS6_11hip_rocprim26transform_input_iterator_tIbNSD_35transform_pair_of_input_iterators_tIbNS6_6detail15normal_iteratorINS6_10device_ptrIKsEEEESL_NS6_8equal_toIsEEEENSG_9not_fun_tINSD_8identityEEEEENSD_19counting_iterator_tIlEES8_S8_S8_S8_S8_S8_S8_S8_EEEEPS9_S9_NSD_9__find_if7functorIS9_EEEE10hipError_tPvRmT1_T2_T3_mT4_P12ihipStream_tbEUlT_E1_NS1_11comp_targetILNS1_3genE2ELNS1_11target_archE906ELNS1_3gpuE6ELNS1_3repE0EEENS1_30default_config_static_selectorELNS0_4arch9wavefront6targetE1EEEvS14_: ; @_ZN7rocprim17ROCPRIM_400000_NS6detail17trampoline_kernelINS0_14default_configENS1_22reduce_config_selectorIN6thrust23THRUST_200600_302600_NS5tupleIblNS6_9null_typeES8_S8_S8_S8_S8_S8_S8_EEEEZNS1_11reduce_implILb1ES3_NS6_12zip_iteratorINS7_INS6_11hip_rocprim26transform_input_iterator_tIbNSD_35transform_pair_of_input_iterators_tIbNS6_6detail15normal_iteratorINS6_10device_ptrIKsEEEESL_NS6_8equal_toIsEEEENSG_9not_fun_tINSD_8identityEEEEENSD_19counting_iterator_tIlEES8_S8_S8_S8_S8_S8_S8_S8_EEEEPS9_S9_NSD_9__find_if7functorIS9_EEEE10hipError_tPvRmT1_T2_T3_mT4_P12ihipStream_tbEUlT_E1_NS1_11comp_targetILNS1_3genE2ELNS1_11target_archE906ELNS1_3gpuE6ELNS1_3repE0EEENS1_30default_config_static_selectorELNS0_4arch9wavefront6targetE1EEEvS14_
; %bb.0:
	.section	.rodata,"a",@progbits
	.p2align	6, 0x0
	.amdhsa_kernel _ZN7rocprim17ROCPRIM_400000_NS6detail17trampoline_kernelINS0_14default_configENS1_22reduce_config_selectorIN6thrust23THRUST_200600_302600_NS5tupleIblNS6_9null_typeES8_S8_S8_S8_S8_S8_S8_EEEEZNS1_11reduce_implILb1ES3_NS6_12zip_iteratorINS7_INS6_11hip_rocprim26transform_input_iterator_tIbNSD_35transform_pair_of_input_iterators_tIbNS6_6detail15normal_iteratorINS6_10device_ptrIKsEEEESL_NS6_8equal_toIsEEEENSG_9not_fun_tINSD_8identityEEEEENSD_19counting_iterator_tIlEES8_S8_S8_S8_S8_S8_S8_S8_EEEEPS9_S9_NSD_9__find_if7functorIS9_EEEE10hipError_tPvRmT1_T2_T3_mT4_P12ihipStream_tbEUlT_E1_NS1_11comp_targetILNS1_3genE2ELNS1_11target_archE906ELNS1_3gpuE6ELNS1_3repE0EEENS1_30default_config_static_selectorELNS0_4arch9wavefront6targetE1EEEvS14_
		.amdhsa_group_segment_fixed_size 0
		.amdhsa_private_segment_fixed_size 0
		.amdhsa_kernarg_size 88
		.amdhsa_user_sgpr_count 2
		.amdhsa_user_sgpr_dispatch_ptr 0
		.amdhsa_user_sgpr_queue_ptr 0
		.amdhsa_user_sgpr_kernarg_segment_ptr 1
		.amdhsa_user_sgpr_dispatch_id 0
		.amdhsa_user_sgpr_kernarg_preload_length 0
		.amdhsa_user_sgpr_kernarg_preload_offset 0
		.amdhsa_user_sgpr_private_segment_size 0
		.amdhsa_uses_dynamic_stack 0
		.amdhsa_enable_private_segment 0
		.amdhsa_system_sgpr_workgroup_id_x 1
		.amdhsa_system_sgpr_workgroup_id_y 0
		.amdhsa_system_sgpr_workgroup_id_z 0
		.amdhsa_system_sgpr_workgroup_info 0
		.amdhsa_system_vgpr_workitem_id 0
		.amdhsa_next_free_vgpr 1
		.amdhsa_next_free_sgpr 0
		.amdhsa_accum_offset 4
		.amdhsa_reserve_vcc 0
		.amdhsa_float_round_mode_32 0
		.amdhsa_float_round_mode_16_64 0
		.amdhsa_float_denorm_mode_32 3
		.amdhsa_float_denorm_mode_16_64 3
		.amdhsa_dx10_clamp 1
		.amdhsa_ieee_mode 1
		.amdhsa_fp16_overflow 0
		.amdhsa_tg_split 0
		.amdhsa_exception_fp_ieee_invalid_op 0
		.amdhsa_exception_fp_denorm_src 0
		.amdhsa_exception_fp_ieee_div_zero 0
		.amdhsa_exception_fp_ieee_overflow 0
		.amdhsa_exception_fp_ieee_underflow 0
		.amdhsa_exception_fp_ieee_inexact 0
		.amdhsa_exception_int_div_zero 0
	.end_amdhsa_kernel
	.section	.text._ZN7rocprim17ROCPRIM_400000_NS6detail17trampoline_kernelINS0_14default_configENS1_22reduce_config_selectorIN6thrust23THRUST_200600_302600_NS5tupleIblNS6_9null_typeES8_S8_S8_S8_S8_S8_S8_EEEEZNS1_11reduce_implILb1ES3_NS6_12zip_iteratorINS7_INS6_11hip_rocprim26transform_input_iterator_tIbNSD_35transform_pair_of_input_iterators_tIbNS6_6detail15normal_iteratorINS6_10device_ptrIKsEEEESL_NS6_8equal_toIsEEEENSG_9not_fun_tINSD_8identityEEEEENSD_19counting_iterator_tIlEES8_S8_S8_S8_S8_S8_S8_S8_EEEEPS9_S9_NSD_9__find_if7functorIS9_EEEE10hipError_tPvRmT1_T2_T3_mT4_P12ihipStream_tbEUlT_E1_NS1_11comp_targetILNS1_3genE2ELNS1_11target_archE906ELNS1_3gpuE6ELNS1_3repE0EEENS1_30default_config_static_selectorELNS0_4arch9wavefront6targetE1EEEvS14_,"axG",@progbits,_ZN7rocprim17ROCPRIM_400000_NS6detail17trampoline_kernelINS0_14default_configENS1_22reduce_config_selectorIN6thrust23THRUST_200600_302600_NS5tupleIblNS6_9null_typeES8_S8_S8_S8_S8_S8_S8_EEEEZNS1_11reduce_implILb1ES3_NS6_12zip_iteratorINS7_INS6_11hip_rocprim26transform_input_iterator_tIbNSD_35transform_pair_of_input_iterators_tIbNS6_6detail15normal_iteratorINS6_10device_ptrIKsEEEESL_NS6_8equal_toIsEEEENSG_9not_fun_tINSD_8identityEEEEENSD_19counting_iterator_tIlEES8_S8_S8_S8_S8_S8_S8_S8_EEEEPS9_S9_NSD_9__find_if7functorIS9_EEEE10hipError_tPvRmT1_T2_T3_mT4_P12ihipStream_tbEUlT_E1_NS1_11comp_targetILNS1_3genE2ELNS1_11target_archE906ELNS1_3gpuE6ELNS1_3repE0EEENS1_30default_config_static_selectorELNS0_4arch9wavefront6targetE1EEEvS14_,comdat
.Lfunc_end185:
	.size	_ZN7rocprim17ROCPRIM_400000_NS6detail17trampoline_kernelINS0_14default_configENS1_22reduce_config_selectorIN6thrust23THRUST_200600_302600_NS5tupleIblNS6_9null_typeES8_S8_S8_S8_S8_S8_S8_EEEEZNS1_11reduce_implILb1ES3_NS6_12zip_iteratorINS7_INS6_11hip_rocprim26transform_input_iterator_tIbNSD_35transform_pair_of_input_iterators_tIbNS6_6detail15normal_iteratorINS6_10device_ptrIKsEEEESL_NS6_8equal_toIsEEEENSG_9not_fun_tINSD_8identityEEEEENSD_19counting_iterator_tIlEES8_S8_S8_S8_S8_S8_S8_S8_EEEEPS9_S9_NSD_9__find_if7functorIS9_EEEE10hipError_tPvRmT1_T2_T3_mT4_P12ihipStream_tbEUlT_E1_NS1_11comp_targetILNS1_3genE2ELNS1_11target_archE906ELNS1_3gpuE6ELNS1_3repE0EEENS1_30default_config_static_selectorELNS0_4arch9wavefront6targetE1EEEvS14_, .Lfunc_end185-_ZN7rocprim17ROCPRIM_400000_NS6detail17trampoline_kernelINS0_14default_configENS1_22reduce_config_selectorIN6thrust23THRUST_200600_302600_NS5tupleIblNS6_9null_typeES8_S8_S8_S8_S8_S8_S8_EEEEZNS1_11reduce_implILb1ES3_NS6_12zip_iteratorINS7_INS6_11hip_rocprim26transform_input_iterator_tIbNSD_35transform_pair_of_input_iterators_tIbNS6_6detail15normal_iteratorINS6_10device_ptrIKsEEEESL_NS6_8equal_toIsEEEENSG_9not_fun_tINSD_8identityEEEEENSD_19counting_iterator_tIlEES8_S8_S8_S8_S8_S8_S8_S8_EEEEPS9_S9_NSD_9__find_if7functorIS9_EEEE10hipError_tPvRmT1_T2_T3_mT4_P12ihipStream_tbEUlT_E1_NS1_11comp_targetILNS1_3genE2ELNS1_11target_archE906ELNS1_3gpuE6ELNS1_3repE0EEENS1_30default_config_static_selectorELNS0_4arch9wavefront6targetE1EEEvS14_
                                        ; -- End function
	.section	.AMDGPU.csdata,"",@progbits
; Kernel info:
; codeLenInByte = 0
; NumSgprs: 6
; NumVgprs: 0
; NumAgprs: 0
; TotalNumVgprs: 0
; ScratchSize: 0
; MemoryBound: 0
; FloatMode: 240
; IeeeMode: 1
; LDSByteSize: 0 bytes/workgroup (compile time only)
; SGPRBlocks: 0
; VGPRBlocks: 0
; NumSGPRsForWavesPerEU: 6
; NumVGPRsForWavesPerEU: 1
; AccumOffset: 4
; Occupancy: 8
; WaveLimiterHint : 0
; COMPUTE_PGM_RSRC2:SCRATCH_EN: 0
; COMPUTE_PGM_RSRC2:USER_SGPR: 2
; COMPUTE_PGM_RSRC2:TRAP_HANDLER: 0
; COMPUTE_PGM_RSRC2:TGID_X_EN: 1
; COMPUTE_PGM_RSRC2:TGID_Y_EN: 0
; COMPUTE_PGM_RSRC2:TGID_Z_EN: 0
; COMPUTE_PGM_RSRC2:TIDIG_COMP_CNT: 0
; COMPUTE_PGM_RSRC3_GFX90A:ACCUM_OFFSET: 0
; COMPUTE_PGM_RSRC3_GFX90A:TG_SPLIT: 0
	.section	.text._ZN7rocprim17ROCPRIM_400000_NS6detail17trampoline_kernelINS0_14default_configENS1_22reduce_config_selectorIN6thrust23THRUST_200600_302600_NS5tupleIblNS6_9null_typeES8_S8_S8_S8_S8_S8_S8_EEEEZNS1_11reduce_implILb1ES3_NS6_12zip_iteratorINS7_INS6_11hip_rocprim26transform_input_iterator_tIbNSD_35transform_pair_of_input_iterators_tIbNS6_6detail15normal_iteratorINS6_10device_ptrIKsEEEESL_NS6_8equal_toIsEEEENSG_9not_fun_tINSD_8identityEEEEENSD_19counting_iterator_tIlEES8_S8_S8_S8_S8_S8_S8_S8_EEEEPS9_S9_NSD_9__find_if7functorIS9_EEEE10hipError_tPvRmT1_T2_T3_mT4_P12ihipStream_tbEUlT_E1_NS1_11comp_targetILNS1_3genE10ELNS1_11target_archE1201ELNS1_3gpuE5ELNS1_3repE0EEENS1_30default_config_static_selectorELNS0_4arch9wavefront6targetE1EEEvS14_,"axG",@progbits,_ZN7rocprim17ROCPRIM_400000_NS6detail17trampoline_kernelINS0_14default_configENS1_22reduce_config_selectorIN6thrust23THRUST_200600_302600_NS5tupleIblNS6_9null_typeES8_S8_S8_S8_S8_S8_S8_EEEEZNS1_11reduce_implILb1ES3_NS6_12zip_iteratorINS7_INS6_11hip_rocprim26transform_input_iterator_tIbNSD_35transform_pair_of_input_iterators_tIbNS6_6detail15normal_iteratorINS6_10device_ptrIKsEEEESL_NS6_8equal_toIsEEEENSG_9not_fun_tINSD_8identityEEEEENSD_19counting_iterator_tIlEES8_S8_S8_S8_S8_S8_S8_S8_EEEEPS9_S9_NSD_9__find_if7functorIS9_EEEE10hipError_tPvRmT1_T2_T3_mT4_P12ihipStream_tbEUlT_E1_NS1_11comp_targetILNS1_3genE10ELNS1_11target_archE1201ELNS1_3gpuE5ELNS1_3repE0EEENS1_30default_config_static_selectorELNS0_4arch9wavefront6targetE1EEEvS14_,comdat
	.protected	_ZN7rocprim17ROCPRIM_400000_NS6detail17trampoline_kernelINS0_14default_configENS1_22reduce_config_selectorIN6thrust23THRUST_200600_302600_NS5tupleIblNS6_9null_typeES8_S8_S8_S8_S8_S8_S8_EEEEZNS1_11reduce_implILb1ES3_NS6_12zip_iteratorINS7_INS6_11hip_rocprim26transform_input_iterator_tIbNSD_35transform_pair_of_input_iterators_tIbNS6_6detail15normal_iteratorINS6_10device_ptrIKsEEEESL_NS6_8equal_toIsEEEENSG_9not_fun_tINSD_8identityEEEEENSD_19counting_iterator_tIlEES8_S8_S8_S8_S8_S8_S8_S8_EEEEPS9_S9_NSD_9__find_if7functorIS9_EEEE10hipError_tPvRmT1_T2_T3_mT4_P12ihipStream_tbEUlT_E1_NS1_11comp_targetILNS1_3genE10ELNS1_11target_archE1201ELNS1_3gpuE5ELNS1_3repE0EEENS1_30default_config_static_selectorELNS0_4arch9wavefront6targetE1EEEvS14_ ; -- Begin function _ZN7rocprim17ROCPRIM_400000_NS6detail17trampoline_kernelINS0_14default_configENS1_22reduce_config_selectorIN6thrust23THRUST_200600_302600_NS5tupleIblNS6_9null_typeES8_S8_S8_S8_S8_S8_S8_EEEEZNS1_11reduce_implILb1ES3_NS6_12zip_iteratorINS7_INS6_11hip_rocprim26transform_input_iterator_tIbNSD_35transform_pair_of_input_iterators_tIbNS6_6detail15normal_iteratorINS6_10device_ptrIKsEEEESL_NS6_8equal_toIsEEEENSG_9not_fun_tINSD_8identityEEEEENSD_19counting_iterator_tIlEES8_S8_S8_S8_S8_S8_S8_S8_EEEEPS9_S9_NSD_9__find_if7functorIS9_EEEE10hipError_tPvRmT1_T2_T3_mT4_P12ihipStream_tbEUlT_E1_NS1_11comp_targetILNS1_3genE10ELNS1_11target_archE1201ELNS1_3gpuE5ELNS1_3repE0EEENS1_30default_config_static_selectorELNS0_4arch9wavefront6targetE1EEEvS14_
	.globl	_ZN7rocprim17ROCPRIM_400000_NS6detail17trampoline_kernelINS0_14default_configENS1_22reduce_config_selectorIN6thrust23THRUST_200600_302600_NS5tupleIblNS6_9null_typeES8_S8_S8_S8_S8_S8_S8_EEEEZNS1_11reduce_implILb1ES3_NS6_12zip_iteratorINS7_INS6_11hip_rocprim26transform_input_iterator_tIbNSD_35transform_pair_of_input_iterators_tIbNS6_6detail15normal_iteratorINS6_10device_ptrIKsEEEESL_NS6_8equal_toIsEEEENSG_9not_fun_tINSD_8identityEEEEENSD_19counting_iterator_tIlEES8_S8_S8_S8_S8_S8_S8_S8_EEEEPS9_S9_NSD_9__find_if7functorIS9_EEEE10hipError_tPvRmT1_T2_T3_mT4_P12ihipStream_tbEUlT_E1_NS1_11comp_targetILNS1_3genE10ELNS1_11target_archE1201ELNS1_3gpuE5ELNS1_3repE0EEENS1_30default_config_static_selectorELNS0_4arch9wavefront6targetE1EEEvS14_
	.p2align	8
	.type	_ZN7rocprim17ROCPRIM_400000_NS6detail17trampoline_kernelINS0_14default_configENS1_22reduce_config_selectorIN6thrust23THRUST_200600_302600_NS5tupleIblNS6_9null_typeES8_S8_S8_S8_S8_S8_S8_EEEEZNS1_11reduce_implILb1ES3_NS6_12zip_iteratorINS7_INS6_11hip_rocprim26transform_input_iterator_tIbNSD_35transform_pair_of_input_iterators_tIbNS6_6detail15normal_iteratorINS6_10device_ptrIKsEEEESL_NS6_8equal_toIsEEEENSG_9not_fun_tINSD_8identityEEEEENSD_19counting_iterator_tIlEES8_S8_S8_S8_S8_S8_S8_S8_EEEEPS9_S9_NSD_9__find_if7functorIS9_EEEE10hipError_tPvRmT1_T2_T3_mT4_P12ihipStream_tbEUlT_E1_NS1_11comp_targetILNS1_3genE10ELNS1_11target_archE1201ELNS1_3gpuE5ELNS1_3repE0EEENS1_30default_config_static_selectorELNS0_4arch9wavefront6targetE1EEEvS14_,@function
_ZN7rocprim17ROCPRIM_400000_NS6detail17trampoline_kernelINS0_14default_configENS1_22reduce_config_selectorIN6thrust23THRUST_200600_302600_NS5tupleIblNS6_9null_typeES8_S8_S8_S8_S8_S8_S8_EEEEZNS1_11reduce_implILb1ES3_NS6_12zip_iteratorINS7_INS6_11hip_rocprim26transform_input_iterator_tIbNSD_35transform_pair_of_input_iterators_tIbNS6_6detail15normal_iteratorINS6_10device_ptrIKsEEEESL_NS6_8equal_toIsEEEENSG_9not_fun_tINSD_8identityEEEEENSD_19counting_iterator_tIlEES8_S8_S8_S8_S8_S8_S8_S8_EEEEPS9_S9_NSD_9__find_if7functorIS9_EEEE10hipError_tPvRmT1_T2_T3_mT4_P12ihipStream_tbEUlT_E1_NS1_11comp_targetILNS1_3genE10ELNS1_11target_archE1201ELNS1_3gpuE5ELNS1_3repE0EEENS1_30default_config_static_selectorELNS0_4arch9wavefront6targetE1EEEvS14_: ; @_ZN7rocprim17ROCPRIM_400000_NS6detail17trampoline_kernelINS0_14default_configENS1_22reduce_config_selectorIN6thrust23THRUST_200600_302600_NS5tupleIblNS6_9null_typeES8_S8_S8_S8_S8_S8_S8_EEEEZNS1_11reduce_implILb1ES3_NS6_12zip_iteratorINS7_INS6_11hip_rocprim26transform_input_iterator_tIbNSD_35transform_pair_of_input_iterators_tIbNS6_6detail15normal_iteratorINS6_10device_ptrIKsEEEESL_NS6_8equal_toIsEEEENSG_9not_fun_tINSD_8identityEEEEENSD_19counting_iterator_tIlEES8_S8_S8_S8_S8_S8_S8_S8_EEEEPS9_S9_NSD_9__find_if7functorIS9_EEEE10hipError_tPvRmT1_T2_T3_mT4_P12ihipStream_tbEUlT_E1_NS1_11comp_targetILNS1_3genE10ELNS1_11target_archE1201ELNS1_3gpuE5ELNS1_3repE0EEENS1_30default_config_static_selectorELNS0_4arch9wavefront6targetE1EEEvS14_
; %bb.0:
	.section	.rodata,"a",@progbits
	.p2align	6, 0x0
	.amdhsa_kernel _ZN7rocprim17ROCPRIM_400000_NS6detail17trampoline_kernelINS0_14default_configENS1_22reduce_config_selectorIN6thrust23THRUST_200600_302600_NS5tupleIblNS6_9null_typeES8_S8_S8_S8_S8_S8_S8_EEEEZNS1_11reduce_implILb1ES3_NS6_12zip_iteratorINS7_INS6_11hip_rocprim26transform_input_iterator_tIbNSD_35transform_pair_of_input_iterators_tIbNS6_6detail15normal_iteratorINS6_10device_ptrIKsEEEESL_NS6_8equal_toIsEEEENSG_9not_fun_tINSD_8identityEEEEENSD_19counting_iterator_tIlEES8_S8_S8_S8_S8_S8_S8_S8_EEEEPS9_S9_NSD_9__find_if7functorIS9_EEEE10hipError_tPvRmT1_T2_T3_mT4_P12ihipStream_tbEUlT_E1_NS1_11comp_targetILNS1_3genE10ELNS1_11target_archE1201ELNS1_3gpuE5ELNS1_3repE0EEENS1_30default_config_static_selectorELNS0_4arch9wavefront6targetE1EEEvS14_
		.amdhsa_group_segment_fixed_size 0
		.amdhsa_private_segment_fixed_size 0
		.amdhsa_kernarg_size 88
		.amdhsa_user_sgpr_count 2
		.amdhsa_user_sgpr_dispatch_ptr 0
		.amdhsa_user_sgpr_queue_ptr 0
		.amdhsa_user_sgpr_kernarg_segment_ptr 1
		.amdhsa_user_sgpr_dispatch_id 0
		.amdhsa_user_sgpr_kernarg_preload_length 0
		.amdhsa_user_sgpr_kernarg_preload_offset 0
		.amdhsa_user_sgpr_private_segment_size 0
		.amdhsa_uses_dynamic_stack 0
		.amdhsa_enable_private_segment 0
		.amdhsa_system_sgpr_workgroup_id_x 1
		.amdhsa_system_sgpr_workgroup_id_y 0
		.amdhsa_system_sgpr_workgroup_id_z 0
		.amdhsa_system_sgpr_workgroup_info 0
		.amdhsa_system_vgpr_workitem_id 0
		.amdhsa_next_free_vgpr 1
		.amdhsa_next_free_sgpr 0
		.amdhsa_accum_offset 4
		.amdhsa_reserve_vcc 0
		.amdhsa_float_round_mode_32 0
		.amdhsa_float_round_mode_16_64 0
		.amdhsa_float_denorm_mode_32 3
		.amdhsa_float_denorm_mode_16_64 3
		.amdhsa_dx10_clamp 1
		.amdhsa_ieee_mode 1
		.amdhsa_fp16_overflow 0
		.amdhsa_tg_split 0
		.amdhsa_exception_fp_ieee_invalid_op 0
		.amdhsa_exception_fp_denorm_src 0
		.amdhsa_exception_fp_ieee_div_zero 0
		.amdhsa_exception_fp_ieee_overflow 0
		.amdhsa_exception_fp_ieee_underflow 0
		.amdhsa_exception_fp_ieee_inexact 0
		.amdhsa_exception_int_div_zero 0
	.end_amdhsa_kernel
	.section	.text._ZN7rocprim17ROCPRIM_400000_NS6detail17trampoline_kernelINS0_14default_configENS1_22reduce_config_selectorIN6thrust23THRUST_200600_302600_NS5tupleIblNS6_9null_typeES8_S8_S8_S8_S8_S8_S8_EEEEZNS1_11reduce_implILb1ES3_NS6_12zip_iteratorINS7_INS6_11hip_rocprim26transform_input_iterator_tIbNSD_35transform_pair_of_input_iterators_tIbNS6_6detail15normal_iteratorINS6_10device_ptrIKsEEEESL_NS6_8equal_toIsEEEENSG_9not_fun_tINSD_8identityEEEEENSD_19counting_iterator_tIlEES8_S8_S8_S8_S8_S8_S8_S8_EEEEPS9_S9_NSD_9__find_if7functorIS9_EEEE10hipError_tPvRmT1_T2_T3_mT4_P12ihipStream_tbEUlT_E1_NS1_11comp_targetILNS1_3genE10ELNS1_11target_archE1201ELNS1_3gpuE5ELNS1_3repE0EEENS1_30default_config_static_selectorELNS0_4arch9wavefront6targetE1EEEvS14_,"axG",@progbits,_ZN7rocprim17ROCPRIM_400000_NS6detail17trampoline_kernelINS0_14default_configENS1_22reduce_config_selectorIN6thrust23THRUST_200600_302600_NS5tupleIblNS6_9null_typeES8_S8_S8_S8_S8_S8_S8_EEEEZNS1_11reduce_implILb1ES3_NS6_12zip_iteratorINS7_INS6_11hip_rocprim26transform_input_iterator_tIbNSD_35transform_pair_of_input_iterators_tIbNS6_6detail15normal_iteratorINS6_10device_ptrIKsEEEESL_NS6_8equal_toIsEEEENSG_9not_fun_tINSD_8identityEEEEENSD_19counting_iterator_tIlEES8_S8_S8_S8_S8_S8_S8_S8_EEEEPS9_S9_NSD_9__find_if7functorIS9_EEEE10hipError_tPvRmT1_T2_T3_mT4_P12ihipStream_tbEUlT_E1_NS1_11comp_targetILNS1_3genE10ELNS1_11target_archE1201ELNS1_3gpuE5ELNS1_3repE0EEENS1_30default_config_static_selectorELNS0_4arch9wavefront6targetE1EEEvS14_,comdat
.Lfunc_end186:
	.size	_ZN7rocprim17ROCPRIM_400000_NS6detail17trampoline_kernelINS0_14default_configENS1_22reduce_config_selectorIN6thrust23THRUST_200600_302600_NS5tupleIblNS6_9null_typeES8_S8_S8_S8_S8_S8_S8_EEEEZNS1_11reduce_implILb1ES3_NS6_12zip_iteratorINS7_INS6_11hip_rocprim26transform_input_iterator_tIbNSD_35transform_pair_of_input_iterators_tIbNS6_6detail15normal_iteratorINS6_10device_ptrIKsEEEESL_NS6_8equal_toIsEEEENSG_9not_fun_tINSD_8identityEEEEENSD_19counting_iterator_tIlEES8_S8_S8_S8_S8_S8_S8_S8_EEEEPS9_S9_NSD_9__find_if7functorIS9_EEEE10hipError_tPvRmT1_T2_T3_mT4_P12ihipStream_tbEUlT_E1_NS1_11comp_targetILNS1_3genE10ELNS1_11target_archE1201ELNS1_3gpuE5ELNS1_3repE0EEENS1_30default_config_static_selectorELNS0_4arch9wavefront6targetE1EEEvS14_, .Lfunc_end186-_ZN7rocprim17ROCPRIM_400000_NS6detail17trampoline_kernelINS0_14default_configENS1_22reduce_config_selectorIN6thrust23THRUST_200600_302600_NS5tupleIblNS6_9null_typeES8_S8_S8_S8_S8_S8_S8_EEEEZNS1_11reduce_implILb1ES3_NS6_12zip_iteratorINS7_INS6_11hip_rocprim26transform_input_iterator_tIbNSD_35transform_pair_of_input_iterators_tIbNS6_6detail15normal_iteratorINS6_10device_ptrIKsEEEESL_NS6_8equal_toIsEEEENSG_9not_fun_tINSD_8identityEEEEENSD_19counting_iterator_tIlEES8_S8_S8_S8_S8_S8_S8_S8_EEEEPS9_S9_NSD_9__find_if7functorIS9_EEEE10hipError_tPvRmT1_T2_T3_mT4_P12ihipStream_tbEUlT_E1_NS1_11comp_targetILNS1_3genE10ELNS1_11target_archE1201ELNS1_3gpuE5ELNS1_3repE0EEENS1_30default_config_static_selectorELNS0_4arch9wavefront6targetE1EEEvS14_
                                        ; -- End function
	.section	.AMDGPU.csdata,"",@progbits
; Kernel info:
; codeLenInByte = 0
; NumSgprs: 6
; NumVgprs: 0
; NumAgprs: 0
; TotalNumVgprs: 0
; ScratchSize: 0
; MemoryBound: 0
; FloatMode: 240
; IeeeMode: 1
; LDSByteSize: 0 bytes/workgroup (compile time only)
; SGPRBlocks: 0
; VGPRBlocks: 0
; NumSGPRsForWavesPerEU: 6
; NumVGPRsForWavesPerEU: 1
; AccumOffset: 4
; Occupancy: 8
; WaveLimiterHint : 0
; COMPUTE_PGM_RSRC2:SCRATCH_EN: 0
; COMPUTE_PGM_RSRC2:USER_SGPR: 2
; COMPUTE_PGM_RSRC2:TRAP_HANDLER: 0
; COMPUTE_PGM_RSRC2:TGID_X_EN: 1
; COMPUTE_PGM_RSRC2:TGID_Y_EN: 0
; COMPUTE_PGM_RSRC2:TGID_Z_EN: 0
; COMPUTE_PGM_RSRC2:TIDIG_COMP_CNT: 0
; COMPUTE_PGM_RSRC3_GFX90A:ACCUM_OFFSET: 0
; COMPUTE_PGM_RSRC3_GFX90A:TG_SPLIT: 0
	.section	.text._ZN7rocprim17ROCPRIM_400000_NS6detail17trampoline_kernelINS0_14default_configENS1_22reduce_config_selectorIN6thrust23THRUST_200600_302600_NS5tupleIblNS6_9null_typeES8_S8_S8_S8_S8_S8_S8_EEEEZNS1_11reduce_implILb1ES3_NS6_12zip_iteratorINS7_INS6_11hip_rocprim26transform_input_iterator_tIbNSD_35transform_pair_of_input_iterators_tIbNS6_6detail15normal_iteratorINS6_10device_ptrIKsEEEESL_NS6_8equal_toIsEEEENSG_9not_fun_tINSD_8identityEEEEENSD_19counting_iterator_tIlEES8_S8_S8_S8_S8_S8_S8_S8_EEEEPS9_S9_NSD_9__find_if7functorIS9_EEEE10hipError_tPvRmT1_T2_T3_mT4_P12ihipStream_tbEUlT_E1_NS1_11comp_targetILNS1_3genE10ELNS1_11target_archE1200ELNS1_3gpuE4ELNS1_3repE0EEENS1_30default_config_static_selectorELNS0_4arch9wavefront6targetE1EEEvS14_,"axG",@progbits,_ZN7rocprim17ROCPRIM_400000_NS6detail17trampoline_kernelINS0_14default_configENS1_22reduce_config_selectorIN6thrust23THRUST_200600_302600_NS5tupleIblNS6_9null_typeES8_S8_S8_S8_S8_S8_S8_EEEEZNS1_11reduce_implILb1ES3_NS6_12zip_iteratorINS7_INS6_11hip_rocprim26transform_input_iterator_tIbNSD_35transform_pair_of_input_iterators_tIbNS6_6detail15normal_iteratorINS6_10device_ptrIKsEEEESL_NS6_8equal_toIsEEEENSG_9not_fun_tINSD_8identityEEEEENSD_19counting_iterator_tIlEES8_S8_S8_S8_S8_S8_S8_S8_EEEEPS9_S9_NSD_9__find_if7functorIS9_EEEE10hipError_tPvRmT1_T2_T3_mT4_P12ihipStream_tbEUlT_E1_NS1_11comp_targetILNS1_3genE10ELNS1_11target_archE1200ELNS1_3gpuE4ELNS1_3repE0EEENS1_30default_config_static_selectorELNS0_4arch9wavefront6targetE1EEEvS14_,comdat
	.protected	_ZN7rocprim17ROCPRIM_400000_NS6detail17trampoline_kernelINS0_14default_configENS1_22reduce_config_selectorIN6thrust23THRUST_200600_302600_NS5tupleIblNS6_9null_typeES8_S8_S8_S8_S8_S8_S8_EEEEZNS1_11reduce_implILb1ES3_NS6_12zip_iteratorINS7_INS6_11hip_rocprim26transform_input_iterator_tIbNSD_35transform_pair_of_input_iterators_tIbNS6_6detail15normal_iteratorINS6_10device_ptrIKsEEEESL_NS6_8equal_toIsEEEENSG_9not_fun_tINSD_8identityEEEEENSD_19counting_iterator_tIlEES8_S8_S8_S8_S8_S8_S8_S8_EEEEPS9_S9_NSD_9__find_if7functorIS9_EEEE10hipError_tPvRmT1_T2_T3_mT4_P12ihipStream_tbEUlT_E1_NS1_11comp_targetILNS1_3genE10ELNS1_11target_archE1200ELNS1_3gpuE4ELNS1_3repE0EEENS1_30default_config_static_selectorELNS0_4arch9wavefront6targetE1EEEvS14_ ; -- Begin function _ZN7rocprim17ROCPRIM_400000_NS6detail17trampoline_kernelINS0_14default_configENS1_22reduce_config_selectorIN6thrust23THRUST_200600_302600_NS5tupleIblNS6_9null_typeES8_S8_S8_S8_S8_S8_S8_EEEEZNS1_11reduce_implILb1ES3_NS6_12zip_iteratorINS7_INS6_11hip_rocprim26transform_input_iterator_tIbNSD_35transform_pair_of_input_iterators_tIbNS6_6detail15normal_iteratorINS6_10device_ptrIKsEEEESL_NS6_8equal_toIsEEEENSG_9not_fun_tINSD_8identityEEEEENSD_19counting_iterator_tIlEES8_S8_S8_S8_S8_S8_S8_S8_EEEEPS9_S9_NSD_9__find_if7functorIS9_EEEE10hipError_tPvRmT1_T2_T3_mT4_P12ihipStream_tbEUlT_E1_NS1_11comp_targetILNS1_3genE10ELNS1_11target_archE1200ELNS1_3gpuE4ELNS1_3repE0EEENS1_30default_config_static_selectorELNS0_4arch9wavefront6targetE1EEEvS14_
	.globl	_ZN7rocprim17ROCPRIM_400000_NS6detail17trampoline_kernelINS0_14default_configENS1_22reduce_config_selectorIN6thrust23THRUST_200600_302600_NS5tupleIblNS6_9null_typeES8_S8_S8_S8_S8_S8_S8_EEEEZNS1_11reduce_implILb1ES3_NS6_12zip_iteratorINS7_INS6_11hip_rocprim26transform_input_iterator_tIbNSD_35transform_pair_of_input_iterators_tIbNS6_6detail15normal_iteratorINS6_10device_ptrIKsEEEESL_NS6_8equal_toIsEEEENSG_9not_fun_tINSD_8identityEEEEENSD_19counting_iterator_tIlEES8_S8_S8_S8_S8_S8_S8_S8_EEEEPS9_S9_NSD_9__find_if7functorIS9_EEEE10hipError_tPvRmT1_T2_T3_mT4_P12ihipStream_tbEUlT_E1_NS1_11comp_targetILNS1_3genE10ELNS1_11target_archE1200ELNS1_3gpuE4ELNS1_3repE0EEENS1_30default_config_static_selectorELNS0_4arch9wavefront6targetE1EEEvS14_
	.p2align	8
	.type	_ZN7rocprim17ROCPRIM_400000_NS6detail17trampoline_kernelINS0_14default_configENS1_22reduce_config_selectorIN6thrust23THRUST_200600_302600_NS5tupleIblNS6_9null_typeES8_S8_S8_S8_S8_S8_S8_EEEEZNS1_11reduce_implILb1ES3_NS6_12zip_iteratorINS7_INS6_11hip_rocprim26transform_input_iterator_tIbNSD_35transform_pair_of_input_iterators_tIbNS6_6detail15normal_iteratorINS6_10device_ptrIKsEEEESL_NS6_8equal_toIsEEEENSG_9not_fun_tINSD_8identityEEEEENSD_19counting_iterator_tIlEES8_S8_S8_S8_S8_S8_S8_S8_EEEEPS9_S9_NSD_9__find_if7functorIS9_EEEE10hipError_tPvRmT1_T2_T3_mT4_P12ihipStream_tbEUlT_E1_NS1_11comp_targetILNS1_3genE10ELNS1_11target_archE1200ELNS1_3gpuE4ELNS1_3repE0EEENS1_30default_config_static_selectorELNS0_4arch9wavefront6targetE1EEEvS14_,@function
_ZN7rocprim17ROCPRIM_400000_NS6detail17trampoline_kernelINS0_14default_configENS1_22reduce_config_selectorIN6thrust23THRUST_200600_302600_NS5tupleIblNS6_9null_typeES8_S8_S8_S8_S8_S8_S8_EEEEZNS1_11reduce_implILb1ES3_NS6_12zip_iteratorINS7_INS6_11hip_rocprim26transform_input_iterator_tIbNSD_35transform_pair_of_input_iterators_tIbNS6_6detail15normal_iteratorINS6_10device_ptrIKsEEEESL_NS6_8equal_toIsEEEENSG_9not_fun_tINSD_8identityEEEEENSD_19counting_iterator_tIlEES8_S8_S8_S8_S8_S8_S8_S8_EEEEPS9_S9_NSD_9__find_if7functorIS9_EEEE10hipError_tPvRmT1_T2_T3_mT4_P12ihipStream_tbEUlT_E1_NS1_11comp_targetILNS1_3genE10ELNS1_11target_archE1200ELNS1_3gpuE4ELNS1_3repE0EEENS1_30default_config_static_selectorELNS0_4arch9wavefront6targetE1EEEvS14_: ; @_ZN7rocprim17ROCPRIM_400000_NS6detail17trampoline_kernelINS0_14default_configENS1_22reduce_config_selectorIN6thrust23THRUST_200600_302600_NS5tupleIblNS6_9null_typeES8_S8_S8_S8_S8_S8_S8_EEEEZNS1_11reduce_implILb1ES3_NS6_12zip_iteratorINS7_INS6_11hip_rocprim26transform_input_iterator_tIbNSD_35transform_pair_of_input_iterators_tIbNS6_6detail15normal_iteratorINS6_10device_ptrIKsEEEESL_NS6_8equal_toIsEEEENSG_9not_fun_tINSD_8identityEEEEENSD_19counting_iterator_tIlEES8_S8_S8_S8_S8_S8_S8_S8_EEEEPS9_S9_NSD_9__find_if7functorIS9_EEEE10hipError_tPvRmT1_T2_T3_mT4_P12ihipStream_tbEUlT_E1_NS1_11comp_targetILNS1_3genE10ELNS1_11target_archE1200ELNS1_3gpuE4ELNS1_3repE0EEENS1_30default_config_static_selectorELNS0_4arch9wavefront6targetE1EEEvS14_
; %bb.0:
	.section	.rodata,"a",@progbits
	.p2align	6, 0x0
	.amdhsa_kernel _ZN7rocprim17ROCPRIM_400000_NS6detail17trampoline_kernelINS0_14default_configENS1_22reduce_config_selectorIN6thrust23THRUST_200600_302600_NS5tupleIblNS6_9null_typeES8_S8_S8_S8_S8_S8_S8_EEEEZNS1_11reduce_implILb1ES3_NS6_12zip_iteratorINS7_INS6_11hip_rocprim26transform_input_iterator_tIbNSD_35transform_pair_of_input_iterators_tIbNS6_6detail15normal_iteratorINS6_10device_ptrIKsEEEESL_NS6_8equal_toIsEEEENSG_9not_fun_tINSD_8identityEEEEENSD_19counting_iterator_tIlEES8_S8_S8_S8_S8_S8_S8_S8_EEEEPS9_S9_NSD_9__find_if7functorIS9_EEEE10hipError_tPvRmT1_T2_T3_mT4_P12ihipStream_tbEUlT_E1_NS1_11comp_targetILNS1_3genE10ELNS1_11target_archE1200ELNS1_3gpuE4ELNS1_3repE0EEENS1_30default_config_static_selectorELNS0_4arch9wavefront6targetE1EEEvS14_
		.amdhsa_group_segment_fixed_size 0
		.amdhsa_private_segment_fixed_size 0
		.amdhsa_kernarg_size 88
		.amdhsa_user_sgpr_count 2
		.amdhsa_user_sgpr_dispatch_ptr 0
		.amdhsa_user_sgpr_queue_ptr 0
		.amdhsa_user_sgpr_kernarg_segment_ptr 1
		.amdhsa_user_sgpr_dispatch_id 0
		.amdhsa_user_sgpr_kernarg_preload_length 0
		.amdhsa_user_sgpr_kernarg_preload_offset 0
		.amdhsa_user_sgpr_private_segment_size 0
		.amdhsa_uses_dynamic_stack 0
		.amdhsa_enable_private_segment 0
		.amdhsa_system_sgpr_workgroup_id_x 1
		.amdhsa_system_sgpr_workgroup_id_y 0
		.amdhsa_system_sgpr_workgroup_id_z 0
		.amdhsa_system_sgpr_workgroup_info 0
		.amdhsa_system_vgpr_workitem_id 0
		.amdhsa_next_free_vgpr 1
		.amdhsa_next_free_sgpr 0
		.amdhsa_accum_offset 4
		.amdhsa_reserve_vcc 0
		.amdhsa_float_round_mode_32 0
		.amdhsa_float_round_mode_16_64 0
		.amdhsa_float_denorm_mode_32 3
		.amdhsa_float_denorm_mode_16_64 3
		.amdhsa_dx10_clamp 1
		.amdhsa_ieee_mode 1
		.amdhsa_fp16_overflow 0
		.amdhsa_tg_split 0
		.amdhsa_exception_fp_ieee_invalid_op 0
		.amdhsa_exception_fp_denorm_src 0
		.amdhsa_exception_fp_ieee_div_zero 0
		.amdhsa_exception_fp_ieee_overflow 0
		.amdhsa_exception_fp_ieee_underflow 0
		.amdhsa_exception_fp_ieee_inexact 0
		.amdhsa_exception_int_div_zero 0
	.end_amdhsa_kernel
	.section	.text._ZN7rocprim17ROCPRIM_400000_NS6detail17trampoline_kernelINS0_14default_configENS1_22reduce_config_selectorIN6thrust23THRUST_200600_302600_NS5tupleIblNS6_9null_typeES8_S8_S8_S8_S8_S8_S8_EEEEZNS1_11reduce_implILb1ES3_NS6_12zip_iteratorINS7_INS6_11hip_rocprim26transform_input_iterator_tIbNSD_35transform_pair_of_input_iterators_tIbNS6_6detail15normal_iteratorINS6_10device_ptrIKsEEEESL_NS6_8equal_toIsEEEENSG_9not_fun_tINSD_8identityEEEEENSD_19counting_iterator_tIlEES8_S8_S8_S8_S8_S8_S8_S8_EEEEPS9_S9_NSD_9__find_if7functorIS9_EEEE10hipError_tPvRmT1_T2_T3_mT4_P12ihipStream_tbEUlT_E1_NS1_11comp_targetILNS1_3genE10ELNS1_11target_archE1200ELNS1_3gpuE4ELNS1_3repE0EEENS1_30default_config_static_selectorELNS0_4arch9wavefront6targetE1EEEvS14_,"axG",@progbits,_ZN7rocprim17ROCPRIM_400000_NS6detail17trampoline_kernelINS0_14default_configENS1_22reduce_config_selectorIN6thrust23THRUST_200600_302600_NS5tupleIblNS6_9null_typeES8_S8_S8_S8_S8_S8_S8_EEEEZNS1_11reduce_implILb1ES3_NS6_12zip_iteratorINS7_INS6_11hip_rocprim26transform_input_iterator_tIbNSD_35transform_pair_of_input_iterators_tIbNS6_6detail15normal_iteratorINS6_10device_ptrIKsEEEESL_NS6_8equal_toIsEEEENSG_9not_fun_tINSD_8identityEEEEENSD_19counting_iterator_tIlEES8_S8_S8_S8_S8_S8_S8_S8_EEEEPS9_S9_NSD_9__find_if7functorIS9_EEEE10hipError_tPvRmT1_T2_T3_mT4_P12ihipStream_tbEUlT_E1_NS1_11comp_targetILNS1_3genE10ELNS1_11target_archE1200ELNS1_3gpuE4ELNS1_3repE0EEENS1_30default_config_static_selectorELNS0_4arch9wavefront6targetE1EEEvS14_,comdat
.Lfunc_end187:
	.size	_ZN7rocprim17ROCPRIM_400000_NS6detail17trampoline_kernelINS0_14default_configENS1_22reduce_config_selectorIN6thrust23THRUST_200600_302600_NS5tupleIblNS6_9null_typeES8_S8_S8_S8_S8_S8_S8_EEEEZNS1_11reduce_implILb1ES3_NS6_12zip_iteratorINS7_INS6_11hip_rocprim26transform_input_iterator_tIbNSD_35transform_pair_of_input_iterators_tIbNS6_6detail15normal_iteratorINS6_10device_ptrIKsEEEESL_NS6_8equal_toIsEEEENSG_9not_fun_tINSD_8identityEEEEENSD_19counting_iterator_tIlEES8_S8_S8_S8_S8_S8_S8_S8_EEEEPS9_S9_NSD_9__find_if7functorIS9_EEEE10hipError_tPvRmT1_T2_T3_mT4_P12ihipStream_tbEUlT_E1_NS1_11comp_targetILNS1_3genE10ELNS1_11target_archE1200ELNS1_3gpuE4ELNS1_3repE0EEENS1_30default_config_static_selectorELNS0_4arch9wavefront6targetE1EEEvS14_, .Lfunc_end187-_ZN7rocprim17ROCPRIM_400000_NS6detail17trampoline_kernelINS0_14default_configENS1_22reduce_config_selectorIN6thrust23THRUST_200600_302600_NS5tupleIblNS6_9null_typeES8_S8_S8_S8_S8_S8_S8_EEEEZNS1_11reduce_implILb1ES3_NS6_12zip_iteratorINS7_INS6_11hip_rocprim26transform_input_iterator_tIbNSD_35transform_pair_of_input_iterators_tIbNS6_6detail15normal_iteratorINS6_10device_ptrIKsEEEESL_NS6_8equal_toIsEEEENSG_9not_fun_tINSD_8identityEEEEENSD_19counting_iterator_tIlEES8_S8_S8_S8_S8_S8_S8_S8_EEEEPS9_S9_NSD_9__find_if7functorIS9_EEEE10hipError_tPvRmT1_T2_T3_mT4_P12ihipStream_tbEUlT_E1_NS1_11comp_targetILNS1_3genE10ELNS1_11target_archE1200ELNS1_3gpuE4ELNS1_3repE0EEENS1_30default_config_static_selectorELNS0_4arch9wavefront6targetE1EEEvS14_
                                        ; -- End function
	.section	.AMDGPU.csdata,"",@progbits
; Kernel info:
; codeLenInByte = 0
; NumSgprs: 6
; NumVgprs: 0
; NumAgprs: 0
; TotalNumVgprs: 0
; ScratchSize: 0
; MemoryBound: 0
; FloatMode: 240
; IeeeMode: 1
; LDSByteSize: 0 bytes/workgroup (compile time only)
; SGPRBlocks: 0
; VGPRBlocks: 0
; NumSGPRsForWavesPerEU: 6
; NumVGPRsForWavesPerEU: 1
; AccumOffset: 4
; Occupancy: 8
; WaveLimiterHint : 0
; COMPUTE_PGM_RSRC2:SCRATCH_EN: 0
; COMPUTE_PGM_RSRC2:USER_SGPR: 2
; COMPUTE_PGM_RSRC2:TRAP_HANDLER: 0
; COMPUTE_PGM_RSRC2:TGID_X_EN: 1
; COMPUTE_PGM_RSRC2:TGID_Y_EN: 0
; COMPUTE_PGM_RSRC2:TGID_Z_EN: 0
; COMPUTE_PGM_RSRC2:TIDIG_COMP_CNT: 0
; COMPUTE_PGM_RSRC3_GFX90A:ACCUM_OFFSET: 0
; COMPUTE_PGM_RSRC3_GFX90A:TG_SPLIT: 0
	.section	.text._ZN7rocprim17ROCPRIM_400000_NS6detail17trampoline_kernelINS0_14default_configENS1_22reduce_config_selectorIN6thrust23THRUST_200600_302600_NS5tupleIblNS6_9null_typeES8_S8_S8_S8_S8_S8_S8_EEEEZNS1_11reduce_implILb1ES3_NS6_12zip_iteratorINS7_INS6_11hip_rocprim26transform_input_iterator_tIbNSD_35transform_pair_of_input_iterators_tIbNS6_6detail15normal_iteratorINS6_10device_ptrIKsEEEESL_NS6_8equal_toIsEEEENSG_9not_fun_tINSD_8identityEEEEENSD_19counting_iterator_tIlEES8_S8_S8_S8_S8_S8_S8_S8_EEEEPS9_S9_NSD_9__find_if7functorIS9_EEEE10hipError_tPvRmT1_T2_T3_mT4_P12ihipStream_tbEUlT_E1_NS1_11comp_targetILNS1_3genE9ELNS1_11target_archE1100ELNS1_3gpuE3ELNS1_3repE0EEENS1_30default_config_static_selectorELNS0_4arch9wavefront6targetE1EEEvS14_,"axG",@progbits,_ZN7rocprim17ROCPRIM_400000_NS6detail17trampoline_kernelINS0_14default_configENS1_22reduce_config_selectorIN6thrust23THRUST_200600_302600_NS5tupleIblNS6_9null_typeES8_S8_S8_S8_S8_S8_S8_EEEEZNS1_11reduce_implILb1ES3_NS6_12zip_iteratorINS7_INS6_11hip_rocprim26transform_input_iterator_tIbNSD_35transform_pair_of_input_iterators_tIbNS6_6detail15normal_iteratorINS6_10device_ptrIKsEEEESL_NS6_8equal_toIsEEEENSG_9not_fun_tINSD_8identityEEEEENSD_19counting_iterator_tIlEES8_S8_S8_S8_S8_S8_S8_S8_EEEEPS9_S9_NSD_9__find_if7functorIS9_EEEE10hipError_tPvRmT1_T2_T3_mT4_P12ihipStream_tbEUlT_E1_NS1_11comp_targetILNS1_3genE9ELNS1_11target_archE1100ELNS1_3gpuE3ELNS1_3repE0EEENS1_30default_config_static_selectorELNS0_4arch9wavefront6targetE1EEEvS14_,comdat
	.protected	_ZN7rocprim17ROCPRIM_400000_NS6detail17trampoline_kernelINS0_14default_configENS1_22reduce_config_selectorIN6thrust23THRUST_200600_302600_NS5tupleIblNS6_9null_typeES8_S8_S8_S8_S8_S8_S8_EEEEZNS1_11reduce_implILb1ES3_NS6_12zip_iteratorINS7_INS6_11hip_rocprim26transform_input_iterator_tIbNSD_35transform_pair_of_input_iterators_tIbNS6_6detail15normal_iteratorINS6_10device_ptrIKsEEEESL_NS6_8equal_toIsEEEENSG_9not_fun_tINSD_8identityEEEEENSD_19counting_iterator_tIlEES8_S8_S8_S8_S8_S8_S8_S8_EEEEPS9_S9_NSD_9__find_if7functorIS9_EEEE10hipError_tPvRmT1_T2_T3_mT4_P12ihipStream_tbEUlT_E1_NS1_11comp_targetILNS1_3genE9ELNS1_11target_archE1100ELNS1_3gpuE3ELNS1_3repE0EEENS1_30default_config_static_selectorELNS0_4arch9wavefront6targetE1EEEvS14_ ; -- Begin function _ZN7rocprim17ROCPRIM_400000_NS6detail17trampoline_kernelINS0_14default_configENS1_22reduce_config_selectorIN6thrust23THRUST_200600_302600_NS5tupleIblNS6_9null_typeES8_S8_S8_S8_S8_S8_S8_EEEEZNS1_11reduce_implILb1ES3_NS6_12zip_iteratorINS7_INS6_11hip_rocprim26transform_input_iterator_tIbNSD_35transform_pair_of_input_iterators_tIbNS6_6detail15normal_iteratorINS6_10device_ptrIKsEEEESL_NS6_8equal_toIsEEEENSG_9not_fun_tINSD_8identityEEEEENSD_19counting_iterator_tIlEES8_S8_S8_S8_S8_S8_S8_S8_EEEEPS9_S9_NSD_9__find_if7functorIS9_EEEE10hipError_tPvRmT1_T2_T3_mT4_P12ihipStream_tbEUlT_E1_NS1_11comp_targetILNS1_3genE9ELNS1_11target_archE1100ELNS1_3gpuE3ELNS1_3repE0EEENS1_30default_config_static_selectorELNS0_4arch9wavefront6targetE1EEEvS14_
	.globl	_ZN7rocprim17ROCPRIM_400000_NS6detail17trampoline_kernelINS0_14default_configENS1_22reduce_config_selectorIN6thrust23THRUST_200600_302600_NS5tupleIblNS6_9null_typeES8_S8_S8_S8_S8_S8_S8_EEEEZNS1_11reduce_implILb1ES3_NS6_12zip_iteratorINS7_INS6_11hip_rocprim26transform_input_iterator_tIbNSD_35transform_pair_of_input_iterators_tIbNS6_6detail15normal_iteratorINS6_10device_ptrIKsEEEESL_NS6_8equal_toIsEEEENSG_9not_fun_tINSD_8identityEEEEENSD_19counting_iterator_tIlEES8_S8_S8_S8_S8_S8_S8_S8_EEEEPS9_S9_NSD_9__find_if7functorIS9_EEEE10hipError_tPvRmT1_T2_T3_mT4_P12ihipStream_tbEUlT_E1_NS1_11comp_targetILNS1_3genE9ELNS1_11target_archE1100ELNS1_3gpuE3ELNS1_3repE0EEENS1_30default_config_static_selectorELNS0_4arch9wavefront6targetE1EEEvS14_
	.p2align	8
	.type	_ZN7rocprim17ROCPRIM_400000_NS6detail17trampoline_kernelINS0_14default_configENS1_22reduce_config_selectorIN6thrust23THRUST_200600_302600_NS5tupleIblNS6_9null_typeES8_S8_S8_S8_S8_S8_S8_EEEEZNS1_11reduce_implILb1ES3_NS6_12zip_iteratorINS7_INS6_11hip_rocprim26transform_input_iterator_tIbNSD_35transform_pair_of_input_iterators_tIbNS6_6detail15normal_iteratorINS6_10device_ptrIKsEEEESL_NS6_8equal_toIsEEEENSG_9not_fun_tINSD_8identityEEEEENSD_19counting_iterator_tIlEES8_S8_S8_S8_S8_S8_S8_S8_EEEEPS9_S9_NSD_9__find_if7functorIS9_EEEE10hipError_tPvRmT1_T2_T3_mT4_P12ihipStream_tbEUlT_E1_NS1_11comp_targetILNS1_3genE9ELNS1_11target_archE1100ELNS1_3gpuE3ELNS1_3repE0EEENS1_30default_config_static_selectorELNS0_4arch9wavefront6targetE1EEEvS14_,@function
_ZN7rocprim17ROCPRIM_400000_NS6detail17trampoline_kernelINS0_14default_configENS1_22reduce_config_selectorIN6thrust23THRUST_200600_302600_NS5tupleIblNS6_9null_typeES8_S8_S8_S8_S8_S8_S8_EEEEZNS1_11reduce_implILb1ES3_NS6_12zip_iteratorINS7_INS6_11hip_rocprim26transform_input_iterator_tIbNSD_35transform_pair_of_input_iterators_tIbNS6_6detail15normal_iteratorINS6_10device_ptrIKsEEEESL_NS6_8equal_toIsEEEENSG_9not_fun_tINSD_8identityEEEEENSD_19counting_iterator_tIlEES8_S8_S8_S8_S8_S8_S8_S8_EEEEPS9_S9_NSD_9__find_if7functorIS9_EEEE10hipError_tPvRmT1_T2_T3_mT4_P12ihipStream_tbEUlT_E1_NS1_11comp_targetILNS1_3genE9ELNS1_11target_archE1100ELNS1_3gpuE3ELNS1_3repE0EEENS1_30default_config_static_selectorELNS0_4arch9wavefront6targetE1EEEvS14_: ; @_ZN7rocprim17ROCPRIM_400000_NS6detail17trampoline_kernelINS0_14default_configENS1_22reduce_config_selectorIN6thrust23THRUST_200600_302600_NS5tupleIblNS6_9null_typeES8_S8_S8_S8_S8_S8_S8_EEEEZNS1_11reduce_implILb1ES3_NS6_12zip_iteratorINS7_INS6_11hip_rocprim26transform_input_iterator_tIbNSD_35transform_pair_of_input_iterators_tIbNS6_6detail15normal_iteratorINS6_10device_ptrIKsEEEESL_NS6_8equal_toIsEEEENSG_9not_fun_tINSD_8identityEEEEENSD_19counting_iterator_tIlEES8_S8_S8_S8_S8_S8_S8_S8_EEEEPS9_S9_NSD_9__find_if7functorIS9_EEEE10hipError_tPvRmT1_T2_T3_mT4_P12ihipStream_tbEUlT_E1_NS1_11comp_targetILNS1_3genE9ELNS1_11target_archE1100ELNS1_3gpuE3ELNS1_3repE0EEENS1_30default_config_static_selectorELNS0_4arch9wavefront6targetE1EEEvS14_
; %bb.0:
	.section	.rodata,"a",@progbits
	.p2align	6, 0x0
	.amdhsa_kernel _ZN7rocprim17ROCPRIM_400000_NS6detail17trampoline_kernelINS0_14default_configENS1_22reduce_config_selectorIN6thrust23THRUST_200600_302600_NS5tupleIblNS6_9null_typeES8_S8_S8_S8_S8_S8_S8_EEEEZNS1_11reduce_implILb1ES3_NS6_12zip_iteratorINS7_INS6_11hip_rocprim26transform_input_iterator_tIbNSD_35transform_pair_of_input_iterators_tIbNS6_6detail15normal_iteratorINS6_10device_ptrIKsEEEESL_NS6_8equal_toIsEEEENSG_9not_fun_tINSD_8identityEEEEENSD_19counting_iterator_tIlEES8_S8_S8_S8_S8_S8_S8_S8_EEEEPS9_S9_NSD_9__find_if7functorIS9_EEEE10hipError_tPvRmT1_T2_T3_mT4_P12ihipStream_tbEUlT_E1_NS1_11comp_targetILNS1_3genE9ELNS1_11target_archE1100ELNS1_3gpuE3ELNS1_3repE0EEENS1_30default_config_static_selectorELNS0_4arch9wavefront6targetE1EEEvS14_
		.amdhsa_group_segment_fixed_size 0
		.amdhsa_private_segment_fixed_size 0
		.amdhsa_kernarg_size 88
		.amdhsa_user_sgpr_count 2
		.amdhsa_user_sgpr_dispatch_ptr 0
		.amdhsa_user_sgpr_queue_ptr 0
		.amdhsa_user_sgpr_kernarg_segment_ptr 1
		.amdhsa_user_sgpr_dispatch_id 0
		.amdhsa_user_sgpr_kernarg_preload_length 0
		.amdhsa_user_sgpr_kernarg_preload_offset 0
		.amdhsa_user_sgpr_private_segment_size 0
		.amdhsa_uses_dynamic_stack 0
		.amdhsa_enable_private_segment 0
		.amdhsa_system_sgpr_workgroup_id_x 1
		.amdhsa_system_sgpr_workgroup_id_y 0
		.amdhsa_system_sgpr_workgroup_id_z 0
		.amdhsa_system_sgpr_workgroup_info 0
		.amdhsa_system_vgpr_workitem_id 0
		.amdhsa_next_free_vgpr 1
		.amdhsa_next_free_sgpr 0
		.amdhsa_accum_offset 4
		.amdhsa_reserve_vcc 0
		.amdhsa_float_round_mode_32 0
		.amdhsa_float_round_mode_16_64 0
		.amdhsa_float_denorm_mode_32 3
		.amdhsa_float_denorm_mode_16_64 3
		.amdhsa_dx10_clamp 1
		.amdhsa_ieee_mode 1
		.amdhsa_fp16_overflow 0
		.amdhsa_tg_split 0
		.amdhsa_exception_fp_ieee_invalid_op 0
		.amdhsa_exception_fp_denorm_src 0
		.amdhsa_exception_fp_ieee_div_zero 0
		.amdhsa_exception_fp_ieee_overflow 0
		.amdhsa_exception_fp_ieee_underflow 0
		.amdhsa_exception_fp_ieee_inexact 0
		.amdhsa_exception_int_div_zero 0
	.end_amdhsa_kernel
	.section	.text._ZN7rocprim17ROCPRIM_400000_NS6detail17trampoline_kernelINS0_14default_configENS1_22reduce_config_selectorIN6thrust23THRUST_200600_302600_NS5tupleIblNS6_9null_typeES8_S8_S8_S8_S8_S8_S8_EEEEZNS1_11reduce_implILb1ES3_NS6_12zip_iteratorINS7_INS6_11hip_rocprim26transform_input_iterator_tIbNSD_35transform_pair_of_input_iterators_tIbNS6_6detail15normal_iteratorINS6_10device_ptrIKsEEEESL_NS6_8equal_toIsEEEENSG_9not_fun_tINSD_8identityEEEEENSD_19counting_iterator_tIlEES8_S8_S8_S8_S8_S8_S8_S8_EEEEPS9_S9_NSD_9__find_if7functorIS9_EEEE10hipError_tPvRmT1_T2_T3_mT4_P12ihipStream_tbEUlT_E1_NS1_11comp_targetILNS1_3genE9ELNS1_11target_archE1100ELNS1_3gpuE3ELNS1_3repE0EEENS1_30default_config_static_selectorELNS0_4arch9wavefront6targetE1EEEvS14_,"axG",@progbits,_ZN7rocprim17ROCPRIM_400000_NS6detail17trampoline_kernelINS0_14default_configENS1_22reduce_config_selectorIN6thrust23THRUST_200600_302600_NS5tupleIblNS6_9null_typeES8_S8_S8_S8_S8_S8_S8_EEEEZNS1_11reduce_implILb1ES3_NS6_12zip_iteratorINS7_INS6_11hip_rocprim26transform_input_iterator_tIbNSD_35transform_pair_of_input_iterators_tIbNS6_6detail15normal_iteratorINS6_10device_ptrIKsEEEESL_NS6_8equal_toIsEEEENSG_9not_fun_tINSD_8identityEEEEENSD_19counting_iterator_tIlEES8_S8_S8_S8_S8_S8_S8_S8_EEEEPS9_S9_NSD_9__find_if7functorIS9_EEEE10hipError_tPvRmT1_T2_T3_mT4_P12ihipStream_tbEUlT_E1_NS1_11comp_targetILNS1_3genE9ELNS1_11target_archE1100ELNS1_3gpuE3ELNS1_3repE0EEENS1_30default_config_static_selectorELNS0_4arch9wavefront6targetE1EEEvS14_,comdat
.Lfunc_end188:
	.size	_ZN7rocprim17ROCPRIM_400000_NS6detail17trampoline_kernelINS0_14default_configENS1_22reduce_config_selectorIN6thrust23THRUST_200600_302600_NS5tupleIblNS6_9null_typeES8_S8_S8_S8_S8_S8_S8_EEEEZNS1_11reduce_implILb1ES3_NS6_12zip_iteratorINS7_INS6_11hip_rocprim26transform_input_iterator_tIbNSD_35transform_pair_of_input_iterators_tIbNS6_6detail15normal_iteratorINS6_10device_ptrIKsEEEESL_NS6_8equal_toIsEEEENSG_9not_fun_tINSD_8identityEEEEENSD_19counting_iterator_tIlEES8_S8_S8_S8_S8_S8_S8_S8_EEEEPS9_S9_NSD_9__find_if7functorIS9_EEEE10hipError_tPvRmT1_T2_T3_mT4_P12ihipStream_tbEUlT_E1_NS1_11comp_targetILNS1_3genE9ELNS1_11target_archE1100ELNS1_3gpuE3ELNS1_3repE0EEENS1_30default_config_static_selectorELNS0_4arch9wavefront6targetE1EEEvS14_, .Lfunc_end188-_ZN7rocprim17ROCPRIM_400000_NS6detail17trampoline_kernelINS0_14default_configENS1_22reduce_config_selectorIN6thrust23THRUST_200600_302600_NS5tupleIblNS6_9null_typeES8_S8_S8_S8_S8_S8_S8_EEEEZNS1_11reduce_implILb1ES3_NS6_12zip_iteratorINS7_INS6_11hip_rocprim26transform_input_iterator_tIbNSD_35transform_pair_of_input_iterators_tIbNS6_6detail15normal_iteratorINS6_10device_ptrIKsEEEESL_NS6_8equal_toIsEEEENSG_9not_fun_tINSD_8identityEEEEENSD_19counting_iterator_tIlEES8_S8_S8_S8_S8_S8_S8_S8_EEEEPS9_S9_NSD_9__find_if7functorIS9_EEEE10hipError_tPvRmT1_T2_T3_mT4_P12ihipStream_tbEUlT_E1_NS1_11comp_targetILNS1_3genE9ELNS1_11target_archE1100ELNS1_3gpuE3ELNS1_3repE0EEENS1_30default_config_static_selectorELNS0_4arch9wavefront6targetE1EEEvS14_
                                        ; -- End function
	.section	.AMDGPU.csdata,"",@progbits
; Kernel info:
; codeLenInByte = 0
; NumSgprs: 6
; NumVgprs: 0
; NumAgprs: 0
; TotalNumVgprs: 0
; ScratchSize: 0
; MemoryBound: 0
; FloatMode: 240
; IeeeMode: 1
; LDSByteSize: 0 bytes/workgroup (compile time only)
; SGPRBlocks: 0
; VGPRBlocks: 0
; NumSGPRsForWavesPerEU: 6
; NumVGPRsForWavesPerEU: 1
; AccumOffset: 4
; Occupancy: 8
; WaveLimiterHint : 0
; COMPUTE_PGM_RSRC2:SCRATCH_EN: 0
; COMPUTE_PGM_RSRC2:USER_SGPR: 2
; COMPUTE_PGM_RSRC2:TRAP_HANDLER: 0
; COMPUTE_PGM_RSRC2:TGID_X_EN: 1
; COMPUTE_PGM_RSRC2:TGID_Y_EN: 0
; COMPUTE_PGM_RSRC2:TGID_Z_EN: 0
; COMPUTE_PGM_RSRC2:TIDIG_COMP_CNT: 0
; COMPUTE_PGM_RSRC3_GFX90A:ACCUM_OFFSET: 0
; COMPUTE_PGM_RSRC3_GFX90A:TG_SPLIT: 0
	.section	.text._ZN7rocprim17ROCPRIM_400000_NS6detail17trampoline_kernelINS0_14default_configENS1_22reduce_config_selectorIN6thrust23THRUST_200600_302600_NS5tupleIblNS6_9null_typeES8_S8_S8_S8_S8_S8_S8_EEEEZNS1_11reduce_implILb1ES3_NS6_12zip_iteratorINS7_INS6_11hip_rocprim26transform_input_iterator_tIbNSD_35transform_pair_of_input_iterators_tIbNS6_6detail15normal_iteratorINS6_10device_ptrIKsEEEESL_NS6_8equal_toIsEEEENSG_9not_fun_tINSD_8identityEEEEENSD_19counting_iterator_tIlEES8_S8_S8_S8_S8_S8_S8_S8_EEEEPS9_S9_NSD_9__find_if7functorIS9_EEEE10hipError_tPvRmT1_T2_T3_mT4_P12ihipStream_tbEUlT_E1_NS1_11comp_targetILNS1_3genE8ELNS1_11target_archE1030ELNS1_3gpuE2ELNS1_3repE0EEENS1_30default_config_static_selectorELNS0_4arch9wavefront6targetE1EEEvS14_,"axG",@progbits,_ZN7rocprim17ROCPRIM_400000_NS6detail17trampoline_kernelINS0_14default_configENS1_22reduce_config_selectorIN6thrust23THRUST_200600_302600_NS5tupleIblNS6_9null_typeES8_S8_S8_S8_S8_S8_S8_EEEEZNS1_11reduce_implILb1ES3_NS6_12zip_iteratorINS7_INS6_11hip_rocprim26transform_input_iterator_tIbNSD_35transform_pair_of_input_iterators_tIbNS6_6detail15normal_iteratorINS6_10device_ptrIKsEEEESL_NS6_8equal_toIsEEEENSG_9not_fun_tINSD_8identityEEEEENSD_19counting_iterator_tIlEES8_S8_S8_S8_S8_S8_S8_S8_EEEEPS9_S9_NSD_9__find_if7functorIS9_EEEE10hipError_tPvRmT1_T2_T3_mT4_P12ihipStream_tbEUlT_E1_NS1_11comp_targetILNS1_3genE8ELNS1_11target_archE1030ELNS1_3gpuE2ELNS1_3repE0EEENS1_30default_config_static_selectorELNS0_4arch9wavefront6targetE1EEEvS14_,comdat
	.protected	_ZN7rocprim17ROCPRIM_400000_NS6detail17trampoline_kernelINS0_14default_configENS1_22reduce_config_selectorIN6thrust23THRUST_200600_302600_NS5tupleIblNS6_9null_typeES8_S8_S8_S8_S8_S8_S8_EEEEZNS1_11reduce_implILb1ES3_NS6_12zip_iteratorINS7_INS6_11hip_rocprim26transform_input_iterator_tIbNSD_35transform_pair_of_input_iterators_tIbNS6_6detail15normal_iteratorINS6_10device_ptrIKsEEEESL_NS6_8equal_toIsEEEENSG_9not_fun_tINSD_8identityEEEEENSD_19counting_iterator_tIlEES8_S8_S8_S8_S8_S8_S8_S8_EEEEPS9_S9_NSD_9__find_if7functorIS9_EEEE10hipError_tPvRmT1_T2_T3_mT4_P12ihipStream_tbEUlT_E1_NS1_11comp_targetILNS1_3genE8ELNS1_11target_archE1030ELNS1_3gpuE2ELNS1_3repE0EEENS1_30default_config_static_selectorELNS0_4arch9wavefront6targetE1EEEvS14_ ; -- Begin function _ZN7rocprim17ROCPRIM_400000_NS6detail17trampoline_kernelINS0_14default_configENS1_22reduce_config_selectorIN6thrust23THRUST_200600_302600_NS5tupleIblNS6_9null_typeES8_S8_S8_S8_S8_S8_S8_EEEEZNS1_11reduce_implILb1ES3_NS6_12zip_iteratorINS7_INS6_11hip_rocprim26transform_input_iterator_tIbNSD_35transform_pair_of_input_iterators_tIbNS6_6detail15normal_iteratorINS6_10device_ptrIKsEEEESL_NS6_8equal_toIsEEEENSG_9not_fun_tINSD_8identityEEEEENSD_19counting_iterator_tIlEES8_S8_S8_S8_S8_S8_S8_S8_EEEEPS9_S9_NSD_9__find_if7functorIS9_EEEE10hipError_tPvRmT1_T2_T3_mT4_P12ihipStream_tbEUlT_E1_NS1_11comp_targetILNS1_3genE8ELNS1_11target_archE1030ELNS1_3gpuE2ELNS1_3repE0EEENS1_30default_config_static_selectorELNS0_4arch9wavefront6targetE1EEEvS14_
	.globl	_ZN7rocprim17ROCPRIM_400000_NS6detail17trampoline_kernelINS0_14default_configENS1_22reduce_config_selectorIN6thrust23THRUST_200600_302600_NS5tupleIblNS6_9null_typeES8_S8_S8_S8_S8_S8_S8_EEEEZNS1_11reduce_implILb1ES3_NS6_12zip_iteratorINS7_INS6_11hip_rocprim26transform_input_iterator_tIbNSD_35transform_pair_of_input_iterators_tIbNS6_6detail15normal_iteratorINS6_10device_ptrIKsEEEESL_NS6_8equal_toIsEEEENSG_9not_fun_tINSD_8identityEEEEENSD_19counting_iterator_tIlEES8_S8_S8_S8_S8_S8_S8_S8_EEEEPS9_S9_NSD_9__find_if7functorIS9_EEEE10hipError_tPvRmT1_T2_T3_mT4_P12ihipStream_tbEUlT_E1_NS1_11comp_targetILNS1_3genE8ELNS1_11target_archE1030ELNS1_3gpuE2ELNS1_3repE0EEENS1_30default_config_static_selectorELNS0_4arch9wavefront6targetE1EEEvS14_
	.p2align	8
	.type	_ZN7rocprim17ROCPRIM_400000_NS6detail17trampoline_kernelINS0_14default_configENS1_22reduce_config_selectorIN6thrust23THRUST_200600_302600_NS5tupleIblNS6_9null_typeES8_S8_S8_S8_S8_S8_S8_EEEEZNS1_11reduce_implILb1ES3_NS6_12zip_iteratorINS7_INS6_11hip_rocprim26transform_input_iterator_tIbNSD_35transform_pair_of_input_iterators_tIbNS6_6detail15normal_iteratorINS6_10device_ptrIKsEEEESL_NS6_8equal_toIsEEEENSG_9not_fun_tINSD_8identityEEEEENSD_19counting_iterator_tIlEES8_S8_S8_S8_S8_S8_S8_S8_EEEEPS9_S9_NSD_9__find_if7functorIS9_EEEE10hipError_tPvRmT1_T2_T3_mT4_P12ihipStream_tbEUlT_E1_NS1_11comp_targetILNS1_3genE8ELNS1_11target_archE1030ELNS1_3gpuE2ELNS1_3repE0EEENS1_30default_config_static_selectorELNS0_4arch9wavefront6targetE1EEEvS14_,@function
_ZN7rocprim17ROCPRIM_400000_NS6detail17trampoline_kernelINS0_14default_configENS1_22reduce_config_selectorIN6thrust23THRUST_200600_302600_NS5tupleIblNS6_9null_typeES8_S8_S8_S8_S8_S8_S8_EEEEZNS1_11reduce_implILb1ES3_NS6_12zip_iteratorINS7_INS6_11hip_rocprim26transform_input_iterator_tIbNSD_35transform_pair_of_input_iterators_tIbNS6_6detail15normal_iteratorINS6_10device_ptrIKsEEEESL_NS6_8equal_toIsEEEENSG_9not_fun_tINSD_8identityEEEEENSD_19counting_iterator_tIlEES8_S8_S8_S8_S8_S8_S8_S8_EEEEPS9_S9_NSD_9__find_if7functorIS9_EEEE10hipError_tPvRmT1_T2_T3_mT4_P12ihipStream_tbEUlT_E1_NS1_11comp_targetILNS1_3genE8ELNS1_11target_archE1030ELNS1_3gpuE2ELNS1_3repE0EEENS1_30default_config_static_selectorELNS0_4arch9wavefront6targetE1EEEvS14_: ; @_ZN7rocprim17ROCPRIM_400000_NS6detail17trampoline_kernelINS0_14default_configENS1_22reduce_config_selectorIN6thrust23THRUST_200600_302600_NS5tupleIblNS6_9null_typeES8_S8_S8_S8_S8_S8_S8_EEEEZNS1_11reduce_implILb1ES3_NS6_12zip_iteratorINS7_INS6_11hip_rocprim26transform_input_iterator_tIbNSD_35transform_pair_of_input_iterators_tIbNS6_6detail15normal_iteratorINS6_10device_ptrIKsEEEESL_NS6_8equal_toIsEEEENSG_9not_fun_tINSD_8identityEEEEENSD_19counting_iterator_tIlEES8_S8_S8_S8_S8_S8_S8_S8_EEEEPS9_S9_NSD_9__find_if7functorIS9_EEEE10hipError_tPvRmT1_T2_T3_mT4_P12ihipStream_tbEUlT_E1_NS1_11comp_targetILNS1_3genE8ELNS1_11target_archE1030ELNS1_3gpuE2ELNS1_3repE0EEENS1_30default_config_static_selectorELNS0_4arch9wavefront6targetE1EEEvS14_
; %bb.0:
	.section	.rodata,"a",@progbits
	.p2align	6, 0x0
	.amdhsa_kernel _ZN7rocprim17ROCPRIM_400000_NS6detail17trampoline_kernelINS0_14default_configENS1_22reduce_config_selectorIN6thrust23THRUST_200600_302600_NS5tupleIblNS6_9null_typeES8_S8_S8_S8_S8_S8_S8_EEEEZNS1_11reduce_implILb1ES3_NS6_12zip_iteratorINS7_INS6_11hip_rocprim26transform_input_iterator_tIbNSD_35transform_pair_of_input_iterators_tIbNS6_6detail15normal_iteratorINS6_10device_ptrIKsEEEESL_NS6_8equal_toIsEEEENSG_9not_fun_tINSD_8identityEEEEENSD_19counting_iterator_tIlEES8_S8_S8_S8_S8_S8_S8_S8_EEEEPS9_S9_NSD_9__find_if7functorIS9_EEEE10hipError_tPvRmT1_T2_T3_mT4_P12ihipStream_tbEUlT_E1_NS1_11comp_targetILNS1_3genE8ELNS1_11target_archE1030ELNS1_3gpuE2ELNS1_3repE0EEENS1_30default_config_static_selectorELNS0_4arch9wavefront6targetE1EEEvS14_
		.amdhsa_group_segment_fixed_size 0
		.amdhsa_private_segment_fixed_size 0
		.amdhsa_kernarg_size 88
		.amdhsa_user_sgpr_count 2
		.amdhsa_user_sgpr_dispatch_ptr 0
		.amdhsa_user_sgpr_queue_ptr 0
		.amdhsa_user_sgpr_kernarg_segment_ptr 1
		.amdhsa_user_sgpr_dispatch_id 0
		.amdhsa_user_sgpr_kernarg_preload_length 0
		.amdhsa_user_sgpr_kernarg_preload_offset 0
		.amdhsa_user_sgpr_private_segment_size 0
		.amdhsa_uses_dynamic_stack 0
		.amdhsa_enable_private_segment 0
		.amdhsa_system_sgpr_workgroup_id_x 1
		.amdhsa_system_sgpr_workgroup_id_y 0
		.amdhsa_system_sgpr_workgroup_id_z 0
		.amdhsa_system_sgpr_workgroup_info 0
		.amdhsa_system_vgpr_workitem_id 0
		.amdhsa_next_free_vgpr 1
		.amdhsa_next_free_sgpr 0
		.amdhsa_accum_offset 4
		.amdhsa_reserve_vcc 0
		.amdhsa_float_round_mode_32 0
		.amdhsa_float_round_mode_16_64 0
		.amdhsa_float_denorm_mode_32 3
		.amdhsa_float_denorm_mode_16_64 3
		.amdhsa_dx10_clamp 1
		.amdhsa_ieee_mode 1
		.amdhsa_fp16_overflow 0
		.amdhsa_tg_split 0
		.amdhsa_exception_fp_ieee_invalid_op 0
		.amdhsa_exception_fp_denorm_src 0
		.amdhsa_exception_fp_ieee_div_zero 0
		.amdhsa_exception_fp_ieee_overflow 0
		.amdhsa_exception_fp_ieee_underflow 0
		.amdhsa_exception_fp_ieee_inexact 0
		.amdhsa_exception_int_div_zero 0
	.end_amdhsa_kernel
	.section	.text._ZN7rocprim17ROCPRIM_400000_NS6detail17trampoline_kernelINS0_14default_configENS1_22reduce_config_selectorIN6thrust23THRUST_200600_302600_NS5tupleIblNS6_9null_typeES8_S8_S8_S8_S8_S8_S8_EEEEZNS1_11reduce_implILb1ES3_NS6_12zip_iteratorINS7_INS6_11hip_rocprim26transform_input_iterator_tIbNSD_35transform_pair_of_input_iterators_tIbNS6_6detail15normal_iteratorINS6_10device_ptrIKsEEEESL_NS6_8equal_toIsEEEENSG_9not_fun_tINSD_8identityEEEEENSD_19counting_iterator_tIlEES8_S8_S8_S8_S8_S8_S8_S8_EEEEPS9_S9_NSD_9__find_if7functorIS9_EEEE10hipError_tPvRmT1_T2_T3_mT4_P12ihipStream_tbEUlT_E1_NS1_11comp_targetILNS1_3genE8ELNS1_11target_archE1030ELNS1_3gpuE2ELNS1_3repE0EEENS1_30default_config_static_selectorELNS0_4arch9wavefront6targetE1EEEvS14_,"axG",@progbits,_ZN7rocprim17ROCPRIM_400000_NS6detail17trampoline_kernelINS0_14default_configENS1_22reduce_config_selectorIN6thrust23THRUST_200600_302600_NS5tupleIblNS6_9null_typeES8_S8_S8_S8_S8_S8_S8_EEEEZNS1_11reduce_implILb1ES3_NS6_12zip_iteratorINS7_INS6_11hip_rocprim26transform_input_iterator_tIbNSD_35transform_pair_of_input_iterators_tIbNS6_6detail15normal_iteratorINS6_10device_ptrIKsEEEESL_NS6_8equal_toIsEEEENSG_9not_fun_tINSD_8identityEEEEENSD_19counting_iterator_tIlEES8_S8_S8_S8_S8_S8_S8_S8_EEEEPS9_S9_NSD_9__find_if7functorIS9_EEEE10hipError_tPvRmT1_T2_T3_mT4_P12ihipStream_tbEUlT_E1_NS1_11comp_targetILNS1_3genE8ELNS1_11target_archE1030ELNS1_3gpuE2ELNS1_3repE0EEENS1_30default_config_static_selectorELNS0_4arch9wavefront6targetE1EEEvS14_,comdat
.Lfunc_end189:
	.size	_ZN7rocprim17ROCPRIM_400000_NS6detail17trampoline_kernelINS0_14default_configENS1_22reduce_config_selectorIN6thrust23THRUST_200600_302600_NS5tupleIblNS6_9null_typeES8_S8_S8_S8_S8_S8_S8_EEEEZNS1_11reduce_implILb1ES3_NS6_12zip_iteratorINS7_INS6_11hip_rocprim26transform_input_iterator_tIbNSD_35transform_pair_of_input_iterators_tIbNS6_6detail15normal_iteratorINS6_10device_ptrIKsEEEESL_NS6_8equal_toIsEEEENSG_9not_fun_tINSD_8identityEEEEENSD_19counting_iterator_tIlEES8_S8_S8_S8_S8_S8_S8_S8_EEEEPS9_S9_NSD_9__find_if7functorIS9_EEEE10hipError_tPvRmT1_T2_T3_mT4_P12ihipStream_tbEUlT_E1_NS1_11comp_targetILNS1_3genE8ELNS1_11target_archE1030ELNS1_3gpuE2ELNS1_3repE0EEENS1_30default_config_static_selectorELNS0_4arch9wavefront6targetE1EEEvS14_, .Lfunc_end189-_ZN7rocprim17ROCPRIM_400000_NS6detail17trampoline_kernelINS0_14default_configENS1_22reduce_config_selectorIN6thrust23THRUST_200600_302600_NS5tupleIblNS6_9null_typeES8_S8_S8_S8_S8_S8_S8_EEEEZNS1_11reduce_implILb1ES3_NS6_12zip_iteratorINS7_INS6_11hip_rocprim26transform_input_iterator_tIbNSD_35transform_pair_of_input_iterators_tIbNS6_6detail15normal_iteratorINS6_10device_ptrIKsEEEESL_NS6_8equal_toIsEEEENSG_9not_fun_tINSD_8identityEEEEENSD_19counting_iterator_tIlEES8_S8_S8_S8_S8_S8_S8_S8_EEEEPS9_S9_NSD_9__find_if7functorIS9_EEEE10hipError_tPvRmT1_T2_T3_mT4_P12ihipStream_tbEUlT_E1_NS1_11comp_targetILNS1_3genE8ELNS1_11target_archE1030ELNS1_3gpuE2ELNS1_3repE0EEENS1_30default_config_static_selectorELNS0_4arch9wavefront6targetE1EEEvS14_
                                        ; -- End function
	.section	.AMDGPU.csdata,"",@progbits
; Kernel info:
; codeLenInByte = 0
; NumSgprs: 6
; NumVgprs: 0
; NumAgprs: 0
; TotalNumVgprs: 0
; ScratchSize: 0
; MemoryBound: 0
; FloatMode: 240
; IeeeMode: 1
; LDSByteSize: 0 bytes/workgroup (compile time only)
; SGPRBlocks: 0
; VGPRBlocks: 0
; NumSGPRsForWavesPerEU: 6
; NumVGPRsForWavesPerEU: 1
; AccumOffset: 4
; Occupancy: 8
; WaveLimiterHint : 0
; COMPUTE_PGM_RSRC2:SCRATCH_EN: 0
; COMPUTE_PGM_RSRC2:USER_SGPR: 2
; COMPUTE_PGM_RSRC2:TRAP_HANDLER: 0
; COMPUTE_PGM_RSRC2:TGID_X_EN: 1
; COMPUTE_PGM_RSRC2:TGID_Y_EN: 0
; COMPUTE_PGM_RSRC2:TGID_Z_EN: 0
; COMPUTE_PGM_RSRC2:TIDIG_COMP_CNT: 0
; COMPUTE_PGM_RSRC3_GFX90A:ACCUM_OFFSET: 0
; COMPUTE_PGM_RSRC3_GFX90A:TG_SPLIT: 0
	.section	.text._ZN7rocprim17ROCPRIM_400000_NS6detail17trampoline_kernelINS0_14default_configENS1_25partition_config_selectorILNS1_17partition_subalgoE2ExNS0_10empty_typeEbEEZZNS1_14partition_implILS5_2ELb0ES3_jN6thrust23THRUST_200600_302600_NS6detail15normal_iteratorINSA_7pointerIxNSA_11hip_rocprim3tagENSA_11use_defaultESG_EEEEPS6_NSA_18transform_iteratorI7is_evenIxENSC_INSA_10device_ptrIxEEEESG_SG_EENS0_5tupleIJPxSJ_EEENSR_IJSJ_SJ_EEES6_PlJS6_EEE10hipError_tPvRmT3_T4_T5_T6_T7_T9_mT8_P12ihipStream_tbDpT10_ENKUlT_T0_E_clISt17integral_constantIbLb0EES1F_EEDaS1A_S1B_EUlS1A_E_NS1_11comp_targetILNS1_3genE0ELNS1_11target_archE4294967295ELNS1_3gpuE0ELNS1_3repE0EEENS1_30default_config_static_selectorELNS0_4arch9wavefront6targetE1EEEvT1_,"axG",@progbits,_ZN7rocprim17ROCPRIM_400000_NS6detail17trampoline_kernelINS0_14default_configENS1_25partition_config_selectorILNS1_17partition_subalgoE2ExNS0_10empty_typeEbEEZZNS1_14partition_implILS5_2ELb0ES3_jN6thrust23THRUST_200600_302600_NS6detail15normal_iteratorINSA_7pointerIxNSA_11hip_rocprim3tagENSA_11use_defaultESG_EEEEPS6_NSA_18transform_iteratorI7is_evenIxENSC_INSA_10device_ptrIxEEEESG_SG_EENS0_5tupleIJPxSJ_EEENSR_IJSJ_SJ_EEES6_PlJS6_EEE10hipError_tPvRmT3_T4_T5_T6_T7_T9_mT8_P12ihipStream_tbDpT10_ENKUlT_T0_E_clISt17integral_constantIbLb0EES1F_EEDaS1A_S1B_EUlS1A_E_NS1_11comp_targetILNS1_3genE0ELNS1_11target_archE4294967295ELNS1_3gpuE0ELNS1_3repE0EEENS1_30default_config_static_selectorELNS0_4arch9wavefront6targetE1EEEvT1_,comdat
	.protected	_ZN7rocprim17ROCPRIM_400000_NS6detail17trampoline_kernelINS0_14default_configENS1_25partition_config_selectorILNS1_17partition_subalgoE2ExNS0_10empty_typeEbEEZZNS1_14partition_implILS5_2ELb0ES3_jN6thrust23THRUST_200600_302600_NS6detail15normal_iteratorINSA_7pointerIxNSA_11hip_rocprim3tagENSA_11use_defaultESG_EEEEPS6_NSA_18transform_iteratorI7is_evenIxENSC_INSA_10device_ptrIxEEEESG_SG_EENS0_5tupleIJPxSJ_EEENSR_IJSJ_SJ_EEES6_PlJS6_EEE10hipError_tPvRmT3_T4_T5_T6_T7_T9_mT8_P12ihipStream_tbDpT10_ENKUlT_T0_E_clISt17integral_constantIbLb0EES1F_EEDaS1A_S1B_EUlS1A_E_NS1_11comp_targetILNS1_3genE0ELNS1_11target_archE4294967295ELNS1_3gpuE0ELNS1_3repE0EEENS1_30default_config_static_selectorELNS0_4arch9wavefront6targetE1EEEvT1_ ; -- Begin function _ZN7rocprim17ROCPRIM_400000_NS6detail17trampoline_kernelINS0_14default_configENS1_25partition_config_selectorILNS1_17partition_subalgoE2ExNS0_10empty_typeEbEEZZNS1_14partition_implILS5_2ELb0ES3_jN6thrust23THRUST_200600_302600_NS6detail15normal_iteratorINSA_7pointerIxNSA_11hip_rocprim3tagENSA_11use_defaultESG_EEEEPS6_NSA_18transform_iteratorI7is_evenIxENSC_INSA_10device_ptrIxEEEESG_SG_EENS0_5tupleIJPxSJ_EEENSR_IJSJ_SJ_EEES6_PlJS6_EEE10hipError_tPvRmT3_T4_T5_T6_T7_T9_mT8_P12ihipStream_tbDpT10_ENKUlT_T0_E_clISt17integral_constantIbLb0EES1F_EEDaS1A_S1B_EUlS1A_E_NS1_11comp_targetILNS1_3genE0ELNS1_11target_archE4294967295ELNS1_3gpuE0ELNS1_3repE0EEENS1_30default_config_static_selectorELNS0_4arch9wavefront6targetE1EEEvT1_
	.globl	_ZN7rocprim17ROCPRIM_400000_NS6detail17trampoline_kernelINS0_14default_configENS1_25partition_config_selectorILNS1_17partition_subalgoE2ExNS0_10empty_typeEbEEZZNS1_14partition_implILS5_2ELb0ES3_jN6thrust23THRUST_200600_302600_NS6detail15normal_iteratorINSA_7pointerIxNSA_11hip_rocprim3tagENSA_11use_defaultESG_EEEEPS6_NSA_18transform_iteratorI7is_evenIxENSC_INSA_10device_ptrIxEEEESG_SG_EENS0_5tupleIJPxSJ_EEENSR_IJSJ_SJ_EEES6_PlJS6_EEE10hipError_tPvRmT3_T4_T5_T6_T7_T9_mT8_P12ihipStream_tbDpT10_ENKUlT_T0_E_clISt17integral_constantIbLb0EES1F_EEDaS1A_S1B_EUlS1A_E_NS1_11comp_targetILNS1_3genE0ELNS1_11target_archE4294967295ELNS1_3gpuE0ELNS1_3repE0EEENS1_30default_config_static_selectorELNS0_4arch9wavefront6targetE1EEEvT1_
	.p2align	8
	.type	_ZN7rocprim17ROCPRIM_400000_NS6detail17trampoline_kernelINS0_14default_configENS1_25partition_config_selectorILNS1_17partition_subalgoE2ExNS0_10empty_typeEbEEZZNS1_14partition_implILS5_2ELb0ES3_jN6thrust23THRUST_200600_302600_NS6detail15normal_iteratorINSA_7pointerIxNSA_11hip_rocprim3tagENSA_11use_defaultESG_EEEEPS6_NSA_18transform_iteratorI7is_evenIxENSC_INSA_10device_ptrIxEEEESG_SG_EENS0_5tupleIJPxSJ_EEENSR_IJSJ_SJ_EEES6_PlJS6_EEE10hipError_tPvRmT3_T4_T5_T6_T7_T9_mT8_P12ihipStream_tbDpT10_ENKUlT_T0_E_clISt17integral_constantIbLb0EES1F_EEDaS1A_S1B_EUlS1A_E_NS1_11comp_targetILNS1_3genE0ELNS1_11target_archE4294967295ELNS1_3gpuE0ELNS1_3repE0EEENS1_30default_config_static_selectorELNS0_4arch9wavefront6targetE1EEEvT1_,@function
_ZN7rocprim17ROCPRIM_400000_NS6detail17trampoline_kernelINS0_14default_configENS1_25partition_config_selectorILNS1_17partition_subalgoE2ExNS0_10empty_typeEbEEZZNS1_14partition_implILS5_2ELb0ES3_jN6thrust23THRUST_200600_302600_NS6detail15normal_iteratorINSA_7pointerIxNSA_11hip_rocprim3tagENSA_11use_defaultESG_EEEEPS6_NSA_18transform_iteratorI7is_evenIxENSC_INSA_10device_ptrIxEEEESG_SG_EENS0_5tupleIJPxSJ_EEENSR_IJSJ_SJ_EEES6_PlJS6_EEE10hipError_tPvRmT3_T4_T5_T6_T7_T9_mT8_P12ihipStream_tbDpT10_ENKUlT_T0_E_clISt17integral_constantIbLb0EES1F_EEDaS1A_S1B_EUlS1A_E_NS1_11comp_targetILNS1_3genE0ELNS1_11target_archE4294967295ELNS1_3gpuE0ELNS1_3repE0EEENS1_30default_config_static_selectorELNS0_4arch9wavefront6targetE1EEEvT1_: ; @_ZN7rocprim17ROCPRIM_400000_NS6detail17trampoline_kernelINS0_14default_configENS1_25partition_config_selectorILNS1_17partition_subalgoE2ExNS0_10empty_typeEbEEZZNS1_14partition_implILS5_2ELb0ES3_jN6thrust23THRUST_200600_302600_NS6detail15normal_iteratorINSA_7pointerIxNSA_11hip_rocprim3tagENSA_11use_defaultESG_EEEEPS6_NSA_18transform_iteratorI7is_evenIxENSC_INSA_10device_ptrIxEEEESG_SG_EENS0_5tupleIJPxSJ_EEENSR_IJSJ_SJ_EEES6_PlJS6_EEE10hipError_tPvRmT3_T4_T5_T6_T7_T9_mT8_P12ihipStream_tbDpT10_ENKUlT_T0_E_clISt17integral_constantIbLb0EES1F_EEDaS1A_S1B_EUlS1A_E_NS1_11comp_targetILNS1_3genE0ELNS1_11target_archE4294967295ELNS1_3gpuE0ELNS1_3repE0EEENS1_30default_config_static_selectorELNS0_4arch9wavefront6targetE1EEEvT1_
; %bb.0:
	.section	.rodata,"a",@progbits
	.p2align	6, 0x0
	.amdhsa_kernel _ZN7rocprim17ROCPRIM_400000_NS6detail17trampoline_kernelINS0_14default_configENS1_25partition_config_selectorILNS1_17partition_subalgoE2ExNS0_10empty_typeEbEEZZNS1_14partition_implILS5_2ELb0ES3_jN6thrust23THRUST_200600_302600_NS6detail15normal_iteratorINSA_7pointerIxNSA_11hip_rocprim3tagENSA_11use_defaultESG_EEEEPS6_NSA_18transform_iteratorI7is_evenIxENSC_INSA_10device_ptrIxEEEESG_SG_EENS0_5tupleIJPxSJ_EEENSR_IJSJ_SJ_EEES6_PlJS6_EEE10hipError_tPvRmT3_T4_T5_T6_T7_T9_mT8_P12ihipStream_tbDpT10_ENKUlT_T0_E_clISt17integral_constantIbLb0EES1F_EEDaS1A_S1B_EUlS1A_E_NS1_11comp_targetILNS1_3genE0ELNS1_11target_archE4294967295ELNS1_3gpuE0ELNS1_3repE0EEENS1_30default_config_static_selectorELNS0_4arch9wavefront6targetE1EEEvT1_
		.amdhsa_group_segment_fixed_size 0
		.amdhsa_private_segment_fixed_size 0
		.amdhsa_kernarg_size 128
		.amdhsa_user_sgpr_count 2
		.amdhsa_user_sgpr_dispatch_ptr 0
		.amdhsa_user_sgpr_queue_ptr 0
		.amdhsa_user_sgpr_kernarg_segment_ptr 1
		.amdhsa_user_sgpr_dispatch_id 0
		.amdhsa_user_sgpr_kernarg_preload_length 0
		.amdhsa_user_sgpr_kernarg_preload_offset 0
		.amdhsa_user_sgpr_private_segment_size 0
		.amdhsa_uses_dynamic_stack 0
		.amdhsa_enable_private_segment 0
		.amdhsa_system_sgpr_workgroup_id_x 1
		.amdhsa_system_sgpr_workgroup_id_y 0
		.amdhsa_system_sgpr_workgroup_id_z 0
		.amdhsa_system_sgpr_workgroup_info 0
		.amdhsa_system_vgpr_workitem_id 0
		.amdhsa_next_free_vgpr 1
		.amdhsa_next_free_sgpr 0
		.amdhsa_accum_offset 4
		.amdhsa_reserve_vcc 0
		.amdhsa_float_round_mode_32 0
		.amdhsa_float_round_mode_16_64 0
		.amdhsa_float_denorm_mode_32 3
		.amdhsa_float_denorm_mode_16_64 3
		.amdhsa_dx10_clamp 1
		.amdhsa_ieee_mode 1
		.amdhsa_fp16_overflow 0
		.amdhsa_tg_split 0
		.amdhsa_exception_fp_ieee_invalid_op 0
		.amdhsa_exception_fp_denorm_src 0
		.amdhsa_exception_fp_ieee_div_zero 0
		.amdhsa_exception_fp_ieee_overflow 0
		.amdhsa_exception_fp_ieee_underflow 0
		.amdhsa_exception_fp_ieee_inexact 0
		.amdhsa_exception_int_div_zero 0
	.end_amdhsa_kernel
	.section	.text._ZN7rocprim17ROCPRIM_400000_NS6detail17trampoline_kernelINS0_14default_configENS1_25partition_config_selectorILNS1_17partition_subalgoE2ExNS0_10empty_typeEbEEZZNS1_14partition_implILS5_2ELb0ES3_jN6thrust23THRUST_200600_302600_NS6detail15normal_iteratorINSA_7pointerIxNSA_11hip_rocprim3tagENSA_11use_defaultESG_EEEEPS6_NSA_18transform_iteratorI7is_evenIxENSC_INSA_10device_ptrIxEEEESG_SG_EENS0_5tupleIJPxSJ_EEENSR_IJSJ_SJ_EEES6_PlJS6_EEE10hipError_tPvRmT3_T4_T5_T6_T7_T9_mT8_P12ihipStream_tbDpT10_ENKUlT_T0_E_clISt17integral_constantIbLb0EES1F_EEDaS1A_S1B_EUlS1A_E_NS1_11comp_targetILNS1_3genE0ELNS1_11target_archE4294967295ELNS1_3gpuE0ELNS1_3repE0EEENS1_30default_config_static_selectorELNS0_4arch9wavefront6targetE1EEEvT1_,"axG",@progbits,_ZN7rocprim17ROCPRIM_400000_NS6detail17trampoline_kernelINS0_14default_configENS1_25partition_config_selectorILNS1_17partition_subalgoE2ExNS0_10empty_typeEbEEZZNS1_14partition_implILS5_2ELb0ES3_jN6thrust23THRUST_200600_302600_NS6detail15normal_iteratorINSA_7pointerIxNSA_11hip_rocprim3tagENSA_11use_defaultESG_EEEEPS6_NSA_18transform_iteratorI7is_evenIxENSC_INSA_10device_ptrIxEEEESG_SG_EENS0_5tupleIJPxSJ_EEENSR_IJSJ_SJ_EEES6_PlJS6_EEE10hipError_tPvRmT3_T4_T5_T6_T7_T9_mT8_P12ihipStream_tbDpT10_ENKUlT_T0_E_clISt17integral_constantIbLb0EES1F_EEDaS1A_S1B_EUlS1A_E_NS1_11comp_targetILNS1_3genE0ELNS1_11target_archE4294967295ELNS1_3gpuE0ELNS1_3repE0EEENS1_30default_config_static_selectorELNS0_4arch9wavefront6targetE1EEEvT1_,comdat
.Lfunc_end190:
	.size	_ZN7rocprim17ROCPRIM_400000_NS6detail17trampoline_kernelINS0_14default_configENS1_25partition_config_selectorILNS1_17partition_subalgoE2ExNS0_10empty_typeEbEEZZNS1_14partition_implILS5_2ELb0ES3_jN6thrust23THRUST_200600_302600_NS6detail15normal_iteratorINSA_7pointerIxNSA_11hip_rocprim3tagENSA_11use_defaultESG_EEEEPS6_NSA_18transform_iteratorI7is_evenIxENSC_INSA_10device_ptrIxEEEESG_SG_EENS0_5tupleIJPxSJ_EEENSR_IJSJ_SJ_EEES6_PlJS6_EEE10hipError_tPvRmT3_T4_T5_T6_T7_T9_mT8_P12ihipStream_tbDpT10_ENKUlT_T0_E_clISt17integral_constantIbLb0EES1F_EEDaS1A_S1B_EUlS1A_E_NS1_11comp_targetILNS1_3genE0ELNS1_11target_archE4294967295ELNS1_3gpuE0ELNS1_3repE0EEENS1_30default_config_static_selectorELNS0_4arch9wavefront6targetE1EEEvT1_, .Lfunc_end190-_ZN7rocprim17ROCPRIM_400000_NS6detail17trampoline_kernelINS0_14default_configENS1_25partition_config_selectorILNS1_17partition_subalgoE2ExNS0_10empty_typeEbEEZZNS1_14partition_implILS5_2ELb0ES3_jN6thrust23THRUST_200600_302600_NS6detail15normal_iteratorINSA_7pointerIxNSA_11hip_rocprim3tagENSA_11use_defaultESG_EEEEPS6_NSA_18transform_iteratorI7is_evenIxENSC_INSA_10device_ptrIxEEEESG_SG_EENS0_5tupleIJPxSJ_EEENSR_IJSJ_SJ_EEES6_PlJS6_EEE10hipError_tPvRmT3_T4_T5_T6_T7_T9_mT8_P12ihipStream_tbDpT10_ENKUlT_T0_E_clISt17integral_constantIbLb0EES1F_EEDaS1A_S1B_EUlS1A_E_NS1_11comp_targetILNS1_3genE0ELNS1_11target_archE4294967295ELNS1_3gpuE0ELNS1_3repE0EEENS1_30default_config_static_selectorELNS0_4arch9wavefront6targetE1EEEvT1_
                                        ; -- End function
	.section	.AMDGPU.csdata,"",@progbits
; Kernel info:
; codeLenInByte = 0
; NumSgprs: 6
; NumVgprs: 0
; NumAgprs: 0
; TotalNumVgprs: 0
; ScratchSize: 0
; MemoryBound: 0
; FloatMode: 240
; IeeeMode: 1
; LDSByteSize: 0 bytes/workgroup (compile time only)
; SGPRBlocks: 0
; VGPRBlocks: 0
; NumSGPRsForWavesPerEU: 6
; NumVGPRsForWavesPerEU: 1
; AccumOffset: 4
; Occupancy: 8
; WaveLimiterHint : 0
; COMPUTE_PGM_RSRC2:SCRATCH_EN: 0
; COMPUTE_PGM_RSRC2:USER_SGPR: 2
; COMPUTE_PGM_RSRC2:TRAP_HANDLER: 0
; COMPUTE_PGM_RSRC2:TGID_X_EN: 1
; COMPUTE_PGM_RSRC2:TGID_Y_EN: 0
; COMPUTE_PGM_RSRC2:TGID_Z_EN: 0
; COMPUTE_PGM_RSRC2:TIDIG_COMP_CNT: 0
; COMPUTE_PGM_RSRC3_GFX90A:ACCUM_OFFSET: 0
; COMPUTE_PGM_RSRC3_GFX90A:TG_SPLIT: 0
	.section	.text._ZN7rocprim17ROCPRIM_400000_NS6detail17trampoline_kernelINS0_14default_configENS1_25partition_config_selectorILNS1_17partition_subalgoE2ExNS0_10empty_typeEbEEZZNS1_14partition_implILS5_2ELb0ES3_jN6thrust23THRUST_200600_302600_NS6detail15normal_iteratorINSA_7pointerIxNSA_11hip_rocprim3tagENSA_11use_defaultESG_EEEEPS6_NSA_18transform_iteratorI7is_evenIxENSC_INSA_10device_ptrIxEEEESG_SG_EENS0_5tupleIJPxSJ_EEENSR_IJSJ_SJ_EEES6_PlJS6_EEE10hipError_tPvRmT3_T4_T5_T6_T7_T9_mT8_P12ihipStream_tbDpT10_ENKUlT_T0_E_clISt17integral_constantIbLb0EES1F_EEDaS1A_S1B_EUlS1A_E_NS1_11comp_targetILNS1_3genE5ELNS1_11target_archE942ELNS1_3gpuE9ELNS1_3repE0EEENS1_30default_config_static_selectorELNS0_4arch9wavefront6targetE1EEEvT1_,"axG",@progbits,_ZN7rocprim17ROCPRIM_400000_NS6detail17trampoline_kernelINS0_14default_configENS1_25partition_config_selectorILNS1_17partition_subalgoE2ExNS0_10empty_typeEbEEZZNS1_14partition_implILS5_2ELb0ES3_jN6thrust23THRUST_200600_302600_NS6detail15normal_iteratorINSA_7pointerIxNSA_11hip_rocprim3tagENSA_11use_defaultESG_EEEEPS6_NSA_18transform_iteratorI7is_evenIxENSC_INSA_10device_ptrIxEEEESG_SG_EENS0_5tupleIJPxSJ_EEENSR_IJSJ_SJ_EEES6_PlJS6_EEE10hipError_tPvRmT3_T4_T5_T6_T7_T9_mT8_P12ihipStream_tbDpT10_ENKUlT_T0_E_clISt17integral_constantIbLb0EES1F_EEDaS1A_S1B_EUlS1A_E_NS1_11comp_targetILNS1_3genE5ELNS1_11target_archE942ELNS1_3gpuE9ELNS1_3repE0EEENS1_30default_config_static_selectorELNS0_4arch9wavefront6targetE1EEEvT1_,comdat
	.protected	_ZN7rocprim17ROCPRIM_400000_NS6detail17trampoline_kernelINS0_14default_configENS1_25partition_config_selectorILNS1_17partition_subalgoE2ExNS0_10empty_typeEbEEZZNS1_14partition_implILS5_2ELb0ES3_jN6thrust23THRUST_200600_302600_NS6detail15normal_iteratorINSA_7pointerIxNSA_11hip_rocprim3tagENSA_11use_defaultESG_EEEEPS6_NSA_18transform_iteratorI7is_evenIxENSC_INSA_10device_ptrIxEEEESG_SG_EENS0_5tupleIJPxSJ_EEENSR_IJSJ_SJ_EEES6_PlJS6_EEE10hipError_tPvRmT3_T4_T5_T6_T7_T9_mT8_P12ihipStream_tbDpT10_ENKUlT_T0_E_clISt17integral_constantIbLb0EES1F_EEDaS1A_S1B_EUlS1A_E_NS1_11comp_targetILNS1_3genE5ELNS1_11target_archE942ELNS1_3gpuE9ELNS1_3repE0EEENS1_30default_config_static_selectorELNS0_4arch9wavefront6targetE1EEEvT1_ ; -- Begin function _ZN7rocprim17ROCPRIM_400000_NS6detail17trampoline_kernelINS0_14default_configENS1_25partition_config_selectorILNS1_17partition_subalgoE2ExNS0_10empty_typeEbEEZZNS1_14partition_implILS5_2ELb0ES3_jN6thrust23THRUST_200600_302600_NS6detail15normal_iteratorINSA_7pointerIxNSA_11hip_rocprim3tagENSA_11use_defaultESG_EEEEPS6_NSA_18transform_iteratorI7is_evenIxENSC_INSA_10device_ptrIxEEEESG_SG_EENS0_5tupleIJPxSJ_EEENSR_IJSJ_SJ_EEES6_PlJS6_EEE10hipError_tPvRmT3_T4_T5_T6_T7_T9_mT8_P12ihipStream_tbDpT10_ENKUlT_T0_E_clISt17integral_constantIbLb0EES1F_EEDaS1A_S1B_EUlS1A_E_NS1_11comp_targetILNS1_3genE5ELNS1_11target_archE942ELNS1_3gpuE9ELNS1_3repE0EEENS1_30default_config_static_selectorELNS0_4arch9wavefront6targetE1EEEvT1_
	.globl	_ZN7rocprim17ROCPRIM_400000_NS6detail17trampoline_kernelINS0_14default_configENS1_25partition_config_selectorILNS1_17partition_subalgoE2ExNS0_10empty_typeEbEEZZNS1_14partition_implILS5_2ELb0ES3_jN6thrust23THRUST_200600_302600_NS6detail15normal_iteratorINSA_7pointerIxNSA_11hip_rocprim3tagENSA_11use_defaultESG_EEEEPS6_NSA_18transform_iteratorI7is_evenIxENSC_INSA_10device_ptrIxEEEESG_SG_EENS0_5tupleIJPxSJ_EEENSR_IJSJ_SJ_EEES6_PlJS6_EEE10hipError_tPvRmT3_T4_T5_T6_T7_T9_mT8_P12ihipStream_tbDpT10_ENKUlT_T0_E_clISt17integral_constantIbLb0EES1F_EEDaS1A_S1B_EUlS1A_E_NS1_11comp_targetILNS1_3genE5ELNS1_11target_archE942ELNS1_3gpuE9ELNS1_3repE0EEENS1_30default_config_static_selectorELNS0_4arch9wavefront6targetE1EEEvT1_
	.p2align	8
	.type	_ZN7rocprim17ROCPRIM_400000_NS6detail17trampoline_kernelINS0_14default_configENS1_25partition_config_selectorILNS1_17partition_subalgoE2ExNS0_10empty_typeEbEEZZNS1_14partition_implILS5_2ELb0ES3_jN6thrust23THRUST_200600_302600_NS6detail15normal_iteratorINSA_7pointerIxNSA_11hip_rocprim3tagENSA_11use_defaultESG_EEEEPS6_NSA_18transform_iteratorI7is_evenIxENSC_INSA_10device_ptrIxEEEESG_SG_EENS0_5tupleIJPxSJ_EEENSR_IJSJ_SJ_EEES6_PlJS6_EEE10hipError_tPvRmT3_T4_T5_T6_T7_T9_mT8_P12ihipStream_tbDpT10_ENKUlT_T0_E_clISt17integral_constantIbLb0EES1F_EEDaS1A_S1B_EUlS1A_E_NS1_11comp_targetILNS1_3genE5ELNS1_11target_archE942ELNS1_3gpuE9ELNS1_3repE0EEENS1_30default_config_static_selectorELNS0_4arch9wavefront6targetE1EEEvT1_,@function
_ZN7rocprim17ROCPRIM_400000_NS6detail17trampoline_kernelINS0_14default_configENS1_25partition_config_selectorILNS1_17partition_subalgoE2ExNS0_10empty_typeEbEEZZNS1_14partition_implILS5_2ELb0ES3_jN6thrust23THRUST_200600_302600_NS6detail15normal_iteratorINSA_7pointerIxNSA_11hip_rocprim3tagENSA_11use_defaultESG_EEEEPS6_NSA_18transform_iteratorI7is_evenIxENSC_INSA_10device_ptrIxEEEESG_SG_EENS0_5tupleIJPxSJ_EEENSR_IJSJ_SJ_EEES6_PlJS6_EEE10hipError_tPvRmT3_T4_T5_T6_T7_T9_mT8_P12ihipStream_tbDpT10_ENKUlT_T0_E_clISt17integral_constantIbLb0EES1F_EEDaS1A_S1B_EUlS1A_E_NS1_11comp_targetILNS1_3genE5ELNS1_11target_archE942ELNS1_3gpuE9ELNS1_3repE0EEENS1_30default_config_static_selectorELNS0_4arch9wavefront6targetE1EEEvT1_: ; @_ZN7rocprim17ROCPRIM_400000_NS6detail17trampoline_kernelINS0_14default_configENS1_25partition_config_selectorILNS1_17partition_subalgoE2ExNS0_10empty_typeEbEEZZNS1_14partition_implILS5_2ELb0ES3_jN6thrust23THRUST_200600_302600_NS6detail15normal_iteratorINSA_7pointerIxNSA_11hip_rocprim3tagENSA_11use_defaultESG_EEEEPS6_NSA_18transform_iteratorI7is_evenIxENSC_INSA_10device_ptrIxEEEESG_SG_EENS0_5tupleIJPxSJ_EEENSR_IJSJ_SJ_EEES6_PlJS6_EEE10hipError_tPvRmT3_T4_T5_T6_T7_T9_mT8_P12ihipStream_tbDpT10_ENKUlT_T0_E_clISt17integral_constantIbLb0EES1F_EEDaS1A_S1B_EUlS1A_E_NS1_11comp_targetILNS1_3genE5ELNS1_11target_archE942ELNS1_3gpuE9ELNS1_3repE0EEENS1_30default_config_static_selectorELNS0_4arch9wavefront6targetE1EEEvT1_
; %bb.0:
	s_load_dwordx4 s[24:27], s[0:1], 0x8
	s_load_dwordx2 s[6:7], s[0:1], 0x20
	s_load_dwordx2 s[28:29], s[0:1], 0x60
	s_load_dwordx4 s[20:23], s[0:1], 0x50
	s_load_dword s3, s[0:1], 0x78
	s_waitcnt lgkmcnt(0)
	s_lshl_b64 s[8:9], s[26:27], 3
	s_add_u32 s12, s24, s8
	s_addc_u32 s13, s25, s9
	s_load_dwordx2 s[30:31], s[22:23], 0x0
	s_add_i32 s10, s3, -1
	s_mulk_i32 s3, 0xe00
	s_add_i32 s4, s3, s26
	s_sub_i32 s33, s28, s4
	s_addk_i32 s33, 0xe00
	s_add_u32 s4, s26, s3
	s_addc_u32 s5, s27, 0
	s_cmp_eq_u32 s2, s10
	v_mov_b64_e32 v[2:3], s[28:29]
	s_cselect_b64 s[22:23], -1, 0
	s_cmp_lg_u32 s2, s10
	s_mul_i32 s24, s2, 0xe00
	s_mov_b32 s25, 0
	v_cmp_lt_u64_e32 vcc, s[4:5], v[2:3]
	s_cselect_b64 s[4:5], -1, 0
	s_or_b64 s[34:35], s[4:5], vcc
	s_lshl_b64 s[10:11], s[24:25], 3
	s_add_u32 s12, s12, s10
	s_addc_u32 s13, s13, s11
	s_mov_b64 s[4:5], -1
	s_and_b64 vcc, exec, s[34:35]
	v_lshlrev_b32_e32 v18, 3, v0
	s_cbranch_vccz .LBB191_2
; %bb.1:
	v_mov_b32_e32 v19, 0
	v_lshl_add_u64 v[2:3], s[12:13], 0, v[18:19]
	v_add_co_u32_e32 v4, vcc, 0x1000, v2
	s_mov_b64 s[4:5], 0
	s_nop 0
	v_addc_co_u32_e32 v5, vcc, 0, v3, vcc
	v_add_co_u32_e32 v6, vcc, 0x2000, v2
	s_nop 1
	v_addc_co_u32_e32 v7, vcc, 0, v3, vcc
	v_add_co_u32_e32 v8, vcc, 0x3000, v2
	s_nop 1
	v_addc_co_u32_e32 v9, vcc, 0, v3, vcc
	flat_load_dwordx2 v[10:11], v[2:3]
	flat_load_dwordx2 v[12:13], v[4:5]
	;; [unrolled: 1-line block ×4, first 2 shown]
	v_add_co_u32_e32 v4, vcc, 0x4000, v2
	s_nop 1
	v_addc_co_u32_e32 v5, vcc, 0, v3, vcc
	v_add_co_u32_e32 v6, vcc, 0x5000, v2
	s_nop 1
	v_addc_co_u32_e32 v7, vcc, 0, v3, vcc
	;; [unrolled: 3-line block ×3, first 2 shown]
	flat_load_dwordx2 v[8:9], v[4:5]
	flat_load_dwordx2 v[20:21], v[6:7]
	;; [unrolled: 1-line block ×3, first 2 shown]
	s_waitcnt vmcnt(0) lgkmcnt(0)
	ds_write2st64_b64 v18, v[10:11], v[12:13] offset1:8
	ds_write2st64_b64 v18, v[14:15], v[16:17] offset0:16 offset1:24
	ds_write2st64_b64 v18, v[8:9], v[20:21] offset0:32 offset1:40
	ds_write_b64 v18, v[22:23] offset:24576
	s_waitcnt lgkmcnt(0)
	s_barrier
.LBB191_2:
	s_andn2_b64 vcc, exec, s[4:5]
	v_cmp_gt_u32_e64 s[4:5], s33, v0
	s_cbranch_vccnz .LBB191_18
; %bb.3:
                                        ; implicit-def: $vgpr2_vgpr3_vgpr4_vgpr5_vgpr6_vgpr7_vgpr8_vgpr9_vgpr10_vgpr11_vgpr12_vgpr13_vgpr14_vgpr15_vgpr16_vgpr17
	s_and_saveexec_b64 s[14:15], s[4:5]
	s_cbranch_execz .LBB191_5
; %bb.4:
	v_mov_b32_e32 v19, 0
	v_lshl_add_u64 v[2:3], s[12:13], 0, v[18:19]
	flat_load_dwordx2 v[2:3], v[2:3]
.LBB191_5:
	s_or_b64 exec, exec, s[14:15]
	v_or_b32_e32 v1, 0x200, v0
	v_cmp_gt_u32_e32 vcc, s33, v1
	s_and_saveexec_b64 s[4:5], vcc
	s_cbranch_execz .LBB191_7
; %bb.6:
	v_lshlrev_b32_e32 v4, 3, v1
	v_mov_b32_e32 v5, 0
	v_lshl_add_u64 v[4:5], s[12:13], 0, v[4:5]
	flat_load_dwordx2 v[4:5], v[4:5]
.LBB191_7:
	s_or_b64 exec, exec, s[4:5]
	v_or_b32_e32 v1, 0x400, v0
	v_cmp_gt_u32_e32 vcc, s33, v1
	s_and_saveexec_b64 s[4:5], vcc
	s_cbranch_execz .LBB191_9
; %bb.8:
	v_lshlrev_b32_e32 v6, 3, v1
	v_mov_b32_e32 v7, 0
	v_lshl_add_u64 v[6:7], s[12:13], 0, v[6:7]
	flat_load_dwordx2 v[6:7], v[6:7]
.LBB191_9:
	;; [unrolled: 11-line block ×6, first 2 shown]
	s_or_b64 exec, exec, s[4:5]
	s_waitcnt vmcnt(0) lgkmcnt(0)
	ds_write2st64_b64 v18, v[2:3], v[4:5] offset1:8
	ds_write2st64_b64 v18, v[6:7], v[8:9] offset0:16 offset1:24
	ds_write2st64_b64 v18, v[10:11], v[12:13] offset0:32 offset1:40
	ds_write_b64 v18, v[14:15] offset:24576
	s_waitcnt lgkmcnt(0)
	s_barrier
.LBB191_18:
	v_mul_u32_u24_e32 v1, 7, v0
	v_lshlrev_b32_e32 v16, 3, v1
	s_waitcnt lgkmcnt(0)
	ds_read2_b64 v[10:13], v16 offset1:1
	ds_read2_b64 v[6:9], v16 offset0:2 offset1:3
	ds_read2_b64 v[2:5], v16 offset0:4 offset1:5
	ds_read_b64 v[14:15], v16 offset:48
	s_add_u32 s3, s6, s8
	s_addc_u32 s5, s7, s9
	s_add_u32 s4, s3, s10
	s_addc_u32 s5, s5, s11
	s_mov_b64 s[6:7], -1
	s_and_b64 vcc, exec, s[34:35]
	s_waitcnt lgkmcnt(0)
	s_barrier
	s_cbranch_vccz .LBB191_20
; %bb.19:
	v_mov_b32_e32 v19, 0
	v_lshl_add_u64 v[20:21], s[4:5], 0, v[18:19]
	v_add_co_u32_e32 v24, vcc, 0x1000, v20
	global_load_dwordx2 v[22:23], v18, s[4:5]
	s_nop 0
	v_addc_co_u32_e32 v25, vcc, 0, v21, vcc
	v_add_co_u32_e32 v26, vcc, 0x2000, v20
	s_mov_b64 s[6:7], 0
	s_nop 0
	v_addc_co_u32_e32 v27, vcc, 0, v21, vcc
	v_add_co_u32_e32 v28, vcc, 0x3000, v20
	s_waitcnt vmcnt(0)
	v_xor_b32_e32 v17, -1, v22
	v_addc_co_u32_e32 v29, vcc, 0, v21, vcc
	v_add_co_u32_e32 v30, vcc, 0x4000, v20
	v_and_b32_e32 v17, 1, v17
	s_nop 0
	v_addc_co_u32_e32 v31, vcc, 0, v21, vcc
	global_load_dwordx2 v[32:33], v[24:25], off
	global_load_dwordx2 v[34:35], v[26:27], off
	;; [unrolled: 1-line block ×4, first 2 shown]
	v_add_co_u32_e32 v24, vcc, 0x5000, v20
	ds_write_b8 v0, v17
	s_nop 0
	v_addc_co_u32_e32 v25, vcc, 0, v21, vcc
	v_add_co_u32_e32 v20, vcc, 0x6000, v20
	global_load_dwordx2 v[24:25], v[24:25], off
	s_nop 0
	v_addc_co_u32_e32 v21, vcc, 0, v21, vcc
	global_load_dwordx2 v[20:21], v[20:21], off
	s_waitcnt vmcnt(5)
	v_xor_b32_e32 v17, -1, v32
	v_and_b32_e32 v17, 1, v17
	s_waitcnt vmcnt(4)
	v_xor_b32_e32 v19, -1, v34
	s_waitcnt vmcnt(0)
	v_xor_b32_e32 v21, -1, v36
	v_and_b32_e32 v19, 1, v19
	ds_write_b8 v0, v17 offset:512
	v_and_b32_e32 v17, 1, v21
	v_xor_b32_e32 v21, -1, v38
	ds_write_b8 v0, v19 offset:1024
	v_and_b32_e32 v19, 1, v21
	ds_write_b8 v0, v17 offset:1536
	v_xor_b32_e32 v21, -1, v24
	v_and_b32_e32 v17, 1, v21
	ds_write_b8 v0, v19 offset:2048
	v_xor_b32_e32 v20, -1, v20
	v_and_b32_e32 v19, 1, v20
	ds_write_b8 v0, v17 offset:2560
	ds_write_b8 v0, v19 offset:3072
	s_waitcnt lgkmcnt(0)
	s_barrier
.LBB191_20:
	s_load_dwordx2 s[36:37], s[0:1], 0x70
	s_andn2_b64 vcc, exec, s[6:7]
	s_cbranch_vccnz .LBB191_36
; %bb.21:
	v_cmp_gt_u32_e32 vcc, s33, v0
	v_mov_b32_e32 v17, 0
	v_mov_b32_e32 v19, 0
	s_and_saveexec_b64 s[6:7], vcc
	s_cbranch_execz .LBB191_23
; %bb.22:
	global_load_dwordx2 v[20:21], v18, s[4:5]
	s_waitcnt vmcnt(0)
	v_xor_b32_e32 v19, -1, v20
	v_and_b32_e32 v19, 1, v19
.LBB191_23:
	s_or_b64 exec, exec, s[6:7]
	v_or_b32_e32 v20, 0x200, v0
	v_cmp_gt_u32_e32 vcc, s33, v20
	s_and_saveexec_b64 s[6:7], vcc
	s_cbranch_execz .LBB191_25
; %bb.24:
	v_lshlrev_b32_e32 v17, 3, v20
	global_load_dwordx2 v[20:21], v17, s[4:5]
	s_waitcnt vmcnt(0)
	v_xor_b32_e32 v17, -1, v20
	v_and_b32_e32 v17, 1, v17
.LBB191_25:
	s_or_b64 exec, exec, s[6:7]
	v_or_b32_e32 v22, 0x400, v0
	v_cmp_gt_u32_e32 vcc, s33, v22
	v_mov_b32_e32 v20, 0
	v_mov_b32_e32 v21, 0
	s_and_saveexec_b64 s[6:7], vcc
	s_cbranch_execz .LBB191_27
; %bb.26:
	v_lshlrev_b32_e32 v21, 3, v22
	global_load_dwordx2 v[22:23], v21, s[4:5]
	s_waitcnt vmcnt(0)
	v_xor_b32_e32 v21, -1, v22
	v_and_b32_e32 v21, 1, v21
.LBB191_27:
	s_or_b64 exec, exec, s[6:7]
	v_or_b32_e32 v22, 0x600, v0
	v_cmp_gt_u32_e32 vcc, s33, v22
	s_and_saveexec_b64 s[6:7], vcc
	s_cbranch_execz .LBB191_29
; %bb.28:
	v_lshlrev_b32_e32 v20, 3, v22
	global_load_dwordx2 v[22:23], v20, s[4:5]
	s_waitcnt vmcnt(0)
	v_xor_b32_e32 v20, -1, v22
	v_and_b32_e32 v20, 1, v20
.LBB191_29:
	s_or_b64 exec, exec, s[6:7]
	v_or_b32_e32 v24, 0x800, v0
	v_cmp_gt_u32_e32 vcc, s33, v24
	v_mov_b32_e32 v22, 0
	v_mov_b32_e32 v23, 0
	s_and_saveexec_b64 s[6:7], vcc
	s_cbranch_execz .LBB191_31
; %bb.30:
	v_lshlrev_b32_e32 v23, 3, v24
	global_load_dwordx2 v[24:25], v23, s[4:5]
	s_waitcnt vmcnt(0)
	v_xor_b32_e32 v23, -1, v24
	v_and_b32_e32 v23, 1, v23
.LBB191_31:
	s_or_b64 exec, exec, s[6:7]
	v_or_b32_e32 v24, 0xa00, v0
	v_cmp_gt_u32_e32 vcc, s33, v24
	s_and_saveexec_b64 s[6:7], vcc
	s_cbranch_execz .LBB191_33
; %bb.32:
	v_lshlrev_b32_e32 v22, 3, v24
	global_load_dwordx2 v[24:25], v22, s[4:5]
	s_waitcnt vmcnt(0)
	v_xor_b32_e32 v22, -1, v24
	v_and_b32_e32 v22, 1, v22
.LBB191_33:
	s_or_b64 exec, exec, s[6:7]
	v_or_b32_e32 v25, 0xc00, v0
	v_cmp_gt_u32_e32 vcc, s33, v25
	v_mov_b32_e32 v24, 0
	s_and_saveexec_b64 s[6:7], vcc
	s_cbranch_execz .LBB191_35
; %bb.34:
	v_lshlrev_b32_e32 v24, 3, v25
	global_load_dwordx2 v[24:25], v24, s[4:5]
	s_waitcnt vmcnt(0)
	v_xor_b32_e32 v24, -1, v24
	v_and_b32_e32 v24, 1, v24
.LBB191_35:
	s_or_b64 exec, exec, s[6:7]
	ds_write_b8 v0, v19
	ds_write_b8 v0, v17 offset:512
	ds_write_b8 v0, v21 offset:1024
	;; [unrolled: 1-line block ×6, first 2 shown]
	s_waitcnt lgkmcnt(0)
	s_barrier
.LBB191_36:
	s_movk_i32 s3, 0xffcf
	v_mad_i32_i24 v35, v0, s3, v16
	s_waitcnt lgkmcnt(0)
	ds_read_u8 v16, v35
	ds_read_u8 v17, v35 offset:1
	ds_read_u8 v19, v35 offset:2
	ds_read_u8 v20, v35 offset:3
	ds_read_u8 v21, v35 offset:4
	ds_read_u8 v22, v35 offset:5
	ds_read_u8 v23, v35 offset:6
	s_waitcnt lgkmcnt(6)
	v_and_b32_e32 v33, 1, v16
	s_waitcnt lgkmcnt(5)
	v_and_b32_e32 v32, 1, v17
	;; [unrolled: 2-line block ×5, first 2 shown]
	v_add3_u32 v16, v32, v33, v31
	s_waitcnt lgkmcnt(1)
	v_and_b32_e32 v28, 1, v22
	s_waitcnt lgkmcnt(0)
	v_and_b32_e32 v19, 1, v23
	v_add3_u32 v16, v16, v30, v29
	v_add3_u32 v37, v16, v28, v19
	v_mbcnt_lo_u32_b32 v16, -1, 0
	v_mbcnt_hi_u32_b32 v34, -1, v16
	v_and_b32_e32 v16, 15, v34
	v_cmp_eq_u32_e64 s[14:15], 0, v16
	v_cmp_lt_u32_e64 s[12:13], 1, v16
	v_cmp_lt_u32_e64 s[10:11], 3, v16
	;; [unrolled: 1-line block ×3, first 2 shown]
	v_and_b32_e32 v16, 16, v34
	v_cmp_eq_u32_e64 s[6:7], 0, v16
	v_or_b32_e32 v16, 63, v0
	s_cmp_lg_u32 s2, 0
	v_cmp_lt_u32_e64 s[18:19], 31, v34
	v_lshrrev_b32_e32 v36, 6, v0
	v_cmp_eq_u32_e64 s[4:5], v16, v0
	s_barrier
	s_cbranch_scc0 .LBB191_63
; %bb.37:
	v_mov_b32_dpp v16, v37 row_shr:1 row_mask:0xf bank_mask:0xf
	v_cndmask_b32_e64 v16, v16, 0, s[14:15]
	v_add_u32_e32 v16, v16, v37
	s_nop 1
	v_mov_b32_dpp v17, v16 row_shr:2 row_mask:0xf bank_mask:0xf
	v_cndmask_b32_e64 v17, 0, v17, s[12:13]
	v_add_u32_e32 v16, v16, v17
	s_nop 1
	;; [unrolled: 4-line block ×4, first 2 shown]
	v_mov_b32_dpp v17, v16 row_bcast:15 row_mask:0xf bank_mask:0xf
	v_cndmask_b32_e64 v17, v17, 0, s[6:7]
	v_add_u32_e32 v16, v16, v17
	s_nop 1
	v_mov_b32_dpp v17, v16 row_bcast:31 row_mask:0xf bank_mask:0xf
	v_cndmask_b32_e64 v17, 0, v17, s[18:19]
	v_add_u32_e32 v16, v16, v17
	s_and_saveexec_b64 s[16:17], s[4:5]
	s_cbranch_execz .LBB191_39
; %bb.38:
	v_lshlrev_b32_e32 v17, 2, v36
	ds_write_b32 v17, v16
.LBB191_39:
	s_or_b64 exec, exec, s[16:17]
	v_cmp_gt_u32_e32 vcc, 8, v0
	s_waitcnt lgkmcnt(0)
	s_barrier
	s_and_saveexec_b64 s[16:17], vcc
	s_cbranch_execz .LBB191_41
; %bb.40:
	v_lshlrev_b32_e32 v17, 2, v0
	ds_read_b32 v20, v17
	v_and_b32_e32 v21, 7, v34
	v_cmp_ne_u32_e32 vcc, 0, v21
	s_waitcnt lgkmcnt(0)
	v_mov_b32_dpp v22, v20 row_shr:1 row_mask:0xf bank_mask:0xf
	v_cndmask_b32_e32 v22, 0, v22, vcc
	v_add_u32_e32 v20, v22, v20
	v_cmp_lt_u32_e32 vcc, 1, v21
	s_nop 0
	v_mov_b32_dpp v22, v20 row_shr:2 row_mask:0xf bank_mask:0xf
	v_cndmask_b32_e32 v22, 0, v22, vcc
	v_add_u32_e32 v20, v20, v22
	v_cmp_lt_u32_e32 vcc, 3, v21
	s_nop 0
	v_mov_b32_dpp v22, v20 row_shr:4 row_mask:0xf bank_mask:0xf
	v_cndmask_b32_e32 v21, 0, v22, vcc
	v_add_u32_e32 v20, v20, v21
	ds_write_b32 v17, v20
.LBB191_41:
	s_or_b64 exec, exec, s[16:17]
	v_cmp_gt_u32_e32 vcc, 64, v0
	v_cmp_lt_u32_e64 s[16:17], 63, v0
	s_waitcnt lgkmcnt(0)
	s_barrier
	s_waitcnt lgkmcnt(0)
                                        ; implicit-def: $vgpr38
	s_and_saveexec_b64 s[38:39], s[16:17]
	s_cbranch_execz .LBB191_43
; %bb.42:
	v_lshl_add_u32 v17, v36, 2, -4
	ds_read_b32 v38, v17
	s_waitcnt lgkmcnt(0)
	v_add_u32_e32 v16, v38, v16
.LBB191_43:
	s_or_b64 exec, exec, s[38:39]
	v_add_u32_e32 v17, -1, v34
	v_and_b32_e32 v20, 64, v34
	v_cmp_lt_i32_e64 s[16:17], v17, v20
	s_nop 1
	v_cndmask_b32_e64 v17, v17, v34, s[16:17]
	v_lshlrev_b32_e32 v17, 2, v17
	ds_bpermute_b32 v39, v17, v16
	v_cmp_eq_u32_e64 s[16:17], 0, v34
	s_and_saveexec_b64 s[38:39], vcc
	s_cbranch_execz .LBB191_62
; %bb.44:
	v_mov_b32_e32 v25, 0
	ds_read_b32 v16, v25 offset:28
	s_and_saveexec_b64 s[40:41], s[16:17]
	s_cbranch_execz .LBB191_46
; %bb.45:
	s_add_i32 s42, s2, 64
	s_mov_b32 s43, 0
	s_lshl_b64 s[42:43], s[42:43], 3
	s_add_u32 s42, s36, s42
	v_mov_b32_e32 v17, 1
	s_addc_u32 s43, s37, s43
	s_waitcnt lgkmcnt(0)
	global_store_dwordx2 v25, v[16:17], s[42:43] sc1
.LBB191_46:
	s_or_b64 exec, exec, s[40:41]
	v_xad_u32 v20, v34, -1, s2
	v_add_u32_e32 v24, 64, v20
	v_lshl_add_u64 v[26:27], v[24:25], 3, s[36:37]
	global_load_dwordx2 v[22:23], v[26:27], off sc1
	s_waitcnt vmcnt(0)
	v_cmp_eq_u16_sdwa s[42:43], v23, v25 src0_sel:BYTE_0 src1_sel:DWORD
	s_and_saveexec_b64 s[40:41], s[42:43]
	s_cbranch_execz .LBB191_50
; %bb.47:
	s_mov_b64 s[42:43], 0
	v_mov_b32_e32 v17, 0
.LBB191_48:                             ; =>This Inner Loop Header: Depth=1
	global_load_dwordx2 v[22:23], v[26:27], off sc1
	s_waitcnt vmcnt(0)
	v_cmp_ne_u16_sdwa s[44:45], v23, v17 src0_sel:BYTE_0 src1_sel:DWORD
	s_or_b64 s[42:43], s[44:45], s[42:43]
	s_andn2_b64 exec, exec, s[42:43]
	s_cbranch_execnz .LBB191_48
; %bb.49:
	s_or_b64 exec, exec, s[42:43]
.LBB191_50:
	s_or_b64 exec, exec, s[40:41]
	v_and_b32_e32 v41, 63, v34
	v_mov_b32_e32 v40, 2
	v_cmp_ne_u32_e32 vcc, 63, v41
	v_cmp_eq_u16_sdwa s[40:41], v23, v40 src0_sel:BYTE_0 src1_sel:DWORD
	v_lshlrev_b64 v[24:25], v34, -1
	v_addc_co_u32_e32 v26, vcc, 0, v34, vcc
	v_and_b32_e32 v17, s41, v25
	v_lshlrev_b32_e32 v42, 2, v26
	v_or_b32_e32 v17, 0x80000000, v17
	ds_bpermute_b32 v26, v42, v22
	v_and_b32_e32 v21, s40, v24
	v_ffbl_b32_e32 v17, v17
	v_add_u32_e32 v17, 32, v17
	v_ffbl_b32_e32 v21, v21
	v_min_u32_e32 v17, v21, v17
	v_cmp_lt_u32_e32 vcc, v41, v17
	v_add_u32_e32 v44, 2, v41
	v_add_u32_e32 v46, 4, v41
	s_waitcnt lgkmcnt(0)
	v_cndmask_b32_e32 v21, 0, v26, vcc
	v_cmp_gt_u32_e32 vcc, 62, v41
	v_add_u32_e32 v21, v21, v22
	v_add_u32_e32 v48, 8, v41
	v_cndmask_b32_e64 v22, 0, 1, vcc
	v_lshlrev_b32_e32 v22, 1, v22
	v_add_lshl_u32 v43, v22, v34, 2
	ds_bpermute_b32 v22, v43, v21
	v_cmp_le_u32_e32 vcc, v44, v17
	v_add_u32_e32 v50, 16, v41
	v_add_u32_e32 v52, 32, v41
	s_waitcnt lgkmcnt(0)
	v_cndmask_b32_e32 v22, 0, v22, vcc
	v_cmp_gt_u32_e32 vcc, 60, v41
	v_add_u32_e32 v21, v21, v22
	s_nop 0
	v_cndmask_b32_e64 v22, 0, 1, vcc
	v_lshlrev_b32_e32 v22, 2, v22
	v_add_lshl_u32 v45, v22, v34, 2
	ds_bpermute_b32 v22, v45, v21
	v_cmp_le_u32_e32 vcc, v46, v17
	s_waitcnt lgkmcnt(0)
	s_nop 0
	v_cndmask_b32_e32 v22, 0, v22, vcc
	v_cmp_gt_u32_e32 vcc, 56, v41
	v_add_u32_e32 v21, v21, v22
	s_nop 0
	v_cndmask_b32_e64 v22, 0, 1, vcc
	v_lshlrev_b32_e32 v22, 3, v22
	v_add_lshl_u32 v47, v22, v34, 2
	ds_bpermute_b32 v22, v47, v21
	v_cmp_le_u32_e32 vcc, v48, v17
	s_waitcnt lgkmcnt(0)
	s_nop 0
	;; [unrolled: 11-line block ×4, first 2 shown]
	v_cndmask_b32_e32 v17, 0, v22, vcc
	v_add_u32_e32 v22, v21, v17
	v_mov_b32_e32 v21, 0
	s_branch .LBB191_52
.LBB191_51:                             ;   in Loop: Header=BB191_52 Depth=1
	s_or_b64 exec, exec, s[40:41]
	v_cmp_eq_u16_sdwa s[40:41], v23, v40 src0_sel:BYTE_0 src1_sel:DWORD
	ds_bpermute_b32 v53, v42, v22
	v_subrev_u32_e32 v20, 64, v20
	v_and_b32_e32 v26, s41, v25
	v_or_b32_e32 v26, 0x80000000, v26
	v_and_b32_e32 v27, s40, v24
	v_ffbl_b32_e32 v26, v26
	v_add_u32_e32 v26, 32, v26
	v_ffbl_b32_e32 v27, v27
	v_min_u32_e32 v26, v27, v26
	v_cmp_lt_u32_e32 vcc, v41, v26
	s_waitcnt lgkmcnt(0)
	s_nop 0
	v_cndmask_b32_e32 v27, 0, v53, vcc
	v_add_u32_e32 v22, v27, v22
	ds_bpermute_b32 v27, v43, v22
	v_cmp_le_u32_e32 vcc, v44, v26
	s_waitcnt lgkmcnt(0)
	s_nop 0
	v_cndmask_b32_e32 v27, 0, v27, vcc
	v_add_u32_e32 v22, v22, v27
	ds_bpermute_b32 v27, v45, v22
	v_cmp_le_u32_e32 vcc, v46, v26
	;; [unrolled: 6-line block ×5, first 2 shown]
	s_waitcnt lgkmcnt(0)
	s_nop 0
	v_cndmask_b32_e32 v26, 0, v27, vcc
	v_add3_u32 v22, v26, v17, v22
.LBB191_52:                             ; =>This Loop Header: Depth=1
                                        ;     Child Loop BB191_55 Depth 2
	v_cmp_ne_u16_sdwa s[40:41], v23, v40 src0_sel:BYTE_0 src1_sel:DWORD
	s_nop 1
	v_cndmask_b32_e64 v17, 0, 1, s[40:41]
	;;#ASMSTART
	;;#ASMEND
	s_nop 0
	v_cmp_ne_u32_e32 vcc, 0, v17
	s_cmp_lg_u64 vcc, exec
	v_mov_b32_e32 v17, v22
	s_cbranch_scc1 .LBB191_57
; %bb.53:                               ;   in Loop: Header=BB191_52 Depth=1
	v_lshl_add_u64 v[26:27], v[20:21], 3, s[36:37]
	global_load_dwordx2 v[22:23], v[26:27], off sc1
	s_waitcnt vmcnt(0)
	v_cmp_eq_u16_sdwa s[42:43], v23, v21 src0_sel:BYTE_0 src1_sel:DWORD
	s_and_saveexec_b64 s[40:41], s[42:43]
	s_cbranch_execz .LBB191_51
; %bb.54:                               ;   in Loop: Header=BB191_52 Depth=1
	s_mov_b64 s[42:43], 0
.LBB191_55:                             ;   Parent Loop BB191_52 Depth=1
                                        ; =>  This Inner Loop Header: Depth=2
	global_load_dwordx2 v[22:23], v[26:27], off sc1
	s_waitcnt vmcnt(0)
	v_cmp_ne_u16_sdwa s[44:45], v23, v21 src0_sel:BYTE_0 src1_sel:DWORD
	s_or_b64 s[42:43], s[44:45], s[42:43]
	s_andn2_b64 exec, exec, s[42:43]
	s_cbranch_execnz .LBB191_55
; %bb.56:                               ;   in Loop: Header=BB191_52 Depth=1
	s_or_b64 exec, exec, s[42:43]
	s_branch .LBB191_51
.LBB191_57:                             ;   in Loop: Header=BB191_52 Depth=1
                                        ; implicit-def: $vgpr22
                                        ; implicit-def: $vgpr23
	s_cbranch_execz .LBB191_52
; %bb.58:
	s_and_saveexec_b64 s[40:41], s[16:17]
	s_cbranch_execz .LBB191_60
; %bb.59:
	s_add_i32 s2, s2, 64
	s_mov_b32 s3, 0
	s_lshl_b64 s[2:3], s[2:3], 3
	s_add_u32 s2, s36, s2
	v_add_u32_e32 v20, v17, v16
	v_mov_b32_e32 v21, 2
	s_addc_u32 s3, s37, s3
	v_mov_b32_e32 v22, 0
	global_store_dwordx2 v22, v[20:21], s[2:3] sc1
	ds_write_b64 v22, v[16:17] offset:28672
.LBB191_60:
	s_or_b64 exec, exec, s[40:41]
	v_cmp_eq_u32_e32 vcc, 0, v0
	s_and_b64 exec, exec, vcc
	s_cbranch_execz .LBB191_62
; %bb.61:
	v_mov_b32_e32 v16, 0
	ds_write_b32 v16, v17 offset:28
.LBB191_62:
	s_or_b64 exec, exec, s[38:39]
	v_mov_b32_e32 v16, 0
	s_waitcnt lgkmcnt(0)
	s_barrier
	ds_read_b32 v17, v16 offset:28
	v_cndmask_b32_e64 v20, v39, v38, s[16:17]
	v_cmp_ne_u32_e32 vcc, 0, v0
	s_waitcnt lgkmcnt(0)
	s_barrier
	v_cndmask_b32_e32 v20, 0, v20, vcc
	v_add_u32_e32 v27, v17, v20
	v_add_u32_e32 v26, v27, v33
	ds_read_b64 v[16:17], v16 offset:28672
	v_add_u32_e32 v25, v26, v32
	v_add_u32_e32 v23, v25, v31
	;; [unrolled: 1-line block ×5, first 2 shown]
	s_waitcnt lgkmcnt(0)
	v_mov_b32_e32 v22, v17
	s_load_dwordx2 s[2:3], s[0:1], 0x30
	s_branch .LBB191_73
.LBB191_63:
                                        ; implicit-def: $vgpr22
                                        ; implicit-def: $vgpr16
                                        ; implicit-def: $vgpr20
                                        ; implicit-def: $vgpr21
                                        ; implicit-def: $vgpr24
                                        ; implicit-def: $vgpr23
                                        ; implicit-def: $vgpr25
                                        ; implicit-def: $vgpr26
                                        ; implicit-def: $vgpr27
	s_load_dwordx2 s[2:3], s[0:1], 0x30
	s_cbranch_execz .LBB191_73
; %bb.64:
	v_mov_b32_dpp v16, v37 row_shr:1 row_mask:0xf bank_mask:0xf
	v_cndmask_b32_e64 v16, v16, 0, s[14:15]
	v_add_u32_e32 v16, v16, v37
	s_nop 1
	v_mov_b32_dpp v17, v16 row_shr:2 row_mask:0xf bank_mask:0xf
	v_cndmask_b32_e64 v17, 0, v17, s[12:13]
	v_add_u32_e32 v16, v16, v17
	s_nop 1
	;; [unrolled: 4-line block ×4, first 2 shown]
	v_mov_b32_dpp v17, v16 row_bcast:15 row_mask:0xf bank_mask:0xf
	v_cndmask_b32_e64 v17, v17, 0, s[6:7]
	v_add_u32_e32 v16, v16, v17
	s_nop 1
	v_mov_b32_dpp v17, v16 row_bcast:31 row_mask:0xf bank_mask:0xf
	v_cndmask_b32_e64 v17, 0, v17, s[18:19]
	v_add_u32_e32 v16, v16, v17
	s_and_saveexec_b64 s[0:1], s[4:5]
	s_cbranch_execz .LBB191_66
; %bb.65:
	v_lshlrev_b32_e32 v17, 2, v36
	ds_write_b32 v17, v16
.LBB191_66:
	s_or_b64 exec, exec, s[0:1]
	v_cmp_gt_u32_e32 vcc, 8, v0
	s_waitcnt lgkmcnt(0)
	s_barrier
	s_and_saveexec_b64 s[0:1], vcc
	s_cbranch_execz .LBB191_68
; %bb.67:
	v_mad_i32_i24 v17, v0, -3, v35
	ds_read_b32 v20, v17
	v_and_b32_e32 v21, 7, v34
	v_cmp_ne_u32_e32 vcc, 0, v21
	s_waitcnt lgkmcnt(0)
	v_mov_b32_dpp v22, v20 row_shr:1 row_mask:0xf bank_mask:0xf
	v_cndmask_b32_e32 v22, 0, v22, vcc
	v_add_u32_e32 v20, v22, v20
	v_cmp_lt_u32_e32 vcc, 1, v21
	s_nop 0
	v_mov_b32_dpp v22, v20 row_shr:2 row_mask:0xf bank_mask:0xf
	v_cndmask_b32_e32 v22, 0, v22, vcc
	v_add_u32_e32 v20, v20, v22
	v_cmp_lt_u32_e32 vcc, 3, v21
	s_nop 0
	v_mov_b32_dpp v22, v20 row_shr:4 row_mask:0xf bank_mask:0xf
	v_cndmask_b32_e32 v21, 0, v22, vcc
	v_add_u32_e32 v20, v20, v21
	ds_write_b32 v17, v20
.LBB191_68:
	s_or_b64 exec, exec, s[0:1]
	v_cmp_lt_u32_e32 vcc, 63, v0
	v_mov_b32_e32 v17, 0
	v_mov_b32_e32 v20, 0
	s_waitcnt lgkmcnt(0)
	s_barrier
	s_and_saveexec_b64 s[0:1], vcc
	s_cbranch_execz .LBB191_70
; %bb.69:
	v_lshl_add_u32 v20, v36, 2, -4
	ds_read_b32 v20, v20
.LBB191_70:
	s_or_b64 exec, exec, s[0:1]
	v_add_u32_e32 v21, -1, v34
	v_and_b32_e32 v22, 64, v34
	v_cmp_lt_i32_e32 vcc, v21, v22
	s_waitcnt lgkmcnt(0)
	v_add_u32_e32 v16, v20, v16
	v_cndmask_b32_e32 v21, v21, v34, vcc
	v_lshlrev_b32_e32 v21, 2, v21
	ds_bpermute_b32 v21, v21, v16
	ds_read_b32 v16, v17 offset:28
	v_cmp_eq_u32_e32 vcc, 0, v0
	s_and_saveexec_b64 s[0:1], vcc
	s_cbranch_execz .LBB191_72
; %bb.71:
	v_mov_b32_e32 v22, 0
	v_mov_b32_e32 v17, 2
	s_waitcnt lgkmcnt(0)
	global_store_dwordx2 v22, v[16:17], s[36:37] offset:512 sc1
.LBB191_72:
	s_or_b64 exec, exec, s[0:1]
	v_cmp_eq_u32_e64 s[0:1], 0, v34
	v_mov_b32_e32 v22, 0
	s_waitcnt lgkmcnt(0)
	v_cndmask_b32_e64 v17, v21, v20, s[0:1]
	v_cndmask_b32_e64 v27, v17, 0, vcc
	v_add_u32_e32 v26, v27, v33
	v_add_u32_e32 v25, v26, v32
	;; [unrolled: 1-line block ×6, first 2 shown]
	s_barrier
.LBB191_73:
	v_add_u32_e32 v1, v16, v1
	v_sub_u32_e32 v17, v27, v22
	v_sub_u32_e32 v27, v1, v17
	v_cmp_eq_u32_e32 vcc, 1, v33
	s_add_u32 s0, s26, s24
	s_addc_u32 s1, s27, 0
	v_cndmask_b32_e32 v17, v27, v17, vcc
	v_lshlrev_b32_e32 v17, 3, v17
	ds_write_b64 v17, v[10:11]
	v_sub_u32_e32 v10, v26, v22
	v_sub_u32_e32 v11, v1, v10
	v_add_u32_e32 v11, 1, v11
	v_cmp_eq_u32_e32 vcc, 1, v32
	s_sub_u32 s0, s28, s0
	s_subb_u32 s1, s29, s1
	v_cndmask_b32_e32 v10, v11, v10, vcc
	v_lshlrev_b32_e32 v10, 3, v10
	ds_write_b64 v10, v[12:13]
	v_sub_u32_e32 v10, v25, v22
	v_sub_u32_e32 v11, v1, v10
	v_add_u32_e32 v11, 2, v11
	v_cmp_eq_u32_e32 vcc, 1, v31
	v_or_b32_e32 v32, 0x200, v0
	v_or_b32_e32 v26, 0x800, v0
	v_cndmask_b32_e32 v10, v11, v10, vcc
	v_lshlrev_b32_e32 v10, 3, v10
	ds_write_b64 v10, v[6:7]
	v_sub_u32_e32 v6, v23, v22
	v_sub_u32_e32 v7, v1, v6
	v_add_u32_e32 v7, 3, v7
	v_cmp_eq_u32_e32 vcc, 1, v30
	v_or_b32_e32 v30, 0x400, v0
	s_nop 0
	v_cndmask_b32_e32 v6, v7, v6, vcc
	v_lshlrev_b32_e32 v6, 3, v6
	ds_write_b64 v6, v[8:9]
	v_sub_u32_e32 v6, v24, v22
	v_sub_u32_e32 v7, v1, v6
	v_add_u32_e32 v7, 4, v7
	v_cmp_eq_u32_e32 vcc, 1, v29
	v_or_b32_e32 v24, 0xa00, v0
	s_nop 0
	;; [unrolled: 9-line block ×4, first 2 shown]
	v_cndmask_b32_e32 v1, v1, v2, vcc
	v_lshlrev_b32_e32 v1, 3, v1
	ds_write_b64 v1, v[14:15]
	s_waitcnt lgkmcnt(0)
	s_barrier
	ds_read2st64_b64 v[10:13], v18 offset1:8
	ds_read2st64_b64 v[6:9], v18 offset0:16 offset1:24
	ds_read2st64_b64 v[2:5], v18 offset0:32 offset1:40
	ds_read_b64 v[18:19], v18 offset:24576
	v_mov_b32_e32 v1, 0
	v_mov_b32_e32 v23, v1
	;; [unrolled: 1-line block ×3, first 2 shown]
	v_lshl_add_u64 v[14:15], s[30:31], 0, v[22:23]
	v_lshl_add_u64 v[22:23], s[0:1], 0, v[16:17]
	v_mov_b32_e32 v33, v1
	v_mov_b32_e32 v31, v1
	v_mov_b32_e32 v29, v1
	v_mov_b32_e32 v27, v1
	v_mov_b32_e32 v25, v1
	v_mov_b32_e32 v21, v1
	s_andn2_b64 vcc, exec, s[34:35]
	v_lshl_add_u64 v[22:23], v[22:23], 0, v[14:15]
	s_cbranch_vccnz .LBB191_103
; %bb.74:
	v_cmp_ge_u32_e32 vcc, v0, v16
                                        ; implicit-def: $vgpr34_vgpr35
	s_and_saveexec_b64 s[0:1], vcc
	s_xor_b64 s[0:1], exec, s[0:1]
; %bb.75:
	v_not_b32_e32 v34, v0
	v_ashrrev_i32_e32 v35, 31, v34
	v_lshl_add_u64 v[34:35], v[22:23], 0, v[34:35]
; %bb.76:
	s_andn2_saveexec_b64 s[0:1], s[0:1]
; %bb.77:
	v_lshl_add_u64 v[34:35], v[14:15], 0, v[0:1]
; %bb.78:
	s_or_b64 exec, exec, s[0:1]
	v_lshl_add_u64 v[34:35], v[34:35], 3, s[2:3]
	v_cmp_ge_u32_e32 vcc, v32, v16
	s_waitcnt lgkmcnt(3)
	global_store_dwordx2 v[34:35], v[10:11], off
                                        ; implicit-def: $vgpr34_vgpr35
	s_and_saveexec_b64 s[0:1], vcc
	s_xor_b64 s[0:1], exec, s[0:1]
; %bb.79:
	v_xor_b32_e32 v34, 0xfffffdff, v0
	v_ashrrev_i32_e32 v35, 31, v34
	v_lshl_add_u64 v[34:35], v[22:23], 0, v[34:35]
; %bb.80:
	s_andn2_saveexec_b64 s[0:1], s[0:1]
; %bb.81:
	v_lshl_add_u64 v[34:35], v[14:15], 0, v[32:33]
; %bb.82:
	s_or_b64 exec, exec, s[0:1]
	v_lshl_add_u64 v[34:35], v[34:35], 3, s[2:3]
	v_cmp_ge_u32_e32 vcc, v30, v16
	global_store_dwordx2 v[34:35], v[12:13], off
                                        ; implicit-def: $vgpr34_vgpr35
	s_and_saveexec_b64 s[0:1], vcc
	s_xor_b64 s[0:1], exec, s[0:1]
; %bb.83:
	v_xor_b32_e32 v34, 0xfffffbff, v0
	v_ashrrev_i32_e32 v35, 31, v34
	v_lshl_add_u64 v[34:35], v[22:23], 0, v[34:35]
; %bb.84:
	s_andn2_saveexec_b64 s[0:1], s[0:1]
; %bb.85:
	v_lshl_add_u64 v[34:35], v[14:15], 0, v[30:31]
; %bb.86:
	s_or_b64 exec, exec, s[0:1]
	v_lshl_add_u64 v[34:35], v[34:35], 3, s[2:3]
	v_cmp_ge_u32_e32 vcc, v28, v16
	s_waitcnt lgkmcnt(2)
	global_store_dwordx2 v[34:35], v[6:7], off
                                        ; implicit-def: $vgpr34_vgpr35
	s_and_saveexec_b64 s[0:1], vcc
	s_xor_b64 s[0:1], exec, s[0:1]
; %bb.87:
	v_xor_b32_e32 v34, 0xfffff9ff, v0
	v_ashrrev_i32_e32 v35, 31, v34
	v_lshl_add_u64 v[34:35], v[22:23], 0, v[34:35]
; %bb.88:
	s_andn2_saveexec_b64 s[0:1], s[0:1]
; %bb.89:
	v_lshl_add_u64 v[34:35], v[14:15], 0, v[28:29]
; %bb.90:
	s_or_b64 exec, exec, s[0:1]
	v_lshl_add_u64 v[34:35], v[34:35], 3, s[2:3]
	v_cmp_ge_u32_e32 vcc, v26, v16
	global_store_dwordx2 v[34:35], v[8:9], off
                                        ; implicit-def: $vgpr34_vgpr35
	s_and_saveexec_b64 s[0:1], vcc
	s_xor_b64 s[0:1], exec, s[0:1]
; %bb.91:
	v_xor_b32_e32 v34, 0xfffff7ff, v0
	;; [unrolled: 33-line block ×3, first 2 shown]
	v_ashrrev_i32_e32 v35, 31, v34
	v_lshl_add_u64 v[34:35], v[22:23], 0, v[34:35]
; %bb.100:
	s_andn2_saveexec_b64 s[0:1], s[0:1]
; %bb.101:
	v_lshl_add_u64 v[34:35], v[14:15], 0, v[20:21]
; %bb.102:
	s_or_b64 exec, exec, s[0:1]
	s_mov_b64 s[0:1], -1
	s_branch .LBB191_147
.LBB191_103:
	s_mov_b64 s[0:1], 0
                                        ; implicit-def: $vgpr34_vgpr35
	s_cbranch_execz .LBB191_147
; %bb.104:
	v_cmp_gt_u32_e32 vcc, s33, v0
	s_and_saveexec_b64 s[4:5], vcc
	s_cbranch_execz .LBB191_122
; %bb.105:
	v_cmp_ge_u32_e32 vcc, v0, v16
                                        ; implicit-def: $vgpr34_vgpr35
	s_and_saveexec_b64 s[6:7], vcc
	s_xor_b64 s[6:7], exec, s[6:7]
; %bb.106:
	v_not_b32_e32 v34, v0
	v_ashrrev_i32_e32 v35, 31, v34
	v_lshl_add_u64 v[34:35], v[22:23], 0, v[34:35]
; %bb.107:
	s_andn2_saveexec_b64 s[6:7], s[6:7]
; %bb.108:
	v_lshl_add_u64 v[34:35], v[14:15], 0, v[0:1]
; %bb.109:
	s_or_b64 exec, exec, s[6:7]
	v_lshl_add_u64 v[34:35], v[34:35], 3, s[2:3]
	s_waitcnt lgkmcnt(3)
	global_store_dwordx2 v[34:35], v[10:11], off
	s_or_b64 exec, exec, s[4:5]
	v_cmp_gt_u32_e32 vcc, s33, v32
	s_and_saveexec_b64 s[4:5], vcc
	s_cbranch_execnz .LBB191_123
.LBB191_110:
	s_or_b64 exec, exec, s[4:5]
	v_cmp_gt_u32_e32 vcc, s33, v30
	s_and_saveexec_b64 s[4:5], vcc
	s_cbranch_execz .LBB191_128
.LBB191_111:
	v_cmp_ge_u32_e32 vcc, v30, v16
                                        ; implicit-def: $vgpr10_vgpr11
	s_and_saveexec_b64 s[6:7], vcc
	s_xor_b64 s[6:7], exec, s[6:7]
	s_cbranch_execz .LBB191_113
; %bb.112:
	s_waitcnt lgkmcnt(3)
	v_xor_b32_e32 v10, 0xfffffbff, v0
	v_ashrrev_i32_e32 v11, 31, v10
	v_lshl_add_u64 v[10:11], v[22:23], 0, v[10:11]
                                        ; implicit-def: $vgpr30_vgpr31
.LBB191_113:
	s_andn2_saveexec_b64 s[6:7], s[6:7]
	s_cbranch_execz .LBB191_115
; %bb.114:
	s_waitcnt lgkmcnt(3)
	v_lshl_add_u64 v[10:11], v[14:15], 0, v[30:31]
.LBB191_115:
	s_or_b64 exec, exec, s[6:7]
	s_waitcnt lgkmcnt(3)
	v_lshl_add_u64 v[10:11], v[10:11], 3, s[2:3]
	s_waitcnt lgkmcnt(2)
	global_store_dwordx2 v[10:11], v[6:7], off
	s_or_b64 exec, exec, s[4:5]
	v_cmp_gt_u32_e32 vcc, s33, v28
	s_and_saveexec_b64 s[4:5], vcc
	s_cbranch_execnz .LBB191_129
.LBB191_116:
	s_or_b64 exec, exec, s[4:5]
	v_cmp_gt_u32_e32 vcc, s33, v26
	s_and_saveexec_b64 s[4:5], vcc
	s_cbranch_execz .LBB191_134
.LBB191_117:
	v_cmp_ge_u32_e32 vcc, v26, v16
                                        ; implicit-def: $vgpr6_vgpr7
	s_and_saveexec_b64 s[6:7], vcc
	s_xor_b64 s[6:7], exec, s[6:7]
	s_cbranch_execz .LBB191_119
; %bb.118:
	s_waitcnt lgkmcnt(2)
	v_xor_b32_e32 v6, 0xfffff7ff, v0
	v_ashrrev_i32_e32 v7, 31, v6
	v_lshl_add_u64 v[6:7], v[22:23], 0, v[6:7]
                                        ; implicit-def: $vgpr26_vgpr27
.LBB191_119:
	s_andn2_saveexec_b64 s[6:7], s[6:7]
	s_cbranch_execz .LBB191_121
; %bb.120:
	s_waitcnt lgkmcnt(2)
	v_lshl_add_u64 v[6:7], v[14:15], 0, v[26:27]
.LBB191_121:
	s_or_b64 exec, exec, s[6:7]
	s_waitcnt lgkmcnt(2)
	v_lshl_add_u64 v[6:7], v[6:7], 3, s[2:3]
	s_waitcnt lgkmcnt(1)
	global_store_dwordx2 v[6:7], v[2:3], off
	s_or_b64 exec, exec, s[4:5]
	v_cmp_gt_u32_e32 vcc, s33, v24
	s_and_saveexec_b64 s[4:5], vcc
	s_cbranch_execz .LBB191_140
	s_branch .LBB191_135
.LBB191_122:
	s_or_b64 exec, exec, s[4:5]
	v_cmp_gt_u32_e32 vcc, s33, v32
	s_and_saveexec_b64 s[4:5], vcc
	s_cbranch_execz .LBB191_110
.LBB191_123:
	v_cmp_ge_u32_e32 vcc, v32, v16
                                        ; implicit-def: $vgpr10_vgpr11
	s_and_saveexec_b64 s[6:7], vcc
	s_xor_b64 s[6:7], exec, s[6:7]
	s_cbranch_execz .LBB191_125
; %bb.124:
	s_waitcnt lgkmcnt(3)
	v_xor_b32_e32 v10, 0xfffffdff, v0
	v_ashrrev_i32_e32 v11, 31, v10
	v_lshl_add_u64 v[10:11], v[22:23], 0, v[10:11]
                                        ; implicit-def: $vgpr32_vgpr33
.LBB191_125:
	s_andn2_saveexec_b64 s[6:7], s[6:7]
	s_cbranch_execz .LBB191_127
; %bb.126:
	s_waitcnt lgkmcnt(3)
	v_lshl_add_u64 v[10:11], v[14:15], 0, v[32:33]
.LBB191_127:
	s_or_b64 exec, exec, s[6:7]
	s_waitcnt lgkmcnt(3)
	v_lshl_add_u64 v[10:11], v[10:11], 3, s[2:3]
	global_store_dwordx2 v[10:11], v[12:13], off
	s_or_b64 exec, exec, s[4:5]
	v_cmp_gt_u32_e32 vcc, s33, v30
	s_and_saveexec_b64 s[4:5], vcc
	s_cbranch_execnz .LBB191_111
.LBB191_128:
	s_or_b64 exec, exec, s[4:5]
	v_cmp_gt_u32_e32 vcc, s33, v28
	s_and_saveexec_b64 s[4:5], vcc
	s_cbranch_execz .LBB191_116
.LBB191_129:
	v_cmp_ge_u32_e32 vcc, v28, v16
                                        ; implicit-def: $vgpr6_vgpr7
	s_and_saveexec_b64 s[6:7], vcc
	s_xor_b64 s[6:7], exec, s[6:7]
	s_cbranch_execz .LBB191_131
; %bb.130:
	s_waitcnt lgkmcnt(2)
	v_xor_b32_e32 v6, 0xfffff9ff, v0
	v_ashrrev_i32_e32 v7, 31, v6
	v_lshl_add_u64 v[6:7], v[22:23], 0, v[6:7]
                                        ; implicit-def: $vgpr28_vgpr29
.LBB191_131:
	s_andn2_saveexec_b64 s[6:7], s[6:7]
	s_cbranch_execz .LBB191_133
; %bb.132:
	s_waitcnt lgkmcnt(2)
	v_lshl_add_u64 v[6:7], v[14:15], 0, v[28:29]
.LBB191_133:
	s_or_b64 exec, exec, s[6:7]
	s_waitcnt lgkmcnt(2)
	v_lshl_add_u64 v[6:7], v[6:7], 3, s[2:3]
	global_store_dwordx2 v[6:7], v[8:9], off
	s_or_b64 exec, exec, s[4:5]
	v_cmp_gt_u32_e32 vcc, s33, v26
	s_and_saveexec_b64 s[4:5], vcc
	s_cbranch_execnz .LBB191_117
.LBB191_134:
	s_or_b64 exec, exec, s[4:5]
	v_cmp_gt_u32_e32 vcc, s33, v24
	s_and_saveexec_b64 s[4:5], vcc
	s_cbranch_execz .LBB191_140
.LBB191_135:
	v_cmp_ge_u32_e32 vcc, v24, v16
                                        ; implicit-def: $vgpr2_vgpr3
	s_and_saveexec_b64 s[6:7], vcc
	s_xor_b64 s[6:7], exec, s[6:7]
	s_cbranch_execz .LBB191_137
; %bb.136:
	s_waitcnt lgkmcnt(1)
	v_xor_b32_e32 v2, 0xfffff5ff, v0
	v_ashrrev_i32_e32 v3, 31, v2
	v_lshl_add_u64 v[2:3], v[22:23], 0, v[2:3]
                                        ; implicit-def: $vgpr24_vgpr25
.LBB191_137:
	s_andn2_saveexec_b64 s[6:7], s[6:7]
	s_cbranch_execz .LBB191_139
; %bb.138:
	s_waitcnt lgkmcnt(1)
	v_lshl_add_u64 v[2:3], v[14:15], 0, v[24:25]
.LBB191_139:
	s_or_b64 exec, exec, s[6:7]
	s_waitcnt lgkmcnt(1)
	v_lshl_add_u64 v[2:3], v[2:3], 3, s[2:3]
	global_store_dwordx2 v[2:3], v[4:5], off
.LBB191_140:
	s_or_b64 exec, exec, s[4:5]
	v_cmp_gt_u32_e32 vcc, s33, v20
                                        ; implicit-def: $vgpr34_vgpr35
	s_and_saveexec_b64 s[4:5], vcc
	s_cbranch_execz .LBB191_146
; %bb.141:
	v_cmp_ge_u32_e32 vcc, v20, v16
                                        ; implicit-def: $vgpr34_vgpr35
	s_and_saveexec_b64 s[6:7], vcc
	s_xor_b64 s[6:7], exec, s[6:7]
	s_cbranch_execz .LBB191_143
; %bb.142:
	s_waitcnt lgkmcnt(1)
	v_xor_b32_e32 v2, 0xfffff3ff, v0
	v_ashrrev_i32_e32 v3, 31, v2
	v_lshl_add_u64 v[34:35], v[22:23], 0, v[2:3]
                                        ; implicit-def: $vgpr20_vgpr21
.LBB191_143:
	s_andn2_saveexec_b64 s[6:7], s[6:7]
; %bb.144:
	v_lshl_add_u64 v[34:35], v[14:15], 0, v[20:21]
; %bb.145:
	s_or_b64 exec, exec, s[6:7]
	s_or_b64 s[0:1], s[0:1], exec
.LBB191_146:
	s_or_b64 exec, exec, s[4:5]
.LBB191_147:
	s_and_saveexec_b64 s[4:5], s[0:1]
	s_cbranch_execz .LBB191_149
; %bb.148:
	s_waitcnt lgkmcnt(1)
	v_lshl_add_u64 v[2:3], v[34:35], 3, s[2:3]
	s_waitcnt lgkmcnt(0)
	global_store_dwordx2 v[2:3], v[18:19], off
.LBB191_149:
	s_or_b64 exec, exec, s[4:5]
	v_cmp_eq_u32_e32 vcc, 0, v0
	s_and_b64 s[0:1], vcc, s[22:23]
	s_and_saveexec_b64 s[2:3], s[0:1]
	s_cbranch_execz .LBB191_151
; %bb.150:
	s_waitcnt lgkmcnt(1)
	v_mov_b32_e32 v2, 0
	v_lshl_add_u64 v[0:1], v[14:15], 0, v[16:17]
	global_store_dwordx2 v2, v[0:1], s[20:21]
.LBB191_151:
	s_endpgm
	.section	.rodata,"a",@progbits
	.p2align	6, 0x0
	.amdhsa_kernel _ZN7rocprim17ROCPRIM_400000_NS6detail17trampoline_kernelINS0_14default_configENS1_25partition_config_selectorILNS1_17partition_subalgoE2ExNS0_10empty_typeEbEEZZNS1_14partition_implILS5_2ELb0ES3_jN6thrust23THRUST_200600_302600_NS6detail15normal_iteratorINSA_7pointerIxNSA_11hip_rocprim3tagENSA_11use_defaultESG_EEEEPS6_NSA_18transform_iteratorI7is_evenIxENSC_INSA_10device_ptrIxEEEESG_SG_EENS0_5tupleIJPxSJ_EEENSR_IJSJ_SJ_EEES6_PlJS6_EEE10hipError_tPvRmT3_T4_T5_T6_T7_T9_mT8_P12ihipStream_tbDpT10_ENKUlT_T0_E_clISt17integral_constantIbLb0EES1F_EEDaS1A_S1B_EUlS1A_E_NS1_11comp_targetILNS1_3genE5ELNS1_11target_archE942ELNS1_3gpuE9ELNS1_3repE0EEENS1_30default_config_static_selectorELNS0_4arch9wavefront6targetE1EEEvT1_
		.amdhsa_group_segment_fixed_size 28680
		.amdhsa_private_segment_fixed_size 0
		.amdhsa_kernarg_size 128
		.amdhsa_user_sgpr_count 2
		.amdhsa_user_sgpr_dispatch_ptr 0
		.amdhsa_user_sgpr_queue_ptr 0
		.amdhsa_user_sgpr_kernarg_segment_ptr 1
		.amdhsa_user_sgpr_dispatch_id 0
		.amdhsa_user_sgpr_kernarg_preload_length 0
		.amdhsa_user_sgpr_kernarg_preload_offset 0
		.amdhsa_user_sgpr_private_segment_size 0
		.amdhsa_uses_dynamic_stack 0
		.amdhsa_enable_private_segment 0
		.amdhsa_system_sgpr_workgroup_id_x 1
		.amdhsa_system_sgpr_workgroup_id_y 0
		.amdhsa_system_sgpr_workgroup_id_z 0
		.amdhsa_system_sgpr_workgroup_info 0
		.amdhsa_system_vgpr_workitem_id 0
		.amdhsa_next_free_vgpr 54
		.amdhsa_next_free_sgpr 46
		.amdhsa_accum_offset 56
		.amdhsa_reserve_vcc 1
		.amdhsa_float_round_mode_32 0
		.amdhsa_float_round_mode_16_64 0
		.amdhsa_float_denorm_mode_32 3
		.amdhsa_float_denorm_mode_16_64 3
		.amdhsa_dx10_clamp 1
		.amdhsa_ieee_mode 1
		.amdhsa_fp16_overflow 0
		.amdhsa_tg_split 0
		.amdhsa_exception_fp_ieee_invalid_op 0
		.amdhsa_exception_fp_denorm_src 0
		.amdhsa_exception_fp_ieee_div_zero 0
		.amdhsa_exception_fp_ieee_overflow 0
		.amdhsa_exception_fp_ieee_underflow 0
		.amdhsa_exception_fp_ieee_inexact 0
		.amdhsa_exception_int_div_zero 0
	.end_amdhsa_kernel
	.section	.text._ZN7rocprim17ROCPRIM_400000_NS6detail17trampoline_kernelINS0_14default_configENS1_25partition_config_selectorILNS1_17partition_subalgoE2ExNS0_10empty_typeEbEEZZNS1_14partition_implILS5_2ELb0ES3_jN6thrust23THRUST_200600_302600_NS6detail15normal_iteratorINSA_7pointerIxNSA_11hip_rocprim3tagENSA_11use_defaultESG_EEEEPS6_NSA_18transform_iteratorI7is_evenIxENSC_INSA_10device_ptrIxEEEESG_SG_EENS0_5tupleIJPxSJ_EEENSR_IJSJ_SJ_EEES6_PlJS6_EEE10hipError_tPvRmT3_T4_T5_T6_T7_T9_mT8_P12ihipStream_tbDpT10_ENKUlT_T0_E_clISt17integral_constantIbLb0EES1F_EEDaS1A_S1B_EUlS1A_E_NS1_11comp_targetILNS1_3genE5ELNS1_11target_archE942ELNS1_3gpuE9ELNS1_3repE0EEENS1_30default_config_static_selectorELNS0_4arch9wavefront6targetE1EEEvT1_,"axG",@progbits,_ZN7rocprim17ROCPRIM_400000_NS6detail17trampoline_kernelINS0_14default_configENS1_25partition_config_selectorILNS1_17partition_subalgoE2ExNS0_10empty_typeEbEEZZNS1_14partition_implILS5_2ELb0ES3_jN6thrust23THRUST_200600_302600_NS6detail15normal_iteratorINSA_7pointerIxNSA_11hip_rocprim3tagENSA_11use_defaultESG_EEEEPS6_NSA_18transform_iteratorI7is_evenIxENSC_INSA_10device_ptrIxEEEESG_SG_EENS0_5tupleIJPxSJ_EEENSR_IJSJ_SJ_EEES6_PlJS6_EEE10hipError_tPvRmT3_T4_T5_T6_T7_T9_mT8_P12ihipStream_tbDpT10_ENKUlT_T0_E_clISt17integral_constantIbLb0EES1F_EEDaS1A_S1B_EUlS1A_E_NS1_11comp_targetILNS1_3genE5ELNS1_11target_archE942ELNS1_3gpuE9ELNS1_3repE0EEENS1_30default_config_static_selectorELNS0_4arch9wavefront6targetE1EEEvT1_,comdat
.Lfunc_end191:
	.size	_ZN7rocprim17ROCPRIM_400000_NS6detail17trampoline_kernelINS0_14default_configENS1_25partition_config_selectorILNS1_17partition_subalgoE2ExNS0_10empty_typeEbEEZZNS1_14partition_implILS5_2ELb0ES3_jN6thrust23THRUST_200600_302600_NS6detail15normal_iteratorINSA_7pointerIxNSA_11hip_rocprim3tagENSA_11use_defaultESG_EEEEPS6_NSA_18transform_iteratorI7is_evenIxENSC_INSA_10device_ptrIxEEEESG_SG_EENS0_5tupleIJPxSJ_EEENSR_IJSJ_SJ_EEES6_PlJS6_EEE10hipError_tPvRmT3_T4_T5_T6_T7_T9_mT8_P12ihipStream_tbDpT10_ENKUlT_T0_E_clISt17integral_constantIbLb0EES1F_EEDaS1A_S1B_EUlS1A_E_NS1_11comp_targetILNS1_3genE5ELNS1_11target_archE942ELNS1_3gpuE9ELNS1_3repE0EEENS1_30default_config_static_selectorELNS0_4arch9wavefront6targetE1EEEvT1_, .Lfunc_end191-_ZN7rocprim17ROCPRIM_400000_NS6detail17trampoline_kernelINS0_14default_configENS1_25partition_config_selectorILNS1_17partition_subalgoE2ExNS0_10empty_typeEbEEZZNS1_14partition_implILS5_2ELb0ES3_jN6thrust23THRUST_200600_302600_NS6detail15normal_iteratorINSA_7pointerIxNSA_11hip_rocprim3tagENSA_11use_defaultESG_EEEEPS6_NSA_18transform_iteratorI7is_evenIxENSC_INSA_10device_ptrIxEEEESG_SG_EENS0_5tupleIJPxSJ_EEENSR_IJSJ_SJ_EEES6_PlJS6_EEE10hipError_tPvRmT3_T4_T5_T6_T7_T9_mT8_P12ihipStream_tbDpT10_ENKUlT_T0_E_clISt17integral_constantIbLb0EES1F_EEDaS1A_S1B_EUlS1A_E_NS1_11comp_targetILNS1_3genE5ELNS1_11target_archE942ELNS1_3gpuE9ELNS1_3repE0EEENS1_30default_config_static_selectorELNS0_4arch9wavefront6targetE1EEEvT1_
                                        ; -- End function
	.section	.AMDGPU.csdata,"",@progbits
; Kernel info:
; codeLenInByte = 5480
; NumSgprs: 52
; NumVgprs: 54
; NumAgprs: 0
; TotalNumVgprs: 54
; ScratchSize: 0
; MemoryBound: 0
; FloatMode: 240
; IeeeMode: 1
; LDSByteSize: 28680 bytes/workgroup (compile time only)
; SGPRBlocks: 6
; VGPRBlocks: 6
; NumSGPRsForWavesPerEU: 52
; NumVGPRsForWavesPerEU: 54
; AccumOffset: 56
; Occupancy: 4
; WaveLimiterHint : 1
; COMPUTE_PGM_RSRC2:SCRATCH_EN: 0
; COMPUTE_PGM_RSRC2:USER_SGPR: 2
; COMPUTE_PGM_RSRC2:TRAP_HANDLER: 0
; COMPUTE_PGM_RSRC2:TGID_X_EN: 1
; COMPUTE_PGM_RSRC2:TGID_Y_EN: 0
; COMPUTE_PGM_RSRC2:TGID_Z_EN: 0
; COMPUTE_PGM_RSRC2:TIDIG_COMP_CNT: 0
; COMPUTE_PGM_RSRC3_GFX90A:ACCUM_OFFSET: 13
; COMPUTE_PGM_RSRC3_GFX90A:TG_SPLIT: 0
	.section	.text._ZN7rocprim17ROCPRIM_400000_NS6detail17trampoline_kernelINS0_14default_configENS1_25partition_config_selectorILNS1_17partition_subalgoE2ExNS0_10empty_typeEbEEZZNS1_14partition_implILS5_2ELb0ES3_jN6thrust23THRUST_200600_302600_NS6detail15normal_iteratorINSA_7pointerIxNSA_11hip_rocprim3tagENSA_11use_defaultESG_EEEEPS6_NSA_18transform_iteratorI7is_evenIxENSC_INSA_10device_ptrIxEEEESG_SG_EENS0_5tupleIJPxSJ_EEENSR_IJSJ_SJ_EEES6_PlJS6_EEE10hipError_tPvRmT3_T4_T5_T6_T7_T9_mT8_P12ihipStream_tbDpT10_ENKUlT_T0_E_clISt17integral_constantIbLb0EES1F_EEDaS1A_S1B_EUlS1A_E_NS1_11comp_targetILNS1_3genE4ELNS1_11target_archE910ELNS1_3gpuE8ELNS1_3repE0EEENS1_30default_config_static_selectorELNS0_4arch9wavefront6targetE1EEEvT1_,"axG",@progbits,_ZN7rocprim17ROCPRIM_400000_NS6detail17trampoline_kernelINS0_14default_configENS1_25partition_config_selectorILNS1_17partition_subalgoE2ExNS0_10empty_typeEbEEZZNS1_14partition_implILS5_2ELb0ES3_jN6thrust23THRUST_200600_302600_NS6detail15normal_iteratorINSA_7pointerIxNSA_11hip_rocprim3tagENSA_11use_defaultESG_EEEEPS6_NSA_18transform_iteratorI7is_evenIxENSC_INSA_10device_ptrIxEEEESG_SG_EENS0_5tupleIJPxSJ_EEENSR_IJSJ_SJ_EEES6_PlJS6_EEE10hipError_tPvRmT3_T4_T5_T6_T7_T9_mT8_P12ihipStream_tbDpT10_ENKUlT_T0_E_clISt17integral_constantIbLb0EES1F_EEDaS1A_S1B_EUlS1A_E_NS1_11comp_targetILNS1_3genE4ELNS1_11target_archE910ELNS1_3gpuE8ELNS1_3repE0EEENS1_30default_config_static_selectorELNS0_4arch9wavefront6targetE1EEEvT1_,comdat
	.protected	_ZN7rocprim17ROCPRIM_400000_NS6detail17trampoline_kernelINS0_14default_configENS1_25partition_config_selectorILNS1_17partition_subalgoE2ExNS0_10empty_typeEbEEZZNS1_14partition_implILS5_2ELb0ES3_jN6thrust23THRUST_200600_302600_NS6detail15normal_iteratorINSA_7pointerIxNSA_11hip_rocprim3tagENSA_11use_defaultESG_EEEEPS6_NSA_18transform_iteratorI7is_evenIxENSC_INSA_10device_ptrIxEEEESG_SG_EENS0_5tupleIJPxSJ_EEENSR_IJSJ_SJ_EEES6_PlJS6_EEE10hipError_tPvRmT3_T4_T5_T6_T7_T9_mT8_P12ihipStream_tbDpT10_ENKUlT_T0_E_clISt17integral_constantIbLb0EES1F_EEDaS1A_S1B_EUlS1A_E_NS1_11comp_targetILNS1_3genE4ELNS1_11target_archE910ELNS1_3gpuE8ELNS1_3repE0EEENS1_30default_config_static_selectorELNS0_4arch9wavefront6targetE1EEEvT1_ ; -- Begin function _ZN7rocprim17ROCPRIM_400000_NS6detail17trampoline_kernelINS0_14default_configENS1_25partition_config_selectorILNS1_17partition_subalgoE2ExNS0_10empty_typeEbEEZZNS1_14partition_implILS5_2ELb0ES3_jN6thrust23THRUST_200600_302600_NS6detail15normal_iteratorINSA_7pointerIxNSA_11hip_rocprim3tagENSA_11use_defaultESG_EEEEPS6_NSA_18transform_iteratorI7is_evenIxENSC_INSA_10device_ptrIxEEEESG_SG_EENS0_5tupleIJPxSJ_EEENSR_IJSJ_SJ_EEES6_PlJS6_EEE10hipError_tPvRmT3_T4_T5_T6_T7_T9_mT8_P12ihipStream_tbDpT10_ENKUlT_T0_E_clISt17integral_constantIbLb0EES1F_EEDaS1A_S1B_EUlS1A_E_NS1_11comp_targetILNS1_3genE4ELNS1_11target_archE910ELNS1_3gpuE8ELNS1_3repE0EEENS1_30default_config_static_selectorELNS0_4arch9wavefront6targetE1EEEvT1_
	.globl	_ZN7rocprim17ROCPRIM_400000_NS6detail17trampoline_kernelINS0_14default_configENS1_25partition_config_selectorILNS1_17partition_subalgoE2ExNS0_10empty_typeEbEEZZNS1_14partition_implILS5_2ELb0ES3_jN6thrust23THRUST_200600_302600_NS6detail15normal_iteratorINSA_7pointerIxNSA_11hip_rocprim3tagENSA_11use_defaultESG_EEEEPS6_NSA_18transform_iteratorI7is_evenIxENSC_INSA_10device_ptrIxEEEESG_SG_EENS0_5tupleIJPxSJ_EEENSR_IJSJ_SJ_EEES6_PlJS6_EEE10hipError_tPvRmT3_T4_T5_T6_T7_T9_mT8_P12ihipStream_tbDpT10_ENKUlT_T0_E_clISt17integral_constantIbLb0EES1F_EEDaS1A_S1B_EUlS1A_E_NS1_11comp_targetILNS1_3genE4ELNS1_11target_archE910ELNS1_3gpuE8ELNS1_3repE0EEENS1_30default_config_static_selectorELNS0_4arch9wavefront6targetE1EEEvT1_
	.p2align	8
	.type	_ZN7rocprim17ROCPRIM_400000_NS6detail17trampoline_kernelINS0_14default_configENS1_25partition_config_selectorILNS1_17partition_subalgoE2ExNS0_10empty_typeEbEEZZNS1_14partition_implILS5_2ELb0ES3_jN6thrust23THRUST_200600_302600_NS6detail15normal_iteratorINSA_7pointerIxNSA_11hip_rocprim3tagENSA_11use_defaultESG_EEEEPS6_NSA_18transform_iteratorI7is_evenIxENSC_INSA_10device_ptrIxEEEESG_SG_EENS0_5tupleIJPxSJ_EEENSR_IJSJ_SJ_EEES6_PlJS6_EEE10hipError_tPvRmT3_T4_T5_T6_T7_T9_mT8_P12ihipStream_tbDpT10_ENKUlT_T0_E_clISt17integral_constantIbLb0EES1F_EEDaS1A_S1B_EUlS1A_E_NS1_11comp_targetILNS1_3genE4ELNS1_11target_archE910ELNS1_3gpuE8ELNS1_3repE0EEENS1_30default_config_static_selectorELNS0_4arch9wavefront6targetE1EEEvT1_,@function
_ZN7rocprim17ROCPRIM_400000_NS6detail17trampoline_kernelINS0_14default_configENS1_25partition_config_selectorILNS1_17partition_subalgoE2ExNS0_10empty_typeEbEEZZNS1_14partition_implILS5_2ELb0ES3_jN6thrust23THRUST_200600_302600_NS6detail15normal_iteratorINSA_7pointerIxNSA_11hip_rocprim3tagENSA_11use_defaultESG_EEEEPS6_NSA_18transform_iteratorI7is_evenIxENSC_INSA_10device_ptrIxEEEESG_SG_EENS0_5tupleIJPxSJ_EEENSR_IJSJ_SJ_EEES6_PlJS6_EEE10hipError_tPvRmT3_T4_T5_T6_T7_T9_mT8_P12ihipStream_tbDpT10_ENKUlT_T0_E_clISt17integral_constantIbLb0EES1F_EEDaS1A_S1B_EUlS1A_E_NS1_11comp_targetILNS1_3genE4ELNS1_11target_archE910ELNS1_3gpuE8ELNS1_3repE0EEENS1_30default_config_static_selectorELNS0_4arch9wavefront6targetE1EEEvT1_: ; @_ZN7rocprim17ROCPRIM_400000_NS6detail17trampoline_kernelINS0_14default_configENS1_25partition_config_selectorILNS1_17partition_subalgoE2ExNS0_10empty_typeEbEEZZNS1_14partition_implILS5_2ELb0ES3_jN6thrust23THRUST_200600_302600_NS6detail15normal_iteratorINSA_7pointerIxNSA_11hip_rocprim3tagENSA_11use_defaultESG_EEEEPS6_NSA_18transform_iteratorI7is_evenIxENSC_INSA_10device_ptrIxEEEESG_SG_EENS0_5tupleIJPxSJ_EEENSR_IJSJ_SJ_EEES6_PlJS6_EEE10hipError_tPvRmT3_T4_T5_T6_T7_T9_mT8_P12ihipStream_tbDpT10_ENKUlT_T0_E_clISt17integral_constantIbLb0EES1F_EEDaS1A_S1B_EUlS1A_E_NS1_11comp_targetILNS1_3genE4ELNS1_11target_archE910ELNS1_3gpuE8ELNS1_3repE0EEENS1_30default_config_static_selectorELNS0_4arch9wavefront6targetE1EEEvT1_
; %bb.0:
	.section	.rodata,"a",@progbits
	.p2align	6, 0x0
	.amdhsa_kernel _ZN7rocprim17ROCPRIM_400000_NS6detail17trampoline_kernelINS0_14default_configENS1_25partition_config_selectorILNS1_17partition_subalgoE2ExNS0_10empty_typeEbEEZZNS1_14partition_implILS5_2ELb0ES3_jN6thrust23THRUST_200600_302600_NS6detail15normal_iteratorINSA_7pointerIxNSA_11hip_rocprim3tagENSA_11use_defaultESG_EEEEPS6_NSA_18transform_iteratorI7is_evenIxENSC_INSA_10device_ptrIxEEEESG_SG_EENS0_5tupleIJPxSJ_EEENSR_IJSJ_SJ_EEES6_PlJS6_EEE10hipError_tPvRmT3_T4_T5_T6_T7_T9_mT8_P12ihipStream_tbDpT10_ENKUlT_T0_E_clISt17integral_constantIbLb0EES1F_EEDaS1A_S1B_EUlS1A_E_NS1_11comp_targetILNS1_3genE4ELNS1_11target_archE910ELNS1_3gpuE8ELNS1_3repE0EEENS1_30default_config_static_selectorELNS0_4arch9wavefront6targetE1EEEvT1_
		.amdhsa_group_segment_fixed_size 0
		.amdhsa_private_segment_fixed_size 0
		.amdhsa_kernarg_size 128
		.amdhsa_user_sgpr_count 2
		.amdhsa_user_sgpr_dispatch_ptr 0
		.amdhsa_user_sgpr_queue_ptr 0
		.amdhsa_user_sgpr_kernarg_segment_ptr 1
		.amdhsa_user_sgpr_dispatch_id 0
		.amdhsa_user_sgpr_kernarg_preload_length 0
		.amdhsa_user_sgpr_kernarg_preload_offset 0
		.amdhsa_user_sgpr_private_segment_size 0
		.amdhsa_uses_dynamic_stack 0
		.amdhsa_enable_private_segment 0
		.amdhsa_system_sgpr_workgroup_id_x 1
		.amdhsa_system_sgpr_workgroup_id_y 0
		.amdhsa_system_sgpr_workgroup_id_z 0
		.amdhsa_system_sgpr_workgroup_info 0
		.amdhsa_system_vgpr_workitem_id 0
		.amdhsa_next_free_vgpr 1
		.amdhsa_next_free_sgpr 0
		.amdhsa_accum_offset 4
		.amdhsa_reserve_vcc 0
		.amdhsa_float_round_mode_32 0
		.amdhsa_float_round_mode_16_64 0
		.amdhsa_float_denorm_mode_32 3
		.amdhsa_float_denorm_mode_16_64 3
		.amdhsa_dx10_clamp 1
		.amdhsa_ieee_mode 1
		.amdhsa_fp16_overflow 0
		.amdhsa_tg_split 0
		.amdhsa_exception_fp_ieee_invalid_op 0
		.amdhsa_exception_fp_denorm_src 0
		.amdhsa_exception_fp_ieee_div_zero 0
		.amdhsa_exception_fp_ieee_overflow 0
		.amdhsa_exception_fp_ieee_underflow 0
		.amdhsa_exception_fp_ieee_inexact 0
		.amdhsa_exception_int_div_zero 0
	.end_amdhsa_kernel
	.section	.text._ZN7rocprim17ROCPRIM_400000_NS6detail17trampoline_kernelINS0_14default_configENS1_25partition_config_selectorILNS1_17partition_subalgoE2ExNS0_10empty_typeEbEEZZNS1_14partition_implILS5_2ELb0ES3_jN6thrust23THRUST_200600_302600_NS6detail15normal_iteratorINSA_7pointerIxNSA_11hip_rocprim3tagENSA_11use_defaultESG_EEEEPS6_NSA_18transform_iteratorI7is_evenIxENSC_INSA_10device_ptrIxEEEESG_SG_EENS0_5tupleIJPxSJ_EEENSR_IJSJ_SJ_EEES6_PlJS6_EEE10hipError_tPvRmT3_T4_T5_T6_T7_T9_mT8_P12ihipStream_tbDpT10_ENKUlT_T0_E_clISt17integral_constantIbLb0EES1F_EEDaS1A_S1B_EUlS1A_E_NS1_11comp_targetILNS1_3genE4ELNS1_11target_archE910ELNS1_3gpuE8ELNS1_3repE0EEENS1_30default_config_static_selectorELNS0_4arch9wavefront6targetE1EEEvT1_,"axG",@progbits,_ZN7rocprim17ROCPRIM_400000_NS6detail17trampoline_kernelINS0_14default_configENS1_25partition_config_selectorILNS1_17partition_subalgoE2ExNS0_10empty_typeEbEEZZNS1_14partition_implILS5_2ELb0ES3_jN6thrust23THRUST_200600_302600_NS6detail15normal_iteratorINSA_7pointerIxNSA_11hip_rocprim3tagENSA_11use_defaultESG_EEEEPS6_NSA_18transform_iteratorI7is_evenIxENSC_INSA_10device_ptrIxEEEESG_SG_EENS0_5tupleIJPxSJ_EEENSR_IJSJ_SJ_EEES6_PlJS6_EEE10hipError_tPvRmT3_T4_T5_T6_T7_T9_mT8_P12ihipStream_tbDpT10_ENKUlT_T0_E_clISt17integral_constantIbLb0EES1F_EEDaS1A_S1B_EUlS1A_E_NS1_11comp_targetILNS1_3genE4ELNS1_11target_archE910ELNS1_3gpuE8ELNS1_3repE0EEENS1_30default_config_static_selectorELNS0_4arch9wavefront6targetE1EEEvT1_,comdat
.Lfunc_end192:
	.size	_ZN7rocprim17ROCPRIM_400000_NS6detail17trampoline_kernelINS0_14default_configENS1_25partition_config_selectorILNS1_17partition_subalgoE2ExNS0_10empty_typeEbEEZZNS1_14partition_implILS5_2ELb0ES3_jN6thrust23THRUST_200600_302600_NS6detail15normal_iteratorINSA_7pointerIxNSA_11hip_rocprim3tagENSA_11use_defaultESG_EEEEPS6_NSA_18transform_iteratorI7is_evenIxENSC_INSA_10device_ptrIxEEEESG_SG_EENS0_5tupleIJPxSJ_EEENSR_IJSJ_SJ_EEES6_PlJS6_EEE10hipError_tPvRmT3_T4_T5_T6_T7_T9_mT8_P12ihipStream_tbDpT10_ENKUlT_T0_E_clISt17integral_constantIbLb0EES1F_EEDaS1A_S1B_EUlS1A_E_NS1_11comp_targetILNS1_3genE4ELNS1_11target_archE910ELNS1_3gpuE8ELNS1_3repE0EEENS1_30default_config_static_selectorELNS0_4arch9wavefront6targetE1EEEvT1_, .Lfunc_end192-_ZN7rocprim17ROCPRIM_400000_NS6detail17trampoline_kernelINS0_14default_configENS1_25partition_config_selectorILNS1_17partition_subalgoE2ExNS0_10empty_typeEbEEZZNS1_14partition_implILS5_2ELb0ES3_jN6thrust23THRUST_200600_302600_NS6detail15normal_iteratorINSA_7pointerIxNSA_11hip_rocprim3tagENSA_11use_defaultESG_EEEEPS6_NSA_18transform_iteratorI7is_evenIxENSC_INSA_10device_ptrIxEEEESG_SG_EENS0_5tupleIJPxSJ_EEENSR_IJSJ_SJ_EEES6_PlJS6_EEE10hipError_tPvRmT3_T4_T5_T6_T7_T9_mT8_P12ihipStream_tbDpT10_ENKUlT_T0_E_clISt17integral_constantIbLb0EES1F_EEDaS1A_S1B_EUlS1A_E_NS1_11comp_targetILNS1_3genE4ELNS1_11target_archE910ELNS1_3gpuE8ELNS1_3repE0EEENS1_30default_config_static_selectorELNS0_4arch9wavefront6targetE1EEEvT1_
                                        ; -- End function
	.section	.AMDGPU.csdata,"",@progbits
; Kernel info:
; codeLenInByte = 0
; NumSgprs: 6
; NumVgprs: 0
; NumAgprs: 0
; TotalNumVgprs: 0
; ScratchSize: 0
; MemoryBound: 0
; FloatMode: 240
; IeeeMode: 1
; LDSByteSize: 0 bytes/workgroup (compile time only)
; SGPRBlocks: 0
; VGPRBlocks: 0
; NumSGPRsForWavesPerEU: 6
; NumVGPRsForWavesPerEU: 1
; AccumOffset: 4
; Occupancy: 8
; WaveLimiterHint : 0
; COMPUTE_PGM_RSRC2:SCRATCH_EN: 0
; COMPUTE_PGM_RSRC2:USER_SGPR: 2
; COMPUTE_PGM_RSRC2:TRAP_HANDLER: 0
; COMPUTE_PGM_RSRC2:TGID_X_EN: 1
; COMPUTE_PGM_RSRC2:TGID_Y_EN: 0
; COMPUTE_PGM_RSRC2:TGID_Z_EN: 0
; COMPUTE_PGM_RSRC2:TIDIG_COMP_CNT: 0
; COMPUTE_PGM_RSRC3_GFX90A:ACCUM_OFFSET: 0
; COMPUTE_PGM_RSRC3_GFX90A:TG_SPLIT: 0
	.section	.text._ZN7rocprim17ROCPRIM_400000_NS6detail17trampoline_kernelINS0_14default_configENS1_25partition_config_selectorILNS1_17partition_subalgoE2ExNS0_10empty_typeEbEEZZNS1_14partition_implILS5_2ELb0ES3_jN6thrust23THRUST_200600_302600_NS6detail15normal_iteratorINSA_7pointerIxNSA_11hip_rocprim3tagENSA_11use_defaultESG_EEEEPS6_NSA_18transform_iteratorI7is_evenIxENSC_INSA_10device_ptrIxEEEESG_SG_EENS0_5tupleIJPxSJ_EEENSR_IJSJ_SJ_EEES6_PlJS6_EEE10hipError_tPvRmT3_T4_T5_T6_T7_T9_mT8_P12ihipStream_tbDpT10_ENKUlT_T0_E_clISt17integral_constantIbLb0EES1F_EEDaS1A_S1B_EUlS1A_E_NS1_11comp_targetILNS1_3genE3ELNS1_11target_archE908ELNS1_3gpuE7ELNS1_3repE0EEENS1_30default_config_static_selectorELNS0_4arch9wavefront6targetE1EEEvT1_,"axG",@progbits,_ZN7rocprim17ROCPRIM_400000_NS6detail17trampoline_kernelINS0_14default_configENS1_25partition_config_selectorILNS1_17partition_subalgoE2ExNS0_10empty_typeEbEEZZNS1_14partition_implILS5_2ELb0ES3_jN6thrust23THRUST_200600_302600_NS6detail15normal_iteratorINSA_7pointerIxNSA_11hip_rocprim3tagENSA_11use_defaultESG_EEEEPS6_NSA_18transform_iteratorI7is_evenIxENSC_INSA_10device_ptrIxEEEESG_SG_EENS0_5tupleIJPxSJ_EEENSR_IJSJ_SJ_EEES6_PlJS6_EEE10hipError_tPvRmT3_T4_T5_T6_T7_T9_mT8_P12ihipStream_tbDpT10_ENKUlT_T0_E_clISt17integral_constantIbLb0EES1F_EEDaS1A_S1B_EUlS1A_E_NS1_11comp_targetILNS1_3genE3ELNS1_11target_archE908ELNS1_3gpuE7ELNS1_3repE0EEENS1_30default_config_static_selectorELNS0_4arch9wavefront6targetE1EEEvT1_,comdat
	.protected	_ZN7rocprim17ROCPRIM_400000_NS6detail17trampoline_kernelINS0_14default_configENS1_25partition_config_selectorILNS1_17partition_subalgoE2ExNS0_10empty_typeEbEEZZNS1_14partition_implILS5_2ELb0ES3_jN6thrust23THRUST_200600_302600_NS6detail15normal_iteratorINSA_7pointerIxNSA_11hip_rocprim3tagENSA_11use_defaultESG_EEEEPS6_NSA_18transform_iteratorI7is_evenIxENSC_INSA_10device_ptrIxEEEESG_SG_EENS0_5tupleIJPxSJ_EEENSR_IJSJ_SJ_EEES6_PlJS6_EEE10hipError_tPvRmT3_T4_T5_T6_T7_T9_mT8_P12ihipStream_tbDpT10_ENKUlT_T0_E_clISt17integral_constantIbLb0EES1F_EEDaS1A_S1B_EUlS1A_E_NS1_11comp_targetILNS1_3genE3ELNS1_11target_archE908ELNS1_3gpuE7ELNS1_3repE0EEENS1_30default_config_static_selectorELNS0_4arch9wavefront6targetE1EEEvT1_ ; -- Begin function _ZN7rocprim17ROCPRIM_400000_NS6detail17trampoline_kernelINS0_14default_configENS1_25partition_config_selectorILNS1_17partition_subalgoE2ExNS0_10empty_typeEbEEZZNS1_14partition_implILS5_2ELb0ES3_jN6thrust23THRUST_200600_302600_NS6detail15normal_iteratorINSA_7pointerIxNSA_11hip_rocprim3tagENSA_11use_defaultESG_EEEEPS6_NSA_18transform_iteratorI7is_evenIxENSC_INSA_10device_ptrIxEEEESG_SG_EENS0_5tupleIJPxSJ_EEENSR_IJSJ_SJ_EEES6_PlJS6_EEE10hipError_tPvRmT3_T4_T5_T6_T7_T9_mT8_P12ihipStream_tbDpT10_ENKUlT_T0_E_clISt17integral_constantIbLb0EES1F_EEDaS1A_S1B_EUlS1A_E_NS1_11comp_targetILNS1_3genE3ELNS1_11target_archE908ELNS1_3gpuE7ELNS1_3repE0EEENS1_30default_config_static_selectorELNS0_4arch9wavefront6targetE1EEEvT1_
	.globl	_ZN7rocprim17ROCPRIM_400000_NS6detail17trampoline_kernelINS0_14default_configENS1_25partition_config_selectorILNS1_17partition_subalgoE2ExNS0_10empty_typeEbEEZZNS1_14partition_implILS5_2ELb0ES3_jN6thrust23THRUST_200600_302600_NS6detail15normal_iteratorINSA_7pointerIxNSA_11hip_rocprim3tagENSA_11use_defaultESG_EEEEPS6_NSA_18transform_iteratorI7is_evenIxENSC_INSA_10device_ptrIxEEEESG_SG_EENS0_5tupleIJPxSJ_EEENSR_IJSJ_SJ_EEES6_PlJS6_EEE10hipError_tPvRmT3_T4_T5_T6_T7_T9_mT8_P12ihipStream_tbDpT10_ENKUlT_T0_E_clISt17integral_constantIbLb0EES1F_EEDaS1A_S1B_EUlS1A_E_NS1_11comp_targetILNS1_3genE3ELNS1_11target_archE908ELNS1_3gpuE7ELNS1_3repE0EEENS1_30default_config_static_selectorELNS0_4arch9wavefront6targetE1EEEvT1_
	.p2align	8
	.type	_ZN7rocprim17ROCPRIM_400000_NS6detail17trampoline_kernelINS0_14default_configENS1_25partition_config_selectorILNS1_17partition_subalgoE2ExNS0_10empty_typeEbEEZZNS1_14partition_implILS5_2ELb0ES3_jN6thrust23THRUST_200600_302600_NS6detail15normal_iteratorINSA_7pointerIxNSA_11hip_rocprim3tagENSA_11use_defaultESG_EEEEPS6_NSA_18transform_iteratorI7is_evenIxENSC_INSA_10device_ptrIxEEEESG_SG_EENS0_5tupleIJPxSJ_EEENSR_IJSJ_SJ_EEES6_PlJS6_EEE10hipError_tPvRmT3_T4_T5_T6_T7_T9_mT8_P12ihipStream_tbDpT10_ENKUlT_T0_E_clISt17integral_constantIbLb0EES1F_EEDaS1A_S1B_EUlS1A_E_NS1_11comp_targetILNS1_3genE3ELNS1_11target_archE908ELNS1_3gpuE7ELNS1_3repE0EEENS1_30default_config_static_selectorELNS0_4arch9wavefront6targetE1EEEvT1_,@function
_ZN7rocprim17ROCPRIM_400000_NS6detail17trampoline_kernelINS0_14default_configENS1_25partition_config_selectorILNS1_17partition_subalgoE2ExNS0_10empty_typeEbEEZZNS1_14partition_implILS5_2ELb0ES3_jN6thrust23THRUST_200600_302600_NS6detail15normal_iteratorINSA_7pointerIxNSA_11hip_rocprim3tagENSA_11use_defaultESG_EEEEPS6_NSA_18transform_iteratorI7is_evenIxENSC_INSA_10device_ptrIxEEEESG_SG_EENS0_5tupleIJPxSJ_EEENSR_IJSJ_SJ_EEES6_PlJS6_EEE10hipError_tPvRmT3_T4_T5_T6_T7_T9_mT8_P12ihipStream_tbDpT10_ENKUlT_T0_E_clISt17integral_constantIbLb0EES1F_EEDaS1A_S1B_EUlS1A_E_NS1_11comp_targetILNS1_3genE3ELNS1_11target_archE908ELNS1_3gpuE7ELNS1_3repE0EEENS1_30default_config_static_selectorELNS0_4arch9wavefront6targetE1EEEvT1_: ; @_ZN7rocprim17ROCPRIM_400000_NS6detail17trampoline_kernelINS0_14default_configENS1_25partition_config_selectorILNS1_17partition_subalgoE2ExNS0_10empty_typeEbEEZZNS1_14partition_implILS5_2ELb0ES3_jN6thrust23THRUST_200600_302600_NS6detail15normal_iteratorINSA_7pointerIxNSA_11hip_rocprim3tagENSA_11use_defaultESG_EEEEPS6_NSA_18transform_iteratorI7is_evenIxENSC_INSA_10device_ptrIxEEEESG_SG_EENS0_5tupleIJPxSJ_EEENSR_IJSJ_SJ_EEES6_PlJS6_EEE10hipError_tPvRmT3_T4_T5_T6_T7_T9_mT8_P12ihipStream_tbDpT10_ENKUlT_T0_E_clISt17integral_constantIbLb0EES1F_EEDaS1A_S1B_EUlS1A_E_NS1_11comp_targetILNS1_3genE3ELNS1_11target_archE908ELNS1_3gpuE7ELNS1_3repE0EEENS1_30default_config_static_selectorELNS0_4arch9wavefront6targetE1EEEvT1_
; %bb.0:
	.section	.rodata,"a",@progbits
	.p2align	6, 0x0
	.amdhsa_kernel _ZN7rocprim17ROCPRIM_400000_NS6detail17trampoline_kernelINS0_14default_configENS1_25partition_config_selectorILNS1_17partition_subalgoE2ExNS0_10empty_typeEbEEZZNS1_14partition_implILS5_2ELb0ES3_jN6thrust23THRUST_200600_302600_NS6detail15normal_iteratorINSA_7pointerIxNSA_11hip_rocprim3tagENSA_11use_defaultESG_EEEEPS6_NSA_18transform_iteratorI7is_evenIxENSC_INSA_10device_ptrIxEEEESG_SG_EENS0_5tupleIJPxSJ_EEENSR_IJSJ_SJ_EEES6_PlJS6_EEE10hipError_tPvRmT3_T4_T5_T6_T7_T9_mT8_P12ihipStream_tbDpT10_ENKUlT_T0_E_clISt17integral_constantIbLb0EES1F_EEDaS1A_S1B_EUlS1A_E_NS1_11comp_targetILNS1_3genE3ELNS1_11target_archE908ELNS1_3gpuE7ELNS1_3repE0EEENS1_30default_config_static_selectorELNS0_4arch9wavefront6targetE1EEEvT1_
		.amdhsa_group_segment_fixed_size 0
		.amdhsa_private_segment_fixed_size 0
		.amdhsa_kernarg_size 128
		.amdhsa_user_sgpr_count 2
		.amdhsa_user_sgpr_dispatch_ptr 0
		.amdhsa_user_sgpr_queue_ptr 0
		.amdhsa_user_sgpr_kernarg_segment_ptr 1
		.amdhsa_user_sgpr_dispatch_id 0
		.amdhsa_user_sgpr_kernarg_preload_length 0
		.amdhsa_user_sgpr_kernarg_preload_offset 0
		.amdhsa_user_sgpr_private_segment_size 0
		.amdhsa_uses_dynamic_stack 0
		.amdhsa_enable_private_segment 0
		.amdhsa_system_sgpr_workgroup_id_x 1
		.amdhsa_system_sgpr_workgroup_id_y 0
		.amdhsa_system_sgpr_workgroup_id_z 0
		.amdhsa_system_sgpr_workgroup_info 0
		.amdhsa_system_vgpr_workitem_id 0
		.amdhsa_next_free_vgpr 1
		.amdhsa_next_free_sgpr 0
		.amdhsa_accum_offset 4
		.amdhsa_reserve_vcc 0
		.amdhsa_float_round_mode_32 0
		.amdhsa_float_round_mode_16_64 0
		.amdhsa_float_denorm_mode_32 3
		.amdhsa_float_denorm_mode_16_64 3
		.amdhsa_dx10_clamp 1
		.amdhsa_ieee_mode 1
		.amdhsa_fp16_overflow 0
		.amdhsa_tg_split 0
		.amdhsa_exception_fp_ieee_invalid_op 0
		.amdhsa_exception_fp_denorm_src 0
		.amdhsa_exception_fp_ieee_div_zero 0
		.amdhsa_exception_fp_ieee_overflow 0
		.amdhsa_exception_fp_ieee_underflow 0
		.amdhsa_exception_fp_ieee_inexact 0
		.amdhsa_exception_int_div_zero 0
	.end_amdhsa_kernel
	.section	.text._ZN7rocprim17ROCPRIM_400000_NS6detail17trampoline_kernelINS0_14default_configENS1_25partition_config_selectorILNS1_17partition_subalgoE2ExNS0_10empty_typeEbEEZZNS1_14partition_implILS5_2ELb0ES3_jN6thrust23THRUST_200600_302600_NS6detail15normal_iteratorINSA_7pointerIxNSA_11hip_rocprim3tagENSA_11use_defaultESG_EEEEPS6_NSA_18transform_iteratorI7is_evenIxENSC_INSA_10device_ptrIxEEEESG_SG_EENS0_5tupleIJPxSJ_EEENSR_IJSJ_SJ_EEES6_PlJS6_EEE10hipError_tPvRmT3_T4_T5_T6_T7_T9_mT8_P12ihipStream_tbDpT10_ENKUlT_T0_E_clISt17integral_constantIbLb0EES1F_EEDaS1A_S1B_EUlS1A_E_NS1_11comp_targetILNS1_3genE3ELNS1_11target_archE908ELNS1_3gpuE7ELNS1_3repE0EEENS1_30default_config_static_selectorELNS0_4arch9wavefront6targetE1EEEvT1_,"axG",@progbits,_ZN7rocprim17ROCPRIM_400000_NS6detail17trampoline_kernelINS0_14default_configENS1_25partition_config_selectorILNS1_17partition_subalgoE2ExNS0_10empty_typeEbEEZZNS1_14partition_implILS5_2ELb0ES3_jN6thrust23THRUST_200600_302600_NS6detail15normal_iteratorINSA_7pointerIxNSA_11hip_rocprim3tagENSA_11use_defaultESG_EEEEPS6_NSA_18transform_iteratorI7is_evenIxENSC_INSA_10device_ptrIxEEEESG_SG_EENS0_5tupleIJPxSJ_EEENSR_IJSJ_SJ_EEES6_PlJS6_EEE10hipError_tPvRmT3_T4_T5_T6_T7_T9_mT8_P12ihipStream_tbDpT10_ENKUlT_T0_E_clISt17integral_constantIbLb0EES1F_EEDaS1A_S1B_EUlS1A_E_NS1_11comp_targetILNS1_3genE3ELNS1_11target_archE908ELNS1_3gpuE7ELNS1_3repE0EEENS1_30default_config_static_selectorELNS0_4arch9wavefront6targetE1EEEvT1_,comdat
.Lfunc_end193:
	.size	_ZN7rocprim17ROCPRIM_400000_NS6detail17trampoline_kernelINS0_14default_configENS1_25partition_config_selectorILNS1_17partition_subalgoE2ExNS0_10empty_typeEbEEZZNS1_14partition_implILS5_2ELb0ES3_jN6thrust23THRUST_200600_302600_NS6detail15normal_iteratorINSA_7pointerIxNSA_11hip_rocprim3tagENSA_11use_defaultESG_EEEEPS6_NSA_18transform_iteratorI7is_evenIxENSC_INSA_10device_ptrIxEEEESG_SG_EENS0_5tupleIJPxSJ_EEENSR_IJSJ_SJ_EEES6_PlJS6_EEE10hipError_tPvRmT3_T4_T5_T6_T7_T9_mT8_P12ihipStream_tbDpT10_ENKUlT_T0_E_clISt17integral_constantIbLb0EES1F_EEDaS1A_S1B_EUlS1A_E_NS1_11comp_targetILNS1_3genE3ELNS1_11target_archE908ELNS1_3gpuE7ELNS1_3repE0EEENS1_30default_config_static_selectorELNS0_4arch9wavefront6targetE1EEEvT1_, .Lfunc_end193-_ZN7rocprim17ROCPRIM_400000_NS6detail17trampoline_kernelINS0_14default_configENS1_25partition_config_selectorILNS1_17partition_subalgoE2ExNS0_10empty_typeEbEEZZNS1_14partition_implILS5_2ELb0ES3_jN6thrust23THRUST_200600_302600_NS6detail15normal_iteratorINSA_7pointerIxNSA_11hip_rocprim3tagENSA_11use_defaultESG_EEEEPS6_NSA_18transform_iteratorI7is_evenIxENSC_INSA_10device_ptrIxEEEESG_SG_EENS0_5tupleIJPxSJ_EEENSR_IJSJ_SJ_EEES6_PlJS6_EEE10hipError_tPvRmT3_T4_T5_T6_T7_T9_mT8_P12ihipStream_tbDpT10_ENKUlT_T0_E_clISt17integral_constantIbLb0EES1F_EEDaS1A_S1B_EUlS1A_E_NS1_11comp_targetILNS1_3genE3ELNS1_11target_archE908ELNS1_3gpuE7ELNS1_3repE0EEENS1_30default_config_static_selectorELNS0_4arch9wavefront6targetE1EEEvT1_
                                        ; -- End function
	.section	.AMDGPU.csdata,"",@progbits
; Kernel info:
; codeLenInByte = 0
; NumSgprs: 6
; NumVgprs: 0
; NumAgprs: 0
; TotalNumVgprs: 0
; ScratchSize: 0
; MemoryBound: 0
; FloatMode: 240
; IeeeMode: 1
; LDSByteSize: 0 bytes/workgroup (compile time only)
; SGPRBlocks: 0
; VGPRBlocks: 0
; NumSGPRsForWavesPerEU: 6
; NumVGPRsForWavesPerEU: 1
; AccumOffset: 4
; Occupancy: 8
; WaveLimiterHint : 0
; COMPUTE_PGM_RSRC2:SCRATCH_EN: 0
; COMPUTE_PGM_RSRC2:USER_SGPR: 2
; COMPUTE_PGM_RSRC2:TRAP_HANDLER: 0
; COMPUTE_PGM_RSRC2:TGID_X_EN: 1
; COMPUTE_PGM_RSRC2:TGID_Y_EN: 0
; COMPUTE_PGM_RSRC2:TGID_Z_EN: 0
; COMPUTE_PGM_RSRC2:TIDIG_COMP_CNT: 0
; COMPUTE_PGM_RSRC3_GFX90A:ACCUM_OFFSET: 0
; COMPUTE_PGM_RSRC3_GFX90A:TG_SPLIT: 0
	.section	.text._ZN7rocprim17ROCPRIM_400000_NS6detail17trampoline_kernelINS0_14default_configENS1_25partition_config_selectorILNS1_17partition_subalgoE2ExNS0_10empty_typeEbEEZZNS1_14partition_implILS5_2ELb0ES3_jN6thrust23THRUST_200600_302600_NS6detail15normal_iteratorINSA_7pointerIxNSA_11hip_rocprim3tagENSA_11use_defaultESG_EEEEPS6_NSA_18transform_iteratorI7is_evenIxENSC_INSA_10device_ptrIxEEEESG_SG_EENS0_5tupleIJPxSJ_EEENSR_IJSJ_SJ_EEES6_PlJS6_EEE10hipError_tPvRmT3_T4_T5_T6_T7_T9_mT8_P12ihipStream_tbDpT10_ENKUlT_T0_E_clISt17integral_constantIbLb0EES1F_EEDaS1A_S1B_EUlS1A_E_NS1_11comp_targetILNS1_3genE2ELNS1_11target_archE906ELNS1_3gpuE6ELNS1_3repE0EEENS1_30default_config_static_selectorELNS0_4arch9wavefront6targetE1EEEvT1_,"axG",@progbits,_ZN7rocprim17ROCPRIM_400000_NS6detail17trampoline_kernelINS0_14default_configENS1_25partition_config_selectorILNS1_17partition_subalgoE2ExNS0_10empty_typeEbEEZZNS1_14partition_implILS5_2ELb0ES3_jN6thrust23THRUST_200600_302600_NS6detail15normal_iteratorINSA_7pointerIxNSA_11hip_rocprim3tagENSA_11use_defaultESG_EEEEPS6_NSA_18transform_iteratorI7is_evenIxENSC_INSA_10device_ptrIxEEEESG_SG_EENS0_5tupleIJPxSJ_EEENSR_IJSJ_SJ_EEES6_PlJS6_EEE10hipError_tPvRmT3_T4_T5_T6_T7_T9_mT8_P12ihipStream_tbDpT10_ENKUlT_T0_E_clISt17integral_constantIbLb0EES1F_EEDaS1A_S1B_EUlS1A_E_NS1_11comp_targetILNS1_3genE2ELNS1_11target_archE906ELNS1_3gpuE6ELNS1_3repE0EEENS1_30default_config_static_selectorELNS0_4arch9wavefront6targetE1EEEvT1_,comdat
	.protected	_ZN7rocprim17ROCPRIM_400000_NS6detail17trampoline_kernelINS0_14default_configENS1_25partition_config_selectorILNS1_17partition_subalgoE2ExNS0_10empty_typeEbEEZZNS1_14partition_implILS5_2ELb0ES3_jN6thrust23THRUST_200600_302600_NS6detail15normal_iteratorINSA_7pointerIxNSA_11hip_rocprim3tagENSA_11use_defaultESG_EEEEPS6_NSA_18transform_iteratorI7is_evenIxENSC_INSA_10device_ptrIxEEEESG_SG_EENS0_5tupleIJPxSJ_EEENSR_IJSJ_SJ_EEES6_PlJS6_EEE10hipError_tPvRmT3_T4_T5_T6_T7_T9_mT8_P12ihipStream_tbDpT10_ENKUlT_T0_E_clISt17integral_constantIbLb0EES1F_EEDaS1A_S1B_EUlS1A_E_NS1_11comp_targetILNS1_3genE2ELNS1_11target_archE906ELNS1_3gpuE6ELNS1_3repE0EEENS1_30default_config_static_selectorELNS0_4arch9wavefront6targetE1EEEvT1_ ; -- Begin function _ZN7rocprim17ROCPRIM_400000_NS6detail17trampoline_kernelINS0_14default_configENS1_25partition_config_selectorILNS1_17partition_subalgoE2ExNS0_10empty_typeEbEEZZNS1_14partition_implILS5_2ELb0ES3_jN6thrust23THRUST_200600_302600_NS6detail15normal_iteratorINSA_7pointerIxNSA_11hip_rocprim3tagENSA_11use_defaultESG_EEEEPS6_NSA_18transform_iteratorI7is_evenIxENSC_INSA_10device_ptrIxEEEESG_SG_EENS0_5tupleIJPxSJ_EEENSR_IJSJ_SJ_EEES6_PlJS6_EEE10hipError_tPvRmT3_T4_T5_T6_T7_T9_mT8_P12ihipStream_tbDpT10_ENKUlT_T0_E_clISt17integral_constantIbLb0EES1F_EEDaS1A_S1B_EUlS1A_E_NS1_11comp_targetILNS1_3genE2ELNS1_11target_archE906ELNS1_3gpuE6ELNS1_3repE0EEENS1_30default_config_static_selectorELNS0_4arch9wavefront6targetE1EEEvT1_
	.globl	_ZN7rocprim17ROCPRIM_400000_NS6detail17trampoline_kernelINS0_14default_configENS1_25partition_config_selectorILNS1_17partition_subalgoE2ExNS0_10empty_typeEbEEZZNS1_14partition_implILS5_2ELb0ES3_jN6thrust23THRUST_200600_302600_NS6detail15normal_iteratorINSA_7pointerIxNSA_11hip_rocprim3tagENSA_11use_defaultESG_EEEEPS6_NSA_18transform_iteratorI7is_evenIxENSC_INSA_10device_ptrIxEEEESG_SG_EENS0_5tupleIJPxSJ_EEENSR_IJSJ_SJ_EEES6_PlJS6_EEE10hipError_tPvRmT3_T4_T5_T6_T7_T9_mT8_P12ihipStream_tbDpT10_ENKUlT_T0_E_clISt17integral_constantIbLb0EES1F_EEDaS1A_S1B_EUlS1A_E_NS1_11comp_targetILNS1_3genE2ELNS1_11target_archE906ELNS1_3gpuE6ELNS1_3repE0EEENS1_30default_config_static_selectorELNS0_4arch9wavefront6targetE1EEEvT1_
	.p2align	8
	.type	_ZN7rocprim17ROCPRIM_400000_NS6detail17trampoline_kernelINS0_14default_configENS1_25partition_config_selectorILNS1_17partition_subalgoE2ExNS0_10empty_typeEbEEZZNS1_14partition_implILS5_2ELb0ES3_jN6thrust23THRUST_200600_302600_NS6detail15normal_iteratorINSA_7pointerIxNSA_11hip_rocprim3tagENSA_11use_defaultESG_EEEEPS6_NSA_18transform_iteratorI7is_evenIxENSC_INSA_10device_ptrIxEEEESG_SG_EENS0_5tupleIJPxSJ_EEENSR_IJSJ_SJ_EEES6_PlJS6_EEE10hipError_tPvRmT3_T4_T5_T6_T7_T9_mT8_P12ihipStream_tbDpT10_ENKUlT_T0_E_clISt17integral_constantIbLb0EES1F_EEDaS1A_S1B_EUlS1A_E_NS1_11comp_targetILNS1_3genE2ELNS1_11target_archE906ELNS1_3gpuE6ELNS1_3repE0EEENS1_30default_config_static_selectorELNS0_4arch9wavefront6targetE1EEEvT1_,@function
_ZN7rocprim17ROCPRIM_400000_NS6detail17trampoline_kernelINS0_14default_configENS1_25partition_config_selectorILNS1_17partition_subalgoE2ExNS0_10empty_typeEbEEZZNS1_14partition_implILS5_2ELb0ES3_jN6thrust23THRUST_200600_302600_NS6detail15normal_iteratorINSA_7pointerIxNSA_11hip_rocprim3tagENSA_11use_defaultESG_EEEEPS6_NSA_18transform_iteratorI7is_evenIxENSC_INSA_10device_ptrIxEEEESG_SG_EENS0_5tupleIJPxSJ_EEENSR_IJSJ_SJ_EEES6_PlJS6_EEE10hipError_tPvRmT3_T4_T5_T6_T7_T9_mT8_P12ihipStream_tbDpT10_ENKUlT_T0_E_clISt17integral_constantIbLb0EES1F_EEDaS1A_S1B_EUlS1A_E_NS1_11comp_targetILNS1_3genE2ELNS1_11target_archE906ELNS1_3gpuE6ELNS1_3repE0EEENS1_30default_config_static_selectorELNS0_4arch9wavefront6targetE1EEEvT1_: ; @_ZN7rocprim17ROCPRIM_400000_NS6detail17trampoline_kernelINS0_14default_configENS1_25partition_config_selectorILNS1_17partition_subalgoE2ExNS0_10empty_typeEbEEZZNS1_14partition_implILS5_2ELb0ES3_jN6thrust23THRUST_200600_302600_NS6detail15normal_iteratorINSA_7pointerIxNSA_11hip_rocprim3tagENSA_11use_defaultESG_EEEEPS6_NSA_18transform_iteratorI7is_evenIxENSC_INSA_10device_ptrIxEEEESG_SG_EENS0_5tupleIJPxSJ_EEENSR_IJSJ_SJ_EEES6_PlJS6_EEE10hipError_tPvRmT3_T4_T5_T6_T7_T9_mT8_P12ihipStream_tbDpT10_ENKUlT_T0_E_clISt17integral_constantIbLb0EES1F_EEDaS1A_S1B_EUlS1A_E_NS1_11comp_targetILNS1_3genE2ELNS1_11target_archE906ELNS1_3gpuE6ELNS1_3repE0EEENS1_30default_config_static_selectorELNS0_4arch9wavefront6targetE1EEEvT1_
; %bb.0:
	.section	.rodata,"a",@progbits
	.p2align	6, 0x0
	.amdhsa_kernel _ZN7rocprim17ROCPRIM_400000_NS6detail17trampoline_kernelINS0_14default_configENS1_25partition_config_selectorILNS1_17partition_subalgoE2ExNS0_10empty_typeEbEEZZNS1_14partition_implILS5_2ELb0ES3_jN6thrust23THRUST_200600_302600_NS6detail15normal_iteratorINSA_7pointerIxNSA_11hip_rocprim3tagENSA_11use_defaultESG_EEEEPS6_NSA_18transform_iteratorI7is_evenIxENSC_INSA_10device_ptrIxEEEESG_SG_EENS0_5tupleIJPxSJ_EEENSR_IJSJ_SJ_EEES6_PlJS6_EEE10hipError_tPvRmT3_T4_T5_T6_T7_T9_mT8_P12ihipStream_tbDpT10_ENKUlT_T0_E_clISt17integral_constantIbLb0EES1F_EEDaS1A_S1B_EUlS1A_E_NS1_11comp_targetILNS1_3genE2ELNS1_11target_archE906ELNS1_3gpuE6ELNS1_3repE0EEENS1_30default_config_static_selectorELNS0_4arch9wavefront6targetE1EEEvT1_
		.amdhsa_group_segment_fixed_size 0
		.amdhsa_private_segment_fixed_size 0
		.amdhsa_kernarg_size 128
		.amdhsa_user_sgpr_count 2
		.amdhsa_user_sgpr_dispatch_ptr 0
		.amdhsa_user_sgpr_queue_ptr 0
		.amdhsa_user_sgpr_kernarg_segment_ptr 1
		.amdhsa_user_sgpr_dispatch_id 0
		.amdhsa_user_sgpr_kernarg_preload_length 0
		.amdhsa_user_sgpr_kernarg_preload_offset 0
		.amdhsa_user_sgpr_private_segment_size 0
		.amdhsa_uses_dynamic_stack 0
		.amdhsa_enable_private_segment 0
		.amdhsa_system_sgpr_workgroup_id_x 1
		.amdhsa_system_sgpr_workgroup_id_y 0
		.amdhsa_system_sgpr_workgroup_id_z 0
		.amdhsa_system_sgpr_workgroup_info 0
		.amdhsa_system_vgpr_workitem_id 0
		.amdhsa_next_free_vgpr 1
		.amdhsa_next_free_sgpr 0
		.amdhsa_accum_offset 4
		.amdhsa_reserve_vcc 0
		.amdhsa_float_round_mode_32 0
		.amdhsa_float_round_mode_16_64 0
		.amdhsa_float_denorm_mode_32 3
		.amdhsa_float_denorm_mode_16_64 3
		.amdhsa_dx10_clamp 1
		.amdhsa_ieee_mode 1
		.amdhsa_fp16_overflow 0
		.amdhsa_tg_split 0
		.amdhsa_exception_fp_ieee_invalid_op 0
		.amdhsa_exception_fp_denorm_src 0
		.amdhsa_exception_fp_ieee_div_zero 0
		.amdhsa_exception_fp_ieee_overflow 0
		.amdhsa_exception_fp_ieee_underflow 0
		.amdhsa_exception_fp_ieee_inexact 0
		.amdhsa_exception_int_div_zero 0
	.end_amdhsa_kernel
	.section	.text._ZN7rocprim17ROCPRIM_400000_NS6detail17trampoline_kernelINS0_14default_configENS1_25partition_config_selectorILNS1_17partition_subalgoE2ExNS0_10empty_typeEbEEZZNS1_14partition_implILS5_2ELb0ES3_jN6thrust23THRUST_200600_302600_NS6detail15normal_iteratorINSA_7pointerIxNSA_11hip_rocprim3tagENSA_11use_defaultESG_EEEEPS6_NSA_18transform_iteratorI7is_evenIxENSC_INSA_10device_ptrIxEEEESG_SG_EENS0_5tupleIJPxSJ_EEENSR_IJSJ_SJ_EEES6_PlJS6_EEE10hipError_tPvRmT3_T4_T5_T6_T7_T9_mT8_P12ihipStream_tbDpT10_ENKUlT_T0_E_clISt17integral_constantIbLb0EES1F_EEDaS1A_S1B_EUlS1A_E_NS1_11comp_targetILNS1_3genE2ELNS1_11target_archE906ELNS1_3gpuE6ELNS1_3repE0EEENS1_30default_config_static_selectorELNS0_4arch9wavefront6targetE1EEEvT1_,"axG",@progbits,_ZN7rocprim17ROCPRIM_400000_NS6detail17trampoline_kernelINS0_14default_configENS1_25partition_config_selectorILNS1_17partition_subalgoE2ExNS0_10empty_typeEbEEZZNS1_14partition_implILS5_2ELb0ES3_jN6thrust23THRUST_200600_302600_NS6detail15normal_iteratorINSA_7pointerIxNSA_11hip_rocprim3tagENSA_11use_defaultESG_EEEEPS6_NSA_18transform_iteratorI7is_evenIxENSC_INSA_10device_ptrIxEEEESG_SG_EENS0_5tupleIJPxSJ_EEENSR_IJSJ_SJ_EEES6_PlJS6_EEE10hipError_tPvRmT3_T4_T5_T6_T7_T9_mT8_P12ihipStream_tbDpT10_ENKUlT_T0_E_clISt17integral_constantIbLb0EES1F_EEDaS1A_S1B_EUlS1A_E_NS1_11comp_targetILNS1_3genE2ELNS1_11target_archE906ELNS1_3gpuE6ELNS1_3repE0EEENS1_30default_config_static_selectorELNS0_4arch9wavefront6targetE1EEEvT1_,comdat
.Lfunc_end194:
	.size	_ZN7rocprim17ROCPRIM_400000_NS6detail17trampoline_kernelINS0_14default_configENS1_25partition_config_selectorILNS1_17partition_subalgoE2ExNS0_10empty_typeEbEEZZNS1_14partition_implILS5_2ELb0ES3_jN6thrust23THRUST_200600_302600_NS6detail15normal_iteratorINSA_7pointerIxNSA_11hip_rocprim3tagENSA_11use_defaultESG_EEEEPS6_NSA_18transform_iteratorI7is_evenIxENSC_INSA_10device_ptrIxEEEESG_SG_EENS0_5tupleIJPxSJ_EEENSR_IJSJ_SJ_EEES6_PlJS6_EEE10hipError_tPvRmT3_T4_T5_T6_T7_T9_mT8_P12ihipStream_tbDpT10_ENKUlT_T0_E_clISt17integral_constantIbLb0EES1F_EEDaS1A_S1B_EUlS1A_E_NS1_11comp_targetILNS1_3genE2ELNS1_11target_archE906ELNS1_3gpuE6ELNS1_3repE0EEENS1_30default_config_static_selectorELNS0_4arch9wavefront6targetE1EEEvT1_, .Lfunc_end194-_ZN7rocprim17ROCPRIM_400000_NS6detail17trampoline_kernelINS0_14default_configENS1_25partition_config_selectorILNS1_17partition_subalgoE2ExNS0_10empty_typeEbEEZZNS1_14partition_implILS5_2ELb0ES3_jN6thrust23THRUST_200600_302600_NS6detail15normal_iteratorINSA_7pointerIxNSA_11hip_rocprim3tagENSA_11use_defaultESG_EEEEPS6_NSA_18transform_iteratorI7is_evenIxENSC_INSA_10device_ptrIxEEEESG_SG_EENS0_5tupleIJPxSJ_EEENSR_IJSJ_SJ_EEES6_PlJS6_EEE10hipError_tPvRmT3_T4_T5_T6_T7_T9_mT8_P12ihipStream_tbDpT10_ENKUlT_T0_E_clISt17integral_constantIbLb0EES1F_EEDaS1A_S1B_EUlS1A_E_NS1_11comp_targetILNS1_3genE2ELNS1_11target_archE906ELNS1_3gpuE6ELNS1_3repE0EEENS1_30default_config_static_selectorELNS0_4arch9wavefront6targetE1EEEvT1_
                                        ; -- End function
	.section	.AMDGPU.csdata,"",@progbits
; Kernel info:
; codeLenInByte = 0
; NumSgprs: 6
; NumVgprs: 0
; NumAgprs: 0
; TotalNumVgprs: 0
; ScratchSize: 0
; MemoryBound: 0
; FloatMode: 240
; IeeeMode: 1
; LDSByteSize: 0 bytes/workgroup (compile time only)
; SGPRBlocks: 0
; VGPRBlocks: 0
; NumSGPRsForWavesPerEU: 6
; NumVGPRsForWavesPerEU: 1
; AccumOffset: 4
; Occupancy: 8
; WaveLimiterHint : 0
; COMPUTE_PGM_RSRC2:SCRATCH_EN: 0
; COMPUTE_PGM_RSRC2:USER_SGPR: 2
; COMPUTE_PGM_RSRC2:TRAP_HANDLER: 0
; COMPUTE_PGM_RSRC2:TGID_X_EN: 1
; COMPUTE_PGM_RSRC2:TGID_Y_EN: 0
; COMPUTE_PGM_RSRC2:TGID_Z_EN: 0
; COMPUTE_PGM_RSRC2:TIDIG_COMP_CNT: 0
; COMPUTE_PGM_RSRC3_GFX90A:ACCUM_OFFSET: 0
; COMPUTE_PGM_RSRC3_GFX90A:TG_SPLIT: 0
	.section	.text._ZN7rocprim17ROCPRIM_400000_NS6detail17trampoline_kernelINS0_14default_configENS1_25partition_config_selectorILNS1_17partition_subalgoE2ExNS0_10empty_typeEbEEZZNS1_14partition_implILS5_2ELb0ES3_jN6thrust23THRUST_200600_302600_NS6detail15normal_iteratorINSA_7pointerIxNSA_11hip_rocprim3tagENSA_11use_defaultESG_EEEEPS6_NSA_18transform_iteratorI7is_evenIxENSC_INSA_10device_ptrIxEEEESG_SG_EENS0_5tupleIJPxSJ_EEENSR_IJSJ_SJ_EEES6_PlJS6_EEE10hipError_tPvRmT3_T4_T5_T6_T7_T9_mT8_P12ihipStream_tbDpT10_ENKUlT_T0_E_clISt17integral_constantIbLb0EES1F_EEDaS1A_S1B_EUlS1A_E_NS1_11comp_targetILNS1_3genE10ELNS1_11target_archE1200ELNS1_3gpuE4ELNS1_3repE0EEENS1_30default_config_static_selectorELNS0_4arch9wavefront6targetE1EEEvT1_,"axG",@progbits,_ZN7rocprim17ROCPRIM_400000_NS6detail17trampoline_kernelINS0_14default_configENS1_25partition_config_selectorILNS1_17partition_subalgoE2ExNS0_10empty_typeEbEEZZNS1_14partition_implILS5_2ELb0ES3_jN6thrust23THRUST_200600_302600_NS6detail15normal_iteratorINSA_7pointerIxNSA_11hip_rocprim3tagENSA_11use_defaultESG_EEEEPS6_NSA_18transform_iteratorI7is_evenIxENSC_INSA_10device_ptrIxEEEESG_SG_EENS0_5tupleIJPxSJ_EEENSR_IJSJ_SJ_EEES6_PlJS6_EEE10hipError_tPvRmT3_T4_T5_T6_T7_T9_mT8_P12ihipStream_tbDpT10_ENKUlT_T0_E_clISt17integral_constantIbLb0EES1F_EEDaS1A_S1B_EUlS1A_E_NS1_11comp_targetILNS1_3genE10ELNS1_11target_archE1200ELNS1_3gpuE4ELNS1_3repE0EEENS1_30default_config_static_selectorELNS0_4arch9wavefront6targetE1EEEvT1_,comdat
	.protected	_ZN7rocprim17ROCPRIM_400000_NS6detail17trampoline_kernelINS0_14default_configENS1_25partition_config_selectorILNS1_17partition_subalgoE2ExNS0_10empty_typeEbEEZZNS1_14partition_implILS5_2ELb0ES3_jN6thrust23THRUST_200600_302600_NS6detail15normal_iteratorINSA_7pointerIxNSA_11hip_rocprim3tagENSA_11use_defaultESG_EEEEPS6_NSA_18transform_iteratorI7is_evenIxENSC_INSA_10device_ptrIxEEEESG_SG_EENS0_5tupleIJPxSJ_EEENSR_IJSJ_SJ_EEES6_PlJS6_EEE10hipError_tPvRmT3_T4_T5_T6_T7_T9_mT8_P12ihipStream_tbDpT10_ENKUlT_T0_E_clISt17integral_constantIbLb0EES1F_EEDaS1A_S1B_EUlS1A_E_NS1_11comp_targetILNS1_3genE10ELNS1_11target_archE1200ELNS1_3gpuE4ELNS1_3repE0EEENS1_30default_config_static_selectorELNS0_4arch9wavefront6targetE1EEEvT1_ ; -- Begin function _ZN7rocprim17ROCPRIM_400000_NS6detail17trampoline_kernelINS0_14default_configENS1_25partition_config_selectorILNS1_17partition_subalgoE2ExNS0_10empty_typeEbEEZZNS1_14partition_implILS5_2ELb0ES3_jN6thrust23THRUST_200600_302600_NS6detail15normal_iteratorINSA_7pointerIxNSA_11hip_rocprim3tagENSA_11use_defaultESG_EEEEPS6_NSA_18transform_iteratorI7is_evenIxENSC_INSA_10device_ptrIxEEEESG_SG_EENS0_5tupleIJPxSJ_EEENSR_IJSJ_SJ_EEES6_PlJS6_EEE10hipError_tPvRmT3_T4_T5_T6_T7_T9_mT8_P12ihipStream_tbDpT10_ENKUlT_T0_E_clISt17integral_constantIbLb0EES1F_EEDaS1A_S1B_EUlS1A_E_NS1_11comp_targetILNS1_3genE10ELNS1_11target_archE1200ELNS1_3gpuE4ELNS1_3repE0EEENS1_30default_config_static_selectorELNS0_4arch9wavefront6targetE1EEEvT1_
	.globl	_ZN7rocprim17ROCPRIM_400000_NS6detail17trampoline_kernelINS0_14default_configENS1_25partition_config_selectorILNS1_17partition_subalgoE2ExNS0_10empty_typeEbEEZZNS1_14partition_implILS5_2ELb0ES3_jN6thrust23THRUST_200600_302600_NS6detail15normal_iteratorINSA_7pointerIxNSA_11hip_rocprim3tagENSA_11use_defaultESG_EEEEPS6_NSA_18transform_iteratorI7is_evenIxENSC_INSA_10device_ptrIxEEEESG_SG_EENS0_5tupleIJPxSJ_EEENSR_IJSJ_SJ_EEES6_PlJS6_EEE10hipError_tPvRmT3_T4_T5_T6_T7_T9_mT8_P12ihipStream_tbDpT10_ENKUlT_T0_E_clISt17integral_constantIbLb0EES1F_EEDaS1A_S1B_EUlS1A_E_NS1_11comp_targetILNS1_3genE10ELNS1_11target_archE1200ELNS1_3gpuE4ELNS1_3repE0EEENS1_30default_config_static_selectorELNS0_4arch9wavefront6targetE1EEEvT1_
	.p2align	8
	.type	_ZN7rocprim17ROCPRIM_400000_NS6detail17trampoline_kernelINS0_14default_configENS1_25partition_config_selectorILNS1_17partition_subalgoE2ExNS0_10empty_typeEbEEZZNS1_14partition_implILS5_2ELb0ES3_jN6thrust23THRUST_200600_302600_NS6detail15normal_iteratorINSA_7pointerIxNSA_11hip_rocprim3tagENSA_11use_defaultESG_EEEEPS6_NSA_18transform_iteratorI7is_evenIxENSC_INSA_10device_ptrIxEEEESG_SG_EENS0_5tupleIJPxSJ_EEENSR_IJSJ_SJ_EEES6_PlJS6_EEE10hipError_tPvRmT3_T4_T5_T6_T7_T9_mT8_P12ihipStream_tbDpT10_ENKUlT_T0_E_clISt17integral_constantIbLb0EES1F_EEDaS1A_S1B_EUlS1A_E_NS1_11comp_targetILNS1_3genE10ELNS1_11target_archE1200ELNS1_3gpuE4ELNS1_3repE0EEENS1_30default_config_static_selectorELNS0_4arch9wavefront6targetE1EEEvT1_,@function
_ZN7rocprim17ROCPRIM_400000_NS6detail17trampoline_kernelINS0_14default_configENS1_25partition_config_selectorILNS1_17partition_subalgoE2ExNS0_10empty_typeEbEEZZNS1_14partition_implILS5_2ELb0ES3_jN6thrust23THRUST_200600_302600_NS6detail15normal_iteratorINSA_7pointerIxNSA_11hip_rocprim3tagENSA_11use_defaultESG_EEEEPS6_NSA_18transform_iteratorI7is_evenIxENSC_INSA_10device_ptrIxEEEESG_SG_EENS0_5tupleIJPxSJ_EEENSR_IJSJ_SJ_EEES6_PlJS6_EEE10hipError_tPvRmT3_T4_T5_T6_T7_T9_mT8_P12ihipStream_tbDpT10_ENKUlT_T0_E_clISt17integral_constantIbLb0EES1F_EEDaS1A_S1B_EUlS1A_E_NS1_11comp_targetILNS1_3genE10ELNS1_11target_archE1200ELNS1_3gpuE4ELNS1_3repE0EEENS1_30default_config_static_selectorELNS0_4arch9wavefront6targetE1EEEvT1_: ; @_ZN7rocprim17ROCPRIM_400000_NS6detail17trampoline_kernelINS0_14default_configENS1_25partition_config_selectorILNS1_17partition_subalgoE2ExNS0_10empty_typeEbEEZZNS1_14partition_implILS5_2ELb0ES3_jN6thrust23THRUST_200600_302600_NS6detail15normal_iteratorINSA_7pointerIxNSA_11hip_rocprim3tagENSA_11use_defaultESG_EEEEPS6_NSA_18transform_iteratorI7is_evenIxENSC_INSA_10device_ptrIxEEEESG_SG_EENS0_5tupleIJPxSJ_EEENSR_IJSJ_SJ_EEES6_PlJS6_EEE10hipError_tPvRmT3_T4_T5_T6_T7_T9_mT8_P12ihipStream_tbDpT10_ENKUlT_T0_E_clISt17integral_constantIbLb0EES1F_EEDaS1A_S1B_EUlS1A_E_NS1_11comp_targetILNS1_3genE10ELNS1_11target_archE1200ELNS1_3gpuE4ELNS1_3repE0EEENS1_30default_config_static_selectorELNS0_4arch9wavefront6targetE1EEEvT1_
; %bb.0:
	.section	.rodata,"a",@progbits
	.p2align	6, 0x0
	.amdhsa_kernel _ZN7rocprim17ROCPRIM_400000_NS6detail17trampoline_kernelINS0_14default_configENS1_25partition_config_selectorILNS1_17partition_subalgoE2ExNS0_10empty_typeEbEEZZNS1_14partition_implILS5_2ELb0ES3_jN6thrust23THRUST_200600_302600_NS6detail15normal_iteratorINSA_7pointerIxNSA_11hip_rocprim3tagENSA_11use_defaultESG_EEEEPS6_NSA_18transform_iteratorI7is_evenIxENSC_INSA_10device_ptrIxEEEESG_SG_EENS0_5tupleIJPxSJ_EEENSR_IJSJ_SJ_EEES6_PlJS6_EEE10hipError_tPvRmT3_T4_T5_T6_T7_T9_mT8_P12ihipStream_tbDpT10_ENKUlT_T0_E_clISt17integral_constantIbLb0EES1F_EEDaS1A_S1B_EUlS1A_E_NS1_11comp_targetILNS1_3genE10ELNS1_11target_archE1200ELNS1_3gpuE4ELNS1_3repE0EEENS1_30default_config_static_selectorELNS0_4arch9wavefront6targetE1EEEvT1_
		.amdhsa_group_segment_fixed_size 0
		.amdhsa_private_segment_fixed_size 0
		.amdhsa_kernarg_size 128
		.amdhsa_user_sgpr_count 2
		.amdhsa_user_sgpr_dispatch_ptr 0
		.amdhsa_user_sgpr_queue_ptr 0
		.amdhsa_user_sgpr_kernarg_segment_ptr 1
		.amdhsa_user_sgpr_dispatch_id 0
		.amdhsa_user_sgpr_kernarg_preload_length 0
		.amdhsa_user_sgpr_kernarg_preload_offset 0
		.amdhsa_user_sgpr_private_segment_size 0
		.amdhsa_uses_dynamic_stack 0
		.amdhsa_enable_private_segment 0
		.amdhsa_system_sgpr_workgroup_id_x 1
		.amdhsa_system_sgpr_workgroup_id_y 0
		.amdhsa_system_sgpr_workgroup_id_z 0
		.amdhsa_system_sgpr_workgroup_info 0
		.amdhsa_system_vgpr_workitem_id 0
		.amdhsa_next_free_vgpr 1
		.amdhsa_next_free_sgpr 0
		.amdhsa_accum_offset 4
		.amdhsa_reserve_vcc 0
		.amdhsa_float_round_mode_32 0
		.amdhsa_float_round_mode_16_64 0
		.amdhsa_float_denorm_mode_32 3
		.amdhsa_float_denorm_mode_16_64 3
		.amdhsa_dx10_clamp 1
		.amdhsa_ieee_mode 1
		.amdhsa_fp16_overflow 0
		.amdhsa_tg_split 0
		.amdhsa_exception_fp_ieee_invalid_op 0
		.amdhsa_exception_fp_denorm_src 0
		.amdhsa_exception_fp_ieee_div_zero 0
		.amdhsa_exception_fp_ieee_overflow 0
		.amdhsa_exception_fp_ieee_underflow 0
		.amdhsa_exception_fp_ieee_inexact 0
		.amdhsa_exception_int_div_zero 0
	.end_amdhsa_kernel
	.section	.text._ZN7rocprim17ROCPRIM_400000_NS6detail17trampoline_kernelINS0_14default_configENS1_25partition_config_selectorILNS1_17partition_subalgoE2ExNS0_10empty_typeEbEEZZNS1_14partition_implILS5_2ELb0ES3_jN6thrust23THRUST_200600_302600_NS6detail15normal_iteratorINSA_7pointerIxNSA_11hip_rocprim3tagENSA_11use_defaultESG_EEEEPS6_NSA_18transform_iteratorI7is_evenIxENSC_INSA_10device_ptrIxEEEESG_SG_EENS0_5tupleIJPxSJ_EEENSR_IJSJ_SJ_EEES6_PlJS6_EEE10hipError_tPvRmT3_T4_T5_T6_T7_T9_mT8_P12ihipStream_tbDpT10_ENKUlT_T0_E_clISt17integral_constantIbLb0EES1F_EEDaS1A_S1B_EUlS1A_E_NS1_11comp_targetILNS1_3genE10ELNS1_11target_archE1200ELNS1_3gpuE4ELNS1_3repE0EEENS1_30default_config_static_selectorELNS0_4arch9wavefront6targetE1EEEvT1_,"axG",@progbits,_ZN7rocprim17ROCPRIM_400000_NS6detail17trampoline_kernelINS0_14default_configENS1_25partition_config_selectorILNS1_17partition_subalgoE2ExNS0_10empty_typeEbEEZZNS1_14partition_implILS5_2ELb0ES3_jN6thrust23THRUST_200600_302600_NS6detail15normal_iteratorINSA_7pointerIxNSA_11hip_rocprim3tagENSA_11use_defaultESG_EEEEPS6_NSA_18transform_iteratorI7is_evenIxENSC_INSA_10device_ptrIxEEEESG_SG_EENS0_5tupleIJPxSJ_EEENSR_IJSJ_SJ_EEES6_PlJS6_EEE10hipError_tPvRmT3_T4_T5_T6_T7_T9_mT8_P12ihipStream_tbDpT10_ENKUlT_T0_E_clISt17integral_constantIbLb0EES1F_EEDaS1A_S1B_EUlS1A_E_NS1_11comp_targetILNS1_3genE10ELNS1_11target_archE1200ELNS1_3gpuE4ELNS1_3repE0EEENS1_30default_config_static_selectorELNS0_4arch9wavefront6targetE1EEEvT1_,comdat
.Lfunc_end195:
	.size	_ZN7rocprim17ROCPRIM_400000_NS6detail17trampoline_kernelINS0_14default_configENS1_25partition_config_selectorILNS1_17partition_subalgoE2ExNS0_10empty_typeEbEEZZNS1_14partition_implILS5_2ELb0ES3_jN6thrust23THRUST_200600_302600_NS6detail15normal_iteratorINSA_7pointerIxNSA_11hip_rocprim3tagENSA_11use_defaultESG_EEEEPS6_NSA_18transform_iteratorI7is_evenIxENSC_INSA_10device_ptrIxEEEESG_SG_EENS0_5tupleIJPxSJ_EEENSR_IJSJ_SJ_EEES6_PlJS6_EEE10hipError_tPvRmT3_T4_T5_T6_T7_T9_mT8_P12ihipStream_tbDpT10_ENKUlT_T0_E_clISt17integral_constantIbLb0EES1F_EEDaS1A_S1B_EUlS1A_E_NS1_11comp_targetILNS1_3genE10ELNS1_11target_archE1200ELNS1_3gpuE4ELNS1_3repE0EEENS1_30default_config_static_selectorELNS0_4arch9wavefront6targetE1EEEvT1_, .Lfunc_end195-_ZN7rocprim17ROCPRIM_400000_NS6detail17trampoline_kernelINS0_14default_configENS1_25partition_config_selectorILNS1_17partition_subalgoE2ExNS0_10empty_typeEbEEZZNS1_14partition_implILS5_2ELb0ES3_jN6thrust23THRUST_200600_302600_NS6detail15normal_iteratorINSA_7pointerIxNSA_11hip_rocprim3tagENSA_11use_defaultESG_EEEEPS6_NSA_18transform_iteratorI7is_evenIxENSC_INSA_10device_ptrIxEEEESG_SG_EENS0_5tupleIJPxSJ_EEENSR_IJSJ_SJ_EEES6_PlJS6_EEE10hipError_tPvRmT3_T4_T5_T6_T7_T9_mT8_P12ihipStream_tbDpT10_ENKUlT_T0_E_clISt17integral_constantIbLb0EES1F_EEDaS1A_S1B_EUlS1A_E_NS1_11comp_targetILNS1_3genE10ELNS1_11target_archE1200ELNS1_3gpuE4ELNS1_3repE0EEENS1_30default_config_static_selectorELNS0_4arch9wavefront6targetE1EEEvT1_
                                        ; -- End function
	.section	.AMDGPU.csdata,"",@progbits
; Kernel info:
; codeLenInByte = 0
; NumSgprs: 6
; NumVgprs: 0
; NumAgprs: 0
; TotalNumVgprs: 0
; ScratchSize: 0
; MemoryBound: 0
; FloatMode: 240
; IeeeMode: 1
; LDSByteSize: 0 bytes/workgroup (compile time only)
; SGPRBlocks: 0
; VGPRBlocks: 0
; NumSGPRsForWavesPerEU: 6
; NumVGPRsForWavesPerEU: 1
; AccumOffset: 4
; Occupancy: 8
; WaveLimiterHint : 0
; COMPUTE_PGM_RSRC2:SCRATCH_EN: 0
; COMPUTE_PGM_RSRC2:USER_SGPR: 2
; COMPUTE_PGM_RSRC2:TRAP_HANDLER: 0
; COMPUTE_PGM_RSRC2:TGID_X_EN: 1
; COMPUTE_PGM_RSRC2:TGID_Y_EN: 0
; COMPUTE_PGM_RSRC2:TGID_Z_EN: 0
; COMPUTE_PGM_RSRC2:TIDIG_COMP_CNT: 0
; COMPUTE_PGM_RSRC3_GFX90A:ACCUM_OFFSET: 0
; COMPUTE_PGM_RSRC3_GFX90A:TG_SPLIT: 0
	.section	.text._ZN7rocprim17ROCPRIM_400000_NS6detail17trampoline_kernelINS0_14default_configENS1_25partition_config_selectorILNS1_17partition_subalgoE2ExNS0_10empty_typeEbEEZZNS1_14partition_implILS5_2ELb0ES3_jN6thrust23THRUST_200600_302600_NS6detail15normal_iteratorINSA_7pointerIxNSA_11hip_rocprim3tagENSA_11use_defaultESG_EEEEPS6_NSA_18transform_iteratorI7is_evenIxENSC_INSA_10device_ptrIxEEEESG_SG_EENS0_5tupleIJPxSJ_EEENSR_IJSJ_SJ_EEES6_PlJS6_EEE10hipError_tPvRmT3_T4_T5_T6_T7_T9_mT8_P12ihipStream_tbDpT10_ENKUlT_T0_E_clISt17integral_constantIbLb0EES1F_EEDaS1A_S1B_EUlS1A_E_NS1_11comp_targetILNS1_3genE9ELNS1_11target_archE1100ELNS1_3gpuE3ELNS1_3repE0EEENS1_30default_config_static_selectorELNS0_4arch9wavefront6targetE1EEEvT1_,"axG",@progbits,_ZN7rocprim17ROCPRIM_400000_NS6detail17trampoline_kernelINS0_14default_configENS1_25partition_config_selectorILNS1_17partition_subalgoE2ExNS0_10empty_typeEbEEZZNS1_14partition_implILS5_2ELb0ES3_jN6thrust23THRUST_200600_302600_NS6detail15normal_iteratorINSA_7pointerIxNSA_11hip_rocprim3tagENSA_11use_defaultESG_EEEEPS6_NSA_18transform_iteratorI7is_evenIxENSC_INSA_10device_ptrIxEEEESG_SG_EENS0_5tupleIJPxSJ_EEENSR_IJSJ_SJ_EEES6_PlJS6_EEE10hipError_tPvRmT3_T4_T5_T6_T7_T9_mT8_P12ihipStream_tbDpT10_ENKUlT_T0_E_clISt17integral_constantIbLb0EES1F_EEDaS1A_S1B_EUlS1A_E_NS1_11comp_targetILNS1_3genE9ELNS1_11target_archE1100ELNS1_3gpuE3ELNS1_3repE0EEENS1_30default_config_static_selectorELNS0_4arch9wavefront6targetE1EEEvT1_,comdat
	.protected	_ZN7rocprim17ROCPRIM_400000_NS6detail17trampoline_kernelINS0_14default_configENS1_25partition_config_selectorILNS1_17partition_subalgoE2ExNS0_10empty_typeEbEEZZNS1_14partition_implILS5_2ELb0ES3_jN6thrust23THRUST_200600_302600_NS6detail15normal_iteratorINSA_7pointerIxNSA_11hip_rocprim3tagENSA_11use_defaultESG_EEEEPS6_NSA_18transform_iteratorI7is_evenIxENSC_INSA_10device_ptrIxEEEESG_SG_EENS0_5tupleIJPxSJ_EEENSR_IJSJ_SJ_EEES6_PlJS6_EEE10hipError_tPvRmT3_T4_T5_T6_T7_T9_mT8_P12ihipStream_tbDpT10_ENKUlT_T0_E_clISt17integral_constantIbLb0EES1F_EEDaS1A_S1B_EUlS1A_E_NS1_11comp_targetILNS1_3genE9ELNS1_11target_archE1100ELNS1_3gpuE3ELNS1_3repE0EEENS1_30default_config_static_selectorELNS0_4arch9wavefront6targetE1EEEvT1_ ; -- Begin function _ZN7rocprim17ROCPRIM_400000_NS6detail17trampoline_kernelINS0_14default_configENS1_25partition_config_selectorILNS1_17partition_subalgoE2ExNS0_10empty_typeEbEEZZNS1_14partition_implILS5_2ELb0ES3_jN6thrust23THRUST_200600_302600_NS6detail15normal_iteratorINSA_7pointerIxNSA_11hip_rocprim3tagENSA_11use_defaultESG_EEEEPS6_NSA_18transform_iteratorI7is_evenIxENSC_INSA_10device_ptrIxEEEESG_SG_EENS0_5tupleIJPxSJ_EEENSR_IJSJ_SJ_EEES6_PlJS6_EEE10hipError_tPvRmT3_T4_T5_T6_T7_T9_mT8_P12ihipStream_tbDpT10_ENKUlT_T0_E_clISt17integral_constantIbLb0EES1F_EEDaS1A_S1B_EUlS1A_E_NS1_11comp_targetILNS1_3genE9ELNS1_11target_archE1100ELNS1_3gpuE3ELNS1_3repE0EEENS1_30default_config_static_selectorELNS0_4arch9wavefront6targetE1EEEvT1_
	.globl	_ZN7rocprim17ROCPRIM_400000_NS6detail17trampoline_kernelINS0_14default_configENS1_25partition_config_selectorILNS1_17partition_subalgoE2ExNS0_10empty_typeEbEEZZNS1_14partition_implILS5_2ELb0ES3_jN6thrust23THRUST_200600_302600_NS6detail15normal_iteratorINSA_7pointerIxNSA_11hip_rocprim3tagENSA_11use_defaultESG_EEEEPS6_NSA_18transform_iteratorI7is_evenIxENSC_INSA_10device_ptrIxEEEESG_SG_EENS0_5tupleIJPxSJ_EEENSR_IJSJ_SJ_EEES6_PlJS6_EEE10hipError_tPvRmT3_T4_T5_T6_T7_T9_mT8_P12ihipStream_tbDpT10_ENKUlT_T0_E_clISt17integral_constantIbLb0EES1F_EEDaS1A_S1B_EUlS1A_E_NS1_11comp_targetILNS1_3genE9ELNS1_11target_archE1100ELNS1_3gpuE3ELNS1_3repE0EEENS1_30default_config_static_selectorELNS0_4arch9wavefront6targetE1EEEvT1_
	.p2align	8
	.type	_ZN7rocprim17ROCPRIM_400000_NS6detail17trampoline_kernelINS0_14default_configENS1_25partition_config_selectorILNS1_17partition_subalgoE2ExNS0_10empty_typeEbEEZZNS1_14partition_implILS5_2ELb0ES3_jN6thrust23THRUST_200600_302600_NS6detail15normal_iteratorINSA_7pointerIxNSA_11hip_rocprim3tagENSA_11use_defaultESG_EEEEPS6_NSA_18transform_iteratorI7is_evenIxENSC_INSA_10device_ptrIxEEEESG_SG_EENS0_5tupleIJPxSJ_EEENSR_IJSJ_SJ_EEES6_PlJS6_EEE10hipError_tPvRmT3_T4_T5_T6_T7_T9_mT8_P12ihipStream_tbDpT10_ENKUlT_T0_E_clISt17integral_constantIbLb0EES1F_EEDaS1A_S1B_EUlS1A_E_NS1_11comp_targetILNS1_3genE9ELNS1_11target_archE1100ELNS1_3gpuE3ELNS1_3repE0EEENS1_30default_config_static_selectorELNS0_4arch9wavefront6targetE1EEEvT1_,@function
_ZN7rocprim17ROCPRIM_400000_NS6detail17trampoline_kernelINS0_14default_configENS1_25partition_config_selectorILNS1_17partition_subalgoE2ExNS0_10empty_typeEbEEZZNS1_14partition_implILS5_2ELb0ES3_jN6thrust23THRUST_200600_302600_NS6detail15normal_iteratorINSA_7pointerIxNSA_11hip_rocprim3tagENSA_11use_defaultESG_EEEEPS6_NSA_18transform_iteratorI7is_evenIxENSC_INSA_10device_ptrIxEEEESG_SG_EENS0_5tupleIJPxSJ_EEENSR_IJSJ_SJ_EEES6_PlJS6_EEE10hipError_tPvRmT3_T4_T5_T6_T7_T9_mT8_P12ihipStream_tbDpT10_ENKUlT_T0_E_clISt17integral_constantIbLb0EES1F_EEDaS1A_S1B_EUlS1A_E_NS1_11comp_targetILNS1_3genE9ELNS1_11target_archE1100ELNS1_3gpuE3ELNS1_3repE0EEENS1_30default_config_static_selectorELNS0_4arch9wavefront6targetE1EEEvT1_: ; @_ZN7rocprim17ROCPRIM_400000_NS6detail17trampoline_kernelINS0_14default_configENS1_25partition_config_selectorILNS1_17partition_subalgoE2ExNS0_10empty_typeEbEEZZNS1_14partition_implILS5_2ELb0ES3_jN6thrust23THRUST_200600_302600_NS6detail15normal_iteratorINSA_7pointerIxNSA_11hip_rocprim3tagENSA_11use_defaultESG_EEEEPS6_NSA_18transform_iteratorI7is_evenIxENSC_INSA_10device_ptrIxEEEESG_SG_EENS0_5tupleIJPxSJ_EEENSR_IJSJ_SJ_EEES6_PlJS6_EEE10hipError_tPvRmT3_T4_T5_T6_T7_T9_mT8_P12ihipStream_tbDpT10_ENKUlT_T0_E_clISt17integral_constantIbLb0EES1F_EEDaS1A_S1B_EUlS1A_E_NS1_11comp_targetILNS1_3genE9ELNS1_11target_archE1100ELNS1_3gpuE3ELNS1_3repE0EEENS1_30default_config_static_selectorELNS0_4arch9wavefront6targetE1EEEvT1_
; %bb.0:
	.section	.rodata,"a",@progbits
	.p2align	6, 0x0
	.amdhsa_kernel _ZN7rocprim17ROCPRIM_400000_NS6detail17trampoline_kernelINS0_14default_configENS1_25partition_config_selectorILNS1_17partition_subalgoE2ExNS0_10empty_typeEbEEZZNS1_14partition_implILS5_2ELb0ES3_jN6thrust23THRUST_200600_302600_NS6detail15normal_iteratorINSA_7pointerIxNSA_11hip_rocprim3tagENSA_11use_defaultESG_EEEEPS6_NSA_18transform_iteratorI7is_evenIxENSC_INSA_10device_ptrIxEEEESG_SG_EENS0_5tupleIJPxSJ_EEENSR_IJSJ_SJ_EEES6_PlJS6_EEE10hipError_tPvRmT3_T4_T5_T6_T7_T9_mT8_P12ihipStream_tbDpT10_ENKUlT_T0_E_clISt17integral_constantIbLb0EES1F_EEDaS1A_S1B_EUlS1A_E_NS1_11comp_targetILNS1_3genE9ELNS1_11target_archE1100ELNS1_3gpuE3ELNS1_3repE0EEENS1_30default_config_static_selectorELNS0_4arch9wavefront6targetE1EEEvT1_
		.amdhsa_group_segment_fixed_size 0
		.amdhsa_private_segment_fixed_size 0
		.amdhsa_kernarg_size 128
		.amdhsa_user_sgpr_count 2
		.amdhsa_user_sgpr_dispatch_ptr 0
		.amdhsa_user_sgpr_queue_ptr 0
		.amdhsa_user_sgpr_kernarg_segment_ptr 1
		.amdhsa_user_sgpr_dispatch_id 0
		.amdhsa_user_sgpr_kernarg_preload_length 0
		.amdhsa_user_sgpr_kernarg_preload_offset 0
		.amdhsa_user_sgpr_private_segment_size 0
		.amdhsa_uses_dynamic_stack 0
		.amdhsa_enable_private_segment 0
		.amdhsa_system_sgpr_workgroup_id_x 1
		.amdhsa_system_sgpr_workgroup_id_y 0
		.amdhsa_system_sgpr_workgroup_id_z 0
		.amdhsa_system_sgpr_workgroup_info 0
		.amdhsa_system_vgpr_workitem_id 0
		.amdhsa_next_free_vgpr 1
		.amdhsa_next_free_sgpr 0
		.amdhsa_accum_offset 4
		.amdhsa_reserve_vcc 0
		.amdhsa_float_round_mode_32 0
		.amdhsa_float_round_mode_16_64 0
		.amdhsa_float_denorm_mode_32 3
		.amdhsa_float_denorm_mode_16_64 3
		.amdhsa_dx10_clamp 1
		.amdhsa_ieee_mode 1
		.amdhsa_fp16_overflow 0
		.amdhsa_tg_split 0
		.amdhsa_exception_fp_ieee_invalid_op 0
		.amdhsa_exception_fp_denorm_src 0
		.amdhsa_exception_fp_ieee_div_zero 0
		.amdhsa_exception_fp_ieee_overflow 0
		.amdhsa_exception_fp_ieee_underflow 0
		.amdhsa_exception_fp_ieee_inexact 0
		.amdhsa_exception_int_div_zero 0
	.end_amdhsa_kernel
	.section	.text._ZN7rocprim17ROCPRIM_400000_NS6detail17trampoline_kernelINS0_14default_configENS1_25partition_config_selectorILNS1_17partition_subalgoE2ExNS0_10empty_typeEbEEZZNS1_14partition_implILS5_2ELb0ES3_jN6thrust23THRUST_200600_302600_NS6detail15normal_iteratorINSA_7pointerIxNSA_11hip_rocprim3tagENSA_11use_defaultESG_EEEEPS6_NSA_18transform_iteratorI7is_evenIxENSC_INSA_10device_ptrIxEEEESG_SG_EENS0_5tupleIJPxSJ_EEENSR_IJSJ_SJ_EEES6_PlJS6_EEE10hipError_tPvRmT3_T4_T5_T6_T7_T9_mT8_P12ihipStream_tbDpT10_ENKUlT_T0_E_clISt17integral_constantIbLb0EES1F_EEDaS1A_S1B_EUlS1A_E_NS1_11comp_targetILNS1_3genE9ELNS1_11target_archE1100ELNS1_3gpuE3ELNS1_3repE0EEENS1_30default_config_static_selectorELNS0_4arch9wavefront6targetE1EEEvT1_,"axG",@progbits,_ZN7rocprim17ROCPRIM_400000_NS6detail17trampoline_kernelINS0_14default_configENS1_25partition_config_selectorILNS1_17partition_subalgoE2ExNS0_10empty_typeEbEEZZNS1_14partition_implILS5_2ELb0ES3_jN6thrust23THRUST_200600_302600_NS6detail15normal_iteratorINSA_7pointerIxNSA_11hip_rocprim3tagENSA_11use_defaultESG_EEEEPS6_NSA_18transform_iteratorI7is_evenIxENSC_INSA_10device_ptrIxEEEESG_SG_EENS0_5tupleIJPxSJ_EEENSR_IJSJ_SJ_EEES6_PlJS6_EEE10hipError_tPvRmT3_T4_T5_T6_T7_T9_mT8_P12ihipStream_tbDpT10_ENKUlT_T0_E_clISt17integral_constantIbLb0EES1F_EEDaS1A_S1B_EUlS1A_E_NS1_11comp_targetILNS1_3genE9ELNS1_11target_archE1100ELNS1_3gpuE3ELNS1_3repE0EEENS1_30default_config_static_selectorELNS0_4arch9wavefront6targetE1EEEvT1_,comdat
.Lfunc_end196:
	.size	_ZN7rocprim17ROCPRIM_400000_NS6detail17trampoline_kernelINS0_14default_configENS1_25partition_config_selectorILNS1_17partition_subalgoE2ExNS0_10empty_typeEbEEZZNS1_14partition_implILS5_2ELb0ES3_jN6thrust23THRUST_200600_302600_NS6detail15normal_iteratorINSA_7pointerIxNSA_11hip_rocprim3tagENSA_11use_defaultESG_EEEEPS6_NSA_18transform_iteratorI7is_evenIxENSC_INSA_10device_ptrIxEEEESG_SG_EENS0_5tupleIJPxSJ_EEENSR_IJSJ_SJ_EEES6_PlJS6_EEE10hipError_tPvRmT3_T4_T5_T6_T7_T9_mT8_P12ihipStream_tbDpT10_ENKUlT_T0_E_clISt17integral_constantIbLb0EES1F_EEDaS1A_S1B_EUlS1A_E_NS1_11comp_targetILNS1_3genE9ELNS1_11target_archE1100ELNS1_3gpuE3ELNS1_3repE0EEENS1_30default_config_static_selectorELNS0_4arch9wavefront6targetE1EEEvT1_, .Lfunc_end196-_ZN7rocprim17ROCPRIM_400000_NS6detail17trampoline_kernelINS0_14default_configENS1_25partition_config_selectorILNS1_17partition_subalgoE2ExNS0_10empty_typeEbEEZZNS1_14partition_implILS5_2ELb0ES3_jN6thrust23THRUST_200600_302600_NS6detail15normal_iteratorINSA_7pointerIxNSA_11hip_rocprim3tagENSA_11use_defaultESG_EEEEPS6_NSA_18transform_iteratorI7is_evenIxENSC_INSA_10device_ptrIxEEEESG_SG_EENS0_5tupleIJPxSJ_EEENSR_IJSJ_SJ_EEES6_PlJS6_EEE10hipError_tPvRmT3_T4_T5_T6_T7_T9_mT8_P12ihipStream_tbDpT10_ENKUlT_T0_E_clISt17integral_constantIbLb0EES1F_EEDaS1A_S1B_EUlS1A_E_NS1_11comp_targetILNS1_3genE9ELNS1_11target_archE1100ELNS1_3gpuE3ELNS1_3repE0EEENS1_30default_config_static_selectorELNS0_4arch9wavefront6targetE1EEEvT1_
                                        ; -- End function
	.section	.AMDGPU.csdata,"",@progbits
; Kernel info:
; codeLenInByte = 0
; NumSgprs: 6
; NumVgprs: 0
; NumAgprs: 0
; TotalNumVgprs: 0
; ScratchSize: 0
; MemoryBound: 0
; FloatMode: 240
; IeeeMode: 1
; LDSByteSize: 0 bytes/workgroup (compile time only)
; SGPRBlocks: 0
; VGPRBlocks: 0
; NumSGPRsForWavesPerEU: 6
; NumVGPRsForWavesPerEU: 1
; AccumOffset: 4
; Occupancy: 8
; WaveLimiterHint : 0
; COMPUTE_PGM_RSRC2:SCRATCH_EN: 0
; COMPUTE_PGM_RSRC2:USER_SGPR: 2
; COMPUTE_PGM_RSRC2:TRAP_HANDLER: 0
; COMPUTE_PGM_RSRC2:TGID_X_EN: 1
; COMPUTE_PGM_RSRC2:TGID_Y_EN: 0
; COMPUTE_PGM_RSRC2:TGID_Z_EN: 0
; COMPUTE_PGM_RSRC2:TIDIG_COMP_CNT: 0
; COMPUTE_PGM_RSRC3_GFX90A:ACCUM_OFFSET: 0
; COMPUTE_PGM_RSRC3_GFX90A:TG_SPLIT: 0
	.section	.text._ZN7rocprim17ROCPRIM_400000_NS6detail17trampoline_kernelINS0_14default_configENS1_25partition_config_selectorILNS1_17partition_subalgoE2ExNS0_10empty_typeEbEEZZNS1_14partition_implILS5_2ELb0ES3_jN6thrust23THRUST_200600_302600_NS6detail15normal_iteratorINSA_7pointerIxNSA_11hip_rocprim3tagENSA_11use_defaultESG_EEEEPS6_NSA_18transform_iteratorI7is_evenIxENSC_INSA_10device_ptrIxEEEESG_SG_EENS0_5tupleIJPxSJ_EEENSR_IJSJ_SJ_EEES6_PlJS6_EEE10hipError_tPvRmT3_T4_T5_T6_T7_T9_mT8_P12ihipStream_tbDpT10_ENKUlT_T0_E_clISt17integral_constantIbLb0EES1F_EEDaS1A_S1B_EUlS1A_E_NS1_11comp_targetILNS1_3genE8ELNS1_11target_archE1030ELNS1_3gpuE2ELNS1_3repE0EEENS1_30default_config_static_selectorELNS0_4arch9wavefront6targetE1EEEvT1_,"axG",@progbits,_ZN7rocprim17ROCPRIM_400000_NS6detail17trampoline_kernelINS0_14default_configENS1_25partition_config_selectorILNS1_17partition_subalgoE2ExNS0_10empty_typeEbEEZZNS1_14partition_implILS5_2ELb0ES3_jN6thrust23THRUST_200600_302600_NS6detail15normal_iteratorINSA_7pointerIxNSA_11hip_rocprim3tagENSA_11use_defaultESG_EEEEPS6_NSA_18transform_iteratorI7is_evenIxENSC_INSA_10device_ptrIxEEEESG_SG_EENS0_5tupleIJPxSJ_EEENSR_IJSJ_SJ_EEES6_PlJS6_EEE10hipError_tPvRmT3_T4_T5_T6_T7_T9_mT8_P12ihipStream_tbDpT10_ENKUlT_T0_E_clISt17integral_constantIbLb0EES1F_EEDaS1A_S1B_EUlS1A_E_NS1_11comp_targetILNS1_3genE8ELNS1_11target_archE1030ELNS1_3gpuE2ELNS1_3repE0EEENS1_30default_config_static_selectorELNS0_4arch9wavefront6targetE1EEEvT1_,comdat
	.protected	_ZN7rocprim17ROCPRIM_400000_NS6detail17trampoline_kernelINS0_14default_configENS1_25partition_config_selectorILNS1_17partition_subalgoE2ExNS0_10empty_typeEbEEZZNS1_14partition_implILS5_2ELb0ES3_jN6thrust23THRUST_200600_302600_NS6detail15normal_iteratorINSA_7pointerIxNSA_11hip_rocprim3tagENSA_11use_defaultESG_EEEEPS6_NSA_18transform_iteratorI7is_evenIxENSC_INSA_10device_ptrIxEEEESG_SG_EENS0_5tupleIJPxSJ_EEENSR_IJSJ_SJ_EEES6_PlJS6_EEE10hipError_tPvRmT3_T4_T5_T6_T7_T9_mT8_P12ihipStream_tbDpT10_ENKUlT_T0_E_clISt17integral_constantIbLb0EES1F_EEDaS1A_S1B_EUlS1A_E_NS1_11comp_targetILNS1_3genE8ELNS1_11target_archE1030ELNS1_3gpuE2ELNS1_3repE0EEENS1_30default_config_static_selectorELNS0_4arch9wavefront6targetE1EEEvT1_ ; -- Begin function _ZN7rocprim17ROCPRIM_400000_NS6detail17trampoline_kernelINS0_14default_configENS1_25partition_config_selectorILNS1_17partition_subalgoE2ExNS0_10empty_typeEbEEZZNS1_14partition_implILS5_2ELb0ES3_jN6thrust23THRUST_200600_302600_NS6detail15normal_iteratorINSA_7pointerIxNSA_11hip_rocprim3tagENSA_11use_defaultESG_EEEEPS6_NSA_18transform_iteratorI7is_evenIxENSC_INSA_10device_ptrIxEEEESG_SG_EENS0_5tupleIJPxSJ_EEENSR_IJSJ_SJ_EEES6_PlJS6_EEE10hipError_tPvRmT3_T4_T5_T6_T7_T9_mT8_P12ihipStream_tbDpT10_ENKUlT_T0_E_clISt17integral_constantIbLb0EES1F_EEDaS1A_S1B_EUlS1A_E_NS1_11comp_targetILNS1_3genE8ELNS1_11target_archE1030ELNS1_3gpuE2ELNS1_3repE0EEENS1_30default_config_static_selectorELNS0_4arch9wavefront6targetE1EEEvT1_
	.globl	_ZN7rocprim17ROCPRIM_400000_NS6detail17trampoline_kernelINS0_14default_configENS1_25partition_config_selectorILNS1_17partition_subalgoE2ExNS0_10empty_typeEbEEZZNS1_14partition_implILS5_2ELb0ES3_jN6thrust23THRUST_200600_302600_NS6detail15normal_iteratorINSA_7pointerIxNSA_11hip_rocprim3tagENSA_11use_defaultESG_EEEEPS6_NSA_18transform_iteratorI7is_evenIxENSC_INSA_10device_ptrIxEEEESG_SG_EENS0_5tupleIJPxSJ_EEENSR_IJSJ_SJ_EEES6_PlJS6_EEE10hipError_tPvRmT3_T4_T5_T6_T7_T9_mT8_P12ihipStream_tbDpT10_ENKUlT_T0_E_clISt17integral_constantIbLb0EES1F_EEDaS1A_S1B_EUlS1A_E_NS1_11comp_targetILNS1_3genE8ELNS1_11target_archE1030ELNS1_3gpuE2ELNS1_3repE0EEENS1_30default_config_static_selectorELNS0_4arch9wavefront6targetE1EEEvT1_
	.p2align	8
	.type	_ZN7rocprim17ROCPRIM_400000_NS6detail17trampoline_kernelINS0_14default_configENS1_25partition_config_selectorILNS1_17partition_subalgoE2ExNS0_10empty_typeEbEEZZNS1_14partition_implILS5_2ELb0ES3_jN6thrust23THRUST_200600_302600_NS6detail15normal_iteratorINSA_7pointerIxNSA_11hip_rocprim3tagENSA_11use_defaultESG_EEEEPS6_NSA_18transform_iteratorI7is_evenIxENSC_INSA_10device_ptrIxEEEESG_SG_EENS0_5tupleIJPxSJ_EEENSR_IJSJ_SJ_EEES6_PlJS6_EEE10hipError_tPvRmT3_T4_T5_T6_T7_T9_mT8_P12ihipStream_tbDpT10_ENKUlT_T0_E_clISt17integral_constantIbLb0EES1F_EEDaS1A_S1B_EUlS1A_E_NS1_11comp_targetILNS1_3genE8ELNS1_11target_archE1030ELNS1_3gpuE2ELNS1_3repE0EEENS1_30default_config_static_selectorELNS0_4arch9wavefront6targetE1EEEvT1_,@function
_ZN7rocprim17ROCPRIM_400000_NS6detail17trampoline_kernelINS0_14default_configENS1_25partition_config_selectorILNS1_17partition_subalgoE2ExNS0_10empty_typeEbEEZZNS1_14partition_implILS5_2ELb0ES3_jN6thrust23THRUST_200600_302600_NS6detail15normal_iteratorINSA_7pointerIxNSA_11hip_rocprim3tagENSA_11use_defaultESG_EEEEPS6_NSA_18transform_iteratorI7is_evenIxENSC_INSA_10device_ptrIxEEEESG_SG_EENS0_5tupleIJPxSJ_EEENSR_IJSJ_SJ_EEES6_PlJS6_EEE10hipError_tPvRmT3_T4_T5_T6_T7_T9_mT8_P12ihipStream_tbDpT10_ENKUlT_T0_E_clISt17integral_constantIbLb0EES1F_EEDaS1A_S1B_EUlS1A_E_NS1_11comp_targetILNS1_3genE8ELNS1_11target_archE1030ELNS1_3gpuE2ELNS1_3repE0EEENS1_30default_config_static_selectorELNS0_4arch9wavefront6targetE1EEEvT1_: ; @_ZN7rocprim17ROCPRIM_400000_NS6detail17trampoline_kernelINS0_14default_configENS1_25partition_config_selectorILNS1_17partition_subalgoE2ExNS0_10empty_typeEbEEZZNS1_14partition_implILS5_2ELb0ES3_jN6thrust23THRUST_200600_302600_NS6detail15normal_iteratorINSA_7pointerIxNSA_11hip_rocprim3tagENSA_11use_defaultESG_EEEEPS6_NSA_18transform_iteratorI7is_evenIxENSC_INSA_10device_ptrIxEEEESG_SG_EENS0_5tupleIJPxSJ_EEENSR_IJSJ_SJ_EEES6_PlJS6_EEE10hipError_tPvRmT3_T4_T5_T6_T7_T9_mT8_P12ihipStream_tbDpT10_ENKUlT_T0_E_clISt17integral_constantIbLb0EES1F_EEDaS1A_S1B_EUlS1A_E_NS1_11comp_targetILNS1_3genE8ELNS1_11target_archE1030ELNS1_3gpuE2ELNS1_3repE0EEENS1_30default_config_static_selectorELNS0_4arch9wavefront6targetE1EEEvT1_
; %bb.0:
	.section	.rodata,"a",@progbits
	.p2align	6, 0x0
	.amdhsa_kernel _ZN7rocprim17ROCPRIM_400000_NS6detail17trampoline_kernelINS0_14default_configENS1_25partition_config_selectorILNS1_17partition_subalgoE2ExNS0_10empty_typeEbEEZZNS1_14partition_implILS5_2ELb0ES3_jN6thrust23THRUST_200600_302600_NS6detail15normal_iteratorINSA_7pointerIxNSA_11hip_rocprim3tagENSA_11use_defaultESG_EEEEPS6_NSA_18transform_iteratorI7is_evenIxENSC_INSA_10device_ptrIxEEEESG_SG_EENS0_5tupleIJPxSJ_EEENSR_IJSJ_SJ_EEES6_PlJS6_EEE10hipError_tPvRmT3_T4_T5_T6_T7_T9_mT8_P12ihipStream_tbDpT10_ENKUlT_T0_E_clISt17integral_constantIbLb0EES1F_EEDaS1A_S1B_EUlS1A_E_NS1_11comp_targetILNS1_3genE8ELNS1_11target_archE1030ELNS1_3gpuE2ELNS1_3repE0EEENS1_30default_config_static_selectorELNS0_4arch9wavefront6targetE1EEEvT1_
		.amdhsa_group_segment_fixed_size 0
		.amdhsa_private_segment_fixed_size 0
		.amdhsa_kernarg_size 128
		.amdhsa_user_sgpr_count 2
		.amdhsa_user_sgpr_dispatch_ptr 0
		.amdhsa_user_sgpr_queue_ptr 0
		.amdhsa_user_sgpr_kernarg_segment_ptr 1
		.amdhsa_user_sgpr_dispatch_id 0
		.amdhsa_user_sgpr_kernarg_preload_length 0
		.amdhsa_user_sgpr_kernarg_preload_offset 0
		.amdhsa_user_sgpr_private_segment_size 0
		.amdhsa_uses_dynamic_stack 0
		.amdhsa_enable_private_segment 0
		.amdhsa_system_sgpr_workgroup_id_x 1
		.amdhsa_system_sgpr_workgroup_id_y 0
		.amdhsa_system_sgpr_workgroup_id_z 0
		.amdhsa_system_sgpr_workgroup_info 0
		.amdhsa_system_vgpr_workitem_id 0
		.amdhsa_next_free_vgpr 1
		.amdhsa_next_free_sgpr 0
		.amdhsa_accum_offset 4
		.amdhsa_reserve_vcc 0
		.amdhsa_float_round_mode_32 0
		.amdhsa_float_round_mode_16_64 0
		.amdhsa_float_denorm_mode_32 3
		.amdhsa_float_denorm_mode_16_64 3
		.amdhsa_dx10_clamp 1
		.amdhsa_ieee_mode 1
		.amdhsa_fp16_overflow 0
		.amdhsa_tg_split 0
		.amdhsa_exception_fp_ieee_invalid_op 0
		.amdhsa_exception_fp_denorm_src 0
		.amdhsa_exception_fp_ieee_div_zero 0
		.amdhsa_exception_fp_ieee_overflow 0
		.amdhsa_exception_fp_ieee_underflow 0
		.amdhsa_exception_fp_ieee_inexact 0
		.amdhsa_exception_int_div_zero 0
	.end_amdhsa_kernel
	.section	.text._ZN7rocprim17ROCPRIM_400000_NS6detail17trampoline_kernelINS0_14default_configENS1_25partition_config_selectorILNS1_17partition_subalgoE2ExNS0_10empty_typeEbEEZZNS1_14partition_implILS5_2ELb0ES3_jN6thrust23THRUST_200600_302600_NS6detail15normal_iteratorINSA_7pointerIxNSA_11hip_rocprim3tagENSA_11use_defaultESG_EEEEPS6_NSA_18transform_iteratorI7is_evenIxENSC_INSA_10device_ptrIxEEEESG_SG_EENS0_5tupleIJPxSJ_EEENSR_IJSJ_SJ_EEES6_PlJS6_EEE10hipError_tPvRmT3_T4_T5_T6_T7_T9_mT8_P12ihipStream_tbDpT10_ENKUlT_T0_E_clISt17integral_constantIbLb0EES1F_EEDaS1A_S1B_EUlS1A_E_NS1_11comp_targetILNS1_3genE8ELNS1_11target_archE1030ELNS1_3gpuE2ELNS1_3repE0EEENS1_30default_config_static_selectorELNS0_4arch9wavefront6targetE1EEEvT1_,"axG",@progbits,_ZN7rocprim17ROCPRIM_400000_NS6detail17trampoline_kernelINS0_14default_configENS1_25partition_config_selectorILNS1_17partition_subalgoE2ExNS0_10empty_typeEbEEZZNS1_14partition_implILS5_2ELb0ES3_jN6thrust23THRUST_200600_302600_NS6detail15normal_iteratorINSA_7pointerIxNSA_11hip_rocprim3tagENSA_11use_defaultESG_EEEEPS6_NSA_18transform_iteratorI7is_evenIxENSC_INSA_10device_ptrIxEEEESG_SG_EENS0_5tupleIJPxSJ_EEENSR_IJSJ_SJ_EEES6_PlJS6_EEE10hipError_tPvRmT3_T4_T5_T6_T7_T9_mT8_P12ihipStream_tbDpT10_ENKUlT_T0_E_clISt17integral_constantIbLb0EES1F_EEDaS1A_S1B_EUlS1A_E_NS1_11comp_targetILNS1_3genE8ELNS1_11target_archE1030ELNS1_3gpuE2ELNS1_3repE0EEENS1_30default_config_static_selectorELNS0_4arch9wavefront6targetE1EEEvT1_,comdat
.Lfunc_end197:
	.size	_ZN7rocprim17ROCPRIM_400000_NS6detail17trampoline_kernelINS0_14default_configENS1_25partition_config_selectorILNS1_17partition_subalgoE2ExNS0_10empty_typeEbEEZZNS1_14partition_implILS5_2ELb0ES3_jN6thrust23THRUST_200600_302600_NS6detail15normal_iteratorINSA_7pointerIxNSA_11hip_rocprim3tagENSA_11use_defaultESG_EEEEPS6_NSA_18transform_iteratorI7is_evenIxENSC_INSA_10device_ptrIxEEEESG_SG_EENS0_5tupleIJPxSJ_EEENSR_IJSJ_SJ_EEES6_PlJS6_EEE10hipError_tPvRmT3_T4_T5_T6_T7_T9_mT8_P12ihipStream_tbDpT10_ENKUlT_T0_E_clISt17integral_constantIbLb0EES1F_EEDaS1A_S1B_EUlS1A_E_NS1_11comp_targetILNS1_3genE8ELNS1_11target_archE1030ELNS1_3gpuE2ELNS1_3repE0EEENS1_30default_config_static_selectorELNS0_4arch9wavefront6targetE1EEEvT1_, .Lfunc_end197-_ZN7rocprim17ROCPRIM_400000_NS6detail17trampoline_kernelINS0_14default_configENS1_25partition_config_selectorILNS1_17partition_subalgoE2ExNS0_10empty_typeEbEEZZNS1_14partition_implILS5_2ELb0ES3_jN6thrust23THRUST_200600_302600_NS6detail15normal_iteratorINSA_7pointerIxNSA_11hip_rocprim3tagENSA_11use_defaultESG_EEEEPS6_NSA_18transform_iteratorI7is_evenIxENSC_INSA_10device_ptrIxEEEESG_SG_EENS0_5tupleIJPxSJ_EEENSR_IJSJ_SJ_EEES6_PlJS6_EEE10hipError_tPvRmT3_T4_T5_T6_T7_T9_mT8_P12ihipStream_tbDpT10_ENKUlT_T0_E_clISt17integral_constantIbLb0EES1F_EEDaS1A_S1B_EUlS1A_E_NS1_11comp_targetILNS1_3genE8ELNS1_11target_archE1030ELNS1_3gpuE2ELNS1_3repE0EEENS1_30default_config_static_selectorELNS0_4arch9wavefront6targetE1EEEvT1_
                                        ; -- End function
	.section	.AMDGPU.csdata,"",@progbits
; Kernel info:
; codeLenInByte = 0
; NumSgprs: 6
; NumVgprs: 0
; NumAgprs: 0
; TotalNumVgprs: 0
; ScratchSize: 0
; MemoryBound: 0
; FloatMode: 240
; IeeeMode: 1
; LDSByteSize: 0 bytes/workgroup (compile time only)
; SGPRBlocks: 0
; VGPRBlocks: 0
; NumSGPRsForWavesPerEU: 6
; NumVGPRsForWavesPerEU: 1
; AccumOffset: 4
; Occupancy: 8
; WaveLimiterHint : 0
; COMPUTE_PGM_RSRC2:SCRATCH_EN: 0
; COMPUTE_PGM_RSRC2:USER_SGPR: 2
; COMPUTE_PGM_RSRC2:TRAP_HANDLER: 0
; COMPUTE_PGM_RSRC2:TGID_X_EN: 1
; COMPUTE_PGM_RSRC2:TGID_Y_EN: 0
; COMPUTE_PGM_RSRC2:TGID_Z_EN: 0
; COMPUTE_PGM_RSRC2:TIDIG_COMP_CNT: 0
; COMPUTE_PGM_RSRC3_GFX90A:ACCUM_OFFSET: 0
; COMPUTE_PGM_RSRC3_GFX90A:TG_SPLIT: 0
	.section	.text._ZN7rocprim17ROCPRIM_400000_NS6detail17trampoline_kernelINS0_14default_configENS1_25partition_config_selectorILNS1_17partition_subalgoE2ExNS0_10empty_typeEbEEZZNS1_14partition_implILS5_2ELb0ES3_jN6thrust23THRUST_200600_302600_NS6detail15normal_iteratorINSA_7pointerIxNSA_11hip_rocprim3tagENSA_11use_defaultESG_EEEEPS6_NSA_18transform_iteratorI7is_evenIxENSC_INSA_10device_ptrIxEEEESG_SG_EENS0_5tupleIJPxSJ_EEENSR_IJSJ_SJ_EEES6_PlJS6_EEE10hipError_tPvRmT3_T4_T5_T6_T7_T9_mT8_P12ihipStream_tbDpT10_ENKUlT_T0_E_clISt17integral_constantIbLb1EES1F_EEDaS1A_S1B_EUlS1A_E_NS1_11comp_targetILNS1_3genE0ELNS1_11target_archE4294967295ELNS1_3gpuE0ELNS1_3repE0EEENS1_30default_config_static_selectorELNS0_4arch9wavefront6targetE1EEEvT1_,"axG",@progbits,_ZN7rocprim17ROCPRIM_400000_NS6detail17trampoline_kernelINS0_14default_configENS1_25partition_config_selectorILNS1_17partition_subalgoE2ExNS0_10empty_typeEbEEZZNS1_14partition_implILS5_2ELb0ES3_jN6thrust23THRUST_200600_302600_NS6detail15normal_iteratorINSA_7pointerIxNSA_11hip_rocprim3tagENSA_11use_defaultESG_EEEEPS6_NSA_18transform_iteratorI7is_evenIxENSC_INSA_10device_ptrIxEEEESG_SG_EENS0_5tupleIJPxSJ_EEENSR_IJSJ_SJ_EEES6_PlJS6_EEE10hipError_tPvRmT3_T4_T5_T6_T7_T9_mT8_P12ihipStream_tbDpT10_ENKUlT_T0_E_clISt17integral_constantIbLb1EES1F_EEDaS1A_S1B_EUlS1A_E_NS1_11comp_targetILNS1_3genE0ELNS1_11target_archE4294967295ELNS1_3gpuE0ELNS1_3repE0EEENS1_30default_config_static_selectorELNS0_4arch9wavefront6targetE1EEEvT1_,comdat
	.protected	_ZN7rocprim17ROCPRIM_400000_NS6detail17trampoline_kernelINS0_14default_configENS1_25partition_config_selectorILNS1_17partition_subalgoE2ExNS0_10empty_typeEbEEZZNS1_14partition_implILS5_2ELb0ES3_jN6thrust23THRUST_200600_302600_NS6detail15normal_iteratorINSA_7pointerIxNSA_11hip_rocprim3tagENSA_11use_defaultESG_EEEEPS6_NSA_18transform_iteratorI7is_evenIxENSC_INSA_10device_ptrIxEEEESG_SG_EENS0_5tupleIJPxSJ_EEENSR_IJSJ_SJ_EEES6_PlJS6_EEE10hipError_tPvRmT3_T4_T5_T6_T7_T9_mT8_P12ihipStream_tbDpT10_ENKUlT_T0_E_clISt17integral_constantIbLb1EES1F_EEDaS1A_S1B_EUlS1A_E_NS1_11comp_targetILNS1_3genE0ELNS1_11target_archE4294967295ELNS1_3gpuE0ELNS1_3repE0EEENS1_30default_config_static_selectorELNS0_4arch9wavefront6targetE1EEEvT1_ ; -- Begin function _ZN7rocprim17ROCPRIM_400000_NS6detail17trampoline_kernelINS0_14default_configENS1_25partition_config_selectorILNS1_17partition_subalgoE2ExNS0_10empty_typeEbEEZZNS1_14partition_implILS5_2ELb0ES3_jN6thrust23THRUST_200600_302600_NS6detail15normal_iteratorINSA_7pointerIxNSA_11hip_rocprim3tagENSA_11use_defaultESG_EEEEPS6_NSA_18transform_iteratorI7is_evenIxENSC_INSA_10device_ptrIxEEEESG_SG_EENS0_5tupleIJPxSJ_EEENSR_IJSJ_SJ_EEES6_PlJS6_EEE10hipError_tPvRmT3_T4_T5_T6_T7_T9_mT8_P12ihipStream_tbDpT10_ENKUlT_T0_E_clISt17integral_constantIbLb1EES1F_EEDaS1A_S1B_EUlS1A_E_NS1_11comp_targetILNS1_3genE0ELNS1_11target_archE4294967295ELNS1_3gpuE0ELNS1_3repE0EEENS1_30default_config_static_selectorELNS0_4arch9wavefront6targetE1EEEvT1_
	.globl	_ZN7rocprim17ROCPRIM_400000_NS6detail17trampoline_kernelINS0_14default_configENS1_25partition_config_selectorILNS1_17partition_subalgoE2ExNS0_10empty_typeEbEEZZNS1_14partition_implILS5_2ELb0ES3_jN6thrust23THRUST_200600_302600_NS6detail15normal_iteratorINSA_7pointerIxNSA_11hip_rocprim3tagENSA_11use_defaultESG_EEEEPS6_NSA_18transform_iteratorI7is_evenIxENSC_INSA_10device_ptrIxEEEESG_SG_EENS0_5tupleIJPxSJ_EEENSR_IJSJ_SJ_EEES6_PlJS6_EEE10hipError_tPvRmT3_T4_T5_T6_T7_T9_mT8_P12ihipStream_tbDpT10_ENKUlT_T0_E_clISt17integral_constantIbLb1EES1F_EEDaS1A_S1B_EUlS1A_E_NS1_11comp_targetILNS1_3genE0ELNS1_11target_archE4294967295ELNS1_3gpuE0ELNS1_3repE0EEENS1_30default_config_static_selectorELNS0_4arch9wavefront6targetE1EEEvT1_
	.p2align	8
	.type	_ZN7rocprim17ROCPRIM_400000_NS6detail17trampoline_kernelINS0_14default_configENS1_25partition_config_selectorILNS1_17partition_subalgoE2ExNS0_10empty_typeEbEEZZNS1_14partition_implILS5_2ELb0ES3_jN6thrust23THRUST_200600_302600_NS6detail15normal_iteratorINSA_7pointerIxNSA_11hip_rocprim3tagENSA_11use_defaultESG_EEEEPS6_NSA_18transform_iteratorI7is_evenIxENSC_INSA_10device_ptrIxEEEESG_SG_EENS0_5tupleIJPxSJ_EEENSR_IJSJ_SJ_EEES6_PlJS6_EEE10hipError_tPvRmT3_T4_T5_T6_T7_T9_mT8_P12ihipStream_tbDpT10_ENKUlT_T0_E_clISt17integral_constantIbLb1EES1F_EEDaS1A_S1B_EUlS1A_E_NS1_11comp_targetILNS1_3genE0ELNS1_11target_archE4294967295ELNS1_3gpuE0ELNS1_3repE0EEENS1_30default_config_static_selectorELNS0_4arch9wavefront6targetE1EEEvT1_,@function
_ZN7rocprim17ROCPRIM_400000_NS6detail17trampoline_kernelINS0_14default_configENS1_25partition_config_selectorILNS1_17partition_subalgoE2ExNS0_10empty_typeEbEEZZNS1_14partition_implILS5_2ELb0ES3_jN6thrust23THRUST_200600_302600_NS6detail15normal_iteratorINSA_7pointerIxNSA_11hip_rocprim3tagENSA_11use_defaultESG_EEEEPS6_NSA_18transform_iteratorI7is_evenIxENSC_INSA_10device_ptrIxEEEESG_SG_EENS0_5tupleIJPxSJ_EEENSR_IJSJ_SJ_EEES6_PlJS6_EEE10hipError_tPvRmT3_T4_T5_T6_T7_T9_mT8_P12ihipStream_tbDpT10_ENKUlT_T0_E_clISt17integral_constantIbLb1EES1F_EEDaS1A_S1B_EUlS1A_E_NS1_11comp_targetILNS1_3genE0ELNS1_11target_archE4294967295ELNS1_3gpuE0ELNS1_3repE0EEENS1_30default_config_static_selectorELNS0_4arch9wavefront6targetE1EEEvT1_: ; @_ZN7rocprim17ROCPRIM_400000_NS6detail17trampoline_kernelINS0_14default_configENS1_25partition_config_selectorILNS1_17partition_subalgoE2ExNS0_10empty_typeEbEEZZNS1_14partition_implILS5_2ELb0ES3_jN6thrust23THRUST_200600_302600_NS6detail15normal_iteratorINSA_7pointerIxNSA_11hip_rocprim3tagENSA_11use_defaultESG_EEEEPS6_NSA_18transform_iteratorI7is_evenIxENSC_INSA_10device_ptrIxEEEESG_SG_EENS0_5tupleIJPxSJ_EEENSR_IJSJ_SJ_EEES6_PlJS6_EEE10hipError_tPvRmT3_T4_T5_T6_T7_T9_mT8_P12ihipStream_tbDpT10_ENKUlT_T0_E_clISt17integral_constantIbLb1EES1F_EEDaS1A_S1B_EUlS1A_E_NS1_11comp_targetILNS1_3genE0ELNS1_11target_archE4294967295ELNS1_3gpuE0ELNS1_3repE0EEENS1_30default_config_static_selectorELNS0_4arch9wavefront6targetE1EEEvT1_
; %bb.0:
	.section	.rodata,"a",@progbits
	.p2align	6, 0x0
	.amdhsa_kernel _ZN7rocprim17ROCPRIM_400000_NS6detail17trampoline_kernelINS0_14default_configENS1_25partition_config_selectorILNS1_17partition_subalgoE2ExNS0_10empty_typeEbEEZZNS1_14partition_implILS5_2ELb0ES3_jN6thrust23THRUST_200600_302600_NS6detail15normal_iteratorINSA_7pointerIxNSA_11hip_rocprim3tagENSA_11use_defaultESG_EEEEPS6_NSA_18transform_iteratorI7is_evenIxENSC_INSA_10device_ptrIxEEEESG_SG_EENS0_5tupleIJPxSJ_EEENSR_IJSJ_SJ_EEES6_PlJS6_EEE10hipError_tPvRmT3_T4_T5_T6_T7_T9_mT8_P12ihipStream_tbDpT10_ENKUlT_T0_E_clISt17integral_constantIbLb1EES1F_EEDaS1A_S1B_EUlS1A_E_NS1_11comp_targetILNS1_3genE0ELNS1_11target_archE4294967295ELNS1_3gpuE0ELNS1_3repE0EEENS1_30default_config_static_selectorELNS0_4arch9wavefront6targetE1EEEvT1_
		.amdhsa_group_segment_fixed_size 0
		.amdhsa_private_segment_fixed_size 0
		.amdhsa_kernarg_size 144
		.amdhsa_user_sgpr_count 2
		.amdhsa_user_sgpr_dispatch_ptr 0
		.amdhsa_user_sgpr_queue_ptr 0
		.amdhsa_user_sgpr_kernarg_segment_ptr 1
		.amdhsa_user_sgpr_dispatch_id 0
		.amdhsa_user_sgpr_kernarg_preload_length 0
		.amdhsa_user_sgpr_kernarg_preload_offset 0
		.amdhsa_user_sgpr_private_segment_size 0
		.amdhsa_uses_dynamic_stack 0
		.amdhsa_enable_private_segment 0
		.amdhsa_system_sgpr_workgroup_id_x 1
		.amdhsa_system_sgpr_workgroup_id_y 0
		.amdhsa_system_sgpr_workgroup_id_z 0
		.amdhsa_system_sgpr_workgroup_info 0
		.amdhsa_system_vgpr_workitem_id 0
		.amdhsa_next_free_vgpr 1
		.amdhsa_next_free_sgpr 0
		.amdhsa_accum_offset 4
		.amdhsa_reserve_vcc 0
		.amdhsa_float_round_mode_32 0
		.amdhsa_float_round_mode_16_64 0
		.amdhsa_float_denorm_mode_32 3
		.amdhsa_float_denorm_mode_16_64 3
		.amdhsa_dx10_clamp 1
		.amdhsa_ieee_mode 1
		.amdhsa_fp16_overflow 0
		.amdhsa_tg_split 0
		.amdhsa_exception_fp_ieee_invalid_op 0
		.amdhsa_exception_fp_denorm_src 0
		.amdhsa_exception_fp_ieee_div_zero 0
		.amdhsa_exception_fp_ieee_overflow 0
		.amdhsa_exception_fp_ieee_underflow 0
		.amdhsa_exception_fp_ieee_inexact 0
		.amdhsa_exception_int_div_zero 0
	.end_amdhsa_kernel
	.section	.text._ZN7rocprim17ROCPRIM_400000_NS6detail17trampoline_kernelINS0_14default_configENS1_25partition_config_selectorILNS1_17partition_subalgoE2ExNS0_10empty_typeEbEEZZNS1_14partition_implILS5_2ELb0ES3_jN6thrust23THRUST_200600_302600_NS6detail15normal_iteratorINSA_7pointerIxNSA_11hip_rocprim3tagENSA_11use_defaultESG_EEEEPS6_NSA_18transform_iteratorI7is_evenIxENSC_INSA_10device_ptrIxEEEESG_SG_EENS0_5tupleIJPxSJ_EEENSR_IJSJ_SJ_EEES6_PlJS6_EEE10hipError_tPvRmT3_T4_T5_T6_T7_T9_mT8_P12ihipStream_tbDpT10_ENKUlT_T0_E_clISt17integral_constantIbLb1EES1F_EEDaS1A_S1B_EUlS1A_E_NS1_11comp_targetILNS1_3genE0ELNS1_11target_archE4294967295ELNS1_3gpuE0ELNS1_3repE0EEENS1_30default_config_static_selectorELNS0_4arch9wavefront6targetE1EEEvT1_,"axG",@progbits,_ZN7rocprim17ROCPRIM_400000_NS6detail17trampoline_kernelINS0_14default_configENS1_25partition_config_selectorILNS1_17partition_subalgoE2ExNS0_10empty_typeEbEEZZNS1_14partition_implILS5_2ELb0ES3_jN6thrust23THRUST_200600_302600_NS6detail15normal_iteratorINSA_7pointerIxNSA_11hip_rocprim3tagENSA_11use_defaultESG_EEEEPS6_NSA_18transform_iteratorI7is_evenIxENSC_INSA_10device_ptrIxEEEESG_SG_EENS0_5tupleIJPxSJ_EEENSR_IJSJ_SJ_EEES6_PlJS6_EEE10hipError_tPvRmT3_T4_T5_T6_T7_T9_mT8_P12ihipStream_tbDpT10_ENKUlT_T0_E_clISt17integral_constantIbLb1EES1F_EEDaS1A_S1B_EUlS1A_E_NS1_11comp_targetILNS1_3genE0ELNS1_11target_archE4294967295ELNS1_3gpuE0ELNS1_3repE0EEENS1_30default_config_static_selectorELNS0_4arch9wavefront6targetE1EEEvT1_,comdat
.Lfunc_end198:
	.size	_ZN7rocprim17ROCPRIM_400000_NS6detail17trampoline_kernelINS0_14default_configENS1_25partition_config_selectorILNS1_17partition_subalgoE2ExNS0_10empty_typeEbEEZZNS1_14partition_implILS5_2ELb0ES3_jN6thrust23THRUST_200600_302600_NS6detail15normal_iteratorINSA_7pointerIxNSA_11hip_rocprim3tagENSA_11use_defaultESG_EEEEPS6_NSA_18transform_iteratorI7is_evenIxENSC_INSA_10device_ptrIxEEEESG_SG_EENS0_5tupleIJPxSJ_EEENSR_IJSJ_SJ_EEES6_PlJS6_EEE10hipError_tPvRmT3_T4_T5_T6_T7_T9_mT8_P12ihipStream_tbDpT10_ENKUlT_T0_E_clISt17integral_constantIbLb1EES1F_EEDaS1A_S1B_EUlS1A_E_NS1_11comp_targetILNS1_3genE0ELNS1_11target_archE4294967295ELNS1_3gpuE0ELNS1_3repE0EEENS1_30default_config_static_selectorELNS0_4arch9wavefront6targetE1EEEvT1_, .Lfunc_end198-_ZN7rocprim17ROCPRIM_400000_NS6detail17trampoline_kernelINS0_14default_configENS1_25partition_config_selectorILNS1_17partition_subalgoE2ExNS0_10empty_typeEbEEZZNS1_14partition_implILS5_2ELb0ES3_jN6thrust23THRUST_200600_302600_NS6detail15normal_iteratorINSA_7pointerIxNSA_11hip_rocprim3tagENSA_11use_defaultESG_EEEEPS6_NSA_18transform_iteratorI7is_evenIxENSC_INSA_10device_ptrIxEEEESG_SG_EENS0_5tupleIJPxSJ_EEENSR_IJSJ_SJ_EEES6_PlJS6_EEE10hipError_tPvRmT3_T4_T5_T6_T7_T9_mT8_P12ihipStream_tbDpT10_ENKUlT_T0_E_clISt17integral_constantIbLb1EES1F_EEDaS1A_S1B_EUlS1A_E_NS1_11comp_targetILNS1_3genE0ELNS1_11target_archE4294967295ELNS1_3gpuE0ELNS1_3repE0EEENS1_30default_config_static_selectorELNS0_4arch9wavefront6targetE1EEEvT1_
                                        ; -- End function
	.section	.AMDGPU.csdata,"",@progbits
; Kernel info:
; codeLenInByte = 0
; NumSgprs: 6
; NumVgprs: 0
; NumAgprs: 0
; TotalNumVgprs: 0
; ScratchSize: 0
; MemoryBound: 0
; FloatMode: 240
; IeeeMode: 1
; LDSByteSize: 0 bytes/workgroup (compile time only)
; SGPRBlocks: 0
; VGPRBlocks: 0
; NumSGPRsForWavesPerEU: 6
; NumVGPRsForWavesPerEU: 1
; AccumOffset: 4
; Occupancy: 8
; WaveLimiterHint : 0
; COMPUTE_PGM_RSRC2:SCRATCH_EN: 0
; COMPUTE_PGM_RSRC2:USER_SGPR: 2
; COMPUTE_PGM_RSRC2:TRAP_HANDLER: 0
; COMPUTE_PGM_RSRC2:TGID_X_EN: 1
; COMPUTE_PGM_RSRC2:TGID_Y_EN: 0
; COMPUTE_PGM_RSRC2:TGID_Z_EN: 0
; COMPUTE_PGM_RSRC2:TIDIG_COMP_CNT: 0
; COMPUTE_PGM_RSRC3_GFX90A:ACCUM_OFFSET: 0
; COMPUTE_PGM_RSRC3_GFX90A:TG_SPLIT: 0
	.section	.text._ZN7rocprim17ROCPRIM_400000_NS6detail17trampoline_kernelINS0_14default_configENS1_25partition_config_selectorILNS1_17partition_subalgoE2ExNS0_10empty_typeEbEEZZNS1_14partition_implILS5_2ELb0ES3_jN6thrust23THRUST_200600_302600_NS6detail15normal_iteratorINSA_7pointerIxNSA_11hip_rocprim3tagENSA_11use_defaultESG_EEEEPS6_NSA_18transform_iteratorI7is_evenIxENSC_INSA_10device_ptrIxEEEESG_SG_EENS0_5tupleIJPxSJ_EEENSR_IJSJ_SJ_EEES6_PlJS6_EEE10hipError_tPvRmT3_T4_T5_T6_T7_T9_mT8_P12ihipStream_tbDpT10_ENKUlT_T0_E_clISt17integral_constantIbLb1EES1F_EEDaS1A_S1B_EUlS1A_E_NS1_11comp_targetILNS1_3genE5ELNS1_11target_archE942ELNS1_3gpuE9ELNS1_3repE0EEENS1_30default_config_static_selectorELNS0_4arch9wavefront6targetE1EEEvT1_,"axG",@progbits,_ZN7rocprim17ROCPRIM_400000_NS6detail17trampoline_kernelINS0_14default_configENS1_25partition_config_selectorILNS1_17partition_subalgoE2ExNS0_10empty_typeEbEEZZNS1_14partition_implILS5_2ELb0ES3_jN6thrust23THRUST_200600_302600_NS6detail15normal_iteratorINSA_7pointerIxNSA_11hip_rocprim3tagENSA_11use_defaultESG_EEEEPS6_NSA_18transform_iteratorI7is_evenIxENSC_INSA_10device_ptrIxEEEESG_SG_EENS0_5tupleIJPxSJ_EEENSR_IJSJ_SJ_EEES6_PlJS6_EEE10hipError_tPvRmT3_T4_T5_T6_T7_T9_mT8_P12ihipStream_tbDpT10_ENKUlT_T0_E_clISt17integral_constantIbLb1EES1F_EEDaS1A_S1B_EUlS1A_E_NS1_11comp_targetILNS1_3genE5ELNS1_11target_archE942ELNS1_3gpuE9ELNS1_3repE0EEENS1_30default_config_static_selectorELNS0_4arch9wavefront6targetE1EEEvT1_,comdat
	.protected	_ZN7rocprim17ROCPRIM_400000_NS6detail17trampoline_kernelINS0_14default_configENS1_25partition_config_selectorILNS1_17partition_subalgoE2ExNS0_10empty_typeEbEEZZNS1_14partition_implILS5_2ELb0ES3_jN6thrust23THRUST_200600_302600_NS6detail15normal_iteratorINSA_7pointerIxNSA_11hip_rocprim3tagENSA_11use_defaultESG_EEEEPS6_NSA_18transform_iteratorI7is_evenIxENSC_INSA_10device_ptrIxEEEESG_SG_EENS0_5tupleIJPxSJ_EEENSR_IJSJ_SJ_EEES6_PlJS6_EEE10hipError_tPvRmT3_T4_T5_T6_T7_T9_mT8_P12ihipStream_tbDpT10_ENKUlT_T0_E_clISt17integral_constantIbLb1EES1F_EEDaS1A_S1B_EUlS1A_E_NS1_11comp_targetILNS1_3genE5ELNS1_11target_archE942ELNS1_3gpuE9ELNS1_3repE0EEENS1_30default_config_static_selectorELNS0_4arch9wavefront6targetE1EEEvT1_ ; -- Begin function _ZN7rocprim17ROCPRIM_400000_NS6detail17trampoline_kernelINS0_14default_configENS1_25partition_config_selectorILNS1_17partition_subalgoE2ExNS0_10empty_typeEbEEZZNS1_14partition_implILS5_2ELb0ES3_jN6thrust23THRUST_200600_302600_NS6detail15normal_iteratorINSA_7pointerIxNSA_11hip_rocprim3tagENSA_11use_defaultESG_EEEEPS6_NSA_18transform_iteratorI7is_evenIxENSC_INSA_10device_ptrIxEEEESG_SG_EENS0_5tupleIJPxSJ_EEENSR_IJSJ_SJ_EEES6_PlJS6_EEE10hipError_tPvRmT3_T4_T5_T6_T7_T9_mT8_P12ihipStream_tbDpT10_ENKUlT_T0_E_clISt17integral_constantIbLb1EES1F_EEDaS1A_S1B_EUlS1A_E_NS1_11comp_targetILNS1_3genE5ELNS1_11target_archE942ELNS1_3gpuE9ELNS1_3repE0EEENS1_30default_config_static_selectorELNS0_4arch9wavefront6targetE1EEEvT1_
	.globl	_ZN7rocprim17ROCPRIM_400000_NS6detail17trampoline_kernelINS0_14default_configENS1_25partition_config_selectorILNS1_17partition_subalgoE2ExNS0_10empty_typeEbEEZZNS1_14partition_implILS5_2ELb0ES3_jN6thrust23THRUST_200600_302600_NS6detail15normal_iteratorINSA_7pointerIxNSA_11hip_rocprim3tagENSA_11use_defaultESG_EEEEPS6_NSA_18transform_iteratorI7is_evenIxENSC_INSA_10device_ptrIxEEEESG_SG_EENS0_5tupleIJPxSJ_EEENSR_IJSJ_SJ_EEES6_PlJS6_EEE10hipError_tPvRmT3_T4_T5_T6_T7_T9_mT8_P12ihipStream_tbDpT10_ENKUlT_T0_E_clISt17integral_constantIbLb1EES1F_EEDaS1A_S1B_EUlS1A_E_NS1_11comp_targetILNS1_3genE5ELNS1_11target_archE942ELNS1_3gpuE9ELNS1_3repE0EEENS1_30default_config_static_selectorELNS0_4arch9wavefront6targetE1EEEvT1_
	.p2align	8
	.type	_ZN7rocprim17ROCPRIM_400000_NS6detail17trampoline_kernelINS0_14default_configENS1_25partition_config_selectorILNS1_17partition_subalgoE2ExNS0_10empty_typeEbEEZZNS1_14partition_implILS5_2ELb0ES3_jN6thrust23THRUST_200600_302600_NS6detail15normal_iteratorINSA_7pointerIxNSA_11hip_rocprim3tagENSA_11use_defaultESG_EEEEPS6_NSA_18transform_iteratorI7is_evenIxENSC_INSA_10device_ptrIxEEEESG_SG_EENS0_5tupleIJPxSJ_EEENSR_IJSJ_SJ_EEES6_PlJS6_EEE10hipError_tPvRmT3_T4_T5_T6_T7_T9_mT8_P12ihipStream_tbDpT10_ENKUlT_T0_E_clISt17integral_constantIbLb1EES1F_EEDaS1A_S1B_EUlS1A_E_NS1_11comp_targetILNS1_3genE5ELNS1_11target_archE942ELNS1_3gpuE9ELNS1_3repE0EEENS1_30default_config_static_selectorELNS0_4arch9wavefront6targetE1EEEvT1_,@function
_ZN7rocprim17ROCPRIM_400000_NS6detail17trampoline_kernelINS0_14default_configENS1_25partition_config_selectorILNS1_17partition_subalgoE2ExNS0_10empty_typeEbEEZZNS1_14partition_implILS5_2ELb0ES3_jN6thrust23THRUST_200600_302600_NS6detail15normal_iteratorINSA_7pointerIxNSA_11hip_rocprim3tagENSA_11use_defaultESG_EEEEPS6_NSA_18transform_iteratorI7is_evenIxENSC_INSA_10device_ptrIxEEEESG_SG_EENS0_5tupleIJPxSJ_EEENSR_IJSJ_SJ_EEES6_PlJS6_EEE10hipError_tPvRmT3_T4_T5_T6_T7_T9_mT8_P12ihipStream_tbDpT10_ENKUlT_T0_E_clISt17integral_constantIbLb1EES1F_EEDaS1A_S1B_EUlS1A_E_NS1_11comp_targetILNS1_3genE5ELNS1_11target_archE942ELNS1_3gpuE9ELNS1_3repE0EEENS1_30default_config_static_selectorELNS0_4arch9wavefront6targetE1EEEvT1_: ; @_ZN7rocprim17ROCPRIM_400000_NS6detail17trampoline_kernelINS0_14default_configENS1_25partition_config_selectorILNS1_17partition_subalgoE2ExNS0_10empty_typeEbEEZZNS1_14partition_implILS5_2ELb0ES3_jN6thrust23THRUST_200600_302600_NS6detail15normal_iteratorINSA_7pointerIxNSA_11hip_rocprim3tagENSA_11use_defaultESG_EEEEPS6_NSA_18transform_iteratorI7is_evenIxENSC_INSA_10device_ptrIxEEEESG_SG_EENS0_5tupleIJPxSJ_EEENSR_IJSJ_SJ_EEES6_PlJS6_EEE10hipError_tPvRmT3_T4_T5_T6_T7_T9_mT8_P12ihipStream_tbDpT10_ENKUlT_T0_E_clISt17integral_constantIbLb1EES1F_EEDaS1A_S1B_EUlS1A_E_NS1_11comp_targetILNS1_3genE5ELNS1_11target_archE942ELNS1_3gpuE9ELNS1_3repE0EEENS1_30default_config_static_selectorELNS0_4arch9wavefront6targetE1EEEvT1_
; %bb.0:
	s_load_dwordx2 s[2:3], s[0:1], 0x20
	s_load_dwordx2 s[28:29], s[0:1], 0x30
	;; [unrolled: 1-line block ×3, first 2 shown]
	s_load_dwordx4 s[20:23], s[0:1], 0x50
	s_load_dwordx2 s[36:37], s[0:1], 0x70
	v_cmp_eq_u32_e64 s[18:19], 0, v0
	s_and_saveexec_b64 s[4:5], s[18:19]
	s_cbranch_execz .LBB199_4
; %bb.1:
	s_mov_b64 s[8:9], exec
	v_mbcnt_lo_u32_b32 v1, s8, 0
	v_mbcnt_hi_u32_b32 v1, s9, v1
	v_cmp_eq_u32_e32 vcc, 0, v1
                                        ; implicit-def: $vgpr2
	s_and_saveexec_b64 s[6:7], vcc
	s_cbranch_execz .LBB199_3
; %bb.2:
	s_load_dwordx2 s[10:11], s[0:1], 0x80
	s_bcnt1_i32_b64 s8, s[8:9]
	v_mov_b32_e32 v2, 0
	v_mov_b32_e32 v3, s8
	s_waitcnt lgkmcnt(0)
	global_atomic_add v2, v2, v3, s[10:11] sc0
.LBB199_3:
	s_or_b64 exec, exec, s[6:7]
	s_waitcnt vmcnt(0)
	v_readfirstlane_b32 s6, v2
	v_mov_b32_e32 v2, 0
	s_nop 0
	v_add_u32_e32 v1, s6, v1
	ds_write_b32 v2, v1
.LBB199_4:
	s_or_b64 exec, exec, s[4:5]
	v_mov_b32_e32 v19, 0
	s_load_dwordx4 s[24:27], s[0:1], 0x8
	s_load_dword s6, s[0:1], 0x78
	s_waitcnt lgkmcnt(0)
	s_barrier
	ds_read_b32 v1, v19
	s_waitcnt lgkmcnt(0)
	s_barrier
	global_load_dwordx2 v[20:21], v19, s[22:23]
	s_lshl_b64 s[4:5], s[26:27], 3
	s_add_u32 s8, s24, s4
	s_mul_i32 s0, s6, 0xe00
	s_addc_u32 s9, s25, s5
	s_add_i32 s1, s0, s26
	s_sub_i32 s33, s30, s1
	s_add_i32 s7, s6, -1
	s_addk_i32 s33, 0xe00
	s_add_u32 s0, s26, s0
	v_readfirstlane_b32 s42, v1
	s_addc_u32 s1, s27, 0
	s_cmp_eq_u32 s42, s7
	v_mov_b64_e32 v[2:3], s[30:31]
	s_cselect_b64 s[22:23], -1, 0
	s_cmp_lg_u32 s42, s7
	s_mul_i32 s24, s42, 0xe00
	s_mov_b32 s25, 0
	v_cmp_lt_u64_e32 vcc, s[0:1], v[2:3]
	s_cselect_b64 s[0:1], -1, 0
	s_or_b64 s[34:35], vcc, s[0:1]
	s_lshl_b64 s[6:7], s[24:25], 3
	s_add_u32 s8, s8, s6
	s_addc_u32 s9, s9, s7
	s_mov_b64 s[0:1], -1
	s_and_b64 vcc, exec, s[34:35]
	v_lshlrev_b32_e32 v18, 3, v0
	s_cbranch_vccz .LBB199_6
; %bb.5:
	v_lshl_add_u64 v[2:3], s[8:9], 0, v[18:19]
	v_add_co_u32_e32 v4, vcc, 0x1000, v2
	s_mov_b64 s[0:1], 0
	s_nop 0
	v_addc_co_u32_e32 v5, vcc, 0, v3, vcc
	v_add_co_u32_e32 v6, vcc, 0x2000, v2
	s_nop 1
	v_addc_co_u32_e32 v7, vcc, 0, v3, vcc
	v_add_co_u32_e32 v8, vcc, 0x3000, v2
	s_nop 1
	v_addc_co_u32_e32 v9, vcc, 0, v3, vcc
	flat_load_dwordx2 v[10:11], v[2:3]
	flat_load_dwordx2 v[12:13], v[4:5]
	;; [unrolled: 1-line block ×4, first 2 shown]
	v_add_co_u32_e32 v4, vcc, 0x4000, v2
	s_nop 1
	v_addc_co_u32_e32 v5, vcc, 0, v3, vcc
	v_add_co_u32_e32 v6, vcc, 0x5000, v2
	s_nop 1
	v_addc_co_u32_e32 v7, vcc, 0, v3, vcc
	;; [unrolled: 3-line block ×3, first 2 shown]
	flat_load_dwordx2 v[8:9], v[4:5]
	flat_load_dwordx2 v[22:23], v[6:7]
	;; [unrolled: 1-line block ×3, first 2 shown]
	s_waitcnt vmcnt(0) lgkmcnt(0)
	ds_write2st64_b64 v18, v[10:11], v[12:13] offset1:8
	ds_write2st64_b64 v18, v[14:15], v[16:17] offset0:16 offset1:24
	ds_write2st64_b64 v18, v[8:9], v[22:23] offset0:32 offset1:40
	ds_write_b64 v18, v[24:25] offset:24576
	s_waitcnt lgkmcnt(0)
	s_barrier
.LBB199_6:
	s_andn2_b64 vcc, exec, s[0:1]
	v_cmp_gt_u32_e64 s[0:1], s33, v0
	s_cbranch_vccnz .LBB199_22
; %bb.7:
                                        ; implicit-def: $vgpr2_vgpr3_vgpr4_vgpr5_vgpr6_vgpr7_vgpr8_vgpr9_vgpr10_vgpr11_vgpr12_vgpr13_vgpr14_vgpr15_vgpr16_vgpr17
	s_and_saveexec_b64 s[10:11], s[0:1]
	s_cbranch_execz .LBB199_9
; %bb.8:
	v_mov_b32_e32 v19, 0
	v_lshl_add_u64 v[2:3], s[8:9], 0, v[18:19]
	flat_load_dwordx2 v[2:3], v[2:3]
.LBB199_9:
	s_or_b64 exec, exec, s[10:11]
	v_or_b32_e32 v1, 0x200, v0
	v_cmp_gt_u32_e32 vcc, s33, v1
	s_and_saveexec_b64 s[0:1], vcc
	s_cbranch_execz .LBB199_11
; %bb.10:
	v_lshlrev_b32_e32 v4, 3, v1
	v_mov_b32_e32 v5, 0
	v_lshl_add_u64 v[4:5], s[8:9], 0, v[4:5]
	flat_load_dwordx2 v[4:5], v[4:5]
.LBB199_11:
	s_or_b64 exec, exec, s[0:1]
	v_or_b32_e32 v1, 0x400, v0
	v_cmp_gt_u32_e32 vcc, s33, v1
	s_and_saveexec_b64 s[0:1], vcc
	s_cbranch_execz .LBB199_13
; %bb.12:
	v_lshlrev_b32_e32 v6, 3, v1
	v_mov_b32_e32 v7, 0
	v_lshl_add_u64 v[6:7], s[8:9], 0, v[6:7]
	flat_load_dwordx2 v[6:7], v[6:7]
.LBB199_13:
	;; [unrolled: 11-line block ×6, first 2 shown]
	s_or_b64 exec, exec, s[0:1]
	s_waitcnt vmcnt(0) lgkmcnt(0)
	ds_write2st64_b64 v18, v[2:3], v[4:5] offset1:8
	ds_write2st64_b64 v18, v[6:7], v[8:9] offset0:16 offset1:24
	ds_write2st64_b64 v18, v[10:11], v[12:13] offset0:32 offset1:40
	ds_write_b64 v18, v[14:15] offset:24576
	s_waitcnt lgkmcnt(0)
	s_barrier
.LBB199_22:
	v_mul_u32_u24_e32 v1, 7, v0
	v_lshlrev_b32_e32 v16, 3, v1
	ds_read2_b64 v[10:13], v16 offset1:1
	ds_read2_b64 v[6:9], v16 offset0:2 offset1:3
	ds_read2_b64 v[2:5], v16 offset0:4 offset1:5
	ds_read_b64 v[14:15], v16 offset:48
	s_add_u32 s0, s2, s4
	s_addc_u32 s1, s3, s5
	s_add_u32 s0, s0, s6
	s_addc_u32 s1, s1, s7
	s_mov_b64 s[2:3], -1
	s_and_b64 vcc, exec, s[34:35]
	s_waitcnt lgkmcnt(0)
	s_barrier
	s_cbranch_vccz .LBB199_24
; %bb.23:
	v_mov_b32_e32 v19, 0
	v_lshl_add_u64 v[22:23], s[0:1], 0, v[18:19]
	v_add_co_u32_e32 v26, vcc, 0x1000, v22
	global_load_dwordx2 v[24:25], v18, s[0:1]
	s_nop 0
	v_addc_co_u32_e32 v27, vcc, 0, v23, vcc
	v_add_co_u32_e32 v28, vcc, 0x2000, v22
	s_mov_b64 s[2:3], 0
	s_nop 0
	v_addc_co_u32_e32 v29, vcc, 0, v23, vcc
	v_add_co_u32_e32 v30, vcc, 0x3000, v22
	s_waitcnt vmcnt(0)
	v_xor_b32_e32 v17, -1, v24
	v_addc_co_u32_e32 v31, vcc, 0, v23, vcc
	v_add_co_u32_e32 v32, vcc, 0x4000, v22
	v_and_b32_e32 v17, 1, v17
	s_nop 0
	v_addc_co_u32_e32 v33, vcc, 0, v23, vcc
	global_load_dwordx2 v[34:35], v[26:27], off
	global_load_dwordx2 v[36:37], v[28:29], off
	;; [unrolled: 1-line block ×4, first 2 shown]
	v_add_co_u32_e32 v26, vcc, 0x5000, v22
	ds_write_b8 v0, v17
	s_nop 0
	v_addc_co_u32_e32 v27, vcc, 0, v23, vcc
	v_add_co_u32_e32 v22, vcc, 0x6000, v22
	global_load_dwordx2 v[26:27], v[26:27], off
	s_nop 0
	v_addc_co_u32_e32 v23, vcc, 0, v23, vcc
	global_load_dwordx2 v[22:23], v[22:23], off
	s_waitcnt vmcnt(5)
	v_xor_b32_e32 v17, -1, v34
	v_and_b32_e32 v17, 1, v17
	s_waitcnt vmcnt(4)
	v_xor_b32_e32 v19, -1, v36
	s_waitcnt vmcnt(0)
	v_xor_b32_e32 v23, -1, v38
	v_and_b32_e32 v19, 1, v19
	ds_write_b8 v0, v17 offset:512
	v_and_b32_e32 v17, 1, v23
	v_xor_b32_e32 v23, -1, v40
	ds_write_b8 v0, v19 offset:1024
	v_and_b32_e32 v19, 1, v23
	ds_write_b8 v0, v17 offset:1536
	v_xor_b32_e32 v23, -1, v26
	v_and_b32_e32 v17, 1, v23
	ds_write_b8 v0, v19 offset:2048
	v_xor_b32_e32 v22, -1, v22
	v_and_b32_e32 v19, 1, v22
	ds_write_b8 v0, v17 offset:2560
	ds_write_b8 v0, v19 offset:3072
	s_waitcnt lgkmcnt(0)
	s_barrier
.LBB199_24:
	s_andn2_b64 vcc, exec, s[2:3]
	s_cbranch_vccnz .LBB199_40
; %bb.25:
	v_cmp_gt_u32_e32 vcc, s33, v0
	v_mov_b32_e32 v17, 0
	v_mov_b32_e32 v19, 0
	s_and_saveexec_b64 s[2:3], vcc
	s_cbranch_execz .LBB199_27
; %bb.26:
	global_load_dwordx2 v[22:23], v18, s[0:1]
	s_waitcnt vmcnt(0)
	v_xor_b32_e32 v19, -1, v22
	v_and_b32_e32 v19, 1, v19
.LBB199_27:
	s_or_b64 exec, exec, s[2:3]
	v_or_b32_e32 v22, 0x200, v0
	v_cmp_gt_u32_e32 vcc, s33, v22
	s_and_saveexec_b64 s[2:3], vcc
	s_cbranch_execz .LBB199_29
; %bb.28:
	v_lshlrev_b32_e32 v17, 3, v22
	global_load_dwordx2 v[22:23], v17, s[0:1]
	s_waitcnt vmcnt(0)
	v_xor_b32_e32 v17, -1, v22
	v_and_b32_e32 v17, 1, v17
.LBB199_29:
	s_or_b64 exec, exec, s[2:3]
	v_or_b32_e32 v24, 0x400, v0
	v_cmp_gt_u32_e32 vcc, s33, v24
	v_mov_b32_e32 v22, 0
	v_mov_b32_e32 v23, 0
	s_and_saveexec_b64 s[2:3], vcc
	s_cbranch_execz .LBB199_31
; %bb.30:
	v_lshlrev_b32_e32 v23, 3, v24
	global_load_dwordx2 v[24:25], v23, s[0:1]
	s_waitcnt vmcnt(0)
	v_xor_b32_e32 v23, -1, v24
	v_and_b32_e32 v23, 1, v23
.LBB199_31:
	s_or_b64 exec, exec, s[2:3]
	v_or_b32_e32 v24, 0x600, v0
	v_cmp_gt_u32_e32 vcc, s33, v24
	s_and_saveexec_b64 s[2:3], vcc
	s_cbranch_execz .LBB199_33
; %bb.32:
	v_lshlrev_b32_e32 v22, 3, v24
	global_load_dwordx2 v[24:25], v22, s[0:1]
	s_waitcnt vmcnt(0)
	v_xor_b32_e32 v22, -1, v24
	v_and_b32_e32 v22, 1, v22
.LBB199_33:
	s_or_b64 exec, exec, s[2:3]
	v_or_b32_e32 v26, 0x800, v0
	v_cmp_gt_u32_e32 vcc, s33, v26
	v_mov_b32_e32 v24, 0
	v_mov_b32_e32 v25, 0
	s_and_saveexec_b64 s[2:3], vcc
	s_cbranch_execz .LBB199_35
; %bb.34:
	v_lshlrev_b32_e32 v25, 3, v26
	global_load_dwordx2 v[26:27], v25, s[0:1]
	s_waitcnt vmcnt(0)
	v_xor_b32_e32 v25, -1, v26
	v_and_b32_e32 v25, 1, v25
.LBB199_35:
	s_or_b64 exec, exec, s[2:3]
	v_or_b32_e32 v26, 0xa00, v0
	v_cmp_gt_u32_e32 vcc, s33, v26
	s_and_saveexec_b64 s[2:3], vcc
	s_cbranch_execz .LBB199_37
; %bb.36:
	v_lshlrev_b32_e32 v24, 3, v26
	global_load_dwordx2 v[26:27], v24, s[0:1]
	s_waitcnt vmcnt(0)
	v_xor_b32_e32 v24, -1, v26
	v_and_b32_e32 v24, 1, v24
.LBB199_37:
	s_or_b64 exec, exec, s[2:3]
	v_or_b32_e32 v27, 0xc00, v0
	v_cmp_gt_u32_e32 vcc, s33, v27
	v_mov_b32_e32 v26, 0
	s_and_saveexec_b64 s[2:3], vcc
	s_cbranch_execz .LBB199_39
; %bb.38:
	v_lshlrev_b32_e32 v26, 3, v27
	global_load_dwordx2 v[26:27], v26, s[0:1]
	s_waitcnt vmcnt(0)
	v_xor_b32_e32 v26, -1, v26
	v_and_b32_e32 v26, 1, v26
.LBB199_39:
	s_or_b64 exec, exec, s[2:3]
	ds_write_b8 v0, v19
	ds_write_b8 v0, v17 offset:512
	ds_write_b8 v0, v23 offset:1024
	ds_write_b8 v0, v22 offset:1536
	ds_write_b8 v0, v25 offset:2048
	ds_write_b8 v0, v24 offset:2560
	ds_write_b8 v0, v26 offset:3072
	s_waitcnt lgkmcnt(0)
	s_barrier
.LBB199_40:
	s_movk_i32 s0, 0xffcf
	v_mad_i32_i24 v38, v0, s0, v16
	ds_read_u8 v16, v38
	ds_read_u8 v17, v38 offset:1
	ds_read_u8 v19, v38 offset:2
	ds_read_u8 v22, v38 offset:3
	ds_read_u8 v23, v38 offset:4
	ds_read_u8 v24, v38 offset:5
	ds_read_u8 v25, v38 offset:6
	s_waitcnt lgkmcnt(6)
	v_and_b32_e32 v36, 1, v16
	s_waitcnt lgkmcnt(5)
	v_and_b32_e32 v35, 1, v17
	;; [unrolled: 2-line block ×5, first 2 shown]
	v_add3_u32 v16, v35, v36, v33
	s_waitcnt lgkmcnt(1)
	v_and_b32_e32 v30, 1, v24
	s_waitcnt lgkmcnt(0)
	v_and_b32_e32 v19, 1, v25
	v_add3_u32 v16, v16, v32, v31
	v_add3_u32 v40, v16, v30, v19
	v_mbcnt_lo_u32_b32 v16, -1, 0
	v_mbcnt_hi_u32_b32 v37, -1, v16
	v_and_b32_e32 v16, 15, v37
	v_cmp_eq_u32_e64 s[14:15], 0, v16
	v_cmp_lt_u32_e64 s[12:13], 1, v16
	v_cmp_lt_u32_e64 s[10:11], 3, v16
	v_cmp_lt_u32_e64 s[8:9], 7, v16
	v_and_b32_e32 v16, 16, v37
	v_cmp_eq_u32_e64 s[6:7], 0, v16
	v_or_b32_e32 v16, 63, v0
	s_cmp_lg_u32 s42, 0
	v_cmp_lt_u32_e64 s[2:3], 31, v37
	v_lshrrev_b32_e32 v39, 6, v0
	v_cmp_eq_u32_e64 s[4:5], v16, v0
	s_barrier
	s_cbranch_scc0 .LBB199_71
; %bb.41:
	v_mov_b32_dpp v16, v40 row_shr:1 row_mask:0xf bank_mask:0xf
	v_cndmask_b32_e64 v16, v16, 0, s[14:15]
	v_add_u32_e32 v16, v16, v40
	s_nop 1
	v_mov_b32_dpp v17, v16 row_shr:2 row_mask:0xf bank_mask:0xf
	v_cndmask_b32_e64 v17, 0, v17, s[12:13]
	v_add_u32_e32 v16, v16, v17
	s_nop 1
	;; [unrolled: 4-line block ×4, first 2 shown]
	v_mov_b32_dpp v17, v16 row_bcast:15 row_mask:0xf bank_mask:0xf
	v_cndmask_b32_e64 v17, v17, 0, s[6:7]
	v_add_u32_e32 v16, v16, v17
	s_nop 1
	v_mov_b32_dpp v17, v16 row_bcast:31 row_mask:0xf bank_mask:0xf
	v_cndmask_b32_e64 v17, 0, v17, s[2:3]
	v_add_u32_e32 v16, v16, v17
	s_and_saveexec_b64 s[0:1], s[4:5]
	s_cbranch_execz .LBB199_43
; %bb.42:
	v_lshlrev_b32_e32 v17, 2, v39
	ds_write_b32 v17, v16
.LBB199_43:
	s_or_b64 exec, exec, s[0:1]
	v_cmp_gt_u32_e32 vcc, 8, v0
	s_waitcnt lgkmcnt(0)
	s_barrier
	s_and_saveexec_b64 s[0:1], vcc
	s_cbranch_execz .LBB199_45
; %bb.44:
	v_lshlrev_b32_e32 v17, 2, v0
	ds_read_b32 v22, v17
	v_and_b32_e32 v23, 7, v37
	v_cmp_ne_u32_e32 vcc, 0, v23
	s_waitcnt lgkmcnt(0)
	v_mov_b32_dpp v24, v22 row_shr:1 row_mask:0xf bank_mask:0xf
	v_cndmask_b32_e32 v24, 0, v24, vcc
	v_add_u32_e32 v22, v24, v22
	v_cmp_lt_u32_e32 vcc, 1, v23
	s_nop 0
	v_mov_b32_dpp v24, v22 row_shr:2 row_mask:0xf bank_mask:0xf
	v_cndmask_b32_e32 v24, 0, v24, vcc
	v_add_u32_e32 v22, v22, v24
	v_cmp_lt_u32_e32 vcc, 3, v23
	s_nop 0
	v_mov_b32_dpp v24, v22 row_shr:4 row_mask:0xf bank_mask:0xf
	v_cndmask_b32_e32 v23, 0, v24, vcc
	v_add_u32_e32 v22, v22, v23
	ds_write_b32 v17, v22
.LBB199_45:
	s_or_b64 exec, exec, s[0:1]
	v_cmp_gt_u32_e32 vcc, 64, v0
	v_cmp_lt_u32_e64 s[0:1], 63, v0
	s_waitcnt lgkmcnt(0)
	s_barrier
	s_waitcnt lgkmcnt(0)
                                        ; implicit-def: $vgpr34
	s_and_saveexec_b64 s[16:17], s[0:1]
	s_cbranch_execz .LBB199_47
; %bb.46:
	v_lshl_add_u32 v17, v39, 2, -4
	ds_read_b32 v34, v17
	s_waitcnt lgkmcnt(0)
	v_add_u32_e32 v16, v34, v16
.LBB199_47:
	s_or_b64 exec, exec, s[16:17]
	v_add_u32_e32 v17, -1, v37
	v_and_b32_e32 v22, 64, v37
	v_cmp_lt_i32_e64 s[0:1], v17, v22
	v_cmp_eq_u32_e64 s[16:17], 0, v37
	s_nop 0
	v_cndmask_b32_e64 v17, v17, v37, s[0:1]
	v_lshlrev_b32_e32 v17, 2, v17
	ds_bpermute_b32 v41, v17, v16
	s_and_saveexec_b64 s[0:1], vcc
	s_cbranch_execz .LBB199_70
; %bb.48:
	v_mov_b32_e32 v29, 0
	ds_read_b32 v16, v29 offset:28
	s_and_saveexec_b64 s[38:39], s[16:17]
	s_cbranch_execz .LBB199_50
; %bb.49:
	s_add_i32 s40, s42, 64
	s_mov_b32 s41, 0
	s_lshl_b64 s[40:41], s[40:41], 3
	s_add_u32 s40, s36, s40
	v_mov_b32_e32 v17, 1
	s_addc_u32 s41, s37, s41
	s_waitcnt lgkmcnt(0)
	global_store_dwordx2 v29, v[16:17], s[40:41] sc1
.LBB199_50:
	s_or_b64 exec, exec, s[38:39]
	v_xad_u32 v22, v37, -1, s42
	v_add_u32_e32 v28, 64, v22
	v_lshl_add_u64 v[24:25], v[28:29], 3, s[36:37]
	global_load_dwordx2 v[26:27], v[24:25], off sc1
	s_waitcnt vmcnt(0)
	v_cmp_eq_u16_sdwa s[40:41], v27, v29 src0_sel:BYTE_0 src1_sel:DWORD
	s_and_saveexec_b64 s[38:39], s[40:41]
	s_cbranch_execz .LBB199_56
; %bb.51:
	s_mov_b32 s25, 1
	s_mov_b64 s[40:41], 0
	v_mov_b32_e32 v17, 0
.LBB199_52:                             ; =>This Loop Header: Depth=1
                                        ;     Child Loop BB199_53 Depth 2
	s_max_u32 s43, s25, 1
.LBB199_53:                             ;   Parent Loop BB199_52 Depth=1
                                        ; =>  This Inner Loop Header: Depth=2
	s_add_i32 s43, s43, -1
	s_cmp_eq_u32 s43, 0
	s_sleep 1
	s_cbranch_scc0 .LBB199_53
; %bb.54:                               ;   in Loop: Header=BB199_52 Depth=1
	global_load_dwordx2 v[26:27], v[24:25], off sc1
	s_cmp_lt_u32 s25, 32
	s_cselect_b64 s[44:45], -1, 0
	s_cmp_lg_u64 s[44:45], 0
	s_addc_u32 s25, s25, 0
	s_waitcnt vmcnt(0)
	v_cmp_ne_u16_sdwa s[44:45], v27, v17 src0_sel:BYTE_0 src1_sel:DWORD
	s_or_b64 s[40:41], s[44:45], s[40:41]
	s_andn2_b64 exec, exec, s[40:41]
	s_cbranch_execnz .LBB199_52
; %bb.55:
	s_or_b64 exec, exec, s[40:41]
.LBB199_56:
	s_or_b64 exec, exec, s[38:39]
	v_and_b32_e32 v43, 63, v37
	v_mov_b32_e32 v42, 2
	v_cmp_ne_u32_e32 vcc, 63, v43
	v_cmp_eq_u16_sdwa s[38:39], v27, v42 src0_sel:BYTE_0 src1_sel:DWORD
	v_lshlrev_b64 v[24:25], v37, -1
	v_addc_co_u32_e32 v28, vcc, 0, v37, vcc
	v_and_b32_e32 v17, s39, v25
	v_lshlrev_b32_e32 v44, 2, v28
	v_or_b32_e32 v17, 0x80000000, v17
	ds_bpermute_b32 v28, v44, v26
	v_and_b32_e32 v23, s38, v24
	v_ffbl_b32_e32 v17, v17
	v_add_u32_e32 v17, 32, v17
	v_ffbl_b32_e32 v23, v23
	v_min_u32_e32 v17, v23, v17
	v_cmp_lt_u32_e32 vcc, v43, v17
	v_add_u32_e32 v46, 2, v43
	v_add_u32_e32 v48, 4, v43
	s_waitcnt lgkmcnt(0)
	v_cndmask_b32_e32 v23, 0, v28, vcc
	v_cmp_gt_u32_e32 vcc, 62, v43
	v_add_u32_e32 v23, v23, v26
	v_add_u32_e32 v50, 8, v43
	v_cndmask_b32_e64 v26, 0, 1, vcc
	v_lshlrev_b32_e32 v26, 1, v26
	v_add_lshl_u32 v45, v26, v37, 2
	ds_bpermute_b32 v26, v45, v23
	v_cmp_le_u32_e32 vcc, v46, v17
	v_add_u32_e32 v52, 16, v43
	v_add_u32_e32 v54, 32, v43
	s_waitcnt lgkmcnt(0)
	v_cndmask_b32_e32 v26, 0, v26, vcc
	v_cmp_gt_u32_e32 vcc, 60, v43
	v_add_u32_e32 v23, v23, v26
	s_nop 0
	v_cndmask_b32_e64 v26, 0, 1, vcc
	v_lshlrev_b32_e32 v26, 2, v26
	v_add_lshl_u32 v47, v26, v37, 2
	ds_bpermute_b32 v26, v47, v23
	v_cmp_le_u32_e32 vcc, v48, v17
	s_waitcnt lgkmcnt(0)
	s_nop 0
	v_cndmask_b32_e32 v26, 0, v26, vcc
	v_cmp_gt_u32_e32 vcc, 56, v43
	v_add_u32_e32 v23, v23, v26
	s_nop 0
	v_cndmask_b32_e64 v26, 0, 1, vcc
	v_lshlrev_b32_e32 v26, 3, v26
	v_add_lshl_u32 v49, v26, v37, 2
	ds_bpermute_b32 v26, v49, v23
	v_cmp_le_u32_e32 vcc, v50, v17
	s_waitcnt lgkmcnt(0)
	s_nop 0
	;; [unrolled: 11-line block ×4, first 2 shown]
	v_cndmask_b32_e32 v17, 0, v26, vcc
	v_add_u32_e32 v26, v23, v17
	v_mov_b32_e32 v23, 0
	s_branch .LBB199_58
.LBB199_57:                             ;   in Loop: Header=BB199_58 Depth=1
	s_or_b64 exec, exec, s[38:39]
	v_cmp_eq_u16_sdwa s[38:39], v27, v42 src0_sel:BYTE_0 src1_sel:DWORD
	ds_bpermute_b32 v55, v44, v26
	v_subrev_u32_e32 v22, 64, v22
	v_and_b32_e32 v28, s39, v25
	v_or_b32_e32 v28, 0x80000000, v28
	v_and_b32_e32 v29, s38, v24
	v_ffbl_b32_e32 v28, v28
	v_add_u32_e32 v28, 32, v28
	v_ffbl_b32_e32 v29, v29
	v_min_u32_e32 v28, v29, v28
	v_cmp_lt_u32_e32 vcc, v43, v28
	s_waitcnt lgkmcnt(0)
	s_nop 0
	v_cndmask_b32_e32 v29, 0, v55, vcc
	v_add_u32_e32 v26, v29, v26
	ds_bpermute_b32 v29, v45, v26
	v_cmp_le_u32_e32 vcc, v46, v28
	s_waitcnt lgkmcnt(0)
	s_nop 0
	v_cndmask_b32_e32 v29, 0, v29, vcc
	v_add_u32_e32 v26, v26, v29
	ds_bpermute_b32 v29, v47, v26
	v_cmp_le_u32_e32 vcc, v48, v28
	;; [unrolled: 6-line block ×5, first 2 shown]
	s_waitcnt lgkmcnt(0)
	s_nop 0
	v_cndmask_b32_e32 v28, 0, v29, vcc
	v_add3_u32 v26, v28, v17, v26
.LBB199_58:                             ; =>This Loop Header: Depth=1
                                        ;     Child Loop BB199_61 Depth 2
                                        ;       Child Loop BB199_62 Depth 3
	v_cmp_ne_u16_sdwa s[38:39], v27, v42 src0_sel:BYTE_0 src1_sel:DWORD
	s_nop 1
	v_cndmask_b32_e64 v17, 0, 1, s[38:39]
	;;#ASMSTART
	;;#ASMEND
	s_nop 0
	v_cmp_ne_u32_e32 vcc, 0, v17
	s_cmp_lg_u64 vcc, exec
	v_mov_b32_e32 v17, v26
	s_cbranch_scc1 .LBB199_65
; %bb.59:                               ;   in Loop: Header=BB199_58 Depth=1
	v_lshl_add_u64 v[28:29], v[22:23], 3, s[36:37]
	global_load_dwordx2 v[26:27], v[28:29], off sc1
	s_waitcnt vmcnt(0)
	v_cmp_eq_u16_sdwa s[40:41], v27, v23 src0_sel:BYTE_0 src1_sel:DWORD
	s_and_saveexec_b64 s[38:39], s[40:41]
	s_cbranch_execz .LBB199_57
; %bb.60:                               ;   in Loop: Header=BB199_58 Depth=1
	s_mov_b32 s25, 1
	s_mov_b64 s[40:41], 0
.LBB199_61:                             ;   Parent Loop BB199_58 Depth=1
                                        ; =>  This Loop Header: Depth=2
                                        ;       Child Loop BB199_62 Depth 3
	s_max_u32 s43, s25, 1
.LBB199_62:                             ;   Parent Loop BB199_58 Depth=1
                                        ;     Parent Loop BB199_61 Depth=2
                                        ; =>    This Inner Loop Header: Depth=3
	s_add_i32 s43, s43, -1
	s_cmp_eq_u32 s43, 0
	s_sleep 1
	s_cbranch_scc0 .LBB199_62
; %bb.63:                               ;   in Loop: Header=BB199_61 Depth=2
	global_load_dwordx2 v[26:27], v[28:29], off sc1
	s_cmp_lt_u32 s25, 32
	s_cselect_b64 s[44:45], -1, 0
	s_cmp_lg_u64 s[44:45], 0
	s_addc_u32 s25, s25, 0
	s_waitcnt vmcnt(0)
	v_cmp_ne_u16_sdwa s[44:45], v27, v23 src0_sel:BYTE_0 src1_sel:DWORD
	s_or_b64 s[40:41], s[44:45], s[40:41]
	s_andn2_b64 exec, exec, s[40:41]
	s_cbranch_execnz .LBB199_61
; %bb.64:                               ;   in Loop: Header=BB199_58 Depth=1
	s_or_b64 exec, exec, s[40:41]
	s_branch .LBB199_57
.LBB199_65:                             ;   in Loop: Header=BB199_58 Depth=1
                                        ; implicit-def: $vgpr26
                                        ; implicit-def: $vgpr27
	s_cbranch_execz .LBB199_58
; %bb.66:
	s_and_saveexec_b64 s[38:39], s[16:17]
	s_cbranch_execz .LBB199_68
; %bb.67:
	s_add_i32 s40, s42, 64
	s_mov_b32 s41, 0
	s_lshl_b64 s[40:41], s[40:41], 3
	s_add_u32 s40, s36, s40
	v_add_u32_e32 v22, v17, v16
	v_mov_b32_e32 v23, 2
	s_addc_u32 s41, s37, s41
	v_mov_b32_e32 v24, 0
	global_store_dwordx2 v24, v[22:23], s[40:41] sc1
	ds_write_b64 v24, v[16:17] offset:28672
.LBB199_68:
	s_or_b64 exec, exec, s[38:39]
	s_and_b64 exec, exec, s[18:19]
	s_cbranch_execz .LBB199_70
; %bb.69:
	v_mov_b32_e32 v16, 0
	ds_write_b32 v16, v17 offset:28
.LBB199_70:
	s_or_b64 exec, exec, s[0:1]
	v_mov_b32_e32 v16, 0
	s_waitcnt lgkmcnt(0)
	s_barrier
	ds_read_b32 v17, v16 offset:28
	v_cndmask_b32_e64 v22, v41, v34, s[16:17]
	v_cndmask_b32_e64 v22, v22, 0, s[18:19]
	s_waitcnt lgkmcnt(0)
	s_barrier
	v_add_u32_e32 v28, v17, v22
	v_add_u32_e32 v27, v28, v36
	ds_read_b64 v[16:17], v16 offset:28672
	v_add_u32_e32 v26, v27, v35
	v_add_u32_e32 v24, v26, v33
	;; [unrolled: 1-line block ×5, first 2 shown]
	s_waitcnt lgkmcnt(0)
	v_mov_b32_e32 v34, v17
	s_branch .LBB199_81
.LBB199_71:
                                        ; implicit-def: $vgpr34
                                        ; implicit-def: $vgpr16
                                        ; implicit-def: $vgpr22
                                        ; implicit-def: $vgpr23
                                        ; implicit-def: $vgpr25
                                        ; implicit-def: $vgpr24
                                        ; implicit-def: $vgpr26
                                        ; implicit-def: $vgpr27
                                        ; implicit-def: $vgpr28
	s_cbranch_execz .LBB199_81
; %bb.72:
	s_nop 0
	v_mov_b32_dpp v16, v40 row_shr:1 row_mask:0xf bank_mask:0xf
	v_cndmask_b32_e64 v16, v16, 0, s[14:15]
	v_add_u32_e32 v16, v16, v40
	s_nop 1
	v_mov_b32_dpp v17, v16 row_shr:2 row_mask:0xf bank_mask:0xf
	v_cndmask_b32_e64 v17, 0, v17, s[12:13]
	v_add_u32_e32 v16, v16, v17
	;; [unrolled: 4-line block ×4, first 2 shown]
	s_nop 1
	v_mov_b32_dpp v17, v16 row_bcast:15 row_mask:0xf bank_mask:0xf
	v_cndmask_b32_e64 v17, v17, 0, s[6:7]
	v_add_u32_e32 v16, v16, v17
	s_nop 1
	v_mov_b32_dpp v17, v16 row_bcast:31 row_mask:0xf bank_mask:0xf
	v_cndmask_b32_e64 v17, 0, v17, s[2:3]
	v_add_u32_e32 v16, v16, v17
	s_and_saveexec_b64 s[0:1], s[4:5]
	s_cbranch_execz .LBB199_74
; %bb.73:
	v_lshlrev_b32_e32 v17, 2, v39
	ds_write_b32 v17, v16
.LBB199_74:
	s_or_b64 exec, exec, s[0:1]
	v_cmp_gt_u32_e32 vcc, 8, v0
	s_waitcnt lgkmcnt(0)
	s_barrier
	s_and_saveexec_b64 s[0:1], vcc
	s_cbranch_execz .LBB199_76
; %bb.75:
	v_mad_i32_i24 v17, v0, -3, v38
	ds_read_b32 v22, v17
	v_and_b32_e32 v23, 7, v37
	v_cmp_ne_u32_e32 vcc, 0, v23
	s_waitcnt lgkmcnt(0)
	v_mov_b32_dpp v24, v22 row_shr:1 row_mask:0xf bank_mask:0xf
	v_cndmask_b32_e32 v24, 0, v24, vcc
	v_add_u32_e32 v22, v24, v22
	v_cmp_lt_u32_e32 vcc, 1, v23
	s_nop 0
	v_mov_b32_dpp v24, v22 row_shr:2 row_mask:0xf bank_mask:0xf
	v_cndmask_b32_e32 v24, 0, v24, vcc
	v_add_u32_e32 v22, v22, v24
	v_cmp_lt_u32_e32 vcc, 3, v23
	s_nop 0
	v_mov_b32_dpp v24, v22 row_shr:4 row_mask:0xf bank_mask:0xf
	v_cndmask_b32_e32 v23, 0, v24, vcc
	v_add_u32_e32 v22, v22, v23
	ds_write_b32 v17, v22
.LBB199_76:
	s_or_b64 exec, exec, s[0:1]
	v_cmp_lt_u32_e32 vcc, 63, v0
	v_mov_b32_e32 v17, 0
	v_mov_b32_e32 v22, 0
	s_waitcnt lgkmcnt(0)
	s_barrier
	s_and_saveexec_b64 s[0:1], vcc
	s_cbranch_execz .LBB199_78
; %bb.77:
	v_lshl_add_u32 v22, v39, 2, -4
	ds_read_b32 v22, v22
.LBB199_78:
	s_or_b64 exec, exec, s[0:1]
	v_add_u32_e32 v23, -1, v37
	v_and_b32_e32 v24, 64, v37
	v_cmp_lt_i32_e32 vcc, v23, v24
	s_waitcnt lgkmcnt(0)
	v_add_u32_e32 v16, v22, v16
	v_cndmask_b32_e32 v23, v23, v37, vcc
	v_lshlrev_b32_e32 v23, 2, v23
	ds_bpermute_b32 v23, v23, v16
	ds_read_b32 v16, v17 offset:28
	s_and_saveexec_b64 s[0:1], s[18:19]
	s_cbranch_execz .LBB199_80
; %bb.79:
	v_mov_b32_e32 v24, 0
	v_mov_b32_e32 v17, 2
	s_waitcnt lgkmcnt(0)
	global_store_dwordx2 v24, v[16:17], s[36:37] offset:512 sc1
.LBB199_80:
	s_or_b64 exec, exec, s[0:1]
	v_cmp_eq_u32_e32 vcc, 0, v37
	v_mov_b32_e32 v34, 0
	s_waitcnt lgkmcnt(0)
	v_cndmask_b32_e32 v17, v23, v22, vcc
	v_cndmask_b32_e64 v28, v17, 0, s[18:19]
	v_add_u32_e32 v27, v28, v36
	v_add_u32_e32 v26, v27, v35
	;; [unrolled: 1-line block ×6, first 2 shown]
	s_barrier
.LBB199_81:
	v_add_u32_e32 v1, v16, v1
	v_sub_u32_e32 v17, v28, v34
	v_sub_u32_e32 v28, v1, v17
	v_cmp_eq_u32_e32 vcc, 1, v36
	s_add_u32 s0, s26, s24
	s_addc_u32 s1, s27, 0
	v_cndmask_b32_e32 v17, v28, v17, vcc
	v_lshlrev_b32_e32 v17, 3, v17
	ds_write_b64 v17, v[10:11]
	v_sub_u32_e32 v10, v27, v34
	v_sub_u32_e32 v11, v1, v10
	v_add_u32_e32 v11, 1, v11
	v_cmp_eq_u32_e32 vcc, 1, v35
	s_sub_u32 s0, s30, s0
	s_subb_u32 s1, s31, s1
	v_cndmask_b32_e32 v10, v11, v10, vcc
	v_lshlrev_b32_e32 v10, 3, v10
	ds_write_b64 v10, v[12:13]
	v_sub_u32_e32 v10, v26, v34
	v_sub_u32_e32 v11, v1, v10
	v_add_u32_e32 v11, 2, v11
	v_cmp_eq_u32_e32 vcc, 1, v33
	v_or_b32_e32 v28, 0x600, v0
	v_or_b32_e32 v26, 0x800, v0
	v_cndmask_b32_e32 v10, v11, v10, vcc
	v_lshlrev_b32_e32 v10, 3, v10
	ds_write_b64 v10, v[6:7]
	v_sub_u32_e32 v6, v24, v34
	v_sub_u32_e32 v7, v1, v6
	v_add_u32_e32 v7, 3, v7
	v_cmp_eq_u32_e32 vcc, 1, v32
	v_or_b32_e32 v32, 0x200, v0
	v_or_b32_e32 v24, 0xa00, v0
	v_cndmask_b32_e32 v6, v7, v6, vcc
	v_lshlrev_b32_e32 v6, 3, v6
	ds_write_b64 v6, v[8:9]
	v_sub_u32_e32 v6, v25, v34
	v_sub_u32_e32 v7, v1, v6
	v_add_u32_e32 v7, 4, v7
	v_cmp_eq_u32_e32 vcc, 1, v31
	s_nop 1
	v_cndmask_b32_e32 v6, v7, v6, vcc
	v_lshlrev_b32_e32 v6, 3, v6
	ds_write_b64 v6, v[2:3]
	v_sub_u32_e32 v2, v23, v34
	v_sub_u32_e32 v3, v1, v2
	v_add_u32_e32 v3, 5, v3
	v_cmp_eq_u32_e32 vcc, 1, v30
	v_or_b32_e32 v30, 0x400, v0
	s_nop 0
	v_cndmask_b32_e32 v2, v3, v2, vcc
	v_lshlrev_b32_e32 v2, 3, v2
	ds_write_b64 v2, v[4:5]
	v_sub_u32_e32 v2, v22, v34
	v_sub_u32_e32 v1, v1, v2
	v_add_u32_e32 v1, 6, v1
	v_cmp_eq_u32_e32 vcc, 1, v19
	v_or_b32_e32 v22, 0xc00, v0
	s_nop 0
	v_cndmask_b32_e32 v1, v1, v2, vcc
	v_lshlrev_b32_e32 v1, 3, v1
	ds_write_b64 v1, v[14:15]
	s_waitcnt lgkmcnt(0)
	s_barrier
	ds_read2st64_b64 v[10:13], v18 offset1:8
	ds_read2st64_b64 v[6:9], v18 offset0:16 offset1:24
	ds_read2st64_b64 v[2:5], v18 offset0:32 offset1:40
	ds_read_b64 v[18:19], v18 offset:24576
	v_mov_b32_e32 v1, 0
	v_mov_b32_e32 v35, v1
	;; [unrolled: 1-line block ×3, first 2 shown]
	s_waitcnt vmcnt(0)
	v_lshl_add_u64 v[14:15], v[20:21], 0, v[34:35]
	v_lshl_add_u64 v[20:21], s[0:1], 0, v[16:17]
	v_mov_b32_e32 v33, v1
	v_mov_b32_e32 v31, v1
	;; [unrolled: 1-line block ×6, first 2 shown]
	s_andn2_b64 vcc, exec, s[34:35]
	v_lshl_add_u64 v[20:21], v[20:21], 0, v[14:15]
	s_cbranch_vccnz .LBB199_114
; %bb.82:
	v_cmp_ge_u32_e32 vcc, v0, v16
                                        ; implicit-def: $vgpr34_vgpr35
	s_and_saveexec_b64 s[0:1], vcc
	s_xor_b64 s[0:1], exec, s[0:1]
; %bb.83:
	v_not_b32_e32 v34, v0
	v_ashrrev_i32_e32 v35, 31, v34
	v_lshl_add_u64 v[34:35], v[20:21], 0, v[34:35]
; %bb.84:
	s_andn2_saveexec_b64 s[0:1], s[0:1]
; %bb.85:
	v_lshl_add_u64 v[34:35], v[14:15], 0, v[0:1]
; %bb.86:
	s_or_b64 exec, exec, s[0:1]
	v_lshl_add_u64 v[34:35], v[34:35], 3, s[28:29]
	v_cmp_ge_u32_e32 vcc, v32, v16
	s_waitcnt lgkmcnt(3)
	global_store_dwordx2 v[34:35], v[10:11], off
                                        ; implicit-def: $vgpr34_vgpr35
	s_and_saveexec_b64 s[0:1], vcc
	s_xor_b64 s[0:1], exec, s[0:1]
; %bb.87:
	v_xor_b32_e32 v34, 0xfffffdff, v0
	v_ashrrev_i32_e32 v35, 31, v34
	v_lshl_add_u64 v[34:35], v[20:21], 0, v[34:35]
; %bb.88:
	s_andn2_saveexec_b64 s[0:1], s[0:1]
; %bb.89:
	v_lshl_add_u64 v[34:35], v[14:15], 0, v[32:33]
; %bb.90:
	s_or_b64 exec, exec, s[0:1]
	v_lshl_add_u64 v[34:35], v[34:35], 3, s[28:29]
	v_cmp_ge_u32_e32 vcc, v30, v16
	global_store_dwordx2 v[34:35], v[12:13], off
                                        ; implicit-def: $vgpr34_vgpr35
	s_and_saveexec_b64 s[0:1], vcc
	s_xor_b64 s[0:1], exec, s[0:1]
; %bb.91:
	v_xor_b32_e32 v34, 0xfffffbff, v0
	v_ashrrev_i32_e32 v35, 31, v34
	v_lshl_add_u64 v[34:35], v[20:21], 0, v[34:35]
; %bb.92:
	s_andn2_saveexec_b64 s[0:1], s[0:1]
; %bb.93:
	v_lshl_add_u64 v[34:35], v[14:15], 0, v[30:31]
; %bb.94:
	s_or_b64 exec, exec, s[0:1]
	v_lshl_add_u64 v[34:35], v[34:35], 3, s[28:29]
	v_cmp_ge_u32_e32 vcc, v28, v16
	s_waitcnt lgkmcnt(2)
	global_store_dwordx2 v[34:35], v[6:7], off
                                        ; implicit-def: $vgpr34_vgpr35
	s_and_saveexec_b64 s[0:1], vcc
	s_xor_b64 s[0:1], exec, s[0:1]
; %bb.95:
	v_xor_b32_e32 v34, 0xfffff9ff, v0
	v_ashrrev_i32_e32 v35, 31, v34
	v_lshl_add_u64 v[34:35], v[20:21], 0, v[34:35]
; %bb.96:
	s_andn2_saveexec_b64 s[0:1], s[0:1]
; %bb.97:
	v_lshl_add_u64 v[34:35], v[14:15], 0, v[28:29]
; %bb.98:
	s_or_b64 exec, exec, s[0:1]
	v_lshl_add_u64 v[34:35], v[34:35], 3, s[28:29]
	v_cmp_ge_u32_e32 vcc, v26, v16
	global_store_dwordx2 v[34:35], v[8:9], off
                                        ; implicit-def: $vgpr34_vgpr35
	s_and_saveexec_b64 s[0:1], vcc
	s_xor_b64 s[0:1], exec, s[0:1]
; %bb.99:
	v_xor_b32_e32 v34, 0xfffff7ff, v0
	;; [unrolled: 33-line block ×3, first 2 shown]
	v_ashrrev_i32_e32 v35, 31, v34
	v_lshl_add_u64 v[34:35], v[20:21], 0, v[34:35]
; %bb.108:
	s_andn2_saveexec_b64 s[0:1], s[0:1]
; %bb.109:
	v_lshl_add_u64 v[34:35], v[14:15], 0, v[22:23]
; %bb.110:
	s_or_b64 exec, exec, s[0:1]
	s_mov_b64 s[0:1], -1
.LBB199_111:
	s_and_saveexec_b64 s[2:3], s[0:1]
	s_cbranch_execz .LBB199_158
.LBB199_112:
	v_lshl_add_u64 v[0:1], v[34:35], 3, s[28:29]
	s_waitcnt lgkmcnt(0)
	global_store_dwordx2 v[0:1], v[18:19], off
	s_or_b64 exec, exec, s[2:3]
	s_and_b64 s[0:1], s[18:19], s[22:23]
	s_and_saveexec_b64 s[2:3], s[0:1]
	s_cbranch_execnz .LBB199_159
.LBB199_113:
	s_endpgm
.LBB199_114:
	s_mov_b64 s[0:1], 0
                                        ; implicit-def: $vgpr34_vgpr35
	s_cbranch_execz .LBB199_111
; %bb.115:
	v_cmp_gt_u32_e32 vcc, s33, v0
	s_and_saveexec_b64 s[2:3], vcc
	s_cbranch_execz .LBB199_133
; %bb.116:
	v_cmp_ge_u32_e32 vcc, v0, v16
                                        ; implicit-def: $vgpr34_vgpr35
	s_and_saveexec_b64 s[4:5], vcc
	s_xor_b64 s[4:5], exec, s[4:5]
; %bb.117:
	v_not_b32_e32 v34, v0
	v_ashrrev_i32_e32 v35, 31, v34
	v_lshl_add_u64 v[34:35], v[20:21], 0, v[34:35]
; %bb.118:
	s_andn2_saveexec_b64 s[4:5], s[4:5]
; %bb.119:
	v_lshl_add_u64 v[34:35], v[14:15], 0, v[0:1]
; %bb.120:
	s_or_b64 exec, exec, s[4:5]
	v_lshl_add_u64 v[34:35], v[34:35], 3, s[28:29]
	s_waitcnt lgkmcnt(3)
	global_store_dwordx2 v[34:35], v[10:11], off
	s_or_b64 exec, exec, s[2:3]
	v_cmp_gt_u32_e32 vcc, s33, v32
	s_and_saveexec_b64 s[2:3], vcc
	s_cbranch_execnz .LBB199_134
.LBB199_121:
	s_or_b64 exec, exec, s[2:3]
	v_cmp_gt_u32_e32 vcc, s33, v30
	s_and_saveexec_b64 s[2:3], vcc
	s_cbranch_execz .LBB199_139
.LBB199_122:
	v_cmp_ge_u32_e32 vcc, v30, v16
                                        ; implicit-def: $vgpr10_vgpr11
	s_and_saveexec_b64 s[4:5], vcc
	s_xor_b64 s[4:5], exec, s[4:5]
	s_cbranch_execz .LBB199_124
; %bb.123:
	s_waitcnt lgkmcnt(3)
	v_xor_b32_e32 v10, 0xfffffbff, v0
	v_ashrrev_i32_e32 v11, 31, v10
	v_lshl_add_u64 v[10:11], v[20:21], 0, v[10:11]
                                        ; implicit-def: $vgpr30_vgpr31
.LBB199_124:
	s_andn2_saveexec_b64 s[4:5], s[4:5]
	s_cbranch_execz .LBB199_126
; %bb.125:
	s_waitcnt lgkmcnt(3)
	v_lshl_add_u64 v[10:11], v[14:15], 0, v[30:31]
.LBB199_126:
	s_or_b64 exec, exec, s[4:5]
	s_waitcnt lgkmcnt(3)
	v_lshl_add_u64 v[10:11], v[10:11], 3, s[28:29]
	s_waitcnt lgkmcnt(2)
	global_store_dwordx2 v[10:11], v[6:7], off
	s_or_b64 exec, exec, s[2:3]
	v_cmp_gt_u32_e32 vcc, s33, v28
	s_and_saveexec_b64 s[2:3], vcc
	s_cbranch_execnz .LBB199_140
.LBB199_127:
	s_or_b64 exec, exec, s[2:3]
	v_cmp_gt_u32_e32 vcc, s33, v26
	s_and_saveexec_b64 s[2:3], vcc
	s_cbranch_execz .LBB199_145
.LBB199_128:
	v_cmp_ge_u32_e32 vcc, v26, v16
                                        ; implicit-def: $vgpr6_vgpr7
	s_and_saveexec_b64 s[4:5], vcc
	s_xor_b64 s[4:5], exec, s[4:5]
	s_cbranch_execz .LBB199_130
; %bb.129:
	s_waitcnt lgkmcnt(2)
	v_xor_b32_e32 v6, 0xfffff7ff, v0
	v_ashrrev_i32_e32 v7, 31, v6
	v_lshl_add_u64 v[6:7], v[20:21], 0, v[6:7]
                                        ; implicit-def: $vgpr26_vgpr27
.LBB199_130:
	s_andn2_saveexec_b64 s[4:5], s[4:5]
	s_cbranch_execz .LBB199_132
; %bb.131:
	s_waitcnt lgkmcnt(2)
	v_lshl_add_u64 v[6:7], v[14:15], 0, v[26:27]
.LBB199_132:
	s_or_b64 exec, exec, s[4:5]
	s_waitcnt lgkmcnt(2)
	v_lshl_add_u64 v[6:7], v[6:7], 3, s[28:29]
	s_waitcnt lgkmcnt(1)
	global_store_dwordx2 v[6:7], v[2:3], off
	s_or_b64 exec, exec, s[2:3]
	v_cmp_gt_u32_e32 vcc, s33, v24
	s_and_saveexec_b64 s[2:3], vcc
	s_cbranch_execz .LBB199_151
	s_branch .LBB199_146
.LBB199_133:
	s_or_b64 exec, exec, s[2:3]
	v_cmp_gt_u32_e32 vcc, s33, v32
	s_and_saveexec_b64 s[2:3], vcc
	s_cbranch_execz .LBB199_121
.LBB199_134:
	v_cmp_ge_u32_e32 vcc, v32, v16
                                        ; implicit-def: $vgpr10_vgpr11
	s_and_saveexec_b64 s[4:5], vcc
	s_xor_b64 s[4:5], exec, s[4:5]
	s_cbranch_execz .LBB199_136
; %bb.135:
	s_waitcnt lgkmcnt(3)
	v_xor_b32_e32 v10, 0xfffffdff, v0
	v_ashrrev_i32_e32 v11, 31, v10
	v_lshl_add_u64 v[10:11], v[20:21], 0, v[10:11]
                                        ; implicit-def: $vgpr32_vgpr33
.LBB199_136:
	s_andn2_saveexec_b64 s[4:5], s[4:5]
	s_cbranch_execz .LBB199_138
; %bb.137:
	s_waitcnt lgkmcnt(3)
	v_lshl_add_u64 v[10:11], v[14:15], 0, v[32:33]
.LBB199_138:
	s_or_b64 exec, exec, s[4:5]
	s_waitcnt lgkmcnt(3)
	v_lshl_add_u64 v[10:11], v[10:11], 3, s[28:29]
	global_store_dwordx2 v[10:11], v[12:13], off
	s_or_b64 exec, exec, s[2:3]
	v_cmp_gt_u32_e32 vcc, s33, v30
	s_and_saveexec_b64 s[2:3], vcc
	s_cbranch_execnz .LBB199_122
.LBB199_139:
	s_or_b64 exec, exec, s[2:3]
	v_cmp_gt_u32_e32 vcc, s33, v28
	s_and_saveexec_b64 s[2:3], vcc
	s_cbranch_execz .LBB199_127
.LBB199_140:
	v_cmp_ge_u32_e32 vcc, v28, v16
                                        ; implicit-def: $vgpr6_vgpr7
	s_and_saveexec_b64 s[4:5], vcc
	s_xor_b64 s[4:5], exec, s[4:5]
	s_cbranch_execz .LBB199_142
; %bb.141:
	s_waitcnt lgkmcnt(2)
	v_xor_b32_e32 v6, 0xfffff9ff, v0
	v_ashrrev_i32_e32 v7, 31, v6
	v_lshl_add_u64 v[6:7], v[20:21], 0, v[6:7]
                                        ; implicit-def: $vgpr28_vgpr29
.LBB199_142:
	s_andn2_saveexec_b64 s[4:5], s[4:5]
	s_cbranch_execz .LBB199_144
; %bb.143:
	s_waitcnt lgkmcnt(2)
	v_lshl_add_u64 v[6:7], v[14:15], 0, v[28:29]
.LBB199_144:
	s_or_b64 exec, exec, s[4:5]
	s_waitcnt lgkmcnt(2)
	v_lshl_add_u64 v[6:7], v[6:7], 3, s[28:29]
	global_store_dwordx2 v[6:7], v[8:9], off
	s_or_b64 exec, exec, s[2:3]
	v_cmp_gt_u32_e32 vcc, s33, v26
	s_and_saveexec_b64 s[2:3], vcc
	s_cbranch_execnz .LBB199_128
.LBB199_145:
	s_or_b64 exec, exec, s[2:3]
	v_cmp_gt_u32_e32 vcc, s33, v24
	s_and_saveexec_b64 s[2:3], vcc
	s_cbranch_execz .LBB199_151
.LBB199_146:
	v_cmp_ge_u32_e32 vcc, v24, v16
                                        ; implicit-def: $vgpr2_vgpr3
	s_and_saveexec_b64 s[4:5], vcc
	s_xor_b64 s[4:5], exec, s[4:5]
	s_cbranch_execz .LBB199_148
; %bb.147:
	s_waitcnt lgkmcnt(1)
	v_xor_b32_e32 v2, 0xfffff5ff, v0
	v_ashrrev_i32_e32 v3, 31, v2
	v_lshl_add_u64 v[2:3], v[20:21], 0, v[2:3]
                                        ; implicit-def: $vgpr24_vgpr25
.LBB199_148:
	s_andn2_saveexec_b64 s[4:5], s[4:5]
	s_cbranch_execz .LBB199_150
; %bb.149:
	s_waitcnt lgkmcnt(1)
	v_lshl_add_u64 v[2:3], v[14:15], 0, v[24:25]
.LBB199_150:
	s_or_b64 exec, exec, s[4:5]
	s_waitcnt lgkmcnt(1)
	v_lshl_add_u64 v[2:3], v[2:3], 3, s[28:29]
	global_store_dwordx2 v[2:3], v[4:5], off
.LBB199_151:
	s_or_b64 exec, exec, s[2:3]
	v_cmp_gt_u32_e32 vcc, s33, v22
                                        ; implicit-def: $vgpr34_vgpr35
	s_and_saveexec_b64 s[2:3], vcc
	s_cbranch_execz .LBB199_157
; %bb.152:
	v_cmp_ge_u32_e32 vcc, v22, v16
                                        ; implicit-def: $vgpr34_vgpr35
	s_and_saveexec_b64 s[4:5], vcc
	s_xor_b64 s[4:5], exec, s[4:5]
; %bb.153:
	v_xor_b32_e32 v0, 0xfffff3ff, v0
	v_ashrrev_i32_e32 v1, 31, v0
	v_lshl_add_u64 v[34:35], v[20:21], 0, v[0:1]
                                        ; implicit-def: $vgpr22_vgpr23
; %bb.154:
	s_andn2_saveexec_b64 s[4:5], s[4:5]
; %bb.155:
	v_lshl_add_u64 v[34:35], v[14:15], 0, v[22:23]
; %bb.156:
	s_or_b64 exec, exec, s[4:5]
	s_or_b64 s[0:1], s[0:1], exec
.LBB199_157:
	s_or_b64 exec, exec, s[2:3]
	s_and_saveexec_b64 s[2:3], s[0:1]
	s_cbranch_execnz .LBB199_112
.LBB199_158:
	s_or_b64 exec, exec, s[2:3]
	s_and_b64 s[0:1], s[18:19], s[22:23]
	s_and_saveexec_b64 s[2:3], s[0:1]
	s_cbranch_execz .LBB199_113
.LBB199_159:
	s_waitcnt lgkmcnt(1)
	v_mov_b32_e32 v2, 0
	v_lshl_add_u64 v[0:1], v[14:15], 0, v[16:17]
	global_store_dwordx2 v2, v[0:1], s[20:21]
	s_endpgm
	.section	.rodata,"a",@progbits
	.p2align	6, 0x0
	.amdhsa_kernel _ZN7rocprim17ROCPRIM_400000_NS6detail17trampoline_kernelINS0_14default_configENS1_25partition_config_selectorILNS1_17partition_subalgoE2ExNS0_10empty_typeEbEEZZNS1_14partition_implILS5_2ELb0ES3_jN6thrust23THRUST_200600_302600_NS6detail15normal_iteratorINSA_7pointerIxNSA_11hip_rocprim3tagENSA_11use_defaultESG_EEEEPS6_NSA_18transform_iteratorI7is_evenIxENSC_INSA_10device_ptrIxEEEESG_SG_EENS0_5tupleIJPxSJ_EEENSR_IJSJ_SJ_EEES6_PlJS6_EEE10hipError_tPvRmT3_T4_T5_T6_T7_T9_mT8_P12ihipStream_tbDpT10_ENKUlT_T0_E_clISt17integral_constantIbLb1EES1F_EEDaS1A_S1B_EUlS1A_E_NS1_11comp_targetILNS1_3genE5ELNS1_11target_archE942ELNS1_3gpuE9ELNS1_3repE0EEENS1_30default_config_static_selectorELNS0_4arch9wavefront6targetE1EEEvT1_
		.amdhsa_group_segment_fixed_size 28680
		.amdhsa_private_segment_fixed_size 0
		.amdhsa_kernarg_size 144
		.amdhsa_user_sgpr_count 2
		.amdhsa_user_sgpr_dispatch_ptr 0
		.amdhsa_user_sgpr_queue_ptr 0
		.amdhsa_user_sgpr_kernarg_segment_ptr 1
		.amdhsa_user_sgpr_dispatch_id 0
		.amdhsa_user_sgpr_kernarg_preload_length 0
		.amdhsa_user_sgpr_kernarg_preload_offset 0
		.amdhsa_user_sgpr_private_segment_size 0
		.amdhsa_uses_dynamic_stack 0
		.amdhsa_enable_private_segment 0
		.amdhsa_system_sgpr_workgroup_id_x 1
		.amdhsa_system_sgpr_workgroup_id_y 0
		.amdhsa_system_sgpr_workgroup_id_z 0
		.amdhsa_system_sgpr_workgroup_info 0
		.amdhsa_system_vgpr_workitem_id 0
		.amdhsa_next_free_vgpr 56
		.amdhsa_next_free_sgpr 46
		.amdhsa_accum_offset 56
		.amdhsa_reserve_vcc 1
		.amdhsa_float_round_mode_32 0
		.amdhsa_float_round_mode_16_64 0
		.amdhsa_float_denorm_mode_32 3
		.amdhsa_float_denorm_mode_16_64 3
		.amdhsa_dx10_clamp 1
		.amdhsa_ieee_mode 1
		.amdhsa_fp16_overflow 0
		.amdhsa_tg_split 0
		.amdhsa_exception_fp_ieee_invalid_op 0
		.amdhsa_exception_fp_denorm_src 0
		.amdhsa_exception_fp_ieee_div_zero 0
		.amdhsa_exception_fp_ieee_overflow 0
		.amdhsa_exception_fp_ieee_underflow 0
		.amdhsa_exception_fp_ieee_inexact 0
		.amdhsa_exception_int_div_zero 0
	.end_amdhsa_kernel
	.section	.text._ZN7rocprim17ROCPRIM_400000_NS6detail17trampoline_kernelINS0_14default_configENS1_25partition_config_selectorILNS1_17partition_subalgoE2ExNS0_10empty_typeEbEEZZNS1_14partition_implILS5_2ELb0ES3_jN6thrust23THRUST_200600_302600_NS6detail15normal_iteratorINSA_7pointerIxNSA_11hip_rocprim3tagENSA_11use_defaultESG_EEEEPS6_NSA_18transform_iteratorI7is_evenIxENSC_INSA_10device_ptrIxEEEESG_SG_EENS0_5tupleIJPxSJ_EEENSR_IJSJ_SJ_EEES6_PlJS6_EEE10hipError_tPvRmT3_T4_T5_T6_T7_T9_mT8_P12ihipStream_tbDpT10_ENKUlT_T0_E_clISt17integral_constantIbLb1EES1F_EEDaS1A_S1B_EUlS1A_E_NS1_11comp_targetILNS1_3genE5ELNS1_11target_archE942ELNS1_3gpuE9ELNS1_3repE0EEENS1_30default_config_static_selectorELNS0_4arch9wavefront6targetE1EEEvT1_,"axG",@progbits,_ZN7rocprim17ROCPRIM_400000_NS6detail17trampoline_kernelINS0_14default_configENS1_25partition_config_selectorILNS1_17partition_subalgoE2ExNS0_10empty_typeEbEEZZNS1_14partition_implILS5_2ELb0ES3_jN6thrust23THRUST_200600_302600_NS6detail15normal_iteratorINSA_7pointerIxNSA_11hip_rocprim3tagENSA_11use_defaultESG_EEEEPS6_NSA_18transform_iteratorI7is_evenIxENSC_INSA_10device_ptrIxEEEESG_SG_EENS0_5tupleIJPxSJ_EEENSR_IJSJ_SJ_EEES6_PlJS6_EEE10hipError_tPvRmT3_T4_T5_T6_T7_T9_mT8_P12ihipStream_tbDpT10_ENKUlT_T0_E_clISt17integral_constantIbLb1EES1F_EEDaS1A_S1B_EUlS1A_E_NS1_11comp_targetILNS1_3genE5ELNS1_11target_archE942ELNS1_3gpuE9ELNS1_3repE0EEENS1_30default_config_static_selectorELNS0_4arch9wavefront6targetE1EEEvT1_,comdat
.Lfunc_end199:
	.size	_ZN7rocprim17ROCPRIM_400000_NS6detail17trampoline_kernelINS0_14default_configENS1_25partition_config_selectorILNS1_17partition_subalgoE2ExNS0_10empty_typeEbEEZZNS1_14partition_implILS5_2ELb0ES3_jN6thrust23THRUST_200600_302600_NS6detail15normal_iteratorINSA_7pointerIxNSA_11hip_rocprim3tagENSA_11use_defaultESG_EEEEPS6_NSA_18transform_iteratorI7is_evenIxENSC_INSA_10device_ptrIxEEEESG_SG_EENS0_5tupleIJPxSJ_EEENSR_IJSJ_SJ_EEES6_PlJS6_EEE10hipError_tPvRmT3_T4_T5_T6_T7_T9_mT8_P12ihipStream_tbDpT10_ENKUlT_T0_E_clISt17integral_constantIbLb1EES1F_EEDaS1A_S1B_EUlS1A_E_NS1_11comp_targetILNS1_3genE5ELNS1_11target_archE942ELNS1_3gpuE9ELNS1_3repE0EEENS1_30default_config_static_selectorELNS0_4arch9wavefront6targetE1EEEvT1_, .Lfunc_end199-_ZN7rocprim17ROCPRIM_400000_NS6detail17trampoline_kernelINS0_14default_configENS1_25partition_config_selectorILNS1_17partition_subalgoE2ExNS0_10empty_typeEbEEZZNS1_14partition_implILS5_2ELb0ES3_jN6thrust23THRUST_200600_302600_NS6detail15normal_iteratorINSA_7pointerIxNSA_11hip_rocprim3tagENSA_11use_defaultESG_EEEEPS6_NSA_18transform_iteratorI7is_evenIxENSC_INSA_10device_ptrIxEEEESG_SG_EENS0_5tupleIJPxSJ_EEENSR_IJSJ_SJ_EEES6_PlJS6_EEE10hipError_tPvRmT3_T4_T5_T6_T7_T9_mT8_P12ihipStream_tbDpT10_ENKUlT_T0_E_clISt17integral_constantIbLb1EES1F_EEDaS1A_S1B_EUlS1A_E_NS1_11comp_targetILNS1_3genE5ELNS1_11target_archE942ELNS1_3gpuE9ELNS1_3repE0EEENS1_30default_config_static_selectorELNS0_4arch9wavefront6targetE1EEEvT1_
                                        ; -- End function
	.section	.AMDGPU.csdata,"",@progbits
; Kernel info:
; codeLenInByte = 5684
; NumSgprs: 52
; NumVgprs: 56
; NumAgprs: 0
; TotalNumVgprs: 56
; ScratchSize: 0
; MemoryBound: 0
; FloatMode: 240
; IeeeMode: 1
; LDSByteSize: 28680 bytes/workgroup (compile time only)
; SGPRBlocks: 6
; VGPRBlocks: 6
; NumSGPRsForWavesPerEU: 52
; NumVGPRsForWavesPerEU: 56
; AccumOffset: 56
; Occupancy: 4
; WaveLimiterHint : 1
; COMPUTE_PGM_RSRC2:SCRATCH_EN: 0
; COMPUTE_PGM_RSRC2:USER_SGPR: 2
; COMPUTE_PGM_RSRC2:TRAP_HANDLER: 0
; COMPUTE_PGM_RSRC2:TGID_X_EN: 1
; COMPUTE_PGM_RSRC2:TGID_Y_EN: 0
; COMPUTE_PGM_RSRC2:TGID_Z_EN: 0
; COMPUTE_PGM_RSRC2:TIDIG_COMP_CNT: 0
; COMPUTE_PGM_RSRC3_GFX90A:ACCUM_OFFSET: 13
; COMPUTE_PGM_RSRC3_GFX90A:TG_SPLIT: 0
	.section	.text._ZN7rocprim17ROCPRIM_400000_NS6detail17trampoline_kernelINS0_14default_configENS1_25partition_config_selectorILNS1_17partition_subalgoE2ExNS0_10empty_typeEbEEZZNS1_14partition_implILS5_2ELb0ES3_jN6thrust23THRUST_200600_302600_NS6detail15normal_iteratorINSA_7pointerIxNSA_11hip_rocprim3tagENSA_11use_defaultESG_EEEEPS6_NSA_18transform_iteratorI7is_evenIxENSC_INSA_10device_ptrIxEEEESG_SG_EENS0_5tupleIJPxSJ_EEENSR_IJSJ_SJ_EEES6_PlJS6_EEE10hipError_tPvRmT3_T4_T5_T6_T7_T9_mT8_P12ihipStream_tbDpT10_ENKUlT_T0_E_clISt17integral_constantIbLb1EES1F_EEDaS1A_S1B_EUlS1A_E_NS1_11comp_targetILNS1_3genE4ELNS1_11target_archE910ELNS1_3gpuE8ELNS1_3repE0EEENS1_30default_config_static_selectorELNS0_4arch9wavefront6targetE1EEEvT1_,"axG",@progbits,_ZN7rocprim17ROCPRIM_400000_NS6detail17trampoline_kernelINS0_14default_configENS1_25partition_config_selectorILNS1_17partition_subalgoE2ExNS0_10empty_typeEbEEZZNS1_14partition_implILS5_2ELb0ES3_jN6thrust23THRUST_200600_302600_NS6detail15normal_iteratorINSA_7pointerIxNSA_11hip_rocprim3tagENSA_11use_defaultESG_EEEEPS6_NSA_18transform_iteratorI7is_evenIxENSC_INSA_10device_ptrIxEEEESG_SG_EENS0_5tupleIJPxSJ_EEENSR_IJSJ_SJ_EEES6_PlJS6_EEE10hipError_tPvRmT3_T4_T5_T6_T7_T9_mT8_P12ihipStream_tbDpT10_ENKUlT_T0_E_clISt17integral_constantIbLb1EES1F_EEDaS1A_S1B_EUlS1A_E_NS1_11comp_targetILNS1_3genE4ELNS1_11target_archE910ELNS1_3gpuE8ELNS1_3repE0EEENS1_30default_config_static_selectorELNS0_4arch9wavefront6targetE1EEEvT1_,comdat
	.protected	_ZN7rocprim17ROCPRIM_400000_NS6detail17trampoline_kernelINS0_14default_configENS1_25partition_config_selectorILNS1_17partition_subalgoE2ExNS0_10empty_typeEbEEZZNS1_14partition_implILS5_2ELb0ES3_jN6thrust23THRUST_200600_302600_NS6detail15normal_iteratorINSA_7pointerIxNSA_11hip_rocprim3tagENSA_11use_defaultESG_EEEEPS6_NSA_18transform_iteratorI7is_evenIxENSC_INSA_10device_ptrIxEEEESG_SG_EENS0_5tupleIJPxSJ_EEENSR_IJSJ_SJ_EEES6_PlJS6_EEE10hipError_tPvRmT3_T4_T5_T6_T7_T9_mT8_P12ihipStream_tbDpT10_ENKUlT_T0_E_clISt17integral_constantIbLb1EES1F_EEDaS1A_S1B_EUlS1A_E_NS1_11comp_targetILNS1_3genE4ELNS1_11target_archE910ELNS1_3gpuE8ELNS1_3repE0EEENS1_30default_config_static_selectorELNS0_4arch9wavefront6targetE1EEEvT1_ ; -- Begin function _ZN7rocprim17ROCPRIM_400000_NS6detail17trampoline_kernelINS0_14default_configENS1_25partition_config_selectorILNS1_17partition_subalgoE2ExNS0_10empty_typeEbEEZZNS1_14partition_implILS5_2ELb0ES3_jN6thrust23THRUST_200600_302600_NS6detail15normal_iteratorINSA_7pointerIxNSA_11hip_rocprim3tagENSA_11use_defaultESG_EEEEPS6_NSA_18transform_iteratorI7is_evenIxENSC_INSA_10device_ptrIxEEEESG_SG_EENS0_5tupleIJPxSJ_EEENSR_IJSJ_SJ_EEES6_PlJS6_EEE10hipError_tPvRmT3_T4_T5_T6_T7_T9_mT8_P12ihipStream_tbDpT10_ENKUlT_T0_E_clISt17integral_constantIbLb1EES1F_EEDaS1A_S1B_EUlS1A_E_NS1_11comp_targetILNS1_3genE4ELNS1_11target_archE910ELNS1_3gpuE8ELNS1_3repE0EEENS1_30default_config_static_selectorELNS0_4arch9wavefront6targetE1EEEvT1_
	.globl	_ZN7rocprim17ROCPRIM_400000_NS6detail17trampoline_kernelINS0_14default_configENS1_25partition_config_selectorILNS1_17partition_subalgoE2ExNS0_10empty_typeEbEEZZNS1_14partition_implILS5_2ELb0ES3_jN6thrust23THRUST_200600_302600_NS6detail15normal_iteratorINSA_7pointerIxNSA_11hip_rocprim3tagENSA_11use_defaultESG_EEEEPS6_NSA_18transform_iteratorI7is_evenIxENSC_INSA_10device_ptrIxEEEESG_SG_EENS0_5tupleIJPxSJ_EEENSR_IJSJ_SJ_EEES6_PlJS6_EEE10hipError_tPvRmT3_T4_T5_T6_T7_T9_mT8_P12ihipStream_tbDpT10_ENKUlT_T0_E_clISt17integral_constantIbLb1EES1F_EEDaS1A_S1B_EUlS1A_E_NS1_11comp_targetILNS1_3genE4ELNS1_11target_archE910ELNS1_3gpuE8ELNS1_3repE0EEENS1_30default_config_static_selectorELNS0_4arch9wavefront6targetE1EEEvT1_
	.p2align	8
	.type	_ZN7rocprim17ROCPRIM_400000_NS6detail17trampoline_kernelINS0_14default_configENS1_25partition_config_selectorILNS1_17partition_subalgoE2ExNS0_10empty_typeEbEEZZNS1_14partition_implILS5_2ELb0ES3_jN6thrust23THRUST_200600_302600_NS6detail15normal_iteratorINSA_7pointerIxNSA_11hip_rocprim3tagENSA_11use_defaultESG_EEEEPS6_NSA_18transform_iteratorI7is_evenIxENSC_INSA_10device_ptrIxEEEESG_SG_EENS0_5tupleIJPxSJ_EEENSR_IJSJ_SJ_EEES6_PlJS6_EEE10hipError_tPvRmT3_T4_T5_T6_T7_T9_mT8_P12ihipStream_tbDpT10_ENKUlT_T0_E_clISt17integral_constantIbLb1EES1F_EEDaS1A_S1B_EUlS1A_E_NS1_11comp_targetILNS1_3genE4ELNS1_11target_archE910ELNS1_3gpuE8ELNS1_3repE0EEENS1_30default_config_static_selectorELNS0_4arch9wavefront6targetE1EEEvT1_,@function
_ZN7rocprim17ROCPRIM_400000_NS6detail17trampoline_kernelINS0_14default_configENS1_25partition_config_selectorILNS1_17partition_subalgoE2ExNS0_10empty_typeEbEEZZNS1_14partition_implILS5_2ELb0ES3_jN6thrust23THRUST_200600_302600_NS6detail15normal_iteratorINSA_7pointerIxNSA_11hip_rocprim3tagENSA_11use_defaultESG_EEEEPS6_NSA_18transform_iteratorI7is_evenIxENSC_INSA_10device_ptrIxEEEESG_SG_EENS0_5tupleIJPxSJ_EEENSR_IJSJ_SJ_EEES6_PlJS6_EEE10hipError_tPvRmT3_T4_T5_T6_T7_T9_mT8_P12ihipStream_tbDpT10_ENKUlT_T0_E_clISt17integral_constantIbLb1EES1F_EEDaS1A_S1B_EUlS1A_E_NS1_11comp_targetILNS1_3genE4ELNS1_11target_archE910ELNS1_3gpuE8ELNS1_3repE0EEENS1_30default_config_static_selectorELNS0_4arch9wavefront6targetE1EEEvT1_: ; @_ZN7rocprim17ROCPRIM_400000_NS6detail17trampoline_kernelINS0_14default_configENS1_25partition_config_selectorILNS1_17partition_subalgoE2ExNS0_10empty_typeEbEEZZNS1_14partition_implILS5_2ELb0ES3_jN6thrust23THRUST_200600_302600_NS6detail15normal_iteratorINSA_7pointerIxNSA_11hip_rocprim3tagENSA_11use_defaultESG_EEEEPS6_NSA_18transform_iteratorI7is_evenIxENSC_INSA_10device_ptrIxEEEESG_SG_EENS0_5tupleIJPxSJ_EEENSR_IJSJ_SJ_EEES6_PlJS6_EEE10hipError_tPvRmT3_T4_T5_T6_T7_T9_mT8_P12ihipStream_tbDpT10_ENKUlT_T0_E_clISt17integral_constantIbLb1EES1F_EEDaS1A_S1B_EUlS1A_E_NS1_11comp_targetILNS1_3genE4ELNS1_11target_archE910ELNS1_3gpuE8ELNS1_3repE0EEENS1_30default_config_static_selectorELNS0_4arch9wavefront6targetE1EEEvT1_
; %bb.0:
	.section	.rodata,"a",@progbits
	.p2align	6, 0x0
	.amdhsa_kernel _ZN7rocprim17ROCPRIM_400000_NS6detail17trampoline_kernelINS0_14default_configENS1_25partition_config_selectorILNS1_17partition_subalgoE2ExNS0_10empty_typeEbEEZZNS1_14partition_implILS5_2ELb0ES3_jN6thrust23THRUST_200600_302600_NS6detail15normal_iteratorINSA_7pointerIxNSA_11hip_rocprim3tagENSA_11use_defaultESG_EEEEPS6_NSA_18transform_iteratorI7is_evenIxENSC_INSA_10device_ptrIxEEEESG_SG_EENS0_5tupleIJPxSJ_EEENSR_IJSJ_SJ_EEES6_PlJS6_EEE10hipError_tPvRmT3_T4_T5_T6_T7_T9_mT8_P12ihipStream_tbDpT10_ENKUlT_T0_E_clISt17integral_constantIbLb1EES1F_EEDaS1A_S1B_EUlS1A_E_NS1_11comp_targetILNS1_3genE4ELNS1_11target_archE910ELNS1_3gpuE8ELNS1_3repE0EEENS1_30default_config_static_selectorELNS0_4arch9wavefront6targetE1EEEvT1_
		.amdhsa_group_segment_fixed_size 0
		.amdhsa_private_segment_fixed_size 0
		.amdhsa_kernarg_size 144
		.amdhsa_user_sgpr_count 2
		.amdhsa_user_sgpr_dispatch_ptr 0
		.amdhsa_user_sgpr_queue_ptr 0
		.amdhsa_user_sgpr_kernarg_segment_ptr 1
		.amdhsa_user_sgpr_dispatch_id 0
		.amdhsa_user_sgpr_kernarg_preload_length 0
		.amdhsa_user_sgpr_kernarg_preload_offset 0
		.amdhsa_user_sgpr_private_segment_size 0
		.amdhsa_uses_dynamic_stack 0
		.amdhsa_enable_private_segment 0
		.amdhsa_system_sgpr_workgroup_id_x 1
		.amdhsa_system_sgpr_workgroup_id_y 0
		.amdhsa_system_sgpr_workgroup_id_z 0
		.amdhsa_system_sgpr_workgroup_info 0
		.amdhsa_system_vgpr_workitem_id 0
		.amdhsa_next_free_vgpr 1
		.amdhsa_next_free_sgpr 0
		.amdhsa_accum_offset 4
		.amdhsa_reserve_vcc 0
		.amdhsa_float_round_mode_32 0
		.amdhsa_float_round_mode_16_64 0
		.amdhsa_float_denorm_mode_32 3
		.amdhsa_float_denorm_mode_16_64 3
		.amdhsa_dx10_clamp 1
		.amdhsa_ieee_mode 1
		.amdhsa_fp16_overflow 0
		.amdhsa_tg_split 0
		.amdhsa_exception_fp_ieee_invalid_op 0
		.amdhsa_exception_fp_denorm_src 0
		.amdhsa_exception_fp_ieee_div_zero 0
		.amdhsa_exception_fp_ieee_overflow 0
		.amdhsa_exception_fp_ieee_underflow 0
		.amdhsa_exception_fp_ieee_inexact 0
		.amdhsa_exception_int_div_zero 0
	.end_amdhsa_kernel
	.section	.text._ZN7rocprim17ROCPRIM_400000_NS6detail17trampoline_kernelINS0_14default_configENS1_25partition_config_selectorILNS1_17partition_subalgoE2ExNS0_10empty_typeEbEEZZNS1_14partition_implILS5_2ELb0ES3_jN6thrust23THRUST_200600_302600_NS6detail15normal_iteratorINSA_7pointerIxNSA_11hip_rocprim3tagENSA_11use_defaultESG_EEEEPS6_NSA_18transform_iteratorI7is_evenIxENSC_INSA_10device_ptrIxEEEESG_SG_EENS0_5tupleIJPxSJ_EEENSR_IJSJ_SJ_EEES6_PlJS6_EEE10hipError_tPvRmT3_T4_T5_T6_T7_T9_mT8_P12ihipStream_tbDpT10_ENKUlT_T0_E_clISt17integral_constantIbLb1EES1F_EEDaS1A_S1B_EUlS1A_E_NS1_11comp_targetILNS1_3genE4ELNS1_11target_archE910ELNS1_3gpuE8ELNS1_3repE0EEENS1_30default_config_static_selectorELNS0_4arch9wavefront6targetE1EEEvT1_,"axG",@progbits,_ZN7rocprim17ROCPRIM_400000_NS6detail17trampoline_kernelINS0_14default_configENS1_25partition_config_selectorILNS1_17partition_subalgoE2ExNS0_10empty_typeEbEEZZNS1_14partition_implILS5_2ELb0ES3_jN6thrust23THRUST_200600_302600_NS6detail15normal_iteratorINSA_7pointerIxNSA_11hip_rocprim3tagENSA_11use_defaultESG_EEEEPS6_NSA_18transform_iteratorI7is_evenIxENSC_INSA_10device_ptrIxEEEESG_SG_EENS0_5tupleIJPxSJ_EEENSR_IJSJ_SJ_EEES6_PlJS6_EEE10hipError_tPvRmT3_T4_T5_T6_T7_T9_mT8_P12ihipStream_tbDpT10_ENKUlT_T0_E_clISt17integral_constantIbLb1EES1F_EEDaS1A_S1B_EUlS1A_E_NS1_11comp_targetILNS1_3genE4ELNS1_11target_archE910ELNS1_3gpuE8ELNS1_3repE0EEENS1_30default_config_static_selectorELNS0_4arch9wavefront6targetE1EEEvT1_,comdat
.Lfunc_end200:
	.size	_ZN7rocprim17ROCPRIM_400000_NS6detail17trampoline_kernelINS0_14default_configENS1_25partition_config_selectorILNS1_17partition_subalgoE2ExNS0_10empty_typeEbEEZZNS1_14partition_implILS5_2ELb0ES3_jN6thrust23THRUST_200600_302600_NS6detail15normal_iteratorINSA_7pointerIxNSA_11hip_rocprim3tagENSA_11use_defaultESG_EEEEPS6_NSA_18transform_iteratorI7is_evenIxENSC_INSA_10device_ptrIxEEEESG_SG_EENS0_5tupleIJPxSJ_EEENSR_IJSJ_SJ_EEES6_PlJS6_EEE10hipError_tPvRmT3_T4_T5_T6_T7_T9_mT8_P12ihipStream_tbDpT10_ENKUlT_T0_E_clISt17integral_constantIbLb1EES1F_EEDaS1A_S1B_EUlS1A_E_NS1_11comp_targetILNS1_3genE4ELNS1_11target_archE910ELNS1_3gpuE8ELNS1_3repE0EEENS1_30default_config_static_selectorELNS0_4arch9wavefront6targetE1EEEvT1_, .Lfunc_end200-_ZN7rocprim17ROCPRIM_400000_NS6detail17trampoline_kernelINS0_14default_configENS1_25partition_config_selectorILNS1_17partition_subalgoE2ExNS0_10empty_typeEbEEZZNS1_14partition_implILS5_2ELb0ES3_jN6thrust23THRUST_200600_302600_NS6detail15normal_iteratorINSA_7pointerIxNSA_11hip_rocprim3tagENSA_11use_defaultESG_EEEEPS6_NSA_18transform_iteratorI7is_evenIxENSC_INSA_10device_ptrIxEEEESG_SG_EENS0_5tupleIJPxSJ_EEENSR_IJSJ_SJ_EEES6_PlJS6_EEE10hipError_tPvRmT3_T4_T5_T6_T7_T9_mT8_P12ihipStream_tbDpT10_ENKUlT_T0_E_clISt17integral_constantIbLb1EES1F_EEDaS1A_S1B_EUlS1A_E_NS1_11comp_targetILNS1_3genE4ELNS1_11target_archE910ELNS1_3gpuE8ELNS1_3repE0EEENS1_30default_config_static_selectorELNS0_4arch9wavefront6targetE1EEEvT1_
                                        ; -- End function
	.section	.AMDGPU.csdata,"",@progbits
; Kernel info:
; codeLenInByte = 0
; NumSgprs: 6
; NumVgprs: 0
; NumAgprs: 0
; TotalNumVgprs: 0
; ScratchSize: 0
; MemoryBound: 0
; FloatMode: 240
; IeeeMode: 1
; LDSByteSize: 0 bytes/workgroup (compile time only)
; SGPRBlocks: 0
; VGPRBlocks: 0
; NumSGPRsForWavesPerEU: 6
; NumVGPRsForWavesPerEU: 1
; AccumOffset: 4
; Occupancy: 8
; WaveLimiterHint : 0
; COMPUTE_PGM_RSRC2:SCRATCH_EN: 0
; COMPUTE_PGM_RSRC2:USER_SGPR: 2
; COMPUTE_PGM_RSRC2:TRAP_HANDLER: 0
; COMPUTE_PGM_RSRC2:TGID_X_EN: 1
; COMPUTE_PGM_RSRC2:TGID_Y_EN: 0
; COMPUTE_PGM_RSRC2:TGID_Z_EN: 0
; COMPUTE_PGM_RSRC2:TIDIG_COMP_CNT: 0
; COMPUTE_PGM_RSRC3_GFX90A:ACCUM_OFFSET: 0
; COMPUTE_PGM_RSRC3_GFX90A:TG_SPLIT: 0
	.section	.text._ZN7rocprim17ROCPRIM_400000_NS6detail17trampoline_kernelINS0_14default_configENS1_25partition_config_selectorILNS1_17partition_subalgoE2ExNS0_10empty_typeEbEEZZNS1_14partition_implILS5_2ELb0ES3_jN6thrust23THRUST_200600_302600_NS6detail15normal_iteratorINSA_7pointerIxNSA_11hip_rocprim3tagENSA_11use_defaultESG_EEEEPS6_NSA_18transform_iteratorI7is_evenIxENSC_INSA_10device_ptrIxEEEESG_SG_EENS0_5tupleIJPxSJ_EEENSR_IJSJ_SJ_EEES6_PlJS6_EEE10hipError_tPvRmT3_T4_T5_T6_T7_T9_mT8_P12ihipStream_tbDpT10_ENKUlT_T0_E_clISt17integral_constantIbLb1EES1F_EEDaS1A_S1B_EUlS1A_E_NS1_11comp_targetILNS1_3genE3ELNS1_11target_archE908ELNS1_3gpuE7ELNS1_3repE0EEENS1_30default_config_static_selectorELNS0_4arch9wavefront6targetE1EEEvT1_,"axG",@progbits,_ZN7rocprim17ROCPRIM_400000_NS6detail17trampoline_kernelINS0_14default_configENS1_25partition_config_selectorILNS1_17partition_subalgoE2ExNS0_10empty_typeEbEEZZNS1_14partition_implILS5_2ELb0ES3_jN6thrust23THRUST_200600_302600_NS6detail15normal_iteratorINSA_7pointerIxNSA_11hip_rocprim3tagENSA_11use_defaultESG_EEEEPS6_NSA_18transform_iteratorI7is_evenIxENSC_INSA_10device_ptrIxEEEESG_SG_EENS0_5tupleIJPxSJ_EEENSR_IJSJ_SJ_EEES6_PlJS6_EEE10hipError_tPvRmT3_T4_T5_T6_T7_T9_mT8_P12ihipStream_tbDpT10_ENKUlT_T0_E_clISt17integral_constantIbLb1EES1F_EEDaS1A_S1B_EUlS1A_E_NS1_11comp_targetILNS1_3genE3ELNS1_11target_archE908ELNS1_3gpuE7ELNS1_3repE0EEENS1_30default_config_static_selectorELNS0_4arch9wavefront6targetE1EEEvT1_,comdat
	.protected	_ZN7rocprim17ROCPRIM_400000_NS6detail17trampoline_kernelINS0_14default_configENS1_25partition_config_selectorILNS1_17partition_subalgoE2ExNS0_10empty_typeEbEEZZNS1_14partition_implILS5_2ELb0ES3_jN6thrust23THRUST_200600_302600_NS6detail15normal_iteratorINSA_7pointerIxNSA_11hip_rocprim3tagENSA_11use_defaultESG_EEEEPS6_NSA_18transform_iteratorI7is_evenIxENSC_INSA_10device_ptrIxEEEESG_SG_EENS0_5tupleIJPxSJ_EEENSR_IJSJ_SJ_EEES6_PlJS6_EEE10hipError_tPvRmT3_T4_T5_T6_T7_T9_mT8_P12ihipStream_tbDpT10_ENKUlT_T0_E_clISt17integral_constantIbLb1EES1F_EEDaS1A_S1B_EUlS1A_E_NS1_11comp_targetILNS1_3genE3ELNS1_11target_archE908ELNS1_3gpuE7ELNS1_3repE0EEENS1_30default_config_static_selectorELNS0_4arch9wavefront6targetE1EEEvT1_ ; -- Begin function _ZN7rocprim17ROCPRIM_400000_NS6detail17trampoline_kernelINS0_14default_configENS1_25partition_config_selectorILNS1_17partition_subalgoE2ExNS0_10empty_typeEbEEZZNS1_14partition_implILS5_2ELb0ES3_jN6thrust23THRUST_200600_302600_NS6detail15normal_iteratorINSA_7pointerIxNSA_11hip_rocprim3tagENSA_11use_defaultESG_EEEEPS6_NSA_18transform_iteratorI7is_evenIxENSC_INSA_10device_ptrIxEEEESG_SG_EENS0_5tupleIJPxSJ_EEENSR_IJSJ_SJ_EEES6_PlJS6_EEE10hipError_tPvRmT3_T4_T5_T6_T7_T9_mT8_P12ihipStream_tbDpT10_ENKUlT_T0_E_clISt17integral_constantIbLb1EES1F_EEDaS1A_S1B_EUlS1A_E_NS1_11comp_targetILNS1_3genE3ELNS1_11target_archE908ELNS1_3gpuE7ELNS1_3repE0EEENS1_30default_config_static_selectorELNS0_4arch9wavefront6targetE1EEEvT1_
	.globl	_ZN7rocprim17ROCPRIM_400000_NS6detail17trampoline_kernelINS0_14default_configENS1_25partition_config_selectorILNS1_17partition_subalgoE2ExNS0_10empty_typeEbEEZZNS1_14partition_implILS5_2ELb0ES3_jN6thrust23THRUST_200600_302600_NS6detail15normal_iteratorINSA_7pointerIxNSA_11hip_rocprim3tagENSA_11use_defaultESG_EEEEPS6_NSA_18transform_iteratorI7is_evenIxENSC_INSA_10device_ptrIxEEEESG_SG_EENS0_5tupleIJPxSJ_EEENSR_IJSJ_SJ_EEES6_PlJS6_EEE10hipError_tPvRmT3_T4_T5_T6_T7_T9_mT8_P12ihipStream_tbDpT10_ENKUlT_T0_E_clISt17integral_constantIbLb1EES1F_EEDaS1A_S1B_EUlS1A_E_NS1_11comp_targetILNS1_3genE3ELNS1_11target_archE908ELNS1_3gpuE7ELNS1_3repE0EEENS1_30default_config_static_selectorELNS0_4arch9wavefront6targetE1EEEvT1_
	.p2align	8
	.type	_ZN7rocprim17ROCPRIM_400000_NS6detail17trampoline_kernelINS0_14default_configENS1_25partition_config_selectorILNS1_17partition_subalgoE2ExNS0_10empty_typeEbEEZZNS1_14partition_implILS5_2ELb0ES3_jN6thrust23THRUST_200600_302600_NS6detail15normal_iteratorINSA_7pointerIxNSA_11hip_rocprim3tagENSA_11use_defaultESG_EEEEPS6_NSA_18transform_iteratorI7is_evenIxENSC_INSA_10device_ptrIxEEEESG_SG_EENS0_5tupleIJPxSJ_EEENSR_IJSJ_SJ_EEES6_PlJS6_EEE10hipError_tPvRmT3_T4_T5_T6_T7_T9_mT8_P12ihipStream_tbDpT10_ENKUlT_T0_E_clISt17integral_constantIbLb1EES1F_EEDaS1A_S1B_EUlS1A_E_NS1_11comp_targetILNS1_3genE3ELNS1_11target_archE908ELNS1_3gpuE7ELNS1_3repE0EEENS1_30default_config_static_selectorELNS0_4arch9wavefront6targetE1EEEvT1_,@function
_ZN7rocprim17ROCPRIM_400000_NS6detail17trampoline_kernelINS0_14default_configENS1_25partition_config_selectorILNS1_17partition_subalgoE2ExNS0_10empty_typeEbEEZZNS1_14partition_implILS5_2ELb0ES3_jN6thrust23THRUST_200600_302600_NS6detail15normal_iteratorINSA_7pointerIxNSA_11hip_rocprim3tagENSA_11use_defaultESG_EEEEPS6_NSA_18transform_iteratorI7is_evenIxENSC_INSA_10device_ptrIxEEEESG_SG_EENS0_5tupleIJPxSJ_EEENSR_IJSJ_SJ_EEES6_PlJS6_EEE10hipError_tPvRmT3_T4_T5_T6_T7_T9_mT8_P12ihipStream_tbDpT10_ENKUlT_T0_E_clISt17integral_constantIbLb1EES1F_EEDaS1A_S1B_EUlS1A_E_NS1_11comp_targetILNS1_3genE3ELNS1_11target_archE908ELNS1_3gpuE7ELNS1_3repE0EEENS1_30default_config_static_selectorELNS0_4arch9wavefront6targetE1EEEvT1_: ; @_ZN7rocprim17ROCPRIM_400000_NS6detail17trampoline_kernelINS0_14default_configENS1_25partition_config_selectorILNS1_17partition_subalgoE2ExNS0_10empty_typeEbEEZZNS1_14partition_implILS5_2ELb0ES3_jN6thrust23THRUST_200600_302600_NS6detail15normal_iteratorINSA_7pointerIxNSA_11hip_rocprim3tagENSA_11use_defaultESG_EEEEPS6_NSA_18transform_iteratorI7is_evenIxENSC_INSA_10device_ptrIxEEEESG_SG_EENS0_5tupleIJPxSJ_EEENSR_IJSJ_SJ_EEES6_PlJS6_EEE10hipError_tPvRmT3_T4_T5_T6_T7_T9_mT8_P12ihipStream_tbDpT10_ENKUlT_T0_E_clISt17integral_constantIbLb1EES1F_EEDaS1A_S1B_EUlS1A_E_NS1_11comp_targetILNS1_3genE3ELNS1_11target_archE908ELNS1_3gpuE7ELNS1_3repE0EEENS1_30default_config_static_selectorELNS0_4arch9wavefront6targetE1EEEvT1_
; %bb.0:
	.section	.rodata,"a",@progbits
	.p2align	6, 0x0
	.amdhsa_kernel _ZN7rocprim17ROCPRIM_400000_NS6detail17trampoline_kernelINS0_14default_configENS1_25partition_config_selectorILNS1_17partition_subalgoE2ExNS0_10empty_typeEbEEZZNS1_14partition_implILS5_2ELb0ES3_jN6thrust23THRUST_200600_302600_NS6detail15normal_iteratorINSA_7pointerIxNSA_11hip_rocprim3tagENSA_11use_defaultESG_EEEEPS6_NSA_18transform_iteratorI7is_evenIxENSC_INSA_10device_ptrIxEEEESG_SG_EENS0_5tupleIJPxSJ_EEENSR_IJSJ_SJ_EEES6_PlJS6_EEE10hipError_tPvRmT3_T4_T5_T6_T7_T9_mT8_P12ihipStream_tbDpT10_ENKUlT_T0_E_clISt17integral_constantIbLb1EES1F_EEDaS1A_S1B_EUlS1A_E_NS1_11comp_targetILNS1_3genE3ELNS1_11target_archE908ELNS1_3gpuE7ELNS1_3repE0EEENS1_30default_config_static_selectorELNS0_4arch9wavefront6targetE1EEEvT1_
		.amdhsa_group_segment_fixed_size 0
		.amdhsa_private_segment_fixed_size 0
		.amdhsa_kernarg_size 144
		.amdhsa_user_sgpr_count 2
		.amdhsa_user_sgpr_dispatch_ptr 0
		.amdhsa_user_sgpr_queue_ptr 0
		.amdhsa_user_sgpr_kernarg_segment_ptr 1
		.amdhsa_user_sgpr_dispatch_id 0
		.amdhsa_user_sgpr_kernarg_preload_length 0
		.amdhsa_user_sgpr_kernarg_preload_offset 0
		.amdhsa_user_sgpr_private_segment_size 0
		.amdhsa_uses_dynamic_stack 0
		.amdhsa_enable_private_segment 0
		.amdhsa_system_sgpr_workgroup_id_x 1
		.amdhsa_system_sgpr_workgroup_id_y 0
		.amdhsa_system_sgpr_workgroup_id_z 0
		.amdhsa_system_sgpr_workgroup_info 0
		.amdhsa_system_vgpr_workitem_id 0
		.amdhsa_next_free_vgpr 1
		.amdhsa_next_free_sgpr 0
		.amdhsa_accum_offset 4
		.amdhsa_reserve_vcc 0
		.amdhsa_float_round_mode_32 0
		.amdhsa_float_round_mode_16_64 0
		.amdhsa_float_denorm_mode_32 3
		.amdhsa_float_denorm_mode_16_64 3
		.amdhsa_dx10_clamp 1
		.amdhsa_ieee_mode 1
		.amdhsa_fp16_overflow 0
		.amdhsa_tg_split 0
		.amdhsa_exception_fp_ieee_invalid_op 0
		.amdhsa_exception_fp_denorm_src 0
		.amdhsa_exception_fp_ieee_div_zero 0
		.amdhsa_exception_fp_ieee_overflow 0
		.amdhsa_exception_fp_ieee_underflow 0
		.amdhsa_exception_fp_ieee_inexact 0
		.amdhsa_exception_int_div_zero 0
	.end_amdhsa_kernel
	.section	.text._ZN7rocprim17ROCPRIM_400000_NS6detail17trampoline_kernelINS0_14default_configENS1_25partition_config_selectorILNS1_17partition_subalgoE2ExNS0_10empty_typeEbEEZZNS1_14partition_implILS5_2ELb0ES3_jN6thrust23THRUST_200600_302600_NS6detail15normal_iteratorINSA_7pointerIxNSA_11hip_rocprim3tagENSA_11use_defaultESG_EEEEPS6_NSA_18transform_iteratorI7is_evenIxENSC_INSA_10device_ptrIxEEEESG_SG_EENS0_5tupleIJPxSJ_EEENSR_IJSJ_SJ_EEES6_PlJS6_EEE10hipError_tPvRmT3_T4_T5_T6_T7_T9_mT8_P12ihipStream_tbDpT10_ENKUlT_T0_E_clISt17integral_constantIbLb1EES1F_EEDaS1A_S1B_EUlS1A_E_NS1_11comp_targetILNS1_3genE3ELNS1_11target_archE908ELNS1_3gpuE7ELNS1_3repE0EEENS1_30default_config_static_selectorELNS0_4arch9wavefront6targetE1EEEvT1_,"axG",@progbits,_ZN7rocprim17ROCPRIM_400000_NS6detail17trampoline_kernelINS0_14default_configENS1_25partition_config_selectorILNS1_17partition_subalgoE2ExNS0_10empty_typeEbEEZZNS1_14partition_implILS5_2ELb0ES3_jN6thrust23THRUST_200600_302600_NS6detail15normal_iteratorINSA_7pointerIxNSA_11hip_rocprim3tagENSA_11use_defaultESG_EEEEPS6_NSA_18transform_iteratorI7is_evenIxENSC_INSA_10device_ptrIxEEEESG_SG_EENS0_5tupleIJPxSJ_EEENSR_IJSJ_SJ_EEES6_PlJS6_EEE10hipError_tPvRmT3_T4_T5_T6_T7_T9_mT8_P12ihipStream_tbDpT10_ENKUlT_T0_E_clISt17integral_constantIbLb1EES1F_EEDaS1A_S1B_EUlS1A_E_NS1_11comp_targetILNS1_3genE3ELNS1_11target_archE908ELNS1_3gpuE7ELNS1_3repE0EEENS1_30default_config_static_selectorELNS0_4arch9wavefront6targetE1EEEvT1_,comdat
.Lfunc_end201:
	.size	_ZN7rocprim17ROCPRIM_400000_NS6detail17trampoline_kernelINS0_14default_configENS1_25partition_config_selectorILNS1_17partition_subalgoE2ExNS0_10empty_typeEbEEZZNS1_14partition_implILS5_2ELb0ES3_jN6thrust23THRUST_200600_302600_NS6detail15normal_iteratorINSA_7pointerIxNSA_11hip_rocprim3tagENSA_11use_defaultESG_EEEEPS6_NSA_18transform_iteratorI7is_evenIxENSC_INSA_10device_ptrIxEEEESG_SG_EENS0_5tupleIJPxSJ_EEENSR_IJSJ_SJ_EEES6_PlJS6_EEE10hipError_tPvRmT3_T4_T5_T6_T7_T9_mT8_P12ihipStream_tbDpT10_ENKUlT_T0_E_clISt17integral_constantIbLb1EES1F_EEDaS1A_S1B_EUlS1A_E_NS1_11comp_targetILNS1_3genE3ELNS1_11target_archE908ELNS1_3gpuE7ELNS1_3repE0EEENS1_30default_config_static_selectorELNS0_4arch9wavefront6targetE1EEEvT1_, .Lfunc_end201-_ZN7rocprim17ROCPRIM_400000_NS6detail17trampoline_kernelINS0_14default_configENS1_25partition_config_selectorILNS1_17partition_subalgoE2ExNS0_10empty_typeEbEEZZNS1_14partition_implILS5_2ELb0ES3_jN6thrust23THRUST_200600_302600_NS6detail15normal_iteratorINSA_7pointerIxNSA_11hip_rocprim3tagENSA_11use_defaultESG_EEEEPS6_NSA_18transform_iteratorI7is_evenIxENSC_INSA_10device_ptrIxEEEESG_SG_EENS0_5tupleIJPxSJ_EEENSR_IJSJ_SJ_EEES6_PlJS6_EEE10hipError_tPvRmT3_T4_T5_T6_T7_T9_mT8_P12ihipStream_tbDpT10_ENKUlT_T0_E_clISt17integral_constantIbLb1EES1F_EEDaS1A_S1B_EUlS1A_E_NS1_11comp_targetILNS1_3genE3ELNS1_11target_archE908ELNS1_3gpuE7ELNS1_3repE0EEENS1_30default_config_static_selectorELNS0_4arch9wavefront6targetE1EEEvT1_
                                        ; -- End function
	.section	.AMDGPU.csdata,"",@progbits
; Kernel info:
; codeLenInByte = 0
; NumSgprs: 6
; NumVgprs: 0
; NumAgprs: 0
; TotalNumVgprs: 0
; ScratchSize: 0
; MemoryBound: 0
; FloatMode: 240
; IeeeMode: 1
; LDSByteSize: 0 bytes/workgroup (compile time only)
; SGPRBlocks: 0
; VGPRBlocks: 0
; NumSGPRsForWavesPerEU: 6
; NumVGPRsForWavesPerEU: 1
; AccumOffset: 4
; Occupancy: 8
; WaveLimiterHint : 0
; COMPUTE_PGM_RSRC2:SCRATCH_EN: 0
; COMPUTE_PGM_RSRC2:USER_SGPR: 2
; COMPUTE_PGM_RSRC2:TRAP_HANDLER: 0
; COMPUTE_PGM_RSRC2:TGID_X_EN: 1
; COMPUTE_PGM_RSRC2:TGID_Y_EN: 0
; COMPUTE_PGM_RSRC2:TGID_Z_EN: 0
; COMPUTE_PGM_RSRC2:TIDIG_COMP_CNT: 0
; COMPUTE_PGM_RSRC3_GFX90A:ACCUM_OFFSET: 0
; COMPUTE_PGM_RSRC3_GFX90A:TG_SPLIT: 0
	.section	.text._ZN7rocprim17ROCPRIM_400000_NS6detail17trampoline_kernelINS0_14default_configENS1_25partition_config_selectorILNS1_17partition_subalgoE2ExNS0_10empty_typeEbEEZZNS1_14partition_implILS5_2ELb0ES3_jN6thrust23THRUST_200600_302600_NS6detail15normal_iteratorINSA_7pointerIxNSA_11hip_rocprim3tagENSA_11use_defaultESG_EEEEPS6_NSA_18transform_iteratorI7is_evenIxENSC_INSA_10device_ptrIxEEEESG_SG_EENS0_5tupleIJPxSJ_EEENSR_IJSJ_SJ_EEES6_PlJS6_EEE10hipError_tPvRmT3_T4_T5_T6_T7_T9_mT8_P12ihipStream_tbDpT10_ENKUlT_T0_E_clISt17integral_constantIbLb1EES1F_EEDaS1A_S1B_EUlS1A_E_NS1_11comp_targetILNS1_3genE2ELNS1_11target_archE906ELNS1_3gpuE6ELNS1_3repE0EEENS1_30default_config_static_selectorELNS0_4arch9wavefront6targetE1EEEvT1_,"axG",@progbits,_ZN7rocprim17ROCPRIM_400000_NS6detail17trampoline_kernelINS0_14default_configENS1_25partition_config_selectorILNS1_17partition_subalgoE2ExNS0_10empty_typeEbEEZZNS1_14partition_implILS5_2ELb0ES3_jN6thrust23THRUST_200600_302600_NS6detail15normal_iteratorINSA_7pointerIxNSA_11hip_rocprim3tagENSA_11use_defaultESG_EEEEPS6_NSA_18transform_iteratorI7is_evenIxENSC_INSA_10device_ptrIxEEEESG_SG_EENS0_5tupleIJPxSJ_EEENSR_IJSJ_SJ_EEES6_PlJS6_EEE10hipError_tPvRmT3_T4_T5_T6_T7_T9_mT8_P12ihipStream_tbDpT10_ENKUlT_T0_E_clISt17integral_constantIbLb1EES1F_EEDaS1A_S1B_EUlS1A_E_NS1_11comp_targetILNS1_3genE2ELNS1_11target_archE906ELNS1_3gpuE6ELNS1_3repE0EEENS1_30default_config_static_selectorELNS0_4arch9wavefront6targetE1EEEvT1_,comdat
	.protected	_ZN7rocprim17ROCPRIM_400000_NS6detail17trampoline_kernelINS0_14default_configENS1_25partition_config_selectorILNS1_17partition_subalgoE2ExNS0_10empty_typeEbEEZZNS1_14partition_implILS5_2ELb0ES3_jN6thrust23THRUST_200600_302600_NS6detail15normal_iteratorINSA_7pointerIxNSA_11hip_rocprim3tagENSA_11use_defaultESG_EEEEPS6_NSA_18transform_iteratorI7is_evenIxENSC_INSA_10device_ptrIxEEEESG_SG_EENS0_5tupleIJPxSJ_EEENSR_IJSJ_SJ_EEES6_PlJS6_EEE10hipError_tPvRmT3_T4_T5_T6_T7_T9_mT8_P12ihipStream_tbDpT10_ENKUlT_T0_E_clISt17integral_constantIbLb1EES1F_EEDaS1A_S1B_EUlS1A_E_NS1_11comp_targetILNS1_3genE2ELNS1_11target_archE906ELNS1_3gpuE6ELNS1_3repE0EEENS1_30default_config_static_selectorELNS0_4arch9wavefront6targetE1EEEvT1_ ; -- Begin function _ZN7rocprim17ROCPRIM_400000_NS6detail17trampoline_kernelINS0_14default_configENS1_25partition_config_selectorILNS1_17partition_subalgoE2ExNS0_10empty_typeEbEEZZNS1_14partition_implILS5_2ELb0ES3_jN6thrust23THRUST_200600_302600_NS6detail15normal_iteratorINSA_7pointerIxNSA_11hip_rocprim3tagENSA_11use_defaultESG_EEEEPS6_NSA_18transform_iteratorI7is_evenIxENSC_INSA_10device_ptrIxEEEESG_SG_EENS0_5tupleIJPxSJ_EEENSR_IJSJ_SJ_EEES6_PlJS6_EEE10hipError_tPvRmT3_T4_T5_T6_T7_T9_mT8_P12ihipStream_tbDpT10_ENKUlT_T0_E_clISt17integral_constantIbLb1EES1F_EEDaS1A_S1B_EUlS1A_E_NS1_11comp_targetILNS1_3genE2ELNS1_11target_archE906ELNS1_3gpuE6ELNS1_3repE0EEENS1_30default_config_static_selectorELNS0_4arch9wavefront6targetE1EEEvT1_
	.globl	_ZN7rocprim17ROCPRIM_400000_NS6detail17trampoline_kernelINS0_14default_configENS1_25partition_config_selectorILNS1_17partition_subalgoE2ExNS0_10empty_typeEbEEZZNS1_14partition_implILS5_2ELb0ES3_jN6thrust23THRUST_200600_302600_NS6detail15normal_iteratorINSA_7pointerIxNSA_11hip_rocprim3tagENSA_11use_defaultESG_EEEEPS6_NSA_18transform_iteratorI7is_evenIxENSC_INSA_10device_ptrIxEEEESG_SG_EENS0_5tupleIJPxSJ_EEENSR_IJSJ_SJ_EEES6_PlJS6_EEE10hipError_tPvRmT3_T4_T5_T6_T7_T9_mT8_P12ihipStream_tbDpT10_ENKUlT_T0_E_clISt17integral_constantIbLb1EES1F_EEDaS1A_S1B_EUlS1A_E_NS1_11comp_targetILNS1_3genE2ELNS1_11target_archE906ELNS1_3gpuE6ELNS1_3repE0EEENS1_30default_config_static_selectorELNS0_4arch9wavefront6targetE1EEEvT1_
	.p2align	8
	.type	_ZN7rocprim17ROCPRIM_400000_NS6detail17trampoline_kernelINS0_14default_configENS1_25partition_config_selectorILNS1_17partition_subalgoE2ExNS0_10empty_typeEbEEZZNS1_14partition_implILS5_2ELb0ES3_jN6thrust23THRUST_200600_302600_NS6detail15normal_iteratorINSA_7pointerIxNSA_11hip_rocprim3tagENSA_11use_defaultESG_EEEEPS6_NSA_18transform_iteratorI7is_evenIxENSC_INSA_10device_ptrIxEEEESG_SG_EENS0_5tupleIJPxSJ_EEENSR_IJSJ_SJ_EEES6_PlJS6_EEE10hipError_tPvRmT3_T4_T5_T6_T7_T9_mT8_P12ihipStream_tbDpT10_ENKUlT_T0_E_clISt17integral_constantIbLb1EES1F_EEDaS1A_S1B_EUlS1A_E_NS1_11comp_targetILNS1_3genE2ELNS1_11target_archE906ELNS1_3gpuE6ELNS1_3repE0EEENS1_30default_config_static_selectorELNS0_4arch9wavefront6targetE1EEEvT1_,@function
_ZN7rocprim17ROCPRIM_400000_NS6detail17trampoline_kernelINS0_14default_configENS1_25partition_config_selectorILNS1_17partition_subalgoE2ExNS0_10empty_typeEbEEZZNS1_14partition_implILS5_2ELb0ES3_jN6thrust23THRUST_200600_302600_NS6detail15normal_iteratorINSA_7pointerIxNSA_11hip_rocprim3tagENSA_11use_defaultESG_EEEEPS6_NSA_18transform_iteratorI7is_evenIxENSC_INSA_10device_ptrIxEEEESG_SG_EENS0_5tupleIJPxSJ_EEENSR_IJSJ_SJ_EEES6_PlJS6_EEE10hipError_tPvRmT3_T4_T5_T6_T7_T9_mT8_P12ihipStream_tbDpT10_ENKUlT_T0_E_clISt17integral_constantIbLb1EES1F_EEDaS1A_S1B_EUlS1A_E_NS1_11comp_targetILNS1_3genE2ELNS1_11target_archE906ELNS1_3gpuE6ELNS1_3repE0EEENS1_30default_config_static_selectorELNS0_4arch9wavefront6targetE1EEEvT1_: ; @_ZN7rocprim17ROCPRIM_400000_NS6detail17trampoline_kernelINS0_14default_configENS1_25partition_config_selectorILNS1_17partition_subalgoE2ExNS0_10empty_typeEbEEZZNS1_14partition_implILS5_2ELb0ES3_jN6thrust23THRUST_200600_302600_NS6detail15normal_iteratorINSA_7pointerIxNSA_11hip_rocprim3tagENSA_11use_defaultESG_EEEEPS6_NSA_18transform_iteratorI7is_evenIxENSC_INSA_10device_ptrIxEEEESG_SG_EENS0_5tupleIJPxSJ_EEENSR_IJSJ_SJ_EEES6_PlJS6_EEE10hipError_tPvRmT3_T4_T5_T6_T7_T9_mT8_P12ihipStream_tbDpT10_ENKUlT_T0_E_clISt17integral_constantIbLb1EES1F_EEDaS1A_S1B_EUlS1A_E_NS1_11comp_targetILNS1_3genE2ELNS1_11target_archE906ELNS1_3gpuE6ELNS1_3repE0EEENS1_30default_config_static_selectorELNS0_4arch9wavefront6targetE1EEEvT1_
; %bb.0:
	.section	.rodata,"a",@progbits
	.p2align	6, 0x0
	.amdhsa_kernel _ZN7rocprim17ROCPRIM_400000_NS6detail17trampoline_kernelINS0_14default_configENS1_25partition_config_selectorILNS1_17partition_subalgoE2ExNS0_10empty_typeEbEEZZNS1_14partition_implILS5_2ELb0ES3_jN6thrust23THRUST_200600_302600_NS6detail15normal_iteratorINSA_7pointerIxNSA_11hip_rocprim3tagENSA_11use_defaultESG_EEEEPS6_NSA_18transform_iteratorI7is_evenIxENSC_INSA_10device_ptrIxEEEESG_SG_EENS0_5tupleIJPxSJ_EEENSR_IJSJ_SJ_EEES6_PlJS6_EEE10hipError_tPvRmT3_T4_T5_T6_T7_T9_mT8_P12ihipStream_tbDpT10_ENKUlT_T0_E_clISt17integral_constantIbLb1EES1F_EEDaS1A_S1B_EUlS1A_E_NS1_11comp_targetILNS1_3genE2ELNS1_11target_archE906ELNS1_3gpuE6ELNS1_3repE0EEENS1_30default_config_static_selectorELNS0_4arch9wavefront6targetE1EEEvT1_
		.amdhsa_group_segment_fixed_size 0
		.amdhsa_private_segment_fixed_size 0
		.amdhsa_kernarg_size 144
		.amdhsa_user_sgpr_count 2
		.amdhsa_user_sgpr_dispatch_ptr 0
		.amdhsa_user_sgpr_queue_ptr 0
		.amdhsa_user_sgpr_kernarg_segment_ptr 1
		.amdhsa_user_sgpr_dispatch_id 0
		.amdhsa_user_sgpr_kernarg_preload_length 0
		.amdhsa_user_sgpr_kernarg_preload_offset 0
		.amdhsa_user_sgpr_private_segment_size 0
		.amdhsa_uses_dynamic_stack 0
		.amdhsa_enable_private_segment 0
		.amdhsa_system_sgpr_workgroup_id_x 1
		.amdhsa_system_sgpr_workgroup_id_y 0
		.amdhsa_system_sgpr_workgroup_id_z 0
		.amdhsa_system_sgpr_workgroup_info 0
		.amdhsa_system_vgpr_workitem_id 0
		.amdhsa_next_free_vgpr 1
		.amdhsa_next_free_sgpr 0
		.amdhsa_accum_offset 4
		.amdhsa_reserve_vcc 0
		.amdhsa_float_round_mode_32 0
		.amdhsa_float_round_mode_16_64 0
		.amdhsa_float_denorm_mode_32 3
		.amdhsa_float_denorm_mode_16_64 3
		.amdhsa_dx10_clamp 1
		.amdhsa_ieee_mode 1
		.amdhsa_fp16_overflow 0
		.amdhsa_tg_split 0
		.amdhsa_exception_fp_ieee_invalid_op 0
		.amdhsa_exception_fp_denorm_src 0
		.amdhsa_exception_fp_ieee_div_zero 0
		.amdhsa_exception_fp_ieee_overflow 0
		.amdhsa_exception_fp_ieee_underflow 0
		.amdhsa_exception_fp_ieee_inexact 0
		.amdhsa_exception_int_div_zero 0
	.end_amdhsa_kernel
	.section	.text._ZN7rocprim17ROCPRIM_400000_NS6detail17trampoline_kernelINS0_14default_configENS1_25partition_config_selectorILNS1_17partition_subalgoE2ExNS0_10empty_typeEbEEZZNS1_14partition_implILS5_2ELb0ES3_jN6thrust23THRUST_200600_302600_NS6detail15normal_iteratorINSA_7pointerIxNSA_11hip_rocprim3tagENSA_11use_defaultESG_EEEEPS6_NSA_18transform_iteratorI7is_evenIxENSC_INSA_10device_ptrIxEEEESG_SG_EENS0_5tupleIJPxSJ_EEENSR_IJSJ_SJ_EEES6_PlJS6_EEE10hipError_tPvRmT3_T4_T5_T6_T7_T9_mT8_P12ihipStream_tbDpT10_ENKUlT_T0_E_clISt17integral_constantIbLb1EES1F_EEDaS1A_S1B_EUlS1A_E_NS1_11comp_targetILNS1_3genE2ELNS1_11target_archE906ELNS1_3gpuE6ELNS1_3repE0EEENS1_30default_config_static_selectorELNS0_4arch9wavefront6targetE1EEEvT1_,"axG",@progbits,_ZN7rocprim17ROCPRIM_400000_NS6detail17trampoline_kernelINS0_14default_configENS1_25partition_config_selectorILNS1_17partition_subalgoE2ExNS0_10empty_typeEbEEZZNS1_14partition_implILS5_2ELb0ES3_jN6thrust23THRUST_200600_302600_NS6detail15normal_iteratorINSA_7pointerIxNSA_11hip_rocprim3tagENSA_11use_defaultESG_EEEEPS6_NSA_18transform_iteratorI7is_evenIxENSC_INSA_10device_ptrIxEEEESG_SG_EENS0_5tupleIJPxSJ_EEENSR_IJSJ_SJ_EEES6_PlJS6_EEE10hipError_tPvRmT3_T4_T5_T6_T7_T9_mT8_P12ihipStream_tbDpT10_ENKUlT_T0_E_clISt17integral_constantIbLb1EES1F_EEDaS1A_S1B_EUlS1A_E_NS1_11comp_targetILNS1_3genE2ELNS1_11target_archE906ELNS1_3gpuE6ELNS1_3repE0EEENS1_30default_config_static_selectorELNS0_4arch9wavefront6targetE1EEEvT1_,comdat
.Lfunc_end202:
	.size	_ZN7rocprim17ROCPRIM_400000_NS6detail17trampoline_kernelINS0_14default_configENS1_25partition_config_selectorILNS1_17partition_subalgoE2ExNS0_10empty_typeEbEEZZNS1_14partition_implILS5_2ELb0ES3_jN6thrust23THRUST_200600_302600_NS6detail15normal_iteratorINSA_7pointerIxNSA_11hip_rocprim3tagENSA_11use_defaultESG_EEEEPS6_NSA_18transform_iteratorI7is_evenIxENSC_INSA_10device_ptrIxEEEESG_SG_EENS0_5tupleIJPxSJ_EEENSR_IJSJ_SJ_EEES6_PlJS6_EEE10hipError_tPvRmT3_T4_T5_T6_T7_T9_mT8_P12ihipStream_tbDpT10_ENKUlT_T0_E_clISt17integral_constantIbLb1EES1F_EEDaS1A_S1B_EUlS1A_E_NS1_11comp_targetILNS1_3genE2ELNS1_11target_archE906ELNS1_3gpuE6ELNS1_3repE0EEENS1_30default_config_static_selectorELNS0_4arch9wavefront6targetE1EEEvT1_, .Lfunc_end202-_ZN7rocprim17ROCPRIM_400000_NS6detail17trampoline_kernelINS0_14default_configENS1_25partition_config_selectorILNS1_17partition_subalgoE2ExNS0_10empty_typeEbEEZZNS1_14partition_implILS5_2ELb0ES3_jN6thrust23THRUST_200600_302600_NS6detail15normal_iteratorINSA_7pointerIxNSA_11hip_rocprim3tagENSA_11use_defaultESG_EEEEPS6_NSA_18transform_iteratorI7is_evenIxENSC_INSA_10device_ptrIxEEEESG_SG_EENS0_5tupleIJPxSJ_EEENSR_IJSJ_SJ_EEES6_PlJS6_EEE10hipError_tPvRmT3_T4_T5_T6_T7_T9_mT8_P12ihipStream_tbDpT10_ENKUlT_T0_E_clISt17integral_constantIbLb1EES1F_EEDaS1A_S1B_EUlS1A_E_NS1_11comp_targetILNS1_3genE2ELNS1_11target_archE906ELNS1_3gpuE6ELNS1_3repE0EEENS1_30default_config_static_selectorELNS0_4arch9wavefront6targetE1EEEvT1_
                                        ; -- End function
	.section	.AMDGPU.csdata,"",@progbits
; Kernel info:
; codeLenInByte = 0
; NumSgprs: 6
; NumVgprs: 0
; NumAgprs: 0
; TotalNumVgprs: 0
; ScratchSize: 0
; MemoryBound: 0
; FloatMode: 240
; IeeeMode: 1
; LDSByteSize: 0 bytes/workgroup (compile time only)
; SGPRBlocks: 0
; VGPRBlocks: 0
; NumSGPRsForWavesPerEU: 6
; NumVGPRsForWavesPerEU: 1
; AccumOffset: 4
; Occupancy: 8
; WaveLimiterHint : 0
; COMPUTE_PGM_RSRC2:SCRATCH_EN: 0
; COMPUTE_PGM_RSRC2:USER_SGPR: 2
; COMPUTE_PGM_RSRC2:TRAP_HANDLER: 0
; COMPUTE_PGM_RSRC2:TGID_X_EN: 1
; COMPUTE_PGM_RSRC2:TGID_Y_EN: 0
; COMPUTE_PGM_RSRC2:TGID_Z_EN: 0
; COMPUTE_PGM_RSRC2:TIDIG_COMP_CNT: 0
; COMPUTE_PGM_RSRC3_GFX90A:ACCUM_OFFSET: 0
; COMPUTE_PGM_RSRC3_GFX90A:TG_SPLIT: 0
	.section	.text._ZN7rocprim17ROCPRIM_400000_NS6detail17trampoline_kernelINS0_14default_configENS1_25partition_config_selectorILNS1_17partition_subalgoE2ExNS0_10empty_typeEbEEZZNS1_14partition_implILS5_2ELb0ES3_jN6thrust23THRUST_200600_302600_NS6detail15normal_iteratorINSA_7pointerIxNSA_11hip_rocprim3tagENSA_11use_defaultESG_EEEEPS6_NSA_18transform_iteratorI7is_evenIxENSC_INSA_10device_ptrIxEEEESG_SG_EENS0_5tupleIJPxSJ_EEENSR_IJSJ_SJ_EEES6_PlJS6_EEE10hipError_tPvRmT3_T4_T5_T6_T7_T9_mT8_P12ihipStream_tbDpT10_ENKUlT_T0_E_clISt17integral_constantIbLb1EES1F_EEDaS1A_S1B_EUlS1A_E_NS1_11comp_targetILNS1_3genE10ELNS1_11target_archE1200ELNS1_3gpuE4ELNS1_3repE0EEENS1_30default_config_static_selectorELNS0_4arch9wavefront6targetE1EEEvT1_,"axG",@progbits,_ZN7rocprim17ROCPRIM_400000_NS6detail17trampoline_kernelINS0_14default_configENS1_25partition_config_selectorILNS1_17partition_subalgoE2ExNS0_10empty_typeEbEEZZNS1_14partition_implILS5_2ELb0ES3_jN6thrust23THRUST_200600_302600_NS6detail15normal_iteratorINSA_7pointerIxNSA_11hip_rocprim3tagENSA_11use_defaultESG_EEEEPS6_NSA_18transform_iteratorI7is_evenIxENSC_INSA_10device_ptrIxEEEESG_SG_EENS0_5tupleIJPxSJ_EEENSR_IJSJ_SJ_EEES6_PlJS6_EEE10hipError_tPvRmT3_T4_T5_T6_T7_T9_mT8_P12ihipStream_tbDpT10_ENKUlT_T0_E_clISt17integral_constantIbLb1EES1F_EEDaS1A_S1B_EUlS1A_E_NS1_11comp_targetILNS1_3genE10ELNS1_11target_archE1200ELNS1_3gpuE4ELNS1_3repE0EEENS1_30default_config_static_selectorELNS0_4arch9wavefront6targetE1EEEvT1_,comdat
	.protected	_ZN7rocprim17ROCPRIM_400000_NS6detail17trampoline_kernelINS0_14default_configENS1_25partition_config_selectorILNS1_17partition_subalgoE2ExNS0_10empty_typeEbEEZZNS1_14partition_implILS5_2ELb0ES3_jN6thrust23THRUST_200600_302600_NS6detail15normal_iteratorINSA_7pointerIxNSA_11hip_rocprim3tagENSA_11use_defaultESG_EEEEPS6_NSA_18transform_iteratorI7is_evenIxENSC_INSA_10device_ptrIxEEEESG_SG_EENS0_5tupleIJPxSJ_EEENSR_IJSJ_SJ_EEES6_PlJS6_EEE10hipError_tPvRmT3_T4_T5_T6_T7_T9_mT8_P12ihipStream_tbDpT10_ENKUlT_T0_E_clISt17integral_constantIbLb1EES1F_EEDaS1A_S1B_EUlS1A_E_NS1_11comp_targetILNS1_3genE10ELNS1_11target_archE1200ELNS1_3gpuE4ELNS1_3repE0EEENS1_30default_config_static_selectorELNS0_4arch9wavefront6targetE1EEEvT1_ ; -- Begin function _ZN7rocprim17ROCPRIM_400000_NS6detail17trampoline_kernelINS0_14default_configENS1_25partition_config_selectorILNS1_17partition_subalgoE2ExNS0_10empty_typeEbEEZZNS1_14partition_implILS5_2ELb0ES3_jN6thrust23THRUST_200600_302600_NS6detail15normal_iteratorINSA_7pointerIxNSA_11hip_rocprim3tagENSA_11use_defaultESG_EEEEPS6_NSA_18transform_iteratorI7is_evenIxENSC_INSA_10device_ptrIxEEEESG_SG_EENS0_5tupleIJPxSJ_EEENSR_IJSJ_SJ_EEES6_PlJS6_EEE10hipError_tPvRmT3_T4_T5_T6_T7_T9_mT8_P12ihipStream_tbDpT10_ENKUlT_T0_E_clISt17integral_constantIbLb1EES1F_EEDaS1A_S1B_EUlS1A_E_NS1_11comp_targetILNS1_3genE10ELNS1_11target_archE1200ELNS1_3gpuE4ELNS1_3repE0EEENS1_30default_config_static_selectorELNS0_4arch9wavefront6targetE1EEEvT1_
	.globl	_ZN7rocprim17ROCPRIM_400000_NS6detail17trampoline_kernelINS0_14default_configENS1_25partition_config_selectorILNS1_17partition_subalgoE2ExNS0_10empty_typeEbEEZZNS1_14partition_implILS5_2ELb0ES3_jN6thrust23THRUST_200600_302600_NS6detail15normal_iteratorINSA_7pointerIxNSA_11hip_rocprim3tagENSA_11use_defaultESG_EEEEPS6_NSA_18transform_iteratorI7is_evenIxENSC_INSA_10device_ptrIxEEEESG_SG_EENS0_5tupleIJPxSJ_EEENSR_IJSJ_SJ_EEES6_PlJS6_EEE10hipError_tPvRmT3_T4_T5_T6_T7_T9_mT8_P12ihipStream_tbDpT10_ENKUlT_T0_E_clISt17integral_constantIbLb1EES1F_EEDaS1A_S1B_EUlS1A_E_NS1_11comp_targetILNS1_3genE10ELNS1_11target_archE1200ELNS1_3gpuE4ELNS1_3repE0EEENS1_30default_config_static_selectorELNS0_4arch9wavefront6targetE1EEEvT1_
	.p2align	8
	.type	_ZN7rocprim17ROCPRIM_400000_NS6detail17trampoline_kernelINS0_14default_configENS1_25partition_config_selectorILNS1_17partition_subalgoE2ExNS0_10empty_typeEbEEZZNS1_14partition_implILS5_2ELb0ES3_jN6thrust23THRUST_200600_302600_NS6detail15normal_iteratorINSA_7pointerIxNSA_11hip_rocprim3tagENSA_11use_defaultESG_EEEEPS6_NSA_18transform_iteratorI7is_evenIxENSC_INSA_10device_ptrIxEEEESG_SG_EENS0_5tupleIJPxSJ_EEENSR_IJSJ_SJ_EEES6_PlJS6_EEE10hipError_tPvRmT3_T4_T5_T6_T7_T9_mT8_P12ihipStream_tbDpT10_ENKUlT_T0_E_clISt17integral_constantIbLb1EES1F_EEDaS1A_S1B_EUlS1A_E_NS1_11comp_targetILNS1_3genE10ELNS1_11target_archE1200ELNS1_3gpuE4ELNS1_3repE0EEENS1_30default_config_static_selectorELNS0_4arch9wavefront6targetE1EEEvT1_,@function
_ZN7rocprim17ROCPRIM_400000_NS6detail17trampoline_kernelINS0_14default_configENS1_25partition_config_selectorILNS1_17partition_subalgoE2ExNS0_10empty_typeEbEEZZNS1_14partition_implILS5_2ELb0ES3_jN6thrust23THRUST_200600_302600_NS6detail15normal_iteratorINSA_7pointerIxNSA_11hip_rocprim3tagENSA_11use_defaultESG_EEEEPS6_NSA_18transform_iteratorI7is_evenIxENSC_INSA_10device_ptrIxEEEESG_SG_EENS0_5tupleIJPxSJ_EEENSR_IJSJ_SJ_EEES6_PlJS6_EEE10hipError_tPvRmT3_T4_T5_T6_T7_T9_mT8_P12ihipStream_tbDpT10_ENKUlT_T0_E_clISt17integral_constantIbLb1EES1F_EEDaS1A_S1B_EUlS1A_E_NS1_11comp_targetILNS1_3genE10ELNS1_11target_archE1200ELNS1_3gpuE4ELNS1_3repE0EEENS1_30default_config_static_selectorELNS0_4arch9wavefront6targetE1EEEvT1_: ; @_ZN7rocprim17ROCPRIM_400000_NS6detail17trampoline_kernelINS0_14default_configENS1_25partition_config_selectorILNS1_17partition_subalgoE2ExNS0_10empty_typeEbEEZZNS1_14partition_implILS5_2ELb0ES3_jN6thrust23THRUST_200600_302600_NS6detail15normal_iteratorINSA_7pointerIxNSA_11hip_rocprim3tagENSA_11use_defaultESG_EEEEPS6_NSA_18transform_iteratorI7is_evenIxENSC_INSA_10device_ptrIxEEEESG_SG_EENS0_5tupleIJPxSJ_EEENSR_IJSJ_SJ_EEES6_PlJS6_EEE10hipError_tPvRmT3_T4_T5_T6_T7_T9_mT8_P12ihipStream_tbDpT10_ENKUlT_T0_E_clISt17integral_constantIbLb1EES1F_EEDaS1A_S1B_EUlS1A_E_NS1_11comp_targetILNS1_3genE10ELNS1_11target_archE1200ELNS1_3gpuE4ELNS1_3repE0EEENS1_30default_config_static_selectorELNS0_4arch9wavefront6targetE1EEEvT1_
; %bb.0:
	.section	.rodata,"a",@progbits
	.p2align	6, 0x0
	.amdhsa_kernel _ZN7rocprim17ROCPRIM_400000_NS6detail17trampoline_kernelINS0_14default_configENS1_25partition_config_selectorILNS1_17partition_subalgoE2ExNS0_10empty_typeEbEEZZNS1_14partition_implILS5_2ELb0ES3_jN6thrust23THRUST_200600_302600_NS6detail15normal_iteratorINSA_7pointerIxNSA_11hip_rocprim3tagENSA_11use_defaultESG_EEEEPS6_NSA_18transform_iteratorI7is_evenIxENSC_INSA_10device_ptrIxEEEESG_SG_EENS0_5tupleIJPxSJ_EEENSR_IJSJ_SJ_EEES6_PlJS6_EEE10hipError_tPvRmT3_T4_T5_T6_T7_T9_mT8_P12ihipStream_tbDpT10_ENKUlT_T0_E_clISt17integral_constantIbLb1EES1F_EEDaS1A_S1B_EUlS1A_E_NS1_11comp_targetILNS1_3genE10ELNS1_11target_archE1200ELNS1_3gpuE4ELNS1_3repE0EEENS1_30default_config_static_selectorELNS0_4arch9wavefront6targetE1EEEvT1_
		.amdhsa_group_segment_fixed_size 0
		.amdhsa_private_segment_fixed_size 0
		.amdhsa_kernarg_size 144
		.amdhsa_user_sgpr_count 2
		.amdhsa_user_sgpr_dispatch_ptr 0
		.amdhsa_user_sgpr_queue_ptr 0
		.amdhsa_user_sgpr_kernarg_segment_ptr 1
		.amdhsa_user_sgpr_dispatch_id 0
		.amdhsa_user_sgpr_kernarg_preload_length 0
		.amdhsa_user_sgpr_kernarg_preload_offset 0
		.amdhsa_user_sgpr_private_segment_size 0
		.amdhsa_uses_dynamic_stack 0
		.amdhsa_enable_private_segment 0
		.amdhsa_system_sgpr_workgroup_id_x 1
		.amdhsa_system_sgpr_workgroup_id_y 0
		.amdhsa_system_sgpr_workgroup_id_z 0
		.amdhsa_system_sgpr_workgroup_info 0
		.amdhsa_system_vgpr_workitem_id 0
		.amdhsa_next_free_vgpr 1
		.amdhsa_next_free_sgpr 0
		.amdhsa_accum_offset 4
		.amdhsa_reserve_vcc 0
		.amdhsa_float_round_mode_32 0
		.amdhsa_float_round_mode_16_64 0
		.amdhsa_float_denorm_mode_32 3
		.amdhsa_float_denorm_mode_16_64 3
		.amdhsa_dx10_clamp 1
		.amdhsa_ieee_mode 1
		.amdhsa_fp16_overflow 0
		.amdhsa_tg_split 0
		.amdhsa_exception_fp_ieee_invalid_op 0
		.amdhsa_exception_fp_denorm_src 0
		.amdhsa_exception_fp_ieee_div_zero 0
		.amdhsa_exception_fp_ieee_overflow 0
		.amdhsa_exception_fp_ieee_underflow 0
		.amdhsa_exception_fp_ieee_inexact 0
		.amdhsa_exception_int_div_zero 0
	.end_amdhsa_kernel
	.section	.text._ZN7rocprim17ROCPRIM_400000_NS6detail17trampoline_kernelINS0_14default_configENS1_25partition_config_selectorILNS1_17partition_subalgoE2ExNS0_10empty_typeEbEEZZNS1_14partition_implILS5_2ELb0ES3_jN6thrust23THRUST_200600_302600_NS6detail15normal_iteratorINSA_7pointerIxNSA_11hip_rocprim3tagENSA_11use_defaultESG_EEEEPS6_NSA_18transform_iteratorI7is_evenIxENSC_INSA_10device_ptrIxEEEESG_SG_EENS0_5tupleIJPxSJ_EEENSR_IJSJ_SJ_EEES6_PlJS6_EEE10hipError_tPvRmT3_T4_T5_T6_T7_T9_mT8_P12ihipStream_tbDpT10_ENKUlT_T0_E_clISt17integral_constantIbLb1EES1F_EEDaS1A_S1B_EUlS1A_E_NS1_11comp_targetILNS1_3genE10ELNS1_11target_archE1200ELNS1_3gpuE4ELNS1_3repE0EEENS1_30default_config_static_selectorELNS0_4arch9wavefront6targetE1EEEvT1_,"axG",@progbits,_ZN7rocprim17ROCPRIM_400000_NS6detail17trampoline_kernelINS0_14default_configENS1_25partition_config_selectorILNS1_17partition_subalgoE2ExNS0_10empty_typeEbEEZZNS1_14partition_implILS5_2ELb0ES3_jN6thrust23THRUST_200600_302600_NS6detail15normal_iteratorINSA_7pointerIxNSA_11hip_rocprim3tagENSA_11use_defaultESG_EEEEPS6_NSA_18transform_iteratorI7is_evenIxENSC_INSA_10device_ptrIxEEEESG_SG_EENS0_5tupleIJPxSJ_EEENSR_IJSJ_SJ_EEES6_PlJS6_EEE10hipError_tPvRmT3_T4_T5_T6_T7_T9_mT8_P12ihipStream_tbDpT10_ENKUlT_T0_E_clISt17integral_constantIbLb1EES1F_EEDaS1A_S1B_EUlS1A_E_NS1_11comp_targetILNS1_3genE10ELNS1_11target_archE1200ELNS1_3gpuE4ELNS1_3repE0EEENS1_30default_config_static_selectorELNS0_4arch9wavefront6targetE1EEEvT1_,comdat
.Lfunc_end203:
	.size	_ZN7rocprim17ROCPRIM_400000_NS6detail17trampoline_kernelINS0_14default_configENS1_25partition_config_selectorILNS1_17partition_subalgoE2ExNS0_10empty_typeEbEEZZNS1_14partition_implILS5_2ELb0ES3_jN6thrust23THRUST_200600_302600_NS6detail15normal_iteratorINSA_7pointerIxNSA_11hip_rocprim3tagENSA_11use_defaultESG_EEEEPS6_NSA_18transform_iteratorI7is_evenIxENSC_INSA_10device_ptrIxEEEESG_SG_EENS0_5tupleIJPxSJ_EEENSR_IJSJ_SJ_EEES6_PlJS6_EEE10hipError_tPvRmT3_T4_T5_T6_T7_T9_mT8_P12ihipStream_tbDpT10_ENKUlT_T0_E_clISt17integral_constantIbLb1EES1F_EEDaS1A_S1B_EUlS1A_E_NS1_11comp_targetILNS1_3genE10ELNS1_11target_archE1200ELNS1_3gpuE4ELNS1_3repE0EEENS1_30default_config_static_selectorELNS0_4arch9wavefront6targetE1EEEvT1_, .Lfunc_end203-_ZN7rocprim17ROCPRIM_400000_NS6detail17trampoline_kernelINS0_14default_configENS1_25partition_config_selectorILNS1_17partition_subalgoE2ExNS0_10empty_typeEbEEZZNS1_14partition_implILS5_2ELb0ES3_jN6thrust23THRUST_200600_302600_NS6detail15normal_iteratorINSA_7pointerIxNSA_11hip_rocprim3tagENSA_11use_defaultESG_EEEEPS6_NSA_18transform_iteratorI7is_evenIxENSC_INSA_10device_ptrIxEEEESG_SG_EENS0_5tupleIJPxSJ_EEENSR_IJSJ_SJ_EEES6_PlJS6_EEE10hipError_tPvRmT3_T4_T5_T6_T7_T9_mT8_P12ihipStream_tbDpT10_ENKUlT_T0_E_clISt17integral_constantIbLb1EES1F_EEDaS1A_S1B_EUlS1A_E_NS1_11comp_targetILNS1_3genE10ELNS1_11target_archE1200ELNS1_3gpuE4ELNS1_3repE0EEENS1_30default_config_static_selectorELNS0_4arch9wavefront6targetE1EEEvT1_
                                        ; -- End function
	.section	.AMDGPU.csdata,"",@progbits
; Kernel info:
; codeLenInByte = 0
; NumSgprs: 6
; NumVgprs: 0
; NumAgprs: 0
; TotalNumVgprs: 0
; ScratchSize: 0
; MemoryBound: 0
; FloatMode: 240
; IeeeMode: 1
; LDSByteSize: 0 bytes/workgroup (compile time only)
; SGPRBlocks: 0
; VGPRBlocks: 0
; NumSGPRsForWavesPerEU: 6
; NumVGPRsForWavesPerEU: 1
; AccumOffset: 4
; Occupancy: 8
; WaveLimiterHint : 0
; COMPUTE_PGM_RSRC2:SCRATCH_EN: 0
; COMPUTE_PGM_RSRC2:USER_SGPR: 2
; COMPUTE_PGM_RSRC2:TRAP_HANDLER: 0
; COMPUTE_PGM_RSRC2:TGID_X_EN: 1
; COMPUTE_PGM_RSRC2:TGID_Y_EN: 0
; COMPUTE_PGM_RSRC2:TGID_Z_EN: 0
; COMPUTE_PGM_RSRC2:TIDIG_COMP_CNT: 0
; COMPUTE_PGM_RSRC3_GFX90A:ACCUM_OFFSET: 0
; COMPUTE_PGM_RSRC3_GFX90A:TG_SPLIT: 0
	.section	.text._ZN7rocprim17ROCPRIM_400000_NS6detail17trampoline_kernelINS0_14default_configENS1_25partition_config_selectorILNS1_17partition_subalgoE2ExNS0_10empty_typeEbEEZZNS1_14partition_implILS5_2ELb0ES3_jN6thrust23THRUST_200600_302600_NS6detail15normal_iteratorINSA_7pointerIxNSA_11hip_rocprim3tagENSA_11use_defaultESG_EEEEPS6_NSA_18transform_iteratorI7is_evenIxENSC_INSA_10device_ptrIxEEEESG_SG_EENS0_5tupleIJPxSJ_EEENSR_IJSJ_SJ_EEES6_PlJS6_EEE10hipError_tPvRmT3_T4_T5_T6_T7_T9_mT8_P12ihipStream_tbDpT10_ENKUlT_T0_E_clISt17integral_constantIbLb1EES1F_EEDaS1A_S1B_EUlS1A_E_NS1_11comp_targetILNS1_3genE9ELNS1_11target_archE1100ELNS1_3gpuE3ELNS1_3repE0EEENS1_30default_config_static_selectorELNS0_4arch9wavefront6targetE1EEEvT1_,"axG",@progbits,_ZN7rocprim17ROCPRIM_400000_NS6detail17trampoline_kernelINS0_14default_configENS1_25partition_config_selectorILNS1_17partition_subalgoE2ExNS0_10empty_typeEbEEZZNS1_14partition_implILS5_2ELb0ES3_jN6thrust23THRUST_200600_302600_NS6detail15normal_iteratorINSA_7pointerIxNSA_11hip_rocprim3tagENSA_11use_defaultESG_EEEEPS6_NSA_18transform_iteratorI7is_evenIxENSC_INSA_10device_ptrIxEEEESG_SG_EENS0_5tupleIJPxSJ_EEENSR_IJSJ_SJ_EEES6_PlJS6_EEE10hipError_tPvRmT3_T4_T5_T6_T7_T9_mT8_P12ihipStream_tbDpT10_ENKUlT_T0_E_clISt17integral_constantIbLb1EES1F_EEDaS1A_S1B_EUlS1A_E_NS1_11comp_targetILNS1_3genE9ELNS1_11target_archE1100ELNS1_3gpuE3ELNS1_3repE0EEENS1_30default_config_static_selectorELNS0_4arch9wavefront6targetE1EEEvT1_,comdat
	.protected	_ZN7rocprim17ROCPRIM_400000_NS6detail17trampoline_kernelINS0_14default_configENS1_25partition_config_selectorILNS1_17partition_subalgoE2ExNS0_10empty_typeEbEEZZNS1_14partition_implILS5_2ELb0ES3_jN6thrust23THRUST_200600_302600_NS6detail15normal_iteratorINSA_7pointerIxNSA_11hip_rocprim3tagENSA_11use_defaultESG_EEEEPS6_NSA_18transform_iteratorI7is_evenIxENSC_INSA_10device_ptrIxEEEESG_SG_EENS0_5tupleIJPxSJ_EEENSR_IJSJ_SJ_EEES6_PlJS6_EEE10hipError_tPvRmT3_T4_T5_T6_T7_T9_mT8_P12ihipStream_tbDpT10_ENKUlT_T0_E_clISt17integral_constantIbLb1EES1F_EEDaS1A_S1B_EUlS1A_E_NS1_11comp_targetILNS1_3genE9ELNS1_11target_archE1100ELNS1_3gpuE3ELNS1_3repE0EEENS1_30default_config_static_selectorELNS0_4arch9wavefront6targetE1EEEvT1_ ; -- Begin function _ZN7rocprim17ROCPRIM_400000_NS6detail17trampoline_kernelINS0_14default_configENS1_25partition_config_selectorILNS1_17partition_subalgoE2ExNS0_10empty_typeEbEEZZNS1_14partition_implILS5_2ELb0ES3_jN6thrust23THRUST_200600_302600_NS6detail15normal_iteratorINSA_7pointerIxNSA_11hip_rocprim3tagENSA_11use_defaultESG_EEEEPS6_NSA_18transform_iteratorI7is_evenIxENSC_INSA_10device_ptrIxEEEESG_SG_EENS0_5tupleIJPxSJ_EEENSR_IJSJ_SJ_EEES6_PlJS6_EEE10hipError_tPvRmT3_T4_T5_T6_T7_T9_mT8_P12ihipStream_tbDpT10_ENKUlT_T0_E_clISt17integral_constantIbLb1EES1F_EEDaS1A_S1B_EUlS1A_E_NS1_11comp_targetILNS1_3genE9ELNS1_11target_archE1100ELNS1_3gpuE3ELNS1_3repE0EEENS1_30default_config_static_selectorELNS0_4arch9wavefront6targetE1EEEvT1_
	.globl	_ZN7rocprim17ROCPRIM_400000_NS6detail17trampoline_kernelINS0_14default_configENS1_25partition_config_selectorILNS1_17partition_subalgoE2ExNS0_10empty_typeEbEEZZNS1_14partition_implILS5_2ELb0ES3_jN6thrust23THRUST_200600_302600_NS6detail15normal_iteratorINSA_7pointerIxNSA_11hip_rocprim3tagENSA_11use_defaultESG_EEEEPS6_NSA_18transform_iteratorI7is_evenIxENSC_INSA_10device_ptrIxEEEESG_SG_EENS0_5tupleIJPxSJ_EEENSR_IJSJ_SJ_EEES6_PlJS6_EEE10hipError_tPvRmT3_T4_T5_T6_T7_T9_mT8_P12ihipStream_tbDpT10_ENKUlT_T0_E_clISt17integral_constantIbLb1EES1F_EEDaS1A_S1B_EUlS1A_E_NS1_11comp_targetILNS1_3genE9ELNS1_11target_archE1100ELNS1_3gpuE3ELNS1_3repE0EEENS1_30default_config_static_selectorELNS0_4arch9wavefront6targetE1EEEvT1_
	.p2align	8
	.type	_ZN7rocprim17ROCPRIM_400000_NS6detail17trampoline_kernelINS0_14default_configENS1_25partition_config_selectorILNS1_17partition_subalgoE2ExNS0_10empty_typeEbEEZZNS1_14partition_implILS5_2ELb0ES3_jN6thrust23THRUST_200600_302600_NS6detail15normal_iteratorINSA_7pointerIxNSA_11hip_rocprim3tagENSA_11use_defaultESG_EEEEPS6_NSA_18transform_iteratorI7is_evenIxENSC_INSA_10device_ptrIxEEEESG_SG_EENS0_5tupleIJPxSJ_EEENSR_IJSJ_SJ_EEES6_PlJS6_EEE10hipError_tPvRmT3_T4_T5_T6_T7_T9_mT8_P12ihipStream_tbDpT10_ENKUlT_T0_E_clISt17integral_constantIbLb1EES1F_EEDaS1A_S1B_EUlS1A_E_NS1_11comp_targetILNS1_3genE9ELNS1_11target_archE1100ELNS1_3gpuE3ELNS1_3repE0EEENS1_30default_config_static_selectorELNS0_4arch9wavefront6targetE1EEEvT1_,@function
_ZN7rocprim17ROCPRIM_400000_NS6detail17trampoline_kernelINS0_14default_configENS1_25partition_config_selectorILNS1_17partition_subalgoE2ExNS0_10empty_typeEbEEZZNS1_14partition_implILS5_2ELb0ES3_jN6thrust23THRUST_200600_302600_NS6detail15normal_iteratorINSA_7pointerIxNSA_11hip_rocprim3tagENSA_11use_defaultESG_EEEEPS6_NSA_18transform_iteratorI7is_evenIxENSC_INSA_10device_ptrIxEEEESG_SG_EENS0_5tupleIJPxSJ_EEENSR_IJSJ_SJ_EEES6_PlJS6_EEE10hipError_tPvRmT3_T4_T5_T6_T7_T9_mT8_P12ihipStream_tbDpT10_ENKUlT_T0_E_clISt17integral_constantIbLb1EES1F_EEDaS1A_S1B_EUlS1A_E_NS1_11comp_targetILNS1_3genE9ELNS1_11target_archE1100ELNS1_3gpuE3ELNS1_3repE0EEENS1_30default_config_static_selectorELNS0_4arch9wavefront6targetE1EEEvT1_: ; @_ZN7rocprim17ROCPRIM_400000_NS6detail17trampoline_kernelINS0_14default_configENS1_25partition_config_selectorILNS1_17partition_subalgoE2ExNS0_10empty_typeEbEEZZNS1_14partition_implILS5_2ELb0ES3_jN6thrust23THRUST_200600_302600_NS6detail15normal_iteratorINSA_7pointerIxNSA_11hip_rocprim3tagENSA_11use_defaultESG_EEEEPS6_NSA_18transform_iteratorI7is_evenIxENSC_INSA_10device_ptrIxEEEESG_SG_EENS0_5tupleIJPxSJ_EEENSR_IJSJ_SJ_EEES6_PlJS6_EEE10hipError_tPvRmT3_T4_T5_T6_T7_T9_mT8_P12ihipStream_tbDpT10_ENKUlT_T0_E_clISt17integral_constantIbLb1EES1F_EEDaS1A_S1B_EUlS1A_E_NS1_11comp_targetILNS1_3genE9ELNS1_11target_archE1100ELNS1_3gpuE3ELNS1_3repE0EEENS1_30default_config_static_selectorELNS0_4arch9wavefront6targetE1EEEvT1_
; %bb.0:
	.section	.rodata,"a",@progbits
	.p2align	6, 0x0
	.amdhsa_kernel _ZN7rocprim17ROCPRIM_400000_NS6detail17trampoline_kernelINS0_14default_configENS1_25partition_config_selectorILNS1_17partition_subalgoE2ExNS0_10empty_typeEbEEZZNS1_14partition_implILS5_2ELb0ES3_jN6thrust23THRUST_200600_302600_NS6detail15normal_iteratorINSA_7pointerIxNSA_11hip_rocprim3tagENSA_11use_defaultESG_EEEEPS6_NSA_18transform_iteratorI7is_evenIxENSC_INSA_10device_ptrIxEEEESG_SG_EENS0_5tupleIJPxSJ_EEENSR_IJSJ_SJ_EEES6_PlJS6_EEE10hipError_tPvRmT3_T4_T5_T6_T7_T9_mT8_P12ihipStream_tbDpT10_ENKUlT_T0_E_clISt17integral_constantIbLb1EES1F_EEDaS1A_S1B_EUlS1A_E_NS1_11comp_targetILNS1_3genE9ELNS1_11target_archE1100ELNS1_3gpuE3ELNS1_3repE0EEENS1_30default_config_static_selectorELNS0_4arch9wavefront6targetE1EEEvT1_
		.amdhsa_group_segment_fixed_size 0
		.amdhsa_private_segment_fixed_size 0
		.amdhsa_kernarg_size 144
		.amdhsa_user_sgpr_count 2
		.amdhsa_user_sgpr_dispatch_ptr 0
		.amdhsa_user_sgpr_queue_ptr 0
		.amdhsa_user_sgpr_kernarg_segment_ptr 1
		.amdhsa_user_sgpr_dispatch_id 0
		.amdhsa_user_sgpr_kernarg_preload_length 0
		.amdhsa_user_sgpr_kernarg_preload_offset 0
		.amdhsa_user_sgpr_private_segment_size 0
		.amdhsa_uses_dynamic_stack 0
		.amdhsa_enable_private_segment 0
		.amdhsa_system_sgpr_workgroup_id_x 1
		.amdhsa_system_sgpr_workgroup_id_y 0
		.amdhsa_system_sgpr_workgroup_id_z 0
		.amdhsa_system_sgpr_workgroup_info 0
		.amdhsa_system_vgpr_workitem_id 0
		.amdhsa_next_free_vgpr 1
		.amdhsa_next_free_sgpr 0
		.amdhsa_accum_offset 4
		.amdhsa_reserve_vcc 0
		.amdhsa_float_round_mode_32 0
		.amdhsa_float_round_mode_16_64 0
		.amdhsa_float_denorm_mode_32 3
		.amdhsa_float_denorm_mode_16_64 3
		.amdhsa_dx10_clamp 1
		.amdhsa_ieee_mode 1
		.amdhsa_fp16_overflow 0
		.amdhsa_tg_split 0
		.amdhsa_exception_fp_ieee_invalid_op 0
		.amdhsa_exception_fp_denorm_src 0
		.amdhsa_exception_fp_ieee_div_zero 0
		.amdhsa_exception_fp_ieee_overflow 0
		.amdhsa_exception_fp_ieee_underflow 0
		.amdhsa_exception_fp_ieee_inexact 0
		.amdhsa_exception_int_div_zero 0
	.end_amdhsa_kernel
	.section	.text._ZN7rocprim17ROCPRIM_400000_NS6detail17trampoline_kernelINS0_14default_configENS1_25partition_config_selectorILNS1_17partition_subalgoE2ExNS0_10empty_typeEbEEZZNS1_14partition_implILS5_2ELb0ES3_jN6thrust23THRUST_200600_302600_NS6detail15normal_iteratorINSA_7pointerIxNSA_11hip_rocprim3tagENSA_11use_defaultESG_EEEEPS6_NSA_18transform_iteratorI7is_evenIxENSC_INSA_10device_ptrIxEEEESG_SG_EENS0_5tupleIJPxSJ_EEENSR_IJSJ_SJ_EEES6_PlJS6_EEE10hipError_tPvRmT3_T4_T5_T6_T7_T9_mT8_P12ihipStream_tbDpT10_ENKUlT_T0_E_clISt17integral_constantIbLb1EES1F_EEDaS1A_S1B_EUlS1A_E_NS1_11comp_targetILNS1_3genE9ELNS1_11target_archE1100ELNS1_3gpuE3ELNS1_3repE0EEENS1_30default_config_static_selectorELNS0_4arch9wavefront6targetE1EEEvT1_,"axG",@progbits,_ZN7rocprim17ROCPRIM_400000_NS6detail17trampoline_kernelINS0_14default_configENS1_25partition_config_selectorILNS1_17partition_subalgoE2ExNS0_10empty_typeEbEEZZNS1_14partition_implILS5_2ELb0ES3_jN6thrust23THRUST_200600_302600_NS6detail15normal_iteratorINSA_7pointerIxNSA_11hip_rocprim3tagENSA_11use_defaultESG_EEEEPS6_NSA_18transform_iteratorI7is_evenIxENSC_INSA_10device_ptrIxEEEESG_SG_EENS0_5tupleIJPxSJ_EEENSR_IJSJ_SJ_EEES6_PlJS6_EEE10hipError_tPvRmT3_T4_T5_T6_T7_T9_mT8_P12ihipStream_tbDpT10_ENKUlT_T0_E_clISt17integral_constantIbLb1EES1F_EEDaS1A_S1B_EUlS1A_E_NS1_11comp_targetILNS1_3genE9ELNS1_11target_archE1100ELNS1_3gpuE3ELNS1_3repE0EEENS1_30default_config_static_selectorELNS0_4arch9wavefront6targetE1EEEvT1_,comdat
.Lfunc_end204:
	.size	_ZN7rocprim17ROCPRIM_400000_NS6detail17trampoline_kernelINS0_14default_configENS1_25partition_config_selectorILNS1_17partition_subalgoE2ExNS0_10empty_typeEbEEZZNS1_14partition_implILS5_2ELb0ES3_jN6thrust23THRUST_200600_302600_NS6detail15normal_iteratorINSA_7pointerIxNSA_11hip_rocprim3tagENSA_11use_defaultESG_EEEEPS6_NSA_18transform_iteratorI7is_evenIxENSC_INSA_10device_ptrIxEEEESG_SG_EENS0_5tupleIJPxSJ_EEENSR_IJSJ_SJ_EEES6_PlJS6_EEE10hipError_tPvRmT3_T4_T5_T6_T7_T9_mT8_P12ihipStream_tbDpT10_ENKUlT_T0_E_clISt17integral_constantIbLb1EES1F_EEDaS1A_S1B_EUlS1A_E_NS1_11comp_targetILNS1_3genE9ELNS1_11target_archE1100ELNS1_3gpuE3ELNS1_3repE0EEENS1_30default_config_static_selectorELNS0_4arch9wavefront6targetE1EEEvT1_, .Lfunc_end204-_ZN7rocprim17ROCPRIM_400000_NS6detail17trampoline_kernelINS0_14default_configENS1_25partition_config_selectorILNS1_17partition_subalgoE2ExNS0_10empty_typeEbEEZZNS1_14partition_implILS5_2ELb0ES3_jN6thrust23THRUST_200600_302600_NS6detail15normal_iteratorINSA_7pointerIxNSA_11hip_rocprim3tagENSA_11use_defaultESG_EEEEPS6_NSA_18transform_iteratorI7is_evenIxENSC_INSA_10device_ptrIxEEEESG_SG_EENS0_5tupleIJPxSJ_EEENSR_IJSJ_SJ_EEES6_PlJS6_EEE10hipError_tPvRmT3_T4_T5_T6_T7_T9_mT8_P12ihipStream_tbDpT10_ENKUlT_T0_E_clISt17integral_constantIbLb1EES1F_EEDaS1A_S1B_EUlS1A_E_NS1_11comp_targetILNS1_3genE9ELNS1_11target_archE1100ELNS1_3gpuE3ELNS1_3repE0EEENS1_30default_config_static_selectorELNS0_4arch9wavefront6targetE1EEEvT1_
                                        ; -- End function
	.section	.AMDGPU.csdata,"",@progbits
; Kernel info:
; codeLenInByte = 0
; NumSgprs: 6
; NumVgprs: 0
; NumAgprs: 0
; TotalNumVgprs: 0
; ScratchSize: 0
; MemoryBound: 0
; FloatMode: 240
; IeeeMode: 1
; LDSByteSize: 0 bytes/workgroup (compile time only)
; SGPRBlocks: 0
; VGPRBlocks: 0
; NumSGPRsForWavesPerEU: 6
; NumVGPRsForWavesPerEU: 1
; AccumOffset: 4
; Occupancy: 8
; WaveLimiterHint : 0
; COMPUTE_PGM_RSRC2:SCRATCH_EN: 0
; COMPUTE_PGM_RSRC2:USER_SGPR: 2
; COMPUTE_PGM_RSRC2:TRAP_HANDLER: 0
; COMPUTE_PGM_RSRC2:TGID_X_EN: 1
; COMPUTE_PGM_RSRC2:TGID_Y_EN: 0
; COMPUTE_PGM_RSRC2:TGID_Z_EN: 0
; COMPUTE_PGM_RSRC2:TIDIG_COMP_CNT: 0
; COMPUTE_PGM_RSRC3_GFX90A:ACCUM_OFFSET: 0
; COMPUTE_PGM_RSRC3_GFX90A:TG_SPLIT: 0
	.section	.text._ZN7rocprim17ROCPRIM_400000_NS6detail17trampoline_kernelINS0_14default_configENS1_25partition_config_selectorILNS1_17partition_subalgoE2ExNS0_10empty_typeEbEEZZNS1_14partition_implILS5_2ELb0ES3_jN6thrust23THRUST_200600_302600_NS6detail15normal_iteratorINSA_7pointerIxNSA_11hip_rocprim3tagENSA_11use_defaultESG_EEEEPS6_NSA_18transform_iteratorI7is_evenIxENSC_INSA_10device_ptrIxEEEESG_SG_EENS0_5tupleIJPxSJ_EEENSR_IJSJ_SJ_EEES6_PlJS6_EEE10hipError_tPvRmT3_T4_T5_T6_T7_T9_mT8_P12ihipStream_tbDpT10_ENKUlT_T0_E_clISt17integral_constantIbLb1EES1F_EEDaS1A_S1B_EUlS1A_E_NS1_11comp_targetILNS1_3genE8ELNS1_11target_archE1030ELNS1_3gpuE2ELNS1_3repE0EEENS1_30default_config_static_selectorELNS0_4arch9wavefront6targetE1EEEvT1_,"axG",@progbits,_ZN7rocprim17ROCPRIM_400000_NS6detail17trampoline_kernelINS0_14default_configENS1_25partition_config_selectorILNS1_17partition_subalgoE2ExNS0_10empty_typeEbEEZZNS1_14partition_implILS5_2ELb0ES3_jN6thrust23THRUST_200600_302600_NS6detail15normal_iteratorINSA_7pointerIxNSA_11hip_rocprim3tagENSA_11use_defaultESG_EEEEPS6_NSA_18transform_iteratorI7is_evenIxENSC_INSA_10device_ptrIxEEEESG_SG_EENS0_5tupleIJPxSJ_EEENSR_IJSJ_SJ_EEES6_PlJS6_EEE10hipError_tPvRmT3_T4_T5_T6_T7_T9_mT8_P12ihipStream_tbDpT10_ENKUlT_T0_E_clISt17integral_constantIbLb1EES1F_EEDaS1A_S1B_EUlS1A_E_NS1_11comp_targetILNS1_3genE8ELNS1_11target_archE1030ELNS1_3gpuE2ELNS1_3repE0EEENS1_30default_config_static_selectorELNS0_4arch9wavefront6targetE1EEEvT1_,comdat
	.protected	_ZN7rocprim17ROCPRIM_400000_NS6detail17trampoline_kernelINS0_14default_configENS1_25partition_config_selectorILNS1_17partition_subalgoE2ExNS0_10empty_typeEbEEZZNS1_14partition_implILS5_2ELb0ES3_jN6thrust23THRUST_200600_302600_NS6detail15normal_iteratorINSA_7pointerIxNSA_11hip_rocprim3tagENSA_11use_defaultESG_EEEEPS6_NSA_18transform_iteratorI7is_evenIxENSC_INSA_10device_ptrIxEEEESG_SG_EENS0_5tupleIJPxSJ_EEENSR_IJSJ_SJ_EEES6_PlJS6_EEE10hipError_tPvRmT3_T4_T5_T6_T7_T9_mT8_P12ihipStream_tbDpT10_ENKUlT_T0_E_clISt17integral_constantIbLb1EES1F_EEDaS1A_S1B_EUlS1A_E_NS1_11comp_targetILNS1_3genE8ELNS1_11target_archE1030ELNS1_3gpuE2ELNS1_3repE0EEENS1_30default_config_static_selectorELNS0_4arch9wavefront6targetE1EEEvT1_ ; -- Begin function _ZN7rocprim17ROCPRIM_400000_NS6detail17trampoline_kernelINS0_14default_configENS1_25partition_config_selectorILNS1_17partition_subalgoE2ExNS0_10empty_typeEbEEZZNS1_14partition_implILS5_2ELb0ES3_jN6thrust23THRUST_200600_302600_NS6detail15normal_iteratorINSA_7pointerIxNSA_11hip_rocprim3tagENSA_11use_defaultESG_EEEEPS6_NSA_18transform_iteratorI7is_evenIxENSC_INSA_10device_ptrIxEEEESG_SG_EENS0_5tupleIJPxSJ_EEENSR_IJSJ_SJ_EEES6_PlJS6_EEE10hipError_tPvRmT3_T4_T5_T6_T7_T9_mT8_P12ihipStream_tbDpT10_ENKUlT_T0_E_clISt17integral_constantIbLb1EES1F_EEDaS1A_S1B_EUlS1A_E_NS1_11comp_targetILNS1_3genE8ELNS1_11target_archE1030ELNS1_3gpuE2ELNS1_3repE0EEENS1_30default_config_static_selectorELNS0_4arch9wavefront6targetE1EEEvT1_
	.globl	_ZN7rocprim17ROCPRIM_400000_NS6detail17trampoline_kernelINS0_14default_configENS1_25partition_config_selectorILNS1_17partition_subalgoE2ExNS0_10empty_typeEbEEZZNS1_14partition_implILS5_2ELb0ES3_jN6thrust23THRUST_200600_302600_NS6detail15normal_iteratorINSA_7pointerIxNSA_11hip_rocprim3tagENSA_11use_defaultESG_EEEEPS6_NSA_18transform_iteratorI7is_evenIxENSC_INSA_10device_ptrIxEEEESG_SG_EENS0_5tupleIJPxSJ_EEENSR_IJSJ_SJ_EEES6_PlJS6_EEE10hipError_tPvRmT3_T4_T5_T6_T7_T9_mT8_P12ihipStream_tbDpT10_ENKUlT_T0_E_clISt17integral_constantIbLb1EES1F_EEDaS1A_S1B_EUlS1A_E_NS1_11comp_targetILNS1_3genE8ELNS1_11target_archE1030ELNS1_3gpuE2ELNS1_3repE0EEENS1_30default_config_static_selectorELNS0_4arch9wavefront6targetE1EEEvT1_
	.p2align	8
	.type	_ZN7rocprim17ROCPRIM_400000_NS6detail17trampoline_kernelINS0_14default_configENS1_25partition_config_selectorILNS1_17partition_subalgoE2ExNS0_10empty_typeEbEEZZNS1_14partition_implILS5_2ELb0ES3_jN6thrust23THRUST_200600_302600_NS6detail15normal_iteratorINSA_7pointerIxNSA_11hip_rocprim3tagENSA_11use_defaultESG_EEEEPS6_NSA_18transform_iteratorI7is_evenIxENSC_INSA_10device_ptrIxEEEESG_SG_EENS0_5tupleIJPxSJ_EEENSR_IJSJ_SJ_EEES6_PlJS6_EEE10hipError_tPvRmT3_T4_T5_T6_T7_T9_mT8_P12ihipStream_tbDpT10_ENKUlT_T0_E_clISt17integral_constantIbLb1EES1F_EEDaS1A_S1B_EUlS1A_E_NS1_11comp_targetILNS1_3genE8ELNS1_11target_archE1030ELNS1_3gpuE2ELNS1_3repE0EEENS1_30default_config_static_selectorELNS0_4arch9wavefront6targetE1EEEvT1_,@function
_ZN7rocprim17ROCPRIM_400000_NS6detail17trampoline_kernelINS0_14default_configENS1_25partition_config_selectorILNS1_17partition_subalgoE2ExNS0_10empty_typeEbEEZZNS1_14partition_implILS5_2ELb0ES3_jN6thrust23THRUST_200600_302600_NS6detail15normal_iteratorINSA_7pointerIxNSA_11hip_rocprim3tagENSA_11use_defaultESG_EEEEPS6_NSA_18transform_iteratorI7is_evenIxENSC_INSA_10device_ptrIxEEEESG_SG_EENS0_5tupleIJPxSJ_EEENSR_IJSJ_SJ_EEES6_PlJS6_EEE10hipError_tPvRmT3_T4_T5_T6_T7_T9_mT8_P12ihipStream_tbDpT10_ENKUlT_T0_E_clISt17integral_constantIbLb1EES1F_EEDaS1A_S1B_EUlS1A_E_NS1_11comp_targetILNS1_3genE8ELNS1_11target_archE1030ELNS1_3gpuE2ELNS1_3repE0EEENS1_30default_config_static_selectorELNS0_4arch9wavefront6targetE1EEEvT1_: ; @_ZN7rocprim17ROCPRIM_400000_NS6detail17trampoline_kernelINS0_14default_configENS1_25partition_config_selectorILNS1_17partition_subalgoE2ExNS0_10empty_typeEbEEZZNS1_14partition_implILS5_2ELb0ES3_jN6thrust23THRUST_200600_302600_NS6detail15normal_iteratorINSA_7pointerIxNSA_11hip_rocprim3tagENSA_11use_defaultESG_EEEEPS6_NSA_18transform_iteratorI7is_evenIxENSC_INSA_10device_ptrIxEEEESG_SG_EENS0_5tupleIJPxSJ_EEENSR_IJSJ_SJ_EEES6_PlJS6_EEE10hipError_tPvRmT3_T4_T5_T6_T7_T9_mT8_P12ihipStream_tbDpT10_ENKUlT_T0_E_clISt17integral_constantIbLb1EES1F_EEDaS1A_S1B_EUlS1A_E_NS1_11comp_targetILNS1_3genE8ELNS1_11target_archE1030ELNS1_3gpuE2ELNS1_3repE0EEENS1_30default_config_static_selectorELNS0_4arch9wavefront6targetE1EEEvT1_
; %bb.0:
	.section	.rodata,"a",@progbits
	.p2align	6, 0x0
	.amdhsa_kernel _ZN7rocprim17ROCPRIM_400000_NS6detail17trampoline_kernelINS0_14default_configENS1_25partition_config_selectorILNS1_17partition_subalgoE2ExNS0_10empty_typeEbEEZZNS1_14partition_implILS5_2ELb0ES3_jN6thrust23THRUST_200600_302600_NS6detail15normal_iteratorINSA_7pointerIxNSA_11hip_rocprim3tagENSA_11use_defaultESG_EEEEPS6_NSA_18transform_iteratorI7is_evenIxENSC_INSA_10device_ptrIxEEEESG_SG_EENS0_5tupleIJPxSJ_EEENSR_IJSJ_SJ_EEES6_PlJS6_EEE10hipError_tPvRmT3_T4_T5_T6_T7_T9_mT8_P12ihipStream_tbDpT10_ENKUlT_T0_E_clISt17integral_constantIbLb1EES1F_EEDaS1A_S1B_EUlS1A_E_NS1_11comp_targetILNS1_3genE8ELNS1_11target_archE1030ELNS1_3gpuE2ELNS1_3repE0EEENS1_30default_config_static_selectorELNS0_4arch9wavefront6targetE1EEEvT1_
		.amdhsa_group_segment_fixed_size 0
		.amdhsa_private_segment_fixed_size 0
		.amdhsa_kernarg_size 144
		.amdhsa_user_sgpr_count 2
		.amdhsa_user_sgpr_dispatch_ptr 0
		.amdhsa_user_sgpr_queue_ptr 0
		.amdhsa_user_sgpr_kernarg_segment_ptr 1
		.amdhsa_user_sgpr_dispatch_id 0
		.amdhsa_user_sgpr_kernarg_preload_length 0
		.amdhsa_user_sgpr_kernarg_preload_offset 0
		.amdhsa_user_sgpr_private_segment_size 0
		.amdhsa_uses_dynamic_stack 0
		.amdhsa_enable_private_segment 0
		.amdhsa_system_sgpr_workgroup_id_x 1
		.amdhsa_system_sgpr_workgroup_id_y 0
		.amdhsa_system_sgpr_workgroup_id_z 0
		.amdhsa_system_sgpr_workgroup_info 0
		.amdhsa_system_vgpr_workitem_id 0
		.amdhsa_next_free_vgpr 1
		.amdhsa_next_free_sgpr 0
		.amdhsa_accum_offset 4
		.amdhsa_reserve_vcc 0
		.amdhsa_float_round_mode_32 0
		.amdhsa_float_round_mode_16_64 0
		.amdhsa_float_denorm_mode_32 3
		.amdhsa_float_denorm_mode_16_64 3
		.amdhsa_dx10_clamp 1
		.amdhsa_ieee_mode 1
		.amdhsa_fp16_overflow 0
		.amdhsa_tg_split 0
		.amdhsa_exception_fp_ieee_invalid_op 0
		.amdhsa_exception_fp_denorm_src 0
		.amdhsa_exception_fp_ieee_div_zero 0
		.amdhsa_exception_fp_ieee_overflow 0
		.amdhsa_exception_fp_ieee_underflow 0
		.amdhsa_exception_fp_ieee_inexact 0
		.amdhsa_exception_int_div_zero 0
	.end_amdhsa_kernel
	.section	.text._ZN7rocprim17ROCPRIM_400000_NS6detail17trampoline_kernelINS0_14default_configENS1_25partition_config_selectorILNS1_17partition_subalgoE2ExNS0_10empty_typeEbEEZZNS1_14partition_implILS5_2ELb0ES3_jN6thrust23THRUST_200600_302600_NS6detail15normal_iteratorINSA_7pointerIxNSA_11hip_rocprim3tagENSA_11use_defaultESG_EEEEPS6_NSA_18transform_iteratorI7is_evenIxENSC_INSA_10device_ptrIxEEEESG_SG_EENS0_5tupleIJPxSJ_EEENSR_IJSJ_SJ_EEES6_PlJS6_EEE10hipError_tPvRmT3_T4_T5_T6_T7_T9_mT8_P12ihipStream_tbDpT10_ENKUlT_T0_E_clISt17integral_constantIbLb1EES1F_EEDaS1A_S1B_EUlS1A_E_NS1_11comp_targetILNS1_3genE8ELNS1_11target_archE1030ELNS1_3gpuE2ELNS1_3repE0EEENS1_30default_config_static_selectorELNS0_4arch9wavefront6targetE1EEEvT1_,"axG",@progbits,_ZN7rocprim17ROCPRIM_400000_NS6detail17trampoline_kernelINS0_14default_configENS1_25partition_config_selectorILNS1_17partition_subalgoE2ExNS0_10empty_typeEbEEZZNS1_14partition_implILS5_2ELb0ES3_jN6thrust23THRUST_200600_302600_NS6detail15normal_iteratorINSA_7pointerIxNSA_11hip_rocprim3tagENSA_11use_defaultESG_EEEEPS6_NSA_18transform_iteratorI7is_evenIxENSC_INSA_10device_ptrIxEEEESG_SG_EENS0_5tupleIJPxSJ_EEENSR_IJSJ_SJ_EEES6_PlJS6_EEE10hipError_tPvRmT3_T4_T5_T6_T7_T9_mT8_P12ihipStream_tbDpT10_ENKUlT_T0_E_clISt17integral_constantIbLb1EES1F_EEDaS1A_S1B_EUlS1A_E_NS1_11comp_targetILNS1_3genE8ELNS1_11target_archE1030ELNS1_3gpuE2ELNS1_3repE0EEENS1_30default_config_static_selectorELNS0_4arch9wavefront6targetE1EEEvT1_,comdat
.Lfunc_end205:
	.size	_ZN7rocprim17ROCPRIM_400000_NS6detail17trampoline_kernelINS0_14default_configENS1_25partition_config_selectorILNS1_17partition_subalgoE2ExNS0_10empty_typeEbEEZZNS1_14partition_implILS5_2ELb0ES3_jN6thrust23THRUST_200600_302600_NS6detail15normal_iteratorINSA_7pointerIxNSA_11hip_rocprim3tagENSA_11use_defaultESG_EEEEPS6_NSA_18transform_iteratorI7is_evenIxENSC_INSA_10device_ptrIxEEEESG_SG_EENS0_5tupleIJPxSJ_EEENSR_IJSJ_SJ_EEES6_PlJS6_EEE10hipError_tPvRmT3_T4_T5_T6_T7_T9_mT8_P12ihipStream_tbDpT10_ENKUlT_T0_E_clISt17integral_constantIbLb1EES1F_EEDaS1A_S1B_EUlS1A_E_NS1_11comp_targetILNS1_3genE8ELNS1_11target_archE1030ELNS1_3gpuE2ELNS1_3repE0EEENS1_30default_config_static_selectorELNS0_4arch9wavefront6targetE1EEEvT1_, .Lfunc_end205-_ZN7rocprim17ROCPRIM_400000_NS6detail17trampoline_kernelINS0_14default_configENS1_25partition_config_selectorILNS1_17partition_subalgoE2ExNS0_10empty_typeEbEEZZNS1_14partition_implILS5_2ELb0ES3_jN6thrust23THRUST_200600_302600_NS6detail15normal_iteratorINSA_7pointerIxNSA_11hip_rocprim3tagENSA_11use_defaultESG_EEEEPS6_NSA_18transform_iteratorI7is_evenIxENSC_INSA_10device_ptrIxEEEESG_SG_EENS0_5tupleIJPxSJ_EEENSR_IJSJ_SJ_EEES6_PlJS6_EEE10hipError_tPvRmT3_T4_T5_T6_T7_T9_mT8_P12ihipStream_tbDpT10_ENKUlT_T0_E_clISt17integral_constantIbLb1EES1F_EEDaS1A_S1B_EUlS1A_E_NS1_11comp_targetILNS1_3genE8ELNS1_11target_archE1030ELNS1_3gpuE2ELNS1_3repE0EEENS1_30default_config_static_selectorELNS0_4arch9wavefront6targetE1EEEvT1_
                                        ; -- End function
	.section	.AMDGPU.csdata,"",@progbits
; Kernel info:
; codeLenInByte = 0
; NumSgprs: 6
; NumVgprs: 0
; NumAgprs: 0
; TotalNumVgprs: 0
; ScratchSize: 0
; MemoryBound: 0
; FloatMode: 240
; IeeeMode: 1
; LDSByteSize: 0 bytes/workgroup (compile time only)
; SGPRBlocks: 0
; VGPRBlocks: 0
; NumSGPRsForWavesPerEU: 6
; NumVGPRsForWavesPerEU: 1
; AccumOffset: 4
; Occupancy: 8
; WaveLimiterHint : 0
; COMPUTE_PGM_RSRC2:SCRATCH_EN: 0
; COMPUTE_PGM_RSRC2:USER_SGPR: 2
; COMPUTE_PGM_RSRC2:TRAP_HANDLER: 0
; COMPUTE_PGM_RSRC2:TGID_X_EN: 1
; COMPUTE_PGM_RSRC2:TGID_Y_EN: 0
; COMPUTE_PGM_RSRC2:TGID_Z_EN: 0
; COMPUTE_PGM_RSRC2:TIDIG_COMP_CNT: 0
; COMPUTE_PGM_RSRC3_GFX90A:ACCUM_OFFSET: 0
; COMPUTE_PGM_RSRC3_GFX90A:TG_SPLIT: 0
	.section	.text._ZN7rocprim17ROCPRIM_400000_NS6detail17trampoline_kernelINS0_14default_configENS1_25partition_config_selectorILNS1_17partition_subalgoE2ExNS0_10empty_typeEbEEZZNS1_14partition_implILS5_2ELb0ES3_jN6thrust23THRUST_200600_302600_NS6detail15normal_iteratorINSA_7pointerIxNSA_11hip_rocprim3tagENSA_11use_defaultESG_EEEEPS6_NSA_18transform_iteratorI7is_evenIxENSC_INSA_10device_ptrIxEEEESG_SG_EENS0_5tupleIJPxSJ_EEENSR_IJSJ_SJ_EEES6_PlJS6_EEE10hipError_tPvRmT3_T4_T5_T6_T7_T9_mT8_P12ihipStream_tbDpT10_ENKUlT_T0_E_clISt17integral_constantIbLb1EES1E_IbLb0EEEEDaS1A_S1B_EUlS1A_E_NS1_11comp_targetILNS1_3genE0ELNS1_11target_archE4294967295ELNS1_3gpuE0ELNS1_3repE0EEENS1_30default_config_static_selectorELNS0_4arch9wavefront6targetE1EEEvT1_,"axG",@progbits,_ZN7rocprim17ROCPRIM_400000_NS6detail17trampoline_kernelINS0_14default_configENS1_25partition_config_selectorILNS1_17partition_subalgoE2ExNS0_10empty_typeEbEEZZNS1_14partition_implILS5_2ELb0ES3_jN6thrust23THRUST_200600_302600_NS6detail15normal_iteratorINSA_7pointerIxNSA_11hip_rocprim3tagENSA_11use_defaultESG_EEEEPS6_NSA_18transform_iteratorI7is_evenIxENSC_INSA_10device_ptrIxEEEESG_SG_EENS0_5tupleIJPxSJ_EEENSR_IJSJ_SJ_EEES6_PlJS6_EEE10hipError_tPvRmT3_T4_T5_T6_T7_T9_mT8_P12ihipStream_tbDpT10_ENKUlT_T0_E_clISt17integral_constantIbLb1EES1E_IbLb0EEEEDaS1A_S1B_EUlS1A_E_NS1_11comp_targetILNS1_3genE0ELNS1_11target_archE4294967295ELNS1_3gpuE0ELNS1_3repE0EEENS1_30default_config_static_selectorELNS0_4arch9wavefront6targetE1EEEvT1_,comdat
	.protected	_ZN7rocprim17ROCPRIM_400000_NS6detail17trampoline_kernelINS0_14default_configENS1_25partition_config_selectorILNS1_17partition_subalgoE2ExNS0_10empty_typeEbEEZZNS1_14partition_implILS5_2ELb0ES3_jN6thrust23THRUST_200600_302600_NS6detail15normal_iteratorINSA_7pointerIxNSA_11hip_rocprim3tagENSA_11use_defaultESG_EEEEPS6_NSA_18transform_iteratorI7is_evenIxENSC_INSA_10device_ptrIxEEEESG_SG_EENS0_5tupleIJPxSJ_EEENSR_IJSJ_SJ_EEES6_PlJS6_EEE10hipError_tPvRmT3_T4_T5_T6_T7_T9_mT8_P12ihipStream_tbDpT10_ENKUlT_T0_E_clISt17integral_constantIbLb1EES1E_IbLb0EEEEDaS1A_S1B_EUlS1A_E_NS1_11comp_targetILNS1_3genE0ELNS1_11target_archE4294967295ELNS1_3gpuE0ELNS1_3repE0EEENS1_30default_config_static_selectorELNS0_4arch9wavefront6targetE1EEEvT1_ ; -- Begin function _ZN7rocprim17ROCPRIM_400000_NS6detail17trampoline_kernelINS0_14default_configENS1_25partition_config_selectorILNS1_17partition_subalgoE2ExNS0_10empty_typeEbEEZZNS1_14partition_implILS5_2ELb0ES3_jN6thrust23THRUST_200600_302600_NS6detail15normal_iteratorINSA_7pointerIxNSA_11hip_rocprim3tagENSA_11use_defaultESG_EEEEPS6_NSA_18transform_iteratorI7is_evenIxENSC_INSA_10device_ptrIxEEEESG_SG_EENS0_5tupleIJPxSJ_EEENSR_IJSJ_SJ_EEES6_PlJS6_EEE10hipError_tPvRmT3_T4_T5_T6_T7_T9_mT8_P12ihipStream_tbDpT10_ENKUlT_T0_E_clISt17integral_constantIbLb1EES1E_IbLb0EEEEDaS1A_S1B_EUlS1A_E_NS1_11comp_targetILNS1_3genE0ELNS1_11target_archE4294967295ELNS1_3gpuE0ELNS1_3repE0EEENS1_30default_config_static_selectorELNS0_4arch9wavefront6targetE1EEEvT1_
	.globl	_ZN7rocprim17ROCPRIM_400000_NS6detail17trampoline_kernelINS0_14default_configENS1_25partition_config_selectorILNS1_17partition_subalgoE2ExNS0_10empty_typeEbEEZZNS1_14partition_implILS5_2ELb0ES3_jN6thrust23THRUST_200600_302600_NS6detail15normal_iteratorINSA_7pointerIxNSA_11hip_rocprim3tagENSA_11use_defaultESG_EEEEPS6_NSA_18transform_iteratorI7is_evenIxENSC_INSA_10device_ptrIxEEEESG_SG_EENS0_5tupleIJPxSJ_EEENSR_IJSJ_SJ_EEES6_PlJS6_EEE10hipError_tPvRmT3_T4_T5_T6_T7_T9_mT8_P12ihipStream_tbDpT10_ENKUlT_T0_E_clISt17integral_constantIbLb1EES1E_IbLb0EEEEDaS1A_S1B_EUlS1A_E_NS1_11comp_targetILNS1_3genE0ELNS1_11target_archE4294967295ELNS1_3gpuE0ELNS1_3repE0EEENS1_30default_config_static_selectorELNS0_4arch9wavefront6targetE1EEEvT1_
	.p2align	8
	.type	_ZN7rocprim17ROCPRIM_400000_NS6detail17trampoline_kernelINS0_14default_configENS1_25partition_config_selectorILNS1_17partition_subalgoE2ExNS0_10empty_typeEbEEZZNS1_14partition_implILS5_2ELb0ES3_jN6thrust23THRUST_200600_302600_NS6detail15normal_iteratorINSA_7pointerIxNSA_11hip_rocprim3tagENSA_11use_defaultESG_EEEEPS6_NSA_18transform_iteratorI7is_evenIxENSC_INSA_10device_ptrIxEEEESG_SG_EENS0_5tupleIJPxSJ_EEENSR_IJSJ_SJ_EEES6_PlJS6_EEE10hipError_tPvRmT3_T4_T5_T6_T7_T9_mT8_P12ihipStream_tbDpT10_ENKUlT_T0_E_clISt17integral_constantIbLb1EES1E_IbLb0EEEEDaS1A_S1B_EUlS1A_E_NS1_11comp_targetILNS1_3genE0ELNS1_11target_archE4294967295ELNS1_3gpuE0ELNS1_3repE0EEENS1_30default_config_static_selectorELNS0_4arch9wavefront6targetE1EEEvT1_,@function
_ZN7rocprim17ROCPRIM_400000_NS6detail17trampoline_kernelINS0_14default_configENS1_25partition_config_selectorILNS1_17partition_subalgoE2ExNS0_10empty_typeEbEEZZNS1_14partition_implILS5_2ELb0ES3_jN6thrust23THRUST_200600_302600_NS6detail15normal_iteratorINSA_7pointerIxNSA_11hip_rocprim3tagENSA_11use_defaultESG_EEEEPS6_NSA_18transform_iteratorI7is_evenIxENSC_INSA_10device_ptrIxEEEESG_SG_EENS0_5tupleIJPxSJ_EEENSR_IJSJ_SJ_EEES6_PlJS6_EEE10hipError_tPvRmT3_T4_T5_T6_T7_T9_mT8_P12ihipStream_tbDpT10_ENKUlT_T0_E_clISt17integral_constantIbLb1EES1E_IbLb0EEEEDaS1A_S1B_EUlS1A_E_NS1_11comp_targetILNS1_3genE0ELNS1_11target_archE4294967295ELNS1_3gpuE0ELNS1_3repE0EEENS1_30default_config_static_selectorELNS0_4arch9wavefront6targetE1EEEvT1_: ; @_ZN7rocprim17ROCPRIM_400000_NS6detail17trampoline_kernelINS0_14default_configENS1_25partition_config_selectorILNS1_17partition_subalgoE2ExNS0_10empty_typeEbEEZZNS1_14partition_implILS5_2ELb0ES3_jN6thrust23THRUST_200600_302600_NS6detail15normal_iteratorINSA_7pointerIxNSA_11hip_rocprim3tagENSA_11use_defaultESG_EEEEPS6_NSA_18transform_iteratorI7is_evenIxENSC_INSA_10device_ptrIxEEEESG_SG_EENS0_5tupleIJPxSJ_EEENSR_IJSJ_SJ_EEES6_PlJS6_EEE10hipError_tPvRmT3_T4_T5_T6_T7_T9_mT8_P12ihipStream_tbDpT10_ENKUlT_T0_E_clISt17integral_constantIbLb1EES1E_IbLb0EEEEDaS1A_S1B_EUlS1A_E_NS1_11comp_targetILNS1_3genE0ELNS1_11target_archE4294967295ELNS1_3gpuE0ELNS1_3repE0EEENS1_30default_config_static_selectorELNS0_4arch9wavefront6targetE1EEEvT1_
; %bb.0:
	.section	.rodata,"a",@progbits
	.p2align	6, 0x0
	.amdhsa_kernel _ZN7rocprim17ROCPRIM_400000_NS6detail17trampoline_kernelINS0_14default_configENS1_25partition_config_selectorILNS1_17partition_subalgoE2ExNS0_10empty_typeEbEEZZNS1_14partition_implILS5_2ELb0ES3_jN6thrust23THRUST_200600_302600_NS6detail15normal_iteratorINSA_7pointerIxNSA_11hip_rocprim3tagENSA_11use_defaultESG_EEEEPS6_NSA_18transform_iteratorI7is_evenIxENSC_INSA_10device_ptrIxEEEESG_SG_EENS0_5tupleIJPxSJ_EEENSR_IJSJ_SJ_EEES6_PlJS6_EEE10hipError_tPvRmT3_T4_T5_T6_T7_T9_mT8_P12ihipStream_tbDpT10_ENKUlT_T0_E_clISt17integral_constantIbLb1EES1E_IbLb0EEEEDaS1A_S1B_EUlS1A_E_NS1_11comp_targetILNS1_3genE0ELNS1_11target_archE4294967295ELNS1_3gpuE0ELNS1_3repE0EEENS1_30default_config_static_selectorELNS0_4arch9wavefront6targetE1EEEvT1_
		.amdhsa_group_segment_fixed_size 0
		.amdhsa_private_segment_fixed_size 0
		.amdhsa_kernarg_size 128
		.amdhsa_user_sgpr_count 2
		.amdhsa_user_sgpr_dispatch_ptr 0
		.amdhsa_user_sgpr_queue_ptr 0
		.amdhsa_user_sgpr_kernarg_segment_ptr 1
		.amdhsa_user_sgpr_dispatch_id 0
		.amdhsa_user_sgpr_kernarg_preload_length 0
		.amdhsa_user_sgpr_kernarg_preload_offset 0
		.amdhsa_user_sgpr_private_segment_size 0
		.amdhsa_uses_dynamic_stack 0
		.amdhsa_enable_private_segment 0
		.amdhsa_system_sgpr_workgroup_id_x 1
		.amdhsa_system_sgpr_workgroup_id_y 0
		.amdhsa_system_sgpr_workgroup_id_z 0
		.amdhsa_system_sgpr_workgroup_info 0
		.amdhsa_system_vgpr_workitem_id 0
		.amdhsa_next_free_vgpr 1
		.amdhsa_next_free_sgpr 0
		.amdhsa_accum_offset 4
		.amdhsa_reserve_vcc 0
		.amdhsa_float_round_mode_32 0
		.amdhsa_float_round_mode_16_64 0
		.amdhsa_float_denorm_mode_32 3
		.amdhsa_float_denorm_mode_16_64 3
		.amdhsa_dx10_clamp 1
		.amdhsa_ieee_mode 1
		.amdhsa_fp16_overflow 0
		.amdhsa_tg_split 0
		.amdhsa_exception_fp_ieee_invalid_op 0
		.amdhsa_exception_fp_denorm_src 0
		.amdhsa_exception_fp_ieee_div_zero 0
		.amdhsa_exception_fp_ieee_overflow 0
		.amdhsa_exception_fp_ieee_underflow 0
		.amdhsa_exception_fp_ieee_inexact 0
		.amdhsa_exception_int_div_zero 0
	.end_amdhsa_kernel
	.section	.text._ZN7rocprim17ROCPRIM_400000_NS6detail17trampoline_kernelINS0_14default_configENS1_25partition_config_selectorILNS1_17partition_subalgoE2ExNS0_10empty_typeEbEEZZNS1_14partition_implILS5_2ELb0ES3_jN6thrust23THRUST_200600_302600_NS6detail15normal_iteratorINSA_7pointerIxNSA_11hip_rocprim3tagENSA_11use_defaultESG_EEEEPS6_NSA_18transform_iteratorI7is_evenIxENSC_INSA_10device_ptrIxEEEESG_SG_EENS0_5tupleIJPxSJ_EEENSR_IJSJ_SJ_EEES6_PlJS6_EEE10hipError_tPvRmT3_T4_T5_T6_T7_T9_mT8_P12ihipStream_tbDpT10_ENKUlT_T0_E_clISt17integral_constantIbLb1EES1E_IbLb0EEEEDaS1A_S1B_EUlS1A_E_NS1_11comp_targetILNS1_3genE0ELNS1_11target_archE4294967295ELNS1_3gpuE0ELNS1_3repE0EEENS1_30default_config_static_selectorELNS0_4arch9wavefront6targetE1EEEvT1_,"axG",@progbits,_ZN7rocprim17ROCPRIM_400000_NS6detail17trampoline_kernelINS0_14default_configENS1_25partition_config_selectorILNS1_17partition_subalgoE2ExNS0_10empty_typeEbEEZZNS1_14partition_implILS5_2ELb0ES3_jN6thrust23THRUST_200600_302600_NS6detail15normal_iteratorINSA_7pointerIxNSA_11hip_rocprim3tagENSA_11use_defaultESG_EEEEPS6_NSA_18transform_iteratorI7is_evenIxENSC_INSA_10device_ptrIxEEEESG_SG_EENS0_5tupleIJPxSJ_EEENSR_IJSJ_SJ_EEES6_PlJS6_EEE10hipError_tPvRmT3_T4_T5_T6_T7_T9_mT8_P12ihipStream_tbDpT10_ENKUlT_T0_E_clISt17integral_constantIbLb1EES1E_IbLb0EEEEDaS1A_S1B_EUlS1A_E_NS1_11comp_targetILNS1_3genE0ELNS1_11target_archE4294967295ELNS1_3gpuE0ELNS1_3repE0EEENS1_30default_config_static_selectorELNS0_4arch9wavefront6targetE1EEEvT1_,comdat
.Lfunc_end206:
	.size	_ZN7rocprim17ROCPRIM_400000_NS6detail17trampoline_kernelINS0_14default_configENS1_25partition_config_selectorILNS1_17partition_subalgoE2ExNS0_10empty_typeEbEEZZNS1_14partition_implILS5_2ELb0ES3_jN6thrust23THRUST_200600_302600_NS6detail15normal_iteratorINSA_7pointerIxNSA_11hip_rocprim3tagENSA_11use_defaultESG_EEEEPS6_NSA_18transform_iteratorI7is_evenIxENSC_INSA_10device_ptrIxEEEESG_SG_EENS0_5tupleIJPxSJ_EEENSR_IJSJ_SJ_EEES6_PlJS6_EEE10hipError_tPvRmT3_T4_T5_T6_T7_T9_mT8_P12ihipStream_tbDpT10_ENKUlT_T0_E_clISt17integral_constantIbLb1EES1E_IbLb0EEEEDaS1A_S1B_EUlS1A_E_NS1_11comp_targetILNS1_3genE0ELNS1_11target_archE4294967295ELNS1_3gpuE0ELNS1_3repE0EEENS1_30default_config_static_selectorELNS0_4arch9wavefront6targetE1EEEvT1_, .Lfunc_end206-_ZN7rocprim17ROCPRIM_400000_NS6detail17trampoline_kernelINS0_14default_configENS1_25partition_config_selectorILNS1_17partition_subalgoE2ExNS0_10empty_typeEbEEZZNS1_14partition_implILS5_2ELb0ES3_jN6thrust23THRUST_200600_302600_NS6detail15normal_iteratorINSA_7pointerIxNSA_11hip_rocprim3tagENSA_11use_defaultESG_EEEEPS6_NSA_18transform_iteratorI7is_evenIxENSC_INSA_10device_ptrIxEEEESG_SG_EENS0_5tupleIJPxSJ_EEENSR_IJSJ_SJ_EEES6_PlJS6_EEE10hipError_tPvRmT3_T4_T5_T6_T7_T9_mT8_P12ihipStream_tbDpT10_ENKUlT_T0_E_clISt17integral_constantIbLb1EES1E_IbLb0EEEEDaS1A_S1B_EUlS1A_E_NS1_11comp_targetILNS1_3genE0ELNS1_11target_archE4294967295ELNS1_3gpuE0ELNS1_3repE0EEENS1_30default_config_static_selectorELNS0_4arch9wavefront6targetE1EEEvT1_
                                        ; -- End function
	.section	.AMDGPU.csdata,"",@progbits
; Kernel info:
; codeLenInByte = 0
; NumSgprs: 6
; NumVgprs: 0
; NumAgprs: 0
; TotalNumVgprs: 0
; ScratchSize: 0
; MemoryBound: 0
; FloatMode: 240
; IeeeMode: 1
; LDSByteSize: 0 bytes/workgroup (compile time only)
; SGPRBlocks: 0
; VGPRBlocks: 0
; NumSGPRsForWavesPerEU: 6
; NumVGPRsForWavesPerEU: 1
; AccumOffset: 4
; Occupancy: 8
; WaveLimiterHint : 0
; COMPUTE_PGM_RSRC2:SCRATCH_EN: 0
; COMPUTE_PGM_RSRC2:USER_SGPR: 2
; COMPUTE_PGM_RSRC2:TRAP_HANDLER: 0
; COMPUTE_PGM_RSRC2:TGID_X_EN: 1
; COMPUTE_PGM_RSRC2:TGID_Y_EN: 0
; COMPUTE_PGM_RSRC2:TGID_Z_EN: 0
; COMPUTE_PGM_RSRC2:TIDIG_COMP_CNT: 0
; COMPUTE_PGM_RSRC3_GFX90A:ACCUM_OFFSET: 0
; COMPUTE_PGM_RSRC3_GFX90A:TG_SPLIT: 0
	.section	.text._ZN7rocprim17ROCPRIM_400000_NS6detail17trampoline_kernelINS0_14default_configENS1_25partition_config_selectorILNS1_17partition_subalgoE2ExNS0_10empty_typeEbEEZZNS1_14partition_implILS5_2ELb0ES3_jN6thrust23THRUST_200600_302600_NS6detail15normal_iteratorINSA_7pointerIxNSA_11hip_rocprim3tagENSA_11use_defaultESG_EEEEPS6_NSA_18transform_iteratorI7is_evenIxENSC_INSA_10device_ptrIxEEEESG_SG_EENS0_5tupleIJPxSJ_EEENSR_IJSJ_SJ_EEES6_PlJS6_EEE10hipError_tPvRmT3_T4_T5_T6_T7_T9_mT8_P12ihipStream_tbDpT10_ENKUlT_T0_E_clISt17integral_constantIbLb1EES1E_IbLb0EEEEDaS1A_S1B_EUlS1A_E_NS1_11comp_targetILNS1_3genE5ELNS1_11target_archE942ELNS1_3gpuE9ELNS1_3repE0EEENS1_30default_config_static_selectorELNS0_4arch9wavefront6targetE1EEEvT1_,"axG",@progbits,_ZN7rocprim17ROCPRIM_400000_NS6detail17trampoline_kernelINS0_14default_configENS1_25partition_config_selectorILNS1_17partition_subalgoE2ExNS0_10empty_typeEbEEZZNS1_14partition_implILS5_2ELb0ES3_jN6thrust23THRUST_200600_302600_NS6detail15normal_iteratorINSA_7pointerIxNSA_11hip_rocprim3tagENSA_11use_defaultESG_EEEEPS6_NSA_18transform_iteratorI7is_evenIxENSC_INSA_10device_ptrIxEEEESG_SG_EENS0_5tupleIJPxSJ_EEENSR_IJSJ_SJ_EEES6_PlJS6_EEE10hipError_tPvRmT3_T4_T5_T6_T7_T9_mT8_P12ihipStream_tbDpT10_ENKUlT_T0_E_clISt17integral_constantIbLb1EES1E_IbLb0EEEEDaS1A_S1B_EUlS1A_E_NS1_11comp_targetILNS1_3genE5ELNS1_11target_archE942ELNS1_3gpuE9ELNS1_3repE0EEENS1_30default_config_static_selectorELNS0_4arch9wavefront6targetE1EEEvT1_,comdat
	.protected	_ZN7rocprim17ROCPRIM_400000_NS6detail17trampoline_kernelINS0_14default_configENS1_25partition_config_selectorILNS1_17partition_subalgoE2ExNS0_10empty_typeEbEEZZNS1_14partition_implILS5_2ELb0ES3_jN6thrust23THRUST_200600_302600_NS6detail15normal_iteratorINSA_7pointerIxNSA_11hip_rocprim3tagENSA_11use_defaultESG_EEEEPS6_NSA_18transform_iteratorI7is_evenIxENSC_INSA_10device_ptrIxEEEESG_SG_EENS0_5tupleIJPxSJ_EEENSR_IJSJ_SJ_EEES6_PlJS6_EEE10hipError_tPvRmT3_T4_T5_T6_T7_T9_mT8_P12ihipStream_tbDpT10_ENKUlT_T0_E_clISt17integral_constantIbLb1EES1E_IbLb0EEEEDaS1A_S1B_EUlS1A_E_NS1_11comp_targetILNS1_3genE5ELNS1_11target_archE942ELNS1_3gpuE9ELNS1_3repE0EEENS1_30default_config_static_selectorELNS0_4arch9wavefront6targetE1EEEvT1_ ; -- Begin function _ZN7rocprim17ROCPRIM_400000_NS6detail17trampoline_kernelINS0_14default_configENS1_25partition_config_selectorILNS1_17partition_subalgoE2ExNS0_10empty_typeEbEEZZNS1_14partition_implILS5_2ELb0ES3_jN6thrust23THRUST_200600_302600_NS6detail15normal_iteratorINSA_7pointerIxNSA_11hip_rocprim3tagENSA_11use_defaultESG_EEEEPS6_NSA_18transform_iteratorI7is_evenIxENSC_INSA_10device_ptrIxEEEESG_SG_EENS0_5tupleIJPxSJ_EEENSR_IJSJ_SJ_EEES6_PlJS6_EEE10hipError_tPvRmT3_T4_T5_T6_T7_T9_mT8_P12ihipStream_tbDpT10_ENKUlT_T0_E_clISt17integral_constantIbLb1EES1E_IbLb0EEEEDaS1A_S1B_EUlS1A_E_NS1_11comp_targetILNS1_3genE5ELNS1_11target_archE942ELNS1_3gpuE9ELNS1_3repE0EEENS1_30default_config_static_selectorELNS0_4arch9wavefront6targetE1EEEvT1_
	.globl	_ZN7rocprim17ROCPRIM_400000_NS6detail17trampoline_kernelINS0_14default_configENS1_25partition_config_selectorILNS1_17partition_subalgoE2ExNS0_10empty_typeEbEEZZNS1_14partition_implILS5_2ELb0ES3_jN6thrust23THRUST_200600_302600_NS6detail15normal_iteratorINSA_7pointerIxNSA_11hip_rocprim3tagENSA_11use_defaultESG_EEEEPS6_NSA_18transform_iteratorI7is_evenIxENSC_INSA_10device_ptrIxEEEESG_SG_EENS0_5tupleIJPxSJ_EEENSR_IJSJ_SJ_EEES6_PlJS6_EEE10hipError_tPvRmT3_T4_T5_T6_T7_T9_mT8_P12ihipStream_tbDpT10_ENKUlT_T0_E_clISt17integral_constantIbLb1EES1E_IbLb0EEEEDaS1A_S1B_EUlS1A_E_NS1_11comp_targetILNS1_3genE5ELNS1_11target_archE942ELNS1_3gpuE9ELNS1_3repE0EEENS1_30default_config_static_selectorELNS0_4arch9wavefront6targetE1EEEvT1_
	.p2align	8
	.type	_ZN7rocprim17ROCPRIM_400000_NS6detail17trampoline_kernelINS0_14default_configENS1_25partition_config_selectorILNS1_17partition_subalgoE2ExNS0_10empty_typeEbEEZZNS1_14partition_implILS5_2ELb0ES3_jN6thrust23THRUST_200600_302600_NS6detail15normal_iteratorINSA_7pointerIxNSA_11hip_rocprim3tagENSA_11use_defaultESG_EEEEPS6_NSA_18transform_iteratorI7is_evenIxENSC_INSA_10device_ptrIxEEEESG_SG_EENS0_5tupleIJPxSJ_EEENSR_IJSJ_SJ_EEES6_PlJS6_EEE10hipError_tPvRmT3_T4_T5_T6_T7_T9_mT8_P12ihipStream_tbDpT10_ENKUlT_T0_E_clISt17integral_constantIbLb1EES1E_IbLb0EEEEDaS1A_S1B_EUlS1A_E_NS1_11comp_targetILNS1_3genE5ELNS1_11target_archE942ELNS1_3gpuE9ELNS1_3repE0EEENS1_30default_config_static_selectorELNS0_4arch9wavefront6targetE1EEEvT1_,@function
_ZN7rocprim17ROCPRIM_400000_NS6detail17trampoline_kernelINS0_14default_configENS1_25partition_config_selectorILNS1_17partition_subalgoE2ExNS0_10empty_typeEbEEZZNS1_14partition_implILS5_2ELb0ES3_jN6thrust23THRUST_200600_302600_NS6detail15normal_iteratorINSA_7pointerIxNSA_11hip_rocprim3tagENSA_11use_defaultESG_EEEEPS6_NSA_18transform_iteratorI7is_evenIxENSC_INSA_10device_ptrIxEEEESG_SG_EENS0_5tupleIJPxSJ_EEENSR_IJSJ_SJ_EEES6_PlJS6_EEE10hipError_tPvRmT3_T4_T5_T6_T7_T9_mT8_P12ihipStream_tbDpT10_ENKUlT_T0_E_clISt17integral_constantIbLb1EES1E_IbLb0EEEEDaS1A_S1B_EUlS1A_E_NS1_11comp_targetILNS1_3genE5ELNS1_11target_archE942ELNS1_3gpuE9ELNS1_3repE0EEENS1_30default_config_static_selectorELNS0_4arch9wavefront6targetE1EEEvT1_: ; @_ZN7rocprim17ROCPRIM_400000_NS6detail17trampoline_kernelINS0_14default_configENS1_25partition_config_selectorILNS1_17partition_subalgoE2ExNS0_10empty_typeEbEEZZNS1_14partition_implILS5_2ELb0ES3_jN6thrust23THRUST_200600_302600_NS6detail15normal_iteratorINSA_7pointerIxNSA_11hip_rocprim3tagENSA_11use_defaultESG_EEEEPS6_NSA_18transform_iteratorI7is_evenIxENSC_INSA_10device_ptrIxEEEESG_SG_EENS0_5tupleIJPxSJ_EEENSR_IJSJ_SJ_EEES6_PlJS6_EEE10hipError_tPvRmT3_T4_T5_T6_T7_T9_mT8_P12ihipStream_tbDpT10_ENKUlT_T0_E_clISt17integral_constantIbLb1EES1E_IbLb0EEEEDaS1A_S1B_EUlS1A_E_NS1_11comp_targetILNS1_3genE5ELNS1_11target_archE942ELNS1_3gpuE9ELNS1_3repE0EEENS1_30default_config_static_selectorELNS0_4arch9wavefront6targetE1EEEvT1_
; %bb.0:
	s_load_dwordx4 s[24:27], s[0:1], 0x8
	s_load_dwordx2 s[6:7], s[0:1], 0x20
	s_load_dwordx2 s[28:29], s[0:1], 0x60
	s_load_dwordx4 s[20:23], s[0:1], 0x50
	s_load_dword s3, s[0:1], 0x78
	s_waitcnt lgkmcnt(0)
	s_lshl_b64 s[8:9], s[26:27], 3
	s_add_u32 s12, s24, s8
	s_addc_u32 s13, s25, s9
	s_load_dwordx2 s[30:31], s[22:23], 0x0
	s_add_i32 s10, s3, -1
	s_mulk_i32 s3, 0xe00
	s_add_i32 s4, s3, s26
	s_sub_i32 s33, s28, s4
	s_addk_i32 s33, 0xe00
	s_add_u32 s4, s26, s3
	s_addc_u32 s5, s27, 0
	s_cmp_eq_u32 s2, s10
	v_mov_b64_e32 v[2:3], s[28:29]
	s_cselect_b64 s[22:23], -1, 0
	s_cmp_lg_u32 s2, s10
	s_mul_i32 s24, s2, 0xe00
	s_mov_b32 s25, 0
	v_cmp_lt_u64_e32 vcc, s[4:5], v[2:3]
	s_cselect_b64 s[4:5], -1, 0
	s_or_b64 s[34:35], s[4:5], vcc
	s_lshl_b64 s[10:11], s[24:25], 3
	s_add_u32 s12, s12, s10
	s_addc_u32 s13, s13, s11
	s_mov_b64 s[4:5], -1
	s_and_b64 vcc, exec, s[34:35]
	v_lshlrev_b32_e32 v18, 3, v0
	s_cbranch_vccz .LBB207_2
; %bb.1:
	v_mov_b32_e32 v19, 0
	v_lshl_add_u64 v[2:3], s[12:13], 0, v[18:19]
	v_add_co_u32_e32 v4, vcc, 0x1000, v2
	s_mov_b64 s[4:5], 0
	s_nop 0
	v_addc_co_u32_e32 v5, vcc, 0, v3, vcc
	v_add_co_u32_e32 v6, vcc, 0x2000, v2
	s_nop 1
	v_addc_co_u32_e32 v7, vcc, 0, v3, vcc
	v_add_co_u32_e32 v8, vcc, 0x3000, v2
	s_nop 1
	v_addc_co_u32_e32 v9, vcc, 0, v3, vcc
	flat_load_dwordx2 v[10:11], v[2:3]
	flat_load_dwordx2 v[12:13], v[4:5]
	;; [unrolled: 1-line block ×4, first 2 shown]
	v_add_co_u32_e32 v4, vcc, 0x4000, v2
	s_nop 1
	v_addc_co_u32_e32 v5, vcc, 0, v3, vcc
	v_add_co_u32_e32 v6, vcc, 0x5000, v2
	s_nop 1
	v_addc_co_u32_e32 v7, vcc, 0, v3, vcc
	;; [unrolled: 3-line block ×3, first 2 shown]
	flat_load_dwordx2 v[8:9], v[4:5]
	flat_load_dwordx2 v[20:21], v[6:7]
	;; [unrolled: 1-line block ×3, first 2 shown]
	s_waitcnt vmcnt(0) lgkmcnt(0)
	ds_write2st64_b64 v18, v[10:11], v[12:13] offset1:8
	ds_write2st64_b64 v18, v[14:15], v[16:17] offset0:16 offset1:24
	ds_write2st64_b64 v18, v[8:9], v[20:21] offset0:32 offset1:40
	ds_write_b64 v18, v[22:23] offset:24576
	s_waitcnt lgkmcnt(0)
	s_barrier
.LBB207_2:
	s_andn2_b64 vcc, exec, s[4:5]
	v_cmp_gt_u32_e64 s[4:5], s33, v0
	s_cbranch_vccnz .LBB207_18
; %bb.3:
                                        ; implicit-def: $vgpr2_vgpr3_vgpr4_vgpr5_vgpr6_vgpr7_vgpr8_vgpr9_vgpr10_vgpr11_vgpr12_vgpr13_vgpr14_vgpr15_vgpr16_vgpr17
	s_and_saveexec_b64 s[14:15], s[4:5]
	s_cbranch_execz .LBB207_5
; %bb.4:
	v_mov_b32_e32 v19, 0
	v_lshl_add_u64 v[2:3], s[12:13], 0, v[18:19]
	flat_load_dwordx2 v[2:3], v[2:3]
.LBB207_5:
	s_or_b64 exec, exec, s[14:15]
	v_or_b32_e32 v1, 0x200, v0
	v_cmp_gt_u32_e32 vcc, s33, v1
	s_and_saveexec_b64 s[4:5], vcc
	s_cbranch_execz .LBB207_7
; %bb.6:
	v_lshlrev_b32_e32 v4, 3, v1
	v_mov_b32_e32 v5, 0
	v_lshl_add_u64 v[4:5], s[12:13], 0, v[4:5]
	flat_load_dwordx2 v[4:5], v[4:5]
.LBB207_7:
	s_or_b64 exec, exec, s[4:5]
	v_or_b32_e32 v1, 0x400, v0
	v_cmp_gt_u32_e32 vcc, s33, v1
	s_and_saveexec_b64 s[4:5], vcc
	s_cbranch_execz .LBB207_9
; %bb.8:
	v_lshlrev_b32_e32 v6, 3, v1
	v_mov_b32_e32 v7, 0
	v_lshl_add_u64 v[6:7], s[12:13], 0, v[6:7]
	flat_load_dwordx2 v[6:7], v[6:7]
.LBB207_9:
	;; [unrolled: 11-line block ×6, first 2 shown]
	s_or_b64 exec, exec, s[4:5]
	s_waitcnt vmcnt(0) lgkmcnt(0)
	ds_write2st64_b64 v18, v[2:3], v[4:5] offset1:8
	ds_write2st64_b64 v18, v[6:7], v[8:9] offset0:16 offset1:24
	ds_write2st64_b64 v18, v[10:11], v[12:13] offset0:32 offset1:40
	ds_write_b64 v18, v[14:15] offset:24576
	s_waitcnt lgkmcnt(0)
	s_barrier
.LBB207_18:
	v_mul_u32_u24_e32 v1, 7, v0
	v_lshlrev_b32_e32 v16, 3, v1
	s_waitcnt lgkmcnt(0)
	ds_read2_b64 v[10:13], v16 offset1:1
	ds_read2_b64 v[6:9], v16 offset0:2 offset1:3
	ds_read2_b64 v[2:5], v16 offset0:4 offset1:5
	ds_read_b64 v[14:15], v16 offset:48
	s_add_u32 s3, s6, s8
	s_addc_u32 s5, s7, s9
	s_add_u32 s4, s3, s10
	s_addc_u32 s5, s5, s11
	s_mov_b64 s[6:7], -1
	s_and_b64 vcc, exec, s[34:35]
	s_waitcnt lgkmcnt(0)
	s_barrier
	s_cbranch_vccz .LBB207_20
; %bb.19:
	v_mov_b32_e32 v19, 0
	v_lshl_add_u64 v[20:21], s[4:5], 0, v[18:19]
	v_add_co_u32_e32 v24, vcc, 0x1000, v20
	global_load_dwordx2 v[22:23], v18, s[4:5]
	s_nop 0
	v_addc_co_u32_e32 v25, vcc, 0, v21, vcc
	v_add_co_u32_e32 v26, vcc, 0x2000, v20
	s_mov_b64 s[6:7], 0
	s_nop 0
	v_addc_co_u32_e32 v27, vcc, 0, v21, vcc
	v_add_co_u32_e32 v28, vcc, 0x3000, v20
	s_waitcnt vmcnt(0)
	v_xor_b32_e32 v17, -1, v22
	v_addc_co_u32_e32 v29, vcc, 0, v21, vcc
	v_add_co_u32_e32 v30, vcc, 0x4000, v20
	v_and_b32_e32 v17, 1, v17
	s_nop 0
	v_addc_co_u32_e32 v31, vcc, 0, v21, vcc
	global_load_dwordx2 v[32:33], v[24:25], off
	global_load_dwordx2 v[34:35], v[26:27], off
	;; [unrolled: 1-line block ×4, first 2 shown]
	v_add_co_u32_e32 v24, vcc, 0x5000, v20
	ds_write_b8 v0, v17
	s_nop 0
	v_addc_co_u32_e32 v25, vcc, 0, v21, vcc
	v_add_co_u32_e32 v20, vcc, 0x6000, v20
	global_load_dwordx2 v[24:25], v[24:25], off
	s_nop 0
	v_addc_co_u32_e32 v21, vcc, 0, v21, vcc
	global_load_dwordx2 v[20:21], v[20:21], off
	s_waitcnt vmcnt(5)
	v_xor_b32_e32 v17, -1, v32
	v_and_b32_e32 v17, 1, v17
	s_waitcnt vmcnt(4)
	v_xor_b32_e32 v19, -1, v34
	s_waitcnt vmcnt(0)
	v_xor_b32_e32 v21, -1, v36
	v_and_b32_e32 v19, 1, v19
	ds_write_b8 v0, v17 offset:512
	v_and_b32_e32 v17, 1, v21
	v_xor_b32_e32 v21, -1, v38
	ds_write_b8 v0, v19 offset:1024
	v_and_b32_e32 v19, 1, v21
	ds_write_b8 v0, v17 offset:1536
	v_xor_b32_e32 v21, -1, v24
	v_and_b32_e32 v17, 1, v21
	ds_write_b8 v0, v19 offset:2048
	v_xor_b32_e32 v20, -1, v20
	v_and_b32_e32 v19, 1, v20
	ds_write_b8 v0, v17 offset:2560
	ds_write_b8 v0, v19 offset:3072
	s_waitcnt lgkmcnt(0)
	s_barrier
.LBB207_20:
	s_load_dwordx2 s[36:37], s[0:1], 0x70
	s_andn2_b64 vcc, exec, s[6:7]
	s_cbranch_vccnz .LBB207_36
; %bb.21:
	v_cmp_gt_u32_e32 vcc, s33, v0
	v_mov_b32_e32 v17, 0
	v_mov_b32_e32 v19, 0
	s_and_saveexec_b64 s[6:7], vcc
	s_cbranch_execz .LBB207_23
; %bb.22:
	global_load_dwordx2 v[20:21], v18, s[4:5]
	s_waitcnt vmcnt(0)
	v_xor_b32_e32 v19, -1, v20
	v_and_b32_e32 v19, 1, v19
.LBB207_23:
	s_or_b64 exec, exec, s[6:7]
	v_or_b32_e32 v20, 0x200, v0
	v_cmp_gt_u32_e32 vcc, s33, v20
	s_and_saveexec_b64 s[6:7], vcc
	s_cbranch_execz .LBB207_25
; %bb.24:
	v_lshlrev_b32_e32 v17, 3, v20
	global_load_dwordx2 v[20:21], v17, s[4:5]
	s_waitcnt vmcnt(0)
	v_xor_b32_e32 v17, -1, v20
	v_and_b32_e32 v17, 1, v17
.LBB207_25:
	s_or_b64 exec, exec, s[6:7]
	v_or_b32_e32 v22, 0x400, v0
	v_cmp_gt_u32_e32 vcc, s33, v22
	v_mov_b32_e32 v20, 0
	v_mov_b32_e32 v21, 0
	s_and_saveexec_b64 s[6:7], vcc
	s_cbranch_execz .LBB207_27
; %bb.26:
	v_lshlrev_b32_e32 v21, 3, v22
	global_load_dwordx2 v[22:23], v21, s[4:5]
	s_waitcnt vmcnt(0)
	v_xor_b32_e32 v21, -1, v22
	v_and_b32_e32 v21, 1, v21
.LBB207_27:
	s_or_b64 exec, exec, s[6:7]
	v_or_b32_e32 v22, 0x600, v0
	v_cmp_gt_u32_e32 vcc, s33, v22
	s_and_saveexec_b64 s[6:7], vcc
	s_cbranch_execz .LBB207_29
; %bb.28:
	v_lshlrev_b32_e32 v20, 3, v22
	global_load_dwordx2 v[22:23], v20, s[4:5]
	s_waitcnt vmcnt(0)
	v_xor_b32_e32 v20, -1, v22
	v_and_b32_e32 v20, 1, v20
.LBB207_29:
	s_or_b64 exec, exec, s[6:7]
	v_or_b32_e32 v24, 0x800, v0
	v_cmp_gt_u32_e32 vcc, s33, v24
	v_mov_b32_e32 v22, 0
	v_mov_b32_e32 v23, 0
	s_and_saveexec_b64 s[6:7], vcc
	s_cbranch_execz .LBB207_31
; %bb.30:
	v_lshlrev_b32_e32 v23, 3, v24
	global_load_dwordx2 v[24:25], v23, s[4:5]
	s_waitcnt vmcnt(0)
	v_xor_b32_e32 v23, -1, v24
	v_and_b32_e32 v23, 1, v23
.LBB207_31:
	s_or_b64 exec, exec, s[6:7]
	v_or_b32_e32 v24, 0xa00, v0
	v_cmp_gt_u32_e32 vcc, s33, v24
	s_and_saveexec_b64 s[6:7], vcc
	s_cbranch_execz .LBB207_33
; %bb.32:
	v_lshlrev_b32_e32 v22, 3, v24
	global_load_dwordx2 v[24:25], v22, s[4:5]
	s_waitcnt vmcnt(0)
	v_xor_b32_e32 v22, -1, v24
	v_and_b32_e32 v22, 1, v22
.LBB207_33:
	s_or_b64 exec, exec, s[6:7]
	v_or_b32_e32 v25, 0xc00, v0
	v_cmp_gt_u32_e32 vcc, s33, v25
	v_mov_b32_e32 v24, 0
	s_and_saveexec_b64 s[6:7], vcc
	s_cbranch_execz .LBB207_35
; %bb.34:
	v_lshlrev_b32_e32 v24, 3, v25
	global_load_dwordx2 v[24:25], v24, s[4:5]
	s_waitcnt vmcnt(0)
	v_xor_b32_e32 v24, -1, v24
	v_and_b32_e32 v24, 1, v24
.LBB207_35:
	s_or_b64 exec, exec, s[6:7]
	ds_write_b8 v0, v19
	ds_write_b8 v0, v17 offset:512
	ds_write_b8 v0, v21 offset:1024
	;; [unrolled: 1-line block ×6, first 2 shown]
	s_waitcnt lgkmcnt(0)
	s_barrier
.LBB207_36:
	s_movk_i32 s3, 0xffcf
	v_mad_i32_i24 v35, v0, s3, v16
	s_waitcnt lgkmcnt(0)
	ds_read_u8 v16, v35
	ds_read_u8 v17, v35 offset:1
	ds_read_u8 v19, v35 offset:2
	;; [unrolled: 1-line block ×6, first 2 shown]
	s_waitcnt lgkmcnt(6)
	v_and_b32_e32 v33, 1, v16
	s_waitcnt lgkmcnt(5)
	v_and_b32_e32 v32, 1, v17
	;; [unrolled: 2-line block ×5, first 2 shown]
	v_add3_u32 v16, v32, v33, v31
	s_waitcnt lgkmcnt(1)
	v_and_b32_e32 v28, 1, v22
	s_waitcnt lgkmcnt(0)
	v_and_b32_e32 v19, 1, v23
	v_add3_u32 v16, v16, v30, v29
	v_add3_u32 v37, v16, v28, v19
	v_mbcnt_lo_u32_b32 v16, -1, 0
	v_mbcnt_hi_u32_b32 v34, -1, v16
	v_and_b32_e32 v16, 15, v34
	v_cmp_eq_u32_e64 s[14:15], 0, v16
	v_cmp_lt_u32_e64 s[12:13], 1, v16
	v_cmp_lt_u32_e64 s[10:11], 3, v16
	;; [unrolled: 1-line block ×3, first 2 shown]
	v_and_b32_e32 v16, 16, v34
	v_cmp_eq_u32_e64 s[6:7], 0, v16
	v_or_b32_e32 v16, 63, v0
	s_cmp_lg_u32 s2, 0
	v_cmp_lt_u32_e64 s[18:19], 31, v34
	v_lshrrev_b32_e32 v36, 6, v0
	v_cmp_eq_u32_e64 s[4:5], v16, v0
	s_barrier
	s_cbranch_scc0 .LBB207_67
; %bb.37:
	v_mov_b32_dpp v16, v37 row_shr:1 row_mask:0xf bank_mask:0xf
	v_cndmask_b32_e64 v16, v16, 0, s[14:15]
	v_add_u32_e32 v16, v16, v37
	s_nop 1
	v_mov_b32_dpp v17, v16 row_shr:2 row_mask:0xf bank_mask:0xf
	v_cndmask_b32_e64 v17, 0, v17, s[12:13]
	v_add_u32_e32 v16, v16, v17
	s_nop 1
	;; [unrolled: 4-line block ×4, first 2 shown]
	v_mov_b32_dpp v17, v16 row_bcast:15 row_mask:0xf bank_mask:0xf
	v_cndmask_b32_e64 v17, v17, 0, s[6:7]
	v_add_u32_e32 v16, v16, v17
	s_nop 1
	v_mov_b32_dpp v17, v16 row_bcast:31 row_mask:0xf bank_mask:0xf
	v_cndmask_b32_e64 v17, 0, v17, s[18:19]
	v_add_u32_e32 v16, v16, v17
	s_and_saveexec_b64 s[16:17], s[4:5]
	s_cbranch_execz .LBB207_39
; %bb.38:
	v_lshlrev_b32_e32 v17, 2, v36
	ds_write_b32 v17, v16
.LBB207_39:
	s_or_b64 exec, exec, s[16:17]
	v_cmp_gt_u32_e32 vcc, 8, v0
	s_waitcnt lgkmcnt(0)
	s_barrier
	s_and_saveexec_b64 s[16:17], vcc
	s_cbranch_execz .LBB207_41
; %bb.40:
	v_lshlrev_b32_e32 v17, 2, v0
	ds_read_b32 v20, v17
	v_and_b32_e32 v21, 7, v34
	v_cmp_ne_u32_e32 vcc, 0, v21
	s_waitcnt lgkmcnt(0)
	v_mov_b32_dpp v22, v20 row_shr:1 row_mask:0xf bank_mask:0xf
	v_cndmask_b32_e32 v22, 0, v22, vcc
	v_add_u32_e32 v20, v22, v20
	v_cmp_lt_u32_e32 vcc, 1, v21
	s_nop 0
	v_mov_b32_dpp v22, v20 row_shr:2 row_mask:0xf bank_mask:0xf
	v_cndmask_b32_e32 v22, 0, v22, vcc
	v_add_u32_e32 v20, v20, v22
	v_cmp_lt_u32_e32 vcc, 3, v21
	s_nop 0
	v_mov_b32_dpp v22, v20 row_shr:4 row_mask:0xf bank_mask:0xf
	v_cndmask_b32_e32 v21, 0, v22, vcc
	v_add_u32_e32 v20, v20, v21
	ds_write_b32 v17, v20
.LBB207_41:
	s_or_b64 exec, exec, s[16:17]
	v_cmp_gt_u32_e32 vcc, 64, v0
	v_cmp_lt_u32_e64 s[16:17], 63, v0
	s_waitcnt lgkmcnt(0)
	s_barrier
	s_waitcnt lgkmcnt(0)
                                        ; implicit-def: $vgpr38
	s_and_saveexec_b64 s[38:39], s[16:17]
	s_cbranch_execz .LBB207_43
; %bb.42:
	v_lshl_add_u32 v17, v36, 2, -4
	ds_read_b32 v38, v17
	s_waitcnt lgkmcnt(0)
	v_add_u32_e32 v16, v38, v16
.LBB207_43:
	s_or_b64 exec, exec, s[38:39]
	v_add_u32_e32 v17, -1, v34
	v_and_b32_e32 v20, 64, v34
	v_cmp_lt_i32_e64 s[16:17], v17, v20
	s_nop 1
	v_cndmask_b32_e64 v17, v17, v34, s[16:17]
	v_lshlrev_b32_e32 v17, 2, v17
	ds_bpermute_b32 v39, v17, v16
	v_cmp_eq_u32_e64 s[16:17], 0, v34
	s_and_saveexec_b64 s[38:39], vcc
	s_cbranch_execz .LBB207_66
; %bb.44:
	v_mov_b32_e32 v27, 0
	ds_read_b32 v16, v27 offset:28
	s_and_saveexec_b64 s[40:41], s[16:17]
	s_cbranch_execz .LBB207_46
; %bb.45:
	s_add_i32 s42, s2, 64
	s_mov_b32 s43, 0
	s_lshl_b64 s[42:43], s[42:43], 3
	s_add_u32 s42, s36, s42
	v_mov_b32_e32 v17, 1
	s_addc_u32 s43, s37, s43
	s_waitcnt lgkmcnt(0)
	global_store_dwordx2 v27, v[16:17], s[42:43] sc1
.LBB207_46:
	s_or_b64 exec, exec, s[40:41]
	v_xad_u32 v20, v34, -1, s2
	v_add_u32_e32 v26, 64, v20
	v_lshl_add_u64 v[22:23], v[26:27], 3, s[36:37]
	global_load_dwordx2 v[24:25], v[22:23], off sc1
	s_waitcnt vmcnt(0)
	v_cmp_eq_u16_sdwa s[42:43], v25, v27 src0_sel:BYTE_0 src1_sel:DWORD
	s_and_saveexec_b64 s[40:41], s[42:43]
	s_cbranch_execz .LBB207_52
; %bb.47:
	s_mov_b32 s3, 1
	s_mov_b64 s[42:43], 0
	v_mov_b32_e32 v17, 0
.LBB207_48:                             ; =>This Loop Header: Depth=1
                                        ;     Child Loop BB207_49 Depth 2
	s_max_u32 s25, s3, 1
.LBB207_49:                             ;   Parent Loop BB207_48 Depth=1
                                        ; =>  This Inner Loop Header: Depth=2
	s_add_i32 s25, s25, -1
	s_cmp_eq_u32 s25, 0
	s_sleep 1
	s_cbranch_scc0 .LBB207_49
; %bb.50:                               ;   in Loop: Header=BB207_48 Depth=1
	global_load_dwordx2 v[24:25], v[22:23], off sc1
	s_cmp_lt_u32 s3, 32
	s_cselect_b64 s[44:45], -1, 0
	s_cmp_lg_u64 s[44:45], 0
	s_addc_u32 s3, s3, 0
	s_waitcnt vmcnt(0)
	v_cmp_ne_u16_sdwa s[44:45], v25, v17 src0_sel:BYTE_0 src1_sel:DWORD
	s_or_b64 s[42:43], s[44:45], s[42:43]
	s_andn2_b64 exec, exec, s[42:43]
	s_cbranch_execnz .LBB207_48
; %bb.51:
	s_or_b64 exec, exec, s[42:43]
.LBB207_52:
	s_or_b64 exec, exec, s[40:41]
	v_and_b32_e32 v41, 63, v34
	v_mov_b32_e32 v40, 2
	v_cmp_ne_u32_e32 vcc, 63, v41
	v_cmp_eq_u16_sdwa s[40:41], v25, v40 src0_sel:BYTE_0 src1_sel:DWORD
	v_lshlrev_b64 v[22:23], v34, -1
	v_addc_co_u32_e32 v26, vcc, 0, v34, vcc
	v_and_b32_e32 v17, s41, v23
	v_lshlrev_b32_e32 v42, 2, v26
	v_or_b32_e32 v17, 0x80000000, v17
	ds_bpermute_b32 v26, v42, v24
	v_and_b32_e32 v21, s40, v22
	v_ffbl_b32_e32 v17, v17
	v_add_u32_e32 v17, 32, v17
	v_ffbl_b32_e32 v21, v21
	v_min_u32_e32 v17, v21, v17
	v_cmp_lt_u32_e32 vcc, v41, v17
	v_add_u32_e32 v44, 2, v41
	v_add_u32_e32 v46, 4, v41
	s_waitcnt lgkmcnt(0)
	v_cndmask_b32_e32 v21, 0, v26, vcc
	v_cmp_gt_u32_e32 vcc, 62, v41
	v_add_u32_e32 v21, v21, v24
	v_add_u32_e32 v48, 8, v41
	v_cndmask_b32_e64 v24, 0, 1, vcc
	v_lshlrev_b32_e32 v24, 1, v24
	v_add_lshl_u32 v43, v24, v34, 2
	ds_bpermute_b32 v24, v43, v21
	v_cmp_le_u32_e32 vcc, v44, v17
	v_add_u32_e32 v50, 16, v41
	v_add_u32_e32 v52, 32, v41
	s_waitcnt lgkmcnt(0)
	v_cndmask_b32_e32 v24, 0, v24, vcc
	v_cmp_gt_u32_e32 vcc, 60, v41
	v_add_u32_e32 v21, v21, v24
	s_nop 0
	v_cndmask_b32_e64 v24, 0, 1, vcc
	v_lshlrev_b32_e32 v24, 2, v24
	v_add_lshl_u32 v45, v24, v34, 2
	ds_bpermute_b32 v24, v45, v21
	v_cmp_le_u32_e32 vcc, v46, v17
	s_waitcnt lgkmcnt(0)
	s_nop 0
	v_cndmask_b32_e32 v24, 0, v24, vcc
	v_cmp_gt_u32_e32 vcc, 56, v41
	v_add_u32_e32 v21, v21, v24
	s_nop 0
	v_cndmask_b32_e64 v24, 0, 1, vcc
	v_lshlrev_b32_e32 v24, 3, v24
	v_add_lshl_u32 v47, v24, v34, 2
	ds_bpermute_b32 v24, v47, v21
	v_cmp_le_u32_e32 vcc, v48, v17
	s_waitcnt lgkmcnt(0)
	s_nop 0
	v_cndmask_b32_e32 v24, 0, v24, vcc
	v_cmp_gt_u32_e32 vcc, 48, v41
	v_add_u32_e32 v21, v21, v24
	s_nop 0
	v_cndmask_b32_e64 v24, 0, 1, vcc
	v_lshlrev_b32_e32 v24, 4, v24
	v_add_lshl_u32 v49, v24, v34, 2
	ds_bpermute_b32 v24, v49, v21
	v_cmp_le_u32_e32 vcc, v50, v17
	s_waitcnt lgkmcnt(0)
	s_nop 0
	v_cndmask_b32_e32 v24, 0, v24, vcc
	v_cmp_gt_u32_e32 vcc, 32, v41
	v_add_u32_e32 v21, v21, v24
	s_nop 0
	v_cndmask_b32_e64 v24, 0, 1, vcc
	v_lshlrev_b32_e32 v24, 5, v24
	v_add_lshl_u32 v51, v24, v34, 2
	ds_bpermute_b32 v24, v51, v21
	v_cmp_le_u32_e32 vcc, v52, v17
	s_waitcnt lgkmcnt(0)
	s_nop 0
	v_cndmask_b32_e32 v17, 0, v24, vcc
	v_add_u32_e32 v24, v21, v17
	v_mov_b32_e32 v21, 0
	s_branch .LBB207_54
.LBB207_53:                             ;   in Loop: Header=BB207_54 Depth=1
	s_or_b64 exec, exec, s[40:41]
	v_cmp_eq_u16_sdwa s[40:41], v25, v40 src0_sel:BYTE_0 src1_sel:DWORD
	ds_bpermute_b32 v53, v42, v24
	v_subrev_u32_e32 v20, 64, v20
	v_and_b32_e32 v26, s41, v23
	v_or_b32_e32 v26, 0x80000000, v26
	v_and_b32_e32 v27, s40, v22
	v_ffbl_b32_e32 v26, v26
	v_add_u32_e32 v26, 32, v26
	v_ffbl_b32_e32 v27, v27
	v_min_u32_e32 v26, v27, v26
	v_cmp_lt_u32_e32 vcc, v41, v26
	s_waitcnt lgkmcnt(0)
	s_nop 0
	v_cndmask_b32_e32 v27, 0, v53, vcc
	v_add_u32_e32 v24, v27, v24
	ds_bpermute_b32 v27, v43, v24
	v_cmp_le_u32_e32 vcc, v44, v26
	s_waitcnt lgkmcnt(0)
	s_nop 0
	v_cndmask_b32_e32 v27, 0, v27, vcc
	v_add_u32_e32 v24, v24, v27
	ds_bpermute_b32 v27, v45, v24
	v_cmp_le_u32_e32 vcc, v46, v26
	;; [unrolled: 6-line block ×5, first 2 shown]
	s_waitcnt lgkmcnt(0)
	s_nop 0
	v_cndmask_b32_e32 v26, 0, v27, vcc
	v_add3_u32 v24, v26, v17, v24
.LBB207_54:                             ; =>This Loop Header: Depth=1
                                        ;     Child Loop BB207_57 Depth 2
                                        ;       Child Loop BB207_58 Depth 3
	v_cmp_ne_u16_sdwa s[40:41], v25, v40 src0_sel:BYTE_0 src1_sel:DWORD
	s_nop 1
	v_cndmask_b32_e64 v17, 0, 1, s[40:41]
	;;#ASMSTART
	;;#ASMEND
	s_nop 0
	v_cmp_ne_u32_e32 vcc, 0, v17
	s_cmp_lg_u64 vcc, exec
	v_mov_b32_e32 v17, v24
	s_cbranch_scc1 .LBB207_61
; %bb.55:                               ;   in Loop: Header=BB207_54 Depth=1
	v_lshl_add_u64 v[26:27], v[20:21], 3, s[36:37]
	global_load_dwordx2 v[24:25], v[26:27], off sc1
	s_waitcnt vmcnt(0)
	v_cmp_eq_u16_sdwa s[42:43], v25, v21 src0_sel:BYTE_0 src1_sel:DWORD
	s_and_saveexec_b64 s[40:41], s[42:43]
	s_cbranch_execz .LBB207_53
; %bb.56:                               ;   in Loop: Header=BB207_54 Depth=1
	s_mov_b32 s3, 1
	s_mov_b64 s[42:43], 0
.LBB207_57:                             ;   Parent Loop BB207_54 Depth=1
                                        ; =>  This Loop Header: Depth=2
                                        ;       Child Loop BB207_58 Depth 3
	s_max_u32 s25, s3, 1
.LBB207_58:                             ;   Parent Loop BB207_54 Depth=1
                                        ;     Parent Loop BB207_57 Depth=2
                                        ; =>    This Inner Loop Header: Depth=3
	s_add_i32 s25, s25, -1
	s_cmp_eq_u32 s25, 0
	s_sleep 1
	s_cbranch_scc0 .LBB207_58
; %bb.59:                               ;   in Loop: Header=BB207_57 Depth=2
	global_load_dwordx2 v[24:25], v[26:27], off sc1
	s_cmp_lt_u32 s3, 32
	s_cselect_b64 s[44:45], -1, 0
	s_cmp_lg_u64 s[44:45], 0
	s_addc_u32 s3, s3, 0
	s_waitcnt vmcnt(0)
	v_cmp_ne_u16_sdwa s[44:45], v25, v21 src0_sel:BYTE_0 src1_sel:DWORD
	s_or_b64 s[42:43], s[44:45], s[42:43]
	s_andn2_b64 exec, exec, s[42:43]
	s_cbranch_execnz .LBB207_57
; %bb.60:                               ;   in Loop: Header=BB207_54 Depth=1
	s_or_b64 exec, exec, s[42:43]
	s_branch .LBB207_53
.LBB207_61:                             ;   in Loop: Header=BB207_54 Depth=1
                                        ; implicit-def: $vgpr24
                                        ; implicit-def: $vgpr25
	s_cbranch_execz .LBB207_54
; %bb.62:
	s_and_saveexec_b64 s[40:41], s[16:17]
	s_cbranch_execz .LBB207_64
; %bb.63:
	s_add_i32 s2, s2, 64
	s_mov_b32 s3, 0
	s_lshl_b64 s[2:3], s[2:3], 3
	s_add_u32 s2, s36, s2
	v_add_u32_e32 v20, v17, v16
	v_mov_b32_e32 v21, 2
	s_addc_u32 s3, s37, s3
	v_mov_b32_e32 v22, 0
	global_store_dwordx2 v22, v[20:21], s[2:3] sc1
	ds_write_b64 v22, v[16:17] offset:28672
.LBB207_64:
	s_or_b64 exec, exec, s[40:41]
	v_cmp_eq_u32_e32 vcc, 0, v0
	s_and_b64 exec, exec, vcc
	s_cbranch_execz .LBB207_66
; %bb.65:
	v_mov_b32_e32 v16, 0
	ds_write_b32 v16, v17 offset:28
.LBB207_66:
	s_or_b64 exec, exec, s[38:39]
	v_mov_b32_e32 v16, 0
	s_waitcnt lgkmcnt(0)
	s_barrier
	ds_read_b32 v17, v16 offset:28
	v_cndmask_b32_e64 v20, v39, v38, s[16:17]
	v_cmp_ne_u32_e32 vcc, 0, v0
	s_waitcnt lgkmcnt(0)
	s_barrier
	v_cndmask_b32_e32 v20, 0, v20, vcc
	v_add_u32_e32 v27, v17, v20
	v_add_u32_e32 v26, v27, v33
	ds_read_b64 v[16:17], v16 offset:28672
	v_add_u32_e32 v25, v26, v32
	v_add_u32_e32 v23, v25, v31
	;; [unrolled: 1-line block ×5, first 2 shown]
	s_waitcnt lgkmcnt(0)
	v_mov_b32_e32 v22, v17
	s_load_dwordx2 s[2:3], s[0:1], 0x30
	s_branch .LBB207_77
.LBB207_67:
                                        ; implicit-def: $vgpr22
                                        ; implicit-def: $vgpr16
                                        ; implicit-def: $vgpr20
                                        ; implicit-def: $vgpr21
                                        ; implicit-def: $vgpr24
                                        ; implicit-def: $vgpr23
                                        ; implicit-def: $vgpr25
                                        ; implicit-def: $vgpr26
                                        ; implicit-def: $vgpr27
	s_load_dwordx2 s[2:3], s[0:1], 0x30
	s_cbranch_execz .LBB207_77
; %bb.68:
	v_mov_b32_dpp v16, v37 row_shr:1 row_mask:0xf bank_mask:0xf
	v_cndmask_b32_e64 v16, v16, 0, s[14:15]
	v_add_u32_e32 v16, v16, v37
	s_nop 1
	v_mov_b32_dpp v17, v16 row_shr:2 row_mask:0xf bank_mask:0xf
	v_cndmask_b32_e64 v17, 0, v17, s[12:13]
	v_add_u32_e32 v16, v16, v17
	s_nop 1
	;; [unrolled: 4-line block ×4, first 2 shown]
	v_mov_b32_dpp v17, v16 row_bcast:15 row_mask:0xf bank_mask:0xf
	v_cndmask_b32_e64 v17, v17, 0, s[6:7]
	v_add_u32_e32 v16, v16, v17
	s_nop 1
	v_mov_b32_dpp v17, v16 row_bcast:31 row_mask:0xf bank_mask:0xf
	v_cndmask_b32_e64 v17, 0, v17, s[18:19]
	v_add_u32_e32 v16, v16, v17
	s_and_saveexec_b64 s[0:1], s[4:5]
	s_cbranch_execz .LBB207_70
; %bb.69:
	v_lshlrev_b32_e32 v17, 2, v36
	ds_write_b32 v17, v16
.LBB207_70:
	s_or_b64 exec, exec, s[0:1]
	v_cmp_gt_u32_e32 vcc, 8, v0
	s_waitcnt lgkmcnt(0)
	s_barrier
	s_and_saveexec_b64 s[0:1], vcc
	s_cbranch_execz .LBB207_72
; %bb.71:
	v_mad_i32_i24 v17, v0, -3, v35
	ds_read_b32 v20, v17
	v_and_b32_e32 v21, 7, v34
	v_cmp_ne_u32_e32 vcc, 0, v21
	s_waitcnt lgkmcnt(0)
	v_mov_b32_dpp v22, v20 row_shr:1 row_mask:0xf bank_mask:0xf
	v_cndmask_b32_e32 v22, 0, v22, vcc
	v_add_u32_e32 v20, v22, v20
	v_cmp_lt_u32_e32 vcc, 1, v21
	s_nop 0
	v_mov_b32_dpp v22, v20 row_shr:2 row_mask:0xf bank_mask:0xf
	v_cndmask_b32_e32 v22, 0, v22, vcc
	v_add_u32_e32 v20, v20, v22
	v_cmp_lt_u32_e32 vcc, 3, v21
	s_nop 0
	v_mov_b32_dpp v22, v20 row_shr:4 row_mask:0xf bank_mask:0xf
	v_cndmask_b32_e32 v21, 0, v22, vcc
	v_add_u32_e32 v20, v20, v21
	ds_write_b32 v17, v20
.LBB207_72:
	s_or_b64 exec, exec, s[0:1]
	v_cmp_lt_u32_e32 vcc, 63, v0
	v_mov_b32_e32 v17, 0
	v_mov_b32_e32 v20, 0
	s_waitcnt lgkmcnt(0)
	s_barrier
	s_and_saveexec_b64 s[0:1], vcc
	s_cbranch_execz .LBB207_74
; %bb.73:
	v_lshl_add_u32 v20, v36, 2, -4
	ds_read_b32 v20, v20
.LBB207_74:
	s_or_b64 exec, exec, s[0:1]
	v_add_u32_e32 v21, -1, v34
	v_and_b32_e32 v22, 64, v34
	v_cmp_lt_i32_e32 vcc, v21, v22
	s_waitcnt lgkmcnt(0)
	v_add_u32_e32 v16, v20, v16
	v_cndmask_b32_e32 v21, v21, v34, vcc
	v_lshlrev_b32_e32 v21, 2, v21
	ds_bpermute_b32 v21, v21, v16
	ds_read_b32 v16, v17 offset:28
	v_cmp_eq_u32_e32 vcc, 0, v0
	s_and_saveexec_b64 s[0:1], vcc
	s_cbranch_execz .LBB207_76
; %bb.75:
	v_mov_b32_e32 v22, 0
	v_mov_b32_e32 v17, 2
	s_waitcnt lgkmcnt(0)
	global_store_dwordx2 v22, v[16:17], s[36:37] offset:512 sc1
.LBB207_76:
	s_or_b64 exec, exec, s[0:1]
	v_cmp_eq_u32_e64 s[0:1], 0, v34
	v_mov_b32_e32 v22, 0
	s_waitcnt lgkmcnt(0)
	v_cndmask_b32_e64 v17, v21, v20, s[0:1]
	v_cndmask_b32_e64 v27, v17, 0, vcc
	v_add_u32_e32 v26, v27, v33
	v_add_u32_e32 v25, v26, v32
	;; [unrolled: 1-line block ×6, first 2 shown]
	s_barrier
.LBB207_77:
	v_add_u32_e32 v1, v16, v1
	v_sub_u32_e32 v17, v27, v22
	v_sub_u32_e32 v27, v1, v17
	v_cmp_eq_u32_e32 vcc, 1, v33
	s_add_u32 s0, s26, s24
	s_addc_u32 s1, s27, 0
	v_cndmask_b32_e32 v17, v27, v17, vcc
	v_lshlrev_b32_e32 v17, 3, v17
	ds_write_b64 v17, v[10:11]
	v_sub_u32_e32 v10, v26, v22
	v_sub_u32_e32 v11, v1, v10
	v_add_u32_e32 v11, 1, v11
	v_cmp_eq_u32_e32 vcc, 1, v32
	s_sub_u32 s0, s28, s0
	s_subb_u32 s1, s29, s1
	v_cndmask_b32_e32 v10, v11, v10, vcc
	v_lshlrev_b32_e32 v10, 3, v10
	ds_write_b64 v10, v[12:13]
	v_sub_u32_e32 v10, v25, v22
	v_sub_u32_e32 v11, v1, v10
	v_add_u32_e32 v11, 2, v11
	v_cmp_eq_u32_e32 vcc, 1, v31
	v_or_b32_e32 v32, 0x200, v0
	v_or_b32_e32 v26, 0x800, v0
	v_cndmask_b32_e32 v10, v11, v10, vcc
	v_lshlrev_b32_e32 v10, 3, v10
	ds_write_b64 v10, v[6:7]
	v_sub_u32_e32 v6, v23, v22
	v_sub_u32_e32 v7, v1, v6
	v_add_u32_e32 v7, 3, v7
	v_cmp_eq_u32_e32 vcc, 1, v30
	v_or_b32_e32 v30, 0x400, v0
	s_nop 0
	v_cndmask_b32_e32 v6, v7, v6, vcc
	v_lshlrev_b32_e32 v6, 3, v6
	ds_write_b64 v6, v[8:9]
	v_sub_u32_e32 v6, v24, v22
	v_sub_u32_e32 v7, v1, v6
	v_add_u32_e32 v7, 4, v7
	v_cmp_eq_u32_e32 vcc, 1, v29
	v_or_b32_e32 v24, 0xa00, v0
	s_nop 0
	;; [unrolled: 9-line block ×4, first 2 shown]
	v_cndmask_b32_e32 v1, v1, v2, vcc
	v_lshlrev_b32_e32 v1, 3, v1
	ds_write_b64 v1, v[14:15]
	s_waitcnt lgkmcnt(0)
	s_barrier
	ds_read2st64_b64 v[10:13], v18 offset1:8
	ds_read2st64_b64 v[6:9], v18 offset0:16 offset1:24
	ds_read2st64_b64 v[2:5], v18 offset0:32 offset1:40
	ds_read_b64 v[18:19], v18 offset:24576
	v_mov_b32_e32 v1, 0
	v_mov_b32_e32 v23, v1
	;; [unrolled: 1-line block ×3, first 2 shown]
	v_lshl_add_u64 v[14:15], s[30:31], 0, v[22:23]
	v_lshl_add_u64 v[22:23], s[0:1], 0, v[16:17]
	v_mov_b32_e32 v33, v1
	v_mov_b32_e32 v31, v1
	;; [unrolled: 1-line block ×6, first 2 shown]
	s_andn2_b64 vcc, exec, s[34:35]
	v_lshl_add_u64 v[22:23], v[22:23], 0, v[14:15]
	s_cbranch_vccnz .LBB207_107
; %bb.78:
	v_cmp_ge_u32_e32 vcc, v0, v16
                                        ; implicit-def: $vgpr34_vgpr35
	s_and_saveexec_b64 s[0:1], vcc
	s_xor_b64 s[0:1], exec, s[0:1]
; %bb.79:
	v_not_b32_e32 v34, v0
	v_ashrrev_i32_e32 v35, 31, v34
	v_lshl_add_u64 v[34:35], v[22:23], 0, v[34:35]
; %bb.80:
	s_andn2_saveexec_b64 s[0:1], s[0:1]
; %bb.81:
	v_lshl_add_u64 v[34:35], v[14:15], 0, v[0:1]
; %bb.82:
	s_or_b64 exec, exec, s[0:1]
	v_lshl_add_u64 v[34:35], v[34:35], 3, s[2:3]
	v_cmp_ge_u32_e32 vcc, v32, v16
	s_waitcnt lgkmcnt(3)
	global_store_dwordx2 v[34:35], v[10:11], off
                                        ; implicit-def: $vgpr34_vgpr35
	s_and_saveexec_b64 s[0:1], vcc
	s_xor_b64 s[0:1], exec, s[0:1]
; %bb.83:
	v_xor_b32_e32 v34, 0xfffffdff, v0
	v_ashrrev_i32_e32 v35, 31, v34
	v_lshl_add_u64 v[34:35], v[22:23], 0, v[34:35]
; %bb.84:
	s_andn2_saveexec_b64 s[0:1], s[0:1]
; %bb.85:
	v_lshl_add_u64 v[34:35], v[14:15], 0, v[32:33]
; %bb.86:
	s_or_b64 exec, exec, s[0:1]
	v_lshl_add_u64 v[34:35], v[34:35], 3, s[2:3]
	v_cmp_ge_u32_e32 vcc, v30, v16
	global_store_dwordx2 v[34:35], v[12:13], off
                                        ; implicit-def: $vgpr34_vgpr35
	s_and_saveexec_b64 s[0:1], vcc
	s_xor_b64 s[0:1], exec, s[0:1]
; %bb.87:
	v_xor_b32_e32 v34, 0xfffffbff, v0
	v_ashrrev_i32_e32 v35, 31, v34
	v_lshl_add_u64 v[34:35], v[22:23], 0, v[34:35]
; %bb.88:
	s_andn2_saveexec_b64 s[0:1], s[0:1]
; %bb.89:
	v_lshl_add_u64 v[34:35], v[14:15], 0, v[30:31]
; %bb.90:
	s_or_b64 exec, exec, s[0:1]
	v_lshl_add_u64 v[34:35], v[34:35], 3, s[2:3]
	v_cmp_ge_u32_e32 vcc, v28, v16
	s_waitcnt lgkmcnt(2)
	global_store_dwordx2 v[34:35], v[6:7], off
                                        ; implicit-def: $vgpr34_vgpr35
	s_and_saveexec_b64 s[0:1], vcc
	s_xor_b64 s[0:1], exec, s[0:1]
; %bb.91:
	v_xor_b32_e32 v34, 0xfffff9ff, v0
	v_ashrrev_i32_e32 v35, 31, v34
	v_lshl_add_u64 v[34:35], v[22:23], 0, v[34:35]
; %bb.92:
	s_andn2_saveexec_b64 s[0:1], s[0:1]
; %bb.93:
	v_lshl_add_u64 v[34:35], v[14:15], 0, v[28:29]
; %bb.94:
	s_or_b64 exec, exec, s[0:1]
	v_lshl_add_u64 v[34:35], v[34:35], 3, s[2:3]
	v_cmp_ge_u32_e32 vcc, v26, v16
	global_store_dwordx2 v[34:35], v[8:9], off
                                        ; implicit-def: $vgpr34_vgpr35
	s_and_saveexec_b64 s[0:1], vcc
	s_xor_b64 s[0:1], exec, s[0:1]
; %bb.95:
	v_xor_b32_e32 v34, 0xfffff7ff, v0
	v_ashrrev_i32_e32 v35, 31, v34
	v_lshl_add_u64 v[34:35], v[22:23], 0, v[34:35]
; %bb.96:
	s_andn2_saveexec_b64 s[0:1], s[0:1]
; %bb.97:
	v_lshl_add_u64 v[34:35], v[14:15], 0, v[26:27]
; %bb.98:
	s_or_b64 exec, exec, s[0:1]
	v_lshl_add_u64 v[34:35], v[34:35], 3, s[2:3]
	v_cmp_ge_u32_e32 vcc, v24, v16
	s_waitcnt lgkmcnt(1)
	global_store_dwordx2 v[34:35], v[2:3], off
                                        ; implicit-def: $vgpr34_vgpr35
	s_and_saveexec_b64 s[0:1], vcc
	s_xor_b64 s[0:1], exec, s[0:1]
; %bb.99:
	v_xor_b32_e32 v34, 0xfffff5ff, v0
	v_ashrrev_i32_e32 v35, 31, v34
	v_lshl_add_u64 v[34:35], v[22:23], 0, v[34:35]
; %bb.100:
	s_andn2_saveexec_b64 s[0:1], s[0:1]
; %bb.101:
	v_lshl_add_u64 v[34:35], v[14:15], 0, v[24:25]
; %bb.102:
	s_or_b64 exec, exec, s[0:1]
	v_lshl_add_u64 v[34:35], v[34:35], 3, s[2:3]
	v_cmp_ge_u32_e32 vcc, v20, v16
	global_store_dwordx2 v[34:35], v[4:5], off
                                        ; implicit-def: $vgpr34_vgpr35
	s_and_saveexec_b64 s[0:1], vcc
	s_xor_b64 s[0:1], exec, s[0:1]
; %bb.103:
	v_xor_b32_e32 v34, 0xfffff3ff, v0
	v_ashrrev_i32_e32 v35, 31, v34
	v_lshl_add_u64 v[34:35], v[22:23], 0, v[34:35]
; %bb.104:
	s_andn2_saveexec_b64 s[0:1], s[0:1]
; %bb.105:
	v_lshl_add_u64 v[34:35], v[14:15], 0, v[20:21]
; %bb.106:
	s_or_b64 exec, exec, s[0:1]
	s_mov_b64 s[0:1], -1
	s_branch .LBB207_151
.LBB207_107:
	s_mov_b64 s[0:1], 0
                                        ; implicit-def: $vgpr34_vgpr35
	s_cbranch_execz .LBB207_151
; %bb.108:
	v_cmp_gt_u32_e32 vcc, s33, v0
	s_and_saveexec_b64 s[4:5], vcc
	s_cbranch_execz .LBB207_126
; %bb.109:
	v_cmp_ge_u32_e32 vcc, v0, v16
                                        ; implicit-def: $vgpr34_vgpr35
	s_and_saveexec_b64 s[6:7], vcc
	s_xor_b64 s[6:7], exec, s[6:7]
; %bb.110:
	v_not_b32_e32 v34, v0
	v_ashrrev_i32_e32 v35, 31, v34
	v_lshl_add_u64 v[34:35], v[22:23], 0, v[34:35]
; %bb.111:
	s_andn2_saveexec_b64 s[6:7], s[6:7]
; %bb.112:
	v_lshl_add_u64 v[34:35], v[14:15], 0, v[0:1]
; %bb.113:
	s_or_b64 exec, exec, s[6:7]
	v_lshl_add_u64 v[34:35], v[34:35], 3, s[2:3]
	s_waitcnt lgkmcnt(3)
	global_store_dwordx2 v[34:35], v[10:11], off
	s_or_b64 exec, exec, s[4:5]
	v_cmp_gt_u32_e32 vcc, s33, v32
	s_and_saveexec_b64 s[4:5], vcc
	s_cbranch_execnz .LBB207_127
.LBB207_114:
	s_or_b64 exec, exec, s[4:5]
	v_cmp_gt_u32_e32 vcc, s33, v30
	s_and_saveexec_b64 s[4:5], vcc
	s_cbranch_execz .LBB207_132
.LBB207_115:
	v_cmp_ge_u32_e32 vcc, v30, v16
                                        ; implicit-def: $vgpr10_vgpr11
	s_and_saveexec_b64 s[6:7], vcc
	s_xor_b64 s[6:7], exec, s[6:7]
	s_cbranch_execz .LBB207_117
; %bb.116:
	s_waitcnt lgkmcnt(3)
	v_xor_b32_e32 v10, 0xfffffbff, v0
	v_ashrrev_i32_e32 v11, 31, v10
	v_lshl_add_u64 v[10:11], v[22:23], 0, v[10:11]
                                        ; implicit-def: $vgpr30_vgpr31
.LBB207_117:
	s_andn2_saveexec_b64 s[6:7], s[6:7]
	s_cbranch_execz .LBB207_119
; %bb.118:
	s_waitcnt lgkmcnt(3)
	v_lshl_add_u64 v[10:11], v[14:15], 0, v[30:31]
.LBB207_119:
	s_or_b64 exec, exec, s[6:7]
	s_waitcnt lgkmcnt(3)
	v_lshl_add_u64 v[10:11], v[10:11], 3, s[2:3]
	s_waitcnt lgkmcnt(2)
	global_store_dwordx2 v[10:11], v[6:7], off
	s_or_b64 exec, exec, s[4:5]
	v_cmp_gt_u32_e32 vcc, s33, v28
	s_and_saveexec_b64 s[4:5], vcc
	s_cbranch_execnz .LBB207_133
.LBB207_120:
	s_or_b64 exec, exec, s[4:5]
	v_cmp_gt_u32_e32 vcc, s33, v26
	s_and_saveexec_b64 s[4:5], vcc
	s_cbranch_execz .LBB207_138
.LBB207_121:
	v_cmp_ge_u32_e32 vcc, v26, v16
                                        ; implicit-def: $vgpr6_vgpr7
	s_and_saveexec_b64 s[6:7], vcc
	s_xor_b64 s[6:7], exec, s[6:7]
	s_cbranch_execz .LBB207_123
; %bb.122:
	s_waitcnt lgkmcnt(2)
	v_xor_b32_e32 v6, 0xfffff7ff, v0
	v_ashrrev_i32_e32 v7, 31, v6
	v_lshl_add_u64 v[6:7], v[22:23], 0, v[6:7]
                                        ; implicit-def: $vgpr26_vgpr27
.LBB207_123:
	s_andn2_saveexec_b64 s[6:7], s[6:7]
	s_cbranch_execz .LBB207_125
; %bb.124:
	s_waitcnt lgkmcnt(2)
	v_lshl_add_u64 v[6:7], v[14:15], 0, v[26:27]
.LBB207_125:
	s_or_b64 exec, exec, s[6:7]
	s_waitcnt lgkmcnt(2)
	v_lshl_add_u64 v[6:7], v[6:7], 3, s[2:3]
	s_waitcnt lgkmcnt(1)
	global_store_dwordx2 v[6:7], v[2:3], off
	s_or_b64 exec, exec, s[4:5]
	v_cmp_gt_u32_e32 vcc, s33, v24
	s_and_saveexec_b64 s[4:5], vcc
	s_cbranch_execz .LBB207_144
	s_branch .LBB207_139
.LBB207_126:
	s_or_b64 exec, exec, s[4:5]
	v_cmp_gt_u32_e32 vcc, s33, v32
	s_and_saveexec_b64 s[4:5], vcc
	s_cbranch_execz .LBB207_114
.LBB207_127:
	v_cmp_ge_u32_e32 vcc, v32, v16
                                        ; implicit-def: $vgpr10_vgpr11
	s_and_saveexec_b64 s[6:7], vcc
	s_xor_b64 s[6:7], exec, s[6:7]
	s_cbranch_execz .LBB207_129
; %bb.128:
	s_waitcnt lgkmcnt(3)
	v_xor_b32_e32 v10, 0xfffffdff, v0
	v_ashrrev_i32_e32 v11, 31, v10
	v_lshl_add_u64 v[10:11], v[22:23], 0, v[10:11]
                                        ; implicit-def: $vgpr32_vgpr33
.LBB207_129:
	s_andn2_saveexec_b64 s[6:7], s[6:7]
	s_cbranch_execz .LBB207_131
; %bb.130:
	s_waitcnt lgkmcnt(3)
	v_lshl_add_u64 v[10:11], v[14:15], 0, v[32:33]
.LBB207_131:
	s_or_b64 exec, exec, s[6:7]
	s_waitcnt lgkmcnt(3)
	v_lshl_add_u64 v[10:11], v[10:11], 3, s[2:3]
	global_store_dwordx2 v[10:11], v[12:13], off
	s_or_b64 exec, exec, s[4:5]
	v_cmp_gt_u32_e32 vcc, s33, v30
	s_and_saveexec_b64 s[4:5], vcc
	s_cbranch_execnz .LBB207_115
.LBB207_132:
	s_or_b64 exec, exec, s[4:5]
	v_cmp_gt_u32_e32 vcc, s33, v28
	s_and_saveexec_b64 s[4:5], vcc
	s_cbranch_execz .LBB207_120
.LBB207_133:
	v_cmp_ge_u32_e32 vcc, v28, v16
                                        ; implicit-def: $vgpr6_vgpr7
	s_and_saveexec_b64 s[6:7], vcc
	s_xor_b64 s[6:7], exec, s[6:7]
	s_cbranch_execz .LBB207_135
; %bb.134:
	s_waitcnt lgkmcnt(2)
	v_xor_b32_e32 v6, 0xfffff9ff, v0
	v_ashrrev_i32_e32 v7, 31, v6
	v_lshl_add_u64 v[6:7], v[22:23], 0, v[6:7]
                                        ; implicit-def: $vgpr28_vgpr29
.LBB207_135:
	s_andn2_saveexec_b64 s[6:7], s[6:7]
	s_cbranch_execz .LBB207_137
; %bb.136:
	s_waitcnt lgkmcnt(2)
	v_lshl_add_u64 v[6:7], v[14:15], 0, v[28:29]
.LBB207_137:
	s_or_b64 exec, exec, s[6:7]
	s_waitcnt lgkmcnt(2)
	v_lshl_add_u64 v[6:7], v[6:7], 3, s[2:3]
	global_store_dwordx2 v[6:7], v[8:9], off
	s_or_b64 exec, exec, s[4:5]
	v_cmp_gt_u32_e32 vcc, s33, v26
	s_and_saveexec_b64 s[4:5], vcc
	s_cbranch_execnz .LBB207_121
.LBB207_138:
	s_or_b64 exec, exec, s[4:5]
	v_cmp_gt_u32_e32 vcc, s33, v24
	s_and_saveexec_b64 s[4:5], vcc
	s_cbranch_execz .LBB207_144
.LBB207_139:
	v_cmp_ge_u32_e32 vcc, v24, v16
                                        ; implicit-def: $vgpr2_vgpr3
	s_and_saveexec_b64 s[6:7], vcc
	s_xor_b64 s[6:7], exec, s[6:7]
	s_cbranch_execz .LBB207_141
; %bb.140:
	s_waitcnt lgkmcnt(1)
	v_xor_b32_e32 v2, 0xfffff5ff, v0
	v_ashrrev_i32_e32 v3, 31, v2
	v_lshl_add_u64 v[2:3], v[22:23], 0, v[2:3]
                                        ; implicit-def: $vgpr24_vgpr25
.LBB207_141:
	s_andn2_saveexec_b64 s[6:7], s[6:7]
	s_cbranch_execz .LBB207_143
; %bb.142:
	s_waitcnt lgkmcnt(1)
	v_lshl_add_u64 v[2:3], v[14:15], 0, v[24:25]
.LBB207_143:
	s_or_b64 exec, exec, s[6:7]
	s_waitcnt lgkmcnt(1)
	v_lshl_add_u64 v[2:3], v[2:3], 3, s[2:3]
	global_store_dwordx2 v[2:3], v[4:5], off
.LBB207_144:
	s_or_b64 exec, exec, s[4:5]
	v_cmp_gt_u32_e32 vcc, s33, v20
                                        ; implicit-def: $vgpr34_vgpr35
	s_and_saveexec_b64 s[4:5], vcc
	s_cbranch_execz .LBB207_150
; %bb.145:
	v_cmp_ge_u32_e32 vcc, v20, v16
                                        ; implicit-def: $vgpr34_vgpr35
	s_and_saveexec_b64 s[6:7], vcc
	s_xor_b64 s[6:7], exec, s[6:7]
	s_cbranch_execz .LBB207_147
; %bb.146:
	s_waitcnt lgkmcnt(1)
	v_xor_b32_e32 v2, 0xfffff3ff, v0
	v_ashrrev_i32_e32 v3, 31, v2
	v_lshl_add_u64 v[34:35], v[22:23], 0, v[2:3]
                                        ; implicit-def: $vgpr20_vgpr21
.LBB207_147:
	s_andn2_saveexec_b64 s[6:7], s[6:7]
; %bb.148:
	v_lshl_add_u64 v[34:35], v[14:15], 0, v[20:21]
; %bb.149:
	s_or_b64 exec, exec, s[6:7]
	s_or_b64 s[0:1], s[0:1], exec
.LBB207_150:
	s_or_b64 exec, exec, s[4:5]
.LBB207_151:
	s_and_saveexec_b64 s[4:5], s[0:1]
	s_cbranch_execz .LBB207_153
; %bb.152:
	s_waitcnt lgkmcnt(1)
	v_lshl_add_u64 v[2:3], v[34:35], 3, s[2:3]
	s_waitcnt lgkmcnt(0)
	global_store_dwordx2 v[2:3], v[18:19], off
.LBB207_153:
	s_or_b64 exec, exec, s[4:5]
	v_cmp_eq_u32_e32 vcc, 0, v0
	s_and_b64 s[0:1], vcc, s[22:23]
	s_and_saveexec_b64 s[2:3], s[0:1]
	s_cbranch_execz .LBB207_155
; %bb.154:
	s_waitcnt lgkmcnt(1)
	v_mov_b32_e32 v2, 0
	v_lshl_add_u64 v[0:1], v[14:15], 0, v[16:17]
	global_store_dwordx2 v2, v[0:1], s[20:21]
.LBB207_155:
	s_endpgm
	.section	.rodata,"a",@progbits
	.p2align	6, 0x0
	.amdhsa_kernel _ZN7rocprim17ROCPRIM_400000_NS6detail17trampoline_kernelINS0_14default_configENS1_25partition_config_selectorILNS1_17partition_subalgoE2ExNS0_10empty_typeEbEEZZNS1_14partition_implILS5_2ELb0ES3_jN6thrust23THRUST_200600_302600_NS6detail15normal_iteratorINSA_7pointerIxNSA_11hip_rocprim3tagENSA_11use_defaultESG_EEEEPS6_NSA_18transform_iteratorI7is_evenIxENSC_INSA_10device_ptrIxEEEESG_SG_EENS0_5tupleIJPxSJ_EEENSR_IJSJ_SJ_EEES6_PlJS6_EEE10hipError_tPvRmT3_T4_T5_T6_T7_T9_mT8_P12ihipStream_tbDpT10_ENKUlT_T0_E_clISt17integral_constantIbLb1EES1E_IbLb0EEEEDaS1A_S1B_EUlS1A_E_NS1_11comp_targetILNS1_3genE5ELNS1_11target_archE942ELNS1_3gpuE9ELNS1_3repE0EEENS1_30default_config_static_selectorELNS0_4arch9wavefront6targetE1EEEvT1_
		.amdhsa_group_segment_fixed_size 28680
		.amdhsa_private_segment_fixed_size 0
		.amdhsa_kernarg_size 128
		.amdhsa_user_sgpr_count 2
		.amdhsa_user_sgpr_dispatch_ptr 0
		.amdhsa_user_sgpr_queue_ptr 0
		.amdhsa_user_sgpr_kernarg_segment_ptr 1
		.amdhsa_user_sgpr_dispatch_id 0
		.amdhsa_user_sgpr_kernarg_preload_length 0
		.amdhsa_user_sgpr_kernarg_preload_offset 0
		.amdhsa_user_sgpr_private_segment_size 0
		.amdhsa_uses_dynamic_stack 0
		.amdhsa_enable_private_segment 0
		.amdhsa_system_sgpr_workgroup_id_x 1
		.amdhsa_system_sgpr_workgroup_id_y 0
		.amdhsa_system_sgpr_workgroup_id_z 0
		.amdhsa_system_sgpr_workgroup_info 0
		.amdhsa_system_vgpr_workitem_id 0
		.amdhsa_next_free_vgpr 54
		.amdhsa_next_free_sgpr 46
		.amdhsa_accum_offset 56
		.amdhsa_reserve_vcc 1
		.amdhsa_float_round_mode_32 0
		.amdhsa_float_round_mode_16_64 0
		.amdhsa_float_denorm_mode_32 3
		.amdhsa_float_denorm_mode_16_64 3
		.amdhsa_dx10_clamp 1
		.amdhsa_ieee_mode 1
		.amdhsa_fp16_overflow 0
		.amdhsa_tg_split 0
		.amdhsa_exception_fp_ieee_invalid_op 0
		.amdhsa_exception_fp_denorm_src 0
		.amdhsa_exception_fp_ieee_div_zero 0
		.amdhsa_exception_fp_ieee_overflow 0
		.amdhsa_exception_fp_ieee_underflow 0
		.amdhsa_exception_fp_ieee_inexact 0
		.amdhsa_exception_int_div_zero 0
	.end_amdhsa_kernel
	.section	.text._ZN7rocprim17ROCPRIM_400000_NS6detail17trampoline_kernelINS0_14default_configENS1_25partition_config_selectorILNS1_17partition_subalgoE2ExNS0_10empty_typeEbEEZZNS1_14partition_implILS5_2ELb0ES3_jN6thrust23THRUST_200600_302600_NS6detail15normal_iteratorINSA_7pointerIxNSA_11hip_rocprim3tagENSA_11use_defaultESG_EEEEPS6_NSA_18transform_iteratorI7is_evenIxENSC_INSA_10device_ptrIxEEEESG_SG_EENS0_5tupleIJPxSJ_EEENSR_IJSJ_SJ_EEES6_PlJS6_EEE10hipError_tPvRmT3_T4_T5_T6_T7_T9_mT8_P12ihipStream_tbDpT10_ENKUlT_T0_E_clISt17integral_constantIbLb1EES1E_IbLb0EEEEDaS1A_S1B_EUlS1A_E_NS1_11comp_targetILNS1_3genE5ELNS1_11target_archE942ELNS1_3gpuE9ELNS1_3repE0EEENS1_30default_config_static_selectorELNS0_4arch9wavefront6targetE1EEEvT1_,"axG",@progbits,_ZN7rocprim17ROCPRIM_400000_NS6detail17trampoline_kernelINS0_14default_configENS1_25partition_config_selectorILNS1_17partition_subalgoE2ExNS0_10empty_typeEbEEZZNS1_14partition_implILS5_2ELb0ES3_jN6thrust23THRUST_200600_302600_NS6detail15normal_iteratorINSA_7pointerIxNSA_11hip_rocprim3tagENSA_11use_defaultESG_EEEEPS6_NSA_18transform_iteratorI7is_evenIxENSC_INSA_10device_ptrIxEEEESG_SG_EENS0_5tupleIJPxSJ_EEENSR_IJSJ_SJ_EEES6_PlJS6_EEE10hipError_tPvRmT3_T4_T5_T6_T7_T9_mT8_P12ihipStream_tbDpT10_ENKUlT_T0_E_clISt17integral_constantIbLb1EES1E_IbLb0EEEEDaS1A_S1B_EUlS1A_E_NS1_11comp_targetILNS1_3genE5ELNS1_11target_archE942ELNS1_3gpuE9ELNS1_3repE0EEENS1_30default_config_static_selectorELNS0_4arch9wavefront6targetE1EEEvT1_,comdat
.Lfunc_end207:
	.size	_ZN7rocprim17ROCPRIM_400000_NS6detail17trampoline_kernelINS0_14default_configENS1_25partition_config_selectorILNS1_17partition_subalgoE2ExNS0_10empty_typeEbEEZZNS1_14partition_implILS5_2ELb0ES3_jN6thrust23THRUST_200600_302600_NS6detail15normal_iteratorINSA_7pointerIxNSA_11hip_rocprim3tagENSA_11use_defaultESG_EEEEPS6_NSA_18transform_iteratorI7is_evenIxENSC_INSA_10device_ptrIxEEEESG_SG_EENS0_5tupleIJPxSJ_EEENSR_IJSJ_SJ_EEES6_PlJS6_EEE10hipError_tPvRmT3_T4_T5_T6_T7_T9_mT8_P12ihipStream_tbDpT10_ENKUlT_T0_E_clISt17integral_constantIbLb1EES1E_IbLb0EEEEDaS1A_S1B_EUlS1A_E_NS1_11comp_targetILNS1_3genE5ELNS1_11target_archE942ELNS1_3gpuE9ELNS1_3repE0EEENS1_30default_config_static_selectorELNS0_4arch9wavefront6targetE1EEEvT1_, .Lfunc_end207-_ZN7rocprim17ROCPRIM_400000_NS6detail17trampoline_kernelINS0_14default_configENS1_25partition_config_selectorILNS1_17partition_subalgoE2ExNS0_10empty_typeEbEEZZNS1_14partition_implILS5_2ELb0ES3_jN6thrust23THRUST_200600_302600_NS6detail15normal_iteratorINSA_7pointerIxNSA_11hip_rocprim3tagENSA_11use_defaultESG_EEEEPS6_NSA_18transform_iteratorI7is_evenIxENSC_INSA_10device_ptrIxEEEESG_SG_EENS0_5tupleIJPxSJ_EEENSR_IJSJ_SJ_EEES6_PlJS6_EEE10hipError_tPvRmT3_T4_T5_T6_T7_T9_mT8_P12ihipStream_tbDpT10_ENKUlT_T0_E_clISt17integral_constantIbLb1EES1E_IbLb0EEEEDaS1A_S1B_EUlS1A_E_NS1_11comp_targetILNS1_3genE5ELNS1_11target_archE942ELNS1_3gpuE9ELNS1_3repE0EEENS1_30default_config_static_selectorELNS0_4arch9wavefront6targetE1EEEvT1_
                                        ; -- End function
	.section	.AMDGPU.csdata,"",@progbits
; Kernel info:
; codeLenInByte = 5560
; NumSgprs: 52
; NumVgprs: 54
; NumAgprs: 0
; TotalNumVgprs: 54
; ScratchSize: 0
; MemoryBound: 0
; FloatMode: 240
; IeeeMode: 1
; LDSByteSize: 28680 bytes/workgroup (compile time only)
; SGPRBlocks: 6
; VGPRBlocks: 6
; NumSGPRsForWavesPerEU: 52
; NumVGPRsForWavesPerEU: 54
; AccumOffset: 56
; Occupancy: 4
; WaveLimiterHint : 1
; COMPUTE_PGM_RSRC2:SCRATCH_EN: 0
; COMPUTE_PGM_RSRC2:USER_SGPR: 2
; COMPUTE_PGM_RSRC2:TRAP_HANDLER: 0
; COMPUTE_PGM_RSRC2:TGID_X_EN: 1
; COMPUTE_PGM_RSRC2:TGID_Y_EN: 0
; COMPUTE_PGM_RSRC2:TGID_Z_EN: 0
; COMPUTE_PGM_RSRC2:TIDIG_COMP_CNT: 0
; COMPUTE_PGM_RSRC3_GFX90A:ACCUM_OFFSET: 13
; COMPUTE_PGM_RSRC3_GFX90A:TG_SPLIT: 0
	.section	.text._ZN7rocprim17ROCPRIM_400000_NS6detail17trampoline_kernelINS0_14default_configENS1_25partition_config_selectorILNS1_17partition_subalgoE2ExNS0_10empty_typeEbEEZZNS1_14partition_implILS5_2ELb0ES3_jN6thrust23THRUST_200600_302600_NS6detail15normal_iteratorINSA_7pointerIxNSA_11hip_rocprim3tagENSA_11use_defaultESG_EEEEPS6_NSA_18transform_iteratorI7is_evenIxENSC_INSA_10device_ptrIxEEEESG_SG_EENS0_5tupleIJPxSJ_EEENSR_IJSJ_SJ_EEES6_PlJS6_EEE10hipError_tPvRmT3_T4_T5_T6_T7_T9_mT8_P12ihipStream_tbDpT10_ENKUlT_T0_E_clISt17integral_constantIbLb1EES1E_IbLb0EEEEDaS1A_S1B_EUlS1A_E_NS1_11comp_targetILNS1_3genE4ELNS1_11target_archE910ELNS1_3gpuE8ELNS1_3repE0EEENS1_30default_config_static_selectorELNS0_4arch9wavefront6targetE1EEEvT1_,"axG",@progbits,_ZN7rocprim17ROCPRIM_400000_NS6detail17trampoline_kernelINS0_14default_configENS1_25partition_config_selectorILNS1_17partition_subalgoE2ExNS0_10empty_typeEbEEZZNS1_14partition_implILS5_2ELb0ES3_jN6thrust23THRUST_200600_302600_NS6detail15normal_iteratorINSA_7pointerIxNSA_11hip_rocprim3tagENSA_11use_defaultESG_EEEEPS6_NSA_18transform_iteratorI7is_evenIxENSC_INSA_10device_ptrIxEEEESG_SG_EENS0_5tupleIJPxSJ_EEENSR_IJSJ_SJ_EEES6_PlJS6_EEE10hipError_tPvRmT3_T4_T5_T6_T7_T9_mT8_P12ihipStream_tbDpT10_ENKUlT_T0_E_clISt17integral_constantIbLb1EES1E_IbLb0EEEEDaS1A_S1B_EUlS1A_E_NS1_11comp_targetILNS1_3genE4ELNS1_11target_archE910ELNS1_3gpuE8ELNS1_3repE0EEENS1_30default_config_static_selectorELNS0_4arch9wavefront6targetE1EEEvT1_,comdat
	.protected	_ZN7rocprim17ROCPRIM_400000_NS6detail17trampoline_kernelINS0_14default_configENS1_25partition_config_selectorILNS1_17partition_subalgoE2ExNS0_10empty_typeEbEEZZNS1_14partition_implILS5_2ELb0ES3_jN6thrust23THRUST_200600_302600_NS6detail15normal_iteratorINSA_7pointerIxNSA_11hip_rocprim3tagENSA_11use_defaultESG_EEEEPS6_NSA_18transform_iteratorI7is_evenIxENSC_INSA_10device_ptrIxEEEESG_SG_EENS0_5tupleIJPxSJ_EEENSR_IJSJ_SJ_EEES6_PlJS6_EEE10hipError_tPvRmT3_T4_T5_T6_T7_T9_mT8_P12ihipStream_tbDpT10_ENKUlT_T0_E_clISt17integral_constantIbLb1EES1E_IbLb0EEEEDaS1A_S1B_EUlS1A_E_NS1_11comp_targetILNS1_3genE4ELNS1_11target_archE910ELNS1_3gpuE8ELNS1_3repE0EEENS1_30default_config_static_selectorELNS0_4arch9wavefront6targetE1EEEvT1_ ; -- Begin function _ZN7rocprim17ROCPRIM_400000_NS6detail17trampoline_kernelINS0_14default_configENS1_25partition_config_selectorILNS1_17partition_subalgoE2ExNS0_10empty_typeEbEEZZNS1_14partition_implILS5_2ELb0ES3_jN6thrust23THRUST_200600_302600_NS6detail15normal_iteratorINSA_7pointerIxNSA_11hip_rocprim3tagENSA_11use_defaultESG_EEEEPS6_NSA_18transform_iteratorI7is_evenIxENSC_INSA_10device_ptrIxEEEESG_SG_EENS0_5tupleIJPxSJ_EEENSR_IJSJ_SJ_EEES6_PlJS6_EEE10hipError_tPvRmT3_T4_T5_T6_T7_T9_mT8_P12ihipStream_tbDpT10_ENKUlT_T0_E_clISt17integral_constantIbLb1EES1E_IbLb0EEEEDaS1A_S1B_EUlS1A_E_NS1_11comp_targetILNS1_3genE4ELNS1_11target_archE910ELNS1_3gpuE8ELNS1_3repE0EEENS1_30default_config_static_selectorELNS0_4arch9wavefront6targetE1EEEvT1_
	.globl	_ZN7rocprim17ROCPRIM_400000_NS6detail17trampoline_kernelINS0_14default_configENS1_25partition_config_selectorILNS1_17partition_subalgoE2ExNS0_10empty_typeEbEEZZNS1_14partition_implILS5_2ELb0ES3_jN6thrust23THRUST_200600_302600_NS6detail15normal_iteratorINSA_7pointerIxNSA_11hip_rocprim3tagENSA_11use_defaultESG_EEEEPS6_NSA_18transform_iteratorI7is_evenIxENSC_INSA_10device_ptrIxEEEESG_SG_EENS0_5tupleIJPxSJ_EEENSR_IJSJ_SJ_EEES6_PlJS6_EEE10hipError_tPvRmT3_T4_T5_T6_T7_T9_mT8_P12ihipStream_tbDpT10_ENKUlT_T0_E_clISt17integral_constantIbLb1EES1E_IbLb0EEEEDaS1A_S1B_EUlS1A_E_NS1_11comp_targetILNS1_3genE4ELNS1_11target_archE910ELNS1_3gpuE8ELNS1_3repE0EEENS1_30default_config_static_selectorELNS0_4arch9wavefront6targetE1EEEvT1_
	.p2align	8
	.type	_ZN7rocprim17ROCPRIM_400000_NS6detail17trampoline_kernelINS0_14default_configENS1_25partition_config_selectorILNS1_17partition_subalgoE2ExNS0_10empty_typeEbEEZZNS1_14partition_implILS5_2ELb0ES3_jN6thrust23THRUST_200600_302600_NS6detail15normal_iteratorINSA_7pointerIxNSA_11hip_rocprim3tagENSA_11use_defaultESG_EEEEPS6_NSA_18transform_iteratorI7is_evenIxENSC_INSA_10device_ptrIxEEEESG_SG_EENS0_5tupleIJPxSJ_EEENSR_IJSJ_SJ_EEES6_PlJS6_EEE10hipError_tPvRmT3_T4_T5_T6_T7_T9_mT8_P12ihipStream_tbDpT10_ENKUlT_T0_E_clISt17integral_constantIbLb1EES1E_IbLb0EEEEDaS1A_S1B_EUlS1A_E_NS1_11comp_targetILNS1_3genE4ELNS1_11target_archE910ELNS1_3gpuE8ELNS1_3repE0EEENS1_30default_config_static_selectorELNS0_4arch9wavefront6targetE1EEEvT1_,@function
_ZN7rocprim17ROCPRIM_400000_NS6detail17trampoline_kernelINS0_14default_configENS1_25partition_config_selectorILNS1_17partition_subalgoE2ExNS0_10empty_typeEbEEZZNS1_14partition_implILS5_2ELb0ES3_jN6thrust23THRUST_200600_302600_NS6detail15normal_iteratorINSA_7pointerIxNSA_11hip_rocprim3tagENSA_11use_defaultESG_EEEEPS6_NSA_18transform_iteratorI7is_evenIxENSC_INSA_10device_ptrIxEEEESG_SG_EENS0_5tupleIJPxSJ_EEENSR_IJSJ_SJ_EEES6_PlJS6_EEE10hipError_tPvRmT3_T4_T5_T6_T7_T9_mT8_P12ihipStream_tbDpT10_ENKUlT_T0_E_clISt17integral_constantIbLb1EES1E_IbLb0EEEEDaS1A_S1B_EUlS1A_E_NS1_11comp_targetILNS1_3genE4ELNS1_11target_archE910ELNS1_3gpuE8ELNS1_3repE0EEENS1_30default_config_static_selectorELNS0_4arch9wavefront6targetE1EEEvT1_: ; @_ZN7rocprim17ROCPRIM_400000_NS6detail17trampoline_kernelINS0_14default_configENS1_25partition_config_selectorILNS1_17partition_subalgoE2ExNS0_10empty_typeEbEEZZNS1_14partition_implILS5_2ELb0ES3_jN6thrust23THRUST_200600_302600_NS6detail15normal_iteratorINSA_7pointerIxNSA_11hip_rocprim3tagENSA_11use_defaultESG_EEEEPS6_NSA_18transform_iteratorI7is_evenIxENSC_INSA_10device_ptrIxEEEESG_SG_EENS0_5tupleIJPxSJ_EEENSR_IJSJ_SJ_EEES6_PlJS6_EEE10hipError_tPvRmT3_T4_T5_T6_T7_T9_mT8_P12ihipStream_tbDpT10_ENKUlT_T0_E_clISt17integral_constantIbLb1EES1E_IbLb0EEEEDaS1A_S1B_EUlS1A_E_NS1_11comp_targetILNS1_3genE4ELNS1_11target_archE910ELNS1_3gpuE8ELNS1_3repE0EEENS1_30default_config_static_selectorELNS0_4arch9wavefront6targetE1EEEvT1_
; %bb.0:
	.section	.rodata,"a",@progbits
	.p2align	6, 0x0
	.amdhsa_kernel _ZN7rocprim17ROCPRIM_400000_NS6detail17trampoline_kernelINS0_14default_configENS1_25partition_config_selectorILNS1_17partition_subalgoE2ExNS0_10empty_typeEbEEZZNS1_14partition_implILS5_2ELb0ES3_jN6thrust23THRUST_200600_302600_NS6detail15normal_iteratorINSA_7pointerIxNSA_11hip_rocprim3tagENSA_11use_defaultESG_EEEEPS6_NSA_18transform_iteratorI7is_evenIxENSC_INSA_10device_ptrIxEEEESG_SG_EENS0_5tupleIJPxSJ_EEENSR_IJSJ_SJ_EEES6_PlJS6_EEE10hipError_tPvRmT3_T4_T5_T6_T7_T9_mT8_P12ihipStream_tbDpT10_ENKUlT_T0_E_clISt17integral_constantIbLb1EES1E_IbLb0EEEEDaS1A_S1B_EUlS1A_E_NS1_11comp_targetILNS1_3genE4ELNS1_11target_archE910ELNS1_3gpuE8ELNS1_3repE0EEENS1_30default_config_static_selectorELNS0_4arch9wavefront6targetE1EEEvT1_
		.amdhsa_group_segment_fixed_size 0
		.amdhsa_private_segment_fixed_size 0
		.amdhsa_kernarg_size 128
		.amdhsa_user_sgpr_count 2
		.amdhsa_user_sgpr_dispatch_ptr 0
		.amdhsa_user_sgpr_queue_ptr 0
		.amdhsa_user_sgpr_kernarg_segment_ptr 1
		.amdhsa_user_sgpr_dispatch_id 0
		.amdhsa_user_sgpr_kernarg_preload_length 0
		.amdhsa_user_sgpr_kernarg_preload_offset 0
		.amdhsa_user_sgpr_private_segment_size 0
		.amdhsa_uses_dynamic_stack 0
		.amdhsa_enable_private_segment 0
		.amdhsa_system_sgpr_workgroup_id_x 1
		.amdhsa_system_sgpr_workgroup_id_y 0
		.amdhsa_system_sgpr_workgroup_id_z 0
		.amdhsa_system_sgpr_workgroup_info 0
		.amdhsa_system_vgpr_workitem_id 0
		.amdhsa_next_free_vgpr 1
		.amdhsa_next_free_sgpr 0
		.amdhsa_accum_offset 4
		.amdhsa_reserve_vcc 0
		.amdhsa_float_round_mode_32 0
		.amdhsa_float_round_mode_16_64 0
		.amdhsa_float_denorm_mode_32 3
		.amdhsa_float_denorm_mode_16_64 3
		.amdhsa_dx10_clamp 1
		.amdhsa_ieee_mode 1
		.amdhsa_fp16_overflow 0
		.amdhsa_tg_split 0
		.amdhsa_exception_fp_ieee_invalid_op 0
		.amdhsa_exception_fp_denorm_src 0
		.amdhsa_exception_fp_ieee_div_zero 0
		.amdhsa_exception_fp_ieee_overflow 0
		.amdhsa_exception_fp_ieee_underflow 0
		.amdhsa_exception_fp_ieee_inexact 0
		.amdhsa_exception_int_div_zero 0
	.end_amdhsa_kernel
	.section	.text._ZN7rocprim17ROCPRIM_400000_NS6detail17trampoline_kernelINS0_14default_configENS1_25partition_config_selectorILNS1_17partition_subalgoE2ExNS0_10empty_typeEbEEZZNS1_14partition_implILS5_2ELb0ES3_jN6thrust23THRUST_200600_302600_NS6detail15normal_iteratorINSA_7pointerIxNSA_11hip_rocprim3tagENSA_11use_defaultESG_EEEEPS6_NSA_18transform_iteratorI7is_evenIxENSC_INSA_10device_ptrIxEEEESG_SG_EENS0_5tupleIJPxSJ_EEENSR_IJSJ_SJ_EEES6_PlJS6_EEE10hipError_tPvRmT3_T4_T5_T6_T7_T9_mT8_P12ihipStream_tbDpT10_ENKUlT_T0_E_clISt17integral_constantIbLb1EES1E_IbLb0EEEEDaS1A_S1B_EUlS1A_E_NS1_11comp_targetILNS1_3genE4ELNS1_11target_archE910ELNS1_3gpuE8ELNS1_3repE0EEENS1_30default_config_static_selectorELNS0_4arch9wavefront6targetE1EEEvT1_,"axG",@progbits,_ZN7rocprim17ROCPRIM_400000_NS6detail17trampoline_kernelINS0_14default_configENS1_25partition_config_selectorILNS1_17partition_subalgoE2ExNS0_10empty_typeEbEEZZNS1_14partition_implILS5_2ELb0ES3_jN6thrust23THRUST_200600_302600_NS6detail15normal_iteratorINSA_7pointerIxNSA_11hip_rocprim3tagENSA_11use_defaultESG_EEEEPS6_NSA_18transform_iteratorI7is_evenIxENSC_INSA_10device_ptrIxEEEESG_SG_EENS0_5tupleIJPxSJ_EEENSR_IJSJ_SJ_EEES6_PlJS6_EEE10hipError_tPvRmT3_T4_T5_T6_T7_T9_mT8_P12ihipStream_tbDpT10_ENKUlT_T0_E_clISt17integral_constantIbLb1EES1E_IbLb0EEEEDaS1A_S1B_EUlS1A_E_NS1_11comp_targetILNS1_3genE4ELNS1_11target_archE910ELNS1_3gpuE8ELNS1_3repE0EEENS1_30default_config_static_selectorELNS0_4arch9wavefront6targetE1EEEvT1_,comdat
.Lfunc_end208:
	.size	_ZN7rocprim17ROCPRIM_400000_NS6detail17trampoline_kernelINS0_14default_configENS1_25partition_config_selectorILNS1_17partition_subalgoE2ExNS0_10empty_typeEbEEZZNS1_14partition_implILS5_2ELb0ES3_jN6thrust23THRUST_200600_302600_NS6detail15normal_iteratorINSA_7pointerIxNSA_11hip_rocprim3tagENSA_11use_defaultESG_EEEEPS6_NSA_18transform_iteratorI7is_evenIxENSC_INSA_10device_ptrIxEEEESG_SG_EENS0_5tupleIJPxSJ_EEENSR_IJSJ_SJ_EEES6_PlJS6_EEE10hipError_tPvRmT3_T4_T5_T6_T7_T9_mT8_P12ihipStream_tbDpT10_ENKUlT_T0_E_clISt17integral_constantIbLb1EES1E_IbLb0EEEEDaS1A_S1B_EUlS1A_E_NS1_11comp_targetILNS1_3genE4ELNS1_11target_archE910ELNS1_3gpuE8ELNS1_3repE0EEENS1_30default_config_static_selectorELNS0_4arch9wavefront6targetE1EEEvT1_, .Lfunc_end208-_ZN7rocprim17ROCPRIM_400000_NS6detail17trampoline_kernelINS0_14default_configENS1_25partition_config_selectorILNS1_17partition_subalgoE2ExNS0_10empty_typeEbEEZZNS1_14partition_implILS5_2ELb0ES3_jN6thrust23THRUST_200600_302600_NS6detail15normal_iteratorINSA_7pointerIxNSA_11hip_rocprim3tagENSA_11use_defaultESG_EEEEPS6_NSA_18transform_iteratorI7is_evenIxENSC_INSA_10device_ptrIxEEEESG_SG_EENS0_5tupleIJPxSJ_EEENSR_IJSJ_SJ_EEES6_PlJS6_EEE10hipError_tPvRmT3_T4_T5_T6_T7_T9_mT8_P12ihipStream_tbDpT10_ENKUlT_T0_E_clISt17integral_constantIbLb1EES1E_IbLb0EEEEDaS1A_S1B_EUlS1A_E_NS1_11comp_targetILNS1_3genE4ELNS1_11target_archE910ELNS1_3gpuE8ELNS1_3repE0EEENS1_30default_config_static_selectorELNS0_4arch9wavefront6targetE1EEEvT1_
                                        ; -- End function
	.section	.AMDGPU.csdata,"",@progbits
; Kernel info:
; codeLenInByte = 0
; NumSgprs: 6
; NumVgprs: 0
; NumAgprs: 0
; TotalNumVgprs: 0
; ScratchSize: 0
; MemoryBound: 0
; FloatMode: 240
; IeeeMode: 1
; LDSByteSize: 0 bytes/workgroup (compile time only)
; SGPRBlocks: 0
; VGPRBlocks: 0
; NumSGPRsForWavesPerEU: 6
; NumVGPRsForWavesPerEU: 1
; AccumOffset: 4
; Occupancy: 8
; WaveLimiterHint : 0
; COMPUTE_PGM_RSRC2:SCRATCH_EN: 0
; COMPUTE_PGM_RSRC2:USER_SGPR: 2
; COMPUTE_PGM_RSRC2:TRAP_HANDLER: 0
; COMPUTE_PGM_RSRC2:TGID_X_EN: 1
; COMPUTE_PGM_RSRC2:TGID_Y_EN: 0
; COMPUTE_PGM_RSRC2:TGID_Z_EN: 0
; COMPUTE_PGM_RSRC2:TIDIG_COMP_CNT: 0
; COMPUTE_PGM_RSRC3_GFX90A:ACCUM_OFFSET: 0
; COMPUTE_PGM_RSRC3_GFX90A:TG_SPLIT: 0
	.section	.text._ZN7rocprim17ROCPRIM_400000_NS6detail17trampoline_kernelINS0_14default_configENS1_25partition_config_selectorILNS1_17partition_subalgoE2ExNS0_10empty_typeEbEEZZNS1_14partition_implILS5_2ELb0ES3_jN6thrust23THRUST_200600_302600_NS6detail15normal_iteratorINSA_7pointerIxNSA_11hip_rocprim3tagENSA_11use_defaultESG_EEEEPS6_NSA_18transform_iteratorI7is_evenIxENSC_INSA_10device_ptrIxEEEESG_SG_EENS0_5tupleIJPxSJ_EEENSR_IJSJ_SJ_EEES6_PlJS6_EEE10hipError_tPvRmT3_T4_T5_T6_T7_T9_mT8_P12ihipStream_tbDpT10_ENKUlT_T0_E_clISt17integral_constantIbLb1EES1E_IbLb0EEEEDaS1A_S1B_EUlS1A_E_NS1_11comp_targetILNS1_3genE3ELNS1_11target_archE908ELNS1_3gpuE7ELNS1_3repE0EEENS1_30default_config_static_selectorELNS0_4arch9wavefront6targetE1EEEvT1_,"axG",@progbits,_ZN7rocprim17ROCPRIM_400000_NS6detail17trampoline_kernelINS0_14default_configENS1_25partition_config_selectorILNS1_17partition_subalgoE2ExNS0_10empty_typeEbEEZZNS1_14partition_implILS5_2ELb0ES3_jN6thrust23THRUST_200600_302600_NS6detail15normal_iteratorINSA_7pointerIxNSA_11hip_rocprim3tagENSA_11use_defaultESG_EEEEPS6_NSA_18transform_iteratorI7is_evenIxENSC_INSA_10device_ptrIxEEEESG_SG_EENS0_5tupleIJPxSJ_EEENSR_IJSJ_SJ_EEES6_PlJS6_EEE10hipError_tPvRmT3_T4_T5_T6_T7_T9_mT8_P12ihipStream_tbDpT10_ENKUlT_T0_E_clISt17integral_constantIbLb1EES1E_IbLb0EEEEDaS1A_S1B_EUlS1A_E_NS1_11comp_targetILNS1_3genE3ELNS1_11target_archE908ELNS1_3gpuE7ELNS1_3repE0EEENS1_30default_config_static_selectorELNS0_4arch9wavefront6targetE1EEEvT1_,comdat
	.protected	_ZN7rocprim17ROCPRIM_400000_NS6detail17trampoline_kernelINS0_14default_configENS1_25partition_config_selectorILNS1_17partition_subalgoE2ExNS0_10empty_typeEbEEZZNS1_14partition_implILS5_2ELb0ES3_jN6thrust23THRUST_200600_302600_NS6detail15normal_iteratorINSA_7pointerIxNSA_11hip_rocprim3tagENSA_11use_defaultESG_EEEEPS6_NSA_18transform_iteratorI7is_evenIxENSC_INSA_10device_ptrIxEEEESG_SG_EENS0_5tupleIJPxSJ_EEENSR_IJSJ_SJ_EEES6_PlJS6_EEE10hipError_tPvRmT3_T4_T5_T6_T7_T9_mT8_P12ihipStream_tbDpT10_ENKUlT_T0_E_clISt17integral_constantIbLb1EES1E_IbLb0EEEEDaS1A_S1B_EUlS1A_E_NS1_11comp_targetILNS1_3genE3ELNS1_11target_archE908ELNS1_3gpuE7ELNS1_3repE0EEENS1_30default_config_static_selectorELNS0_4arch9wavefront6targetE1EEEvT1_ ; -- Begin function _ZN7rocprim17ROCPRIM_400000_NS6detail17trampoline_kernelINS0_14default_configENS1_25partition_config_selectorILNS1_17partition_subalgoE2ExNS0_10empty_typeEbEEZZNS1_14partition_implILS5_2ELb0ES3_jN6thrust23THRUST_200600_302600_NS6detail15normal_iteratorINSA_7pointerIxNSA_11hip_rocprim3tagENSA_11use_defaultESG_EEEEPS6_NSA_18transform_iteratorI7is_evenIxENSC_INSA_10device_ptrIxEEEESG_SG_EENS0_5tupleIJPxSJ_EEENSR_IJSJ_SJ_EEES6_PlJS6_EEE10hipError_tPvRmT3_T4_T5_T6_T7_T9_mT8_P12ihipStream_tbDpT10_ENKUlT_T0_E_clISt17integral_constantIbLb1EES1E_IbLb0EEEEDaS1A_S1B_EUlS1A_E_NS1_11comp_targetILNS1_3genE3ELNS1_11target_archE908ELNS1_3gpuE7ELNS1_3repE0EEENS1_30default_config_static_selectorELNS0_4arch9wavefront6targetE1EEEvT1_
	.globl	_ZN7rocprim17ROCPRIM_400000_NS6detail17trampoline_kernelINS0_14default_configENS1_25partition_config_selectorILNS1_17partition_subalgoE2ExNS0_10empty_typeEbEEZZNS1_14partition_implILS5_2ELb0ES3_jN6thrust23THRUST_200600_302600_NS6detail15normal_iteratorINSA_7pointerIxNSA_11hip_rocprim3tagENSA_11use_defaultESG_EEEEPS6_NSA_18transform_iteratorI7is_evenIxENSC_INSA_10device_ptrIxEEEESG_SG_EENS0_5tupleIJPxSJ_EEENSR_IJSJ_SJ_EEES6_PlJS6_EEE10hipError_tPvRmT3_T4_T5_T6_T7_T9_mT8_P12ihipStream_tbDpT10_ENKUlT_T0_E_clISt17integral_constantIbLb1EES1E_IbLb0EEEEDaS1A_S1B_EUlS1A_E_NS1_11comp_targetILNS1_3genE3ELNS1_11target_archE908ELNS1_3gpuE7ELNS1_3repE0EEENS1_30default_config_static_selectorELNS0_4arch9wavefront6targetE1EEEvT1_
	.p2align	8
	.type	_ZN7rocprim17ROCPRIM_400000_NS6detail17trampoline_kernelINS0_14default_configENS1_25partition_config_selectorILNS1_17partition_subalgoE2ExNS0_10empty_typeEbEEZZNS1_14partition_implILS5_2ELb0ES3_jN6thrust23THRUST_200600_302600_NS6detail15normal_iteratorINSA_7pointerIxNSA_11hip_rocprim3tagENSA_11use_defaultESG_EEEEPS6_NSA_18transform_iteratorI7is_evenIxENSC_INSA_10device_ptrIxEEEESG_SG_EENS0_5tupleIJPxSJ_EEENSR_IJSJ_SJ_EEES6_PlJS6_EEE10hipError_tPvRmT3_T4_T5_T6_T7_T9_mT8_P12ihipStream_tbDpT10_ENKUlT_T0_E_clISt17integral_constantIbLb1EES1E_IbLb0EEEEDaS1A_S1B_EUlS1A_E_NS1_11comp_targetILNS1_3genE3ELNS1_11target_archE908ELNS1_3gpuE7ELNS1_3repE0EEENS1_30default_config_static_selectorELNS0_4arch9wavefront6targetE1EEEvT1_,@function
_ZN7rocprim17ROCPRIM_400000_NS6detail17trampoline_kernelINS0_14default_configENS1_25partition_config_selectorILNS1_17partition_subalgoE2ExNS0_10empty_typeEbEEZZNS1_14partition_implILS5_2ELb0ES3_jN6thrust23THRUST_200600_302600_NS6detail15normal_iteratorINSA_7pointerIxNSA_11hip_rocprim3tagENSA_11use_defaultESG_EEEEPS6_NSA_18transform_iteratorI7is_evenIxENSC_INSA_10device_ptrIxEEEESG_SG_EENS0_5tupleIJPxSJ_EEENSR_IJSJ_SJ_EEES6_PlJS6_EEE10hipError_tPvRmT3_T4_T5_T6_T7_T9_mT8_P12ihipStream_tbDpT10_ENKUlT_T0_E_clISt17integral_constantIbLb1EES1E_IbLb0EEEEDaS1A_S1B_EUlS1A_E_NS1_11comp_targetILNS1_3genE3ELNS1_11target_archE908ELNS1_3gpuE7ELNS1_3repE0EEENS1_30default_config_static_selectorELNS0_4arch9wavefront6targetE1EEEvT1_: ; @_ZN7rocprim17ROCPRIM_400000_NS6detail17trampoline_kernelINS0_14default_configENS1_25partition_config_selectorILNS1_17partition_subalgoE2ExNS0_10empty_typeEbEEZZNS1_14partition_implILS5_2ELb0ES3_jN6thrust23THRUST_200600_302600_NS6detail15normal_iteratorINSA_7pointerIxNSA_11hip_rocprim3tagENSA_11use_defaultESG_EEEEPS6_NSA_18transform_iteratorI7is_evenIxENSC_INSA_10device_ptrIxEEEESG_SG_EENS0_5tupleIJPxSJ_EEENSR_IJSJ_SJ_EEES6_PlJS6_EEE10hipError_tPvRmT3_T4_T5_T6_T7_T9_mT8_P12ihipStream_tbDpT10_ENKUlT_T0_E_clISt17integral_constantIbLb1EES1E_IbLb0EEEEDaS1A_S1B_EUlS1A_E_NS1_11comp_targetILNS1_3genE3ELNS1_11target_archE908ELNS1_3gpuE7ELNS1_3repE0EEENS1_30default_config_static_selectorELNS0_4arch9wavefront6targetE1EEEvT1_
; %bb.0:
	.section	.rodata,"a",@progbits
	.p2align	6, 0x0
	.amdhsa_kernel _ZN7rocprim17ROCPRIM_400000_NS6detail17trampoline_kernelINS0_14default_configENS1_25partition_config_selectorILNS1_17partition_subalgoE2ExNS0_10empty_typeEbEEZZNS1_14partition_implILS5_2ELb0ES3_jN6thrust23THRUST_200600_302600_NS6detail15normal_iteratorINSA_7pointerIxNSA_11hip_rocprim3tagENSA_11use_defaultESG_EEEEPS6_NSA_18transform_iteratorI7is_evenIxENSC_INSA_10device_ptrIxEEEESG_SG_EENS0_5tupleIJPxSJ_EEENSR_IJSJ_SJ_EEES6_PlJS6_EEE10hipError_tPvRmT3_T4_T5_T6_T7_T9_mT8_P12ihipStream_tbDpT10_ENKUlT_T0_E_clISt17integral_constantIbLb1EES1E_IbLb0EEEEDaS1A_S1B_EUlS1A_E_NS1_11comp_targetILNS1_3genE3ELNS1_11target_archE908ELNS1_3gpuE7ELNS1_3repE0EEENS1_30default_config_static_selectorELNS0_4arch9wavefront6targetE1EEEvT1_
		.amdhsa_group_segment_fixed_size 0
		.amdhsa_private_segment_fixed_size 0
		.amdhsa_kernarg_size 128
		.amdhsa_user_sgpr_count 2
		.amdhsa_user_sgpr_dispatch_ptr 0
		.amdhsa_user_sgpr_queue_ptr 0
		.amdhsa_user_sgpr_kernarg_segment_ptr 1
		.amdhsa_user_sgpr_dispatch_id 0
		.amdhsa_user_sgpr_kernarg_preload_length 0
		.amdhsa_user_sgpr_kernarg_preload_offset 0
		.amdhsa_user_sgpr_private_segment_size 0
		.amdhsa_uses_dynamic_stack 0
		.amdhsa_enable_private_segment 0
		.amdhsa_system_sgpr_workgroup_id_x 1
		.amdhsa_system_sgpr_workgroup_id_y 0
		.amdhsa_system_sgpr_workgroup_id_z 0
		.amdhsa_system_sgpr_workgroup_info 0
		.amdhsa_system_vgpr_workitem_id 0
		.amdhsa_next_free_vgpr 1
		.amdhsa_next_free_sgpr 0
		.amdhsa_accum_offset 4
		.amdhsa_reserve_vcc 0
		.amdhsa_float_round_mode_32 0
		.amdhsa_float_round_mode_16_64 0
		.amdhsa_float_denorm_mode_32 3
		.amdhsa_float_denorm_mode_16_64 3
		.amdhsa_dx10_clamp 1
		.amdhsa_ieee_mode 1
		.amdhsa_fp16_overflow 0
		.amdhsa_tg_split 0
		.amdhsa_exception_fp_ieee_invalid_op 0
		.amdhsa_exception_fp_denorm_src 0
		.amdhsa_exception_fp_ieee_div_zero 0
		.amdhsa_exception_fp_ieee_overflow 0
		.amdhsa_exception_fp_ieee_underflow 0
		.amdhsa_exception_fp_ieee_inexact 0
		.amdhsa_exception_int_div_zero 0
	.end_amdhsa_kernel
	.section	.text._ZN7rocprim17ROCPRIM_400000_NS6detail17trampoline_kernelINS0_14default_configENS1_25partition_config_selectorILNS1_17partition_subalgoE2ExNS0_10empty_typeEbEEZZNS1_14partition_implILS5_2ELb0ES3_jN6thrust23THRUST_200600_302600_NS6detail15normal_iteratorINSA_7pointerIxNSA_11hip_rocprim3tagENSA_11use_defaultESG_EEEEPS6_NSA_18transform_iteratorI7is_evenIxENSC_INSA_10device_ptrIxEEEESG_SG_EENS0_5tupleIJPxSJ_EEENSR_IJSJ_SJ_EEES6_PlJS6_EEE10hipError_tPvRmT3_T4_T5_T6_T7_T9_mT8_P12ihipStream_tbDpT10_ENKUlT_T0_E_clISt17integral_constantIbLb1EES1E_IbLb0EEEEDaS1A_S1B_EUlS1A_E_NS1_11comp_targetILNS1_3genE3ELNS1_11target_archE908ELNS1_3gpuE7ELNS1_3repE0EEENS1_30default_config_static_selectorELNS0_4arch9wavefront6targetE1EEEvT1_,"axG",@progbits,_ZN7rocprim17ROCPRIM_400000_NS6detail17trampoline_kernelINS0_14default_configENS1_25partition_config_selectorILNS1_17partition_subalgoE2ExNS0_10empty_typeEbEEZZNS1_14partition_implILS5_2ELb0ES3_jN6thrust23THRUST_200600_302600_NS6detail15normal_iteratorINSA_7pointerIxNSA_11hip_rocprim3tagENSA_11use_defaultESG_EEEEPS6_NSA_18transform_iteratorI7is_evenIxENSC_INSA_10device_ptrIxEEEESG_SG_EENS0_5tupleIJPxSJ_EEENSR_IJSJ_SJ_EEES6_PlJS6_EEE10hipError_tPvRmT3_T4_T5_T6_T7_T9_mT8_P12ihipStream_tbDpT10_ENKUlT_T0_E_clISt17integral_constantIbLb1EES1E_IbLb0EEEEDaS1A_S1B_EUlS1A_E_NS1_11comp_targetILNS1_3genE3ELNS1_11target_archE908ELNS1_3gpuE7ELNS1_3repE0EEENS1_30default_config_static_selectorELNS0_4arch9wavefront6targetE1EEEvT1_,comdat
.Lfunc_end209:
	.size	_ZN7rocprim17ROCPRIM_400000_NS6detail17trampoline_kernelINS0_14default_configENS1_25partition_config_selectorILNS1_17partition_subalgoE2ExNS0_10empty_typeEbEEZZNS1_14partition_implILS5_2ELb0ES3_jN6thrust23THRUST_200600_302600_NS6detail15normal_iteratorINSA_7pointerIxNSA_11hip_rocprim3tagENSA_11use_defaultESG_EEEEPS6_NSA_18transform_iteratorI7is_evenIxENSC_INSA_10device_ptrIxEEEESG_SG_EENS0_5tupleIJPxSJ_EEENSR_IJSJ_SJ_EEES6_PlJS6_EEE10hipError_tPvRmT3_T4_T5_T6_T7_T9_mT8_P12ihipStream_tbDpT10_ENKUlT_T0_E_clISt17integral_constantIbLb1EES1E_IbLb0EEEEDaS1A_S1B_EUlS1A_E_NS1_11comp_targetILNS1_3genE3ELNS1_11target_archE908ELNS1_3gpuE7ELNS1_3repE0EEENS1_30default_config_static_selectorELNS0_4arch9wavefront6targetE1EEEvT1_, .Lfunc_end209-_ZN7rocprim17ROCPRIM_400000_NS6detail17trampoline_kernelINS0_14default_configENS1_25partition_config_selectorILNS1_17partition_subalgoE2ExNS0_10empty_typeEbEEZZNS1_14partition_implILS5_2ELb0ES3_jN6thrust23THRUST_200600_302600_NS6detail15normal_iteratorINSA_7pointerIxNSA_11hip_rocprim3tagENSA_11use_defaultESG_EEEEPS6_NSA_18transform_iteratorI7is_evenIxENSC_INSA_10device_ptrIxEEEESG_SG_EENS0_5tupleIJPxSJ_EEENSR_IJSJ_SJ_EEES6_PlJS6_EEE10hipError_tPvRmT3_T4_T5_T6_T7_T9_mT8_P12ihipStream_tbDpT10_ENKUlT_T0_E_clISt17integral_constantIbLb1EES1E_IbLb0EEEEDaS1A_S1B_EUlS1A_E_NS1_11comp_targetILNS1_3genE3ELNS1_11target_archE908ELNS1_3gpuE7ELNS1_3repE0EEENS1_30default_config_static_selectorELNS0_4arch9wavefront6targetE1EEEvT1_
                                        ; -- End function
	.section	.AMDGPU.csdata,"",@progbits
; Kernel info:
; codeLenInByte = 0
; NumSgprs: 6
; NumVgprs: 0
; NumAgprs: 0
; TotalNumVgprs: 0
; ScratchSize: 0
; MemoryBound: 0
; FloatMode: 240
; IeeeMode: 1
; LDSByteSize: 0 bytes/workgroup (compile time only)
; SGPRBlocks: 0
; VGPRBlocks: 0
; NumSGPRsForWavesPerEU: 6
; NumVGPRsForWavesPerEU: 1
; AccumOffset: 4
; Occupancy: 8
; WaveLimiterHint : 0
; COMPUTE_PGM_RSRC2:SCRATCH_EN: 0
; COMPUTE_PGM_RSRC2:USER_SGPR: 2
; COMPUTE_PGM_RSRC2:TRAP_HANDLER: 0
; COMPUTE_PGM_RSRC2:TGID_X_EN: 1
; COMPUTE_PGM_RSRC2:TGID_Y_EN: 0
; COMPUTE_PGM_RSRC2:TGID_Z_EN: 0
; COMPUTE_PGM_RSRC2:TIDIG_COMP_CNT: 0
; COMPUTE_PGM_RSRC3_GFX90A:ACCUM_OFFSET: 0
; COMPUTE_PGM_RSRC3_GFX90A:TG_SPLIT: 0
	.section	.text._ZN7rocprim17ROCPRIM_400000_NS6detail17trampoline_kernelINS0_14default_configENS1_25partition_config_selectorILNS1_17partition_subalgoE2ExNS0_10empty_typeEbEEZZNS1_14partition_implILS5_2ELb0ES3_jN6thrust23THRUST_200600_302600_NS6detail15normal_iteratorINSA_7pointerIxNSA_11hip_rocprim3tagENSA_11use_defaultESG_EEEEPS6_NSA_18transform_iteratorI7is_evenIxENSC_INSA_10device_ptrIxEEEESG_SG_EENS0_5tupleIJPxSJ_EEENSR_IJSJ_SJ_EEES6_PlJS6_EEE10hipError_tPvRmT3_T4_T5_T6_T7_T9_mT8_P12ihipStream_tbDpT10_ENKUlT_T0_E_clISt17integral_constantIbLb1EES1E_IbLb0EEEEDaS1A_S1B_EUlS1A_E_NS1_11comp_targetILNS1_3genE2ELNS1_11target_archE906ELNS1_3gpuE6ELNS1_3repE0EEENS1_30default_config_static_selectorELNS0_4arch9wavefront6targetE1EEEvT1_,"axG",@progbits,_ZN7rocprim17ROCPRIM_400000_NS6detail17trampoline_kernelINS0_14default_configENS1_25partition_config_selectorILNS1_17partition_subalgoE2ExNS0_10empty_typeEbEEZZNS1_14partition_implILS5_2ELb0ES3_jN6thrust23THRUST_200600_302600_NS6detail15normal_iteratorINSA_7pointerIxNSA_11hip_rocprim3tagENSA_11use_defaultESG_EEEEPS6_NSA_18transform_iteratorI7is_evenIxENSC_INSA_10device_ptrIxEEEESG_SG_EENS0_5tupleIJPxSJ_EEENSR_IJSJ_SJ_EEES6_PlJS6_EEE10hipError_tPvRmT3_T4_T5_T6_T7_T9_mT8_P12ihipStream_tbDpT10_ENKUlT_T0_E_clISt17integral_constantIbLb1EES1E_IbLb0EEEEDaS1A_S1B_EUlS1A_E_NS1_11comp_targetILNS1_3genE2ELNS1_11target_archE906ELNS1_3gpuE6ELNS1_3repE0EEENS1_30default_config_static_selectorELNS0_4arch9wavefront6targetE1EEEvT1_,comdat
	.protected	_ZN7rocprim17ROCPRIM_400000_NS6detail17trampoline_kernelINS0_14default_configENS1_25partition_config_selectorILNS1_17partition_subalgoE2ExNS0_10empty_typeEbEEZZNS1_14partition_implILS5_2ELb0ES3_jN6thrust23THRUST_200600_302600_NS6detail15normal_iteratorINSA_7pointerIxNSA_11hip_rocprim3tagENSA_11use_defaultESG_EEEEPS6_NSA_18transform_iteratorI7is_evenIxENSC_INSA_10device_ptrIxEEEESG_SG_EENS0_5tupleIJPxSJ_EEENSR_IJSJ_SJ_EEES6_PlJS6_EEE10hipError_tPvRmT3_T4_T5_T6_T7_T9_mT8_P12ihipStream_tbDpT10_ENKUlT_T0_E_clISt17integral_constantIbLb1EES1E_IbLb0EEEEDaS1A_S1B_EUlS1A_E_NS1_11comp_targetILNS1_3genE2ELNS1_11target_archE906ELNS1_3gpuE6ELNS1_3repE0EEENS1_30default_config_static_selectorELNS0_4arch9wavefront6targetE1EEEvT1_ ; -- Begin function _ZN7rocprim17ROCPRIM_400000_NS6detail17trampoline_kernelINS0_14default_configENS1_25partition_config_selectorILNS1_17partition_subalgoE2ExNS0_10empty_typeEbEEZZNS1_14partition_implILS5_2ELb0ES3_jN6thrust23THRUST_200600_302600_NS6detail15normal_iteratorINSA_7pointerIxNSA_11hip_rocprim3tagENSA_11use_defaultESG_EEEEPS6_NSA_18transform_iteratorI7is_evenIxENSC_INSA_10device_ptrIxEEEESG_SG_EENS0_5tupleIJPxSJ_EEENSR_IJSJ_SJ_EEES6_PlJS6_EEE10hipError_tPvRmT3_T4_T5_T6_T7_T9_mT8_P12ihipStream_tbDpT10_ENKUlT_T0_E_clISt17integral_constantIbLb1EES1E_IbLb0EEEEDaS1A_S1B_EUlS1A_E_NS1_11comp_targetILNS1_3genE2ELNS1_11target_archE906ELNS1_3gpuE6ELNS1_3repE0EEENS1_30default_config_static_selectorELNS0_4arch9wavefront6targetE1EEEvT1_
	.globl	_ZN7rocprim17ROCPRIM_400000_NS6detail17trampoline_kernelINS0_14default_configENS1_25partition_config_selectorILNS1_17partition_subalgoE2ExNS0_10empty_typeEbEEZZNS1_14partition_implILS5_2ELb0ES3_jN6thrust23THRUST_200600_302600_NS6detail15normal_iteratorINSA_7pointerIxNSA_11hip_rocprim3tagENSA_11use_defaultESG_EEEEPS6_NSA_18transform_iteratorI7is_evenIxENSC_INSA_10device_ptrIxEEEESG_SG_EENS0_5tupleIJPxSJ_EEENSR_IJSJ_SJ_EEES6_PlJS6_EEE10hipError_tPvRmT3_T4_T5_T6_T7_T9_mT8_P12ihipStream_tbDpT10_ENKUlT_T0_E_clISt17integral_constantIbLb1EES1E_IbLb0EEEEDaS1A_S1B_EUlS1A_E_NS1_11comp_targetILNS1_3genE2ELNS1_11target_archE906ELNS1_3gpuE6ELNS1_3repE0EEENS1_30default_config_static_selectorELNS0_4arch9wavefront6targetE1EEEvT1_
	.p2align	8
	.type	_ZN7rocprim17ROCPRIM_400000_NS6detail17trampoline_kernelINS0_14default_configENS1_25partition_config_selectorILNS1_17partition_subalgoE2ExNS0_10empty_typeEbEEZZNS1_14partition_implILS5_2ELb0ES3_jN6thrust23THRUST_200600_302600_NS6detail15normal_iteratorINSA_7pointerIxNSA_11hip_rocprim3tagENSA_11use_defaultESG_EEEEPS6_NSA_18transform_iteratorI7is_evenIxENSC_INSA_10device_ptrIxEEEESG_SG_EENS0_5tupleIJPxSJ_EEENSR_IJSJ_SJ_EEES6_PlJS6_EEE10hipError_tPvRmT3_T4_T5_T6_T7_T9_mT8_P12ihipStream_tbDpT10_ENKUlT_T0_E_clISt17integral_constantIbLb1EES1E_IbLb0EEEEDaS1A_S1B_EUlS1A_E_NS1_11comp_targetILNS1_3genE2ELNS1_11target_archE906ELNS1_3gpuE6ELNS1_3repE0EEENS1_30default_config_static_selectorELNS0_4arch9wavefront6targetE1EEEvT1_,@function
_ZN7rocprim17ROCPRIM_400000_NS6detail17trampoline_kernelINS0_14default_configENS1_25partition_config_selectorILNS1_17partition_subalgoE2ExNS0_10empty_typeEbEEZZNS1_14partition_implILS5_2ELb0ES3_jN6thrust23THRUST_200600_302600_NS6detail15normal_iteratorINSA_7pointerIxNSA_11hip_rocprim3tagENSA_11use_defaultESG_EEEEPS6_NSA_18transform_iteratorI7is_evenIxENSC_INSA_10device_ptrIxEEEESG_SG_EENS0_5tupleIJPxSJ_EEENSR_IJSJ_SJ_EEES6_PlJS6_EEE10hipError_tPvRmT3_T4_T5_T6_T7_T9_mT8_P12ihipStream_tbDpT10_ENKUlT_T0_E_clISt17integral_constantIbLb1EES1E_IbLb0EEEEDaS1A_S1B_EUlS1A_E_NS1_11comp_targetILNS1_3genE2ELNS1_11target_archE906ELNS1_3gpuE6ELNS1_3repE0EEENS1_30default_config_static_selectorELNS0_4arch9wavefront6targetE1EEEvT1_: ; @_ZN7rocprim17ROCPRIM_400000_NS6detail17trampoline_kernelINS0_14default_configENS1_25partition_config_selectorILNS1_17partition_subalgoE2ExNS0_10empty_typeEbEEZZNS1_14partition_implILS5_2ELb0ES3_jN6thrust23THRUST_200600_302600_NS6detail15normal_iteratorINSA_7pointerIxNSA_11hip_rocprim3tagENSA_11use_defaultESG_EEEEPS6_NSA_18transform_iteratorI7is_evenIxENSC_INSA_10device_ptrIxEEEESG_SG_EENS0_5tupleIJPxSJ_EEENSR_IJSJ_SJ_EEES6_PlJS6_EEE10hipError_tPvRmT3_T4_T5_T6_T7_T9_mT8_P12ihipStream_tbDpT10_ENKUlT_T0_E_clISt17integral_constantIbLb1EES1E_IbLb0EEEEDaS1A_S1B_EUlS1A_E_NS1_11comp_targetILNS1_3genE2ELNS1_11target_archE906ELNS1_3gpuE6ELNS1_3repE0EEENS1_30default_config_static_selectorELNS0_4arch9wavefront6targetE1EEEvT1_
; %bb.0:
	.section	.rodata,"a",@progbits
	.p2align	6, 0x0
	.amdhsa_kernel _ZN7rocprim17ROCPRIM_400000_NS6detail17trampoline_kernelINS0_14default_configENS1_25partition_config_selectorILNS1_17partition_subalgoE2ExNS0_10empty_typeEbEEZZNS1_14partition_implILS5_2ELb0ES3_jN6thrust23THRUST_200600_302600_NS6detail15normal_iteratorINSA_7pointerIxNSA_11hip_rocprim3tagENSA_11use_defaultESG_EEEEPS6_NSA_18transform_iteratorI7is_evenIxENSC_INSA_10device_ptrIxEEEESG_SG_EENS0_5tupleIJPxSJ_EEENSR_IJSJ_SJ_EEES6_PlJS6_EEE10hipError_tPvRmT3_T4_T5_T6_T7_T9_mT8_P12ihipStream_tbDpT10_ENKUlT_T0_E_clISt17integral_constantIbLb1EES1E_IbLb0EEEEDaS1A_S1B_EUlS1A_E_NS1_11comp_targetILNS1_3genE2ELNS1_11target_archE906ELNS1_3gpuE6ELNS1_3repE0EEENS1_30default_config_static_selectorELNS0_4arch9wavefront6targetE1EEEvT1_
		.amdhsa_group_segment_fixed_size 0
		.amdhsa_private_segment_fixed_size 0
		.amdhsa_kernarg_size 128
		.amdhsa_user_sgpr_count 2
		.amdhsa_user_sgpr_dispatch_ptr 0
		.amdhsa_user_sgpr_queue_ptr 0
		.amdhsa_user_sgpr_kernarg_segment_ptr 1
		.amdhsa_user_sgpr_dispatch_id 0
		.amdhsa_user_sgpr_kernarg_preload_length 0
		.amdhsa_user_sgpr_kernarg_preload_offset 0
		.amdhsa_user_sgpr_private_segment_size 0
		.amdhsa_uses_dynamic_stack 0
		.amdhsa_enable_private_segment 0
		.amdhsa_system_sgpr_workgroup_id_x 1
		.amdhsa_system_sgpr_workgroup_id_y 0
		.amdhsa_system_sgpr_workgroup_id_z 0
		.amdhsa_system_sgpr_workgroup_info 0
		.amdhsa_system_vgpr_workitem_id 0
		.amdhsa_next_free_vgpr 1
		.amdhsa_next_free_sgpr 0
		.amdhsa_accum_offset 4
		.amdhsa_reserve_vcc 0
		.amdhsa_float_round_mode_32 0
		.amdhsa_float_round_mode_16_64 0
		.amdhsa_float_denorm_mode_32 3
		.amdhsa_float_denorm_mode_16_64 3
		.amdhsa_dx10_clamp 1
		.amdhsa_ieee_mode 1
		.amdhsa_fp16_overflow 0
		.amdhsa_tg_split 0
		.amdhsa_exception_fp_ieee_invalid_op 0
		.amdhsa_exception_fp_denorm_src 0
		.amdhsa_exception_fp_ieee_div_zero 0
		.amdhsa_exception_fp_ieee_overflow 0
		.amdhsa_exception_fp_ieee_underflow 0
		.amdhsa_exception_fp_ieee_inexact 0
		.amdhsa_exception_int_div_zero 0
	.end_amdhsa_kernel
	.section	.text._ZN7rocprim17ROCPRIM_400000_NS6detail17trampoline_kernelINS0_14default_configENS1_25partition_config_selectorILNS1_17partition_subalgoE2ExNS0_10empty_typeEbEEZZNS1_14partition_implILS5_2ELb0ES3_jN6thrust23THRUST_200600_302600_NS6detail15normal_iteratorINSA_7pointerIxNSA_11hip_rocprim3tagENSA_11use_defaultESG_EEEEPS6_NSA_18transform_iteratorI7is_evenIxENSC_INSA_10device_ptrIxEEEESG_SG_EENS0_5tupleIJPxSJ_EEENSR_IJSJ_SJ_EEES6_PlJS6_EEE10hipError_tPvRmT3_T4_T5_T6_T7_T9_mT8_P12ihipStream_tbDpT10_ENKUlT_T0_E_clISt17integral_constantIbLb1EES1E_IbLb0EEEEDaS1A_S1B_EUlS1A_E_NS1_11comp_targetILNS1_3genE2ELNS1_11target_archE906ELNS1_3gpuE6ELNS1_3repE0EEENS1_30default_config_static_selectorELNS0_4arch9wavefront6targetE1EEEvT1_,"axG",@progbits,_ZN7rocprim17ROCPRIM_400000_NS6detail17trampoline_kernelINS0_14default_configENS1_25partition_config_selectorILNS1_17partition_subalgoE2ExNS0_10empty_typeEbEEZZNS1_14partition_implILS5_2ELb0ES3_jN6thrust23THRUST_200600_302600_NS6detail15normal_iteratorINSA_7pointerIxNSA_11hip_rocprim3tagENSA_11use_defaultESG_EEEEPS6_NSA_18transform_iteratorI7is_evenIxENSC_INSA_10device_ptrIxEEEESG_SG_EENS0_5tupleIJPxSJ_EEENSR_IJSJ_SJ_EEES6_PlJS6_EEE10hipError_tPvRmT3_T4_T5_T6_T7_T9_mT8_P12ihipStream_tbDpT10_ENKUlT_T0_E_clISt17integral_constantIbLb1EES1E_IbLb0EEEEDaS1A_S1B_EUlS1A_E_NS1_11comp_targetILNS1_3genE2ELNS1_11target_archE906ELNS1_3gpuE6ELNS1_3repE0EEENS1_30default_config_static_selectorELNS0_4arch9wavefront6targetE1EEEvT1_,comdat
.Lfunc_end210:
	.size	_ZN7rocprim17ROCPRIM_400000_NS6detail17trampoline_kernelINS0_14default_configENS1_25partition_config_selectorILNS1_17partition_subalgoE2ExNS0_10empty_typeEbEEZZNS1_14partition_implILS5_2ELb0ES3_jN6thrust23THRUST_200600_302600_NS6detail15normal_iteratorINSA_7pointerIxNSA_11hip_rocprim3tagENSA_11use_defaultESG_EEEEPS6_NSA_18transform_iteratorI7is_evenIxENSC_INSA_10device_ptrIxEEEESG_SG_EENS0_5tupleIJPxSJ_EEENSR_IJSJ_SJ_EEES6_PlJS6_EEE10hipError_tPvRmT3_T4_T5_T6_T7_T9_mT8_P12ihipStream_tbDpT10_ENKUlT_T0_E_clISt17integral_constantIbLb1EES1E_IbLb0EEEEDaS1A_S1B_EUlS1A_E_NS1_11comp_targetILNS1_3genE2ELNS1_11target_archE906ELNS1_3gpuE6ELNS1_3repE0EEENS1_30default_config_static_selectorELNS0_4arch9wavefront6targetE1EEEvT1_, .Lfunc_end210-_ZN7rocprim17ROCPRIM_400000_NS6detail17trampoline_kernelINS0_14default_configENS1_25partition_config_selectorILNS1_17partition_subalgoE2ExNS0_10empty_typeEbEEZZNS1_14partition_implILS5_2ELb0ES3_jN6thrust23THRUST_200600_302600_NS6detail15normal_iteratorINSA_7pointerIxNSA_11hip_rocprim3tagENSA_11use_defaultESG_EEEEPS6_NSA_18transform_iteratorI7is_evenIxENSC_INSA_10device_ptrIxEEEESG_SG_EENS0_5tupleIJPxSJ_EEENSR_IJSJ_SJ_EEES6_PlJS6_EEE10hipError_tPvRmT3_T4_T5_T6_T7_T9_mT8_P12ihipStream_tbDpT10_ENKUlT_T0_E_clISt17integral_constantIbLb1EES1E_IbLb0EEEEDaS1A_S1B_EUlS1A_E_NS1_11comp_targetILNS1_3genE2ELNS1_11target_archE906ELNS1_3gpuE6ELNS1_3repE0EEENS1_30default_config_static_selectorELNS0_4arch9wavefront6targetE1EEEvT1_
                                        ; -- End function
	.section	.AMDGPU.csdata,"",@progbits
; Kernel info:
; codeLenInByte = 0
; NumSgprs: 6
; NumVgprs: 0
; NumAgprs: 0
; TotalNumVgprs: 0
; ScratchSize: 0
; MemoryBound: 0
; FloatMode: 240
; IeeeMode: 1
; LDSByteSize: 0 bytes/workgroup (compile time only)
; SGPRBlocks: 0
; VGPRBlocks: 0
; NumSGPRsForWavesPerEU: 6
; NumVGPRsForWavesPerEU: 1
; AccumOffset: 4
; Occupancy: 8
; WaveLimiterHint : 0
; COMPUTE_PGM_RSRC2:SCRATCH_EN: 0
; COMPUTE_PGM_RSRC2:USER_SGPR: 2
; COMPUTE_PGM_RSRC2:TRAP_HANDLER: 0
; COMPUTE_PGM_RSRC2:TGID_X_EN: 1
; COMPUTE_PGM_RSRC2:TGID_Y_EN: 0
; COMPUTE_PGM_RSRC2:TGID_Z_EN: 0
; COMPUTE_PGM_RSRC2:TIDIG_COMP_CNT: 0
; COMPUTE_PGM_RSRC3_GFX90A:ACCUM_OFFSET: 0
; COMPUTE_PGM_RSRC3_GFX90A:TG_SPLIT: 0
	.section	.text._ZN7rocprim17ROCPRIM_400000_NS6detail17trampoline_kernelINS0_14default_configENS1_25partition_config_selectorILNS1_17partition_subalgoE2ExNS0_10empty_typeEbEEZZNS1_14partition_implILS5_2ELb0ES3_jN6thrust23THRUST_200600_302600_NS6detail15normal_iteratorINSA_7pointerIxNSA_11hip_rocprim3tagENSA_11use_defaultESG_EEEEPS6_NSA_18transform_iteratorI7is_evenIxENSC_INSA_10device_ptrIxEEEESG_SG_EENS0_5tupleIJPxSJ_EEENSR_IJSJ_SJ_EEES6_PlJS6_EEE10hipError_tPvRmT3_T4_T5_T6_T7_T9_mT8_P12ihipStream_tbDpT10_ENKUlT_T0_E_clISt17integral_constantIbLb1EES1E_IbLb0EEEEDaS1A_S1B_EUlS1A_E_NS1_11comp_targetILNS1_3genE10ELNS1_11target_archE1200ELNS1_3gpuE4ELNS1_3repE0EEENS1_30default_config_static_selectorELNS0_4arch9wavefront6targetE1EEEvT1_,"axG",@progbits,_ZN7rocprim17ROCPRIM_400000_NS6detail17trampoline_kernelINS0_14default_configENS1_25partition_config_selectorILNS1_17partition_subalgoE2ExNS0_10empty_typeEbEEZZNS1_14partition_implILS5_2ELb0ES3_jN6thrust23THRUST_200600_302600_NS6detail15normal_iteratorINSA_7pointerIxNSA_11hip_rocprim3tagENSA_11use_defaultESG_EEEEPS6_NSA_18transform_iteratorI7is_evenIxENSC_INSA_10device_ptrIxEEEESG_SG_EENS0_5tupleIJPxSJ_EEENSR_IJSJ_SJ_EEES6_PlJS6_EEE10hipError_tPvRmT3_T4_T5_T6_T7_T9_mT8_P12ihipStream_tbDpT10_ENKUlT_T0_E_clISt17integral_constantIbLb1EES1E_IbLb0EEEEDaS1A_S1B_EUlS1A_E_NS1_11comp_targetILNS1_3genE10ELNS1_11target_archE1200ELNS1_3gpuE4ELNS1_3repE0EEENS1_30default_config_static_selectorELNS0_4arch9wavefront6targetE1EEEvT1_,comdat
	.protected	_ZN7rocprim17ROCPRIM_400000_NS6detail17trampoline_kernelINS0_14default_configENS1_25partition_config_selectorILNS1_17partition_subalgoE2ExNS0_10empty_typeEbEEZZNS1_14partition_implILS5_2ELb0ES3_jN6thrust23THRUST_200600_302600_NS6detail15normal_iteratorINSA_7pointerIxNSA_11hip_rocprim3tagENSA_11use_defaultESG_EEEEPS6_NSA_18transform_iteratorI7is_evenIxENSC_INSA_10device_ptrIxEEEESG_SG_EENS0_5tupleIJPxSJ_EEENSR_IJSJ_SJ_EEES6_PlJS6_EEE10hipError_tPvRmT3_T4_T5_T6_T7_T9_mT8_P12ihipStream_tbDpT10_ENKUlT_T0_E_clISt17integral_constantIbLb1EES1E_IbLb0EEEEDaS1A_S1B_EUlS1A_E_NS1_11comp_targetILNS1_3genE10ELNS1_11target_archE1200ELNS1_3gpuE4ELNS1_3repE0EEENS1_30default_config_static_selectorELNS0_4arch9wavefront6targetE1EEEvT1_ ; -- Begin function _ZN7rocprim17ROCPRIM_400000_NS6detail17trampoline_kernelINS0_14default_configENS1_25partition_config_selectorILNS1_17partition_subalgoE2ExNS0_10empty_typeEbEEZZNS1_14partition_implILS5_2ELb0ES3_jN6thrust23THRUST_200600_302600_NS6detail15normal_iteratorINSA_7pointerIxNSA_11hip_rocprim3tagENSA_11use_defaultESG_EEEEPS6_NSA_18transform_iteratorI7is_evenIxENSC_INSA_10device_ptrIxEEEESG_SG_EENS0_5tupleIJPxSJ_EEENSR_IJSJ_SJ_EEES6_PlJS6_EEE10hipError_tPvRmT3_T4_T5_T6_T7_T9_mT8_P12ihipStream_tbDpT10_ENKUlT_T0_E_clISt17integral_constantIbLb1EES1E_IbLb0EEEEDaS1A_S1B_EUlS1A_E_NS1_11comp_targetILNS1_3genE10ELNS1_11target_archE1200ELNS1_3gpuE4ELNS1_3repE0EEENS1_30default_config_static_selectorELNS0_4arch9wavefront6targetE1EEEvT1_
	.globl	_ZN7rocprim17ROCPRIM_400000_NS6detail17trampoline_kernelINS0_14default_configENS1_25partition_config_selectorILNS1_17partition_subalgoE2ExNS0_10empty_typeEbEEZZNS1_14partition_implILS5_2ELb0ES3_jN6thrust23THRUST_200600_302600_NS6detail15normal_iteratorINSA_7pointerIxNSA_11hip_rocprim3tagENSA_11use_defaultESG_EEEEPS6_NSA_18transform_iteratorI7is_evenIxENSC_INSA_10device_ptrIxEEEESG_SG_EENS0_5tupleIJPxSJ_EEENSR_IJSJ_SJ_EEES6_PlJS6_EEE10hipError_tPvRmT3_T4_T5_T6_T7_T9_mT8_P12ihipStream_tbDpT10_ENKUlT_T0_E_clISt17integral_constantIbLb1EES1E_IbLb0EEEEDaS1A_S1B_EUlS1A_E_NS1_11comp_targetILNS1_3genE10ELNS1_11target_archE1200ELNS1_3gpuE4ELNS1_3repE0EEENS1_30default_config_static_selectorELNS0_4arch9wavefront6targetE1EEEvT1_
	.p2align	8
	.type	_ZN7rocprim17ROCPRIM_400000_NS6detail17trampoline_kernelINS0_14default_configENS1_25partition_config_selectorILNS1_17partition_subalgoE2ExNS0_10empty_typeEbEEZZNS1_14partition_implILS5_2ELb0ES3_jN6thrust23THRUST_200600_302600_NS6detail15normal_iteratorINSA_7pointerIxNSA_11hip_rocprim3tagENSA_11use_defaultESG_EEEEPS6_NSA_18transform_iteratorI7is_evenIxENSC_INSA_10device_ptrIxEEEESG_SG_EENS0_5tupleIJPxSJ_EEENSR_IJSJ_SJ_EEES6_PlJS6_EEE10hipError_tPvRmT3_T4_T5_T6_T7_T9_mT8_P12ihipStream_tbDpT10_ENKUlT_T0_E_clISt17integral_constantIbLb1EES1E_IbLb0EEEEDaS1A_S1B_EUlS1A_E_NS1_11comp_targetILNS1_3genE10ELNS1_11target_archE1200ELNS1_3gpuE4ELNS1_3repE0EEENS1_30default_config_static_selectorELNS0_4arch9wavefront6targetE1EEEvT1_,@function
_ZN7rocprim17ROCPRIM_400000_NS6detail17trampoline_kernelINS0_14default_configENS1_25partition_config_selectorILNS1_17partition_subalgoE2ExNS0_10empty_typeEbEEZZNS1_14partition_implILS5_2ELb0ES3_jN6thrust23THRUST_200600_302600_NS6detail15normal_iteratorINSA_7pointerIxNSA_11hip_rocprim3tagENSA_11use_defaultESG_EEEEPS6_NSA_18transform_iteratorI7is_evenIxENSC_INSA_10device_ptrIxEEEESG_SG_EENS0_5tupleIJPxSJ_EEENSR_IJSJ_SJ_EEES6_PlJS6_EEE10hipError_tPvRmT3_T4_T5_T6_T7_T9_mT8_P12ihipStream_tbDpT10_ENKUlT_T0_E_clISt17integral_constantIbLb1EES1E_IbLb0EEEEDaS1A_S1B_EUlS1A_E_NS1_11comp_targetILNS1_3genE10ELNS1_11target_archE1200ELNS1_3gpuE4ELNS1_3repE0EEENS1_30default_config_static_selectorELNS0_4arch9wavefront6targetE1EEEvT1_: ; @_ZN7rocprim17ROCPRIM_400000_NS6detail17trampoline_kernelINS0_14default_configENS1_25partition_config_selectorILNS1_17partition_subalgoE2ExNS0_10empty_typeEbEEZZNS1_14partition_implILS5_2ELb0ES3_jN6thrust23THRUST_200600_302600_NS6detail15normal_iteratorINSA_7pointerIxNSA_11hip_rocprim3tagENSA_11use_defaultESG_EEEEPS6_NSA_18transform_iteratorI7is_evenIxENSC_INSA_10device_ptrIxEEEESG_SG_EENS0_5tupleIJPxSJ_EEENSR_IJSJ_SJ_EEES6_PlJS6_EEE10hipError_tPvRmT3_T4_T5_T6_T7_T9_mT8_P12ihipStream_tbDpT10_ENKUlT_T0_E_clISt17integral_constantIbLb1EES1E_IbLb0EEEEDaS1A_S1B_EUlS1A_E_NS1_11comp_targetILNS1_3genE10ELNS1_11target_archE1200ELNS1_3gpuE4ELNS1_3repE0EEENS1_30default_config_static_selectorELNS0_4arch9wavefront6targetE1EEEvT1_
; %bb.0:
	.section	.rodata,"a",@progbits
	.p2align	6, 0x0
	.amdhsa_kernel _ZN7rocprim17ROCPRIM_400000_NS6detail17trampoline_kernelINS0_14default_configENS1_25partition_config_selectorILNS1_17partition_subalgoE2ExNS0_10empty_typeEbEEZZNS1_14partition_implILS5_2ELb0ES3_jN6thrust23THRUST_200600_302600_NS6detail15normal_iteratorINSA_7pointerIxNSA_11hip_rocprim3tagENSA_11use_defaultESG_EEEEPS6_NSA_18transform_iteratorI7is_evenIxENSC_INSA_10device_ptrIxEEEESG_SG_EENS0_5tupleIJPxSJ_EEENSR_IJSJ_SJ_EEES6_PlJS6_EEE10hipError_tPvRmT3_T4_T5_T6_T7_T9_mT8_P12ihipStream_tbDpT10_ENKUlT_T0_E_clISt17integral_constantIbLb1EES1E_IbLb0EEEEDaS1A_S1B_EUlS1A_E_NS1_11comp_targetILNS1_3genE10ELNS1_11target_archE1200ELNS1_3gpuE4ELNS1_3repE0EEENS1_30default_config_static_selectorELNS0_4arch9wavefront6targetE1EEEvT1_
		.amdhsa_group_segment_fixed_size 0
		.amdhsa_private_segment_fixed_size 0
		.amdhsa_kernarg_size 128
		.amdhsa_user_sgpr_count 2
		.amdhsa_user_sgpr_dispatch_ptr 0
		.amdhsa_user_sgpr_queue_ptr 0
		.amdhsa_user_sgpr_kernarg_segment_ptr 1
		.amdhsa_user_sgpr_dispatch_id 0
		.amdhsa_user_sgpr_kernarg_preload_length 0
		.amdhsa_user_sgpr_kernarg_preload_offset 0
		.amdhsa_user_sgpr_private_segment_size 0
		.amdhsa_uses_dynamic_stack 0
		.amdhsa_enable_private_segment 0
		.amdhsa_system_sgpr_workgroup_id_x 1
		.amdhsa_system_sgpr_workgroup_id_y 0
		.amdhsa_system_sgpr_workgroup_id_z 0
		.amdhsa_system_sgpr_workgroup_info 0
		.amdhsa_system_vgpr_workitem_id 0
		.amdhsa_next_free_vgpr 1
		.amdhsa_next_free_sgpr 0
		.amdhsa_accum_offset 4
		.amdhsa_reserve_vcc 0
		.amdhsa_float_round_mode_32 0
		.amdhsa_float_round_mode_16_64 0
		.amdhsa_float_denorm_mode_32 3
		.amdhsa_float_denorm_mode_16_64 3
		.amdhsa_dx10_clamp 1
		.amdhsa_ieee_mode 1
		.amdhsa_fp16_overflow 0
		.amdhsa_tg_split 0
		.amdhsa_exception_fp_ieee_invalid_op 0
		.amdhsa_exception_fp_denorm_src 0
		.amdhsa_exception_fp_ieee_div_zero 0
		.amdhsa_exception_fp_ieee_overflow 0
		.amdhsa_exception_fp_ieee_underflow 0
		.amdhsa_exception_fp_ieee_inexact 0
		.amdhsa_exception_int_div_zero 0
	.end_amdhsa_kernel
	.section	.text._ZN7rocprim17ROCPRIM_400000_NS6detail17trampoline_kernelINS0_14default_configENS1_25partition_config_selectorILNS1_17partition_subalgoE2ExNS0_10empty_typeEbEEZZNS1_14partition_implILS5_2ELb0ES3_jN6thrust23THRUST_200600_302600_NS6detail15normal_iteratorINSA_7pointerIxNSA_11hip_rocprim3tagENSA_11use_defaultESG_EEEEPS6_NSA_18transform_iteratorI7is_evenIxENSC_INSA_10device_ptrIxEEEESG_SG_EENS0_5tupleIJPxSJ_EEENSR_IJSJ_SJ_EEES6_PlJS6_EEE10hipError_tPvRmT3_T4_T5_T6_T7_T9_mT8_P12ihipStream_tbDpT10_ENKUlT_T0_E_clISt17integral_constantIbLb1EES1E_IbLb0EEEEDaS1A_S1B_EUlS1A_E_NS1_11comp_targetILNS1_3genE10ELNS1_11target_archE1200ELNS1_3gpuE4ELNS1_3repE0EEENS1_30default_config_static_selectorELNS0_4arch9wavefront6targetE1EEEvT1_,"axG",@progbits,_ZN7rocprim17ROCPRIM_400000_NS6detail17trampoline_kernelINS0_14default_configENS1_25partition_config_selectorILNS1_17partition_subalgoE2ExNS0_10empty_typeEbEEZZNS1_14partition_implILS5_2ELb0ES3_jN6thrust23THRUST_200600_302600_NS6detail15normal_iteratorINSA_7pointerIxNSA_11hip_rocprim3tagENSA_11use_defaultESG_EEEEPS6_NSA_18transform_iteratorI7is_evenIxENSC_INSA_10device_ptrIxEEEESG_SG_EENS0_5tupleIJPxSJ_EEENSR_IJSJ_SJ_EEES6_PlJS6_EEE10hipError_tPvRmT3_T4_T5_T6_T7_T9_mT8_P12ihipStream_tbDpT10_ENKUlT_T0_E_clISt17integral_constantIbLb1EES1E_IbLb0EEEEDaS1A_S1B_EUlS1A_E_NS1_11comp_targetILNS1_3genE10ELNS1_11target_archE1200ELNS1_3gpuE4ELNS1_3repE0EEENS1_30default_config_static_selectorELNS0_4arch9wavefront6targetE1EEEvT1_,comdat
.Lfunc_end211:
	.size	_ZN7rocprim17ROCPRIM_400000_NS6detail17trampoline_kernelINS0_14default_configENS1_25partition_config_selectorILNS1_17partition_subalgoE2ExNS0_10empty_typeEbEEZZNS1_14partition_implILS5_2ELb0ES3_jN6thrust23THRUST_200600_302600_NS6detail15normal_iteratorINSA_7pointerIxNSA_11hip_rocprim3tagENSA_11use_defaultESG_EEEEPS6_NSA_18transform_iteratorI7is_evenIxENSC_INSA_10device_ptrIxEEEESG_SG_EENS0_5tupleIJPxSJ_EEENSR_IJSJ_SJ_EEES6_PlJS6_EEE10hipError_tPvRmT3_T4_T5_T6_T7_T9_mT8_P12ihipStream_tbDpT10_ENKUlT_T0_E_clISt17integral_constantIbLb1EES1E_IbLb0EEEEDaS1A_S1B_EUlS1A_E_NS1_11comp_targetILNS1_3genE10ELNS1_11target_archE1200ELNS1_3gpuE4ELNS1_3repE0EEENS1_30default_config_static_selectorELNS0_4arch9wavefront6targetE1EEEvT1_, .Lfunc_end211-_ZN7rocprim17ROCPRIM_400000_NS6detail17trampoline_kernelINS0_14default_configENS1_25partition_config_selectorILNS1_17partition_subalgoE2ExNS0_10empty_typeEbEEZZNS1_14partition_implILS5_2ELb0ES3_jN6thrust23THRUST_200600_302600_NS6detail15normal_iteratorINSA_7pointerIxNSA_11hip_rocprim3tagENSA_11use_defaultESG_EEEEPS6_NSA_18transform_iteratorI7is_evenIxENSC_INSA_10device_ptrIxEEEESG_SG_EENS0_5tupleIJPxSJ_EEENSR_IJSJ_SJ_EEES6_PlJS6_EEE10hipError_tPvRmT3_T4_T5_T6_T7_T9_mT8_P12ihipStream_tbDpT10_ENKUlT_T0_E_clISt17integral_constantIbLb1EES1E_IbLb0EEEEDaS1A_S1B_EUlS1A_E_NS1_11comp_targetILNS1_3genE10ELNS1_11target_archE1200ELNS1_3gpuE4ELNS1_3repE0EEENS1_30default_config_static_selectorELNS0_4arch9wavefront6targetE1EEEvT1_
                                        ; -- End function
	.section	.AMDGPU.csdata,"",@progbits
; Kernel info:
; codeLenInByte = 0
; NumSgprs: 6
; NumVgprs: 0
; NumAgprs: 0
; TotalNumVgprs: 0
; ScratchSize: 0
; MemoryBound: 0
; FloatMode: 240
; IeeeMode: 1
; LDSByteSize: 0 bytes/workgroup (compile time only)
; SGPRBlocks: 0
; VGPRBlocks: 0
; NumSGPRsForWavesPerEU: 6
; NumVGPRsForWavesPerEU: 1
; AccumOffset: 4
; Occupancy: 8
; WaveLimiterHint : 0
; COMPUTE_PGM_RSRC2:SCRATCH_EN: 0
; COMPUTE_PGM_RSRC2:USER_SGPR: 2
; COMPUTE_PGM_RSRC2:TRAP_HANDLER: 0
; COMPUTE_PGM_RSRC2:TGID_X_EN: 1
; COMPUTE_PGM_RSRC2:TGID_Y_EN: 0
; COMPUTE_PGM_RSRC2:TGID_Z_EN: 0
; COMPUTE_PGM_RSRC2:TIDIG_COMP_CNT: 0
; COMPUTE_PGM_RSRC3_GFX90A:ACCUM_OFFSET: 0
; COMPUTE_PGM_RSRC3_GFX90A:TG_SPLIT: 0
	.section	.text._ZN7rocprim17ROCPRIM_400000_NS6detail17trampoline_kernelINS0_14default_configENS1_25partition_config_selectorILNS1_17partition_subalgoE2ExNS0_10empty_typeEbEEZZNS1_14partition_implILS5_2ELb0ES3_jN6thrust23THRUST_200600_302600_NS6detail15normal_iteratorINSA_7pointerIxNSA_11hip_rocprim3tagENSA_11use_defaultESG_EEEEPS6_NSA_18transform_iteratorI7is_evenIxENSC_INSA_10device_ptrIxEEEESG_SG_EENS0_5tupleIJPxSJ_EEENSR_IJSJ_SJ_EEES6_PlJS6_EEE10hipError_tPvRmT3_T4_T5_T6_T7_T9_mT8_P12ihipStream_tbDpT10_ENKUlT_T0_E_clISt17integral_constantIbLb1EES1E_IbLb0EEEEDaS1A_S1B_EUlS1A_E_NS1_11comp_targetILNS1_3genE9ELNS1_11target_archE1100ELNS1_3gpuE3ELNS1_3repE0EEENS1_30default_config_static_selectorELNS0_4arch9wavefront6targetE1EEEvT1_,"axG",@progbits,_ZN7rocprim17ROCPRIM_400000_NS6detail17trampoline_kernelINS0_14default_configENS1_25partition_config_selectorILNS1_17partition_subalgoE2ExNS0_10empty_typeEbEEZZNS1_14partition_implILS5_2ELb0ES3_jN6thrust23THRUST_200600_302600_NS6detail15normal_iteratorINSA_7pointerIxNSA_11hip_rocprim3tagENSA_11use_defaultESG_EEEEPS6_NSA_18transform_iteratorI7is_evenIxENSC_INSA_10device_ptrIxEEEESG_SG_EENS0_5tupleIJPxSJ_EEENSR_IJSJ_SJ_EEES6_PlJS6_EEE10hipError_tPvRmT3_T4_T5_T6_T7_T9_mT8_P12ihipStream_tbDpT10_ENKUlT_T0_E_clISt17integral_constantIbLb1EES1E_IbLb0EEEEDaS1A_S1B_EUlS1A_E_NS1_11comp_targetILNS1_3genE9ELNS1_11target_archE1100ELNS1_3gpuE3ELNS1_3repE0EEENS1_30default_config_static_selectorELNS0_4arch9wavefront6targetE1EEEvT1_,comdat
	.protected	_ZN7rocprim17ROCPRIM_400000_NS6detail17trampoline_kernelINS0_14default_configENS1_25partition_config_selectorILNS1_17partition_subalgoE2ExNS0_10empty_typeEbEEZZNS1_14partition_implILS5_2ELb0ES3_jN6thrust23THRUST_200600_302600_NS6detail15normal_iteratorINSA_7pointerIxNSA_11hip_rocprim3tagENSA_11use_defaultESG_EEEEPS6_NSA_18transform_iteratorI7is_evenIxENSC_INSA_10device_ptrIxEEEESG_SG_EENS0_5tupleIJPxSJ_EEENSR_IJSJ_SJ_EEES6_PlJS6_EEE10hipError_tPvRmT3_T4_T5_T6_T7_T9_mT8_P12ihipStream_tbDpT10_ENKUlT_T0_E_clISt17integral_constantIbLb1EES1E_IbLb0EEEEDaS1A_S1B_EUlS1A_E_NS1_11comp_targetILNS1_3genE9ELNS1_11target_archE1100ELNS1_3gpuE3ELNS1_3repE0EEENS1_30default_config_static_selectorELNS0_4arch9wavefront6targetE1EEEvT1_ ; -- Begin function _ZN7rocprim17ROCPRIM_400000_NS6detail17trampoline_kernelINS0_14default_configENS1_25partition_config_selectorILNS1_17partition_subalgoE2ExNS0_10empty_typeEbEEZZNS1_14partition_implILS5_2ELb0ES3_jN6thrust23THRUST_200600_302600_NS6detail15normal_iteratorINSA_7pointerIxNSA_11hip_rocprim3tagENSA_11use_defaultESG_EEEEPS6_NSA_18transform_iteratorI7is_evenIxENSC_INSA_10device_ptrIxEEEESG_SG_EENS0_5tupleIJPxSJ_EEENSR_IJSJ_SJ_EEES6_PlJS6_EEE10hipError_tPvRmT3_T4_T5_T6_T7_T9_mT8_P12ihipStream_tbDpT10_ENKUlT_T0_E_clISt17integral_constantIbLb1EES1E_IbLb0EEEEDaS1A_S1B_EUlS1A_E_NS1_11comp_targetILNS1_3genE9ELNS1_11target_archE1100ELNS1_3gpuE3ELNS1_3repE0EEENS1_30default_config_static_selectorELNS0_4arch9wavefront6targetE1EEEvT1_
	.globl	_ZN7rocprim17ROCPRIM_400000_NS6detail17trampoline_kernelINS0_14default_configENS1_25partition_config_selectorILNS1_17partition_subalgoE2ExNS0_10empty_typeEbEEZZNS1_14partition_implILS5_2ELb0ES3_jN6thrust23THRUST_200600_302600_NS6detail15normal_iteratorINSA_7pointerIxNSA_11hip_rocprim3tagENSA_11use_defaultESG_EEEEPS6_NSA_18transform_iteratorI7is_evenIxENSC_INSA_10device_ptrIxEEEESG_SG_EENS0_5tupleIJPxSJ_EEENSR_IJSJ_SJ_EEES6_PlJS6_EEE10hipError_tPvRmT3_T4_T5_T6_T7_T9_mT8_P12ihipStream_tbDpT10_ENKUlT_T0_E_clISt17integral_constantIbLb1EES1E_IbLb0EEEEDaS1A_S1B_EUlS1A_E_NS1_11comp_targetILNS1_3genE9ELNS1_11target_archE1100ELNS1_3gpuE3ELNS1_3repE0EEENS1_30default_config_static_selectorELNS0_4arch9wavefront6targetE1EEEvT1_
	.p2align	8
	.type	_ZN7rocprim17ROCPRIM_400000_NS6detail17trampoline_kernelINS0_14default_configENS1_25partition_config_selectorILNS1_17partition_subalgoE2ExNS0_10empty_typeEbEEZZNS1_14partition_implILS5_2ELb0ES3_jN6thrust23THRUST_200600_302600_NS6detail15normal_iteratorINSA_7pointerIxNSA_11hip_rocprim3tagENSA_11use_defaultESG_EEEEPS6_NSA_18transform_iteratorI7is_evenIxENSC_INSA_10device_ptrIxEEEESG_SG_EENS0_5tupleIJPxSJ_EEENSR_IJSJ_SJ_EEES6_PlJS6_EEE10hipError_tPvRmT3_T4_T5_T6_T7_T9_mT8_P12ihipStream_tbDpT10_ENKUlT_T0_E_clISt17integral_constantIbLb1EES1E_IbLb0EEEEDaS1A_S1B_EUlS1A_E_NS1_11comp_targetILNS1_3genE9ELNS1_11target_archE1100ELNS1_3gpuE3ELNS1_3repE0EEENS1_30default_config_static_selectorELNS0_4arch9wavefront6targetE1EEEvT1_,@function
_ZN7rocprim17ROCPRIM_400000_NS6detail17trampoline_kernelINS0_14default_configENS1_25partition_config_selectorILNS1_17partition_subalgoE2ExNS0_10empty_typeEbEEZZNS1_14partition_implILS5_2ELb0ES3_jN6thrust23THRUST_200600_302600_NS6detail15normal_iteratorINSA_7pointerIxNSA_11hip_rocprim3tagENSA_11use_defaultESG_EEEEPS6_NSA_18transform_iteratorI7is_evenIxENSC_INSA_10device_ptrIxEEEESG_SG_EENS0_5tupleIJPxSJ_EEENSR_IJSJ_SJ_EEES6_PlJS6_EEE10hipError_tPvRmT3_T4_T5_T6_T7_T9_mT8_P12ihipStream_tbDpT10_ENKUlT_T0_E_clISt17integral_constantIbLb1EES1E_IbLb0EEEEDaS1A_S1B_EUlS1A_E_NS1_11comp_targetILNS1_3genE9ELNS1_11target_archE1100ELNS1_3gpuE3ELNS1_3repE0EEENS1_30default_config_static_selectorELNS0_4arch9wavefront6targetE1EEEvT1_: ; @_ZN7rocprim17ROCPRIM_400000_NS6detail17trampoline_kernelINS0_14default_configENS1_25partition_config_selectorILNS1_17partition_subalgoE2ExNS0_10empty_typeEbEEZZNS1_14partition_implILS5_2ELb0ES3_jN6thrust23THRUST_200600_302600_NS6detail15normal_iteratorINSA_7pointerIxNSA_11hip_rocprim3tagENSA_11use_defaultESG_EEEEPS6_NSA_18transform_iteratorI7is_evenIxENSC_INSA_10device_ptrIxEEEESG_SG_EENS0_5tupleIJPxSJ_EEENSR_IJSJ_SJ_EEES6_PlJS6_EEE10hipError_tPvRmT3_T4_T5_T6_T7_T9_mT8_P12ihipStream_tbDpT10_ENKUlT_T0_E_clISt17integral_constantIbLb1EES1E_IbLb0EEEEDaS1A_S1B_EUlS1A_E_NS1_11comp_targetILNS1_3genE9ELNS1_11target_archE1100ELNS1_3gpuE3ELNS1_3repE0EEENS1_30default_config_static_selectorELNS0_4arch9wavefront6targetE1EEEvT1_
; %bb.0:
	.section	.rodata,"a",@progbits
	.p2align	6, 0x0
	.amdhsa_kernel _ZN7rocprim17ROCPRIM_400000_NS6detail17trampoline_kernelINS0_14default_configENS1_25partition_config_selectorILNS1_17partition_subalgoE2ExNS0_10empty_typeEbEEZZNS1_14partition_implILS5_2ELb0ES3_jN6thrust23THRUST_200600_302600_NS6detail15normal_iteratorINSA_7pointerIxNSA_11hip_rocprim3tagENSA_11use_defaultESG_EEEEPS6_NSA_18transform_iteratorI7is_evenIxENSC_INSA_10device_ptrIxEEEESG_SG_EENS0_5tupleIJPxSJ_EEENSR_IJSJ_SJ_EEES6_PlJS6_EEE10hipError_tPvRmT3_T4_T5_T6_T7_T9_mT8_P12ihipStream_tbDpT10_ENKUlT_T0_E_clISt17integral_constantIbLb1EES1E_IbLb0EEEEDaS1A_S1B_EUlS1A_E_NS1_11comp_targetILNS1_3genE9ELNS1_11target_archE1100ELNS1_3gpuE3ELNS1_3repE0EEENS1_30default_config_static_selectorELNS0_4arch9wavefront6targetE1EEEvT1_
		.amdhsa_group_segment_fixed_size 0
		.amdhsa_private_segment_fixed_size 0
		.amdhsa_kernarg_size 128
		.amdhsa_user_sgpr_count 2
		.amdhsa_user_sgpr_dispatch_ptr 0
		.amdhsa_user_sgpr_queue_ptr 0
		.amdhsa_user_sgpr_kernarg_segment_ptr 1
		.amdhsa_user_sgpr_dispatch_id 0
		.amdhsa_user_sgpr_kernarg_preload_length 0
		.amdhsa_user_sgpr_kernarg_preload_offset 0
		.amdhsa_user_sgpr_private_segment_size 0
		.amdhsa_uses_dynamic_stack 0
		.amdhsa_enable_private_segment 0
		.amdhsa_system_sgpr_workgroup_id_x 1
		.amdhsa_system_sgpr_workgroup_id_y 0
		.amdhsa_system_sgpr_workgroup_id_z 0
		.amdhsa_system_sgpr_workgroup_info 0
		.amdhsa_system_vgpr_workitem_id 0
		.amdhsa_next_free_vgpr 1
		.amdhsa_next_free_sgpr 0
		.amdhsa_accum_offset 4
		.amdhsa_reserve_vcc 0
		.amdhsa_float_round_mode_32 0
		.amdhsa_float_round_mode_16_64 0
		.amdhsa_float_denorm_mode_32 3
		.amdhsa_float_denorm_mode_16_64 3
		.amdhsa_dx10_clamp 1
		.amdhsa_ieee_mode 1
		.amdhsa_fp16_overflow 0
		.amdhsa_tg_split 0
		.amdhsa_exception_fp_ieee_invalid_op 0
		.amdhsa_exception_fp_denorm_src 0
		.amdhsa_exception_fp_ieee_div_zero 0
		.amdhsa_exception_fp_ieee_overflow 0
		.amdhsa_exception_fp_ieee_underflow 0
		.amdhsa_exception_fp_ieee_inexact 0
		.amdhsa_exception_int_div_zero 0
	.end_amdhsa_kernel
	.section	.text._ZN7rocprim17ROCPRIM_400000_NS6detail17trampoline_kernelINS0_14default_configENS1_25partition_config_selectorILNS1_17partition_subalgoE2ExNS0_10empty_typeEbEEZZNS1_14partition_implILS5_2ELb0ES3_jN6thrust23THRUST_200600_302600_NS6detail15normal_iteratorINSA_7pointerIxNSA_11hip_rocprim3tagENSA_11use_defaultESG_EEEEPS6_NSA_18transform_iteratorI7is_evenIxENSC_INSA_10device_ptrIxEEEESG_SG_EENS0_5tupleIJPxSJ_EEENSR_IJSJ_SJ_EEES6_PlJS6_EEE10hipError_tPvRmT3_T4_T5_T6_T7_T9_mT8_P12ihipStream_tbDpT10_ENKUlT_T0_E_clISt17integral_constantIbLb1EES1E_IbLb0EEEEDaS1A_S1B_EUlS1A_E_NS1_11comp_targetILNS1_3genE9ELNS1_11target_archE1100ELNS1_3gpuE3ELNS1_3repE0EEENS1_30default_config_static_selectorELNS0_4arch9wavefront6targetE1EEEvT1_,"axG",@progbits,_ZN7rocprim17ROCPRIM_400000_NS6detail17trampoline_kernelINS0_14default_configENS1_25partition_config_selectorILNS1_17partition_subalgoE2ExNS0_10empty_typeEbEEZZNS1_14partition_implILS5_2ELb0ES3_jN6thrust23THRUST_200600_302600_NS6detail15normal_iteratorINSA_7pointerIxNSA_11hip_rocprim3tagENSA_11use_defaultESG_EEEEPS6_NSA_18transform_iteratorI7is_evenIxENSC_INSA_10device_ptrIxEEEESG_SG_EENS0_5tupleIJPxSJ_EEENSR_IJSJ_SJ_EEES6_PlJS6_EEE10hipError_tPvRmT3_T4_T5_T6_T7_T9_mT8_P12ihipStream_tbDpT10_ENKUlT_T0_E_clISt17integral_constantIbLb1EES1E_IbLb0EEEEDaS1A_S1B_EUlS1A_E_NS1_11comp_targetILNS1_3genE9ELNS1_11target_archE1100ELNS1_3gpuE3ELNS1_3repE0EEENS1_30default_config_static_selectorELNS0_4arch9wavefront6targetE1EEEvT1_,comdat
.Lfunc_end212:
	.size	_ZN7rocprim17ROCPRIM_400000_NS6detail17trampoline_kernelINS0_14default_configENS1_25partition_config_selectorILNS1_17partition_subalgoE2ExNS0_10empty_typeEbEEZZNS1_14partition_implILS5_2ELb0ES3_jN6thrust23THRUST_200600_302600_NS6detail15normal_iteratorINSA_7pointerIxNSA_11hip_rocprim3tagENSA_11use_defaultESG_EEEEPS6_NSA_18transform_iteratorI7is_evenIxENSC_INSA_10device_ptrIxEEEESG_SG_EENS0_5tupleIJPxSJ_EEENSR_IJSJ_SJ_EEES6_PlJS6_EEE10hipError_tPvRmT3_T4_T5_T6_T7_T9_mT8_P12ihipStream_tbDpT10_ENKUlT_T0_E_clISt17integral_constantIbLb1EES1E_IbLb0EEEEDaS1A_S1B_EUlS1A_E_NS1_11comp_targetILNS1_3genE9ELNS1_11target_archE1100ELNS1_3gpuE3ELNS1_3repE0EEENS1_30default_config_static_selectorELNS0_4arch9wavefront6targetE1EEEvT1_, .Lfunc_end212-_ZN7rocprim17ROCPRIM_400000_NS6detail17trampoline_kernelINS0_14default_configENS1_25partition_config_selectorILNS1_17partition_subalgoE2ExNS0_10empty_typeEbEEZZNS1_14partition_implILS5_2ELb0ES3_jN6thrust23THRUST_200600_302600_NS6detail15normal_iteratorINSA_7pointerIxNSA_11hip_rocprim3tagENSA_11use_defaultESG_EEEEPS6_NSA_18transform_iteratorI7is_evenIxENSC_INSA_10device_ptrIxEEEESG_SG_EENS0_5tupleIJPxSJ_EEENSR_IJSJ_SJ_EEES6_PlJS6_EEE10hipError_tPvRmT3_T4_T5_T6_T7_T9_mT8_P12ihipStream_tbDpT10_ENKUlT_T0_E_clISt17integral_constantIbLb1EES1E_IbLb0EEEEDaS1A_S1B_EUlS1A_E_NS1_11comp_targetILNS1_3genE9ELNS1_11target_archE1100ELNS1_3gpuE3ELNS1_3repE0EEENS1_30default_config_static_selectorELNS0_4arch9wavefront6targetE1EEEvT1_
                                        ; -- End function
	.section	.AMDGPU.csdata,"",@progbits
; Kernel info:
; codeLenInByte = 0
; NumSgprs: 6
; NumVgprs: 0
; NumAgprs: 0
; TotalNumVgprs: 0
; ScratchSize: 0
; MemoryBound: 0
; FloatMode: 240
; IeeeMode: 1
; LDSByteSize: 0 bytes/workgroup (compile time only)
; SGPRBlocks: 0
; VGPRBlocks: 0
; NumSGPRsForWavesPerEU: 6
; NumVGPRsForWavesPerEU: 1
; AccumOffset: 4
; Occupancy: 8
; WaveLimiterHint : 0
; COMPUTE_PGM_RSRC2:SCRATCH_EN: 0
; COMPUTE_PGM_RSRC2:USER_SGPR: 2
; COMPUTE_PGM_RSRC2:TRAP_HANDLER: 0
; COMPUTE_PGM_RSRC2:TGID_X_EN: 1
; COMPUTE_PGM_RSRC2:TGID_Y_EN: 0
; COMPUTE_PGM_RSRC2:TGID_Z_EN: 0
; COMPUTE_PGM_RSRC2:TIDIG_COMP_CNT: 0
; COMPUTE_PGM_RSRC3_GFX90A:ACCUM_OFFSET: 0
; COMPUTE_PGM_RSRC3_GFX90A:TG_SPLIT: 0
	.section	.text._ZN7rocprim17ROCPRIM_400000_NS6detail17trampoline_kernelINS0_14default_configENS1_25partition_config_selectorILNS1_17partition_subalgoE2ExNS0_10empty_typeEbEEZZNS1_14partition_implILS5_2ELb0ES3_jN6thrust23THRUST_200600_302600_NS6detail15normal_iteratorINSA_7pointerIxNSA_11hip_rocprim3tagENSA_11use_defaultESG_EEEEPS6_NSA_18transform_iteratorI7is_evenIxENSC_INSA_10device_ptrIxEEEESG_SG_EENS0_5tupleIJPxSJ_EEENSR_IJSJ_SJ_EEES6_PlJS6_EEE10hipError_tPvRmT3_T4_T5_T6_T7_T9_mT8_P12ihipStream_tbDpT10_ENKUlT_T0_E_clISt17integral_constantIbLb1EES1E_IbLb0EEEEDaS1A_S1B_EUlS1A_E_NS1_11comp_targetILNS1_3genE8ELNS1_11target_archE1030ELNS1_3gpuE2ELNS1_3repE0EEENS1_30default_config_static_selectorELNS0_4arch9wavefront6targetE1EEEvT1_,"axG",@progbits,_ZN7rocprim17ROCPRIM_400000_NS6detail17trampoline_kernelINS0_14default_configENS1_25partition_config_selectorILNS1_17partition_subalgoE2ExNS0_10empty_typeEbEEZZNS1_14partition_implILS5_2ELb0ES3_jN6thrust23THRUST_200600_302600_NS6detail15normal_iteratorINSA_7pointerIxNSA_11hip_rocprim3tagENSA_11use_defaultESG_EEEEPS6_NSA_18transform_iteratorI7is_evenIxENSC_INSA_10device_ptrIxEEEESG_SG_EENS0_5tupleIJPxSJ_EEENSR_IJSJ_SJ_EEES6_PlJS6_EEE10hipError_tPvRmT3_T4_T5_T6_T7_T9_mT8_P12ihipStream_tbDpT10_ENKUlT_T0_E_clISt17integral_constantIbLb1EES1E_IbLb0EEEEDaS1A_S1B_EUlS1A_E_NS1_11comp_targetILNS1_3genE8ELNS1_11target_archE1030ELNS1_3gpuE2ELNS1_3repE0EEENS1_30default_config_static_selectorELNS0_4arch9wavefront6targetE1EEEvT1_,comdat
	.protected	_ZN7rocprim17ROCPRIM_400000_NS6detail17trampoline_kernelINS0_14default_configENS1_25partition_config_selectorILNS1_17partition_subalgoE2ExNS0_10empty_typeEbEEZZNS1_14partition_implILS5_2ELb0ES3_jN6thrust23THRUST_200600_302600_NS6detail15normal_iteratorINSA_7pointerIxNSA_11hip_rocprim3tagENSA_11use_defaultESG_EEEEPS6_NSA_18transform_iteratorI7is_evenIxENSC_INSA_10device_ptrIxEEEESG_SG_EENS0_5tupleIJPxSJ_EEENSR_IJSJ_SJ_EEES6_PlJS6_EEE10hipError_tPvRmT3_T4_T5_T6_T7_T9_mT8_P12ihipStream_tbDpT10_ENKUlT_T0_E_clISt17integral_constantIbLb1EES1E_IbLb0EEEEDaS1A_S1B_EUlS1A_E_NS1_11comp_targetILNS1_3genE8ELNS1_11target_archE1030ELNS1_3gpuE2ELNS1_3repE0EEENS1_30default_config_static_selectorELNS0_4arch9wavefront6targetE1EEEvT1_ ; -- Begin function _ZN7rocprim17ROCPRIM_400000_NS6detail17trampoline_kernelINS0_14default_configENS1_25partition_config_selectorILNS1_17partition_subalgoE2ExNS0_10empty_typeEbEEZZNS1_14partition_implILS5_2ELb0ES3_jN6thrust23THRUST_200600_302600_NS6detail15normal_iteratorINSA_7pointerIxNSA_11hip_rocprim3tagENSA_11use_defaultESG_EEEEPS6_NSA_18transform_iteratorI7is_evenIxENSC_INSA_10device_ptrIxEEEESG_SG_EENS0_5tupleIJPxSJ_EEENSR_IJSJ_SJ_EEES6_PlJS6_EEE10hipError_tPvRmT3_T4_T5_T6_T7_T9_mT8_P12ihipStream_tbDpT10_ENKUlT_T0_E_clISt17integral_constantIbLb1EES1E_IbLb0EEEEDaS1A_S1B_EUlS1A_E_NS1_11comp_targetILNS1_3genE8ELNS1_11target_archE1030ELNS1_3gpuE2ELNS1_3repE0EEENS1_30default_config_static_selectorELNS0_4arch9wavefront6targetE1EEEvT1_
	.globl	_ZN7rocprim17ROCPRIM_400000_NS6detail17trampoline_kernelINS0_14default_configENS1_25partition_config_selectorILNS1_17partition_subalgoE2ExNS0_10empty_typeEbEEZZNS1_14partition_implILS5_2ELb0ES3_jN6thrust23THRUST_200600_302600_NS6detail15normal_iteratorINSA_7pointerIxNSA_11hip_rocprim3tagENSA_11use_defaultESG_EEEEPS6_NSA_18transform_iteratorI7is_evenIxENSC_INSA_10device_ptrIxEEEESG_SG_EENS0_5tupleIJPxSJ_EEENSR_IJSJ_SJ_EEES6_PlJS6_EEE10hipError_tPvRmT3_T4_T5_T6_T7_T9_mT8_P12ihipStream_tbDpT10_ENKUlT_T0_E_clISt17integral_constantIbLb1EES1E_IbLb0EEEEDaS1A_S1B_EUlS1A_E_NS1_11comp_targetILNS1_3genE8ELNS1_11target_archE1030ELNS1_3gpuE2ELNS1_3repE0EEENS1_30default_config_static_selectorELNS0_4arch9wavefront6targetE1EEEvT1_
	.p2align	8
	.type	_ZN7rocprim17ROCPRIM_400000_NS6detail17trampoline_kernelINS0_14default_configENS1_25partition_config_selectorILNS1_17partition_subalgoE2ExNS0_10empty_typeEbEEZZNS1_14partition_implILS5_2ELb0ES3_jN6thrust23THRUST_200600_302600_NS6detail15normal_iteratorINSA_7pointerIxNSA_11hip_rocprim3tagENSA_11use_defaultESG_EEEEPS6_NSA_18transform_iteratorI7is_evenIxENSC_INSA_10device_ptrIxEEEESG_SG_EENS0_5tupleIJPxSJ_EEENSR_IJSJ_SJ_EEES6_PlJS6_EEE10hipError_tPvRmT3_T4_T5_T6_T7_T9_mT8_P12ihipStream_tbDpT10_ENKUlT_T0_E_clISt17integral_constantIbLb1EES1E_IbLb0EEEEDaS1A_S1B_EUlS1A_E_NS1_11comp_targetILNS1_3genE8ELNS1_11target_archE1030ELNS1_3gpuE2ELNS1_3repE0EEENS1_30default_config_static_selectorELNS0_4arch9wavefront6targetE1EEEvT1_,@function
_ZN7rocprim17ROCPRIM_400000_NS6detail17trampoline_kernelINS0_14default_configENS1_25partition_config_selectorILNS1_17partition_subalgoE2ExNS0_10empty_typeEbEEZZNS1_14partition_implILS5_2ELb0ES3_jN6thrust23THRUST_200600_302600_NS6detail15normal_iteratorINSA_7pointerIxNSA_11hip_rocprim3tagENSA_11use_defaultESG_EEEEPS6_NSA_18transform_iteratorI7is_evenIxENSC_INSA_10device_ptrIxEEEESG_SG_EENS0_5tupleIJPxSJ_EEENSR_IJSJ_SJ_EEES6_PlJS6_EEE10hipError_tPvRmT3_T4_T5_T6_T7_T9_mT8_P12ihipStream_tbDpT10_ENKUlT_T0_E_clISt17integral_constantIbLb1EES1E_IbLb0EEEEDaS1A_S1B_EUlS1A_E_NS1_11comp_targetILNS1_3genE8ELNS1_11target_archE1030ELNS1_3gpuE2ELNS1_3repE0EEENS1_30default_config_static_selectorELNS0_4arch9wavefront6targetE1EEEvT1_: ; @_ZN7rocprim17ROCPRIM_400000_NS6detail17trampoline_kernelINS0_14default_configENS1_25partition_config_selectorILNS1_17partition_subalgoE2ExNS0_10empty_typeEbEEZZNS1_14partition_implILS5_2ELb0ES3_jN6thrust23THRUST_200600_302600_NS6detail15normal_iteratorINSA_7pointerIxNSA_11hip_rocprim3tagENSA_11use_defaultESG_EEEEPS6_NSA_18transform_iteratorI7is_evenIxENSC_INSA_10device_ptrIxEEEESG_SG_EENS0_5tupleIJPxSJ_EEENSR_IJSJ_SJ_EEES6_PlJS6_EEE10hipError_tPvRmT3_T4_T5_T6_T7_T9_mT8_P12ihipStream_tbDpT10_ENKUlT_T0_E_clISt17integral_constantIbLb1EES1E_IbLb0EEEEDaS1A_S1B_EUlS1A_E_NS1_11comp_targetILNS1_3genE8ELNS1_11target_archE1030ELNS1_3gpuE2ELNS1_3repE0EEENS1_30default_config_static_selectorELNS0_4arch9wavefront6targetE1EEEvT1_
; %bb.0:
	.section	.rodata,"a",@progbits
	.p2align	6, 0x0
	.amdhsa_kernel _ZN7rocprim17ROCPRIM_400000_NS6detail17trampoline_kernelINS0_14default_configENS1_25partition_config_selectorILNS1_17partition_subalgoE2ExNS0_10empty_typeEbEEZZNS1_14partition_implILS5_2ELb0ES3_jN6thrust23THRUST_200600_302600_NS6detail15normal_iteratorINSA_7pointerIxNSA_11hip_rocprim3tagENSA_11use_defaultESG_EEEEPS6_NSA_18transform_iteratorI7is_evenIxENSC_INSA_10device_ptrIxEEEESG_SG_EENS0_5tupleIJPxSJ_EEENSR_IJSJ_SJ_EEES6_PlJS6_EEE10hipError_tPvRmT3_T4_T5_T6_T7_T9_mT8_P12ihipStream_tbDpT10_ENKUlT_T0_E_clISt17integral_constantIbLb1EES1E_IbLb0EEEEDaS1A_S1B_EUlS1A_E_NS1_11comp_targetILNS1_3genE8ELNS1_11target_archE1030ELNS1_3gpuE2ELNS1_3repE0EEENS1_30default_config_static_selectorELNS0_4arch9wavefront6targetE1EEEvT1_
		.amdhsa_group_segment_fixed_size 0
		.amdhsa_private_segment_fixed_size 0
		.amdhsa_kernarg_size 128
		.amdhsa_user_sgpr_count 2
		.amdhsa_user_sgpr_dispatch_ptr 0
		.amdhsa_user_sgpr_queue_ptr 0
		.amdhsa_user_sgpr_kernarg_segment_ptr 1
		.amdhsa_user_sgpr_dispatch_id 0
		.amdhsa_user_sgpr_kernarg_preload_length 0
		.amdhsa_user_sgpr_kernarg_preload_offset 0
		.amdhsa_user_sgpr_private_segment_size 0
		.amdhsa_uses_dynamic_stack 0
		.amdhsa_enable_private_segment 0
		.amdhsa_system_sgpr_workgroup_id_x 1
		.amdhsa_system_sgpr_workgroup_id_y 0
		.amdhsa_system_sgpr_workgroup_id_z 0
		.amdhsa_system_sgpr_workgroup_info 0
		.amdhsa_system_vgpr_workitem_id 0
		.amdhsa_next_free_vgpr 1
		.amdhsa_next_free_sgpr 0
		.amdhsa_accum_offset 4
		.amdhsa_reserve_vcc 0
		.amdhsa_float_round_mode_32 0
		.amdhsa_float_round_mode_16_64 0
		.amdhsa_float_denorm_mode_32 3
		.amdhsa_float_denorm_mode_16_64 3
		.amdhsa_dx10_clamp 1
		.amdhsa_ieee_mode 1
		.amdhsa_fp16_overflow 0
		.amdhsa_tg_split 0
		.amdhsa_exception_fp_ieee_invalid_op 0
		.amdhsa_exception_fp_denorm_src 0
		.amdhsa_exception_fp_ieee_div_zero 0
		.amdhsa_exception_fp_ieee_overflow 0
		.amdhsa_exception_fp_ieee_underflow 0
		.amdhsa_exception_fp_ieee_inexact 0
		.amdhsa_exception_int_div_zero 0
	.end_amdhsa_kernel
	.section	.text._ZN7rocprim17ROCPRIM_400000_NS6detail17trampoline_kernelINS0_14default_configENS1_25partition_config_selectorILNS1_17partition_subalgoE2ExNS0_10empty_typeEbEEZZNS1_14partition_implILS5_2ELb0ES3_jN6thrust23THRUST_200600_302600_NS6detail15normal_iteratorINSA_7pointerIxNSA_11hip_rocprim3tagENSA_11use_defaultESG_EEEEPS6_NSA_18transform_iteratorI7is_evenIxENSC_INSA_10device_ptrIxEEEESG_SG_EENS0_5tupleIJPxSJ_EEENSR_IJSJ_SJ_EEES6_PlJS6_EEE10hipError_tPvRmT3_T4_T5_T6_T7_T9_mT8_P12ihipStream_tbDpT10_ENKUlT_T0_E_clISt17integral_constantIbLb1EES1E_IbLb0EEEEDaS1A_S1B_EUlS1A_E_NS1_11comp_targetILNS1_3genE8ELNS1_11target_archE1030ELNS1_3gpuE2ELNS1_3repE0EEENS1_30default_config_static_selectorELNS0_4arch9wavefront6targetE1EEEvT1_,"axG",@progbits,_ZN7rocprim17ROCPRIM_400000_NS6detail17trampoline_kernelINS0_14default_configENS1_25partition_config_selectorILNS1_17partition_subalgoE2ExNS0_10empty_typeEbEEZZNS1_14partition_implILS5_2ELb0ES3_jN6thrust23THRUST_200600_302600_NS6detail15normal_iteratorINSA_7pointerIxNSA_11hip_rocprim3tagENSA_11use_defaultESG_EEEEPS6_NSA_18transform_iteratorI7is_evenIxENSC_INSA_10device_ptrIxEEEESG_SG_EENS0_5tupleIJPxSJ_EEENSR_IJSJ_SJ_EEES6_PlJS6_EEE10hipError_tPvRmT3_T4_T5_T6_T7_T9_mT8_P12ihipStream_tbDpT10_ENKUlT_T0_E_clISt17integral_constantIbLb1EES1E_IbLb0EEEEDaS1A_S1B_EUlS1A_E_NS1_11comp_targetILNS1_3genE8ELNS1_11target_archE1030ELNS1_3gpuE2ELNS1_3repE0EEENS1_30default_config_static_selectorELNS0_4arch9wavefront6targetE1EEEvT1_,comdat
.Lfunc_end213:
	.size	_ZN7rocprim17ROCPRIM_400000_NS6detail17trampoline_kernelINS0_14default_configENS1_25partition_config_selectorILNS1_17partition_subalgoE2ExNS0_10empty_typeEbEEZZNS1_14partition_implILS5_2ELb0ES3_jN6thrust23THRUST_200600_302600_NS6detail15normal_iteratorINSA_7pointerIxNSA_11hip_rocprim3tagENSA_11use_defaultESG_EEEEPS6_NSA_18transform_iteratorI7is_evenIxENSC_INSA_10device_ptrIxEEEESG_SG_EENS0_5tupleIJPxSJ_EEENSR_IJSJ_SJ_EEES6_PlJS6_EEE10hipError_tPvRmT3_T4_T5_T6_T7_T9_mT8_P12ihipStream_tbDpT10_ENKUlT_T0_E_clISt17integral_constantIbLb1EES1E_IbLb0EEEEDaS1A_S1B_EUlS1A_E_NS1_11comp_targetILNS1_3genE8ELNS1_11target_archE1030ELNS1_3gpuE2ELNS1_3repE0EEENS1_30default_config_static_selectorELNS0_4arch9wavefront6targetE1EEEvT1_, .Lfunc_end213-_ZN7rocprim17ROCPRIM_400000_NS6detail17trampoline_kernelINS0_14default_configENS1_25partition_config_selectorILNS1_17partition_subalgoE2ExNS0_10empty_typeEbEEZZNS1_14partition_implILS5_2ELb0ES3_jN6thrust23THRUST_200600_302600_NS6detail15normal_iteratorINSA_7pointerIxNSA_11hip_rocprim3tagENSA_11use_defaultESG_EEEEPS6_NSA_18transform_iteratorI7is_evenIxENSC_INSA_10device_ptrIxEEEESG_SG_EENS0_5tupleIJPxSJ_EEENSR_IJSJ_SJ_EEES6_PlJS6_EEE10hipError_tPvRmT3_T4_T5_T6_T7_T9_mT8_P12ihipStream_tbDpT10_ENKUlT_T0_E_clISt17integral_constantIbLb1EES1E_IbLb0EEEEDaS1A_S1B_EUlS1A_E_NS1_11comp_targetILNS1_3genE8ELNS1_11target_archE1030ELNS1_3gpuE2ELNS1_3repE0EEENS1_30default_config_static_selectorELNS0_4arch9wavefront6targetE1EEEvT1_
                                        ; -- End function
	.section	.AMDGPU.csdata,"",@progbits
; Kernel info:
; codeLenInByte = 0
; NumSgprs: 6
; NumVgprs: 0
; NumAgprs: 0
; TotalNumVgprs: 0
; ScratchSize: 0
; MemoryBound: 0
; FloatMode: 240
; IeeeMode: 1
; LDSByteSize: 0 bytes/workgroup (compile time only)
; SGPRBlocks: 0
; VGPRBlocks: 0
; NumSGPRsForWavesPerEU: 6
; NumVGPRsForWavesPerEU: 1
; AccumOffset: 4
; Occupancy: 8
; WaveLimiterHint : 0
; COMPUTE_PGM_RSRC2:SCRATCH_EN: 0
; COMPUTE_PGM_RSRC2:USER_SGPR: 2
; COMPUTE_PGM_RSRC2:TRAP_HANDLER: 0
; COMPUTE_PGM_RSRC2:TGID_X_EN: 1
; COMPUTE_PGM_RSRC2:TGID_Y_EN: 0
; COMPUTE_PGM_RSRC2:TGID_Z_EN: 0
; COMPUTE_PGM_RSRC2:TIDIG_COMP_CNT: 0
; COMPUTE_PGM_RSRC3_GFX90A:ACCUM_OFFSET: 0
; COMPUTE_PGM_RSRC3_GFX90A:TG_SPLIT: 0
	.section	.text._ZN7rocprim17ROCPRIM_400000_NS6detail17trampoline_kernelINS0_14default_configENS1_25partition_config_selectorILNS1_17partition_subalgoE2ExNS0_10empty_typeEbEEZZNS1_14partition_implILS5_2ELb0ES3_jN6thrust23THRUST_200600_302600_NS6detail15normal_iteratorINSA_7pointerIxNSA_11hip_rocprim3tagENSA_11use_defaultESG_EEEEPS6_NSA_18transform_iteratorI7is_evenIxENSC_INSA_10device_ptrIxEEEESG_SG_EENS0_5tupleIJPxSJ_EEENSR_IJSJ_SJ_EEES6_PlJS6_EEE10hipError_tPvRmT3_T4_T5_T6_T7_T9_mT8_P12ihipStream_tbDpT10_ENKUlT_T0_E_clISt17integral_constantIbLb0EES1E_IbLb1EEEEDaS1A_S1B_EUlS1A_E_NS1_11comp_targetILNS1_3genE0ELNS1_11target_archE4294967295ELNS1_3gpuE0ELNS1_3repE0EEENS1_30default_config_static_selectorELNS0_4arch9wavefront6targetE1EEEvT1_,"axG",@progbits,_ZN7rocprim17ROCPRIM_400000_NS6detail17trampoline_kernelINS0_14default_configENS1_25partition_config_selectorILNS1_17partition_subalgoE2ExNS0_10empty_typeEbEEZZNS1_14partition_implILS5_2ELb0ES3_jN6thrust23THRUST_200600_302600_NS6detail15normal_iteratorINSA_7pointerIxNSA_11hip_rocprim3tagENSA_11use_defaultESG_EEEEPS6_NSA_18transform_iteratorI7is_evenIxENSC_INSA_10device_ptrIxEEEESG_SG_EENS0_5tupleIJPxSJ_EEENSR_IJSJ_SJ_EEES6_PlJS6_EEE10hipError_tPvRmT3_T4_T5_T6_T7_T9_mT8_P12ihipStream_tbDpT10_ENKUlT_T0_E_clISt17integral_constantIbLb0EES1E_IbLb1EEEEDaS1A_S1B_EUlS1A_E_NS1_11comp_targetILNS1_3genE0ELNS1_11target_archE4294967295ELNS1_3gpuE0ELNS1_3repE0EEENS1_30default_config_static_selectorELNS0_4arch9wavefront6targetE1EEEvT1_,comdat
	.protected	_ZN7rocprim17ROCPRIM_400000_NS6detail17trampoline_kernelINS0_14default_configENS1_25partition_config_selectorILNS1_17partition_subalgoE2ExNS0_10empty_typeEbEEZZNS1_14partition_implILS5_2ELb0ES3_jN6thrust23THRUST_200600_302600_NS6detail15normal_iteratorINSA_7pointerIxNSA_11hip_rocprim3tagENSA_11use_defaultESG_EEEEPS6_NSA_18transform_iteratorI7is_evenIxENSC_INSA_10device_ptrIxEEEESG_SG_EENS0_5tupleIJPxSJ_EEENSR_IJSJ_SJ_EEES6_PlJS6_EEE10hipError_tPvRmT3_T4_T5_T6_T7_T9_mT8_P12ihipStream_tbDpT10_ENKUlT_T0_E_clISt17integral_constantIbLb0EES1E_IbLb1EEEEDaS1A_S1B_EUlS1A_E_NS1_11comp_targetILNS1_3genE0ELNS1_11target_archE4294967295ELNS1_3gpuE0ELNS1_3repE0EEENS1_30default_config_static_selectorELNS0_4arch9wavefront6targetE1EEEvT1_ ; -- Begin function _ZN7rocprim17ROCPRIM_400000_NS6detail17trampoline_kernelINS0_14default_configENS1_25partition_config_selectorILNS1_17partition_subalgoE2ExNS0_10empty_typeEbEEZZNS1_14partition_implILS5_2ELb0ES3_jN6thrust23THRUST_200600_302600_NS6detail15normal_iteratorINSA_7pointerIxNSA_11hip_rocprim3tagENSA_11use_defaultESG_EEEEPS6_NSA_18transform_iteratorI7is_evenIxENSC_INSA_10device_ptrIxEEEESG_SG_EENS0_5tupleIJPxSJ_EEENSR_IJSJ_SJ_EEES6_PlJS6_EEE10hipError_tPvRmT3_T4_T5_T6_T7_T9_mT8_P12ihipStream_tbDpT10_ENKUlT_T0_E_clISt17integral_constantIbLb0EES1E_IbLb1EEEEDaS1A_S1B_EUlS1A_E_NS1_11comp_targetILNS1_3genE0ELNS1_11target_archE4294967295ELNS1_3gpuE0ELNS1_3repE0EEENS1_30default_config_static_selectorELNS0_4arch9wavefront6targetE1EEEvT1_
	.globl	_ZN7rocprim17ROCPRIM_400000_NS6detail17trampoline_kernelINS0_14default_configENS1_25partition_config_selectorILNS1_17partition_subalgoE2ExNS0_10empty_typeEbEEZZNS1_14partition_implILS5_2ELb0ES3_jN6thrust23THRUST_200600_302600_NS6detail15normal_iteratorINSA_7pointerIxNSA_11hip_rocprim3tagENSA_11use_defaultESG_EEEEPS6_NSA_18transform_iteratorI7is_evenIxENSC_INSA_10device_ptrIxEEEESG_SG_EENS0_5tupleIJPxSJ_EEENSR_IJSJ_SJ_EEES6_PlJS6_EEE10hipError_tPvRmT3_T4_T5_T6_T7_T9_mT8_P12ihipStream_tbDpT10_ENKUlT_T0_E_clISt17integral_constantIbLb0EES1E_IbLb1EEEEDaS1A_S1B_EUlS1A_E_NS1_11comp_targetILNS1_3genE0ELNS1_11target_archE4294967295ELNS1_3gpuE0ELNS1_3repE0EEENS1_30default_config_static_selectorELNS0_4arch9wavefront6targetE1EEEvT1_
	.p2align	8
	.type	_ZN7rocprim17ROCPRIM_400000_NS6detail17trampoline_kernelINS0_14default_configENS1_25partition_config_selectorILNS1_17partition_subalgoE2ExNS0_10empty_typeEbEEZZNS1_14partition_implILS5_2ELb0ES3_jN6thrust23THRUST_200600_302600_NS6detail15normal_iteratorINSA_7pointerIxNSA_11hip_rocprim3tagENSA_11use_defaultESG_EEEEPS6_NSA_18transform_iteratorI7is_evenIxENSC_INSA_10device_ptrIxEEEESG_SG_EENS0_5tupleIJPxSJ_EEENSR_IJSJ_SJ_EEES6_PlJS6_EEE10hipError_tPvRmT3_T4_T5_T6_T7_T9_mT8_P12ihipStream_tbDpT10_ENKUlT_T0_E_clISt17integral_constantIbLb0EES1E_IbLb1EEEEDaS1A_S1B_EUlS1A_E_NS1_11comp_targetILNS1_3genE0ELNS1_11target_archE4294967295ELNS1_3gpuE0ELNS1_3repE0EEENS1_30default_config_static_selectorELNS0_4arch9wavefront6targetE1EEEvT1_,@function
_ZN7rocprim17ROCPRIM_400000_NS6detail17trampoline_kernelINS0_14default_configENS1_25partition_config_selectorILNS1_17partition_subalgoE2ExNS0_10empty_typeEbEEZZNS1_14partition_implILS5_2ELb0ES3_jN6thrust23THRUST_200600_302600_NS6detail15normal_iteratorINSA_7pointerIxNSA_11hip_rocprim3tagENSA_11use_defaultESG_EEEEPS6_NSA_18transform_iteratorI7is_evenIxENSC_INSA_10device_ptrIxEEEESG_SG_EENS0_5tupleIJPxSJ_EEENSR_IJSJ_SJ_EEES6_PlJS6_EEE10hipError_tPvRmT3_T4_T5_T6_T7_T9_mT8_P12ihipStream_tbDpT10_ENKUlT_T0_E_clISt17integral_constantIbLb0EES1E_IbLb1EEEEDaS1A_S1B_EUlS1A_E_NS1_11comp_targetILNS1_3genE0ELNS1_11target_archE4294967295ELNS1_3gpuE0ELNS1_3repE0EEENS1_30default_config_static_selectorELNS0_4arch9wavefront6targetE1EEEvT1_: ; @_ZN7rocprim17ROCPRIM_400000_NS6detail17trampoline_kernelINS0_14default_configENS1_25partition_config_selectorILNS1_17partition_subalgoE2ExNS0_10empty_typeEbEEZZNS1_14partition_implILS5_2ELb0ES3_jN6thrust23THRUST_200600_302600_NS6detail15normal_iteratorINSA_7pointerIxNSA_11hip_rocprim3tagENSA_11use_defaultESG_EEEEPS6_NSA_18transform_iteratorI7is_evenIxENSC_INSA_10device_ptrIxEEEESG_SG_EENS0_5tupleIJPxSJ_EEENSR_IJSJ_SJ_EEES6_PlJS6_EEE10hipError_tPvRmT3_T4_T5_T6_T7_T9_mT8_P12ihipStream_tbDpT10_ENKUlT_T0_E_clISt17integral_constantIbLb0EES1E_IbLb1EEEEDaS1A_S1B_EUlS1A_E_NS1_11comp_targetILNS1_3genE0ELNS1_11target_archE4294967295ELNS1_3gpuE0ELNS1_3repE0EEENS1_30default_config_static_selectorELNS0_4arch9wavefront6targetE1EEEvT1_
; %bb.0:
	.section	.rodata,"a",@progbits
	.p2align	6, 0x0
	.amdhsa_kernel _ZN7rocprim17ROCPRIM_400000_NS6detail17trampoline_kernelINS0_14default_configENS1_25partition_config_selectorILNS1_17partition_subalgoE2ExNS0_10empty_typeEbEEZZNS1_14partition_implILS5_2ELb0ES3_jN6thrust23THRUST_200600_302600_NS6detail15normal_iteratorINSA_7pointerIxNSA_11hip_rocprim3tagENSA_11use_defaultESG_EEEEPS6_NSA_18transform_iteratorI7is_evenIxENSC_INSA_10device_ptrIxEEEESG_SG_EENS0_5tupleIJPxSJ_EEENSR_IJSJ_SJ_EEES6_PlJS6_EEE10hipError_tPvRmT3_T4_T5_T6_T7_T9_mT8_P12ihipStream_tbDpT10_ENKUlT_T0_E_clISt17integral_constantIbLb0EES1E_IbLb1EEEEDaS1A_S1B_EUlS1A_E_NS1_11comp_targetILNS1_3genE0ELNS1_11target_archE4294967295ELNS1_3gpuE0ELNS1_3repE0EEENS1_30default_config_static_selectorELNS0_4arch9wavefront6targetE1EEEvT1_
		.amdhsa_group_segment_fixed_size 0
		.amdhsa_private_segment_fixed_size 0
		.amdhsa_kernarg_size 144
		.amdhsa_user_sgpr_count 2
		.amdhsa_user_sgpr_dispatch_ptr 0
		.amdhsa_user_sgpr_queue_ptr 0
		.amdhsa_user_sgpr_kernarg_segment_ptr 1
		.amdhsa_user_sgpr_dispatch_id 0
		.amdhsa_user_sgpr_kernarg_preload_length 0
		.amdhsa_user_sgpr_kernarg_preload_offset 0
		.amdhsa_user_sgpr_private_segment_size 0
		.amdhsa_uses_dynamic_stack 0
		.amdhsa_enable_private_segment 0
		.amdhsa_system_sgpr_workgroup_id_x 1
		.amdhsa_system_sgpr_workgroup_id_y 0
		.amdhsa_system_sgpr_workgroup_id_z 0
		.amdhsa_system_sgpr_workgroup_info 0
		.amdhsa_system_vgpr_workitem_id 0
		.amdhsa_next_free_vgpr 1
		.amdhsa_next_free_sgpr 0
		.amdhsa_accum_offset 4
		.amdhsa_reserve_vcc 0
		.amdhsa_float_round_mode_32 0
		.amdhsa_float_round_mode_16_64 0
		.amdhsa_float_denorm_mode_32 3
		.amdhsa_float_denorm_mode_16_64 3
		.amdhsa_dx10_clamp 1
		.amdhsa_ieee_mode 1
		.amdhsa_fp16_overflow 0
		.amdhsa_tg_split 0
		.amdhsa_exception_fp_ieee_invalid_op 0
		.amdhsa_exception_fp_denorm_src 0
		.amdhsa_exception_fp_ieee_div_zero 0
		.amdhsa_exception_fp_ieee_overflow 0
		.amdhsa_exception_fp_ieee_underflow 0
		.amdhsa_exception_fp_ieee_inexact 0
		.amdhsa_exception_int_div_zero 0
	.end_amdhsa_kernel
	.section	.text._ZN7rocprim17ROCPRIM_400000_NS6detail17trampoline_kernelINS0_14default_configENS1_25partition_config_selectorILNS1_17partition_subalgoE2ExNS0_10empty_typeEbEEZZNS1_14partition_implILS5_2ELb0ES3_jN6thrust23THRUST_200600_302600_NS6detail15normal_iteratorINSA_7pointerIxNSA_11hip_rocprim3tagENSA_11use_defaultESG_EEEEPS6_NSA_18transform_iteratorI7is_evenIxENSC_INSA_10device_ptrIxEEEESG_SG_EENS0_5tupleIJPxSJ_EEENSR_IJSJ_SJ_EEES6_PlJS6_EEE10hipError_tPvRmT3_T4_T5_T6_T7_T9_mT8_P12ihipStream_tbDpT10_ENKUlT_T0_E_clISt17integral_constantIbLb0EES1E_IbLb1EEEEDaS1A_S1B_EUlS1A_E_NS1_11comp_targetILNS1_3genE0ELNS1_11target_archE4294967295ELNS1_3gpuE0ELNS1_3repE0EEENS1_30default_config_static_selectorELNS0_4arch9wavefront6targetE1EEEvT1_,"axG",@progbits,_ZN7rocprim17ROCPRIM_400000_NS6detail17trampoline_kernelINS0_14default_configENS1_25partition_config_selectorILNS1_17partition_subalgoE2ExNS0_10empty_typeEbEEZZNS1_14partition_implILS5_2ELb0ES3_jN6thrust23THRUST_200600_302600_NS6detail15normal_iteratorINSA_7pointerIxNSA_11hip_rocprim3tagENSA_11use_defaultESG_EEEEPS6_NSA_18transform_iteratorI7is_evenIxENSC_INSA_10device_ptrIxEEEESG_SG_EENS0_5tupleIJPxSJ_EEENSR_IJSJ_SJ_EEES6_PlJS6_EEE10hipError_tPvRmT3_T4_T5_T6_T7_T9_mT8_P12ihipStream_tbDpT10_ENKUlT_T0_E_clISt17integral_constantIbLb0EES1E_IbLb1EEEEDaS1A_S1B_EUlS1A_E_NS1_11comp_targetILNS1_3genE0ELNS1_11target_archE4294967295ELNS1_3gpuE0ELNS1_3repE0EEENS1_30default_config_static_selectorELNS0_4arch9wavefront6targetE1EEEvT1_,comdat
.Lfunc_end214:
	.size	_ZN7rocprim17ROCPRIM_400000_NS6detail17trampoline_kernelINS0_14default_configENS1_25partition_config_selectorILNS1_17partition_subalgoE2ExNS0_10empty_typeEbEEZZNS1_14partition_implILS5_2ELb0ES3_jN6thrust23THRUST_200600_302600_NS6detail15normal_iteratorINSA_7pointerIxNSA_11hip_rocprim3tagENSA_11use_defaultESG_EEEEPS6_NSA_18transform_iteratorI7is_evenIxENSC_INSA_10device_ptrIxEEEESG_SG_EENS0_5tupleIJPxSJ_EEENSR_IJSJ_SJ_EEES6_PlJS6_EEE10hipError_tPvRmT3_T4_T5_T6_T7_T9_mT8_P12ihipStream_tbDpT10_ENKUlT_T0_E_clISt17integral_constantIbLb0EES1E_IbLb1EEEEDaS1A_S1B_EUlS1A_E_NS1_11comp_targetILNS1_3genE0ELNS1_11target_archE4294967295ELNS1_3gpuE0ELNS1_3repE0EEENS1_30default_config_static_selectorELNS0_4arch9wavefront6targetE1EEEvT1_, .Lfunc_end214-_ZN7rocprim17ROCPRIM_400000_NS6detail17trampoline_kernelINS0_14default_configENS1_25partition_config_selectorILNS1_17partition_subalgoE2ExNS0_10empty_typeEbEEZZNS1_14partition_implILS5_2ELb0ES3_jN6thrust23THRUST_200600_302600_NS6detail15normal_iteratorINSA_7pointerIxNSA_11hip_rocprim3tagENSA_11use_defaultESG_EEEEPS6_NSA_18transform_iteratorI7is_evenIxENSC_INSA_10device_ptrIxEEEESG_SG_EENS0_5tupleIJPxSJ_EEENSR_IJSJ_SJ_EEES6_PlJS6_EEE10hipError_tPvRmT3_T4_T5_T6_T7_T9_mT8_P12ihipStream_tbDpT10_ENKUlT_T0_E_clISt17integral_constantIbLb0EES1E_IbLb1EEEEDaS1A_S1B_EUlS1A_E_NS1_11comp_targetILNS1_3genE0ELNS1_11target_archE4294967295ELNS1_3gpuE0ELNS1_3repE0EEENS1_30default_config_static_selectorELNS0_4arch9wavefront6targetE1EEEvT1_
                                        ; -- End function
	.section	.AMDGPU.csdata,"",@progbits
; Kernel info:
; codeLenInByte = 0
; NumSgprs: 6
; NumVgprs: 0
; NumAgprs: 0
; TotalNumVgprs: 0
; ScratchSize: 0
; MemoryBound: 0
; FloatMode: 240
; IeeeMode: 1
; LDSByteSize: 0 bytes/workgroup (compile time only)
; SGPRBlocks: 0
; VGPRBlocks: 0
; NumSGPRsForWavesPerEU: 6
; NumVGPRsForWavesPerEU: 1
; AccumOffset: 4
; Occupancy: 8
; WaveLimiterHint : 0
; COMPUTE_PGM_RSRC2:SCRATCH_EN: 0
; COMPUTE_PGM_RSRC2:USER_SGPR: 2
; COMPUTE_PGM_RSRC2:TRAP_HANDLER: 0
; COMPUTE_PGM_RSRC2:TGID_X_EN: 1
; COMPUTE_PGM_RSRC2:TGID_Y_EN: 0
; COMPUTE_PGM_RSRC2:TGID_Z_EN: 0
; COMPUTE_PGM_RSRC2:TIDIG_COMP_CNT: 0
; COMPUTE_PGM_RSRC3_GFX90A:ACCUM_OFFSET: 0
; COMPUTE_PGM_RSRC3_GFX90A:TG_SPLIT: 0
	.section	.text._ZN7rocprim17ROCPRIM_400000_NS6detail17trampoline_kernelINS0_14default_configENS1_25partition_config_selectorILNS1_17partition_subalgoE2ExNS0_10empty_typeEbEEZZNS1_14partition_implILS5_2ELb0ES3_jN6thrust23THRUST_200600_302600_NS6detail15normal_iteratorINSA_7pointerIxNSA_11hip_rocprim3tagENSA_11use_defaultESG_EEEEPS6_NSA_18transform_iteratorI7is_evenIxENSC_INSA_10device_ptrIxEEEESG_SG_EENS0_5tupleIJPxSJ_EEENSR_IJSJ_SJ_EEES6_PlJS6_EEE10hipError_tPvRmT3_T4_T5_T6_T7_T9_mT8_P12ihipStream_tbDpT10_ENKUlT_T0_E_clISt17integral_constantIbLb0EES1E_IbLb1EEEEDaS1A_S1B_EUlS1A_E_NS1_11comp_targetILNS1_3genE5ELNS1_11target_archE942ELNS1_3gpuE9ELNS1_3repE0EEENS1_30default_config_static_selectorELNS0_4arch9wavefront6targetE1EEEvT1_,"axG",@progbits,_ZN7rocprim17ROCPRIM_400000_NS6detail17trampoline_kernelINS0_14default_configENS1_25partition_config_selectorILNS1_17partition_subalgoE2ExNS0_10empty_typeEbEEZZNS1_14partition_implILS5_2ELb0ES3_jN6thrust23THRUST_200600_302600_NS6detail15normal_iteratorINSA_7pointerIxNSA_11hip_rocprim3tagENSA_11use_defaultESG_EEEEPS6_NSA_18transform_iteratorI7is_evenIxENSC_INSA_10device_ptrIxEEEESG_SG_EENS0_5tupleIJPxSJ_EEENSR_IJSJ_SJ_EEES6_PlJS6_EEE10hipError_tPvRmT3_T4_T5_T6_T7_T9_mT8_P12ihipStream_tbDpT10_ENKUlT_T0_E_clISt17integral_constantIbLb0EES1E_IbLb1EEEEDaS1A_S1B_EUlS1A_E_NS1_11comp_targetILNS1_3genE5ELNS1_11target_archE942ELNS1_3gpuE9ELNS1_3repE0EEENS1_30default_config_static_selectorELNS0_4arch9wavefront6targetE1EEEvT1_,comdat
	.protected	_ZN7rocprim17ROCPRIM_400000_NS6detail17trampoline_kernelINS0_14default_configENS1_25partition_config_selectorILNS1_17partition_subalgoE2ExNS0_10empty_typeEbEEZZNS1_14partition_implILS5_2ELb0ES3_jN6thrust23THRUST_200600_302600_NS6detail15normal_iteratorINSA_7pointerIxNSA_11hip_rocprim3tagENSA_11use_defaultESG_EEEEPS6_NSA_18transform_iteratorI7is_evenIxENSC_INSA_10device_ptrIxEEEESG_SG_EENS0_5tupleIJPxSJ_EEENSR_IJSJ_SJ_EEES6_PlJS6_EEE10hipError_tPvRmT3_T4_T5_T6_T7_T9_mT8_P12ihipStream_tbDpT10_ENKUlT_T0_E_clISt17integral_constantIbLb0EES1E_IbLb1EEEEDaS1A_S1B_EUlS1A_E_NS1_11comp_targetILNS1_3genE5ELNS1_11target_archE942ELNS1_3gpuE9ELNS1_3repE0EEENS1_30default_config_static_selectorELNS0_4arch9wavefront6targetE1EEEvT1_ ; -- Begin function _ZN7rocprim17ROCPRIM_400000_NS6detail17trampoline_kernelINS0_14default_configENS1_25partition_config_selectorILNS1_17partition_subalgoE2ExNS0_10empty_typeEbEEZZNS1_14partition_implILS5_2ELb0ES3_jN6thrust23THRUST_200600_302600_NS6detail15normal_iteratorINSA_7pointerIxNSA_11hip_rocprim3tagENSA_11use_defaultESG_EEEEPS6_NSA_18transform_iteratorI7is_evenIxENSC_INSA_10device_ptrIxEEEESG_SG_EENS0_5tupleIJPxSJ_EEENSR_IJSJ_SJ_EEES6_PlJS6_EEE10hipError_tPvRmT3_T4_T5_T6_T7_T9_mT8_P12ihipStream_tbDpT10_ENKUlT_T0_E_clISt17integral_constantIbLb0EES1E_IbLb1EEEEDaS1A_S1B_EUlS1A_E_NS1_11comp_targetILNS1_3genE5ELNS1_11target_archE942ELNS1_3gpuE9ELNS1_3repE0EEENS1_30default_config_static_selectorELNS0_4arch9wavefront6targetE1EEEvT1_
	.globl	_ZN7rocprim17ROCPRIM_400000_NS6detail17trampoline_kernelINS0_14default_configENS1_25partition_config_selectorILNS1_17partition_subalgoE2ExNS0_10empty_typeEbEEZZNS1_14partition_implILS5_2ELb0ES3_jN6thrust23THRUST_200600_302600_NS6detail15normal_iteratorINSA_7pointerIxNSA_11hip_rocprim3tagENSA_11use_defaultESG_EEEEPS6_NSA_18transform_iteratorI7is_evenIxENSC_INSA_10device_ptrIxEEEESG_SG_EENS0_5tupleIJPxSJ_EEENSR_IJSJ_SJ_EEES6_PlJS6_EEE10hipError_tPvRmT3_T4_T5_T6_T7_T9_mT8_P12ihipStream_tbDpT10_ENKUlT_T0_E_clISt17integral_constantIbLb0EES1E_IbLb1EEEEDaS1A_S1B_EUlS1A_E_NS1_11comp_targetILNS1_3genE5ELNS1_11target_archE942ELNS1_3gpuE9ELNS1_3repE0EEENS1_30default_config_static_selectorELNS0_4arch9wavefront6targetE1EEEvT1_
	.p2align	8
	.type	_ZN7rocprim17ROCPRIM_400000_NS6detail17trampoline_kernelINS0_14default_configENS1_25partition_config_selectorILNS1_17partition_subalgoE2ExNS0_10empty_typeEbEEZZNS1_14partition_implILS5_2ELb0ES3_jN6thrust23THRUST_200600_302600_NS6detail15normal_iteratorINSA_7pointerIxNSA_11hip_rocprim3tagENSA_11use_defaultESG_EEEEPS6_NSA_18transform_iteratorI7is_evenIxENSC_INSA_10device_ptrIxEEEESG_SG_EENS0_5tupleIJPxSJ_EEENSR_IJSJ_SJ_EEES6_PlJS6_EEE10hipError_tPvRmT3_T4_T5_T6_T7_T9_mT8_P12ihipStream_tbDpT10_ENKUlT_T0_E_clISt17integral_constantIbLb0EES1E_IbLb1EEEEDaS1A_S1B_EUlS1A_E_NS1_11comp_targetILNS1_3genE5ELNS1_11target_archE942ELNS1_3gpuE9ELNS1_3repE0EEENS1_30default_config_static_selectorELNS0_4arch9wavefront6targetE1EEEvT1_,@function
_ZN7rocprim17ROCPRIM_400000_NS6detail17trampoline_kernelINS0_14default_configENS1_25partition_config_selectorILNS1_17partition_subalgoE2ExNS0_10empty_typeEbEEZZNS1_14partition_implILS5_2ELb0ES3_jN6thrust23THRUST_200600_302600_NS6detail15normal_iteratorINSA_7pointerIxNSA_11hip_rocprim3tagENSA_11use_defaultESG_EEEEPS6_NSA_18transform_iteratorI7is_evenIxENSC_INSA_10device_ptrIxEEEESG_SG_EENS0_5tupleIJPxSJ_EEENSR_IJSJ_SJ_EEES6_PlJS6_EEE10hipError_tPvRmT3_T4_T5_T6_T7_T9_mT8_P12ihipStream_tbDpT10_ENKUlT_T0_E_clISt17integral_constantIbLb0EES1E_IbLb1EEEEDaS1A_S1B_EUlS1A_E_NS1_11comp_targetILNS1_3genE5ELNS1_11target_archE942ELNS1_3gpuE9ELNS1_3repE0EEENS1_30default_config_static_selectorELNS0_4arch9wavefront6targetE1EEEvT1_: ; @_ZN7rocprim17ROCPRIM_400000_NS6detail17trampoline_kernelINS0_14default_configENS1_25partition_config_selectorILNS1_17partition_subalgoE2ExNS0_10empty_typeEbEEZZNS1_14partition_implILS5_2ELb0ES3_jN6thrust23THRUST_200600_302600_NS6detail15normal_iteratorINSA_7pointerIxNSA_11hip_rocprim3tagENSA_11use_defaultESG_EEEEPS6_NSA_18transform_iteratorI7is_evenIxENSC_INSA_10device_ptrIxEEEESG_SG_EENS0_5tupleIJPxSJ_EEENSR_IJSJ_SJ_EEES6_PlJS6_EEE10hipError_tPvRmT3_T4_T5_T6_T7_T9_mT8_P12ihipStream_tbDpT10_ENKUlT_T0_E_clISt17integral_constantIbLb0EES1E_IbLb1EEEEDaS1A_S1B_EUlS1A_E_NS1_11comp_targetILNS1_3genE5ELNS1_11target_archE942ELNS1_3gpuE9ELNS1_3repE0EEENS1_30default_config_static_selectorELNS0_4arch9wavefront6targetE1EEEvT1_
; %bb.0:
	s_load_dwordx2 s[2:3], s[0:1], 0x20
	s_load_dwordx2 s[28:29], s[0:1], 0x30
	;; [unrolled: 1-line block ×3, first 2 shown]
	s_load_dwordx4 s[20:23], s[0:1], 0x50
	s_load_dwordx2 s[36:37], s[0:1], 0x70
	v_cmp_eq_u32_e64 s[18:19], 0, v0
	s_and_saveexec_b64 s[4:5], s[18:19]
	s_cbranch_execz .LBB215_4
; %bb.1:
	s_mov_b64 s[8:9], exec
	v_mbcnt_lo_u32_b32 v1, s8, 0
	v_mbcnt_hi_u32_b32 v1, s9, v1
	v_cmp_eq_u32_e32 vcc, 0, v1
                                        ; implicit-def: $vgpr2
	s_and_saveexec_b64 s[6:7], vcc
	s_cbranch_execz .LBB215_3
; %bb.2:
	s_load_dwordx2 s[10:11], s[0:1], 0x80
	s_bcnt1_i32_b64 s8, s[8:9]
	v_mov_b32_e32 v2, 0
	v_mov_b32_e32 v3, s8
	s_waitcnt lgkmcnt(0)
	global_atomic_add v2, v2, v3, s[10:11] sc0
.LBB215_3:
	s_or_b64 exec, exec, s[6:7]
	s_waitcnt vmcnt(0)
	v_readfirstlane_b32 s6, v2
	v_mov_b32_e32 v2, 0
	s_nop 0
	v_add_u32_e32 v1, s6, v1
	ds_write_b32 v2, v1
.LBB215_4:
	s_or_b64 exec, exec, s[4:5]
	v_mov_b32_e32 v19, 0
	s_load_dwordx4 s[24:27], s[0:1], 0x8
	s_load_dword s6, s[0:1], 0x78
	s_waitcnt lgkmcnt(0)
	s_barrier
	ds_read_b32 v1, v19
	s_waitcnt lgkmcnt(0)
	s_barrier
	global_load_dwordx2 v[20:21], v19, s[22:23]
	s_lshl_b64 s[4:5], s[26:27], 3
	s_add_u32 s8, s24, s4
	s_mul_i32 s0, s6, 0xe00
	s_addc_u32 s9, s25, s5
	s_add_i32 s1, s0, s26
	s_sub_i32 s33, s30, s1
	s_add_i32 s7, s6, -1
	s_addk_i32 s33, 0xe00
	s_add_u32 s0, s26, s0
	v_readfirstlane_b32 s42, v1
	s_addc_u32 s1, s27, 0
	s_cmp_eq_u32 s42, s7
	v_mov_b64_e32 v[2:3], s[30:31]
	s_cselect_b64 s[22:23], -1, 0
	s_cmp_lg_u32 s42, s7
	s_mul_i32 s24, s42, 0xe00
	s_mov_b32 s25, 0
	v_cmp_lt_u64_e32 vcc, s[0:1], v[2:3]
	s_cselect_b64 s[0:1], -1, 0
	s_or_b64 s[34:35], vcc, s[0:1]
	s_lshl_b64 s[6:7], s[24:25], 3
	s_add_u32 s8, s8, s6
	s_addc_u32 s9, s9, s7
	s_mov_b64 s[0:1], -1
	s_and_b64 vcc, exec, s[34:35]
	v_lshlrev_b32_e32 v18, 3, v0
	s_cbranch_vccz .LBB215_6
; %bb.5:
	v_lshl_add_u64 v[2:3], s[8:9], 0, v[18:19]
	v_add_co_u32_e32 v4, vcc, 0x1000, v2
	s_mov_b64 s[0:1], 0
	s_nop 0
	v_addc_co_u32_e32 v5, vcc, 0, v3, vcc
	v_add_co_u32_e32 v6, vcc, 0x2000, v2
	s_nop 1
	v_addc_co_u32_e32 v7, vcc, 0, v3, vcc
	v_add_co_u32_e32 v8, vcc, 0x3000, v2
	s_nop 1
	v_addc_co_u32_e32 v9, vcc, 0, v3, vcc
	flat_load_dwordx2 v[10:11], v[2:3]
	flat_load_dwordx2 v[12:13], v[4:5]
	;; [unrolled: 1-line block ×4, first 2 shown]
	v_add_co_u32_e32 v4, vcc, 0x4000, v2
	s_nop 1
	v_addc_co_u32_e32 v5, vcc, 0, v3, vcc
	v_add_co_u32_e32 v6, vcc, 0x5000, v2
	s_nop 1
	v_addc_co_u32_e32 v7, vcc, 0, v3, vcc
	;; [unrolled: 3-line block ×3, first 2 shown]
	flat_load_dwordx2 v[8:9], v[4:5]
	flat_load_dwordx2 v[22:23], v[6:7]
	;; [unrolled: 1-line block ×3, first 2 shown]
	s_waitcnt vmcnt(0) lgkmcnt(0)
	ds_write2st64_b64 v18, v[10:11], v[12:13] offset1:8
	ds_write2st64_b64 v18, v[14:15], v[16:17] offset0:16 offset1:24
	ds_write2st64_b64 v18, v[8:9], v[22:23] offset0:32 offset1:40
	ds_write_b64 v18, v[24:25] offset:24576
	s_waitcnt lgkmcnt(0)
	s_barrier
.LBB215_6:
	s_andn2_b64 vcc, exec, s[0:1]
	v_cmp_gt_u32_e64 s[0:1], s33, v0
	s_cbranch_vccnz .LBB215_22
; %bb.7:
                                        ; implicit-def: $vgpr2_vgpr3_vgpr4_vgpr5_vgpr6_vgpr7_vgpr8_vgpr9_vgpr10_vgpr11_vgpr12_vgpr13_vgpr14_vgpr15_vgpr16_vgpr17
	s_and_saveexec_b64 s[10:11], s[0:1]
	s_cbranch_execz .LBB215_9
; %bb.8:
	v_mov_b32_e32 v19, 0
	v_lshl_add_u64 v[2:3], s[8:9], 0, v[18:19]
	flat_load_dwordx2 v[2:3], v[2:3]
.LBB215_9:
	s_or_b64 exec, exec, s[10:11]
	v_or_b32_e32 v1, 0x200, v0
	v_cmp_gt_u32_e32 vcc, s33, v1
	s_and_saveexec_b64 s[0:1], vcc
	s_cbranch_execz .LBB215_11
; %bb.10:
	v_lshlrev_b32_e32 v4, 3, v1
	v_mov_b32_e32 v5, 0
	v_lshl_add_u64 v[4:5], s[8:9], 0, v[4:5]
	flat_load_dwordx2 v[4:5], v[4:5]
.LBB215_11:
	s_or_b64 exec, exec, s[0:1]
	v_or_b32_e32 v1, 0x400, v0
	v_cmp_gt_u32_e32 vcc, s33, v1
	s_and_saveexec_b64 s[0:1], vcc
	s_cbranch_execz .LBB215_13
; %bb.12:
	v_lshlrev_b32_e32 v6, 3, v1
	v_mov_b32_e32 v7, 0
	v_lshl_add_u64 v[6:7], s[8:9], 0, v[6:7]
	flat_load_dwordx2 v[6:7], v[6:7]
.LBB215_13:
	s_or_b64 exec, exec, s[0:1]
	v_or_b32_e32 v1, 0x600, v0
	v_cmp_gt_u32_e32 vcc, s33, v1
	s_and_saveexec_b64 s[0:1], vcc
	s_cbranch_execz .LBB215_15
; %bb.14:
	v_lshlrev_b32_e32 v8, 3, v1
	v_mov_b32_e32 v9, 0
	v_lshl_add_u64 v[8:9], s[8:9], 0, v[8:9]
	flat_load_dwordx2 v[8:9], v[8:9]
.LBB215_15:
	s_or_b64 exec, exec, s[0:1]
	v_or_b32_e32 v1, 0x800, v0
	v_cmp_gt_u32_e32 vcc, s33, v1
	s_and_saveexec_b64 s[0:1], vcc
	s_cbranch_execz .LBB215_17
; %bb.16:
	v_lshlrev_b32_e32 v10, 3, v1
	v_mov_b32_e32 v11, 0
	v_lshl_add_u64 v[10:11], s[8:9], 0, v[10:11]
	flat_load_dwordx2 v[10:11], v[10:11]
.LBB215_17:
	s_or_b64 exec, exec, s[0:1]
	v_or_b32_e32 v1, 0xa00, v0
	v_cmp_gt_u32_e32 vcc, s33, v1
	s_and_saveexec_b64 s[0:1], vcc
	s_cbranch_execz .LBB215_19
; %bb.18:
	v_lshlrev_b32_e32 v12, 3, v1
	v_mov_b32_e32 v13, 0
	v_lshl_add_u64 v[12:13], s[8:9], 0, v[12:13]
	flat_load_dwordx2 v[12:13], v[12:13]
.LBB215_19:
	s_or_b64 exec, exec, s[0:1]
	v_or_b32_e32 v1, 0xc00, v0
	v_cmp_gt_u32_e32 vcc, s33, v1
	s_and_saveexec_b64 s[0:1], vcc
	s_cbranch_execz .LBB215_21
; %bb.20:
	v_lshlrev_b32_e32 v14, 3, v1
	v_mov_b32_e32 v15, 0
	v_lshl_add_u64 v[14:15], s[8:9], 0, v[14:15]
	flat_load_dwordx2 v[14:15], v[14:15]
.LBB215_21:
	s_or_b64 exec, exec, s[0:1]
	s_waitcnt vmcnt(0) lgkmcnt(0)
	ds_write2st64_b64 v18, v[2:3], v[4:5] offset1:8
	ds_write2st64_b64 v18, v[6:7], v[8:9] offset0:16 offset1:24
	ds_write2st64_b64 v18, v[10:11], v[12:13] offset0:32 offset1:40
	ds_write_b64 v18, v[14:15] offset:24576
	s_waitcnt lgkmcnt(0)
	s_barrier
.LBB215_22:
	v_mul_u32_u24_e32 v1, 7, v0
	v_lshlrev_b32_e32 v16, 3, v1
	ds_read2_b64 v[10:13], v16 offset1:1
	ds_read2_b64 v[6:9], v16 offset0:2 offset1:3
	ds_read2_b64 v[2:5], v16 offset0:4 offset1:5
	ds_read_b64 v[14:15], v16 offset:48
	s_add_u32 s0, s2, s4
	s_addc_u32 s1, s3, s5
	s_add_u32 s0, s0, s6
	s_addc_u32 s1, s1, s7
	s_mov_b64 s[2:3], -1
	s_and_b64 vcc, exec, s[34:35]
	s_waitcnt lgkmcnt(0)
	s_barrier
	s_cbranch_vccz .LBB215_24
; %bb.23:
	v_mov_b32_e32 v19, 0
	v_lshl_add_u64 v[22:23], s[0:1], 0, v[18:19]
	v_add_co_u32_e32 v26, vcc, 0x1000, v22
	global_load_dwordx2 v[24:25], v18, s[0:1]
	s_nop 0
	v_addc_co_u32_e32 v27, vcc, 0, v23, vcc
	v_add_co_u32_e32 v28, vcc, 0x2000, v22
	s_mov_b64 s[2:3], 0
	s_nop 0
	v_addc_co_u32_e32 v29, vcc, 0, v23, vcc
	v_add_co_u32_e32 v30, vcc, 0x3000, v22
	s_waitcnt vmcnt(0)
	v_xor_b32_e32 v17, -1, v24
	v_addc_co_u32_e32 v31, vcc, 0, v23, vcc
	v_add_co_u32_e32 v32, vcc, 0x4000, v22
	v_and_b32_e32 v17, 1, v17
	s_nop 0
	v_addc_co_u32_e32 v33, vcc, 0, v23, vcc
	global_load_dwordx2 v[34:35], v[26:27], off
	global_load_dwordx2 v[36:37], v[28:29], off
	;; [unrolled: 1-line block ×4, first 2 shown]
	v_add_co_u32_e32 v26, vcc, 0x5000, v22
	ds_write_b8 v0, v17
	s_nop 0
	v_addc_co_u32_e32 v27, vcc, 0, v23, vcc
	v_add_co_u32_e32 v22, vcc, 0x6000, v22
	global_load_dwordx2 v[26:27], v[26:27], off
	s_nop 0
	v_addc_co_u32_e32 v23, vcc, 0, v23, vcc
	global_load_dwordx2 v[22:23], v[22:23], off
	s_waitcnt vmcnt(5)
	v_xor_b32_e32 v17, -1, v34
	v_and_b32_e32 v17, 1, v17
	s_waitcnt vmcnt(4)
	v_xor_b32_e32 v19, -1, v36
	s_waitcnt vmcnt(0)
	v_xor_b32_e32 v23, -1, v38
	v_and_b32_e32 v19, 1, v19
	ds_write_b8 v0, v17 offset:512
	v_and_b32_e32 v17, 1, v23
	v_xor_b32_e32 v23, -1, v40
	ds_write_b8 v0, v19 offset:1024
	v_and_b32_e32 v19, 1, v23
	ds_write_b8 v0, v17 offset:1536
	v_xor_b32_e32 v23, -1, v26
	v_and_b32_e32 v17, 1, v23
	ds_write_b8 v0, v19 offset:2048
	v_xor_b32_e32 v22, -1, v22
	v_and_b32_e32 v19, 1, v22
	ds_write_b8 v0, v17 offset:2560
	ds_write_b8 v0, v19 offset:3072
	s_waitcnt lgkmcnt(0)
	s_barrier
.LBB215_24:
	s_andn2_b64 vcc, exec, s[2:3]
	s_cbranch_vccnz .LBB215_40
; %bb.25:
	v_cmp_gt_u32_e32 vcc, s33, v0
	v_mov_b32_e32 v17, 0
	v_mov_b32_e32 v19, 0
	s_and_saveexec_b64 s[2:3], vcc
	s_cbranch_execz .LBB215_27
; %bb.26:
	global_load_dwordx2 v[22:23], v18, s[0:1]
	s_waitcnt vmcnt(0)
	v_xor_b32_e32 v19, -1, v22
	v_and_b32_e32 v19, 1, v19
.LBB215_27:
	s_or_b64 exec, exec, s[2:3]
	v_or_b32_e32 v22, 0x200, v0
	v_cmp_gt_u32_e32 vcc, s33, v22
	s_and_saveexec_b64 s[2:3], vcc
	s_cbranch_execz .LBB215_29
; %bb.28:
	v_lshlrev_b32_e32 v17, 3, v22
	global_load_dwordx2 v[22:23], v17, s[0:1]
	s_waitcnt vmcnt(0)
	v_xor_b32_e32 v17, -1, v22
	v_and_b32_e32 v17, 1, v17
.LBB215_29:
	s_or_b64 exec, exec, s[2:3]
	v_or_b32_e32 v24, 0x400, v0
	v_cmp_gt_u32_e32 vcc, s33, v24
	v_mov_b32_e32 v22, 0
	v_mov_b32_e32 v23, 0
	s_and_saveexec_b64 s[2:3], vcc
	s_cbranch_execz .LBB215_31
; %bb.30:
	v_lshlrev_b32_e32 v23, 3, v24
	global_load_dwordx2 v[24:25], v23, s[0:1]
	s_waitcnt vmcnt(0)
	v_xor_b32_e32 v23, -1, v24
	v_and_b32_e32 v23, 1, v23
.LBB215_31:
	s_or_b64 exec, exec, s[2:3]
	v_or_b32_e32 v24, 0x600, v0
	v_cmp_gt_u32_e32 vcc, s33, v24
	s_and_saveexec_b64 s[2:3], vcc
	s_cbranch_execz .LBB215_33
; %bb.32:
	v_lshlrev_b32_e32 v22, 3, v24
	global_load_dwordx2 v[24:25], v22, s[0:1]
	s_waitcnt vmcnt(0)
	v_xor_b32_e32 v22, -1, v24
	v_and_b32_e32 v22, 1, v22
.LBB215_33:
	s_or_b64 exec, exec, s[2:3]
	v_or_b32_e32 v26, 0x800, v0
	v_cmp_gt_u32_e32 vcc, s33, v26
	v_mov_b32_e32 v24, 0
	v_mov_b32_e32 v25, 0
	s_and_saveexec_b64 s[2:3], vcc
	s_cbranch_execz .LBB215_35
; %bb.34:
	v_lshlrev_b32_e32 v25, 3, v26
	global_load_dwordx2 v[26:27], v25, s[0:1]
	s_waitcnt vmcnt(0)
	v_xor_b32_e32 v25, -1, v26
	v_and_b32_e32 v25, 1, v25
.LBB215_35:
	s_or_b64 exec, exec, s[2:3]
	v_or_b32_e32 v26, 0xa00, v0
	v_cmp_gt_u32_e32 vcc, s33, v26
	s_and_saveexec_b64 s[2:3], vcc
	s_cbranch_execz .LBB215_37
; %bb.36:
	v_lshlrev_b32_e32 v24, 3, v26
	global_load_dwordx2 v[26:27], v24, s[0:1]
	s_waitcnt vmcnt(0)
	v_xor_b32_e32 v24, -1, v26
	v_and_b32_e32 v24, 1, v24
.LBB215_37:
	s_or_b64 exec, exec, s[2:3]
	v_or_b32_e32 v27, 0xc00, v0
	v_cmp_gt_u32_e32 vcc, s33, v27
	v_mov_b32_e32 v26, 0
	s_and_saveexec_b64 s[2:3], vcc
	s_cbranch_execz .LBB215_39
; %bb.38:
	v_lshlrev_b32_e32 v26, 3, v27
	global_load_dwordx2 v[26:27], v26, s[0:1]
	s_waitcnt vmcnt(0)
	v_xor_b32_e32 v26, -1, v26
	v_and_b32_e32 v26, 1, v26
.LBB215_39:
	s_or_b64 exec, exec, s[2:3]
	ds_write_b8 v0, v19
	ds_write_b8 v0, v17 offset:512
	ds_write_b8 v0, v23 offset:1024
	;; [unrolled: 1-line block ×6, first 2 shown]
	s_waitcnt lgkmcnt(0)
	s_barrier
.LBB215_40:
	s_movk_i32 s0, 0xffcf
	v_mad_i32_i24 v38, v0, s0, v16
	ds_read_u8 v16, v38
	ds_read_u8 v17, v38 offset:1
	ds_read_u8 v19, v38 offset:2
	;; [unrolled: 1-line block ×6, first 2 shown]
	s_waitcnt lgkmcnt(6)
	v_and_b32_e32 v36, 1, v16
	s_waitcnt lgkmcnt(5)
	v_and_b32_e32 v35, 1, v17
	;; [unrolled: 2-line block ×5, first 2 shown]
	v_add3_u32 v16, v35, v36, v33
	s_waitcnt lgkmcnt(1)
	v_and_b32_e32 v30, 1, v24
	s_waitcnt lgkmcnt(0)
	v_and_b32_e32 v19, 1, v25
	v_add3_u32 v16, v16, v32, v31
	v_add3_u32 v40, v16, v30, v19
	v_mbcnt_lo_u32_b32 v16, -1, 0
	v_mbcnt_hi_u32_b32 v37, -1, v16
	v_and_b32_e32 v16, 15, v37
	v_cmp_eq_u32_e64 s[14:15], 0, v16
	v_cmp_lt_u32_e64 s[12:13], 1, v16
	v_cmp_lt_u32_e64 s[10:11], 3, v16
	;; [unrolled: 1-line block ×3, first 2 shown]
	v_and_b32_e32 v16, 16, v37
	v_cmp_eq_u32_e64 s[6:7], 0, v16
	v_or_b32_e32 v16, 63, v0
	s_cmp_lg_u32 s42, 0
	v_cmp_lt_u32_e64 s[2:3], 31, v37
	v_lshrrev_b32_e32 v39, 6, v0
	v_cmp_eq_u32_e64 s[4:5], v16, v0
	s_barrier
	s_cbranch_scc0 .LBB215_67
; %bb.41:
	v_mov_b32_dpp v16, v40 row_shr:1 row_mask:0xf bank_mask:0xf
	v_cndmask_b32_e64 v16, v16, 0, s[14:15]
	v_add_u32_e32 v16, v16, v40
	s_nop 1
	v_mov_b32_dpp v17, v16 row_shr:2 row_mask:0xf bank_mask:0xf
	v_cndmask_b32_e64 v17, 0, v17, s[12:13]
	v_add_u32_e32 v16, v16, v17
	s_nop 1
	;; [unrolled: 4-line block ×4, first 2 shown]
	v_mov_b32_dpp v17, v16 row_bcast:15 row_mask:0xf bank_mask:0xf
	v_cndmask_b32_e64 v17, v17, 0, s[6:7]
	v_add_u32_e32 v16, v16, v17
	s_nop 1
	v_mov_b32_dpp v17, v16 row_bcast:31 row_mask:0xf bank_mask:0xf
	v_cndmask_b32_e64 v17, 0, v17, s[2:3]
	v_add_u32_e32 v16, v16, v17
	s_and_saveexec_b64 s[0:1], s[4:5]
	s_cbranch_execz .LBB215_43
; %bb.42:
	v_lshlrev_b32_e32 v17, 2, v39
	ds_write_b32 v17, v16
.LBB215_43:
	s_or_b64 exec, exec, s[0:1]
	v_cmp_gt_u32_e32 vcc, 8, v0
	s_waitcnt lgkmcnt(0)
	s_barrier
	s_and_saveexec_b64 s[0:1], vcc
	s_cbranch_execz .LBB215_45
; %bb.44:
	v_lshlrev_b32_e32 v17, 2, v0
	ds_read_b32 v22, v17
	v_and_b32_e32 v23, 7, v37
	v_cmp_ne_u32_e32 vcc, 0, v23
	s_waitcnt lgkmcnt(0)
	v_mov_b32_dpp v24, v22 row_shr:1 row_mask:0xf bank_mask:0xf
	v_cndmask_b32_e32 v24, 0, v24, vcc
	v_add_u32_e32 v22, v24, v22
	v_cmp_lt_u32_e32 vcc, 1, v23
	s_nop 0
	v_mov_b32_dpp v24, v22 row_shr:2 row_mask:0xf bank_mask:0xf
	v_cndmask_b32_e32 v24, 0, v24, vcc
	v_add_u32_e32 v22, v22, v24
	v_cmp_lt_u32_e32 vcc, 3, v23
	s_nop 0
	v_mov_b32_dpp v24, v22 row_shr:4 row_mask:0xf bank_mask:0xf
	v_cndmask_b32_e32 v23, 0, v24, vcc
	v_add_u32_e32 v22, v22, v23
	ds_write_b32 v17, v22
.LBB215_45:
	s_or_b64 exec, exec, s[0:1]
	v_cmp_gt_u32_e32 vcc, 64, v0
	v_cmp_lt_u32_e64 s[0:1], 63, v0
	s_waitcnt lgkmcnt(0)
	s_barrier
	s_waitcnt lgkmcnt(0)
                                        ; implicit-def: $vgpr34
	s_and_saveexec_b64 s[16:17], s[0:1]
	s_cbranch_execz .LBB215_47
; %bb.46:
	v_lshl_add_u32 v17, v39, 2, -4
	ds_read_b32 v34, v17
	s_waitcnt lgkmcnt(0)
	v_add_u32_e32 v16, v34, v16
.LBB215_47:
	s_or_b64 exec, exec, s[16:17]
	v_add_u32_e32 v17, -1, v37
	v_and_b32_e32 v22, 64, v37
	v_cmp_lt_i32_e64 s[0:1], v17, v22
	v_cmp_eq_u32_e64 s[16:17], 0, v37
	s_nop 0
	v_cndmask_b32_e64 v17, v17, v37, s[0:1]
	v_lshlrev_b32_e32 v17, 2, v17
	ds_bpermute_b32 v41, v17, v16
	s_and_saveexec_b64 s[0:1], vcc
	s_cbranch_execz .LBB215_66
; %bb.48:
	v_mov_b32_e32 v27, 0
	ds_read_b32 v16, v27 offset:28
	s_and_saveexec_b64 s[38:39], s[16:17]
	s_cbranch_execz .LBB215_50
; %bb.49:
	s_add_i32 s40, s42, 64
	s_mov_b32 s41, 0
	s_lshl_b64 s[40:41], s[40:41], 3
	s_add_u32 s40, s36, s40
	v_mov_b32_e32 v17, 1
	s_addc_u32 s41, s37, s41
	s_waitcnt lgkmcnt(0)
	global_store_dwordx2 v27, v[16:17], s[40:41] sc1
.LBB215_50:
	s_or_b64 exec, exec, s[38:39]
	v_xad_u32 v22, v37, -1, s42
	v_add_u32_e32 v26, 64, v22
	v_lshl_add_u64 v[28:29], v[26:27], 3, s[36:37]
	global_load_dwordx2 v[24:25], v[28:29], off sc1
	s_waitcnt vmcnt(0)
	v_cmp_eq_u16_sdwa s[40:41], v25, v27 src0_sel:BYTE_0 src1_sel:DWORD
	s_and_saveexec_b64 s[38:39], s[40:41]
	s_cbranch_execz .LBB215_54
; %bb.51:
	s_mov_b64 s[40:41], 0
	v_mov_b32_e32 v17, 0
.LBB215_52:                             ; =>This Inner Loop Header: Depth=1
	global_load_dwordx2 v[24:25], v[28:29], off sc1
	s_waitcnt vmcnt(0)
	v_cmp_ne_u16_sdwa s[44:45], v25, v17 src0_sel:BYTE_0 src1_sel:DWORD
	s_or_b64 s[40:41], s[44:45], s[40:41]
	s_andn2_b64 exec, exec, s[40:41]
	s_cbranch_execnz .LBB215_52
; %bb.53:
	s_or_b64 exec, exec, s[40:41]
.LBB215_54:
	s_or_b64 exec, exec, s[38:39]
	v_and_b32_e32 v43, 63, v37
	v_mov_b32_e32 v42, 2
	v_cmp_ne_u32_e32 vcc, 63, v43
	v_cmp_eq_u16_sdwa s[38:39], v25, v42 src0_sel:BYTE_0 src1_sel:DWORD
	v_lshlrev_b64 v[26:27], v37, -1
	v_addc_co_u32_e32 v28, vcc, 0, v37, vcc
	v_and_b32_e32 v17, s39, v27
	v_lshlrev_b32_e32 v44, 2, v28
	v_or_b32_e32 v17, 0x80000000, v17
	ds_bpermute_b32 v28, v44, v24
	v_and_b32_e32 v23, s38, v26
	v_ffbl_b32_e32 v17, v17
	v_add_u32_e32 v17, 32, v17
	v_ffbl_b32_e32 v23, v23
	v_min_u32_e32 v17, v23, v17
	v_cmp_lt_u32_e32 vcc, v43, v17
	v_add_u32_e32 v46, 2, v43
	v_add_u32_e32 v48, 4, v43
	s_waitcnt lgkmcnt(0)
	v_cndmask_b32_e32 v23, 0, v28, vcc
	v_cmp_gt_u32_e32 vcc, 62, v43
	v_add_u32_e32 v23, v23, v24
	v_add_u32_e32 v50, 8, v43
	v_cndmask_b32_e64 v24, 0, 1, vcc
	v_lshlrev_b32_e32 v24, 1, v24
	v_add_lshl_u32 v45, v24, v37, 2
	ds_bpermute_b32 v24, v45, v23
	v_cmp_le_u32_e32 vcc, v46, v17
	v_add_u32_e32 v52, 16, v43
	v_add_u32_e32 v54, 32, v43
	s_waitcnt lgkmcnt(0)
	v_cndmask_b32_e32 v24, 0, v24, vcc
	v_cmp_gt_u32_e32 vcc, 60, v43
	v_add_u32_e32 v23, v23, v24
	s_nop 0
	v_cndmask_b32_e64 v24, 0, 1, vcc
	v_lshlrev_b32_e32 v24, 2, v24
	v_add_lshl_u32 v47, v24, v37, 2
	ds_bpermute_b32 v24, v47, v23
	v_cmp_le_u32_e32 vcc, v48, v17
	s_waitcnt lgkmcnt(0)
	s_nop 0
	v_cndmask_b32_e32 v24, 0, v24, vcc
	v_cmp_gt_u32_e32 vcc, 56, v43
	v_add_u32_e32 v23, v23, v24
	s_nop 0
	v_cndmask_b32_e64 v24, 0, 1, vcc
	v_lshlrev_b32_e32 v24, 3, v24
	v_add_lshl_u32 v49, v24, v37, 2
	ds_bpermute_b32 v24, v49, v23
	v_cmp_le_u32_e32 vcc, v50, v17
	s_waitcnt lgkmcnt(0)
	s_nop 0
	;; [unrolled: 11-line block ×4, first 2 shown]
	v_cndmask_b32_e32 v17, 0, v24, vcc
	v_add_u32_e32 v24, v23, v17
	v_mov_b32_e32 v23, 0
	s_branch .LBB215_56
.LBB215_55:                             ;   in Loop: Header=BB215_56 Depth=1
	s_or_b64 exec, exec, s[38:39]
	v_cmp_eq_u16_sdwa s[38:39], v25, v42 src0_sel:BYTE_0 src1_sel:DWORD
	ds_bpermute_b32 v55, v44, v24
	v_subrev_u32_e32 v22, 64, v22
	v_and_b32_e32 v28, s39, v27
	v_or_b32_e32 v28, 0x80000000, v28
	v_and_b32_e32 v29, s38, v26
	v_ffbl_b32_e32 v28, v28
	v_add_u32_e32 v28, 32, v28
	v_ffbl_b32_e32 v29, v29
	v_min_u32_e32 v28, v29, v28
	v_cmp_lt_u32_e32 vcc, v43, v28
	s_waitcnt lgkmcnt(0)
	s_nop 0
	v_cndmask_b32_e32 v29, 0, v55, vcc
	v_add_u32_e32 v24, v29, v24
	ds_bpermute_b32 v29, v45, v24
	v_cmp_le_u32_e32 vcc, v46, v28
	s_waitcnt lgkmcnt(0)
	s_nop 0
	v_cndmask_b32_e32 v29, 0, v29, vcc
	v_add_u32_e32 v24, v24, v29
	ds_bpermute_b32 v29, v47, v24
	v_cmp_le_u32_e32 vcc, v48, v28
	;; [unrolled: 6-line block ×5, first 2 shown]
	s_waitcnt lgkmcnt(0)
	s_nop 0
	v_cndmask_b32_e32 v28, 0, v29, vcc
	v_add3_u32 v24, v28, v17, v24
.LBB215_56:                             ; =>This Loop Header: Depth=1
                                        ;     Child Loop BB215_59 Depth 2
	v_cmp_ne_u16_sdwa s[38:39], v25, v42 src0_sel:BYTE_0 src1_sel:DWORD
	s_nop 1
	v_cndmask_b32_e64 v17, 0, 1, s[38:39]
	;;#ASMSTART
	;;#ASMEND
	s_nop 0
	v_cmp_ne_u32_e32 vcc, 0, v17
	s_cmp_lg_u64 vcc, exec
	v_mov_b32_e32 v17, v24
	s_cbranch_scc1 .LBB215_61
; %bb.57:                               ;   in Loop: Header=BB215_56 Depth=1
	v_lshl_add_u64 v[28:29], v[22:23], 3, s[36:37]
	global_load_dwordx2 v[24:25], v[28:29], off sc1
	s_waitcnt vmcnt(0)
	v_cmp_eq_u16_sdwa s[40:41], v25, v23 src0_sel:BYTE_0 src1_sel:DWORD
	s_and_saveexec_b64 s[38:39], s[40:41]
	s_cbranch_execz .LBB215_55
; %bb.58:                               ;   in Loop: Header=BB215_56 Depth=1
	s_mov_b64 s[40:41], 0
.LBB215_59:                             ;   Parent Loop BB215_56 Depth=1
                                        ; =>  This Inner Loop Header: Depth=2
	global_load_dwordx2 v[24:25], v[28:29], off sc1
	s_waitcnt vmcnt(0)
	v_cmp_ne_u16_sdwa s[44:45], v25, v23 src0_sel:BYTE_0 src1_sel:DWORD
	s_or_b64 s[40:41], s[44:45], s[40:41]
	s_andn2_b64 exec, exec, s[40:41]
	s_cbranch_execnz .LBB215_59
; %bb.60:                               ;   in Loop: Header=BB215_56 Depth=1
	s_or_b64 exec, exec, s[40:41]
	s_branch .LBB215_55
.LBB215_61:                             ;   in Loop: Header=BB215_56 Depth=1
                                        ; implicit-def: $vgpr24
                                        ; implicit-def: $vgpr25
	s_cbranch_execz .LBB215_56
; %bb.62:
	s_and_saveexec_b64 s[38:39], s[16:17]
	s_cbranch_execz .LBB215_64
; %bb.63:
	s_add_i32 s40, s42, 64
	s_mov_b32 s41, 0
	s_lshl_b64 s[40:41], s[40:41], 3
	s_add_u32 s40, s36, s40
	v_add_u32_e32 v22, v17, v16
	v_mov_b32_e32 v23, 2
	s_addc_u32 s41, s37, s41
	v_mov_b32_e32 v24, 0
	global_store_dwordx2 v24, v[22:23], s[40:41] sc1
	ds_write_b64 v24, v[16:17] offset:28672
.LBB215_64:
	s_or_b64 exec, exec, s[38:39]
	s_and_b64 exec, exec, s[18:19]
	s_cbranch_execz .LBB215_66
; %bb.65:
	v_mov_b32_e32 v16, 0
	ds_write_b32 v16, v17 offset:28
.LBB215_66:
	s_or_b64 exec, exec, s[0:1]
	v_mov_b32_e32 v16, 0
	s_waitcnt lgkmcnt(0)
	s_barrier
	ds_read_b32 v17, v16 offset:28
	v_cndmask_b32_e64 v22, v41, v34, s[16:17]
	v_cndmask_b32_e64 v22, v22, 0, s[18:19]
	s_waitcnt lgkmcnt(0)
	s_barrier
	v_add_u32_e32 v28, v17, v22
	v_add_u32_e32 v27, v28, v36
	ds_read_b64 v[16:17], v16 offset:28672
	v_add_u32_e32 v26, v27, v35
	v_add_u32_e32 v24, v26, v33
	;; [unrolled: 1-line block ×5, first 2 shown]
	s_waitcnt lgkmcnt(0)
	v_mov_b32_e32 v34, v17
	s_branch .LBB215_77
.LBB215_67:
                                        ; implicit-def: $vgpr34
                                        ; implicit-def: $vgpr16
                                        ; implicit-def: $vgpr22
                                        ; implicit-def: $vgpr23
                                        ; implicit-def: $vgpr25
                                        ; implicit-def: $vgpr24
                                        ; implicit-def: $vgpr26
                                        ; implicit-def: $vgpr27
                                        ; implicit-def: $vgpr28
	s_cbranch_execz .LBB215_77
; %bb.68:
	s_nop 0
	v_mov_b32_dpp v16, v40 row_shr:1 row_mask:0xf bank_mask:0xf
	v_cndmask_b32_e64 v16, v16, 0, s[14:15]
	v_add_u32_e32 v16, v16, v40
	s_nop 1
	v_mov_b32_dpp v17, v16 row_shr:2 row_mask:0xf bank_mask:0xf
	v_cndmask_b32_e64 v17, 0, v17, s[12:13]
	v_add_u32_e32 v16, v16, v17
	;; [unrolled: 4-line block ×4, first 2 shown]
	s_nop 1
	v_mov_b32_dpp v17, v16 row_bcast:15 row_mask:0xf bank_mask:0xf
	v_cndmask_b32_e64 v17, v17, 0, s[6:7]
	v_add_u32_e32 v16, v16, v17
	s_nop 1
	v_mov_b32_dpp v17, v16 row_bcast:31 row_mask:0xf bank_mask:0xf
	v_cndmask_b32_e64 v17, 0, v17, s[2:3]
	v_add_u32_e32 v16, v16, v17
	s_and_saveexec_b64 s[0:1], s[4:5]
	s_cbranch_execz .LBB215_70
; %bb.69:
	v_lshlrev_b32_e32 v17, 2, v39
	ds_write_b32 v17, v16
.LBB215_70:
	s_or_b64 exec, exec, s[0:1]
	v_cmp_gt_u32_e32 vcc, 8, v0
	s_waitcnt lgkmcnt(0)
	s_barrier
	s_and_saveexec_b64 s[0:1], vcc
	s_cbranch_execz .LBB215_72
; %bb.71:
	v_mad_i32_i24 v17, v0, -3, v38
	ds_read_b32 v22, v17
	v_and_b32_e32 v23, 7, v37
	v_cmp_ne_u32_e32 vcc, 0, v23
	s_waitcnt lgkmcnt(0)
	v_mov_b32_dpp v24, v22 row_shr:1 row_mask:0xf bank_mask:0xf
	v_cndmask_b32_e32 v24, 0, v24, vcc
	v_add_u32_e32 v22, v24, v22
	v_cmp_lt_u32_e32 vcc, 1, v23
	s_nop 0
	v_mov_b32_dpp v24, v22 row_shr:2 row_mask:0xf bank_mask:0xf
	v_cndmask_b32_e32 v24, 0, v24, vcc
	v_add_u32_e32 v22, v22, v24
	v_cmp_lt_u32_e32 vcc, 3, v23
	s_nop 0
	v_mov_b32_dpp v24, v22 row_shr:4 row_mask:0xf bank_mask:0xf
	v_cndmask_b32_e32 v23, 0, v24, vcc
	v_add_u32_e32 v22, v22, v23
	ds_write_b32 v17, v22
.LBB215_72:
	s_or_b64 exec, exec, s[0:1]
	v_cmp_lt_u32_e32 vcc, 63, v0
	v_mov_b32_e32 v17, 0
	v_mov_b32_e32 v22, 0
	s_waitcnt lgkmcnt(0)
	s_barrier
	s_and_saveexec_b64 s[0:1], vcc
	s_cbranch_execz .LBB215_74
; %bb.73:
	v_lshl_add_u32 v22, v39, 2, -4
	ds_read_b32 v22, v22
.LBB215_74:
	s_or_b64 exec, exec, s[0:1]
	v_add_u32_e32 v23, -1, v37
	v_and_b32_e32 v24, 64, v37
	v_cmp_lt_i32_e32 vcc, v23, v24
	s_waitcnt lgkmcnt(0)
	v_add_u32_e32 v16, v22, v16
	v_cndmask_b32_e32 v23, v23, v37, vcc
	v_lshlrev_b32_e32 v23, 2, v23
	ds_bpermute_b32 v23, v23, v16
	ds_read_b32 v16, v17 offset:28
	s_and_saveexec_b64 s[0:1], s[18:19]
	s_cbranch_execz .LBB215_76
; %bb.75:
	v_mov_b32_e32 v24, 0
	v_mov_b32_e32 v17, 2
	s_waitcnt lgkmcnt(0)
	global_store_dwordx2 v24, v[16:17], s[36:37] offset:512 sc1
.LBB215_76:
	s_or_b64 exec, exec, s[0:1]
	v_cmp_eq_u32_e32 vcc, 0, v37
	v_mov_b32_e32 v34, 0
	s_waitcnt lgkmcnt(0)
	v_cndmask_b32_e32 v17, v23, v22, vcc
	v_cndmask_b32_e64 v28, v17, 0, s[18:19]
	v_add_u32_e32 v27, v28, v36
	v_add_u32_e32 v26, v27, v35
	;; [unrolled: 1-line block ×6, first 2 shown]
	s_barrier
.LBB215_77:
	v_add_u32_e32 v1, v16, v1
	v_sub_u32_e32 v17, v28, v34
	v_sub_u32_e32 v28, v1, v17
	v_cmp_eq_u32_e32 vcc, 1, v36
	s_add_u32 s0, s26, s24
	s_addc_u32 s1, s27, 0
	v_cndmask_b32_e32 v17, v28, v17, vcc
	v_lshlrev_b32_e32 v17, 3, v17
	ds_write_b64 v17, v[10:11]
	v_sub_u32_e32 v10, v27, v34
	v_sub_u32_e32 v11, v1, v10
	v_add_u32_e32 v11, 1, v11
	v_cmp_eq_u32_e32 vcc, 1, v35
	s_sub_u32 s0, s30, s0
	s_subb_u32 s1, s31, s1
	v_cndmask_b32_e32 v10, v11, v10, vcc
	v_lshlrev_b32_e32 v10, 3, v10
	ds_write_b64 v10, v[12:13]
	v_sub_u32_e32 v10, v26, v34
	v_sub_u32_e32 v11, v1, v10
	v_add_u32_e32 v11, 2, v11
	v_cmp_eq_u32_e32 vcc, 1, v33
	v_or_b32_e32 v28, 0x600, v0
	v_or_b32_e32 v26, 0x800, v0
	v_cndmask_b32_e32 v10, v11, v10, vcc
	v_lshlrev_b32_e32 v10, 3, v10
	ds_write_b64 v10, v[6:7]
	v_sub_u32_e32 v6, v24, v34
	v_sub_u32_e32 v7, v1, v6
	v_add_u32_e32 v7, 3, v7
	v_cmp_eq_u32_e32 vcc, 1, v32
	v_or_b32_e32 v32, 0x200, v0
	v_or_b32_e32 v24, 0xa00, v0
	v_cndmask_b32_e32 v6, v7, v6, vcc
	v_lshlrev_b32_e32 v6, 3, v6
	ds_write_b64 v6, v[8:9]
	v_sub_u32_e32 v6, v25, v34
	v_sub_u32_e32 v7, v1, v6
	v_add_u32_e32 v7, 4, v7
	v_cmp_eq_u32_e32 vcc, 1, v31
	s_nop 1
	v_cndmask_b32_e32 v6, v7, v6, vcc
	v_lshlrev_b32_e32 v6, 3, v6
	ds_write_b64 v6, v[2:3]
	v_sub_u32_e32 v2, v23, v34
	v_sub_u32_e32 v3, v1, v2
	v_add_u32_e32 v3, 5, v3
	v_cmp_eq_u32_e32 vcc, 1, v30
	v_or_b32_e32 v30, 0x400, v0
	s_nop 0
	v_cndmask_b32_e32 v2, v3, v2, vcc
	v_lshlrev_b32_e32 v2, 3, v2
	ds_write_b64 v2, v[4:5]
	v_sub_u32_e32 v2, v22, v34
	v_sub_u32_e32 v1, v1, v2
	v_add_u32_e32 v1, 6, v1
	v_cmp_eq_u32_e32 vcc, 1, v19
	v_or_b32_e32 v22, 0xc00, v0
	s_nop 0
	v_cndmask_b32_e32 v1, v1, v2, vcc
	v_lshlrev_b32_e32 v1, 3, v1
	ds_write_b64 v1, v[14:15]
	s_waitcnt lgkmcnt(0)
	s_barrier
	ds_read2st64_b64 v[10:13], v18 offset1:8
	ds_read2st64_b64 v[6:9], v18 offset0:16 offset1:24
	ds_read2st64_b64 v[2:5], v18 offset0:32 offset1:40
	ds_read_b64 v[18:19], v18 offset:24576
	v_mov_b32_e32 v1, 0
	v_mov_b32_e32 v35, v1
	;; [unrolled: 1-line block ×3, first 2 shown]
	s_waitcnt vmcnt(0)
	v_lshl_add_u64 v[14:15], v[20:21], 0, v[34:35]
	v_lshl_add_u64 v[20:21], s[0:1], 0, v[16:17]
	v_mov_b32_e32 v33, v1
	v_mov_b32_e32 v31, v1
	;; [unrolled: 1-line block ×6, first 2 shown]
	s_andn2_b64 vcc, exec, s[34:35]
	v_lshl_add_u64 v[20:21], v[20:21], 0, v[14:15]
	s_cbranch_vccnz .LBB215_110
; %bb.78:
	v_cmp_ge_u32_e32 vcc, v0, v16
                                        ; implicit-def: $vgpr34_vgpr35
	s_and_saveexec_b64 s[0:1], vcc
	s_xor_b64 s[0:1], exec, s[0:1]
; %bb.79:
	v_not_b32_e32 v34, v0
	v_ashrrev_i32_e32 v35, 31, v34
	v_lshl_add_u64 v[34:35], v[20:21], 0, v[34:35]
; %bb.80:
	s_andn2_saveexec_b64 s[0:1], s[0:1]
; %bb.81:
	v_lshl_add_u64 v[34:35], v[14:15], 0, v[0:1]
; %bb.82:
	s_or_b64 exec, exec, s[0:1]
	v_lshl_add_u64 v[34:35], v[34:35], 3, s[28:29]
	v_cmp_ge_u32_e32 vcc, v32, v16
	s_waitcnt lgkmcnt(3)
	global_store_dwordx2 v[34:35], v[10:11], off
                                        ; implicit-def: $vgpr34_vgpr35
	s_and_saveexec_b64 s[0:1], vcc
	s_xor_b64 s[0:1], exec, s[0:1]
; %bb.83:
	v_xor_b32_e32 v34, 0xfffffdff, v0
	v_ashrrev_i32_e32 v35, 31, v34
	v_lshl_add_u64 v[34:35], v[20:21], 0, v[34:35]
; %bb.84:
	s_andn2_saveexec_b64 s[0:1], s[0:1]
; %bb.85:
	v_lshl_add_u64 v[34:35], v[14:15], 0, v[32:33]
; %bb.86:
	s_or_b64 exec, exec, s[0:1]
	v_lshl_add_u64 v[34:35], v[34:35], 3, s[28:29]
	v_cmp_ge_u32_e32 vcc, v30, v16
	global_store_dwordx2 v[34:35], v[12:13], off
                                        ; implicit-def: $vgpr34_vgpr35
	s_and_saveexec_b64 s[0:1], vcc
	s_xor_b64 s[0:1], exec, s[0:1]
; %bb.87:
	v_xor_b32_e32 v34, 0xfffffbff, v0
	v_ashrrev_i32_e32 v35, 31, v34
	v_lshl_add_u64 v[34:35], v[20:21], 0, v[34:35]
; %bb.88:
	s_andn2_saveexec_b64 s[0:1], s[0:1]
; %bb.89:
	v_lshl_add_u64 v[34:35], v[14:15], 0, v[30:31]
; %bb.90:
	s_or_b64 exec, exec, s[0:1]
	v_lshl_add_u64 v[34:35], v[34:35], 3, s[28:29]
	v_cmp_ge_u32_e32 vcc, v28, v16
	s_waitcnt lgkmcnt(2)
	global_store_dwordx2 v[34:35], v[6:7], off
                                        ; implicit-def: $vgpr34_vgpr35
	s_and_saveexec_b64 s[0:1], vcc
	s_xor_b64 s[0:1], exec, s[0:1]
; %bb.91:
	v_xor_b32_e32 v34, 0xfffff9ff, v0
	v_ashrrev_i32_e32 v35, 31, v34
	v_lshl_add_u64 v[34:35], v[20:21], 0, v[34:35]
; %bb.92:
	s_andn2_saveexec_b64 s[0:1], s[0:1]
; %bb.93:
	v_lshl_add_u64 v[34:35], v[14:15], 0, v[28:29]
; %bb.94:
	s_or_b64 exec, exec, s[0:1]
	v_lshl_add_u64 v[34:35], v[34:35], 3, s[28:29]
	v_cmp_ge_u32_e32 vcc, v26, v16
	global_store_dwordx2 v[34:35], v[8:9], off
                                        ; implicit-def: $vgpr34_vgpr35
	s_and_saveexec_b64 s[0:1], vcc
	s_xor_b64 s[0:1], exec, s[0:1]
; %bb.95:
	v_xor_b32_e32 v34, 0xfffff7ff, v0
	;; [unrolled: 33-line block ×3, first 2 shown]
	v_ashrrev_i32_e32 v35, 31, v34
	v_lshl_add_u64 v[34:35], v[20:21], 0, v[34:35]
; %bb.104:
	s_andn2_saveexec_b64 s[0:1], s[0:1]
; %bb.105:
	v_lshl_add_u64 v[34:35], v[14:15], 0, v[22:23]
; %bb.106:
	s_or_b64 exec, exec, s[0:1]
	s_mov_b64 s[0:1], -1
.LBB215_107:
	s_and_saveexec_b64 s[2:3], s[0:1]
	s_cbranch_execz .LBB215_154
.LBB215_108:
	v_lshl_add_u64 v[0:1], v[34:35], 3, s[28:29]
	s_waitcnt lgkmcnt(0)
	global_store_dwordx2 v[0:1], v[18:19], off
	s_or_b64 exec, exec, s[2:3]
	s_and_b64 s[0:1], s[18:19], s[22:23]
	s_and_saveexec_b64 s[2:3], s[0:1]
	s_cbranch_execnz .LBB215_155
.LBB215_109:
	s_endpgm
.LBB215_110:
	s_mov_b64 s[0:1], 0
                                        ; implicit-def: $vgpr34_vgpr35
	s_cbranch_execz .LBB215_107
; %bb.111:
	v_cmp_gt_u32_e32 vcc, s33, v0
	s_and_saveexec_b64 s[2:3], vcc
	s_cbranch_execz .LBB215_129
; %bb.112:
	v_cmp_ge_u32_e32 vcc, v0, v16
                                        ; implicit-def: $vgpr34_vgpr35
	s_and_saveexec_b64 s[4:5], vcc
	s_xor_b64 s[4:5], exec, s[4:5]
; %bb.113:
	v_not_b32_e32 v34, v0
	v_ashrrev_i32_e32 v35, 31, v34
	v_lshl_add_u64 v[34:35], v[20:21], 0, v[34:35]
; %bb.114:
	s_andn2_saveexec_b64 s[4:5], s[4:5]
; %bb.115:
	v_lshl_add_u64 v[34:35], v[14:15], 0, v[0:1]
; %bb.116:
	s_or_b64 exec, exec, s[4:5]
	v_lshl_add_u64 v[34:35], v[34:35], 3, s[28:29]
	s_waitcnt lgkmcnt(3)
	global_store_dwordx2 v[34:35], v[10:11], off
	s_or_b64 exec, exec, s[2:3]
	v_cmp_gt_u32_e32 vcc, s33, v32
	s_and_saveexec_b64 s[2:3], vcc
	s_cbranch_execnz .LBB215_130
.LBB215_117:
	s_or_b64 exec, exec, s[2:3]
	v_cmp_gt_u32_e32 vcc, s33, v30
	s_and_saveexec_b64 s[2:3], vcc
	s_cbranch_execz .LBB215_135
.LBB215_118:
	v_cmp_ge_u32_e32 vcc, v30, v16
                                        ; implicit-def: $vgpr10_vgpr11
	s_and_saveexec_b64 s[4:5], vcc
	s_xor_b64 s[4:5], exec, s[4:5]
	s_cbranch_execz .LBB215_120
; %bb.119:
	s_waitcnt lgkmcnt(3)
	v_xor_b32_e32 v10, 0xfffffbff, v0
	v_ashrrev_i32_e32 v11, 31, v10
	v_lshl_add_u64 v[10:11], v[20:21], 0, v[10:11]
                                        ; implicit-def: $vgpr30_vgpr31
.LBB215_120:
	s_andn2_saveexec_b64 s[4:5], s[4:5]
	s_cbranch_execz .LBB215_122
; %bb.121:
	s_waitcnt lgkmcnt(3)
	v_lshl_add_u64 v[10:11], v[14:15], 0, v[30:31]
.LBB215_122:
	s_or_b64 exec, exec, s[4:5]
	s_waitcnt lgkmcnt(3)
	v_lshl_add_u64 v[10:11], v[10:11], 3, s[28:29]
	s_waitcnt lgkmcnt(2)
	global_store_dwordx2 v[10:11], v[6:7], off
	s_or_b64 exec, exec, s[2:3]
	v_cmp_gt_u32_e32 vcc, s33, v28
	s_and_saveexec_b64 s[2:3], vcc
	s_cbranch_execnz .LBB215_136
.LBB215_123:
	s_or_b64 exec, exec, s[2:3]
	v_cmp_gt_u32_e32 vcc, s33, v26
	s_and_saveexec_b64 s[2:3], vcc
	s_cbranch_execz .LBB215_141
.LBB215_124:
	v_cmp_ge_u32_e32 vcc, v26, v16
                                        ; implicit-def: $vgpr6_vgpr7
	s_and_saveexec_b64 s[4:5], vcc
	s_xor_b64 s[4:5], exec, s[4:5]
	s_cbranch_execz .LBB215_126
; %bb.125:
	s_waitcnt lgkmcnt(2)
	v_xor_b32_e32 v6, 0xfffff7ff, v0
	v_ashrrev_i32_e32 v7, 31, v6
	v_lshl_add_u64 v[6:7], v[20:21], 0, v[6:7]
                                        ; implicit-def: $vgpr26_vgpr27
.LBB215_126:
	s_andn2_saveexec_b64 s[4:5], s[4:5]
	s_cbranch_execz .LBB215_128
; %bb.127:
	s_waitcnt lgkmcnt(2)
	v_lshl_add_u64 v[6:7], v[14:15], 0, v[26:27]
.LBB215_128:
	s_or_b64 exec, exec, s[4:5]
	s_waitcnt lgkmcnt(2)
	v_lshl_add_u64 v[6:7], v[6:7], 3, s[28:29]
	s_waitcnt lgkmcnt(1)
	global_store_dwordx2 v[6:7], v[2:3], off
	s_or_b64 exec, exec, s[2:3]
	v_cmp_gt_u32_e32 vcc, s33, v24
	s_and_saveexec_b64 s[2:3], vcc
	s_cbranch_execz .LBB215_147
	s_branch .LBB215_142
.LBB215_129:
	s_or_b64 exec, exec, s[2:3]
	v_cmp_gt_u32_e32 vcc, s33, v32
	s_and_saveexec_b64 s[2:3], vcc
	s_cbranch_execz .LBB215_117
.LBB215_130:
	v_cmp_ge_u32_e32 vcc, v32, v16
                                        ; implicit-def: $vgpr10_vgpr11
	s_and_saveexec_b64 s[4:5], vcc
	s_xor_b64 s[4:5], exec, s[4:5]
	s_cbranch_execz .LBB215_132
; %bb.131:
	s_waitcnt lgkmcnt(3)
	v_xor_b32_e32 v10, 0xfffffdff, v0
	v_ashrrev_i32_e32 v11, 31, v10
	v_lshl_add_u64 v[10:11], v[20:21], 0, v[10:11]
                                        ; implicit-def: $vgpr32_vgpr33
.LBB215_132:
	s_andn2_saveexec_b64 s[4:5], s[4:5]
	s_cbranch_execz .LBB215_134
; %bb.133:
	s_waitcnt lgkmcnt(3)
	v_lshl_add_u64 v[10:11], v[14:15], 0, v[32:33]
.LBB215_134:
	s_or_b64 exec, exec, s[4:5]
	s_waitcnt lgkmcnt(3)
	v_lshl_add_u64 v[10:11], v[10:11], 3, s[28:29]
	global_store_dwordx2 v[10:11], v[12:13], off
	s_or_b64 exec, exec, s[2:3]
	v_cmp_gt_u32_e32 vcc, s33, v30
	s_and_saveexec_b64 s[2:3], vcc
	s_cbranch_execnz .LBB215_118
.LBB215_135:
	s_or_b64 exec, exec, s[2:3]
	v_cmp_gt_u32_e32 vcc, s33, v28
	s_and_saveexec_b64 s[2:3], vcc
	s_cbranch_execz .LBB215_123
.LBB215_136:
	v_cmp_ge_u32_e32 vcc, v28, v16
                                        ; implicit-def: $vgpr6_vgpr7
	s_and_saveexec_b64 s[4:5], vcc
	s_xor_b64 s[4:5], exec, s[4:5]
	s_cbranch_execz .LBB215_138
; %bb.137:
	s_waitcnt lgkmcnt(2)
	v_xor_b32_e32 v6, 0xfffff9ff, v0
	v_ashrrev_i32_e32 v7, 31, v6
	v_lshl_add_u64 v[6:7], v[20:21], 0, v[6:7]
                                        ; implicit-def: $vgpr28_vgpr29
.LBB215_138:
	s_andn2_saveexec_b64 s[4:5], s[4:5]
	s_cbranch_execz .LBB215_140
; %bb.139:
	s_waitcnt lgkmcnt(2)
	v_lshl_add_u64 v[6:7], v[14:15], 0, v[28:29]
.LBB215_140:
	s_or_b64 exec, exec, s[4:5]
	s_waitcnt lgkmcnt(2)
	v_lshl_add_u64 v[6:7], v[6:7], 3, s[28:29]
	global_store_dwordx2 v[6:7], v[8:9], off
	s_or_b64 exec, exec, s[2:3]
	v_cmp_gt_u32_e32 vcc, s33, v26
	s_and_saveexec_b64 s[2:3], vcc
	s_cbranch_execnz .LBB215_124
.LBB215_141:
	s_or_b64 exec, exec, s[2:3]
	v_cmp_gt_u32_e32 vcc, s33, v24
	s_and_saveexec_b64 s[2:3], vcc
	s_cbranch_execz .LBB215_147
.LBB215_142:
	v_cmp_ge_u32_e32 vcc, v24, v16
                                        ; implicit-def: $vgpr2_vgpr3
	s_and_saveexec_b64 s[4:5], vcc
	s_xor_b64 s[4:5], exec, s[4:5]
	s_cbranch_execz .LBB215_144
; %bb.143:
	s_waitcnt lgkmcnt(1)
	v_xor_b32_e32 v2, 0xfffff5ff, v0
	v_ashrrev_i32_e32 v3, 31, v2
	v_lshl_add_u64 v[2:3], v[20:21], 0, v[2:3]
                                        ; implicit-def: $vgpr24_vgpr25
.LBB215_144:
	s_andn2_saveexec_b64 s[4:5], s[4:5]
	s_cbranch_execz .LBB215_146
; %bb.145:
	s_waitcnt lgkmcnt(1)
	v_lshl_add_u64 v[2:3], v[14:15], 0, v[24:25]
.LBB215_146:
	s_or_b64 exec, exec, s[4:5]
	s_waitcnt lgkmcnt(1)
	v_lshl_add_u64 v[2:3], v[2:3], 3, s[28:29]
	global_store_dwordx2 v[2:3], v[4:5], off
.LBB215_147:
	s_or_b64 exec, exec, s[2:3]
	v_cmp_gt_u32_e32 vcc, s33, v22
                                        ; implicit-def: $vgpr34_vgpr35
	s_and_saveexec_b64 s[2:3], vcc
	s_cbranch_execz .LBB215_153
; %bb.148:
	v_cmp_ge_u32_e32 vcc, v22, v16
                                        ; implicit-def: $vgpr34_vgpr35
	s_and_saveexec_b64 s[4:5], vcc
	s_xor_b64 s[4:5], exec, s[4:5]
; %bb.149:
	v_xor_b32_e32 v0, 0xfffff3ff, v0
	v_ashrrev_i32_e32 v1, 31, v0
	v_lshl_add_u64 v[34:35], v[20:21], 0, v[0:1]
                                        ; implicit-def: $vgpr22_vgpr23
; %bb.150:
	s_andn2_saveexec_b64 s[4:5], s[4:5]
; %bb.151:
	v_lshl_add_u64 v[34:35], v[14:15], 0, v[22:23]
; %bb.152:
	s_or_b64 exec, exec, s[4:5]
	s_or_b64 s[0:1], s[0:1], exec
.LBB215_153:
	s_or_b64 exec, exec, s[2:3]
	s_and_saveexec_b64 s[2:3], s[0:1]
	s_cbranch_execnz .LBB215_108
.LBB215_154:
	s_or_b64 exec, exec, s[2:3]
	s_and_b64 s[0:1], s[18:19], s[22:23]
	s_and_saveexec_b64 s[2:3], s[0:1]
	s_cbranch_execz .LBB215_109
.LBB215_155:
	s_waitcnt lgkmcnt(1)
	v_mov_b32_e32 v2, 0
	v_lshl_add_u64 v[0:1], v[14:15], 0, v[16:17]
	global_store_dwordx2 v2, v[0:1], s[20:21]
	s_endpgm
	.section	.rodata,"a",@progbits
	.p2align	6, 0x0
	.amdhsa_kernel _ZN7rocprim17ROCPRIM_400000_NS6detail17trampoline_kernelINS0_14default_configENS1_25partition_config_selectorILNS1_17partition_subalgoE2ExNS0_10empty_typeEbEEZZNS1_14partition_implILS5_2ELb0ES3_jN6thrust23THRUST_200600_302600_NS6detail15normal_iteratorINSA_7pointerIxNSA_11hip_rocprim3tagENSA_11use_defaultESG_EEEEPS6_NSA_18transform_iteratorI7is_evenIxENSC_INSA_10device_ptrIxEEEESG_SG_EENS0_5tupleIJPxSJ_EEENSR_IJSJ_SJ_EEES6_PlJS6_EEE10hipError_tPvRmT3_T4_T5_T6_T7_T9_mT8_P12ihipStream_tbDpT10_ENKUlT_T0_E_clISt17integral_constantIbLb0EES1E_IbLb1EEEEDaS1A_S1B_EUlS1A_E_NS1_11comp_targetILNS1_3genE5ELNS1_11target_archE942ELNS1_3gpuE9ELNS1_3repE0EEENS1_30default_config_static_selectorELNS0_4arch9wavefront6targetE1EEEvT1_
		.amdhsa_group_segment_fixed_size 28680
		.amdhsa_private_segment_fixed_size 0
		.amdhsa_kernarg_size 144
		.amdhsa_user_sgpr_count 2
		.amdhsa_user_sgpr_dispatch_ptr 0
		.amdhsa_user_sgpr_queue_ptr 0
		.amdhsa_user_sgpr_kernarg_segment_ptr 1
		.amdhsa_user_sgpr_dispatch_id 0
		.amdhsa_user_sgpr_kernarg_preload_length 0
		.amdhsa_user_sgpr_kernarg_preload_offset 0
		.amdhsa_user_sgpr_private_segment_size 0
		.amdhsa_uses_dynamic_stack 0
		.amdhsa_enable_private_segment 0
		.amdhsa_system_sgpr_workgroup_id_x 1
		.amdhsa_system_sgpr_workgroup_id_y 0
		.amdhsa_system_sgpr_workgroup_id_z 0
		.amdhsa_system_sgpr_workgroup_info 0
		.amdhsa_system_vgpr_workitem_id 0
		.amdhsa_next_free_vgpr 56
		.amdhsa_next_free_sgpr 46
		.amdhsa_accum_offset 56
		.amdhsa_reserve_vcc 1
		.amdhsa_float_round_mode_32 0
		.amdhsa_float_round_mode_16_64 0
		.amdhsa_float_denorm_mode_32 3
		.amdhsa_float_denorm_mode_16_64 3
		.amdhsa_dx10_clamp 1
		.amdhsa_ieee_mode 1
		.amdhsa_fp16_overflow 0
		.amdhsa_tg_split 0
		.amdhsa_exception_fp_ieee_invalid_op 0
		.amdhsa_exception_fp_denorm_src 0
		.amdhsa_exception_fp_ieee_div_zero 0
		.amdhsa_exception_fp_ieee_overflow 0
		.amdhsa_exception_fp_ieee_underflow 0
		.amdhsa_exception_fp_ieee_inexact 0
		.amdhsa_exception_int_div_zero 0
	.end_amdhsa_kernel
	.section	.text._ZN7rocprim17ROCPRIM_400000_NS6detail17trampoline_kernelINS0_14default_configENS1_25partition_config_selectorILNS1_17partition_subalgoE2ExNS0_10empty_typeEbEEZZNS1_14partition_implILS5_2ELb0ES3_jN6thrust23THRUST_200600_302600_NS6detail15normal_iteratorINSA_7pointerIxNSA_11hip_rocprim3tagENSA_11use_defaultESG_EEEEPS6_NSA_18transform_iteratorI7is_evenIxENSC_INSA_10device_ptrIxEEEESG_SG_EENS0_5tupleIJPxSJ_EEENSR_IJSJ_SJ_EEES6_PlJS6_EEE10hipError_tPvRmT3_T4_T5_T6_T7_T9_mT8_P12ihipStream_tbDpT10_ENKUlT_T0_E_clISt17integral_constantIbLb0EES1E_IbLb1EEEEDaS1A_S1B_EUlS1A_E_NS1_11comp_targetILNS1_3genE5ELNS1_11target_archE942ELNS1_3gpuE9ELNS1_3repE0EEENS1_30default_config_static_selectorELNS0_4arch9wavefront6targetE1EEEvT1_,"axG",@progbits,_ZN7rocprim17ROCPRIM_400000_NS6detail17trampoline_kernelINS0_14default_configENS1_25partition_config_selectorILNS1_17partition_subalgoE2ExNS0_10empty_typeEbEEZZNS1_14partition_implILS5_2ELb0ES3_jN6thrust23THRUST_200600_302600_NS6detail15normal_iteratorINSA_7pointerIxNSA_11hip_rocprim3tagENSA_11use_defaultESG_EEEEPS6_NSA_18transform_iteratorI7is_evenIxENSC_INSA_10device_ptrIxEEEESG_SG_EENS0_5tupleIJPxSJ_EEENSR_IJSJ_SJ_EEES6_PlJS6_EEE10hipError_tPvRmT3_T4_T5_T6_T7_T9_mT8_P12ihipStream_tbDpT10_ENKUlT_T0_E_clISt17integral_constantIbLb0EES1E_IbLb1EEEEDaS1A_S1B_EUlS1A_E_NS1_11comp_targetILNS1_3genE5ELNS1_11target_archE942ELNS1_3gpuE9ELNS1_3repE0EEENS1_30default_config_static_selectorELNS0_4arch9wavefront6targetE1EEEvT1_,comdat
.Lfunc_end215:
	.size	_ZN7rocprim17ROCPRIM_400000_NS6detail17trampoline_kernelINS0_14default_configENS1_25partition_config_selectorILNS1_17partition_subalgoE2ExNS0_10empty_typeEbEEZZNS1_14partition_implILS5_2ELb0ES3_jN6thrust23THRUST_200600_302600_NS6detail15normal_iteratorINSA_7pointerIxNSA_11hip_rocprim3tagENSA_11use_defaultESG_EEEEPS6_NSA_18transform_iteratorI7is_evenIxENSC_INSA_10device_ptrIxEEEESG_SG_EENS0_5tupleIJPxSJ_EEENSR_IJSJ_SJ_EEES6_PlJS6_EEE10hipError_tPvRmT3_T4_T5_T6_T7_T9_mT8_P12ihipStream_tbDpT10_ENKUlT_T0_E_clISt17integral_constantIbLb0EES1E_IbLb1EEEEDaS1A_S1B_EUlS1A_E_NS1_11comp_targetILNS1_3genE5ELNS1_11target_archE942ELNS1_3gpuE9ELNS1_3repE0EEENS1_30default_config_static_selectorELNS0_4arch9wavefront6targetE1EEEvT1_, .Lfunc_end215-_ZN7rocprim17ROCPRIM_400000_NS6detail17trampoline_kernelINS0_14default_configENS1_25partition_config_selectorILNS1_17partition_subalgoE2ExNS0_10empty_typeEbEEZZNS1_14partition_implILS5_2ELb0ES3_jN6thrust23THRUST_200600_302600_NS6detail15normal_iteratorINSA_7pointerIxNSA_11hip_rocprim3tagENSA_11use_defaultESG_EEEEPS6_NSA_18transform_iteratorI7is_evenIxENSC_INSA_10device_ptrIxEEEESG_SG_EENS0_5tupleIJPxSJ_EEENSR_IJSJ_SJ_EEES6_PlJS6_EEE10hipError_tPvRmT3_T4_T5_T6_T7_T9_mT8_P12ihipStream_tbDpT10_ENKUlT_T0_E_clISt17integral_constantIbLb0EES1E_IbLb1EEEEDaS1A_S1B_EUlS1A_E_NS1_11comp_targetILNS1_3genE5ELNS1_11target_archE942ELNS1_3gpuE9ELNS1_3repE0EEENS1_30default_config_static_selectorELNS0_4arch9wavefront6targetE1EEEvT1_
                                        ; -- End function
	.section	.AMDGPU.csdata,"",@progbits
; Kernel info:
; codeLenInByte = 5604
; NumSgprs: 52
; NumVgprs: 56
; NumAgprs: 0
; TotalNumVgprs: 56
; ScratchSize: 0
; MemoryBound: 0
; FloatMode: 240
; IeeeMode: 1
; LDSByteSize: 28680 bytes/workgroup (compile time only)
; SGPRBlocks: 6
; VGPRBlocks: 6
; NumSGPRsForWavesPerEU: 52
; NumVGPRsForWavesPerEU: 56
; AccumOffset: 56
; Occupancy: 4
; WaveLimiterHint : 1
; COMPUTE_PGM_RSRC2:SCRATCH_EN: 0
; COMPUTE_PGM_RSRC2:USER_SGPR: 2
; COMPUTE_PGM_RSRC2:TRAP_HANDLER: 0
; COMPUTE_PGM_RSRC2:TGID_X_EN: 1
; COMPUTE_PGM_RSRC2:TGID_Y_EN: 0
; COMPUTE_PGM_RSRC2:TGID_Z_EN: 0
; COMPUTE_PGM_RSRC2:TIDIG_COMP_CNT: 0
; COMPUTE_PGM_RSRC3_GFX90A:ACCUM_OFFSET: 13
; COMPUTE_PGM_RSRC3_GFX90A:TG_SPLIT: 0
	.section	.text._ZN7rocprim17ROCPRIM_400000_NS6detail17trampoline_kernelINS0_14default_configENS1_25partition_config_selectorILNS1_17partition_subalgoE2ExNS0_10empty_typeEbEEZZNS1_14partition_implILS5_2ELb0ES3_jN6thrust23THRUST_200600_302600_NS6detail15normal_iteratorINSA_7pointerIxNSA_11hip_rocprim3tagENSA_11use_defaultESG_EEEEPS6_NSA_18transform_iteratorI7is_evenIxENSC_INSA_10device_ptrIxEEEESG_SG_EENS0_5tupleIJPxSJ_EEENSR_IJSJ_SJ_EEES6_PlJS6_EEE10hipError_tPvRmT3_T4_T5_T6_T7_T9_mT8_P12ihipStream_tbDpT10_ENKUlT_T0_E_clISt17integral_constantIbLb0EES1E_IbLb1EEEEDaS1A_S1B_EUlS1A_E_NS1_11comp_targetILNS1_3genE4ELNS1_11target_archE910ELNS1_3gpuE8ELNS1_3repE0EEENS1_30default_config_static_selectorELNS0_4arch9wavefront6targetE1EEEvT1_,"axG",@progbits,_ZN7rocprim17ROCPRIM_400000_NS6detail17trampoline_kernelINS0_14default_configENS1_25partition_config_selectorILNS1_17partition_subalgoE2ExNS0_10empty_typeEbEEZZNS1_14partition_implILS5_2ELb0ES3_jN6thrust23THRUST_200600_302600_NS6detail15normal_iteratorINSA_7pointerIxNSA_11hip_rocprim3tagENSA_11use_defaultESG_EEEEPS6_NSA_18transform_iteratorI7is_evenIxENSC_INSA_10device_ptrIxEEEESG_SG_EENS0_5tupleIJPxSJ_EEENSR_IJSJ_SJ_EEES6_PlJS6_EEE10hipError_tPvRmT3_T4_T5_T6_T7_T9_mT8_P12ihipStream_tbDpT10_ENKUlT_T0_E_clISt17integral_constantIbLb0EES1E_IbLb1EEEEDaS1A_S1B_EUlS1A_E_NS1_11comp_targetILNS1_3genE4ELNS1_11target_archE910ELNS1_3gpuE8ELNS1_3repE0EEENS1_30default_config_static_selectorELNS0_4arch9wavefront6targetE1EEEvT1_,comdat
	.protected	_ZN7rocprim17ROCPRIM_400000_NS6detail17trampoline_kernelINS0_14default_configENS1_25partition_config_selectorILNS1_17partition_subalgoE2ExNS0_10empty_typeEbEEZZNS1_14partition_implILS5_2ELb0ES3_jN6thrust23THRUST_200600_302600_NS6detail15normal_iteratorINSA_7pointerIxNSA_11hip_rocprim3tagENSA_11use_defaultESG_EEEEPS6_NSA_18transform_iteratorI7is_evenIxENSC_INSA_10device_ptrIxEEEESG_SG_EENS0_5tupleIJPxSJ_EEENSR_IJSJ_SJ_EEES6_PlJS6_EEE10hipError_tPvRmT3_T4_T5_T6_T7_T9_mT8_P12ihipStream_tbDpT10_ENKUlT_T0_E_clISt17integral_constantIbLb0EES1E_IbLb1EEEEDaS1A_S1B_EUlS1A_E_NS1_11comp_targetILNS1_3genE4ELNS1_11target_archE910ELNS1_3gpuE8ELNS1_3repE0EEENS1_30default_config_static_selectorELNS0_4arch9wavefront6targetE1EEEvT1_ ; -- Begin function _ZN7rocprim17ROCPRIM_400000_NS6detail17trampoline_kernelINS0_14default_configENS1_25partition_config_selectorILNS1_17partition_subalgoE2ExNS0_10empty_typeEbEEZZNS1_14partition_implILS5_2ELb0ES3_jN6thrust23THRUST_200600_302600_NS6detail15normal_iteratorINSA_7pointerIxNSA_11hip_rocprim3tagENSA_11use_defaultESG_EEEEPS6_NSA_18transform_iteratorI7is_evenIxENSC_INSA_10device_ptrIxEEEESG_SG_EENS0_5tupleIJPxSJ_EEENSR_IJSJ_SJ_EEES6_PlJS6_EEE10hipError_tPvRmT3_T4_T5_T6_T7_T9_mT8_P12ihipStream_tbDpT10_ENKUlT_T0_E_clISt17integral_constantIbLb0EES1E_IbLb1EEEEDaS1A_S1B_EUlS1A_E_NS1_11comp_targetILNS1_3genE4ELNS1_11target_archE910ELNS1_3gpuE8ELNS1_3repE0EEENS1_30default_config_static_selectorELNS0_4arch9wavefront6targetE1EEEvT1_
	.globl	_ZN7rocprim17ROCPRIM_400000_NS6detail17trampoline_kernelINS0_14default_configENS1_25partition_config_selectorILNS1_17partition_subalgoE2ExNS0_10empty_typeEbEEZZNS1_14partition_implILS5_2ELb0ES3_jN6thrust23THRUST_200600_302600_NS6detail15normal_iteratorINSA_7pointerIxNSA_11hip_rocprim3tagENSA_11use_defaultESG_EEEEPS6_NSA_18transform_iteratorI7is_evenIxENSC_INSA_10device_ptrIxEEEESG_SG_EENS0_5tupleIJPxSJ_EEENSR_IJSJ_SJ_EEES6_PlJS6_EEE10hipError_tPvRmT3_T4_T5_T6_T7_T9_mT8_P12ihipStream_tbDpT10_ENKUlT_T0_E_clISt17integral_constantIbLb0EES1E_IbLb1EEEEDaS1A_S1B_EUlS1A_E_NS1_11comp_targetILNS1_3genE4ELNS1_11target_archE910ELNS1_3gpuE8ELNS1_3repE0EEENS1_30default_config_static_selectorELNS0_4arch9wavefront6targetE1EEEvT1_
	.p2align	8
	.type	_ZN7rocprim17ROCPRIM_400000_NS6detail17trampoline_kernelINS0_14default_configENS1_25partition_config_selectorILNS1_17partition_subalgoE2ExNS0_10empty_typeEbEEZZNS1_14partition_implILS5_2ELb0ES3_jN6thrust23THRUST_200600_302600_NS6detail15normal_iteratorINSA_7pointerIxNSA_11hip_rocprim3tagENSA_11use_defaultESG_EEEEPS6_NSA_18transform_iteratorI7is_evenIxENSC_INSA_10device_ptrIxEEEESG_SG_EENS0_5tupleIJPxSJ_EEENSR_IJSJ_SJ_EEES6_PlJS6_EEE10hipError_tPvRmT3_T4_T5_T6_T7_T9_mT8_P12ihipStream_tbDpT10_ENKUlT_T0_E_clISt17integral_constantIbLb0EES1E_IbLb1EEEEDaS1A_S1B_EUlS1A_E_NS1_11comp_targetILNS1_3genE4ELNS1_11target_archE910ELNS1_3gpuE8ELNS1_3repE0EEENS1_30default_config_static_selectorELNS0_4arch9wavefront6targetE1EEEvT1_,@function
_ZN7rocprim17ROCPRIM_400000_NS6detail17trampoline_kernelINS0_14default_configENS1_25partition_config_selectorILNS1_17partition_subalgoE2ExNS0_10empty_typeEbEEZZNS1_14partition_implILS5_2ELb0ES3_jN6thrust23THRUST_200600_302600_NS6detail15normal_iteratorINSA_7pointerIxNSA_11hip_rocprim3tagENSA_11use_defaultESG_EEEEPS6_NSA_18transform_iteratorI7is_evenIxENSC_INSA_10device_ptrIxEEEESG_SG_EENS0_5tupleIJPxSJ_EEENSR_IJSJ_SJ_EEES6_PlJS6_EEE10hipError_tPvRmT3_T4_T5_T6_T7_T9_mT8_P12ihipStream_tbDpT10_ENKUlT_T0_E_clISt17integral_constantIbLb0EES1E_IbLb1EEEEDaS1A_S1B_EUlS1A_E_NS1_11comp_targetILNS1_3genE4ELNS1_11target_archE910ELNS1_3gpuE8ELNS1_3repE0EEENS1_30default_config_static_selectorELNS0_4arch9wavefront6targetE1EEEvT1_: ; @_ZN7rocprim17ROCPRIM_400000_NS6detail17trampoline_kernelINS0_14default_configENS1_25partition_config_selectorILNS1_17partition_subalgoE2ExNS0_10empty_typeEbEEZZNS1_14partition_implILS5_2ELb0ES3_jN6thrust23THRUST_200600_302600_NS6detail15normal_iteratorINSA_7pointerIxNSA_11hip_rocprim3tagENSA_11use_defaultESG_EEEEPS6_NSA_18transform_iteratorI7is_evenIxENSC_INSA_10device_ptrIxEEEESG_SG_EENS0_5tupleIJPxSJ_EEENSR_IJSJ_SJ_EEES6_PlJS6_EEE10hipError_tPvRmT3_T4_T5_T6_T7_T9_mT8_P12ihipStream_tbDpT10_ENKUlT_T0_E_clISt17integral_constantIbLb0EES1E_IbLb1EEEEDaS1A_S1B_EUlS1A_E_NS1_11comp_targetILNS1_3genE4ELNS1_11target_archE910ELNS1_3gpuE8ELNS1_3repE0EEENS1_30default_config_static_selectorELNS0_4arch9wavefront6targetE1EEEvT1_
; %bb.0:
	.section	.rodata,"a",@progbits
	.p2align	6, 0x0
	.amdhsa_kernel _ZN7rocprim17ROCPRIM_400000_NS6detail17trampoline_kernelINS0_14default_configENS1_25partition_config_selectorILNS1_17partition_subalgoE2ExNS0_10empty_typeEbEEZZNS1_14partition_implILS5_2ELb0ES3_jN6thrust23THRUST_200600_302600_NS6detail15normal_iteratorINSA_7pointerIxNSA_11hip_rocprim3tagENSA_11use_defaultESG_EEEEPS6_NSA_18transform_iteratorI7is_evenIxENSC_INSA_10device_ptrIxEEEESG_SG_EENS0_5tupleIJPxSJ_EEENSR_IJSJ_SJ_EEES6_PlJS6_EEE10hipError_tPvRmT3_T4_T5_T6_T7_T9_mT8_P12ihipStream_tbDpT10_ENKUlT_T0_E_clISt17integral_constantIbLb0EES1E_IbLb1EEEEDaS1A_S1B_EUlS1A_E_NS1_11comp_targetILNS1_3genE4ELNS1_11target_archE910ELNS1_3gpuE8ELNS1_3repE0EEENS1_30default_config_static_selectorELNS0_4arch9wavefront6targetE1EEEvT1_
		.amdhsa_group_segment_fixed_size 0
		.amdhsa_private_segment_fixed_size 0
		.amdhsa_kernarg_size 144
		.amdhsa_user_sgpr_count 2
		.amdhsa_user_sgpr_dispatch_ptr 0
		.amdhsa_user_sgpr_queue_ptr 0
		.amdhsa_user_sgpr_kernarg_segment_ptr 1
		.amdhsa_user_sgpr_dispatch_id 0
		.amdhsa_user_sgpr_kernarg_preload_length 0
		.amdhsa_user_sgpr_kernarg_preload_offset 0
		.amdhsa_user_sgpr_private_segment_size 0
		.amdhsa_uses_dynamic_stack 0
		.amdhsa_enable_private_segment 0
		.amdhsa_system_sgpr_workgroup_id_x 1
		.amdhsa_system_sgpr_workgroup_id_y 0
		.amdhsa_system_sgpr_workgroup_id_z 0
		.amdhsa_system_sgpr_workgroup_info 0
		.amdhsa_system_vgpr_workitem_id 0
		.amdhsa_next_free_vgpr 1
		.amdhsa_next_free_sgpr 0
		.amdhsa_accum_offset 4
		.amdhsa_reserve_vcc 0
		.amdhsa_float_round_mode_32 0
		.amdhsa_float_round_mode_16_64 0
		.amdhsa_float_denorm_mode_32 3
		.amdhsa_float_denorm_mode_16_64 3
		.amdhsa_dx10_clamp 1
		.amdhsa_ieee_mode 1
		.amdhsa_fp16_overflow 0
		.amdhsa_tg_split 0
		.amdhsa_exception_fp_ieee_invalid_op 0
		.amdhsa_exception_fp_denorm_src 0
		.amdhsa_exception_fp_ieee_div_zero 0
		.amdhsa_exception_fp_ieee_overflow 0
		.amdhsa_exception_fp_ieee_underflow 0
		.amdhsa_exception_fp_ieee_inexact 0
		.amdhsa_exception_int_div_zero 0
	.end_amdhsa_kernel
	.section	.text._ZN7rocprim17ROCPRIM_400000_NS6detail17trampoline_kernelINS0_14default_configENS1_25partition_config_selectorILNS1_17partition_subalgoE2ExNS0_10empty_typeEbEEZZNS1_14partition_implILS5_2ELb0ES3_jN6thrust23THRUST_200600_302600_NS6detail15normal_iteratorINSA_7pointerIxNSA_11hip_rocprim3tagENSA_11use_defaultESG_EEEEPS6_NSA_18transform_iteratorI7is_evenIxENSC_INSA_10device_ptrIxEEEESG_SG_EENS0_5tupleIJPxSJ_EEENSR_IJSJ_SJ_EEES6_PlJS6_EEE10hipError_tPvRmT3_T4_T5_T6_T7_T9_mT8_P12ihipStream_tbDpT10_ENKUlT_T0_E_clISt17integral_constantIbLb0EES1E_IbLb1EEEEDaS1A_S1B_EUlS1A_E_NS1_11comp_targetILNS1_3genE4ELNS1_11target_archE910ELNS1_3gpuE8ELNS1_3repE0EEENS1_30default_config_static_selectorELNS0_4arch9wavefront6targetE1EEEvT1_,"axG",@progbits,_ZN7rocprim17ROCPRIM_400000_NS6detail17trampoline_kernelINS0_14default_configENS1_25partition_config_selectorILNS1_17partition_subalgoE2ExNS0_10empty_typeEbEEZZNS1_14partition_implILS5_2ELb0ES3_jN6thrust23THRUST_200600_302600_NS6detail15normal_iteratorINSA_7pointerIxNSA_11hip_rocprim3tagENSA_11use_defaultESG_EEEEPS6_NSA_18transform_iteratorI7is_evenIxENSC_INSA_10device_ptrIxEEEESG_SG_EENS0_5tupleIJPxSJ_EEENSR_IJSJ_SJ_EEES6_PlJS6_EEE10hipError_tPvRmT3_T4_T5_T6_T7_T9_mT8_P12ihipStream_tbDpT10_ENKUlT_T0_E_clISt17integral_constantIbLb0EES1E_IbLb1EEEEDaS1A_S1B_EUlS1A_E_NS1_11comp_targetILNS1_3genE4ELNS1_11target_archE910ELNS1_3gpuE8ELNS1_3repE0EEENS1_30default_config_static_selectorELNS0_4arch9wavefront6targetE1EEEvT1_,comdat
.Lfunc_end216:
	.size	_ZN7rocprim17ROCPRIM_400000_NS6detail17trampoline_kernelINS0_14default_configENS1_25partition_config_selectorILNS1_17partition_subalgoE2ExNS0_10empty_typeEbEEZZNS1_14partition_implILS5_2ELb0ES3_jN6thrust23THRUST_200600_302600_NS6detail15normal_iteratorINSA_7pointerIxNSA_11hip_rocprim3tagENSA_11use_defaultESG_EEEEPS6_NSA_18transform_iteratorI7is_evenIxENSC_INSA_10device_ptrIxEEEESG_SG_EENS0_5tupleIJPxSJ_EEENSR_IJSJ_SJ_EEES6_PlJS6_EEE10hipError_tPvRmT3_T4_T5_T6_T7_T9_mT8_P12ihipStream_tbDpT10_ENKUlT_T0_E_clISt17integral_constantIbLb0EES1E_IbLb1EEEEDaS1A_S1B_EUlS1A_E_NS1_11comp_targetILNS1_3genE4ELNS1_11target_archE910ELNS1_3gpuE8ELNS1_3repE0EEENS1_30default_config_static_selectorELNS0_4arch9wavefront6targetE1EEEvT1_, .Lfunc_end216-_ZN7rocprim17ROCPRIM_400000_NS6detail17trampoline_kernelINS0_14default_configENS1_25partition_config_selectorILNS1_17partition_subalgoE2ExNS0_10empty_typeEbEEZZNS1_14partition_implILS5_2ELb0ES3_jN6thrust23THRUST_200600_302600_NS6detail15normal_iteratorINSA_7pointerIxNSA_11hip_rocprim3tagENSA_11use_defaultESG_EEEEPS6_NSA_18transform_iteratorI7is_evenIxENSC_INSA_10device_ptrIxEEEESG_SG_EENS0_5tupleIJPxSJ_EEENSR_IJSJ_SJ_EEES6_PlJS6_EEE10hipError_tPvRmT3_T4_T5_T6_T7_T9_mT8_P12ihipStream_tbDpT10_ENKUlT_T0_E_clISt17integral_constantIbLb0EES1E_IbLb1EEEEDaS1A_S1B_EUlS1A_E_NS1_11comp_targetILNS1_3genE4ELNS1_11target_archE910ELNS1_3gpuE8ELNS1_3repE0EEENS1_30default_config_static_selectorELNS0_4arch9wavefront6targetE1EEEvT1_
                                        ; -- End function
	.section	.AMDGPU.csdata,"",@progbits
; Kernel info:
; codeLenInByte = 0
; NumSgprs: 6
; NumVgprs: 0
; NumAgprs: 0
; TotalNumVgprs: 0
; ScratchSize: 0
; MemoryBound: 0
; FloatMode: 240
; IeeeMode: 1
; LDSByteSize: 0 bytes/workgroup (compile time only)
; SGPRBlocks: 0
; VGPRBlocks: 0
; NumSGPRsForWavesPerEU: 6
; NumVGPRsForWavesPerEU: 1
; AccumOffset: 4
; Occupancy: 8
; WaveLimiterHint : 0
; COMPUTE_PGM_RSRC2:SCRATCH_EN: 0
; COMPUTE_PGM_RSRC2:USER_SGPR: 2
; COMPUTE_PGM_RSRC2:TRAP_HANDLER: 0
; COMPUTE_PGM_RSRC2:TGID_X_EN: 1
; COMPUTE_PGM_RSRC2:TGID_Y_EN: 0
; COMPUTE_PGM_RSRC2:TGID_Z_EN: 0
; COMPUTE_PGM_RSRC2:TIDIG_COMP_CNT: 0
; COMPUTE_PGM_RSRC3_GFX90A:ACCUM_OFFSET: 0
; COMPUTE_PGM_RSRC3_GFX90A:TG_SPLIT: 0
	.section	.text._ZN7rocprim17ROCPRIM_400000_NS6detail17trampoline_kernelINS0_14default_configENS1_25partition_config_selectorILNS1_17partition_subalgoE2ExNS0_10empty_typeEbEEZZNS1_14partition_implILS5_2ELb0ES3_jN6thrust23THRUST_200600_302600_NS6detail15normal_iteratorINSA_7pointerIxNSA_11hip_rocprim3tagENSA_11use_defaultESG_EEEEPS6_NSA_18transform_iteratorI7is_evenIxENSC_INSA_10device_ptrIxEEEESG_SG_EENS0_5tupleIJPxSJ_EEENSR_IJSJ_SJ_EEES6_PlJS6_EEE10hipError_tPvRmT3_T4_T5_T6_T7_T9_mT8_P12ihipStream_tbDpT10_ENKUlT_T0_E_clISt17integral_constantIbLb0EES1E_IbLb1EEEEDaS1A_S1B_EUlS1A_E_NS1_11comp_targetILNS1_3genE3ELNS1_11target_archE908ELNS1_3gpuE7ELNS1_3repE0EEENS1_30default_config_static_selectorELNS0_4arch9wavefront6targetE1EEEvT1_,"axG",@progbits,_ZN7rocprim17ROCPRIM_400000_NS6detail17trampoline_kernelINS0_14default_configENS1_25partition_config_selectorILNS1_17partition_subalgoE2ExNS0_10empty_typeEbEEZZNS1_14partition_implILS5_2ELb0ES3_jN6thrust23THRUST_200600_302600_NS6detail15normal_iteratorINSA_7pointerIxNSA_11hip_rocprim3tagENSA_11use_defaultESG_EEEEPS6_NSA_18transform_iteratorI7is_evenIxENSC_INSA_10device_ptrIxEEEESG_SG_EENS0_5tupleIJPxSJ_EEENSR_IJSJ_SJ_EEES6_PlJS6_EEE10hipError_tPvRmT3_T4_T5_T6_T7_T9_mT8_P12ihipStream_tbDpT10_ENKUlT_T0_E_clISt17integral_constantIbLb0EES1E_IbLb1EEEEDaS1A_S1B_EUlS1A_E_NS1_11comp_targetILNS1_3genE3ELNS1_11target_archE908ELNS1_3gpuE7ELNS1_3repE0EEENS1_30default_config_static_selectorELNS0_4arch9wavefront6targetE1EEEvT1_,comdat
	.protected	_ZN7rocprim17ROCPRIM_400000_NS6detail17trampoline_kernelINS0_14default_configENS1_25partition_config_selectorILNS1_17partition_subalgoE2ExNS0_10empty_typeEbEEZZNS1_14partition_implILS5_2ELb0ES3_jN6thrust23THRUST_200600_302600_NS6detail15normal_iteratorINSA_7pointerIxNSA_11hip_rocprim3tagENSA_11use_defaultESG_EEEEPS6_NSA_18transform_iteratorI7is_evenIxENSC_INSA_10device_ptrIxEEEESG_SG_EENS0_5tupleIJPxSJ_EEENSR_IJSJ_SJ_EEES6_PlJS6_EEE10hipError_tPvRmT3_T4_T5_T6_T7_T9_mT8_P12ihipStream_tbDpT10_ENKUlT_T0_E_clISt17integral_constantIbLb0EES1E_IbLb1EEEEDaS1A_S1B_EUlS1A_E_NS1_11comp_targetILNS1_3genE3ELNS1_11target_archE908ELNS1_3gpuE7ELNS1_3repE0EEENS1_30default_config_static_selectorELNS0_4arch9wavefront6targetE1EEEvT1_ ; -- Begin function _ZN7rocprim17ROCPRIM_400000_NS6detail17trampoline_kernelINS0_14default_configENS1_25partition_config_selectorILNS1_17partition_subalgoE2ExNS0_10empty_typeEbEEZZNS1_14partition_implILS5_2ELb0ES3_jN6thrust23THRUST_200600_302600_NS6detail15normal_iteratorINSA_7pointerIxNSA_11hip_rocprim3tagENSA_11use_defaultESG_EEEEPS6_NSA_18transform_iteratorI7is_evenIxENSC_INSA_10device_ptrIxEEEESG_SG_EENS0_5tupleIJPxSJ_EEENSR_IJSJ_SJ_EEES6_PlJS6_EEE10hipError_tPvRmT3_T4_T5_T6_T7_T9_mT8_P12ihipStream_tbDpT10_ENKUlT_T0_E_clISt17integral_constantIbLb0EES1E_IbLb1EEEEDaS1A_S1B_EUlS1A_E_NS1_11comp_targetILNS1_3genE3ELNS1_11target_archE908ELNS1_3gpuE7ELNS1_3repE0EEENS1_30default_config_static_selectorELNS0_4arch9wavefront6targetE1EEEvT1_
	.globl	_ZN7rocprim17ROCPRIM_400000_NS6detail17trampoline_kernelINS0_14default_configENS1_25partition_config_selectorILNS1_17partition_subalgoE2ExNS0_10empty_typeEbEEZZNS1_14partition_implILS5_2ELb0ES3_jN6thrust23THRUST_200600_302600_NS6detail15normal_iteratorINSA_7pointerIxNSA_11hip_rocprim3tagENSA_11use_defaultESG_EEEEPS6_NSA_18transform_iteratorI7is_evenIxENSC_INSA_10device_ptrIxEEEESG_SG_EENS0_5tupleIJPxSJ_EEENSR_IJSJ_SJ_EEES6_PlJS6_EEE10hipError_tPvRmT3_T4_T5_T6_T7_T9_mT8_P12ihipStream_tbDpT10_ENKUlT_T0_E_clISt17integral_constantIbLb0EES1E_IbLb1EEEEDaS1A_S1B_EUlS1A_E_NS1_11comp_targetILNS1_3genE3ELNS1_11target_archE908ELNS1_3gpuE7ELNS1_3repE0EEENS1_30default_config_static_selectorELNS0_4arch9wavefront6targetE1EEEvT1_
	.p2align	8
	.type	_ZN7rocprim17ROCPRIM_400000_NS6detail17trampoline_kernelINS0_14default_configENS1_25partition_config_selectorILNS1_17partition_subalgoE2ExNS0_10empty_typeEbEEZZNS1_14partition_implILS5_2ELb0ES3_jN6thrust23THRUST_200600_302600_NS6detail15normal_iteratorINSA_7pointerIxNSA_11hip_rocprim3tagENSA_11use_defaultESG_EEEEPS6_NSA_18transform_iteratorI7is_evenIxENSC_INSA_10device_ptrIxEEEESG_SG_EENS0_5tupleIJPxSJ_EEENSR_IJSJ_SJ_EEES6_PlJS6_EEE10hipError_tPvRmT3_T4_T5_T6_T7_T9_mT8_P12ihipStream_tbDpT10_ENKUlT_T0_E_clISt17integral_constantIbLb0EES1E_IbLb1EEEEDaS1A_S1B_EUlS1A_E_NS1_11comp_targetILNS1_3genE3ELNS1_11target_archE908ELNS1_3gpuE7ELNS1_3repE0EEENS1_30default_config_static_selectorELNS0_4arch9wavefront6targetE1EEEvT1_,@function
_ZN7rocprim17ROCPRIM_400000_NS6detail17trampoline_kernelINS0_14default_configENS1_25partition_config_selectorILNS1_17partition_subalgoE2ExNS0_10empty_typeEbEEZZNS1_14partition_implILS5_2ELb0ES3_jN6thrust23THRUST_200600_302600_NS6detail15normal_iteratorINSA_7pointerIxNSA_11hip_rocprim3tagENSA_11use_defaultESG_EEEEPS6_NSA_18transform_iteratorI7is_evenIxENSC_INSA_10device_ptrIxEEEESG_SG_EENS0_5tupleIJPxSJ_EEENSR_IJSJ_SJ_EEES6_PlJS6_EEE10hipError_tPvRmT3_T4_T5_T6_T7_T9_mT8_P12ihipStream_tbDpT10_ENKUlT_T0_E_clISt17integral_constantIbLb0EES1E_IbLb1EEEEDaS1A_S1B_EUlS1A_E_NS1_11comp_targetILNS1_3genE3ELNS1_11target_archE908ELNS1_3gpuE7ELNS1_3repE0EEENS1_30default_config_static_selectorELNS0_4arch9wavefront6targetE1EEEvT1_: ; @_ZN7rocprim17ROCPRIM_400000_NS6detail17trampoline_kernelINS0_14default_configENS1_25partition_config_selectorILNS1_17partition_subalgoE2ExNS0_10empty_typeEbEEZZNS1_14partition_implILS5_2ELb0ES3_jN6thrust23THRUST_200600_302600_NS6detail15normal_iteratorINSA_7pointerIxNSA_11hip_rocprim3tagENSA_11use_defaultESG_EEEEPS6_NSA_18transform_iteratorI7is_evenIxENSC_INSA_10device_ptrIxEEEESG_SG_EENS0_5tupleIJPxSJ_EEENSR_IJSJ_SJ_EEES6_PlJS6_EEE10hipError_tPvRmT3_T4_T5_T6_T7_T9_mT8_P12ihipStream_tbDpT10_ENKUlT_T0_E_clISt17integral_constantIbLb0EES1E_IbLb1EEEEDaS1A_S1B_EUlS1A_E_NS1_11comp_targetILNS1_3genE3ELNS1_11target_archE908ELNS1_3gpuE7ELNS1_3repE0EEENS1_30default_config_static_selectorELNS0_4arch9wavefront6targetE1EEEvT1_
; %bb.0:
	.section	.rodata,"a",@progbits
	.p2align	6, 0x0
	.amdhsa_kernel _ZN7rocprim17ROCPRIM_400000_NS6detail17trampoline_kernelINS0_14default_configENS1_25partition_config_selectorILNS1_17partition_subalgoE2ExNS0_10empty_typeEbEEZZNS1_14partition_implILS5_2ELb0ES3_jN6thrust23THRUST_200600_302600_NS6detail15normal_iteratorINSA_7pointerIxNSA_11hip_rocprim3tagENSA_11use_defaultESG_EEEEPS6_NSA_18transform_iteratorI7is_evenIxENSC_INSA_10device_ptrIxEEEESG_SG_EENS0_5tupleIJPxSJ_EEENSR_IJSJ_SJ_EEES6_PlJS6_EEE10hipError_tPvRmT3_T4_T5_T6_T7_T9_mT8_P12ihipStream_tbDpT10_ENKUlT_T0_E_clISt17integral_constantIbLb0EES1E_IbLb1EEEEDaS1A_S1B_EUlS1A_E_NS1_11comp_targetILNS1_3genE3ELNS1_11target_archE908ELNS1_3gpuE7ELNS1_3repE0EEENS1_30default_config_static_selectorELNS0_4arch9wavefront6targetE1EEEvT1_
		.amdhsa_group_segment_fixed_size 0
		.amdhsa_private_segment_fixed_size 0
		.amdhsa_kernarg_size 144
		.amdhsa_user_sgpr_count 2
		.amdhsa_user_sgpr_dispatch_ptr 0
		.amdhsa_user_sgpr_queue_ptr 0
		.amdhsa_user_sgpr_kernarg_segment_ptr 1
		.amdhsa_user_sgpr_dispatch_id 0
		.amdhsa_user_sgpr_kernarg_preload_length 0
		.amdhsa_user_sgpr_kernarg_preload_offset 0
		.amdhsa_user_sgpr_private_segment_size 0
		.amdhsa_uses_dynamic_stack 0
		.amdhsa_enable_private_segment 0
		.amdhsa_system_sgpr_workgroup_id_x 1
		.amdhsa_system_sgpr_workgroup_id_y 0
		.amdhsa_system_sgpr_workgroup_id_z 0
		.amdhsa_system_sgpr_workgroup_info 0
		.amdhsa_system_vgpr_workitem_id 0
		.amdhsa_next_free_vgpr 1
		.amdhsa_next_free_sgpr 0
		.amdhsa_accum_offset 4
		.amdhsa_reserve_vcc 0
		.amdhsa_float_round_mode_32 0
		.amdhsa_float_round_mode_16_64 0
		.amdhsa_float_denorm_mode_32 3
		.amdhsa_float_denorm_mode_16_64 3
		.amdhsa_dx10_clamp 1
		.amdhsa_ieee_mode 1
		.amdhsa_fp16_overflow 0
		.amdhsa_tg_split 0
		.amdhsa_exception_fp_ieee_invalid_op 0
		.amdhsa_exception_fp_denorm_src 0
		.amdhsa_exception_fp_ieee_div_zero 0
		.amdhsa_exception_fp_ieee_overflow 0
		.amdhsa_exception_fp_ieee_underflow 0
		.amdhsa_exception_fp_ieee_inexact 0
		.amdhsa_exception_int_div_zero 0
	.end_amdhsa_kernel
	.section	.text._ZN7rocprim17ROCPRIM_400000_NS6detail17trampoline_kernelINS0_14default_configENS1_25partition_config_selectorILNS1_17partition_subalgoE2ExNS0_10empty_typeEbEEZZNS1_14partition_implILS5_2ELb0ES3_jN6thrust23THRUST_200600_302600_NS6detail15normal_iteratorINSA_7pointerIxNSA_11hip_rocprim3tagENSA_11use_defaultESG_EEEEPS6_NSA_18transform_iteratorI7is_evenIxENSC_INSA_10device_ptrIxEEEESG_SG_EENS0_5tupleIJPxSJ_EEENSR_IJSJ_SJ_EEES6_PlJS6_EEE10hipError_tPvRmT3_T4_T5_T6_T7_T9_mT8_P12ihipStream_tbDpT10_ENKUlT_T0_E_clISt17integral_constantIbLb0EES1E_IbLb1EEEEDaS1A_S1B_EUlS1A_E_NS1_11comp_targetILNS1_3genE3ELNS1_11target_archE908ELNS1_3gpuE7ELNS1_3repE0EEENS1_30default_config_static_selectorELNS0_4arch9wavefront6targetE1EEEvT1_,"axG",@progbits,_ZN7rocprim17ROCPRIM_400000_NS6detail17trampoline_kernelINS0_14default_configENS1_25partition_config_selectorILNS1_17partition_subalgoE2ExNS0_10empty_typeEbEEZZNS1_14partition_implILS5_2ELb0ES3_jN6thrust23THRUST_200600_302600_NS6detail15normal_iteratorINSA_7pointerIxNSA_11hip_rocprim3tagENSA_11use_defaultESG_EEEEPS6_NSA_18transform_iteratorI7is_evenIxENSC_INSA_10device_ptrIxEEEESG_SG_EENS0_5tupleIJPxSJ_EEENSR_IJSJ_SJ_EEES6_PlJS6_EEE10hipError_tPvRmT3_T4_T5_T6_T7_T9_mT8_P12ihipStream_tbDpT10_ENKUlT_T0_E_clISt17integral_constantIbLb0EES1E_IbLb1EEEEDaS1A_S1B_EUlS1A_E_NS1_11comp_targetILNS1_3genE3ELNS1_11target_archE908ELNS1_3gpuE7ELNS1_3repE0EEENS1_30default_config_static_selectorELNS0_4arch9wavefront6targetE1EEEvT1_,comdat
.Lfunc_end217:
	.size	_ZN7rocprim17ROCPRIM_400000_NS6detail17trampoline_kernelINS0_14default_configENS1_25partition_config_selectorILNS1_17partition_subalgoE2ExNS0_10empty_typeEbEEZZNS1_14partition_implILS5_2ELb0ES3_jN6thrust23THRUST_200600_302600_NS6detail15normal_iteratorINSA_7pointerIxNSA_11hip_rocprim3tagENSA_11use_defaultESG_EEEEPS6_NSA_18transform_iteratorI7is_evenIxENSC_INSA_10device_ptrIxEEEESG_SG_EENS0_5tupleIJPxSJ_EEENSR_IJSJ_SJ_EEES6_PlJS6_EEE10hipError_tPvRmT3_T4_T5_T6_T7_T9_mT8_P12ihipStream_tbDpT10_ENKUlT_T0_E_clISt17integral_constantIbLb0EES1E_IbLb1EEEEDaS1A_S1B_EUlS1A_E_NS1_11comp_targetILNS1_3genE3ELNS1_11target_archE908ELNS1_3gpuE7ELNS1_3repE0EEENS1_30default_config_static_selectorELNS0_4arch9wavefront6targetE1EEEvT1_, .Lfunc_end217-_ZN7rocprim17ROCPRIM_400000_NS6detail17trampoline_kernelINS0_14default_configENS1_25partition_config_selectorILNS1_17partition_subalgoE2ExNS0_10empty_typeEbEEZZNS1_14partition_implILS5_2ELb0ES3_jN6thrust23THRUST_200600_302600_NS6detail15normal_iteratorINSA_7pointerIxNSA_11hip_rocprim3tagENSA_11use_defaultESG_EEEEPS6_NSA_18transform_iteratorI7is_evenIxENSC_INSA_10device_ptrIxEEEESG_SG_EENS0_5tupleIJPxSJ_EEENSR_IJSJ_SJ_EEES6_PlJS6_EEE10hipError_tPvRmT3_T4_T5_T6_T7_T9_mT8_P12ihipStream_tbDpT10_ENKUlT_T0_E_clISt17integral_constantIbLb0EES1E_IbLb1EEEEDaS1A_S1B_EUlS1A_E_NS1_11comp_targetILNS1_3genE3ELNS1_11target_archE908ELNS1_3gpuE7ELNS1_3repE0EEENS1_30default_config_static_selectorELNS0_4arch9wavefront6targetE1EEEvT1_
                                        ; -- End function
	.section	.AMDGPU.csdata,"",@progbits
; Kernel info:
; codeLenInByte = 0
; NumSgprs: 6
; NumVgprs: 0
; NumAgprs: 0
; TotalNumVgprs: 0
; ScratchSize: 0
; MemoryBound: 0
; FloatMode: 240
; IeeeMode: 1
; LDSByteSize: 0 bytes/workgroup (compile time only)
; SGPRBlocks: 0
; VGPRBlocks: 0
; NumSGPRsForWavesPerEU: 6
; NumVGPRsForWavesPerEU: 1
; AccumOffset: 4
; Occupancy: 8
; WaveLimiterHint : 0
; COMPUTE_PGM_RSRC2:SCRATCH_EN: 0
; COMPUTE_PGM_RSRC2:USER_SGPR: 2
; COMPUTE_PGM_RSRC2:TRAP_HANDLER: 0
; COMPUTE_PGM_RSRC2:TGID_X_EN: 1
; COMPUTE_PGM_RSRC2:TGID_Y_EN: 0
; COMPUTE_PGM_RSRC2:TGID_Z_EN: 0
; COMPUTE_PGM_RSRC2:TIDIG_COMP_CNT: 0
; COMPUTE_PGM_RSRC3_GFX90A:ACCUM_OFFSET: 0
; COMPUTE_PGM_RSRC3_GFX90A:TG_SPLIT: 0
	.section	.text._ZN7rocprim17ROCPRIM_400000_NS6detail17trampoline_kernelINS0_14default_configENS1_25partition_config_selectorILNS1_17partition_subalgoE2ExNS0_10empty_typeEbEEZZNS1_14partition_implILS5_2ELb0ES3_jN6thrust23THRUST_200600_302600_NS6detail15normal_iteratorINSA_7pointerIxNSA_11hip_rocprim3tagENSA_11use_defaultESG_EEEEPS6_NSA_18transform_iteratorI7is_evenIxENSC_INSA_10device_ptrIxEEEESG_SG_EENS0_5tupleIJPxSJ_EEENSR_IJSJ_SJ_EEES6_PlJS6_EEE10hipError_tPvRmT3_T4_T5_T6_T7_T9_mT8_P12ihipStream_tbDpT10_ENKUlT_T0_E_clISt17integral_constantIbLb0EES1E_IbLb1EEEEDaS1A_S1B_EUlS1A_E_NS1_11comp_targetILNS1_3genE2ELNS1_11target_archE906ELNS1_3gpuE6ELNS1_3repE0EEENS1_30default_config_static_selectorELNS0_4arch9wavefront6targetE1EEEvT1_,"axG",@progbits,_ZN7rocprim17ROCPRIM_400000_NS6detail17trampoline_kernelINS0_14default_configENS1_25partition_config_selectorILNS1_17partition_subalgoE2ExNS0_10empty_typeEbEEZZNS1_14partition_implILS5_2ELb0ES3_jN6thrust23THRUST_200600_302600_NS6detail15normal_iteratorINSA_7pointerIxNSA_11hip_rocprim3tagENSA_11use_defaultESG_EEEEPS6_NSA_18transform_iteratorI7is_evenIxENSC_INSA_10device_ptrIxEEEESG_SG_EENS0_5tupleIJPxSJ_EEENSR_IJSJ_SJ_EEES6_PlJS6_EEE10hipError_tPvRmT3_T4_T5_T6_T7_T9_mT8_P12ihipStream_tbDpT10_ENKUlT_T0_E_clISt17integral_constantIbLb0EES1E_IbLb1EEEEDaS1A_S1B_EUlS1A_E_NS1_11comp_targetILNS1_3genE2ELNS1_11target_archE906ELNS1_3gpuE6ELNS1_3repE0EEENS1_30default_config_static_selectorELNS0_4arch9wavefront6targetE1EEEvT1_,comdat
	.protected	_ZN7rocprim17ROCPRIM_400000_NS6detail17trampoline_kernelINS0_14default_configENS1_25partition_config_selectorILNS1_17partition_subalgoE2ExNS0_10empty_typeEbEEZZNS1_14partition_implILS5_2ELb0ES3_jN6thrust23THRUST_200600_302600_NS6detail15normal_iteratorINSA_7pointerIxNSA_11hip_rocprim3tagENSA_11use_defaultESG_EEEEPS6_NSA_18transform_iteratorI7is_evenIxENSC_INSA_10device_ptrIxEEEESG_SG_EENS0_5tupleIJPxSJ_EEENSR_IJSJ_SJ_EEES6_PlJS6_EEE10hipError_tPvRmT3_T4_T5_T6_T7_T9_mT8_P12ihipStream_tbDpT10_ENKUlT_T0_E_clISt17integral_constantIbLb0EES1E_IbLb1EEEEDaS1A_S1B_EUlS1A_E_NS1_11comp_targetILNS1_3genE2ELNS1_11target_archE906ELNS1_3gpuE6ELNS1_3repE0EEENS1_30default_config_static_selectorELNS0_4arch9wavefront6targetE1EEEvT1_ ; -- Begin function _ZN7rocprim17ROCPRIM_400000_NS6detail17trampoline_kernelINS0_14default_configENS1_25partition_config_selectorILNS1_17partition_subalgoE2ExNS0_10empty_typeEbEEZZNS1_14partition_implILS5_2ELb0ES3_jN6thrust23THRUST_200600_302600_NS6detail15normal_iteratorINSA_7pointerIxNSA_11hip_rocprim3tagENSA_11use_defaultESG_EEEEPS6_NSA_18transform_iteratorI7is_evenIxENSC_INSA_10device_ptrIxEEEESG_SG_EENS0_5tupleIJPxSJ_EEENSR_IJSJ_SJ_EEES6_PlJS6_EEE10hipError_tPvRmT3_T4_T5_T6_T7_T9_mT8_P12ihipStream_tbDpT10_ENKUlT_T0_E_clISt17integral_constantIbLb0EES1E_IbLb1EEEEDaS1A_S1B_EUlS1A_E_NS1_11comp_targetILNS1_3genE2ELNS1_11target_archE906ELNS1_3gpuE6ELNS1_3repE0EEENS1_30default_config_static_selectorELNS0_4arch9wavefront6targetE1EEEvT1_
	.globl	_ZN7rocprim17ROCPRIM_400000_NS6detail17trampoline_kernelINS0_14default_configENS1_25partition_config_selectorILNS1_17partition_subalgoE2ExNS0_10empty_typeEbEEZZNS1_14partition_implILS5_2ELb0ES3_jN6thrust23THRUST_200600_302600_NS6detail15normal_iteratorINSA_7pointerIxNSA_11hip_rocprim3tagENSA_11use_defaultESG_EEEEPS6_NSA_18transform_iteratorI7is_evenIxENSC_INSA_10device_ptrIxEEEESG_SG_EENS0_5tupleIJPxSJ_EEENSR_IJSJ_SJ_EEES6_PlJS6_EEE10hipError_tPvRmT3_T4_T5_T6_T7_T9_mT8_P12ihipStream_tbDpT10_ENKUlT_T0_E_clISt17integral_constantIbLb0EES1E_IbLb1EEEEDaS1A_S1B_EUlS1A_E_NS1_11comp_targetILNS1_3genE2ELNS1_11target_archE906ELNS1_3gpuE6ELNS1_3repE0EEENS1_30default_config_static_selectorELNS0_4arch9wavefront6targetE1EEEvT1_
	.p2align	8
	.type	_ZN7rocprim17ROCPRIM_400000_NS6detail17trampoline_kernelINS0_14default_configENS1_25partition_config_selectorILNS1_17partition_subalgoE2ExNS0_10empty_typeEbEEZZNS1_14partition_implILS5_2ELb0ES3_jN6thrust23THRUST_200600_302600_NS6detail15normal_iteratorINSA_7pointerIxNSA_11hip_rocprim3tagENSA_11use_defaultESG_EEEEPS6_NSA_18transform_iteratorI7is_evenIxENSC_INSA_10device_ptrIxEEEESG_SG_EENS0_5tupleIJPxSJ_EEENSR_IJSJ_SJ_EEES6_PlJS6_EEE10hipError_tPvRmT3_T4_T5_T6_T7_T9_mT8_P12ihipStream_tbDpT10_ENKUlT_T0_E_clISt17integral_constantIbLb0EES1E_IbLb1EEEEDaS1A_S1B_EUlS1A_E_NS1_11comp_targetILNS1_3genE2ELNS1_11target_archE906ELNS1_3gpuE6ELNS1_3repE0EEENS1_30default_config_static_selectorELNS0_4arch9wavefront6targetE1EEEvT1_,@function
_ZN7rocprim17ROCPRIM_400000_NS6detail17trampoline_kernelINS0_14default_configENS1_25partition_config_selectorILNS1_17partition_subalgoE2ExNS0_10empty_typeEbEEZZNS1_14partition_implILS5_2ELb0ES3_jN6thrust23THRUST_200600_302600_NS6detail15normal_iteratorINSA_7pointerIxNSA_11hip_rocprim3tagENSA_11use_defaultESG_EEEEPS6_NSA_18transform_iteratorI7is_evenIxENSC_INSA_10device_ptrIxEEEESG_SG_EENS0_5tupleIJPxSJ_EEENSR_IJSJ_SJ_EEES6_PlJS6_EEE10hipError_tPvRmT3_T4_T5_T6_T7_T9_mT8_P12ihipStream_tbDpT10_ENKUlT_T0_E_clISt17integral_constantIbLb0EES1E_IbLb1EEEEDaS1A_S1B_EUlS1A_E_NS1_11comp_targetILNS1_3genE2ELNS1_11target_archE906ELNS1_3gpuE6ELNS1_3repE0EEENS1_30default_config_static_selectorELNS0_4arch9wavefront6targetE1EEEvT1_: ; @_ZN7rocprim17ROCPRIM_400000_NS6detail17trampoline_kernelINS0_14default_configENS1_25partition_config_selectorILNS1_17partition_subalgoE2ExNS0_10empty_typeEbEEZZNS1_14partition_implILS5_2ELb0ES3_jN6thrust23THRUST_200600_302600_NS6detail15normal_iteratorINSA_7pointerIxNSA_11hip_rocprim3tagENSA_11use_defaultESG_EEEEPS6_NSA_18transform_iteratorI7is_evenIxENSC_INSA_10device_ptrIxEEEESG_SG_EENS0_5tupleIJPxSJ_EEENSR_IJSJ_SJ_EEES6_PlJS6_EEE10hipError_tPvRmT3_T4_T5_T6_T7_T9_mT8_P12ihipStream_tbDpT10_ENKUlT_T0_E_clISt17integral_constantIbLb0EES1E_IbLb1EEEEDaS1A_S1B_EUlS1A_E_NS1_11comp_targetILNS1_3genE2ELNS1_11target_archE906ELNS1_3gpuE6ELNS1_3repE0EEENS1_30default_config_static_selectorELNS0_4arch9wavefront6targetE1EEEvT1_
; %bb.0:
	.section	.rodata,"a",@progbits
	.p2align	6, 0x0
	.amdhsa_kernel _ZN7rocprim17ROCPRIM_400000_NS6detail17trampoline_kernelINS0_14default_configENS1_25partition_config_selectorILNS1_17partition_subalgoE2ExNS0_10empty_typeEbEEZZNS1_14partition_implILS5_2ELb0ES3_jN6thrust23THRUST_200600_302600_NS6detail15normal_iteratorINSA_7pointerIxNSA_11hip_rocprim3tagENSA_11use_defaultESG_EEEEPS6_NSA_18transform_iteratorI7is_evenIxENSC_INSA_10device_ptrIxEEEESG_SG_EENS0_5tupleIJPxSJ_EEENSR_IJSJ_SJ_EEES6_PlJS6_EEE10hipError_tPvRmT3_T4_T5_T6_T7_T9_mT8_P12ihipStream_tbDpT10_ENKUlT_T0_E_clISt17integral_constantIbLb0EES1E_IbLb1EEEEDaS1A_S1B_EUlS1A_E_NS1_11comp_targetILNS1_3genE2ELNS1_11target_archE906ELNS1_3gpuE6ELNS1_3repE0EEENS1_30default_config_static_selectorELNS0_4arch9wavefront6targetE1EEEvT1_
		.amdhsa_group_segment_fixed_size 0
		.amdhsa_private_segment_fixed_size 0
		.amdhsa_kernarg_size 144
		.amdhsa_user_sgpr_count 2
		.amdhsa_user_sgpr_dispatch_ptr 0
		.amdhsa_user_sgpr_queue_ptr 0
		.amdhsa_user_sgpr_kernarg_segment_ptr 1
		.amdhsa_user_sgpr_dispatch_id 0
		.amdhsa_user_sgpr_kernarg_preload_length 0
		.amdhsa_user_sgpr_kernarg_preload_offset 0
		.amdhsa_user_sgpr_private_segment_size 0
		.amdhsa_uses_dynamic_stack 0
		.amdhsa_enable_private_segment 0
		.amdhsa_system_sgpr_workgroup_id_x 1
		.amdhsa_system_sgpr_workgroup_id_y 0
		.amdhsa_system_sgpr_workgroup_id_z 0
		.amdhsa_system_sgpr_workgroup_info 0
		.amdhsa_system_vgpr_workitem_id 0
		.amdhsa_next_free_vgpr 1
		.amdhsa_next_free_sgpr 0
		.amdhsa_accum_offset 4
		.amdhsa_reserve_vcc 0
		.amdhsa_float_round_mode_32 0
		.amdhsa_float_round_mode_16_64 0
		.amdhsa_float_denorm_mode_32 3
		.amdhsa_float_denorm_mode_16_64 3
		.amdhsa_dx10_clamp 1
		.amdhsa_ieee_mode 1
		.amdhsa_fp16_overflow 0
		.amdhsa_tg_split 0
		.amdhsa_exception_fp_ieee_invalid_op 0
		.amdhsa_exception_fp_denorm_src 0
		.amdhsa_exception_fp_ieee_div_zero 0
		.amdhsa_exception_fp_ieee_overflow 0
		.amdhsa_exception_fp_ieee_underflow 0
		.amdhsa_exception_fp_ieee_inexact 0
		.amdhsa_exception_int_div_zero 0
	.end_amdhsa_kernel
	.section	.text._ZN7rocprim17ROCPRIM_400000_NS6detail17trampoline_kernelINS0_14default_configENS1_25partition_config_selectorILNS1_17partition_subalgoE2ExNS0_10empty_typeEbEEZZNS1_14partition_implILS5_2ELb0ES3_jN6thrust23THRUST_200600_302600_NS6detail15normal_iteratorINSA_7pointerIxNSA_11hip_rocprim3tagENSA_11use_defaultESG_EEEEPS6_NSA_18transform_iteratorI7is_evenIxENSC_INSA_10device_ptrIxEEEESG_SG_EENS0_5tupleIJPxSJ_EEENSR_IJSJ_SJ_EEES6_PlJS6_EEE10hipError_tPvRmT3_T4_T5_T6_T7_T9_mT8_P12ihipStream_tbDpT10_ENKUlT_T0_E_clISt17integral_constantIbLb0EES1E_IbLb1EEEEDaS1A_S1B_EUlS1A_E_NS1_11comp_targetILNS1_3genE2ELNS1_11target_archE906ELNS1_3gpuE6ELNS1_3repE0EEENS1_30default_config_static_selectorELNS0_4arch9wavefront6targetE1EEEvT1_,"axG",@progbits,_ZN7rocprim17ROCPRIM_400000_NS6detail17trampoline_kernelINS0_14default_configENS1_25partition_config_selectorILNS1_17partition_subalgoE2ExNS0_10empty_typeEbEEZZNS1_14partition_implILS5_2ELb0ES3_jN6thrust23THRUST_200600_302600_NS6detail15normal_iteratorINSA_7pointerIxNSA_11hip_rocprim3tagENSA_11use_defaultESG_EEEEPS6_NSA_18transform_iteratorI7is_evenIxENSC_INSA_10device_ptrIxEEEESG_SG_EENS0_5tupleIJPxSJ_EEENSR_IJSJ_SJ_EEES6_PlJS6_EEE10hipError_tPvRmT3_T4_T5_T6_T7_T9_mT8_P12ihipStream_tbDpT10_ENKUlT_T0_E_clISt17integral_constantIbLb0EES1E_IbLb1EEEEDaS1A_S1B_EUlS1A_E_NS1_11comp_targetILNS1_3genE2ELNS1_11target_archE906ELNS1_3gpuE6ELNS1_3repE0EEENS1_30default_config_static_selectorELNS0_4arch9wavefront6targetE1EEEvT1_,comdat
.Lfunc_end218:
	.size	_ZN7rocprim17ROCPRIM_400000_NS6detail17trampoline_kernelINS0_14default_configENS1_25partition_config_selectorILNS1_17partition_subalgoE2ExNS0_10empty_typeEbEEZZNS1_14partition_implILS5_2ELb0ES3_jN6thrust23THRUST_200600_302600_NS6detail15normal_iteratorINSA_7pointerIxNSA_11hip_rocprim3tagENSA_11use_defaultESG_EEEEPS6_NSA_18transform_iteratorI7is_evenIxENSC_INSA_10device_ptrIxEEEESG_SG_EENS0_5tupleIJPxSJ_EEENSR_IJSJ_SJ_EEES6_PlJS6_EEE10hipError_tPvRmT3_T4_T5_T6_T7_T9_mT8_P12ihipStream_tbDpT10_ENKUlT_T0_E_clISt17integral_constantIbLb0EES1E_IbLb1EEEEDaS1A_S1B_EUlS1A_E_NS1_11comp_targetILNS1_3genE2ELNS1_11target_archE906ELNS1_3gpuE6ELNS1_3repE0EEENS1_30default_config_static_selectorELNS0_4arch9wavefront6targetE1EEEvT1_, .Lfunc_end218-_ZN7rocprim17ROCPRIM_400000_NS6detail17trampoline_kernelINS0_14default_configENS1_25partition_config_selectorILNS1_17partition_subalgoE2ExNS0_10empty_typeEbEEZZNS1_14partition_implILS5_2ELb0ES3_jN6thrust23THRUST_200600_302600_NS6detail15normal_iteratorINSA_7pointerIxNSA_11hip_rocprim3tagENSA_11use_defaultESG_EEEEPS6_NSA_18transform_iteratorI7is_evenIxENSC_INSA_10device_ptrIxEEEESG_SG_EENS0_5tupleIJPxSJ_EEENSR_IJSJ_SJ_EEES6_PlJS6_EEE10hipError_tPvRmT3_T4_T5_T6_T7_T9_mT8_P12ihipStream_tbDpT10_ENKUlT_T0_E_clISt17integral_constantIbLb0EES1E_IbLb1EEEEDaS1A_S1B_EUlS1A_E_NS1_11comp_targetILNS1_3genE2ELNS1_11target_archE906ELNS1_3gpuE6ELNS1_3repE0EEENS1_30default_config_static_selectorELNS0_4arch9wavefront6targetE1EEEvT1_
                                        ; -- End function
	.section	.AMDGPU.csdata,"",@progbits
; Kernel info:
; codeLenInByte = 0
; NumSgprs: 6
; NumVgprs: 0
; NumAgprs: 0
; TotalNumVgprs: 0
; ScratchSize: 0
; MemoryBound: 0
; FloatMode: 240
; IeeeMode: 1
; LDSByteSize: 0 bytes/workgroup (compile time only)
; SGPRBlocks: 0
; VGPRBlocks: 0
; NumSGPRsForWavesPerEU: 6
; NumVGPRsForWavesPerEU: 1
; AccumOffset: 4
; Occupancy: 8
; WaveLimiterHint : 0
; COMPUTE_PGM_RSRC2:SCRATCH_EN: 0
; COMPUTE_PGM_RSRC2:USER_SGPR: 2
; COMPUTE_PGM_RSRC2:TRAP_HANDLER: 0
; COMPUTE_PGM_RSRC2:TGID_X_EN: 1
; COMPUTE_PGM_RSRC2:TGID_Y_EN: 0
; COMPUTE_PGM_RSRC2:TGID_Z_EN: 0
; COMPUTE_PGM_RSRC2:TIDIG_COMP_CNT: 0
; COMPUTE_PGM_RSRC3_GFX90A:ACCUM_OFFSET: 0
; COMPUTE_PGM_RSRC3_GFX90A:TG_SPLIT: 0
	.section	.text._ZN7rocprim17ROCPRIM_400000_NS6detail17trampoline_kernelINS0_14default_configENS1_25partition_config_selectorILNS1_17partition_subalgoE2ExNS0_10empty_typeEbEEZZNS1_14partition_implILS5_2ELb0ES3_jN6thrust23THRUST_200600_302600_NS6detail15normal_iteratorINSA_7pointerIxNSA_11hip_rocprim3tagENSA_11use_defaultESG_EEEEPS6_NSA_18transform_iteratorI7is_evenIxENSC_INSA_10device_ptrIxEEEESG_SG_EENS0_5tupleIJPxSJ_EEENSR_IJSJ_SJ_EEES6_PlJS6_EEE10hipError_tPvRmT3_T4_T5_T6_T7_T9_mT8_P12ihipStream_tbDpT10_ENKUlT_T0_E_clISt17integral_constantIbLb0EES1E_IbLb1EEEEDaS1A_S1B_EUlS1A_E_NS1_11comp_targetILNS1_3genE10ELNS1_11target_archE1200ELNS1_3gpuE4ELNS1_3repE0EEENS1_30default_config_static_selectorELNS0_4arch9wavefront6targetE1EEEvT1_,"axG",@progbits,_ZN7rocprim17ROCPRIM_400000_NS6detail17trampoline_kernelINS0_14default_configENS1_25partition_config_selectorILNS1_17partition_subalgoE2ExNS0_10empty_typeEbEEZZNS1_14partition_implILS5_2ELb0ES3_jN6thrust23THRUST_200600_302600_NS6detail15normal_iteratorINSA_7pointerIxNSA_11hip_rocprim3tagENSA_11use_defaultESG_EEEEPS6_NSA_18transform_iteratorI7is_evenIxENSC_INSA_10device_ptrIxEEEESG_SG_EENS0_5tupleIJPxSJ_EEENSR_IJSJ_SJ_EEES6_PlJS6_EEE10hipError_tPvRmT3_T4_T5_T6_T7_T9_mT8_P12ihipStream_tbDpT10_ENKUlT_T0_E_clISt17integral_constantIbLb0EES1E_IbLb1EEEEDaS1A_S1B_EUlS1A_E_NS1_11comp_targetILNS1_3genE10ELNS1_11target_archE1200ELNS1_3gpuE4ELNS1_3repE0EEENS1_30default_config_static_selectorELNS0_4arch9wavefront6targetE1EEEvT1_,comdat
	.protected	_ZN7rocprim17ROCPRIM_400000_NS6detail17trampoline_kernelINS0_14default_configENS1_25partition_config_selectorILNS1_17partition_subalgoE2ExNS0_10empty_typeEbEEZZNS1_14partition_implILS5_2ELb0ES3_jN6thrust23THRUST_200600_302600_NS6detail15normal_iteratorINSA_7pointerIxNSA_11hip_rocprim3tagENSA_11use_defaultESG_EEEEPS6_NSA_18transform_iteratorI7is_evenIxENSC_INSA_10device_ptrIxEEEESG_SG_EENS0_5tupleIJPxSJ_EEENSR_IJSJ_SJ_EEES6_PlJS6_EEE10hipError_tPvRmT3_T4_T5_T6_T7_T9_mT8_P12ihipStream_tbDpT10_ENKUlT_T0_E_clISt17integral_constantIbLb0EES1E_IbLb1EEEEDaS1A_S1B_EUlS1A_E_NS1_11comp_targetILNS1_3genE10ELNS1_11target_archE1200ELNS1_3gpuE4ELNS1_3repE0EEENS1_30default_config_static_selectorELNS0_4arch9wavefront6targetE1EEEvT1_ ; -- Begin function _ZN7rocprim17ROCPRIM_400000_NS6detail17trampoline_kernelINS0_14default_configENS1_25partition_config_selectorILNS1_17partition_subalgoE2ExNS0_10empty_typeEbEEZZNS1_14partition_implILS5_2ELb0ES3_jN6thrust23THRUST_200600_302600_NS6detail15normal_iteratorINSA_7pointerIxNSA_11hip_rocprim3tagENSA_11use_defaultESG_EEEEPS6_NSA_18transform_iteratorI7is_evenIxENSC_INSA_10device_ptrIxEEEESG_SG_EENS0_5tupleIJPxSJ_EEENSR_IJSJ_SJ_EEES6_PlJS6_EEE10hipError_tPvRmT3_T4_T5_T6_T7_T9_mT8_P12ihipStream_tbDpT10_ENKUlT_T0_E_clISt17integral_constantIbLb0EES1E_IbLb1EEEEDaS1A_S1B_EUlS1A_E_NS1_11comp_targetILNS1_3genE10ELNS1_11target_archE1200ELNS1_3gpuE4ELNS1_3repE0EEENS1_30default_config_static_selectorELNS0_4arch9wavefront6targetE1EEEvT1_
	.globl	_ZN7rocprim17ROCPRIM_400000_NS6detail17trampoline_kernelINS0_14default_configENS1_25partition_config_selectorILNS1_17partition_subalgoE2ExNS0_10empty_typeEbEEZZNS1_14partition_implILS5_2ELb0ES3_jN6thrust23THRUST_200600_302600_NS6detail15normal_iteratorINSA_7pointerIxNSA_11hip_rocprim3tagENSA_11use_defaultESG_EEEEPS6_NSA_18transform_iteratorI7is_evenIxENSC_INSA_10device_ptrIxEEEESG_SG_EENS0_5tupleIJPxSJ_EEENSR_IJSJ_SJ_EEES6_PlJS6_EEE10hipError_tPvRmT3_T4_T5_T6_T7_T9_mT8_P12ihipStream_tbDpT10_ENKUlT_T0_E_clISt17integral_constantIbLb0EES1E_IbLb1EEEEDaS1A_S1B_EUlS1A_E_NS1_11comp_targetILNS1_3genE10ELNS1_11target_archE1200ELNS1_3gpuE4ELNS1_3repE0EEENS1_30default_config_static_selectorELNS0_4arch9wavefront6targetE1EEEvT1_
	.p2align	8
	.type	_ZN7rocprim17ROCPRIM_400000_NS6detail17trampoline_kernelINS0_14default_configENS1_25partition_config_selectorILNS1_17partition_subalgoE2ExNS0_10empty_typeEbEEZZNS1_14partition_implILS5_2ELb0ES3_jN6thrust23THRUST_200600_302600_NS6detail15normal_iteratorINSA_7pointerIxNSA_11hip_rocprim3tagENSA_11use_defaultESG_EEEEPS6_NSA_18transform_iteratorI7is_evenIxENSC_INSA_10device_ptrIxEEEESG_SG_EENS0_5tupleIJPxSJ_EEENSR_IJSJ_SJ_EEES6_PlJS6_EEE10hipError_tPvRmT3_T4_T5_T6_T7_T9_mT8_P12ihipStream_tbDpT10_ENKUlT_T0_E_clISt17integral_constantIbLb0EES1E_IbLb1EEEEDaS1A_S1B_EUlS1A_E_NS1_11comp_targetILNS1_3genE10ELNS1_11target_archE1200ELNS1_3gpuE4ELNS1_3repE0EEENS1_30default_config_static_selectorELNS0_4arch9wavefront6targetE1EEEvT1_,@function
_ZN7rocprim17ROCPRIM_400000_NS6detail17trampoline_kernelINS0_14default_configENS1_25partition_config_selectorILNS1_17partition_subalgoE2ExNS0_10empty_typeEbEEZZNS1_14partition_implILS5_2ELb0ES3_jN6thrust23THRUST_200600_302600_NS6detail15normal_iteratorINSA_7pointerIxNSA_11hip_rocprim3tagENSA_11use_defaultESG_EEEEPS6_NSA_18transform_iteratorI7is_evenIxENSC_INSA_10device_ptrIxEEEESG_SG_EENS0_5tupleIJPxSJ_EEENSR_IJSJ_SJ_EEES6_PlJS6_EEE10hipError_tPvRmT3_T4_T5_T6_T7_T9_mT8_P12ihipStream_tbDpT10_ENKUlT_T0_E_clISt17integral_constantIbLb0EES1E_IbLb1EEEEDaS1A_S1B_EUlS1A_E_NS1_11comp_targetILNS1_3genE10ELNS1_11target_archE1200ELNS1_3gpuE4ELNS1_3repE0EEENS1_30default_config_static_selectorELNS0_4arch9wavefront6targetE1EEEvT1_: ; @_ZN7rocprim17ROCPRIM_400000_NS6detail17trampoline_kernelINS0_14default_configENS1_25partition_config_selectorILNS1_17partition_subalgoE2ExNS0_10empty_typeEbEEZZNS1_14partition_implILS5_2ELb0ES3_jN6thrust23THRUST_200600_302600_NS6detail15normal_iteratorINSA_7pointerIxNSA_11hip_rocprim3tagENSA_11use_defaultESG_EEEEPS6_NSA_18transform_iteratorI7is_evenIxENSC_INSA_10device_ptrIxEEEESG_SG_EENS0_5tupleIJPxSJ_EEENSR_IJSJ_SJ_EEES6_PlJS6_EEE10hipError_tPvRmT3_T4_T5_T6_T7_T9_mT8_P12ihipStream_tbDpT10_ENKUlT_T0_E_clISt17integral_constantIbLb0EES1E_IbLb1EEEEDaS1A_S1B_EUlS1A_E_NS1_11comp_targetILNS1_3genE10ELNS1_11target_archE1200ELNS1_3gpuE4ELNS1_3repE0EEENS1_30default_config_static_selectorELNS0_4arch9wavefront6targetE1EEEvT1_
; %bb.0:
	.section	.rodata,"a",@progbits
	.p2align	6, 0x0
	.amdhsa_kernel _ZN7rocprim17ROCPRIM_400000_NS6detail17trampoline_kernelINS0_14default_configENS1_25partition_config_selectorILNS1_17partition_subalgoE2ExNS0_10empty_typeEbEEZZNS1_14partition_implILS5_2ELb0ES3_jN6thrust23THRUST_200600_302600_NS6detail15normal_iteratorINSA_7pointerIxNSA_11hip_rocprim3tagENSA_11use_defaultESG_EEEEPS6_NSA_18transform_iteratorI7is_evenIxENSC_INSA_10device_ptrIxEEEESG_SG_EENS0_5tupleIJPxSJ_EEENSR_IJSJ_SJ_EEES6_PlJS6_EEE10hipError_tPvRmT3_T4_T5_T6_T7_T9_mT8_P12ihipStream_tbDpT10_ENKUlT_T0_E_clISt17integral_constantIbLb0EES1E_IbLb1EEEEDaS1A_S1B_EUlS1A_E_NS1_11comp_targetILNS1_3genE10ELNS1_11target_archE1200ELNS1_3gpuE4ELNS1_3repE0EEENS1_30default_config_static_selectorELNS0_4arch9wavefront6targetE1EEEvT1_
		.amdhsa_group_segment_fixed_size 0
		.amdhsa_private_segment_fixed_size 0
		.amdhsa_kernarg_size 144
		.amdhsa_user_sgpr_count 2
		.amdhsa_user_sgpr_dispatch_ptr 0
		.amdhsa_user_sgpr_queue_ptr 0
		.amdhsa_user_sgpr_kernarg_segment_ptr 1
		.amdhsa_user_sgpr_dispatch_id 0
		.amdhsa_user_sgpr_kernarg_preload_length 0
		.amdhsa_user_sgpr_kernarg_preload_offset 0
		.amdhsa_user_sgpr_private_segment_size 0
		.amdhsa_uses_dynamic_stack 0
		.amdhsa_enable_private_segment 0
		.amdhsa_system_sgpr_workgroup_id_x 1
		.amdhsa_system_sgpr_workgroup_id_y 0
		.amdhsa_system_sgpr_workgroup_id_z 0
		.amdhsa_system_sgpr_workgroup_info 0
		.amdhsa_system_vgpr_workitem_id 0
		.amdhsa_next_free_vgpr 1
		.amdhsa_next_free_sgpr 0
		.amdhsa_accum_offset 4
		.amdhsa_reserve_vcc 0
		.amdhsa_float_round_mode_32 0
		.amdhsa_float_round_mode_16_64 0
		.amdhsa_float_denorm_mode_32 3
		.amdhsa_float_denorm_mode_16_64 3
		.amdhsa_dx10_clamp 1
		.amdhsa_ieee_mode 1
		.amdhsa_fp16_overflow 0
		.amdhsa_tg_split 0
		.amdhsa_exception_fp_ieee_invalid_op 0
		.amdhsa_exception_fp_denorm_src 0
		.amdhsa_exception_fp_ieee_div_zero 0
		.amdhsa_exception_fp_ieee_overflow 0
		.amdhsa_exception_fp_ieee_underflow 0
		.amdhsa_exception_fp_ieee_inexact 0
		.amdhsa_exception_int_div_zero 0
	.end_amdhsa_kernel
	.section	.text._ZN7rocprim17ROCPRIM_400000_NS6detail17trampoline_kernelINS0_14default_configENS1_25partition_config_selectorILNS1_17partition_subalgoE2ExNS0_10empty_typeEbEEZZNS1_14partition_implILS5_2ELb0ES3_jN6thrust23THRUST_200600_302600_NS6detail15normal_iteratorINSA_7pointerIxNSA_11hip_rocprim3tagENSA_11use_defaultESG_EEEEPS6_NSA_18transform_iteratorI7is_evenIxENSC_INSA_10device_ptrIxEEEESG_SG_EENS0_5tupleIJPxSJ_EEENSR_IJSJ_SJ_EEES6_PlJS6_EEE10hipError_tPvRmT3_T4_T5_T6_T7_T9_mT8_P12ihipStream_tbDpT10_ENKUlT_T0_E_clISt17integral_constantIbLb0EES1E_IbLb1EEEEDaS1A_S1B_EUlS1A_E_NS1_11comp_targetILNS1_3genE10ELNS1_11target_archE1200ELNS1_3gpuE4ELNS1_3repE0EEENS1_30default_config_static_selectorELNS0_4arch9wavefront6targetE1EEEvT1_,"axG",@progbits,_ZN7rocprim17ROCPRIM_400000_NS6detail17trampoline_kernelINS0_14default_configENS1_25partition_config_selectorILNS1_17partition_subalgoE2ExNS0_10empty_typeEbEEZZNS1_14partition_implILS5_2ELb0ES3_jN6thrust23THRUST_200600_302600_NS6detail15normal_iteratorINSA_7pointerIxNSA_11hip_rocprim3tagENSA_11use_defaultESG_EEEEPS6_NSA_18transform_iteratorI7is_evenIxENSC_INSA_10device_ptrIxEEEESG_SG_EENS0_5tupleIJPxSJ_EEENSR_IJSJ_SJ_EEES6_PlJS6_EEE10hipError_tPvRmT3_T4_T5_T6_T7_T9_mT8_P12ihipStream_tbDpT10_ENKUlT_T0_E_clISt17integral_constantIbLb0EES1E_IbLb1EEEEDaS1A_S1B_EUlS1A_E_NS1_11comp_targetILNS1_3genE10ELNS1_11target_archE1200ELNS1_3gpuE4ELNS1_3repE0EEENS1_30default_config_static_selectorELNS0_4arch9wavefront6targetE1EEEvT1_,comdat
.Lfunc_end219:
	.size	_ZN7rocprim17ROCPRIM_400000_NS6detail17trampoline_kernelINS0_14default_configENS1_25partition_config_selectorILNS1_17partition_subalgoE2ExNS0_10empty_typeEbEEZZNS1_14partition_implILS5_2ELb0ES3_jN6thrust23THRUST_200600_302600_NS6detail15normal_iteratorINSA_7pointerIxNSA_11hip_rocprim3tagENSA_11use_defaultESG_EEEEPS6_NSA_18transform_iteratorI7is_evenIxENSC_INSA_10device_ptrIxEEEESG_SG_EENS0_5tupleIJPxSJ_EEENSR_IJSJ_SJ_EEES6_PlJS6_EEE10hipError_tPvRmT3_T4_T5_T6_T7_T9_mT8_P12ihipStream_tbDpT10_ENKUlT_T0_E_clISt17integral_constantIbLb0EES1E_IbLb1EEEEDaS1A_S1B_EUlS1A_E_NS1_11comp_targetILNS1_3genE10ELNS1_11target_archE1200ELNS1_3gpuE4ELNS1_3repE0EEENS1_30default_config_static_selectorELNS0_4arch9wavefront6targetE1EEEvT1_, .Lfunc_end219-_ZN7rocprim17ROCPRIM_400000_NS6detail17trampoline_kernelINS0_14default_configENS1_25partition_config_selectorILNS1_17partition_subalgoE2ExNS0_10empty_typeEbEEZZNS1_14partition_implILS5_2ELb0ES3_jN6thrust23THRUST_200600_302600_NS6detail15normal_iteratorINSA_7pointerIxNSA_11hip_rocprim3tagENSA_11use_defaultESG_EEEEPS6_NSA_18transform_iteratorI7is_evenIxENSC_INSA_10device_ptrIxEEEESG_SG_EENS0_5tupleIJPxSJ_EEENSR_IJSJ_SJ_EEES6_PlJS6_EEE10hipError_tPvRmT3_T4_T5_T6_T7_T9_mT8_P12ihipStream_tbDpT10_ENKUlT_T0_E_clISt17integral_constantIbLb0EES1E_IbLb1EEEEDaS1A_S1B_EUlS1A_E_NS1_11comp_targetILNS1_3genE10ELNS1_11target_archE1200ELNS1_3gpuE4ELNS1_3repE0EEENS1_30default_config_static_selectorELNS0_4arch9wavefront6targetE1EEEvT1_
                                        ; -- End function
	.section	.AMDGPU.csdata,"",@progbits
; Kernel info:
; codeLenInByte = 0
; NumSgprs: 6
; NumVgprs: 0
; NumAgprs: 0
; TotalNumVgprs: 0
; ScratchSize: 0
; MemoryBound: 0
; FloatMode: 240
; IeeeMode: 1
; LDSByteSize: 0 bytes/workgroup (compile time only)
; SGPRBlocks: 0
; VGPRBlocks: 0
; NumSGPRsForWavesPerEU: 6
; NumVGPRsForWavesPerEU: 1
; AccumOffset: 4
; Occupancy: 8
; WaveLimiterHint : 0
; COMPUTE_PGM_RSRC2:SCRATCH_EN: 0
; COMPUTE_PGM_RSRC2:USER_SGPR: 2
; COMPUTE_PGM_RSRC2:TRAP_HANDLER: 0
; COMPUTE_PGM_RSRC2:TGID_X_EN: 1
; COMPUTE_PGM_RSRC2:TGID_Y_EN: 0
; COMPUTE_PGM_RSRC2:TGID_Z_EN: 0
; COMPUTE_PGM_RSRC2:TIDIG_COMP_CNT: 0
; COMPUTE_PGM_RSRC3_GFX90A:ACCUM_OFFSET: 0
; COMPUTE_PGM_RSRC3_GFX90A:TG_SPLIT: 0
	.section	.text._ZN7rocprim17ROCPRIM_400000_NS6detail17trampoline_kernelINS0_14default_configENS1_25partition_config_selectorILNS1_17partition_subalgoE2ExNS0_10empty_typeEbEEZZNS1_14partition_implILS5_2ELb0ES3_jN6thrust23THRUST_200600_302600_NS6detail15normal_iteratorINSA_7pointerIxNSA_11hip_rocprim3tagENSA_11use_defaultESG_EEEEPS6_NSA_18transform_iteratorI7is_evenIxENSC_INSA_10device_ptrIxEEEESG_SG_EENS0_5tupleIJPxSJ_EEENSR_IJSJ_SJ_EEES6_PlJS6_EEE10hipError_tPvRmT3_T4_T5_T6_T7_T9_mT8_P12ihipStream_tbDpT10_ENKUlT_T0_E_clISt17integral_constantIbLb0EES1E_IbLb1EEEEDaS1A_S1B_EUlS1A_E_NS1_11comp_targetILNS1_3genE9ELNS1_11target_archE1100ELNS1_3gpuE3ELNS1_3repE0EEENS1_30default_config_static_selectorELNS0_4arch9wavefront6targetE1EEEvT1_,"axG",@progbits,_ZN7rocprim17ROCPRIM_400000_NS6detail17trampoline_kernelINS0_14default_configENS1_25partition_config_selectorILNS1_17partition_subalgoE2ExNS0_10empty_typeEbEEZZNS1_14partition_implILS5_2ELb0ES3_jN6thrust23THRUST_200600_302600_NS6detail15normal_iteratorINSA_7pointerIxNSA_11hip_rocprim3tagENSA_11use_defaultESG_EEEEPS6_NSA_18transform_iteratorI7is_evenIxENSC_INSA_10device_ptrIxEEEESG_SG_EENS0_5tupleIJPxSJ_EEENSR_IJSJ_SJ_EEES6_PlJS6_EEE10hipError_tPvRmT3_T4_T5_T6_T7_T9_mT8_P12ihipStream_tbDpT10_ENKUlT_T0_E_clISt17integral_constantIbLb0EES1E_IbLb1EEEEDaS1A_S1B_EUlS1A_E_NS1_11comp_targetILNS1_3genE9ELNS1_11target_archE1100ELNS1_3gpuE3ELNS1_3repE0EEENS1_30default_config_static_selectorELNS0_4arch9wavefront6targetE1EEEvT1_,comdat
	.protected	_ZN7rocprim17ROCPRIM_400000_NS6detail17trampoline_kernelINS0_14default_configENS1_25partition_config_selectorILNS1_17partition_subalgoE2ExNS0_10empty_typeEbEEZZNS1_14partition_implILS5_2ELb0ES3_jN6thrust23THRUST_200600_302600_NS6detail15normal_iteratorINSA_7pointerIxNSA_11hip_rocprim3tagENSA_11use_defaultESG_EEEEPS6_NSA_18transform_iteratorI7is_evenIxENSC_INSA_10device_ptrIxEEEESG_SG_EENS0_5tupleIJPxSJ_EEENSR_IJSJ_SJ_EEES6_PlJS6_EEE10hipError_tPvRmT3_T4_T5_T6_T7_T9_mT8_P12ihipStream_tbDpT10_ENKUlT_T0_E_clISt17integral_constantIbLb0EES1E_IbLb1EEEEDaS1A_S1B_EUlS1A_E_NS1_11comp_targetILNS1_3genE9ELNS1_11target_archE1100ELNS1_3gpuE3ELNS1_3repE0EEENS1_30default_config_static_selectorELNS0_4arch9wavefront6targetE1EEEvT1_ ; -- Begin function _ZN7rocprim17ROCPRIM_400000_NS6detail17trampoline_kernelINS0_14default_configENS1_25partition_config_selectorILNS1_17partition_subalgoE2ExNS0_10empty_typeEbEEZZNS1_14partition_implILS5_2ELb0ES3_jN6thrust23THRUST_200600_302600_NS6detail15normal_iteratorINSA_7pointerIxNSA_11hip_rocprim3tagENSA_11use_defaultESG_EEEEPS6_NSA_18transform_iteratorI7is_evenIxENSC_INSA_10device_ptrIxEEEESG_SG_EENS0_5tupleIJPxSJ_EEENSR_IJSJ_SJ_EEES6_PlJS6_EEE10hipError_tPvRmT3_T4_T5_T6_T7_T9_mT8_P12ihipStream_tbDpT10_ENKUlT_T0_E_clISt17integral_constantIbLb0EES1E_IbLb1EEEEDaS1A_S1B_EUlS1A_E_NS1_11comp_targetILNS1_3genE9ELNS1_11target_archE1100ELNS1_3gpuE3ELNS1_3repE0EEENS1_30default_config_static_selectorELNS0_4arch9wavefront6targetE1EEEvT1_
	.globl	_ZN7rocprim17ROCPRIM_400000_NS6detail17trampoline_kernelINS0_14default_configENS1_25partition_config_selectorILNS1_17partition_subalgoE2ExNS0_10empty_typeEbEEZZNS1_14partition_implILS5_2ELb0ES3_jN6thrust23THRUST_200600_302600_NS6detail15normal_iteratorINSA_7pointerIxNSA_11hip_rocprim3tagENSA_11use_defaultESG_EEEEPS6_NSA_18transform_iteratorI7is_evenIxENSC_INSA_10device_ptrIxEEEESG_SG_EENS0_5tupleIJPxSJ_EEENSR_IJSJ_SJ_EEES6_PlJS6_EEE10hipError_tPvRmT3_T4_T5_T6_T7_T9_mT8_P12ihipStream_tbDpT10_ENKUlT_T0_E_clISt17integral_constantIbLb0EES1E_IbLb1EEEEDaS1A_S1B_EUlS1A_E_NS1_11comp_targetILNS1_3genE9ELNS1_11target_archE1100ELNS1_3gpuE3ELNS1_3repE0EEENS1_30default_config_static_selectorELNS0_4arch9wavefront6targetE1EEEvT1_
	.p2align	8
	.type	_ZN7rocprim17ROCPRIM_400000_NS6detail17trampoline_kernelINS0_14default_configENS1_25partition_config_selectorILNS1_17partition_subalgoE2ExNS0_10empty_typeEbEEZZNS1_14partition_implILS5_2ELb0ES3_jN6thrust23THRUST_200600_302600_NS6detail15normal_iteratorINSA_7pointerIxNSA_11hip_rocprim3tagENSA_11use_defaultESG_EEEEPS6_NSA_18transform_iteratorI7is_evenIxENSC_INSA_10device_ptrIxEEEESG_SG_EENS0_5tupleIJPxSJ_EEENSR_IJSJ_SJ_EEES6_PlJS6_EEE10hipError_tPvRmT3_T4_T5_T6_T7_T9_mT8_P12ihipStream_tbDpT10_ENKUlT_T0_E_clISt17integral_constantIbLb0EES1E_IbLb1EEEEDaS1A_S1B_EUlS1A_E_NS1_11comp_targetILNS1_3genE9ELNS1_11target_archE1100ELNS1_3gpuE3ELNS1_3repE0EEENS1_30default_config_static_selectorELNS0_4arch9wavefront6targetE1EEEvT1_,@function
_ZN7rocprim17ROCPRIM_400000_NS6detail17trampoline_kernelINS0_14default_configENS1_25partition_config_selectorILNS1_17partition_subalgoE2ExNS0_10empty_typeEbEEZZNS1_14partition_implILS5_2ELb0ES3_jN6thrust23THRUST_200600_302600_NS6detail15normal_iteratorINSA_7pointerIxNSA_11hip_rocprim3tagENSA_11use_defaultESG_EEEEPS6_NSA_18transform_iteratorI7is_evenIxENSC_INSA_10device_ptrIxEEEESG_SG_EENS0_5tupleIJPxSJ_EEENSR_IJSJ_SJ_EEES6_PlJS6_EEE10hipError_tPvRmT3_T4_T5_T6_T7_T9_mT8_P12ihipStream_tbDpT10_ENKUlT_T0_E_clISt17integral_constantIbLb0EES1E_IbLb1EEEEDaS1A_S1B_EUlS1A_E_NS1_11comp_targetILNS1_3genE9ELNS1_11target_archE1100ELNS1_3gpuE3ELNS1_3repE0EEENS1_30default_config_static_selectorELNS0_4arch9wavefront6targetE1EEEvT1_: ; @_ZN7rocprim17ROCPRIM_400000_NS6detail17trampoline_kernelINS0_14default_configENS1_25partition_config_selectorILNS1_17partition_subalgoE2ExNS0_10empty_typeEbEEZZNS1_14partition_implILS5_2ELb0ES3_jN6thrust23THRUST_200600_302600_NS6detail15normal_iteratorINSA_7pointerIxNSA_11hip_rocprim3tagENSA_11use_defaultESG_EEEEPS6_NSA_18transform_iteratorI7is_evenIxENSC_INSA_10device_ptrIxEEEESG_SG_EENS0_5tupleIJPxSJ_EEENSR_IJSJ_SJ_EEES6_PlJS6_EEE10hipError_tPvRmT3_T4_T5_T6_T7_T9_mT8_P12ihipStream_tbDpT10_ENKUlT_T0_E_clISt17integral_constantIbLb0EES1E_IbLb1EEEEDaS1A_S1B_EUlS1A_E_NS1_11comp_targetILNS1_3genE9ELNS1_11target_archE1100ELNS1_3gpuE3ELNS1_3repE0EEENS1_30default_config_static_selectorELNS0_4arch9wavefront6targetE1EEEvT1_
; %bb.0:
	.section	.rodata,"a",@progbits
	.p2align	6, 0x0
	.amdhsa_kernel _ZN7rocprim17ROCPRIM_400000_NS6detail17trampoline_kernelINS0_14default_configENS1_25partition_config_selectorILNS1_17partition_subalgoE2ExNS0_10empty_typeEbEEZZNS1_14partition_implILS5_2ELb0ES3_jN6thrust23THRUST_200600_302600_NS6detail15normal_iteratorINSA_7pointerIxNSA_11hip_rocprim3tagENSA_11use_defaultESG_EEEEPS6_NSA_18transform_iteratorI7is_evenIxENSC_INSA_10device_ptrIxEEEESG_SG_EENS0_5tupleIJPxSJ_EEENSR_IJSJ_SJ_EEES6_PlJS6_EEE10hipError_tPvRmT3_T4_T5_T6_T7_T9_mT8_P12ihipStream_tbDpT10_ENKUlT_T0_E_clISt17integral_constantIbLb0EES1E_IbLb1EEEEDaS1A_S1B_EUlS1A_E_NS1_11comp_targetILNS1_3genE9ELNS1_11target_archE1100ELNS1_3gpuE3ELNS1_3repE0EEENS1_30default_config_static_selectorELNS0_4arch9wavefront6targetE1EEEvT1_
		.amdhsa_group_segment_fixed_size 0
		.amdhsa_private_segment_fixed_size 0
		.amdhsa_kernarg_size 144
		.amdhsa_user_sgpr_count 2
		.amdhsa_user_sgpr_dispatch_ptr 0
		.amdhsa_user_sgpr_queue_ptr 0
		.amdhsa_user_sgpr_kernarg_segment_ptr 1
		.amdhsa_user_sgpr_dispatch_id 0
		.amdhsa_user_sgpr_kernarg_preload_length 0
		.amdhsa_user_sgpr_kernarg_preload_offset 0
		.amdhsa_user_sgpr_private_segment_size 0
		.amdhsa_uses_dynamic_stack 0
		.amdhsa_enable_private_segment 0
		.amdhsa_system_sgpr_workgroup_id_x 1
		.amdhsa_system_sgpr_workgroup_id_y 0
		.amdhsa_system_sgpr_workgroup_id_z 0
		.amdhsa_system_sgpr_workgroup_info 0
		.amdhsa_system_vgpr_workitem_id 0
		.amdhsa_next_free_vgpr 1
		.amdhsa_next_free_sgpr 0
		.amdhsa_accum_offset 4
		.amdhsa_reserve_vcc 0
		.amdhsa_float_round_mode_32 0
		.amdhsa_float_round_mode_16_64 0
		.amdhsa_float_denorm_mode_32 3
		.amdhsa_float_denorm_mode_16_64 3
		.amdhsa_dx10_clamp 1
		.amdhsa_ieee_mode 1
		.amdhsa_fp16_overflow 0
		.amdhsa_tg_split 0
		.amdhsa_exception_fp_ieee_invalid_op 0
		.amdhsa_exception_fp_denorm_src 0
		.amdhsa_exception_fp_ieee_div_zero 0
		.amdhsa_exception_fp_ieee_overflow 0
		.amdhsa_exception_fp_ieee_underflow 0
		.amdhsa_exception_fp_ieee_inexact 0
		.amdhsa_exception_int_div_zero 0
	.end_amdhsa_kernel
	.section	.text._ZN7rocprim17ROCPRIM_400000_NS6detail17trampoline_kernelINS0_14default_configENS1_25partition_config_selectorILNS1_17partition_subalgoE2ExNS0_10empty_typeEbEEZZNS1_14partition_implILS5_2ELb0ES3_jN6thrust23THRUST_200600_302600_NS6detail15normal_iteratorINSA_7pointerIxNSA_11hip_rocprim3tagENSA_11use_defaultESG_EEEEPS6_NSA_18transform_iteratorI7is_evenIxENSC_INSA_10device_ptrIxEEEESG_SG_EENS0_5tupleIJPxSJ_EEENSR_IJSJ_SJ_EEES6_PlJS6_EEE10hipError_tPvRmT3_T4_T5_T6_T7_T9_mT8_P12ihipStream_tbDpT10_ENKUlT_T0_E_clISt17integral_constantIbLb0EES1E_IbLb1EEEEDaS1A_S1B_EUlS1A_E_NS1_11comp_targetILNS1_3genE9ELNS1_11target_archE1100ELNS1_3gpuE3ELNS1_3repE0EEENS1_30default_config_static_selectorELNS0_4arch9wavefront6targetE1EEEvT1_,"axG",@progbits,_ZN7rocprim17ROCPRIM_400000_NS6detail17trampoline_kernelINS0_14default_configENS1_25partition_config_selectorILNS1_17partition_subalgoE2ExNS0_10empty_typeEbEEZZNS1_14partition_implILS5_2ELb0ES3_jN6thrust23THRUST_200600_302600_NS6detail15normal_iteratorINSA_7pointerIxNSA_11hip_rocprim3tagENSA_11use_defaultESG_EEEEPS6_NSA_18transform_iteratorI7is_evenIxENSC_INSA_10device_ptrIxEEEESG_SG_EENS0_5tupleIJPxSJ_EEENSR_IJSJ_SJ_EEES6_PlJS6_EEE10hipError_tPvRmT3_T4_T5_T6_T7_T9_mT8_P12ihipStream_tbDpT10_ENKUlT_T0_E_clISt17integral_constantIbLb0EES1E_IbLb1EEEEDaS1A_S1B_EUlS1A_E_NS1_11comp_targetILNS1_3genE9ELNS1_11target_archE1100ELNS1_3gpuE3ELNS1_3repE0EEENS1_30default_config_static_selectorELNS0_4arch9wavefront6targetE1EEEvT1_,comdat
.Lfunc_end220:
	.size	_ZN7rocprim17ROCPRIM_400000_NS6detail17trampoline_kernelINS0_14default_configENS1_25partition_config_selectorILNS1_17partition_subalgoE2ExNS0_10empty_typeEbEEZZNS1_14partition_implILS5_2ELb0ES3_jN6thrust23THRUST_200600_302600_NS6detail15normal_iteratorINSA_7pointerIxNSA_11hip_rocprim3tagENSA_11use_defaultESG_EEEEPS6_NSA_18transform_iteratorI7is_evenIxENSC_INSA_10device_ptrIxEEEESG_SG_EENS0_5tupleIJPxSJ_EEENSR_IJSJ_SJ_EEES6_PlJS6_EEE10hipError_tPvRmT3_T4_T5_T6_T7_T9_mT8_P12ihipStream_tbDpT10_ENKUlT_T0_E_clISt17integral_constantIbLb0EES1E_IbLb1EEEEDaS1A_S1B_EUlS1A_E_NS1_11comp_targetILNS1_3genE9ELNS1_11target_archE1100ELNS1_3gpuE3ELNS1_3repE0EEENS1_30default_config_static_selectorELNS0_4arch9wavefront6targetE1EEEvT1_, .Lfunc_end220-_ZN7rocprim17ROCPRIM_400000_NS6detail17trampoline_kernelINS0_14default_configENS1_25partition_config_selectorILNS1_17partition_subalgoE2ExNS0_10empty_typeEbEEZZNS1_14partition_implILS5_2ELb0ES3_jN6thrust23THRUST_200600_302600_NS6detail15normal_iteratorINSA_7pointerIxNSA_11hip_rocprim3tagENSA_11use_defaultESG_EEEEPS6_NSA_18transform_iteratorI7is_evenIxENSC_INSA_10device_ptrIxEEEESG_SG_EENS0_5tupleIJPxSJ_EEENSR_IJSJ_SJ_EEES6_PlJS6_EEE10hipError_tPvRmT3_T4_T5_T6_T7_T9_mT8_P12ihipStream_tbDpT10_ENKUlT_T0_E_clISt17integral_constantIbLb0EES1E_IbLb1EEEEDaS1A_S1B_EUlS1A_E_NS1_11comp_targetILNS1_3genE9ELNS1_11target_archE1100ELNS1_3gpuE3ELNS1_3repE0EEENS1_30default_config_static_selectorELNS0_4arch9wavefront6targetE1EEEvT1_
                                        ; -- End function
	.section	.AMDGPU.csdata,"",@progbits
; Kernel info:
; codeLenInByte = 0
; NumSgprs: 6
; NumVgprs: 0
; NumAgprs: 0
; TotalNumVgprs: 0
; ScratchSize: 0
; MemoryBound: 0
; FloatMode: 240
; IeeeMode: 1
; LDSByteSize: 0 bytes/workgroup (compile time only)
; SGPRBlocks: 0
; VGPRBlocks: 0
; NumSGPRsForWavesPerEU: 6
; NumVGPRsForWavesPerEU: 1
; AccumOffset: 4
; Occupancy: 8
; WaveLimiterHint : 0
; COMPUTE_PGM_RSRC2:SCRATCH_EN: 0
; COMPUTE_PGM_RSRC2:USER_SGPR: 2
; COMPUTE_PGM_RSRC2:TRAP_HANDLER: 0
; COMPUTE_PGM_RSRC2:TGID_X_EN: 1
; COMPUTE_PGM_RSRC2:TGID_Y_EN: 0
; COMPUTE_PGM_RSRC2:TGID_Z_EN: 0
; COMPUTE_PGM_RSRC2:TIDIG_COMP_CNT: 0
; COMPUTE_PGM_RSRC3_GFX90A:ACCUM_OFFSET: 0
; COMPUTE_PGM_RSRC3_GFX90A:TG_SPLIT: 0
	.section	.text._ZN7rocprim17ROCPRIM_400000_NS6detail17trampoline_kernelINS0_14default_configENS1_25partition_config_selectorILNS1_17partition_subalgoE2ExNS0_10empty_typeEbEEZZNS1_14partition_implILS5_2ELb0ES3_jN6thrust23THRUST_200600_302600_NS6detail15normal_iteratorINSA_7pointerIxNSA_11hip_rocprim3tagENSA_11use_defaultESG_EEEEPS6_NSA_18transform_iteratorI7is_evenIxENSC_INSA_10device_ptrIxEEEESG_SG_EENS0_5tupleIJPxSJ_EEENSR_IJSJ_SJ_EEES6_PlJS6_EEE10hipError_tPvRmT3_T4_T5_T6_T7_T9_mT8_P12ihipStream_tbDpT10_ENKUlT_T0_E_clISt17integral_constantIbLb0EES1E_IbLb1EEEEDaS1A_S1B_EUlS1A_E_NS1_11comp_targetILNS1_3genE8ELNS1_11target_archE1030ELNS1_3gpuE2ELNS1_3repE0EEENS1_30default_config_static_selectorELNS0_4arch9wavefront6targetE1EEEvT1_,"axG",@progbits,_ZN7rocprim17ROCPRIM_400000_NS6detail17trampoline_kernelINS0_14default_configENS1_25partition_config_selectorILNS1_17partition_subalgoE2ExNS0_10empty_typeEbEEZZNS1_14partition_implILS5_2ELb0ES3_jN6thrust23THRUST_200600_302600_NS6detail15normal_iteratorINSA_7pointerIxNSA_11hip_rocprim3tagENSA_11use_defaultESG_EEEEPS6_NSA_18transform_iteratorI7is_evenIxENSC_INSA_10device_ptrIxEEEESG_SG_EENS0_5tupleIJPxSJ_EEENSR_IJSJ_SJ_EEES6_PlJS6_EEE10hipError_tPvRmT3_T4_T5_T6_T7_T9_mT8_P12ihipStream_tbDpT10_ENKUlT_T0_E_clISt17integral_constantIbLb0EES1E_IbLb1EEEEDaS1A_S1B_EUlS1A_E_NS1_11comp_targetILNS1_3genE8ELNS1_11target_archE1030ELNS1_3gpuE2ELNS1_3repE0EEENS1_30default_config_static_selectorELNS0_4arch9wavefront6targetE1EEEvT1_,comdat
	.protected	_ZN7rocprim17ROCPRIM_400000_NS6detail17trampoline_kernelINS0_14default_configENS1_25partition_config_selectorILNS1_17partition_subalgoE2ExNS0_10empty_typeEbEEZZNS1_14partition_implILS5_2ELb0ES3_jN6thrust23THRUST_200600_302600_NS6detail15normal_iteratorINSA_7pointerIxNSA_11hip_rocprim3tagENSA_11use_defaultESG_EEEEPS6_NSA_18transform_iteratorI7is_evenIxENSC_INSA_10device_ptrIxEEEESG_SG_EENS0_5tupleIJPxSJ_EEENSR_IJSJ_SJ_EEES6_PlJS6_EEE10hipError_tPvRmT3_T4_T5_T6_T7_T9_mT8_P12ihipStream_tbDpT10_ENKUlT_T0_E_clISt17integral_constantIbLb0EES1E_IbLb1EEEEDaS1A_S1B_EUlS1A_E_NS1_11comp_targetILNS1_3genE8ELNS1_11target_archE1030ELNS1_3gpuE2ELNS1_3repE0EEENS1_30default_config_static_selectorELNS0_4arch9wavefront6targetE1EEEvT1_ ; -- Begin function _ZN7rocprim17ROCPRIM_400000_NS6detail17trampoline_kernelINS0_14default_configENS1_25partition_config_selectorILNS1_17partition_subalgoE2ExNS0_10empty_typeEbEEZZNS1_14partition_implILS5_2ELb0ES3_jN6thrust23THRUST_200600_302600_NS6detail15normal_iteratorINSA_7pointerIxNSA_11hip_rocprim3tagENSA_11use_defaultESG_EEEEPS6_NSA_18transform_iteratorI7is_evenIxENSC_INSA_10device_ptrIxEEEESG_SG_EENS0_5tupleIJPxSJ_EEENSR_IJSJ_SJ_EEES6_PlJS6_EEE10hipError_tPvRmT3_T4_T5_T6_T7_T9_mT8_P12ihipStream_tbDpT10_ENKUlT_T0_E_clISt17integral_constantIbLb0EES1E_IbLb1EEEEDaS1A_S1B_EUlS1A_E_NS1_11comp_targetILNS1_3genE8ELNS1_11target_archE1030ELNS1_3gpuE2ELNS1_3repE0EEENS1_30default_config_static_selectorELNS0_4arch9wavefront6targetE1EEEvT1_
	.globl	_ZN7rocprim17ROCPRIM_400000_NS6detail17trampoline_kernelINS0_14default_configENS1_25partition_config_selectorILNS1_17partition_subalgoE2ExNS0_10empty_typeEbEEZZNS1_14partition_implILS5_2ELb0ES3_jN6thrust23THRUST_200600_302600_NS6detail15normal_iteratorINSA_7pointerIxNSA_11hip_rocprim3tagENSA_11use_defaultESG_EEEEPS6_NSA_18transform_iteratorI7is_evenIxENSC_INSA_10device_ptrIxEEEESG_SG_EENS0_5tupleIJPxSJ_EEENSR_IJSJ_SJ_EEES6_PlJS6_EEE10hipError_tPvRmT3_T4_T5_T6_T7_T9_mT8_P12ihipStream_tbDpT10_ENKUlT_T0_E_clISt17integral_constantIbLb0EES1E_IbLb1EEEEDaS1A_S1B_EUlS1A_E_NS1_11comp_targetILNS1_3genE8ELNS1_11target_archE1030ELNS1_3gpuE2ELNS1_3repE0EEENS1_30default_config_static_selectorELNS0_4arch9wavefront6targetE1EEEvT1_
	.p2align	8
	.type	_ZN7rocprim17ROCPRIM_400000_NS6detail17trampoline_kernelINS0_14default_configENS1_25partition_config_selectorILNS1_17partition_subalgoE2ExNS0_10empty_typeEbEEZZNS1_14partition_implILS5_2ELb0ES3_jN6thrust23THRUST_200600_302600_NS6detail15normal_iteratorINSA_7pointerIxNSA_11hip_rocprim3tagENSA_11use_defaultESG_EEEEPS6_NSA_18transform_iteratorI7is_evenIxENSC_INSA_10device_ptrIxEEEESG_SG_EENS0_5tupleIJPxSJ_EEENSR_IJSJ_SJ_EEES6_PlJS6_EEE10hipError_tPvRmT3_T4_T5_T6_T7_T9_mT8_P12ihipStream_tbDpT10_ENKUlT_T0_E_clISt17integral_constantIbLb0EES1E_IbLb1EEEEDaS1A_S1B_EUlS1A_E_NS1_11comp_targetILNS1_3genE8ELNS1_11target_archE1030ELNS1_3gpuE2ELNS1_3repE0EEENS1_30default_config_static_selectorELNS0_4arch9wavefront6targetE1EEEvT1_,@function
_ZN7rocprim17ROCPRIM_400000_NS6detail17trampoline_kernelINS0_14default_configENS1_25partition_config_selectorILNS1_17partition_subalgoE2ExNS0_10empty_typeEbEEZZNS1_14partition_implILS5_2ELb0ES3_jN6thrust23THRUST_200600_302600_NS6detail15normal_iteratorINSA_7pointerIxNSA_11hip_rocprim3tagENSA_11use_defaultESG_EEEEPS6_NSA_18transform_iteratorI7is_evenIxENSC_INSA_10device_ptrIxEEEESG_SG_EENS0_5tupleIJPxSJ_EEENSR_IJSJ_SJ_EEES6_PlJS6_EEE10hipError_tPvRmT3_T4_T5_T6_T7_T9_mT8_P12ihipStream_tbDpT10_ENKUlT_T0_E_clISt17integral_constantIbLb0EES1E_IbLb1EEEEDaS1A_S1B_EUlS1A_E_NS1_11comp_targetILNS1_3genE8ELNS1_11target_archE1030ELNS1_3gpuE2ELNS1_3repE0EEENS1_30default_config_static_selectorELNS0_4arch9wavefront6targetE1EEEvT1_: ; @_ZN7rocprim17ROCPRIM_400000_NS6detail17trampoline_kernelINS0_14default_configENS1_25partition_config_selectorILNS1_17partition_subalgoE2ExNS0_10empty_typeEbEEZZNS1_14partition_implILS5_2ELb0ES3_jN6thrust23THRUST_200600_302600_NS6detail15normal_iteratorINSA_7pointerIxNSA_11hip_rocprim3tagENSA_11use_defaultESG_EEEEPS6_NSA_18transform_iteratorI7is_evenIxENSC_INSA_10device_ptrIxEEEESG_SG_EENS0_5tupleIJPxSJ_EEENSR_IJSJ_SJ_EEES6_PlJS6_EEE10hipError_tPvRmT3_T4_T5_T6_T7_T9_mT8_P12ihipStream_tbDpT10_ENKUlT_T0_E_clISt17integral_constantIbLb0EES1E_IbLb1EEEEDaS1A_S1B_EUlS1A_E_NS1_11comp_targetILNS1_3genE8ELNS1_11target_archE1030ELNS1_3gpuE2ELNS1_3repE0EEENS1_30default_config_static_selectorELNS0_4arch9wavefront6targetE1EEEvT1_
; %bb.0:
	.section	.rodata,"a",@progbits
	.p2align	6, 0x0
	.amdhsa_kernel _ZN7rocprim17ROCPRIM_400000_NS6detail17trampoline_kernelINS0_14default_configENS1_25partition_config_selectorILNS1_17partition_subalgoE2ExNS0_10empty_typeEbEEZZNS1_14partition_implILS5_2ELb0ES3_jN6thrust23THRUST_200600_302600_NS6detail15normal_iteratorINSA_7pointerIxNSA_11hip_rocprim3tagENSA_11use_defaultESG_EEEEPS6_NSA_18transform_iteratorI7is_evenIxENSC_INSA_10device_ptrIxEEEESG_SG_EENS0_5tupleIJPxSJ_EEENSR_IJSJ_SJ_EEES6_PlJS6_EEE10hipError_tPvRmT3_T4_T5_T6_T7_T9_mT8_P12ihipStream_tbDpT10_ENKUlT_T0_E_clISt17integral_constantIbLb0EES1E_IbLb1EEEEDaS1A_S1B_EUlS1A_E_NS1_11comp_targetILNS1_3genE8ELNS1_11target_archE1030ELNS1_3gpuE2ELNS1_3repE0EEENS1_30default_config_static_selectorELNS0_4arch9wavefront6targetE1EEEvT1_
		.amdhsa_group_segment_fixed_size 0
		.amdhsa_private_segment_fixed_size 0
		.amdhsa_kernarg_size 144
		.amdhsa_user_sgpr_count 2
		.amdhsa_user_sgpr_dispatch_ptr 0
		.amdhsa_user_sgpr_queue_ptr 0
		.amdhsa_user_sgpr_kernarg_segment_ptr 1
		.amdhsa_user_sgpr_dispatch_id 0
		.amdhsa_user_sgpr_kernarg_preload_length 0
		.amdhsa_user_sgpr_kernarg_preload_offset 0
		.amdhsa_user_sgpr_private_segment_size 0
		.amdhsa_uses_dynamic_stack 0
		.amdhsa_enable_private_segment 0
		.amdhsa_system_sgpr_workgroup_id_x 1
		.amdhsa_system_sgpr_workgroup_id_y 0
		.amdhsa_system_sgpr_workgroup_id_z 0
		.amdhsa_system_sgpr_workgroup_info 0
		.amdhsa_system_vgpr_workitem_id 0
		.amdhsa_next_free_vgpr 1
		.amdhsa_next_free_sgpr 0
		.amdhsa_accum_offset 4
		.amdhsa_reserve_vcc 0
		.amdhsa_float_round_mode_32 0
		.amdhsa_float_round_mode_16_64 0
		.amdhsa_float_denorm_mode_32 3
		.amdhsa_float_denorm_mode_16_64 3
		.amdhsa_dx10_clamp 1
		.amdhsa_ieee_mode 1
		.amdhsa_fp16_overflow 0
		.amdhsa_tg_split 0
		.amdhsa_exception_fp_ieee_invalid_op 0
		.amdhsa_exception_fp_denorm_src 0
		.amdhsa_exception_fp_ieee_div_zero 0
		.amdhsa_exception_fp_ieee_overflow 0
		.amdhsa_exception_fp_ieee_underflow 0
		.amdhsa_exception_fp_ieee_inexact 0
		.amdhsa_exception_int_div_zero 0
	.end_amdhsa_kernel
	.section	.text._ZN7rocprim17ROCPRIM_400000_NS6detail17trampoline_kernelINS0_14default_configENS1_25partition_config_selectorILNS1_17partition_subalgoE2ExNS0_10empty_typeEbEEZZNS1_14partition_implILS5_2ELb0ES3_jN6thrust23THRUST_200600_302600_NS6detail15normal_iteratorINSA_7pointerIxNSA_11hip_rocprim3tagENSA_11use_defaultESG_EEEEPS6_NSA_18transform_iteratorI7is_evenIxENSC_INSA_10device_ptrIxEEEESG_SG_EENS0_5tupleIJPxSJ_EEENSR_IJSJ_SJ_EEES6_PlJS6_EEE10hipError_tPvRmT3_T4_T5_T6_T7_T9_mT8_P12ihipStream_tbDpT10_ENKUlT_T0_E_clISt17integral_constantIbLb0EES1E_IbLb1EEEEDaS1A_S1B_EUlS1A_E_NS1_11comp_targetILNS1_3genE8ELNS1_11target_archE1030ELNS1_3gpuE2ELNS1_3repE0EEENS1_30default_config_static_selectorELNS0_4arch9wavefront6targetE1EEEvT1_,"axG",@progbits,_ZN7rocprim17ROCPRIM_400000_NS6detail17trampoline_kernelINS0_14default_configENS1_25partition_config_selectorILNS1_17partition_subalgoE2ExNS0_10empty_typeEbEEZZNS1_14partition_implILS5_2ELb0ES3_jN6thrust23THRUST_200600_302600_NS6detail15normal_iteratorINSA_7pointerIxNSA_11hip_rocprim3tagENSA_11use_defaultESG_EEEEPS6_NSA_18transform_iteratorI7is_evenIxENSC_INSA_10device_ptrIxEEEESG_SG_EENS0_5tupleIJPxSJ_EEENSR_IJSJ_SJ_EEES6_PlJS6_EEE10hipError_tPvRmT3_T4_T5_T6_T7_T9_mT8_P12ihipStream_tbDpT10_ENKUlT_T0_E_clISt17integral_constantIbLb0EES1E_IbLb1EEEEDaS1A_S1B_EUlS1A_E_NS1_11comp_targetILNS1_3genE8ELNS1_11target_archE1030ELNS1_3gpuE2ELNS1_3repE0EEENS1_30default_config_static_selectorELNS0_4arch9wavefront6targetE1EEEvT1_,comdat
.Lfunc_end221:
	.size	_ZN7rocprim17ROCPRIM_400000_NS6detail17trampoline_kernelINS0_14default_configENS1_25partition_config_selectorILNS1_17partition_subalgoE2ExNS0_10empty_typeEbEEZZNS1_14partition_implILS5_2ELb0ES3_jN6thrust23THRUST_200600_302600_NS6detail15normal_iteratorINSA_7pointerIxNSA_11hip_rocprim3tagENSA_11use_defaultESG_EEEEPS6_NSA_18transform_iteratorI7is_evenIxENSC_INSA_10device_ptrIxEEEESG_SG_EENS0_5tupleIJPxSJ_EEENSR_IJSJ_SJ_EEES6_PlJS6_EEE10hipError_tPvRmT3_T4_T5_T6_T7_T9_mT8_P12ihipStream_tbDpT10_ENKUlT_T0_E_clISt17integral_constantIbLb0EES1E_IbLb1EEEEDaS1A_S1B_EUlS1A_E_NS1_11comp_targetILNS1_3genE8ELNS1_11target_archE1030ELNS1_3gpuE2ELNS1_3repE0EEENS1_30default_config_static_selectorELNS0_4arch9wavefront6targetE1EEEvT1_, .Lfunc_end221-_ZN7rocprim17ROCPRIM_400000_NS6detail17trampoline_kernelINS0_14default_configENS1_25partition_config_selectorILNS1_17partition_subalgoE2ExNS0_10empty_typeEbEEZZNS1_14partition_implILS5_2ELb0ES3_jN6thrust23THRUST_200600_302600_NS6detail15normal_iteratorINSA_7pointerIxNSA_11hip_rocprim3tagENSA_11use_defaultESG_EEEEPS6_NSA_18transform_iteratorI7is_evenIxENSC_INSA_10device_ptrIxEEEESG_SG_EENS0_5tupleIJPxSJ_EEENSR_IJSJ_SJ_EEES6_PlJS6_EEE10hipError_tPvRmT3_T4_T5_T6_T7_T9_mT8_P12ihipStream_tbDpT10_ENKUlT_T0_E_clISt17integral_constantIbLb0EES1E_IbLb1EEEEDaS1A_S1B_EUlS1A_E_NS1_11comp_targetILNS1_3genE8ELNS1_11target_archE1030ELNS1_3gpuE2ELNS1_3repE0EEENS1_30default_config_static_selectorELNS0_4arch9wavefront6targetE1EEEvT1_
                                        ; -- End function
	.section	.AMDGPU.csdata,"",@progbits
; Kernel info:
; codeLenInByte = 0
; NumSgprs: 6
; NumVgprs: 0
; NumAgprs: 0
; TotalNumVgprs: 0
; ScratchSize: 0
; MemoryBound: 0
; FloatMode: 240
; IeeeMode: 1
; LDSByteSize: 0 bytes/workgroup (compile time only)
; SGPRBlocks: 0
; VGPRBlocks: 0
; NumSGPRsForWavesPerEU: 6
; NumVGPRsForWavesPerEU: 1
; AccumOffset: 4
; Occupancy: 8
; WaveLimiterHint : 0
; COMPUTE_PGM_RSRC2:SCRATCH_EN: 0
; COMPUTE_PGM_RSRC2:USER_SGPR: 2
; COMPUTE_PGM_RSRC2:TRAP_HANDLER: 0
; COMPUTE_PGM_RSRC2:TGID_X_EN: 1
; COMPUTE_PGM_RSRC2:TGID_Y_EN: 0
; COMPUTE_PGM_RSRC2:TGID_Z_EN: 0
; COMPUTE_PGM_RSRC2:TIDIG_COMP_CNT: 0
; COMPUTE_PGM_RSRC3_GFX90A:ACCUM_OFFSET: 0
; COMPUTE_PGM_RSRC3_GFX90A:TG_SPLIT: 0
	.section	.text._ZN6thrust23THRUST_200600_302600_NS11hip_rocprim14__parallel_for6kernelILj256ENS1_13__swap_ranges6swap_fINS0_6detail15normal_iteratorINS0_10device_ptrIxEEEENS0_16reverse_iteratorISA_EEEElLj1EEEvT0_T1_SF_,"axG",@progbits,_ZN6thrust23THRUST_200600_302600_NS11hip_rocprim14__parallel_for6kernelILj256ENS1_13__swap_ranges6swap_fINS0_6detail15normal_iteratorINS0_10device_ptrIxEEEENS0_16reverse_iteratorISA_EEEElLj1EEEvT0_T1_SF_,comdat
	.protected	_ZN6thrust23THRUST_200600_302600_NS11hip_rocprim14__parallel_for6kernelILj256ENS1_13__swap_ranges6swap_fINS0_6detail15normal_iteratorINS0_10device_ptrIxEEEENS0_16reverse_iteratorISA_EEEElLj1EEEvT0_T1_SF_ ; -- Begin function _ZN6thrust23THRUST_200600_302600_NS11hip_rocprim14__parallel_for6kernelILj256ENS1_13__swap_ranges6swap_fINS0_6detail15normal_iteratorINS0_10device_ptrIxEEEENS0_16reverse_iteratorISA_EEEElLj1EEEvT0_T1_SF_
	.globl	_ZN6thrust23THRUST_200600_302600_NS11hip_rocprim14__parallel_for6kernelILj256ENS1_13__swap_ranges6swap_fINS0_6detail15normal_iteratorINS0_10device_ptrIxEEEENS0_16reverse_iteratorISA_EEEElLj1EEEvT0_T1_SF_
	.p2align	8
	.type	_ZN6thrust23THRUST_200600_302600_NS11hip_rocprim14__parallel_for6kernelILj256ENS1_13__swap_ranges6swap_fINS0_6detail15normal_iteratorINS0_10device_ptrIxEEEENS0_16reverse_iteratorISA_EEEElLj1EEEvT0_T1_SF_,@function
_ZN6thrust23THRUST_200600_302600_NS11hip_rocprim14__parallel_for6kernelILj256ENS1_13__swap_ranges6swap_fINS0_6detail15normal_iteratorINS0_10device_ptrIxEEEENS0_16reverse_iteratorISA_EEEElLj1EEEvT0_T1_SF_: ; @_ZN6thrust23THRUST_200600_302600_NS11hip_rocprim14__parallel_for6kernelILj256ENS1_13__swap_ranges6swap_fINS0_6detail15normal_iteratorINS0_10device_ptrIxEEEENS0_16reverse_iteratorISA_EEEElLj1EEEvT0_T1_SF_
; %bb.0:
	s_load_dwordx8 s[4:11], s[0:1], 0x0
	s_lshl_b32 s0, s2, 8
	v_mov_b64_e32 v[2:3], 0x100
	s_waitcnt lgkmcnt(0)
	s_add_u32 s0, s0, s10
	s_addc_u32 s1, 0, s11
	s_sub_u32 s2, s8, s0
	s_subb_u32 s3, s9, s1
	v_cmp_lt_i64_e32 vcc, s[2:3], v[2:3]
	s_and_b64 s[8:9], vcc, exec
	s_cselect_b32 s8, s2, 0x100
	s_cmpk_lg_i32 s8, 0x100
	s_mov_b64 s[2:3], -1
	s_cbranch_scc1 .LBB222_3
; %bb.1:
	s_andn2_b64 vcc, exec, s[2:3]
	s_cbranch_vccz .LBB222_6
.LBB222_2:
	s_endpgm
.LBB222_3:
	v_cmp_gt_u32_e32 vcc, s8, v0
	s_and_saveexec_b64 s[2:3], vcc
	s_cbranch_execz .LBB222_5
; %bb.4:
	v_mov_b32_e32 v1, 0
	v_lshl_add_u64 v[2:3], s[0:1], 0, v[0:1]
	v_lshlrev_b64 v[2:3], 3, v[2:3]
	v_mov_b32_e32 v1, s7
	v_sub_co_u32_e32 v4, vcc, s6, v2
	s_nop 1
	v_subb_co_u32_e32 v1, vcc, v1, v3, vcc
	v_add_co_u32_e32 v4, vcc, -8, v4
	v_lshl_add_u64 v[2:3], s[4:5], 0, v[2:3]
	s_nop 0
	v_addc_co_u32_e32 v5, vcc, -1, v1, vcc
	flat_load_dwordx2 v[6:7], v[4:5]
	flat_load_dwordx2 v[8:9], v[2:3]
	s_waitcnt vmcnt(0) lgkmcnt(0)
	flat_store_dwordx2 v[2:3], v[6:7]
	flat_store_dwordx2 v[4:5], v[8:9]
.LBB222_5:
	s_or_b64 exec, exec, s[2:3]
	s_cbranch_execnz .LBB222_2
.LBB222_6:
	v_mov_b32_e32 v1, 0
	v_lshl_add_u64 v[0:1], s[0:1], 0, v[0:1]
	v_lshlrev_b64 v[0:1], 3, v[0:1]
	v_lshl_add_u64 v[2:3], s[4:5], 0, v[0:1]
	v_mov_b32_e32 v4, s7
	v_sub_co_u32_e32 v0, vcc, s6, v0
	s_nop 1
	v_subb_co_u32_e32 v1, vcc, v4, v1, vcc
	v_add_co_u32_e32 v0, vcc, -8, v0
	s_nop 1
	v_addc_co_u32_e32 v1, vcc, -1, v1, vcc
	flat_load_dwordx2 v[4:5], v[0:1]
	flat_load_dwordx2 v[6:7], v[2:3]
	s_waitcnt vmcnt(0) lgkmcnt(0)
	flat_store_dwordx2 v[2:3], v[4:5]
	flat_store_dwordx2 v[0:1], v[6:7]
	s_endpgm
	.section	.rodata,"a",@progbits
	.p2align	6, 0x0
	.amdhsa_kernel _ZN6thrust23THRUST_200600_302600_NS11hip_rocprim14__parallel_for6kernelILj256ENS1_13__swap_ranges6swap_fINS0_6detail15normal_iteratorINS0_10device_ptrIxEEEENS0_16reverse_iteratorISA_EEEElLj1EEEvT0_T1_SF_
		.amdhsa_group_segment_fixed_size 0
		.amdhsa_private_segment_fixed_size 0
		.amdhsa_kernarg_size 32
		.amdhsa_user_sgpr_count 2
		.amdhsa_user_sgpr_dispatch_ptr 0
		.amdhsa_user_sgpr_queue_ptr 0
		.amdhsa_user_sgpr_kernarg_segment_ptr 1
		.amdhsa_user_sgpr_dispatch_id 0
		.amdhsa_user_sgpr_kernarg_preload_length 0
		.amdhsa_user_sgpr_kernarg_preload_offset 0
		.amdhsa_user_sgpr_private_segment_size 0
		.amdhsa_uses_dynamic_stack 0
		.amdhsa_enable_private_segment 0
		.amdhsa_system_sgpr_workgroup_id_x 1
		.amdhsa_system_sgpr_workgroup_id_y 0
		.amdhsa_system_sgpr_workgroup_id_z 0
		.amdhsa_system_sgpr_workgroup_info 0
		.amdhsa_system_vgpr_workitem_id 0
		.amdhsa_next_free_vgpr 10
		.amdhsa_next_free_sgpr 12
		.amdhsa_accum_offset 12
		.amdhsa_reserve_vcc 1
		.amdhsa_float_round_mode_32 0
		.amdhsa_float_round_mode_16_64 0
		.amdhsa_float_denorm_mode_32 3
		.amdhsa_float_denorm_mode_16_64 3
		.amdhsa_dx10_clamp 1
		.amdhsa_ieee_mode 1
		.amdhsa_fp16_overflow 0
		.amdhsa_tg_split 0
		.amdhsa_exception_fp_ieee_invalid_op 0
		.amdhsa_exception_fp_denorm_src 0
		.amdhsa_exception_fp_ieee_div_zero 0
		.amdhsa_exception_fp_ieee_overflow 0
		.amdhsa_exception_fp_ieee_underflow 0
		.amdhsa_exception_fp_ieee_inexact 0
		.amdhsa_exception_int_div_zero 0
	.end_amdhsa_kernel
	.section	.text._ZN6thrust23THRUST_200600_302600_NS11hip_rocprim14__parallel_for6kernelILj256ENS1_13__swap_ranges6swap_fINS0_6detail15normal_iteratorINS0_10device_ptrIxEEEENS0_16reverse_iteratorISA_EEEElLj1EEEvT0_T1_SF_,"axG",@progbits,_ZN6thrust23THRUST_200600_302600_NS11hip_rocprim14__parallel_for6kernelILj256ENS1_13__swap_ranges6swap_fINS0_6detail15normal_iteratorINS0_10device_ptrIxEEEENS0_16reverse_iteratorISA_EEEElLj1EEEvT0_T1_SF_,comdat
.Lfunc_end222:
	.size	_ZN6thrust23THRUST_200600_302600_NS11hip_rocprim14__parallel_for6kernelILj256ENS1_13__swap_ranges6swap_fINS0_6detail15normal_iteratorINS0_10device_ptrIxEEEENS0_16reverse_iteratorISA_EEEElLj1EEEvT0_T1_SF_, .Lfunc_end222-_ZN6thrust23THRUST_200600_302600_NS11hip_rocprim14__parallel_for6kernelILj256ENS1_13__swap_ranges6swap_fINS0_6detail15normal_iteratorINS0_10device_ptrIxEEEENS0_16reverse_iteratorISA_EEEElLj1EEEvT0_T1_SF_
                                        ; -- End function
	.section	.AMDGPU.csdata,"",@progbits
; Kernel info:
; codeLenInByte = 288
; NumSgprs: 18
; NumVgprs: 10
; NumAgprs: 0
; TotalNumVgprs: 10
; ScratchSize: 0
; MemoryBound: 0
; FloatMode: 240
; IeeeMode: 1
; LDSByteSize: 0 bytes/workgroup (compile time only)
; SGPRBlocks: 2
; VGPRBlocks: 1
; NumSGPRsForWavesPerEU: 18
; NumVGPRsForWavesPerEU: 10
; AccumOffset: 12
; Occupancy: 8
; WaveLimiterHint : 0
; COMPUTE_PGM_RSRC2:SCRATCH_EN: 0
; COMPUTE_PGM_RSRC2:USER_SGPR: 2
; COMPUTE_PGM_RSRC2:TRAP_HANDLER: 0
; COMPUTE_PGM_RSRC2:TGID_X_EN: 1
; COMPUTE_PGM_RSRC2:TGID_Y_EN: 0
; COMPUTE_PGM_RSRC2:TGID_Z_EN: 0
; COMPUTE_PGM_RSRC2:TIDIG_COMP_CNT: 0
; COMPUTE_PGM_RSRC3_GFX90A:ACCUM_OFFSET: 2
; COMPUTE_PGM_RSRC3_GFX90A:TG_SPLIT: 0
	.section	.text._ZN7rocprim17ROCPRIM_400000_NS6detail17trampoline_kernelINS0_14default_configENS1_25partition_config_selectorILNS1_17partition_subalgoE2EiNS0_10empty_typeEbEEZZNS1_14partition_implILS5_2ELb0ES3_jN6thrust23THRUST_200600_302600_NS6detail15normal_iteratorINSA_7pointerIiNSA_11hip_rocprim3tagENSA_11use_defaultESG_EEEEPS6_NSA_18transform_iteratorI7is_evenIiENSC_INSA_10device_ptrIiEEEESG_SG_EENS0_5tupleIJPiSJ_EEENSR_IJSJ_SJ_EEES6_PlJS6_EEE10hipError_tPvRmT3_T4_T5_T6_T7_T9_mT8_P12ihipStream_tbDpT10_ENKUlT_T0_E_clISt17integral_constantIbLb0EES1F_EEDaS1A_S1B_EUlS1A_E_NS1_11comp_targetILNS1_3genE0ELNS1_11target_archE4294967295ELNS1_3gpuE0ELNS1_3repE0EEENS1_30default_config_static_selectorELNS0_4arch9wavefront6targetE1EEEvT1_,"axG",@progbits,_ZN7rocprim17ROCPRIM_400000_NS6detail17trampoline_kernelINS0_14default_configENS1_25partition_config_selectorILNS1_17partition_subalgoE2EiNS0_10empty_typeEbEEZZNS1_14partition_implILS5_2ELb0ES3_jN6thrust23THRUST_200600_302600_NS6detail15normal_iteratorINSA_7pointerIiNSA_11hip_rocprim3tagENSA_11use_defaultESG_EEEEPS6_NSA_18transform_iteratorI7is_evenIiENSC_INSA_10device_ptrIiEEEESG_SG_EENS0_5tupleIJPiSJ_EEENSR_IJSJ_SJ_EEES6_PlJS6_EEE10hipError_tPvRmT3_T4_T5_T6_T7_T9_mT8_P12ihipStream_tbDpT10_ENKUlT_T0_E_clISt17integral_constantIbLb0EES1F_EEDaS1A_S1B_EUlS1A_E_NS1_11comp_targetILNS1_3genE0ELNS1_11target_archE4294967295ELNS1_3gpuE0ELNS1_3repE0EEENS1_30default_config_static_selectorELNS0_4arch9wavefront6targetE1EEEvT1_,comdat
	.protected	_ZN7rocprim17ROCPRIM_400000_NS6detail17trampoline_kernelINS0_14default_configENS1_25partition_config_selectorILNS1_17partition_subalgoE2EiNS0_10empty_typeEbEEZZNS1_14partition_implILS5_2ELb0ES3_jN6thrust23THRUST_200600_302600_NS6detail15normal_iteratorINSA_7pointerIiNSA_11hip_rocprim3tagENSA_11use_defaultESG_EEEEPS6_NSA_18transform_iteratorI7is_evenIiENSC_INSA_10device_ptrIiEEEESG_SG_EENS0_5tupleIJPiSJ_EEENSR_IJSJ_SJ_EEES6_PlJS6_EEE10hipError_tPvRmT3_T4_T5_T6_T7_T9_mT8_P12ihipStream_tbDpT10_ENKUlT_T0_E_clISt17integral_constantIbLb0EES1F_EEDaS1A_S1B_EUlS1A_E_NS1_11comp_targetILNS1_3genE0ELNS1_11target_archE4294967295ELNS1_3gpuE0ELNS1_3repE0EEENS1_30default_config_static_selectorELNS0_4arch9wavefront6targetE1EEEvT1_ ; -- Begin function _ZN7rocprim17ROCPRIM_400000_NS6detail17trampoline_kernelINS0_14default_configENS1_25partition_config_selectorILNS1_17partition_subalgoE2EiNS0_10empty_typeEbEEZZNS1_14partition_implILS5_2ELb0ES3_jN6thrust23THRUST_200600_302600_NS6detail15normal_iteratorINSA_7pointerIiNSA_11hip_rocprim3tagENSA_11use_defaultESG_EEEEPS6_NSA_18transform_iteratorI7is_evenIiENSC_INSA_10device_ptrIiEEEESG_SG_EENS0_5tupleIJPiSJ_EEENSR_IJSJ_SJ_EEES6_PlJS6_EEE10hipError_tPvRmT3_T4_T5_T6_T7_T9_mT8_P12ihipStream_tbDpT10_ENKUlT_T0_E_clISt17integral_constantIbLb0EES1F_EEDaS1A_S1B_EUlS1A_E_NS1_11comp_targetILNS1_3genE0ELNS1_11target_archE4294967295ELNS1_3gpuE0ELNS1_3repE0EEENS1_30default_config_static_selectorELNS0_4arch9wavefront6targetE1EEEvT1_
	.globl	_ZN7rocprim17ROCPRIM_400000_NS6detail17trampoline_kernelINS0_14default_configENS1_25partition_config_selectorILNS1_17partition_subalgoE2EiNS0_10empty_typeEbEEZZNS1_14partition_implILS5_2ELb0ES3_jN6thrust23THRUST_200600_302600_NS6detail15normal_iteratorINSA_7pointerIiNSA_11hip_rocprim3tagENSA_11use_defaultESG_EEEEPS6_NSA_18transform_iteratorI7is_evenIiENSC_INSA_10device_ptrIiEEEESG_SG_EENS0_5tupleIJPiSJ_EEENSR_IJSJ_SJ_EEES6_PlJS6_EEE10hipError_tPvRmT3_T4_T5_T6_T7_T9_mT8_P12ihipStream_tbDpT10_ENKUlT_T0_E_clISt17integral_constantIbLb0EES1F_EEDaS1A_S1B_EUlS1A_E_NS1_11comp_targetILNS1_3genE0ELNS1_11target_archE4294967295ELNS1_3gpuE0ELNS1_3repE0EEENS1_30default_config_static_selectorELNS0_4arch9wavefront6targetE1EEEvT1_
	.p2align	8
	.type	_ZN7rocprim17ROCPRIM_400000_NS6detail17trampoline_kernelINS0_14default_configENS1_25partition_config_selectorILNS1_17partition_subalgoE2EiNS0_10empty_typeEbEEZZNS1_14partition_implILS5_2ELb0ES3_jN6thrust23THRUST_200600_302600_NS6detail15normal_iteratorINSA_7pointerIiNSA_11hip_rocprim3tagENSA_11use_defaultESG_EEEEPS6_NSA_18transform_iteratorI7is_evenIiENSC_INSA_10device_ptrIiEEEESG_SG_EENS0_5tupleIJPiSJ_EEENSR_IJSJ_SJ_EEES6_PlJS6_EEE10hipError_tPvRmT3_T4_T5_T6_T7_T9_mT8_P12ihipStream_tbDpT10_ENKUlT_T0_E_clISt17integral_constantIbLb0EES1F_EEDaS1A_S1B_EUlS1A_E_NS1_11comp_targetILNS1_3genE0ELNS1_11target_archE4294967295ELNS1_3gpuE0ELNS1_3repE0EEENS1_30default_config_static_selectorELNS0_4arch9wavefront6targetE1EEEvT1_,@function
_ZN7rocprim17ROCPRIM_400000_NS6detail17trampoline_kernelINS0_14default_configENS1_25partition_config_selectorILNS1_17partition_subalgoE2EiNS0_10empty_typeEbEEZZNS1_14partition_implILS5_2ELb0ES3_jN6thrust23THRUST_200600_302600_NS6detail15normal_iteratorINSA_7pointerIiNSA_11hip_rocprim3tagENSA_11use_defaultESG_EEEEPS6_NSA_18transform_iteratorI7is_evenIiENSC_INSA_10device_ptrIiEEEESG_SG_EENS0_5tupleIJPiSJ_EEENSR_IJSJ_SJ_EEES6_PlJS6_EEE10hipError_tPvRmT3_T4_T5_T6_T7_T9_mT8_P12ihipStream_tbDpT10_ENKUlT_T0_E_clISt17integral_constantIbLb0EES1F_EEDaS1A_S1B_EUlS1A_E_NS1_11comp_targetILNS1_3genE0ELNS1_11target_archE4294967295ELNS1_3gpuE0ELNS1_3repE0EEENS1_30default_config_static_selectorELNS0_4arch9wavefront6targetE1EEEvT1_: ; @_ZN7rocprim17ROCPRIM_400000_NS6detail17trampoline_kernelINS0_14default_configENS1_25partition_config_selectorILNS1_17partition_subalgoE2EiNS0_10empty_typeEbEEZZNS1_14partition_implILS5_2ELb0ES3_jN6thrust23THRUST_200600_302600_NS6detail15normal_iteratorINSA_7pointerIiNSA_11hip_rocprim3tagENSA_11use_defaultESG_EEEEPS6_NSA_18transform_iteratorI7is_evenIiENSC_INSA_10device_ptrIiEEEESG_SG_EENS0_5tupleIJPiSJ_EEENSR_IJSJ_SJ_EEES6_PlJS6_EEE10hipError_tPvRmT3_T4_T5_T6_T7_T9_mT8_P12ihipStream_tbDpT10_ENKUlT_T0_E_clISt17integral_constantIbLb0EES1F_EEDaS1A_S1B_EUlS1A_E_NS1_11comp_targetILNS1_3genE0ELNS1_11target_archE4294967295ELNS1_3gpuE0ELNS1_3repE0EEENS1_30default_config_static_selectorELNS0_4arch9wavefront6targetE1EEEvT1_
; %bb.0:
	.section	.rodata,"a",@progbits
	.p2align	6, 0x0
	.amdhsa_kernel _ZN7rocprim17ROCPRIM_400000_NS6detail17trampoline_kernelINS0_14default_configENS1_25partition_config_selectorILNS1_17partition_subalgoE2EiNS0_10empty_typeEbEEZZNS1_14partition_implILS5_2ELb0ES3_jN6thrust23THRUST_200600_302600_NS6detail15normal_iteratorINSA_7pointerIiNSA_11hip_rocprim3tagENSA_11use_defaultESG_EEEEPS6_NSA_18transform_iteratorI7is_evenIiENSC_INSA_10device_ptrIiEEEESG_SG_EENS0_5tupleIJPiSJ_EEENSR_IJSJ_SJ_EEES6_PlJS6_EEE10hipError_tPvRmT3_T4_T5_T6_T7_T9_mT8_P12ihipStream_tbDpT10_ENKUlT_T0_E_clISt17integral_constantIbLb0EES1F_EEDaS1A_S1B_EUlS1A_E_NS1_11comp_targetILNS1_3genE0ELNS1_11target_archE4294967295ELNS1_3gpuE0ELNS1_3repE0EEENS1_30default_config_static_selectorELNS0_4arch9wavefront6targetE1EEEvT1_
		.amdhsa_group_segment_fixed_size 0
		.amdhsa_private_segment_fixed_size 0
		.amdhsa_kernarg_size 128
		.amdhsa_user_sgpr_count 2
		.amdhsa_user_sgpr_dispatch_ptr 0
		.amdhsa_user_sgpr_queue_ptr 0
		.amdhsa_user_sgpr_kernarg_segment_ptr 1
		.amdhsa_user_sgpr_dispatch_id 0
		.amdhsa_user_sgpr_kernarg_preload_length 0
		.amdhsa_user_sgpr_kernarg_preload_offset 0
		.amdhsa_user_sgpr_private_segment_size 0
		.amdhsa_uses_dynamic_stack 0
		.amdhsa_enable_private_segment 0
		.amdhsa_system_sgpr_workgroup_id_x 1
		.amdhsa_system_sgpr_workgroup_id_y 0
		.amdhsa_system_sgpr_workgroup_id_z 0
		.amdhsa_system_sgpr_workgroup_info 0
		.amdhsa_system_vgpr_workitem_id 0
		.amdhsa_next_free_vgpr 1
		.amdhsa_next_free_sgpr 0
		.amdhsa_accum_offset 4
		.amdhsa_reserve_vcc 0
		.amdhsa_float_round_mode_32 0
		.amdhsa_float_round_mode_16_64 0
		.amdhsa_float_denorm_mode_32 3
		.amdhsa_float_denorm_mode_16_64 3
		.amdhsa_dx10_clamp 1
		.amdhsa_ieee_mode 1
		.amdhsa_fp16_overflow 0
		.amdhsa_tg_split 0
		.amdhsa_exception_fp_ieee_invalid_op 0
		.amdhsa_exception_fp_denorm_src 0
		.amdhsa_exception_fp_ieee_div_zero 0
		.amdhsa_exception_fp_ieee_overflow 0
		.amdhsa_exception_fp_ieee_underflow 0
		.amdhsa_exception_fp_ieee_inexact 0
		.amdhsa_exception_int_div_zero 0
	.end_amdhsa_kernel
	.section	.text._ZN7rocprim17ROCPRIM_400000_NS6detail17trampoline_kernelINS0_14default_configENS1_25partition_config_selectorILNS1_17partition_subalgoE2EiNS0_10empty_typeEbEEZZNS1_14partition_implILS5_2ELb0ES3_jN6thrust23THRUST_200600_302600_NS6detail15normal_iteratorINSA_7pointerIiNSA_11hip_rocprim3tagENSA_11use_defaultESG_EEEEPS6_NSA_18transform_iteratorI7is_evenIiENSC_INSA_10device_ptrIiEEEESG_SG_EENS0_5tupleIJPiSJ_EEENSR_IJSJ_SJ_EEES6_PlJS6_EEE10hipError_tPvRmT3_T4_T5_T6_T7_T9_mT8_P12ihipStream_tbDpT10_ENKUlT_T0_E_clISt17integral_constantIbLb0EES1F_EEDaS1A_S1B_EUlS1A_E_NS1_11comp_targetILNS1_3genE0ELNS1_11target_archE4294967295ELNS1_3gpuE0ELNS1_3repE0EEENS1_30default_config_static_selectorELNS0_4arch9wavefront6targetE1EEEvT1_,"axG",@progbits,_ZN7rocprim17ROCPRIM_400000_NS6detail17trampoline_kernelINS0_14default_configENS1_25partition_config_selectorILNS1_17partition_subalgoE2EiNS0_10empty_typeEbEEZZNS1_14partition_implILS5_2ELb0ES3_jN6thrust23THRUST_200600_302600_NS6detail15normal_iteratorINSA_7pointerIiNSA_11hip_rocprim3tagENSA_11use_defaultESG_EEEEPS6_NSA_18transform_iteratorI7is_evenIiENSC_INSA_10device_ptrIiEEEESG_SG_EENS0_5tupleIJPiSJ_EEENSR_IJSJ_SJ_EEES6_PlJS6_EEE10hipError_tPvRmT3_T4_T5_T6_T7_T9_mT8_P12ihipStream_tbDpT10_ENKUlT_T0_E_clISt17integral_constantIbLb0EES1F_EEDaS1A_S1B_EUlS1A_E_NS1_11comp_targetILNS1_3genE0ELNS1_11target_archE4294967295ELNS1_3gpuE0ELNS1_3repE0EEENS1_30default_config_static_selectorELNS0_4arch9wavefront6targetE1EEEvT1_,comdat
.Lfunc_end223:
	.size	_ZN7rocprim17ROCPRIM_400000_NS6detail17trampoline_kernelINS0_14default_configENS1_25partition_config_selectorILNS1_17partition_subalgoE2EiNS0_10empty_typeEbEEZZNS1_14partition_implILS5_2ELb0ES3_jN6thrust23THRUST_200600_302600_NS6detail15normal_iteratorINSA_7pointerIiNSA_11hip_rocprim3tagENSA_11use_defaultESG_EEEEPS6_NSA_18transform_iteratorI7is_evenIiENSC_INSA_10device_ptrIiEEEESG_SG_EENS0_5tupleIJPiSJ_EEENSR_IJSJ_SJ_EEES6_PlJS6_EEE10hipError_tPvRmT3_T4_T5_T6_T7_T9_mT8_P12ihipStream_tbDpT10_ENKUlT_T0_E_clISt17integral_constantIbLb0EES1F_EEDaS1A_S1B_EUlS1A_E_NS1_11comp_targetILNS1_3genE0ELNS1_11target_archE4294967295ELNS1_3gpuE0ELNS1_3repE0EEENS1_30default_config_static_selectorELNS0_4arch9wavefront6targetE1EEEvT1_, .Lfunc_end223-_ZN7rocprim17ROCPRIM_400000_NS6detail17trampoline_kernelINS0_14default_configENS1_25partition_config_selectorILNS1_17partition_subalgoE2EiNS0_10empty_typeEbEEZZNS1_14partition_implILS5_2ELb0ES3_jN6thrust23THRUST_200600_302600_NS6detail15normal_iteratorINSA_7pointerIiNSA_11hip_rocprim3tagENSA_11use_defaultESG_EEEEPS6_NSA_18transform_iteratorI7is_evenIiENSC_INSA_10device_ptrIiEEEESG_SG_EENS0_5tupleIJPiSJ_EEENSR_IJSJ_SJ_EEES6_PlJS6_EEE10hipError_tPvRmT3_T4_T5_T6_T7_T9_mT8_P12ihipStream_tbDpT10_ENKUlT_T0_E_clISt17integral_constantIbLb0EES1F_EEDaS1A_S1B_EUlS1A_E_NS1_11comp_targetILNS1_3genE0ELNS1_11target_archE4294967295ELNS1_3gpuE0ELNS1_3repE0EEENS1_30default_config_static_selectorELNS0_4arch9wavefront6targetE1EEEvT1_
                                        ; -- End function
	.section	.AMDGPU.csdata,"",@progbits
; Kernel info:
; codeLenInByte = 0
; NumSgprs: 6
; NumVgprs: 0
; NumAgprs: 0
; TotalNumVgprs: 0
; ScratchSize: 0
; MemoryBound: 0
; FloatMode: 240
; IeeeMode: 1
; LDSByteSize: 0 bytes/workgroup (compile time only)
; SGPRBlocks: 0
; VGPRBlocks: 0
; NumSGPRsForWavesPerEU: 6
; NumVGPRsForWavesPerEU: 1
; AccumOffset: 4
; Occupancy: 8
; WaveLimiterHint : 0
; COMPUTE_PGM_RSRC2:SCRATCH_EN: 0
; COMPUTE_PGM_RSRC2:USER_SGPR: 2
; COMPUTE_PGM_RSRC2:TRAP_HANDLER: 0
; COMPUTE_PGM_RSRC2:TGID_X_EN: 1
; COMPUTE_PGM_RSRC2:TGID_Y_EN: 0
; COMPUTE_PGM_RSRC2:TGID_Z_EN: 0
; COMPUTE_PGM_RSRC2:TIDIG_COMP_CNT: 0
; COMPUTE_PGM_RSRC3_GFX90A:ACCUM_OFFSET: 0
; COMPUTE_PGM_RSRC3_GFX90A:TG_SPLIT: 0
	.section	.text._ZN7rocprim17ROCPRIM_400000_NS6detail17trampoline_kernelINS0_14default_configENS1_25partition_config_selectorILNS1_17partition_subalgoE2EiNS0_10empty_typeEbEEZZNS1_14partition_implILS5_2ELb0ES3_jN6thrust23THRUST_200600_302600_NS6detail15normal_iteratorINSA_7pointerIiNSA_11hip_rocprim3tagENSA_11use_defaultESG_EEEEPS6_NSA_18transform_iteratorI7is_evenIiENSC_INSA_10device_ptrIiEEEESG_SG_EENS0_5tupleIJPiSJ_EEENSR_IJSJ_SJ_EEES6_PlJS6_EEE10hipError_tPvRmT3_T4_T5_T6_T7_T9_mT8_P12ihipStream_tbDpT10_ENKUlT_T0_E_clISt17integral_constantIbLb0EES1F_EEDaS1A_S1B_EUlS1A_E_NS1_11comp_targetILNS1_3genE5ELNS1_11target_archE942ELNS1_3gpuE9ELNS1_3repE0EEENS1_30default_config_static_selectorELNS0_4arch9wavefront6targetE1EEEvT1_,"axG",@progbits,_ZN7rocprim17ROCPRIM_400000_NS6detail17trampoline_kernelINS0_14default_configENS1_25partition_config_selectorILNS1_17partition_subalgoE2EiNS0_10empty_typeEbEEZZNS1_14partition_implILS5_2ELb0ES3_jN6thrust23THRUST_200600_302600_NS6detail15normal_iteratorINSA_7pointerIiNSA_11hip_rocprim3tagENSA_11use_defaultESG_EEEEPS6_NSA_18transform_iteratorI7is_evenIiENSC_INSA_10device_ptrIiEEEESG_SG_EENS0_5tupleIJPiSJ_EEENSR_IJSJ_SJ_EEES6_PlJS6_EEE10hipError_tPvRmT3_T4_T5_T6_T7_T9_mT8_P12ihipStream_tbDpT10_ENKUlT_T0_E_clISt17integral_constantIbLb0EES1F_EEDaS1A_S1B_EUlS1A_E_NS1_11comp_targetILNS1_3genE5ELNS1_11target_archE942ELNS1_3gpuE9ELNS1_3repE0EEENS1_30default_config_static_selectorELNS0_4arch9wavefront6targetE1EEEvT1_,comdat
	.protected	_ZN7rocprim17ROCPRIM_400000_NS6detail17trampoline_kernelINS0_14default_configENS1_25partition_config_selectorILNS1_17partition_subalgoE2EiNS0_10empty_typeEbEEZZNS1_14partition_implILS5_2ELb0ES3_jN6thrust23THRUST_200600_302600_NS6detail15normal_iteratorINSA_7pointerIiNSA_11hip_rocprim3tagENSA_11use_defaultESG_EEEEPS6_NSA_18transform_iteratorI7is_evenIiENSC_INSA_10device_ptrIiEEEESG_SG_EENS0_5tupleIJPiSJ_EEENSR_IJSJ_SJ_EEES6_PlJS6_EEE10hipError_tPvRmT3_T4_T5_T6_T7_T9_mT8_P12ihipStream_tbDpT10_ENKUlT_T0_E_clISt17integral_constantIbLb0EES1F_EEDaS1A_S1B_EUlS1A_E_NS1_11comp_targetILNS1_3genE5ELNS1_11target_archE942ELNS1_3gpuE9ELNS1_3repE0EEENS1_30default_config_static_selectorELNS0_4arch9wavefront6targetE1EEEvT1_ ; -- Begin function _ZN7rocprim17ROCPRIM_400000_NS6detail17trampoline_kernelINS0_14default_configENS1_25partition_config_selectorILNS1_17partition_subalgoE2EiNS0_10empty_typeEbEEZZNS1_14partition_implILS5_2ELb0ES3_jN6thrust23THRUST_200600_302600_NS6detail15normal_iteratorINSA_7pointerIiNSA_11hip_rocprim3tagENSA_11use_defaultESG_EEEEPS6_NSA_18transform_iteratorI7is_evenIiENSC_INSA_10device_ptrIiEEEESG_SG_EENS0_5tupleIJPiSJ_EEENSR_IJSJ_SJ_EEES6_PlJS6_EEE10hipError_tPvRmT3_T4_T5_T6_T7_T9_mT8_P12ihipStream_tbDpT10_ENKUlT_T0_E_clISt17integral_constantIbLb0EES1F_EEDaS1A_S1B_EUlS1A_E_NS1_11comp_targetILNS1_3genE5ELNS1_11target_archE942ELNS1_3gpuE9ELNS1_3repE0EEENS1_30default_config_static_selectorELNS0_4arch9wavefront6targetE1EEEvT1_
	.globl	_ZN7rocprim17ROCPRIM_400000_NS6detail17trampoline_kernelINS0_14default_configENS1_25partition_config_selectorILNS1_17partition_subalgoE2EiNS0_10empty_typeEbEEZZNS1_14partition_implILS5_2ELb0ES3_jN6thrust23THRUST_200600_302600_NS6detail15normal_iteratorINSA_7pointerIiNSA_11hip_rocprim3tagENSA_11use_defaultESG_EEEEPS6_NSA_18transform_iteratorI7is_evenIiENSC_INSA_10device_ptrIiEEEESG_SG_EENS0_5tupleIJPiSJ_EEENSR_IJSJ_SJ_EEES6_PlJS6_EEE10hipError_tPvRmT3_T4_T5_T6_T7_T9_mT8_P12ihipStream_tbDpT10_ENKUlT_T0_E_clISt17integral_constantIbLb0EES1F_EEDaS1A_S1B_EUlS1A_E_NS1_11comp_targetILNS1_3genE5ELNS1_11target_archE942ELNS1_3gpuE9ELNS1_3repE0EEENS1_30default_config_static_selectorELNS0_4arch9wavefront6targetE1EEEvT1_
	.p2align	8
	.type	_ZN7rocprim17ROCPRIM_400000_NS6detail17trampoline_kernelINS0_14default_configENS1_25partition_config_selectorILNS1_17partition_subalgoE2EiNS0_10empty_typeEbEEZZNS1_14partition_implILS5_2ELb0ES3_jN6thrust23THRUST_200600_302600_NS6detail15normal_iteratorINSA_7pointerIiNSA_11hip_rocprim3tagENSA_11use_defaultESG_EEEEPS6_NSA_18transform_iteratorI7is_evenIiENSC_INSA_10device_ptrIiEEEESG_SG_EENS0_5tupleIJPiSJ_EEENSR_IJSJ_SJ_EEES6_PlJS6_EEE10hipError_tPvRmT3_T4_T5_T6_T7_T9_mT8_P12ihipStream_tbDpT10_ENKUlT_T0_E_clISt17integral_constantIbLb0EES1F_EEDaS1A_S1B_EUlS1A_E_NS1_11comp_targetILNS1_3genE5ELNS1_11target_archE942ELNS1_3gpuE9ELNS1_3repE0EEENS1_30default_config_static_selectorELNS0_4arch9wavefront6targetE1EEEvT1_,@function
_ZN7rocprim17ROCPRIM_400000_NS6detail17trampoline_kernelINS0_14default_configENS1_25partition_config_selectorILNS1_17partition_subalgoE2EiNS0_10empty_typeEbEEZZNS1_14partition_implILS5_2ELb0ES3_jN6thrust23THRUST_200600_302600_NS6detail15normal_iteratorINSA_7pointerIiNSA_11hip_rocprim3tagENSA_11use_defaultESG_EEEEPS6_NSA_18transform_iteratorI7is_evenIiENSC_INSA_10device_ptrIiEEEESG_SG_EENS0_5tupleIJPiSJ_EEENSR_IJSJ_SJ_EEES6_PlJS6_EEE10hipError_tPvRmT3_T4_T5_T6_T7_T9_mT8_P12ihipStream_tbDpT10_ENKUlT_T0_E_clISt17integral_constantIbLb0EES1F_EEDaS1A_S1B_EUlS1A_E_NS1_11comp_targetILNS1_3genE5ELNS1_11target_archE942ELNS1_3gpuE9ELNS1_3repE0EEENS1_30default_config_static_selectorELNS0_4arch9wavefront6targetE1EEEvT1_: ; @_ZN7rocprim17ROCPRIM_400000_NS6detail17trampoline_kernelINS0_14default_configENS1_25partition_config_selectorILNS1_17partition_subalgoE2EiNS0_10empty_typeEbEEZZNS1_14partition_implILS5_2ELb0ES3_jN6thrust23THRUST_200600_302600_NS6detail15normal_iteratorINSA_7pointerIiNSA_11hip_rocprim3tagENSA_11use_defaultESG_EEEEPS6_NSA_18transform_iteratorI7is_evenIiENSC_INSA_10device_ptrIiEEEESG_SG_EENS0_5tupleIJPiSJ_EEENSR_IJSJ_SJ_EEES6_PlJS6_EEE10hipError_tPvRmT3_T4_T5_T6_T7_T9_mT8_P12ihipStream_tbDpT10_ENKUlT_T0_E_clISt17integral_constantIbLb0EES1F_EEDaS1A_S1B_EUlS1A_E_NS1_11comp_targetILNS1_3genE5ELNS1_11target_archE942ELNS1_3gpuE9ELNS1_3repE0EEENS1_30default_config_static_selectorELNS0_4arch9wavefront6targetE1EEEvT1_
; %bb.0:
	s_load_dwordx4 s[24:27], s[0:1], 0x8
	s_load_dwordx2 s[6:7], s[0:1], 0x20
	s_load_dwordx2 s[28:29], s[0:1], 0x60
	s_load_dwordx4 s[20:23], s[0:1], 0x50
	s_load_dword s3, s[0:1], 0x78
	s_waitcnt lgkmcnt(0)
	s_lshl_b64 s[8:9], s[26:27], 2
	s_add_u32 s12, s24, s8
	s_addc_u32 s13, s25, s9
	s_load_dwordx2 s[30:31], s[22:23], 0x0
	s_add_i32 s10, s3, -1
	s_mulk_i32 s3, 0x1e00
	s_add_i32 s4, s3, s26
	s_sub_i32 s33, s28, s4
	s_addk_i32 s33, 0x1e00
	s_add_u32 s4, s26, s3
	s_addc_u32 s5, s27, 0
	s_cmp_eq_u32 s2, s10
	v_mov_b64_e32 v[2:3], s[28:29]
	s_cselect_b64 s[22:23], -1, 0
	s_cmp_lg_u32 s2, s10
	s_mul_i32 s24, s2, 0x1e00
	s_mov_b32 s25, 0
	v_cmp_lt_u64_e32 vcc, s[4:5], v[2:3]
	s_cselect_b64 s[4:5], -1, 0
	s_or_b64 s[34:35], s[4:5], vcc
	s_lshl_b64 s[10:11], s[24:25], 2
	s_add_u32 s12, s12, s10
	s_addc_u32 s13, s13, s11
	s_mov_b64 s[4:5], -1
	s_and_b64 vcc, exec, s[34:35]
	v_lshlrev_b32_e32 v22, 2, v0
	s_cbranch_vccz .LBB224_2
; %bb.1:
	v_mov_b32_e32 v23, 0
	v_lshl_add_u64 v[2:3], s[12:13], 0, v[22:23]
	v_add_co_u32_e32 v4, vcc, 0x1000, v2
	s_mov_b64 s[4:5], 0
	s_nop 0
	v_addc_co_u32_e32 v5, vcc, 0, v3, vcc
	v_add_co_u32_e32 v6, vcc, 0x2000, v2
	s_nop 1
	v_addc_co_u32_e32 v7, vcc, 0, v3, vcc
	v_add_co_u32_e32 v8, vcc, 0x3000, v2
	s_nop 1
	v_addc_co_u32_e32 v9, vcc, 0, v3, vcc
	flat_load_dword v1, v[2:3]
	flat_load_dword v10, v[2:3] offset:2048
	flat_load_dword v11, v[4:5]
	flat_load_dword v12, v[4:5] offset:2048
	;; [unrolled: 2-line block ×4, first 2 shown]
	v_add_co_u32_e32 v4, vcc, 0x4000, v2
	s_nop 1
	v_addc_co_u32_e32 v5, vcc, 0, v3, vcc
	v_add_co_u32_e32 v6, vcc, 0x5000, v2
	s_nop 1
	v_addc_co_u32_e32 v7, vcc, 0, v3, vcc
	v_add_co_u32_e32 v8, vcc, 0x6000, v2
	s_nop 1
	v_addc_co_u32_e32 v9, vcc, 0, v3, vcc
	v_add_co_u32_e32 v2, vcc, 0x7000, v2
	s_nop 1
	v_addc_co_u32_e32 v3, vcc, 0, v3, vcc
	flat_load_dword v17, v[4:5]
	flat_load_dword v18, v[4:5] offset:2048
	flat_load_dword v19, v[6:7]
	flat_load_dword v20, v[6:7] offset:2048
	;; [unrolled: 2-line block ×3, first 2 shown]
	flat_load_dword v24, v[2:3]
	s_waitcnt vmcnt(0) lgkmcnt(0)
	ds_write2st64_b32 v22, v1, v10 offset1:8
	ds_write2st64_b32 v22, v11, v12 offset0:16 offset1:24
	ds_write2st64_b32 v22, v13, v14 offset0:32 offset1:40
	;; [unrolled: 1-line block ×6, first 2 shown]
	ds_write_b32 v22, v24 offset:28672
	s_waitcnt lgkmcnt(0)
	s_barrier
.LBB224_2:
	s_andn2_b64 vcc, exec, s[4:5]
	v_cmp_gt_u32_e64 s[4:5], s33, v0
	s_cbranch_vccnz .LBB224_34
; %bb.3:
                                        ; implicit-def: $vgpr2_vgpr3_vgpr4_vgpr5_vgpr6_vgpr7_vgpr8_vgpr9_vgpr10_vgpr11_vgpr12_vgpr13_vgpr14_vgpr15_vgpr16_vgpr17
	s_and_saveexec_b64 s[14:15], s[4:5]
	s_cbranch_execz .LBB224_5
; %bb.4:
	v_mov_b32_e32 v23, 0
	v_lshl_add_u64 v[2:3], s[12:13], 0, v[22:23]
	flat_load_dword v2, v[2:3]
.LBB224_5:
	s_or_b64 exec, exec, s[14:15]
	v_or_b32_e32 v1, 0x200, v0
	v_cmp_gt_u32_e32 vcc, s33, v1
	s_and_saveexec_b64 s[4:5], vcc
	s_cbranch_execz .LBB224_7
; %bb.6:
	v_mov_b32_e32 v23, 0
	v_lshl_add_u64 v[18:19], s[12:13], 0, v[22:23]
	flat_load_dword v3, v[18:19] offset:2048
.LBB224_7:
	s_or_b64 exec, exec, s[4:5]
	v_or_b32_e32 v1, 0x400, v0
	v_cmp_gt_u32_e32 vcc, s33, v1
	s_and_saveexec_b64 s[4:5], vcc
	s_cbranch_execz .LBB224_9
; %bb.8:
	v_lshlrev_b32_e32 v18, 2, v1
	v_mov_b32_e32 v19, 0
	v_lshl_add_u64 v[18:19], s[12:13], 0, v[18:19]
	flat_load_dword v4, v[18:19]
.LBB224_9:
	s_or_b64 exec, exec, s[4:5]
	v_or_b32_e32 v1, 0x600, v0
	v_cmp_gt_u32_e32 vcc, s33, v1
	s_and_saveexec_b64 s[4:5], vcc
	s_cbranch_execz .LBB224_11
; %bb.10:
	v_lshlrev_b32_e32 v18, 2, v1
	v_mov_b32_e32 v19, 0
	v_lshl_add_u64 v[18:19], s[12:13], 0, v[18:19]
	flat_load_dword v5, v[18:19]
.LBB224_11:
	;; [unrolled: 11-line block ×13, first 2 shown]
	s_or_b64 exec, exec, s[4:5]
	s_waitcnt vmcnt(0) lgkmcnt(0)
	ds_write2st64_b32 v22, v2, v3 offset1:8
	ds_write2st64_b32 v22, v4, v5 offset0:16 offset1:24
	ds_write2st64_b32 v22, v6, v7 offset0:32 offset1:40
	;; [unrolled: 1-line block ×6, first 2 shown]
	ds_write_b32 v22, v16 offset:28672
	s_waitcnt lgkmcnt(0)
	s_barrier
.LBB224_34:
	v_mul_u32_u24_e32 v21, 15, v0
	v_lshlrev_b32_e32 v1, 2, v21
	s_waitcnt lgkmcnt(0)
	ds_read2_b32 v[38:39], v1 offset1:1
	ds_read2_b32 v[36:37], v1 offset0:2 offset1:3
	ds_read2_b32 v[34:35], v1 offset0:4 offset1:5
	;; [unrolled: 1-line block ×6, first 2 shown]
	ds_read_b32 v1, v1 offset:56
	s_add_u32 s3, s6, s8
	s_addc_u32 s5, s7, s9
	s_add_u32 s4, s3, s10
	s_addc_u32 s5, s5, s11
	s_mov_b64 s[6:7], -1
	s_and_b64 vcc, exec, s[34:35]
	s_waitcnt lgkmcnt(0)
	s_barrier
	s_cbranch_vccz .LBB224_36
; %bb.35:
	v_mov_b32_e32 v23, 0
	v_lshl_add_u64 v[2:3], s[4:5], 0, v[22:23]
	v_add_co_u32_e32 v4, vcc, 0x1000, v2
	global_load_dword v10, v22, s[4:5]
	global_load_dword v11, v22, s[4:5] offset:2048
	v_addc_co_u32_e32 v5, vcc, 0, v3, vcc
	v_add_co_u32_e32 v6, vcc, 0x2000, v2
	s_mov_b64 s[6:7], 0
	s_nop 0
	v_addc_co_u32_e32 v7, vcc, 0, v3, vcc
	v_add_co_u32_e32 v8, vcc, 0x3000, v2
	s_nop 1
	v_addc_co_u32_e32 v9, vcc, 0, v3, vcc
	global_load_dword v12, v[4:5], off
	global_load_dword v13, v[4:5], off offset:2048
	global_load_dword v14, v[6:7], off
	global_load_dword v15, v[6:7], off offset:2048
	;; [unrolled: 2-line block ×3, first 2 shown]
	v_add_co_u32_e32 v4, vcc, 0x4000, v2
	s_nop 1
	v_addc_co_u32_e32 v5, vcc, 0, v3, vcc
	global_load_dword v6, v[4:5], off
	global_load_dword v7, v[4:5], off offset:2048
	v_add_co_u32_e32 v4, vcc, 0x5000, v2
	s_waitcnt vmcnt(1)
	v_xor_b32_e32 v6, -1, v6
	v_addc_co_u32_e32 v5, vcc, 0, v3, vcc
	global_load_dword v8, v[4:5], off
	global_load_dword v9, v[4:5], off offset:2048
	v_add_co_u32_e32 v4, vcc, 0x6000, v2
	s_waitcnt vmcnt(2)
	v_xor_b32_e32 v7, -1, v7
	v_addc_co_u32_e32 v5, vcc, 0, v3, vcc
	v_add_co_u32_e32 v2, vcc, 0x7000, v2
	global_load_dword v18, v[4:5], off
	global_load_dword v19, v[4:5], off offset:2048
	v_addc_co_u32_e32 v3, vcc, 0, v3, vcc
	global_load_dword v2, v[2:3], off
	v_xor_b32_e32 v3, -1, v10
	v_xor_b32_e32 v4, -1, v11
	v_and_b32_e32 v3, 1, v3
	v_and_b32_e32 v4, 1, v4
	ds_write_b8 v0, v3
	ds_write_b8 v0, v4 offset:512
	v_xor_b32_e32 v3, -1, v12
	v_xor_b32_e32 v4, -1, v13
	;; [unrolled: 1-line block ×3, first 2 shown]
	v_and_b32_e32 v3, 1, v3
	v_and_b32_e32 v4, 1, v4
	v_xor_b32_e32 v10, -1, v15
	v_and_b32_e32 v5, 1, v5
	v_xor_b32_e32 v11, -1, v16
	v_xor_b32_e32 v12, -1, v17
	v_and_b32_e32 v10, 1, v10
	ds_write_b8 v0, v3 offset:1024
	ds_write_b8 v0, v4 offset:1536
	v_and_b32_e32 v3, 1, v11
	v_and_b32_e32 v4, 1, v12
	ds_write_b8 v0, v5 offset:2048
	ds_write_b8 v0, v10 offset:2560
	v_and_b32_e32 v5, 1, v6
	v_and_b32_e32 v6, 1, v7
	ds_write_b8 v0, v3 offset:3072
	ds_write_b8 v0, v4 offset:3584
	ds_write_b8 v0, v5 offset:4096
	ds_write_b8 v0, v6 offset:4608
	s_waitcnt vmcnt(4)
	v_xor_b32_e32 v7, -1, v8
	s_waitcnt vmcnt(3)
	v_xor_b32_e32 v8, -1, v9
	v_and_b32_e32 v3, 1, v7
	v_and_b32_e32 v4, 1, v8
	s_waitcnt vmcnt(2)
	v_xor_b32_e32 v7, -1, v18
	s_waitcnt vmcnt(1)
	v_xor_b32_e32 v8, -1, v19
	v_and_b32_e32 v5, 1, v7
	v_and_b32_e32 v6, 1, v8
	s_waitcnt vmcnt(0)
	v_xor_b32_e32 v2, -1, v2
	v_and_b32_e32 v2, 1, v2
	ds_write_b8 v0, v3 offset:5120
	ds_write_b8 v0, v4 offset:5632
	ds_write_b8 v0, v5 offset:6144
	ds_write_b8 v0, v6 offset:6656
	ds_write_b8 v0, v2 offset:7168
	s_waitcnt lgkmcnt(0)
	s_barrier
.LBB224_36:
	s_load_dwordx2 s[36:37], s[0:1], 0x70
	s_andn2_b64 vcc, exec, s[6:7]
	s_cbranch_vccnz .LBB224_68
; %bb.37:
	v_cmp_gt_u32_e32 vcc, s33, v0
	v_mov_b32_e32 v2, 0
	v_mov_b32_e32 v3, 0
	s_and_saveexec_b64 s[6:7], vcc
	s_cbranch_execz .LBB224_39
; %bb.38:
	global_load_dword v3, v22, s[4:5]
	s_waitcnt vmcnt(0)
	v_xor_b32_e32 v3, -1, v3
	v_and_b32_e32 v3, 1, v3
.LBB224_39:
	s_or_b64 exec, exec, s[6:7]
	v_or_b32_e32 v4, 0x200, v0
	v_cmp_gt_u32_e32 vcc, s33, v4
	s_and_saveexec_b64 s[6:7], vcc
	s_cbranch_execz .LBB224_41
; %bb.40:
	global_load_dword v2, v22, s[4:5] offset:2048
	s_waitcnt vmcnt(0)
	v_xor_b32_e32 v2, -1, v2
	v_and_b32_e32 v2, 1, v2
.LBB224_41:
	s_or_b64 exec, exec, s[6:7]
	v_or_b32_e32 v6, 0x400, v0
	v_cmp_gt_u32_e32 vcc, s33, v6
	v_mov_b32_e32 v4, 0
	v_mov_b32_e32 v5, 0
	s_and_saveexec_b64 s[6:7], vcc
	s_cbranch_execz .LBB224_43
; %bb.42:
	v_lshlrev_b32_e32 v5, 2, v6
	global_load_dword v5, v5, s[4:5]
	s_waitcnt vmcnt(0)
	v_xor_b32_e32 v5, -1, v5
	v_and_b32_e32 v5, 1, v5
.LBB224_43:
	s_or_b64 exec, exec, s[6:7]
	v_or_b32_e32 v6, 0x600, v0
	v_cmp_gt_u32_e32 vcc, s33, v6
	s_and_saveexec_b64 s[6:7], vcc
	s_cbranch_execz .LBB224_45
; %bb.44:
	v_lshlrev_b32_e32 v4, 2, v6
	global_load_dword v4, v4, s[4:5]
	s_waitcnt vmcnt(0)
	v_xor_b32_e32 v4, -1, v4
	v_and_b32_e32 v4, 1, v4
.LBB224_45:
	s_or_b64 exec, exec, s[6:7]
	v_or_b32_e32 v8, 0x800, v0
	v_cmp_gt_u32_e32 vcc, s33, v8
	v_mov_b32_e32 v6, 0
	v_mov_b32_e32 v7, 0
	s_and_saveexec_b64 s[6:7], vcc
	s_cbranch_execz .LBB224_47
; %bb.46:
	v_lshlrev_b32_e32 v7, 2, v8
	global_load_dword v7, v7, s[4:5]
	s_waitcnt vmcnt(0)
	v_xor_b32_e32 v7, -1, v7
	v_and_b32_e32 v7, 1, v7
.LBB224_47:
	s_or_b64 exec, exec, s[6:7]
	v_or_b32_e32 v8, 0xa00, v0
	v_cmp_gt_u32_e32 vcc, s33, v8
	s_and_saveexec_b64 s[6:7], vcc
	s_cbranch_execz .LBB224_49
; %bb.48:
	v_lshlrev_b32_e32 v6, 2, v8
	global_load_dword v6, v6, s[4:5]
	s_waitcnt vmcnt(0)
	v_xor_b32_e32 v6, -1, v6
	v_and_b32_e32 v6, 1, v6
.LBB224_49:
	;; [unrolled: 26-line block ×6, first 2 shown]
	s_or_b64 exec, exec, s[6:7]
	v_or_b32_e32 v17, 0x1c00, v0
	v_cmp_gt_u32_e32 vcc, s33, v17
	v_mov_b32_e32 v16, 0
	s_and_saveexec_b64 s[6:7], vcc
	s_cbranch_execz .LBB224_67
; %bb.66:
	v_lshlrev_b32_e32 v16, 2, v17
	global_load_dword v16, v16, s[4:5]
	s_waitcnt vmcnt(0)
	v_xor_b32_e32 v16, -1, v16
	v_and_b32_e32 v16, 1, v16
.LBB224_67:
	s_or_b64 exec, exec, s[6:7]
	ds_write_b8 v0, v3
	ds_write_b8 v0, v2 offset:512
	ds_write_b8 v0, v5 offset:1024
	;; [unrolled: 1-line block ×14, first 2 shown]
	s_waitcnt lgkmcnt(0)
	s_barrier
.LBB224_68:
	s_waitcnt lgkmcnt(0)
	ds_read_b96 v[18:20], v21
	ds_read_u8 v2, v21 offset:12
	ds_read_u8 v3, v21 offset:13
	;; [unrolled: 1-line block ×3, first 2 shown]
	s_cmp_lg_u32 s2, 0
	v_lshrrev_b32_e32 v56, 6, v0
	s_waitcnt lgkmcnt(2)
	v_and_b32_e32 v42, 1, v2
	v_and_b32_e32 v51, 0xff, v18
	v_bfe_u32 v53, v18, 8, 8
	v_bfe_u32 v54, v18, 16, 8
	v_lshrrev_b32_e32 v44, 24, v18
	v_and_b32_e32 v48, 0xff, v19
	v_add3_u32 v2, v53, v51, v54
	v_bfe_u32 v49, v19, 8, 8
	v_bfe_u32 v50, v19, 16, 8
	v_add3_u32 v2, v2, v44, v48
	v_lshrrev_b32_e32 v43, 24, v19
	v_and_b32_e32 v45, 0xff, v20
	v_add3_u32 v2, v2, v49, v50
	v_bfe_u32 v46, v20, 8, 8
	v_bfe_u32 v47, v20, 16, 8
	v_add3_u32 v2, v2, v43, v45
	v_lshrrev_b32_e32 v41, 24, v20
	v_add3_u32 v2, v2, v46, v47
	s_waitcnt lgkmcnt(1)
	v_and_b32_e32 v40, 1, v3
	s_waitcnt lgkmcnt(0)
	v_and_b32_e32 v23, 1, v4
	v_add3_u32 v2, v2, v41, v42
	v_add3_u32 v57, v2, v40, v23
	v_mbcnt_lo_u32_b32 v2, -1, 0
	v_mbcnt_hi_u32_b32 v55, -1, v2
	v_and_b32_e32 v2, 15, v55
	v_cmp_eq_u32_e64 s[14:15], 0, v2
	v_cmp_lt_u32_e64 s[12:13], 1, v2
	v_cmp_lt_u32_e64 s[10:11], 3, v2
	;; [unrolled: 1-line block ×3, first 2 shown]
	v_and_b32_e32 v2, 16, v55
	v_cmp_eq_u32_e64 s[6:7], 0, v2
	v_or_b32_e32 v2, 63, v0
	v_cmp_lt_u32_e64 s[18:19], 31, v55
	v_cmp_eq_u32_e64 s[4:5], v2, v0
	s_barrier
	s_cbranch_scc0 .LBB224_95
; %bb.69:
	v_mov_b32_dpp v2, v57 row_shr:1 row_mask:0xf bank_mask:0xf
	v_cndmask_b32_e64 v2, v2, 0, s[14:15]
	v_add_u32_e32 v2, v2, v57
	s_nop 1
	v_mov_b32_dpp v3, v2 row_shr:2 row_mask:0xf bank_mask:0xf
	v_cndmask_b32_e64 v3, 0, v3, s[12:13]
	v_add_u32_e32 v2, v2, v3
	s_nop 1
	;; [unrolled: 4-line block ×4, first 2 shown]
	v_mov_b32_dpp v3, v2 row_bcast:15 row_mask:0xf bank_mask:0xf
	v_cndmask_b32_e64 v3, v3, 0, s[6:7]
	v_add_u32_e32 v2, v2, v3
	s_nop 1
	v_mov_b32_dpp v3, v2 row_bcast:31 row_mask:0xf bank_mask:0xf
	v_cndmask_b32_e64 v3, 0, v3, s[18:19]
	v_add_u32_e32 v2, v2, v3
	s_and_saveexec_b64 s[16:17], s[4:5]
	s_cbranch_execz .LBB224_71
; %bb.70:
	v_lshlrev_b32_e32 v3, 2, v56
	ds_write_b32 v3, v2
.LBB224_71:
	s_or_b64 exec, exec, s[16:17]
	v_cmp_gt_u32_e32 vcc, 8, v0
	s_waitcnt lgkmcnt(0)
	s_barrier
	s_and_saveexec_b64 s[16:17], vcc
	s_cbranch_execz .LBB224_73
; %bb.72:
	ds_read_b32 v3, v22
	v_and_b32_e32 v4, 7, v55
	v_cmp_ne_u32_e32 vcc, 0, v4
	s_waitcnt lgkmcnt(0)
	v_mov_b32_dpp v5, v3 row_shr:1 row_mask:0xf bank_mask:0xf
	v_cndmask_b32_e32 v5, 0, v5, vcc
	v_add_u32_e32 v3, v5, v3
	v_cmp_lt_u32_e32 vcc, 1, v4
	s_nop 0
	v_mov_b32_dpp v5, v3 row_shr:2 row_mask:0xf bank_mask:0xf
	v_cndmask_b32_e32 v5, 0, v5, vcc
	v_add_u32_e32 v3, v3, v5
	v_cmp_lt_u32_e32 vcc, 3, v4
	s_nop 0
	v_mov_b32_dpp v5, v3 row_shr:4 row_mask:0xf bank_mask:0xf
	v_cndmask_b32_e32 v4, 0, v5, vcc
	v_add_u32_e32 v3, v3, v4
	ds_write_b32 v22, v3
.LBB224_73:
	s_or_b64 exec, exec, s[16:17]
	v_cmp_gt_u32_e32 vcc, 64, v0
	v_cmp_lt_u32_e64 s[16:17], 63, v0
	s_waitcnt lgkmcnt(0)
	s_barrier
	s_waitcnt lgkmcnt(0)
                                        ; implicit-def: $vgpr12
	s_and_saveexec_b64 s[38:39], s[16:17]
	s_cbranch_execz .LBB224_75
; %bb.74:
	v_lshl_add_u32 v3, v56, 2, -4
	ds_read_b32 v12, v3
	s_waitcnt lgkmcnt(0)
	v_add_u32_e32 v2, v12, v2
.LBB224_75:
	s_or_b64 exec, exec, s[38:39]
	v_add_u32_e32 v3, -1, v55
	v_and_b32_e32 v4, 64, v55
	v_cmp_lt_i32_e64 s[16:17], v3, v4
	s_nop 1
	v_cndmask_b32_e64 v3, v3, v55, s[16:17]
	v_lshlrev_b32_e32 v3, 2, v3
	ds_bpermute_b32 v13, v3, v2
	v_cmp_eq_u32_e64 s[16:17], 0, v55
	s_and_saveexec_b64 s[38:39], vcc
	s_cbranch_execz .LBB224_94
; %bb.76:
	v_mov_b32_e32 v9, 0
	ds_read_b32 v2, v9 offset:28
	s_and_saveexec_b64 s[40:41], s[16:17]
	s_cbranch_execz .LBB224_78
; %bb.77:
	s_add_i32 s42, s2, 64
	s_mov_b32 s43, 0
	s_lshl_b64 s[42:43], s[42:43], 3
	s_add_u32 s42, s36, s42
	v_mov_b32_e32 v3, 1
	s_addc_u32 s43, s37, s43
	s_waitcnt lgkmcnt(0)
	global_store_dwordx2 v9, v[2:3], s[42:43] sc1
.LBB224_78:
	s_or_b64 exec, exec, s[40:41]
	v_xad_u32 v4, v55, -1, s2
	v_add_u32_e32 v8, 64, v4
	v_lshl_add_u64 v[10:11], v[8:9], 3, s[36:37]
	global_load_dwordx2 v[6:7], v[10:11], off sc1
	s_waitcnt vmcnt(0)
	v_cmp_eq_u16_sdwa s[42:43], v7, v9 src0_sel:BYTE_0 src1_sel:DWORD
	s_and_saveexec_b64 s[40:41], s[42:43]
	s_cbranch_execz .LBB224_82
; %bb.79:
	s_mov_b64 s[42:43], 0
	v_mov_b32_e32 v3, 0
.LBB224_80:                             ; =>This Inner Loop Header: Depth=1
	global_load_dwordx2 v[6:7], v[10:11], off sc1
	s_waitcnt vmcnt(0)
	v_cmp_ne_u16_sdwa s[44:45], v7, v3 src0_sel:BYTE_0 src1_sel:DWORD
	s_or_b64 s[42:43], s[44:45], s[42:43]
	s_andn2_b64 exec, exec, s[42:43]
	s_cbranch_execnz .LBB224_80
; %bb.81:
	s_or_b64 exec, exec, s[42:43]
.LBB224_82:
	s_or_b64 exec, exec, s[40:41]
	v_and_b32_e32 v15, 63, v55
	v_mov_b32_e32 v14, 2
	v_cmp_ne_u32_e32 vcc, 63, v15
	v_cmp_eq_u16_sdwa s[40:41], v7, v14 src0_sel:BYTE_0 src1_sel:DWORD
	v_lshlrev_b64 v[8:9], v55, -1
	v_addc_co_u32_e32 v10, vcc, 0, v55, vcc
	v_and_b32_e32 v3, s41, v9
	v_lshlrev_b32_e32 v16, 2, v10
	v_or_b32_e32 v3, 0x80000000, v3
	ds_bpermute_b32 v10, v16, v6
	v_and_b32_e32 v5, s40, v8
	v_ffbl_b32_e32 v3, v3
	v_add_u32_e32 v3, 32, v3
	v_ffbl_b32_e32 v5, v5
	v_min_u32_e32 v3, v5, v3
	v_cmp_lt_u32_e32 vcc, v15, v3
	v_add_u32_e32 v24, 2, v15
	v_add_u32_e32 v52, 4, v15
	s_waitcnt lgkmcnt(0)
	v_cndmask_b32_e32 v5, 0, v10, vcc
	v_cmp_gt_u32_e32 vcc, 62, v15
	v_add_u32_e32 v5, v5, v6
	v_add_u32_e32 v59, 8, v15
	v_cndmask_b32_e64 v6, 0, 1, vcc
	v_lshlrev_b32_e32 v6, 1, v6
	v_add_lshl_u32 v17, v6, v55, 2
	ds_bpermute_b32 v6, v17, v5
	v_cmp_le_u32_e32 vcc, v24, v3
	v_add_u32_e32 v61, 16, v15
	v_add_u32_e32 v63, 32, v15
	s_waitcnt lgkmcnt(0)
	v_cndmask_b32_e32 v6, 0, v6, vcc
	v_cmp_gt_u32_e32 vcc, 60, v15
	v_add_u32_e32 v5, v5, v6
	s_nop 0
	v_cndmask_b32_e64 v6, 0, 1, vcc
	v_lshlrev_b32_e32 v6, 2, v6
	v_add_lshl_u32 v25, v6, v55, 2
	ds_bpermute_b32 v6, v25, v5
	v_cmp_le_u32_e32 vcc, v52, v3
	s_waitcnt lgkmcnt(0)
	s_nop 0
	v_cndmask_b32_e32 v6, 0, v6, vcc
	v_cmp_gt_u32_e32 vcc, 56, v15
	v_add_u32_e32 v5, v5, v6
	s_nop 0
	v_cndmask_b32_e64 v6, 0, 1, vcc
	v_lshlrev_b32_e32 v6, 3, v6
	v_add_lshl_u32 v58, v6, v55, 2
	ds_bpermute_b32 v6, v58, v5
	v_cmp_le_u32_e32 vcc, v59, v3
	s_waitcnt lgkmcnt(0)
	s_nop 0
	;; [unrolled: 11-line block ×4, first 2 shown]
	v_cndmask_b32_e32 v3, 0, v6, vcc
	v_add_u32_e32 v6, v5, v3
	v_mov_b32_e32 v5, 0
	s_branch .LBB224_84
.LBB224_83:                             ;   in Loop: Header=BB224_84 Depth=1
	s_or_b64 exec, exec, s[40:41]
	v_cmp_eq_u16_sdwa s[40:41], v7, v14 src0_sel:BYTE_0 src1_sel:DWORD
	ds_bpermute_b32 v64, v16, v6
	v_subrev_u32_e32 v4, 64, v4
	v_and_b32_e32 v10, s41, v9
	v_or_b32_e32 v10, 0x80000000, v10
	v_and_b32_e32 v11, s40, v8
	v_ffbl_b32_e32 v10, v10
	v_add_u32_e32 v10, 32, v10
	v_ffbl_b32_e32 v11, v11
	v_min_u32_e32 v10, v11, v10
	v_cmp_lt_u32_e32 vcc, v15, v10
	s_waitcnt lgkmcnt(0)
	s_nop 0
	v_cndmask_b32_e32 v11, 0, v64, vcc
	v_add_u32_e32 v6, v11, v6
	ds_bpermute_b32 v11, v17, v6
	v_cmp_le_u32_e32 vcc, v24, v10
	s_waitcnt lgkmcnt(0)
	s_nop 0
	v_cndmask_b32_e32 v11, 0, v11, vcc
	v_add_u32_e32 v6, v6, v11
	ds_bpermute_b32 v11, v25, v6
	v_cmp_le_u32_e32 vcc, v52, v10
	;; [unrolled: 6-line block ×5, first 2 shown]
	s_waitcnt lgkmcnt(0)
	s_nop 0
	v_cndmask_b32_e32 v10, 0, v11, vcc
	v_add3_u32 v6, v10, v3, v6
.LBB224_84:                             ; =>This Loop Header: Depth=1
                                        ;     Child Loop BB224_87 Depth 2
	v_cmp_ne_u16_sdwa s[40:41], v7, v14 src0_sel:BYTE_0 src1_sel:DWORD
	s_nop 1
	v_cndmask_b32_e64 v3, 0, 1, s[40:41]
	;;#ASMSTART
	;;#ASMEND
	s_nop 0
	v_cmp_ne_u32_e32 vcc, 0, v3
	s_cmp_lg_u64 vcc, exec
	v_mov_b32_e32 v3, v6
	s_cbranch_scc1 .LBB224_89
; %bb.85:                               ;   in Loop: Header=BB224_84 Depth=1
	v_lshl_add_u64 v[10:11], v[4:5], 3, s[36:37]
	global_load_dwordx2 v[6:7], v[10:11], off sc1
	s_waitcnt vmcnt(0)
	v_cmp_eq_u16_sdwa s[42:43], v7, v5 src0_sel:BYTE_0 src1_sel:DWORD
	s_and_saveexec_b64 s[40:41], s[42:43]
	s_cbranch_execz .LBB224_83
; %bb.86:                               ;   in Loop: Header=BB224_84 Depth=1
	s_mov_b64 s[42:43], 0
.LBB224_87:                             ;   Parent Loop BB224_84 Depth=1
                                        ; =>  This Inner Loop Header: Depth=2
	global_load_dwordx2 v[6:7], v[10:11], off sc1
	s_waitcnt vmcnt(0)
	v_cmp_ne_u16_sdwa s[44:45], v7, v5 src0_sel:BYTE_0 src1_sel:DWORD
	s_or_b64 s[42:43], s[44:45], s[42:43]
	s_andn2_b64 exec, exec, s[42:43]
	s_cbranch_execnz .LBB224_87
; %bb.88:                               ;   in Loop: Header=BB224_84 Depth=1
	s_or_b64 exec, exec, s[42:43]
	s_branch .LBB224_83
.LBB224_89:                             ;   in Loop: Header=BB224_84 Depth=1
                                        ; implicit-def: $vgpr6
                                        ; implicit-def: $vgpr7
	s_cbranch_execz .LBB224_84
; %bb.90:
	s_and_saveexec_b64 s[40:41], s[16:17]
	s_cbranch_execz .LBB224_92
; %bb.91:
	s_add_i32 s2, s2, 64
	s_mov_b32 s3, 0
	s_lshl_b64 s[2:3], s[2:3], 3
	s_add_u32 s2, s36, s2
	v_add_u32_e32 v4, v3, v2
	v_mov_b32_e32 v5, 2
	s_addc_u32 s3, s37, s3
	v_mov_b32_e32 v6, 0
	global_store_dwordx2 v6, v[4:5], s[2:3] sc1
	ds_write_b64 v6, v[2:3] offset:30720
.LBB224_92:
	s_or_b64 exec, exec, s[40:41]
	v_cmp_eq_u32_e32 vcc, 0, v0
	s_and_b64 exec, exec, vcc
	s_cbranch_execz .LBB224_94
; %bb.93:
	v_mov_b32_e32 v2, 0
	ds_write_b32 v2, v3 offset:28
.LBB224_94:
	s_or_b64 exec, exec, s[38:39]
	v_mov_b32_e32 v14, 0
	s_waitcnt lgkmcnt(0)
	s_barrier
	ds_read_b32 v2, v14 offset:28
	v_cndmask_b32_e64 v3, v13, v12, s[16:17]
	v_cmp_ne_u32_e32 vcc, 0, v0
	s_waitcnt lgkmcnt(0)
	s_barrier
	v_cndmask_b32_e32 v3, 0, v3, vcc
	v_add_u32_e32 v2, v2, v3
	v_add_u32_e32 v3, v2, v51
	;; [unrolled: 1-line block ×10, first 2 shown]
	ds_read_b64 v[24:25], v14 offset:30720
	v_add_u32_e32 v12, v11, v46
	v_add_u32_e32 v13, v12, v47
	;; [unrolled: 1-line block ×5, first 2 shown]
	s_waitcnt lgkmcnt(0)
	v_mov_b32_e32 v52, v25
	s_load_dwordx2 s[2:3], s[0:1], 0x30
	s_branch .LBB224_105
.LBB224_95:
                                        ; implicit-def: $vgpr52
                                        ; implicit-def: $vgpr24
                                        ; implicit-def: $vgpr2_vgpr3_vgpr4_vgpr5_vgpr6_vgpr7_vgpr8_vgpr9_vgpr10_vgpr11_vgpr12_vgpr13_vgpr14_vgpr15_vgpr16_vgpr17
	s_load_dwordx2 s[2:3], s[0:1], 0x30
	s_cbranch_execz .LBB224_105
; %bb.96:
	v_mov_b32_dpp v2, v57 row_shr:1 row_mask:0xf bank_mask:0xf
	v_cndmask_b32_e64 v2, v2, 0, s[14:15]
	v_add_u32_e32 v2, v2, v57
	s_nop 1
	v_mov_b32_dpp v3, v2 row_shr:2 row_mask:0xf bank_mask:0xf
	v_cndmask_b32_e64 v3, 0, v3, s[12:13]
	v_add_u32_e32 v2, v2, v3
	s_nop 1
	;; [unrolled: 4-line block ×4, first 2 shown]
	v_mov_b32_dpp v3, v2 row_bcast:15 row_mask:0xf bank_mask:0xf
	v_cndmask_b32_e64 v3, v3, 0, s[6:7]
	v_add_u32_e32 v2, v2, v3
	s_nop 1
	v_mov_b32_dpp v3, v2 row_bcast:31 row_mask:0xf bank_mask:0xf
	v_cndmask_b32_e64 v3, 0, v3, s[18:19]
	v_add_u32_e32 v2, v2, v3
	s_and_saveexec_b64 s[0:1], s[4:5]
	s_cbranch_execz .LBB224_98
; %bb.97:
	v_lshlrev_b32_e32 v3, 2, v56
	ds_write_b32 v3, v2
.LBB224_98:
	s_or_b64 exec, exec, s[0:1]
	v_cmp_gt_u32_e32 vcc, 8, v0
	s_waitcnt lgkmcnt(0)
	s_barrier
	s_and_saveexec_b64 s[0:1], vcc
	s_cbranch_execz .LBB224_100
; %bb.99:
	v_mad_i32_i24 v3, v0, -11, v21
	ds_read_b32 v4, v3
	v_and_b32_e32 v5, 7, v55
	v_cmp_ne_u32_e32 vcc, 0, v5
	s_waitcnt lgkmcnt(0)
	v_mov_b32_dpp v6, v4 row_shr:1 row_mask:0xf bank_mask:0xf
	v_cndmask_b32_e32 v6, 0, v6, vcc
	v_add_u32_e32 v4, v6, v4
	v_cmp_lt_u32_e32 vcc, 1, v5
	s_nop 0
	v_mov_b32_dpp v6, v4 row_shr:2 row_mask:0xf bank_mask:0xf
	v_cndmask_b32_e32 v6, 0, v6, vcc
	v_add_u32_e32 v4, v4, v6
	v_cmp_lt_u32_e32 vcc, 3, v5
	s_nop 0
	v_mov_b32_dpp v6, v4 row_shr:4 row_mask:0xf bank_mask:0xf
	v_cndmask_b32_e32 v5, 0, v6, vcc
	v_add_u32_e32 v4, v4, v5
	ds_write_b32 v3, v4
.LBB224_100:
	s_or_b64 exec, exec, s[0:1]
	v_cmp_lt_u32_e32 vcc, 63, v0
	v_mov_b32_e32 v4, 0
	v_mov_b32_e32 v3, 0
	s_waitcnt lgkmcnt(0)
	s_barrier
	s_and_saveexec_b64 s[0:1], vcc
	s_cbranch_execz .LBB224_102
; %bb.101:
	v_lshl_add_u32 v3, v56, 2, -4
	ds_read_b32 v3, v3
.LBB224_102:
	s_or_b64 exec, exec, s[0:1]
	v_add_u32_e32 v5, -1, v55
	v_and_b32_e32 v6, 64, v55
	v_cmp_lt_i32_e32 vcc, v5, v6
	s_waitcnt lgkmcnt(0)
	v_add_u32_e32 v2, v3, v2
	ds_read_b32 v24, v4 offset:28
	v_cndmask_b32_e32 v5, v5, v55, vcc
	v_lshlrev_b32_e32 v5, 2, v5
	ds_bpermute_b32 v2, v5, v2
	v_cmp_eq_u32_e32 vcc, 0, v0
	s_and_saveexec_b64 s[0:1], vcc
	s_cbranch_execz .LBB224_104
; %bb.103:
	v_mov_b32_e32 v4, 0
	v_mov_b32_e32 v25, 2
	s_waitcnt lgkmcnt(1)
	global_store_dwordx2 v4, v[24:25], s[36:37] offset:512 sc1
.LBB224_104:
	s_or_b64 exec, exec, s[0:1]
	v_cmp_eq_u32_e64 s[0:1], 0, v55
	v_mov_b32_e32 v52, 0
	s_waitcnt lgkmcnt(0)
	v_cndmask_b32_e64 v2, v2, v3, s[0:1]
	v_cndmask_b32_e64 v2, v2, 0, vcc
	v_add_u32_e32 v3, v2, v51
	v_add_u32_e32 v4, v3, v53
	;; [unrolled: 1-line block ×14, first 2 shown]
	s_barrier
.LBB224_105:
	v_add_u32_e32 v21, v24, v21
	v_sub_u32_e32 v2, v2, v52
	v_and_b32_e32 v47, 1, v18
	v_sub_u32_e32 v46, v21, v2
	v_cmp_eq_u32_e32 vcc, 1, v47
	v_lshrrev_b32_e32 v45, 8, v18
	v_lshrrev_b32_e32 v25, 8, v19
	v_cndmask_b32_e32 v2, v46, v2, vcc
	v_lshlrev_b32_e32 v2, 2, v2
	ds_write_b32 v2, v38
	v_sub_u32_e32 v2, v3, v52
	v_sub_u32_e32 v3, v21, v2
	v_and_b32_e32 v38, 1, v45
	v_add_u32_e32 v3, 1, v3
	v_cmp_eq_u32_e32 vcc, 1, v38
	v_lshrrev_b32_e32 v17, 8, v20
	s_add_u32 s0, s26, s24
	v_cndmask_b32_e32 v2, v3, v2, vcc
	v_lshlrev_b32_e32 v2, 2, v2
	ds_write_b32 v2, v39
	v_sub_u32_e32 v2, v4, v52
	v_mov_b32_e32 v4, 1
	v_sub_u32_e32 v3, v21, v2
	v_and_b32_sdwa v18, v4, v18 dst_sel:DWORD dst_unused:UNUSED_PAD src0_sel:DWORD src1_sel:WORD_1
	v_add_u32_e32 v3, 2, v3
	v_cmp_eq_u32_e32 vcc, 1, v18
	s_addc_u32 s1, s27, 0
	s_sub_u32 s0, s28, s0
	v_cndmask_b32_e32 v2, v3, v2, vcc
	v_lshlrev_b32_e32 v2, 2, v2
	ds_write_b32 v2, v36
	v_sub_u32_e32 v2, v5, v52
	v_sub_u32_e32 v3, v21, v2
	v_and_b32_e32 v5, 1, v44
	v_add_u32_e32 v3, 3, v3
	v_cmp_eq_u32_e32 vcc, 1, v5
	v_and_b32_e32 v5, 1, v19
	s_subb_u32 s1, s29, s1
	v_cndmask_b32_e32 v2, v3, v2, vcc
	v_lshlrev_b32_e32 v2, 2, v2
	ds_write_b32 v2, v37
	v_sub_u32_e32 v2, v6, v52
	v_sub_u32_e32 v3, v21, v2
	v_add_u32_e32 v3, 4, v3
	v_cmp_eq_u32_e32 vcc, 1, v5
	v_and_b32_e32 v5, 1, v25
	v_or_b32_e32 v50, 0x200, v0
	v_cndmask_b32_e32 v2, v3, v2, vcc
	v_lshlrev_b32_e32 v2, 2, v2
	ds_write_b32 v2, v34
	v_sub_u32_e32 v2, v7, v52
	v_sub_u32_e32 v3, v21, v2
	v_add_u32_e32 v3, 5, v3
	v_cmp_eq_u32_e32 vcc, 1, v5
	v_and_b32_sdwa v5, v4, v19 dst_sel:DWORD dst_unused:UNUSED_PAD src0_sel:DWORD src1_sel:WORD_1
	v_and_b32_sdwa v4, v4, v20 dst_sel:DWORD dst_unused:UNUSED_PAD src0_sel:DWORD src1_sel:WORD_1
	v_cndmask_b32_e32 v2, v3, v2, vcc
	v_lshlrev_b32_e32 v2, 2, v2
	ds_write_b32 v2, v35
	v_sub_u32_e32 v2, v8, v52
	v_sub_u32_e32 v3, v21, v2
	v_add_u32_e32 v3, 6, v3
	v_cmp_eq_u32_e32 vcc, 1, v5
	v_and_b32_e32 v5, 1, v43
	v_or_b32_e32 v46, 0x400, v0
	v_cndmask_b32_e32 v2, v3, v2, vcc
	v_lshlrev_b32_e32 v2, 2, v2
	ds_write_b32 v2, v32
	v_sub_u32_e32 v2, v9, v52
	v_sub_u32_e32 v3, v21, v2
	v_add_u32_e32 v3, 7, v3
	v_cmp_eq_u32_e32 vcc, 1, v5
	v_and_b32_e32 v5, 1, v20
	v_or_b32_e32 v44, 0x600, v0
	;; [unrolled: 9-line block ×3, first 2 shown]
	v_cndmask_b32_e32 v2, v3, v2, vcc
	v_lshlrev_b32_e32 v2, 2, v2
	ds_write_b32 v2, v30
	v_sub_u32_e32 v2, v11, v52
	v_sub_u32_e32 v3, v21, v2
	v_add_u32_e32 v3, 9, v3
	v_cmp_eq_u32_e32 vcc, 1, v5
	v_or_b32_e32 v34, 0xc00, v0
	v_or_b32_e32 v32, 0xe00, v0
	v_cndmask_b32_e32 v2, v3, v2, vcc
	v_lshlrev_b32_e32 v2, 2, v2
	ds_write_b32 v2, v31
	v_sub_u32_e32 v2, v12, v52
	v_sub_u32_e32 v3, v21, v2
	v_add_u32_e32 v3, 10, v3
	v_cmp_eq_u32_e32 vcc, 1, v4
	v_and_b32_e32 v4, 1, v41
	v_or_b32_e32 v18, 0x1400, v0
	v_cndmask_b32_e32 v2, v3, v2, vcc
	v_lshlrev_b32_e32 v2, 2, v2
	ds_write_b32 v2, v28
	v_sub_u32_e32 v2, v13, v52
	v_sub_u32_e32 v3, v21, v2
	v_add_u32_e32 v3, 11, v3
	v_cmp_eq_u32_e32 vcc, 1, v4
	v_or_b32_e32 v28, 0x1000, v0
	v_or_b32_e32 v12, 0x1800, v0
	v_cndmask_b32_e32 v2, v3, v2, vcc
	v_lshlrev_b32_e32 v2, 2, v2
	ds_write_b32 v2, v29
	v_sub_u32_e32 v2, v14, v52
	v_sub_u32_e32 v3, v21, v2
	v_add_u32_e32 v3, 12, v3
	v_cmp_eq_u32_e32 vcc, 1, v42
	v_or_b32_e32 v10, 0x1a00, v0
	;; [unrolled: 9-line block ×4, first 2 shown]
	s_nop 0
	v_cndmask_b32_e32 v2, v3, v2, vcc
	v_lshlrev_b32_e32 v2, 2, v2
	ds_write_b32 v2, v1
	s_waitcnt lgkmcnt(0)
	s_barrier
	ds_read2st64_b32 v[48:49], v22 offset1:8
	ds_read2st64_b32 v[42:43], v22 offset0:16 offset1:24
	ds_read2st64_b32 v[36:37], v22 offset0:32 offset1:40
	;; [unrolled: 1-line block ×6, first 2 shown]
	ds_read_b32 v54, v22 offset:28672
	v_mov_b32_e32 v1, 0
	v_mov_b32_e32 v53, v1
	;; [unrolled: 1-line block ×3, first 2 shown]
	v_lshl_add_u64 v[2:3], s[30:31], 0, v[52:53]
	v_lshl_add_u64 v[6:7], s[0:1], 0, v[24:25]
	v_mov_b32_e32 v51, v1
	v_mov_b32_e32 v47, v1
	;; [unrolled: 1-line block ×14, first 2 shown]
	s_andn2_b64 vcc, exec, s[34:35]
	v_lshl_add_u64 v[6:7], v[6:7], 0, v[2:3]
	s_cbranch_vccnz .LBB224_167
; %bb.106:
	v_cmp_ge_u32_e32 vcc, v0, v24
                                        ; implicit-def: $vgpr22_vgpr23
	s_and_saveexec_b64 s[0:1], vcc
	s_xor_b64 s[0:1], exec, s[0:1]
; %bb.107:
	v_not_b32_e32 v22, v0
	v_ashrrev_i32_e32 v23, 31, v22
	v_lshl_add_u64 v[22:23], v[6:7], 0, v[22:23]
; %bb.108:
	s_andn2_saveexec_b64 s[0:1], s[0:1]
; %bb.109:
	v_lshl_add_u64 v[22:23], v[2:3], 0, v[0:1]
; %bb.110:
	s_or_b64 exec, exec, s[0:1]
	v_lshl_add_u64 v[22:23], v[22:23], 2, s[2:3]
	v_cmp_ge_u32_e32 vcc, v50, v24
	s_waitcnt lgkmcnt(7)
	global_store_dword v[22:23], v48, off
                                        ; implicit-def: $vgpr22_vgpr23
	s_and_saveexec_b64 s[0:1], vcc
	s_xor_b64 s[0:1], exec, s[0:1]
; %bb.111:
	v_xor_b32_e32 v22, 0xfffffdff, v0
	v_ashrrev_i32_e32 v23, 31, v22
	v_lshl_add_u64 v[22:23], v[6:7], 0, v[22:23]
; %bb.112:
	s_andn2_saveexec_b64 s[0:1], s[0:1]
; %bb.113:
	v_lshl_add_u64 v[22:23], v[2:3], 0, v[50:51]
; %bb.114:
	s_or_b64 exec, exec, s[0:1]
	v_lshl_add_u64 v[22:23], v[22:23], 2, s[2:3]
	v_cmp_ge_u32_e32 vcc, v46, v24
	global_store_dword v[22:23], v49, off
                                        ; implicit-def: $vgpr22_vgpr23
	s_and_saveexec_b64 s[0:1], vcc
	s_xor_b64 s[0:1], exec, s[0:1]
; %bb.115:
	v_xor_b32_e32 v22, 0xfffffbff, v0
	v_ashrrev_i32_e32 v23, 31, v22
	v_lshl_add_u64 v[22:23], v[6:7], 0, v[22:23]
; %bb.116:
	s_andn2_saveexec_b64 s[0:1], s[0:1]
; %bb.117:
	v_lshl_add_u64 v[22:23], v[2:3], 0, v[46:47]
; %bb.118:
	s_or_b64 exec, exec, s[0:1]
	v_lshl_add_u64 v[22:23], v[22:23], 2, s[2:3]
	v_cmp_ge_u32_e32 vcc, v44, v24
	s_waitcnt lgkmcnt(6)
	global_store_dword v[22:23], v42, off
                                        ; implicit-def: $vgpr22_vgpr23
	s_and_saveexec_b64 s[0:1], vcc
	s_xor_b64 s[0:1], exec, s[0:1]
; %bb.119:
	v_xor_b32_e32 v22, 0xfffff9ff, v0
	v_ashrrev_i32_e32 v23, 31, v22
	v_lshl_add_u64 v[22:23], v[6:7], 0, v[22:23]
; %bb.120:
	s_andn2_saveexec_b64 s[0:1], s[0:1]
; %bb.121:
	v_lshl_add_u64 v[22:23], v[2:3], 0, v[44:45]
; %bb.122:
	s_or_b64 exec, exec, s[0:1]
	v_lshl_add_u64 v[22:23], v[22:23], 2, s[2:3]
	v_cmp_ge_u32_e32 vcc, v40, v24
	global_store_dword v[22:23], v43, off
                                        ; implicit-def: $vgpr22_vgpr23
	s_and_saveexec_b64 s[0:1], vcc
	s_xor_b64 s[0:1], exec, s[0:1]
; %bb.123:
	v_xor_b32_e32 v22, 0xfffff7ff, v0
	;; [unrolled: 33-line block ×7, first 2 shown]
	v_ashrrev_i32_e32 v23, 31, v22
	v_lshl_add_u64 v[22:23], v[6:7], 0, v[22:23]
; %bb.164:
	s_andn2_saveexec_b64 s[0:1], s[0:1]
; %bb.165:
	v_lshl_add_u64 v[22:23], v[2:3], 0, v[4:5]
; %bb.166:
	s_or_b64 exec, exec, s[0:1]
	s_mov_b64 s[0:1], -1
	s_branch .LBB224_259
.LBB224_167:
	s_mov_b64 s[0:1], 0
                                        ; implicit-def: $vgpr22_vgpr23
	s_cbranch_execz .LBB224_259
; %bb.168:
	v_cmp_gt_u32_e32 vcc, s33, v0
	s_and_saveexec_b64 s[4:5], vcc
	s_cbranch_execz .LBB224_210
; %bb.169:
	v_cmp_ge_u32_e32 vcc, v0, v24
                                        ; implicit-def: $vgpr22_vgpr23
	s_and_saveexec_b64 s[6:7], vcc
	s_xor_b64 s[6:7], exec, s[6:7]
; %bb.170:
	v_not_b32_e32 v22, v0
	v_ashrrev_i32_e32 v23, 31, v22
	v_lshl_add_u64 v[22:23], v[6:7], 0, v[22:23]
; %bb.171:
	s_andn2_saveexec_b64 s[6:7], s[6:7]
; %bb.172:
	v_lshl_add_u64 v[22:23], v[2:3], 0, v[0:1]
; %bb.173:
	s_or_b64 exec, exec, s[6:7]
	v_lshl_add_u64 v[22:23], v[22:23], 2, s[2:3]
	s_waitcnt lgkmcnt(7)
	global_store_dword v[22:23], v48, off
	s_or_b64 exec, exec, s[4:5]
	v_cmp_gt_u32_e32 vcc, s33, v50
	s_and_saveexec_b64 s[4:5], vcc
	s_cbranch_execnz .LBB224_211
.LBB224_174:
	s_or_b64 exec, exec, s[4:5]
	v_cmp_gt_u32_e32 vcc, s33, v46
	s_and_saveexec_b64 s[4:5], vcc
	s_cbranch_execz .LBB224_216
.LBB224_175:
	v_cmp_ge_u32_e32 vcc, v46, v24
                                        ; implicit-def: $vgpr22_vgpr23
	s_and_saveexec_b64 s[6:7], vcc
	s_xor_b64 s[6:7], exec, s[6:7]
; %bb.176:
	v_xor_b32_e32 v22, 0xfffffbff, v0
	v_ashrrev_i32_e32 v23, 31, v22
	v_lshl_add_u64 v[22:23], v[6:7], 0, v[22:23]
                                        ; implicit-def: $vgpr46_vgpr47
; %bb.177:
	s_andn2_saveexec_b64 s[6:7], s[6:7]
; %bb.178:
	v_lshl_add_u64 v[22:23], v[2:3], 0, v[46:47]
; %bb.179:
	s_or_b64 exec, exec, s[6:7]
	v_lshl_add_u64 v[22:23], v[22:23], 2, s[2:3]
	s_waitcnt lgkmcnt(6)
	global_store_dword v[22:23], v42, off
	s_or_b64 exec, exec, s[4:5]
	v_cmp_gt_u32_e32 vcc, s33, v44
	s_and_saveexec_b64 s[4:5], vcc
	s_cbranch_execnz .LBB224_217
.LBB224_180:
	s_or_b64 exec, exec, s[4:5]
	v_cmp_gt_u32_e32 vcc, s33, v40
	s_and_saveexec_b64 s[4:5], vcc
	s_cbranch_execz .LBB224_222
.LBB224_181:
	v_cmp_ge_u32_e32 vcc, v40, v24
                                        ; implicit-def: $vgpr22_vgpr23
	s_and_saveexec_b64 s[6:7], vcc
	s_xor_b64 s[6:7], exec, s[6:7]
; %bb.182:
	v_xor_b32_e32 v22, 0xfffff7ff, v0
	v_ashrrev_i32_e32 v23, 31, v22
	v_lshl_add_u64 v[22:23], v[6:7], 0, v[22:23]
                                        ; implicit-def: $vgpr40_vgpr41
; %bb.183:
	s_andn2_saveexec_b64 s[6:7], s[6:7]
; %bb.184:
	v_lshl_add_u64 v[22:23], v[2:3], 0, v[40:41]
; %bb.185:
	s_or_b64 exec, exec, s[6:7]
	v_lshl_add_u64 v[22:23], v[22:23], 2, s[2:3]
	s_waitcnt lgkmcnt(5)
	global_store_dword v[22:23], v36, off
	s_or_b64 exec, exec, s[4:5]
	v_cmp_gt_u32_e32 vcc, s33, v38
	s_and_saveexec_b64 s[4:5], vcc
	s_cbranch_execnz .LBB224_223
.LBB224_186:
	s_or_b64 exec, exec, s[4:5]
	v_cmp_gt_u32_e32 vcc, s33, v34
	s_and_saveexec_b64 s[4:5], vcc
	s_cbranch_execz .LBB224_228
.LBB224_187:
	v_cmp_ge_u32_e32 vcc, v34, v24
                                        ; implicit-def: $vgpr22_vgpr23
	s_and_saveexec_b64 s[6:7], vcc
	s_xor_b64 s[6:7], exec, s[6:7]
; %bb.188:
	v_xor_b32_e32 v22, 0xfffff3ff, v0
	v_ashrrev_i32_e32 v23, 31, v22
	v_lshl_add_u64 v[22:23], v[6:7], 0, v[22:23]
                                        ; implicit-def: $vgpr34_vgpr35
; %bb.189:
	s_andn2_saveexec_b64 s[6:7], s[6:7]
; %bb.190:
	v_lshl_add_u64 v[22:23], v[2:3], 0, v[34:35]
; %bb.191:
	s_or_b64 exec, exec, s[6:7]
	v_lshl_add_u64 v[22:23], v[22:23], 2, s[2:3]
	s_waitcnt lgkmcnt(4)
	global_store_dword v[22:23], v30, off
	s_or_b64 exec, exec, s[4:5]
	v_cmp_gt_u32_e32 vcc, s33, v32
	s_and_saveexec_b64 s[4:5], vcc
	s_cbranch_execnz .LBB224_229
.LBB224_192:
	s_or_b64 exec, exec, s[4:5]
	v_cmp_gt_u32_e32 vcc, s33, v28
	s_and_saveexec_b64 s[4:5], vcc
	s_cbranch_execz .LBB224_234
.LBB224_193:
	v_cmp_ge_u32_e32 vcc, v28, v24
                                        ; implicit-def: $vgpr22_vgpr23
	s_and_saveexec_b64 s[6:7], vcc
	s_xor_b64 s[6:7], exec, s[6:7]
; %bb.194:
	v_xor_b32_e32 v22, 0xffffefff, v0
	v_ashrrev_i32_e32 v23, 31, v22
	v_lshl_add_u64 v[22:23], v[6:7], 0, v[22:23]
                                        ; implicit-def: $vgpr28_vgpr29
; %bb.195:
	s_andn2_saveexec_b64 s[6:7], s[6:7]
; %bb.196:
	v_lshl_add_u64 v[22:23], v[2:3], 0, v[28:29]
; %bb.197:
	s_or_b64 exec, exec, s[6:7]
	v_lshl_add_u64 v[22:23], v[22:23], 2, s[2:3]
	s_waitcnt lgkmcnt(3)
	global_store_dword v[22:23], v20, off
	s_or_b64 exec, exec, s[4:5]
	v_cmp_gt_u32_e32 vcc, s33, v26
	s_and_saveexec_b64 s[4:5], vcc
	s_cbranch_execnz .LBB224_235
.LBB224_198:
	s_or_b64 exec, exec, s[4:5]
	v_cmp_gt_u32_e32 vcc, s33, v18
	s_and_saveexec_b64 s[4:5], vcc
	s_cbranch_execz .LBB224_240
.LBB224_199:
	v_cmp_ge_u32_e32 vcc, v18, v24
                                        ; implicit-def: $vgpr20_vgpr21
	s_and_saveexec_b64 s[6:7], vcc
	s_xor_b64 s[6:7], exec, s[6:7]
	s_cbranch_execz .LBB224_201
; %bb.200:
	v_xor_b32_e32 v18, 0xffffebff, v0
	v_ashrrev_i32_e32 v19, 31, v18
	s_waitcnt lgkmcnt(3)
	v_lshl_add_u64 v[20:21], v[6:7], 0, v[18:19]
                                        ; implicit-def: $vgpr18_vgpr19
.LBB224_201:
	s_andn2_saveexec_b64 s[6:7], s[6:7]
	s_cbranch_execz .LBB224_203
; %bb.202:
	s_waitcnt lgkmcnt(3)
	v_lshl_add_u64 v[20:21], v[2:3], 0, v[18:19]
.LBB224_203:
	s_or_b64 exec, exec, s[6:7]
	s_waitcnt lgkmcnt(3)
	v_lshl_add_u64 v[18:19], v[20:21], 2, s[2:3]
	s_waitcnt lgkmcnt(2)
	global_store_dword v[18:19], v14, off
	s_or_b64 exec, exec, s[4:5]
	v_cmp_gt_u32_e32 vcc, s33, v16
	s_and_saveexec_b64 s[4:5], vcc
	s_cbranch_execnz .LBB224_241
.LBB224_204:
	s_or_b64 exec, exec, s[4:5]
	v_cmp_gt_u32_e32 vcc, s33, v12
	s_and_saveexec_b64 s[4:5], vcc
	s_cbranch_execz .LBB224_246
.LBB224_205:
	v_cmp_ge_u32_e32 vcc, v12, v24
                                        ; implicit-def: $vgpr14_vgpr15
	s_and_saveexec_b64 s[6:7], vcc
	s_xor_b64 s[6:7], exec, s[6:7]
	s_cbranch_execz .LBB224_207
; %bb.206:
	v_xor_b32_e32 v12, 0xffffe7ff, v0
	v_ashrrev_i32_e32 v13, 31, v12
	s_waitcnt lgkmcnt(2)
	v_lshl_add_u64 v[14:15], v[6:7], 0, v[12:13]
                                        ; implicit-def: $vgpr12_vgpr13
.LBB224_207:
	s_andn2_saveexec_b64 s[6:7], s[6:7]
	s_cbranch_execz .LBB224_209
; %bb.208:
	s_waitcnt lgkmcnt(2)
	v_lshl_add_u64 v[14:15], v[2:3], 0, v[12:13]
.LBB224_209:
	s_or_b64 exec, exec, s[6:7]
	s_waitcnt lgkmcnt(2)
	v_lshl_add_u64 v[12:13], v[14:15], 2, s[2:3]
	s_waitcnt lgkmcnt(1)
	global_store_dword v[12:13], v8, off
	s_or_b64 exec, exec, s[4:5]
	v_cmp_gt_u32_e32 vcc, s33, v10
	s_and_saveexec_b64 s[4:5], vcc
	s_cbranch_execz .LBB224_252
	s_branch .LBB224_247
.LBB224_210:
	s_or_b64 exec, exec, s[4:5]
	v_cmp_gt_u32_e32 vcc, s33, v50
	s_and_saveexec_b64 s[4:5], vcc
	s_cbranch_execz .LBB224_174
.LBB224_211:
	v_cmp_ge_u32_e32 vcc, v50, v24
                                        ; implicit-def: $vgpr22_vgpr23
	s_and_saveexec_b64 s[6:7], vcc
	s_xor_b64 s[6:7], exec, s[6:7]
; %bb.212:
	v_xor_b32_e32 v22, 0xfffffdff, v0
	v_ashrrev_i32_e32 v23, 31, v22
	v_lshl_add_u64 v[22:23], v[6:7], 0, v[22:23]
                                        ; implicit-def: $vgpr50_vgpr51
; %bb.213:
	s_andn2_saveexec_b64 s[6:7], s[6:7]
; %bb.214:
	v_lshl_add_u64 v[22:23], v[2:3], 0, v[50:51]
; %bb.215:
	s_or_b64 exec, exec, s[6:7]
	v_lshl_add_u64 v[22:23], v[22:23], 2, s[2:3]
	s_waitcnt lgkmcnt(7)
	global_store_dword v[22:23], v49, off
	s_or_b64 exec, exec, s[4:5]
	v_cmp_gt_u32_e32 vcc, s33, v46
	s_and_saveexec_b64 s[4:5], vcc
	s_cbranch_execnz .LBB224_175
.LBB224_216:
	s_or_b64 exec, exec, s[4:5]
	v_cmp_gt_u32_e32 vcc, s33, v44
	s_and_saveexec_b64 s[4:5], vcc
	s_cbranch_execz .LBB224_180
.LBB224_217:
	v_cmp_ge_u32_e32 vcc, v44, v24
                                        ; implicit-def: $vgpr22_vgpr23
	s_and_saveexec_b64 s[6:7], vcc
	s_xor_b64 s[6:7], exec, s[6:7]
; %bb.218:
	v_xor_b32_e32 v22, 0xfffff9ff, v0
	v_ashrrev_i32_e32 v23, 31, v22
	v_lshl_add_u64 v[22:23], v[6:7], 0, v[22:23]
                                        ; implicit-def: $vgpr44_vgpr45
; %bb.219:
	s_andn2_saveexec_b64 s[6:7], s[6:7]
; %bb.220:
	v_lshl_add_u64 v[22:23], v[2:3], 0, v[44:45]
; %bb.221:
	s_or_b64 exec, exec, s[6:7]
	v_lshl_add_u64 v[22:23], v[22:23], 2, s[2:3]
	s_waitcnt lgkmcnt(6)
	global_store_dword v[22:23], v43, off
	s_or_b64 exec, exec, s[4:5]
	v_cmp_gt_u32_e32 vcc, s33, v40
	s_and_saveexec_b64 s[4:5], vcc
	s_cbranch_execnz .LBB224_181
.LBB224_222:
	s_or_b64 exec, exec, s[4:5]
	v_cmp_gt_u32_e32 vcc, s33, v38
	s_and_saveexec_b64 s[4:5], vcc
	s_cbranch_execz .LBB224_186
.LBB224_223:
	v_cmp_ge_u32_e32 vcc, v38, v24
                                        ; implicit-def: $vgpr22_vgpr23
	s_and_saveexec_b64 s[6:7], vcc
	s_xor_b64 s[6:7], exec, s[6:7]
; %bb.224:
	v_xor_b32_e32 v22, 0xfffff5ff, v0
	v_ashrrev_i32_e32 v23, 31, v22
	v_lshl_add_u64 v[22:23], v[6:7], 0, v[22:23]
                                        ; implicit-def: $vgpr38_vgpr39
; %bb.225:
	s_andn2_saveexec_b64 s[6:7], s[6:7]
; %bb.226:
	v_lshl_add_u64 v[22:23], v[2:3], 0, v[38:39]
; %bb.227:
	s_or_b64 exec, exec, s[6:7]
	v_lshl_add_u64 v[22:23], v[22:23], 2, s[2:3]
	s_waitcnt lgkmcnt(5)
	global_store_dword v[22:23], v37, off
	s_or_b64 exec, exec, s[4:5]
	v_cmp_gt_u32_e32 vcc, s33, v34
	s_and_saveexec_b64 s[4:5], vcc
	s_cbranch_execnz .LBB224_187
.LBB224_228:
	s_or_b64 exec, exec, s[4:5]
	v_cmp_gt_u32_e32 vcc, s33, v32
	s_and_saveexec_b64 s[4:5], vcc
	s_cbranch_execz .LBB224_192
.LBB224_229:
	v_cmp_ge_u32_e32 vcc, v32, v24
                                        ; implicit-def: $vgpr22_vgpr23
	s_and_saveexec_b64 s[6:7], vcc
	s_xor_b64 s[6:7], exec, s[6:7]
; %bb.230:
	v_xor_b32_e32 v22, 0xfffff1ff, v0
	v_ashrrev_i32_e32 v23, 31, v22
	v_lshl_add_u64 v[22:23], v[6:7], 0, v[22:23]
                                        ; implicit-def: $vgpr32_vgpr33
; %bb.231:
	s_andn2_saveexec_b64 s[6:7], s[6:7]
; %bb.232:
	v_lshl_add_u64 v[22:23], v[2:3], 0, v[32:33]
; %bb.233:
	s_or_b64 exec, exec, s[6:7]
	v_lshl_add_u64 v[22:23], v[22:23], 2, s[2:3]
	s_waitcnt lgkmcnt(4)
	global_store_dword v[22:23], v31, off
	s_or_b64 exec, exec, s[4:5]
	v_cmp_gt_u32_e32 vcc, s33, v28
	s_and_saveexec_b64 s[4:5], vcc
	s_cbranch_execnz .LBB224_193
.LBB224_234:
	s_or_b64 exec, exec, s[4:5]
	v_cmp_gt_u32_e32 vcc, s33, v26
	s_and_saveexec_b64 s[4:5], vcc
	s_cbranch_execz .LBB224_198
.LBB224_235:
	v_cmp_ge_u32_e32 vcc, v26, v24
                                        ; implicit-def: $vgpr22_vgpr23
	s_and_saveexec_b64 s[6:7], vcc
	s_xor_b64 s[6:7], exec, s[6:7]
; %bb.236:
	v_xor_b32_e32 v22, 0xffffedff, v0
	v_ashrrev_i32_e32 v23, 31, v22
	v_lshl_add_u64 v[22:23], v[6:7], 0, v[22:23]
                                        ; implicit-def: $vgpr26_vgpr27
; %bb.237:
	s_andn2_saveexec_b64 s[6:7], s[6:7]
; %bb.238:
	v_lshl_add_u64 v[22:23], v[2:3], 0, v[26:27]
; %bb.239:
	s_or_b64 exec, exec, s[6:7]
	v_lshl_add_u64 v[22:23], v[22:23], 2, s[2:3]
	s_waitcnt lgkmcnt(3)
	global_store_dword v[22:23], v21, off
	s_or_b64 exec, exec, s[4:5]
	v_cmp_gt_u32_e32 vcc, s33, v18
	s_and_saveexec_b64 s[4:5], vcc
	s_cbranch_execnz .LBB224_199
.LBB224_240:
	s_or_b64 exec, exec, s[4:5]
	v_cmp_gt_u32_e32 vcc, s33, v16
	s_and_saveexec_b64 s[4:5], vcc
	s_cbranch_execz .LBB224_204
.LBB224_241:
	v_cmp_ge_u32_e32 vcc, v16, v24
                                        ; implicit-def: $vgpr18_vgpr19
	s_and_saveexec_b64 s[6:7], vcc
	s_xor_b64 s[6:7], exec, s[6:7]
; %bb.242:
	v_xor_b32_e32 v16, 0xffffe9ff, v0
	v_ashrrev_i32_e32 v17, 31, v16
	v_lshl_add_u64 v[18:19], v[6:7], 0, v[16:17]
                                        ; implicit-def: $vgpr16_vgpr17
; %bb.243:
	s_andn2_saveexec_b64 s[6:7], s[6:7]
; %bb.244:
	v_lshl_add_u64 v[18:19], v[2:3], 0, v[16:17]
; %bb.245:
	s_or_b64 exec, exec, s[6:7]
	v_lshl_add_u64 v[16:17], v[18:19], 2, s[2:3]
	s_waitcnt lgkmcnt(2)
	global_store_dword v[16:17], v15, off
	s_or_b64 exec, exec, s[4:5]
	v_cmp_gt_u32_e32 vcc, s33, v12
	s_and_saveexec_b64 s[4:5], vcc
	s_cbranch_execnz .LBB224_205
.LBB224_246:
	s_or_b64 exec, exec, s[4:5]
	v_cmp_gt_u32_e32 vcc, s33, v10
	s_and_saveexec_b64 s[4:5], vcc
	s_cbranch_execz .LBB224_252
.LBB224_247:
	v_cmp_ge_u32_e32 vcc, v10, v24
                                        ; implicit-def: $vgpr12_vgpr13
	s_and_saveexec_b64 s[6:7], vcc
	s_xor_b64 s[6:7], exec, s[6:7]
; %bb.248:
	v_xor_b32_e32 v10, 0xffffe5ff, v0
	v_ashrrev_i32_e32 v11, 31, v10
	v_lshl_add_u64 v[12:13], v[6:7], 0, v[10:11]
                                        ; implicit-def: $vgpr10_vgpr11
; %bb.249:
	s_andn2_saveexec_b64 s[6:7], s[6:7]
; %bb.250:
	v_lshl_add_u64 v[12:13], v[2:3], 0, v[10:11]
; %bb.251:
	s_or_b64 exec, exec, s[6:7]
	v_lshl_add_u64 v[10:11], v[12:13], 2, s[2:3]
	s_waitcnt lgkmcnt(1)
	global_store_dword v[10:11], v9, off
.LBB224_252:
	s_or_b64 exec, exec, s[4:5]
	v_cmp_gt_u32_e32 vcc, s33, v4
                                        ; implicit-def: $vgpr22_vgpr23
	s_and_saveexec_b64 s[4:5], vcc
	s_cbranch_execz .LBB224_258
; %bb.253:
	v_cmp_ge_u32_e32 vcc, v4, v24
                                        ; implicit-def: $vgpr22_vgpr23
	s_and_saveexec_b64 s[6:7], vcc
	s_xor_b64 s[6:7], exec, s[6:7]
; %bb.254:
	v_xor_b32_e32 v4, 0xffffe3ff, v0
	v_ashrrev_i32_e32 v5, 31, v4
	v_lshl_add_u64 v[22:23], v[6:7], 0, v[4:5]
                                        ; implicit-def: $vgpr4_vgpr5
; %bb.255:
	s_andn2_saveexec_b64 s[6:7], s[6:7]
; %bb.256:
	v_lshl_add_u64 v[22:23], v[2:3], 0, v[4:5]
; %bb.257:
	s_or_b64 exec, exec, s[6:7]
	s_or_b64 s[0:1], s[0:1], exec
.LBB224_258:
	s_or_b64 exec, exec, s[4:5]
.LBB224_259:
	s_and_saveexec_b64 s[4:5], s[0:1]
	s_cbranch_execz .LBB224_261
; %bb.260:
	v_lshl_add_u64 v[4:5], v[22:23], 2, s[2:3]
	s_waitcnt lgkmcnt(0)
	global_store_dword v[4:5], v54, off
.LBB224_261:
	s_or_b64 exec, exec, s[4:5]
	v_cmp_eq_u32_e32 vcc, 0, v0
	s_and_b64 s[0:1], vcc, s[22:23]
	s_and_saveexec_b64 s[2:3], s[0:1]
	s_cbranch_execz .LBB224_263
; %bb.262:
	v_mov_b32_e32 v4, 0
	v_lshl_add_u64 v[0:1], v[2:3], 0, v[24:25]
	global_store_dwordx2 v4, v[0:1], s[20:21]
.LBB224_263:
	s_endpgm
	.section	.rodata,"a",@progbits
	.p2align	6, 0x0
	.amdhsa_kernel _ZN7rocprim17ROCPRIM_400000_NS6detail17trampoline_kernelINS0_14default_configENS1_25partition_config_selectorILNS1_17partition_subalgoE2EiNS0_10empty_typeEbEEZZNS1_14partition_implILS5_2ELb0ES3_jN6thrust23THRUST_200600_302600_NS6detail15normal_iteratorINSA_7pointerIiNSA_11hip_rocprim3tagENSA_11use_defaultESG_EEEEPS6_NSA_18transform_iteratorI7is_evenIiENSC_INSA_10device_ptrIiEEEESG_SG_EENS0_5tupleIJPiSJ_EEENSR_IJSJ_SJ_EEES6_PlJS6_EEE10hipError_tPvRmT3_T4_T5_T6_T7_T9_mT8_P12ihipStream_tbDpT10_ENKUlT_T0_E_clISt17integral_constantIbLb0EES1F_EEDaS1A_S1B_EUlS1A_E_NS1_11comp_targetILNS1_3genE5ELNS1_11target_archE942ELNS1_3gpuE9ELNS1_3repE0EEENS1_30default_config_static_selectorELNS0_4arch9wavefront6targetE1EEEvT1_
		.amdhsa_group_segment_fixed_size 30728
		.amdhsa_private_segment_fixed_size 0
		.amdhsa_kernarg_size 128
		.amdhsa_user_sgpr_count 2
		.amdhsa_user_sgpr_dispatch_ptr 0
		.amdhsa_user_sgpr_queue_ptr 0
		.amdhsa_user_sgpr_kernarg_segment_ptr 1
		.amdhsa_user_sgpr_dispatch_id 0
		.amdhsa_user_sgpr_kernarg_preload_length 0
		.amdhsa_user_sgpr_kernarg_preload_offset 0
		.amdhsa_user_sgpr_private_segment_size 0
		.amdhsa_uses_dynamic_stack 0
		.amdhsa_enable_private_segment 0
		.amdhsa_system_sgpr_workgroup_id_x 1
		.amdhsa_system_sgpr_workgroup_id_y 0
		.amdhsa_system_sgpr_workgroup_id_z 0
		.amdhsa_system_sgpr_workgroup_info 0
		.amdhsa_system_vgpr_workitem_id 0
		.amdhsa_next_free_vgpr 65
		.amdhsa_next_free_sgpr 46
		.amdhsa_accum_offset 68
		.amdhsa_reserve_vcc 1
		.amdhsa_float_round_mode_32 0
		.amdhsa_float_round_mode_16_64 0
		.amdhsa_float_denorm_mode_32 3
		.amdhsa_float_denorm_mode_16_64 3
		.amdhsa_dx10_clamp 1
		.amdhsa_ieee_mode 1
		.amdhsa_fp16_overflow 0
		.amdhsa_tg_split 0
		.amdhsa_exception_fp_ieee_invalid_op 0
		.amdhsa_exception_fp_denorm_src 0
		.amdhsa_exception_fp_ieee_div_zero 0
		.amdhsa_exception_fp_ieee_overflow 0
		.amdhsa_exception_fp_ieee_underflow 0
		.amdhsa_exception_fp_ieee_inexact 0
		.amdhsa_exception_int_div_zero 0
	.end_amdhsa_kernel
	.section	.text._ZN7rocprim17ROCPRIM_400000_NS6detail17trampoline_kernelINS0_14default_configENS1_25partition_config_selectorILNS1_17partition_subalgoE2EiNS0_10empty_typeEbEEZZNS1_14partition_implILS5_2ELb0ES3_jN6thrust23THRUST_200600_302600_NS6detail15normal_iteratorINSA_7pointerIiNSA_11hip_rocprim3tagENSA_11use_defaultESG_EEEEPS6_NSA_18transform_iteratorI7is_evenIiENSC_INSA_10device_ptrIiEEEESG_SG_EENS0_5tupleIJPiSJ_EEENSR_IJSJ_SJ_EEES6_PlJS6_EEE10hipError_tPvRmT3_T4_T5_T6_T7_T9_mT8_P12ihipStream_tbDpT10_ENKUlT_T0_E_clISt17integral_constantIbLb0EES1F_EEDaS1A_S1B_EUlS1A_E_NS1_11comp_targetILNS1_3genE5ELNS1_11target_archE942ELNS1_3gpuE9ELNS1_3repE0EEENS1_30default_config_static_selectorELNS0_4arch9wavefront6targetE1EEEvT1_,"axG",@progbits,_ZN7rocprim17ROCPRIM_400000_NS6detail17trampoline_kernelINS0_14default_configENS1_25partition_config_selectorILNS1_17partition_subalgoE2EiNS0_10empty_typeEbEEZZNS1_14partition_implILS5_2ELb0ES3_jN6thrust23THRUST_200600_302600_NS6detail15normal_iteratorINSA_7pointerIiNSA_11hip_rocprim3tagENSA_11use_defaultESG_EEEEPS6_NSA_18transform_iteratorI7is_evenIiENSC_INSA_10device_ptrIiEEEESG_SG_EENS0_5tupleIJPiSJ_EEENSR_IJSJ_SJ_EEES6_PlJS6_EEE10hipError_tPvRmT3_T4_T5_T6_T7_T9_mT8_P12ihipStream_tbDpT10_ENKUlT_T0_E_clISt17integral_constantIbLb0EES1F_EEDaS1A_S1B_EUlS1A_E_NS1_11comp_targetILNS1_3genE5ELNS1_11target_archE942ELNS1_3gpuE9ELNS1_3repE0EEENS1_30default_config_static_selectorELNS0_4arch9wavefront6targetE1EEEvT1_,comdat
.Lfunc_end224:
	.size	_ZN7rocprim17ROCPRIM_400000_NS6detail17trampoline_kernelINS0_14default_configENS1_25partition_config_selectorILNS1_17partition_subalgoE2EiNS0_10empty_typeEbEEZZNS1_14partition_implILS5_2ELb0ES3_jN6thrust23THRUST_200600_302600_NS6detail15normal_iteratorINSA_7pointerIiNSA_11hip_rocprim3tagENSA_11use_defaultESG_EEEEPS6_NSA_18transform_iteratorI7is_evenIiENSC_INSA_10device_ptrIiEEEESG_SG_EENS0_5tupleIJPiSJ_EEENSR_IJSJ_SJ_EEES6_PlJS6_EEE10hipError_tPvRmT3_T4_T5_T6_T7_T9_mT8_P12ihipStream_tbDpT10_ENKUlT_T0_E_clISt17integral_constantIbLb0EES1F_EEDaS1A_S1B_EUlS1A_E_NS1_11comp_targetILNS1_3genE5ELNS1_11target_archE942ELNS1_3gpuE9ELNS1_3repE0EEENS1_30default_config_static_selectorELNS0_4arch9wavefront6targetE1EEEvT1_, .Lfunc_end224-_ZN7rocprim17ROCPRIM_400000_NS6detail17trampoline_kernelINS0_14default_configENS1_25partition_config_selectorILNS1_17partition_subalgoE2EiNS0_10empty_typeEbEEZZNS1_14partition_implILS5_2ELb0ES3_jN6thrust23THRUST_200600_302600_NS6detail15normal_iteratorINSA_7pointerIiNSA_11hip_rocprim3tagENSA_11use_defaultESG_EEEEPS6_NSA_18transform_iteratorI7is_evenIiENSC_INSA_10device_ptrIiEEEESG_SG_EENS0_5tupleIJPiSJ_EEENSR_IJSJ_SJ_EEES6_PlJS6_EEE10hipError_tPvRmT3_T4_T5_T6_T7_T9_mT8_P12ihipStream_tbDpT10_ENKUlT_T0_E_clISt17integral_constantIbLb0EES1F_EEDaS1A_S1B_EUlS1A_E_NS1_11comp_targetILNS1_3genE5ELNS1_11target_archE942ELNS1_3gpuE9ELNS1_3repE0EEENS1_30default_config_static_selectorELNS0_4arch9wavefront6targetE1EEEvT1_
                                        ; -- End function
	.section	.AMDGPU.csdata,"",@progbits
; Kernel info:
; codeLenInByte = 8540
; NumSgprs: 52
; NumVgprs: 65
; NumAgprs: 0
; TotalNumVgprs: 65
; ScratchSize: 0
; MemoryBound: 0
; FloatMode: 240
; IeeeMode: 1
; LDSByteSize: 30728 bytes/workgroup (compile time only)
; SGPRBlocks: 6
; VGPRBlocks: 8
; NumSGPRsForWavesPerEU: 52
; NumVGPRsForWavesPerEU: 65
; AccumOffset: 68
; Occupancy: 4
; WaveLimiterHint : 1
; COMPUTE_PGM_RSRC2:SCRATCH_EN: 0
; COMPUTE_PGM_RSRC2:USER_SGPR: 2
; COMPUTE_PGM_RSRC2:TRAP_HANDLER: 0
; COMPUTE_PGM_RSRC2:TGID_X_EN: 1
; COMPUTE_PGM_RSRC2:TGID_Y_EN: 0
; COMPUTE_PGM_RSRC2:TGID_Z_EN: 0
; COMPUTE_PGM_RSRC2:TIDIG_COMP_CNT: 0
; COMPUTE_PGM_RSRC3_GFX90A:ACCUM_OFFSET: 16
; COMPUTE_PGM_RSRC3_GFX90A:TG_SPLIT: 0
	.section	.text._ZN7rocprim17ROCPRIM_400000_NS6detail17trampoline_kernelINS0_14default_configENS1_25partition_config_selectorILNS1_17partition_subalgoE2EiNS0_10empty_typeEbEEZZNS1_14partition_implILS5_2ELb0ES3_jN6thrust23THRUST_200600_302600_NS6detail15normal_iteratorINSA_7pointerIiNSA_11hip_rocprim3tagENSA_11use_defaultESG_EEEEPS6_NSA_18transform_iteratorI7is_evenIiENSC_INSA_10device_ptrIiEEEESG_SG_EENS0_5tupleIJPiSJ_EEENSR_IJSJ_SJ_EEES6_PlJS6_EEE10hipError_tPvRmT3_T4_T5_T6_T7_T9_mT8_P12ihipStream_tbDpT10_ENKUlT_T0_E_clISt17integral_constantIbLb0EES1F_EEDaS1A_S1B_EUlS1A_E_NS1_11comp_targetILNS1_3genE4ELNS1_11target_archE910ELNS1_3gpuE8ELNS1_3repE0EEENS1_30default_config_static_selectorELNS0_4arch9wavefront6targetE1EEEvT1_,"axG",@progbits,_ZN7rocprim17ROCPRIM_400000_NS6detail17trampoline_kernelINS0_14default_configENS1_25partition_config_selectorILNS1_17partition_subalgoE2EiNS0_10empty_typeEbEEZZNS1_14partition_implILS5_2ELb0ES3_jN6thrust23THRUST_200600_302600_NS6detail15normal_iteratorINSA_7pointerIiNSA_11hip_rocprim3tagENSA_11use_defaultESG_EEEEPS6_NSA_18transform_iteratorI7is_evenIiENSC_INSA_10device_ptrIiEEEESG_SG_EENS0_5tupleIJPiSJ_EEENSR_IJSJ_SJ_EEES6_PlJS6_EEE10hipError_tPvRmT3_T4_T5_T6_T7_T9_mT8_P12ihipStream_tbDpT10_ENKUlT_T0_E_clISt17integral_constantIbLb0EES1F_EEDaS1A_S1B_EUlS1A_E_NS1_11comp_targetILNS1_3genE4ELNS1_11target_archE910ELNS1_3gpuE8ELNS1_3repE0EEENS1_30default_config_static_selectorELNS0_4arch9wavefront6targetE1EEEvT1_,comdat
	.protected	_ZN7rocprim17ROCPRIM_400000_NS6detail17trampoline_kernelINS0_14default_configENS1_25partition_config_selectorILNS1_17partition_subalgoE2EiNS0_10empty_typeEbEEZZNS1_14partition_implILS5_2ELb0ES3_jN6thrust23THRUST_200600_302600_NS6detail15normal_iteratorINSA_7pointerIiNSA_11hip_rocprim3tagENSA_11use_defaultESG_EEEEPS6_NSA_18transform_iteratorI7is_evenIiENSC_INSA_10device_ptrIiEEEESG_SG_EENS0_5tupleIJPiSJ_EEENSR_IJSJ_SJ_EEES6_PlJS6_EEE10hipError_tPvRmT3_T4_T5_T6_T7_T9_mT8_P12ihipStream_tbDpT10_ENKUlT_T0_E_clISt17integral_constantIbLb0EES1F_EEDaS1A_S1B_EUlS1A_E_NS1_11comp_targetILNS1_3genE4ELNS1_11target_archE910ELNS1_3gpuE8ELNS1_3repE0EEENS1_30default_config_static_selectorELNS0_4arch9wavefront6targetE1EEEvT1_ ; -- Begin function _ZN7rocprim17ROCPRIM_400000_NS6detail17trampoline_kernelINS0_14default_configENS1_25partition_config_selectorILNS1_17partition_subalgoE2EiNS0_10empty_typeEbEEZZNS1_14partition_implILS5_2ELb0ES3_jN6thrust23THRUST_200600_302600_NS6detail15normal_iteratorINSA_7pointerIiNSA_11hip_rocprim3tagENSA_11use_defaultESG_EEEEPS6_NSA_18transform_iteratorI7is_evenIiENSC_INSA_10device_ptrIiEEEESG_SG_EENS0_5tupleIJPiSJ_EEENSR_IJSJ_SJ_EEES6_PlJS6_EEE10hipError_tPvRmT3_T4_T5_T6_T7_T9_mT8_P12ihipStream_tbDpT10_ENKUlT_T0_E_clISt17integral_constantIbLb0EES1F_EEDaS1A_S1B_EUlS1A_E_NS1_11comp_targetILNS1_3genE4ELNS1_11target_archE910ELNS1_3gpuE8ELNS1_3repE0EEENS1_30default_config_static_selectorELNS0_4arch9wavefront6targetE1EEEvT1_
	.globl	_ZN7rocprim17ROCPRIM_400000_NS6detail17trampoline_kernelINS0_14default_configENS1_25partition_config_selectorILNS1_17partition_subalgoE2EiNS0_10empty_typeEbEEZZNS1_14partition_implILS5_2ELb0ES3_jN6thrust23THRUST_200600_302600_NS6detail15normal_iteratorINSA_7pointerIiNSA_11hip_rocprim3tagENSA_11use_defaultESG_EEEEPS6_NSA_18transform_iteratorI7is_evenIiENSC_INSA_10device_ptrIiEEEESG_SG_EENS0_5tupleIJPiSJ_EEENSR_IJSJ_SJ_EEES6_PlJS6_EEE10hipError_tPvRmT3_T4_T5_T6_T7_T9_mT8_P12ihipStream_tbDpT10_ENKUlT_T0_E_clISt17integral_constantIbLb0EES1F_EEDaS1A_S1B_EUlS1A_E_NS1_11comp_targetILNS1_3genE4ELNS1_11target_archE910ELNS1_3gpuE8ELNS1_3repE0EEENS1_30default_config_static_selectorELNS0_4arch9wavefront6targetE1EEEvT1_
	.p2align	8
	.type	_ZN7rocprim17ROCPRIM_400000_NS6detail17trampoline_kernelINS0_14default_configENS1_25partition_config_selectorILNS1_17partition_subalgoE2EiNS0_10empty_typeEbEEZZNS1_14partition_implILS5_2ELb0ES3_jN6thrust23THRUST_200600_302600_NS6detail15normal_iteratorINSA_7pointerIiNSA_11hip_rocprim3tagENSA_11use_defaultESG_EEEEPS6_NSA_18transform_iteratorI7is_evenIiENSC_INSA_10device_ptrIiEEEESG_SG_EENS0_5tupleIJPiSJ_EEENSR_IJSJ_SJ_EEES6_PlJS6_EEE10hipError_tPvRmT3_T4_T5_T6_T7_T9_mT8_P12ihipStream_tbDpT10_ENKUlT_T0_E_clISt17integral_constantIbLb0EES1F_EEDaS1A_S1B_EUlS1A_E_NS1_11comp_targetILNS1_3genE4ELNS1_11target_archE910ELNS1_3gpuE8ELNS1_3repE0EEENS1_30default_config_static_selectorELNS0_4arch9wavefront6targetE1EEEvT1_,@function
_ZN7rocprim17ROCPRIM_400000_NS6detail17trampoline_kernelINS0_14default_configENS1_25partition_config_selectorILNS1_17partition_subalgoE2EiNS0_10empty_typeEbEEZZNS1_14partition_implILS5_2ELb0ES3_jN6thrust23THRUST_200600_302600_NS6detail15normal_iteratorINSA_7pointerIiNSA_11hip_rocprim3tagENSA_11use_defaultESG_EEEEPS6_NSA_18transform_iteratorI7is_evenIiENSC_INSA_10device_ptrIiEEEESG_SG_EENS0_5tupleIJPiSJ_EEENSR_IJSJ_SJ_EEES6_PlJS6_EEE10hipError_tPvRmT3_T4_T5_T6_T7_T9_mT8_P12ihipStream_tbDpT10_ENKUlT_T0_E_clISt17integral_constantIbLb0EES1F_EEDaS1A_S1B_EUlS1A_E_NS1_11comp_targetILNS1_3genE4ELNS1_11target_archE910ELNS1_3gpuE8ELNS1_3repE0EEENS1_30default_config_static_selectorELNS0_4arch9wavefront6targetE1EEEvT1_: ; @_ZN7rocprim17ROCPRIM_400000_NS6detail17trampoline_kernelINS0_14default_configENS1_25partition_config_selectorILNS1_17partition_subalgoE2EiNS0_10empty_typeEbEEZZNS1_14partition_implILS5_2ELb0ES3_jN6thrust23THRUST_200600_302600_NS6detail15normal_iteratorINSA_7pointerIiNSA_11hip_rocprim3tagENSA_11use_defaultESG_EEEEPS6_NSA_18transform_iteratorI7is_evenIiENSC_INSA_10device_ptrIiEEEESG_SG_EENS0_5tupleIJPiSJ_EEENSR_IJSJ_SJ_EEES6_PlJS6_EEE10hipError_tPvRmT3_T4_T5_T6_T7_T9_mT8_P12ihipStream_tbDpT10_ENKUlT_T0_E_clISt17integral_constantIbLb0EES1F_EEDaS1A_S1B_EUlS1A_E_NS1_11comp_targetILNS1_3genE4ELNS1_11target_archE910ELNS1_3gpuE8ELNS1_3repE0EEENS1_30default_config_static_selectorELNS0_4arch9wavefront6targetE1EEEvT1_
; %bb.0:
	.section	.rodata,"a",@progbits
	.p2align	6, 0x0
	.amdhsa_kernel _ZN7rocprim17ROCPRIM_400000_NS6detail17trampoline_kernelINS0_14default_configENS1_25partition_config_selectorILNS1_17partition_subalgoE2EiNS0_10empty_typeEbEEZZNS1_14partition_implILS5_2ELb0ES3_jN6thrust23THRUST_200600_302600_NS6detail15normal_iteratorINSA_7pointerIiNSA_11hip_rocprim3tagENSA_11use_defaultESG_EEEEPS6_NSA_18transform_iteratorI7is_evenIiENSC_INSA_10device_ptrIiEEEESG_SG_EENS0_5tupleIJPiSJ_EEENSR_IJSJ_SJ_EEES6_PlJS6_EEE10hipError_tPvRmT3_T4_T5_T6_T7_T9_mT8_P12ihipStream_tbDpT10_ENKUlT_T0_E_clISt17integral_constantIbLb0EES1F_EEDaS1A_S1B_EUlS1A_E_NS1_11comp_targetILNS1_3genE4ELNS1_11target_archE910ELNS1_3gpuE8ELNS1_3repE0EEENS1_30default_config_static_selectorELNS0_4arch9wavefront6targetE1EEEvT1_
		.amdhsa_group_segment_fixed_size 0
		.amdhsa_private_segment_fixed_size 0
		.amdhsa_kernarg_size 128
		.amdhsa_user_sgpr_count 2
		.amdhsa_user_sgpr_dispatch_ptr 0
		.amdhsa_user_sgpr_queue_ptr 0
		.amdhsa_user_sgpr_kernarg_segment_ptr 1
		.amdhsa_user_sgpr_dispatch_id 0
		.amdhsa_user_sgpr_kernarg_preload_length 0
		.amdhsa_user_sgpr_kernarg_preload_offset 0
		.amdhsa_user_sgpr_private_segment_size 0
		.amdhsa_uses_dynamic_stack 0
		.amdhsa_enable_private_segment 0
		.amdhsa_system_sgpr_workgroup_id_x 1
		.amdhsa_system_sgpr_workgroup_id_y 0
		.amdhsa_system_sgpr_workgroup_id_z 0
		.amdhsa_system_sgpr_workgroup_info 0
		.amdhsa_system_vgpr_workitem_id 0
		.amdhsa_next_free_vgpr 1
		.amdhsa_next_free_sgpr 0
		.amdhsa_accum_offset 4
		.amdhsa_reserve_vcc 0
		.amdhsa_float_round_mode_32 0
		.amdhsa_float_round_mode_16_64 0
		.amdhsa_float_denorm_mode_32 3
		.amdhsa_float_denorm_mode_16_64 3
		.amdhsa_dx10_clamp 1
		.amdhsa_ieee_mode 1
		.amdhsa_fp16_overflow 0
		.amdhsa_tg_split 0
		.amdhsa_exception_fp_ieee_invalid_op 0
		.amdhsa_exception_fp_denorm_src 0
		.amdhsa_exception_fp_ieee_div_zero 0
		.amdhsa_exception_fp_ieee_overflow 0
		.amdhsa_exception_fp_ieee_underflow 0
		.amdhsa_exception_fp_ieee_inexact 0
		.amdhsa_exception_int_div_zero 0
	.end_amdhsa_kernel
	.section	.text._ZN7rocprim17ROCPRIM_400000_NS6detail17trampoline_kernelINS0_14default_configENS1_25partition_config_selectorILNS1_17partition_subalgoE2EiNS0_10empty_typeEbEEZZNS1_14partition_implILS5_2ELb0ES3_jN6thrust23THRUST_200600_302600_NS6detail15normal_iteratorINSA_7pointerIiNSA_11hip_rocprim3tagENSA_11use_defaultESG_EEEEPS6_NSA_18transform_iteratorI7is_evenIiENSC_INSA_10device_ptrIiEEEESG_SG_EENS0_5tupleIJPiSJ_EEENSR_IJSJ_SJ_EEES6_PlJS6_EEE10hipError_tPvRmT3_T4_T5_T6_T7_T9_mT8_P12ihipStream_tbDpT10_ENKUlT_T0_E_clISt17integral_constantIbLb0EES1F_EEDaS1A_S1B_EUlS1A_E_NS1_11comp_targetILNS1_3genE4ELNS1_11target_archE910ELNS1_3gpuE8ELNS1_3repE0EEENS1_30default_config_static_selectorELNS0_4arch9wavefront6targetE1EEEvT1_,"axG",@progbits,_ZN7rocprim17ROCPRIM_400000_NS6detail17trampoline_kernelINS0_14default_configENS1_25partition_config_selectorILNS1_17partition_subalgoE2EiNS0_10empty_typeEbEEZZNS1_14partition_implILS5_2ELb0ES3_jN6thrust23THRUST_200600_302600_NS6detail15normal_iteratorINSA_7pointerIiNSA_11hip_rocprim3tagENSA_11use_defaultESG_EEEEPS6_NSA_18transform_iteratorI7is_evenIiENSC_INSA_10device_ptrIiEEEESG_SG_EENS0_5tupleIJPiSJ_EEENSR_IJSJ_SJ_EEES6_PlJS6_EEE10hipError_tPvRmT3_T4_T5_T6_T7_T9_mT8_P12ihipStream_tbDpT10_ENKUlT_T0_E_clISt17integral_constantIbLb0EES1F_EEDaS1A_S1B_EUlS1A_E_NS1_11comp_targetILNS1_3genE4ELNS1_11target_archE910ELNS1_3gpuE8ELNS1_3repE0EEENS1_30default_config_static_selectorELNS0_4arch9wavefront6targetE1EEEvT1_,comdat
.Lfunc_end225:
	.size	_ZN7rocprim17ROCPRIM_400000_NS6detail17trampoline_kernelINS0_14default_configENS1_25partition_config_selectorILNS1_17partition_subalgoE2EiNS0_10empty_typeEbEEZZNS1_14partition_implILS5_2ELb0ES3_jN6thrust23THRUST_200600_302600_NS6detail15normal_iteratorINSA_7pointerIiNSA_11hip_rocprim3tagENSA_11use_defaultESG_EEEEPS6_NSA_18transform_iteratorI7is_evenIiENSC_INSA_10device_ptrIiEEEESG_SG_EENS0_5tupleIJPiSJ_EEENSR_IJSJ_SJ_EEES6_PlJS6_EEE10hipError_tPvRmT3_T4_T5_T6_T7_T9_mT8_P12ihipStream_tbDpT10_ENKUlT_T0_E_clISt17integral_constantIbLb0EES1F_EEDaS1A_S1B_EUlS1A_E_NS1_11comp_targetILNS1_3genE4ELNS1_11target_archE910ELNS1_3gpuE8ELNS1_3repE0EEENS1_30default_config_static_selectorELNS0_4arch9wavefront6targetE1EEEvT1_, .Lfunc_end225-_ZN7rocprim17ROCPRIM_400000_NS6detail17trampoline_kernelINS0_14default_configENS1_25partition_config_selectorILNS1_17partition_subalgoE2EiNS0_10empty_typeEbEEZZNS1_14partition_implILS5_2ELb0ES3_jN6thrust23THRUST_200600_302600_NS6detail15normal_iteratorINSA_7pointerIiNSA_11hip_rocprim3tagENSA_11use_defaultESG_EEEEPS6_NSA_18transform_iteratorI7is_evenIiENSC_INSA_10device_ptrIiEEEESG_SG_EENS0_5tupleIJPiSJ_EEENSR_IJSJ_SJ_EEES6_PlJS6_EEE10hipError_tPvRmT3_T4_T5_T6_T7_T9_mT8_P12ihipStream_tbDpT10_ENKUlT_T0_E_clISt17integral_constantIbLb0EES1F_EEDaS1A_S1B_EUlS1A_E_NS1_11comp_targetILNS1_3genE4ELNS1_11target_archE910ELNS1_3gpuE8ELNS1_3repE0EEENS1_30default_config_static_selectorELNS0_4arch9wavefront6targetE1EEEvT1_
                                        ; -- End function
	.section	.AMDGPU.csdata,"",@progbits
; Kernel info:
; codeLenInByte = 0
; NumSgprs: 6
; NumVgprs: 0
; NumAgprs: 0
; TotalNumVgprs: 0
; ScratchSize: 0
; MemoryBound: 0
; FloatMode: 240
; IeeeMode: 1
; LDSByteSize: 0 bytes/workgroup (compile time only)
; SGPRBlocks: 0
; VGPRBlocks: 0
; NumSGPRsForWavesPerEU: 6
; NumVGPRsForWavesPerEU: 1
; AccumOffset: 4
; Occupancy: 8
; WaveLimiterHint : 0
; COMPUTE_PGM_RSRC2:SCRATCH_EN: 0
; COMPUTE_PGM_RSRC2:USER_SGPR: 2
; COMPUTE_PGM_RSRC2:TRAP_HANDLER: 0
; COMPUTE_PGM_RSRC2:TGID_X_EN: 1
; COMPUTE_PGM_RSRC2:TGID_Y_EN: 0
; COMPUTE_PGM_RSRC2:TGID_Z_EN: 0
; COMPUTE_PGM_RSRC2:TIDIG_COMP_CNT: 0
; COMPUTE_PGM_RSRC3_GFX90A:ACCUM_OFFSET: 0
; COMPUTE_PGM_RSRC3_GFX90A:TG_SPLIT: 0
	.section	.text._ZN7rocprim17ROCPRIM_400000_NS6detail17trampoline_kernelINS0_14default_configENS1_25partition_config_selectorILNS1_17partition_subalgoE2EiNS0_10empty_typeEbEEZZNS1_14partition_implILS5_2ELb0ES3_jN6thrust23THRUST_200600_302600_NS6detail15normal_iteratorINSA_7pointerIiNSA_11hip_rocprim3tagENSA_11use_defaultESG_EEEEPS6_NSA_18transform_iteratorI7is_evenIiENSC_INSA_10device_ptrIiEEEESG_SG_EENS0_5tupleIJPiSJ_EEENSR_IJSJ_SJ_EEES6_PlJS6_EEE10hipError_tPvRmT3_T4_T5_T6_T7_T9_mT8_P12ihipStream_tbDpT10_ENKUlT_T0_E_clISt17integral_constantIbLb0EES1F_EEDaS1A_S1B_EUlS1A_E_NS1_11comp_targetILNS1_3genE3ELNS1_11target_archE908ELNS1_3gpuE7ELNS1_3repE0EEENS1_30default_config_static_selectorELNS0_4arch9wavefront6targetE1EEEvT1_,"axG",@progbits,_ZN7rocprim17ROCPRIM_400000_NS6detail17trampoline_kernelINS0_14default_configENS1_25partition_config_selectorILNS1_17partition_subalgoE2EiNS0_10empty_typeEbEEZZNS1_14partition_implILS5_2ELb0ES3_jN6thrust23THRUST_200600_302600_NS6detail15normal_iteratorINSA_7pointerIiNSA_11hip_rocprim3tagENSA_11use_defaultESG_EEEEPS6_NSA_18transform_iteratorI7is_evenIiENSC_INSA_10device_ptrIiEEEESG_SG_EENS0_5tupleIJPiSJ_EEENSR_IJSJ_SJ_EEES6_PlJS6_EEE10hipError_tPvRmT3_T4_T5_T6_T7_T9_mT8_P12ihipStream_tbDpT10_ENKUlT_T0_E_clISt17integral_constantIbLb0EES1F_EEDaS1A_S1B_EUlS1A_E_NS1_11comp_targetILNS1_3genE3ELNS1_11target_archE908ELNS1_3gpuE7ELNS1_3repE0EEENS1_30default_config_static_selectorELNS0_4arch9wavefront6targetE1EEEvT1_,comdat
	.protected	_ZN7rocprim17ROCPRIM_400000_NS6detail17trampoline_kernelINS0_14default_configENS1_25partition_config_selectorILNS1_17partition_subalgoE2EiNS0_10empty_typeEbEEZZNS1_14partition_implILS5_2ELb0ES3_jN6thrust23THRUST_200600_302600_NS6detail15normal_iteratorINSA_7pointerIiNSA_11hip_rocprim3tagENSA_11use_defaultESG_EEEEPS6_NSA_18transform_iteratorI7is_evenIiENSC_INSA_10device_ptrIiEEEESG_SG_EENS0_5tupleIJPiSJ_EEENSR_IJSJ_SJ_EEES6_PlJS6_EEE10hipError_tPvRmT3_T4_T5_T6_T7_T9_mT8_P12ihipStream_tbDpT10_ENKUlT_T0_E_clISt17integral_constantIbLb0EES1F_EEDaS1A_S1B_EUlS1A_E_NS1_11comp_targetILNS1_3genE3ELNS1_11target_archE908ELNS1_3gpuE7ELNS1_3repE0EEENS1_30default_config_static_selectorELNS0_4arch9wavefront6targetE1EEEvT1_ ; -- Begin function _ZN7rocprim17ROCPRIM_400000_NS6detail17trampoline_kernelINS0_14default_configENS1_25partition_config_selectorILNS1_17partition_subalgoE2EiNS0_10empty_typeEbEEZZNS1_14partition_implILS5_2ELb0ES3_jN6thrust23THRUST_200600_302600_NS6detail15normal_iteratorINSA_7pointerIiNSA_11hip_rocprim3tagENSA_11use_defaultESG_EEEEPS6_NSA_18transform_iteratorI7is_evenIiENSC_INSA_10device_ptrIiEEEESG_SG_EENS0_5tupleIJPiSJ_EEENSR_IJSJ_SJ_EEES6_PlJS6_EEE10hipError_tPvRmT3_T4_T5_T6_T7_T9_mT8_P12ihipStream_tbDpT10_ENKUlT_T0_E_clISt17integral_constantIbLb0EES1F_EEDaS1A_S1B_EUlS1A_E_NS1_11comp_targetILNS1_3genE3ELNS1_11target_archE908ELNS1_3gpuE7ELNS1_3repE0EEENS1_30default_config_static_selectorELNS0_4arch9wavefront6targetE1EEEvT1_
	.globl	_ZN7rocprim17ROCPRIM_400000_NS6detail17trampoline_kernelINS0_14default_configENS1_25partition_config_selectorILNS1_17partition_subalgoE2EiNS0_10empty_typeEbEEZZNS1_14partition_implILS5_2ELb0ES3_jN6thrust23THRUST_200600_302600_NS6detail15normal_iteratorINSA_7pointerIiNSA_11hip_rocprim3tagENSA_11use_defaultESG_EEEEPS6_NSA_18transform_iteratorI7is_evenIiENSC_INSA_10device_ptrIiEEEESG_SG_EENS0_5tupleIJPiSJ_EEENSR_IJSJ_SJ_EEES6_PlJS6_EEE10hipError_tPvRmT3_T4_T5_T6_T7_T9_mT8_P12ihipStream_tbDpT10_ENKUlT_T0_E_clISt17integral_constantIbLb0EES1F_EEDaS1A_S1B_EUlS1A_E_NS1_11comp_targetILNS1_3genE3ELNS1_11target_archE908ELNS1_3gpuE7ELNS1_3repE0EEENS1_30default_config_static_selectorELNS0_4arch9wavefront6targetE1EEEvT1_
	.p2align	8
	.type	_ZN7rocprim17ROCPRIM_400000_NS6detail17trampoline_kernelINS0_14default_configENS1_25partition_config_selectorILNS1_17partition_subalgoE2EiNS0_10empty_typeEbEEZZNS1_14partition_implILS5_2ELb0ES3_jN6thrust23THRUST_200600_302600_NS6detail15normal_iteratorINSA_7pointerIiNSA_11hip_rocprim3tagENSA_11use_defaultESG_EEEEPS6_NSA_18transform_iteratorI7is_evenIiENSC_INSA_10device_ptrIiEEEESG_SG_EENS0_5tupleIJPiSJ_EEENSR_IJSJ_SJ_EEES6_PlJS6_EEE10hipError_tPvRmT3_T4_T5_T6_T7_T9_mT8_P12ihipStream_tbDpT10_ENKUlT_T0_E_clISt17integral_constantIbLb0EES1F_EEDaS1A_S1B_EUlS1A_E_NS1_11comp_targetILNS1_3genE3ELNS1_11target_archE908ELNS1_3gpuE7ELNS1_3repE0EEENS1_30default_config_static_selectorELNS0_4arch9wavefront6targetE1EEEvT1_,@function
_ZN7rocprim17ROCPRIM_400000_NS6detail17trampoline_kernelINS0_14default_configENS1_25partition_config_selectorILNS1_17partition_subalgoE2EiNS0_10empty_typeEbEEZZNS1_14partition_implILS5_2ELb0ES3_jN6thrust23THRUST_200600_302600_NS6detail15normal_iteratorINSA_7pointerIiNSA_11hip_rocprim3tagENSA_11use_defaultESG_EEEEPS6_NSA_18transform_iteratorI7is_evenIiENSC_INSA_10device_ptrIiEEEESG_SG_EENS0_5tupleIJPiSJ_EEENSR_IJSJ_SJ_EEES6_PlJS6_EEE10hipError_tPvRmT3_T4_T5_T6_T7_T9_mT8_P12ihipStream_tbDpT10_ENKUlT_T0_E_clISt17integral_constantIbLb0EES1F_EEDaS1A_S1B_EUlS1A_E_NS1_11comp_targetILNS1_3genE3ELNS1_11target_archE908ELNS1_3gpuE7ELNS1_3repE0EEENS1_30default_config_static_selectorELNS0_4arch9wavefront6targetE1EEEvT1_: ; @_ZN7rocprim17ROCPRIM_400000_NS6detail17trampoline_kernelINS0_14default_configENS1_25partition_config_selectorILNS1_17partition_subalgoE2EiNS0_10empty_typeEbEEZZNS1_14partition_implILS5_2ELb0ES3_jN6thrust23THRUST_200600_302600_NS6detail15normal_iteratorINSA_7pointerIiNSA_11hip_rocprim3tagENSA_11use_defaultESG_EEEEPS6_NSA_18transform_iteratorI7is_evenIiENSC_INSA_10device_ptrIiEEEESG_SG_EENS0_5tupleIJPiSJ_EEENSR_IJSJ_SJ_EEES6_PlJS6_EEE10hipError_tPvRmT3_T4_T5_T6_T7_T9_mT8_P12ihipStream_tbDpT10_ENKUlT_T0_E_clISt17integral_constantIbLb0EES1F_EEDaS1A_S1B_EUlS1A_E_NS1_11comp_targetILNS1_3genE3ELNS1_11target_archE908ELNS1_3gpuE7ELNS1_3repE0EEENS1_30default_config_static_selectorELNS0_4arch9wavefront6targetE1EEEvT1_
; %bb.0:
	.section	.rodata,"a",@progbits
	.p2align	6, 0x0
	.amdhsa_kernel _ZN7rocprim17ROCPRIM_400000_NS6detail17trampoline_kernelINS0_14default_configENS1_25partition_config_selectorILNS1_17partition_subalgoE2EiNS0_10empty_typeEbEEZZNS1_14partition_implILS5_2ELb0ES3_jN6thrust23THRUST_200600_302600_NS6detail15normal_iteratorINSA_7pointerIiNSA_11hip_rocprim3tagENSA_11use_defaultESG_EEEEPS6_NSA_18transform_iteratorI7is_evenIiENSC_INSA_10device_ptrIiEEEESG_SG_EENS0_5tupleIJPiSJ_EEENSR_IJSJ_SJ_EEES6_PlJS6_EEE10hipError_tPvRmT3_T4_T5_T6_T7_T9_mT8_P12ihipStream_tbDpT10_ENKUlT_T0_E_clISt17integral_constantIbLb0EES1F_EEDaS1A_S1B_EUlS1A_E_NS1_11comp_targetILNS1_3genE3ELNS1_11target_archE908ELNS1_3gpuE7ELNS1_3repE0EEENS1_30default_config_static_selectorELNS0_4arch9wavefront6targetE1EEEvT1_
		.amdhsa_group_segment_fixed_size 0
		.amdhsa_private_segment_fixed_size 0
		.amdhsa_kernarg_size 128
		.amdhsa_user_sgpr_count 2
		.amdhsa_user_sgpr_dispatch_ptr 0
		.amdhsa_user_sgpr_queue_ptr 0
		.amdhsa_user_sgpr_kernarg_segment_ptr 1
		.amdhsa_user_sgpr_dispatch_id 0
		.amdhsa_user_sgpr_kernarg_preload_length 0
		.amdhsa_user_sgpr_kernarg_preload_offset 0
		.amdhsa_user_sgpr_private_segment_size 0
		.amdhsa_uses_dynamic_stack 0
		.amdhsa_enable_private_segment 0
		.amdhsa_system_sgpr_workgroup_id_x 1
		.amdhsa_system_sgpr_workgroup_id_y 0
		.amdhsa_system_sgpr_workgroup_id_z 0
		.amdhsa_system_sgpr_workgroup_info 0
		.amdhsa_system_vgpr_workitem_id 0
		.amdhsa_next_free_vgpr 1
		.amdhsa_next_free_sgpr 0
		.amdhsa_accum_offset 4
		.amdhsa_reserve_vcc 0
		.amdhsa_float_round_mode_32 0
		.amdhsa_float_round_mode_16_64 0
		.amdhsa_float_denorm_mode_32 3
		.amdhsa_float_denorm_mode_16_64 3
		.amdhsa_dx10_clamp 1
		.amdhsa_ieee_mode 1
		.amdhsa_fp16_overflow 0
		.amdhsa_tg_split 0
		.amdhsa_exception_fp_ieee_invalid_op 0
		.amdhsa_exception_fp_denorm_src 0
		.amdhsa_exception_fp_ieee_div_zero 0
		.amdhsa_exception_fp_ieee_overflow 0
		.amdhsa_exception_fp_ieee_underflow 0
		.amdhsa_exception_fp_ieee_inexact 0
		.amdhsa_exception_int_div_zero 0
	.end_amdhsa_kernel
	.section	.text._ZN7rocprim17ROCPRIM_400000_NS6detail17trampoline_kernelINS0_14default_configENS1_25partition_config_selectorILNS1_17partition_subalgoE2EiNS0_10empty_typeEbEEZZNS1_14partition_implILS5_2ELb0ES3_jN6thrust23THRUST_200600_302600_NS6detail15normal_iteratorINSA_7pointerIiNSA_11hip_rocprim3tagENSA_11use_defaultESG_EEEEPS6_NSA_18transform_iteratorI7is_evenIiENSC_INSA_10device_ptrIiEEEESG_SG_EENS0_5tupleIJPiSJ_EEENSR_IJSJ_SJ_EEES6_PlJS6_EEE10hipError_tPvRmT3_T4_T5_T6_T7_T9_mT8_P12ihipStream_tbDpT10_ENKUlT_T0_E_clISt17integral_constantIbLb0EES1F_EEDaS1A_S1B_EUlS1A_E_NS1_11comp_targetILNS1_3genE3ELNS1_11target_archE908ELNS1_3gpuE7ELNS1_3repE0EEENS1_30default_config_static_selectorELNS0_4arch9wavefront6targetE1EEEvT1_,"axG",@progbits,_ZN7rocprim17ROCPRIM_400000_NS6detail17trampoline_kernelINS0_14default_configENS1_25partition_config_selectorILNS1_17partition_subalgoE2EiNS0_10empty_typeEbEEZZNS1_14partition_implILS5_2ELb0ES3_jN6thrust23THRUST_200600_302600_NS6detail15normal_iteratorINSA_7pointerIiNSA_11hip_rocprim3tagENSA_11use_defaultESG_EEEEPS6_NSA_18transform_iteratorI7is_evenIiENSC_INSA_10device_ptrIiEEEESG_SG_EENS0_5tupleIJPiSJ_EEENSR_IJSJ_SJ_EEES6_PlJS6_EEE10hipError_tPvRmT3_T4_T5_T6_T7_T9_mT8_P12ihipStream_tbDpT10_ENKUlT_T0_E_clISt17integral_constantIbLb0EES1F_EEDaS1A_S1B_EUlS1A_E_NS1_11comp_targetILNS1_3genE3ELNS1_11target_archE908ELNS1_3gpuE7ELNS1_3repE0EEENS1_30default_config_static_selectorELNS0_4arch9wavefront6targetE1EEEvT1_,comdat
.Lfunc_end226:
	.size	_ZN7rocprim17ROCPRIM_400000_NS6detail17trampoline_kernelINS0_14default_configENS1_25partition_config_selectorILNS1_17partition_subalgoE2EiNS0_10empty_typeEbEEZZNS1_14partition_implILS5_2ELb0ES3_jN6thrust23THRUST_200600_302600_NS6detail15normal_iteratorINSA_7pointerIiNSA_11hip_rocprim3tagENSA_11use_defaultESG_EEEEPS6_NSA_18transform_iteratorI7is_evenIiENSC_INSA_10device_ptrIiEEEESG_SG_EENS0_5tupleIJPiSJ_EEENSR_IJSJ_SJ_EEES6_PlJS6_EEE10hipError_tPvRmT3_T4_T5_T6_T7_T9_mT8_P12ihipStream_tbDpT10_ENKUlT_T0_E_clISt17integral_constantIbLb0EES1F_EEDaS1A_S1B_EUlS1A_E_NS1_11comp_targetILNS1_3genE3ELNS1_11target_archE908ELNS1_3gpuE7ELNS1_3repE0EEENS1_30default_config_static_selectorELNS0_4arch9wavefront6targetE1EEEvT1_, .Lfunc_end226-_ZN7rocprim17ROCPRIM_400000_NS6detail17trampoline_kernelINS0_14default_configENS1_25partition_config_selectorILNS1_17partition_subalgoE2EiNS0_10empty_typeEbEEZZNS1_14partition_implILS5_2ELb0ES3_jN6thrust23THRUST_200600_302600_NS6detail15normal_iteratorINSA_7pointerIiNSA_11hip_rocprim3tagENSA_11use_defaultESG_EEEEPS6_NSA_18transform_iteratorI7is_evenIiENSC_INSA_10device_ptrIiEEEESG_SG_EENS0_5tupleIJPiSJ_EEENSR_IJSJ_SJ_EEES6_PlJS6_EEE10hipError_tPvRmT3_T4_T5_T6_T7_T9_mT8_P12ihipStream_tbDpT10_ENKUlT_T0_E_clISt17integral_constantIbLb0EES1F_EEDaS1A_S1B_EUlS1A_E_NS1_11comp_targetILNS1_3genE3ELNS1_11target_archE908ELNS1_3gpuE7ELNS1_3repE0EEENS1_30default_config_static_selectorELNS0_4arch9wavefront6targetE1EEEvT1_
                                        ; -- End function
	.section	.AMDGPU.csdata,"",@progbits
; Kernel info:
; codeLenInByte = 0
; NumSgprs: 6
; NumVgprs: 0
; NumAgprs: 0
; TotalNumVgprs: 0
; ScratchSize: 0
; MemoryBound: 0
; FloatMode: 240
; IeeeMode: 1
; LDSByteSize: 0 bytes/workgroup (compile time only)
; SGPRBlocks: 0
; VGPRBlocks: 0
; NumSGPRsForWavesPerEU: 6
; NumVGPRsForWavesPerEU: 1
; AccumOffset: 4
; Occupancy: 8
; WaveLimiterHint : 0
; COMPUTE_PGM_RSRC2:SCRATCH_EN: 0
; COMPUTE_PGM_RSRC2:USER_SGPR: 2
; COMPUTE_PGM_RSRC2:TRAP_HANDLER: 0
; COMPUTE_PGM_RSRC2:TGID_X_EN: 1
; COMPUTE_PGM_RSRC2:TGID_Y_EN: 0
; COMPUTE_PGM_RSRC2:TGID_Z_EN: 0
; COMPUTE_PGM_RSRC2:TIDIG_COMP_CNT: 0
; COMPUTE_PGM_RSRC3_GFX90A:ACCUM_OFFSET: 0
; COMPUTE_PGM_RSRC3_GFX90A:TG_SPLIT: 0
	.section	.text._ZN7rocprim17ROCPRIM_400000_NS6detail17trampoline_kernelINS0_14default_configENS1_25partition_config_selectorILNS1_17partition_subalgoE2EiNS0_10empty_typeEbEEZZNS1_14partition_implILS5_2ELb0ES3_jN6thrust23THRUST_200600_302600_NS6detail15normal_iteratorINSA_7pointerIiNSA_11hip_rocprim3tagENSA_11use_defaultESG_EEEEPS6_NSA_18transform_iteratorI7is_evenIiENSC_INSA_10device_ptrIiEEEESG_SG_EENS0_5tupleIJPiSJ_EEENSR_IJSJ_SJ_EEES6_PlJS6_EEE10hipError_tPvRmT3_T4_T5_T6_T7_T9_mT8_P12ihipStream_tbDpT10_ENKUlT_T0_E_clISt17integral_constantIbLb0EES1F_EEDaS1A_S1B_EUlS1A_E_NS1_11comp_targetILNS1_3genE2ELNS1_11target_archE906ELNS1_3gpuE6ELNS1_3repE0EEENS1_30default_config_static_selectorELNS0_4arch9wavefront6targetE1EEEvT1_,"axG",@progbits,_ZN7rocprim17ROCPRIM_400000_NS6detail17trampoline_kernelINS0_14default_configENS1_25partition_config_selectorILNS1_17partition_subalgoE2EiNS0_10empty_typeEbEEZZNS1_14partition_implILS5_2ELb0ES3_jN6thrust23THRUST_200600_302600_NS6detail15normal_iteratorINSA_7pointerIiNSA_11hip_rocprim3tagENSA_11use_defaultESG_EEEEPS6_NSA_18transform_iteratorI7is_evenIiENSC_INSA_10device_ptrIiEEEESG_SG_EENS0_5tupleIJPiSJ_EEENSR_IJSJ_SJ_EEES6_PlJS6_EEE10hipError_tPvRmT3_T4_T5_T6_T7_T9_mT8_P12ihipStream_tbDpT10_ENKUlT_T0_E_clISt17integral_constantIbLb0EES1F_EEDaS1A_S1B_EUlS1A_E_NS1_11comp_targetILNS1_3genE2ELNS1_11target_archE906ELNS1_3gpuE6ELNS1_3repE0EEENS1_30default_config_static_selectorELNS0_4arch9wavefront6targetE1EEEvT1_,comdat
	.protected	_ZN7rocprim17ROCPRIM_400000_NS6detail17trampoline_kernelINS0_14default_configENS1_25partition_config_selectorILNS1_17partition_subalgoE2EiNS0_10empty_typeEbEEZZNS1_14partition_implILS5_2ELb0ES3_jN6thrust23THRUST_200600_302600_NS6detail15normal_iteratorINSA_7pointerIiNSA_11hip_rocprim3tagENSA_11use_defaultESG_EEEEPS6_NSA_18transform_iteratorI7is_evenIiENSC_INSA_10device_ptrIiEEEESG_SG_EENS0_5tupleIJPiSJ_EEENSR_IJSJ_SJ_EEES6_PlJS6_EEE10hipError_tPvRmT3_T4_T5_T6_T7_T9_mT8_P12ihipStream_tbDpT10_ENKUlT_T0_E_clISt17integral_constantIbLb0EES1F_EEDaS1A_S1B_EUlS1A_E_NS1_11comp_targetILNS1_3genE2ELNS1_11target_archE906ELNS1_3gpuE6ELNS1_3repE0EEENS1_30default_config_static_selectorELNS0_4arch9wavefront6targetE1EEEvT1_ ; -- Begin function _ZN7rocprim17ROCPRIM_400000_NS6detail17trampoline_kernelINS0_14default_configENS1_25partition_config_selectorILNS1_17partition_subalgoE2EiNS0_10empty_typeEbEEZZNS1_14partition_implILS5_2ELb0ES3_jN6thrust23THRUST_200600_302600_NS6detail15normal_iteratorINSA_7pointerIiNSA_11hip_rocprim3tagENSA_11use_defaultESG_EEEEPS6_NSA_18transform_iteratorI7is_evenIiENSC_INSA_10device_ptrIiEEEESG_SG_EENS0_5tupleIJPiSJ_EEENSR_IJSJ_SJ_EEES6_PlJS6_EEE10hipError_tPvRmT3_T4_T5_T6_T7_T9_mT8_P12ihipStream_tbDpT10_ENKUlT_T0_E_clISt17integral_constantIbLb0EES1F_EEDaS1A_S1B_EUlS1A_E_NS1_11comp_targetILNS1_3genE2ELNS1_11target_archE906ELNS1_3gpuE6ELNS1_3repE0EEENS1_30default_config_static_selectorELNS0_4arch9wavefront6targetE1EEEvT1_
	.globl	_ZN7rocprim17ROCPRIM_400000_NS6detail17trampoline_kernelINS0_14default_configENS1_25partition_config_selectorILNS1_17partition_subalgoE2EiNS0_10empty_typeEbEEZZNS1_14partition_implILS5_2ELb0ES3_jN6thrust23THRUST_200600_302600_NS6detail15normal_iteratorINSA_7pointerIiNSA_11hip_rocprim3tagENSA_11use_defaultESG_EEEEPS6_NSA_18transform_iteratorI7is_evenIiENSC_INSA_10device_ptrIiEEEESG_SG_EENS0_5tupleIJPiSJ_EEENSR_IJSJ_SJ_EEES6_PlJS6_EEE10hipError_tPvRmT3_T4_T5_T6_T7_T9_mT8_P12ihipStream_tbDpT10_ENKUlT_T0_E_clISt17integral_constantIbLb0EES1F_EEDaS1A_S1B_EUlS1A_E_NS1_11comp_targetILNS1_3genE2ELNS1_11target_archE906ELNS1_3gpuE6ELNS1_3repE0EEENS1_30default_config_static_selectorELNS0_4arch9wavefront6targetE1EEEvT1_
	.p2align	8
	.type	_ZN7rocprim17ROCPRIM_400000_NS6detail17trampoline_kernelINS0_14default_configENS1_25partition_config_selectorILNS1_17partition_subalgoE2EiNS0_10empty_typeEbEEZZNS1_14partition_implILS5_2ELb0ES3_jN6thrust23THRUST_200600_302600_NS6detail15normal_iteratorINSA_7pointerIiNSA_11hip_rocprim3tagENSA_11use_defaultESG_EEEEPS6_NSA_18transform_iteratorI7is_evenIiENSC_INSA_10device_ptrIiEEEESG_SG_EENS0_5tupleIJPiSJ_EEENSR_IJSJ_SJ_EEES6_PlJS6_EEE10hipError_tPvRmT3_T4_T5_T6_T7_T9_mT8_P12ihipStream_tbDpT10_ENKUlT_T0_E_clISt17integral_constantIbLb0EES1F_EEDaS1A_S1B_EUlS1A_E_NS1_11comp_targetILNS1_3genE2ELNS1_11target_archE906ELNS1_3gpuE6ELNS1_3repE0EEENS1_30default_config_static_selectorELNS0_4arch9wavefront6targetE1EEEvT1_,@function
_ZN7rocprim17ROCPRIM_400000_NS6detail17trampoline_kernelINS0_14default_configENS1_25partition_config_selectorILNS1_17partition_subalgoE2EiNS0_10empty_typeEbEEZZNS1_14partition_implILS5_2ELb0ES3_jN6thrust23THRUST_200600_302600_NS6detail15normal_iteratorINSA_7pointerIiNSA_11hip_rocprim3tagENSA_11use_defaultESG_EEEEPS6_NSA_18transform_iteratorI7is_evenIiENSC_INSA_10device_ptrIiEEEESG_SG_EENS0_5tupleIJPiSJ_EEENSR_IJSJ_SJ_EEES6_PlJS6_EEE10hipError_tPvRmT3_T4_T5_T6_T7_T9_mT8_P12ihipStream_tbDpT10_ENKUlT_T0_E_clISt17integral_constantIbLb0EES1F_EEDaS1A_S1B_EUlS1A_E_NS1_11comp_targetILNS1_3genE2ELNS1_11target_archE906ELNS1_3gpuE6ELNS1_3repE0EEENS1_30default_config_static_selectorELNS0_4arch9wavefront6targetE1EEEvT1_: ; @_ZN7rocprim17ROCPRIM_400000_NS6detail17trampoline_kernelINS0_14default_configENS1_25partition_config_selectorILNS1_17partition_subalgoE2EiNS0_10empty_typeEbEEZZNS1_14partition_implILS5_2ELb0ES3_jN6thrust23THRUST_200600_302600_NS6detail15normal_iteratorINSA_7pointerIiNSA_11hip_rocprim3tagENSA_11use_defaultESG_EEEEPS6_NSA_18transform_iteratorI7is_evenIiENSC_INSA_10device_ptrIiEEEESG_SG_EENS0_5tupleIJPiSJ_EEENSR_IJSJ_SJ_EEES6_PlJS6_EEE10hipError_tPvRmT3_T4_T5_T6_T7_T9_mT8_P12ihipStream_tbDpT10_ENKUlT_T0_E_clISt17integral_constantIbLb0EES1F_EEDaS1A_S1B_EUlS1A_E_NS1_11comp_targetILNS1_3genE2ELNS1_11target_archE906ELNS1_3gpuE6ELNS1_3repE0EEENS1_30default_config_static_selectorELNS0_4arch9wavefront6targetE1EEEvT1_
; %bb.0:
	.section	.rodata,"a",@progbits
	.p2align	6, 0x0
	.amdhsa_kernel _ZN7rocprim17ROCPRIM_400000_NS6detail17trampoline_kernelINS0_14default_configENS1_25partition_config_selectorILNS1_17partition_subalgoE2EiNS0_10empty_typeEbEEZZNS1_14partition_implILS5_2ELb0ES3_jN6thrust23THRUST_200600_302600_NS6detail15normal_iteratorINSA_7pointerIiNSA_11hip_rocprim3tagENSA_11use_defaultESG_EEEEPS6_NSA_18transform_iteratorI7is_evenIiENSC_INSA_10device_ptrIiEEEESG_SG_EENS0_5tupleIJPiSJ_EEENSR_IJSJ_SJ_EEES6_PlJS6_EEE10hipError_tPvRmT3_T4_T5_T6_T7_T9_mT8_P12ihipStream_tbDpT10_ENKUlT_T0_E_clISt17integral_constantIbLb0EES1F_EEDaS1A_S1B_EUlS1A_E_NS1_11comp_targetILNS1_3genE2ELNS1_11target_archE906ELNS1_3gpuE6ELNS1_3repE0EEENS1_30default_config_static_selectorELNS0_4arch9wavefront6targetE1EEEvT1_
		.amdhsa_group_segment_fixed_size 0
		.amdhsa_private_segment_fixed_size 0
		.amdhsa_kernarg_size 128
		.amdhsa_user_sgpr_count 2
		.amdhsa_user_sgpr_dispatch_ptr 0
		.amdhsa_user_sgpr_queue_ptr 0
		.amdhsa_user_sgpr_kernarg_segment_ptr 1
		.amdhsa_user_sgpr_dispatch_id 0
		.amdhsa_user_sgpr_kernarg_preload_length 0
		.amdhsa_user_sgpr_kernarg_preload_offset 0
		.amdhsa_user_sgpr_private_segment_size 0
		.amdhsa_uses_dynamic_stack 0
		.amdhsa_enable_private_segment 0
		.amdhsa_system_sgpr_workgroup_id_x 1
		.amdhsa_system_sgpr_workgroup_id_y 0
		.amdhsa_system_sgpr_workgroup_id_z 0
		.amdhsa_system_sgpr_workgroup_info 0
		.amdhsa_system_vgpr_workitem_id 0
		.amdhsa_next_free_vgpr 1
		.amdhsa_next_free_sgpr 0
		.amdhsa_accum_offset 4
		.amdhsa_reserve_vcc 0
		.amdhsa_float_round_mode_32 0
		.amdhsa_float_round_mode_16_64 0
		.amdhsa_float_denorm_mode_32 3
		.amdhsa_float_denorm_mode_16_64 3
		.amdhsa_dx10_clamp 1
		.amdhsa_ieee_mode 1
		.amdhsa_fp16_overflow 0
		.amdhsa_tg_split 0
		.amdhsa_exception_fp_ieee_invalid_op 0
		.amdhsa_exception_fp_denorm_src 0
		.amdhsa_exception_fp_ieee_div_zero 0
		.amdhsa_exception_fp_ieee_overflow 0
		.amdhsa_exception_fp_ieee_underflow 0
		.amdhsa_exception_fp_ieee_inexact 0
		.amdhsa_exception_int_div_zero 0
	.end_amdhsa_kernel
	.section	.text._ZN7rocprim17ROCPRIM_400000_NS6detail17trampoline_kernelINS0_14default_configENS1_25partition_config_selectorILNS1_17partition_subalgoE2EiNS0_10empty_typeEbEEZZNS1_14partition_implILS5_2ELb0ES3_jN6thrust23THRUST_200600_302600_NS6detail15normal_iteratorINSA_7pointerIiNSA_11hip_rocprim3tagENSA_11use_defaultESG_EEEEPS6_NSA_18transform_iteratorI7is_evenIiENSC_INSA_10device_ptrIiEEEESG_SG_EENS0_5tupleIJPiSJ_EEENSR_IJSJ_SJ_EEES6_PlJS6_EEE10hipError_tPvRmT3_T4_T5_T6_T7_T9_mT8_P12ihipStream_tbDpT10_ENKUlT_T0_E_clISt17integral_constantIbLb0EES1F_EEDaS1A_S1B_EUlS1A_E_NS1_11comp_targetILNS1_3genE2ELNS1_11target_archE906ELNS1_3gpuE6ELNS1_3repE0EEENS1_30default_config_static_selectorELNS0_4arch9wavefront6targetE1EEEvT1_,"axG",@progbits,_ZN7rocprim17ROCPRIM_400000_NS6detail17trampoline_kernelINS0_14default_configENS1_25partition_config_selectorILNS1_17partition_subalgoE2EiNS0_10empty_typeEbEEZZNS1_14partition_implILS5_2ELb0ES3_jN6thrust23THRUST_200600_302600_NS6detail15normal_iteratorINSA_7pointerIiNSA_11hip_rocprim3tagENSA_11use_defaultESG_EEEEPS6_NSA_18transform_iteratorI7is_evenIiENSC_INSA_10device_ptrIiEEEESG_SG_EENS0_5tupleIJPiSJ_EEENSR_IJSJ_SJ_EEES6_PlJS6_EEE10hipError_tPvRmT3_T4_T5_T6_T7_T9_mT8_P12ihipStream_tbDpT10_ENKUlT_T0_E_clISt17integral_constantIbLb0EES1F_EEDaS1A_S1B_EUlS1A_E_NS1_11comp_targetILNS1_3genE2ELNS1_11target_archE906ELNS1_3gpuE6ELNS1_3repE0EEENS1_30default_config_static_selectorELNS0_4arch9wavefront6targetE1EEEvT1_,comdat
.Lfunc_end227:
	.size	_ZN7rocprim17ROCPRIM_400000_NS6detail17trampoline_kernelINS0_14default_configENS1_25partition_config_selectorILNS1_17partition_subalgoE2EiNS0_10empty_typeEbEEZZNS1_14partition_implILS5_2ELb0ES3_jN6thrust23THRUST_200600_302600_NS6detail15normal_iteratorINSA_7pointerIiNSA_11hip_rocprim3tagENSA_11use_defaultESG_EEEEPS6_NSA_18transform_iteratorI7is_evenIiENSC_INSA_10device_ptrIiEEEESG_SG_EENS0_5tupleIJPiSJ_EEENSR_IJSJ_SJ_EEES6_PlJS6_EEE10hipError_tPvRmT3_T4_T5_T6_T7_T9_mT8_P12ihipStream_tbDpT10_ENKUlT_T0_E_clISt17integral_constantIbLb0EES1F_EEDaS1A_S1B_EUlS1A_E_NS1_11comp_targetILNS1_3genE2ELNS1_11target_archE906ELNS1_3gpuE6ELNS1_3repE0EEENS1_30default_config_static_selectorELNS0_4arch9wavefront6targetE1EEEvT1_, .Lfunc_end227-_ZN7rocprim17ROCPRIM_400000_NS6detail17trampoline_kernelINS0_14default_configENS1_25partition_config_selectorILNS1_17partition_subalgoE2EiNS0_10empty_typeEbEEZZNS1_14partition_implILS5_2ELb0ES3_jN6thrust23THRUST_200600_302600_NS6detail15normal_iteratorINSA_7pointerIiNSA_11hip_rocprim3tagENSA_11use_defaultESG_EEEEPS6_NSA_18transform_iteratorI7is_evenIiENSC_INSA_10device_ptrIiEEEESG_SG_EENS0_5tupleIJPiSJ_EEENSR_IJSJ_SJ_EEES6_PlJS6_EEE10hipError_tPvRmT3_T4_T5_T6_T7_T9_mT8_P12ihipStream_tbDpT10_ENKUlT_T0_E_clISt17integral_constantIbLb0EES1F_EEDaS1A_S1B_EUlS1A_E_NS1_11comp_targetILNS1_3genE2ELNS1_11target_archE906ELNS1_3gpuE6ELNS1_3repE0EEENS1_30default_config_static_selectorELNS0_4arch9wavefront6targetE1EEEvT1_
                                        ; -- End function
	.section	.AMDGPU.csdata,"",@progbits
; Kernel info:
; codeLenInByte = 0
; NumSgprs: 6
; NumVgprs: 0
; NumAgprs: 0
; TotalNumVgprs: 0
; ScratchSize: 0
; MemoryBound: 0
; FloatMode: 240
; IeeeMode: 1
; LDSByteSize: 0 bytes/workgroup (compile time only)
; SGPRBlocks: 0
; VGPRBlocks: 0
; NumSGPRsForWavesPerEU: 6
; NumVGPRsForWavesPerEU: 1
; AccumOffset: 4
; Occupancy: 8
; WaveLimiterHint : 0
; COMPUTE_PGM_RSRC2:SCRATCH_EN: 0
; COMPUTE_PGM_RSRC2:USER_SGPR: 2
; COMPUTE_PGM_RSRC2:TRAP_HANDLER: 0
; COMPUTE_PGM_RSRC2:TGID_X_EN: 1
; COMPUTE_PGM_RSRC2:TGID_Y_EN: 0
; COMPUTE_PGM_RSRC2:TGID_Z_EN: 0
; COMPUTE_PGM_RSRC2:TIDIG_COMP_CNT: 0
; COMPUTE_PGM_RSRC3_GFX90A:ACCUM_OFFSET: 0
; COMPUTE_PGM_RSRC3_GFX90A:TG_SPLIT: 0
	.section	.text._ZN7rocprim17ROCPRIM_400000_NS6detail17trampoline_kernelINS0_14default_configENS1_25partition_config_selectorILNS1_17partition_subalgoE2EiNS0_10empty_typeEbEEZZNS1_14partition_implILS5_2ELb0ES3_jN6thrust23THRUST_200600_302600_NS6detail15normal_iteratorINSA_7pointerIiNSA_11hip_rocprim3tagENSA_11use_defaultESG_EEEEPS6_NSA_18transform_iteratorI7is_evenIiENSC_INSA_10device_ptrIiEEEESG_SG_EENS0_5tupleIJPiSJ_EEENSR_IJSJ_SJ_EEES6_PlJS6_EEE10hipError_tPvRmT3_T4_T5_T6_T7_T9_mT8_P12ihipStream_tbDpT10_ENKUlT_T0_E_clISt17integral_constantIbLb0EES1F_EEDaS1A_S1B_EUlS1A_E_NS1_11comp_targetILNS1_3genE10ELNS1_11target_archE1200ELNS1_3gpuE4ELNS1_3repE0EEENS1_30default_config_static_selectorELNS0_4arch9wavefront6targetE1EEEvT1_,"axG",@progbits,_ZN7rocprim17ROCPRIM_400000_NS6detail17trampoline_kernelINS0_14default_configENS1_25partition_config_selectorILNS1_17partition_subalgoE2EiNS0_10empty_typeEbEEZZNS1_14partition_implILS5_2ELb0ES3_jN6thrust23THRUST_200600_302600_NS6detail15normal_iteratorINSA_7pointerIiNSA_11hip_rocprim3tagENSA_11use_defaultESG_EEEEPS6_NSA_18transform_iteratorI7is_evenIiENSC_INSA_10device_ptrIiEEEESG_SG_EENS0_5tupleIJPiSJ_EEENSR_IJSJ_SJ_EEES6_PlJS6_EEE10hipError_tPvRmT3_T4_T5_T6_T7_T9_mT8_P12ihipStream_tbDpT10_ENKUlT_T0_E_clISt17integral_constantIbLb0EES1F_EEDaS1A_S1B_EUlS1A_E_NS1_11comp_targetILNS1_3genE10ELNS1_11target_archE1200ELNS1_3gpuE4ELNS1_3repE0EEENS1_30default_config_static_selectorELNS0_4arch9wavefront6targetE1EEEvT1_,comdat
	.protected	_ZN7rocprim17ROCPRIM_400000_NS6detail17trampoline_kernelINS0_14default_configENS1_25partition_config_selectorILNS1_17partition_subalgoE2EiNS0_10empty_typeEbEEZZNS1_14partition_implILS5_2ELb0ES3_jN6thrust23THRUST_200600_302600_NS6detail15normal_iteratorINSA_7pointerIiNSA_11hip_rocprim3tagENSA_11use_defaultESG_EEEEPS6_NSA_18transform_iteratorI7is_evenIiENSC_INSA_10device_ptrIiEEEESG_SG_EENS0_5tupleIJPiSJ_EEENSR_IJSJ_SJ_EEES6_PlJS6_EEE10hipError_tPvRmT3_T4_T5_T6_T7_T9_mT8_P12ihipStream_tbDpT10_ENKUlT_T0_E_clISt17integral_constantIbLb0EES1F_EEDaS1A_S1B_EUlS1A_E_NS1_11comp_targetILNS1_3genE10ELNS1_11target_archE1200ELNS1_3gpuE4ELNS1_3repE0EEENS1_30default_config_static_selectorELNS0_4arch9wavefront6targetE1EEEvT1_ ; -- Begin function _ZN7rocprim17ROCPRIM_400000_NS6detail17trampoline_kernelINS0_14default_configENS1_25partition_config_selectorILNS1_17partition_subalgoE2EiNS0_10empty_typeEbEEZZNS1_14partition_implILS5_2ELb0ES3_jN6thrust23THRUST_200600_302600_NS6detail15normal_iteratorINSA_7pointerIiNSA_11hip_rocprim3tagENSA_11use_defaultESG_EEEEPS6_NSA_18transform_iteratorI7is_evenIiENSC_INSA_10device_ptrIiEEEESG_SG_EENS0_5tupleIJPiSJ_EEENSR_IJSJ_SJ_EEES6_PlJS6_EEE10hipError_tPvRmT3_T4_T5_T6_T7_T9_mT8_P12ihipStream_tbDpT10_ENKUlT_T0_E_clISt17integral_constantIbLb0EES1F_EEDaS1A_S1B_EUlS1A_E_NS1_11comp_targetILNS1_3genE10ELNS1_11target_archE1200ELNS1_3gpuE4ELNS1_3repE0EEENS1_30default_config_static_selectorELNS0_4arch9wavefront6targetE1EEEvT1_
	.globl	_ZN7rocprim17ROCPRIM_400000_NS6detail17trampoline_kernelINS0_14default_configENS1_25partition_config_selectorILNS1_17partition_subalgoE2EiNS0_10empty_typeEbEEZZNS1_14partition_implILS5_2ELb0ES3_jN6thrust23THRUST_200600_302600_NS6detail15normal_iteratorINSA_7pointerIiNSA_11hip_rocprim3tagENSA_11use_defaultESG_EEEEPS6_NSA_18transform_iteratorI7is_evenIiENSC_INSA_10device_ptrIiEEEESG_SG_EENS0_5tupleIJPiSJ_EEENSR_IJSJ_SJ_EEES6_PlJS6_EEE10hipError_tPvRmT3_T4_T5_T6_T7_T9_mT8_P12ihipStream_tbDpT10_ENKUlT_T0_E_clISt17integral_constantIbLb0EES1F_EEDaS1A_S1B_EUlS1A_E_NS1_11comp_targetILNS1_3genE10ELNS1_11target_archE1200ELNS1_3gpuE4ELNS1_3repE0EEENS1_30default_config_static_selectorELNS0_4arch9wavefront6targetE1EEEvT1_
	.p2align	8
	.type	_ZN7rocprim17ROCPRIM_400000_NS6detail17trampoline_kernelINS0_14default_configENS1_25partition_config_selectorILNS1_17partition_subalgoE2EiNS0_10empty_typeEbEEZZNS1_14partition_implILS5_2ELb0ES3_jN6thrust23THRUST_200600_302600_NS6detail15normal_iteratorINSA_7pointerIiNSA_11hip_rocprim3tagENSA_11use_defaultESG_EEEEPS6_NSA_18transform_iteratorI7is_evenIiENSC_INSA_10device_ptrIiEEEESG_SG_EENS0_5tupleIJPiSJ_EEENSR_IJSJ_SJ_EEES6_PlJS6_EEE10hipError_tPvRmT3_T4_T5_T6_T7_T9_mT8_P12ihipStream_tbDpT10_ENKUlT_T0_E_clISt17integral_constantIbLb0EES1F_EEDaS1A_S1B_EUlS1A_E_NS1_11comp_targetILNS1_3genE10ELNS1_11target_archE1200ELNS1_3gpuE4ELNS1_3repE0EEENS1_30default_config_static_selectorELNS0_4arch9wavefront6targetE1EEEvT1_,@function
_ZN7rocprim17ROCPRIM_400000_NS6detail17trampoline_kernelINS0_14default_configENS1_25partition_config_selectorILNS1_17partition_subalgoE2EiNS0_10empty_typeEbEEZZNS1_14partition_implILS5_2ELb0ES3_jN6thrust23THRUST_200600_302600_NS6detail15normal_iteratorINSA_7pointerIiNSA_11hip_rocprim3tagENSA_11use_defaultESG_EEEEPS6_NSA_18transform_iteratorI7is_evenIiENSC_INSA_10device_ptrIiEEEESG_SG_EENS0_5tupleIJPiSJ_EEENSR_IJSJ_SJ_EEES6_PlJS6_EEE10hipError_tPvRmT3_T4_T5_T6_T7_T9_mT8_P12ihipStream_tbDpT10_ENKUlT_T0_E_clISt17integral_constantIbLb0EES1F_EEDaS1A_S1B_EUlS1A_E_NS1_11comp_targetILNS1_3genE10ELNS1_11target_archE1200ELNS1_3gpuE4ELNS1_3repE0EEENS1_30default_config_static_selectorELNS0_4arch9wavefront6targetE1EEEvT1_: ; @_ZN7rocprim17ROCPRIM_400000_NS6detail17trampoline_kernelINS0_14default_configENS1_25partition_config_selectorILNS1_17partition_subalgoE2EiNS0_10empty_typeEbEEZZNS1_14partition_implILS5_2ELb0ES3_jN6thrust23THRUST_200600_302600_NS6detail15normal_iteratorINSA_7pointerIiNSA_11hip_rocprim3tagENSA_11use_defaultESG_EEEEPS6_NSA_18transform_iteratorI7is_evenIiENSC_INSA_10device_ptrIiEEEESG_SG_EENS0_5tupleIJPiSJ_EEENSR_IJSJ_SJ_EEES6_PlJS6_EEE10hipError_tPvRmT3_T4_T5_T6_T7_T9_mT8_P12ihipStream_tbDpT10_ENKUlT_T0_E_clISt17integral_constantIbLb0EES1F_EEDaS1A_S1B_EUlS1A_E_NS1_11comp_targetILNS1_3genE10ELNS1_11target_archE1200ELNS1_3gpuE4ELNS1_3repE0EEENS1_30default_config_static_selectorELNS0_4arch9wavefront6targetE1EEEvT1_
; %bb.0:
	.section	.rodata,"a",@progbits
	.p2align	6, 0x0
	.amdhsa_kernel _ZN7rocprim17ROCPRIM_400000_NS6detail17trampoline_kernelINS0_14default_configENS1_25partition_config_selectorILNS1_17partition_subalgoE2EiNS0_10empty_typeEbEEZZNS1_14partition_implILS5_2ELb0ES3_jN6thrust23THRUST_200600_302600_NS6detail15normal_iteratorINSA_7pointerIiNSA_11hip_rocprim3tagENSA_11use_defaultESG_EEEEPS6_NSA_18transform_iteratorI7is_evenIiENSC_INSA_10device_ptrIiEEEESG_SG_EENS0_5tupleIJPiSJ_EEENSR_IJSJ_SJ_EEES6_PlJS6_EEE10hipError_tPvRmT3_T4_T5_T6_T7_T9_mT8_P12ihipStream_tbDpT10_ENKUlT_T0_E_clISt17integral_constantIbLb0EES1F_EEDaS1A_S1B_EUlS1A_E_NS1_11comp_targetILNS1_3genE10ELNS1_11target_archE1200ELNS1_3gpuE4ELNS1_3repE0EEENS1_30default_config_static_selectorELNS0_4arch9wavefront6targetE1EEEvT1_
		.amdhsa_group_segment_fixed_size 0
		.amdhsa_private_segment_fixed_size 0
		.amdhsa_kernarg_size 128
		.amdhsa_user_sgpr_count 2
		.amdhsa_user_sgpr_dispatch_ptr 0
		.amdhsa_user_sgpr_queue_ptr 0
		.amdhsa_user_sgpr_kernarg_segment_ptr 1
		.amdhsa_user_sgpr_dispatch_id 0
		.amdhsa_user_sgpr_kernarg_preload_length 0
		.amdhsa_user_sgpr_kernarg_preload_offset 0
		.amdhsa_user_sgpr_private_segment_size 0
		.amdhsa_uses_dynamic_stack 0
		.amdhsa_enable_private_segment 0
		.amdhsa_system_sgpr_workgroup_id_x 1
		.amdhsa_system_sgpr_workgroup_id_y 0
		.amdhsa_system_sgpr_workgroup_id_z 0
		.amdhsa_system_sgpr_workgroup_info 0
		.amdhsa_system_vgpr_workitem_id 0
		.amdhsa_next_free_vgpr 1
		.amdhsa_next_free_sgpr 0
		.amdhsa_accum_offset 4
		.amdhsa_reserve_vcc 0
		.amdhsa_float_round_mode_32 0
		.amdhsa_float_round_mode_16_64 0
		.amdhsa_float_denorm_mode_32 3
		.amdhsa_float_denorm_mode_16_64 3
		.amdhsa_dx10_clamp 1
		.amdhsa_ieee_mode 1
		.amdhsa_fp16_overflow 0
		.amdhsa_tg_split 0
		.amdhsa_exception_fp_ieee_invalid_op 0
		.amdhsa_exception_fp_denorm_src 0
		.amdhsa_exception_fp_ieee_div_zero 0
		.amdhsa_exception_fp_ieee_overflow 0
		.amdhsa_exception_fp_ieee_underflow 0
		.amdhsa_exception_fp_ieee_inexact 0
		.amdhsa_exception_int_div_zero 0
	.end_amdhsa_kernel
	.section	.text._ZN7rocprim17ROCPRIM_400000_NS6detail17trampoline_kernelINS0_14default_configENS1_25partition_config_selectorILNS1_17partition_subalgoE2EiNS0_10empty_typeEbEEZZNS1_14partition_implILS5_2ELb0ES3_jN6thrust23THRUST_200600_302600_NS6detail15normal_iteratorINSA_7pointerIiNSA_11hip_rocprim3tagENSA_11use_defaultESG_EEEEPS6_NSA_18transform_iteratorI7is_evenIiENSC_INSA_10device_ptrIiEEEESG_SG_EENS0_5tupleIJPiSJ_EEENSR_IJSJ_SJ_EEES6_PlJS6_EEE10hipError_tPvRmT3_T4_T5_T6_T7_T9_mT8_P12ihipStream_tbDpT10_ENKUlT_T0_E_clISt17integral_constantIbLb0EES1F_EEDaS1A_S1B_EUlS1A_E_NS1_11comp_targetILNS1_3genE10ELNS1_11target_archE1200ELNS1_3gpuE4ELNS1_3repE0EEENS1_30default_config_static_selectorELNS0_4arch9wavefront6targetE1EEEvT1_,"axG",@progbits,_ZN7rocprim17ROCPRIM_400000_NS6detail17trampoline_kernelINS0_14default_configENS1_25partition_config_selectorILNS1_17partition_subalgoE2EiNS0_10empty_typeEbEEZZNS1_14partition_implILS5_2ELb0ES3_jN6thrust23THRUST_200600_302600_NS6detail15normal_iteratorINSA_7pointerIiNSA_11hip_rocprim3tagENSA_11use_defaultESG_EEEEPS6_NSA_18transform_iteratorI7is_evenIiENSC_INSA_10device_ptrIiEEEESG_SG_EENS0_5tupleIJPiSJ_EEENSR_IJSJ_SJ_EEES6_PlJS6_EEE10hipError_tPvRmT3_T4_T5_T6_T7_T9_mT8_P12ihipStream_tbDpT10_ENKUlT_T0_E_clISt17integral_constantIbLb0EES1F_EEDaS1A_S1B_EUlS1A_E_NS1_11comp_targetILNS1_3genE10ELNS1_11target_archE1200ELNS1_3gpuE4ELNS1_3repE0EEENS1_30default_config_static_selectorELNS0_4arch9wavefront6targetE1EEEvT1_,comdat
.Lfunc_end228:
	.size	_ZN7rocprim17ROCPRIM_400000_NS6detail17trampoline_kernelINS0_14default_configENS1_25partition_config_selectorILNS1_17partition_subalgoE2EiNS0_10empty_typeEbEEZZNS1_14partition_implILS5_2ELb0ES3_jN6thrust23THRUST_200600_302600_NS6detail15normal_iteratorINSA_7pointerIiNSA_11hip_rocprim3tagENSA_11use_defaultESG_EEEEPS6_NSA_18transform_iteratorI7is_evenIiENSC_INSA_10device_ptrIiEEEESG_SG_EENS0_5tupleIJPiSJ_EEENSR_IJSJ_SJ_EEES6_PlJS6_EEE10hipError_tPvRmT3_T4_T5_T6_T7_T9_mT8_P12ihipStream_tbDpT10_ENKUlT_T0_E_clISt17integral_constantIbLb0EES1F_EEDaS1A_S1B_EUlS1A_E_NS1_11comp_targetILNS1_3genE10ELNS1_11target_archE1200ELNS1_3gpuE4ELNS1_3repE0EEENS1_30default_config_static_selectorELNS0_4arch9wavefront6targetE1EEEvT1_, .Lfunc_end228-_ZN7rocprim17ROCPRIM_400000_NS6detail17trampoline_kernelINS0_14default_configENS1_25partition_config_selectorILNS1_17partition_subalgoE2EiNS0_10empty_typeEbEEZZNS1_14partition_implILS5_2ELb0ES3_jN6thrust23THRUST_200600_302600_NS6detail15normal_iteratorINSA_7pointerIiNSA_11hip_rocprim3tagENSA_11use_defaultESG_EEEEPS6_NSA_18transform_iteratorI7is_evenIiENSC_INSA_10device_ptrIiEEEESG_SG_EENS0_5tupleIJPiSJ_EEENSR_IJSJ_SJ_EEES6_PlJS6_EEE10hipError_tPvRmT3_T4_T5_T6_T7_T9_mT8_P12ihipStream_tbDpT10_ENKUlT_T0_E_clISt17integral_constantIbLb0EES1F_EEDaS1A_S1B_EUlS1A_E_NS1_11comp_targetILNS1_3genE10ELNS1_11target_archE1200ELNS1_3gpuE4ELNS1_3repE0EEENS1_30default_config_static_selectorELNS0_4arch9wavefront6targetE1EEEvT1_
                                        ; -- End function
	.section	.AMDGPU.csdata,"",@progbits
; Kernel info:
; codeLenInByte = 0
; NumSgprs: 6
; NumVgprs: 0
; NumAgprs: 0
; TotalNumVgprs: 0
; ScratchSize: 0
; MemoryBound: 0
; FloatMode: 240
; IeeeMode: 1
; LDSByteSize: 0 bytes/workgroup (compile time only)
; SGPRBlocks: 0
; VGPRBlocks: 0
; NumSGPRsForWavesPerEU: 6
; NumVGPRsForWavesPerEU: 1
; AccumOffset: 4
; Occupancy: 8
; WaveLimiterHint : 0
; COMPUTE_PGM_RSRC2:SCRATCH_EN: 0
; COMPUTE_PGM_RSRC2:USER_SGPR: 2
; COMPUTE_PGM_RSRC2:TRAP_HANDLER: 0
; COMPUTE_PGM_RSRC2:TGID_X_EN: 1
; COMPUTE_PGM_RSRC2:TGID_Y_EN: 0
; COMPUTE_PGM_RSRC2:TGID_Z_EN: 0
; COMPUTE_PGM_RSRC2:TIDIG_COMP_CNT: 0
; COMPUTE_PGM_RSRC3_GFX90A:ACCUM_OFFSET: 0
; COMPUTE_PGM_RSRC3_GFX90A:TG_SPLIT: 0
	.section	.text._ZN7rocprim17ROCPRIM_400000_NS6detail17trampoline_kernelINS0_14default_configENS1_25partition_config_selectorILNS1_17partition_subalgoE2EiNS0_10empty_typeEbEEZZNS1_14partition_implILS5_2ELb0ES3_jN6thrust23THRUST_200600_302600_NS6detail15normal_iteratorINSA_7pointerIiNSA_11hip_rocprim3tagENSA_11use_defaultESG_EEEEPS6_NSA_18transform_iteratorI7is_evenIiENSC_INSA_10device_ptrIiEEEESG_SG_EENS0_5tupleIJPiSJ_EEENSR_IJSJ_SJ_EEES6_PlJS6_EEE10hipError_tPvRmT3_T4_T5_T6_T7_T9_mT8_P12ihipStream_tbDpT10_ENKUlT_T0_E_clISt17integral_constantIbLb0EES1F_EEDaS1A_S1B_EUlS1A_E_NS1_11comp_targetILNS1_3genE9ELNS1_11target_archE1100ELNS1_3gpuE3ELNS1_3repE0EEENS1_30default_config_static_selectorELNS0_4arch9wavefront6targetE1EEEvT1_,"axG",@progbits,_ZN7rocprim17ROCPRIM_400000_NS6detail17trampoline_kernelINS0_14default_configENS1_25partition_config_selectorILNS1_17partition_subalgoE2EiNS0_10empty_typeEbEEZZNS1_14partition_implILS5_2ELb0ES3_jN6thrust23THRUST_200600_302600_NS6detail15normal_iteratorINSA_7pointerIiNSA_11hip_rocprim3tagENSA_11use_defaultESG_EEEEPS6_NSA_18transform_iteratorI7is_evenIiENSC_INSA_10device_ptrIiEEEESG_SG_EENS0_5tupleIJPiSJ_EEENSR_IJSJ_SJ_EEES6_PlJS6_EEE10hipError_tPvRmT3_T4_T5_T6_T7_T9_mT8_P12ihipStream_tbDpT10_ENKUlT_T0_E_clISt17integral_constantIbLb0EES1F_EEDaS1A_S1B_EUlS1A_E_NS1_11comp_targetILNS1_3genE9ELNS1_11target_archE1100ELNS1_3gpuE3ELNS1_3repE0EEENS1_30default_config_static_selectorELNS0_4arch9wavefront6targetE1EEEvT1_,comdat
	.protected	_ZN7rocprim17ROCPRIM_400000_NS6detail17trampoline_kernelINS0_14default_configENS1_25partition_config_selectorILNS1_17partition_subalgoE2EiNS0_10empty_typeEbEEZZNS1_14partition_implILS5_2ELb0ES3_jN6thrust23THRUST_200600_302600_NS6detail15normal_iteratorINSA_7pointerIiNSA_11hip_rocprim3tagENSA_11use_defaultESG_EEEEPS6_NSA_18transform_iteratorI7is_evenIiENSC_INSA_10device_ptrIiEEEESG_SG_EENS0_5tupleIJPiSJ_EEENSR_IJSJ_SJ_EEES6_PlJS6_EEE10hipError_tPvRmT3_T4_T5_T6_T7_T9_mT8_P12ihipStream_tbDpT10_ENKUlT_T0_E_clISt17integral_constantIbLb0EES1F_EEDaS1A_S1B_EUlS1A_E_NS1_11comp_targetILNS1_3genE9ELNS1_11target_archE1100ELNS1_3gpuE3ELNS1_3repE0EEENS1_30default_config_static_selectorELNS0_4arch9wavefront6targetE1EEEvT1_ ; -- Begin function _ZN7rocprim17ROCPRIM_400000_NS6detail17trampoline_kernelINS0_14default_configENS1_25partition_config_selectorILNS1_17partition_subalgoE2EiNS0_10empty_typeEbEEZZNS1_14partition_implILS5_2ELb0ES3_jN6thrust23THRUST_200600_302600_NS6detail15normal_iteratorINSA_7pointerIiNSA_11hip_rocprim3tagENSA_11use_defaultESG_EEEEPS6_NSA_18transform_iteratorI7is_evenIiENSC_INSA_10device_ptrIiEEEESG_SG_EENS0_5tupleIJPiSJ_EEENSR_IJSJ_SJ_EEES6_PlJS6_EEE10hipError_tPvRmT3_T4_T5_T6_T7_T9_mT8_P12ihipStream_tbDpT10_ENKUlT_T0_E_clISt17integral_constantIbLb0EES1F_EEDaS1A_S1B_EUlS1A_E_NS1_11comp_targetILNS1_3genE9ELNS1_11target_archE1100ELNS1_3gpuE3ELNS1_3repE0EEENS1_30default_config_static_selectorELNS0_4arch9wavefront6targetE1EEEvT1_
	.globl	_ZN7rocprim17ROCPRIM_400000_NS6detail17trampoline_kernelINS0_14default_configENS1_25partition_config_selectorILNS1_17partition_subalgoE2EiNS0_10empty_typeEbEEZZNS1_14partition_implILS5_2ELb0ES3_jN6thrust23THRUST_200600_302600_NS6detail15normal_iteratorINSA_7pointerIiNSA_11hip_rocprim3tagENSA_11use_defaultESG_EEEEPS6_NSA_18transform_iteratorI7is_evenIiENSC_INSA_10device_ptrIiEEEESG_SG_EENS0_5tupleIJPiSJ_EEENSR_IJSJ_SJ_EEES6_PlJS6_EEE10hipError_tPvRmT3_T4_T5_T6_T7_T9_mT8_P12ihipStream_tbDpT10_ENKUlT_T0_E_clISt17integral_constantIbLb0EES1F_EEDaS1A_S1B_EUlS1A_E_NS1_11comp_targetILNS1_3genE9ELNS1_11target_archE1100ELNS1_3gpuE3ELNS1_3repE0EEENS1_30default_config_static_selectorELNS0_4arch9wavefront6targetE1EEEvT1_
	.p2align	8
	.type	_ZN7rocprim17ROCPRIM_400000_NS6detail17trampoline_kernelINS0_14default_configENS1_25partition_config_selectorILNS1_17partition_subalgoE2EiNS0_10empty_typeEbEEZZNS1_14partition_implILS5_2ELb0ES3_jN6thrust23THRUST_200600_302600_NS6detail15normal_iteratorINSA_7pointerIiNSA_11hip_rocprim3tagENSA_11use_defaultESG_EEEEPS6_NSA_18transform_iteratorI7is_evenIiENSC_INSA_10device_ptrIiEEEESG_SG_EENS0_5tupleIJPiSJ_EEENSR_IJSJ_SJ_EEES6_PlJS6_EEE10hipError_tPvRmT3_T4_T5_T6_T7_T9_mT8_P12ihipStream_tbDpT10_ENKUlT_T0_E_clISt17integral_constantIbLb0EES1F_EEDaS1A_S1B_EUlS1A_E_NS1_11comp_targetILNS1_3genE9ELNS1_11target_archE1100ELNS1_3gpuE3ELNS1_3repE0EEENS1_30default_config_static_selectorELNS0_4arch9wavefront6targetE1EEEvT1_,@function
_ZN7rocprim17ROCPRIM_400000_NS6detail17trampoline_kernelINS0_14default_configENS1_25partition_config_selectorILNS1_17partition_subalgoE2EiNS0_10empty_typeEbEEZZNS1_14partition_implILS5_2ELb0ES3_jN6thrust23THRUST_200600_302600_NS6detail15normal_iteratorINSA_7pointerIiNSA_11hip_rocprim3tagENSA_11use_defaultESG_EEEEPS6_NSA_18transform_iteratorI7is_evenIiENSC_INSA_10device_ptrIiEEEESG_SG_EENS0_5tupleIJPiSJ_EEENSR_IJSJ_SJ_EEES6_PlJS6_EEE10hipError_tPvRmT3_T4_T5_T6_T7_T9_mT8_P12ihipStream_tbDpT10_ENKUlT_T0_E_clISt17integral_constantIbLb0EES1F_EEDaS1A_S1B_EUlS1A_E_NS1_11comp_targetILNS1_3genE9ELNS1_11target_archE1100ELNS1_3gpuE3ELNS1_3repE0EEENS1_30default_config_static_selectorELNS0_4arch9wavefront6targetE1EEEvT1_: ; @_ZN7rocprim17ROCPRIM_400000_NS6detail17trampoline_kernelINS0_14default_configENS1_25partition_config_selectorILNS1_17partition_subalgoE2EiNS0_10empty_typeEbEEZZNS1_14partition_implILS5_2ELb0ES3_jN6thrust23THRUST_200600_302600_NS6detail15normal_iteratorINSA_7pointerIiNSA_11hip_rocprim3tagENSA_11use_defaultESG_EEEEPS6_NSA_18transform_iteratorI7is_evenIiENSC_INSA_10device_ptrIiEEEESG_SG_EENS0_5tupleIJPiSJ_EEENSR_IJSJ_SJ_EEES6_PlJS6_EEE10hipError_tPvRmT3_T4_T5_T6_T7_T9_mT8_P12ihipStream_tbDpT10_ENKUlT_T0_E_clISt17integral_constantIbLb0EES1F_EEDaS1A_S1B_EUlS1A_E_NS1_11comp_targetILNS1_3genE9ELNS1_11target_archE1100ELNS1_3gpuE3ELNS1_3repE0EEENS1_30default_config_static_selectorELNS0_4arch9wavefront6targetE1EEEvT1_
; %bb.0:
	.section	.rodata,"a",@progbits
	.p2align	6, 0x0
	.amdhsa_kernel _ZN7rocprim17ROCPRIM_400000_NS6detail17trampoline_kernelINS0_14default_configENS1_25partition_config_selectorILNS1_17partition_subalgoE2EiNS0_10empty_typeEbEEZZNS1_14partition_implILS5_2ELb0ES3_jN6thrust23THRUST_200600_302600_NS6detail15normal_iteratorINSA_7pointerIiNSA_11hip_rocprim3tagENSA_11use_defaultESG_EEEEPS6_NSA_18transform_iteratorI7is_evenIiENSC_INSA_10device_ptrIiEEEESG_SG_EENS0_5tupleIJPiSJ_EEENSR_IJSJ_SJ_EEES6_PlJS6_EEE10hipError_tPvRmT3_T4_T5_T6_T7_T9_mT8_P12ihipStream_tbDpT10_ENKUlT_T0_E_clISt17integral_constantIbLb0EES1F_EEDaS1A_S1B_EUlS1A_E_NS1_11comp_targetILNS1_3genE9ELNS1_11target_archE1100ELNS1_3gpuE3ELNS1_3repE0EEENS1_30default_config_static_selectorELNS0_4arch9wavefront6targetE1EEEvT1_
		.amdhsa_group_segment_fixed_size 0
		.amdhsa_private_segment_fixed_size 0
		.amdhsa_kernarg_size 128
		.amdhsa_user_sgpr_count 2
		.amdhsa_user_sgpr_dispatch_ptr 0
		.amdhsa_user_sgpr_queue_ptr 0
		.amdhsa_user_sgpr_kernarg_segment_ptr 1
		.amdhsa_user_sgpr_dispatch_id 0
		.amdhsa_user_sgpr_kernarg_preload_length 0
		.amdhsa_user_sgpr_kernarg_preload_offset 0
		.amdhsa_user_sgpr_private_segment_size 0
		.amdhsa_uses_dynamic_stack 0
		.amdhsa_enable_private_segment 0
		.amdhsa_system_sgpr_workgroup_id_x 1
		.amdhsa_system_sgpr_workgroup_id_y 0
		.amdhsa_system_sgpr_workgroup_id_z 0
		.amdhsa_system_sgpr_workgroup_info 0
		.amdhsa_system_vgpr_workitem_id 0
		.amdhsa_next_free_vgpr 1
		.amdhsa_next_free_sgpr 0
		.amdhsa_accum_offset 4
		.amdhsa_reserve_vcc 0
		.amdhsa_float_round_mode_32 0
		.amdhsa_float_round_mode_16_64 0
		.amdhsa_float_denorm_mode_32 3
		.amdhsa_float_denorm_mode_16_64 3
		.amdhsa_dx10_clamp 1
		.amdhsa_ieee_mode 1
		.amdhsa_fp16_overflow 0
		.amdhsa_tg_split 0
		.amdhsa_exception_fp_ieee_invalid_op 0
		.amdhsa_exception_fp_denorm_src 0
		.amdhsa_exception_fp_ieee_div_zero 0
		.amdhsa_exception_fp_ieee_overflow 0
		.amdhsa_exception_fp_ieee_underflow 0
		.amdhsa_exception_fp_ieee_inexact 0
		.amdhsa_exception_int_div_zero 0
	.end_amdhsa_kernel
	.section	.text._ZN7rocprim17ROCPRIM_400000_NS6detail17trampoline_kernelINS0_14default_configENS1_25partition_config_selectorILNS1_17partition_subalgoE2EiNS0_10empty_typeEbEEZZNS1_14partition_implILS5_2ELb0ES3_jN6thrust23THRUST_200600_302600_NS6detail15normal_iteratorINSA_7pointerIiNSA_11hip_rocprim3tagENSA_11use_defaultESG_EEEEPS6_NSA_18transform_iteratorI7is_evenIiENSC_INSA_10device_ptrIiEEEESG_SG_EENS0_5tupleIJPiSJ_EEENSR_IJSJ_SJ_EEES6_PlJS6_EEE10hipError_tPvRmT3_T4_T5_T6_T7_T9_mT8_P12ihipStream_tbDpT10_ENKUlT_T0_E_clISt17integral_constantIbLb0EES1F_EEDaS1A_S1B_EUlS1A_E_NS1_11comp_targetILNS1_3genE9ELNS1_11target_archE1100ELNS1_3gpuE3ELNS1_3repE0EEENS1_30default_config_static_selectorELNS0_4arch9wavefront6targetE1EEEvT1_,"axG",@progbits,_ZN7rocprim17ROCPRIM_400000_NS6detail17trampoline_kernelINS0_14default_configENS1_25partition_config_selectorILNS1_17partition_subalgoE2EiNS0_10empty_typeEbEEZZNS1_14partition_implILS5_2ELb0ES3_jN6thrust23THRUST_200600_302600_NS6detail15normal_iteratorINSA_7pointerIiNSA_11hip_rocprim3tagENSA_11use_defaultESG_EEEEPS6_NSA_18transform_iteratorI7is_evenIiENSC_INSA_10device_ptrIiEEEESG_SG_EENS0_5tupleIJPiSJ_EEENSR_IJSJ_SJ_EEES6_PlJS6_EEE10hipError_tPvRmT3_T4_T5_T6_T7_T9_mT8_P12ihipStream_tbDpT10_ENKUlT_T0_E_clISt17integral_constantIbLb0EES1F_EEDaS1A_S1B_EUlS1A_E_NS1_11comp_targetILNS1_3genE9ELNS1_11target_archE1100ELNS1_3gpuE3ELNS1_3repE0EEENS1_30default_config_static_selectorELNS0_4arch9wavefront6targetE1EEEvT1_,comdat
.Lfunc_end229:
	.size	_ZN7rocprim17ROCPRIM_400000_NS6detail17trampoline_kernelINS0_14default_configENS1_25partition_config_selectorILNS1_17partition_subalgoE2EiNS0_10empty_typeEbEEZZNS1_14partition_implILS5_2ELb0ES3_jN6thrust23THRUST_200600_302600_NS6detail15normal_iteratorINSA_7pointerIiNSA_11hip_rocprim3tagENSA_11use_defaultESG_EEEEPS6_NSA_18transform_iteratorI7is_evenIiENSC_INSA_10device_ptrIiEEEESG_SG_EENS0_5tupleIJPiSJ_EEENSR_IJSJ_SJ_EEES6_PlJS6_EEE10hipError_tPvRmT3_T4_T5_T6_T7_T9_mT8_P12ihipStream_tbDpT10_ENKUlT_T0_E_clISt17integral_constantIbLb0EES1F_EEDaS1A_S1B_EUlS1A_E_NS1_11comp_targetILNS1_3genE9ELNS1_11target_archE1100ELNS1_3gpuE3ELNS1_3repE0EEENS1_30default_config_static_selectorELNS0_4arch9wavefront6targetE1EEEvT1_, .Lfunc_end229-_ZN7rocprim17ROCPRIM_400000_NS6detail17trampoline_kernelINS0_14default_configENS1_25partition_config_selectorILNS1_17partition_subalgoE2EiNS0_10empty_typeEbEEZZNS1_14partition_implILS5_2ELb0ES3_jN6thrust23THRUST_200600_302600_NS6detail15normal_iteratorINSA_7pointerIiNSA_11hip_rocprim3tagENSA_11use_defaultESG_EEEEPS6_NSA_18transform_iteratorI7is_evenIiENSC_INSA_10device_ptrIiEEEESG_SG_EENS0_5tupleIJPiSJ_EEENSR_IJSJ_SJ_EEES6_PlJS6_EEE10hipError_tPvRmT3_T4_T5_T6_T7_T9_mT8_P12ihipStream_tbDpT10_ENKUlT_T0_E_clISt17integral_constantIbLb0EES1F_EEDaS1A_S1B_EUlS1A_E_NS1_11comp_targetILNS1_3genE9ELNS1_11target_archE1100ELNS1_3gpuE3ELNS1_3repE0EEENS1_30default_config_static_selectorELNS0_4arch9wavefront6targetE1EEEvT1_
                                        ; -- End function
	.section	.AMDGPU.csdata,"",@progbits
; Kernel info:
; codeLenInByte = 0
; NumSgprs: 6
; NumVgprs: 0
; NumAgprs: 0
; TotalNumVgprs: 0
; ScratchSize: 0
; MemoryBound: 0
; FloatMode: 240
; IeeeMode: 1
; LDSByteSize: 0 bytes/workgroup (compile time only)
; SGPRBlocks: 0
; VGPRBlocks: 0
; NumSGPRsForWavesPerEU: 6
; NumVGPRsForWavesPerEU: 1
; AccumOffset: 4
; Occupancy: 8
; WaveLimiterHint : 0
; COMPUTE_PGM_RSRC2:SCRATCH_EN: 0
; COMPUTE_PGM_RSRC2:USER_SGPR: 2
; COMPUTE_PGM_RSRC2:TRAP_HANDLER: 0
; COMPUTE_PGM_RSRC2:TGID_X_EN: 1
; COMPUTE_PGM_RSRC2:TGID_Y_EN: 0
; COMPUTE_PGM_RSRC2:TGID_Z_EN: 0
; COMPUTE_PGM_RSRC2:TIDIG_COMP_CNT: 0
; COMPUTE_PGM_RSRC3_GFX90A:ACCUM_OFFSET: 0
; COMPUTE_PGM_RSRC3_GFX90A:TG_SPLIT: 0
	.section	.text._ZN7rocprim17ROCPRIM_400000_NS6detail17trampoline_kernelINS0_14default_configENS1_25partition_config_selectorILNS1_17partition_subalgoE2EiNS0_10empty_typeEbEEZZNS1_14partition_implILS5_2ELb0ES3_jN6thrust23THRUST_200600_302600_NS6detail15normal_iteratorINSA_7pointerIiNSA_11hip_rocprim3tagENSA_11use_defaultESG_EEEEPS6_NSA_18transform_iteratorI7is_evenIiENSC_INSA_10device_ptrIiEEEESG_SG_EENS0_5tupleIJPiSJ_EEENSR_IJSJ_SJ_EEES6_PlJS6_EEE10hipError_tPvRmT3_T4_T5_T6_T7_T9_mT8_P12ihipStream_tbDpT10_ENKUlT_T0_E_clISt17integral_constantIbLb0EES1F_EEDaS1A_S1B_EUlS1A_E_NS1_11comp_targetILNS1_3genE8ELNS1_11target_archE1030ELNS1_3gpuE2ELNS1_3repE0EEENS1_30default_config_static_selectorELNS0_4arch9wavefront6targetE1EEEvT1_,"axG",@progbits,_ZN7rocprim17ROCPRIM_400000_NS6detail17trampoline_kernelINS0_14default_configENS1_25partition_config_selectorILNS1_17partition_subalgoE2EiNS0_10empty_typeEbEEZZNS1_14partition_implILS5_2ELb0ES3_jN6thrust23THRUST_200600_302600_NS6detail15normal_iteratorINSA_7pointerIiNSA_11hip_rocprim3tagENSA_11use_defaultESG_EEEEPS6_NSA_18transform_iteratorI7is_evenIiENSC_INSA_10device_ptrIiEEEESG_SG_EENS0_5tupleIJPiSJ_EEENSR_IJSJ_SJ_EEES6_PlJS6_EEE10hipError_tPvRmT3_T4_T5_T6_T7_T9_mT8_P12ihipStream_tbDpT10_ENKUlT_T0_E_clISt17integral_constantIbLb0EES1F_EEDaS1A_S1B_EUlS1A_E_NS1_11comp_targetILNS1_3genE8ELNS1_11target_archE1030ELNS1_3gpuE2ELNS1_3repE0EEENS1_30default_config_static_selectorELNS0_4arch9wavefront6targetE1EEEvT1_,comdat
	.protected	_ZN7rocprim17ROCPRIM_400000_NS6detail17trampoline_kernelINS0_14default_configENS1_25partition_config_selectorILNS1_17partition_subalgoE2EiNS0_10empty_typeEbEEZZNS1_14partition_implILS5_2ELb0ES3_jN6thrust23THRUST_200600_302600_NS6detail15normal_iteratorINSA_7pointerIiNSA_11hip_rocprim3tagENSA_11use_defaultESG_EEEEPS6_NSA_18transform_iteratorI7is_evenIiENSC_INSA_10device_ptrIiEEEESG_SG_EENS0_5tupleIJPiSJ_EEENSR_IJSJ_SJ_EEES6_PlJS6_EEE10hipError_tPvRmT3_T4_T5_T6_T7_T9_mT8_P12ihipStream_tbDpT10_ENKUlT_T0_E_clISt17integral_constantIbLb0EES1F_EEDaS1A_S1B_EUlS1A_E_NS1_11comp_targetILNS1_3genE8ELNS1_11target_archE1030ELNS1_3gpuE2ELNS1_3repE0EEENS1_30default_config_static_selectorELNS0_4arch9wavefront6targetE1EEEvT1_ ; -- Begin function _ZN7rocprim17ROCPRIM_400000_NS6detail17trampoline_kernelINS0_14default_configENS1_25partition_config_selectorILNS1_17partition_subalgoE2EiNS0_10empty_typeEbEEZZNS1_14partition_implILS5_2ELb0ES3_jN6thrust23THRUST_200600_302600_NS6detail15normal_iteratorINSA_7pointerIiNSA_11hip_rocprim3tagENSA_11use_defaultESG_EEEEPS6_NSA_18transform_iteratorI7is_evenIiENSC_INSA_10device_ptrIiEEEESG_SG_EENS0_5tupleIJPiSJ_EEENSR_IJSJ_SJ_EEES6_PlJS6_EEE10hipError_tPvRmT3_T4_T5_T6_T7_T9_mT8_P12ihipStream_tbDpT10_ENKUlT_T0_E_clISt17integral_constantIbLb0EES1F_EEDaS1A_S1B_EUlS1A_E_NS1_11comp_targetILNS1_3genE8ELNS1_11target_archE1030ELNS1_3gpuE2ELNS1_3repE0EEENS1_30default_config_static_selectorELNS0_4arch9wavefront6targetE1EEEvT1_
	.globl	_ZN7rocprim17ROCPRIM_400000_NS6detail17trampoline_kernelINS0_14default_configENS1_25partition_config_selectorILNS1_17partition_subalgoE2EiNS0_10empty_typeEbEEZZNS1_14partition_implILS5_2ELb0ES3_jN6thrust23THRUST_200600_302600_NS6detail15normal_iteratorINSA_7pointerIiNSA_11hip_rocprim3tagENSA_11use_defaultESG_EEEEPS6_NSA_18transform_iteratorI7is_evenIiENSC_INSA_10device_ptrIiEEEESG_SG_EENS0_5tupleIJPiSJ_EEENSR_IJSJ_SJ_EEES6_PlJS6_EEE10hipError_tPvRmT3_T4_T5_T6_T7_T9_mT8_P12ihipStream_tbDpT10_ENKUlT_T0_E_clISt17integral_constantIbLb0EES1F_EEDaS1A_S1B_EUlS1A_E_NS1_11comp_targetILNS1_3genE8ELNS1_11target_archE1030ELNS1_3gpuE2ELNS1_3repE0EEENS1_30default_config_static_selectorELNS0_4arch9wavefront6targetE1EEEvT1_
	.p2align	8
	.type	_ZN7rocprim17ROCPRIM_400000_NS6detail17trampoline_kernelINS0_14default_configENS1_25partition_config_selectorILNS1_17partition_subalgoE2EiNS0_10empty_typeEbEEZZNS1_14partition_implILS5_2ELb0ES3_jN6thrust23THRUST_200600_302600_NS6detail15normal_iteratorINSA_7pointerIiNSA_11hip_rocprim3tagENSA_11use_defaultESG_EEEEPS6_NSA_18transform_iteratorI7is_evenIiENSC_INSA_10device_ptrIiEEEESG_SG_EENS0_5tupleIJPiSJ_EEENSR_IJSJ_SJ_EEES6_PlJS6_EEE10hipError_tPvRmT3_T4_T5_T6_T7_T9_mT8_P12ihipStream_tbDpT10_ENKUlT_T0_E_clISt17integral_constantIbLb0EES1F_EEDaS1A_S1B_EUlS1A_E_NS1_11comp_targetILNS1_3genE8ELNS1_11target_archE1030ELNS1_3gpuE2ELNS1_3repE0EEENS1_30default_config_static_selectorELNS0_4arch9wavefront6targetE1EEEvT1_,@function
_ZN7rocprim17ROCPRIM_400000_NS6detail17trampoline_kernelINS0_14default_configENS1_25partition_config_selectorILNS1_17partition_subalgoE2EiNS0_10empty_typeEbEEZZNS1_14partition_implILS5_2ELb0ES3_jN6thrust23THRUST_200600_302600_NS6detail15normal_iteratorINSA_7pointerIiNSA_11hip_rocprim3tagENSA_11use_defaultESG_EEEEPS6_NSA_18transform_iteratorI7is_evenIiENSC_INSA_10device_ptrIiEEEESG_SG_EENS0_5tupleIJPiSJ_EEENSR_IJSJ_SJ_EEES6_PlJS6_EEE10hipError_tPvRmT3_T4_T5_T6_T7_T9_mT8_P12ihipStream_tbDpT10_ENKUlT_T0_E_clISt17integral_constantIbLb0EES1F_EEDaS1A_S1B_EUlS1A_E_NS1_11comp_targetILNS1_3genE8ELNS1_11target_archE1030ELNS1_3gpuE2ELNS1_3repE0EEENS1_30default_config_static_selectorELNS0_4arch9wavefront6targetE1EEEvT1_: ; @_ZN7rocprim17ROCPRIM_400000_NS6detail17trampoline_kernelINS0_14default_configENS1_25partition_config_selectorILNS1_17partition_subalgoE2EiNS0_10empty_typeEbEEZZNS1_14partition_implILS5_2ELb0ES3_jN6thrust23THRUST_200600_302600_NS6detail15normal_iteratorINSA_7pointerIiNSA_11hip_rocprim3tagENSA_11use_defaultESG_EEEEPS6_NSA_18transform_iteratorI7is_evenIiENSC_INSA_10device_ptrIiEEEESG_SG_EENS0_5tupleIJPiSJ_EEENSR_IJSJ_SJ_EEES6_PlJS6_EEE10hipError_tPvRmT3_T4_T5_T6_T7_T9_mT8_P12ihipStream_tbDpT10_ENKUlT_T0_E_clISt17integral_constantIbLb0EES1F_EEDaS1A_S1B_EUlS1A_E_NS1_11comp_targetILNS1_3genE8ELNS1_11target_archE1030ELNS1_3gpuE2ELNS1_3repE0EEENS1_30default_config_static_selectorELNS0_4arch9wavefront6targetE1EEEvT1_
; %bb.0:
	.section	.rodata,"a",@progbits
	.p2align	6, 0x0
	.amdhsa_kernel _ZN7rocprim17ROCPRIM_400000_NS6detail17trampoline_kernelINS0_14default_configENS1_25partition_config_selectorILNS1_17partition_subalgoE2EiNS0_10empty_typeEbEEZZNS1_14partition_implILS5_2ELb0ES3_jN6thrust23THRUST_200600_302600_NS6detail15normal_iteratorINSA_7pointerIiNSA_11hip_rocprim3tagENSA_11use_defaultESG_EEEEPS6_NSA_18transform_iteratorI7is_evenIiENSC_INSA_10device_ptrIiEEEESG_SG_EENS0_5tupleIJPiSJ_EEENSR_IJSJ_SJ_EEES6_PlJS6_EEE10hipError_tPvRmT3_T4_T5_T6_T7_T9_mT8_P12ihipStream_tbDpT10_ENKUlT_T0_E_clISt17integral_constantIbLb0EES1F_EEDaS1A_S1B_EUlS1A_E_NS1_11comp_targetILNS1_3genE8ELNS1_11target_archE1030ELNS1_3gpuE2ELNS1_3repE0EEENS1_30default_config_static_selectorELNS0_4arch9wavefront6targetE1EEEvT1_
		.amdhsa_group_segment_fixed_size 0
		.amdhsa_private_segment_fixed_size 0
		.amdhsa_kernarg_size 128
		.amdhsa_user_sgpr_count 2
		.amdhsa_user_sgpr_dispatch_ptr 0
		.amdhsa_user_sgpr_queue_ptr 0
		.amdhsa_user_sgpr_kernarg_segment_ptr 1
		.amdhsa_user_sgpr_dispatch_id 0
		.amdhsa_user_sgpr_kernarg_preload_length 0
		.amdhsa_user_sgpr_kernarg_preload_offset 0
		.amdhsa_user_sgpr_private_segment_size 0
		.amdhsa_uses_dynamic_stack 0
		.amdhsa_enable_private_segment 0
		.amdhsa_system_sgpr_workgroup_id_x 1
		.amdhsa_system_sgpr_workgroup_id_y 0
		.amdhsa_system_sgpr_workgroup_id_z 0
		.amdhsa_system_sgpr_workgroup_info 0
		.amdhsa_system_vgpr_workitem_id 0
		.amdhsa_next_free_vgpr 1
		.amdhsa_next_free_sgpr 0
		.amdhsa_accum_offset 4
		.amdhsa_reserve_vcc 0
		.amdhsa_float_round_mode_32 0
		.amdhsa_float_round_mode_16_64 0
		.amdhsa_float_denorm_mode_32 3
		.amdhsa_float_denorm_mode_16_64 3
		.amdhsa_dx10_clamp 1
		.amdhsa_ieee_mode 1
		.amdhsa_fp16_overflow 0
		.amdhsa_tg_split 0
		.amdhsa_exception_fp_ieee_invalid_op 0
		.amdhsa_exception_fp_denorm_src 0
		.amdhsa_exception_fp_ieee_div_zero 0
		.amdhsa_exception_fp_ieee_overflow 0
		.amdhsa_exception_fp_ieee_underflow 0
		.amdhsa_exception_fp_ieee_inexact 0
		.amdhsa_exception_int_div_zero 0
	.end_amdhsa_kernel
	.section	.text._ZN7rocprim17ROCPRIM_400000_NS6detail17trampoline_kernelINS0_14default_configENS1_25partition_config_selectorILNS1_17partition_subalgoE2EiNS0_10empty_typeEbEEZZNS1_14partition_implILS5_2ELb0ES3_jN6thrust23THRUST_200600_302600_NS6detail15normal_iteratorINSA_7pointerIiNSA_11hip_rocprim3tagENSA_11use_defaultESG_EEEEPS6_NSA_18transform_iteratorI7is_evenIiENSC_INSA_10device_ptrIiEEEESG_SG_EENS0_5tupleIJPiSJ_EEENSR_IJSJ_SJ_EEES6_PlJS6_EEE10hipError_tPvRmT3_T4_T5_T6_T7_T9_mT8_P12ihipStream_tbDpT10_ENKUlT_T0_E_clISt17integral_constantIbLb0EES1F_EEDaS1A_S1B_EUlS1A_E_NS1_11comp_targetILNS1_3genE8ELNS1_11target_archE1030ELNS1_3gpuE2ELNS1_3repE0EEENS1_30default_config_static_selectorELNS0_4arch9wavefront6targetE1EEEvT1_,"axG",@progbits,_ZN7rocprim17ROCPRIM_400000_NS6detail17trampoline_kernelINS0_14default_configENS1_25partition_config_selectorILNS1_17partition_subalgoE2EiNS0_10empty_typeEbEEZZNS1_14partition_implILS5_2ELb0ES3_jN6thrust23THRUST_200600_302600_NS6detail15normal_iteratorINSA_7pointerIiNSA_11hip_rocprim3tagENSA_11use_defaultESG_EEEEPS6_NSA_18transform_iteratorI7is_evenIiENSC_INSA_10device_ptrIiEEEESG_SG_EENS0_5tupleIJPiSJ_EEENSR_IJSJ_SJ_EEES6_PlJS6_EEE10hipError_tPvRmT3_T4_T5_T6_T7_T9_mT8_P12ihipStream_tbDpT10_ENKUlT_T0_E_clISt17integral_constantIbLb0EES1F_EEDaS1A_S1B_EUlS1A_E_NS1_11comp_targetILNS1_3genE8ELNS1_11target_archE1030ELNS1_3gpuE2ELNS1_3repE0EEENS1_30default_config_static_selectorELNS0_4arch9wavefront6targetE1EEEvT1_,comdat
.Lfunc_end230:
	.size	_ZN7rocprim17ROCPRIM_400000_NS6detail17trampoline_kernelINS0_14default_configENS1_25partition_config_selectorILNS1_17partition_subalgoE2EiNS0_10empty_typeEbEEZZNS1_14partition_implILS5_2ELb0ES3_jN6thrust23THRUST_200600_302600_NS6detail15normal_iteratorINSA_7pointerIiNSA_11hip_rocprim3tagENSA_11use_defaultESG_EEEEPS6_NSA_18transform_iteratorI7is_evenIiENSC_INSA_10device_ptrIiEEEESG_SG_EENS0_5tupleIJPiSJ_EEENSR_IJSJ_SJ_EEES6_PlJS6_EEE10hipError_tPvRmT3_T4_T5_T6_T7_T9_mT8_P12ihipStream_tbDpT10_ENKUlT_T0_E_clISt17integral_constantIbLb0EES1F_EEDaS1A_S1B_EUlS1A_E_NS1_11comp_targetILNS1_3genE8ELNS1_11target_archE1030ELNS1_3gpuE2ELNS1_3repE0EEENS1_30default_config_static_selectorELNS0_4arch9wavefront6targetE1EEEvT1_, .Lfunc_end230-_ZN7rocprim17ROCPRIM_400000_NS6detail17trampoline_kernelINS0_14default_configENS1_25partition_config_selectorILNS1_17partition_subalgoE2EiNS0_10empty_typeEbEEZZNS1_14partition_implILS5_2ELb0ES3_jN6thrust23THRUST_200600_302600_NS6detail15normal_iteratorINSA_7pointerIiNSA_11hip_rocprim3tagENSA_11use_defaultESG_EEEEPS6_NSA_18transform_iteratorI7is_evenIiENSC_INSA_10device_ptrIiEEEESG_SG_EENS0_5tupleIJPiSJ_EEENSR_IJSJ_SJ_EEES6_PlJS6_EEE10hipError_tPvRmT3_T4_T5_T6_T7_T9_mT8_P12ihipStream_tbDpT10_ENKUlT_T0_E_clISt17integral_constantIbLb0EES1F_EEDaS1A_S1B_EUlS1A_E_NS1_11comp_targetILNS1_3genE8ELNS1_11target_archE1030ELNS1_3gpuE2ELNS1_3repE0EEENS1_30default_config_static_selectorELNS0_4arch9wavefront6targetE1EEEvT1_
                                        ; -- End function
	.section	.AMDGPU.csdata,"",@progbits
; Kernel info:
; codeLenInByte = 0
; NumSgprs: 6
; NumVgprs: 0
; NumAgprs: 0
; TotalNumVgprs: 0
; ScratchSize: 0
; MemoryBound: 0
; FloatMode: 240
; IeeeMode: 1
; LDSByteSize: 0 bytes/workgroup (compile time only)
; SGPRBlocks: 0
; VGPRBlocks: 0
; NumSGPRsForWavesPerEU: 6
; NumVGPRsForWavesPerEU: 1
; AccumOffset: 4
; Occupancy: 8
; WaveLimiterHint : 0
; COMPUTE_PGM_RSRC2:SCRATCH_EN: 0
; COMPUTE_PGM_RSRC2:USER_SGPR: 2
; COMPUTE_PGM_RSRC2:TRAP_HANDLER: 0
; COMPUTE_PGM_RSRC2:TGID_X_EN: 1
; COMPUTE_PGM_RSRC2:TGID_Y_EN: 0
; COMPUTE_PGM_RSRC2:TGID_Z_EN: 0
; COMPUTE_PGM_RSRC2:TIDIG_COMP_CNT: 0
; COMPUTE_PGM_RSRC3_GFX90A:ACCUM_OFFSET: 0
; COMPUTE_PGM_RSRC3_GFX90A:TG_SPLIT: 0
	.section	.text._ZN7rocprim17ROCPRIM_400000_NS6detail17trampoline_kernelINS0_14default_configENS1_25partition_config_selectorILNS1_17partition_subalgoE2EiNS0_10empty_typeEbEEZZNS1_14partition_implILS5_2ELb0ES3_jN6thrust23THRUST_200600_302600_NS6detail15normal_iteratorINSA_7pointerIiNSA_11hip_rocprim3tagENSA_11use_defaultESG_EEEEPS6_NSA_18transform_iteratorI7is_evenIiENSC_INSA_10device_ptrIiEEEESG_SG_EENS0_5tupleIJPiSJ_EEENSR_IJSJ_SJ_EEES6_PlJS6_EEE10hipError_tPvRmT3_T4_T5_T6_T7_T9_mT8_P12ihipStream_tbDpT10_ENKUlT_T0_E_clISt17integral_constantIbLb1EES1F_EEDaS1A_S1B_EUlS1A_E_NS1_11comp_targetILNS1_3genE0ELNS1_11target_archE4294967295ELNS1_3gpuE0ELNS1_3repE0EEENS1_30default_config_static_selectorELNS0_4arch9wavefront6targetE1EEEvT1_,"axG",@progbits,_ZN7rocprim17ROCPRIM_400000_NS6detail17trampoline_kernelINS0_14default_configENS1_25partition_config_selectorILNS1_17partition_subalgoE2EiNS0_10empty_typeEbEEZZNS1_14partition_implILS5_2ELb0ES3_jN6thrust23THRUST_200600_302600_NS6detail15normal_iteratorINSA_7pointerIiNSA_11hip_rocprim3tagENSA_11use_defaultESG_EEEEPS6_NSA_18transform_iteratorI7is_evenIiENSC_INSA_10device_ptrIiEEEESG_SG_EENS0_5tupleIJPiSJ_EEENSR_IJSJ_SJ_EEES6_PlJS6_EEE10hipError_tPvRmT3_T4_T5_T6_T7_T9_mT8_P12ihipStream_tbDpT10_ENKUlT_T0_E_clISt17integral_constantIbLb1EES1F_EEDaS1A_S1B_EUlS1A_E_NS1_11comp_targetILNS1_3genE0ELNS1_11target_archE4294967295ELNS1_3gpuE0ELNS1_3repE0EEENS1_30default_config_static_selectorELNS0_4arch9wavefront6targetE1EEEvT1_,comdat
	.protected	_ZN7rocprim17ROCPRIM_400000_NS6detail17trampoline_kernelINS0_14default_configENS1_25partition_config_selectorILNS1_17partition_subalgoE2EiNS0_10empty_typeEbEEZZNS1_14partition_implILS5_2ELb0ES3_jN6thrust23THRUST_200600_302600_NS6detail15normal_iteratorINSA_7pointerIiNSA_11hip_rocprim3tagENSA_11use_defaultESG_EEEEPS6_NSA_18transform_iteratorI7is_evenIiENSC_INSA_10device_ptrIiEEEESG_SG_EENS0_5tupleIJPiSJ_EEENSR_IJSJ_SJ_EEES6_PlJS6_EEE10hipError_tPvRmT3_T4_T5_T6_T7_T9_mT8_P12ihipStream_tbDpT10_ENKUlT_T0_E_clISt17integral_constantIbLb1EES1F_EEDaS1A_S1B_EUlS1A_E_NS1_11comp_targetILNS1_3genE0ELNS1_11target_archE4294967295ELNS1_3gpuE0ELNS1_3repE0EEENS1_30default_config_static_selectorELNS0_4arch9wavefront6targetE1EEEvT1_ ; -- Begin function _ZN7rocprim17ROCPRIM_400000_NS6detail17trampoline_kernelINS0_14default_configENS1_25partition_config_selectorILNS1_17partition_subalgoE2EiNS0_10empty_typeEbEEZZNS1_14partition_implILS5_2ELb0ES3_jN6thrust23THRUST_200600_302600_NS6detail15normal_iteratorINSA_7pointerIiNSA_11hip_rocprim3tagENSA_11use_defaultESG_EEEEPS6_NSA_18transform_iteratorI7is_evenIiENSC_INSA_10device_ptrIiEEEESG_SG_EENS0_5tupleIJPiSJ_EEENSR_IJSJ_SJ_EEES6_PlJS6_EEE10hipError_tPvRmT3_T4_T5_T6_T7_T9_mT8_P12ihipStream_tbDpT10_ENKUlT_T0_E_clISt17integral_constantIbLb1EES1F_EEDaS1A_S1B_EUlS1A_E_NS1_11comp_targetILNS1_3genE0ELNS1_11target_archE4294967295ELNS1_3gpuE0ELNS1_3repE0EEENS1_30default_config_static_selectorELNS0_4arch9wavefront6targetE1EEEvT1_
	.globl	_ZN7rocprim17ROCPRIM_400000_NS6detail17trampoline_kernelINS0_14default_configENS1_25partition_config_selectorILNS1_17partition_subalgoE2EiNS0_10empty_typeEbEEZZNS1_14partition_implILS5_2ELb0ES3_jN6thrust23THRUST_200600_302600_NS6detail15normal_iteratorINSA_7pointerIiNSA_11hip_rocprim3tagENSA_11use_defaultESG_EEEEPS6_NSA_18transform_iteratorI7is_evenIiENSC_INSA_10device_ptrIiEEEESG_SG_EENS0_5tupleIJPiSJ_EEENSR_IJSJ_SJ_EEES6_PlJS6_EEE10hipError_tPvRmT3_T4_T5_T6_T7_T9_mT8_P12ihipStream_tbDpT10_ENKUlT_T0_E_clISt17integral_constantIbLb1EES1F_EEDaS1A_S1B_EUlS1A_E_NS1_11comp_targetILNS1_3genE0ELNS1_11target_archE4294967295ELNS1_3gpuE0ELNS1_3repE0EEENS1_30default_config_static_selectorELNS0_4arch9wavefront6targetE1EEEvT1_
	.p2align	8
	.type	_ZN7rocprim17ROCPRIM_400000_NS6detail17trampoline_kernelINS0_14default_configENS1_25partition_config_selectorILNS1_17partition_subalgoE2EiNS0_10empty_typeEbEEZZNS1_14partition_implILS5_2ELb0ES3_jN6thrust23THRUST_200600_302600_NS6detail15normal_iteratorINSA_7pointerIiNSA_11hip_rocprim3tagENSA_11use_defaultESG_EEEEPS6_NSA_18transform_iteratorI7is_evenIiENSC_INSA_10device_ptrIiEEEESG_SG_EENS0_5tupleIJPiSJ_EEENSR_IJSJ_SJ_EEES6_PlJS6_EEE10hipError_tPvRmT3_T4_T5_T6_T7_T9_mT8_P12ihipStream_tbDpT10_ENKUlT_T0_E_clISt17integral_constantIbLb1EES1F_EEDaS1A_S1B_EUlS1A_E_NS1_11comp_targetILNS1_3genE0ELNS1_11target_archE4294967295ELNS1_3gpuE0ELNS1_3repE0EEENS1_30default_config_static_selectorELNS0_4arch9wavefront6targetE1EEEvT1_,@function
_ZN7rocprim17ROCPRIM_400000_NS6detail17trampoline_kernelINS0_14default_configENS1_25partition_config_selectorILNS1_17partition_subalgoE2EiNS0_10empty_typeEbEEZZNS1_14partition_implILS5_2ELb0ES3_jN6thrust23THRUST_200600_302600_NS6detail15normal_iteratorINSA_7pointerIiNSA_11hip_rocprim3tagENSA_11use_defaultESG_EEEEPS6_NSA_18transform_iteratorI7is_evenIiENSC_INSA_10device_ptrIiEEEESG_SG_EENS0_5tupleIJPiSJ_EEENSR_IJSJ_SJ_EEES6_PlJS6_EEE10hipError_tPvRmT3_T4_T5_T6_T7_T9_mT8_P12ihipStream_tbDpT10_ENKUlT_T0_E_clISt17integral_constantIbLb1EES1F_EEDaS1A_S1B_EUlS1A_E_NS1_11comp_targetILNS1_3genE0ELNS1_11target_archE4294967295ELNS1_3gpuE0ELNS1_3repE0EEENS1_30default_config_static_selectorELNS0_4arch9wavefront6targetE1EEEvT1_: ; @_ZN7rocprim17ROCPRIM_400000_NS6detail17trampoline_kernelINS0_14default_configENS1_25partition_config_selectorILNS1_17partition_subalgoE2EiNS0_10empty_typeEbEEZZNS1_14partition_implILS5_2ELb0ES3_jN6thrust23THRUST_200600_302600_NS6detail15normal_iteratorINSA_7pointerIiNSA_11hip_rocprim3tagENSA_11use_defaultESG_EEEEPS6_NSA_18transform_iteratorI7is_evenIiENSC_INSA_10device_ptrIiEEEESG_SG_EENS0_5tupleIJPiSJ_EEENSR_IJSJ_SJ_EEES6_PlJS6_EEE10hipError_tPvRmT3_T4_T5_T6_T7_T9_mT8_P12ihipStream_tbDpT10_ENKUlT_T0_E_clISt17integral_constantIbLb1EES1F_EEDaS1A_S1B_EUlS1A_E_NS1_11comp_targetILNS1_3genE0ELNS1_11target_archE4294967295ELNS1_3gpuE0ELNS1_3repE0EEENS1_30default_config_static_selectorELNS0_4arch9wavefront6targetE1EEEvT1_
; %bb.0:
	.section	.rodata,"a",@progbits
	.p2align	6, 0x0
	.amdhsa_kernel _ZN7rocprim17ROCPRIM_400000_NS6detail17trampoline_kernelINS0_14default_configENS1_25partition_config_selectorILNS1_17partition_subalgoE2EiNS0_10empty_typeEbEEZZNS1_14partition_implILS5_2ELb0ES3_jN6thrust23THRUST_200600_302600_NS6detail15normal_iteratorINSA_7pointerIiNSA_11hip_rocprim3tagENSA_11use_defaultESG_EEEEPS6_NSA_18transform_iteratorI7is_evenIiENSC_INSA_10device_ptrIiEEEESG_SG_EENS0_5tupleIJPiSJ_EEENSR_IJSJ_SJ_EEES6_PlJS6_EEE10hipError_tPvRmT3_T4_T5_T6_T7_T9_mT8_P12ihipStream_tbDpT10_ENKUlT_T0_E_clISt17integral_constantIbLb1EES1F_EEDaS1A_S1B_EUlS1A_E_NS1_11comp_targetILNS1_3genE0ELNS1_11target_archE4294967295ELNS1_3gpuE0ELNS1_3repE0EEENS1_30default_config_static_selectorELNS0_4arch9wavefront6targetE1EEEvT1_
		.amdhsa_group_segment_fixed_size 0
		.amdhsa_private_segment_fixed_size 0
		.amdhsa_kernarg_size 144
		.amdhsa_user_sgpr_count 2
		.amdhsa_user_sgpr_dispatch_ptr 0
		.amdhsa_user_sgpr_queue_ptr 0
		.amdhsa_user_sgpr_kernarg_segment_ptr 1
		.amdhsa_user_sgpr_dispatch_id 0
		.amdhsa_user_sgpr_kernarg_preload_length 0
		.amdhsa_user_sgpr_kernarg_preload_offset 0
		.amdhsa_user_sgpr_private_segment_size 0
		.amdhsa_uses_dynamic_stack 0
		.amdhsa_enable_private_segment 0
		.amdhsa_system_sgpr_workgroup_id_x 1
		.amdhsa_system_sgpr_workgroup_id_y 0
		.amdhsa_system_sgpr_workgroup_id_z 0
		.amdhsa_system_sgpr_workgroup_info 0
		.amdhsa_system_vgpr_workitem_id 0
		.amdhsa_next_free_vgpr 1
		.amdhsa_next_free_sgpr 0
		.amdhsa_accum_offset 4
		.amdhsa_reserve_vcc 0
		.amdhsa_float_round_mode_32 0
		.amdhsa_float_round_mode_16_64 0
		.amdhsa_float_denorm_mode_32 3
		.amdhsa_float_denorm_mode_16_64 3
		.amdhsa_dx10_clamp 1
		.amdhsa_ieee_mode 1
		.amdhsa_fp16_overflow 0
		.amdhsa_tg_split 0
		.amdhsa_exception_fp_ieee_invalid_op 0
		.amdhsa_exception_fp_denorm_src 0
		.amdhsa_exception_fp_ieee_div_zero 0
		.amdhsa_exception_fp_ieee_overflow 0
		.amdhsa_exception_fp_ieee_underflow 0
		.amdhsa_exception_fp_ieee_inexact 0
		.amdhsa_exception_int_div_zero 0
	.end_amdhsa_kernel
	.section	.text._ZN7rocprim17ROCPRIM_400000_NS6detail17trampoline_kernelINS0_14default_configENS1_25partition_config_selectorILNS1_17partition_subalgoE2EiNS0_10empty_typeEbEEZZNS1_14partition_implILS5_2ELb0ES3_jN6thrust23THRUST_200600_302600_NS6detail15normal_iteratorINSA_7pointerIiNSA_11hip_rocprim3tagENSA_11use_defaultESG_EEEEPS6_NSA_18transform_iteratorI7is_evenIiENSC_INSA_10device_ptrIiEEEESG_SG_EENS0_5tupleIJPiSJ_EEENSR_IJSJ_SJ_EEES6_PlJS6_EEE10hipError_tPvRmT3_T4_T5_T6_T7_T9_mT8_P12ihipStream_tbDpT10_ENKUlT_T0_E_clISt17integral_constantIbLb1EES1F_EEDaS1A_S1B_EUlS1A_E_NS1_11comp_targetILNS1_3genE0ELNS1_11target_archE4294967295ELNS1_3gpuE0ELNS1_3repE0EEENS1_30default_config_static_selectorELNS0_4arch9wavefront6targetE1EEEvT1_,"axG",@progbits,_ZN7rocprim17ROCPRIM_400000_NS6detail17trampoline_kernelINS0_14default_configENS1_25partition_config_selectorILNS1_17partition_subalgoE2EiNS0_10empty_typeEbEEZZNS1_14partition_implILS5_2ELb0ES3_jN6thrust23THRUST_200600_302600_NS6detail15normal_iteratorINSA_7pointerIiNSA_11hip_rocprim3tagENSA_11use_defaultESG_EEEEPS6_NSA_18transform_iteratorI7is_evenIiENSC_INSA_10device_ptrIiEEEESG_SG_EENS0_5tupleIJPiSJ_EEENSR_IJSJ_SJ_EEES6_PlJS6_EEE10hipError_tPvRmT3_T4_T5_T6_T7_T9_mT8_P12ihipStream_tbDpT10_ENKUlT_T0_E_clISt17integral_constantIbLb1EES1F_EEDaS1A_S1B_EUlS1A_E_NS1_11comp_targetILNS1_3genE0ELNS1_11target_archE4294967295ELNS1_3gpuE0ELNS1_3repE0EEENS1_30default_config_static_selectorELNS0_4arch9wavefront6targetE1EEEvT1_,comdat
.Lfunc_end231:
	.size	_ZN7rocprim17ROCPRIM_400000_NS6detail17trampoline_kernelINS0_14default_configENS1_25partition_config_selectorILNS1_17partition_subalgoE2EiNS0_10empty_typeEbEEZZNS1_14partition_implILS5_2ELb0ES3_jN6thrust23THRUST_200600_302600_NS6detail15normal_iteratorINSA_7pointerIiNSA_11hip_rocprim3tagENSA_11use_defaultESG_EEEEPS6_NSA_18transform_iteratorI7is_evenIiENSC_INSA_10device_ptrIiEEEESG_SG_EENS0_5tupleIJPiSJ_EEENSR_IJSJ_SJ_EEES6_PlJS6_EEE10hipError_tPvRmT3_T4_T5_T6_T7_T9_mT8_P12ihipStream_tbDpT10_ENKUlT_T0_E_clISt17integral_constantIbLb1EES1F_EEDaS1A_S1B_EUlS1A_E_NS1_11comp_targetILNS1_3genE0ELNS1_11target_archE4294967295ELNS1_3gpuE0ELNS1_3repE0EEENS1_30default_config_static_selectorELNS0_4arch9wavefront6targetE1EEEvT1_, .Lfunc_end231-_ZN7rocprim17ROCPRIM_400000_NS6detail17trampoline_kernelINS0_14default_configENS1_25partition_config_selectorILNS1_17partition_subalgoE2EiNS0_10empty_typeEbEEZZNS1_14partition_implILS5_2ELb0ES3_jN6thrust23THRUST_200600_302600_NS6detail15normal_iteratorINSA_7pointerIiNSA_11hip_rocprim3tagENSA_11use_defaultESG_EEEEPS6_NSA_18transform_iteratorI7is_evenIiENSC_INSA_10device_ptrIiEEEESG_SG_EENS0_5tupleIJPiSJ_EEENSR_IJSJ_SJ_EEES6_PlJS6_EEE10hipError_tPvRmT3_T4_T5_T6_T7_T9_mT8_P12ihipStream_tbDpT10_ENKUlT_T0_E_clISt17integral_constantIbLb1EES1F_EEDaS1A_S1B_EUlS1A_E_NS1_11comp_targetILNS1_3genE0ELNS1_11target_archE4294967295ELNS1_3gpuE0ELNS1_3repE0EEENS1_30default_config_static_selectorELNS0_4arch9wavefront6targetE1EEEvT1_
                                        ; -- End function
	.section	.AMDGPU.csdata,"",@progbits
; Kernel info:
; codeLenInByte = 0
; NumSgprs: 6
; NumVgprs: 0
; NumAgprs: 0
; TotalNumVgprs: 0
; ScratchSize: 0
; MemoryBound: 0
; FloatMode: 240
; IeeeMode: 1
; LDSByteSize: 0 bytes/workgroup (compile time only)
; SGPRBlocks: 0
; VGPRBlocks: 0
; NumSGPRsForWavesPerEU: 6
; NumVGPRsForWavesPerEU: 1
; AccumOffset: 4
; Occupancy: 8
; WaveLimiterHint : 0
; COMPUTE_PGM_RSRC2:SCRATCH_EN: 0
; COMPUTE_PGM_RSRC2:USER_SGPR: 2
; COMPUTE_PGM_RSRC2:TRAP_HANDLER: 0
; COMPUTE_PGM_RSRC2:TGID_X_EN: 1
; COMPUTE_PGM_RSRC2:TGID_Y_EN: 0
; COMPUTE_PGM_RSRC2:TGID_Z_EN: 0
; COMPUTE_PGM_RSRC2:TIDIG_COMP_CNT: 0
; COMPUTE_PGM_RSRC3_GFX90A:ACCUM_OFFSET: 0
; COMPUTE_PGM_RSRC3_GFX90A:TG_SPLIT: 0
	.section	.text._ZN7rocprim17ROCPRIM_400000_NS6detail17trampoline_kernelINS0_14default_configENS1_25partition_config_selectorILNS1_17partition_subalgoE2EiNS0_10empty_typeEbEEZZNS1_14partition_implILS5_2ELb0ES3_jN6thrust23THRUST_200600_302600_NS6detail15normal_iteratorINSA_7pointerIiNSA_11hip_rocprim3tagENSA_11use_defaultESG_EEEEPS6_NSA_18transform_iteratorI7is_evenIiENSC_INSA_10device_ptrIiEEEESG_SG_EENS0_5tupleIJPiSJ_EEENSR_IJSJ_SJ_EEES6_PlJS6_EEE10hipError_tPvRmT3_T4_T5_T6_T7_T9_mT8_P12ihipStream_tbDpT10_ENKUlT_T0_E_clISt17integral_constantIbLb1EES1F_EEDaS1A_S1B_EUlS1A_E_NS1_11comp_targetILNS1_3genE5ELNS1_11target_archE942ELNS1_3gpuE9ELNS1_3repE0EEENS1_30default_config_static_selectorELNS0_4arch9wavefront6targetE1EEEvT1_,"axG",@progbits,_ZN7rocprim17ROCPRIM_400000_NS6detail17trampoline_kernelINS0_14default_configENS1_25partition_config_selectorILNS1_17partition_subalgoE2EiNS0_10empty_typeEbEEZZNS1_14partition_implILS5_2ELb0ES3_jN6thrust23THRUST_200600_302600_NS6detail15normal_iteratorINSA_7pointerIiNSA_11hip_rocprim3tagENSA_11use_defaultESG_EEEEPS6_NSA_18transform_iteratorI7is_evenIiENSC_INSA_10device_ptrIiEEEESG_SG_EENS0_5tupleIJPiSJ_EEENSR_IJSJ_SJ_EEES6_PlJS6_EEE10hipError_tPvRmT3_T4_T5_T6_T7_T9_mT8_P12ihipStream_tbDpT10_ENKUlT_T0_E_clISt17integral_constantIbLb1EES1F_EEDaS1A_S1B_EUlS1A_E_NS1_11comp_targetILNS1_3genE5ELNS1_11target_archE942ELNS1_3gpuE9ELNS1_3repE0EEENS1_30default_config_static_selectorELNS0_4arch9wavefront6targetE1EEEvT1_,comdat
	.protected	_ZN7rocprim17ROCPRIM_400000_NS6detail17trampoline_kernelINS0_14default_configENS1_25partition_config_selectorILNS1_17partition_subalgoE2EiNS0_10empty_typeEbEEZZNS1_14partition_implILS5_2ELb0ES3_jN6thrust23THRUST_200600_302600_NS6detail15normal_iteratorINSA_7pointerIiNSA_11hip_rocprim3tagENSA_11use_defaultESG_EEEEPS6_NSA_18transform_iteratorI7is_evenIiENSC_INSA_10device_ptrIiEEEESG_SG_EENS0_5tupleIJPiSJ_EEENSR_IJSJ_SJ_EEES6_PlJS6_EEE10hipError_tPvRmT3_T4_T5_T6_T7_T9_mT8_P12ihipStream_tbDpT10_ENKUlT_T0_E_clISt17integral_constantIbLb1EES1F_EEDaS1A_S1B_EUlS1A_E_NS1_11comp_targetILNS1_3genE5ELNS1_11target_archE942ELNS1_3gpuE9ELNS1_3repE0EEENS1_30default_config_static_selectorELNS0_4arch9wavefront6targetE1EEEvT1_ ; -- Begin function _ZN7rocprim17ROCPRIM_400000_NS6detail17trampoline_kernelINS0_14default_configENS1_25partition_config_selectorILNS1_17partition_subalgoE2EiNS0_10empty_typeEbEEZZNS1_14partition_implILS5_2ELb0ES3_jN6thrust23THRUST_200600_302600_NS6detail15normal_iteratorINSA_7pointerIiNSA_11hip_rocprim3tagENSA_11use_defaultESG_EEEEPS6_NSA_18transform_iteratorI7is_evenIiENSC_INSA_10device_ptrIiEEEESG_SG_EENS0_5tupleIJPiSJ_EEENSR_IJSJ_SJ_EEES6_PlJS6_EEE10hipError_tPvRmT3_T4_T5_T6_T7_T9_mT8_P12ihipStream_tbDpT10_ENKUlT_T0_E_clISt17integral_constantIbLb1EES1F_EEDaS1A_S1B_EUlS1A_E_NS1_11comp_targetILNS1_3genE5ELNS1_11target_archE942ELNS1_3gpuE9ELNS1_3repE0EEENS1_30default_config_static_selectorELNS0_4arch9wavefront6targetE1EEEvT1_
	.globl	_ZN7rocprim17ROCPRIM_400000_NS6detail17trampoline_kernelINS0_14default_configENS1_25partition_config_selectorILNS1_17partition_subalgoE2EiNS0_10empty_typeEbEEZZNS1_14partition_implILS5_2ELb0ES3_jN6thrust23THRUST_200600_302600_NS6detail15normal_iteratorINSA_7pointerIiNSA_11hip_rocprim3tagENSA_11use_defaultESG_EEEEPS6_NSA_18transform_iteratorI7is_evenIiENSC_INSA_10device_ptrIiEEEESG_SG_EENS0_5tupleIJPiSJ_EEENSR_IJSJ_SJ_EEES6_PlJS6_EEE10hipError_tPvRmT3_T4_T5_T6_T7_T9_mT8_P12ihipStream_tbDpT10_ENKUlT_T0_E_clISt17integral_constantIbLb1EES1F_EEDaS1A_S1B_EUlS1A_E_NS1_11comp_targetILNS1_3genE5ELNS1_11target_archE942ELNS1_3gpuE9ELNS1_3repE0EEENS1_30default_config_static_selectorELNS0_4arch9wavefront6targetE1EEEvT1_
	.p2align	8
	.type	_ZN7rocprim17ROCPRIM_400000_NS6detail17trampoline_kernelINS0_14default_configENS1_25partition_config_selectorILNS1_17partition_subalgoE2EiNS0_10empty_typeEbEEZZNS1_14partition_implILS5_2ELb0ES3_jN6thrust23THRUST_200600_302600_NS6detail15normal_iteratorINSA_7pointerIiNSA_11hip_rocprim3tagENSA_11use_defaultESG_EEEEPS6_NSA_18transform_iteratorI7is_evenIiENSC_INSA_10device_ptrIiEEEESG_SG_EENS0_5tupleIJPiSJ_EEENSR_IJSJ_SJ_EEES6_PlJS6_EEE10hipError_tPvRmT3_T4_T5_T6_T7_T9_mT8_P12ihipStream_tbDpT10_ENKUlT_T0_E_clISt17integral_constantIbLb1EES1F_EEDaS1A_S1B_EUlS1A_E_NS1_11comp_targetILNS1_3genE5ELNS1_11target_archE942ELNS1_3gpuE9ELNS1_3repE0EEENS1_30default_config_static_selectorELNS0_4arch9wavefront6targetE1EEEvT1_,@function
_ZN7rocprim17ROCPRIM_400000_NS6detail17trampoline_kernelINS0_14default_configENS1_25partition_config_selectorILNS1_17partition_subalgoE2EiNS0_10empty_typeEbEEZZNS1_14partition_implILS5_2ELb0ES3_jN6thrust23THRUST_200600_302600_NS6detail15normal_iteratorINSA_7pointerIiNSA_11hip_rocprim3tagENSA_11use_defaultESG_EEEEPS6_NSA_18transform_iteratorI7is_evenIiENSC_INSA_10device_ptrIiEEEESG_SG_EENS0_5tupleIJPiSJ_EEENSR_IJSJ_SJ_EEES6_PlJS6_EEE10hipError_tPvRmT3_T4_T5_T6_T7_T9_mT8_P12ihipStream_tbDpT10_ENKUlT_T0_E_clISt17integral_constantIbLb1EES1F_EEDaS1A_S1B_EUlS1A_E_NS1_11comp_targetILNS1_3genE5ELNS1_11target_archE942ELNS1_3gpuE9ELNS1_3repE0EEENS1_30default_config_static_selectorELNS0_4arch9wavefront6targetE1EEEvT1_: ; @_ZN7rocprim17ROCPRIM_400000_NS6detail17trampoline_kernelINS0_14default_configENS1_25partition_config_selectorILNS1_17partition_subalgoE2EiNS0_10empty_typeEbEEZZNS1_14partition_implILS5_2ELb0ES3_jN6thrust23THRUST_200600_302600_NS6detail15normal_iteratorINSA_7pointerIiNSA_11hip_rocprim3tagENSA_11use_defaultESG_EEEEPS6_NSA_18transform_iteratorI7is_evenIiENSC_INSA_10device_ptrIiEEEESG_SG_EENS0_5tupleIJPiSJ_EEENSR_IJSJ_SJ_EEES6_PlJS6_EEE10hipError_tPvRmT3_T4_T5_T6_T7_T9_mT8_P12ihipStream_tbDpT10_ENKUlT_T0_E_clISt17integral_constantIbLb1EES1F_EEDaS1A_S1B_EUlS1A_E_NS1_11comp_targetILNS1_3genE5ELNS1_11target_archE942ELNS1_3gpuE9ELNS1_3repE0EEENS1_30default_config_static_selectorELNS0_4arch9wavefront6targetE1EEEvT1_
; %bb.0:
	s_load_dwordx2 s[2:3], s[0:1], 0x20
	s_load_dwordx2 s[28:29], s[0:1], 0x30
	;; [unrolled: 1-line block ×3, first 2 shown]
	s_load_dwordx4 s[20:23], s[0:1], 0x50
	s_load_dwordx2 s[36:37], s[0:1], 0x70
	v_cmp_eq_u32_e64 s[18:19], 0, v0
	s_and_saveexec_b64 s[4:5], s[18:19]
	s_cbranch_execz .LBB232_4
; %bb.1:
	s_mov_b64 s[8:9], exec
	v_mbcnt_lo_u32_b32 v1, s8, 0
	v_mbcnt_hi_u32_b32 v1, s9, v1
	v_cmp_eq_u32_e32 vcc, 0, v1
                                        ; implicit-def: $vgpr2
	s_and_saveexec_b64 s[6:7], vcc
	s_cbranch_execz .LBB232_3
; %bb.2:
	s_load_dwordx2 s[10:11], s[0:1], 0x80
	s_bcnt1_i32_b64 s8, s[8:9]
	v_mov_b32_e32 v2, 0
	v_mov_b32_e32 v3, s8
	s_waitcnt lgkmcnt(0)
	global_atomic_add v2, v2, v3, s[10:11] sc0
.LBB232_3:
	s_or_b64 exec, exec, s[6:7]
	s_waitcnt vmcnt(0)
	v_readfirstlane_b32 s6, v2
	v_mov_b32_e32 v2, 0
	s_nop 0
	v_add_u32_e32 v1, s6, v1
	ds_write_b32 v2, v1
.LBB232_4:
	s_or_b64 exec, exec, s[4:5]
	v_mov_b32_e32 v23, 0
	s_load_dwordx4 s[24:27], s[0:1], 0x8
	s_load_dword s6, s[0:1], 0x78
	s_waitcnt lgkmcnt(0)
	s_barrier
	ds_read_b32 v1, v23
	s_waitcnt lgkmcnt(0)
	s_barrier
	global_load_dwordx2 v[24:25], v23, s[22:23]
	s_lshl_b64 s[4:5], s[26:27], 2
	s_add_u32 s8, s24, s4
	s_mul_i32 s0, s6, 0x1e00
	s_addc_u32 s9, s25, s5
	s_add_i32 s1, s0, s26
	s_sub_i32 s33, s30, s1
	s_add_i32 s7, s6, -1
	s_addk_i32 s33, 0x1e00
	s_add_u32 s0, s26, s0
	v_readfirstlane_b32 s42, v1
	s_addc_u32 s1, s27, 0
	s_cmp_eq_u32 s42, s7
	v_mov_b64_e32 v[2:3], s[30:31]
	s_cselect_b64 s[22:23], -1, 0
	s_cmp_lg_u32 s42, s7
	s_mul_i32 s24, s42, 0x1e00
	s_mov_b32 s25, 0
	v_cmp_lt_u64_e32 vcc, s[0:1], v[2:3]
	s_cselect_b64 s[0:1], -1, 0
	s_or_b64 s[34:35], vcc, s[0:1]
	s_lshl_b64 s[6:7], s[24:25], 2
	s_add_u32 s8, s8, s6
	s_addc_u32 s9, s9, s7
	s_mov_b64 s[0:1], -1
	s_and_b64 vcc, exec, s[34:35]
	v_lshlrev_b32_e32 v22, 2, v0
	s_cbranch_vccz .LBB232_6
; %bb.5:
	v_lshl_add_u64 v[2:3], s[8:9], 0, v[22:23]
	v_add_co_u32_e32 v4, vcc, 0x1000, v2
	s_mov_b64 s[0:1], 0
	s_nop 0
	v_addc_co_u32_e32 v5, vcc, 0, v3, vcc
	v_add_co_u32_e32 v6, vcc, 0x2000, v2
	s_nop 1
	v_addc_co_u32_e32 v7, vcc, 0, v3, vcc
	v_add_co_u32_e32 v8, vcc, 0x3000, v2
	s_nop 1
	v_addc_co_u32_e32 v9, vcc, 0, v3, vcc
	flat_load_dword v1, v[2:3]
	flat_load_dword v10, v[2:3] offset:2048
	flat_load_dword v11, v[4:5]
	flat_load_dword v12, v[4:5] offset:2048
	;; [unrolled: 2-line block ×4, first 2 shown]
	v_add_co_u32_e32 v4, vcc, 0x4000, v2
	s_nop 1
	v_addc_co_u32_e32 v5, vcc, 0, v3, vcc
	v_add_co_u32_e32 v6, vcc, 0x5000, v2
	s_nop 1
	v_addc_co_u32_e32 v7, vcc, 0, v3, vcc
	;; [unrolled: 3-line block ×4, first 2 shown]
	flat_load_dword v17, v[4:5]
	flat_load_dword v18, v[4:5] offset:2048
	flat_load_dword v19, v[6:7]
	flat_load_dword v20, v[6:7] offset:2048
	;; [unrolled: 2-line block ×3, first 2 shown]
	flat_load_dword v26, v[2:3]
	s_waitcnt vmcnt(0) lgkmcnt(0)
	ds_write2st64_b32 v22, v1, v10 offset1:8
	ds_write2st64_b32 v22, v11, v12 offset0:16 offset1:24
	ds_write2st64_b32 v22, v13, v14 offset0:32 offset1:40
	;; [unrolled: 1-line block ×6, first 2 shown]
	ds_write_b32 v22, v26 offset:28672
	s_waitcnt lgkmcnt(0)
	s_barrier
.LBB232_6:
	s_andn2_b64 vcc, exec, s[0:1]
	v_cmp_gt_u32_e64 s[0:1], s33, v0
	s_cbranch_vccnz .LBB232_38
; %bb.7:
                                        ; implicit-def: $vgpr2_vgpr3_vgpr4_vgpr5_vgpr6_vgpr7_vgpr8_vgpr9_vgpr10_vgpr11_vgpr12_vgpr13_vgpr14_vgpr15_vgpr16_vgpr17
	s_and_saveexec_b64 s[10:11], s[0:1]
	s_cbranch_execz .LBB232_9
; %bb.8:
	v_mov_b32_e32 v23, 0
	v_lshl_add_u64 v[2:3], s[8:9], 0, v[22:23]
	flat_load_dword v2, v[2:3]
.LBB232_9:
	s_or_b64 exec, exec, s[10:11]
	v_or_b32_e32 v1, 0x200, v0
	v_cmp_gt_u32_e32 vcc, s33, v1
	s_and_saveexec_b64 s[0:1], vcc
	s_cbranch_execz .LBB232_11
; %bb.10:
	v_mov_b32_e32 v23, 0
	v_lshl_add_u64 v[18:19], s[8:9], 0, v[22:23]
	flat_load_dword v3, v[18:19] offset:2048
.LBB232_11:
	s_or_b64 exec, exec, s[0:1]
	v_or_b32_e32 v1, 0x400, v0
	v_cmp_gt_u32_e32 vcc, s33, v1
	s_and_saveexec_b64 s[0:1], vcc
	s_cbranch_execz .LBB232_13
; %bb.12:
	v_lshlrev_b32_e32 v18, 2, v1
	v_mov_b32_e32 v19, 0
	v_lshl_add_u64 v[18:19], s[8:9], 0, v[18:19]
	flat_load_dword v4, v[18:19]
.LBB232_13:
	s_or_b64 exec, exec, s[0:1]
	v_or_b32_e32 v1, 0x600, v0
	v_cmp_gt_u32_e32 vcc, s33, v1
	s_and_saveexec_b64 s[0:1], vcc
	s_cbranch_execz .LBB232_15
; %bb.14:
	v_lshlrev_b32_e32 v18, 2, v1
	v_mov_b32_e32 v19, 0
	v_lshl_add_u64 v[18:19], s[8:9], 0, v[18:19]
	flat_load_dword v5, v[18:19]
.LBB232_15:
	;; [unrolled: 11-line block ×13, first 2 shown]
	s_or_b64 exec, exec, s[0:1]
	s_waitcnt vmcnt(0) lgkmcnt(0)
	ds_write2st64_b32 v22, v2, v3 offset1:8
	ds_write2st64_b32 v22, v4, v5 offset0:16 offset1:24
	ds_write2st64_b32 v22, v6, v7 offset0:32 offset1:40
	;; [unrolled: 1-line block ×6, first 2 shown]
	ds_write_b32 v22, v16 offset:28672
	s_waitcnt lgkmcnt(0)
	s_barrier
.LBB232_38:
	v_mul_u32_u24_e32 v21, 15, v0
	v_lshlrev_b32_e32 v1, 2, v21
	ds_read2_b32 v[40:41], v1 offset1:1
	ds_read2_b32 v[38:39], v1 offset0:2 offset1:3
	ds_read2_b32 v[36:37], v1 offset0:4 offset1:5
	;; [unrolled: 1-line block ×6, first 2 shown]
	ds_read_b32 v1, v1 offset:56
	s_add_u32 s0, s2, s4
	s_addc_u32 s1, s3, s5
	s_add_u32 s0, s0, s6
	s_addc_u32 s1, s1, s7
	s_mov_b64 s[2:3], -1
	s_and_b64 vcc, exec, s[34:35]
	s_waitcnt lgkmcnt(0)
	s_barrier
	s_cbranch_vccz .LBB232_40
; %bb.39:
	v_mov_b32_e32 v23, 0
	v_lshl_add_u64 v[2:3], s[0:1], 0, v[22:23]
	v_add_co_u32_e32 v4, vcc, 0x1000, v2
	global_load_dword v10, v22, s[0:1]
	global_load_dword v11, v22, s[0:1] offset:2048
	v_addc_co_u32_e32 v5, vcc, 0, v3, vcc
	v_add_co_u32_e32 v6, vcc, 0x2000, v2
	s_mov_b64 s[2:3], 0
	s_nop 0
	v_addc_co_u32_e32 v7, vcc, 0, v3, vcc
	v_add_co_u32_e32 v8, vcc, 0x3000, v2
	s_nop 1
	v_addc_co_u32_e32 v9, vcc, 0, v3, vcc
	global_load_dword v12, v[4:5], off
	global_load_dword v13, v[4:5], off offset:2048
	global_load_dword v14, v[6:7], off
	global_load_dword v15, v[6:7], off offset:2048
	;; [unrolled: 2-line block ×3, first 2 shown]
	v_add_co_u32_e32 v4, vcc, 0x4000, v2
	s_nop 1
	v_addc_co_u32_e32 v5, vcc, 0, v3, vcc
	global_load_dword v6, v[4:5], off
	global_load_dword v7, v[4:5], off offset:2048
	v_add_co_u32_e32 v4, vcc, 0x5000, v2
	s_waitcnt vmcnt(1)
	v_xor_b32_e32 v6, -1, v6
	v_addc_co_u32_e32 v5, vcc, 0, v3, vcc
	global_load_dword v8, v[4:5], off
	global_load_dword v9, v[4:5], off offset:2048
	v_add_co_u32_e32 v4, vcc, 0x6000, v2
	s_waitcnt vmcnt(2)
	v_xor_b32_e32 v7, -1, v7
	v_addc_co_u32_e32 v5, vcc, 0, v3, vcc
	v_add_co_u32_e32 v2, vcc, 0x7000, v2
	global_load_dword v18, v[4:5], off
	global_load_dword v19, v[4:5], off offset:2048
	v_addc_co_u32_e32 v3, vcc, 0, v3, vcc
	global_load_dword v2, v[2:3], off
	v_xor_b32_e32 v3, -1, v10
	v_xor_b32_e32 v4, -1, v11
	v_and_b32_e32 v3, 1, v3
	v_and_b32_e32 v4, 1, v4
	ds_write_b8 v0, v3
	ds_write_b8 v0, v4 offset:512
	v_xor_b32_e32 v3, -1, v12
	v_xor_b32_e32 v4, -1, v13
	;; [unrolled: 1-line block ×3, first 2 shown]
	v_and_b32_e32 v3, 1, v3
	v_and_b32_e32 v4, 1, v4
	v_xor_b32_e32 v10, -1, v15
	v_and_b32_e32 v5, 1, v5
	v_xor_b32_e32 v11, -1, v16
	v_xor_b32_e32 v12, -1, v17
	v_and_b32_e32 v10, 1, v10
	ds_write_b8 v0, v3 offset:1024
	ds_write_b8 v0, v4 offset:1536
	v_and_b32_e32 v3, 1, v11
	v_and_b32_e32 v4, 1, v12
	ds_write_b8 v0, v5 offset:2048
	ds_write_b8 v0, v10 offset:2560
	v_and_b32_e32 v5, 1, v6
	v_and_b32_e32 v6, 1, v7
	ds_write_b8 v0, v3 offset:3072
	ds_write_b8 v0, v4 offset:3584
	;; [unrolled: 1-line block ×4, first 2 shown]
	s_waitcnt vmcnt(4)
	v_xor_b32_e32 v7, -1, v8
	s_waitcnt vmcnt(3)
	v_xor_b32_e32 v8, -1, v9
	v_and_b32_e32 v3, 1, v7
	v_and_b32_e32 v4, 1, v8
	s_waitcnt vmcnt(2)
	v_xor_b32_e32 v7, -1, v18
	s_waitcnt vmcnt(1)
	v_xor_b32_e32 v8, -1, v19
	v_and_b32_e32 v5, 1, v7
	v_and_b32_e32 v6, 1, v8
	s_waitcnt vmcnt(0)
	v_xor_b32_e32 v2, -1, v2
	v_and_b32_e32 v2, 1, v2
	ds_write_b8 v0, v3 offset:5120
	ds_write_b8 v0, v4 offset:5632
	;; [unrolled: 1-line block ×5, first 2 shown]
	s_waitcnt lgkmcnt(0)
	s_barrier
.LBB232_40:
	s_andn2_b64 vcc, exec, s[2:3]
	s_cbranch_vccnz .LBB232_72
; %bb.41:
	v_cmp_gt_u32_e32 vcc, s33, v0
	v_mov_b32_e32 v2, 0
	v_mov_b32_e32 v3, 0
	s_and_saveexec_b64 s[2:3], vcc
	s_cbranch_execz .LBB232_43
; %bb.42:
	global_load_dword v3, v22, s[0:1]
	s_waitcnt vmcnt(0)
	v_xor_b32_e32 v3, -1, v3
	v_and_b32_e32 v3, 1, v3
.LBB232_43:
	s_or_b64 exec, exec, s[2:3]
	v_or_b32_e32 v4, 0x200, v0
	v_cmp_gt_u32_e32 vcc, s33, v4
	s_and_saveexec_b64 s[2:3], vcc
	s_cbranch_execz .LBB232_45
; %bb.44:
	global_load_dword v2, v22, s[0:1] offset:2048
	s_waitcnt vmcnt(0)
	v_xor_b32_e32 v2, -1, v2
	v_and_b32_e32 v2, 1, v2
.LBB232_45:
	s_or_b64 exec, exec, s[2:3]
	v_or_b32_e32 v6, 0x400, v0
	v_cmp_gt_u32_e32 vcc, s33, v6
	v_mov_b32_e32 v4, 0
	v_mov_b32_e32 v5, 0
	s_and_saveexec_b64 s[2:3], vcc
	s_cbranch_execz .LBB232_47
; %bb.46:
	v_lshlrev_b32_e32 v5, 2, v6
	global_load_dword v5, v5, s[0:1]
	s_waitcnt vmcnt(0)
	v_xor_b32_e32 v5, -1, v5
	v_and_b32_e32 v5, 1, v5
.LBB232_47:
	s_or_b64 exec, exec, s[2:3]
	v_or_b32_e32 v6, 0x600, v0
	v_cmp_gt_u32_e32 vcc, s33, v6
	s_and_saveexec_b64 s[2:3], vcc
	s_cbranch_execz .LBB232_49
; %bb.48:
	v_lshlrev_b32_e32 v4, 2, v6
	global_load_dword v4, v4, s[0:1]
	s_waitcnt vmcnt(0)
	v_xor_b32_e32 v4, -1, v4
	v_and_b32_e32 v4, 1, v4
.LBB232_49:
	s_or_b64 exec, exec, s[2:3]
	v_or_b32_e32 v8, 0x800, v0
	v_cmp_gt_u32_e32 vcc, s33, v8
	v_mov_b32_e32 v6, 0
	v_mov_b32_e32 v7, 0
	s_and_saveexec_b64 s[2:3], vcc
	s_cbranch_execz .LBB232_51
; %bb.50:
	v_lshlrev_b32_e32 v7, 2, v8
	global_load_dword v7, v7, s[0:1]
	s_waitcnt vmcnt(0)
	v_xor_b32_e32 v7, -1, v7
	v_and_b32_e32 v7, 1, v7
.LBB232_51:
	s_or_b64 exec, exec, s[2:3]
	v_or_b32_e32 v8, 0xa00, v0
	v_cmp_gt_u32_e32 vcc, s33, v8
	s_and_saveexec_b64 s[2:3], vcc
	s_cbranch_execz .LBB232_53
; %bb.52:
	v_lshlrev_b32_e32 v6, 2, v8
	global_load_dword v6, v6, s[0:1]
	s_waitcnt vmcnt(0)
	v_xor_b32_e32 v6, -1, v6
	v_and_b32_e32 v6, 1, v6
.LBB232_53:
	;; [unrolled: 26-line block ×6, first 2 shown]
	s_or_b64 exec, exec, s[2:3]
	v_or_b32_e32 v17, 0x1c00, v0
	v_cmp_gt_u32_e32 vcc, s33, v17
	v_mov_b32_e32 v16, 0
	s_and_saveexec_b64 s[2:3], vcc
	s_cbranch_execz .LBB232_71
; %bb.70:
	v_lshlrev_b32_e32 v16, 2, v17
	global_load_dword v16, v16, s[0:1]
	s_waitcnt vmcnt(0)
	v_xor_b32_e32 v16, -1, v16
	v_and_b32_e32 v16, 1, v16
.LBB232_71:
	s_or_b64 exec, exec, s[2:3]
	ds_write_b8 v0, v3
	ds_write_b8 v0, v2 offset:512
	ds_write_b8 v0, v5 offset:1024
	;; [unrolled: 1-line block ×14, first 2 shown]
	s_waitcnt lgkmcnt(0)
	s_barrier
.LBB232_72:
	ds_read_b96 v[18:20], v21
	ds_read_u8 v2, v21 offset:12
	ds_read_u8 v3, v21 offset:13
	;; [unrolled: 1-line block ×3, first 2 shown]
	s_cmp_lg_u32 s42, 0
	v_lshrrev_b32_e32 v58, 6, v0
	s_waitcnt lgkmcnt(2)
	v_and_b32_e32 v44, 1, v2
	v_and_b32_e32 v53, 0xff, v18
	v_bfe_u32 v55, v18, 8, 8
	v_bfe_u32 v56, v18, 16, 8
	v_lshrrev_b32_e32 v46, 24, v18
	v_and_b32_e32 v50, 0xff, v19
	v_add3_u32 v2, v55, v53, v56
	v_bfe_u32 v51, v19, 8, 8
	v_bfe_u32 v52, v19, 16, 8
	v_add3_u32 v2, v2, v46, v50
	v_lshrrev_b32_e32 v45, 24, v19
	v_and_b32_e32 v47, 0xff, v20
	v_add3_u32 v2, v2, v51, v52
	v_bfe_u32 v48, v20, 8, 8
	v_bfe_u32 v49, v20, 16, 8
	v_add3_u32 v2, v2, v45, v47
	v_lshrrev_b32_e32 v43, 24, v20
	v_add3_u32 v2, v2, v48, v49
	s_waitcnt lgkmcnt(1)
	v_and_b32_e32 v42, 1, v3
	s_waitcnt lgkmcnt(0)
	v_and_b32_e32 v23, 1, v4
	v_add3_u32 v2, v2, v43, v44
	v_add3_u32 v59, v2, v42, v23
	v_mbcnt_lo_u32_b32 v2, -1, 0
	v_mbcnt_hi_u32_b32 v57, -1, v2
	v_and_b32_e32 v2, 15, v57
	v_cmp_eq_u32_e64 s[14:15], 0, v2
	v_cmp_lt_u32_e64 s[12:13], 1, v2
	v_cmp_lt_u32_e64 s[10:11], 3, v2
	;; [unrolled: 1-line block ×3, first 2 shown]
	v_and_b32_e32 v2, 16, v57
	v_cmp_eq_u32_e64 s[6:7], 0, v2
	v_or_b32_e32 v2, 63, v0
	v_cmp_lt_u32_e64 s[2:3], 31, v57
	v_cmp_eq_u32_e64 s[4:5], v2, v0
	s_barrier
	s_cbranch_scc0 .LBB232_103
; %bb.73:
	v_mov_b32_dpp v2, v59 row_shr:1 row_mask:0xf bank_mask:0xf
	v_cndmask_b32_e64 v2, v2, 0, s[14:15]
	v_add_u32_e32 v2, v2, v59
	s_nop 1
	v_mov_b32_dpp v3, v2 row_shr:2 row_mask:0xf bank_mask:0xf
	v_cndmask_b32_e64 v3, 0, v3, s[12:13]
	v_add_u32_e32 v2, v2, v3
	s_nop 1
	;; [unrolled: 4-line block ×4, first 2 shown]
	v_mov_b32_dpp v3, v2 row_bcast:15 row_mask:0xf bank_mask:0xf
	v_cndmask_b32_e64 v3, v3, 0, s[6:7]
	v_add_u32_e32 v2, v2, v3
	s_nop 1
	v_mov_b32_dpp v3, v2 row_bcast:31 row_mask:0xf bank_mask:0xf
	v_cndmask_b32_e64 v3, 0, v3, s[2:3]
	v_add_u32_e32 v2, v2, v3
	s_and_saveexec_b64 s[0:1], s[4:5]
	s_cbranch_execz .LBB232_75
; %bb.74:
	v_lshlrev_b32_e32 v3, 2, v58
	ds_write_b32 v3, v2
.LBB232_75:
	s_or_b64 exec, exec, s[0:1]
	v_cmp_gt_u32_e32 vcc, 8, v0
	s_waitcnt lgkmcnt(0)
	s_barrier
	s_and_saveexec_b64 s[0:1], vcc
	s_cbranch_execz .LBB232_77
; %bb.76:
	ds_read_b32 v3, v22
	v_and_b32_e32 v4, 7, v57
	v_cmp_ne_u32_e32 vcc, 0, v4
	s_waitcnt lgkmcnt(0)
	v_mov_b32_dpp v5, v3 row_shr:1 row_mask:0xf bank_mask:0xf
	v_cndmask_b32_e32 v5, 0, v5, vcc
	v_add_u32_e32 v3, v5, v3
	v_cmp_lt_u32_e32 vcc, 1, v4
	s_nop 0
	v_mov_b32_dpp v5, v3 row_shr:2 row_mask:0xf bank_mask:0xf
	v_cndmask_b32_e32 v5, 0, v5, vcc
	v_add_u32_e32 v3, v3, v5
	v_cmp_lt_u32_e32 vcc, 3, v4
	s_nop 0
	v_mov_b32_dpp v5, v3 row_shr:4 row_mask:0xf bank_mask:0xf
	v_cndmask_b32_e32 v4, 0, v5, vcc
	v_add_u32_e32 v3, v3, v4
	ds_write_b32 v22, v3
.LBB232_77:
	s_or_b64 exec, exec, s[0:1]
	v_cmp_gt_u32_e32 vcc, 64, v0
	v_cmp_lt_u32_e64 s[0:1], 63, v0
	s_waitcnt lgkmcnt(0)
	s_barrier
	s_waitcnt lgkmcnt(0)
                                        ; implicit-def: $vgpr12
	s_and_saveexec_b64 s[16:17], s[0:1]
	s_cbranch_execz .LBB232_79
; %bb.78:
	v_lshl_add_u32 v3, v58, 2, -4
	ds_read_b32 v12, v3
	s_waitcnt lgkmcnt(0)
	v_add_u32_e32 v2, v12, v2
.LBB232_79:
	s_or_b64 exec, exec, s[16:17]
	v_add_u32_e32 v3, -1, v57
	v_and_b32_e32 v4, 64, v57
	v_cmp_lt_i32_e64 s[0:1], v3, v4
	v_cmp_eq_u32_e64 s[16:17], 0, v57
	s_nop 0
	v_cndmask_b32_e64 v3, v3, v57, s[0:1]
	v_lshlrev_b32_e32 v3, 2, v3
	ds_bpermute_b32 v13, v3, v2
	s_and_saveexec_b64 s[0:1], vcc
	s_cbranch_execz .LBB232_102
; %bb.80:
	v_mov_b32_e32 v11, 0
	ds_read_b32 v2, v11 offset:28
	s_and_saveexec_b64 s[38:39], s[16:17]
	s_cbranch_execz .LBB232_82
; %bb.81:
	s_add_i32 s40, s42, 64
	s_mov_b32 s41, 0
	s_lshl_b64 s[40:41], s[40:41], 3
	s_add_u32 s40, s36, s40
	v_mov_b32_e32 v3, 1
	s_addc_u32 s41, s37, s41
	s_waitcnt lgkmcnt(0)
	global_store_dwordx2 v11, v[2:3], s[40:41] sc1
.LBB232_82:
	s_or_b64 exec, exec, s[38:39]
	v_xad_u32 v4, v57, -1, s42
	v_add_u32_e32 v10, 64, v4
	v_lshl_add_u64 v[6:7], v[10:11], 3, s[36:37]
	global_load_dwordx2 v[8:9], v[6:7], off sc1
	s_waitcnt vmcnt(0)
	v_cmp_eq_u16_sdwa s[40:41], v9, v11 src0_sel:BYTE_0 src1_sel:DWORD
	s_and_saveexec_b64 s[38:39], s[40:41]
	s_cbranch_execz .LBB232_88
; %bb.83:
	s_mov_b32 s25, 1
	s_mov_b64 s[40:41], 0
	v_mov_b32_e32 v3, 0
.LBB232_84:                             ; =>This Loop Header: Depth=1
                                        ;     Child Loop BB232_85 Depth 2
	s_max_u32 s43, s25, 1
.LBB232_85:                             ;   Parent Loop BB232_84 Depth=1
                                        ; =>  This Inner Loop Header: Depth=2
	s_add_i32 s43, s43, -1
	s_cmp_eq_u32 s43, 0
	s_sleep 1
	s_cbranch_scc0 .LBB232_85
; %bb.86:                               ;   in Loop: Header=BB232_84 Depth=1
	global_load_dwordx2 v[8:9], v[6:7], off sc1
	s_cmp_lt_u32 s25, 32
	s_cselect_b64 s[44:45], -1, 0
	s_cmp_lg_u64 s[44:45], 0
	s_addc_u32 s25, s25, 0
	s_waitcnt vmcnt(0)
	v_cmp_ne_u16_sdwa s[44:45], v9, v3 src0_sel:BYTE_0 src1_sel:DWORD
	s_or_b64 s[40:41], s[44:45], s[40:41]
	s_andn2_b64 exec, exec, s[40:41]
	s_cbranch_execnz .LBB232_84
; %bb.87:
	s_or_b64 exec, exec, s[40:41]
.LBB232_88:
	s_or_b64 exec, exec, s[38:39]
	v_and_b32_e32 v15, 63, v57
	v_mov_b32_e32 v14, 2
	v_cmp_ne_u32_e32 vcc, 63, v15
	v_cmp_eq_u16_sdwa s[38:39], v9, v14 src0_sel:BYTE_0 src1_sel:DWORD
	v_lshlrev_b64 v[6:7], v57, -1
	v_addc_co_u32_e32 v10, vcc, 0, v57, vcc
	v_and_b32_e32 v3, s39, v7
	v_lshlrev_b32_e32 v16, 2, v10
	v_or_b32_e32 v3, 0x80000000, v3
	ds_bpermute_b32 v10, v16, v8
	v_and_b32_e32 v5, s38, v6
	v_ffbl_b32_e32 v3, v3
	v_add_u32_e32 v3, 32, v3
	v_ffbl_b32_e32 v5, v5
	v_min_u32_e32 v3, v5, v3
	v_cmp_lt_u32_e32 vcc, v15, v3
	v_add_u32_e32 v26, 2, v15
	v_add_u32_e32 v54, 4, v15
	s_waitcnt lgkmcnt(0)
	v_cndmask_b32_e32 v5, 0, v10, vcc
	v_cmp_gt_u32_e32 vcc, 62, v15
	v_add_u32_e32 v5, v5, v8
	v_add_u32_e32 v61, 8, v15
	v_cndmask_b32_e64 v8, 0, 1, vcc
	v_lshlrev_b32_e32 v8, 1, v8
	v_add_lshl_u32 v17, v8, v57, 2
	ds_bpermute_b32 v8, v17, v5
	v_cmp_le_u32_e32 vcc, v26, v3
	v_add_u32_e32 v63, 16, v15
	v_add_u32_e32 v65, 32, v15
	s_waitcnt lgkmcnt(0)
	v_cndmask_b32_e32 v8, 0, v8, vcc
	v_cmp_gt_u32_e32 vcc, 60, v15
	v_add_u32_e32 v5, v5, v8
	s_nop 0
	v_cndmask_b32_e64 v8, 0, 1, vcc
	v_lshlrev_b32_e32 v8, 2, v8
	v_add_lshl_u32 v27, v8, v57, 2
	ds_bpermute_b32 v8, v27, v5
	v_cmp_le_u32_e32 vcc, v54, v3
	s_waitcnt lgkmcnt(0)
	s_nop 0
	v_cndmask_b32_e32 v8, 0, v8, vcc
	v_cmp_gt_u32_e32 vcc, 56, v15
	v_add_u32_e32 v5, v5, v8
	s_nop 0
	v_cndmask_b32_e64 v8, 0, 1, vcc
	v_lshlrev_b32_e32 v8, 3, v8
	v_add_lshl_u32 v60, v8, v57, 2
	ds_bpermute_b32 v8, v60, v5
	v_cmp_le_u32_e32 vcc, v61, v3
	s_waitcnt lgkmcnt(0)
	s_nop 0
	;; [unrolled: 11-line block ×4, first 2 shown]
	v_cndmask_b32_e32 v3, 0, v8, vcc
	v_add_u32_e32 v8, v5, v3
	v_mov_b32_e32 v5, 0
	s_branch .LBB232_90
.LBB232_89:                             ;   in Loop: Header=BB232_90 Depth=1
	s_or_b64 exec, exec, s[38:39]
	v_cmp_eq_u16_sdwa s[38:39], v9, v14 src0_sel:BYTE_0 src1_sel:DWORD
	ds_bpermute_b32 v66, v16, v8
	v_subrev_u32_e32 v4, 64, v4
	v_and_b32_e32 v10, s39, v7
	v_or_b32_e32 v10, 0x80000000, v10
	v_and_b32_e32 v11, s38, v6
	v_ffbl_b32_e32 v10, v10
	v_add_u32_e32 v10, 32, v10
	v_ffbl_b32_e32 v11, v11
	v_min_u32_e32 v10, v11, v10
	v_cmp_lt_u32_e32 vcc, v15, v10
	s_waitcnt lgkmcnt(0)
	s_nop 0
	v_cndmask_b32_e32 v11, 0, v66, vcc
	v_add_u32_e32 v8, v11, v8
	ds_bpermute_b32 v11, v17, v8
	v_cmp_le_u32_e32 vcc, v26, v10
	s_waitcnt lgkmcnt(0)
	s_nop 0
	v_cndmask_b32_e32 v11, 0, v11, vcc
	v_add_u32_e32 v8, v8, v11
	ds_bpermute_b32 v11, v27, v8
	v_cmp_le_u32_e32 vcc, v54, v10
	;; [unrolled: 6-line block ×5, first 2 shown]
	s_waitcnt lgkmcnt(0)
	s_nop 0
	v_cndmask_b32_e32 v10, 0, v11, vcc
	v_add3_u32 v8, v10, v3, v8
.LBB232_90:                             ; =>This Loop Header: Depth=1
                                        ;     Child Loop BB232_93 Depth 2
                                        ;       Child Loop BB232_94 Depth 3
	v_cmp_ne_u16_sdwa s[38:39], v9, v14 src0_sel:BYTE_0 src1_sel:DWORD
	s_nop 1
	v_cndmask_b32_e64 v3, 0, 1, s[38:39]
	;;#ASMSTART
	;;#ASMEND
	s_nop 0
	v_cmp_ne_u32_e32 vcc, 0, v3
	s_cmp_lg_u64 vcc, exec
	v_mov_b32_e32 v3, v8
	s_cbranch_scc1 .LBB232_97
; %bb.91:                               ;   in Loop: Header=BB232_90 Depth=1
	v_lshl_add_u64 v[10:11], v[4:5], 3, s[36:37]
	global_load_dwordx2 v[8:9], v[10:11], off sc1
	s_waitcnt vmcnt(0)
	v_cmp_eq_u16_sdwa s[40:41], v9, v5 src0_sel:BYTE_0 src1_sel:DWORD
	s_and_saveexec_b64 s[38:39], s[40:41]
	s_cbranch_execz .LBB232_89
; %bb.92:                               ;   in Loop: Header=BB232_90 Depth=1
	s_mov_b32 s25, 1
	s_mov_b64 s[40:41], 0
.LBB232_93:                             ;   Parent Loop BB232_90 Depth=1
                                        ; =>  This Loop Header: Depth=2
                                        ;       Child Loop BB232_94 Depth 3
	s_max_u32 s43, s25, 1
.LBB232_94:                             ;   Parent Loop BB232_90 Depth=1
                                        ;     Parent Loop BB232_93 Depth=2
                                        ; =>    This Inner Loop Header: Depth=3
	s_add_i32 s43, s43, -1
	s_cmp_eq_u32 s43, 0
	s_sleep 1
	s_cbranch_scc0 .LBB232_94
; %bb.95:                               ;   in Loop: Header=BB232_93 Depth=2
	global_load_dwordx2 v[8:9], v[10:11], off sc1
	s_cmp_lt_u32 s25, 32
	s_cselect_b64 s[44:45], -1, 0
	s_cmp_lg_u64 s[44:45], 0
	s_addc_u32 s25, s25, 0
	s_waitcnt vmcnt(0)
	v_cmp_ne_u16_sdwa s[44:45], v9, v5 src0_sel:BYTE_0 src1_sel:DWORD
	s_or_b64 s[40:41], s[44:45], s[40:41]
	s_andn2_b64 exec, exec, s[40:41]
	s_cbranch_execnz .LBB232_93
; %bb.96:                               ;   in Loop: Header=BB232_90 Depth=1
	s_or_b64 exec, exec, s[40:41]
	s_branch .LBB232_89
.LBB232_97:                             ;   in Loop: Header=BB232_90 Depth=1
                                        ; implicit-def: $vgpr8
                                        ; implicit-def: $vgpr9
	s_cbranch_execz .LBB232_90
; %bb.98:
	s_and_saveexec_b64 s[38:39], s[16:17]
	s_cbranch_execz .LBB232_100
; %bb.99:
	s_add_i32 s40, s42, 64
	s_mov_b32 s41, 0
	s_lshl_b64 s[40:41], s[40:41], 3
	s_add_u32 s40, s36, s40
	v_add_u32_e32 v4, v3, v2
	v_mov_b32_e32 v5, 2
	s_addc_u32 s41, s37, s41
	v_mov_b32_e32 v6, 0
	global_store_dwordx2 v6, v[4:5], s[40:41] sc1
	ds_write_b64 v6, v[2:3] offset:30720
.LBB232_100:
	s_or_b64 exec, exec, s[38:39]
	s_and_b64 exec, exec, s[18:19]
	s_cbranch_execz .LBB232_102
; %bb.101:
	v_mov_b32_e32 v2, 0
	ds_write_b32 v2, v3 offset:28
.LBB232_102:
	s_or_b64 exec, exec, s[0:1]
	v_mov_b32_e32 v14, 0
	s_waitcnt lgkmcnt(0)
	s_barrier
	ds_read_b32 v2, v14 offset:28
	v_cndmask_b32_e64 v3, v13, v12, s[16:17]
	v_cndmask_b32_e64 v3, v3, 0, s[18:19]
	s_waitcnt lgkmcnt(0)
	s_barrier
	v_add_u32_e32 v2, v2, v3
	v_add_u32_e32 v3, v2, v53
	;; [unrolled: 1-line block ×10, first 2 shown]
	ds_read_b64 v[26:27], v14 offset:30720
	v_add_u32_e32 v12, v11, v48
	v_add_u32_e32 v13, v12, v49
	;; [unrolled: 1-line block ×5, first 2 shown]
	s_waitcnt lgkmcnt(0)
	v_mov_b32_e32 v54, v27
	s_branch .LBB232_113
.LBB232_103:
                                        ; implicit-def: $vgpr54
                                        ; implicit-def: $vgpr26
                                        ; implicit-def: $vgpr2_vgpr3_vgpr4_vgpr5_vgpr6_vgpr7_vgpr8_vgpr9_vgpr10_vgpr11_vgpr12_vgpr13_vgpr14_vgpr15_vgpr16_vgpr17
	s_cbranch_execz .LBB232_113
; %bb.104:
	s_nop 0
	v_mov_b32_dpp v2, v59 row_shr:1 row_mask:0xf bank_mask:0xf
	v_cndmask_b32_e64 v2, v2, 0, s[14:15]
	v_add_u32_e32 v2, v2, v59
	s_nop 1
	v_mov_b32_dpp v3, v2 row_shr:2 row_mask:0xf bank_mask:0xf
	v_cndmask_b32_e64 v3, 0, v3, s[12:13]
	v_add_u32_e32 v2, v2, v3
	;; [unrolled: 4-line block ×4, first 2 shown]
	s_nop 1
	v_mov_b32_dpp v3, v2 row_bcast:15 row_mask:0xf bank_mask:0xf
	v_cndmask_b32_e64 v3, v3, 0, s[6:7]
	v_add_u32_e32 v2, v2, v3
	s_nop 1
	v_mov_b32_dpp v3, v2 row_bcast:31 row_mask:0xf bank_mask:0xf
	v_cndmask_b32_e64 v3, 0, v3, s[2:3]
	v_add_u32_e32 v2, v2, v3
	s_and_saveexec_b64 s[0:1], s[4:5]
	s_cbranch_execz .LBB232_106
; %bb.105:
	v_lshlrev_b32_e32 v3, 2, v58
	ds_write_b32 v3, v2
.LBB232_106:
	s_or_b64 exec, exec, s[0:1]
	v_cmp_gt_u32_e32 vcc, 8, v0
	s_waitcnt lgkmcnt(0)
	s_barrier
	s_and_saveexec_b64 s[0:1], vcc
	s_cbranch_execz .LBB232_108
; %bb.107:
	v_mad_i32_i24 v3, v0, -11, v21
	ds_read_b32 v4, v3
	v_and_b32_e32 v5, 7, v57
	v_cmp_ne_u32_e32 vcc, 0, v5
	s_waitcnt lgkmcnt(0)
	v_mov_b32_dpp v6, v4 row_shr:1 row_mask:0xf bank_mask:0xf
	v_cndmask_b32_e32 v6, 0, v6, vcc
	v_add_u32_e32 v4, v6, v4
	v_cmp_lt_u32_e32 vcc, 1, v5
	s_nop 0
	v_mov_b32_dpp v6, v4 row_shr:2 row_mask:0xf bank_mask:0xf
	v_cndmask_b32_e32 v6, 0, v6, vcc
	v_add_u32_e32 v4, v4, v6
	v_cmp_lt_u32_e32 vcc, 3, v5
	s_nop 0
	v_mov_b32_dpp v6, v4 row_shr:4 row_mask:0xf bank_mask:0xf
	v_cndmask_b32_e32 v5, 0, v6, vcc
	v_add_u32_e32 v4, v4, v5
	ds_write_b32 v3, v4
.LBB232_108:
	s_or_b64 exec, exec, s[0:1]
	v_cmp_lt_u32_e32 vcc, 63, v0
	v_mov_b32_e32 v4, 0
	v_mov_b32_e32 v3, 0
	s_waitcnt lgkmcnt(0)
	s_barrier
	s_and_saveexec_b64 s[0:1], vcc
	s_cbranch_execz .LBB232_110
; %bb.109:
	v_lshl_add_u32 v3, v58, 2, -4
	ds_read_b32 v3, v3
.LBB232_110:
	s_or_b64 exec, exec, s[0:1]
	v_add_u32_e32 v5, -1, v57
	v_and_b32_e32 v6, 64, v57
	v_cmp_lt_i32_e32 vcc, v5, v6
	s_waitcnt lgkmcnt(0)
	v_add_u32_e32 v2, v3, v2
	ds_read_b32 v26, v4 offset:28
	v_cndmask_b32_e32 v5, v5, v57, vcc
	v_lshlrev_b32_e32 v5, 2, v5
	ds_bpermute_b32 v2, v5, v2
	s_and_saveexec_b64 s[0:1], s[18:19]
	s_cbranch_execz .LBB232_112
; %bb.111:
	v_mov_b32_e32 v4, 0
	v_mov_b32_e32 v27, 2
	s_waitcnt lgkmcnt(1)
	global_store_dwordx2 v4, v[26:27], s[36:37] offset:512 sc1
.LBB232_112:
	s_or_b64 exec, exec, s[0:1]
	v_cmp_eq_u32_e32 vcc, 0, v57
	v_mov_b32_e32 v54, 0
	s_waitcnt lgkmcnt(0)
	v_cndmask_b32_e32 v2, v2, v3, vcc
	v_cndmask_b32_e64 v2, v2, 0, s[18:19]
	v_add_u32_e32 v3, v2, v53
	v_add_u32_e32 v4, v3, v55
	;; [unrolled: 1-line block ×14, first 2 shown]
	s_barrier
.LBB232_113:
	v_add_u32_e32 v21, v26, v21
	v_sub_u32_e32 v2, v2, v54
	v_and_b32_e32 v49, 1, v18
	v_sub_u32_e32 v48, v21, v2
	v_cmp_eq_u32_e32 vcc, 1, v49
	v_lshrrev_b32_e32 v47, 8, v18
	v_lshrrev_b32_e32 v27, 8, v19
	v_cndmask_b32_e32 v2, v48, v2, vcc
	v_lshlrev_b32_e32 v2, 2, v2
	ds_write_b32 v2, v40
	v_sub_u32_e32 v2, v3, v54
	v_sub_u32_e32 v3, v21, v2
	v_and_b32_e32 v40, 1, v47
	v_add_u32_e32 v3, 1, v3
	v_cmp_eq_u32_e32 vcc, 1, v40
	v_lshrrev_b32_e32 v17, 8, v20
	s_add_u32 s0, s26, s24
	v_cndmask_b32_e32 v2, v3, v2, vcc
	v_lshlrev_b32_e32 v2, 2, v2
	ds_write_b32 v2, v41
	v_sub_u32_e32 v2, v4, v54
	v_mov_b32_e32 v4, 1
	v_sub_u32_e32 v3, v21, v2
	v_and_b32_sdwa v18, v4, v18 dst_sel:DWORD dst_unused:UNUSED_PAD src0_sel:DWORD src1_sel:WORD_1
	v_add_u32_e32 v3, 2, v3
	v_cmp_eq_u32_e32 vcc, 1, v18
	s_addc_u32 s1, s27, 0
	s_sub_u32 s0, s30, s0
	v_cndmask_b32_e32 v2, v3, v2, vcc
	v_lshlrev_b32_e32 v2, 2, v2
	ds_write_b32 v2, v38
	v_sub_u32_e32 v2, v5, v54
	v_sub_u32_e32 v3, v21, v2
	v_and_b32_e32 v5, 1, v46
	v_add_u32_e32 v3, 3, v3
	v_cmp_eq_u32_e32 vcc, 1, v5
	v_and_b32_e32 v5, 1, v19
	s_subb_u32 s1, s31, s1
	v_cndmask_b32_e32 v2, v3, v2, vcc
	v_lshlrev_b32_e32 v2, 2, v2
	ds_write_b32 v2, v39
	v_sub_u32_e32 v2, v6, v54
	v_sub_u32_e32 v3, v21, v2
	v_add_u32_e32 v3, 4, v3
	v_cmp_eq_u32_e32 vcc, 1, v5
	v_and_b32_e32 v5, 1, v27
	v_or_b32_e32 v52, 0x200, v0
	v_cndmask_b32_e32 v2, v3, v2, vcc
	v_lshlrev_b32_e32 v2, 2, v2
	ds_write_b32 v2, v36
	v_sub_u32_e32 v2, v7, v54
	v_sub_u32_e32 v3, v21, v2
	v_add_u32_e32 v3, 5, v3
	v_cmp_eq_u32_e32 vcc, 1, v5
	v_and_b32_sdwa v5, v4, v19 dst_sel:DWORD dst_unused:UNUSED_PAD src0_sel:DWORD src1_sel:WORD_1
	v_and_b32_sdwa v4, v4, v20 dst_sel:DWORD dst_unused:UNUSED_PAD src0_sel:DWORD src1_sel:WORD_1
	v_cndmask_b32_e32 v2, v3, v2, vcc
	v_lshlrev_b32_e32 v2, 2, v2
	ds_write_b32 v2, v37
	v_sub_u32_e32 v2, v8, v54
	v_sub_u32_e32 v3, v21, v2
	v_add_u32_e32 v3, 6, v3
	v_cmp_eq_u32_e32 vcc, 1, v5
	v_and_b32_e32 v5, 1, v45
	v_or_b32_e32 v48, 0x400, v0
	v_cndmask_b32_e32 v2, v3, v2, vcc
	v_lshlrev_b32_e32 v2, 2, v2
	ds_write_b32 v2, v34
	v_sub_u32_e32 v2, v9, v54
	v_sub_u32_e32 v3, v21, v2
	v_add_u32_e32 v3, 7, v3
	v_cmp_eq_u32_e32 vcc, 1, v5
	v_and_b32_e32 v5, 1, v20
	v_or_b32_e32 v46, 0x600, v0
	;; [unrolled: 9-line block ×3, first 2 shown]
	v_cndmask_b32_e32 v2, v3, v2, vcc
	v_lshlrev_b32_e32 v2, 2, v2
	ds_write_b32 v2, v32
	v_sub_u32_e32 v2, v11, v54
	v_sub_u32_e32 v3, v21, v2
	v_add_u32_e32 v3, 9, v3
	v_cmp_eq_u32_e32 vcc, 1, v5
	v_or_b32_e32 v36, 0xc00, v0
	v_or_b32_e32 v34, 0xe00, v0
	v_cndmask_b32_e32 v2, v3, v2, vcc
	v_lshlrev_b32_e32 v2, 2, v2
	ds_write_b32 v2, v33
	v_sub_u32_e32 v2, v12, v54
	v_sub_u32_e32 v3, v21, v2
	v_add_u32_e32 v3, 10, v3
	v_cmp_eq_u32_e32 vcc, 1, v4
	v_and_b32_e32 v4, 1, v43
	v_or_b32_e32 v18, 0x1400, v0
	v_cndmask_b32_e32 v2, v3, v2, vcc
	v_lshlrev_b32_e32 v2, 2, v2
	ds_write_b32 v2, v30
	v_sub_u32_e32 v2, v13, v54
	v_sub_u32_e32 v3, v21, v2
	v_add_u32_e32 v3, 11, v3
	v_cmp_eq_u32_e32 vcc, 1, v4
	v_or_b32_e32 v30, 0x1000, v0
	v_or_b32_e32 v12, 0x1800, v0
	v_cndmask_b32_e32 v2, v3, v2, vcc
	v_lshlrev_b32_e32 v2, 2, v2
	ds_write_b32 v2, v31
	v_sub_u32_e32 v2, v14, v54
	v_sub_u32_e32 v3, v21, v2
	v_add_u32_e32 v3, 12, v3
	v_cmp_eq_u32_e32 vcc, 1, v44
	v_or_b32_e32 v10, 0x1a00, v0
	;; [unrolled: 9-line block ×4, first 2 shown]
	s_nop 0
	v_cndmask_b32_e32 v2, v3, v2, vcc
	v_lshlrev_b32_e32 v2, 2, v2
	ds_write_b32 v2, v1
	s_waitcnt lgkmcnt(0)
	s_barrier
	ds_read2st64_b32 v[50:51], v22 offset1:8
	ds_read2st64_b32 v[44:45], v22 offset0:16 offset1:24
	ds_read2st64_b32 v[38:39], v22 offset0:32 offset1:40
	;; [unrolled: 1-line block ×6, first 2 shown]
	ds_read_b32 v56, v22 offset:28672
	v_mov_b32_e32 v1, 0
	v_mov_b32_e32 v55, v1
	;; [unrolled: 1-line block ×3, first 2 shown]
	s_waitcnt vmcnt(0)
	v_lshl_add_u64 v[2:3], v[24:25], 0, v[54:55]
	v_lshl_add_u64 v[6:7], s[0:1], 0, v[26:27]
	v_mov_b32_e32 v53, v1
	v_mov_b32_e32 v49, v1
	;; [unrolled: 1-line block ×14, first 2 shown]
	s_andn2_b64 vcc, exec, s[34:35]
	v_lshl_add_u64 v[6:7], v[6:7], 0, v[2:3]
	s_cbranch_vccnz .LBB232_178
; %bb.114:
	v_cmp_ge_u32_e32 vcc, v0, v26
                                        ; implicit-def: $vgpr22_vgpr23
	s_and_saveexec_b64 s[0:1], vcc
	s_xor_b64 s[0:1], exec, s[0:1]
; %bb.115:
	v_not_b32_e32 v22, v0
	v_ashrrev_i32_e32 v23, 31, v22
	v_lshl_add_u64 v[22:23], v[6:7], 0, v[22:23]
; %bb.116:
	s_andn2_saveexec_b64 s[0:1], s[0:1]
; %bb.117:
	v_lshl_add_u64 v[22:23], v[2:3], 0, v[0:1]
; %bb.118:
	s_or_b64 exec, exec, s[0:1]
	v_lshl_add_u64 v[22:23], v[22:23], 2, s[28:29]
	v_cmp_ge_u32_e32 vcc, v52, v26
	s_waitcnt lgkmcnt(7)
	global_store_dword v[22:23], v50, off
                                        ; implicit-def: $vgpr22_vgpr23
	s_and_saveexec_b64 s[0:1], vcc
	s_xor_b64 s[0:1], exec, s[0:1]
; %bb.119:
	v_xor_b32_e32 v22, 0xfffffdff, v0
	v_ashrrev_i32_e32 v23, 31, v22
	v_lshl_add_u64 v[22:23], v[6:7], 0, v[22:23]
; %bb.120:
	s_andn2_saveexec_b64 s[0:1], s[0:1]
; %bb.121:
	v_lshl_add_u64 v[22:23], v[2:3], 0, v[52:53]
; %bb.122:
	s_or_b64 exec, exec, s[0:1]
	v_lshl_add_u64 v[22:23], v[22:23], 2, s[28:29]
	v_cmp_ge_u32_e32 vcc, v48, v26
	global_store_dword v[22:23], v51, off
                                        ; implicit-def: $vgpr22_vgpr23
	s_and_saveexec_b64 s[0:1], vcc
	s_xor_b64 s[0:1], exec, s[0:1]
; %bb.123:
	v_xor_b32_e32 v22, 0xfffffbff, v0
	v_ashrrev_i32_e32 v23, 31, v22
	v_lshl_add_u64 v[22:23], v[6:7], 0, v[22:23]
; %bb.124:
	s_andn2_saveexec_b64 s[0:1], s[0:1]
; %bb.125:
	v_lshl_add_u64 v[22:23], v[2:3], 0, v[48:49]
; %bb.126:
	s_or_b64 exec, exec, s[0:1]
	v_lshl_add_u64 v[22:23], v[22:23], 2, s[28:29]
	v_cmp_ge_u32_e32 vcc, v46, v26
	s_waitcnt lgkmcnt(6)
	global_store_dword v[22:23], v44, off
                                        ; implicit-def: $vgpr22_vgpr23
	s_and_saveexec_b64 s[0:1], vcc
	s_xor_b64 s[0:1], exec, s[0:1]
; %bb.127:
	v_xor_b32_e32 v22, 0xfffff9ff, v0
	v_ashrrev_i32_e32 v23, 31, v22
	v_lshl_add_u64 v[22:23], v[6:7], 0, v[22:23]
; %bb.128:
	s_andn2_saveexec_b64 s[0:1], s[0:1]
; %bb.129:
	v_lshl_add_u64 v[22:23], v[2:3], 0, v[46:47]
; %bb.130:
	s_or_b64 exec, exec, s[0:1]
	v_lshl_add_u64 v[22:23], v[22:23], 2, s[28:29]
	v_cmp_ge_u32_e32 vcc, v42, v26
	global_store_dword v[22:23], v45, off
                                        ; implicit-def: $vgpr22_vgpr23
	s_and_saveexec_b64 s[0:1], vcc
	s_xor_b64 s[0:1], exec, s[0:1]
; %bb.131:
	v_xor_b32_e32 v22, 0xfffff7ff, v0
	v_ashrrev_i32_e32 v23, 31, v22
	v_lshl_add_u64 v[22:23], v[6:7], 0, v[22:23]
; %bb.132:
	s_andn2_saveexec_b64 s[0:1], s[0:1]
; %bb.133:
	v_lshl_add_u64 v[22:23], v[2:3], 0, v[42:43]
; %bb.134:
	s_or_b64 exec, exec, s[0:1]
	v_lshl_add_u64 v[22:23], v[22:23], 2, s[28:29]
	v_cmp_ge_u32_e32 vcc, v40, v26
	s_waitcnt lgkmcnt(5)
	global_store_dword v[22:23], v38, off
                                        ; implicit-def: $vgpr22_vgpr23
	s_and_saveexec_b64 s[0:1], vcc
	s_xor_b64 s[0:1], exec, s[0:1]
; %bb.135:
	v_xor_b32_e32 v22, 0xfffff5ff, v0
	v_ashrrev_i32_e32 v23, 31, v22
	v_lshl_add_u64 v[22:23], v[6:7], 0, v[22:23]
; %bb.136:
	s_andn2_saveexec_b64 s[0:1], s[0:1]
; %bb.137:
	v_lshl_add_u64 v[22:23], v[2:3], 0, v[40:41]
; %bb.138:
	s_or_b64 exec, exec, s[0:1]
	v_lshl_add_u64 v[22:23], v[22:23], 2, s[28:29]
	v_cmp_ge_u32_e32 vcc, v36, v26
	global_store_dword v[22:23], v39, off
                                        ; implicit-def: $vgpr22_vgpr23
	s_and_saveexec_b64 s[0:1], vcc
	s_xor_b64 s[0:1], exec, s[0:1]
; %bb.139:
	v_xor_b32_e32 v22, 0xfffff3ff, v0
	v_ashrrev_i32_e32 v23, 31, v22
	v_lshl_add_u64 v[22:23], v[6:7], 0, v[22:23]
; %bb.140:
	s_andn2_saveexec_b64 s[0:1], s[0:1]
; %bb.141:
	v_lshl_add_u64 v[22:23], v[2:3], 0, v[36:37]
; %bb.142:
	s_or_b64 exec, exec, s[0:1]
	v_lshl_add_u64 v[22:23], v[22:23], 2, s[28:29]
	v_cmp_ge_u32_e32 vcc, v34, v26
	s_waitcnt lgkmcnt(4)
	global_store_dword v[22:23], v32, off
                                        ; implicit-def: $vgpr22_vgpr23
	s_and_saveexec_b64 s[0:1], vcc
	s_xor_b64 s[0:1], exec, s[0:1]
; %bb.143:
	v_xor_b32_e32 v22, 0xfffff1ff, v0
	v_ashrrev_i32_e32 v23, 31, v22
	v_lshl_add_u64 v[22:23], v[6:7], 0, v[22:23]
; %bb.144:
	s_andn2_saveexec_b64 s[0:1], s[0:1]
; %bb.145:
	v_lshl_add_u64 v[22:23], v[2:3], 0, v[34:35]
; %bb.146:
	s_or_b64 exec, exec, s[0:1]
	v_lshl_add_u64 v[22:23], v[22:23], 2, s[28:29]
	v_cmp_ge_u32_e32 vcc, v30, v26
	global_store_dword v[22:23], v33, off
                                        ; implicit-def: $vgpr22_vgpr23
	s_and_saveexec_b64 s[0:1], vcc
	s_xor_b64 s[0:1], exec, s[0:1]
; %bb.147:
	v_xor_b32_e32 v22, 0xffffefff, v0
	v_ashrrev_i32_e32 v23, 31, v22
	v_lshl_add_u64 v[22:23], v[6:7], 0, v[22:23]
; %bb.148:
	s_andn2_saveexec_b64 s[0:1], s[0:1]
; %bb.149:
	v_lshl_add_u64 v[22:23], v[2:3], 0, v[30:31]
; %bb.150:
	s_or_b64 exec, exec, s[0:1]
	v_lshl_add_u64 v[22:23], v[22:23], 2, s[28:29]
	v_cmp_ge_u32_e32 vcc, v28, v26
	s_waitcnt lgkmcnt(3)
	global_store_dword v[22:23], v20, off
                                        ; implicit-def: $vgpr22_vgpr23
	s_and_saveexec_b64 s[0:1], vcc
	s_xor_b64 s[0:1], exec, s[0:1]
; %bb.151:
	v_xor_b32_e32 v22, 0xffffedff, v0
	v_ashrrev_i32_e32 v23, 31, v22
	v_lshl_add_u64 v[22:23], v[6:7], 0, v[22:23]
; %bb.152:
	s_andn2_saveexec_b64 s[0:1], s[0:1]
; %bb.153:
	v_lshl_add_u64 v[22:23], v[2:3], 0, v[28:29]
; %bb.154:
	s_or_b64 exec, exec, s[0:1]
	v_lshl_add_u64 v[22:23], v[22:23], 2, s[28:29]
	v_cmp_ge_u32_e32 vcc, v18, v26
	global_store_dword v[22:23], v21, off
                                        ; implicit-def: $vgpr22_vgpr23
	s_and_saveexec_b64 s[0:1], vcc
	s_xor_b64 s[0:1], exec, s[0:1]
; %bb.155:
	v_xor_b32_e32 v22, 0xffffebff, v0
	v_ashrrev_i32_e32 v23, 31, v22
	v_lshl_add_u64 v[22:23], v[6:7], 0, v[22:23]
; %bb.156:
	s_andn2_saveexec_b64 s[0:1], s[0:1]
; %bb.157:
	v_lshl_add_u64 v[22:23], v[2:3], 0, v[18:19]
; %bb.158:
	s_or_b64 exec, exec, s[0:1]
	v_lshl_add_u64 v[22:23], v[22:23], 2, s[28:29]
	v_cmp_ge_u32_e32 vcc, v16, v26
	s_waitcnt lgkmcnt(2)
	global_store_dword v[22:23], v14, off
                                        ; implicit-def: $vgpr22_vgpr23
	s_and_saveexec_b64 s[0:1], vcc
	s_xor_b64 s[0:1], exec, s[0:1]
; %bb.159:
	v_xor_b32_e32 v22, 0xffffe9ff, v0
	v_ashrrev_i32_e32 v23, 31, v22
	v_lshl_add_u64 v[22:23], v[6:7], 0, v[22:23]
; %bb.160:
	s_andn2_saveexec_b64 s[0:1], s[0:1]
; %bb.161:
	v_lshl_add_u64 v[22:23], v[2:3], 0, v[16:17]
; %bb.162:
	s_or_b64 exec, exec, s[0:1]
	v_lshl_add_u64 v[22:23], v[22:23], 2, s[28:29]
	v_cmp_ge_u32_e32 vcc, v12, v26
	global_store_dword v[22:23], v15, off
                                        ; implicit-def: $vgpr22_vgpr23
	s_and_saveexec_b64 s[0:1], vcc
	s_xor_b64 s[0:1], exec, s[0:1]
; %bb.163:
	v_xor_b32_e32 v22, 0xffffe7ff, v0
	v_ashrrev_i32_e32 v23, 31, v22
	v_lshl_add_u64 v[22:23], v[6:7], 0, v[22:23]
; %bb.164:
	s_andn2_saveexec_b64 s[0:1], s[0:1]
; %bb.165:
	v_lshl_add_u64 v[22:23], v[2:3], 0, v[12:13]
; %bb.166:
	s_or_b64 exec, exec, s[0:1]
	v_lshl_add_u64 v[22:23], v[22:23], 2, s[28:29]
	v_cmp_ge_u32_e32 vcc, v10, v26
	s_waitcnt lgkmcnt(1)
	global_store_dword v[22:23], v8, off
                                        ; implicit-def: $vgpr22_vgpr23
	s_and_saveexec_b64 s[0:1], vcc
	s_xor_b64 s[0:1], exec, s[0:1]
; %bb.167:
	v_xor_b32_e32 v22, 0xffffe5ff, v0
	v_ashrrev_i32_e32 v23, 31, v22
	v_lshl_add_u64 v[22:23], v[6:7], 0, v[22:23]
; %bb.168:
	s_andn2_saveexec_b64 s[0:1], s[0:1]
; %bb.169:
	v_lshl_add_u64 v[22:23], v[2:3], 0, v[10:11]
; %bb.170:
	s_or_b64 exec, exec, s[0:1]
	v_lshl_add_u64 v[22:23], v[22:23], 2, s[28:29]
	v_cmp_ge_u32_e32 vcc, v4, v26
	global_store_dword v[22:23], v9, off
                                        ; implicit-def: $vgpr22_vgpr23
	s_and_saveexec_b64 s[0:1], vcc
	s_xor_b64 s[0:1], exec, s[0:1]
; %bb.171:
	v_xor_b32_e32 v22, 0xffffe3ff, v0
	v_ashrrev_i32_e32 v23, 31, v22
	v_lshl_add_u64 v[22:23], v[6:7], 0, v[22:23]
; %bb.172:
	s_andn2_saveexec_b64 s[0:1], s[0:1]
; %bb.173:
	v_lshl_add_u64 v[22:23], v[2:3], 0, v[4:5]
; %bb.174:
	s_or_b64 exec, exec, s[0:1]
	s_mov_b64 s[0:1], -1
.LBB232_175:
	s_and_saveexec_b64 s[2:3], s[0:1]
	s_cbranch_execz .LBB232_270
.LBB232_176:
	v_lshl_add_u64 v[0:1], v[22:23], 2, s[28:29]
	s_waitcnt lgkmcnt(0)
	global_store_dword v[0:1], v56, off
	s_or_b64 exec, exec, s[2:3]
	s_and_b64 s[0:1], s[18:19], s[22:23]
	s_and_saveexec_b64 s[2:3], s[0:1]
	s_cbranch_execnz .LBB232_271
.LBB232_177:
	s_endpgm
.LBB232_178:
	s_mov_b64 s[0:1], 0
                                        ; implicit-def: $vgpr22_vgpr23
	s_cbranch_execz .LBB232_175
; %bb.179:
	v_cmp_gt_u32_e32 vcc, s33, v0
	s_and_saveexec_b64 s[2:3], vcc
	s_cbranch_execz .LBB232_221
; %bb.180:
	v_cmp_ge_u32_e32 vcc, v0, v26
                                        ; implicit-def: $vgpr22_vgpr23
	s_and_saveexec_b64 s[4:5], vcc
	s_xor_b64 s[4:5], exec, s[4:5]
; %bb.181:
	v_not_b32_e32 v22, v0
	v_ashrrev_i32_e32 v23, 31, v22
	v_lshl_add_u64 v[22:23], v[6:7], 0, v[22:23]
; %bb.182:
	s_andn2_saveexec_b64 s[4:5], s[4:5]
; %bb.183:
	v_lshl_add_u64 v[22:23], v[2:3], 0, v[0:1]
; %bb.184:
	s_or_b64 exec, exec, s[4:5]
	v_lshl_add_u64 v[22:23], v[22:23], 2, s[28:29]
	s_waitcnt lgkmcnt(7)
	global_store_dword v[22:23], v50, off
	s_or_b64 exec, exec, s[2:3]
	v_cmp_gt_u32_e32 vcc, s33, v52
	s_and_saveexec_b64 s[2:3], vcc
	s_cbranch_execnz .LBB232_222
.LBB232_185:
	s_or_b64 exec, exec, s[2:3]
	v_cmp_gt_u32_e32 vcc, s33, v48
	s_and_saveexec_b64 s[2:3], vcc
	s_cbranch_execz .LBB232_227
.LBB232_186:
	v_cmp_ge_u32_e32 vcc, v48, v26
                                        ; implicit-def: $vgpr22_vgpr23
	s_and_saveexec_b64 s[4:5], vcc
	s_xor_b64 s[4:5], exec, s[4:5]
; %bb.187:
	v_xor_b32_e32 v22, 0xfffffbff, v0
	v_ashrrev_i32_e32 v23, 31, v22
	v_lshl_add_u64 v[22:23], v[6:7], 0, v[22:23]
                                        ; implicit-def: $vgpr48_vgpr49
; %bb.188:
	s_andn2_saveexec_b64 s[4:5], s[4:5]
; %bb.189:
	v_lshl_add_u64 v[22:23], v[2:3], 0, v[48:49]
; %bb.190:
	s_or_b64 exec, exec, s[4:5]
	v_lshl_add_u64 v[22:23], v[22:23], 2, s[28:29]
	s_waitcnt lgkmcnt(6)
	global_store_dword v[22:23], v44, off
	s_or_b64 exec, exec, s[2:3]
	v_cmp_gt_u32_e32 vcc, s33, v46
	s_and_saveexec_b64 s[2:3], vcc
	s_cbranch_execnz .LBB232_228
.LBB232_191:
	s_or_b64 exec, exec, s[2:3]
	v_cmp_gt_u32_e32 vcc, s33, v42
	s_and_saveexec_b64 s[2:3], vcc
	s_cbranch_execz .LBB232_233
.LBB232_192:
	v_cmp_ge_u32_e32 vcc, v42, v26
                                        ; implicit-def: $vgpr22_vgpr23
	s_and_saveexec_b64 s[4:5], vcc
	s_xor_b64 s[4:5], exec, s[4:5]
; %bb.193:
	v_xor_b32_e32 v22, 0xfffff7ff, v0
	v_ashrrev_i32_e32 v23, 31, v22
	v_lshl_add_u64 v[22:23], v[6:7], 0, v[22:23]
                                        ; implicit-def: $vgpr42_vgpr43
; %bb.194:
	s_andn2_saveexec_b64 s[4:5], s[4:5]
; %bb.195:
	v_lshl_add_u64 v[22:23], v[2:3], 0, v[42:43]
; %bb.196:
	s_or_b64 exec, exec, s[4:5]
	v_lshl_add_u64 v[22:23], v[22:23], 2, s[28:29]
	s_waitcnt lgkmcnt(5)
	global_store_dword v[22:23], v38, off
	s_or_b64 exec, exec, s[2:3]
	v_cmp_gt_u32_e32 vcc, s33, v40
	s_and_saveexec_b64 s[2:3], vcc
	s_cbranch_execnz .LBB232_234
.LBB232_197:
	s_or_b64 exec, exec, s[2:3]
	v_cmp_gt_u32_e32 vcc, s33, v36
	s_and_saveexec_b64 s[2:3], vcc
	s_cbranch_execz .LBB232_239
.LBB232_198:
	v_cmp_ge_u32_e32 vcc, v36, v26
                                        ; implicit-def: $vgpr22_vgpr23
	s_and_saveexec_b64 s[4:5], vcc
	s_xor_b64 s[4:5], exec, s[4:5]
; %bb.199:
	v_xor_b32_e32 v22, 0xfffff3ff, v0
	v_ashrrev_i32_e32 v23, 31, v22
	v_lshl_add_u64 v[22:23], v[6:7], 0, v[22:23]
                                        ; implicit-def: $vgpr36_vgpr37
; %bb.200:
	s_andn2_saveexec_b64 s[4:5], s[4:5]
; %bb.201:
	v_lshl_add_u64 v[22:23], v[2:3], 0, v[36:37]
; %bb.202:
	s_or_b64 exec, exec, s[4:5]
	v_lshl_add_u64 v[22:23], v[22:23], 2, s[28:29]
	s_waitcnt lgkmcnt(4)
	global_store_dword v[22:23], v32, off
	s_or_b64 exec, exec, s[2:3]
	v_cmp_gt_u32_e32 vcc, s33, v34
	s_and_saveexec_b64 s[2:3], vcc
	s_cbranch_execnz .LBB232_240
.LBB232_203:
	s_or_b64 exec, exec, s[2:3]
	v_cmp_gt_u32_e32 vcc, s33, v30
	s_and_saveexec_b64 s[2:3], vcc
	s_cbranch_execz .LBB232_245
.LBB232_204:
	v_cmp_ge_u32_e32 vcc, v30, v26
                                        ; implicit-def: $vgpr22_vgpr23
	s_and_saveexec_b64 s[4:5], vcc
	s_xor_b64 s[4:5], exec, s[4:5]
; %bb.205:
	v_xor_b32_e32 v22, 0xffffefff, v0
	v_ashrrev_i32_e32 v23, 31, v22
	v_lshl_add_u64 v[22:23], v[6:7], 0, v[22:23]
                                        ; implicit-def: $vgpr30_vgpr31
; %bb.206:
	s_andn2_saveexec_b64 s[4:5], s[4:5]
; %bb.207:
	v_lshl_add_u64 v[22:23], v[2:3], 0, v[30:31]
; %bb.208:
	s_or_b64 exec, exec, s[4:5]
	v_lshl_add_u64 v[22:23], v[22:23], 2, s[28:29]
	s_waitcnt lgkmcnt(3)
	global_store_dword v[22:23], v20, off
	s_or_b64 exec, exec, s[2:3]
	v_cmp_gt_u32_e32 vcc, s33, v28
	s_and_saveexec_b64 s[2:3], vcc
	s_cbranch_execnz .LBB232_246
.LBB232_209:
	s_or_b64 exec, exec, s[2:3]
	v_cmp_gt_u32_e32 vcc, s33, v18
	s_and_saveexec_b64 s[2:3], vcc
	s_cbranch_execz .LBB232_251
.LBB232_210:
	v_cmp_ge_u32_e32 vcc, v18, v26
                                        ; implicit-def: $vgpr20_vgpr21
	s_and_saveexec_b64 s[4:5], vcc
	s_xor_b64 s[4:5], exec, s[4:5]
	s_cbranch_execz .LBB232_212
; %bb.211:
	v_xor_b32_e32 v18, 0xffffebff, v0
	v_ashrrev_i32_e32 v19, 31, v18
	s_waitcnt lgkmcnt(3)
	v_lshl_add_u64 v[20:21], v[6:7], 0, v[18:19]
                                        ; implicit-def: $vgpr18_vgpr19
.LBB232_212:
	s_andn2_saveexec_b64 s[4:5], s[4:5]
	s_cbranch_execz .LBB232_214
; %bb.213:
	s_waitcnt lgkmcnt(3)
	v_lshl_add_u64 v[20:21], v[2:3], 0, v[18:19]
.LBB232_214:
	s_or_b64 exec, exec, s[4:5]
	s_waitcnt lgkmcnt(3)
	v_lshl_add_u64 v[18:19], v[20:21], 2, s[28:29]
	s_waitcnt lgkmcnt(2)
	global_store_dword v[18:19], v14, off
	s_or_b64 exec, exec, s[2:3]
	v_cmp_gt_u32_e32 vcc, s33, v16
	s_and_saveexec_b64 s[2:3], vcc
	s_cbranch_execnz .LBB232_252
.LBB232_215:
	s_or_b64 exec, exec, s[2:3]
	v_cmp_gt_u32_e32 vcc, s33, v12
	s_and_saveexec_b64 s[2:3], vcc
	s_cbranch_execz .LBB232_257
.LBB232_216:
	v_cmp_ge_u32_e32 vcc, v12, v26
                                        ; implicit-def: $vgpr14_vgpr15
	s_and_saveexec_b64 s[4:5], vcc
	s_xor_b64 s[4:5], exec, s[4:5]
	s_cbranch_execz .LBB232_218
; %bb.217:
	v_xor_b32_e32 v12, 0xffffe7ff, v0
	v_ashrrev_i32_e32 v13, 31, v12
	s_waitcnt lgkmcnt(2)
	v_lshl_add_u64 v[14:15], v[6:7], 0, v[12:13]
                                        ; implicit-def: $vgpr12_vgpr13
.LBB232_218:
	s_andn2_saveexec_b64 s[4:5], s[4:5]
	s_cbranch_execz .LBB232_220
; %bb.219:
	s_waitcnt lgkmcnt(2)
	v_lshl_add_u64 v[14:15], v[2:3], 0, v[12:13]
.LBB232_220:
	s_or_b64 exec, exec, s[4:5]
	s_waitcnt lgkmcnt(2)
	v_lshl_add_u64 v[12:13], v[14:15], 2, s[28:29]
	s_waitcnt lgkmcnt(1)
	global_store_dword v[12:13], v8, off
	s_or_b64 exec, exec, s[2:3]
	v_cmp_gt_u32_e32 vcc, s33, v10
	s_and_saveexec_b64 s[2:3], vcc
	s_cbranch_execz .LBB232_263
	s_branch .LBB232_258
.LBB232_221:
	s_or_b64 exec, exec, s[2:3]
	v_cmp_gt_u32_e32 vcc, s33, v52
	s_and_saveexec_b64 s[2:3], vcc
	s_cbranch_execz .LBB232_185
.LBB232_222:
	v_cmp_ge_u32_e32 vcc, v52, v26
                                        ; implicit-def: $vgpr22_vgpr23
	s_and_saveexec_b64 s[4:5], vcc
	s_xor_b64 s[4:5], exec, s[4:5]
; %bb.223:
	v_xor_b32_e32 v22, 0xfffffdff, v0
	v_ashrrev_i32_e32 v23, 31, v22
	v_lshl_add_u64 v[22:23], v[6:7], 0, v[22:23]
                                        ; implicit-def: $vgpr52_vgpr53
; %bb.224:
	s_andn2_saveexec_b64 s[4:5], s[4:5]
; %bb.225:
	v_lshl_add_u64 v[22:23], v[2:3], 0, v[52:53]
; %bb.226:
	s_or_b64 exec, exec, s[4:5]
	v_lshl_add_u64 v[22:23], v[22:23], 2, s[28:29]
	s_waitcnt lgkmcnt(7)
	global_store_dword v[22:23], v51, off
	s_or_b64 exec, exec, s[2:3]
	v_cmp_gt_u32_e32 vcc, s33, v48
	s_and_saveexec_b64 s[2:3], vcc
	s_cbranch_execnz .LBB232_186
.LBB232_227:
	s_or_b64 exec, exec, s[2:3]
	v_cmp_gt_u32_e32 vcc, s33, v46
	s_and_saveexec_b64 s[2:3], vcc
	s_cbranch_execz .LBB232_191
.LBB232_228:
	v_cmp_ge_u32_e32 vcc, v46, v26
                                        ; implicit-def: $vgpr22_vgpr23
	s_and_saveexec_b64 s[4:5], vcc
	s_xor_b64 s[4:5], exec, s[4:5]
; %bb.229:
	v_xor_b32_e32 v22, 0xfffff9ff, v0
	v_ashrrev_i32_e32 v23, 31, v22
	v_lshl_add_u64 v[22:23], v[6:7], 0, v[22:23]
                                        ; implicit-def: $vgpr46_vgpr47
; %bb.230:
	s_andn2_saveexec_b64 s[4:5], s[4:5]
; %bb.231:
	v_lshl_add_u64 v[22:23], v[2:3], 0, v[46:47]
; %bb.232:
	s_or_b64 exec, exec, s[4:5]
	v_lshl_add_u64 v[22:23], v[22:23], 2, s[28:29]
	s_waitcnt lgkmcnt(6)
	global_store_dword v[22:23], v45, off
	s_or_b64 exec, exec, s[2:3]
	v_cmp_gt_u32_e32 vcc, s33, v42
	s_and_saveexec_b64 s[2:3], vcc
	s_cbranch_execnz .LBB232_192
.LBB232_233:
	s_or_b64 exec, exec, s[2:3]
	v_cmp_gt_u32_e32 vcc, s33, v40
	s_and_saveexec_b64 s[2:3], vcc
	s_cbranch_execz .LBB232_197
.LBB232_234:
	v_cmp_ge_u32_e32 vcc, v40, v26
                                        ; implicit-def: $vgpr22_vgpr23
	s_and_saveexec_b64 s[4:5], vcc
	s_xor_b64 s[4:5], exec, s[4:5]
; %bb.235:
	v_xor_b32_e32 v22, 0xfffff5ff, v0
	v_ashrrev_i32_e32 v23, 31, v22
	v_lshl_add_u64 v[22:23], v[6:7], 0, v[22:23]
                                        ; implicit-def: $vgpr40_vgpr41
; %bb.236:
	s_andn2_saveexec_b64 s[4:5], s[4:5]
; %bb.237:
	v_lshl_add_u64 v[22:23], v[2:3], 0, v[40:41]
; %bb.238:
	s_or_b64 exec, exec, s[4:5]
	v_lshl_add_u64 v[22:23], v[22:23], 2, s[28:29]
	s_waitcnt lgkmcnt(5)
	global_store_dword v[22:23], v39, off
	s_or_b64 exec, exec, s[2:3]
	v_cmp_gt_u32_e32 vcc, s33, v36
	s_and_saveexec_b64 s[2:3], vcc
	s_cbranch_execnz .LBB232_198
.LBB232_239:
	s_or_b64 exec, exec, s[2:3]
	v_cmp_gt_u32_e32 vcc, s33, v34
	s_and_saveexec_b64 s[2:3], vcc
	s_cbranch_execz .LBB232_203
.LBB232_240:
	v_cmp_ge_u32_e32 vcc, v34, v26
                                        ; implicit-def: $vgpr22_vgpr23
	s_and_saveexec_b64 s[4:5], vcc
	s_xor_b64 s[4:5], exec, s[4:5]
; %bb.241:
	v_xor_b32_e32 v22, 0xfffff1ff, v0
	v_ashrrev_i32_e32 v23, 31, v22
	v_lshl_add_u64 v[22:23], v[6:7], 0, v[22:23]
                                        ; implicit-def: $vgpr34_vgpr35
; %bb.242:
	s_andn2_saveexec_b64 s[4:5], s[4:5]
; %bb.243:
	v_lshl_add_u64 v[22:23], v[2:3], 0, v[34:35]
; %bb.244:
	s_or_b64 exec, exec, s[4:5]
	v_lshl_add_u64 v[22:23], v[22:23], 2, s[28:29]
	s_waitcnt lgkmcnt(4)
	global_store_dword v[22:23], v33, off
	s_or_b64 exec, exec, s[2:3]
	v_cmp_gt_u32_e32 vcc, s33, v30
	s_and_saveexec_b64 s[2:3], vcc
	s_cbranch_execnz .LBB232_204
.LBB232_245:
	s_or_b64 exec, exec, s[2:3]
	v_cmp_gt_u32_e32 vcc, s33, v28
	s_and_saveexec_b64 s[2:3], vcc
	s_cbranch_execz .LBB232_209
.LBB232_246:
	v_cmp_ge_u32_e32 vcc, v28, v26
                                        ; implicit-def: $vgpr22_vgpr23
	s_and_saveexec_b64 s[4:5], vcc
	s_xor_b64 s[4:5], exec, s[4:5]
; %bb.247:
	v_xor_b32_e32 v22, 0xffffedff, v0
	v_ashrrev_i32_e32 v23, 31, v22
	v_lshl_add_u64 v[22:23], v[6:7], 0, v[22:23]
                                        ; implicit-def: $vgpr28_vgpr29
; %bb.248:
	s_andn2_saveexec_b64 s[4:5], s[4:5]
; %bb.249:
	v_lshl_add_u64 v[22:23], v[2:3], 0, v[28:29]
; %bb.250:
	s_or_b64 exec, exec, s[4:5]
	v_lshl_add_u64 v[22:23], v[22:23], 2, s[28:29]
	s_waitcnt lgkmcnt(3)
	global_store_dword v[22:23], v21, off
	s_or_b64 exec, exec, s[2:3]
	v_cmp_gt_u32_e32 vcc, s33, v18
	s_and_saveexec_b64 s[2:3], vcc
	s_cbranch_execnz .LBB232_210
.LBB232_251:
	s_or_b64 exec, exec, s[2:3]
	v_cmp_gt_u32_e32 vcc, s33, v16
	s_and_saveexec_b64 s[2:3], vcc
	s_cbranch_execz .LBB232_215
.LBB232_252:
	v_cmp_ge_u32_e32 vcc, v16, v26
                                        ; implicit-def: $vgpr18_vgpr19
	s_and_saveexec_b64 s[4:5], vcc
	s_xor_b64 s[4:5], exec, s[4:5]
; %bb.253:
	v_xor_b32_e32 v16, 0xffffe9ff, v0
	v_ashrrev_i32_e32 v17, 31, v16
	v_lshl_add_u64 v[18:19], v[6:7], 0, v[16:17]
                                        ; implicit-def: $vgpr16_vgpr17
; %bb.254:
	s_andn2_saveexec_b64 s[4:5], s[4:5]
; %bb.255:
	v_lshl_add_u64 v[18:19], v[2:3], 0, v[16:17]
; %bb.256:
	s_or_b64 exec, exec, s[4:5]
	v_lshl_add_u64 v[16:17], v[18:19], 2, s[28:29]
	s_waitcnt lgkmcnt(2)
	global_store_dword v[16:17], v15, off
	s_or_b64 exec, exec, s[2:3]
	v_cmp_gt_u32_e32 vcc, s33, v12
	s_and_saveexec_b64 s[2:3], vcc
	s_cbranch_execnz .LBB232_216
.LBB232_257:
	s_or_b64 exec, exec, s[2:3]
	v_cmp_gt_u32_e32 vcc, s33, v10
	s_and_saveexec_b64 s[2:3], vcc
	s_cbranch_execz .LBB232_263
.LBB232_258:
	v_cmp_ge_u32_e32 vcc, v10, v26
                                        ; implicit-def: $vgpr12_vgpr13
	s_and_saveexec_b64 s[4:5], vcc
	s_xor_b64 s[4:5], exec, s[4:5]
; %bb.259:
	v_xor_b32_e32 v10, 0xffffe5ff, v0
	v_ashrrev_i32_e32 v11, 31, v10
	v_lshl_add_u64 v[12:13], v[6:7], 0, v[10:11]
                                        ; implicit-def: $vgpr10_vgpr11
; %bb.260:
	s_andn2_saveexec_b64 s[4:5], s[4:5]
; %bb.261:
	v_lshl_add_u64 v[12:13], v[2:3], 0, v[10:11]
; %bb.262:
	s_or_b64 exec, exec, s[4:5]
	v_lshl_add_u64 v[10:11], v[12:13], 2, s[28:29]
	s_waitcnt lgkmcnt(1)
	global_store_dword v[10:11], v9, off
.LBB232_263:
	s_or_b64 exec, exec, s[2:3]
	v_cmp_gt_u32_e32 vcc, s33, v4
                                        ; implicit-def: $vgpr22_vgpr23
	s_and_saveexec_b64 s[2:3], vcc
	s_cbranch_execz .LBB232_269
; %bb.264:
	v_cmp_ge_u32_e32 vcc, v4, v26
                                        ; implicit-def: $vgpr22_vgpr23
	s_and_saveexec_b64 s[4:5], vcc
	s_xor_b64 s[4:5], exec, s[4:5]
; %bb.265:
	v_xor_b32_e32 v0, 0xffffe3ff, v0
	v_ashrrev_i32_e32 v1, 31, v0
	v_lshl_add_u64 v[22:23], v[6:7], 0, v[0:1]
                                        ; implicit-def: $vgpr4_vgpr5
; %bb.266:
	s_andn2_saveexec_b64 s[4:5], s[4:5]
; %bb.267:
	v_lshl_add_u64 v[22:23], v[2:3], 0, v[4:5]
; %bb.268:
	s_or_b64 exec, exec, s[4:5]
	s_or_b64 s[0:1], s[0:1], exec
.LBB232_269:
	s_or_b64 exec, exec, s[2:3]
	s_and_saveexec_b64 s[2:3], s[0:1]
	s_cbranch_execnz .LBB232_176
.LBB232_270:
	s_or_b64 exec, exec, s[2:3]
	s_and_b64 s[0:1], s[18:19], s[22:23]
	s_and_saveexec_b64 s[2:3], s[0:1]
	s_cbranch_execz .LBB232_177
.LBB232_271:
	v_mov_b32_e32 v4, 0
	v_lshl_add_u64 v[0:1], v[2:3], 0, v[26:27]
	global_store_dwordx2 v4, v[0:1], s[20:21]
	s_endpgm
	.section	.rodata,"a",@progbits
	.p2align	6, 0x0
	.amdhsa_kernel _ZN7rocprim17ROCPRIM_400000_NS6detail17trampoline_kernelINS0_14default_configENS1_25partition_config_selectorILNS1_17partition_subalgoE2EiNS0_10empty_typeEbEEZZNS1_14partition_implILS5_2ELb0ES3_jN6thrust23THRUST_200600_302600_NS6detail15normal_iteratorINSA_7pointerIiNSA_11hip_rocprim3tagENSA_11use_defaultESG_EEEEPS6_NSA_18transform_iteratorI7is_evenIiENSC_INSA_10device_ptrIiEEEESG_SG_EENS0_5tupleIJPiSJ_EEENSR_IJSJ_SJ_EEES6_PlJS6_EEE10hipError_tPvRmT3_T4_T5_T6_T7_T9_mT8_P12ihipStream_tbDpT10_ENKUlT_T0_E_clISt17integral_constantIbLb1EES1F_EEDaS1A_S1B_EUlS1A_E_NS1_11comp_targetILNS1_3genE5ELNS1_11target_archE942ELNS1_3gpuE9ELNS1_3repE0EEENS1_30default_config_static_selectorELNS0_4arch9wavefront6targetE1EEEvT1_
		.amdhsa_group_segment_fixed_size 30728
		.amdhsa_private_segment_fixed_size 0
		.amdhsa_kernarg_size 144
		.amdhsa_user_sgpr_count 2
		.amdhsa_user_sgpr_dispatch_ptr 0
		.amdhsa_user_sgpr_queue_ptr 0
		.amdhsa_user_sgpr_kernarg_segment_ptr 1
		.amdhsa_user_sgpr_dispatch_id 0
		.amdhsa_user_sgpr_kernarg_preload_length 0
		.amdhsa_user_sgpr_kernarg_preload_offset 0
		.amdhsa_user_sgpr_private_segment_size 0
		.amdhsa_uses_dynamic_stack 0
		.amdhsa_enable_private_segment 0
		.amdhsa_system_sgpr_workgroup_id_x 1
		.amdhsa_system_sgpr_workgroup_id_y 0
		.amdhsa_system_sgpr_workgroup_id_z 0
		.amdhsa_system_sgpr_workgroup_info 0
		.amdhsa_system_vgpr_workitem_id 0
		.amdhsa_next_free_vgpr 67
		.amdhsa_next_free_sgpr 46
		.amdhsa_accum_offset 68
		.amdhsa_reserve_vcc 1
		.amdhsa_float_round_mode_32 0
		.amdhsa_float_round_mode_16_64 0
		.amdhsa_float_denorm_mode_32 3
		.amdhsa_float_denorm_mode_16_64 3
		.amdhsa_dx10_clamp 1
		.amdhsa_ieee_mode 1
		.amdhsa_fp16_overflow 0
		.amdhsa_tg_split 0
		.amdhsa_exception_fp_ieee_invalid_op 0
		.amdhsa_exception_fp_denorm_src 0
		.amdhsa_exception_fp_ieee_div_zero 0
		.amdhsa_exception_fp_ieee_overflow 0
		.amdhsa_exception_fp_ieee_underflow 0
		.amdhsa_exception_fp_ieee_inexact 0
		.amdhsa_exception_int_div_zero 0
	.end_amdhsa_kernel
	.section	.text._ZN7rocprim17ROCPRIM_400000_NS6detail17trampoline_kernelINS0_14default_configENS1_25partition_config_selectorILNS1_17partition_subalgoE2EiNS0_10empty_typeEbEEZZNS1_14partition_implILS5_2ELb0ES3_jN6thrust23THRUST_200600_302600_NS6detail15normal_iteratorINSA_7pointerIiNSA_11hip_rocprim3tagENSA_11use_defaultESG_EEEEPS6_NSA_18transform_iteratorI7is_evenIiENSC_INSA_10device_ptrIiEEEESG_SG_EENS0_5tupleIJPiSJ_EEENSR_IJSJ_SJ_EEES6_PlJS6_EEE10hipError_tPvRmT3_T4_T5_T6_T7_T9_mT8_P12ihipStream_tbDpT10_ENKUlT_T0_E_clISt17integral_constantIbLb1EES1F_EEDaS1A_S1B_EUlS1A_E_NS1_11comp_targetILNS1_3genE5ELNS1_11target_archE942ELNS1_3gpuE9ELNS1_3repE0EEENS1_30default_config_static_selectorELNS0_4arch9wavefront6targetE1EEEvT1_,"axG",@progbits,_ZN7rocprim17ROCPRIM_400000_NS6detail17trampoline_kernelINS0_14default_configENS1_25partition_config_selectorILNS1_17partition_subalgoE2EiNS0_10empty_typeEbEEZZNS1_14partition_implILS5_2ELb0ES3_jN6thrust23THRUST_200600_302600_NS6detail15normal_iteratorINSA_7pointerIiNSA_11hip_rocprim3tagENSA_11use_defaultESG_EEEEPS6_NSA_18transform_iteratorI7is_evenIiENSC_INSA_10device_ptrIiEEEESG_SG_EENS0_5tupleIJPiSJ_EEENSR_IJSJ_SJ_EEES6_PlJS6_EEE10hipError_tPvRmT3_T4_T5_T6_T7_T9_mT8_P12ihipStream_tbDpT10_ENKUlT_T0_E_clISt17integral_constantIbLb1EES1F_EEDaS1A_S1B_EUlS1A_E_NS1_11comp_targetILNS1_3genE5ELNS1_11target_archE942ELNS1_3gpuE9ELNS1_3repE0EEENS1_30default_config_static_selectorELNS0_4arch9wavefront6targetE1EEEvT1_,comdat
.Lfunc_end232:
	.size	_ZN7rocprim17ROCPRIM_400000_NS6detail17trampoline_kernelINS0_14default_configENS1_25partition_config_selectorILNS1_17partition_subalgoE2EiNS0_10empty_typeEbEEZZNS1_14partition_implILS5_2ELb0ES3_jN6thrust23THRUST_200600_302600_NS6detail15normal_iteratorINSA_7pointerIiNSA_11hip_rocprim3tagENSA_11use_defaultESG_EEEEPS6_NSA_18transform_iteratorI7is_evenIiENSC_INSA_10device_ptrIiEEEESG_SG_EENS0_5tupleIJPiSJ_EEENSR_IJSJ_SJ_EEES6_PlJS6_EEE10hipError_tPvRmT3_T4_T5_T6_T7_T9_mT8_P12ihipStream_tbDpT10_ENKUlT_T0_E_clISt17integral_constantIbLb1EES1F_EEDaS1A_S1B_EUlS1A_E_NS1_11comp_targetILNS1_3genE5ELNS1_11target_archE942ELNS1_3gpuE9ELNS1_3repE0EEENS1_30default_config_static_selectorELNS0_4arch9wavefront6targetE1EEEvT1_, .Lfunc_end232-_ZN7rocprim17ROCPRIM_400000_NS6detail17trampoline_kernelINS0_14default_configENS1_25partition_config_selectorILNS1_17partition_subalgoE2EiNS0_10empty_typeEbEEZZNS1_14partition_implILS5_2ELb0ES3_jN6thrust23THRUST_200600_302600_NS6detail15normal_iteratorINSA_7pointerIiNSA_11hip_rocprim3tagENSA_11use_defaultESG_EEEEPS6_NSA_18transform_iteratorI7is_evenIiENSC_INSA_10device_ptrIiEEEESG_SG_EENS0_5tupleIJPiSJ_EEENSR_IJSJ_SJ_EEES6_PlJS6_EEE10hipError_tPvRmT3_T4_T5_T6_T7_T9_mT8_P12ihipStream_tbDpT10_ENKUlT_T0_E_clISt17integral_constantIbLb1EES1F_EEDaS1A_S1B_EUlS1A_E_NS1_11comp_targetILNS1_3genE5ELNS1_11target_archE942ELNS1_3gpuE9ELNS1_3repE0EEENS1_30default_config_static_selectorELNS0_4arch9wavefront6targetE1EEEvT1_
                                        ; -- End function
	.section	.AMDGPU.csdata,"",@progbits
; Kernel info:
; codeLenInByte = 8760
; NumSgprs: 52
; NumVgprs: 67
; NumAgprs: 0
; TotalNumVgprs: 67
; ScratchSize: 0
; MemoryBound: 0
; FloatMode: 240
; IeeeMode: 1
; LDSByteSize: 30728 bytes/workgroup (compile time only)
; SGPRBlocks: 6
; VGPRBlocks: 8
; NumSGPRsForWavesPerEU: 52
; NumVGPRsForWavesPerEU: 67
; AccumOffset: 68
; Occupancy: 4
; WaveLimiterHint : 1
; COMPUTE_PGM_RSRC2:SCRATCH_EN: 0
; COMPUTE_PGM_RSRC2:USER_SGPR: 2
; COMPUTE_PGM_RSRC2:TRAP_HANDLER: 0
; COMPUTE_PGM_RSRC2:TGID_X_EN: 1
; COMPUTE_PGM_RSRC2:TGID_Y_EN: 0
; COMPUTE_PGM_RSRC2:TGID_Z_EN: 0
; COMPUTE_PGM_RSRC2:TIDIG_COMP_CNT: 0
; COMPUTE_PGM_RSRC3_GFX90A:ACCUM_OFFSET: 16
; COMPUTE_PGM_RSRC3_GFX90A:TG_SPLIT: 0
	.section	.text._ZN7rocprim17ROCPRIM_400000_NS6detail17trampoline_kernelINS0_14default_configENS1_25partition_config_selectorILNS1_17partition_subalgoE2EiNS0_10empty_typeEbEEZZNS1_14partition_implILS5_2ELb0ES3_jN6thrust23THRUST_200600_302600_NS6detail15normal_iteratorINSA_7pointerIiNSA_11hip_rocprim3tagENSA_11use_defaultESG_EEEEPS6_NSA_18transform_iteratorI7is_evenIiENSC_INSA_10device_ptrIiEEEESG_SG_EENS0_5tupleIJPiSJ_EEENSR_IJSJ_SJ_EEES6_PlJS6_EEE10hipError_tPvRmT3_T4_T5_T6_T7_T9_mT8_P12ihipStream_tbDpT10_ENKUlT_T0_E_clISt17integral_constantIbLb1EES1F_EEDaS1A_S1B_EUlS1A_E_NS1_11comp_targetILNS1_3genE4ELNS1_11target_archE910ELNS1_3gpuE8ELNS1_3repE0EEENS1_30default_config_static_selectorELNS0_4arch9wavefront6targetE1EEEvT1_,"axG",@progbits,_ZN7rocprim17ROCPRIM_400000_NS6detail17trampoline_kernelINS0_14default_configENS1_25partition_config_selectorILNS1_17partition_subalgoE2EiNS0_10empty_typeEbEEZZNS1_14partition_implILS5_2ELb0ES3_jN6thrust23THRUST_200600_302600_NS6detail15normal_iteratorINSA_7pointerIiNSA_11hip_rocprim3tagENSA_11use_defaultESG_EEEEPS6_NSA_18transform_iteratorI7is_evenIiENSC_INSA_10device_ptrIiEEEESG_SG_EENS0_5tupleIJPiSJ_EEENSR_IJSJ_SJ_EEES6_PlJS6_EEE10hipError_tPvRmT3_T4_T5_T6_T7_T9_mT8_P12ihipStream_tbDpT10_ENKUlT_T0_E_clISt17integral_constantIbLb1EES1F_EEDaS1A_S1B_EUlS1A_E_NS1_11comp_targetILNS1_3genE4ELNS1_11target_archE910ELNS1_3gpuE8ELNS1_3repE0EEENS1_30default_config_static_selectorELNS0_4arch9wavefront6targetE1EEEvT1_,comdat
	.protected	_ZN7rocprim17ROCPRIM_400000_NS6detail17trampoline_kernelINS0_14default_configENS1_25partition_config_selectorILNS1_17partition_subalgoE2EiNS0_10empty_typeEbEEZZNS1_14partition_implILS5_2ELb0ES3_jN6thrust23THRUST_200600_302600_NS6detail15normal_iteratorINSA_7pointerIiNSA_11hip_rocprim3tagENSA_11use_defaultESG_EEEEPS6_NSA_18transform_iteratorI7is_evenIiENSC_INSA_10device_ptrIiEEEESG_SG_EENS0_5tupleIJPiSJ_EEENSR_IJSJ_SJ_EEES6_PlJS6_EEE10hipError_tPvRmT3_T4_T5_T6_T7_T9_mT8_P12ihipStream_tbDpT10_ENKUlT_T0_E_clISt17integral_constantIbLb1EES1F_EEDaS1A_S1B_EUlS1A_E_NS1_11comp_targetILNS1_3genE4ELNS1_11target_archE910ELNS1_3gpuE8ELNS1_3repE0EEENS1_30default_config_static_selectorELNS0_4arch9wavefront6targetE1EEEvT1_ ; -- Begin function _ZN7rocprim17ROCPRIM_400000_NS6detail17trampoline_kernelINS0_14default_configENS1_25partition_config_selectorILNS1_17partition_subalgoE2EiNS0_10empty_typeEbEEZZNS1_14partition_implILS5_2ELb0ES3_jN6thrust23THRUST_200600_302600_NS6detail15normal_iteratorINSA_7pointerIiNSA_11hip_rocprim3tagENSA_11use_defaultESG_EEEEPS6_NSA_18transform_iteratorI7is_evenIiENSC_INSA_10device_ptrIiEEEESG_SG_EENS0_5tupleIJPiSJ_EEENSR_IJSJ_SJ_EEES6_PlJS6_EEE10hipError_tPvRmT3_T4_T5_T6_T7_T9_mT8_P12ihipStream_tbDpT10_ENKUlT_T0_E_clISt17integral_constantIbLb1EES1F_EEDaS1A_S1B_EUlS1A_E_NS1_11comp_targetILNS1_3genE4ELNS1_11target_archE910ELNS1_3gpuE8ELNS1_3repE0EEENS1_30default_config_static_selectorELNS0_4arch9wavefront6targetE1EEEvT1_
	.globl	_ZN7rocprim17ROCPRIM_400000_NS6detail17trampoline_kernelINS0_14default_configENS1_25partition_config_selectorILNS1_17partition_subalgoE2EiNS0_10empty_typeEbEEZZNS1_14partition_implILS5_2ELb0ES3_jN6thrust23THRUST_200600_302600_NS6detail15normal_iteratorINSA_7pointerIiNSA_11hip_rocprim3tagENSA_11use_defaultESG_EEEEPS6_NSA_18transform_iteratorI7is_evenIiENSC_INSA_10device_ptrIiEEEESG_SG_EENS0_5tupleIJPiSJ_EEENSR_IJSJ_SJ_EEES6_PlJS6_EEE10hipError_tPvRmT3_T4_T5_T6_T7_T9_mT8_P12ihipStream_tbDpT10_ENKUlT_T0_E_clISt17integral_constantIbLb1EES1F_EEDaS1A_S1B_EUlS1A_E_NS1_11comp_targetILNS1_3genE4ELNS1_11target_archE910ELNS1_3gpuE8ELNS1_3repE0EEENS1_30default_config_static_selectorELNS0_4arch9wavefront6targetE1EEEvT1_
	.p2align	8
	.type	_ZN7rocprim17ROCPRIM_400000_NS6detail17trampoline_kernelINS0_14default_configENS1_25partition_config_selectorILNS1_17partition_subalgoE2EiNS0_10empty_typeEbEEZZNS1_14partition_implILS5_2ELb0ES3_jN6thrust23THRUST_200600_302600_NS6detail15normal_iteratorINSA_7pointerIiNSA_11hip_rocprim3tagENSA_11use_defaultESG_EEEEPS6_NSA_18transform_iteratorI7is_evenIiENSC_INSA_10device_ptrIiEEEESG_SG_EENS0_5tupleIJPiSJ_EEENSR_IJSJ_SJ_EEES6_PlJS6_EEE10hipError_tPvRmT3_T4_T5_T6_T7_T9_mT8_P12ihipStream_tbDpT10_ENKUlT_T0_E_clISt17integral_constantIbLb1EES1F_EEDaS1A_S1B_EUlS1A_E_NS1_11comp_targetILNS1_3genE4ELNS1_11target_archE910ELNS1_3gpuE8ELNS1_3repE0EEENS1_30default_config_static_selectorELNS0_4arch9wavefront6targetE1EEEvT1_,@function
_ZN7rocprim17ROCPRIM_400000_NS6detail17trampoline_kernelINS0_14default_configENS1_25partition_config_selectorILNS1_17partition_subalgoE2EiNS0_10empty_typeEbEEZZNS1_14partition_implILS5_2ELb0ES3_jN6thrust23THRUST_200600_302600_NS6detail15normal_iteratorINSA_7pointerIiNSA_11hip_rocprim3tagENSA_11use_defaultESG_EEEEPS6_NSA_18transform_iteratorI7is_evenIiENSC_INSA_10device_ptrIiEEEESG_SG_EENS0_5tupleIJPiSJ_EEENSR_IJSJ_SJ_EEES6_PlJS6_EEE10hipError_tPvRmT3_T4_T5_T6_T7_T9_mT8_P12ihipStream_tbDpT10_ENKUlT_T0_E_clISt17integral_constantIbLb1EES1F_EEDaS1A_S1B_EUlS1A_E_NS1_11comp_targetILNS1_3genE4ELNS1_11target_archE910ELNS1_3gpuE8ELNS1_3repE0EEENS1_30default_config_static_selectorELNS0_4arch9wavefront6targetE1EEEvT1_: ; @_ZN7rocprim17ROCPRIM_400000_NS6detail17trampoline_kernelINS0_14default_configENS1_25partition_config_selectorILNS1_17partition_subalgoE2EiNS0_10empty_typeEbEEZZNS1_14partition_implILS5_2ELb0ES3_jN6thrust23THRUST_200600_302600_NS6detail15normal_iteratorINSA_7pointerIiNSA_11hip_rocprim3tagENSA_11use_defaultESG_EEEEPS6_NSA_18transform_iteratorI7is_evenIiENSC_INSA_10device_ptrIiEEEESG_SG_EENS0_5tupleIJPiSJ_EEENSR_IJSJ_SJ_EEES6_PlJS6_EEE10hipError_tPvRmT3_T4_T5_T6_T7_T9_mT8_P12ihipStream_tbDpT10_ENKUlT_T0_E_clISt17integral_constantIbLb1EES1F_EEDaS1A_S1B_EUlS1A_E_NS1_11comp_targetILNS1_3genE4ELNS1_11target_archE910ELNS1_3gpuE8ELNS1_3repE0EEENS1_30default_config_static_selectorELNS0_4arch9wavefront6targetE1EEEvT1_
; %bb.0:
	.section	.rodata,"a",@progbits
	.p2align	6, 0x0
	.amdhsa_kernel _ZN7rocprim17ROCPRIM_400000_NS6detail17trampoline_kernelINS0_14default_configENS1_25partition_config_selectorILNS1_17partition_subalgoE2EiNS0_10empty_typeEbEEZZNS1_14partition_implILS5_2ELb0ES3_jN6thrust23THRUST_200600_302600_NS6detail15normal_iteratorINSA_7pointerIiNSA_11hip_rocprim3tagENSA_11use_defaultESG_EEEEPS6_NSA_18transform_iteratorI7is_evenIiENSC_INSA_10device_ptrIiEEEESG_SG_EENS0_5tupleIJPiSJ_EEENSR_IJSJ_SJ_EEES6_PlJS6_EEE10hipError_tPvRmT3_T4_T5_T6_T7_T9_mT8_P12ihipStream_tbDpT10_ENKUlT_T0_E_clISt17integral_constantIbLb1EES1F_EEDaS1A_S1B_EUlS1A_E_NS1_11comp_targetILNS1_3genE4ELNS1_11target_archE910ELNS1_3gpuE8ELNS1_3repE0EEENS1_30default_config_static_selectorELNS0_4arch9wavefront6targetE1EEEvT1_
		.amdhsa_group_segment_fixed_size 0
		.amdhsa_private_segment_fixed_size 0
		.amdhsa_kernarg_size 144
		.amdhsa_user_sgpr_count 2
		.amdhsa_user_sgpr_dispatch_ptr 0
		.amdhsa_user_sgpr_queue_ptr 0
		.amdhsa_user_sgpr_kernarg_segment_ptr 1
		.amdhsa_user_sgpr_dispatch_id 0
		.amdhsa_user_sgpr_kernarg_preload_length 0
		.amdhsa_user_sgpr_kernarg_preload_offset 0
		.amdhsa_user_sgpr_private_segment_size 0
		.amdhsa_uses_dynamic_stack 0
		.amdhsa_enable_private_segment 0
		.amdhsa_system_sgpr_workgroup_id_x 1
		.amdhsa_system_sgpr_workgroup_id_y 0
		.amdhsa_system_sgpr_workgroup_id_z 0
		.amdhsa_system_sgpr_workgroup_info 0
		.amdhsa_system_vgpr_workitem_id 0
		.amdhsa_next_free_vgpr 1
		.amdhsa_next_free_sgpr 0
		.amdhsa_accum_offset 4
		.amdhsa_reserve_vcc 0
		.amdhsa_float_round_mode_32 0
		.amdhsa_float_round_mode_16_64 0
		.amdhsa_float_denorm_mode_32 3
		.amdhsa_float_denorm_mode_16_64 3
		.amdhsa_dx10_clamp 1
		.amdhsa_ieee_mode 1
		.amdhsa_fp16_overflow 0
		.amdhsa_tg_split 0
		.amdhsa_exception_fp_ieee_invalid_op 0
		.amdhsa_exception_fp_denorm_src 0
		.amdhsa_exception_fp_ieee_div_zero 0
		.amdhsa_exception_fp_ieee_overflow 0
		.amdhsa_exception_fp_ieee_underflow 0
		.amdhsa_exception_fp_ieee_inexact 0
		.amdhsa_exception_int_div_zero 0
	.end_amdhsa_kernel
	.section	.text._ZN7rocprim17ROCPRIM_400000_NS6detail17trampoline_kernelINS0_14default_configENS1_25partition_config_selectorILNS1_17partition_subalgoE2EiNS0_10empty_typeEbEEZZNS1_14partition_implILS5_2ELb0ES3_jN6thrust23THRUST_200600_302600_NS6detail15normal_iteratorINSA_7pointerIiNSA_11hip_rocprim3tagENSA_11use_defaultESG_EEEEPS6_NSA_18transform_iteratorI7is_evenIiENSC_INSA_10device_ptrIiEEEESG_SG_EENS0_5tupleIJPiSJ_EEENSR_IJSJ_SJ_EEES6_PlJS6_EEE10hipError_tPvRmT3_T4_T5_T6_T7_T9_mT8_P12ihipStream_tbDpT10_ENKUlT_T0_E_clISt17integral_constantIbLb1EES1F_EEDaS1A_S1B_EUlS1A_E_NS1_11comp_targetILNS1_3genE4ELNS1_11target_archE910ELNS1_3gpuE8ELNS1_3repE0EEENS1_30default_config_static_selectorELNS0_4arch9wavefront6targetE1EEEvT1_,"axG",@progbits,_ZN7rocprim17ROCPRIM_400000_NS6detail17trampoline_kernelINS0_14default_configENS1_25partition_config_selectorILNS1_17partition_subalgoE2EiNS0_10empty_typeEbEEZZNS1_14partition_implILS5_2ELb0ES3_jN6thrust23THRUST_200600_302600_NS6detail15normal_iteratorINSA_7pointerIiNSA_11hip_rocprim3tagENSA_11use_defaultESG_EEEEPS6_NSA_18transform_iteratorI7is_evenIiENSC_INSA_10device_ptrIiEEEESG_SG_EENS0_5tupleIJPiSJ_EEENSR_IJSJ_SJ_EEES6_PlJS6_EEE10hipError_tPvRmT3_T4_T5_T6_T7_T9_mT8_P12ihipStream_tbDpT10_ENKUlT_T0_E_clISt17integral_constantIbLb1EES1F_EEDaS1A_S1B_EUlS1A_E_NS1_11comp_targetILNS1_3genE4ELNS1_11target_archE910ELNS1_3gpuE8ELNS1_3repE0EEENS1_30default_config_static_selectorELNS0_4arch9wavefront6targetE1EEEvT1_,comdat
.Lfunc_end233:
	.size	_ZN7rocprim17ROCPRIM_400000_NS6detail17trampoline_kernelINS0_14default_configENS1_25partition_config_selectorILNS1_17partition_subalgoE2EiNS0_10empty_typeEbEEZZNS1_14partition_implILS5_2ELb0ES3_jN6thrust23THRUST_200600_302600_NS6detail15normal_iteratorINSA_7pointerIiNSA_11hip_rocprim3tagENSA_11use_defaultESG_EEEEPS6_NSA_18transform_iteratorI7is_evenIiENSC_INSA_10device_ptrIiEEEESG_SG_EENS0_5tupleIJPiSJ_EEENSR_IJSJ_SJ_EEES6_PlJS6_EEE10hipError_tPvRmT3_T4_T5_T6_T7_T9_mT8_P12ihipStream_tbDpT10_ENKUlT_T0_E_clISt17integral_constantIbLb1EES1F_EEDaS1A_S1B_EUlS1A_E_NS1_11comp_targetILNS1_3genE4ELNS1_11target_archE910ELNS1_3gpuE8ELNS1_3repE0EEENS1_30default_config_static_selectorELNS0_4arch9wavefront6targetE1EEEvT1_, .Lfunc_end233-_ZN7rocprim17ROCPRIM_400000_NS6detail17trampoline_kernelINS0_14default_configENS1_25partition_config_selectorILNS1_17partition_subalgoE2EiNS0_10empty_typeEbEEZZNS1_14partition_implILS5_2ELb0ES3_jN6thrust23THRUST_200600_302600_NS6detail15normal_iteratorINSA_7pointerIiNSA_11hip_rocprim3tagENSA_11use_defaultESG_EEEEPS6_NSA_18transform_iteratorI7is_evenIiENSC_INSA_10device_ptrIiEEEESG_SG_EENS0_5tupleIJPiSJ_EEENSR_IJSJ_SJ_EEES6_PlJS6_EEE10hipError_tPvRmT3_T4_T5_T6_T7_T9_mT8_P12ihipStream_tbDpT10_ENKUlT_T0_E_clISt17integral_constantIbLb1EES1F_EEDaS1A_S1B_EUlS1A_E_NS1_11comp_targetILNS1_3genE4ELNS1_11target_archE910ELNS1_3gpuE8ELNS1_3repE0EEENS1_30default_config_static_selectorELNS0_4arch9wavefront6targetE1EEEvT1_
                                        ; -- End function
	.section	.AMDGPU.csdata,"",@progbits
; Kernel info:
; codeLenInByte = 0
; NumSgprs: 6
; NumVgprs: 0
; NumAgprs: 0
; TotalNumVgprs: 0
; ScratchSize: 0
; MemoryBound: 0
; FloatMode: 240
; IeeeMode: 1
; LDSByteSize: 0 bytes/workgroup (compile time only)
; SGPRBlocks: 0
; VGPRBlocks: 0
; NumSGPRsForWavesPerEU: 6
; NumVGPRsForWavesPerEU: 1
; AccumOffset: 4
; Occupancy: 8
; WaveLimiterHint : 0
; COMPUTE_PGM_RSRC2:SCRATCH_EN: 0
; COMPUTE_PGM_RSRC2:USER_SGPR: 2
; COMPUTE_PGM_RSRC2:TRAP_HANDLER: 0
; COMPUTE_PGM_RSRC2:TGID_X_EN: 1
; COMPUTE_PGM_RSRC2:TGID_Y_EN: 0
; COMPUTE_PGM_RSRC2:TGID_Z_EN: 0
; COMPUTE_PGM_RSRC2:TIDIG_COMP_CNT: 0
; COMPUTE_PGM_RSRC3_GFX90A:ACCUM_OFFSET: 0
; COMPUTE_PGM_RSRC3_GFX90A:TG_SPLIT: 0
	.section	.text._ZN7rocprim17ROCPRIM_400000_NS6detail17trampoline_kernelINS0_14default_configENS1_25partition_config_selectorILNS1_17partition_subalgoE2EiNS0_10empty_typeEbEEZZNS1_14partition_implILS5_2ELb0ES3_jN6thrust23THRUST_200600_302600_NS6detail15normal_iteratorINSA_7pointerIiNSA_11hip_rocprim3tagENSA_11use_defaultESG_EEEEPS6_NSA_18transform_iteratorI7is_evenIiENSC_INSA_10device_ptrIiEEEESG_SG_EENS0_5tupleIJPiSJ_EEENSR_IJSJ_SJ_EEES6_PlJS6_EEE10hipError_tPvRmT3_T4_T5_T6_T7_T9_mT8_P12ihipStream_tbDpT10_ENKUlT_T0_E_clISt17integral_constantIbLb1EES1F_EEDaS1A_S1B_EUlS1A_E_NS1_11comp_targetILNS1_3genE3ELNS1_11target_archE908ELNS1_3gpuE7ELNS1_3repE0EEENS1_30default_config_static_selectorELNS0_4arch9wavefront6targetE1EEEvT1_,"axG",@progbits,_ZN7rocprim17ROCPRIM_400000_NS6detail17trampoline_kernelINS0_14default_configENS1_25partition_config_selectorILNS1_17partition_subalgoE2EiNS0_10empty_typeEbEEZZNS1_14partition_implILS5_2ELb0ES3_jN6thrust23THRUST_200600_302600_NS6detail15normal_iteratorINSA_7pointerIiNSA_11hip_rocprim3tagENSA_11use_defaultESG_EEEEPS6_NSA_18transform_iteratorI7is_evenIiENSC_INSA_10device_ptrIiEEEESG_SG_EENS0_5tupleIJPiSJ_EEENSR_IJSJ_SJ_EEES6_PlJS6_EEE10hipError_tPvRmT3_T4_T5_T6_T7_T9_mT8_P12ihipStream_tbDpT10_ENKUlT_T0_E_clISt17integral_constantIbLb1EES1F_EEDaS1A_S1B_EUlS1A_E_NS1_11comp_targetILNS1_3genE3ELNS1_11target_archE908ELNS1_3gpuE7ELNS1_3repE0EEENS1_30default_config_static_selectorELNS0_4arch9wavefront6targetE1EEEvT1_,comdat
	.protected	_ZN7rocprim17ROCPRIM_400000_NS6detail17trampoline_kernelINS0_14default_configENS1_25partition_config_selectorILNS1_17partition_subalgoE2EiNS0_10empty_typeEbEEZZNS1_14partition_implILS5_2ELb0ES3_jN6thrust23THRUST_200600_302600_NS6detail15normal_iteratorINSA_7pointerIiNSA_11hip_rocprim3tagENSA_11use_defaultESG_EEEEPS6_NSA_18transform_iteratorI7is_evenIiENSC_INSA_10device_ptrIiEEEESG_SG_EENS0_5tupleIJPiSJ_EEENSR_IJSJ_SJ_EEES6_PlJS6_EEE10hipError_tPvRmT3_T4_T5_T6_T7_T9_mT8_P12ihipStream_tbDpT10_ENKUlT_T0_E_clISt17integral_constantIbLb1EES1F_EEDaS1A_S1B_EUlS1A_E_NS1_11comp_targetILNS1_3genE3ELNS1_11target_archE908ELNS1_3gpuE7ELNS1_3repE0EEENS1_30default_config_static_selectorELNS0_4arch9wavefront6targetE1EEEvT1_ ; -- Begin function _ZN7rocprim17ROCPRIM_400000_NS6detail17trampoline_kernelINS0_14default_configENS1_25partition_config_selectorILNS1_17partition_subalgoE2EiNS0_10empty_typeEbEEZZNS1_14partition_implILS5_2ELb0ES3_jN6thrust23THRUST_200600_302600_NS6detail15normal_iteratorINSA_7pointerIiNSA_11hip_rocprim3tagENSA_11use_defaultESG_EEEEPS6_NSA_18transform_iteratorI7is_evenIiENSC_INSA_10device_ptrIiEEEESG_SG_EENS0_5tupleIJPiSJ_EEENSR_IJSJ_SJ_EEES6_PlJS6_EEE10hipError_tPvRmT3_T4_T5_T6_T7_T9_mT8_P12ihipStream_tbDpT10_ENKUlT_T0_E_clISt17integral_constantIbLb1EES1F_EEDaS1A_S1B_EUlS1A_E_NS1_11comp_targetILNS1_3genE3ELNS1_11target_archE908ELNS1_3gpuE7ELNS1_3repE0EEENS1_30default_config_static_selectorELNS0_4arch9wavefront6targetE1EEEvT1_
	.globl	_ZN7rocprim17ROCPRIM_400000_NS6detail17trampoline_kernelINS0_14default_configENS1_25partition_config_selectorILNS1_17partition_subalgoE2EiNS0_10empty_typeEbEEZZNS1_14partition_implILS5_2ELb0ES3_jN6thrust23THRUST_200600_302600_NS6detail15normal_iteratorINSA_7pointerIiNSA_11hip_rocprim3tagENSA_11use_defaultESG_EEEEPS6_NSA_18transform_iteratorI7is_evenIiENSC_INSA_10device_ptrIiEEEESG_SG_EENS0_5tupleIJPiSJ_EEENSR_IJSJ_SJ_EEES6_PlJS6_EEE10hipError_tPvRmT3_T4_T5_T6_T7_T9_mT8_P12ihipStream_tbDpT10_ENKUlT_T0_E_clISt17integral_constantIbLb1EES1F_EEDaS1A_S1B_EUlS1A_E_NS1_11comp_targetILNS1_3genE3ELNS1_11target_archE908ELNS1_3gpuE7ELNS1_3repE0EEENS1_30default_config_static_selectorELNS0_4arch9wavefront6targetE1EEEvT1_
	.p2align	8
	.type	_ZN7rocprim17ROCPRIM_400000_NS6detail17trampoline_kernelINS0_14default_configENS1_25partition_config_selectorILNS1_17partition_subalgoE2EiNS0_10empty_typeEbEEZZNS1_14partition_implILS5_2ELb0ES3_jN6thrust23THRUST_200600_302600_NS6detail15normal_iteratorINSA_7pointerIiNSA_11hip_rocprim3tagENSA_11use_defaultESG_EEEEPS6_NSA_18transform_iteratorI7is_evenIiENSC_INSA_10device_ptrIiEEEESG_SG_EENS0_5tupleIJPiSJ_EEENSR_IJSJ_SJ_EEES6_PlJS6_EEE10hipError_tPvRmT3_T4_T5_T6_T7_T9_mT8_P12ihipStream_tbDpT10_ENKUlT_T0_E_clISt17integral_constantIbLb1EES1F_EEDaS1A_S1B_EUlS1A_E_NS1_11comp_targetILNS1_3genE3ELNS1_11target_archE908ELNS1_3gpuE7ELNS1_3repE0EEENS1_30default_config_static_selectorELNS0_4arch9wavefront6targetE1EEEvT1_,@function
_ZN7rocprim17ROCPRIM_400000_NS6detail17trampoline_kernelINS0_14default_configENS1_25partition_config_selectorILNS1_17partition_subalgoE2EiNS0_10empty_typeEbEEZZNS1_14partition_implILS5_2ELb0ES3_jN6thrust23THRUST_200600_302600_NS6detail15normal_iteratorINSA_7pointerIiNSA_11hip_rocprim3tagENSA_11use_defaultESG_EEEEPS6_NSA_18transform_iteratorI7is_evenIiENSC_INSA_10device_ptrIiEEEESG_SG_EENS0_5tupleIJPiSJ_EEENSR_IJSJ_SJ_EEES6_PlJS6_EEE10hipError_tPvRmT3_T4_T5_T6_T7_T9_mT8_P12ihipStream_tbDpT10_ENKUlT_T0_E_clISt17integral_constantIbLb1EES1F_EEDaS1A_S1B_EUlS1A_E_NS1_11comp_targetILNS1_3genE3ELNS1_11target_archE908ELNS1_3gpuE7ELNS1_3repE0EEENS1_30default_config_static_selectorELNS0_4arch9wavefront6targetE1EEEvT1_: ; @_ZN7rocprim17ROCPRIM_400000_NS6detail17trampoline_kernelINS0_14default_configENS1_25partition_config_selectorILNS1_17partition_subalgoE2EiNS0_10empty_typeEbEEZZNS1_14partition_implILS5_2ELb0ES3_jN6thrust23THRUST_200600_302600_NS6detail15normal_iteratorINSA_7pointerIiNSA_11hip_rocprim3tagENSA_11use_defaultESG_EEEEPS6_NSA_18transform_iteratorI7is_evenIiENSC_INSA_10device_ptrIiEEEESG_SG_EENS0_5tupleIJPiSJ_EEENSR_IJSJ_SJ_EEES6_PlJS6_EEE10hipError_tPvRmT3_T4_T5_T6_T7_T9_mT8_P12ihipStream_tbDpT10_ENKUlT_T0_E_clISt17integral_constantIbLb1EES1F_EEDaS1A_S1B_EUlS1A_E_NS1_11comp_targetILNS1_3genE3ELNS1_11target_archE908ELNS1_3gpuE7ELNS1_3repE0EEENS1_30default_config_static_selectorELNS0_4arch9wavefront6targetE1EEEvT1_
; %bb.0:
	.section	.rodata,"a",@progbits
	.p2align	6, 0x0
	.amdhsa_kernel _ZN7rocprim17ROCPRIM_400000_NS6detail17trampoline_kernelINS0_14default_configENS1_25partition_config_selectorILNS1_17partition_subalgoE2EiNS0_10empty_typeEbEEZZNS1_14partition_implILS5_2ELb0ES3_jN6thrust23THRUST_200600_302600_NS6detail15normal_iteratorINSA_7pointerIiNSA_11hip_rocprim3tagENSA_11use_defaultESG_EEEEPS6_NSA_18transform_iteratorI7is_evenIiENSC_INSA_10device_ptrIiEEEESG_SG_EENS0_5tupleIJPiSJ_EEENSR_IJSJ_SJ_EEES6_PlJS6_EEE10hipError_tPvRmT3_T4_T5_T6_T7_T9_mT8_P12ihipStream_tbDpT10_ENKUlT_T0_E_clISt17integral_constantIbLb1EES1F_EEDaS1A_S1B_EUlS1A_E_NS1_11comp_targetILNS1_3genE3ELNS1_11target_archE908ELNS1_3gpuE7ELNS1_3repE0EEENS1_30default_config_static_selectorELNS0_4arch9wavefront6targetE1EEEvT1_
		.amdhsa_group_segment_fixed_size 0
		.amdhsa_private_segment_fixed_size 0
		.amdhsa_kernarg_size 144
		.amdhsa_user_sgpr_count 2
		.amdhsa_user_sgpr_dispatch_ptr 0
		.amdhsa_user_sgpr_queue_ptr 0
		.amdhsa_user_sgpr_kernarg_segment_ptr 1
		.amdhsa_user_sgpr_dispatch_id 0
		.amdhsa_user_sgpr_kernarg_preload_length 0
		.amdhsa_user_sgpr_kernarg_preload_offset 0
		.amdhsa_user_sgpr_private_segment_size 0
		.amdhsa_uses_dynamic_stack 0
		.amdhsa_enable_private_segment 0
		.amdhsa_system_sgpr_workgroup_id_x 1
		.amdhsa_system_sgpr_workgroup_id_y 0
		.amdhsa_system_sgpr_workgroup_id_z 0
		.amdhsa_system_sgpr_workgroup_info 0
		.amdhsa_system_vgpr_workitem_id 0
		.amdhsa_next_free_vgpr 1
		.amdhsa_next_free_sgpr 0
		.amdhsa_accum_offset 4
		.amdhsa_reserve_vcc 0
		.amdhsa_float_round_mode_32 0
		.amdhsa_float_round_mode_16_64 0
		.amdhsa_float_denorm_mode_32 3
		.amdhsa_float_denorm_mode_16_64 3
		.amdhsa_dx10_clamp 1
		.amdhsa_ieee_mode 1
		.amdhsa_fp16_overflow 0
		.amdhsa_tg_split 0
		.amdhsa_exception_fp_ieee_invalid_op 0
		.amdhsa_exception_fp_denorm_src 0
		.amdhsa_exception_fp_ieee_div_zero 0
		.amdhsa_exception_fp_ieee_overflow 0
		.amdhsa_exception_fp_ieee_underflow 0
		.amdhsa_exception_fp_ieee_inexact 0
		.amdhsa_exception_int_div_zero 0
	.end_amdhsa_kernel
	.section	.text._ZN7rocprim17ROCPRIM_400000_NS6detail17trampoline_kernelINS0_14default_configENS1_25partition_config_selectorILNS1_17partition_subalgoE2EiNS0_10empty_typeEbEEZZNS1_14partition_implILS5_2ELb0ES3_jN6thrust23THRUST_200600_302600_NS6detail15normal_iteratorINSA_7pointerIiNSA_11hip_rocprim3tagENSA_11use_defaultESG_EEEEPS6_NSA_18transform_iteratorI7is_evenIiENSC_INSA_10device_ptrIiEEEESG_SG_EENS0_5tupleIJPiSJ_EEENSR_IJSJ_SJ_EEES6_PlJS6_EEE10hipError_tPvRmT3_T4_T5_T6_T7_T9_mT8_P12ihipStream_tbDpT10_ENKUlT_T0_E_clISt17integral_constantIbLb1EES1F_EEDaS1A_S1B_EUlS1A_E_NS1_11comp_targetILNS1_3genE3ELNS1_11target_archE908ELNS1_3gpuE7ELNS1_3repE0EEENS1_30default_config_static_selectorELNS0_4arch9wavefront6targetE1EEEvT1_,"axG",@progbits,_ZN7rocprim17ROCPRIM_400000_NS6detail17trampoline_kernelINS0_14default_configENS1_25partition_config_selectorILNS1_17partition_subalgoE2EiNS0_10empty_typeEbEEZZNS1_14partition_implILS5_2ELb0ES3_jN6thrust23THRUST_200600_302600_NS6detail15normal_iteratorINSA_7pointerIiNSA_11hip_rocprim3tagENSA_11use_defaultESG_EEEEPS6_NSA_18transform_iteratorI7is_evenIiENSC_INSA_10device_ptrIiEEEESG_SG_EENS0_5tupleIJPiSJ_EEENSR_IJSJ_SJ_EEES6_PlJS6_EEE10hipError_tPvRmT3_T4_T5_T6_T7_T9_mT8_P12ihipStream_tbDpT10_ENKUlT_T0_E_clISt17integral_constantIbLb1EES1F_EEDaS1A_S1B_EUlS1A_E_NS1_11comp_targetILNS1_3genE3ELNS1_11target_archE908ELNS1_3gpuE7ELNS1_3repE0EEENS1_30default_config_static_selectorELNS0_4arch9wavefront6targetE1EEEvT1_,comdat
.Lfunc_end234:
	.size	_ZN7rocprim17ROCPRIM_400000_NS6detail17trampoline_kernelINS0_14default_configENS1_25partition_config_selectorILNS1_17partition_subalgoE2EiNS0_10empty_typeEbEEZZNS1_14partition_implILS5_2ELb0ES3_jN6thrust23THRUST_200600_302600_NS6detail15normal_iteratorINSA_7pointerIiNSA_11hip_rocprim3tagENSA_11use_defaultESG_EEEEPS6_NSA_18transform_iteratorI7is_evenIiENSC_INSA_10device_ptrIiEEEESG_SG_EENS0_5tupleIJPiSJ_EEENSR_IJSJ_SJ_EEES6_PlJS6_EEE10hipError_tPvRmT3_T4_T5_T6_T7_T9_mT8_P12ihipStream_tbDpT10_ENKUlT_T0_E_clISt17integral_constantIbLb1EES1F_EEDaS1A_S1B_EUlS1A_E_NS1_11comp_targetILNS1_3genE3ELNS1_11target_archE908ELNS1_3gpuE7ELNS1_3repE0EEENS1_30default_config_static_selectorELNS0_4arch9wavefront6targetE1EEEvT1_, .Lfunc_end234-_ZN7rocprim17ROCPRIM_400000_NS6detail17trampoline_kernelINS0_14default_configENS1_25partition_config_selectorILNS1_17partition_subalgoE2EiNS0_10empty_typeEbEEZZNS1_14partition_implILS5_2ELb0ES3_jN6thrust23THRUST_200600_302600_NS6detail15normal_iteratorINSA_7pointerIiNSA_11hip_rocprim3tagENSA_11use_defaultESG_EEEEPS6_NSA_18transform_iteratorI7is_evenIiENSC_INSA_10device_ptrIiEEEESG_SG_EENS0_5tupleIJPiSJ_EEENSR_IJSJ_SJ_EEES6_PlJS6_EEE10hipError_tPvRmT3_T4_T5_T6_T7_T9_mT8_P12ihipStream_tbDpT10_ENKUlT_T0_E_clISt17integral_constantIbLb1EES1F_EEDaS1A_S1B_EUlS1A_E_NS1_11comp_targetILNS1_3genE3ELNS1_11target_archE908ELNS1_3gpuE7ELNS1_3repE0EEENS1_30default_config_static_selectorELNS0_4arch9wavefront6targetE1EEEvT1_
                                        ; -- End function
	.section	.AMDGPU.csdata,"",@progbits
; Kernel info:
; codeLenInByte = 0
; NumSgprs: 6
; NumVgprs: 0
; NumAgprs: 0
; TotalNumVgprs: 0
; ScratchSize: 0
; MemoryBound: 0
; FloatMode: 240
; IeeeMode: 1
; LDSByteSize: 0 bytes/workgroup (compile time only)
; SGPRBlocks: 0
; VGPRBlocks: 0
; NumSGPRsForWavesPerEU: 6
; NumVGPRsForWavesPerEU: 1
; AccumOffset: 4
; Occupancy: 8
; WaveLimiterHint : 0
; COMPUTE_PGM_RSRC2:SCRATCH_EN: 0
; COMPUTE_PGM_RSRC2:USER_SGPR: 2
; COMPUTE_PGM_RSRC2:TRAP_HANDLER: 0
; COMPUTE_PGM_RSRC2:TGID_X_EN: 1
; COMPUTE_PGM_RSRC2:TGID_Y_EN: 0
; COMPUTE_PGM_RSRC2:TGID_Z_EN: 0
; COMPUTE_PGM_RSRC2:TIDIG_COMP_CNT: 0
; COMPUTE_PGM_RSRC3_GFX90A:ACCUM_OFFSET: 0
; COMPUTE_PGM_RSRC3_GFX90A:TG_SPLIT: 0
	.section	.text._ZN7rocprim17ROCPRIM_400000_NS6detail17trampoline_kernelINS0_14default_configENS1_25partition_config_selectorILNS1_17partition_subalgoE2EiNS0_10empty_typeEbEEZZNS1_14partition_implILS5_2ELb0ES3_jN6thrust23THRUST_200600_302600_NS6detail15normal_iteratorINSA_7pointerIiNSA_11hip_rocprim3tagENSA_11use_defaultESG_EEEEPS6_NSA_18transform_iteratorI7is_evenIiENSC_INSA_10device_ptrIiEEEESG_SG_EENS0_5tupleIJPiSJ_EEENSR_IJSJ_SJ_EEES6_PlJS6_EEE10hipError_tPvRmT3_T4_T5_T6_T7_T9_mT8_P12ihipStream_tbDpT10_ENKUlT_T0_E_clISt17integral_constantIbLb1EES1F_EEDaS1A_S1B_EUlS1A_E_NS1_11comp_targetILNS1_3genE2ELNS1_11target_archE906ELNS1_3gpuE6ELNS1_3repE0EEENS1_30default_config_static_selectorELNS0_4arch9wavefront6targetE1EEEvT1_,"axG",@progbits,_ZN7rocprim17ROCPRIM_400000_NS6detail17trampoline_kernelINS0_14default_configENS1_25partition_config_selectorILNS1_17partition_subalgoE2EiNS0_10empty_typeEbEEZZNS1_14partition_implILS5_2ELb0ES3_jN6thrust23THRUST_200600_302600_NS6detail15normal_iteratorINSA_7pointerIiNSA_11hip_rocprim3tagENSA_11use_defaultESG_EEEEPS6_NSA_18transform_iteratorI7is_evenIiENSC_INSA_10device_ptrIiEEEESG_SG_EENS0_5tupleIJPiSJ_EEENSR_IJSJ_SJ_EEES6_PlJS6_EEE10hipError_tPvRmT3_T4_T5_T6_T7_T9_mT8_P12ihipStream_tbDpT10_ENKUlT_T0_E_clISt17integral_constantIbLb1EES1F_EEDaS1A_S1B_EUlS1A_E_NS1_11comp_targetILNS1_3genE2ELNS1_11target_archE906ELNS1_3gpuE6ELNS1_3repE0EEENS1_30default_config_static_selectorELNS0_4arch9wavefront6targetE1EEEvT1_,comdat
	.protected	_ZN7rocprim17ROCPRIM_400000_NS6detail17trampoline_kernelINS0_14default_configENS1_25partition_config_selectorILNS1_17partition_subalgoE2EiNS0_10empty_typeEbEEZZNS1_14partition_implILS5_2ELb0ES3_jN6thrust23THRUST_200600_302600_NS6detail15normal_iteratorINSA_7pointerIiNSA_11hip_rocprim3tagENSA_11use_defaultESG_EEEEPS6_NSA_18transform_iteratorI7is_evenIiENSC_INSA_10device_ptrIiEEEESG_SG_EENS0_5tupleIJPiSJ_EEENSR_IJSJ_SJ_EEES6_PlJS6_EEE10hipError_tPvRmT3_T4_T5_T6_T7_T9_mT8_P12ihipStream_tbDpT10_ENKUlT_T0_E_clISt17integral_constantIbLb1EES1F_EEDaS1A_S1B_EUlS1A_E_NS1_11comp_targetILNS1_3genE2ELNS1_11target_archE906ELNS1_3gpuE6ELNS1_3repE0EEENS1_30default_config_static_selectorELNS0_4arch9wavefront6targetE1EEEvT1_ ; -- Begin function _ZN7rocprim17ROCPRIM_400000_NS6detail17trampoline_kernelINS0_14default_configENS1_25partition_config_selectorILNS1_17partition_subalgoE2EiNS0_10empty_typeEbEEZZNS1_14partition_implILS5_2ELb0ES3_jN6thrust23THRUST_200600_302600_NS6detail15normal_iteratorINSA_7pointerIiNSA_11hip_rocprim3tagENSA_11use_defaultESG_EEEEPS6_NSA_18transform_iteratorI7is_evenIiENSC_INSA_10device_ptrIiEEEESG_SG_EENS0_5tupleIJPiSJ_EEENSR_IJSJ_SJ_EEES6_PlJS6_EEE10hipError_tPvRmT3_T4_T5_T6_T7_T9_mT8_P12ihipStream_tbDpT10_ENKUlT_T0_E_clISt17integral_constantIbLb1EES1F_EEDaS1A_S1B_EUlS1A_E_NS1_11comp_targetILNS1_3genE2ELNS1_11target_archE906ELNS1_3gpuE6ELNS1_3repE0EEENS1_30default_config_static_selectorELNS0_4arch9wavefront6targetE1EEEvT1_
	.globl	_ZN7rocprim17ROCPRIM_400000_NS6detail17trampoline_kernelINS0_14default_configENS1_25partition_config_selectorILNS1_17partition_subalgoE2EiNS0_10empty_typeEbEEZZNS1_14partition_implILS5_2ELb0ES3_jN6thrust23THRUST_200600_302600_NS6detail15normal_iteratorINSA_7pointerIiNSA_11hip_rocprim3tagENSA_11use_defaultESG_EEEEPS6_NSA_18transform_iteratorI7is_evenIiENSC_INSA_10device_ptrIiEEEESG_SG_EENS0_5tupleIJPiSJ_EEENSR_IJSJ_SJ_EEES6_PlJS6_EEE10hipError_tPvRmT3_T4_T5_T6_T7_T9_mT8_P12ihipStream_tbDpT10_ENKUlT_T0_E_clISt17integral_constantIbLb1EES1F_EEDaS1A_S1B_EUlS1A_E_NS1_11comp_targetILNS1_3genE2ELNS1_11target_archE906ELNS1_3gpuE6ELNS1_3repE0EEENS1_30default_config_static_selectorELNS0_4arch9wavefront6targetE1EEEvT1_
	.p2align	8
	.type	_ZN7rocprim17ROCPRIM_400000_NS6detail17trampoline_kernelINS0_14default_configENS1_25partition_config_selectorILNS1_17partition_subalgoE2EiNS0_10empty_typeEbEEZZNS1_14partition_implILS5_2ELb0ES3_jN6thrust23THRUST_200600_302600_NS6detail15normal_iteratorINSA_7pointerIiNSA_11hip_rocprim3tagENSA_11use_defaultESG_EEEEPS6_NSA_18transform_iteratorI7is_evenIiENSC_INSA_10device_ptrIiEEEESG_SG_EENS0_5tupleIJPiSJ_EEENSR_IJSJ_SJ_EEES6_PlJS6_EEE10hipError_tPvRmT3_T4_T5_T6_T7_T9_mT8_P12ihipStream_tbDpT10_ENKUlT_T0_E_clISt17integral_constantIbLb1EES1F_EEDaS1A_S1B_EUlS1A_E_NS1_11comp_targetILNS1_3genE2ELNS1_11target_archE906ELNS1_3gpuE6ELNS1_3repE0EEENS1_30default_config_static_selectorELNS0_4arch9wavefront6targetE1EEEvT1_,@function
_ZN7rocprim17ROCPRIM_400000_NS6detail17trampoline_kernelINS0_14default_configENS1_25partition_config_selectorILNS1_17partition_subalgoE2EiNS0_10empty_typeEbEEZZNS1_14partition_implILS5_2ELb0ES3_jN6thrust23THRUST_200600_302600_NS6detail15normal_iteratorINSA_7pointerIiNSA_11hip_rocprim3tagENSA_11use_defaultESG_EEEEPS6_NSA_18transform_iteratorI7is_evenIiENSC_INSA_10device_ptrIiEEEESG_SG_EENS0_5tupleIJPiSJ_EEENSR_IJSJ_SJ_EEES6_PlJS6_EEE10hipError_tPvRmT3_T4_T5_T6_T7_T9_mT8_P12ihipStream_tbDpT10_ENKUlT_T0_E_clISt17integral_constantIbLb1EES1F_EEDaS1A_S1B_EUlS1A_E_NS1_11comp_targetILNS1_3genE2ELNS1_11target_archE906ELNS1_3gpuE6ELNS1_3repE0EEENS1_30default_config_static_selectorELNS0_4arch9wavefront6targetE1EEEvT1_: ; @_ZN7rocprim17ROCPRIM_400000_NS6detail17trampoline_kernelINS0_14default_configENS1_25partition_config_selectorILNS1_17partition_subalgoE2EiNS0_10empty_typeEbEEZZNS1_14partition_implILS5_2ELb0ES3_jN6thrust23THRUST_200600_302600_NS6detail15normal_iteratorINSA_7pointerIiNSA_11hip_rocprim3tagENSA_11use_defaultESG_EEEEPS6_NSA_18transform_iteratorI7is_evenIiENSC_INSA_10device_ptrIiEEEESG_SG_EENS0_5tupleIJPiSJ_EEENSR_IJSJ_SJ_EEES6_PlJS6_EEE10hipError_tPvRmT3_T4_T5_T6_T7_T9_mT8_P12ihipStream_tbDpT10_ENKUlT_T0_E_clISt17integral_constantIbLb1EES1F_EEDaS1A_S1B_EUlS1A_E_NS1_11comp_targetILNS1_3genE2ELNS1_11target_archE906ELNS1_3gpuE6ELNS1_3repE0EEENS1_30default_config_static_selectorELNS0_4arch9wavefront6targetE1EEEvT1_
; %bb.0:
	.section	.rodata,"a",@progbits
	.p2align	6, 0x0
	.amdhsa_kernel _ZN7rocprim17ROCPRIM_400000_NS6detail17trampoline_kernelINS0_14default_configENS1_25partition_config_selectorILNS1_17partition_subalgoE2EiNS0_10empty_typeEbEEZZNS1_14partition_implILS5_2ELb0ES3_jN6thrust23THRUST_200600_302600_NS6detail15normal_iteratorINSA_7pointerIiNSA_11hip_rocprim3tagENSA_11use_defaultESG_EEEEPS6_NSA_18transform_iteratorI7is_evenIiENSC_INSA_10device_ptrIiEEEESG_SG_EENS0_5tupleIJPiSJ_EEENSR_IJSJ_SJ_EEES6_PlJS6_EEE10hipError_tPvRmT3_T4_T5_T6_T7_T9_mT8_P12ihipStream_tbDpT10_ENKUlT_T0_E_clISt17integral_constantIbLb1EES1F_EEDaS1A_S1B_EUlS1A_E_NS1_11comp_targetILNS1_3genE2ELNS1_11target_archE906ELNS1_3gpuE6ELNS1_3repE0EEENS1_30default_config_static_selectorELNS0_4arch9wavefront6targetE1EEEvT1_
		.amdhsa_group_segment_fixed_size 0
		.amdhsa_private_segment_fixed_size 0
		.amdhsa_kernarg_size 144
		.amdhsa_user_sgpr_count 2
		.amdhsa_user_sgpr_dispatch_ptr 0
		.amdhsa_user_sgpr_queue_ptr 0
		.amdhsa_user_sgpr_kernarg_segment_ptr 1
		.amdhsa_user_sgpr_dispatch_id 0
		.amdhsa_user_sgpr_kernarg_preload_length 0
		.amdhsa_user_sgpr_kernarg_preload_offset 0
		.amdhsa_user_sgpr_private_segment_size 0
		.amdhsa_uses_dynamic_stack 0
		.amdhsa_enable_private_segment 0
		.amdhsa_system_sgpr_workgroup_id_x 1
		.amdhsa_system_sgpr_workgroup_id_y 0
		.amdhsa_system_sgpr_workgroup_id_z 0
		.amdhsa_system_sgpr_workgroup_info 0
		.amdhsa_system_vgpr_workitem_id 0
		.amdhsa_next_free_vgpr 1
		.amdhsa_next_free_sgpr 0
		.amdhsa_accum_offset 4
		.amdhsa_reserve_vcc 0
		.amdhsa_float_round_mode_32 0
		.amdhsa_float_round_mode_16_64 0
		.amdhsa_float_denorm_mode_32 3
		.amdhsa_float_denorm_mode_16_64 3
		.amdhsa_dx10_clamp 1
		.amdhsa_ieee_mode 1
		.amdhsa_fp16_overflow 0
		.amdhsa_tg_split 0
		.amdhsa_exception_fp_ieee_invalid_op 0
		.amdhsa_exception_fp_denorm_src 0
		.amdhsa_exception_fp_ieee_div_zero 0
		.amdhsa_exception_fp_ieee_overflow 0
		.amdhsa_exception_fp_ieee_underflow 0
		.amdhsa_exception_fp_ieee_inexact 0
		.amdhsa_exception_int_div_zero 0
	.end_amdhsa_kernel
	.section	.text._ZN7rocprim17ROCPRIM_400000_NS6detail17trampoline_kernelINS0_14default_configENS1_25partition_config_selectorILNS1_17partition_subalgoE2EiNS0_10empty_typeEbEEZZNS1_14partition_implILS5_2ELb0ES3_jN6thrust23THRUST_200600_302600_NS6detail15normal_iteratorINSA_7pointerIiNSA_11hip_rocprim3tagENSA_11use_defaultESG_EEEEPS6_NSA_18transform_iteratorI7is_evenIiENSC_INSA_10device_ptrIiEEEESG_SG_EENS0_5tupleIJPiSJ_EEENSR_IJSJ_SJ_EEES6_PlJS6_EEE10hipError_tPvRmT3_T4_T5_T6_T7_T9_mT8_P12ihipStream_tbDpT10_ENKUlT_T0_E_clISt17integral_constantIbLb1EES1F_EEDaS1A_S1B_EUlS1A_E_NS1_11comp_targetILNS1_3genE2ELNS1_11target_archE906ELNS1_3gpuE6ELNS1_3repE0EEENS1_30default_config_static_selectorELNS0_4arch9wavefront6targetE1EEEvT1_,"axG",@progbits,_ZN7rocprim17ROCPRIM_400000_NS6detail17trampoline_kernelINS0_14default_configENS1_25partition_config_selectorILNS1_17partition_subalgoE2EiNS0_10empty_typeEbEEZZNS1_14partition_implILS5_2ELb0ES3_jN6thrust23THRUST_200600_302600_NS6detail15normal_iteratorINSA_7pointerIiNSA_11hip_rocprim3tagENSA_11use_defaultESG_EEEEPS6_NSA_18transform_iteratorI7is_evenIiENSC_INSA_10device_ptrIiEEEESG_SG_EENS0_5tupleIJPiSJ_EEENSR_IJSJ_SJ_EEES6_PlJS6_EEE10hipError_tPvRmT3_T4_T5_T6_T7_T9_mT8_P12ihipStream_tbDpT10_ENKUlT_T0_E_clISt17integral_constantIbLb1EES1F_EEDaS1A_S1B_EUlS1A_E_NS1_11comp_targetILNS1_3genE2ELNS1_11target_archE906ELNS1_3gpuE6ELNS1_3repE0EEENS1_30default_config_static_selectorELNS0_4arch9wavefront6targetE1EEEvT1_,comdat
.Lfunc_end235:
	.size	_ZN7rocprim17ROCPRIM_400000_NS6detail17trampoline_kernelINS0_14default_configENS1_25partition_config_selectorILNS1_17partition_subalgoE2EiNS0_10empty_typeEbEEZZNS1_14partition_implILS5_2ELb0ES3_jN6thrust23THRUST_200600_302600_NS6detail15normal_iteratorINSA_7pointerIiNSA_11hip_rocprim3tagENSA_11use_defaultESG_EEEEPS6_NSA_18transform_iteratorI7is_evenIiENSC_INSA_10device_ptrIiEEEESG_SG_EENS0_5tupleIJPiSJ_EEENSR_IJSJ_SJ_EEES6_PlJS6_EEE10hipError_tPvRmT3_T4_T5_T6_T7_T9_mT8_P12ihipStream_tbDpT10_ENKUlT_T0_E_clISt17integral_constantIbLb1EES1F_EEDaS1A_S1B_EUlS1A_E_NS1_11comp_targetILNS1_3genE2ELNS1_11target_archE906ELNS1_3gpuE6ELNS1_3repE0EEENS1_30default_config_static_selectorELNS0_4arch9wavefront6targetE1EEEvT1_, .Lfunc_end235-_ZN7rocprim17ROCPRIM_400000_NS6detail17trampoline_kernelINS0_14default_configENS1_25partition_config_selectorILNS1_17partition_subalgoE2EiNS0_10empty_typeEbEEZZNS1_14partition_implILS5_2ELb0ES3_jN6thrust23THRUST_200600_302600_NS6detail15normal_iteratorINSA_7pointerIiNSA_11hip_rocprim3tagENSA_11use_defaultESG_EEEEPS6_NSA_18transform_iteratorI7is_evenIiENSC_INSA_10device_ptrIiEEEESG_SG_EENS0_5tupleIJPiSJ_EEENSR_IJSJ_SJ_EEES6_PlJS6_EEE10hipError_tPvRmT3_T4_T5_T6_T7_T9_mT8_P12ihipStream_tbDpT10_ENKUlT_T0_E_clISt17integral_constantIbLb1EES1F_EEDaS1A_S1B_EUlS1A_E_NS1_11comp_targetILNS1_3genE2ELNS1_11target_archE906ELNS1_3gpuE6ELNS1_3repE0EEENS1_30default_config_static_selectorELNS0_4arch9wavefront6targetE1EEEvT1_
                                        ; -- End function
	.section	.AMDGPU.csdata,"",@progbits
; Kernel info:
; codeLenInByte = 0
; NumSgprs: 6
; NumVgprs: 0
; NumAgprs: 0
; TotalNumVgprs: 0
; ScratchSize: 0
; MemoryBound: 0
; FloatMode: 240
; IeeeMode: 1
; LDSByteSize: 0 bytes/workgroup (compile time only)
; SGPRBlocks: 0
; VGPRBlocks: 0
; NumSGPRsForWavesPerEU: 6
; NumVGPRsForWavesPerEU: 1
; AccumOffset: 4
; Occupancy: 8
; WaveLimiterHint : 0
; COMPUTE_PGM_RSRC2:SCRATCH_EN: 0
; COMPUTE_PGM_RSRC2:USER_SGPR: 2
; COMPUTE_PGM_RSRC2:TRAP_HANDLER: 0
; COMPUTE_PGM_RSRC2:TGID_X_EN: 1
; COMPUTE_PGM_RSRC2:TGID_Y_EN: 0
; COMPUTE_PGM_RSRC2:TGID_Z_EN: 0
; COMPUTE_PGM_RSRC2:TIDIG_COMP_CNT: 0
; COMPUTE_PGM_RSRC3_GFX90A:ACCUM_OFFSET: 0
; COMPUTE_PGM_RSRC3_GFX90A:TG_SPLIT: 0
	.section	.text._ZN7rocprim17ROCPRIM_400000_NS6detail17trampoline_kernelINS0_14default_configENS1_25partition_config_selectorILNS1_17partition_subalgoE2EiNS0_10empty_typeEbEEZZNS1_14partition_implILS5_2ELb0ES3_jN6thrust23THRUST_200600_302600_NS6detail15normal_iteratorINSA_7pointerIiNSA_11hip_rocprim3tagENSA_11use_defaultESG_EEEEPS6_NSA_18transform_iteratorI7is_evenIiENSC_INSA_10device_ptrIiEEEESG_SG_EENS0_5tupleIJPiSJ_EEENSR_IJSJ_SJ_EEES6_PlJS6_EEE10hipError_tPvRmT3_T4_T5_T6_T7_T9_mT8_P12ihipStream_tbDpT10_ENKUlT_T0_E_clISt17integral_constantIbLb1EES1F_EEDaS1A_S1B_EUlS1A_E_NS1_11comp_targetILNS1_3genE10ELNS1_11target_archE1200ELNS1_3gpuE4ELNS1_3repE0EEENS1_30default_config_static_selectorELNS0_4arch9wavefront6targetE1EEEvT1_,"axG",@progbits,_ZN7rocprim17ROCPRIM_400000_NS6detail17trampoline_kernelINS0_14default_configENS1_25partition_config_selectorILNS1_17partition_subalgoE2EiNS0_10empty_typeEbEEZZNS1_14partition_implILS5_2ELb0ES3_jN6thrust23THRUST_200600_302600_NS6detail15normal_iteratorINSA_7pointerIiNSA_11hip_rocprim3tagENSA_11use_defaultESG_EEEEPS6_NSA_18transform_iteratorI7is_evenIiENSC_INSA_10device_ptrIiEEEESG_SG_EENS0_5tupleIJPiSJ_EEENSR_IJSJ_SJ_EEES6_PlJS6_EEE10hipError_tPvRmT3_T4_T5_T6_T7_T9_mT8_P12ihipStream_tbDpT10_ENKUlT_T0_E_clISt17integral_constantIbLb1EES1F_EEDaS1A_S1B_EUlS1A_E_NS1_11comp_targetILNS1_3genE10ELNS1_11target_archE1200ELNS1_3gpuE4ELNS1_3repE0EEENS1_30default_config_static_selectorELNS0_4arch9wavefront6targetE1EEEvT1_,comdat
	.protected	_ZN7rocprim17ROCPRIM_400000_NS6detail17trampoline_kernelINS0_14default_configENS1_25partition_config_selectorILNS1_17partition_subalgoE2EiNS0_10empty_typeEbEEZZNS1_14partition_implILS5_2ELb0ES3_jN6thrust23THRUST_200600_302600_NS6detail15normal_iteratorINSA_7pointerIiNSA_11hip_rocprim3tagENSA_11use_defaultESG_EEEEPS6_NSA_18transform_iteratorI7is_evenIiENSC_INSA_10device_ptrIiEEEESG_SG_EENS0_5tupleIJPiSJ_EEENSR_IJSJ_SJ_EEES6_PlJS6_EEE10hipError_tPvRmT3_T4_T5_T6_T7_T9_mT8_P12ihipStream_tbDpT10_ENKUlT_T0_E_clISt17integral_constantIbLb1EES1F_EEDaS1A_S1B_EUlS1A_E_NS1_11comp_targetILNS1_3genE10ELNS1_11target_archE1200ELNS1_3gpuE4ELNS1_3repE0EEENS1_30default_config_static_selectorELNS0_4arch9wavefront6targetE1EEEvT1_ ; -- Begin function _ZN7rocprim17ROCPRIM_400000_NS6detail17trampoline_kernelINS0_14default_configENS1_25partition_config_selectorILNS1_17partition_subalgoE2EiNS0_10empty_typeEbEEZZNS1_14partition_implILS5_2ELb0ES3_jN6thrust23THRUST_200600_302600_NS6detail15normal_iteratorINSA_7pointerIiNSA_11hip_rocprim3tagENSA_11use_defaultESG_EEEEPS6_NSA_18transform_iteratorI7is_evenIiENSC_INSA_10device_ptrIiEEEESG_SG_EENS0_5tupleIJPiSJ_EEENSR_IJSJ_SJ_EEES6_PlJS6_EEE10hipError_tPvRmT3_T4_T5_T6_T7_T9_mT8_P12ihipStream_tbDpT10_ENKUlT_T0_E_clISt17integral_constantIbLb1EES1F_EEDaS1A_S1B_EUlS1A_E_NS1_11comp_targetILNS1_3genE10ELNS1_11target_archE1200ELNS1_3gpuE4ELNS1_3repE0EEENS1_30default_config_static_selectorELNS0_4arch9wavefront6targetE1EEEvT1_
	.globl	_ZN7rocprim17ROCPRIM_400000_NS6detail17trampoline_kernelINS0_14default_configENS1_25partition_config_selectorILNS1_17partition_subalgoE2EiNS0_10empty_typeEbEEZZNS1_14partition_implILS5_2ELb0ES3_jN6thrust23THRUST_200600_302600_NS6detail15normal_iteratorINSA_7pointerIiNSA_11hip_rocprim3tagENSA_11use_defaultESG_EEEEPS6_NSA_18transform_iteratorI7is_evenIiENSC_INSA_10device_ptrIiEEEESG_SG_EENS0_5tupleIJPiSJ_EEENSR_IJSJ_SJ_EEES6_PlJS6_EEE10hipError_tPvRmT3_T4_T5_T6_T7_T9_mT8_P12ihipStream_tbDpT10_ENKUlT_T0_E_clISt17integral_constantIbLb1EES1F_EEDaS1A_S1B_EUlS1A_E_NS1_11comp_targetILNS1_3genE10ELNS1_11target_archE1200ELNS1_3gpuE4ELNS1_3repE0EEENS1_30default_config_static_selectorELNS0_4arch9wavefront6targetE1EEEvT1_
	.p2align	8
	.type	_ZN7rocprim17ROCPRIM_400000_NS6detail17trampoline_kernelINS0_14default_configENS1_25partition_config_selectorILNS1_17partition_subalgoE2EiNS0_10empty_typeEbEEZZNS1_14partition_implILS5_2ELb0ES3_jN6thrust23THRUST_200600_302600_NS6detail15normal_iteratorINSA_7pointerIiNSA_11hip_rocprim3tagENSA_11use_defaultESG_EEEEPS6_NSA_18transform_iteratorI7is_evenIiENSC_INSA_10device_ptrIiEEEESG_SG_EENS0_5tupleIJPiSJ_EEENSR_IJSJ_SJ_EEES6_PlJS6_EEE10hipError_tPvRmT3_T4_T5_T6_T7_T9_mT8_P12ihipStream_tbDpT10_ENKUlT_T0_E_clISt17integral_constantIbLb1EES1F_EEDaS1A_S1B_EUlS1A_E_NS1_11comp_targetILNS1_3genE10ELNS1_11target_archE1200ELNS1_3gpuE4ELNS1_3repE0EEENS1_30default_config_static_selectorELNS0_4arch9wavefront6targetE1EEEvT1_,@function
_ZN7rocprim17ROCPRIM_400000_NS6detail17trampoline_kernelINS0_14default_configENS1_25partition_config_selectorILNS1_17partition_subalgoE2EiNS0_10empty_typeEbEEZZNS1_14partition_implILS5_2ELb0ES3_jN6thrust23THRUST_200600_302600_NS6detail15normal_iteratorINSA_7pointerIiNSA_11hip_rocprim3tagENSA_11use_defaultESG_EEEEPS6_NSA_18transform_iteratorI7is_evenIiENSC_INSA_10device_ptrIiEEEESG_SG_EENS0_5tupleIJPiSJ_EEENSR_IJSJ_SJ_EEES6_PlJS6_EEE10hipError_tPvRmT3_T4_T5_T6_T7_T9_mT8_P12ihipStream_tbDpT10_ENKUlT_T0_E_clISt17integral_constantIbLb1EES1F_EEDaS1A_S1B_EUlS1A_E_NS1_11comp_targetILNS1_3genE10ELNS1_11target_archE1200ELNS1_3gpuE4ELNS1_3repE0EEENS1_30default_config_static_selectorELNS0_4arch9wavefront6targetE1EEEvT1_: ; @_ZN7rocprim17ROCPRIM_400000_NS6detail17trampoline_kernelINS0_14default_configENS1_25partition_config_selectorILNS1_17partition_subalgoE2EiNS0_10empty_typeEbEEZZNS1_14partition_implILS5_2ELb0ES3_jN6thrust23THRUST_200600_302600_NS6detail15normal_iteratorINSA_7pointerIiNSA_11hip_rocprim3tagENSA_11use_defaultESG_EEEEPS6_NSA_18transform_iteratorI7is_evenIiENSC_INSA_10device_ptrIiEEEESG_SG_EENS0_5tupleIJPiSJ_EEENSR_IJSJ_SJ_EEES6_PlJS6_EEE10hipError_tPvRmT3_T4_T5_T6_T7_T9_mT8_P12ihipStream_tbDpT10_ENKUlT_T0_E_clISt17integral_constantIbLb1EES1F_EEDaS1A_S1B_EUlS1A_E_NS1_11comp_targetILNS1_3genE10ELNS1_11target_archE1200ELNS1_3gpuE4ELNS1_3repE0EEENS1_30default_config_static_selectorELNS0_4arch9wavefront6targetE1EEEvT1_
; %bb.0:
	.section	.rodata,"a",@progbits
	.p2align	6, 0x0
	.amdhsa_kernel _ZN7rocprim17ROCPRIM_400000_NS6detail17trampoline_kernelINS0_14default_configENS1_25partition_config_selectorILNS1_17partition_subalgoE2EiNS0_10empty_typeEbEEZZNS1_14partition_implILS5_2ELb0ES3_jN6thrust23THRUST_200600_302600_NS6detail15normal_iteratorINSA_7pointerIiNSA_11hip_rocprim3tagENSA_11use_defaultESG_EEEEPS6_NSA_18transform_iteratorI7is_evenIiENSC_INSA_10device_ptrIiEEEESG_SG_EENS0_5tupleIJPiSJ_EEENSR_IJSJ_SJ_EEES6_PlJS6_EEE10hipError_tPvRmT3_T4_T5_T6_T7_T9_mT8_P12ihipStream_tbDpT10_ENKUlT_T0_E_clISt17integral_constantIbLb1EES1F_EEDaS1A_S1B_EUlS1A_E_NS1_11comp_targetILNS1_3genE10ELNS1_11target_archE1200ELNS1_3gpuE4ELNS1_3repE0EEENS1_30default_config_static_selectorELNS0_4arch9wavefront6targetE1EEEvT1_
		.amdhsa_group_segment_fixed_size 0
		.amdhsa_private_segment_fixed_size 0
		.amdhsa_kernarg_size 144
		.amdhsa_user_sgpr_count 2
		.amdhsa_user_sgpr_dispatch_ptr 0
		.amdhsa_user_sgpr_queue_ptr 0
		.amdhsa_user_sgpr_kernarg_segment_ptr 1
		.amdhsa_user_sgpr_dispatch_id 0
		.amdhsa_user_sgpr_kernarg_preload_length 0
		.amdhsa_user_sgpr_kernarg_preload_offset 0
		.amdhsa_user_sgpr_private_segment_size 0
		.amdhsa_uses_dynamic_stack 0
		.amdhsa_enable_private_segment 0
		.amdhsa_system_sgpr_workgroup_id_x 1
		.amdhsa_system_sgpr_workgroup_id_y 0
		.amdhsa_system_sgpr_workgroup_id_z 0
		.amdhsa_system_sgpr_workgroup_info 0
		.amdhsa_system_vgpr_workitem_id 0
		.amdhsa_next_free_vgpr 1
		.amdhsa_next_free_sgpr 0
		.amdhsa_accum_offset 4
		.amdhsa_reserve_vcc 0
		.amdhsa_float_round_mode_32 0
		.amdhsa_float_round_mode_16_64 0
		.amdhsa_float_denorm_mode_32 3
		.amdhsa_float_denorm_mode_16_64 3
		.amdhsa_dx10_clamp 1
		.amdhsa_ieee_mode 1
		.amdhsa_fp16_overflow 0
		.amdhsa_tg_split 0
		.amdhsa_exception_fp_ieee_invalid_op 0
		.amdhsa_exception_fp_denorm_src 0
		.amdhsa_exception_fp_ieee_div_zero 0
		.amdhsa_exception_fp_ieee_overflow 0
		.amdhsa_exception_fp_ieee_underflow 0
		.amdhsa_exception_fp_ieee_inexact 0
		.amdhsa_exception_int_div_zero 0
	.end_amdhsa_kernel
	.section	.text._ZN7rocprim17ROCPRIM_400000_NS6detail17trampoline_kernelINS0_14default_configENS1_25partition_config_selectorILNS1_17partition_subalgoE2EiNS0_10empty_typeEbEEZZNS1_14partition_implILS5_2ELb0ES3_jN6thrust23THRUST_200600_302600_NS6detail15normal_iteratorINSA_7pointerIiNSA_11hip_rocprim3tagENSA_11use_defaultESG_EEEEPS6_NSA_18transform_iteratorI7is_evenIiENSC_INSA_10device_ptrIiEEEESG_SG_EENS0_5tupleIJPiSJ_EEENSR_IJSJ_SJ_EEES6_PlJS6_EEE10hipError_tPvRmT3_T4_T5_T6_T7_T9_mT8_P12ihipStream_tbDpT10_ENKUlT_T0_E_clISt17integral_constantIbLb1EES1F_EEDaS1A_S1B_EUlS1A_E_NS1_11comp_targetILNS1_3genE10ELNS1_11target_archE1200ELNS1_3gpuE4ELNS1_3repE0EEENS1_30default_config_static_selectorELNS0_4arch9wavefront6targetE1EEEvT1_,"axG",@progbits,_ZN7rocprim17ROCPRIM_400000_NS6detail17trampoline_kernelINS0_14default_configENS1_25partition_config_selectorILNS1_17partition_subalgoE2EiNS0_10empty_typeEbEEZZNS1_14partition_implILS5_2ELb0ES3_jN6thrust23THRUST_200600_302600_NS6detail15normal_iteratorINSA_7pointerIiNSA_11hip_rocprim3tagENSA_11use_defaultESG_EEEEPS6_NSA_18transform_iteratorI7is_evenIiENSC_INSA_10device_ptrIiEEEESG_SG_EENS0_5tupleIJPiSJ_EEENSR_IJSJ_SJ_EEES6_PlJS6_EEE10hipError_tPvRmT3_T4_T5_T6_T7_T9_mT8_P12ihipStream_tbDpT10_ENKUlT_T0_E_clISt17integral_constantIbLb1EES1F_EEDaS1A_S1B_EUlS1A_E_NS1_11comp_targetILNS1_3genE10ELNS1_11target_archE1200ELNS1_3gpuE4ELNS1_3repE0EEENS1_30default_config_static_selectorELNS0_4arch9wavefront6targetE1EEEvT1_,comdat
.Lfunc_end236:
	.size	_ZN7rocprim17ROCPRIM_400000_NS6detail17trampoline_kernelINS0_14default_configENS1_25partition_config_selectorILNS1_17partition_subalgoE2EiNS0_10empty_typeEbEEZZNS1_14partition_implILS5_2ELb0ES3_jN6thrust23THRUST_200600_302600_NS6detail15normal_iteratorINSA_7pointerIiNSA_11hip_rocprim3tagENSA_11use_defaultESG_EEEEPS6_NSA_18transform_iteratorI7is_evenIiENSC_INSA_10device_ptrIiEEEESG_SG_EENS0_5tupleIJPiSJ_EEENSR_IJSJ_SJ_EEES6_PlJS6_EEE10hipError_tPvRmT3_T4_T5_T6_T7_T9_mT8_P12ihipStream_tbDpT10_ENKUlT_T0_E_clISt17integral_constantIbLb1EES1F_EEDaS1A_S1B_EUlS1A_E_NS1_11comp_targetILNS1_3genE10ELNS1_11target_archE1200ELNS1_3gpuE4ELNS1_3repE0EEENS1_30default_config_static_selectorELNS0_4arch9wavefront6targetE1EEEvT1_, .Lfunc_end236-_ZN7rocprim17ROCPRIM_400000_NS6detail17trampoline_kernelINS0_14default_configENS1_25partition_config_selectorILNS1_17partition_subalgoE2EiNS0_10empty_typeEbEEZZNS1_14partition_implILS5_2ELb0ES3_jN6thrust23THRUST_200600_302600_NS6detail15normal_iteratorINSA_7pointerIiNSA_11hip_rocprim3tagENSA_11use_defaultESG_EEEEPS6_NSA_18transform_iteratorI7is_evenIiENSC_INSA_10device_ptrIiEEEESG_SG_EENS0_5tupleIJPiSJ_EEENSR_IJSJ_SJ_EEES6_PlJS6_EEE10hipError_tPvRmT3_T4_T5_T6_T7_T9_mT8_P12ihipStream_tbDpT10_ENKUlT_T0_E_clISt17integral_constantIbLb1EES1F_EEDaS1A_S1B_EUlS1A_E_NS1_11comp_targetILNS1_3genE10ELNS1_11target_archE1200ELNS1_3gpuE4ELNS1_3repE0EEENS1_30default_config_static_selectorELNS0_4arch9wavefront6targetE1EEEvT1_
                                        ; -- End function
	.section	.AMDGPU.csdata,"",@progbits
; Kernel info:
; codeLenInByte = 0
; NumSgprs: 6
; NumVgprs: 0
; NumAgprs: 0
; TotalNumVgprs: 0
; ScratchSize: 0
; MemoryBound: 0
; FloatMode: 240
; IeeeMode: 1
; LDSByteSize: 0 bytes/workgroup (compile time only)
; SGPRBlocks: 0
; VGPRBlocks: 0
; NumSGPRsForWavesPerEU: 6
; NumVGPRsForWavesPerEU: 1
; AccumOffset: 4
; Occupancy: 8
; WaveLimiterHint : 0
; COMPUTE_PGM_RSRC2:SCRATCH_EN: 0
; COMPUTE_PGM_RSRC2:USER_SGPR: 2
; COMPUTE_PGM_RSRC2:TRAP_HANDLER: 0
; COMPUTE_PGM_RSRC2:TGID_X_EN: 1
; COMPUTE_PGM_RSRC2:TGID_Y_EN: 0
; COMPUTE_PGM_RSRC2:TGID_Z_EN: 0
; COMPUTE_PGM_RSRC2:TIDIG_COMP_CNT: 0
; COMPUTE_PGM_RSRC3_GFX90A:ACCUM_OFFSET: 0
; COMPUTE_PGM_RSRC3_GFX90A:TG_SPLIT: 0
	.section	.text._ZN7rocprim17ROCPRIM_400000_NS6detail17trampoline_kernelINS0_14default_configENS1_25partition_config_selectorILNS1_17partition_subalgoE2EiNS0_10empty_typeEbEEZZNS1_14partition_implILS5_2ELb0ES3_jN6thrust23THRUST_200600_302600_NS6detail15normal_iteratorINSA_7pointerIiNSA_11hip_rocprim3tagENSA_11use_defaultESG_EEEEPS6_NSA_18transform_iteratorI7is_evenIiENSC_INSA_10device_ptrIiEEEESG_SG_EENS0_5tupleIJPiSJ_EEENSR_IJSJ_SJ_EEES6_PlJS6_EEE10hipError_tPvRmT3_T4_T5_T6_T7_T9_mT8_P12ihipStream_tbDpT10_ENKUlT_T0_E_clISt17integral_constantIbLb1EES1F_EEDaS1A_S1B_EUlS1A_E_NS1_11comp_targetILNS1_3genE9ELNS1_11target_archE1100ELNS1_3gpuE3ELNS1_3repE0EEENS1_30default_config_static_selectorELNS0_4arch9wavefront6targetE1EEEvT1_,"axG",@progbits,_ZN7rocprim17ROCPRIM_400000_NS6detail17trampoline_kernelINS0_14default_configENS1_25partition_config_selectorILNS1_17partition_subalgoE2EiNS0_10empty_typeEbEEZZNS1_14partition_implILS5_2ELb0ES3_jN6thrust23THRUST_200600_302600_NS6detail15normal_iteratorINSA_7pointerIiNSA_11hip_rocprim3tagENSA_11use_defaultESG_EEEEPS6_NSA_18transform_iteratorI7is_evenIiENSC_INSA_10device_ptrIiEEEESG_SG_EENS0_5tupleIJPiSJ_EEENSR_IJSJ_SJ_EEES6_PlJS6_EEE10hipError_tPvRmT3_T4_T5_T6_T7_T9_mT8_P12ihipStream_tbDpT10_ENKUlT_T0_E_clISt17integral_constantIbLb1EES1F_EEDaS1A_S1B_EUlS1A_E_NS1_11comp_targetILNS1_3genE9ELNS1_11target_archE1100ELNS1_3gpuE3ELNS1_3repE0EEENS1_30default_config_static_selectorELNS0_4arch9wavefront6targetE1EEEvT1_,comdat
	.protected	_ZN7rocprim17ROCPRIM_400000_NS6detail17trampoline_kernelINS0_14default_configENS1_25partition_config_selectorILNS1_17partition_subalgoE2EiNS0_10empty_typeEbEEZZNS1_14partition_implILS5_2ELb0ES3_jN6thrust23THRUST_200600_302600_NS6detail15normal_iteratorINSA_7pointerIiNSA_11hip_rocprim3tagENSA_11use_defaultESG_EEEEPS6_NSA_18transform_iteratorI7is_evenIiENSC_INSA_10device_ptrIiEEEESG_SG_EENS0_5tupleIJPiSJ_EEENSR_IJSJ_SJ_EEES6_PlJS6_EEE10hipError_tPvRmT3_T4_T5_T6_T7_T9_mT8_P12ihipStream_tbDpT10_ENKUlT_T0_E_clISt17integral_constantIbLb1EES1F_EEDaS1A_S1B_EUlS1A_E_NS1_11comp_targetILNS1_3genE9ELNS1_11target_archE1100ELNS1_3gpuE3ELNS1_3repE0EEENS1_30default_config_static_selectorELNS0_4arch9wavefront6targetE1EEEvT1_ ; -- Begin function _ZN7rocprim17ROCPRIM_400000_NS6detail17trampoline_kernelINS0_14default_configENS1_25partition_config_selectorILNS1_17partition_subalgoE2EiNS0_10empty_typeEbEEZZNS1_14partition_implILS5_2ELb0ES3_jN6thrust23THRUST_200600_302600_NS6detail15normal_iteratorINSA_7pointerIiNSA_11hip_rocprim3tagENSA_11use_defaultESG_EEEEPS6_NSA_18transform_iteratorI7is_evenIiENSC_INSA_10device_ptrIiEEEESG_SG_EENS0_5tupleIJPiSJ_EEENSR_IJSJ_SJ_EEES6_PlJS6_EEE10hipError_tPvRmT3_T4_T5_T6_T7_T9_mT8_P12ihipStream_tbDpT10_ENKUlT_T0_E_clISt17integral_constantIbLb1EES1F_EEDaS1A_S1B_EUlS1A_E_NS1_11comp_targetILNS1_3genE9ELNS1_11target_archE1100ELNS1_3gpuE3ELNS1_3repE0EEENS1_30default_config_static_selectorELNS0_4arch9wavefront6targetE1EEEvT1_
	.globl	_ZN7rocprim17ROCPRIM_400000_NS6detail17trampoline_kernelINS0_14default_configENS1_25partition_config_selectorILNS1_17partition_subalgoE2EiNS0_10empty_typeEbEEZZNS1_14partition_implILS5_2ELb0ES3_jN6thrust23THRUST_200600_302600_NS6detail15normal_iteratorINSA_7pointerIiNSA_11hip_rocprim3tagENSA_11use_defaultESG_EEEEPS6_NSA_18transform_iteratorI7is_evenIiENSC_INSA_10device_ptrIiEEEESG_SG_EENS0_5tupleIJPiSJ_EEENSR_IJSJ_SJ_EEES6_PlJS6_EEE10hipError_tPvRmT3_T4_T5_T6_T7_T9_mT8_P12ihipStream_tbDpT10_ENKUlT_T0_E_clISt17integral_constantIbLb1EES1F_EEDaS1A_S1B_EUlS1A_E_NS1_11comp_targetILNS1_3genE9ELNS1_11target_archE1100ELNS1_3gpuE3ELNS1_3repE0EEENS1_30default_config_static_selectorELNS0_4arch9wavefront6targetE1EEEvT1_
	.p2align	8
	.type	_ZN7rocprim17ROCPRIM_400000_NS6detail17trampoline_kernelINS0_14default_configENS1_25partition_config_selectorILNS1_17partition_subalgoE2EiNS0_10empty_typeEbEEZZNS1_14partition_implILS5_2ELb0ES3_jN6thrust23THRUST_200600_302600_NS6detail15normal_iteratorINSA_7pointerIiNSA_11hip_rocprim3tagENSA_11use_defaultESG_EEEEPS6_NSA_18transform_iteratorI7is_evenIiENSC_INSA_10device_ptrIiEEEESG_SG_EENS0_5tupleIJPiSJ_EEENSR_IJSJ_SJ_EEES6_PlJS6_EEE10hipError_tPvRmT3_T4_T5_T6_T7_T9_mT8_P12ihipStream_tbDpT10_ENKUlT_T0_E_clISt17integral_constantIbLb1EES1F_EEDaS1A_S1B_EUlS1A_E_NS1_11comp_targetILNS1_3genE9ELNS1_11target_archE1100ELNS1_3gpuE3ELNS1_3repE0EEENS1_30default_config_static_selectorELNS0_4arch9wavefront6targetE1EEEvT1_,@function
_ZN7rocprim17ROCPRIM_400000_NS6detail17trampoline_kernelINS0_14default_configENS1_25partition_config_selectorILNS1_17partition_subalgoE2EiNS0_10empty_typeEbEEZZNS1_14partition_implILS5_2ELb0ES3_jN6thrust23THRUST_200600_302600_NS6detail15normal_iteratorINSA_7pointerIiNSA_11hip_rocprim3tagENSA_11use_defaultESG_EEEEPS6_NSA_18transform_iteratorI7is_evenIiENSC_INSA_10device_ptrIiEEEESG_SG_EENS0_5tupleIJPiSJ_EEENSR_IJSJ_SJ_EEES6_PlJS6_EEE10hipError_tPvRmT3_T4_T5_T6_T7_T9_mT8_P12ihipStream_tbDpT10_ENKUlT_T0_E_clISt17integral_constantIbLb1EES1F_EEDaS1A_S1B_EUlS1A_E_NS1_11comp_targetILNS1_3genE9ELNS1_11target_archE1100ELNS1_3gpuE3ELNS1_3repE0EEENS1_30default_config_static_selectorELNS0_4arch9wavefront6targetE1EEEvT1_: ; @_ZN7rocprim17ROCPRIM_400000_NS6detail17trampoline_kernelINS0_14default_configENS1_25partition_config_selectorILNS1_17partition_subalgoE2EiNS0_10empty_typeEbEEZZNS1_14partition_implILS5_2ELb0ES3_jN6thrust23THRUST_200600_302600_NS6detail15normal_iteratorINSA_7pointerIiNSA_11hip_rocprim3tagENSA_11use_defaultESG_EEEEPS6_NSA_18transform_iteratorI7is_evenIiENSC_INSA_10device_ptrIiEEEESG_SG_EENS0_5tupleIJPiSJ_EEENSR_IJSJ_SJ_EEES6_PlJS6_EEE10hipError_tPvRmT3_T4_T5_T6_T7_T9_mT8_P12ihipStream_tbDpT10_ENKUlT_T0_E_clISt17integral_constantIbLb1EES1F_EEDaS1A_S1B_EUlS1A_E_NS1_11comp_targetILNS1_3genE9ELNS1_11target_archE1100ELNS1_3gpuE3ELNS1_3repE0EEENS1_30default_config_static_selectorELNS0_4arch9wavefront6targetE1EEEvT1_
; %bb.0:
	.section	.rodata,"a",@progbits
	.p2align	6, 0x0
	.amdhsa_kernel _ZN7rocprim17ROCPRIM_400000_NS6detail17trampoline_kernelINS0_14default_configENS1_25partition_config_selectorILNS1_17partition_subalgoE2EiNS0_10empty_typeEbEEZZNS1_14partition_implILS5_2ELb0ES3_jN6thrust23THRUST_200600_302600_NS6detail15normal_iteratorINSA_7pointerIiNSA_11hip_rocprim3tagENSA_11use_defaultESG_EEEEPS6_NSA_18transform_iteratorI7is_evenIiENSC_INSA_10device_ptrIiEEEESG_SG_EENS0_5tupleIJPiSJ_EEENSR_IJSJ_SJ_EEES6_PlJS6_EEE10hipError_tPvRmT3_T4_T5_T6_T7_T9_mT8_P12ihipStream_tbDpT10_ENKUlT_T0_E_clISt17integral_constantIbLb1EES1F_EEDaS1A_S1B_EUlS1A_E_NS1_11comp_targetILNS1_3genE9ELNS1_11target_archE1100ELNS1_3gpuE3ELNS1_3repE0EEENS1_30default_config_static_selectorELNS0_4arch9wavefront6targetE1EEEvT1_
		.amdhsa_group_segment_fixed_size 0
		.amdhsa_private_segment_fixed_size 0
		.amdhsa_kernarg_size 144
		.amdhsa_user_sgpr_count 2
		.amdhsa_user_sgpr_dispatch_ptr 0
		.amdhsa_user_sgpr_queue_ptr 0
		.amdhsa_user_sgpr_kernarg_segment_ptr 1
		.amdhsa_user_sgpr_dispatch_id 0
		.amdhsa_user_sgpr_kernarg_preload_length 0
		.amdhsa_user_sgpr_kernarg_preload_offset 0
		.amdhsa_user_sgpr_private_segment_size 0
		.amdhsa_uses_dynamic_stack 0
		.amdhsa_enable_private_segment 0
		.amdhsa_system_sgpr_workgroup_id_x 1
		.amdhsa_system_sgpr_workgroup_id_y 0
		.amdhsa_system_sgpr_workgroup_id_z 0
		.amdhsa_system_sgpr_workgroup_info 0
		.amdhsa_system_vgpr_workitem_id 0
		.amdhsa_next_free_vgpr 1
		.amdhsa_next_free_sgpr 0
		.amdhsa_accum_offset 4
		.amdhsa_reserve_vcc 0
		.amdhsa_float_round_mode_32 0
		.amdhsa_float_round_mode_16_64 0
		.amdhsa_float_denorm_mode_32 3
		.amdhsa_float_denorm_mode_16_64 3
		.amdhsa_dx10_clamp 1
		.amdhsa_ieee_mode 1
		.amdhsa_fp16_overflow 0
		.amdhsa_tg_split 0
		.amdhsa_exception_fp_ieee_invalid_op 0
		.amdhsa_exception_fp_denorm_src 0
		.amdhsa_exception_fp_ieee_div_zero 0
		.amdhsa_exception_fp_ieee_overflow 0
		.amdhsa_exception_fp_ieee_underflow 0
		.amdhsa_exception_fp_ieee_inexact 0
		.amdhsa_exception_int_div_zero 0
	.end_amdhsa_kernel
	.section	.text._ZN7rocprim17ROCPRIM_400000_NS6detail17trampoline_kernelINS0_14default_configENS1_25partition_config_selectorILNS1_17partition_subalgoE2EiNS0_10empty_typeEbEEZZNS1_14partition_implILS5_2ELb0ES3_jN6thrust23THRUST_200600_302600_NS6detail15normal_iteratorINSA_7pointerIiNSA_11hip_rocprim3tagENSA_11use_defaultESG_EEEEPS6_NSA_18transform_iteratorI7is_evenIiENSC_INSA_10device_ptrIiEEEESG_SG_EENS0_5tupleIJPiSJ_EEENSR_IJSJ_SJ_EEES6_PlJS6_EEE10hipError_tPvRmT3_T4_T5_T6_T7_T9_mT8_P12ihipStream_tbDpT10_ENKUlT_T0_E_clISt17integral_constantIbLb1EES1F_EEDaS1A_S1B_EUlS1A_E_NS1_11comp_targetILNS1_3genE9ELNS1_11target_archE1100ELNS1_3gpuE3ELNS1_3repE0EEENS1_30default_config_static_selectorELNS0_4arch9wavefront6targetE1EEEvT1_,"axG",@progbits,_ZN7rocprim17ROCPRIM_400000_NS6detail17trampoline_kernelINS0_14default_configENS1_25partition_config_selectorILNS1_17partition_subalgoE2EiNS0_10empty_typeEbEEZZNS1_14partition_implILS5_2ELb0ES3_jN6thrust23THRUST_200600_302600_NS6detail15normal_iteratorINSA_7pointerIiNSA_11hip_rocprim3tagENSA_11use_defaultESG_EEEEPS6_NSA_18transform_iteratorI7is_evenIiENSC_INSA_10device_ptrIiEEEESG_SG_EENS0_5tupleIJPiSJ_EEENSR_IJSJ_SJ_EEES6_PlJS6_EEE10hipError_tPvRmT3_T4_T5_T6_T7_T9_mT8_P12ihipStream_tbDpT10_ENKUlT_T0_E_clISt17integral_constantIbLb1EES1F_EEDaS1A_S1B_EUlS1A_E_NS1_11comp_targetILNS1_3genE9ELNS1_11target_archE1100ELNS1_3gpuE3ELNS1_3repE0EEENS1_30default_config_static_selectorELNS0_4arch9wavefront6targetE1EEEvT1_,comdat
.Lfunc_end237:
	.size	_ZN7rocprim17ROCPRIM_400000_NS6detail17trampoline_kernelINS0_14default_configENS1_25partition_config_selectorILNS1_17partition_subalgoE2EiNS0_10empty_typeEbEEZZNS1_14partition_implILS5_2ELb0ES3_jN6thrust23THRUST_200600_302600_NS6detail15normal_iteratorINSA_7pointerIiNSA_11hip_rocprim3tagENSA_11use_defaultESG_EEEEPS6_NSA_18transform_iteratorI7is_evenIiENSC_INSA_10device_ptrIiEEEESG_SG_EENS0_5tupleIJPiSJ_EEENSR_IJSJ_SJ_EEES6_PlJS6_EEE10hipError_tPvRmT3_T4_T5_T6_T7_T9_mT8_P12ihipStream_tbDpT10_ENKUlT_T0_E_clISt17integral_constantIbLb1EES1F_EEDaS1A_S1B_EUlS1A_E_NS1_11comp_targetILNS1_3genE9ELNS1_11target_archE1100ELNS1_3gpuE3ELNS1_3repE0EEENS1_30default_config_static_selectorELNS0_4arch9wavefront6targetE1EEEvT1_, .Lfunc_end237-_ZN7rocprim17ROCPRIM_400000_NS6detail17trampoline_kernelINS0_14default_configENS1_25partition_config_selectorILNS1_17partition_subalgoE2EiNS0_10empty_typeEbEEZZNS1_14partition_implILS5_2ELb0ES3_jN6thrust23THRUST_200600_302600_NS6detail15normal_iteratorINSA_7pointerIiNSA_11hip_rocprim3tagENSA_11use_defaultESG_EEEEPS6_NSA_18transform_iteratorI7is_evenIiENSC_INSA_10device_ptrIiEEEESG_SG_EENS0_5tupleIJPiSJ_EEENSR_IJSJ_SJ_EEES6_PlJS6_EEE10hipError_tPvRmT3_T4_T5_T6_T7_T9_mT8_P12ihipStream_tbDpT10_ENKUlT_T0_E_clISt17integral_constantIbLb1EES1F_EEDaS1A_S1B_EUlS1A_E_NS1_11comp_targetILNS1_3genE9ELNS1_11target_archE1100ELNS1_3gpuE3ELNS1_3repE0EEENS1_30default_config_static_selectorELNS0_4arch9wavefront6targetE1EEEvT1_
                                        ; -- End function
	.section	.AMDGPU.csdata,"",@progbits
; Kernel info:
; codeLenInByte = 0
; NumSgprs: 6
; NumVgprs: 0
; NumAgprs: 0
; TotalNumVgprs: 0
; ScratchSize: 0
; MemoryBound: 0
; FloatMode: 240
; IeeeMode: 1
; LDSByteSize: 0 bytes/workgroup (compile time only)
; SGPRBlocks: 0
; VGPRBlocks: 0
; NumSGPRsForWavesPerEU: 6
; NumVGPRsForWavesPerEU: 1
; AccumOffset: 4
; Occupancy: 8
; WaveLimiterHint : 0
; COMPUTE_PGM_RSRC2:SCRATCH_EN: 0
; COMPUTE_PGM_RSRC2:USER_SGPR: 2
; COMPUTE_PGM_RSRC2:TRAP_HANDLER: 0
; COMPUTE_PGM_RSRC2:TGID_X_EN: 1
; COMPUTE_PGM_RSRC2:TGID_Y_EN: 0
; COMPUTE_PGM_RSRC2:TGID_Z_EN: 0
; COMPUTE_PGM_RSRC2:TIDIG_COMP_CNT: 0
; COMPUTE_PGM_RSRC3_GFX90A:ACCUM_OFFSET: 0
; COMPUTE_PGM_RSRC3_GFX90A:TG_SPLIT: 0
	.section	.text._ZN7rocprim17ROCPRIM_400000_NS6detail17trampoline_kernelINS0_14default_configENS1_25partition_config_selectorILNS1_17partition_subalgoE2EiNS0_10empty_typeEbEEZZNS1_14partition_implILS5_2ELb0ES3_jN6thrust23THRUST_200600_302600_NS6detail15normal_iteratorINSA_7pointerIiNSA_11hip_rocprim3tagENSA_11use_defaultESG_EEEEPS6_NSA_18transform_iteratorI7is_evenIiENSC_INSA_10device_ptrIiEEEESG_SG_EENS0_5tupleIJPiSJ_EEENSR_IJSJ_SJ_EEES6_PlJS6_EEE10hipError_tPvRmT3_T4_T5_T6_T7_T9_mT8_P12ihipStream_tbDpT10_ENKUlT_T0_E_clISt17integral_constantIbLb1EES1F_EEDaS1A_S1B_EUlS1A_E_NS1_11comp_targetILNS1_3genE8ELNS1_11target_archE1030ELNS1_3gpuE2ELNS1_3repE0EEENS1_30default_config_static_selectorELNS0_4arch9wavefront6targetE1EEEvT1_,"axG",@progbits,_ZN7rocprim17ROCPRIM_400000_NS6detail17trampoline_kernelINS0_14default_configENS1_25partition_config_selectorILNS1_17partition_subalgoE2EiNS0_10empty_typeEbEEZZNS1_14partition_implILS5_2ELb0ES3_jN6thrust23THRUST_200600_302600_NS6detail15normal_iteratorINSA_7pointerIiNSA_11hip_rocprim3tagENSA_11use_defaultESG_EEEEPS6_NSA_18transform_iteratorI7is_evenIiENSC_INSA_10device_ptrIiEEEESG_SG_EENS0_5tupleIJPiSJ_EEENSR_IJSJ_SJ_EEES6_PlJS6_EEE10hipError_tPvRmT3_T4_T5_T6_T7_T9_mT8_P12ihipStream_tbDpT10_ENKUlT_T0_E_clISt17integral_constantIbLb1EES1F_EEDaS1A_S1B_EUlS1A_E_NS1_11comp_targetILNS1_3genE8ELNS1_11target_archE1030ELNS1_3gpuE2ELNS1_3repE0EEENS1_30default_config_static_selectorELNS0_4arch9wavefront6targetE1EEEvT1_,comdat
	.protected	_ZN7rocprim17ROCPRIM_400000_NS6detail17trampoline_kernelINS0_14default_configENS1_25partition_config_selectorILNS1_17partition_subalgoE2EiNS0_10empty_typeEbEEZZNS1_14partition_implILS5_2ELb0ES3_jN6thrust23THRUST_200600_302600_NS6detail15normal_iteratorINSA_7pointerIiNSA_11hip_rocprim3tagENSA_11use_defaultESG_EEEEPS6_NSA_18transform_iteratorI7is_evenIiENSC_INSA_10device_ptrIiEEEESG_SG_EENS0_5tupleIJPiSJ_EEENSR_IJSJ_SJ_EEES6_PlJS6_EEE10hipError_tPvRmT3_T4_T5_T6_T7_T9_mT8_P12ihipStream_tbDpT10_ENKUlT_T0_E_clISt17integral_constantIbLb1EES1F_EEDaS1A_S1B_EUlS1A_E_NS1_11comp_targetILNS1_3genE8ELNS1_11target_archE1030ELNS1_3gpuE2ELNS1_3repE0EEENS1_30default_config_static_selectorELNS0_4arch9wavefront6targetE1EEEvT1_ ; -- Begin function _ZN7rocprim17ROCPRIM_400000_NS6detail17trampoline_kernelINS0_14default_configENS1_25partition_config_selectorILNS1_17partition_subalgoE2EiNS0_10empty_typeEbEEZZNS1_14partition_implILS5_2ELb0ES3_jN6thrust23THRUST_200600_302600_NS6detail15normal_iteratorINSA_7pointerIiNSA_11hip_rocprim3tagENSA_11use_defaultESG_EEEEPS6_NSA_18transform_iteratorI7is_evenIiENSC_INSA_10device_ptrIiEEEESG_SG_EENS0_5tupleIJPiSJ_EEENSR_IJSJ_SJ_EEES6_PlJS6_EEE10hipError_tPvRmT3_T4_T5_T6_T7_T9_mT8_P12ihipStream_tbDpT10_ENKUlT_T0_E_clISt17integral_constantIbLb1EES1F_EEDaS1A_S1B_EUlS1A_E_NS1_11comp_targetILNS1_3genE8ELNS1_11target_archE1030ELNS1_3gpuE2ELNS1_3repE0EEENS1_30default_config_static_selectorELNS0_4arch9wavefront6targetE1EEEvT1_
	.globl	_ZN7rocprim17ROCPRIM_400000_NS6detail17trampoline_kernelINS0_14default_configENS1_25partition_config_selectorILNS1_17partition_subalgoE2EiNS0_10empty_typeEbEEZZNS1_14partition_implILS5_2ELb0ES3_jN6thrust23THRUST_200600_302600_NS6detail15normal_iteratorINSA_7pointerIiNSA_11hip_rocprim3tagENSA_11use_defaultESG_EEEEPS6_NSA_18transform_iteratorI7is_evenIiENSC_INSA_10device_ptrIiEEEESG_SG_EENS0_5tupleIJPiSJ_EEENSR_IJSJ_SJ_EEES6_PlJS6_EEE10hipError_tPvRmT3_T4_T5_T6_T7_T9_mT8_P12ihipStream_tbDpT10_ENKUlT_T0_E_clISt17integral_constantIbLb1EES1F_EEDaS1A_S1B_EUlS1A_E_NS1_11comp_targetILNS1_3genE8ELNS1_11target_archE1030ELNS1_3gpuE2ELNS1_3repE0EEENS1_30default_config_static_selectorELNS0_4arch9wavefront6targetE1EEEvT1_
	.p2align	8
	.type	_ZN7rocprim17ROCPRIM_400000_NS6detail17trampoline_kernelINS0_14default_configENS1_25partition_config_selectorILNS1_17partition_subalgoE2EiNS0_10empty_typeEbEEZZNS1_14partition_implILS5_2ELb0ES3_jN6thrust23THRUST_200600_302600_NS6detail15normal_iteratorINSA_7pointerIiNSA_11hip_rocprim3tagENSA_11use_defaultESG_EEEEPS6_NSA_18transform_iteratorI7is_evenIiENSC_INSA_10device_ptrIiEEEESG_SG_EENS0_5tupleIJPiSJ_EEENSR_IJSJ_SJ_EEES6_PlJS6_EEE10hipError_tPvRmT3_T4_T5_T6_T7_T9_mT8_P12ihipStream_tbDpT10_ENKUlT_T0_E_clISt17integral_constantIbLb1EES1F_EEDaS1A_S1B_EUlS1A_E_NS1_11comp_targetILNS1_3genE8ELNS1_11target_archE1030ELNS1_3gpuE2ELNS1_3repE0EEENS1_30default_config_static_selectorELNS0_4arch9wavefront6targetE1EEEvT1_,@function
_ZN7rocprim17ROCPRIM_400000_NS6detail17trampoline_kernelINS0_14default_configENS1_25partition_config_selectorILNS1_17partition_subalgoE2EiNS0_10empty_typeEbEEZZNS1_14partition_implILS5_2ELb0ES3_jN6thrust23THRUST_200600_302600_NS6detail15normal_iteratorINSA_7pointerIiNSA_11hip_rocprim3tagENSA_11use_defaultESG_EEEEPS6_NSA_18transform_iteratorI7is_evenIiENSC_INSA_10device_ptrIiEEEESG_SG_EENS0_5tupleIJPiSJ_EEENSR_IJSJ_SJ_EEES6_PlJS6_EEE10hipError_tPvRmT3_T4_T5_T6_T7_T9_mT8_P12ihipStream_tbDpT10_ENKUlT_T0_E_clISt17integral_constantIbLb1EES1F_EEDaS1A_S1B_EUlS1A_E_NS1_11comp_targetILNS1_3genE8ELNS1_11target_archE1030ELNS1_3gpuE2ELNS1_3repE0EEENS1_30default_config_static_selectorELNS0_4arch9wavefront6targetE1EEEvT1_: ; @_ZN7rocprim17ROCPRIM_400000_NS6detail17trampoline_kernelINS0_14default_configENS1_25partition_config_selectorILNS1_17partition_subalgoE2EiNS0_10empty_typeEbEEZZNS1_14partition_implILS5_2ELb0ES3_jN6thrust23THRUST_200600_302600_NS6detail15normal_iteratorINSA_7pointerIiNSA_11hip_rocprim3tagENSA_11use_defaultESG_EEEEPS6_NSA_18transform_iteratorI7is_evenIiENSC_INSA_10device_ptrIiEEEESG_SG_EENS0_5tupleIJPiSJ_EEENSR_IJSJ_SJ_EEES6_PlJS6_EEE10hipError_tPvRmT3_T4_T5_T6_T7_T9_mT8_P12ihipStream_tbDpT10_ENKUlT_T0_E_clISt17integral_constantIbLb1EES1F_EEDaS1A_S1B_EUlS1A_E_NS1_11comp_targetILNS1_3genE8ELNS1_11target_archE1030ELNS1_3gpuE2ELNS1_3repE0EEENS1_30default_config_static_selectorELNS0_4arch9wavefront6targetE1EEEvT1_
; %bb.0:
	.section	.rodata,"a",@progbits
	.p2align	6, 0x0
	.amdhsa_kernel _ZN7rocprim17ROCPRIM_400000_NS6detail17trampoline_kernelINS0_14default_configENS1_25partition_config_selectorILNS1_17partition_subalgoE2EiNS0_10empty_typeEbEEZZNS1_14partition_implILS5_2ELb0ES3_jN6thrust23THRUST_200600_302600_NS6detail15normal_iteratorINSA_7pointerIiNSA_11hip_rocprim3tagENSA_11use_defaultESG_EEEEPS6_NSA_18transform_iteratorI7is_evenIiENSC_INSA_10device_ptrIiEEEESG_SG_EENS0_5tupleIJPiSJ_EEENSR_IJSJ_SJ_EEES6_PlJS6_EEE10hipError_tPvRmT3_T4_T5_T6_T7_T9_mT8_P12ihipStream_tbDpT10_ENKUlT_T0_E_clISt17integral_constantIbLb1EES1F_EEDaS1A_S1B_EUlS1A_E_NS1_11comp_targetILNS1_3genE8ELNS1_11target_archE1030ELNS1_3gpuE2ELNS1_3repE0EEENS1_30default_config_static_selectorELNS0_4arch9wavefront6targetE1EEEvT1_
		.amdhsa_group_segment_fixed_size 0
		.amdhsa_private_segment_fixed_size 0
		.amdhsa_kernarg_size 144
		.amdhsa_user_sgpr_count 2
		.amdhsa_user_sgpr_dispatch_ptr 0
		.amdhsa_user_sgpr_queue_ptr 0
		.amdhsa_user_sgpr_kernarg_segment_ptr 1
		.amdhsa_user_sgpr_dispatch_id 0
		.amdhsa_user_sgpr_kernarg_preload_length 0
		.amdhsa_user_sgpr_kernarg_preload_offset 0
		.amdhsa_user_sgpr_private_segment_size 0
		.amdhsa_uses_dynamic_stack 0
		.amdhsa_enable_private_segment 0
		.amdhsa_system_sgpr_workgroup_id_x 1
		.amdhsa_system_sgpr_workgroup_id_y 0
		.amdhsa_system_sgpr_workgroup_id_z 0
		.amdhsa_system_sgpr_workgroup_info 0
		.amdhsa_system_vgpr_workitem_id 0
		.amdhsa_next_free_vgpr 1
		.amdhsa_next_free_sgpr 0
		.amdhsa_accum_offset 4
		.amdhsa_reserve_vcc 0
		.amdhsa_float_round_mode_32 0
		.amdhsa_float_round_mode_16_64 0
		.amdhsa_float_denorm_mode_32 3
		.amdhsa_float_denorm_mode_16_64 3
		.amdhsa_dx10_clamp 1
		.amdhsa_ieee_mode 1
		.amdhsa_fp16_overflow 0
		.amdhsa_tg_split 0
		.amdhsa_exception_fp_ieee_invalid_op 0
		.amdhsa_exception_fp_denorm_src 0
		.amdhsa_exception_fp_ieee_div_zero 0
		.amdhsa_exception_fp_ieee_overflow 0
		.amdhsa_exception_fp_ieee_underflow 0
		.amdhsa_exception_fp_ieee_inexact 0
		.amdhsa_exception_int_div_zero 0
	.end_amdhsa_kernel
	.section	.text._ZN7rocprim17ROCPRIM_400000_NS6detail17trampoline_kernelINS0_14default_configENS1_25partition_config_selectorILNS1_17partition_subalgoE2EiNS0_10empty_typeEbEEZZNS1_14partition_implILS5_2ELb0ES3_jN6thrust23THRUST_200600_302600_NS6detail15normal_iteratorINSA_7pointerIiNSA_11hip_rocprim3tagENSA_11use_defaultESG_EEEEPS6_NSA_18transform_iteratorI7is_evenIiENSC_INSA_10device_ptrIiEEEESG_SG_EENS0_5tupleIJPiSJ_EEENSR_IJSJ_SJ_EEES6_PlJS6_EEE10hipError_tPvRmT3_T4_T5_T6_T7_T9_mT8_P12ihipStream_tbDpT10_ENKUlT_T0_E_clISt17integral_constantIbLb1EES1F_EEDaS1A_S1B_EUlS1A_E_NS1_11comp_targetILNS1_3genE8ELNS1_11target_archE1030ELNS1_3gpuE2ELNS1_3repE0EEENS1_30default_config_static_selectorELNS0_4arch9wavefront6targetE1EEEvT1_,"axG",@progbits,_ZN7rocprim17ROCPRIM_400000_NS6detail17trampoline_kernelINS0_14default_configENS1_25partition_config_selectorILNS1_17partition_subalgoE2EiNS0_10empty_typeEbEEZZNS1_14partition_implILS5_2ELb0ES3_jN6thrust23THRUST_200600_302600_NS6detail15normal_iteratorINSA_7pointerIiNSA_11hip_rocprim3tagENSA_11use_defaultESG_EEEEPS6_NSA_18transform_iteratorI7is_evenIiENSC_INSA_10device_ptrIiEEEESG_SG_EENS0_5tupleIJPiSJ_EEENSR_IJSJ_SJ_EEES6_PlJS6_EEE10hipError_tPvRmT3_T4_T5_T6_T7_T9_mT8_P12ihipStream_tbDpT10_ENKUlT_T0_E_clISt17integral_constantIbLb1EES1F_EEDaS1A_S1B_EUlS1A_E_NS1_11comp_targetILNS1_3genE8ELNS1_11target_archE1030ELNS1_3gpuE2ELNS1_3repE0EEENS1_30default_config_static_selectorELNS0_4arch9wavefront6targetE1EEEvT1_,comdat
.Lfunc_end238:
	.size	_ZN7rocprim17ROCPRIM_400000_NS6detail17trampoline_kernelINS0_14default_configENS1_25partition_config_selectorILNS1_17partition_subalgoE2EiNS0_10empty_typeEbEEZZNS1_14partition_implILS5_2ELb0ES3_jN6thrust23THRUST_200600_302600_NS6detail15normal_iteratorINSA_7pointerIiNSA_11hip_rocprim3tagENSA_11use_defaultESG_EEEEPS6_NSA_18transform_iteratorI7is_evenIiENSC_INSA_10device_ptrIiEEEESG_SG_EENS0_5tupleIJPiSJ_EEENSR_IJSJ_SJ_EEES6_PlJS6_EEE10hipError_tPvRmT3_T4_T5_T6_T7_T9_mT8_P12ihipStream_tbDpT10_ENKUlT_T0_E_clISt17integral_constantIbLb1EES1F_EEDaS1A_S1B_EUlS1A_E_NS1_11comp_targetILNS1_3genE8ELNS1_11target_archE1030ELNS1_3gpuE2ELNS1_3repE0EEENS1_30default_config_static_selectorELNS0_4arch9wavefront6targetE1EEEvT1_, .Lfunc_end238-_ZN7rocprim17ROCPRIM_400000_NS6detail17trampoline_kernelINS0_14default_configENS1_25partition_config_selectorILNS1_17partition_subalgoE2EiNS0_10empty_typeEbEEZZNS1_14partition_implILS5_2ELb0ES3_jN6thrust23THRUST_200600_302600_NS6detail15normal_iteratorINSA_7pointerIiNSA_11hip_rocprim3tagENSA_11use_defaultESG_EEEEPS6_NSA_18transform_iteratorI7is_evenIiENSC_INSA_10device_ptrIiEEEESG_SG_EENS0_5tupleIJPiSJ_EEENSR_IJSJ_SJ_EEES6_PlJS6_EEE10hipError_tPvRmT3_T4_T5_T6_T7_T9_mT8_P12ihipStream_tbDpT10_ENKUlT_T0_E_clISt17integral_constantIbLb1EES1F_EEDaS1A_S1B_EUlS1A_E_NS1_11comp_targetILNS1_3genE8ELNS1_11target_archE1030ELNS1_3gpuE2ELNS1_3repE0EEENS1_30default_config_static_selectorELNS0_4arch9wavefront6targetE1EEEvT1_
                                        ; -- End function
	.section	.AMDGPU.csdata,"",@progbits
; Kernel info:
; codeLenInByte = 0
; NumSgprs: 6
; NumVgprs: 0
; NumAgprs: 0
; TotalNumVgprs: 0
; ScratchSize: 0
; MemoryBound: 0
; FloatMode: 240
; IeeeMode: 1
; LDSByteSize: 0 bytes/workgroup (compile time only)
; SGPRBlocks: 0
; VGPRBlocks: 0
; NumSGPRsForWavesPerEU: 6
; NumVGPRsForWavesPerEU: 1
; AccumOffset: 4
; Occupancy: 8
; WaveLimiterHint : 0
; COMPUTE_PGM_RSRC2:SCRATCH_EN: 0
; COMPUTE_PGM_RSRC2:USER_SGPR: 2
; COMPUTE_PGM_RSRC2:TRAP_HANDLER: 0
; COMPUTE_PGM_RSRC2:TGID_X_EN: 1
; COMPUTE_PGM_RSRC2:TGID_Y_EN: 0
; COMPUTE_PGM_RSRC2:TGID_Z_EN: 0
; COMPUTE_PGM_RSRC2:TIDIG_COMP_CNT: 0
; COMPUTE_PGM_RSRC3_GFX90A:ACCUM_OFFSET: 0
; COMPUTE_PGM_RSRC3_GFX90A:TG_SPLIT: 0
	.section	.text._ZN7rocprim17ROCPRIM_400000_NS6detail17trampoline_kernelINS0_14default_configENS1_25partition_config_selectorILNS1_17partition_subalgoE2EiNS0_10empty_typeEbEEZZNS1_14partition_implILS5_2ELb0ES3_jN6thrust23THRUST_200600_302600_NS6detail15normal_iteratorINSA_7pointerIiNSA_11hip_rocprim3tagENSA_11use_defaultESG_EEEEPS6_NSA_18transform_iteratorI7is_evenIiENSC_INSA_10device_ptrIiEEEESG_SG_EENS0_5tupleIJPiSJ_EEENSR_IJSJ_SJ_EEES6_PlJS6_EEE10hipError_tPvRmT3_T4_T5_T6_T7_T9_mT8_P12ihipStream_tbDpT10_ENKUlT_T0_E_clISt17integral_constantIbLb1EES1E_IbLb0EEEEDaS1A_S1B_EUlS1A_E_NS1_11comp_targetILNS1_3genE0ELNS1_11target_archE4294967295ELNS1_3gpuE0ELNS1_3repE0EEENS1_30default_config_static_selectorELNS0_4arch9wavefront6targetE1EEEvT1_,"axG",@progbits,_ZN7rocprim17ROCPRIM_400000_NS6detail17trampoline_kernelINS0_14default_configENS1_25partition_config_selectorILNS1_17partition_subalgoE2EiNS0_10empty_typeEbEEZZNS1_14partition_implILS5_2ELb0ES3_jN6thrust23THRUST_200600_302600_NS6detail15normal_iteratorINSA_7pointerIiNSA_11hip_rocprim3tagENSA_11use_defaultESG_EEEEPS6_NSA_18transform_iteratorI7is_evenIiENSC_INSA_10device_ptrIiEEEESG_SG_EENS0_5tupleIJPiSJ_EEENSR_IJSJ_SJ_EEES6_PlJS6_EEE10hipError_tPvRmT3_T4_T5_T6_T7_T9_mT8_P12ihipStream_tbDpT10_ENKUlT_T0_E_clISt17integral_constantIbLb1EES1E_IbLb0EEEEDaS1A_S1B_EUlS1A_E_NS1_11comp_targetILNS1_3genE0ELNS1_11target_archE4294967295ELNS1_3gpuE0ELNS1_3repE0EEENS1_30default_config_static_selectorELNS0_4arch9wavefront6targetE1EEEvT1_,comdat
	.protected	_ZN7rocprim17ROCPRIM_400000_NS6detail17trampoline_kernelINS0_14default_configENS1_25partition_config_selectorILNS1_17partition_subalgoE2EiNS0_10empty_typeEbEEZZNS1_14partition_implILS5_2ELb0ES3_jN6thrust23THRUST_200600_302600_NS6detail15normal_iteratorINSA_7pointerIiNSA_11hip_rocprim3tagENSA_11use_defaultESG_EEEEPS6_NSA_18transform_iteratorI7is_evenIiENSC_INSA_10device_ptrIiEEEESG_SG_EENS0_5tupleIJPiSJ_EEENSR_IJSJ_SJ_EEES6_PlJS6_EEE10hipError_tPvRmT3_T4_T5_T6_T7_T9_mT8_P12ihipStream_tbDpT10_ENKUlT_T0_E_clISt17integral_constantIbLb1EES1E_IbLb0EEEEDaS1A_S1B_EUlS1A_E_NS1_11comp_targetILNS1_3genE0ELNS1_11target_archE4294967295ELNS1_3gpuE0ELNS1_3repE0EEENS1_30default_config_static_selectorELNS0_4arch9wavefront6targetE1EEEvT1_ ; -- Begin function _ZN7rocprim17ROCPRIM_400000_NS6detail17trampoline_kernelINS0_14default_configENS1_25partition_config_selectorILNS1_17partition_subalgoE2EiNS0_10empty_typeEbEEZZNS1_14partition_implILS5_2ELb0ES3_jN6thrust23THRUST_200600_302600_NS6detail15normal_iteratorINSA_7pointerIiNSA_11hip_rocprim3tagENSA_11use_defaultESG_EEEEPS6_NSA_18transform_iteratorI7is_evenIiENSC_INSA_10device_ptrIiEEEESG_SG_EENS0_5tupleIJPiSJ_EEENSR_IJSJ_SJ_EEES6_PlJS6_EEE10hipError_tPvRmT3_T4_T5_T6_T7_T9_mT8_P12ihipStream_tbDpT10_ENKUlT_T0_E_clISt17integral_constantIbLb1EES1E_IbLb0EEEEDaS1A_S1B_EUlS1A_E_NS1_11comp_targetILNS1_3genE0ELNS1_11target_archE4294967295ELNS1_3gpuE0ELNS1_3repE0EEENS1_30default_config_static_selectorELNS0_4arch9wavefront6targetE1EEEvT1_
	.globl	_ZN7rocprim17ROCPRIM_400000_NS6detail17trampoline_kernelINS0_14default_configENS1_25partition_config_selectorILNS1_17partition_subalgoE2EiNS0_10empty_typeEbEEZZNS1_14partition_implILS5_2ELb0ES3_jN6thrust23THRUST_200600_302600_NS6detail15normal_iteratorINSA_7pointerIiNSA_11hip_rocprim3tagENSA_11use_defaultESG_EEEEPS6_NSA_18transform_iteratorI7is_evenIiENSC_INSA_10device_ptrIiEEEESG_SG_EENS0_5tupleIJPiSJ_EEENSR_IJSJ_SJ_EEES6_PlJS6_EEE10hipError_tPvRmT3_T4_T5_T6_T7_T9_mT8_P12ihipStream_tbDpT10_ENKUlT_T0_E_clISt17integral_constantIbLb1EES1E_IbLb0EEEEDaS1A_S1B_EUlS1A_E_NS1_11comp_targetILNS1_3genE0ELNS1_11target_archE4294967295ELNS1_3gpuE0ELNS1_3repE0EEENS1_30default_config_static_selectorELNS0_4arch9wavefront6targetE1EEEvT1_
	.p2align	8
	.type	_ZN7rocprim17ROCPRIM_400000_NS6detail17trampoline_kernelINS0_14default_configENS1_25partition_config_selectorILNS1_17partition_subalgoE2EiNS0_10empty_typeEbEEZZNS1_14partition_implILS5_2ELb0ES3_jN6thrust23THRUST_200600_302600_NS6detail15normal_iteratorINSA_7pointerIiNSA_11hip_rocprim3tagENSA_11use_defaultESG_EEEEPS6_NSA_18transform_iteratorI7is_evenIiENSC_INSA_10device_ptrIiEEEESG_SG_EENS0_5tupleIJPiSJ_EEENSR_IJSJ_SJ_EEES6_PlJS6_EEE10hipError_tPvRmT3_T4_T5_T6_T7_T9_mT8_P12ihipStream_tbDpT10_ENKUlT_T0_E_clISt17integral_constantIbLb1EES1E_IbLb0EEEEDaS1A_S1B_EUlS1A_E_NS1_11comp_targetILNS1_3genE0ELNS1_11target_archE4294967295ELNS1_3gpuE0ELNS1_3repE0EEENS1_30default_config_static_selectorELNS0_4arch9wavefront6targetE1EEEvT1_,@function
_ZN7rocprim17ROCPRIM_400000_NS6detail17trampoline_kernelINS0_14default_configENS1_25partition_config_selectorILNS1_17partition_subalgoE2EiNS0_10empty_typeEbEEZZNS1_14partition_implILS5_2ELb0ES3_jN6thrust23THRUST_200600_302600_NS6detail15normal_iteratorINSA_7pointerIiNSA_11hip_rocprim3tagENSA_11use_defaultESG_EEEEPS6_NSA_18transform_iteratorI7is_evenIiENSC_INSA_10device_ptrIiEEEESG_SG_EENS0_5tupleIJPiSJ_EEENSR_IJSJ_SJ_EEES6_PlJS6_EEE10hipError_tPvRmT3_T4_T5_T6_T7_T9_mT8_P12ihipStream_tbDpT10_ENKUlT_T0_E_clISt17integral_constantIbLb1EES1E_IbLb0EEEEDaS1A_S1B_EUlS1A_E_NS1_11comp_targetILNS1_3genE0ELNS1_11target_archE4294967295ELNS1_3gpuE0ELNS1_3repE0EEENS1_30default_config_static_selectorELNS0_4arch9wavefront6targetE1EEEvT1_: ; @_ZN7rocprim17ROCPRIM_400000_NS6detail17trampoline_kernelINS0_14default_configENS1_25partition_config_selectorILNS1_17partition_subalgoE2EiNS0_10empty_typeEbEEZZNS1_14partition_implILS5_2ELb0ES3_jN6thrust23THRUST_200600_302600_NS6detail15normal_iteratorINSA_7pointerIiNSA_11hip_rocprim3tagENSA_11use_defaultESG_EEEEPS6_NSA_18transform_iteratorI7is_evenIiENSC_INSA_10device_ptrIiEEEESG_SG_EENS0_5tupleIJPiSJ_EEENSR_IJSJ_SJ_EEES6_PlJS6_EEE10hipError_tPvRmT3_T4_T5_T6_T7_T9_mT8_P12ihipStream_tbDpT10_ENKUlT_T0_E_clISt17integral_constantIbLb1EES1E_IbLb0EEEEDaS1A_S1B_EUlS1A_E_NS1_11comp_targetILNS1_3genE0ELNS1_11target_archE4294967295ELNS1_3gpuE0ELNS1_3repE0EEENS1_30default_config_static_selectorELNS0_4arch9wavefront6targetE1EEEvT1_
; %bb.0:
	.section	.rodata,"a",@progbits
	.p2align	6, 0x0
	.amdhsa_kernel _ZN7rocprim17ROCPRIM_400000_NS6detail17trampoline_kernelINS0_14default_configENS1_25partition_config_selectorILNS1_17partition_subalgoE2EiNS0_10empty_typeEbEEZZNS1_14partition_implILS5_2ELb0ES3_jN6thrust23THRUST_200600_302600_NS6detail15normal_iteratorINSA_7pointerIiNSA_11hip_rocprim3tagENSA_11use_defaultESG_EEEEPS6_NSA_18transform_iteratorI7is_evenIiENSC_INSA_10device_ptrIiEEEESG_SG_EENS0_5tupleIJPiSJ_EEENSR_IJSJ_SJ_EEES6_PlJS6_EEE10hipError_tPvRmT3_T4_T5_T6_T7_T9_mT8_P12ihipStream_tbDpT10_ENKUlT_T0_E_clISt17integral_constantIbLb1EES1E_IbLb0EEEEDaS1A_S1B_EUlS1A_E_NS1_11comp_targetILNS1_3genE0ELNS1_11target_archE4294967295ELNS1_3gpuE0ELNS1_3repE0EEENS1_30default_config_static_selectorELNS0_4arch9wavefront6targetE1EEEvT1_
		.amdhsa_group_segment_fixed_size 0
		.amdhsa_private_segment_fixed_size 0
		.amdhsa_kernarg_size 128
		.amdhsa_user_sgpr_count 2
		.amdhsa_user_sgpr_dispatch_ptr 0
		.amdhsa_user_sgpr_queue_ptr 0
		.amdhsa_user_sgpr_kernarg_segment_ptr 1
		.amdhsa_user_sgpr_dispatch_id 0
		.amdhsa_user_sgpr_kernarg_preload_length 0
		.amdhsa_user_sgpr_kernarg_preload_offset 0
		.amdhsa_user_sgpr_private_segment_size 0
		.amdhsa_uses_dynamic_stack 0
		.amdhsa_enable_private_segment 0
		.amdhsa_system_sgpr_workgroup_id_x 1
		.amdhsa_system_sgpr_workgroup_id_y 0
		.amdhsa_system_sgpr_workgroup_id_z 0
		.amdhsa_system_sgpr_workgroup_info 0
		.amdhsa_system_vgpr_workitem_id 0
		.amdhsa_next_free_vgpr 1
		.amdhsa_next_free_sgpr 0
		.amdhsa_accum_offset 4
		.amdhsa_reserve_vcc 0
		.amdhsa_float_round_mode_32 0
		.amdhsa_float_round_mode_16_64 0
		.amdhsa_float_denorm_mode_32 3
		.amdhsa_float_denorm_mode_16_64 3
		.amdhsa_dx10_clamp 1
		.amdhsa_ieee_mode 1
		.amdhsa_fp16_overflow 0
		.amdhsa_tg_split 0
		.amdhsa_exception_fp_ieee_invalid_op 0
		.amdhsa_exception_fp_denorm_src 0
		.amdhsa_exception_fp_ieee_div_zero 0
		.amdhsa_exception_fp_ieee_overflow 0
		.amdhsa_exception_fp_ieee_underflow 0
		.amdhsa_exception_fp_ieee_inexact 0
		.amdhsa_exception_int_div_zero 0
	.end_amdhsa_kernel
	.section	.text._ZN7rocprim17ROCPRIM_400000_NS6detail17trampoline_kernelINS0_14default_configENS1_25partition_config_selectorILNS1_17partition_subalgoE2EiNS0_10empty_typeEbEEZZNS1_14partition_implILS5_2ELb0ES3_jN6thrust23THRUST_200600_302600_NS6detail15normal_iteratorINSA_7pointerIiNSA_11hip_rocprim3tagENSA_11use_defaultESG_EEEEPS6_NSA_18transform_iteratorI7is_evenIiENSC_INSA_10device_ptrIiEEEESG_SG_EENS0_5tupleIJPiSJ_EEENSR_IJSJ_SJ_EEES6_PlJS6_EEE10hipError_tPvRmT3_T4_T5_T6_T7_T9_mT8_P12ihipStream_tbDpT10_ENKUlT_T0_E_clISt17integral_constantIbLb1EES1E_IbLb0EEEEDaS1A_S1B_EUlS1A_E_NS1_11comp_targetILNS1_3genE0ELNS1_11target_archE4294967295ELNS1_3gpuE0ELNS1_3repE0EEENS1_30default_config_static_selectorELNS0_4arch9wavefront6targetE1EEEvT1_,"axG",@progbits,_ZN7rocprim17ROCPRIM_400000_NS6detail17trampoline_kernelINS0_14default_configENS1_25partition_config_selectorILNS1_17partition_subalgoE2EiNS0_10empty_typeEbEEZZNS1_14partition_implILS5_2ELb0ES3_jN6thrust23THRUST_200600_302600_NS6detail15normal_iteratorINSA_7pointerIiNSA_11hip_rocprim3tagENSA_11use_defaultESG_EEEEPS6_NSA_18transform_iteratorI7is_evenIiENSC_INSA_10device_ptrIiEEEESG_SG_EENS0_5tupleIJPiSJ_EEENSR_IJSJ_SJ_EEES6_PlJS6_EEE10hipError_tPvRmT3_T4_T5_T6_T7_T9_mT8_P12ihipStream_tbDpT10_ENKUlT_T0_E_clISt17integral_constantIbLb1EES1E_IbLb0EEEEDaS1A_S1B_EUlS1A_E_NS1_11comp_targetILNS1_3genE0ELNS1_11target_archE4294967295ELNS1_3gpuE0ELNS1_3repE0EEENS1_30default_config_static_selectorELNS0_4arch9wavefront6targetE1EEEvT1_,comdat
.Lfunc_end239:
	.size	_ZN7rocprim17ROCPRIM_400000_NS6detail17trampoline_kernelINS0_14default_configENS1_25partition_config_selectorILNS1_17partition_subalgoE2EiNS0_10empty_typeEbEEZZNS1_14partition_implILS5_2ELb0ES3_jN6thrust23THRUST_200600_302600_NS6detail15normal_iteratorINSA_7pointerIiNSA_11hip_rocprim3tagENSA_11use_defaultESG_EEEEPS6_NSA_18transform_iteratorI7is_evenIiENSC_INSA_10device_ptrIiEEEESG_SG_EENS0_5tupleIJPiSJ_EEENSR_IJSJ_SJ_EEES6_PlJS6_EEE10hipError_tPvRmT3_T4_T5_T6_T7_T9_mT8_P12ihipStream_tbDpT10_ENKUlT_T0_E_clISt17integral_constantIbLb1EES1E_IbLb0EEEEDaS1A_S1B_EUlS1A_E_NS1_11comp_targetILNS1_3genE0ELNS1_11target_archE4294967295ELNS1_3gpuE0ELNS1_3repE0EEENS1_30default_config_static_selectorELNS0_4arch9wavefront6targetE1EEEvT1_, .Lfunc_end239-_ZN7rocprim17ROCPRIM_400000_NS6detail17trampoline_kernelINS0_14default_configENS1_25partition_config_selectorILNS1_17partition_subalgoE2EiNS0_10empty_typeEbEEZZNS1_14partition_implILS5_2ELb0ES3_jN6thrust23THRUST_200600_302600_NS6detail15normal_iteratorINSA_7pointerIiNSA_11hip_rocprim3tagENSA_11use_defaultESG_EEEEPS6_NSA_18transform_iteratorI7is_evenIiENSC_INSA_10device_ptrIiEEEESG_SG_EENS0_5tupleIJPiSJ_EEENSR_IJSJ_SJ_EEES6_PlJS6_EEE10hipError_tPvRmT3_T4_T5_T6_T7_T9_mT8_P12ihipStream_tbDpT10_ENKUlT_T0_E_clISt17integral_constantIbLb1EES1E_IbLb0EEEEDaS1A_S1B_EUlS1A_E_NS1_11comp_targetILNS1_3genE0ELNS1_11target_archE4294967295ELNS1_3gpuE0ELNS1_3repE0EEENS1_30default_config_static_selectorELNS0_4arch9wavefront6targetE1EEEvT1_
                                        ; -- End function
	.section	.AMDGPU.csdata,"",@progbits
; Kernel info:
; codeLenInByte = 0
; NumSgprs: 6
; NumVgprs: 0
; NumAgprs: 0
; TotalNumVgprs: 0
; ScratchSize: 0
; MemoryBound: 0
; FloatMode: 240
; IeeeMode: 1
; LDSByteSize: 0 bytes/workgroup (compile time only)
; SGPRBlocks: 0
; VGPRBlocks: 0
; NumSGPRsForWavesPerEU: 6
; NumVGPRsForWavesPerEU: 1
; AccumOffset: 4
; Occupancy: 8
; WaveLimiterHint : 0
; COMPUTE_PGM_RSRC2:SCRATCH_EN: 0
; COMPUTE_PGM_RSRC2:USER_SGPR: 2
; COMPUTE_PGM_RSRC2:TRAP_HANDLER: 0
; COMPUTE_PGM_RSRC2:TGID_X_EN: 1
; COMPUTE_PGM_RSRC2:TGID_Y_EN: 0
; COMPUTE_PGM_RSRC2:TGID_Z_EN: 0
; COMPUTE_PGM_RSRC2:TIDIG_COMP_CNT: 0
; COMPUTE_PGM_RSRC3_GFX90A:ACCUM_OFFSET: 0
; COMPUTE_PGM_RSRC3_GFX90A:TG_SPLIT: 0
	.section	.text._ZN7rocprim17ROCPRIM_400000_NS6detail17trampoline_kernelINS0_14default_configENS1_25partition_config_selectorILNS1_17partition_subalgoE2EiNS0_10empty_typeEbEEZZNS1_14partition_implILS5_2ELb0ES3_jN6thrust23THRUST_200600_302600_NS6detail15normal_iteratorINSA_7pointerIiNSA_11hip_rocprim3tagENSA_11use_defaultESG_EEEEPS6_NSA_18transform_iteratorI7is_evenIiENSC_INSA_10device_ptrIiEEEESG_SG_EENS0_5tupleIJPiSJ_EEENSR_IJSJ_SJ_EEES6_PlJS6_EEE10hipError_tPvRmT3_T4_T5_T6_T7_T9_mT8_P12ihipStream_tbDpT10_ENKUlT_T0_E_clISt17integral_constantIbLb1EES1E_IbLb0EEEEDaS1A_S1B_EUlS1A_E_NS1_11comp_targetILNS1_3genE5ELNS1_11target_archE942ELNS1_3gpuE9ELNS1_3repE0EEENS1_30default_config_static_selectorELNS0_4arch9wavefront6targetE1EEEvT1_,"axG",@progbits,_ZN7rocprim17ROCPRIM_400000_NS6detail17trampoline_kernelINS0_14default_configENS1_25partition_config_selectorILNS1_17partition_subalgoE2EiNS0_10empty_typeEbEEZZNS1_14partition_implILS5_2ELb0ES3_jN6thrust23THRUST_200600_302600_NS6detail15normal_iteratorINSA_7pointerIiNSA_11hip_rocprim3tagENSA_11use_defaultESG_EEEEPS6_NSA_18transform_iteratorI7is_evenIiENSC_INSA_10device_ptrIiEEEESG_SG_EENS0_5tupleIJPiSJ_EEENSR_IJSJ_SJ_EEES6_PlJS6_EEE10hipError_tPvRmT3_T4_T5_T6_T7_T9_mT8_P12ihipStream_tbDpT10_ENKUlT_T0_E_clISt17integral_constantIbLb1EES1E_IbLb0EEEEDaS1A_S1B_EUlS1A_E_NS1_11comp_targetILNS1_3genE5ELNS1_11target_archE942ELNS1_3gpuE9ELNS1_3repE0EEENS1_30default_config_static_selectorELNS0_4arch9wavefront6targetE1EEEvT1_,comdat
	.protected	_ZN7rocprim17ROCPRIM_400000_NS6detail17trampoline_kernelINS0_14default_configENS1_25partition_config_selectorILNS1_17partition_subalgoE2EiNS0_10empty_typeEbEEZZNS1_14partition_implILS5_2ELb0ES3_jN6thrust23THRUST_200600_302600_NS6detail15normal_iteratorINSA_7pointerIiNSA_11hip_rocprim3tagENSA_11use_defaultESG_EEEEPS6_NSA_18transform_iteratorI7is_evenIiENSC_INSA_10device_ptrIiEEEESG_SG_EENS0_5tupleIJPiSJ_EEENSR_IJSJ_SJ_EEES6_PlJS6_EEE10hipError_tPvRmT3_T4_T5_T6_T7_T9_mT8_P12ihipStream_tbDpT10_ENKUlT_T0_E_clISt17integral_constantIbLb1EES1E_IbLb0EEEEDaS1A_S1B_EUlS1A_E_NS1_11comp_targetILNS1_3genE5ELNS1_11target_archE942ELNS1_3gpuE9ELNS1_3repE0EEENS1_30default_config_static_selectorELNS0_4arch9wavefront6targetE1EEEvT1_ ; -- Begin function _ZN7rocprim17ROCPRIM_400000_NS6detail17trampoline_kernelINS0_14default_configENS1_25partition_config_selectorILNS1_17partition_subalgoE2EiNS0_10empty_typeEbEEZZNS1_14partition_implILS5_2ELb0ES3_jN6thrust23THRUST_200600_302600_NS6detail15normal_iteratorINSA_7pointerIiNSA_11hip_rocprim3tagENSA_11use_defaultESG_EEEEPS6_NSA_18transform_iteratorI7is_evenIiENSC_INSA_10device_ptrIiEEEESG_SG_EENS0_5tupleIJPiSJ_EEENSR_IJSJ_SJ_EEES6_PlJS6_EEE10hipError_tPvRmT3_T4_T5_T6_T7_T9_mT8_P12ihipStream_tbDpT10_ENKUlT_T0_E_clISt17integral_constantIbLb1EES1E_IbLb0EEEEDaS1A_S1B_EUlS1A_E_NS1_11comp_targetILNS1_3genE5ELNS1_11target_archE942ELNS1_3gpuE9ELNS1_3repE0EEENS1_30default_config_static_selectorELNS0_4arch9wavefront6targetE1EEEvT1_
	.globl	_ZN7rocprim17ROCPRIM_400000_NS6detail17trampoline_kernelINS0_14default_configENS1_25partition_config_selectorILNS1_17partition_subalgoE2EiNS0_10empty_typeEbEEZZNS1_14partition_implILS5_2ELb0ES3_jN6thrust23THRUST_200600_302600_NS6detail15normal_iteratorINSA_7pointerIiNSA_11hip_rocprim3tagENSA_11use_defaultESG_EEEEPS6_NSA_18transform_iteratorI7is_evenIiENSC_INSA_10device_ptrIiEEEESG_SG_EENS0_5tupleIJPiSJ_EEENSR_IJSJ_SJ_EEES6_PlJS6_EEE10hipError_tPvRmT3_T4_T5_T6_T7_T9_mT8_P12ihipStream_tbDpT10_ENKUlT_T0_E_clISt17integral_constantIbLb1EES1E_IbLb0EEEEDaS1A_S1B_EUlS1A_E_NS1_11comp_targetILNS1_3genE5ELNS1_11target_archE942ELNS1_3gpuE9ELNS1_3repE0EEENS1_30default_config_static_selectorELNS0_4arch9wavefront6targetE1EEEvT1_
	.p2align	8
	.type	_ZN7rocprim17ROCPRIM_400000_NS6detail17trampoline_kernelINS0_14default_configENS1_25partition_config_selectorILNS1_17partition_subalgoE2EiNS0_10empty_typeEbEEZZNS1_14partition_implILS5_2ELb0ES3_jN6thrust23THRUST_200600_302600_NS6detail15normal_iteratorINSA_7pointerIiNSA_11hip_rocprim3tagENSA_11use_defaultESG_EEEEPS6_NSA_18transform_iteratorI7is_evenIiENSC_INSA_10device_ptrIiEEEESG_SG_EENS0_5tupleIJPiSJ_EEENSR_IJSJ_SJ_EEES6_PlJS6_EEE10hipError_tPvRmT3_T4_T5_T6_T7_T9_mT8_P12ihipStream_tbDpT10_ENKUlT_T0_E_clISt17integral_constantIbLb1EES1E_IbLb0EEEEDaS1A_S1B_EUlS1A_E_NS1_11comp_targetILNS1_3genE5ELNS1_11target_archE942ELNS1_3gpuE9ELNS1_3repE0EEENS1_30default_config_static_selectorELNS0_4arch9wavefront6targetE1EEEvT1_,@function
_ZN7rocprim17ROCPRIM_400000_NS6detail17trampoline_kernelINS0_14default_configENS1_25partition_config_selectorILNS1_17partition_subalgoE2EiNS0_10empty_typeEbEEZZNS1_14partition_implILS5_2ELb0ES3_jN6thrust23THRUST_200600_302600_NS6detail15normal_iteratorINSA_7pointerIiNSA_11hip_rocprim3tagENSA_11use_defaultESG_EEEEPS6_NSA_18transform_iteratorI7is_evenIiENSC_INSA_10device_ptrIiEEEESG_SG_EENS0_5tupleIJPiSJ_EEENSR_IJSJ_SJ_EEES6_PlJS6_EEE10hipError_tPvRmT3_T4_T5_T6_T7_T9_mT8_P12ihipStream_tbDpT10_ENKUlT_T0_E_clISt17integral_constantIbLb1EES1E_IbLb0EEEEDaS1A_S1B_EUlS1A_E_NS1_11comp_targetILNS1_3genE5ELNS1_11target_archE942ELNS1_3gpuE9ELNS1_3repE0EEENS1_30default_config_static_selectorELNS0_4arch9wavefront6targetE1EEEvT1_: ; @_ZN7rocprim17ROCPRIM_400000_NS6detail17trampoline_kernelINS0_14default_configENS1_25partition_config_selectorILNS1_17partition_subalgoE2EiNS0_10empty_typeEbEEZZNS1_14partition_implILS5_2ELb0ES3_jN6thrust23THRUST_200600_302600_NS6detail15normal_iteratorINSA_7pointerIiNSA_11hip_rocprim3tagENSA_11use_defaultESG_EEEEPS6_NSA_18transform_iteratorI7is_evenIiENSC_INSA_10device_ptrIiEEEESG_SG_EENS0_5tupleIJPiSJ_EEENSR_IJSJ_SJ_EEES6_PlJS6_EEE10hipError_tPvRmT3_T4_T5_T6_T7_T9_mT8_P12ihipStream_tbDpT10_ENKUlT_T0_E_clISt17integral_constantIbLb1EES1E_IbLb0EEEEDaS1A_S1B_EUlS1A_E_NS1_11comp_targetILNS1_3genE5ELNS1_11target_archE942ELNS1_3gpuE9ELNS1_3repE0EEENS1_30default_config_static_selectorELNS0_4arch9wavefront6targetE1EEEvT1_
; %bb.0:
	s_load_dwordx4 s[24:27], s[0:1], 0x8
	s_load_dwordx2 s[6:7], s[0:1], 0x20
	s_load_dwordx2 s[28:29], s[0:1], 0x60
	s_load_dwordx4 s[20:23], s[0:1], 0x50
	s_load_dword s3, s[0:1], 0x78
	s_waitcnt lgkmcnt(0)
	s_lshl_b64 s[8:9], s[26:27], 2
	s_add_u32 s12, s24, s8
	s_addc_u32 s13, s25, s9
	s_load_dwordx2 s[30:31], s[22:23], 0x0
	s_add_i32 s10, s3, -1
	s_mulk_i32 s3, 0x1e00
	s_add_i32 s4, s3, s26
	s_sub_i32 s33, s28, s4
	s_addk_i32 s33, 0x1e00
	s_add_u32 s4, s26, s3
	s_addc_u32 s5, s27, 0
	s_cmp_eq_u32 s2, s10
	v_mov_b64_e32 v[2:3], s[28:29]
	s_cselect_b64 s[22:23], -1, 0
	s_cmp_lg_u32 s2, s10
	s_mul_i32 s24, s2, 0x1e00
	s_mov_b32 s25, 0
	v_cmp_lt_u64_e32 vcc, s[4:5], v[2:3]
	s_cselect_b64 s[4:5], -1, 0
	s_or_b64 s[34:35], s[4:5], vcc
	s_lshl_b64 s[10:11], s[24:25], 2
	s_add_u32 s12, s12, s10
	s_addc_u32 s13, s13, s11
	s_mov_b64 s[4:5], -1
	s_and_b64 vcc, exec, s[34:35]
	v_lshlrev_b32_e32 v22, 2, v0
	s_cbranch_vccz .LBB240_2
; %bb.1:
	v_mov_b32_e32 v23, 0
	v_lshl_add_u64 v[2:3], s[12:13], 0, v[22:23]
	v_add_co_u32_e32 v4, vcc, 0x1000, v2
	s_mov_b64 s[4:5], 0
	s_nop 0
	v_addc_co_u32_e32 v5, vcc, 0, v3, vcc
	v_add_co_u32_e32 v6, vcc, 0x2000, v2
	s_nop 1
	v_addc_co_u32_e32 v7, vcc, 0, v3, vcc
	v_add_co_u32_e32 v8, vcc, 0x3000, v2
	s_nop 1
	v_addc_co_u32_e32 v9, vcc, 0, v3, vcc
	flat_load_dword v1, v[2:3]
	flat_load_dword v10, v[2:3] offset:2048
	flat_load_dword v11, v[4:5]
	flat_load_dword v12, v[4:5] offset:2048
	;; [unrolled: 2-line block ×4, first 2 shown]
	v_add_co_u32_e32 v4, vcc, 0x4000, v2
	s_nop 1
	v_addc_co_u32_e32 v5, vcc, 0, v3, vcc
	v_add_co_u32_e32 v6, vcc, 0x5000, v2
	s_nop 1
	v_addc_co_u32_e32 v7, vcc, 0, v3, vcc
	;; [unrolled: 3-line block ×4, first 2 shown]
	flat_load_dword v17, v[4:5]
	flat_load_dword v18, v[4:5] offset:2048
	flat_load_dword v19, v[6:7]
	flat_load_dword v20, v[6:7] offset:2048
	;; [unrolled: 2-line block ×3, first 2 shown]
	flat_load_dword v24, v[2:3]
	s_waitcnt vmcnt(0) lgkmcnt(0)
	ds_write2st64_b32 v22, v1, v10 offset1:8
	ds_write2st64_b32 v22, v11, v12 offset0:16 offset1:24
	ds_write2st64_b32 v22, v13, v14 offset0:32 offset1:40
	;; [unrolled: 1-line block ×6, first 2 shown]
	ds_write_b32 v22, v24 offset:28672
	s_waitcnt lgkmcnt(0)
	s_barrier
.LBB240_2:
	s_andn2_b64 vcc, exec, s[4:5]
	v_cmp_gt_u32_e64 s[4:5], s33, v0
	s_cbranch_vccnz .LBB240_34
; %bb.3:
                                        ; implicit-def: $vgpr2_vgpr3_vgpr4_vgpr5_vgpr6_vgpr7_vgpr8_vgpr9_vgpr10_vgpr11_vgpr12_vgpr13_vgpr14_vgpr15_vgpr16_vgpr17
	s_and_saveexec_b64 s[14:15], s[4:5]
	s_cbranch_execz .LBB240_5
; %bb.4:
	v_mov_b32_e32 v23, 0
	v_lshl_add_u64 v[2:3], s[12:13], 0, v[22:23]
	flat_load_dword v2, v[2:3]
.LBB240_5:
	s_or_b64 exec, exec, s[14:15]
	v_or_b32_e32 v1, 0x200, v0
	v_cmp_gt_u32_e32 vcc, s33, v1
	s_and_saveexec_b64 s[4:5], vcc
	s_cbranch_execz .LBB240_7
; %bb.6:
	v_mov_b32_e32 v23, 0
	v_lshl_add_u64 v[18:19], s[12:13], 0, v[22:23]
	flat_load_dword v3, v[18:19] offset:2048
.LBB240_7:
	s_or_b64 exec, exec, s[4:5]
	v_or_b32_e32 v1, 0x400, v0
	v_cmp_gt_u32_e32 vcc, s33, v1
	s_and_saveexec_b64 s[4:5], vcc
	s_cbranch_execz .LBB240_9
; %bb.8:
	v_lshlrev_b32_e32 v18, 2, v1
	v_mov_b32_e32 v19, 0
	v_lshl_add_u64 v[18:19], s[12:13], 0, v[18:19]
	flat_load_dword v4, v[18:19]
.LBB240_9:
	s_or_b64 exec, exec, s[4:5]
	v_or_b32_e32 v1, 0x600, v0
	v_cmp_gt_u32_e32 vcc, s33, v1
	s_and_saveexec_b64 s[4:5], vcc
	s_cbranch_execz .LBB240_11
; %bb.10:
	v_lshlrev_b32_e32 v18, 2, v1
	v_mov_b32_e32 v19, 0
	v_lshl_add_u64 v[18:19], s[12:13], 0, v[18:19]
	flat_load_dword v5, v[18:19]
.LBB240_11:
	;; [unrolled: 11-line block ×13, first 2 shown]
	s_or_b64 exec, exec, s[4:5]
	s_waitcnt vmcnt(0) lgkmcnt(0)
	ds_write2st64_b32 v22, v2, v3 offset1:8
	ds_write2st64_b32 v22, v4, v5 offset0:16 offset1:24
	ds_write2st64_b32 v22, v6, v7 offset0:32 offset1:40
	;; [unrolled: 1-line block ×6, first 2 shown]
	ds_write_b32 v22, v16 offset:28672
	s_waitcnt lgkmcnt(0)
	s_barrier
.LBB240_34:
	v_mul_u32_u24_e32 v21, 15, v0
	v_lshlrev_b32_e32 v1, 2, v21
	s_waitcnt lgkmcnt(0)
	ds_read2_b32 v[38:39], v1 offset1:1
	ds_read2_b32 v[36:37], v1 offset0:2 offset1:3
	ds_read2_b32 v[34:35], v1 offset0:4 offset1:5
	;; [unrolled: 1-line block ×6, first 2 shown]
	ds_read_b32 v1, v1 offset:56
	s_add_u32 s3, s6, s8
	s_addc_u32 s5, s7, s9
	s_add_u32 s4, s3, s10
	s_addc_u32 s5, s5, s11
	s_mov_b64 s[6:7], -1
	s_and_b64 vcc, exec, s[34:35]
	s_waitcnt lgkmcnt(0)
	s_barrier
	s_cbranch_vccz .LBB240_36
; %bb.35:
	v_mov_b32_e32 v23, 0
	v_lshl_add_u64 v[2:3], s[4:5], 0, v[22:23]
	v_add_co_u32_e32 v4, vcc, 0x1000, v2
	global_load_dword v10, v22, s[4:5]
	global_load_dword v11, v22, s[4:5] offset:2048
	v_addc_co_u32_e32 v5, vcc, 0, v3, vcc
	v_add_co_u32_e32 v6, vcc, 0x2000, v2
	s_mov_b64 s[6:7], 0
	s_nop 0
	v_addc_co_u32_e32 v7, vcc, 0, v3, vcc
	v_add_co_u32_e32 v8, vcc, 0x3000, v2
	s_nop 1
	v_addc_co_u32_e32 v9, vcc, 0, v3, vcc
	global_load_dword v12, v[4:5], off
	global_load_dword v13, v[4:5], off offset:2048
	global_load_dword v14, v[6:7], off
	global_load_dword v15, v[6:7], off offset:2048
	;; [unrolled: 2-line block ×3, first 2 shown]
	v_add_co_u32_e32 v4, vcc, 0x4000, v2
	s_nop 1
	v_addc_co_u32_e32 v5, vcc, 0, v3, vcc
	global_load_dword v6, v[4:5], off
	global_load_dword v7, v[4:5], off offset:2048
	v_add_co_u32_e32 v4, vcc, 0x5000, v2
	s_waitcnt vmcnt(1)
	v_xor_b32_e32 v6, -1, v6
	v_addc_co_u32_e32 v5, vcc, 0, v3, vcc
	global_load_dword v8, v[4:5], off
	global_load_dword v9, v[4:5], off offset:2048
	v_add_co_u32_e32 v4, vcc, 0x6000, v2
	s_waitcnt vmcnt(2)
	v_xor_b32_e32 v7, -1, v7
	v_addc_co_u32_e32 v5, vcc, 0, v3, vcc
	v_add_co_u32_e32 v2, vcc, 0x7000, v2
	global_load_dword v18, v[4:5], off
	global_load_dword v19, v[4:5], off offset:2048
	v_addc_co_u32_e32 v3, vcc, 0, v3, vcc
	global_load_dword v2, v[2:3], off
	v_xor_b32_e32 v3, -1, v10
	v_xor_b32_e32 v4, -1, v11
	v_and_b32_e32 v3, 1, v3
	v_and_b32_e32 v4, 1, v4
	ds_write_b8 v0, v3
	ds_write_b8 v0, v4 offset:512
	v_xor_b32_e32 v3, -1, v12
	v_xor_b32_e32 v4, -1, v13
	;; [unrolled: 1-line block ×3, first 2 shown]
	v_and_b32_e32 v3, 1, v3
	v_and_b32_e32 v4, 1, v4
	v_xor_b32_e32 v10, -1, v15
	v_and_b32_e32 v5, 1, v5
	v_xor_b32_e32 v11, -1, v16
	v_xor_b32_e32 v12, -1, v17
	v_and_b32_e32 v10, 1, v10
	ds_write_b8 v0, v3 offset:1024
	ds_write_b8 v0, v4 offset:1536
	v_and_b32_e32 v3, 1, v11
	v_and_b32_e32 v4, 1, v12
	ds_write_b8 v0, v5 offset:2048
	ds_write_b8 v0, v10 offset:2560
	v_and_b32_e32 v5, 1, v6
	v_and_b32_e32 v6, 1, v7
	ds_write_b8 v0, v3 offset:3072
	ds_write_b8 v0, v4 offset:3584
	;; [unrolled: 1-line block ×4, first 2 shown]
	s_waitcnt vmcnt(4)
	v_xor_b32_e32 v7, -1, v8
	s_waitcnt vmcnt(3)
	v_xor_b32_e32 v8, -1, v9
	v_and_b32_e32 v3, 1, v7
	v_and_b32_e32 v4, 1, v8
	s_waitcnt vmcnt(2)
	v_xor_b32_e32 v7, -1, v18
	s_waitcnt vmcnt(1)
	v_xor_b32_e32 v8, -1, v19
	v_and_b32_e32 v5, 1, v7
	v_and_b32_e32 v6, 1, v8
	s_waitcnt vmcnt(0)
	v_xor_b32_e32 v2, -1, v2
	v_and_b32_e32 v2, 1, v2
	ds_write_b8 v0, v3 offset:5120
	ds_write_b8 v0, v4 offset:5632
	;; [unrolled: 1-line block ×5, first 2 shown]
	s_waitcnt lgkmcnt(0)
	s_barrier
.LBB240_36:
	s_load_dwordx2 s[36:37], s[0:1], 0x70
	s_andn2_b64 vcc, exec, s[6:7]
	s_cbranch_vccnz .LBB240_68
; %bb.37:
	v_cmp_gt_u32_e32 vcc, s33, v0
	v_mov_b32_e32 v2, 0
	v_mov_b32_e32 v3, 0
	s_and_saveexec_b64 s[6:7], vcc
	s_cbranch_execz .LBB240_39
; %bb.38:
	global_load_dword v3, v22, s[4:5]
	s_waitcnt vmcnt(0)
	v_xor_b32_e32 v3, -1, v3
	v_and_b32_e32 v3, 1, v3
.LBB240_39:
	s_or_b64 exec, exec, s[6:7]
	v_or_b32_e32 v4, 0x200, v0
	v_cmp_gt_u32_e32 vcc, s33, v4
	s_and_saveexec_b64 s[6:7], vcc
	s_cbranch_execz .LBB240_41
; %bb.40:
	global_load_dword v2, v22, s[4:5] offset:2048
	s_waitcnt vmcnt(0)
	v_xor_b32_e32 v2, -1, v2
	v_and_b32_e32 v2, 1, v2
.LBB240_41:
	s_or_b64 exec, exec, s[6:7]
	v_or_b32_e32 v6, 0x400, v0
	v_cmp_gt_u32_e32 vcc, s33, v6
	v_mov_b32_e32 v4, 0
	v_mov_b32_e32 v5, 0
	s_and_saveexec_b64 s[6:7], vcc
	s_cbranch_execz .LBB240_43
; %bb.42:
	v_lshlrev_b32_e32 v5, 2, v6
	global_load_dword v5, v5, s[4:5]
	s_waitcnt vmcnt(0)
	v_xor_b32_e32 v5, -1, v5
	v_and_b32_e32 v5, 1, v5
.LBB240_43:
	s_or_b64 exec, exec, s[6:7]
	v_or_b32_e32 v6, 0x600, v0
	v_cmp_gt_u32_e32 vcc, s33, v6
	s_and_saveexec_b64 s[6:7], vcc
	s_cbranch_execz .LBB240_45
; %bb.44:
	v_lshlrev_b32_e32 v4, 2, v6
	global_load_dword v4, v4, s[4:5]
	s_waitcnt vmcnt(0)
	v_xor_b32_e32 v4, -1, v4
	v_and_b32_e32 v4, 1, v4
.LBB240_45:
	s_or_b64 exec, exec, s[6:7]
	v_or_b32_e32 v8, 0x800, v0
	v_cmp_gt_u32_e32 vcc, s33, v8
	v_mov_b32_e32 v6, 0
	v_mov_b32_e32 v7, 0
	s_and_saveexec_b64 s[6:7], vcc
	s_cbranch_execz .LBB240_47
; %bb.46:
	v_lshlrev_b32_e32 v7, 2, v8
	global_load_dword v7, v7, s[4:5]
	s_waitcnt vmcnt(0)
	v_xor_b32_e32 v7, -1, v7
	v_and_b32_e32 v7, 1, v7
.LBB240_47:
	s_or_b64 exec, exec, s[6:7]
	v_or_b32_e32 v8, 0xa00, v0
	v_cmp_gt_u32_e32 vcc, s33, v8
	s_and_saveexec_b64 s[6:7], vcc
	s_cbranch_execz .LBB240_49
; %bb.48:
	v_lshlrev_b32_e32 v6, 2, v8
	global_load_dword v6, v6, s[4:5]
	s_waitcnt vmcnt(0)
	v_xor_b32_e32 v6, -1, v6
	v_and_b32_e32 v6, 1, v6
.LBB240_49:
	;; [unrolled: 26-line block ×6, first 2 shown]
	s_or_b64 exec, exec, s[6:7]
	v_or_b32_e32 v17, 0x1c00, v0
	v_cmp_gt_u32_e32 vcc, s33, v17
	v_mov_b32_e32 v16, 0
	s_and_saveexec_b64 s[6:7], vcc
	s_cbranch_execz .LBB240_67
; %bb.66:
	v_lshlrev_b32_e32 v16, 2, v17
	global_load_dword v16, v16, s[4:5]
	s_waitcnt vmcnt(0)
	v_xor_b32_e32 v16, -1, v16
	v_and_b32_e32 v16, 1, v16
.LBB240_67:
	s_or_b64 exec, exec, s[6:7]
	ds_write_b8 v0, v3
	ds_write_b8 v0, v2 offset:512
	ds_write_b8 v0, v5 offset:1024
	;; [unrolled: 1-line block ×14, first 2 shown]
	s_waitcnt lgkmcnt(0)
	s_barrier
.LBB240_68:
	s_waitcnt lgkmcnt(0)
	ds_read_b96 v[18:20], v21
	ds_read_u8 v2, v21 offset:12
	ds_read_u8 v3, v21 offset:13
	;; [unrolled: 1-line block ×3, first 2 shown]
	s_cmp_lg_u32 s2, 0
	v_lshrrev_b32_e32 v56, 6, v0
	s_waitcnt lgkmcnt(2)
	v_and_b32_e32 v42, 1, v2
	v_and_b32_e32 v51, 0xff, v18
	v_bfe_u32 v53, v18, 8, 8
	v_bfe_u32 v54, v18, 16, 8
	v_lshrrev_b32_e32 v44, 24, v18
	v_and_b32_e32 v48, 0xff, v19
	v_add3_u32 v2, v53, v51, v54
	v_bfe_u32 v49, v19, 8, 8
	v_bfe_u32 v50, v19, 16, 8
	v_add3_u32 v2, v2, v44, v48
	v_lshrrev_b32_e32 v43, 24, v19
	v_and_b32_e32 v45, 0xff, v20
	v_add3_u32 v2, v2, v49, v50
	v_bfe_u32 v46, v20, 8, 8
	v_bfe_u32 v47, v20, 16, 8
	v_add3_u32 v2, v2, v43, v45
	v_lshrrev_b32_e32 v41, 24, v20
	v_add3_u32 v2, v2, v46, v47
	s_waitcnt lgkmcnt(1)
	v_and_b32_e32 v40, 1, v3
	s_waitcnt lgkmcnt(0)
	v_and_b32_e32 v23, 1, v4
	v_add3_u32 v2, v2, v41, v42
	v_add3_u32 v57, v2, v40, v23
	v_mbcnt_lo_u32_b32 v2, -1, 0
	v_mbcnt_hi_u32_b32 v55, -1, v2
	v_and_b32_e32 v2, 15, v55
	v_cmp_eq_u32_e64 s[14:15], 0, v2
	v_cmp_lt_u32_e64 s[12:13], 1, v2
	v_cmp_lt_u32_e64 s[10:11], 3, v2
	;; [unrolled: 1-line block ×3, first 2 shown]
	v_and_b32_e32 v2, 16, v55
	v_cmp_eq_u32_e64 s[6:7], 0, v2
	v_or_b32_e32 v2, 63, v0
	v_cmp_lt_u32_e64 s[18:19], 31, v55
	v_cmp_eq_u32_e64 s[4:5], v2, v0
	s_barrier
	s_cbranch_scc0 .LBB240_99
; %bb.69:
	v_mov_b32_dpp v2, v57 row_shr:1 row_mask:0xf bank_mask:0xf
	v_cndmask_b32_e64 v2, v2, 0, s[14:15]
	v_add_u32_e32 v2, v2, v57
	s_nop 1
	v_mov_b32_dpp v3, v2 row_shr:2 row_mask:0xf bank_mask:0xf
	v_cndmask_b32_e64 v3, 0, v3, s[12:13]
	v_add_u32_e32 v2, v2, v3
	s_nop 1
	;; [unrolled: 4-line block ×4, first 2 shown]
	v_mov_b32_dpp v3, v2 row_bcast:15 row_mask:0xf bank_mask:0xf
	v_cndmask_b32_e64 v3, v3, 0, s[6:7]
	v_add_u32_e32 v2, v2, v3
	s_nop 1
	v_mov_b32_dpp v3, v2 row_bcast:31 row_mask:0xf bank_mask:0xf
	v_cndmask_b32_e64 v3, 0, v3, s[18:19]
	v_add_u32_e32 v2, v2, v3
	s_and_saveexec_b64 s[16:17], s[4:5]
	s_cbranch_execz .LBB240_71
; %bb.70:
	v_lshlrev_b32_e32 v3, 2, v56
	ds_write_b32 v3, v2
.LBB240_71:
	s_or_b64 exec, exec, s[16:17]
	v_cmp_gt_u32_e32 vcc, 8, v0
	s_waitcnt lgkmcnt(0)
	s_barrier
	s_and_saveexec_b64 s[16:17], vcc
	s_cbranch_execz .LBB240_73
; %bb.72:
	ds_read_b32 v3, v22
	v_and_b32_e32 v4, 7, v55
	v_cmp_ne_u32_e32 vcc, 0, v4
	s_waitcnt lgkmcnt(0)
	v_mov_b32_dpp v5, v3 row_shr:1 row_mask:0xf bank_mask:0xf
	v_cndmask_b32_e32 v5, 0, v5, vcc
	v_add_u32_e32 v3, v5, v3
	v_cmp_lt_u32_e32 vcc, 1, v4
	s_nop 0
	v_mov_b32_dpp v5, v3 row_shr:2 row_mask:0xf bank_mask:0xf
	v_cndmask_b32_e32 v5, 0, v5, vcc
	v_add_u32_e32 v3, v3, v5
	v_cmp_lt_u32_e32 vcc, 3, v4
	s_nop 0
	v_mov_b32_dpp v5, v3 row_shr:4 row_mask:0xf bank_mask:0xf
	v_cndmask_b32_e32 v4, 0, v5, vcc
	v_add_u32_e32 v3, v3, v4
	ds_write_b32 v22, v3
.LBB240_73:
	s_or_b64 exec, exec, s[16:17]
	v_cmp_gt_u32_e32 vcc, 64, v0
	v_cmp_lt_u32_e64 s[16:17], 63, v0
	s_waitcnt lgkmcnt(0)
	s_barrier
	s_waitcnt lgkmcnt(0)
                                        ; implicit-def: $vgpr12
	s_and_saveexec_b64 s[38:39], s[16:17]
	s_cbranch_execz .LBB240_75
; %bb.74:
	v_lshl_add_u32 v3, v56, 2, -4
	ds_read_b32 v12, v3
	s_waitcnt lgkmcnt(0)
	v_add_u32_e32 v2, v12, v2
.LBB240_75:
	s_or_b64 exec, exec, s[38:39]
	v_add_u32_e32 v3, -1, v55
	v_and_b32_e32 v4, 64, v55
	v_cmp_lt_i32_e64 s[16:17], v3, v4
	s_nop 1
	v_cndmask_b32_e64 v3, v3, v55, s[16:17]
	v_lshlrev_b32_e32 v3, 2, v3
	ds_bpermute_b32 v13, v3, v2
	v_cmp_eq_u32_e64 s[16:17], 0, v55
	s_and_saveexec_b64 s[38:39], vcc
	s_cbranch_execz .LBB240_98
; %bb.76:
	v_mov_b32_e32 v11, 0
	ds_read_b32 v2, v11 offset:28
	s_and_saveexec_b64 s[40:41], s[16:17]
	s_cbranch_execz .LBB240_78
; %bb.77:
	s_add_i32 s42, s2, 64
	s_mov_b32 s43, 0
	s_lshl_b64 s[42:43], s[42:43], 3
	s_add_u32 s42, s36, s42
	v_mov_b32_e32 v3, 1
	s_addc_u32 s43, s37, s43
	s_waitcnt lgkmcnt(0)
	global_store_dwordx2 v11, v[2:3], s[42:43] sc1
.LBB240_78:
	s_or_b64 exec, exec, s[40:41]
	v_xad_u32 v4, v55, -1, s2
	v_add_u32_e32 v10, 64, v4
	v_lshl_add_u64 v[6:7], v[10:11], 3, s[36:37]
	global_load_dwordx2 v[8:9], v[6:7], off sc1
	s_waitcnt vmcnt(0)
	v_cmp_eq_u16_sdwa s[42:43], v9, v11 src0_sel:BYTE_0 src1_sel:DWORD
	s_and_saveexec_b64 s[40:41], s[42:43]
	s_cbranch_execz .LBB240_84
; %bb.79:
	s_mov_b32 s3, 1
	s_mov_b64 s[42:43], 0
	v_mov_b32_e32 v3, 0
.LBB240_80:                             ; =>This Loop Header: Depth=1
                                        ;     Child Loop BB240_81 Depth 2
	s_max_u32 s25, s3, 1
.LBB240_81:                             ;   Parent Loop BB240_80 Depth=1
                                        ; =>  This Inner Loop Header: Depth=2
	s_add_i32 s25, s25, -1
	s_cmp_eq_u32 s25, 0
	s_sleep 1
	s_cbranch_scc0 .LBB240_81
; %bb.82:                               ;   in Loop: Header=BB240_80 Depth=1
	global_load_dwordx2 v[8:9], v[6:7], off sc1
	s_cmp_lt_u32 s3, 32
	s_cselect_b64 s[44:45], -1, 0
	s_cmp_lg_u64 s[44:45], 0
	s_addc_u32 s3, s3, 0
	s_waitcnt vmcnt(0)
	v_cmp_ne_u16_sdwa s[44:45], v9, v3 src0_sel:BYTE_0 src1_sel:DWORD
	s_or_b64 s[42:43], s[44:45], s[42:43]
	s_andn2_b64 exec, exec, s[42:43]
	s_cbranch_execnz .LBB240_80
; %bb.83:
	s_or_b64 exec, exec, s[42:43]
.LBB240_84:
	s_or_b64 exec, exec, s[40:41]
	v_and_b32_e32 v15, 63, v55
	v_mov_b32_e32 v14, 2
	v_cmp_ne_u32_e32 vcc, 63, v15
	v_cmp_eq_u16_sdwa s[40:41], v9, v14 src0_sel:BYTE_0 src1_sel:DWORD
	v_lshlrev_b64 v[6:7], v55, -1
	v_addc_co_u32_e32 v10, vcc, 0, v55, vcc
	v_and_b32_e32 v3, s41, v7
	v_lshlrev_b32_e32 v16, 2, v10
	v_or_b32_e32 v3, 0x80000000, v3
	ds_bpermute_b32 v10, v16, v8
	v_and_b32_e32 v5, s40, v6
	v_ffbl_b32_e32 v3, v3
	v_add_u32_e32 v3, 32, v3
	v_ffbl_b32_e32 v5, v5
	v_min_u32_e32 v3, v5, v3
	v_cmp_lt_u32_e32 vcc, v15, v3
	v_add_u32_e32 v24, 2, v15
	v_add_u32_e32 v52, 4, v15
	s_waitcnt lgkmcnt(0)
	v_cndmask_b32_e32 v5, 0, v10, vcc
	v_cmp_gt_u32_e32 vcc, 62, v15
	v_add_u32_e32 v5, v5, v8
	v_add_u32_e32 v59, 8, v15
	v_cndmask_b32_e64 v8, 0, 1, vcc
	v_lshlrev_b32_e32 v8, 1, v8
	v_add_lshl_u32 v17, v8, v55, 2
	ds_bpermute_b32 v8, v17, v5
	v_cmp_le_u32_e32 vcc, v24, v3
	v_add_u32_e32 v61, 16, v15
	v_add_u32_e32 v63, 32, v15
	s_waitcnt lgkmcnt(0)
	v_cndmask_b32_e32 v8, 0, v8, vcc
	v_cmp_gt_u32_e32 vcc, 60, v15
	v_add_u32_e32 v5, v5, v8
	s_nop 0
	v_cndmask_b32_e64 v8, 0, 1, vcc
	v_lshlrev_b32_e32 v8, 2, v8
	v_add_lshl_u32 v25, v8, v55, 2
	ds_bpermute_b32 v8, v25, v5
	v_cmp_le_u32_e32 vcc, v52, v3
	s_waitcnt lgkmcnt(0)
	s_nop 0
	v_cndmask_b32_e32 v8, 0, v8, vcc
	v_cmp_gt_u32_e32 vcc, 56, v15
	v_add_u32_e32 v5, v5, v8
	s_nop 0
	v_cndmask_b32_e64 v8, 0, 1, vcc
	v_lshlrev_b32_e32 v8, 3, v8
	v_add_lshl_u32 v58, v8, v55, 2
	ds_bpermute_b32 v8, v58, v5
	v_cmp_le_u32_e32 vcc, v59, v3
	s_waitcnt lgkmcnt(0)
	s_nop 0
	;; [unrolled: 11-line block ×4, first 2 shown]
	v_cndmask_b32_e32 v3, 0, v8, vcc
	v_add_u32_e32 v8, v5, v3
	v_mov_b32_e32 v5, 0
	s_branch .LBB240_86
.LBB240_85:                             ;   in Loop: Header=BB240_86 Depth=1
	s_or_b64 exec, exec, s[40:41]
	v_cmp_eq_u16_sdwa s[40:41], v9, v14 src0_sel:BYTE_0 src1_sel:DWORD
	ds_bpermute_b32 v64, v16, v8
	v_subrev_u32_e32 v4, 64, v4
	v_and_b32_e32 v10, s41, v7
	v_or_b32_e32 v10, 0x80000000, v10
	v_and_b32_e32 v11, s40, v6
	v_ffbl_b32_e32 v10, v10
	v_add_u32_e32 v10, 32, v10
	v_ffbl_b32_e32 v11, v11
	v_min_u32_e32 v10, v11, v10
	v_cmp_lt_u32_e32 vcc, v15, v10
	s_waitcnt lgkmcnt(0)
	s_nop 0
	v_cndmask_b32_e32 v11, 0, v64, vcc
	v_add_u32_e32 v8, v11, v8
	ds_bpermute_b32 v11, v17, v8
	v_cmp_le_u32_e32 vcc, v24, v10
	s_waitcnt lgkmcnt(0)
	s_nop 0
	v_cndmask_b32_e32 v11, 0, v11, vcc
	v_add_u32_e32 v8, v8, v11
	ds_bpermute_b32 v11, v25, v8
	v_cmp_le_u32_e32 vcc, v52, v10
	;; [unrolled: 6-line block ×5, first 2 shown]
	s_waitcnt lgkmcnt(0)
	s_nop 0
	v_cndmask_b32_e32 v10, 0, v11, vcc
	v_add3_u32 v8, v10, v3, v8
.LBB240_86:                             ; =>This Loop Header: Depth=1
                                        ;     Child Loop BB240_89 Depth 2
                                        ;       Child Loop BB240_90 Depth 3
	v_cmp_ne_u16_sdwa s[40:41], v9, v14 src0_sel:BYTE_0 src1_sel:DWORD
	s_nop 1
	v_cndmask_b32_e64 v3, 0, 1, s[40:41]
	;;#ASMSTART
	;;#ASMEND
	s_nop 0
	v_cmp_ne_u32_e32 vcc, 0, v3
	s_cmp_lg_u64 vcc, exec
	v_mov_b32_e32 v3, v8
	s_cbranch_scc1 .LBB240_93
; %bb.87:                               ;   in Loop: Header=BB240_86 Depth=1
	v_lshl_add_u64 v[10:11], v[4:5], 3, s[36:37]
	global_load_dwordx2 v[8:9], v[10:11], off sc1
	s_waitcnt vmcnt(0)
	v_cmp_eq_u16_sdwa s[42:43], v9, v5 src0_sel:BYTE_0 src1_sel:DWORD
	s_and_saveexec_b64 s[40:41], s[42:43]
	s_cbranch_execz .LBB240_85
; %bb.88:                               ;   in Loop: Header=BB240_86 Depth=1
	s_mov_b32 s3, 1
	s_mov_b64 s[42:43], 0
.LBB240_89:                             ;   Parent Loop BB240_86 Depth=1
                                        ; =>  This Loop Header: Depth=2
                                        ;       Child Loop BB240_90 Depth 3
	s_max_u32 s25, s3, 1
.LBB240_90:                             ;   Parent Loop BB240_86 Depth=1
                                        ;     Parent Loop BB240_89 Depth=2
                                        ; =>    This Inner Loop Header: Depth=3
	s_add_i32 s25, s25, -1
	s_cmp_eq_u32 s25, 0
	s_sleep 1
	s_cbranch_scc0 .LBB240_90
; %bb.91:                               ;   in Loop: Header=BB240_89 Depth=2
	global_load_dwordx2 v[8:9], v[10:11], off sc1
	s_cmp_lt_u32 s3, 32
	s_cselect_b64 s[44:45], -1, 0
	s_cmp_lg_u64 s[44:45], 0
	s_addc_u32 s3, s3, 0
	s_waitcnt vmcnt(0)
	v_cmp_ne_u16_sdwa s[44:45], v9, v5 src0_sel:BYTE_0 src1_sel:DWORD
	s_or_b64 s[42:43], s[44:45], s[42:43]
	s_andn2_b64 exec, exec, s[42:43]
	s_cbranch_execnz .LBB240_89
; %bb.92:                               ;   in Loop: Header=BB240_86 Depth=1
	s_or_b64 exec, exec, s[42:43]
	s_branch .LBB240_85
.LBB240_93:                             ;   in Loop: Header=BB240_86 Depth=1
                                        ; implicit-def: $vgpr8
                                        ; implicit-def: $vgpr9
	s_cbranch_execz .LBB240_86
; %bb.94:
	s_and_saveexec_b64 s[40:41], s[16:17]
	s_cbranch_execz .LBB240_96
; %bb.95:
	s_add_i32 s2, s2, 64
	s_mov_b32 s3, 0
	s_lshl_b64 s[2:3], s[2:3], 3
	s_add_u32 s2, s36, s2
	v_add_u32_e32 v4, v3, v2
	v_mov_b32_e32 v5, 2
	s_addc_u32 s3, s37, s3
	v_mov_b32_e32 v6, 0
	global_store_dwordx2 v6, v[4:5], s[2:3] sc1
	ds_write_b64 v6, v[2:3] offset:30720
.LBB240_96:
	s_or_b64 exec, exec, s[40:41]
	v_cmp_eq_u32_e32 vcc, 0, v0
	s_and_b64 exec, exec, vcc
	s_cbranch_execz .LBB240_98
; %bb.97:
	v_mov_b32_e32 v2, 0
	ds_write_b32 v2, v3 offset:28
.LBB240_98:
	s_or_b64 exec, exec, s[38:39]
	v_mov_b32_e32 v14, 0
	s_waitcnt lgkmcnt(0)
	s_barrier
	ds_read_b32 v2, v14 offset:28
	v_cndmask_b32_e64 v3, v13, v12, s[16:17]
	v_cmp_ne_u32_e32 vcc, 0, v0
	s_waitcnt lgkmcnt(0)
	s_barrier
	v_cndmask_b32_e32 v3, 0, v3, vcc
	v_add_u32_e32 v2, v2, v3
	v_add_u32_e32 v3, v2, v51
	;; [unrolled: 1-line block ×10, first 2 shown]
	ds_read_b64 v[24:25], v14 offset:30720
	v_add_u32_e32 v12, v11, v46
	v_add_u32_e32 v13, v12, v47
	;; [unrolled: 1-line block ×5, first 2 shown]
	s_waitcnt lgkmcnt(0)
	v_mov_b32_e32 v52, v25
	s_load_dwordx2 s[2:3], s[0:1], 0x30
	s_branch .LBB240_109
.LBB240_99:
                                        ; implicit-def: $vgpr52
                                        ; implicit-def: $vgpr24
                                        ; implicit-def: $vgpr2_vgpr3_vgpr4_vgpr5_vgpr6_vgpr7_vgpr8_vgpr9_vgpr10_vgpr11_vgpr12_vgpr13_vgpr14_vgpr15_vgpr16_vgpr17
	s_load_dwordx2 s[2:3], s[0:1], 0x30
	s_cbranch_execz .LBB240_109
; %bb.100:
	v_mov_b32_dpp v2, v57 row_shr:1 row_mask:0xf bank_mask:0xf
	v_cndmask_b32_e64 v2, v2, 0, s[14:15]
	v_add_u32_e32 v2, v2, v57
	s_nop 1
	v_mov_b32_dpp v3, v2 row_shr:2 row_mask:0xf bank_mask:0xf
	v_cndmask_b32_e64 v3, 0, v3, s[12:13]
	v_add_u32_e32 v2, v2, v3
	s_nop 1
	;; [unrolled: 4-line block ×4, first 2 shown]
	v_mov_b32_dpp v3, v2 row_bcast:15 row_mask:0xf bank_mask:0xf
	v_cndmask_b32_e64 v3, v3, 0, s[6:7]
	v_add_u32_e32 v2, v2, v3
	s_nop 1
	v_mov_b32_dpp v3, v2 row_bcast:31 row_mask:0xf bank_mask:0xf
	v_cndmask_b32_e64 v3, 0, v3, s[18:19]
	v_add_u32_e32 v2, v2, v3
	s_and_saveexec_b64 s[0:1], s[4:5]
	s_cbranch_execz .LBB240_102
; %bb.101:
	v_lshlrev_b32_e32 v3, 2, v56
	ds_write_b32 v3, v2
.LBB240_102:
	s_or_b64 exec, exec, s[0:1]
	v_cmp_gt_u32_e32 vcc, 8, v0
	s_waitcnt lgkmcnt(0)
	s_barrier
	s_and_saveexec_b64 s[0:1], vcc
	s_cbranch_execz .LBB240_104
; %bb.103:
	v_mad_i32_i24 v3, v0, -11, v21
	ds_read_b32 v4, v3
	v_and_b32_e32 v5, 7, v55
	v_cmp_ne_u32_e32 vcc, 0, v5
	s_waitcnt lgkmcnt(0)
	v_mov_b32_dpp v6, v4 row_shr:1 row_mask:0xf bank_mask:0xf
	v_cndmask_b32_e32 v6, 0, v6, vcc
	v_add_u32_e32 v4, v6, v4
	v_cmp_lt_u32_e32 vcc, 1, v5
	s_nop 0
	v_mov_b32_dpp v6, v4 row_shr:2 row_mask:0xf bank_mask:0xf
	v_cndmask_b32_e32 v6, 0, v6, vcc
	v_add_u32_e32 v4, v4, v6
	v_cmp_lt_u32_e32 vcc, 3, v5
	s_nop 0
	v_mov_b32_dpp v6, v4 row_shr:4 row_mask:0xf bank_mask:0xf
	v_cndmask_b32_e32 v5, 0, v6, vcc
	v_add_u32_e32 v4, v4, v5
	ds_write_b32 v3, v4
.LBB240_104:
	s_or_b64 exec, exec, s[0:1]
	v_cmp_lt_u32_e32 vcc, 63, v0
	v_mov_b32_e32 v4, 0
	v_mov_b32_e32 v3, 0
	s_waitcnt lgkmcnt(0)
	s_barrier
	s_and_saveexec_b64 s[0:1], vcc
	s_cbranch_execz .LBB240_106
; %bb.105:
	v_lshl_add_u32 v3, v56, 2, -4
	ds_read_b32 v3, v3
.LBB240_106:
	s_or_b64 exec, exec, s[0:1]
	v_add_u32_e32 v5, -1, v55
	v_and_b32_e32 v6, 64, v55
	v_cmp_lt_i32_e32 vcc, v5, v6
	s_waitcnt lgkmcnt(0)
	v_add_u32_e32 v2, v3, v2
	ds_read_b32 v24, v4 offset:28
	v_cndmask_b32_e32 v5, v5, v55, vcc
	v_lshlrev_b32_e32 v5, 2, v5
	ds_bpermute_b32 v2, v5, v2
	v_cmp_eq_u32_e32 vcc, 0, v0
	s_and_saveexec_b64 s[0:1], vcc
	s_cbranch_execz .LBB240_108
; %bb.107:
	v_mov_b32_e32 v4, 0
	v_mov_b32_e32 v25, 2
	s_waitcnt lgkmcnt(1)
	global_store_dwordx2 v4, v[24:25], s[36:37] offset:512 sc1
.LBB240_108:
	s_or_b64 exec, exec, s[0:1]
	v_cmp_eq_u32_e64 s[0:1], 0, v55
	v_mov_b32_e32 v52, 0
	s_waitcnt lgkmcnt(0)
	v_cndmask_b32_e64 v2, v2, v3, s[0:1]
	v_cndmask_b32_e64 v2, v2, 0, vcc
	v_add_u32_e32 v3, v2, v51
	v_add_u32_e32 v4, v3, v53
	;; [unrolled: 1-line block ×14, first 2 shown]
	s_barrier
.LBB240_109:
	v_add_u32_e32 v21, v24, v21
	v_sub_u32_e32 v2, v2, v52
	v_and_b32_e32 v47, 1, v18
	v_sub_u32_e32 v46, v21, v2
	v_cmp_eq_u32_e32 vcc, 1, v47
	v_lshrrev_b32_e32 v45, 8, v18
	v_lshrrev_b32_e32 v25, 8, v19
	v_cndmask_b32_e32 v2, v46, v2, vcc
	v_lshlrev_b32_e32 v2, 2, v2
	ds_write_b32 v2, v38
	v_sub_u32_e32 v2, v3, v52
	v_sub_u32_e32 v3, v21, v2
	v_and_b32_e32 v38, 1, v45
	v_add_u32_e32 v3, 1, v3
	v_cmp_eq_u32_e32 vcc, 1, v38
	v_lshrrev_b32_e32 v17, 8, v20
	s_add_u32 s0, s26, s24
	v_cndmask_b32_e32 v2, v3, v2, vcc
	v_lshlrev_b32_e32 v2, 2, v2
	ds_write_b32 v2, v39
	v_sub_u32_e32 v2, v4, v52
	v_mov_b32_e32 v4, 1
	v_sub_u32_e32 v3, v21, v2
	v_and_b32_sdwa v18, v4, v18 dst_sel:DWORD dst_unused:UNUSED_PAD src0_sel:DWORD src1_sel:WORD_1
	v_add_u32_e32 v3, 2, v3
	v_cmp_eq_u32_e32 vcc, 1, v18
	s_addc_u32 s1, s27, 0
	s_sub_u32 s0, s28, s0
	v_cndmask_b32_e32 v2, v3, v2, vcc
	v_lshlrev_b32_e32 v2, 2, v2
	ds_write_b32 v2, v36
	v_sub_u32_e32 v2, v5, v52
	v_sub_u32_e32 v3, v21, v2
	v_and_b32_e32 v5, 1, v44
	v_add_u32_e32 v3, 3, v3
	v_cmp_eq_u32_e32 vcc, 1, v5
	v_and_b32_e32 v5, 1, v19
	s_subb_u32 s1, s29, s1
	v_cndmask_b32_e32 v2, v3, v2, vcc
	v_lshlrev_b32_e32 v2, 2, v2
	ds_write_b32 v2, v37
	v_sub_u32_e32 v2, v6, v52
	v_sub_u32_e32 v3, v21, v2
	v_add_u32_e32 v3, 4, v3
	v_cmp_eq_u32_e32 vcc, 1, v5
	v_and_b32_e32 v5, 1, v25
	v_or_b32_e32 v50, 0x200, v0
	v_cndmask_b32_e32 v2, v3, v2, vcc
	v_lshlrev_b32_e32 v2, 2, v2
	ds_write_b32 v2, v34
	v_sub_u32_e32 v2, v7, v52
	v_sub_u32_e32 v3, v21, v2
	v_add_u32_e32 v3, 5, v3
	v_cmp_eq_u32_e32 vcc, 1, v5
	v_and_b32_sdwa v5, v4, v19 dst_sel:DWORD dst_unused:UNUSED_PAD src0_sel:DWORD src1_sel:WORD_1
	v_and_b32_sdwa v4, v4, v20 dst_sel:DWORD dst_unused:UNUSED_PAD src0_sel:DWORD src1_sel:WORD_1
	v_cndmask_b32_e32 v2, v3, v2, vcc
	v_lshlrev_b32_e32 v2, 2, v2
	ds_write_b32 v2, v35
	v_sub_u32_e32 v2, v8, v52
	v_sub_u32_e32 v3, v21, v2
	v_add_u32_e32 v3, 6, v3
	v_cmp_eq_u32_e32 vcc, 1, v5
	v_and_b32_e32 v5, 1, v43
	v_or_b32_e32 v46, 0x400, v0
	v_cndmask_b32_e32 v2, v3, v2, vcc
	v_lshlrev_b32_e32 v2, 2, v2
	ds_write_b32 v2, v32
	v_sub_u32_e32 v2, v9, v52
	v_sub_u32_e32 v3, v21, v2
	v_add_u32_e32 v3, 7, v3
	v_cmp_eq_u32_e32 vcc, 1, v5
	v_and_b32_e32 v5, 1, v20
	v_or_b32_e32 v44, 0x600, v0
	v_cndmask_b32_e32 v2, v3, v2, vcc
	v_lshlrev_b32_e32 v2, 2, v2
	ds_write_b32 v2, v33
	v_sub_u32_e32 v2, v10, v52
	v_sub_u32_e32 v3, v21, v2
	v_add_u32_e32 v3, 8, v3
	v_cmp_eq_u32_e32 vcc, 1, v5
	v_and_b32_e32 v5, 1, v17
	v_or_b32_e32 v38, 0xa00, v0
	v_cndmask_b32_e32 v2, v3, v2, vcc
	v_lshlrev_b32_e32 v2, 2, v2
	ds_write_b32 v2, v30
	v_sub_u32_e32 v2, v11, v52
	v_sub_u32_e32 v3, v21, v2
	v_add_u32_e32 v3, 9, v3
	v_cmp_eq_u32_e32 vcc, 1, v5
	v_or_b32_e32 v34, 0xc00, v0
	v_or_b32_e32 v32, 0xe00, v0
	v_cndmask_b32_e32 v2, v3, v2, vcc
	v_lshlrev_b32_e32 v2, 2, v2
	ds_write_b32 v2, v31
	v_sub_u32_e32 v2, v12, v52
	v_sub_u32_e32 v3, v21, v2
	v_add_u32_e32 v3, 10, v3
	v_cmp_eq_u32_e32 vcc, 1, v4
	v_and_b32_e32 v4, 1, v41
	v_or_b32_e32 v18, 0x1400, v0
	v_cndmask_b32_e32 v2, v3, v2, vcc
	v_lshlrev_b32_e32 v2, 2, v2
	ds_write_b32 v2, v28
	v_sub_u32_e32 v2, v13, v52
	v_sub_u32_e32 v3, v21, v2
	v_add_u32_e32 v3, 11, v3
	v_cmp_eq_u32_e32 vcc, 1, v4
	v_or_b32_e32 v28, 0x1000, v0
	v_or_b32_e32 v12, 0x1800, v0
	v_cndmask_b32_e32 v2, v3, v2, vcc
	v_lshlrev_b32_e32 v2, 2, v2
	ds_write_b32 v2, v29
	v_sub_u32_e32 v2, v14, v52
	v_sub_u32_e32 v3, v21, v2
	v_add_u32_e32 v3, 12, v3
	v_cmp_eq_u32_e32 vcc, 1, v42
	v_or_b32_e32 v10, 0x1a00, v0
	;; [unrolled: 9-line block ×4, first 2 shown]
	s_nop 0
	v_cndmask_b32_e32 v2, v3, v2, vcc
	v_lshlrev_b32_e32 v2, 2, v2
	ds_write_b32 v2, v1
	s_waitcnt lgkmcnt(0)
	s_barrier
	ds_read2st64_b32 v[48:49], v22 offset1:8
	ds_read2st64_b32 v[42:43], v22 offset0:16 offset1:24
	ds_read2st64_b32 v[36:37], v22 offset0:32 offset1:40
	;; [unrolled: 1-line block ×6, first 2 shown]
	ds_read_b32 v54, v22 offset:28672
	v_mov_b32_e32 v1, 0
	v_mov_b32_e32 v53, v1
	;; [unrolled: 1-line block ×3, first 2 shown]
	v_lshl_add_u64 v[2:3], s[30:31], 0, v[52:53]
	v_lshl_add_u64 v[6:7], s[0:1], 0, v[24:25]
	v_mov_b32_e32 v51, v1
	v_mov_b32_e32 v47, v1
	;; [unrolled: 1-line block ×14, first 2 shown]
	s_andn2_b64 vcc, exec, s[34:35]
	v_lshl_add_u64 v[6:7], v[6:7], 0, v[2:3]
	s_cbranch_vccnz .LBB240_171
; %bb.110:
	v_cmp_ge_u32_e32 vcc, v0, v24
                                        ; implicit-def: $vgpr22_vgpr23
	s_and_saveexec_b64 s[0:1], vcc
	s_xor_b64 s[0:1], exec, s[0:1]
; %bb.111:
	v_not_b32_e32 v22, v0
	v_ashrrev_i32_e32 v23, 31, v22
	v_lshl_add_u64 v[22:23], v[6:7], 0, v[22:23]
; %bb.112:
	s_andn2_saveexec_b64 s[0:1], s[0:1]
; %bb.113:
	v_lshl_add_u64 v[22:23], v[2:3], 0, v[0:1]
; %bb.114:
	s_or_b64 exec, exec, s[0:1]
	v_lshl_add_u64 v[22:23], v[22:23], 2, s[2:3]
	v_cmp_ge_u32_e32 vcc, v50, v24
	s_waitcnt lgkmcnt(7)
	global_store_dword v[22:23], v48, off
                                        ; implicit-def: $vgpr22_vgpr23
	s_and_saveexec_b64 s[0:1], vcc
	s_xor_b64 s[0:1], exec, s[0:1]
; %bb.115:
	v_xor_b32_e32 v22, 0xfffffdff, v0
	v_ashrrev_i32_e32 v23, 31, v22
	v_lshl_add_u64 v[22:23], v[6:7], 0, v[22:23]
; %bb.116:
	s_andn2_saveexec_b64 s[0:1], s[0:1]
; %bb.117:
	v_lshl_add_u64 v[22:23], v[2:3], 0, v[50:51]
; %bb.118:
	s_or_b64 exec, exec, s[0:1]
	v_lshl_add_u64 v[22:23], v[22:23], 2, s[2:3]
	v_cmp_ge_u32_e32 vcc, v46, v24
	global_store_dword v[22:23], v49, off
                                        ; implicit-def: $vgpr22_vgpr23
	s_and_saveexec_b64 s[0:1], vcc
	s_xor_b64 s[0:1], exec, s[0:1]
; %bb.119:
	v_xor_b32_e32 v22, 0xfffffbff, v0
	v_ashrrev_i32_e32 v23, 31, v22
	v_lshl_add_u64 v[22:23], v[6:7], 0, v[22:23]
; %bb.120:
	s_andn2_saveexec_b64 s[0:1], s[0:1]
; %bb.121:
	v_lshl_add_u64 v[22:23], v[2:3], 0, v[46:47]
; %bb.122:
	s_or_b64 exec, exec, s[0:1]
	v_lshl_add_u64 v[22:23], v[22:23], 2, s[2:3]
	v_cmp_ge_u32_e32 vcc, v44, v24
	s_waitcnt lgkmcnt(6)
	global_store_dword v[22:23], v42, off
                                        ; implicit-def: $vgpr22_vgpr23
	s_and_saveexec_b64 s[0:1], vcc
	s_xor_b64 s[0:1], exec, s[0:1]
; %bb.123:
	v_xor_b32_e32 v22, 0xfffff9ff, v0
	v_ashrrev_i32_e32 v23, 31, v22
	v_lshl_add_u64 v[22:23], v[6:7], 0, v[22:23]
; %bb.124:
	s_andn2_saveexec_b64 s[0:1], s[0:1]
; %bb.125:
	v_lshl_add_u64 v[22:23], v[2:3], 0, v[44:45]
; %bb.126:
	s_or_b64 exec, exec, s[0:1]
	v_lshl_add_u64 v[22:23], v[22:23], 2, s[2:3]
	v_cmp_ge_u32_e32 vcc, v40, v24
	global_store_dword v[22:23], v43, off
                                        ; implicit-def: $vgpr22_vgpr23
	s_and_saveexec_b64 s[0:1], vcc
	s_xor_b64 s[0:1], exec, s[0:1]
; %bb.127:
	v_xor_b32_e32 v22, 0xfffff7ff, v0
	v_ashrrev_i32_e32 v23, 31, v22
	v_lshl_add_u64 v[22:23], v[6:7], 0, v[22:23]
; %bb.128:
	s_andn2_saveexec_b64 s[0:1], s[0:1]
; %bb.129:
	v_lshl_add_u64 v[22:23], v[2:3], 0, v[40:41]
; %bb.130:
	s_or_b64 exec, exec, s[0:1]
	v_lshl_add_u64 v[22:23], v[22:23], 2, s[2:3]
	v_cmp_ge_u32_e32 vcc, v38, v24
	s_waitcnt lgkmcnt(5)
	global_store_dword v[22:23], v36, off
                                        ; implicit-def: $vgpr22_vgpr23
	s_and_saveexec_b64 s[0:1], vcc
	s_xor_b64 s[0:1], exec, s[0:1]
; %bb.131:
	v_xor_b32_e32 v22, 0xfffff5ff, v0
	v_ashrrev_i32_e32 v23, 31, v22
	v_lshl_add_u64 v[22:23], v[6:7], 0, v[22:23]
; %bb.132:
	s_andn2_saveexec_b64 s[0:1], s[0:1]
; %bb.133:
	v_lshl_add_u64 v[22:23], v[2:3], 0, v[38:39]
; %bb.134:
	s_or_b64 exec, exec, s[0:1]
	v_lshl_add_u64 v[22:23], v[22:23], 2, s[2:3]
	v_cmp_ge_u32_e32 vcc, v34, v24
	global_store_dword v[22:23], v37, off
                                        ; implicit-def: $vgpr22_vgpr23
	s_and_saveexec_b64 s[0:1], vcc
	s_xor_b64 s[0:1], exec, s[0:1]
; %bb.135:
	v_xor_b32_e32 v22, 0xfffff3ff, v0
	v_ashrrev_i32_e32 v23, 31, v22
	v_lshl_add_u64 v[22:23], v[6:7], 0, v[22:23]
; %bb.136:
	s_andn2_saveexec_b64 s[0:1], s[0:1]
; %bb.137:
	v_lshl_add_u64 v[22:23], v[2:3], 0, v[34:35]
; %bb.138:
	s_or_b64 exec, exec, s[0:1]
	v_lshl_add_u64 v[22:23], v[22:23], 2, s[2:3]
	v_cmp_ge_u32_e32 vcc, v32, v24
	s_waitcnt lgkmcnt(4)
	global_store_dword v[22:23], v30, off
                                        ; implicit-def: $vgpr22_vgpr23
	s_and_saveexec_b64 s[0:1], vcc
	s_xor_b64 s[0:1], exec, s[0:1]
; %bb.139:
	v_xor_b32_e32 v22, 0xfffff1ff, v0
	v_ashrrev_i32_e32 v23, 31, v22
	v_lshl_add_u64 v[22:23], v[6:7], 0, v[22:23]
; %bb.140:
	s_andn2_saveexec_b64 s[0:1], s[0:1]
; %bb.141:
	v_lshl_add_u64 v[22:23], v[2:3], 0, v[32:33]
; %bb.142:
	s_or_b64 exec, exec, s[0:1]
	v_lshl_add_u64 v[22:23], v[22:23], 2, s[2:3]
	v_cmp_ge_u32_e32 vcc, v28, v24
	global_store_dword v[22:23], v31, off
                                        ; implicit-def: $vgpr22_vgpr23
	s_and_saveexec_b64 s[0:1], vcc
	s_xor_b64 s[0:1], exec, s[0:1]
; %bb.143:
	v_xor_b32_e32 v22, 0xffffefff, v0
	v_ashrrev_i32_e32 v23, 31, v22
	v_lshl_add_u64 v[22:23], v[6:7], 0, v[22:23]
; %bb.144:
	s_andn2_saveexec_b64 s[0:1], s[0:1]
; %bb.145:
	v_lshl_add_u64 v[22:23], v[2:3], 0, v[28:29]
; %bb.146:
	s_or_b64 exec, exec, s[0:1]
	v_lshl_add_u64 v[22:23], v[22:23], 2, s[2:3]
	v_cmp_ge_u32_e32 vcc, v26, v24
	s_waitcnt lgkmcnt(3)
	global_store_dword v[22:23], v20, off
                                        ; implicit-def: $vgpr22_vgpr23
	s_and_saveexec_b64 s[0:1], vcc
	s_xor_b64 s[0:1], exec, s[0:1]
; %bb.147:
	v_xor_b32_e32 v22, 0xffffedff, v0
	v_ashrrev_i32_e32 v23, 31, v22
	v_lshl_add_u64 v[22:23], v[6:7], 0, v[22:23]
; %bb.148:
	s_andn2_saveexec_b64 s[0:1], s[0:1]
; %bb.149:
	v_lshl_add_u64 v[22:23], v[2:3], 0, v[26:27]
; %bb.150:
	s_or_b64 exec, exec, s[0:1]
	v_lshl_add_u64 v[22:23], v[22:23], 2, s[2:3]
	v_cmp_ge_u32_e32 vcc, v18, v24
	global_store_dword v[22:23], v21, off
                                        ; implicit-def: $vgpr22_vgpr23
	s_and_saveexec_b64 s[0:1], vcc
	s_xor_b64 s[0:1], exec, s[0:1]
; %bb.151:
	v_xor_b32_e32 v22, 0xffffebff, v0
	v_ashrrev_i32_e32 v23, 31, v22
	v_lshl_add_u64 v[22:23], v[6:7], 0, v[22:23]
; %bb.152:
	s_andn2_saveexec_b64 s[0:1], s[0:1]
; %bb.153:
	v_lshl_add_u64 v[22:23], v[2:3], 0, v[18:19]
; %bb.154:
	s_or_b64 exec, exec, s[0:1]
	v_lshl_add_u64 v[22:23], v[22:23], 2, s[2:3]
	v_cmp_ge_u32_e32 vcc, v16, v24
	s_waitcnt lgkmcnt(2)
	global_store_dword v[22:23], v14, off
                                        ; implicit-def: $vgpr22_vgpr23
	s_and_saveexec_b64 s[0:1], vcc
	s_xor_b64 s[0:1], exec, s[0:1]
; %bb.155:
	v_xor_b32_e32 v22, 0xffffe9ff, v0
	v_ashrrev_i32_e32 v23, 31, v22
	v_lshl_add_u64 v[22:23], v[6:7], 0, v[22:23]
; %bb.156:
	s_andn2_saveexec_b64 s[0:1], s[0:1]
; %bb.157:
	v_lshl_add_u64 v[22:23], v[2:3], 0, v[16:17]
; %bb.158:
	s_or_b64 exec, exec, s[0:1]
	v_lshl_add_u64 v[22:23], v[22:23], 2, s[2:3]
	v_cmp_ge_u32_e32 vcc, v12, v24
	global_store_dword v[22:23], v15, off
                                        ; implicit-def: $vgpr22_vgpr23
	s_and_saveexec_b64 s[0:1], vcc
	s_xor_b64 s[0:1], exec, s[0:1]
; %bb.159:
	v_xor_b32_e32 v22, 0xffffe7ff, v0
	v_ashrrev_i32_e32 v23, 31, v22
	v_lshl_add_u64 v[22:23], v[6:7], 0, v[22:23]
; %bb.160:
	s_andn2_saveexec_b64 s[0:1], s[0:1]
; %bb.161:
	v_lshl_add_u64 v[22:23], v[2:3], 0, v[12:13]
; %bb.162:
	s_or_b64 exec, exec, s[0:1]
	v_lshl_add_u64 v[22:23], v[22:23], 2, s[2:3]
	v_cmp_ge_u32_e32 vcc, v10, v24
	s_waitcnt lgkmcnt(1)
	global_store_dword v[22:23], v8, off
                                        ; implicit-def: $vgpr22_vgpr23
	s_and_saveexec_b64 s[0:1], vcc
	s_xor_b64 s[0:1], exec, s[0:1]
; %bb.163:
	v_xor_b32_e32 v22, 0xffffe5ff, v0
	v_ashrrev_i32_e32 v23, 31, v22
	v_lshl_add_u64 v[22:23], v[6:7], 0, v[22:23]
; %bb.164:
	s_andn2_saveexec_b64 s[0:1], s[0:1]
; %bb.165:
	v_lshl_add_u64 v[22:23], v[2:3], 0, v[10:11]
; %bb.166:
	s_or_b64 exec, exec, s[0:1]
	v_lshl_add_u64 v[22:23], v[22:23], 2, s[2:3]
	v_cmp_ge_u32_e32 vcc, v4, v24
	global_store_dword v[22:23], v9, off
                                        ; implicit-def: $vgpr22_vgpr23
	s_and_saveexec_b64 s[0:1], vcc
	s_xor_b64 s[0:1], exec, s[0:1]
; %bb.167:
	v_xor_b32_e32 v22, 0xffffe3ff, v0
	v_ashrrev_i32_e32 v23, 31, v22
	v_lshl_add_u64 v[22:23], v[6:7], 0, v[22:23]
; %bb.168:
	s_andn2_saveexec_b64 s[0:1], s[0:1]
; %bb.169:
	v_lshl_add_u64 v[22:23], v[2:3], 0, v[4:5]
; %bb.170:
	s_or_b64 exec, exec, s[0:1]
	s_mov_b64 s[0:1], -1
	s_branch .LBB240_263
.LBB240_171:
	s_mov_b64 s[0:1], 0
                                        ; implicit-def: $vgpr22_vgpr23
	s_cbranch_execz .LBB240_263
; %bb.172:
	v_cmp_gt_u32_e32 vcc, s33, v0
	s_and_saveexec_b64 s[4:5], vcc
	s_cbranch_execz .LBB240_214
; %bb.173:
	v_cmp_ge_u32_e32 vcc, v0, v24
                                        ; implicit-def: $vgpr22_vgpr23
	s_and_saveexec_b64 s[6:7], vcc
	s_xor_b64 s[6:7], exec, s[6:7]
; %bb.174:
	v_not_b32_e32 v22, v0
	v_ashrrev_i32_e32 v23, 31, v22
	v_lshl_add_u64 v[22:23], v[6:7], 0, v[22:23]
; %bb.175:
	s_andn2_saveexec_b64 s[6:7], s[6:7]
; %bb.176:
	v_lshl_add_u64 v[22:23], v[2:3], 0, v[0:1]
; %bb.177:
	s_or_b64 exec, exec, s[6:7]
	v_lshl_add_u64 v[22:23], v[22:23], 2, s[2:3]
	s_waitcnt lgkmcnt(7)
	global_store_dword v[22:23], v48, off
	s_or_b64 exec, exec, s[4:5]
	v_cmp_gt_u32_e32 vcc, s33, v50
	s_and_saveexec_b64 s[4:5], vcc
	s_cbranch_execnz .LBB240_215
.LBB240_178:
	s_or_b64 exec, exec, s[4:5]
	v_cmp_gt_u32_e32 vcc, s33, v46
	s_and_saveexec_b64 s[4:5], vcc
	s_cbranch_execz .LBB240_220
.LBB240_179:
	v_cmp_ge_u32_e32 vcc, v46, v24
                                        ; implicit-def: $vgpr22_vgpr23
	s_and_saveexec_b64 s[6:7], vcc
	s_xor_b64 s[6:7], exec, s[6:7]
; %bb.180:
	v_xor_b32_e32 v22, 0xfffffbff, v0
	v_ashrrev_i32_e32 v23, 31, v22
	v_lshl_add_u64 v[22:23], v[6:7], 0, v[22:23]
                                        ; implicit-def: $vgpr46_vgpr47
; %bb.181:
	s_andn2_saveexec_b64 s[6:7], s[6:7]
; %bb.182:
	v_lshl_add_u64 v[22:23], v[2:3], 0, v[46:47]
; %bb.183:
	s_or_b64 exec, exec, s[6:7]
	v_lshl_add_u64 v[22:23], v[22:23], 2, s[2:3]
	s_waitcnt lgkmcnt(6)
	global_store_dword v[22:23], v42, off
	s_or_b64 exec, exec, s[4:5]
	v_cmp_gt_u32_e32 vcc, s33, v44
	s_and_saveexec_b64 s[4:5], vcc
	s_cbranch_execnz .LBB240_221
.LBB240_184:
	s_or_b64 exec, exec, s[4:5]
	v_cmp_gt_u32_e32 vcc, s33, v40
	s_and_saveexec_b64 s[4:5], vcc
	s_cbranch_execz .LBB240_226
.LBB240_185:
	v_cmp_ge_u32_e32 vcc, v40, v24
                                        ; implicit-def: $vgpr22_vgpr23
	s_and_saveexec_b64 s[6:7], vcc
	s_xor_b64 s[6:7], exec, s[6:7]
; %bb.186:
	v_xor_b32_e32 v22, 0xfffff7ff, v0
	v_ashrrev_i32_e32 v23, 31, v22
	v_lshl_add_u64 v[22:23], v[6:7], 0, v[22:23]
                                        ; implicit-def: $vgpr40_vgpr41
; %bb.187:
	s_andn2_saveexec_b64 s[6:7], s[6:7]
; %bb.188:
	v_lshl_add_u64 v[22:23], v[2:3], 0, v[40:41]
; %bb.189:
	s_or_b64 exec, exec, s[6:7]
	v_lshl_add_u64 v[22:23], v[22:23], 2, s[2:3]
	s_waitcnt lgkmcnt(5)
	global_store_dword v[22:23], v36, off
	s_or_b64 exec, exec, s[4:5]
	v_cmp_gt_u32_e32 vcc, s33, v38
	s_and_saveexec_b64 s[4:5], vcc
	s_cbranch_execnz .LBB240_227
.LBB240_190:
	s_or_b64 exec, exec, s[4:5]
	v_cmp_gt_u32_e32 vcc, s33, v34
	s_and_saveexec_b64 s[4:5], vcc
	s_cbranch_execz .LBB240_232
.LBB240_191:
	v_cmp_ge_u32_e32 vcc, v34, v24
                                        ; implicit-def: $vgpr22_vgpr23
	s_and_saveexec_b64 s[6:7], vcc
	s_xor_b64 s[6:7], exec, s[6:7]
; %bb.192:
	v_xor_b32_e32 v22, 0xfffff3ff, v0
	v_ashrrev_i32_e32 v23, 31, v22
	v_lshl_add_u64 v[22:23], v[6:7], 0, v[22:23]
                                        ; implicit-def: $vgpr34_vgpr35
; %bb.193:
	s_andn2_saveexec_b64 s[6:7], s[6:7]
; %bb.194:
	v_lshl_add_u64 v[22:23], v[2:3], 0, v[34:35]
; %bb.195:
	s_or_b64 exec, exec, s[6:7]
	v_lshl_add_u64 v[22:23], v[22:23], 2, s[2:3]
	s_waitcnt lgkmcnt(4)
	global_store_dword v[22:23], v30, off
	s_or_b64 exec, exec, s[4:5]
	v_cmp_gt_u32_e32 vcc, s33, v32
	s_and_saveexec_b64 s[4:5], vcc
	s_cbranch_execnz .LBB240_233
.LBB240_196:
	s_or_b64 exec, exec, s[4:5]
	v_cmp_gt_u32_e32 vcc, s33, v28
	s_and_saveexec_b64 s[4:5], vcc
	s_cbranch_execz .LBB240_238
.LBB240_197:
	v_cmp_ge_u32_e32 vcc, v28, v24
                                        ; implicit-def: $vgpr22_vgpr23
	s_and_saveexec_b64 s[6:7], vcc
	s_xor_b64 s[6:7], exec, s[6:7]
; %bb.198:
	v_xor_b32_e32 v22, 0xffffefff, v0
	v_ashrrev_i32_e32 v23, 31, v22
	v_lshl_add_u64 v[22:23], v[6:7], 0, v[22:23]
                                        ; implicit-def: $vgpr28_vgpr29
; %bb.199:
	s_andn2_saveexec_b64 s[6:7], s[6:7]
; %bb.200:
	v_lshl_add_u64 v[22:23], v[2:3], 0, v[28:29]
; %bb.201:
	s_or_b64 exec, exec, s[6:7]
	v_lshl_add_u64 v[22:23], v[22:23], 2, s[2:3]
	s_waitcnt lgkmcnt(3)
	global_store_dword v[22:23], v20, off
	s_or_b64 exec, exec, s[4:5]
	v_cmp_gt_u32_e32 vcc, s33, v26
	s_and_saveexec_b64 s[4:5], vcc
	s_cbranch_execnz .LBB240_239
.LBB240_202:
	s_or_b64 exec, exec, s[4:5]
	v_cmp_gt_u32_e32 vcc, s33, v18
	s_and_saveexec_b64 s[4:5], vcc
	s_cbranch_execz .LBB240_244
.LBB240_203:
	v_cmp_ge_u32_e32 vcc, v18, v24
                                        ; implicit-def: $vgpr20_vgpr21
	s_and_saveexec_b64 s[6:7], vcc
	s_xor_b64 s[6:7], exec, s[6:7]
	s_cbranch_execz .LBB240_205
; %bb.204:
	v_xor_b32_e32 v18, 0xffffebff, v0
	v_ashrrev_i32_e32 v19, 31, v18
	s_waitcnt lgkmcnt(3)
	v_lshl_add_u64 v[20:21], v[6:7], 0, v[18:19]
                                        ; implicit-def: $vgpr18_vgpr19
.LBB240_205:
	s_andn2_saveexec_b64 s[6:7], s[6:7]
	s_cbranch_execz .LBB240_207
; %bb.206:
	s_waitcnt lgkmcnt(3)
	v_lshl_add_u64 v[20:21], v[2:3], 0, v[18:19]
.LBB240_207:
	s_or_b64 exec, exec, s[6:7]
	s_waitcnt lgkmcnt(3)
	v_lshl_add_u64 v[18:19], v[20:21], 2, s[2:3]
	s_waitcnt lgkmcnt(2)
	global_store_dword v[18:19], v14, off
	s_or_b64 exec, exec, s[4:5]
	v_cmp_gt_u32_e32 vcc, s33, v16
	s_and_saveexec_b64 s[4:5], vcc
	s_cbranch_execnz .LBB240_245
.LBB240_208:
	s_or_b64 exec, exec, s[4:5]
	v_cmp_gt_u32_e32 vcc, s33, v12
	s_and_saveexec_b64 s[4:5], vcc
	s_cbranch_execz .LBB240_250
.LBB240_209:
	v_cmp_ge_u32_e32 vcc, v12, v24
                                        ; implicit-def: $vgpr14_vgpr15
	s_and_saveexec_b64 s[6:7], vcc
	s_xor_b64 s[6:7], exec, s[6:7]
	s_cbranch_execz .LBB240_211
; %bb.210:
	v_xor_b32_e32 v12, 0xffffe7ff, v0
	v_ashrrev_i32_e32 v13, 31, v12
	s_waitcnt lgkmcnt(2)
	v_lshl_add_u64 v[14:15], v[6:7], 0, v[12:13]
                                        ; implicit-def: $vgpr12_vgpr13
.LBB240_211:
	s_andn2_saveexec_b64 s[6:7], s[6:7]
	s_cbranch_execz .LBB240_213
; %bb.212:
	s_waitcnt lgkmcnt(2)
	v_lshl_add_u64 v[14:15], v[2:3], 0, v[12:13]
.LBB240_213:
	s_or_b64 exec, exec, s[6:7]
	s_waitcnt lgkmcnt(2)
	v_lshl_add_u64 v[12:13], v[14:15], 2, s[2:3]
	s_waitcnt lgkmcnt(1)
	global_store_dword v[12:13], v8, off
	s_or_b64 exec, exec, s[4:5]
	v_cmp_gt_u32_e32 vcc, s33, v10
	s_and_saveexec_b64 s[4:5], vcc
	s_cbranch_execz .LBB240_256
	s_branch .LBB240_251
.LBB240_214:
	s_or_b64 exec, exec, s[4:5]
	v_cmp_gt_u32_e32 vcc, s33, v50
	s_and_saveexec_b64 s[4:5], vcc
	s_cbranch_execz .LBB240_178
.LBB240_215:
	v_cmp_ge_u32_e32 vcc, v50, v24
                                        ; implicit-def: $vgpr22_vgpr23
	s_and_saveexec_b64 s[6:7], vcc
	s_xor_b64 s[6:7], exec, s[6:7]
; %bb.216:
	v_xor_b32_e32 v22, 0xfffffdff, v0
	v_ashrrev_i32_e32 v23, 31, v22
	v_lshl_add_u64 v[22:23], v[6:7], 0, v[22:23]
                                        ; implicit-def: $vgpr50_vgpr51
; %bb.217:
	s_andn2_saveexec_b64 s[6:7], s[6:7]
; %bb.218:
	v_lshl_add_u64 v[22:23], v[2:3], 0, v[50:51]
; %bb.219:
	s_or_b64 exec, exec, s[6:7]
	v_lshl_add_u64 v[22:23], v[22:23], 2, s[2:3]
	s_waitcnt lgkmcnt(7)
	global_store_dword v[22:23], v49, off
	s_or_b64 exec, exec, s[4:5]
	v_cmp_gt_u32_e32 vcc, s33, v46
	s_and_saveexec_b64 s[4:5], vcc
	s_cbranch_execnz .LBB240_179
.LBB240_220:
	s_or_b64 exec, exec, s[4:5]
	v_cmp_gt_u32_e32 vcc, s33, v44
	s_and_saveexec_b64 s[4:5], vcc
	s_cbranch_execz .LBB240_184
.LBB240_221:
	v_cmp_ge_u32_e32 vcc, v44, v24
                                        ; implicit-def: $vgpr22_vgpr23
	s_and_saveexec_b64 s[6:7], vcc
	s_xor_b64 s[6:7], exec, s[6:7]
; %bb.222:
	v_xor_b32_e32 v22, 0xfffff9ff, v0
	v_ashrrev_i32_e32 v23, 31, v22
	v_lshl_add_u64 v[22:23], v[6:7], 0, v[22:23]
                                        ; implicit-def: $vgpr44_vgpr45
; %bb.223:
	s_andn2_saveexec_b64 s[6:7], s[6:7]
; %bb.224:
	v_lshl_add_u64 v[22:23], v[2:3], 0, v[44:45]
; %bb.225:
	s_or_b64 exec, exec, s[6:7]
	v_lshl_add_u64 v[22:23], v[22:23], 2, s[2:3]
	s_waitcnt lgkmcnt(6)
	global_store_dword v[22:23], v43, off
	s_or_b64 exec, exec, s[4:5]
	v_cmp_gt_u32_e32 vcc, s33, v40
	s_and_saveexec_b64 s[4:5], vcc
	s_cbranch_execnz .LBB240_185
.LBB240_226:
	s_or_b64 exec, exec, s[4:5]
	v_cmp_gt_u32_e32 vcc, s33, v38
	s_and_saveexec_b64 s[4:5], vcc
	s_cbranch_execz .LBB240_190
.LBB240_227:
	v_cmp_ge_u32_e32 vcc, v38, v24
                                        ; implicit-def: $vgpr22_vgpr23
	s_and_saveexec_b64 s[6:7], vcc
	s_xor_b64 s[6:7], exec, s[6:7]
; %bb.228:
	v_xor_b32_e32 v22, 0xfffff5ff, v0
	v_ashrrev_i32_e32 v23, 31, v22
	v_lshl_add_u64 v[22:23], v[6:7], 0, v[22:23]
                                        ; implicit-def: $vgpr38_vgpr39
; %bb.229:
	s_andn2_saveexec_b64 s[6:7], s[6:7]
; %bb.230:
	v_lshl_add_u64 v[22:23], v[2:3], 0, v[38:39]
; %bb.231:
	s_or_b64 exec, exec, s[6:7]
	v_lshl_add_u64 v[22:23], v[22:23], 2, s[2:3]
	s_waitcnt lgkmcnt(5)
	global_store_dword v[22:23], v37, off
	s_or_b64 exec, exec, s[4:5]
	v_cmp_gt_u32_e32 vcc, s33, v34
	s_and_saveexec_b64 s[4:5], vcc
	s_cbranch_execnz .LBB240_191
.LBB240_232:
	s_or_b64 exec, exec, s[4:5]
	v_cmp_gt_u32_e32 vcc, s33, v32
	s_and_saveexec_b64 s[4:5], vcc
	s_cbranch_execz .LBB240_196
.LBB240_233:
	v_cmp_ge_u32_e32 vcc, v32, v24
                                        ; implicit-def: $vgpr22_vgpr23
	s_and_saveexec_b64 s[6:7], vcc
	s_xor_b64 s[6:7], exec, s[6:7]
; %bb.234:
	v_xor_b32_e32 v22, 0xfffff1ff, v0
	v_ashrrev_i32_e32 v23, 31, v22
	v_lshl_add_u64 v[22:23], v[6:7], 0, v[22:23]
                                        ; implicit-def: $vgpr32_vgpr33
; %bb.235:
	s_andn2_saveexec_b64 s[6:7], s[6:7]
; %bb.236:
	v_lshl_add_u64 v[22:23], v[2:3], 0, v[32:33]
; %bb.237:
	s_or_b64 exec, exec, s[6:7]
	v_lshl_add_u64 v[22:23], v[22:23], 2, s[2:3]
	s_waitcnt lgkmcnt(4)
	global_store_dword v[22:23], v31, off
	s_or_b64 exec, exec, s[4:5]
	v_cmp_gt_u32_e32 vcc, s33, v28
	s_and_saveexec_b64 s[4:5], vcc
	s_cbranch_execnz .LBB240_197
.LBB240_238:
	s_or_b64 exec, exec, s[4:5]
	v_cmp_gt_u32_e32 vcc, s33, v26
	s_and_saveexec_b64 s[4:5], vcc
	s_cbranch_execz .LBB240_202
.LBB240_239:
	v_cmp_ge_u32_e32 vcc, v26, v24
                                        ; implicit-def: $vgpr22_vgpr23
	s_and_saveexec_b64 s[6:7], vcc
	s_xor_b64 s[6:7], exec, s[6:7]
; %bb.240:
	v_xor_b32_e32 v22, 0xffffedff, v0
	v_ashrrev_i32_e32 v23, 31, v22
	v_lshl_add_u64 v[22:23], v[6:7], 0, v[22:23]
                                        ; implicit-def: $vgpr26_vgpr27
; %bb.241:
	s_andn2_saveexec_b64 s[6:7], s[6:7]
; %bb.242:
	v_lshl_add_u64 v[22:23], v[2:3], 0, v[26:27]
; %bb.243:
	s_or_b64 exec, exec, s[6:7]
	v_lshl_add_u64 v[22:23], v[22:23], 2, s[2:3]
	s_waitcnt lgkmcnt(3)
	global_store_dword v[22:23], v21, off
	s_or_b64 exec, exec, s[4:5]
	v_cmp_gt_u32_e32 vcc, s33, v18
	s_and_saveexec_b64 s[4:5], vcc
	s_cbranch_execnz .LBB240_203
.LBB240_244:
	s_or_b64 exec, exec, s[4:5]
	v_cmp_gt_u32_e32 vcc, s33, v16
	s_and_saveexec_b64 s[4:5], vcc
	s_cbranch_execz .LBB240_208
.LBB240_245:
	v_cmp_ge_u32_e32 vcc, v16, v24
                                        ; implicit-def: $vgpr18_vgpr19
	s_and_saveexec_b64 s[6:7], vcc
	s_xor_b64 s[6:7], exec, s[6:7]
; %bb.246:
	v_xor_b32_e32 v16, 0xffffe9ff, v0
	v_ashrrev_i32_e32 v17, 31, v16
	v_lshl_add_u64 v[18:19], v[6:7], 0, v[16:17]
                                        ; implicit-def: $vgpr16_vgpr17
; %bb.247:
	s_andn2_saveexec_b64 s[6:7], s[6:7]
; %bb.248:
	v_lshl_add_u64 v[18:19], v[2:3], 0, v[16:17]
; %bb.249:
	s_or_b64 exec, exec, s[6:7]
	v_lshl_add_u64 v[16:17], v[18:19], 2, s[2:3]
	s_waitcnt lgkmcnt(2)
	global_store_dword v[16:17], v15, off
	s_or_b64 exec, exec, s[4:5]
	v_cmp_gt_u32_e32 vcc, s33, v12
	s_and_saveexec_b64 s[4:5], vcc
	s_cbranch_execnz .LBB240_209
.LBB240_250:
	s_or_b64 exec, exec, s[4:5]
	v_cmp_gt_u32_e32 vcc, s33, v10
	s_and_saveexec_b64 s[4:5], vcc
	s_cbranch_execz .LBB240_256
.LBB240_251:
	v_cmp_ge_u32_e32 vcc, v10, v24
                                        ; implicit-def: $vgpr12_vgpr13
	s_and_saveexec_b64 s[6:7], vcc
	s_xor_b64 s[6:7], exec, s[6:7]
; %bb.252:
	v_xor_b32_e32 v10, 0xffffe5ff, v0
	v_ashrrev_i32_e32 v11, 31, v10
	v_lshl_add_u64 v[12:13], v[6:7], 0, v[10:11]
                                        ; implicit-def: $vgpr10_vgpr11
; %bb.253:
	s_andn2_saveexec_b64 s[6:7], s[6:7]
; %bb.254:
	v_lshl_add_u64 v[12:13], v[2:3], 0, v[10:11]
; %bb.255:
	s_or_b64 exec, exec, s[6:7]
	v_lshl_add_u64 v[10:11], v[12:13], 2, s[2:3]
	s_waitcnt lgkmcnt(1)
	global_store_dword v[10:11], v9, off
.LBB240_256:
	s_or_b64 exec, exec, s[4:5]
	v_cmp_gt_u32_e32 vcc, s33, v4
                                        ; implicit-def: $vgpr22_vgpr23
	s_and_saveexec_b64 s[4:5], vcc
	s_cbranch_execz .LBB240_262
; %bb.257:
	v_cmp_ge_u32_e32 vcc, v4, v24
                                        ; implicit-def: $vgpr22_vgpr23
	s_and_saveexec_b64 s[6:7], vcc
	s_xor_b64 s[6:7], exec, s[6:7]
; %bb.258:
	v_xor_b32_e32 v4, 0xffffe3ff, v0
	v_ashrrev_i32_e32 v5, 31, v4
	v_lshl_add_u64 v[22:23], v[6:7], 0, v[4:5]
                                        ; implicit-def: $vgpr4_vgpr5
; %bb.259:
	s_andn2_saveexec_b64 s[6:7], s[6:7]
; %bb.260:
	v_lshl_add_u64 v[22:23], v[2:3], 0, v[4:5]
; %bb.261:
	s_or_b64 exec, exec, s[6:7]
	s_or_b64 s[0:1], s[0:1], exec
.LBB240_262:
	s_or_b64 exec, exec, s[4:5]
.LBB240_263:
	s_and_saveexec_b64 s[4:5], s[0:1]
	s_cbranch_execz .LBB240_265
; %bb.264:
	v_lshl_add_u64 v[4:5], v[22:23], 2, s[2:3]
	s_waitcnt lgkmcnt(0)
	global_store_dword v[4:5], v54, off
.LBB240_265:
	s_or_b64 exec, exec, s[4:5]
	v_cmp_eq_u32_e32 vcc, 0, v0
	s_and_b64 s[0:1], vcc, s[22:23]
	s_and_saveexec_b64 s[2:3], s[0:1]
	s_cbranch_execz .LBB240_267
; %bb.266:
	v_mov_b32_e32 v4, 0
	v_lshl_add_u64 v[0:1], v[2:3], 0, v[24:25]
	global_store_dwordx2 v4, v[0:1], s[20:21]
.LBB240_267:
	s_endpgm
	.section	.rodata,"a",@progbits
	.p2align	6, 0x0
	.amdhsa_kernel _ZN7rocprim17ROCPRIM_400000_NS6detail17trampoline_kernelINS0_14default_configENS1_25partition_config_selectorILNS1_17partition_subalgoE2EiNS0_10empty_typeEbEEZZNS1_14partition_implILS5_2ELb0ES3_jN6thrust23THRUST_200600_302600_NS6detail15normal_iteratorINSA_7pointerIiNSA_11hip_rocprim3tagENSA_11use_defaultESG_EEEEPS6_NSA_18transform_iteratorI7is_evenIiENSC_INSA_10device_ptrIiEEEESG_SG_EENS0_5tupleIJPiSJ_EEENSR_IJSJ_SJ_EEES6_PlJS6_EEE10hipError_tPvRmT3_T4_T5_T6_T7_T9_mT8_P12ihipStream_tbDpT10_ENKUlT_T0_E_clISt17integral_constantIbLb1EES1E_IbLb0EEEEDaS1A_S1B_EUlS1A_E_NS1_11comp_targetILNS1_3genE5ELNS1_11target_archE942ELNS1_3gpuE9ELNS1_3repE0EEENS1_30default_config_static_selectorELNS0_4arch9wavefront6targetE1EEEvT1_
		.amdhsa_group_segment_fixed_size 30728
		.amdhsa_private_segment_fixed_size 0
		.amdhsa_kernarg_size 128
		.amdhsa_user_sgpr_count 2
		.amdhsa_user_sgpr_dispatch_ptr 0
		.amdhsa_user_sgpr_queue_ptr 0
		.amdhsa_user_sgpr_kernarg_segment_ptr 1
		.amdhsa_user_sgpr_dispatch_id 0
		.amdhsa_user_sgpr_kernarg_preload_length 0
		.amdhsa_user_sgpr_kernarg_preload_offset 0
		.amdhsa_user_sgpr_private_segment_size 0
		.amdhsa_uses_dynamic_stack 0
		.amdhsa_enable_private_segment 0
		.amdhsa_system_sgpr_workgroup_id_x 1
		.amdhsa_system_sgpr_workgroup_id_y 0
		.amdhsa_system_sgpr_workgroup_id_z 0
		.amdhsa_system_sgpr_workgroup_info 0
		.amdhsa_system_vgpr_workitem_id 0
		.amdhsa_next_free_vgpr 65
		.amdhsa_next_free_sgpr 46
		.amdhsa_accum_offset 68
		.amdhsa_reserve_vcc 1
		.amdhsa_float_round_mode_32 0
		.amdhsa_float_round_mode_16_64 0
		.amdhsa_float_denorm_mode_32 3
		.amdhsa_float_denorm_mode_16_64 3
		.amdhsa_dx10_clamp 1
		.amdhsa_ieee_mode 1
		.amdhsa_fp16_overflow 0
		.amdhsa_tg_split 0
		.amdhsa_exception_fp_ieee_invalid_op 0
		.amdhsa_exception_fp_denorm_src 0
		.amdhsa_exception_fp_ieee_div_zero 0
		.amdhsa_exception_fp_ieee_overflow 0
		.amdhsa_exception_fp_ieee_underflow 0
		.amdhsa_exception_fp_ieee_inexact 0
		.amdhsa_exception_int_div_zero 0
	.end_amdhsa_kernel
	.section	.text._ZN7rocprim17ROCPRIM_400000_NS6detail17trampoline_kernelINS0_14default_configENS1_25partition_config_selectorILNS1_17partition_subalgoE2EiNS0_10empty_typeEbEEZZNS1_14partition_implILS5_2ELb0ES3_jN6thrust23THRUST_200600_302600_NS6detail15normal_iteratorINSA_7pointerIiNSA_11hip_rocprim3tagENSA_11use_defaultESG_EEEEPS6_NSA_18transform_iteratorI7is_evenIiENSC_INSA_10device_ptrIiEEEESG_SG_EENS0_5tupleIJPiSJ_EEENSR_IJSJ_SJ_EEES6_PlJS6_EEE10hipError_tPvRmT3_T4_T5_T6_T7_T9_mT8_P12ihipStream_tbDpT10_ENKUlT_T0_E_clISt17integral_constantIbLb1EES1E_IbLb0EEEEDaS1A_S1B_EUlS1A_E_NS1_11comp_targetILNS1_3genE5ELNS1_11target_archE942ELNS1_3gpuE9ELNS1_3repE0EEENS1_30default_config_static_selectorELNS0_4arch9wavefront6targetE1EEEvT1_,"axG",@progbits,_ZN7rocprim17ROCPRIM_400000_NS6detail17trampoline_kernelINS0_14default_configENS1_25partition_config_selectorILNS1_17partition_subalgoE2EiNS0_10empty_typeEbEEZZNS1_14partition_implILS5_2ELb0ES3_jN6thrust23THRUST_200600_302600_NS6detail15normal_iteratorINSA_7pointerIiNSA_11hip_rocprim3tagENSA_11use_defaultESG_EEEEPS6_NSA_18transform_iteratorI7is_evenIiENSC_INSA_10device_ptrIiEEEESG_SG_EENS0_5tupleIJPiSJ_EEENSR_IJSJ_SJ_EEES6_PlJS6_EEE10hipError_tPvRmT3_T4_T5_T6_T7_T9_mT8_P12ihipStream_tbDpT10_ENKUlT_T0_E_clISt17integral_constantIbLb1EES1E_IbLb0EEEEDaS1A_S1B_EUlS1A_E_NS1_11comp_targetILNS1_3genE5ELNS1_11target_archE942ELNS1_3gpuE9ELNS1_3repE0EEENS1_30default_config_static_selectorELNS0_4arch9wavefront6targetE1EEEvT1_,comdat
.Lfunc_end240:
	.size	_ZN7rocprim17ROCPRIM_400000_NS6detail17trampoline_kernelINS0_14default_configENS1_25partition_config_selectorILNS1_17partition_subalgoE2EiNS0_10empty_typeEbEEZZNS1_14partition_implILS5_2ELb0ES3_jN6thrust23THRUST_200600_302600_NS6detail15normal_iteratorINSA_7pointerIiNSA_11hip_rocprim3tagENSA_11use_defaultESG_EEEEPS6_NSA_18transform_iteratorI7is_evenIiENSC_INSA_10device_ptrIiEEEESG_SG_EENS0_5tupleIJPiSJ_EEENSR_IJSJ_SJ_EEES6_PlJS6_EEE10hipError_tPvRmT3_T4_T5_T6_T7_T9_mT8_P12ihipStream_tbDpT10_ENKUlT_T0_E_clISt17integral_constantIbLb1EES1E_IbLb0EEEEDaS1A_S1B_EUlS1A_E_NS1_11comp_targetILNS1_3genE5ELNS1_11target_archE942ELNS1_3gpuE9ELNS1_3repE0EEENS1_30default_config_static_selectorELNS0_4arch9wavefront6targetE1EEEvT1_, .Lfunc_end240-_ZN7rocprim17ROCPRIM_400000_NS6detail17trampoline_kernelINS0_14default_configENS1_25partition_config_selectorILNS1_17partition_subalgoE2EiNS0_10empty_typeEbEEZZNS1_14partition_implILS5_2ELb0ES3_jN6thrust23THRUST_200600_302600_NS6detail15normal_iteratorINSA_7pointerIiNSA_11hip_rocprim3tagENSA_11use_defaultESG_EEEEPS6_NSA_18transform_iteratorI7is_evenIiENSC_INSA_10device_ptrIiEEEESG_SG_EENS0_5tupleIJPiSJ_EEENSR_IJSJ_SJ_EEES6_PlJS6_EEE10hipError_tPvRmT3_T4_T5_T6_T7_T9_mT8_P12ihipStream_tbDpT10_ENKUlT_T0_E_clISt17integral_constantIbLb1EES1E_IbLb0EEEEDaS1A_S1B_EUlS1A_E_NS1_11comp_targetILNS1_3genE5ELNS1_11target_archE942ELNS1_3gpuE9ELNS1_3repE0EEENS1_30default_config_static_selectorELNS0_4arch9wavefront6targetE1EEEvT1_
                                        ; -- End function
	.section	.AMDGPU.csdata,"",@progbits
; Kernel info:
; codeLenInByte = 8620
; NumSgprs: 52
; NumVgprs: 65
; NumAgprs: 0
; TotalNumVgprs: 65
; ScratchSize: 0
; MemoryBound: 0
; FloatMode: 240
; IeeeMode: 1
; LDSByteSize: 30728 bytes/workgroup (compile time only)
; SGPRBlocks: 6
; VGPRBlocks: 8
; NumSGPRsForWavesPerEU: 52
; NumVGPRsForWavesPerEU: 65
; AccumOffset: 68
; Occupancy: 4
; WaveLimiterHint : 1
; COMPUTE_PGM_RSRC2:SCRATCH_EN: 0
; COMPUTE_PGM_RSRC2:USER_SGPR: 2
; COMPUTE_PGM_RSRC2:TRAP_HANDLER: 0
; COMPUTE_PGM_RSRC2:TGID_X_EN: 1
; COMPUTE_PGM_RSRC2:TGID_Y_EN: 0
; COMPUTE_PGM_RSRC2:TGID_Z_EN: 0
; COMPUTE_PGM_RSRC2:TIDIG_COMP_CNT: 0
; COMPUTE_PGM_RSRC3_GFX90A:ACCUM_OFFSET: 16
; COMPUTE_PGM_RSRC3_GFX90A:TG_SPLIT: 0
	.section	.text._ZN7rocprim17ROCPRIM_400000_NS6detail17trampoline_kernelINS0_14default_configENS1_25partition_config_selectorILNS1_17partition_subalgoE2EiNS0_10empty_typeEbEEZZNS1_14partition_implILS5_2ELb0ES3_jN6thrust23THRUST_200600_302600_NS6detail15normal_iteratorINSA_7pointerIiNSA_11hip_rocprim3tagENSA_11use_defaultESG_EEEEPS6_NSA_18transform_iteratorI7is_evenIiENSC_INSA_10device_ptrIiEEEESG_SG_EENS0_5tupleIJPiSJ_EEENSR_IJSJ_SJ_EEES6_PlJS6_EEE10hipError_tPvRmT3_T4_T5_T6_T7_T9_mT8_P12ihipStream_tbDpT10_ENKUlT_T0_E_clISt17integral_constantIbLb1EES1E_IbLb0EEEEDaS1A_S1B_EUlS1A_E_NS1_11comp_targetILNS1_3genE4ELNS1_11target_archE910ELNS1_3gpuE8ELNS1_3repE0EEENS1_30default_config_static_selectorELNS0_4arch9wavefront6targetE1EEEvT1_,"axG",@progbits,_ZN7rocprim17ROCPRIM_400000_NS6detail17trampoline_kernelINS0_14default_configENS1_25partition_config_selectorILNS1_17partition_subalgoE2EiNS0_10empty_typeEbEEZZNS1_14partition_implILS5_2ELb0ES3_jN6thrust23THRUST_200600_302600_NS6detail15normal_iteratorINSA_7pointerIiNSA_11hip_rocprim3tagENSA_11use_defaultESG_EEEEPS6_NSA_18transform_iteratorI7is_evenIiENSC_INSA_10device_ptrIiEEEESG_SG_EENS0_5tupleIJPiSJ_EEENSR_IJSJ_SJ_EEES6_PlJS6_EEE10hipError_tPvRmT3_T4_T5_T6_T7_T9_mT8_P12ihipStream_tbDpT10_ENKUlT_T0_E_clISt17integral_constantIbLb1EES1E_IbLb0EEEEDaS1A_S1B_EUlS1A_E_NS1_11comp_targetILNS1_3genE4ELNS1_11target_archE910ELNS1_3gpuE8ELNS1_3repE0EEENS1_30default_config_static_selectorELNS0_4arch9wavefront6targetE1EEEvT1_,comdat
	.protected	_ZN7rocprim17ROCPRIM_400000_NS6detail17trampoline_kernelINS0_14default_configENS1_25partition_config_selectorILNS1_17partition_subalgoE2EiNS0_10empty_typeEbEEZZNS1_14partition_implILS5_2ELb0ES3_jN6thrust23THRUST_200600_302600_NS6detail15normal_iteratorINSA_7pointerIiNSA_11hip_rocprim3tagENSA_11use_defaultESG_EEEEPS6_NSA_18transform_iteratorI7is_evenIiENSC_INSA_10device_ptrIiEEEESG_SG_EENS0_5tupleIJPiSJ_EEENSR_IJSJ_SJ_EEES6_PlJS6_EEE10hipError_tPvRmT3_T4_T5_T6_T7_T9_mT8_P12ihipStream_tbDpT10_ENKUlT_T0_E_clISt17integral_constantIbLb1EES1E_IbLb0EEEEDaS1A_S1B_EUlS1A_E_NS1_11comp_targetILNS1_3genE4ELNS1_11target_archE910ELNS1_3gpuE8ELNS1_3repE0EEENS1_30default_config_static_selectorELNS0_4arch9wavefront6targetE1EEEvT1_ ; -- Begin function _ZN7rocprim17ROCPRIM_400000_NS6detail17trampoline_kernelINS0_14default_configENS1_25partition_config_selectorILNS1_17partition_subalgoE2EiNS0_10empty_typeEbEEZZNS1_14partition_implILS5_2ELb0ES3_jN6thrust23THRUST_200600_302600_NS6detail15normal_iteratorINSA_7pointerIiNSA_11hip_rocprim3tagENSA_11use_defaultESG_EEEEPS6_NSA_18transform_iteratorI7is_evenIiENSC_INSA_10device_ptrIiEEEESG_SG_EENS0_5tupleIJPiSJ_EEENSR_IJSJ_SJ_EEES6_PlJS6_EEE10hipError_tPvRmT3_T4_T5_T6_T7_T9_mT8_P12ihipStream_tbDpT10_ENKUlT_T0_E_clISt17integral_constantIbLb1EES1E_IbLb0EEEEDaS1A_S1B_EUlS1A_E_NS1_11comp_targetILNS1_3genE4ELNS1_11target_archE910ELNS1_3gpuE8ELNS1_3repE0EEENS1_30default_config_static_selectorELNS0_4arch9wavefront6targetE1EEEvT1_
	.globl	_ZN7rocprim17ROCPRIM_400000_NS6detail17trampoline_kernelINS0_14default_configENS1_25partition_config_selectorILNS1_17partition_subalgoE2EiNS0_10empty_typeEbEEZZNS1_14partition_implILS5_2ELb0ES3_jN6thrust23THRUST_200600_302600_NS6detail15normal_iteratorINSA_7pointerIiNSA_11hip_rocprim3tagENSA_11use_defaultESG_EEEEPS6_NSA_18transform_iteratorI7is_evenIiENSC_INSA_10device_ptrIiEEEESG_SG_EENS0_5tupleIJPiSJ_EEENSR_IJSJ_SJ_EEES6_PlJS6_EEE10hipError_tPvRmT3_T4_T5_T6_T7_T9_mT8_P12ihipStream_tbDpT10_ENKUlT_T0_E_clISt17integral_constantIbLb1EES1E_IbLb0EEEEDaS1A_S1B_EUlS1A_E_NS1_11comp_targetILNS1_3genE4ELNS1_11target_archE910ELNS1_3gpuE8ELNS1_3repE0EEENS1_30default_config_static_selectorELNS0_4arch9wavefront6targetE1EEEvT1_
	.p2align	8
	.type	_ZN7rocprim17ROCPRIM_400000_NS6detail17trampoline_kernelINS0_14default_configENS1_25partition_config_selectorILNS1_17partition_subalgoE2EiNS0_10empty_typeEbEEZZNS1_14partition_implILS5_2ELb0ES3_jN6thrust23THRUST_200600_302600_NS6detail15normal_iteratorINSA_7pointerIiNSA_11hip_rocprim3tagENSA_11use_defaultESG_EEEEPS6_NSA_18transform_iteratorI7is_evenIiENSC_INSA_10device_ptrIiEEEESG_SG_EENS0_5tupleIJPiSJ_EEENSR_IJSJ_SJ_EEES6_PlJS6_EEE10hipError_tPvRmT3_T4_T5_T6_T7_T9_mT8_P12ihipStream_tbDpT10_ENKUlT_T0_E_clISt17integral_constantIbLb1EES1E_IbLb0EEEEDaS1A_S1B_EUlS1A_E_NS1_11comp_targetILNS1_3genE4ELNS1_11target_archE910ELNS1_3gpuE8ELNS1_3repE0EEENS1_30default_config_static_selectorELNS0_4arch9wavefront6targetE1EEEvT1_,@function
_ZN7rocprim17ROCPRIM_400000_NS6detail17trampoline_kernelINS0_14default_configENS1_25partition_config_selectorILNS1_17partition_subalgoE2EiNS0_10empty_typeEbEEZZNS1_14partition_implILS5_2ELb0ES3_jN6thrust23THRUST_200600_302600_NS6detail15normal_iteratorINSA_7pointerIiNSA_11hip_rocprim3tagENSA_11use_defaultESG_EEEEPS6_NSA_18transform_iteratorI7is_evenIiENSC_INSA_10device_ptrIiEEEESG_SG_EENS0_5tupleIJPiSJ_EEENSR_IJSJ_SJ_EEES6_PlJS6_EEE10hipError_tPvRmT3_T4_T5_T6_T7_T9_mT8_P12ihipStream_tbDpT10_ENKUlT_T0_E_clISt17integral_constantIbLb1EES1E_IbLb0EEEEDaS1A_S1B_EUlS1A_E_NS1_11comp_targetILNS1_3genE4ELNS1_11target_archE910ELNS1_3gpuE8ELNS1_3repE0EEENS1_30default_config_static_selectorELNS0_4arch9wavefront6targetE1EEEvT1_: ; @_ZN7rocprim17ROCPRIM_400000_NS6detail17trampoline_kernelINS0_14default_configENS1_25partition_config_selectorILNS1_17partition_subalgoE2EiNS0_10empty_typeEbEEZZNS1_14partition_implILS5_2ELb0ES3_jN6thrust23THRUST_200600_302600_NS6detail15normal_iteratorINSA_7pointerIiNSA_11hip_rocprim3tagENSA_11use_defaultESG_EEEEPS6_NSA_18transform_iteratorI7is_evenIiENSC_INSA_10device_ptrIiEEEESG_SG_EENS0_5tupleIJPiSJ_EEENSR_IJSJ_SJ_EEES6_PlJS6_EEE10hipError_tPvRmT3_T4_T5_T6_T7_T9_mT8_P12ihipStream_tbDpT10_ENKUlT_T0_E_clISt17integral_constantIbLb1EES1E_IbLb0EEEEDaS1A_S1B_EUlS1A_E_NS1_11comp_targetILNS1_3genE4ELNS1_11target_archE910ELNS1_3gpuE8ELNS1_3repE0EEENS1_30default_config_static_selectorELNS0_4arch9wavefront6targetE1EEEvT1_
; %bb.0:
	.section	.rodata,"a",@progbits
	.p2align	6, 0x0
	.amdhsa_kernel _ZN7rocprim17ROCPRIM_400000_NS6detail17trampoline_kernelINS0_14default_configENS1_25partition_config_selectorILNS1_17partition_subalgoE2EiNS0_10empty_typeEbEEZZNS1_14partition_implILS5_2ELb0ES3_jN6thrust23THRUST_200600_302600_NS6detail15normal_iteratorINSA_7pointerIiNSA_11hip_rocprim3tagENSA_11use_defaultESG_EEEEPS6_NSA_18transform_iteratorI7is_evenIiENSC_INSA_10device_ptrIiEEEESG_SG_EENS0_5tupleIJPiSJ_EEENSR_IJSJ_SJ_EEES6_PlJS6_EEE10hipError_tPvRmT3_T4_T5_T6_T7_T9_mT8_P12ihipStream_tbDpT10_ENKUlT_T0_E_clISt17integral_constantIbLb1EES1E_IbLb0EEEEDaS1A_S1B_EUlS1A_E_NS1_11comp_targetILNS1_3genE4ELNS1_11target_archE910ELNS1_3gpuE8ELNS1_3repE0EEENS1_30default_config_static_selectorELNS0_4arch9wavefront6targetE1EEEvT1_
		.amdhsa_group_segment_fixed_size 0
		.amdhsa_private_segment_fixed_size 0
		.amdhsa_kernarg_size 128
		.amdhsa_user_sgpr_count 2
		.amdhsa_user_sgpr_dispatch_ptr 0
		.amdhsa_user_sgpr_queue_ptr 0
		.amdhsa_user_sgpr_kernarg_segment_ptr 1
		.amdhsa_user_sgpr_dispatch_id 0
		.amdhsa_user_sgpr_kernarg_preload_length 0
		.amdhsa_user_sgpr_kernarg_preload_offset 0
		.amdhsa_user_sgpr_private_segment_size 0
		.amdhsa_uses_dynamic_stack 0
		.amdhsa_enable_private_segment 0
		.amdhsa_system_sgpr_workgroup_id_x 1
		.amdhsa_system_sgpr_workgroup_id_y 0
		.amdhsa_system_sgpr_workgroup_id_z 0
		.amdhsa_system_sgpr_workgroup_info 0
		.amdhsa_system_vgpr_workitem_id 0
		.amdhsa_next_free_vgpr 1
		.amdhsa_next_free_sgpr 0
		.amdhsa_accum_offset 4
		.amdhsa_reserve_vcc 0
		.amdhsa_float_round_mode_32 0
		.amdhsa_float_round_mode_16_64 0
		.amdhsa_float_denorm_mode_32 3
		.amdhsa_float_denorm_mode_16_64 3
		.amdhsa_dx10_clamp 1
		.amdhsa_ieee_mode 1
		.amdhsa_fp16_overflow 0
		.amdhsa_tg_split 0
		.amdhsa_exception_fp_ieee_invalid_op 0
		.amdhsa_exception_fp_denorm_src 0
		.amdhsa_exception_fp_ieee_div_zero 0
		.amdhsa_exception_fp_ieee_overflow 0
		.amdhsa_exception_fp_ieee_underflow 0
		.amdhsa_exception_fp_ieee_inexact 0
		.amdhsa_exception_int_div_zero 0
	.end_amdhsa_kernel
	.section	.text._ZN7rocprim17ROCPRIM_400000_NS6detail17trampoline_kernelINS0_14default_configENS1_25partition_config_selectorILNS1_17partition_subalgoE2EiNS0_10empty_typeEbEEZZNS1_14partition_implILS5_2ELb0ES3_jN6thrust23THRUST_200600_302600_NS6detail15normal_iteratorINSA_7pointerIiNSA_11hip_rocprim3tagENSA_11use_defaultESG_EEEEPS6_NSA_18transform_iteratorI7is_evenIiENSC_INSA_10device_ptrIiEEEESG_SG_EENS0_5tupleIJPiSJ_EEENSR_IJSJ_SJ_EEES6_PlJS6_EEE10hipError_tPvRmT3_T4_T5_T6_T7_T9_mT8_P12ihipStream_tbDpT10_ENKUlT_T0_E_clISt17integral_constantIbLb1EES1E_IbLb0EEEEDaS1A_S1B_EUlS1A_E_NS1_11comp_targetILNS1_3genE4ELNS1_11target_archE910ELNS1_3gpuE8ELNS1_3repE0EEENS1_30default_config_static_selectorELNS0_4arch9wavefront6targetE1EEEvT1_,"axG",@progbits,_ZN7rocprim17ROCPRIM_400000_NS6detail17trampoline_kernelINS0_14default_configENS1_25partition_config_selectorILNS1_17partition_subalgoE2EiNS0_10empty_typeEbEEZZNS1_14partition_implILS5_2ELb0ES3_jN6thrust23THRUST_200600_302600_NS6detail15normal_iteratorINSA_7pointerIiNSA_11hip_rocprim3tagENSA_11use_defaultESG_EEEEPS6_NSA_18transform_iteratorI7is_evenIiENSC_INSA_10device_ptrIiEEEESG_SG_EENS0_5tupleIJPiSJ_EEENSR_IJSJ_SJ_EEES6_PlJS6_EEE10hipError_tPvRmT3_T4_T5_T6_T7_T9_mT8_P12ihipStream_tbDpT10_ENKUlT_T0_E_clISt17integral_constantIbLb1EES1E_IbLb0EEEEDaS1A_S1B_EUlS1A_E_NS1_11comp_targetILNS1_3genE4ELNS1_11target_archE910ELNS1_3gpuE8ELNS1_3repE0EEENS1_30default_config_static_selectorELNS0_4arch9wavefront6targetE1EEEvT1_,comdat
.Lfunc_end241:
	.size	_ZN7rocprim17ROCPRIM_400000_NS6detail17trampoline_kernelINS0_14default_configENS1_25partition_config_selectorILNS1_17partition_subalgoE2EiNS0_10empty_typeEbEEZZNS1_14partition_implILS5_2ELb0ES3_jN6thrust23THRUST_200600_302600_NS6detail15normal_iteratorINSA_7pointerIiNSA_11hip_rocprim3tagENSA_11use_defaultESG_EEEEPS6_NSA_18transform_iteratorI7is_evenIiENSC_INSA_10device_ptrIiEEEESG_SG_EENS0_5tupleIJPiSJ_EEENSR_IJSJ_SJ_EEES6_PlJS6_EEE10hipError_tPvRmT3_T4_T5_T6_T7_T9_mT8_P12ihipStream_tbDpT10_ENKUlT_T0_E_clISt17integral_constantIbLb1EES1E_IbLb0EEEEDaS1A_S1B_EUlS1A_E_NS1_11comp_targetILNS1_3genE4ELNS1_11target_archE910ELNS1_3gpuE8ELNS1_3repE0EEENS1_30default_config_static_selectorELNS0_4arch9wavefront6targetE1EEEvT1_, .Lfunc_end241-_ZN7rocprim17ROCPRIM_400000_NS6detail17trampoline_kernelINS0_14default_configENS1_25partition_config_selectorILNS1_17partition_subalgoE2EiNS0_10empty_typeEbEEZZNS1_14partition_implILS5_2ELb0ES3_jN6thrust23THRUST_200600_302600_NS6detail15normal_iteratorINSA_7pointerIiNSA_11hip_rocprim3tagENSA_11use_defaultESG_EEEEPS6_NSA_18transform_iteratorI7is_evenIiENSC_INSA_10device_ptrIiEEEESG_SG_EENS0_5tupleIJPiSJ_EEENSR_IJSJ_SJ_EEES6_PlJS6_EEE10hipError_tPvRmT3_T4_T5_T6_T7_T9_mT8_P12ihipStream_tbDpT10_ENKUlT_T0_E_clISt17integral_constantIbLb1EES1E_IbLb0EEEEDaS1A_S1B_EUlS1A_E_NS1_11comp_targetILNS1_3genE4ELNS1_11target_archE910ELNS1_3gpuE8ELNS1_3repE0EEENS1_30default_config_static_selectorELNS0_4arch9wavefront6targetE1EEEvT1_
                                        ; -- End function
	.section	.AMDGPU.csdata,"",@progbits
; Kernel info:
; codeLenInByte = 0
; NumSgprs: 6
; NumVgprs: 0
; NumAgprs: 0
; TotalNumVgprs: 0
; ScratchSize: 0
; MemoryBound: 0
; FloatMode: 240
; IeeeMode: 1
; LDSByteSize: 0 bytes/workgroup (compile time only)
; SGPRBlocks: 0
; VGPRBlocks: 0
; NumSGPRsForWavesPerEU: 6
; NumVGPRsForWavesPerEU: 1
; AccumOffset: 4
; Occupancy: 8
; WaveLimiterHint : 0
; COMPUTE_PGM_RSRC2:SCRATCH_EN: 0
; COMPUTE_PGM_RSRC2:USER_SGPR: 2
; COMPUTE_PGM_RSRC2:TRAP_HANDLER: 0
; COMPUTE_PGM_RSRC2:TGID_X_EN: 1
; COMPUTE_PGM_RSRC2:TGID_Y_EN: 0
; COMPUTE_PGM_RSRC2:TGID_Z_EN: 0
; COMPUTE_PGM_RSRC2:TIDIG_COMP_CNT: 0
; COMPUTE_PGM_RSRC3_GFX90A:ACCUM_OFFSET: 0
; COMPUTE_PGM_RSRC3_GFX90A:TG_SPLIT: 0
	.section	.text._ZN7rocprim17ROCPRIM_400000_NS6detail17trampoline_kernelINS0_14default_configENS1_25partition_config_selectorILNS1_17partition_subalgoE2EiNS0_10empty_typeEbEEZZNS1_14partition_implILS5_2ELb0ES3_jN6thrust23THRUST_200600_302600_NS6detail15normal_iteratorINSA_7pointerIiNSA_11hip_rocprim3tagENSA_11use_defaultESG_EEEEPS6_NSA_18transform_iteratorI7is_evenIiENSC_INSA_10device_ptrIiEEEESG_SG_EENS0_5tupleIJPiSJ_EEENSR_IJSJ_SJ_EEES6_PlJS6_EEE10hipError_tPvRmT3_T4_T5_T6_T7_T9_mT8_P12ihipStream_tbDpT10_ENKUlT_T0_E_clISt17integral_constantIbLb1EES1E_IbLb0EEEEDaS1A_S1B_EUlS1A_E_NS1_11comp_targetILNS1_3genE3ELNS1_11target_archE908ELNS1_3gpuE7ELNS1_3repE0EEENS1_30default_config_static_selectorELNS0_4arch9wavefront6targetE1EEEvT1_,"axG",@progbits,_ZN7rocprim17ROCPRIM_400000_NS6detail17trampoline_kernelINS0_14default_configENS1_25partition_config_selectorILNS1_17partition_subalgoE2EiNS0_10empty_typeEbEEZZNS1_14partition_implILS5_2ELb0ES3_jN6thrust23THRUST_200600_302600_NS6detail15normal_iteratorINSA_7pointerIiNSA_11hip_rocprim3tagENSA_11use_defaultESG_EEEEPS6_NSA_18transform_iteratorI7is_evenIiENSC_INSA_10device_ptrIiEEEESG_SG_EENS0_5tupleIJPiSJ_EEENSR_IJSJ_SJ_EEES6_PlJS6_EEE10hipError_tPvRmT3_T4_T5_T6_T7_T9_mT8_P12ihipStream_tbDpT10_ENKUlT_T0_E_clISt17integral_constantIbLb1EES1E_IbLb0EEEEDaS1A_S1B_EUlS1A_E_NS1_11comp_targetILNS1_3genE3ELNS1_11target_archE908ELNS1_3gpuE7ELNS1_3repE0EEENS1_30default_config_static_selectorELNS0_4arch9wavefront6targetE1EEEvT1_,comdat
	.protected	_ZN7rocprim17ROCPRIM_400000_NS6detail17trampoline_kernelINS0_14default_configENS1_25partition_config_selectorILNS1_17partition_subalgoE2EiNS0_10empty_typeEbEEZZNS1_14partition_implILS5_2ELb0ES3_jN6thrust23THRUST_200600_302600_NS6detail15normal_iteratorINSA_7pointerIiNSA_11hip_rocprim3tagENSA_11use_defaultESG_EEEEPS6_NSA_18transform_iteratorI7is_evenIiENSC_INSA_10device_ptrIiEEEESG_SG_EENS0_5tupleIJPiSJ_EEENSR_IJSJ_SJ_EEES6_PlJS6_EEE10hipError_tPvRmT3_T4_T5_T6_T7_T9_mT8_P12ihipStream_tbDpT10_ENKUlT_T0_E_clISt17integral_constantIbLb1EES1E_IbLb0EEEEDaS1A_S1B_EUlS1A_E_NS1_11comp_targetILNS1_3genE3ELNS1_11target_archE908ELNS1_3gpuE7ELNS1_3repE0EEENS1_30default_config_static_selectorELNS0_4arch9wavefront6targetE1EEEvT1_ ; -- Begin function _ZN7rocprim17ROCPRIM_400000_NS6detail17trampoline_kernelINS0_14default_configENS1_25partition_config_selectorILNS1_17partition_subalgoE2EiNS0_10empty_typeEbEEZZNS1_14partition_implILS5_2ELb0ES3_jN6thrust23THRUST_200600_302600_NS6detail15normal_iteratorINSA_7pointerIiNSA_11hip_rocprim3tagENSA_11use_defaultESG_EEEEPS6_NSA_18transform_iteratorI7is_evenIiENSC_INSA_10device_ptrIiEEEESG_SG_EENS0_5tupleIJPiSJ_EEENSR_IJSJ_SJ_EEES6_PlJS6_EEE10hipError_tPvRmT3_T4_T5_T6_T7_T9_mT8_P12ihipStream_tbDpT10_ENKUlT_T0_E_clISt17integral_constantIbLb1EES1E_IbLb0EEEEDaS1A_S1B_EUlS1A_E_NS1_11comp_targetILNS1_3genE3ELNS1_11target_archE908ELNS1_3gpuE7ELNS1_3repE0EEENS1_30default_config_static_selectorELNS0_4arch9wavefront6targetE1EEEvT1_
	.globl	_ZN7rocprim17ROCPRIM_400000_NS6detail17trampoline_kernelINS0_14default_configENS1_25partition_config_selectorILNS1_17partition_subalgoE2EiNS0_10empty_typeEbEEZZNS1_14partition_implILS5_2ELb0ES3_jN6thrust23THRUST_200600_302600_NS6detail15normal_iteratorINSA_7pointerIiNSA_11hip_rocprim3tagENSA_11use_defaultESG_EEEEPS6_NSA_18transform_iteratorI7is_evenIiENSC_INSA_10device_ptrIiEEEESG_SG_EENS0_5tupleIJPiSJ_EEENSR_IJSJ_SJ_EEES6_PlJS6_EEE10hipError_tPvRmT3_T4_T5_T6_T7_T9_mT8_P12ihipStream_tbDpT10_ENKUlT_T0_E_clISt17integral_constantIbLb1EES1E_IbLb0EEEEDaS1A_S1B_EUlS1A_E_NS1_11comp_targetILNS1_3genE3ELNS1_11target_archE908ELNS1_3gpuE7ELNS1_3repE0EEENS1_30default_config_static_selectorELNS0_4arch9wavefront6targetE1EEEvT1_
	.p2align	8
	.type	_ZN7rocprim17ROCPRIM_400000_NS6detail17trampoline_kernelINS0_14default_configENS1_25partition_config_selectorILNS1_17partition_subalgoE2EiNS0_10empty_typeEbEEZZNS1_14partition_implILS5_2ELb0ES3_jN6thrust23THRUST_200600_302600_NS6detail15normal_iteratorINSA_7pointerIiNSA_11hip_rocprim3tagENSA_11use_defaultESG_EEEEPS6_NSA_18transform_iteratorI7is_evenIiENSC_INSA_10device_ptrIiEEEESG_SG_EENS0_5tupleIJPiSJ_EEENSR_IJSJ_SJ_EEES6_PlJS6_EEE10hipError_tPvRmT3_T4_T5_T6_T7_T9_mT8_P12ihipStream_tbDpT10_ENKUlT_T0_E_clISt17integral_constantIbLb1EES1E_IbLb0EEEEDaS1A_S1B_EUlS1A_E_NS1_11comp_targetILNS1_3genE3ELNS1_11target_archE908ELNS1_3gpuE7ELNS1_3repE0EEENS1_30default_config_static_selectorELNS0_4arch9wavefront6targetE1EEEvT1_,@function
_ZN7rocprim17ROCPRIM_400000_NS6detail17trampoline_kernelINS0_14default_configENS1_25partition_config_selectorILNS1_17partition_subalgoE2EiNS0_10empty_typeEbEEZZNS1_14partition_implILS5_2ELb0ES3_jN6thrust23THRUST_200600_302600_NS6detail15normal_iteratorINSA_7pointerIiNSA_11hip_rocprim3tagENSA_11use_defaultESG_EEEEPS6_NSA_18transform_iteratorI7is_evenIiENSC_INSA_10device_ptrIiEEEESG_SG_EENS0_5tupleIJPiSJ_EEENSR_IJSJ_SJ_EEES6_PlJS6_EEE10hipError_tPvRmT3_T4_T5_T6_T7_T9_mT8_P12ihipStream_tbDpT10_ENKUlT_T0_E_clISt17integral_constantIbLb1EES1E_IbLb0EEEEDaS1A_S1B_EUlS1A_E_NS1_11comp_targetILNS1_3genE3ELNS1_11target_archE908ELNS1_3gpuE7ELNS1_3repE0EEENS1_30default_config_static_selectorELNS0_4arch9wavefront6targetE1EEEvT1_: ; @_ZN7rocprim17ROCPRIM_400000_NS6detail17trampoline_kernelINS0_14default_configENS1_25partition_config_selectorILNS1_17partition_subalgoE2EiNS0_10empty_typeEbEEZZNS1_14partition_implILS5_2ELb0ES3_jN6thrust23THRUST_200600_302600_NS6detail15normal_iteratorINSA_7pointerIiNSA_11hip_rocprim3tagENSA_11use_defaultESG_EEEEPS6_NSA_18transform_iteratorI7is_evenIiENSC_INSA_10device_ptrIiEEEESG_SG_EENS0_5tupleIJPiSJ_EEENSR_IJSJ_SJ_EEES6_PlJS6_EEE10hipError_tPvRmT3_T4_T5_T6_T7_T9_mT8_P12ihipStream_tbDpT10_ENKUlT_T0_E_clISt17integral_constantIbLb1EES1E_IbLb0EEEEDaS1A_S1B_EUlS1A_E_NS1_11comp_targetILNS1_3genE3ELNS1_11target_archE908ELNS1_3gpuE7ELNS1_3repE0EEENS1_30default_config_static_selectorELNS0_4arch9wavefront6targetE1EEEvT1_
; %bb.0:
	.section	.rodata,"a",@progbits
	.p2align	6, 0x0
	.amdhsa_kernel _ZN7rocprim17ROCPRIM_400000_NS6detail17trampoline_kernelINS0_14default_configENS1_25partition_config_selectorILNS1_17partition_subalgoE2EiNS0_10empty_typeEbEEZZNS1_14partition_implILS5_2ELb0ES3_jN6thrust23THRUST_200600_302600_NS6detail15normal_iteratorINSA_7pointerIiNSA_11hip_rocprim3tagENSA_11use_defaultESG_EEEEPS6_NSA_18transform_iteratorI7is_evenIiENSC_INSA_10device_ptrIiEEEESG_SG_EENS0_5tupleIJPiSJ_EEENSR_IJSJ_SJ_EEES6_PlJS6_EEE10hipError_tPvRmT3_T4_T5_T6_T7_T9_mT8_P12ihipStream_tbDpT10_ENKUlT_T0_E_clISt17integral_constantIbLb1EES1E_IbLb0EEEEDaS1A_S1B_EUlS1A_E_NS1_11comp_targetILNS1_3genE3ELNS1_11target_archE908ELNS1_3gpuE7ELNS1_3repE0EEENS1_30default_config_static_selectorELNS0_4arch9wavefront6targetE1EEEvT1_
		.amdhsa_group_segment_fixed_size 0
		.amdhsa_private_segment_fixed_size 0
		.amdhsa_kernarg_size 128
		.amdhsa_user_sgpr_count 2
		.amdhsa_user_sgpr_dispatch_ptr 0
		.amdhsa_user_sgpr_queue_ptr 0
		.amdhsa_user_sgpr_kernarg_segment_ptr 1
		.amdhsa_user_sgpr_dispatch_id 0
		.amdhsa_user_sgpr_kernarg_preload_length 0
		.amdhsa_user_sgpr_kernarg_preload_offset 0
		.amdhsa_user_sgpr_private_segment_size 0
		.amdhsa_uses_dynamic_stack 0
		.amdhsa_enable_private_segment 0
		.amdhsa_system_sgpr_workgroup_id_x 1
		.amdhsa_system_sgpr_workgroup_id_y 0
		.amdhsa_system_sgpr_workgroup_id_z 0
		.amdhsa_system_sgpr_workgroup_info 0
		.amdhsa_system_vgpr_workitem_id 0
		.amdhsa_next_free_vgpr 1
		.amdhsa_next_free_sgpr 0
		.amdhsa_accum_offset 4
		.amdhsa_reserve_vcc 0
		.amdhsa_float_round_mode_32 0
		.amdhsa_float_round_mode_16_64 0
		.amdhsa_float_denorm_mode_32 3
		.amdhsa_float_denorm_mode_16_64 3
		.amdhsa_dx10_clamp 1
		.amdhsa_ieee_mode 1
		.amdhsa_fp16_overflow 0
		.amdhsa_tg_split 0
		.amdhsa_exception_fp_ieee_invalid_op 0
		.amdhsa_exception_fp_denorm_src 0
		.amdhsa_exception_fp_ieee_div_zero 0
		.amdhsa_exception_fp_ieee_overflow 0
		.amdhsa_exception_fp_ieee_underflow 0
		.amdhsa_exception_fp_ieee_inexact 0
		.amdhsa_exception_int_div_zero 0
	.end_amdhsa_kernel
	.section	.text._ZN7rocprim17ROCPRIM_400000_NS6detail17trampoline_kernelINS0_14default_configENS1_25partition_config_selectorILNS1_17partition_subalgoE2EiNS0_10empty_typeEbEEZZNS1_14partition_implILS5_2ELb0ES3_jN6thrust23THRUST_200600_302600_NS6detail15normal_iteratorINSA_7pointerIiNSA_11hip_rocprim3tagENSA_11use_defaultESG_EEEEPS6_NSA_18transform_iteratorI7is_evenIiENSC_INSA_10device_ptrIiEEEESG_SG_EENS0_5tupleIJPiSJ_EEENSR_IJSJ_SJ_EEES6_PlJS6_EEE10hipError_tPvRmT3_T4_T5_T6_T7_T9_mT8_P12ihipStream_tbDpT10_ENKUlT_T0_E_clISt17integral_constantIbLb1EES1E_IbLb0EEEEDaS1A_S1B_EUlS1A_E_NS1_11comp_targetILNS1_3genE3ELNS1_11target_archE908ELNS1_3gpuE7ELNS1_3repE0EEENS1_30default_config_static_selectorELNS0_4arch9wavefront6targetE1EEEvT1_,"axG",@progbits,_ZN7rocprim17ROCPRIM_400000_NS6detail17trampoline_kernelINS0_14default_configENS1_25partition_config_selectorILNS1_17partition_subalgoE2EiNS0_10empty_typeEbEEZZNS1_14partition_implILS5_2ELb0ES3_jN6thrust23THRUST_200600_302600_NS6detail15normal_iteratorINSA_7pointerIiNSA_11hip_rocprim3tagENSA_11use_defaultESG_EEEEPS6_NSA_18transform_iteratorI7is_evenIiENSC_INSA_10device_ptrIiEEEESG_SG_EENS0_5tupleIJPiSJ_EEENSR_IJSJ_SJ_EEES6_PlJS6_EEE10hipError_tPvRmT3_T4_T5_T6_T7_T9_mT8_P12ihipStream_tbDpT10_ENKUlT_T0_E_clISt17integral_constantIbLb1EES1E_IbLb0EEEEDaS1A_S1B_EUlS1A_E_NS1_11comp_targetILNS1_3genE3ELNS1_11target_archE908ELNS1_3gpuE7ELNS1_3repE0EEENS1_30default_config_static_selectorELNS0_4arch9wavefront6targetE1EEEvT1_,comdat
.Lfunc_end242:
	.size	_ZN7rocprim17ROCPRIM_400000_NS6detail17trampoline_kernelINS0_14default_configENS1_25partition_config_selectorILNS1_17partition_subalgoE2EiNS0_10empty_typeEbEEZZNS1_14partition_implILS5_2ELb0ES3_jN6thrust23THRUST_200600_302600_NS6detail15normal_iteratorINSA_7pointerIiNSA_11hip_rocprim3tagENSA_11use_defaultESG_EEEEPS6_NSA_18transform_iteratorI7is_evenIiENSC_INSA_10device_ptrIiEEEESG_SG_EENS0_5tupleIJPiSJ_EEENSR_IJSJ_SJ_EEES6_PlJS6_EEE10hipError_tPvRmT3_T4_T5_T6_T7_T9_mT8_P12ihipStream_tbDpT10_ENKUlT_T0_E_clISt17integral_constantIbLb1EES1E_IbLb0EEEEDaS1A_S1B_EUlS1A_E_NS1_11comp_targetILNS1_3genE3ELNS1_11target_archE908ELNS1_3gpuE7ELNS1_3repE0EEENS1_30default_config_static_selectorELNS0_4arch9wavefront6targetE1EEEvT1_, .Lfunc_end242-_ZN7rocprim17ROCPRIM_400000_NS6detail17trampoline_kernelINS0_14default_configENS1_25partition_config_selectorILNS1_17partition_subalgoE2EiNS0_10empty_typeEbEEZZNS1_14partition_implILS5_2ELb0ES3_jN6thrust23THRUST_200600_302600_NS6detail15normal_iteratorINSA_7pointerIiNSA_11hip_rocprim3tagENSA_11use_defaultESG_EEEEPS6_NSA_18transform_iteratorI7is_evenIiENSC_INSA_10device_ptrIiEEEESG_SG_EENS0_5tupleIJPiSJ_EEENSR_IJSJ_SJ_EEES6_PlJS6_EEE10hipError_tPvRmT3_T4_T5_T6_T7_T9_mT8_P12ihipStream_tbDpT10_ENKUlT_T0_E_clISt17integral_constantIbLb1EES1E_IbLb0EEEEDaS1A_S1B_EUlS1A_E_NS1_11comp_targetILNS1_3genE3ELNS1_11target_archE908ELNS1_3gpuE7ELNS1_3repE0EEENS1_30default_config_static_selectorELNS0_4arch9wavefront6targetE1EEEvT1_
                                        ; -- End function
	.section	.AMDGPU.csdata,"",@progbits
; Kernel info:
; codeLenInByte = 0
; NumSgprs: 6
; NumVgprs: 0
; NumAgprs: 0
; TotalNumVgprs: 0
; ScratchSize: 0
; MemoryBound: 0
; FloatMode: 240
; IeeeMode: 1
; LDSByteSize: 0 bytes/workgroup (compile time only)
; SGPRBlocks: 0
; VGPRBlocks: 0
; NumSGPRsForWavesPerEU: 6
; NumVGPRsForWavesPerEU: 1
; AccumOffset: 4
; Occupancy: 8
; WaveLimiterHint : 0
; COMPUTE_PGM_RSRC2:SCRATCH_EN: 0
; COMPUTE_PGM_RSRC2:USER_SGPR: 2
; COMPUTE_PGM_RSRC2:TRAP_HANDLER: 0
; COMPUTE_PGM_RSRC2:TGID_X_EN: 1
; COMPUTE_PGM_RSRC2:TGID_Y_EN: 0
; COMPUTE_PGM_RSRC2:TGID_Z_EN: 0
; COMPUTE_PGM_RSRC2:TIDIG_COMP_CNT: 0
; COMPUTE_PGM_RSRC3_GFX90A:ACCUM_OFFSET: 0
; COMPUTE_PGM_RSRC3_GFX90A:TG_SPLIT: 0
	.section	.text._ZN7rocprim17ROCPRIM_400000_NS6detail17trampoline_kernelINS0_14default_configENS1_25partition_config_selectorILNS1_17partition_subalgoE2EiNS0_10empty_typeEbEEZZNS1_14partition_implILS5_2ELb0ES3_jN6thrust23THRUST_200600_302600_NS6detail15normal_iteratorINSA_7pointerIiNSA_11hip_rocprim3tagENSA_11use_defaultESG_EEEEPS6_NSA_18transform_iteratorI7is_evenIiENSC_INSA_10device_ptrIiEEEESG_SG_EENS0_5tupleIJPiSJ_EEENSR_IJSJ_SJ_EEES6_PlJS6_EEE10hipError_tPvRmT3_T4_T5_T6_T7_T9_mT8_P12ihipStream_tbDpT10_ENKUlT_T0_E_clISt17integral_constantIbLb1EES1E_IbLb0EEEEDaS1A_S1B_EUlS1A_E_NS1_11comp_targetILNS1_3genE2ELNS1_11target_archE906ELNS1_3gpuE6ELNS1_3repE0EEENS1_30default_config_static_selectorELNS0_4arch9wavefront6targetE1EEEvT1_,"axG",@progbits,_ZN7rocprim17ROCPRIM_400000_NS6detail17trampoline_kernelINS0_14default_configENS1_25partition_config_selectorILNS1_17partition_subalgoE2EiNS0_10empty_typeEbEEZZNS1_14partition_implILS5_2ELb0ES3_jN6thrust23THRUST_200600_302600_NS6detail15normal_iteratorINSA_7pointerIiNSA_11hip_rocprim3tagENSA_11use_defaultESG_EEEEPS6_NSA_18transform_iteratorI7is_evenIiENSC_INSA_10device_ptrIiEEEESG_SG_EENS0_5tupleIJPiSJ_EEENSR_IJSJ_SJ_EEES6_PlJS6_EEE10hipError_tPvRmT3_T4_T5_T6_T7_T9_mT8_P12ihipStream_tbDpT10_ENKUlT_T0_E_clISt17integral_constantIbLb1EES1E_IbLb0EEEEDaS1A_S1B_EUlS1A_E_NS1_11comp_targetILNS1_3genE2ELNS1_11target_archE906ELNS1_3gpuE6ELNS1_3repE0EEENS1_30default_config_static_selectorELNS0_4arch9wavefront6targetE1EEEvT1_,comdat
	.protected	_ZN7rocprim17ROCPRIM_400000_NS6detail17trampoline_kernelINS0_14default_configENS1_25partition_config_selectorILNS1_17partition_subalgoE2EiNS0_10empty_typeEbEEZZNS1_14partition_implILS5_2ELb0ES3_jN6thrust23THRUST_200600_302600_NS6detail15normal_iteratorINSA_7pointerIiNSA_11hip_rocprim3tagENSA_11use_defaultESG_EEEEPS6_NSA_18transform_iteratorI7is_evenIiENSC_INSA_10device_ptrIiEEEESG_SG_EENS0_5tupleIJPiSJ_EEENSR_IJSJ_SJ_EEES6_PlJS6_EEE10hipError_tPvRmT3_T4_T5_T6_T7_T9_mT8_P12ihipStream_tbDpT10_ENKUlT_T0_E_clISt17integral_constantIbLb1EES1E_IbLb0EEEEDaS1A_S1B_EUlS1A_E_NS1_11comp_targetILNS1_3genE2ELNS1_11target_archE906ELNS1_3gpuE6ELNS1_3repE0EEENS1_30default_config_static_selectorELNS0_4arch9wavefront6targetE1EEEvT1_ ; -- Begin function _ZN7rocprim17ROCPRIM_400000_NS6detail17trampoline_kernelINS0_14default_configENS1_25partition_config_selectorILNS1_17partition_subalgoE2EiNS0_10empty_typeEbEEZZNS1_14partition_implILS5_2ELb0ES3_jN6thrust23THRUST_200600_302600_NS6detail15normal_iteratorINSA_7pointerIiNSA_11hip_rocprim3tagENSA_11use_defaultESG_EEEEPS6_NSA_18transform_iteratorI7is_evenIiENSC_INSA_10device_ptrIiEEEESG_SG_EENS0_5tupleIJPiSJ_EEENSR_IJSJ_SJ_EEES6_PlJS6_EEE10hipError_tPvRmT3_T4_T5_T6_T7_T9_mT8_P12ihipStream_tbDpT10_ENKUlT_T0_E_clISt17integral_constantIbLb1EES1E_IbLb0EEEEDaS1A_S1B_EUlS1A_E_NS1_11comp_targetILNS1_3genE2ELNS1_11target_archE906ELNS1_3gpuE6ELNS1_3repE0EEENS1_30default_config_static_selectorELNS0_4arch9wavefront6targetE1EEEvT1_
	.globl	_ZN7rocprim17ROCPRIM_400000_NS6detail17trampoline_kernelINS0_14default_configENS1_25partition_config_selectorILNS1_17partition_subalgoE2EiNS0_10empty_typeEbEEZZNS1_14partition_implILS5_2ELb0ES3_jN6thrust23THRUST_200600_302600_NS6detail15normal_iteratorINSA_7pointerIiNSA_11hip_rocprim3tagENSA_11use_defaultESG_EEEEPS6_NSA_18transform_iteratorI7is_evenIiENSC_INSA_10device_ptrIiEEEESG_SG_EENS0_5tupleIJPiSJ_EEENSR_IJSJ_SJ_EEES6_PlJS6_EEE10hipError_tPvRmT3_T4_T5_T6_T7_T9_mT8_P12ihipStream_tbDpT10_ENKUlT_T0_E_clISt17integral_constantIbLb1EES1E_IbLb0EEEEDaS1A_S1B_EUlS1A_E_NS1_11comp_targetILNS1_3genE2ELNS1_11target_archE906ELNS1_3gpuE6ELNS1_3repE0EEENS1_30default_config_static_selectorELNS0_4arch9wavefront6targetE1EEEvT1_
	.p2align	8
	.type	_ZN7rocprim17ROCPRIM_400000_NS6detail17trampoline_kernelINS0_14default_configENS1_25partition_config_selectorILNS1_17partition_subalgoE2EiNS0_10empty_typeEbEEZZNS1_14partition_implILS5_2ELb0ES3_jN6thrust23THRUST_200600_302600_NS6detail15normal_iteratorINSA_7pointerIiNSA_11hip_rocprim3tagENSA_11use_defaultESG_EEEEPS6_NSA_18transform_iteratorI7is_evenIiENSC_INSA_10device_ptrIiEEEESG_SG_EENS0_5tupleIJPiSJ_EEENSR_IJSJ_SJ_EEES6_PlJS6_EEE10hipError_tPvRmT3_T4_T5_T6_T7_T9_mT8_P12ihipStream_tbDpT10_ENKUlT_T0_E_clISt17integral_constantIbLb1EES1E_IbLb0EEEEDaS1A_S1B_EUlS1A_E_NS1_11comp_targetILNS1_3genE2ELNS1_11target_archE906ELNS1_3gpuE6ELNS1_3repE0EEENS1_30default_config_static_selectorELNS0_4arch9wavefront6targetE1EEEvT1_,@function
_ZN7rocprim17ROCPRIM_400000_NS6detail17trampoline_kernelINS0_14default_configENS1_25partition_config_selectorILNS1_17partition_subalgoE2EiNS0_10empty_typeEbEEZZNS1_14partition_implILS5_2ELb0ES3_jN6thrust23THRUST_200600_302600_NS6detail15normal_iteratorINSA_7pointerIiNSA_11hip_rocprim3tagENSA_11use_defaultESG_EEEEPS6_NSA_18transform_iteratorI7is_evenIiENSC_INSA_10device_ptrIiEEEESG_SG_EENS0_5tupleIJPiSJ_EEENSR_IJSJ_SJ_EEES6_PlJS6_EEE10hipError_tPvRmT3_T4_T5_T6_T7_T9_mT8_P12ihipStream_tbDpT10_ENKUlT_T0_E_clISt17integral_constantIbLb1EES1E_IbLb0EEEEDaS1A_S1B_EUlS1A_E_NS1_11comp_targetILNS1_3genE2ELNS1_11target_archE906ELNS1_3gpuE6ELNS1_3repE0EEENS1_30default_config_static_selectorELNS0_4arch9wavefront6targetE1EEEvT1_: ; @_ZN7rocprim17ROCPRIM_400000_NS6detail17trampoline_kernelINS0_14default_configENS1_25partition_config_selectorILNS1_17partition_subalgoE2EiNS0_10empty_typeEbEEZZNS1_14partition_implILS5_2ELb0ES3_jN6thrust23THRUST_200600_302600_NS6detail15normal_iteratorINSA_7pointerIiNSA_11hip_rocprim3tagENSA_11use_defaultESG_EEEEPS6_NSA_18transform_iteratorI7is_evenIiENSC_INSA_10device_ptrIiEEEESG_SG_EENS0_5tupleIJPiSJ_EEENSR_IJSJ_SJ_EEES6_PlJS6_EEE10hipError_tPvRmT3_T4_T5_T6_T7_T9_mT8_P12ihipStream_tbDpT10_ENKUlT_T0_E_clISt17integral_constantIbLb1EES1E_IbLb0EEEEDaS1A_S1B_EUlS1A_E_NS1_11comp_targetILNS1_3genE2ELNS1_11target_archE906ELNS1_3gpuE6ELNS1_3repE0EEENS1_30default_config_static_selectorELNS0_4arch9wavefront6targetE1EEEvT1_
; %bb.0:
	.section	.rodata,"a",@progbits
	.p2align	6, 0x0
	.amdhsa_kernel _ZN7rocprim17ROCPRIM_400000_NS6detail17trampoline_kernelINS0_14default_configENS1_25partition_config_selectorILNS1_17partition_subalgoE2EiNS0_10empty_typeEbEEZZNS1_14partition_implILS5_2ELb0ES3_jN6thrust23THRUST_200600_302600_NS6detail15normal_iteratorINSA_7pointerIiNSA_11hip_rocprim3tagENSA_11use_defaultESG_EEEEPS6_NSA_18transform_iteratorI7is_evenIiENSC_INSA_10device_ptrIiEEEESG_SG_EENS0_5tupleIJPiSJ_EEENSR_IJSJ_SJ_EEES6_PlJS6_EEE10hipError_tPvRmT3_T4_T5_T6_T7_T9_mT8_P12ihipStream_tbDpT10_ENKUlT_T0_E_clISt17integral_constantIbLb1EES1E_IbLb0EEEEDaS1A_S1B_EUlS1A_E_NS1_11comp_targetILNS1_3genE2ELNS1_11target_archE906ELNS1_3gpuE6ELNS1_3repE0EEENS1_30default_config_static_selectorELNS0_4arch9wavefront6targetE1EEEvT1_
		.amdhsa_group_segment_fixed_size 0
		.amdhsa_private_segment_fixed_size 0
		.amdhsa_kernarg_size 128
		.amdhsa_user_sgpr_count 2
		.amdhsa_user_sgpr_dispatch_ptr 0
		.amdhsa_user_sgpr_queue_ptr 0
		.amdhsa_user_sgpr_kernarg_segment_ptr 1
		.amdhsa_user_sgpr_dispatch_id 0
		.amdhsa_user_sgpr_kernarg_preload_length 0
		.amdhsa_user_sgpr_kernarg_preload_offset 0
		.amdhsa_user_sgpr_private_segment_size 0
		.amdhsa_uses_dynamic_stack 0
		.amdhsa_enable_private_segment 0
		.amdhsa_system_sgpr_workgroup_id_x 1
		.amdhsa_system_sgpr_workgroup_id_y 0
		.amdhsa_system_sgpr_workgroup_id_z 0
		.amdhsa_system_sgpr_workgroup_info 0
		.amdhsa_system_vgpr_workitem_id 0
		.amdhsa_next_free_vgpr 1
		.amdhsa_next_free_sgpr 0
		.amdhsa_accum_offset 4
		.amdhsa_reserve_vcc 0
		.amdhsa_float_round_mode_32 0
		.amdhsa_float_round_mode_16_64 0
		.amdhsa_float_denorm_mode_32 3
		.amdhsa_float_denorm_mode_16_64 3
		.amdhsa_dx10_clamp 1
		.amdhsa_ieee_mode 1
		.amdhsa_fp16_overflow 0
		.amdhsa_tg_split 0
		.amdhsa_exception_fp_ieee_invalid_op 0
		.amdhsa_exception_fp_denorm_src 0
		.amdhsa_exception_fp_ieee_div_zero 0
		.amdhsa_exception_fp_ieee_overflow 0
		.amdhsa_exception_fp_ieee_underflow 0
		.amdhsa_exception_fp_ieee_inexact 0
		.amdhsa_exception_int_div_zero 0
	.end_amdhsa_kernel
	.section	.text._ZN7rocprim17ROCPRIM_400000_NS6detail17trampoline_kernelINS0_14default_configENS1_25partition_config_selectorILNS1_17partition_subalgoE2EiNS0_10empty_typeEbEEZZNS1_14partition_implILS5_2ELb0ES3_jN6thrust23THRUST_200600_302600_NS6detail15normal_iteratorINSA_7pointerIiNSA_11hip_rocprim3tagENSA_11use_defaultESG_EEEEPS6_NSA_18transform_iteratorI7is_evenIiENSC_INSA_10device_ptrIiEEEESG_SG_EENS0_5tupleIJPiSJ_EEENSR_IJSJ_SJ_EEES6_PlJS6_EEE10hipError_tPvRmT3_T4_T5_T6_T7_T9_mT8_P12ihipStream_tbDpT10_ENKUlT_T0_E_clISt17integral_constantIbLb1EES1E_IbLb0EEEEDaS1A_S1B_EUlS1A_E_NS1_11comp_targetILNS1_3genE2ELNS1_11target_archE906ELNS1_3gpuE6ELNS1_3repE0EEENS1_30default_config_static_selectorELNS0_4arch9wavefront6targetE1EEEvT1_,"axG",@progbits,_ZN7rocprim17ROCPRIM_400000_NS6detail17trampoline_kernelINS0_14default_configENS1_25partition_config_selectorILNS1_17partition_subalgoE2EiNS0_10empty_typeEbEEZZNS1_14partition_implILS5_2ELb0ES3_jN6thrust23THRUST_200600_302600_NS6detail15normal_iteratorINSA_7pointerIiNSA_11hip_rocprim3tagENSA_11use_defaultESG_EEEEPS6_NSA_18transform_iteratorI7is_evenIiENSC_INSA_10device_ptrIiEEEESG_SG_EENS0_5tupleIJPiSJ_EEENSR_IJSJ_SJ_EEES6_PlJS6_EEE10hipError_tPvRmT3_T4_T5_T6_T7_T9_mT8_P12ihipStream_tbDpT10_ENKUlT_T0_E_clISt17integral_constantIbLb1EES1E_IbLb0EEEEDaS1A_S1B_EUlS1A_E_NS1_11comp_targetILNS1_3genE2ELNS1_11target_archE906ELNS1_3gpuE6ELNS1_3repE0EEENS1_30default_config_static_selectorELNS0_4arch9wavefront6targetE1EEEvT1_,comdat
.Lfunc_end243:
	.size	_ZN7rocprim17ROCPRIM_400000_NS6detail17trampoline_kernelINS0_14default_configENS1_25partition_config_selectorILNS1_17partition_subalgoE2EiNS0_10empty_typeEbEEZZNS1_14partition_implILS5_2ELb0ES3_jN6thrust23THRUST_200600_302600_NS6detail15normal_iteratorINSA_7pointerIiNSA_11hip_rocprim3tagENSA_11use_defaultESG_EEEEPS6_NSA_18transform_iteratorI7is_evenIiENSC_INSA_10device_ptrIiEEEESG_SG_EENS0_5tupleIJPiSJ_EEENSR_IJSJ_SJ_EEES6_PlJS6_EEE10hipError_tPvRmT3_T4_T5_T6_T7_T9_mT8_P12ihipStream_tbDpT10_ENKUlT_T0_E_clISt17integral_constantIbLb1EES1E_IbLb0EEEEDaS1A_S1B_EUlS1A_E_NS1_11comp_targetILNS1_3genE2ELNS1_11target_archE906ELNS1_3gpuE6ELNS1_3repE0EEENS1_30default_config_static_selectorELNS0_4arch9wavefront6targetE1EEEvT1_, .Lfunc_end243-_ZN7rocprim17ROCPRIM_400000_NS6detail17trampoline_kernelINS0_14default_configENS1_25partition_config_selectorILNS1_17partition_subalgoE2EiNS0_10empty_typeEbEEZZNS1_14partition_implILS5_2ELb0ES3_jN6thrust23THRUST_200600_302600_NS6detail15normal_iteratorINSA_7pointerIiNSA_11hip_rocprim3tagENSA_11use_defaultESG_EEEEPS6_NSA_18transform_iteratorI7is_evenIiENSC_INSA_10device_ptrIiEEEESG_SG_EENS0_5tupleIJPiSJ_EEENSR_IJSJ_SJ_EEES6_PlJS6_EEE10hipError_tPvRmT3_T4_T5_T6_T7_T9_mT8_P12ihipStream_tbDpT10_ENKUlT_T0_E_clISt17integral_constantIbLb1EES1E_IbLb0EEEEDaS1A_S1B_EUlS1A_E_NS1_11comp_targetILNS1_3genE2ELNS1_11target_archE906ELNS1_3gpuE6ELNS1_3repE0EEENS1_30default_config_static_selectorELNS0_4arch9wavefront6targetE1EEEvT1_
                                        ; -- End function
	.section	.AMDGPU.csdata,"",@progbits
; Kernel info:
; codeLenInByte = 0
; NumSgprs: 6
; NumVgprs: 0
; NumAgprs: 0
; TotalNumVgprs: 0
; ScratchSize: 0
; MemoryBound: 0
; FloatMode: 240
; IeeeMode: 1
; LDSByteSize: 0 bytes/workgroup (compile time only)
; SGPRBlocks: 0
; VGPRBlocks: 0
; NumSGPRsForWavesPerEU: 6
; NumVGPRsForWavesPerEU: 1
; AccumOffset: 4
; Occupancy: 8
; WaveLimiterHint : 0
; COMPUTE_PGM_RSRC2:SCRATCH_EN: 0
; COMPUTE_PGM_RSRC2:USER_SGPR: 2
; COMPUTE_PGM_RSRC2:TRAP_HANDLER: 0
; COMPUTE_PGM_RSRC2:TGID_X_EN: 1
; COMPUTE_PGM_RSRC2:TGID_Y_EN: 0
; COMPUTE_PGM_RSRC2:TGID_Z_EN: 0
; COMPUTE_PGM_RSRC2:TIDIG_COMP_CNT: 0
; COMPUTE_PGM_RSRC3_GFX90A:ACCUM_OFFSET: 0
; COMPUTE_PGM_RSRC3_GFX90A:TG_SPLIT: 0
	.section	.text._ZN7rocprim17ROCPRIM_400000_NS6detail17trampoline_kernelINS0_14default_configENS1_25partition_config_selectorILNS1_17partition_subalgoE2EiNS0_10empty_typeEbEEZZNS1_14partition_implILS5_2ELb0ES3_jN6thrust23THRUST_200600_302600_NS6detail15normal_iteratorINSA_7pointerIiNSA_11hip_rocprim3tagENSA_11use_defaultESG_EEEEPS6_NSA_18transform_iteratorI7is_evenIiENSC_INSA_10device_ptrIiEEEESG_SG_EENS0_5tupleIJPiSJ_EEENSR_IJSJ_SJ_EEES6_PlJS6_EEE10hipError_tPvRmT3_T4_T5_T6_T7_T9_mT8_P12ihipStream_tbDpT10_ENKUlT_T0_E_clISt17integral_constantIbLb1EES1E_IbLb0EEEEDaS1A_S1B_EUlS1A_E_NS1_11comp_targetILNS1_3genE10ELNS1_11target_archE1200ELNS1_3gpuE4ELNS1_3repE0EEENS1_30default_config_static_selectorELNS0_4arch9wavefront6targetE1EEEvT1_,"axG",@progbits,_ZN7rocprim17ROCPRIM_400000_NS6detail17trampoline_kernelINS0_14default_configENS1_25partition_config_selectorILNS1_17partition_subalgoE2EiNS0_10empty_typeEbEEZZNS1_14partition_implILS5_2ELb0ES3_jN6thrust23THRUST_200600_302600_NS6detail15normal_iteratorINSA_7pointerIiNSA_11hip_rocprim3tagENSA_11use_defaultESG_EEEEPS6_NSA_18transform_iteratorI7is_evenIiENSC_INSA_10device_ptrIiEEEESG_SG_EENS0_5tupleIJPiSJ_EEENSR_IJSJ_SJ_EEES6_PlJS6_EEE10hipError_tPvRmT3_T4_T5_T6_T7_T9_mT8_P12ihipStream_tbDpT10_ENKUlT_T0_E_clISt17integral_constantIbLb1EES1E_IbLb0EEEEDaS1A_S1B_EUlS1A_E_NS1_11comp_targetILNS1_3genE10ELNS1_11target_archE1200ELNS1_3gpuE4ELNS1_3repE0EEENS1_30default_config_static_selectorELNS0_4arch9wavefront6targetE1EEEvT1_,comdat
	.protected	_ZN7rocprim17ROCPRIM_400000_NS6detail17trampoline_kernelINS0_14default_configENS1_25partition_config_selectorILNS1_17partition_subalgoE2EiNS0_10empty_typeEbEEZZNS1_14partition_implILS5_2ELb0ES3_jN6thrust23THRUST_200600_302600_NS6detail15normal_iteratorINSA_7pointerIiNSA_11hip_rocprim3tagENSA_11use_defaultESG_EEEEPS6_NSA_18transform_iteratorI7is_evenIiENSC_INSA_10device_ptrIiEEEESG_SG_EENS0_5tupleIJPiSJ_EEENSR_IJSJ_SJ_EEES6_PlJS6_EEE10hipError_tPvRmT3_T4_T5_T6_T7_T9_mT8_P12ihipStream_tbDpT10_ENKUlT_T0_E_clISt17integral_constantIbLb1EES1E_IbLb0EEEEDaS1A_S1B_EUlS1A_E_NS1_11comp_targetILNS1_3genE10ELNS1_11target_archE1200ELNS1_3gpuE4ELNS1_3repE0EEENS1_30default_config_static_selectorELNS0_4arch9wavefront6targetE1EEEvT1_ ; -- Begin function _ZN7rocprim17ROCPRIM_400000_NS6detail17trampoline_kernelINS0_14default_configENS1_25partition_config_selectorILNS1_17partition_subalgoE2EiNS0_10empty_typeEbEEZZNS1_14partition_implILS5_2ELb0ES3_jN6thrust23THRUST_200600_302600_NS6detail15normal_iteratorINSA_7pointerIiNSA_11hip_rocprim3tagENSA_11use_defaultESG_EEEEPS6_NSA_18transform_iteratorI7is_evenIiENSC_INSA_10device_ptrIiEEEESG_SG_EENS0_5tupleIJPiSJ_EEENSR_IJSJ_SJ_EEES6_PlJS6_EEE10hipError_tPvRmT3_T4_T5_T6_T7_T9_mT8_P12ihipStream_tbDpT10_ENKUlT_T0_E_clISt17integral_constantIbLb1EES1E_IbLb0EEEEDaS1A_S1B_EUlS1A_E_NS1_11comp_targetILNS1_3genE10ELNS1_11target_archE1200ELNS1_3gpuE4ELNS1_3repE0EEENS1_30default_config_static_selectorELNS0_4arch9wavefront6targetE1EEEvT1_
	.globl	_ZN7rocprim17ROCPRIM_400000_NS6detail17trampoline_kernelINS0_14default_configENS1_25partition_config_selectorILNS1_17partition_subalgoE2EiNS0_10empty_typeEbEEZZNS1_14partition_implILS5_2ELb0ES3_jN6thrust23THRUST_200600_302600_NS6detail15normal_iteratorINSA_7pointerIiNSA_11hip_rocprim3tagENSA_11use_defaultESG_EEEEPS6_NSA_18transform_iteratorI7is_evenIiENSC_INSA_10device_ptrIiEEEESG_SG_EENS0_5tupleIJPiSJ_EEENSR_IJSJ_SJ_EEES6_PlJS6_EEE10hipError_tPvRmT3_T4_T5_T6_T7_T9_mT8_P12ihipStream_tbDpT10_ENKUlT_T0_E_clISt17integral_constantIbLb1EES1E_IbLb0EEEEDaS1A_S1B_EUlS1A_E_NS1_11comp_targetILNS1_3genE10ELNS1_11target_archE1200ELNS1_3gpuE4ELNS1_3repE0EEENS1_30default_config_static_selectorELNS0_4arch9wavefront6targetE1EEEvT1_
	.p2align	8
	.type	_ZN7rocprim17ROCPRIM_400000_NS6detail17trampoline_kernelINS0_14default_configENS1_25partition_config_selectorILNS1_17partition_subalgoE2EiNS0_10empty_typeEbEEZZNS1_14partition_implILS5_2ELb0ES3_jN6thrust23THRUST_200600_302600_NS6detail15normal_iteratorINSA_7pointerIiNSA_11hip_rocprim3tagENSA_11use_defaultESG_EEEEPS6_NSA_18transform_iteratorI7is_evenIiENSC_INSA_10device_ptrIiEEEESG_SG_EENS0_5tupleIJPiSJ_EEENSR_IJSJ_SJ_EEES6_PlJS6_EEE10hipError_tPvRmT3_T4_T5_T6_T7_T9_mT8_P12ihipStream_tbDpT10_ENKUlT_T0_E_clISt17integral_constantIbLb1EES1E_IbLb0EEEEDaS1A_S1B_EUlS1A_E_NS1_11comp_targetILNS1_3genE10ELNS1_11target_archE1200ELNS1_3gpuE4ELNS1_3repE0EEENS1_30default_config_static_selectorELNS0_4arch9wavefront6targetE1EEEvT1_,@function
_ZN7rocprim17ROCPRIM_400000_NS6detail17trampoline_kernelINS0_14default_configENS1_25partition_config_selectorILNS1_17partition_subalgoE2EiNS0_10empty_typeEbEEZZNS1_14partition_implILS5_2ELb0ES3_jN6thrust23THRUST_200600_302600_NS6detail15normal_iteratorINSA_7pointerIiNSA_11hip_rocprim3tagENSA_11use_defaultESG_EEEEPS6_NSA_18transform_iteratorI7is_evenIiENSC_INSA_10device_ptrIiEEEESG_SG_EENS0_5tupleIJPiSJ_EEENSR_IJSJ_SJ_EEES6_PlJS6_EEE10hipError_tPvRmT3_T4_T5_T6_T7_T9_mT8_P12ihipStream_tbDpT10_ENKUlT_T0_E_clISt17integral_constantIbLb1EES1E_IbLb0EEEEDaS1A_S1B_EUlS1A_E_NS1_11comp_targetILNS1_3genE10ELNS1_11target_archE1200ELNS1_3gpuE4ELNS1_3repE0EEENS1_30default_config_static_selectorELNS0_4arch9wavefront6targetE1EEEvT1_: ; @_ZN7rocprim17ROCPRIM_400000_NS6detail17trampoline_kernelINS0_14default_configENS1_25partition_config_selectorILNS1_17partition_subalgoE2EiNS0_10empty_typeEbEEZZNS1_14partition_implILS5_2ELb0ES3_jN6thrust23THRUST_200600_302600_NS6detail15normal_iteratorINSA_7pointerIiNSA_11hip_rocprim3tagENSA_11use_defaultESG_EEEEPS6_NSA_18transform_iteratorI7is_evenIiENSC_INSA_10device_ptrIiEEEESG_SG_EENS0_5tupleIJPiSJ_EEENSR_IJSJ_SJ_EEES6_PlJS6_EEE10hipError_tPvRmT3_T4_T5_T6_T7_T9_mT8_P12ihipStream_tbDpT10_ENKUlT_T0_E_clISt17integral_constantIbLb1EES1E_IbLb0EEEEDaS1A_S1B_EUlS1A_E_NS1_11comp_targetILNS1_3genE10ELNS1_11target_archE1200ELNS1_3gpuE4ELNS1_3repE0EEENS1_30default_config_static_selectorELNS0_4arch9wavefront6targetE1EEEvT1_
; %bb.0:
	.section	.rodata,"a",@progbits
	.p2align	6, 0x0
	.amdhsa_kernel _ZN7rocprim17ROCPRIM_400000_NS6detail17trampoline_kernelINS0_14default_configENS1_25partition_config_selectorILNS1_17partition_subalgoE2EiNS0_10empty_typeEbEEZZNS1_14partition_implILS5_2ELb0ES3_jN6thrust23THRUST_200600_302600_NS6detail15normal_iteratorINSA_7pointerIiNSA_11hip_rocprim3tagENSA_11use_defaultESG_EEEEPS6_NSA_18transform_iteratorI7is_evenIiENSC_INSA_10device_ptrIiEEEESG_SG_EENS0_5tupleIJPiSJ_EEENSR_IJSJ_SJ_EEES6_PlJS6_EEE10hipError_tPvRmT3_T4_T5_T6_T7_T9_mT8_P12ihipStream_tbDpT10_ENKUlT_T0_E_clISt17integral_constantIbLb1EES1E_IbLb0EEEEDaS1A_S1B_EUlS1A_E_NS1_11comp_targetILNS1_3genE10ELNS1_11target_archE1200ELNS1_3gpuE4ELNS1_3repE0EEENS1_30default_config_static_selectorELNS0_4arch9wavefront6targetE1EEEvT1_
		.amdhsa_group_segment_fixed_size 0
		.amdhsa_private_segment_fixed_size 0
		.amdhsa_kernarg_size 128
		.amdhsa_user_sgpr_count 2
		.amdhsa_user_sgpr_dispatch_ptr 0
		.amdhsa_user_sgpr_queue_ptr 0
		.amdhsa_user_sgpr_kernarg_segment_ptr 1
		.amdhsa_user_sgpr_dispatch_id 0
		.amdhsa_user_sgpr_kernarg_preload_length 0
		.amdhsa_user_sgpr_kernarg_preload_offset 0
		.amdhsa_user_sgpr_private_segment_size 0
		.amdhsa_uses_dynamic_stack 0
		.amdhsa_enable_private_segment 0
		.amdhsa_system_sgpr_workgroup_id_x 1
		.amdhsa_system_sgpr_workgroup_id_y 0
		.amdhsa_system_sgpr_workgroup_id_z 0
		.amdhsa_system_sgpr_workgroup_info 0
		.amdhsa_system_vgpr_workitem_id 0
		.amdhsa_next_free_vgpr 1
		.amdhsa_next_free_sgpr 0
		.amdhsa_accum_offset 4
		.amdhsa_reserve_vcc 0
		.amdhsa_float_round_mode_32 0
		.amdhsa_float_round_mode_16_64 0
		.amdhsa_float_denorm_mode_32 3
		.amdhsa_float_denorm_mode_16_64 3
		.amdhsa_dx10_clamp 1
		.amdhsa_ieee_mode 1
		.amdhsa_fp16_overflow 0
		.amdhsa_tg_split 0
		.amdhsa_exception_fp_ieee_invalid_op 0
		.amdhsa_exception_fp_denorm_src 0
		.amdhsa_exception_fp_ieee_div_zero 0
		.amdhsa_exception_fp_ieee_overflow 0
		.amdhsa_exception_fp_ieee_underflow 0
		.amdhsa_exception_fp_ieee_inexact 0
		.amdhsa_exception_int_div_zero 0
	.end_amdhsa_kernel
	.section	.text._ZN7rocprim17ROCPRIM_400000_NS6detail17trampoline_kernelINS0_14default_configENS1_25partition_config_selectorILNS1_17partition_subalgoE2EiNS0_10empty_typeEbEEZZNS1_14partition_implILS5_2ELb0ES3_jN6thrust23THRUST_200600_302600_NS6detail15normal_iteratorINSA_7pointerIiNSA_11hip_rocprim3tagENSA_11use_defaultESG_EEEEPS6_NSA_18transform_iteratorI7is_evenIiENSC_INSA_10device_ptrIiEEEESG_SG_EENS0_5tupleIJPiSJ_EEENSR_IJSJ_SJ_EEES6_PlJS6_EEE10hipError_tPvRmT3_T4_T5_T6_T7_T9_mT8_P12ihipStream_tbDpT10_ENKUlT_T0_E_clISt17integral_constantIbLb1EES1E_IbLb0EEEEDaS1A_S1B_EUlS1A_E_NS1_11comp_targetILNS1_3genE10ELNS1_11target_archE1200ELNS1_3gpuE4ELNS1_3repE0EEENS1_30default_config_static_selectorELNS0_4arch9wavefront6targetE1EEEvT1_,"axG",@progbits,_ZN7rocprim17ROCPRIM_400000_NS6detail17trampoline_kernelINS0_14default_configENS1_25partition_config_selectorILNS1_17partition_subalgoE2EiNS0_10empty_typeEbEEZZNS1_14partition_implILS5_2ELb0ES3_jN6thrust23THRUST_200600_302600_NS6detail15normal_iteratorINSA_7pointerIiNSA_11hip_rocprim3tagENSA_11use_defaultESG_EEEEPS6_NSA_18transform_iteratorI7is_evenIiENSC_INSA_10device_ptrIiEEEESG_SG_EENS0_5tupleIJPiSJ_EEENSR_IJSJ_SJ_EEES6_PlJS6_EEE10hipError_tPvRmT3_T4_T5_T6_T7_T9_mT8_P12ihipStream_tbDpT10_ENKUlT_T0_E_clISt17integral_constantIbLb1EES1E_IbLb0EEEEDaS1A_S1B_EUlS1A_E_NS1_11comp_targetILNS1_3genE10ELNS1_11target_archE1200ELNS1_3gpuE4ELNS1_3repE0EEENS1_30default_config_static_selectorELNS0_4arch9wavefront6targetE1EEEvT1_,comdat
.Lfunc_end244:
	.size	_ZN7rocprim17ROCPRIM_400000_NS6detail17trampoline_kernelINS0_14default_configENS1_25partition_config_selectorILNS1_17partition_subalgoE2EiNS0_10empty_typeEbEEZZNS1_14partition_implILS5_2ELb0ES3_jN6thrust23THRUST_200600_302600_NS6detail15normal_iteratorINSA_7pointerIiNSA_11hip_rocprim3tagENSA_11use_defaultESG_EEEEPS6_NSA_18transform_iteratorI7is_evenIiENSC_INSA_10device_ptrIiEEEESG_SG_EENS0_5tupleIJPiSJ_EEENSR_IJSJ_SJ_EEES6_PlJS6_EEE10hipError_tPvRmT3_T4_T5_T6_T7_T9_mT8_P12ihipStream_tbDpT10_ENKUlT_T0_E_clISt17integral_constantIbLb1EES1E_IbLb0EEEEDaS1A_S1B_EUlS1A_E_NS1_11comp_targetILNS1_3genE10ELNS1_11target_archE1200ELNS1_3gpuE4ELNS1_3repE0EEENS1_30default_config_static_selectorELNS0_4arch9wavefront6targetE1EEEvT1_, .Lfunc_end244-_ZN7rocprim17ROCPRIM_400000_NS6detail17trampoline_kernelINS0_14default_configENS1_25partition_config_selectorILNS1_17partition_subalgoE2EiNS0_10empty_typeEbEEZZNS1_14partition_implILS5_2ELb0ES3_jN6thrust23THRUST_200600_302600_NS6detail15normal_iteratorINSA_7pointerIiNSA_11hip_rocprim3tagENSA_11use_defaultESG_EEEEPS6_NSA_18transform_iteratorI7is_evenIiENSC_INSA_10device_ptrIiEEEESG_SG_EENS0_5tupleIJPiSJ_EEENSR_IJSJ_SJ_EEES6_PlJS6_EEE10hipError_tPvRmT3_T4_T5_T6_T7_T9_mT8_P12ihipStream_tbDpT10_ENKUlT_T0_E_clISt17integral_constantIbLb1EES1E_IbLb0EEEEDaS1A_S1B_EUlS1A_E_NS1_11comp_targetILNS1_3genE10ELNS1_11target_archE1200ELNS1_3gpuE4ELNS1_3repE0EEENS1_30default_config_static_selectorELNS0_4arch9wavefront6targetE1EEEvT1_
                                        ; -- End function
	.section	.AMDGPU.csdata,"",@progbits
; Kernel info:
; codeLenInByte = 0
; NumSgprs: 6
; NumVgprs: 0
; NumAgprs: 0
; TotalNumVgprs: 0
; ScratchSize: 0
; MemoryBound: 0
; FloatMode: 240
; IeeeMode: 1
; LDSByteSize: 0 bytes/workgroup (compile time only)
; SGPRBlocks: 0
; VGPRBlocks: 0
; NumSGPRsForWavesPerEU: 6
; NumVGPRsForWavesPerEU: 1
; AccumOffset: 4
; Occupancy: 8
; WaveLimiterHint : 0
; COMPUTE_PGM_RSRC2:SCRATCH_EN: 0
; COMPUTE_PGM_RSRC2:USER_SGPR: 2
; COMPUTE_PGM_RSRC2:TRAP_HANDLER: 0
; COMPUTE_PGM_RSRC2:TGID_X_EN: 1
; COMPUTE_PGM_RSRC2:TGID_Y_EN: 0
; COMPUTE_PGM_RSRC2:TGID_Z_EN: 0
; COMPUTE_PGM_RSRC2:TIDIG_COMP_CNT: 0
; COMPUTE_PGM_RSRC3_GFX90A:ACCUM_OFFSET: 0
; COMPUTE_PGM_RSRC3_GFX90A:TG_SPLIT: 0
	.section	.text._ZN7rocprim17ROCPRIM_400000_NS6detail17trampoline_kernelINS0_14default_configENS1_25partition_config_selectorILNS1_17partition_subalgoE2EiNS0_10empty_typeEbEEZZNS1_14partition_implILS5_2ELb0ES3_jN6thrust23THRUST_200600_302600_NS6detail15normal_iteratorINSA_7pointerIiNSA_11hip_rocprim3tagENSA_11use_defaultESG_EEEEPS6_NSA_18transform_iteratorI7is_evenIiENSC_INSA_10device_ptrIiEEEESG_SG_EENS0_5tupleIJPiSJ_EEENSR_IJSJ_SJ_EEES6_PlJS6_EEE10hipError_tPvRmT3_T4_T5_T6_T7_T9_mT8_P12ihipStream_tbDpT10_ENKUlT_T0_E_clISt17integral_constantIbLb1EES1E_IbLb0EEEEDaS1A_S1B_EUlS1A_E_NS1_11comp_targetILNS1_3genE9ELNS1_11target_archE1100ELNS1_3gpuE3ELNS1_3repE0EEENS1_30default_config_static_selectorELNS0_4arch9wavefront6targetE1EEEvT1_,"axG",@progbits,_ZN7rocprim17ROCPRIM_400000_NS6detail17trampoline_kernelINS0_14default_configENS1_25partition_config_selectorILNS1_17partition_subalgoE2EiNS0_10empty_typeEbEEZZNS1_14partition_implILS5_2ELb0ES3_jN6thrust23THRUST_200600_302600_NS6detail15normal_iteratorINSA_7pointerIiNSA_11hip_rocprim3tagENSA_11use_defaultESG_EEEEPS6_NSA_18transform_iteratorI7is_evenIiENSC_INSA_10device_ptrIiEEEESG_SG_EENS0_5tupleIJPiSJ_EEENSR_IJSJ_SJ_EEES6_PlJS6_EEE10hipError_tPvRmT3_T4_T5_T6_T7_T9_mT8_P12ihipStream_tbDpT10_ENKUlT_T0_E_clISt17integral_constantIbLb1EES1E_IbLb0EEEEDaS1A_S1B_EUlS1A_E_NS1_11comp_targetILNS1_3genE9ELNS1_11target_archE1100ELNS1_3gpuE3ELNS1_3repE0EEENS1_30default_config_static_selectorELNS0_4arch9wavefront6targetE1EEEvT1_,comdat
	.protected	_ZN7rocprim17ROCPRIM_400000_NS6detail17trampoline_kernelINS0_14default_configENS1_25partition_config_selectorILNS1_17partition_subalgoE2EiNS0_10empty_typeEbEEZZNS1_14partition_implILS5_2ELb0ES3_jN6thrust23THRUST_200600_302600_NS6detail15normal_iteratorINSA_7pointerIiNSA_11hip_rocprim3tagENSA_11use_defaultESG_EEEEPS6_NSA_18transform_iteratorI7is_evenIiENSC_INSA_10device_ptrIiEEEESG_SG_EENS0_5tupleIJPiSJ_EEENSR_IJSJ_SJ_EEES6_PlJS6_EEE10hipError_tPvRmT3_T4_T5_T6_T7_T9_mT8_P12ihipStream_tbDpT10_ENKUlT_T0_E_clISt17integral_constantIbLb1EES1E_IbLb0EEEEDaS1A_S1B_EUlS1A_E_NS1_11comp_targetILNS1_3genE9ELNS1_11target_archE1100ELNS1_3gpuE3ELNS1_3repE0EEENS1_30default_config_static_selectorELNS0_4arch9wavefront6targetE1EEEvT1_ ; -- Begin function _ZN7rocprim17ROCPRIM_400000_NS6detail17trampoline_kernelINS0_14default_configENS1_25partition_config_selectorILNS1_17partition_subalgoE2EiNS0_10empty_typeEbEEZZNS1_14partition_implILS5_2ELb0ES3_jN6thrust23THRUST_200600_302600_NS6detail15normal_iteratorINSA_7pointerIiNSA_11hip_rocprim3tagENSA_11use_defaultESG_EEEEPS6_NSA_18transform_iteratorI7is_evenIiENSC_INSA_10device_ptrIiEEEESG_SG_EENS0_5tupleIJPiSJ_EEENSR_IJSJ_SJ_EEES6_PlJS6_EEE10hipError_tPvRmT3_T4_T5_T6_T7_T9_mT8_P12ihipStream_tbDpT10_ENKUlT_T0_E_clISt17integral_constantIbLb1EES1E_IbLb0EEEEDaS1A_S1B_EUlS1A_E_NS1_11comp_targetILNS1_3genE9ELNS1_11target_archE1100ELNS1_3gpuE3ELNS1_3repE0EEENS1_30default_config_static_selectorELNS0_4arch9wavefront6targetE1EEEvT1_
	.globl	_ZN7rocprim17ROCPRIM_400000_NS6detail17trampoline_kernelINS0_14default_configENS1_25partition_config_selectorILNS1_17partition_subalgoE2EiNS0_10empty_typeEbEEZZNS1_14partition_implILS5_2ELb0ES3_jN6thrust23THRUST_200600_302600_NS6detail15normal_iteratorINSA_7pointerIiNSA_11hip_rocprim3tagENSA_11use_defaultESG_EEEEPS6_NSA_18transform_iteratorI7is_evenIiENSC_INSA_10device_ptrIiEEEESG_SG_EENS0_5tupleIJPiSJ_EEENSR_IJSJ_SJ_EEES6_PlJS6_EEE10hipError_tPvRmT3_T4_T5_T6_T7_T9_mT8_P12ihipStream_tbDpT10_ENKUlT_T0_E_clISt17integral_constantIbLb1EES1E_IbLb0EEEEDaS1A_S1B_EUlS1A_E_NS1_11comp_targetILNS1_3genE9ELNS1_11target_archE1100ELNS1_3gpuE3ELNS1_3repE0EEENS1_30default_config_static_selectorELNS0_4arch9wavefront6targetE1EEEvT1_
	.p2align	8
	.type	_ZN7rocprim17ROCPRIM_400000_NS6detail17trampoline_kernelINS0_14default_configENS1_25partition_config_selectorILNS1_17partition_subalgoE2EiNS0_10empty_typeEbEEZZNS1_14partition_implILS5_2ELb0ES3_jN6thrust23THRUST_200600_302600_NS6detail15normal_iteratorINSA_7pointerIiNSA_11hip_rocprim3tagENSA_11use_defaultESG_EEEEPS6_NSA_18transform_iteratorI7is_evenIiENSC_INSA_10device_ptrIiEEEESG_SG_EENS0_5tupleIJPiSJ_EEENSR_IJSJ_SJ_EEES6_PlJS6_EEE10hipError_tPvRmT3_T4_T5_T6_T7_T9_mT8_P12ihipStream_tbDpT10_ENKUlT_T0_E_clISt17integral_constantIbLb1EES1E_IbLb0EEEEDaS1A_S1B_EUlS1A_E_NS1_11comp_targetILNS1_3genE9ELNS1_11target_archE1100ELNS1_3gpuE3ELNS1_3repE0EEENS1_30default_config_static_selectorELNS0_4arch9wavefront6targetE1EEEvT1_,@function
_ZN7rocprim17ROCPRIM_400000_NS6detail17trampoline_kernelINS0_14default_configENS1_25partition_config_selectorILNS1_17partition_subalgoE2EiNS0_10empty_typeEbEEZZNS1_14partition_implILS5_2ELb0ES3_jN6thrust23THRUST_200600_302600_NS6detail15normal_iteratorINSA_7pointerIiNSA_11hip_rocprim3tagENSA_11use_defaultESG_EEEEPS6_NSA_18transform_iteratorI7is_evenIiENSC_INSA_10device_ptrIiEEEESG_SG_EENS0_5tupleIJPiSJ_EEENSR_IJSJ_SJ_EEES6_PlJS6_EEE10hipError_tPvRmT3_T4_T5_T6_T7_T9_mT8_P12ihipStream_tbDpT10_ENKUlT_T0_E_clISt17integral_constantIbLb1EES1E_IbLb0EEEEDaS1A_S1B_EUlS1A_E_NS1_11comp_targetILNS1_3genE9ELNS1_11target_archE1100ELNS1_3gpuE3ELNS1_3repE0EEENS1_30default_config_static_selectorELNS0_4arch9wavefront6targetE1EEEvT1_: ; @_ZN7rocprim17ROCPRIM_400000_NS6detail17trampoline_kernelINS0_14default_configENS1_25partition_config_selectorILNS1_17partition_subalgoE2EiNS0_10empty_typeEbEEZZNS1_14partition_implILS5_2ELb0ES3_jN6thrust23THRUST_200600_302600_NS6detail15normal_iteratorINSA_7pointerIiNSA_11hip_rocprim3tagENSA_11use_defaultESG_EEEEPS6_NSA_18transform_iteratorI7is_evenIiENSC_INSA_10device_ptrIiEEEESG_SG_EENS0_5tupleIJPiSJ_EEENSR_IJSJ_SJ_EEES6_PlJS6_EEE10hipError_tPvRmT3_T4_T5_T6_T7_T9_mT8_P12ihipStream_tbDpT10_ENKUlT_T0_E_clISt17integral_constantIbLb1EES1E_IbLb0EEEEDaS1A_S1B_EUlS1A_E_NS1_11comp_targetILNS1_3genE9ELNS1_11target_archE1100ELNS1_3gpuE3ELNS1_3repE0EEENS1_30default_config_static_selectorELNS0_4arch9wavefront6targetE1EEEvT1_
; %bb.0:
	.section	.rodata,"a",@progbits
	.p2align	6, 0x0
	.amdhsa_kernel _ZN7rocprim17ROCPRIM_400000_NS6detail17trampoline_kernelINS0_14default_configENS1_25partition_config_selectorILNS1_17partition_subalgoE2EiNS0_10empty_typeEbEEZZNS1_14partition_implILS5_2ELb0ES3_jN6thrust23THRUST_200600_302600_NS6detail15normal_iteratorINSA_7pointerIiNSA_11hip_rocprim3tagENSA_11use_defaultESG_EEEEPS6_NSA_18transform_iteratorI7is_evenIiENSC_INSA_10device_ptrIiEEEESG_SG_EENS0_5tupleIJPiSJ_EEENSR_IJSJ_SJ_EEES6_PlJS6_EEE10hipError_tPvRmT3_T4_T5_T6_T7_T9_mT8_P12ihipStream_tbDpT10_ENKUlT_T0_E_clISt17integral_constantIbLb1EES1E_IbLb0EEEEDaS1A_S1B_EUlS1A_E_NS1_11comp_targetILNS1_3genE9ELNS1_11target_archE1100ELNS1_3gpuE3ELNS1_3repE0EEENS1_30default_config_static_selectorELNS0_4arch9wavefront6targetE1EEEvT1_
		.amdhsa_group_segment_fixed_size 0
		.amdhsa_private_segment_fixed_size 0
		.amdhsa_kernarg_size 128
		.amdhsa_user_sgpr_count 2
		.amdhsa_user_sgpr_dispatch_ptr 0
		.amdhsa_user_sgpr_queue_ptr 0
		.amdhsa_user_sgpr_kernarg_segment_ptr 1
		.amdhsa_user_sgpr_dispatch_id 0
		.amdhsa_user_sgpr_kernarg_preload_length 0
		.amdhsa_user_sgpr_kernarg_preload_offset 0
		.amdhsa_user_sgpr_private_segment_size 0
		.amdhsa_uses_dynamic_stack 0
		.amdhsa_enable_private_segment 0
		.amdhsa_system_sgpr_workgroup_id_x 1
		.amdhsa_system_sgpr_workgroup_id_y 0
		.amdhsa_system_sgpr_workgroup_id_z 0
		.amdhsa_system_sgpr_workgroup_info 0
		.amdhsa_system_vgpr_workitem_id 0
		.amdhsa_next_free_vgpr 1
		.amdhsa_next_free_sgpr 0
		.amdhsa_accum_offset 4
		.amdhsa_reserve_vcc 0
		.amdhsa_float_round_mode_32 0
		.amdhsa_float_round_mode_16_64 0
		.amdhsa_float_denorm_mode_32 3
		.amdhsa_float_denorm_mode_16_64 3
		.amdhsa_dx10_clamp 1
		.amdhsa_ieee_mode 1
		.amdhsa_fp16_overflow 0
		.amdhsa_tg_split 0
		.amdhsa_exception_fp_ieee_invalid_op 0
		.amdhsa_exception_fp_denorm_src 0
		.amdhsa_exception_fp_ieee_div_zero 0
		.amdhsa_exception_fp_ieee_overflow 0
		.amdhsa_exception_fp_ieee_underflow 0
		.amdhsa_exception_fp_ieee_inexact 0
		.amdhsa_exception_int_div_zero 0
	.end_amdhsa_kernel
	.section	.text._ZN7rocprim17ROCPRIM_400000_NS6detail17trampoline_kernelINS0_14default_configENS1_25partition_config_selectorILNS1_17partition_subalgoE2EiNS0_10empty_typeEbEEZZNS1_14partition_implILS5_2ELb0ES3_jN6thrust23THRUST_200600_302600_NS6detail15normal_iteratorINSA_7pointerIiNSA_11hip_rocprim3tagENSA_11use_defaultESG_EEEEPS6_NSA_18transform_iteratorI7is_evenIiENSC_INSA_10device_ptrIiEEEESG_SG_EENS0_5tupleIJPiSJ_EEENSR_IJSJ_SJ_EEES6_PlJS6_EEE10hipError_tPvRmT3_T4_T5_T6_T7_T9_mT8_P12ihipStream_tbDpT10_ENKUlT_T0_E_clISt17integral_constantIbLb1EES1E_IbLb0EEEEDaS1A_S1B_EUlS1A_E_NS1_11comp_targetILNS1_3genE9ELNS1_11target_archE1100ELNS1_3gpuE3ELNS1_3repE0EEENS1_30default_config_static_selectorELNS0_4arch9wavefront6targetE1EEEvT1_,"axG",@progbits,_ZN7rocprim17ROCPRIM_400000_NS6detail17trampoline_kernelINS0_14default_configENS1_25partition_config_selectorILNS1_17partition_subalgoE2EiNS0_10empty_typeEbEEZZNS1_14partition_implILS5_2ELb0ES3_jN6thrust23THRUST_200600_302600_NS6detail15normal_iteratorINSA_7pointerIiNSA_11hip_rocprim3tagENSA_11use_defaultESG_EEEEPS6_NSA_18transform_iteratorI7is_evenIiENSC_INSA_10device_ptrIiEEEESG_SG_EENS0_5tupleIJPiSJ_EEENSR_IJSJ_SJ_EEES6_PlJS6_EEE10hipError_tPvRmT3_T4_T5_T6_T7_T9_mT8_P12ihipStream_tbDpT10_ENKUlT_T0_E_clISt17integral_constantIbLb1EES1E_IbLb0EEEEDaS1A_S1B_EUlS1A_E_NS1_11comp_targetILNS1_3genE9ELNS1_11target_archE1100ELNS1_3gpuE3ELNS1_3repE0EEENS1_30default_config_static_selectorELNS0_4arch9wavefront6targetE1EEEvT1_,comdat
.Lfunc_end245:
	.size	_ZN7rocprim17ROCPRIM_400000_NS6detail17trampoline_kernelINS0_14default_configENS1_25partition_config_selectorILNS1_17partition_subalgoE2EiNS0_10empty_typeEbEEZZNS1_14partition_implILS5_2ELb0ES3_jN6thrust23THRUST_200600_302600_NS6detail15normal_iteratorINSA_7pointerIiNSA_11hip_rocprim3tagENSA_11use_defaultESG_EEEEPS6_NSA_18transform_iteratorI7is_evenIiENSC_INSA_10device_ptrIiEEEESG_SG_EENS0_5tupleIJPiSJ_EEENSR_IJSJ_SJ_EEES6_PlJS6_EEE10hipError_tPvRmT3_T4_T5_T6_T7_T9_mT8_P12ihipStream_tbDpT10_ENKUlT_T0_E_clISt17integral_constantIbLb1EES1E_IbLb0EEEEDaS1A_S1B_EUlS1A_E_NS1_11comp_targetILNS1_3genE9ELNS1_11target_archE1100ELNS1_3gpuE3ELNS1_3repE0EEENS1_30default_config_static_selectorELNS0_4arch9wavefront6targetE1EEEvT1_, .Lfunc_end245-_ZN7rocprim17ROCPRIM_400000_NS6detail17trampoline_kernelINS0_14default_configENS1_25partition_config_selectorILNS1_17partition_subalgoE2EiNS0_10empty_typeEbEEZZNS1_14partition_implILS5_2ELb0ES3_jN6thrust23THRUST_200600_302600_NS6detail15normal_iteratorINSA_7pointerIiNSA_11hip_rocprim3tagENSA_11use_defaultESG_EEEEPS6_NSA_18transform_iteratorI7is_evenIiENSC_INSA_10device_ptrIiEEEESG_SG_EENS0_5tupleIJPiSJ_EEENSR_IJSJ_SJ_EEES6_PlJS6_EEE10hipError_tPvRmT3_T4_T5_T6_T7_T9_mT8_P12ihipStream_tbDpT10_ENKUlT_T0_E_clISt17integral_constantIbLb1EES1E_IbLb0EEEEDaS1A_S1B_EUlS1A_E_NS1_11comp_targetILNS1_3genE9ELNS1_11target_archE1100ELNS1_3gpuE3ELNS1_3repE0EEENS1_30default_config_static_selectorELNS0_4arch9wavefront6targetE1EEEvT1_
                                        ; -- End function
	.section	.AMDGPU.csdata,"",@progbits
; Kernel info:
; codeLenInByte = 0
; NumSgprs: 6
; NumVgprs: 0
; NumAgprs: 0
; TotalNumVgprs: 0
; ScratchSize: 0
; MemoryBound: 0
; FloatMode: 240
; IeeeMode: 1
; LDSByteSize: 0 bytes/workgroup (compile time only)
; SGPRBlocks: 0
; VGPRBlocks: 0
; NumSGPRsForWavesPerEU: 6
; NumVGPRsForWavesPerEU: 1
; AccumOffset: 4
; Occupancy: 8
; WaveLimiterHint : 0
; COMPUTE_PGM_RSRC2:SCRATCH_EN: 0
; COMPUTE_PGM_RSRC2:USER_SGPR: 2
; COMPUTE_PGM_RSRC2:TRAP_HANDLER: 0
; COMPUTE_PGM_RSRC2:TGID_X_EN: 1
; COMPUTE_PGM_RSRC2:TGID_Y_EN: 0
; COMPUTE_PGM_RSRC2:TGID_Z_EN: 0
; COMPUTE_PGM_RSRC2:TIDIG_COMP_CNT: 0
; COMPUTE_PGM_RSRC3_GFX90A:ACCUM_OFFSET: 0
; COMPUTE_PGM_RSRC3_GFX90A:TG_SPLIT: 0
	.section	.text._ZN7rocprim17ROCPRIM_400000_NS6detail17trampoline_kernelINS0_14default_configENS1_25partition_config_selectorILNS1_17partition_subalgoE2EiNS0_10empty_typeEbEEZZNS1_14partition_implILS5_2ELb0ES3_jN6thrust23THRUST_200600_302600_NS6detail15normal_iteratorINSA_7pointerIiNSA_11hip_rocprim3tagENSA_11use_defaultESG_EEEEPS6_NSA_18transform_iteratorI7is_evenIiENSC_INSA_10device_ptrIiEEEESG_SG_EENS0_5tupleIJPiSJ_EEENSR_IJSJ_SJ_EEES6_PlJS6_EEE10hipError_tPvRmT3_T4_T5_T6_T7_T9_mT8_P12ihipStream_tbDpT10_ENKUlT_T0_E_clISt17integral_constantIbLb1EES1E_IbLb0EEEEDaS1A_S1B_EUlS1A_E_NS1_11comp_targetILNS1_3genE8ELNS1_11target_archE1030ELNS1_3gpuE2ELNS1_3repE0EEENS1_30default_config_static_selectorELNS0_4arch9wavefront6targetE1EEEvT1_,"axG",@progbits,_ZN7rocprim17ROCPRIM_400000_NS6detail17trampoline_kernelINS0_14default_configENS1_25partition_config_selectorILNS1_17partition_subalgoE2EiNS0_10empty_typeEbEEZZNS1_14partition_implILS5_2ELb0ES3_jN6thrust23THRUST_200600_302600_NS6detail15normal_iteratorINSA_7pointerIiNSA_11hip_rocprim3tagENSA_11use_defaultESG_EEEEPS6_NSA_18transform_iteratorI7is_evenIiENSC_INSA_10device_ptrIiEEEESG_SG_EENS0_5tupleIJPiSJ_EEENSR_IJSJ_SJ_EEES6_PlJS6_EEE10hipError_tPvRmT3_T4_T5_T6_T7_T9_mT8_P12ihipStream_tbDpT10_ENKUlT_T0_E_clISt17integral_constantIbLb1EES1E_IbLb0EEEEDaS1A_S1B_EUlS1A_E_NS1_11comp_targetILNS1_3genE8ELNS1_11target_archE1030ELNS1_3gpuE2ELNS1_3repE0EEENS1_30default_config_static_selectorELNS0_4arch9wavefront6targetE1EEEvT1_,comdat
	.protected	_ZN7rocprim17ROCPRIM_400000_NS6detail17trampoline_kernelINS0_14default_configENS1_25partition_config_selectorILNS1_17partition_subalgoE2EiNS0_10empty_typeEbEEZZNS1_14partition_implILS5_2ELb0ES3_jN6thrust23THRUST_200600_302600_NS6detail15normal_iteratorINSA_7pointerIiNSA_11hip_rocprim3tagENSA_11use_defaultESG_EEEEPS6_NSA_18transform_iteratorI7is_evenIiENSC_INSA_10device_ptrIiEEEESG_SG_EENS0_5tupleIJPiSJ_EEENSR_IJSJ_SJ_EEES6_PlJS6_EEE10hipError_tPvRmT3_T4_T5_T6_T7_T9_mT8_P12ihipStream_tbDpT10_ENKUlT_T0_E_clISt17integral_constantIbLb1EES1E_IbLb0EEEEDaS1A_S1B_EUlS1A_E_NS1_11comp_targetILNS1_3genE8ELNS1_11target_archE1030ELNS1_3gpuE2ELNS1_3repE0EEENS1_30default_config_static_selectorELNS0_4arch9wavefront6targetE1EEEvT1_ ; -- Begin function _ZN7rocprim17ROCPRIM_400000_NS6detail17trampoline_kernelINS0_14default_configENS1_25partition_config_selectorILNS1_17partition_subalgoE2EiNS0_10empty_typeEbEEZZNS1_14partition_implILS5_2ELb0ES3_jN6thrust23THRUST_200600_302600_NS6detail15normal_iteratorINSA_7pointerIiNSA_11hip_rocprim3tagENSA_11use_defaultESG_EEEEPS6_NSA_18transform_iteratorI7is_evenIiENSC_INSA_10device_ptrIiEEEESG_SG_EENS0_5tupleIJPiSJ_EEENSR_IJSJ_SJ_EEES6_PlJS6_EEE10hipError_tPvRmT3_T4_T5_T6_T7_T9_mT8_P12ihipStream_tbDpT10_ENKUlT_T0_E_clISt17integral_constantIbLb1EES1E_IbLb0EEEEDaS1A_S1B_EUlS1A_E_NS1_11comp_targetILNS1_3genE8ELNS1_11target_archE1030ELNS1_3gpuE2ELNS1_3repE0EEENS1_30default_config_static_selectorELNS0_4arch9wavefront6targetE1EEEvT1_
	.globl	_ZN7rocprim17ROCPRIM_400000_NS6detail17trampoline_kernelINS0_14default_configENS1_25partition_config_selectorILNS1_17partition_subalgoE2EiNS0_10empty_typeEbEEZZNS1_14partition_implILS5_2ELb0ES3_jN6thrust23THRUST_200600_302600_NS6detail15normal_iteratorINSA_7pointerIiNSA_11hip_rocprim3tagENSA_11use_defaultESG_EEEEPS6_NSA_18transform_iteratorI7is_evenIiENSC_INSA_10device_ptrIiEEEESG_SG_EENS0_5tupleIJPiSJ_EEENSR_IJSJ_SJ_EEES6_PlJS6_EEE10hipError_tPvRmT3_T4_T5_T6_T7_T9_mT8_P12ihipStream_tbDpT10_ENKUlT_T0_E_clISt17integral_constantIbLb1EES1E_IbLb0EEEEDaS1A_S1B_EUlS1A_E_NS1_11comp_targetILNS1_3genE8ELNS1_11target_archE1030ELNS1_3gpuE2ELNS1_3repE0EEENS1_30default_config_static_selectorELNS0_4arch9wavefront6targetE1EEEvT1_
	.p2align	8
	.type	_ZN7rocprim17ROCPRIM_400000_NS6detail17trampoline_kernelINS0_14default_configENS1_25partition_config_selectorILNS1_17partition_subalgoE2EiNS0_10empty_typeEbEEZZNS1_14partition_implILS5_2ELb0ES3_jN6thrust23THRUST_200600_302600_NS6detail15normal_iteratorINSA_7pointerIiNSA_11hip_rocprim3tagENSA_11use_defaultESG_EEEEPS6_NSA_18transform_iteratorI7is_evenIiENSC_INSA_10device_ptrIiEEEESG_SG_EENS0_5tupleIJPiSJ_EEENSR_IJSJ_SJ_EEES6_PlJS6_EEE10hipError_tPvRmT3_T4_T5_T6_T7_T9_mT8_P12ihipStream_tbDpT10_ENKUlT_T0_E_clISt17integral_constantIbLb1EES1E_IbLb0EEEEDaS1A_S1B_EUlS1A_E_NS1_11comp_targetILNS1_3genE8ELNS1_11target_archE1030ELNS1_3gpuE2ELNS1_3repE0EEENS1_30default_config_static_selectorELNS0_4arch9wavefront6targetE1EEEvT1_,@function
_ZN7rocprim17ROCPRIM_400000_NS6detail17trampoline_kernelINS0_14default_configENS1_25partition_config_selectorILNS1_17partition_subalgoE2EiNS0_10empty_typeEbEEZZNS1_14partition_implILS5_2ELb0ES3_jN6thrust23THRUST_200600_302600_NS6detail15normal_iteratorINSA_7pointerIiNSA_11hip_rocprim3tagENSA_11use_defaultESG_EEEEPS6_NSA_18transform_iteratorI7is_evenIiENSC_INSA_10device_ptrIiEEEESG_SG_EENS0_5tupleIJPiSJ_EEENSR_IJSJ_SJ_EEES6_PlJS6_EEE10hipError_tPvRmT3_T4_T5_T6_T7_T9_mT8_P12ihipStream_tbDpT10_ENKUlT_T0_E_clISt17integral_constantIbLb1EES1E_IbLb0EEEEDaS1A_S1B_EUlS1A_E_NS1_11comp_targetILNS1_3genE8ELNS1_11target_archE1030ELNS1_3gpuE2ELNS1_3repE0EEENS1_30default_config_static_selectorELNS0_4arch9wavefront6targetE1EEEvT1_: ; @_ZN7rocprim17ROCPRIM_400000_NS6detail17trampoline_kernelINS0_14default_configENS1_25partition_config_selectorILNS1_17partition_subalgoE2EiNS0_10empty_typeEbEEZZNS1_14partition_implILS5_2ELb0ES3_jN6thrust23THRUST_200600_302600_NS6detail15normal_iteratorINSA_7pointerIiNSA_11hip_rocprim3tagENSA_11use_defaultESG_EEEEPS6_NSA_18transform_iteratorI7is_evenIiENSC_INSA_10device_ptrIiEEEESG_SG_EENS0_5tupleIJPiSJ_EEENSR_IJSJ_SJ_EEES6_PlJS6_EEE10hipError_tPvRmT3_T4_T5_T6_T7_T9_mT8_P12ihipStream_tbDpT10_ENKUlT_T0_E_clISt17integral_constantIbLb1EES1E_IbLb0EEEEDaS1A_S1B_EUlS1A_E_NS1_11comp_targetILNS1_3genE8ELNS1_11target_archE1030ELNS1_3gpuE2ELNS1_3repE0EEENS1_30default_config_static_selectorELNS0_4arch9wavefront6targetE1EEEvT1_
; %bb.0:
	.section	.rodata,"a",@progbits
	.p2align	6, 0x0
	.amdhsa_kernel _ZN7rocprim17ROCPRIM_400000_NS6detail17trampoline_kernelINS0_14default_configENS1_25partition_config_selectorILNS1_17partition_subalgoE2EiNS0_10empty_typeEbEEZZNS1_14partition_implILS5_2ELb0ES3_jN6thrust23THRUST_200600_302600_NS6detail15normal_iteratorINSA_7pointerIiNSA_11hip_rocprim3tagENSA_11use_defaultESG_EEEEPS6_NSA_18transform_iteratorI7is_evenIiENSC_INSA_10device_ptrIiEEEESG_SG_EENS0_5tupleIJPiSJ_EEENSR_IJSJ_SJ_EEES6_PlJS6_EEE10hipError_tPvRmT3_T4_T5_T6_T7_T9_mT8_P12ihipStream_tbDpT10_ENKUlT_T0_E_clISt17integral_constantIbLb1EES1E_IbLb0EEEEDaS1A_S1B_EUlS1A_E_NS1_11comp_targetILNS1_3genE8ELNS1_11target_archE1030ELNS1_3gpuE2ELNS1_3repE0EEENS1_30default_config_static_selectorELNS0_4arch9wavefront6targetE1EEEvT1_
		.amdhsa_group_segment_fixed_size 0
		.amdhsa_private_segment_fixed_size 0
		.amdhsa_kernarg_size 128
		.amdhsa_user_sgpr_count 2
		.amdhsa_user_sgpr_dispatch_ptr 0
		.amdhsa_user_sgpr_queue_ptr 0
		.amdhsa_user_sgpr_kernarg_segment_ptr 1
		.amdhsa_user_sgpr_dispatch_id 0
		.amdhsa_user_sgpr_kernarg_preload_length 0
		.amdhsa_user_sgpr_kernarg_preload_offset 0
		.amdhsa_user_sgpr_private_segment_size 0
		.amdhsa_uses_dynamic_stack 0
		.amdhsa_enable_private_segment 0
		.amdhsa_system_sgpr_workgroup_id_x 1
		.amdhsa_system_sgpr_workgroup_id_y 0
		.amdhsa_system_sgpr_workgroup_id_z 0
		.amdhsa_system_sgpr_workgroup_info 0
		.amdhsa_system_vgpr_workitem_id 0
		.amdhsa_next_free_vgpr 1
		.amdhsa_next_free_sgpr 0
		.amdhsa_accum_offset 4
		.amdhsa_reserve_vcc 0
		.amdhsa_float_round_mode_32 0
		.amdhsa_float_round_mode_16_64 0
		.amdhsa_float_denorm_mode_32 3
		.amdhsa_float_denorm_mode_16_64 3
		.amdhsa_dx10_clamp 1
		.amdhsa_ieee_mode 1
		.amdhsa_fp16_overflow 0
		.amdhsa_tg_split 0
		.amdhsa_exception_fp_ieee_invalid_op 0
		.amdhsa_exception_fp_denorm_src 0
		.amdhsa_exception_fp_ieee_div_zero 0
		.amdhsa_exception_fp_ieee_overflow 0
		.amdhsa_exception_fp_ieee_underflow 0
		.amdhsa_exception_fp_ieee_inexact 0
		.amdhsa_exception_int_div_zero 0
	.end_amdhsa_kernel
	.section	.text._ZN7rocprim17ROCPRIM_400000_NS6detail17trampoline_kernelINS0_14default_configENS1_25partition_config_selectorILNS1_17partition_subalgoE2EiNS0_10empty_typeEbEEZZNS1_14partition_implILS5_2ELb0ES3_jN6thrust23THRUST_200600_302600_NS6detail15normal_iteratorINSA_7pointerIiNSA_11hip_rocprim3tagENSA_11use_defaultESG_EEEEPS6_NSA_18transform_iteratorI7is_evenIiENSC_INSA_10device_ptrIiEEEESG_SG_EENS0_5tupleIJPiSJ_EEENSR_IJSJ_SJ_EEES6_PlJS6_EEE10hipError_tPvRmT3_T4_T5_T6_T7_T9_mT8_P12ihipStream_tbDpT10_ENKUlT_T0_E_clISt17integral_constantIbLb1EES1E_IbLb0EEEEDaS1A_S1B_EUlS1A_E_NS1_11comp_targetILNS1_3genE8ELNS1_11target_archE1030ELNS1_3gpuE2ELNS1_3repE0EEENS1_30default_config_static_selectorELNS0_4arch9wavefront6targetE1EEEvT1_,"axG",@progbits,_ZN7rocprim17ROCPRIM_400000_NS6detail17trampoline_kernelINS0_14default_configENS1_25partition_config_selectorILNS1_17partition_subalgoE2EiNS0_10empty_typeEbEEZZNS1_14partition_implILS5_2ELb0ES3_jN6thrust23THRUST_200600_302600_NS6detail15normal_iteratorINSA_7pointerIiNSA_11hip_rocprim3tagENSA_11use_defaultESG_EEEEPS6_NSA_18transform_iteratorI7is_evenIiENSC_INSA_10device_ptrIiEEEESG_SG_EENS0_5tupleIJPiSJ_EEENSR_IJSJ_SJ_EEES6_PlJS6_EEE10hipError_tPvRmT3_T4_T5_T6_T7_T9_mT8_P12ihipStream_tbDpT10_ENKUlT_T0_E_clISt17integral_constantIbLb1EES1E_IbLb0EEEEDaS1A_S1B_EUlS1A_E_NS1_11comp_targetILNS1_3genE8ELNS1_11target_archE1030ELNS1_3gpuE2ELNS1_3repE0EEENS1_30default_config_static_selectorELNS0_4arch9wavefront6targetE1EEEvT1_,comdat
.Lfunc_end246:
	.size	_ZN7rocprim17ROCPRIM_400000_NS6detail17trampoline_kernelINS0_14default_configENS1_25partition_config_selectorILNS1_17partition_subalgoE2EiNS0_10empty_typeEbEEZZNS1_14partition_implILS5_2ELb0ES3_jN6thrust23THRUST_200600_302600_NS6detail15normal_iteratorINSA_7pointerIiNSA_11hip_rocprim3tagENSA_11use_defaultESG_EEEEPS6_NSA_18transform_iteratorI7is_evenIiENSC_INSA_10device_ptrIiEEEESG_SG_EENS0_5tupleIJPiSJ_EEENSR_IJSJ_SJ_EEES6_PlJS6_EEE10hipError_tPvRmT3_T4_T5_T6_T7_T9_mT8_P12ihipStream_tbDpT10_ENKUlT_T0_E_clISt17integral_constantIbLb1EES1E_IbLb0EEEEDaS1A_S1B_EUlS1A_E_NS1_11comp_targetILNS1_3genE8ELNS1_11target_archE1030ELNS1_3gpuE2ELNS1_3repE0EEENS1_30default_config_static_selectorELNS0_4arch9wavefront6targetE1EEEvT1_, .Lfunc_end246-_ZN7rocprim17ROCPRIM_400000_NS6detail17trampoline_kernelINS0_14default_configENS1_25partition_config_selectorILNS1_17partition_subalgoE2EiNS0_10empty_typeEbEEZZNS1_14partition_implILS5_2ELb0ES3_jN6thrust23THRUST_200600_302600_NS6detail15normal_iteratorINSA_7pointerIiNSA_11hip_rocprim3tagENSA_11use_defaultESG_EEEEPS6_NSA_18transform_iteratorI7is_evenIiENSC_INSA_10device_ptrIiEEEESG_SG_EENS0_5tupleIJPiSJ_EEENSR_IJSJ_SJ_EEES6_PlJS6_EEE10hipError_tPvRmT3_T4_T5_T6_T7_T9_mT8_P12ihipStream_tbDpT10_ENKUlT_T0_E_clISt17integral_constantIbLb1EES1E_IbLb0EEEEDaS1A_S1B_EUlS1A_E_NS1_11comp_targetILNS1_3genE8ELNS1_11target_archE1030ELNS1_3gpuE2ELNS1_3repE0EEENS1_30default_config_static_selectorELNS0_4arch9wavefront6targetE1EEEvT1_
                                        ; -- End function
	.section	.AMDGPU.csdata,"",@progbits
; Kernel info:
; codeLenInByte = 0
; NumSgprs: 6
; NumVgprs: 0
; NumAgprs: 0
; TotalNumVgprs: 0
; ScratchSize: 0
; MemoryBound: 0
; FloatMode: 240
; IeeeMode: 1
; LDSByteSize: 0 bytes/workgroup (compile time only)
; SGPRBlocks: 0
; VGPRBlocks: 0
; NumSGPRsForWavesPerEU: 6
; NumVGPRsForWavesPerEU: 1
; AccumOffset: 4
; Occupancy: 8
; WaveLimiterHint : 0
; COMPUTE_PGM_RSRC2:SCRATCH_EN: 0
; COMPUTE_PGM_RSRC2:USER_SGPR: 2
; COMPUTE_PGM_RSRC2:TRAP_HANDLER: 0
; COMPUTE_PGM_RSRC2:TGID_X_EN: 1
; COMPUTE_PGM_RSRC2:TGID_Y_EN: 0
; COMPUTE_PGM_RSRC2:TGID_Z_EN: 0
; COMPUTE_PGM_RSRC2:TIDIG_COMP_CNT: 0
; COMPUTE_PGM_RSRC3_GFX90A:ACCUM_OFFSET: 0
; COMPUTE_PGM_RSRC3_GFX90A:TG_SPLIT: 0
	.section	.text._ZN7rocprim17ROCPRIM_400000_NS6detail17trampoline_kernelINS0_14default_configENS1_25partition_config_selectorILNS1_17partition_subalgoE2EiNS0_10empty_typeEbEEZZNS1_14partition_implILS5_2ELb0ES3_jN6thrust23THRUST_200600_302600_NS6detail15normal_iteratorINSA_7pointerIiNSA_11hip_rocprim3tagENSA_11use_defaultESG_EEEEPS6_NSA_18transform_iteratorI7is_evenIiENSC_INSA_10device_ptrIiEEEESG_SG_EENS0_5tupleIJPiSJ_EEENSR_IJSJ_SJ_EEES6_PlJS6_EEE10hipError_tPvRmT3_T4_T5_T6_T7_T9_mT8_P12ihipStream_tbDpT10_ENKUlT_T0_E_clISt17integral_constantIbLb0EES1E_IbLb1EEEEDaS1A_S1B_EUlS1A_E_NS1_11comp_targetILNS1_3genE0ELNS1_11target_archE4294967295ELNS1_3gpuE0ELNS1_3repE0EEENS1_30default_config_static_selectorELNS0_4arch9wavefront6targetE1EEEvT1_,"axG",@progbits,_ZN7rocprim17ROCPRIM_400000_NS6detail17trampoline_kernelINS0_14default_configENS1_25partition_config_selectorILNS1_17partition_subalgoE2EiNS0_10empty_typeEbEEZZNS1_14partition_implILS5_2ELb0ES3_jN6thrust23THRUST_200600_302600_NS6detail15normal_iteratorINSA_7pointerIiNSA_11hip_rocprim3tagENSA_11use_defaultESG_EEEEPS6_NSA_18transform_iteratorI7is_evenIiENSC_INSA_10device_ptrIiEEEESG_SG_EENS0_5tupleIJPiSJ_EEENSR_IJSJ_SJ_EEES6_PlJS6_EEE10hipError_tPvRmT3_T4_T5_T6_T7_T9_mT8_P12ihipStream_tbDpT10_ENKUlT_T0_E_clISt17integral_constantIbLb0EES1E_IbLb1EEEEDaS1A_S1B_EUlS1A_E_NS1_11comp_targetILNS1_3genE0ELNS1_11target_archE4294967295ELNS1_3gpuE0ELNS1_3repE0EEENS1_30default_config_static_selectorELNS0_4arch9wavefront6targetE1EEEvT1_,comdat
	.protected	_ZN7rocprim17ROCPRIM_400000_NS6detail17trampoline_kernelINS0_14default_configENS1_25partition_config_selectorILNS1_17partition_subalgoE2EiNS0_10empty_typeEbEEZZNS1_14partition_implILS5_2ELb0ES3_jN6thrust23THRUST_200600_302600_NS6detail15normal_iteratorINSA_7pointerIiNSA_11hip_rocprim3tagENSA_11use_defaultESG_EEEEPS6_NSA_18transform_iteratorI7is_evenIiENSC_INSA_10device_ptrIiEEEESG_SG_EENS0_5tupleIJPiSJ_EEENSR_IJSJ_SJ_EEES6_PlJS6_EEE10hipError_tPvRmT3_T4_T5_T6_T7_T9_mT8_P12ihipStream_tbDpT10_ENKUlT_T0_E_clISt17integral_constantIbLb0EES1E_IbLb1EEEEDaS1A_S1B_EUlS1A_E_NS1_11comp_targetILNS1_3genE0ELNS1_11target_archE4294967295ELNS1_3gpuE0ELNS1_3repE0EEENS1_30default_config_static_selectorELNS0_4arch9wavefront6targetE1EEEvT1_ ; -- Begin function _ZN7rocprim17ROCPRIM_400000_NS6detail17trampoline_kernelINS0_14default_configENS1_25partition_config_selectorILNS1_17partition_subalgoE2EiNS0_10empty_typeEbEEZZNS1_14partition_implILS5_2ELb0ES3_jN6thrust23THRUST_200600_302600_NS6detail15normal_iteratorINSA_7pointerIiNSA_11hip_rocprim3tagENSA_11use_defaultESG_EEEEPS6_NSA_18transform_iteratorI7is_evenIiENSC_INSA_10device_ptrIiEEEESG_SG_EENS0_5tupleIJPiSJ_EEENSR_IJSJ_SJ_EEES6_PlJS6_EEE10hipError_tPvRmT3_T4_T5_T6_T7_T9_mT8_P12ihipStream_tbDpT10_ENKUlT_T0_E_clISt17integral_constantIbLb0EES1E_IbLb1EEEEDaS1A_S1B_EUlS1A_E_NS1_11comp_targetILNS1_3genE0ELNS1_11target_archE4294967295ELNS1_3gpuE0ELNS1_3repE0EEENS1_30default_config_static_selectorELNS0_4arch9wavefront6targetE1EEEvT1_
	.globl	_ZN7rocprim17ROCPRIM_400000_NS6detail17trampoline_kernelINS0_14default_configENS1_25partition_config_selectorILNS1_17partition_subalgoE2EiNS0_10empty_typeEbEEZZNS1_14partition_implILS5_2ELb0ES3_jN6thrust23THRUST_200600_302600_NS6detail15normal_iteratorINSA_7pointerIiNSA_11hip_rocprim3tagENSA_11use_defaultESG_EEEEPS6_NSA_18transform_iteratorI7is_evenIiENSC_INSA_10device_ptrIiEEEESG_SG_EENS0_5tupleIJPiSJ_EEENSR_IJSJ_SJ_EEES6_PlJS6_EEE10hipError_tPvRmT3_T4_T5_T6_T7_T9_mT8_P12ihipStream_tbDpT10_ENKUlT_T0_E_clISt17integral_constantIbLb0EES1E_IbLb1EEEEDaS1A_S1B_EUlS1A_E_NS1_11comp_targetILNS1_3genE0ELNS1_11target_archE4294967295ELNS1_3gpuE0ELNS1_3repE0EEENS1_30default_config_static_selectorELNS0_4arch9wavefront6targetE1EEEvT1_
	.p2align	8
	.type	_ZN7rocprim17ROCPRIM_400000_NS6detail17trampoline_kernelINS0_14default_configENS1_25partition_config_selectorILNS1_17partition_subalgoE2EiNS0_10empty_typeEbEEZZNS1_14partition_implILS5_2ELb0ES3_jN6thrust23THRUST_200600_302600_NS6detail15normal_iteratorINSA_7pointerIiNSA_11hip_rocprim3tagENSA_11use_defaultESG_EEEEPS6_NSA_18transform_iteratorI7is_evenIiENSC_INSA_10device_ptrIiEEEESG_SG_EENS0_5tupleIJPiSJ_EEENSR_IJSJ_SJ_EEES6_PlJS6_EEE10hipError_tPvRmT3_T4_T5_T6_T7_T9_mT8_P12ihipStream_tbDpT10_ENKUlT_T0_E_clISt17integral_constantIbLb0EES1E_IbLb1EEEEDaS1A_S1B_EUlS1A_E_NS1_11comp_targetILNS1_3genE0ELNS1_11target_archE4294967295ELNS1_3gpuE0ELNS1_3repE0EEENS1_30default_config_static_selectorELNS0_4arch9wavefront6targetE1EEEvT1_,@function
_ZN7rocprim17ROCPRIM_400000_NS6detail17trampoline_kernelINS0_14default_configENS1_25partition_config_selectorILNS1_17partition_subalgoE2EiNS0_10empty_typeEbEEZZNS1_14partition_implILS5_2ELb0ES3_jN6thrust23THRUST_200600_302600_NS6detail15normal_iteratorINSA_7pointerIiNSA_11hip_rocprim3tagENSA_11use_defaultESG_EEEEPS6_NSA_18transform_iteratorI7is_evenIiENSC_INSA_10device_ptrIiEEEESG_SG_EENS0_5tupleIJPiSJ_EEENSR_IJSJ_SJ_EEES6_PlJS6_EEE10hipError_tPvRmT3_T4_T5_T6_T7_T9_mT8_P12ihipStream_tbDpT10_ENKUlT_T0_E_clISt17integral_constantIbLb0EES1E_IbLb1EEEEDaS1A_S1B_EUlS1A_E_NS1_11comp_targetILNS1_3genE0ELNS1_11target_archE4294967295ELNS1_3gpuE0ELNS1_3repE0EEENS1_30default_config_static_selectorELNS0_4arch9wavefront6targetE1EEEvT1_: ; @_ZN7rocprim17ROCPRIM_400000_NS6detail17trampoline_kernelINS0_14default_configENS1_25partition_config_selectorILNS1_17partition_subalgoE2EiNS0_10empty_typeEbEEZZNS1_14partition_implILS5_2ELb0ES3_jN6thrust23THRUST_200600_302600_NS6detail15normal_iteratorINSA_7pointerIiNSA_11hip_rocprim3tagENSA_11use_defaultESG_EEEEPS6_NSA_18transform_iteratorI7is_evenIiENSC_INSA_10device_ptrIiEEEESG_SG_EENS0_5tupleIJPiSJ_EEENSR_IJSJ_SJ_EEES6_PlJS6_EEE10hipError_tPvRmT3_T4_T5_T6_T7_T9_mT8_P12ihipStream_tbDpT10_ENKUlT_T0_E_clISt17integral_constantIbLb0EES1E_IbLb1EEEEDaS1A_S1B_EUlS1A_E_NS1_11comp_targetILNS1_3genE0ELNS1_11target_archE4294967295ELNS1_3gpuE0ELNS1_3repE0EEENS1_30default_config_static_selectorELNS0_4arch9wavefront6targetE1EEEvT1_
; %bb.0:
	.section	.rodata,"a",@progbits
	.p2align	6, 0x0
	.amdhsa_kernel _ZN7rocprim17ROCPRIM_400000_NS6detail17trampoline_kernelINS0_14default_configENS1_25partition_config_selectorILNS1_17partition_subalgoE2EiNS0_10empty_typeEbEEZZNS1_14partition_implILS5_2ELb0ES3_jN6thrust23THRUST_200600_302600_NS6detail15normal_iteratorINSA_7pointerIiNSA_11hip_rocprim3tagENSA_11use_defaultESG_EEEEPS6_NSA_18transform_iteratorI7is_evenIiENSC_INSA_10device_ptrIiEEEESG_SG_EENS0_5tupleIJPiSJ_EEENSR_IJSJ_SJ_EEES6_PlJS6_EEE10hipError_tPvRmT3_T4_T5_T6_T7_T9_mT8_P12ihipStream_tbDpT10_ENKUlT_T0_E_clISt17integral_constantIbLb0EES1E_IbLb1EEEEDaS1A_S1B_EUlS1A_E_NS1_11comp_targetILNS1_3genE0ELNS1_11target_archE4294967295ELNS1_3gpuE0ELNS1_3repE0EEENS1_30default_config_static_selectorELNS0_4arch9wavefront6targetE1EEEvT1_
		.amdhsa_group_segment_fixed_size 0
		.amdhsa_private_segment_fixed_size 0
		.amdhsa_kernarg_size 144
		.amdhsa_user_sgpr_count 2
		.amdhsa_user_sgpr_dispatch_ptr 0
		.amdhsa_user_sgpr_queue_ptr 0
		.amdhsa_user_sgpr_kernarg_segment_ptr 1
		.amdhsa_user_sgpr_dispatch_id 0
		.amdhsa_user_sgpr_kernarg_preload_length 0
		.amdhsa_user_sgpr_kernarg_preload_offset 0
		.amdhsa_user_sgpr_private_segment_size 0
		.amdhsa_uses_dynamic_stack 0
		.amdhsa_enable_private_segment 0
		.amdhsa_system_sgpr_workgroup_id_x 1
		.amdhsa_system_sgpr_workgroup_id_y 0
		.amdhsa_system_sgpr_workgroup_id_z 0
		.amdhsa_system_sgpr_workgroup_info 0
		.amdhsa_system_vgpr_workitem_id 0
		.amdhsa_next_free_vgpr 1
		.amdhsa_next_free_sgpr 0
		.amdhsa_accum_offset 4
		.amdhsa_reserve_vcc 0
		.amdhsa_float_round_mode_32 0
		.amdhsa_float_round_mode_16_64 0
		.amdhsa_float_denorm_mode_32 3
		.amdhsa_float_denorm_mode_16_64 3
		.amdhsa_dx10_clamp 1
		.amdhsa_ieee_mode 1
		.amdhsa_fp16_overflow 0
		.amdhsa_tg_split 0
		.amdhsa_exception_fp_ieee_invalid_op 0
		.amdhsa_exception_fp_denorm_src 0
		.amdhsa_exception_fp_ieee_div_zero 0
		.amdhsa_exception_fp_ieee_overflow 0
		.amdhsa_exception_fp_ieee_underflow 0
		.amdhsa_exception_fp_ieee_inexact 0
		.amdhsa_exception_int_div_zero 0
	.end_amdhsa_kernel
	.section	.text._ZN7rocprim17ROCPRIM_400000_NS6detail17trampoline_kernelINS0_14default_configENS1_25partition_config_selectorILNS1_17partition_subalgoE2EiNS0_10empty_typeEbEEZZNS1_14partition_implILS5_2ELb0ES3_jN6thrust23THRUST_200600_302600_NS6detail15normal_iteratorINSA_7pointerIiNSA_11hip_rocprim3tagENSA_11use_defaultESG_EEEEPS6_NSA_18transform_iteratorI7is_evenIiENSC_INSA_10device_ptrIiEEEESG_SG_EENS0_5tupleIJPiSJ_EEENSR_IJSJ_SJ_EEES6_PlJS6_EEE10hipError_tPvRmT3_T4_T5_T6_T7_T9_mT8_P12ihipStream_tbDpT10_ENKUlT_T0_E_clISt17integral_constantIbLb0EES1E_IbLb1EEEEDaS1A_S1B_EUlS1A_E_NS1_11comp_targetILNS1_3genE0ELNS1_11target_archE4294967295ELNS1_3gpuE0ELNS1_3repE0EEENS1_30default_config_static_selectorELNS0_4arch9wavefront6targetE1EEEvT1_,"axG",@progbits,_ZN7rocprim17ROCPRIM_400000_NS6detail17trampoline_kernelINS0_14default_configENS1_25partition_config_selectorILNS1_17partition_subalgoE2EiNS0_10empty_typeEbEEZZNS1_14partition_implILS5_2ELb0ES3_jN6thrust23THRUST_200600_302600_NS6detail15normal_iteratorINSA_7pointerIiNSA_11hip_rocprim3tagENSA_11use_defaultESG_EEEEPS6_NSA_18transform_iteratorI7is_evenIiENSC_INSA_10device_ptrIiEEEESG_SG_EENS0_5tupleIJPiSJ_EEENSR_IJSJ_SJ_EEES6_PlJS6_EEE10hipError_tPvRmT3_T4_T5_T6_T7_T9_mT8_P12ihipStream_tbDpT10_ENKUlT_T0_E_clISt17integral_constantIbLb0EES1E_IbLb1EEEEDaS1A_S1B_EUlS1A_E_NS1_11comp_targetILNS1_3genE0ELNS1_11target_archE4294967295ELNS1_3gpuE0ELNS1_3repE0EEENS1_30default_config_static_selectorELNS0_4arch9wavefront6targetE1EEEvT1_,comdat
.Lfunc_end247:
	.size	_ZN7rocprim17ROCPRIM_400000_NS6detail17trampoline_kernelINS0_14default_configENS1_25partition_config_selectorILNS1_17partition_subalgoE2EiNS0_10empty_typeEbEEZZNS1_14partition_implILS5_2ELb0ES3_jN6thrust23THRUST_200600_302600_NS6detail15normal_iteratorINSA_7pointerIiNSA_11hip_rocprim3tagENSA_11use_defaultESG_EEEEPS6_NSA_18transform_iteratorI7is_evenIiENSC_INSA_10device_ptrIiEEEESG_SG_EENS0_5tupleIJPiSJ_EEENSR_IJSJ_SJ_EEES6_PlJS6_EEE10hipError_tPvRmT3_T4_T5_T6_T7_T9_mT8_P12ihipStream_tbDpT10_ENKUlT_T0_E_clISt17integral_constantIbLb0EES1E_IbLb1EEEEDaS1A_S1B_EUlS1A_E_NS1_11comp_targetILNS1_3genE0ELNS1_11target_archE4294967295ELNS1_3gpuE0ELNS1_3repE0EEENS1_30default_config_static_selectorELNS0_4arch9wavefront6targetE1EEEvT1_, .Lfunc_end247-_ZN7rocprim17ROCPRIM_400000_NS6detail17trampoline_kernelINS0_14default_configENS1_25partition_config_selectorILNS1_17partition_subalgoE2EiNS0_10empty_typeEbEEZZNS1_14partition_implILS5_2ELb0ES3_jN6thrust23THRUST_200600_302600_NS6detail15normal_iteratorINSA_7pointerIiNSA_11hip_rocprim3tagENSA_11use_defaultESG_EEEEPS6_NSA_18transform_iteratorI7is_evenIiENSC_INSA_10device_ptrIiEEEESG_SG_EENS0_5tupleIJPiSJ_EEENSR_IJSJ_SJ_EEES6_PlJS6_EEE10hipError_tPvRmT3_T4_T5_T6_T7_T9_mT8_P12ihipStream_tbDpT10_ENKUlT_T0_E_clISt17integral_constantIbLb0EES1E_IbLb1EEEEDaS1A_S1B_EUlS1A_E_NS1_11comp_targetILNS1_3genE0ELNS1_11target_archE4294967295ELNS1_3gpuE0ELNS1_3repE0EEENS1_30default_config_static_selectorELNS0_4arch9wavefront6targetE1EEEvT1_
                                        ; -- End function
	.section	.AMDGPU.csdata,"",@progbits
; Kernel info:
; codeLenInByte = 0
; NumSgprs: 6
; NumVgprs: 0
; NumAgprs: 0
; TotalNumVgprs: 0
; ScratchSize: 0
; MemoryBound: 0
; FloatMode: 240
; IeeeMode: 1
; LDSByteSize: 0 bytes/workgroup (compile time only)
; SGPRBlocks: 0
; VGPRBlocks: 0
; NumSGPRsForWavesPerEU: 6
; NumVGPRsForWavesPerEU: 1
; AccumOffset: 4
; Occupancy: 8
; WaveLimiterHint : 0
; COMPUTE_PGM_RSRC2:SCRATCH_EN: 0
; COMPUTE_PGM_RSRC2:USER_SGPR: 2
; COMPUTE_PGM_RSRC2:TRAP_HANDLER: 0
; COMPUTE_PGM_RSRC2:TGID_X_EN: 1
; COMPUTE_PGM_RSRC2:TGID_Y_EN: 0
; COMPUTE_PGM_RSRC2:TGID_Z_EN: 0
; COMPUTE_PGM_RSRC2:TIDIG_COMP_CNT: 0
; COMPUTE_PGM_RSRC3_GFX90A:ACCUM_OFFSET: 0
; COMPUTE_PGM_RSRC3_GFX90A:TG_SPLIT: 0
	.section	.text._ZN7rocprim17ROCPRIM_400000_NS6detail17trampoline_kernelINS0_14default_configENS1_25partition_config_selectorILNS1_17partition_subalgoE2EiNS0_10empty_typeEbEEZZNS1_14partition_implILS5_2ELb0ES3_jN6thrust23THRUST_200600_302600_NS6detail15normal_iteratorINSA_7pointerIiNSA_11hip_rocprim3tagENSA_11use_defaultESG_EEEEPS6_NSA_18transform_iteratorI7is_evenIiENSC_INSA_10device_ptrIiEEEESG_SG_EENS0_5tupleIJPiSJ_EEENSR_IJSJ_SJ_EEES6_PlJS6_EEE10hipError_tPvRmT3_T4_T5_T6_T7_T9_mT8_P12ihipStream_tbDpT10_ENKUlT_T0_E_clISt17integral_constantIbLb0EES1E_IbLb1EEEEDaS1A_S1B_EUlS1A_E_NS1_11comp_targetILNS1_3genE5ELNS1_11target_archE942ELNS1_3gpuE9ELNS1_3repE0EEENS1_30default_config_static_selectorELNS0_4arch9wavefront6targetE1EEEvT1_,"axG",@progbits,_ZN7rocprim17ROCPRIM_400000_NS6detail17trampoline_kernelINS0_14default_configENS1_25partition_config_selectorILNS1_17partition_subalgoE2EiNS0_10empty_typeEbEEZZNS1_14partition_implILS5_2ELb0ES3_jN6thrust23THRUST_200600_302600_NS6detail15normal_iteratorINSA_7pointerIiNSA_11hip_rocprim3tagENSA_11use_defaultESG_EEEEPS6_NSA_18transform_iteratorI7is_evenIiENSC_INSA_10device_ptrIiEEEESG_SG_EENS0_5tupleIJPiSJ_EEENSR_IJSJ_SJ_EEES6_PlJS6_EEE10hipError_tPvRmT3_T4_T5_T6_T7_T9_mT8_P12ihipStream_tbDpT10_ENKUlT_T0_E_clISt17integral_constantIbLb0EES1E_IbLb1EEEEDaS1A_S1B_EUlS1A_E_NS1_11comp_targetILNS1_3genE5ELNS1_11target_archE942ELNS1_3gpuE9ELNS1_3repE0EEENS1_30default_config_static_selectorELNS0_4arch9wavefront6targetE1EEEvT1_,comdat
	.protected	_ZN7rocprim17ROCPRIM_400000_NS6detail17trampoline_kernelINS0_14default_configENS1_25partition_config_selectorILNS1_17partition_subalgoE2EiNS0_10empty_typeEbEEZZNS1_14partition_implILS5_2ELb0ES3_jN6thrust23THRUST_200600_302600_NS6detail15normal_iteratorINSA_7pointerIiNSA_11hip_rocprim3tagENSA_11use_defaultESG_EEEEPS6_NSA_18transform_iteratorI7is_evenIiENSC_INSA_10device_ptrIiEEEESG_SG_EENS0_5tupleIJPiSJ_EEENSR_IJSJ_SJ_EEES6_PlJS6_EEE10hipError_tPvRmT3_T4_T5_T6_T7_T9_mT8_P12ihipStream_tbDpT10_ENKUlT_T0_E_clISt17integral_constantIbLb0EES1E_IbLb1EEEEDaS1A_S1B_EUlS1A_E_NS1_11comp_targetILNS1_3genE5ELNS1_11target_archE942ELNS1_3gpuE9ELNS1_3repE0EEENS1_30default_config_static_selectorELNS0_4arch9wavefront6targetE1EEEvT1_ ; -- Begin function _ZN7rocprim17ROCPRIM_400000_NS6detail17trampoline_kernelINS0_14default_configENS1_25partition_config_selectorILNS1_17partition_subalgoE2EiNS0_10empty_typeEbEEZZNS1_14partition_implILS5_2ELb0ES3_jN6thrust23THRUST_200600_302600_NS6detail15normal_iteratorINSA_7pointerIiNSA_11hip_rocprim3tagENSA_11use_defaultESG_EEEEPS6_NSA_18transform_iteratorI7is_evenIiENSC_INSA_10device_ptrIiEEEESG_SG_EENS0_5tupleIJPiSJ_EEENSR_IJSJ_SJ_EEES6_PlJS6_EEE10hipError_tPvRmT3_T4_T5_T6_T7_T9_mT8_P12ihipStream_tbDpT10_ENKUlT_T0_E_clISt17integral_constantIbLb0EES1E_IbLb1EEEEDaS1A_S1B_EUlS1A_E_NS1_11comp_targetILNS1_3genE5ELNS1_11target_archE942ELNS1_3gpuE9ELNS1_3repE0EEENS1_30default_config_static_selectorELNS0_4arch9wavefront6targetE1EEEvT1_
	.globl	_ZN7rocprim17ROCPRIM_400000_NS6detail17trampoline_kernelINS0_14default_configENS1_25partition_config_selectorILNS1_17partition_subalgoE2EiNS0_10empty_typeEbEEZZNS1_14partition_implILS5_2ELb0ES3_jN6thrust23THRUST_200600_302600_NS6detail15normal_iteratorINSA_7pointerIiNSA_11hip_rocprim3tagENSA_11use_defaultESG_EEEEPS6_NSA_18transform_iteratorI7is_evenIiENSC_INSA_10device_ptrIiEEEESG_SG_EENS0_5tupleIJPiSJ_EEENSR_IJSJ_SJ_EEES6_PlJS6_EEE10hipError_tPvRmT3_T4_T5_T6_T7_T9_mT8_P12ihipStream_tbDpT10_ENKUlT_T0_E_clISt17integral_constantIbLb0EES1E_IbLb1EEEEDaS1A_S1B_EUlS1A_E_NS1_11comp_targetILNS1_3genE5ELNS1_11target_archE942ELNS1_3gpuE9ELNS1_3repE0EEENS1_30default_config_static_selectorELNS0_4arch9wavefront6targetE1EEEvT1_
	.p2align	8
	.type	_ZN7rocprim17ROCPRIM_400000_NS6detail17trampoline_kernelINS0_14default_configENS1_25partition_config_selectorILNS1_17partition_subalgoE2EiNS0_10empty_typeEbEEZZNS1_14partition_implILS5_2ELb0ES3_jN6thrust23THRUST_200600_302600_NS6detail15normal_iteratorINSA_7pointerIiNSA_11hip_rocprim3tagENSA_11use_defaultESG_EEEEPS6_NSA_18transform_iteratorI7is_evenIiENSC_INSA_10device_ptrIiEEEESG_SG_EENS0_5tupleIJPiSJ_EEENSR_IJSJ_SJ_EEES6_PlJS6_EEE10hipError_tPvRmT3_T4_T5_T6_T7_T9_mT8_P12ihipStream_tbDpT10_ENKUlT_T0_E_clISt17integral_constantIbLb0EES1E_IbLb1EEEEDaS1A_S1B_EUlS1A_E_NS1_11comp_targetILNS1_3genE5ELNS1_11target_archE942ELNS1_3gpuE9ELNS1_3repE0EEENS1_30default_config_static_selectorELNS0_4arch9wavefront6targetE1EEEvT1_,@function
_ZN7rocprim17ROCPRIM_400000_NS6detail17trampoline_kernelINS0_14default_configENS1_25partition_config_selectorILNS1_17partition_subalgoE2EiNS0_10empty_typeEbEEZZNS1_14partition_implILS5_2ELb0ES3_jN6thrust23THRUST_200600_302600_NS6detail15normal_iteratorINSA_7pointerIiNSA_11hip_rocprim3tagENSA_11use_defaultESG_EEEEPS6_NSA_18transform_iteratorI7is_evenIiENSC_INSA_10device_ptrIiEEEESG_SG_EENS0_5tupleIJPiSJ_EEENSR_IJSJ_SJ_EEES6_PlJS6_EEE10hipError_tPvRmT3_T4_T5_T6_T7_T9_mT8_P12ihipStream_tbDpT10_ENKUlT_T0_E_clISt17integral_constantIbLb0EES1E_IbLb1EEEEDaS1A_S1B_EUlS1A_E_NS1_11comp_targetILNS1_3genE5ELNS1_11target_archE942ELNS1_3gpuE9ELNS1_3repE0EEENS1_30default_config_static_selectorELNS0_4arch9wavefront6targetE1EEEvT1_: ; @_ZN7rocprim17ROCPRIM_400000_NS6detail17trampoline_kernelINS0_14default_configENS1_25partition_config_selectorILNS1_17partition_subalgoE2EiNS0_10empty_typeEbEEZZNS1_14partition_implILS5_2ELb0ES3_jN6thrust23THRUST_200600_302600_NS6detail15normal_iteratorINSA_7pointerIiNSA_11hip_rocprim3tagENSA_11use_defaultESG_EEEEPS6_NSA_18transform_iteratorI7is_evenIiENSC_INSA_10device_ptrIiEEEESG_SG_EENS0_5tupleIJPiSJ_EEENSR_IJSJ_SJ_EEES6_PlJS6_EEE10hipError_tPvRmT3_T4_T5_T6_T7_T9_mT8_P12ihipStream_tbDpT10_ENKUlT_T0_E_clISt17integral_constantIbLb0EES1E_IbLb1EEEEDaS1A_S1B_EUlS1A_E_NS1_11comp_targetILNS1_3genE5ELNS1_11target_archE942ELNS1_3gpuE9ELNS1_3repE0EEENS1_30default_config_static_selectorELNS0_4arch9wavefront6targetE1EEEvT1_
; %bb.0:
	s_load_dwordx2 s[2:3], s[0:1], 0x20
	s_load_dwordx2 s[28:29], s[0:1], 0x30
	;; [unrolled: 1-line block ×3, first 2 shown]
	s_load_dwordx4 s[20:23], s[0:1], 0x50
	s_load_dwordx2 s[36:37], s[0:1], 0x70
	v_cmp_eq_u32_e64 s[18:19], 0, v0
	s_and_saveexec_b64 s[4:5], s[18:19]
	s_cbranch_execz .LBB248_4
; %bb.1:
	s_mov_b64 s[8:9], exec
	v_mbcnt_lo_u32_b32 v1, s8, 0
	v_mbcnt_hi_u32_b32 v1, s9, v1
	v_cmp_eq_u32_e32 vcc, 0, v1
                                        ; implicit-def: $vgpr2
	s_and_saveexec_b64 s[6:7], vcc
	s_cbranch_execz .LBB248_3
; %bb.2:
	s_load_dwordx2 s[10:11], s[0:1], 0x80
	s_bcnt1_i32_b64 s8, s[8:9]
	v_mov_b32_e32 v2, 0
	v_mov_b32_e32 v3, s8
	s_waitcnt lgkmcnt(0)
	global_atomic_add v2, v2, v3, s[10:11] sc0
.LBB248_3:
	s_or_b64 exec, exec, s[6:7]
	s_waitcnt vmcnt(0)
	v_readfirstlane_b32 s6, v2
	v_mov_b32_e32 v2, 0
	s_nop 0
	v_add_u32_e32 v1, s6, v1
	ds_write_b32 v2, v1
.LBB248_4:
	s_or_b64 exec, exec, s[4:5]
	v_mov_b32_e32 v23, 0
	s_load_dwordx4 s[24:27], s[0:1], 0x8
	s_load_dword s6, s[0:1], 0x78
	s_waitcnt lgkmcnt(0)
	s_barrier
	ds_read_b32 v1, v23
	s_waitcnt lgkmcnt(0)
	s_barrier
	global_load_dwordx2 v[24:25], v23, s[22:23]
	s_lshl_b64 s[4:5], s[26:27], 2
	s_add_u32 s8, s24, s4
	s_mul_i32 s0, s6, 0x1e00
	s_addc_u32 s9, s25, s5
	s_add_i32 s1, s0, s26
	s_sub_i32 s33, s30, s1
	s_add_i32 s7, s6, -1
	s_addk_i32 s33, 0x1e00
	s_add_u32 s0, s26, s0
	v_readfirstlane_b32 s42, v1
	s_addc_u32 s1, s27, 0
	s_cmp_eq_u32 s42, s7
	v_mov_b64_e32 v[2:3], s[30:31]
	s_cselect_b64 s[22:23], -1, 0
	s_cmp_lg_u32 s42, s7
	s_mul_i32 s24, s42, 0x1e00
	s_mov_b32 s25, 0
	v_cmp_lt_u64_e32 vcc, s[0:1], v[2:3]
	s_cselect_b64 s[0:1], -1, 0
	s_or_b64 s[34:35], vcc, s[0:1]
	s_lshl_b64 s[6:7], s[24:25], 2
	s_add_u32 s8, s8, s6
	s_addc_u32 s9, s9, s7
	s_mov_b64 s[0:1], -1
	s_and_b64 vcc, exec, s[34:35]
	v_lshlrev_b32_e32 v22, 2, v0
	s_cbranch_vccz .LBB248_6
; %bb.5:
	v_lshl_add_u64 v[2:3], s[8:9], 0, v[22:23]
	v_add_co_u32_e32 v4, vcc, 0x1000, v2
	s_mov_b64 s[0:1], 0
	s_nop 0
	v_addc_co_u32_e32 v5, vcc, 0, v3, vcc
	v_add_co_u32_e32 v6, vcc, 0x2000, v2
	s_nop 1
	v_addc_co_u32_e32 v7, vcc, 0, v3, vcc
	v_add_co_u32_e32 v8, vcc, 0x3000, v2
	s_nop 1
	v_addc_co_u32_e32 v9, vcc, 0, v3, vcc
	flat_load_dword v1, v[2:3]
	flat_load_dword v10, v[2:3] offset:2048
	flat_load_dword v11, v[4:5]
	flat_load_dword v12, v[4:5] offset:2048
	;; [unrolled: 2-line block ×4, first 2 shown]
	v_add_co_u32_e32 v4, vcc, 0x4000, v2
	s_nop 1
	v_addc_co_u32_e32 v5, vcc, 0, v3, vcc
	v_add_co_u32_e32 v6, vcc, 0x5000, v2
	s_nop 1
	v_addc_co_u32_e32 v7, vcc, 0, v3, vcc
	;; [unrolled: 3-line block ×4, first 2 shown]
	flat_load_dword v17, v[4:5]
	flat_load_dword v18, v[4:5] offset:2048
	flat_load_dword v19, v[6:7]
	flat_load_dword v20, v[6:7] offset:2048
	;; [unrolled: 2-line block ×3, first 2 shown]
	flat_load_dword v26, v[2:3]
	s_waitcnt vmcnt(0) lgkmcnt(0)
	ds_write2st64_b32 v22, v1, v10 offset1:8
	ds_write2st64_b32 v22, v11, v12 offset0:16 offset1:24
	ds_write2st64_b32 v22, v13, v14 offset0:32 offset1:40
	;; [unrolled: 1-line block ×6, first 2 shown]
	ds_write_b32 v22, v26 offset:28672
	s_waitcnt lgkmcnt(0)
	s_barrier
.LBB248_6:
	s_andn2_b64 vcc, exec, s[0:1]
	v_cmp_gt_u32_e64 s[0:1], s33, v0
	s_cbranch_vccnz .LBB248_38
; %bb.7:
                                        ; implicit-def: $vgpr2_vgpr3_vgpr4_vgpr5_vgpr6_vgpr7_vgpr8_vgpr9_vgpr10_vgpr11_vgpr12_vgpr13_vgpr14_vgpr15_vgpr16_vgpr17
	s_and_saveexec_b64 s[10:11], s[0:1]
	s_cbranch_execz .LBB248_9
; %bb.8:
	v_mov_b32_e32 v23, 0
	v_lshl_add_u64 v[2:3], s[8:9], 0, v[22:23]
	flat_load_dword v2, v[2:3]
.LBB248_9:
	s_or_b64 exec, exec, s[10:11]
	v_or_b32_e32 v1, 0x200, v0
	v_cmp_gt_u32_e32 vcc, s33, v1
	s_and_saveexec_b64 s[0:1], vcc
	s_cbranch_execz .LBB248_11
; %bb.10:
	v_mov_b32_e32 v23, 0
	v_lshl_add_u64 v[18:19], s[8:9], 0, v[22:23]
	flat_load_dword v3, v[18:19] offset:2048
.LBB248_11:
	s_or_b64 exec, exec, s[0:1]
	v_or_b32_e32 v1, 0x400, v0
	v_cmp_gt_u32_e32 vcc, s33, v1
	s_and_saveexec_b64 s[0:1], vcc
	s_cbranch_execz .LBB248_13
; %bb.12:
	v_lshlrev_b32_e32 v18, 2, v1
	v_mov_b32_e32 v19, 0
	v_lshl_add_u64 v[18:19], s[8:9], 0, v[18:19]
	flat_load_dword v4, v[18:19]
.LBB248_13:
	s_or_b64 exec, exec, s[0:1]
	v_or_b32_e32 v1, 0x600, v0
	v_cmp_gt_u32_e32 vcc, s33, v1
	s_and_saveexec_b64 s[0:1], vcc
	s_cbranch_execz .LBB248_15
; %bb.14:
	v_lshlrev_b32_e32 v18, 2, v1
	v_mov_b32_e32 v19, 0
	v_lshl_add_u64 v[18:19], s[8:9], 0, v[18:19]
	flat_load_dword v5, v[18:19]
.LBB248_15:
	s_or_b64 exec, exec, s[0:1]
	v_or_b32_e32 v1, 0x800, v0
	v_cmp_gt_u32_e32 vcc, s33, v1
	s_and_saveexec_b64 s[0:1], vcc
	s_cbranch_execz .LBB248_17
; %bb.16:
	v_lshlrev_b32_e32 v18, 2, v1
	v_mov_b32_e32 v19, 0
	v_lshl_add_u64 v[18:19], s[8:9], 0, v[18:19]
	flat_load_dword v6, v[18:19]
.LBB248_17:
	s_or_b64 exec, exec, s[0:1]
	v_or_b32_e32 v1, 0xa00, v0
	v_cmp_gt_u32_e32 vcc, s33, v1
	s_and_saveexec_b64 s[0:1], vcc
	s_cbranch_execz .LBB248_19
; %bb.18:
	v_lshlrev_b32_e32 v18, 2, v1
	v_mov_b32_e32 v19, 0
	v_lshl_add_u64 v[18:19], s[8:9], 0, v[18:19]
	flat_load_dword v7, v[18:19]
.LBB248_19:
	s_or_b64 exec, exec, s[0:1]
	v_or_b32_e32 v1, 0xc00, v0
	v_cmp_gt_u32_e32 vcc, s33, v1
	s_and_saveexec_b64 s[0:1], vcc
	s_cbranch_execz .LBB248_21
; %bb.20:
	v_lshlrev_b32_e32 v18, 2, v1
	v_mov_b32_e32 v19, 0
	v_lshl_add_u64 v[18:19], s[8:9], 0, v[18:19]
	flat_load_dword v8, v[18:19]
.LBB248_21:
	s_or_b64 exec, exec, s[0:1]
	v_or_b32_e32 v1, 0xe00, v0
	v_cmp_gt_u32_e32 vcc, s33, v1
	s_and_saveexec_b64 s[0:1], vcc
	s_cbranch_execz .LBB248_23
; %bb.22:
	v_lshlrev_b32_e32 v18, 2, v1
	v_mov_b32_e32 v19, 0
	v_lshl_add_u64 v[18:19], s[8:9], 0, v[18:19]
	flat_load_dword v9, v[18:19]
.LBB248_23:
	s_or_b64 exec, exec, s[0:1]
	v_or_b32_e32 v1, 0x1000, v0
	v_cmp_gt_u32_e32 vcc, s33, v1
	s_and_saveexec_b64 s[0:1], vcc
	s_cbranch_execz .LBB248_25
; %bb.24:
	v_lshlrev_b32_e32 v18, 2, v1
	v_mov_b32_e32 v19, 0
	v_lshl_add_u64 v[18:19], s[8:9], 0, v[18:19]
	flat_load_dword v10, v[18:19]
.LBB248_25:
	s_or_b64 exec, exec, s[0:1]
	v_or_b32_e32 v1, 0x1200, v0
	v_cmp_gt_u32_e32 vcc, s33, v1
	s_and_saveexec_b64 s[0:1], vcc
	s_cbranch_execz .LBB248_27
; %bb.26:
	v_lshlrev_b32_e32 v18, 2, v1
	v_mov_b32_e32 v19, 0
	v_lshl_add_u64 v[18:19], s[8:9], 0, v[18:19]
	flat_load_dword v11, v[18:19]
.LBB248_27:
	s_or_b64 exec, exec, s[0:1]
	v_or_b32_e32 v1, 0x1400, v0
	v_cmp_gt_u32_e32 vcc, s33, v1
	s_and_saveexec_b64 s[0:1], vcc
	s_cbranch_execz .LBB248_29
; %bb.28:
	v_lshlrev_b32_e32 v18, 2, v1
	v_mov_b32_e32 v19, 0
	v_lshl_add_u64 v[18:19], s[8:9], 0, v[18:19]
	flat_load_dword v12, v[18:19]
.LBB248_29:
	s_or_b64 exec, exec, s[0:1]
	v_or_b32_e32 v1, 0x1600, v0
	v_cmp_gt_u32_e32 vcc, s33, v1
	s_and_saveexec_b64 s[0:1], vcc
	s_cbranch_execz .LBB248_31
; %bb.30:
	v_lshlrev_b32_e32 v18, 2, v1
	v_mov_b32_e32 v19, 0
	v_lshl_add_u64 v[18:19], s[8:9], 0, v[18:19]
	flat_load_dword v13, v[18:19]
.LBB248_31:
	s_or_b64 exec, exec, s[0:1]
	v_or_b32_e32 v1, 0x1800, v0
	v_cmp_gt_u32_e32 vcc, s33, v1
	s_and_saveexec_b64 s[0:1], vcc
	s_cbranch_execz .LBB248_33
; %bb.32:
	v_lshlrev_b32_e32 v18, 2, v1
	v_mov_b32_e32 v19, 0
	v_lshl_add_u64 v[18:19], s[8:9], 0, v[18:19]
	flat_load_dword v14, v[18:19]
.LBB248_33:
	s_or_b64 exec, exec, s[0:1]
	v_or_b32_e32 v1, 0x1a00, v0
	v_cmp_gt_u32_e32 vcc, s33, v1
	s_and_saveexec_b64 s[0:1], vcc
	s_cbranch_execz .LBB248_35
; %bb.34:
	v_lshlrev_b32_e32 v18, 2, v1
	v_mov_b32_e32 v19, 0
	v_lshl_add_u64 v[18:19], s[8:9], 0, v[18:19]
	flat_load_dword v15, v[18:19]
.LBB248_35:
	s_or_b64 exec, exec, s[0:1]
	v_or_b32_e32 v1, 0x1c00, v0
	v_cmp_gt_u32_e32 vcc, s33, v1
	s_and_saveexec_b64 s[0:1], vcc
	s_cbranch_execz .LBB248_37
; %bb.36:
	v_lshlrev_b32_e32 v16, 2, v1
	v_mov_b32_e32 v17, 0
	v_lshl_add_u64 v[16:17], s[8:9], 0, v[16:17]
	flat_load_dword v16, v[16:17]
.LBB248_37:
	s_or_b64 exec, exec, s[0:1]
	s_waitcnt vmcnt(0) lgkmcnt(0)
	ds_write2st64_b32 v22, v2, v3 offset1:8
	ds_write2st64_b32 v22, v4, v5 offset0:16 offset1:24
	ds_write2st64_b32 v22, v6, v7 offset0:32 offset1:40
	;; [unrolled: 1-line block ×6, first 2 shown]
	ds_write_b32 v22, v16 offset:28672
	s_waitcnt lgkmcnt(0)
	s_barrier
.LBB248_38:
	v_mul_u32_u24_e32 v21, 15, v0
	v_lshlrev_b32_e32 v1, 2, v21
	ds_read2_b32 v[40:41], v1 offset1:1
	ds_read2_b32 v[38:39], v1 offset0:2 offset1:3
	ds_read2_b32 v[36:37], v1 offset0:4 offset1:5
	;; [unrolled: 1-line block ×6, first 2 shown]
	ds_read_b32 v1, v1 offset:56
	s_add_u32 s0, s2, s4
	s_addc_u32 s1, s3, s5
	s_add_u32 s0, s0, s6
	s_addc_u32 s1, s1, s7
	s_mov_b64 s[2:3], -1
	s_and_b64 vcc, exec, s[34:35]
	s_waitcnt lgkmcnt(0)
	s_barrier
	s_cbranch_vccz .LBB248_40
; %bb.39:
	v_mov_b32_e32 v23, 0
	v_lshl_add_u64 v[2:3], s[0:1], 0, v[22:23]
	v_add_co_u32_e32 v4, vcc, 0x1000, v2
	global_load_dword v10, v22, s[0:1]
	global_load_dword v11, v22, s[0:1] offset:2048
	v_addc_co_u32_e32 v5, vcc, 0, v3, vcc
	v_add_co_u32_e32 v6, vcc, 0x2000, v2
	s_mov_b64 s[2:3], 0
	s_nop 0
	v_addc_co_u32_e32 v7, vcc, 0, v3, vcc
	v_add_co_u32_e32 v8, vcc, 0x3000, v2
	s_nop 1
	v_addc_co_u32_e32 v9, vcc, 0, v3, vcc
	global_load_dword v12, v[4:5], off
	global_load_dword v13, v[4:5], off offset:2048
	global_load_dword v14, v[6:7], off
	global_load_dword v15, v[6:7], off offset:2048
	;; [unrolled: 2-line block ×3, first 2 shown]
	v_add_co_u32_e32 v4, vcc, 0x4000, v2
	s_nop 1
	v_addc_co_u32_e32 v5, vcc, 0, v3, vcc
	global_load_dword v6, v[4:5], off
	global_load_dword v7, v[4:5], off offset:2048
	v_add_co_u32_e32 v4, vcc, 0x5000, v2
	s_waitcnt vmcnt(1)
	v_xor_b32_e32 v6, -1, v6
	v_addc_co_u32_e32 v5, vcc, 0, v3, vcc
	global_load_dword v8, v[4:5], off
	global_load_dword v9, v[4:5], off offset:2048
	v_add_co_u32_e32 v4, vcc, 0x6000, v2
	s_waitcnt vmcnt(2)
	v_xor_b32_e32 v7, -1, v7
	v_addc_co_u32_e32 v5, vcc, 0, v3, vcc
	v_add_co_u32_e32 v2, vcc, 0x7000, v2
	global_load_dword v18, v[4:5], off
	global_load_dword v19, v[4:5], off offset:2048
	v_addc_co_u32_e32 v3, vcc, 0, v3, vcc
	global_load_dword v2, v[2:3], off
	v_xor_b32_e32 v3, -1, v10
	v_xor_b32_e32 v4, -1, v11
	v_and_b32_e32 v3, 1, v3
	v_and_b32_e32 v4, 1, v4
	ds_write_b8 v0, v3
	ds_write_b8 v0, v4 offset:512
	v_xor_b32_e32 v3, -1, v12
	v_xor_b32_e32 v4, -1, v13
	;; [unrolled: 1-line block ×3, first 2 shown]
	v_and_b32_e32 v3, 1, v3
	v_and_b32_e32 v4, 1, v4
	v_xor_b32_e32 v10, -1, v15
	v_and_b32_e32 v5, 1, v5
	v_xor_b32_e32 v11, -1, v16
	v_xor_b32_e32 v12, -1, v17
	v_and_b32_e32 v10, 1, v10
	ds_write_b8 v0, v3 offset:1024
	ds_write_b8 v0, v4 offset:1536
	v_and_b32_e32 v3, 1, v11
	v_and_b32_e32 v4, 1, v12
	ds_write_b8 v0, v5 offset:2048
	ds_write_b8 v0, v10 offset:2560
	v_and_b32_e32 v5, 1, v6
	v_and_b32_e32 v6, 1, v7
	ds_write_b8 v0, v3 offset:3072
	ds_write_b8 v0, v4 offset:3584
	;; [unrolled: 1-line block ×4, first 2 shown]
	s_waitcnt vmcnt(4)
	v_xor_b32_e32 v7, -1, v8
	s_waitcnt vmcnt(3)
	v_xor_b32_e32 v8, -1, v9
	v_and_b32_e32 v3, 1, v7
	v_and_b32_e32 v4, 1, v8
	s_waitcnt vmcnt(2)
	v_xor_b32_e32 v7, -1, v18
	s_waitcnt vmcnt(1)
	v_xor_b32_e32 v8, -1, v19
	v_and_b32_e32 v5, 1, v7
	v_and_b32_e32 v6, 1, v8
	s_waitcnt vmcnt(0)
	v_xor_b32_e32 v2, -1, v2
	v_and_b32_e32 v2, 1, v2
	ds_write_b8 v0, v3 offset:5120
	ds_write_b8 v0, v4 offset:5632
	ds_write_b8 v0, v5 offset:6144
	ds_write_b8 v0, v6 offset:6656
	ds_write_b8 v0, v2 offset:7168
	s_waitcnt lgkmcnt(0)
	s_barrier
.LBB248_40:
	s_andn2_b64 vcc, exec, s[2:3]
	s_cbranch_vccnz .LBB248_72
; %bb.41:
	v_cmp_gt_u32_e32 vcc, s33, v0
	v_mov_b32_e32 v2, 0
	v_mov_b32_e32 v3, 0
	s_and_saveexec_b64 s[2:3], vcc
	s_cbranch_execz .LBB248_43
; %bb.42:
	global_load_dword v3, v22, s[0:1]
	s_waitcnt vmcnt(0)
	v_xor_b32_e32 v3, -1, v3
	v_and_b32_e32 v3, 1, v3
.LBB248_43:
	s_or_b64 exec, exec, s[2:3]
	v_or_b32_e32 v4, 0x200, v0
	v_cmp_gt_u32_e32 vcc, s33, v4
	s_and_saveexec_b64 s[2:3], vcc
	s_cbranch_execz .LBB248_45
; %bb.44:
	global_load_dword v2, v22, s[0:1] offset:2048
	s_waitcnt vmcnt(0)
	v_xor_b32_e32 v2, -1, v2
	v_and_b32_e32 v2, 1, v2
.LBB248_45:
	s_or_b64 exec, exec, s[2:3]
	v_or_b32_e32 v6, 0x400, v0
	v_cmp_gt_u32_e32 vcc, s33, v6
	v_mov_b32_e32 v4, 0
	v_mov_b32_e32 v5, 0
	s_and_saveexec_b64 s[2:3], vcc
	s_cbranch_execz .LBB248_47
; %bb.46:
	v_lshlrev_b32_e32 v5, 2, v6
	global_load_dword v5, v5, s[0:1]
	s_waitcnt vmcnt(0)
	v_xor_b32_e32 v5, -1, v5
	v_and_b32_e32 v5, 1, v5
.LBB248_47:
	s_or_b64 exec, exec, s[2:3]
	v_or_b32_e32 v6, 0x600, v0
	v_cmp_gt_u32_e32 vcc, s33, v6
	s_and_saveexec_b64 s[2:3], vcc
	s_cbranch_execz .LBB248_49
; %bb.48:
	v_lshlrev_b32_e32 v4, 2, v6
	global_load_dword v4, v4, s[0:1]
	s_waitcnt vmcnt(0)
	v_xor_b32_e32 v4, -1, v4
	v_and_b32_e32 v4, 1, v4
.LBB248_49:
	s_or_b64 exec, exec, s[2:3]
	v_or_b32_e32 v8, 0x800, v0
	v_cmp_gt_u32_e32 vcc, s33, v8
	v_mov_b32_e32 v6, 0
	v_mov_b32_e32 v7, 0
	s_and_saveexec_b64 s[2:3], vcc
	s_cbranch_execz .LBB248_51
; %bb.50:
	v_lshlrev_b32_e32 v7, 2, v8
	global_load_dword v7, v7, s[0:1]
	s_waitcnt vmcnt(0)
	v_xor_b32_e32 v7, -1, v7
	v_and_b32_e32 v7, 1, v7
.LBB248_51:
	s_or_b64 exec, exec, s[2:3]
	v_or_b32_e32 v8, 0xa00, v0
	v_cmp_gt_u32_e32 vcc, s33, v8
	s_and_saveexec_b64 s[2:3], vcc
	s_cbranch_execz .LBB248_53
; %bb.52:
	v_lshlrev_b32_e32 v6, 2, v8
	global_load_dword v6, v6, s[0:1]
	s_waitcnt vmcnt(0)
	v_xor_b32_e32 v6, -1, v6
	v_and_b32_e32 v6, 1, v6
.LBB248_53:
	;; [unrolled: 26-line block ×6, first 2 shown]
	s_or_b64 exec, exec, s[2:3]
	v_or_b32_e32 v17, 0x1c00, v0
	v_cmp_gt_u32_e32 vcc, s33, v17
	v_mov_b32_e32 v16, 0
	s_and_saveexec_b64 s[2:3], vcc
	s_cbranch_execz .LBB248_71
; %bb.70:
	v_lshlrev_b32_e32 v16, 2, v17
	global_load_dword v16, v16, s[0:1]
	s_waitcnt vmcnt(0)
	v_xor_b32_e32 v16, -1, v16
	v_and_b32_e32 v16, 1, v16
.LBB248_71:
	s_or_b64 exec, exec, s[2:3]
	ds_write_b8 v0, v3
	ds_write_b8 v0, v2 offset:512
	ds_write_b8 v0, v5 offset:1024
	ds_write_b8 v0, v4 offset:1536
	ds_write_b8 v0, v7 offset:2048
	ds_write_b8 v0, v6 offset:2560
	ds_write_b8 v0, v9 offset:3072
	ds_write_b8 v0, v8 offset:3584
	ds_write_b8 v0, v11 offset:4096
	ds_write_b8 v0, v10 offset:4608
	ds_write_b8 v0, v13 offset:5120
	ds_write_b8 v0, v12 offset:5632
	ds_write_b8 v0, v15 offset:6144
	ds_write_b8 v0, v14 offset:6656
	ds_write_b8 v0, v16 offset:7168
	s_waitcnt lgkmcnt(0)
	s_barrier
.LBB248_72:
	ds_read_b96 v[18:20], v21
	ds_read_u8 v2, v21 offset:12
	ds_read_u8 v3, v21 offset:13
	;; [unrolled: 1-line block ×3, first 2 shown]
	s_cmp_lg_u32 s42, 0
	v_lshrrev_b32_e32 v58, 6, v0
	s_waitcnt lgkmcnt(2)
	v_and_b32_e32 v44, 1, v2
	v_and_b32_e32 v53, 0xff, v18
	v_bfe_u32 v55, v18, 8, 8
	v_bfe_u32 v56, v18, 16, 8
	v_lshrrev_b32_e32 v46, 24, v18
	v_and_b32_e32 v50, 0xff, v19
	v_add3_u32 v2, v55, v53, v56
	v_bfe_u32 v51, v19, 8, 8
	v_bfe_u32 v52, v19, 16, 8
	v_add3_u32 v2, v2, v46, v50
	v_lshrrev_b32_e32 v45, 24, v19
	v_and_b32_e32 v47, 0xff, v20
	v_add3_u32 v2, v2, v51, v52
	v_bfe_u32 v48, v20, 8, 8
	v_bfe_u32 v49, v20, 16, 8
	v_add3_u32 v2, v2, v45, v47
	v_lshrrev_b32_e32 v43, 24, v20
	v_add3_u32 v2, v2, v48, v49
	s_waitcnt lgkmcnt(1)
	v_and_b32_e32 v42, 1, v3
	s_waitcnt lgkmcnt(0)
	v_and_b32_e32 v23, 1, v4
	v_add3_u32 v2, v2, v43, v44
	v_add3_u32 v59, v2, v42, v23
	v_mbcnt_lo_u32_b32 v2, -1, 0
	v_mbcnt_hi_u32_b32 v57, -1, v2
	v_and_b32_e32 v2, 15, v57
	v_cmp_eq_u32_e64 s[14:15], 0, v2
	v_cmp_lt_u32_e64 s[12:13], 1, v2
	v_cmp_lt_u32_e64 s[10:11], 3, v2
	;; [unrolled: 1-line block ×3, first 2 shown]
	v_and_b32_e32 v2, 16, v57
	v_cmp_eq_u32_e64 s[6:7], 0, v2
	v_or_b32_e32 v2, 63, v0
	v_cmp_lt_u32_e64 s[2:3], 31, v57
	v_cmp_eq_u32_e64 s[4:5], v2, v0
	s_barrier
	s_cbranch_scc0 .LBB248_99
; %bb.73:
	v_mov_b32_dpp v2, v59 row_shr:1 row_mask:0xf bank_mask:0xf
	v_cndmask_b32_e64 v2, v2, 0, s[14:15]
	v_add_u32_e32 v2, v2, v59
	s_nop 1
	v_mov_b32_dpp v3, v2 row_shr:2 row_mask:0xf bank_mask:0xf
	v_cndmask_b32_e64 v3, 0, v3, s[12:13]
	v_add_u32_e32 v2, v2, v3
	s_nop 1
	;; [unrolled: 4-line block ×4, first 2 shown]
	v_mov_b32_dpp v3, v2 row_bcast:15 row_mask:0xf bank_mask:0xf
	v_cndmask_b32_e64 v3, v3, 0, s[6:7]
	v_add_u32_e32 v2, v2, v3
	s_nop 1
	v_mov_b32_dpp v3, v2 row_bcast:31 row_mask:0xf bank_mask:0xf
	v_cndmask_b32_e64 v3, 0, v3, s[2:3]
	v_add_u32_e32 v2, v2, v3
	s_and_saveexec_b64 s[0:1], s[4:5]
	s_cbranch_execz .LBB248_75
; %bb.74:
	v_lshlrev_b32_e32 v3, 2, v58
	ds_write_b32 v3, v2
.LBB248_75:
	s_or_b64 exec, exec, s[0:1]
	v_cmp_gt_u32_e32 vcc, 8, v0
	s_waitcnt lgkmcnt(0)
	s_barrier
	s_and_saveexec_b64 s[0:1], vcc
	s_cbranch_execz .LBB248_77
; %bb.76:
	ds_read_b32 v3, v22
	v_and_b32_e32 v4, 7, v57
	v_cmp_ne_u32_e32 vcc, 0, v4
	s_waitcnt lgkmcnt(0)
	v_mov_b32_dpp v5, v3 row_shr:1 row_mask:0xf bank_mask:0xf
	v_cndmask_b32_e32 v5, 0, v5, vcc
	v_add_u32_e32 v3, v5, v3
	v_cmp_lt_u32_e32 vcc, 1, v4
	s_nop 0
	v_mov_b32_dpp v5, v3 row_shr:2 row_mask:0xf bank_mask:0xf
	v_cndmask_b32_e32 v5, 0, v5, vcc
	v_add_u32_e32 v3, v3, v5
	v_cmp_lt_u32_e32 vcc, 3, v4
	s_nop 0
	v_mov_b32_dpp v5, v3 row_shr:4 row_mask:0xf bank_mask:0xf
	v_cndmask_b32_e32 v4, 0, v5, vcc
	v_add_u32_e32 v3, v3, v4
	ds_write_b32 v22, v3
.LBB248_77:
	s_or_b64 exec, exec, s[0:1]
	v_cmp_gt_u32_e32 vcc, 64, v0
	v_cmp_lt_u32_e64 s[0:1], 63, v0
	s_waitcnt lgkmcnt(0)
	s_barrier
	s_waitcnt lgkmcnt(0)
                                        ; implicit-def: $vgpr12
	s_and_saveexec_b64 s[16:17], s[0:1]
	s_cbranch_execz .LBB248_79
; %bb.78:
	v_lshl_add_u32 v3, v58, 2, -4
	ds_read_b32 v12, v3
	s_waitcnt lgkmcnt(0)
	v_add_u32_e32 v2, v12, v2
.LBB248_79:
	s_or_b64 exec, exec, s[16:17]
	v_add_u32_e32 v3, -1, v57
	v_and_b32_e32 v4, 64, v57
	v_cmp_lt_i32_e64 s[0:1], v3, v4
	v_cmp_eq_u32_e64 s[16:17], 0, v57
	s_nop 0
	v_cndmask_b32_e64 v3, v3, v57, s[0:1]
	v_lshlrev_b32_e32 v3, 2, v3
	ds_bpermute_b32 v13, v3, v2
	s_and_saveexec_b64 s[0:1], vcc
	s_cbranch_execz .LBB248_98
; %bb.80:
	v_mov_b32_e32 v9, 0
	ds_read_b32 v2, v9 offset:28
	s_and_saveexec_b64 s[38:39], s[16:17]
	s_cbranch_execz .LBB248_82
; %bb.81:
	s_add_i32 s40, s42, 64
	s_mov_b32 s41, 0
	s_lshl_b64 s[40:41], s[40:41], 3
	s_add_u32 s40, s36, s40
	v_mov_b32_e32 v3, 1
	s_addc_u32 s41, s37, s41
	s_waitcnt lgkmcnt(0)
	global_store_dwordx2 v9, v[2:3], s[40:41] sc1
.LBB248_82:
	s_or_b64 exec, exec, s[38:39]
	v_xad_u32 v4, v57, -1, s42
	v_add_u32_e32 v8, 64, v4
	v_lshl_add_u64 v[10:11], v[8:9], 3, s[36:37]
	global_load_dwordx2 v[6:7], v[10:11], off sc1
	s_waitcnt vmcnt(0)
	v_cmp_eq_u16_sdwa s[40:41], v7, v9 src0_sel:BYTE_0 src1_sel:DWORD
	s_and_saveexec_b64 s[38:39], s[40:41]
	s_cbranch_execz .LBB248_86
; %bb.83:
	s_mov_b64 s[40:41], 0
	v_mov_b32_e32 v3, 0
.LBB248_84:                             ; =>This Inner Loop Header: Depth=1
	global_load_dwordx2 v[6:7], v[10:11], off sc1
	s_waitcnt vmcnt(0)
	v_cmp_ne_u16_sdwa s[44:45], v7, v3 src0_sel:BYTE_0 src1_sel:DWORD
	s_or_b64 s[40:41], s[44:45], s[40:41]
	s_andn2_b64 exec, exec, s[40:41]
	s_cbranch_execnz .LBB248_84
; %bb.85:
	s_or_b64 exec, exec, s[40:41]
.LBB248_86:
	s_or_b64 exec, exec, s[38:39]
	v_and_b32_e32 v15, 63, v57
	v_mov_b32_e32 v14, 2
	v_cmp_ne_u32_e32 vcc, 63, v15
	v_cmp_eq_u16_sdwa s[38:39], v7, v14 src0_sel:BYTE_0 src1_sel:DWORD
	v_lshlrev_b64 v[8:9], v57, -1
	v_addc_co_u32_e32 v10, vcc, 0, v57, vcc
	v_and_b32_e32 v3, s39, v9
	v_lshlrev_b32_e32 v16, 2, v10
	v_or_b32_e32 v3, 0x80000000, v3
	ds_bpermute_b32 v10, v16, v6
	v_and_b32_e32 v5, s38, v8
	v_ffbl_b32_e32 v3, v3
	v_add_u32_e32 v3, 32, v3
	v_ffbl_b32_e32 v5, v5
	v_min_u32_e32 v3, v5, v3
	v_cmp_lt_u32_e32 vcc, v15, v3
	v_add_u32_e32 v26, 2, v15
	v_add_u32_e32 v54, 4, v15
	s_waitcnt lgkmcnt(0)
	v_cndmask_b32_e32 v5, 0, v10, vcc
	v_cmp_gt_u32_e32 vcc, 62, v15
	v_add_u32_e32 v5, v5, v6
	v_add_u32_e32 v61, 8, v15
	v_cndmask_b32_e64 v6, 0, 1, vcc
	v_lshlrev_b32_e32 v6, 1, v6
	v_add_lshl_u32 v17, v6, v57, 2
	ds_bpermute_b32 v6, v17, v5
	v_cmp_le_u32_e32 vcc, v26, v3
	v_add_u32_e32 v63, 16, v15
	v_add_u32_e32 v65, 32, v15
	s_waitcnt lgkmcnt(0)
	v_cndmask_b32_e32 v6, 0, v6, vcc
	v_cmp_gt_u32_e32 vcc, 60, v15
	v_add_u32_e32 v5, v5, v6
	s_nop 0
	v_cndmask_b32_e64 v6, 0, 1, vcc
	v_lshlrev_b32_e32 v6, 2, v6
	v_add_lshl_u32 v27, v6, v57, 2
	ds_bpermute_b32 v6, v27, v5
	v_cmp_le_u32_e32 vcc, v54, v3
	s_waitcnt lgkmcnt(0)
	s_nop 0
	v_cndmask_b32_e32 v6, 0, v6, vcc
	v_cmp_gt_u32_e32 vcc, 56, v15
	v_add_u32_e32 v5, v5, v6
	s_nop 0
	v_cndmask_b32_e64 v6, 0, 1, vcc
	v_lshlrev_b32_e32 v6, 3, v6
	v_add_lshl_u32 v60, v6, v57, 2
	ds_bpermute_b32 v6, v60, v5
	v_cmp_le_u32_e32 vcc, v61, v3
	s_waitcnt lgkmcnt(0)
	s_nop 0
	;; [unrolled: 11-line block ×4, first 2 shown]
	v_cndmask_b32_e32 v3, 0, v6, vcc
	v_add_u32_e32 v6, v5, v3
	v_mov_b32_e32 v5, 0
	s_branch .LBB248_88
.LBB248_87:                             ;   in Loop: Header=BB248_88 Depth=1
	s_or_b64 exec, exec, s[38:39]
	v_cmp_eq_u16_sdwa s[38:39], v7, v14 src0_sel:BYTE_0 src1_sel:DWORD
	ds_bpermute_b32 v66, v16, v6
	v_subrev_u32_e32 v4, 64, v4
	v_and_b32_e32 v10, s39, v9
	v_or_b32_e32 v10, 0x80000000, v10
	v_and_b32_e32 v11, s38, v8
	v_ffbl_b32_e32 v10, v10
	v_add_u32_e32 v10, 32, v10
	v_ffbl_b32_e32 v11, v11
	v_min_u32_e32 v10, v11, v10
	v_cmp_lt_u32_e32 vcc, v15, v10
	s_waitcnt lgkmcnt(0)
	s_nop 0
	v_cndmask_b32_e32 v11, 0, v66, vcc
	v_add_u32_e32 v6, v11, v6
	ds_bpermute_b32 v11, v17, v6
	v_cmp_le_u32_e32 vcc, v26, v10
	s_waitcnt lgkmcnt(0)
	s_nop 0
	v_cndmask_b32_e32 v11, 0, v11, vcc
	v_add_u32_e32 v6, v6, v11
	ds_bpermute_b32 v11, v27, v6
	v_cmp_le_u32_e32 vcc, v54, v10
	;; [unrolled: 6-line block ×5, first 2 shown]
	s_waitcnt lgkmcnt(0)
	s_nop 0
	v_cndmask_b32_e32 v10, 0, v11, vcc
	v_add3_u32 v6, v10, v3, v6
.LBB248_88:                             ; =>This Loop Header: Depth=1
                                        ;     Child Loop BB248_91 Depth 2
	v_cmp_ne_u16_sdwa s[38:39], v7, v14 src0_sel:BYTE_0 src1_sel:DWORD
	s_nop 1
	v_cndmask_b32_e64 v3, 0, 1, s[38:39]
	;;#ASMSTART
	;;#ASMEND
	s_nop 0
	v_cmp_ne_u32_e32 vcc, 0, v3
	s_cmp_lg_u64 vcc, exec
	v_mov_b32_e32 v3, v6
	s_cbranch_scc1 .LBB248_93
; %bb.89:                               ;   in Loop: Header=BB248_88 Depth=1
	v_lshl_add_u64 v[10:11], v[4:5], 3, s[36:37]
	global_load_dwordx2 v[6:7], v[10:11], off sc1
	s_waitcnt vmcnt(0)
	v_cmp_eq_u16_sdwa s[40:41], v7, v5 src0_sel:BYTE_0 src1_sel:DWORD
	s_and_saveexec_b64 s[38:39], s[40:41]
	s_cbranch_execz .LBB248_87
; %bb.90:                               ;   in Loop: Header=BB248_88 Depth=1
	s_mov_b64 s[40:41], 0
.LBB248_91:                             ;   Parent Loop BB248_88 Depth=1
                                        ; =>  This Inner Loop Header: Depth=2
	global_load_dwordx2 v[6:7], v[10:11], off sc1
	s_waitcnt vmcnt(0)
	v_cmp_ne_u16_sdwa s[44:45], v7, v5 src0_sel:BYTE_0 src1_sel:DWORD
	s_or_b64 s[40:41], s[44:45], s[40:41]
	s_andn2_b64 exec, exec, s[40:41]
	s_cbranch_execnz .LBB248_91
; %bb.92:                               ;   in Loop: Header=BB248_88 Depth=1
	s_or_b64 exec, exec, s[40:41]
	s_branch .LBB248_87
.LBB248_93:                             ;   in Loop: Header=BB248_88 Depth=1
                                        ; implicit-def: $vgpr6
                                        ; implicit-def: $vgpr7
	s_cbranch_execz .LBB248_88
; %bb.94:
	s_and_saveexec_b64 s[38:39], s[16:17]
	s_cbranch_execz .LBB248_96
; %bb.95:
	s_add_i32 s40, s42, 64
	s_mov_b32 s41, 0
	s_lshl_b64 s[40:41], s[40:41], 3
	s_add_u32 s40, s36, s40
	v_add_u32_e32 v4, v3, v2
	v_mov_b32_e32 v5, 2
	s_addc_u32 s41, s37, s41
	v_mov_b32_e32 v6, 0
	global_store_dwordx2 v6, v[4:5], s[40:41] sc1
	ds_write_b64 v6, v[2:3] offset:30720
.LBB248_96:
	s_or_b64 exec, exec, s[38:39]
	s_and_b64 exec, exec, s[18:19]
	s_cbranch_execz .LBB248_98
; %bb.97:
	v_mov_b32_e32 v2, 0
	ds_write_b32 v2, v3 offset:28
.LBB248_98:
	s_or_b64 exec, exec, s[0:1]
	v_mov_b32_e32 v14, 0
	s_waitcnt lgkmcnt(0)
	s_barrier
	ds_read_b32 v2, v14 offset:28
	v_cndmask_b32_e64 v3, v13, v12, s[16:17]
	v_cndmask_b32_e64 v3, v3, 0, s[18:19]
	s_waitcnt lgkmcnt(0)
	s_barrier
	v_add_u32_e32 v2, v2, v3
	v_add_u32_e32 v3, v2, v53
	;; [unrolled: 1-line block ×10, first 2 shown]
	ds_read_b64 v[26:27], v14 offset:30720
	v_add_u32_e32 v12, v11, v48
	v_add_u32_e32 v13, v12, v49
	;; [unrolled: 1-line block ×5, first 2 shown]
	s_waitcnt lgkmcnt(0)
	v_mov_b32_e32 v54, v27
	s_branch .LBB248_109
.LBB248_99:
                                        ; implicit-def: $vgpr54
                                        ; implicit-def: $vgpr26
                                        ; implicit-def: $vgpr2_vgpr3_vgpr4_vgpr5_vgpr6_vgpr7_vgpr8_vgpr9_vgpr10_vgpr11_vgpr12_vgpr13_vgpr14_vgpr15_vgpr16_vgpr17
	s_cbranch_execz .LBB248_109
; %bb.100:
	s_nop 0
	v_mov_b32_dpp v2, v59 row_shr:1 row_mask:0xf bank_mask:0xf
	v_cndmask_b32_e64 v2, v2, 0, s[14:15]
	v_add_u32_e32 v2, v2, v59
	s_nop 1
	v_mov_b32_dpp v3, v2 row_shr:2 row_mask:0xf bank_mask:0xf
	v_cndmask_b32_e64 v3, 0, v3, s[12:13]
	v_add_u32_e32 v2, v2, v3
	;; [unrolled: 4-line block ×4, first 2 shown]
	s_nop 1
	v_mov_b32_dpp v3, v2 row_bcast:15 row_mask:0xf bank_mask:0xf
	v_cndmask_b32_e64 v3, v3, 0, s[6:7]
	v_add_u32_e32 v2, v2, v3
	s_nop 1
	v_mov_b32_dpp v3, v2 row_bcast:31 row_mask:0xf bank_mask:0xf
	v_cndmask_b32_e64 v3, 0, v3, s[2:3]
	v_add_u32_e32 v2, v2, v3
	s_and_saveexec_b64 s[0:1], s[4:5]
	s_cbranch_execz .LBB248_102
; %bb.101:
	v_lshlrev_b32_e32 v3, 2, v58
	ds_write_b32 v3, v2
.LBB248_102:
	s_or_b64 exec, exec, s[0:1]
	v_cmp_gt_u32_e32 vcc, 8, v0
	s_waitcnt lgkmcnt(0)
	s_barrier
	s_and_saveexec_b64 s[0:1], vcc
	s_cbranch_execz .LBB248_104
; %bb.103:
	v_mad_i32_i24 v3, v0, -11, v21
	ds_read_b32 v4, v3
	v_and_b32_e32 v5, 7, v57
	v_cmp_ne_u32_e32 vcc, 0, v5
	s_waitcnt lgkmcnt(0)
	v_mov_b32_dpp v6, v4 row_shr:1 row_mask:0xf bank_mask:0xf
	v_cndmask_b32_e32 v6, 0, v6, vcc
	v_add_u32_e32 v4, v6, v4
	v_cmp_lt_u32_e32 vcc, 1, v5
	s_nop 0
	v_mov_b32_dpp v6, v4 row_shr:2 row_mask:0xf bank_mask:0xf
	v_cndmask_b32_e32 v6, 0, v6, vcc
	v_add_u32_e32 v4, v4, v6
	v_cmp_lt_u32_e32 vcc, 3, v5
	s_nop 0
	v_mov_b32_dpp v6, v4 row_shr:4 row_mask:0xf bank_mask:0xf
	v_cndmask_b32_e32 v5, 0, v6, vcc
	v_add_u32_e32 v4, v4, v5
	ds_write_b32 v3, v4
.LBB248_104:
	s_or_b64 exec, exec, s[0:1]
	v_cmp_lt_u32_e32 vcc, 63, v0
	v_mov_b32_e32 v4, 0
	v_mov_b32_e32 v3, 0
	s_waitcnt lgkmcnt(0)
	s_barrier
	s_and_saveexec_b64 s[0:1], vcc
	s_cbranch_execz .LBB248_106
; %bb.105:
	v_lshl_add_u32 v3, v58, 2, -4
	ds_read_b32 v3, v3
.LBB248_106:
	s_or_b64 exec, exec, s[0:1]
	v_add_u32_e32 v5, -1, v57
	v_and_b32_e32 v6, 64, v57
	v_cmp_lt_i32_e32 vcc, v5, v6
	s_waitcnt lgkmcnt(0)
	v_add_u32_e32 v2, v3, v2
	ds_read_b32 v26, v4 offset:28
	v_cndmask_b32_e32 v5, v5, v57, vcc
	v_lshlrev_b32_e32 v5, 2, v5
	ds_bpermute_b32 v2, v5, v2
	s_and_saveexec_b64 s[0:1], s[18:19]
	s_cbranch_execz .LBB248_108
; %bb.107:
	v_mov_b32_e32 v4, 0
	v_mov_b32_e32 v27, 2
	s_waitcnt lgkmcnt(1)
	global_store_dwordx2 v4, v[26:27], s[36:37] offset:512 sc1
.LBB248_108:
	s_or_b64 exec, exec, s[0:1]
	v_cmp_eq_u32_e32 vcc, 0, v57
	v_mov_b32_e32 v54, 0
	s_waitcnt lgkmcnt(0)
	v_cndmask_b32_e32 v2, v2, v3, vcc
	v_cndmask_b32_e64 v2, v2, 0, s[18:19]
	v_add_u32_e32 v3, v2, v53
	v_add_u32_e32 v4, v3, v55
	;; [unrolled: 1-line block ×14, first 2 shown]
	s_barrier
.LBB248_109:
	v_add_u32_e32 v21, v26, v21
	v_sub_u32_e32 v2, v2, v54
	v_and_b32_e32 v49, 1, v18
	v_sub_u32_e32 v48, v21, v2
	v_cmp_eq_u32_e32 vcc, 1, v49
	v_lshrrev_b32_e32 v47, 8, v18
	v_lshrrev_b32_e32 v27, 8, v19
	v_cndmask_b32_e32 v2, v48, v2, vcc
	v_lshlrev_b32_e32 v2, 2, v2
	ds_write_b32 v2, v40
	v_sub_u32_e32 v2, v3, v54
	v_sub_u32_e32 v3, v21, v2
	v_and_b32_e32 v40, 1, v47
	v_add_u32_e32 v3, 1, v3
	v_cmp_eq_u32_e32 vcc, 1, v40
	v_lshrrev_b32_e32 v17, 8, v20
	s_add_u32 s0, s26, s24
	v_cndmask_b32_e32 v2, v3, v2, vcc
	v_lshlrev_b32_e32 v2, 2, v2
	ds_write_b32 v2, v41
	v_sub_u32_e32 v2, v4, v54
	v_mov_b32_e32 v4, 1
	v_sub_u32_e32 v3, v21, v2
	v_and_b32_sdwa v18, v4, v18 dst_sel:DWORD dst_unused:UNUSED_PAD src0_sel:DWORD src1_sel:WORD_1
	v_add_u32_e32 v3, 2, v3
	v_cmp_eq_u32_e32 vcc, 1, v18
	s_addc_u32 s1, s27, 0
	s_sub_u32 s0, s30, s0
	v_cndmask_b32_e32 v2, v3, v2, vcc
	v_lshlrev_b32_e32 v2, 2, v2
	ds_write_b32 v2, v38
	v_sub_u32_e32 v2, v5, v54
	v_sub_u32_e32 v3, v21, v2
	v_and_b32_e32 v5, 1, v46
	v_add_u32_e32 v3, 3, v3
	v_cmp_eq_u32_e32 vcc, 1, v5
	v_and_b32_e32 v5, 1, v19
	s_subb_u32 s1, s31, s1
	v_cndmask_b32_e32 v2, v3, v2, vcc
	v_lshlrev_b32_e32 v2, 2, v2
	ds_write_b32 v2, v39
	v_sub_u32_e32 v2, v6, v54
	v_sub_u32_e32 v3, v21, v2
	v_add_u32_e32 v3, 4, v3
	v_cmp_eq_u32_e32 vcc, 1, v5
	v_and_b32_e32 v5, 1, v27
	v_or_b32_e32 v52, 0x200, v0
	v_cndmask_b32_e32 v2, v3, v2, vcc
	v_lshlrev_b32_e32 v2, 2, v2
	ds_write_b32 v2, v36
	v_sub_u32_e32 v2, v7, v54
	v_sub_u32_e32 v3, v21, v2
	v_add_u32_e32 v3, 5, v3
	v_cmp_eq_u32_e32 vcc, 1, v5
	v_and_b32_sdwa v5, v4, v19 dst_sel:DWORD dst_unused:UNUSED_PAD src0_sel:DWORD src1_sel:WORD_1
	v_and_b32_sdwa v4, v4, v20 dst_sel:DWORD dst_unused:UNUSED_PAD src0_sel:DWORD src1_sel:WORD_1
	v_cndmask_b32_e32 v2, v3, v2, vcc
	v_lshlrev_b32_e32 v2, 2, v2
	ds_write_b32 v2, v37
	v_sub_u32_e32 v2, v8, v54
	v_sub_u32_e32 v3, v21, v2
	v_add_u32_e32 v3, 6, v3
	v_cmp_eq_u32_e32 vcc, 1, v5
	v_and_b32_e32 v5, 1, v45
	v_or_b32_e32 v48, 0x400, v0
	v_cndmask_b32_e32 v2, v3, v2, vcc
	v_lshlrev_b32_e32 v2, 2, v2
	ds_write_b32 v2, v34
	v_sub_u32_e32 v2, v9, v54
	v_sub_u32_e32 v3, v21, v2
	v_add_u32_e32 v3, 7, v3
	v_cmp_eq_u32_e32 vcc, 1, v5
	v_and_b32_e32 v5, 1, v20
	v_or_b32_e32 v46, 0x600, v0
	;; [unrolled: 9-line block ×3, first 2 shown]
	v_cndmask_b32_e32 v2, v3, v2, vcc
	v_lshlrev_b32_e32 v2, 2, v2
	ds_write_b32 v2, v32
	v_sub_u32_e32 v2, v11, v54
	v_sub_u32_e32 v3, v21, v2
	v_add_u32_e32 v3, 9, v3
	v_cmp_eq_u32_e32 vcc, 1, v5
	v_or_b32_e32 v36, 0xc00, v0
	v_or_b32_e32 v34, 0xe00, v0
	v_cndmask_b32_e32 v2, v3, v2, vcc
	v_lshlrev_b32_e32 v2, 2, v2
	ds_write_b32 v2, v33
	v_sub_u32_e32 v2, v12, v54
	v_sub_u32_e32 v3, v21, v2
	v_add_u32_e32 v3, 10, v3
	v_cmp_eq_u32_e32 vcc, 1, v4
	v_and_b32_e32 v4, 1, v43
	v_or_b32_e32 v18, 0x1400, v0
	v_cndmask_b32_e32 v2, v3, v2, vcc
	v_lshlrev_b32_e32 v2, 2, v2
	ds_write_b32 v2, v30
	v_sub_u32_e32 v2, v13, v54
	v_sub_u32_e32 v3, v21, v2
	v_add_u32_e32 v3, 11, v3
	v_cmp_eq_u32_e32 vcc, 1, v4
	v_or_b32_e32 v30, 0x1000, v0
	v_or_b32_e32 v12, 0x1800, v0
	v_cndmask_b32_e32 v2, v3, v2, vcc
	v_lshlrev_b32_e32 v2, 2, v2
	ds_write_b32 v2, v31
	v_sub_u32_e32 v2, v14, v54
	v_sub_u32_e32 v3, v21, v2
	v_add_u32_e32 v3, 12, v3
	v_cmp_eq_u32_e32 vcc, 1, v44
	v_or_b32_e32 v10, 0x1a00, v0
	;; [unrolled: 9-line block ×4, first 2 shown]
	s_nop 0
	v_cndmask_b32_e32 v2, v3, v2, vcc
	v_lshlrev_b32_e32 v2, 2, v2
	ds_write_b32 v2, v1
	s_waitcnt lgkmcnt(0)
	s_barrier
	ds_read2st64_b32 v[50:51], v22 offset1:8
	ds_read2st64_b32 v[44:45], v22 offset0:16 offset1:24
	ds_read2st64_b32 v[38:39], v22 offset0:32 offset1:40
	;; [unrolled: 1-line block ×6, first 2 shown]
	ds_read_b32 v56, v22 offset:28672
	v_mov_b32_e32 v1, 0
	v_mov_b32_e32 v55, v1
	;; [unrolled: 1-line block ×3, first 2 shown]
	s_waitcnt vmcnt(0)
	v_lshl_add_u64 v[2:3], v[24:25], 0, v[54:55]
	v_lshl_add_u64 v[6:7], s[0:1], 0, v[26:27]
	v_mov_b32_e32 v53, v1
	v_mov_b32_e32 v49, v1
	;; [unrolled: 1-line block ×14, first 2 shown]
	s_andn2_b64 vcc, exec, s[34:35]
	v_lshl_add_u64 v[6:7], v[6:7], 0, v[2:3]
	s_cbranch_vccnz .LBB248_174
; %bb.110:
	v_cmp_ge_u32_e32 vcc, v0, v26
                                        ; implicit-def: $vgpr22_vgpr23
	s_and_saveexec_b64 s[0:1], vcc
	s_xor_b64 s[0:1], exec, s[0:1]
; %bb.111:
	v_not_b32_e32 v22, v0
	v_ashrrev_i32_e32 v23, 31, v22
	v_lshl_add_u64 v[22:23], v[6:7], 0, v[22:23]
; %bb.112:
	s_andn2_saveexec_b64 s[0:1], s[0:1]
; %bb.113:
	v_lshl_add_u64 v[22:23], v[2:3], 0, v[0:1]
; %bb.114:
	s_or_b64 exec, exec, s[0:1]
	v_lshl_add_u64 v[22:23], v[22:23], 2, s[28:29]
	v_cmp_ge_u32_e32 vcc, v52, v26
	s_waitcnt lgkmcnt(7)
	global_store_dword v[22:23], v50, off
                                        ; implicit-def: $vgpr22_vgpr23
	s_and_saveexec_b64 s[0:1], vcc
	s_xor_b64 s[0:1], exec, s[0:1]
; %bb.115:
	v_xor_b32_e32 v22, 0xfffffdff, v0
	v_ashrrev_i32_e32 v23, 31, v22
	v_lshl_add_u64 v[22:23], v[6:7], 0, v[22:23]
; %bb.116:
	s_andn2_saveexec_b64 s[0:1], s[0:1]
; %bb.117:
	v_lshl_add_u64 v[22:23], v[2:3], 0, v[52:53]
; %bb.118:
	s_or_b64 exec, exec, s[0:1]
	v_lshl_add_u64 v[22:23], v[22:23], 2, s[28:29]
	v_cmp_ge_u32_e32 vcc, v48, v26
	global_store_dword v[22:23], v51, off
                                        ; implicit-def: $vgpr22_vgpr23
	s_and_saveexec_b64 s[0:1], vcc
	s_xor_b64 s[0:1], exec, s[0:1]
; %bb.119:
	v_xor_b32_e32 v22, 0xfffffbff, v0
	v_ashrrev_i32_e32 v23, 31, v22
	v_lshl_add_u64 v[22:23], v[6:7], 0, v[22:23]
; %bb.120:
	s_andn2_saveexec_b64 s[0:1], s[0:1]
; %bb.121:
	v_lshl_add_u64 v[22:23], v[2:3], 0, v[48:49]
; %bb.122:
	s_or_b64 exec, exec, s[0:1]
	v_lshl_add_u64 v[22:23], v[22:23], 2, s[28:29]
	v_cmp_ge_u32_e32 vcc, v46, v26
	s_waitcnt lgkmcnt(6)
	global_store_dword v[22:23], v44, off
                                        ; implicit-def: $vgpr22_vgpr23
	s_and_saveexec_b64 s[0:1], vcc
	s_xor_b64 s[0:1], exec, s[0:1]
; %bb.123:
	v_xor_b32_e32 v22, 0xfffff9ff, v0
	v_ashrrev_i32_e32 v23, 31, v22
	v_lshl_add_u64 v[22:23], v[6:7], 0, v[22:23]
; %bb.124:
	s_andn2_saveexec_b64 s[0:1], s[0:1]
; %bb.125:
	v_lshl_add_u64 v[22:23], v[2:3], 0, v[46:47]
; %bb.126:
	s_or_b64 exec, exec, s[0:1]
	v_lshl_add_u64 v[22:23], v[22:23], 2, s[28:29]
	v_cmp_ge_u32_e32 vcc, v42, v26
	global_store_dword v[22:23], v45, off
                                        ; implicit-def: $vgpr22_vgpr23
	s_and_saveexec_b64 s[0:1], vcc
	s_xor_b64 s[0:1], exec, s[0:1]
; %bb.127:
	v_xor_b32_e32 v22, 0xfffff7ff, v0
	;; [unrolled: 33-line block ×7, first 2 shown]
	v_ashrrev_i32_e32 v23, 31, v22
	v_lshl_add_u64 v[22:23], v[6:7], 0, v[22:23]
; %bb.168:
	s_andn2_saveexec_b64 s[0:1], s[0:1]
; %bb.169:
	v_lshl_add_u64 v[22:23], v[2:3], 0, v[4:5]
; %bb.170:
	s_or_b64 exec, exec, s[0:1]
	s_mov_b64 s[0:1], -1
.LBB248_171:
	s_and_saveexec_b64 s[2:3], s[0:1]
	s_cbranch_execz .LBB248_266
.LBB248_172:
	v_lshl_add_u64 v[0:1], v[22:23], 2, s[28:29]
	s_waitcnt lgkmcnt(0)
	global_store_dword v[0:1], v56, off
	s_or_b64 exec, exec, s[2:3]
	s_and_b64 s[0:1], s[18:19], s[22:23]
	s_and_saveexec_b64 s[2:3], s[0:1]
	s_cbranch_execnz .LBB248_267
.LBB248_173:
	s_endpgm
.LBB248_174:
	s_mov_b64 s[0:1], 0
                                        ; implicit-def: $vgpr22_vgpr23
	s_cbranch_execz .LBB248_171
; %bb.175:
	v_cmp_gt_u32_e32 vcc, s33, v0
	s_and_saveexec_b64 s[2:3], vcc
	s_cbranch_execz .LBB248_217
; %bb.176:
	v_cmp_ge_u32_e32 vcc, v0, v26
                                        ; implicit-def: $vgpr22_vgpr23
	s_and_saveexec_b64 s[4:5], vcc
	s_xor_b64 s[4:5], exec, s[4:5]
; %bb.177:
	v_not_b32_e32 v22, v0
	v_ashrrev_i32_e32 v23, 31, v22
	v_lshl_add_u64 v[22:23], v[6:7], 0, v[22:23]
; %bb.178:
	s_andn2_saveexec_b64 s[4:5], s[4:5]
; %bb.179:
	v_lshl_add_u64 v[22:23], v[2:3], 0, v[0:1]
; %bb.180:
	s_or_b64 exec, exec, s[4:5]
	v_lshl_add_u64 v[22:23], v[22:23], 2, s[28:29]
	s_waitcnt lgkmcnt(7)
	global_store_dword v[22:23], v50, off
	s_or_b64 exec, exec, s[2:3]
	v_cmp_gt_u32_e32 vcc, s33, v52
	s_and_saveexec_b64 s[2:3], vcc
	s_cbranch_execnz .LBB248_218
.LBB248_181:
	s_or_b64 exec, exec, s[2:3]
	v_cmp_gt_u32_e32 vcc, s33, v48
	s_and_saveexec_b64 s[2:3], vcc
	s_cbranch_execz .LBB248_223
.LBB248_182:
	v_cmp_ge_u32_e32 vcc, v48, v26
                                        ; implicit-def: $vgpr22_vgpr23
	s_and_saveexec_b64 s[4:5], vcc
	s_xor_b64 s[4:5], exec, s[4:5]
; %bb.183:
	v_xor_b32_e32 v22, 0xfffffbff, v0
	v_ashrrev_i32_e32 v23, 31, v22
	v_lshl_add_u64 v[22:23], v[6:7], 0, v[22:23]
                                        ; implicit-def: $vgpr48_vgpr49
; %bb.184:
	s_andn2_saveexec_b64 s[4:5], s[4:5]
; %bb.185:
	v_lshl_add_u64 v[22:23], v[2:3], 0, v[48:49]
; %bb.186:
	s_or_b64 exec, exec, s[4:5]
	v_lshl_add_u64 v[22:23], v[22:23], 2, s[28:29]
	s_waitcnt lgkmcnt(6)
	global_store_dword v[22:23], v44, off
	s_or_b64 exec, exec, s[2:3]
	v_cmp_gt_u32_e32 vcc, s33, v46
	s_and_saveexec_b64 s[2:3], vcc
	s_cbranch_execnz .LBB248_224
.LBB248_187:
	s_or_b64 exec, exec, s[2:3]
	v_cmp_gt_u32_e32 vcc, s33, v42
	s_and_saveexec_b64 s[2:3], vcc
	s_cbranch_execz .LBB248_229
.LBB248_188:
	v_cmp_ge_u32_e32 vcc, v42, v26
                                        ; implicit-def: $vgpr22_vgpr23
	s_and_saveexec_b64 s[4:5], vcc
	s_xor_b64 s[4:5], exec, s[4:5]
; %bb.189:
	v_xor_b32_e32 v22, 0xfffff7ff, v0
	v_ashrrev_i32_e32 v23, 31, v22
	v_lshl_add_u64 v[22:23], v[6:7], 0, v[22:23]
                                        ; implicit-def: $vgpr42_vgpr43
; %bb.190:
	s_andn2_saveexec_b64 s[4:5], s[4:5]
; %bb.191:
	v_lshl_add_u64 v[22:23], v[2:3], 0, v[42:43]
; %bb.192:
	s_or_b64 exec, exec, s[4:5]
	v_lshl_add_u64 v[22:23], v[22:23], 2, s[28:29]
	s_waitcnt lgkmcnt(5)
	global_store_dword v[22:23], v38, off
	s_or_b64 exec, exec, s[2:3]
	v_cmp_gt_u32_e32 vcc, s33, v40
	s_and_saveexec_b64 s[2:3], vcc
	s_cbranch_execnz .LBB248_230
.LBB248_193:
	s_or_b64 exec, exec, s[2:3]
	v_cmp_gt_u32_e32 vcc, s33, v36
	s_and_saveexec_b64 s[2:3], vcc
	s_cbranch_execz .LBB248_235
.LBB248_194:
	v_cmp_ge_u32_e32 vcc, v36, v26
                                        ; implicit-def: $vgpr22_vgpr23
	s_and_saveexec_b64 s[4:5], vcc
	s_xor_b64 s[4:5], exec, s[4:5]
; %bb.195:
	v_xor_b32_e32 v22, 0xfffff3ff, v0
	v_ashrrev_i32_e32 v23, 31, v22
	v_lshl_add_u64 v[22:23], v[6:7], 0, v[22:23]
                                        ; implicit-def: $vgpr36_vgpr37
; %bb.196:
	s_andn2_saveexec_b64 s[4:5], s[4:5]
; %bb.197:
	v_lshl_add_u64 v[22:23], v[2:3], 0, v[36:37]
; %bb.198:
	s_or_b64 exec, exec, s[4:5]
	v_lshl_add_u64 v[22:23], v[22:23], 2, s[28:29]
	s_waitcnt lgkmcnt(4)
	global_store_dword v[22:23], v32, off
	s_or_b64 exec, exec, s[2:3]
	v_cmp_gt_u32_e32 vcc, s33, v34
	s_and_saveexec_b64 s[2:3], vcc
	s_cbranch_execnz .LBB248_236
.LBB248_199:
	s_or_b64 exec, exec, s[2:3]
	v_cmp_gt_u32_e32 vcc, s33, v30
	s_and_saveexec_b64 s[2:3], vcc
	s_cbranch_execz .LBB248_241
.LBB248_200:
	v_cmp_ge_u32_e32 vcc, v30, v26
                                        ; implicit-def: $vgpr22_vgpr23
	s_and_saveexec_b64 s[4:5], vcc
	s_xor_b64 s[4:5], exec, s[4:5]
; %bb.201:
	v_xor_b32_e32 v22, 0xffffefff, v0
	v_ashrrev_i32_e32 v23, 31, v22
	v_lshl_add_u64 v[22:23], v[6:7], 0, v[22:23]
                                        ; implicit-def: $vgpr30_vgpr31
; %bb.202:
	s_andn2_saveexec_b64 s[4:5], s[4:5]
; %bb.203:
	v_lshl_add_u64 v[22:23], v[2:3], 0, v[30:31]
; %bb.204:
	s_or_b64 exec, exec, s[4:5]
	v_lshl_add_u64 v[22:23], v[22:23], 2, s[28:29]
	s_waitcnt lgkmcnt(3)
	global_store_dword v[22:23], v20, off
	s_or_b64 exec, exec, s[2:3]
	v_cmp_gt_u32_e32 vcc, s33, v28
	s_and_saveexec_b64 s[2:3], vcc
	s_cbranch_execnz .LBB248_242
.LBB248_205:
	s_or_b64 exec, exec, s[2:3]
	v_cmp_gt_u32_e32 vcc, s33, v18
	s_and_saveexec_b64 s[2:3], vcc
	s_cbranch_execz .LBB248_247
.LBB248_206:
	v_cmp_ge_u32_e32 vcc, v18, v26
                                        ; implicit-def: $vgpr20_vgpr21
	s_and_saveexec_b64 s[4:5], vcc
	s_xor_b64 s[4:5], exec, s[4:5]
	s_cbranch_execz .LBB248_208
; %bb.207:
	v_xor_b32_e32 v18, 0xffffebff, v0
	v_ashrrev_i32_e32 v19, 31, v18
	s_waitcnt lgkmcnt(3)
	v_lshl_add_u64 v[20:21], v[6:7], 0, v[18:19]
                                        ; implicit-def: $vgpr18_vgpr19
.LBB248_208:
	s_andn2_saveexec_b64 s[4:5], s[4:5]
	s_cbranch_execz .LBB248_210
; %bb.209:
	s_waitcnt lgkmcnt(3)
	v_lshl_add_u64 v[20:21], v[2:3], 0, v[18:19]
.LBB248_210:
	s_or_b64 exec, exec, s[4:5]
	s_waitcnt lgkmcnt(3)
	v_lshl_add_u64 v[18:19], v[20:21], 2, s[28:29]
	s_waitcnt lgkmcnt(2)
	global_store_dword v[18:19], v14, off
	s_or_b64 exec, exec, s[2:3]
	v_cmp_gt_u32_e32 vcc, s33, v16
	s_and_saveexec_b64 s[2:3], vcc
	s_cbranch_execnz .LBB248_248
.LBB248_211:
	s_or_b64 exec, exec, s[2:3]
	v_cmp_gt_u32_e32 vcc, s33, v12
	s_and_saveexec_b64 s[2:3], vcc
	s_cbranch_execz .LBB248_253
.LBB248_212:
	v_cmp_ge_u32_e32 vcc, v12, v26
                                        ; implicit-def: $vgpr14_vgpr15
	s_and_saveexec_b64 s[4:5], vcc
	s_xor_b64 s[4:5], exec, s[4:5]
	s_cbranch_execz .LBB248_214
; %bb.213:
	v_xor_b32_e32 v12, 0xffffe7ff, v0
	v_ashrrev_i32_e32 v13, 31, v12
	s_waitcnt lgkmcnt(2)
	v_lshl_add_u64 v[14:15], v[6:7], 0, v[12:13]
                                        ; implicit-def: $vgpr12_vgpr13
.LBB248_214:
	s_andn2_saveexec_b64 s[4:5], s[4:5]
	s_cbranch_execz .LBB248_216
; %bb.215:
	s_waitcnt lgkmcnt(2)
	v_lshl_add_u64 v[14:15], v[2:3], 0, v[12:13]
.LBB248_216:
	s_or_b64 exec, exec, s[4:5]
	s_waitcnt lgkmcnt(2)
	v_lshl_add_u64 v[12:13], v[14:15], 2, s[28:29]
	s_waitcnt lgkmcnt(1)
	global_store_dword v[12:13], v8, off
	s_or_b64 exec, exec, s[2:3]
	v_cmp_gt_u32_e32 vcc, s33, v10
	s_and_saveexec_b64 s[2:3], vcc
	s_cbranch_execz .LBB248_259
	s_branch .LBB248_254
.LBB248_217:
	s_or_b64 exec, exec, s[2:3]
	v_cmp_gt_u32_e32 vcc, s33, v52
	s_and_saveexec_b64 s[2:3], vcc
	s_cbranch_execz .LBB248_181
.LBB248_218:
	v_cmp_ge_u32_e32 vcc, v52, v26
                                        ; implicit-def: $vgpr22_vgpr23
	s_and_saveexec_b64 s[4:5], vcc
	s_xor_b64 s[4:5], exec, s[4:5]
; %bb.219:
	v_xor_b32_e32 v22, 0xfffffdff, v0
	v_ashrrev_i32_e32 v23, 31, v22
	v_lshl_add_u64 v[22:23], v[6:7], 0, v[22:23]
                                        ; implicit-def: $vgpr52_vgpr53
; %bb.220:
	s_andn2_saveexec_b64 s[4:5], s[4:5]
; %bb.221:
	v_lshl_add_u64 v[22:23], v[2:3], 0, v[52:53]
; %bb.222:
	s_or_b64 exec, exec, s[4:5]
	v_lshl_add_u64 v[22:23], v[22:23], 2, s[28:29]
	s_waitcnt lgkmcnt(7)
	global_store_dword v[22:23], v51, off
	s_or_b64 exec, exec, s[2:3]
	v_cmp_gt_u32_e32 vcc, s33, v48
	s_and_saveexec_b64 s[2:3], vcc
	s_cbranch_execnz .LBB248_182
.LBB248_223:
	s_or_b64 exec, exec, s[2:3]
	v_cmp_gt_u32_e32 vcc, s33, v46
	s_and_saveexec_b64 s[2:3], vcc
	s_cbranch_execz .LBB248_187
.LBB248_224:
	v_cmp_ge_u32_e32 vcc, v46, v26
                                        ; implicit-def: $vgpr22_vgpr23
	s_and_saveexec_b64 s[4:5], vcc
	s_xor_b64 s[4:5], exec, s[4:5]
; %bb.225:
	v_xor_b32_e32 v22, 0xfffff9ff, v0
	v_ashrrev_i32_e32 v23, 31, v22
	v_lshl_add_u64 v[22:23], v[6:7], 0, v[22:23]
                                        ; implicit-def: $vgpr46_vgpr47
; %bb.226:
	s_andn2_saveexec_b64 s[4:5], s[4:5]
; %bb.227:
	v_lshl_add_u64 v[22:23], v[2:3], 0, v[46:47]
; %bb.228:
	s_or_b64 exec, exec, s[4:5]
	v_lshl_add_u64 v[22:23], v[22:23], 2, s[28:29]
	s_waitcnt lgkmcnt(6)
	global_store_dword v[22:23], v45, off
	s_or_b64 exec, exec, s[2:3]
	v_cmp_gt_u32_e32 vcc, s33, v42
	s_and_saveexec_b64 s[2:3], vcc
	s_cbranch_execnz .LBB248_188
.LBB248_229:
	s_or_b64 exec, exec, s[2:3]
	v_cmp_gt_u32_e32 vcc, s33, v40
	s_and_saveexec_b64 s[2:3], vcc
	s_cbranch_execz .LBB248_193
.LBB248_230:
	v_cmp_ge_u32_e32 vcc, v40, v26
                                        ; implicit-def: $vgpr22_vgpr23
	s_and_saveexec_b64 s[4:5], vcc
	s_xor_b64 s[4:5], exec, s[4:5]
; %bb.231:
	v_xor_b32_e32 v22, 0xfffff5ff, v0
	v_ashrrev_i32_e32 v23, 31, v22
	v_lshl_add_u64 v[22:23], v[6:7], 0, v[22:23]
                                        ; implicit-def: $vgpr40_vgpr41
; %bb.232:
	s_andn2_saveexec_b64 s[4:5], s[4:5]
; %bb.233:
	v_lshl_add_u64 v[22:23], v[2:3], 0, v[40:41]
; %bb.234:
	s_or_b64 exec, exec, s[4:5]
	v_lshl_add_u64 v[22:23], v[22:23], 2, s[28:29]
	s_waitcnt lgkmcnt(5)
	global_store_dword v[22:23], v39, off
	s_or_b64 exec, exec, s[2:3]
	v_cmp_gt_u32_e32 vcc, s33, v36
	s_and_saveexec_b64 s[2:3], vcc
	s_cbranch_execnz .LBB248_194
.LBB248_235:
	s_or_b64 exec, exec, s[2:3]
	v_cmp_gt_u32_e32 vcc, s33, v34
	s_and_saveexec_b64 s[2:3], vcc
	s_cbranch_execz .LBB248_199
.LBB248_236:
	v_cmp_ge_u32_e32 vcc, v34, v26
                                        ; implicit-def: $vgpr22_vgpr23
	s_and_saveexec_b64 s[4:5], vcc
	s_xor_b64 s[4:5], exec, s[4:5]
; %bb.237:
	v_xor_b32_e32 v22, 0xfffff1ff, v0
	v_ashrrev_i32_e32 v23, 31, v22
	v_lshl_add_u64 v[22:23], v[6:7], 0, v[22:23]
                                        ; implicit-def: $vgpr34_vgpr35
; %bb.238:
	s_andn2_saveexec_b64 s[4:5], s[4:5]
; %bb.239:
	v_lshl_add_u64 v[22:23], v[2:3], 0, v[34:35]
; %bb.240:
	s_or_b64 exec, exec, s[4:5]
	v_lshl_add_u64 v[22:23], v[22:23], 2, s[28:29]
	s_waitcnt lgkmcnt(4)
	global_store_dword v[22:23], v33, off
	s_or_b64 exec, exec, s[2:3]
	v_cmp_gt_u32_e32 vcc, s33, v30
	s_and_saveexec_b64 s[2:3], vcc
	s_cbranch_execnz .LBB248_200
.LBB248_241:
	s_or_b64 exec, exec, s[2:3]
	v_cmp_gt_u32_e32 vcc, s33, v28
	s_and_saveexec_b64 s[2:3], vcc
	s_cbranch_execz .LBB248_205
.LBB248_242:
	v_cmp_ge_u32_e32 vcc, v28, v26
                                        ; implicit-def: $vgpr22_vgpr23
	s_and_saveexec_b64 s[4:5], vcc
	s_xor_b64 s[4:5], exec, s[4:5]
; %bb.243:
	v_xor_b32_e32 v22, 0xffffedff, v0
	v_ashrrev_i32_e32 v23, 31, v22
	v_lshl_add_u64 v[22:23], v[6:7], 0, v[22:23]
                                        ; implicit-def: $vgpr28_vgpr29
; %bb.244:
	s_andn2_saveexec_b64 s[4:5], s[4:5]
; %bb.245:
	v_lshl_add_u64 v[22:23], v[2:3], 0, v[28:29]
; %bb.246:
	s_or_b64 exec, exec, s[4:5]
	v_lshl_add_u64 v[22:23], v[22:23], 2, s[28:29]
	s_waitcnt lgkmcnt(3)
	global_store_dword v[22:23], v21, off
	s_or_b64 exec, exec, s[2:3]
	v_cmp_gt_u32_e32 vcc, s33, v18
	s_and_saveexec_b64 s[2:3], vcc
	s_cbranch_execnz .LBB248_206
.LBB248_247:
	s_or_b64 exec, exec, s[2:3]
	v_cmp_gt_u32_e32 vcc, s33, v16
	s_and_saveexec_b64 s[2:3], vcc
	s_cbranch_execz .LBB248_211
.LBB248_248:
	v_cmp_ge_u32_e32 vcc, v16, v26
                                        ; implicit-def: $vgpr18_vgpr19
	s_and_saveexec_b64 s[4:5], vcc
	s_xor_b64 s[4:5], exec, s[4:5]
; %bb.249:
	v_xor_b32_e32 v16, 0xffffe9ff, v0
	v_ashrrev_i32_e32 v17, 31, v16
	v_lshl_add_u64 v[18:19], v[6:7], 0, v[16:17]
                                        ; implicit-def: $vgpr16_vgpr17
; %bb.250:
	s_andn2_saveexec_b64 s[4:5], s[4:5]
; %bb.251:
	v_lshl_add_u64 v[18:19], v[2:3], 0, v[16:17]
; %bb.252:
	s_or_b64 exec, exec, s[4:5]
	v_lshl_add_u64 v[16:17], v[18:19], 2, s[28:29]
	s_waitcnt lgkmcnt(2)
	global_store_dword v[16:17], v15, off
	s_or_b64 exec, exec, s[2:3]
	v_cmp_gt_u32_e32 vcc, s33, v12
	s_and_saveexec_b64 s[2:3], vcc
	s_cbranch_execnz .LBB248_212
.LBB248_253:
	s_or_b64 exec, exec, s[2:3]
	v_cmp_gt_u32_e32 vcc, s33, v10
	s_and_saveexec_b64 s[2:3], vcc
	s_cbranch_execz .LBB248_259
.LBB248_254:
	v_cmp_ge_u32_e32 vcc, v10, v26
                                        ; implicit-def: $vgpr12_vgpr13
	s_and_saveexec_b64 s[4:5], vcc
	s_xor_b64 s[4:5], exec, s[4:5]
; %bb.255:
	v_xor_b32_e32 v10, 0xffffe5ff, v0
	v_ashrrev_i32_e32 v11, 31, v10
	v_lshl_add_u64 v[12:13], v[6:7], 0, v[10:11]
                                        ; implicit-def: $vgpr10_vgpr11
; %bb.256:
	s_andn2_saveexec_b64 s[4:5], s[4:5]
; %bb.257:
	v_lshl_add_u64 v[12:13], v[2:3], 0, v[10:11]
; %bb.258:
	s_or_b64 exec, exec, s[4:5]
	v_lshl_add_u64 v[10:11], v[12:13], 2, s[28:29]
	s_waitcnt lgkmcnt(1)
	global_store_dword v[10:11], v9, off
.LBB248_259:
	s_or_b64 exec, exec, s[2:3]
	v_cmp_gt_u32_e32 vcc, s33, v4
                                        ; implicit-def: $vgpr22_vgpr23
	s_and_saveexec_b64 s[2:3], vcc
	s_cbranch_execz .LBB248_265
; %bb.260:
	v_cmp_ge_u32_e32 vcc, v4, v26
                                        ; implicit-def: $vgpr22_vgpr23
	s_and_saveexec_b64 s[4:5], vcc
	s_xor_b64 s[4:5], exec, s[4:5]
; %bb.261:
	v_xor_b32_e32 v0, 0xffffe3ff, v0
	v_ashrrev_i32_e32 v1, 31, v0
	v_lshl_add_u64 v[22:23], v[6:7], 0, v[0:1]
                                        ; implicit-def: $vgpr4_vgpr5
; %bb.262:
	s_andn2_saveexec_b64 s[4:5], s[4:5]
; %bb.263:
	v_lshl_add_u64 v[22:23], v[2:3], 0, v[4:5]
; %bb.264:
	s_or_b64 exec, exec, s[4:5]
	s_or_b64 s[0:1], s[0:1], exec
.LBB248_265:
	s_or_b64 exec, exec, s[2:3]
	s_and_saveexec_b64 s[2:3], s[0:1]
	s_cbranch_execnz .LBB248_172
.LBB248_266:
	s_or_b64 exec, exec, s[2:3]
	s_and_b64 s[0:1], s[18:19], s[22:23]
	s_and_saveexec_b64 s[2:3], s[0:1]
	s_cbranch_execz .LBB248_173
.LBB248_267:
	v_mov_b32_e32 v4, 0
	v_lshl_add_u64 v[0:1], v[2:3], 0, v[26:27]
	global_store_dwordx2 v4, v[0:1], s[20:21]
	s_endpgm
	.section	.rodata,"a",@progbits
	.p2align	6, 0x0
	.amdhsa_kernel _ZN7rocprim17ROCPRIM_400000_NS6detail17trampoline_kernelINS0_14default_configENS1_25partition_config_selectorILNS1_17partition_subalgoE2EiNS0_10empty_typeEbEEZZNS1_14partition_implILS5_2ELb0ES3_jN6thrust23THRUST_200600_302600_NS6detail15normal_iteratorINSA_7pointerIiNSA_11hip_rocprim3tagENSA_11use_defaultESG_EEEEPS6_NSA_18transform_iteratorI7is_evenIiENSC_INSA_10device_ptrIiEEEESG_SG_EENS0_5tupleIJPiSJ_EEENSR_IJSJ_SJ_EEES6_PlJS6_EEE10hipError_tPvRmT3_T4_T5_T6_T7_T9_mT8_P12ihipStream_tbDpT10_ENKUlT_T0_E_clISt17integral_constantIbLb0EES1E_IbLb1EEEEDaS1A_S1B_EUlS1A_E_NS1_11comp_targetILNS1_3genE5ELNS1_11target_archE942ELNS1_3gpuE9ELNS1_3repE0EEENS1_30default_config_static_selectorELNS0_4arch9wavefront6targetE1EEEvT1_
		.amdhsa_group_segment_fixed_size 30728
		.amdhsa_private_segment_fixed_size 0
		.amdhsa_kernarg_size 144
		.amdhsa_user_sgpr_count 2
		.amdhsa_user_sgpr_dispatch_ptr 0
		.amdhsa_user_sgpr_queue_ptr 0
		.amdhsa_user_sgpr_kernarg_segment_ptr 1
		.amdhsa_user_sgpr_dispatch_id 0
		.amdhsa_user_sgpr_kernarg_preload_length 0
		.amdhsa_user_sgpr_kernarg_preload_offset 0
		.amdhsa_user_sgpr_private_segment_size 0
		.amdhsa_uses_dynamic_stack 0
		.amdhsa_enable_private_segment 0
		.amdhsa_system_sgpr_workgroup_id_x 1
		.amdhsa_system_sgpr_workgroup_id_y 0
		.amdhsa_system_sgpr_workgroup_id_z 0
		.amdhsa_system_sgpr_workgroup_info 0
		.amdhsa_system_vgpr_workitem_id 0
		.amdhsa_next_free_vgpr 67
		.amdhsa_next_free_sgpr 46
		.amdhsa_accum_offset 68
		.amdhsa_reserve_vcc 1
		.amdhsa_float_round_mode_32 0
		.amdhsa_float_round_mode_16_64 0
		.amdhsa_float_denorm_mode_32 3
		.amdhsa_float_denorm_mode_16_64 3
		.amdhsa_dx10_clamp 1
		.amdhsa_ieee_mode 1
		.amdhsa_fp16_overflow 0
		.amdhsa_tg_split 0
		.amdhsa_exception_fp_ieee_invalid_op 0
		.amdhsa_exception_fp_denorm_src 0
		.amdhsa_exception_fp_ieee_div_zero 0
		.amdhsa_exception_fp_ieee_overflow 0
		.amdhsa_exception_fp_ieee_underflow 0
		.amdhsa_exception_fp_ieee_inexact 0
		.amdhsa_exception_int_div_zero 0
	.end_amdhsa_kernel
	.section	.text._ZN7rocprim17ROCPRIM_400000_NS6detail17trampoline_kernelINS0_14default_configENS1_25partition_config_selectorILNS1_17partition_subalgoE2EiNS0_10empty_typeEbEEZZNS1_14partition_implILS5_2ELb0ES3_jN6thrust23THRUST_200600_302600_NS6detail15normal_iteratorINSA_7pointerIiNSA_11hip_rocprim3tagENSA_11use_defaultESG_EEEEPS6_NSA_18transform_iteratorI7is_evenIiENSC_INSA_10device_ptrIiEEEESG_SG_EENS0_5tupleIJPiSJ_EEENSR_IJSJ_SJ_EEES6_PlJS6_EEE10hipError_tPvRmT3_T4_T5_T6_T7_T9_mT8_P12ihipStream_tbDpT10_ENKUlT_T0_E_clISt17integral_constantIbLb0EES1E_IbLb1EEEEDaS1A_S1B_EUlS1A_E_NS1_11comp_targetILNS1_3genE5ELNS1_11target_archE942ELNS1_3gpuE9ELNS1_3repE0EEENS1_30default_config_static_selectorELNS0_4arch9wavefront6targetE1EEEvT1_,"axG",@progbits,_ZN7rocprim17ROCPRIM_400000_NS6detail17trampoline_kernelINS0_14default_configENS1_25partition_config_selectorILNS1_17partition_subalgoE2EiNS0_10empty_typeEbEEZZNS1_14partition_implILS5_2ELb0ES3_jN6thrust23THRUST_200600_302600_NS6detail15normal_iteratorINSA_7pointerIiNSA_11hip_rocprim3tagENSA_11use_defaultESG_EEEEPS6_NSA_18transform_iteratorI7is_evenIiENSC_INSA_10device_ptrIiEEEESG_SG_EENS0_5tupleIJPiSJ_EEENSR_IJSJ_SJ_EEES6_PlJS6_EEE10hipError_tPvRmT3_T4_T5_T6_T7_T9_mT8_P12ihipStream_tbDpT10_ENKUlT_T0_E_clISt17integral_constantIbLb0EES1E_IbLb1EEEEDaS1A_S1B_EUlS1A_E_NS1_11comp_targetILNS1_3genE5ELNS1_11target_archE942ELNS1_3gpuE9ELNS1_3repE0EEENS1_30default_config_static_selectorELNS0_4arch9wavefront6targetE1EEEvT1_,comdat
.Lfunc_end248:
	.size	_ZN7rocprim17ROCPRIM_400000_NS6detail17trampoline_kernelINS0_14default_configENS1_25partition_config_selectorILNS1_17partition_subalgoE2EiNS0_10empty_typeEbEEZZNS1_14partition_implILS5_2ELb0ES3_jN6thrust23THRUST_200600_302600_NS6detail15normal_iteratorINSA_7pointerIiNSA_11hip_rocprim3tagENSA_11use_defaultESG_EEEEPS6_NSA_18transform_iteratorI7is_evenIiENSC_INSA_10device_ptrIiEEEESG_SG_EENS0_5tupleIJPiSJ_EEENSR_IJSJ_SJ_EEES6_PlJS6_EEE10hipError_tPvRmT3_T4_T5_T6_T7_T9_mT8_P12ihipStream_tbDpT10_ENKUlT_T0_E_clISt17integral_constantIbLb0EES1E_IbLb1EEEEDaS1A_S1B_EUlS1A_E_NS1_11comp_targetILNS1_3genE5ELNS1_11target_archE942ELNS1_3gpuE9ELNS1_3repE0EEENS1_30default_config_static_selectorELNS0_4arch9wavefront6targetE1EEEvT1_, .Lfunc_end248-_ZN7rocprim17ROCPRIM_400000_NS6detail17trampoline_kernelINS0_14default_configENS1_25partition_config_selectorILNS1_17partition_subalgoE2EiNS0_10empty_typeEbEEZZNS1_14partition_implILS5_2ELb0ES3_jN6thrust23THRUST_200600_302600_NS6detail15normal_iteratorINSA_7pointerIiNSA_11hip_rocprim3tagENSA_11use_defaultESG_EEEEPS6_NSA_18transform_iteratorI7is_evenIiENSC_INSA_10device_ptrIiEEEESG_SG_EENS0_5tupleIJPiSJ_EEENSR_IJSJ_SJ_EEES6_PlJS6_EEE10hipError_tPvRmT3_T4_T5_T6_T7_T9_mT8_P12ihipStream_tbDpT10_ENKUlT_T0_E_clISt17integral_constantIbLb0EES1E_IbLb1EEEEDaS1A_S1B_EUlS1A_E_NS1_11comp_targetILNS1_3genE5ELNS1_11target_archE942ELNS1_3gpuE9ELNS1_3repE0EEENS1_30default_config_static_selectorELNS0_4arch9wavefront6targetE1EEEvT1_
                                        ; -- End function
	.section	.AMDGPU.csdata,"",@progbits
; Kernel info:
; codeLenInByte = 8680
; NumSgprs: 52
; NumVgprs: 67
; NumAgprs: 0
; TotalNumVgprs: 67
; ScratchSize: 0
; MemoryBound: 0
; FloatMode: 240
; IeeeMode: 1
; LDSByteSize: 30728 bytes/workgroup (compile time only)
; SGPRBlocks: 6
; VGPRBlocks: 8
; NumSGPRsForWavesPerEU: 52
; NumVGPRsForWavesPerEU: 67
; AccumOffset: 68
; Occupancy: 4
; WaveLimiterHint : 1
; COMPUTE_PGM_RSRC2:SCRATCH_EN: 0
; COMPUTE_PGM_RSRC2:USER_SGPR: 2
; COMPUTE_PGM_RSRC2:TRAP_HANDLER: 0
; COMPUTE_PGM_RSRC2:TGID_X_EN: 1
; COMPUTE_PGM_RSRC2:TGID_Y_EN: 0
; COMPUTE_PGM_RSRC2:TGID_Z_EN: 0
; COMPUTE_PGM_RSRC2:TIDIG_COMP_CNT: 0
; COMPUTE_PGM_RSRC3_GFX90A:ACCUM_OFFSET: 16
; COMPUTE_PGM_RSRC3_GFX90A:TG_SPLIT: 0
	.section	.text._ZN7rocprim17ROCPRIM_400000_NS6detail17trampoline_kernelINS0_14default_configENS1_25partition_config_selectorILNS1_17partition_subalgoE2EiNS0_10empty_typeEbEEZZNS1_14partition_implILS5_2ELb0ES3_jN6thrust23THRUST_200600_302600_NS6detail15normal_iteratorINSA_7pointerIiNSA_11hip_rocprim3tagENSA_11use_defaultESG_EEEEPS6_NSA_18transform_iteratorI7is_evenIiENSC_INSA_10device_ptrIiEEEESG_SG_EENS0_5tupleIJPiSJ_EEENSR_IJSJ_SJ_EEES6_PlJS6_EEE10hipError_tPvRmT3_T4_T5_T6_T7_T9_mT8_P12ihipStream_tbDpT10_ENKUlT_T0_E_clISt17integral_constantIbLb0EES1E_IbLb1EEEEDaS1A_S1B_EUlS1A_E_NS1_11comp_targetILNS1_3genE4ELNS1_11target_archE910ELNS1_3gpuE8ELNS1_3repE0EEENS1_30default_config_static_selectorELNS0_4arch9wavefront6targetE1EEEvT1_,"axG",@progbits,_ZN7rocprim17ROCPRIM_400000_NS6detail17trampoline_kernelINS0_14default_configENS1_25partition_config_selectorILNS1_17partition_subalgoE2EiNS0_10empty_typeEbEEZZNS1_14partition_implILS5_2ELb0ES3_jN6thrust23THRUST_200600_302600_NS6detail15normal_iteratorINSA_7pointerIiNSA_11hip_rocprim3tagENSA_11use_defaultESG_EEEEPS6_NSA_18transform_iteratorI7is_evenIiENSC_INSA_10device_ptrIiEEEESG_SG_EENS0_5tupleIJPiSJ_EEENSR_IJSJ_SJ_EEES6_PlJS6_EEE10hipError_tPvRmT3_T4_T5_T6_T7_T9_mT8_P12ihipStream_tbDpT10_ENKUlT_T0_E_clISt17integral_constantIbLb0EES1E_IbLb1EEEEDaS1A_S1B_EUlS1A_E_NS1_11comp_targetILNS1_3genE4ELNS1_11target_archE910ELNS1_3gpuE8ELNS1_3repE0EEENS1_30default_config_static_selectorELNS0_4arch9wavefront6targetE1EEEvT1_,comdat
	.protected	_ZN7rocprim17ROCPRIM_400000_NS6detail17trampoline_kernelINS0_14default_configENS1_25partition_config_selectorILNS1_17partition_subalgoE2EiNS0_10empty_typeEbEEZZNS1_14partition_implILS5_2ELb0ES3_jN6thrust23THRUST_200600_302600_NS6detail15normal_iteratorINSA_7pointerIiNSA_11hip_rocprim3tagENSA_11use_defaultESG_EEEEPS6_NSA_18transform_iteratorI7is_evenIiENSC_INSA_10device_ptrIiEEEESG_SG_EENS0_5tupleIJPiSJ_EEENSR_IJSJ_SJ_EEES6_PlJS6_EEE10hipError_tPvRmT3_T4_T5_T6_T7_T9_mT8_P12ihipStream_tbDpT10_ENKUlT_T0_E_clISt17integral_constantIbLb0EES1E_IbLb1EEEEDaS1A_S1B_EUlS1A_E_NS1_11comp_targetILNS1_3genE4ELNS1_11target_archE910ELNS1_3gpuE8ELNS1_3repE0EEENS1_30default_config_static_selectorELNS0_4arch9wavefront6targetE1EEEvT1_ ; -- Begin function _ZN7rocprim17ROCPRIM_400000_NS6detail17trampoline_kernelINS0_14default_configENS1_25partition_config_selectorILNS1_17partition_subalgoE2EiNS0_10empty_typeEbEEZZNS1_14partition_implILS5_2ELb0ES3_jN6thrust23THRUST_200600_302600_NS6detail15normal_iteratorINSA_7pointerIiNSA_11hip_rocprim3tagENSA_11use_defaultESG_EEEEPS6_NSA_18transform_iteratorI7is_evenIiENSC_INSA_10device_ptrIiEEEESG_SG_EENS0_5tupleIJPiSJ_EEENSR_IJSJ_SJ_EEES6_PlJS6_EEE10hipError_tPvRmT3_T4_T5_T6_T7_T9_mT8_P12ihipStream_tbDpT10_ENKUlT_T0_E_clISt17integral_constantIbLb0EES1E_IbLb1EEEEDaS1A_S1B_EUlS1A_E_NS1_11comp_targetILNS1_3genE4ELNS1_11target_archE910ELNS1_3gpuE8ELNS1_3repE0EEENS1_30default_config_static_selectorELNS0_4arch9wavefront6targetE1EEEvT1_
	.globl	_ZN7rocprim17ROCPRIM_400000_NS6detail17trampoline_kernelINS0_14default_configENS1_25partition_config_selectorILNS1_17partition_subalgoE2EiNS0_10empty_typeEbEEZZNS1_14partition_implILS5_2ELb0ES3_jN6thrust23THRUST_200600_302600_NS6detail15normal_iteratorINSA_7pointerIiNSA_11hip_rocprim3tagENSA_11use_defaultESG_EEEEPS6_NSA_18transform_iteratorI7is_evenIiENSC_INSA_10device_ptrIiEEEESG_SG_EENS0_5tupleIJPiSJ_EEENSR_IJSJ_SJ_EEES6_PlJS6_EEE10hipError_tPvRmT3_T4_T5_T6_T7_T9_mT8_P12ihipStream_tbDpT10_ENKUlT_T0_E_clISt17integral_constantIbLb0EES1E_IbLb1EEEEDaS1A_S1B_EUlS1A_E_NS1_11comp_targetILNS1_3genE4ELNS1_11target_archE910ELNS1_3gpuE8ELNS1_3repE0EEENS1_30default_config_static_selectorELNS0_4arch9wavefront6targetE1EEEvT1_
	.p2align	8
	.type	_ZN7rocprim17ROCPRIM_400000_NS6detail17trampoline_kernelINS0_14default_configENS1_25partition_config_selectorILNS1_17partition_subalgoE2EiNS0_10empty_typeEbEEZZNS1_14partition_implILS5_2ELb0ES3_jN6thrust23THRUST_200600_302600_NS6detail15normal_iteratorINSA_7pointerIiNSA_11hip_rocprim3tagENSA_11use_defaultESG_EEEEPS6_NSA_18transform_iteratorI7is_evenIiENSC_INSA_10device_ptrIiEEEESG_SG_EENS0_5tupleIJPiSJ_EEENSR_IJSJ_SJ_EEES6_PlJS6_EEE10hipError_tPvRmT3_T4_T5_T6_T7_T9_mT8_P12ihipStream_tbDpT10_ENKUlT_T0_E_clISt17integral_constantIbLb0EES1E_IbLb1EEEEDaS1A_S1B_EUlS1A_E_NS1_11comp_targetILNS1_3genE4ELNS1_11target_archE910ELNS1_3gpuE8ELNS1_3repE0EEENS1_30default_config_static_selectorELNS0_4arch9wavefront6targetE1EEEvT1_,@function
_ZN7rocprim17ROCPRIM_400000_NS6detail17trampoline_kernelINS0_14default_configENS1_25partition_config_selectorILNS1_17partition_subalgoE2EiNS0_10empty_typeEbEEZZNS1_14partition_implILS5_2ELb0ES3_jN6thrust23THRUST_200600_302600_NS6detail15normal_iteratorINSA_7pointerIiNSA_11hip_rocprim3tagENSA_11use_defaultESG_EEEEPS6_NSA_18transform_iteratorI7is_evenIiENSC_INSA_10device_ptrIiEEEESG_SG_EENS0_5tupleIJPiSJ_EEENSR_IJSJ_SJ_EEES6_PlJS6_EEE10hipError_tPvRmT3_T4_T5_T6_T7_T9_mT8_P12ihipStream_tbDpT10_ENKUlT_T0_E_clISt17integral_constantIbLb0EES1E_IbLb1EEEEDaS1A_S1B_EUlS1A_E_NS1_11comp_targetILNS1_3genE4ELNS1_11target_archE910ELNS1_3gpuE8ELNS1_3repE0EEENS1_30default_config_static_selectorELNS0_4arch9wavefront6targetE1EEEvT1_: ; @_ZN7rocprim17ROCPRIM_400000_NS6detail17trampoline_kernelINS0_14default_configENS1_25partition_config_selectorILNS1_17partition_subalgoE2EiNS0_10empty_typeEbEEZZNS1_14partition_implILS5_2ELb0ES3_jN6thrust23THRUST_200600_302600_NS6detail15normal_iteratorINSA_7pointerIiNSA_11hip_rocprim3tagENSA_11use_defaultESG_EEEEPS6_NSA_18transform_iteratorI7is_evenIiENSC_INSA_10device_ptrIiEEEESG_SG_EENS0_5tupleIJPiSJ_EEENSR_IJSJ_SJ_EEES6_PlJS6_EEE10hipError_tPvRmT3_T4_T5_T6_T7_T9_mT8_P12ihipStream_tbDpT10_ENKUlT_T0_E_clISt17integral_constantIbLb0EES1E_IbLb1EEEEDaS1A_S1B_EUlS1A_E_NS1_11comp_targetILNS1_3genE4ELNS1_11target_archE910ELNS1_3gpuE8ELNS1_3repE0EEENS1_30default_config_static_selectorELNS0_4arch9wavefront6targetE1EEEvT1_
; %bb.0:
	.section	.rodata,"a",@progbits
	.p2align	6, 0x0
	.amdhsa_kernel _ZN7rocprim17ROCPRIM_400000_NS6detail17trampoline_kernelINS0_14default_configENS1_25partition_config_selectorILNS1_17partition_subalgoE2EiNS0_10empty_typeEbEEZZNS1_14partition_implILS5_2ELb0ES3_jN6thrust23THRUST_200600_302600_NS6detail15normal_iteratorINSA_7pointerIiNSA_11hip_rocprim3tagENSA_11use_defaultESG_EEEEPS6_NSA_18transform_iteratorI7is_evenIiENSC_INSA_10device_ptrIiEEEESG_SG_EENS0_5tupleIJPiSJ_EEENSR_IJSJ_SJ_EEES6_PlJS6_EEE10hipError_tPvRmT3_T4_T5_T6_T7_T9_mT8_P12ihipStream_tbDpT10_ENKUlT_T0_E_clISt17integral_constantIbLb0EES1E_IbLb1EEEEDaS1A_S1B_EUlS1A_E_NS1_11comp_targetILNS1_3genE4ELNS1_11target_archE910ELNS1_3gpuE8ELNS1_3repE0EEENS1_30default_config_static_selectorELNS0_4arch9wavefront6targetE1EEEvT1_
		.amdhsa_group_segment_fixed_size 0
		.amdhsa_private_segment_fixed_size 0
		.amdhsa_kernarg_size 144
		.amdhsa_user_sgpr_count 2
		.amdhsa_user_sgpr_dispatch_ptr 0
		.amdhsa_user_sgpr_queue_ptr 0
		.amdhsa_user_sgpr_kernarg_segment_ptr 1
		.amdhsa_user_sgpr_dispatch_id 0
		.amdhsa_user_sgpr_kernarg_preload_length 0
		.amdhsa_user_sgpr_kernarg_preload_offset 0
		.amdhsa_user_sgpr_private_segment_size 0
		.amdhsa_uses_dynamic_stack 0
		.amdhsa_enable_private_segment 0
		.amdhsa_system_sgpr_workgroup_id_x 1
		.amdhsa_system_sgpr_workgroup_id_y 0
		.amdhsa_system_sgpr_workgroup_id_z 0
		.amdhsa_system_sgpr_workgroup_info 0
		.amdhsa_system_vgpr_workitem_id 0
		.amdhsa_next_free_vgpr 1
		.amdhsa_next_free_sgpr 0
		.amdhsa_accum_offset 4
		.amdhsa_reserve_vcc 0
		.amdhsa_float_round_mode_32 0
		.amdhsa_float_round_mode_16_64 0
		.amdhsa_float_denorm_mode_32 3
		.amdhsa_float_denorm_mode_16_64 3
		.amdhsa_dx10_clamp 1
		.amdhsa_ieee_mode 1
		.amdhsa_fp16_overflow 0
		.amdhsa_tg_split 0
		.amdhsa_exception_fp_ieee_invalid_op 0
		.amdhsa_exception_fp_denorm_src 0
		.amdhsa_exception_fp_ieee_div_zero 0
		.amdhsa_exception_fp_ieee_overflow 0
		.amdhsa_exception_fp_ieee_underflow 0
		.amdhsa_exception_fp_ieee_inexact 0
		.amdhsa_exception_int_div_zero 0
	.end_amdhsa_kernel
	.section	.text._ZN7rocprim17ROCPRIM_400000_NS6detail17trampoline_kernelINS0_14default_configENS1_25partition_config_selectorILNS1_17partition_subalgoE2EiNS0_10empty_typeEbEEZZNS1_14partition_implILS5_2ELb0ES3_jN6thrust23THRUST_200600_302600_NS6detail15normal_iteratorINSA_7pointerIiNSA_11hip_rocprim3tagENSA_11use_defaultESG_EEEEPS6_NSA_18transform_iteratorI7is_evenIiENSC_INSA_10device_ptrIiEEEESG_SG_EENS0_5tupleIJPiSJ_EEENSR_IJSJ_SJ_EEES6_PlJS6_EEE10hipError_tPvRmT3_T4_T5_T6_T7_T9_mT8_P12ihipStream_tbDpT10_ENKUlT_T0_E_clISt17integral_constantIbLb0EES1E_IbLb1EEEEDaS1A_S1B_EUlS1A_E_NS1_11comp_targetILNS1_3genE4ELNS1_11target_archE910ELNS1_3gpuE8ELNS1_3repE0EEENS1_30default_config_static_selectorELNS0_4arch9wavefront6targetE1EEEvT1_,"axG",@progbits,_ZN7rocprim17ROCPRIM_400000_NS6detail17trampoline_kernelINS0_14default_configENS1_25partition_config_selectorILNS1_17partition_subalgoE2EiNS0_10empty_typeEbEEZZNS1_14partition_implILS5_2ELb0ES3_jN6thrust23THRUST_200600_302600_NS6detail15normal_iteratorINSA_7pointerIiNSA_11hip_rocprim3tagENSA_11use_defaultESG_EEEEPS6_NSA_18transform_iteratorI7is_evenIiENSC_INSA_10device_ptrIiEEEESG_SG_EENS0_5tupleIJPiSJ_EEENSR_IJSJ_SJ_EEES6_PlJS6_EEE10hipError_tPvRmT3_T4_T5_T6_T7_T9_mT8_P12ihipStream_tbDpT10_ENKUlT_T0_E_clISt17integral_constantIbLb0EES1E_IbLb1EEEEDaS1A_S1B_EUlS1A_E_NS1_11comp_targetILNS1_3genE4ELNS1_11target_archE910ELNS1_3gpuE8ELNS1_3repE0EEENS1_30default_config_static_selectorELNS0_4arch9wavefront6targetE1EEEvT1_,comdat
.Lfunc_end249:
	.size	_ZN7rocprim17ROCPRIM_400000_NS6detail17trampoline_kernelINS0_14default_configENS1_25partition_config_selectorILNS1_17partition_subalgoE2EiNS0_10empty_typeEbEEZZNS1_14partition_implILS5_2ELb0ES3_jN6thrust23THRUST_200600_302600_NS6detail15normal_iteratorINSA_7pointerIiNSA_11hip_rocprim3tagENSA_11use_defaultESG_EEEEPS6_NSA_18transform_iteratorI7is_evenIiENSC_INSA_10device_ptrIiEEEESG_SG_EENS0_5tupleIJPiSJ_EEENSR_IJSJ_SJ_EEES6_PlJS6_EEE10hipError_tPvRmT3_T4_T5_T6_T7_T9_mT8_P12ihipStream_tbDpT10_ENKUlT_T0_E_clISt17integral_constantIbLb0EES1E_IbLb1EEEEDaS1A_S1B_EUlS1A_E_NS1_11comp_targetILNS1_3genE4ELNS1_11target_archE910ELNS1_3gpuE8ELNS1_3repE0EEENS1_30default_config_static_selectorELNS0_4arch9wavefront6targetE1EEEvT1_, .Lfunc_end249-_ZN7rocprim17ROCPRIM_400000_NS6detail17trampoline_kernelINS0_14default_configENS1_25partition_config_selectorILNS1_17partition_subalgoE2EiNS0_10empty_typeEbEEZZNS1_14partition_implILS5_2ELb0ES3_jN6thrust23THRUST_200600_302600_NS6detail15normal_iteratorINSA_7pointerIiNSA_11hip_rocprim3tagENSA_11use_defaultESG_EEEEPS6_NSA_18transform_iteratorI7is_evenIiENSC_INSA_10device_ptrIiEEEESG_SG_EENS0_5tupleIJPiSJ_EEENSR_IJSJ_SJ_EEES6_PlJS6_EEE10hipError_tPvRmT3_T4_T5_T6_T7_T9_mT8_P12ihipStream_tbDpT10_ENKUlT_T0_E_clISt17integral_constantIbLb0EES1E_IbLb1EEEEDaS1A_S1B_EUlS1A_E_NS1_11comp_targetILNS1_3genE4ELNS1_11target_archE910ELNS1_3gpuE8ELNS1_3repE0EEENS1_30default_config_static_selectorELNS0_4arch9wavefront6targetE1EEEvT1_
                                        ; -- End function
	.section	.AMDGPU.csdata,"",@progbits
; Kernel info:
; codeLenInByte = 0
; NumSgprs: 6
; NumVgprs: 0
; NumAgprs: 0
; TotalNumVgprs: 0
; ScratchSize: 0
; MemoryBound: 0
; FloatMode: 240
; IeeeMode: 1
; LDSByteSize: 0 bytes/workgroup (compile time only)
; SGPRBlocks: 0
; VGPRBlocks: 0
; NumSGPRsForWavesPerEU: 6
; NumVGPRsForWavesPerEU: 1
; AccumOffset: 4
; Occupancy: 8
; WaveLimiterHint : 0
; COMPUTE_PGM_RSRC2:SCRATCH_EN: 0
; COMPUTE_PGM_RSRC2:USER_SGPR: 2
; COMPUTE_PGM_RSRC2:TRAP_HANDLER: 0
; COMPUTE_PGM_RSRC2:TGID_X_EN: 1
; COMPUTE_PGM_RSRC2:TGID_Y_EN: 0
; COMPUTE_PGM_RSRC2:TGID_Z_EN: 0
; COMPUTE_PGM_RSRC2:TIDIG_COMP_CNT: 0
; COMPUTE_PGM_RSRC3_GFX90A:ACCUM_OFFSET: 0
; COMPUTE_PGM_RSRC3_GFX90A:TG_SPLIT: 0
	.section	.text._ZN7rocprim17ROCPRIM_400000_NS6detail17trampoline_kernelINS0_14default_configENS1_25partition_config_selectorILNS1_17partition_subalgoE2EiNS0_10empty_typeEbEEZZNS1_14partition_implILS5_2ELb0ES3_jN6thrust23THRUST_200600_302600_NS6detail15normal_iteratorINSA_7pointerIiNSA_11hip_rocprim3tagENSA_11use_defaultESG_EEEEPS6_NSA_18transform_iteratorI7is_evenIiENSC_INSA_10device_ptrIiEEEESG_SG_EENS0_5tupleIJPiSJ_EEENSR_IJSJ_SJ_EEES6_PlJS6_EEE10hipError_tPvRmT3_T4_T5_T6_T7_T9_mT8_P12ihipStream_tbDpT10_ENKUlT_T0_E_clISt17integral_constantIbLb0EES1E_IbLb1EEEEDaS1A_S1B_EUlS1A_E_NS1_11comp_targetILNS1_3genE3ELNS1_11target_archE908ELNS1_3gpuE7ELNS1_3repE0EEENS1_30default_config_static_selectorELNS0_4arch9wavefront6targetE1EEEvT1_,"axG",@progbits,_ZN7rocprim17ROCPRIM_400000_NS6detail17trampoline_kernelINS0_14default_configENS1_25partition_config_selectorILNS1_17partition_subalgoE2EiNS0_10empty_typeEbEEZZNS1_14partition_implILS5_2ELb0ES3_jN6thrust23THRUST_200600_302600_NS6detail15normal_iteratorINSA_7pointerIiNSA_11hip_rocprim3tagENSA_11use_defaultESG_EEEEPS6_NSA_18transform_iteratorI7is_evenIiENSC_INSA_10device_ptrIiEEEESG_SG_EENS0_5tupleIJPiSJ_EEENSR_IJSJ_SJ_EEES6_PlJS6_EEE10hipError_tPvRmT3_T4_T5_T6_T7_T9_mT8_P12ihipStream_tbDpT10_ENKUlT_T0_E_clISt17integral_constantIbLb0EES1E_IbLb1EEEEDaS1A_S1B_EUlS1A_E_NS1_11comp_targetILNS1_3genE3ELNS1_11target_archE908ELNS1_3gpuE7ELNS1_3repE0EEENS1_30default_config_static_selectorELNS0_4arch9wavefront6targetE1EEEvT1_,comdat
	.protected	_ZN7rocprim17ROCPRIM_400000_NS6detail17trampoline_kernelINS0_14default_configENS1_25partition_config_selectorILNS1_17partition_subalgoE2EiNS0_10empty_typeEbEEZZNS1_14partition_implILS5_2ELb0ES3_jN6thrust23THRUST_200600_302600_NS6detail15normal_iteratorINSA_7pointerIiNSA_11hip_rocprim3tagENSA_11use_defaultESG_EEEEPS6_NSA_18transform_iteratorI7is_evenIiENSC_INSA_10device_ptrIiEEEESG_SG_EENS0_5tupleIJPiSJ_EEENSR_IJSJ_SJ_EEES6_PlJS6_EEE10hipError_tPvRmT3_T4_T5_T6_T7_T9_mT8_P12ihipStream_tbDpT10_ENKUlT_T0_E_clISt17integral_constantIbLb0EES1E_IbLb1EEEEDaS1A_S1B_EUlS1A_E_NS1_11comp_targetILNS1_3genE3ELNS1_11target_archE908ELNS1_3gpuE7ELNS1_3repE0EEENS1_30default_config_static_selectorELNS0_4arch9wavefront6targetE1EEEvT1_ ; -- Begin function _ZN7rocprim17ROCPRIM_400000_NS6detail17trampoline_kernelINS0_14default_configENS1_25partition_config_selectorILNS1_17partition_subalgoE2EiNS0_10empty_typeEbEEZZNS1_14partition_implILS5_2ELb0ES3_jN6thrust23THRUST_200600_302600_NS6detail15normal_iteratorINSA_7pointerIiNSA_11hip_rocprim3tagENSA_11use_defaultESG_EEEEPS6_NSA_18transform_iteratorI7is_evenIiENSC_INSA_10device_ptrIiEEEESG_SG_EENS0_5tupleIJPiSJ_EEENSR_IJSJ_SJ_EEES6_PlJS6_EEE10hipError_tPvRmT3_T4_T5_T6_T7_T9_mT8_P12ihipStream_tbDpT10_ENKUlT_T0_E_clISt17integral_constantIbLb0EES1E_IbLb1EEEEDaS1A_S1B_EUlS1A_E_NS1_11comp_targetILNS1_3genE3ELNS1_11target_archE908ELNS1_3gpuE7ELNS1_3repE0EEENS1_30default_config_static_selectorELNS0_4arch9wavefront6targetE1EEEvT1_
	.globl	_ZN7rocprim17ROCPRIM_400000_NS6detail17trampoline_kernelINS0_14default_configENS1_25partition_config_selectorILNS1_17partition_subalgoE2EiNS0_10empty_typeEbEEZZNS1_14partition_implILS5_2ELb0ES3_jN6thrust23THRUST_200600_302600_NS6detail15normal_iteratorINSA_7pointerIiNSA_11hip_rocprim3tagENSA_11use_defaultESG_EEEEPS6_NSA_18transform_iteratorI7is_evenIiENSC_INSA_10device_ptrIiEEEESG_SG_EENS0_5tupleIJPiSJ_EEENSR_IJSJ_SJ_EEES6_PlJS6_EEE10hipError_tPvRmT3_T4_T5_T6_T7_T9_mT8_P12ihipStream_tbDpT10_ENKUlT_T0_E_clISt17integral_constantIbLb0EES1E_IbLb1EEEEDaS1A_S1B_EUlS1A_E_NS1_11comp_targetILNS1_3genE3ELNS1_11target_archE908ELNS1_3gpuE7ELNS1_3repE0EEENS1_30default_config_static_selectorELNS0_4arch9wavefront6targetE1EEEvT1_
	.p2align	8
	.type	_ZN7rocprim17ROCPRIM_400000_NS6detail17trampoline_kernelINS0_14default_configENS1_25partition_config_selectorILNS1_17partition_subalgoE2EiNS0_10empty_typeEbEEZZNS1_14partition_implILS5_2ELb0ES3_jN6thrust23THRUST_200600_302600_NS6detail15normal_iteratorINSA_7pointerIiNSA_11hip_rocprim3tagENSA_11use_defaultESG_EEEEPS6_NSA_18transform_iteratorI7is_evenIiENSC_INSA_10device_ptrIiEEEESG_SG_EENS0_5tupleIJPiSJ_EEENSR_IJSJ_SJ_EEES6_PlJS6_EEE10hipError_tPvRmT3_T4_T5_T6_T7_T9_mT8_P12ihipStream_tbDpT10_ENKUlT_T0_E_clISt17integral_constantIbLb0EES1E_IbLb1EEEEDaS1A_S1B_EUlS1A_E_NS1_11comp_targetILNS1_3genE3ELNS1_11target_archE908ELNS1_3gpuE7ELNS1_3repE0EEENS1_30default_config_static_selectorELNS0_4arch9wavefront6targetE1EEEvT1_,@function
_ZN7rocprim17ROCPRIM_400000_NS6detail17trampoline_kernelINS0_14default_configENS1_25partition_config_selectorILNS1_17partition_subalgoE2EiNS0_10empty_typeEbEEZZNS1_14partition_implILS5_2ELb0ES3_jN6thrust23THRUST_200600_302600_NS6detail15normal_iteratorINSA_7pointerIiNSA_11hip_rocprim3tagENSA_11use_defaultESG_EEEEPS6_NSA_18transform_iteratorI7is_evenIiENSC_INSA_10device_ptrIiEEEESG_SG_EENS0_5tupleIJPiSJ_EEENSR_IJSJ_SJ_EEES6_PlJS6_EEE10hipError_tPvRmT3_T4_T5_T6_T7_T9_mT8_P12ihipStream_tbDpT10_ENKUlT_T0_E_clISt17integral_constantIbLb0EES1E_IbLb1EEEEDaS1A_S1B_EUlS1A_E_NS1_11comp_targetILNS1_3genE3ELNS1_11target_archE908ELNS1_3gpuE7ELNS1_3repE0EEENS1_30default_config_static_selectorELNS0_4arch9wavefront6targetE1EEEvT1_: ; @_ZN7rocprim17ROCPRIM_400000_NS6detail17trampoline_kernelINS0_14default_configENS1_25partition_config_selectorILNS1_17partition_subalgoE2EiNS0_10empty_typeEbEEZZNS1_14partition_implILS5_2ELb0ES3_jN6thrust23THRUST_200600_302600_NS6detail15normal_iteratorINSA_7pointerIiNSA_11hip_rocprim3tagENSA_11use_defaultESG_EEEEPS6_NSA_18transform_iteratorI7is_evenIiENSC_INSA_10device_ptrIiEEEESG_SG_EENS0_5tupleIJPiSJ_EEENSR_IJSJ_SJ_EEES6_PlJS6_EEE10hipError_tPvRmT3_T4_T5_T6_T7_T9_mT8_P12ihipStream_tbDpT10_ENKUlT_T0_E_clISt17integral_constantIbLb0EES1E_IbLb1EEEEDaS1A_S1B_EUlS1A_E_NS1_11comp_targetILNS1_3genE3ELNS1_11target_archE908ELNS1_3gpuE7ELNS1_3repE0EEENS1_30default_config_static_selectorELNS0_4arch9wavefront6targetE1EEEvT1_
; %bb.0:
	.section	.rodata,"a",@progbits
	.p2align	6, 0x0
	.amdhsa_kernel _ZN7rocprim17ROCPRIM_400000_NS6detail17trampoline_kernelINS0_14default_configENS1_25partition_config_selectorILNS1_17partition_subalgoE2EiNS0_10empty_typeEbEEZZNS1_14partition_implILS5_2ELb0ES3_jN6thrust23THRUST_200600_302600_NS6detail15normal_iteratorINSA_7pointerIiNSA_11hip_rocprim3tagENSA_11use_defaultESG_EEEEPS6_NSA_18transform_iteratorI7is_evenIiENSC_INSA_10device_ptrIiEEEESG_SG_EENS0_5tupleIJPiSJ_EEENSR_IJSJ_SJ_EEES6_PlJS6_EEE10hipError_tPvRmT3_T4_T5_T6_T7_T9_mT8_P12ihipStream_tbDpT10_ENKUlT_T0_E_clISt17integral_constantIbLb0EES1E_IbLb1EEEEDaS1A_S1B_EUlS1A_E_NS1_11comp_targetILNS1_3genE3ELNS1_11target_archE908ELNS1_3gpuE7ELNS1_3repE0EEENS1_30default_config_static_selectorELNS0_4arch9wavefront6targetE1EEEvT1_
		.amdhsa_group_segment_fixed_size 0
		.amdhsa_private_segment_fixed_size 0
		.amdhsa_kernarg_size 144
		.amdhsa_user_sgpr_count 2
		.amdhsa_user_sgpr_dispatch_ptr 0
		.amdhsa_user_sgpr_queue_ptr 0
		.amdhsa_user_sgpr_kernarg_segment_ptr 1
		.amdhsa_user_sgpr_dispatch_id 0
		.amdhsa_user_sgpr_kernarg_preload_length 0
		.amdhsa_user_sgpr_kernarg_preload_offset 0
		.amdhsa_user_sgpr_private_segment_size 0
		.amdhsa_uses_dynamic_stack 0
		.amdhsa_enable_private_segment 0
		.amdhsa_system_sgpr_workgroup_id_x 1
		.amdhsa_system_sgpr_workgroup_id_y 0
		.amdhsa_system_sgpr_workgroup_id_z 0
		.amdhsa_system_sgpr_workgroup_info 0
		.amdhsa_system_vgpr_workitem_id 0
		.amdhsa_next_free_vgpr 1
		.amdhsa_next_free_sgpr 0
		.amdhsa_accum_offset 4
		.amdhsa_reserve_vcc 0
		.amdhsa_float_round_mode_32 0
		.amdhsa_float_round_mode_16_64 0
		.amdhsa_float_denorm_mode_32 3
		.amdhsa_float_denorm_mode_16_64 3
		.amdhsa_dx10_clamp 1
		.amdhsa_ieee_mode 1
		.amdhsa_fp16_overflow 0
		.amdhsa_tg_split 0
		.amdhsa_exception_fp_ieee_invalid_op 0
		.amdhsa_exception_fp_denorm_src 0
		.amdhsa_exception_fp_ieee_div_zero 0
		.amdhsa_exception_fp_ieee_overflow 0
		.amdhsa_exception_fp_ieee_underflow 0
		.amdhsa_exception_fp_ieee_inexact 0
		.amdhsa_exception_int_div_zero 0
	.end_amdhsa_kernel
	.section	.text._ZN7rocprim17ROCPRIM_400000_NS6detail17trampoline_kernelINS0_14default_configENS1_25partition_config_selectorILNS1_17partition_subalgoE2EiNS0_10empty_typeEbEEZZNS1_14partition_implILS5_2ELb0ES3_jN6thrust23THRUST_200600_302600_NS6detail15normal_iteratorINSA_7pointerIiNSA_11hip_rocprim3tagENSA_11use_defaultESG_EEEEPS6_NSA_18transform_iteratorI7is_evenIiENSC_INSA_10device_ptrIiEEEESG_SG_EENS0_5tupleIJPiSJ_EEENSR_IJSJ_SJ_EEES6_PlJS6_EEE10hipError_tPvRmT3_T4_T5_T6_T7_T9_mT8_P12ihipStream_tbDpT10_ENKUlT_T0_E_clISt17integral_constantIbLb0EES1E_IbLb1EEEEDaS1A_S1B_EUlS1A_E_NS1_11comp_targetILNS1_3genE3ELNS1_11target_archE908ELNS1_3gpuE7ELNS1_3repE0EEENS1_30default_config_static_selectorELNS0_4arch9wavefront6targetE1EEEvT1_,"axG",@progbits,_ZN7rocprim17ROCPRIM_400000_NS6detail17trampoline_kernelINS0_14default_configENS1_25partition_config_selectorILNS1_17partition_subalgoE2EiNS0_10empty_typeEbEEZZNS1_14partition_implILS5_2ELb0ES3_jN6thrust23THRUST_200600_302600_NS6detail15normal_iteratorINSA_7pointerIiNSA_11hip_rocprim3tagENSA_11use_defaultESG_EEEEPS6_NSA_18transform_iteratorI7is_evenIiENSC_INSA_10device_ptrIiEEEESG_SG_EENS0_5tupleIJPiSJ_EEENSR_IJSJ_SJ_EEES6_PlJS6_EEE10hipError_tPvRmT3_T4_T5_T6_T7_T9_mT8_P12ihipStream_tbDpT10_ENKUlT_T0_E_clISt17integral_constantIbLb0EES1E_IbLb1EEEEDaS1A_S1B_EUlS1A_E_NS1_11comp_targetILNS1_3genE3ELNS1_11target_archE908ELNS1_3gpuE7ELNS1_3repE0EEENS1_30default_config_static_selectorELNS0_4arch9wavefront6targetE1EEEvT1_,comdat
.Lfunc_end250:
	.size	_ZN7rocprim17ROCPRIM_400000_NS6detail17trampoline_kernelINS0_14default_configENS1_25partition_config_selectorILNS1_17partition_subalgoE2EiNS0_10empty_typeEbEEZZNS1_14partition_implILS5_2ELb0ES3_jN6thrust23THRUST_200600_302600_NS6detail15normal_iteratorINSA_7pointerIiNSA_11hip_rocprim3tagENSA_11use_defaultESG_EEEEPS6_NSA_18transform_iteratorI7is_evenIiENSC_INSA_10device_ptrIiEEEESG_SG_EENS0_5tupleIJPiSJ_EEENSR_IJSJ_SJ_EEES6_PlJS6_EEE10hipError_tPvRmT3_T4_T5_T6_T7_T9_mT8_P12ihipStream_tbDpT10_ENKUlT_T0_E_clISt17integral_constantIbLb0EES1E_IbLb1EEEEDaS1A_S1B_EUlS1A_E_NS1_11comp_targetILNS1_3genE3ELNS1_11target_archE908ELNS1_3gpuE7ELNS1_3repE0EEENS1_30default_config_static_selectorELNS0_4arch9wavefront6targetE1EEEvT1_, .Lfunc_end250-_ZN7rocprim17ROCPRIM_400000_NS6detail17trampoline_kernelINS0_14default_configENS1_25partition_config_selectorILNS1_17partition_subalgoE2EiNS0_10empty_typeEbEEZZNS1_14partition_implILS5_2ELb0ES3_jN6thrust23THRUST_200600_302600_NS6detail15normal_iteratorINSA_7pointerIiNSA_11hip_rocprim3tagENSA_11use_defaultESG_EEEEPS6_NSA_18transform_iteratorI7is_evenIiENSC_INSA_10device_ptrIiEEEESG_SG_EENS0_5tupleIJPiSJ_EEENSR_IJSJ_SJ_EEES6_PlJS6_EEE10hipError_tPvRmT3_T4_T5_T6_T7_T9_mT8_P12ihipStream_tbDpT10_ENKUlT_T0_E_clISt17integral_constantIbLb0EES1E_IbLb1EEEEDaS1A_S1B_EUlS1A_E_NS1_11comp_targetILNS1_3genE3ELNS1_11target_archE908ELNS1_3gpuE7ELNS1_3repE0EEENS1_30default_config_static_selectorELNS0_4arch9wavefront6targetE1EEEvT1_
                                        ; -- End function
	.section	.AMDGPU.csdata,"",@progbits
; Kernel info:
; codeLenInByte = 0
; NumSgprs: 6
; NumVgprs: 0
; NumAgprs: 0
; TotalNumVgprs: 0
; ScratchSize: 0
; MemoryBound: 0
; FloatMode: 240
; IeeeMode: 1
; LDSByteSize: 0 bytes/workgroup (compile time only)
; SGPRBlocks: 0
; VGPRBlocks: 0
; NumSGPRsForWavesPerEU: 6
; NumVGPRsForWavesPerEU: 1
; AccumOffset: 4
; Occupancy: 8
; WaveLimiterHint : 0
; COMPUTE_PGM_RSRC2:SCRATCH_EN: 0
; COMPUTE_PGM_RSRC2:USER_SGPR: 2
; COMPUTE_PGM_RSRC2:TRAP_HANDLER: 0
; COMPUTE_PGM_RSRC2:TGID_X_EN: 1
; COMPUTE_PGM_RSRC2:TGID_Y_EN: 0
; COMPUTE_PGM_RSRC2:TGID_Z_EN: 0
; COMPUTE_PGM_RSRC2:TIDIG_COMP_CNT: 0
; COMPUTE_PGM_RSRC3_GFX90A:ACCUM_OFFSET: 0
; COMPUTE_PGM_RSRC3_GFX90A:TG_SPLIT: 0
	.section	.text._ZN7rocprim17ROCPRIM_400000_NS6detail17trampoline_kernelINS0_14default_configENS1_25partition_config_selectorILNS1_17partition_subalgoE2EiNS0_10empty_typeEbEEZZNS1_14partition_implILS5_2ELb0ES3_jN6thrust23THRUST_200600_302600_NS6detail15normal_iteratorINSA_7pointerIiNSA_11hip_rocprim3tagENSA_11use_defaultESG_EEEEPS6_NSA_18transform_iteratorI7is_evenIiENSC_INSA_10device_ptrIiEEEESG_SG_EENS0_5tupleIJPiSJ_EEENSR_IJSJ_SJ_EEES6_PlJS6_EEE10hipError_tPvRmT3_T4_T5_T6_T7_T9_mT8_P12ihipStream_tbDpT10_ENKUlT_T0_E_clISt17integral_constantIbLb0EES1E_IbLb1EEEEDaS1A_S1B_EUlS1A_E_NS1_11comp_targetILNS1_3genE2ELNS1_11target_archE906ELNS1_3gpuE6ELNS1_3repE0EEENS1_30default_config_static_selectorELNS0_4arch9wavefront6targetE1EEEvT1_,"axG",@progbits,_ZN7rocprim17ROCPRIM_400000_NS6detail17trampoline_kernelINS0_14default_configENS1_25partition_config_selectorILNS1_17partition_subalgoE2EiNS0_10empty_typeEbEEZZNS1_14partition_implILS5_2ELb0ES3_jN6thrust23THRUST_200600_302600_NS6detail15normal_iteratorINSA_7pointerIiNSA_11hip_rocprim3tagENSA_11use_defaultESG_EEEEPS6_NSA_18transform_iteratorI7is_evenIiENSC_INSA_10device_ptrIiEEEESG_SG_EENS0_5tupleIJPiSJ_EEENSR_IJSJ_SJ_EEES6_PlJS6_EEE10hipError_tPvRmT3_T4_T5_T6_T7_T9_mT8_P12ihipStream_tbDpT10_ENKUlT_T0_E_clISt17integral_constantIbLb0EES1E_IbLb1EEEEDaS1A_S1B_EUlS1A_E_NS1_11comp_targetILNS1_3genE2ELNS1_11target_archE906ELNS1_3gpuE6ELNS1_3repE0EEENS1_30default_config_static_selectorELNS0_4arch9wavefront6targetE1EEEvT1_,comdat
	.protected	_ZN7rocprim17ROCPRIM_400000_NS6detail17trampoline_kernelINS0_14default_configENS1_25partition_config_selectorILNS1_17partition_subalgoE2EiNS0_10empty_typeEbEEZZNS1_14partition_implILS5_2ELb0ES3_jN6thrust23THRUST_200600_302600_NS6detail15normal_iteratorINSA_7pointerIiNSA_11hip_rocprim3tagENSA_11use_defaultESG_EEEEPS6_NSA_18transform_iteratorI7is_evenIiENSC_INSA_10device_ptrIiEEEESG_SG_EENS0_5tupleIJPiSJ_EEENSR_IJSJ_SJ_EEES6_PlJS6_EEE10hipError_tPvRmT3_T4_T5_T6_T7_T9_mT8_P12ihipStream_tbDpT10_ENKUlT_T0_E_clISt17integral_constantIbLb0EES1E_IbLb1EEEEDaS1A_S1B_EUlS1A_E_NS1_11comp_targetILNS1_3genE2ELNS1_11target_archE906ELNS1_3gpuE6ELNS1_3repE0EEENS1_30default_config_static_selectorELNS0_4arch9wavefront6targetE1EEEvT1_ ; -- Begin function _ZN7rocprim17ROCPRIM_400000_NS6detail17trampoline_kernelINS0_14default_configENS1_25partition_config_selectorILNS1_17partition_subalgoE2EiNS0_10empty_typeEbEEZZNS1_14partition_implILS5_2ELb0ES3_jN6thrust23THRUST_200600_302600_NS6detail15normal_iteratorINSA_7pointerIiNSA_11hip_rocprim3tagENSA_11use_defaultESG_EEEEPS6_NSA_18transform_iteratorI7is_evenIiENSC_INSA_10device_ptrIiEEEESG_SG_EENS0_5tupleIJPiSJ_EEENSR_IJSJ_SJ_EEES6_PlJS6_EEE10hipError_tPvRmT3_T4_T5_T6_T7_T9_mT8_P12ihipStream_tbDpT10_ENKUlT_T0_E_clISt17integral_constantIbLb0EES1E_IbLb1EEEEDaS1A_S1B_EUlS1A_E_NS1_11comp_targetILNS1_3genE2ELNS1_11target_archE906ELNS1_3gpuE6ELNS1_3repE0EEENS1_30default_config_static_selectorELNS0_4arch9wavefront6targetE1EEEvT1_
	.globl	_ZN7rocprim17ROCPRIM_400000_NS6detail17trampoline_kernelINS0_14default_configENS1_25partition_config_selectorILNS1_17partition_subalgoE2EiNS0_10empty_typeEbEEZZNS1_14partition_implILS5_2ELb0ES3_jN6thrust23THRUST_200600_302600_NS6detail15normal_iteratorINSA_7pointerIiNSA_11hip_rocprim3tagENSA_11use_defaultESG_EEEEPS6_NSA_18transform_iteratorI7is_evenIiENSC_INSA_10device_ptrIiEEEESG_SG_EENS0_5tupleIJPiSJ_EEENSR_IJSJ_SJ_EEES6_PlJS6_EEE10hipError_tPvRmT3_T4_T5_T6_T7_T9_mT8_P12ihipStream_tbDpT10_ENKUlT_T0_E_clISt17integral_constantIbLb0EES1E_IbLb1EEEEDaS1A_S1B_EUlS1A_E_NS1_11comp_targetILNS1_3genE2ELNS1_11target_archE906ELNS1_3gpuE6ELNS1_3repE0EEENS1_30default_config_static_selectorELNS0_4arch9wavefront6targetE1EEEvT1_
	.p2align	8
	.type	_ZN7rocprim17ROCPRIM_400000_NS6detail17trampoline_kernelINS0_14default_configENS1_25partition_config_selectorILNS1_17partition_subalgoE2EiNS0_10empty_typeEbEEZZNS1_14partition_implILS5_2ELb0ES3_jN6thrust23THRUST_200600_302600_NS6detail15normal_iteratorINSA_7pointerIiNSA_11hip_rocprim3tagENSA_11use_defaultESG_EEEEPS6_NSA_18transform_iteratorI7is_evenIiENSC_INSA_10device_ptrIiEEEESG_SG_EENS0_5tupleIJPiSJ_EEENSR_IJSJ_SJ_EEES6_PlJS6_EEE10hipError_tPvRmT3_T4_T5_T6_T7_T9_mT8_P12ihipStream_tbDpT10_ENKUlT_T0_E_clISt17integral_constantIbLb0EES1E_IbLb1EEEEDaS1A_S1B_EUlS1A_E_NS1_11comp_targetILNS1_3genE2ELNS1_11target_archE906ELNS1_3gpuE6ELNS1_3repE0EEENS1_30default_config_static_selectorELNS0_4arch9wavefront6targetE1EEEvT1_,@function
_ZN7rocprim17ROCPRIM_400000_NS6detail17trampoline_kernelINS0_14default_configENS1_25partition_config_selectorILNS1_17partition_subalgoE2EiNS0_10empty_typeEbEEZZNS1_14partition_implILS5_2ELb0ES3_jN6thrust23THRUST_200600_302600_NS6detail15normal_iteratorINSA_7pointerIiNSA_11hip_rocprim3tagENSA_11use_defaultESG_EEEEPS6_NSA_18transform_iteratorI7is_evenIiENSC_INSA_10device_ptrIiEEEESG_SG_EENS0_5tupleIJPiSJ_EEENSR_IJSJ_SJ_EEES6_PlJS6_EEE10hipError_tPvRmT3_T4_T5_T6_T7_T9_mT8_P12ihipStream_tbDpT10_ENKUlT_T0_E_clISt17integral_constantIbLb0EES1E_IbLb1EEEEDaS1A_S1B_EUlS1A_E_NS1_11comp_targetILNS1_3genE2ELNS1_11target_archE906ELNS1_3gpuE6ELNS1_3repE0EEENS1_30default_config_static_selectorELNS0_4arch9wavefront6targetE1EEEvT1_: ; @_ZN7rocprim17ROCPRIM_400000_NS6detail17trampoline_kernelINS0_14default_configENS1_25partition_config_selectorILNS1_17partition_subalgoE2EiNS0_10empty_typeEbEEZZNS1_14partition_implILS5_2ELb0ES3_jN6thrust23THRUST_200600_302600_NS6detail15normal_iteratorINSA_7pointerIiNSA_11hip_rocprim3tagENSA_11use_defaultESG_EEEEPS6_NSA_18transform_iteratorI7is_evenIiENSC_INSA_10device_ptrIiEEEESG_SG_EENS0_5tupleIJPiSJ_EEENSR_IJSJ_SJ_EEES6_PlJS6_EEE10hipError_tPvRmT3_T4_T5_T6_T7_T9_mT8_P12ihipStream_tbDpT10_ENKUlT_T0_E_clISt17integral_constantIbLb0EES1E_IbLb1EEEEDaS1A_S1B_EUlS1A_E_NS1_11comp_targetILNS1_3genE2ELNS1_11target_archE906ELNS1_3gpuE6ELNS1_3repE0EEENS1_30default_config_static_selectorELNS0_4arch9wavefront6targetE1EEEvT1_
; %bb.0:
	.section	.rodata,"a",@progbits
	.p2align	6, 0x0
	.amdhsa_kernel _ZN7rocprim17ROCPRIM_400000_NS6detail17trampoline_kernelINS0_14default_configENS1_25partition_config_selectorILNS1_17partition_subalgoE2EiNS0_10empty_typeEbEEZZNS1_14partition_implILS5_2ELb0ES3_jN6thrust23THRUST_200600_302600_NS6detail15normal_iteratorINSA_7pointerIiNSA_11hip_rocprim3tagENSA_11use_defaultESG_EEEEPS6_NSA_18transform_iteratorI7is_evenIiENSC_INSA_10device_ptrIiEEEESG_SG_EENS0_5tupleIJPiSJ_EEENSR_IJSJ_SJ_EEES6_PlJS6_EEE10hipError_tPvRmT3_T4_T5_T6_T7_T9_mT8_P12ihipStream_tbDpT10_ENKUlT_T0_E_clISt17integral_constantIbLb0EES1E_IbLb1EEEEDaS1A_S1B_EUlS1A_E_NS1_11comp_targetILNS1_3genE2ELNS1_11target_archE906ELNS1_3gpuE6ELNS1_3repE0EEENS1_30default_config_static_selectorELNS0_4arch9wavefront6targetE1EEEvT1_
		.amdhsa_group_segment_fixed_size 0
		.amdhsa_private_segment_fixed_size 0
		.amdhsa_kernarg_size 144
		.amdhsa_user_sgpr_count 2
		.amdhsa_user_sgpr_dispatch_ptr 0
		.amdhsa_user_sgpr_queue_ptr 0
		.amdhsa_user_sgpr_kernarg_segment_ptr 1
		.amdhsa_user_sgpr_dispatch_id 0
		.amdhsa_user_sgpr_kernarg_preload_length 0
		.amdhsa_user_sgpr_kernarg_preload_offset 0
		.amdhsa_user_sgpr_private_segment_size 0
		.amdhsa_uses_dynamic_stack 0
		.amdhsa_enable_private_segment 0
		.amdhsa_system_sgpr_workgroup_id_x 1
		.amdhsa_system_sgpr_workgroup_id_y 0
		.amdhsa_system_sgpr_workgroup_id_z 0
		.amdhsa_system_sgpr_workgroup_info 0
		.amdhsa_system_vgpr_workitem_id 0
		.amdhsa_next_free_vgpr 1
		.amdhsa_next_free_sgpr 0
		.amdhsa_accum_offset 4
		.amdhsa_reserve_vcc 0
		.amdhsa_float_round_mode_32 0
		.amdhsa_float_round_mode_16_64 0
		.amdhsa_float_denorm_mode_32 3
		.amdhsa_float_denorm_mode_16_64 3
		.amdhsa_dx10_clamp 1
		.amdhsa_ieee_mode 1
		.amdhsa_fp16_overflow 0
		.amdhsa_tg_split 0
		.amdhsa_exception_fp_ieee_invalid_op 0
		.amdhsa_exception_fp_denorm_src 0
		.amdhsa_exception_fp_ieee_div_zero 0
		.amdhsa_exception_fp_ieee_overflow 0
		.amdhsa_exception_fp_ieee_underflow 0
		.amdhsa_exception_fp_ieee_inexact 0
		.amdhsa_exception_int_div_zero 0
	.end_amdhsa_kernel
	.section	.text._ZN7rocprim17ROCPRIM_400000_NS6detail17trampoline_kernelINS0_14default_configENS1_25partition_config_selectorILNS1_17partition_subalgoE2EiNS0_10empty_typeEbEEZZNS1_14partition_implILS5_2ELb0ES3_jN6thrust23THRUST_200600_302600_NS6detail15normal_iteratorINSA_7pointerIiNSA_11hip_rocprim3tagENSA_11use_defaultESG_EEEEPS6_NSA_18transform_iteratorI7is_evenIiENSC_INSA_10device_ptrIiEEEESG_SG_EENS0_5tupleIJPiSJ_EEENSR_IJSJ_SJ_EEES6_PlJS6_EEE10hipError_tPvRmT3_T4_T5_T6_T7_T9_mT8_P12ihipStream_tbDpT10_ENKUlT_T0_E_clISt17integral_constantIbLb0EES1E_IbLb1EEEEDaS1A_S1B_EUlS1A_E_NS1_11comp_targetILNS1_3genE2ELNS1_11target_archE906ELNS1_3gpuE6ELNS1_3repE0EEENS1_30default_config_static_selectorELNS0_4arch9wavefront6targetE1EEEvT1_,"axG",@progbits,_ZN7rocprim17ROCPRIM_400000_NS6detail17trampoline_kernelINS0_14default_configENS1_25partition_config_selectorILNS1_17partition_subalgoE2EiNS0_10empty_typeEbEEZZNS1_14partition_implILS5_2ELb0ES3_jN6thrust23THRUST_200600_302600_NS6detail15normal_iteratorINSA_7pointerIiNSA_11hip_rocprim3tagENSA_11use_defaultESG_EEEEPS6_NSA_18transform_iteratorI7is_evenIiENSC_INSA_10device_ptrIiEEEESG_SG_EENS0_5tupleIJPiSJ_EEENSR_IJSJ_SJ_EEES6_PlJS6_EEE10hipError_tPvRmT3_T4_T5_T6_T7_T9_mT8_P12ihipStream_tbDpT10_ENKUlT_T0_E_clISt17integral_constantIbLb0EES1E_IbLb1EEEEDaS1A_S1B_EUlS1A_E_NS1_11comp_targetILNS1_3genE2ELNS1_11target_archE906ELNS1_3gpuE6ELNS1_3repE0EEENS1_30default_config_static_selectorELNS0_4arch9wavefront6targetE1EEEvT1_,comdat
.Lfunc_end251:
	.size	_ZN7rocprim17ROCPRIM_400000_NS6detail17trampoline_kernelINS0_14default_configENS1_25partition_config_selectorILNS1_17partition_subalgoE2EiNS0_10empty_typeEbEEZZNS1_14partition_implILS5_2ELb0ES3_jN6thrust23THRUST_200600_302600_NS6detail15normal_iteratorINSA_7pointerIiNSA_11hip_rocprim3tagENSA_11use_defaultESG_EEEEPS6_NSA_18transform_iteratorI7is_evenIiENSC_INSA_10device_ptrIiEEEESG_SG_EENS0_5tupleIJPiSJ_EEENSR_IJSJ_SJ_EEES6_PlJS6_EEE10hipError_tPvRmT3_T4_T5_T6_T7_T9_mT8_P12ihipStream_tbDpT10_ENKUlT_T0_E_clISt17integral_constantIbLb0EES1E_IbLb1EEEEDaS1A_S1B_EUlS1A_E_NS1_11comp_targetILNS1_3genE2ELNS1_11target_archE906ELNS1_3gpuE6ELNS1_3repE0EEENS1_30default_config_static_selectorELNS0_4arch9wavefront6targetE1EEEvT1_, .Lfunc_end251-_ZN7rocprim17ROCPRIM_400000_NS6detail17trampoline_kernelINS0_14default_configENS1_25partition_config_selectorILNS1_17partition_subalgoE2EiNS0_10empty_typeEbEEZZNS1_14partition_implILS5_2ELb0ES3_jN6thrust23THRUST_200600_302600_NS6detail15normal_iteratorINSA_7pointerIiNSA_11hip_rocprim3tagENSA_11use_defaultESG_EEEEPS6_NSA_18transform_iteratorI7is_evenIiENSC_INSA_10device_ptrIiEEEESG_SG_EENS0_5tupleIJPiSJ_EEENSR_IJSJ_SJ_EEES6_PlJS6_EEE10hipError_tPvRmT3_T4_T5_T6_T7_T9_mT8_P12ihipStream_tbDpT10_ENKUlT_T0_E_clISt17integral_constantIbLb0EES1E_IbLb1EEEEDaS1A_S1B_EUlS1A_E_NS1_11comp_targetILNS1_3genE2ELNS1_11target_archE906ELNS1_3gpuE6ELNS1_3repE0EEENS1_30default_config_static_selectorELNS0_4arch9wavefront6targetE1EEEvT1_
                                        ; -- End function
	.section	.AMDGPU.csdata,"",@progbits
; Kernel info:
; codeLenInByte = 0
; NumSgprs: 6
; NumVgprs: 0
; NumAgprs: 0
; TotalNumVgprs: 0
; ScratchSize: 0
; MemoryBound: 0
; FloatMode: 240
; IeeeMode: 1
; LDSByteSize: 0 bytes/workgroup (compile time only)
; SGPRBlocks: 0
; VGPRBlocks: 0
; NumSGPRsForWavesPerEU: 6
; NumVGPRsForWavesPerEU: 1
; AccumOffset: 4
; Occupancy: 8
; WaveLimiterHint : 0
; COMPUTE_PGM_RSRC2:SCRATCH_EN: 0
; COMPUTE_PGM_RSRC2:USER_SGPR: 2
; COMPUTE_PGM_RSRC2:TRAP_HANDLER: 0
; COMPUTE_PGM_RSRC2:TGID_X_EN: 1
; COMPUTE_PGM_RSRC2:TGID_Y_EN: 0
; COMPUTE_PGM_RSRC2:TGID_Z_EN: 0
; COMPUTE_PGM_RSRC2:TIDIG_COMP_CNT: 0
; COMPUTE_PGM_RSRC3_GFX90A:ACCUM_OFFSET: 0
; COMPUTE_PGM_RSRC3_GFX90A:TG_SPLIT: 0
	.section	.text._ZN7rocprim17ROCPRIM_400000_NS6detail17trampoline_kernelINS0_14default_configENS1_25partition_config_selectorILNS1_17partition_subalgoE2EiNS0_10empty_typeEbEEZZNS1_14partition_implILS5_2ELb0ES3_jN6thrust23THRUST_200600_302600_NS6detail15normal_iteratorINSA_7pointerIiNSA_11hip_rocprim3tagENSA_11use_defaultESG_EEEEPS6_NSA_18transform_iteratorI7is_evenIiENSC_INSA_10device_ptrIiEEEESG_SG_EENS0_5tupleIJPiSJ_EEENSR_IJSJ_SJ_EEES6_PlJS6_EEE10hipError_tPvRmT3_T4_T5_T6_T7_T9_mT8_P12ihipStream_tbDpT10_ENKUlT_T0_E_clISt17integral_constantIbLb0EES1E_IbLb1EEEEDaS1A_S1B_EUlS1A_E_NS1_11comp_targetILNS1_3genE10ELNS1_11target_archE1200ELNS1_3gpuE4ELNS1_3repE0EEENS1_30default_config_static_selectorELNS0_4arch9wavefront6targetE1EEEvT1_,"axG",@progbits,_ZN7rocprim17ROCPRIM_400000_NS6detail17trampoline_kernelINS0_14default_configENS1_25partition_config_selectorILNS1_17partition_subalgoE2EiNS0_10empty_typeEbEEZZNS1_14partition_implILS5_2ELb0ES3_jN6thrust23THRUST_200600_302600_NS6detail15normal_iteratorINSA_7pointerIiNSA_11hip_rocprim3tagENSA_11use_defaultESG_EEEEPS6_NSA_18transform_iteratorI7is_evenIiENSC_INSA_10device_ptrIiEEEESG_SG_EENS0_5tupleIJPiSJ_EEENSR_IJSJ_SJ_EEES6_PlJS6_EEE10hipError_tPvRmT3_T4_T5_T6_T7_T9_mT8_P12ihipStream_tbDpT10_ENKUlT_T0_E_clISt17integral_constantIbLb0EES1E_IbLb1EEEEDaS1A_S1B_EUlS1A_E_NS1_11comp_targetILNS1_3genE10ELNS1_11target_archE1200ELNS1_3gpuE4ELNS1_3repE0EEENS1_30default_config_static_selectorELNS0_4arch9wavefront6targetE1EEEvT1_,comdat
	.protected	_ZN7rocprim17ROCPRIM_400000_NS6detail17trampoline_kernelINS0_14default_configENS1_25partition_config_selectorILNS1_17partition_subalgoE2EiNS0_10empty_typeEbEEZZNS1_14partition_implILS5_2ELb0ES3_jN6thrust23THRUST_200600_302600_NS6detail15normal_iteratorINSA_7pointerIiNSA_11hip_rocprim3tagENSA_11use_defaultESG_EEEEPS6_NSA_18transform_iteratorI7is_evenIiENSC_INSA_10device_ptrIiEEEESG_SG_EENS0_5tupleIJPiSJ_EEENSR_IJSJ_SJ_EEES6_PlJS6_EEE10hipError_tPvRmT3_T4_T5_T6_T7_T9_mT8_P12ihipStream_tbDpT10_ENKUlT_T0_E_clISt17integral_constantIbLb0EES1E_IbLb1EEEEDaS1A_S1B_EUlS1A_E_NS1_11comp_targetILNS1_3genE10ELNS1_11target_archE1200ELNS1_3gpuE4ELNS1_3repE0EEENS1_30default_config_static_selectorELNS0_4arch9wavefront6targetE1EEEvT1_ ; -- Begin function _ZN7rocprim17ROCPRIM_400000_NS6detail17trampoline_kernelINS0_14default_configENS1_25partition_config_selectorILNS1_17partition_subalgoE2EiNS0_10empty_typeEbEEZZNS1_14partition_implILS5_2ELb0ES3_jN6thrust23THRUST_200600_302600_NS6detail15normal_iteratorINSA_7pointerIiNSA_11hip_rocprim3tagENSA_11use_defaultESG_EEEEPS6_NSA_18transform_iteratorI7is_evenIiENSC_INSA_10device_ptrIiEEEESG_SG_EENS0_5tupleIJPiSJ_EEENSR_IJSJ_SJ_EEES6_PlJS6_EEE10hipError_tPvRmT3_T4_T5_T6_T7_T9_mT8_P12ihipStream_tbDpT10_ENKUlT_T0_E_clISt17integral_constantIbLb0EES1E_IbLb1EEEEDaS1A_S1B_EUlS1A_E_NS1_11comp_targetILNS1_3genE10ELNS1_11target_archE1200ELNS1_3gpuE4ELNS1_3repE0EEENS1_30default_config_static_selectorELNS0_4arch9wavefront6targetE1EEEvT1_
	.globl	_ZN7rocprim17ROCPRIM_400000_NS6detail17trampoline_kernelINS0_14default_configENS1_25partition_config_selectorILNS1_17partition_subalgoE2EiNS0_10empty_typeEbEEZZNS1_14partition_implILS5_2ELb0ES3_jN6thrust23THRUST_200600_302600_NS6detail15normal_iteratorINSA_7pointerIiNSA_11hip_rocprim3tagENSA_11use_defaultESG_EEEEPS6_NSA_18transform_iteratorI7is_evenIiENSC_INSA_10device_ptrIiEEEESG_SG_EENS0_5tupleIJPiSJ_EEENSR_IJSJ_SJ_EEES6_PlJS6_EEE10hipError_tPvRmT3_T4_T5_T6_T7_T9_mT8_P12ihipStream_tbDpT10_ENKUlT_T0_E_clISt17integral_constantIbLb0EES1E_IbLb1EEEEDaS1A_S1B_EUlS1A_E_NS1_11comp_targetILNS1_3genE10ELNS1_11target_archE1200ELNS1_3gpuE4ELNS1_3repE0EEENS1_30default_config_static_selectorELNS0_4arch9wavefront6targetE1EEEvT1_
	.p2align	8
	.type	_ZN7rocprim17ROCPRIM_400000_NS6detail17trampoline_kernelINS0_14default_configENS1_25partition_config_selectorILNS1_17partition_subalgoE2EiNS0_10empty_typeEbEEZZNS1_14partition_implILS5_2ELb0ES3_jN6thrust23THRUST_200600_302600_NS6detail15normal_iteratorINSA_7pointerIiNSA_11hip_rocprim3tagENSA_11use_defaultESG_EEEEPS6_NSA_18transform_iteratorI7is_evenIiENSC_INSA_10device_ptrIiEEEESG_SG_EENS0_5tupleIJPiSJ_EEENSR_IJSJ_SJ_EEES6_PlJS6_EEE10hipError_tPvRmT3_T4_T5_T6_T7_T9_mT8_P12ihipStream_tbDpT10_ENKUlT_T0_E_clISt17integral_constantIbLb0EES1E_IbLb1EEEEDaS1A_S1B_EUlS1A_E_NS1_11comp_targetILNS1_3genE10ELNS1_11target_archE1200ELNS1_3gpuE4ELNS1_3repE0EEENS1_30default_config_static_selectorELNS0_4arch9wavefront6targetE1EEEvT1_,@function
_ZN7rocprim17ROCPRIM_400000_NS6detail17trampoline_kernelINS0_14default_configENS1_25partition_config_selectorILNS1_17partition_subalgoE2EiNS0_10empty_typeEbEEZZNS1_14partition_implILS5_2ELb0ES3_jN6thrust23THRUST_200600_302600_NS6detail15normal_iteratorINSA_7pointerIiNSA_11hip_rocprim3tagENSA_11use_defaultESG_EEEEPS6_NSA_18transform_iteratorI7is_evenIiENSC_INSA_10device_ptrIiEEEESG_SG_EENS0_5tupleIJPiSJ_EEENSR_IJSJ_SJ_EEES6_PlJS6_EEE10hipError_tPvRmT3_T4_T5_T6_T7_T9_mT8_P12ihipStream_tbDpT10_ENKUlT_T0_E_clISt17integral_constantIbLb0EES1E_IbLb1EEEEDaS1A_S1B_EUlS1A_E_NS1_11comp_targetILNS1_3genE10ELNS1_11target_archE1200ELNS1_3gpuE4ELNS1_3repE0EEENS1_30default_config_static_selectorELNS0_4arch9wavefront6targetE1EEEvT1_: ; @_ZN7rocprim17ROCPRIM_400000_NS6detail17trampoline_kernelINS0_14default_configENS1_25partition_config_selectorILNS1_17partition_subalgoE2EiNS0_10empty_typeEbEEZZNS1_14partition_implILS5_2ELb0ES3_jN6thrust23THRUST_200600_302600_NS6detail15normal_iteratorINSA_7pointerIiNSA_11hip_rocprim3tagENSA_11use_defaultESG_EEEEPS6_NSA_18transform_iteratorI7is_evenIiENSC_INSA_10device_ptrIiEEEESG_SG_EENS0_5tupleIJPiSJ_EEENSR_IJSJ_SJ_EEES6_PlJS6_EEE10hipError_tPvRmT3_T4_T5_T6_T7_T9_mT8_P12ihipStream_tbDpT10_ENKUlT_T0_E_clISt17integral_constantIbLb0EES1E_IbLb1EEEEDaS1A_S1B_EUlS1A_E_NS1_11comp_targetILNS1_3genE10ELNS1_11target_archE1200ELNS1_3gpuE4ELNS1_3repE0EEENS1_30default_config_static_selectorELNS0_4arch9wavefront6targetE1EEEvT1_
; %bb.0:
	.section	.rodata,"a",@progbits
	.p2align	6, 0x0
	.amdhsa_kernel _ZN7rocprim17ROCPRIM_400000_NS6detail17trampoline_kernelINS0_14default_configENS1_25partition_config_selectorILNS1_17partition_subalgoE2EiNS0_10empty_typeEbEEZZNS1_14partition_implILS5_2ELb0ES3_jN6thrust23THRUST_200600_302600_NS6detail15normal_iteratorINSA_7pointerIiNSA_11hip_rocprim3tagENSA_11use_defaultESG_EEEEPS6_NSA_18transform_iteratorI7is_evenIiENSC_INSA_10device_ptrIiEEEESG_SG_EENS0_5tupleIJPiSJ_EEENSR_IJSJ_SJ_EEES6_PlJS6_EEE10hipError_tPvRmT3_T4_T5_T6_T7_T9_mT8_P12ihipStream_tbDpT10_ENKUlT_T0_E_clISt17integral_constantIbLb0EES1E_IbLb1EEEEDaS1A_S1B_EUlS1A_E_NS1_11comp_targetILNS1_3genE10ELNS1_11target_archE1200ELNS1_3gpuE4ELNS1_3repE0EEENS1_30default_config_static_selectorELNS0_4arch9wavefront6targetE1EEEvT1_
		.amdhsa_group_segment_fixed_size 0
		.amdhsa_private_segment_fixed_size 0
		.amdhsa_kernarg_size 144
		.amdhsa_user_sgpr_count 2
		.amdhsa_user_sgpr_dispatch_ptr 0
		.amdhsa_user_sgpr_queue_ptr 0
		.amdhsa_user_sgpr_kernarg_segment_ptr 1
		.amdhsa_user_sgpr_dispatch_id 0
		.amdhsa_user_sgpr_kernarg_preload_length 0
		.amdhsa_user_sgpr_kernarg_preload_offset 0
		.amdhsa_user_sgpr_private_segment_size 0
		.amdhsa_uses_dynamic_stack 0
		.amdhsa_enable_private_segment 0
		.amdhsa_system_sgpr_workgroup_id_x 1
		.amdhsa_system_sgpr_workgroup_id_y 0
		.amdhsa_system_sgpr_workgroup_id_z 0
		.amdhsa_system_sgpr_workgroup_info 0
		.amdhsa_system_vgpr_workitem_id 0
		.amdhsa_next_free_vgpr 1
		.amdhsa_next_free_sgpr 0
		.amdhsa_accum_offset 4
		.amdhsa_reserve_vcc 0
		.amdhsa_float_round_mode_32 0
		.amdhsa_float_round_mode_16_64 0
		.amdhsa_float_denorm_mode_32 3
		.amdhsa_float_denorm_mode_16_64 3
		.amdhsa_dx10_clamp 1
		.amdhsa_ieee_mode 1
		.amdhsa_fp16_overflow 0
		.amdhsa_tg_split 0
		.amdhsa_exception_fp_ieee_invalid_op 0
		.amdhsa_exception_fp_denorm_src 0
		.amdhsa_exception_fp_ieee_div_zero 0
		.amdhsa_exception_fp_ieee_overflow 0
		.amdhsa_exception_fp_ieee_underflow 0
		.amdhsa_exception_fp_ieee_inexact 0
		.amdhsa_exception_int_div_zero 0
	.end_amdhsa_kernel
	.section	.text._ZN7rocprim17ROCPRIM_400000_NS6detail17trampoline_kernelINS0_14default_configENS1_25partition_config_selectorILNS1_17partition_subalgoE2EiNS0_10empty_typeEbEEZZNS1_14partition_implILS5_2ELb0ES3_jN6thrust23THRUST_200600_302600_NS6detail15normal_iteratorINSA_7pointerIiNSA_11hip_rocprim3tagENSA_11use_defaultESG_EEEEPS6_NSA_18transform_iteratorI7is_evenIiENSC_INSA_10device_ptrIiEEEESG_SG_EENS0_5tupleIJPiSJ_EEENSR_IJSJ_SJ_EEES6_PlJS6_EEE10hipError_tPvRmT3_T4_T5_T6_T7_T9_mT8_P12ihipStream_tbDpT10_ENKUlT_T0_E_clISt17integral_constantIbLb0EES1E_IbLb1EEEEDaS1A_S1B_EUlS1A_E_NS1_11comp_targetILNS1_3genE10ELNS1_11target_archE1200ELNS1_3gpuE4ELNS1_3repE0EEENS1_30default_config_static_selectorELNS0_4arch9wavefront6targetE1EEEvT1_,"axG",@progbits,_ZN7rocprim17ROCPRIM_400000_NS6detail17trampoline_kernelINS0_14default_configENS1_25partition_config_selectorILNS1_17partition_subalgoE2EiNS0_10empty_typeEbEEZZNS1_14partition_implILS5_2ELb0ES3_jN6thrust23THRUST_200600_302600_NS6detail15normal_iteratorINSA_7pointerIiNSA_11hip_rocprim3tagENSA_11use_defaultESG_EEEEPS6_NSA_18transform_iteratorI7is_evenIiENSC_INSA_10device_ptrIiEEEESG_SG_EENS0_5tupleIJPiSJ_EEENSR_IJSJ_SJ_EEES6_PlJS6_EEE10hipError_tPvRmT3_T4_T5_T6_T7_T9_mT8_P12ihipStream_tbDpT10_ENKUlT_T0_E_clISt17integral_constantIbLb0EES1E_IbLb1EEEEDaS1A_S1B_EUlS1A_E_NS1_11comp_targetILNS1_3genE10ELNS1_11target_archE1200ELNS1_3gpuE4ELNS1_3repE0EEENS1_30default_config_static_selectorELNS0_4arch9wavefront6targetE1EEEvT1_,comdat
.Lfunc_end252:
	.size	_ZN7rocprim17ROCPRIM_400000_NS6detail17trampoline_kernelINS0_14default_configENS1_25partition_config_selectorILNS1_17partition_subalgoE2EiNS0_10empty_typeEbEEZZNS1_14partition_implILS5_2ELb0ES3_jN6thrust23THRUST_200600_302600_NS6detail15normal_iteratorINSA_7pointerIiNSA_11hip_rocprim3tagENSA_11use_defaultESG_EEEEPS6_NSA_18transform_iteratorI7is_evenIiENSC_INSA_10device_ptrIiEEEESG_SG_EENS0_5tupleIJPiSJ_EEENSR_IJSJ_SJ_EEES6_PlJS6_EEE10hipError_tPvRmT3_T4_T5_T6_T7_T9_mT8_P12ihipStream_tbDpT10_ENKUlT_T0_E_clISt17integral_constantIbLb0EES1E_IbLb1EEEEDaS1A_S1B_EUlS1A_E_NS1_11comp_targetILNS1_3genE10ELNS1_11target_archE1200ELNS1_3gpuE4ELNS1_3repE0EEENS1_30default_config_static_selectorELNS0_4arch9wavefront6targetE1EEEvT1_, .Lfunc_end252-_ZN7rocprim17ROCPRIM_400000_NS6detail17trampoline_kernelINS0_14default_configENS1_25partition_config_selectorILNS1_17partition_subalgoE2EiNS0_10empty_typeEbEEZZNS1_14partition_implILS5_2ELb0ES3_jN6thrust23THRUST_200600_302600_NS6detail15normal_iteratorINSA_7pointerIiNSA_11hip_rocprim3tagENSA_11use_defaultESG_EEEEPS6_NSA_18transform_iteratorI7is_evenIiENSC_INSA_10device_ptrIiEEEESG_SG_EENS0_5tupleIJPiSJ_EEENSR_IJSJ_SJ_EEES6_PlJS6_EEE10hipError_tPvRmT3_T4_T5_T6_T7_T9_mT8_P12ihipStream_tbDpT10_ENKUlT_T0_E_clISt17integral_constantIbLb0EES1E_IbLb1EEEEDaS1A_S1B_EUlS1A_E_NS1_11comp_targetILNS1_3genE10ELNS1_11target_archE1200ELNS1_3gpuE4ELNS1_3repE0EEENS1_30default_config_static_selectorELNS0_4arch9wavefront6targetE1EEEvT1_
                                        ; -- End function
	.section	.AMDGPU.csdata,"",@progbits
; Kernel info:
; codeLenInByte = 0
; NumSgprs: 6
; NumVgprs: 0
; NumAgprs: 0
; TotalNumVgprs: 0
; ScratchSize: 0
; MemoryBound: 0
; FloatMode: 240
; IeeeMode: 1
; LDSByteSize: 0 bytes/workgroup (compile time only)
; SGPRBlocks: 0
; VGPRBlocks: 0
; NumSGPRsForWavesPerEU: 6
; NumVGPRsForWavesPerEU: 1
; AccumOffset: 4
; Occupancy: 8
; WaveLimiterHint : 0
; COMPUTE_PGM_RSRC2:SCRATCH_EN: 0
; COMPUTE_PGM_RSRC2:USER_SGPR: 2
; COMPUTE_PGM_RSRC2:TRAP_HANDLER: 0
; COMPUTE_PGM_RSRC2:TGID_X_EN: 1
; COMPUTE_PGM_RSRC2:TGID_Y_EN: 0
; COMPUTE_PGM_RSRC2:TGID_Z_EN: 0
; COMPUTE_PGM_RSRC2:TIDIG_COMP_CNT: 0
; COMPUTE_PGM_RSRC3_GFX90A:ACCUM_OFFSET: 0
; COMPUTE_PGM_RSRC3_GFX90A:TG_SPLIT: 0
	.section	.text._ZN7rocprim17ROCPRIM_400000_NS6detail17trampoline_kernelINS0_14default_configENS1_25partition_config_selectorILNS1_17partition_subalgoE2EiNS0_10empty_typeEbEEZZNS1_14partition_implILS5_2ELb0ES3_jN6thrust23THRUST_200600_302600_NS6detail15normal_iteratorINSA_7pointerIiNSA_11hip_rocprim3tagENSA_11use_defaultESG_EEEEPS6_NSA_18transform_iteratorI7is_evenIiENSC_INSA_10device_ptrIiEEEESG_SG_EENS0_5tupleIJPiSJ_EEENSR_IJSJ_SJ_EEES6_PlJS6_EEE10hipError_tPvRmT3_T4_T5_T6_T7_T9_mT8_P12ihipStream_tbDpT10_ENKUlT_T0_E_clISt17integral_constantIbLb0EES1E_IbLb1EEEEDaS1A_S1B_EUlS1A_E_NS1_11comp_targetILNS1_3genE9ELNS1_11target_archE1100ELNS1_3gpuE3ELNS1_3repE0EEENS1_30default_config_static_selectorELNS0_4arch9wavefront6targetE1EEEvT1_,"axG",@progbits,_ZN7rocprim17ROCPRIM_400000_NS6detail17trampoline_kernelINS0_14default_configENS1_25partition_config_selectorILNS1_17partition_subalgoE2EiNS0_10empty_typeEbEEZZNS1_14partition_implILS5_2ELb0ES3_jN6thrust23THRUST_200600_302600_NS6detail15normal_iteratorINSA_7pointerIiNSA_11hip_rocprim3tagENSA_11use_defaultESG_EEEEPS6_NSA_18transform_iteratorI7is_evenIiENSC_INSA_10device_ptrIiEEEESG_SG_EENS0_5tupleIJPiSJ_EEENSR_IJSJ_SJ_EEES6_PlJS6_EEE10hipError_tPvRmT3_T4_T5_T6_T7_T9_mT8_P12ihipStream_tbDpT10_ENKUlT_T0_E_clISt17integral_constantIbLb0EES1E_IbLb1EEEEDaS1A_S1B_EUlS1A_E_NS1_11comp_targetILNS1_3genE9ELNS1_11target_archE1100ELNS1_3gpuE3ELNS1_3repE0EEENS1_30default_config_static_selectorELNS0_4arch9wavefront6targetE1EEEvT1_,comdat
	.protected	_ZN7rocprim17ROCPRIM_400000_NS6detail17trampoline_kernelINS0_14default_configENS1_25partition_config_selectorILNS1_17partition_subalgoE2EiNS0_10empty_typeEbEEZZNS1_14partition_implILS5_2ELb0ES3_jN6thrust23THRUST_200600_302600_NS6detail15normal_iteratorINSA_7pointerIiNSA_11hip_rocprim3tagENSA_11use_defaultESG_EEEEPS6_NSA_18transform_iteratorI7is_evenIiENSC_INSA_10device_ptrIiEEEESG_SG_EENS0_5tupleIJPiSJ_EEENSR_IJSJ_SJ_EEES6_PlJS6_EEE10hipError_tPvRmT3_T4_T5_T6_T7_T9_mT8_P12ihipStream_tbDpT10_ENKUlT_T0_E_clISt17integral_constantIbLb0EES1E_IbLb1EEEEDaS1A_S1B_EUlS1A_E_NS1_11comp_targetILNS1_3genE9ELNS1_11target_archE1100ELNS1_3gpuE3ELNS1_3repE0EEENS1_30default_config_static_selectorELNS0_4arch9wavefront6targetE1EEEvT1_ ; -- Begin function _ZN7rocprim17ROCPRIM_400000_NS6detail17trampoline_kernelINS0_14default_configENS1_25partition_config_selectorILNS1_17partition_subalgoE2EiNS0_10empty_typeEbEEZZNS1_14partition_implILS5_2ELb0ES3_jN6thrust23THRUST_200600_302600_NS6detail15normal_iteratorINSA_7pointerIiNSA_11hip_rocprim3tagENSA_11use_defaultESG_EEEEPS6_NSA_18transform_iteratorI7is_evenIiENSC_INSA_10device_ptrIiEEEESG_SG_EENS0_5tupleIJPiSJ_EEENSR_IJSJ_SJ_EEES6_PlJS6_EEE10hipError_tPvRmT3_T4_T5_T6_T7_T9_mT8_P12ihipStream_tbDpT10_ENKUlT_T0_E_clISt17integral_constantIbLb0EES1E_IbLb1EEEEDaS1A_S1B_EUlS1A_E_NS1_11comp_targetILNS1_3genE9ELNS1_11target_archE1100ELNS1_3gpuE3ELNS1_3repE0EEENS1_30default_config_static_selectorELNS0_4arch9wavefront6targetE1EEEvT1_
	.globl	_ZN7rocprim17ROCPRIM_400000_NS6detail17trampoline_kernelINS0_14default_configENS1_25partition_config_selectorILNS1_17partition_subalgoE2EiNS0_10empty_typeEbEEZZNS1_14partition_implILS5_2ELb0ES3_jN6thrust23THRUST_200600_302600_NS6detail15normal_iteratorINSA_7pointerIiNSA_11hip_rocprim3tagENSA_11use_defaultESG_EEEEPS6_NSA_18transform_iteratorI7is_evenIiENSC_INSA_10device_ptrIiEEEESG_SG_EENS0_5tupleIJPiSJ_EEENSR_IJSJ_SJ_EEES6_PlJS6_EEE10hipError_tPvRmT3_T4_T5_T6_T7_T9_mT8_P12ihipStream_tbDpT10_ENKUlT_T0_E_clISt17integral_constantIbLb0EES1E_IbLb1EEEEDaS1A_S1B_EUlS1A_E_NS1_11comp_targetILNS1_3genE9ELNS1_11target_archE1100ELNS1_3gpuE3ELNS1_3repE0EEENS1_30default_config_static_selectorELNS0_4arch9wavefront6targetE1EEEvT1_
	.p2align	8
	.type	_ZN7rocprim17ROCPRIM_400000_NS6detail17trampoline_kernelINS0_14default_configENS1_25partition_config_selectorILNS1_17partition_subalgoE2EiNS0_10empty_typeEbEEZZNS1_14partition_implILS5_2ELb0ES3_jN6thrust23THRUST_200600_302600_NS6detail15normal_iteratorINSA_7pointerIiNSA_11hip_rocprim3tagENSA_11use_defaultESG_EEEEPS6_NSA_18transform_iteratorI7is_evenIiENSC_INSA_10device_ptrIiEEEESG_SG_EENS0_5tupleIJPiSJ_EEENSR_IJSJ_SJ_EEES6_PlJS6_EEE10hipError_tPvRmT3_T4_T5_T6_T7_T9_mT8_P12ihipStream_tbDpT10_ENKUlT_T0_E_clISt17integral_constantIbLb0EES1E_IbLb1EEEEDaS1A_S1B_EUlS1A_E_NS1_11comp_targetILNS1_3genE9ELNS1_11target_archE1100ELNS1_3gpuE3ELNS1_3repE0EEENS1_30default_config_static_selectorELNS0_4arch9wavefront6targetE1EEEvT1_,@function
_ZN7rocprim17ROCPRIM_400000_NS6detail17trampoline_kernelINS0_14default_configENS1_25partition_config_selectorILNS1_17partition_subalgoE2EiNS0_10empty_typeEbEEZZNS1_14partition_implILS5_2ELb0ES3_jN6thrust23THRUST_200600_302600_NS6detail15normal_iteratorINSA_7pointerIiNSA_11hip_rocprim3tagENSA_11use_defaultESG_EEEEPS6_NSA_18transform_iteratorI7is_evenIiENSC_INSA_10device_ptrIiEEEESG_SG_EENS0_5tupleIJPiSJ_EEENSR_IJSJ_SJ_EEES6_PlJS6_EEE10hipError_tPvRmT3_T4_T5_T6_T7_T9_mT8_P12ihipStream_tbDpT10_ENKUlT_T0_E_clISt17integral_constantIbLb0EES1E_IbLb1EEEEDaS1A_S1B_EUlS1A_E_NS1_11comp_targetILNS1_3genE9ELNS1_11target_archE1100ELNS1_3gpuE3ELNS1_3repE0EEENS1_30default_config_static_selectorELNS0_4arch9wavefront6targetE1EEEvT1_: ; @_ZN7rocprim17ROCPRIM_400000_NS6detail17trampoline_kernelINS0_14default_configENS1_25partition_config_selectorILNS1_17partition_subalgoE2EiNS0_10empty_typeEbEEZZNS1_14partition_implILS5_2ELb0ES3_jN6thrust23THRUST_200600_302600_NS6detail15normal_iteratorINSA_7pointerIiNSA_11hip_rocprim3tagENSA_11use_defaultESG_EEEEPS6_NSA_18transform_iteratorI7is_evenIiENSC_INSA_10device_ptrIiEEEESG_SG_EENS0_5tupleIJPiSJ_EEENSR_IJSJ_SJ_EEES6_PlJS6_EEE10hipError_tPvRmT3_T4_T5_T6_T7_T9_mT8_P12ihipStream_tbDpT10_ENKUlT_T0_E_clISt17integral_constantIbLb0EES1E_IbLb1EEEEDaS1A_S1B_EUlS1A_E_NS1_11comp_targetILNS1_3genE9ELNS1_11target_archE1100ELNS1_3gpuE3ELNS1_3repE0EEENS1_30default_config_static_selectorELNS0_4arch9wavefront6targetE1EEEvT1_
; %bb.0:
	.section	.rodata,"a",@progbits
	.p2align	6, 0x0
	.amdhsa_kernel _ZN7rocprim17ROCPRIM_400000_NS6detail17trampoline_kernelINS0_14default_configENS1_25partition_config_selectorILNS1_17partition_subalgoE2EiNS0_10empty_typeEbEEZZNS1_14partition_implILS5_2ELb0ES3_jN6thrust23THRUST_200600_302600_NS6detail15normal_iteratorINSA_7pointerIiNSA_11hip_rocprim3tagENSA_11use_defaultESG_EEEEPS6_NSA_18transform_iteratorI7is_evenIiENSC_INSA_10device_ptrIiEEEESG_SG_EENS0_5tupleIJPiSJ_EEENSR_IJSJ_SJ_EEES6_PlJS6_EEE10hipError_tPvRmT3_T4_T5_T6_T7_T9_mT8_P12ihipStream_tbDpT10_ENKUlT_T0_E_clISt17integral_constantIbLb0EES1E_IbLb1EEEEDaS1A_S1B_EUlS1A_E_NS1_11comp_targetILNS1_3genE9ELNS1_11target_archE1100ELNS1_3gpuE3ELNS1_3repE0EEENS1_30default_config_static_selectorELNS0_4arch9wavefront6targetE1EEEvT1_
		.amdhsa_group_segment_fixed_size 0
		.amdhsa_private_segment_fixed_size 0
		.amdhsa_kernarg_size 144
		.amdhsa_user_sgpr_count 2
		.amdhsa_user_sgpr_dispatch_ptr 0
		.amdhsa_user_sgpr_queue_ptr 0
		.amdhsa_user_sgpr_kernarg_segment_ptr 1
		.amdhsa_user_sgpr_dispatch_id 0
		.amdhsa_user_sgpr_kernarg_preload_length 0
		.amdhsa_user_sgpr_kernarg_preload_offset 0
		.amdhsa_user_sgpr_private_segment_size 0
		.amdhsa_uses_dynamic_stack 0
		.amdhsa_enable_private_segment 0
		.amdhsa_system_sgpr_workgroup_id_x 1
		.amdhsa_system_sgpr_workgroup_id_y 0
		.amdhsa_system_sgpr_workgroup_id_z 0
		.amdhsa_system_sgpr_workgroup_info 0
		.amdhsa_system_vgpr_workitem_id 0
		.amdhsa_next_free_vgpr 1
		.amdhsa_next_free_sgpr 0
		.amdhsa_accum_offset 4
		.amdhsa_reserve_vcc 0
		.amdhsa_float_round_mode_32 0
		.amdhsa_float_round_mode_16_64 0
		.amdhsa_float_denorm_mode_32 3
		.amdhsa_float_denorm_mode_16_64 3
		.amdhsa_dx10_clamp 1
		.amdhsa_ieee_mode 1
		.amdhsa_fp16_overflow 0
		.amdhsa_tg_split 0
		.amdhsa_exception_fp_ieee_invalid_op 0
		.amdhsa_exception_fp_denorm_src 0
		.amdhsa_exception_fp_ieee_div_zero 0
		.amdhsa_exception_fp_ieee_overflow 0
		.amdhsa_exception_fp_ieee_underflow 0
		.amdhsa_exception_fp_ieee_inexact 0
		.amdhsa_exception_int_div_zero 0
	.end_amdhsa_kernel
	.section	.text._ZN7rocprim17ROCPRIM_400000_NS6detail17trampoline_kernelINS0_14default_configENS1_25partition_config_selectorILNS1_17partition_subalgoE2EiNS0_10empty_typeEbEEZZNS1_14partition_implILS5_2ELb0ES3_jN6thrust23THRUST_200600_302600_NS6detail15normal_iteratorINSA_7pointerIiNSA_11hip_rocprim3tagENSA_11use_defaultESG_EEEEPS6_NSA_18transform_iteratorI7is_evenIiENSC_INSA_10device_ptrIiEEEESG_SG_EENS0_5tupleIJPiSJ_EEENSR_IJSJ_SJ_EEES6_PlJS6_EEE10hipError_tPvRmT3_T4_T5_T6_T7_T9_mT8_P12ihipStream_tbDpT10_ENKUlT_T0_E_clISt17integral_constantIbLb0EES1E_IbLb1EEEEDaS1A_S1B_EUlS1A_E_NS1_11comp_targetILNS1_3genE9ELNS1_11target_archE1100ELNS1_3gpuE3ELNS1_3repE0EEENS1_30default_config_static_selectorELNS0_4arch9wavefront6targetE1EEEvT1_,"axG",@progbits,_ZN7rocprim17ROCPRIM_400000_NS6detail17trampoline_kernelINS0_14default_configENS1_25partition_config_selectorILNS1_17partition_subalgoE2EiNS0_10empty_typeEbEEZZNS1_14partition_implILS5_2ELb0ES3_jN6thrust23THRUST_200600_302600_NS6detail15normal_iteratorINSA_7pointerIiNSA_11hip_rocprim3tagENSA_11use_defaultESG_EEEEPS6_NSA_18transform_iteratorI7is_evenIiENSC_INSA_10device_ptrIiEEEESG_SG_EENS0_5tupleIJPiSJ_EEENSR_IJSJ_SJ_EEES6_PlJS6_EEE10hipError_tPvRmT3_T4_T5_T6_T7_T9_mT8_P12ihipStream_tbDpT10_ENKUlT_T0_E_clISt17integral_constantIbLb0EES1E_IbLb1EEEEDaS1A_S1B_EUlS1A_E_NS1_11comp_targetILNS1_3genE9ELNS1_11target_archE1100ELNS1_3gpuE3ELNS1_3repE0EEENS1_30default_config_static_selectorELNS0_4arch9wavefront6targetE1EEEvT1_,comdat
.Lfunc_end253:
	.size	_ZN7rocprim17ROCPRIM_400000_NS6detail17trampoline_kernelINS0_14default_configENS1_25partition_config_selectorILNS1_17partition_subalgoE2EiNS0_10empty_typeEbEEZZNS1_14partition_implILS5_2ELb0ES3_jN6thrust23THRUST_200600_302600_NS6detail15normal_iteratorINSA_7pointerIiNSA_11hip_rocprim3tagENSA_11use_defaultESG_EEEEPS6_NSA_18transform_iteratorI7is_evenIiENSC_INSA_10device_ptrIiEEEESG_SG_EENS0_5tupleIJPiSJ_EEENSR_IJSJ_SJ_EEES6_PlJS6_EEE10hipError_tPvRmT3_T4_T5_T6_T7_T9_mT8_P12ihipStream_tbDpT10_ENKUlT_T0_E_clISt17integral_constantIbLb0EES1E_IbLb1EEEEDaS1A_S1B_EUlS1A_E_NS1_11comp_targetILNS1_3genE9ELNS1_11target_archE1100ELNS1_3gpuE3ELNS1_3repE0EEENS1_30default_config_static_selectorELNS0_4arch9wavefront6targetE1EEEvT1_, .Lfunc_end253-_ZN7rocprim17ROCPRIM_400000_NS6detail17trampoline_kernelINS0_14default_configENS1_25partition_config_selectorILNS1_17partition_subalgoE2EiNS0_10empty_typeEbEEZZNS1_14partition_implILS5_2ELb0ES3_jN6thrust23THRUST_200600_302600_NS6detail15normal_iteratorINSA_7pointerIiNSA_11hip_rocprim3tagENSA_11use_defaultESG_EEEEPS6_NSA_18transform_iteratorI7is_evenIiENSC_INSA_10device_ptrIiEEEESG_SG_EENS0_5tupleIJPiSJ_EEENSR_IJSJ_SJ_EEES6_PlJS6_EEE10hipError_tPvRmT3_T4_T5_T6_T7_T9_mT8_P12ihipStream_tbDpT10_ENKUlT_T0_E_clISt17integral_constantIbLb0EES1E_IbLb1EEEEDaS1A_S1B_EUlS1A_E_NS1_11comp_targetILNS1_3genE9ELNS1_11target_archE1100ELNS1_3gpuE3ELNS1_3repE0EEENS1_30default_config_static_selectorELNS0_4arch9wavefront6targetE1EEEvT1_
                                        ; -- End function
	.section	.AMDGPU.csdata,"",@progbits
; Kernel info:
; codeLenInByte = 0
; NumSgprs: 6
; NumVgprs: 0
; NumAgprs: 0
; TotalNumVgprs: 0
; ScratchSize: 0
; MemoryBound: 0
; FloatMode: 240
; IeeeMode: 1
; LDSByteSize: 0 bytes/workgroup (compile time only)
; SGPRBlocks: 0
; VGPRBlocks: 0
; NumSGPRsForWavesPerEU: 6
; NumVGPRsForWavesPerEU: 1
; AccumOffset: 4
; Occupancy: 8
; WaveLimiterHint : 0
; COMPUTE_PGM_RSRC2:SCRATCH_EN: 0
; COMPUTE_PGM_RSRC2:USER_SGPR: 2
; COMPUTE_PGM_RSRC2:TRAP_HANDLER: 0
; COMPUTE_PGM_RSRC2:TGID_X_EN: 1
; COMPUTE_PGM_RSRC2:TGID_Y_EN: 0
; COMPUTE_PGM_RSRC2:TGID_Z_EN: 0
; COMPUTE_PGM_RSRC2:TIDIG_COMP_CNT: 0
; COMPUTE_PGM_RSRC3_GFX90A:ACCUM_OFFSET: 0
; COMPUTE_PGM_RSRC3_GFX90A:TG_SPLIT: 0
	.section	.text._ZN7rocprim17ROCPRIM_400000_NS6detail17trampoline_kernelINS0_14default_configENS1_25partition_config_selectorILNS1_17partition_subalgoE2EiNS0_10empty_typeEbEEZZNS1_14partition_implILS5_2ELb0ES3_jN6thrust23THRUST_200600_302600_NS6detail15normal_iteratorINSA_7pointerIiNSA_11hip_rocprim3tagENSA_11use_defaultESG_EEEEPS6_NSA_18transform_iteratorI7is_evenIiENSC_INSA_10device_ptrIiEEEESG_SG_EENS0_5tupleIJPiSJ_EEENSR_IJSJ_SJ_EEES6_PlJS6_EEE10hipError_tPvRmT3_T4_T5_T6_T7_T9_mT8_P12ihipStream_tbDpT10_ENKUlT_T0_E_clISt17integral_constantIbLb0EES1E_IbLb1EEEEDaS1A_S1B_EUlS1A_E_NS1_11comp_targetILNS1_3genE8ELNS1_11target_archE1030ELNS1_3gpuE2ELNS1_3repE0EEENS1_30default_config_static_selectorELNS0_4arch9wavefront6targetE1EEEvT1_,"axG",@progbits,_ZN7rocprim17ROCPRIM_400000_NS6detail17trampoline_kernelINS0_14default_configENS1_25partition_config_selectorILNS1_17partition_subalgoE2EiNS0_10empty_typeEbEEZZNS1_14partition_implILS5_2ELb0ES3_jN6thrust23THRUST_200600_302600_NS6detail15normal_iteratorINSA_7pointerIiNSA_11hip_rocprim3tagENSA_11use_defaultESG_EEEEPS6_NSA_18transform_iteratorI7is_evenIiENSC_INSA_10device_ptrIiEEEESG_SG_EENS0_5tupleIJPiSJ_EEENSR_IJSJ_SJ_EEES6_PlJS6_EEE10hipError_tPvRmT3_T4_T5_T6_T7_T9_mT8_P12ihipStream_tbDpT10_ENKUlT_T0_E_clISt17integral_constantIbLb0EES1E_IbLb1EEEEDaS1A_S1B_EUlS1A_E_NS1_11comp_targetILNS1_3genE8ELNS1_11target_archE1030ELNS1_3gpuE2ELNS1_3repE0EEENS1_30default_config_static_selectorELNS0_4arch9wavefront6targetE1EEEvT1_,comdat
	.protected	_ZN7rocprim17ROCPRIM_400000_NS6detail17trampoline_kernelINS0_14default_configENS1_25partition_config_selectorILNS1_17partition_subalgoE2EiNS0_10empty_typeEbEEZZNS1_14partition_implILS5_2ELb0ES3_jN6thrust23THRUST_200600_302600_NS6detail15normal_iteratorINSA_7pointerIiNSA_11hip_rocprim3tagENSA_11use_defaultESG_EEEEPS6_NSA_18transform_iteratorI7is_evenIiENSC_INSA_10device_ptrIiEEEESG_SG_EENS0_5tupleIJPiSJ_EEENSR_IJSJ_SJ_EEES6_PlJS6_EEE10hipError_tPvRmT3_T4_T5_T6_T7_T9_mT8_P12ihipStream_tbDpT10_ENKUlT_T0_E_clISt17integral_constantIbLb0EES1E_IbLb1EEEEDaS1A_S1B_EUlS1A_E_NS1_11comp_targetILNS1_3genE8ELNS1_11target_archE1030ELNS1_3gpuE2ELNS1_3repE0EEENS1_30default_config_static_selectorELNS0_4arch9wavefront6targetE1EEEvT1_ ; -- Begin function _ZN7rocprim17ROCPRIM_400000_NS6detail17trampoline_kernelINS0_14default_configENS1_25partition_config_selectorILNS1_17partition_subalgoE2EiNS0_10empty_typeEbEEZZNS1_14partition_implILS5_2ELb0ES3_jN6thrust23THRUST_200600_302600_NS6detail15normal_iteratorINSA_7pointerIiNSA_11hip_rocprim3tagENSA_11use_defaultESG_EEEEPS6_NSA_18transform_iteratorI7is_evenIiENSC_INSA_10device_ptrIiEEEESG_SG_EENS0_5tupleIJPiSJ_EEENSR_IJSJ_SJ_EEES6_PlJS6_EEE10hipError_tPvRmT3_T4_T5_T6_T7_T9_mT8_P12ihipStream_tbDpT10_ENKUlT_T0_E_clISt17integral_constantIbLb0EES1E_IbLb1EEEEDaS1A_S1B_EUlS1A_E_NS1_11comp_targetILNS1_3genE8ELNS1_11target_archE1030ELNS1_3gpuE2ELNS1_3repE0EEENS1_30default_config_static_selectorELNS0_4arch9wavefront6targetE1EEEvT1_
	.globl	_ZN7rocprim17ROCPRIM_400000_NS6detail17trampoline_kernelINS0_14default_configENS1_25partition_config_selectorILNS1_17partition_subalgoE2EiNS0_10empty_typeEbEEZZNS1_14partition_implILS5_2ELb0ES3_jN6thrust23THRUST_200600_302600_NS6detail15normal_iteratorINSA_7pointerIiNSA_11hip_rocprim3tagENSA_11use_defaultESG_EEEEPS6_NSA_18transform_iteratorI7is_evenIiENSC_INSA_10device_ptrIiEEEESG_SG_EENS0_5tupleIJPiSJ_EEENSR_IJSJ_SJ_EEES6_PlJS6_EEE10hipError_tPvRmT3_T4_T5_T6_T7_T9_mT8_P12ihipStream_tbDpT10_ENKUlT_T0_E_clISt17integral_constantIbLb0EES1E_IbLb1EEEEDaS1A_S1B_EUlS1A_E_NS1_11comp_targetILNS1_3genE8ELNS1_11target_archE1030ELNS1_3gpuE2ELNS1_3repE0EEENS1_30default_config_static_selectorELNS0_4arch9wavefront6targetE1EEEvT1_
	.p2align	8
	.type	_ZN7rocprim17ROCPRIM_400000_NS6detail17trampoline_kernelINS0_14default_configENS1_25partition_config_selectorILNS1_17partition_subalgoE2EiNS0_10empty_typeEbEEZZNS1_14partition_implILS5_2ELb0ES3_jN6thrust23THRUST_200600_302600_NS6detail15normal_iteratorINSA_7pointerIiNSA_11hip_rocprim3tagENSA_11use_defaultESG_EEEEPS6_NSA_18transform_iteratorI7is_evenIiENSC_INSA_10device_ptrIiEEEESG_SG_EENS0_5tupleIJPiSJ_EEENSR_IJSJ_SJ_EEES6_PlJS6_EEE10hipError_tPvRmT3_T4_T5_T6_T7_T9_mT8_P12ihipStream_tbDpT10_ENKUlT_T0_E_clISt17integral_constantIbLb0EES1E_IbLb1EEEEDaS1A_S1B_EUlS1A_E_NS1_11comp_targetILNS1_3genE8ELNS1_11target_archE1030ELNS1_3gpuE2ELNS1_3repE0EEENS1_30default_config_static_selectorELNS0_4arch9wavefront6targetE1EEEvT1_,@function
_ZN7rocprim17ROCPRIM_400000_NS6detail17trampoline_kernelINS0_14default_configENS1_25partition_config_selectorILNS1_17partition_subalgoE2EiNS0_10empty_typeEbEEZZNS1_14partition_implILS5_2ELb0ES3_jN6thrust23THRUST_200600_302600_NS6detail15normal_iteratorINSA_7pointerIiNSA_11hip_rocprim3tagENSA_11use_defaultESG_EEEEPS6_NSA_18transform_iteratorI7is_evenIiENSC_INSA_10device_ptrIiEEEESG_SG_EENS0_5tupleIJPiSJ_EEENSR_IJSJ_SJ_EEES6_PlJS6_EEE10hipError_tPvRmT3_T4_T5_T6_T7_T9_mT8_P12ihipStream_tbDpT10_ENKUlT_T0_E_clISt17integral_constantIbLb0EES1E_IbLb1EEEEDaS1A_S1B_EUlS1A_E_NS1_11comp_targetILNS1_3genE8ELNS1_11target_archE1030ELNS1_3gpuE2ELNS1_3repE0EEENS1_30default_config_static_selectorELNS0_4arch9wavefront6targetE1EEEvT1_: ; @_ZN7rocprim17ROCPRIM_400000_NS6detail17trampoline_kernelINS0_14default_configENS1_25partition_config_selectorILNS1_17partition_subalgoE2EiNS0_10empty_typeEbEEZZNS1_14partition_implILS5_2ELb0ES3_jN6thrust23THRUST_200600_302600_NS6detail15normal_iteratorINSA_7pointerIiNSA_11hip_rocprim3tagENSA_11use_defaultESG_EEEEPS6_NSA_18transform_iteratorI7is_evenIiENSC_INSA_10device_ptrIiEEEESG_SG_EENS0_5tupleIJPiSJ_EEENSR_IJSJ_SJ_EEES6_PlJS6_EEE10hipError_tPvRmT3_T4_T5_T6_T7_T9_mT8_P12ihipStream_tbDpT10_ENKUlT_T0_E_clISt17integral_constantIbLb0EES1E_IbLb1EEEEDaS1A_S1B_EUlS1A_E_NS1_11comp_targetILNS1_3genE8ELNS1_11target_archE1030ELNS1_3gpuE2ELNS1_3repE0EEENS1_30default_config_static_selectorELNS0_4arch9wavefront6targetE1EEEvT1_
; %bb.0:
	.section	.rodata,"a",@progbits
	.p2align	6, 0x0
	.amdhsa_kernel _ZN7rocprim17ROCPRIM_400000_NS6detail17trampoline_kernelINS0_14default_configENS1_25partition_config_selectorILNS1_17partition_subalgoE2EiNS0_10empty_typeEbEEZZNS1_14partition_implILS5_2ELb0ES3_jN6thrust23THRUST_200600_302600_NS6detail15normal_iteratorINSA_7pointerIiNSA_11hip_rocprim3tagENSA_11use_defaultESG_EEEEPS6_NSA_18transform_iteratorI7is_evenIiENSC_INSA_10device_ptrIiEEEESG_SG_EENS0_5tupleIJPiSJ_EEENSR_IJSJ_SJ_EEES6_PlJS6_EEE10hipError_tPvRmT3_T4_T5_T6_T7_T9_mT8_P12ihipStream_tbDpT10_ENKUlT_T0_E_clISt17integral_constantIbLb0EES1E_IbLb1EEEEDaS1A_S1B_EUlS1A_E_NS1_11comp_targetILNS1_3genE8ELNS1_11target_archE1030ELNS1_3gpuE2ELNS1_3repE0EEENS1_30default_config_static_selectorELNS0_4arch9wavefront6targetE1EEEvT1_
		.amdhsa_group_segment_fixed_size 0
		.amdhsa_private_segment_fixed_size 0
		.amdhsa_kernarg_size 144
		.amdhsa_user_sgpr_count 2
		.amdhsa_user_sgpr_dispatch_ptr 0
		.amdhsa_user_sgpr_queue_ptr 0
		.amdhsa_user_sgpr_kernarg_segment_ptr 1
		.amdhsa_user_sgpr_dispatch_id 0
		.amdhsa_user_sgpr_kernarg_preload_length 0
		.amdhsa_user_sgpr_kernarg_preload_offset 0
		.amdhsa_user_sgpr_private_segment_size 0
		.amdhsa_uses_dynamic_stack 0
		.amdhsa_enable_private_segment 0
		.amdhsa_system_sgpr_workgroup_id_x 1
		.amdhsa_system_sgpr_workgroup_id_y 0
		.amdhsa_system_sgpr_workgroup_id_z 0
		.amdhsa_system_sgpr_workgroup_info 0
		.amdhsa_system_vgpr_workitem_id 0
		.amdhsa_next_free_vgpr 1
		.amdhsa_next_free_sgpr 0
		.amdhsa_accum_offset 4
		.amdhsa_reserve_vcc 0
		.amdhsa_float_round_mode_32 0
		.amdhsa_float_round_mode_16_64 0
		.amdhsa_float_denorm_mode_32 3
		.amdhsa_float_denorm_mode_16_64 3
		.amdhsa_dx10_clamp 1
		.amdhsa_ieee_mode 1
		.amdhsa_fp16_overflow 0
		.amdhsa_tg_split 0
		.amdhsa_exception_fp_ieee_invalid_op 0
		.amdhsa_exception_fp_denorm_src 0
		.amdhsa_exception_fp_ieee_div_zero 0
		.amdhsa_exception_fp_ieee_overflow 0
		.amdhsa_exception_fp_ieee_underflow 0
		.amdhsa_exception_fp_ieee_inexact 0
		.amdhsa_exception_int_div_zero 0
	.end_amdhsa_kernel
	.section	.text._ZN7rocprim17ROCPRIM_400000_NS6detail17trampoline_kernelINS0_14default_configENS1_25partition_config_selectorILNS1_17partition_subalgoE2EiNS0_10empty_typeEbEEZZNS1_14partition_implILS5_2ELb0ES3_jN6thrust23THRUST_200600_302600_NS6detail15normal_iteratorINSA_7pointerIiNSA_11hip_rocprim3tagENSA_11use_defaultESG_EEEEPS6_NSA_18transform_iteratorI7is_evenIiENSC_INSA_10device_ptrIiEEEESG_SG_EENS0_5tupleIJPiSJ_EEENSR_IJSJ_SJ_EEES6_PlJS6_EEE10hipError_tPvRmT3_T4_T5_T6_T7_T9_mT8_P12ihipStream_tbDpT10_ENKUlT_T0_E_clISt17integral_constantIbLb0EES1E_IbLb1EEEEDaS1A_S1B_EUlS1A_E_NS1_11comp_targetILNS1_3genE8ELNS1_11target_archE1030ELNS1_3gpuE2ELNS1_3repE0EEENS1_30default_config_static_selectorELNS0_4arch9wavefront6targetE1EEEvT1_,"axG",@progbits,_ZN7rocprim17ROCPRIM_400000_NS6detail17trampoline_kernelINS0_14default_configENS1_25partition_config_selectorILNS1_17partition_subalgoE2EiNS0_10empty_typeEbEEZZNS1_14partition_implILS5_2ELb0ES3_jN6thrust23THRUST_200600_302600_NS6detail15normal_iteratorINSA_7pointerIiNSA_11hip_rocprim3tagENSA_11use_defaultESG_EEEEPS6_NSA_18transform_iteratorI7is_evenIiENSC_INSA_10device_ptrIiEEEESG_SG_EENS0_5tupleIJPiSJ_EEENSR_IJSJ_SJ_EEES6_PlJS6_EEE10hipError_tPvRmT3_T4_T5_T6_T7_T9_mT8_P12ihipStream_tbDpT10_ENKUlT_T0_E_clISt17integral_constantIbLb0EES1E_IbLb1EEEEDaS1A_S1B_EUlS1A_E_NS1_11comp_targetILNS1_3genE8ELNS1_11target_archE1030ELNS1_3gpuE2ELNS1_3repE0EEENS1_30default_config_static_selectorELNS0_4arch9wavefront6targetE1EEEvT1_,comdat
.Lfunc_end254:
	.size	_ZN7rocprim17ROCPRIM_400000_NS6detail17trampoline_kernelINS0_14default_configENS1_25partition_config_selectorILNS1_17partition_subalgoE2EiNS0_10empty_typeEbEEZZNS1_14partition_implILS5_2ELb0ES3_jN6thrust23THRUST_200600_302600_NS6detail15normal_iteratorINSA_7pointerIiNSA_11hip_rocprim3tagENSA_11use_defaultESG_EEEEPS6_NSA_18transform_iteratorI7is_evenIiENSC_INSA_10device_ptrIiEEEESG_SG_EENS0_5tupleIJPiSJ_EEENSR_IJSJ_SJ_EEES6_PlJS6_EEE10hipError_tPvRmT3_T4_T5_T6_T7_T9_mT8_P12ihipStream_tbDpT10_ENKUlT_T0_E_clISt17integral_constantIbLb0EES1E_IbLb1EEEEDaS1A_S1B_EUlS1A_E_NS1_11comp_targetILNS1_3genE8ELNS1_11target_archE1030ELNS1_3gpuE2ELNS1_3repE0EEENS1_30default_config_static_selectorELNS0_4arch9wavefront6targetE1EEEvT1_, .Lfunc_end254-_ZN7rocprim17ROCPRIM_400000_NS6detail17trampoline_kernelINS0_14default_configENS1_25partition_config_selectorILNS1_17partition_subalgoE2EiNS0_10empty_typeEbEEZZNS1_14partition_implILS5_2ELb0ES3_jN6thrust23THRUST_200600_302600_NS6detail15normal_iteratorINSA_7pointerIiNSA_11hip_rocprim3tagENSA_11use_defaultESG_EEEEPS6_NSA_18transform_iteratorI7is_evenIiENSC_INSA_10device_ptrIiEEEESG_SG_EENS0_5tupleIJPiSJ_EEENSR_IJSJ_SJ_EEES6_PlJS6_EEE10hipError_tPvRmT3_T4_T5_T6_T7_T9_mT8_P12ihipStream_tbDpT10_ENKUlT_T0_E_clISt17integral_constantIbLb0EES1E_IbLb1EEEEDaS1A_S1B_EUlS1A_E_NS1_11comp_targetILNS1_3genE8ELNS1_11target_archE1030ELNS1_3gpuE2ELNS1_3repE0EEENS1_30default_config_static_selectorELNS0_4arch9wavefront6targetE1EEEvT1_
                                        ; -- End function
	.section	.AMDGPU.csdata,"",@progbits
; Kernel info:
; codeLenInByte = 0
; NumSgprs: 6
; NumVgprs: 0
; NumAgprs: 0
; TotalNumVgprs: 0
; ScratchSize: 0
; MemoryBound: 0
; FloatMode: 240
; IeeeMode: 1
; LDSByteSize: 0 bytes/workgroup (compile time only)
; SGPRBlocks: 0
; VGPRBlocks: 0
; NumSGPRsForWavesPerEU: 6
; NumVGPRsForWavesPerEU: 1
; AccumOffset: 4
; Occupancy: 8
; WaveLimiterHint : 0
; COMPUTE_PGM_RSRC2:SCRATCH_EN: 0
; COMPUTE_PGM_RSRC2:USER_SGPR: 2
; COMPUTE_PGM_RSRC2:TRAP_HANDLER: 0
; COMPUTE_PGM_RSRC2:TGID_X_EN: 1
; COMPUTE_PGM_RSRC2:TGID_Y_EN: 0
; COMPUTE_PGM_RSRC2:TGID_Z_EN: 0
; COMPUTE_PGM_RSRC2:TIDIG_COMP_CNT: 0
; COMPUTE_PGM_RSRC3_GFX90A:ACCUM_OFFSET: 0
; COMPUTE_PGM_RSRC3_GFX90A:TG_SPLIT: 0
	.section	.text._ZN6thrust23THRUST_200600_302600_NS11hip_rocprim14__parallel_for6kernelILj256ENS1_13__swap_ranges6swap_fINS0_6detail15normal_iteratorINS0_10device_ptrIiEEEENS0_16reverse_iteratorISA_EEEElLj1EEEvT0_T1_SF_,"axG",@progbits,_ZN6thrust23THRUST_200600_302600_NS11hip_rocprim14__parallel_for6kernelILj256ENS1_13__swap_ranges6swap_fINS0_6detail15normal_iteratorINS0_10device_ptrIiEEEENS0_16reverse_iteratorISA_EEEElLj1EEEvT0_T1_SF_,comdat
	.protected	_ZN6thrust23THRUST_200600_302600_NS11hip_rocprim14__parallel_for6kernelILj256ENS1_13__swap_ranges6swap_fINS0_6detail15normal_iteratorINS0_10device_ptrIiEEEENS0_16reverse_iteratorISA_EEEElLj1EEEvT0_T1_SF_ ; -- Begin function _ZN6thrust23THRUST_200600_302600_NS11hip_rocprim14__parallel_for6kernelILj256ENS1_13__swap_ranges6swap_fINS0_6detail15normal_iteratorINS0_10device_ptrIiEEEENS0_16reverse_iteratorISA_EEEElLj1EEEvT0_T1_SF_
	.globl	_ZN6thrust23THRUST_200600_302600_NS11hip_rocprim14__parallel_for6kernelILj256ENS1_13__swap_ranges6swap_fINS0_6detail15normal_iteratorINS0_10device_ptrIiEEEENS0_16reverse_iteratorISA_EEEElLj1EEEvT0_T1_SF_
	.p2align	8
	.type	_ZN6thrust23THRUST_200600_302600_NS11hip_rocprim14__parallel_for6kernelILj256ENS1_13__swap_ranges6swap_fINS0_6detail15normal_iteratorINS0_10device_ptrIiEEEENS0_16reverse_iteratorISA_EEEElLj1EEEvT0_T1_SF_,@function
_ZN6thrust23THRUST_200600_302600_NS11hip_rocprim14__parallel_for6kernelILj256ENS1_13__swap_ranges6swap_fINS0_6detail15normal_iteratorINS0_10device_ptrIiEEEENS0_16reverse_iteratorISA_EEEElLj1EEEvT0_T1_SF_: ; @_ZN6thrust23THRUST_200600_302600_NS11hip_rocprim14__parallel_for6kernelILj256ENS1_13__swap_ranges6swap_fINS0_6detail15normal_iteratorINS0_10device_ptrIiEEEENS0_16reverse_iteratorISA_EEEElLj1EEEvT0_T1_SF_
; %bb.0:
	s_load_dwordx8 s[4:11], s[0:1], 0x0
	s_lshl_b32 s0, s2, 8
	v_mov_b64_e32 v[2:3], 0x100
	s_waitcnt lgkmcnt(0)
	s_add_u32 s0, s0, s10
	s_addc_u32 s1, 0, s11
	s_sub_u32 s2, s8, s0
	s_subb_u32 s3, s9, s1
	v_cmp_lt_i64_e32 vcc, s[2:3], v[2:3]
	s_and_b64 s[8:9], vcc, exec
	s_cselect_b32 s8, s2, 0x100
	s_cmpk_lg_i32 s8, 0x100
	s_mov_b64 s[2:3], -1
	s_cbranch_scc1 .LBB255_3
; %bb.1:
	s_andn2_b64 vcc, exec, s[2:3]
	s_cbranch_vccz .LBB255_6
.LBB255_2:
	s_endpgm
.LBB255_3:
	v_cmp_gt_u32_e32 vcc, s8, v0
	s_and_saveexec_b64 s[2:3], vcc
	s_cbranch_execz .LBB255_5
; %bb.4:
	v_mov_b32_e32 v1, 0
	v_lshl_add_u64 v[2:3], s[0:1], 0, v[0:1]
	v_lshlrev_b64 v[2:3], 2, v[2:3]
	v_mov_b32_e32 v1, s7
	v_sub_co_u32_e32 v4, vcc, s6, v2
	s_nop 1
	v_subb_co_u32_e32 v1, vcc, v1, v3, vcc
	v_add_co_u32_e32 v4, vcc, -4, v4
	v_lshl_add_u64 v[2:3], s[4:5], 0, v[2:3]
	s_nop 0
	v_addc_co_u32_e32 v5, vcc, -1, v1, vcc
	flat_load_dword v1, v[4:5]
	flat_load_dword v6, v[2:3]
	s_waitcnt vmcnt(0) lgkmcnt(0)
	flat_store_dword v[2:3], v1
	flat_store_dword v[4:5], v6
.LBB255_5:
	s_or_b64 exec, exec, s[2:3]
	s_cbranch_execnz .LBB255_2
.LBB255_6:
	v_mov_b32_e32 v1, 0
	v_lshl_add_u64 v[0:1], s[0:1], 0, v[0:1]
	v_lshlrev_b64 v[0:1], 2, v[0:1]
	v_lshl_add_u64 v[2:3], s[4:5], 0, v[0:1]
	v_mov_b32_e32 v4, s7
	v_sub_co_u32_e32 v0, vcc, s6, v0
	s_nop 1
	v_subb_co_u32_e32 v1, vcc, v4, v1, vcc
	v_add_co_u32_e32 v0, vcc, -4, v0
	s_nop 1
	v_addc_co_u32_e32 v1, vcc, -1, v1, vcc
	flat_load_dword v4, v[0:1]
	flat_load_dword v5, v[2:3]
	s_waitcnt vmcnt(0) lgkmcnt(0)
	flat_store_dword v[2:3], v4
	flat_store_dword v[0:1], v5
	s_endpgm
	.section	.rodata,"a",@progbits
	.p2align	6, 0x0
	.amdhsa_kernel _ZN6thrust23THRUST_200600_302600_NS11hip_rocprim14__parallel_for6kernelILj256ENS1_13__swap_ranges6swap_fINS0_6detail15normal_iteratorINS0_10device_ptrIiEEEENS0_16reverse_iteratorISA_EEEElLj1EEEvT0_T1_SF_
		.amdhsa_group_segment_fixed_size 0
		.amdhsa_private_segment_fixed_size 0
		.amdhsa_kernarg_size 32
		.amdhsa_user_sgpr_count 2
		.amdhsa_user_sgpr_dispatch_ptr 0
		.amdhsa_user_sgpr_queue_ptr 0
		.amdhsa_user_sgpr_kernarg_segment_ptr 1
		.amdhsa_user_sgpr_dispatch_id 0
		.amdhsa_user_sgpr_kernarg_preload_length 0
		.amdhsa_user_sgpr_kernarg_preload_offset 0
		.amdhsa_user_sgpr_private_segment_size 0
		.amdhsa_uses_dynamic_stack 0
		.amdhsa_enable_private_segment 0
		.amdhsa_system_sgpr_workgroup_id_x 1
		.amdhsa_system_sgpr_workgroup_id_y 0
		.amdhsa_system_sgpr_workgroup_id_z 0
		.amdhsa_system_sgpr_workgroup_info 0
		.amdhsa_system_vgpr_workitem_id 0
		.amdhsa_next_free_vgpr 7
		.amdhsa_next_free_sgpr 12
		.amdhsa_accum_offset 8
		.amdhsa_reserve_vcc 1
		.amdhsa_float_round_mode_32 0
		.amdhsa_float_round_mode_16_64 0
		.amdhsa_float_denorm_mode_32 3
		.amdhsa_float_denorm_mode_16_64 3
		.amdhsa_dx10_clamp 1
		.amdhsa_ieee_mode 1
		.amdhsa_fp16_overflow 0
		.amdhsa_tg_split 0
		.amdhsa_exception_fp_ieee_invalid_op 0
		.amdhsa_exception_fp_denorm_src 0
		.amdhsa_exception_fp_ieee_div_zero 0
		.amdhsa_exception_fp_ieee_overflow 0
		.amdhsa_exception_fp_ieee_underflow 0
		.amdhsa_exception_fp_ieee_inexact 0
		.amdhsa_exception_int_div_zero 0
	.end_amdhsa_kernel
	.section	.text._ZN6thrust23THRUST_200600_302600_NS11hip_rocprim14__parallel_for6kernelILj256ENS1_13__swap_ranges6swap_fINS0_6detail15normal_iteratorINS0_10device_ptrIiEEEENS0_16reverse_iteratorISA_EEEElLj1EEEvT0_T1_SF_,"axG",@progbits,_ZN6thrust23THRUST_200600_302600_NS11hip_rocprim14__parallel_for6kernelILj256ENS1_13__swap_ranges6swap_fINS0_6detail15normal_iteratorINS0_10device_ptrIiEEEENS0_16reverse_iteratorISA_EEEElLj1EEEvT0_T1_SF_,comdat
.Lfunc_end255:
	.size	_ZN6thrust23THRUST_200600_302600_NS11hip_rocprim14__parallel_for6kernelILj256ENS1_13__swap_ranges6swap_fINS0_6detail15normal_iteratorINS0_10device_ptrIiEEEENS0_16reverse_iteratorISA_EEEElLj1EEEvT0_T1_SF_, .Lfunc_end255-_ZN6thrust23THRUST_200600_302600_NS11hip_rocprim14__parallel_for6kernelILj256ENS1_13__swap_ranges6swap_fINS0_6detail15normal_iteratorINS0_10device_ptrIiEEEENS0_16reverse_iteratorISA_EEEElLj1EEEvT0_T1_SF_
                                        ; -- End function
	.section	.AMDGPU.csdata,"",@progbits
; Kernel info:
; codeLenInByte = 288
; NumSgprs: 18
; NumVgprs: 7
; NumAgprs: 0
; TotalNumVgprs: 7
; ScratchSize: 0
; MemoryBound: 0
; FloatMode: 240
; IeeeMode: 1
; LDSByteSize: 0 bytes/workgroup (compile time only)
; SGPRBlocks: 2
; VGPRBlocks: 0
; NumSGPRsForWavesPerEU: 18
; NumVGPRsForWavesPerEU: 7
; AccumOffset: 8
; Occupancy: 8
; WaveLimiterHint : 0
; COMPUTE_PGM_RSRC2:SCRATCH_EN: 0
; COMPUTE_PGM_RSRC2:USER_SGPR: 2
; COMPUTE_PGM_RSRC2:TRAP_HANDLER: 0
; COMPUTE_PGM_RSRC2:TGID_X_EN: 1
; COMPUTE_PGM_RSRC2:TGID_Y_EN: 0
; COMPUTE_PGM_RSRC2:TGID_Z_EN: 0
; COMPUTE_PGM_RSRC2:TIDIG_COMP_CNT: 0
; COMPUTE_PGM_RSRC3_GFX90A:ACCUM_OFFSET: 1
; COMPUTE_PGM_RSRC3_GFX90A:TG_SPLIT: 0
	.section	.text._ZN7rocprim17ROCPRIM_400000_NS6detail17trampoline_kernelINS0_14default_configENS1_25partition_config_selectorILNS1_17partition_subalgoE2EsNS0_10empty_typeEbEEZZNS1_14partition_implILS5_2ELb0ES3_jN6thrust23THRUST_200600_302600_NS6detail15normal_iteratorINSA_7pointerIsNSA_11hip_rocprim3tagENSA_11use_defaultESG_EEEEPS6_NSA_18transform_iteratorI7is_evenIsENSC_INSA_10device_ptrIsEEEESG_SG_EENS0_5tupleIJPsSJ_EEENSR_IJSJ_SJ_EEES6_PlJS6_EEE10hipError_tPvRmT3_T4_T5_T6_T7_T9_mT8_P12ihipStream_tbDpT10_ENKUlT_T0_E_clISt17integral_constantIbLb0EES1F_EEDaS1A_S1B_EUlS1A_E_NS1_11comp_targetILNS1_3genE0ELNS1_11target_archE4294967295ELNS1_3gpuE0ELNS1_3repE0EEENS1_30default_config_static_selectorELNS0_4arch9wavefront6targetE1EEEvT1_,"axG",@progbits,_ZN7rocprim17ROCPRIM_400000_NS6detail17trampoline_kernelINS0_14default_configENS1_25partition_config_selectorILNS1_17partition_subalgoE2EsNS0_10empty_typeEbEEZZNS1_14partition_implILS5_2ELb0ES3_jN6thrust23THRUST_200600_302600_NS6detail15normal_iteratorINSA_7pointerIsNSA_11hip_rocprim3tagENSA_11use_defaultESG_EEEEPS6_NSA_18transform_iteratorI7is_evenIsENSC_INSA_10device_ptrIsEEEESG_SG_EENS0_5tupleIJPsSJ_EEENSR_IJSJ_SJ_EEES6_PlJS6_EEE10hipError_tPvRmT3_T4_T5_T6_T7_T9_mT8_P12ihipStream_tbDpT10_ENKUlT_T0_E_clISt17integral_constantIbLb0EES1F_EEDaS1A_S1B_EUlS1A_E_NS1_11comp_targetILNS1_3genE0ELNS1_11target_archE4294967295ELNS1_3gpuE0ELNS1_3repE0EEENS1_30default_config_static_selectorELNS0_4arch9wavefront6targetE1EEEvT1_,comdat
	.protected	_ZN7rocprim17ROCPRIM_400000_NS6detail17trampoline_kernelINS0_14default_configENS1_25partition_config_selectorILNS1_17partition_subalgoE2EsNS0_10empty_typeEbEEZZNS1_14partition_implILS5_2ELb0ES3_jN6thrust23THRUST_200600_302600_NS6detail15normal_iteratorINSA_7pointerIsNSA_11hip_rocprim3tagENSA_11use_defaultESG_EEEEPS6_NSA_18transform_iteratorI7is_evenIsENSC_INSA_10device_ptrIsEEEESG_SG_EENS0_5tupleIJPsSJ_EEENSR_IJSJ_SJ_EEES6_PlJS6_EEE10hipError_tPvRmT3_T4_T5_T6_T7_T9_mT8_P12ihipStream_tbDpT10_ENKUlT_T0_E_clISt17integral_constantIbLb0EES1F_EEDaS1A_S1B_EUlS1A_E_NS1_11comp_targetILNS1_3genE0ELNS1_11target_archE4294967295ELNS1_3gpuE0ELNS1_3repE0EEENS1_30default_config_static_selectorELNS0_4arch9wavefront6targetE1EEEvT1_ ; -- Begin function _ZN7rocprim17ROCPRIM_400000_NS6detail17trampoline_kernelINS0_14default_configENS1_25partition_config_selectorILNS1_17partition_subalgoE2EsNS0_10empty_typeEbEEZZNS1_14partition_implILS5_2ELb0ES3_jN6thrust23THRUST_200600_302600_NS6detail15normal_iteratorINSA_7pointerIsNSA_11hip_rocprim3tagENSA_11use_defaultESG_EEEEPS6_NSA_18transform_iteratorI7is_evenIsENSC_INSA_10device_ptrIsEEEESG_SG_EENS0_5tupleIJPsSJ_EEENSR_IJSJ_SJ_EEES6_PlJS6_EEE10hipError_tPvRmT3_T4_T5_T6_T7_T9_mT8_P12ihipStream_tbDpT10_ENKUlT_T0_E_clISt17integral_constantIbLb0EES1F_EEDaS1A_S1B_EUlS1A_E_NS1_11comp_targetILNS1_3genE0ELNS1_11target_archE4294967295ELNS1_3gpuE0ELNS1_3repE0EEENS1_30default_config_static_selectorELNS0_4arch9wavefront6targetE1EEEvT1_
	.globl	_ZN7rocprim17ROCPRIM_400000_NS6detail17trampoline_kernelINS0_14default_configENS1_25partition_config_selectorILNS1_17partition_subalgoE2EsNS0_10empty_typeEbEEZZNS1_14partition_implILS5_2ELb0ES3_jN6thrust23THRUST_200600_302600_NS6detail15normal_iteratorINSA_7pointerIsNSA_11hip_rocprim3tagENSA_11use_defaultESG_EEEEPS6_NSA_18transform_iteratorI7is_evenIsENSC_INSA_10device_ptrIsEEEESG_SG_EENS0_5tupleIJPsSJ_EEENSR_IJSJ_SJ_EEES6_PlJS6_EEE10hipError_tPvRmT3_T4_T5_T6_T7_T9_mT8_P12ihipStream_tbDpT10_ENKUlT_T0_E_clISt17integral_constantIbLb0EES1F_EEDaS1A_S1B_EUlS1A_E_NS1_11comp_targetILNS1_3genE0ELNS1_11target_archE4294967295ELNS1_3gpuE0ELNS1_3repE0EEENS1_30default_config_static_selectorELNS0_4arch9wavefront6targetE1EEEvT1_
	.p2align	8
	.type	_ZN7rocprim17ROCPRIM_400000_NS6detail17trampoline_kernelINS0_14default_configENS1_25partition_config_selectorILNS1_17partition_subalgoE2EsNS0_10empty_typeEbEEZZNS1_14partition_implILS5_2ELb0ES3_jN6thrust23THRUST_200600_302600_NS6detail15normal_iteratorINSA_7pointerIsNSA_11hip_rocprim3tagENSA_11use_defaultESG_EEEEPS6_NSA_18transform_iteratorI7is_evenIsENSC_INSA_10device_ptrIsEEEESG_SG_EENS0_5tupleIJPsSJ_EEENSR_IJSJ_SJ_EEES6_PlJS6_EEE10hipError_tPvRmT3_T4_T5_T6_T7_T9_mT8_P12ihipStream_tbDpT10_ENKUlT_T0_E_clISt17integral_constantIbLb0EES1F_EEDaS1A_S1B_EUlS1A_E_NS1_11comp_targetILNS1_3genE0ELNS1_11target_archE4294967295ELNS1_3gpuE0ELNS1_3repE0EEENS1_30default_config_static_selectorELNS0_4arch9wavefront6targetE1EEEvT1_,@function
_ZN7rocprim17ROCPRIM_400000_NS6detail17trampoline_kernelINS0_14default_configENS1_25partition_config_selectorILNS1_17partition_subalgoE2EsNS0_10empty_typeEbEEZZNS1_14partition_implILS5_2ELb0ES3_jN6thrust23THRUST_200600_302600_NS6detail15normal_iteratorINSA_7pointerIsNSA_11hip_rocprim3tagENSA_11use_defaultESG_EEEEPS6_NSA_18transform_iteratorI7is_evenIsENSC_INSA_10device_ptrIsEEEESG_SG_EENS0_5tupleIJPsSJ_EEENSR_IJSJ_SJ_EEES6_PlJS6_EEE10hipError_tPvRmT3_T4_T5_T6_T7_T9_mT8_P12ihipStream_tbDpT10_ENKUlT_T0_E_clISt17integral_constantIbLb0EES1F_EEDaS1A_S1B_EUlS1A_E_NS1_11comp_targetILNS1_3genE0ELNS1_11target_archE4294967295ELNS1_3gpuE0ELNS1_3repE0EEENS1_30default_config_static_selectorELNS0_4arch9wavefront6targetE1EEEvT1_: ; @_ZN7rocprim17ROCPRIM_400000_NS6detail17trampoline_kernelINS0_14default_configENS1_25partition_config_selectorILNS1_17partition_subalgoE2EsNS0_10empty_typeEbEEZZNS1_14partition_implILS5_2ELb0ES3_jN6thrust23THRUST_200600_302600_NS6detail15normal_iteratorINSA_7pointerIsNSA_11hip_rocprim3tagENSA_11use_defaultESG_EEEEPS6_NSA_18transform_iteratorI7is_evenIsENSC_INSA_10device_ptrIsEEEESG_SG_EENS0_5tupleIJPsSJ_EEENSR_IJSJ_SJ_EEES6_PlJS6_EEE10hipError_tPvRmT3_T4_T5_T6_T7_T9_mT8_P12ihipStream_tbDpT10_ENKUlT_T0_E_clISt17integral_constantIbLb0EES1F_EEDaS1A_S1B_EUlS1A_E_NS1_11comp_targetILNS1_3genE0ELNS1_11target_archE4294967295ELNS1_3gpuE0ELNS1_3repE0EEENS1_30default_config_static_selectorELNS0_4arch9wavefront6targetE1EEEvT1_
; %bb.0:
	.section	.rodata,"a",@progbits
	.p2align	6, 0x0
	.amdhsa_kernel _ZN7rocprim17ROCPRIM_400000_NS6detail17trampoline_kernelINS0_14default_configENS1_25partition_config_selectorILNS1_17partition_subalgoE2EsNS0_10empty_typeEbEEZZNS1_14partition_implILS5_2ELb0ES3_jN6thrust23THRUST_200600_302600_NS6detail15normal_iteratorINSA_7pointerIsNSA_11hip_rocprim3tagENSA_11use_defaultESG_EEEEPS6_NSA_18transform_iteratorI7is_evenIsENSC_INSA_10device_ptrIsEEEESG_SG_EENS0_5tupleIJPsSJ_EEENSR_IJSJ_SJ_EEES6_PlJS6_EEE10hipError_tPvRmT3_T4_T5_T6_T7_T9_mT8_P12ihipStream_tbDpT10_ENKUlT_T0_E_clISt17integral_constantIbLb0EES1F_EEDaS1A_S1B_EUlS1A_E_NS1_11comp_targetILNS1_3genE0ELNS1_11target_archE4294967295ELNS1_3gpuE0ELNS1_3repE0EEENS1_30default_config_static_selectorELNS0_4arch9wavefront6targetE1EEEvT1_
		.amdhsa_group_segment_fixed_size 0
		.amdhsa_private_segment_fixed_size 0
		.amdhsa_kernarg_size 128
		.amdhsa_user_sgpr_count 2
		.amdhsa_user_sgpr_dispatch_ptr 0
		.amdhsa_user_sgpr_queue_ptr 0
		.amdhsa_user_sgpr_kernarg_segment_ptr 1
		.amdhsa_user_sgpr_dispatch_id 0
		.amdhsa_user_sgpr_kernarg_preload_length 0
		.amdhsa_user_sgpr_kernarg_preload_offset 0
		.amdhsa_user_sgpr_private_segment_size 0
		.amdhsa_uses_dynamic_stack 0
		.amdhsa_enable_private_segment 0
		.amdhsa_system_sgpr_workgroup_id_x 1
		.amdhsa_system_sgpr_workgroup_id_y 0
		.amdhsa_system_sgpr_workgroup_id_z 0
		.amdhsa_system_sgpr_workgroup_info 0
		.amdhsa_system_vgpr_workitem_id 0
		.amdhsa_next_free_vgpr 1
		.amdhsa_next_free_sgpr 0
		.amdhsa_accum_offset 4
		.amdhsa_reserve_vcc 0
		.amdhsa_float_round_mode_32 0
		.amdhsa_float_round_mode_16_64 0
		.amdhsa_float_denorm_mode_32 3
		.amdhsa_float_denorm_mode_16_64 3
		.amdhsa_dx10_clamp 1
		.amdhsa_ieee_mode 1
		.amdhsa_fp16_overflow 0
		.amdhsa_tg_split 0
		.amdhsa_exception_fp_ieee_invalid_op 0
		.amdhsa_exception_fp_denorm_src 0
		.amdhsa_exception_fp_ieee_div_zero 0
		.amdhsa_exception_fp_ieee_overflow 0
		.amdhsa_exception_fp_ieee_underflow 0
		.amdhsa_exception_fp_ieee_inexact 0
		.amdhsa_exception_int_div_zero 0
	.end_amdhsa_kernel
	.section	.text._ZN7rocprim17ROCPRIM_400000_NS6detail17trampoline_kernelINS0_14default_configENS1_25partition_config_selectorILNS1_17partition_subalgoE2EsNS0_10empty_typeEbEEZZNS1_14partition_implILS5_2ELb0ES3_jN6thrust23THRUST_200600_302600_NS6detail15normal_iteratorINSA_7pointerIsNSA_11hip_rocprim3tagENSA_11use_defaultESG_EEEEPS6_NSA_18transform_iteratorI7is_evenIsENSC_INSA_10device_ptrIsEEEESG_SG_EENS0_5tupleIJPsSJ_EEENSR_IJSJ_SJ_EEES6_PlJS6_EEE10hipError_tPvRmT3_T4_T5_T6_T7_T9_mT8_P12ihipStream_tbDpT10_ENKUlT_T0_E_clISt17integral_constantIbLb0EES1F_EEDaS1A_S1B_EUlS1A_E_NS1_11comp_targetILNS1_3genE0ELNS1_11target_archE4294967295ELNS1_3gpuE0ELNS1_3repE0EEENS1_30default_config_static_selectorELNS0_4arch9wavefront6targetE1EEEvT1_,"axG",@progbits,_ZN7rocprim17ROCPRIM_400000_NS6detail17trampoline_kernelINS0_14default_configENS1_25partition_config_selectorILNS1_17partition_subalgoE2EsNS0_10empty_typeEbEEZZNS1_14partition_implILS5_2ELb0ES3_jN6thrust23THRUST_200600_302600_NS6detail15normal_iteratorINSA_7pointerIsNSA_11hip_rocprim3tagENSA_11use_defaultESG_EEEEPS6_NSA_18transform_iteratorI7is_evenIsENSC_INSA_10device_ptrIsEEEESG_SG_EENS0_5tupleIJPsSJ_EEENSR_IJSJ_SJ_EEES6_PlJS6_EEE10hipError_tPvRmT3_T4_T5_T6_T7_T9_mT8_P12ihipStream_tbDpT10_ENKUlT_T0_E_clISt17integral_constantIbLb0EES1F_EEDaS1A_S1B_EUlS1A_E_NS1_11comp_targetILNS1_3genE0ELNS1_11target_archE4294967295ELNS1_3gpuE0ELNS1_3repE0EEENS1_30default_config_static_selectorELNS0_4arch9wavefront6targetE1EEEvT1_,comdat
.Lfunc_end256:
	.size	_ZN7rocprim17ROCPRIM_400000_NS6detail17trampoline_kernelINS0_14default_configENS1_25partition_config_selectorILNS1_17partition_subalgoE2EsNS0_10empty_typeEbEEZZNS1_14partition_implILS5_2ELb0ES3_jN6thrust23THRUST_200600_302600_NS6detail15normal_iteratorINSA_7pointerIsNSA_11hip_rocprim3tagENSA_11use_defaultESG_EEEEPS6_NSA_18transform_iteratorI7is_evenIsENSC_INSA_10device_ptrIsEEEESG_SG_EENS0_5tupleIJPsSJ_EEENSR_IJSJ_SJ_EEES6_PlJS6_EEE10hipError_tPvRmT3_T4_T5_T6_T7_T9_mT8_P12ihipStream_tbDpT10_ENKUlT_T0_E_clISt17integral_constantIbLb0EES1F_EEDaS1A_S1B_EUlS1A_E_NS1_11comp_targetILNS1_3genE0ELNS1_11target_archE4294967295ELNS1_3gpuE0ELNS1_3repE0EEENS1_30default_config_static_selectorELNS0_4arch9wavefront6targetE1EEEvT1_, .Lfunc_end256-_ZN7rocprim17ROCPRIM_400000_NS6detail17trampoline_kernelINS0_14default_configENS1_25partition_config_selectorILNS1_17partition_subalgoE2EsNS0_10empty_typeEbEEZZNS1_14partition_implILS5_2ELb0ES3_jN6thrust23THRUST_200600_302600_NS6detail15normal_iteratorINSA_7pointerIsNSA_11hip_rocprim3tagENSA_11use_defaultESG_EEEEPS6_NSA_18transform_iteratorI7is_evenIsENSC_INSA_10device_ptrIsEEEESG_SG_EENS0_5tupleIJPsSJ_EEENSR_IJSJ_SJ_EEES6_PlJS6_EEE10hipError_tPvRmT3_T4_T5_T6_T7_T9_mT8_P12ihipStream_tbDpT10_ENKUlT_T0_E_clISt17integral_constantIbLb0EES1F_EEDaS1A_S1B_EUlS1A_E_NS1_11comp_targetILNS1_3genE0ELNS1_11target_archE4294967295ELNS1_3gpuE0ELNS1_3repE0EEENS1_30default_config_static_selectorELNS0_4arch9wavefront6targetE1EEEvT1_
                                        ; -- End function
	.section	.AMDGPU.csdata,"",@progbits
; Kernel info:
; codeLenInByte = 0
; NumSgprs: 6
; NumVgprs: 0
; NumAgprs: 0
; TotalNumVgprs: 0
; ScratchSize: 0
; MemoryBound: 0
; FloatMode: 240
; IeeeMode: 1
; LDSByteSize: 0 bytes/workgroup (compile time only)
; SGPRBlocks: 0
; VGPRBlocks: 0
; NumSGPRsForWavesPerEU: 6
; NumVGPRsForWavesPerEU: 1
; AccumOffset: 4
; Occupancy: 8
; WaveLimiterHint : 0
; COMPUTE_PGM_RSRC2:SCRATCH_EN: 0
; COMPUTE_PGM_RSRC2:USER_SGPR: 2
; COMPUTE_PGM_RSRC2:TRAP_HANDLER: 0
; COMPUTE_PGM_RSRC2:TGID_X_EN: 1
; COMPUTE_PGM_RSRC2:TGID_Y_EN: 0
; COMPUTE_PGM_RSRC2:TGID_Z_EN: 0
; COMPUTE_PGM_RSRC2:TIDIG_COMP_CNT: 0
; COMPUTE_PGM_RSRC3_GFX90A:ACCUM_OFFSET: 0
; COMPUTE_PGM_RSRC3_GFX90A:TG_SPLIT: 0
	.section	.text._ZN7rocprim17ROCPRIM_400000_NS6detail17trampoline_kernelINS0_14default_configENS1_25partition_config_selectorILNS1_17partition_subalgoE2EsNS0_10empty_typeEbEEZZNS1_14partition_implILS5_2ELb0ES3_jN6thrust23THRUST_200600_302600_NS6detail15normal_iteratorINSA_7pointerIsNSA_11hip_rocprim3tagENSA_11use_defaultESG_EEEEPS6_NSA_18transform_iteratorI7is_evenIsENSC_INSA_10device_ptrIsEEEESG_SG_EENS0_5tupleIJPsSJ_EEENSR_IJSJ_SJ_EEES6_PlJS6_EEE10hipError_tPvRmT3_T4_T5_T6_T7_T9_mT8_P12ihipStream_tbDpT10_ENKUlT_T0_E_clISt17integral_constantIbLb0EES1F_EEDaS1A_S1B_EUlS1A_E_NS1_11comp_targetILNS1_3genE5ELNS1_11target_archE942ELNS1_3gpuE9ELNS1_3repE0EEENS1_30default_config_static_selectorELNS0_4arch9wavefront6targetE1EEEvT1_,"axG",@progbits,_ZN7rocprim17ROCPRIM_400000_NS6detail17trampoline_kernelINS0_14default_configENS1_25partition_config_selectorILNS1_17partition_subalgoE2EsNS0_10empty_typeEbEEZZNS1_14partition_implILS5_2ELb0ES3_jN6thrust23THRUST_200600_302600_NS6detail15normal_iteratorINSA_7pointerIsNSA_11hip_rocprim3tagENSA_11use_defaultESG_EEEEPS6_NSA_18transform_iteratorI7is_evenIsENSC_INSA_10device_ptrIsEEEESG_SG_EENS0_5tupleIJPsSJ_EEENSR_IJSJ_SJ_EEES6_PlJS6_EEE10hipError_tPvRmT3_T4_T5_T6_T7_T9_mT8_P12ihipStream_tbDpT10_ENKUlT_T0_E_clISt17integral_constantIbLb0EES1F_EEDaS1A_S1B_EUlS1A_E_NS1_11comp_targetILNS1_3genE5ELNS1_11target_archE942ELNS1_3gpuE9ELNS1_3repE0EEENS1_30default_config_static_selectorELNS0_4arch9wavefront6targetE1EEEvT1_,comdat
	.protected	_ZN7rocprim17ROCPRIM_400000_NS6detail17trampoline_kernelINS0_14default_configENS1_25partition_config_selectorILNS1_17partition_subalgoE2EsNS0_10empty_typeEbEEZZNS1_14partition_implILS5_2ELb0ES3_jN6thrust23THRUST_200600_302600_NS6detail15normal_iteratorINSA_7pointerIsNSA_11hip_rocprim3tagENSA_11use_defaultESG_EEEEPS6_NSA_18transform_iteratorI7is_evenIsENSC_INSA_10device_ptrIsEEEESG_SG_EENS0_5tupleIJPsSJ_EEENSR_IJSJ_SJ_EEES6_PlJS6_EEE10hipError_tPvRmT3_T4_T5_T6_T7_T9_mT8_P12ihipStream_tbDpT10_ENKUlT_T0_E_clISt17integral_constantIbLb0EES1F_EEDaS1A_S1B_EUlS1A_E_NS1_11comp_targetILNS1_3genE5ELNS1_11target_archE942ELNS1_3gpuE9ELNS1_3repE0EEENS1_30default_config_static_selectorELNS0_4arch9wavefront6targetE1EEEvT1_ ; -- Begin function _ZN7rocprim17ROCPRIM_400000_NS6detail17trampoline_kernelINS0_14default_configENS1_25partition_config_selectorILNS1_17partition_subalgoE2EsNS0_10empty_typeEbEEZZNS1_14partition_implILS5_2ELb0ES3_jN6thrust23THRUST_200600_302600_NS6detail15normal_iteratorINSA_7pointerIsNSA_11hip_rocprim3tagENSA_11use_defaultESG_EEEEPS6_NSA_18transform_iteratorI7is_evenIsENSC_INSA_10device_ptrIsEEEESG_SG_EENS0_5tupleIJPsSJ_EEENSR_IJSJ_SJ_EEES6_PlJS6_EEE10hipError_tPvRmT3_T4_T5_T6_T7_T9_mT8_P12ihipStream_tbDpT10_ENKUlT_T0_E_clISt17integral_constantIbLb0EES1F_EEDaS1A_S1B_EUlS1A_E_NS1_11comp_targetILNS1_3genE5ELNS1_11target_archE942ELNS1_3gpuE9ELNS1_3repE0EEENS1_30default_config_static_selectorELNS0_4arch9wavefront6targetE1EEEvT1_
	.globl	_ZN7rocprim17ROCPRIM_400000_NS6detail17trampoline_kernelINS0_14default_configENS1_25partition_config_selectorILNS1_17partition_subalgoE2EsNS0_10empty_typeEbEEZZNS1_14partition_implILS5_2ELb0ES3_jN6thrust23THRUST_200600_302600_NS6detail15normal_iteratorINSA_7pointerIsNSA_11hip_rocprim3tagENSA_11use_defaultESG_EEEEPS6_NSA_18transform_iteratorI7is_evenIsENSC_INSA_10device_ptrIsEEEESG_SG_EENS0_5tupleIJPsSJ_EEENSR_IJSJ_SJ_EEES6_PlJS6_EEE10hipError_tPvRmT3_T4_T5_T6_T7_T9_mT8_P12ihipStream_tbDpT10_ENKUlT_T0_E_clISt17integral_constantIbLb0EES1F_EEDaS1A_S1B_EUlS1A_E_NS1_11comp_targetILNS1_3genE5ELNS1_11target_archE942ELNS1_3gpuE9ELNS1_3repE0EEENS1_30default_config_static_selectorELNS0_4arch9wavefront6targetE1EEEvT1_
	.p2align	8
	.type	_ZN7rocprim17ROCPRIM_400000_NS6detail17trampoline_kernelINS0_14default_configENS1_25partition_config_selectorILNS1_17partition_subalgoE2EsNS0_10empty_typeEbEEZZNS1_14partition_implILS5_2ELb0ES3_jN6thrust23THRUST_200600_302600_NS6detail15normal_iteratorINSA_7pointerIsNSA_11hip_rocprim3tagENSA_11use_defaultESG_EEEEPS6_NSA_18transform_iteratorI7is_evenIsENSC_INSA_10device_ptrIsEEEESG_SG_EENS0_5tupleIJPsSJ_EEENSR_IJSJ_SJ_EEES6_PlJS6_EEE10hipError_tPvRmT3_T4_T5_T6_T7_T9_mT8_P12ihipStream_tbDpT10_ENKUlT_T0_E_clISt17integral_constantIbLb0EES1F_EEDaS1A_S1B_EUlS1A_E_NS1_11comp_targetILNS1_3genE5ELNS1_11target_archE942ELNS1_3gpuE9ELNS1_3repE0EEENS1_30default_config_static_selectorELNS0_4arch9wavefront6targetE1EEEvT1_,@function
_ZN7rocprim17ROCPRIM_400000_NS6detail17trampoline_kernelINS0_14default_configENS1_25partition_config_selectorILNS1_17partition_subalgoE2EsNS0_10empty_typeEbEEZZNS1_14partition_implILS5_2ELb0ES3_jN6thrust23THRUST_200600_302600_NS6detail15normal_iteratorINSA_7pointerIsNSA_11hip_rocprim3tagENSA_11use_defaultESG_EEEEPS6_NSA_18transform_iteratorI7is_evenIsENSC_INSA_10device_ptrIsEEEESG_SG_EENS0_5tupleIJPsSJ_EEENSR_IJSJ_SJ_EEES6_PlJS6_EEE10hipError_tPvRmT3_T4_T5_T6_T7_T9_mT8_P12ihipStream_tbDpT10_ENKUlT_T0_E_clISt17integral_constantIbLb0EES1F_EEDaS1A_S1B_EUlS1A_E_NS1_11comp_targetILNS1_3genE5ELNS1_11target_archE942ELNS1_3gpuE9ELNS1_3repE0EEENS1_30default_config_static_selectorELNS0_4arch9wavefront6targetE1EEEvT1_: ; @_ZN7rocprim17ROCPRIM_400000_NS6detail17trampoline_kernelINS0_14default_configENS1_25partition_config_selectorILNS1_17partition_subalgoE2EsNS0_10empty_typeEbEEZZNS1_14partition_implILS5_2ELb0ES3_jN6thrust23THRUST_200600_302600_NS6detail15normal_iteratorINSA_7pointerIsNSA_11hip_rocprim3tagENSA_11use_defaultESG_EEEEPS6_NSA_18transform_iteratorI7is_evenIsENSC_INSA_10device_ptrIsEEEESG_SG_EENS0_5tupleIJPsSJ_EEENSR_IJSJ_SJ_EEES6_PlJS6_EEE10hipError_tPvRmT3_T4_T5_T6_T7_T9_mT8_P12ihipStream_tbDpT10_ENKUlT_T0_E_clISt17integral_constantIbLb0EES1F_EEDaS1A_S1B_EUlS1A_E_NS1_11comp_targetILNS1_3genE5ELNS1_11target_archE942ELNS1_3gpuE9ELNS1_3repE0EEENS1_30default_config_static_selectorELNS0_4arch9wavefront6targetE1EEEvT1_
; %bb.0:
	s_load_dwordx4 s[24:27], s[0:1], 0x8
	s_load_dwordx2 s[6:7], s[0:1], 0x20
	s_load_dwordx2 s[28:29], s[0:1], 0x60
	s_load_dwordx4 s[20:23], s[0:1], 0x50
	s_load_dword s3, s[0:1], 0x78
	s_waitcnt lgkmcnt(0)
	s_lshl_b64 s[8:9], s[26:27], 1
	s_add_u32 s12, s24, s8
	s_addc_u32 s13, s25, s9
	s_load_dwordx2 s[30:31], s[22:23], 0x0
	s_add_i32 s10, s3, -1
	s_mulk_i32 s3, 0x3c00
	s_add_i32 s4, s3, s26
	s_sub_i32 s33, s28, s4
	s_addk_i32 s33, 0x3c00
	s_add_u32 s4, s26, s3
	s_addc_u32 s5, s27, 0
	s_cmp_eq_u32 s2, s10
	v_mov_b64_e32 v[2:3], s[28:29]
	s_cselect_b64 s[22:23], -1, 0
	s_cmp_lg_u32 s2, s10
	s_mul_i32 s24, s2, 0x3c00
	s_mov_b32 s25, 0
	v_cmp_lt_u64_e32 vcc, s[4:5], v[2:3]
	s_cselect_b64 s[4:5], -1, 0
	s_or_b64 s[34:35], s[4:5], vcc
	s_lshl_b64 s[10:11], s[24:25], 1
	s_add_u32 s12, s12, s10
	s_addc_u32 s13, s13, s11
	s_mov_b64 s[4:5], -1
	s_and_b64 vcc, exec, s[34:35]
	v_lshlrev_b32_e32 v12, 1, v0
	s_cbranch_vccz .LBB257_2
; %bb.1:
	v_mov_b32_e32 v13, 0
	v_lshl_add_u64 v[2:3], s[12:13], 0, v[12:13]
	v_add_co_u32_e32 v4, vcc, 0x1000, v2
	s_mov_b64 s[4:5], 0
	s_nop 0
	v_addc_co_u32_e32 v5, vcc, 0, v3, vcc
	flat_load_ushort v1, v[2:3]
	flat_load_ushort v8, v[2:3] offset:1024
	flat_load_ushort v9, v[2:3] offset:2048
	flat_load_ushort v10, v[2:3] offset:3072
	flat_load_ushort v11, v[4:5]
	flat_load_ushort v13, v[4:5] offset:1024
	flat_load_ushort v14, v[4:5] offset:2048
	flat_load_ushort v15, v[4:5] offset:3072
	v_add_co_u32_e32 v4, vcc, 0x2000, v2
	s_nop 1
	v_addc_co_u32_e32 v5, vcc, 0, v3, vcc
	v_add_co_u32_e32 v6, vcc, 0x3000, v2
	s_nop 1
	v_addc_co_u32_e32 v7, vcc, 0, v3, vcc
	flat_load_ushort v16, v[4:5]
	flat_load_ushort v17, v[4:5] offset:1024
	flat_load_ushort v18, v[4:5] offset:2048
	flat_load_ushort v19, v[4:5] offset:3072
	flat_load_ushort v20, v[6:7]
	flat_load_ushort v21, v[6:7] offset:1024
	flat_load_ushort v22, v[6:7] offset:2048
	flat_load_ushort v23, v[6:7] offset:3072
	v_add_co_u32_e32 v4, vcc, 0x4000, v2
	s_nop 1
	v_addc_co_u32_e32 v5, vcc, 0, v3, vcc
	v_add_co_u32_e32 v6, vcc, 0x5000, v2
	;; [unrolled: 14-line block ×3, first 2 shown]
	s_nop 1
	v_addc_co_u32_e32 v3, vcc, 0, v3, vcc
	flat_load_ushort v6, v[4:5]
	flat_load_ushort v7, v[4:5] offset:1024
	flat_load_ushort v32, v[4:5] offset:2048
	;; [unrolled: 1-line block ×3, first 2 shown]
	flat_load_ushort v34, v[2:3]
	flat_load_ushort v35, v[2:3] offset:1024
	s_waitcnt vmcnt(0) lgkmcnt(0)
	ds_write_b16 v12, v1
	ds_write_b16 v12, v8 offset:1024
	ds_write_b16 v12, v9 offset:2048
	;; [unrolled: 1-line block ×29, first 2 shown]
	s_waitcnt lgkmcnt(0)
	s_barrier
.LBB257_2:
	s_andn2_b64 vcc, exec, s[4:5]
	v_cmp_gt_u32_e64 s[4:5], s33, v0
	s_cbranch_vccnz .LBB257_64
; %bb.3:
                                        ; implicit-def: $vgpr1
	s_and_saveexec_b64 s[14:15], s[4:5]
	s_cbranch_execz .LBB257_5
; %bb.4:
	v_mov_b32_e32 v13, 0
	v_lshl_add_u64 v[2:3], s[12:13], 0, v[12:13]
	flat_load_ushort v1, v[2:3]
.LBB257_5:
	s_or_b64 exec, exec, s[14:15]
	v_or_b32_e32 v2, 0x200, v0
	v_cmp_gt_u32_e32 vcc, s33, v2
                                        ; implicit-def: $vgpr2
	s_and_saveexec_b64 s[4:5], vcc
	s_cbranch_execz .LBB257_7
; %bb.6:
	v_mov_b32_e32 v13, 0
	v_lshl_add_u64 v[2:3], s[12:13], 0, v[12:13]
	flat_load_ushort v2, v[2:3] offset:1024
.LBB257_7:
	s_or_b64 exec, exec, s[4:5]
	v_or_b32_e32 v3, 0x400, v0
	v_cmp_gt_u32_e32 vcc, s33, v3
                                        ; implicit-def: $vgpr3
	s_and_saveexec_b64 s[4:5], vcc
	s_cbranch_execz .LBB257_9
; %bb.8:
	v_mov_b32_e32 v13, 0
	v_lshl_add_u64 v[4:5], s[12:13], 0, v[12:13]
	flat_load_ushort v3, v[4:5] offset:2048
.LBB257_9:
	s_or_b64 exec, exec, s[4:5]
	v_or_b32_e32 v4, 0x600, v0
	v_cmp_gt_u32_e32 vcc, s33, v4
                                        ; implicit-def: $vgpr4
	s_and_saveexec_b64 s[4:5], vcc
	s_cbranch_execz .LBB257_11
; %bb.10:
	v_mov_b32_e32 v13, 0
	v_lshl_add_u64 v[4:5], s[12:13], 0, v[12:13]
	flat_load_ushort v4, v[4:5] offset:3072
.LBB257_11:
	s_or_b64 exec, exec, s[4:5]
	v_or_b32_e32 v6, 0x800, v0
	v_cmp_gt_u32_e32 vcc, s33, v6
                                        ; implicit-def: $vgpr5
	s_and_saveexec_b64 s[4:5], vcc
	s_cbranch_execz .LBB257_13
; %bb.12:
	v_lshlrev_b32_e32 v6, 1, v6
	v_mov_b32_e32 v7, 0
	v_lshl_add_u64 v[6:7], s[12:13], 0, v[6:7]
	flat_load_ushort v5, v[6:7]
.LBB257_13:
	s_or_b64 exec, exec, s[4:5]
	v_or_b32_e32 v7, 0xa00, v0
	v_cmp_gt_u32_e32 vcc, s33, v7
                                        ; implicit-def: $vgpr6
	s_and_saveexec_b64 s[4:5], vcc
	s_cbranch_execz .LBB257_15
; %bb.14:
	v_lshlrev_b32_e32 v6, 1, v7
	v_mov_b32_e32 v7, 0
	v_lshl_add_u64 v[6:7], s[12:13], 0, v[6:7]
	flat_load_ushort v6, v[6:7]
.LBB257_15:
	s_or_b64 exec, exec, s[4:5]
	v_or_b32_e32 v8, 0xc00, v0
	v_cmp_gt_u32_e32 vcc, s33, v8
                                        ; implicit-def: $vgpr7
	s_and_saveexec_b64 s[4:5], vcc
	s_cbranch_execz .LBB257_17
; %bb.16:
	v_lshlrev_b32_e32 v8, 1, v8
	v_mov_b32_e32 v9, 0
	v_lshl_add_u64 v[8:9], s[12:13], 0, v[8:9]
	flat_load_ushort v7, v[8:9]
.LBB257_17:
	s_or_b64 exec, exec, s[4:5]
	v_or_b32_e32 v9, 0xe00, v0
	v_cmp_gt_u32_e32 vcc, s33, v9
                                        ; implicit-def: $vgpr8
	s_and_saveexec_b64 s[4:5], vcc
	s_cbranch_execz .LBB257_19
; %bb.18:
	v_lshlrev_b32_e32 v8, 1, v9
	v_mov_b32_e32 v9, 0
	v_lshl_add_u64 v[8:9], s[12:13], 0, v[8:9]
	flat_load_ushort v8, v[8:9]
.LBB257_19:
	s_or_b64 exec, exec, s[4:5]
	v_or_b32_e32 v10, 0x1000, v0
	v_cmp_gt_u32_e32 vcc, s33, v10
                                        ; implicit-def: $vgpr9
	s_and_saveexec_b64 s[4:5], vcc
	s_cbranch_execz .LBB257_21
; %bb.20:
	v_lshlrev_b32_e32 v10, 1, v10
	v_mov_b32_e32 v11, 0
	v_lshl_add_u64 v[10:11], s[12:13], 0, v[10:11]
	flat_load_ushort v9, v[10:11]
.LBB257_21:
	s_or_b64 exec, exec, s[4:5]
	v_or_b32_e32 v11, 0x1200, v0
	v_cmp_gt_u32_e32 vcc, s33, v11
                                        ; implicit-def: $vgpr10
	s_and_saveexec_b64 s[4:5], vcc
	s_cbranch_execz .LBB257_23
; %bb.22:
	v_lshlrev_b32_e32 v10, 1, v11
	v_mov_b32_e32 v11, 0
	v_lshl_add_u64 v[10:11], s[12:13], 0, v[10:11]
	flat_load_ushort v10, v[10:11]
.LBB257_23:
	s_or_b64 exec, exec, s[4:5]
	v_or_b32_e32 v13, 0x1400, v0
	v_cmp_gt_u32_e32 vcc, s33, v13
                                        ; implicit-def: $vgpr11
	s_and_saveexec_b64 s[4:5], vcc
	s_cbranch_execz .LBB257_25
; %bb.24:
	v_lshlrev_b32_e32 v14, 1, v13
	v_mov_b32_e32 v15, 0
	v_lshl_add_u64 v[14:15], s[12:13], 0, v[14:15]
	flat_load_ushort v11, v[14:15]
.LBB257_25:
	s_or_b64 exec, exec, s[4:5]
	v_or_b32_e32 v14, 0x1600, v0
	v_cmp_gt_u32_e32 vcc, s33, v14
                                        ; implicit-def: $vgpr13
	s_and_saveexec_b64 s[4:5], vcc
	s_cbranch_execz .LBB257_27
; %bb.26:
	v_lshlrev_b32_e32 v14, 1, v14
	v_mov_b32_e32 v15, 0
	v_lshl_add_u64 v[14:15], s[12:13], 0, v[14:15]
	flat_load_ushort v13, v[14:15]
.LBB257_27:
	s_or_b64 exec, exec, s[4:5]
	v_or_b32_e32 v15, 0x1800, v0
	v_cmp_gt_u32_e32 vcc, s33, v15
                                        ; implicit-def: $vgpr14
	s_and_saveexec_b64 s[4:5], vcc
	s_cbranch_execz .LBB257_29
; %bb.28:
	v_lshlrev_b32_e32 v14, 1, v15
	v_mov_b32_e32 v15, 0
	v_lshl_add_u64 v[14:15], s[12:13], 0, v[14:15]
	flat_load_ushort v14, v[14:15]
.LBB257_29:
	s_or_b64 exec, exec, s[4:5]
	v_or_b32_e32 v16, 0x1a00, v0
	v_cmp_gt_u32_e32 vcc, s33, v16
                                        ; implicit-def: $vgpr15
	s_and_saveexec_b64 s[4:5], vcc
	s_cbranch_execz .LBB257_31
; %bb.30:
	v_lshlrev_b32_e32 v16, 1, v16
	v_mov_b32_e32 v17, 0
	v_lshl_add_u64 v[16:17], s[12:13], 0, v[16:17]
	flat_load_ushort v15, v[16:17]
.LBB257_31:
	s_or_b64 exec, exec, s[4:5]
	v_or_b32_e32 v17, 0x1c00, v0
	v_cmp_gt_u32_e32 vcc, s33, v17
                                        ; implicit-def: $vgpr16
	s_and_saveexec_b64 s[4:5], vcc
	s_cbranch_execz .LBB257_33
; %bb.32:
	v_lshlrev_b32_e32 v16, 1, v17
	v_mov_b32_e32 v17, 0
	v_lshl_add_u64 v[16:17], s[12:13], 0, v[16:17]
	flat_load_ushort v16, v[16:17]
.LBB257_33:
	s_or_b64 exec, exec, s[4:5]
	v_or_b32_e32 v18, 0x1e00, v0
	v_cmp_gt_u32_e32 vcc, s33, v18
                                        ; implicit-def: $vgpr17
	s_and_saveexec_b64 s[4:5], vcc
	s_cbranch_execz .LBB257_35
; %bb.34:
	v_lshlrev_b32_e32 v18, 1, v18
	v_mov_b32_e32 v19, 0
	v_lshl_add_u64 v[18:19], s[12:13], 0, v[18:19]
	flat_load_ushort v17, v[18:19]
.LBB257_35:
	s_or_b64 exec, exec, s[4:5]
	v_or_b32_e32 v19, 0x2000, v0
	v_cmp_gt_u32_e32 vcc, s33, v19
                                        ; implicit-def: $vgpr18
	s_and_saveexec_b64 s[4:5], vcc
	s_cbranch_execz .LBB257_37
; %bb.36:
	v_lshlrev_b32_e32 v18, 1, v19
	v_mov_b32_e32 v19, 0
	v_lshl_add_u64 v[18:19], s[12:13], 0, v[18:19]
	flat_load_ushort v18, v[18:19]
.LBB257_37:
	s_or_b64 exec, exec, s[4:5]
	v_or_b32_e32 v20, 0x2200, v0
	v_cmp_gt_u32_e32 vcc, s33, v20
                                        ; implicit-def: $vgpr19
	s_and_saveexec_b64 s[4:5], vcc
	s_cbranch_execz .LBB257_39
; %bb.38:
	v_lshlrev_b32_e32 v20, 1, v20
	v_mov_b32_e32 v21, 0
	v_lshl_add_u64 v[20:21], s[12:13], 0, v[20:21]
	flat_load_ushort v19, v[20:21]
.LBB257_39:
	s_or_b64 exec, exec, s[4:5]
	v_or_b32_e32 v21, 0x2400, v0
	v_cmp_gt_u32_e32 vcc, s33, v21
                                        ; implicit-def: $vgpr20
	s_and_saveexec_b64 s[4:5], vcc
	s_cbranch_execz .LBB257_41
; %bb.40:
	v_lshlrev_b32_e32 v20, 1, v21
	v_mov_b32_e32 v21, 0
	v_lshl_add_u64 v[20:21], s[12:13], 0, v[20:21]
	flat_load_ushort v20, v[20:21]
.LBB257_41:
	s_or_b64 exec, exec, s[4:5]
	v_or_b32_e32 v22, 0x2600, v0
	v_cmp_gt_u32_e32 vcc, s33, v22
                                        ; implicit-def: $vgpr21
	s_and_saveexec_b64 s[4:5], vcc
	s_cbranch_execz .LBB257_43
; %bb.42:
	v_lshlrev_b32_e32 v22, 1, v22
	v_mov_b32_e32 v23, 0
	v_lshl_add_u64 v[22:23], s[12:13], 0, v[22:23]
	flat_load_ushort v21, v[22:23]
.LBB257_43:
	s_or_b64 exec, exec, s[4:5]
	v_or_b32_e32 v23, 0x2800, v0
	v_cmp_gt_u32_e32 vcc, s33, v23
                                        ; implicit-def: $vgpr22
	s_and_saveexec_b64 s[4:5], vcc
	s_cbranch_execz .LBB257_45
; %bb.44:
	v_lshlrev_b32_e32 v22, 1, v23
	v_mov_b32_e32 v23, 0
	v_lshl_add_u64 v[22:23], s[12:13], 0, v[22:23]
	flat_load_ushort v22, v[22:23]
.LBB257_45:
	s_or_b64 exec, exec, s[4:5]
	v_or_b32_e32 v24, 0x2a00, v0
	v_cmp_gt_u32_e32 vcc, s33, v24
                                        ; implicit-def: $vgpr23
	s_and_saveexec_b64 s[4:5], vcc
	s_cbranch_execz .LBB257_47
; %bb.46:
	v_lshlrev_b32_e32 v24, 1, v24
	v_mov_b32_e32 v25, 0
	v_lshl_add_u64 v[24:25], s[12:13], 0, v[24:25]
	flat_load_ushort v23, v[24:25]
.LBB257_47:
	s_or_b64 exec, exec, s[4:5]
	v_or_b32_e32 v25, 0x2c00, v0
	v_cmp_gt_u32_e32 vcc, s33, v25
                                        ; implicit-def: $vgpr24
	s_and_saveexec_b64 s[4:5], vcc
	s_cbranch_execz .LBB257_49
; %bb.48:
	v_lshlrev_b32_e32 v24, 1, v25
	v_mov_b32_e32 v25, 0
	v_lshl_add_u64 v[24:25], s[12:13], 0, v[24:25]
	flat_load_ushort v24, v[24:25]
.LBB257_49:
	s_or_b64 exec, exec, s[4:5]
	v_or_b32_e32 v26, 0x2e00, v0
	v_cmp_gt_u32_e32 vcc, s33, v26
                                        ; implicit-def: $vgpr25
	s_and_saveexec_b64 s[4:5], vcc
	s_cbranch_execz .LBB257_51
; %bb.50:
	v_lshlrev_b32_e32 v26, 1, v26
	v_mov_b32_e32 v27, 0
	v_lshl_add_u64 v[26:27], s[12:13], 0, v[26:27]
	flat_load_ushort v25, v[26:27]
.LBB257_51:
	s_or_b64 exec, exec, s[4:5]
	v_or_b32_e32 v27, 0x3000, v0
	v_cmp_gt_u32_e32 vcc, s33, v27
                                        ; implicit-def: $vgpr26
	s_and_saveexec_b64 s[4:5], vcc
	s_cbranch_execz .LBB257_53
; %bb.52:
	v_lshlrev_b32_e32 v26, 1, v27
	v_mov_b32_e32 v27, 0
	v_lshl_add_u64 v[26:27], s[12:13], 0, v[26:27]
	flat_load_ushort v26, v[26:27]
.LBB257_53:
	s_or_b64 exec, exec, s[4:5]
	v_or_b32_e32 v28, 0x3200, v0
	v_cmp_gt_u32_e32 vcc, s33, v28
                                        ; implicit-def: $vgpr27
	s_and_saveexec_b64 s[4:5], vcc
	s_cbranch_execz .LBB257_55
; %bb.54:
	v_lshlrev_b32_e32 v28, 1, v28
	v_mov_b32_e32 v29, 0
	v_lshl_add_u64 v[28:29], s[12:13], 0, v[28:29]
	flat_load_ushort v27, v[28:29]
.LBB257_55:
	s_or_b64 exec, exec, s[4:5]
	v_or_b32_e32 v29, 0x3400, v0
	v_cmp_gt_u32_e32 vcc, s33, v29
                                        ; implicit-def: $vgpr28
	s_and_saveexec_b64 s[4:5], vcc
	s_cbranch_execz .LBB257_57
; %bb.56:
	v_lshlrev_b32_e32 v28, 1, v29
	v_mov_b32_e32 v29, 0
	v_lshl_add_u64 v[28:29], s[12:13], 0, v[28:29]
	flat_load_ushort v28, v[28:29]
.LBB257_57:
	s_or_b64 exec, exec, s[4:5]
	v_or_b32_e32 v30, 0x3600, v0
	v_cmp_gt_u32_e32 vcc, s33, v30
                                        ; implicit-def: $vgpr29
	s_and_saveexec_b64 s[4:5], vcc
	s_cbranch_execz .LBB257_59
; %bb.58:
	v_lshlrev_b32_e32 v30, 1, v30
	v_mov_b32_e32 v31, 0
	v_lshl_add_u64 v[30:31], s[12:13], 0, v[30:31]
	flat_load_ushort v29, v[30:31]
.LBB257_59:
	s_or_b64 exec, exec, s[4:5]
	v_or_b32_e32 v31, 0x3800, v0
	v_cmp_gt_u32_e32 vcc, s33, v31
                                        ; implicit-def: $vgpr30
	s_and_saveexec_b64 s[4:5], vcc
	s_cbranch_execz .LBB257_61
; %bb.60:
	v_lshlrev_b32_e32 v30, 1, v31
	v_mov_b32_e32 v31, 0
	v_lshl_add_u64 v[30:31], s[12:13], 0, v[30:31]
	flat_load_ushort v30, v[30:31]
.LBB257_61:
	s_or_b64 exec, exec, s[4:5]
	v_or_b32_e32 v32, 0x3a00, v0
	v_cmp_gt_u32_e32 vcc, s33, v32
                                        ; implicit-def: $vgpr31
	s_and_saveexec_b64 s[4:5], vcc
	s_cbranch_execz .LBB257_63
; %bb.62:
	v_lshlrev_b32_e32 v32, 1, v32
	v_mov_b32_e32 v33, 0
	v_lshl_add_u64 v[32:33], s[12:13], 0, v[32:33]
	flat_load_ushort v31, v[32:33]
.LBB257_63:
	s_or_b64 exec, exec, s[4:5]
	s_waitcnt vmcnt(0) lgkmcnt(0)
	ds_write_b16 v12, v1
	ds_write_b16 v12, v2 offset:1024
	ds_write_b16 v12, v3 offset:2048
	;; [unrolled: 1-line block ×29, first 2 shown]
	s_waitcnt lgkmcnt(0)
	s_barrier
.LBB257_64:
	v_mul_u32_u24_e32 v9, 30, v0
	v_lshlrev_b32_e32 v2, 1, v9
	s_waitcnt lgkmcnt(0)
	ds_read2_b32 v[26:27], v2 offset1:1
	ds_read2_b32 v[24:25], v2 offset0:2 offset1:3
	ds_read2_b32 v[22:23], v2 offset0:4 offset1:5
	;; [unrolled: 1-line block ×3, first 2 shown]
	ds_read_b32 v1, v2 offset:56
	ds_read2_b32 v[14:15], v2 offset0:12 offset1:13
	ds_read2_b32 v[16:17], v2 offset0:10 offset1:11
	;; [unrolled: 1-line block ×3, first 2 shown]
	s_add_u32 s3, s6, s8
	s_addc_u32 s5, s7, s9
	s_add_u32 s4, s3, s10
	s_addc_u32 s5, s5, s11
	s_mov_b64 s[6:7], -1
	s_and_b64 vcc, exec, s[34:35]
	s_waitcnt lgkmcnt(0)
	s_barrier
	s_cbranch_vccz .LBB257_66
; %bb.65:
	v_mov_b32_e32 v13, 0
	v_lshl_add_u64 v[2:3], s[4:5], 0, v[12:13]
	s_movk_i32 s3, 0x1000
	v_add_co_u32_e32 v4, vcc, s3, v2
	s_movk_i32 s3, 0x2000
	s_nop 0
	v_addc_co_u32_e32 v5, vcc, 0, v3, vcc
	v_add_co_u32_e32 v6, vcc, s3, v2
	s_movk_i32 s3, 0x3000
	s_nop 0
	v_addc_co_u32_e32 v7, vcc, 0, v3, vcc
	global_load_ubyte v8, v12, s[4:5]
	global_load_ubyte v13, v12, s[4:5] offset:1024
	global_load_ubyte v28, v12, s[4:5] offset:2048
	;; [unrolled: 1-line block ×3, first 2 shown]
	global_load_ubyte v30, v[6:7], off offset:-4096
	global_load_ubyte v31, v[4:5], off offset:1024
	global_load_ubyte v32, v[4:5], off offset:2048
	;; [unrolled: 1-line block ×3, first 2 shown]
	global_load_ubyte v34, v[6:7], off
	global_load_ubyte v35, v[6:7], off offset:1024
	global_load_ubyte v36, v[6:7], off offset:2048
	v_add_co_u32_e32 v4, vcc, s3, v2
	s_movk_i32 s3, 0x4000
	s_nop 0
	v_addc_co_u32_e32 v5, vcc, 0, v3, vcc
	v_add_co_u32_e32 v10, vcc, s3, v2
	s_movk_i32 s6, 0x6000
	s_nop 0
	v_addc_co_u32_e32 v11, vcc, 0, v3, vcc
	global_load_ubyte v37, v[6:7], off offset:3072
	global_load_ubyte v38, v[10:11], off offset:-4096
	global_load_ubyte v39, v[4:5], off offset:1024
	global_load_ubyte v40, v[4:5], off offset:2048
	;; [unrolled: 1-line block ×3, first 2 shown]
	global_load_ubyte v42, v[10:11], off
	global_load_ubyte v43, v[10:11], off offset:1024
	global_load_ubyte v44, v[10:11], off offset:2048
	v_add_co_u32_e32 v4, vcc, s6, v2
	s_movk_i32 s3, 0x5000
	s_nop 0
	v_addc_co_u32_e32 v5, vcc, 0, v3, vcc
	v_add_co_u32_e32 v6, vcc, s3, v2
	s_movk_i32 s3, 0x7000
	s_nop 0
	v_addc_co_u32_e32 v7, vcc, 0, v3, vcc
	v_add_co_u32_e32 v2, vcc, s3, v2
	global_load_ubyte v45, v[10:11], off offset:3072
	global_load_ubyte v46, v[4:5], off offset:-4096
	v_addc_co_u32_e32 v3, vcc, 0, v3, vcc
	global_load_ubyte v10, v[6:7], off offset:1024
	global_load_ubyte v11, v[6:7], off offset:2048
	;; [unrolled: 1-line block ×3, first 2 shown]
	global_load_ubyte v48, v[4:5], off
	global_load_ubyte v49, v[4:5], off offset:1024
	global_load_ubyte v50, v[4:5], off offset:2048
	;; [unrolled: 1-line block ×3, first 2 shown]
	s_nop 0
	global_load_ubyte v4, v[2:3], off
	global_load_ubyte v5, v[2:3], off offset:1024
	s_mov_b64 s[6:7], 0
	s_waitcnt vmcnt(29)
	v_xor_b32_e32 v2, -1, v8
	s_waitcnt vmcnt(28)
	v_xor_b32_e32 v3, -1, v13
	;; [unrolled: 2-line block ×4, first 2 shown]
	v_and_b32_e32 v2, 1, v2
	s_waitcnt vmcnt(24)
	v_xor_b32_e32 v8, -1, v31
	s_waitcnt vmcnt(23)
	v_xor_b32_e32 v13, -1, v32
	;; [unrolled: 2-line block ×3, first 2 shown]
	v_xor_b32_e32 v29, -1, v30
	s_waitcnt vmcnt(21)
	v_xor_b32_e32 v30, -1, v34
	s_waitcnt vmcnt(20)
	v_xor_b32_e32 v31, -1, v35
	s_waitcnt vmcnt(19)
	v_xor_b32_e32 v32, -1, v36
	s_waitcnt vmcnt(18)
	v_xor_b32_e32 v33, -1, v37
	s_waitcnt vmcnt(17)
	v_xor_b32_e32 v34, -1, v38
	s_waitcnt vmcnt(16)
	v_xor_b32_e32 v35, -1, v39
	s_waitcnt vmcnt(15)
	v_xor_b32_e32 v36, -1, v40
	s_waitcnt vmcnt(14)
	v_xor_b32_e32 v37, -1, v41
	s_waitcnt vmcnt(13)
	v_xor_b32_e32 v38, -1, v42
	s_waitcnt vmcnt(12)
	v_xor_b32_e32 v39, -1, v43
	s_waitcnt vmcnt(11)
	v_xor_b32_e32 v40, -1, v44
	v_and_b32_e32 v3, 1, v3
	v_and_b32_e32 v6, 1, v6
	v_and_b32_e32 v7, 1, v7
	v_and_b32_e32 v8, 1, v8
	v_and_b32_e32 v13, 1, v13
	s_waitcnt vmcnt(8)
	v_xor_b32_e32 v10, -1, v10
	s_waitcnt vmcnt(7)
	v_xor_b32_e32 v11, -1, v11
	v_xor_b32_e32 v41, -1, v45
	;; [unrolled: 1-line block ×3, first 2 shown]
	s_waitcnt vmcnt(6)
	v_xor_b32_e32 v43, -1, v47
	s_waitcnt vmcnt(5)
	v_xor_b32_e32 v44, -1, v48
	;; [unrolled: 2-line block ×7, first 2 shown]
	v_and_b32_e32 v28, 1, v28
	v_and_b32_e32 v29, 1, v29
	;; [unrolled: 1-line block ×24, first 2 shown]
	ds_write_b8 v0, v2
	ds_write_b8 v0, v3 offset:512
	ds_write_b8 v0, v6 offset:1024
	;; [unrolled: 1-line block ×29, first 2 shown]
	s_waitcnt lgkmcnt(0)
	s_barrier
.LBB257_66:
	s_load_dwordx2 s[36:37], s[0:1], 0x70
	s_andn2_b64 vcc, exec, s[6:7]
	s_cbranch_vccnz .LBB257_128
; %bb.67:
	v_cmp_gt_u32_e32 vcc, s33, v0
	v_mov_b32_e32 v2, 0
	v_mov_b32_e32 v3, 0
	s_and_saveexec_b64 s[6:7], vcc
	s_cbranch_execz .LBB257_69
; %bb.68:
	global_load_ubyte v3, v12, s[4:5]
	s_waitcnt vmcnt(0)
	v_xor_b32_e32 v3, -1, v3
	v_and_b32_e32 v3, 1, v3
.LBB257_69:
	s_or_b64 exec, exec, s[6:7]
	v_or_b32_e32 v4, 0x200, v0
	v_cmp_gt_u32_e32 vcc, s33, v4
	s_and_saveexec_b64 s[6:7], vcc
	s_cbranch_execz .LBB257_71
; %bb.70:
	global_load_ubyte v2, v12, s[4:5] offset:1024
	s_waitcnt vmcnt(0)
	v_xor_b32_e32 v2, -1, v2
	v_and_b32_e32 v2, 1, v2
.LBB257_71:
	s_or_b64 exec, exec, s[6:7]
	v_or_b32_e32 v4, 0x400, v0
	v_cmp_gt_u32_e32 vcc, s33, v4
	v_mov_b32_e32 v4, 0
	v_mov_b32_e32 v5, 0
	s_and_saveexec_b64 s[6:7], vcc
	s_cbranch_execz .LBB257_73
; %bb.72:
	global_load_ubyte v5, v12, s[4:5] offset:2048
	s_waitcnt vmcnt(0)
	v_xor_b32_e32 v5, -1, v5
	v_and_b32_e32 v5, 1, v5
.LBB257_73:
	s_or_b64 exec, exec, s[6:7]
	v_or_b32_e32 v6, 0x600, v0
	v_cmp_gt_u32_e32 vcc, s33, v6
	s_and_saveexec_b64 s[6:7], vcc
	s_cbranch_execz .LBB257_75
; %bb.74:
	global_load_ubyte v4, v12, s[4:5] offset:3072
	s_waitcnt vmcnt(0)
	v_xor_b32_e32 v4, -1, v4
	v_and_b32_e32 v4, 1, v4
.LBB257_75:
	s_or_b64 exec, exec, s[6:7]
	v_or_b32_e32 v8, 0x800, v0
	v_cmp_gt_u32_e32 vcc, s33, v8
	v_mov_b32_e32 v6, 0
	v_mov_b32_e32 v7, 0
	s_and_saveexec_b64 s[6:7], vcc
	s_cbranch_execz .LBB257_77
; %bb.76:
	v_lshlrev_b32_e32 v7, 1, v8
	global_load_ubyte v7, v7, s[4:5]
	s_waitcnt vmcnt(0)
	v_xor_b32_e32 v7, -1, v7
	v_and_b32_e32 v7, 1, v7
.LBB257_77:
	s_or_b64 exec, exec, s[6:7]
	v_or_b32_e32 v8, 0xa00, v0
	v_cmp_gt_u32_e32 vcc, s33, v8
	s_and_saveexec_b64 s[6:7], vcc
	s_cbranch_execz .LBB257_79
; %bb.78:
	v_lshlrev_b32_e32 v6, 1, v8
	global_load_ubyte v6, v6, s[4:5]
	s_waitcnt vmcnt(0)
	v_xor_b32_e32 v6, -1, v6
	v_and_b32_e32 v6, 1, v6
.LBB257_79:
	s_or_b64 exec, exec, s[6:7]
	v_or_b32_e32 v11, 0xc00, v0
	v_cmp_gt_u32_e32 vcc, s33, v11
	v_mov_b32_e32 v8, 0
	v_mov_b32_e32 v10, 0
	s_and_saveexec_b64 s[6:7], vcc
	s_cbranch_execz .LBB257_81
; %bb.80:
	v_lshlrev_b32_e32 v10, 1, v11
	global_load_ubyte v10, v10, s[4:5]
	s_waitcnt vmcnt(0)
	v_xor_b32_e32 v10, -1, v10
	v_and_b32_e32 v10, 1, v10
.LBB257_81:
	s_or_b64 exec, exec, s[6:7]
	v_or_b32_e32 v11, 0xe00, v0
	v_cmp_gt_u32_e32 vcc, s33, v11
	s_and_saveexec_b64 s[6:7], vcc
	s_cbranch_execz .LBB257_83
; %bb.82:
	v_lshlrev_b32_e32 v8, 1, v11
	global_load_ubyte v8, v8, s[4:5]
	s_waitcnt vmcnt(0)
	v_xor_b32_e32 v8, -1, v8
	v_and_b32_e32 v8, 1, v8
.LBB257_83:
	;; [unrolled: 26-line block ×13, first 2 shown]
	s_or_b64 exec, exec, s[6:7]
	ds_write_b8 v0, v3
	ds_write_b8 v0, v2 offset:512
	ds_write_b8 v0, v5 offset:1024
	;; [unrolled: 1-line block ×29, first 2 shown]
	s_waitcnt lgkmcnt(0)
	s_barrier
.LBB257_128:
	s_waitcnt lgkmcnt(0)
	ds_read_b128 v[2:5], v9
	ds_read_b96 v[6:8], v9 offset:16
	ds_read_u16 v36, v9 offset:28
	s_cmp_lg_u32 s2, 0
	v_lshrrev_b32_e32 v65, 6, v0
	s_waitcnt lgkmcnt(0)
	v_lshrrev_b32_e32 v44, 24, v2
	v_bfe_u32 v63, v2, 16, 8
	v_add_u32_sdwa v10, v2, v2 dst_sel:DWORD dst_unused:UNUSED_PAD src0_sel:BYTE_1 src1_sel:BYTE_0
	v_and_b32_e32 v60, 0xff, v3
	v_bfe_u32 v61, v3, 8, 8
	v_add3_u32 v10, v10, v63, v44
	v_lshrrev_b32_e32 v43, 24, v3
	v_bfe_u32 v62, v3, 16, 8
	v_add3_u32 v10, v10, v60, v61
	v_and_b32_e32 v57, 0xff, v4
	v_bfe_u32 v58, v4, 8, 8
	v_add3_u32 v10, v10, v62, v43
	v_lshrrev_b32_e32 v42, 24, v4
	v_bfe_u32 v59, v4, 16, 8
	v_add3_u32 v10, v10, v57, v58
	;; [unrolled: 6-line block ×6, first 2 shown]
	v_lshrrev_b16_e32 v13, 8, v36
	v_and_b32_e32 v38, 0xff, v36
	v_add3_u32 v10, v10, v47, v37
	v_add3_u32 v66, v10, v38, v13
	v_mbcnt_lo_u32_b32 v10, -1, 0
	v_mbcnt_hi_u32_b32 v64, -1, v10
	v_and_b32_e32 v10, 15, v64
	v_cmp_eq_u32_e64 s[14:15], 0, v10
	v_cmp_lt_u32_e64 s[12:13], 1, v10
	v_cmp_lt_u32_e64 s[10:11], 3, v10
	;; [unrolled: 1-line block ×3, first 2 shown]
	v_and_b32_e32 v10, 16, v64
	v_cmp_eq_u32_e64 s[6:7], 0, v10
	v_or_b32_e32 v10, 63, v0
	v_cmp_lt_u32_e64 s[18:19], 31, v64
	v_cmp_eq_u32_e64 s[4:5], v10, v0
	s_barrier
	s_cbranch_scc0 .LBB257_155
; %bb.129:
	v_mov_b32_dpp v10, v66 row_shr:1 row_mask:0xf bank_mask:0xf
	v_cndmask_b32_e64 v10, v10, 0, s[14:15]
	v_add_u32_e32 v10, v10, v66
	s_nop 1
	v_mov_b32_dpp v11, v10 row_shr:2 row_mask:0xf bank_mask:0xf
	v_cndmask_b32_e64 v11, 0, v11, s[12:13]
	v_add_u32_e32 v10, v10, v11
	s_nop 1
	;; [unrolled: 4-line block ×4, first 2 shown]
	v_mov_b32_dpp v11, v10 row_bcast:15 row_mask:0xf bank_mask:0xf
	v_cndmask_b32_e64 v11, v11, 0, s[6:7]
	v_add_u32_e32 v10, v10, v11
	s_nop 1
	v_mov_b32_dpp v11, v10 row_bcast:31 row_mask:0xf bank_mask:0xf
	v_cndmask_b32_e64 v11, 0, v11, s[18:19]
	v_add_u32_e32 v10, v10, v11
	s_and_saveexec_b64 s[16:17], s[4:5]
	s_cbranch_execz .LBB257_131
; %bb.130:
	v_lshlrev_b32_e32 v11, 2, v65
	ds_write_b32 v11, v10
.LBB257_131:
	s_or_b64 exec, exec, s[16:17]
	v_cmp_gt_u32_e32 vcc, 8, v0
	s_waitcnt lgkmcnt(0)
	s_barrier
	s_and_saveexec_b64 s[16:17], vcc
	s_cbranch_execz .LBB257_133
; %bb.132:
	v_lshlrev_b32_e32 v11, 2, v0
	ds_read_b32 v28, v11
	v_and_b32_e32 v29, 7, v64
	v_cmp_ne_u32_e32 vcc, 0, v29
	s_waitcnt lgkmcnt(0)
	v_mov_b32_dpp v30, v28 row_shr:1 row_mask:0xf bank_mask:0xf
	v_cndmask_b32_e32 v30, 0, v30, vcc
	v_add_u32_e32 v28, v30, v28
	v_cmp_lt_u32_e32 vcc, 1, v29
	s_nop 0
	v_mov_b32_dpp v30, v28 row_shr:2 row_mask:0xf bank_mask:0xf
	v_cndmask_b32_e32 v30, 0, v30, vcc
	v_add_u32_e32 v28, v28, v30
	v_cmp_lt_u32_e32 vcc, 3, v29
	s_nop 0
	v_mov_b32_dpp v30, v28 row_shr:4 row_mask:0xf bank_mask:0xf
	v_cndmask_b32_e32 v29, 0, v30, vcc
	v_add_u32_e32 v28, v28, v29
	ds_write_b32 v11, v28
.LBB257_133:
	s_or_b64 exec, exec, s[16:17]
	v_cmp_gt_u32_e32 vcc, 64, v0
	v_cmp_lt_u32_e64 s[16:17], 63, v0
	s_waitcnt lgkmcnt(0)
	s_barrier
	s_waitcnt lgkmcnt(0)
                                        ; implicit-def: $vgpr67
	s_and_saveexec_b64 s[38:39], s[16:17]
	s_cbranch_execz .LBB257_135
; %bb.134:
	v_lshl_add_u32 v11, v65, 2, -4
	ds_read_b32 v67, v11
	s_waitcnt lgkmcnt(0)
	v_add_u32_e32 v10, v67, v10
.LBB257_135:
	s_or_b64 exec, exec, s[38:39]
	v_add_u32_e32 v11, -1, v64
	v_and_b32_e32 v28, 64, v64
	v_cmp_lt_i32_e64 s[16:17], v11, v28
	s_nop 1
	v_cndmask_b32_e64 v11, v11, v64, s[16:17]
	v_lshlrev_b32_e32 v11, 2, v11
	ds_bpermute_b32 v68, v11, v10
	v_cmp_eq_u32_e64 s[16:17], 0, v64
	s_and_saveexec_b64 s[38:39], vcc
	s_cbranch_execz .LBB257_154
; %bb.136:
	v_mov_b32_e32 v33, 0
	ds_read_b32 v10, v33 offset:28
	s_and_saveexec_b64 s[40:41], s[16:17]
	s_cbranch_execz .LBB257_138
; %bb.137:
	s_add_i32 s42, s2, 64
	s_mov_b32 s43, 0
	s_lshl_b64 s[42:43], s[42:43], 3
	s_add_u32 s42, s36, s42
	v_mov_b32_e32 v11, 1
	s_addc_u32 s43, s37, s43
	s_waitcnt lgkmcnt(0)
	global_store_dwordx2 v33, v[10:11], s[42:43] sc1
.LBB257_138:
	s_or_b64 exec, exec, s[40:41]
	v_xad_u32 v28, v64, -1, s2
	v_add_u32_e32 v32, 64, v28
	v_lshl_add_u64 v[34:35], v[32:33], 3, s[36:37]
	global_load_dwordx2 v[30:31], v[34:35], off sc1
	s_waitcnt vmcnt(0)
	v_cmp_eq_u16_sdwa s[42:43], v31, v33 src0_sel:BYTE_0 src1_sel:DWORD
	s_and_saveexec_b64 s[40:41], s[42:43]
	s_cbranch_execz .LBB257_142
; %bb.139:
	s_mov_b64 s[42:43], 0
	v_mov_b32_e32 v11, 0
.LBB257_140:                            ; =>This Inner Loop Header: Depth=1
	global_load_dwordx2 v[30:31], v[34:35], off sc1
	s_waitcnt vmcnt(0)
	v_cmp_ne_u16_sdwa s[44:45], v31, v11 src0_sel:BYTE_0 src1_sel:DWORD
	s_or_b64 s[42:43], s[44:45], s[42:43]
	s_andn2_b64 exec, exec, s[42:43]
	s_cbranch_execnz .LBB257_140
; %bb.141:
	s_or_b64 exec, exec, s[42:43]
.LBB257_142:
	s_or_b64 exec, exec, s[40:41]
	v_and_b32_e32 v70, 63, v64
	v_mov_b32_e32 v69, 2
	v_cmp_ne_u32_e32 vcc, 63, v70
	v_cmp_eq_u16_sdwa s[40:41], v31, v69 src0_sel:BYTE_0 src1_sel:DWORD
	v_lshlrev_b64 v[32:33], v64, -1
	v_addc_co_u32_e32 v34, vcc, 0, v64, vcc
	v_and_b32_e32 v11, s41, v33
	v_lshlrev_b32_e32 v71, 2, v34
	v_or_b32_e32 v11, 0x80000000, v11
	ds_bpermute_b32 v34, v71, v30
	v_and_b32_e32 v29, s40, v32
	v_ffbl_b32_e32 v11, v11
	v_add_u32_e32 v11, 32, v11
	v_ffbl_b32_e32 v29, v29
	v_min_u32_e32 v11, v29, v11
	v_cmp_lt_u32_e32 vcc, v70, v11
	v_add_u32_e32 v73, 2, v70
	v_add_u32_e32 v75, 4, v70
	s_waitcnt lgkmcnt(0)
	v_cndmask_b32_e32 v29, 0, v34, vcc
	v_cmp_gt_u32_e32 vcc, 62, v70
	v_add_u32_e32 v29, v29, v30
	v_add_u32_e32 v77, 8, v70
	v_cndmask_b32_e64 v30, 0, 1, vcc
	v_lshlrev_b32_e32 v30, 1, v30
	v_add_lshl_u32 v72, v30, v64, 2
	ds_bpermute_b32 v30, v72, v29
	v_cmp_le_u32_e32 vcc, v73, v11
	v_add_u32_e32 v79, 16, v70
	v_add_u32_e32 v81, 32, v70
	s_waitcnt lgkmcnt(0)
	v_cndmask_b32_e32 v30, 0, v30, vcc
	v_cmp_gt_u32_e32 vcc, 60, v70
	v_add_u32_e32 v29, v29, v30
	s_nop 0
	v_cndmask_b32_e64 v30, 0, 1, vcc
	v_lshlrev_b32_e32 v30, 2, v30
	v_add_lshl_u32 v74, v30, v64, 2
	ds_bpermute_b32 v30, v74, v29
	v_cmp_le_u32_e32 vcc, v75, v11
	s_waitcnt lgkmcnt(0)
	s_nop 0
	v_cndmask_b32_e32 v30, 0, v30, vcc
	v_cmp_gt_u32_e32 vcc, 56, v70
	v_add_u32_e32 v29, v29, v30
	s_nop 0
	v_cndmask_b32_e64 v30, 0, 1, vcc
	v_lshlrev_b32_e32 v30, 3, v30
	v_add_lshl_u32 v76, v30, v64, 2
	ds_bpermute_b32 v30, v76, v29
	v_cmp_le_u32_e32 vcc, v77, v11
	s_waitcnt lgkmcnt(0)
	s_nop 0
	;; [unrolled: 11-line block ×4, first 2 shown]
	v_cndmask_b32_e32 v11, 0, v30, vcc
	v_add_u32_e32 v30, v29, v11
	v_mov_b32_e32 v29, 0
	s_branch .LBB257_144
.LBB257_143:                            ;   in Loop: Header=BB257_144 Depth=1
	s_or_b64 exec, exec, s[40:41]
	v_cmp_eq_u16_sdwa s[40:41], v31, v69 src0_sel:BYTE_0 src1_sel:DWORD
	ds_bpermute_b32 v82, v71, v30
	v_subrev_u32_e32 v28, 64, v28
	v_and_b32_e32 v34, s41, v33
	v_or_b32_e32 v34, 0x80000000, v34
	v_and_b32_e32 v35, s40, v32
	v_ffbl_b32_e32 v34, v34
	v_add_u32_e32 v34, 32, v34
	v_ffbl_b32_e32 v35, v35
	v_min_u32_e32 v34, v35, v34
	v_cmp_lt_u32_e32 vcc, v70, v34
	s_waitcnt lgkmcnt(0)
	s_nop 0
	v_cndmask_b32_e32 v35, 0, v82, vcc
	v_add_u32_e32 v30, v35, v30
	ds_bpermute_b32 v35, v72, v30
	v_cmp_le_u32_e32 vcc, v73, v34
	s_waitcnt lgkmcnt(0)
	s_nop 0
	v_cndmask_b32_e32 v35, 0, v35, vcc
	v_add_u32_e32 v30, v30, v35
	ds_bpermute_b32 v35, v74, v30
	v_cmp_le_u32_e32 vcc, v75, v34
	;; [unrolled: 6-line block ×5, first 2 shown]
	s_waitcnt lgkmcnt(0)
	s_nop 0
	v_cndmask_b32_e32 v34, 0, v35, vcc
	v_add3_u32 v30, v34, v11, v30
.LBB257_144:                            ; =>This Loop Header: Depth=1
                                        ;     Child Loop BB257_147 Depth 2
	v_cmp_ne_u16_sdwa s[40:41], v31, v69 src0_sel:BYTE_0 src1_sel:DWORD
	s_nop 1
	v_cndmask_b32_e64 v11, 0, 1, s[40:41]
	;;#ASMSTART
	;;#ASMEND
	s_nop 0
	v_cmp_ne_u32_e32 vcc, 0, v11
	s_cmp_lg_u64 vcc, exec
	v_mov_b32_e32 v11, v30
	s_cbranch_scc1 .LBB257_149
; %bb.145:                              ;   in Loop: Header=BB257_144 Depth=1
	v_lshl_add_u64 v[34:35], v[28:29], 3, s[36:37]
	global_load_dwordx2 v[30:31], v[34:35], off sc1
	s_waitcnt vmcnt(0)
	v_cmp_eq_u16_sdwa s[42:43], v31, v29 src0_sel:BYTE_0 src1_sel:DWORD
	s_and_saveexec_b64 s[40:41], s[42:43]
	s_cbranch_execz .LBB257_143
; %bb.146:                              ;   in Loop: Header=BB257_144 Depth=1
	s_mov_b64 s[42:43], 0
.LBB257_147:                            ;   Parent Loop BB257_144 Depth=1
                                        ; =>  This Inner Loop Header: Depth=2
	global_load_dwordx2 v[30:31], v[34:35], off sc1
	s_waitcnt vmcnt(0)
	v_cmp_ne_u16_sdwa s[44:45], v31, v29 src0_sel:BYTE_0 src1_sel:DWORD
	s_or_b64 s[42:43], s[44:45], s[42:43]
	s_andn2_b64 exec, exec, s[42:43]
	s_cbranch_execnz .LBB257_147
; %bb.148:                              ;   in Loop: Header=BB257_144 Depth=1
	s_or_b64 exec, exec, s[42:43]
	s_branch .LBB257_143
.LBB257_149:                            ;   in Loop: Header=BB257_144 Depth=1
                                        ; implicit-def: $vgpr30
                                        ; implicit-def: $vgpr31
	s_cbranch_execz .LBB257_144
; %bb.150:
	s_and_saveexec_b64 s[40:41], s[16:17]
	s_cbranch_execz .LBB257_152
; %bb.151:
	s_add_i32 s2, s2, 64
	s_mov_b32 s3, 0
	s_lshl_b64 s[2:3], s[2:3], 3
	s_add_u32 s2, s36, s2
	v_add_u32_e32 v28, v11, v10
	v_mov_b32_e32 v29, 2
	s_addc_u32 s3, s37, s3
	v_mov_b32_e32 v30, 0
	global_store_dwordx2 v30, v[28:29], s[2:3] sc1
	ds_write_b64 v30, v[10:11] offset:30720
.LBB257_152:
	s_or_b64 exec, exec, s[40:41]
	v_cmp_eq_u32_e32 vcc, 0, v0
	s_and_b64 exec, exec, vcc
	s_cbranch_execz .LBB257_154
; %bb.153:
	v_mov_b32_e32 v10, 0
	ds_write_b32 v10, v11 offset:28
.LBB257_154:
	s_or_b64 exec, exec, s[38:39]
	v_mov_b32_e32 v10, 0
	s_waitcnt lgkmcnt(0)
	s_barrier
	ds_read_b32 v29, v10 offset:28
	s_waitcnt lgkmcnt(0)
	s_barrier
	ds_read_b64 v[10:11], v10 offset:30720
	v_cndmask_b32_e64 v28, v68, v67, s[16:17]
	v_cmp_ne_u32_e32 vcc, 0, v0
	s_waitcnt lgkmcnt(0)
	v_mov_b32_e32 v68, v11
	v_cndmask_b32_e32 v28, 0, v28, vcc
	v_add_u32_e32 v33, v29, v28
	s_load_dwordx2 s[2:3], s[0:1], 0x30
	s_branch .LBB257_165
.LBB257_155:
                                        ; implicit-def: $vgpr68
                                        ; implicit-def: $vgpr10
                                        ; implicit-def: $vgpr33
	s_load_dwordx2 s[2:3], s[0:1], 0x30
	s_cbranch_execz .LBB257_165
; %bb.156:
	v_mov_b32_dpp v10, v66 row_shr:1 row_mask:0xf bank_mask:0xf
	v_cndmask_b32_e64 v10, v10, 0, s[14:15]
	v_add_u32_e32 v10, v10, v66
	s_nop 1
	v_mov_b32_dpp v11, v10 row_shr:2 row_mask:0xf bank_mask:0xf
	v_cndmask_b32_e64 v11, 0, v11, s[12:13]
	v_add_u32_e32 v10, v10, v11
	s_nop 1
	;; [unrolled: 4-line block ×4, first 2 shown]
	v_mov_b32_dpp v11, v10 row_bcast:15 row_mask:0xf bank_mask:0xf
	v_cndmask_b32_e64 v11, v11, 0, s[6:7]
	v_add_u32_e32 v10, v10, v11
	s_nop 1
	v_mov_b32_dpp v11, v10 row_bcast:31 row_mask:0xf bank_mask:0xf
	v_cndmask_b32_e64 v11, 0, v11, s[18:19]
	v_add_u32_e32 v10, v10, v11
	s_and_saveexec_b64 s[0:1], s[4:5]
	s_cbranch_execz .LBB257_158
; %bb.157:
	v_lshlrev_b32_e32 v11, 2, v65
	ds_write_b32 v11, v10
.LBB257_158:
	s_or_b64 exec, exec, s[0:1]
	v_cmp_gt_u32_e32 vcc, 8, v0
	s_waitcnt lgkmcnt(0)
	s_barrier
	s_and_saveexec_b64 s[0:1], vcc
	s_cbranch_execz .LBB257_160
; %bb.159:
	v_lshlrev_b32_e32 v11, 2, v0
	ds_read_b32 v28, v11
	v_and_b32_e32 v29, 7, v64
	v_cmp_ne_u32_e32 vcc, 0, v29
	s_waitcnt lgkmcnt(0)
	v_mov_b32_dpp v30, v28 row_shr:1 row_mask:0xf bank_mask:0xf
	v_cndmask_b32_e32 v30, 0, v30, vcc
	v_add_u32_e32 v28, v30, v28
	v_cmp_lt_u32_e32 vcc, 1, v29
	s_nop 0
	v_mov_b32_dpp v30, v28 row_shr:2 row_mask:0xf bank_mask:0xf
	v_cndmask_b32_e32 v30, 0, v30, vcc
	v_add_u32_e32 v28, v28, v30
	v_cmp_lt_u32_e32 vcc, 3, v29
	s_nop 0
	v_mov_b32_dpp v30, v28 row_shr:4 row_mask:0xf bank_mask:0xf
	v_cndmask_b32_e32 v29, 0, v30, vcc
	v_add_u32_e32 v28, v28, v29
	ds_write_b32 v11, v28
.LBB257_160:
	s_or_b64 exec, exec, s[0:1]
	v_cmp_lt_u32_e32 vcc, 63, v0
	v_mov_b32_e32 v11, 0
	v_mov_b32_e32 v28, 0
	s_waitcnt lgkmcnt(0)
	s_barrier
	s_and_saveexec_b64 s[0:1], vcc
	s_cbranch_execz .LBB257_162
; %bb.161:
	v_lshl_add_u32 v28, v65, 2, -4
	ds_read_b32 v28, v28
.LBB257_162:
	s_or_b64 exec, exec, s[0:1]
	v_add_u32_e32 v29, -1, v64
	v_and_b32_e32 v30, 64, v64
	v_cmp_lt_i32_e32 vcc, v29, v30
	s_waitcnt lgkmcnt(0)
	v_add_u32_e32 v10, v28, v10
	v_cndmask_b32_e32 v29, v29, v64, vcc
	v_lshlrev_b32_e32 v29, 2, v29
	ds_bpermute_b32 v29, v29, v10
	ds_read_b32 v10, v11 offset:28
	v_cmp_eq_u32_e32 vcc, 0, v0
	s_and_saveexec_b64 s[0:1], vcc
	s_cbranch_execz .LBB257_164
; %bb.163:
	v_mov_b32_e32 v30, 0
	v_mov_b32_e32 v11, 2
	s_waitcnt lgkmcnt(0)
	global_store_dwordx2 v30, v[10:11], s[36:37] offset:512 sc1
.LBB257_164:
	s_or_b64 exec, exec, s[0:1]
	v_cmp_eq_u32_e64 s[0:1], 0, v64
	v_mov_b32_e32 v68, 0
	s_waitcnt lgkmcnt(0)
	v_cndmask_b32_e64 v11, v29, v28, s[0:1]
	v_cndmask_b32_e64 v33, v11, 0, vcc
	s_barrier
.LBB257_165:
	v_add_u32_sdwa v35, v33, v2 dst_sel:DWORD dst_unused:UNUSED_PAD src0_sel:DWORD src1_sel:BYTE_0
	v_add_u32_e32 v9, v10, v9
	v_sub_u32_e32 v33, v33, v68
	v_and_b32_e32 v74, 1, v2
	v_sub_u32_e32 v73, v9, v33
	v_cmp_eq_u32_e32 vcc, 1, v74
	v_lshrrev_b32_e32 v34, 8, v2
	v_add_u32_sdwa v64, v35, v2 dst_sel:DWORD dst_unused:UNUSED_PAD src0_sel:DWORD src1_sel:BYTE_1
	v_cndmask_b32_e32 v33, v73, v33, vcc
	v_lshlrev_b32_e32 v33, 1, v33
	ds_write_b16 v33, v26
	v_sub_u32_e32 v33, v35, v68
	v_sub_u32_e32 v35, v9, v33
	v_and_b32_e32 v34, 1, v34
	v_add_u32_e32 v35, 1, v35
	v_cmp_eq_u32_e32 vcc, 1, v34
	v_mov_b32_e32 v34, 1
	v_and_b32_sdwa v2, v34, v2 dst_sel:DWORD dst_unused:UNUSED_PAD src0_sel:DWORD src1_sel:WORD_1
	v_cndmask_b32_e32 v33, v35, v33, vcc
	v_lshlrev_b32_e32 v33, 1, v33
	ds_write_b16_d16_hi v33, v26
	v_sub_u32_e32 v26, v64, v68
	v_sub_u32_e32 v33, v9, v26
	v_add_u32_e32 v33, 2, v33
	v_cmp_eq_u32_e32 vcc, 1, v2
	v_add_u32_e32 v63, v64, v63
	v_add_u32_e32 v65, v63, v44
	v_cndmask_b32_e32 v2, v33, v26, vcc
	v_lshlrev_b32_e32 v2, 1, v2
	ds_write_b16 v2, v27
	v_sub_u32_e32 v2, v63, v68
	v_sub_u32_e32 v26, v9, v2
	v_and_b32_e32 v33, 1, v44
	v_add_u32_e32 v26, 3, v26
	v_cmp_eq_u32_e32 vcc, 1, v33
	v_add_u32_e32 v60, v65, v60
	v_lshrrev_b32_e32 v32, 8, v3
	v_cndmask_b32_e32 v2, v26, v2, vcc
	v_lshlrev_b32_e32 v2, 1, v2
	ds_write_b16_d16_hi v2, v27
	v_sub_u32_e32 v2, v65, v68
	v_sub_u32_e32 v26, v9, v2
	v_and_b32_e32 v27, 1, v3
	v_add_u32_e32 v26, 4, v26
	v_cmp_eq_u32_e32 vcc, 1, v27
	v_and_b32_e32 v27, 1, v32
	v_add_u32_e32 v61, v60, v61
	v_cndmask_b32_e32 v2, v26, v2, vcc
	v_lshlrev_b32_e32 v2, 1, v2
	ds_write_b16 v2, v24
	v_sub_u32_e32 v2, v60, v68
	v_sub_u32_e32 v26, v9, v2
	v_add_u32_e32 v26, 5, v26
	v_cmp_eq_u32_e32 vcc, 1, v27
	v_and_b32_sdwa v3, v34, v3 dst_sel:DWORD dst_unused:UNUSED_PAD src0_sel:DWORD src1_sel:WORD_1
	v_add_u32_e32 v62, v61, v62
	v_cndmask_b32_e32 v2, v26, v2, vcc
	v_lshlrev_b32_e32 v2, 1, v2
	ds_write_b16_d16_hi v2, v24
	v_sub_u32_e32 v2, v61, v68
	v_sub_u32_e32 v24, v9, v2
	v_add_u32_e32 v24, 6, v24
	v_cmp_eq_u32_e32 vcc, 1, v3
	v_add_u32_e32 v66, v62, v43
	v_add_u32_e32 v57, v66, v57
	v_cndmask_b32_e32 v2, v24, v2, vcc
	v_lshlrev_b32_e32 v2, 1, v2
	ds_write_b16 v2, v25
	v_sub_u32_e32 v2, v62, v68
	v_sub_u32_e32 v3, v9, v2
	v_and_b32_e32 v24, 1, v43
	v_add_u32_e32 v3, 7, v3
	v_cmp_eq_u32_e32 vcc, 1, v24
	v_and_b32_e32 v24, 1, v4
	v_lshrrev_b32_e32 v31, 8, v4
	v_cndmask_b32_e32 v2, v3, v2, vcc
	v_lshlrev_b32_e32 v2, 1, v2
	ds_write_b16_d16_hi v2, v25
	v_sub_u32_e32 v2, v66, v68
	v_sub_u32_e32 v3, v9, v2
	v_add_u32_e32 v3, 8, v3
	v_cmp_eq_u32_e32 vcc, 1, v24
	v_and_b32_e32 v24, 1, v31
	v_add_u32_e32 v58, v57, v58
	v_cndmask_b32_e32 v2, v3, v2, vcc
	v_lshlrev_b32_e32 v2, 1, v2
	ds_write_b16 v2, v22
	v_sub_u32_e32 v2, v57, v68
	v_sub_u32_e32 v3, v9, v2
	v_add_u32_e32 v3, 9, v3
	v_cmp_eq_u32_e32 vcc, 1, v24
	v_and_b32_sdwa v4, v34, v4 dst_sel:DWORD dst_unused:UNUSED_PAD src0_sel:DWORD src1_sel:WORD_1
	v_add_u32_e32 v59, v58, v59
	v_cndmask_b32_e32 v2, v3, v2, vcc
	v_lshlrev_b32_e32 v2, 1, v2
	ds_write_b16_d16_hi v2, v22
	v_sub_u32_e32 v2, v58, v68
	v_sub_u32_e32 v3, v9, v2
	v_add_u32_e32 v3, 10, v3
	v_cmp_eq_u32_e32 vcc, 1, v4
	v_and_b32_e32 v4, 1, v42
	v_add_u32_e32 v67, v59, v42
	v_cndmask_b32_e32 v2, v3, v2, vcc
	v_lshlrev_b32_e32 v2, 1, v2
	ds_write_b16 v2, v23
	v_sub_u32_e32 v2, v59, v68
	v_sub_u32_e32 v3, v9, v2
	v_add_u32_e32 v3, 11, v3
	v_cmp_eq_u32_e32 vcc, 1, v4
	v_and_b32_e32 v4, 1, v5
	v_add_u32_e32 v54, v67, v54
	v_cndmask_b32_e32 v2, v3, v2, vcc
	v_lshlrev_b32_e32 v2, 1, v2
	ds_write_b16_d16_hi v2, v23
	v_sub_u32_e32 v2, v67, v68
	v_sub_u32_e32 v3, v9, v2
	v_add_u32_e32 v3, 12, v3
	v_cmp_eq_u32_e32 vcc, 1, v4
	v_lshrrev_b32_e32 v30, 8, v5
	v_and_b32_e32 v4, 1, v30
	v_cndmask_b32_e32 v2, v3, v2, vcc
	v_lshlrev_b32_e32 v2, 1, v2
	ds_write_b16 v2, v20
	v_sub_u32_e32 v2, v54, v68
	v_sub_u32_e32 v3, v9, v2
	v_add_u32_e32 v3, 13, v3
	v_cmp_eq_u32_e32 vcc, 1, v4
	v_add_u32_e32 v55, v54, v55
	v_and_b32_sdwa v4, v34, v5 dst_sel:DWORD dst_unused:UNUSED_PAD src0_sel:DWORD src1_sel:WORD_1
	v_cndmask_b32_e32 v2, v3, v2, vcc
	v_lshlrev_b32_e32 v2, 1, v2
	ds_write_b16_d16_hi v2, v20
	v_sub_u32_e32 v2, v55, v68
	v_sub_u32_e32 v3, v9, v2
	v_add_u32_e32 v3, 14, v3
	v_cmp_eq_u32_e32 vcc, 1, v4
	v_add_u32_e32 v56, v55, v56
	v_and_b32_e32 v4, 1, v41
	v_cndmask_b32_e32 v2, v3, v2, vcc
	v_lshlrev_b32_e32 v2, 1, v2
	ds_write_b16 v2, v21
	v_sub_u32_e32 v2, v56, v68
	v_sub_u32_e32 v3, v9, v2
	v_add_u32_e32 v3, 15, v3
	v_cmp_eq_u32_e32 vcc, 1, v4
	v_add_u32_e32 v69, v56, v41
	v_and_b32_e32 v4, 1, v6
	v_cndmask_b32_e32 v2, v3, v2, vcc
	v_lshlrev_b32_e32 v2, 1, v2
	ds_write_b16_d16_hi v2, v21
	v_sub_u32_e32 v2, v69, v68
	v_sub_u32_e32 v3, v9, v2
	v_add_u32_e32 v3, 16, v3
	v_cmp_eq_u32_e32 vcc, 1, v4
	v_add_u32_e32 v51, v69, v51
	v_lshrrev_b32_e32 v29, 8, v6
	v_cndmask_b32_e32 v2, v3, v2, vcc
	v_lshlrev_b32_e32 v2, 1, v2
	ds_write_b16 v2, v18
	v_sub_u32_e32 v2, v51, v68
	v_sub_u32_e32 v3, v9, v2
	v_and_b32_e32 v4, 1, v29
	v_add_u32_e32 v3, 17, v3
	v_cmp_eq_u32_e32 vcc, 1, v4
	v_add_u32_e32 v52, v51, v52
	v_and_b32_sdwa v4, v34, v6 dst_sel:DWORD dst_unused:UNUSED_PAD src0_sel:DWORD src1_sel:WORD_1
	v_cndmask_b32_e32 v2, v3, v2, vcc
	v_lshlrev_b32_e32 v2, 1, v2
	ds_write_b16_d16_hi v2, v18
	v_sub_u32_e32 v2, v52, v68
	v_sub_u32_e32 v3, v9, v2
	v_add_u32_e32 v3, 18, v3
	v_cmp_eq_u32_e32 vcc, 1, v4
	v_add_u32_e32 v53, v52, v53
	v_and_b32_e32 v4, 1, v40
	v_cndmask_b32_e32 v2, v3, v2, vcc
	v_lshlrev_b32_e32 v2, 1, v2
	ds_write_b16 v2, v19
	v_sub_u32_e32 v2, v53, v68
	v_sub_u32_e32 v3, v9, v2
	v_add_u32_e32 v3, 19, v3
	v_cmp_eq_u32_e32 vcc, 1, v4
	v_add_u32_e32 v70, v53, v40
	v_and_b32_e32 v4, 1, v7
	v_cndmask_b32_e32 v2, v3, v2, vcc
	v_lshlrev_b32_e32 v2, 1, v2
	ds_write_b16_d16_hi v2, v19
	v_sub_u32_e32 v2, v70, v68
	v_sub_u32_e32 v3, v9, v2
	v_add_u32_e32 v3, 20, v3
	v_cmp_eq_u32_e32 vcc, 1, v4
	v_add_u32_e32 v48, v70, v48
	v_lshrrev_b32_e32 v28, 8, v7
	v_cndmask_b32_e32 v2, v3, v2, vcc
	v_lshlrev_b32_e32 v2, 1, v2
	ds_write_b16 v2, v16
	v_sub_u32_e32 v2, v48, v68
	v_sub_u32_e32 v3, v9, v2
	v_and_b32_e32 v4, 1, v28
	;; [unrolled: 37-line block ×3, first 2 shown]
	v_add_u32_e32 v3, 25, v3
	v_cmp_eq_u32_e32 vcc, 1, v4
	v_add_u32_e32 v46, v45, v46
	v_and_b32_sdwa v4, v34, v8 dst_sel:DWORD dst_unused:UNUSED_PAD src0_sel:DWORD src1_sel:WORD_1
	v_cndmask_b32_e32 v2, v3, v2, vcc
	v_lshlrev_b32_e32 v2, 1, v2
	ds_write_b16_d16_hi v2, v14
	v_sub_u32_e32 v2, v46, v68
	v_sub_u32_e32 v3, v9, v2
	v_add_u32_e32 v3, 26, v3
	v_cmp_eq_u32_e32 vcc, 1, v4
	v_add_u32_e32 v47, v46, v47
	v_and_b32_e32 v4, 1, v37
	v_cndmask_b32_e32 v2, v3, v2, vcc
	v_lshlrev_b32_e32 v2, 1, v2
	ds_write_b16 v2, v15
	v_sub_u32_e32 v2, v47, v68
	v_sub_u32_e32 v3, v9, v2
	v_add_u32_e32 v3, 27, v3
	v_cmp_eq_u32_e32 vcc, 1, v4
	v_add_u32_e32 v72, v47, v37
	v_and_b32_e32 v4, 1, v36
	v_cndmask_b32_e32 v2, v3, v2, vcc
	v_lshlrev_b32_e32 v2, 1, v2
	ds_write_b16_d16_hi v2, v15
	v_sub_u32_e32 v2, v72, v68
	v_sub_u32_e32 v3, v9, v2
	v_add_u32_e32 v3, 28, v3
	v_cmp_eq_u32_e32 vcc, 1, v4
	v_and_b32_e32 v4, 1, v13
	s_add_u32 s0, s26, s24
	v_cndmask_b32_e32 v2, v3, v2, vcc
	v_lshlrev_b32_e32 v2, 1, v2
	ds_write_b16 v2, v1
	v_sub_u32_e32 v2, v38, v68
	v_add_u32_e32 v2, v72, v2
	v_sub_u32_e32 v3, v9, v2
	v_add_u32_e32 v3, 29, v3
	v_cmp_eq_u32_e32 vcc, 1, v4
	s_addc_u32 s1, s27, 0
	s_sub_u32 s0, s28, s0
	v_cndmask_b32_e32 v2, v3, v2, vcc
	v_lshlrev_b32_e32 v2, 1, v2
	ds_write_b16_d16_hi v2, v1
	s_waitcnt lgkmcnt(0)
	s_barrier
	ds_read_u16 v99, v12
	ds_read_u16 v98, v12 offset:1024
	ds_read_u16 v97, v12 offset:2048
	;; [unrolled: 1-line block ×29, first 2 shown]
	v_mov_b32_e32 v1, 0
	v_mov_b32_e32 v69, v1
	;; [unrolled: 1-line block ×3, first 2 shown]
	s_subb_u32 s1, s29, s1
	v_lshl_add_u64 v[2:3], s[30:31], 0, v[68:69]
	v_lshl_add_u64 v[6:7], s[0:1], 0, v[10:11]
	v_or_b32_e32 v66, 0x200, v0
	v_mov_b32_e32 v67, v1
	v_or_b32_e32 v64, 0x400, v0
	v_mov_b32_e32 v65, v1
	;; [unrolled: 2-line block ×29, first 2 shown]
	s_andn2_b64 vcc, exec, s[34:35]
	v_lshl_add_u64 v[6:7], v[6:7], 0, v[2:3]
	s_cbranch_vccnz .LBB257_287
; %bb.166:
	v_cmp_ge_u32_e32 vcc, v0, v10
                                        ; implicit-def: $vgpr12_vgpr13
	s_and_saveexec_b64 s[0:1], vcc
	s_xor_b64 s[0:1], exec, s[0:1]
; %bb.167:
	v_not_b32_e32 v12, v0
	v_ashrrev_i32_e32 v13, 31, v12
	v_lshl_add_u64 v[12:13], v[6:7], 0, v[12:13]
; %bb.168:
	s_andn2_saveexec_b64 s[0:1], s[0:1]
; %bb.169:
	v_lshl_add_u64 v[12:13], v[2:3], 0, v[0:1]
; %bb.170:
	s_or_b64 exec, exec, s[0:1]
	v_lshl_add_u64 v[12:13], v[12:13], 1, s[2:3]
	v_cmp_ge_u32_e32 vcc, v66, v10
	s_waitcnt lgkmcnt(14)
	global_store_short v[12:13], v99, off
                                        ; implicit-def: $vgpr12_vgpr13
	s_and_saveexec_b64 s[0:1], vcc
	s_xor_b64 s[0:1], exec, s[0:1]
; %bb.171:
	v_xor_b32_e32 v12, 0xfffffdff, v0
	v_ashrrev_i32_e32 v13, 31, v12
	v_lshl_add_u64 v[12:13], v[6:7], 0, v[12:13]
; %bb.172:
	s_andn2_saveexec_b64 s[0:1], s[0:1]
; %bb.173:
	v_lshl_add_u64 v[12:13], v[2:3], 0, v[66:67]
; %bb.174:
	s_or_b64 exec, exec, s[0:1]
	v_lshl_add_u64 v[12:13], v[12:13], 1, s[2:3]
	v_cmp_ge_u32_e32 vcc, v64, v10
	global_store_short v[12:13], v98, off
                                        ; implicit-def: $vgpr12_vgpr13
	s_and_saveexec_b64 s[0:1], vcc
	s_xor_b64 s[0:1], exec, s[0:1]
; %bb.175:
	v_xor_b32_e32 v12, 0xfffffbff, v0
	v_ashrrev_i32_e32 v13, 31, v12
	v_lshl_add_u64 v[12:13], v[6:7], 0, v[12:13]
; %bb.176:
	s_andn2_saveexec_b64 s[0:1], s[0:1]
; %bb.177:
	v_lshl_add_u64 v[12:13], v[2:3], 0, v[64:65]
; %bb.178:
	s_or_b64 exec, exec, s[0:1]
	v_lshl_add_u64 v[12:13], v[12:13], 1, s[2:3]
	v_cmp_ge_u32_e32 vcc, v62, v10
	;; [unrolled: 16-line block ×16, first 2 shown]
	s_waitcnt lgkmcnt(13)
	global_store_short v[12:13], v83, off
                                        ; implicit-def: $vgpr12_vgpr13
	s_and_saveexec_b64 s[0:1], vcc
	s_xor_b64 s[0:1], exec, s[0:1]
; %bb.235:
	v_xor_b32_e32 v12, 0xffffddff, v0
	v_ashrrev_i32_e32 v13, 31, v12
	v_lshl_add_u64 v[12:13], v[6:7], 0, v[12:13]
; %bb.236:
	s_andn2_saveexec_b64 s[0:1], s[0:1]
; %bb.237:
	v_lshl_add_u64 v[12:13], v[2:3], 0, v[34:35]
; %bb.238:
	s_or_b64 exec, exec, s[0:1]
	v_lshl_add_u64 v[12:13], v[12:13], 1, s[2:3]
	v_cmp_ge_u32_e32 vcc, v32, v10
	s_waitcnt lgkmcnt(12)
	global_store_short v[12:13], v82, off
                                        ; implicit-def: $vgpr12_vgpr13
	s_and_saveexec_b64 s[0:1], vcc
	s_xor_b64 s[0:1], exec, s[0:1]
; %bb.239:
	v_xor_b32_e32 v12, 0xffffdbff, v0
	v_ashrrev_i32_e32 v13, 31, v12
	v_lshl_add_u64 v[12:13], v[6:7], 0, v[12:13]
; %bb.240:
	s_andn2_saveexec_b64 s[0:1], s[0:1]
; %bb.241:
	v_lshl_add_u64 v[12:13], v[2:3], 0, v[32:33]
; %bb.242:
	s_or_b64 exec, exec, s[0:1]
	v_lshl_add_u64 v[12:13], v[12:13], 1, s[2:3]
	v_cmp_ge_u32_e32 vcc, v30, v10
	;; [unrolled: 17-line block ×12, first 2 shown]
	s_waitcnt lgkmcnt(1)
	global_store_short v[12:13], v71, off
                                        ; implicit-def: $vgpr12_vgpr13
	s_and_saveexec_b64 s[0:1], vcc
	s_xor_b64 s[0:1], exec, s[0:1]
; %bb.283:
	v_xor_b32_e32 v12, 0xffffc5ff, v0
	v_ashrrev_i32_e32 v13, 31, v12
	v_lshl_add_u64 v[12:13], v[6:7], 0, v[12:13]
; %bb.284:
	s_andn2_saveexec_b64 s[0:1], s[0:1]
; %bb.285:
	v_lshl_add_u64 v[12:13], v[2:3], 0, v[4:5]
; %bb.286:
	s_or_b64 exec, exec, s[0:1]
	s_mov_b64 s[0:1], -1
	s_branch .LBB257_469
.LBB257_287:
	s_mov_b64 s[0:1], 0
                                        ; implicit-def: $vgpr12_vgpr13
	s_cbranch_execz .LBB257_469
; %bb.288:
	v_cmp_gt_u32_e32 vcc, s33, v0
	s_and_saveexec_b64 s[4:5], vcc
	s_cbranch_execz .LBB257_374
; %bb.289:
	v_cmp_ge_u32_e32 vcc, v0, v10
                                        ; implicit-def: $vgpr12_vgpr13
	s_and_saveexec_b64 s[6:7], vcc
	s_xor_b64 s[6:7], exec, s[6:7]
; %bb.290:
	v_not_b32_e32 v12, v0
	v_ashrrev_i32_e32 v13, 31, v12
	v_lshl_add_u64 v[12:13], v[6:7], 0, v[12:13]
; %bb.291:
	s_andn2_saveexec_b64 s[6:7], s[6:7]
; %bb.292:
	v_lshl_add_u64 v[12:13], v[2:3], 0, v[0:1]
; %bb.293:
	s_or_b64 exec, exec, s[6:7]
	v_lshl_add_u64 v[12:13], v[12:13], 1, s[2:3]
	s_waitcnt lgkmcnt(14)
	global_store_short v[12:13], v99, off
	s_or_b64 exec, exec, s[4:5]
	v_cmp_gt_u32_e32 vcc, s33, v66
	s_and_saveexec_b64 s[4:5], vcc
	s_cbranch_execnz .LBB257_375
.LBB257_294:
	s_or_b64 exec, exec, s[4:5]
	v_cmp_gt_u32_e32 vcc, s33, v64
	s_and_saveexec_b64 s[4:5], vcc
	s_cbranch_execz .LBB257_380
.LBB257_295:
	v_cmp_ge_u32_e32 vcc, v64, v10
                                        ; implicit-def: $vgpr12_vgpr13
	s_and_saveexec_b64 s[6:7], vcc
	s_xor_b64 s[6:7], exec, s[6:7]
; %bb.296:
	v_xor_b32_e32 v12, 0xfffffbff, v0
	v_ashrrev_i32_e32 v13, 31, v12
	v_lshl_add_u64 v[12:13], v[6:7], 0, v[12:13]
                                        ; implicit-def: $vgpr64_vgpr65
; %bb.297:
	s_andn2_saveexec_b64 s[6:7], s[6:7]
; %bb.298:
	v_lshl_add_u64 v[12:13], v[2:3], 0, v[64:65]
; %bb.299:
	s_or_b64 exec, exec, s[6:7]
	v_lshl_add_u64 v[12:13], v[12:13], 1, s[2:3]
	s_waitcnt lgkmcnt(14)
	global_store_short v[12:13], v97, off
	s_or_b64 exec, exec, s[4:5]
	v_cmp_gt_u32_e32 vcc, s33, v62
	s_and_saveexec_b64 s[4:5], vcc
	s_cbranch_execnz .LBB257_381
.LBB257_300:
	s_or_b64 exec, exec, s[4:5]
	v_cmp_gt_u32_e32 vcc, s33, v60
	s_and_saveexec_b64 s[4:5], vcc
	s_cbranch_execz .LBB257_386
.LBB257_301:
	v_cmp_ge_u32_e32 vcc, v60, v10
                                        ; implicit-def: $vgpr12_vgpr13
	s_and_saveexec_b64 s[6:7], vcc
	s_xor_b64 s[6:7], exec, s[6:7]
; %bb.302:
	v_xor_b32_e32 v12, 0xfffff7ff, v0
	v_ashrrev_i32_e32 v13, 31, v12
	v_lshl_add_u64 v[12:13], v[6:7], 0, v[12:13]
                                        ; implicit-def: $vgpr60_vgpr61
; %bb.303:
	s_andn2_saveexec_b64 s[6:7], s[6:7]
; %bb.304:
	v_lshl_add_u64 v[12:13], v[2:3], 0, v[60:61]
; %bb.305:
	s_or_b64 exec, exec, s[6:7]
	v_lshl_add_u64 v[12:13], v[12:13], 1, s[2:3]
	s_waitcnt lgkmcnt(14)
	global_store_short v[12:13], v95, off
	s_or_b64 exec, exec, s[4:5]
	v_cmp_gt_u32_e32 vcc, s33, v58
	s_and_saveexec_b64 s[4:5], vcc
	s_cbranch_execnz .LBB257_387
.LBB257_306:
	s_or_b64 exec, exec, s[4:5]
	v_cmp_gt_u32_e32 vcc, s33, v56
	s_and_saveexec_b64 s[4:5], vcc
	s_cbranch_execz .LBB257_392
.LBB257_307:
	v_cmp_ge_u32_e32 vcc, v56, v10
                                        ; implicit-def: $vgpr12_vgpr13
	s_and_saveexec_b64 s[6:7], vcc
	s_xor_b64 s[6:7], exec, s[6:7]
; %bb.308:
	v_xor_b32_e32 v12, 0xfffff3ff, v0
	v_ashrrev_i32_e32 v13, 31, v12
	v_lshl_add_u64 v[12:13], v[6:7], 0, v[12:13]
                                        ; implicit-def: $vgpr56_vgpr57
; %bb.309:
	s_andn2_saveexec_b64 s[6:7], s[6:7]
; %bb.310:
	v_lshl_add_u64 v[12:13], v[2:3], 0, v[56:57]
; %bb.311:
	s_or_b64 exec, exec, s[6:7]
	v_lshl_add_u64 v[12:13], v[12:13], 1, s[2:3]
	s_waitcnt lgkmcnt(14)
	global_store_short v[12:13], v93, off
	s_or_b64 exec, exec, s[4:5]
	v_cmp_gt_u32_e32 vcc, s33, v54
	s_and_saveexec_b64 s[4:5], vcc
	s_cbranch_execnz .LBB257_393
.LBB257_312:
	s_or_b64 exec, exec, s[4:5]
	v_cmp_gt_u32_e32 vcc, s33, v52
	s_and_saveexec_b64 s[4:5], vcc
	s_cbranch_execz .LBB257_398
.LBB257_313:
	v_cmp_ge_u32_e32 vcc, v52, v10
                                        ; implicit-def: $vgpr12_vgpr13
	s_and_saveexec_b64 s[6:7], vcc
	s_xor_b64 s[6:7], exec, s[6:7]
; %bb.314:
	v_xor_b32_e32 v12, 0xffffefff, v0
	v_ashrrev_i32_e32 v13, 31, v12
	v_lshl_add_u64 v[12:13], v[6:7], 0, v[12:13]
                                        ; implicit-def: $vgpr52_vgpr53
; %bb.315:
	s_andn2_saveexec_b64 s[6:7], s[6:7]
; %bb.316:
	v_lshl_add_u64 v[12:13], v[2:3], 0, v[52:53]
; %bb.317:
	s_or_b64 exec, exec, s[6:7]
	v_lshl_add_u64 v[12:13], v[12:13], 1, s[2:3]
	s_waitcnt lgkmcnt(14)
	global_store_short v[12:13], v91, off
	s_or_b64 exec, exec, s[4:5]
	v_cmp_gt_u32_e32 vcc, s33, v50
	s_and_saveexec_b64 s[4:5], vcc
	s_cbranch_execnz .LBB257_399
.LBB257_318:
	s_or_b64 exec, exec, s[4:5]
	v_cmp_gt_u32_e32 vcc, s33, v48
	s_and_saveexec_b64 s[4:5], vcc
	s_cbranch_execz .LBB257_404
.LBB257_319:
	v_cmp_ge_u32_e32 vcc, v48, v10
                                        ; implicit-def: $vgpr12_vgpr13
	s_and_saveexec_b64 s[6:7], vcc
	s_xor_b64 s[6:7], exec, s[6:7]
; %bb.320:
	v_xor_b32_e32 v12, 0xffffebff, v0
	v_ashrrev_i32_e32 v13, 31, v12
	v_lshl_add_u64 v[12:13], v[6:7], 0, v[12:13]
                                        ; implicit-def: $vgpr48_vgpr49
; %bb.321:
	s_andn2_saveexec_b64 s[6:7], s[6:7]
; %bb.322:
	v_lshl_add_u64 v[12:13], v[2:3], 0, v[48:49]
; %bb.323:
	s_or_b64 exec, exec, s[6:7]
	v_lshl_add_u64 v[12:13], v[12:13], 1, s[2:3]
	s_waitcnt lgkmcnt(14)
	global_store_short v[12:13], v89, off
	s_or_b64 exec, exec, s[4:5]
	v_cmp_gt_u32_e32 vcc, s33, v46
	s_and_saveexec_b64 s[4:5], vcc
	s_cbranch_execnz .LBB257_405
.LBB257_324:
	s_or_b64 exec, exec, s[4:5]
	v_cmp_gt_u32_e32 vcc, s33, v44
	s_and_saveexec_b64 s[4:5], vcc
	s_cbranch_execz .LBB257_410
.LBB257_325:
	v_cmp_ge_u32_e32 vcc, v44, v10
                                        ; implicit-def: $vgpr12_vgpr13
	s_and_saveexec_b64 s[6:7], vcc
	s_xor_b64 s[6:7], exec, s[6:7]
; %bb.326:
	v_xor_b32_e32 v12, 0xffffe7ff, v0
	v_ashrrev_i32_e32 v13, 31, v12
	v_lshl_add_u64 v[12:13], v[6:7], 0, v[12:13]
                                        ; implicit-def: $vgpr44_vgpr45
; %bb.327:
	s_andn2_saveexec_b64 s[6:7], s[6:7]
; %bb.328:
	v_lshl_add_u64 v[12:13], v[2:3], 0, v[44:45]
; %bb.329:
	s_or_b64 exec, exec, s[6:7]
	v_lshl_add_u64 v[12:13], v[12:13], 1, s[2:3]
	s_waitcnt lgkmcnt(14)
	global_store_short v[12:13], v87, off
	s_or_b64 exec, exec, s[4:5]
	v_cmp_gt_u32_e32 vcc, s33, v42
	s_and_saveexec_b64 s[4:5], vcc
	s_cbranch_execnz .LBB257_411
.LBB257_330:
	s_or_b64 exec, exec, s[4:5]
	v_cmp_gt_u32_e32 vcc, s33, v40
	s_and_saveexec_b64 s[4:5], vcc
	s_cbranch_execz .LBB257_416
.LBB257_331:
	v_cmp_ge_u32_e32 vcc, v40, v10
                                        ; implicit-def: $vgpr12_vgpr13
	s_and_saveexec_b64 s[6:7], vcc
	s_xor_b64 s[6:7], exec, s[6:7]
; %bb.332:
	v_xor_b32_e32 v12, 0xffffe3ff, v0
	v_ashrrev_i32_e32 v13, 31, v12
	v_lshl_add_u64 v[12:13], v[6:7], 0, v[12:13]
                                        ; implicit-def: $vgpr40_vgpr41
; %bb.333:
	s_andn2_saveexec_b64 s[6:7], s[6:7]
; %bb.334:
	v_lshl_add_u64 v[12:13], v[2:3], 0, v[40:41]
; %bb.335:
	s_or_b64 exec, exec, s[6:7]
	v_lshl_add_u64 v[12:13], v[12:13], 1, s[2:3]
	s_waitcnt lgkmcnt(14)
	global_store_short v[12:13], v85, off
	s_or_b64 exec, exec, s[4:5]
	v_cmp_gt_u32_e32 vcc, s33, v38
	s_and_saveexec_b64 s[4:5], vcc
	s_cbranch_execnz .LBB257_417
.LBB257_336:
	s_or_b64 exec, exec, s[4:5]
	v_cmp_gt_u32_e32 vcc, s33, v36
	s_and_saveexec_b64 s[4:5], vcc
	s_cbranch_execz .LBB257_422
.LBB257_337:
	v_cmp_ge_u32_e32 vcc, v36, v10
                                        ; implicit-def: $vgpr12_vgpr13
	s_and_saveexec_b64 s[6:7], vcc
	s_xor_b64 s[6:7], exec, s[6:7]
; %bb.338:
	v_xor_b32_e32 v12, 0xffffdfff, v0
	v_ashrrev_i32_e32 v13, 31, v12
	v_lshl_add_u64 v[12:13], v[6:7], 0, v[12:13]
                                        ; implicit-def: $vgpr36_vgpr37
; %bb.339:
	s_andn2_saveexec_b64 s[6:7], s[6:7]
; %bb.340:
	v_lshl_add_u64 v[12:13], v[2:3], 0, v[36:37]
; %bb.341:
	s_or_b64 exec, exec, s[6:7]
	v_lshl_add_u64 v[12:13], v[12:13], 1, s[2:3]
	s_waitcnt lgkmcnt(13)
	global_store_short v[12:13], v83, off
	s_or_b64 exec, exec, s[4:5]
	v_cmp_gt_u32_e32 vcc, s33, v34
	s_and_saveexec_b64 s[4:5], vcc
	s_cbranch_execnz .LBB257_423
.LBB257_342:
	s_or_b64 exec, exec, s[4:5]
	v_cmp_gt_u32_e32 vcc, s33, v32
	s_and_saveexec_b64 s[4:5], vcc
	s_cbranch_execz .LBB257_428
.LBB257_343:
	v_cmp_ge_u32_e32 vcc, v32, v10
                                        ; implicit-def: $vgpr12_vgpr13
	s_and_saveexec_b64 s[6:7], vcc
	s_xor_b64 s[6:7], exec, s[6:7]
; %bb.344:
	v_xor_b32_e32 v12, 0xffffdbff, v0
	v_ashrrev_i32_e32 v13, 31, v12
	v_lshl_add_u64 v[12:13], v[6:7], 0, v[12:13]
                                        ; implicit-def: $vgpr32_vgpr33
; %bb.345:
	s_andn2_saveexec_b64 s[6:7], s[6:7]
; %bb.346:
	v_lshl_add_u64 v[12:13], v[2:3], 0, v[32:33]
; %bb.347:
	s_or_b64 exec, exec, s[6:7]
	v_lshl_add_u64 v[12:13], v[12:13], 1, s[2:3]
	s_waitcnt lgkmcnt(11)
	global_store_short v[12:13], v81, off
	s_or_b64 exec, exec, s[4:5]
	v_cmp_gt_u32_e32 vcc, s33, v30
	s_and_saveexec_b64 s[4:5], vcc
	s_cbranch_execnz .LBB257_429
.LBB257_348:
	s_or_b64 exec, exec, s[4:5]
	v_cmp_gt_u32_e32 vcc, s33, v28
	s_and_saveexec_b64 s[4:5], vcc
	s_cbranch_execz .LBB257_434
.LBB257_349:
	v_cmp_ge_u32_e32 vcc, v28, v10
                                        ; implicit-def: $vgpr12_vgpr13
	s_and_saveexec_b64 s[6:7], vcc
	s_xor_b64 s[6:7], exec, s[6:7]
; %bb.350:
	v_xor_b32_e32 v12, 0xffffd7ff, v0
	v_ashrrev_i32_e32 v13, 31, v12
	v_lshl_add_u64 v[12:13], v[6:7], 0, v[12:13]
                                        ; implicit-def: $vgpr28_vgpr29
; %bb.351:
	s_andn2_saveexec_b64 s[6:7], s[6:7]
; %bb.352:
	v_lshl_add_u64 v[12:13], v[2:3], 0, v[28:29]
; %bb.353:
	s_or_b64 exec, exec, s[6:7]
	v_lshl_add_u64 v[12:13], v[12:13], 1, s[2:3]
	s_waitcnt lgkmcnt(9)
	global_store_short v[12:13], v79, off
	s_or_b64 exec, exec, s[4:5]
	v_cmp_gt_u32_e32 vcc, s33, v26
	s_and_saveexec_b64 s[4:5], vcc
	s_cbranch_execnz .LBB257_435
.LBB257_354:
	s_or_b64 exec, exec, s[4:5]
	v_cmp_gt_u32_e32 vcc, s33, v24
	s_and_saveexec_b64 s[4:5], vcc
	s_cbranch_execz .LBB257_440
.LBB257_355:
	v_cmp_ge_u32_e32 vcc, v24, v10
                                        ; implicit-def: $vgpr12_vgpr13
	s_and_saveexec_b64 s[6:7], vcc
	s_xor_b64 s[6:7], exec, s[6:7]
; %bb.356:
	v_xor_b32_e32 v12, 0xffffd3ff, v0
	v_ashrrev_i32_e32 v13, 31, v12
	v_lshl_add_u64 v[12:13], v[6:7], 0, v[12:13]
                                        ; implicit-def: $vgpr24_vgpr25
; %bb.357:
	s_andn2_saveexec_b64 s[6:7], s[6:7]
; %bb.358:
	v_lshl_add_u64 v[12:13], v[2:3], 0, v[24:25]
; %bb.359:
	s_or_b64 exec, exec, s[6:7]
	v_lshl_add_u64 v[12:13], v[12:13], 1, s[2:3]
	s_waitcnt lgkmcnt(7)
	global_store_short v[12:13], v77, off
	s_or_b64 exec, exec, s[4:5]
	v_cmp_gt_u32_e32 vcc, s33, v22
	s_and_saveexec_b64 s[4:5], vcc
	s_cbranch_execnz .LBB257_441
.LBB257_360:
	s_or_b64 exec, exec, s[4:5]
	v_cmp_gt_u32_e32 vcc, s33, v20
	s_and_saveexec_b64 s[4:5], vcc
	s_cbranch_execz .LBB257_446
.LBB257_361:
	v_cmp_ge_u32_e32 vcc, v20, v10
                                        ; implicit-def: $vgpr12_vgpr13
	s_and_saveexec_b64 s[6:7], vcc
	s_xor_b64 s[6:7], exec, s[6:7]
; %bb.362:
	v_xor_b32_e32 v12, 0xffffcfff, v0
	v_ashrrev_i32_e32 v13, 31, v12
	v_lshl_add_u64 v[12:13], v[6:7], 0, v[12:13]
                                        ; implicit-def: $vgpr20_vgpr21
; %bb.363:
	s_andn2_saveexec_b64 s[6:7], s[6:7]
; %bb.364:
	v_lshl_add_u64 v[12:13], v[2:3], 0, v[20:21]
; %bb.365:
	s_or_b64 exec, exec, s[6:7]
	v_lshl_add_u64 v[12:13], v[12:13], 1, s[2:3]
	s_waitcnt lgkmcnt(5)
	global_store_short v[12:13], v75, off
	s_or_b64 exec, exec, s[4:5]
	v_cmp_gt_u32_e32 vcc, s33, v18
	s_and_saveexec_b64 s[4:5], vcc
	s_cbranch_execnz .LBB257_447
.LBB257_366:
	s_or_b64 exec, exec, s[4:5]
	v_cmp_gt_u32_e32 vcc, s33, v16
	s_and_saveexec_b64 s[4:5], vcc
	s_cbranch_execz .LBB257_452
.LBB257_367:
	v_cmp_ge_u32_e32 vcc, v16, v10
                                        ; implicit-def: $vgpr12_vgpr13
	s_and_saveexec_b64 s[6:7], vcc
	s_xor_b64 s[6:7], exec, s[6:7]
; %bb.368:
	v_xor_b32_e32 v12, 0xffffcbff, v0
	v_ashrrev_i32_e32 v13, 31, v12
	v_lshl_add_u64 v[12:13], v[6:7], 0, v[12:13]
                                        ; implicit-def: $vgpr16_vgpr17
; %bb.369:
	s_andn2_saveexec_b64 s[6:7], s[6:7]
; %bb.370:
	v_lshl_add_u64 v[12:13], v[2:3], 0, v[16:17]
; %bb.371:
	s_or_b64 exec, exec, s[6:7]
	v_lshl_add_u64 v[12:13], v[12:13], 1, s[2:3]
	s_waitcnt lgkmcnt(3)
	global_store_short v[12:13], v73, off
	s_or_b64 exec, exec, s[4:5]
	v_cmp_gt_u32_e32 vcc, s33, v14
	s_and_saveexec_b64 s[4:5], vcc
	s_cbranch_execnz .LBB257_453
.LBB257_372:
	s_or_b64 exec, exec, s[4:5]
	v_cmp_gt_u32_e32 vcc, s33, v8
	s_and_saveexec_b64 s[4:5], vcc
	s_cbranch_execnz .LBB257_458
.LBB257_373:
	s_or_b64 exec, exec, s[4:5]
	v_cmp_gt_u32_e32 vcc, s33, v4
                                        ; implicit-def: $vgpr12_vgpr13
	s_and_saveexec_b64 s[4:5], vcc
	s_cbranch_execz .LBB257_468
	s_branch .LBB257_463
.LBB257_374:
	s_or_b64 exec, exec, s[4:5]
	v_cmp_gt_u32_e32 vcc, s33, v66
	s_and_saveexec_b64 s[4:5], vcc
	s_cbranch_execz .LBB257_294
.LBB257_375:
	v_cmp_ge_u32_e32 vcc, v66, v10
                                        ; implicit-def: $vgpr12_vgpr13
	s_and_saveexec_b64 s[6:7], vcc
	s_xor_b64 s[6:7], exec, s[6:7]
; %bb.376:
	v_xor_b32_e32 v12, 0xfffffdff, v0
	v_ashrrev_i32_e32 v13, 31, v12
	v_lshl_add_u64 v[12:13], v[6:7], 0, v[12:13]
                                        ; implicit-def: $vgpr66_vgpr67
; %bb.377:
	s_andn2_saveexec_b64 s[6:7], s[6:7]
; %bb.378:
	v_lshl_add_u64 v[12:13], v[2:3], 0, v[66:67]
; %bb.379:
	s_or_b64 exec, exec, s[6:7]
	v_lshl_add_u64 v[12:13], v[12:13], 1, s[2:3]
	s_waitcnt lgkmcnt(14)
	global_store_short v[12:13], v98, off
	s_or_b64 exec, exec, s[4:5]
	v_cmp_gt_u32_e32 vcc, s33, v64
	s_and_saveexec_b64 s[4:5], vcc
	s_cbranch_execnz .LBB257_295
.LBB257_380:
	s_or_b64 exec, exec, s[4:5]
	v_cmp_gt_u32_e32 vcc, s33, v62
	s_and_saveexec_b64 s[4:5], vcc
	s_cbranch_execz .LBB257_300
.LBB257_381:
	v_cmp_ge_u32_e32 vcc, v62, v10
                                        ; implicit-def: $vgpr12_vgpr13
	s_and_saveexec_b64 s[6:7], vcc
	s_xor_b64 s[6:7], exec, s[6:7]
; %bb.382:
	v_xor_b32_e32 v12, 0xfffff9ff, v0
	v_ashrrev_i32_e32 v13, 31, v12
	v_lshl_add_u64 v[12:13], v[6:7], 0, v[12:13]
                                        ; implicit-def: $vgpr62_vgpr63
; %bb.383:
	s_andn2_saveexec_b64 s[6:7], s[6:7]
; %bb.384:
	v_lshl_add_u64 v[12:13], v[2:3], 0, v[62:63]
; %bb.385:
	s_or_b64 exec, exec, s[6:7]
	v_lshl_add_u64 v[12:13], v[12:13], 1, s[2:3]
	s_waitcnt lgkmcnt(14)
	global_store_short v[12:13], v96, off
	s_or_b64 exec, exec, s[4:5]
	v_cmp_gt_u32_e32 vcc, s33, v60
	s_and_saveexec_b64 s[4:5], vcc
	s_cbranch_execnz .LBB257_301
.LBB257_386:
	s_or_b64 exec, exec, s[4:5]
	v_cmp_gt_u32_e32 vcc, s33, v58
	s_and_saveexec_b64 s[4:5], vcc
	s_cbranch_execz .LBB257_306
.LBB257_387:
	v_cmp_ge_u32_e32 vcc, v58, v10
                                        ; implicit-def: $vgpr12_vgpr13
	s_and_saveexec_b64 s[6:7], vcc
	s_xor_b64 s[6:7], exec, s[6:7]
; %bb.388:
	v_xor_b32_e32 v12, 0xfffff5ff, v0
	v_ashrrev_i32_e32 v13, 31, v12
	v_lshl_add_u64 v[12:13], v[6:7], 0, v[12:13]
                                        ; implicit-def: $vgpr58_vgpr59
; %bb.389:
	s_andn2_saveexec_b64 s[6:7], s[6:7]
; %bb.390:
	v_lshl_add_u64 v[12:13], v[2:3], 0, v[58:59]
; %bb.391:
	s_or_b64 exec, exec, s[6:7]
	v_lshl_add_u64 v[12:13], v[12:13], 1, s[2:3]
	s_waitcnt lgkmcnt(14)
	global_store_short v[12:13], v94, off
	s_or_b64 exec, exec, s[4:5]
	v_cmp_gt_u32_e32 vcc, s33, v56
	s_and_saveexec_b64 s[4:5], vcc
	s_cbranch_execnz .LBB257_307
.LBB257_392:
	s_or_b64 exec, exec, s[4:5]
	v_cmp_gt_u32_e32 vcc, s33, v54
	s_and_saveexec_b64 s[4:5], vcc
	s_cbranch_execz .LBB257_312
.LBB257_393:
	v_cmp_ge_u32_e32 vcc, v54, v10
                                        ; implicit-def: $vgpr12_vgpr13
	s_and_saveexec_b64 s[6:7], vcc
	s_xor_b64 s[6:7], exec, s[6:7]
; %bb.394:
	v_xor_b32_e32 v12, 0xfffff1ff, v0
	v_ashrrev_i32_e32 v13, 31, v12
	v_lshl_add_u64 v[12:13], v[6:7], 0, v[12:13]
                                        ; implicit-def: $vgpr54_vgpr55
; %bb.395:
	s_andn2_saveexec_b64 s[6:7], s[6:7]
; %bb.396:
	v_lshl_add_u64 v[12:13], v[2:3], 0, v[54:55]
; %bb.397:
	s_or_b64 exec, exec, s[6:7]
	v_lshl_add_u64 v[12:13], v[12:13], 1, s[2:3]
	s_waitcnt lgkmcnt(14)
	global_store_short v[12:13], v92, off
	s_or_b64 exec, exec, s[4:5]
	v_cmp_gt_u32_e32 vcc, s33, v52
	s_and_saveexec_b64 s[4:5], vcc
	s_cbranch_execnz .LBB257_313
.LBB257_398:
	s_or_b64 exec, exec, s[4:5]
	v_cmp_gt_u32_e32 vcc, s33, v50
	s_and_saveexec_b64 s[4:5], vcc
	s_cbranch_execz .LBB257_318
.LBB257_399:
	v_cmp_ge_u32_e32 vcc, v50, v10
                                        ; implicit-def: $vgpr12_vgpr13
	s_and_saveexec_b64 s[6:7], vcc
	s_xor_b64 s[6:7], exec, s[6:7]
; %bb.400:
	v_xor_b32_e32 v12, 0xffffedff, v0
	v_ashrrev_i32_e32 v13, 31, v12
	v_lshl_add_u64 v[12:13], v[6:7], 0, v[12:13]
                                        ; implicit-def: $vgpr50_vgpr51
; %bb.401:
	s_andn2_saveexec_b64 s[6:7], s[6:7]
; %bb.402:
	v_lshl_add_u64 v[12:13], v[2:3], 0, v[50:51]
; %bb.403:
	s_or_b64 exec, exec, s[6:7]
	v_lshl_add_u64 v[12:13], v[12:13], 1, s[2:3]
	s_waitcnt lgkmcnt(14)
	global_store_short v[12:13], v90, off
	s_or_b64 exec, exec, s[4:5]
	v_cmp_gt_u32_e32 vcc, s33, v48
	s_and_saveexec_b64 s[4:5], vcc
	s_cbranch_execnz .LBB257_319
.LBB257_404:
	s_or_b64 exec, exec, s[4:5]
	v_cmp_gt_u32_e32 vcc, s33, v46
	s_and_saveexec_b64 s[4:5], vcc
	s_cbranch_execz .LBB257_324
.LBB257_405:
	v_cmp_ge_u32_e32 vcc, v46, v10
                                        ; implicit-def: $vgpr12_vgpr13
	s_and_saveexec_b64 s[6:7], vcc
	s_xor_b64 s[6:7], exec, s[6:7]
; %bb.406:
	v_xor_b32_e32 v12, 0xffffe9ff, v0
	v_ashrrev_i32_e32 v13, 31, v12
	v_lshl_add_u64 v[12:13], v[6:7], 0, v[12:13]
                                        ; implicit-def: $vgpr46_vgpr47
; %bb.407:
	s_andn2_saveexec_b64 s[6:7], s[6:7]
; %bb.408:
	v_lshl_add_u64 v[12:13], v[2:3], 0, v[46:47]
; %bb.409:
	s_or_b64 exec, exec, s[6:7]
	v_lshl_add_u64 v[12:13], v[12:13], 1, s[2:3]
	s_waitcnt lgkmcnt(14)
	global_store_short v[12:13], v88, off
	s_or_b64 exec, exec, s[4:5]
	v_cmp_gt_u32_e32 vcc, s33, v44
	s_and_saveexec_b64 s[4:5], vcc
	s_cbranch_execnz .LBB257_325
.LBB257_410:
	s_or_b64 exec, exec, s[4:5]
	v_cmp_gt_u32_e32 vcc, s33, v42
	s_and_saveexec_b64 s[4:5], vcc
	s_cbranch_execz .LBB257_330
.LBB257_411:
	v_cmp_ge_u32_e32 vcc, v42, v10
                                        ; implicit-def: $vgpr12_vgpr13
	s_and_saveexec_b64 s[6:7], vcc
	s_xor_b64 s[6:7], exec, s[6:7]
; %bb.412:
	v_xor_b32_e32 v12, 0xffffe5ff, v0
	v_ashrrev_i32_e32 v13, 31, v12
	v_lshl_add_u64 v[12:13], v[6:7], 0, v[12:13]
                                        ; implicit-def: $vgpr42_vgpr43
; %bb.413:
	s_andn2_saveexec_b64 s[6:7], s[6:7]
; %bb.414:
	v_lshl_add_u64 v[12:13], v[2:3], 0, v[42:43]
; %bb.415:
	s_or_b64 exec, exec, s[6:7]
	v_lshl_add_u64 v[12:13], v[12:13], 1, s[2:3]
	s_waitcnt lgkmcnt(14)
	global_store_short v[12:13], v86, off
	s_or_b64 exec, exec, s[4:5]
	v_cmp_gt_u32_e32 vcc, s33, v40
	s_and_saveexec_b64 s[4:5], vcc
	s_cbranch_execnz .LBB257_331
.LBB257_416:
	s_or_b64 exec, exec, s[4:5]
	v_cmp_gt_u32_e32 vcc, s33, v38
	s_and_saveexec_b64 s[4:5], vcc
	s_cbranch_execz .LBB257_336
.LBB257_417:
	v_cmp_ge_u32_e32 vcc, v38, v10
                                        ; implicit-def: $vgpr12_vgpr13
	s_and_saveexec_b64 s[6:7], vcc
	s_xor_b64 s[6:7], exec, s[6:7]
; %bb.418:
	v_xor_b32_e32 v12, 0xffffe1ff, v0
	v_ashrrev_i32_e32 v13, 31, v12
	v_lshl_add_u64 v[12:13], v[6:7], 0, v[12:13]
                                        ; implicit-def: $vgpr38_vgpr39
; %bb.419:
	s_andn2_saveexec_b64 s[6:7], s[6:7]
; %bb.420:
	v_lshl_add_u64 v[12:13], v[2:3], 0, v[38:39]
; %bb.421:
	s_or_b64 exec, exec, s[6:7]
	v_lshl_add_u64 v[12:13], v[12:13], 1, s[2:3]
	s_waitcnt lgkmcnt(14)
	global_store_short v[12:13], v84, off
	s_or_b64 exec, exec, s[4:5]
	v_cmp_gt_u32_e32 vcc, s33, v36
	s_and_saveexec_b64 s[4:5], vcc
	s_cbranch_execnz .LBB257_337
.LBB257_422:
	s_or_b64 exec, exec, s[4:5]
	v_cmp_gt_u32_e32 vcc, s33, v34
	s_and_saveexec_b64 s[4:5], vcc
	s_cbranch_execz .LBB257_342
.LBB257_423:
	v_cmp_ge_u32_e32 vcc, v34, v10
                                        ; implicit-def: $vgpr12_vgpr13
	s_and_saveexec_b64 s[6:7], vcc
	s_xor_b64 s[6:7], exec, s[6:7]
; %bb.424:
	v_xor_b32_e32 v12, 0xffffddff, v0
	v_ashrrev_i32_e32 v13, 31, v12
	v_lshl_add_u64 v[12:13], v[6:7], 0, v[12:13]
                                        ; implicit-def: $vgpr34_vgpr35
; %bb.425:
	s_andn2_saveexec_b64 s[6:7], s[6:7]
; %bb.426:
	v_lshl_add_u64 v[12:13], v[2:3], 0, v[34:35]
; %bb.427:
	s_or_b64 exec, exec, s[6:7]
	v_lshl_add_u64 v[12:13], v[12:13], 1, s[2:3]
	s_waitcnt lgkmcnt(12)
	global_store_short v[12:13], v82, off
	s_or_b64 exec, exec, s[4:5]
	v_cmp_gt_u32_e32 vcc, s33, v32
	s_and_saveexec_b64 s[4:5], vcc
	s_cbranch_execnz .LBB257_343
.LBB257_428:
	s_or_b64 exec, exec, s[4:5]
	v_cmp_gt_u32_e32 vcc, s33, v30
	s_and_saveexec_b64 s[4:5], vcc
	s_cbranch_execz .LBB257_348
.LBB257_429:
	v_cmp_ge_u32_e32 vcc, v30, v10
                                        ; implicit-def: $vgpr12_vgpr13
	s_and_saveexec_b64 s[6:7], vcc
	s_xor_b64 s[6:7], exec, s[6:7]
; %bb.430:
	v_xor_b32_e32 v12, 0xffffd9ff, v0
	v_ashrrev_i32_e32 v13, 31, v12
	v_lshl_add_u64 v[12:13], v[6:7], 0, v[12:13]
                                        ; implicit-def: $vgpr30_vgpr31
; %bb.431:
	s_andn2_saveexec_b64 s[6:7], s[6:7]
; %bb.432:
	v_lshl_add_u64 v[12:13], v[2:3], 0, v[30:31]
; %bb.433:
	s_or_b64 exec, exec, s[6:7]
	v_lshl_add_u64 v[12:13], v[12:13], 1, s[2:3]
	s_waitcnt lgkmcnt(10)
	global_store_short v[12:13], v80, off
	s_or_b64 exec, exec, s[4:5]
	v_cmp_gt_u32_e32 vcc, s33, v28
	s_and_saveexec_b64 s[4:5], vcc
	s_cbranch_execnz .LBB257_349
.LBB257_434:
	s_or_b64 exec, exec, s[4:5]
	v_cmp_gt_u32_e32 vcc, s33, v26
	s_and_saveexec_b64 s[4:5], vcc
	s_cbranch_execz .LBB257_354
.LBB257_435:
	v_cmp_ge_u32_e32 vcc, v26, v10
                                        ; implicit-def: $vgpr12_vgpr13
	s_and_saveexec_b64 s[6:7], vcc
	s_xor_b64 s[6:7], exec, s[6:7]
; %bb.436:
	v_xor_b32_e32 v12, 0xffffd5ff, v0
	v_ashrrev_i32_e32 v13, 31, v12
	v_lshl_add_u64 v[12:13], v[6:7], 0, v[12:13]
                                        ; implicit-def: $vgpr26_vgpr27
; %bb.437:
	s_andn2_saveexec_b64 s[6:7], s[6:7]
; %bb.438:
	v_lshl_add_u64 v[12:13], v[2:3], 0, v[26:27]
; %bb.439:
	s_or_b64 exec, exec, s[6:7]
	v_lshl_add_u64 v[12:13], v[12:13], 1, s[2:3]
	s_waitcnt lgkmcnt(8)
	global_store_short v[12:13], v78, off
	s_or_b64 exec, exec, s[4:5]
	v_cmp_gt_u32_e32 vcc, s33, v24
	s_and_saveexec_b64 s[4:5], vcc
	s_cbranch_execnz .LBB257_355
.LBB257_440:
	s_or_b64 exec, exec, s[4:5]
	v_cmp_gt_u32_e32 vcc, s33, v22
	s_and_saveexec_b64 s[4:5], vcc
	s_cbranch_execz .LBB257_360
.LBB257_441:
	v_cmp_ge_u32_e32 vcc, v22, v10
                                        ; implicit-def: $vgpr12_vgpr13
	s_and_saveexec_b64 s[6:7], vcc
	s_xor_b64 s[6:7], exec, s[6:7]
; %bb.442:
	v_xor_b32_e32 v12, 0xffffd1ff, v0
	v_ashrrev_i32_e32 v13, 31, v12
	v_lshl_add_u64 v[12:13], v[6:7], 0, v[12:13]
                                        ; implicit-def: $vgpr22_vgpr23
; %bb.443:
	s_andn2_saveexec_b64 s[6:7], s[6:7]
; %bb.444:
	v_lshl_add_u64 v[12:13], v[2:3], 0, v[22:23]
; %bb.445:
	s_or_b64 exec, exec, s[6:7]
	v_lshl_add_u64 v[12:13], v[12:13], 1, s[2:3]
	s_waitcnt lgkmcnt(6)
	global_store_short v[12:13], v76, off
	s_or_b64 exec, exec, s[4:5]
	v_cmp_gt_u32_e32 vcc, s33, v20
	s_and_saveexec_b64 s[4:5], vcc
	s_cbranch_execnz .LBB257_361
.LBB257_446:
	s_or_b64 exec, exec, s[4:5]
	v_cmp_gt_u32_e32 vcc, s33, v18
	s_and_saveexec_b64 s[4:5], vcc
	s_cbranch_execz .LBB257_366
.LBB257_447:
	v_cmp_ge_u32_e32 vcc, v18, v10
                                        ; implicit-def: $vgpr12_vgpr13
	s_and_saveexec_b64 s[6:7], vcc
	s_xor_b64 s[6:7], exec, s[6:7]
; %bb.448:
	v_xor_b32_e32 v12, 0xffffcdff, v0
	v_ashrrev_i32_e32 v13, 31, v12
	v_lshl_add_u64 v[12:13], v[6:7], 0, v[12:13]
                                        ; implicit-def: $vgpr18_vgpr19
; %bb.449:
	s_andn2_saveexec_b64 s[6:7], s[6:7]
; %bb.450:
	v_lshl_add_u64 v[12:13], v[2:3], 0, v[18:19]
; %bb.451:
	s_or_b64 exec, exec, s[6:7]
	v_lshl_add_u64 v[12:13], v[12:13], 1, s[2:3]
	s_waitcnt lgkmcnt(4)
	global_store_short v[12:13], v74, off
	s_or_b64 exec, exec, s[4:5]
	v_cmp_gt_u32_e32 vcc, s33, v16
	s_and_saveexec_b64 s[4:5], vcc
	s_cbranch_execnz .LBB257_367
.LBB257_452:
	s_or_b64 exec, exec, s[4:5]
	v_cmp_gt_u32_e32 vcc, s33, v14
	s_and_saveexec_b64 s[4:5], vcc
	s_cbranch_execz .LBB257_372
.LBB257_453:
	v_cmp_ge_u32_e32 vcc, v14, v10
                                        ; implicit-def: $vgpr12_vgpr13
	s_and_saveexec_b64 s[6:7], vcc
	s_xor_b64 s[6:7], exec, s[6:7]
; %bb.454:
	v_xor_b32_e32 v12, 0xffffc9ff, v0
	v_ashrrev_i32_e32 v13, 31, v12
	v_lshl_add_u64 v[12:13], v[6:7], 0, v[12:13]
                                        ; implicit-def: $vgpr14_vgpr15
; %bb.455:
	s_andn2_saveexec_b64 s[6:7], s[6:7]
; %bb.456:
	v_lshl_add_u64 v[12:13], v[2:3], 0, v[14:15]
; %bb.457:
	s_or_b64 exec, exec, s[6:7]
	v_lshl_add_u64 v[12:13], v[12:13], 1, s[2:3]
	s_waitcnt lgkmcnt(2)
	global_store_short v[12:13], v72, off
	s_or_b64 exec, exec, s[4:5]
	v_cmp_gt_u32_e32 vcc, s33, v8
	s_and_saveexec_b64 s[4:5], vcc
	s_cbranch_execz .LBB257_373
.LBB257_458:
	v_cmp_ge_u32_e32 vcc, v8, v10
                                        ; implicit-def: $vgpr12_vgpr13
	s_and_saveexec_b64 s[6:7], vcc
	s_xor_b64 s[6:7], exec, s[6:7]
; %bb.459:
	v_xor_b32_e32 v8, 0xffffc7ff, v0
	v_ashrrev_i32_e32 v9, 31, v8
	v_lshl_add_u64 v[12:13], v[6:7], 0, v[8:9]
                                        ; implicit-def: $vgpr8_vgpr9
; %bb.460:
	s_andn2_saveexec_b64 s[6:7], s[6:7]
; %bb.461:
	v_lshl_add_u64 v[12:13], v[2:3], 0, v[8:9]
; %bb.462:
	s_or_b64 exec, exec, s[6:7]
	v_lshl_add_u64 v[8:9], v[12:13], 1, s[2:3]
	s_waitcnt lgkmcnt(1)
	global_store_short v[8:9], v71, off
	s_or_b64 exec, exec, s[4:5]
	v_cmp_gt_u32_e32 vcc, s33, v4
                                        ; implicit-def: $vgpr12_vgpr13
	s_and_saveexec_b64 s[4:5], vcc
	s_cbranch_execz .LBB257_468
.LBB257_463:
	v_cmp_ge_u32_e32 vcc, v4, v10
                                        ; implicit-def: $vgpr12_vgpr13
	s_and_saveexec_b64 s[6:7], vcc
	s_xor_b64 s[6:7], exec, s[6:7]
; %bb.464:
	v_xor_b32_e32 v4, 0xffffc5ff, v0
	v_ashrrev_i32_e32 v5, 31, v4
	v_lshl_add_u64 v[12:13], v[6:7], 0, v[4:5]
                                        ; implicit-def: $vgpr4_vgpr5
; %bb.465:
	s_andn2_saveexec_b64 s[6:7], s[6:7]
; %bb.466:
	v_lshl_add_u64 v[12:13], v[2:3], 0, v[4:5]
; %bb.467:
	s_or_b64 exec, exec, s[6:7]
	s_or_b64 s[0:1], s[0:1], exec
.LBB257_468:
	s_or_b64 exec, exec, s[4:5]
.LBB257_469:
	s_and_saveexec_b64 s[4:5], s[0:1]
	s_cbranch_execz .LBB257_471
; %bb.470:
	v_lshl_add_u64 v[4:5], v[12:13], 1, s[2:3]
	s_waitcnt lgkmcnt(0)
	global_store_short v[4:5], v70, off
.LBB257_471:
	s_or_b64 exec, exec, s[4:5]
	v_cmp_eq_u32_e32 vcc, 0, v0
	s_and_b64 s[0:1], vcc, s[22:23]
	s_and_saveexec_b64 s[2:3], s[0:1]
	s_cbranch_execz .LBB257_473
; %bb.472:
	v_mov_b32_e32 v4, 0
	v_lshl_add_u64 v[0:1], v[2:3], 0, v[10:11]
	global_store_dwordx2 v4, v[0:1], s[20:21]
.LBB257_473:
	s_endpgm
	.section	.rodata,"a",@progbits
	.p2align	6, 0x0
	.amdhsa_kernel _ZN7rocprim17ROCPRIM_400000_NS6detail17trampoline_kernelINS0_14default_configENS1_25partition_config_selectorILNS1_17partition_subalgoE2EsNS0_10empty_typeEbEEZZNS1_14partition_implILS5_2ELb0ES3_jN6thrust23THRUST_200600_302600_NS6detail15normal_iteratorINSA_7pointerIsNSA_11hip_rocprim3tagENSA_11use_defaultESG_EEEEPS6_NSA_18transform_iteratorI7is_evenIsENSC_INSA_10device_ptrIsEEEESG_SG_EENS0_5tupleIJPsSJ_EEENSR_IJSJ_SJ_EEES6_PlJS6_EEE10hipError_tPvRmT3_T4_T5_T6_T7_T9_mT8_P12ihipStream_tbDpT10_ENKUlT_T0_E_clISt17integral_constantIbLb0EES1F_EEDaS1A_S1B_EUlS1A_E_NS1_11comp_targetILNS1_3genE5ELNS1_11target_archE942ELNS1_3gpuE9ELNS1_3repE0EEENS1_30default_config_static_selectorELNS0_4arch9wavefront6targetE1EEEvT1_
		.amdhsa_group_segment_fixed_size 30728
		.amdhsa_private_segment_fixed_size 0
		.amdhsa_kernarg_size 128
		.amdhsa_user_sgpr_count 2
		.amdhsa_user_sgpr_dispatch_ptr 0
		.amdhsa_user_sgpr_queue_ptr 0
		.amdhsa_user_sgpr_kernarg_segment_ptr 1
		.amdhsa_user_sgpr_dispatch_id 0
		.amdhsa_user_sgpr_kernarg_preload_length 0
		.amdhsa_user_sgpr_kernarg_preload_offset 0
		.amdhsa_user_sgpr_private_segment_size 0
		.amdhsa_uses_dynamic_stack 0
		.amdhsa_enable_private_segment 0
		.amdhsa_system_sgpr_workgroup_id_x 1
		.amdhsa_system_sgpr_workgroup_id_y 0
		.amdhsa_system_sgpr_workgroup_id_z 0
		.amdhsa_system_sgpr_workgroup_info 0
		.amdhsa_system_vgpr_workitem_id 0
		.amdhsa_next_free_vgpr 100
		.amdhsa_next_free_sgpr 46
		.amdhsa_accum_offset 100
		.amdhsa_reserve_vcc 1
		.amdhsa_float_round_mode_32 0
		.amdhsa_float_round_mode_16_64 0
		.amdhsa_float_denorm_mode_32 3
		.amdhsa_float_denorm_mode_16_64 3
		.amdhsa_dx10_clamp 1
		.amdhsa_ieee_mode 1
		.amdhsa_fp16_overflow 0
		.amdhsa_tg_split 0
		.amdhsa_exception_fp_ieee_invalid_op 0
		.amdhsa_exception_fp_denorm_src 0
		.amdhsa_exception_fp_ieee_div_zero 0
		.amdhsa_exception_fp_ieee_overflow 0
		.amdhsa_exception_fp_ieee_underflow 0
		.amdhsa_exception_fp_ieee_inexact 0
		.amdhsa_exception_int_div_zero 0
	.end_amdhsa_kernel
	.section	.text._ZN7rocprim17ROCPRIM_400000_NS6detail17trampoline_kernelINS0_14default_configENS1_25partition_config_selectorILNS1_17partition_subalgoE2EsNS0_10empty_typeEbEEZZNS1_14partition_implILS5_2ELb0ES3_jN6thrust23THRUST_200600_302600_NS6detail15normal_iteratorINSA_7pointerIsNSA_11hip_rocprim3tagENSA_11use_defaultESG_EEEEPS6_NSA_18transform_iteratorI7is_evenIsENSC_INSA_10device_ptrIsEEEESG_SG_EENS0_5tupleIJPsSJ_EEENSR_IJSJ_SJ_EEES6_PlJS6_EEE10hipError_tPvRmT3_T4_T5_T6_T7_T9_mT8_P12ihipStream_tbDpT10_ENKUlT_T0_E_clISt17integral_constantIbLb0EES1F_EEDaS1A_S1B_EUlS1A_E_NS1_11comp_targetILNS1_3genE5ELNS1_11target_archE942ELNS1_3gpuE9ELNS1_3repE0EEENS1_30default_config_static_selectorELNS0_4arch9wavefront6targetE1EEEvT1_,"axG",@progbits,_ZN7rocprim17ROCPRIM_400000_NS6detail17trampoline_kernelINS0_14default_configENS1_25partition_config_selectorILNS1_17partition_subalgoE2EsNS0_10empty_typeEbEEZZNS1_14partition_implILS5_2ELb0ES3_jN6thrust23THRUST_200600_302600_NS6detail15normal_iteratorINSA_7pointerIsNSA_11hip_rocprim3tagENSA_11use_defaultESG_EEEEPS6_NSA_18transform_iteratorI7is_evenIsENSC_INSA_10device_ptrIsEEEESG_SG_EENS0_5tupleIJPsSJ_EEENSR_IJSJ_SJ_EEES6_PlJS6_EEE10hipError_tPvRmT3_T4_T5_T6_T7_T9_mT8_P12ihipStream_tbDpT10_ENKUlT_T0_E_clISt17integral_constantIbLb0EES1F_EEDaS1A_S1B_EUlS1A_E_NS1_11comp_targetILNS1_3genE5ELNS1_11target_archE942ELNS1_3gpuE9ELNS1_3repE0EEENS1_30default_config_static_selectorELNS0_4arch9wavefront6targetE1EEEvT1_,comdat
.Lfunc_end257:
	.size	_ZN7rocprim17ROCPRIM_400000_NS6detail17trampoline_kernelINS0_14default_configENS1_25partition_config_selectorILNS1_17partition_subalgoE2EsNS0_10empty_typeEbEEZZNS1_14partition_implILS5_2ELb0ES3_jN6thrust23THRUST_200600_302600_NS6detail15normal_iteratorINSA_7pointerIsNSA_11hip_rocprim3tagENSA_11use_defaultESG_EEEEPS6_NSA_18transform_iteratorI7is_evenIsENSC_INSA_10device_ptrIsEEEESG_SG_EENS0_5tupleIJPsSJ_EEENSR_IJSJ_SJ_EEES6_PlJS6_EEE10hipError_tPvRmT3_T4_T5_T6_T7_T9_mT8_P12ihipStream_tbDpT10_ENKUlT_T0_E_clISt17integral_constantIbLb0EES1F_EEDaS1A_S1B_EUlS1A_E_NS1_11comp_targetILNS1_3genE5ELNS1_11target_archE942ELNS1_3gpuE9ELNS1_3repE0EEENS1_30default_config_static_selectorELNS0_4arch9wavefront6targetE1EEEvT1_, .Lfunc_end257-_ZN7rocprim17ROCPRIM_400000_NS6detail17trampoline_kernelINS0_14default_configENS1_25partition_config_selectorILNS1_17partition_subalgoE2EsNS0_10empty_typeEbEEZZNS1_14partition_implILS5_2ELb0ES3_jN6thrust23THRUST_200600_302600_NS6detail15normal_iteratorINSA_7pointerIsNSA_11hip_rocprim3tagENSA_11use_defaultESG_EEEEPS6_NSA_18transform_iteratorI7is_evenIsENSC_INSA_10device_ptrIsEEEESG_SG_EENS0_5tupleIJPsSJ_EEENSR_IJSJ_SJ_EEES6_PlJS6_EEE10hipError_tPvRmT3_T4_T5_T6_T7_T9_mT8_P12ihipStream_tbDpT10_ENKUlT_T0_E_clISt17integral_constantIbLb0EES1F_EEDaS1A_S1B_EUlS1A_E_NS1_11comp_targetILNS1_3genE5ELNS1_11target_archE942ELNS1_3gpuE9ELNS1_3repE0EEENS1_30default_config_static_selectorELNS0_4arch9wavefront6targetE1EEEvT1_
                                        ; -- End function
	.section	.AMDGPU.csdata,"",@progbits
; Kernel info:
; codeLenInByte = 14628
; NumSgprs: 52
; NumVgprs: 100
; NumAgprs: 0
; TotalNumVgprs: 100
; ScratchSize: 0
; MemoryBound: 0
; FloatMode: 240
; IeeeMode: 1
; LDSByteSize: 30728 bytes/workgroup (compile time only)
; SGPRBlocks: 6
; VGPRBlocks: 12
; NumSGPRsForWavesPerEU: 52
; NumVGPRsForWavesPerEU: 100
; AccumOffset: 100
; Occupancy: 4
; WaveLimiterHint : 1
; COMPUTE_PGM_RSRC2:SCRATCH_EN: 0
; COMPUTE_PGM_RSRC2:USER_SGPR: 2
; COMPUTE_PGM_RSRC2:TRAP_HANDLER: 0
; COMPUTE_PGM_RSRC2:TGID_X_EN: 1
; COMPUTE_PGM_RSRC2:TGID_Y_EN: 0
; COMPUTE_PGM_RSRC2:TGID_Z_EN: 0
; COMPUTE_PGM_RSRC2:TIDIG_COMP_CNT: 0
; COMPUTE_PGM_RSRC3_GFX90A:ACCUM_OFFSET: 24
; COMPUTE_PGM_RSRC3_GFX90A:TG_SPLIT: 0
	.section	.text._ZN7rocprim17ROCPRIM_400000_NS6detail17trampoline_kernelINS0_14default_configENS1_25partition_config_selectorILNS1_17partition_subalgoE2EsNS0_10empty_typeEbEEZZNS1_14partition_implILS5_2ELb0ES3_jN6thrust23THRUST_200600_302600_NS6detail15normal_iteratorINSA_7pointerIsNSA_11hip_rocprim3tagENSA_11use_defaultESG_EEEEPS6_NSA_18transform_iteratorI7is_evenIsENSC_INSA_10device_ptrIsEEEESG_SG_EENS0_5tupleIJPsSJ_EEENSR_IJSJ_SJ_EEES6_PlJS6_EEE10hipError_tPvRmT3_T4_T5_T6_T7_T9_mT8_P12ihipStream_tbDpT10_ENKUlT_T0_E_clISt17integral_constantIbLb0EES1F_EEDaS1A_S1B_EUlS1A_E_NS1_11comp_targetILNS1_3genE4ELNS1_11target_archE910ELNS1_3gpuE8ELNS1_3repE0EEENS1_30default_config_static_selectorELNS0_4arch9wavefront6targetE1EEEvT1_,"axG",@progbits,_ZN7rocprim17ROCPRIM_400000_NS6detail17trampoline_kernelINS0_14default_configENS1_25partition_config_selectorILNS1_17partition_subalgoE2EsNS0_10empty_typeEbEEZZNS1_14partition_implILS5_2ELb0ES3_jN6thrust23THRUST_200600_302600_NS6detail15normal_iteratorINSA_7pointerIsNSA_11hip_rocprim3tagENSA_11use_defaultESG_EEEEPS6_NSA_18transform_iteratorI7is_evenIsENSC_INSA_10device_ptrIsEEEESG_SG_EENS0_5tupleIJPsSJ_EEENSR_IJSJ_SJ_EEES6_PlJS6_EEE10hipError_tPvRmT3_T4_T5_T6_T7_T9_mT8_P12ihipStream_tbDpT10_ENKUlT_T0_E_clISt17integral_constantIbLb0EES1F_EEDaS1A_S1B_EUlS1A_E_NS1_11comp_targetILNS1_3genE4ELNS1_11target_archE910ELNS1_3gpuE8ELNS1_3repE0EEENS1_30default_config_static_selectorELNS0_4arch9wavefront6targetE1EEEvT1_,comdat
	.protected	_ZN7rocprim17ROCPRIM_400000_NS6detail17trampoline_kernelINS0_14default_configENS1_25partition_config_selectorILNS1_17partition_subalgoE2EsNS0_10empty_typeEbEEZZNS1_14partition_implILS5_2ELb0ES3_jN6thrust23THRUST_200600_302600_NS6detail15normal_iteratorINSA_7pointerIsNSA_11hip_rocprim3tagENSA_11use_defaultESG_EEEEPS6_NSA_18transform_iteratorI7is_evenIsENSC_INSA_10device_ptrIsEEEESG_SG_EENS0_5tupleIJPsSJ_EEENSR_IJSJ_SJ_EEES6_PlJS6_EEE10hipError_tPvRmT3_T4_T5_T6_T7_T9_mT8_P12ihipStream_tbDpT10_ENKUlT_T0_E_clISt17integral_constantIbLb0EES1F_EEDaS1A_S1B_EUlS1A_E_NS1_11comp_targetILNS1_3genE4ELNS1_11target_archE910ELNS1_3gpuE8ELNS1_3repE0EEENS1_30default_config_static_selectorELNS0_4arch9wavefront6targetE1EEEvT1_ ; -- Begin function _ZN7rocprim17ROCPRIM_400000_NS6detail17trampoline_kernelINS0_14default_configENS1_25partition_config_selectorILNS1_17partition_subalgoE2EsNS0_10empty_typeEbEEZZNS1_14partition_implILS5_2ELb0ES3_jN6thrust23THRUST_200600_302600_NS6detail15normal_iteratorINSA_7pointerIsNSA_11hip_rocprim3tagENSA_11use_defaultESG_EEEEPS6_NSA_18transform_iteratorI7is_evenIsENSC_INSA_10device_ptrIsEEEESG_SG_EENS0_5tupleIJPsSJ_EEENSR_IJSJ_SJ_EEES6_PlJS6_EEE10hipError_tPvRmT3_T4_T5_T6_T7_T9_mT8_P12ihipStream_tbDpT10_ENKUlT_T0_E_clISt17integral_constantIbLb0EES1F_EEDaS1A_S1B_EUlS1A_E_NS1_11comp_targetILNS1_3genE4ELNS1_11target_archE910ELNS1_3gpuE8ELNS1_3repE0EEENS1_30default_config_static_selectorELNS0_4arch9wavefront6targetE1EEEvT1_
	.globl	_ZN7rocprim17ROCPRIM_400000_NS6detail17trampoline_kernelINS0_14default_configENS1_25partition_config_selectorILNS1_17partition_subalgoE2EsNS0_10empty_typeEbEEZZNS1_14partition_implILS5_2ELb0ES3_jN6thrust23THRUST_200600_302600_NS6detail15normal_iteratorINSA_7pointerIsNSA_11hip_rocprim3tagENSA_11use_defaultESG_EEEEPS6_NSA_18transform_iteratorI7is_evenIsENSC_INSA_10device_ptrIsEEEESG_SG_EENS0_5tupleIJPsSJ_EEENSR_IJSJ_SJ_EEES6_PlJS6_EEE10hipError_tPvRmT3_T4_T5_T6_T7_T9_mT8_P12ihipStream_tbDpT10_ENKUlT_T0_E_clISt17integral_constantIbLb0EES1F_EEDaS1A_S1B_EUlS1A_E_NS1_11comp_targetILNS1_3genE4ELNS1_11target_archE910ELNS1_3gpuE8ELNS1_3repE0EEENS1_30default_config_static_selectorELNS0_4arch9wavefront6targetE1EEEvT1_
	.p2align	8
	.type	_ZN7rocprim17ROCPRIM_400000_NS6detail17trampoline_kernelINS0_14default_configENS1_25partition_config_selectorILNS1_17partition_subalgoE2EsNS0_10empty_typeEbEEZZNS1_14partition_implILS5_2ELb0ES3_jN6thrust23THRUST_200600_302600_NS6detail15normal_iteratorINSA_7pointerIsNSA_11hip_rocprim3tagENSA_11use_defaultESG_EEEEPS6_NSA_18transform_iteratorI7is_evenIsENSC_INSA_10device_ptrIsEEEESG_SG_EENS0_5tupleIJPsSJ_EEENSR_IJSJ_SJ_EEES6_PlJS6_EEE10hipError_tPvRmT3_T4_T5_T6_T7_T9_mT8_P12ihipStream_tbDpT10_ENKUlT_T0_E_clISt17integral_constantIbLb0EES1F_EEDaS1A_S1B_EUlS1A_E_NS1_11comp_targetILNS1_3genE4ELNS1_11target_archE910ELNS1_3gpuE8ELNS1_3repE0EEENS1_30default_config_static_selectorELNS0_4arch9wavefront6targetE1EEEvT1_,@function
_ZN7rocprim17ROCPRIM_400000_NS6detail17trampoline_kernelINS0_14default_configENS1_25partition_config_selectorILNS1_17partition_subalgoE2EsNS0_10empty_typeEbEEZZNS1_14partition_implILS5_2ELb0ES3_jN6thrust23THRUST_200600_302600_NS6detail15normal_iteratorINSA_7pointerIsNSA_11hip_rocprim3tagENSA_11use_defaultESG_EEEEPS6_NSA_18transform_iteratorI7is_evenIsENSC_INSA_10device_ptrIsEEEESG_SG_EENS0_5tupleIJPsSJ_EEENSR_IJSJ_SJ_EEES6_PlJS6_EEE10hipError_tPvRmT3_T4_T5_T6_T7_T9_mT8_P12ihipStream_tbDpT10_ENKUlT_T0_E_clISt17integral_constantIbLb0EES1F_EEDaS1A_S1B_EUlS1A_E_NS1_11comp_targetILNS1_3genE4ELNS1_11target_archE910ELNS1_3gpuE8ELNS1_3repE0EEENS1_30default_config_static_selectorELNS0_4arch9wavefront6targetE1EEEvT1_: ; @_ZN7rocprim17ROCPRIM_400000_NS6detail17trampoline_kernelINS0_14default_configENS1_25partition_config_selectorILNS1_17partition_subalgoE2EsNS0_10empty_typeEbEEZZNS1_14partition_implILS5_2ELb0ES3_jN6thrust23THRUST_200600_302600_NS6detail15normal_iteratorINSA_7pointerIsNSA_11hip_rocprim3tagENSA_11use_defaultESG_EEEEPS6_NSA_18transform_iteratorI7is_evenIsENSC_INSA_10device_ptrIsEEEESG_SG_EENS0_5tupleIJPsSJ_EEENSR_IJSJ_SJ_EEES6_PlJS6_EEE10hipError_tPvRmT3_T4_T5_T6_T7_T9_mT8_P12ihipStream_tbDpT10_ENKUlT_T0_E_clISt17integral_constantIbLb0EES1F_EEDaS1A_S1B_EUlS1A_E_NS1_11comp_targetILNS1_3genE4ELNS1_11target_archE910ELNS1_3gpuE8ELNS1_3repE0EEENS1_30default_config_static_selectorELNS0_4arch9wavefront6targetE1EEEvT1_
; %bb.0:
	.section	.rodata,"a",@progbits
	.p2align	6, 0x0
	.amdhsa_kernel _ZN7rocprim17ROCPRIM_400000_NS6detail17trampoline_kernelINS0_14default_configENS1_25partition_config_selectorILNS1_17partition_subalgoE2EsNS0_10empty_typeEbEEZZNS1_14partition_implILS5_2ELb0ES3_jN6thrust23THRUST_200600_302600_NS6detail15normal_iteratorINSA_7pointerIsNSA_11hip_rocprim3tagENSA_11use_defaultESG_EEEEPS6_NSA_18transform_iteratorI7is_evenIsENSC_INSA_10device_ptrIsEEEESG_SG_EENS0_5tupleIJPsSJ_EEENSR_IJSJ_SJ_EEES6_PlJS6_EEE10hipError_tPvRmT3_T4_T5_T6_T7_T9_mT8_P12ihipStream_tbDpT10_ENKUlT_T0_E_clISt17integral_constantIbLb0EES1F_EEDaS1A_S1B_EUlS1A_E_NS1_11comp_targetILNS1_3genE4ELNS1_11target_archE910ELNS1_3gpuE8ELNS1_3repE0EEENS1_30default_config_static_selectorELNS0_4arch9wavefront6targetE1EEEvT1_
		.amdhsa_group_segment_fixed_size 0
		.amdhsa_private_segment_fixed_size 0
		.amdhsa_kernarg_size 128
		.amdhsa_user_sgpr_count 2
		.amdhsa_user_sgpr_dispatch_ptr 0
		.amdhsa_user_sgpr_queue_ptr 0
		.amdhsa_user_sgpr_kernarg_segment_ptr 1
		.amdhsa_user_sgpr_dispatch_id 0
		.amdhsa_user_sgpr_kernarg_preload_length 0
		.amdhsa_user_sgpr_kernarg_preload_offset 0
		.amdhsa_user_sgpr_private_segment_size 0
		.amdhsa_uses_dynamic_stack 0
		.amdhsa_enable_private_segment 0
		.amdhsa_system_sgpr_workgroup_id_x 1
		.amdhsa_system_sgpr_workgroup_id_y 0
		.amdhsa_system_sgpr_workgroup_id_z 0
		.amdhsa_system_sgpr_workgroup_info 0
		.amdhsa_system_vgpr_workitem_id 0
		.amdhsa_next_free_vgpr 1
		.amdhsa_next_free_sgpr 0
		.amdhsa_accum_offset 4
		.amdhsa_reserve_vcc 0
		.amdhsa_float_round_mode_32 0
		.amdhsa_float_round_mode_16_64 0
		.amdhsa_float_denorm_mode_32 3
		.amdhsa_float_denorm_mode_16_64 3
		.amdhsa_dx10_clamp 1
		.amdhsa_ieee_mode 1
		.amdhsa_fp16_overflow 0
		.amdhsa_tg_split 0
		.amdhsa_exception_fp_ieee_invalid_op 0
		.amdhsa_exception_fp_denorm_src 0
		.amdhsa_exception_fp_ieee_div_zero 0
		.amdhsa_exception_fp_ieee_overflow 0
		.amdhsa_exception_fp_ieee_underflow 0
		.amdhsa_exception_fp_ieee_inexact 0
		.amdhsa_exception_int_div_zero 0
	.end_amdhsa_kernel
	.section	.text._ZN7rocprim17ROCPRIM_400000_NS6detail17trampoline_kernelINS0_14default_configENS1_25partition_config_selectorILNS1_17partition_subalgoE2EsNS0_10empty_typeEbEEZZNS1_14partition_implILS5_2ELb0ES3_jN6thrust23THRUST_200600_302600_NS6detail15normal_iteratorINSA_7pointerIsNSA_11hip_rocprim3tagENSA_11use_defaultESG_EEEEPS6_NSA_18transform_iteratorI7is_evenIsENSC_INSA_10device_ptrIsEEEESG_SG_EENS0_5tupleIJPsSJ_EEENSR_IJSJ_SJ_EEES6_PlJS6_EEE10hipError_tPvRmT3_T4_T5_T6_T7_T9_mT8_P12ihipStream_tbDpT10_ENKUlT_T0_E_clISt17integral_constantIbLb0EES1F_EEDaS1A_S1B_EUlS1A_E_NS1_11comp_targetILNS1_3genE4ELNS1_11target_archE910ELNS1_3gpuE8ELNS1_3repE0EEENS1_30default_config_static_selectorELNS0_4arch9wavefront6targetE1EEEvT1_,"axG",@progbits,_ZN7rocprim17ROCPRIM_400000_NS6detail17trampoline_kernelINS0_14default_configENS1_25partition_config_selectorILNS1_17partition_subalgoE2EsNS0_10empty_typeEbEEZZNS1_14partition_implILS5_2ELb0ES3_jN6thrust23THRUST_200600_302600_NS6detail15normal_iteratorINSA_7pointerIsNSA_11hip_rocprim3tagENSA_11use_defaultESG_EEEEPS6_NSA_18transform_iteratorI7is_evenIsENSC_INSA_10device_ptrIsEEEESG_SG_EENS0_5tupleIJPsSJ_EEENSR_IJSJ_SJ_EEES6_PlJS6_EEE10hipError_tPvRmT3_T4_T5_T6_T7_T9_mT8_P12ihipStream_tbDpT10_ENKUlT_T0_E_clISt17integral_constantIbLb0EES1F_EEDaS1A_S1B_EUlS1A_E_NS1_11comp_targetILNS1_3genE4ELNS1_11target_archE910ELNS1_3gpuE8ELNS1_3repE0EEENS1_30default_config_static_selectorELNS0_4arch9wavefront6targetE1EEEvT1_,comdat
.Lfunc_end258:
	.size	_ZN7rocprim17ROCPRIM_400000_NS6detail17trampoline_kernelINS0_14default_configENS1_25partition_config_selectorILNS1_17partition_subalgoE2EsNS0_10empty_typeEbEEZZNS1_14partition_implILS5_2ELb0ES3_jN6thrust23THRUST_200600_302600_NS6detail15normal_iteratorINSA_7pointerIsNSA_11hip_rocprim3tagENSA_11use_defaultESG_EEEEPS6_NSA_18transform_iteratorI7is_evenIsENSC_INSA_10device_ptrIsEEEESG_SG_EENS0_5tupleIJPsSJ_EEENSR_IJSJ_SJ_EEES6_PlJS6_EEE10hipError_tPvRmT3_T4_T5_T6_T7_T9_mT8_P12ihipStream_tbDpT10_ENKUlT_T0_E_clISt17integral_constantIbLb0EES1F_EEDaS1A_S1B_EUlS1A_E_NS1_11comp_targetILNS1_3genE4ELNS1_11target_archE910ELNS1_3gpuE8ELNS1_3repE0EEENS1_30default_config_static_selectorELNS0_4arch9wavefront6targetE1EEEvT1_, .Lfunc_end258-_ZN7rocprim17ROCPRIM_400000_NS6detail17trampoline_kernelINS0_14default_configENS1_25partition_config_selectorILNS1_17partition_subalgoE2EsNS0_10empty_typeEbEEZZNS1_14partition_implILS5_2ELb0ES3_jN6thrust23THRUST_200600_302600_NS6detail15normal_iteratorINSA_7pointerIsNSA_11hip_rocprim3tagENSA_11use_defaultESG_EEEEPS6_NSA_18transform_iteratorI7is_evenIsENSC_INSA_10device_ptrIsEEEESG_SG_EENS0_5tupleIJPsSJ_EEENSR_IJSJ_SJ_EEES6_PlJS6_EEE10hipError_tPvRmT3_T4_T5_T6_T7_T9_mT8_P12ihipStream_tbDpT10_ENKUlT_T0_E_clISt17integral_constantIbLb0EES1F_EEDaS1A_S1B_EUlS1A_E_NS1_11comp_targetILNS1_3genE4ELNS1_11target_archE910ELNS1_3gpuE8ELNS1_3repE0EEENS1_30default_config_static_selectorELNS0_4arch9wavefront6targetE1EEEvT1_
                                        ; -- End function
	.section	.AMDGPU.csdata,"",@progbits
; Kernel info:
; codeLenInByte = 0
; NumSgprs: 6
; NumVgprs: 0
; NumAgprs: 0
; TotalNumVgprs: 0
; ScratchSize: 0
; MemoryBound: 0
; FloatMode: 240
; IeeeMode: 1
; LDSByteSize: 0 bytes/workgroup (compile time only)
; SGPRBlocks: 0
; VGPRBlocks: 0
; NumSGPRsForWavesPerEU: 6
; NumVGPRsForWavesPerEU: 1
; AccumOffset: 4
; Occupancy: 8
; WaveLimiterHint : 0
; COMPUTE_PGM_RSRC2:SCRATCH_EN: 0
; COMPUTE_PGM_RSRC2:USER_SGPR: 2
; COMPUTE_PGM_RSRC2:TRAP_HANDLER: 0
; COMPUTE_PGM_RSRC2:TGID_X_EN: 1
; COMPUTE_PGM_RSRC2:TGID_Y_EN: 0
; COMPUTE_PGM_RSRC2:TGID_Z_EN: 0
; COMPUTE_PGM_RSRC2:TIDIG_COMP_CNT: 0
; COMPUTE_PGM_RSRC3_GFX90A:ACCUM_OFFSET: 0
; COMPUTE_PGM_RSRC3_GFX90A:TG_SPLIT: 0
	.section	.text._ZN7rocprim17ROCPRIM_400000_NS6detail17trampoline_kernelINS0_14default_configENS1_25partition_config_selectorILNS1_17partition_subalgoE2EsNS0_10empty_typeEbEEZZNS1_14partition_implILS5_2ELb0ES3_jN6thrust23THRUST_200600_302600_NS6detail15normal_iteratorINSA_7pointerIsNSA_11hip_rocprim3tagENSA_11use_defaultESG_EEEEPS6_NSA_18transform_iteratorI7is_evenIsENSC_INSA_10device_ptrIsEEEESG_SG_EENS0_5tupleIJPsSJ_EEENSR_IJSJ_SJ_EEES6_PlJS6_EEE10hipError_tPvRmT3_T4_T5_T6_T7_T9_mT8_P12ihipStream_tbDpT10_ENKUlT_T0_E_clISt17integral_constantIbLb0EES1F_EEDaS1A_S1B_EUlS1A_E_NS1_11comp_targetILNS1_3genE3ELNS1_11target_archE908ELNS1_3gpuE7ELNS1_3repE0EEENS1_30default_config_static_selectorELNS0_4arch9wavefront6targetE1EEEvT1_,"axG",@progbits,_ZN7rocprim17ROCPRIM_400000_NS6detail17trampoline_kernelINS0_14default_configENS1_25partition_config_selectorILNS1_17partition_subalgoE2EsNS0_10empty_typeEbEEZZNS1_14partition_implILS5_2ELb0ES3_jN6thrust23THRUST_200600_302600_NS6detail15normal_iteratorINSA_7pointerIsNSA_11hip_rocprim3tagENSA_11use_defaultESG_EEEEPS6_NSA_18transform_iteratorI7is_evenIsENSC_INSA_10device_ptrIsEEEESG_SG_EENS0_5tupleIJPsSJ_EEENSR_IJSJ_SJ_EEES6_PlJS6_EEE10hipError_tPvRmT3_T4_T5_T6_T7_T9_mT8_P12ihipStream_tbDpT10_ENKUlT_T0_E_clISt17integral_constantIbLb0EES1F_EEDaS1A_S1B_EUlS1A_E_NS1_11comp_targetILNS1_3genE3ELNS1_11target_archE908ELNS1_3gpuE7ELNS1_3repE0EEENS1_30default_config_static_selectorELNS0_4arch9wavefront6targetE1EEEvT1_,comdat
	.protected	_ZN7rocprim17ROCPRIM_400000_NS6detail17trampoline_kernelINS0_14default_configENS1_25partition_config_selectorILNS1_17partition_subalgoE2EsNS0_10empty_typeEbEEZZNS1_14partition_implILS5_2ELb0ES3_jN6thrust23THRUST_200600_302600_NS6detail15normal_iteratorINSA_7pointerIsNSA_11hip_rocprim3tagENSA_11use_defaultESG_EEEEPS6_NSA_18transform_iteratorI7is_evenIsENSC_INSA_10device_ptrIsEEEESG_SG_EENS0_5tupleIJPsSJ_EEENSR_IJSJ_SJ_EEES6_PlJS6_EEE10hipError_tPvRmT3_T4_T5_T6_T7_T9_mT8_P12ihipStream_tbDpT10_ENKUlT_T0_E_clISt17integral_constantIbLb0EES1F_EEDaS1A_S1B_EUlS1A_E_NS1_11comp_targetILNS1_3genE3ELNS1_11target_archE908ELNS1_3gpuE7ELNS1_3repE0EEENS1_30default_config_static_selectorELNS0_4arch9wavefront6targetE1EEEvT1_ ; -- Begin function _ZN7rocprim17ROCPRIM_400000_NS6detail17trampoline_kernelINS0_14default_configENS1_25partition_config_selectorILNS1_17partition_subalgoE2EsNS0_10empty_typeEbEEZZNS1_14partition_implILS5_2ELb0ES3_jN6thrust23THRUST_200600_302600_NS6detail15normal_iteratorINSA_7pointerIsNSA_11hip_rocprim3tagENSA_11use_defaultESG_EEEEPS6_NSA_18transform_iteratorI7is_evenIsENSC_INSA_10device_ptrIsEEEESG_SG_EENS0_5tupleIJPsSJ_EEENSR_IJSJ_SJ_EEES6_PlJS6_EEE10hipError_tPvRmT3_T4_T5_T6_T7_T9_mT8_P12ihipStream_tbDpT10_ENKUlT_T0_E_clISt17integral_constantIbLb0EES1F_EEDaS1A_S1B_EUlS1A_E_NS1_11comp_targetILNS1_3genE3ELNS1_11target_archE908ELNS1_3gpuE7ELNS1_3repE0EEENS1_30default_config_static_selectorELNS0_4arch9wavefront6targetE1EEEvT1_
	.globl	_ZN7rocprim17ROCPRIM_400000_NS6detail17trampoline_kernelINS0_14default_configENS1_25partition_config_selectorILNS1_17partition_subalgoE2EsNS0_10empty_typeEbEEZZNS1_14partition_implILS5_2ELb0ES3_jN6thrust23THRUST_200600_302600_NS6detail15normal_iteratorINSA_7pointerIsNSA_11hip_rocprim3tagENSA_11use_defaultESG_EEEEPS6_NSA_18transform_iteratorI7is_evenIsENSC_INSA_10device_ptrIsEEEESG_SG_EENS0_5tupleIJPsSJ_EEENSR_IJSJ_SJ_EEES6_PlJS6_EEE10hipError_tPvRmT3_T4_T5_T6_T7_T9_mT8_P12ihipStream_tbDpT10_ENKUlT_T0_E_clISt17integral_constantIbLb0EES1F_EEDaS1A_S1B_EUlS1A_E_NS1_11comp_targetILNS1_3genE3ELNS1_11target_archE908ELNS1_3gpuE7ELNS1_3repE0EEENS1_30default_config_static_selectorELNS0_4arch9wavefront6targetE1EEEvT1_
	.p2align	8
	.type	_ZN7rocprim17ROCPRIM_400000_NS6detail17trampoline_kernelINS0_14default_configENS1_25partition_config_selectorILNS1_17partition_subalgoE2EsNS0_10empty_typeEbEEZZNS1_14partition_implILS5_2ELb0ES3_jN6thrust23THRUST_200600_302600_NS6detail15normal_iteratorINSA_7pointerIsNSA_11hip_rocprim3tagENSA_11use_defaultESG_EEEEPS6_NSA_18transform_iteratorI7is_evenIsENSC_INSA_10device_ptrIsEEEESG_SG_EENS0_5tupleIJPsSJ_EEENSR_IJSJ_SJ_EEES6_PlJS6_EEE10hipError_tPvRmT3_T4_T5_T6_T7_T9_mT8_P12ihipStream_tbDpT10_ENKUlT_T0_E_clISt17integral_constantIbLb0EES1F_EEDaS1A_S1B_EUlS1A_E_NS1_11comp_targetILNS1_3genE3ELNS1_11target_archE908ELNS1_3gpuE7ELNS1_3repE0EEENS1_30default_config_static_selectorELNS0_4arch9wavefront6targetE1EEEvT1_,@function
_ZN7rocprim17ROCPRIM_400000_NS6detail17trampoline_kernelINS0_14default_configENS1_25partition_config_selectorILNS1_17partition_subalgoE2EsNS0_10empty_typeEbEEZZNS1_14partition_implILS5_2ELb0ES3_jN6thrust23THRUST_200600_302600_NS6detail15normal_iteratorINSA_7pointerIsNSA_11hip_rocprim3tagENSA_11use_defaultESG_EEEEPS6_NSA_18transform_iteratorI7is_evenIsENSC_INSA_10device_ptrIsEEEESG_SG_EENS0_5tupleIJPsSJ_EEENSR_IJSJ_SJ_EEES6_PlJS6_EEE10hipError_tPvRmT3_T4_T5_T6_T7_T9_mT8_P12ihipStream_tbDpT10_ENKUlT_T0_E_clISt17integral_constantIbLb0EES1F_EEDaS1A_S1B_EUlS1A_E_NS1_11comp_targetILNS1_3genE3ELNS1_11target_archE908ELNS1_3gpuE7ELNS1_3repE0EEENS1_30default_config_static_selectorELNS0_4arch9wavefront6targetE1EEEvT1_: ; @_ZN7rocprim17ROCPRIM_400000_NS6detail17trampoline_kernelINS0_14default_configENS1_25partition_config_selectorILNS1_17partition_subalgoE2EsNS0_10empty_typeEbEEZZNS1_14partition_implILS5_2ELb0ES3_jN6thrust23THRUST_200600_302600_NS6detail15normal_iteratorINSA_7pointerIsNSA_11hip_rocprim3tagENSA_11use_defaultESG_EEEEPS6_NSA_18transform_iteratorI7is_evenIsENSC_INSA_10device_ptrIsEEEESG_SG_EENS0_5tupleIJPsSJ_EEENSR_IJSJ_SJ_EEES6_PlJS6_EEE10hipError_tPvRmT3_T4_T5_T6_T7_T9_mT8_P12ihipStream_tbDpT10_ENKUlT_T0_E_clISt17integral_constantIbLb0EES1F_EEDaS1A_S1B_EUlS1A_E_NS1_11comp_targetILNS1_3genE3ELNS1_11target_archE908ELNS1_3gpuE7ELNS1_3repE0EEENS1_30default_config_static_selectorELNS0_4arch9wavefront6targetE1EEEvT1_
; %bb.0:
	.section	.rodata,"a",@progbits
	.p2align	6, 0x0
	.amdhsa_kernel _ZN7rocprim17ROCPRIM_400000_NS6detail17trampoline_kernelINS0_14default_configENS1_25partition_config_selectorILNS1_17partition_subalgoE2EsNS0_10empty_typeEbEEZZNS1_14partition_implILS5_2ELb0ES3_jN6thrust23THRUST_200600_302600_NS6detail15normal_iteratorINSA_7pointerIsNSA_11hip_rocprim3tagENSA_11use_defaultESG_EEEEPS6_NSA_18transform_iteratorI7is_evenIsENSC_INSA_10device_ptrIsEEEESG_SG_EENS0_5tupleIJPsSJ_EEENSR_IJSJ_SJ_EEES6_PlJS6_EEE10hipError_tPvRmT3_T4_T5_T6_T7_T9_mT8_P12ihipStream_tbDpT10_ENKUlT_T0_E_clISt17integral_constantIbLb0EES1F_EEDaS1A_S1B_EUlS1A_E_NS1_11comp_targetILNS1_3genE3ELNS1_11target_archE908ELNS1_3gpuE7ELNS1_3repE0EEENS1_30default_config_static_selectorELNS0_4arch9wavefront6targetE1EEEvT1_
		.amdhsa_group_segment_fixed_size 0
		.amdhsa_private_segment_fixed_size 0
		.amdhsa_kernarg_size 128
		.amdhsa_user_sgpr_count 2
		.amdhsa_user_sgpr_dispatch_ptr 0
		.amdhsa_user_sgpr_queue_ptr 0
		.amdhsa_user_sgpr_kernarg_segment_ptr 1
		.amdhsa_user_sgpr_dispatch_id 0
		.amdhsa_user_sgpr_kernarg_preload_length 0
		.amdhsa_user_sgpr_kernarg_preload_offset 0
		.amdhsa_user_sgpr_private_segment_size 0
		.amdhsa_uses_dynamic_stack 0
		.amdhsa_enable_private_segment 0
		.amdhsa_system_sgpr_workgroup_id_x 1
		.amdhsa_system_sgpr_workgroup_id_y 0
		.amdhsa_system_sgpr_workgroup_id_z 0
		.amdhsa_system_sgpr_workgroup_info 0
		.amdhsa_system_vgpr_workitem_id 0
		.amdhsa_next_free_vgpr 1
		.amdhsa_next_free_sgpr 0
		.amdhsa_accum_offset 4
		.amdhsa_reserve_vcc 0
		.amdhsa_float_round_mode_32 0
		.amdhsa_float_round_mode_16_64 0
		.amdhsa_float_denorm_mode_32 3
		.amdhsa_float_denorm_mode_16_64 3
		.amdhsa_dx10_clamp 1
		.amdhsa_ieee_mode 1
		.amdhsa_fp16_overflow 0
		.amdhsa_tg_split 0
		.amdhsa_exception_fp_ieee_invalid_op 0
		.amdhsa_exception_fp_denorm_src 0
		.amdhsa_exception_fp_ieee_div_zero 0
		.amdhsa_exception_fp_ieee_overflow 0
		.amdhsa_exception_fp_ieee_underflow 0
		.amdhsa_exception_fp_ieee_inexact 0
		.amdhsa_exception_int_div_zero 0
	.end_amdhsa_kernel
	.section	.text._ZN7rocprim17ROCPRIM_400000_NS6detail17trampoline_kernelINS0_14default_configENS1_25partition_config_selectorILNS1_17partition_subalgoE2EsNS0_10empty_typeEbEEZZNS1_14partition_implILS5_2ELb0ES3_jN6thrust23THRUST_200600_302600_NS6detail15normal_iteratorINSA_7pointerIsNSA_11hip_rocprim3tagENSA_11use_defaultESG_EEEEPS6_NSA_18transform_iteratorI7is_evenIsENSC_INSA_10device_ptrIsEEEESG_SG_EENS0_5tupleIJPsSJ_EEENSR_IJSJ_SJ_EEES6_PlJS6_EEE10hipError_tPvRmT3_T4_T5_T6_T7_T9_mT8_P12ihipStream_tbDpT10_ENKUlT_T0_E_clISt17integral_constantIbLb0EES1F_EEDaS1A_S1B_EUlS1A_E_NS1_11comp_targetILNS1_3genE3ELNS1_11target_archE908ELNS1_3gpuE7ELNS1_3repE0EEENS1_30default_config_static_selectorELNS0_4arch9wavefront6targetE1EEEvT1_,"axG",@progbits,_ZN7rocprim17ROCPRIM_400000_NS6detail17trampoline_kernelINS0_14default_configENS1_25partition_config_selectorILNS1_17partition_subalgoE2EsNS0_10empty_typeEbEEZZNS1_14partition_implILS5_2ELb0ES3_jN6thrust23THRUST_200600_302600_NS6detail15normal_iteratorINSA_7pointerIsNSA_11hip_rocprim3tagENSA_11use_defaultESG_EEEEPS6_NSA_18transform_iteratorI7is_evenIsENSC_INSA_10device_ptrIsEEEESG_SG_EENS0_5tupleIJPsSJ_EEENSR_IJSJ_SJ_EEES6_PlJS6_EEE10hipError_tPvRmT3_T4_T5_T6_T7_T9_mT8_P12ihipStream_tbDpT10_ENKUlT_T0_E_clISt17integral_constantIbLb0EES1F_EEDaS1A_S1B_EUlS1A_E_NS1_11comp_targetILNS1_3genE3ELNS1_11target_archE908ELNS1_3gpuE7ELNS1_3repE0EEENS1_30default_config_static_selectorELNS0_4arch9wavefront6targetE1EEEvT1_,comdat
.Lfunc_end259:
	.size	_ZN7rocprim17ROCPRIM_400000_NS6detail17trampoline_kernelINS0_14default_configENS1_25partition_config_selectorILNS1_17partition_subalgoE2EsNS0_10empty_typeEbEEZZNS1_14partition_implILS5_2ELb0ES3_jN6thrust23THRUST_200600_302600_NS6detail15normal_iteratorINSA_7pointerIsNSA_11hip_rocprim3tagENSA_11use_defaultESG_EEEEPS6_NSA_18transform_iteratorI7is_evenIsENSC_INSA_10device_ptrIsEEEESG_SG_EENS0_5tupleIJPsSJ_EEENSR_IJSJ_SJ_EEES6_PlJS6_EEE10hipError_tPvRmT3_T4_T5_T6_T7_T9_mT8_P12ihipStream_tbDpT10_ENKUlT_T0_E_clISt17integral_constantIbLb0EES1F_EEDaS1A_S1B_EUlS1A_E_NS1_11comp_targetILNS1_3genE3ELNS1_11target_archE908ELNS1_3gpuE7ELNS1_3repE0EEENS1_30default_config_static_selectorELNS0_4arch9wavefront6targetE1EEEvT1_, .Lfunc_end259-_ZN7rocprim17ROCPRIM_400000_NS6detail17trampoline_kernelINS0_14default_configENS1_25partition_config_selectorILNS1_17partition_subalgoE2EsNS0_10empty_typeEbEEZZNS1_14partition_implILS5_2ELb0ES3_jN6thrust23THRUST_200600_302600_NS6detail15normal_iteratorINSA_7pointerIsNSA_11hip_rocprim3tagENSA_11use_defaultESG_EEEEPS6_NSA_18transform_iteratorI7is_evenIsENSC_INSA_10device_ptrIsEEEESG_SG_EENS0_5tupleIJPsSJ_EEENSR_IJSJ_SJ_EEES6_PlJS6_EEE10hipError_tPvRmT3_T4_T5_T6_T7_T9_mT8_P12ihipStream_tbDpT10_ENKUlT_T0_E_clISt17integral_constantIbLb0EES1F_EEDaS1A_S1B_EUlS1A_E_NS1_11comp_targetILNS1_3genE3ELNS1_11target_archE908ELNS1_3gpuE7ELNS1_3repE0EEENS1_30default_config_static_selectorELNS0_4arch9wavefront6targetE1EEEvT1_
                                        ; -- End function
	.section	.AMDGPU.csdata,"",@progbits
; Kernel info:
; codeLenInByte = 0
; NumSgprs: 6
; NumVgprs: 0
; NumAgprs: 0
; TotalNumVgprs: 0
; ScratchSize: 0
; MemoryBound: 0
; FloatMode: 240
; IeeeMode: 1
; LDSByteSize: 0 bytes/workgroup (compile time only)
; SGPRBlocks: 0
; VGPRBlocks: 0
; NumSGPRsForWavesPerEU: 6
; NumVGPRsForWavesPerEU: 1
; AccumOffset: 4
; Occupancy: 8
; WaveLimiterHint : 0
; COMPUTE_PGM_RSRC2:SCRATCH_EN: 0
; COMPUTE_PGM_RSRC2:USER_SGPR: 2
; COMPUTE_PGM_RSRC2:TRAP_HANDLER: 0
; COMPUTE_PGM_RSRC2:TGID_X_EN: 1
; COMPUTE_PGM_RSRC2:TGID_Y_EN: 0
; COMPUTE_PGM_RSRC2:TGID_Z_EN: 0
; COMPUTE_PGM_RSRC2:TIDIG_COMP_CNT: 0
; COMPUTE_PGM_RSRC3_GFX90A:ACCUM_OFFSET: 0
; COMPUTE_PGM_RSRC3_GFX90A:TG_SPLIT: 0
	.section	.text._ZN7rocprim17ROCPRIM_400000_NS6detail17trampoline_kernelINS0_14default_configENS1_25partition_config_selectorILNS1_17partition_subalgoE2EsNS0_10empty_typeEbEEZZNS1_14partition_implILS5_2ELb0ES3_jN6thrust23THRUST_200600_302600_NS6detail15normal_iteratorINSA_7pointerIsNSA_11hip_rocprim3tagENSA_11use_defaultESG_EEEEPS6_NSA_18transform_iteratorI7is_evenIsENSC_INSA_10device_ptrIsEEEESG_SG_EENS0_5tupleIJPsSJ_EEENSR_IJSJ_SJ_EEES6_PlJS6_EEE10hipError_tPvRmT3_T4_T5_T6_T7_T9_mT8_P12ihipStream_tbDpT10_ENKUlT_T0_E_clISt17integral_constantIbLb0EES1F_EEDaS1A_S1B_EUlS1A_E_NS1_11comp_targetILNS1_3genE2ELNS1_11target_archE906ELNS1_3gpuE6ELNS1_3repE0EEENS1_30default_config_static_selectorELNS0_4arch9wavefront6targetE1EEEvT1_,"axG",@progbits,_ZN7rocprim17ROCPRIM_400000_NS6detail17trampoline_kernelINS0_14default_configENS1_25partition_config_selectorILNS1_17partition_subalgoE2EsNS0_10empty_typeEbEEZZNS1_14partition_implILS5_2ELb0ES3_jN6thrust23THRUST_200600_302600_NS6detail15normal_iteratorINSA_7pointerIsNSA_11hip_rocprim3tagENSA_11use_defaultESG_EEEEPS6_NSA_18transform_iteratorI7is_evenIsENSC_INSA_10device_ptrIsEEEESG_SG_EENS0_5tupleIJPsSJ_EEENSR_IJSJ_SJ_EEES6_PlJS6_EEE10hipError_tPvRmT3_T4_T5_T6_T7_T9_mT8_P12ihipStream_tbDpT10_ENKUlT_T0_E_clISt17integral_constantIbLb0EES1F_EEDaS1A_S1B_EUlS1A_E_NS1_11comp_targetILNS1_3genE2ELNS1_11target_archE906ELNS1_3gpuE6ELNS1_3repE0EEENS1_30default_config_static_selectorELNS0_4arch9wavefront6targetE1EEEvT1_,comdat
	.protected	_ZN7rocprim17ROCPRIM_400000_NS6detail17trampoline_kernelINS0_14default_configENS1_25partition_config_selectorILNS1_17partition_subalgoE2EsNS0_10empty_typeEbEEZZNS1_14partition_implILS5_2ELb0ES3_jN6thrust23THRUST_200600_302600_NS6detail15normal_iteratorINSA_7pointerIsNSA_11hip_rocprim3tagENSA_11use_defaultESG_EEEEPS6_NSA_18transform_iteratorI7is_evenIsENSC_INSA_10device_ptrIsEEEESG_SG_EENS0_5tupleIJPsSJ_EEENSR_IJSJ_SJ_EEES6_PlJS6_EEE10hipError_tPvRmT3_T4_T5_T6_T7_T9_mT8_P12ihipStream_tbDpT10_ENKUlT_T0_E_clISt17integral_constantIbLb0EES1F_EEDaS1A_S1B_EUlS1A_E_NS1_11comp_targetILNS1_3genE2ELNS1_11target_archE906ELNS1_3gpuE6ELNS1_3repE0EEENS1_30default_config_static_selectorELNS0_4arch9wavefront6targetE1EEEvT1_ ; -- Begin function _ZN7rocprim17ROCPRIM_400000_NS6detail17trampoline_kernelINS0_14default_configENS1_25partition_config_selectorILNS1_17partition_subalgoE2EsNS0_10empty_typeEbEEZZNS1_14partition_implILS5_2ELb0ES3_jN6thrust23THRUST_200600_302600_NS6detail15normal_iteratorINSA_7pointerIsNSA_11hip_rocprim3tagENSA_11use_defaultESG_EEEEPS6_NSA_18transform_iteratorI7is_evenIsENSC_INSA_10device_ptrIsEEEESG_SG_EENS0_5tupleIJPsSJ_EEENSR_IJSJ_SJ_EEES6_PlJS6_EEE10hipError_tPvRmT3_T4_T5_T6_T7_T9_mT8_P12ihipStream_tbDpT10_ENKUlT_T0_E_clISt17integral_constantIbLb0EES1F_EEDaS1A_S1B_EUlS1A_E_NS1_11comp_targetILNS1_3genE2ELNS1_11target_archE906ELNS1_3gpuE6ELNS1_3repE0EEENS1_30default_config_static_selectorELNS0_4arch9wavefront6targetE1EEEvT1_
	.globl	_ZN7rocprim17ROCPRIM_400000_NS6detail17trampoline_kernelINS0_14default_configENS1_25partition_config_selectorILNS1_17partition_subalgoE2EsNS0_10empty_typeEbEEZZNS1_14partition_implILS5_2ELb0ES3_jN6thrust23THRUST_200600_302600_NS6detail15normal_iteratorINSA_7pointerIsNSA_11hip_rocprim3tagENSA_11use_defaultESG_EEEEPS6_NSA_18transform_iteratorI7is_evenIsENSC_INSA_10device_ptrIsEEEESG_SG_EENS0_5tupleIJPsSJ_EEENSR_IJSJ_SJ_EEES6_PlJS6_EEE10hipError_tPvRmT3_T4_T5_T6_T7_T9_mT8_P12ihipStream_tbDpT10_ENKUlT_T0_E_clISt17integral_constantIbLb0EES1F_EEDaS1A_S1B_EUlS1A_E_NS1_11comp_targetILNS1_3genE2ELNS1_11target_archE906ELNS1_3gpuE6ELNS1_3repE0EEENS1_30default_config_static_selectorELNS0_4arch9wavefront6targetE1EEEvT1_
	.p2align	8
	.type	_ZN7rocprim17ROCPRIM_400000_NS6detail17trampoline_kernelINS0_14default_configENS1_25partition_config_selectorILNS1_17partition_subalgoE2EsNS0_10empty_typeEbEEZZNS1_14partition_implILS5_2ELb0ES3_jN6thrust23THRUST_200600_302600_NS6detail15normal_iteratorINSA_7pointerIsNSA_11hip_rocprim3tagENSA_11use_defaultESG_EEEEPS6_NSA_18transform_iteratorI7is_evenIsENSC_INSA_10device_ptrIsEEEESG_SG_EENS0_5tupleIJPsSJ_EEENSR_IJSJ_SJ_EEES6_PlJS6_EEE10hipError_tPvRmT3_T4_T5_T6_T7_T9_mT8_P12ihipStream_tbDpT10_ENKUlT_T0_E_clISt17integral_constantIbLb0EES1F_EEDaS1A_S1B_EUlS1A_E_NS1_11comp_targetILNS1_3genE2ELNS1_11target_archE906ELNS1_3gpuE6ELNS1_3repE0EEENS1_30default_config_static_selectorELNS0_4arch9wavefront6targetE1EEEvT1_,@function
_ZN7rocprim17ROCPRIM_400000_NS6detail17trampoline_kernelINS0_14default_configENS1_25partition_config_selectorILNS1_17partition_subalgoE2EsNS0_10empty_typeEbEEZZNS1_14partition_implILS5_2ELb0ES3_jN6thrust23THRUST_200600_302600_NS6detail15normal_iteratorINSA_7pointerIsNSA_11hip_rocprim3tagENSA_11use_defaultESG_EEEEPS6_NSA_18transform_iteratorI7is_evenIsENSC_INSA_10device_ptrIsEEEESG_SG_EENS0_5tupleIJPsSJ_EEENSR_IJSJ_SJ_EEES6_PlJS6_EEE10hipError_tPvRmT3_T4_T5_T6_T7_T9_mT8_P12ihipStream_tbDpT10_ENKUlT_T0_E_clISt17integral_constantIbLb0EES1F_EEDaS1A_S1B_EUlS1A_E_NS1_11comp_targetILNS1_3genE2ELNS1_11target_archE906ELNS1_3gpuE6ELNS1_3repE0EEENS1_30default_config_static_selectorELNS0_4arch9wavefront6targetE1EEEvT1_: ; @_ZN7rocprim17ROCPRIM_400000_NS6detail17trampoline_kernelINS0_14default_configENS1_25partition_config_selectorILNS1_17partition_subalgoE2EsNS0_10empty_typeEbEEZZNS1_14partition_implILS5_2ELb0ES3_jN6thrust23THRUST_200600_302600_NS6detail15normal_iteratorINSA_7pointerIsNSA_11hip_rocprim3tagENSA_11use_defaultESG_EEEEPS6_NSA_18transform_iteratorI7is_evenIsENSC_INSA_10device_ptrIsEEEESG_SG_EENS0_5tupleIJPsSJ_EEENSR_IJSJ_SJ_EEES6_PlJS6_EEE10hipError_tPvRmT3_T4_T5_T6_T7_T9_mT8_P12ihipStream_tbDpT10_ENKUlT_T0_E_clISt17integral_constantIbLb0EES1F_EEDaS1A_S1B_EUlS1A_E_NS1_11comp_targetILNS1_3genE2ELNS1_11target_archE906ELNS1_3gpuE6ELNS1_3repE0EEENS1_30default_config_static_selectorELNS0_4arch9wavefront6targetE1EEEvT1_
; %bb.0:
	.section	.rodata,"a",@progbits
	.p2align	6, 0x0
	.amdhsa_kernel _ZN7rocprim17ROCPRIM_400000_NS6detail17trampoline_kernelINS0_14default_configENS1_25partition_config_selectorILNS1_17partition_subalgoE2EsNS0_10empty_typeEbEEZZNS1_14partition_implILS5_2ELb0ES3_jN6thrust23THRUST_200600_302600_NS6detail15normal_iteratorINSA_7pointerIsNSA_11hip_rocprim3tagENSA_11use_defaultESG_EEEEPS6_NSA_18transform_iteratorI7is_evenIsENSC_INSA_10device_ptrIsEEEESG_SG_EENS0_5tupleIJPsSJ_EEENSR_IJSJ_SJ_EEES6_PlJS6_EEE10hipError_tPvRmT3_T4_T5_T6_T7_T9_mT8_P12ihipStream_tbDpT10_ENKUlT_T0_E_clISt17integral_constantIbLb0EES1F_EEDaS1A_S1B_EUlS1A_E_NS1_11comp_targetILNS1_3genE2ELNS1_11target_archE906ELNS1_3gpuE6ELNS1_3repE0EEENS1_30default_config_static_selectorELNS0_4arch9wavefront6targetE1EEEvT1_
		.amdhsa_group_segment_fixed_size 0
		.amdhsa_private_segment_fixed_size 0
		.amdhsa_kernarg_size 128
		.amdhsa_user_sgpr_count 2
		.amdhsa_user_sgpr_dispatch_ptr 0
		.amdhsa_user_sgpr_queue_ptr 0
		.amdhsa_user_sgpr_kernarg_segment_ptr 1
		.amdhsa_user_sgpr_dispatch_id 0
		.amdhsa_user_sgpr_kernarg_preload_length 0
		.amdhsa_user_sgpr_kernarg_preload_offset 0
		.amdhsa_user_sgpr_private_segment_size 0
		.amdhsa_uses_dynamic_stack 0
		.amdhsa_enable_private_segment 0
		.amdhsa_system_sgpr_workgroup_id_x 1
		.amdhsa_system_sgpr_workgroup_id_y 0
		.amdhsa_system_sgpr_workgroup_id_z 0
		.amdhsa_system_sgpr_workgroup_info 0
		.amdhsa_system_vgpr_workitem_id 0
		.amdhsa_next_free_vgpr 1
		.amdhsa_next_free_sgpr 0
		.amdhsa_accum_offset 4
		.amdhsa_reserve_vcc 0
		.amdhsa_float_round_mode_32 0
		.amdhsa_float_round_mode_16_64 0
		.amdhsa_float_denorm_mode_32 3
		.amdhsa_float_denorm_mode_16_64 3
		.amdhsa_dx10_clamp 1
		.amdhsa_ieee_mode 1
		.amdhsa_fp16_overflow 0
		.amdhsa_tg_split 0
		.amdhsa_exception_fp_ieee_invalid_op 0
		.amdhsa_exception_fp_denorm_src 0
		.amdhsa_exception_fp_ieee_div_zero 0
		.amdhsa_exception_fp_ieee_overflow 0
		.amdhsa_exception_fp_ieee_underflow 0
		.amdhsa_exception_fp_ieee_inexact 0
		.amdhsa_exception_int_div_zero 0
	.end_amdhsa_kernel
	.section	.text._ZN7rocprim17ROCPRIM_400000_NS6detail17trampoline_kernelINS0_14default_configENS1_25partition_config_selectorILNS1_17partition_subalgoE2EsNS0_10empty_typeEbEEZZNS1_14partition_implILS5_2ELb0ES3_jN6thrust23THRUST_200600_302600_NS6detail15normal_iteratorINSA_7pointerIsNSA_11hip_rocprim3tagENSA_11use_defaultESG_EEEEPS6_NSA_18transform_iteratorI7is_evenIsENSC_INSA_10device_ptrIsEEEESG_SG_EENS0_5tupleIJPsSJ_EEENSR_IJSJ_SJ_EEES6_PlJS6_EEE10hipError_tPvRmT3_T4_T5_T6_T7_T9_mT8_P12ihipStream_tbDpT10_ENKUlT_T0_E_clISt17integral_constantIbLb0EES1F_EEDaS1A_S1B_EUlS1A_E_NS1_11comp_targetILNS1_3genE2ELNS1_11target_archE906ELNS1_3gpuE6ELNS1_3repE0EEENS1_30default_config_static_selectorELNS0_4arch9wavefront6targetE1EEEvT1_,"axG",@progbits,_ZN7rocprim17ROCPRIM_400000_NS6detail17trampoline_kernelINS0_14default_configENS1_25partition_config_selectorILNS1_17partition_subalgoE2EsNS0_10empty_typeEbEEZZNS1_14partition_implILS5_2ELb0ES3_jN6thrust23THRUST_200600_302600_NS6detail15normal_iteratorINSA_7pointerIsNSA_11hip_rocprim3tagENSA_11use_defaultESG_EEEEPS6_NSA_18transform_iteratorI7is_evenIsENSC_INSA_10device_ptrIsEEEESG_SG_EENS0_5tupleIJPsSJ_EEENSR_IJSJ_SJ_EEES6_PlJS6_EEE10hipError_tPvRmT3_T4_T5_T6_T7_T9_mT8_P12ihipStream_tbDpT10_ENKUlT_T0_E_clISt17integral_constantIbLb0EES1F_EEDaS1A_S1B_EUlS1A_E_NS1_11comp_targetILNS1_3genE2ELNS1_11target_archE906ELNS1_3gpuE6ELNS1_3repE0EEENS1_30default_config_static_selectorELNS0_4arch9wavefront6targetE1EEEvT1_,comdat
.Lfunc_end260:
	.size	_ZN7rocprim17ROCPRIM_400000_NS6detail17trampoline_kernelINS0_14default_configENS1_25partition_config_selectorILNS1_17partition_subalgoE2EsNS0_10empty_typeEbEEZZNS1_14partition_implILS5_2ELb0ES3_jN6thrust23THRUST_200600_302600_NS6detail15normal_iteratorINSA_7pointerIsNSA_11hip_rocprim3tagENSA_11use_defaultESG_EEEEPS6_NSA_18transform_iteratorI7is_evenIsENSC_INSA_10device_ptrIsEEEESG_SG_EENS0_5tupleIJPsSJ_EEENSR_IJSJ_SJ_EEES6_PlJS6_EEE10hipError_tPvRmT3_T4_T5_T6_T7_T9_mT8_P12ihipStream_tbDpT10_ENKUlT_T0_E_clISt17integral_constantIbLb0EES1F_EEDaS1A_S1B_EUlS1A_E_NS1_11comp_targetILNS1_3genE2ELNS1_11target_archE906ELNS1_3gpuE6ELNS1_3repE0EEENS1_30default_config_static_selectorELNS0_4arch9wavefront6targetE1EEEvT1_, .Lfunc_end260-_ZN7rocprim17ROCPRIM_400000_NS6detail17trampoline_kernelINS0_14default_configENS1_25partition_config_selectorILNS1_17partition_subalgoE2EsNS0_10empty_typeEbEEZZNS1_14partition_implILS5_2ELb0ES3_jN6thrust23THRUST_200600_302600_NS6detail15normal_iteratorINSA_7pointerIsNSA_11hip_rocprim3tagENSA_11use_defaultESG_EEEEPS6_NSA_18transform_iteratorI7is_evenIsENSC_INSA_10device_ptrIsEEEESG_SG_EENS0_5tupleIJPsSJ_EEENSR_IJSJ_SJ_EEES6_PlJS6_EEE10hipError_tPvRmT3_T4_T5_T6_T7_T9_mT8_P12ihipStream_tbDpT10_ENKUlT_T0_E_clISt17integral_constantIbLb0EES1F_EEDaS1A_S1B_EUlS1A_E_NS1_11comp_targetILNS1_3genE2ELNS1_11target_archE906ELNS1_3gpuE6ELNS1_3repE0EEENS1_30default_config_static_selectorELNS0_4arch9wavefront6targetE1EEEvT1_
                                        ; -- End function
	.section	.AMDGPU.csdata,"",@progbits
; Kernel info:
; codeLenInByte = 0
; NumSgprs: 6
; NumVgprs: 0
; NumAgprs: 0
; TotalNumVgprs: 0
; ScratchSize: 0
; MemoryBound: 0
; FloatMode: 240
; IeeeMode: 1
; LDSByteSize: 0 bytes/workgroup (compile time only)
; SGPRBlocks: 0
; VGPRBlocks: 0
; NumSGPRsForWavesPerEU: 6
; NumVGPRsForWavesPerEU: 1
; AccumOffset: 4
; Occupancy: 8
; WaveLimiterHint : 0
; COMPUTE_PGM_RSRC2:SCRATCH_EN: 0
; COMPUTE_PGM_RSRC2:USER_SGPR: 2
; COMPUTE_PGM_RSRC2:TRAP_HANDLER: 0
; COMPUTE_PGM_RSRC2:TGID_X_EN: 1
; COMPUTE_PGM_RSRC2:TGID_Y_EN: 0
; COMPUTE_PGM_RSRC2:TGID_Z_EN: 0
; COMPUTE_PGM_RSRC2:TIDIG_COMP_CNT: 0
; COMPUTE_PGM_RSRC3_GFX90A:ACCUM_OFFSET: 0
; COMPUTE_PGM_RSRC3_GFX90A:TG_SPLIT: 0
	.section	.text._ZN7rocprim17ROCPRIM_400000_NS6detail17trampoline_kernelINS0_14default_configENS1_25partition_config_selectorILNS1_17partition_subalgoE2EsNS0_10empty_typeEbEEZZNS1_14partition_implILS5_2ELb0ES3_jN6thrust23THRUST_200600_302600_NS6detail15normal_iteratorINSA_7pointerIsNSA_11hip_rocprim3tagENSA_11use_defaultESG_EEEEPS6_NSA_18transform_iteratorI7is_evenIsENSC_INSA_10device_ptrIsEEEESG_SG_EENS0_5tupleIJPsSJ_EEENSR_IJSJ_SJ_EEES6_PlJS6_EEE10hipError_tPvRmT3_T4_T5_T6_T7_T9_mT8_P12ihipStream_tbDpT10_ENKUlT_T0_E_clISt17integral_constantIbLb0EES1F_EEDaS1A_S1B_EUlS1A_E_NS1_11comp_targetILNS1_3genE10ELNS1_11target_archE1200ELNS1_3gpuE4ELNS1_3repE0EEENS1_30default_config_static_selectorELNS0_4arch9wavefront6targetE1EEEvT1_,"axG",@progbits,_ZN7rocprim17ROCPRIM_400000_NS6detail17trampoline_kernelINS0_14default_configENS1_25partition_config_selectorILNS1_17partition_subalgoE2EsNS0_10empty_typeEbEEZZNS1_14partition_implILS5_2ELb0ES3_jN6thrust23THRUST_200600_302600_NS6detail15normal_iteratorINSA_7pointerIsNSA_11hip_rocprim3tagENSA_11use_defaultESG_EEEEPS6_NSA_18transform_iteratorI7is_evenIsENSC_INSA_10device_ptrIsEEEESG_SG_EENS0_5tupleIJPsSJ_EEENSR_IJSJ_SJ_EEES6_PlJS6_EEE10hipError_tPvRmT3_T4_T5_T6_T7_T9_mT8_P12ihipStream_tbDpT10_ENKUlT_T0_E_clISt17integral_constantIbLb0EES1F_EEDaS1A_S1B_EUlS1A_E_NS1_11comp_targetILNS1_3genE10ELNS1_11target_archE1200ELNS1_3gpuE4ELNS1_3repE0EEENS1_30default_config_static_selectorELNS0_4arch9wavefront6targetE1EEEvT1_,comdat
	.protected	_ZN7rocprim17ROCPRIM_400000_NS6detail17trampoline_kernelINS0_14default_configENS1_25partition_config_selectorILNS1_17partition_subalgoE2EsNS0_10empty_typeEbEEZZNS1_14partition_implILS5_2ELb0ES3_jN6thrust23THRUST_200600_302600_NS6detail15normal_iteratorINSA_7pointerIsNSA_11hip_rocprim3tagENSA_11use_defaultESG_EEEEPS6_NSA_18transform_iteratorI7is_evenIsENSC_INSA_10device_ptrIsEEEESG_SG_EENS0_5tupleIJPsSJ_EEENSR_IJSJ_SJ_EEES6_PlJS6_EEE10hipError_tPvRmT3_T4_T5_T6_T7_T9_mT8_P12ihipStream_tbDpT10_ENKUlT_T0_E_clISt17integral_constantIbLb0EES1F_EEDaS1A_S1B_EUlS1A_E_NS1_11comp_targetILNS1_3genE10ELNS1_11target_archE1200ELNS1_3gpuE4ELNS1_3repE0EEENS1_30default_config_static_selectorELNS0_4arch9wavefront6targetE1EEEvT1_ ; -- Begin function _ZN7rocprim17ROCPRIM_400000_NS6detail17trampoline_kernelINS0_14default_configENS1_25partition_config_selectorILNS1_17partition_subalgoE2EsNS0_10empty_typeEbEEZZNS1_14partition_implILS5_2ELb0ES3_jN6thrust23THRUST_200600_302600_NS6detail15normal_iteratorINSA_7pointerIsNSA_11hip_rocprim3tagENSA_11use_defaultESG_EEEEPS6_NSA_18transform_iteratorI7is_evenIsENSC_INSA_10device_ptrIsEEEESG_SG_EENS0_5tupleIJPsSJ_EEENSR_IJSJ_SJ_EEES6_PlJS6_EEE10hipError_tPvRmT3_T4_T5_T6_T7_T9_mT8_P12ihipStream_tbDpT10_ENKUlT_T0_E_clISt17integral_constantIbLb0EES1F_EEDaS1A_S1B_EUlS1A_E_NS1_11comp_targetILNS1_3genE10ELNS1_11target_archE1200ELNS1_3gpuE4ELNS1_3repE0EEENS1_30default_config_static_selectorELNS0_4arch9wavefront6targetE1EEEvT1_
	.globl	_ZN7rocprim17ROCPRIM_400000_NS6detail17trampoline_kernelINS0_14default_configENS1_25partition_config_selectorILNS1_17partition_subalgoE2EsNS0_10empty_typeEbEEZZNS1_14partition_implILS5_2ELb0ES3_jN6thrust23THRUST_200600_302600_NS6detail15normal_iteratorINSA_7pointerIsNSA_11hip_rocprim3tagENSA_11use_defaultESG_EEEEPS6_NSA_18transform_iteratorI7is_evenIsENSC_INSA_10device_ptrIsEEEESG_SG_EENS0_5tupleIJPsSJ_EEENSR_IJSJ_SJ_EEES6_PlJS6_EEE10hipError_tPvRmT3_T4_T5_T6_T7_T9_mT8_P12ihipStream_tbDpT10_ENKUlT_T0_E_clISt17integral_constantIbLb0EES1F_EEDaS1A_S1B_EUlS1A_E_NS1_11comp_targetILNS1_3genE10ELNS1_11target_archE1200ELNS1_3gpuE4ELNS1_3repE0EEENS1_30default_config_static_selectorELNS0_4arch9wavefront6targetE1EEEvT1_
	.p2align	8
	.type	_ZN7rocprim17ROCPRIM_400000_NS6detail17trampoline_kernelINS0_14default_configENS1_25partition_config_selectorILNS1_17partition_subalgoE2EsNS0_10empty_typeEbEEZZNS1_14partition_implILS5_2ELb0ES3_jN6thrust23THRUST_200600_302600_NS6detail15normal_iteratorINSA_7pointerIsNSA_11hip_rocprim3tagENSA_11use_defaultESG_EEEEPS6_NSA_18transform_iteratorI7is_evenIsENSC_INSA_10device_ptrIsEEEESG_SG_EENS0_5tupleIJPsSJ_EEENSR_IJSJ_SJ_EEES6_PlJS6_EEE10hipError_tPvRmT3_T4_T5_T6_T7_T9_mT8_P12ihipStream_tbDpT10_ENKUlT_T0_E_clISt17integral_constantIbLb0EES1F_EEDaS1A_S1B_EUlS1A_E_NS1_11comp_targetILNS1_3genE10ELNS1_11target_archE1200ELNS1_3gpuE4ELNS1_3repE0EEENS1_30default_config_static_selectorELNS0_4arch9wavefront6targetE1EEEvT1_,@function
_ZN7rocprim17ROCPRIM_400000_NS6detail17trampoline_kernelINS0_14default_configENS1_25partition_config_selectorILNS1_17partition_subalgoE2EsNS0_10empty_typeEbEEZZNS1_14partition_implILS5_2ELb0ES3_jN6thrust23THRUST_200600_302600_NS6detail15normal_iteratorINSA_7pointerIsNSA_11hip_rocprim3tagENSA_11use_defaultESG_EEEEPS6_NSA_18transform_iteratorI7is_evenIsENSC_INSA_10device_ptrIsEEEESG_SG_EENS0_5tupleIJPsSJ_EEENSR_IJSJ_SJ_EEES6_PlJS6_EEE10hipError_tPvRmT3_T4_T5_T6_T7_T9_mT8_P12ihipStream_tbDpT10_ENKUlT_T0_E_clISt17integral_constantIbLb0EES1F_EEDaS1A_S1B_EUlS1A_E_NS1_11comp_targetILNS1_3genE10ELNS1_11target_archE1200ELNS1_3gpuE4ELNS1_3repE0EEENS1_30default_config_static_selectorELNS0_4arch9wavefront6targetE1EEEvT1_: ; @_ZN7rocprim17ROCPRIM_400000_NS6detail17trampoline_kernelINS0_14default_configENS1_25partition_config_selectorILNS1_17partition_subalgoE2EsNS0_10empty_typeEbEEZZNS1_14partition_implILS5_2ELb0ES3_jN6thrust23THRUST_200600_302600_NS6detail15normal_iteratorINSA_7pointerIsNSA_11hip_rocprim3tagENSA_11use_defaultESG_EEEEPS6_NSA_18transform_iteratorI7is_evenIsENSC_INSA_10device_ptrIsEEEESG_SG_EENS0_5tupleIJPsSJ_EEENSR_IJSJ_SJ_EEES6_PlJS6_EEE10hipError_tPvRmT3_T4_T5_T6_T7_T9_mT8_P12ihipStream_tbDpT10_ENKUlT_T0_E_clISt17integral_constantIbLb0EES1F_EEDaS1A_S1B_EUlS1A_E_NS1_11comp_targetILNS1_3genE10ELNS1_11target_archE1200ELNS1_3gpuE4ELNS1_3repE0EEENS1_30default_config_static_selectorELNS0_4arch9wavefront6targetE1EEEvT1_
; %bb.0:
	.section	.rodata,"a",@progbits
	.p2align	6, 0x0
	.amdhsa_kernel _ZN7rocprim17ROCPRIM_400000_NS6detail17trampoline_kernelINS0_14default_configENS1_25partition_config_selectorILNS1_17partition_subalgoE2EsNS0_10empty_typeEbEEZZNS1_14partition_implILS5_2ELb0ES3_jN6thrust23THRUST_200600_302600_NS6detail15normal_iteratorINSA_7pointerIsNSA_11hip_rocprim3tagENSA_11use_defaultESG_EEEEPS6_NSA_18transform_iteratorI7is_evenIsENSC_INSA_10device_ptrIsEEEESG_SG_EENS0_5tupleIJPsSJ_EEENSR_IJSJ_SJ_EEES6_PlJS6_EEE10hipError_tPvRmT3_T4_T5_T6_T7_T9_mT8_P12ihipStream_tbDpT10_ENKUlT_T0_E_clISt17integral_constantIbLb0EES1F_EEDaS1A_S1B_EUlS1A_E_NS1_11comp_targetILNS1_3genE10ELNS1_11target_archE1200ELNS1_3gpuE4ELNS1_3repE0EEENS1_30default_config_static_selectorELNS0_4arch9wavefront6targetE1EEEvT1_
		.amdhsa_group_segment_fixed_size 0
		.amdhsa_private_segment_fixed_size 0
		.amdhsa_kernarg_size 128
		.amdhsa_user_sgpr_count 2
		.amdhsa_user_sgpr_dispatch_ptr 0
		.amdhsa_user_sgpr_queue_ptr 0
		.amdhsa_user_sgpr_kernarg_segment_ptr 1
		.amdhsa_user_sgpr_dispatch_id 0
		.amdhsa_user_sgpr_kernarg_preload_length 0
		.amdhsa_user_sgpr_kernarg_preload_offset 0
		.amdhsa_user_sgpr_private_segment_size 0
		.amdhsa_uses_dynamic_stack 0
		.amdhsa_enable_private_segment 0
		.amdhsa_system_sgpr_workgroup_id_x 1
		.amdhsa_system_sgpr_workgroup_id_y 0
		.amdhsa_system_sgpr_workgroup_id_z 0
		.amdhsa_system_sgpr_workgroup_info 0
		.amdhsa_system_vgpr_workitem_id 0
		.amdhsa_next_free_vgpr 1
		.amdhsa_next_free_sgpr 0
		.amdhsa_accum_offset 4
		.amdhsa_reserve_vcc 0
		.amdhsa_float_round_mode_32 0
		.amdhsa_float_round_mode_16_64 0
		.amdhsa_float_denorm_mode_32 3
		.amdhsa_float_denorm_mode_16_64 3
		.amdhsa_dx10_clamp 1
		.amdhsa_ieee_mode 1
		.amdhsa_fp16_overflow 0
		.amdhsa_tg_split 0
		.amdhsa_exception_fp_ieee_invalid_op 0
		.amdhsa_exception_fp_denorm_src 0
		.amdhsa_exception_fp_ieee_div_zero 0
		.amdhsa_exception_fp_ieee_overflow 0
		.amdhsa_exception_fp_ieee_underflow 0
		.amdhsa_exception_fp_ieee_inexact 0
		.amdhsa_exception_int_div_zero 0
	.end_amdhsa_kernel
	.section	.text._ZN7rocprim17ROCPRIM_400000_NS6detail17trampoline_kernelINS0_14default_configENS1_25partition_config_selectorILNS1_17partition_subalgoE2EsNS0_10empty_typeEbEEZZNS1_14partition_implILS5_2ELb0ES3_jN6thrust23THRUST_200600_302600_NS6detail15normal_iteratorINSA_7pointerIsNSA_11hip_rocprim3tagENSA_11use_defaultESG_EEEEPS6_NSA_18transform_iteratorI7is_evenIsENSC_INSA_10device_ptrIsEEEESG_SG_EENS0_5tupleIJPsSJ_EEENSR_IJSJ_SJ_EEES6_PlJS6_EEE10hipError_tPvRmT3_T4_T5_T6_T7_T9_mT8_P12ihipStream_tbDpT10_ENKUlT_T0_E_clISt17integral_constantIbLb0EES1F_EEDaS1A_S1B_EUlS1A_E_NS1_11comp_targetILNS1_3genE10ELNS1_11target_archE1200ELNS1_3gpuE4ELNS1_3repE0EEENS1_30default_config_static_selectorELNS0_4arch9wavefront6targetE1EEEvT1_,"axG",@progbits,_ZN7rocprim17ROCPRIM_400000_NS6detail17trampoline_kernelINS0_14default_configENS1_25partition_config_selectorILNS1_17partition_subalgoE2EsNS0_10empty_typeEbEEZZNS1_14partition_implILS5_2ELb0ES3_jN6thrust23THRUST_200600_302600_NS6detail15normal_iteratorINSA_7pointerIsNSA_11hip_rocprim3tagENSA_11use_defaultESG_EEEEPS6_NSA_18transform_iteratorI7is_evenIsENSC_INSA_10device_ptrIsEEEESG_SG_EENS0_5tupleIJPsSJ_EEENSR_IJSJ_SJ_EEES6_PlJS6_EEE10hipError_tPvRmT3_T4_T5_T6_T7_T9_mT8_P12ihipStream_tbDpT10_ENKUlT_T0_E_clISt17integral_constantIbLb0EES1F_EEDaS1A_S1B_EUlS1A_E_NS1_11comp_targetILNS1_3genE10ELNS1_11target_archE1200ELNS1_3gpuE4ELNS1_3repE0EEENS1_30default_config_static_selectorELNS0_4arch9wavefront6targetE1EEEvT1_,comdat
.Lfunc_end261:
	.size	_ZN7rocprim17ROCPRIM_400000_NS6detail17trampoline_kernelINS0_14default_configENS1_25partition_config_selectorILNS1_17partition_subalgoE2EsNS0_10empty_typeEbEEZZNS1_14partition_implILS5_2ELb0ES3_jN6thrust23THRUST_200600_302600_NS6detail15normal_iteratorINSA_7pointerIsNSA_11hip_rocprim3tagENSA_11use_defaultESG_EEEEPS6_NSA_18transform_iteratorI7is_evenIsENSC_INSA_10device_ptrIsEEEESG_SG_EENS0_5tupleIJPsSJ_EEENSR_IJSJ_SJ_EEES6_PlJS6_EEE10hipError_tPvRmT3_T4_T5_T6_T7_T9_mT8_P12ihipStream_tbDpT10_ENKUlT_T0_E_clISt17integral_constantIbLb0EES1F_EEDaS1A_S1B_EUlS1A_E_NS1_11comp_targetILNS1_3genE10ELNS1_11target_archE1200ELNS1_3gpuE4ELNS1_3repE0EEENS1_30default_config_static_selectorELNS0_4arch9wavefront6targetE1EEEvT1_, .Lfunc_end261-_ZN7rocprim17ROCPRIM_400000_NS6detail17trampoline_kernelINS0_14default_configENS1_25partition_config_selectorILNS1_17partition_subalgoE2EsNS0_10empty_typeEbEEZZNS1_14partition_implILS5_2ELb0ES3_jN6thrust23THRUST_200600_302600_NS6detail15normal_iteratorINSA_7pointerIsNSA_11hip_rocprim3tagENSA_11use_defaultESG_EEEEPS6_NSA_18transform_iteratorI7is_evenIsENSC_INSA_10device_ptrIsEEEESG_SG_EENS0_5tupleIJPsSJ_EEENSR_IJSJ_SJ_EEES6_PlJS6_EEE10hipError_tPvRmT3_T4_T5_T6_T7_T9_mT8_P12ihipStream_tbDpT10_ENKUlT_T0_E_clISt17integral_constantIbLb0EES1F_EEDaS1A_S1B_EUlS1A_E_NS1_11comp_targetILNS1_3genE10ELNS1_11target_archE1200ELNS1_3gpuE4ELNS1_3repE0EEENS1_30default_config_static_selectorELNS0_4arch9wavefront6targetE1EEEvT1_
                                        ; -- End function
	.section	.AMDGPU.csdata,"",@progbits
; Kernel info:
; codeLenInByte = 0
; NumSgprs: 6
; NumVgprs: 0
; NumAgprs: 0
; TotalNumVgprs: 0
; ScratchSize: 0
; MemoryBound: 0
; FloatMode: 240
; IeeeMode: 1
; LDSByteSize: 0 bytes/workgroup (compile time only)
; SGPRBlocks: 0
; VGPRBlocks: 0
; NumSGPRsForWavesPerEU: 6
; NumVGPRsForWavesPerEU: 1
; AccumOffset: 4
; Occupancy: 8
; WaveLimiterHint : 0
; COMPUTE_PGM_RSRC2:SCRATCH_EN: 0
; COMPUTE_PGM_RSRC2:USER_SGPR: 2
; COMPUTE_PGM_RSRC2:TRAP_HANDLER: 0
; COMPUTE_PGM_RSRC2:TGID_X_EN: 1
; COMPUTE_PGM_RSRC2:TGID_Y_EN: 0
; COMPUTE_PGM_RSRC2:TGID_Z_EN: 0
; COMPUTE_PGM_RSRC2:TIDIG_COMP_CNT: 0
; COMPUTE_PGM_RSRC3_GFX90A:ACCUM_OFFSET: 0
; COMPUTE_PGM_RSRC3_GFX90A:TG_SPLIT: 0
	.section	.text._ZN7rocprim17ROCPRIM_400000_NS6detail17trampoline_kernelINS0_14default_configENS1_25partition_config_selectorILNS1_17partition_subalgoE2EsNS0_10empty_typeEbEEZZNS1_14partition_implILS5_2ELb0ES3_jN6thrust23THRUST_200600_302600_NS6detail15normal_iteratorINSA_7pointerIsNSA_11hip_rocprim3tagENSA_11use_defaultESG_EEEEPS6_NSA_18transform_iteratorI7is_evenIsENSC_INSA_10device_ptrIsEEEESG_SG_EENS0_5tupleIJPsSJ_EEENSR_IJSJ_SJ_EEES6_PlJS6_EEE10hipError_tPvRmT3_T4_T5_T6_T7_T9_mT8_P12ihipStream_tbDpT10_ENKUlT_T0_E_clISt17integral_constantIbLb0EES1F_EEDaS1A_S1B_EUlS1A_E_NS1_11comp_targetILNS1_3genE9ELNS1_11target_archE1100ELNS1_3gpuE3ELNS1_3repE0EEENS1_30default_config_static_selectorELNS0_4arch9wavefront6targetE1EEEvT1_,"axG",@progbits,_ZN7rocprim17ROCPRIM_400000_NS6detail17trampoline_kernelINS0_14default_configENS1_25partition_config_selectorILNS1_17partition_subalgoE2EsNS0_10empty_typeEbEEZZNS1_14partition_implILS5_2ELb0ES3_jN6thrust23THRUST_200600_302600_NS6detail15normal_iteratorINSA_7pointerIsNSA_11hip_rocprim3tagENSA_11use_defaultESG_EEEEPS6_NSA_18transform_iteratorI7is_evenIsENSC_INSA_10device_ptrIsEEEESG_SG_EENS0_5tupleIJPsSJ_EEENSR_IJSJ_SJ_EEES6_PlJS6_EEE10hipError_tPvRmT3_T4_T5_T6_T7_T9_mT8_P12ihipStream_tbDpT10_ENKUlT_T0_E_clISt17integral_constantIbLb0EES1F_EEDaS1A_S1B_EUlS1A_E_NS1_11comp_targetILNS1_3genE9ELNS1_11target_archE1100ELNS1_3gpuE3ELNS1_3repE0EEENS1_30default_config_static_selectorELNS0_4arch9wavefront6targetE1EEEvT1_,comdat
	.protected	_ZN7rocprim17ROCPRIM_400000_NS6detail17trampoline_kernelINS0_14default_configENS1_25partition_config_selectorILNS1_17partition_subalgoE2EsNS0_10empty_typeEbEEZZNS1_14partition_implILS5_2ELb0ES3_jN6thrust23THRUST_200600_302600_NS6detail15normal_iteratorINSA_7pointerIsNSA_11hip_rocprim3tagENSA_11use_defaultESG_EEEEPS6_NSA_18transform_iteratorI7is_evenIsENSC_INSA_10device_ptrIsEEEESG_SG_EENS0_5tupleIJPsSJ_EEENSR_IJSJ_SJ_EEES6_PlJS6_EEE10hipError_tPvRmT3_T4_T5_T6_T7_T9_mT8_P12ihipStream_tbDpT10_ENKUlT_T0_E_clISt17integral_constantIbLb0EES1F_EEDaS1A_S1B_EUlS1A_E_NS1_11comp_targetILNS1_3genE9ELNS1_11target_archE1100ELNS1_3gpuE3ELNS1_3repE0EEENS1_30default_config_static_selectorELNS0_4arch9wavefront6targetE1EEEvT1_ ; -- Begin function _ZN7rocprim17ROCPRIM_400000_NS6detail17trampoline_kernelINS0_14default_configENS1_25partition_config_selectorILNS1_17partition_subalgoE2EsNS0_10empty_typeEbEEZZNS1_14partition_implILS5_2ELb0ES3_jN6thrust23THRUST_200600_302600_NS6detail15normal_iteratorINSA_7pointerIsNSA_11hip_rocprim3tagENSA_11use_defaultESG_EEEEPS6_NSA_18transform_iteratorI7is_evenIsENSC_INSA_10device_ptrIsEEEESG_SG_EENS0_5tupleIJPsSJ_EEENSR_IJSJ_SJ_EEES6_PlJS6_EEE10hipError_tPvRmT3_T4_T5_T6_T7_T9_mT8_P12ihipStream_tbDpT10_ENKUlT_T0_E_clISt17integral_constantIbLb0EES1F_EEDaS1A_S1B_EUlS1A_E_NS1_11comp_targetILNS1_3genE9ELNS1_11target_archE1100ELNS1_3gpuE3ELNS1_3repE0EEENS1_30default_config_static_selectorELNS0_4arch9wavefront6targetE1EEEvT1_
	.globl	_ZN7rocprim17ROCPRIM_400000_NS6detail17trampoline_kernelINS0_14default_configENS1_25partition_config_selectorILNS1_17partition_subalgoE2EsNS0_10empty_typeEbEEZZNS1_14partition_implILS5_2ELb0ES3_jN6thrust23THRUST_200600_302600_NS6detail15normal_iteratorINSA_7pointerIsNSA_11hip_rocprim3tagENSA_11use_defaultESG_EEEEPS6_NSA_18transform_iteratorI7is_evenIsENSC_INSA_10device_ptrIsEEEESG_SG_EENS0_5tupleIJPsSJ_EEENSR_IJSJ_SJ_EEES6_PlJS6_EEE10hipError_tPvRmT3_T4_T5_T6_T7_T9_mT8_P12ihipStream_tbDpT10_ENKUlT_T0_E_clISt17integral_constantIbLb0EES1F_EEDaS1A_S1B_EUlS1A_E_NS1_11comp_targetILNS1_3genE9ELNS1_11target_archE1100ELNS1_3gpuE3ELNS1_3repE0EEENS1_30default_config_static_selectorELNS0_4arch9wavefront6targetE1EEEvT1_
	.p2align	8
	.type	_ZN7rocprim17ROCPRIM_400000_NS6detail17trampoline_kernelINS0_14default_configENS1_25partition_config_selectorILNS1_17partition_subalgoE2EsNS0_10empty_typeEbEEZZNS1_14partition_implILS5_2ELb0ES3_jN6thrust23THRUST_200600_302600_NS6detail15normal_iteratorINSA_7pointerIsNSA_11hip_rocprim3tagENSA_11use_defaultESG_EEEEPS6_NSA_18transform_iteratorI7is_evenIsENSC_INSA_10device_ptrIsEEEESG_SG_EENS0_5tupleIJPsSJ_EEENSR_IJSJ_SJ_EEES6_PlJS6_EEE10hipError_tPvRmT3_T4_T5_T6_T7_T9_mT8_P12ihipStream_tbDpT10_ENKUlT_T0_E_clISt17integral_constantIbLb0EES1F_EEDaS1A_S1B_EUlS1A_E_NS1_11comp_targetILNS1_3genE9ELNS1_11target_archE1100ELNS1_3gpuE3ELNS1_3repE0EEENS1_30default_config_static_selectorELNS0_4arch9wavefront6targetE1EEEvT1_,@function
_ZN7rocprim17ROCPRIM_400000_NS6detail17trampoline_kernelINS0_14default_configENS1_25partition_config_selectorILNS1_17partition_subalgoE2EsNS0_10empty_typeEbEEZZNS1_14partition_implILS5_2ELb0ES3_jN6thrust23THRUST_200600_302600_NS6detail15normal_iteratorINSA_7pointerIsNSA_11hip_rocprim3tagENSA_11use_defaultESG_EEEEPS6_NSA_18transform_iteratorI7is_evenIsENSC_INSA_10device_ptrIsEEEESG_SG_EENS0_5tupleIJPsSJ_EEENSR_IJSJ_SJ_EEES6_PlJS6_EEE10hipError_tPvRmT3_T4_T5_T6_T7_T9_mT8_P12ihipStream_tbDpT10_ENKUlT_T0_E_clISt17integral_constantIbLb0EES1F_EEDaS1A_S1B_EUlS1A_E_NS1_11comp_targetILNS1_3genE9ELNS1_11target_archE1100ELNS1_3gpuE3ELNS1_3repE0EEENS1_30default_config_static_selectorELNS0_4arch9wavefront6targetE1EEEvT1_: ; @_ZN7rocprim17ROCPRIM_400000_NS6detail17trampoline_kernelINS0_14default_configENS1_25partition_config_selectorILNS1_17partition_subalgoE2EsNS0_10empty_typeEbEEZZNS1_14partition_implILS5_2ELb0ES3_jN6thrust23THRUST_200600_302600_NS6detail15normal_iteratorINSA_7pointerIsNSA_11hip_rocprim3tagENSA_11use_defaultESG_EEEEPS6_NSA_18transform_iteratorI7is_evenIsENSC_INSA_10device_ptrIsEEEESG_SG_EENS0_5tupleIJPsSJ_EEENSR_IJSJ_SJ_EEES6_PlJS6_EEE10hipError_tPvRmT3_T4_T5_T6_T7_T9_mT8_P12ihipStream_tbDpT10_ENKUlT_T0_E_clISt17integral_constantIbLb0EES1F_EEDaS1A_S1B_EUlS1A_E_NS1_11comp_targetILNS1_3genE9ELNS1_11target_archE1100ELNS1_3gpuE3ELNS1_3repE0EEENS1_30default_config_static_selectorELNS0_4arch9wavefront6targetE1EEEvT1_
; %bb.0:
	.section	.rodata,"a",@progbits
	.p2align	6, 0x0
	.amdhsa_kernel _ZN7rocprim17ROCPRIM_400000_NS6detail17trampoline_kernelINS0_14default_configENS1_25partition_config_selectorILNS1_17partition_subalgoE2EsNS0_10empty_typeEbEEZZNS1_14partition_implILS5_2ELb0ES3_jN6thrust23THRUST_200600_302600_NS6detail15normal_iteratorINSA_7pointerIsNSA_11hip_rocprim3tagENSA_11use_defaultESG_EEEEPS6_NSA_18transform_iteratorI7is_evenIsENSC_INSA_10device_ptrIsEEEESG_SG_EENS0_5tupleIJPsSJ_EEENSR_IJSJ_SJ_EEES6_PlJS6_EEE10hipError_tPvRmT3_T4_T5_T6_T7_T9_mT8_P12ihipStream_tbDpT10_ENKUlT_T0_E_clISt17integral_constantIbLb0EES1F_EEDaS1A_S1B_EUlS1A_E_NS1_11comp_targetILNS1_3genE9ELNS1_11target_archE1100ELNS1_3gpuE3ELNS1_3repE0EEENS1_30default_config_static_selectorELNS0_4arch9wavefront6targetE1EEEvT1_
		.amdhsa_group_segment_fixed_size 0
		.amdhsa_private_segment_fixed_size 0
		.amdhsa_kernarg_size 128
		.amdhsa_user_sgpr_count 2
		.amdhsa_user_sgpr_dispatch_ptr 0
		.amdhsa_user_sgpr_queue_ptr 0
		.amdhsa_user_sgpr_kernarg_segment_ptr 1
		.amdhsa_user_sgpr_dispatch_id 0
		.amdhsa_user_sgpr_kernarg_preload_length 0
		.amdhsa_user_sgpr_kernarg_preload_offset 0
		.amdhsa_user_sgpr_private_segment_size 0
		.amdhsa_uses_dynamic_stack 0
		.amdhsa_enable_private_segment 0
		.amdhsa_system_sgpr_workgroup_id_x 1
		.amdhsa_system_sgpr_workgroup_id_y 0
		.amdhsa_system_sgpr_workgroup_id_z 0
		.amdhsa_system_sgpr_workgroup_info 0
		.amdhsa_system_vgpr_workitem_id 0
		.amdhsa_next_free_vgpr 1
		.amdhsa_next_free_sgpr 0
		.amdhsa_accum_offset 4
		.amdhsa_reserve_vcc 0
		.amdhsa_float_round_mode_32 0
		.amdhsa_float_round_mode_16_64 0
		.amdhsa_float_denorm_mode_32 3
		.amdhsa_float_denorm_mode_16_64 3
		.amdhsa_dx10_clamp 1
		.amdhsa_ieee_mode 1
		.amdhsa_fp16_overflow 0
		.amdhsa_tg_split 0
		.amdhsa_exception_fp_ieee_invalid_op 0
		.amdhsa_exception_fp_denorm_src 0
		.amdhsa_exception_fp_ieee_div_zero 0
		.amdhsa_exception_fp_ieee_overflow 0
		.amdhsa_exception_fp_ieee_underflow 0
		.amdhsa_exception_fp_ieee_inexact 0
		.amdhsa_exception_int_div_zero 0
	.end_amdhsa_kernel
	.section	.text._ZN7rocprim17ROCPRIM_400000_NS6detail17trampoline_kernelINS0_14default_configENS1_25partition_config_selectorILNS1_17partition_subalgoE2EsNS0_10empty_typeEbEEZZNS1_14partition_implILS5_2ELb0ES3_jN6thrust23THRUST_200600_302600_NS6detail15normal_iteratorINSA_7pointerIsNSA_11hip_rocprim3tagENSA_11use_defaultESG_EEEEPS6_NSA_18transform_iteratorI7is_evenIsENSC_INSA_10device_ptrIsEEEESG_SG_EENS0_5tupleIJPsSJ_EEENSR_IJSJ_SJ_EEES6_PlJS6_EEE10hipError_tPvRmT3_T4_T5_T6_T7_T9_mT8_P12ihipStream_tbDpT10_ENKUlT_T0_E_clISt17integral_constantIbLb0EES1F_EEDaS1A_S1B_EUlS1A_E_NS1_11comp_targetILNS1_3genE9ELNS1_11target_archE1100ELNS1_3gpuE3ELNS1_3repE0EEENS1_30default_config_static_selectorELNS0_4arch9wavefront6targetE1EEEvT1_,"axG",@progbits,_ZN7rocprim17ROCPRIM_400000_NS6detail17trampoline_kernelINS0_14default_configENS1_25partition_config_selectorILNS1_17partition_subalgoE2EsNS0_10empty_typeEbEEZZNS1_14partition_implILS5_2ELb0ES3_jN6thrust23THRUST_200600_302600_NS6detail15normal_iteratorINSA_7pointerIsNSA_11hip_rocprim3tagENSA_11use_defaultESG_EEEEPS6_NSA_18transform_iteratorI7is_evenIsENSC_INSA_10device_ptrIsEEEESG_SG_EENS0_5tupleIJPsSJ_EEENSR_IJSJ_SJ_EEES6_PlJS6_EEE10hipError_tPvRmT3_T4_T5_T6_T7_T9_mT8_P12ihipStream_tbDpT10_ENKUlT_T0_E_clISt17integral_constantIbLb0EES1F_EEDaS1A_S1B_EUlS1A_E_NS1_11comp_targetILNS1_3genE9ELNS1_11target_archE1100ELNS1_3gpuE3ELNS1_3repE0EEENS1_30default_config_static_selectorELNS0_4arch9wavefront6targetE1EEEvT1_,comdat
.Lfunc_end262:
	.size	_ZN7rocprim17ROCPRIM_400000_NS6detail17trampoline_kernelINS0_14default_configENS1_25partition_config_selectorILNS1_17partition_subalgoE2EsNS0_10empty_typeEbEEZZNS1_14partition_implILS5_2ELb0ES3_jN6thrust23THRUST_200600_302600_NS6detail15normal_iteratorINSA_7pointerIsNSA_11hip_rocprim3tagENSA_11use_defaultESG_EEEEPS6_NSA_18transform_iteratorI7is_evenIsENSC_INSA_10device_ptrIsEEEESG_SG_EENS0_5tupleIJPsSJ_EEENSR_IJSJ_SJ_EEES6_PlJS6_EEE10hipError_tPvRmT3_T4_T5_T6_T7_T9_mT8_P12ihipStream_tbDpT10_ENKUlT_T0_E_clISt17integral_constantIbLb0EES1F_EEDaS1A_S1B_EUlS1A_E_NS1_11comp_targetILNS1_3genE9ELNS1_11target_archE1100ELNS1_3gpuE3ELNS1_3repE0EEENS1_30default_config_static_selectorELNS0_4arch9wavefront6targetE1EEEvT1_, .Lfunc_end262-_ZN7rocprim17ROCPRIM_400000_NS6detail17trampoline_kernelINS0_14default_configENS1_25partition_config_selectorILNS1_17partition_subalgoE2EsNS0_10empty_typeEbEEZZNS1_14partition_implILS5_2ELb0ES3_jN6thrust23THRUST_200600_302600_NS6detail15normal_iteratorINSA_7pointerIsNSA_11hip_rocprim3tagENSA_11use_defaultESG_EEEEPS6_NSA_18transform_iteratorI7is_evenIsENSC_INSA_10device_ptrIsEEEESG_SG_EENS0_5tupleIJPsSJ_EEENSR_IJSJ_SJ_EEES6_PlJS6_EEE10hipError_tPvRmT3_T4_T5_T6_T7_T9_mT8_P12ihipStream_tbDpT10_ENKUlT_T0_E_clISt17integral_constantIbLb0EES1F_EEDaS1A_S1B_EUlS1A_E_NS1_11comp_targetILNS1_3genE9ELNS1_11target_archE1100ELNS1_3gpuE3ELNS1_3repE0EEENS1_30default_config_static_selectorELNS0_4arch9wavefront6targetE1EEEvT1_
                                        ; -- End function
	.section	.AMDGPU.csdata,"",@progbits
; Kernel info:
; codeLenInByte = 0
; NumSgprs: 6
; NumVgprs: 0
; NumAgprs: 0
; TotalNumVgprs: 0
; ScratchSize: 0
; MemoryBound: 0
; FloatMode: 240
; IeeeMode: 1
; LDSByteSize: 0 bytes/workgroup (compile time only)
; SGPRBlocks: 0
; VGPRBlocks: 0
; NumSGPRsForWavesPerEU: 6
; NumVGPRsForWavesPerEU: 1
; AccumOffset: 4
; Occupancy: 8
; WaveLimiterHint : 0
; COMPUTE_PGM_RSRC2:SCRATCH_EN: 0
; COMPUTE_PGM_RSRC2:USER_SGPR: 2
; COMPUTE_PGM_RSRC2:TRAP_HANDLER: 0
; COMPUTE_PGM_RSRC2:TGID_X_EN: 1
; COMPUTE_PGM_RSRC2:TGID_Y_EN: 0
; COMPUTE_PGM_RSRC2:TGID_Z_EN: 0
; COMPUTE_PGM_RSRC2:TIDIG_COMP_CNT: 0
; COMPUTE_PGM_RSRC3_GFX90A:ACCUM_OFFSET: 0
; COMPUTE_PGM_RSRC3_GFX90A:TG_SPLIT: 0
	.section	.text._ZN7rocprim17ROCPRIM_400000_NS6detail17trampoline_kernelINS0_14default_configENS1_25partition_config_selectorILNS1_17partition_subalgoE2EsNS0_10empty_typeEbEEZZNS1_14partition_implILS5_2ELb0ES3_jN6thrust23THRUST_200600_302600_NS6detail15normal_iteratorINSA_7pointerIsNSA_11hip_rocprim3tagENSA_11use_defaultESG_EEEEPS6_NSA_18transform_iteratorI7is_evenIsENSC_INSA_10device_ptrIsEEEESG_SG_EENS0_5tupleIJPsSJ_EEENSR_IJSJ_SJ_EEES6_PlJS6_EEE10hipError_tPvRmT3_T4_T5_T6_T7_T9_mT8_P12ihipStream_tbDpT10_ENKUlT_T0_E_clISt17integral_constantIbLb0EES1F_EEDaS1A_S1B_EUlS1A_E_NS1_11comp_targetILNS1_3genE8ELNS1_11target_archE1030ELNS1_3gpuE2ELNS1_3repE0EEENS1_30default_config_static_selectorELNS0_4arch9wavefront6targetE1EEEvT1_,"axG",@progbits,_ZN7rocprim17ROCPRIM_400000_NS6detail17trampoline_kernelINS0_14default_configENS1_25partition_config_selectorILNS1_17partition_subalgoE2EsNS0_10empty_typeEbEEZZNS1_14partition_implILS5_2ELb0ES3_jN6thrust23THRUST_200600_302600_NS6detail15normal_iteratorINSA_7pointerIsNSA_11hip_rocprim3tagENSA_11use_defaultESG_EEEEPS6_NSA_18transform_iteratorI7is_evenIsENSC_INSA_10device_ptrIsEEEESG_SG_EENS0_5tupleIJPsSJ_EEENSR_IJSJ_SJ_EEES6_PlJS6_EEE10hipError_tPvRmT3_T4_T5_T6_T7_T9_mT8_P12ihipStream_tbDpT10_ENKUlT_T0_E_clISt17integral_constantIbLb0EES1F_EEDaS1A_S1B_EUlS1A_E_NS1_11comp_targetILNS1_3genE8ELNS1_11target_archE1030ELNS1_3gpuE2ELNS1_3repE0EEENS1_30default_config_static_selectorELNS0_4arch9wavefront6targetE1EEEvT1_,comdat
	.protected	_ZN7rocprim17ROCPRIM_400000_NS6detail17trampoline_kernelINS0_14default_configENS1_25partition_config_selectorILNS1_17partition_subalgoE2EsNS0_10empty_typeEbEEZZNS1_14partition_implILS5_2ELb0ES3_jN6thrust23THRUST_200600_302600_NS6detail15normal_iteratorINSA_7pointerIsNSA_11hip_rocprim3tagENSA_11use_defaultESG_EEEEPS6_NSA_18transform_iteratorI7is_evenIsENSC_INSA_10device_ptrIsEEEESG_SG_EENS0_5tupleIJPsSJ_EEENSR_IJSJ_SJ_EEES6_PlJS6_EEE10hipError_tPvRmT3_T4_T5_T6_T7_T9_mT8_P12ihipStream_tbDpT10_ENKUlT_T0_E_clISt17integral_constantIbLb0EES1F_EEDaS1A_S1B_EUlS1A_E_NS1_11comp_targetILNS1_3genE8ELNS1_11target_archE1030ELNS1_3gpuE2ELNS1_3repE0EEENS1_30default_config_static_selectorELNS0_4arch9wavefront6targetE1EEEvT1_ ; -- Begin function _ZN7rocprim17ROCPRIM_400000_NS6detail17trampoline_kernelINS0_14default_configENS1_25partition_config_selectorILNS1_17partition_subalgoE2EsNS0_10empty_typeEbEEZZNS1_14partition_implILS5_2ELb0ES3_jN6thrust23THRUST_200600_302600_NS6detail15normal_iteratorINSA_7pointerIsNSA_11hip_rocprim3tagENSA_11use_defaultESG_EEEEPS6_NSA_18transform_iteratorI7is_evenIsENSC_INSA_10device_ptrIsEEEESG_SG_EENS0_5tupleIJPsSJ_EEENSR_IJSJ_SJ_EEES6_PlJS6_EEE10hipError_tPvRmT3_T4_T5_T6_T7_T9_mT8_P12ihipStream_tbDpT10_ENKUlT_T0_E_clISt17integral_constantIbLb0EES1F_EEDaS1A_S1B_EUlS1A_E_NS1_11comp_targetILNS1_3genE8ELNS1_11target_archE1030ELNS1_3gpuE2ELNS1_3repE0EEENS1_30default_config_static_selectorELNS0_4arch9wavefront6targetE1EEEvT1_
	.globl	_ZN7rocprim17ROCPRIM_400000_NS6detail17trampoline_kernelINS0_14default_configENS1_25partition_config_selectorILNS1_17partition_subalgoE2EsNS0_10empty_typeEbEEZZNS1_14partition_implILS5_2ELb0ES3_jN6thrust23THRUST_200600_302600_NS6detail15normal_iteratorINSA_7pointerIsNSA_11hip_rocprim3tagENSA_11use_defaultESG_EEEEPS6_NSA_18transform_iteratorI7is_evenIsENSC_INSA_10device_ptrIsEEEESG_SG_EENS0_5tupleIJPsSJ_EEENSR_IJSJ_SJ_EEES6_PlJS6_EEE10hipError_tPvRmT3_T4_T5_T6_T7_T9_mT8_P12ihipStream_tbDpT10_ENKUlT_T0_E_clISt17integral_constantIbLb0EES1F_EEDaS1A_S1B_EUlS1A_E_NS1_11comp_targetILNS1_3genE8ELNS1_11target_archE1030ELNS1_3gpuE2ELNS1_3repE0EEENS1_30default_config_static_selectorELNS0_4arch9wavefront6targetE1EEEvT1_
	.p2align	8
	.type	_ZN7rocprim17ROCPRIM_400000_NS6detail17trampoline_kernelINS0_14default_configENS1_25partition_config_selectorILNS1_17partition_subalgoE2EsNS0_10empty_typeEbEEZZNS1_14partition_implILS5_2ELb0ES3_jN6thrust23THRUST_200600_302600_NS6detail15normal_iteratorINSA_7pointerIsNSA_11hip_rocprim3tagENSA_11use_defaultESG_EEEEPS6_NSA_18transform_iteratorI7is_evenIsENSC_INSA_10device_ptrIsEEEESG_SG_EENS0_5tupleIJPsSJ_EEENSR_IJSJ_SJ_EEES6_PlJS6_EEE10hipError_tPvRmT3_T4_T5_T6_T7_T9_mT8_P12ihipStream_tbDpT10_ENKUlT_T0_E_clISt17integral_constantIbLb0EES1F_EEDaS1A_S1B_EUlS1A_E_NS1_11comp_targetILNS1_3genE8ELNS1_11target_archE1030ELNS1_3gpuE2ELNS1_3repE0EEENS1_30default_config_static_selectorELNS0_4arch9wavefront6targetE1EEEvT1_,@function
_ZN7rocprim17ROCPRIM_400000_NS6detail17trampoline_kernelINS0_14default_configENS1_25partition_config_selectorILNS1_17partition_subalgoE2EsNS0_10empty_typeEbEEZZNS1_14partition_implILS5_2ELb0ES3_jN6thrust23THRUST_200600_302600_NS6detail15normal_iteratorINSA_7pointerIsNSA_11hip_rocprim3tagENSA_11use_defaultESG_EEEEPS6_NSA_18transform_iteratorI7is_evenIsENSC_INSA_10device_ptrIsEEEESG_SG_EENS0_5tupleIJPsSJ_EEENSR_IJSJ_SJ_EEES6_PlJS6_EEE10hipError_tPvRmT3_T4_T5_T6_T7_T9_mT8_P12ihipStream_tbDpT10_ENKUlT_T0_E_clISt17integral_constantIbLb0EES1F_EEDaS1A_S1B_EUlS1A_E_NS1_11comp_targetILNS1_3genE8ELNS1_11target_archE1030ELNS1_3gpuE2ELNS1_3repE0EEENS1_30default_config_static_selectorELNS0_4arch9wavefront6targetE1EEEvT1_: ; @_ZN7rocprim17ROCPRIM_400000_NS6detail17trampoline_kernelINS0_14default_configENS1_25partition_config_selectorILNS1_17partition_subalgoE2EsNS0_10empty_typeEbEEZZNS1_14partition_implILS5_2ELb0ES3_jN6thrust23THRUST_200600_302600_NS6detail15normal_iteratorINSA_7pointerIsNSA_11hip_rocprim3tagENSA_11use_defaultESG_EEEEPS6_NSA_18transform_iteratorI7is_evenIsENSC_INSA_10device_ptrIsEEEESG_SG_EENS0_5tupleIJPsSJ_EEENSR_IJSJ_SJ_EEES6_PlJS6_EEE10hipError_tPvRmT3_T4_T5_T6_T7_T9_mT8_P12ihipStream_tbDpT10_ENKUlT_T0_E_clISt17integral_constantIbLb0EES1F_EEDaS1A_S1B_EUlS1A_E_NS1_11comp_targetILNS1_3genE8ELNS1_11target_archE1030ELNS1_3gpuE2ELNS1_3repE0EEENS1_30default_config_static_selectorELNS0_4arch9wavefront6targetE1EEEvT1_
; %bb.0:
	.section	.rodata,"a",@progbits
	.p2align	6, 0x0
	.amdhsa_kernel _ZN7rocprim17ROCPRIM_400000_NS6detail17trampoline_kernelINS0_14default_configENS1_25partition_config_selectorILNS1_17partition_subalgoE2EsNS0_10empty_typeEbEEZZNS1_14partition_implILS5_2ELb0ES3_jN6thrust23THRUST_200600_302600_NS6detail15normal_iteratorINSA_7pointerIsNSA_11hip_rocprim3tagENSA_11use_defaultESG_EEEEPS6_NSA_18transform_iteratorI7is_evenIsENSC_INSA_10device_ptrIsEEEESG_SG_EENS0_5tupleIJPsSJ_EEENSR_IJSJ_SJ_EEES6_PlJS6_EEE10hipError_tPvRmT3_T4_T5_T6_T7_T9_mT8_P12ihipStream_tbDpT10_ENKUlT_T0_E_clISt17integral_constantIbLb0EES1F_EEDaS1A_S1B_EUlS1A_E_NS1_11comp_targetILNS1_3genE8ELNS1_11target_archE1030ELNS1_3gpuE2ELNS1_3repE0EEENS1_30default_config_static_selectorELNS0_4arch9wavefront6targetE1EEEvT1_
		.amdhsa_group_segment_fixed_size 0
		.amdhsa_private_segment_fixed_size 0
		.amdhsa_kernarg_size 128
		.amdhsa_user_sgpr_count 2
		.amdhsa_user_sgpr_dispatch_ptr 0
		.amdhsa_user_sgpr_queue_ptr 0
		.amdhsa_user_sgpr_kernarg_segment_ptr 1
		.amdhsa_user_sgpr_dispatch_id 0
		.amdhsa_user_sgpr_kernarg_preload_length 0
		.amdhsa_user_sgpr_kernarg_preload_offset 0
		.amdhsa_user_sgpr_private_segment_size 0
		.amdhsa_uses_dynamic_stack 0
		.amdhsa_enable_private_segment 0
		.amdhsa_system_sgpr_workgroup_id_x 1
		.amdhsa_system_sgpr_workgroup_id_y 0
		.amdhsa_system_sgpr_workgroup_id_z 0
		.amdhsa_system_sgpr_workgroup_info 0
		.amdhsa_system_vgpr_workitem_id 0
		.amdhsa_next_free_vgpr 1
		.amdhsa_next_free_sgpr 0
		.amdhsa_accum_offset 4
		.amdhsa_reserve_vcc 0
		.amdhsa_float_round_mode_32 0
		.amdhsa_float_round_mode_16_64 0
		.amdhsa_float_denorm_mode_32 3
		.amdhsa_float_denorm_mode_16_64 3
		.amdhsa_dx10_clamp 1
		.amdhsa_ieee_mode 1
		.amdhsa_fp16_overflow 0
		.amdhsa_tg_split 0
		.amdhsa_exception_fp_ieee_invalid_op 0
		.amdhsa_exception_fp_denorm_src 0
		.amdhsa_exception_fp_ieee_div_zero 0
		.amdhsa_exception_fp_ieee_overflow 0
		.amdhsa_exception_fp_ieee_underflow 0
		.amdhsa_exception_fp_ieee_inexact 0
		.amdhsa_exception_int_div_zero 0
	.end_amdhsa_kernel
	.section	.text._ZN7rocprim17ROCPRIM_400000_NS6detail17trampoline_kernelINS0_14default_configENS1_25partition_config_selectorILNS1_17partition_subalgoE2EsNS0_10empty_typeEbEEZZNS1_14partition_implILS5_2ELb0ES3_jN6thrust23THRUST_200600_302600_NS6detail15normal_iteratorINSA_7pointerIsNSA_11hip_rocprim3tagENSA_11use_defaultESG_EEEEPS6_NSA_18transform_iteratorI7is_evenIsENSC_INSA_10device_ptrIsEEEESG_SG_EENS0_5tupleIJPsSJ_EEENSR_IJSJ_SJ_EEES6_PlJS6_EEE10hipError_tPvRmT3_T4_T5_T6_T7_T9_mT8_P12ihipStream_tbDpT10_ENKUlT_T0_E_clISt17integral_constantIbLb0EES1F_EEDaS1A_S1B_EUlS1A_E_NS1_11comp_targetILNS1_3genE8ELNS1_11target_archE1030ELNS1_3gpuE2ELNS1_3repE0EEENS1_30default_config_static_selectorELNS0_4arch9wavefront6targetE1EEEvT1_,"axG",@progbits,_ZN7rocprim17ROCPRIM_400000_NS6detail17trampoline_kernelINS0_14default_configENS1_25partition_config_selectorILNS1_17partition_subalgoE2EsNS0_10empty_typeEbEEZZNS1_14partition_implILS5_2ELb0ES3_jN6thrust23THRUST_200600_302600_NS6detail15normal_iteratorINSA_7pointerIsNSA_11hip_rocprim3tagENSA_11use_defaultESG_EEEEPS6_NSA_18transform_iteratorI7is_evenIsENSC_INSA_10device_ptrIsEEEESG_SG_EENS0_5tupleIJPsSJ_EEENSR_IJSJ_SJ_EEES6_PlJS6_EEE10hipError_tPvRmT3_T4_T5_T6_T7_T9_mT8_P12ihipStream_tbDpT10_ENKUlT_T0_E_clISt17integral_constantIbLb0EES1F_EEDaS1A_S1B_EUlS1A_E_NS1_11comp_targetILNS1_3genE8ELNS1_11target_archE1030ELNS1_3gpuE2ELNS1_3repE0EEENS1_30default_config_static_selectorELNS0_4arch9wavefront6targetE1EEEvT1_,comdat
.Lfunc_end263:
	.size	_ZN7rocprim17ROCPRIM_400000_NS6detail17trampoline_kernelINS0_14default_configENS1_25partition_config_selectorILNS1_17partition_subalgoE2EsNS0_10empty_typeEbEEZZNS1_14partition_implILS5_2ELb0ES3_jN6thrust23THRUST_200600_302600_NS6detail15normal_iteratorINSA_7pointerIsNSA_11hip_rocprim3tagENSA_11use_defaultESG_EEEEPS6_NSA_18transform_iteratorI7is_evenIsENSC_INSA_10device_ptrIsEEEESG_SG_EENS0_5tupleIJPsSJ_EEENSR_IJSJ_SJ_EEES6_PlJS6_EEE10hipError_tPvRmT3_T4_T5_T6_T7_T9_mT8_P12ihipStream_tbDpT10_ENKUlT_T0_E_clISt17integral_constantIbLb0EES1F_EEDaS1A_S1B_EUlS1A_E_NS1_11comp_targetILNS1_3genE8ELNS1_11target_archE1030ELNS1_3gpuE2ELNS1_3repE0EEENS1_30default_config_static_selectorELNS0_4arch9wavefront6targetE1EEEvT1_, .Lfunc_end263-_ZN7rocprim17ROCPRIM_400000_NS6detail17trampoline_kernelINS0_14default_configENS1_25partition_config_selectorILNS1_17partition_subalgoE2EsNS0_10empty_typeEbEEZZNS1_14partition_implILS5_2ELb0ES3_jN6thrust23THRUST_200600_302600_NS6detail15normal_iteratorINSA_7pointerIsNSA_11hip_rocprim3tagENSA_11use_defaultESG_EEEEPS6_NSA_18transform_iteratorI7is_evenIsENSC_INSA_10device_ptrIsEEEESG_SG_EENS0_5tupleIJPsSJ_EEENSR_IJSJ_SJ_EEES6_PlJS6_EEE10hipError_tPvRmT3_T4_T5_T6_T7_T9_mT8_P12ihipStream_tbDpT10_ENKUlT_T0_E_clISt17integral_constantIbLb0EES1F_EEDaS1A_S1B_EUlS1A_E_NS1_11comp_targetILNS1_3genE8ELNS1_11target_archE1030ELNS1_3gpuE2ELNS1_3repE0EEENS1_30default_config_static_selectorELNS0_4arch9wavefront6targetE1EEEvT1_
                                        ; -- End function
	.section	.AMDGPU.csdata,"",@progbits
; Kernel info:
; codeLenInByte = 0
; NumSgprs: 6
; NumVgprs: 0
; NumAgprs: 0
; TotalNumVgprs: 0
; ScratchSize: 0
; MemoryBound: 0
; FloatMode: 240
; IeeeMode: 1
; LDSByteSize: 0 bytes/workgroup (compile time only)
; SGPRBlocks: 0
; VGPRBlocks: 0
; NumSGPRsForWavesPerEU: 6
; NumVGPRsForWavesPerEU: 1
; AccumOffset: 4
; Occupancy: 8
; WaveLimiterHint : 0
; COMPUTE_PGM_RSRC2:SCRATCH_EN: 0
; COMPUTE_PGM_RSRC2:USER_SGPR: 2
; COMPUTE_PGM_RSRC2:TRAP_HANDLER: 0
; COMPUTE_PGM_RSRC2:TGID_X_EN: 1
; COMPUTE_PGM_RSRC2:TGID_Y_EN: 0
; COMPUTE_PGM_RSRC2:TGID_Z_EN: 0
; COMPUTE_PGM_RSRC2:TIDIG_COMP_CNT: 0
; COMPUTE_PGM_RSRC3_GFX90A:ACCUM_OFFSET: 0
; COMPUTE_PGM_RSRC3_GFX90A:TG_SPLIT: 0
	.section	.text._ZN7rocprim17ROCPRIM_400000_NS6detail17trampoline_kernelINS0_14default_configENS1_25partition_config_selectorILNS1_17partition_subalgoE2EsNS0_10empty_typeEbEEZZNS1_14partition_implILS5_2ELb0ES3_jN6thrust23THRUST_200600_302600_NS6detail15normal_iteratorINSA_7pointerIsNSA_11hip_rocprim3tagENSA_11use_defaultESG_EEEEPS6_NSA_18transform_iteratorI7is_evenIsENSC_INSA_10device_ptrIsEEEESG_SG_EENS0_5tupleIJPsSJ_EEENSR_IJSJ_SJ_EEES6_PlJS6_EEE10hipError_tPvRmT3_T4_T5_T6_T7_T9_mT8_P12ihipStream_tbDpT10_ENKUlT_T0_E_clISt17integral_constantIbLb1EES1F_EEDaS1A_S1B_EUlS1A_E_NS1_11comp_targetILNS1_3genE0ELNS1_11target_archE4294967295ELNS1_3gpuE0ELNS1_3repE0EEENS1_30default_config_static_selectorELNS0_4arch9wavefront6targetE1EEEvT1_,"axG",@progbits,_ZN7rocprim17ROCPRIM_400000_NS6detail17trampoline_kernelINS0_14default_configENS1_25partition_config_selectorILNS1_17partition_subalgoE2EsNS0_10empty_typeEbEEZZNS1_14partition_implILS5_2ELb0ES3_jN6thrust23THRUST_200600_302600_NS6detail15normal_iteratorINSA_7pointerIsNSA_11hip_rocprim3tagENSA_11use_defaultESG_EEEEPS6_NSA_18transform_iteratorI7is_evenIsENSC_INSA_10device_ptrIsEEEESG_SG_EENS0_5tupleIJPsSJ_EEENSR_IJSJ_SJ_EEES6_PlJS6_EEE10hipError_tPvRmT3_T4_T5_T6_T7_T9_mT8_P12ihipStream_tbDpT10_ENKUlT_T0_E_clISt17integral_constantIbLb1EES1F_EEDaS1A_S1B_EUlS1A_E_NS1_11comp_targetILNS1_3genE0ELNS1_11target_archE4294967295ELNS1_3gpuE0ELNS1_3repE0EEENS1_30default_config_static_selectorELNS0_4arch9wavefront6targetE1EEEvT1_,comdat
	.protected	_ZN7rocprim17ROCPRIM_400000_NS6detail17trampoline_kernelINS0_14default_configENS1_25partition_config_selectorILNS1_17partition_subalgoE2EsNS0_10empty_typeEbEEZZNS1_14partition_implILS5_2ELb0ES3_jN6thrust23THRUST_200600_302600_NS6detail15normal_iteratorINSA_7pointerIsNSA_11hip_rocprim3tagENSA_11use_defaultESG_EEEEPS6_NSA_18transform_iteratorI7is_evenIsENSC_INSA_10device_ptrIsEEEESG_SG_EENS0_5tupleIJPsSJ_EEENSR_IJSJ_SJ_EEES6_PlJS6_EEE10hipError_tPvRmT3_T4_T5_T6_T7_T9_mT8_P12ihipStream_tbDpT10_ENKUlT_T0_E_clISt17integral_constantIbLb1EES1F_EEDaS1A_S1B_EUlS1A_E_NS1_11comp_targetILNS1_3genE0ELNS1_11target_archE4294967295ELNS1_3gpuE0ELNS1_3repE0EEENS1_30default_config_static_selectorELNS0_4arch9wavefront6targetE1EEEvT1_ ; -- Begin function _ZN7rocprim17ROCPRIM_400000_NS6detail17trampoline_kernelINS0_14default_configENS1_25partition_config_selectorILNS1_17partition_subalgoE2EsNS0_10empty_typeEbEEZZNS1_14partition_implILS5_2ELb0ES3_jN6thrust23THRUST_200600_302600_NS6detail15normal_iteratorINSA_7pointerIsNSA_11hip_rocprim3tagENSA_11use_defaultESG_EEEEPS6_NSA_18transform_iteratorI7is_evenIsENSC_INSA_10device_ptrIsEEEESG_SG_EENS0_5tupleIJPsSJ_EEENSR_IJSJ_SJ_EEES6_PlJS6_EEE10hipError_tPvRmT3_T4_T5_T6_T7_T9_mT8_P12ihipStream_tbDpT10_ENKUlT_T0_E_clISt17integral_constantIbLb1EES1F_EEDaS1A_S1B_EUlS1A_E_NS1_11comp_targetILNS1_3genE0ELNS1_11target_archE4294967295ELNS1_3gpuE0ELNS1_3repE0EEENS1_30default_config_static_selectorELNS0_4arch9wavefront6targetE1EEEvT1_
	.globl	_ZN7rocprim17ROCPRIM_400000_NS6detail17trampoline_kernelINS0_14default_configENS1_25partition_config_selectorILNS1_17partition_subalgoE2EsNS0_10empty_typeEbEEZZNS1_14partition_implILS5_2ELb0ES3_jN6thrust23THRUST_200600_302600_NS6detail15normal_iteratorINSA_7pointerIsNSA_11hip_rocprim3tagENSA_11use_defaultESG_EEEEPS6_NSA_18transform_iteratorI7is_evenIsENSC_INSA_10device_ptrIsEEEESG_SG_EENS0_5tupleIJPsSJ_EEENSR_IJSJ_SJ_EEES6_PlJS6_EEE10hipError_tPvRmT3_T4_T5_T6_T7_T9_mT8_P12ihipStream_tbDpT10_ENKUlT_T0_E_clISt17integral_constantIbLb1EES1F_EEDaS1A_S1B_EUlS1A_E_NS1_11comp_targetILNS1_3genE0ELNS1_11target_archE4294967295ELNS1_3gpuE0ELNS1_3repE0EEENS1_30default_config_static_selectorELNS0_4arch9wavefront6targetE1EEEvT1_
	.p2align	8
	.type	_ZN7rocprim17ROCPRIM_400000_NS6detail17trampoline_kernelINS0_14default_configENS1_25partition_config_selectorILNS1_17partition_subalgoE2EsNS0_10empty_typeEbEEZZNS1_14partition_implILS5_2ELb0ES3_jN6thrust23THRUST_200600_302600_NS6detail15normal_iteratorINSA_7pointerIsNSA_11hip_rocprim3tagENSA_11use_defaultESG_EEEEPS6_NSA_18transform_iteratorI7is_evenIsENSC_INSA_10device_ptrIsEEEESG_SG_EENS0_5tupleIJPsSJ_EEENSR_IJSJ_SJ_EEES6_PlJS6_EEE10hipError_tPvRmT3_T4_T5_T6_T7_T9_mT8_P12ihipStream_tbDpT10_ENKUlT_T0_E_clISt17integral_constantIbLb1EES1F_EEDaS1A_S1B_EUlS1A_E_NS1_11comp_targetILNS1_3genE0ELNS1_11target_archE4294967295ELNS1_3gpuE0ELNS1_3repE0EEENS1_30default_config_static_selectorELNS0_4arch9wavefront6targetE1EEEvT1_,@function
_ZN7rocprim17ROCPRIM_400000_NS6detail17trampoline_kernelINS0_14default_configENS1_25partition_config_selectorILNS1_17partition_subalgoE2EsNS0_10empty_typeEbEEZZNS1_14partition_implILS5_2ELb0ES3_jN6thrust23THRUST_200600_302600_NS6detail15normal_iteratorINSA_7pointerIsNSA_11hip_rocprim3tagENSA_11use_defaultESG_EEEEPS6_NSA_18transform_iteratorI7is_evenIsENSC_INSA_10device_ptrIsEEEESG_SG_EENS0_5tupleIJPsSJ_EEENSR_IJSJ_SJ_EEES6_PlJS6_EEE10hipError_tPvRmT3_T4_T5_T6_T7_T9_mT8_P12ihipStream_tbDpT10_ENKUlT_T0_E_clISt17integral_constantIbLb1EES1F_EEDaS1A_S1B_EUlS1A_E_NS1_11comp_targetILNS1_3genE0ELNS1_11target_archE4294967295ELNS1_3gpuE0ELNS1_3repE0EEENS1_30default_config_static_selectorELNS0_4arch9wavefront6targetE1EEEvT1_: ; @_ZN7rocprim17ROCPRIM_400000_NS6detail17trampoline_kernelINS0_14default_configENS1_25partition_config_selectorILNS1_17partition_subalgoE2EsNS0_10empty_typeEbEEZZNS1_14partition_implILS5_2ELb0ES3_jN6thrust23THRUST_200600_302600_NS6detail15normal_iteratorINSA_7pointerIsNSA_11hip_rocprim3tagENSA_11use_defaultESG_EEEEPS6_NSA_18transform_iteratorI7is_evenIsENSC_INSA_10device_ptrIsEEEESG_SG_EENS0_5tupleIJPsSJ_EEENSR_IJSJ_SJ_EEES6_PlJS6_EEE10hipError_tPvRmT3_T4_T5_T6_T7_T9_mT8_P12ihipStream_tbDpT10_ENKUlT_T0_E_clISt17integral_constantIbLb1EES1F_EEDaS1A_S1B_EUlS1A_E_NS1_11comp_targetILNS1_3genE0ELNS1_11target_archE4294967295ELNS1_3gpuE0ELNS1_3repE0EEENS1_30default_config_static_selectorELNS0_4arch9wavefront6targetE1EEEvT1_
; %bb.0:
	.section	.rodata,"a",@progbits
	.p2align	6, 0x0
	.amdhsa_kernel _ZN7rocprim17ROCPRIM_400000_NS6detail17trampoline_kernelINS0_14default_configENS1_25partition_config_selectorILNS1_17partition_subalgoE2EsNS0_10empty_typeEbEEZZNS1_14partition_implILS5_2ELb0ES3_jN6thrust23THRUST_200600_302600_NS6detail15normal_iteratorINSA_7pointerIsNSA_11hip_rocprim3tagENSA_11use_defaultESG_EEEEPS6_NSA_18transform_iteratorI7is_evenIsENSC_INSA_10device_ptrIsEEEESG_SG_EENS0_5tupleIJPsSJ_EEENSR_IJSJ_SJ_EEES6_PlJS6_EEE10hipError_tPvRmT3_T4_T5_T6_T7_T9_mT8_P12ihipStream_tbDpT10_ENKUlT_T0_E_clISt17integral_constantIbLb1EES1F_EEDaS1A_S1B_EUlS1A_E_NS1_11comp_targetILNS1_3genE0ELNS1_11target_archE4294967295ELNS1_3gpuE0ELNS1_3repE0EEENS1_30default_config_static_selectorELNS0_4arch9wavefront6targetE1EEEvT1_
		.amdhsa_group_segment_fixed_size 0
		.amdhsa_private_segment_fixed_size 0
		.amdhsa_kernarg_size 144
		.amdhsa_user_sgpr_count 2
		.amdhsa_user_sgpr_dispatch_ptr 0
		.amdhsa_user_sgpr_queue_ptr 0
		.amdhsa_user_sgpr_kernarg_segment_ptr 1
		.amdhsa_user_sgpr_dispatch_id 0
		.amdhsa_user_sgpr_kernarg_preload_length 0
		.amdhsa_user_sgpr_kernarg_preload_offset 0
		.amdhsa_user_sgpr_private_segment_size 0
		.amdhsa_uses_dynamic_stack 0
		.amdhsa_enable_private_segment 0
		.amdhsa_system_sgpr_workgroup_id_x 1
		.amdhsa_system_sgpr_workgroup_id_y 0
		.amdhsa_system_sgpr_workgroup_id_z 0
		.amdhsa_system_sgpr_workgroup_info 0
		.amdhsa_system_vgpr_workitem_id 0
		.amdhsa_next_free_vgpr 1
		.amdhsa_next_free_sgpr 0
		.amdhsa_accum_offset 4
		.amdhsa_reserve_vcc 0
		.amdhsa_float_round_mode_32 0
		.amdhsa_float_round_mode_16_64 0
		.amdhsa_float_denorm_mode_32 3
		.amdhsa_float_denorm_mode_16_64 3
		.amdhsa_dx10_clamp 1
		.amdhsa_ieee_mode 1
		.amdhsa_fp16_overflow 0
		.amdhsa_tg_split 0
		.amdhsa_exception_fp_ieee_invalid_op 0
		.amdhsa_exception_fp_denorm_src 0
		.amdhsa_exception_fp_ieee_div_zero 0
		.amdhsa_exception_fp_ieee_overflow 0
		.amdhsa_exception_fp_ieee_underflow 0
		.amdhsa_exception_fp_ieee_inexact 0
		.amdhsa_exception_int_div_zero 0
	.end_amdhsa_kernel
	.section	.text._ZN7rocprim17ROCPRIM_400000_NS6detail17trampoline_kernelINS0_14default_configENS1_25partition_config_selectorILNS1_17partition_subalgoE2EsNS0_10empty_typeEbEEZZNS1_14partition_implILS5_2ELb0ES3_jN6thrust23THRUST_200600_302600_NS6detail15normal_iteratorINSA_7pointerIsNSA_11hip_rocprim3tagENSA_11use_defaultESG_EEEEPS6_NSA_18transform_iteratorI7is_evenIsENSC_INSA_10device_ptrIsEEEESG_SG_EENS0_5tupleIJPsSJ_EEENSR_IJSJ_SJ_EEES6_PlJS6_EEE10hipError_tPvRmT3_T4_T5_T6_T7_T9_mT8_P12ihipStream_tbDpT10_ENKUlT_T0_E_clISt17integral_constantIbLb1EES1F_EEDaS1A_S1B_EUlS1A_E_NS1_11comp_targetILNS1_3genE0ELNS1_11target_archE4294967295ELNS1_3gpuE0ELNS1_3repE0EEENS1_30default_config_static_selectorELNS0_4arch9wavefront6targetE1EEEvT1_,"axG",@progbits,_ZN7rocprim17ROCPRIM_400000_NS6detail17trampoline_kernelINS0_14default_configENS1_25partition_config_selectorILNS1_17partition_subalgoE2EsNS0_10empty_typeEbEEZZNS1_14partition_implILS5_2ELb0ES3_jN6thrust23THRUST_200600_302600_NS6detail15normal_iteratorINSA_7pointerIsNSA_11hip_rocprim3tagENSA_11use_defaultESG_EEEEPS6_NSA_18transform_iteratorI7is_evenIsENSC_INSA_10device_ptrIsEEEESG_SG_EENS0_5tupleIJPsSJ_EEENSR_IJSJ_SJ_EEES6_PlJS6_EEE10hipError_tPvRmT3_T4_T5_T6_T7_T9_mT8_P12ihipStream_tbDpT10_ENKUlT_T0_E_clISt17integral_constantIbLb1EES1F_EEDaS1A_S1B_EUlS1A_E_NS1_11comp_targetILNS1_3genE0ELNS1_11target_archE4294967295ELNS1_3gpuE0ELNS1_3repE0EEENS1_30default_config_static_selectorELNS0_4arch9wavefront6targetE1EEEvT1_,comdat
.Lfunc_end264:
	.size	_ZN7rocprim17ROCPRIM_400000_NS6detail17trampoline_kernelINS0_14default_configENS1_25partition_config_selectorILNS1_17partition_subalgoE2EsNS0_10empty_typeEbEEZZNS1_14partition_implILS5_2ELb0ES3_jN6thrust23THRUST_200600_302600_NS6detail15normal_iteratorINSA_7pointerIsNSA_11hip_rocprim3tagENSA_11use_defaultESG_EEEEPS6_NSA_18transform_iteratorI7is_evenIsENSC_INSA_10device_ptrIsEEEESG_SG_EENS0_5tupleIJPsSJ_EEENSR_IJSJ_SJ_EEES6_PlJS6_EEE10hipError_tPvRmT3_T4_T5_T6_T7_T9_mT8_P12ihipStream_tbDpT10_ENKUlT_T0_E_clISt17integral_constantIbLb1EES1F_EEDaS1A_S1B_EUlS1A_E_NS1_11comp_targetILNS1_3genE0ELNS1_11target_archE4294967295ELNS1_3gpuE0ELNS1_3repE0EEENS1_30default_config_static_selectorELNS0_4arch9wavefront6targetE1EEEvT1_, .Lfunc_end264-_ZN7rocprim17ROCPRIM_400000_NS6detail17trampoline_kernelINS0_14default_configENS1_25partition_config_selectorILNS1_17partition_subalgoE2EsNS0_10empty_typeEbEEZZNS1_14partition_implILS5_2ELb0ES3_jN6thrust23THRUST_200600_302600_NS6detail15normal_iteratorINSA_7pointerIsNSA_11hip_rocprim3tagENSA_11use_defaultESG_EEEEPS6_NSA_18transform_iteratorI7is_evenIsENSC_INSA_10device_ptrIsEEEESG_SG_EENS0_5tupleIJPsSJ_EEENSR_IJSJ_SJ_EEES6_PlJS6_EEE10hipError_tPvRmT3_T4_T5_T6_T7_T9_mT8_P12ihipStream_tbDpT10_ENKUlT_T0_E_clISt17integral_constantIbLb1EES1F_EEDaS1A_S1B_EUlS1A_E_NS1_11comp_targetILNS1_3genE0ELNS1_11target_archE4294967295ELNS1_3gpuE0ELNS1_3repE0EEENS1_30default_config_static_selectorELNS0_4arch9wavefront6targetE1EEEvT1_
                                        ; -- End function
	.section	.AMDGPU.csdata,"",@progbits
; Kernel info:
; codeLenInByte = 0
; NumSgprs: 6
; NumVgprs: 0
; NumAgprs: 0
; TotalNumVgprs: 0
; ScratchSize: 0
; MemoryBound: 0
; FloatMode: 240
; IeeeMode: 1
; LDSByteSize: 0 bytes/workgroup (compile time only)
; SGPRBlocks: 0
; VGPRBlocks: 0
; NumSGPRsForWavesPerEU: 6
; NumVGPRsForWavesPerEU: 1
; AccumOffset: 4
; Occupancy: 8
; WaveLimiterHint : 0
; COMPUTE_PGM_RSRC2:SCRATCH_EN: 0
; COMPUTE_PGM_RSRC2:USER_SGPR: 2
; COMPUTE_PGM_RSRC2:TRAP_HANDLER: 0
; COMPUTE_PGM_RSRC2:TGID_X_EN: 1
; COMPUTE_PGM_RSRC2:TGID_Y_EN: 0
; COMPUTE_PGM_RSRC2:TGID_Z_EN: 0
; COMPUTE_PGM_RSRC2:TIDIG_COMP_CNT: 0
; COMPUTE_PGM_RSRC3_GFX90A:ACCUM_OFFSET: 0
; COMPUTE_PGM_RSRC3_GFX90A:TG_SPLIT: 0
	.section	.text._ZN7rocprim17ROCPRIM_400000_NS6detail17trampoline_kernelINS0_14default_configENS1_25partition_config_selectorILNS1_17partition_subalgoE2EsNS0_10empty_typeEbEEZZNS1_14partition_implILS5_2ELb0ES3_jN6thrust23THRUST_200600_302600_NS6detail15normal_iteratorINSA_7pointerIsNSA_11hip_rocprim3tagENSA_11use_defaultESG_EEEEPS6_NSA_18transform_iteratorI7is_evenIsENSC_INSA_10device_ptrIsEEEESG_SG_EENS0_5tupleIJPsSJ_EEENSR_IJSJ_SJ_EEES6_PlJS6_EEE10hipError_tPvRmT3_T4_T5_T6_T7_T9_mT8_P12ihipStream_tbDpT10_ENKUlT_T0_E_clISt17integral_constantIbLb1EES1F_EEDaS1A_S1B_EUlS1A_E_NS1_11comp_targetILNS1_3genE5ELNS1_11target_archE942ELNS1_3gpuE9ELNS1_3repE0EEENS1_30default_config_static_selectorELNS0_4arch9wavefront6targetE1EEEvT1_,"axG",@progbits,_ZN7rocprim17ROCPRIM_400000_NS6detail17trampoline_kernelINS0_14default_configENS1_25partition_config_selectorILNS1_17partition_subalgoE2EsNS0_10empty_typeEbEEZZNS1_14partition_implILS5_2ELb0ES3_jN6thrust23THRUST_200600_302600_NS6detail15normal_iteratorINSA_7pointerIsNSA_11hip_rocprim3tagENSA_11use_defaultESG_EEEEPS6_NSA_18transform_iteratorI7is_evenIsENSC_INSA_10device_ptrIsEEEESG_SG_EENS0_5tupleIJPsSJ_EEENSR_IJSJ_SJ_EEES6_PlJS6_EEE10hipError_tPvRmT3_T4_T5_T6_T7_T9_mT8_P12ihipStream_tbDpT10_ENKUlT_T0_E_clISt17integral_constantIbLb1EES1F_EEDaS1A_S1B_EUlS1A_E_NS1_11comp_targetILNS1_3genE5ELNS1_11target_archE942ELNS1_3gpuE9ELNS1_3repE0EEENS1_30default_config_static_selectorELNS0_4arch9wavefront6targetE1EEEvT1_,comdat
	.protected	_ZN7rocprim17ROCPRIM_400000_NS6detail17trampoline_kernelINS0_14default_configENS1_25partition_config_selectorILNS1_17partition_subalgoE2EsNS0_10empty_typeEbEEZZNS1_14partition_implILS5_2ELb0ES3_jN6thrust23THRUST_200600_302600_NS6detail15normal_iteratorINSA_7pointerIsNSA_11hip_rocprim3tagENSA_11use_defaultESG_EEEEPS6_NSA_18transform_iteratorI7is_evenIsENSC_INSA_10device_ptrIsEEEESG_SG_EENS0_5tupleIJPsSJ_EEENSR_IJSJ_SJ_EEES6_PlJS6_EEE10hipError_tPvRmT3_T4_T5_T6_T7_T9_mT8_P12ihipStream_tbDpT10_ENKUlT_T0_E_clISt17integral_constantIbLb1EES1F_EEDaS1A_S1B_EUlS1A_E_NS1_11comp_targetILNS1_3genE5ELNS1_11target_archE942ELNS1_3gpuE9ELNS1_3repE0EEENS1_30default_config_static_selectorELNS0_4arch9wavefront6targetE1EEEvT1_ ; -- Begin function _ZN7rocprim17ROCPRIM_400000_NS6detail17trampoline_kernelINS0_14default_configENS1_25partition_config_selectorILNS1_17partition_subalgoE2EsNS0_10empty_typeEbEEZZNS1_14partition_implILS5_2ELb0ES3_jN6thrust23THRUST_200600_302600_NS6detail15normal_iteratorINSA_7pointerIsNSA_11hip_rocprim3tagENSA_11use_defaultESG_EEEEPS6_NSA_18transform_iteratorI7is_evenIsENSC_INSA_10device_ptrIsEEEESG_SG_EENS0_5tupleIJPsSJ_EEENSR_IJSJ_SJ_EEES6_PlJS6_EEE10hipError_tPvRmT3_T4_T5_T6_T7_T9_mT8_P12ihipStream_tbDpT10_ENKUlT_T0_E_clISt17integral_constantIbLb1EES1F_EEDaS1A_S1B_EUlS1A_E_NS1_11comp_targetILNS1_3genE5ELNS1_11target_archE942ELNS1_3gpuE9ELNS1_3repE0EEENS1_30default_config_static_selectorELNS0_4arch9wavefront6targetE1EEEvT1_
	.globl	_ZN7rocprim17ROCPRIM_400000_NS6detail17trampoline_kernelINS0_14default_configENS1_25partition_config_selectorILNS1_17partition_subalgoE2EsNS0_10empty_typeEbEEZZNS1_14partition_implILS5_2ELb0ES3_jN6thrust23THRUST_200600_302600_NS6detail15normal_iteratorINSA_7pointerIsNSA_11hip_rocprim3tagENSA_11use_defaultESG_EEEEPS6_NSA_18transform_iteratorI7is_evenIsENSC_INSA_10device_ptrIsEEEESG_SG_EENS0_5tupleIJPsSJ_EEENSR_IJSJ_SJ_EEES6_PlJS6_EEE10hipError_tPvRmT3_T4_T5_T6_T7_T9_mT8_P12ihipStream_tbDpT10_ENKUlT_T0_E_clISt17integral_constantIbLb1EES1F_EEDaS1A_S1B_EUlS1A_E_NS1_11comp_targetILNS1_3genE5ELNS1_11target_archE942ELNS1_3gpuE9ELNS1_3repE0EEENS1_30default_config_static_selectorELNS0_4arch9wavefront6targetE1EEEvT1_
	.p2align	8
	.type	_ZN7rocprim17ROCPRIM_400000_NS6detail17trampoline_kernelINS0_14default_configENS1_25partition_config_selectorILNS1_17partition_subalgoE2EsNS0_10empty_typeEbEEZZNS1_14partition_implILS5_2ELb0ES3_jN6thrust23THRUST_200600_302600_NS6detail15normal_iteratorINSA_7pointerIsNSA_11hip_rocprim3tagENSA_11use_defaultESG_EEEEPS6_NSA_18transform_iteratorI7is_evenIsENSC_INSA_10device_ptrIsEEEESG_SG_EENS0_5tupleIJPsSJ_EEENSR_IJSJ_SJ_EEES6_PlJS6_EEE10hipError_tPvRmT3_T4_T5_T6_T7_T9_mT8_P12ihipStream_tbDpT10_ENKUlT_T0_E_clISt17integral_constantIbLb1EES1F_EEDaS1A_S1B_EUlS1A_E_NS1_11comp_targetILNS1_3genE5ELNS1_11target_archE942ELNS1_3gpuE9ELNS1_3repE0EEENS1_30default_config_static_selectorELNS0_4arch9wavefront6targetE1EEEvT1_,@function
_ZN7rocprim17ROCPRIM_400000_NS6detail17trampoline_kernelINS0_14default_configENS1_25partition_config_selectorILNS1_17partition_subalgoE2EsNS0_10empty_typeEbEEZZNS1_14partition_implILS5_2ELb0ES3_jN6thrust23THRUST_200600_302600_NS6detail15normal_iteratorINSA_7pointerIsNSA_11hip_rocprim3tagENSA_11use_defaultESG_EEEEPS6_NSA_18transform_iteratorI7is_evenIsENSC_INSA_10device_ptrIsEEEESG_SG_EENS0_5tupleIJPsSJ_EEENSR_IJSJ_SJ_EEES6_PlJS6_EEE10hipError_tPvRmT3_T4_T5_T6_T7_T9_mT8_P12ihipStream_tbDpT10_ENKUlT_T0_E_clISt17integral_constantIbLb1EES1F_EEDaS1A_S1B_EUlS1A_E_NS1_11comp_targetILNS1_3genE5ELNS1_11target_archE942ELNS1_3gpuE9ELNS1_3repE0EEENS1_30default_config_static_selectorELNS0_4arch9wavefront6targetE1EEEvT1_: ; @_ZN7rocprim17ROCPRIM_400000_NS6detail17trampoline_kernelINS0_14default_configENS1_25partition_config_selectorILNS1_17partition_subalgoE2EsNS0_10empty_typeEbEEZZNS1_14partition_implILS5_2ELb0ES3_jN6thrust23THRUST_200600_302600_NS6detail15normal_iteratorINSA_7pointerIsNSA_11hip_rocprim3tagENSA_11use_defaultESG_EEEEPS6_NSA_18transform_iteratorI7is_evenIsENSC_INSA_10device_ptrIsEEEESG_SG_EENS0_5tupleIJPsSJ_EEENSR_IJSJ_SJ_EEES6_PlJS6_EEE10hipError_tPvRmT3_T4_T5_T6_T7_T9_mT8_P12ihipStream_tbDpT10_ENKUlT_T0_E_clISt17integral_constantIbLb1EES1F_EEDaS1A_S1B_EUlS1A_E_NS1_11comp_targetILNS1_3genE5ELNS1_11target_archE942ELNS1_3gpuE9ELNS1_3repE0EEENS1_30default_config_static_selectorELNS0_4arch9wavefront6targetE1EEEvT1_
; %bb.0:
	s_load_dwordx2 s[2:3], s[0:1], 0x20
	s_load_dwordx2 s[28:29], s[0:1], 0x30
	;; [unrolled: 1-line block ×3, first 2 shown]
	s_load_dwordx4 s[20:23], s[0:1], 0x50
	s_load_dwordx2 s[36:37], s[0:1], 0x70
	v_cmp_eq_u32_e64 s[18:19], 0, v0
	s_and_saveexec_b64 s[4:5], s[18:19]
	s_cbranch_execz .LBB265_4
; %bb.1:
	s_mov_b64 s[8:9], exec
	v_mbcnt_lo_u32_b32 v1, s8, 0
	v_mbcnt_hi_u32_b32 v1, s9, v1
	v_cmp_eq_u32_e32 vcc, 0, v1
                                        ; implicit-def: $vgpr2
	s_and_saveexec_b64 s[6:7], vcc
	s_cbranch_execz .LBB265_3
; %bb.2:
	s_load_dwordx2 s[10:11], s[0:1], 0x80
	s_bcnt1_i32_b64 s8, s[8:9]
	v_mov_b32_e32 v2, 0
	v_mov_b32_e32 v3, s8
	s_waitcnt lgkmcnt(0)
	global_atomic_add v2, v2, v3, s[10:11] sc0
.LBB265_3:
	s_or_b64 exec, exec, s[6:7]
	s_waitcnt vmcnt(0)
	v_readfirstlane_b32 s6, v2
	v_mov_b32_e32 v2, 0
	s_nop 0
	v_add_u32_e32 v1, s6, v1
	ds_write_b32 v2, v1
.LBB265_4:
	s_or_b64 exec, exec, s[4:5]
	v_mov_b32_e32 v13, 0
	s_load_dwordx4 s[24:27], s[0:1], 0x8
	s_load_dword s6, s[0:1], 0x78
	s_waitcnt lgkmcnt(0)
	s_barrier
	ds_read_b32 v1, v13
	s_waitcnt lgkmcnt(0)
	s_barrier
	global_load_dwordx2 v[14:15], v13, s[22:23]
	s_lshl_b64 s[4:5], s[26:27], 1
	s_add_u32 s8, s24, s4
	s_mul_i32 s0, s6, 0x3c00
	s_addc_u32 s9, s25, s5
	s_add_i32 s1, s0, s26
	s_sub_i32 s33, s30, s1
	s_add_i32 s7, s6, -1
	s_addk_i32 s33, 0x3c00
	s_add_u32 s0, s26, s0
	v_readfirstlane_b32 s42, v1
	s_addc_u32 s1, s27, 0
	s_cmp_eq_u32 s42, s7
	v_mov_b64_e32 v[2:3], s[30:31]
	s_cselect_b64 s[22:23], -1, 0
	s_cmp_lg_u32 s42, s7
	s_mul_i32 s24, s42, 0x3c00
	s_mov_b32 s25, 0
	v_cmp_lt_u64_e32 vcc, s[0:1], v[2:3]
	s_cselect_b64 s[0:1], -1, 0
	s_or_b64 s[34:35], vcc, s[0:1]
	s_lshl_b64 s[6:7], s[24:25], 1
	s_add_u32 s8, s8, s6
	s_addc_u32 s9, s9, s7
	s_mov_b64 s[0:1], -1
	s_and_b64 vcc, exec, s[34:35]
	v_lshlrev_b32_e32 v12, 1, v0
	s_cbranch_vccz .LBB265_6
; %bb.5:
	v_lshl_add_u64 v[2:3], s[8:9], 0, v[12:13]
	v_add_co_u32_e32 v4, vcc, 0x1000, v2
	s_mov_b64 s[0:1], 0
	s_nop 0
	v_addc_co_u32_e32 v5, vcc, 0, v3, vcc
	flat_load_ushort v1, v[2:3]
	flat_load_ushort v8, v[2:3] offset:1024
	flat_load_ushort v9, v[2:3] offset:2048
	flat_load_ushort v10, v[2:3] offset:3072
	flat_load_ushort v11, v[4:5]
	flat_load_ushort v13, v[4:5] offset:1024
	flat_load_ushort v16, v[4:5] offset:2048
	flat_load_ushort v17, v[4:5] offset:3072
	v_add_co_u32_e32 v4, vcc, 0x2000, v2
	s_nop 1
	v_addc_co_u32_e32 v5, vcc, 0, v3, vcc
	v_add_co_u32_e32 v6, vcc, 0x3000, v2
	s_nop 1
	v_addc_co_u32_e32 v7, vcc, 0, v3, vcc
	flat_load_ushort v18, v[4:5]
	flat_load_ushort v19, v[4:5] offset:1024
	flat_load_ushort v20, v[4:5] offset:2048
	flat_load_ushort v21, v[4:5] offset:3072
	flat_load_ushort v22, v[6:7]
	flat_load_ushort v23, v[6:7] offset:1024
	flat_load_ushort v24, v[6:7] offset:2048
	flat_load_ushort v25, v[6:7] offset:3072
	v_add_co_u32_e32 v4, vcc, 0x4000, v2
	s_nop 1
	v_addc_co_u32_e32 v5, vcc, 0, v3, vcc
	v_add_co_u32_e32 v6, vcc, 0x5000, v2
	;; [unrolled: 14-line block ×3, first 2 shown]
	s_nop 1
	v_addc_co_u32_e32 v3, vcc, 0, v3, vcc
	flat_load_ushort v6, v[4:5]
	flat_load_ushort v7, v[4:5] offset:1024
	flat_load_ushort v34, v[4:5] offset:2048
	;; [unrolled: 1-line block ×3, first 2 shown]
	flat_load_ushort v36, v[2:3]
	flat_load_ushort v37, v[2:3] offset:1024
	s_waitcnt vmcnt(0) lgkmcnt(0)
	ds_write_b16 v12, v1
	ds_write_b16 v12, v8 offset:1024
	ds_write_b16 v12, v9 offset:2048
	;; [unrolled: 1-line block ×29, first 2 shown]
	s_waitcnt lgkmcnt(0)
	s_barrier
.LBB265_6:
	s_andn2_b64 vcc, exec, s[0:1]
	v_cmp_gt_u32_e64 s[0:1], s33, v0
	s_cbranch_vccnz .LBB265_68
; %bb.7:
                                        ; implicit-def: $vgpr1
	s_and_saveexec_b64 s[10:11], s[0:1]
	s_cbranch_execz .LBB265_9
; %bb.8:
	v_mov_b32_e32 v13, 0
	v_lshl_add_u64 v[2:3], s[8:9], 0, v[12:13]
	flat_load_ushort v1, v[2:3]
.LBB265_9:
	s_or_b64 exec, exec, s[10:11]
	v_or_b32_e32 v2, 0x200, v0
	v_cmp_gt_u32_e32 vcc, s33, v2
                                        ; implicit-def: $vgpr2
	s_and_saveexec_b64 s[0:1], vcc
	s_cbranch_execz .LBB265_11
; %bb.10:
	v_mov_b32_e32 v13, 0
	v_lshl_add_u64 v[2:3], s[8:9], 0, v[12:13]
	flat_load_ushort v2, v[2:3] offset:1024
.LBB265_11:
	s_or_b64 exec, exec, s[0:1]
	v_or_b32_e32 v3, 0x400, v0
	v_cmp_gt_u32_e32 vcc, s33, v3
                                        ; implicit-def: $vgpr3
	s_and_saveexec_b64 s[0:1], vcc
	s_cbranch_execz .LBB265_13
; %bb.12:
	v_mov_b32_e32 v13, 0
	v_lshl_add_u64 v[4:5], s[8:9], 0, v[12:13]
	flat_load_ushort v3, v[4:5] offset:2048
.LBB265_13:
	s_or_b64 exec, exec, s[0:1]
	v_or_b32_e32 v4, 0x600, v0
	v_cmp_gt_u32_e32 vcc, s33, v4
                                        ; implicit-def: $vgpr4
	s_and_saveexec_b64 s[0:1], vcc
	s_cbranch_execz .LBB265_15
; %bb.14:
	v_mov_b32_e32 v13, 0
	v_lshl_add_u64 v[4:5], s[8:9], 0, v[12:13]
	flat_load_ushort v4, v[4:5] offset:3072
.LBB265_15:
	s_or_b64 exec, exec, s[0:1]
	v_or_b32_e32 v6, 0x800, v0
	v_cmp_gt_u32_e32 vcc, s33, v6
                                        ; implicit-def: $vgpr5
	s_and_saveexec_b64 s[0:1], vcc
	s_cbranch_execz .LBB265_17
; %bb.16:
	v_lshlrev_b32_e32 v6, 1, v6
	v_mov_b32_e32 v7, 0
	v_lshl_add_u64 v[6:7], s[8:9], 0, v[6:7]
	flat_load_ushort v5, v[6:7]
.LBB265_17:
	s_or_b64 exec, exec, s[0:1]
	v_or_b32_e32 v7, 0xa00, v0
	v_cmp_gt_u32_e32 vcc, s33, v7
                                        ; implicit-def: $vgpr6
	s_and_saveexec_b64 s[0:1], vcc
	s_cbranch_execz .LBB265_19
; %bb.18:
	v_lshlrev_b32_e32 v6, 1, v7
	v_mov_b32_e32 v7, 0
	v_lshl_add_u64 v[6:7], s[8:9], 0, v[6:7]
	flat_load_ushort v6, v[6:7]
.LBB265_19:
	s_or_b64 exec, exec, s[0:1]
	v_or_b32_e32 v8, 0xc00, v0
	v_cmp_gt_u32_e32 vcc, s33, v8
                                        ; implicit-def: $vgpr7
	s_and_saveexec_b64 s[0:1], vcc
	s_cbranch_execz .LBB265_21
; %bb.20:
	v_lshlrev_b32_e32 v8, 1, v8
	v_mov_b32_e32 v9, 0
	v_lshl_add_u64 v[8:9], s[8:9], 0, v[8:9]
	flat_load_ushort v7, v[8:9]
.LBB265_21:
	s_or_b64 exec, exec, s[0:1]
	v_or_b32_e32 v9, 0xe00, v0
	v_cmp_gt_u32_e32 vcc, s33, v9
                                        ; implicit-def: $vgpr8
	s_and_saveexec_b64 s[0:1], vcc
	s_cbranch_execz .LBB265_23
; %bb.22:
	v_lshlrev_b32_e32 v8, 1, v9
	v_mov_b32_e32 v9, 0
	v_lshl_add_u64 v[8:9], s[8:9], 0, v[8:9]
	flat_load_ushort v8, v[8:9]
.LBB265_23:
	s_or_b64 exec, exec, s[0:1]
	v_or_b32_e32 v10, 0x1000, v0
	v_cmp_gt_u32_e32 vcc, s33, v10
                                        ; implicit-def: $vgpr9
	s_and_saveexec_b64 s[0:1], vcc
	s_cbranch_execz .LBB265_25
; %bb.24:
	v_lshlrev_b32_e32 v10, 1, v10
	v_mov_b32_e32 v11, 0
	v_lshl_add_u64 v[10:11], s[8:9], 0, v[10:11]
	flat_load_ushort v9, v[10:11]
.LBB265_25:
	s_or_b64 exec, exec, s[0:1]
	v_or_b32_e32 v11, 0x1200, v0
	v_cmp_gt_u32_e32 vcc, s33, v11
                                        ; implicit-def: $vgpr10
	s_and_saveexec_b64 s[0:1], vcc
	s_cbranch_execz .LBB265_27
; %bb.26:
	v_lshlrev_b32_e32 v10, 1, v11
	v_mov_b32_e32 v11, 0
	v_lshl_add_u64 v[10:11], s[8:9], 0, v[10:11]
	flat_load_ushort v10, v[10:11]
.LBB265_27:
	s_or_b64 exec, exec, s[0:1]
	v_or_b32_e32 v13, 0x1400, v0
	v_cmp_gt_u32_e32 vcc, s33, v13
                                        ; implicit-def: $vgpr11
	s_and_saveexec_b64 s[0:1], vcc
	s_cbranch_execz .LBB265_29
; %bb.28:
	v_lshlrev_b32_e32 v16, 1, v13
	v_mov_b32_e32 v17, 0
	v_lshl_add_u64 v[16:17], s[8:9], 0, v[16:17]
	flat_load_ushort v11, v[16:17]
.LBB265_29:
	s_or_b64 exec, exec, s[0:1]
	v_or_b32_e32 v16, 0x1600, v0
	v_cmp_gt_u32_e32 vcc, s33, v16
                                        ; implicit-def: $vgpr13
	s_and_saveexec_b64 s[0:1], vcc
	s_cbranch_execz .LBB265_31
; %bb.30:
	v_lshlrev_b32_e32 v16, 1, v16
	v_mov_b32_e32 v17, 0
	v_lshl_add_u64 v[16:17], s[8:9], 0, v[16:17]
	flat_load_ushort v13, v[16:17]
.LBB265_31:
	s_or_b64 exec, exec, s[0:1]
	v_or_b32_e32 v17, 0x1800, v0
	v_cmp_gt_u32_e32 vcc, s33, v17
                                        ; implicit-def: $vgpr16
	s_and_saveexec_b64 s[0:1], vcc
	s_cbranch_execz .LBB265_33
; %bb.32:
	v_lshlrev_b32_e32 v16, 1, v17
	v_mov_b32_e32 v17, 0
	v_lshl_add_u64 v[16:17], s[8:9], 0, v[16:17]
	flat_load_ushort v16, v[16:17]
.LBB265_33:
	s_or_b64 exec, exec, s[0:1]
	v_or_b32_e32 v18, 0x1a00, v0
	v_cmp_gt_u32_e32 vcc, s33, v18
                                        ; implicit-def: $vgpr17
	s_and_saveexec_b64 s[0:1], vcc
	s_cbranch_execz .LBB265_35
; %bb.34:
	v_lshlrev_b32_e32 v18, 1, v18
	v_mov_b32_e32 v19, 0
	v_lshl_add_u64 v[18:19], s[8:9], 0, v[18:19]
	flat_load_ushort v17, v[18:19]
.LBB265_35:
	s_or_b64 exec, exec, s[0:1]
	v_or_b32_e32 v19, 0x1c00, v0
	v_cmp_gt_u32_e32 vcc, s33, v19
                                        ; implicit-def: $vgpr18
	s_and_saveexec_b64 s[0:1], vcc
	s_cbranch_execz .LBB265_37
; %bb.36:
	v_lshlrev_b32_e32 v18, 1, v19
	v_mov_b32_e32 v19, 0
	v_lshl_add_u64 v[18:19], s[8:9], 0, v[18:19]
	flat_load_ushort v18, v[18:19]
.LBB265_37:
	s_or_b64 exec, exec, s[0:1]
	v_or_b32_e32 v20, 0x1e00, v0
	v_cmp_gt_u32_e32 vcc, s33, v20
                                        ; implicit-def: $vgpr19
	s_and_saveexec_b64 s[0:1], vcc
	s_cbranch_execz .LBB265_39
; %bb.38:
	v_lshlrev_b32_e32 v20, 1, v20
	v_mov_b32_e32 v21, 0
	v_lshl_add_u64 v[20:21], s[8:9], 0, v[20:21]
	flat_load_ushort v19, v[20:21]
.LBB265_39:
	s_or_b64 exec, exec, s[0:1]
	v_or_b32_e32 v21, 0x2000, v0
	v_cmp_gt_u32_e32 vcc, s33, v21
                                        ; implicit-def: $vgpr20
	s_and_saveexec_b64 s[0:1], vcc
	s_cbranch_execz .LBB265_41
; %bb.40:
	v_lshlrev_b32_e32 v20, 1, v21
	v_mov_b32_e32 v21, 0
	v_lshl_add_u64 v[20:21], s[8:9], 0, v[20:21]
	flat_load_ushort v20, v[20:21]
.LBB265_41:
	s_or_b64 exec, exec, s[0:1]
	v_or_b32_e32 v22, 0x2200, v0
	v_cmp_gt_u32_e32 vcc, s33, v22
                                        ; implicit-def: $vgpr21
	s_and_saveexec_b64 s[0:1], vcc
	s_cbranch_execz .LBB265_43
; %bb.42:
	v_lshlrev_b32_e32 v22, 1, v22
	v_mov_b32_e32 v23, 0
	v_lshl_add_u64 v[22:23], s[8:9], 0, v[22:23]
	flat_load_ushort v21, v[22:23]
.LBB265_43:
	s_or_b64 exec, exec, s[0:1]
	v_or_b32_e32 v23, 0x2400, v0
	v_cmp_gt_u32_e32 vcc, s33, v23
                                        ; implicit-def: $vgpr22
	s_and_saveexec_b64 s[0:1], vcc
	s_cbranch_execz .LBB265_45
; %bb.44:
	v_lshlrev_b32_e32 v22, 1, v23
	v_mov_b32_e32 v23, 0
	v_lshl_add_u64 v[22:23], s[8:9], 0, v[22:23]
	flat_load_ushort v22, v[22:23]
.LBB265_45:
	s_or_b64 exec, exec, s[0:1]
	v_or_b32_e32 v24, 0x2600, v0
	v_cmp_gt_u32_e32 vcc, s33, v24
                                        ; implicit-def: $vgpr23
	s_and_saveexec_b64 s[0:1], vcc
	s_cbranch_execz .LBB265_47
; %bb.46:
	v_lshlrev_b32_e32 v24, 1, v24
	v_mov_b32_e32 v25, 0
	v_lshl_add_u64 v[24:25], s[8:9], 0, v[24:25]
	flat_load_ushort v23, v[24:25]
.LBB265_47:
	s_or_b64 exec, exec, s[0:1]
	v_or_b32_e32 v25, 0x2800, v0
	v_cmp_gt_u32_e32 vcc, s33, v25
                                        ; implicit-def: $vgpr24
	s_and_saveexec_b64 s[0:1], vcc
	s_cbranch_execz .LBB265_49
; %bb.48:
	v_lshlrev_b32_e32 v24, 1, v25
	v_mov_b32_e32 v25, 0
	v_lshl_add_u64 v[24:25], s[8:9], 0, v[24:25]
	flat_load_ushort v24, v[24:25]
.LBB265_49:
	s_or_b64 exec, exec, s[0:1]
	v_or_b32_e32 v26, 0x2a00, v0
	v_cmp_gt_u32_e32 vcc, s33, v26
                                        ; implicit-def: $vgpr25
	s_and_saveexec_b64 s[0:1], vcc
	s_cbranch_execz .LBB265_51
; %bb.50:
	v_lshlrev_b32_e32 v26, 1, v26
	v_mov_b32_e32 v27, 0
	v_lshl_add_u64 v[26:27], s[8:9], 0, v[26:27]
	flat_load_ushort v25, v[26:27]
.LBB265_51:
	s_or_b64 exec, exec, s[0:1]
	v_or_b32_e32 v27, 0x2c00, v0
	v_cmp_gt_u32_e32 vcc, s33, v27
                                        ; implicit-def: $vgpr26
	s_and_saveexec_b64 s[0:1], vcc
	s_cbranch_execz .LBB265_53
; %bb.52:
	v_lshlrev_b32_e32 v26, 1, v27
	v_mov_b32_e32 v27, 0
	v_lshl_add_u64 v[26:27], s[8:9], 0, v[26:27]
	flat_load_ushort v26, v[26:27]
.LBB265_53:
	s_or_b64 exec, exec, s[0:1]
	v_or_b32_e32 v28, 0x2e00, v0
	v_cmp_gt_u32_e32 vcc, s33, v28
                                        ; implicit-def: $vgpr27
	s_and_saveexec_b64 s[0:1], vcc
	s_cbranch_execz .LBB265_55
; %bb.54:
	v_lshlrev_b32_e32 v28, 1, v28
	v_mov_b32_e32 v29, 0
	v_lshl_add_u64 v[28:29], s[8:9], 0, v[28:29]
	flat_load_ushort v27, v[28:29]
.LBB265_55:
	s_or_b64 exec, exec, s[0:1]
	v_or_b32_e32 v29, 0x3000, v0
	v_cmp_gt_u32_e32 vcc, s33, v29
                                        ; implicit-def: $vgpr28
	s_and_saveexec_b64 s[0:1], vcc
	s_cbranch_execz .LBB265_57
; %bb.56:
	v_lshlrev_b32_e32 v28, 1, v29
	v_mov_b32_e32 v29, 0
	v_lshl_add_u64 v[28:29], s[8:9], 0, v[28:29]
	flat_load_ushort v28, v[28:29]
.LBB265_57:
	s_or_b64 exec, exec, s[0:1]
	v_or_b32_e32 v30, 0x3200, v0
	v_cmp_gt_u32_e32 vcc, s33, v30
                                        ; implicit-def: $vgpr29
	s_and_saveexec_b64 s[0:1], vcc
	s_cbranch_execz .LBB265_59
; %bb.58:
	v_lshlrev_b32_e32 v30, 1, v30
	v_mov_b32_e32 v31, 0
	v_lshl_add_u64 v[30:31], s[8:9], 0, v[30:31]
	flat_load_ushort v29, v[30:31]
.LBB265_59:
	s_or_b64 exec, exec, s[0:1]
	v_or_b32_e32 v31, 0x3400, v0
	v_cmp_gt_u32_e32 vcc, s33, v31
                                        ; implicit-def: $vgpr30
	s_and_saveexec_b64 s[0:1], vcc
	s_cbranch_execz .LBB265_61
; %bb.60:
	v_lshlrev_b32_e32 v30, 1, v31
	v_mov_b32_e32 v31, 0
	v_lshl_add_u64 v[30:31], s[8:9], 0, v[30:31]
	flat_load_ushort v30, v[30:31]
.LBB265_61:
	s_or_b64 exec, exec, s[0:1]
	v_or_b32_e32 v32, 0x3600, v0
	v_cmp_gt_u32_e32 vcc, s33, v32
                                        ; implicit-def: $vgpr31
	s_and_saveexec_b64 s[0:1], vcc
	s_cbranch_execz .LBB265_63
; %bb.62:
	v_lshlrev_b32_e32 v32, 1, v32
	v_mov_b32_e32 v33, 0
	v_lshl_add_u64 v[32:33], s[8:9], 0, v[32:33]
	flat_load_ushort v31, v[32:33]
.LBB265_63:
	s_or_b64 exec, exec, s[0:1]
	v_or_b32_e32 v33, 0x3800, v0
	v_cmp_gt_u32_e32 vcc, s33, v33
                                        ; implicit-def: $vgpr32
	s_and_saveexec_b64 s[0:1], vcc
	s_cbranch_execz .LBB265_65
; %bb.64:
	v_lshlrev_b32_e32 v32, 1, v33
	v_mov_b32_e32 v33, 0
	v_lshl_add_u64 v[32:33], s[8:9], 0, v[32:33]
	flat_load_ushort v32, v[32:33]
.LBB265_65:
	s_or_b64 exec, exec, s[0:1]
	v_or_b32_e32 v34, 0x3a00, v0
	v_cmp_gt_u32_e32 vcc, s33, v34
                                        ; implicit-def: $vgpr33
	s_and_saveexec_b64 s[0:1], vcc
	s_cbranch_execz .LBB265_67
; %bb.66:
	v_lshlrev_b32_e32 v34, 1, v34
	v_mov_b32_e32 v35, 0
	v_lshl_add_u64 v[34:35], s[8:9], 0, v[34:35]
	flat_load_ushort v33, v[34:35]
.LBB265_67:
	s_or_b64 exec, exec, s[0:1]
	s_waitcnt vmcnt(0) lgkmcnt(0)
	ds_write_b16 v12, v1
	ds_write_b16 v12, v2 offset:1024
	ds_write_b16 v12, v3 offset:2048
	;; [unrolled: 1-line block ×29, first 2 shown]
	s_waitcnt lgkmcnt(0)
	s_barrier
.LBB265_68:
	v_mul_u32_u24_e32 v9, 30, v0
	v_lshlrev_b32_e32 v2, 1, v9
	ds_read2_b32 v[28:29], v2 offset1:1
	ds_read2_b32 v[26:27], v2 offset0:2 offset1:3
	ds_read2_b32 v[24:25], v2 offset0:4 offset1:5
	;; [unrolled: 1-line block ×3, first 2 shown]
	ds_read_b32 v1, v2 offset:56
	ds_read2_b32 v[16:17], v2 offset0:12 offset1:13
	ds_read2_b32 v[18:19], v2 offset0:10 offset1:11
	;; [unrolled: 1-line block ×3, first 2 shown]
	s_add_u32 s0, s2, s4
	s_addc_u32 s1, s3, s5
	s_add_u32 s0, s0, s6
	s_addc_u32 s1, s1, s7
	s_mov_b64 s[2:3], -1
	s_and_b64 vcc, exec, s[34:35]
	s_waitcnt lgkmcnt(0)
	s_barrier
	s_cbranch_vccz .LBB265_70
; %bb.69:
	v_mov_b32_e32 v13, 0
	v_lshl_add_u64 v[2:3], s[0:1], 0, v[12:13]
	s_movk_i32 s2, 0x1000
	v_add_co_u32_e32 v4, vcc, s2, v2
	s_movk_i32 s2, 0x2000
	s_nop 0
	v_addc_co_u32_e32 v5, vcc, 0, v3, vcc
	v_add_co_u32_e32 v6, vcc, s2, v2
	s_movk_i32 s2, 0x3000
	s_nop 0
	v_addc_co_u32_e32 v7, vcc, 0, v3, vcc
	global_load_ubyte v8, v12, s[0:1]
	global_load_ubyte v13, v12, s[0:1] offset:1024
	global_load_ubyte v30, v12, s[0:1] offset:2048
	;; [unrolled: 1-line block ×3, first 2 shown]
	global_load_ubyte v32, v[6:7], off offset:-4096
	global_load_ubyte v33, v[4:5], off offset:1024
	global_load_ubyte v34, v[4:5], off offset:2048
	;; [unrolled: 1-line block ×3, first 2 shown]
	global_load_ubyte v36, v[6:7], off
	global_load_ubyte v37, v[6:7], off offset:1024
	global_load_ubyte v38, v[6:7], off offset:2048
	v_add_co_u32_e32 v4, vcc, s2, v2
	s_movk_i32 s2, 0x4000
	s_nop 0
	v_addc_co_u32_e32 v5, vcc, 0, v3, vcc
	v_add_co_u32_e32 v10, vcc, s2, v2
	s_movk_i32 s3, 0x6000
	s_nop 0
	v_addc_co_u32_e32 v11, vcc, 0, v3, vcc
	global_load_ubyte v39, v[6:7], off offset:3072
	global_load_ubyte v40, v[10:11], off offset:-4096
	global_load_ubyte v41, v[4:5], off offset:1024
	global_load_ubyte v42, v[4:5], off offset:2048
	;; [unrolled: 1-line block ×3, first 2 shown]
	global_load_ubyte v44, v[10:11], off
	global_load_ubyte v45, v[10:11], off offset:1024
	global_load_ubyte v46, v[10:11], off offset:2048
	v_add_co_u32_e32 v4, vcc, s3, v2
	s_movk_i32 s2, 0x5000
	s_nop 0
	v_addc_co_u32_e32 v5, vcc, 0, v3, vcc
	v_add_co_u32_e32 v6, vcc, s2, v2
	s_movk_i32 s2, 0x7000
	s_nop 0
	v_addc_co_u32_e32 v7, vcc, 0, v3, vcc
	v_add_co_u32_e32 v2, vcc, s2, v2
	global_load_ubyte v47, v[10:11], off offset:3072
	global_load_ubyte v48, v[4:5], off offset:-4096
	v_addc_co_u32_e32 v3, vcc, 0, v3, vcc
	global_load_ubyte v10, v[6:7], off offset:1024
	global_load_ubyte v11, v[6:7], off offset:2048
	;; [unrolled: 1-line block ×3, first 2 shown]
	global_load_ubyte v50, v[4:5], off
	global_load_ubyte v51, v[4:5], off offset:1024
	global_load_ubyte v52, v[4:5], off offset:2048
	;; [unrolled: 1-line block ×3, first 2 shown]
	s_nop 0
	global_load_ubyte v4, v[2:3], off
	global_load_ubyte v5, v[2:3], off offset:1024
	s_mov_b64 s[2:3], 0
	s_waitcnt vmcnt(29)
	v_xor_b32_e32 v2, -1, v8
	s_waitcnt vmcnt(28)
	v_xor_b32_e32 v3, -1, v13
	;; [unrolled: 2-line block ×4, first 2 shown]
	v_and_b32_e32 v2, 1, v2
	s_waitcnt vmcnt(24)
	v_xor_b32_e32 v8, -1, v33
	s_waitcnt vmcnt(23)
	v_xor_b32_e32 v13, -1, v34
	;; [unrolled: 2-line block ×3, first 2 shown]
	v_xor_b32_e32 v31, -1, v32
	s_waitcnt vmcnt(21)
	v_xor_b32_e32 v32, -1, v36
	s_waitcnt vmcnt(20)
	;; [unrolled: 2-line block ×11, first 2 shown]
	v_xor_b32_e32 v42, -1, v46
	v_and_b32_e32 v3, 1, v3
	v_and_b32_e32 v6, 1, v6
	;; [unrolled: 1-line block ×5, first 2 shown]
	s_waitcnt vmcnt(8)
	v_xor_b32_e32 v10, -1, v10
	s_waitcnt vmcnt(7)
	v_xor_b32_e32 v11, -1, v11
	v_xor_b32_e32 v43, -1, v47
	;; [unrolled: 1-line block ×3, first 2 shown]
	s_waitcnt vmcnt(6)
	v_xor_b32_e32 v45, -1, v49
	s_waitcnt vmcnt(5)
	v_xor_b32_e32 v46, -1, v50
	;; [unrolled: 2-line block ×7, first 2 shown]
	v_and_b32_e32 v30, 1, v30
	v_and_b32_e32 v31, 1, v31
	;; [unrolled: 1-line block ×24, first 2 shown]
	ds_write_b8 v0, v2
	ds_write_b8 v0, v3 offset:512
	ds_write_b8 v0, v6 offset:1024
	;; [unrolled: 1-line block ×29, first 2 shown]
	s_waitcnt lgkmcnt(0)
	s_barrier
.LBB265_70:
	s_andn2_b64 vcc, exec, s[2:3]
	s_cbranch_vccnz .LBB265_132
; %bb.71:
	v_cmp_gt_u32_e32 vcc, s33, v0
	v_mov_b32_e32 v2, 0
	v_mov_b32_e32 v3, 0
	s_and_saveexec_b64 s[2:3], vcc
	s_cbranch_execz .LBB265_73
; %bb.72:
	global_load_ubyte v3, v12, s[0:1]
	s_waitcnt vmcnt(0)
	v_xor_b32_e32 v3, -1, v3
	v_and_b32_e32 v3, 1, v3
.LBB265_73:
	s_or_b64 exec, exec, s[2:3]
	v_or_b32_e32 v4, 0x200, v0
	v_cmp_gt_u32_e32 vcc, s33, v4
	s_and_saveexec_b64 s[2:3], vcc
	s_cbranch_execz .LBB265_75
; %bb.74:
	global_load_ubyte v2, v12, s[0:1] offset:1024
	s_waitcnt vmcnt(0)
	v_xor_b32_e32 v2, -1, v2
	v_and_b32_e32 v2, 1, v2
.LBB265_75:
	s_or_b64 exec, exec, s[2:3]
	v_or_b32_e32 v4, 0x400, v0
	v_cmp_gt_u32_e32 vcc, s33, v4
	v_mov_b32_e32 v4, 0
	v_mov_b32_e32 v5, 0
	s_and_saveexec_b64 s[2:3], vcc
	s_cbranch_execz .LBB265_77
; %bb.76:
	global_load_ubyte v5, v12, s[0:1] offset:2048
	s_waitcnt vmcnt(0)
	v_xor_b32_e32 v5, -1, v5
	v_and_b32_e32 v5, 1, v5
.LBB265_77:
	s_or_b64 exec, exec, s[2:3]
	v_or_b32_e32 v6, 0x600, v0
	v_cmp_gt_u32_e32 vcc, s33, v6
	s_and_saveexec_b64 s[2:3], vcc
	s_cbranch_execz .LBB265_79
; %bb.78:
	global_load_ubyte v4, v12, s[0:1] offset:3072
	s_waitcnt vmcnt(0)
	v_xor_b32_e32 v4, -1, v4
	v_and_b32_e32 v4, 1, v4
.LBB265_79:
	s_or_b64 exec, exec, s[2:3]
	v_or_b32_e32 v8, 0x800, v0
	v_cmp_gt_u32_e32 vcc, s33, v8
	v_mov_b32_e32 v6, 0
	v_mov_b32_e32 v7, 0
	s_and_saveexec_b64 s[2:3], vcc
	s_cbranch_execz .LBB265_81
; %bb.80:
	v_lshlrev_b32_e32 v7, 1, v8
	global_load_ubyte v7, v7, s[0:1]
	s_waitcnt vmcnt(0)
	v_xor_b32_e32 v7, -1, v7
	v_and_b32_e32 v7, 1, v7
.LBB265_81:
	s_or_b64 exec, exec, s[2:3]
	v_or_b32_e32 v8, 0xa00, v0
	v_cmp_gt_u32_e32 vcc, s33, v8
	s_and_saveexec_b64 s[2:3], vcc
	s_cbranch_execz .LBB265_83
; %bb.82:
	v_lshlrev_b32_e32 v6, 1, v8
	global_load_ubyte v6, v6, s[0:1]
	s_waitcnt vmcnt(0)
	v_xor_b32_e32 v6, -1, v6
	v_and_b32_e32 v6, 1, v6
.LBB265_83:
	s_or_b64 exec, exec, s[2:3]
	v_or_b32_e32 v11, 0xc00, v0
	v_cmp_gt_u32_e32 vcc, s33, v11
	v_mov_b32_e32 v8, 0
	v_mov_b32_e32 v10, 0
	s_and_saveexec_b64 s[2:3], vcc
	s_cbranch_execz .LBB265_85
; %bb.84:
	v_lshlrev_b32_e32 v10, 1, v11
	global_load_ubyte v10, v10, s[0:1]
	s_waitcnt vmcnt(0)
	v_xor_b32_e32 v10, -1, v10
	v_and_b32_e32 v10, 1, v10
.LBB265_85:
	s_or_b64 exec, exec, s[2:3]
	v_or_b32_e32 v11, 0xe00, v0
	v_cmp_gt_u32_e32 vcc, s33, v11
	s_and_saveexec_b64 s[2:3], vcc
	s_cbranch_execz .LBB265_87
; %bb.86:
	v_lshlrev_b32_e32 v8, 1, v11
	global_load_ubyte v8, v8, s[0:1]
	s_waitcnt vmcnt(0)
	v_xor_b32_e32 v8, -1, v8
	v_and_b32_e32 v8, 1, v8
.LBB265_87:
	;; [unrolled: 26-line block ×13, first 2 shown]
	s_or_b64 exec, exec, s[2:3]
	ds_write_b8 v0, v3
	ds_write_b8 v0, v2 offset:512
	ds_write_b8 v0, v5 offset:1024
	;; [unrolled: 1-line block ×29, first 2 shown]
	s_waitcnt lgkmcnt(0)
	s_barrier
.LBB265_132:
	ds_read_b128 v[2:5], v9
	ds_read_b96 v[6:8], v9 offset:16
	ds_read_u16 v38, v9 offset:28
	s_cmp_lg_u32 s42, 0
	v_lshrrev_b32_e32 v67, 6, v0
	s_waitcnt lgkmcnt(0)
	v_lshrrev_b32_e32 v46, 24, v2
	v_bfe_u32 v65, v2, 16, 8
	v_add_u32_sdwa v10, v2, v2 dst_sel:DWORD dst_unused:UNUSED_PAD src0_sel:BYTE_1 src1_sel:BYTE_0
	v_and_b32_e32 v62, 0xff, v3
	v_bfe_u32 v63, v3, 8, 8
	v_add3_u32 v10, v10, v65, v46
	v_lshrrev_b32_e32 v45, 24, v3
	v_bfe_u32 v64, v3, 16, 8
	v_add3_u32 v10, v10, v62, v63
	v_and_b32_e32 v59, 0xff, v4
	v_bfe_u32 v60, v4, 8, 8
	v_add3_u32 v10, v10, v64, v45
	v_lshrrev_b32_e32 v44, 24, v4
	v_bfe_u32 v61, v4, 16, 8
	v_add3_u32 v10, v10, v59, v60
	;; [unrolled: 6-line block ×6, first 2 shown]
	v_lshrrev_b16_e32 v13, 8, v38
	v_and_b32_e32 v40, 0xff, v38
	v_add3_u32 v10, v10, v49, v39
	v_add3_u32 v68, v10, v40, v13
	v_mbcnt_lo_u32_b32 v10, -1, 0
	v_mbcnt_hi_u32_b32 v66, -1, v10
	v_and_b32_e32 v10, 15, v66
	v_cmp_eq_u32_e64 s[14:15], 0, v10
	v_cmp_lt_u32_e64 s[12:13], 1, v10
	v_cmp_lt_u32_e64 s[10:11], 3, v10
	;; [unrolled: 1-line block ×3, first 2 shown]
	v_and_b32_e32 v10, 16, v66
	v_cmp_eq_u32_e64 s[6:7], 0, v10
	v_or_b32_e32 v10, 63, v0
	v_cmp_lt_u32_e64 s[2:3], 31, v66
	v_cmp_eq_u32_e64 s[4:5], v10, v0
	s_barrier
	s_cbranch_scc0 .LBB265_163
; %bb.133:
	v_mov_b32_dpp v10, v68 row_shr:1 row_mask:0xf bank_mask:0xf
	v_cndmask_b32_e64 v10, v10, 0, s[14:15]
	v_add_u32_e32 v10, v10, v68
	s_nop 1
	v_mov_b32_dpp v11, v10 row_shr:2 row_mask:0xf bank_mask:0xf
	v_cndmask_b32_e64 v11, 0, v11, s[12:13]
	v_add_u32_e32 v10, v10, v11
	s_nop 1
	;; [unrolled: 4-line block ×4, first 2 shown]
	v_mov_b32_dpp v11, v10 row_bcast:15 row_mask:0xf bank_mask:0xf
	v_cndmask_b32_e64 v11, v11, 0, s[6:7]
	v_add_u32_e32 v10, v10, v11
	s_nop 1
	v_mov_b32_dpp v11, v10 row_bcast:31 row_mask:0xf bank_mask:0xf
	v_cndmask_b32_e64 v11, 0, v11, s[2:3]
	v_add_u32_e32 v10, v10, v11
	s_and_saveexec_b64 s[0:1], s[4:5]
	s_cbranch_execz .LBB265_135
; %bb.134:
	v_lshlrev_b32_e32 v11, 2, v67
	ds_write_b32 v11, v10
.LBB265_135:
	s_or_b64 exec, exec, s[0:1]
	v_cmp_gt_u32_e32 vcc, 8, v0
	s_waitcnt lgkmcnt(0)
	s_barrier
	s_and_saveexec_b64 s[0:1], vcc
	s_cbranch_execz .LBB265_137
; %bb.136:
	v_lshlrev_b32_e32 v11, 2, v0
	ds_read_b32 v30, v11
	v_and_b32_e32 v31, 7, v66
	v_cmp_ne_u32_e32 vcc, 0, v31
	s_waitcnt lgkmcnt(0)
	v_mov_b32_dpp v32, v30 row_shr:1 row_mask:0xf bank_mask:0xf
	v_cndmask_b32_e32 v32, 0, v32, vcc
	v_add_u32_e32 v30, v32, v30
	v_cmp_lt_u32_e32 vcc, 1, v31
	s_nop 0
	v_mov_b32_dpp v32, v30 row_shr:2 row_mask:0xf bank_mask:0xf
	v_cndmask_b32_e32 v32, 0, v32, vcc
	v_add_u32_e32 v30, v30, v32
	v_cmp_lt_u32_e32 vcc, 3, v31
	s_nop 0
	v_mov_b32_dpp v32, v30 row_shr:4 row_mask:0xf bank_mask:0xf
	v_cndmask_b32_e32 v31, 0, v32, vcc
	v_add_u32_e32 v30, v30, v31
	ds_write_b32 v11, v30
.LBB265_137:
	s_or_b64 exec, exec, s[0:1]
	v_cmp_gt_u32_e32 vcc, 64, v0
	v_cmp_lt_u32_e64 s[0:1], 63, v0
	s_waitcnt lgkmcnt(0)
	s_barrier
	s_waitcnt lgkmcnt(0)
                                        ; implicit-def: $vgpr69
	s_and_saveexec_b64 s[16:17], s[0:1]
	s_cbranch_execz .LBB265_139
; %bb.138:
	v_lshl_add_u32 v11, v67, 2, -4
	ds_read_b32 v69, v11
	s_waitcnt lgkmcnt(0)
	v_add_u32_e32 v10, v69, v10
.LBB265_139:
	s_or_b64 exec, exec, s[16:17]
	v_add_u32_e32 v11, -1, v66
	v_and_b32_e32 v30, 64, v66
	v_cmp_lt_i32_e64 s[0:1], v11, v30
	v_cmp_eq_u32_e64 s[16:17], 0, v66
	s_nop 0
	v_cndmask_b32_e64 v11, v11, v66, s[0:1]
	v_lshlrev_b32_e32 v11, 2, v11
	ds_bpermute_b32 v70, v11, v10
	s_and_saveexec_b64 s[0:1], vcc
	s_cbranch_execz .LBB265_162
; %bb.140:
	v_mov_b32_e32 v37, 0
	ds_read_b32 v10, v37 offset:28
	s_and_saveexec_b64 s[38:39], s[16:17]
	s_cbranch_execz .LBB265_142
; %bb.141:
	s_add_i32 s40, s42, 64
	s_mov_b32 s41, 0
	s_lshl_b64 s[40:41], s[40:41], 3
	s_add_u32 s40, s36, s40
	v_mov_b32_e32 v11, 1
	s_addc_u32 s41, s37, s41
	s_waitcnt lgkmcnt(0)
	global_store_dwordx2 v37, v[10:11], s[40:41] sc1
.LBB265_142:
	s_or_b64 exec, exec, s[38:39]
	v_xad_u32 v30, v66, -1, s42
	v_add_u32_e32 v36, 64, v30
	v_lshl_add_u64 v[32:33], v[36:37], 3, s[36:37]
	global_load_dwordx2 v[34:35], v[32:33], off sc1
	s_waitcnt vmcnt(0)
	v_cmp_eq_u16_sdwa s[40:41], v35, v37 src0_sel:BYTE_0 src1_sel:DWORD
	s_and_saveexec_b64 s[38:39], s[40:41]
	s_cbranch_execz .LBB265_148
; %bb.143:
	s_mov_b32 s25, 1
	s_mov_b64 s[40:41], 0
	v_mov_b32_e32 v11, 0
.LBB265_144:                            ; =>This Loop Header: Depth=1
                                        ;     Child Loop BB265_145 Depth 2
	s_max_u32 s43, s25, 1
.LBB265_145:                            ;   Parent Loop BB265_144 Depth=1
                                        ; =>  This Inner Loop Header: Depth=2
	s_add_i32 s43, s43, -1
	s_cmp_eq_u32 s43, 0
	s_sleep 1
	s_cbranch_scc0 .LBB265_145
; %bb.146:                              ;   in Loop: Header=BB265_144 Depth=1
	global_load_dwordx2 v[34:35], v[32:33], off sc1
	s_cmp_lt_u32 s25, 32
	s_cselect_b64 s[44:45], -1, 0
	s_cmp_lg_u64 s[44:45], 0
	s_addc_u32 s25, s25, 0
	s_waitcnt vmcnt(0)
	v_cmp_ne_u16_sdwa s[44:45], v35, v11 src0_sel:BYTE_0 src1_sel:DWORD
	s_or_b64 s[40:41], s[44:45], s[40:41]
	s_andn2_b64 exec, exec, s[40:41]
	s_cbranch_execnz .LBB265_144
; %bb.147:
	s_or_b64 exec, exec, s[40:41]
.LBB265_148:
	s_or_b64 exec, exec, s[38:39]
	v_and_b32_e32 v72, 63, v66
	v_mov_b32_e32 v71, 2
	v_cmp_ne_u32_e32 vcc, 63, v72
	v_cmp_eq_u16_sdwa s[38:39], v35, v71 src0_sel:BYTE_0 src1_sel:DWORD
	v_lshlrev_b64 v[32:33], v66, -1
	v_addc_co_u32_e32 v36, vcc, 0, v66, vcc
	v_and_b32_e32 v11, s39, v33
	v_lshlrev_b32_e32 v73, 2, v36
	v_or_b32_e32 v11, 0x80000000, v11
	ds_bpermute_b32 v36, v73, v34
	v_and_b32_e32 v31, s38, v32
	v_ffbl_b32_e32 v11, v11
	v_add_u32_e32 v11, 32, v11
	v_ffbl_b32_e32 v31, v31
	v_min_u32_e32 v11, v31, v11
	v_cmp_lt_u32_e32 vcc, v72, v11
	v_add_u32_e32 v75, 2, v72
	v_add_u32_e32 v77, 4, v72
	s_waitcnt lgkmcnt(0)
	v_cndmask_b32_e32 v31, 0, v36, vcc
	v_cmp_gt_u32_e32 vcc, 62, v72
	v_add_u32_e32 v31, v31, v34
	v_add_u32_e32 v79, 8, v72
	v_cndmask_b32_e64 v34, 0, 1, vcc
	v_lshlrev_b32_e32 v34, 1, v34
	v_add_lshl_u32 v74, v34, v66, 2
	ds_bpermute_b32 v34, v74, v31
	v_cmp_le_u32_e32 vcc, v75, v11
	v_add_u32_e32 v81, 16, v72
	v_add_u32_e32 v83, 32, v72
	s_waitcnt lgkmcnt(0)
	v_cndmask_b32_e32 v34, 0, v34, vcc
	v_cmp_gt_u32_e32 vcc, 60, v72
	v_add_u32_e32 v31, v31, v34
	s_nop 0
	v_cndmask_b32_e64 v34, 0, 1, vcc
	v_lshlrev_b32_e32 v34, 2, v34
	v_add_lshl_u32 v76, v34, v66, 2
	ds_bpermute_b32 v34, v76, v31
	v_cmp_le_u32_e32 vcc, v77, v11
	s_waitcnt lgkmcnt(0)
	s_nop 0
	v_cndmask_b32_e32 v34, 0, v34, vcc
	v_cmp_gt_u32_e32 vcc, 56, v72
	v_add_u32_e32 v31, v31, v34
	s_nop 0
	v_cndmask_b32_e64 v34, 0, 1, vcc
	v_lshlrev_b32_e32 v34, 3, v34
	v_add_lshl_u32 v78, v34, v66, 2
	ds_bpermute_b32 v34, v78, v31
	v_cmp_le_u32_e32 vcc, v79, v11
	s_waitcnt lgkmcnt(0)
	s_nop 0
	;; [unrolled: 11-line block ×4, first 2 shown]
	v_cndmask_b32_e32 v11, 0, v34, vcc
	v_add_u32_e32 v34, v31, v11
	v_mov_b32_e32 v31, 0
	s_branch .LBB265_150
.LBB265_149:                            ;   in Loop: Header=BB265_150 Depth=1
	s_or_b64 exec, exec, s[38:39]
	v_cmp_eq_u16_sdwa s[38:39], v35, v71 src0_sel:BYTE_0 src1_sel:DWORD
	ds_bpermute_b32 v84, v73, v34
	v_subrev_u32_e32 v30, 64, v30
	v_and_b32_e32 v36, s39, v33
	v_or_b32_e32 v36, 0x80000000, v36
	v_and_b32_e32 v37, s38, v32
	v_ffbl_b32_e32 v36, v36
	v_add_u32_e32 v36, 32, v36
	v_ffbl_b32_e32 v37, v37
	v_min_u32_e32 v36, v37, v36
	v_cmp_lt_u32_e32 vcc, v72, v36
	s_waitcnt lgkmcnt(0)
	s_nop 0
	v_cndmask_b32_e32 v37, 0, v84, vcc
	v_add_u32_e32 v34, v37, v34
	ds_bpermute_b32 v37, v74, v34
	v_cmp_le_u32_e32 vcc, v75, v36
	s_waitcnt lgkmcnt(0)
	s_nop 0
	v_cndmask_b32_e32 v37, 0, v37, vcc
	v_add_u32_e32 v34, v34, v37
	ds_bpermute_b32 v37, v76, v34
	v_cmp_le_u32_e32 vcc, v77, v36
	;; [unrolled: 6-line block ×5, first 2 shown]
	s_waitcnt lgkmcnt(0)
	s_nop 0
	v_cndmask_b32_e32 v36, 0, v37, vcc
	v_add3_u32 v34, v36, v11, v34
.LBB265_150:                            ; =>This Loop Header: Depth=1
                                        ;     Child Loop BB265_153 Depth 2
                                        ;       Child Loop BB265_154 Depth 3
	v_cmp_ne_u16_sdwa s[38:39], v35, v71 src0_sel:BYTE_0 src1_sel:DWORD
	s_nop 1
	v_cndmask_b32_e64 v11, 0, 1, s[38:39]
	;;#ASMSTART
	;;#ASMEND
	s_nop 0
	v_cmp_ne_u32_e32 vcc, 0, v11
	s_cmp_lg_u64 vcc, exec
	v_mov_b32_e32 v11, v34
	s_cbranch_scc1 .LBB265_157
; %bb.151:                              ;   in Loop: Header=BB265_150 Depth=1
	v_lshl_add_u64 v[36:37], v[30:31], 3, s[36:37]
	global_load_dwordx2 v[34:35], v[36:37], off sc1
	s_waitcnt vmcnt(0)
	v_cmp_eq_u16_sdwa s[40:41], v35, v31 src0_sel:BYTE_0 src1_sel:DWORD
	s_and_saveexec_b64 s[38:39], s[40:41]
	s_cbranch_execz .LBB265_149
; %bb.152:                              ;   in Loop: Header=BB265_150 Depth=1
	s_mov_b32 s25, 1
	s_mov_b64 s[40:41], 0
.LBB265_153:                            ;   Parent Loop BB265_150 Depth=1
                                        ; =>  This Loop Header: Depth=2
                                        ;       Child Loop BB265_154 Depth 3
	s_max_u32 s43, s25, 1
.LBB265_154:                            ;   Parent Loop BB265_150 Depth=1
                                        ;     Parent Loop BB265_153 Depth=2
                                        ; =>    This Inner Loop Header: Depth=3
	s_add_i32 s43, s43, -1
	s_cmp_eq_u32 s43, 0
	s_sleep 1
	s_cbranch_scc0 .LBB265_154
; %bb.155:                              ;   in Loop: Header=BB265_153 Depth=2
	global_load_dwordx2 v[34:35], v[36:37], off sc1
	s_cmp_lt_u32 s25, 32
	s_cselect_b64 s[44:45], -1, 0
	s_cmp_lg_u64 s[44:45], 0
	s_addc_u32 s25, s25, 0
	s_waitcnt vmcnt(0)
	v_cmp_ne_u16_sdwa s[44:45], v35, v31 src0_sel:BYTE_0 src1_sel:DWORD
	s_or_b64 s[40:41], s[44:45], s[40:41]
	s_andn2_b64 exec, exec, s[40:41]
	s_cbranch_execnz .LBB265_153
; %bb.156:                              ;   in Loop: Header=BB265_150 Depth=1
	s_or_b64 exec, exec, s[40:41]
	s_branch .LBB265_149
.LBB265_157:                            ;   in Loop: Header=BB265_150 Depth=1
                                        ; implicit-def: $vgpr34
                                        ; implicit-def: $vgpr35
	s_cbranch_execz .LBB265_150
; %bb.158:
	s_and_saveexec_b64 s[38:39], s[16:17]
	s_cbranch_execz .LBB265_160
; %bb.159:
	s_add_i32 s40, s42, 64
	s_mov_b32 s41, 0
	s_lshl_b64 s[40:41], s[40:41], 3
	s_add_u32 s40, s36, s40
	v_add_u32_e32 v30, v11, v10
	v_mov_b32_e32 v31, 2
	s_addc_u32 s41, s37, s41
	v_mov_b32_e32 v32, 0
	global_store_dwordx2 v32, v[30:31], s[40:41] sc1
	ds_write_b64 v32, v[10:11] offset:30720
.LBB265_160:
	s_or_b64 exec, exec, s[38:39]
	s_and_b64 exec, exec, s[18:19]
	s_cbranch_execz .LBB265_162
; %bb.161:
	v_mov_b32_e32 v10, 0
	ds_write_b32 v10, v11 offset:28
.LBB265_162:
	s_or_b64 exec, exec, s[0:1]
	v_mov_b32_e32 v10, 0
	s_waitcnt lgkmcnt(0)
	s_barrier
	ds_read_b32 v30, v10 offset:28
	s_waitcnt lgkmcnt(0)
	s_barrier
	ds_read_b64 v[10:11], v10 offset:30720
	v_cndmask_b32_e64 v31, v70, v69, s[16:17]
	v_cndmask_b32_e64 v31, v31, 0, s[18:19]
	v_add_u32_e32 v35, v30, v31
	s_waitcnt lgkmcnt(0)
	v_mov_b32_e32 v70, v11
	s_branch .LBB265_173
.LBB265_163:
                                        ; implicit-def: $vgpr70
                                        ; implicit-def: $vgpr10
                                        ; implicit-def: $vgpr35
	s_cbranch_execz .LBB265_173
; %bb.164:
	s_nop 0
	v_mov_b32_dpp v10, v68 row_shr:1 row_mask:0xf bank_mask:0xf
	v_cndmask_b32_e64 v10, v10, 0, s[14:15]
	v_add_u32_e32 v10, v10, v68
	s_nop 1
	v_mov_b32_dpp v11, v10 row_shr:2 row_mask:0xf bank_mask:0xf
	v_cndmask_b32_e64 v11, 0, v11, s[12:13]
	v_add_u32_e32 v10, v10, v11
	;; [unrolled: 4-line block ×4, first 2 shown]
	s_nop 1
	v_mov_b32_dpp v11, v10 row_bcast:15 row_mask:0xf bank_mask:0xf
	v_cndmask_b32_e64 v11, v11, 0, s[6:7]
	v_add_u32_e32 v10, v10, v11
	s_nop 1
	v_mov_b32_dpp v11, v10 row_bcast:31 row_mask:0xf bank_mask:0xf
	v_cndmask_b32_e64 v11, 0, v11, s[2:3]
	v_add_u32_e32 v10, v10, v11
	s_and_saveexec_b64 s[0:1], s[4:5]
	s_cbranch_execz .LBB265_166
; %bb.165:
	v_lshlrev_b32_e32 v11, 2, v67
	ds_write_b32 v11, v10
.LBB265_166:
	s_or_b64 exec, exec, s[0:1]
	v_cmp_gt_u32_e32 vcc, 8, v0
	s_waitcnt lgkmcnt(0)
	s_barrier
	s_and_saveexec_b64 s[0:1], vcc
	s_cbranch_execz .LBB265_168
; %bb.167:
	v_lshlrev_b32_e32 v11, 2, v0
	ds_read_b32 v30, v11
	v_and_b32_e32 v31, 7, v66
	v_cmp_ne_u32_e32 vcc, 0, v31
	s_waitcnt lgkmcnt(0)
	v_mov_b32_dpp v32, v30 row_shr:1 row_mask:0xf bank_mask:0xf
	v_cndmask_b32_e32 v32, 0, v32, vcc
	v_add_u32_e32 v30, v32, v30
	v_cmp_lt_u32_e32 vcc, 1, v31
	s_nop 0
	v_mov_b32_dpp v32, v30 row_shr:2 row_mask:0xf bank_mask:0xf
	v_cndmask_b32_e32 v32, 0, v32, vcc
	v_add_u32_e32 v30, v30, v32
	v_cmp_lt_u32_e32 vcc, 3, v31
	s_nop 0
	v_mov_b32_dpp v32, v30 row_shr:4 row_mask:0xf bank_mask:0xf
	v_cndmask_b32_e32 v31, 0, v32, vcc
	v_add_u32_e32 v30, v30, v31
	ds_write_b32 v11, v30
.LBB265_168:
	s_or_b64 exec, exec, s[0:1]
	v_cmp_lt_u32_e32 vcc, 63, v0
	v_mov_b32_e32 v11, 0
	v_mov_b32_e32 v30, 0
	s_waitcnt lgkmcnt(0)
	s_barrier
	s_and_saveexec_b64 s[0:1], vcc
	s_cbranch_execz .LBB265_170
; %bb.169:
	v_lshl_add_u32 v30, v67, 2, -4
	ds_read_b32 v30, v30
.LBB265_170:
	s_or_b64 exec, exec, s[0:1]
	v_add_u32_e32 v31, -1, v66
	v_and_b32_e32 v32, 64, v66
	v_cmp_lt_i32_e32 vcc, v31, v32
	s_waitcnt lgkmcnt(0)
	v_add_u32_e32 v10, v30, v10
	v_cndmask_b32_e32 v31, v31, v66, vcc
	v_lshlrev_b32_e32 v31, 2, v31
	ds_bpermute_b32 v31, v31, v10
	ds_read_b32 v10, v11 offset:28
	s_and_saveexec_b64 s[0:1], s[18:19]
	s_cbranch_execz .LBB265_172
; %bb.171:
	v_mov_b32_e32 v32, 0
	v_mov_b32_e32 v11, 2
	s_waitcnt lgkmcnt(0)
	global_store_dwordx2 v32, v[10:11], s[36:37] offset:512 sc1
.LBB265_172:
	s_or_b64 exec, exec, s[0:1]
	v_cmp_eq_u32_e32 vcc, 0, v66
	v_mov_b32_e32 v70, 0
	s_waitcnt lgkmcnt(0)
	v_cndmask_b32_e32 v11, v31, v30, vcc
	v_cndmask_b32_e64 v35, v11, 0, s[18:19]
	s_barrier
.LBB265_173:
	v_add_u32_sdwa v37, v35, v2 dst_sel:DWORD dst_unused:UNUSED_PAD src0_sel:DWORD src1_sel:BYTE_0
	v_add_u32_e32 v9, v10, v9
	v_sub_u32_e32 v35, v35, v70
	v_and_b32_e32 v76, 1, v2
	v_sub_u32_e32 v75, v9, v35
	v_cmp_eq_u32_e32 vcc, 1, v76
	v_lshrrev_b32_e32 v36, 8, v2
	v_add_u32_sdwa v66, v37, v2 dst_sel:DWORD dst_unused:UNUSED_PAD src0_sel:DWORD src1_sel:BYTE_1
	v_cndmask_b32_e32 v35, v75, v35, vcc
	v_lshlrev_b32_e32 v35, 1, v35
	ds_write_b16 v35, v28
	v_sub_u32_e32 v35, v37, v70
	v_sub_u32_e32 v37, v9, v35
	v_and_b32_e32 v36, 1, v36
	v_add_u32_e32 v37, 1, v37
	v_cmp_eq_u32_e32 vcc, 1, v36
	v_mov_b32_e32 v36, 1
	v_and_b32_sdwa v2, v36, v2 dst_sel:DWORD dst_unused:UNUSED_PAD src0_sel:DWORD src1_sel:WORD_1
	v_cndmask_b32_e32 v35, v37, v35, vcc
	v_lshlrev_b32_e32 v35, 1, v35
	ds_write_b16_d16_hi v35, v28
	v_sub_u32_e32 v28, v66, v70
	v_sub_u32_e32 v35, v9, v28
	v_add_u32_e32 v35, 2, v35
	v_cmp_eq_u32_e32 vcc, 1, v2
	v_add_u32_e32 v65, v66, v65
	v_add_u32_e32 v67, v65, v46
	v_cndmask_b32_e32 v2, v35, v28, vcc
	v_lshlrev_b32_e32 v2, 1, v2
	ds_write_b16 v2, v29
	v_sub_u32_e32 v2, v65, v70
	v_sub_u32_e32 v28, v9, v2
	v_and_b32_e32 v35, 1, v46
	v_add_u32_e32 v28, 3, v28
	v_cmp_eq_u32_e32 vcc, 1, v35
	v_add_u32_e32 v62, v67, v62
	v_lshrrev_b32_e32 v34, 8, v3
	v_cndmask_b32_e32 v2, v28, v2, vcc
	v_lshlrev_b32_e32 v2, 1, v2
	ds_write_b16_d16_hi v2, v29
	v_sub_u32_e32 v2, v67, v70
	v_sub_u32_e32 v28, v9, v2
	v_and_b32_e32 v29, 1, v3
	v_add_u32_e32 v28, 4, v28
	v_cmp_eq_u32_e32 vcc, 1, v29
	v_and_b32_e32 v29, 1, v34
	v_add_u32_e32 v63, v62, v63
	v_cndmask_b32_e32 v2, v28, v2, vcc
	v_lshlrev_b32_e32 v2, 1, v2
	ds_write_b16 v2, v26
	v_sub_u32_e32 v2, v62, v70
	v_sub_u32_e32 v28, v9, v2
	v_add_u32_e32 v28, 5, v28
	v_cmp_eq_u32_e32 vcc, 1, v29
	v_and_b32_sdwa v3, v36, v3 dst_sel:DWORD dst_unused:UNUSED_PAD src0_sel:DWORD src1_sel:WORD_1
	v_add_u32_e32 v64, v63, v64
	v_cndmask_b32_e32 v2, v28, v2, vcc
	v_lshlrev_b32_e32 v2, 1, v2
	ds_write_b16_d16_hi v2, v26
	v_sub_u32_e32 v2, v63, v70
	v_sub_u32_e32 v26, v9, v2
	v_add_u32_e32 v26, 6, v26
	v_cmp_eq_u32_e32 vcc, 1, v3
	v_add_u32_e32 v68, v64, v45
	v_add_u32_e32 v59, v68, v59
	v_cndmask_b32_e32 v2, v26, v2, vcc
	v_lshlrev_b32_e32 v2, 1, v2
	ds_write_b16 v2, v27
	v_sub_u32_e32 v2, v64, v70
	v_sub_u32_e32 v3, v9, v2
	v_and_b32_e32 v26, 1, v45
	v_add_u32_e32 v3, 7, v3
	v_cmp_eq_u32_e32 vcc, 1, v26
	v_and_b32_e32 v26, 1, v4
	v_lshrrev_b32_e32 v33, 8, v4
	v_cndmask_b32_e32 v2, v3, v2, vcc
	v_lshlrev_b32_e32 v2, 1, v2
	ds_write_b16_d16_hi v2, v27
	v_sub_u32_e32 v2, v68, v70
	v_sub_u32_e32 v3, v9, v2
	v_add_u32_e32 v3, 8, v3
	v_cmp_eq_u32_e32 vcc, 1, v26
	v_and_b32_e32 v26, 1, v33
	v_add_u32_e32 v60, v59, v60
	v_cndmask_b32_e32 v2, v3, v2, vcc
	v_lshlrev_b32_e32 v2, 1, v2
	ds_write_b16 v2, v24
	v_sub_u32_e32 v2, v59, v70
	v_sub_u32_e32 v3, v9, v2
	v_add_u32_e32 v3, 9, v3
	v_cmp_eq_u32_e32 vcc, 1, v26
	v_and_b32_sdwa v4, v36, v4 dst_sel:DWORD dst_unused:UNUSED_PAD src0_sel:DWORD src1_sel:WORD_1
	v_add_u32_e32 v61, v60, v61
	v_cndmask_b32_e32 v2, v3, v2, vcc
	v_lshlrev_b32_e32 v2, 1, v2
	ds_write_b16_d16_hi v2, v24
	v_sub_u32_e32 v2, v60, v70
	v_sub_u32_e32 v3, v9, v2
	v_add_u32_e32 v3, 10, v3
	v_cmp_eq_u32_e32 vcc, 1, v4
	v_and_b32_e32 v4, 1, v44
	v_add_u32_e32 v69, v61, v44
	v_cndmask_b32_e32 v2, v3, v2, vcc
	v_lshlrev_b32_e32 v2, 1, v2
	ds_write_b16 v2, v25
	v_sub_u32_e32 v2, v61, v70
	v_sub_u32_e32 v3, v9, v2
	v_add_u32_e32 v3, 11, v3
	v_cmp_eq_u32_e32 vcc, 1, v4
	v_and_b32_e32 v4, 1, v5
	v_add_u32_e32 v56, v69, v56
	v_cndmask_b32_e32 v2, v3, v2, vcc
	v_lshlrev_b32_e32 v2, 1, v2
	ds_write_b16_d16_hi v2, v25
	v_sub_u32_e32 v2, v69, v70
	v_sub_u32_e32 v3, v9, v2
	v_add_u32_e32 v3, 12, v3
	v_cmp_eq_u32_e32 vcc, 1, v4
	v_lshrrev_b32_e32 v32, 8, v5
	v_and_b32_e32 v4, 1, v32
	v_cndmask_b32_e32 v2, v3, v2, vcc
	v_lshlrev_b32_e32 v2, 1, v2
	ds_write_b16 v2, v22
	v_sub_u32_e32 v2, v56, v70
	v_sub_u32_e32 v3, v9, v2
	v_add_u32_e32 v3, 13, v3
	v_cmp_eq_u32_e32 vcc, 1, v4
	v_add_u32_e32 v57, v56, v57
	v_and_b32_sdwa v4, v36, v5 dst_sel:DWORD dst_unused:UNUSED_PAD src0_sel:DWORD src1_sel:WORD_1
	v_cndmask_b32_e32 v2, v3, v2, vcc
	v_lshlrev_b32_e32 v2, 1, v2
	ds_write_b16_d16_hi v2, v22
	v_sub_u32_e32 v2, v57, v70
	v_sub_u32_e32 v3, v9, v2
	v_add_u32_e32 v3, 14, v3
	v_cmp_eq_u32_e32 vcc, 1, v4
	v_add_u32_e32 v58, v57, v58
	v_and_b32_e32 v4, 1, v43
	v_cndmask_b32_e32 v2, v3, v2, vcc
	v_lshlrev_b32_e32 v2, 1, v2
	ds_write_b16 v2, v23
	v_sub_u32_e32 v2, v58, v70
	v_sub_u32_e32 v3, v9, v2
	v_add_u32_e32 v3, 15, v3
	v_cmp_eq_u32_e32 vcc, 1, v4
	v_add_u32_e32 v71, v58, v43
	v_and_b32_e32 v4, 1, v6
	v_cndmask_b32_e32 v2, v3, v2, vcc
	v_lshlrev_b32_e32 v2, 1, v2
	ds_write_b16_d16_hi v2, v23
	v_sub_u32_e32 v2, v71, v70
	v_sub_u32_e32 v3, v9, v2
	v_add_u32_e32 v3, 16, v3
	v_cmp_eq_u32_e32 vcc, 1, v4
	v_add_u32_e32 v53, v71, v53
	v_lshrrev_b32_e32 v31, 8, v6
	v_cndmask_b32_e32 v2, v3, v2, vcc
	v_lshlrev_b32_e32 v2, 1, v2
	ds_write_b16 v2, v20
	v_sub_u32_e32 v2, v53, v70
	v_sub_u32_e32 v3, v9, v2
	v_and_b32_e32 v4, 1, v31
	v_add_u32_e32 v3, 17, v3
	v_cmp_eq_u32_e32 vcc, 1, v4
	v_add_u32_e32 v54, v53, v54
	v_and_b32_sdwa v4, v36, v6 dst_sel:DWORD dst_unused:UNUSED_PAD src0_sel:DWORD src1_sel:WORD_1
	v_cndmask_b32_e32 v2, v3, v2, vcc
	v_lshlrev_b32_e32 v2, 1, v2
	ds_write_b16_d16_hi v2, v20
	v_sub_u32_e32 v2, v54, v70
	v_sub_u32_e32 v3, v9, v2
	v_add_u32_e32 v3, 18, v3
	v_cmp_eq_u32_e32 vcc, 1, v4
	v_add_u32_e32 v55, v54, v55
	v_and_b32_e32 v4, 1, v42
	v_cndmask_b32_e32 v2, v3, v2, vcc
	v_lshlrev_b32_e32 v2, 1, v2
	ds_write_b16 v2, v21
	v_sub_u32_e32 v2, v55, v70
	v_sub_u32_e32 v3, v9, v2
	v_add_u32_e32 v3, 19, v3
	v_cmp_eq_u32_e32 vcc, 1, v4
	v_add_u32_e32 v72, v55, v42
	v_and_b32_e32 v4, 1, v7
	v_cndmask_b32_e32 v2, v3, v2, vcc
	v_lshlrev_b32_e32 v2, 1, v2
	ds_write_b16_d16_hi v2, v21
	v_sub_u32_e32 v2, v72, v70
	v_sub_u32_e32 v3, v9, v2
	v_add_u32_e32 v3, 20, v3
	v_cmp_eq_u32_e32 vcc, 1, v4
	v_add_u32_e32 v50, v72, v50
	v_lshrrev_b32_e32 v30, 8, v7
	v_cndmask_b32_e32 v2, v3, v2, vcc
	v_lshlrev_b32_e32 v2, 1, v2
	ds_write_b16 v2, v18
	v_sub_u32_e32 v2, v50, v70
	v_sub_u32_e32 v3, v9, v2
	v_and_b32_e32 v4, 1, v30
	;; [unrolled: 37-line block ×3, first 2 shown]
	v_add_u32_e32 v3, 25, v3
	v_cmp_eq_u32_e32 vcc, 1, v4
	v_add_u32_e32 v48, v47, v48
	v_and_b32_sdwa v4, v36, v8 dst_sel:DWORD dst_unused:UNUSED_PAD src0_sel:DWORD src1_sel:WORD_1
	v_cndmask_b32_e32 v2, v3, v2, vcc
	v_lshlrev_b32_e32 v2, 1, v2
	ds_write_b16_d16_hi v2, v16
	v_sub_u32_e32 v2, v48, v70
	v_sub_u32_e32 v3, v9, v2
	v_add_u32_e32 v3, 26, v3
	v_cmp_eq_u32_e32 vcc, 1, v4
	v_add_u32_e32 v49, v48, v49
	v_and_b32_e32 v4, 1, v39
	v_cndmask_b32_e32 v2, v3, v2, vcc
	v_lshlrev_b32_e32 v2, 1, v2
	ds_write_b16 v2, v17
	v_sub_u32_e32 v2, v49, v70
	v_sub_u32_e32 v3, v9, v2
	v_add_u32_e32 v3, 27, v3
	v_cmp_eq_u32_e32 vcc, 1, v4
	v_add_u32_e32 v74, v49, v39
	v_and_b32_e32 v4, 1, v38
	v_cndmask_b32_e32 v2, v3, v2, vcc
	v_lshlrev_b32_e32 v2, 1, v2
	ds_write_b16_d16_hi v2, v17
	v_sub_u32_e32 v2, v74, v70
	v_sub_u32_e32 v3, v9, v2
	v_add_u32_e32 v3, 28, v3
	v_cmp_eq_u32_e32 vcc, 1, v4
	v_and_b32_e32 v4, 1, v13
	s_add_u32 s0, s26, s24
	v_cndmask_b32_e32 v2, v3, v2, vcc
	v_lshlrev_b32_e32 v2, 1, v2
	ds_write_b16 v2, v1
	v_sub_u32_e32 v2, v40, v70
	v_add_u32_e32 v2, v74, v2
	v_sub_u32_e32 v3, v9, v2
	v_add_u32_e32 v3, 29, v3
	v_cmp_eq_u32_e32 vcc, 1, v4
	s_addc_u32 s1, s27, 0
	s_sub_u32 s0, s30, s0
	v_cndmask_b32_e32 v2, v3, v2, vcc
	v_lshlrev_b32_e32 v2, 1, v2
	ds_write_b16_d16_hi v2, v1
	s_waitcnt lgkmcnt(0)
	s_barrier
	ds_read_u16 v101, v12
	ds_read_u16 v100, v12 offset:1024
	ds_read_u16 v99, v12 offset:2048
	;; [unrolled: 1-line block ×29, first 2 shown]
	v_mov_b32_e32 v1, 0
	v_mov_b32_e32 v71, v1
	;; [unrolled: 1-line block ×3, first 2 shown]
	s_subb_u32 s1, s31, s1
	s_waitcnt vmcnt(0)
	v_lshl_add_u64 v[2:3], v[14:15], 0, v[70:71]
	v_lshl_add_u64 v[6:7], s[0:1], 0, v[10:11]
	v_or_b32_e32 v68, 0x200, v0
	v_mov_b32_e32 v69, v1
	v_or_b32_e32 v66, 0x400, v0
	v_mov_b32_e32 v67, v1
	v_or_b32_e32 v64, 0x600, v0
	v_mov_b32_e32 v65, v1
	v_or_b32_e32 v62, 0x800, v0
	v_mov_b32_e32 v63, v1
	v_or_b32_e32 v60, 0xa00, v0
	v_mov_b32_e32 v61, v1
	v_or_b32_e32 v58, 0xc00, v0
	v_mov_b32_e32 v59, v1
	v_or_b32_e32 v56, 0xe00, v0
	v_mov_b32_e32 v57, v1
	v_or_b32_e32 v54, 0x1000, v0
	v_mov_b32_e32 v55, v1
	v_or_b32_e32 v52, 0x1200, v0
	v_mov_b32_e32 v53, v1
	v_or_b32_e32 v50, 0x1400, v0
	v_mov_b32_e32 v51, v1
	v_or_b32_e32 v48, 0x1600, v0
	v_mov_b32_e32 v49, v1
	v_or_b32_e32 v46, 0x1800, v0
	v_mov_b32_e32 v47, v1
	v_or_b32_e32 v44, 0x1a00, v0
	v_mov_b32_e32 v45, v1
	v_or_b32_e32 v42, 0x1c00, v0
	v_mov_b32_e32 v43, v1
	v_or_b32_e32 v40, 0x1e00, v0
	v_mov_b32_e32 v41, v1
	v_or_b32_e32 v38, 0x2000, v0
	v_mov_b32_e32 v39, v1
	v_or_b32_e32 v36, 0x2200, v0
	v_mov_b32_e32 v37, v1
	v_or_b32_e32 v34, 0x2400, v0
	v_mov_b32_e32 v35, v1
	v_or_b32_e32 v32, 0x2600, v0
	v_mov_b32_e32 v33, v1
	v_or_b32_e32 v30, 0x2800, v0
	v_mov_b32_e32 v31, v1
	v_or_b32_e32 v28, 0x2a00, v0
	v_mov_b32_e32 v29, v1
	v_or_b32_e32 v26, 0x2c00, v0
	v_mov_b32_e32 v27, v1
	v_or_b32_e32 v24, 0x2e00, v0
	v_mov_b32_e32 v25, v1
	v_or_b32_e32 v22, 0x3000, v0
	v_mov_b32_e32 v23, v1
	v_or_b32_e32 v20, 0x3200, v0
	v_mov_b32_e32 v21, v1
	v_or_b32_e32 v18, 0x3400, v0
	v_mov_b32_e32 v19, v1
	v_or_b32_e32 v16, 0x3600, v0
	v_mov_b32_e32 v17, v1
	v_or_b32_e32 v8, 0x3800, v0
	v_mov_b32_e32 v9, v1
	v_or_b32_e32 v4, 0x3a00, v0
	v_mov_b32_e32 v5, v1
	s_andn2_b64 vcc, exec, s[34:35]
	v_lshl_add_u64 v[6:7], v[6:7], 0, v[2:3]
	s_cbranch_vccnz .LBB265_298
; %bb.174:
	v_cmp_ge_u32_e32 vcc, v0, v10
                                        ; implicit-def: $vgpr12_vgpr13
	s_and_saveexec_b64 s[0:1], vcc
	s_xor_b64 s[0:1], exec, s[0:1]
; %bb.175:
	v_not_b32_e32 v12, v0
	v_ashrrev_i32_e32 v13, 31, v12
	v_lshl_add_u64 v[12:13], v[6:7], 0, v[12:13]
; %bb.176:
	s_andn2_saveexec_b64 s[0:1], s[0:1]
; %bb.177:
	v_lshl_add_u64 v[12:13], v[2:3], 0, v[0:1]
; %bb.178:
	s_or_b64 exec, exec, s[0:1]
	v_lshl_add_u64 v[12:13], v[12:13], 1, s[28:29]
	v_cmp_ge_u32_e32 vcc, v68, v10
	s_waitcnt lgkmcnt(14)
	global_store_short v[12:13], v101, off
                                        ; implicit-def: $vgpr12_vgpr13
	s_and_saveexec_b64 s[0:1], vcc
	s_xor_b64 s[0:1], exec, s[0:1]
; %bb.179:
	v_xor_b32_e32 v12, 0xfffffdff, v0
	v_ashrrev_i32_e32 v13, 31, v12
	v_lshl_add_u64 v[12:13], v[6:7], 0, v[12:13]
; %bb.180:
	s_andn2_saveexec_b64 s[0:1], s[0:1]
; %bb.181:
	v_lshl_add_u64 v[12:13], v[2:3], 0, v[68:69]
; %bb.182:
	s_or_b64 exec, exec, s[0:1]
	v_lshl_add_u64 v[12:13], v[12:13], 1, s[28:29]
	v_cmp_ge_u32_e32 vcc, v66, v10
	global_store_short v[12:13], v100, off
                                        ; implicit-def: $vgpr12_vgpr13
	s_and_saveexec_b64 s[0:1], vcc
	s_xor_b64 s[0:1], exec, s[0:1]
; %bb.183:
	v_xor_b32_e32 v12, 0xfffffbff, v0
	v_ashrrev_i32_e32 v13, 31, v12
	v_lshl_add_u64 v[12:13], v[6:7], 0, v[12:13]
; %bb.184:
	s_andn2_saveexec_b64 s[0:1], s[0:1]
; %bb.185:
	v_lshl_add_u64 v[12:13], v[2:3], 0, v[66:67]
; %bb.186:
	s_or_b64 exec, exec, s[0:1]
	v_lshl_add_u64 v[12:13], v[12:13], 1, s[28:29]
	v_cmp_ge_u32_e32 vcc, v64, v10
	;; [unrolled: 16-line block ×16, first 2 shown]
	s_waitcnt lgkmcnt(13)
	global_store_short v[12:13], v85, off
                                        ; implicit-def: $vgpr12_vgpr13
	s_and_saveexec_b64 s[0:1], vcc
	s_xor_b64 s[0:1], exec, s[0:1]
; %bb.243:
	v_xor_b32_e32 v12, 0xffffddff, v0
	v_ashrrev_i32_e32 v13, 31, v12
	v_lshl_add_u64 v[12:13], v[6:7], 0, v[12:13]
; %bb.244:
	s_andn2_saveexec_b64 s[0:1], s[0:1]
; %bb.245:
	v_lshl_add_u64 v[12:13], v[2:3], 0, v[36:37]
; %bb.246:
	s_or_b64 exec, exec, s[0:1]
	v_lshl_add_u64 v[12:13], v[12:13], 1, s[28:29]
	v_cmp_ge_u32_e32 vcc, v34, v10
	s_waitcnt lgkmcnt(12)
	global_store_short v[12:13], v84, off
                                        ; implicit-def: $vgpr12_vgpr13
	s_and_saveexec_b64 s[0:1], vcc
	s_xor_b64 s[0:1], exec, s[0:1]
; %bb.247:
	v_xor_b32_e32 v12, 0xffffdbff, v0
	v_ashrrev_i32_e32 v13, 31, v12
	v_lshl_add_u64 v[12:13], v[6:7], 0, v[12:13]
; %bb.248:
	s_andn2_saveexec_b64 s[0:1], s[0:1]
; %bb.249:
	v_lshl_add_u64 v[12:13], v[2:3], 0, v[34:35]
; %bb.250:
	s_or_b64 exec, exec, s[0:1]
	v_lshl_add_u64 v[12:13], v[12:13], 1, s[28:29]
	v_cmp_ge_u32_e32 vcc, v32, v10
	;; [unrolled: 17-line block ×12, first 2 shown]
	s_waitcnt lgkmcnt(1)
	global_store_short v[12:13], v73, off
                                        ; implicit-def: $vgpr12_vgpr13
	s_and_saveexec_b64 s[0:1], vcc
	s_xor_b64 s[0:1], exec, s[0:1]
; %bb.291:
	v_xor_b32_e32 v12, 0xffffc5ff, v0
	v_ashrrev_i32_e32 v13, 31, v12
	v_lshl_add_u64 v[12:13], v[6:7], 0, v[12:13]
; %bb.292:
	s_andn2_saveexec_b64 s[0:1], s[0:1]
; %bb.293:
	v_lshl_add_u64 v[12:13], v[2:3], 0, v[4:5]
; %bb.294:
	s_or_b64 exec, exec, s[0:1]
	s_mov_b64 s[0:1], -1
.LBB265_295:
	s_and_saveexec_b64 s[2:3], s[0:1]
	s_cbranch_execz .LBB265_386
.LBB265_296:
	v_lshl_add_u64 v[0:1], v[12:13], 1, s[28:29]
	s_waitcnt lgkmcnt(0)
	global_store_short v[0:1], v72, off
	s_or_b64 exec, exec, s[2:3]
	s_and_b64 s[0:1], s[18:19], s[22:23]
	s_and_saveexec_b64 s[2:3], s[0:1]
	s_cbranch_execnz .LBB265_387
.LBB265_297:
	s_endpgm
.LBB265_298:
	s_mov_b64 s[0:1], 0
                                        ; implicit-def: $vgpr12_vgpr13
	s_cbranch_execz .LBB265_295
; %bb.299:
	v_cmp_gt_u32_e32 vcc, s33, v0
	s_and_saveexec_b64 s[2:3], vcc
	s_cbranch_execz .LBB265_388
; %bb.300:
	v_cmp_ge_u32_e32 vcc, v0, v10
                                        ; implicit-def: $vgpr12_vgpr13
	s_and_saveexec_b64 s[4:5], vcc
	s_xor_b64 s[4:5], exec, s[4:5]
; %bb.301:
	v_not_b32_e32 v12, v0
	v_ashrrev_i32_e32 v13, 31, v12
	v_lshl_add_u64 v[12:13], v[6:7], 0, v[12:13]
; %bb.302:
	s_andn2_saveexec_b64 s[4:5], s[4:5]
; %bb.303:
	v_lshl_add_u64 v[12:13], v[2:3], 0, v[0:1]
; %bb.304:
	s_or_b64 exec, exec, s[4:5]
	v_lshl_add_u64 v[12:13], v[12:13], 1, s[28:29]
	s_waitcnt lgkmcnt(14)
	global_store_short v[12:13], v101, off
	s_or_b64 exec, exec, s[2:3]
	v_cmp_gt_u32_e32 vcc, s33, v68
	s_and_saveexec_b64 s[2:3], vcc
	s_cbranch_execnz .LBB265_389
.LBB265_305:
	s_or_b64 exec, exec, s[2:3]
	v_cmp_gt_u32_e32 vcc, s33, v66
	s_and_saveexec_b64 s[2:3], vcc
	s_cbranch_execz .LBB265_394
.LBB265_306:
	v_cmp_ge_u32_e32 vcc, v66, v10
                                        ; implicit-def: $vgpr12_vgpr13
	s_and_saveexec_b64 s[4:5], vcc
	s_xor_b64 s[4:5], exec, s[4:5]
; %bb.307:
	v_xor_b32_e32 v12, 0xfffffbff, v0
	v_ashrrev_i32_e32 v13, 31, v12
	v_lshl_add_u64 v[12:13], v[6:7], 0, v[12:13]
                                        ; implicit-def: $vgpr66_vgpr67
; %bb.308:
	s_andn2_saveexec_b64 s[4:5], s[4:5]
; %bb.309:
	v_lshl_add_u64 v[12:13], v[2:3], 0, v[66:67]
; %bb.310:
	s_or_b64 exec, exec, s[4:5]
	v_lshl_add_u64 v[12:13], v[12:13], 1, s[28:29]
	s_waitcnt lgkmcnt(14)
	global_store_short v[12:13], v99, off
	s_or_b64 exec, exec, s[2:3]
	v_cmp_gt_u32_e32 vcc, s33, v64
	s_and_saveexec_b64 s[2:3], vcc
	s_cbranch_execnz .LBB265_395
.LBB265_311:
	s_or_b64 exec, exec, s[2:3]
	v_cmp_gt_u32_e32 vcc, s33, v62
	s_and_saveexec_b64 s[2:3], vcc
	s_cbranch_execz .LBB265_400
.LBB265_312:
	v_cmp_ge_u32_e32 vcc, v62, v10
                                        ; implicit-def: $vgpr12_vgpr13
	s_and_saveexec_b64 s[4:5], vcc
	s_xor_b64 s[4:5], exec, s[4:5]
; %bb.313:
	v_xor_b32_e32 v12, 0xfffff7ff, v0
	v_ashrrev_i32_e32 v13, 31, v12
	v_lshl_add_u64 v[12:13], v[6:7], 0, v[12:13]
                                        ; implicit-def: $vgpr62_vgpr63
; %bb.314:
	s_andn2_saveexec_b64 s[4:5], s[4:5]
; %bb.315:
	v_lshl_add_u64 v[12:13], v[2:3], 0, v[62:63]
; %bb.316:
	s_or_b64 exec, exec, s[4:5]
	v_lshl_add_u64 v[12:13], v[12:13], 1, s[28:29]
	s_waitcnt lgkmcnt(14)
	global_store_short v[12:13], v97, off
	s_or_b64 exec, exec, s[2:3]
	v_cmp_gt_u32_e32 vcc, s33, v60
	s_and_saveexec_b64 s[2:3], vcc
	s_cbranch_execnz .LBB265_401
.LBB265_317:
	s_or_b64 exec, exec, s[2:3]
	v_cmp_gt_u32_e32 vcc, s33, v58
	s_and_saveexec_b64 s[2:3], vcc
	s_cbranch_execz .LBB265_406
.LBB265_318:
	v_cmp_ge_u32_e32 vcc, v58, v10
                                        ; implicit-def: $vgpr12_vgpr13
	s_and_saveexec_b64 s[4:5], vcc
	s_xor_b64 s[4:5], exec, s[4:5]
; %bb.319:
	v_xor_b32_e32 v12, 0xfffff3ff, v0
	v_ashrrev_i32_e32 v13, 31, v12
	v_lshl_add_u64 v[12:13], v[6:7], 0, v[12:13]
                                        ; implicit-def: $vgpr58_vgpr59
; %bb.320:
	s_andn2_saveexec_b64 s[4:5], s[4:5]
; %bb.321:
	v_lshl_add_u64 v[12:13], v[2:3], 0, v[58:59]
; %bb.322:
	s_or_b64 exec, exec, s[4:5]
	v_lshl_add_u64 v[12:13], v[12:13], 1, s[28:29]
	s_waitcnt lgkmcnt(14)
	global_store_short v[12:13], v95, off
	s_or_b64 exec, exec, s[2:3]
	v_cmp_gt_u32_e32 vcc, s33, v56
	s_and_saveexec_b64 s[2:3], vcc
	s_cbranch_execnz .LBB265_407
.LBB265_323:
	s_or_b64 exec, exec, s[2:3]
	v_cmp_gt_u32_e32 vcc, s33, v54
	s_and_saveexec_b64 s[2:3], vcc
	s_cbranch_execz .LBB265_412
.LBB265_324:
	v_cmp_ge_u32_e32 vcc, v54, v10
                                        ; implicit-def: $vgpr12_vgpr13
	s_and_saveexec_b64 s[4:5], vcc
	s_xor_b64 s[4:5], exec, s[4:5]
; %bb.325:
	v_xor_b32_e32 v12, 0xffffefff, v0
	v_ashrrev_i32_e32 v13, 31, v12
	v_lshl_add_u64 v[12:13], v[6:7], 0, v[12:13]
                                        ; implicit-def: $vgpr54_vgpr55
; %bb.326:
	s_andn2_saveexec_b64 s[4:5], s[4:5]
; %bb.327:
	v_lshl_add_u64 v[12:13], v[2:3], 0, v[54:55]
; %bb.328:
	s_or_b64 exec, exec, s[4:5]
	v_lshl_add_u64 v[12:13], v[12:13], 1, s[28:29]
	s_waitcnt lgkmcnt(14)
	global_store_short v[12:13], v93, off
	s_or_b64 exec, exec, s[2:3]
	v_cmp_gt_u32_e32 vcc, s33, v52
	s_and_saveexec_b64 s[2:3], vcc
	s_cbranch_execnz .LBB265_413
.LBB265_329:
	s_or_b64 exec, exec, s[2:3]
	v_cmp_gt_u32_e32 vcc, s33, v50
	s_and_saveexec_b64 s[2:3], vcc
	s_cbranch_execz .LBB265_418
.LBB265_330:
	v_cmp_ge_u32_e32 vcc, v50, v10
                                        ; implicit-def: $vgpr12_vgpr13
	s_and_saveexec_b64 s[4:5], vcc
	s_xor_b64 s[4:5], exec, s[4:5]
; %bb.331:
	v_xor_b32_e32 v12, 0xffffebff, v0
	v_ashrrev_i32_e32 v13, 31, v12
	v_lshl_add_u64 v[12:13], v[6:7], 0, v[12:13]
                                        ; implicit-def: $vgpr50_vgpr51
; %bb.332:
	s_andn2_saveexec_b64 s[4:5], s[4:5]
; %bb.333:
	v_lshl_add_u64 v[12:13], v[2:3], 0, v[50:51]
; %bb.334:
	s_or_b64 exec, exec, s[4:5]
	v_lshl_add_u64 v[12:13], v[12:13], 1, s[28:29]
	s_waitcnt lgkmcnt(14)
	global_store_short v[12:13], v91, off
	s_or_b64 exec, exec, s[2:3]
	v_cmp_gt_u32_e32 vcc, s33, v48
	s_and_saveexec_b64 s[2:3], vcc
	s_cbranch_execnz .LBB265_419
.LBB265_335:
	s_or_b64 exec, exec, s[2:3]
	v_cmp_gt_u32_e32 vcc, s33, v46
	s_and_saveexec_b64 s[2:3], vcc
	s_cbranch_execz .LBB265_424
.LBB265_336:
	v_cmp_ge_u32_e32 vcc, v46, v10
                                        ; implicit-def: $vgpr12_vgpr13
	s_and_saveexec_b64 s[4:5], vcc
	s_xor_b64 s[4:5], exec, s[4:5]
; %bb.337:
	v_xor_b32_e32 v12, 0xffffe7ff, v0
	v_ashrrev_i32_e32 v13, 31, v12
	v_lshl_add_u64 v[12:13], v[6:7], 0, v[12:13]
                                        ; implicit-def: $vgpr46_vgpr47
; %bb.338:
	s_andn2_saveexec_b64 s[4:5], s[4:5]
; %bb.339:
	v_lshl_add_u64 v[12:13], v[2:3], 0, v[46:47]
; %bb.340:
	s_or_b64 exec, exec, s[4:5]
	v_lshl_add_u64 v[12:13], v[12:13], 1, s[28:29]
	s_waitcnt lgkmcnt(14)
	global_store_short v[12:13], v89, off
	s_or_b64 exec, exec, s[2:3]
	v_cmp_gt_u32_e32 vcc, s33, v44
	s_and_saveexec_b64 s[2:3], vcc
	s_cbranch_execnz .LBB265_425
.LBB265_341:
	s_or_b64 exec, exec, s[2:3]
	v_cmp_gt_u32_e32 vcc, s33, v42
	s_and_saveexec_b64 s[2:3], vcc
	s_cbranch_execz .LBB265_430
.LBB265_342:
	v_cmp_ge_u32_e32 vcc, v42, v10
                                        ; implicit-def: $vgpr12_vgpr13
	s_and_saveexec_b64 s[4:5], vcc
	s_xor_b64 s[4:5], exec, s[4:5]
; %bb.343:
	v_xor_b32_e32 v12, 0xffffe3ff, v0
	v_ashrrev_i32_e32 v13, 31, v12
	v_lshl_add_u64 v[12:13], v[6:7], 0, v[12:13]
                                        ; implicit-def: $vgpr42_vgpr43
; %bb.344:
	s_andn2_saveexec_b64 s[4:5], s[4:5]
; %bb.345:
	v_lshl_add_u64 v[12:13], v[2:3], 0, v[42:43]
; %bb.346:
	s_or_b64 exec, exec, s[4:5]
	v_lshl_add_u64 v[12:13], v[12:13], 1, s[28:29]
	s_waitcnt lgkmcnt(14)
	global_store_short v[12:13], v87, off
	s_or_b64 exec, exec, s[2:3]
	v_cmp_gt_u32_e32 vcc, s33, v40
	s_and_saveexec_b64 s[2:3], vcc
	s_cbranch_execnz .LBB265_431
.LBB265_347:
	s_or_b64 exec, exec, s[2:3]
	v_cmp_gt_u32_e32 vcc, s33, v38
	s_and_saveexec_b64 s[2:3], vcc
	s_cbranch_execz .LBB265_436
.LBB265_348:
	v_cmp_ge_u32_e32 vcc, v38, v10
                                        ; implicit-def: $vgpr12_vgpr13
	s_and_saveexec_b64 s[4:5], vcc
	s_xor_b64 s[4:5], exec, s[4:5]
; %bb.349:
	v_xor_b32_e32 v12, 0xffffdfff, v0
	v_ashrrev_i32_e32 v13, 31, v12
	v_lshl_add_u64 v[12:13], v[6:7], 0, v[12:13]
                                        ; implicit-def: $vgpr38_vgpr39
; %bb.350:
	s_andn2_saveexec_b64 s[4:5], s[4:5]
; %bb.351:
	v_lshl_add_u64 v[12:13], v[2:3], 0, v[38:39]
; %bb.352:
	s_or_b64 exec, exec, s[4:5]
	v_lshl_add_u64 v[12:13], v[12:13], 1, s[28:29]
	s_waitcnt lgkmcnt(13)
	global_store_short v[12:13], v85, off
	s_or_b64 exec, exec, s[2:3]
	v_cmp_gt_u32_e32 vcc, s33, v36
	s_and_saveexec_b64 s[2:3], vcc
	s_cbranch_execnz .LBB265_437
.LBB265_353:
	s_or_b64 exec, exec, s[2:3]
	v_cmp_gt_u32_e32 vcc, s33, v34
	s_and_saveexec_b64 s[2:3], vcc
	s_cbranch_execz .LBB265_442
.LBB265_354:
	v_cmp_ge_u32_e32 vcc, v34, v10
                                        ; implicit-def: $vgpr12_vgpr13
	s_and_saveexec_b64 s[4:5], vcc
	s_xor_b64 s[4:5], exec, s[4:5]
; %bb.355:
	v_xor_b32_e32 v12, 0xffffdbff, v0
	v_ashrrev_i32_e32 v13, 31, v12
	v_lshl_add_u64 v[12:13], v[6:7], 0, v[12:13]
                                        ; implicit-def: $vgpr34_vgpr35
; %bb.356:
	s_andn2_saveexec_b64 s[4:5], s[4:5]
; %bb.357:
	v_lshl_add_u64 v[12:13], v[2:3], 0, v[34:35]
; %bb.358:
	s_or_b64 exec, exec, s[4:5]
	v_lshl_add_u64 v[12:13], v[12:13], 1, s[28:29]
	s_waitcnt lgkmcnt(11)
	global_store_short v[12:13], v83, off
	s_or_b64 exec, exec, s[2:3]
	v_cmp_gt_u32_e32 vcc, s33, v32
	s_and_saveexec_b64 s[2:3], vcc
	s_cbranch_execnz .LBB265_443
.LBB265_359:
	s_or_b64 exec, exec, s[2:3]
	v_cmp_gt_u32_e32 vcc, s33, v30
	s_and_saveexec_b64 s[2:3], vcc
	s_cbranch_execz .LBB265_448
.LBB265_360:
	v_cmp_ge_u32_e32 vcc, v30, v10
                                        ; implicit-def: $vgpr12_vgpr13
	s_and_saveexec_b64 s[4:5], vcc
	s_xor_b64 s[4:5], exec, s[4:5]
; %bb.361:
	v_xor_b32_e32 v12, 0xffffd7ff, v0
	v_ashrrev_i32_e32 v13, 31, v12
	v_lshl_add_u64 v[12:13], v[6:7], 0, v[12:13]
                                        ; implicit-def: $vgpr30_vgpr31
; %bb.362:
	s_andn2_saveexec_b64 s[4:5], s[4:5]
; %bb.363:
	v_lshl_add_u64 v[12:13], v[2:3], 0, v[30:31]
; %bb.364:
	s_or_b64 exec, exec, s[4:5]
	v_lshl_add_u64 v[12:13], v[12:13], 1, s[28:29]
	s_waitcnt lgkmcnt(9)
	global_store_short v[12:13], v81, off
	s_or_b64 exec, exec, s[2:3]
	v_cmp_gt_u32_e32 vcc, s33, v28
	s_and_saveexec_b64 s[2:3], vcc
	s_cbranch_execnz .LBB265_449
.LBB265_365:
	s_or_b64 exec, exec, s[2:3]
	v_cmp_gt_u32_e32 vcc, s33, v26
	s_and_saveexec_b64 s[2:3], vcc
	s_cbranch_execz .LBB265_454
.LBB265_366:
	v_cmp_ge_u32_e32 vcc, v26, v10
                                        ; implicit-def: $vgpr12_vgpr13
	s_and_saveexec_b64 s[4:5], vcc
	s_xor_b64 s[4:5], exec, s[4:5]
; %bb.367:
	v_xor_b32_e32 v12, 0xffffd3ff, v0
	v_ashrrev_i32_e32 v13, 31, v12
	v_lshl_add_u64 v[12:13], v[6:7], 0, v[12:13]
                                        ; implicit-def: $vgpr26_vgpr27
; %bb.368:
	s_andn2_saveexec_b64 s[4:5], s[4:5]
; %bb.369:
	v_lshl_add_u64 v[12:13], v[2:3], 0, v[26:27]
; %bb.370:
	s_or_b64 exec, exec, s[4:5]
	v_lshl_add_u64 v[12:13], v[12:13], 1, s[28:29]
	s_waitcnt lgkmcnt(7)
	global_store_short v[12:13], v79, off
	s_or_b64 exec, exec, s[2:3]
	v_cmp_gt_u32_e32 vcc, s33, v24
	s_and_saveexec_b64 s[2:3], vcc
	s_cbranch_execnz .LBB265_455
.LBB265_371:
	s_or_b64 exec, exec, s[2:3]
	v_cmp_gt_u32_e32 vcc, s33, v22
	s_and_saveexec_b64 s[2:3], vcc
	s_cbranch_execz .LBB265_460
.LBB265_372:
	v_cmp_ge_u32_e32 vcc, v22, v10
                                        ; implicit-def: $vgpr12_vgpr13
	s_and_saveexec_b64 s[4:5], vcc
	s_xor_b64 s[4:5], exec, s[4:5]
; %bb.373:
	v_xor_b32_e32 v12, 0xffffcfff, v0
	v_ashrrev_i32_e32 v13, 31, v12
	v_lshl_add_u64 v[12:13], v[6:7], 0, v[12:13]
                                        ; implicit-def: $vgpr22_vgpr23
; %bb.374:
	s_andn2_saveexec_b64 s[4:5], s[4:5]
; %bb.375:
	v_lshl_add_u64 v[12:13], v[2:3], 0, v[22:23]
; %bb.376:
	s_or_b64 exec, exec, s[4:5]
	v_lshl_add_u64 v[12:13], v[12:13], 1, s[28:29]
	s_waitcnt lgkmcnt(5)
	global_store_short v[12:13], v77, off
	s_or_b64 exec, exec, s[2:3]
	v_cmp_gt_u32_e32 vcc, s33, v20
	s_and_saveexec_b64 s[2:3], vcc
	s_cbranch_execnz .LBB265_461
.LBB265_377:
	s_or_b64 exec, exec, s[2:3]
	v_cmp_gt_u32_e32 vcc, s33, v18
	s_and_saveexec_b64 s[2:3], vcc
	s_cbranch_execz .LBB265_466
.LBB265_378:
	v_cmp_ge_u32_e32 vcc, v18, v10
                                        ; implicit-def: $vgpr12_vgpr13
	s_and_saveexec_b64 s[4:5], vcc
	s_xor_b64 s[4:5], exec, s[4:5]
; %bb.379:
	v_xor_b32_e32 v12, 0xffffcbff, v0
	v_ashrrev_i32_e32 v13, 31, v12
	v_lshl_add_u64 v[12:13], v[6:7], 0, v[12:13]
                                        ; implicit-def: $vgpr18_vgpr19
; %bb.380:
	s_andn2_saveexec_b64 s[4:5], s[4:5]
; %bb.381:
	v_lshl_add_u64 v[12:13], v[2:3], 0, v[18:19]
; %bb.382:
	s_or_b64 exec, exec, s[4:5]
	v_lshl_add_u64 v[12:13], v[12:13], 1, s[28:29]
	s_waitcnt lgkmcnt(3)
	global_store_short v[12:13], v75, off
	s_or_b64 exec, exec, s[2:3]
	v_cmp_gt_u32_e32 vcc, s33, v16
	s_and_saveexec_b64 s[2:3], vcc
	s_cbranch_execnz .LBB265_467
.LBB265_383:
	s_or_b64 exec, exec, s[2:3]
	v_cmp_gt_u32_e32 vcc, s33, v8
	s_and_saveexec_b64 s[2:3], vcc
	s_cbranch_execnz .LBB265_472
.LBB265_384:
	s_or_b64 exec, exec, s[2:3]
	v_cmp_gt_u32_e32 vcc, s33, v4
                                        ; implicit-def: $vgpr12_vgpr13
	s_and_saveexec_b64 s[2:3], vcc
	s_cbranch_execnz .LBB265_477
.LBB265_385:
	s_or_b64 exec, exec, s[2:3]
	s_and_saveexec_b64 s[2:3], s[0:1]
	s_cbranch_execnz .LBB265_296
.LBB265_386:
	s_or_b64 exec, exec, s[2:3]
	s_and_b64 s[0:1], s[18:19], s[22:23]
	s_and_saveexec_b64 s[2:3], s[0:1]
	s_cbranch_execz .LBB265_297
.LBB265_387:
	v_mov_b32_e32 v4, 0
	v_lshl_add_u64 v[0:1], v[2:3], 0, v[10:11]
	global_store_dwordx2 v4, v[0:1], s[20:21]
	s_endpgm
.LBB265_388:
	s_or_b64 exec, exec, s[2:3]
	v_cmp_gt_u32_e32 vcc, s33, v68
	s_and_saveexec_b64 s[2:3], vcc
	s_cbranch_execz .LBB265_305
.LBB265_389:
	v_cmp_ge_u32_e32 vcc, v68, v10
                                        ; implicit-def: $vgpr12_vgpr13
	s_and_saveexec_b64 s[4:5], vcc
	s_xor_b64 s[4:5], exec, s[4:5]
; %bb.390:
	v_xor_b32_e32 v12, 0xfffffdff, v0
	v_ashrrev_i32_e32 v13, 31, v12
	v_lshl_add_u64 v[12:13], v[6:7], 0, v[12:13]
                                        ; implicit-def: $vgpr68_vgpr69
; %bb.391:
	s_andn2_saveexec_b64 s[4:5], s[4:5]
; %bb.392:
	v_lshl_add_u64 v[12:13], v[2:3], 0, v[68:69]
; %bb.393:
	s_or_b64 exec, exec, s[4:5]
	v_lshl_add_u64 v[12:13], v[12:13], 1, s[28:29]
	s_waitcnt lgkmcnt(14)
	global_store_short v[12:13], v100, off
	s_or_b64 exec, exec, s[2:3]
	v_cmp_gt_u32_e32 vcc, s33, v66
	s_and_saveexec_b64 s[2:3], vcc
	s_cbranch_execnz .LBB265_306
.LBB265_394:
	s_or_b64 exec, exec, s[2:3]
	v_cmp_gt_u32_e32 vcc, s33, v64
	s_and_saveexec_b64 s[2:3], vcc
	s_cbranch_execz .LBB265_311
.LBB265_395:
	v_cmp_ge_u32_e32 vcc, v64, v10
                                        ; implicit-def: $vgpr12_vgpr13
	s_and_saveexec_b64 s[4:5], vcc
	s_xor_b64 s[4:5], exec, s[4:5]
; %bb.396:
	v_xor_b32_e32 v12, 0xfffff9ff, v0
	v_ashrrev_i32_e32 v13, 31, v12
	v_lshl_add_u64 v[12:13], v[6:7], 0, v[12:13]
                                        ; implicit-def: $vgpr64_vgpr65
; %bb.397:
	s_andn2_saveexec_b64 s[4:5], s[4:5]
; %bb.398:
	v_lshl_add_u64 v[12:13], v[2:3], 0, v[64:65]
; %bb.399:
	s_or_b64 exec, exec, s[4:5]
	v_lshl_add_u64 v[12:13], v[12:13], 1, s[28:29]
	s_waitcnt lgkmcnt(14)
	global_store_short v[12:13], v98, off
	s_or_b64 exec, exec, s[2:3]
	v_cmp_gt_u32_e32 vcc, s33, v62
	s_and_saveexec_b64 s[2:3], vcc
	s_cbranch_execnz .LBB265_312
.LBB265_400:
	s_or_b64 exec, exec, s[2:3]
	v_cmp_gt_u32_e32 vcc, s33, v60
	s_and_saveexec_b64 s[2:3], vcc
	s_cbranch_execz .LBB265_317
.LBB265_401:
	v_cmp_ge_u32_e32 vcc, v60, v10
                                        ; implicit-def: $vgpr12_vgpr13
	s_and_saveexec_b64 s[4:5], vcc
	s_xor_b64 s[4:5], exec, s[4:5]
; %bb.402:
	v_xor_b32_e32 v12, 0xfffff5ff, v0
	v_ashrrev_i32_e32 v13, 31, v12
	v_lshl_add_u64 v[12:13], v[6:7], 0, v[12:13]
                                        ; implicit-def: $vgpr60_vgpr61
; %bb.403:
	s_andn2_saveexec_b64 s[4:5], s[4:5]
; %bb.404:
	v_lshl_add_u64 v[12:13], v[2:3], 0, v[60:61]
; %bb.405:
	s_or_b64 exec, exec, s[4:5]
	v_lshl_add_u64 v[12:13], v[12:13], 1, s[28:29]
	s_waitcnt lgkmcnt(14)
	global_store_short v[12:13], v96, off
	s_or_b64 exec, exec, s[2:3]
	v_cmp_gt_u32_e32 vcc, s33, v58
	s_and_saveexec_b64 s[2:3], vcc
	s_cbranch_execnz .LBB265_318
.LBB265_406:
	s_or_b64 exec, exec, s[2:3]
	v_cmp_gt_u32_e32 vcc, s33, v56
	s_and_saveexec_b64 s[2:3], vcc
	s_cbranch_execz .LBB265_323
.LBB265_407:
	v_cmp_ge_u32_e32 vcc, v56, v10
                                        ; implicit-def: $vgpr12_vgpr13
	s_and_saveexec_b64 s[4:5], vcc
	s_xor_b64 s[4:5], exec, s[4:5]
; %bb.408:
	v_xor_b32_e32 v12, 0xfffff1ff, v0
	v_ashrrev_i32_e32 v13, 31, v12
	v_lshl_add_u64 v[12:13], v[6:7], 0, v[12:13]
                                        ; implicit-def: $vgpr56_vgpr57
; %bb.409:
	s_andn2_saveexec_b64 s[4:5], s[4:5]
; %bb.410:
	v_lshl_add_u64 v[12:13], v[2:3], 0, v[56:57]
; %bb.411:
	s_or_b64 exec, exec, s[4:5]
	v_lshl_add_u64 v[12:13], v[12:13], 1, s[28:29]
	s_waitcnt lgkmcnt(14)
	global_store_short v[12:13], v94, off
	s_or_b64 exec, exec, s[2:3]
	v_cmp_gt_u32_e32 vcc, s33, v54
	s_and_saveexec_b64 s[2:3], vcc
	s_cbranch_execnz .LBB265_324
.LBB265_412:
	s_or_b64 exec, exec, s[2:3]
	v_cmp_gt_u32_e32 vcc, s33, v52
	s_and_saveexec_b64 s[2:3], vcc
	s_cbranch_execz .LBB265_329
.LBB265_413:
	v_cmp_ge_u32_e32 vcc, v52, v10
                                        ; implicit-def: $vgpr12_vgpr13
	s_and_saveexec_b64 s[4:5], vcc
	s_xor_b64 s[4:5], exec, s[4:5]
; %bb.414:
	v_xor_b32_e32 v12, 0xffffedff, v0
	v_ashrrev_i32_e32 v13, 31, v12
	v_lshl_add_u64 v[12:13], v[6:7], 0, v[12:13]
                                        ; implicit-def: $vgpr52_vgpr53
; %bb.415:
	s_andn2_saveexec_b64 s[4:5], s[4:5]
; %bb.416:
	v_lshl_add_u64 v[12:13], v[2:3], 0, v[52:53]
; %bb.417:
	s_or_b64 exec, exec, s[4:5]
	v_lshl_add_u64 v[12:13], v[12:13], 1, s[28:29]
	s_waitcnt lgkmcnt(14)
	global_store_short v[12:13], v92, off
	s_or_b64 exec, exec, s[2:3]
	v_cmp_gt_u32_e32 vcc, s33, v50
	s_and_saveexec_b64 s[2:3], vcc
	s_cbranch_execnz .LBB265_330
.LBB265_418:
	s_or_b64 exec, exec, s[2:3]
	v_cmp_gt_u32_e32 vcc, s33, v48
	s_and_saveexec_b64 s[2:3], vcc
	s_cbranch_execz .LBB265_335
.LBB265_419:
	v_cmp_ge_u32_e32 vcc, v48, v10
                                        ; implicit-def: $vgpr12_vgpr13
	s_and_saveexec_b64 s[4:5], vcc
	s_xor_b64 s[4:5], exec, s[4:5]
; %bb.420:
	v_xor_b32_e32 v12, 0xffffe9ff, v0
	v_ashrrev_i32_e32 v13, 31, v12
	v_lshl_add_u64 v[12:13], v[6:7], 0, v[12:13]
                                        ; implicit-def: $vgpr48_vgpr49
; %bb.421:
	s_andn2_saveexec_b64 s[4:5], s[4:5]
; %bb.422:
	v_lshl_add_u64 v[12:13], v[2:3], 0, v[48:49]
; %bb.423:
	s_or_b64 exec, exec, s[4:5]
	v_lshl_add_u64 v[12:13], v[12:13], 1, s[28:29]
	s_waitcnt lgkmcnt(14)
	global_store_short v[12:13], v90, off
	s_or_b64 exec, exec, s[2:3]
	v_cmp_gt_u32_e32 vcc, s33, v46
	s_and_saveexec_b64 s[2:3], vcc
	s_cbranch_execnz .LBB265_336
.LBB265_424:
	s_or_b64 exec, exec, s[2:3]
	v_cmp_gt_u32_e32 vcc, s33, v44
	s_and_saveexec_b64 s[2:3], vcc
	s_cbranch_execz .LBB265_341
.LBB265_425:
	v_cmp_ge_u32_e32 vcc, v44, v10
                                        ; implicit-def: $vgpr12_vgpr13
	s_and_saveexec_b64 s[4:5], vcc
	s_xor_b64 s[4:5], exec, s[4:5]
; %bb.426:
	v_xor_b32_e32 v12, 0xffffe5ff, v0
	v_ashrrev_i32_e32 v13, 31, v12
	v_lshl_add_u64 v[12:13], v[6:7], 0, v[12:13]
                                        ; implicit-def: $vgpr44_vgpr45
; %bb.427:
	s_andn2_saveexec_b64 s[4:5], s[4:5]
; %bb.428:
	v_lshl_add_u64 v[12:13], v[2:3], 0, v[44:45]
; %bb.429:
	s_or_b64 exec, exec, s[4:5]
	v_lshl_add_u64 v[12:13], v[12:13], 1, s[28:29]
	s_waitcnt lgkmcnt(14)
	global_store_short v[12:13], v88, off
	s_or_b64 exec, exec, s[2:3]
	v_cmp_gt_u32_e32 vcc, s33, v42
	s_and_saveexec_b64 s[2:3], vcc
	s_cbranch_execnz .LBB265_342
.LBB265_430:
	s_or_b64 exec, exec, s[2:3]
	v_cmp_gt_u32_e32 vcc, s33, v40
	s_and_saveexec_b64 s[2:3], vcc
	s_cbranch_execz .LBB265_347
.LBB265_431:
	v_cmp_ge_u32_e32 vcc, v40, v10
                                        ; implicit-def: $vgpr12_vgpr13
	s_and_saveexec_b64 s[4:5], vcc
	s_xor_b64 s[4:5], exec, s[4:5]
; %bb.432:
	v_xor_b32_e32 v12, 0xffffe1ff, v0
	v_ashrrev_i32_e32 v13, 31, v12
	v_lshl_add_u64 v[12:13], v[6:7], 0, v[12:13]
                                        ; implicit-def: $vgpr40_vgpr41
; %bb.433:
	s_andn2_saveexec_b64 s[4:5], s[4:5]
; %bb.434:
	v_lshl_add_u64 v[12:13], v[2:3], 0, v[40:41]
; %bb.435:
	s_or_b64 exec, exec, s[4:5]
	v_lshl_add_u64 v[12:13], v[12:13], 1, s[28:29]
	s_waitcnt lgkmcnt(14)
	global_store_short v[12:13], v86, off
	s_or_b64 exec, exec, s[2:3]
	v_cmp_gt_u32_e32 vcc, s33, v38
	s_and_saveexec_b64 s[2:3], vcc
	s_cbranch_execnz .LBB265_348
.LBB265_436:
	s_or_b64 exec, exec, s[2:3]
	v_cmp_gt_u32_e32 vcc, s33, v36
	s_and_saveexec_b64 s[2:3], vcc
	s_cbranch_execz .LBB265_353
.LBB265_437:
	v_cmp_ge_u32_e32 vcc, v36, v10
                                        ; implicit-def: $vgpr12_vgpr13
	s_and_saveexec_b64 s[4:5], vcc
	s_xor_b64 s[4:5], exec, s[4:5]
; %bb.438:
	v_xor_b32_e32 v12, 0xffffddff, v0
	v_ashrrev_i32_e32 v13, 31, v12
	v_lshl_add_u64 v[12:13], v[6:7], 0, v[12:13]
                                        ; implicit-def: $vgpr36_vgpr37
; %bb.439:
	s_andn2_saveexec_b64 s[4:5], s[4:5]
; %bb.440:
	v_lshl_add_u64 v[12:13], v[2:3], 0, v[36:37]
; %bb.441:
	s_or_b64 exec, exec, s[4:5]
	v_lshl_add_u64 v[12:13], v[12:13], 1, s[28:29]
	s_waitcnt lgkmcnt(12)
	global_store_short v[12:13], v84, off
	s_or_b64 exec, exec, s[2:3]
	v_cmp_gt_u32_e32 vcc, s33, v34
	s_and_saveexec_b64 s[2:3], vcc
	s_cbranch_execnz .LBB265_354
.LBB265_442:
	s_or_b64 exec, exec, s[2:3]
	v_cmp_gt_u32_e32 vcc, s33, v32
	s_and_saveexec_b64 s[2:3], vcc
	s_cbranch_execz .LBB265_359
.LBB265_443:
	v_cmp_ge_u32_e32 vcc, v32, v10
                                        ; implicit-def: $vgpr12_vgpr13
	s_and_saveexec_b64 s[4:5], vcc
	s_xor_b64 s[4:5], exec, s[4:5]
; %bb.444:
	v_xor_b32_e32 v12, 0xffffd9ff, v0
	v_ashrrev_i32_e32 v13, 31, v12
	v_lshl_add_u64 v[12:13], v[6:7], 0, v[12:13]
                                        ; implicit-def: $vgpr32_vgpr33
; %bb.445:
	s_andn2_saveexec_b64 s[4:5], s[4:5]
; %bb.446:
	v_lshl_add_u64 v[12:13], v[2:3], 0, v[32:33]
; %bb.447:
	s_or_b64 exec, exec, s[4:5]
	v_lshl_add_u64 v[12:13], v[12:13], 1, s[28:29]
	s_waitcnt lgkmcnt(10)
	global_store_short v[12:13], v82, off
	s_or_b64 exec, exec, s[2:3]
	v_cmp_gt_u32_e32 vcc, s33, v30
	s_and_saveexec_b64 s[2:3], vcc
	s_cbranch_execnz .LBB265_360
.LBB265_448:
	s_or_b64 exec, exec, s[2:3]
	v_cmp_gt_u32_e32 vcc, s33, v28
	s_and_saveexec_b64 s[2:3], vcc
	s_cbranch_execz .LBB265_365
.LBB265_449:
	v_cmp_ge_u32_e32 vcc, v28, v10
                                        ; implicit-def: $vgpr12_vgpr13
	s_and_saveexec_b64 s[4:5], vcc
	s_xor_b64 s[4:5], exec, s[4:5]
; %bb.450:
	v_xor_b32_e32 v12, 0xffffd5ff, v0
	v_ashrrev_i32_e32 v13, 31, v12
	v_lshl_add_u64 v[12:13], v[6:7], 0, v[12:13]
                                        ; implicit-def: $vgpr28_vgpr29
; %bb.451:
	s_andn2_saveexec_b64 s[4:5], s[4:5]
; %bb.452:
	v_lshl_add_u64 v[12:13], v[2:3], 0, v[28:29]
; %bb.453:
	s_or_b64 exec, exec, s[4:5]
	v_lshl_add_u64 v[12:13], v[12:13], 1, s[28:29]
	s_waitcnt lgkmcnt(8)
	global_store_short v[12:13], v80, off
	s_or_b64 exec, exec, s[2:3]
	v_cmp_gt_u32_e32 vcc, s33, v26
	s_and_saveexec_b64 s[2:3], vcc
	s_cbranch_execnz .LBB265_366
.LBB265_454:
	s_or_b64 exec, exec, s[2:3]
	v_cmp_gt_u32_e32 vcc, s33, v24
	s_and_saveexec_b64 s[2:3], vcc
	s_cbranch_execz .LBB265_371
.LBB265_455:
	v_cmp_ge_u32_e32 vcc, v24, v10
                                        ; implicit-def: $vgpr12_vgpr13
	s_and_saveexec_b64 s[4:5], vcc
	s_xor_b64 s[4:5], exec, s[4:5]
; %bb.456:
	v_xor_b32_e32 v12, 0xffffd1ff, v0
	v_ashrrev_i32_e32 v13, 31, v12
	v_lshl_add_u64 v[12:13], v[6:7], 0, v[12:13]
                                        ; implicit-def: $vgpr24_vgpr25
; %bb.457:
	s_andn2_saveexec_b64 s[4:5], s[4:5]
; %bb.458:
	v_lshl_add_u64 v[12:13], v[2:3], 0, v[24:25]
; %bb.459:
	s_or_b64 exec, exec, s[4:5]
	v_lshl_add_u64 v[12:13], v[12:13], 1, s[28:29]
	s_waitcnt lgkmcnt(6)
	global_store_short v[12:13], v78, off
	s_or_b64 exec, exec, s[2:3]
	v_cmp_gt_u32_e32 vcc, s33, v22
	s_and_saveexec_b64 s[2:3], vcc
	s_cbranch_execnz .LBB265_372
.LBB265_460:
	s_or_b64 exec, exec, s[2:3]
	v_cmp_gt_u32_e32 vcc, s33, v20
	s_and_saveexec_b64 s[2:3], vcc
	s_cbranch_execz .LBB265_377
.LBB265_461:
	v_cmp_ge_u32_e32 vcc, v20, v10
                                        ; implicit-def: $vgpr12_vgpr13
	s_and_saveexec_b64 s[4:5], vcc
	s_xor_b64 s[4:5], exec, s[4:5]
; %bb.462:
	v_xor_b32_e32 v12, 0xffffcdff, v0
	v_ashrrev_i32_e32 v13, 31, v12
	v_lshl_add_u64 v[12:13], v[6:7], 0, v[12:13]
                                        ; implicit-def: $vgpr20_vgpr21
; %bb.463:
	s_andn2_saveexec_b64 s[4:5], s[4:5]
; %bb.464:
	v_lshl_add_u64 v[12:13], v[2:3], 0, v[20:21]
; %bb.465:
	s_or_b64 exec, exec, s[4:5]
	v_lshl_add_u64 v[12:13], v[12:13], 1, s[28:29]
	s_waitcnt lgkmcnt(4)
	global_store_short v[12:13], v76, off
	s_or_b64 exec, exec, s[2:3]
	v_cmp_gt_u32_e32 vcc, s33, v18
	s_and_saveexec_b64 s[2:3], vcc
	s_cbranch_execnz .LBB265_378
.LBB265_466:
	s_or_b64 exec, exec, s[2:3]
	v_cmp_gt_u32_e32 vcc, s33, v16
	s_and_saveexec_b64 s[2:3], vcc
	s_cbranch_execz .LBB265_383
.LBB265_467:
	v_cmp_ge_u32_e32 vcc, v16, v10
                                        ; implicit-def: $vgpr12_vgpr13
	s_and_saveexec_b64 s[4:5], vcc
	s_xor_b64 s[4:5], exec, s[4:5]
; %bb.468:
	v_xor_b32_e32 v12, 0xffffc9ff, v0
	v_ashrrev_i32_e32 v13, 31, v12
	v_lshl_add_u64 v[12:13], v[6:7], 0, v[12:13]
                                        ; implicit-def: $vgpr16_vgpr17
; %bb.469:
	s_andn2_saveexec_b64 s[4:5], s[4:5]
; %bb.470:
	v_lshl_add_u64 v[12:13], v[2:3], 0, v[16:17]
; %bb.471:
	s_or_b64 exec, exec, s[4:5]
	v_lshl_add_u64 v[12:13], v[12:13], 1, s[28:29]
	s_waitcnt lgkmcnt(2)
	global_store_short v[12:13], v74, off
	s_or_b64 exec, exec, s[2:3]
	v_cmp_gt_u32_e32 vcc, s33, v8
	s_and_saveexec_b64 s[2:3], vcc
	s_cbranch_execz .LBB265_384
.LBB265_472:
	v_cmp_ge_u32_e32 vcc, v8, v10
                                        ; implicit-def: $vgpr12_vgpr13
	s_and_saveexec_b64 s[4:5], vcc
	s_xor_b64 s[4:5], exec, s[4:5]
; %bb.473:
	v_xor_b32_e32 v8, 0xffffc7ff, v0
	v_ashrrev_i32_e32 v9, 31, v8
	v_lshl_add_u64 v[12:13], v[6:7], 0, v[8:9]
                                        ; implicit-def: $vgpr8_vgpr9
; %bb.474:
	s_andn2_saveexec_b64 s[4:5], s[4:5]
; %bb.475:
	v_lshl_add_u64 v[12:13], v[2:3], 0, v[8:9]
; %bb.476:
	s_or_b64 exec, exec, s[4:5]
	v_lshl_add_u64 v[8:9], v[12:13], 1, s[28:29]
	s_waitcnt lgkmcnt(1)
	global_store_short v[8:9], v73, off
	s_or_b64 exec, exec, s[2:3]
	v_cmp_gt_u32_e32 vcc, s33, v4
                                        ; implicit-def: $vgpr12_vgpr13
	s_and_saveexec_b64 s[2:3], vcc
	s_cbranch_execz .LBB265_385
.LBB265_477:
	v_cmp_ge_u32_e32 vcc, v4, v10
                                        ; implicit-def: $vgpr12_vgpr13
	s_and_saveexec_b64 s[4:5], vcc
	s_xor_b64 s[4:5], exec, s[4:5]
; %bb.478:
	v_xor_b32_e32 v0, 0xffffc5ff, v0
	v_ashrrev_i32_e32 v1, 31, v0
	v_lshl_add_u64 v[12:13], v[6:7], 0, v[0:1]
                                        ; implicit-def: $vgpr4_vgpr5
; %bb.479:
	s_andn2_saveexec_b64 s[4:5], s[4:5]
; %bb.480:
	v_lshl_add_u64 v[12:13], v[2:3], 0, v[4:5]
; %bb.481:
	s_or_b64 exec, exec, s[4:5]
	s_or_b64 s[0:1], s[0:1], exec
	s_or_b64 exec, exec, s[2:3]
	s_and_saveexec_b64 s[2:3], s[0:1]
	s_cbranch_execnz .LBB265_296
	s_branch .LBB265_386
	.section	.rodata,"a",@progbits
	.p2align	6, 0x0
	.amdhsa_kernel _ZN7rocprim17ROCPRIM_400000_NS6detail17trampoline_kernelINS0_14default_configENS1_25partition_config_selectorILNS1_17partition_subalgoE2EsNS0_10empty_typeEbEEZZNS1_14partition_implILS5_2ELb0ES3_jN6thrust23THRUST_200600_302600_NS6detail15normal_iteratorINSA_7pointerIsNSA_11hip_rocprim3tagENSA_11use_defaultESG_EEEEPS6_NSA_18transform_iteratorI7is_evenIsENSC_INSA_10device_ptrIsEEEESG_SG_EENS0_5tupleIJPsSJ_EEENSR_IJSJ_SJ_EEES6_PlJS6_EEE10hipError_tPvRmT3_T4_T5_T6_T7_T9_mT8_P12ihipStream_tbDpT10_ENKUlT_T0_E_clISt17integral_constantIbLb1EES1F_EEDaS1A_S1B_EUlS1A_E_NS1_11comp_targetILNS1_3genE5ELNS1_11target_archE942ELNS1_3gpuE9ELNS1_3repE0EEENS1_30default_config_static_selectorELNS0_4arch9wavefront6targetE1EEEvT1_
		.amdhsa_group_segment_fixed_size 30728
		.amdhsa_private_segment_fixed_size 0
		.amdhsa_kernarg_size 144
		.amdhsa_user_sgpr_count 2
		.amdhsa_user_sgpr_dispatch_ptr 0
		.amdhsa_user_sgpr_queue_ptr 0
		.amdhsa_user_sgpr_kernarg_segment_ptr 1
		.amdhsa_user_sgpr_dispatch_id 0
		.amdhsa_user_sgpr_kernarg_preload_length 0
		.amdhsa_user_sgpr_kernarg_preload_offset 0
		.amdhsa_user_sgpr_private_segment_size 0
		.amdhsa_uses_dynamic_stack 0
		.amdhsa_enable_private_segment 0
		.amdhsa_system_sgpr_workgroup_id_x 1
		.amdhsa_system_sgpr_workgroup_id_y 0
		.amdhsa_system_sgpr_workgroup_id_z 0
		.amdhsa_system_sgpr_workgroup_info 0
		.amdhsa_system_vgpr_workitem_id 0
		.amdhsa_next_free_vgpr 102
		.amdhsa_next_free_sgpr 46
		.amdhsa_accum_offset 104
		.amdhsa_reserve_vcc 1
		.amdhsa_float_round_mode_32 0
		.amdhsa_float_round_mode_16_64 0
		.amdhsa_float_denorm_mode_32 3
		.amdhsa_float_denorm_mode_16_64 3
		.amdhsa_dx10_clamp 1
		.amdhsa_ieee_mode 1
		.amdhsa_fp16_overflow 0
		.amdhsa_tg_split 0
		.amdhsa_exception_fp_ieee_invalid_op 0
		.amdhsa_exception_fp_denorm_src 0
		.amdhsa_exception_fp_ieee_div_zero 0
		.amdhsa_exception_fp_ieee_overflow 0
		.amdhsa_exception_fp_ieee_underflow 0
		.amdhsa_exception_fp_ieee_inexact 0
		.amdhsa_exception_int_div_zero 0
	.end_amdhsa_kernel
	.section	.text._ZN7rocprim17ROCPRIM_400000_NS6detail17trampoline_kernelINS0_14default_configENS1_25partition_config_selectorILNS1_17partition_subalgoE2EsNS0_10empty_typeEbEEZZNS1_14partition_implILS5_2ELb0ES3_jN6thrust23THRUST_200600_302600_NS6detail15normal_iteratorINSA_7pointerIsNSA_11hip_rocprim3tagENSA_11use_defaultESG_EEEEPS6_NSA_18transform_iteratorI7is_evenIsENSC_INSA_10device_ptrIsEEEESG_SG_EENS0_5tupleIJPsSJ_EEENSR_IJSJ_SJ_EEES6_PlJS6_EEE10hipError_tPvRmT3_T4_T5_T6_T7_T9_mT8_P12ihipStream_tbDpT10_ENKUlT_T0_E_clISt17integral_constantIbLb1EES1F_EEDaS1A_S1B_EUlS1A_E_NS1_11comp_targetILNS1_3genE5ELNS1_11target_archE942ELNS1_3gpuE9ELNS1_3repE0EEENS1_30default_config_static_selectorELNS0_4arch9wavefront6targetE1EEEvT1_,"axG",@progbits,_ZN7rocprim17ROCPRIM_400000_NS6detail17trampoline_kernelINS0_14default_configENS1_25partition_config_selectorILNS1_17partition_subalgoE2EsNS0_10empty_typeEbEEZZNS1_14partition_implILS5_2ELb0ES3_jN6thrust23THRUST_200600_302600_NS6detail15normal_iteratorINSA_7pointerIsNSA_11hip_rocprim3tagENSA_11use_defaultESG_EEEEPS6_NSA_18transform_iteratorI7is_evenIsENSC_INSA_10device_ptrIsEEEESG_SG_EENS0_5tupleIJPsSJ_EEENSR_IJSJ_SJ_EEES6_PlJS6_EEE10hipError_tPvRmT3_T4_T5_T6_T7_T9_mT8_P12ihipStream_tbDpT10_ENKUlT_T0_E_clISt17integral_constantIbLb1EES1F_EEDaS1A_S1B_EUlS1A_E_NS1_11comp_targetILNS1_3genE5ELNS1_11target_archE942ELNS1_3gpuE9ELNS1_3repE0EEENS1_30default_config_static_selectorELNS0_4arch9wavefront6targetE1EEEvT1_,comdat
.Lfunc_end265:
	.size	_ZN7rocprim17ROCPRIM_400000_NS6detail17trampoline_kernelINS0_14default_configENS1_25partition_config_selectorILNS1_17partition_subalgoE2EsNS0_10empty_typeEbEEZZNS1_14partition_implILS5_2ELb0ES3_jN6thrust23THRUST_200600_302600_NS6detail15normal_iteratorINSA_7pointerIsNSA_11hip_rocprim3tagENSA_11use_defaultESG_EEEEPS6_NSA_18transform_iteratorI7is_evenIsENSC_INSA_10device_ptrIsEEEESG_SG_EENS0_5tupleIJPsSJ_EEENSR_IJSJ_SJ_EEES6_PlJS6_EEE10hipError_tPvRmT3_T4_T5_T6_T7_T9_mT8_P12ihipStream_tbDpT10_ENKUlT_T0_E_clISt17integral_constantIbLb1EES1F_EEDaS1A_S1B_EUlS1A_E_NS1_11comp_targetILNS1_3genE5ELNS1_11target_archE942ELNS1_3gpuE9ELNS1_3repE0EEENS1_30default_config_static_selectorELNS0_4arch9wavefront6targetE1EEEvT1_, .Lfunc_end265-_ZN7rocprim17ROCPRIM_400000_NS6detail17trampoline_kernelINS0_14default_configENS1_25partition_config_selectorILNS1_17partition_subalgoE2EsNS0_10empty_typeEbEEZZNS1_14partition_implILS5_2ELb0ES3_jN6thrust23THRUST_200600_302600_NS6detail15normal_iteratorINSA_7pointerIsNSA_11hip_rocprim3tagENSA_11use_defaultESG_EEEEPS6_NSA_18transform_iteratorI7is_evenIsENSC_INSA_10device_ptrIsEEEESG_SG_EENS0_5tupleIJPsSJ_EEENSR_IJSJ_SJ_EEES6_PlJS6_EEE10hipError_tPvRmT3_T4_T5_T6_T7_T9_mT8_P12ihipStream_tbDpT10_ENKUlT_T0_E_clISt17integral_constantIbLb1EES1F_EEDaS1A_S1B_EUlS1A_E_NS1_11comp_targetILNS1_3genE5ELNS1_11target_archE942ELNS1_3gpuE9ELNS1_3repE0EEENS1_30default_config_static_selectorELNS0_4arch9wavefront6targetE1EEEvT1_
                                        ; -- End function
	.section	.AMDGPU.csdata,"",@progbits
; Kernel info:
; codeLenInByte = 14860
; NumSgprs: 52
; NumVgprs: 102
; NumAgprs: 0
; TotalNumVgprs: 102
; ScratchSize: 0
; MemoryBound: 0
; FloatMode: 240
; IeeeMode: 1
; LDSByteSize: 30728 bytes/workgroup (compile time only)
; SGPRBlocks: 6
; VGPRBlocks: 12
; NumSGPRsForWavesPerEU: 52
; NumVGPRsForWavesPerEU: 102
; AccumOffset: 104
; Occupancy: 4
; WaveLimiterHint : 1
; COMPUTE_PGM_RSRC2:SCRATCH_EN: 0
; COMPUTE_PGM_RSRC2:USER_SGPR: 2
; COMPUTE_PGM_RSRC2:TRAP_HANDLER: 0
; COMPUTE_PGM_RSRC2:TGID_X_EN: 1
; COMPUTE_PGM_RSRC2:TGID_Y_EN: 0
; COMPUTE_PGM_RSRC2:TGID_Z_EN: 0
; COMPUTE_PGM_RSRC2:TIDIG_COMP_CNT: 0
; COMPUTE_PGM_RSRC3_GFX90A:ACCUM_OFFSET: 25
; COMPUTE_PGM_RSRC3_GFX90A:TG_SPLIT: 0
	.section	.text._ZN7rocprim17ROCPRIM_400000_NS6detail17trampoline_kernelINS0_14default_configENS1_25partition_config_selectorILNS1_17partition_subalgoE2EsNS0_10empty_typeEbEEZZNS1_14partition_implILS5_2ELb0ES3_jN6thrust23THRUST_200600_302600_NS6detail15normal_iteratorINSA_7pointerIsNSA_11hip_rocprim3tagENSA_11use_defaultESG_EEEEPS6_NSA_18transform_iteratorI7is_evenIsENSC_INSA_10device_ptrIsEEEESG_SG_EENS0_5tupleIJPsSJ_EEENSR_IJSJ_SJ_EEES6_PlJS6_EEE10hipError_tPvRmT3_T4_T5_T6_T7_T9_mT8_P12ihipStream_tbDpT10_ENKUlT_T0_E_clISt17integral_constantIbLb1EES1F_EEDaS1A_S1B_EUlS1A_E_NS1_11comp_targetILNS1_3genE4ELNS1_11target_archE910ELNS1_3gpuE8ELNS1_3repE0EEENS1_30default_config_static_selectorELNS0_4arch9wavefront6targetE1EEEvT1_,"axG",@progbits,_ZN7rocprim17ROCPRIM_400000_NS6detail17trampoline_kernelINS0_14default_configENS1_25partition_config_selectorILNS1_17partition_subalgoE2EsNS0_10empty_typeEbEEZZNS1_14partition_implILS5_2ELb0ES3_jN6thrust23THRUST_200600_302600_NS6detail15normal_iteratorINSA_7pointerIsNSA_11hip_rocprim3tagENSA_11use_defaultESG_EEEEPS6_NSA_18transform_iteratorI7is_evenIsENSC_INSA_10device_ptrIsEEEESG_SG_EENS0_5tupleIJPsSJ_EEENSR_IJSJ_SJ_EEES6_PlJS6_EEE10hipError_tPvRmT3_T4_T5_T6_T7_T9_mT8_P12ihipStream_tbDpT10_ENKUlT_T0_E_clISt17integral_constantIbLb1EES1F_EEDaS1A_S1B_EUlS1A_E_NS1_11comp_targetILNS1_3genE4ELNS1_11target_archE910ELNS1_3gpuE8ELNS1_3repE0EEENS1_30default_config_static_selectorELNS0_4arch9wavefront6targetE1EEEvT1_,comdat
	.protected	_ZN7rocprim17ROCPRIM_400000_NS6detail17trampoline_kernelINS0_14default_configENS1_25partition_config_selectorILNS1_17partition_subalgoE2EsNS0_10empty_typeEbEEZZNS1_14partition_implILS5_2ELb0ES3_jN6thrust23THRUST_200600_302600_NS6detail15normal_iteratorINSA_7pointerIsNSA_11hip_rocprim3tagENSA_11use_defaultESG_EEEEPS6_NSA_18transform_iteratorI7is_evenIsENSC_INSA_10device_ptrIsEEEESG_SG_EENS0_5tupleIJPsSJ_EEENSR_IJSJ_SJ_EEES6_PlJS6_EEE10hipError_tPvRmT3_T4_T5_T6_T7_T9_mT8_P12ihipStream_tbDpT10_ENKUlT_T0_E_clISt17integral_constantIbLb1EES1F_EEDaS1A_S1B_EUlS1A_E_NS1_11comp_targetILNS1_3genE4ELNS1_11target_archE910ELNS1_3gpuE8ELNS1_3repE0EEENS1_30default_config_static_selectorELNS0_4arch9wavefront6targetE1EEEvT1_ ; -- Begin function _ZN7rocprim17ROCPRIM_400000_NS6detail17trampoline_kernelINS0_14default_configENS1_25partition_config_selectorILNS1_17partition_subalgoE2EsNS0_10empty_typeEbEEZZNS1_14partition_implILS5_2ELb0ES3_jN6thrust23THRUST_200600_302600_NS6detail15normal_iteratorINSA_7pointerIsNSA_11hip_rocprim3tagENSA_11use_defaultESG_EEEEPS6_NSA_18transform_iteratorI7is_evenIsENSC_INSA_10device_ptrIsEEEESG_SG_EENS0_5tupleIJPsSJ_EEENSR_IJSJ_SJ_EEES6_PlJS6_EEE10hipError_tPvRmT3_T4_T5_T6_T7_T9_mT8_P12ihipStream_tbDpT10_ENKUlT_T0_E_clISt17integral_constantIbLb1EES1F_EEDaS1A_S1B_EUlS1A_E_NS1_11comp_targetILNS1_3genE4ELNS1_11target_archE910ELNS1_3gpuE8ELNS1_3repE0EEENS1_30default_config_static_selectorELNS0_4arch9wavefront6targetE1EEEvT1_
	.globl	_ZN7rocprim17ROCPRIM_400000_NS6detail17trampoline_kernelINS0_14default_configENS1_25partition_config_selectorILNS1_17partition_subalgoE2EsNS0_10empty_typeEbEEZZNS1_14partition_implILS5_2ELb0ES3_jN6thrust23THRUST_200600_302600_NS6detail15normal_iteratorINSA_7pointerIsNSA_11hip_rocprim3tagENSA_11use_defaultESG_EEEEPS6_NSA_18transform_iteratorI7is_evenIsENSC_INSA_10device_ptrIsEEEESG_SG_EENS0_5tupleIJPsSJ_EEENSR_IJSJ_SJ_EEES6_PlJS6_EEE10hipError_tPvRmT3_T4_T5_T6_T7_T9_mT8_P12ihipStream_tbDpT10_ENKUlT_T0_E_clISt17integral_constantIbLb1EES1F_EEDaS1A_S1B_EUlS1A_E_NS1_11comp_targetILNS1_3genE4ELNS1_11target_archE910ELNS1_3gpuE8ELNS1_3repE0EEENS1_30default_config_static_selectorELNS0_4arch9wavefront6targetE1EEEvT1_
	.p2align	8
	.type	_ZN7rocprim17ROCPRIM_400000_NS6detail17trampoline_kernelINS0_14default_configENS1_25partition_config_selectorILNS1_17partition_subalgoE2EsNS0_10empty_typeEbEEZZNS1_14partition_implILS5_2ELb0ES3_jN6thrust23THRUST_200600_302600_NS6detail15normal_iteratorINSA_7pointerIsNSA_11hip_rocprim3tagENSA_11use_defaultESG_EEEEPS6_NSA_18transform_iteratorI7is_evenIsENSC_INSA_10device_ptrIsEEEESG_SG_EENS0_5tupleIJPsSJ_EEENSR_IJSJ_SJ_EEES6_PlJS6_EEE10hipError_tPvRmT3_T4_T5_T6_T7_T9_mT8_P12ihipStream_tbDpT10_ENKUlT_T0_E_clISt17integral_constantIbLb1EES1F_EEDaS1A_S1B_EUlS1A_E_NS1_11comp_targetILNS1_3genE4ELNS1_11target_archE910ELNS1_3gpuE8ELNS1_3repE0EEENS1_30default_config_static_selectorELNS0_4arch9wavefront6targetE1EEEvT1_,@function
_ZN7rocprim17ROCPRIM_400000_NS6detail17trampoline_kernelINS0_14default_configENS1_25partition_config_selectorILNS1_17partition_subalgoE2EsNS0_10empty_typeEbEEZZNS1_14partition_implILS5_2ELb0ES3_jN6thrust23THRUST_200600_302600_NS6detail15normal_iteratorINSA_7pointerIsNSA_11hip_rocprim3tagENSA_11use_defaultESG_EEEEPS6_NSA_18transform_iteratorI7is_evenIsENSC_INSA_10device_ptrIsEEEESG_SG_EENS0_5tupleIJPsSJ_EEENSR_IJSJ_SJ_EEES6_PlJS6_EEE10hipError_tPvRmT3_T4_T5_T6_T7_T9_mT8_P12ihipStream_tbDpT10_ENKUlT_T0_E_clISt17integral_constantIbLb1EES1F_EEDaS1A_S1B_EUlS1A_E_NS1_11comp_targetILNS1_3genE4ELNS1_11target_archE910ELNS1_3gpuE8ELNS1_3repE0EEENS1_30default_config_static_selectorELNS0_4arch9wavefront6targetE1EEEvT1_: ; @_ZN7rocprim17ROCPRIM_400000_NS6detail17trampoline_kernelINS0_14default_configENS1_25partition_config_selectorILNS1_17partition_subalgoE2EsNS0_10empty_typeEbEEZZNS1_14partition_implILS5_2ELb0ES3_jN6thrust23THRUST_200600_302600_NS6detail15normal_iteratorINSA_7pointerIsNSA_11hip_rocprim3tagENSA_11use_defaultESG_EEEEPS6_NSA_18transform_iteratorI7is_evenIsENSC_INSA_10device_ptrIsEEEESG_SG_EENS0_5tupleIJPsSJ_EEENSR_IJSJ_SJ_EEES6_PlJS6_EEE10hipError_tPvRmT3_T4_T5_T6_T7_T9_mT8_P12ihipStream_tbDpT10_ENKUlT_T0_E_clISt17integral_constantIbLb1EES1F_EEDaS1A_S1B_EUlS1A_E_NS1_11comp_targetILNS1_3genE4ELNS1_11target_archE910ELNS1_3gpuE8ELNS1_3repE0EEENS1_30default_config_static_selectorELNS0_4arch9wavefront6targetE1EEEvT1_
; %bb.0:
	.section	.rodata,"a",@progbits
	.p2align	6, 0x0
	.amdhsa_kernel _ZN7rocprim17ROCPRIM_400000_NS6detail17trampoline_kernelINS0_14default_configENS1_25partition_config_selectorILNS1_17partition_subalgoE2EsNS0_10empty_typeEbEEZZNS1_14partition_implILS5_2ELb0ES3_jN6thrust23THRUST_200600_302600_NS6detail15normal_iteratorINSA_7pointerIsNSA_11hip_rocprim3tagENSA_11use_defaultESG_EEEEPS6_NSA_18transform_iteratorI7is_evenIsENSC_INSA_10device_ptrIsEEEESG_SG_EENS0_5tupleIJPsSJ_EEENSR_IJSJ_SJ_EEES6_PlJS6_EEE10hipError_tPvRmT3_T4_T5_T6_T7_T9_mT8_P12ihipStream_tbDpT10_ENKUlT_T0_E_clISt17integral_constantIbLb1EES1F_EEDaS1A_S1B_EUlS1A_E_NS1_11comp_targetILNS1_3genE4ELNS1_11target_archE910ELNS1_3gpuE8ELNS1_3repE0EEENS1_30default_config_static_selectorELNS0_4arch9wavefront6targetE1EEEvT1_
		.amdhsa_group_segment_fixed_size 0
		.amdhsa_private_segment_fixed_size 0
		.amdhsa_kernarg_size 144
		.amdhsa_user_sgpr_count 2
		.amdhsa_user_sgpr_dispatch_ptr 0
		.amdhsa_user_sgpr_queue_ptr 0
		.amdhsa_user_sgpr_kernarg_segment_ptr 1
		.amdhsa_user_sgpr_dispatch_id 0
		.amdhsa_user_sgpr_kernarg_preload_length 0
		.amdhsa_user_sgpr_kernarg_preload_offset 0
		.amdhsa_user_sgpr_private_segment_size 0
		.amdhsa_uses_dynamic_stack 0
		.amdhsa_enable_private_segment 0
		.amdhsa_system_sgpr_workgroup_id_x 1
		.amdhsa_system_sgpr_workgroup_id_y 0
		.amdhsa_system_sgpr_workgroup_id_z 0
		.amdhsa_system_sgpr_workgroup_info 0
		.amdhsa_system_vgpr_workitem_id 0
		.amdhsa_next_free_vgpr 1
		.amdhsa_next_free_sgpr 0
		.amdhsa_accum_offset 4
		.amdhsa_reserve_vcc 0
		.amdhsa_float_round_mode_32 0
		.amdhsa_float_round_mode_16_64 0
		.amdhsa_float_denorm_mode_32 3
		.amdhsa_float_denorm_mode_16_64 3
		.amdhsa_dx10_clamp 1
		.amdhsa_ieee_mode 1
		.amdhsa_fp16_overflow 0
		.amdhsa_tg_split 0
		.amdhsa_exception_fp_ieee_invalid_op 0
		.amdhsa_exception_fp_denorm_src 0
		.amdhsa_exception_fp_ieee_div_zero 0
		.amdhsa_exception_fp_ieee_overflow 0
		.amdhsa_exception_fp_ieee_underflow 0
		.amdhsa_exception_fp_ieee_inexact 0
		.amdhsa_exception_int_div_zero 0
	.end_amdhsa_kernel
	.section	.text._ZN7rocprim17ROCPRIM_400000_NS6detail17trampoline_kernelINS0_14default_configENS1_25partition_config_selectorILNS1_17partition_subalgoE2EsNS0_10empty_typeEbEEZZNS1_14partition_implILS5_2ELb0ES3_jN6thrust23THRUST_200600_302600_NS6detail15normal_iteratorINSA_7pointerIsNSA_11hip_rocprim3tagENSA_11use_defaultESG_EEEEPS6_NSA_18transform_iteratorI7is_evenIsENSC_INSA_10device_ptrIsEEEESG_SG_EENS0_5tupleIJPsSJ_EEENSR_IJSJ_SJ_EEES6_PlJS6_EEE10hipError_tPvRmT3_T4_T5_T6_T7_T9_mT8_P12ihipStream_tbDpT10_ENKUlT_T0_E_clISt17integral_constantIbLb1EES1F_EEDaS1A_S1B_EUlS1A_E_NS1_11comp_targetILNS1_3genE4ELNS1_11target_archE910ELNS1_3gpuE8ELNS1_3repE0EEENS1_30default_config_static_selectorELNS0_4arch9wavefront6targetE1EEEvT1_,"axG",@progbits,_ZN7rocprim17ROCPRIM_400000_NS6detail17trampoline_kernelINS0_14default_configENS1_25partition_config_selectorILNS1_17partition_subalgoE2EsNS0_10empty_typeEbEEZZNS1_14partition_implILS5_2ELb0ES3_jN6thrust23THRUST_200600_302600_NS6detail15normal_iteratorINSA_7pointerIsNSA_11hip_rocprim3tagENSA_11use_defaultESG_EEEEPS6_NSA_18transform_iteratorI7is_evenIsENSC_INSA_10device_ptrIsEEEESG_SG_EENS0_5tupleIJPsSJ_EEENSR_IJSJ_SJ_EEES6_PlJS6_EEE10hipError_tPvRmT3_T4_T5_T6_T7_T9_mT8_P12ihipStream_tbDpT10_ENKUlT_T0_E_clISt17integral_constantIbLb1EES1F_EEDaS1A_S1B_EUlS1A_E_NS1_11comp_targetILNS1_3genE4ELNS1_11target_archE910ELNS1_3gpuE8ELNS1_3repE0EEENS1_30default_config_static_selectorELNS0_4arch9wavefront6targetE1EEEvT1_,comdat
.Lfunc_end266:
	.size	_ZN7rocprim17ROCPRIM_400000_NS6detail17trampoline_kernelINS0_14default_configENS1_25partition_config_selectorILNS1_17partition_subalgoE2EsNS0_10empty_typeEbEEZZNS1_14partition_implILS5_2ELb0ES3_jN6thrust23THRUST_200600_302600_NS6detail15normal_iteratorINSA_7pointerIsNSA_11hip_rocprim3tagENSA_11use_defaultESG_EEEEPS6_NSA_18transform_iteratorI7is_evenIsENSC_INSA_10device_ptrIsEEEESG_SG_EENS0_5tupleIJPsSJ_EEENSR_IJSJ_SJ_EEES6_PlJS6_EEE10hipError_tPvRmT3_T4_T5_T6_T7_T9_mT8_P12ihipStream_tbDpT10_ENKUlT_T0_E_clISt17integral_constantIbLb1EES1F_EEDaS1A_S1B_EUlS1A_E_NS1_11comp_targetILNS1_3genE4ELNS1_11target_archE910ELNS1_3gpuE8ELNS1_3repE0EEENS1_30default_config_static_selectorELNS0_4arch9wavefront6targetE1EEEvT1_, .Lfunc_end266-_ZN7rocprim17ROCPRIM_400000_NS6detail17trampoline_kernelINS0_14default_configENS1_25partition_config_selectorILNS1_17partition_subalgoE2EsNS0_10empty_typeEbEEZZNS1_14partition_implILS5_2ELb0ES3_jN6thrust23THRUST_200600_302600_NS6detail15normal_iteratorINSA_7pointerIsNSA_11hip_rocprim3tagENSA_11use_defaultESG_EEEEPS6_NSA_18transform_iteratorI7is_evenIsENSC_INSA_10device_ptrIsEEEESG_SG_EENS0_5tupleIJPsSJ_EEENSR_IJSJ_SJ_EEES6_PlJS6_EEE10hipError_tPvRmT3_T4_T5_T6_T7_T9_mT8_P12ihipStream_tbDpT10_ENKUlT_T0_E_clISt17integral_constantIbLb1EES1F_EEDaS1A_S1B_EUlS1A_E_NS1_11comp_targetILNS1_3genE4ELNS1_11target_archE910ELNS1_3gpuE8ELNS1_3repE0EEENS1_30default_config_static_selectorELNS0_4arch9wavefront6targetE1EEEvT1_
                                        ; -- End function
	.section	.AMDGPU.csdata,"",@progbits
; Kernel info:
; codeLenInByte = 0
; NumSgprs: 6
; NumVgprs: 0
; NumAgprs: 0
; TotalNumVgprs: 0
; ScratchSize: 0
; MemoryBound: 0
; FloatMode: 240
; IeeeMode: 1
; LDSByteSize: 0 bytes/workgroup (compile time only)
; SGPRBlocks: 0
; VGPRBlocks: 0
; NumSGPRsForWavesPerEU: 6
; NumVGPRsForWavesPerEU: 1
; AccumOffset: 4
; Occupancy: 8
; WaveLimiterHint : 0
; COMPUTE_PGM_RSRC2:SCRATCH_EN: 0
; COMPUTE_PGM_RSRC2:USER_SGPR: 2
; COMPUTE_PGM_RSRC2:TRAP_HANDLER: 0
; COMPUTE_PGM_RSRC2:TGID_X_EN: 1
; COMPUTE_PGM_RSRC2:TGID_Y_EN: 0
; COMPUTE_PGM_RSRC2:TGID_Z_EN: 0
; COMPUTE_PGM_RSRC2:TIDIG_COMP_CNT: 0
; COMPUTE_PGM_RSRC3_GFX90A:ACCUM_OFFSET: 0
; COMPUTE_PGM_RSRC3_GFX90A:TG_SPLIT: 0
	.section	.text._ZN7rocprim17ROCPRIM_400000_NS6detail17trampoline_kernelINS0_14default_configENS1_25partition_config_selectorILNS1_17partition_subalgoE2EsNS0_10empty_typeEbEEZZNS1_14partition_implILS5_2ELb0ES3_jN6thrust23THRUST_200600_302600_NS6detail15normal_iteratorINSA_7pointerIsNSA_11hip_rocprim3tagENSA_11use_defaultESG_EEEEPS6_NSA_18transform_iteratorI7is_evenIsENSC_INSA_10device_ptrIsEEEESG_SG_EENS0_5tupleIJPsSJ_EEENSR_IJSJ_SJ_EEES6_PlJS6_EEE10hipError_tPvRmT3_T4_T5_T6_T7_T9_mT8_P12ihipStream_tbDpT10_ENKUlT_T0_E_clISt17integral_constantIbLb1EES1F_EEDaS1A_S1B_EUlS1A_E_NS1_11comp_targetILNS1_3genE3ELNS1_11target_archE908ELNS1_3gpuE7ELNS1_3repE0EEENS1_30default_config_static_selectorELNS0_4arch9wavefront6targetE1EEEvT1_,"axG",@progbits,_ZN7rocprim17ROCPRIM_400000_NS6detail17trampoline_kernelINS0_14default_configENS1_25partition_config_selectorILNS1_17partition_subalgoE2EsNS0_10empty_typeEbEEZZNS1_14partition_implILS5_2ELb0ES3_jN6thrust23THRUST_200600_302600_NS6detail15normal_iteratorINSA_7pointerIsNSA_11hip_rocprim3tagENSA_11use_defaultESG_EEEEPS6_NSA_18transform_iteratorI7is_evenIsENSC_INSA_10device_ptrIsEEEESG_SG_EENS0_5tupleIJPsSJ_EEENSR_IJSJ_SJ_EEES6_PlJS6_EEE10hipError_tPvRmT3_T4_T5_T6_T7_T9_mT8_P12ihipStream_tbDpT10_ENKUlT_T0_E_clISt17integral_constantIbLb1EES1F_EEDaS1A_S1B_EUlS1A_E_NS1_11comp_targetILNS1_3genE3ELNS1_11target_archE908ELNS1_3gpuE7ELNS1_3repE0EEENS1_30default_config_static_selectorELNS0_4arch9wavefront6targetE1EEEvT1_,comdat
	.protected	_ZN7rocprim17ROCPRIM_400000_NS6detail17trampoline_kernelINS0_14default_configENS1_25partition_config_selectorILNS1_17partition_subalgoE2EsNS0_10empty_typeEbEEZZNS1_14partition_implILS5_2ELb0ES3_jN6thrust23THRUST_200600_302600_NS6detail15normal_iteratorINSA_7pointerIsNSA_11hip_rocprim3tagENSA_11use_defaultESG_EEEEPS6_NSA_18transform_iteratorI7is_evenIsENSC_INSA_10device_ptrIsEEEESG_SG_EENS0_5tupleIJPsSJ_EEENSR_IJSJ_SJ_EEES6_PlJS6_EEE10hipError_tPvRmT3_T4_T5_T6_T7_T9_mT8_P12ihipStream_tbDpT10_ENKUlT_T0_E_clISt17integral_constantIbLb1EES1F_EEDaS1A_S1B_EUlS1A_E_NS1_11comp_targetILNS1_3genE3ELNS1_11target_archE908ELNS1_3gpuE7ELNS1_3repE0EEENS1_30default_config_static_selectorELNS0_4arch9wavefront6targetE1EEEvT1_ ; -- Begin function _ZN7rocprim17ROCPRIM_400000_NS6detail17trampoline_kernelINS0_14default_configENS1_25partition_config_selectorILNS1_17partition_subalgoE2EsNS0_10empty_typeEbEEZZNS1_14partition_implILS5_2ELb0ES3_jN6thrust23THRUST_200600_302600_NS6detail15normal_iteratorINSA_7pointerIsNSA_11hip_rocprim3tagENSA_11use_defaultESG_EEEEPS6_NSA_18transform_iteratorI7is_evenIsENSC_INSA_10device_ptrIsEEEESG_SG_EENS0_5tupleIJPsSJ_EEENSR_IJSJ_SJ_EEES6_PlJS6_EEE10hipError_tPvRmT3_T4_T5_T6_T7_T9_mT8_P12ihipStream_tbDpT10_ENKUlT_T0_E_clISt17integral_constantIbLb1EES1F_EEDaS1A_S1B_EUlS1A_E_NS1_11comp_targetILNS1_3genE3ELNS1_11target_archE908ELNS1_3gpuE7ELNS1_3repE0EEENS1_30default_config_static_selectorELNS0_4arch9wavefront6targetE1EEEvT1_
	.globl	_ZN7rocprim17ROCPRIM_400000_NS6detail17trampoline_kernelINS0_14default_configENS1_25partition_config_selectorILNS1_17partition_subalgoE2EsNS0_10empty_typeEbEEZZNS1_14partition_implILS5_2ELb0ES3_jN6thrust23THRUST_200600_302600_NS6detail15normal_iteratorINSA_7pointerIsNSA_11hip_rocprim3tagENSA_11use_defaultESG_EEEEPS6_NSA_18transform_iteratorI7is_evenIsENSC_INSA_10device_ptrIsEEEESG_SG_EENS0_5tupleIJPsSJ_EEENSR_IJSJ_SJ_EEES6_PlJS6_EEE10hipError_tPvRmT3_T4_T5_T6_T7_T9_mT8_P12ihipStream_tbDpT10_ENKUlT_T0_E_clISt17integral_constantIbLb1EES1F_EEDaS1A_S1B_EUlS1A_E_NS1_11comp_targetILNS1_3genE3ELNS1_11target_archE908ELNS1_3gpuE7ELNS1_3repE0EEENS1_30default_config_static_selectorELNS0_4arch9wavefront6targetE1EEEvT1_
	.p2align	8
	.type	_ZN7rocprim17ROCPRIM_400000_NS6detail17trampoline_kernelINS0_14default_configENS1_25partition_config_selectorILNS1_17partition_subalgoE2EsNS0_10empty_typeEbEEZZNS1_14partition_implILS5_2ELb0ES3_jN6thrust23THRUST_200600_302600_NS6detail15normal_iteratorINSA_7pointerIsNSA_11hip_rocprim3tagENSA_11use_defaultESG_EEEEPS6_NSA_18transform_iteratorI7is_evenIsENSC_INSA_10device_ptrIsEEEESG_SG_EENS0_5tupleIJPsSJ_EEENSR_IJSJ_SJ_EEES6_PlJS6_EEE10hipError_tPvRmT3_T4_T5_T6_T7_T9_mT8_P12ihipStream_tbDpT10_ENKUlT_T0_E_clISt17integral_constantIbLb1EES1F_EEDaS1A_S1B_EUlS1A_E_NS1_11comp_targetILNS1_3genE3ELNS1_11target_archE908ELNS1_3gpuE7ELNS1_3repE0EEENS1_30default_config_static_selectorELNS0_4arch9wavefront6targetE1EEEvT1_,@function
_ZN7rocprim17ROCPRIM_400000_NS6detail17trampoline_kernelINS0_14default_configENS1_25partition_config_selectorILNS1_17partition_subalgoE2EsNS0_10empty_typeEbEEZZNS1_14partition_implILS5_2ELb0ES3_jN6thrust23THRUST_200600_302600_NS6detail15normal_iteratorINSA_7pointerIsNSA_11hip_rocprim3tagENSA_11use_defaultESG_EEEEPS6_NSA_18transform_iteratorI7is_evenIsENSC_INSA_10device_ptrIsEEEESG_SG_EENS0_5tupleIJPsSJ_EEENSR_IJSJ_SJ_EEES6_PlJS6_EEE10hipError_tPvRmT3_T4_T5_T6_T7_T9_mT8_P12ihipStream_tbDpT10_ENKUlT_T0_E_clISt17integral_constantIbLb1EES1F_EEDaS1A_S1B_EUlS1A_E_NS1_11comp_targetILNS1_3genE3ELNS1_11target_archE908ELNS1_3gpuE7ELNS1_3repE0EEENS1_30default_config_static_selectorELNS0_4arch9wavefront6targetE1EEEvT1_: ; @_ZN7rocprim17ROCPRIM_400000_NS6detail17trampoline_kernelINS0_14default_configENS1_25partition_config_selectorILNS1_17partition_subalgoE2EsNS0_10empty_typeEbEEZZNS1_14partition_implILS5_2ELb0ES3_jN6thrust23THRUST_200600_302600_NS6detail15normal_iteratorINSA_7pointerIsNSA_11hip_rocprim3tagENSA_11use_defaultESG_EEEEPS6_NSA_18transform_iteratorI7is_evenIsENSC_INSA_10device_ptrIsEEEESG_SG_EENS0_5tupleIJPsSJ_EEENSR_IJSJ_SJ_EEES6_PlJS6_EEE10hipError_tPvRmT3_T4_T5_T6_T7_T9_mT8_P12ihipStream_tbDpT10_ENKUlT_T0_E_clISt17integral_constantIbLb1EES1F_EEDaS1A_S1B_EUlS1A_E_NS1_11comp_targetILNS1_3genE3ELNS1_11target_archE908ELNS1_3gpuE7ELNS1_3repE0EEENS1_30default_config_static_selectorELNS0_4arch9wavefront6targetE1EEEvT1_
; %bb.0:
	.section	.rodata,"a",@progbits
	.p2align	6, 0x0
	.amdhsa_kernel _ZN7rocprim17ROCPRIM_400000_NS6detail17trampoline_kernelINS0_14default_configENS1_25partition_config_selectorILNS1_17partition_subalgoE2EsNS0_10empty_typeEbEEZZNS1_14partition_implILS5_2ELb0ES3_jN6thrust23THRUST_200600_302600_NS6detail15normal_iteratorINSA_7pointerIsNSA_11hip_rocprim3tagENSA_11use_defaultESG_EEEEPS6_NSA_18transform_iteratorI7is_evenIsENSC_INSA_10device_ptrIsEEEESG_SG_EENS0_5tupleIJPsSJ_EEENSR_IJSJ_SJ_EEES6_PlJS6_EEE10hipError_tPvRmT3_T4_T5_T6_T7_T9_mT8_P12ihipStream_tbDpT10_ENKUlT_T0_E_clISt17integral_constantIbLb1EES1F_EEDaS1A_S1B_EUlS1A_E_NS1_11comp_targetILNS1_3genE3ELNS1_11target_archE908ELNS1_3gpuE7ELNS1_3repE0EEENS1_30default_config_static_selectorELNS0_4arch9wavefront6targetE1EEEvT1_
		.amdhsa_group_segment_fixed_size 0
		.amdhsa_private_segment_fixed_size 0
		.amdhsa_kernarg_size 144
		.amdhsa_user_sgpr_count 2
		.amdhsa_user_sgpr_dispatch_ptr 0
		.amdhsa_user_sgpr_queue_ptr 0
		.amdhsa_user_sgpr_kernarg_segment_ptr 1
		.amdhsa_user_sgpr_dispatch_id 0
		.amdhsa_user_sgpr_kernarg_preload_length 0
		.amdhsa_user_sgpr_kernarg_preload_offset 0
		.amdhsa_user_sgpr_private_segment_size 0
		.amdhsa_uses_dynamic_stack 0
		.amdhsa_enable_private_segment 0
		.amdhsa_system_sgpr_workgroup_id_x 1
		.amdhsa_system_sgpr_workgroup_id_y 0
		.amdhsa_system_sgpr_workgroup_id_z 0
		.amdhsa_system_sgpr_workgroup_info 0
		.amdhsa_system_vgpr_workitem_id 0
		.amdhsa_next_free_vgpr 1
		.amdhsa_next_free_sgpr 0
		.amdhsa_accum_offset 4
		.amdhsa_reserve_vcc 0
		.amdhsa_float_round_mode_32 0
		.amdhsa_float_round_mode_16_64 0
		.amdhsa_float_denorm_mode_32 3
		.amdhsa_float_denorm_mode_16_64 3
		.amdhsa_dx10_clamp 1
		.amdhsa_ieee_mode 1
		.amdhsa_fp16_overflow 0
		.amdhsa_tg_split 0
		.amdhsa_exception_fp_ieee_invalid_op 0
		.amdhsa_exception_fp_denorm_src 0
		.amdhsa_exception_fp_ieee_div_zero 0
		.amdhsa_exception_fp_ieee_overflow 0
		.amdhsa_exception_fp_ieee_underflow 0
		.amdhsa_exception_fp_ieee_inexact 0
		.amdhsa_exception_int_div_zero 0
	.end_amdhsa_kernel
	.section	.text._ZN7rocprim17ROCPRIM_400000_NS6detail17trampoline_kernelINS0_14default_configENS1_25partition_config_selectorILNS1_17partition_subalgoE2EsNS0_10empty_typeEbEEZZNS1_14partition_implILS5_2ELb0ES3_jN6thrust23THRUST_200600_302600_NS6detail15normal_iteratorINSA_7pointerIsNSA_11hip_rocprim3tagENSA_11use_defaultESG_EEEEPS6_NSA_18transform_iteratorI7is_evenIsENSC_INSA_10device_ptrIsEEEESG_SG_EENS0_5tupleIJPsSJ_EEENSR_IJSJ_SJ_EEES6_PlJS6_EEE10hipError_tPvRmT3_T4_T5_T6_T7_T9_mT8_P12ihipStream_tbDpT10_ENKUlT_T0_E_clISt17integral_constantIbLb1EES1F_EEDaS1A_S1B_EUlS1A_E_NS1_11comp_targetILNS1_3genE3ELNS1_11target_archE908ELNS1_3gpuE7ELNS1_3repE0EEENS1_30default_config_static_selectorELNS0_4arch9wavefront6targetE1EEEvT1_,"axG",@progbits,_ZN7rocprim17ROCPRIM_400000_NS6detail17trampoline_kernelINS0_14default_configENS1_25partition_config_selectorILNS1_17partition_subalgoE2EsNS0_10empty_typeEbEEZZNS1_14partition_implILS5_2ELb0ES3_jN6thrust23THRUST_200600_302600_NS6detail15normal_iteratorINSA_7pointerIsNSA_11hip_rocprim3tagENSA_11use_defaultESG_EEEEPS6_NSA_18transform_iteratorI7is_evenIsENSC_INSA_10device_ptrIsEEEESG_SG_EENS0_5tupleIJPsSJ_EEENSR_IJSJ_SJ_EEES6_PlJS6_EEE10hipError_tPvRmT3_T4_T5_T6_T7_T9_mT8_P12ihipStream_tbDpT10_ENKUlT_T0_E_clISt17integral_constantIbLb1EES1F_EEDaS1A_S1B_EUlS1A_E_NS1_11comp_targetILNS1_3genE3ELNS1_11target_archE908ELNS1_3gpuE7ELNS1_3repE0EEENS1_30default_config_static_selectorELNS0_4arch9wavefront6targetE1EEEvT1_,comdat
.Lfunc_end267:
	.size	_ZN7rocprim17ROCPRIM_400000_NS6detail17trampoline_kernelINS0_14default_configENS1_25partition_config_selectorILNS1_17partition_subalgoE2EsNS0_10empty_typeEbEEZZNS1_14partition_implILS5_2ELb0ES3_jN6thrust23THRUST_200600_302600_NS6detail15normal_iteratorINSA_7pointerIsNSA_11hip_rocprim3tagENSA_11use_defaultESG_EEEEPS6_NSA_18transform_iteratorI7is_evenIsENSC_INSA_10device_ptrIsEEEESG_SG_EENS0_5tupleIJPsSJ_EEENSR_IJSJ_SJ_EEES6_PlJS6_EEE10hipError_tPvRmT3_T4_T5_T6_T7_T9_mT8_P12ihipStream_tbDpT10_ENKUlT_T0_E_clISt17integral_constantIbLb1EES1F_EEDaS1A_S1B_EUlS1A_E_NS1_11comp_targetILNS1_3genE3ELNS1_11target_archE908ELNS1_3gpuE7ELNS1_3repE0EEENS1_30default_config_static_selectorELNS0_4arch9wavefront6targetE1EEEvT1_, .Lfunc_end267-_ZN7rocprim17ROCPRIM_400000_NS6detail17trampoline_kernelINS0_14default_configENS1_25partition_config_selectorILNS1_17partition_subalgoE2EsNS0_10empty_typeEbEEZZNS1_14partition_implILS5_2ELb0ES3_jN6thrust23THRUST_200600_302600_NS6detail15normal_iteratorINSA_7pointerIsNSA_11hip_rocprim3tagENSA_11use_defaultESG_EEEEPS6_NSA_18transform_iteratorI7is_evenIsENSC_INSA_10device_ptrIsEEEESG_SG_EENS0_5tupleIJPsSJ_EEENSR_IJSJ_SJ_EEES6_PlJS6_EEE10hipError_tPvRmT3_T4_T5_T6_T7_T9_mT8_P12ihipStream_tbDpT10_ENKUlT_T0_E_clISt17integral_constantIbLb1EES1F_EEDaS1A_S1B_EUlS1A_E_NS1_11comp_targetILNS1_3genE3ELNS1_11target_archE908ELNS1_3gpuE7ELNS1_3repE0EEENS1_30default_config_static_selectorELNS0_4arch9wavefront6targetE1EEEvT1_
                                        ; -- End function
	.section	.AMDGPU.csdata,"",@progbits
; Kernel info:
; codeLenInByte = 0
; NumSgprs: 6
; NumVgprs: 0
; NumAgprs: 0
; TotalNumVgprs: 0
; ScratchSize: 0
; MemoryBound: 0
; FloatMode: 240
; IeeeMode: 1
; LDSByteSize: 0 bytes/workgroup (compile time only)
; SGPRBlocks: 0
; VGPRBlocks: 0
; NumSGPRsForWavesPerEU: 6
; NumVGPRsForWavesPerEU: 1
; AccumOffset: 4
; Occupancy: 8
; WaveLimiterHint : 0
; COMPUTE_PGM_RSRC2:SCRATCH_EN: 0
; COMPUTE_PGM_RSRC2:USER_SGPR: 2
; COMPUTE_PGM_RSRC2:TRAP_HANDLER: 0
; COMPUTE_PGM_RSRC2:TGID_X_EN: 1
; COMPUTE_PGM_RSRC2:TGID_Y_EN: 0
; COMPUTE_PGM_RSRC2:TGID_Z_EN: 0
; COMPUTE_PGM_RSRC2:TIDIG_COMP_CNT: 0
; COMPUTE_PGM_RSRC3_GFX90A:ACCUM_OFFSET: 0
; COMPUTE_PGM_RSRC3_GFX90A:TG_SPLIT: 0
	.section	.text._ZN7rocprim17ROCPRIM_400000_NS6detail17trampoline_kernelINS0_14default_configENS1_25partition_config_selectorILNS1_17partition_subalgoE2EsNS0_10empty_typeEbEEZZNS1_14partition_implILS5_2ELb0ES3_jN6thrust23THRUST_200600_302600_NS6detail15normal_iteratorINSA_7pointerIsNSA_11hip_rocprim3tagENSA_11use_defaultESG_EEEEPS6_NSA_18transform_iteratorI7is_evenIsENSC_INSA_10device_ptrIsEEEESG_SG_EENS0_5tupleIJPsSJ_EEENSR_IJSJ_SJ_EEES6_PlJS6_EEE10hipError_tPvRmT3_T4_T5_T6_T7_T9_mT8_P12ihipStream_tbDpT10_ENKUlT_T0_E_clISt17integral_constantIbLb1EES1F_EEDaS1A_S1B_EUlS1A_E_NS1_11comp_targetILNS1_3genE2ELNS1_11target_archE906ELNS1_3gpuE6ELNS1_3repE0EEENS1_30default_config_static_selectorELNS0_4arch9wavefront6targetE1EEEvT1_,"axG",@progbits,_ZN7rocprim17ROCPRIM_400000_NS6detail17trampoline_kernelINS0_14default_configENS1_25partition_config_selectorILNS1_17partition_subalgoE2EsNS0_10empty_typeEbEEZZNS1_14partition_implILS5_2ELb0ES3_jN6thrust23THRUST_200600_302600_NS6detail15normal_iteratorINSA_7pointerIsNSA_11hip_rocprim3tagENSA_11use_defaultESG_EEEEPS6_NSA_18transform_iteratorI7is_evenIsENSC_INSA_10device_ptrIsEEEESG_SG_EENS0_5tupleIJPsSJ_EEENSR_IJSJ_SJ_EEES6_PlJS6_EEE10hipError_tPvRmT3_T4_T5_T6_T7_T9_mT8_P12ihipStream_tbDpT10_ENKUlT_T0_E_clISt17integral_constantIbLb1EES1F_EEDaS1A_S1B_EUlS1A_E_NS1_11comp_targetILNS1_3genE2ELNS1_11target_archE906ELNS1_3gpuE6ELNS1_3repE0EEENS1_30default_config_static_selectorELNS0_4arch9wavefront6targetE1EEEvT1_,comdat
	.protected	_ZN7rocprim17ROCPRIM_400000_NS6detail17trampoline_kernelINS0_14default_configENS1_25partition_config_selectorILNS1_17partition_subalgoE2EsNS0_10empty_typeEbEEZZNS1_14partition_implILS5_2ELb0ES3_jN6thrust23THRUST_200600_302600_NS6detail15normal_iteratorINSA_7pointerIsNSA_11hip_rocprim3tagENSA_11use_defaultESG_EEEEPS6_NSA_18transform_iteratorI7is_evenIsENSC_INSA_10device_ptrIsEEEESG_SG_EENS0_5tupleIJPsSJ_EEENSR_IJSJ_SJ_EEES6_PlJS6_EEE10hipError_tPvRmT3_T4_T5_T6_T7_T9_mT8_P12ihipStream_tbDpT10_ENKUlT_T0_E_clISt17integral_constantIbLb1EES1F_EEDaS1A_S1B_EUlS1A_E_NS1_11comp_targetILNS1_3genE2ELNS1_11target_archE906ELNS1_3gpuE6ELNS1_3repE0EEENS1_30default_config_static_selectorELNS0_4arch9wavefront6targetE1EEEvT1_ ; -- Begin function _ZN7rocprim17ROCPRIM_400000_NS6detail17trampoline_kernelINS0_14default_configENS1_25partition_config_selectorILNS1_17partition_subalgoE2EsNS0_10empty_typeEbEEZZNS1_14partition_implILS5_2ELb0ES3_jN6thrust23THRUST_200600_302600_NS6detail15normal_iteratorINSA_7pointerIsNSA_11hip_rocprim3tagENSA_11use_defaultESG_EEEEPS6_NSA_18transform_iteratorI7is_evenIsENSC_INSA_10device_ptrIsEEEESG_SG_EENS0_5tupleIJPsSJ_EEENSR_IJSJ_SJ_EEES6_PlJS6_EEE10hipError_tPvRmT3_T4_T5_T6_T7_T9_mT8_P12ihipStream_tbDpT10_ENKUlT_T0_E_clISt17integral_constantIbLb1EES1F_EEDaS1A_S1B_EUlS1A_E_NS1_11comp_targetILNS1_3genE2ELNS1_11target_archE906ELNS1_3gpuE6ELNS1_3repE0EEENS1_30default_config_static_selectorELNS0_4arch9wavefront6targetE1EEEvT1_
	.globl	_ZN7rocprim17ROCPRIM_400000_NS6detail17trampoline_kernelINS0_14default_configENS1_25partition_config_selectorILNS1_17partition_subalgoE2EsNS0_10empty_typeEbEEZZNS1_14partition_implILS5_2ELb0ES3_jN6thrust23THRUST_200600_302600_NS6detail15normal_iteratorINSA_7pointerIsNSA_11hip_rocprim3tagENSA_11use_defaultESG_EEEEPS6_NSA_18transform_iteratorI7is_evenIsENSC_INSA_10device_ptrIsEEEESG_SG_EENS0_5tupleIJPsSJ_EEENSR_IJSJ_SJ_EEES6_PlJS6_EEE10hipError_tPvRmT3_T4_T5_T6_T7_T9_mT8_P12ihipStream_tbDpT10_ENKUlT_T0_E_clISt17integral_constantIbLb1EES1F_EEDaS1A_S1B_EUlS1A_E_NS1_11comp_targetILNS1_3genE2ELNS1_11target_archE906ELNS1_3gpuE6ELNS1_3repE0EEENS1_30default_config_static_selectorELNS0_4arch9wavefront6targetE1EEEvT1_
	.p2align	8
	.type	_ZN7rocprim17ROCPRIM_400000_NS6detail17trampoline_kernelINS0_14default_configENS1_25partition_config_selectorILNS1_17partition_subalgoE2EsNS0_10empty_typeEbEEZZNS1_14partition_implILS5_2ELb0ES3_jN6thrust23THRUST_200600_302600_NS6detail15normal_iteratorINSA_7pointerIsNSA_11hip_rocprim3tagENSA_11use_defaultESG_EEEEPS6_NSA_18transform_iteratorI7is_evenIsENSC_INSA_10device_ptrIsEEEESG_SG_EENS0_5tupleIJPsSJ_EEENSR_IJSJ_SJ_EEES6_PlJS6_EEE10hipError_tPvRmT3_T4_T5_T6_T7_T9_mT8_P12ihipStream_tbDpT10_ENKUlT_T0_E_clISt17integral_constantIbLb1EES1F_EEDaS1A_S1B_EUlS1A_E_NS1_11comp_targetILNS1_3genE2ELNS1_11target_archE906ELNS1_3gpuE6ELNS1_3repE0EEENS1_30default_config_static_selectorELNS0_4arch9wavefront6targetE1EEEvT1_,@function
_ZN7rocprim17ROCPRIM_400000_NS6detail17trampoline_kernelINS0_14default_configENS1_25partition_config_selectorILNS1_17partition_subalgoE2EsNS0_10empty_typeEbEEZZNS1_14partition_implILS5_2ELb0ES3_jN6thrust23THRUST_200600_302600_NS6detail15normal_iteratorINSA_7pointerIsNSA_11hip_rocprim3tagENSA_11use_defaultESG_EEEEPS6_NSA_18transform_iteratorI7is_evenIsENSC_INSA_10device_ptrIsEEEESG_SG_EENS0_5tupleIJPsSJ_EEENSR_IJSJ_SJ_EEES6_PlJS6_EEE10hipError_tPvRmT3_T4_T5_T6_T7_T9_mT8_P12ihipStream_tbDpT10_ENKUlT_T0_E_clISt17integral_constantIbLb1EES1F_EEDaS1A_S1B_EUlS1A_E_NS1_11comp_targetILNS1_3genE2ELNS1_11target_archE906ELNS1_3gpuE6ELNS1_3repE0EEENS1_30default_config_static_selectorELNS0_4arch9wavefront6targetE1EEEvT1_: ; @_ZN7rocprim17ROCPRIM_400000_NS6detail17trampoline_kernelINS0_14default_configENS1_25partition_config_selectorILNS1_17partition_subalgoE2EsNS0_10empty_typeEbEEZZNS1_14partition_implILS5_2ELb0ES3_jN6thrust23THRUST_200600_302600_NS6detail15normal_iteratorINSA_7pointerIsNSA_11hip_rocprim3tagENSA_11use_defaultESG_EEEEPS6_NSA_18transform_iteratorI7is_evenIsENSC_INSA_10device_ptrIsEEEESG_SG_EENS0_5tupleIJPsSJ_EEENSR_IJSJ_SJ_EEES6_PlJS6_EEE10hipError_tPvRmT3_T4_T5_T6_T7_T9_mT8_P12ihipStream_tbDpT10_ENKUlT_T0_E_clISt17integral_constantIbLb1EES1F_EEDaS1A_S1B_EUlS1A_E_NS1_11comp_targetILNS1_3genE2ELNS1_11target_archE906ELNS1_3gpuE6ELNS1_3repE0EEENS1_30default_config_static_selectorELNS0_4arch9wavefront6targetE1EEEvT1_
; %bb.0:
	.section	.rodata,"a",@progbits
	.p2align	6, 0x0
	.amdhsa_kernel _ZN7rocprim17ROCPRIM_400000_NS6detail17trampoline_kernelINS0_14default_configENS1_25partition_config_selectorILNS1_17partition_subalgoE2EsNS0_10empty_typeEbEEZZNS1_14partition_implILS5_2ELb0ES3_jN6thrust23THRUST_200600_302600_NS6detail15normal_iteratorINSA_7pointerIsNSA_11hip_rocprim3tagENSA_11use_defaultESG_EEEEPS6_NSA_18transform_iteratorI7is_evenIsENSC_INSA_10device_ptrIsEEEESG_SG_EENS0_5tupleIJPsSJ_EEENSR_IJSJ_SJ_EEES6_PlJS6_EEE10hipError_tPvRmT3_T4_T5_T6_T7_T9_mT8_P12ihipStream_tbDpT10_ENKUlT_T0_E_clISt17integral_constantIbLb1EES1F_EEDaS1A_S1B_EUlS1A_E_NS1_11comp_targetILNS1_3genE2ELNS1_11target_archE906ELNS1_3gpuE6ELNS1_3repE0EEENS1_30default_config_static_selectorELNS0_4arch9wavefront6targetE1EEEvT1_
		.amdhsa_group_segment_fixed_size 0
		.amdhsa_private_segment_fixed_size 0
		.amdhsa_kernarg_size 144
		.amdhsa_user_sgpr_count 2
		.amdhsa_user_sgpr_dispatch_ptr 0
		.amdhsa_user_sgpr_queue_ptr 0
		.amdhsa_user_sgpr_kernarg_segment_ptr 1
		.amdhsa_user_sgpr_dispatch_id 0
		.amdhsa_user_sgpr_kernarg_preload_length 0
		.amdhsa_user_sgpr_kernarg_preload_offset 0
		.amdhsa_user_sgpr_private_segment_size 0
		.amdhsa_uses_dynamic_stack 0
		.amdhsa_enable_private_segment 0
		.amdhsa_system_sgpr_workgroup_id_x 1
		.amdhsa_system_sgpr_workgroup_id_y 0
		.amdhsa_system_sgpr_workgroup_id_z 0
		.amdhsa_system_sgpr_workgroup_info 0
		.amdhsa_system_vgpr_workitem_id 0
		.amdhsa_next_free_vgpr 1
		.amdhsa_next_free_sgpr 0
		.amdhsa_accum_offset 4
		.amdhsa_reserve_vcc 0
		.amdhsa_float_round_mode_32 0
		.amdhsa_float_round_mode_16_64 0
		.amdhsa_float_denorm_mode_32 3
		.amdhsa_float_denorm_mode_16_64 3
		.amdhsa_dx10_clamp 1
		.amdhsa_ieee_mode 1
		.amdhsa_fp16_overflow 0
		.amdhsa_tg_split 0
		.amdhsa_exception_fp_ieee_invalid_op 0
		.amdhsa_exception_fp_denorm_src 0
		.amdhsa_exception_fp_ieee_div_zero 0
		.amdhsa_exception_fp_ieee_overflow 0
		.amdhsa_exception_fp_ieee_underflow 0
		.amdhsa_exception_fp_ieee_inexact 0
		.amdhsa_exception_int_div_zero 0
	.end_amdhsa_kernel
	.section	.text._ZN7rocprim17ROCPRIM_400000_NS6detail17trampoline_kernelINS0_14default_configENS1_25partition_config_selectorILNS1_17partition_subalgoE2EsNS0_10empty_typeEbEEZZNS1_14partition_implILS5_2ELb0ES3_jN6thrust23THRUST_200600_302600_NS6detail15normal_iteratorINSA_7pointerIsNSA_11hip_rocprim3tagENSA_11use_defaultESG_EEEEPS6_NSA_18transform_iteratorI7is_evenIsENSC_INSA_10device_ptrIsEEEESG_SG_EENS0_5tupleIJPsSJ_EEENSR_IJSJ_SJ_EEES6_PlJS6_EEE10hipError_tPvRmT3_T4_T5_T6_T7_T9_mT8_P12ihipStream_tbDpT10_ENKUlT_T0_E_clISt17integral_constantIbLb1EES1F_EEDaS1A_S1B_EUlS1A_E_NS1_11comp_targetILNS1_3genE2ELNS1_11target_archE906ELNS1_3gpuE6ELNS1_3repE0EEENS1_30default_config_static_selectorELNS0_4arch9wavefront6targetE1EEEvT1_,"axG",@progbits,_ZN7rocprim17ROCPRIM_400000_NS6detail17trampoline_kernelINS0_14default_configENS1_25partition_config_selectorILNS1_17partition_subalgoE2EsNS0_10empty_typeEbEEZZNS1_14partition_implILS5_2ELb0ES3_jN6thrust23THRUST_200600_302600_NS6detail15normal_iteratorINSA_7pointerIsNSA_11hip_rocprim3tagENSA_11use_defaultESG_EEEEPS6_NSA_18transform_iteratorI7is_evenIsENSC_INSA_10device_ptrIsEEEESG_SG_EENS0_5tupleIJPsSJ_EEENSR_IJSJ_SJ_EEES6_PlJS6_EEE10hipError_tPvRmT3_T4_T5_T6_T7_T9_mT8_P12ihipStream_tbDpT10_ENKUlT_T0_E_clISt17integral_constantIbLb1EES1F_EEDaS1A_S1B_EUlS1A_E_NS1_11comp_targetILNS1_3genE2ELNS1_11target_archE906ELNS1_3gpuE6ELNS1_3repE0EEENS1_30default_config_static_selectorELNS0_4arch9wavefront6targetE1EEEvT1_,comdat
.Lfunc_end268:
	.size	_ZN7rocprim17ROCPRIM_400000_NS6detail17trampoline_kernelINS0_14default_configENS1_25partition_config_selectorILNS1_17partition_subalgoE2EsNS0_10empty_typeEbEEZZNS1_14partition_implILS5_2ELb0ES3_jN6thrust23THRUST_200600_302600_NS6detail15normal_iteratorINSA_7pointerIsNSA_11hip_rocprim3tagENSA_11use_defaultESG_EEEEPS6_NSA_18transform_iteratorI7is_evenIsENSC_INSA_10device_ptrIsEEEESG_SG_EENS0_5tupleIJPsSJ_EEENSR_IJSJ_SJ_EEES6_PlJS6_EEE10hipError_tPvRmT3_T4_T5_T6_T7_T9_mT8_P12ihipStream_tbDpT10_ENKUlT_T0_E_clISt17integral_constantIbLb1EES1F_EEDaS1A_S1B_EUlS1A_E_NS1_11comp_targetILNS1_3genE2ELNS1_11target_archE906ELNS1_3gpuE6ELNS1_3repE0EEENS1_30default_config_static_selectorELNS0_4arch9wavefront6targetE1EEEvT1_, .Lfunc_end268-_ZN7rocprim17ROCPRIM_400000_NS6detail17trampoline_kernelINS0_14default_configENS1_25partition_config_selectorILNS1_17partition_subalgoE2EsNS0_10empty_typeEbEEZZNS1_14partition_implILS5_2ELb0ES3_jN6thrust23THRUST_200600_302600_NS6detail15normal_iteratorINSA_7pointerIsNSA_11hip_rocprim3tagENSA_11use_defaultESG_EEEEPS6_NSA_18transform_iteratorI7is_evenIsENSC_INSA_10device_ptrIsEEEESG_SG_EENS0_5tupleIJPsSJ_EEENSR_IJSJ_SJ_EEES6_PlJS6_EEE10hipError_tPvRmT3_T4_T5_T6_T7_T9_mT8_P12ihipStream_tbDpT10_ENKUlT_T0_E_clISt17integral_constantIbLb1EES1F_EEDaS1A_S1B_EUlS1A_E_NS1_11comp_targetILNS1_3genE2ELNS1_11target_archE906ELNS1_3gpuE6ELNS1_3repE0EEENS1_30default_config_static_selectorELNS0_4arch9wavefront6targetE1EEEvT1_
                                        ; -- End function
	.section	.AMDGPU.csdata,"",@progbits
; Kernel info:
; codeLenInByte = 0
; NumSgprs: 6
; NumVgprs: 0
; NumAgprs: 0
; TotalNumVgprs: 0
; ScratchSize: 0
; MemoryBound: 0
; FloatMode: 240
; IeeeMode: 1
; LDSByteSize: 0 bytes/workgroup (compile time only)
; SGPRBlocks: 0
; VGPRBlocks: 0
; NumSGPRsForWavesPerEU: 6
; NumVGPRsForWavesPerEU: 1
; AccumOffset: 4
; Occupancy: 8
; WaveLimiterHint : 0
; COMPUTE_PGM_RSRC2:SCRATCH_EN: 0
; COMPUTE_PGM_RSRC2:USER_SGPR: 2
; COMPUTE_PGM_RSRC2:TRAP_HANDLER: 0
; COMPUTE_PGM_RSRC2:TGID_X_EN: 1
; COMPUTE_PGM_RSRC2:TGID_Y_EN: 0
; COMPUTE_PGM_RSRC2:TGID_Z_EN: 0
; COMPUTE_PGM_RSRC2:TIDIG_COMP_CNT: 0
; COMPUTE_PGM_RSRC3_GFX90A:ACCUM_OFFSET: 0
; COMPUTE_PGM_RSRC3_GFX90A:TG_SPLIT: 0
	.section	.text._ZN7rocprim17ROCPRIM_400000_NS6detail17trampoline_kernelINS0_14default_configENS1_25partition_config_selectorILNS1_17partition_subalgoE2EsNS0_10empty_typeEbEEZZNS1_14partition_implILS5_2ELb0ES3_jN6thrust23THRUST_200600_302600_NS6detail15normal_iteratorINSA_7pointerIsNSA_11hip_rocprim3tagENSA_11use_defaultESG_EEEEPS6_NSA_18transform_iteratorI7is_evenIsENSC_INSA_10device_ptrIsEEEESG_SG_EENS0_5tupleIJPsSJ_EEENSR_IJSJ_SJ_EEES6_PlJS6_EEE10hipError_tPvRmT3_T4_T5_T6_T7_T9_mT8_P12ihipStream_tbDpT10_ENKUlT_T0_E_clISt17integral_constantIbLb1EES1F_EEDaS1A_S1B_EUlS1A_E_NS1_11comp_targetILNS1_3genE10ELNS1_11target_archE1200ELNS1_3gpuE4ELNS1_3repE0EEENS1_30default_config_static_selectorELNS0_4arch9wavefront6targetE1EEEvT1_,"axG",@progbits,_ZN7rocprim17ROCPRIM_400000_NS6detail17trampoline_kernelINS0_14default_configENS1_25partition_config_selectorILNS1_17partition_subalgoE2EsNS0_10empty_typeEbEEZZNS1_14partition_implILS5_2ELb0ES3_jN6thrust23THRUST_200600_302600_NS6detail15normal_iteratorINSA_7pointerIsNSA_11hip_rocprim3tagENSA_11use_defaultESG_EEEEPS6_NSA_18transform_iteratorI7is_evenIsENSC_INSA_10device_ptrIsEEEESG_SG_EENS0_5tupleIJPsSJ_EEENSR_IJSJ_SJ_EEES6_PlJS6_EEE10hipError_tPvRmT3_T4_T5_T6_T7_T9_mT8_P12ihipStream_tbDpT10_ENKUlT_T0_E_clISt17integral_constantIbLb1EES1F_EEDaS1A_S1B_EUlS1A_E_NS1_11comp_targetILNS1_3genE10ELNS1_11target_archE1200ELNS1_3gpuE4ELNS1_3repE0EEENS1_30default_config_static_selectorELNS0_4arch9wavefront6targetE1EEEvT1_,comdat
	.protected	_ZN7rocprim17ROCPRIM_400000_NS6detail17trampoline_kernelINS0_14default_configENS1_25partition_config_selectorILNS1_17partition_subalgoE2EsNS0_10empty_typeEbEEZZNS1_14partition_implILS5_2ELb0ES3_jN6thrust23THRUST_200600_302600_NS6detail15normal_iteratorINSA_7pointerIsNSA_11hip_rocprim3tagENSA_11use_defaultESG_EEEEPS6_NSA_18transform_iteratorI7is_evenIsENSC_INSA_10device_ptrIsEEEESG_SG_EENS0_5tupleIJPsSJ_EEENSR_IJSJ_SJ_EEES6_PlJS6_EEE10hipError_tPvRmT3_T4_T5_T6_T7_T9_mT8_P12ihipStream_tbDpT10_ENKUlT_T0_E_clISt17integral_constantIbLb1EES1F_EEDaS1A_S1B_EUlS1A_E_NS1_11comp_targetILNS1_3genE10ELNS1_11target_archE1200ELNS1_3gpuE4ELNS1_3repE0EEENS1_30default_config_static_selectorELNS0_4arch9wavefront6targetE1EEEvT1_ ; -- Begin function _ZN7rocprim17ROCPRIM_400000_NS6detail17trampoline_kernelINS0_14default_configENS1_25partition_config_selectorILNS1_17partition_subalgoE2EsNS0_10empty_typeEbEEZZNS1_14partition_implILS5_2ELb0ES3_jN6thrust23THRUST_200600_302600_NS6detail15normal_iteratorINSA_7pointerIsNSA_11hip_rocprim3tagENSA_11use_defaultESG_EEEEPS6_NSA_18transform_iteratorI7is_evenIsENSC_INSA_10device_ptrIsEEEESG_SG_EENS0_5tupleIJPsSJ_EEENSR_IJSJ_SJ_EEES6_PlJS6_EEE10hipError_tPvRmT3_T4_T5_T6_T7_T9_mT8_P12ihipStream_tbDpT10_ENKUlT_T0_E_clISt17integral_constantIbLb1EES1F_EEDaS1A_S1B_EUlS1A_E_NS1_11comp_targetILNS1_3genE10ELNS1_11target_archE1200ELNS1_3gpuE4ELNS1_3repE0EEENS1_30default_config_static_selectorELNS0_4arch9wavefront6targetE1EEEvT1_
	.globl	_ZN7rocprim17ROCPRIM_400000_NS6detail17trampoline_kernelINS0_14default_configENS1_25partition_config_selectorILNS1_17partition_subalgoE2EsNS0_10empty_typeEbEEZZNS1_14partition_implILS5_2ELb0ES3_jN6thrust23THRUST_200600_302600_NS6detail15normal_iteratorINSA_7pointerIsNSA_11hip_rocprim3tagENSA_11use_defaultESG_EEEEPS6_NSA_18transform_iteratorI7is_evenIsENSC_INSA_10device_ptrIsEEEESG_SG_EENS0_5tupleIJPsSJ_EEENSR_IJSJ_SJ_EEES6_PlJS6_EEE10hipError_tPvRmT3_T4_T5_T6_T7_T9_mT8_P12ihipStream_tbDpT10_ENKUlT_T0_E_clISt17integral_constantIbLb1EES1F_EEDaS1A_S1B_EUlS1A_E_NS1_11comp_targetILNS1_3genE10ELNS1_11target_archE1200ELNS1_3gpuE4ELNS1_3repE0EEENS1_30default_config_static_selectorELNS0_4arch9wavefront6targetE1EEEvT1_
	.p2align	8
	.type	_ZN7rocprim17ROCPRIM_400000_NS6detail17trampoline_kernelINS0_14default_configENS1_25partition_config_selectorILNS1_17partition_subalgoE2EsNS0_10empty_typeEbEEZZNS1_14partition_implILS5_2ELb0ES3_jN6thrust23THRUST_200600_302600_NS6detail15normal_iteratorINSA_7pointerIsNSA_11hip_rocprim3tagENSA_11use_defaultESG_EEEEPS6_NSA_18transform_iteratorI7is_evenIsENSC_INSA_10device_ptrIsEEEESG_SG_EENS0_5tupleIJPsSJ_EEENSR_IJSJ_SJ_EEES6_PlJS6_EEE10hipError_tPvRmT3_T4_T5_T6_T7_T9_mT8_P12ihipStream_tbDpT10_ENKUlT_T0_E_clISt17integral_constantIbLb1EES1F_EEDaS1A_S1B_EUlS1A_E_NS1_11comp_targetILNS1_3genE10ELNS1_11target_archE1200ELNS1_3gpuE4ELNS1_3repE0EEENS1_30default_config_static_selectorELNS0_4arch9wavefront6targetE1EEEvT1_,@function
_ZN7rocprim17ROCPRIM_400000_NS6detail17trampoline_kernelINS0_14default_configENS1_25partition_config_selectorILNS1_17partition_subalgoE2EsNS0_10empty_typeEbEEZZNS1_14partition_implILS5_2ELb0ES3_jN6thrust23THRUST_200600_302600_NS6detail15normal_iteratorINSA_7pointerIsNSA_11hip_rocprim3tagENSA_11use_defaultESG_EEEEPS6_NSA_18transform_iteratorI7is_evenIsENSC_INSA_10device_ptrIsEEEESG_SG_EENS0_5tupleIJPsSJ_EEENSR_IJSJ_SJ_EEES6_PlJS6_EEE10hipError_tPvRmT3_T4_T5_T6_T7_T9_mT8_P12ihipStream_tbDpT10_ENKUlT_T0_E_clISt17integral_constantIbLb1EES1F_EEDaS1A_S1B_EUlS1A_E_NS1_11comp_targetILNS1_3genE10ELNS1_11target_archE1200ELNS1_3gpuE4ELNS1_3repE0EEENS1_30default_config_static_selectorELNS0_4arch9wavefront6targetE1EEEvT1_: ; @_ZN7rocprim17ROCPRIM_400000_NS6detail17trampoline_kernelINS0_14default_configENS1_25partition_config_selectorILNS1_17partition_subalgoE2EsNS0_10empty_typeEbEEZZNS1_14partition_implILS5_2ELb0ES3_jN6thrust23THRUST_200600_302600_NS6detail15normal_iteratorINSA_7pointerIsNSA_11hip_rocprim3tagENSA_11use_defaultESG_EEEEPS6_NSA_18transform_iteratorI7is_evenIsENSC_INSA_10device_ptrIsEEEESG_SG_EENS0_5tupleIJPsSJ_EEENSR_IJSJ_SJ_EEES6_PlJS6_EEE10hipError_tPvRmT3_T4_T5_T6_T7_T9_mT8_P12ihipStream_tbDpT10_ENKUlT_T0_E_clISt17integral_constantIbLb1EES1F_EEDaS1A_S1B_EUlS1A_E_NS1_11comp_targetILNS1_3genE10ELNS1_11target_archE1200ELNS1_3gpuE4ELNS1_3repE0EEENS1_30default_config_static_selectorELNS0_4arch9wavefront6targetE1EEEvT1_
; %bb.0:
	.section	.rodata,"a",@progbits
	.p2align	6, 0x0
	.amdhsa_kernel _ZN7rocprim17ROCPRIM_400000_NS6detail17trampoline_kernelINS0_14default_configENS1_25partition_config_selectorILNS1_17partition_subalgoE2EsNS0_10empty_typeEbEEZZNS1_14partition_implILS5_2ELb0ES3_jN6thrust23THRUST_200600_302600_NS6detail15normal_iteratorINSA_7pointerIsNSA_11hip_rocprim3tagENSA_11use_defaultESG_EEEEPS6_NSA_18transform_iteratorI7is_evenIsENSC_INSA_10device_ptrIsEEEESG_SG_EENS0_5tupleIJPsSJ_EEENSR_IJSJ_SJ_EEES6_PlJS6_EEE10hipError_tPvRmT3_T4_T5_T6_T7_T9_mT8_P12ihipStream_tbDpT10_ENKUlT_T0_E_clISt17integral_constantIbLb1EES1F_EEDaS1A_S1B_EUlS1A_E_NS1_11comp_targetILNS1_3genE10ELNS1_11target_archE1200ELNS1_3gpuE4ELNS1_3repE0EEENS1_30default_config_static_selectorELNS0_4arch9wavefront6targetE1EEEvT1_
		.amdhsa_group_segment_fixed_size 0
		.amdhsa_private_segment_fixed_size 0
		.amdhsa_kernarg_size 144
		.amdhsa_user_sgpr_count 2
		.amdhsa_user_sgpr_dispatch_ptr 0
		.amdhsa_user_sgpr_queue_ptr 0
		.amdhsa_user_sgpr_kernarg_segment_ptr 1
		.amdhsa_user_sgpr_dispatch_id 0
		.amdhsa_user_sgpr_kernarg_preload_length 0
		.amdhsa_user_sgpr_kernarg_preload_offset 0
		.amdhsa_user_sgpr_private_segment_size 0
		.amdhsa_uses_dynamic_stack 0
		.amdhsa_enable_private_segment 0
		.amdhsa_system_sgpr_workgroup_id_x 1
		.amdhsa_system_sgpr_workgroup_id_y 0
		.amdhsa_system_sgpr_workgroup_id_z 0
		.amdhsa_system_sgpr_workgroup_info 0
		.amdhsa_system_vgpr_workitem_id 0
		.amdhsa_next_free_vgpr 1
		.amdhsa_next_free_sgpr 0
		.amdhsa_accum_offset 4
		.amdhsa_reserve_vcc 0
		.amdhsa_float_round_mode_32 0
		.amdhsa_float_round_mode_16_64 0
		.amdhsa_float_denorm_mode_32 3
		.amdhsa_float_denorm_mode_16_64 3
		.amdhsa_dx10_clamp 1
		.amdhsa_ieee_mode 1
		.amdhsa_fp16_overflow 0
		.amdhsa_tg_split 0
		.amdhsa_exception_fp_ieee_invalid_op 0
		.amdhsa_exception_fp_denorm_src 0
		.amdhsa_exception_fp_ieee_div_zero 0
		.amdhsa_exception_fp_ieee_overflow 0
		.amdhsa_exception_fp_ieee_underflow 0
		.amdhsa_exception_fp_ieee_inexact 0
		.amdhsa_exception_int_div_zero 0
	.end_amdhsa_kernel
	.section	.text._ZN7rocprim17ROCPRIM_400000_NS6detail17trampoline_kernelINS0_14default_configENS1_25partition_config_selectorILNS1_17partition_subalgoE2EsNS0_10empty_typeEbEEZZNS1_14partition_implILS5_2ELb0ES3_jN6thrust23THRUST_200600_302600_NS6detail15normal_iteratorINSA_7pointerIsNSA_11hip_rocprim3tagENSA_11use_defaultESG_EEEEPS6_NSA_18transform_iteratorI7is_evenIsENSC_INSA_10device_ptrIsEEEESG_SG_EENS0_5tupleIJPsSJ_EEENSR_IJSJ_SJ_EEES6_PlJS6_EEE10hipError_tPvRmT3_T4_T5_T6_T7_T9_mT8_P12ihipStream_tbDpT10_ENKUlT_T0_E_clISt17integral_constantIbLb1EES1F_EEDaS1A_S1B_EUlS1A_E_NS1_11comp_targetILNS1_3genE10ELNS1_11target_archE1200ELNS1_3gpuE4ELNS1_3repE0EEENS1_30default_config_static_selectorELNS0_4arch9wavefront6targetE1EEEvT1_,"axG",@progbits,_ZN7rocprim17ROCPRIM_400000_NS6detail17trampoline_kernelINS0_14default_configENS1_25partition_config_selectorILNS1_17partition_subalgoE2EsNS0_10empty_typeEbEEZZNS1_14partition_implILS5_2ELb0ES3_jN6thrust23THRUST_200600_302600_NS6detail15normal_iteratorINSA_7pointerIsNSA_11hip_rocprim3tagENSA_11use_defaultESG_EEEEPS6_NSA_18transform_iteratorI7is_evenIsENSC_INSA_10device_ptrIsEEEESG_SG_EENS0_5tupleIJPsSJ_EEENSR_IJSJ_SJ_EEES6_PlJS6_EEE10hipError_tPvRmT3_T4_T5_T6_T7_T9_mT8_P12ihipStream_tbDpT10_ENKUlT_T0_E_clISt17integral_constantIbLb1EES1F_EEDaS1A_S1B_EUlS1A_E_NS1_11comp_targetILNS1_3genE10ELNS1_11target_archE1200ELNS1_3gpuE4ELNS1_3repE0EEENS1_30default_config_static_selectorELNS0_4arch9wavefront6targetE1EEEvT1_,comdat
.Lfunc_end269:
	.size	_ZN7rocprim17ROCPRIM_400000_NS6detail17trampoline_kernelINS0_14default_configENS1_25partition_config_selectorILNS1_17partition_subalgoE2EsNS0_10empty_typeEbEEZZNS1_14partition_implILS5_2ELb0ES3_jN6thrust23THRUST_200600_302600_NS6detail15normal_iteratorINSA_7pointerIsNSA_11hip_rocprim3tagENSA_11use_defaultESG_EEEEPS6_NSA_18transform_iteratorI7is_evenIsENSC_INSA_10device_ptrIsEEEESG_SG_EENS0_5tupleIJPsSJ_EEENSR_IJSJ_SJ_EEES6_PlJS6_EEE10hipError_tPvRmT3_T4_T5_T6_T7_T9_mT8_P12ihipStream_tbDpT10_ENKUlT_T0_E_clISt17integral_constantIbLb1EES1F_EEDaS1A_S1B_EUlS1A_E_NS1_11comp_targetILNS1_3genE10ELNS1_11target_archE1200ELNS1_3gpuE4ELNS1_3repE0EEENS1_30default_config_static_selectorELNS0_4arch9wavefront6targetE1EEEvT1_, .Lfunc_end269-_ZN7rocprim17ROCPRIM_400000_NS6detail17trampoline_kernelINS0_14default_configENS1_25partition_config_selectorILNS1_17partition_subalgoE2EsNS0_10empty_typeEbEEZZNS1_14partition_implILS5_2ELb0ES3_jN6thrust23THRUST_200600_302600_NS6detail15normal_iteratorINSA_7pointerIsNSA_11hip_rocprim3tagENSA_11use_defaultESG_EEEEPS6_NSA_18transform_iteratorI7is_evenIsENSC_INSA_10device_ptrIsEEEESG_SG_EENS0_5tupleIJPsSJ_EEENSR_IJSJ_SJ_EEES6_PlJS6_EEE10hipError_tPvRmT3_T4_T5_T6_T7_T9_mT8_P12ihipStream_tbDpT10_ENKUlT_T0_E_clISt17integral_constantIbLb1EES1F_EEDaS1A_S1B_EUlS1A_E_NS1_11comp_targetILNS1_3genE10ELNS1_11target_archE1200ELNS1_3gpuE4ELNS1_3repE0EEENS1_30default_config_static_selectorELNS0_4arch9wavefront6targetE1EEEvT1_
                                        ; -- End function
	.section	.AMDGPU.csdata,"",@progbits
; Kernel info:
; codeLenInByte = 0
; NumSgprs: 6
; NumVgprs: 0
; NumAgprs: 0
; TotalNumVgprs: 0
; ScratchSize: 0
; MemoryBound: 0
; FloatMode: 240
; IeeeMode: 1
; LDSByteSize: 0 bytes/workgroup (compile time only)
; SGPRBlocks: 0
; VGPRBlocks: 0
; NumSGPRsForWavesPerEU: 6
; NumVGPRsForWavesPerEU: 1
; AccumOffset: 4
; Occupancy: 8
; WaveLimiterHint : 0
; COMPUTE_PGM_RSRC2:SCRATCH_EN: 0
; COMPUTE_PGM_RSRC2:USER_SGPR: 2
; COMPUTE_PGM_RSRC2:TRAP_HANDLER: 0
; COMPUTE_PGM_RSRC2:TGID_X_EN: 1
; COMPUTE_PGM_RSRC2:TGID_Y_EN: 0
; COMPUTE_PGM_RSRC2:TGID_Z_EN: 0
; COMPUTE_PGM_RSRC2:TIDIG_COMP_CNT: 0
; COMPUTE_PGM_RSRC3_GFX90A:ACCUM_OFFSET: 0
; COMPUTE_PGM_RSRC3_GFX90A:TG_SPLIT: 0
	.section	.text._ZN7rocprim17ROCPRIM_400000_NS6detail17trampoline_kernelINS0_14default_configENS1_25partition_config_selectorILNS1_17partition_subalgoE2EsNS0_10empty_typeEbEEZZNS1_14partition_implILS5_2ELb0ES3_jN6thrust23THRUST_200600_302600_NS6detail15normal_iteratorINSA_7pointerIsNSA_11hip_rocprim3tagENSA_11use_defaultESG_EEEEPS6_NSA_18transform_iteratorI7is_evenIsENSC_INSA_10device_ptrIsEEEESG_SG_EENS0_5tupleIJPsSJ_EEENSR_IJSJ_SJ_EEES6_PlJS6_EEE10hipError_tPvRmT3_T4_T5_T6_T7_T9_mT8_P12ihipStream_tbDpT10_ENKUlT_T0_E_clISt17integral_constantIbLb1EES1F_EEDaS1A_S1B_EUlS1A_E_NS1_11comp_targetILNS1_3genE9ELNS1_11target_archE1100ELNS1_3gpuE3ELNS1_3repE0EEENS1_30default_config_static_selectorELNS0_4arch9wavefront6targetE1EEEvT1_,"axG",@progbits,_ZN7rocprim17ROCPRIM_400000_NS6detail17trampoline_kernelINS0_14default_configENS1_25partition_config_selectorILNS1_17partition_subalgoE2EsNS0_10empty_typeEbEEZZNS1_14partition_implILS5_2ELb0ES3_jN6thrust23THRUST_200600_302600_NS6detail15normal_iteratorINSA_7pointerIsNSA_11hip_rocprim3tagENSA_11use_defaultESG_EEEEPS6_NSA_18transform_iteratorI7is_evenIsENSC_INSA_10device_ptrIsEEEESG_SG_EENS0_5tupleIJPsSJ_EEENSR_IJSJ_SJ_EEES6_PlJS6_EEE10hipError_tPvRmT3_T4_T5_T6_T7_T9_mT8_P12ihipStream_tbDpT10_ENKUlT_T0_E_clISt17integral_constantIbLb1EES1F_EEDaS1A_S1B_EUlS1A_E_NS1_11comp_targetILNS1_3genE9ELNS1_11target_archE1100ELNS1_3gpuE3ELNS1_3repE0EEENS1_30default_config_static_selectorELNS0_4arch9wavefront6targetE1EEEvT1_,comdat
	.protected	_ZN7rocprim17ROCPRIM_400000_NS6detail17trampoline_kernelINS0_14default_configENS1_25partition_config_selectorILNS1_17partition_subalgoE2EsNS0_10empty_typeEbEEZZNS1_14partition_implILS5_2ELb0ES3_jN6thrust23THRUST_200600_302600_NS6detail15normal_iteratorINSA_7pointerIsNSA_11hip_rocprim3tagENSA_11use_defaultESG_EEEEPS6_NSA_18transform_iteratorI7is_evenIsENSC_INSA_10device_ptrIsEEEESG_SG_EENS0_5tupleIJPsSJ_EEENSR_IJSJ_SJ_EEES6_PlJS6_EEE10hipError_tPvRmT3_T4_T5_T6_T7_T9_mT8_P12ihipStream_tbDpT10_ENKUlT_T0_E_clISt17integral_constantIbLb1EES1F_EEDaS1A_S1B_EUlS1A_E_NS1_11comp_targetILNS1_3genE9ELNS1_11target_archE1100ELNS1_3gpuE3ELNS1_3repE0EEENS1_30default_config_static_selectorELNS0_4arch9wavefront6targetE1EEEvT1_ ; -- Begin function _ZN7rocprim17ROCPRIM_400000_NS6detail17trampoline_kernelINS0_14default_configENS1_25partition_config_selectorILNS1_17partition_subalgoE2EsNS0_10empty_typeEbEEZZNS1_14partition_implILS5_2ELb0ES3_jN6thrust23THRUST_200600_302600_NS6detail15normal_iteratorINSA_7pointerIsNSA_11hip_rocprim3tagENSA_11use_defaultESG_EEEEPS6_NSA_18transform_iteratorI7is_evenIsENSC_INSA_10device_ptrIsEEEESG_SG_EENS0_5tupleIJPsSJ_EEENSR_IJSJ_SJ_EEES6_PlJS6_EEE10hipError_tPvRmT3_T4_T5_T6_T7_T9_mT8_P12ihipStream_tbDpT10_ENKUlT_T0_E_clISt17integral_constantIbLb1EES1F_EEDaS1A_S1B_EUlS1A_E_NS1_11comp_targetILNS1_3genE9ELNS1_11target_archE1100ELNS1_3gpuE3ELNS1_3repE0EEENS1_30default_config_static_selectorELNS0_4arch9wavefront6targetE1EEEvT1_
	.globl	_ZN7rocprim17ROCPRIM_400000_NS6detail17trampoline_kernelINS0_14default_configENS1_25partition_config_selectorILNS1_17partition_subalgoE2EsNS0_10empty_typeEbEEZZNS1_14partition_implILS5_2ELb0ES3_jN6thrust23THRUST_200600_302600_NS6detail15normal_iteratorINSA_7pointerIsNSA_11hip_rocprim3tagENSA_11use_defaultESG_EEEEPS6_NSA_18transform_iteratorI7is_evenIsENSC_INSA_10device_ptrIsEEEESG_SG_EENS0_5tupleIJPsSJ_EEENSR_IJSJ_SJ_EEES6_PlJS6_EEE10hipError_tPvRmT3_T4_T5_T6_T7_T9_mT8_P12ihipStream_tbDpT10_ENKUlT_T0_E_clISt17integral_constantIbLb1EES1F_EEDaS1A_S1B_EUlS1A_E_NS1_11comp_targetILNS1_3genE9ELNS1_11target_archE1100ELNS1_3gpuE3ELNS1_3repE0EEENS1_30default_config_static_selectorELNS0_4arch9wavefront6targetE1EEEvT1_
	.p2align	8
	.type	_ZN7rocprim17ROCPRIM_400000_NS6detail17trampoline_kernelINS0_14default_configENS1_25partition_config_selectorILNS1_17partition_subalgoE2EsNS0_10empty_typeEbEEZZNS1_14partition_implILS5_2ELb0ES3_jN6thrust23THRUST_200600_302600_NS6detail15normal_iteratorINSA_7pointerIsNSA_11hip_rocprim3tagENSA_11use_defaultESG_EEEEPS6_NSA_18transform_iteratorI7is_evenIsENSC_INSA_10device_ptrIsEEEESG_SG_EENS0_5tupleIJPsSJ_EEENSR_IJSJ_SJ_EEES6_PlJS6_EEE10hipError_tPvRmT3_T4_T5_T6_T7_T9_mT8_P12ihipStream_tbDpT10_ENKUlT_T0_E_clISt17integral_constantIbLb1EES1F_EEDaS1A_S1B_EUlS1A_E_NS1_11comp_targetILNS1_3genE9ELNS1_11target_archE1100ELNS1_3gpuE3ELNS1_3repE0EEENS1_30default_config_static_selectorELNS0_4arch9wavefront6targetE1EEEvT1_,@function
_ZN7rocprim17ROCPRIM_400000_NS6detail17trampoline_kernelINS0_14default_configENS1_25partition_config_selectorILNS1_17partition_subalgoE2EsNS0_10empty_typeEbEEZZNS1_14partition_implILS5_2ELb0ES3_jN6thrust23THRUST_200600_302600_NS6detail15normal_iteratorINSA_7pointerIsNSA_11hip_rocprim3tagENSA_11use_defaultESG_EEEEPS6_NSA_18transform_iteratorI7is_evenIsENSC_INSA_10device_ptrIsEEEESG_SG_EENS0_5tupleIJPsSJ_EEENSR_IJSJ_SJ_EEES6_PlJS6_EEE10hipError_tPvRmT3_T4_T5_T6_T7_T9_mT8_P12ihipStream_tbDpT10_ENKUlT_T0_E_clISt17integral_constantIbLb1EES1F_EEDaS1A_S1B_EUlS1A_E_NS1_11comp_targetILNS1_3genE9ELNS1_11target_archE1100ELNS1_3gpuE3ELNS1_3repE0EEENS1_30default_config_static_selectorELNS0_4arch9wavefront6targetE1EEEvT1_: ; @_ZN7rocprim17ROCPRIM_400000_NS6detail17trampoline_kernelINS0_14default_configENS1_25partition_config_selectorILNS1_17partition_subalgoE2EsNS0_10empty_typeEbEEZZNS1_14partition_implILS5_2ELb0ES3_jN6thrust23THRUST_200600_302600_NS6detail15normal_iteratorINSA_7pointerIsNSA_11hip_rocprim3tagENSA_11use_defaultESG_EEEEPS6_NSA_18transform_iteratorI7is_evenIsENSC_INSA_10device_ptrIsEEEESG_SG_EENS0_5tupleIJPsSJ_EEENSR_IJSJ_SJ_EEES6_PlJS6_EEE10hipError_tPvRmT3_T4_T5_T6_T7_T9_mT8_P12ihipStream_tbDpT10_ENKUlT_T0_E_clISt17integral_constantIbLb1EES1F_EEDaS1A_S1B_EUlS1A_E_NS1_11comp_targetILNS1_3genE9ELNS1_11target_archE1100ELNS1_3gpuE3ELNS1_3repE0EEENS1_30default_config_static_selectorELNS0_4arch9wavefront6targetE1EEEvT1_
; %bb.0:
	.section	.rodata,"a",@progbits
	.p2align	6, 0x0
	.amdhsa_kernel _ZN7rocprim17ROCPRIM_400000_NS6detail17trampoline_kernelINS0_14default_configENS1_25partition_config_selectorILNS1_17partition_subalgoE2EsNS0_10empty_typeEbEEZZNS1_14partition_implILS5_2ELb0ES3_jN6thrust23THRUST_200600_302600_NS6detail15normal_iteratorINSA_7pointerIsNSA_11hip_rocprim3tagENSA_11use_defaultESG_EEEEPS6_NSA_18transform_iteratorI7is_evenIsENSC_INSA_10device_ptrIsEEEESG_SG_EENS0_5tupleIJPsSJ_EEENSR_IJSJ_SJ_EEES6_PlJS6_EEE10hipError_tPvRmT3_T4_T5_T6_T7_T9_mT8_P12ihipStream_tbDpT10_ENKUlT_T0_E_clISt17integral_constantIbLb1EES1F_EEDaS1A_S1B_EUlS1A_E_NS1_11comp_targetILNS1_3genE9ELNS1_11target_archE1100ELNS1_3gpuE3ELNS1_3repE0EEENS1_30default_config_static_selectorELNS0_4arch9wavefront6targetE1EEEvT1_
		.amdhsa_group_segment_fixed_size 0
		.amdhsa_private_segment_fixed_size 0
		.amdhsa_kernarg_size 144
		.amdhsa_user_sgpr_count 2
		.amdhsa_user_sgpr_dispatch_ptr 0
		.amdhsa_user_sgpr_queue_ptr 0
		.amdhsa_user_sgpr_kernarg_segment_ptr 1
		.amdhsa_user_sgpr_dispatch_id 0
		.amdhsa_user_sgpr_kernarg_preload_length 0
		.amdhsa_user_sgpr_kernarg_preload_offset 0
		.amdhsa_user_sgpr_private_segment_size 0
		.amdhsa_uses_dynamic_stack 0
		.amdhsa_enable_private_segment 0
		.amdhsa_system_sgpr_workgroup_id_x 1
		.amdhsa_system_sgpr_workgroup_id_y 0
		.amdhsa_system_sgpr_workgroup_id_z 0
		.amdhsa_system_sgpr_workgroup_info 0
		.amdhsa_system_vgpr_workitem_id 0
		.amdhsa_next_free_vgpr 1
		.amdhsa_next_free_sgpr 0
		.amdhsa_accum_offset 4
		.amdhsa_reserve_vcc 0
		.amdhsa_float_round_mode_32 0
		.amdhsa_float_round_mode_16_64 0
		.amdhsa_float_denorm_mode_32 3
		.amdhsa_float_denorm_mode_16_64 3
		.amdhsa_dx10_clamp 1
		.amdhsa_ieee_mode 1
		.amdhsa_fp16_overflow 0
		.amdhsa_tg_split 0
		.amdhsa_exception_fp_ieee_invalid_op 0
		.amdhsa_exception_fp_denorm_src 0
		.amdhsa_exception_fp_ieee_div_zero 0
		.amdhsa_exception_fp_ieee_overflow 0
		.amdhsa_exception_fp_ieee_underflow 0
		.amdhsa_exception_fp_ieee_inexact 0
		.amdhsa_exception_int_div_zero 0
	.end_amdhsa_kernel
	.section	.text._ZN7rocprim17ROCPRIM_400000_NS6detail17trampoline_kernelINS0_14default_configENS1_25partition_config_selectorILNS1_17partition_subalgoE2EsNS0_10empty_typeEbEEZZNS1_14partition_implILS5_2ELb0ES3_jN6thrust23THRUST_200600_302600_NS6detail15normal_iteratorINSA_7pointerIsNSA_11hip_rocprim3tagENSA_11use_defaultESG_EEEEPS6_NSA_18transform_iteratorI7is_evenIsENSC_INSA_10device_ptrIsEEEESG_SG_EENS0_5tupleIJPsSJ_EEENSR_IJSJ_SJ_EEES6_PlJS6_EEE10hipError_tPvRmT3_T4_T5_T6_T7_T9_mT8_P12ihipStream_tbDpT10_ENKUlT_T0_E_clISt17integral_constantIbLb1EES1F_EEDaS1A_S1B_EUlS1A_E_NS1_11comp_targetILNS1_3genE9ELNS1_11target_archE1100ELNS1_3gpuE3ELNS1_3repE0EEENS1_30default_config_static_selectorELNS0_4arch9wavefront6targetE1EEEvT1_,"axG",@progbits,_ZN7rocprim17ROCPRIM_400000_NS6detail17trampoline_kernelINS0_14default_configENS1_25partition_config_selectorILNS1_17partition_subalgoE2EsNS0_10empty_typeEbEEZZNS1_14partition_implILS5_2ELb0ES3_jN6thrust23THRUST_200600_302600_NS6detail15normal_iteratorINSA_7pointerIsNSA_11hip_rocprim3tagENSA_11use_defaultESG_EEEEPS6_NSA_18transform_iteratorI7is_evenIsENSC_INSA_10device_ptrIsEEEESG_SG_EENS0_5tupleIJPsSJ_EEENSR_IJSJ_SJ_EEES6_PlJS6_EEE10hipError_tPvRmT3_T4_T5_T6_T7_T9_mT8_P12ihipStream_tbDpT10_ENKUlT_T0_E_clISt17integral_constantIbLb1EES1F_EEDaS1A_S1B_EUlS1A_E_NS1_11comp_targetILNS1_3genE9ELNS1_11target_archE1100ELNS1_3gpuE3ELNS1_3repE0EEENS1_30default_config_static_selectorELNS0_4arch9wavefront6targetE1EEEvT1_,comdat
.Lfunc_end270:
	.size	_ZN7rocprim17ROCPRIM_400000_NS6detail17trampoline_kernelINS0_14default_configENS1_25partition_config_selectorILNS1_17partition_subalgoE2EsNS0_10empty_typeEbEEZZNS1_14partition_implILS5_2ELb0ES3_jN6thrust23THRUST_200600_302600_NS6detail15normal_iteratorINSA_7pointerIsNSA_11hip_rocprim3tagENSA_11use_defaultESG_EEEEPS6_NSA_18transform_iteratorI7is_evenIsENSC_INSA_10device_ptrIsEEEESG_SG_EENS0_5tupleIJPsSJ_EEENSR_IJSJ_SJ_EEES6_PlJS6_EEE10hipError_tPvRmT3_T4_T5_T6_T7_T9_mT8_P12ihipStream_tbDpT10_ENKUlT_T0_E_clISt17integral_constantIbLb1EES1F_EEDaS1A_S1B_EUlS1A_E_NS1_11comp_targetILNS1_3genE9ELNS1_11target_archE1100ELNS1_3gpuE3ELNS1_3repE0EEENS1_30default_config_static_selectorELNS0_4arch9wavefront6targetE1EEEvT1_, .Lfunc_end270-_ZN7rocprim17ROCPRIM_400000_NS6detail17trampoline_kernelINS0_14default_configENS1_25partition_config_selectorILNS1_17partition_subalgoE2EsNS0_10empty_typeEbEEZZNS1_14partition_implILS5_2ELb0ES3_jN6thrust23THRUST_200600_302600_NS6detail15normal_iteratorINSA_7pointerIsNSA_11hip_rocprim3tagENSA_11use_defaultESG_EEEEPS6_NSA_18transform_iteratorI7is_evenIsENSC_INSA_10device_ptrIsEEEESG_SG_EENS0_5tupleIJPsSJ_EEENSR_IJSJ_SJ_EEES6_PlJS6_EEE10hipError_tPvRmT3_T4_T5_T6_T7_T9_mT8_P12ihipStream_tbDpT10_ENKUlT_T0_E_clISt17integral_constantIbLb1EES1F_EEDaS1A_S1B_EUlS1A_E_NS1_11comp_targetILNS1_3genE9ELNS1_11target_archE1100ELNS1_3gpuE3ELNS1_3repE0EEENS1_30default_config_static_selectorELNS0_4arch9wavefront6targetE1EEEvT1_
                                        ; -- End function
	.section	.AMDGPU.csdata,"",@progbits
; Kernel info:
; codeLenInByte = 0
; NumSgprs: 6
; NumVgprs: 0
; NumAgprs: 0
; TotalNumVgprs: 0
; ScratchSize: 0
; MemoryBound: 0
; FloatMode: 240
; IeeeMode: 1
; LDSByteSize: 0 bytes/workgroup (compile time only)
; SGPRBlocks: 0
; VGPRBlocks: 0
; NumSGPRsForWavesPerEU: 6
; NumVGPRsForWavesPerEU: 1
; AccumOffset: 4
; Occupancy: 8
; WaveLimiterHint : 0
; COMPUTE_PGM_RSRC2:SCRATCH_EN: 0
; COMPUTE_PGM_RSRC2:USER_SGPR: 2
; COMPUTE_PGM_RSRC2:TRAP_HANDLER: 0
; COMPUTE_PGM_RSRC2:TGID_X_EN: 1
; COMPUTE_PGM_RSRC2:TGID_Y_EN: 0
; COMPUTE_PGM_RSRC2:TGID_Z_EN: 0
; COMPUTE_PGM_RSRC2:TIDIG_COMP_CNT: 0
; COMPUTE_PGM_RSRC3_GFX90A:ACCUM_OFFSET: 0
; COMPUTE_PGM_RSRC3_GFX90A:TG_SPLIT: 0
	.section	.text._ZN7rocprim17ROCPRIM_400000_NS6detail17trampoline_kernelINS0_14default_configENS1_25partition_config_selectorILNS1_17partition_subalgoE2EsNS0_10empty_typeEbEEZZNS1_14partition_implILS5_2ELb0ES3_jN6thrust23THRUST_200600_302600_NS6detail15normal_iteratorINSA_7pointerIsNSA_11hip_rocprim3tagENSA_11use_defaultESG_EEEEPS6_NSA_18transform_iteratorI7is_evenIsENSC_INSA_10device_ptrIsEEEESG_SG_EENS0_5tupleIJPsSJ_EEENSR_IJSJ_SJ_EEES6_PlJS6_EEE10hipError_tPvRmT3_T4_T5_T6_T7_T9_mT8_P12ihipStream_tbDpT10_ENKUlT_T0_E_clISt17integral_constantIbLb1EES1F_EEDaS1A_S1B_EUlS1A_E_NS1_11comp_targetILNS1_3genE8ELNS1_11target_archE1030ELNS1_3gpuE2ELNS1_3repE0EEENS1_30default_config_static_selectorELNS0_4arch9wavefront6targetE1EEEvT1_,"axG",@progbits,_ZN7rocprim17ROCPRIM_400000_NS6detail17trampoline_kernelINS0_14default_configENS1_25partition_config_selectorILNS1_17partition_subalgoE2EsNS0_10empty_typeEbEEZZNS1_14partition_implILS5_2ELb0ES3_jN6thrust23THRUST_200600_302600_NS6detail15normal_iteratorINSA_7pointerIsNSA_11hip_rocprim3tagENSA_11use_defaultESG_EEEEPS6_NSA_18transform_iteratorI7is_evenIsENSC_INSA_10device_ptrIsEEEESG_SG_EENS0_5tupleIJPsSJ_EEENSR_IJSJ_SJ_EEES6_PlJS6_EEE10hipError_tPvRmT3_T4_T5_T6_T7_T9_mT8_P12ihipStream_tbDpT10_ENKUlT_T0_E_clISt17integral_constantIbLb1EES1F_EEDaS1A_S1B_EUlS1A_E_NS1_11comp_targetILNS1_3genE8ELNS1_11target_archE1030ELNS1_3gpuE2ELNS1_3repE0EEENS1_30default_config_static_selectorELNS0_4arch9wavefront6targetE1EEEvT1_,comdat
	.protected	_ZN7rocprim17ROCPRIM_400000_NS6detail17trampoline_kernelINS0_14default_configENS1_25partition_config_selectorILNS1_17partition_subalgoE2EsNS0_10empty_typeEbEEZZNS1_14partition_implILS5_2ELb0ES3_jN6thrust23THRUST_200600_302600_NS6detail15normal_iteratorINSA_7pointerIsNSA_11hip_rocprim3tagENSA_11use_defaultESG_EEEEPS6_NSA_18transform_iteratorI7is_evenIsENSC_INSA_10device_ptrIsEEEESG_SG_EENS0_5tupleIJPsSJ_EEENSR_IJSJ_SJ_EEES6_PlJS6_EEE10hipError_tPvRmT3_T4_T5_T6_T7_T9_mT8_P12ihipStream_tbDpT10_ENKUlT_T0_E_clISt17integral_constantIbLb1EES1F_EEDaS1A_S1B_EUlS1A_E_NS1_11comp_targetILNS1_3genE8ELNS1_11target_archE1030ELNS1_3gpuE2ELNS1_3repE0EEENS1_30default_config_static_selectorELNS0_4arch9wavefront6targetE1EEEvT1_ ; -- Begin function _ZN7rocprim17ROCPRIM_400000_NS6detail17trampoline_kernelINS0_14default_configENS1_25partition_config_selectorILNS1_17partition_subalgoE2EsNS0_10empty_typeEbEEZZNS1_14partition_implILS5_2ELb0ES3_jN6thrust23THRUST_200600_302600_NS6detail15normal_iteratorINSA_7pointerIsNSA_11hip_rocprim3tagENSA_11use_defaultESG_EEEEPS6_NSA_18transform_iteratorI7is_evenIsENSC_INSA_10device_ptrIsEEEESG_SG_EENS0_5tupleIJPsSJ_EEENSR_IJSJ_SJ_EEES6_PlJS6_EEE10hipError_tPvRmT3_T4_T5_T6_T7_T9_mT8_P12ihipStream_tbDpT10_ENKUlT_T0_E_clISt17integral_constantIbLb1EES1F_EEDaS1A_S1B_EUlS1A_E_NS1_11comp_targetILNS1_3genE8ELNS1_11target_archE1030ELNS1_3gpuE2ELNS1_3repE0EEENS1_30default_config_static_selectorELNS0_4arch9wavefront6targetE1EEEvT1_
	.globl	_ZN7rocprim17ROCPRIM_400000_NS6detail17trampoline_kernelINS0_14default_configENS1_25partition_config_selectorILNS1_17partition_subalgoE2EsNS0_10empty_typeEbEEZZNS1_14partition_implILS5_2ELb0ES3_jN6thrust23THRUST_200600_302600_NS6detail15normal_iteratorINSA_7pointerIsNSA_11hip_rocprim3tagENSA_11use_defaultESG_EEEEPS6_NSA_18transform_iteratorI7is_evenIsENSC_INSA_10device_ptrIsEEEESG_SG_EENS0_5tupleIJPsSJ_EEENSR_IJSJ_SJ_EEES6_PlJS6_EEE10hipError_tPvRmT3_T4_T5_T6_T7_T9_mT8_P12ihipStream_tbDpT10_ENKUlT_T0_E_clISt17integral_constantIbLb1EES1F_EEDaS1A_S1B_EUlS1A_E_NS1_11comp_targetILNS1_3genE8ELNS1_11target_archE1030ELNS1_3gpuE2ELNS1_3repE0EEENS1_30default_config_static_selectorELNS0_4arch9wavefront6targetE1EEEvT1_
	.p2align	8
	.type	_ZN7rocprim17ROCPRIM_400000_NS6detail17trampoline_kernelINS0_14default_configENS1_25partition_config_selectorILNS1_17partition_subalgoE2EsNS0_10empty_typeEbEEZZNS1_14partition_implILS5_2ELb0ES3_jN6thrust23THRUST_200600_302600_NS6detail15normal_iteratorINSA_7pointerIsNSA_11hip_rocprim3tagENSA_11use_defaultESG_EEEEPS6_NSA_18transform_iteratorI7is_evenIsENSC_INSA_10device_ptrIsEEEESG_SG_EENS0_5tupleIJPsSJ_EEENSR_IJSJ_SJ_EEES6_PlJS6_EEE10hipError_tPvRmT3_T4_T5_T6_T7_T9_mT8_P12ihipStream_tbDpT10_ENKUlT_T0_E_clISt17integral_constantIbLb1EES1F_EEDaS1A_S1B_EUlS1A_E_NS1_11comp_targetILNS1_3genE8ELNS1_11target_archE1030ELNS1_3gpuE2ELNS1_3repE0EEENS1_30default_config_static_selectorELNS0_4arch9wavefront6targetE1EEEvT1_,@function
_ZN7rocprim17ROCPRIM_400000_NS6detail17trampoline_kernelINS0_14default_configENS1_25partition_config_selectorILNS1_17partition_subalgoE2EsNS0_10empty_typeEbEEZZNS1_14partition_implILS5_2ELb0ES3_jN6thrust23THRUST_200600_302600_NS6detail15normal_iteratorINSA_7pointerIsNSA_11hip_rocprim3tagENSA_11use_defaultESG_EEEEPS6_NSA_18transform_iteratorI7is_evenIsENSC_INSA_10device_ptrIsEEEESG_SG_EENS0_5tupleIJPsSJ_EEENSR_IJSJ_SJ_EEES6_PlJS6_EEE10hipError_tPvRmT3_T4_T5_T6_T7_T9_mT8_P12ihipStream_tbDpT10_ENKUlT_T0_E_clISt17integral_constantIbLb1EES1F_EEDaS1A_S1B_EUlS1A_E_NS1_11comp_targetILNS1_3genE8ELNS1_11target_archE1030ELNS1_3gpuE2ELNS1_3repE0EEENS1_30default_config_static_selectorELNS0_4arch9wavefront6targetE1EEEvT1_: ; @_ZN7rocprim17ROCPRIM_400000_NS6detail17trampoline_kernelINS0_14default_configENS1_25partition_config_selectorILNS1_17partition_subalgoE2EsNS0_10empty_typeEbEEZZNS1_14partition_implILS5_2ELb0ES3_jN6thrust23THRUST_200600_302600_NS6detail15normal_iteratorINSA_7pointerIsNSA_11hip_rocprim3tagENSA_11use_defaultESG_EEEEPS6_NSA_18transform_iteratorI7is_evenIsENSC_INSA_10device_ptrIsEEEESG_SG_EENS0_5tupleIJPsSJ_EEENSR_IJSJ_SJ_EEES6_PlJS6_EEE10hipError_tPvRmT3_T4_T5_T6_T7_T9_mT8_P12ihipStream_tbDpT10_ENKUlT_T0_E_clISt17integral_constantIbLb1EES1F_EEDaS1A_S1B_EUlS1A_E_NS1_11comp_targetILNS1_3genE8ELNS1_11target_archE1030ELNS1_3gpuE2ELNS1_3repE0EEENS1_30default_config_static_selectorELNS0_4arch9wavefront6targetE1EEEvT1_
; %bb.0:
	.section	.rodata,"a",@progbits
	.p2align	6, 0x0
	.amdhsa_kernel _ZN7rocprim17ROCPRIM_400000_NS6detail17trampoline_kernelINS0_14default_configENS1_25partition_config_selectorILNS1_17partition_subalgoE2EsNS0_10empty_typeEbEEZZNS1_14partition_implILS5_2ELb0ES3_jN6thrust23THRUST_200600_302600_NS6detail15normal_iteratorINSA_7pointerIsNSA_11hip_rocprim3tagENSA_11use_defaultESG_EEEEPS6_NSA_18transform_iteratorI7is_evenIsENSC_INSA_10device_ptrIsEEEESG_SG_EENS0_5tupleIJPsSJ_EEENSR_IJSJ_SJ_EEES6_PlJS6_EEE10hipError_tPvRmT3_T4_T5_T6_T7_T9_mT8_P12ihipStream_tbDpT10_ENKUlT_T0_E_clISt17integral_constantIbLb1EES1F_EEDaS1A_S1B_EUlS1A_E_NS1_11comp_targetILNS1_3genE8ELNS1_11target_archE1030ELNS1_3gpuE2ELNS1_3repE0EEENS1_30default_config_static_selectorELNS0_4arch9wavefront6targetE1EEEvT1_
		.amdhsa_group_segment_fixed_size 0
		.amdhsa_private_segment_fixed_size 0
		.amdhsa_kernarg_size 144
		.amdhsa_user_sgpr_count 2
		.amdhsa_user_sgpr_dispatch_ptr 0
		.amdhsa_user_sgpr_queue_ptr 0
		.amdhsa_user_sgpr_kernarg_segment_ptr 1
		.amdhsa_user_sgpr_dispatch_id 0
		.amdhsa_user_sgpr_kernarg_preload_length 0
		.amdhsa_user_sgpr_kernarg_preload_offset 0
		.amdhsa_user_sgpr_private_segment_size 0
		.amdhsa_uses_dynamic_stack 0
		.amdhsa_enable_private_segment 0
		.amdhsa_system_sgpr_workgroup_id_x 1
		.amdhsa_system_sgpr_workgroup_id_y 0
		.amdhsa_system_sgpr_workgroup_id_z 0
		.amdhsa_system_sgpr_workgroup_info 0
		.amdhsa_system_vgpr_workitem_id 0
		.amdhsa_next_free_vgpr 1
		.amdhsa_next_free_sgpr 0
		.amdhsa_accum_offset 4
		.amdhsa_reserve_vcc 0
		.amdhsa_float_round_mode_32 0
		.amdhsa_float_round_mode_16_64 0
		.amdhsa_float_denorm_mode_32 3
		.amdhsa_float_denorm_mode_16_64 3
		.amdhsa_dx10_clamp 1
		.amdhsa_ieee_mode 1
		.amdhsa_fp16_overflow 0
		.amdhsa_tg_split 0
		.amdhsa_exception_fp_ieee_invalid_op 0
		.amdhsa_exception_fp_denorm_src 0
		.amdhsa_exception_fp_ieee_div_zero 0
		.amdhsa_exception_fp_ieee_overflow 0
		.amdhsa_exception_fp_ieee_underflow 0
		.amdhsa_exception_fp_ieee_inexact 0
		.amdhsa_exception_int_div_zero 0
	.end_amdhsa_kernel
	.section	.text._ZN7rocprim17ROCPRIM_400000_NS6detail17trampoline_kernelINS0_14default_configENS1_25partition_config_selectorILNS1_17partition_subalgoE2EsNS0_10empty_typeEbEEZZNS1_14partition_implILS5_2ELb0ES3_jN6thrust23THRUST_200600_302600_NS6detail15normal_iteratorINSA_7pointerIsNSA_11hip_rocprim3tagENSA_11use_defaultESG_EEEEPS6_NSA_18transform_iteratorI7is_evenIsENSC_INSA_10device_ptrIsEEEESG_SG_EENS0_5tupleIJPsSJ_EEENSR_IJSJ_SJ_EEES6_PlJS6_EEE10hipError_tPvRmT3_T4_T5_T6_T7_T9_mT8_P12ihipStream_tbDpT10_ENKUlT_T0_E_clISt17integral_constantIbLb1EES1F_EEDaS1A_S1B_EUlS1A_E_NS1_11comp_targetILNS1_3genE8ELNS1_11target_archE1030ELNS1_3gpuE2ELNS1_3repE0EEENS1_30default_config_static_selectorELNS0_4arch9wavefront6targetE1EEEvT1_,"axG",@progbits,_ZN7rocprim17ROCPRIM_400000_NS6detail17trampoline_kernelINS0_14default_configENS1_25partition_config_selectorILNS1_17partition_subalgoE2EsNS0_10empty_typeEbEEZZNS1_14partition_implILS5_2ELb0ES3_jN6thrust23THRUST_200600_302600_NS6detail15normal_iteratorINSA_7pointerIsNSA_11hip_rocprim3tagENSA_11use_defaultESG_EEEEPS6_NSA_18transform_iteratorI7is_evenIsENSC_INSA_10device_ptrIsEEEESG_SG_EENS0_5tupleIJPsSJ_EEENSR_IJSJ_SJ_EEES6_PlJS6_EEE10hipError_tPvRmT3_T4_T5_T6_T7_T9_mT8_P12ihipStream_tbDpT10_ENKUlT_T0_E_clISt17integral_constantIbLb1EES1F_EEDaS1A_S1B_EUlS1A_E_NS1_11comp_targetILNS1_3genE8ELNS1_11target_archE1030ELNS1_3gpuE2ELNS1_3repE0EEENS1_30default_config_static_selectorELNS0_4arch9wavefront6targetE1EEEvT1_,comdat
.Lfunc_end271:
	.size	_ZN7rocprim17ROCPRIM_400000_NS6detail17trampoline_kernelINS0_14default_configENS1_25partition_config_selectorILNS1_17partition_subalgoE2EsNS0_10empty_typeEbEEZZNS1_14partition_implILS5_2ELb0ES3_jN6thrust23THRUST_200600_302600_NS6detail15normal_iteratorINSA_7pointerIsNSA_11hip_rocprim3tagENSA_11use_defaultESG_EEEEPS6_NSA_18transform_iteratorI7is_evenIsENSC_INSA_10device_ptrIsEEEESG_SG_EENS0_5tupleIJPsSJ_EEENSR_IJSJ_SJ_EEES6_PlJS6_EEE10hipError_tPvRmT3_T4_T5_T6_T7_T9_mT8_P12ihipStream_tbDpT10_ENKUlT_T0_E_clISt17integral_constantIbLb1EES1F_EEDaS1A_S1B_EUlS1A_E_NS1_11comp_targetILNS1_3genE8ELNS1_11target_archE1030ELNS1_3gpuE2ELNS1_3repE0EEENS1_30default_config_static_selectorELNS0_4arch9wavefront6targetE1EEEvT1_, .Lfunc_end271-_ZN7rocprim17ROCPRIM_400000_NS6detail17trampoline_kernelINS0_14default_configENS1_25partition_config_selectorILNS1_17partition_subalgoE2EsNS0_10empty_typeEbEEZZNS1_14partition_implILS5_2ELb0ES3_jN6thrust23THRUST_200600_302600_NS6detail15normal_iteratorINSA_7pointerIsNSA_11hip_rocprim3tagENSA_11use_defaultESG_EEEEPS6_NSA_18transform_iteratorI7is_evenIsENSC_INSA_10device_ptrIsEEEESG_SG_EENS0_5tupleIJPsSJ_EEENSR_IJSJ_SJ_EEES6_PlJS6_EEE10hipError_tPvRmT3_T4_T5_T6_T7_T9_mT8_P12ihipStream_tbDpT10_ENKUlT_T0_E_clISt17integral_constantIbLb1EES1F_EEDaS1A_S1B_EUlS1A_E_NS1_11comp_targetILNS1_3genE8ELNS1_11target_archE1030ELNS1_3gpuE2ELNS1_3repE0EEENS1_30default_config_static_selectorELNS0_4arch9wavefront6targetE1EEEvT1_
                                        ; -- End function
	.section	.AMDGPU.csdata,"",@progbits
; Kernel info:
; codeLenInByte = 0
; NumSgprs: 6
; NumVgprs: 0
; NumAgprs: 0
; TotalNumVgprs: 0
; ScratchSize: 0
; MemoryBound: 0
; FloatMode: 240
; IeeeMode: 1
; LDSByteSize: 0 bytes/workgroup (compile time only)
; SGPRBlocks: 0
; VGPRBlocks: 0
; NumSGPRsForWavesPerEU: 6
; NumVGPRsForWavesPerEU: 1
; AccumOffset: 4
; Occupancy: 8
; WaveLimiterHint : 0
; COMPUTE_PGM_RSRC2:SCRATCH_EN: 0
; COMPUTE_PGM_RSRC2:USER_SGPR: 2
; COMPUTE_PGM_RSRC2:TRAP_HANDLER: 0
; COMPUTE_PGM_RSRC2:TGID_X_EN: 1
; COMPUTE_PGM_RSRC2:TGID_Y_EN: 0
; COMPUTE_PGM_RSRC2:TGID_Z_EN: 0
; COMPUTE_PGM_RSRC2:TIDIG_COMP_CNT: 0
; COMPUTE_PGM_RSRC3_GFX90A:ACCUM_OFFSET: 0
; COMPUTE_PGM_RSRC3_GFX90A:TG_SPLIT: 0
	.section	.text._ZN7rocprim17ROCPRIM_400000_NS6detail17trampoline_kernelINS0_14default_configENS1_25partition_config_selectorILNS1_17partition_subalgoE2EsNS0_10empty_typeEbEEZZNS1_14partition_implILS5_2ELb0ES3_jN6thrust23THRUST_200600_302600_NS6detail15normal_iteratorINSA_7pointerIsNSA_11hip_rocprim3tagENSA_11use_defaultESG_EEEEPS6_NSA_18transform_iteratorI7is_evenIsENSC_INSA_10device_ptrIsEEEESG_SG_EENS0_5tupleIJPsSJ_EEENSR_IJSJ_SJ_EEES6_PlJS6_EEE10hipError_tPvRmT3_T4_T5_T6_T7_T9_mT8_P12ihipStream_tbDpT10_ENKUlT_T0_E_clISt17integral_constantIbLb1EES1E_IbLb0EEEEDaS1A_S1B_EUlS1A_E_NS1_11comp_targetILNS1_3genE0ELNS1_11target_archE4294967295ELNS1_3gpuE0ELNS1_3repE0EEENS1_30default_config_static_selectorELNS0_4arch9wavefront6targetE1EEEvT1_,"axG",@progbits,_ZN7rocprim17ROCPRIM_400000_NS6detail17trampoline_kernelINS0_14default_configENS1_25partition_config_selectorILNS1_17partition_subalgoE2EsNS0_10empty_typeEbEEZZNS1_14partition_implILS5_2ELb0ES3_jN6thrust23THRUST_200600_302600_NS6detail15normal_iteratorINSA_7pointerIsNSA_11hip_rocprim3tagENSA_11use_defaultESG_EEEEPS6_NSA_18transform_iteratorI7is_evenIsENSC_INSA_10device_ptrIsEEEESG_SG_EENS0_5tupleIJPsSJ_EEENSR_IJSJ_SJ_EEES6_PlJS6_EEE10hipError_tPvRmT3_T4_T5_T6_T7_T9_mT8_P12ihipStream_tbDpT10_ENKUlT_T0_E_clISt17integral_constantIbLb1EES1E_IbLb0EEEEDaS1A_S1B_EUlS1A_E_NS1_11comp_targetILNS1_3genE0ELNS1_11target_archE4294967295ELNS1_3gpuE0ELNS1_3repE0EEENS1_30default_config_static_selectorELNS0_4arch9wavefront6targetE1EEEvT1_,comdat
	.protected	_ZN7rocprim17ROCPRIM_400000_NS6detail17trampoline_kernelINS0_14default_configENS1_25partition_config_selectorILNS1_17partition_subalgoE2EsNS0_10empty_typeEbEEZZNS1_14partition_implILS5_2ELb0ES3_jN6thrust23THRUST_200600_302600_NS6detail15normal_iteratorINSA_7pointerIsNSA_11hip_rocprim3tagENSA_11use_defaultESG_EEEEPS6_NSA_18transform_iteratorI7is_evenIsENSC_INSA_10device_ptrIsEEEESG_SG_EENS0_5tupleIJPsSJ_EEENSR_IJSJ_SJ_EEES6_PlJS6_EEE10hipError_tPvRmT3_T4_T5_T6_T7_T9_mT8_P12ihipStream_tbDpT10_ENKUlT_T0_E_clISt17integral_constantIbLb1EES1E_IbLb0EEEEDaS1A_S1B_EUlS1A_E_NS1_11comp_targetILNS1_3genE0ELNS1_11target_archE4294967295ELNS1_3gpuE0ELNS1_3repE0EEENS1_30default_config_static_selectorELNS0_4arch9wavefront6targetE1EEEvT1_ ; -- Begin function _ZN7rocprim17ROCPRIM_400000_NS6detail17trampoline_kernelINS0_14default_configENS1_25partition_config_selectorILNS1_17partition_subalgoE2EsNS0_10empty_typeEbEEZZNS1_14partition_implILS5_2ELb0ES3_jN6thrust23THRUST_200600_302600_NS6detail15normal_iteratorINSA_7pointerIsNSA_11hip_rocprim3tagENSA_11use_defaultESG_EEEEPS6_NSA_18transform_iteratorI7is_evenIsENSC_INSA_10device_ptrIsEEEESG_SG_EENS0_5tupleIJPsSJ_EEENSR_IJSJ_SJ_EEES6_PlJS6_EEE10hipError_tPvRmT3_T4_T5_T6_T7_T9_mT8_P12ihipStream_tbDpT10_ENKUlT_T0_E_clISt17integral_constantIbLb1EES1E_IbLb0EEEEDaS1A_S1B_EUlS1A_E_NS1_11comp_targetILNS1_3genE0ELNS1_11target_archE4294967295ELNS1_3gpuE0ELNS1_3repE0EEENS1_30default_config_static_selectorELNS0_4arch9wavefront6targetE1EEEvT1_
	.globl	_ZN7rocprim17ROCPRIM_400000_NS6detail17trampoline_kernelINS0_14default_configENS1_25partition_config_selectorILNS1_17partition_subalgoE2EsNS0_10empty_typeEbEEZZNS1_14partition_implILS5_2ELb0ES3_jN6thrust23THRUST_200600_302600_NS6detail15normal_iteratorINSA_7pointerIsNSA_11hip_rocprim3tagENSA_11use_defaultESG_EEEEPS6_NSA_18transform_iteratorI7is_evenIsENSC_INSA_10device_ptrIsEEEESG_SG_EENS0_5tupleIJPsSJ_EEENSR_IJSJ_SJ_EEES6_PlJS6_EEE10hipError_tPvRmT3_T4_T5_T6_T7_T9_mT8_P12ihipStream_tbDpT10_ENKUlT_T0_E_clISt17integral_constantIbLb1EES1E_IbLb0EEEEDaS1A_S1B_EUlS1A_E_NS1_11comp_targetILNS1_3genE0ELNS1_11target_archE4294967295ELNS1_3gpuE0ELNS1_3repE0EEENS1_30default_config_static_selectorELNS0_4arch9wavefront6targetE1EEEvT1_
	.p2align	8
	.type	_ZN7rocprim17ROCPRIM_400000_NS6detail17trampoline_kernelINS0_14default_configENS1_25partition_config_selectorILNS1_17partition_subalgoE2EsNS0_10empty_typeEbEEZZNS1_14partition_implILS5_2ELb0ES3_jN6thrust23THRUST_200600_302600_NS6detail15normal_iteratorINSA_7pointerIsNSA_11hip_rocprim3tagENSA_11use_defaultESG_EEEEPS6_NSA_18transform_iteratorI7is_evenIsENSC_INSA_10device_ptrIsEEEESG_SG_EENS0_5tupleIJPsSJ_EEENSR_IJSJ_SJ_EEES6_PlJS6_EEE10hipError_tPvRmT3_T4_T5_T6_T7_T9_mT8_P12ihipStream_tbDpT10_ENKUlT_T0_E_clISt17integral_constantIbLb1EES1E_IbLb0EEEEDaS1A_S1B_EUlS1A_E_NS1_11comp_targetILNS1_3genE0ELNS1_11target_archE4294967295ELNS1_3gpuE0ELNS1_3repE0EEENS1_30default_config_static_selectorELNS0_4arch9wavefront6targetE1EEEvT1_,@function
_ZN7rocprim17ROCPRIM_400000_NS6detail17trampoline_kernelINS0_14default_configENS1_25partition_config_selectorILNS1_17partition_subalgoE2EsNS0_10empty_typeEbEEZZNS1_14partition_implILS5_2ELb0ES3_jN6thrust23THRUST_200600_302600_NS6detail15normal_iteratorINSA_7pointerIsNSA_11hip_rocprim3tagENSA_11use_defaultESG_EEEEPS6_NSA_18transform_iteratorI7is_evenIsENSC_INSA_10device_ptrIsEEEESG_SG_EENS0_5tupleIJPsSJ_EEENSR_IJSJ_SJ_EEES6_PlJS6_EEE10hipError_tPvRmT3_T4_T5_T6_T7_T9_mT8_P12ihipStream_tbDpT10_ENKUlT_T0_E_clISt17integral_constantIbLb1EES1E_IbLb0EEEEDaS1A_S1B_EUlS1A_E_NS1_11comp_targetILNS1_3genE0ELNS1_11target_archE4294967295ELNS1_3gpuE0ELNS1_3repE0EEENS1_30default_config_static_selectorELNS0_4arch9wavefront6targetE1EEEvT1_: ; @_ZN7rocprim17ROCPRIM_400000_NS6detail17trampoline_kernelINS0_14default_configENS1_25partition_config_selectorILNS1_17partition_subalgoE2EsNS0_10empty_typeEbEEZZNS1_14partition_implILS5_2ELb0ES3_jN6thrust23THRUST_200600_302600_NS6detail15normal_iteratorINSA_7pointerIsNSA_11hip_rocprim3tagENSA_11use_defaultESG_EEEEPS6_NSA_18transform_iteratorI7is_evenIsENSC_INSA_10device_ptrIsEEEESG_SG_EENS0_5tupleIJPsSJ_EEENSR_IJSJ_SJ_EEES6_PlJS6_EEE10hipError_tPvRmT3_T4_T5_T6_T7_T9_mT8_P12ihipStream_tbDpT10_ENKUlT_T0_E_clISt17integral_constantIbLb1EES1E_IbLb0EEEEDaS1A_S1B_EUlS1A_E_NS1_11comp_targetILNS1_3genE0ELNS1_11target_archE4294967295ELNS1_3gpuE0ELNS1_3repE0EEENS1_30default_config_static_selectorELNS0_4arch9wavefront6targetE1EEEvT1_
; %bb.0:
	.section	.rodata,"a",@progbits
	.p2align	6, 0x0
	.amdhsa_kernel _ZN7rocprim17ROCPRIM_400000_NS6detail17trampoline_kernelINS0_14default_configENS1_25partition_config_selectorILNS1_17partition_subalgoE2EsNS0_10empty_typeEbEEZZNS1_14partition_implILS5_2ELb0ES3_jN6thrust23THRUST_200600_302600_NS6detail15normal_iteratorINSA_7pointerIsNSA_11hip_rocprim3tagENSA_11use_defaultESG_EEEEPS6_NSA_18transform_iteratorI7is_evenIsENSC_INSA_10device_ptrIsEEEESG_SG_EENS0_5tupleIJPsSJ_EEENSR_IJSJ_SJ_EEES6_PlJS6_EEE10hipError_tPvRmT3_T4_T5_T6_T7_T9_mT8_P12ihipStream_tbDpT10_ENKUlT_T0_E_clISt17integral_constantIbLb1EES1E_IbLb0EEEEDaS1A_S1B_EUlS1A_E_NS1_11comp_targetILNS1_3genE0ELNS1_11target_archE4294967295ELNS1_3gpuE0ELNS1_3repE0EEENS1_30default_config_static_selectorELNS0_4arch9wavefront6targetE1EEEvT1_
		.amdhsa_group_segment_fixed_size 0
		.amdhsa_private_segment_fixed_size 0
		.amdhsa_kernarg_size 128
		.amdhsa_user_sgpr_count 2
		.amdhsa_user_sgpr_dispatch_ptr 0
		.amdhsa_user_sgpr_queue_ptr 0
		.amdhsa_user_sgpr_kernarg_segment_ptr 1
		.amdhsa_user_sgpr_dispatch_id 0
		.amdhsa_user_sgpr_kernarg_preload_length 0
		.amdhsa_user_sgpr_kernarg_preload_offset 0
		.amdhsa_user_sgpr_private_segment_size 0
		.amdhsa_uses_dynamic_stack 0
		.amdhsa_enable_private_segment 0
		.amdhsa_system_sgpr_workgroup_id_x 1
		.amdhsa_system_sgpr_workgroup_id_y 0
		.amdhsa_system_sgpr_workgroup_id_z 0
		.amdhsa_system_sgpr_workgroup_info 0
		.amdhsa_system_vgpr_workitem_id 0
		.amdhsa_next_free_vgpr 1
		.amdhsa_next_free_sgpr 0
		.amdhsa_accum_offset 4
		.amdhsa_reserve_vcc 0
		.amdhsa_float_round_mode_32 0
		.amdhsa_float_round_mode_16_64 0
		.amdhsa_float_denorm_mode_32 3
		.amdhsa_float_denorm_mode_16_64 3
		.amdhsa_dx10_clamp 1
		.amdhsa_ieee_mode 1
		.amdhsa_fp16_overflow 0
		.amdhsa_tg_split 0
		.amdhsa_exception_fp_ieee_invalid_op 0
		.amdhsa_exception_fp_denorm_src 0
		.amdhsa_exception_fp_ieee_div_zero 0
		.amdhsa_exception_fp_ieee_overflow 0
		.amdhsa_exception_fp_ieee_underflow 0
		.amdhsa_exception_fp_ieee_inexact 0
		.amdhsa_exception_int_div_zero 0
	.end_amdhsa_kernel
	.section	.text._ZN7rocprim17ROCPRIM_400000_NS6detail17trampoline_kernelINS0_14default_configENS1_25partition_config_selectorILNS1_17partition_subalgoE2EsNS0_10empty_typeEbEEZZNS1_14partition_implILS5_2ELb0ES3_jN6thrust23THRUST_200600_302600_NS6detail15normal_iteratorINSA_7pointerIsNSA_11hip_rocprim3tagENSA_11use_defaultESG_EEEEPS6_NSA_18transform_iteratorI7is_evenIsENSC_INSA_10device_ptrIsEEEESG_SG_EENS0_5tupleIJPsSJ_EEENSR_IJSJ_SJ_EEES6_PlJS6_EEE10hipError_tPvRmT3_T4_T5_T6_T7_T9_mT8_P12ihipStream_tbDpT10_ENKUlT_T0_E_clISt17integral_constantIbLb1EES1E_IbLb0EEEEDaS1A_S1B_EUlS1A_E_NS1_11comp_targetILNS1_3genE0ELNS1_11target_archE4294967295ELNS1_3gpuE0ELNS1_3repE0EEENS1_30default_config_static_selectorELNS0_4arch9wavefront6targetE1EEEvT1_,"axG",@progbits,_ZN7rocprim17ROCPRIM_400000_NS6detail17trampoline_kernelINS0_14default_configENS1_25partition_config_selectorILNS1_17partition_subalgoE2EsNS0_10empty_typeEbEEZZNS1_14partition_implILS5_2ELb0ES3_jN6thrust23THRUST_200600_302600_NS6detail15normal_iteratorINSA_7pointerIsNSA_11hip_rocprim3tagENSA_11use_defaultESG_EEEEPS6_NSA_18transform_iteratorI7is_evenIsENSC_INSA_10device_ptrIsEEEESG_SG_EENS0_5tupleIJPsSJ_EEENSR_IJSJ_SJ_EEES6_PlJS6_EEE10hipError_tPvRmT3_T4_T5_T6_T7_T9_mT8_P12ihipStream_tbDpT10_ENKUlT_T0_E_clISt17integral_constantIbLb1EES1E_IbLb0EEEEDaS1A_S1B_EUlS1A_E_NS1_11comp_targetILNS1_3genE0ELNS1_11target_archE4294967295ELNS1_3gpuE0ELNS1_3repE0EEENS1_30default_config_static_selectorELNS0_4arch9wavefront6targetE1EEEvT1_,comdat
.Lfunc_end272:
	.size	_ZN7rocprim17ROCPRIM_400000_NS6detail17trampoline_kernelINS0_14default_configENS1_25partition_config_selectorILNS1_17partition_subalgoE2EsNS0_10empty_typeEbEEZZNS1_14partition_implILS5_2ELb0ES3_jN6thrust23THRUST_200600_302600_NS6detail15normal_iteratorINSA_7pointerIsNSA_11hip_rocprim3tagENSA_11use_defaultESG_EEEEPS6_NSA_18transform_iteratorI7is_evenIsENSC_INSA_10device_ptrIsEEEESG_SG_EENS0_5tupleIJPsSJ_EEENSR_IJSJ_SJ_EEES6_PlJS6_EEE10hipError_tPvRmT3_T4_T5_T6_T7_T9_mT8_P12ihipStream_tbDpT10_ENKUlT_T0_E_clISt17integral_constantIbLb1EES1E_IbLb0EEEEDaS1A_S1B_EUlS1A_E_NS1_11comp_targetILNS1_3genE0ELNS1_11target_archE4294967295ELNS1_3gpuE0ELNS1_3repE0EEENS1_30default_config_static_selectorELNS0_4arch9wavefront6targetE1EEEvT1_, .Lfunc_end272-_ZN7rocprim17ROCPRIM_400000_NS6detail17trampoline_kernelINS0_14default_configENS1_25partition_config_selectorILNS1_17partition_subalgoE2EsNS0_10empty_typeEbEEZZNS1_14partition_implILS5_2ELb0ES3_jN6thrust23THRUST_200600_302600_NS6detail15normal_iteratorINSA_7pointerIsNSA_11hip_rocprim3tagENSA_11use_defaultESG_EEEEPS6_NSA_18transform_iteratorI7is_evenIsENSC_INSA_10device_ptrIsEEEESG_SG_EENS0_5tupleIJPsSJ_EEENSR_IJSJ_SJ_EEES6_PlJS6_EEE10hipError_tPvRmT3_T4_T5_T6_T7_T9_mT8_P12ihipStream_tbDpT10_ENKUlT_T0_E_clISt17integral_constantIbLb1EES1E_IbLb0EEEEDaS1A_S1B_EUlS1A_E_NS1_11comp_targetILNS1_3genE0ELNS1_11target_archE4294967295ELNS1_3gpuE0ELNS1_3repE0EEENS1_30default_config_static_selectorELNS0_4arch9wavefront6targetE1EEEvT1_
                                        ; -- End function
	.section	.AMDGPU.csdata,"",@progbits
; Kernel info:
; codeLenInByte = 0
; NumSgprs: 6
; NumVgprs: 0
; NumAgprs: 0
; TotalNumVgprs: 0
; ScratchSize: 0
; MemoryBound: 0
; FloatMode: 240
; IeeeMode: 1
; LDSByteSize: 0 bytes/workgroup (compile time only)
; SGPRBlocks: 0
; VGPRBlocks: 0
; NumSGPRsForWavesPerEU: 6
; NumVGPRsForWavesPerEU: 1
; AccumOffset: 4
; Occupancy: 8
; WaveLimiterHint : 0
; COMPUTE_PGM_RSRC2:SCRATCH_EN: 0
; COMPUTE_PGM_RSRC2:USER_SGPR: 2
; COMPUTE_PGM_RSRC2:TRAP_HANDLER: 0
; COMPUTE_PGM_RSRC2:TGID_X_EN: 1
; COMPUTE_PGM_RSRC2:TGID_Y_EN: 0
; COMPUTE_PGM_RSRC2:TGID_Z_EN: 0
; COMPUTE_PGM_RSRC2:TIDIG_COMP_CNT: 0
; COMPUTE_PGM_RSRC3_GFX90A:ACCUM_OFFSET: 0
; COMPUTE_PGM_RSRC3_GFX90A:TG_SPLIT: 0
	.section	.text._ZN7rocprim17ROCPRIM_400000_NS6detail17trampoline_kernelINS0_14default_configENS1_25partition_config_selectorILNS1_17partition_subalgoE2EsNS0_10empty_typeEbEEZZNS1_14partition_implILS5_2ELb0ES3_jN6thrust23THRUST_200600_302600_NS6detail15normal_iteratorINSA_7pointerIsNSA_11hip_rocprim3tagENSA_11use_defaultESG_EEEEPS6_NSA_18transform_iteratorI7is_evenIsENSC_INSA_10device_ptrIsEEEESG_SG_EENS0_5tupleIJPsSJ_EEENSR_IJSJ_SJ_EEES6_PlJS6_EEE10hipError_tPvRmT3_T4_T5_T6_T7_T9_mT8_P12ihipStream_tbDpT10_ENKUlT_T0_E_clISt17integral_constantIbLb1EES1E_IbLb0EEEEDaS1A_S1B_EUlS1A_E_NS1_11comp_targetILNS1_3genE5ELNS1_11target_archE942ELNS1_3gpuE9ELNS1_3repE0EEENS1_30default_config_static_selectorELNS0_4arch9wavefront6targetE1EEEvT1_,"axG",@progbits,_ZN7rocprim17ROCPRIM_400000_NS6detail17trampoline_kernelINS0_14default_configENS1_25partition_config_selectorILNS1_17partition_subalgoE2EsNS0_10empty_typeEbEEZZNS1_14partition_implILS5_2ELb0ES3_jN6thrust23THRUST_200600_302600_NS6detail15normal_iteratorINSA_7pointerIsNSA_11hip_rocprim3tagENSA_11use_defaultESG_EEEEPS6_NSA_18transform_iteratorI7is_evenIsENSC_INSA_10device_ptrIsEEEESG_SG_EENS0_5tupleIJPsSJ_EEENSR_IJSJ_SJ_EEES6_PlJS6_EEE10hipError_tPvRmT3_T4_T5_T6_T7_T9_mT8_P12ihipStream_tbDpT10_ENKUlT_T0_E_clISt17integral_constantIbLb1EES1E_IbLb0EEEEDaS1A_S1B_EUlS1A_E_NS1_11comp_targetILNS1_3genE5ELNS1_11target_archE942ELNS1_3gpuE9ELNS1_3repE0EEENS1_30default_config_static_selectorELNS0_4arch9wavefront6targetE1EEEvT1_,comdat
	.protected	_ZN7rocprim17ROCPRIM_400000_NS6detail17trampoline_kernelINS0_14default_configENS1_25partition_config_selectorILNS1_17partition_subalgoE2EsNS0_10empty_typeEbEEZZNS1_14partition_implILS5_2ELb0ES3_jN6thrust23THRUST_200600_302600_NS6detail15normal_iteratorINSA_7pointerIsNSA_11hip_rocprim3tagENSA_11use_defaultESG_EEEEPS6_NSA_18transform_iteratorI7is_evenIsENSC_INSA_10device_ptrIsEEEESG_SG_EENS0_5tupleIJPsSJ_EEENSR_IJSJ_SJ_EEES6_PlJS6_EEE10hipError_tPvRmT3_T4_T5_T6_T7_T9_mT8_P12ihipStream_tbDpT10_ENKUlT_T0_E_clISt17integral_constantIbLb1EES1E_IbLb0EEEEDaS1A_S1B_EUlS1A_E_NS1_11comp_targetILNS1_3genE5ELNS1_11target_archE942ELNS1_3gpuE9ELNS1_3repE0EEENS1_30default_config_static_selectorELNS0_4arch9wavefront6targetE1EEEvT1_ ; -- Begin function _ZN7rocprim17ROCPRIM_400000_NS6detail17trampoline_kernelINS0_14default_configENS1_25partition_config_selectorILNS1_17partition_subalgoE2EsNS0_10empty_typeEbEEZZNS1_14partition_implILS5_2ELb0ES3_jN6thrust23THRUST_200600_302600_NS6detail15normal_iteratorINSA_7pointerIsNSA_11hip_rocprim3tagENSA_11use_defaultESG_EEEEPS6_NSA_18transform_iteratorI7is_evenIsENSC_INSA_10device_ptrIsEEEESG_SG_EENS0_5tupleIJPsSJ_EEENSR_IJSJ_SJ_EEES6_PlJS6_EEE10hipError_tPvRmT3_T4_T5_T6_T7_T9_mT8_P12ihipStream_tbDpT10_ENKUlT_T0_E_clISt17integral_constantIbLb1EES1E_IbLb0EEEEDaS1A_S1B_EUlS1A_E_NS1_11comp_targetILNS1_3genE5ELNS1_11target_archE942ELNS1_3gpuE9ELNS1_3repE0EEENS1_30default_config_static_selectorELNS0_4arch9wavefront6targetE1EEEvT1_
	.globl	_ZN7rocprim17ROCPRIM_400000_NS6detail17trampoline_kernelINS0_14default_configENS1_25partition_config_selectorILNS1_17partition_subalgoE2EsNS0_10empty_typeEbEEZZNS1_14partition_implILS5_2ELb0ES3_jN6thrust23THRUST_200600_302600_NS6detail15normal_iteratorINSA_7pointerIsNSA_11hip_rocprim3tagENSA_11use_defaultESG_EEEEPS6_NSA_18transform_iteratorI7is_evenIsENSC_INSA_10device_ptrIsEEEESG_SG_EENS0_5tupleIJPsSJ_EEENSR_IJSJ_SJ_EEES6_PlJS6_EEE10hipError_tPvRmT3_T4_T5_T6_T7_T9_mT8_P12ihipStream_tbDpT10_ENKUlT_T0_E_clISt17integral_constantIbLb1EES1E_IbLb0EEEEDaS1A_S1B_EUlS1A_E_NS1_11comp_targetILNS1_3genE5ELNS1_11target_archE942ELNS1_3gpuE9ELNS1_3repE0EEENS1_30default_config_static_selectorELNS0_4arch9wavefront6targetE1EEEvT1_
	.p2align	8
	.type	_ZN7rocprim17ROCPRIM_400000_NS6detail17trampoline_kernelINS0_14default_configENS1_25partition_config_selectorILNS1_17partition_subalgoE2EsNS0_10empty_typeEbEEZZNS1_14partition_implILS5_2ELb0ES3_jN6thrust23THRUST_200600_302600_NS6detail15normal_iteratorINSA_7pointerIsNSA_11hip_rocprim3tagENSA_11use_defaultESG_EEEEPS6_NSA_18transform_iteratorI7is_evenIsENSC_INSA_10device_ptrIsEEEESG_SG_EENS0_5tupleIJPsSJ_EEENSR_IJSJ_SJ_EEES6_PlJS6_EEE10hipError_tPvRmT3_T4_T5_T6_T7_T9_mT8_P12ihipStream_tbDpT10_ENKUlT_T0_E_clISt17integral_constantIbLb1EES1E_IbLb0EEEEDaS1A_S1B_EUlS1A_E_NS1_11comp_targetILNS1_3genE5ELNS1_11target_archE942ELNS1_3gpuE9ELNS1_3repE0EEENS1_30default_config_static_selectorELNS0_4arch9wavefront6targetE1EEEvT1_,@function
_ZN7rocprim17ROCPRIM_400000_NS6detail17trampoline_kernelINS0_14default_configENS1_25partition_config_selectorILNS1_17partition_subalgoE2EsNS0_10empty_typeEbEEZZNS1_14partition_implILS5_2ELb0ES3_jN6thrust23THRUST_200600_302600_NS6detail15normal_iteratorINSA_7pointerIsNSA_11hip_rocprim3tagENSA_11use_defaultESG_EEEEPS6_NSA_18transform_iteratorI7is_evenIsENSC_INSA_10device_ptrIsEEEESG_SG_EENS0_5tupleIJPsSJ_EEENSR_IJSJ_SJ_EEES6_PlJS6_EEE10hipError_tPvRmT3_T4_T5_T6_T7_T9_mT8_P12ihipStream_tbDpT10_ENKUlT_T0_E_clISt17integral_constantIbLb1EES1E_IbLb0EEEEDaS1A_S1B_EUlS1A_E_NS1_11comp_targetILNS1_3genE5ELNS1_11target_archE942ELNS1_3gpuE9ELNS1_3repE0EEENS1_30default_config_static_selectorELNS0_4arch9wavefront6targetE1EEEvT1_: ; @_ZN7rocprim17ROCPRIM_400000_NS6detail17trampoline_kernelINS0_14default_configENS1_25partition_config_selectorILNS1_17partition_subalgoE2EsNS0_10empty_typeEbEEZZNS1_14partition_implILS5_2ELb0ES3_jN6thrust23THRUST_200600_302600_NS6detail15normal_iteratorINSA_7pointerIsNSA_11hip_rocprim3tagENSA_11use_defaultESG_EEEEPS6_NSA_18transform_iteratorI7is_evenIsENSC_INSA_10device_ptrIsEEEESG_SG_EENS0_5tupleIJPsSJ_EEENSR_IJSJ_SJ_EEES6_PlJS6_EEE10hipError_tPvRmT3_T4_T5_T6_T7_T9_mT8_P12ihipStream_tbDpT10_ENKUlT_T0_E_clISt17integral_constantIbLb1EES1E_IbLb0EEEEDaS1A_S1B_EUlS1A_E_NS1_11comp_targetILNS1_3genE5ELNS1_11target_archE942ELNS1_3gpuE9ELNS1_3repE0EEENS1_30default_config_static_selectorELNS0_4arch9wavefront6targetE1EEEvT1_
; %bb.0:
	s_load_dwordx4 s[24:27], s[0:1], 0x8
	s_load_dwordx2 s[6:7], s[0:1], 0x20
	s_load_dwordx2 s[28:29], s[0:1], 0x60
	s_load_dwordx4 s[20:23], s[0:1], 0x50
	s_load_dword s3, s[0:1], 0x78
	s_waitcnt lgkmcnt(0)
	s_lshl_b64 s[8:9], s[26:27], 1
	s_add_u32 s12, s24, s8
	s_addc_u32 s13, s25, s9
	s_load_dwordx2 s[30:31], s[22:23], 0x0
	s_add_i32 s10, s3, -1
	s_mulk_i32 s3, 0x3c00
	s_add_i32 s4, s3, s26
	s_sub_i32 s33, s28, s4
	s_addk_i32 s33, 0x3c00
	s_add_u32 s4, s26, s3
	s_addc_u32 s5, s27, 0
	s_cmp_eq_u32 s2, s10
	v_mov_b64_e32 v[2:3], s[28:29]
	s_cselect_b64 s[22:23], -1, 0
	s_cmp_lg_u32 s2, s10
	s_mul_i32 s24, s2, 0x3c00
	s_mov_b32 s25, 0
	v_cmp_lt_u64_e32 vcc, s[4:5], v[2:3]
	s_cselect_b64 s[4:5], -1, 0
	s_or_b64 s[34:35], s[4:5], vcc
	s_lshl_b64 s[10:11], s[24:25], 1
	s_add_u32 s12, s12, s10
	s_addc_u32 s13, s13, s11
	s_mov_b64 s[4:5], -1
	s_and_b64 vcc, exec, s[34:35]
	v_lshlrev_b32_e32 v12, 1, v0
	s_cbranch_vccz .LBB273_2
; %bb.1:
	v_mov_b32_e32 v13, 0
	v_lshl_add_u64 v[2:3], s[12:13], 0, v[12:13]
	v_add_co_u32_e32 v4, vcc, 0x1000, v2
	s_mov_b64 s[4:5], 0
	s_nop 0
	v_addc_co_u32_e32 v5, vcc, 0, v3, vcc
	flat_load_ushort v1, v[2:3]
	flat_load_ushort v8, v[2:3] offset:1024
	flat_load_ushort v9, v[2:3] offset:2048
	flat_load_ushort v10, v[2:3] offset:3072
	flat_load_ushort v11, v[4:5]
	flat_load_ushort v13, v[4:5] offset:1024
	flat_load_ushort v14, v[4:5] offset:2048
	flat_load_ushort v15, v[4:5] offset:3072
	v_add_co_u32_e32 v4, vcc, 0x2000, v2
	s_nop 1
	v_addc_co_u32_e32 v5, vcc, 0, v3, vcc
	v_add_co_u32_e32 v6, vcc, 0x3000, v2
	s_nop 1
	v_addc_co_u32_e32 v7, vcc, 0, v3, vcc
	flat_load_ushort v16, v[4:5]
	flat_load_ushort v17, v[4:5] offset:1024
	flat_load_ushort v18, v[4:5] offset:2048
	flat_load_ushort v19, v[4:5] offset:3072
	flat_load_ushort v20, v[6:7]
	flat_load_ushort v21, v[6:7] offset:1024
	flat_load_ushort v22, v[6:7] offset:2048
	flat_load_ushort v23, v[6:7] offset:3072
	v_add_co_u32_e32 v4, vcc, 0x4000, v2
	s_nop 1
	v_addc_co_u32_e32 v5, vcc, 0, v3, vcc
	v_add_co_u32_e32 v6, vcc, 0x5000, v2
	;; [unrolled: 14-line block ×3, first 2 shown]
	s_nop 1
	v_addc_co_u32_e32 v3, vcc, 0, v3, vcc
	flat_load_ushort v6, v[4:5]
	flat_load_ushort v7, v[4:5] offset:1024
	flat_load_ushort v32, v[4:5] offset:2048
	;; [unrolled: 1-line block ×3, first 2 shown]
	flat_load_ushort v34, v[2:3]
	flat_load_ushort v35, v[2:3] offset:1024
	s_waitcnt vmcnt(0) lgkmcnt(0)
	ds_write_b16 v12, v1
	ds_write_b16 v12, v8 offset:1024
	ds_write_b16 v12, v9 offset:2048
	;; [unrolled: 1-line block ×29, first 2 shown]
	s_waitcnt lgkmcnt(0)
	s_barrier
.LBB273_2:
	s_andn2_b64 vcc, exec, s[4:5]
	v_cmp_gt_u32_e64 s[4:5], s33, v0
	s_cbranch_vccnz .LBB273_64
; %bb.3:
                                        ; implicit-def: $vgpr1
	s_and_saveexec_b64 s[14:15], s[4:5]
	s_cbranch_execz .LBB273_5
; %bb.4:
	v_mov_b32_e32 v13, 0
	v_lshl_add_u64 v[2:3], s[12:13], 0, v[12:13]
	flat_load_ushort v1, v[2:3]
.LBB273_5:
	s_or_b64 exec, exec, s[14:15]
	v_or_b32_e32 v2, 0x200, v0
	v_cmp_gt_u32_e32 vcc, s33, v2
                                        ; implicit-def: $vgpr2
	s_and_saveexec_b64 s[4:5], vcc
	s_cbranch_execz .LBB273_7
; %bb.6:
	v_mov_b32_e32 v13, 0
	v_lshl_add_u64 v[2:3], s[12:13], 0, v[12:13]
	flat_load_ushort v2, v[2:3] offset:1024
.LBB273_7:
	s_or_b64 exec, exec, s[4:5]
	v_or_b32_e32 v3, 0x400, v0
	v_cmp_gt_u32_e32 vcc, s33, v3
                                        ; implicit-def: $vgpr3
	s_and_saveexec_b64 s[4:5], vcc
	s_cbranch_execz .LBB273_9
; %bb.8:
	v_mov_b32_e32 v13, 0
	v_lshl_add_u64 v[4:5], s[12:13], 0, v[12:13]
	flat_load_ushort v3, v[4:5] offset:2048
.LBB273_9:
	s_or_b64 exec, exec, s[4:5]
	v_or_b32_e32 v4, 0x600, v0
	v_cmp_gt_u32_e32 vcc, s33, v4
                                        ; implicit-def: $vgpr4
	s_and_saveexec_b64 s[4:5], vcc
	s_cbranch_execz .LBB273_11
; %bb.10:
	v_mov_b32_e32 v13, 0
	v_lshl_add_u64 v[4:5], s[12:13], 0, v[12:13]
	flat_load_ushort v4, v[4:5] offset:3072
.LBB273_11:
	s_or_b64 exec, exec, s[4:5]
	v_or_b32_e32 v6, 0x800, v0
	v_cmp_gt_u32_e32 vcc, s33, v6
                                        ; implicit-def: $vgpr5
	s_and_saveexec_b64 s[4:5], vcc
	s_cbranch_execz .LBB273_13
; %bb.12:
	v_lshlrev_b32_e32 v6, 1, v6
	v_mov_b32_e32 v7, 0
	v_lshl_add_u64 v[6:7], s[12:13], 0, v[6:7]
	flat_load_ushort v5, v[6:7]
.LBB273_13:
	s_or_b64 exec, exec, s[4:5]
	v_or_b32_e32 v7, 0xa00, v0
	v_cmp_gt_u32_e32 vcc, s33, v7
                                        ; implicit-def: $vgpr6
	s_and_saveexec_b64 s[4:5], vcc
	s_cbranch_execz .LBB273_15
; %bb.14:
	v_lshlrev_b32_e32 v6, 1, v7
	v_mov_b32_e32 v7, 0
	v_lshl_add_u64 v[6:7], s[12:13], 0, v[6:7]
	flat_load_ushort v6, v[6:7]
.LBB273_15:
	s_or_b64 exec, exec, s[4:5]
	v_or_b32_e32 v8, 0xc00, v0
	v_cmp_gt_u32_e32 vcc, s33, v8
                                        ; implicit-def: $vgpr7
	s_and_saveexec_b64 s[4:5], vcc
	s_cbranch_execz .LBB273_17
; %bb.16:
	v_lshlrev_b32_e32 v8, 1, v8
	v_mov_b32_e32 v9, 0
	v_lshl_add_u64 v[8:9], s[12:13], 0, v[8:9]
	flat_load_ushort v7, v[8:9]
.LBB273_17:
	s_or_b64 exec, exec, s[4:5]
	v_or_b32_e32 v9, 0xe00, v0
	v_cmp_gt_u32_e32 vcc, s33, v9
                                        ; implicit-def: $vgpr8
	s_and_saveexec_b64 s[4:5], vcc
	s_cbranch_execz .LBB273_19
; %bb.18:
	v_lshlrev_b32_e32 v8, 1, v9
	v_mov_b32_e32 v9, 0
	v_lshl_add_u64 v[8:9], s[12:13], 0, v[8:9]
	flat_load_ushort v8, v[8:9]
.LBB273_19:
	s_or_b64 exec, exec, s[4:5]
	v_or_b32_e32 v10, 0x1000, v0
	v_cmp_gt_u32_e32 vcc, s33, v10
                                        ; implicit-def: $vgpr9
	s_and_saveexec_b64 s[4:5], vcc
	s_cbranch_execz .LBB273_21
; %bb.20:
	v_lshlrev_b32_e32 v10, 1, v10
	v_mov_b32_e32 v11, 0
	v_lshl_add_u64 v[10:11], s[12:13], 0, v[10:11]
	flat_load_ushort v9, v[10:11]
.LBB273_21:
	s_or_b64 exec, exec, s[4:5]
	v_or_b32_e32 v11, 0x1200, v0
	v_cmp_gt_u32_e32 vcc, s33, v11
                                        ; implicit-def: $vgpr10
	s_and_saveexec_b64 s[4:5], vcc
	s_cbranch_execz .LBB273_23
; %bb.22:
	v_lshlrev_b32_e32 v10, 1, v11
	v_mov_b32_e32 v11, 0
	v_lshl_add_u64 v[10:11], s[12:13], 0, v[10:11]
	flat_load_ushort v10, v[10:11]
.LBB273_23:
	s_or_b64 exec, exec, s[4:5]
	v_or_b32_e32 v13, 0x1400, v0
	v_cmp_gt_u32_e32 vcc, s33, v13
                                        ; implicit-def: $vgpr11
	s_and_saveexec_b64 s[4:5], vcc
	s_cbranch_execz .LBB273_25
; %bb.24:
	v_lshlrev_b32_e32 v14, 1, v13
	v_mov_b32_e32 v15, 0
	v_lshl_add_u64 v[14:15], s[12:13], 0, v[14:15]
	flat_load_ushort v11, v[14:15]
.LBB273_25:
	s_or_b64 exec, exec, s[4:5]
	v_or_b32_e32 v14, 0x1600, v0
	v_cmp_gt_u32_e32 vcc, s33, v14
                                        ; implicit-def: $vgpr13
	s_and_saveexec_b64 s[4:5], vcc
	s_cbranch_execz .LBB273_27
; %bb.26:
	v_lshlrev_b32_e32 v14, 1, v14
	v_mov_b32_e32 v15, 0
	v_lshl_add_u64 v[14:15], s[12:13], 0, v[14:15]
	flat_load_ushort v13, v[14:15]
.LBB273_27:
	s_or_b64 exec, exec, s[4:5]
	v_or_b32_e32 v15, 0x1800, v0
	v_cmp_gt_u32_e32 vcc, s33, v15
                                        ; implicit-def: $vgpr14
	s_and_saveexec_b64 s[4:5], vcc
	s_cbranch_execz .LBB273_29
; %bb.28:
	v_lshlrev_b32_e32 v14, 1, v15
	v_mov_b32_e32 v15, 0
	v_lshl_add_u64 v[14:15], s[12:13], 0, v[14:15]
	flat_load_ushort v14, v[14:15]
.LBB273_29:
	s_or_b64 exec, exec, s[4:5]
	v_or_b32_e32 v16, 0x1a00, v0
	v_cmp_gt_u32_e32 vcc, s33, v16
                                        ; implicit-def: $vgpr15
	s_and_saveexec_b64 s[4:5], vcc
	s_cbranch_execz .LBB273_31
; %bb.30:
	v_lshlrev_b32_e32 v16, 1, v16
	v_mov_b32_e32 v17, 0
	v_lshl_add_u64 v[16:17], s[12:13], 0, v[16:17]
	flat_load_ushort v15, v[16:17]
.LBB273_31:
	s_or_b64 exec, exec, s[4:5]
	v_or_b32_e32 v17, 0x1c00, v0
	v_cmp_gt_u32_e32 vcc, s33, v17
                                        ; implicit-def: $vgpr16
	s_and_saveexec_b64 s[4:5], vcc
	s_cbranch_execz .LBB273_33
; %bb.32:
	v_lshlrev_b32_e32 v16, 1, v17
	v_mov_b32_e32 v17, 0
	v_lshl_add_u64 v[16:17], s[12:13], 0, v[16:17]
	flat_load_ushort v16, v[16:17]
.LBB273_33:
	s_or_b64 exec, exec, s[4:5]
	v_or_b32_e32 v18, 0x1e00, v0
	v_cmp_gt_u32_e32 vcc, s33, v18
                                        ; implicit-def: $vgpr17
	s_and_saveexec_b64 s[4:5], vcc
	s_cbranch_execz .LBB273_35
; %bb.34:
	v_lshlrev_b32_e32 v18, 1, v18
	v_mov_b32_e32 v19, 0
	v_lshl_add_u64 v[18:19], s[12:13], 0, v[18:19]
	flat_load_ushort v17, v[18:19]
.LBB273_35:
	s_or_b64 exec, exec, s[4:5]
	v_or_b32_e32 v19, 0x2000, v0
	v_cmp_gt_u32_e32 vcc, s33, v19
                                        ; implicit-def: $vgpr18
	s_and_saveexec_b64 s[4:5], vcc
	s_cbranch_execz .LBB273_37
; %bb.36:
	v_lshlrev_b32_e32 v18, 1, v19
	v_mov_b32_e32 v19, 0
	v_lshl_add_u64 v[18:19], s[12:13], 0, v[18:19]
	flat_load_ushort v18, v[18:19]
.LBB273_37:
	s_or_b64 exec, exec, s[4:5]
	v_or_b32_e32 v20, 0x2200, v0
	v_cmp_gt_u32_e32 vcc, s33, v20
                                        ; implicit-def: $vgpr19
	s_and_saveexec_b64 s[4:5], vcc
	s_cbranch_execz .LBB273_39
; %bb.38:
	v_lshlrev_b32_e32 v20, 1, v20
	v_mov_b32_e32 v21, 0
	v_lshl_add_u64 v[20:21], s[12:13], 0, v[20:21]
	flat_load_ushort v19, v[20:21]
.LBB273_39:
	s_or_b64 exec, exec, s[4:5]
	v_or_b32_e32 v21, 0x2400, v0
	v_cmp_gt_u32_e32 vcc, s33, v21
                                        ; implicit-def: $vgpr20
	s_and_saveexec_b64 s[4:5], vcc
	s_cbranch_execz .LBB273_41
; %bb.40:
	v_lshlrev_b32_e32 v20, 1, v21
	v_mov_b32_e32 v21, 0
	v_lshl_add_u64 v[20:21], s[12:13], 0, v[20:21]
	flat_load_ushort v20, v[20:21]
.LBB273_41:
	s_or_b64 exec, exec, s[4:5]
	v_or_b32_e32 v22, 0x2600, v0
	v_cmp_gt_u32_e32 vcc, s33, v22
                                        ; implicit-def: $vgpr21
	s_and_saveexec_b64 s[4:5], vcc
	s_cbranch_execz .LBB273_43
; %bb.42:
	v_lshlrev_b32_e32 v22, 1, v22
	v_mov_b32_e32 v23, 0
	v_lshl_add_u64 v[22:23], s[12:13], 0, v[22:23]
	flat_load_ushort v21, v[22:23]
.LBB273_43:
	s_or_b64 exec, exec, s[4:5]
	v_or_b32_e32 v23, 0x2800, v0
	v_cmp_gt_u32_e32 vcc, s33, v23
                                        ; implicit-def: $vgpr22
	s_and_saveexec_b64 s[4:5], vcc
	s_cbranch_execz .LBB273_45
; %bb.44:
	v_lshlrev_b32_e32 v22, 1, v23
	v_mov_b32_e32 v23, 0
	v_lshl_add_u64 v[22:23], s[12:13], 0, v[22:23]
	flat_load_ushort v22, v[22:23]
.LBB273_45:
	s_or_b64 exec, exec, s[4:5]
	v_or_b32_e32 v24, 0x2a00, v0
	v_cmp_gt_u32_e32 vcc, s33, v24
                                        ; implicit-def: $vgpr23
	s_and_saveexec_b64 s[4:5], vcc
	s_cbranch_execz .LBB273_47
; %bb.46:
	v_lshlrev_b32_e32 v24, 1, v24
	v_mov_b32_e32 v25, 0
	v_lshl_add_u64 v[24:25], s[12:13], 0, v[24:25]
	flat_load_ushort v23, v[24:25]
.LBB273_47:
	s_or_b64 exec, exec, s[4:5]
	v_or_b32_e32 v25, 0x2c00, v0
	v_cmp_gt_u32_e32 vcc, s33, v25
                                        ; implicit-def: $vgpr24
	s_and_saveexec_b64 s[4:5], vcc
	s_cbranch_execz .LBB273_49
; %bb.48:
	v_lshlrev_b32_e32 v24, 1, v25
	v_mov_b32_e32 v25, 0
	v_lshl_add_u64 v[24:25], s[12:13], 0, v[24:25]
	flat_load_ushort v24, v[24:25]
.LBB273_49:
	s_or_b64 exec, exec, s[4:5]
	v_or_b32_e32 v26, 0x2e00, v0
	v_cmp_gt_u32_e32 vcc, s33, v26
                                        ; implicit-def: $vgpr25
	s_and_saveexec_b64 s[4:5], vcc
	s_cbranch_execz .LBB273_51
; %bb.50:
	v_lshlrev_b32_e32 v26, 1, v26
	v_mov_b32_e32 v27, 0
	v_lshl_add_u64 v[26:27], s[12:13], 0, v[26:27]
	flat_load_ushort v25, v[26:27]
.LBB273_51:
	s_or_b64 exec, exec, s[4:5]
	v_or_b32_e32 v27, 0x3000, v0
	v_cmp_gt_u32_e32 vcc, s33, v27
                                        ; implicit-def: $vgpr26
	s_and_saveexec_b64 s[4:5], vcc
	s_cbranch_execz .LBB273_53
; %bb.52:
	v_lshlrev_b32_e32 v26, 1, v27
	v_mov_b32_e32 v27, 0
	v_lshl_add_u64 v[26:27], s[12:13], 0, v[26:27]
	flat_load_ushort v26, v[26:27]
.LBB273_53:
	s_or_b64 exec, exec, s[4:5]
	v_or_b32_e32 v28, 0x3200, v0
	v_cmp_gt_u32_e32 vcc, s33, v28
                                        ; implicit-def: $vgpr27
	s_and_saveexec_b64 s[4:5], vcc
	s_cbranch_execz .LBB273_55
; %bb.54:
	v_lshlrev_b32_e32 v28, 1, v28
	v_mov_b32_e32 v29, 0
	v_lshl_add_u64 v[28:29], s[12:13], 0, v[28:29]
	flat_load_ushort v27, v[28:29]
.LBB273_55:
	s_or_b64 exec, exec, s[4:5]
	v_or_b32_e32 v29, 0x3400, v0
	v_cmp_gt_u32_e32 vcc, s33, v29
                                        ; implicit-def: $vgpr28
	s_and_saveexec_b64 s[4:5], vcc
	s_cbranch_execz .LBB273_57
; %bb.56:
	v_lshlrev_b32_e32 v28, 1, v29
	v_mov_b32_e32 v29, 0
	v_lshl_add_u64 v[28:29], s[12:13], 0, v[28:29]
	flat_load_ushort v28, v[28:29]
.LBB273_57:
	s_or_b64 exec, exec, s[4:5]
	v_or_b32_e32 v30, 0x3600, v0
	v_cmp_gt_u32_e32 vcc, s33, v30
                                        ; implicit-def: $vgpr29
	s_and_saveexec_b64 s[4:5], vcc
	s_cbranch_execz .LBB273_59
; %bb.58:
	v_lshlrev_b32_e32 v30, 1, v30
	v_mov_b32_e32 v31, 0
	v_lshl_add_u64 v[30:31], s[12:13], 0, v[30:31]
	flat_load_ushort v29, v[30:31]
.LBB273_59:
	s_or_b64 exec, exec, s[4:5]
	v_or_b32_e32 v31, 0x3800, v0
	v_cmp_gt_u32_e32 vcc, s33, v31
                                        ; implicit-def: $vgpr30
	s_and_saveexec_b64 s[4:5], vcc
	s_cbranch_execz .LBB273_61
; %bb.60:
	v_lshlrev_b32_e32 v30, 1, v31
	v_mov_b32_e32 v31, 0
	v_lshl_add_u64 v[30:31], s[12:13], 0, v[30:31]
	flat_load_ushort v30, v[30:31]
.LBB273_61:
	s_or_b64 exec, exec, s[4:5]
	v_or_b32_e32 v32, 0x3a00, v0
	v_cmp_gt_u32_e32 vcc, s33, v32
                                        ; implicit-def: $vgpr31
	s_and_saveexec_b64 s[4:5], vcc
	s_cbranch_execz .LBB273_63
; %bb.62:
	v_lshlrev_b32_e32 v32, 1, v32
	v_mov_b32_e32 v33, 0
	v_lshl_add_u64 v[32:33], s[12:13], 0, v[32:33]
	flat_load_ushort v31, v[32:33]
.LBB273_63:
	s_or_b64 exec, exec, s[4:5]
	s_waitcnt vmcnt(0) lgkmcnt(0)
	ds_write_b16 v12, v1
	ds_write_b16 v12, v2 offset:1024
	ds_write_b16 v12, v3 offset:2048
	;; [unrolled: 1-line block ×29, first 2 shown]
	s_waitcnt lgkmcnt(0)
	s_barrier
.LBB273_64:
	v_mul_u32_u24_e32 v9, 30, v0
	v_lshlrev_b32_e32 v2, 1, v9
	s_waitcnt lgkmcnt(0)
	ds_read2_b32 v[26:27], v2 offset1:1
	ds_read2_b32 v[24:25], v2 offset0:2 offset1:3
	ds_read2_b32 v[22:23], v2 offset0:4 offset1:5
	;; [unrolled: 1-line block ×3, first 2 shown]
	ds_read_b32 v1, v2 offset:56
	ds_read2_b32 v[14:15], v2 offset0:12 offset1:13
	ds_read2_b32 v[16:17], v2 offset0:10 offset1:11
	;; [unrolled: 1-line block ×3, first 2 shown]
	s_add_u32 s3, s6, s8
	s_addc_u32 s5, s7, s9
	s_add_u32 s4, s3, s10
	s_addc_u32 s5, s5, s11
	s_mov_b64 s[6:7], -1
	s_and_b64 vcc, exec, s[34:35]
	s_waitcnt lgkmcnt(0)
	s_barrier
	s_cbranch_vccz .LBB273_66
; %bb.65:
	v_mov_b32_e32 v13, 0
	v_lshl_add_u64 v[2:3], s[4:5], 0, v[12:13]
	s_movk_i32 s3, 0x1000
	v_add_co_u32_e32 v4, vcc, s3, v2
	s_movk_i32 s3, 0x2000
	s_nop 0
	v_addc_co_u32_e32 v5, vcc, 0, v3, vcc
	v_add_co_u32_e32 v6, vcc, s3, v2
	s_movk_i32 s3, 0x3000
	s_nop 0
	v_addc_co_u32_e32 v7, vcc, 0, v3, vcc
	global_load_ubyte v8, v12, s[4:5]
	global_load_ubyte v13, v12, s[4:5] offset:1024
	global_load_ubyte v28, v12, s[4:5] offset:2048
	;; [unrolled: 1-line block ×3, first 2 shown]
	global_load_ubyte v30, v[6:7], off offset:-4096
	global_load_ubyte v31, v[4:5], off offset:1024
	global_load_ubyte v32, v[4:5], off offset:2048
	;; [unrolled: 1-line block ×3, first 2 shown]
	global_load_ubyte v34, v[6:7], off
	global_load_ubyte v35, v[6:7], off offset:1024
	global_load_ubyte v36, v[6:7], off offset:2048
	v_add_co_u32_e32 v4, vcc, s3, v2
	s_movk_i32 s3, 0x4000
	s_nop 0
	v_addc_co_u32_e32 v5, vcc, 0, v3, vcc
	v_add_co_u32_e32 v10, vcc, s3, v2
	s_movk_i32 s6, 0x6000
	s_nop 0
	v_addc_co_u32_e32 v11, vcc, 0, v3, vcc
	global_load_ubyte v37, v[6:7], off offset:3072
	global_load_ubyte v38, v[10:11], off offset:-4096
	global_load_ubyte v39, v[4:5], off offset:1024
	global_load_ubyte v40, v[4:5], off offset:2048
	;; [unrolled: 1-line block ×3, first 2 shown]
	global_load_ubyte v42, v[10:11], off
	global_load_ubyte v43, v[10:11], off offset:1024
	global_load_ubyte v44, v[10:11], off offset:2048
	v_add_co_u32_e32 v4, vcc, s6, v2
	s_movk_i32 s3, 0x5000
	s_nop 0
	v_addc_co_u32_e32 v5, vcc, 0, v3, vcc
	v_add_co_u32_e32 v6, vcc, s3, v2
	s_movk_i32 s3, 0x7000
	s_nop 0
	v_addc_co_u32_e32 v7, vcc, 0, v3, vcc
	v_add_co_u32_e32 v2, vcc, s3, v2
	global_load_ubyte v45, v[10:11], off offset:3072
	global_load_ubyte v46, v[4:5], off offset:-4096
	v_addc_co_u32_e32 v3, vcc, 0, v3, vcc
	global_load_ubyte v10, v[6:7], off offset:1024
	global_load_ubyte v11, v[6:7], off offset:2048
	;; [unrolled: 1-line block ×3, first 2 shown]
	global_load_ubyte v48, v[4:5], off
	global_load_ubyte v49, v[4:5], off offset:1024
	global_load_ubyte v50, v[4:5], off offset:2048
	;; [unrolled: 1-line block ×3, first 2 shown]
	s_nop 0
	global_load_ubyte v4, v[2:3], off
	global_load_ubyte v5, v[2:3], off offset:1024
	s_mov_b64 s[6:7], 0
	s_waitcnt vmcnt(29)
	v_xor_b32_e32 v2, -1, v8
	s_waitcnt vmcnt(28)
	v_xor_b32_e32 v3, -1, v13
	;; [unrolled: 2-line block ×4, first 2 shown]
	v_and_b32_e32 v2, 1, v2
	s_waitcnt vmcnt(24)
	v_xor_b32_e32 v8, -1, v31
	s_waitcnt vmcnt(23)
	v_xor_b32_e32 v13, -1, v32
	;; [unrolled: 2-line block ×3, first 2 shown]
	v_xor_b32_e32 v29, -1, v30
	s_waitcnt vmcnt(21)
	v_xor_b32_e32 v30, -1, v34
	s_waitcnt vmcnt(20)
	;; [unrolled: 2-line block ×11, first 2 shown]
	v_xor_b32_e32 v40, -1, v44
	v_and_b32_e32 v3, 1, v3
	v_and_b32_e32 v6, 1, v6
	;; [unrolled: 1-line block ×5, first 2 shown]
	s_waitcnt vmcnt(8)
	v_xor_b32_e32 v10, -1, v10
	s_waitcnt vmcnt(7)
	v_xor_b32_e32 v11, -1, v11
	v_xor_b32_e32 v41, -1, v45
	;; [unrolled: 1-line block ×3, first 2 shown]
	s_waitcnt vmcnt(6)
	v_xor_b32_e32 v43, -1, v47
	s_waitcnt vmcnt(5)
	v_xor_b32_e32 v44, -1, v48
	;; [unrolled: 2-line block ×7, first 2 shown]
	v_and_b32_e32 v28, 1, v28
	v_and_b32_e32 v29, 1, v29
	v_and_b32_e32 v30, 1, v30
	v_and_b32_e32 v31, 1, v31
	v_and_b32_e32 v32, 1, v32
	v_and_b32_e32 v33, 1, v33
	v_and_b32_e32 v34, 1, v34
	v_and_b32_e32 v35, 1, v35
	v_and_b32_e32 v36, 1, v36
	v_and_b32_e32 v37, 1, v37
	v_and_b32_e32 v38, 1, v38
	v_and_b32_e32 v39, 1, v39
	v_and_b32_e32 v40, 1, v40
	v_and_b32_e32 v41, 1, v41
	v_and_b32_e32 v42, 1, v42
	v_and_b32_e32 v10, 1, v10
	v_and_b32_e32 v11, 1, v11
	v_and_b32_e32 v43, 1, v43
	v_and_b32_e32 v44, 1, v44
	v_and_b32_e32 v45, 1, v45
	v_and_b32_e32 v46, 1, v46
	v_and_b32_e32 v47, 1, v47
	v_and_b32_e32 v4, 1, v4
	v_and_b32_e32 v5, 1, v5
	ds_write_b8 v0, v2
	ds_write_b8 v0, v3 offset:512
	ds_write_b8 v0, v6 offset:1024
	ds_write_b8 v0, v7 offset:1536
	ds_write_b8 v0, v29 offset:2048
	ds_write_b8 v0, v8 offset:2560
	ds_write_b8 v0, v13 offset:3072
	ds_write_b8 v0, v28 offset:3584
	ds_write_b8 v0, v30 offset:4096
	ds_write_b8 v0, v31 offset:4608
	ds_write_b8 v0, v32 offset:5120
	ds_write_b8 v0, v33 offset:5632
	ds_write_b8 v0, v34 offset:6144
	ds_write_b8 v0, v35 offset:6656
	ds_write_b8 v0, v36 offset:7168
	ds_write_b8 v0, v37 offset:7680
	ds_write_b8 v0, v38 offset:8192
	ds_write_b8 v0, v39 offset:8704
	ds_write_b8 v0, v40 offset:9216
	ds_write_b8 v0, v41 offset:9728
	ds_write_b8 v0, v42 offset:10240
	ds_write_b8 v0, v10 offset:10752
	ds_write_b8 v0, v11 offset:11264
	ds_write_b8 v0, v43 offset:11776
	ds_write_b8 v0, v44 offset:12288
	ds_write_b8 v0, v45 offset:12800
	ds_write_b8 v0, v46 offset:13312
	ds_write_b8 v0, v47 offset:13824
	ds_write_b8 v0, v4 offset:14336
	ds_write_b8 v0, v5 offset:14848
	s_waitcnt lgkmcnt(0)
	s_barrier
.LBB273_66:
	s_load_dwordx2 s[36:37], s[0:1], 0x70
	s_andn2_b64 vcc, exec, s[6:7]
	s_cbranch_vccnz .LBB273_128
; %bb.67:
	v_cmp_gt_u32_e32 vcc, s33, v0
	v_mov_b32_e32 v2, 0
	v_mov_b32_e32 v3, 0
	s_and_saveexec_b64 s[6:7], vcc
	s_cbranch_execz .LBB273_69
; %bb.68:
	global_load_ubyte v3, v12, s[4:5]
	s_waitcnt vmcnt(0)
	v_xor_b32_e32 v3, -1, v3
	v_and_b32_e32 v3, 1, v3
.LBB273_69:
	s_or_b64 exec, exec, s[6:7]
	v_or_b32_e32 v4, 0x200, v0
	v_cmp_gt_u32_e32 vcc, s33, v4
	s_and_saveexec_b64 s[6:7], vcc
	s_cbranch_execz .LBB273_71
; %bb.70:
	global_load_ubyte v2, v12, s[4:5] offset:1024
	s_waitcnt vmcnt(0)
	v_xor_b32_e32 v2, -1, v2
	v_and_b32_e32 v2, 1, v2
.LBB273_71:
	s_or_b64 exec, exec, s[6:7]
	v_or_b32_e32 v4, 0x400, v0
	v_cmp_gt_u32_e32 vcc, s33, v4
	v_mov_b32_e32 v4, 0
	v_mov_b32_e32 v5, 0
	s_and_saveexec_b64 s[6:7], vcc
	s_cbranch_execz .LBB273_73
; %bb.72:
	global_load_ubyte v5, v12, s[4:5] offset:2048
	s_waitcnt vmcnt(0)
	v_xor_b32_e32 v5, -1, v5
	v_and_b32_e32 v5, 1, v5
.LBB273_73:
	s_or_b64 exec, exec, s[6:7]
	v_or_b32_e32 v6, 0x600, v0
	v_cmp_gt_u32_e32 vcc, s33, v6
	s_and_saveexec_b64 s[6:7], vcc
	s_cbranch_execz .LBB273_75
; %bb.74:
	global_load_ubyte v4, v12, s[4:5] offset:3072
	s_waitcnt vmcnt(0)
	v_xor_b32_e32 v4, -1, v4
	v_and_b32_e32 v4, 1, v4
.LBB273_75:
	s_or_b64 exec, exec, s[6:7]
	v_or_b32_e32 v8, 0x800, v0
	v_cmp_gt_u32_e32 vcc, s33, v8
	v_mov_b32_e32 v6, 0
	v_mov_b32_e32 v7, 0
	s_and_saveexec_b64 s[6:7], vcc
	s_cbranch_execz .LBB273_77
; %bb.76:
	v_lshlrev_b32_e32 v7, 1, v8
	global_load_ubyte v7, v7, s[4:5]
	s_waitcnt vmcnt(0)
	v_xor_b32_e32 v7, -1, v7
	v_and_b32_e32 v7, 1, v7
.LBB273_77:
	s_or_b64 exec, exec, s[6:7]
	v_or_b32_e32 v8, 0xa00, v0
	v_cmp_gt_u32_e32 vcc, s33, v8
	s_and_saveexec_b64 s[6:7], vcc
	s_cbranch_execz .LBB273_79
; %bb.78:
	v_lshlrev_b32_e32 v6, 1, v8
	global_load_ubyte v6, v6, s[4:5]
	s_waitcnt vmcnt(0)
	v_xor_b32_e32 v6, -1, v6
	v_and_b32_e32 v6, 1, v6
.LBB273_79:
	s_or_b64 exec, exec, s[6:7]
	v_or_b32_e32 v11, 0xc00, v0
	v_cmp_gt_u32_e32 vcc, s33, v11
	v_mov_b32_e32 v8, 0
	v_mov_b32_e32 v10, 0
	s_and_saveexec_b64 s[6:7], vcc
	s_cbranch_execz .LBB273_81
; %bb.80:
	v_lshlrev_b32_e32 v10, 1, v11
	global_load_ubyte v10, v10, s[4:5]
	s_waitcnt vmcnt(0)
	v_xor_b32_e32 v10, -1, v10
	v_and_b32_e32 v10, 1, v10
.LBB273_81:
	s_or_b64 exec, exec, s[6:7]
	v_or_b32_e32 v11, 0xe00, v0
	v_cmp_gt_u32_e32 vcc, s33, v11
	s_and_saveexec_b64 s[6:7], vcc
	s_cbranch_execz .LBB273_83
; %bb.82:
	v_lshlrev_b32_e32 v8, 1, v11
	global_load_ubyte v8, v8, s[4:5]
	s_waitcnt vmcnt(0)
	v_xor_b32_e32 v8, -1, v8
	v_and_b32_e32 v8, 1, v8
.LBB273_83:
	;; [unrolled: 26-line block ×13, first 2 shown]
	s_or_b64 exec, exec, s[6:7]
	ds_write_b8 v0, v3
	ds_write_b8 v0, v2 offset:512
	ds_write_b8 v0, v5 offset:1024
	;; [unrolled: 1-line block ×29, first 2 shown]
	s_waitcnt lgkmcnt(0)
	s_barrier
.LBB273_128:
	s_waitcnt lgkmcnt(0)
	ds_read_b128 v[2:5], v9
	ds_read_b96 v[6:8], v9 offset:16
	ds_read_u16 v36, v9 offset:28
	s_cmp_lg_u32 s2, 0
	v_lshrrev_b32_e32 v65, 6, v0
	s_waitcnt lgkmcnt(0)
	v_lshrrev_b32_e32 v44, 24, v2
	v_bfe_u32 v63, v2, 16, 8
	v_add_u32_sdwa v10, v2, v2 dst_sel:DWORD dst_unused:UNUSED_PAD src0_sel:BYTE_1 src1_sel:BYTE_0
	v_and_b32_e32 v60, 0xff, v3
	v_bfe_u32 v61, v3, 8, 8
	v_add3_u32 v10, v10, v63, v44
	v_lshrrev_b32_e32 v43, 24, v3
	v_bfe_u32 v62, v3, 16, 8
	v_add3_u32 v10, v10, v60, v61
	v_and_b32_e32 v57, 0xff, v4
	v_bfe_u32 v58, v4, 8, 8
	v_add3_u32 v10, v10, v62, v43
	v_lshrrev_b32_e32 v42, 24, v4
	v_bfe_u32 v59, v4, 16, 8
	v_add3_u32 v10, v10, v57, v58
	;; [unrolled: 6-line block ×6, first 2 shown]
	v_lshrrev_b16_e32 v13, 8, v36
	v_and_b32_e32 v38, 0xff, v36
	v_add3_u32 v10, v10, v47, v37
	v_add3_u32 v66, v10, v38, v13
	v_mbcnt_lo_u32_b32 v10, -1, 0
	v_mbcnt_hi_u32_b32 v64, -1, v10
	v_and_b32_e32 v10, 15, v64
	v_cmp_eq_u32_e64 s[14:15], 0, v10
	v_cmp_lt_u32_e64 s[12:13], 1, v10
	v_cmp_lt_u32_e64 s[10:11], 3, v10
	;; [unrolled: 1-line block ×3, first 2 shown]
	v_and_b32_e32 v10, 16, v64
	v_cmp_eq_u32_e64 s[6:7], 0, v10
	v_or_b32_e32 v10, 63, v0
	v_cmp_lt_u32_e64 s[18:19], 31, v64
	v_cmp_eq_u32_e64 s[4:5], v10, v0
	s_barrier
	s_cbranch_scc0 .LBB273_159
; %bb.129:
	v_mov_b32_dpp v10, v66 row_shr:1 row_mask:0xf bank_mask:0xf
	v_cndmask_b32_e64 v10, v10, 0, s[14:15]
	v_add_u32_e32 v10, v10, v66
	s_nop 1
	v_mov_b32_dpp v11, v10 row_shr:2 row_mask:0xf bank_mask:0xf
	v_cndmask_b32_e64 v11, 0, v11, s[12:13]
	v_add_u32_e32 v10, v10, v11
	s_nop 1
	;; [unrolled: 4-line block ×4, first 2 shown]
	v_mov_b32_dpp v11, v10 row_bcast:15 row_mask:0xf bank_mask:0xf
	v_cndmask_b32_e64 v11, v11, 0, s[6:7]
	v_add_u32_e32 v10, v10, v11
	s_nop 1
	v_mov_b32_dpp v11, v10 row_bcast:31 row_mask:0xf bank_mask:0xf
	v_cndmask_b32_e64 v11, 0, v11, s[18:19]
	v_add_u32_e32 v10, v10, v11
	s_and_saveexec_b64 s[16:17], s[4:5]
	s_cbranch_execz .LBB273_131
; %bb.130:
	v_lshlrev_b32_e32 v11, 2, v65
	ds_write_b32 v11, v10
.LBB273_131:
	s_or_b64 exec, exec, s[16:17]
	v_cmp_gt_u32_e32 vcc, 8, v0
	s_waitcnt lgkmcnt(0)
	s_barrier
	s_and_saveexec_b64 s[16:17], vcc
	s_cbranch_execz .LBB273_133
; %bb.132:
	v_lshlrev_b32_e32 v11, 2, v0
	ds_read_b32 v28, v11
	v_and_b32_e32 v29, 7, v64
	v_cmp_ne_u32_e32 vcc, 0, v29
	s_waitcnt lgkmcnt(0)
	v_mov_b32_dpp v30, v28 row_shr:1 row_mask:0xf bank_mask:0xf
	v_cndmask_b32_e32 v30, 0, v30, vcc
	v_add_u32_e32 v28, v30, v28
	v_cmp_lt_u32_e32 vcc, 1, v29
	s_nop 0
	v_mov_b32_dpp v30, v28 row_shr:2 row_mask:0xf bank_mask:0xf
	v_cndmask_b32_e32 v30, 0, v30, vcc
	v_add_u32_e32 v28, v28, v30
	v_cmp_lt_u32_e32 vcc, 3, v29
	s_nop 0
	v_mov_b32_dpp v30, v28 row_shr:4 row_mask:0xf bank_mask:0xf
	v_cndmask_b32_e32 v29, 0, v30, vcc
	v_add_u32_e32 v28, v28, v29
	ds_write_b32 v11, v28
.LBB273_133:
	s_or_b64 exec, exec, s[16:17]
	v_cmp_gt_u32_e32 vcc, 64, v0
	v_cmp_lt_u32_e64 s[16:17], 63, v0
	s_waitcnt lgkmcnt(0)
	s_barrier
	s_waitcnt lgkmcnt(0)
                                        ; implicit-def: $vgpr67
	s_and_saveexec_b64 s[38:39], s[16:17]
	s_cbranch_execz .LBB273_135
; %bb.134:
	v_lshl_add_u32 v11, v65, 2, -4
	ds_read_b32 v67, v11
	s_waitcnt lgkmcnt(0)
	v_add_u32_e32 v10, v67, v10
.LBB273_135:
	s_or_b64 exec, exec, s[38:39]
	v_add_u32_e32 v11, -1, v64
	v_and_b32_e32 v28, 64, v64
	v_cmp_lt_i32_e64 s[16:17], v11, v28
	s_nop 1
	v_cndmask_b32_e64 v11, v11, v64, s[16:17]
	v_lshlrev_b32_e32 v11, 2, v11
	ds_bpermute_b32 v68, v11, v10
	v_cmp_eq_u32_e64 s[16:17], 0, v64
	s_and_saveexec_b64 s[38:39], vcc
	s_cbranch_execz .LBB273_158
; %bb.136:
	v_mov_b32_e32 v35, 0
	ds_read_b32 v10, v35 offset:28
	s_and_saveexec_b64 s[40:41], s[16:17]
	s_cbranch_execz .LBB273_138
; %bb.137:
	s_add_i32 s42, s2, 64
	s_mov_b32 s43, 0
	s_lshl_b64 s[42:43], s[42:43], 3
	s_add_u32 s42, s36, s42
	v_mov_b32_e32 v11, 1
	s_addc_u32 s43, s37, s43
	s_waitcnt lgkmcnt(0)
	global_store_dwordx2 v35, v[10:11], s[42:43] sc1
.LBB273_138:
	s_or_b64 exec, exec, s[40:41]
	v_xad_u32 v28, v64, -1, s2
	v_add_u32_e32 v34, 64, v28
	v_lshl_add_u64 v[30:31], v[34:35], 3, s[36:37]
	global_load_dwordx2 v[32:33], v[30:31], off sc1
	s_waitcnt vmcnt(0)
	v_cmp_eq_u16_sdwa s[42:43], v33, v35 src0_sel:BYTE_0 src1_sel:DWORD
	s_and_saveexec_b64 s[40:41], s[42:43]
	s_cbranch_execz .LBB273_144
; %bb.139:
	s_mov_b32 s3, 1
	s_mov_b64 s[42:43], 0
	v_mov_b32_e32 v11, 0
.LBB273_140:                            ; =>This Loop Header: Depth=1
                                        ;     Child Loop BB273_141 Depth 2
	s_max_u32 s25, s3, 1
.LBB273_141:                            ;   Parent Loop BB273_140 Depth=1
                                        ; =>  This Inner Loop Header: Depth=2
	s_add_i32 s25, s25, -1
	s_cmp_eq_u32 s25, 0
	s_sleep 1
	s_cbranch_scc0 .LBB273_141
; %bb.142:                              ;   in Loop: Header=BB273_140 Depth=1
	global_load_dwordx2 v[32:33], v[30:31], off sc1
	s_cmp_lt_u32 s3, 32
	s_cselect_b64 s[44:45], -1, 0
	s_cmp_lg_u64 s[44:45], 0
	s_addc_u32 s3, s3, 0
	s_waitcnt vmcnt(0)
	v_cmp_ne_u16_sdwa s[44:45], v33, v11 src0_sel:BYTE_0 src1_sel:DWORD
	s_or_b64 s[42:43], s[44:45], s[42:43]
	s_andn2_b64 exec, exec, s[42:43]
	s_cbranch_execnz .LBB273_140
; %bb.143:
	s_or_b64 exec, exec, s[42:43]
.LBB273_144:
	s_or_b64 exec, exec, s[40:41]
	v_and_b32_e32 v70, 63, v64
	v_mov_b32_e32 v69, 2
	v_cmp_ne_u32_e32 vcc, 63, v70
	v_cmp_eq_u16_sdwa s[40:41], v33, v69 src0_sel:BYTE_0 src1_sel:DWORD
	v_lshlrev_b64 v[30:31], v64, -1
	v_addc_co_u32_e32 v34, vcc, 0, v64, vcc
	v_and_b32_e32 v11, s41, v31
	v_lshlrev_b32_e32 v71, 2, v34
	v_or_b32_e32 v11, 0x80000000, v11
	ds_bpermute_b32 v34, v71, v32
	v_and_b32_e32 v29, s40, v30
	v_ffbl_b32_e32 v11, v11
	v_add_u32_e32 v11, 32, v11
	v_ffbl_b32_e32 v29, v29
	v_min_u32_e32 v11, v29, v11
	v_cmp_lt_u32_e32 vcc, v70, v11
	v_add_u32_e32 v73, 2, v70
	v_add_u32_e32 v75, 4, v70
	s_waitcnt lgkmcnt(0)
	v_cndmask_b32_e32 v29, 0, v34, vcc
	v_cmp_gt_u32_e32 vcc, 62, v70
	v_add_u32_e32 v29, v29, v32
	v_add_u32_e32 v77, 8, v70
	v_cndmask_b32_e64 v32, 0, 1, vcc
	v_lshlrev_b32_e32 v32, 1, v32
	v_add_lshl_u32 v72, v32, v64, 2
	ds_bpermute_b32 v32, v72, v29
	v_cmp_le_u32_e32 vcc, v73, v11
	v_add_u32_e32 v79, 16, v70
	v_add_u32_e32 v81, 32, v70
	s_waitcnt lgkmcnt(0)
	v_cndmask_b32_e32 v32, 0, v32, vcc
	v_cmp_gt_u32_e32 vcc, 60, v70
	v_add_u32_e32 v29, v29, v32
	s_nop 0
	v_cndmask_b32_e64 v32, 0, 1, vcc
	v_lshlrev_b32_e32 v32, 2, v32
	v_add_lshl_u32 v74, v32, v64, 2
	ds_bpermute_b32 v32, v74, v29
	v_cmp_le_u32_e32 vcc, v75, v11
	s_waitcnt lgkmcnt(0)
	s_nop 0
	v_cndmask_b32_e32 v32, 0, v32, vcc
	v_cmp_gt_u32_e32 vcc, 56, v70
	v_add_u32_e32 v29, v29, v32
	s_nop 0
	v_cndmask_b32_e64 v32, 0, 1, vcc
	v_lshlrev_b32_e32 v32, 3, v32
	v_add_lshl_u32 v76, v32, v64, 2
	ds_bpermute_b32 v32, v76, v29
	v_cmp_le_u32_e32 vcc, v77, v11
	s_waitcnt lgkmcnt(0)
	s_nop 0
	;; [unrolled: 11-line block ×4, first 2 shown]
	v_cndmask_b32_e32 v11, 0, v32, vcc
	v_add_u32_e32 v32, v29, v11
	v_mov_b32_e32 v29, 0
	s_branch .LBB273_146
.LBB273_145:                            ;   in Loop: Header=BB273_146 Depth=1
	s_or_b64 exec, exec, s[40:41]
	v_cmp_eq_u16_sdwa s[40:41], v33, v69 src0_sel:BYTE_0 src1_sel:DWORD
	ds_bpermute_b32 v82, v71, v32
	v_subrev_u32_e32 v28, 64, v28
	v_and_b32_e32 v34, s41, v31
	v_or_b32_e32 v34, 0x80000000, v34
	v_and_b32_e32 v35, s40, v30
	v_ffbl_b32_e32 v34, v34
	v_add_u32_e32 v34, 32, v34
	v_ffbl_b32_e32 v35, v35
	v_min_u32_e32 v34, v35, v34
	v_cmp_lt_u32_e32 vcc, v70, v34
	s_waitcnt lgkmcnt(0)
	s_nop 0
	v_cndmask_b32_e32 v35, 0, v82, vcc
	v_add_u32_e32 v32, v35, v32
	ds_bpermute_b32 v35, v72, v32
	v_cmp_le_u32_e32 vcc, v73, v34
	s_waitcnt lgkmcnt(0)
	s_nop 0
	v_cndmask_b32_e32 v35, 0, v35, vcc
	v_add_u32_e32 v32, v32, v35
	ds_bpermute_b32 v35, v74, v32
	v_cmp_le_u32_e32 vcc, v75, v34
	;; [unrolled: 6-line block ×5, first 2 shown]
	s_waitcnt lgkmcnt(0)
	s_nop 0
	v_cndmask_b32_e32 v34, 0, v35, vcc
	v_add3_u32 v32, v34, v11, v32
.LBB273_146:                            ; =>This Loop Header: Depth=1
                                        ;     Child Loop BB273_149 Depth 2
                                        ;       Child Loop BB273_150 Depth 3
	v_cmp_ne_u16_sdwa s[40:41], v33, v69 src0_sel:BYTE_0 src1_sel:DWORD
	s_nop 1
	v_cndmask_b32_e64 v11, 0, 1, s[40:41]
	;;#ASMSTART
	;;#ASMEND
	s_nop 0
	v_cmp_ne_u32_e32 vcc, 0, v11
	s_cmp_lg_u64 vcc, exec
	v_mov_b32_e32 v11, v32
	s_cbranch_scc1 .LBB273_153
; %bb.147:                              ;   in Loop: Header=BB273_146 Depth=1
	v_lshl_add_u64 v[34:35], v[28:29], 3, s[36:37]
	global_load_dwordx2 v[32:33], v[34:35], off sc1
	s_waitcnt vmcnt(0)
	v_cmp_eq_u16_sdwa s[42:43], v33, v29 src0_sel:BYTE_0 src1_sel:DWORD
	s_and_saveexec_b64 s[40:41], s[42:43]
	s_cbranch_execz .LBB273_145
; %bb.148:                              ;   in Loop: Header=BB273_146 Depth=1
	s_mov_b32 s3, 1
	s_mov_b64 s[42:43], 0
.LBB273_149:                            ;   Parent Loop BB273_146 Depth=1
                                        ; =>  This Loop Header: Depth=2
                                        ;       Child Loop BB273_150 Depth 3
	s_max_u32 s25, s3, 1
.LBB273_150:                            ;   Parent Loop BB273_146 Depth=1
                                        ;     Parent Loop BB273_149 Depth=2
                                        ; =>    This Inner Loop Header: Depth=3
	s_add_i32 s25, s25, -1
	s_cmp_eq_u32 s25, 0
	s_sleep 1
	s_cbranch_scc0 .LBB273_150
; %bb.151:                              ;   in Loop: Header=BB273_149 Depth=2
	global_load_dwordx2 v[32:33], v[34:35], off sc1
	s_cmp_lt_u32 s3, 32
	s_cselect_b64 s[44:45], -1, 0
	s_cmp_lg_u64 s[44:45], 0
	s_addc_u32 s3, s3, 0
	s_waitcnt vmcnt(0)
	v_cmp_ne_u16_sdwa s[44:45], v33, v29 src0_sel:BYTE_0 src1_sel:DWORD
	s_or_b64 s[42:43], s[44:45], s[42:43]
	s_andn2_b64 exec, exec, s[42:43]
	s_cbranch_execnz .LBB273_149
; %bb.152:                              ;   in Loop: Header=BB273_146 Depth=1
	s_or_b64 exec, exec, s[42:43]
	s_branch .LBB273_145
.LBB273_153:                            ;   in Loop: Header=BB273_146 Depth=1
                                        ; implicit-def: $vgpr32
                                        ; implicit-def: $vgpr33
	s_cbranch_execz .LBB273_146
; %bb.154:
	s_and_saveexec_b64 s[40:41], s[16:17]
	s_cbranch_execz .LBB273_156
; %bb.155:
	s_add_i32 s2, s2, 64
	s_mov_b32 s3, 0
	s_lshl_b64 s[2:3], s[2:3], 3
	s_add_u32 s2, s36, s2
	v_add_u32_e32 v28, v11, v10
	v_mov_b32_e32 v29, 2
	s_addc_u32 s3, s37, s3
	v_mov_b32_e32 v30, 0
	global_store_dwordx2 v30, v[28:29], s[2:3] sc1
	ds_write_b64 v30, v[10:11] offset:30720
.LBB273_156:
	s_or_b64 exec, exec, s[40:41]
	v_cmp_eq_u32_e32 vcc, 0, v0
	s_and_b64 exec, exec, vcc
	s_cbranch_execz .LBB273_158
; %bb.157:
	v_mov_b32_e32 v10, 0
	ds_write_b32 v10, v11 offset:28
.LBB273_158:
	s_or_b64 exec, exec, s[38:39]
	v_mov_b32_e32 v10, 0
	s_waitcnt lgkmcnt(0)
	s_barrier
	ds_read_b32 v29, v10 offset:28
	s_waitcnt lgkmcnt(0)
	s_barrier
	ds_read_b64 v[10:11], v10 offset:30720
	v_cndmask_b32_e64 v28, v68, v67, s[16:17]
	v_cmp_ne_u32_e32 vcc, 0, v0
	s_waitcnt lgkmcnt(0)
	v_mov_b32_e32 v68, v11
	v_cndmask_b32_e32 v28, 0, v28, vcc
	v_add_u32_e32 v33, v29, v28
	s_load_dwordx2 s[2:3], s[0:1], 0x30
	s_branch .LBB273_169
.LBB273_159:
                                        ; implicit-def: $vgpr68
                                        ; implicit-def: $vgpr10
                                        ; implicit-def: $vgpr33
	s_load_dwordx2 s[2:3], s[0:1], 0x30
	s_cbranch_execz .LBB273_169
; %bb.160:
	v_mov_b32_dpp v10, v66 row_shr:1 row_mask:0xf bank_mask:0xf
	v_cndmask_b32_e64 v10, v10, 0, s[14:15]
	v_add_u32_e32 v10, v10, v66
	s_nop 1
	v_mov_b32_dpp v11, v10 row_shr:2 row_mask:0xf bank_mask:0xf
	v_cndmask_b32_e64 v11, 0, v11, s[12:13]
	v_add_u32_e32 v10, v10, v11
	s_nop 1
	;; [unrolled: 4-line block ×4, first 2 shown]
	v_mov_b32_dpp v11, v10 row_bcast:15 row_mask:0xf bank_mask:0xf
	v_cndmask_b32_e64 v11, v11, 0, s[6:7]
	v_add_u32_e32 v10, v10, v11
	s_nop 1
	v_mov_b32_dpp v11, v10 row_bcast:31 row_mask:0xf bank_mask:0xf
	v_cndmask_b32_e64 v11, 0, v11, s[18:19]
	v_add_u32_e32 v10, v10, v11
	s_and_saveexec_b64 s[0:1], s[4:5]
	s_cbranch_execz .LBB273_162
; %bb.161:
	v_lshlrev_b32_e32 v11, 2, v65
	ds_write_b32 v11, v10
.LBB273_162:
	s_or_b64 exec, exec, s[0:1]
	v_cmp_gt_u32_e32 vcc, 8, v0
	s_waitcnt lgkmcnt(0)
	s_barrier
	s_and_saveexec_b64 s[0:1], vcc
	s_cbranch_execz .LBB273_164
; %bb.163:
	v_lshlrev_b32_e32 v11, 2, v0
	ds_read_b32 v28, v11
	v_and_b32_e32 v29, 7, v64
	v_cmp_ne_u32_e32 vcc, 0, v29
	s_waitcnt lgkmcnt(0)
	v_mov_b32_dpp v30, v28 row_shr:1 row_mask:0xf bank_mask:0xf
	v_cndmask_b32_e32 v30, 0, v30, vcc
	v_add_u32_e32 v28, v30, v28
	v_cmp_lt_u32_e32 vcc, 1, v29
	s_nop 0
	v_mov_b32_dpp v30, v28 row_shr:2 row_mask:0xf bank_mask:0xf
	v_cndmask_b32_e32 v30, 0, v30, vcc
	v_add_u32_e32 v28, v28, v30
	v_cmp_lt_u32_e32 vcc, 3, v29
	s_nop 0
	v_mov_b32_dpp v30, v28 row_shr:4 row_mask:0xf bank_mask:0xf
	v_cndmask_b32_e32 v29, 0, v30, vcc
	v_add_u32_e32 v28, v28, v29
	ds_write_b32 v11, v28
.LBB273_164:
	s_or_b64 exec, exec, s[0:1]
	v_cmp_lt_u32_e32 vcc, 63, v0
	v_mov_b32_e32 v11, 0
	v_mov_b32_e32 v28, 0
	s_waitcnt lgkmcnt(0)
	s_barrier
	s_and_saveexec_b64 s[0:1], vcc
	s_cbranch_execz .LBB273_166
; %bb.165:
	v_lshl_add_u32 v28, v65, 2, -4
	ds_read_b32 v28, v28
.LBB273_166:
	s_or_b64 exec, exec, s[0:1]
	v_add_u32_e32 v29, -1, v64
	v_and_b32_e32 v30, 64, v64
	v_cmp_lt_i32_e32 vcc, v29, v30
	s_waitcnt lgkmcnt(0)
	v_add_u32_e32 v10, v28, v10
	v_cndmask_b32_e32 v29, v29, v64, vcc
	v_lshlrev_b32_e32 v29, 2, v29
	ds_bpermute_b32 v29, v29, v10
	ds_read_b32 v10, v11 offset:28
	v_cmp_eq_u32_e32 vcc, 0, v0
	s_and_saveexec_b64 s[0:1], vcc
	s_cbranch_execz .LBB273_168
; %bb.167:
	v_mov_b32_e32 v30, 0
	v_mov_b32_e32 v11, 2
	s_waitcnt lgkmcnt(0)
	global_store_dwordx2 v30, v[10:11], s[36:37] offset:512 sc1
.LBB273_168:
	s_or_b64 exec, exec, s[0:1]
	v_cmp_eq_u32_e64 s[0:1], 0, v64
	v_mov_b32_e32 v68, 0
	s_waitcnt lgkmcnt(0)
	v_cndmask_b32_e64 v11, v29, v28, s[0:1]
	v_cndmask_b32_e64 v33, v11, 0, vcc
	s_barrier
.LBB273_169:
	v_add_u32_sdwa v35, v33, v2 dst_sel:DWORD dst_unused:UNUSED_PAD src0_sel:DWORD src1_sel:BYTE_0
	v_add_u32_e32 v9, v10, v9
	v_sub_u32_e32 v33, v33, v68
	v_and_b32_e32 v74, 1, v2
	v_sub_u32_e32 v73, v9, v33
	v_cmp_eq_u32_e32 vcc, 1, v74
	v_lshrrev_b32_e32 v34, 8, v2
	v_add_u32_sdwa v64, v35, v2 dst_sel:DWORD dst_unused:UNUSED_PAD src0_sel:DWORD src1_sel:BYTE_1
	v_cndmask_b32_e32 v33, v73, v33, vcc
	v_lshlrev_b32_e32 v33, 1, v33
	ds_write_b16 v33, v26
	v_sub_u32_e32 v33, v35, v68
	v_sub_u32_e32 v35, v9, v33
	v_and_b32_e32 v34, 1, v34
	v_add_u32_e32 v35, 1, v35
	v_cmp_eq_u32_e32 vcc, 1, v34
	v_mov_b32_e32 v34, 1
	v_and_b32_sdwa v2, v34, v2 dst_sel:DWORD dst_unused:UNUSED_PAD src0_sel:DWORD src1_sel:WORD_1
	v_cndmask_b32_e32 v33, v35, v33, vcc
	v_lshlrev_b32_e32 v33, 1, v33
	ds_write_b16_d16_hi v33, v26
	v_sub_u32_e32 v26, v64, v68
	v_sub_u32_e32 v33, v9, v26
	v_add_u32_e32 v33, 2, v33
	v_cmp_eq_u32_e32 vcc, 1, v2
	v_add_u32_e32 v63, v64, v63
	v_add_u32_e32 v65, v63, v44
	v_cndmask_b32_e32 v2, v33, v26, vcc
	v_lshlrev_b32_e32 v2, 1, v2
	ds_write_b16 v2, v27
	v_sub_u32_e32 v2, v63, v68
	v_sub_u32_e32 v26, v9, v2
	v_and_b32_e32 v33, 1, v44
	v_add_u32_e32 v26, 3, v26
	v_cmp_eq_u32_e32 vcc, 1, v33
	v_add_u32_e32 v60, v65, v60
	v_lshrrev_b32_e32 v32, 8, v3
	v_cndmask_b32_e32 v2, v26, v2, vcc
	v_lshlrev_b32_e32 v2, 1, v2
	ds_write_b16_d16_hi v2, v27
	v_sub_u32_e32 v2, v65, v68
	v_sub_u32_e32 v26, v9, v2
	v_and_b32_e32 v27, 1, v3
	v_add_u32_e32 v26, 4, v26
	v_cmp_eq_u32_e32 vcc, 1, v27
	v_and_b32_e32 v27, 1, v32
	v_add_u32_e32 v61, v60, v61
	v_cndmask_b32_e32 v2, v26, v2, vcc
	v_lshlrev_b32_e32 v2, 1, v2
	ds_write_b16 v2, v24
	v_sub_u32_e32 v2, v60, v68
	v_sub_u32_e32 v26, v9, v2
	v_add_u32_e32 v26, 5, v26
	v_cmp_eq_u32_e32 vcc, 1, v27
	v_and_b32_sdwa v3, v34, v3 dst_sel:DWORD dst_unused:UNUSED_PAD src0_sel:DWORD src1_sel:WORD_1
	v_add_u32_e32 v62, v61, v62
	v_cndmask_b32_e32 v2, v26, v2, vcc
	v_lshlrev_b32_e32 v2, 1, v2
	ds_write_b16_d16_hi v2, v24
	v_sub_u32_e32 v2, v61, v68
	v_sub_u32_e32 v24, v9, v2
	v_add_u32_e32 v24, 6, v24
	v_cmp_eq_u32_e32 vcc, 1, v3
	v_add_u32_e32 v66, v62, v43
	v_add_u32_e32 v57, v66, v57
	v_cndmask_b32_e32 v2, v24, v2, vcc
	v_lshlrev_b32_e32 v2, 1, v2
	ds_write_b16 v2, v25
	v_sub_u32_e32 v2, v62, v68
	v_sub_u32_e32 v3, v9, v2
	v_and_b32_e32 v24, 1, v43
	v_add_u32_e32 v3, 7, v3
	v_cmp_eq_u32_e32 vcc, 1, v24
	v_and_b32_e32 v24, 1, v4
	v_lshrrev_b32_e32 v31, 8, v4
	v_cndmask_b32_e32 v2, v3, v2, vcc
	v_lshlrev_b32_e32 v2, 1, v2
	ds_write_b16_d16_hi v2, v25
	v_sub_u32_e32 v2, v66, v68
	v_sub_u32_e32 v3, v9, v2
	v_add_u32_e32 v3, 8, v3
	v_cmp_eq_u32_e32 vcc, 1, v24
	v_and_b32_e32 v24, 1, v31
	v_add_u32_e32 v58, v57, v58
	v_cndmask_b32_e32 v2, v3, v2, vcc
	v_lshlrev_b32_e32 v2, 1, v2
	ds_write_b16 v2, v22
	v_sub_u32_e32 v2, v57, v68
	v_sub_u32_e32 v3, v9, v2
	v_add_u32_e32 v3, 9, v3
	v_cmp_eq_u32_e32 vcc, 1, v24
	v_and_b32_sdwa v4, v34, v4 dst_sel:DWORD dst_unused:UNUSED_PAD src0_sel:DWORD src1_sel:WORD_1
	v_add_u32_e32 v59, v58, v59
	v_cndmask_b32_e32 v2, v3, v2, vcc
	v_lshlrev_b32_e32 v2, 1, v2
	ds_write_b16_d16_hi v2, v22
	v_sub_u32_e32 v2, v58, v68
	v_sub_u32_e32 v3, v9, v2
	v_add_u32_e32 v3, 10, v3
	v_cmp_eq_u32_e32 vcc, 1, v4
	v_and_b32_e32 v4, 1, v42
	v_add_u32_e32 v67, v59, v42
	v_cndmask_b32_e32 v2, v3, v2, vcc
	v_lshlrev_b32_e32 v2, 1, v2
	ds_write_b16 v2, v23
	v_sub_u32_e32 v2, v59, v68
	v_sub_u32_e32 v3, v9, v2
	v_add_u32_e32 v3, 11, v3
	v_cmp_eq_u32_e32 vcc, 1, v4
	v_and_b32_e32 v4, 1, v5
	v_add_u32_e32 v54, v67, v54
	v_cndmask_b32_e32 v2, v3, v2, vcc
	v_lshlrev_b32_e32 v2, 1, v2
	ds_write_b16_d16_hi v2, v23
	v_sub_u32_e32 v2, v67, v68
	v_sub_u32_e32 v3, v9, v2
	v_add_u32_e32 v3, 12, v3
	v_cmp_eq_u32_e32 vcc, 1, v4
	v_lshrrev_b32_e32 v30, 8, v5
	v_and_b32_e32 v4, 1, v30
	v_cndmask_b32_e32 v2, v3, v2, vcc
	v_lshlrev_b32_e32 v2, 1, v2
	ds_write_b16 v2, v20
	v_sub_u32_e32 v2, v54, v68
	v_sub_u32_e32 v3, v9, v2
	v_add_u32_e32 v3, 13, v3
	v_cmp_eq_u32_e32 vcc, 1, v4
	v_add_u32_e32 v55, v54, v55
	v_and_b32_sdwa v4, v34, v5 dst_sel:DWORD dst_unused:UNUSED_PAD src0_sel:DWORD src1_sel:WORD_1
	v_cndmask_b32_e32 v2, v3, v2, vcc
	v_lshlrev_b32_e32 v2, 1, v2
	ds_write_b16_d16_hi v2, v20
	v_sub_u32_e32 v2, v55, v68
	v_sub_u32_e32 v3, v9, v2
	v_add_u32_e32 v3, 14, v3
	v_cmp_eq_u32_e32 vcc, 1, v4
	v_add_u32_e32 v56, v55, v56
	v_and_b32_e32 v4, 1, v41
	v_cndmask_b32_e32 v2, v3, v2, vcc
	v_lshlrev_b32_e32 v2, 1, v2
	ds_write_b16 v2, v21
	v_sub_u32_e32 v2, v56, v68
	v_sub_u32_e32 v3, v9, v2
	v_add_u32_e32 v3, 15, v3
	v_cmp_eq_u32_e32 vcc, 1, v4
	v_add_u32_e32 v69, v56, v41
	v_and_b32_e32 v4, 1, v6
	v_cndmask_b32_e32 v2, v3, v2, vcc
	v_lshlrev_b32_e32 v2, 1, v2
	ds_write_b16_d16_hi v2, v21
	v_sub_u32_e32 v2, v69, v68
	v_sub_u32_e32 v3, v9, v2
	v_add_u32_e32 v3, 16, v3
	v_cmp_eq_u32_e32 vcc, 1, v4
	v_add_u32_e32 v51, v69, v51
	v_lshrrev_b32_e32 v29, 8, v6
	v_cndmask_b32_e32 v2, v3, v2, vcc
	v_lshlrev_b32_e32 v2, 1, v2
	ds_write_b16 v2, v18
	v_sub_u32_e32 v2, v51, v68
	v_sub_u32_e32 v3, v9, v2
	v_and_b32_e32 v4, 1, v29
	v_add_u32_e32 v3, 17, v3
	v_cmp_eq_u32_e32 vcc, 1, v4
	v_add_u32_e32 v52, v51, v52
	v_and_b32_sdwa v4, v34, v6 dst_sel:DWORD dst_unused:UNUSED_PAD src0_sel:DWORD src1_sel:WORD_1
	v_cndmask_b32_e32 v2, v3, v2, vcc
	v_lshlrev_b32_e32 v2, 1, v2
	ds_write_b16_d16_hi v2, v18
	v_sub_u32_e32 v2, v52, v68
	v_sub_u32_e32 v3, v9, v2
	v_add_u32_e32 v3, 18, v3
	v_cmp_eq_u32_e32 vcc, 1, v4
	v_add_u32_e32 v53, v52, v53
	v_and_b32_e32 v4, 1, v40
	v_cndmask_b32_e32 v2, v3, v2, vcc
	v_lshlrev_b32_e32 v2, 1, v2
	ds_write_b16 v2, v19
	v_sub_u32_e32 v2, v53, v68
	v_sub_u32_e32 v3, v9, v2
	v_add_u32_e32 v3, 19, v3
	v_cmp_eq_u32_e32 vcc, 1, v4
	v_add_u32_e32 v70, v53, v40
	v_and_b32_e32 v4, 1, v7
	v_cndmask_b32_e32 v2, v3, v2, vcc
	v_lshlrev_b32_e32 v2, 1, v2
	ds_write_b16_d16_hi v2, v19
	v_sub_u32_e32 v2, v70, v68
	v_sub_u32_e32 v3, v9, v2
	v_add_u32_e32 v3, 20, v3
	v_cmp_eq_u32_e32 vcc, 1, v4
	v_add_u32_e32 v48, v70, v48
	v_lshrrev_b32_e32 v28, 8, v7
	v_cndmask_b32_e32 v2, v3, v2, vcc
	v_lshlrev_b32_e32 v2, 1, v2
	ds_write_b16 v2, v16
	v_sub_u32_e32 v2, v48, v68
	v_sub_u32_e32 v3, v9, v2
	v_and_b32_e32 v4, 1, v28
	v_add_u32_e32 v3, 21, v3
	v_cmp_eq_u32_e32 vcc, 1, v4
	v_add_u32_e32 v49, v48, v49
	v_and_b32_sdwa v4, v34, v7 dst_sel:DWORD dst_unused:UNUSED_PAD src0_sel:DWORD src1_sel:WORD_1
	v_cndmask_b32_e32 v2, v3, v2, vcc
	v_lshlrev_b32_e32 v2, 1, v2
	ds_write_b16_d16_hi v2, v16
	v_sub_u32_e32 v2, v49, v68
	v_sub_u32_e32 v3, v9, v2
	v_add_u32_e32 v3, 22, v3
	v_cmp_eq_u32_e32 vcc, 1, v4
	v_add_u32_e32 v50, v49, v50
	v_and_b32_e32 v4, 1, v39
	v_cndmask_b32_e32 v2, v3, v2, vcc
	v_lshlrev_b32_e32 v2, 1, v2
	ds_write_b16 v2, v17
	v_sub_u32_e32 v2, v50, v68
	v_sub_u32_e32 v3, v9, v2
	v_add_u32_e32 v3, 23, v3
	v_cmp_eq_u32_e32 vcc, 1, v4
	v_add_u32_e32 v71, v50, v39
	v_and_b32_e32 v4, 1, v8
	v_cndmask_b32_e32 v2, v3, v2, vcc
	v_lshlrev_b32_e32 v2, 1, v2
	ds_write_b16_d16_hi v2, v17
	v_sub_u32_e32 v2, v71, v68
	v_sub_u32_e32 v3, v9, v2
	v_add_u32_e32 v3, 24, v3
	v_cmp_eq_u32_e32 vcc, 1, v4
	v_add_u32_e32 v45, v71, v45
	v_lshrrev_b32_e32 v11, 8, v8
	v_cndmask_b32_e32 v2, v3, v2, vcc
	v_lshlrev_b32_e32 v2, 1, v2
	ds_write_b16 v2, v14
	v_sub_u32_e32 v2, v45, v68
	v_sub_u32_e32 v3, v9, v2
	v_and_b32_e32 v4, 1, v11
	v_add_u32_e32 v3, 25, v3
	v_cmp_eq_u32_e32 vcc, 1, v4
	v_add_u32_e32 v46, v45, v46
	v_and_b32_sdwa v4, v34, v8 dst_sel:DWORD dst_unused:UNUSED_PAD src0_sel:DWORD src1_sel:WORD_1
	v_cndmask_b32_e32 v2, v3, v2, vcc
	v_lshlrev_b32_e32 v2, 1, v2
	ds_write_b16_d16_hi v2, v14
	v_sub_u32_e32 v2, v46, v68
	v_sub_u32_e32 v3, v9, v2
	v_add_u32_e32 v3, 26, v3
	v_cmp_eq_u32_e32 vcc, 1, v4
	v_add_u32_e32 v47, v46, v47
	v_and_b32_e32 v4, 1, v37
	v_cndmask_b32_e32 v2, v3, v2, vcc
	v_lshlrev_b32_e32 v2, 1, v2
	ds_write_b16 v2, v15
	v_sub_u32_e32 v2, v47, v68
	v_sub_u32_e32 v3, v9, v2
	v_add_u32_e32 v3, 27, v3
	v_cmp_eq_u32_e32 vcc, 1, v4
	v_add_u32_e32 v72, v47, v37
	v_and_b32_e32 v4, 1, v36
	v_cndmask_b32_e32 v2, v3, v2, vcc
	v_lshlrev_b32_e32 v2, 1, v2
	ds_write_b16_d16_hi v2, v15
	v_sub_u32_e32 v2, v72, v68
	v_sub_u32_e32 v3, v9, v2
	v_add_u32_e32 v3, 28, v3
	v_cmp_eq_u32_e32 vcc, 1, v4
	v_and_b32_e32 v4, 1, v13
	s_add_u32 s0, s26, s24
	v_cndmask_b32_e32 v2, v3, v2, vcc
	v_lshlrev_b32_e32 v2, 1, v2
	ds_write_b16 v2, v1
	v_sub_u32_e32 v2, v38, v68
	v_add_u32_e32 v2, v72, v2
	v_sub_u32_e32 v3, v9, v2
	v_add_u32_e32 v3, 29, v3
	v_cmp_eq_u32_e32 vcc, 1, v4
	s_addc_u32 s1, s27, 0
	s_sub_u32 s0, s28, s0
	v_cndmask_b32_e32 v2, v3, v2, vcc
	v_lshlrev_b32_e32 v2, 1, v2
	ds_write_b16_d16_hi v2, v1
	s_waitcnt lgkmcnt(0)
	s_barrier
	ds_read_u16 v99, v12
	ds_read_u16 v98, v12 offset:1024
	ds_read_u16 v97, v12 offset:2048
	;; [unrolled: 1-line block ×29, first 2 shown]
	v_mov_b32_e32 v1, 0
	v_mov_b32_e32 v69, v1
	;; [unrolled: 1-line block ×3, first 2 shown]
	s_subb_u32 s1, s29, s1
	v_lshl_add_u64 v[2:3], s[30:31], 0, v[68:69]
	v_lshl_add_u64 v[6:7], s[0:1], 0, v[10:11]
	v_or_b32_e32 v66, 0x200, v0
	v_mov_b32_e32 v67, v1
	v_or_b32_e32 v64, 0x400, v0
	v_mov_b32_e32 v65, v1
	;; [unrolled: 2-line block ×29, first 2 shown]
	s_andn2_b64 vcc, exec, s[34:35]
	v_lshl_add_u64 v[6:7], v[6:7], 0, v[2:3]
	s_cbranch_vccnz .LBB273_291
; %bb.170:
	v_cmp_ge_u32_e32 vcc, v0, v10
                                        ; implicit-def: $vgpr12_vgpr13
	s_and_saveexec_b64 s[0:1], vcc
	s_xor_b64 s[0:1], exec, s[0:1]
; %bb.171:
	v_not_b32_e32 v12, v0
	v_ashrrev_i32_e32 v13, 31, v12
	v_lshl_add_u64 v[12:13], v[6:7], 0, v[12:13]
; %bb.172:
	s_andn2_saveexec_b64 s[0:1], s[0:1]
; %bb.173:
	v_lshl_add_u64 v[12:13], v[2:3], 0, v[0:1]
; %bb.174:
	s_or_b64 exec, exec, s[0:1]
	v_lshl_add_u64 v[12:13], v[12:13], 1, s[2:3]
	v_cmp_ge_u32_e32 vcc, v66, v10
	s_waitcnt lgkmcnt(14)
	global_store_short v[12:13], v99, off
                                        ; implicit-def: $vgpr12_vgpr13
	s_and_saveexec_b64 s[0:1], vcc
	s_xor_b64 s[0:1], exec, s[0:1]
; %bb.175:
	v_xor_b32_e32 v12, 0xfffffdff, v0
	v_ashrrev_i32_e32 v13, 31, v12
	v_lshl_add_u64 v[12:13], v[6:7], 0, v[12:13]
; %bb.176:
	s_andn2_saveexec_b64 s[0:1], s[0:1]
; %bb.177:
	v_lshl_add_u64 v[12:13], v[2:3], 0, v[66:67]
; %bb.178:
	s_or_b64 exec, exec, s[0:1]
	v_lshl_add_u64 v[12:13], v[12:13], 1, s[2:3]
	v_cmp_ge_u32_e32 vcc, v64, v10
	global_store_short v[12:13], v98, off
                                        ; implicit-def: $vgpr12_vgpr13
	s_and_saveexec_b64 s[0:1], vcc
	s_xor_b64 s[0:1], exec, s[0:1]
; %bb.179:
	v_xor_b32_e32 v12, 0xfffffbff, v0
	v_ashrrev_i32_e32 v13, 31, v12
	v_lshl_add_u64 v[12:13], v[6:7], 0, v[12:13]
; %bb.180:
	s_andn2_saveexec_b64 s[0:1], s[0:1]
; %bb.181:
	v_lshl_add_u64 v[12:13], v[2:3], 0, v[64:65]
; %bb.182:
	s_or_b64 exec, exec, s[0:1]
	v_lshl_add_u64 v[12:13], v[12:13], 1, s[2:3]
	v_cmp_ge_u32_e32 vcc, v62, v10
	;; [unrolled: 16-line block ×16, first 2 shown]
	s_waitcnt lgkmcnt(13)
	global_store_short v[12:13], v83, off
                                        ; implicit-def: $vgpr12_vgpr13
	s_and_saveexec_b64 s[0:1], vcc
	s_xor_b64 s[0:1], exec, s[0:1]
; %bb.239:
	v_xor_b32_e32 v12, 0xffffddff, v0
	v_ashrrev_i32_e32 v13, 31, v12
	v_lshl_add_u64 v[12:13], v[6:7], 0, v[12:13]
; %bb.240:
	s_andn2_saveexec_b64 s[0:1], s[0:1]
; %bb.241:
	v_lshl_add_u64 v[12:13], v[2:3], 0, v[34:35]
; %bb.242:
	s_or_b64 exec, exec, s[0:1]
	v_lshl_add_u64 v[12:13], v[12:13], 1, s[2:3]
	v_cmp_ge_u32_e32 vcc, v32, v10
	s_waitcnt lgkmcnt(12)
	global_store_short v[12:13], v82, off
                                        ; implicit-def: $vgpr12_vgpr13
	s_and_saveexec_b64 s[0:1], vcc
	s_xor_b64 s[0:1], exec, s[0:1]
; %bb.243:
	v_xor_b32_e32 v12, 0xffffdbff, v0
	v_ashrrev_i32_e32 v13, 31, v12
	v_lshl_add_u64 v[12:13], v[6:7], 0, v[12:13]
; %bb.244:
	s_andn2_saveexec_b64 s[0:1], s[0:1]
; %bb.245:
	v_lshl_add_u64 v[12:13], v[2:3], 0, v[32:33]
; %bb.246:
	s_or_b64 exec, exec, s[0:1]
	v_lshl_add_u64 v[12:13], v[12:13], 1, s[2:3]
	v_cmp_ge_u32_e32 vcc, v30, v10
	;; [unrolled: 17-line block ×12, first 2 shown]
	s_waitcnt lgkmcnt(1)
	global_store_short v[12:13], v71, off
                                        ; implicit-def: $vgpr12_vgpr13
	s_and_saveexec_b64 s[0:1], vcc
	s_xor_b64 s[0:1], exec, s[0:1]
; %bb.287:
	v_xor_b32_e32 v12, 0xffffc5ff, v0
	v_ashrrev_i32_e32 v13, 31, v12
	v_lshl_add_u64 v[12:13], v[6:7], 0, v[12:13]
; %bb.288:
	s_andn2_saveexec_b64 s[0:1], s[0:1]
; %bb.289:
	v_lshl_add_u64 v[12:13], v[2:3], 0, v[4:5]
; %bb.290:
	s_or_b64 exec, exec, s[0:1]
	s_mov_b64 s[0:1], -1
	s_branch .LBB273_473
.LBB273_291:
	s_mov_b64 s[0:1], 0
                                        ; implicit-def: $vgpr12_vgpr13
	s_cbranch_execz .LBB273_473
; %bb.292:
	v_cmp_gt_u32_e32 vcc, s33, v0
	s_and_saveexec_b64 s[4:5], vcc
	s_cbranch_execz .LBB273_378
; %bb.293:
	v_cmp_ge_u32_e32 vcc, v0, v10
                                        ; implicit-def: $vgpr12_vgpr13
	s_and_saveexec_b64 s[6:7], vcc
	s_xor_b64 s[6:7], exec, s[6:7]
; %bb.294:
	v_not_b32_e32 v12, v0
	v_ashrrev_i32_e32 v13, 31, v12
	v_lshl_add_u64 v[12:13], v[6:7], 0, v[12:13]
; %bb.295:
	s_andn2_saveexec_b64 s[6:7], s[6:7]
; %bb.296:
	v_lshl_add_u64 v[12:13], v[2:3], 0, v[0:1]
; %bb.297:
	s_or_b64 exec, exec, s[6:7]
	v_lshl_add_u64 v[12:13], v[12:13], 1, s[2:3]
	s_waitcnt lgkmcnt(14)
	global_store_short v[12:13], v99, off
	s_or_b64 exec, exec, s[4:5]
	v_cmp_gt_u32_e32 vcc, s33, v66
	s_and_saveexec_b64 s[4:5], vcc
	s_cbranch_execnz .LBB273_379
.LBB273_298:
	s_or_b64 exec, exec, s[4:5]
	v_cmp_gt_u32_e32 vcc, s33, v64
	s_and_saveexec_b64 s[4:5], vcc
	s_cbranch_execz .LBB273_384
.LBB273_299:
	v_cmp_ge_u32_e32 vcc, v64, v10
                                        ; implicit-def: $vgpr12_vgpr13
	s_and_saveexec_b64 s[6:7], vcc
	s_xor_b64 s[6:7], exec, s[6:7]
; %bb.300:
	v_xor_b32_e32 v12, 0xfffffbff, v0
	v_ashrrev_i32_e32 v13, 31, v12
	v_lshl_add_u64 v[12:13], v[6:7], 0, v[12:13]
                                        ; implicit-def: $vgpr64_vgpr65
; %bb.301:
	s_andn2_saveexec_b64 s[6:7], s[6:7]
; %bb.302:
	v_lshl_add_u64 v[12:13], v[2:3], 0, v[64:65]
; %bb.303:
	s_or_b64 exec, exec, s[6:7]
	v_lshl_add_u64 v[12:13], v[12:13], 1, s[2:3]
	s_waitcnt lgkmcnt(14)
	global_store_short v[12:13], v97, off
	s_or_b64 exec, exec, s[4:5]
	v_cmp_gt_u32_e32 vcc, s33, v62
	s_and_saveexec_b64 s[4:5], vcc
	s_cbranch_execnz .LBB273_385
.LBB273_304:
	s_or_b64 exec, exec, s[4:5]
	v_cmp_gt_u32_e32 vcc, s33, v60
	s_and_saveexec_b64 s[4:5], vcc
	s_cbranch_execz .LBB273_390
.LBB273_305:
	v_cmp_ge_u32_e32 vcc, v60, v10
                                        ; implicit-def: $vgpr12_vgpr13
	s_and_saveexec_b64 s[6:7], vcc
	s_xor_b64 s[6:7], exec, s[6:7]
; %bb.306:
	v_xor_b32_e32 v12, 0xfffff7ff, v0
	v_ashrrev_i32_e32 v13, 31, v12
	v_lshl_add_u64 v[12:13], v[6:7], 0, v[12:13]
                                        ; implicit-def: $vgpr60_vgpr61
; %bb.307:
	s_andn2_saveexec_b64 s[6:7], s[6:7]
; %bb.308:
	v_lshl_add_u64 v[12:13], v[2:3], 0, v[60:61]
; %bb.309:
	s_or_b64 exec, exec, s[6:7]
	v_lshl_add_u64 v[12:13], v[12:13], 1, s[2:3]
	s_waitcnt lgkmcnt(14)
	global_store_short v[12:13], v95, off
	s_or_b64 exec, exec, s[4:5]
	v_cmp_gt_u32_e32 vcc, s33, v58
	s_and_saveexec_b64 s[4:5], vcc
	s_cbranch_execnz .LBB273_391
.LBB273_310:
	s_or_b64 exec, exec, s[4:5]
	v_cmp_gt_u32_e32 vcc, s33, v56
	s_and_saveexec_b64 s[4:5], vcc
	s_cbranch_execz .LBB273_396
.LBB273_311:
	v_cmp_ge_u32_e32 vcc, v56, v10
                                        ; implicit-def: $vgpr12_vgpr13
	s_and_saveexec_b64 s[6:7], vcc
	s_xor_b64 s[6:7], exec, s[6:7]
; %bb.312:
	v_xor_b32_e32 v12, 0xfffff3ff, v0
	v_ashrrev_i32_e32 v13, 31, v12
	v_lshl_add_u64 v[12:13], v[6:7], 0, v[12:13]
                                        ; implicit-def: $vgpr56_vgpr57
; %bb.313:
	s_andn2_saveexec_b64 s[6:7], s[6:7]
; %bb.314:
	v_lshl_add_u64 v[12:13], v[2:3], 0, v[56:57]
; %bb.315:
	s_or_b64 exec, exec, s[6:7]
	v_lshl_add_u64 v[12:13], v[12:13], 1, s[2:3]
	s_waitcnt lgkmcnt(14)
	global_store_short v[12:13], v93, off
	s_or_b64 exec, exec, s[4:5]
	v_cmp_gt_u32_e32 vcc, s33, v54
	s_and_saveexec_b64 s[4:5], vcc
	s_cbranch_execnz .LBB273_397
.LBB273_316:
	s_or_b64 exec, exec, s[4:5]
	v_cmp_gt_u32_e32 vcc, s33, v52
	s_and_saveexec_b64 s[4:5], vcc
	s_cbranch_execz .LBB273_402
.LBB273_317:
	v_cmp_ge_u32_e32 vcc, v52, v10
                                        ; implicit-def: $vgpr12_vgpr13
	s_and_saveexec_b64 s[6:7], vcc
	s_xor_b64 s[6:7], exec, s[6:7]
; %bb.318:
	v_xor_b32_e32 v12, 0xffffefff, v0
	v_ashrrev_i32_e32 v13, 31, v12
	v_lshl_add_u64 v[12:13], v[6:7], 0, v[12:13]
                                        ; implicit-def: $vgpr52_vgpr53
; %bb.319:
	s_andn2_saveexec_b64 s[6:7], s[6:7]
; %bb.320:
	v_lshl_add_u64 v[12:13], v[2:3], 0, v[52:53]
; %bb.321:
	s_or_b64 exec, exec, s[6:7]
	v_lshl_add_u64 v[12:13], v[12:13], 1, s[2:3]
	s_waitcnt lgkmcnt(14)
	global_store_short v[12:13], v91, off
	s_or_b64 exec, exec, s[4:5]
	v_cmp_gt_u32_e32 vcc, s33, v50
	s_and_saveexec_b64 s[4:5], vcc
	s_cbranch_execnz .LBB273_403
.LBB273_322:
	s_or_b64 exec, exec, s[4:5]
	v_cmp_gt_u32_e32 vcc, s33, v48
	s_and_saveexec_b64 s[4:5], vcc
	s_cbranch_execz .LBB273_408
.LBB273_323:
	v_cmp_ge_u32_e32 vcc, v48, v10
                                        ; implicit-def: $vgpr12_vgpr13
	s_and_saveexec_b64 s[6:7], vcc
	s_xor_b64 s[6:7], exec, s[6:7]
; %bb.324:
	v_xor_b32_e32 v12, 0xffffebff, v0
	v_ashrrev_i32_e32 v13, 31, v12
	v_lshl_add_u64 v[12:13], v[6:7], 0, v[12:13]
                                        ; implicit-def: $vgpr48_vgpr49
; %bb.325:
	s_andn2_saveexec_b64 s[6:7], s[6:7]
; %bb.326:
	v_lshl_add_u64 v[12:13], v[2:3], 0, v[48:49]
; %bb.327:
	s_or_b64 exec, exec, s[6:7]
	v_lshl_add_u64 v[12:13], v[12:13], 1, s[2:3]
	s_waitcnt lgkmcnt(14)
	global_store_short v[12:13], v89, off
	s_or_b64 exec, exec, s[4:5]
	v_cmp_gt_u32_e32 vcc, s33, v46
	s_and_saveexec_b64 s[4:5], vcc
	s_cbranch_execnz .LBB273_409
.LBB273_328:
	s_or_b64 exec, exec, s[4:5]
	v_cmp_gt_u32_e32 vcc, s33, v44
	s_and_saveexec_b64 s[4:5], vcc
	s_cbranch_execz .LBB273_414
.LBB273_329:
	v_cmp_ge_u32_e32 vcc, v44, v10
                                        ; implicit-def: $vgpr12_vgpr13
	s_and_saveexec_b64 s[6:7], vcc
	s_xor_b64 s[6:7], exec, s[6:7]
; %bb.330:
	v_xor_b32_e32 v12, 0xffffe7ff, v0
	v_ashrrev_i32_e32 v13, 31, v12
	v_lshl_add_u64 v[12:13], v[6:7], 0, v[12:13]
                                        ; implicit-def: $vgpr44_vgpr45
; %bb.331:
	s_andn2_saveexec_b64 s[6:7], s[6:7]
; %bb.332:
	v_lshl_add_u64 v[12:13], v[2:3], 0, v[44:45]
; %bb.333:
	s_or_b64 exec, exec, s[6:7]
	v_lshl_add_u64 v[12:13], v[12:13], 1, s[2:3]
	s_waitcnt lgkmcnt(14)
	global_store_short v[12:13], v87, off
	s_or_b64 exec, exec, s[4:5]
	v_cmp_gt_u32_e32 vcc, s33, v42
	s_and_saveexec_b64 s[4:5], vcc
	s_cbranch_execnz .LBB273_415
.LBB273_334:
	s_or_b64 exec, exec, s[4:5]
	v_cmp_gt_u32_e32 vcc, s33, v40
	s_and_saveexec_b64 s[4:5], vcc
	s_cbranch_execz .LBB273_420
.LBB273_335:
	v_cmp_ge_u32_e32 vcc, v40, v10
                                        ; implicit-def: $vgpr12_vgpr13
	s_and_saveexec_b64 s[6:7], vcc
	s_xor_b64 s[6:7], exec, s[6:7]
; %bb.336:
	v_xor_b32_e32 v12, 0xffffe3ff, v0
	v_ashrrev_i32_e32 v13, 31, v12
	v_lshl_add_u64 v[12:13], v[6:7], 0, v[12:13]
                                        ; implicit-def: $vgpr40_vgpr41
; %bb.337:
	s_andn2_saveexec_b64 s[6:7], s[6:7]
; %bb.338:
	v_lshl_add_u64 v[12:13], v[2:3], 0, v[40:41]
; %bb.339:
	s_or_b64 exec, exec, s[6:7]
	v_lshl_add_u64 v[12:13], v[12:13], 1, s[2:3]
	s_waitcnt lgkmcnt(14)
	global_store_short v[12:13], v85, off
	s_or_b64 exec, exec, s[4:5]
	v_cmp_gt_u32_e32 vcc, s33, v38
	s_and_saveexec_b64 s[4:5], vcc
	s_cbranch_execnz .LBB273_421
.LBB273_340:
	s_or_b64 exec, exec, s[4:5]
	v_cmp_gt_u32_e32 vcc, s33, v36
	s_and_saveexec_b64 s[4:5], vcc
	s_cbranch_execz .LBB273_426
.LBB273_341:
	v_cmp_ge_u32_e32 vcc, v36, v10
                                        ; implicit-def: $vgpr12_vgpr13
	s_and_saveexec_b64 s[6:7], vcc
	s_xor_b64 s[6:7], exec, s[6:7]
; %bb.342:
	v_xor_b32_e32 v12, 0xffffdfff, v0
	v_ashrrev_i32_e32 v13, 31, v12
	v_lshl_add_u64 v[12:13], v[6:7], 0, v[12:13]
                                        ; implicit-def: $vgpr36_vgpr37
; %bb.343:
	s_andn2_saveexec_b64 s[6:7], s[6:7]
; %bb.344:
	v_lshl_add_u64 v[12:13], v[2:3], 0, v[36:37]
; %bb.345:
	s_or_b64 exec, exec, s[6:7]
	v_lshl_add_u64 v[12:13], v[12:13], 1, s[2:3]
	s_waitcnt lgkmcnt(13)
	global_store_short v[12:13], v83, off
	s_or_b64 exec, exec, s[4:5]
	v_cmp_gt_u32_e32 vcc, s33, v34
	s_and_saveexec_b64 s[4:5], vcc
	s_cbranch_execnz .LBB273_427
.LBB273_346:
	s_or_b64 exec, exec, s[4:5]
	v_cmp_gt_u32_e32 vcc, s33, v32
	s_and_saveexec_b64 s[4:5], vcc
	s_cbranch_execz .LBB273_432
.LBB273_347:
	v_cmp_ge_u32_e32 vcc, v32, v10
                                        ; implicit-def: $vgpr12_vgpr13
	s_and_saveexec_b64 s[6:7], vcc
	s_xor_b64 s[6:7], exec, s[6:7]
; %bb.348:
	v_xor_b32_e32 v12, 0xffffdbff, v0
	v_ashrrev_i32_e32 v13, 31, v12
	v_lshl_add_u64 v[12:13], v[6:7], 0, v[12:13]
                                        ; implicit-def: $vgpr32_vgpr33
; %bb.349:
	s_andn2_saveexec_b64 s[6:7], s[6:7]
; %bb.350:
	v_lshl_add_u64 v[12:13], v[2:3], 0, v[32:33]
; %bb.351:
	s_or_b64 exec, exec, s[6:7]
	v_lshl_add_u64 v[12:13], v[12:13], 1, s[2:3]
	s_waitcnt lgkmcnt(11)
	global_store_short v[12:13], v81, off
	s_or_b64 exec, exec, s[4:5]
	v_cmp_gt_u32_e32 vcc, s33, v30
	s_and_saveexec_b64 s[4:5], vcc
	s_cbranch_execnz .LBB273_433
.LBB273_352:
	s_or_b64 exec, exec, s[4:5]
	v_cmp_gt_u32_e32 vcc, s33, v28
	s_and_saveexec_b64 s[4:5], vcc
	s_cbranch_execz .LBB273_438
.LBB273_353:
	v_cmp_ge_u32_e32 vcc, v28, v10
                                        ; implicit-def: $vgpr12_vgpr13
	s_and_saveexec_b64 s[6:7], vcc
	s_xor_b64 s[6:7], exec, s[6:7]
; %bb.354:
	v_xor_b32_e32 v12, 0xffffd7ff, v0
	v_ashrrev_i32_e32 v13, 31, v12
	v_lshl_add_u64 v[12:13], v[6:7], 0, v[12:13]
                                        ; implicit-def: $vgpr28_vgpr29
; %bb.355:
	s_andn2_saveexec_b64 s[6:7], s[6:7]
; %bb.356:
	v_lshl_add_u64 v[12:13], v[2:3], 0, v[28:29]
; %bb.357:
	s_or_b64 exec, exec, s[6:7]
	v_lshl_add_u64 v[12:13], v[12:13], 1, s[2:3]
	s_waitcnt lgkmcnt(9)
	global_store_short v[12:13], v79, off
	s_or_b64 exec, exec, s[4:5]
	v_cmp_gt_u32_e32 vcc, s33, v26
	s_and_saveexec_b64 s[4:5], vcc
	s_cbranch_execnz .LBB273_439
.LBB273_358:
	s_or_b64 exec, exec, s[4:5]
	v_cmp_gt_u32_e32 vcc, s33, v24
	s_and_saveexec_b64 s[4:5], vcc
	s_cbranch_execz .LBB273_444
.LBB273_359:
	v_cmp_ge_u32_e32 vcc, v24, v10
                                        ; implicit-def: $vgpr12_vgpr13
	s_and_saveexec_b64 s[6:7], vcc
	s_xor_b64 s[6:7], exec, s[6:7]
; %bb.360:
	v_xor_b32_e32 v12, 0xffffd3ff, v0
	v_ashrrev_i32_e32 v13, 31, v12
	v_lshl_add_u64 v[12:13], v[6:7], 0, v[12:13]
                                        ; implicit-def: $vgpr24_vgpr25
; %bb.361:
	s_andn2_saveexec_b64 s[6:7], s[6:7]
; %bb.362:
	v_lshl_add_u64 v[12:13], v[2:3], 0, v[24:25]
; %bb.363:
	s_or_b64 exec, exec, s[6:7]
	v_lshl_add_u64 v[12:13], v[12:13], 1, s[2:3]
	s_waitcnt lgkmcnt(7)
	global_store_short v[12:13], v77, off
	s_or_b64 exec, exec, s[4:5]
	v_cmp_gt_u32_e32 vcc, s33, v22
	s_and_saveexec_b64 s[4:5], vcc
	s_cbranch_execnz .LBB273_445
.LBB273_364:
	s_or_b64 exec, exec, s[4:5]
	v_cmp_gt_u32_e32 vcc, s33, v20
	s_and_saveexec_b64 s[4:5], vcc
	s_cbranch_execz .LBB273_450
.LBB273_365:
	v_cmp_ge_u32_e32 vcc, v20, v10
                                        ; implicit-def: $vgpr12_vgpr13
	s_and_saveexec_b64 s[6:7], vcc
	s_xor_b64 s[6:7], exec, s[6:7]
; %bb.366:
	v_xor_b32_e32 v12, 0xffffcfff, v0
	v_ashrrev_i32_e32 v13, 31, v12
	v_lshl_add_u64 v[12:13], v[6:7], 0, v[12:13]
                                        ; implicit-def: $vgpr20_vgpr21
; %bb.367:
	s_andn2_saveexec_b64 s[6:7], s[6:7]
; %bb.368:
	v_lshl_add_u64 v[12:13], v[2:3], 0, v[20:21]
; %bb.369:
	s_or_b64 exec, exec, s[6:7]
	v_lshl_add_u64 v[12:13], v[12:13], 1, s[2:3]
	s_waitcnt lgkmcnt(5)
	global_store_short v[12:13], v75, off
	s_or_b64 exec, exec, s[4:5]
	v_cmp_gt_u32_e32 vcc, s33, v18
	s_and_saveexec_b64 s[4:5], vcc
	s_cbranch_execnz .LBB273_451
.LBB273_370:
	s_or_b64 exec, exec, s[4:5]
	v_cmp_gt_u32_e32 vcc, s33, v16
	s_and_saveexec_b64 s[4:5], vcc
	s_cbranch_execz .LBB273_456
.LBB273_371:
	v_cmp_ge_u32_e32 vcc, v16, v10
                                        ; implicit-def: $vgpr12_vgpr13
	s_and_saveexec_b64 s[6:7], vcc
	s_xor_b64 s[6:7], exec, s[6:7]
; %bb.372:
	v_xor_b32_e32 v12, 0xffffcbff, v0
	v_ashrrev_i32_e32 v13, 31, v12
	v_lshl_add_u64 v[12:13], v[6:7], 0, v[12:13]
                                        ; implicit-def: $vgpr16_vgpr17
; %bb.373:
	s_andn2_saveexec_b64 s[6:7], s[6:7]
; %bb.374:
	v_lshl_add_u64 v[12:13], v[2:3], 0, v[16:17]
; %bb.375:
	s_or_b64 exec, exec, s[6:7]
	v_lshl_add_u64 v[12:13], v[12:13], 1, s[2:3]
	s_waitcnt lgkmcnt(3)
	global_store_short v[12:13], v73, off
	s_or_b64 exec, exec, s[4:5]
	v_cmp_gt_u32_e32 vcc, s33, v14
	s_and_saveexec_b64 s[4:5], vcc
	s_cbranch_execnz .LBB273_457
.LBB273_376:
	s_or_b64 exec, exec, s[4:5]
	v_cmp_gt_u32_e32 vcc, s33, v8
	s_and_saveexec_b64 s[4:5], vcc
	s_cbranch_execnz .LBB273_462
.LBB273_377:
	s_or_b64 exec, exec, s[4:5]
	v_cmp_gt_u32_e32 vcc, s33, v4
                                        ; implicit-def: $vgpr12_vgpr13
	s_and_saveexec_b64 s[4:5], vcc
	s_cbranch_execz .LBB273_472
	s_branch .LBB273_467
.LBB273_378:
	s_or_b64 exec, exec, s[4:5]
	v_cmp_gt_u32_e32 vcc, s33, v66
	s_and_saveexec_b64 s[4:5], vcc
	s_cbranch_execz .LBB273_298
.LBB273_379:
	v_cmp_ge_u32_e32 vcc, v66, v10
                                        ; implicit-def: $vgpr12_vgpr13
	s_and_saveexec_b64 s[6:7], vcc
	s_xor_b64 s[6:7], exec, s[6:7]
; %bb.380:
	v_xor_b32_e32 v12, 0xfffffdff, v0
	v_ashrrev_i32_e32 v13, 31, v12
	v_lshl_add_u64 v[12:13], v[6:7], 0, v[12:13]
                                        ; implicit-def: $vgpr66_vgpr67
; %bb.381:
	s_andn2_saveexec_b64 s[6:7], s[6:7]
; %bb.382:
	v_lshl_add_u64 v[12:13], v[2:3], 0, v[66:67]
; %bb.383:
	s_or_b64 exec, exec, s[6:7]
	v_lshl_add_u64 v[12:13], v[12:13], 1, s[2:3]
	s_waitcnt lgkmcnt(14)
	global_store_short v[12:13], v98, off
	s_or_b64 exec, exec, s[4:5]
	v_cmp_gt_u32_e32 vcc, s33, v64
	s_and_saveexec_b64 s[4:5], vcc
	s_cbranch_execnz .LBB273_299
.LBB273_384:
	s_or_b64 exec, exec, s[4:5]
	v_cmp_gt_u32_e32 vcc, s33, v62
	s_and_saveexec_b64 s[4:5], vcc
	s_cbranch_execz .LBB273_304
.LBB273_385:
	v_cmp_ge_u32_e32 vcc, v62, v10
                                        ; implicit-def: $vgpr12_vgpr13
	s_and_saveexec_b64 s[6:7], vcc
	s_xor_b64 s[6:7], exec, s[6:7]
; %bb.386:
	v_xor_b32_e32 v12, 0xfffff9ff, v0
	v_ashrrev_i32_e32 v13, 31, v12
	v_lshl_add_u64 v[12:13], v[6:7], 0, v[12:13]
                                        ; implicit-def: $vgpr62_vgpr63
; %bb.387:
	s_andn2_saveexec_b64 s[6:7], s[6:7]
; %bb.388:
	v_lshl_add_u64 v[12:13], v[2:3], 0, v[62:63]
; %bb.389:
	s_or_b64 exec, exec, s[6:7]
	v_lshl_add_u64 v[12:13], v[12:13], 1, s[2:3]
	s_waitcnt lgkmcnt(14)
	global_store_short v[12:13], v96, off
	s_or_b64 exec, exec, s[4:5]
	v_cmp_gt_u32_e32 vcc, s33, v60
	s_and_saveexec_b64 s[4:5], vcc
	s_cbranch_execnz .LBB273_305
.LBB273_390:
	s_or_b64 exec, exec, s[4:5]
	v_cmp_gt_u32_e32 vcc, s33, v58
	s_and_saveexec_b64 s[4:5], vcc
	s_cbranch_execz .LBB273_310
.LBB273_391:
	v_cmp_ge_u32_e32 vcc, v58, v10
                                        ; implicit-def: $vgpr12_vgpr13
	s_and_saveexec_b64 s[6:7], vcc
	s_xor_b64 s[6:7], exec, s[6:7]
; %bb.392:
	v_xor_b32_e32 v12, 0xfffff5ff, v0
	v_ashrrev_i32_e32 v13, 31, v12
	v_lshl_add_u64 v[12:13], v[6:7], 0, v[12:13]
                                        ; implicit-def: $vgpr58_vgpr59
; %bb.393:
	s_andn2_saveexec_b64 s[6:7], s[6:7]
; %bb.394:
	v_lshl_add_u64 v[12:13], v[2:3], 0, v[58:59]
; %bb.395:
	s_or_b64 exec, exec, s[6:7]
	v_lshl_add_u64 v[12:13], v[12:13], 1, s[2:3]
	s_waitcnt lgkmcnt(14)
	global_store_short v[12:13], v94, off
	s_or_b64 exec, exec, s[4:5]
	v_cmp_gt_u32_e32 vcc, s33, v56
	s_and_saveexec_b64 s[4:5], vcc
	s_cbranch_execnz .LBB273_311
.LBB273_396:
	s_or_b64 exec, exec, s[4:5]
	v_cmp_gt_u32_e32 vcc, s33, v54
	s_and_saveexec_b64 s[4:5], vcc
	s_cbranch_execz .LBB273_316
.LBB273_397:
	v_cmp_ge_u32_e32 vcc, v54, v10
                                        ; implicit-def: $vgpr12_vgpr13
	s_and_saveexec_b64 s[6:7], vcc
	s_xor_b64 s[6:7], exec, s[6:7]
; %bb.398:
	v_xor_b32_e32 v12, 0xfffff1ff, v0
	v_ashrrev_i32_e32 v13, 31, v12
	v_lshl_add_u64 v[12:13], v[6:7], 0, v[12:13]
                                        ; implicit-def: $vgpr54_vgpr55
; %bb.399:
	s_andn2_saveexec_b64 s[6:7], s[6:7]
; %bb.400:
	v_lshl_add_u64 v[12:13], v[2:3], 0, v[54:55]
; %bb.401:
	s_or_b64 exec, exec, s[6:7]
	v_lshl_add_u64 v[12:13], v[12:13], 1, s[2:3]
	s_waitcnt lgkmcnt(14)
	global_store_short v[12:13], v92, off
	s_or_b64 exec, exec, s[4:5]
	v_cmp_gt_u32_e32 vcc, s33, v52
	s_and_saveexec_b64 s[4:5], vcc
	s_cbranch_execnz .LBB273_317
.LBB273_402:
	s_or_b64 exec, exec, s[4:5]
	v_cmp_gt_u32_e32 vcc, s33, v50
	s_and_saveexec_b64 s[4:5], vcc
	s_cbranch_execz .LBB273_322
.LBB273_403:
	v_cmp_ge_u32_e32 vcc, v50, v10
                                        ; implicit-def: $vgpr12_vgpr13
	s_and_saveexec_b64 s[6:7], vcc
	s_xor_b64 s[6:7], exec, s[6:7]
; %bb.404:
	v_xor_b32_e32 v12, 0xffffedff, v0
	v_ashrrev_i32_e32 v13, 31, v12
	v_lshl_add_u64 v[12:13], v[6:7], 0, v[12:13]
                                        ; implicit-def: $vgpr50_vgpr51
; %bb.405:
	s_andn2_saveexec_b64 s[6:7], s[6:7]
; %bb.406:
	v_lshl_add_u64 v[12:13], v[2:3], 0, v[50:51]
; %bb.407:
	s_or_b64 exec, exec, s[6:7]
	v_lshl_add_u64 v[12:13], v[12:13], 1, s[2:3]
	s_waitcnt lgkmcnt(14)
	global_store_short v[12:13], v90, off
	s_or_b64 exec, exec, s[4:5]
	v_cmp_gt_u32_e32 vcc, s33, v48
	s_and_saveexec_b64 s[4:5], vcc
	s_cbranch_execnz .LBB273_323
.LBB273_408:
	s_or_b64 exec, exec, s[4:5]
	v_cmp_gt_u32_e32 vcc, s33, v46
	s_and_saveexec_b64 s[4:5], vcc
	s_cbranch_execz .LBB273_328
.LBB273_409:
	v_cmp_ge_u32_e32 vcc, v46, v10
                                        ; implicit-def: $vgpr12_vgpr13
	s_and_saveexec_b64 s[6:7], vcc
	s_xor_b64 s[6:7], exec, s[6:7]
; %bb.410:
	v_xor_b32_e32 v12, 0xffffe9ff, v0
	v_ashrrev_i32_e32 v13, 31, v12
	v_lshl_add_u64 v[12:13], v[6:7], 0, v[12:13]
                                        ; implicit-def: $vgpr46_vgpr47
; %bb.411:
	s_andn2_saveexec_b64 s[6:7], s[6:7]
; %bb.412:
	v_lshl_add_u64 v[12:13], v[2:3], 0, v[46:47]
; %bb.413:
	s_or_b64 exec, exec, s[6:7]
	v_lshl_add_u64 v[12:13], v[12:13], 1, s[2:3]
	s_waitcnt lgkmcnt(14)
	global_store_short v[12:13], v88, off
	s_or_b64 exec, exec, s[4:5]
	v_cmp_gt_u32_e32 vcc, s33, v44
	s_and_saveexec_b64 s[4:5], vcc
	s_cbranch_execnz .LBB273_329
.LBB273_414:
	s_or_b64 exec, exec, s[4:5]
	v_cmp_gt_u32_e32 vcc, s33, v42
	s_and_saveexec_b64 s[4:5], vcc
	s_cbranch_execz .LBB273_334
.LBB273_415:
	v_cmp_ge_u32_e32 vcc, v42, v10
                                        ; implicit-def: $vgpr12_vgpr13
	s_and_saveexec_b64 s[6:7], vcc
	s_xor_b64 s[6:7], exec, s[6:7]
; %bb.416:
	v_xor_b32_e32 v12, 0xffffe5ff, v0
	v_ashrrev_i32_e32 v13, 31, v12
	v_lshl_add_u64 v[12:13], v[6:7], 0, v[12:13]
                                        ; implicit-def: $vgpr42_vgpr43
; %bb.417:
	s_andn2_saveexec_b64 s[6:7], s[6:7]
; %bb.418:
	v_lshl_add_u64 v[12:13], v[2:3], 0, v[42:43]
; %bb.419:
	s_or_b64 exec, exec, s[6:7]
	v_lshl_add_u64 v[12:13], v[12:13], 1, s[2:3]
	s_waitcnt lgkmcnt(14)
	global_store_short v[12:13], v86, off
	s_or_b64 exec, exec, s[4:5]
	v_cmp_gt_u32_e32 vcc, s33, v40
	s_and_saveexec_b64 s[4:5], vcc
	s_cbranch_execnz .LBB273_335
.LBB273_420:
	s_or_b64 exec, exec, s[4:5]
	v_cmp_gt_u32_e32 vcc, s33, v38
	s_and_saveexec_b64 s[4:5], vcc
	s_cbranch_execz .LBB273_340
.LBB273_421:
	v_cmp_ge_u32_e32 vcc, v38, v10
                                        ; implicit-def: $vgpr12_vgpr13
	s_and_saveexec_b64 s[6:7], vcc
	s_xor_b64 s[6:7], exec, s[6:7]
; %bb.422:
	v_xor_b32_e32 v12, 0xffffe1ff, v0
	v_ashrrev_i32_e32 v13, 31, v12
	v_lshl_add_u64 v[12:13], v[6:7], 0, v[12:13]
                                        ; implicit-def: $vgpr38_vgpr39
; %bb.423:
	s_andn2_saveexec_b64 s[6:7], s[6:7]
; %bb.424:
	v_lshl_add_u64 v[12:13], v[2:3], 0, v[38:39]
; %bb.425:
	s_or_b64 exec, exec, s[6:7]
	v_lshl_add_u64 v[12:13], v[12:13], 1, s[2:3]
	s_waitcnt lgkmcnt(14)
	global_store_short v[12:13], v84, off
	s_or_b64 exec, exec, s[4:5]
	v_cmp_gt_u32_e32 vcc, s33, v36
	s_and_saveexec_b64 s[4:5], vcc
	s_cbranch_execnz .LBB273_341
.LBB273_426:
	s_or_b64 exec, exec, s[4:5]
	v_cmp_gt_u32_e32 vcc, s33, v34
	s_and_saveexec_b64 s[4:5], vcc
	s_cbranch_execz .LBB273_346
.LBB273_427:
	v_cmp_ge_u32_e32 vcc, v34, v10
                                        ; implicit-def: $vgpr12_vgpr13
	s_and_saveexec_b64 s[6:7], vcc
	s_xor_b64 s[6:7], exec, s[6:7]
; %bb.428:
	v_xor_b32_e32 v12, 0xffffddff, v0
	v_ashrrev_i32_e32 v13, 31, v12
	v_lshl_add_u64 v[12:13], v[6:7], 0, v[12:13]
                                        ; implicit-def: $vgpr34_vgpr35
; %bb.429:
	s_andn2_saveexec_b64 s[6:7], s[6:7]
; %bb.430:
	v_lshl_add_u64 v[12:13], v[2:3], 0, v[34:35]
; %bb.431:
	s_or_b64 exec, exec, s[6:7]
	v_lshl_add_u64 v[12:13], v[12:13], 1, s[2:3]
	s_waitcnt lgkmcnt(12)
	global_store_short v[12:13], v82, off
	s_or_b64 exec, exec, s[4:5]
	v_cmp_gt_u32_e32 vcc, s33, v32
	s_and_saveexec_b64 s[4:5], vcc
	s_cbranch_execnz .LBB273_347
.LBB273_432:
	s_or_b64 exec, exec, s[4:5]
	v_cmp_gt_u32_e32 vcc, s33, v30
	s_and_saveexec_b64 s[4:5], vcc
	s_cbranch_execz .LBB273_352
.LBB273_433:
	v_cmp_ge_u32_e32 vcc, v30, v10
                                        ; implicit-def: $vgpr12_vgpr13
	s_and_saveexec_b64 s[6:7], vcc
	s_xor_b64 s[6:7], exec, s[6:7]
; %bb.434:
	v_xor_b32_e32 v12, 0xffffd9ff, v0
	v_ashrrev_i32_e32 v13, 31, v12
	v_lshl_add_u64 v[12:13], v[6:7], 0, v[12:13]
                                        ; implicit-def: $vgpr30_vgpr31
; %bb.435:
	s_andn2_saveexec_b64 s[6:7], s[6:7]
; %bb.436:
	v_lshl_add_u64 v[12:13], v[2:3], 0, v[30:31]
; %bb.437:
	s_or_b64 exec, exec, s[6:7]
	v_lshl_add_u64 v[12:13], v[12:13], 1, s[2:3]
	s_waitcnt lgkmcnt(10)
	global_store_short v[12:13], v80, off
	s_or_b64 exec, exec, s[4:5]
	v_cmp_gt_u32_e32 vcc, s33, v28
	s_and_saveexec_b64 s[4:5], vcc
	s_cbranch_execnz .LBB273_353
.LBB273_438:
	s_or_b64 exec, exec, s[4:5]
	v_cmp_gt_u32_e32 vcc, s33, v26
	s_and_saveexec_b64 s[4:5], vcc
	s_cbranch_execz .LBB273_358
.LBB273_439:
	v_cmp_ge_u32_e32 vcc, v26, v10
                                        ; implicit-def: $vgpr12_vgpr13
	s_and_saveexec_b64 s[6:7], vcc
	s_xor_b64 s[6:7], exec, s[6:7]
; %bb.440:
	v_xor_b32_e32 v12, 0xffffd5ff, v0
	v_ashrrev_i32_e32 v13, 31, v12
	v_lshl_add_u64 v[12:13], v[6:7], 0, v[12:13]
                                        ; implicit-def: $vgpr26_vgpr27
; %bb.441:
	s_andn2_saveexec_b64 s[6:7], s[6:7]
; %bb.442:
	v_lshl_add_u64 v[12:13], v[2:3], 0, v[26:27]
; %bb.443:
	s_or_b64 exec, exec, s[6:7]
	v_lshl_add_u64 v[12:13], v[12:13], 1, s[2:3]
	s_waitcnt lgkmcnt(8)
	global_store_short v[12:13], v78, off
	s_or_b64 exec, exec, s[4:5]
	v_cmp_gt_u32_e32 vcc, s33, v24
	s_and_saveexec_b64 s[4:5], vcc
	s_cbranch_execnz .LBB273_359
.LBB273_444:
	s_or_b64 exec, exec, s[4:5]
	v_cmp_gt_u32_e32 vcc, s33, v22
	s_and_saveexec_b64 s[4:5], vcc
	s_cbranch_execz .LBB273_364
.LBB273_445:
	v_cmp_ge_u32_e32 vcc, v22, v10
                                        ; implicit-def: $vgpr12_vgpr13
	s_and_saveexec_b64 s[6:7], vcc
	s_xor_b64 s[6:7], exec, s[6:7]
; %bb.446:
	v_xor_b32_e32 v12, 0xffffd1ff, v0
	v_ashrrev_i32_e32 v13, 31, v12
	v_lshl_add_u64 v[12:13], v[6:7], 0, v[12:13]
                                        ; implicit-def: $vgpr22_vgpr23
; %bb.447:
	s_andn2_saveexec_b64 s[6:7], s[6:7]
; %bb.448:
	v_lshl_add_u64 v[12:13], v[2:3], 0, v[22:23]
; %bb.449:
	s_or_b64 exec, exec, s[6:7]
	v_lshl_add_u64 v[12:13], v[12:13], 1, s[2:3]
	s_waitcnt lgkmcnt(6)
	global_store_short v[12:13], v76, off
	s_or_b64 exec, exec, s[4:5]
	v_cmp_gt_u32_e32 vcc, s33, v20
	s_and_saveexec_b64 s[4:5], vcc
	s_cbranch_execnz .LBB273_365
.LBB273_450:
	s_or_b64 exec, exec, s[4:5]
	v_cmp_gt_u32_e32 vcc, s33, v18
	s_and_saveexec_b64 s[4:5], vcc
	s_cbranch_execz .LBB273_370
.LBB273_451:
	v_cmp_ge_u32_e32 vcc, v18, v10
                                        ; implicit-def: $vgpr12_vgpr13
	s_and_saveexec_b64 s[6:7], vcc
	s_xor_b64 s[6:7], exec, s[6:7]
; %bb.452:
	v_xor_b32_e32 v12, 0xffffcdff, v0
	v_ashrrev_i32_e32 v13, 31, v12
	v_lshl_add_u64 v[12:13], v[6:7], 0, v[12:13]
                                        ; implicit-def: $vgpr18_vgpr19
; %bb.453:
	s_andn2_saveexec_b64 s[6:7], s[6:7]
; %bb.454:
	v_lshl_add_u64 v[12:13], v[2:3], 0, v[18:19]
; %bb.455:
	s_or_b64 exec, exec, s[6:7]
	v_lshl_add_u64 v[12:13], v[12:13], 1, s[2:3]
	s_waitcnt lgkmcnt(4)
	global_store_short v[12:13], v74, off
	s_or_b64 exec, exec, s[4:5]
	v_cmp_gt_u32_e32 vcc, s33, v16
	s_and_saveexec_b64 s[4:5], vcc
	s_cbranch_execnz .LBB273_371
.LBB273_456:
	s_or_b64 exec, exec, s[4:5]
	v_cmp_gt_u32_e32 vcc, s33, v14
	s_and_saveexec_b64 s[4:5], vcc
	s_cbranch_execz .LBB273_376
.LBB273_457:
	v_cmp_ge_u32_e32 vcc, v14, v10
                                        ; implicit-def: $vgpr12_vgpr13
	s_and_saveexec_b64 s[6:7], vcc
	s_xor_b64 s[6:7], exec, s[6:7]
; %bb.458:
	v_xor_b32_e32 v12, 0xffffc9ff, v0
	v_ashrrev_i32_e32 v13, 31, v12
	v_lshl_add_u64 v[12:13], v[6:7], 0, v[12:13]
                                        ; implicit-def: $vgpr14_vgpr15
; %bb.459:
	s_andn2_saveexec_b64 s[6:7], s[6:7]
; %bb.460:
	v_lshl_add_u64 v[12:13], v[2:3], 0, v[14:15]
; %bb.461:
	s_or_b64 exec, exec, s[6:7]
	v_lshl_add_u64 v[12:13], v[12:13], 1, s[2:3]
	s_waitcnt lgkmcnt(2)
	global_store_short v[12:13], v72, off
	s_or_b64 exec, exec, s[4:5]
	v_cmp_gt_u32_e32 vcc, s33, v8
	s_and_saveexec_b64 s[4:5], vcc
	s_cbranch_execz .LBB273_377
.LBB273_462:
	v_cmp_ge_u32_e32 vcc, v8, v10
                                        ; implicit-def: $vgpr12_vgpr13
	s_and_saveexec_b64 s[6:7], vcc
	s_xor_b64 s[6:7], exec, s[6:7]
; %bb.463:
	v_xor_b32_e32 v8, 0xffffc7ff, v0
	v_ashrrev_i32_e32 v9, 31, v8
	v_lshl_add_u64 v[12:13], v[6:7], 0, v[8:9]
                                        ; implicit-def: $vgpr8_vgpr9
; %bb.464:
	s_andn2_saveexec_b64 s[6:7], s[6:7]
; %bb.465:
	v_lshl_add_u64 v[12:13], v[2:3], 0, v[8:9]
; %bb.466:
	s_or_b64 exec, exec, s[6:7]
	v_lshl_add_u64 v[8:9], v[12:13], 1, s[2:3]
	s_waitcnt lgkmcnt(1)
	global_store_short v[8:9], v71, off
	s_or_b64 exec, exec, s[4:5]
	v_cmp_gt_u32_e32 vcc, s33, v4
                                        ; implicit-def: $vgpr12_vgpr13
	s_and_saveexec_b64 s[4:5], vcc
	s_cbranch_execz .LBB273_472
.LBB273_467:
	v_cmp_ge_u32_e32 vcc, v4, v10
                                        ; implicit-def: $vgpr12_vgpr13
	s_and_saveexec_b64 s[6:7], vcc
	s_xor_b64 s[6:7], exec, s[6:7]
; %bb.468:
	v_xor_b32_e32 v4, 0xffffc5ff, v0
	v_ashrrev_i32_e32 v5, 31, v4
	v_lshl_add_u64 v[12:13], v[6:7], 0, v[4:5]
                                        ; implicit-def: $vgpr4_vgpr5
; %bb.469:
	s_andn2_saveexec_b64 s[6:7], s[6:7]
; %bb.470:
	v_lshl_add_u64 v[12:13], v[2:3], 0, v[4:5]
; %bb.471:
	s_or_b64 exec, exec, s[6:7]
	s_or_b64 s[0:1], s[0:1], exec
.LBB273_472:
	s_or_b64 exec, exec, s[4:5]
.LBB273_473:
	s_and_saveexec_b64 s[4:5], s[0:1]
	s_cbranch_execz .LBB273_475
; %bb.474:
	v_lshl_add_u64 v[4:5], v[12:13], 1, s[2:3]
	s_waitcnt lgkmcnt(0)
	global_store_short v[4:5], v70, off
.LBB273_475:
	s_or_b64 exec, exec, s[4:5]
	v_cmp_eq_u32_e32 vcc, 0, v0
	s_and_b64 s[0:1], vcc, s[22:23]
	s_and_saveexec_b64 s[2:3], s[0:1]
	s_cbranch_execz .LBB273_477
; %bb.476:
	v_mov_b32_e32 v4, 0
	v_lshl_add_u64 v[0:1], v[2:3], 0, v[10:11]
	global_store_dwordx2 v4, v[0:1], s[20:21]
.LBB273_477:
	s_endpgm
	.section	.rodata,"a",@progbits
	.p2align	6, 0x0
	.amdhsa_kernel _ZN7rocprim17ROCPRIM_400000_NS6detail17trampoline_kernelINS0_14default_configENS1_25partition_config_selectorILNS1_17partition_subalgoE2EsNS0_10empty_typeEbEEZZNS1_14partition_implILS5_2ELb0ES3_jN6thrust23THRUST_200600_302600_NS6detail15normal_iteratorINSA_7pointerIsNSA_11hip_rocprim3tagENSA_11use_defaultESG_EEEEPS6_NSA_18transform_iteratorI7is_evenIsENSC_INSA_10device_ptrIsEEEESG_SG_EENS0_5tupleIJPsSJ_EEENSR_IJSJ_SJ_EEES6_PlJS6_EEE10hipError_tPvRmT3_T4_T5_T6_T7_T9_mT8_P12ihipStream_tbDpT10_ENKUlT_T0_E_clISt17integral_constantIbLb1EES1E_IbLb0EEEEDaS1A_S1B_EUlS1A_E_NS1_11comp_targetILNS1_3genE5ELNS1_11target_archE942ELNS1_3gpuE9ELNS1_3repE0EEENS1_30default_config_static_selectorELNS0_4arch9wavefront6targetE1EEEvT1_
		.amdhsa_group_segment_fixed_size 30728
		.amdhsa_private_segment_fixed_size 0
		.amdhsa_kernarg_size 128
		.amdhsa_user_sgpr_count 2
		.amdhsa_user_sgpr_dispatch_ptr 0
		.amdhsa_user_sgpr_queue_ptr 0
		.amdhsa_user_sgpr_kernarg_segment_ptr 1
		.amdhsa_user_sgpr_dispatch_id 0
		.amdhsa_user_sgpr_kernarg_preload_length 0
		.amdhsa_user_sgpr_kernarg_preload_offset 0
		.amdhsa_user_sgpr_private_segment_size 0
		.amdhsa_uses_dynamic_stack 0
		.amdhsa_enable_private_segment 0
		.amdhsa_system_sgpr_workgroup_id_x 1
		.amdhsa_system_sgpr_workgroup_id_y 0
		.amdhsa_system_sgpr_workgroup_id_z 0
		.amdhsa_system_sgpr_workgroup_info 0
		.amdhsa_system_vgpr_workitem_id 0
		.amdhsa_next_free_vgpr 100
		.amdhsa_next_free_sgpr 46
		.amdhsa_accum_offset 100
		.amdhsa_reserve_vcc 1
		.amdhsa_float_round_mode_32 0
		.amdhsa_float_round_mode_16_64 0
		.amdhsa_float_denorm_mode_32 3
		.amdhsa_float_denorm_mode_16_64 3
		.amdhsa_dx10_clamp 1
		.amdhsa_ieee_mode 1
		.amdhsa_fp16_overflow 0
		.amdhsa_tg_split 0
		.amdhsa_exception_fp_ieee_invalid_op 0
		.amdhsa_exception_fp_denorm_src 0
		.amdhsa_exception_fp_ieee_div_zero 0
		.amdhsa_exception_fp_ieee_overflow 0
		.amdhsa_exception_fp_ieee_underflow 0
		.amdhsa_exception_fp_ieee_inexact 0
		.amdhsa_exception_int_div_zero 0
	.end_amdhsa_kernel
	.section	.text._ZN7rocprim17ROCPRIM_400000_NS6detail17trampoline_kernelINS0_14default_configENS1_25partition_config_selectorILNS1_17partition_subalgoE2EsNS0_10empty_typeEbEEZZNS1_14partition_implILS5_2ELb0ES3_jN6thrust23THRUST_200600_302600_NS6detail15normal_iteratorINSA_7pointerIsNSA_11hip_rocprim3tagENSA_11use_defaultESG_EEEEPS6_NSA_18transform_iteratorI7is_evenIsENSC_INSA_10device_ptrIsEEEESG_SG_EENS0_5tupleIJPsSJ_EEENSR_IJSJ_SJ_EEES6_PlJS6_EEE10hipError_tPvRmT3_T4_T5_T6_T7_T9_mT8_P12ihipStream_tbDpT10_ENKUlT_T0_E_clISt17integral_constantIbLb1EES1E_IbLb0EEEEDaS1A_S1B_EUlS1A_E_NS1_11comp_targetILNS1_3genE5ELNS1_11target_archE942ELNS1_3gpuE9ELNS1_3repE0EEENS1_30default_config_static_selectorELNS0_4arch9wavefront6targetE1EEEvT1_,"axG",@progbits,_ZN7rocprim17ROCPRIM_400000_NS6detail17trampoline_kernelINS0_14default_configENS1_25partition_config_selectorILNS1_17partition_subalgoE2EsNS0_10empty_typeEbEEZZNS1_14partition_implILS5_2ELb0ES3_jN6thrust23THRUST_200600_302600_NS6detail15normal_iteratorINSA_7pointerIsNSA_11hip_rocprim3tagENSA_11use_defaultESG_EEEEPS6_NSA_18transform_iteratorI7is_evenIsENSC_INSA_10device_ptrIsEEEESG_SG_EENS0_5tupleIJPsSJ_EEENSR_IJSJ_SJ_EEES6_PlJS6_EEE10hipError_tPvRmT3_T4_T5_T6_T7_T9_mT8_P12ihipStream_tbDpT10_ENKUlT_T0_E_clISt17integral_constantIbLb1EES1E_IbLb0EEEEDaS1A_S1B_EUlS1A_E_NS1_11comp_targetILNS1_3genE5ELNS1_11target_archE942ELNS1_3gpuE9ELNS1_3repE0EEENS1_30default_config_static_selectorELNS0_4arch9wavefront6targetE1EEEvT1_,comdat
.Lfunc_end273:
	.size	_ZN7rocprim17ROCPRIM_400000_NS6detail17trampoline_kernelINS0_14default_configENS1_25partition_config_selectorILNS1_17partition_subalgoE2EsNS0_10empty_typeEbEEZZNS1_14partition_implILS5_2ELb0ES3_jN6thrust23THRUST_200600_302600_NS6detail15normal_iteratorINSA_7pointerIsNSA_11hip_rocprim3tagENSA_11use_defaultESG_EEEEPS6_NSA_18transform_iteratorI7is_evenIsENSC_INSA_10device_ptrIsEEEESG_SG_EENS0_5tupleIJPsSJ_EEENSR_IJSJ_SJ_EEES6_PlJS6_EEE10hipError_tPvRmT3_T4_T5_T6_T7_T9_mT8_P12ihipStream_tbDpT10_ENKUlT_T0_E_clISt17integral_constantIbLb1EES1E_IbLb0EEEEDaS1A_S1B_EUlS1A_E_NS1_11comp_targetILNS1_3genE5ELNS1_11target_archE942ELNS1_3gpuE9ELNS1_3repE0EEENS1_30default_config_static_selectorELNS0_4arch9wavefront6targetE1EEEvT1_, .Lfunc_end273-_ZN7rocprim17ROCPRIM_400000_NS6detail17trampoline_kernelINS0_14default_configENS1_25partition_config_selectorILNS1_17partition_subalgoE2EsNS0_10empty_typeEbEEZZNS1_14partition_implILS5_2ELb0ES3_jN6thrust23THRUST_200600_302600_NS6detail15normal_iteratorINSA_7pointerIsNSA_11hip_rocprim3tagENSA_11use_defaultESG_EEEEPS6_NSA_18transform_iteratorI7is_evenIsENSC_INSA_10device_ptrIsEEEESG_SG_EENS0_5tupleIJPsSJ_EEENSR_IJSJ_SJ_EEES6_PlJS6_EEE10hipError_tPvRmT3_T4_T5_T6_T7_T9_mT8_P12ihipStream_tbDpT10_ENKUlT_T0_E_clISt17integral_constantIbLb1EES1E_IbLb0EEEEDaS1A_S1B_EUlS1A_E_NS1_11comp_targetILNS1_3genE5ELNS1_11target_archE942ELNS1_3gpuE9ELNS1_3repE0EEENS1_30default_config_static_selectorELNS0_4arch9wavefront6targetE1EEEvT1_
                                        ; -- End function
	.section	.AMDGPU.csdata,"",@progbits
; Kernel info:
; codeLenInByte = 14708
; NumSgprs: 52
; NumVgprs: 100
; NumAgprs: 0
; TotalNumVgprs: 100
; ScratchSize: 0
; MemoryBound: 0
; FloatMode: 240
; IeeeMode: 1
; LDSByteSize: 30728 bytes/workgroup (compile time only)
; SGPRBlocks: 6
; VGPRBlocks: 12
; NumSGPRsForWavesPerEU: 52
; NumVGPRsForWavesPerEU: 100
; AccumOffset: 100
; Occupancy: 4
; WaveLimiterHint : 1
; COMPUTE_PGM_RSRC2:SCRATCH_EN: 0
; COMPUTE_PGM_RSRC2:USER_SGPR: 2
; COMPUTE_PGM_RSRC2:TRAP_HANDLER: 0
; COMPUTE_PGM_RSRC2:TGID_X_EN: 1
; COMPUTE_PGM_RSRC2:TGID_Y_EN: 0
; COMPUTE_PGM_RSRC2:TGID_Z_EN: 0
; COMPUTE_PGM_RSRC2:TIDIG_COMP_CNT: 0
; COMPUTE_PGM_RSRC3_GFX90A:ACCUM_OFFSET: 24
; COMPUTE_PGM_RSRC3_GFX90A:TG_SPLIT: 0
	.section	.text._ZN7rocprim17ROCPRIM_400000_NS6detail17trampoline_kernelINS0_14default_configENS1_25partition_config_selectorILNS1_17partition_subalgoE2EsNS0_10empty_typeEbEEZZNS1_14partition_implILS5_2ELb0ES3_jN6thrust23THRUST_200600_302600_NS6detail15normal_iteratorINSA_7pointerIsNSA_11hip_rocprim3tagENSA_11use_defaultESG_EEEEPS6_NSA_18transform_iteratorI7is_evenIsENSC_INSA_10device_ptrIsEEEESG_SG_EENS0_5tupleIJPsSJ_EEENSR_IJSJ_SJ_EEES6_PlJS6_EEE10hipError_tPvRmT3_T4_T5_T6_T7_T9_mT8_P12ihipStream_tbDpT10_ENKUlT_T0_E_clISt17integral_constantIbLb1EES1E_IbLb0EEEEDaS1A_S1B_EUlS1A_E_NS1_11comp_targetILNS1_3genE4ELNS1_11target_archE910ELNS1_3gpuE8ELNS1_3repE0EEENS1_30default_config_static_selectorELNS0_4arch9wavefront6targetE1EEEvT1_,"axG",@progbits,_ZN7rocprim17ROCPRIM_400000_NS6detail17trampoline_kernelINS0_14default_configENS1_25partition_config_selectorILNS1_17partition_subalgoE2EsNS0_10empty_typeEbEEZZNS1_14partition_implILS5_2ELb0ES3_jN6thrust23THRUST_200600_302600_NS6detail15normal_iteratorINSA_7pointerIsNSA_11hip_rocprim3tagENSA_11use_defaultESG_EEEEPS6_NSA_18transform_iteratorI7is_evenIsENSC_INSA_10device_ptrIsEEEESG_SG_EENS0_5tupleIJPsSJ_EEENSR_IJSJ_SJ_EEES6_PlJS6_EEE10hipError_tPvRmT3_T4_T5_T6_T7_T9_mT8_P12ihipStream_tbDpT10_ENKUlT_T0_E_clISt17integral_constantIbLb1EES1E_IbLb0EEEEDaS1A_S1B_EUlS1A_E_NS1_11comp_targetILNS1_3genE4ELNS1_11target_archE910ELNS1_3gpuE8ELNS1_3repE0EEENS1_30default_config_static_selectorELNS0_4arch9wavefront6targetE1EEEvT1_,comdat
	.protected	_ZN7rocprim17ROCPRIM_400000_NS6detail17trampoline_kernelINS0_14default_configENS1_25partition_config_selectorILNS1_17partition_subalgoE2EsNS0_10empty_typeEbEEZZNS1_14partition_implILS5_2ELb0ES3_jN6thrust23THRUST_200600_302600_NS6detail15normal_iteratorINSA_7pointerIsNSA_11hip_rocprim3tagENSA_11use_defaultESG_EEEEPS6_NSA_18transform_iteratorI7is_evenIsENSC_INSA_10device_ptrIsEEEESG_SG_EENS0_5tupleIJPsSJ_EEENSR_IJSJ_SJ_EEES6_PlJS6_EEE10hipError_tPvRmT3_T4_T5_T6_T7_T9_mT8_P12ihipStream_tbDpT10_ENKUlT_T0_E_clISt17integral_constantIbLb1EES1E_IbLb0EEEEDaS1A_S1B_EUlS1A_E_NS1_11comp_targetILNS1_3genE4ELNS1_11target_archE910ELNS1_3gpuE8ELNS1_3repE0EEENS1_30default_config_static_selectorELNS0_4arch9wavefront6targetE1EEEvT1_ ; -- Begin function _ZN7rocprim17ROCPRIM_400000_NS6detail17trampoline_kernelINS0_14default_configENS1_25partition_config_selectorILNS1_17partition_subalgoE2EsNS0_10empty_typeEbEEZZNS1_14partition_implILS5_2ELb0ES3_jN6thrust23THRUST_200600_302600_NS6detail15normal_iteratorINSA_7pointerIsNSA_11hip_rocprim3tagENSA_11use_defaultESG_EEEEPS6_NSA_18transform_iteratorI7is_evenIsENSC_INSA_10device_ptrIsEEEESG_SG_EENS0_5tupleIJPsSJ_EEENSR_IJSJ_SJ_EEES6_PlJS6_EEE10hipError_tPvRmT3_T4_T5_T6_T7_T9_mT8_P12ihipStream_tbDpT10_ENKUlT_T0_E_clISt17integral_constantIbLb1EES1E_IbLb0EEEEDaS1A_S1B_EUlS1A_E_NS1_11comp_targetILNS1_3genE4ELNS1_11target_archE910ELNS1_3gpuE8ELNS1_3repE0EEENS1_30default_config_static_selectorELNS0_4arch9wavefront6targetE1EEEvT1_
	.globl	_ZN7rocprim17ROCPRIM_400000_NS6detail17trampoline_kernelINS0_14default_configENS1_25partition_config_selectorILNS1_17partition_subalgoE2EsNS0_10empty_typeEbEEZZNS1_14partition_implILS5_2ELb0ES3_jN6thrust23THRUST_200600_302600_NS6detail15normal_iteratorINSA_7pointerIsNSA_11hip_rocprim3tagENSA_11use_defaultESG_EEEEPS6_NSA_18transform_iteratorI7is_evenIsENSC_INSA_10device_ptrIsEEEESG_SG_EENS0_5tupleIJPsSJ_EEENSR_IJSJ_SJ_EEES6_PlJS6_EEE10hipError_tPvRmT3_T4_T5_T6_T7_T9_mT8_P12ihipStream_tbDpT10_ENKUlT_T0_E_clISt17integral_constantIbLb1EES1E_IbLb0EEEEDaS1A_S1B_EUlS1A_E_NS1_11comp_targetILNS1_3genE4ELNS1_11target_archE910ELNS1_3gpuE8ELNS1_3repE0EEENS1_30default_config_static_selectorELNS0_4arch9wavefront6targetE1EEEvT1_
	.p2align	8
	.type	_ZN7rocprim17ROCPRIM_400000_NS6detail17trampoline_kernelINS0_14default_configENS1_25partition_config_selectorILNS1_17partition_subalgoE2EsNS0_10empty_typeEbEEZZNS1_14partition_implILS5_2ELb0ES3_jN6thrust23THRUST_200600_302600_NS6detail15normal_iteratorINSA_7pointerIsNSA_11hip_rocprim3tagENSA_11use_defaultESG_EEEEPS6_NSA_18transform_iteratorI7is_evenIsENSC_INSA_10device_ptrIsEEEESG_SG_EENS0_5tupleIJPsSJ_EEENSR_IJSJ_SJ_EEES6_PlJS6_EEE10hipError_tPvRmT3_T4_T5_T6_T7_T9_mT8_P12ihipStream_tbDpT10_ENKUlT_T0_E_clISt17integral_constantIbLb1EES1E_IbLb0EEEEDaS1A_S1B_EUlS1A_E_NS1_11comp_targetILNS1_3genE4ELNS1_11target_archE910ELNS1_3gpuE8ELNS1_3repE0EEENS1_30default_config_static_selectorELNS0_4arch9wavefront6targetE1EEEvT1_,@function
_ZN7rocprim17ROCPRIM_400000_NS6detail17trampoline_kernelINS0_14default_configENS1_25partition_config_selectorILNS1_17partition_subalgoE2EsNS0_10empty_typeEbEEZZNS1_14partition_implILS5_2ELb0ES3_jN6thrust23THRUST_200600_302600_NS6detail15normal_iteratorINSA_7pointerIsNSA_11hip_rocprim3tagENSA_11use_defaultESG_EEEEPS6_NSA_18transform_iteratorI7is_evenIsENSC_INSA_10device_ptrIsEEEESG_SG_EENS0_5tupleIJPsSJ_EEENSR_IJSJ_SJ_EEES6_PlJS6_EEE10hipError_tPvRmT3_T4_T5_T6_T7_T9_mT8_P12ihipStream_tbDpT10_ENKUlT_T0_E_clISt17integral_constantIbLb1EES1E_IbLb0EEEEDaS1A_S1B_EUlS1A_E_NS1_11comp_targetILNS1_3genE4ELNS1_11target_archE910ELNS1_3gpuE8ELNS1_3repE0EEENS1_30default_config_static_selectorELNS0_4arch9wavefront6targetE1EEEvT1_: ; @_ZN7rocprim17ROCPRIM_400000_NS6detail17trampoline_kernelINS0_14default_configENS1_25partition_config_selectorILNS1_17partition_subalgoE2EsNS0_10empty_typeEbEEZZNS1_14partition_implILS5_2ELb0ES3_jN6thrust23THRUST_200600_302600_NS6detail15normal_iteratorINSA_7pointerIsNSA_11hip_rocprim3tagENSA_11use_defaultESG_EEEEPS6_NSA_18transform_iteratorI7is_evenIsENSC_INSA_10device_ptrIsEEEESG_SG_EENS0_5tupleIJPsSJ_EEENSR_IJSJ_SJ_EEES6_PlJS6_EEE10hipError_tPvRmT3_T4_T5_T6_T7_T9_mT8_P12ihipStream_tbDpT10_ENKUlT_T0_E_clISt17integral_constantIbLb1EES1E_IbLb0EEEEDaS1A_S1B_EUlS1A_E_NS1_11comp_targetILNS1_3genE4ELNS1_11target_archE910ELNS1_3gpuE8ELNS1_3repE0EEENS1_30default_config_static_selectorELNS0_4arch9wavefront6targetE1EEEvT1_
; %bb.0:
	.section	.rodata,"a",@progbits
	.p2align	6, 0x0
	.amdhsa_kernel _ZN7rocprim17ROCPRIM_400000_NS6detail17trampoline_kernelINS0_14default_configENS1_25partition_config_selectorILNS1_17partition_subalgoE2EsNS0_10empty_typeEbEEZZNS1_14partition_implILS5_2ELb0ES3_jN6thrust23THRUST_200600_302600_NS6detail15normal_iteratorINSA_7pointerIsNSA_11hip_rocprim3tagENSA_11use_defaultESG_EEEEPS6_NSA_18transform_iteratorI7is_evenIsENSC_INSA_10device_ptrIsEEEESG_SG_EENS0_5tupleIJPsSJ_EEENSR_IJSJ_SJ_EEES6_PlJS6_EEE10hipError_tPvRmT3_T4_T5_T6_T7_T9_mT8_P12ihipStream_tbDpT10_ENKUlT_T0_E_clISt17integral_constantIbLb1EES1E_IbLb0EEEEDaS1A_S1B_EUlS1A_E_NS1_11comp_targetILNS1_3genE4ELNS1_11target_archE910ELNS1_3gpuE8ELNS1_3repE0EEENS1_30default_config_static_selectorELNS0_4arch9wavefront6targetE1EEEvT1_
		.amdhsa_group_segment_fixed_size 0
		.amdhsa_private_segment_fixed_size 0
		.amdhsa_kernarg_size 128
		.amdhsa_user_sgpr_count 2
		.amdhsa_user_sgpr_dispatch_ptr 0
		.amdhsa_user_sgpr_queue_ptr 0
		.amdhsa_user_sgpr_kernarg_segment_ptr 1
		.amdhsa_user_sgpr_dispatch_id 0
		.amdhsa_user_sgpr_kernarg_preload_length 0
		.amdhsa_user_sgpr_kernarg_preload_offset 0
		.amdhsa_user_sgpr_private_segment_size 0
		.amdhsa_uses_dynamic_stack 0
		.amdhsa_enable_private_segment 0
		.amdhsa_system_sgpr_workgroup_id_x 1
		.amdhsa_system_sgpr_workgroup_id_y 0
		.amdhsa_system_sgpr_workgroup_id_z 0
		.amdhsa_system_sgpr_workgroup_info 0
		.amdhsa_system_vgpr_workitem_id 0
		.amdhsa_next_free_vgpr 1
		.amdhsa_next_free_sgpr 0
		.amdhsa_accum_offset 4
		.amdhsa_reserve_vcc 0
		.amdhsa_float_round_mode_32 0
		.amdhsa_float_round_mode_16_64 0
		.amdhsa_float_denorm_mode_32 3
		.amdhsa_float_denorm_mode_16_64 3
		.amdhsa_dx10_clamp 1
		.amdhsa_ieee_mode 1
		.amdhsa_fp16_overflow 0
		.amdhsa_tg_split 0
		.amdhsa_exception_fp_ieee_invalid_op 0
		.amdhsa_exception_fp_denorm_src 0
		.amdhsa_exception_fp_ieee_div_zero 0
		.amdhsa_exception_fp_ieee_overflow 0
		.amdhsa_exception_fp_ieee_underflow 0
		.amdhsa_exception_fp_ieee_inexact 0
		.amdhsa_exception_int_div_zero 0
	.end_amdhsa_kernel
	.section	.text._ZN7rocprim17ROCPRIM_400000_NS6detail17trampoline_kernelINS0_14default_configENS1_25partition_config_selectorILNS1_17partition_subalgoE2EsNS0_10empty_typeEbEEZZNS1_14partition_implILS5_2ELb0ES3_jN6thrust23THRUST_200600_302600_NS6detail15normal_iteratorINSA_7pointerIsNSA_11hip_rocprim3tagENSA_11use_defaultESG_EEEEPS6_NSA_18transform_iteratorI7is_evenIsENSC_INSA_10device_ptrIsEEEESG_SG_EENS0_5tupleIJPsSJ_EEENSR_IJSJ_SJ_EEES6_PlJS6_EEE10hipError_tPvRmT3_T4_T5_T6_T7_T9_mT8_P12ihipStream_tbDpT10_ENKUlT_T0_E_clISt17integral_constantIbLb1EES1E_IbLb0EEEEDaS1A_S1B_EUlS1A_E_NS1_11comp_targetILNS1_3genE4ELNS1_11target_archE910ELNS1_3gpuE8ELNS1_3repE0EEENS1_30default_config_static_selectorELNS0_4arch9wavefront6targetE1EEEvT1_,"axG",@progbits,_ZN7rocprim17ROCPRIM_400000_NS6detail17trampoline_kernelINS0_14default_configENS1_25partition_config_selectorILNS1_17partition_subalgoE2EsNS0_10empty_typeEbEEZZNS1_14partition_implILS5_2ELb0ES3_jN6thrust23THRUST_200600_302600_NS6detail15normal_iteratorINSA_7pointerIsNSA_11hip_rocprim3tagENSA_11use_defaultESG_EEEEPS6_NSA_18transform_iteratorI7is_evenIsENSC_INSA_10device_ptrIsEEEESG_SG_EENS0_5tupleIJPsSJ_EEENSR_IJSJ_SJ_EEES6_PlJS6_EEE10hipError_tPvRmT3_T4_T5_T6_T7_T9_mT8_P12ihipStream_tbDpT10_ENKUlT_T0_E_clISt17integral_constantIbLb1EES1E_IbLb0EEEEDaS1A_S1B_EUlS1A_E_NS1_11comp_targetILNS1_3genE4ELNS1_11target_archE910ELNS1_3gpuE8ELNS1_3repE0EEENS1_30default_config_static_selectorELNS0_4arch9wavefront6targetE1EEEvT1_,comdat
.Lfunc_end274:
	.size	_ZN7rocprim17ROCPRIM_400000_NS6detail17trampoline_kernelINS0_14default_configENS1_25partition_config_selectorILNS1_17partition_subalgoE2EsNS0_10empty_typeEbEEZZNS1_14partition_implILS5_2ELb0ES3_jN6thrust23THRUST_200600_302600_NS6detail15normal_iteratorINSA_7pointerIsNSA_11hip_rocprim3tagENSA_11use_defaultESG_EEEEPS6_NSA_18transform_iteratorI7is_evenIsENSC_INSA_10device_ptrIsEEEESG_SG_EENS0_5tupleIJPsSJ_EEENSR_IJSJ_SJ_EEES6_PlJS6_EEE10hipError_tPvRmT3_T4_T5_T6_T7_T9_mT8_P12ihipStream_tbDpT10_ENKUlT_T0_E_clISt17integral_constantIbLb1EES1E_IbLb0EEEEDaS1A_S1B_EUlS1A_E_NS1_11comp_targetILNS1_3genE4ELNS1_11target_archE910ELNS1_3gpuE8ELNS1_3repE0EEENS1_30default_config_static_selectorELNS0_4arch9wavefront6targetE1EEEvT1_, .Lfunc_end274-_ZN7rocprim17ROCPRIM_400000_NS6detail17trampoline_kernelINS0_14default_configENS1_25partition_config_selectorILNS1_17partition_subalgoE2EsNS0_10empty_typeEbEEZZNS1_14partition_implILS5_2ELb0ES3_jN6thrust23THRUST_200600_302600_NS6detail15normal_iteratorINSA_7pointerIsNSA_11hip_rocprim3tagENSA_11use_defaultESG_EEEEPS6_NSA_18transform_iteratorI7is_evenIsENSC_INSA_10device_ptrIsEEEESG_SG_EENS0_5tupleIJPsSJ_EEENSR_IJSJ_SJ_EEES6_PlJS6_EEE10hipError_tPvRmT3_T4_T5_T6_T7_T9_mT8_P12ihipStream_tbDpT10_ENKUlT_T0_E_clISt17integral_constantIbLb1EES1E_IbLb0EEEEDaS1A_S1B_EUlS1A_E_NS1_11comp_targetILNS1_3genE4ELNS1_11target_archE910ELNS1_3gpuE8ELNS1_3repE0EEENS1_30default_config_static_selectorELNS0_4arch9wavefront6targetE1EEEvT1_
                                        ; -- End function
	.section	.AMDGPU.csdata,"",@progbits
; Kernel info:
; codeLenInByte = 0
; NumSgprs: 6
; NumVgprs: 0
; NumAgprs: 0
; TotalNumVgprs: 0
; ScratchSize: 0
; MemoryBound: 0
; FloatMode: 240
; IeeeMode: 1
; LDSByteSize: 0 bytes/workgroup (compile time only)
; SGPRBlocks: 0
; VGPRBlocks: 0
; NumSGPRsForWavesPerEU: 6
; NumVGPRsForWavesPerEU: 1
; AccumOffset: 4
; Occupancy: 8
; WaveLimiterHint : 0
; COMPUTE_PGM_RSRC2:SCRATCH_EN: 0
; COMPUTE_PGM_RSRC2:USER_SGPR: 2
; COMPUTE_PGM_RSRC2:TRAP_HANDLER: 0
; COMPUTE_PGM_RSRC2:TGID_X_EN: 1
; COMPUTE_PGM_RSRC2:TGID_Y_EN: 0
; COMPUTE_PGM_RSRC2:TGID_Z_EN: 0
; COMPUTE_PGM_RSRC2:TIDIG_COMP_CNT: 0
; COMPUTE_PGM_RSRC3_GFX90A:ACCUM_OFFSET: 0
; COMPUTE_PGM_RSRC3_GFX90A:TG_SPLIT: 0
	.section	.text._ZN7rocprim17ROCPRIM_400000_NS6detail17trampoline_kernelINS0_14default_configENS1_25partition_config_selectorILNS1_17partition_subalgoE2EsNS0_10empty_typeEbEEZZNS1_14partition_implILS5_2ELb0ES3_jN6thrust23THRUST_200600_302600_NS6detail15normal_iteratorINSA_7pointerIsNSA_11hip_rocprim3tagENSA_11use_defaultESG_EEEEPS6_NSA_18transform_iteratorI7is_evenIsENSC_INSA_10device_ptrIsEEEESG_SG_EENS0_5tupleIJPsSJ_EEENSR_IJSJ_SJ_EEES6_PlJS6_EEE10hipError_tPvRmT3_T4_T5_T6_T7_T9_mT8_P12ihipStream_tbDpT10_ENKUlT_T0_E_clISt17integral_constantIbLb1EES1E_IbLb0EEEEDaS1A_S1B_EUlS1A_E_NS1_11comp_targetILNS1_3genE3ELNS1_11target_archE908ELNS1_3gpuE7ELNS1_3repE0EEENS1_30default_config_static_selectorELNS0_4arch9wavefront6targetE1EEEvT1_,"axG",@progbits,_ZN7rocprim17ROCPRIM_400000_NS6detail17trampoline_kernelINS0_14default_configENS1_25partition_config_selectorILNS1_17partition_subalgoE2EsNS0_10empty_typeEbEEZZNS1_14partition_implILS5_2ELb0ES3_jN6thrust23THRUST_200600_302600_NS6detail15normal_iteratorINSA_7pointerIsNSA_11hip_rocprim3tagENSA_11use_defaultESG_EEEEPS6_NSA_18transform_iteratorI7is_evenIsENSC_INSA_10device_ptrIsEEEESG_SG_EENS0_5tupleIJPsSJ_EEENSR_IJSJ_SJ_EEES6_PlJS6_EEE10hipError_tPvRmT3_T4_T5_T6_T7_T9_mT8_P12ihipStream_tbDpT10_ENKUlT_T0_E_clISt17integral_constantIbLb1EES1E_IbLb0EEEEDaS1A_S1B_EUlS1A_E_NS1_11comp_targetILNS1_3genE3ELNS1_11target_archE908ELNS1_3gpuE7ELNS1_3repE0EEENS1_30default_config_static_selectorELNS0_4arch9wavefront6targetE1EEEvT1_,comdat
	.protected	_ZN7rocprim17ROCPRIM_400000_NS6detail17trampoline_kernelINS0_14default_configENS1_25partition_config_selectorILNS1_17partition_subalgoE2EsNS0_10empty_typeEbEEZZNS1_14partition_implILS5_2ELb0ES3_jN6thrust23THRUST_200600_302600_NS6detail15normal_iteratorINSA_7pointerIsNSA_11hip_rocprim3tagENSA_11use_defaultESG_EEEEPS6_NSA_18transform_iteratorI7is_evenIsENSC_INSA_10device_ptrIsEEEESG_SG_EENS0_5tupleIJPsSJ_EEENSR_IJSJ_SJ_EEES6_PlJS6_EEE10hipError_tPvRmT3_T4_T5_T6_T7_T9_mT8_P12ihipStream_tbDpT10_ENKUlT_T0_E_clISt17integral_constantIbLb1EES1E_IbLb0EEEEDaS1A_S1B_EUlS1A_E_NS1_11comp_targetILNS1_3genE3ELNS1_11target_archE908ELNS1_3gpuE7ELNS1_3repE0EEENS1_30default_config_static_selectorELNS0_4arch9wavefront6targetE1EEEvT1_ ; -- Begin function _ZN7rocprim17ROCPRIM_400000_NS6detail17trampoline_kernelINS0_14default_configENS1_25partition_config_selectorILNS1_17partition_subalgoE2EsNS0_10empty_typeEbEEZZNS1_14partition_implILS5_2ELb0ES3_jN6thrust23THRUST_200600_302600_NS6detail15normal_iteratorINSA_7pointerIsNSA_11hip_rocprim3tagENSA_11use_defaultESG_EEEEPS6_NSA_18transform_iteratorI7is_evenIsENSC_INSA_10device_ptrIsEEEESG_SG_EENS0_5tupleIJPsSJ_EEENSR_IJSJ_SJ_EEES6_PlJS6_EEE10hipError_tPvRmT3_T4_T5_T6_T7_T9_mT8_P12ihipStream_tbDpT10_ENKUlT_T0_E_clISt17integral_constantIbLb1EES1E_IbLb0EEEEDaS1A_S1B_EUlS1A_E_NS1_11comp_targetILNS1_3genE3ELNS1_11target_archE908ELNS1_3gpuE7ELNS1_3repE0EEENS1_30default_config_static_selectorELNS0_4arch9wavefront6targetE1EEEvT1_
	.globl	_ZN7rocprim17ROCPRIM_400000_NS6detail17trampoline_kernelINS0_14default_configENS1_25partition_config_selectorILNS1_17partition_subalgoE2EsNS0_10empty_typeEbEEZZNS1_14partition_implILS5_2ELb0ES3_jN6thrust23THRUST_200600_302600_NS6detail15normal_iteratorINSA_7pointerIsNSA_11hip_rocprim3tagENSA_11use_defaultESG_EEEEPS6_NSA_18transform_iteratorI7is_evenIsENSC_INSA_10device_ptrIsEEEESG_SG_EENS0_5tupleIJPsSJ_EEENSR_IJSJ_SJ_EEES6_PlJS6_EEE10hipError_tPvRmT3_T4_T5_T6_T7_T9_mT8_P12ihipStream_tbDpT10_ENKUlT_T0_E_clISt17integral_constantIbLb1EES1E_IbLb0EEEEDaS1A_S1B_EUlS1A_E_NS1_11comp_targetILNS1_3genE3ELNS1_11target_archE908ELNS1_3gpuE7ELNS1_3repE0EEENS1_30default_config_static_selectorELNS0_4arch9wavefront6targetE1EEEvT1_
	.p2align	8
	.type	_ZN7rocprim17ROCPRIM_400000_NS6detail17trampoline_kernelINS0_14default_configENS1_25partition_config_selectorILNS1_17partition_subalgoE2EsNS0_10empty_typeEbEEZZNS1_14partition_implILS5_2ELb0ES3_jN6thrust23THRUST_200600_302600_NS6detail15normal_iteratorINSA_7pointerIsNSA_11hip_rocprim3tagENSA_11use_defaultESG_EEEEPS6_NSA_18transform_iteratorI7is_evenIsENSC_INSA_10device_ptrIsEEEESG_SG_EENS0_5tupleIJPsSJ_EEENSR_IJSJ_SJ_EEES6_PlJS6_EEE10hipError_tPvRmT3_T4_T5_T6_T7_T9_mT8_P12ihipStream_tbDpT10_ENKUlT_T0_E_clISt17integral_constantIbLb1EES1E_IbLb0EEEEDaS1A_S1B_EUlS1A_E_NS1_11comp_targetILNS1_3genE3ELNS1_11target_archE908ELNS1_3gpuE7ELNS1_3repE0EEENS1_30default_config_static_selectorELNS0_4arch9wavefront6targetE1EEEvT1_,@function
_ZN7rocprim17ROCPRIM_400000_NS6detail17trampoline_kernelINS0_14default_configENS1_25partition_config_selectorILNS1_17partition_subalgoE2EsNS0_10empty_typeEbEEZZNS1_14partition_implILS5_2ELb0ES3_jN6thrust23THRUST_200600_302600_NS6detail15normal_iteratorINSA_7pointerIsNSA_11hip_rocprim3tagENSA_11use_defaultESG_EEEEPS6_NSA_18transform_iteratorI7is_evenIsENSC_INSA_10device_ptrIsEEEESG_SG_EENS0_5tupleIJPsSJ_EEENSR_IJSJ_SJ_EEES6_PlJS6_EEE10hipError_tPvRmT3_T4_T5_T6_T7_T9_mT8_P12ihipStream_tbDpT10_ENKUlT_T0_E_clISt17integral_constantIbLb1EES1E_IbLb0EEEEDaS1A_S1B_EUlS1A_E_NS1_11comp_targetILNS1_3genE3ELNS1_11target_archE908ELNS1_3gpuE7ELNS1_3repE0EEENS1_30default_config_static_selectorELNS0_4arch9wavefront6targetE1EEEvT1_: ; @_ZN7rocprim17ROCPRIM_400000_NS6detail17trampoline_kernelINS0_14default_configENS1_25partition_config_selectorILNS1_17partition_subalgoE2EsNS0_10empty_typeEbEEZZNS1_14partition_implILS5_2ELb0ES3_jN6thrust23THRUST_200600_302600_NS6detail15normal_iteratorINSA_7pointerIsNSA_11hip_rocprim3tagENSA_11use_defaultESG_EEEEPS6_NSA_18transform_iteratorI7is_evenIsENSC_INSA_10device_ptrIsEEEESG_SG_EENS0_5tupleIJPsSJ_EEENSR_IJSJ_SJ_EEES6_PlJS6_EEE10hipError_tPvRmT3_T4_T5_T6_T7_T9_mT8_P12ihipStream_tbDpT10_ENKUlT_T0_E_clISt17integral_constantIbLb1EES1E_IbLb0EEEEDaS1A_S1B_EUlS1A_E_NS1_11comp_targetILNS1_3genE3ELNS1_11target_archE908ELNS1_3gpuE7ELNS1_3repE0EEENS1_30default_config_static_selectorELNS0_4arch9wavefront6targetE1EEEvT1_
; %bb.0:
	.section	.rodata,"a",@progbits
	.p2align	6, 0x0
	.amdhsa_kernel _ZN7rocprim17ROCPRIM_400000_NS6detail17trampoline_kernelINS0_14default_configENS1_25partition_config_selectorILNS1_17partition_subalgoE2EsNS0_10empty_typeEbEEZZNS1_14partition_implILS5_2ELb0ES3_jN6thrust23THRUST_200600_302600_NS6detail15normal_iteratorINSA_7pointerIsNSA_11hip_rocprim3tagENSA_11use_defaultESG_EEEEPS6_NSA_18transform_iteratorI7is_evenIsENSC_INSA_10device_ptrIsEEEESG_SG_EENS0_5tupleIJPsSJ_EEENSR_IJSJ_SJ_EEES6_PlJS6_EEE10hipError_tPvRmT3_T4_T5_T6_T7_T9_mT8_P12ihipStream_tbDpT10_ENKUlT_T0_E_clISt17integral_constantIbLb1EES1E_IbLb0EEEEDaS1A_S1B_EUlS1A_E_NS1_11comp_targetILNS1_3genE3ELNS1_11target_archE908ELNS1_3gpuE7ELNS1_3repE0EEENS1_30default_config_static_selectorELNS0_4arch9wavefront6targetE1EEEvT1_
		.amdhsa_group_segment_fixed_size 0
		.amdhsa_private_segment_fixed_size 0
		.amdhsa_kernarg_size 128
		.amdhsa_user_sgpr_count 2
		.amdhsa_user_sgpr_dispatch_ptr 0
		.amdhsa_user_sgpr_queue_ptr 0
		.amdhsa_user_sgpr_kernarg_segment_ptr 1
		.amdhsa_user_sgpr_dispatch_id 0
		.amdhsa_user_sgpr_kernarg_preload_length 0
		.amdhsa_user_sgpr_kernarg_preload_offset 0
		.amdhsa_user_sgpr_private_segment_size 0
		.amdhsa_uses_dynamic_stack 0
		.amdhsa_enable_private_segment 0
		.amdhsa_system_sgpr_workgroup_id_x 1
		.amdhsa_system_sgpr_workgroup_id_y 0
		.amdhsa_system_sgpr_workgroup_id_z 0
		.amdhsa_system_sgpr_workgroup_info 0
		.amdhsa_system_vgpr_workitem_id 0
		.amdhsa_next_free_vgpr 1
		.amdhsa_next_free_sgpr 0
		.amdhsa_accum_offset 4
		.amdhsa_reserve_vcc 0
		.amdhsa_float_round_mode_32 0
		.amdhsa_float_round_mode_16_64 0
		.amdhsa_float_denorm_mode_32 3
		.amdhsa_float_denorm_mode_16_64 3
		.amdhsa_dx10_clamp 1
		.amdhsa_ieee_mode 1
		.amdhsa_fp16_overflow 0
		.amdhsa_tg_split 0
		.amdhsa_exception_fp_ieee_invalid_op 0
		.amdhsa_exception_fp_denorm_src 0
		.amdhsa_exception_fp_ieee_div_zero 0
		.amdhsa_exception_fp_ieee_overflow 0
		.amdhsa_exception_fp_ieee_underflow 0
		.amdhsa_exception_fp_ieee_inexact 0
		.amdhsa_exception_int_div_zero 0
	.end_amdhsa_kernel
	.section	.text._ZN7rocprim17ROCPRIM_400000_NS6detail17trampoline_kernelINS0_14default_configENS1_25partition_config_selectorILNS1_17partition_subalgoE2EsNS0_10empty_typeEbEEZZNS1_14partition_implILS5_2ELb0ES3_jN6thrust23THRUST_200600_302600_NS6detail15normal_iteratorINSA_7pointerIsNSA_11hip_rocprim3tagENSA_11use_defaultESG_EEEEPS6_NSA_18transform_iteratorI7is_evenIsENSC_INSA_10device_ptrIsEEEESG_SG_EENS0_5tupleIJPsSJ_EEENSR_IJSJ_SJ_EEES6_PlJS6_EEE10hipError_tPvRmT3_T4_T5_T6_T7_T9_mT8_P12ihipStream_tbDpT10_ENKUlT_T0_E_clISt17integral_constantIbLb1EES1E_IbLb0EEEEDaS1A_S1B_EUlS1A_E_NS1_11comp_targetILNS1_3genE3ELNS1_11target_archE908ELNS1_3gpuE7ELNS1_3repE0EEENS1_30default_config_static_selectorELNS0_4arch9wavefront6targetE1EEEvT1_,"axG",@progbits,_ZN7rocprim17ROCPRIM_400000_NS6detail17trampoline_kernelINS0_14default_configENS1_25partition_config_selectorILNS1_17partition_subalgoE2EsNS0_10empty_typeEbEEZZNS1_14partition_implILS5_2ELb0ES3_jN6thrust23THRUST_200600_302600_NS6detail15normal_iteratorINSA_7pointerIsNSA_11hip_rocprim3tagENSA_11use_defaultESG_EEEEPS6_NSA_18transform_iteratorI7is_evenIsENSC_INSA_10device_ptrIsEEEESG_SG_EENS0_5tupleIJPsSJ_EEENSR_IJSJ_SJ_EEES6_PlJS6_EEE10hipError_tPvRmT3_T4_T5_T6_T7_T9_mT8_P12ihipStream_tbDpT10_ENKUlT_T0_E_clISt17integral_constantIbLb1EES1E_IbLb0EEEEDaS1A_S1B_EUlS1A_E_NS1_11comp_targetILNS1_3genE3ELNS1_11target_archE908ELNS1_3gpuE7ELNS1_3repE0EEENS1_30default_config_static_selectorELNS0_4arch9wavefront6targetE1EEEvT1_,comdat
.Lfunc_end275:
	.size	_ZN7rocprim17ROCPRIM_400000_NS6detail17trampoline_kernelINS0_14default_configENS1_25partition_config_selectorILNS1_17partition_subalgoE2EsNS0_10empty_typeEbEEZZNS1_14partition_implILS5_2ELb0ES3_jN6thrust23THRUST_200600_302600_NS6detail15normal_iteratorINSA_7pointerIsNSA_11hip_rocprim3tagENSA_11use_defaultESG_EEEEPS6_NSA_18transform_iteratorI7is_evenIsENSC_INSA_10device_ptrIsEEEESG_SG_EENS0_5tupleIJPsSJ_EEENSR_IJSJ_SJ_EEES6_PlJS6_EEE10hipError_tPvRmT3_T4_T5_T6_T7_T9_mT8_P12ihipStream_tbDpT10_ENKUlT_T0_E_clISt17integral_constantIbLb1EES1E_IbLb0EEEEDaS1A_S1B_EUlS1A_E_NS1_11comp_targetILNS1_3genE3ELNS1_11target_archE908ELNS1_3gpuE7ELNS1_3repE0EEENS1_30default_config_static_selectorELNS0_4arch9wavefront6targetE1EEEvT1_, .Lfunc_end275-_ZN7rocprim17ROCPRIM_400000_NS6detail17trampoline_kernelINS0_14default_configENS1_25partition_config_selectorILNS1_17partition_subalgoE2EsNS0_10empty_typeEbEEZZNS1_14partition_implILS5_2ELb0ES3_jN6thrust23THRUST_200600_302600_NS6detail15normal_iteratorINSA_7pointerIsNSA_11hip_rocprim3tagENSA_11use_defaultESG_EEEEPS6_NSA_18transform_iteratorI7is_evenIsENSC_INSA_10device_ptrIsEEEESG_SG_EENS0_5tupleIJPsSJ_EEENSR_IJSJ_SJ_EEES6_PlJS6_EEE10hipError_tPvRmT3_T4_T5_T6_T7_T9_mT8_P12ihipStream_tbDpT10_ENKUlT_T0_E_clISt17integral_constantIbLb1EES1E_IbLb0EEEEDaS1A_S1B_EUlS1A_E_NS1_11comp_targetILNS1_3genE3ELNS1_11target_archE908ELNS1_3gpuE7ELNS1_3repE0EEENS1_30default_config_static_selectorELNS0_4arch9wavefront6targetE1EEEvT1_
                                        ; -- End function
	.section	.AMDGPU.csdata,"",@progbits
; Kernel info:
; codeLenInByte = 0
; NumSgprs: 6
; NumVgprs: 0
; NumAgprs: 0
; TotalNumVgprs: 0
; ScratchSize: 0
; MemoryBound: 0
; FloatMode: 240
; IeeeMode: 1
; LDSByteSize: 0 bytes/workgroup (compile time only)
; SGPRBlocks: 0
; VGPRBlocks: 0
; NumSGPRsForWavesPerEU: 6
; NumVGPRsForWavesPerEU: 1
; AccumOffset: 4
; Occupancy: 8
; WaveLimiterHint : 0
; COMPUTE_PGM_RSRC2:SCRATCH_EN: 0
; COMPUTE_PGM_RSRC2:USER_SGPR: 2
; COMPUTE_PGM_RSRC2:TRAP_HANDLER: 0
; COMPUTE_PGM_RSRC2:TGID_X_EN: 1
; COMPUTE_PGM_RSRC2:TGID_Y_EN: 0
; COMPUTE_PGM_RSRC2:TGID_Z_EN: 0
; COMPUTE_PGM_RSRC2:TIDIG_COMP_CNT: 0
; COMPUTE_PGM_RSRC3_GFX90A:ACCUM_OFFSET: 0
; COMPUTE_PGM_RSRC3_GFX90A:TG_SPLIT: 0
	.section	.text._ZN7rocprim17ROCPRIM_400000_NS6detail17trampoline_kernelINS0_14default_configENS1_25partition_config_selectorILNS1_17partition_subalgoE2EsNS0_10empty_typeEbEEZZNS1_14partition_implILS5_2ELb0ES3_jN6thrust23THRUST_200600_302600_NS6detail15normal_iteratorINSA_7pointerIsNSA_11hip_rocprim3tagENSA_11use_defaultESG_EEEEPS6_NSA_18transform_iteratorI7is_evenIsENSC_INSA_10device_ptrIsEEEESG_SG_EENS0_5tupleIJPsSJ_EEENSR_IJSJ_SJ_EEES6_PlJS6_EEE10hipError_tPvRmT3_T4_T5_T6_T7_T9_mT8_P12ihipStream_tbDpT10_ENKUlT_T0_E_clISt17integral_constantIbLb1EES1E_IbLb0EEEEDaS1A_S1B_EUlS1A_E_NS1_11comp_targetILNS1_3genE2ELNS1_11target_archE906ELNS1_3gpuE6ELNS1_3repE0EEENS1_30default_config_static_selectorELNS0_4arch9wavefront6targetE1EEEvT1_,"axG",@progbits,_ZN7rocprim17ROCPRIM_400000_NS6detail17trampoline_kernelINS0_14default_configENS1_25partition_config_selectorILNS1_17partition_subalgoE2EsNS0_10empty_typeEbEEZZNS1_14partition_implILS5_2ELb0ES3_jN6thrust23THRUST_200600_302600_NS6detail15normal_iteratorINSA_7pointerIsNSA_11hip_rocprim3tagENSA_11use_defaultESG_EEEEPS6_NSA_18transform_iteratorI7is_evenIsENSC_INSA_10device_ptrIsEEEESG_SG_EENS0_5tupleIJPsSJ_EEENSR_IJSJ_SJ_EEES6_PlJS6_EEE10hipError_tPvRmT3_T4_T5_T6_T7_T9_mT8_P12ihipStream_tbDpT10_ENKUlT_T0_E_clISt17integral_constantIbLb1EES1E_IbLb0EEEEDaS1A_S1B_EUlS1A_E_NS1_11comp_targetILNS1_3genE2ELNS1_11target_archE906ELNS1_3gpuE6ELNS1_3repE0EEENS1_30default_config_static_selectorELNS0_4arch9wavefront6targetE1EEEvT1_,comdat
	.protected	_ZN7rocprim17ROCPRIM_400000_NS6detail17trampoline_kernelINS0_14default_configENS1_25partition_config_selectorILNS1_17partition_subalgoE2EsNS0_10empty_typeEbEEZZNS1_14partition_implILS5_2ELb0ES3_jN6thrust23THRUST_200600_302600_NS6detail15normal_iteratorINSA_7pointerIsNSA_11hip_rocprim3tagENSA_11use_defaultESG_EEEEPS6_NSA_18transform_iteratorI7is_evenIsENSC_INSA_10device_ptrIsEEEESG_SG_EENS0_5tupleIJPsSJ_EEENSR_IJSJ_SJ_EEES6_PlJS6_EEE10hipError_tPvRmT3_T4_T5_T6_T7_T9_mT8_P12ihipStream_tbDpT10_ENKUlT_T0_E_clISt17integral_constantIbLb1EES1E_IbLb0EEEEDaS1A_S1B_EUlS1A_E_NS1_11comp_targetILNS1_3genE2ELNS1_11target_archE906ELNS1_3gpuE6ELNS1_3repE0EEENS1_30default_config_static_selectorELNS0_4arch9wavefront6targetE1EEEvT1_ ; -- Begin function _ZN7rocprim17ROCPRIM_400000_NS6detail17trampoline_kernelINS0_14default_configENS1_25partition_config_selectorILNS1_17partition_subalgoE2EsNS0_10empty_typeEbEEZZNS1_14partition_implILS5_2ELb0ES3_jN6thrust23THRUST_200600_302600_NS6detail15normal_iteratorINSA_7pointerIsNSA_11hip_rocprim3tagENSA_11use_defaultESG_EEEEPS6_NSA_18transform_iteratorI7is_evenIsENSC_INSA_10device_ptrIsEEEESG_SG_EENS0_5tupleIJPsSJ_EEENSR_IJSJ_SJ_EEES6_PlJS6_EEE10hipError_tPvRmT3_T4_T5_T6_T7_T9_mT8_P12ihipStream_tbDpT10_ENKUlT_T0_E_clISt17integral_constantIbLb1EES1E_IbLb0EEEEDaS1A_S1B_EUlS1A_E_NS1_11comp_targetILNS1_3genE2ELNS1_11target_archE906ELNS1_3gpuE6ELNS1_3repE0EEENS1_30default_config_static_selectorELNS0_4arch9wavefront6targetE1EEEvT1_
	.globl	_ZN7rocprim17ROCPRIM_400000_NS6detail17trampoline_kernelINS0_14default_configENS1_25partition_config_selectorILNS1_17partition_subalgoE2EsNS0_10empty_typeEbEEZZNS1_14partition_implILS5_2ELb0ES3_jN6thrust23THRUST_200600_302600_NS6detail15normal_iteratorINSA_7pointerIsNSA_11hip_rocprim3tagENSA_11use_defaultESG_EEEEPS6_NSA_18transform_iteratorI7is_evenIsENSC_INSA_10device_ptrIsEEEESG_SG_EENS0_5tupleIJPsSJ_EEENSR_IJSJ_SJ_EEES6_PlJS6_EEE10hipError_tPvRmT3_T4_T5_T6_T7_T9_mT8_P12ihipStream_tbDpT10_ENKUlT_T0_E_clISt17integral_constantIbLb1EES1E_IbLb0EEEEDaS1A_S1B_EUlS1A_E_NS1_11comp_targetILNS1_3genE2ELNS1_11target_archE906ELNS1_3gpuE6ELNS1_3repE0EEENS1_30default_config_static_selectorELNS0_4arch9wavefront6targetE1EEEvT1_
	.p2align	8
	.type	_ZN7rocprim17ROCPRIM_400000_NS6detail17trampoline_kernelINS0_14default_configENS1_25partition_config_selectorILNS1_17partition_subalgoE2EsNS0_10empty_typeEbEEZZNS1_14partition_implILS5_2ELb0ES3_jN6thrust23THRUST_200600_302600_NS6detail15normal_iteratorINSA_7pointerIsNSA_11hip_rocprim3tagENSA_11use_defaultESG_EEEEPS6_NSA_18transform_iteratorI7is_evenIsENSC_INSA_10device_ptrIsEEEESG_SG_EENS0_5tupleIJPsSJ_EEENSR_IJSJ_SJ_EEES6_PlJS6_EEE10hipError_tPvRmT3_T4_T5_T6_T7_T9_mT8_P12ihipStream_tbDpT10_ENKUlT_T0_E_clISt17integral_constantIbLb1EES1E_IbLb0EEEEDaS1A_S1B_EUlS1A_E_NS1_11comp_targetILNS1_3genE2ELNS1_11target_archE906ELNS1_3gpuE6ELNS1_3repE0EEENS1_30default_config_static_selectorELNS0_4arch9wavefront6targetE1EEEvT1_,@function
_ZN7rocprim17ROCPRIM_400000_NS6detail17trampoline_kernelINS0_14default_configENS1_25partition_config_selectorILNS1_17partition_subalgoE2EsNS0_10empty_typeEbEEZZNS1_14partition_implILS5_2ELb0ES3_jN6thrust23THRUST_200600_302600_NS6detail15normal_iteratorINSA_7pointerIsNSA_11hip_rocprim3tagENSA_11use_defaultESG_EEEEPS6_NSA_18transform_iteratorI7is_evenIsENSC_INSA_10device_ptrIsEEEESG_SG_EENS0_5tupleIJPsSJ_EEENSR_IJSJ_SJ_EEES6_PlJS6_EEE10hipError_tPvRmT3_T4_T5_T6_T7_T9_mT8_P12ihipStream_tbDpT10_ENKUlT_T0_E_clISt17integral_constantIbLb1EES1E_IbLb0EEEEDaS1A_S1B_EUlS1A_E_NS1_11comp_targetILNS1_3genE2ELNS1_11target_archE906ELNS1_3gpuE6ELNS1_3repE0EEENS1_30default_config_static_selectorELNS0_4arch9wavefront6targetE1EEEvT1_: ; @_ZN7rocprim17ROCPRIM_400000_NS6detail17trampoline_kernelINS0_14default_configENS1_25partition_config_selectorILNS1_17partition_subalgoE2EsNS0_10empty_typeEbEEZZNS1_14partition_implILS5_2ELb0ES3_jN6thrust23THRUST_200600_302600_NS6detail15normal_iteratorINSA_7pointerIsNSA_11hip_rocprim3tagENSA_11use_defaultESG_EEEEPS6_NSA_18transform_iteratorI7is_evenIsENSC_INSA_10device_ptrIsEEEESG_SG_EENS0_5tupleIJPsSJ_EEENSR_IJSJ_SJ_EEES6_PlJS6_EEE10hipError_tPvRmT3_T4_T5_T6_T7_T9_mT8_P12ihipStream_tbDpT10_ENKUlT_T0_E_clISt17integral_constantIbLb1EES1E_IbLb0EEEEDaS1A_S1B_EUlS1A_E_NS1_11comp_targetILNS1_3genE2ELNS1_11target_archE906ELNS1_3gpuE6ELNS1_3repE0EEENS1_30default_config_static_selectorELNS0_4arch9wavefront6targetE1EEEvT1_
; %bb.0:
	.section	.rodata,"a",@progbits
	.p2align	6, 0x0
	.amdhsa_kernel _ZN7rocprim17ROCPRIM_400000_NS6detail17trampoline_kernelINS0_14default_configENS1_25partition_config_selectorILNS1_17partition_subalgoE2EsNS0_10empty_typeEbEEZZNS1_14partition_implILS5_2ELb0ES3_jN6thrust23THRUST_200600_302600_NS6detail15normal_iteratorINSA_7pointerIsNSA_11hip_rocprim3tagENSA_11use_defaultESG_EEEEPS6_NSA_18transform_iteratorI7is_evenIsENSC_INSA_10device_ptrIsEEEESG_SG_EENS0_5tupleIJPsSJ_EEENSR_IJSJ_SJ_EEES6_PlJS6_EEE10hipError_tPvRmT3_T4_T5_T6_T7_T9_mT8_P12ihipStream_tbDpT10_ENKUlT_T0_E_clISt17integral_constantIbLb1EES1E_IbLb0EEEEDaS1A_S1B_EUlS1A_E_NS1_11comp_targetILNS1_3genE2ELNS1_11target_archE906ELNS1_3gpuE6ELNS1_3repE0EEENS1_30default_config_static_selectorELNS0_4arch9wavefront6targetE1EEEvT1_
		.amdhsa_group_segment_fixed_size 0
		.amdhsa_private_segment_fixed_size 0
		.amdhsa_kernarg_size 128
		.amdhsa_user_sgpr_count 2
		.amdhsa_user_sgpr_dispatch_ptr 0
		.amdhsa_user_sgpr_queue_ptr 0
		.amdhsa_user_sgpr_kernarg_segment_ptr 1
		.amdhsa_user_sgpr_dispatch_id 0
		.amdhsa_user_sgpr_kernarg_preload_length 0
		.amdhsa_user_sgpr_kernarg_preload_offset 0
		.amdhsa_user_sgpr_private_segment_size 0
		.amdhsa_uses_dynamic_stack 0
		.amdhsa_enable_private_segment 0
		.amdhsa_system_sgpr_workgroup_id_x 1
		.amdhsa_system_sgpr_workgroup_id_y 0
		.amdhsa_system_sgpr_workgroup_id_z 0
		.amdhsa_system_sgpr_workgroup_info 0
		.amdhsa_system_vgpr_workitem_id 0
		.amdhsa_next_free_vgpr 1
		.amdhsa_next_free_sgpr 0
		.amdhsa_accum_offset 4
		.amdhsa_reserve_vcc 0
		.amdhsa_float_round_mode_32 0
		.amdhsa_float_round_mode_16_64 0
		.amdhsa_float_denorm_mode_32 3
		.amdhsa_float_denorm_mode_16_64 3
		.amdhsa_dx10_clamp 1
		.amdhsa_ieee_mode 1
		.amdhsa_fp16_overflow 0
		.amdhsa_tg_split 0
		.amdhsa_exception_fp_ieee_invalid_op 0
		.amdhsa_exception_fp_denorm_src 0
		.amdhsa_exception_fp_ieee_div_zero 0
		.amdhsa_exception_fp_ieee_overflow 0
		.amdhsa_exception_fp_ieee_underflow 0
		.amdhsa_exception_fp_ieee_inexact 0
		.amdhsa_exception_int_div_zero 0
	.end_amdhsa_kernel
	.section	.text._ZN7rocprim17ROCPRIM_400000_NS6detail17trampoline_kernelINS0_14default_configENS1_25partition_config_selectorILNS1_17partition_subalgoE2EsNS0_10empty_typeEbEEZZNS1_14partition_implILS5_2ELb0ES3_jN6thrust23THRUST_200600_302600_NS6detail15normal_iteratorINSA_7pointerIsNSA_11hip_rocprim3tagENSA_11use_defaultESG_EEEEPS6_NSA_18transform_iteratorI7is_evenIsENSC_INSA_10device_ptrIsEEEESG_SG_EENS0_5tupleIJPsSJ_EEENSR_IJSJ_SJ_EEES6_PlJS6_EEE10hipError_tPvRmT3_T4_T5_T6_T7_T9_mT8_P12ihipStream_tbDpT10_ENKUlT_T0_E_clISt17integral_constantIbLb1EES1E_IbLb0EEEEDaS1A_S1B_EUlS1A_E_NS1_11comp_targetILNS1_3genE2ELNS1_11target_archE906ELNS1_3gpuE6ELNS1_3repE0EEENS1_30default_config_static_selectorELNS0_4arch9wavefront6targetE1EEEvT1_,"axG",@progbits,_ZN7rocprim17ROCPRIM_400000_NS6detail17trampoline_kernelINS0_14default_configENS1_25partition_config_selectorILNS1_17partition_subalgoE2EsNS0_10empty_typeEbEEZZNS1_14partition_implILS5_2ELb0ES3_jN6thrust23THRUST_200600_302600_NS6detail15normal_iteratorINSA_7pointerIsNSA_11hip_rocprim3tagENSA_11use_defaultESG_EEEEPS6_NSA_18transform_iteratorI7is_evenIsENSC_INSA_10device_ptrIsEEEESG_SG_EENS0_5tupleIJPsSJ_EEENSR_IJSJ_SJ_EEES6_PlJS6_EEE10hipError_tPvRmT3_T4_T5_T6_T7_T9_mT8_P12ihipStream_tbDpT10_ENKUlT_T0_E_clISt17integral_constantIbLb1EES1E_IbLb0EEEEDaS1A_S1B_EUlS1A_E_NS1_11comp_targetILNS1_3genE2ELNS1_11target_archE906ELNS1_3gpuE6ELNS1_3repE0EEENS1_30default_config_static_selectorELNS0_4arch9wavefront6targetE1EEEvT1_,comdat
.Lfunc_end276:
	.size	_ZN7rocprim17ROCPRIM_400000_NS6detail17trampoline_kernelINS0_14default_configENS1_25partition_config_selectorILNS1_17partition_subalgoE2EsNS0_10empty_typeEbEEZZNS1_14partition_implILS5_2ELb0ES3_jN6thrust23THRUST_200600_302600_NS6detail15normal_iteratorINSA_7pointerIsNSA_11hip_rocprim3tagENSA_11use_defaultESG_EEEEPS6_NSA_18transform_iteratorI7is_evenIsENSC_INSA_10device_ptrIsEEEESG_SG_EENS0_5tupleIJPsSJ_EEENSR_IJSJ_SJ_EEES6_PlJS6_EEE10hipError_tPvRmT3_T4_T5_T6_T7_T9_mT8_P12ihipStream_tbDpT10_ENKUlT_T0_E_clISt17integral_constantIbLb1EES1E_IbLb0EEEEDaS1A_S1B_EUlS1A_E_NS1_11comp_targetILNS1_3genE2ELNS1_11target_archE906ELNS1_3gpuE6ELNS1_3repE0EEENS1_30default_config_static_selectorELNS0_4arch9wavefront6targetE1EEEvT1_, .Lfunc_end276-_ZN7rocprim17ROCPRIM_400000_NS6detail17trampoline_kernelINS0_14default_configENS1_25partition_config_selectorILNS1_17partition_subalgoE2EsNS0_10empty_typeEbEEZZNS1_14partition_implILS5_2ELb0ES3_jN6thrust23THRUST_200600_302600_NS6detail15normal_iteratorINSA_7pointerIsNSA_11hip_rocprim3tagENSA_11use_defaultESG_EEEEPS6_NSA_18transform_iteratorI7is_evenIsENSC_INSA_10device_ptrIsEEEESG_SG_EENS0_5tupleIJPsSJ_EEENSR_IJSJ_SJ_EEES6_PlJS6_EEE10hipError_tPvRmT3_T4_T5_T6_T7_T9_mT8_P12ihipStream_tbDpT10_ENKUlT_T0_E_clISt17integral_constantIbLb1EES1E_IbLb0EEEEDaS1A_S1B_EUlS1A_E_NS1_11comp_targetILNS1_3genE2ELNS1_11target_archE906ELNS1_3gpuE6ELNS1_3repE0EEENS1_30default_config_static_selectorELNS0_4arch9wavefront6targetE1EEEvT1_
                                        ; -- End function
	.section	.AMDGPU.csdata,"",@progbits
; Kernel info:
; codeLenInByte = 0
; NumSgprs: 6
; NumVgprs: 0
; NumAgprs: 0
; TotalNumVgprs: 0
; ScratchSize: 0
; MemoryBound: 0
; FloatMode: 240
; IeeeMode: 1
; LDSByteSize: 0 bytes/workgroup (compile time only)
; SGPRBlocks: 0
; VGPRBlocks: 0
; NumSGPRsForWavesPerEU: 6
; NumVGPRsForWavesPerEU: 1
; AccumOffset: 4
; Occupancy: 8
; WaveLimiterHint : 0
; COMPUTE_PGM_RSRC2:SCRATCH_EN: 0
; COMPUTE_PGM_RSRC2:USER_SGPR: 2
; COMPUTE_PGM_RSRC2:TRAP_HANDLER: 0
; COMPUTE_PGM_RSRC2:TGID_X_EN: 1
; COMPUTE_PGM_RSRC2:TGID_Y_EN: 0
; COMPUTE_PGM_RSRC2:TGID_Z_EN: 0
; COMPUTE_PGM_RSRC2:TIDIG_COMP_CNT: 0
; COMPUTE_PGM_RSRC3_GFX90A:ACCUM_OFFSET: 0
; COMPUTE_PGM_RSRC3_GFX90A:TG_SPLIT: 0
	.section	.text._ZN7rocprim17ROCPRIM_400000_NS6detail17trampoline_kernelINS0_14default_configENS1_25partition_config_selectorILNS1_17partition_subalgoE2EsNS0_10empty_typeEbEEZZNS1_14partition_implILS5_2ELb0ES3_jN6thrust23THRUST_200600_302600_NS6detail15normal_iteratorINSA_7pointerIsNSA_11hip_rocprim3tagENSA_11use_defaultESG_EEEEPS6_NSA_18transform_iteratorI7is_evenIsENSC_INSA_10device_ptrIsEEEESG_SG_EENS0_5tupleIJPsSJ_EEENSR_IJSJ_SJ_EEES6_PlJS6_EEE10hipError_tPvRmT3_T4_T5_T6_T7_T9_mT8_P12ihipStream_tbDpT10_ENKUlT_T0_E_clISt17integral_constantIbLb1EES1E_IbLb0EEEEDaS1A_S1B_EUlS1A_E_NS1_11comp_targetILNS1_3genE10ELNS1_11target_archE1200ELNS1_3gpuE4ELNS1_3repE0EEENS1_30default_config_static_selectorELNS0_4arch9wavefront6targetE1EEEvT1_,"axG",@progbits,_ZN7rocprim17ROCPRIM_400000_NS6detail17trampoline_kernelINS0_14default_configENS1_25partition_config_selectorILNS1_17partition_subalgoE2EsNS0_10empty_typeEbEEZZNS1_14partition_implILS5_2ELb0ES3_jN6thrust23THRUST_200600_302600_NS6detail15normal_iteratorINSA_7pointerIsNSA_11hip_rocprim3tagENSA_11use_defaultESG_EEEEPS6_NSA_18transform_iteratorI7is_evenIsENSC_INSA_10device_ptrIsEEEESG_SG_EENS0_5tupleIJPsSJ_EEENSR_IJSJ_SJ_EEES6_PlJS6_EEE10hipError_tPvRmT3_T4_T5_T6_T7_T9_mT8_P12ihipStream_tbDpT10_ENKUlT_T0_E_clISt17integral_constantIbLb1EES1E_IbLb0EEEEDaS1A_S1B_EUlS1A_E_NS1_11comp_targetILNS1_3genE10ELNS1_11target_archE1200ELNS1_3gpuE4ELNS1_3repE0EEENS1_30default_config_static_selectorELNS0_4arch9wavefront6targetE1EEEvT1_,comdat
	.protected	_ZN7rocprim17ROCPRIM_400000_NS6detail17trampoline_kernelINS0_14default_configENS1_25partition_config_selectorILNS1_17partition_subalgoE2EsNS0_10empty_typeEbEEZZNS1_14partition_implILS5_2ELb0ES3_jN6thrust23THRUST_200600_302600_NS6detail15normal_iteratorINSA_7pointerIsNSA_11hip_rocprim3tagENSA_11use_defaultESG_EEEEPS6_NSA_18transform_iteratorI7is_evenIsENSC_INSA_10device_ptrIsEEEESG_SG_EENS0_5tupleIJPsSJ_EEENSR_IJSJ_SJ_EEES6_PlJS6_EEE10hipError_tPvRmT3_T4_T5_T6_T7_T9_mT8_P12ihipStream_tbDpT10_ENKUlT_T0_E_clISt17integral_constantIbLb1EES1E_IbLb0EEEEDaS1A_S1B_EUlS1A_E_NS1_11comp_targetILNS1_3genE10ELNS1_11target_archE1200ELNS1_3gpuE4ELNS1_3repE0EEENS1_30default_config_static_selectorELNS0_4arch9wavefront6targetE1EEEvT1_ ; -- Begin function _ZN7rocprim17ROCPRIM_400000_NS6detail17trampoline_kernelINS0_14default_configENS1_25partition_config_selectorILNS1_17partition_subalgoE2EsNS0_10empty_typeEbEEZZNS1_14partition_implILS5_2ELb0ES3_jN6thrust23THRUST_200600_302600_NS6detail15normal_iteratorINSA_7pointerIsNSA_11hip_rocprim3tagENSA_11use_defaultESG_EEEEPS6_NSA_18transform_iteratorI7is_evenIsENSC_INSA_10device_ptrIsEEEESG_SG_EENS0_5tupleIJPsSJ_EEENSR_IJSJ_SJ_EEES6_PlJS6_EEE10hipError_tPvRmT3_T4_T5_T6_T7_T9_mT8_P12ihipStream_tbDpT10_ENKUlT_T0_E_clISt17integral_constantIbLb1EES1E_IbLb0EEEEDaS1A_S1B_EUlS1A_E_NS1_11comp_targetILNS1_3genE10ELNS1_11target_archE1200ELNS1_3gpuE4ELNS1_3repE0EEENS1_30default_config_static_selectorELNS0_4arch9wavefront6targetE1EEEvT1_
	.globl	_ZN7rocprim17ROCPRIM_400000_NS6detail17trampoline_kernelINS0_14default_configENS1_25partition_config_selectorILNS1_17partition_subalgoE2EsNS0_10empty_typeEbEEZZNS1_14partition_implILS5_2ELb0ES3_jN6thrust23THRUST_200600_302600_NS6detail15normal_iteratorINSA_7pointerIsNSA_11hip_rocprim3tagENSA_11use_defaultESG_EEEEPS6_NSA_18transform_iteratorI7is_evenIsENSC_INSA_10device_ptrIsEEEESG_SG_EENS0_5tupleIJPsSJ_EEENSR_IJSJ_SJ_EEES6_PlJS6_EEE10hipError_tPvRmT3_T4_T5_T6_T7_T9_mT8_P12ihipStream_tbDpT10_ENKUlT_T0_E_clISt17integral_constantIbLb1EES1E_IbLb0EEEEDaS1A_S1B_EUlS1A_E_NS1_11comp_targetILNS1_3genE10ELNS1_11target_archE1200ELNS1_3gpuE4ELNS1_3repE0EEENS1_30default_config_static_selectorELNS0_4arch9wavefront6targetE1EEEvT1_
	.p2align	8
	.type	_ZN7rocprim17ROCPRIM_400000_NS6detail17trampoline_kernelINS0_14default_configENS1_25partition_config_selectorILNS1_17partition_subalgoE2EsNS0_10empty_typeEbEEZZNS1_14partition_implILS5_2ELb0ES3_jN6thrust23THRUST_200600_302600_NS6detail15normal_iteratorINSA_7pointerIsNSA_11hip_rocprim3tagENSA_11use_defaultESG_EEEEPS6_NSA_18transform_iteratorI7is_evenIsENSC_INSA_10device_ptrIsEEEESG_SG_EENS0_5tupleIJPsSJ_EEENSR_IJSJ_SJ_EEES6_PlJS6_EEE10hipError_tPvRmT3_T4_T5_T6_T7_T9_mT8_P12ihipStream_tbDpT10_ENKUlT_T0_E_clISt17integral_constantIbLb1EES1E_IbLb0EEEEDaS1A_S1B_EUlS1A_E_NS1_11comp_targetILNS1_3genE10ELNS1_11target_archE1200ELNS1_3gpuE4ELNS1_3repE0EEENS1_30default_config_static_selectorELNS0_4arch9wavefront6targetE1EEEvT1_,@function
_ZN7rocprim17ROCPRIM_400000_NS6detail17trampoline_kernelINS0_14default_configENS1_25partition_config_selectorILNS1_17partition_subalgoE2EsNS0_10empty_typeEbEEZZNS1_14partition_implILS5_2ELb0ES3_jN6thrust23THRUST_200600_302600_NS6detail15normal_iteratorINSA_7pointerIsNSA_11hip_rocprim3tagENSA_11use_defaultESG_EEEEPS6_NSA_18transform_iteratorI7is_evenIsENSC_INSA_10device_ptrIsEEEESG_SG_EENS0_5tupleIJPsSJ_EEENSR_IJSJ_SJ_EEES6_PlJS6_EEE10hipError_tPvRmT3_T4_T5_T6_T7_T9_mT8_P12ihipStream_tbDpT10_ENKUlT_T0_E_clISt17integral_constantIbLb1EES1E_IbLb0EEEEDaS1A_S1B_EUlS1A_E_NS1_11comp_targetILNS1_3genE10ELNS1_11target_archE1200ELNS1_3gpuE4ELNS1_3repE0EEENS1_30default_config_static_selectorELNS0_4arch9wavefront6targetE1EEEvT1_: ; @_ZN7rocprim17ROCPRIM_400000_NS6detail17trampoline_kernelINS0_14default_configENS1_25partition_config_selectorILNS1_17partition_subalgoE2EsNS0_10empty_typeEbEEZZNS1_14partition_implILS5_2ELb0ES3_jN6thrust23THRUST_200600_302600_NS6detail15normal_iteratorINSA_7pointerIsNSA_11hip_rocprim3tagENSA_11use_defaultESG_EEEEPS6_NSA_18transform_iteratorI7is_evenIsENSC_INSA_10device_ptrIsEEEESG_SG_EENS0_5tupleIJPsSJ_EEENSR_IJSJ_SJ_EEES6_PlJS6_EEE10hipError_tPvRmT3_T4_T5_T6_T7_T9_mT8_P12ihipStream_tbDpT10_ENKUlT_T0_E_clISt17integral_constantIbLb1EES1E_IbLb0EEEEDaS1A_S1B_EUlS1A_E_NS1_11comp_targetILNS1_3genE10ELNS1_11target_archE1200ELNS1_3gpuE4ELNS1_3repE0EEENS1_30default_config_static_selectorELNS0_4arch9wavefront6targetE1EEEvT1_
; %bb.0:
	.section	.rodata,"a",@progbits
	.p2align	6, 0x0
	.amdhsa_kernel _ZN7rocprim17ROCPRIM_400000_NS6detail17trampoline_kernelINS0_14default_configENS1_25partition_config_selectorILNS1_17partition_subalgoE2EsNS0_10empty_typeEbEEZZNS1_14partition_implILS5_2ELb0ES3_jN6thrust23THRUST_200600_302600_NS6detail15normal_iteratorINSA_7pointerIsNSA_11hip_rocprim3tagENSA_11use_defaultESG_EEEEPS6_NSA_18transform_iteratorI7is_evenIsENSC_INSA_10device_ptrIsEEEESG_SG_EENS0_5tupleIJPsSJ_EEENSR_IJSJ_SJ_EEES6_PlJS6_EEE10hipError_tPvRmT3_T4_T5_T6_T7_T9_mT8_P12ihipStream_tbDpT10_ENKUlT_T0_E_clISt17integral_constantIbLb1EES1E_IbLb0EEEEDaS1A_S1B_EUlS1A_E_NS1_11comp_targetILNS1_3genE10ELNS1_11target_archE1200ELNS1_3gpuE4ELNS1_3repE0EEENS1_30default_config_static_selectorELNS0_4arch9wavefront6targetE1EEEvT1_
		.amdhsa_group_segment_fixed_size 0
		.amdhsa_private_segment_fixed_size 0
		.amdhsa_kernarg_size 128
		.amdhsa_user_sgpr_count 2
		.amdhsa_user_sgpr_dispatch_ptr 0
		.amdhsa_user_sgpr_queue_ptr 0
		.amdhsa_user_sgpr_kernarg_segment_ptr 1
		.amdhsa_user_sgpr_dispatch_id 0
		.amdhsa_user_sgpr_kernarg_preload_length 0
		.amdhsa_user_sgpr_kernarg_preload_offset 0
		.amdhsa_user_sgpr_private_segment_size 0
		.amdhsa_uses_dynamic_stack 0
		.amdhsa_enable_private_segment 0
		.amdhsa_system_sgpr_workgroup_id_x 1
		.amdhsa_system_sgpr_workgroup_id_y 0
		.amdhsa_system_sgpr_workgroup_id_z 0
		.amdhsa_system_sgpr_workgroup_info 0
		.amdhsa_system_vgpr_workitem_id 0
		.amdhsa_next_free_vgpr 1
		.amdhsa_next_free_sgpr 0
		.amdhsa_accum_offset 4
		.amdhsa_reserve_vcc 0
		.amdhsa_float_round_mode_32 0
		.amdhsa_float_round_mode_16_64 0
		.amdhsa_float_denorm_mode_32 3
		.amdhsa_float_denorm_mode_16_64 3
		.amdhsa_dx10_clamp 1
		.amdhsa_ieee_mode 1
		.amdhsa_fp16_overflow 0
		.amdhsa_tg_split 0
		.amdhsa_exception_fp_ieee_invalid_op 0
		.amdhsa_exception_fp_denorm_src 0
		.amdhsa_exception_fp_ieee_div_zero 0
		.amdhsa_exception_fp_ieee_overflow 0
		.amdhsa_exception_fp_ieee_underflow 0
		.amdhsa_exception_fp_ieee_inexact 0
		.amdhsa_exception_int_div_zero 0
	.end_amdhsa_kernel
	.section	.text._ZN7rocprim17ROCPRIM_400000_NS6detail17trampoline_kernelINS0_14default_configENS1_25partition_config_selectorILNS1_17partition_subalgoE2EsNS0_10empty_typeEbEEZZNS1_14partition_implILS5_2ELb0ES3_jN6thrust23THRUST_200600_302600_NS6detail15normal_iteratorINSA_7pointerIsNSA_11hip_rocprim3tagENSA_11use_defaultESG_EEEEPS6_NSA_18transform_iteratorI7is_evenIsENSC_INSA_10device_ptrIsEEEESG_SG_EENS0_5tupleIJPsSJ_EEENSR_IJSJ_SJ_EEES6_PlJS6_EEE10hipError_tPvRmT3_T4_T5_T6_T7_T9_mT8_P12ihipStream_tbDpT10_ENKUlT_T0_E_clISt17integral_constantIbLb1EES1E_IbLb0EEEEDaS1A_S1B_EUlS1A_E_NS1_11comp_targetILNS1_3genE10ELNS1_11target_archE1200ELNS1_3gpuE4ELNS1_3repE0EEENS1_30default_config_static_selectorELNS0_4arch9wavefront6targetE1EEEvT1_,"axG",@progbits,_ZN7rocprim17ROCPRIM_400000_NS6detail17trampoline_kernelINS0_14default_configENS1_25partition_config_selectorILNS1_17partition_subalgoE2EsNS0_10empty_typeEbEEZZNS1_14partition_implILS5_2ELb0ES3_jN6thrust23THRUST_200600_302600_NS6detail15normal_iteratorINSA_7pointerIsNSA_11hip_rocprim3tagENSA_11use_defaultESG_EEEEPS6_NSA_18transform_iteratorI7is_evenIsENSC_INSA_10device_ptrIsEEEESG_SG_EENS0_5tupleIJPsSJ_EEENSR_IJSJ_SJ_EEES6_PlJS6_EEE10hipError_tPvRmT3_T4_T5_T6_T7_T9_mT8_P12ihipStream_tbDpT10_ENKUlT_T0_E_clISt17integral_constantIbLb1EES1E_IbLb0EEEEDaS1A_S1B_EUlS1A_E_NS1_11comp_targetILNS1_3genE10ELNS1_11target_archE1200ELNS1_3gpuE4ELNS1_3repE0EEENS1_30default_config_static_selectorELNS0_4arch9wavefront6targetE1EEEvT1_,comdat
.Lfunc_end277:
	.size	_ZN7rocprim17ROCPRIM_400000_NS6detail17trampoline_kernelINS0_14default_configENS1_25partition_config_selectorILNS1_17partition_subalgoE2EsNS0_10empty_typeEbEEZZNS1_14partition_implILS5_2ELb0ES3_jN6thrust23THRUST_200600_302600_NS6detail15normal_iteratorINSA_7pointerIsNSA_11hip_rocprim3tagENSA_11use_defaultESG_EEEEPS6_NSA_18transform_iteratorI7is_evenIsENSC_INSA_10device_ptrIsEEEESG_SG_EENS0_5tupleIJPsSJ_EEENSR_IJSJ_SJ_EEES6_PlJS6_EEE10hipError_tPvRmT3_T4_T5_T6_T7_T9_mT8_P12ihipStream_tbDpT10_ENKUlT_T0_E_clISt17integral_constantIbLb1EES1E_IbLb0EEEEDaS1A_S1B_EUlS1A_E_NS1_11comp_targetILNS1_3genE10ELNS1_11target_archE1200ELNS1_3gpuE4ELNS1_3repE0EEENS1_30default_config_static_selectorELNS0_4arch9wavefront6targetE1EEEvT1_, .Lfunc_end277-_ZN7rocprim17ROCPRIM_400000_NS6detail17trampoline_kernelINS0_14default_configENS1_25partition_config_selectorILNS1_17partition_subalgoE2EsNS0_10empty_typeEbEEZZNS1_14partition_implILS5_2ELb0ES3_jN6thrust23THRUST_200600_302600_NS6detail15normal_iteratorINSA_7pointerIsNSA_11hip_rocprim3tagENSA_11use_defaultESG_EEEEPS6_NSA_18transform_iteratorI7is_evenIsENSC_INSA_10device_ptrIsEEEESG_SG_EENS0_5tupleIJPsSJ_EEENSR_IJSJ_SJ_EEES6_PlJS6_EEE10hipError_tPvRmT3_T4_T5_T6_T7_T9_mT8_P12ihipStream_tbDpT10_ENKUlT_T0_E_clISt17integral_constantIbLb1EES1E_IbLb0EEEEDaS1A_S1B_EUlS1A_E_NS1_11comp_targetILNS1_3genE10ELNS1_11target_archE1200ELNS1_3gpuE4ELNS1_3repE0EEENS1_30default_config_static_selectorELNS0_4arch9wavefront6targetE1EEEvT1_
                                        ; -- End function
	.section	.AMDGPU.csdata,"",@progbits
; Kernel info:
; codeLenInByte = 0
; NumSgprs: 6
; NumVgprs: 0
; NumAgprs: 0
; TotalNumVgprs: 0
; ScratchSize: 0
; MemoryBound: 0
; FloatMode: 240
; IeeeMode: 1
; LDSByteSize: 0 bytes/workgroup (compile time only)
; SGPRBlocks: 0
; VGPRBlocks: 0
; NumSGPRsForWavesPerEU: 6
; NumVGPRsForWavesPerEU: 1
; AccumOffset: 4
; Occupancy: 8
; WaveLimiterHint : 0
; COMPUTE_PGM_RSRC2:SCRATCH_EN: 0
; COMPUTE_PGM_RSRC2:USER_SGPR: 2
; COMPUTE_PGM_RSRC2:TRAP_HANDLER: 0
; COMPUTE_PGM_RSRC2:TGID_X_EN: 1
; COMPUTE_PGM_RSRC2:TGID_Y_EN: 0
; COMPUTE_PGM_RSRC2:TGID_Z_EN: 0
; COMPUTE_PGM_RSRC2:TIDIG_COMP_CNT: 0
; COMPUTE_PGM_RSRC3_GFX90A:ACCUM_OFFSET: 0
; COMPUTE_PGM_RSRC3_GFX90A:TG_SPLIT: 0
	.section	.text._ZN7rocprim17ROCPRIM_400000_NS6detail17trampoline_kernelINS0_14default_configENS1_25partition_config_selectorILNS1_17partition_subalgoE2EsNS0_10empty_typeEbEEZZNS1_14partition_implILS5_2ELb0ES3_jN6thrust23THRUST_200600_302600_NS6detail15normal_iteratorINSA_7pointerIsNSA_11hip_rocprim3tagENSA_11use_defaultESG_EEEEPS6_NSA_18transform_iteratorI7is_evenIsENSC_INSA_10device_ptrIsEEEESG_SG_EENS0_5tupleIJPsSJ_EEENSR_IJSJ_SJ_EEES6_PlJS6_EEE10hipError_tPvRmT3_T4_T5_T6_T7_T9_mT8_P12ihipStream_tbDpT10_ENKUlT_T0_E_clISt17integral_constantIbLb1EES1E_IbLb0EEEEDaS1A_S1B_EUlS1A_E_NS1_11comp_targetILNS1_3genE9ELNS1_11target_archE1100ELNS1_3gpuE3ELNS1_3repE0EEENS1_30default_config_static_selectorELNS0_4arch9wavefront6targetE1EEEvT1_,"axG",@progbits,_ZN7rocprim17ROCPRIM_400000_NS6detail17trampoline_kernelINS0_14default_configENS1_25partition_config_selectorILNS1_17partition_subalgoE2EsNS0_10empty_typeEbEEZZNS1_14partition_implILS5_2ELb0ES3_jN6thrust23THRUST_200600_302600_NS6detail15normal_iteratorINSA_7pointerIsNSA_11hip_rocprim3tagENSA_11use_defaultESG_EEEEPS6_NSA_18transform_iteratorI7is_evenIsENSC_INSA_10device_ptrIsEEEESG_SG_EENS0_5tupleIJPsSJ_EEENSR_IJSJ_SJ_EEES6_PlJS6_EEE10hipError_tPvRmT3_T4_T5_T6_T7_T9_mT8_P12ihipStream_tbDpT10_ENKUlT_T0_E_clISt17integral_constantIbLb1EES1E_IbLb0EEEEDaS1A_S1B_EUlS1A_E_NS1_11comp_targetILNS1_3genE9ELNS1_11target_archE1100ELNS1_3gpuE3ELNS1_3repE0EEENS1_30default_config_static_selectorELNS0_4arch9wavefront6targetE1EEEvT1_,comdat
	.protected	_ZN7rocprim17ROCPRIM_400000_NS6detail17trampoline_kernelINS0_14default_configENS1_25partition_config_selectorILNS1_17partition_subalgoE2EsNS0_10empty_typeEbEEZZNS1_14partition_implILS5_2ELb0ES3_jN6thrust23THRUST_200600_302600_NS6detail15normal_iteratorINSA_7pointerIsNSA_11hip_rocprim3tagENSA_11use_defaultESG_EEEEPS6_NSA_18transform_iteratorI7is_evenIsENSC_INSA_10device_ptrIsEEEESG_SG_EENS0_5tupleIJPsSJ_EEENSR_IJSJ_SJ_EEES6_PlJS6_EEE10hipError_tPvRmT3_T4_T5_T6_T7_T9_mT8_P12ihipStream_tbDpT10_ENKUlT_T0_E_clISt17integral_constantIbLb1EES1E_IbLb0EEEEDaS1A_S1B_EUlS1A_E_NS1_11comp_targetILNS1_3genE9ELNS1_11target_archE1100ELNS1_3gpuE3ELNS1_3repE0EEENS1_30default_config_static_selectorELNS0_4arch9wavefront6targetE1EEEvT1_ ; -- Begin function _ZN7rocprim17ROCPRIM_400000_NS6detail17trampoline_kernelINS0_14default_configENS1_25partition_config_selectorILNS1_17partition_subalgoE2EsNS0_10empty_typeEbEEZZNS1_14partition_implILS5_2ELb0ES3_jN6thrust23THRUST_200600_302600_NS6detail15normal_iteratorINSA_7pointerIsNSA_11hip_rocprim3tagENSA_11use_defaultESG_EEEEPS6_NSA_18transform_iteratorI7is_evenIsENSC_INSA_10device_ptrIsEEEESG_SG_EENS0_5tupleIJPsSJ_EEENSR_IJSJ_SJ_EEES6_PlJS6_EEE10hipError_tPvRmT3_T4_T5_T6_T7_T9_mT8_P12ihipStream_tbDpT10_ENKUlT_T0_E_clISt17integral_constantIbLb1EES1E_IbLb0EEEEDaS1A_S1B_EUlS1A_E_NS1_11comp_targetILNS1_3genE9ELNS1_11target_archE1100ELNS1_3gpuE3ELNS1_3repE0EEENS1_30default_config_static_selectorELNS0_4arch9wavefront6targetE1EEEvT1_
	.globl	_ZN7rocprim17ROCPRIM_400000_NS6detail17trampoline_kernelINS0_14default_configENS1_25partition_config_selectorILNS1_17partition_subalgoE2EsNS0_10empty_typeEbEEZZNS1_14partition_implILS5_2ELb0ES3_jN6thrust23THRUST_200600_302600_NS6detail15normal_iteratorINSA_7pointerIsNSA_11hip_rocprim3tagENSA_11use_defaultESG_EEEEPS6_NSA_18transform_iteratorI7is_evenIsENSC_INSA_10device_ptrIsEEEESG_SG_EENS0_5tupleIJPsSJ_EEENSR_IJSJ_SJ_EEES6_PlJS6_EEE10hipError_tPvRmT3_T4_T5_T6_T7_T9_mT8_P12ihipStream_tbDpT10_ENKUlT_T0_E_clISt17integral_constantIbLb1EES1E_IbLb0EEEEDaS1A_S1B_EUlS1A_E_NS1_11comp_targetILNS1_3genE9ELNS1_11target_archE1100ELNS1_3gpuE3ELNS1_3repE0EEENS1_30default_config_static_selectorELNS0_4arch9wavefront6targetE1EEEvT1_
	.p2align	8
	.type	_ZN7rocprim17ROCPRIM_400000_NS6detail17trampoline_kernelINS0_14default_configENS1_25partition_config_selectorILNS1_17partition_subalgoE2EsNS0_10empty_typeEbEEZZNS1_14partition_implILS5_2ELb0ES3_jN6thrust23THRUST_200600_302600_NS6detail15normal_iteratorINSA_7pointerIsNSA_11hip_rocprim3tagENSA_11use_defaultESG_EEEEPS6_NSA_18transform_iteratorI7is_evenIsENSC_INSA_10device_ptrIsEEEESG_SG_EENS0_5tupleIJPsSJ_EEENSR_IJSJ_SJ_EEES6_PlJS6_EEE10hipError_tPvRmT3_T4_T5_T6_T7_T9_mT8_P12ihipStream_tbDpT10_ENKUlT_T0_E_clISt17integral_constantIbLb1EES1E_IbLb0EEEEDaS1A_S1B_EUlS1A_E_NS1_11comp_targetILNS1_3genE9ELNS1_11target_archE1100ELNS1_3gpuE3ELNS1_3repE0EEENS1_30default_config_static_selectorELNS0_4arch9wavefront6targetE1EEEvT1_,@function
_ZN7rocprim17ROCPRIM_400000_NS6detail17trampoline_kernelINS0_14default_configENS1_25partition_config_selectorILNS1_17partition_subalgoE2EsNS0_10empty_typeEbEEZZNS1_14partition_implILS5_2ELb0ES3_jN6thrust23THRUST_200600_302600_NS6detail15normal_iteratorINSA_7pointerIsNSA_11hip_rocprim3tagENSA_11use_defaultESG_EEEEPS6_NSA_18transform_iteratorI7is_evenIsENSC_INSA_10device_ptrIsEEEESG_SG_EENS0_5tupleIJPsSJ_EEENSR_IJSJ_SJ_EEES6_PlJS6_EEE10hipError_tPvRmT3_T4_T5_T6_T7_T9_mT8_P12ihipStream_tbDpT10_ENKUlT_T0_E_clISt17integral_constantIbLb1EES1E_IbLb0EEEEDaS1A_S1B_EUlS1A_E_NS1_11comp_targetILNS1_3genE9ELNS1_11target_archE1100ELNS1_3gpuE3ELNS1_3repE0EEENS1_30default_config_static_selectorELNS0_4arch9wavefront6targetE1EEEvT1_: ; @_ZN7rocprim17ROCPRIM_400000_NS6detail17trampoline_kernelINS0_14default_configENS1_25partition_config_selectorILNS1_17partition_subalgoE2EsNS0_10empty_typeEbEEZZNS1_14partition_implILS5_2ELb0ES3_jN6thrust23THRUST_200600_302600_NS6detail15normal_iteratorINSA_7pointerIsNSA_11hip_rocprim3tagENSA_11use_defaultESG_EEEEPS6_NSA_18transform_iteratorI7is_evenIsENSC_INSA_10device_ptrIsEEEESG_SG_EENS0_5tupleIJPsSJ_EEENSR_IJSJ_SJ_EEES6_PlJS6_EEE10hipError_tPvRmT3_T4_T5_T6_T7_T9_mT8_P12ihipStream_tbDpT10_ENKUlT_T0_E_clISt17integral_constantIbLb1EES1E_IbLb0EEEEDaS1A_S1B_EUlS1A_E_NS1_11comp_targetILNS1_3genE9ELNS1_11target_archE1100ELNS1_3gpuE3ELNS1_3repE0EEENS1_30default_config_static_selectorELNS0_4arch9wavefront6targetE1EEEvT1_
; %bb.0:
	.section	.rodata,"a",@progbits
	.p2align	6, 0x0
	.amdhsa_kernel _ZN7rocprim17ROCPRIM_400000_NS6detail17trampoline_kernelINS0_14default_configENS1_25partition_config_selectorILNS1_17partition_subalgoE2EsNS0_10empty_typeEbEEZZNS1_14partition_implILS5_2ELb0ES3_jN6thrust23THRUST_200600_302600_NS6detail15normal_iteratorINSA_7pointerIsNSA_11hip_rocprim3tagENSA_11use_defaultESG_EEEEPS6_NSA_18transform_iteratorI7is_evenIsENSC_INSA_10device_ptrIsEEEESG_SG_EENS0_5tupleIJPsSJ_EEENSR_IJSJ_SJ_EEES6_PlJS6_EEE10hipError_tPvRmT3_T4_T5_T6_T7_T9_mT8_P12ihipStream_tbDpT10_ENKUlT_T0_E_clISt17integral_constantIbLb1EES1E_IbLb0EEEEDaS1A_S1B_EUlS1A_E_NS1_11comp_targetILNS1_3genE9ELNS1_11target_archE1100ELNS1_3gpuE3ELNS1_3repE0EEENS1_30default_config_static_selectorELNS0_4arch9wavefront6targetE1EEEvT1_
		.amdhsa_group_segment_fixed_size 0
		.amdhsa_private_segment_fixed_size 0
		.amdhsa_kernarg_size 128
		.amdhsa_user_sgpr_count 2
		.amdhsa_user_sgpr_dispatch_ptr 0
		.amdhsa_user_sgpr_queue_ptr 0
		.amdhsa_user_sgpr_kernarg_segment_ptr 1
		.amdhsa_user_sgpr_dispatch_id 0
		.amdhsa_user_sgpr_kernarg_preload_length 0
		.amdhsa_user_sgpr_kernarg_preload_offset 0
		.amdhsa_user_sgpr_private_segment_size 0
		.amdhsa_uses_dynamic_stack 0
		.amdhsa_enable_private_segment 0
		.amdhsa_system_sgpr_workgroup_id_x 1
		.amdhsa_system_sgpr_workgroup_id_y 0
		.amdhsa_system_sgpr_workgroup_id_z 0
		.amdhsa_system_sgpr_workgroup_info 0
		.amdhsa_system_vgpr_workitem_id 0
		.amdhsa_next_free_vgpr 1
		.amdhsa_next_free_sgpr 0
		.amdhsa_accum_offset 4
		.amdhsa_reserve_vcc 0
		.amdhsa_float_round_mode_32 0
		.amdhsa_float_round_mode_16_64 0
		.amdhsa_float_denorm_mode_32 3
		.amdhsa_float_denorm_mode_16_64 3
		.amdhsa_dx10_clamp 1
		.amdhsa_ieee_mode 1
		.amdhsa_fp16_overflow 0
		.amdhsa_tg_split 0
		.amdhsa_exception_fp_ieee_invalid_op 0
		.amdhsa_exception_fp_denorm_src 0
		.amdhsa_exception_fp_ieee_div_zero 0
		.amdhsa_exception_fp_ieee_overflow 0
		.amdhsa_exception_fp_ieee_underflow 0
		.amdhsa_exception_fp_ieee_inexact 0
		.amdhsa_exception_int_div_zero 0
	.end_amdhsa_kernel
	.section	.text._ZN7rocprim17ROCPRIM_400000_NS6detail17trampoline_kernelINS0_14default_configENS1_25partition_config_selectorILNS1_17partition_subalgoE2EsNS0_10empty_typeEbEEZZNS1_14partition_implILS5_2ELb0ES3_jN6thrust23THRUST_200600_302600_NS6detail15normal_iteratorINSA_7pointerIsNSA_11hip_rocprim3tagENSA_11use_defaultESG_EEEEPS6_NSA_18transform_iteratorI7is_evenIsENSC_INSA_10device_ptrIsEEEESG_SG_EENS0_5tupleIJPsSJ_EEENSR_IJSJ_SJ_EEES6_PlJS6_EEE10hipError_tPvRmT3_T4_T5_T6_T7_T9_mT8_P12ihipStream_tbDpT10_ENKUlT_T0_E_clISt17integral_constantIbLb1EES1E_IbLb0EEEEDaS1A_S1B_EUlS1A_E_NS1_11comp_targetILNS1_3genE9ELNS1_11target_archE1100ELNS1_3gpuE3ELNS1_3repE0EEENS1_30default_config_static_selectorELNS0_4arch9wavefront6targetE1EEEvT1_,"axG",@progbits,_ZN7rocprim17ROCPRIM_400000_NS6detail17trampoline_kernelINS0_14default_configENS1_25partition_config_selectorILNS1_17partition_subalgoE2EsNS0_10empty_typeEbEEZZNS1_14partition_implILS5_2ELb0ES3_jN6thrust23THRUST_200600_302600_NS6detail15normal_iteratorINSA_7pointerIsNSA_11hip_rocprim3tagENSA_11use_defaultESG_EEEEPS6_NSA_18transform_iteratorI7is_evenIsENSC_INSA_10device_ptrIsEEEESG_SG_EENS0_5tupleIJPsSJ_EEENSR_IJSJ_SJ_EEES6_PlJS6_EEE10hipError_tPvRmT3_T4_T5_T6_T7_T9_mT8_P12ihipStream_tbDpT10_ENKUlT_T0_E_clISt17integral_constantIbLb1EES1E_IbLb0EEEEDaS1A_S1B_EUlS1A_E_NS1_11comp_targetILNS1_3genE9ELNS1_11target_archE1100ELNS1_3gpuE3ELNS1_3repE0EEENS1_30default_config_static_selectorELNS0_4arch9wavefront6targetE1EEEvT1_,comdat
.Lfunc_end278:
	.size	_ZN7rocprim17ROCPRIM_400000_NS6detail17trampoline_kernelINS0_14default_configENS1_25partition_config_selectorILNS1_17partition_subalgoE2EsNS0_10empty_typeEbEEZZNS1_14partition_implILS5_2ELb0ES3_jN6thrust23THRUST_200600_302600_NS6detail15normal_iteratorINSA_7pointerIsNSA_11hip_rocprim3tagENSA_11use_defaultESG_EEEEPS6_NSA_18transform_iteratorI7is_evenIsENSC_INSA_10device_ptrIsEEEESG_SG_EENS0_5tupleIJPsSJ_EEENSR_IJSJ_SJ_EEES6_PlJS6_EEE10hipError_tPvRmT3_T4_T5_T6_T7_T9_mT8_P12ihipStream_tbDpT10_ENKUlT_T0_E_clISt17integral_constantIbLb1EES1E_IbLb0EEEEDaS1A_S1B_EUlS1A_E_NS1_11comp_targetILNS1_3genE9ELNS1_11target_archE1100ELNS1_3gpuE3ELNS1_3repE0EEENS1_30default_config_static_selectorELNS0_4arch9wavefront6targetE1EEEvT1_, .Lfunc_end278-_ZN7rocprim17ROCPRIM_400000_NS6detail17trampoline_kernelINS0_14default_configENS1_25partition_config_selectorILNS1_17partition_subalgoE2EsNS0_10empty_typeEbEEZZNS1_14partition_implILS5_2ELb0ES3_jN6thrust23THRUST_200600_302600_NS6detail15normal_iteratorINSA_7pointerIsNSA_11hip_rocprim3tagENSA_11use_defaultESG_EEEEPS6_NSA_18transform_iteratorI7is_evenIsENSC_INSA_10device_ptrIsEEEESG_SG_EENS0_5tupleIJPsSJ_EEENSR_IJSJ_SJ_EEES6_PlJS6_EEE10hipError_tPvRmT3_T4_T5_T6_T7_T9_mT8_P12ihipStream_tbDpT10_ENKUlT_T0_E_clISt17integral_constantIbLb1EES1E_IbLb0EEEEDaS1A_S1B_EUlS1A_E_NS1_11comp_targetILNS1_3genE9ELNS1_11target_archE1100ELNS1_3gpuE3ELNS1_3repE0EEENS1_30default_config_static_selectorELNS0_4arch9wavefront6targetE1EEEvT1_
                                        ; -- End function
	.section	.AMDGPU.csdata,"",@progbits
; Kernel info:
; codeLenInByte = 0
; NumSgprs: 6
; NumVgprs: 0
; NumAgprs: 0
; TotalNumVgprs: 0
; ScratchSize: 0
; MemoryBound: 0
; FloatMode: 240
; IeeeMode: 1
; LDSByteSize: 0 bytes/workgroup (compile time only)
; SGPRBlocks: 0
; VGPRBlocks: 0
; NumSGPRsForWavesPerEU: 6
; NumVGPRsForWavesPerEU: 1
; AccumOffset: 4
; Occupancy: 8
; WaveLimiterHint : 0
; COMPUTE_PGM_RSRC2:SCRATCH_EN: 0
; COMPUTE_PGM_RSRC2:USER_SGPR: 2
; COMPUTE_PGM_RSRC2:TRAP_HANDLER: 0
; COMPUTE_PGM_RSRC2:TGID_X_EN: 1
; COMPUTE_PGM_RSRC2:TGID_Y_EN: 0
; COMPUTE_PGM_RSRC2:TGID_Z_EN: 0
; COMPUTE_PGM_RSRC2:TIDIG_COMP_CNT: 0
; COMPUTE_PGM_RSRC3_GFX90A:ACCUM_OFFSET: 0
; COMPUTE_PGM_RSRC3_GFX90A:TG_SPLIT: 0
	.section	.text._ZN7rocprim17ROCPRIM_400000_NS6detail17trampoline_kernelINS0_14default_configENS1_25partition_config_selectorILNS1_17partition_subalgoE2EsNS0_10empty_typeEbEEZZNS1_14partition_implILS5_2ELb0ES3_jN6thrust23THRUST_200600_302600_NS6detail15normal_iteratorINSA_7pointerIsNSA_11hip_rocprim3tagENSA_11use_defaultESG_EEEEPS6_NSA_18transform_iteratorI7is_evenIsENSC_INSA_10device_ptrIsEEEESG_SG_EENS0_5tupleIJPsSJ_EEENSR_IJSJ_SJ_EEES6_PlJS6_EEE10hipError_tPvRmT3_T4_T5_T6_T7_T9_mT8_P12ihipStream_tbDpT10_ENKUlT_T0_E_clISt17integral_constantIbLb1EES1E_IbLb0EEEEDaS1A_S1B_EUlS1A_E_NS1_11comp_targetILNS1_3genE8ELNS1_11target_archE1030ELNS1_3gpuE2ELNS1_3repE0EEENS1_30default_config_static_selectorELNS0_4arch9wavefront6targetE1EEEvT1_,"axG",@progbits,_ZN7rocprim17ROCPRIM_400000_NS6detail17trampoline_kernelINS0_14default_configENS1_25partition_config_selectorILNS1_17partition_subalgoE2EsNS0_10empty_typeEbEEZZNS1_14partition_implILS5_2ELb0ES3_jN6thrust23THRUST_200600_302600_NS6detail15normal_iteratorINSA_7pointerIsNSA_11hip_rocprim3tagENSA_11use_defaultESG_EEEEPS6_NSA_18transform_iteratorI7is_evenIsENSC_INSA_10device_ptrIsEEEESG_SG_EENS0_5tupleIJPsSJ_EEENSR_IJSJ_SJ_EEES6_PlJS6_EEE10hipError_tPvRmT3_T4_T5_T6_T7_T9_mT8_P12ihipStream_tbDpT10_ENKUlT_T0_E_clISt17integral_constantIbLb1EES1E_IbLb0EEEEDaS1A_S1B_EUlS1A_E_NS1_11comp_targetILNS1_3genE8ELNS1_11target_archE1030ELNS1_3gpuE2ELNS1_3repE0EEENS1_30default_config_static_selectorELNS0_4arch9wavefront6targetE1EEEvT1_,comdat
	.protected	_ZN7rocprim17ROCPRIM_400000_NS6detail17trampoline_kernelINS0_14default_configENS1_25partition_config_selectorILNS1_17partition_subalgoE2EsNS0_10empty_typeEbEEZZNS1_14partition_implILS5_2ELb0ES3_jN6thrust23THRUST_200600_302600_NS6detail15normal_iteratorINSA_7pointerIsNSA_11hip_rocprim3tagENSA_11use_defaultESG_EEEEPS6_NSA_18transform_iteratorI7is_evenIsENSC_INSA_10device_ptrIsEEEESG_SG_EENS0_5tupleIJPsSJ_EEENSR_IJSJ_SJ_EEES6_PlJS6_EEE10hipError_tPvRmT3_T4_T5_T6_T7_T9_mT8_P12ihipStream_tbDpT10_ENKUlT_T0_E_clISt17integral_constantIbLb1EES1E_IbLb0EEEEDaS1A_S1B_EUlS1A_E_NS1_11comp_targetILNS1_3genE8ELNS1_11target_archE1030ELNS1_3gpuE2ELNS1_3repE0EEENS1_30default_config_static_selectorELNS0_4arch9wavefront6targetE1EEEvT1_ ; -- Begin function _ZN7rocprim17ROCPRIM_400000_NS6detail17trampoline_kernelINS0_14default_configENS1_25partition_config_selectorILNS1_17partition_subalgoE2EsNS0_10empty_typeEbEEZZNS1_14partition_implILS5_2ELb0ES3_jN6thrust23THRUST_200600_302600_NS6detail15normal_iteratorINSA_7pointerIsNSA_11hip_rocprim3tagENSA_11use_defaultESG_EEEEPS6_NSA_18transform_iteratorI7is_evenIsENSC_INSA_10device_ptrIsEEEESG_SG_EENS0_5tupleIJPsSJ_EEENSR_IJSJ_SJ_EEES6_PlJS6_EEE10hipError_tPvRmT3_T4_T5_T6_T7_T9_mT8_P12ihipStream_tbDpT10_ENKUlT_T0_E_clISt17integral_constantIbLb1EES1E_IbLb0EEEEDaS1A_S1B_EUlS1A_E_NS1_11comp_targetILNS1_3genE8ELNS1_11target_archE1030ELNS1_3gpuE2ELNS1_3repE0EEENS1_30default_config_static_selectorELNS0_4arch9wavefront6targetE1EEEvT1_
	.globl	_ZN7rocprim17ROCPRIM_400000_NS6detail17trampoline_kernelINS0_14default_configENS1_25partition_config_selectorILNS1_17partition_subalgoE2EsNS0_10empty_typeEbEEZZNS1_14partition_implILS5_2ELb0ES3_jN6thrust23THRUST_200600_302600_NS6detail15normal_iteratorINSA_7pointerIsNSA_11hip_rocprim3tagENSA_11use_defaultESG_EEEEPS6_NSA_18transform_iteratorI7is_evenIsENSC_INSA_10device_ptrIsEEEESG_SG_EENS0_5tupleIJPsSJ_EEENSR_IJSJ_SJ_EEES6_PlJS6_EEE10hipError_tPvRmT3_T4_T5_T6_T7_T9_mT8_P12ihipStream_tbDpT10_ENKUlT_T0_E_clISt17integral_constantIbLb1EES1E_IbLb0EEEEDaS1A_S1B_EUlS1A_E_NS1_11comp_targetILNS1_3genE8ELNS1_11target_archE1030ELNS1_3gpuE2ELNS1_3repE0EEENS1_30default_config_static_selectorELNS0_4arch9wavefront6targetE1EEEvT1_
	.p2align	8
	.type	_ZN7rocprim17ROCPRIM_400000_NS6detail17trampoline_kernelINS0_14default_configENS1_25partition_config_selectorILNS1_17partition_subalgoE2EsNS0_10empty_typeEbEEZZNS1_14partition_implILS5_2ELb0ES3_jN6thrust23THRUST_200600_302600_NS6detail15normal_iteratorINSA_7pointerIsNSA_11hip_rocprim3tagENSA_11use_defaultESG_EEEEPS6_NSA_18transform_iteratorI7is_evenIsENSC_INSA_10device_ptrIsEEEESG_SG_EENS0_5tupleIJPsSJ_EEENSR_IJSJ_SJ_EEES6_PlJS6_EEE10hipError_tPvRmT3_T4_T5_T6_T7_T9_mT8_P12ihipStream_tbDpT10_ENKUlT_T0_E_clISt17integral_constantIbLb1EES1E_IbLb0EEEEDaS1A_S1B_EUlS1A_E_NS1_11comp_targetILNS1_3genE8ELNS1_11target_archE1030ELNS1_3gpuE2ELNS1_3repE0EEENS1_30default_config_static_selectorELNS0_4arch9wavefront6targetE1EEEvT1_,@function
_ZN7rocprim17ROCPRIM_400000_NS6detail17trampoline_kernelINS0_14default_configENS1_25partition_config_selectorILNS1_17partition_subalgoE2EsNS0_10empty_typeEbEEZZNS1_14partition_implILS5_2ELb0ES3_jN6thrust23THRUST_200600_302600_NS6detail15normal_iteratorINSA_7pointerIsNSA_11hip_rocprim3tagENSA_11use_defaultESG_EEEEPS6_NSA_18transform_iteratorI7is_evenIsENSC_INSA_10device_ptrIsEEEESG_SG_EENS0_5tupleIJPsSJ_EEENSR_IJSJ_SJ_EEES6_PlJS6_EEE10hipError_tPvRmT3_T4_T5_T6_T7_T9_mT8_P12ihipStream_tbDpT10_ENKUlT_T0_E_clISt17integral_constantIbLb1EES1E_IbLb0EEEEDaS1A_S1B_EUlS1A_E_NS1_11comp_targetILNS1_3genE8ELNS1_11target_archE1030ELNS1_3gpuE2ELNS1_3repE0EEENS1_30default_config_static_selectorELNS0_4arch9wavefront6targetE1EEEvT1_: ; @_ZN7rocprim17ROCPRIM_400000_NS6detail17trampoline_kernelINS0_14default_configENS1_25partition_config_selectorILNS1_17partition_subalgoE2EsNS0_10empty_typeEbEEZZNS1_14partition_implILS5_2ELb0ES3_jN6thrust23THRUST_200600_302600_NS6detail15normal_iteratorINSA_7pointerIsNSA_11hip_rocprim3tagENSA_11use_defaultESG_EEEEPS6_NSA_18transform_iteratorI7is_evenIsENSC_INSA_10device_ptrIsEEEESG_SG_EENS0_5tupleIJPsSJ_EEENSR_IJSJ_SJ_EEES6_PlJS6_EEE10hipError_tPvRmT3_T4_T5_T6_T7_T9_mT8_P12ihipStream_tbDpT10_ENKUlT_T0_E_clISt17integral_constantIbLb1EES1E_IbLb0EEEEDaS1A_S1B_EUlS1A_E_NS1_11comp_targetILNS1_3genE8ELNS1_11target_archE1030ELNS1_3gpuE2ELNS1_3repE0EEENS1_30default_config_static_selectorELNS0_4arch9wavefront6targetE1EEEvT1_
; %bb.0:
	.section	.rodata,"a",@progbits
	.p2align	6, 0x0
	.amdhsa_kernel _ZN7rocprim17ROCPRIM_400000_NS6detail17trampoline_kernelINS0_14default_configENS1_25partition_config_selectorILNS1_17partition_subalgoE2EsNS0_10empty_typeEbEEZZNS1_14partition_implILS5_2ELb0ES3_jN6thrust23THRUST_200600_302600_NS6detail15normal_iteratorINSA_7pointerIsNSA_11hip_rocprim3tagENSA_11use_defaultESG_EEEEPS6_NSA_18transform_iteratorI7is_evenIsENSC_INSA_10device_ptrIsEEEESG_SG_EENS0_5tupleIJPsSJ_EEENSR_IJSJ_SJ_EEES6_PlJS6_EEE10hipError_tPvRmT3_T4_T5_T6_T7_T9_mT8_P12ihipStream_tbDpT10_ENKUlT_T0_E_clISt17integral_constantIbLb1EES1E_IbLb0EEEEDaS1A_S1B_EUlS1A_E_NS1_11comp_targetILNS1_3genE8ELNS1_11target_archE1030ELNS1_3gpuE2ELNS1_3repE0EEENS1_30default_config_static_selectorELNS0_4arch9wavefront6targetE1EEEvT1_
		.amdhsa_group_segment_fixed_size 0
		.amdhsa_private_segment_fixed_size 0
		.amdhsa_kernarg_size 128
		.amdhsa_user_sgpr_count 2
		.amdhsa_user_sgpr_dispatch_ptr 0
		.amdhsa_user_sgpr_queue_ptr 0
		.amdhsa_user_sgpr_kernarg_segment_ptr 1
		.amdhsa_user_sgpr_dispatch_id 0
		.amdhsa_user_sgpr_kernarg_preload_length 0
		.amdhsa_user_sgpr_kernarg_preload_offset 0
		.amdhsa_user_sgpr_private_segment_size 0
		.amdhsa_uses_dynamic_stack 0
		.amdhsa_enable_private_segment 0
		.amdhsa_system_sgpr_workgroup_id_x 1
		.amdhsa_system_sgpr_workgroup_id_y 0
		.amdhsa_system_sgpr_workgroup_id_z 0
		.amdhsa_system_sgpr_workgroup_info 0
		.amdhsa_system_vgpr_workitem_id 0
		.amdhsa_next_free_vgpr 1
		.amdhsa_next_free_sgpr 0
		.amdhsa_accum_offset 4
		.amdhsa_reserve_vcc 0
		.amdhsa_float_round_mode_32 0
		.amdhsa_float_round_mode_16_64 0
		.amdhsa_float_denorm_mode_32 3
		.amdhsa_float_denorm_mode_16_64 3
		.amdhsa_dx10_clamp 1
		.amdhsa_ieee_mode 1
		.amdhsa_fp16_overflow 0
		.amdhsa_tg_split 0
		.amdhsa_exception_fp_ieee_invalid_op 0
		.amdhsa_exception_fp_denorm_src 0
		.amdhsa_exception_fp_ieee_div_zero 0
		.amdhsa_exception_fp_ieee_overflow 0
		.amdhsa_exception_fp_ieee_underflow 0
		.amdhsa_exception_fp_ieee_inexact 0
		.amdhsa_exception_int_div_zero 0
	.end_amdhsa_kernel
	.section	.text._ZN7rocprim17ROCPRIM_400000_NS6detail17trampoline_kernelINS0_14default_configENS1_25partition_config_selectorILNS1_17partition_subalgoE2EsNS0_10empty_typeEbEEZZNS1_14partition_implILS5_2ELb0ES3_jN6thrust23THRUST_200600_302600_NS6detail15normal_iteratorINSA_7pointerIsNSA_11hip_rocprim3tagENSA_11use_defaultESG_EEEEPS6_NSA_18transform_iteratorI7is_evenIsENSC_INSA_10device_ptrIsEEEESG_SG_EENS0_5tupleIJPsSJ_EEENSR_IJSJ_SJ_EEES6_PlJS6_EEE10hipError_tPvRmT3_T4_T5_T6_T7_T9_mT8_P12ihipStream_tbDpT10_ENKUlT_T0_E_clISt17integral_constantIbLb1EES1E_IbLb0EEEEDaS1A_S1B_EUlS1A_E_NS1_11comp_targetILNS1_3genE8ELNS1_11target_archE1030ELNS1_3gpuE2ELNS1_3repE0EEENS1_30default_config_static_selectorELNS0_4arch9wavefront6targetE1EEEvT1_,"axG",@progbits,_ZN7rocprim17ROCPRIM_400000_NS6detail17trampoline_kernelINS0_14default_configENS1_25partition_config_selectorILNS1_17partition_subalgoE2EsNS0_10empty_typeEbEEZZNS1_14partition_implILS5_2ELb0ES3_jN6thrust23THRUST_200600_302600_NS6detail15normal_iteratorINSA_7pointerIsNSA_11hip_rocprim3tagENSA_11use_defaultESG_EEEEPS6_NSA_18transform_iteratorI7is_evenIsENSC_INSA_10device_ptrIsEEEESG_SG_EENS0_5tupleIJPsSJ_EEENSR_IJSJ_SJ_EEES6_PlJS6_EEE10hipError_tPvRmT3_T4_T5_T6_T7_T9_mT8_P12ihipStream_tbDpT10_ENKUlT_T0_E_clISt17integral_constantIbLb1EES1E_IbLb0EEEEDaS1A_S1B_EUlS1A_E_NS1_11comp_targetILNS1_3genE8ELNS1_11target_archE1030ELNS1_3gpuE2ELNS1_3repE0EEENS1_30default_config_static_selectorELNS0_4arch9wavefront6targetE1EEEvT1_,comdat
.Lfunc_end279:
	.size	_ZN7rocprim17ROCPRIM_400000_NS6detail17trampoline_kernelINS0_14default_configENS1_25partition_config_selectorILNS1_17partition_subalgoE2EsNS0_10empty_typeEbEEZZNS1_14partition_implILS5_2ELb0ES3_jN6thrust23THRUST_200600_302600_NS6detail15normal_iteratorINSA_7pointerIsNSA_11hip_rocprim3tagENSA_11use_defaultESG_EEEEPS6_NSA_18transform_iteratorI7is_evenIsENSC_INSA_10device_ptrIsEEEESG_SG_EENS0_5tupleIJPsSJ_EEENSR_IJSJ_SJ_EEES6_PlJS6_EEE10hipError_tPvRmT3_T4_T5_T6_T7_T9_mT8_P12ihipStream_tbDpT10_ENKUlT_T0_E_clISt17integral_constantIbLb1EES1E_IbLb0EEEEDaS1A_S1B_EUlS1A_E_NS1_11comp_targetILNS1_3genE8ELNS1_11target_archE1030ELNS1_3gpuE2ELNS1_3repE0EEENS1_30default_config_static_selectorELNS0_4arch9wavefront6targetE1EEEvT1_, .Lfunc_end279-_ZN7rocprim17ROCPRIM_400000_NS6detail17trampoline_kernelINS0_14default_configENS1_25partition_config_selectorILNS1_17partition_subalgoE2EsNS0_10empty_typeEbEEZZNS1_14partition_implILS5_2ELb0ES3_jN6thrust23THRUST_200600_302600_NS6detail15normal_iteratorINSA_7pointerIsNSA_11hip_rocprim3tagENSA_11use_defaultESG_EEEEPS6_NSA_18transform_iteratorI7is_evenIsENSC_INSA_10device_ptrIsEEEESG_SG_EENS0_5tupleIJPsSJ_EEENSR_IJSJ_SJ_EEES6_PlJS6_EEE10hipError_tPvRmT3_T4_T5_T6_T7_T9_mT8_P12ihipStream_tbDpT10_ENKUlT_T0_E_clISt17integral_constantIbLb1EES1E_IbLb0EEEEDaS1A_S1B_EUlS1A_E_NS1_11comp_targetILNS1_3genE8ELNS1_11target_archE1030ELNS1_3gpuE2ELNS1_3repE0EEENS1_30default_config_static_selectorELNS0_4arch9wavefront6targetE1EEEvT1_
                                        ; -- End function
	.section	.AMDGPU.csdata,"",@progbits
; Kernel info:
; codeLenInByte = 0
; NumSgprs: 6
; NumVgprs: 0
; NumAgprs: 0
; TotalNumVgprs: 0
; ScratchSize: 0
; MemoryBound: 0
; FloatMode: 240
; IeeeMode: 1
; LDSByteSize: 0 bytes/workgroup (compile time only)
; SGPRBlocks: 0
; VGPRBlocks: 0
; NumSGPRsForWavesPerEU: 6
; NumVGPRsForWavesPerEU: 1
; AccumOffset: 4
; Occupancy: 8
; WaveLimiterHint : 0
; COMPUTE_PGM_RSRC2:SCRATCH_EN: 0
; COMPUTE_PGM_RSRC2:USER_SGPR: 2
; COMPUTE_PGM_RSRC2:TRAP_HANDLER: 0
; COMPUTE_PGM_RSRC2:TGID_X_EN: 1
; COMPUTE_PGM_RSRC2:TGID_Y_EN: 0
; COMPUTE_PGM_RSRC2:TGID_Z_EN: 0
; COMPUTE_PGM_RSRC2:TIDIG_COMP_CNT: 0
; COMPUTE_PGM_RSRC3_GFX90A:ACCUM_OFFSET: 0
; COMPUTE_PGM_RSRC3_GFX90A:TG_SPLIT: 0
	.section	.text._ZN7rocprim17ROCPRIM_400000_NS6detail17trampoline_kernelINS0_14default_configENS1_25partition_config_selectorILNS1_17partition_subalgoE2EsNS0_10empty_typeEbEEZZNS1_14partition_implILS5_2ELb0ES3_jN6thrust23THRUST_200600_302600_NS6detail15normal_iteratorINSA_7pointerIsNSA_11hip_rocprim3tagENSA_11use_defaultESG_EEEEPS6_NSA_18transform_iteratorI7is_evenIsENSC_INSA_10device_ptrIsEEEESG_SG_EENS0_5tupleIJPsSJ_EEENSR_IJSJ_SJ_EEES6_PlJS6_EEE10hipError_tPvRmT3_T4_T5_T6_T7_T9_mT8_P12ihipStream_tbDpT10_ENKUlT_T0_E_clISt17integral_constantIbLb0EES1E_IbLb1EEEEDaS1A_S1B_EUlS1A_E_NS1_11comp_targetILNS1_3genE0ELNS1_11target_archE4294967295ELNS1_3gpuE0ELNS1_3repE0EEENS1_30default_config_static_selectorELNS0_4arch9wavefront6targetE1EEEvT1_,"axG",@progbits,_ZN7rocprim17ROCPRIM_400000_NS6detail17trampoline_kernelINS0_14default_configENS1_25partition_config_selectorILNS1_17partition_subalgoE2EsNS0_10empty_typeEbEEZZNS1_14partition_implILS5_2ELb0ES3_jN6thrust23THRUST_200600_302600_NS6detail15normal_iteratorINSA_7pointerIsNSA_11hip_rocprim3tagENSA_11use_defaultESG_EEEEPS6_NSA_18transform_iteratorI7is_evenIsENSC_INSA_10device_ptrIsEEEESG_SG_EENS0_5tupleIJPsSJ_EEENSR_IJSJ_SJ_EEES6_PlJS6_EEE10hipError_tPvRmT3_T4_T5_T6_T7_T9_mT8_P12ihipStream_tbDpT10_ENKUlT_T0_E_clISt17integral_constantIbLb0EES1E_IbLb1EEEEDaS1A_S1B_EUlS1A_E_NS1_11comp_targetILNS1_3genE0ELNS1_11target_archE4294967295ELNS1_3gpuE0ELNS1_3repE0EEENS1_30default_config_static_selectorELNS0_4arch9wavefront6targetE1EEEvT1_,comdat
	.protected	_ZN7rocprim17ROCPRIM_400000_NS6detail17trampoline_kernelINS0_14default_configENS1_25partition_config_selectorILNS1_17partition_subalgoE2EsNS0_10empty_typeEbEEZZNS1_14partition_implILS5_2ELb0ES3_jN6thrust23THRUST_200600_302600_NS6detail15normal_iteratorINSA_7pointerIsNSA_11hip_rocprim3tagENSA_11use_defaultESG_EEEEPS6_NSA_18transform_iteratorI7is_evenIsENSC_INSA_10device_ptrIsEEEESG_SG_EENS0_5tupleIJPsSJ_EEENSR_IJSJ_SJ_EEES6_PlJS6_EEE10hipError_tPvRmT3_T4_T5_T6_T7_T9_mT8_P12ihipStream_tbDpT10_ENKUlT_T0_E_clISt17integral_constantIbLb0EES1E_IbLb1EEEEDaS1A_S1B_EUlS1A_E_NS1_11comp_targetILNS1_3genE0ELNS1_11target_archE4294967295ELNS1_3gpuE0ELNS1_3repE0EEENS1_30default_config_static_selectorELNS0_4arch9wavefront6targetE1EEEvT1_ ; -- Begin function _ZN7rocprim17ROCPRIM_400000_NS6detail17trampoline_kernelINS0_14default_configENS1_25partition_config_selectorILNS1_17partition_subalgoE2EsNS0_10empty_typeEbEEZZNS1_14partition_implILS5_2ELb0ES3_jN6thrust23THRUST_200600_302600_NS6detail15normal_iteratorINSA_7pointerIsNSA_11hip_rocprim3tagENSA_11use_defaultESG_EEEEPS6_NSA_18transform_iteratorI7is_evenIsENSC_INSA_10device_ptrIsEEEESG_SG_EENS0_5tupleIJPsSJ_EEENSR_IJSJ_SJ_EEES6_PlJS6_EEE10hipError_tPvRmT3_T4_T5_T6_T7_T9_mT8_P12ihipStream_tbDpT10_ENKUlT_T0_E_clISt17integral_constantIbLb0EES1E_IbLb1EEEEDaS1A_S1B_EUlS1A_E_NS1_11comp_targetILNS1_3genE0ELNS1_11target_archE4294967295ELNS1_3gpuE0ELNS1_3repE0EEENS1_30default_config_static_selectorELNS0_4arch9wavefront6targetE1EEEvT1_
	.globl	_ZN7rocprim17ROCPRIM_400000_NS6detail17trampoline_kernelINS0_14default_configENS1_25partition_config_selectorILNS1_17partition_subalgoE2EsNS0_10empty_typeEbEEZZNS1_14partition_implILS5_2ELb0ES3_jN6thrust23THRUST_200600_302600_NS6detail15normal_iteratorINSA_7pointerIsNSA_11hip_rocprim3tagENSA_11use_defaultESG_EEEEPS6_NSA_18transform_iteratorI7is_evenIsENSC_INSA_10device_ptrIsEEEESG_SG_EENS0_5tupleIJPsSJ_EEENSR_IJSJ_SJ_EEES6_PlJS6_EEE10hipError_tPvRmT3_T4_T5_T6_T7_T9_mT8_P12ihipStream_tbDpT10_ENKUlT_T0_E_clISt17integral_constantIbLb0EES1E_IbLb1EEEEDaS1A_S1B_EUlS1A_E_NS1_11comp_targetILNS1_3genE0ELNS1_11target_archE4294967295ELNS1_3gpuE0ELNS1_3repE0EEENS1_30default_config_static_selectorELNS0_4arch9wavefront6targetE1EEEvT1_
	.p2align	8
	.type	_ZN7rocprim17ROCPRIM_400000_NS6detail17trampoline_kernelINS0_14default_configENS1_25partition_config_selectorILNS1_17partition_subalgoE2EsNS0_10empty_typeEbEEZZNS1_14partition_implILS5_2ELb0ES3_jN6thrust23THRUST_200600_302600_NS6detail15normal_iteratorINSA_7pointerIsNSA_11hip_rocprim3tagENSA_11use_defaultESG_EEEEPS6_NSA_18transform_iteratorI7is_evenIsENSC_INSA_10device_ptrIsEEEESG_SG_EENS0_5tupleIJPsSJ_EEENSR_IJSJ_SJ_EEES6_PlJS6_EEE10hipError_tPvRmT3_T4_T5_T6_T7_T9_mT8_P12ihipStream_tbDpT10_ENKUlT_T0_E_clISt17integral_constantIbLb0EES1E_IbLb1EEEEDaS1A_S1B_EUlS1A_E_NS1_11comp_targetILNS1_3genE0ELNS1_11target_archE4294967295ELNS1_3gpuE0ELNS1_3repE0EEENS1_30default_config_static_selectorELNS0_4arch9wavefront6targetE1EEEvT1_,@function
_ZN7rocprim17ROCPRIM_400000_NS6detail17trampoline_kernelINS0_14default_configENS1_25partition_config_selectorILNS1_17partition_subalgoE2EsNS0_10empty_typeEbEEZZNS1_14partition_implILS5_2ELb0ES3_jN6thrust23THRUST_200600_302600_NS6detail15normal_iteratorINSA_7pointerIsNSA_11hip_rocprim3tagENSA_11use_defaultESG_EEEEPS6_NSA_18transform_iteratorI7is_evenIsENSC_INSA_10device_ptrIsEEEESG_SG_EENS0_5tupleIJPsSJ_EEENSR_IJSJ_SJ_EEES6_PlJS6_EEE10hipError_tPvRmT3_T4_T5_T6_T7_T9_mT8_P12ihipStream_tbDpT10_ENKUlT_T0_E_clISt17integral_constantIbLb0EES1E_IbLb1EEEEDaS1A_S1B_EUlS1A_E_NS1_11comp_targetILNS1_3genE0ELNS1_11target_archE4294967295ELNS1_3gpuE0ELNS1_3repE0EEENS1_30default_config_static_selectorELNS0_4arch9wavefront6targetE1EEEvT1_: ; @_ZN7rocprim17ROCPRIM_400000_NS6detail17trampoline_kernelINS0_14default_configENS1_25partition_config_selectorILNS1_17partition_subalgoE2EsNS0_10empty_typeEbEEZZNS1_14partition_implILS5_2ELb0ES3_jN6thrust23THRUST_200600_302600_NS6detail15normal_iteratorINSA_7pointerIsNSA_11hip_rocprim3tagENSA_11use_defaultESG_EEEEPS6_NSA_18transform_iteratorI7is_evenIsENSC_INSA_10device_ptrIsEEEESG_SG_EENS0_5tupleIJPsSJ_EEENSR_IJSJ_SJ_EEES6_PlJS6_EEE10hipError_tPvRmT3_T4_T5_T6_T7_T9_mT8_P12ihipStream_tbDpT10_ENKUlT_T0_E_clISt17integral_constantIbLb0EES1E_IbLb1EEEEDaS1A_S1B_EUlS1A_E_NS1_11comp_targetILNS1_3genE0ELNS1_11target_archE4294967295ELNS1_3gpuE0ELNS1_3repE0EEENS1_30default_config_static_selectorELNS0_4arch9wavefront6targetE1EEEvT1_
; %bb.0:
	.section	.rodata,"a",@progbits
	.p2align	6, 0x0
	.amdhsa_kernel _ZN7rocprim17ROCPRIM_400000_NS6detail17trampoline_kernelINS0_14default_configENS1_25partition_config_selectorILNS1_17partition_subalgoE2EsNS0_10empty_typeEbEEZZNS1_14partition_implILS5_2ELb0ES3_jN6thrust23THRUST_200600_302600_NS6detail15normal_iteratorINSA_7pointerIsNSA_11hip_rocprim3tagENSA_11use_defaultESG_EEEEPS6_NSA_18transform_iteratorI7is_evenIsENSC_INSA_10device_ptrIsEEEESG_SG_EENS0_5tupleIJPsSJ_EEENSR_IJSJ_SJ_EEES6_PlJS6_EEE10hipError_tPvRmT3_T4_T5_T6_T7_T9_mT8_P12ihipStream_tbDpT10_ENKUlT_T0_E_clISt17integral_constantIbLb0EES1E_IbLb1EEEEDaS1A_S1B_EUlS1A_E_NS1_11comp_targetILNS1_3genE0ELNS1_11target_archE4294967295ELNS1_3gpuE0ELNS1_3repE0EEENS1_30default_config_static_selectorELNS0_4arch9wavefront6targetE1EEEvT1_
		.amdhsa_group_segment_fixed_size 0
		.amdhsa_private_segment_fixed_size 0
		.amdhsa_kernarg_size 144
		.amdhsa_user_sgpr_count 2
		.amdhsa_user_sgpr_dispatch_ptr 0
		.amdhsa_user_sgpr_queue_ptr 0
		.amdhsa_user_sgpr_kernarg_segment_ptr 1
		.amdhsa_user_sgpr_dispatch_id 0
		.amdhsa_user_sgpr_kernarg_preload_length 0
		.amdhsa_user_sgpr_kernarg_preload_offset 0
		.amdhsa_user_sgpr_private_segment_size 0
		.amdhsa_uses_dynamic_stack 0
		.amdhsa_enable_private_segment 0
		.amdhsa_system_sgpr_workgroup_id_x 1
		.amdhsa_system_sgpr_workgroup_id_y 0
		.amdhsa_system_sgpr_workgroup_id_z 0
		.amdhsa_system_sgpr_workgroup_info 0
		.amdhsa_system_vgpr_workitem_id 0
		.amdhsa_next_free_vgpr 1
		.amdhsa_next_free_sgpr 0
		.amdhsa_accum_offset 4
		.amdhsa_reserve_vcc 0
		.amdhsa_float_round_mode_32 0
		.amdhsa_float_round_mode_16_64 0
		.amdhsa_float_denorm_mode_32 3
		.amdhsa_float_denorm_mode_16_64 3
		.amdhsa_dx10_clamp 1
		.amdhsa_ieee_mode 1
		.amdhsa_fp16_overflow 0
		.amdhsa_tg_split 0
		.amdhsa_exception_fp_ieee_invalid_op 0
		.amdhsa_exception_fp_denorm_src 0
		.amdhsa_exception_fp_ieee_div_zero 0
		.amdhsa_exception_fp_ieee_overflow 0
		.amdhsa_exception_fp_ieee_underflow 0
		.amdhsa_exception_fp_ieee_inexact 0
		.amdhsa_exception_int_div_zero 0
	.end_amdhsa_kernel
	.section	.text._ZN7rocprim17ROCPRIM_400000_NS6detail17trampoline_kernelINS0_14default_configENS1_25partition_config_selectorILNS1_17partition_subalgoE2EsNS0_10empty_typeEbEEZZNS1_14partition_implILS5_2ELb0ES3_jN6thrust23THRUST_200600_302600_NS6detail15normal_iteratorINSA_7pointerIsNSA_11hip_rocprim3tagENSA_11use_defaultESG_EEEEPS6_NSA_18transform_iteratorI7is_evenIsENSC_INSA_10device_ptrIsEEEESG_SG_EENS0_5tupleIJPsSJ_EEENSR_IJSJ_SJ_EEES6_PlJS6_EEE10hipError_tPvRmT3_T4_T5_T6_T7_T9_mT8_P12ihipStream_tbDpT10_ENKUlT_T0_E_clISt17integral_constantIbLb0EES1E_IbLb1EEEEDaS1A_S1B_EUlS1A_E_NS1_11comp_targetILNS1_3genE0ELNS1_11target_archE4294967295ELNS1_3gpuE0ELNS1_3repE0EEENS1_30default_config_static_selectorELNS0_4arch9wavefront6targetE1EEEvT1_,"axG",@progbits,_ZN7rocprim17ROCPRIM_400000_NS6detail17trampoline_kernelINS0_14default_configENS1_25partition_config_selectorILNS1_17partition_subalgoE2EsNS0_10empty_typeEbEEZZNS1_14partition_implILS5_2ELb0ES3_jN6thrust23THRUST_200600_302600_NS6detail15normal_iteratorINSA_7pointerIsNSA_11hip_rocprim3tagENSA_11use_defaultESG_EEEEPS6_NSA_18transform_iteratorI7is_evenIsENSC_INSA_10device_ptrIsEEEESG_SG_EENS0_5tupleIJPsSJ_EEENSR_IJSJ_SJ_EEES6_PlJS6_EEE10hipError_tPvRmT3_T4_T5_T6_T7_T9_mT8_P12ihipStream_tbDpT10_ENKUlT_T0_E_clISt17integral_constantIbLb0EES1E_IbLb1EEEEDaS1A_S1B_EUlS1A_E_NS1_11comp_targetILNS1_3genE0ELNS1_11target_archE4294967295ELNS1_3gpuE0ELNS1_3repE0EEENS1_30default_config_static_selectorELNS0_4arch9wavefront6targetE1EEEvT1_,comdat
.Lfunc_end280:
	.size	_ZN7rocprim17ROCPRIM_400000_NS6detail17trampoline_kernelINS0_14default_configENS1_25partition_config_selectorILNS1_17partition_subalgoE2EsNS0_10empty_typeEbEEZZNS1_14partition_implILS5_2ELb0ES3_jN6thrust23THRUST_200600_302600_NS6detail15normal_iteratorINSA_7pointerIsNSA_11hip_rocprim3tagENSA_11use_defaultESG_EEEEPS6_NSA_18transform_iteratorI7is_evenIsENSC_INSA_10device_ptrIsEEEESG_SG_EENS0_5tupleIJPsSJ_EEENSR_IJSJ_SJ_EEES6_PlJS6_EEE10hipError_tPvRmT3_T4_T5_T6_T7_T9_mT8_P12ihipStream_tbDpT10_ENKUlT_T0_E_clISt17integral_constantIbLb0EES1E_IbLb1EEEEDaS1A_S1B_EUlS1A_E_NS1_11comp_targetILNS1_3genE0ELNS1_11target_archE4294967295ELNS1_3gpuE0ELNS1_3repE0EEENS1_30default_config_static_selectorELNS0_4arch9wavefront6targetE1EEEvT1_, .Lfunc_end280-_ZN7rocprim17ROCPRIM_400000_NS6detail17trampoline_kernelINS0_14default_configENS1_25partition_config_selectorILNS1_17partition_subalgoE2EsNS0_10empty_typeEbEEZZNS1_14partition_implILS5_2ELb0ES3_jN6thrust23THRUST_200600_302600_NS6detail15normal_iteratorINSA_7pointerIsNSA_11hip_rocprim3tagENSA_11use_defaultESG_EEEEPS6_NSA_18transform_iteratorI7is_evenIsENSC_INSA_10device_ptrIsEEEESG_SG_EENS0_5tupleIJPsSJ_EEENSR_IJSJ_SJ_EEES6_PlJS6_EEE10hipError_tPvRmT3_T4_T5_T6_T7_T9_mT8_P12ihipStream_tbDpT10_ENKUlT_T0_E_clISt17integral_constantIbLb0EES1E_IbLb1EEEEDaS1A_S1B_EUlS1A_E_NS1_11comp_targetILNS1_3genE0ELNS1_11target_archE4294967295ELNS1_3gpuE0ELNS1_3repE0EEENS1_30default_config_static_selectorELNS0_4arch9wavefront6targetE1EEEvT1_
                                        ; -- End function
	.section	.AMDGPU.csdata,"",@progbits
; Kernel info:
; codeLenInByte = 0
; NumSgprs: 6
; NumVgprs: 0
; NumAgprs: 0
; TotalNumVgprs: 0
; ScratchSize: 0
; MemoryBound: 0
; FloatMode: 240
; IeeeMode: 1
; LDSByteSize: 0 bytes/workgroup (compile time only)
; SGPRBlocks: 0
; VGPRBlocks: 0
; NumSGPRsForWavesPerEU: 6
; NumVGPRsForWavesPerEU: 1
; AccumOffset: 4
; Occupancy: 8
; WaveLimiterHint : 0
; COMPUTE_PGM_RSRC2:SCRATCH_EN: 0
; COMPUTE_PGM_RSRC2:USER_SGPR: 2
; COMPUTE_PGM_RSRC2:TRAP_HANDLER: 0
; COMPUTE_PGM_RSRC2:TGID_X_EN: 1
; COMPUTE_PGM_RSRC2:TGID_Y_EN: 0
; COMPUTE_PGM_RSRC2:TGID_Z_EN: 0
; COMPUTE_PGM_RSRC2:TIDIG_COMP_CNT: 0
; COMPUTE_PGM_RSRC3_GFX90A:ACCUM_OFFSET: 0
; COMPUTE_PGM_RSRC3_GFX90A:TG_SPLIT: 0
	.section	.text._ZN7rocprim17ROCPRIM_400000_NS6detail17trampoline_kernelINS0_14default_configENS1_25partition_config_selectorILNS1_17partition_subalgoE2EsNS0_10empty_typeEbEEZZNS1_14partition_implILS5_2ELb0ES3_jN6thrust23THRUST_200600_302600_NS6detail15normal_iteratorINSA_7pointerIsNSA_11hip_rocprim3tagENSA_11use_defaultESG_EEEEPS6_NSA_18transform_iteratorI7is_evenIsENSC_INSA_10device_ptrIsEEEESG_SG_EENS0_5tupleIJPsSJ_EEENSR_IJSJ_SJ_EEES6_PlJS6_EEE10hipError_tPvRmT3_T4_T5_T6_T7_T9_mT8_P12ihipStream_tbDpT10_ENKUlT_T0_E_clISt17integral_constantIbLb0EES1E_IbLb1EEEEDaS1A_S1B_EUlS1A_E_NS1_11comp_targetILNS1_3genE5ELNS1_11target_archE942ELNS1_3gpuE9ELNS1_3repE0EEENS1_30default_config_static_selectorELNS0_4arch9wavefront6targetE1EEEvT1_,"axG",@progbits,_ZN7rocprim17ROCPRIM_400000_NS6detail17trampoline_kernelINS0_14default_configENS1_25partition_config_selectorILNS1_17partition_subalgoE2EsNS0_10empty_typeEbEEZZNS1_14partition_implILS5_2ELb0ES3_jN6thrust23THRUST_200600_302600_NS6detail15normal_iteratorINSA_7pointerIsNSA_11hip_rocprim3tagENSA_11use_defaultESG_EEEEPS6_NSA_18transform_iteratorI7is_evenIsENSC_INSA_10device_ptrIsEEEESG_SG_EENS0_5tupleIJPsSJ_EEENSR_IJSJ_SJ_EEES6_PlJS6_EEE10hipError_tPvRmT3_T4_T5_T6_T7_T9_mT8_P12ihipStream_tbDpT10_ENKUlT_T0_E_clISt17integral_constantIbLb0EES1E_IbLb1EEEEDaS1A_S1B_EUlS1A_E_NS1_11comp_targetILNS1_3genE5ELNS1_11target_archE942ELNS1_3gpuE9ELNS1_3repE0EEENS1_30default_config_static_selectorELNS0_4arch9wavefront6targetE1EEEvT1_,comdat
	.protected	_ZN7rocprim17ROCPRIM_400000_NS6detail17trampoline_kernelINS0_14default_configENS1_25partition_config_selectorILNS1_17partition_subalgoE2EsNS0_10empty_typeEbEEZZNS1_14partition_implILS5_2ELb0ES3_jN6thrust23THRUST_200600_302600_NS6detail15normal_iteratorINSA_7pointerIsNSA_11hip_rocprim3tagENSA_11use_defaultESG_EEEEPS6_NSA_18transform_iteratorI7is_evenIsENSC_INSA_10device_ptrIsEEEESG_SG_EENS0_5tupleIJPsSJ_EEENSR_IJSJ_SJ_EEES6_PlJS6_EEE10hipError_tPvRmT3_T4_T5_T6_T7_T9_mT8_P12ihipStream_tbDpT10_ENKUlT_T0_E_clISt17integral_constantIbLb0EES1E_IbLb1EEEEDaS1A_S1B_EUlS1A_E_NS1_11comp_targetILNS1_3genE5ELNS1_11target_archE942ELNS1_3gpuE9ELNS1_3repE0EEENS1_30default_config_static_selectorELNS0_4arch9wavefront6targetE1EEEvT1_ ; -- Begin function _ZN7rocprim17ROCPRIM_400000_NS6detail17trampoline_kernelINS0_14default_configENS1_25partition_config_selectorILNS1_17partition_subalgoE2EsNS0_10empty_typeEbEEZZNS1_14partition_implILS5_2ELb0ES3_jN6thrust23THRUST_200600_302600_NS6detail15normal_iteratorINSA_7pointerIsNSA_11hip_rocprim3tagENSA_11use_defaultESG_EEEEPS6_NSA_18transform_iteratorI7is_evenIsENSC_INSA_10device_ptrIsEEEESG_SG_EENS0_5tupleIJPsSJ_EEENSR_IJSJ_SJ_EEES6_PlJS6_EEE10hipError_tPvRmT3_T4_T5_T6_T7_T9_mT8_P12ihipStream_tbDpT10_ENKUlT_T0_E_clISt17integral_constantIbLb0EES1E_IbLb1EEEEDaS1A_S1B_EUlS1A_E_NS1_11comp_targetILNS1_3genE5ELNS1_11target_archE942ELNS1_3gpuE9ELNS1_3repE0EEENS1_30default_config_static_selectorELNS0_4arch9wavefront6targetE1EEEvT1_
	.globl	_ZN7rocprim17ROCPRIM_400000_NS6detail17trampoline_kernelINS0_14default_configENS1_25partition_config_selectorILNS1_17partition_subalgoE2EsNS0_10empty_typeEbEEZZNS1_14partition_implILS5_2ELb0ES3_jN6thrust23THRUST_200600_302600_NS6detail15normal_iteratorINSA_7pointerIsNSA_11hip_rocprim3tagENSA_11use_defaultESG_EEEEPS6_NSA_18transform_iteratorI7is_evenIsENSC_INSA_10device_ptrIsEEEESG_SG_EENS0_5tupleIJPsSJ_EEENSR_IJSJ_SJ_EEES6_PlJS6_EEE10hipError_tPvRmT3_T4_T5_T6_T7_T9_mT8_P12ihipStream_tbDpT10_ENKUlT_T0_E_clISt17integral_constantIbLb0EES1E_IbLb1EEEEDaS1A_S1B_EUlS1A_E_NS1_11comp_targetILNS1_3genE5ELNS1_11target_archE942ELNS1_3gpuE9ELNS1_3repE0EEENS1_30default_config_static_selectorELNS0_4arch9wavefront6targetE1EEEvT1_
	.p2align	8
	.type	_ZN7rocprim17ROCPRIM_400000_NS6detail17trampoline_kernelINS0_14default_configENS1_25partition_config_selectorILNS1_17partition_subalgoE2EsNS0_10empty_typeEbEEZZNS1_14partition_implILS5_2ELb0ES3_jN6thrust23THRUST_200600_302600_NS6detail15normal_iteratorINSA_7pointerIsNSA_11hip_rocprim3tagENSA_11use_defaultESG_EEEEPS6_NSA_18transform_iteratorI7is_evenIsENSC_INSA_10device_ptrIsEEEESG_SG_EENS0_5tupleIJPsSJ_EEENSR_IJSJ_SJ_EEES6_PlJS6_EEE10hipError_tPvRmT3_T4_T5_T6_T7_T9_mT8_P12ihipStream_tbDpT10_ENKUlT_T0_E_clISt17integral_constantIbLb0EES1E_IbLb1EEEEDaS1A_S1B_EUlS1A_E_NS1_11comp_targetILNS1_3genE5ELNS1_11target_archE942ELNS1_3gpuE9ELNS1_3repE0EEENS1_30default_config_static_selectorELNS0_4arch9wavefront6targetE1EEEvT1_,@function
_ZN7rocprim17ROCPRIM_400000_NS6detail17trampoline_kernelINS0_14default_configENS1_25partition_config_selectorILNS1_17partition_subalgoE2EsNS0_10empty_typeEbEEZZNS1_14partition_implILS5_2ELb0ES3_jN6thrust23THRUST_200600_302600_NS6detail15normal_iteratorINSA_7pointerIsNSA_11hip_rocprim3tagENSA_11use_defaultESG_EEEEPS6_NSA_18transform_iteratorI7is_evenIsENSC_INSA_10device_ptrIsEEEESG_SG_EENS0_5tupleIJPsSJ_EEENSR_IJSJ_SJ_EEES6_PlJS6_EEE10hipError_tPvRmT3_T4_T5_T6_T7_T9_mT8_P12ihipStream_tbDpT10_ENKUlT_T0_E_clISt17integral_constantIbLb0EES1E_IbLb1EEEEDaS1A_S1B_EUlS1A_E_NS1_11comp_targetILNS1_3genE5ELNS1_11target_archE942ELNS1_3gpuE9ELNS1_3repE0EEENS1_30default_config_static_selectorELNS0_4arch9wavefront6targetE1EEEvT1_: ; @_ZN7rocprim17ROCPRIM_400000_NS6detail17trampoline_kernelINS0_14default_configENS1_25partition_config_selectorILNS1_17partition_subalgoE2EsNS0_10empty_typeEbEEZZNS1_14partition_implILS5_2ELb0ES3_jN6thrust23THRUST_200600_302600_NS6detail15normal_iteratorINSA_7pointerIsNSA_11hip_rocprim3tagENSA_11use_defaultESG_EEEEPS6_NSA_18transform_iteratorI7is_evenIsENSC_INSA_10device_ptrIsEEEESG_SG_EENS0_5tupleIJPsSJ_EEENSR_IJSJ_SJ_EEES6_PlJS6_EEE10hipError_tPvRmT3_T4_T5_T6_T7_T9_mT8_P12ihipStream_tbDpT10_ENKUlT_T0_E_clISt17integral_constantIbLb0EES1E_IbLb1EEEEDaS1A_S1B_EUlS1A_E_NS1_11comp_targetILNS1_3genE5ELNS1_11target_archE942ELNS1_3gpuE9ELNS1_3repE0EEENS1_30default_config_static_selectorELNS0_4arch9wavefront6targetE1EEEvT1_
; %bb.0:
	s_load_dwordx2 s[2:3], s[0:1], 0x20
	s_load_dwordx2 s[28:29], s[0:1], 0x30
	s_load_dwordx2 s[30:31], s[0:1], 0x60
	s_load_dwordx4 s[20:23], s[0:1], 0x50
	s_load_dwordx2 s[36:37], s[0:1], 0x70
	v_cmp_eq_u32_e64 s[18:19], 0, v0
	s_and_saveexec_b64 s[4:5], s[18:19]
	s_cbranch_execz .LBB281_4
; %bb.1:
	s_mov_b64 s[8:9], exec
	v_mbcnt_lo_u32_b32 v1, s8, 0
	v_mbcnt_hi_u32_b32 v1, s9, v1
	v_cmp_eq_u32_e32 vcc, 0, v1
                                        ; implicit-def: $vgpr2
	s_and_saveexec_b64 s[6:7], vcc
	s_cbranch_execz .LBB281_3
; %bb.2:
	s_load_dwordx2 s[10:11], s[0:1], 0x80
	s_bcnt1_i32_b64 s8, s[8:9]
	v_mov_b32_e32 v2, 0
	v_mov_b32_e32 v3, s8
	s_waitcnt lgkmcnt(0)
	global_atomic_add v2, v2, v3, s[10:11] sc0
.LBB281_3:
	s_or_b64 exec, exec, s[6:7]
	s_waitcnt vmcnt(0)
	v_readfirstlane_b32 s6, v2
	v_mov_b32_e32 v2, 0
	s_nop 0
	v_add_u32_e32 v1, s6, v1
	ds_write_b32 v2, v1
.LBB281_4:
	s_or_b64 exec, exec, s[4:5]
	v_mov_b32_e32 v13, 0
	s_load_dwordx4 s[24:27], s[0:1], 0x8
	s_load_dword s6, s[0:1], 0x78
	s_waitcnt lgkmcnt(0)
	s_barrier
	ds_read_b32 v1, v13
	s_waitcnt lgkmcnt(0)
	s_barrier
	global_load_dwordx2 v[14:15], v13, s[22:23]
	s_lshl_b64 s[4:5], s[26:27], 1
	s_add_u32 s8, s24, s4
	s_mul_i32 s0, s6, 0x3c00
	s_addc_u32 s9, s25, s5
	s_add_i32 s1, s0, s26
	s_sub_i32 s33, s30, s1
	s_add_i32 s7, s6, -1
	s_addk_i32 s33, 0x3c00
	s_add_u32 s0, s26, s0
	v_readfirstlane_b32 s42, v1
	s_addc_u32 s1, s27, 0
	s_cmp_eq_u32 s42, s7
	v_mov_b64_e32 v[2:3], s[30:31]
	s_cselect_b64 s[22:23], -1, 0
	s_cmp_lg_u32 s42, s7
	s_mul_i32 s24, s42, 0x3c00
	s_mov_b32 s25, 0
	v_cmp_lt_u64_e32 vcc, s[0:1], v[2:3]
	s_cselect_b64 s[0:1], -1, 0
	s_or_b64 s[34:35], vcc, s[0:1]
	s_lshl_b64 s[6:7], s[24:25], 1
	s_add_u32 s8, s8, s6
	s_addc_u32 s9, s9, s7
	s_mov_b64 s[0:1], -1
	s_and_b64 vcc, exec, s[34:35]
	v_lshlrev_b32_e32 v12, 1, v0
	s_cbranch_vccz .LBB281_6
; %bb.5:
	v_lshl_add_u64 v[2:3], s[8:9], 0, v[12:13]
	v_add_co_u32_e32 v4, vcc, 0x1000, v2
	s_mov_b64 s[0:1], 0
	s_nop 0
	v_addc_co_u32_e32 v5, vcc, 0, v3, vcc
	flat_load_ushort v1, v[2:3]
	flat_load_ushort v8, v[2:3] offset:1024
	flat_load_ushort v9, v[2:3] offset:2048
	flat_load_ushort v10, v[2:3] offset:3072
	flat_load_ushort v11, v[4:5]
	flat_load_ushort v13, v[4:5] offset:1024
	flat_load_ushort v16, v[4:5] offset:2048
	flat_load_ushort v17, v[4:5] offset:3072
	v_add_co_u32_e32 v4, vcc, 0x2000, v2
	s_nop 1
	v_addc_co_u32_e32 v5, vcc, 0, v3, vcc
	v_add_co_u32_e32 v6, vcc, 0x3000, v2
	s_nop 1
	v_addc_co_u32_e32 v7, vcc, 0, v3, vcc
	flat_load_ushort v18, v[4:5]
	flat_load_ushort v19, v[4:5] offset:1024
	flat_load_ushort v20, v[4:5] offset:2048
	flat_load_ushort v21, v[4:5] offset:3072
	flat_load_ushort v22, v[6:7]
	flat_load_ushort v23, v[6:7] offset:1024
	flat_load_ushort v24, v[6:7] offset:2048
	flat_load_ushort v25, v[6:7] offset:3072
	v_add_co_u32_e32 v4, vcc, 0x4000, v2
	s_nop 1
	v_addc_co_u32_e32 v5, vcc, 0, v3, vcc
	v_add_co_u32_e32 v6, vcc, 0x5000, v2
	;; [unrolled: 14-line block ×3, first 2 shown]
	s_nop 1
	v_addc_co_u32_e32 v3, vcc, 0, v3, vcc
	flat_load_ushort v6, v[4:5]
	flat_load_ushort v7, v[4:5] offset:1024
	flat_load_ushort v34, v[4:5] offset:2048
	;; [unrolled: 1-line block ×3, first 2 shown]
	flat_load_ushort v36, v[2:3]
	flat_load_ushort v37, v[2:3] offset:1024
	s_waitcnt vmcnt(0) lgkmcnt(0)
	ds_write_b16 v12, v1
	ds_write_b16 v12, v8 offset:1024
	ds_write_b16 v12, v9 offset:2048
	;; [unrolled: 1-line block ×29, first 2 shown]
	s_waitcnt lgkmcnt(0)
	s_barrier
.LBB281_6:
	s_andn2_b64 vcc, exec, s[0:1]
	v_cmp_gt_u32_e64 s[0:1], s33, v0
	s_cbranch_vccnz .LBB281_68
; %bb.7:
                                        ; implicit-def: $vgpr1
	s_and_saveexec_b64 s[10:11], s[0:1]
	s_cbranch_execz .LBB281_9
; %bb.8:
	v_mov_b32_e32 v13, 0
	v_lshl_add_u64 v[2:3], s[8:9], 0, v[12:13]
	flat_load_ushort v1, v[2:3]
.LBB281_9:
	s_or_b64 exec, exec, s[10:11]
	v_or_b32_e32 v2, 0x200, v0
	v_cmp_gt_u32_e32 vcc, s33, v2
                                        ; implicit-def: $vgpr2
	s_and_saveexec_b64 s[0:1], vcc
	s_cbranch_execz .LBB281_11
; %bb.10:
	v_mov_b32_e32 v13, 0
	v_lshl_add_u64 v[2:3], s[8:9], 0, v[12:13]
	flat_load_ushort v2, v[2:3] offset:1024
.LBB281_11:
	s_or_b64 exec, exec, s[0:1]
	v_or_b32_e32 v3, 0x400, v0
	v_cmp_gt_u32_e32 vcc, s33, v3
                                        ; implicit-def: $vgpr3
	s_and_saveexec_b64 s[0:1], vcc
	s_cbranch_execz .LBB281_13
; %bb.12:
	v_mov_b32_e32 v13, 0
	v_lshl_add_u64 v[4:5], s[8:9], 0, v[12:13]
	flat_load_ushort v3, v[4:5] offset:2048
.LBB281_13:
	s_or_b64 exec, exec, s[0:1]
	v_or_b32_e32 v4, 0x600, v0
	v_cmp_gt_u32_e32 vcc, s33, v4
                                        ; implicit-def: $vgpr4
	s_and_saveexec_b64 s[0:1], vcc
	s_cbranch_execz .LBB281_15
; %bb.14:
	v_mov_b32_e32 v13, 0
	v_lshl_add_u64 v[4:5], s[8:9], 0, v[12:13]
	flat_load_ushort v4, v[4:5] offset:3072
.LBB281_15:
	s_or_b64 exec, exec, s[0:1]
	v_or_b32_e32 v6, 0x800, v0
	v_cmp_gt_u32_e32 vcc, s33, v6
                                        ; implicit-def: $vgpr5
	s_and_saveexec_b64 s[0:1], vcc
	s_cbranch_execz .LBB281_17
; %bb.16:
	v_lshlrev_b32_e32 v6, 1, v6
	v_mov_b32_e32 v7, 0
	v_lshl_add_u64 v[6:7], s[8:9], 0, v[6:7]
	flat_load_ushort v5, v[6:7]
.LBB281_17:
	s_or_b64 exec, exec, s[0:1]
	v_or_b32_e32 v7, 0xa00, v0
	v_cmp_gt_u32_e32 vcc, s33, v7
                                        ; implicit-def: $vgpr6
	s_and_saveexec_b64 s[0:1], vcc
	s_cbranch_execz .LBB281_19
; %bb.18:
	v_lshlrev_b32_e32 v6, 1, v7
	v_mov_b32_e32 v7, 0
	v_lshl_add_u64 v[6:7], s[8:9], 0, v[6:7]
	flat_load_ushort v6, v[6:7]
.LBB281_19:
	s_or_b64 exec, exec, s[0:1]
	v_or_b32_e32 v8, 0xc00, v0
	v_cmp_gt_u32_e32 vcc, s33, v8
                                        ; implicit-def: $vgpr7
	s_and_saveexec_b64 s[0:1], vcc
	s_cbranch_execz .LBB281_21
; %bb.20:
	v_lshlrev_b32_e32 v8, 1, v8
	v_mov_b32_e32 v9, 0
	v_lshl_add_u64 v[8:9], s[8:9], 0, v[8:9]
	flat_load_ushort v7, v[8:9]
.LBB281_21:
	s_or_b64 exec, exec, s[0:1]
	v_or_b32_e32 v9, 0xe00, v0
	v_cmp_gt_u32_e32 vcc, s33, v9
                                        ; implicit-def: $vgpr8
	s_and_saveexec_b64 s[0:1], vcc
	s_cbranch_execz .LBB281_23
; %bb.22:
	v_lshlrev_b32_e32 v8, 1, v9
	v_mov_b32_e32 v9, 0
	v_lshl_add_u64 v[8:9], s[8:9], 0, v[8:9]
	flat_load_ushort v8, v[8:9]
.LBB281_23:
	s_or_b64 exec, exec, s[0:1]
	v_or_b32_e32 v10, 0x1000, v0
	v_cmp_gt_u32_e32 vcc, s33, v10
                                        ; implicit-def: $vgpr9
	s_and_saveexec_b64 s[0:1], vcc
	s_cbranch_execz .LBB281_25
; %bb.24:
	v_lshlrev_b32_e32 v10, 1, v10
	v_mov_b32_e32 v11, 0
	v_lshl_add_u64 v[10:11], s[8:9], 0, v[10:11]
	flat_load_ushort v9, v[10:11]
.LBB281_25:
	s_or_b64 exec, exec, s[0:1]
	v_or_b32_e32 v11, 0x1200, v0
	v_cmp_gt_u32_e32 vcc, s33, v11
                                        ; implicit-def: $vgpr10
	s_and_saveexec_b64 s[0:1], vcc
	s_cbranch_execz .LBB281_27
; %bb.26:
	v_lshlrev_b32_e32 v10, 1, v11
	v_mov_b32_e32 v11, 0
	v_lshl_add_u64 v[10:11], s[8:9], 0, v[10:11]
	flat_load_ushort v10, v[10:11]
.LBB281_27:
	s_or_b64 exec, exec, s[0:1]
	v_or_b32_e32 v13, 0x1400, v0
	v_cmp_gt_u32_e32 vcc, s33, v13
                                        ; implicit-def: $vgpr11
	s_and_saveexec_b64 s[0:1], vcc
	s_cbranch_execz .LBB281_29
; %bb.28:
	v_lshlrev_b32_e32 v16, 1, v13
	v_mov_b32_e32 v17, 0
	v_lshl_add_u64 v[16:17], s[8:9], 0, v[16:17]
	flat_load_ushort v11, v[16:17]
.LBB281_29:
	s_or_b64 exec, exec, s[0:1]
	v_or_b32_e32 v16, 0x1600, v0
	v_cmp_gt_u32_e32 vcc, s33, v16
                                        ; implicit-def: $vgpr13
	s_and_saveexec_b64 s[0:1], vcc
	s_cbranch_execz .LBB281_31
; %bb.30:
	v_lshlrev_b32_e32 v16, 1, v16
	v_mov_b32_e32 v17, 0
	v_lshl_add_u64 v[16:17], s[8:9], 0, v[16:17]
	flat_load_ushort v13, v[16:17]
.LBB281_31:
	s_or_b64 exec, exec, s[0:1]
	v_or_b32_e32 v17, 0x1800, v0
	v_cmp_gt_u32_e32 vcc, s33, v17
                                        ; implicit-def: $vgpr16
	s_and_saveexec_b64 s[0:1], vcc
	s_cbranch_execz .LBB281_33
; %bb.32:
	v_lshlrev_b32_e32 v16, 1, v17
	v_mov_b32_e32 v17, 0
	v_lshl_add_u64 v[16:17], s[8:9], 0, v[16:17]
	flat_load_ushort v16, v[16:17]
.LBB281_33:
	s_or_b64 exec, exec, s[0:1]
	v_or_b32_e32 v18, 0x1a00, v0
	v_cmp_gt_u32_e32 vcc, s33, v18
                                        ; implicit-def: $vgpr17
	s_and_saveexec_b64 s[0:1], vcc
	s_cbranch_execz .LBB281_35
; %bb.34:
	v_lshlrev_b32_e32 v18, 1, v18
	v_mov_b32_e32 v19, 0
	v_lshl_add_u64 v[18:19], s[8:9], 0, v[18:19]
	flat_load_ushort v17, v[18:19]
.LBB281_35:
	s_or_b64 exec, exec, s[0:1]
	v_or_b32_e32 v19, 0x1c00, v0
	v_cmp_gt_u32_e32 vcc, s33, v19
                                        ; implicit-def: $vgpr18
	s_and_saveexec_b64 s[0:1], vcc
	s_cbranch_execz .LBB281_37
; %bb.36:
	v_lshlrev_b32_e32 v18, 1, v19
	v_mov_b32_e32 v19, 0
	v_lshl_add_u64 v[18:19], s[8:9], 0, v[18:19]
	flat_load_ushort v18, v[18:19]
.LBB281_37:
	s_or_b64 exec, exec, s[0:1]
	v_or_b32_e32 v20, 0x1e00, v0
	v_cmp_gt_u32_e32 vcc, s33, v20
                                        ; implicit-def: $vgpr19
	s_and_saveexec_b64 s[0:1], vcc
	s_cbranch_execz .LBB281_39
; %bb.38:
	v_lshlrev_b32_e32 v20, 1, v20
	v_mov_b32_e32 v21, 0
	v_lshl_add_u64 v[20:21], s[8:9], 0, v[20:21]
	flat_load_ushort v19, v[20:21]
.LBB281_39:
	s_or_b64 exec, exec, s[0:1]
	v_or_b32_e32 v21, 0x2000, v0
	v_cmp_gt_u32_e32 vcc, s33, v21
                                        ; implicit-def: $vgpr20
	s_and_saveexec_b64 s[0:1], vcc
	s_cbranch_execz .LBB281_41
; %bb.40:
	v_lshlrev_b32_e32 v20, 1, v21
	v_mov_b32_e32 v21, 0
	v_lshl_add_u64 v[20:21], s[8:9], 0, v[20:21]
	flat_load_ushort v20, v[20:21]
.LBB281_41:
	s_or_b64 exec, exec, s[0:1]
	v_or_b32_e32 v22, 0x2200, v0
	v_cmp_gt_u32_e32 vcc, s33, v22
                                        ; implicit-def: $vgpr21
	s_and_saveexec_b64 s[0:1], vcc
	s_cbranch_execz .LBB281_43
; %bb.42:
	v_lshlrev_b32_e32 v22, 1, v22
	v_mov_b32_e32 v23, 0
	v_lshl_add_u64 v[22:23], s[8:9], 0, v[22:23]
	flat_load_ushort v21, v[22:23]
.LBB281_43:
	s_or_b64 exec, exec, s[0:1]
	v_or_b32_e32 v23, 0x2400, v0
	v_cmp_gt_u32_e32 vcc, s33, v23
                                        ; implicit-def: $vgpr22
	s_and_saveexec_b64 s[0:1], vcc
	s_cbranch_execz .LBB281_45
; %bb.44:
	v_lshlrev_b32_e32 v22, 1, v23
	v_mov_b32_e32 v23, 0
	v_lshl_add_u64 v[22:23], s[8:9], 0, v[22:23]
	flat_load_ushort v22, v[22:23]
.LBB281_45:
	s_or_b64 exec, exec, s[0:1]
	v_or_b32_e32 v24, 0x2600, v0
	v_cmp_gt_u32_e32 vcc, s33, v24
                                        ; implicit-def: $vgpr23
	s_and_saveexec_b64 s[0:1], vcc
	s_cbranch_execz .LBB281_47
; %bb.46:
	v_lshlrev_b32_e32 v24, 1, v24
	v_mov_b32_e32 v25, 0
	v_lshl_add_u64 v[24:25], s[8:9], 0, v[24:25]
	flat_load_ushort v23, v[24:25]
.LBB281_47:
	s_or_b64 exec, exec, s[0:1]
	v_or_b32_e32 v25, 0x2800, v0
	v_cmp_gt_u32_e32 vcc, s33, v25
                                        ; implicit-def: $vgpr24
	s_and_saveexec_b64 s[0:1], vcc
	s_cbranch_execz .LBB281_49
; %bb.48:
	v_lshlrev_b32_e32 v24, 1, v25
	v_mov_b32_e32 v25, 0
	v_lshl_add_u64 v[24:25], s[8:9], 0, v[24:25]
	flat_load_ushort v24, v[24:25]
.LBB281_49:
	s_or_b64 exec, exec, s[0:1]
	v_or_b32_e32 v26, 0x2a00, v0
	v_cmp_gt_u32_e32 vcc, s33, v26
                                        ; implicit-def: $vgpr25
	s_and_saveexec_b64 s[0:1], vcc
	s_cbranch_execz .LBB281_51
; %bb.50:
	v_lshlrev_b32_e32 v26, 1, v26
	v_mov_b32_e32 v27, 0
	v_lshl_add_u64 v[26:27], s[8:9], 0, v[26:27]
	flat_load_ushort v25, v[26:27]
.LBB281_51:
	s_or_b64 exec, exec, s[0:1]
	v_or_b32_e32 v27, 0x2c00, v0
	v_cmp_gt_u32_e32 vcc, s33, v27
                                        ; implicit-def: $vgpr26
	s_and_saveexec_b64 s[0:1], vcc
	s_cbranch_execz .LBB281_53
; %bb.52:
	v_lshlrev_b32_e32 v26, 1, v27
	v_mov_b32_e32 v27, 0
	v_lshl_add_u64 v[26:27], s[8:9], 0, v[26:27]
	flat_load_ushort v26, v[26:27]
.LBB281_53:
	s_or_b64 exec, exec, s[0:1]
	v_or_b32_e32 v28, 0x2e00, v0
	v_cmp_gt_u32_e32 vcc, s33, v28
                                        ; implicit-def: $vgpr27
	s_and_saveexec_b64 s[0:1], vcc
	s_cbranch_execz .LBB281_55
; %bb.54:
	v_lshlrev_b32_e32 v28, 1, v28
	v_mov_b32_e32 v29, 0
	v_lshl_add_u64 v[28:29], s[8:9], 0, v[28:29]
	flat_load_ushort v27, v[28:29]
.LBB281_55:
	s_or_b64 exec, exec, s[0:1]
	v_or_b32_e32 v29, 0x3000, v0
	v_cmp_gt_u32_e32 vcc, s33, v29
                                        ; implicit-def: $vgpr28
	s_and_saveexec_b64 s[0:1], vcc
	s_cbranch_execz .LBB281_57
; %bb.56:
	v_lshlrev_b32_e32 v28, 1, v29
	v_mov_b32_e32 v29, 0
	v_lshl_add_u64 v[28:29], s[8:9], 0, v[28:29]
	flat_load_ushort v28, v[28:29]
.LBB281_57:
	s_or_b64 exec, exec, s[0:1]
	v_or_b32_e32 v30, 0x3200, v0
	v_cmp_gt_u32_e32 vcc, s33, v30
                                        ; implicit-def: $vgpr29
	s_and_saveexec_b64 s[0:1], vcc
	s_cbranch_execz .LBB281_59
; %bb.58:
	v_lshlrev_b32_e32 v30, 1, v30
	v_mov_b32_e32 v31, 0
	v_lshl_add_u64 v[30:31], s[8:9], 0, v[30:31]
	flat_load_ushort v29, v[30:31]
.LBB281_59:
	s_or_b64 exec, exec, s[0:1]
	v_or_b32_e32 v31, 0x3400, v0
	v_cmp_gt_u32_e32 vcc, s33, v31
                                        ; implicit-def: $vgpr30
	s_and_saveexec_b64 s[0:1], vcc
	s_cbranch_execz .LBB281_61
; %bb.60:
	v_lshlrev_b32_e32 v30, 1, v31
	v_mov_b32_e32 v31, 0
	v_lshl_add_u64 v[30:31], s[8:9], 0, v[30:31]
	flat_load_ushort v30, v[30:31]
.LBB281_61:
	s_or_b64 exec, exec, s[0:1]
	v_or_b32_e32 v32, 0x3600, v0
	v_cmp_gt_u32_e32 vcc, s33, v32
                                        ; implicit-def: $vgpr31
	s_and_saveexec_b64 s[0:1], vcc
	s_cbranch_execz .LBB281_63
; %bb.62:
	v_lshlrev_b32_e32 v32, 1, v32
	v_mov_b32_e32 v33, 0
	v_lshl_add_u64 v[32:33], s[8:9], 0, v[32:33]
	flat_load_ushort v31, v[32:33]
.LBB281_63:
	s_or_b64 exec, exec, s[0:1]
	v_or_b32_e32 v33, 0x3800, v0
	v_cmp_gt_u32_e32 vcc, s33, v33
                                        ; implicit-def: $vgpr32
	s_and_saveexec_b64 s[0:1], vcc
	s_cbranch_execz .LBB281_65
; %bb.64:
	v_lshlrev_b32_e32 v32, 1, v33
	v_mov_b32_e32 v33, 0
	v_lshl_add_u64 v[32:33], s[8:9], 0, v[32:33]
	flat_load_ushort v32, v[32:33]
.LBB281_65:
	s_or_b64 exec, exec, s[0:1]
	v_or_b32_e32 v34, 0x3a00, v0
	v_cmp_gt_u32_e32 vcc, s33, v34
                                        ; implicit-def: $vgpr33
	s_and_saveexec_b64 s[0:1], vcc
	s_cbranch_execz .LBB281_67
; %bb.66:
	v_lshlrev_b32_e32 v34, 1, v34
	v_mov_b32_e32 v35, 0
	v_lshl_add_u64 v[34:35], s[8:9], 0, v[34:35]
	flat_load_ushort v33, v[34:35]
.LBB281_67:
	s_or_b64 exec, exec, s[0:1]
	s_waitcnt vmcnt(0) lgkmcnt(0)
	ds_write_b16 v12, v1
	ds_write_b16 v12, v2 offset:1024
	ds_write_b16 v12, v3 offset:2048
	;; [unrolled: 1-line block ×29, first 2 shown]
	s_waitcnt lgkmcnt(0)
	s_barrier
.LBB281_68:
	v_mul_u32_u24_e32 v9, 30, v0
	v_lshlrev_b32_e32 v2, 1, v9
	ds_read2_b32 v[28:29], v2 offset1:1
	ds_read2_b32 v[26:27], v2 offset0:2 offset1:3
	ds_read2_b32 v[24:25], v2 offset0:4 offset1:5
	;; [unrolled: 1-line block ×3, first 2 shown]
	ds_read_b32 v1, v2 offset:56
	ds_read2_b32 v[16:17], v2 offset0:12 offset1:13
	ds_read2_b32 v[18:19], v2 offset0:10 offset1:11
	;; [unrolled: 1-line block ×3, first 2 shown]
	s_add_u32 s0, s2, s4
	s_addc_u32 s1, s3, s5
	s_add_u32 s0, s0, s6
	s_addc_u32 s1, s1, s7
	s_mov_b64 s[2:3], -1
	s_and_b64 vcc, exec, s[34:35]
	s_waitcnt lgkmcnt(0)
	s_barrier
	s_cbranch_vccz .LBB281_70
; %bb.69:
	v_mov_b32_e32 v13, 0
	v_lshl_add_u64 v[2:3], s[0:1], 0, v[12:13]
	s_movk_i32 s2, 0x1000
	v_add_co_u32_e32 v4, vcc, s2, v2
	s_movk_i32 s2, 0x2000
	s_nop 0
	v_addc_co_u32_e32 v5, vcc, 0, v3, vcc
	v_add_co_u32_e32 v6, vcc, s2, v2
	s_movk_i32 s2, 0x3000
	s_nop 0
	v_addc_co_u32_e32 v7, vcc, 0, v3, vcc
	global_load_ubyte v8, v12, s[0:1]
	global_load_ubyte v13, v12, s[0:1] offset:1024
	global_load_ubyte v30, v12, s[0:1] offset:2048
	;; [unrolled: 1-line block ×3, first 2 shown]
	global_load_ubyte v32, v[6:7], off offset:-4096
	global_load_ubyte v33, v[4:5], off offset:1024
	global_load_ubyte v34, v[4:5], off offset:2048
	;; [unrolled: 1-line block ×3, first 2 shown]
	global_load_ubyte v36, v[6:7], off
	global_load_ubyte v37, v[6:7], off offset:1024
	global_load_ubyte v38, v[6:7], off offset:2048
	v_add_co_u32_e32 v4, vcc, s2, v2
	s_movk_i32 s2, 0x4000
	s_nop 0
	v_addc_co_u32_e32 v5, vcc, 0, v3, vcc
	v_add_co_u32_e32 v10, vcc, s2, v2
	s_movk_i32 s3, 0x6000
	s_nop 0
	v_addc_co_u32_e32 v11, vcc, 0, v3, vcc
	global_load_ubyte v39, v[6:7], off offset:3072
	global_load_ubyte v40, v[10:11], off offset:-4096
	global_load_ubyte v41, v[4:5], off offset:1024
	global_load_ubyte v42, v[4:5], off offset:2048
	;; [unrolled: 1-line block ×3, first 2 shown]
	global_load_ubyte v44, v[10:11], off
	global_load_ubyte v45, v[10:11], off offset:1024
	global_load_ubyte v46, v[10:11], off offset:2048
	v_add_co_u32_e32 v4, vcc, s3, v2
	s_movk_i32 s2, 0x5000
	s_nop 0
	v_addc_co_u32_e32 v5, vcc, 0, v3, vcc
	v_add_co_u32_e32 v6, vcc, s2, v2
	s_movk_i32 s2, 0x7000
	s_nop 0
	v_addc_co_u32_e32 v7, vcc, 0, v3, vcc
	v_add_co_u32_e32 v2, vcc, s2, v2
	global_load_ubyte v47, v[10:11], off offset:3072
	global_load_ubyte v48, v[4:5], off offset:-4096
	v_addc_co_u32_e32 v3, vcc, 0, v3, vcc
	global_load_ubyte v10, v[6:7], off offset:1024
	global_load_ubyte v11, v[6:7], off offset:2048
	;; [unrolled: 1-line block ×3, first 2 shown]
	global_load_ubyte v50, v[4:5], off
	global_load_ubyte v51, v[4:5], off offset:1024
	global_load_ubyte v52, v[4:5], off offset:2048
	;; [unrolled: 1-line block ×3, first 2 shown]
	s_nop 0
	global_load_ubyte v4, v[2:3], off
	global_load_ubyte v5, v[2:3], off offset:1024
	s_mov_b64 s[2:3], 0
	s_waitcnt vmcnt(29)
	v_xor_b32_e32 v2, -1, v8
	s_waitcnt vmcnt(28)
	v_xor_b32_e32 v3, -1, v13
	;; [unrolled: 2-line block ×4, first 2 shown]
	v_and_b32_e32 v2, 1, v2
	s_waitcnt vmcnt(24)
	v_xor_b32_e32 v8, -1, v33
	s_waitcnt vmcnt(23)
	v_xor_b32_e32 v13, -1, v34
	;; [unrolled: 2-line block ×3, first 2 shown]
	v_xor_b32_e32 v31, -1, v32
	s_waitcnt vmcnt(21)
	v_xor_b32_e32 v32, -1, v36
	s_waitcnt vmcnt(20)
	v_xor_b32_e32 v33, -1, v37
	s_waitcnt vmcnt(19)
	v_xor_b32_e32 v34, -1, v38
	s_waitcnt vmcnt(18)
	v_xor_b32_e32 v35, -1, v39
	s_waitcnt vmcnt(17)
	v_xor_b32_e32 v36, -1, v40
	s_waitcnt vmcnt(16)
	v_xor_b32_e32 v37, -1, v41
	s_waitcnt vmcnt(15)
	v_xor_b32_e32 v38, -1, v42
	s_waitcnt vmcnt(14)
	v_xor_b32_e32 v39, -1, v43
	s_waitcnt vmcnt(13)
	v_xor_b32_e32 v40, -1, v44
	s_waitcnt vmcnt(12)
	v_xor_b32_e32 v41, -1, v45
	s_waitcnt vmcnt(11)
	v_xor_b32_e32 v42, -1, v46
	v_and_b32_e32 v3, 1, v3
	v_and_b32_e32 v6, 1, v6
	;; [unrolled: 1-line block ×5, first 2 shown]
	s_waitcnt vmcnt(8)
	v_xor_b32_e32 v10, -1, v10
	s_waitcnt vmcnt(7)
	v_xor_b32_e32 v11, -1, v11
	v_xor_b32_e32 v43, -1, v47
	;; [unrolled: 1-line block ×3, first 2 shown]
	s_waitcnt vmcnt(6)
	v_xor_b32_e32 v45, -1, v49
	s_waitcnt vmcnt(5)
	v_xor_b32_e32 v46, -1, v50
	;; [unrolled: 2-line block ×7, first 2 shown]
	v_and_b32_e32 v30, 1, v30
	v_and_b32_e32 v31, 1, v31
	;; [unrolled: 1-line block ×24, first 2 shown]
	ds_write_b8 v0, v2
	ds_write_b8 v0, v3 offset:512
	ds_write_b8 v0, v6 offset:1024
	;; [unrolled: 1-line block ×29, first 2 shown]
	s_waitcnt lgkmcnt(0)
	s_barrier
.LBB281_70:
	s_andn2_b64 vcc, exec, s[2:3]
	s_cbranch_vccnz .LBB281_132
; %bb.71:
	v_cmp_gt_u32_e32 vcc, s33, v0
	v_mov_b32_e32 v2, 0
	v_mov_b32_e32 v3, 0
	s_and_saveexec_b64 s[2:3], vcc
	s_cbranch_execz .LBB281_73
; %bb.72:
	global_load_ubyte v3, v12, s[0:1]
	s_waitcnt vmcnt(0)
	v_xor_b32_e32 v3, -1, v3
	v_and_b32_e32 v3, 1, v3
.LBB281_73:
	s_or_b64 exec, exec, s[2:3]
	v_or_b32_e32 v4, 0x200, v0
	v_cmp_gt_u32_e32 vcc, s33, v4
	s_and_saveexec_b64 s[2:3], vcc
	s_cbranch_execz .LBB281_75
; %bb.74:
	global_load_ubyte v2, v12, s[0:1] offset:1024
	s_waitcnt vmcnt(0)
	v_xor_b32_e32 v2, -1, v2
	v_and_b32_e32 v2, 1, v2
.LBB281_75:
	s_or_b64 exec, exec, s[2:3]
	v_or_b32_e32 v4, 0x400, v0
	v_cmp_gt_u32_e32 vcc, s33, v4
	v_mov_b32_e32 v4, 0
	v_mov_b32_e32 v5, 0
	s_and_saveexec_b64 s[2:3], vcc
	s_cbranch_execz .LBB281_77
; %bb.76:
	global_load_ubyte v5, v12, s[0:1] offset:2048
	s_waitcnt vmcnt(0)
	v_xor_b32_e32 v5, -1, v5
	v_and_b32_e32 v5, 1, v5
.LBB281_77:
	s_or_b64 exec, exec, s[2:3]
	v_or_b32_e32 v6, 0x600, v0
	v_cmp_gt_u32_e32 vcc, s33, v6
	s_and_saveexec_b64 s[2:3], vcc
	s_cbranch_execz .LBB281_79
; %bb.78:
	global_load_ubyte v4, v12, s[0:1] offset:3072
	s_waitcnt vmcnt(0)
	v_xor_b32_e32 v4, -1, v4
	v_and_b32_e32 v4, 1, v4
.LBB281_79:
	s_or_b64 exec, exec, s[2:3]
	v_or_b32_e32 v8, 0x800, v0
	v_cmp_gt_u32_e32 vcc, s33, v8
	v_mov_b32_e32 v6, 0
	v_mov_b32_e32 v7, 0
	s_and_saveexec_b64 s[2:3], vcc
	s_cbranch_execz .LBB281_81
; %bb.80:
	v_lshlrev_b32_e32 v7, 1, v8
	global_load_ubyte v7, v7, s[0:1]
	s_waitcnt vmcnt(0)
	v_xor_b32_e32 v7, -1, v7
	v_and_b32_e32 v7, 1, v7
.LBB281_81:
	s_or_b64 exec, exec, s[2:3]
	v_or_b32_e32 v8, 0xa00, v0
	v_cmp_gt_u32_e32 vcc, s33, v8
	s_and_saveexec_b64 s[2:3], vcc
	s_cbranch_execz .LBB281_83
; %bb.82:
	v_lshlrev_b32_e32 v6, 1, v8
	global_load_ubyte v6, v6, s[0:1]
	s_waitcnt vmcnt(0)
	v_xor_b32_e32 v6, -1, v6
	v_and_b32_e32 v6, 1, v6
.LBB281_83:
	s_or_b64 exec, exec, s[2:3]
	v_or_b32_e32 v11, 0xc00, v0
	v_cmp_gt_u32_e32 vcc, s33, v11
	v_mov_b32_e32 v8, 0
	v_mov_b32_e32 v10, 0
	s_and_saveexec_b64 s[2:3], vcc
	s_cbranch_execz .LBB281_85
; %bb.84:
	v_lshlrev_b32_e32 v10, 1, v11
	global_load_ubyte v10, v10, s[0:1]
	s_waitcnt vmcnt(0)
	v_xor_b32_e32 v10, -1, v10
	v_and_b32_e32 v10, 1, v10
.LBB281_85:
	s_or_b64 exec, exec, s[2:3]
	v_or_b32_e32 v11, 0xe00, v0
	v_cmp_gt_u32_e32 vcc, s33, v11
	s_and_saveexec_b64 s[2:3], vcc
	s_cbranch_execz .LBB281_87
; %bb.86:
	v_lshlrev_b32_e32 v8, 1, v11
	global_load_ubyte v8, v8, s[0:1]
	s_waitcnt vmcnt(0)
	v_xor_b32_e32 v8, -1, v8
	v_and_b32_e32 v8, 1, v8
.LBB281_87:
	;; [unrolled: 26-line block ×13, first 2 shown]
	s_or_b64 exec, exec, s[2:3]
	ds_write_b8 v0, v3
	ds_write_b8 v0, v2 offset:512
	ds_write_b8 v0, v5 offset:1024
	;; [unrolled: 1-line block ×29, first 2 shown]
	s_waitcnt lgkmcnt(0)
	s_barrier
.LBB281_132:
	ds_read_b128 v[2:5], v9
	ds_read_b96 v[6:8], v9 offset:16
	ds_read_u16 v38, v9 offset:28
	s_cmp_lg_u32 s42, 0
	v_lshrrev_b32_e32 v67, 6, v0
	s_waitcnt lgkmcnt(0)
	v_lshrrev_b32_e32 v46, 24, v2
	v_bfe_u32 v65, v2, 16, 8
	v_add_u32_sdwa v10, v2, v2 dst_sel:DWORD dst_unused:UNUSED_PAD src0_sel:BYTE_1 src1_sel:BYTE_0
	v_and_b32_e32 v62, 0xff, v3
	v_bfe_u32 v63, v3, 8, 8
	v_add3_u32 v10, v10, v65, v46
	v_lshrrev_b32_e32 v45, 24, v3
	v_bfe_u32 v64, v3, 16, 8
	v_add3_u32 v10, v10, v62, v63
	v_and_b32_e32 v59, 0xff, v4
	v_bfe_u32 v60, v4, 8, 8
	v_add3_u32 v10, v10, v64, v45
	v_lshrrev_b32_e32 v44, 24, v4
	v_bfe_u32 v61, v4, 16, 8
	v_add3_u32 v10, v10, v59, v60
	;; [unrolled: 6-line block ×6, first 2 shown]
	v_lshrrev_b16_e32 v13, 8, v38
	v_and_b32_e32 v40, 0xff, v38
	v_add3_u32 v10, v10, v49, v39
	v_add3_u32 v68, v10, v40, v13
	v_mbcnt_lo_u32_b32 v10, -1, 0
	v_mbcnt_hi_u32_b32 v66, -1, v10
	v_and_b32_e32 v10, 15, v66
	v_cmp_eq_u32_e64 s[14:15], 0, v10
	v_cmp_lt_u32_e64 s[12:13], 1, v10
	v_cmp_lt_u32_e64 s[10:11], 3, v10
	;; [unrolled: 1-line block ×3, first 2 shown]
	v_and_b32_e32 v10, 16, v66
	v_cmp_eq_u32_e64 s[6:7], 0, v10
	v_or_b32_e32 v10, 63, v0
	v_cmp_lt_u32_e64 s[2:3], 31, v66
	v_cmp_eq_u32_e64 s[4:5], v10, v0
	s_barrier
	s_cbranch_scc0 .LBB281_159
; %bb.133:
	v_mov_b32_dpp v10, v68 row_shr:1 row_mask:0xf bank_mask:0xf
	v_cndmask_b32_e64 v10, v10, 0, s[14:15]
	v_add_u32_e32 v10, v10, v68
	s_nop 1
	v_mov_b32_dpp v11, v10 row_shr:2 row_mask:0xf bank_mask:0xf
	v_cndmask_b32_e64 v11, 0, v11, s[12:13]
	v_add_u32_e32 v10, v10, v11
	s_nop 1
	;; [unrolled: 4-line block ×4, first 2 shown]
	v_mov_b32_dpp v11, v10 row_bcast:15 row_mask:0xf bank_mask:0xf
	v_cndmask_b32_e64 v11, v11, 0, s[6:7]
	v_add_u32_e32 v10, v10, v11
	s_nop 1
	v_mov_b32_dpp v11, v10 row_bcast:31 row_mask:0xf bank_mask:0xf
	v_cndmask_b32_e64 v11, 0, v11, s[2:3]
	v_add_u32_e32 v10, v10, v11
	s_and_saveexec_b64 s[0:1], s[4:5]
	s_cbranch_execz .LBB281_135
; %bb.134:
	v_lshlrev_b32_e32 v11, 2, v67
	ds_write_b32 v11, v10
.LBB281_135:
	s_or_b64 exec, exec, s[0:1]
	v_cmp_gt_u32_e32 vcc, 8, v0
	s_waitcnt lgkmcnt(0)
	s_barrier
	s_and_saveexec_b64 s[0:1], vcc
	s_cbranch_execz .LBB281_137
; %bb.136:
	v_lshlrev_b32_e32 v11, 2, v0
	ds_read_b32 v30, v11
	v_and_b32_e32 v31, 7, v66
	v_cmp_ne_u32_e32 vcc, 0, v31
	s_waitcnt lgkmcnt(0)
	v_mov_b32_dpp v32, v30 row_shr:1 row_mask:0xf bank_mask:0xf
	v_cndmask_b32_e32 v32, 0, v32, vcc
	v_add_u32_e32 v30, v32, v30
	v_cmp_lt_u32_e32 vcc, 1, v31
	s_nop 0
	v_mov_b32_dpp v32, v30 row_shr:2 row_mask:0xf bank_mask:0xf
	v_cndmask_b32_e32 v32, 0, v32, vcc
	v_add_u32_e32 v30, v30, v32
	v_cmp_lt_u32_e32 vcc, 3, v31
	s_nop 0
	v_mov_b32_dpp v32, v30 row_shr:4 row_mask:0xf bank_mask:0xf
	v_cndmask_b32_e32 v31, 0, v32, vcc
	v_add_u32_e32 v30, v30, v31
	ds_write_b32 v11, v30
.LBB281_137:
	s_or_b64 exec, exec, s[0:1]
	v_cmp_gt_u32_e32 vcc, 64, v0
	v_cmp_lt_u32_e64 s[0:1], 63, v0
	s_waitcnt lgkmcnt(0)
	s_barrier
	s_waitcnt lgkmcnt(0)
                                        ; implicit-def: $vgpr69
	s_and_saveexec_b64 s[16:17], s[0:1]
	s_cbranch_execz .LBB281_139
; %bb.138:
	v_lshl_add_u32 v11, v67, 2, -4
	ds_read_b32 v69, v11
	s_waitcnt lgkmcnt(0)
	v_add_u32_e32 v10, v69, v10
.LBB281_139:
	s_or_b64 exec, exec, s[16:17]
	v_add_u32_e32 v11, -1, v66
	v_and_b32_e32 v30, 64, v66
	v_cmp_lt_i32_e64 s[0:1], v11, v30
	v_cmp_eq_u32_e64 s[16:17], 0, v66
	s_nop 0
	v_cndmask_b32_e64 v11, v11, v66, s[0:1]
	v_lshlrev_b32_e32 v11, 2, v11
	ds_bpermute_b32 v70, v11, v10
	s_and_saveexec_b64 s[0:1], vcc
	s_cbranch_execz .LBB281_158
; %bb.140:
	v_mov_b32_e32 v35, 0
	ds_read_b32 v10, v35 offset:28
	s_and_saveexec_b64 s[38:39], s[16:17]
	s_cbranch_execz .LBB281_142
; %bb.141:
	s_add_i32 s40, s42, 64
	s_mov_b32 s41, 0
	s_lshl_b64 s[40:41], s[40:41], 3
	s_add_u32 s40, s36, s40
	v_mov_b32_e32 v11, 1
	s_addc_u32 s41, s37, s41
	s_waitcnt lgkmcnt(0)
	global_store_dwordx2 v35, v[10:11], s[40:41] sc1
.LBB281_142:
	s_or_b64 exec, exec, s[38:39]
	v_xad_u32 v30, v66, -1, s42
	v_add_u32_e32 v34, 64, v30
	v_lshl_add_u64 v[36:37], v[34:35], 3, s[36:37]
	global_load_dwordx2 v[32:33], v[36:37], off sc1
	s_waitcnt vmcnt(0)
	v_cmp_eq_u16_sdwa s[40:41], v33, v35 src0_sel:BYTE_0 src1_sel:DWORD
	s_and_saveexec_b64 s[38:39], s[40:41]
	s_cbranch_execz .LBB281_146
; %bb.143:
	s_mov_b64 s[40:41], 0
	v_mov_b32_e32 v11, 0
.LBB281_144:                            ; =>This Inner Loop Header: Depth=1
	global_load_dwordx2 v[32:33], v[36:37], off sc1
	s_waitcnt vmcnt(0)
	v_cmp_ne_u16_sdwa s[44:45], v33, v11 src0_sel:BYTE_0 src1_sel:DWORD
	s_or_b64 s[40:41], s[44:45], s[40:41]
	s_andn2_b64 exec, exec, s[40:41]
	s_cbranch_execnz .LBB281_144
; %bb.145:
	s_or_b64 exec, exec, s[40:41]
.LBB281_146:
	s_or_b64 exec, exec, s[38:39]
	v_and_b32_e32 v72, 63, v66
	v_mov_b32_e32 v71, 2
	v_cmp_ne_u32_e32 vcc, 63, v72
	v_cmp_eq_u16_sdwa s[38:39], v33, v71 src0_sel:BYTE_0 src1_sel:DWORD
	v_lshlrev_b64 v[34:35], v66, -1
	v_addc_co_u32_e32 v36, vcc, 0, v66, vcc
	v_and_b32_e32 v11, s39, v35
	v_lshlrev_b32_e32 v73, 2, v36
	v_or_b32_e32 v11, 0x80000000, v11
	ds_bpermute_b32 v36, v73, v32
	v_and_b32_e32 v31, s38, v34
	v_ffbl_b32_e32 v11, v11
	v_add_u32_e32 v11, 32, v11
	v_ffbl_b32_e32 v31, v31
	v_min_u32_e32 v11, v31, v11
	v_cmp_lt_u32_e32 vcc, v72, v11
	v_add_u32_e32 v75, 2, v72
	v_add_u32_e32 v77, 4, v72
	s_waitcnt lgkmcnt(0)
	v_cndmask_b32_e32 v31, 0, v36, vcc
	v_cmp_gt_u32_e32 vcc, 62, v72
	v_add_u32_e32 v31, v31, v32
	v_add_u32_e32 v79, 8, v72
	v_cndmask_b32_e64 v32, 0, 1, vcc
	v_lshlrev_b32_e32 v32, 1, v32
	v_add_lshl_u32 v74, v32, v66, 2
	ds_bpermute_b32 v32, v74, v31
	v_cmp_le_u32_e32 vcc, v75, v11
	v_add_u32_e32 v81, 16, v72
	v_add_u32_e32 v83, 32, v72
	s_waitcnt lgkmcnt(0)
	v_cndmask_b32_e32 v32, 0, v32, vcc
	v_cmp_gt_u32_e32 vcc, 60, v72
	v_add_u32_e32 v31, v31, v32
	s_nop 0
	v_cndmask_b32_e64 v32, 0, 1, vcc
	v_lshlrev_b32_e32 v32, 2, v32
	v_add_lshl_u32 v76, v32, v66, 2
	ds_bpermute_b32 v32, v76, v31
	v_cmp_le_u32_e32 vcc, v77, v11
	s_waitcnt lgkmcnt(0)
	s_nop 0
	v_cndmask_b32_e32 v32, 0, v32, vcc
	v_cmp_gt_u32_e32 vcc, 56, v72
	v_add_u32_e32 v31, v31, v32
	s_nop 0
	v_cndmask_b32_e64 v32, 0, 1, vcc
	v_lshlrev_b32_e32 v32, 3, v32
	v_add_lshl_u32 v78, v32, v66, 2
	ds_bpermute_b32 v32, v78, v31
	v_cmp_le_u32_e32 vcc, v79, v11
	s_waitcnt lgkmcnt(0)
	s_nop 0
	;; [unrolled: 11-line block ×4, first 2 shown]
	v_cndmask_b32_e32 v11, 0, v32, vcc
	v_add_u32_e32 v32, v31, v11
	v_mov_b32_e32 v31, 0
	s_branch .LBB281_148
.LBB281_147:                            ;   in Loop: Header=BB281_148 Depth=1
	s_or_b64 exec, exec, s[38:39]
	v_cmp_eq_u16_sdwa s[38:39], v33, v71 src0_sel:BYTE_0 src1_sel:DWORD
	ds_bpermute_b32 v84, v73, v32
	v_subrev_u32_e32 v30, 64, v30
	v_and_b32_e32 v36, s39, v35
	v_or_b32_e32 v36, 0x80000000, v36
	v_and_b32_e32 v37, s38, v34
	v_ffbl_b32_e32 v36, v36
	v_add_u32_e32 v36, 32, v36
	v_ffbl_b32_e32 v37, v37
	v_min_u32_e32 v36, v37, v36
	v_cmp_lt_u32_e32 vcc, v72, v36
	s_waitcnt lgkmcnt(0)
	s_nop 0
	v_cndmask_b32_e32 v37, 0, v84, vcc
	v_add_u32_e32 v32, v37, v32
	ds_bpermute_b32 v37, v74, v32
	v_cmp_le_u32_e32 vcc, v75, v36
	s_waitcnt lgkmcnt(0)
	s_nop 0
	v_cndmask_b32_e32 v37, 0, v37, vcc
	v_add_u32_e32 v32, v32, v37
	ds_bpermute_b32 v37, v76, v32
	v_cmp_le_u32_e32 vcc, v77, v36
	;; [unrolled: 6-line block ×5, first 2 shown]
	s_waitcnt lgkmcnt(0)
	s_nop 0
	v_cndmask_b32_e32 v36, 0, v37, vcc
	v_add3_u32 v32, v36, v11, v32
.LBB281_148:                            ; =>This Loop Header: Depth=1
                                        ;     Child Loop BB281_151 Depth 2
	v_cmp_ne_u16_sdwa s[38:39], v33, v71 src0_sel:BYTE_0 src1_sel:DWORD
	s_nop 1
	v_cndmask_b32_e64 v11, 0, 1, s[38:39]
	;;#ASMSTART
	;;#ASMEND
	s_nop 0
	v_cmp_ne_u32_e32 vcc, 0, v11
	s_cmp_lg_u64 vcc, exec
	v_mov_b32_e32 v11, v32
	s_cbranch_scc1 .LBB281_153
; %bb.149:                              ;   in Loop: Header=BB281_148 Depth=1
	v_lshl_add_u64 v[36:37], v[30:31], 3, s[36:37]
	global_load_dwordx2 v[32:33], v[36:37], off sc1
	s_waitcnt vmcnt(0)
	v_cmp_eq_u16_sdwa s[40:41], v33, v31 src0_sel:BYTE_0 src1_sel:DWORD
	s_and_saveexec_b64 s[38:39], s[40:41]
	s_cbranch_execz .LBB281_147
; %bb.150:                              ;   in Loop: Header=BB281_148 Depth=1
	s_mov_b64 s[40:41], 0
.LBB281_151:                            ;   Parent Loop BB281_148 Depth=1
                                        ; =>  This Inner Loop Header: Depth=2
	global_load_dwordx2 v[32:33], v[36:37], off sc1
	s_waitcnt vmcnt(0)
	v_cmp_ne_u16_sdwa s[44:45], v33, v31 src0_sel:BYTE_0 src1_sel:DWORD
	s_or_b64 s[40:41], s[44:45], s[40:41]
	s_andn2_b64 exec, exec, s[40:41]
	s_cbranch_execnz .LBB281_151
; %bb.152:                              ;   in Loop: Header=BB281_148 Depth=1
	s_or_b64 exec, exec, s[40:41]
	s_branch .LBB281_147
.LBB281_153:                            ;   in Loop: Header=BB281_148 Depth=1
                                        ; implicit-def: $vgpr32
                                        ; implicit-def: $vgpr33
	s_cbranch_execz .LBB281_148
; %bb.154:
	s_and_saveexec_b64 s[38:39], s[16:17]
	s_cbranch_execz .LBB281_156
; %bb.155:
	s_add_i32 s40, s42, 64
	s_mov_b32 s41, 0
	s_lshl_b64 s[40:41], s[40:41], 3
	s_add_u32 s40, s36, s40
	v_add_u32_e32 v30, v11, v10
	v_mov_b32_e32 v31, 2
	s_addc_u32 s41, s37, s41
	v_mov_b32_e32 v32, 0
	global_store_dwordx2 v32, v[30:31], s[40:41] sc1
	ds_write_b64 v32, v[10:11] offset:30720
.LBB281_156:
	s_or_b64 exec, exec, s[38:39]
	s_and_b64 exec, exec, s[18:19]
	s_cbranch_execz .LBB281_158
; %bb.157:
	v_mov_b32_e32 v10, 0
	ds_write_b32 v10, v11 offset:28
.LBB281_158:
	s_or_b64 exec, exec, s[0:1]
	v_mov_b32_e32 v10, 0
	s_waitcnt lgkmcnt(0)
	s_barrier
	ds_read_b32 v30, v10 offset:28
	s_waitcnt lgkmcnt(0)
	s_barrier
	ds_read_b64 v[10:11], v10 offset:30720
	v_cndmask_b32_e64 v31, v70, v69, s[16:17]
	v_cndmask_b32_e64 v31, v31, 0, s[18:19]
	v_add_u32_e32 v35, v30, v31
	s_waitcnt lgkmcnt(0)
	v_mov_b32_e32 v70, v11
	s_branch .LBB281_169
.LBB281_159:
                                        ; implicit-def: $vgpr70
                                        ; implicit-def: $vgpr10
                                        ; implicit-def: $vgpr35
	s_cbranch_execz .LBB281_169
; %bb.160:
	s_nop 0
	v_mov_b32_dpp v10, v68 row_shr:1 row_mask:0xf bank_mask:0xf
	v_cndmask_b32_e64 v10, v10, 0, s[14:15]
	v_add_u32_e32 v10, v10, v68
	s_nop 1
	v_mov_b32_dpp v11, v10 row_shr:2 row_mask:0xf bank_mask:0xf
	v_cndmask_b32_e64 v11, 0, v11, s[12:13]
	v_add_u32_e32 v10, v10, v11
	;; [unrolled: 4-line block ×4, first 2 shown]
	s_nop 1
	v_mov_b32_dpp v11, v10 row_bcast:15 row_mask:0xf bank_mask:0xf
	v_cndmask_b32_e64 v11, v11, 0, s[6:7]
	v_add_u32_e32 v10, v10, v11
	s_nop 1
	v_mov_b32_dpp v11, v10 row_bcast:31 row_mask:0xf bank_mask:0xf
	v_cndmask_b32_e64 v11, 0, v11, s[2:3]
	v_add_u32_e32 v10, v10, v11
	s_and_saveexec_b64 s[0:1], s[4:5]
	s_cbranch_execz .LBB281_162
; %bb.161:
	v_lshlrev_b32_e32 v11, 2, v67
	ds_write_b32 v11, v10
.LBB281_162:
	s_or_b64 exec, exec, s[0:1]
	v_cmp_gt_u32_e32 vcc, 8, v0
	s_waitcnt lgkmcnt(0)
	s_barrier
	s_and_saveexec_b64 s[0:1], vcc
	s_cbranch_execz .LBB281_164
; %bb.163:
	v_lshlrev_b32_e32 v11, 2, v0
	ds_read_b32 v30, v11
	v_and_b32_e32 v31, 7, v66
	v_cmp_ne_u32_e32 vcc, 0, v31
	s_waitcnt lgkmcnt(0)
	v_mov_b32_dpp v32, v30 row_shr:1 row_mask:0xf bank_mask:0xf
	v_cndmask_b32_e32 v32, 0, v32, vcc
	v_add_u32_e32 v30, v32, v30
	v_cmp_lt_u32_e32 vcc, 1, v31
	s_nop 0
	v_mov_b32_dpp v32, v30 row_shr:2 row_mask:0xf bank_mask:0xf
	v_cndmask_b32_e32 v32, 0, v32, vcc
	v_add_u32_e32 v30, v30, v32
	v_cmp_lt_u32_e32 vcc, 3, v31
	s_nop 0
	v_mov_b32_dpp v32, v30 row_shr:4 row_mask:0xf bank_mask:0xf
	v_cndmask_b32_e32 v31, 0, v32, vcc
	v_add_u32_e32 v30, v30, v31
	ds_write_b32 v11, v30
.LBB281_164:
	s_or_b64 exec, exec, s[0:1]
	v_cmp_lt_u32_e32 vcc, 63, v0
	v_mov_b32_e32 v11, 0
	v_mov_b32_e32 v30, 0
	s_waitcnt lgkmcnt(0)
	s_barrier
	s_and_saveexec_b64 s[0:1], vcc
	s_cbranch_execz .LBB281_166
; %bb.165:
	v_lshl_add_u32 v30, v67, 2, -4
	ds_read_b32 v30, v30
.LBB281_166:
	s_or_b64 exec, exec, s[0:1]
	v_add_u32_e32 v31, -1, v66
	v_and_b32_e32 v32, 64, v66
	v_cmp_lt_i32_e32 vcc, v31, v32
	s_waitcnt lgkmcnt(0)
	v_add_u32_e32 v10, v30, v10
	v_cndmask_b32_e32 v31, v31, v66, vcc
	v_lshlrev_b32_e32 v31, 2, v31
	ds_bpermute_b32 v31, v31, v10
	ds_read_b32 v10, v11 offset:28
	s_and_saveexec_b64 s[0:1], s[18:19]
	s_cbranch_execz .LBB281_168
; %bb.167:
	v_mov_b32_e32 v32, 0
	v_mov_b32_e32 v11, 2
	s_waitcnt lgkmcnt(0)
	global_store_dwordx2 v32, v[10:11], s[36:37] offset:512 sc1
.LBB281_168:
	s_or_b64 exec, exec, s[0:1]
	v_cmp_eq_u32_e32 vcc, 0, v66
	v_mov_b32_e32 v70, 0
	s_waitcnt lgkmcnt(0)
	v_cndmask_b32_e32 v11, v31, v30, vcc
	v_cndmask_b32_e64 v35, v11, 0, s[18:19]
	s_barrier
.LBB281_169:
	v_add_u32_sdwa v37, v35, v2 dst_sel:DWORD dst_unused:UNUSED_PAD src0_sel:DWORD src1_sel:BYTE_0
	v_add_u32_e32 v9, v10, v9
	v_sub_u32_e32 v35, v35, v70
	v_and_b32_e32 v76, 1, v2
	v_sub_u32_e32 v75, v9, v35
	v_cmp_eq_u32_e32 vcc, 1, v76
	v_lshrrev_b32_e32 v36, 8, v2
	v_add_u32_sdwa v66, v37, v2 dst_sel:DWORD dst_unused:UNUSED_PAD src0_sel:DWORD src1_sel:BYTE_1
	v_cndmask_b32_e32 v35, v75, v35, vcc
	v_lshlrev_b32_e32 v35, 1, v35
	ds_write_b16 v35, v28
	v_sub_u32_e32 v35, v37, v70
	v_sub_u32_e32 v37, v9, v35
	v_and_b32_e32 v36, 1, v36
	v_add_u32_e32 v37, 1, v37
	v_cmp_eq_u32_e32 vcc, 1, v36
	v_mov_b32_e32 v36, 1
	v_and_b32_sdwa v2, v36, v2 dst_sel:DWORD dst_unused:UNUSED_PAD src0_sel:DWORD src1_sel:WORD_1
	v_cndmask_b32_e32 v35, v37, v35, vcc
	v_lshlrev_b32_e32 v35, 1, v35
	ds_write_b16_d16_hi v35, v28
	v_sub_u32_e32 v28, v66, v70
	v_sub_u32_e32 v35, v9, v28
	v_add_u32_e32 v35, 2, v35
	v_cmp_eq_u32_e32 vcc, 1, v2
	v_add_u32_e32 v65, v66, v65
	v_add_u32_e32 v67, v65, v46
	v_cndmask_b32_e32 v2, v35, v28, vcc
	v_lshlrev_b32_e32 v2, 1, v2
	ds_write_b16 v2, v29
	v_sub_u32_e32 v2, v65, v70
	v_sub_u32_e32 v28, v9, v2
	v_and_b32_e32 v35, 1, v46
	v_add_u32_e32 v28, 3, v28
	v_cmp_eq_u32_e32 vcc, 1, v35
	v_add_u32_e32 v62, v67, v62
	v_lshrrev_b32_e32 v34, 8, v3
	v_cndmask_b32_e32 v2, v28, v2, vcc
	v_lshlrev_b32_e32 v2, 1, v2
	ds_write_b16_d16_hi v2, v29
	v_sub_u32_e32 v2, v67, v70
	v_sub_u32_e32 v28, v9, v2
	v_and_b32_e32 v29, 1, v3
	v_add_u32_e32 v28, 4, v28
	v_cmp_eq_u32_e32 vcc, 1, v29
	v_and_b32_e32 v29, 1, v34
	v_add_u32_e32 v63, v62, v63
	v_cndmask_b32_e32 v2, v28, v2, vcc
	v_lshlrev_b32_e32 v2, 1, v2
	ds_write_b16 v2, v26
	v_sub_u32_e32 v2, v62, v70
	v_sub_u32_e32 v28, v9, v2
	v_add_u32_e32 v28, 5, v28
	v_cmp_eq_u32_e32 vcc, 1, v29
	v_and_b32_sdwa v3, v36, v3 dst_sel:DWORD dst_unused:UNUSED_PAD src0_sel:DWORD src1_sel:WORD_1
	v_add_u32_e32 v64, v63, v64
	v_cndmask_b32_e32 v2, v28, v2, vcc
	v_lshlrev_b32_e32 v2, 1, v2
	ds_write_b16_d16_hi v2, v26
	v_sub_u32_e32 v2, v63, v70
	v_sub_u32_e32 v26, v9, v2
	v_add_u32_e32 v26, 6, v26
	v_cmp_eq_u32_e32 vcc, 1, v3
	v_add_u32_e32 v68, v64, v45
	v_add_u32_e32 v59, v68, v59
	v_cndmask_b32_e32 v2, v26, v2, vcc
	v_lshlrev_b32_e32 v2, 1, v2
	ds_write_b16 v2, v27
	v_sub_u32_e32 v2, v64, v70
	v_sub_u32_e32 v3, v9, v2
	v_and_b32_e32 v26, 1, v45
	v_add_u32_e32 v3, 7, v3
	v_cmp_eq_u32_e32 vcc, 1, v26
	v_and_b32_e32 v26, 1, v4
	v_lshrrev_b32_e32 v33, 8, v4
	v_cndmask_b32_e32 v2, v3, v2, vcc
	v_lshlrev_b32_e32 v2, 1, v2
	ds_write_b16_d16_hi v2, v27
	v_sub_u32_e32 v2, v68, v70
	v_sub_u32_e32 v3, v9, v2
	v_add_u32_e32 v3, 8, v3
	v_cmp_eq_u32_e32 vcc, 1, v26
	v_and_b32_e32 v26, 1, v33
	v_add_u32_e32 v60, v59, v60
	v_cndmask_b32_e32 v2, v3, v2, vcc
	v_lshlrev_b32_e32 v2, 1, v2
	ds_write_b16 v2, v24
	v_sub_u32_e32 v2, v59, v70
	v_sub_u32_e32 v3, v9, v2
	v_add_u32_e32 v3, 9, v3
	v_cmp_eq_u32_e32 vcc, 1, v26
	v_and_b32_sdwa v4, v36, v4 dst_sel:DWORD dst_unused:UNUSED_PAD src0_sel:DWORD src1_sel:WORD_1
	v_add_u32_e32 v61, v60, v61
	v_cndmask_b32_e32 v2, v3, v2, vcc
	v_lshlrev_b32_e32 v2, 1, v2
	ds_write_b16_d16_hi v2, v24
	v_sub_u32_e32 v2, v60, v70
	v_sub_u32_e32 v3, v9, v2
	v_add_u32_e32 v3, 10, v3
	v_cmp_eq_u32_e32 vcc, 1, v4
	v_and_b32_e32 v4, 1, v44
	v_add_u32_e32 v69, v61, v44
	v_cndmask_b32_e32 v2, v3, v2, vcc
	v_lshlrev_b32_e32 v2, 1, v2
	ds_write_b16 v2, v25
	v_sub_u32_e32 v2, v61, v70
	v_sub_u32_e32 v3, v9, v2
	v_add_u32_e32 v3, 11, v3
	v_cmp_eq_u32_e32 vcc, 1, v4
	v_and_b32_e32 v4, 1, v5
	v_add_u32_e32 v56, v69, v56
	v_cndmask_b32_e32 v2, v3, v2, vcc
	v_lshlrev_b32_e32 v2, 1, v2
	ds_write_b16_d16_hi v2, v25
	v_sub_u32_e32 v2, v69, v70
	v_sub_u32_e32 v3, v9, v2
	v_add_u32_e32 v3, 12, v3
	v_cmp_eq_u32_e32 vcc, 1, v4
	v_lshrrev_b32_e32 v32, 8, v5
	v_and_b32_e32 v4, 1, v32
	v_cndmask_b32_e32 v2, v3, v2, vcc
	v_lshlrev_b32_e32 v2, 1, v2
	ds_write_b16 v2, v22
	v_sub_u32_e32 v2, v56, v70
	v_sub_u32_e32 v3, v9, v2
	v_add_u32_e32 v3, 13, v3
	v_cmp_eq_u32_e32 vcc, 1, v4
	v_add_u32_e32 v57, v56, v57
	v_and_b32_sdwa v4, v36, v5 dst_sel:DWORD dst_unused:UNUSED_PAD src0_sel:DWORD src1_sel:WORD_1
	v_cndmask_b32_e32 v2, v3, v2, vcc
	v_lshlrev_b32_e32 v2, 1, v2
	ds_write_b16_d16_hi v2, v22
	v_sub_u32_e32 v2, v57, v70
	v_sub_u32_e32 v3, v9, v2
	v_add_u32_e32 v3, 14, v3
	v_cmp_eq_u32_e32 vcc, 1, v4
	v_add_u32_e32 v58, v57, v58
	v_and_b32_e32 v4, 1, v43
	v_cndmask_b32_e32 v2, v3, v2, vcc
	v_lshlrev_b32_e32 v2, 1, v2
	ds_write_b16 v2, v23
	v_sub_u32_e32 v2, v58, v70
	v_sub_u32_e32 v3, v9, v2
	v_add_u32_e32 v3, 15, v3
	v_cmp_eq_u32_e32 vcc, 1, v4
	v_add_u32_e32 v71, v58, v43
	v_and_b32_e32 v4, 1, v6
	v_cndmask_b32_e32 v2, v3, v2, vcc
	v_lshlrev_b32_e32 v2, 1, v2
	ds_write_b16_d16_hi v2, v23
	v_sub_u32_e32 v2, v71, v70
	v_sub_u32_e32 v3, v9, v2
	v_add_u32_e32 v3, 16, v3
	v_cmp_eq_u32_e32 vcc, 1, v4
	v_add_u32_e32 v53, v71, v53
	v_lshrrev_b32_e32 v31, 8, v6
	v_cndmask_b32_e32 v2, v3, v2, vcc
	v_lshlrev_b32_e32 v2, 1, v2
	ds_write_b16 v2, v20
	v_sub_u32_e32 v2, v53, v70
	v_sub_u32_e32 v3, v9, v2
	v_and_b32_e32 v4, 1, v31
	v_add_u32_e32 v3, 17, v3
	v_cmp_eq_u32_e32 vcc, 1, v4
	v_add_u32_e32 v54, v53, v54
	v_and_b32_sdwa v4, v36, v6 dst_sel:DWORD dst_unused:UNUSED_PAD src0_sel:DWORD src1_sel:WORD_1
	v_cndmask_b32_e32 v2, v3, v2, vcc
	v_lshlrev_b32_e32 v2, 1, v2
	ds_write_b16_d16_hi v2, v20
	v_sub_u32_e32 v2, v54, v70
	v_sub_u32_e32 v3, v9, v2
	v_add_u32_e32 v3, 18, v3
	v_cmp_eq_u32_e32 vcc, 1, v4
	v_add_u32_e32 v55, v54, v55
	v_and_b32_e32 v4, 1, v42
	v_cndmask_b32_e32 v2, v3, v2, vcc
	v_lshlrev_b32_e32 v2, 1, v2
	ds_write_b16 v2, v21
	v_sub_u32_e32 v2, v55, v70
	v_sub_u32_e32 v3, v9, v2
	v_add_u32_e32 v3, 19, v3
	v_cmp_eq_u32_e32 vcc, 1, v4
	v_add_u32_e32 v72, v55, v42
	v_and_b32_e32 v4, 1, v7
	v_cndmask_b32_e32 v2, v3, v2, vcc
	v_lshlrev_b32_e32 v2, 1, v2
	ds_write_b16_d16_hi v2, v21
	v_sub_u32_e32 v2, v72, v70
	v_sub_u32_e32 v3, v9, v2
	v_add_u32_e32 v3, 20, v3
	v_cmp_eq_u32_e32 vcc, 1, v4
	v_add_u32_e32 v50, v72, v50
	v_lshrrev_b32_e32 v30, 8, v7
	v_cndmask_b32_e32 v2, v3, v2, vcc
	v_lshlrev_b32_e32 v2, 1, v2
	ds_write_b16 v2, v18
	v_sub_u32_e32 v2, v50, v70
	v_sub_u32_e32 v3, v9, v2
	v_and_b32_e32 v4, 1, v30
	v_add_u32_e32 v3, 21, v3
	v_cmp_eq_u32_e32 vcc, 1, v4
	v_add_u32_e32 v51, v50, v51
	v_and_b32_sdwa v4, v36, v7 dst_sel:DWORD dst_unused:UNUSED_PAD src0_sel:DWORD src1_sel:WORD_1
	v_cndmask_b32_e32 v2, v3, v2, vcc
	v_lshlrev_b32_e32 v2, 1, v2
	ds_write_b16_d16_hi v2, v18
	v_sub_u32_e32 v2, v51, v70
	v_sub_u32_e32 v3, v9, v2
	v_add_u32_e32 v3, 22, v3
	v_cmp_eq_u32_e32 vcc, 1, v4
	v_add_u32_e32 v52, v51, v52
	v_and_b32_e32 v4, 1, v41
	v_cndmask_b32_e32 v2, v3, v2, vcc
	v_lshlrev_b32_e32 v2, 1, v2
	ds_write_b16 v2, v19
	v_sub_u32_e32 v2, v52, v70
	v_sub_u32_e32 v3, v9, v2
	v_add_u32_e32 v3, 23, v3
	v_cmp_eq_u32_e32 vcc, 1, v4
	v_add_u32_e32 v73, v52, v41
	v_and_b32_e32 v4, 1, v8
	v_cndmask_b32_e32 v2, v3, v2, vcc
	v_lshlrev_b32_e32 v2, 1, v2
	ds_write_b16_d16_hi v2, v19
	v_sub_u32_e32 v2, v73, v70
	v_sub_u32_e32 v3, v9, v2
	v_add_u32_e32 v3, 24, v3
	v_cmp_eq_u32_e32 vcc, 1, v4
	v_add_u32_e32 v47, v73, v47
	v_lshrrev_b32_e32 v11, 8, v8
	v_cndmask_b32_e32 v2, v3, v2, vcc
	v_lshlrev_b32_e32 v2, 1, v2
	ds_write_b16 v2, v16
	v_sub_u32_e32 v2, v47, v70
	v_sub_u32_e32 v3, v9, v2
	v_and_b32_e32 v4, 1, v11
	v_add_u32_e32 v3, 25, v3
	v_cmp_eq_u32_e32 vcc, 1, v4
	v_add_u32_e32 v48, v47, v48
	v_and_b32_sdwa v4, v36, v8 dst_sel:DWORD dst_unused:UNUSED_PAD src0_sel:DWORD src1_sel:WORD_1
	v_cndmask_b32_e32 v2, v3, v2, vcc
	v_lshlrev_b32_e32 v2, 1, v2
	ds_write_b16_d16_hi v2, v16
	v_sub_u32_e32 v2, v48, v70
	v_sub_u32_e32 v3, v9, v2
	v_add_u32_e32 v3, 26, v3
	v_cmp_eq_u32_e32 vcc, 1, v4
	v_add_u32_e32 v49, v48, v49
	v_and_b32_e32 v4, 1, v39
	v_cndmask_b32_e32 v2, v3, v2, vcc
	v_lshlrev_b32_e32 v2, 1, v2
	ds_write_b16 v2, v17
	v_sub_u32_e32 v2, v49, v70
	v_sub_u32_e32 v3, v9, v2
	v_add_u32_e32 v3, 27, v3
	v_cmp_eq_u32_e32 vcc, 1, v4
	v_add_u32_e32 v74, v49, v39
	v_and_b32_e32 v4, 1, v38
	v_cndmask_b32_e32 v2, v3, v2, vcc
	v_lshlrev_b32_e32 v2, 1, v2
	ds_write_b16_d16_hi v2, v17
	v_sub_u32_e32 v2, v74, v70
	v_sub_u32_e32 v3, v9, v2
	v_add_u32_e32 v3, 28, v3
	v_cmp_eq_u32_e32 vcc, 1, v4
	v_and_b32_e32 v4, 1, v13
	s_add_u32 s0, s26, s24
	v_cndmask_b32_e32 v2, v3, v2, vcc
	v_lshlrev_b32_e32 v2, 1, v2
	ds_write_b16 v2, v1
	v_sub_u32_e32 v2, v40, v70
	v_add_u32_e32 v2, v74, v2
	v_sub_u32_e32 v3, v9, v2
	v_add_u32_e32 v3, 29, v3
	v_cmp_eq_u32_e32 vcc, 1, v4
	s_addc_u32 s1, s27, 0
	s_sub_u32 s0, s30, s0
	v_cndmask_b32_e32 v2, v3, v2, vcc
	v_lshlrev_b32_e32 v2, 1, v2
	ds_write_b16_d16_hi v2, v1
	s_waitcnt lgkmcnt(0)
	s_barrier
	ds_read_u16 v101, v12
	ds_read_u16 v100, v12 offset:1024
	ds_read_u16 v99, v12 offset:2048
	;; [unrolled: 1-line block ×29, first 2 shown]
	v_mov_b32_e32 v1, 0
	v_mov_b32_e32 v71, v1
	;; [unrolled: 1-line block ×3, first 2 shown]
	s_subb_u32 s1, s31, s1
	s_waitcnt vmcnt(0)
	v_lshl_add_u64 v[2:3], v[14:15], 0, v[70:71]
	v_lshl_add_u64 v[6:7], s[0:1], 0, v[10:11]
	v_or_b32_e32 v68, 0x200, v0
	v_mov_b32_e32 v69, v1
	v_or_b32_e32 v66, 0x400, v0
	v_mov_b32_e32 v67, v1
	;; [unrolled: 2-line block ×29, first 2 shown]
	s_andn2_b64 vcc, exec, s[34:35]
	v_lshl_add_u64 v[6:7], v[6:7], 0, v[2:3]
	s_cbranch_vccnz .LBB281_294
; %bb.170:
	v_cmp_ge_u32_e32 vcc, v0, v10
                                        ; implicit-def: $vgpr12_vgpr13
	s_and_saveexec_b64 s[0:1], vcc
	s_xor_b64 s[0:1], exec, s[0:1]
; %bb.171:
	v_not_b32_e32 v12, v0
	v_ashrrev_i32_e32 v13, 31, v12
	v_lshl_add_u64 v[12:13], v[6:7], 0, v[12:13]
; %bb.172:
	s_andn2_saveexec_b64 s[0:1], s[0:1]
; %bb.173:
	v_lshl_add_u64 v[12:13], v[2:3], 0, v[0:1]
; %bb.174:
	s_or_b64 exec, exec, s[0:1]
	v_lshl_add_u64 v[12:13], v[12:13], 1, s[28:29]
	v_cmp_ge_u32_e32 vcc, v68, v10
	s_waitcnt lgkmcnt(14)
	global_store_short v[12:13], v101, off
                                        ; implicit-def: $vgpr12_vgpr13
	s_and_saveexec_b64 s[0:1], vcc
	s_xor_b64 s[0:1], exec, s[0:1]
; %bb.175:
	v_xor_b32_e32 v12, 0xfffffdff, v0
	v_ashrrev_i32_e32 v13, 31, v12
	v_lshl_add_u64 v[12:13], v[6:7], 0, v[12:13]
; %bb.176:
	s_andn2_saveexec_b64 s[0:1], s[0:1]
; %bb.177:
	v_lshl_add_u64 v[12:13], v[2:3], 0, v[68:69]
; %bb.178:
	s_or_b64 exec, exec, s[0:1]
	v_lshl_add_u64 v[12:13], v[12:13], 1, s[28:29]
	v_cmp_ge_u32_e32 vcc, v66, v10
	global_store_short v[12:13], v100, off
                                        ; implicit-def: $vgpr12_vgpr13
	s_and_saveexec_b64 s[0:1], vcc
	s_xor_b64 s[0:1], exec, s[0:1]
; %bb.179:
	v_xor_b32_e32 v12, 0xfffffbff, v0
	v_ashrrev_i32_e32 v13, 31, v12
	v_lshl_add_u64 v[12:13], v[6:7], 0, v[12:13]
; %bb.180:
	s_andn2_saveexec_b64 s[0:1], s[0:1]
; %bb.181:
	v_lshl_add_u64 v[12:13], v[2:3], 0, v[66:67]
; %bb.182:
	s_or_b64 exec, exec, s[0:1]
	v_lshl_add_u64 v[12:13], v[12:13], 1, s[28:29]
	v_cmp_ge_u32_e32 vcc, v64, v10
	;; [unrolled: 16-line block ×16, first 2 shown]
	s_waitcnt lgkmcnt(13)
	global_store_short v[12:13], v85, off
                                        ; implicit-def: $vgpr12_vgpr13
	s_and_saveexec_b64 s[0:1], vcc
	s_xor_b64 s[0:1], exec, s[0:1]
; %bb.239:
	v_xor_b32_e32 v12, 0xffffddff, v0
	v_ashrrev_i32_e32 v13, 31, v12
	v_lshl_add_u64 v[12:13], v[6:7], 0, v[12:13]
; %bb.240:
	s_andn2_saveexec_b64 s[0:1], s[0:1]
; %bb.241:
	v_lshl_add_u64 v[12:13], v[2:3], 0, v[36:37]
; %bb.242:
	s_or_b64 exec, exec, s[0:1]
	v_lshl_add_u64 v[12:13], v[12:13], 1, s[28:29]
	v_cmp_ge_u32_e32 vcc, v34, v10
	s_waitcnt lgkmcnt(12)
	global_store_short v[12:13], v84, off
                                        ; implicit-def: $vgpr12_vgpr13
	s_and_saveexec_b64 s[0:1], vcc
	s_xor_b64 s[0:1], exec, s[0:1]
; %bb.243:
	v_xor_b32_e32 v12, 0xffffdbff, v0
	v_ashrrev_i32_e32 v13, 31, v12
	v_lshl_add_u64 v[12:13], v[6:7], 0, v[12:13]
; %bb.244:
	s_andn2_saveexec_b64 s[0:1], s[0:1]
; %bb.245:
	v_lshl_add_u64 v[12:13], v[2:3], 0, v[34:35]
; %bb.246:
	s_or_b64 exec, exec, s[0:1]
	v_lshl_add_u64 v[12:13], v[12:13], 1, s[28:29]
	v_cmp_ge_u32_e32 vcc, v32, v10
	;; [unrolled: 17-line block ×12, first 2 shown]
	s_waitcnt lgkmcnt(1)
	global_store_short v[12:13], v73, off
                                        ; implicit-def: $vgpr12_vgpr13
	s_and_saveexec_b64 s[0:1], vcc
	s_xor_b64 s[0:1], exec, s[0:1]
; %bb.287:
	v_xor_b32_e32 v12, 0xffffc5ff, v0
	v_ashrrev_i32_e32 v13, 31, v12
	v_lshl_add_u64 v[12:13], v[6:7], 0, v[12:13]
; %bb.288:
	s_andn2_saveexec_b64 s[0:1], s[0:1]
; %bb.289:
	v_lshl_add_u64 v[12:13], v[2:3], 0, v[4:5]
; %bb.290:
	s_or_b64 exec, exec, s[0:1]
	s_mov_b64 s[0:1], -1
.LBB281_291:
	s_and_saveexec_b64 s[2:3], s[0:1]
	s_cbranch_execz .LBB281_382
.LBB281_292:
	v_lshl_add_u64 v[0:1], v[12:13], 1, s[28:29]
	s_waitcnt lgkmcnt(0)
	global_store_short v[0:1], v72, off
	s_or_b64 exec, exec, s[2:3]
	s_and_b64 s[0:1], s[18:19], s[22:23]
	s_and_saveexec_b64 s[2:3], s[0:1]
	s_cbranch_execnz .LBB281_383
.LBB281_293:
	s_endpgm
.LBB281_294:
	s_mov_b64 s[0:1], 0
                                        ; implicit-def: $vgpr12_vgpr13
	s_cbranch_execz .LBB281_291
; %bb.295:
	v_cmp_gt_u32_e32 vcc, s33, v0
	s_and_saveexec_b64 s[2:3], vcc
	s_cbranch_execz .LBB281_384
; %bb.296:
	v_cmp_ge_u32_e32 vcc, v0, v10
                                        ; implicit-def: $vgpr12_vgpr13
	s_and_saveexec_b64 s[4:5], vcc
	s_xor_b64 s[4:5], exec, s[4:5]
; %bb.297:
	v_not_b32_e32 v12, v0
	v_ashrrev_i32_e32 v13, 31, v12
	v_lshl_add_u64 v[12:13], v[6:7], 0, v[12:13]
; %bb.298:
	s_andn2_saveexec_b64 s[4:5], s[4:5]
; %bb.299:
	v_lshl_add_u64 v[12:13], v[2:3], 0, v[0:1]
; %bb.300:
	s_or_b64 exec, exec, s[4:5]
	v_lshl_add_u64 v[12:13], v[12:13], 1, s[28:29]
	s_waitcnt lgkmcnt(14)
	global_store_short v[12:13], v101, off
	s_or_b64 exec, exec, s[2:3]
	v_cmp_gt_u32_e32 vcc, s33, v68
	s_and_saveexec_b64 s[2:3], vcc
	s_cbranch_execnz .LBB281_385
.LBB281_301:
	s_or_b64 exec, exec, s[2:3]
	v_cmp_gt_u32_e32 vcc, s33, v66
	s_and_saveexec_b64 s[2:3], vcc
	s_cbranch_execz .LBB281_390
.LBB281_302:
	v_cmp_ge_u32_e32 vcc, v66, v10
                                        ; implicit-def: $vgpr12_vgpr13
	s_and_saveexec_b64 s[4:5], vcc
	s_xor_b64 s[4:5], exec, s[4:5]
; %bb.303:
	v_xor_b32_e32 v12, 0xfffffbff, v0
	v_ashrrev_i32_e32 v13, 31, v12
	v_lshl_add_u64 v[12:13], v[6:7], 0, v[12:13]
                                        ; implicit-def: $vgpr66_vgpr67
; %bb.304:
	s_andn2_saveexec_b64 s[4:5], s[4:5]
; %bb.305:
	v_lshl_add_u64 v[12:13], v[2:3], 0, v[66:67]
; %bb.306:
	s_or_b64 exec, exec, s[4:5]
	v_lshl_add_u64 v[12:13], v[12:13], 1, s[28:29]
	s_waitcnt lgkmcnt(14)
	global_store_short v[12:13], v99, off
	s_or_b64 exec, exec, s[2:3]
	v_cmp_gt_u32_e32 vcc, s33, v64
	s_and_saveexec_b64 s[2:3], vcc
	s_cbranch_execnz .LBB281_391
.LBB281_307:
	s_or_b64 exec, exec, s[2:3]
	v_cmp_gt_u32_e32 vcc, s33, v62
	s_and_saveexec_b64 s[2:3], vcc
	s_cbranch_execz .LBB281_396
.LBB281_308:
	v_cmp_ge_u32_e32 vcc, v62, v10
                                        ; implicit-def: $vgpr12_vgpr13
	s_and_saveexec_b64 s[4:5], vcc
	s_xor_b64 s[4:5], exec, s[4:5]
; %bb.309:
	v_xor_b32_e32 v12, 0xfffff7ff, v0
	v_ashrrev_i32_e32 v13, 31, v12
	v_lshl_add_u64 v[12:13], v[6:7], 0, v[12:13]
                                        ; implicit-def: $vgpr62_vgpr63
; %bb.310:
	s_andn2_saveexec_b64 s[4:5], s[4:5]
; %bb.311:
	v_lshl_add_u64 v[12:13], v[2:3], 0, v[62:63]
; %bb.312:
	s_or_b64 exec, exec, s[4:5]
	v_lshl_add_u64 v[12:13], v[12:13], 1, s[28:29]
	s_waitcnt lgkmcnt(14)
	global_store_short v[12:13], v97, off
	s_or_b64 exec, exec, s[2:3]
	v_cmp_gt_u32_e32 vcc, s33, v60
	s_and_saveexec_b64 s[2:3], vcc
	s_cbranch_execnz .LBB281_397
.LBB281_313:
	s_or_b64 exec, exec, s[2:3]
	v_cmp_gt_u32_e32 vcc, s33, v58
	s_and_saveexec_b64 s[2:3], vcc
	s_cbranch_execz .LBB281_402
.LBB281_314:
	v_cmp_ge_u32_e32 vcc, v58, v10
                                        ; implicit-def: $vgpr12_vgpr13
	s_and_saveexec_b64 s[4:5], vcc
	s_xor_b64 s[4:5], exec, s[4:5]
; %bb.315:
	v_xor_b32_e32 v12, 0xfffff3ff, v0
	v_ashrrev_i32_e32 v13, 31, v12
	v_lshl_add_u64 v[12:13], v[6:7], 0, v[12:13]
                                        ; implicit-def: $vgpr58_vgpr59
; %bb.316:
	s_andn2_saveexec_b64 s[4:5], s[4:5]
; %bb.317:
	v_lshl_add_u64 v[12:13], v[2:3], 0, v[58:59]
; %bb.318:
	s_or_b64 exec, exec, s[4:5]
	v_lshl_add_u64 v[12:13], v[12:13], 1, s[28:29]
	s_waitcnt lgkmcnt(14)
	global_store_short v[12:13], v95, off
	s_or_b64 exec, exec, s[2:3]
	v_cmp_gt_u32_e32 vcc, s33, v56
	s_and_saveexec_b64 s[2:3], vcc
	s_cbranch_execnz .LBB281_403
.LBB281_319:
	s_or_b64 exec, exec, s[2:3]
	v_cmp_gt_u32_e32 vcc, s33, v54
	s_and_saveexec_b64 s[2:3], vcc
	s_cbranch_execz .LBB281_408
.LBB281_320:
	v_cmp_ge_u32_e32 vcc, v54, v10
                                        ; implicit-def: $vgpr12_vgpr13
	s_and_saveexec_b64 s[4:5], vcc
	s_xor_b64 s[4:5], exec, s[4:5]
; %bb.321:
	v_xor_b32_e32 v12, 0xffffefff, v0
	v_ashrrev_i32_e32 v13, 31, v12
	v_lshl_add_u64 v[12:13], v[6:7], 0, v[12:13]
                                        ; implicit-def: $vgpr54_vgpr55
; %bb.322:
	s_andn2_saveexec_b64 s[4:5], s[4:5]
; %bb.323:
	v_lshl_add_u64 v[12:13], v[2:3], 0, v[54:55]
; %bb.324:
	s_or_b64 exec, exec, s[4:5]
	v_lshl_add_u64 v[12:13], v[12:13], 1, s[28:29]
	s_waitcnt lgkmcnt(14)
	global_store_short v[12:13], v93, off
	s_or_b64 exec, exec, s[2:3]
	v_cmp_gt_u32_e32 vcc, s33, v52
	s_and_saveexec_b64 s[2:3], vcc
	s_cbranch_execnz .LBB281_409
.LBB281_325:
	s_or_b64 exec, exec, s[2:3]
	v_cmp_gt_u32_e32 vcc, s33, v50
	s_and_saveexec_b64 s[2:3], vcc
	s_cbranch_execz .LBB281_414
.LBB281_326:
	v_cmp_ge_u32_e32 vcc, v50, v10
                                        ; implicit-def: $vgpr12_vgpr13
	s_and_saveexec_b64 s[4:5], vcc
	s_xor_b64 s[4:5], exec, s[4:5]
; %bb.327:
	v_xor_b32_e32 v12, 0xffffebff, v0
	v_ashrrev_i32_e32 v13, 31, v12
	v_lshl_add_u64 v[12:13], v[6:7], 0, v[12:13]
                                        ; implicit-def: $vgpr50_vgpr51
; %bb.328:
	s_andn2_saveexec_b64 s[4:5], s[4:5]
; %bb.329:
	v_lshl_add_u64 v[12:13], v[2:3], 0, v[50:51]
; %bb.330:
	s_or_b64 exec, exec, s[4:5]
	v_lshl_add_u64 v[12:13], v[12:13], 1, s[28:29]
	s_waitcnt lgkmcnt(14)
	global_store_short v[12:13], v91, off
	s_or_b64 exec, exec, s[2:3]
	v_cmp_gt_u32_e32 vcc, s33, v48
	s_and_saveexec_b64 s[2:3], vcc
	s_cbranch_execnz .LBB281_415
.LBB281_331:
	s_or_b64 exec, exec, s[2:3]
	v_cmp_gt_u32_e32 vcc, s33, v46
	s_and_saveexec_b64 s[2:3], vcc
	s_cbranch_execz .LBB281_420
.LBB281_332:
	v_cmp_ge_u32_e32 vcc, v46, v10
                                        ; implicit-def: $vgpr12_vgpr13
	s_and_saveexec_b64 s[4:5], vcc
	s_xor_b64 s[4:5], exec, s[4:5]
; %bb.333:
	v_xor_b32_e32 v12, 0xffffe7ff, v0
	v_ashrrev_i32_e32 v13, 31, v12
	v_lshl_add_u64 v[12:13], v[6:7], 0, v[12:13]
                                        ; implicit-def: $vgpr46_vgpr47
; %bb.334:
	s_andn2_saveexec_b64 s[4:5], s[4:5]
; %bb.335:
	v_lshl_add_u64 v[12:13], v[2:3], 0, v[46:47]
; %bb.336:
	s_or_b64 exec, exec, s[4:5]
	v_lshl_add_u64 v[12:13], v[12:13], 1, s[28:29]
	s_waitcnt lgkmcnt(14)
	global_store_short v[12:13], v89, off
	s_or_b64 exec, exec, s[2:3]
	v_cmp_gt_u32_e32 vcc, s33, v44
	s_and_saveexec_b64 s[2:3], vcc
	s_cbranch_execnz .LBB281_421
.LBB281_337:
	s_or_b64 exec, exec, s[2:3]
	v_cmp_gt_u32_e32 vcc, s33, v42
	s_and_saveexec_b64 s[2:3], vcc
	s_cbranch_execz .LBB281_426
.LBB281_338:
	v_cmp_ge_u32_e32 vcc, v42, v10
                                        ; implicit-def: $vgpr12_vgpr13
	s_and_saveexec_b64 s[4:5], vcc
	s_xor_b64 s[4:5], exec, s[4:5]
; %bb.339:
	v_xor_b32_e32 v12, 0xffffe3ff, v0
	v_ashrrev_i32_e32 v13, 31, v12
	v_lshl_add_u64 v[12:13], v[6:7], 0, v[12:13]
                                        ; implicit-def: $vgpr42_vgpr43
; %bb.340:
	s_andn2_saveexec_b64 s[4:5], s[4:5]
; %bb.341:
	v_lshl_add_u64 v[12:13], v[2:3], 0, v[42:43]
; %bb.342:
	s_or_b64 exec, exec, s[4:5]
	v_lshl_add_u64 v[12:13], v[12:13], 1, s[28:29]
	s_waitcnt lgkmcnt(14)
	global_store_short v[12:13], v87, off
	s_or_b64 exec, exec, s[2:3]
	v_cmp_gt_u32_e32 vcc, s33, v40
	s_and_saveexec_b64 s[2:3], vcc
	s_cbranch_execnz .LBB281_427
.LBB281_343:
	s_or_b64 exec, exec, s[2:3]
	v_cmp_gt_u32_e32 vcc, s33, v38
	s_and_saveexec_b64 s[2:3], vcc
	s_cbranch_execz .LBB281_432
.LBB281_344:
	v_cmp_ge_u32_e32 vcc, v38, v10
                                        ; implicit-def: $vgpr12_vgpr13
	s_and_saveexec_b64 s[4:5], vcc
	s_xor_b64 s[4:5], exec, s[4:5]
; %bb.345:
	v_xor_b32_e32 v12, 0xffffdfff, v0
	v_ashrrev_i32_e32 v13, 31, v12
	v_lshl_add_u64 v[12:13], v[6:7], 0, v[12:13]
                                        ; implicit-def: $vgpr38_vgpr39
; %bb.346:
	s_andn2_saveexec_b64 s[4:5], s[4:5]
; %bb.347:
	v_lshl_add_u64 v[12:13], v[2:3], 0, v[38:39]
; %bb.348:
	s_or_b64 exec, exec, s[4:5]
	v_lshl_add_u64 v[12:13], v[12:13], 1, s[28:29]
	s_waitcnt lgkmcnt(13)
	global_store_short v[12:13], v85, off
	s_or_b64 exec, exec, s[2:3]
	v_cmp_gt_u32_e32 vcc, s33, v36
	s_and_saveexec_b64 s[2:3], vcc
	s_cbranch_execnz .LBB281_433
.LBB281_349:
	s_or_b64 exec, exec, s[2:3]
	v_cmp_gt_u32_e32 vcc, s33, v34
	s_and_saveexec_b64 s[2:3], vcc
	s_cbranch_execz .LBB281_438
.LBB281_350:
	v_cmp_ge_u32_e32 vcc, v34, v10
                                        ; implicit-def: $vgpr12_vgpr13
	s_and_saveexec_b64 s[4:5], vcc
	s_xor_b64 s[4:5], exec, s[4:5]
; %bb.351:
	v_xor_b32_e32 v12, 0xffffdbff, v0
	v_ashrrev_i32_e32 v13, 31, v12
	v_lshl_add_u64 v[12:13], v[6:7], 0, v[12:13]
                                        ; implicit-def: $vgpr34_vgpr35
; %bb.352:
	s_andn2_saveexec_b64 s[4:5], s[4:5]
; %bb.353:
	v_lshl_add_u64 v[12:13], v[2:3], 0, v[34:35]
; %bb.354:
	s_or_b64 exec, exec, s[4:5]
	v_lshl_add_u64 v[12:13], v[12:13], 1, s[28:29]
	s_waitcnt lgkmcnt(11)
	global_store_short v[12:13], v83, off
	s_or_b64 exec, exec, s[2:3]
	v_cmp_gt_u32_e32 vcc, s33, v32
	s_and_saveexec_b64 s[2:3], vcc
	s_cbranch_execnz .LBB281_439
.LBB281_355:
	s_or_b64 exec, exec, s[2:3]
	v_cmp_gt_u32_e32 vcc, s33, v30
	s_and_saveexec_b64 s[2:3], vcc
	s_cbranch_execz .LBB281_444
.LBB281_356:
	v_cmp_ge_u32_e32 vcc, v30, v10
                                        ; implicit-def: $vgpr12_vgpr13
	s_and_saveexec_b64 s[4:5], vcc
	s_xor_b64 s[4:5], exec, s[4:5]
; %bb.357:
	v_xor_b32_e32 v12, 0xffffd7ff, v0
	v_ashrrev_i32_e32 v13, 31, v12
	v_lshl_add_u64 v[12:13], v[6:7], 0, v[12:13]
                                        ; implicit-def: $vgpr30_vgpr31
; %bb.358:
	s_andn2_saveexec_b64 s[4:5], s[4:5]
; %bb.359:
	v_lshl_add_u64 v[12:13], v[2:3], 0, v[30:31]
; %bb.360:
	s_or_b64 exec, exec, s[4:5]
	v_lshl_add_u64 v[12:13], v[12:13], 1, s[28:29]
	s_waitcnt lgkmcnt(9)
	global_store_short v[12:13], v81, off
	s_or_b64 exec, exec, s[2:3]
	v_cmp_gt_u32_e32 vcc, s33, v28
	s_and_saveexec_b64 s[2:3], vcc
	s_cbranch_execnz .LBB281_445
.LBB281_361:
	s_or_b64 exec, exec, s[2:3]
	v_cmp_gt_u32_e32 vcc, s33, v26
	s_and_saveexec_b64 s[2:3], vcc
	s_cbranch_execz .LBB281_450
.LBB281_362:
	v_cmp_ge_u32_e32 vcc, v26, v10
                                        ; implicit-def: $vgpr12_vgpr13
	s_and_saveexec_b64 s[4:5], vcc
	s_xor_b64 s[4:5], exec, s[4:5]
; %bb.363:
	v_xor_b32_e32 v12, 0xffffd3ff, v0
	v_ashrrev_i32_e32 v13, 31, v12
	v_lshl_add_u64 v[12:13], v[6:7], 0, v[12:13]
                                        ; implicit-def: $vgpr26_vgpr27
; %bb.364:
	s_andn2_saveexec_b64 s[4:5], s[4:5]
; %bb.365:
	v_lshl_add_u64 v[12:13], v[2:3], 0, v[26:27]
; %bb.366:
	s_or_b64 exec, exec, s[4:5]
	v_lshl_add_u64 v[12:13], v[12:13], 1, s[28:29]
	s_waitcnt lgkmcnt(7)
	global_store_short v[12:13], v79, off
	s_or_b64 exec, exec, s[2:3]
	v_cmp_gt_u32_e32 vcc, s33, v24
	s_and_saveexec_b64 s[2:3], vcc
	s_cbranch_execnz .LBB281_451
.LBB281_367:
	s_or_b64 exec, exec, s[2:3]
	v_cmp_gt_u32_e32 vcc, s33, v22
	s_and_saveexec_b64 s[2:3], vcc
	s_cbranch_execz .LBB281_456
.LBB281_368:
	v_cmp_ge_u32_e32 vcc, v22, v10
                                        ; implicit-def: $vgpr12_vgpr13
	s_and_saveexec_b64 s[4:5], vcc
	s_xor_b64 s[4:5], exec, s[4:5]
; %bb.369:
	v_xor_b32_e32 v12, 0xffffcfff, v0
	v_ashrrev_i32_e32 v13, 31, v12
	v_lshl_add_u64 v[12:13], v[6:7], 0, v[12:13]
                                        ; implicit-def: $vgpr22_vgpr23
; %bb.370:
	s_andn2_saveexec_b64 s[4:5], s[4:5]
; %bb.371:
	v_lshl_add_u64 v[12:13], v[2:3], 0, v[22:23]
; %bb.372:
	s_or_b64 exec, exec, s[4:5]
	v_lshl_add_u64 v[12:13], v[12:13], 1, s[28:29]
	s_waitcnt lgkmcnt(5)
	global_store_short v[12:13], v77, off
	s_or_b64 exec, exec, s[2:3]
	v_cmp_gt_u32_e32 vcc, s33, v20
	s_and_saveexec_b64 s[2:3], vcc
	s_cbranch_execnz .LBB281_457
.LBB281_373:
	s_or_b64 exec, exec, s[2:3]
	v_cmp_gt_u32_e32 vcc, s33, v18
	s_and_saveexec_b64 s[2:3], vcc
	s_cbranch_execz .LBB281_462
.LBB281_374:
	v_cmp_ge_u32_e32 vcc, v18, v10
                                        ; implicit-def: $vgpr12_vgpr13
	s_and_saveexec_b64 s[4:5], vcc
	s_xor_b64 s[4:5], exec, s[4:5]
; %bb.375:
	v_xor_b32_e32 v12, 0xffffcbff, v0
	v_ashrrev_i32_e32 v13, 31, v12
	v_lshl_add_u64 v[12:13], v[6:7], 0, v[12:13]
                                        ; implicit-def: $vgpr18_vgpr19
; %bb.376:
	s_andn2_saveexec_b64 s[4:5], s[4:5]
; %bb.377:
	v_lshl_add_u64 v[12:13], v[2:3], 0, v[18:19]
; %bb.378:
	s_or_b64 exec, exec, s[4:5]
	v_lshl_add_u64 v[12:13], v[12:13], 1, s[28:29]
	s_waitcnt lgkmcnt(3)
	global_store_short v[12:13], v75, off
	s_or_b64 exec, exec, s[2:3]
	v_cmp_gt_u32_e32 vcc, s33, v16
	s_and_saveexec_b64 s[2:3], vcc
	s_cbranch_execnz .LBB281_463
.LBB281_379:
	s_or_b64 exec, exec, s[2:3]
	v_cmp_gt_u32_e32 vcc, s33, v8
	s_and_saveexec_b64 s[2:3], vcc
	s_cbranch_execnz .LBB281_468
.LBB281_380:
	s_or_b64 exec, exec, s[2:3]
	v_cmp_gt_u32_e32 vcc, s33, v4
                                        ; implicit-def: $vgpr12_vgpr13
	s_and_saveexec_b64 s[2:3], vcc
	s_cbranch_execnz .LBB281_473
.LBB281_381:
	s_or_b64 exec, exec, s[2:3]
	s_and_saveexec_b64 s[2:3], s[0:1]
	s_cbranch_execnz .LBB281_292
.LBB281_382:
	s_or_b64 exec, exec, s[2:3]
	s_and_b64 s[0:1], s[18:19], s[22:23]
	s_and_saveexec_b64 s[2:3], s[0:1]
	s_cbranch_execz .LBB281_293
.LBB281_383:
	v_mov_b32_e32 v4, 0
	v_lshl_add_u64 v[0:1], v[2:3], 0, v[10:11]
	global_store_dwordx2 v4, v[0:1], s[20:21]
	s_endpgm
.LBB281_384:
	s_or_b64 exec, exec, s[2:3]
	v_cmp_gt_u32_e32 vcc, s33, v68
	s_and_saveexec_b64 s[2:3], vcc
	s_cbranch_execz .LBB281_301
.LBB281_385:
	v_cmp_ge_u32_e32 vcc, v68, v10
                                        ; implicit-def: $vgpr12_vgpr13
	s_and_saveexec_b64 s[4:5], vcc
	s_xor_b64 s[4:5], exec, s[4:5]
; %bb.386:
	v_xor_b32_e32 v12, 0xfffffdff, v0
	v_ashrrev_i32_e32 v13, 31, v12
	v_lshl_add_u64 v[12:13], v[6:7], 0, v[12:13]
                                        ; implicit-def: $vgpr68_vgpr69
; %bb.387:
	s_andn2_saveexec_b64 s[4:5], s[4:5]
; %bb.388:
	v_lshl_add_u64 v[12:13], v[2:3], 0, v[68:69]
; %bb.389:
	s_or_b64 exec, exec, s[4:5]
	v_lshl_add_u64 v[12:13], v[12:13], 1, s[28:29]
	s_waitcnt lgkmcnt(14)
	global_store_short v[12:13], v100, off
	s_or_b64 exec, exec, s[2:3]
	v_cmp_gt_u32_e32 vcc, s33, v66
	s_and_saveexec_b64 s[2:3], vcc
	s_cbranch_execnz .LBB281_302
.LBB281_390:
	s_or_b64 exec, exec, s[2:3]
	v_cmp_gt_u32_e32 vcc, s33, v64
	s_and_saveexec_b64 s[2:3], vcc
	s_cbranch_execz .LBB281_307
.LBB281_391:
	v_cmp_ge_u32_e32 vcc, v64, v10
                                        ; implicit-def: $vgpr12_vgpr13
	s_and_saveexec_b64 s[4:5], vcc
	s_xor_b64 s[4:5], exec, s[4:5]
; %bb.392:
	v_xor_b32_e32 v12, 0xfffff9ff, v0
	v_ashrrev_i32_e32 v13, 31, v12
	v_lshl_add_u64 v[12:13], v[6:7], 0, v[12:13]
                                        ; implicit-def: $vgpr64_vgpr65
; %bb.393:
	s_andn2_saveexec_b64 s[4:5], s[4:5]
; %bb.394:
	v_lshl_add_u64 v[12:13], v[2:3], 0, v[64:65]
; %bb.395:
	s_or_b64 exec, exec, s[4:5]
	v_lshl_add_u64 v[12:13], v[12:13], 1, s[28:29]
	s_waitcnt lgkmcnt(14)
	global_store_short v[12:13], v98, off
	s_or_b64 exec, exec, s[2:3]
	v_cmp_gt_u32_e32 vcc, s33, v62
	s_and_saveexec_b64 s[2:3], vcc
	s_cbranch_execnz .LBB281_308
.LBB281_396:
	s_or_b64 exec, exec, s[2:3]
	v_cmp_gt_u32_e32 vcc, s33, v60
	s_and_saveexec_b64 s[2:3], vcc
	s_cbranch_execz .LBB281_313
.LBB281_397:
	v_cmp_ge_u32_e32 vcc, v60, v10
                                        ; implicit-def: $vgpr12_vgpr13
	s_and_saveexec_b64 s[4:5], vcc
	s_xor_b64 s[4:5], exec, s[4:5]
; %bb.398:
	v_xor_b32_e32 v12, 0xfffff5ff, v0
	v_ashrrev_i32_e32 v13, 31, v12
	v_lshl_add_u64 v[12:13], v[6:7], 0, v[12:13]
                                        ; implicit-def: $vgpr60_vgpr61
; %bb.399:
	s_andn2_saveexec_b64 s[4:5], s[4:5]
; %bb.400:
	v_lshl_add_u64 v[12:13], v[2:3], 0, v[60:61]
; %bb.401:
	s_or_b64 exec, exec, s[4:5]
	v_lshl_add_u64 v[12:13], v[12:13], 1, s[28:29]
	s_waitcnt lgkmcnt(14)
	global_store_short v[12:13], v96, off
	s_or_b64 exec, exec, s[2:3]
	v_cmp_gt_u32_e32 vcc, s33, v58
	s_and_saveexec_b64 s[2:3], vcc
	s_cbranch_execnz .LBB281_314
.LBB281_402:
	s_or_b64 exec, exec, s[2:3]
	v_cmp_gt_u32_e32 vcc, s33, v56
	s_and_saveexec_b64 s[2:3], vcc
	s_cbranch_execz .LBB281_319
.LBB281_403:
	v_cmp_ge_u32_e32 vcc, v56, v10
                                        ; implicit-def: $vgpr12_vgpr13
	s_and_saveexec_b64 s[4:5], vcc
	s_xor_b64 s[4:5], exec, s[4:5]
; %bb.404:
	v_xor_b32_e32 v12, 0xfffff1ff, v0
	v_ashrrev_i32_e32 v13, 31, v12
	v_lshl_add_u64 v[12:13], v[6:7], 0, v[12:13]
                                        ; implicit-def: $vgpr56_vgpr57
; %bb.405:
	s_andn2_saveexec_b64 s[4:5], s[4:5]
; %bb.406:
	v_lshl_add_u64 v[12:13], v[2:3], 0, v[56:57]
; %bb.407:
	s_or_b64 exec, exec, s[4:5]
	v_lshl_add_u64 v[12:13], v[12:13], 1, s[28:29]
	s_waitcnt lgkmcnt(14)
	global_store_short v[12:13], v94, off
	s_or_b64 exec, exec, s[2:3]
	v_cmp_gt_u32_e32 vcc, s33, v54
	s_and_saveexec_b64 s[2:3], vcc
	s_cbranch_execnz .LBB281_320
.LBB281_408:
	s_or_b64 exec, exec, s[2:3]
	v_cmp_gt_u32_e32 vcc, s33, v52
	s_and_saveexec_b64 s[2:3], vcc
	s_cbranch_execz .LBB281_325
.LBB281_409:
	v_cmp_ge_u32_e32 vcc, v52, v10
                                        ; implicit-def: $vgpr12_vgpr13
	s_and_saveexec_b64 s[4:5], vcc
	s_xor_b64 s[4:5], exec, s[4:5]
; %bb.410:
	v_xor_b32_e32 v12, 0xffffedff, v0
	v_ashrrev_i32_e32 v13, 31, v12
	v_lshl_add_u64 v[12:13], v[6:7], 0, v[12:13]
                                        ; implicit-def: $vgpr52_vgpr53
; %bb.411:
	s_andn2_saveexec_b64 s[4:5], s[4:5]
; %bb.412:
	v_lshl_add_u64 v[12:13], v[2:3], 0, v[52:53]
; %bb.413:
	s_or_b64 exec, exec, s[4:5]
	v_lshl_add_u64 v[12:13], v[12:13], 1, s[28:29]
	s_waitcnt lgkmcnt(14)
	global_store_short v[12:13], v92, off
	s_or_b64 exec, exec, s[2:3]
	v_cmp_gt_u32_e32 vcc, s33, v50
	s_and_saveexec_b64 s[2:3], vcc
	s_cbranch_execnz .LBB281_326
.LBB281_414:
	s_or_b64 exec, exec, s[2:3]
	v_cmp_gt_u32_e32 vcc, s33, v48
	s_and_saveexec_b64 s[2:3], vcc
	s_cbranch_execz .LBB281_331
.LBB281_415:
	v_cmp_ge_u32_e32 vcc, v48, v10
                                        ; implicit-def: $vgpr12_vgpr13
	s_and_saveexec_b64 s[4:5], vcc
	s_xor_b64 s[4:5], exec, s[4:5]
; %bb.416:
	v_xor_b32_e32 v12, 0xffffe9ff, v0
	v_ashrrev_i32_e32 v13, 31, v12
	v_lshl_add_u64 v[12:13], v[6:7], 0, v[12:13]
                                        ; implicit-def: $vgpr48_vgpr49
; %bb.417:
	s_andn2_saveexec_b64 s[4:5], s[4:5]
; %bb.418:
	v_lshl_add_u64 v[12:13], v[2:3], 0, v[48:49]
; %bb.419:
	s_or_b64 exec, exec, s[4:5]
	v_lshl_add_u64 v[12:13], v[12:13], 1, s[28:29]
	s_waitcnt lgkmcnt(14)
	global_store_short v[12:13], v90, off
	s_or_b64 exec, exec, s[2:3]
	v_cmp_gt_u32_e32 vcc, s33, v46
	s_and_saveexec_b64 s[2:3], vcc
	s_cbranch_execnz .LBB281_332
.LBB281_420:
	s_or_b64 exec, exec, s[2:3]
	v_cmp_gt_u32_e32 vcc, s33, v44
	s_and_saveexec_b64 s[2:3], vcc
	s_cbranch_execz .LBB281_337
.LBB281_421:
	v_cmp_ge_u32_e32 vcc, v44, v10
                                        ; implicit-def: $vgpr12_vgpr13
	s_and_saveexec_b64 s[4:5], vcc
	s_xor_b64 s[4:5], exec, s[4:5]
; %bb.422:
	v_xor_b32_e32 v12, 0xffffe5ff, v0
	v_ashrrev_i32_e32 v13, 31, v12
	v_lshl_add_u64 v[12:13], v[6:7], 0, v[12:13]
                                        ; implicit-def: $vgpr44_vgpr45
; %bb.423:
	s_andn2_saveexec_b64 s[4:5], s[4:5]
; %bb.424:
	v_lshl_add_u64 v[12:13], v[2:3], 0, v[44:45]
; %bb.425:
	s_or_b64 exec, exec, s[4:5]
	v_lshl_add_u64 v[12:13], v[12:13], 1, s[28:29]
	s_waitcnt lgkmcnt(14)
	global_store_short v[12:13], v88, off
	s_or_b64 exec, exec, s[2:3]
	v_cmp_gt_u32_e32 vcc, s33, v42
	s_and_saveexec_b64 s[2:3], vcc
	s_cbranch_execnz .LBB281_338
.LBB281_426:
	s_or_b64 exec, exec, s[2:3]
	v_cmp_gt_u32_e32 vcc, s33, v40
	s_and_saveexec_b64 s[2:3], vcc
	s_cbranch_execz .LBB281_343
.LBB281_427:
	v_cmp_ge_u32_e32 vcc, v40, v10
                                        ; implicit-def: $vgpr12_vgpr13
	s_and_saveexec_b64 s[4:5], vcc
	s_xor_b64 s[4:5], exec, s[4:5]
; %bb.428:
	v_xor_b32_e32 v12, 0xffffe1ff, v0
	v_ashrrev_i32_e32 v13, 31, v12
	v_lshl_add_u64 v[12:13], v[6:7], 0, v[12:13]
                                        ; implicit-def: $vgpr40_vgpr41
; %bb.429:
	s_andn2_saveexec_b64 s[4:5], s[4:5]
; %bb.430:
	v_lshl_add_u64 v[12:13], v[2:3], 0, v[40:41]
; %bb.431:
	s_or_b64 exec, exec, s[4:5]
	v_lshl_add_u64 v[12:13], v[12:13], 1, s[28:29]
	s_waitcnt lgkmcnt(14)
	global_store_short v[12:13], v86, off
	s_or_b64 exec, exec, s[2:3]
	v_cmp_gt_u32_e32 vcc, s33, v38
	s_and_saveexec_b64 s[2:3], vcc
	s_cbranch_execnz .LBB281_344
.LBB281_432:
	s_or_b64 exec, exec, s[2:3]
	v_cmp_gt_u32_e32 vcc, s33, v36
	s_and_saveexec_b64 s[2:3], vcc
	s_cbranch_execz .LBB281_349
.LBB281_433:
	v_cmp_ge_u32_e32 vcc, v36, v10
                                        ; implicit-def: $vgpr12_vgpr13
	s_and_saveexec_b64 s[4:5], vcc
	s_xor_b64 s[4:5], exec, s[4:5]
; %bb.434:
	v_xor_b32_e32 v12, 0xffffddff, v0
	v_ashrrev_i32_e32 v13, 31, v12
	v_lshl_add_u64 v[12:13], v[6:7], 0, v[12:13]
                                        ; implicit-def: $vgpr36_vgpr37
; %bb.435:
	s_andn2_saveexec_b64 s[4:5], s[4:5]
; %bb.436:
	v_lshl_add_u64 v[12:13], v[2:3], 0, v[36:37]
; %bb.437:
	s_or_b64 exec, exec, s[4:5]
	v_lshl_add_u64 v[12:13], v[12:13], 1, s[28:29]
	s_waitcnt lgkmcnt(12)
	global_store_short v[12:13], v84, off
	s_or_b64 exec, exec, s[2:3]
	v_cmp_gt_u32_e32 vcc, s33, v34
	s_and_saveexec_b64 s[2:3], vcc
	s_cbranch_execnz .LBB281_350
.LBB281_438:
	s_or_b64 exec, exec, s[2:3]
	v_cmp_gt_u32_e32 vcc, s33, v32
	s_and_saveexec_b64 s[2:3], vcc
	s_cbranch_execz .LBB281_355
.LBB281_439:
	v_cmp_ge_u32_e32 vcc, v32, v10
                                        ; implicit-def: $vgpr12_vgpr13
	s_and_saveexec_b64 s[4:5], vcc
	s_xor_b64 s[4:5], exec, s[4:5]
; %bb.440:
	v_xor_b32_e32 v12, 0xffffd9ff, v0
	v_ashrrev_i32_e32 v13, 31, v12
	v_lshl_add_u64 v[12:13], v[6:7], 0, v[12:13]
                                        ; implicit-def: $vgpr32_vgpr33
; %bb.441:
	s_andn2_saveexec_b64 s[4:5], s[4:5]
; %bb.442:
	v_lshl_add_u64 v[12:13], v[2:3], 0, v[32:33]
; %bb.443:
	s_or_b64 exec, exec, s[4:5]
	v_lshl_add_u64 v[12:13], v[12:13], 1, s[28:29]
	s_waitcnt lgkmcnt(10)
	global_store_short v[12:13], v82, off
	s_or_b64 exec, exec, s[2:3]
	v_cmp_gt_u32_e32 vcc, s33, v30
	s_and_saveexec_b64 s[2:3], vcc
	s_cbranch_execnz .LBB281_356
.LBB281_444:
	s_or_b64 exec, exec, s[2:3]
	v_cmp_gt_u32_e32 vcc, s33, v28
	s_and_saveexec_b64 s[2:3], vcc
	s_cbranch_execz .LBB281_361
.LBB281_445:
	v_cmp_ge_u32_e32 vcc, v28, v10
                                        ; implicit-def: $vgpr12_vgpr13
	s_and_saveexec_b64 s[4:5], vcc
	s_xor_b64 s[4:5], exec, s[4:5]
; %bb.446:
	v_xor_b32_e32 v12, 0xffffd5ff, v0
	v_ashrrev_i32_e32 v13, 31, v12
	v_lshl_add_u64 v[12:13], v[6:7], 0, v[12:13]
                                        ; implicit-def: $vgpr28_vgpr29
; %bb.447:
	s_andn2_saveexec_b64 s[4:5], s[4:5]
; %bb.448:
	v_lshl_add_u64 v[12:13], v[2:3], 0, v[28:29]
; %bb.449:
	s_or_b64 exec, exec, s[4:5]
	v_lshl_add_u64 v[12:13], v[12:13], 1, s[28:29]
	s_waitcnt lgkmcnt(8)
	global_store_short v[12:13], v80, off
	s_or_b64 exec, exec, s[2:3]
	v_cmp_gt_u32_e32 vcc, s33, v26
	s_and_saveexec_b64 s[2:3], vcc
	s_cbranch_execnz .LBB281_362
.LBB281_450:
	s_or_b64 exec, exec, s[2:3]
	v_cmp_gt_u32_e32 vcc, s33, v24
	s_and_saveexec_b64 s[2:3], vcc
	s_cbranch_execz .LBB281_367
.LBB281_451:
	v_cmp_ge_u32_e32 vcc, v24, v10
                                        ; implicit-def: $vgpr12_vgpr13
	s_and_saveexec_b64 s[4:5], vcc
	s_xor_b64 s[4:5], exec, s[4:5]
; %bb.452:
	v_xor_b32_e32 v12, 0xffffd1ff, v0
	v_ashrrev_i32_e32 v13, 31, v12
	v_lshl_add_u64 v[12:13], v[6:7], 0, v[12:13]
                                        ; implicit-def: $vgpr24_vgpr25
; %bb.453:
	s_andn2_saveexec_b64 s[4:5], s[4:5]
; %bb.454:
	v_lshl_add_u64 v[12:13], v[2:3], 0, v[24:25]
; %bb.455:
	s_or_b64 exec, exec, s[4:5]
	v_lshl_add_u64 v[12:13], v[12:13], 1, s[28:29]
	s_waitcnt lgkmcnt(6)
	global_store_short v[12:13], v78, off
	s_or_b64 exec, exec, s[2:3]
	v_cmp_gt_u32_e32 vcc, s33, v22
	s_and_saveexec_b64 s[2:3], vcc
	s_cbranch_execnz .LBB281_368
.LBB281_456:
	s_or_b64 exec, exec, s[2:3]
	v_cmp_gt_u32_e32 vcc, s33, v20
	s_and_saveexec_b64 s[2:3], vcc
	s_cbranch_execz .LBB281_373
.LBB281_457:
	v_cmp_ge_u32_e32 vcc, v20, v10
                                        ; implicit-def: $vgpr12_vgpr13
	s_and_saveexec_b64 s[4:5], vcc
	s_xor_b64 s[4:5], exec, s[4:5]
; %bb.458:
	v_xor_b32_e32 v12, 0xffffcdff, v0
	v_ashrrev_i32_e32 v13, 31, v12
	v_lshl_add_u64 v[12:13], v[6:7], 0, v[12:13]
                                        ; implicit-def: $vgpr20_vgpr21
; %bb.459:
	s_andn2_saveexec_b64 s[4:5], s[4:5]
; %bb.460:
	v_lshl_add_u64 v[12:13], v[2:3], 0, v[20:21]
; %bb.461:
	s_or_b64 exec, exec, s[4:5]
	v_lshl_add_u64 v[12:13], v[12:13], 1, s[28:29]
	s_waitcnt lgkmcnt(4)
	global_store_short v[12:13], v76, off
	s_or_b64 exec, exec, s[2:3]
	v_cmp_gt_u32_e32 vcc, s33, v18
	s_and_saveexec_b64 s[2:3], vcc
	s_cbranch_execnz .LBB281_374
.LBB281_462:
	s_or_b64 exec, exec, s[2:3]
	v_cmp_gt_u32_e32 vcc, s33, v16
	s_and_saveexec_b64 s[2:3], vcc
	s_cbranch_execz .LBB281_379
.LBB281_463:
	v_cmp_ge_u32_e32 vcc, v16, v10
                                        ; implicit-def: $vgpr12_vgpr13
	s_and_saveexec_b64 s[4:5], vcc
	s_xor_b64 s[4:5], exec, s[4:5]
; %bb.464:
	v_xor_b32_e32 v12, 0xffffc9ff, v0
	v_ashrrev_i32_e32 v13, 31, v12
	v_lshl_add_u64 v[12:13], v[6:7], 0, v[12:13]
                                        ; implicit-def: $vgpr16_vgpr17
; %bb.465:
	s_andn2_saveexec_b64 s[4:5], s[4:5]
; %bb.466:
	v_lshl_add_u64 v[12:13], v[2:3], 0, v[16:17]
; %bb.467:
	s_or_b64 exec, exec, s[4:5]
	v_lshl_add_u64 v[12:13], v[12:13], 1, s[28:29]
	s_waitcnt lgkmcnt(2)
	global_store_short v[12:13], v74, off
	s_or_b64 exec, exec, s[2:3]
	v_cmp_gt_u32_e32 vcc, s33, v8
	s_and_saveexec_b64 s[2:3], vcc
	s_cbranch_execz .LBB281_380
.LBB281_468:
	v_cmp_ge_u32_e32 vcc, v8, v10
                                        ; implicit-def: $vgpr12_vgpr13
	s_and_saveexec_b64 s[4:5], vcc
	s_xor_b64 s[4:5], exec, s[4:5]
; %bb.469:
	v_xor_b32_e32 v8, 0xffffc7ff, v0
	v_ashrrev_i32_e32 v9, 31, v8
	v_lshl_add_u64 v[12:13], v[6:7], 0, v[8:9]
                                        ; implicit-def: $vgpr8_vgpr9
; %bb.470:
	s_andn2_saveexec_b64 s[4:5], s[4:5]
; %bb.471:
	v_lshl_add_u64 v[12:13], v[2:3], 0, v[8:9]
; %bb.472:
	s_or_b64 exec, exec, s[4:5]
	v_lshl_add_u64 v[8:9], v[12:13], 1, s[28:29]
	s_waitcnt lgkmcnt(1)
	global_store_short v[8:9], v73, off
	s_or_b64 exec, exec, s[2:3]
	v_cmp_gt_u32_e32 vcc, s33, v4
                                        ; implicit-def: $vgpr12_vgpr13
	s_and_saveexec_b64 s[2:3], vcc
	s_cbranch_execz .LBB281_381
.LBB281_473:
	v_cmp_ge_u32_e32 vcc, v4, v10
                                        ; implicit-def: $vgpr12_vgpr13
	s_and_saveexec_b64 s[4:5], vcc
	s_xor_b64 s[4:5], exec, s[4:5]
; %bb.474:
	v_xor_b32_e32 v0, 0xffffc5ff, v0
	v_ashrrev_i32_e32 v1, 31, v0
	v_lshl_add_u64 v[12:13], v[6:7], 0, v[0:1]
                                        ; implicit-def: $vgpr4_vgpr5
; %bb.475:
	s_andn2_saveexec_b64 s[4:5], s[4:5]
; %bb.476:
	v_lshl_add_u64 v[12:13], v[2:3], 0, v[4:5]
; %bb.477:
	s_or_b64 exec, exec, s[4:5]
	s_or_b64 s[0:1], s[0:1], exec
	s_or_b64 exec, exec, s[2:3]
	s_and_saveexec_b64 s[2:3], s[0:1]
	s_cbranch_execnz .LBB281_292
	s_branch .LBB281_382
	.section	.rodata,"a",@progbits
	.p2align	6, 0x0
	.amdhsa_kernel _ZN7rocprim17ROCPRIM_400000_NS6detail17trampoline_kernelINS0_14default_configENS1_25partition_config_selectorILNS1_17partition_subalgoE2EsNS0_10empty_typeEbEEZZNS1_14partition_implILS5_2ELb0ES3_jN6thrust23THRUST_200600_302600_NS6detail15normal_iteratorINSA_7pointerIsNSA_11hip_rocprim3tagENSA_11use_defaultESG_EEEEPS6_NSA_18transform_iteratorI7is_evenIsENSC_INSA_10device_ptrIsEEEESG_SG_EENS0_5tupleIJPsSJ_EEENSR_IJSJ_SJ_EEES6_PlJS6_EEE10hipError_tPvRmT3_T4_T5_T6_T7_T9_mT8_P12ihipStream_tbDpT10_ENKUlT_T0_E_clISt17integral_constantIbLb0EES1E_IbLb1EEEEDaS1A_S1B_EUlS1A_E_NS1_11comp_targetILNS1_3genE5ELNS1_11target_archE942ELNS1_3gpuE9ELNS1_3repE0EEENS1_30default_config_static_selectorELNS0_4arch9wavefront6targetE1EEEvT1_
		.amdhsa_group_segment_fixed_size 30728
		.amdhsa_private_segment_fixed_size 0
		.amdhsa_kernarg_size 144
		.amdhsa_user_sgpr_count 2
		.amdhsa_user_sgpr_dispatch_ptr 0
		.amdhsa_user_sgpr_queue_ptr 0
		.amdhsa_user_sgpr_kernarg_segment_ptr 1
		.amdhsa_user_sgpr_dispatch_id 0
		.amdhsa_user_sgpr_kernarg_preload_length 0
		.amdhsa_user_sgpr_kernarg_preload_offset 0
		.amdhsa_user_sgpr_private_segment_size 0
		.amdhsa_uses_dynamic_stack 0
		.amdhsa_enable_private_segment 0
		.amdhsa_system_sgpr_workgroup_id_x 1
		.amdhsa_system_sgpr_workgroup_id_y 0
		.amdhsa_system_sgpr_workgroup_id_z 0
		.amdhsa_system_sgpr_workgroup_info 0
		.amdhsa_system_vgpr_workitem_id 0
		.amdhsa_next_free_vgpr 102
		.amdhsa_next_free_sgpr 46
		.amdhsa_accum_offset 104
		.amdhsa_reserve_vcc 1
		.amdhsa_float_round_mode_32 0
		.amdhsa_float_round_mode_16_64 0
		.amdhsa_float_denorm_mode_32 3
		.amdhsa_float_denorm_mode_16_64 3
		.amdhsa_dx10_clamp 1
		.amdhsa_ieee_mode 1
		.amdhsa_fp16_overflow 0
		.amdhsa_tg_split 0
		.amdhsa_exception_fp_ieee_invalid_op 0
		.amdhsa_exception_fp_denorm_src 0
		.amdhsa_exception_fp_ieee_div_zero 0
		.amdhsa_exception_fp_ieee_overflow 0
		.amdhsa_exception_fp_ieee_underflow 0
		.amdhsa_exception_fp_ieee_inexact 0
		.amdhsa_exception_int_div_zero 0
	.end_amdhsa_kernel
	.section	.text._ZN7rocprim17ROCPRIM_400000_NS6detail17trampoline_kernelINS0_14default_configENS1_25partition_config_selectorILNS1_17partition_subalgoE2EsNS0_10empty_typeEbEEZZNS1_14partition_implILS5_2ELb0ES3_jN6thrust23THRUST_200600_302600_NS6detail15normal_iteratorINSA_7pointerIsNSA_11hip_rocprim3tagENSA_11use_defaultESG_EEEEPS6_NSA_18transform_iteratorI7is_evenIsENSC_INSA_10device_ptrIsEEEESG_SG_EENS0_5tupleIJPsSJ_EEENSR_IJSJ_SJ_EEES6_PlJS6_EEE10hipError_tPvRmT3_T4_T5_T6_T7_T9_mT8_P12ihipStream_tbDpT10_ENKUlT_T0_E_clISt17integral_constantIbLb0EES1E_IbLb1EEEEDaS1A_S1B_EUlS1A_E_NS1_11comp_targetILNS1_3genE5ELNS1_11target_archE942ELNS1_3gpuE9ELNS1_3repE0EEENS1_30default_config_static_selectorELNS0_4arch9wavefront6targetE1EEEvT1_,"axG",@progbits,_ZN7rocprim17ROCPRIM_400000_NS6detail17trampoline_kernelINS0_14default_configENS1_25partition_config_selectorILNS1_17partition_subalgoE2EsNS0_10empty_typeEbEEZZNS1_14partition_implILS5_2ELb0ES3_jN6thrust23THRUST_200600_302600_NS6detail15normal_iteratorINSA_7pointerIsNSA_11hip_rocprim3tagENSA_11use_defaultESG_EEEEPS6_NSA_18transform_iteratorI7is_evenIsENSC_INSA_10device_ptrIsEEEESG_SG_EENS0_5tupleIJPsSJ_EEENSR_IJSJ_SJ_EEES6_PlJS6_EEE10hipError_tPvRmT3_T4_T5_T6_T7_T9_mT8_P12ihipStream_tbDpT10_ENKUlT_T0_E_clISt17integral_constantIbLb0EES1E_IbLb1EEEEDaS1A_S1B_EUlS1A_E_NS1_11comp_targetILNS1_3genE5ELNS1_11target_archE942ELNS1_3gpuE9ELNS1_3repE0EEENS1_30default_config_static_selectorELNS0_4arch9wavefront6targetE1EEEvT1_,comdat
.Lfunc_end281:
	.size	_ZN7rocprim17ROCPRIM_400000_NS6detail17trampoline_kernelINS0_14default_configENS1_25partition_config_selectorILNS1_17partition_subalgoE2EsNS0_10empty_typeEbEEZZNS1_14partition_implILS5_2ELb0ES3_jN6thrust23THRUST_200600_302600_NS6detail15normal_iteratorINSA_7pointerIsNSA_11hip_rocprim3tagENSA_11use_defaultESG_EEEEPS6_NSA_18transform_iteratorI7is_evenIsENSC_INSA_10device_ptrIsEEEESG_SG_EENS0_5tupleIJPsSJ_EEENSR_IJSJ_SJ_EEES6_PlJS6_EEE10hipError_tPvRmT3_T4_T5_T6_T7_T9_mT8_P12ihipStream_tbDpT10_ENKUlT_T0_E_clISt17integral_constantIbLb0EES1E_IbLb1EEEEDaS1A_S1B_EUlS1A_E_NS1_11comp_targetILNS1_3genE5ELNS1_11target_archE942ELNS1_3gpuE9ELNS1_3repE0EEENS1_30default_config_static_selectorELNS0_4arch9wavefront6targetE1EEEvT1_, .Lfunc_end281-_ZN7rocprim17ROCPRIM_400000_NS6detail17trampoline_kernelINS0_14default_configENS1_25partition_config_selectorILNS1_17partition_subalgoE2EsNS0_10empty_typeEbEEZZNS1_14partition_implILS5_2ELb0ES3_jN6thrust23THRUST_200600_302600_NS6detail15normal_iteratorINSA_7pointerIsNSA_11hip_rocprim3tagENSA_11use_defaultESG_EEEEPS6_NSA_18transform_iteratorI7is_evenIsENSC_INSA_10device_ptrIsEEEESG_SG_EENS0_5tupleIJPsSJ_EEENSR_IJSJ_SJ_EEES6_PlJS6_EEE10hipError_tPvRmT3_T4_T5_T6_T7_T9_mT8_P12ihipStream_tbDpT10_ENKUlT_T0_E_clISt17integral_constantIbLb0EES1E_IbLb1EEEEDaS1A_S1B_EUlS1A_E_NS1_11comp_targetILNS1_3genE5ELNS1_11target_archE942ELNS1_3gpuE9ELNS1_3repE0EEENS1_30default_config_static_selectorELNS0_4arch9wavefront6targetE1EEEvT1_
                                        ; -- End function
	.section	.AMDGPU.csdata,"",@progbits
; Kernel info:
; codeLenInByte = 14780
; NumSgprs: 52
; NumVgprs: 102
; NumAgprs: 0
; TotalNumVgprs: 102
; ScratchSize: 0
; MemoryBound: 0
; FloatMode: 240
; IeeeMode: 1
; LDSByteSize: 30728 bytes/workgroup (compile time only)
; SGPRBlocks: 6
; VGPRBlocks: 12
; NumSGPRsForWavesPerEU: 52
; NumVGPRsForWavesPerEU: 102
; AccumOffset: 104
; Occupancy: 4
; WaveLimiterHint : 1
; COMPUTE_PGM_RSRC2:SCRATCH_EN: 0
; COMPUTE_PGM_RSRC2:USER_SGPR: 2
; COMPUTE_PGM_RSRC2:TRAP_HANDLER: 0
; COMPUTE_PGM_RSRC2:TGID_X_EN: 1
; COMPUTE_PGM_RSRC2:TGID_Y_EN: 0
; COMPUTE_PGM_RSRC2:TGID_Z_EN: 0
; COMPUTE_PGM_RSRC2:TIDIG_COMP_CNT: 0
; COMPUTE_PGM_RSRC3_GFX90A:ACCUM_OFFSET: 25
; COMPUTE_PGM_RSRC3_GFX90A:TG_SPLIT: 0
	.section	.text._ZN7rocprim17ROCPRIM_400000_NS6detail17trampoline_kernelINS0_14default_configENS1_25partition_config_selectorILNS1_17partition_subalgoE2EsNS0_10empty_typeEbEEZZNS1_14partition_implILS5_2ELb0ES3_jN6thrust23THRUST_200600_302600_NS6detail15normal_iteratorINSA_7pointerIsNSA_11hip_rocprim3tagENSA_11use_defaultESG_EEEEPS6_NSA_18transform_iteratorI7is_evenIsENSC_INSA_10device_ptrIsEEEESG_SG_EENS0_5tupleIJPsSJ_EEENSR_IJSJ_SJ_EEES6_PlJS6_EEE10hipError_tPvRmT3_T4_T5_T6_T7_T9_mT8_P12ihipStream_tbDpT10_ENKUlT_T0_E_clISt17integral_constantIbLb0EES1E_IbLb1EEEEDaS1A_S1B_EUlS1A_E_NS1_11comp_targetILNS1_3genE4ELNS1_11target_archE910ELNS1_3gpuE8ELNS1_3repE0EEENS1_30default_config_static_selectorELNS0_4arch9wavefront6targetE1EEEvT1_,"axG",@progbits,_ZN7rocprim17ROCPRIM_400000_NS6detail17trampoline_kernelINS0_14default_configENS1_25partition_config_selectorILNS1_17partition_subalgoE2EsNS0_10empty_typeEbEEZZNS1_14partition_implILS5_2ELb0ES3_jN6thrust23THRUST_200600_302600_NS6detail15normal_iteratorINSA_7pointerIsNSA_11hip_rocprim3tagENSA_11use_defaultESG_EEEEPS6_NSA_18transform_iteratorI7is_evenIsENSC_INSA_10device_ptrIsEEEESG_SG_EENS0_5tupleIJPsSJ_EEENSR_IJSJ_SJ_EEES6_PlJS6_EEE10hipError_tPvRmT3_T4_T5_T6_T7_T9_mT8_P12ihipStream_tbDpT10_ENKUlT_T0_E_clISt17integral_constantIbLb0EES1E_IbLb1EEEEDaS1A_S1B_EUlS1A_E_NS1_11comp_targetILNS1_3genE4ELNS1_11target_archE910ELNS1_3gpuE8ELNS1_3repE0EEENS1_30default_config_static_selectorELNS0_4arch9wavefront6targetE1EEEvT1_,comdat
	.protected	_ZN7rocprim17ROCPRIM_400000_NS6detail17trampoline_kernelINS0_14default_configENS1_25partition_config_selectorILNS1_17partition_subalgoE2EsNS0_10empty_typeEbEEZZNS1_14partition_implILS5_2ELb0ES3_jN6thrust23THRUST_200600_302600_NS6detail15normal_iteratorINSA_7pointerIsNSA_11hip_rocprim3tagENSA_11use_defaultESG_EEEEPS6_NSA_18transform_iteratorI7is_evenIsENSC_INSA_10device_ptrIsEEEESG_SG_EENS0_5tupleIJPsSJ_EEENSR_IJSJ_SJ_EEES6_PlJS6_EEE10hipError_tPvRmT3_T4_T5_T6_T7_T9_mT8_P12ihipStream_tbDpT10_ENKUlT_T0_E_clISt17integral_constantIbLb0EES1E_IbLb1EEEEDaS1A_S1B_EUlS1A_E_NS1_11comp_targetILNS1_3genE4ELNS1_11target_archE910ELNS1_3gpuE8ELNS1_3repE0EEENS1_30default_config_static_selectorELNS0_4arch9wavefront6targetE1EEEvT1_ ; -- Begin function _ZN7rocprim17ROCPRIM_400000_NS6detail17trampoline_kernelINS0_14default_configENS1_25partition_config_selectorILNS1_17partition_subalgoE2EsNS0_10empty_typeEbEEZZNS1_14partition_implILS5_2ELb0ES3_jN6thrust23THRUST_200600_302600_NS6detail15normal_iteratorINSA_7pointerIsNSA_11hip_rocprim3tagENSA_11use_defaultESG_EEEEPS6_NSA_18transform_iteratorI7is_evenIsENSC_INSA_10device_ptrIsEEEESG_SG_EENS0_5tupleIJPsSJ_EEENSR_IJSJ_SJ_EEES6_PlJS6_EEE10hipError_tPvRmT3_T4_T5_T6_T7_T9_mT8_P12ihipStream_tbDpT10_ENKUlT_T0_E_clISt17integral_constantIbLb0EES1E_IbLb1EEEEDaS1A_S1B_EUlS1A_E_NS1_11comp_targetILNS1_3genE4ELNS1_11target_archE910ELNS1_3gpuE8ELNS1_3repE0EEENS1_30default_config_static_selectorELNS0_4arch9wavefront6targetE1EEEvT1_
	.globl	_ZN7rocprim17ROCPRIM_400000_NS6detail17trampoline_kernelINS0_14default_configENS1_25partition_config_selectorILNS1_17partition_subalgoE2EsNS0_10empty_typeEbEEZZNS1_14partition_implILS5_2ELb0ES3_jN6thrust23THRUST_200600_302600_NS6detail15normal_iteratorINSA_7pointerIsNSA_11hip_rocprim3tagENSA_11use_defaultESG_EEEEPS6_NSA_18transform_iteratorI7is_evenIsENSC_INSA_10device_ptrIsEEEESG_SG_EENS0_5tupleIJPsSJ_EEENSR_IJSJ_SJ_EEES6_PlJS6_EEE10hipError_tPvRmT3_T4_T5_T6_T7_T9_mT8_P12ihipStream_tbDpT10_ENKUlT_T0_E_clISt17integral_constantIbLb0EES1E_IbLb1EEEEDaS1A_S1B_EUlS1A_E_NS1_11comp_targetILNS1_3genE4ELNS1_11target_archE910ELNS1_3gpuE8ELNS1_3repE0EEENS1_30default_config_static_selectorELNS0_4arch9wavefront6targetE1EEEvT1_
	.p2align	8
	.type	_ZN7rocprim17ROCPRIM_400000_NS6detail17trampoline_kernelINS0_14default_configENS1_25partition_config_selectorILNS1_17partition_subalgoE2EsNS0_10empty_typeEbEEZZNS1_14partition_implILS5_2ELb0ES3_jN6thrust23THRUST_200600_302600_NS6detail15normal_iteratorINSA_7pointerIsNSA_11hip_rocprim3tagENSA_11use_defaultESG_EEEEPS6_NSA_18transform_iteratorI7is_evenIsENSC_INSA_10device_ptrIsEEEESG_SG_EENS0_5tupleIJPsSJ_EEENSR_IJSJ_SJ_EEES6_PlJS6_EEE10hipError_tPvRmT3_T4_T5_T6_T7_T9_mT8_P12ihipStream_tbDpT10_ENKUlT_T0_E_clISt17integral_constantIbLb0EES1E_IbLb1EEEEDaS1A_S1B_EUlS1A_E_NS1_11comp_targetILNS1_3genE4ELNS1_11target_archE910ELNS1_3gpuE8ELNS1_3repE0EEENS1_30default_config_static_selectorELNS0_4arch9wavefront6targetE1EEEvT1_,@function
_ZN7rocprim17ROCPRIM_400000_NS6detail17trampoline_kernelINS0_14default_configENS1_25partition_config_selectorILNS1_17partition_subalgoE2EsNS0_10empty_typeEbEEZZNS1_14partition_implILS5_2ELb0ES3_jN6thrust23THRUST_200600_302600_NS6detail15normal_iteratorINSA_7pointerIsNSA_11hip_rocprim3tagENSA_11use_defaultESG_EEEEPS6_NSA_18transform_iteratorI7is_evenIsENSC_INSA_10device_ptrIsEEEESG_SG_EENS0_5tupleIJPsSJ_EEENSR_IJSJ_SJ_EEES6_PlJS6_EEE10hipError_tPvRmT3_T4_T5_T6_T7_T9_mT8_P12ihipStream_tbDpT10_ENKUlT_T0_E_clISt17integral_constantIbLb0EES1E_IbLb1EEEEDaS1A_S1B_EUlS1A_E_NS1_11comp_targetILNS1_3genE4ELNS1_11target_archE910ELNS1_3gpuE8ELNS1_3repE0EEENS1_30default_config_static_selectorELNS0_4arch9wavefront6targetE1EEEvT1_: ; @_ZN7rocprim17ROCPRIM_400000_NS6detail17trampoline_kernelINS0_14default_configENS1_25partition_config_selectorILNS1_17partition_subalgoE2EsNS0_10empty_typeEbEEZZNS1_14partition_implILS5_2ELb0ES3_jN6thrust23THRUST_200600_302600_NS6detail15normal_iteratorINSA_7pointerIsNSA_11hip_rocprim3tagENSA_11use_defaultESG_EEEEPS6_NSA_18transform_iteratorI7is_evenIsENSC_INSA_10device_ptrIsEEEESG_SG_EENS0_5tupleIJPsSJ_EEENSR_IJSJ_SJ_EEES6_PlJS6_EEE10hipError_tPvRmT3_T4_T5_T6_T7_T9_mT8_P12ihipStream_tbDpT10_ENKUlT_T0_E_clISt17integral_constantIbLb0EES1E_IbLb1EEEEDaS1A_S1B_EUlS1A_E_NS1_11comp_targetILNS1_3genE4ELNS1_11target_archE910ELNS1_3gpuE8ELNS1_3repE0EEENS1_30default_config_static_selectorELNS0_4arch9wavefront6targetE1EEEvT1_
; %bb.0:
	.section	.rodata,"a",@progbits
	.p2align	6, 0x0
	.amdhsa_kernel _ZN7rocprim17ROCPRIM_400000_NS6detail17trampoline_kernelINS0_14default_configENS1_25partition_config_selectorILNS1_17partition_subalgoE2EsNS0_10empty_typeEbEEZZNS1_14partition_implILS5_2ELb0ES3_jN6thrust23THRUST_200600_302600_NS6detail15normal_iteratorINSA_7pointerIsNSA_11hip_rocprim3tagENSA_11use_defaultESG_EEEEPS6_NSA_18transform_iteratorI7is_evenIsENSC_INSA_10device_ptrIsEEEESG_SG_EENS0_5tupleIJPsSJ_EEENSR_IJSJ_SJ_EEES6_PlJS6_EEE10hipError_tPvRmT3_T4_T5_T6_T7_T9_mT8_P12ihipStream_tbDpT10_ENKUlT_T0_E_clISt17integral_constantIbLb0EES1E_IbLb1EEEEDaS1A_S1B_EUlS1A_E_NS1_11comp_targetILNS1_3genE4ELNS1_11target_archE910ELNS1_3gpuE8ELNS1_3repE0EEENS1_30default_config_static_selectorELNS0_4arch9wavefront6targetE1EEEvT1_
		.amdhsa_group_segment_fixed_size 0
		.amdhsa_private_segment_fixed_size 0
		.amdhsa_kernarg_size 144
		.amdhsa_user_sgpr_count 2
		.amdhsa_user_sgpr_dispatch_ptr 0
		.amdhsa_user_sgpr_queue_ptr 0
		.amdhsa_user_sgpr_kernarg_segment_ptr 1
		.amdhsa_user_sgpr_dispatch_id 0
		.amdhsa_user_sgpr_kernarg_preload_length 0
		.amdhsa_user_sgpr_kernarg_preload_offset 0
		.amdhsa_user_sgpr_private_segment_size 0
		.amdhsa_uses_dynamic_stack 0
		.amdhsa_enable_private_segment 0
		.amdhsa_system_sgpr_workgroup_id_x 1
		.amdhsa_system_sgpr_workgroup_id_y 0
		.amdhsa_system_sgpr_workgroup_id_z 0
		.amdhsa_system_sgpr_workgroup_info 0
		.amdhsa_system_vgpr_workitem_id 0
		.amdhsa_next_free_vgpr 1
		.amdhsa_next_free_sgpr 0
		.amdhsa_accum_offset 4
		.amdhsa_reserve_vcc 0
		.amdhsa_float_round_mode_32 0
		.amdhsa_float_round_mode_16_64 0
		.amdhsa_float_denorm_mode_32 3
		.amdhsa_float_denorm_mode_16_64 3
		.amdhsa_dx10_clamp 1
		.amdhsa_ieee_mode 1
		.amdhsa_fp16_overflow 0
		.amdhsa_tg_split 0
		.amdhsa_exception_fp_ieee_invalid_op 0
		.amdhsa_exception_fp_denorm_src 0
		.amdhsa_exception_fp_ieee_div_zero 0
		.amdhsa_exception_fp_ieee_overflow 0
		.amdhsa_exception_fp_ieee_underflow 0
		.amdhsa_exception_fp_ieee_inexact 0
		.amdhsa_exception_int_div_zero 0
	.end_amdhsa_kernel
	.section	.text._ZN7rocprim17ROCPRIM_400000_NS6detail17trampoline_kernelINS0_14default_configENS1_25partition_config_selectorILNS1_17partition_subalgoE2EsNS0_10empty_typeEbEEZZNS1_14partition_implILS5_2ELb0ES3_jN6thrust23THRUST_200600_302600_NS6detail15normal_iteratorINSA_7pointerIsNSA_11hip_rocprim3tagENSA_11use_defaultESG_EEEEPS6_NSA_18transform_iteratorI7is_evenIsENSC_INSA_10device_ptrIsEEEESG_SG_EENS0_5tupleIJPsSJ_EEENSR_IJSJ_SJ_EEES6_PlJS6_EEE10hipError_tPvRmT3_T4_T5_T6_T7_T9_mT8_P12ihipStream_tbDpT10_ENKUlT_T0_E_clISt17integral_constantIbLb0EES1E_IbLb1EEEEDaS1A_S1B_EUlS1A_E_NS1_11comp_targetILNS1_3genE4ELNS1_11target_archE910ELNS1_3gpuE8ELNS1_3repE0EEENS1_30default_config_static_selectorELNS0_4arch9wavefront6targetE1EEEvT1_,"axG",@progbits,_ZN7rocprim17ROCPRIM_400000_NS6detail17trampoline_kernelINS0_14default_configENS1_25partition_config_selectorILNS1_17partition_subalgoE2EsNS0_10empty_typeEbEEZZNS1_14partition_implILS5_2ELb0ES3_jN6thrust23THRUST_200600_302600_NS6detail15normal_iteratorINSA_7pointerIsNSA_11hip_rocprim3tagENSA_11use_defaultESG_EEEEPS6_NSA_18transform_iteratorI7is_evenIsENSC_INSA_10device_ptrIsEEEESG_SG_EENS0_5tupleIJPsSJ_EEENSR_IJSJ_SJ_EEES6_PlJS6_EEE10hipError_tPvRmT3_T4_T5_T6_T7_T9_mT8_P12ihipStream_tbDpT10_ENKUlT_T0_E_clISt17integral_constantIbLb0EES1E_IbLb1EEEEDaS1A_S1B_EUlS1A_E_NS1_11comp_targetILNS1_3genE4ELNS1_11target_archE910ELNS1_3gpuE8ELNS1_3repE0EEENS1_30default_config_static_selectorELNS0_4arch9wavefront6targetE1EEEvT1_,comdat
.Lfunc_end282:
	.size	_ZN7rocprim17ROCPRIM_400000_NS6detail17trampoline_kernelINS0_14default_configENS1_25partition_config_selectorILNS1_17partition_subalgoE2EsNS0_10empty_typeEbEEZZNS1_14partition_implILS5_2ELb0ES3_jN6thrust23THRUST_200600_302600_NS6detail15normal_iteratorINSA_7pointerIsNSA_11hip_rocprim3tagENSA_11use_defaultESG_EEEEPS6_NSA_18transform_iteratorI7is_evenIsENSC_INSA_10device_ptrIsEEEESG_SG_EENS0_5tupleIJPsSJ_EEENSR_IJSJ_SJ_EEES6_PlJS6_EEE10hipError_tPvRmT3_T4_T5_T6_T7_T9_mT8_P12ihipStream_tbDpT10_ENKUlT_T0_E_clISt17integral_constantIbLb0EES1E_IbLb1EEEEDaS1A_S1B_EUlS1A_E_NS1_11comp_targetILNS1_3genE4ELNS1_11target_archE910ELNS1_3gpuE8ELNS1_3repE0EEENS1_30default_config_static_selectorELNS0_4arch9wavefront6targetE1EEEvT1_, .Lfunc_end282-_ZN7rocprim17ROCPRIM_400000_NS6detail17trampoline_kernelINS0_14default_configENS1_25partition_config_selectorILNS1_17partition_subalgoE2EsNS0_10empty_typeEbEEZZNS1_14partition_implILS5_2ELb0ES3_jN6thrust23THRUST_200600_302600_NS6detail15normal_iteratorINSA_7pointerIsNSA_11hip_rocprim3tagENSA_11use_defaultESG_EEEEPS6_NSA_18transform_iteratorI7is_evenIsENSC_INSA_10device_ptrIsEEEESG_SG_EENS0_5tupleIJPsSJ_EEENSR_IJSJ_SJ_EEES6_PlJS6_EEE10hipError_tPvRmT3_T4_T5_T6_T7_T9_mT8_P12ihipStream_tbDpT10_ENKUlT_T0_E_clISt17integral_constantIbLb0EES1E_IbLb1EEEEDaS1A_S1B_EUlS1A_E_NS1_11comp_targetILNS1_3genE4ELNS1_11target_archE910ELNS1_3gpuE8ELNS1_3repE0EEENS1_30default_config_static_selectorELNS0_4arch9wavefront6targetE1EEEvT1_
                                        ; -- End function
	.section	.AMDGPU.csdata,"",@progbits
; Kernel info:
; codeLenInByte = 0
; NumSgprs: 6
; NumVgprs: 0
; NumAgprs: 0
; TotalNumVgprs: 0
; ScratchSize: 0
; MemoryBound: 0
; FloatMode: 240
; IeeeMode: 1
; LDSByteSize: 0 bytes/workgroup (compile time only)
; SGPRBlocks: 0
; VGPRBlocks: 0
; NumSGPRsForWavesPerEU: 6
; NumVGPRsForWavesPerEU: 1
; AccumOffset: 4
; Occupancy: 8
; WaveLimiterHint : 0
; COMPUTE_PGM_RSRC2:SCRATCH_EN: 0
; COMPUTE_PGM_RSRC2:USER_SGPR: 2
; COMPUTE_PGM_RSRC2:TRAP_HANDLER: 0
; COMPUTE_PGM_RSRC2:TGID_X_EN: 1
; COMPUTE_PGM_RSRC2:TGID_Y_EN: 0
; COMPUTE_PGM_RSRC2:TGID_Z_EN: 0
; COMPUTE_PGM_RSRC2:TIDIG_COMP_CNT: 0
; COMPUTE_PGM_RSRC3_GFX90A:ACCUM_OFFSET: 0
; COMPUTE_PGM_RSRC3_GFX90A:TG_SPLIT: 0
	.section	.text._ZN7rocprim17ROCPRIM_400000_NS6detail17trampoline_kernelINS0_14default_configENS1_25partition_config_selectorILNS1_17partition_subalgoE2EsNS0_10empty_typeEbEEZZNS1_14partition_implILS5_2ELb0ES3_jN6thrust23THRUST_200600_302600_NS6detail15normal_iteratorINSA_7pointerIsNSA_11hip_rocprim3tagENSA_11use_defaultESG_EEEEPS6_NSA_18transform_iteratorI7is_evenIsENSC_INSA_10device_ptrIsEEEESG_SG_EENS0_5tupleIJPsSJ_EEENSR_IJSJ_SJ_EEES6_PlJS6_EEE10hipError_tPvRmT3_T4_T5_T6_T7_T9_mT8_P12ihipStream_tbDpT10_ENKUlT_T0_E_clISt17integral_constantIbLb0EES1E_IbLb1EEEEDaS1A_S1B_EUlS1A_E_NS1_11comp_targetILNS1_3genE3ELNS1_11target_archE908ELNS1_3gpuE7ELNS1_3repE0EEENS1_30default_config_static_selectorELNS0_4arch9wavefront6targetE1EEEvT1_,"axG",@progbits,_ZN7rocprim17ROCPRIM_400000_NS6detail17trampoline_kernelINS0_14default_configENS1_25partition_config_selectorILNS1_17partition_subalgoE2EsNS0_10empty_typeEbEEZZNS1_14partition_implILS5_2ELb0ES3_jN6thrust23THRUST_200600_302600_NS6detail15normal_iteratorINSA_7pointerIsNSA_11hip_rocprim3tagENSA_11use_defaultESG_EEEEPS6_NSA_18transform_iteratorI7is_evenIsENSC_INSA_10device_ptrIsEEEESG_SG_EENS0_5tupleIJPsSJ_EEENSR_IJSJ_SJ_EEES6_PlJS6_EEE10hipError_tPvRmT3_T4_T5_T6_T7_T9_mT8_P12ihipStream_tbDpT10_ENKUlT_T0_E_clISt17integral_constantIbLb0EES1E_IbLb1EEEEDaS1A_S1B_EUlS1A_E_NS1_11comp_targetILNS1_3genE3ELNS1_11target_archE908ELNS1_3gpuE7ELNS1_3repE0EEENS1_30default_config_static_selectorELNS0_4arch9wavefront6targetE1EEEvT1_,comdat
	.protected	_ZN7rocprim17ROCPRIM_400000_NS6detail17trampoline_kernelINS0_14default_configENS1_25partition_config_selectorILNS1_17partition_subalgoE2EsNS0_10empty_typeEbEEZZNS1_14partition_implILS5_2ELb0ES3_jN6thrust23THRUST_200600_302600_NS6detail15normal_iteratorINSA_7pointerIsNSA_11hip_rocprim3tagENSA_11use_defaultESG_EEEEPS6_NSA_18transform_iteratorI7is_evenIsENSC_INSA_10device_ptrIsEEEESG_SG_EENS0_5tupleIJPsSJ_EEENSR_IJSJ_SJ_EEES6_PlJS6_EEE10hipError_tPvRmT3_T4_T5_T6_T7_T9_mT8_P12ihipStream_tbDpT10_ENKUlT_T0_E_clISt17integral_constantIbLb0EES1E_IbLb1EEEEDaS1A_S1B_EUlS1A_E_NS1_11comp_targetILNS1_3genE3ELNS1_11target_archE908ELNS1_3gpuE7ELNS1_3repE0EEENS1_30default_config_static_selectorELNS0_4arch9wavefront6targetE1EEEvT1_ ; -- Begin function _ZN7rocprim17ROCPRIM_400000_NS6detail17trampoline_kernelINS0_14default_configENS1_25partition_config_selectorILNS1_17partition_subalgoE2EsNS0_10empty_typeEbEEZZNS1_14partition_implILS5_2ELb0ES3_jN6thrust23THRUST_200600_302600_NS6detail15normal_iteratorINSA_7pointerIsNSA_11hip_rocprim3tagENSA_11use_defaultESG_EEEEPS6_NSA_18transform_iteratorI7is_evenIsENSC_INSA_10device_ptrIsEEEESG_SG_EENS0_5tupleIJPsSJ_EEENSR_IJSJ_SJ_EEES6_PlJS6_EEE10hipError_tPvRmT3_T4_T5_T6_T7_T9_mT8_P12ihipStream_tbDpT10_ENKUlT_T0_E_clISt17integral_constantIbLb0EES1E_IbLb1EEEEDaS1A_S1B_EUlS1A_E_NS1_11comp_targetILNS1_3genE3ELNS1_11target_archE908ELNS1_3gpuE7ELNS1_3repE0EEENS1_30default_config_static_selectorELNS0_4arch9wavefront6targetE1EEEvT1_
	.globl	_ZN7rocprim17ROCPRIM_400000_NS6detail17trampoline_kernelINS0_14default_configENS1_25partition_config_selectorILNS1_17partition_subalgoE2EsNS0_10empty_typeEbEEZZNS1_14partition_implILS5_2ELb0ES3_jN6thrust23THRUST_200600_302600_NS6detail15normal_iteratorINSA_7pointerIsNSA_11hip_rocprim3tagENSA_11use_defaultESG_EEEEPS6_NSA_18transform_iteratorI7is_evenIsENSC_INSA_10device_ptrIsEEEESG_SG_EENS0_5tupleIJPsSJ_EEENSR_IJSJ_SJ_EEES6_PlJS6_EEE10hipError_tPvRmT3_T4_T5_T6_T7_T9_mT8_P12ihipStream_tbDpT10_ENKUlT_T0_E_clISt17integral_constantIbLb0EES1E_IbLb1EEEEDaS1A_S1B_EUlS1A_E_NS1_11comp_targetILNS1_3genE3ELNS1_11target_archE908ELNS1_3gpuE7ELNS1_3repE0EEENS1_30default_config_static_selectorELNS0_4arch9wavefront6targetE1EEEvT1_
	.p2align	8
	.type	_ZN7rocprim17ROCPRIM_400000_NS6detail17trampoline_kernelINS0_14default_configENS1_25partition_config_selectorILNS1_17partition_subalgoE2EsNS0_10empty_typeEbEEZZNS1_14partition_implILS5_2ELb0ES3_jN6thrust23THRUST_200600_302600_NS6detail15normal_iteratorINSA_7pointerIsNSA_11hip_rocprim3tagENSA_11use_defaultESG_EEEEPS6_NSA_18transform_iteratorI7is_evenIsENSC_INSA_10device_ptrIsEEEESG_SG_EENS0_5tupleIJPsSJ_EEENSR_IJSJ_SJ_EEES6_PlJS6_EEE10hipError_tPvRmT3_T4_T5_T6_T7_T9_mT8_P12ihipStream_tbDpT10_ENKUlT_T0_E_clISt17integral_constantIbLb0EES1E_IbLb1EEEEDaS1A_S1B_EUlS1A_E_NS1_11comp_targetILNS1_3genE3ELNS1_11target_archE908ELNS1_3gpuE7ELNS1_3repE0EEENS1_30default_config_static_selectorELNS0_4arch9wavefront6targetE1EEEvT1_,@function
_ZN7rocprim17ROCPRIM_400000_NS6detail17trampoline_kernelINS0_14default_configENS1_25partition_config_selectorILNS1_17partition_subalgoE2EsNS0_10empty_typeEbEEZZNS1_14partition_implILS5_2ELb0ES3_jN6thrust23THRUST_200600_302600_NS6detail15normal_iteratorINSA_7pointerIsNSA_11hip_rocprim3tagENSA_11use_defaultESG_EEEEPS6_NSA_18transform_iteratorI7is_evenIsENSC_INSA_10device_ptrIsEEEESG_SG_EENS0_5tupleIJPsSJ_EEENSR_IJSJ_SJ_EEES6_PlJS6_EEE10hipError_tPvRmT3_T4_T5_T6_T7_T9_mT8_P12ihipStream_tbDpT10_ENKUlT_T0_E_clISt17integral_constantIbLb0EES1E_IbLb1EEEEDaS1A_S1B_EUlS1A_E_NS1_11comp_targetILNS1_3genE3ELNS1_11target_archE908ELNS1_3gpuE7ELNS1_3repE0EEENS1_30default_config_static_selectorELNS0_4arch9wavefront6targetE1EEEvT1_: ; @_ZN7rocprim17ROCPRIM_400000_NS6detail17trampoline_kernelINS0_14default_configENS1_25partition_config_selectorILNS1_17partition_subalgoE2EsNS0_10empty_typeEbEEZZNS1_14partition_implILS5_2ELb0ES3_jN6thrust23THRUST_200600_302600_NS6detail15normal_iteratorINSA_7pointerIsNSA_11hip_rocprim3tagENSA_11use_defaultESG_EEEEPS6_NSA_18transform_iteratorI7is_evenIsENSC_INSA_10device_ptrIsEEEESG_SG_EENS0_5tupleIJPsSJ_EEENSR_IJSJ_SJ_EEES6_PlJS6_EEE10hipError_tPvRmT3_T4_T5_T6_T7_T9_mT8_P12ihipStream_tbDpT10_ENKUlT_T0_E_clISt17integral_constantIbLb0EES1E_IbLb1EEEEDaS1A_S1B_EUlS1A_E_NS1_11comp_targetILNS1_3genE3ELNS1_11target_archE908ELNS1_3gpuE7ELNS1_3repE0EEENS1_30default_config_static_selectorELNS0_4arch9wavefront6targetE1EEEvT1_
; %bb.0:
	.section	.rodata,"a",@progbits
	.p2align	6, 0x0
	.amdhsa_kernel _ZN7rocprim17ROCPRIM_400000_NS6detail17trampoline_kernelINS0_14default_configENS1_25partition_config_selectorILNS1_17partition_subalgoE2EsNS0_10empty_typeEbEEZZNS1_14partition_implILS5_2ELb0ES3_jN6thrust23THRUST_200600_302600_NS6detail15normal_iteratorINSA_7pointerIsNSA_11hip_rocprim3tagENSA_11use_defaultESG_EEEEPS6_NSA_18transform_iteratorI7is_evenIsENSC_INSA_10device_ptrIsEEEESG_SG_EENS0_5tupleIJPsSJ_EEENSR_IJSJ_SJ_EEES6_PlJS6_EEE10hipError_tPvRmT3_T4_T5_T6_T7_T9_mT8_P12ihipStream_tbDpT10_ENKUlT_T0_E_clISt17integral_constantIbLb0EES1E_IbLb1EEEEDaS1A_S1B_EUlS1A_E_NS1_11comp_targetILNS1_3genE3ELNS1_11target_archE908ELNS1_3gpuE7ELNS1_3repE0EEENS1_30default_config_static_selectorELNS0_4arch9wavefront6targetE1EEEvT1_
		.amdhsa_group_segment_fixed_size 0
		.amdhsa_private_segment_fixed_size 0
		.amdhsa_kernarg_size 144
		.amdhsa_user_sgpr_count 2
		.amdhsa_user_sgpr_dispatch_ptr 0
		.amdhsa_user_sgpr_queue_ptr 0
		.amdhsa_user_sgpr_kernarg_segment_ptr 1
		.amdhsa_user_sgpr_dispatch_id 0
		.amdhsa_user_sgpr_kernarg_preload_length 0
		.amdhsa_user_sgpr_kernarg_preload_offset 0
		.amdhsa_user_sgpr_private_segment_size 0
		.amdhsa_uses_dynamic_stack 0
		.amdhsa_enable_private_segment 0
		.amdhsa_system_sgpr_workgroup_id_x 1
		.amdhsa_system_sgpr_workgroup_id_y 0
		.amdhsa_system_sgpr_workgroup_id_z 0
		.amdhsa_system_sgpr_workgroup_info 0
		.amdhsa_system_vgpr_workitem_id 0
		.amdhsa_next_free_vgpr 1
		.amdhsa_next_free_sgpr 0
		.amdhsa_accum_offset 4
		.amdhsa_reserve_vcc 0
		.amdhsa_float_round_mode_32 0
		.amdhsa_float_round_mode_16_64 0
		.amdhsa_float_denorm_mode_32 3
		.amdhsa_float_denorm_mode_16_64 3
		.amdhsa_dx10_clamp 1
		.amdhsa_ieee_mode 1
		.amdhsa_fp16_overflow 0
		.amdhsa_tg_split 0
		.amdhsa_exception_fp_ieee_invalid_op 0
		.amdhsa_exception_fp_denorm_src 0
		.amdhsa_exception_fp_ieee_div_zero 0
		.amdhsa_exception_fp_ieee_overflow 0
		.amdhsa_exception_fp_ieee_underflow 0
		.amdhsa_exception_fp_ieee_inexact 0
		.amdhsa_exception_int_div_zero 0
	.end_amdhsa_kernel
	.section	.text._ZN7rocprim17ROCPRIM_400000_NS6detail17trampoline_kernelINS0_14default_configENS1_25partition_config_selectorILNS1_17partition_subalgoE2EsNS0_10empty_typeEbEEZZNS1_14partition_implILS5_2ELb0ES3_jN6thrust23THRUST_200600_302600_NS6detail15normal_iteratorINSA_7pointerIsNSA_11hip_rocprim3tagENSA_11use_defaultESG_EEEEPS6_NSA_18transform_iteratorI7is_evenIsENSC_INSA_10device_ptrIsEEEESG_SG_EENS0_5tupleIJPsSJ_EEENSR_IJSJ_SJ_EEES6_PlJS6_EEE10hipError_tPvRmT3_T4_T5_T6_T7_T9_mT8_P12ihipStream_tbDpT10_ENKUlT_T0_E_clISt17integral_constantIbLb0EES1E_IbLb1EEEEDaS1A_S1B_EUlS1A_E_NS1_11comp_targetILNS1_3genE3ELNS1_11target_archE908ELNS1_3gpuE7ELNS1_3repE0EEENS1_30default_config_static_selectorELNS0_4arch9wavefront6targetE1EEEvT1_,"axG",@progbits,_ZN7rocprim17ROCPRIM_400000_NS6detail17trampoline_kernelINS0_14default_configENS1_25partition_config_selectorILNS1_17partition_subalgoE2EsNS0_10empty_typeEbEEZZNS1_14partition_implILS5_2ELb0ES3_jN6thrust23THRUST_200600_302600_NS6detail15normal_iteratorINSA_7pointerIsNSA_11hip_rocprim3tagENSA_11use_defaultESG_EEEEPS6_NSA_18transform_iteratorI7is_evenIsENSC_INSA_10device_ptrIsEEEESG_SG_EENS0_5tupleIJPsSJ_EEENSR_IJSJ_SJ_EEES6_PlJS6_EEE10hipError_tPvRmT3_T4_T5_T6_T7_T9_mT8_P12ihipStream_tbDpT10_ENKUlT_T0_E_clISt17integral_constantIbLb0EES1E_IbLb1EEEEDaS1A_S1B_EUlS1A_E_NS1_11comp_targetILNS1_3genE3ELNS1_11target_archE908ELNS1_3gpuE7ELNS1_3repE0EEENS1_30default_config_static_selectorELNS0_4arch9wavefront6targetE1EEEvT1_,comdat
.Lfunc_end283:
	.size	_ZN7rocprim17ROCPRIM_400000_NS6detail17trampoline_kernelINS0_14default_configENS1_25partition_config_selectorILNS1_17partition_subalgoE2EsNS0_10empty_typeEbEEZZNS1_14partition_implILS5_2ELb0ES3_jN6thrust23THRUST_200600_302600_NS6detail15normal_iteratorINSA_7pointerIsNSA_11hip_rocprim3tagENSA_11use_defaultESG_EEEEPS6_NSA_18transform_iteratorI7is_evenIsENSC_INSA_10device_ptrIsEEEESG_SG_EENS0_5tupleIJPsSJ_EEENSR_IJSJ_SJ_EEES6_PlJS6_EEE10hipError_tPvRmT3_T4_T5_T6_T7_T9_mT8_P12ihipStream_tbDpT10_ENKUlT_T0_E_clISt17integral_constantIbLb0EES1E_IbLb1EEEEDaS1A_S1B_EUlS1A_E_NS1_11comp_targetILNS1_3genE3ELNS1_11target_archE908ELNS1_3gpuE7ELNS1_3repE0EEENS1_30default_config_static_selectorELNS0_4arch9wavefront6targetE1EEEvT1_, .Lfunc_end283-_ZN7rocprim17ROCPRIM_400000_NS6detail17trampoline_kernelINS0_14default_configENS1_25partition_config_selectorILNS1_17partition_subalgoE2EsNS0_10empty_typeEbEEZZNS1_14partition_implILS5_2ELb0ES3_jN6thrust23THRUST_200600_302600_NS6detail15normal_iteratorINSA_7pointerIsNSA_11hip_rocprim3tagENSA_11use_defaultESG_EEEEPS6_NSA_18transform_iteratorI7is_evenIsENSC_INSA_10device_ptrIsEEEESG_SG_EENS0_5tupleIJPsSJ_EEENSR_IJSJ_SJ_EEES6_PlJS6_EEE10hipError_tPvRmT3_T4_T5_T6_T7_T9_mT8_P12ihipStream_tbDpT10_ENKUlT_T0_E_clISt17integral_constantIbLb0EES1E_IbLb1EEEEDaS1A_S1B_EUlS1A_E_NS1_11comp_targetILNS1_3genE3ELNS1_11target_archE908ELNS1_3gpuE7ELNS1_3repE0EEENS1_30default_config_static_selectorELNS0_4arch9wavefront6targetE1EEEvT1_
                                        ; -- End function
	.section	.AMDGPU.csdata,"",@progbits
; Kernel info:
; codeLenInByte = 0
; NumSgprs: 6
; NumVgprs: 0
; NumAgprs: 0
; TotalNumVgprs: 0
; ScratchSize: 0
; MemoryBound: 0
; FloatMode: 240
; IeeeMode: 1
; LDSByteSize: 0 bytes/workgroup (compile time only)
; SGPRBlocks: 0
; VGPRBlocks: 0
; NumSGPRsForWavesPerEU: 6
; NumVGPRsForWavesPerEU: 1
; AccumOffset: 4
; Occupancy: 8
; WaveLimiterHint : 0
; COMPUTE_PGM_RSRC2:SCRATCH_EN: 0
; COMPUTE_PGM_RSRC2:USER_SGPR: 2
; COMPUTE_PGM_RSRC2:TRAP_HANDLER: 0
; COMPUTE_PGM_RSRC2:TGID_X_EN: 1
; COMPUTE_PGM_RSRC2:TGID_Y_EN: 0
; COMPUTE_PGM_RSRC2:TGID_Z_EN: 0
; COMPUTE_PGM_RSRC2:TIDIG_COMP_CNT: 0
; COMPUTE_PGM_RSRC3_GFX90A:ACCUM_OFFSET: 0
; COMPUTE_PGM_RSRC3_GFX90A:TG_SPLIT: 0
	.section	.text._ZN7rocprim17ROCPRIM_400000_NS6detail17trampoline_kernelINS0_14default_configENS1_25partition_config_selectorILNS1_17partition_subalgoE2EsNS0_10empty_typeEbEEZZNS1_14partition_implILS5_2ELb0ES3_jN6thrust23THRUST_200600_302600_NS6detail15normal_iteratorINSA_7pointerIsNSA_11hip_rocprim3tagENSA_11use_defaultESG_EEEEPS6_NSA_18transform_iteratorI7is_evenIsENSC_INSA_10device_ptrIsEEEESG_SG_EENS0_5tupleIJPsSJ_EEENSR_IJSJ_SJ_EEES6_PlJS6_EEE10hipError_tPvRmT3_T4_T5_T6_T7_T9_mT8_P12ihipStream_tbDpT10_ENKUlT_T0_E_clISt17integral_constantIbLb0EES1E_IbLb1EEEEDaS1A_S1B_EUlS1A_E_NS1_11comp_targetILNS1_3genE2ELNS1_11target_archE906ELNS1_3gpuE6ELNS1_3repE0EEENS1_30default_config_static_selectorELNS0_4arch9wavefront6targetE1EEEvT1_,"axG",@progbits,_ZN7rocprim17ROCPRIM_400000_NS6detail17trampoline_kernelINS0_14default_configENS1_25partition_config_selectorILNS1_17partition_subalgoE2EsNS0_10empty_typeEbEEZZNS1_14partition_implILS5_2ELb0ES3_jN6thrust23THRUST_200600_302600_NS6detail15normal_iteratorINSA_7pointerIsNSA_11hip_rocprim3tagENSA_11use_defaultESG_EEEEPS6_NSA_18transform_iteratorI7is_evenIsENSC_INSA_10device_ptrIsEEEESG_SG_EENS0_5tupleIJPsSJ_EEENSR_IJSJ_SJ_EEES6_PlJS6_EEE10hipError_tPvRmT3_T4_T5_T6_T7_T9_mT8_P12ihipStream_tbDpT10_ENKUlT_T0_E_clISt17integral_constantIbLb0EES1E_IbLb1EEEEDaS1A_S1B_EUlS1A_E_NS1_11comp_targetILNS1_3genE2ELNS1_11target_archE906ELNS1_3gpuE6ELNS1_3repE0EEENS1_30default_config_static_selectorELNS0_4arch9wavefront6targetE1EEEvT1_,comdat
	.protected	_ZN7rocprim17ROCPRIM_400000_NS6detail17trampoline_kernelINS0_14default_configENS1_25partition_config_selectorILNS1_17partition_subalgoE2EsNS0_10empty_typeEbEEZZNS1_14partition_implILS5_2ELb0ES3_jN6thrust23THRUST_200600_302600_NS6detail15normal_iteratorINSA_7pointerIsNSA_11hip_rocprim3tagENSA_11use_defaultESG_EEEEPS6_NSA_18transform_iteratorI7is_evenIsENSC_INSA_10device_ptrIsEEEESG_SG_EENS0_5tupleIJPsSJ_EEENSR_IJSJ_SJ_EEES6_PlJS6_EEE10hipError_tPvRmT3_T4_T5_T6_T7_T9_mT8_P12ihipStream_tbDpT10_ENKUlT_T0_E_clISt17integral_constantIbLb0EES1E_IbLb1EEEEDaS1A_S1B_EUlS1A_E_NS1_11comp_targetILNS1_3genE2ELNS1_11target_archE906ELNS1_3gpuE6ELNS1_3repE0EEENS1_30default_config_static_selectorELNS0_4arch9wavefront6targetE1EEEvT1_ ; -- Begin function _ZN7rocprim17ROCPRIM_400000_NS6detail17trampoline_kernelINS0_14default_configENS1_25partition_config_selectorILNS1_17partition_subalgoE2EsNS0_10empty_typeEbEEZZNS1_14partition_implILS5_2ELb0ES3_jN6thrust23THRUST_200600_302600_NS6detail15normal_iteratorINSA_7pointerIsNSA_11hip_rocprim3tagENSA_11use_defaultESG_EEEEPS6_NSA_18transform_iteratorI7is_evenIsENSC_INSA_10device_ptrIsEEEESG_SG_EENS0_5tupleIJPsSJ_EEENSR_IJSJ_SJ_EEES6_PlJS6_EEE10hipError_tPvRmT3_T4_T5_T6_T7_T9_mT8_P12ihipStream_tbDpT10_ENKUlT_T0_E_clISt17integral_constantIbLb0EES1E_IbLb1EEEEDaS1A_S1B_EUlS1A_E_NS1_11comp_targetILNS1_3genE2ELNS1_11target_archE906ELNS1_3gpuE6ELNS1_3repE0EEENS1_30default_config_static_selectorELNS0_4arch9wavefront6targetE1EEEvT1_
	.globl	_ZN7rocprim17ROCPRIM_400000_NS6detail17trampoline_kernelINS0_14default_configENS1_25partition_config_selectorILNS1_17partition_subalgoE2EsNS0_10empty_typeEbEEZZNS1_14partition_implILS5_2ELb0ES3_jN6thrust23THRUST_200600_302600_NS6detail15normal_iteratorINSA_7pointerIsNSA_11hip_rocprim3tagENSA_11use_defaultESG_EEEEPS6_NSA_18transform_iteratorI7is_evenIsENSC_INSA_10device_ptrIsEEEESG_SG_EENS0_5tupleIJPsSJ_EEENSR_IJSJ_SJ_EEES6_PlJS6_EEE10hipError_tPvRmT3_T4_T5_T6_T7_T9_mT8_P12ihipStream_tbDpT10_ENKUlT_T0_E_clISt17integral_constantIbLb0EES1E_IbLb1EEEEDaS1A_S1B_EUlS1A_E_NS1_11comp_targetILNS1_3genE2ELNS1_11target_archE906ELNS1_3gpuE6ELNS1_3repE0EEENS1_30default_config_static_selectorELNS0_4arch9wavefront6targetE1EEEvT1_
	.p2align	8
	.type	_ZN7rocprim17ROCPRIM_400000_NS6detail17trampoline_kernelINS0_14default_configENS1_25partition_config_selectorILNS1_17partition_subalgoE2EsNS0_10empty_typeEbEEZZNS1_14partition_implILS5_2ELb0ES3_jN6thrust23THRUST_200600_302600_NS6detail15normal_iteratorINSA_7pointerIsNSA_11hip_rocprim3tagENSA_11use_defaultESG_EEEEPS6_NSA_18transform_iteratorI7is_evenIsENSC_INSA_10device_ptrIsEEEESG_SG_EENS0_5tupleIJPsSJ_EEENSR_IJSJ_SJ_EEES6_PlJS6_EEE10hipError_tPvRmT3_T4_T5_T6_T7_T9_mT8_P12ihipStream_tbDpT10_ENKUlT_T0_E_clISt17integral_constantIbLb0EES1E_IbLb1EEEEDaS1A_S1B_EUlS1A_E_NS1_11comp_targetILNS1_3genE2ELNS1_11target_archE906ELNS1_3gpuE6ELNS1_3repE0EEENS1_30default_config_static_selectorELNS0_4arch9wavefront6targetE1EEEvT1_,@function
_ZN7rocprim17ROCPRIM_400000_NS6detail17trampoline_kernelINS0_14default_configENS1_25partition_config_selectorILNS1_17partition_subalgoE2EsNS0_10empty_typeEbEEZZNS1_14partition_implILS5_2ELb0ES3_jN6thrust23THRUST_200600_302600_NS6detail15normal_iteratorINSA_7pointerIsNSA_11hip_rocprim3tagENSA_11use_defaultESG_EEEEPS6_NSA_18transform_iteratorI7is_evenIsENSC_INSA_10device_ptrIsEEEESG_SG_EENS0_5tupleIJPsSJ_EEENSR_IJSJ_SJ_EEES6_PlJS6_EEE10hipError_tPvRmT3_T4_T5_T6_T7_T9_mT8_P12ihipStream_tbDpT10_ENKUlT_T0_E_clISt17integral_constantIbLb0EES1E_IbLb1EEEEDaS1A_S1B_EUlS1A_E_NS1_11comp_targetILNS1_3genE2ELNS1_11target_archE906ELNS1_3gpuE6ELNS1_3repE0EEENS1_30default_config_static_selectorELNS0_4arch9wavefront6targetE1EEEvT1_: ; @_ZN7rocprim17ROCPRIM_400000_NS6detail17trampoline_kernelINS0_14default_configENS1_25partition_config_selectorILNS1_17partition_subalgoE2EsNS0_10empty_typeEbEEZZNS1_14partition_implILS5_2ELb0ES3_jN6thrust23THRUST_200600_302600_NS6detail15normal_iteratorINSA_7pointerIsNSA_11hip_rocprim3tagENSA_11use_defaultESG_EEEEPS6_NSA_18transform_iteratorI7is_evenIsENSC_INSA_10device_ptrIsEEEESG_SG_EENS0_5tupleIJPsSJ_EEENSR_IJSJ_SJ_EEES6_PlJS6_EEE10hipError_tPvRmT3_T4_T5_T6_T7_T9_mT8_P12ihipStream_tbDpT10_ENKUlT_T0_E_clISt17integral_constantIbLb0EES1E_IbLb1EEEEDaS1A_S1B_EUlS1A_E_NS1_11comp_targetILNS1_3genE2ELNS1_11target_archE906ELNS1_3gpuE6ELNS1_3repE0EEENS1_30default_config_static_selectorELNS0_4arch9wavefront6targetE1EEEvT1_
; %bb.0:
	.section	.rodata,"a",@progbits
	.p2align	6, 0x0
	.amdhsa_kernel _ZN7rocprim17ROCPRIM_400000_NS6detail17trampoline_kernelINS0_14default_configENS1_25partition_config_selectorILNS1_17partition_subalgoE2EsNS0_10empty_typeEbEEZZNS1_14partition_implILS5_2ELb0ES3_jN6thrust23THRUST_200600_302600_NS6detail15normal_iteratorINSA_7pointerIsNSA_11hip_rocprim3tagENSA_11use_defaultESG_EEEEPS6_NSA_18transform_iteratorI7is_evenIsENSC_INSA_10device_ptrIsEEEESG_SG_EENS0_5tupleIJPsSJ_EEENSR_IJSJ_SJ_EEES6_PlJS6_EEE10hipError_tPvRmT3_T4_T5_T6_T7_T9_mT8_P12ihipStream_tbDpT10_ENKUlT_T0_E_clISt17integral_constantIbLb0EES1E_IbLb1EEEEDaS1A_S1B_EUlS1A_E_NS1_11comp_targetILNS1_3genE2ELNS1_11target_archE906ELNS1_3gpuE6ELNS1_3repE0EEENS1_30default_config_static_selectorELNS0_4arch9wavefront6targetE1EEEvT1_
		.amdhsa_group_segment_fixed_size 0
		.amdhsa_private_segment_fixed_size 0
		.amdhsa_kernarg_size 144
		.amdhsa_user_sgpr_count 2
		.amdhsa_user_sgpr_dispatch_ptr 0
		.amdhsa_user_sgpr_queue_ptr 0
		.amdhsa_user_sgpr_kernarg_segment_ptr 1
		.amdhsa_user_sgpr_dispatch_id 0
		.amdhsa_user_sgpr_kernarg_preload_length 0
		.amdhsa_user_sgpr_kernarg_preload_offset 0
		.amdhsa_user_sgpr_private_segment_size 0
		.amdhsa_uses_dynamic_stack 0
		.amdhsa_enable_private_segment 0
		.amdhsa_system_sgpr_workgroup_id_x 1
		.amdhsa_system_sgpr_workgroup_id_y 0
		.amdhsa_system_sgpr_workgroup_id_z 0
		.amdhsa_system_sgpr_workgroup_info 0
		.amdhsa_system_vgpr_workitem_id 0
		.amdhsa_next_free_vgpr 1
		.amdhsa_next_free_sgpr 0
		.amdhsa_accum_offset 4
		.amdhsa_reserve_vcc 0
		.amdhsa_float_round_mode_32 0
		.amdhsa_float_round_mode_16_64 0
		.amdhsa_float_denorm_mode_32 3
		.amdhsa_float_denorm_mode_16_64 3
		.amdhsa_dx10_clamp 1
		.amdhsa_ieee_mode 1
		.amdhsa_fp16_overflow 0
		.amdhsa_tg_split 0
		.amdhsa_exception_fp_ieee_invalid_op 0
		.amdhsa_exception_fp_denorm_src 0
		.amdhsa_exception_fp_ieee_div_zero 0
		.amdhsa_exception_fp_ieee_overflow 0
		.amdhsa_exception_fp_ieee_underflow 0
		.amdhsa_exception_fp_ieee_inexact 0
		.amdhsa_exception_int_div_zero 0
	.end_amdhsa_kernel
	.section	.text._ZN7rocprim17ROCPRIM_400000_NS6detail17trampoline_kernelINS0_14default_configENS1_25partition_config_selectorILNS1_17partition_subalgoE2EsNS0_10empty_typeEbEEZZNS1_14partition_implILS5_2ELb0ES3_jN6thrust23THRUST_200600_302600_NS6detail15normal_iteratorINSA_7pointerIsNSA_11hip_rocprim3tagENSA_11use_defaultESG_EEEEPS6_NSA_18transform_iteratorI7is_evenIsENSC_INSA_10device_ptrIsEEEESG_SG_EENS0_5tupleIJPsSJ_EEENSR_IJSJ_SJ_EEES6_PlJS6_EEE10hipError_tPvRmT3_T4_T5_T6_T7_T9_mT8_P12ihipStream_tbDpT10_ENKUlT_T0_E_clISt17integral_constantIbLb0EES1E_IbLb1EEEEDaS1A_S1B_EUlS1A_E_NS1_11comp_targetILNS1_3genE2ELNS1_11target_archE906ELNS1_3gpuE6ELNS1_3repE0EEENS1_30default_config_static_selectorELNS0_4arch9wavefront6targetE1EEEvT1_,"axG",@progbits,_ZN7rocprim17ROCPRIM_400000_NS6detail17trampoline_kernelINS0_14default_configENS1_25partition_config_selectorILNS1_17partition_subalgoE2EsNS0_10empty_typeEbEEZZNS1_14partition_implILS5_2ELb0ES3_jN6thrust23THRUST_200600_302600_NS6detail15normal_iteratorINSA_7pointerIsNSA_11hip_rocprim3tagENSA_11use_defaultESG_EEEEPS6_NSA_18transform_iteratorI7is_evenIsENSC_INSA_10device_ptrIsEEEESG_SG_EENS0_5tupleIJPsSJ_EEENSR_IJSJ_SJ_EEES6_PlJS6_EEE10hipError_tPvRmT3_T4_T5_T6_T7_T9_mT8_P12ihipStream_tbDpT10_ENKUlT_T0_E_clISt17integral_constantIbLb0EES1E_IbLb1EEEEDaS1A_S1B_EUlS1A_E_NS1_11comp_targetILNS1_3genE2ELNS1_11target_archE906ELNS1_3gpuE6ELNS1_3repE0EEENS1_30default_config_static_selectorELNS0_4arch9wavefront6targetE1EEEvT1_,comdat
.Lfunc_end284:
	.size	_ZN7rocprim17ROCPRIM_400000_NS6detail17trampoline_kernelINS0_14default_configENS1_25partition_config_selectorILNS1_17partition_subalgoE2EsNS0_10empty_typeEbEEZZNS1_14partition_implILS5_2ELb0ES3_jN6thrust23THRUST_200600_302600_NS6detail15normal_iteratorINSA_7pointerIsNSA_11hip_rocprim3tagENSA_11use_defaultESG_EEEEPS6_NSA_18transform_iteratorI7is_evenIsENSC_INSA_10device_ptrIsEEEESG_SG_EENS0_5tupleIJPsSJ_EEENSR_IJSJ_SJ_EEES6_PlJS6_EEE10hipError_tPvRmT3_T4_T5_T6_T7_T9_mT8_P12ihipStream_tbDpT10_ENKUlT_T0_E_clISt17integral_constantIbLb0EES1E_IbLb1EEEEDaS1A_S1B_EUlS1A_E_NS1_11comp_targetILNS1_3genE2ELNS1_11target_archE906ELNS1_3gpuE6ELNS1_3repE0EEENS1_30default_config_static_selectorELNS0_4arch9wavefront6targetE1EEEvT1_, .Lfunc_end284-_ZN7rocprim17ROCPRIM_400000_NS6detail17trampoline_kernelINS0_14default_configENS1_25partition_config_selectorILNS1_17partition_subalgoE2EsNS0_10empty_typeEbEEZZNS1_14partition_implILS5_2ELb0ES3_jN6thrust23THRUST_200600_302600_NS6detail15normal_iteratorINSA_7pointerIsNSA_11hip_rocprim3tagENSA_11use_defaultESG_EEEEPS6_NSA_18transform_iteratorI7is_evenIsENSC_INSA_10device_ptrIsEEEESG_SG_EENS0_5tupleIJPsSJ_EEENSR_IJSJ_SJ_EEES6_PlJS6_EEE10hipError_tPvRmT3_T4_T5_T6_T7_T9_mT8_P12ihipStream_tbDpT10_ENKUlT_T0_E_clISt17integral_constantIbLb0EES1E_IbLb1EEEEDaS1A_S1B_EUlS1A_E_NS1_11comp_targetILNS1_3genE2ELNS1_11target_archE906ELNS1_3gpuE6ELNS1_3repE0EEENS1_30default_config_static_selectorELNS0_4arch9wavefront6targetE1EEEvT1_
                                        ; -- End function
	.section	.AMDGPU.csdata,"",@progbits
; Kernel info:
; codeLenInByte = 0
; NumSgprs: 6
; NumVgprs: 0
; NumAgprs: 0
; TotalNumVgprs: 0
; ScratchSize: 0
; MemoryBound: 0
; FloatMode: 240
; IeeeMode: 1
; LDSByteSize: 0 bytes/workgroup (compile time only)
; SGPRBlocks: 0
; VGPRBlocks: 0
; NumSGPRsForWavesPerEU: 6
; NumVGPRsForWavesPerEU: 1
; AccumOffset: 4
; Occupancy: 8
; WaveLimiterHint : 0
; COMPUTE_PGM_RSRC2:SCRATCH_EN: 0
; COMPUTE_PGM_RSRC2:USER_SGPR: 2
; COMPUTE_PGM_RSRC2:TRAP_HANDLER: 0
; COMPUTE_PGM_RSRC2:TGID_X_EN: 1
; COMPUTE_PGM_RSRC2:TGID_Y_EN: 0
; COMPUTE_PGM_RSRC2:TGID_Z_EN: 0
; COMPUTE_PGM_RSRC2:TIDIG_COMP_CNT: 0
; COMPUTE_PGM_RSRC3_GFX90A:ACCUM_OFFSET: 0
; COMPUTE_PGM_RSRC3_GFX90A:TG_SPLIT: 0
	.section	.text._ZN7rocprim17ROCPRIM_400000_NS6detail17trampoline_kernelINS0_14default_configENS1_25partition_config_selectorILNS1_17partition_subalgoE2EsNS0_10empty_typeEbEEZZNS1_14partition_implILS5_2ELb0ES3_jN6thrust23THRUST_200600_302600_NS6detail15normal_iteratorINSA_7pointerIsNSA_11hip_rocprim3tagENSA_11use_defaultESG_EEEEPS6_NSA_18transform_iteratorI7is_evenIsENSC_INSA_10device_ptrIsEEEESG_SG_EENS0_5tupleIJPsSJ_EEENSR_IJSJ_SJ_EEES6_PlJS6_EEE10hipError_tPvRmT3_T4_T5_T6_T7_T9_mT8_P12ihipStream_tbDpT10_ENKUlT_T0_E_clISt17integral_constantIbLb0EES1E_IbLb1EEEEDaS1A_S1B_EUlS1A_E_NS1_11comp_targetILNS1_3genE10ELNS1_11target_archE1200ELNS1_3gpuE4ELNS1_3repE0EEENS1_30default_config_static_selectorELNS0_4arch9wavefront6targetE1EEEvT1_,"axG",@progbits,_ZN7rocprim17ROCPRIM_400000_NS6detail17trampoline_kernelINS0_14default_configENS1_25partition_config_selectorILNS1_17partition_subalgoE2EsNS0_10empty_typeEbEEZZNS1_14partition_implILS5_2ELb0ES3_jN6thrust23THRUST_200600_302600_NS6detail15normal_iteratorINSA_7pointerIsNSA_11hip_rocprim3tagENSA_11use_defaultESG_EEEEPS6_NSA_18transform_iteratorI7is_evenIsENSC_INSA_10device_ptrIsEEEESG_SG_EENS0_5tupleIJPsSJ_EEENSR_IJSJ_SJ_EEES6_PlJS6_EEE10hipError_tPvRmT3_T4_T5_T6_T7_T9_mT8_P12ihipStream_tbDpT10_ENKUlT_T0_E_clISt17integral_constantIbLb0EES1E_IbLb1EEEEDaS1A_S1B_EUlS1A_E_NS1_11comp_targetILNS1_3genE10ELNS1_11target_archE1200ELNS1_3gpuE4ELNS1_3repE0EEENS1_30default_config_static_selectorELNS0_4arch9wavefront6targetE1EEEvT1_,comdat
	.protected	_ZN7rocprim17ROCPRIM_400000_NS6detail17trampoline_kernelINS0_14default_configENS1_25partition_config_selectorILNS1_17partition_subalgoE2EsNS0_10empty_typeEbEEZZNS1_14partition_implILS5_2ELb0ES3_jN6thrust23THRUST_200600_302600_NS6detail15normal_iteratorINSA_7pointerIsNSA_11hip_rocprim3tagENSA_11use_defaultESG_EEEEPS6_NSA_18transform_iteratorI7is_evenIsENSC_INSA_10device_ptrIsEEEESG_SG_EENS0_5tupleIJPsSJ_EEENSR_IJSJ_SJ_EEES6_PlJS6_EEE10hipError_tPvRmT3_T4_T5_T6_T7_T9_mT8_P12ihipStream_tbDpT10_ENKUlT_T0_E_clISt17integral_constantIbLb0EES1E_IbLb1EEEEDaS1A_S1B_EUlS1A_E_NS1_11comp_targetILNS1_3genE10ELNS1_11target_archE1200ELNS1_3gpuE4ELNS1_3repE0EEENS1_30default_config_static_selectorELNS0_4arch9wavefront6targetE1EEEvT1_ ; -- Begin function _ZN7rocprim17ROCPRIM_400000_NS6detail17trampoline_kernelINS0_14default_configENS1_25partition_config_selectorILNS1_17partition_subalgoE2EsNS0_10empty_typeEbEEZZNS1_14partition_implILS5_2ELb0ES3_jN6thrust23THRUST_200600_302600_NS6detail15normal_iteratorINSA_7pointerIsNSA_11hip_rocprim3tagENSA_11use_defaultESG_EEEEPS6_NSA_18transform_iteratorI7is_evenIsENSC_INSA_10device_ptrIsEEEESG_SG_EENS0_5tupleIJPsSJ_EEENSR_IJSJ_SJ_EEES6_PlJS6_EEE10hipError_tPvRmT3_T4_T5_T6_T7_T9_mT8_P12ihipStream_tbDpT10_ENKUlT_T0_E_clISt17integral_constantIbLb0EES1E_IbLb1EEEEDaS1A_S1B_EUlS1A_E_NS1_11comp_targetILNS1_3genE10ELNS1_11target_archE1200ELNS1_3gpuE4ELNS1_3repE0EEENS1_30default_config_static_selectorELNS0_4arch9wavefront6targetE1EEEvT1_
	.globl	_ZN7rocprim17ROCPRIM_400000_NS6detail17trampoline_kernelINS0_14default_configENS1_25partition_config_selectorILNS1_17partition_subalgoE2EsNS0_10empty_typeEbEEZZNS1_14partition_implILS5_2ELb0ES3_jN6thrust23THRUST_200600_302600_NS6detail15normal_iteratorINSA_7pointerIsNSA_11hip_rocprim3tagENSA_11use_defaultESG_EEEEPS6_NSA_18transform_iteratorI7is_evenIsENSC_INSA_10device_ptrIsEEEESG_SG_EENS0_5tupleIJPsSJ_EEENSR_IJSJ_SJ_EEES6_PlJS6_EEE10hipError_tPvRmT3_T4_T5_T6_T7_T9_mT8_P12ihipStream_tbDpT10_ENKUlT_T0_E_clISt17integral_constantIbLb0EES1E_IbLb1EEEEDaS1A_S1B_EUlS1A_E_NS1_11comp_targetILNS1_3genE10ELNS1_11target_archE1200ELNS1_3gpuE4ELNS1_3repE0EEENS1_30default_config_static_selectorELNS0_4arch9wavefront6targetE1EEEvT1_
	.p2align	8
	.type	_ZN7rocprim17ROCPRIM_400000_NS6detail17trampoline_kernelINS0_14default_configENS1_25partition_config_selectorILNS1_17partition_subalgoE2EsNS0_10empty_typeEbEEZZNS1_14partition_implILS5_2ELb0ES3_jN6thrust23THRUST_200600_302600_NS6detail15normal_iteratorINSA_7pointerIsNSA_11hip_rocprim3tagENSA_11use_defaultESG_EEEEPS6_NSA_18transform_iteratorI7is_evenIsENSC_INSA_10device_ptrIsEEEESG_SG_EENS0_5tupleIJPsSJ_EEENSR_IJSJ_SJ_EEES6_PlJS6_EEE10hipError_tPvRmT3_T4_T5_T6_T7_T9_mT8_P12ihipStream_tbDpT10_ENKUlT_T0_E_clISt17integral_constantIbLb0EES1E_IbLb1EEEEDaS1A_S1B_EUlS1A_E_NS1_11comp_targetILNS1_3genE10ELNS1_11target_archE1200ELNS1_3gpuE4ELNS1_3repE0EEENS1_30default_config_static_selectorELNS0_4arch9wavefront6targetE1EEEvT1_,@function
_ZN7rocprim17ROCPRIM_400000_NS6detail17trampoline_kernelINS0_14default_configENS1_25partition_config_selectorILNS1_17partition_subalgoE2EsNS0_10empty_typeEbEEZZNS1_14partition_implILS5_2ELb0ES3_jN6thrust23THRUST_200600_302600_NS6detail15normal_iteratorINSA_7pointerIsNSA_11hip_rocprim3tagENSA_11use_defaultESG_EEEEPS6_NSA_18transform_iteratorI7is_evenIsENSC_INSA_10device_ptrIsEEEESG_SG_EENS0_5tupleIJPsSJ_EEENSR_IJSJ_SJ_EEES6_PlJS6_EEE10hipError_tPvRmT3_T4_T5_T6_T7_T9_mT8_P12ihipStream_tbDpT10_ENKUlT_T0_E_clISt17integral_constantIbLb0EES1E_IbLb1EEEEDaS1A_S1B_EUlS1A_E_NS1_11comp_targetILNS1_3genE10ELNS1_11target_archE1200ELNS1_3gpuE4ELNS1_3repE0EEENS1_30default_config_static_selectorELNS0_4arch9wavefront6targetE1EEEvT1_: ; @_ZN7rocprim17ROCPRIM_400000_NS6detail17trampoline_kernelINS0_14default_configENS1_25partition_config_selectorILNS1_17partition_subalgoE2EsNS0_10empty_typeEbEEZZNS1_14partition_implILS5_2ELb0ES3_jN6thrust23THRUST_200600_302600_NS6detail15normal_iteratorINSA_7pointerIsNSA_11hip_rocprim3tagENSA_11use_defaultESG_EEEEPS6_NSA_18transform_iteratorI7is_evenIsENSC_INSA_10device_ptrIsEEEESG_SG_EENS0_5tupleIJPsSJ_EEENSR_IJSJ_SJ_EEES6_PlJS6_EEE10hipError_tPvRmT3_T4_T5_T6_T7_T9_mT8_P12ihipStream_tbDpT10_ENKUlT_T0_E_clISt17integral_constantIbLb0EES1E_IbLb1EEEEDaS1A_S1B_EUlS1A_E_NS1_11comp_targetILNS1_3genE10ELNS1_11target_archE1200ELNS1_3gpuE4ELNS1_3repE0EEENS1_30default_config_static_selectorELNS0_4arch9wavefront6targetE1EEEvT1_
; %bb.0:
	.section	.rodata,"a",@progbits
	.p2align	6, 0x0
	.amdhsa_kernel _ZN7rocprim17ROCPRIM_400000_NS6detail17trampoline_kernelINS0_14default_configENS1_25partition_config_selectorILNS1_17partition_subalgoE2EsNS0_10empty_typeEbEEZZNS1_14partition_implILS5_2ELb0ES3_jN6thrust23THRUST_200600_302600_NS6detail15normal_iteratorINSA_7pointerIsNSA_11hip_rocprim3tagENSA_11use_defaultESG_EEEEPS6_NSA_18transform_iteratorI7is_evenIsENSC_INSA_10device_ptrIsEEEESG_SG_EENS0_5tupleIJPsSJ_EEENSR_IJSJ_SJ_EEES6_PlJS6_EEE10hipError_tPvRmT3_T4_T5_T6_T7_T9_mT8_P12ihipStream_tbDpT10_ENKUlT_T0_E_clISt17integral_constantIbLb0EES1E_IbLb1EEEEDaS1A_S1B_EUlS1A_E_NS1_11comp_targetILNS1_3genE10ELNS1_11target_archE1200ELNS1_3gpuE4ELNS1_3repE0EEENS1_30default_config_static_selectorELNS0_4arch9wavefront6targetE1EEEvT1_
		.amdhsa_group_segment_fixed_size 0
		.amdhsa_private_segment_fixed_size 0
		.amdhsa_kernarg_size 144
		.amdhsa_user_sgpr_count 2
		.amdhsa_user_sgpr_dispatch_ptr 0
		.amdhsa_user_sgpr_queue_ptr 0
		.amdhsa_user_sgpr_kernarg_segment_ptr 1
		.amdhsa_user_sgpr_dispatch_id 0
		.amdhsa_user_sgpr_kernarg_preload_length 0
		.amdhsa_user_sgpr_kernarg_preload_offset 0
		.amdhsa_user_sgpr_private_segment_size 0
		.amdhsa_uses_dynamic_stack 0
		.amdhsa_enable_private_segment 0
		.amdhsa_system_sgpr_workgroup_id_x 1
		.amdhsa_system_sgpr_workgroup_id_y 0
		.amdhsa_system_sgpr_workgroup_id_z 0
		.amdhsa_system_sgpr_workgroup_info 0
		.amdhsa_system_vgpr_workitem_id 0
		.amdhsa_next_free_vgpr 1
		.amdhsa_next_free_sgpr 0
		.amdhsa_accum_offset 4
		.amdhsa_reserve_vcc 0
		.amdhsa_float_round_mode_32 0
		.amdhsa_float_round_mode_16_64 0
		.amdhsa_float_denorm_mode_32 3
		.amdhsa_float_denorm_mode_16_64 3
		.amdhsa_dx10_clamp 1
		.amdhsa_ieee_mode 1
		.amdhsa_fp16_overflow 0
		.amdhsa_tg_split 0
		.amdhsa_exception_fp_ieee_invalid_op 0
		.amdhsa_exception_fp_denorm_src 0
		.amdhsa_exception_fp_ieee_div_zero 0
		.amdhsa_exception_fp_ieee_overflow 0
		.amdhsa_exception_fp_ieee_underflow 0
		.amdhsa_exception_fp_ieee_inexact 0
		.amdhsa_exception_int_div_zero 0
	.end_amdhsa_kernel
	.section	.text._ZN7rocprim17ROCPRIM_400000_NS6detail17trampoline_kernelINS0_14default_configENS1_25partition_config_selectorILNS1_17partition_subalgoE2EsNS0_10empty_typeEbEEZZNS1_14partition_implILS5_2ELb0ES3_jN6thrust23THRUST_200600_302600_NS6detail15normal_iteratorINSA_7pointerIsNSA_11hip_rocprim3tagENSA_11use_defaultESG_EEEEPS6_NSA_18transform_iteratorI7is_evenIsENSC_INSA_10device_ptrIsEEEESG_SG_EENS0_5tupleIJPsSJ_EEENSR_IJSJ_SJ_EEES6_PlJS6_EEE10hipError_tPvRmT3_T4_T5_T6_T7_T9_mT8_P12ihipStream_tbDpT10_ENKUlT_T0_E_clISt17integral_constantIbLb0EES1E_IbLb1EEEEDaS1A_S1B_EUlS1A_E_NS1_11comp_targetILNS1_3genE10ELNS1_11target_archE1200ELNS1_3gpuE4ELNS1_3repE0EEENS1_30default_config_static_selectorELNS0_4arch9wavefront6targetE1EEEvT1_,"axG",@progbits,_ZN7rocprim17ROCPRIM_400000_NS6detail17trampoline_kernelINS0_14default_configENS1_25partition_config_selectorILNS1_17partition_subalgoE2EsNS0_10empty_typeEbEEZZNS1_14partition_implILS5_2ELb0ES3_jN6thrust23THRUST_200600_302600_NS6detail15normal_iteratorINSA_7pointerIsNSA_11hip_rocprim3tagENSA_11use_defaultESG_EEEEPS6_NSA_18transform_iteratorI7is_evenIsENSC_INSA_10device_ptrIsEEEESG_SG_EENS0_5tupleIJPsSJ_EEENSR_IJSJ_SJ_EEES6_PlJS6_EEE10hipError_tPvRmT3_T4_T5_T6_T7_T9_mT8_P12ihipStream_tbDpT10_ENKUlT_T0_E_clISt17integral_constantIbLb0EES1E_IbLb1EEEEDaS1A_S1B_EUlS1A_E_NS1_11comp_targetILNS1_3genE10ELNS1_11target_archE1200ELNS1_3gpuE4ELNS1_3repE0EEENS1_30default_config_static_selectorELNS0_4arch9wavefront6targetE1EEEvT1_,comdat
.Lfunc_end285:
	.size	_ZN7rocprim17ROCPRIM_400000_NS6detail17trampoline_kernelINS0_14default_configENS1_25partition_config_selectorILNS1_17partition_subalgoE2EsNS0_10empty_typeEbEEZZNS1_14partition_implILS5_2ELb0ES3_jN6thrust23THRUST_200600_302600_NS6detail15normal_iteratorINSA_7pointerIsNSA_11hip_rocprim3tagENSA_11use_defaultESG_EEEEPS6_NSA_18transform_iteratorI7is_evenIsENSC_INSA_10device_ptrIsEEEESG_SG_EENS0_5tupleIJPsSJ_EEENSR_IJSJ_SJ_EEES6_PlJS6_EEE10hipError_tPvRmT3_T4_T5_T6_T7_T9_mT8_P12ihipStream_tbDpT10_ENKUlT_T0_E_clISt17integral_constantIbLb0EES1E_IbLb1EEEEDaS1A_S1B_EUlS1A_E_NS1_11comp_targetILNS1_3genE10ELNS1_11target_archE1200ELNS1_3gpuE4ELNS1_3repE0EEENS1_30default_config_static_selectorELNS0_4arch9wavefront6targetE1EEEvT1_, .Lfunc_end285-_ZN7rocprim17ROCPRIM_400000_NS6detail17trampoline_kernelINS0_14default_configENS1_25partition_config_selectorILNS1_17partition_subalgoE2EsNS0_10empty_typeEbEEZZNS1_14partition_implILS5_2ELb0ES3_jN6thrust23THRUST_200600_302600_NS6detail15normal_iteratorINSA_7pointerIsNSA_11hip_rocprim3tagENSA_11use_defaultESG_EEEEPS6_NSA_18transform_iteratorI7is_evenIsENSC_INSA_10device_ptrIsEEEESG_SG_EENS0_5tupleIJPsSJ_EEENSR_IJSJ_SJ_EEES6_PlJS6_EEE10hipError_tPvRmT3_T4_T5_T6_T7_T9_mT8_P12ihipStream_tbDpT10_ENKUlT_T0_E_clISt17integral_constantIbLb0EES1E_IbLb1EEEEDaS1A_S1B_EUlS1A_E_NS1_11comp_targetILNS1_3genE10ELNS1_11target_archE1200ELNS1_3gpuE4ELNS1_3repE0EEENS1_30default_config_static_selectorELNS0_4arch9wavefront6targetE1EEEvT1_
                                        ; -- End function
	.section	.AMDGPU.csdata,"",@progbits
; Kernel info:
; codeLenInByte = 0
; NumSgprs: 6
; NumVgprs: 0
; NumAgprs: 0
; TotalNumVgprs: 0
; ScratchSize: 0
; MemoryBound: 0
; FloatMode: 240
; IeeeMode: 1
; LDSByteSize: 0 bytes/workgroup (compile time only)
; SGPRBlocks: 0
; VGPRBlocks: 0
; NumSGPRsForWavesPerEU: 6
; NumVGPRsForWavesPerEU: 1
; AccumOffset: 4
; Occupancy: 8
; WaveLimiterHint : 0
; COMPUTE_PGM_RSRC2:SCRATCH_EN: 0
; COMPUTE_PGM_RSRC2:USER_SGPR: 2
; COMPUTE_PGM_RSRC2:TRAP_HANDLER: 0
; COMPUTE_PGM_RSRC2:TGID_X_EN: 1
; COMPUTE_PGM_RSRC2:TGID_Y_EN: 0
; COMPUTE_PGM_RSRC2:TGID_Z_EN: 0
; COMPUTE_PGM_RSRC2:TIDIG_COMP_CNT: 0
; COMPUTE_PGM_RSRC3_GFX90A:ACCUM_OFFSET: 0
; COMPUTE_PGM_RSRC3_GFX90A:TG_SPLIT: 0
	.section	.text._ZN7rocprim17ROCPRIM_400000_NS6detail17trampoline_kernelINS0_14default_configENS1_25partition_config_selectorILNS1_17partition_subalgoE2EsNS0_10empty_typeEbEEZZNS1_14partition_implILS5_2ELb0ES3_jN6thrust23THRUST_200600_302600_NS6detail15normal_iteratorINSA_7pointerIsNSA_11hip_rocprim3tagENSA_11use_defaultESG_EEEEPS6_NSA_18transform_iteratorI7is_evenIsENSC_INSA_10device_ptrIsEEEESG_SG_EENS0_5tupleIJPsSJ_EEENSR_IJSJ_SJ_EEES6_PlJS6_EEE10hipError_tPvRmT3_T4_T5_T6_T7_T9_mT8_P12ihipStream_tbDpT10_ENKUlT_T0_E_clISt17integral_constantIbLb0EES1E_IbLb1EEEEDaS1A_S1B_EUlS1A_E_NS1_11comp_targetILNS1_3genE9ELNS1_11target_archE1100ELNS1_3gpuE3ELNS1_3repE0EEENS1_30default_config_static_selectorELNS0_4arch9wavefront6targetE1EEEvT1_,"axG",@progbits,_ZN7rocprim17ROCPRIM_400000_NS6detail17trampoline_kernelINS0_14default_configENS1_25partition_config_selectorILNS1_17partition_subalgoE2EsNS0_10empty_typeEbEEZZNS1_14partition_implILS5_2ELb0ES3_jN6thrust23THRUST_200600_302600_NS6detail15normal_iteratorINSA_7pointerIsNSA_11hip_rocprim3tagENSA_11use_defaultESG_EEEEPS6_NSA_18transform_iteratorI7is_evenIsENSC_INSA_10device_ptrIsEEEESG_SG_EENS0_5tupleIJPsSJ_EEENSR_IJSJ_SJ_EEES6_PlJS6_EEE10hipError_tPvRmT3_T4_T5_T6_T7_T9_mT8_P12ihipStream_tbDpT10_ENKUlT_T0_E_clISt17integral_constantIbLb0EES1E_IbLb1EEEEDaS1A_S1B_EUlS1A_E_NS1_11comp_targetILNS1_3genE9ELNS1_11target_archE1100ELNS1_3gpuE3ELNS1_3repE0EEENS1_30default_config_static_selectorELNS0_4arch9wavefront6targetE1EEEvT1_,comdat
	.protected	_ZN7rocprim17ROCPRIM_400000_NS6detail17trampoline_kernelINS0_14default_configENS1_25partition_config_selectorILNS1_17partition_subalgoE2EsNS0_10empty_typeEbEEZZNS1_14partition_implILS5_2ELb0ES3_jN6thrust23THRUST_200600_302600_NS6detail15normal_iteratorINSA_7pointerIsNSA_11hip_rocprim3tagENSA_11use_defaultESG_EEEEPS6_NSA_18transform_iteratorI7is_evenIsENSC_INSA_10device_ptrIsEEEESG_SG_EENS0_5tupleIJPsSJ_EEENSR_IJSJ_SJ_EEES6_PlJS6_EEE10hipError_tPvRmT3_T4_T5_T6_T7_T9_mT8_P12ihipStream_tbDpT10_ENKUlT_T0_E_clISt17integral_constantIbLb0EES1E_IbLb1EEEEDaS1A_S1B_EUlS1A_E_NS1_11comp_targetILNS1_3genE9ELNS1_11target_archE1100ELNS1_3gpuE3ELNS1_3repE0EEENS1_30default_config_static_selectorELNS0_4arch9wavefront6targetE1EEEvT1_ ; -- Begin function _ZN7rocprim17ROCPRIM_400000_NS6detail17trampoline_kernelINS0_14default_configENS1_25partition_config_selectorILNS1_17partition_subalgoE2EsNS0_10empty_typeEbEEZZNS1_14partition_implILS5_2ELb0ES3_jN6thrust23THRUST_200600_302600_NS6detail15normal_iteratorINSA_7pointerIsNSA_11hip_rocprim3tagENSA_11use_defaultESG_EEEEPS6_NSA_18transform_iteratorI7is_evenIsENSC_INSA_10device_ptrIsEEEESG_SG_EENS0_5tupleIJPsSJ_EEENSR_IJSJ_SJ_EEES6_PlJS6_EEE10hipError_tPvRmT3_T4_T5_T6_T7_T9_mT8_P12ihipStream_tbDpT10_ENKUlT_T0_E_clISt17integral_constantIbLb0EES1E_IbLb1EEEEDaS1A_S1B_EUlS1A_E_NS1_11comp_targetILNS1_3genE9ELNS1_11target_archE1100ELNS1_3gpuE3ELNS1_3repE0EEENS1_30default_config_static_selectorELNS0_4arch9wavefront6targetE1EEEvT1_
	.globl	_ZN7rocprim17ROCPRIM_400000_NS6detail17trampoline_kernelINS0_14default_configENS1_25partition_config_selectorILNS1_17partition_subalgoE2EsNS0_10empty_typeEbEEZZNS1_14partition_implILS5_2ELb0ES3_jN6thrust23THRUST_200600_302600_NS6detail15normal_iteratorINSA_7pointerIsNSA_11hip_rocprim3tagENSA_11use_defaultESG_EEEEPS6_NSA_18transform_iteratorI7is_evenIsENSC_INSA_10device_ptrIsEEEESG_SG_EENS0_5tupleIJPsSJ_EEENSR_IJSJ_SJ_EEES6_PlJS6_EEE10hipError_tPvRmT3_T4_T5_T6_T7_T9_mT8_P12ihipStream_tbDpT10_ENKUlT_T0_E_clISt17integral_constantIbLb0EES1E_IbLb1EEEEDaS1A_S1B_EUlS1A_E_NS1_11comp_targetILNS1_3genE9ELNS1_11target_archE1100ELNS1_3gpuE3ELNS1_3repE0EEENS1_30default_config_static_selectorELNS0_4arch9wavefront6targetE1EEEvT1_
	.p2align	8
	.type	_ZN7rocprim17ROCPRIM_400000_NS6detail17trampoline_kernelINS0_14default_configENS1_25partition_config_selectorILNS1_17partition_subalgoE2EsNS0_10empty_typeEbEEZZNS1_14partition_implILS5_2ELb0ES3_jN6thrust23THRUST_200600_302600_NS6detail15normal_iteratorINSA_7pointerIsNSA_11hip_rocprim3tagENSA_11use_defaultESG_EEEEPS6_NSA_18transform_iteratorI7is_evenIsENSC_INSA_10device_ptrIsEEEESG_SG_EENS0_5tupleIJPsSJ_EEENSR_IJSJ_SJ_EEES6_PlJS6_EEE10hipError_tPvRmT3_T4_T5_T6_T7_T9_mT8_P12ihipStream_tbDpT10_ENKUlT_T0_E_clISt17integral_constantIbLb0EES1E_IbLb1EEEEDaS1A_S1B_EUlS1A_E_NS1_11comp_targetILNS1_3genE9ELNS1_11target_archE1100ELNS1_3gpuE3ELNS1_3repE0EEENS1_30default_config_static_selectorELNS0_4arch9wavefront6targetE1EEEvT1_,@function
_ZN7rocprim17ROCPRIM_400000_NS6detail17trampoline_kernelINS0_14default_configENS1_25partition_config_selectorILNS1_17partition_subalgoE2EsNS0_10empty_typeEbEEZZNS1_14partition_implILS5_2ELb0ES3_jN6thrust23THRUST_200600_302600_NS6detail15normal_iteratorINSA_7pointerIsNSA_11hip_rocprim3tagENSA_11use_defaultESG_EEEEPS6_NSA_18transform_iteratorI7is_evenIsENSC_INSA_10device_ptrIsEEEESG_SG_EENS0_5tupleIJPsSJ_EEENSR_IJSJ_SJ_EEES6_PlJS6_EEE10hipError_tPvRmT3_T4_T5_T6_T7_T9_mT8_P12ihipStream_tbDpT10_ENKUlT_T0_E_clISt17integral_constantIbLb0EES1E_IbLb1EEEEDaS1A_S1B_EUlS1A_E_NS1_11comp_targetILNS1_3genE9ELNS1_11target_archE1100ELNS1_3gpuE3ELNS1_3repE0EEENS1_30default_config_static_selectorELNS0_4arch9wavefront6targetE1EEEvT1_: ; @_ZN7rocprim17ROCPRIM_400000_NS6detail17trampoline_kernelINS0_14default_configENS1_25partition_config_selectorILNS1_17partition_subalgoE2EsNS0_10empty_typeEbEEZZNS1_14partition_implILS5_2ELb0ES3_jN6thrust23THRUST_200600_302600_NS6detail15normal_iteratorINSA_7pointerIsNSA_11hip_rocprim3tagENSA_11use_defaultESG_EEEEPS6_NSA_18transform_iteratorI7is_evenIsENSC_INSA_10device_ptrIsEEEESG_SG_EENS0_5tupleIJPsSJ_EEENSR_IJSJ_SJ_EEES6_PlJS6_EEE10hipError_tPvRmT3_T4_T5_T6_T7_T9_mT8_P12ihipStream_tbDpT10_ENKUlT_T0_E_clISt17integral_constantIbLb0EES1E_IbLb1EEEEDaS1A_S1B_EUlS1A_E_NS1_11comp_targetILNS1_3genE9ELNS1_11target_archE1100ELNS1_3gpuE3ELNS1_3repE0EEENS1_30default_config_static_selectorELNS0_4arch9wavefront6targetE1EEEvT1_
; %bb.0:
	.section	.rodata,"a",@progbits
	.p2align	6, 0x0
	.amdhsa_kernel _ZN7rocprim17ROCPRIM_400000_NS6detail17trampoline_kernelINS0_14default_configENS1_25partition_config_selectorILNS1_17partition_subalgoE2EsNS0_10empty_typeEbEEZZNS1_14partition_implILS5_2ELb0ES3_jN6thrust23THRUST_200600_302600_NS6detail15normal_iteratorINSA_7pointerIsNSA_11hip_rocprim3tagENSA_11use_defaultESG_EEEEPS6_NSA_18transform_iteratorI7is_evenIsENSC_INSA_10device_ptrIsEEEESG_SG_EENS0_5tupleIJPsSJ_EEENSR_IJSJ_SJ_EEES6_PlJS6_EEE10hipError_tPvRmT3_T4_T5_T6_T7_T9_mT8_P12ihipStream_tbDpT10_ENKUlT_T0_E_clISt17integral_constantIbLb0EES1E_IbLb1EEEEDaS1A_S1B_EUlS1A_E_NS1_11comp_targetILNS1_3genE9ELNS1_11target_archE1100ELNS1_3gpuE3ELNS1_3repE0EEENS1_30default_config_static_selectorELNS0_4arch9wavefront6targetE1EEEvT1_
		.amdhsa_group_segment_fixed_size 0
		.amdhsa_private_segment_fixed_size 0
		.amdhsa_kernarg_size 144
		.amdhsa_user_sgpr_count 2
		.amdhsa_user_sgpr_dispatch_ptr 0
		.amdhsa_user_sgpr_queue_ptr 0
		.amdhsa_user_sgpr_kernarg_segment_ptr 1
		.amdhsa_user_sgpr_dispatch_id 0
		.amdhsa_user_sgpr_kernarg_preload_length 0
		.amdhsa_user_sgpr_kernarg_preload_offset 0
		.amdhsa_user_sgpr_private_segment_size 0
		.amdhsa_uses_dynamic_stack 0
		.amdhsa_enable_private_segment 0
		.amdhsa_system_sgpr_workgroup_id_x 1
		.amdhsa_system_sgpr_workgroup_id_y 0
		.amdhsa_system_sgpr_workgroup_id_z 0
		.amdhsa_system_sgpr_workgroup_info 0
		.amdhsa_system_vgpr_workitem_id 0
		.amdhsa_next_free_vgpr 1
		.amdhsa_next_free_sgpr 0
		.amdhsa_accum_offset 4
		.amdhsa_reserve_vcc 0
		.amdhsa_float_round_mode_32 0
		.amdhsa_float_round_mode_16_64 0
		.amdhsa_float_denorm_mode_32 3
		.amdhsa_float_denorm_mode_16_64 3
		.amdhsa_dx10_clamp 1
		.amdhsa_ieee_mode 1
		.amdhsa_fp16_overflow 0
		.amdhsa_tg_split 0
		.amdhsa_exception_fp_ieee_invalid_op 0
		.amdhsa_exception_fp_denorm_src 0
		.amdhsa_exception_fp_ieee_div_zero 0
		.amdhsa_exception_fp_ieee_overflow 0
		.amdhsa_exception_fp_ieee_underflow 0
		.amdhsa_exception_fp_ieee_inexact 0
		.amdhsa_exception_int_div_zero 0
	.end_amdhsa_kernel
	.section	.text._ZN7rocprim17ROCPRIM_400000_NS6detail17trampoline_kernelINS0_14default_configENS1_25partition_config_selectorILNS1_17partition_subalgoE2EsNS0_10empty_typeEbEEZZNS1_14partition_implILS5_2ELb0ES3_jN6thrust23THRUST_200600_302600_NS6detail15normal_iteratorINSA_7pointerIsNSA_11hip_rocprim3tagENSA_11use_defaultESG_EEEEPS6_NSA_18transform_iteratorI7is_evenIsENSC_INSA_10device_ptrIsEEEESG_SG_EENS0_5tupleIJPsSJ_EEENSR_IJSJ_SJ_EEES6_PlJS6_EEE10hipError_tPvRmT3_T4_T5_T6_T7_T9_mT8_P12ihipStream_tbDpT10_ENKUlT_T0_E_clISt17integral_constantIbLb0EES1E_IbLb1EEEEDaS1A_S1B_EUlS1A_E_NS1_11comp_targetILNS1_3genE9ELNS1_11target_archE1100ELNS1_3gpuE3ELNS1_3repE0EEENS1_30default_config_static_selectorELNS0_4arch9wavefront6targetE1EEEvT1_,"axG",@progbits,_ZN7rocprim17ROCPRIM_400000_NS6detail17trampoline_kernelINS0_14default_configENS1_25partition_config_selectorILNS1_17partition_subalgoE2EsNS0_10empty_typeEbEEZZNS1_14partition_implILS5_2ELb0ES3_jN6thrust23THRUST_200600_302600_NS6detail15normal_iteratorINSA_7pointerIsNSA_11hip_rocprim3tagENSA_11use_defaultESG_EEEEPS6_NSA_18transform_iteratorI7is_evenIsENSC_INSA_10device_ptrIsEEEESG_SG_EENS0_5tupleIJPsSJ_EEENSR_IJSJ_SJ_EEES6_PlJS6_EEE10hipError_tPvRmT3_T4_T5_T6_T7_T9_mT8_P12ihipStream_tbDpT10_ENKUlT_T0_E_clISt17integral_constantIbLb0EES1E_IbLb1EEEEDaS1A_S1B_EUlS1A_E_NS1_11comp_targetILNS1_3genE9ELNS1_11target_archE1100ELNS1_3gpuE3ELNS1_3repE0EEENS1_30default_config_static_selectorELNS0_4arch9wavefront6targetE1EEEvT1_,comdat
.Lfunc_end286:
	.size	_ZN7rocprim17ROCPRIM_400000_NS6detail17trampoline_kernelINS0_14default_configENS1_25partition_config_selectorILNS1_17partition_subalgoE2EsNS0_10empty_typeEbEEZZNS1_14partition_implILS5_2ELb0ES3_jN6thrust23THRUST_200600_302600_NS6detail15normal_iteratorINSA_7pointerIsNSA_11hip_rocprim3tagENSA_11use_defaultESG_EEEEPS6_NSA_18transform_iteratorI7is_evenIsENSC_INSA_10device_ptrIsEEEESG_SG_EENS0_5tupleIJPsSJ_EEENSR_IJSJ_SJ_EEES6_PlJS6_EEE10hipError_tPvRmT3_T4_T5_T6_T7_T9_mT8_P12ihipStream_tbDpT10_ENKUlT_T0_E_clISt17integral_constantIbLb0EES1E_IbLb1EEEEDaS1A_S1B_EUlS1A_E_NS1_11comp_targetILNS1_3genE9ELNS1_11target_archE1100ELNS1_3gpuE3ELNS1_3repE0EEENS1_30default_config_static_selectorELNS0_4arch9wavefront6targetE1EEEvT1_, .Lfunc_end286-_ZN7rocprim17ROCPRIM_400000_NS6detail17trampoline_kernelINS0_14default_configENS1_25partition_config_selectorILNS1_17partition_subalgoE2EsNS0_10empty_typeEbEEZZNS1_14partition_implILS5_2ELb0ES3_jN6thrust23THRUST_200600_302600_NS6detail15normal_iteratorINSA_7pointerIsNSA_11hip_rocprim3tagENSA_11use_defaultESG_EEEEPS6_NSA_18transform_iteratorI7is_evenIsENSC_INSA_10device_ptrIsEEEESG_SG_EENS0_5tupleIJPsSJ_EEENSR_IJSJ_SJ_EEES6_PlJS6_EEE10hipError_tPvRmT3_T4_T5_T6_T7_T9_mT8_P12ihipStream_tbDpT10_ENKUlT_T0_E_clISt17integral_constantIbLb0EES1E_IbLb1EEEEDaS1A_S1B_EUlS1A_E_NS1_11comp_targetILNS1_3genE9ELNS1_11target_archE1100ELNS1_3gpuE3ELNS1_3repE0EEENS1_30default_config_static_selectorELNS0_4arch9wavefront6targetE1EEEvT1_
                                        ; -- End function
	.section	.AMDGPU.csdata,"",@progbits
; Kernel info:
; codeLenInByte = 0
; NumSgprs: 6
; NumVgprs: 0
; NumAgprs: 0
; TotalNumVgprs: 0
; ScratchSize: 0
; MemoryBound: 0
; FloatMode: 240
; IeeeMode: 1
; LDSByteSize: 0 bytes/workgroup (compile time only)
; SGPRBlocks: 0
; VGPRBlocks: 0
; NumSGPRsForWavesPerEU: 6
; NumVGPRsForWavesPerEU: 1
; AccumOffset: 4
; Occupancy: 8
; WaveLimiterHint : 0
; COMPUTE_PGM_RSRC2:SCRATCH_EN: 0
; COMPUTE_PGM_RSRC2:USER_SGPR: 2
; COMPUTE_PGM_RSRC2:TRAP_HANDLER: 0
; COMPUTE_PGM_RSRC2:TGID_X_EN: 1
; COMPUTE_PGM_RSRC2:TGID_Y_EN: 0
; COMPUTE_PGM_RSRC2:TGID_Z_EN: 0
; COMPUTE_PGM_RSRC2:TIDIG_COMP_CNT: 0
; COMPUTE_PGM_RSRC3_GFX90A:ACCUM_OFFSET: 0
; COMPUTE_PGM_RSRC3_GFX90A:TG_SPLIT: 0
	.section	.text._ZN7rocprim17ROCPRIM_400000_NS6detail17trampoline_kernelINS0_14default_configENS1_25partition_config_selectorILNS1_17partition_subalgoE2EsNS0_10empty_typeEbEEZZNS1_14partition_implILS5_2ELb0ES3_jN6thrust23THRUST_200600_302600_NS6detail15normal_iteratorINSA_7pointerIsNSA_11hip_rocprim3tagENSA_11use_defaultESG_EEEEPS6_NSA_18transform_iteratorI7is_evenIsENSC_INSA_10device_ptrIsEEEESG_SG_EENS0_5tupleIJPsSJ_EEENSR_IJSJ_SJ_EEES6_PlJS6_EEE10hipError_tPvRmT3_T4_T5_T6_T7_T9_mT8_P12ihipStream_tbDpT10_ENKUlT_T0_E_clISt17integral_constantIbLb0EES1E_IbLb1EEEEDaS1A_S1B_EUlS1A_E_NS1_11comp_targetILNS1_3genE8ELNS1_11target_archE1030ELNS1_3gpuE2ELNS1_3repE0EEENS1_30default_config_static_selectorELNS0_4arch9wavefront6targetE1EEEvT1_,"axG",@progbits,_ZN7rocprim17ROCPRIM_400000_NS6detail17trampoline_kernelINS0_14default_configENS1_25partition_config_selectorILNS1_17partition_subalgoE2EsNS0_10empty_typeEbEEZZNS1_14partition_implILS5_2ELb0ES3_jN6thrust23THRUST_200600_302600_NS6detail15normal_iteratorINSA_7pointerIsNSA_11hip_rocprim3tagENSA_11use_defaultESG_EEEEPS6_NSA_18transform_iteratorI7is_evenIsENSC_INSA_10device_ptrIsEEEESG_SG_EENS0_5tupleIJPsSJ_EEENSR_IJSJ_SJ_EEES6_PlJS6_EEE10hipError_tPvRmT3_T4_T5_T6_T7_T9_mT8_P12ihipStream_tbDpT10_ENKUlT_T0_E_clISt17integral_constantIbLb0EES1E_IbLb1EEEEDaS1A_S1B_EUlS1A_E_NS1_11comp_targetILNS1_3genE8ELNS1_11target_archE1030ELNS1_3gpuE2ELNS1_3repE0EEENS1_30default_config_static_selectorELNS0_4arch9wavefront6targetE1EEEvT1_,comdat
	.protected	_ZN7rocprim17ROCPRIM_400000_NS6detail17trampoline_kernelINS0_14default_configENS1_25partition_config_selectorILNS1_17partition_subalgoE2EsNS0_10empty_typeEbEEZZNS1_14partition_implILS5_2ELb0ES3_jN6thrust23THRUST_200600_302600_NS6detail15normal_iteratorINSA_7pointerIsNSA_11hip_rocprim3tagENSA_11use_defaultESG_EEEEPS6_NSA_18transform_iteratorI7is_evenIsENSC_INSA_10device_ptrIsEEEESG_SG_EENS0_5tupleIJPsSJ_EEENSR_IJSJ_SJ_EEES6_PlJS6_EEE10hipError_tPvRmT3_T4_T5_T6_T7_T9_mT8_P12ihipStream_tbDpT10_ENKUlT_T0_E_clISt17integral_constantIbLb0EES1E_IbLb1EEEEDaS1A_S1B_EUlS1A_E_NS1_11comp_targetILNS1_3genE8ELNS1_11target_archE1030ELNS1_3gpuE2ELNS1_3repE0EEENS1_30default_config_static_selectorELNS0_4arch9wavefront6targetE1EEEvT1_ ; -- Begin function _ZN7rocprim17ROCPRIM_400000_NS6detail17trampoline_kernelINS0_14default_configENS1_25partition_config_selectorILNS1_17partition_subalgoE2EsNS0_10empty_typeEbEEZZNS1_14partition_implILS5_2ELb0ES3_jN6thrust23THRUST_200600_302600_NS6detail15normal_iteratorINSA_7pointerIsNSA_11hip_rocprim3tagENSA_11use_defaultESG_EEEEPS6_NSA_18transform_iteratorI7is_evenIsENSC_INSA_10device_ptrIsEEEESG_SG_EENS0_5tupleIJPsSJ_EEENSR_IJSJ_SJ_EEES6_PlJS6_EEE10hipError_tPvRmT3_T4_T5_T6_T7_T9_mT8_P12ihipStream_tbDpT10_ENKUlT_T0_E_clISt17integral_constantIbLb0EES1E_IbLb1EEEEDaS1A_S1B_EUlS1A_E_NS1_11comp_targetILNS1_3genE8ELNS1_11target_archE1030ELNS1_3gpuE2ELNS1_3repE0EEENS1_30default_config_static_selectorELNS0_4arch9wavefront6targetE1EEEvT1_
	.globl	_ZN7rocprim17ROCPRIM_400000_NS6detail17trampoline_kernelINS0_14default_configENS1_25partition_config_selectorILNS1_17partition_subalgoE2EsNS0_10empty_typeEbEEZZNS1_14partition_implILS5_2ELb0ES3_jN6thrust23THRUST_200600_302600_NS6detail15normal_iteratorINSA_7pointerIsNSA_11hip_rocprim3tagENSA_11use_defaultESG_EEEEPS6_NSA_18transform_iteratorI7is_evenIsENSC_INSA_10device_ptrIsEEEESG_SG_EENS0_5tupleIJPsSJ_EEENSR_IJSJ_SJ_EEES6_PlJS6_EEE10hipError_tPvRmT3_T4_T5_T6_T7_T9_mT8_P12ihipStream_tbDpT10_ENKUlT_T0_E_clISt17integral_constantIbLb0EES1E_IbLb1EEEEDaS1A_S1B_EUlS1A_E_NS1_11comp_targetILNS1_3genE8ELNS1_11target_archE1030ELNS1_3gpuE2ELNS1_3repE0EEENS1_30default_config_static_selectorELNS0_4arch9wavefront6targetE1EEEvT1_
	.p2align	8
	.type	_ZN7rocprim17ROCPRIM_400000_NS6detail17trampoline_kernelINS0_14default_configENS1_25partition_config_selectorILNS1_17partition_subalgoE2EsNS0_10empty_typeEbEEZZNS1_14partition_implILS5_2ELb0ES3_jN6thrust23THRUST_200600_302600_NS6detail15normal_iteratorINSA_7pointerIsNSA_11hip_rocprim3tagENSA_11use_defaultESG_EEEEPS6_NSA_18transform_iteratorI7is_evenIsENSC_INSA_10device_ptrIsEEEESG_SG_EENS0_5tupleIJPsSJ_EEENSR_IJSJ_SJ_EEES6_PlJS6_EEE10hipError_tPvRmT3_T4_T5_T6_T7_T9_mT8_P12ihipStream_tbDpT10_ENKUlT_T0_E_clISt17integral_constantIbLb0EES1E_IbLb1EEEEDaS1A_S1B_EUlS1A_E_NS1_11comp_targetILNS1_3genE8ELNS1_11target_archE1030ELNS1_3gpuE2ELNS1_3repE0EEENS1_30default_config_static_selectorELNS0_4arch9wavefront6targetE1EEEvT1_,@function
_ZN7rocprim17ROCPRIM_400000_NS6detail17trampoline_kernelINS0_14default_configENS1_25partition_config_selectorILNS1_17partition_subalgoE2EsNS0_10empty_typeEbEEZZNS1_14partition_implILS5_2ELb0ES3_jN6thrust23THRUST_200600_302600_NS6detail15normal_iteratorINSA_7pointerIsNSA_11hip_rocprim3tagENSA_11use_defaultESG_EEEEPS6_NSA_18transform_iteratorI7is_evenIsENSC_INSA_10device_ptrIsEEEESG_SG_EENS0_5tupleIJPsSJ_EEENSR_IJSJ_SJ_EEES6_PlJS6_EEE10hipError_tPvRmT3_T4_T5_T6_T7_T9_mT8_P12ihipStream_tbDpT10_ENKUlT_T0_E_clISt17integral_constantIbLb0EES1E_IbLb1EEEEDaS1A_S1B_EUlS1A_E_NS1_11comp_targetILNS1_3genE8ELNS1_11target_archE1030ELNS1_3gpuE2ELNS1_3repE0EEENS1_30default_config_static_selectorELNS0_4arch9wavefront6targetE1EEEvT1_: ; @_ZN7rocprim17ROCPRIM_400000_NS6detail17trampoline_kernelINS0_14default_configENS1_25partition_config_selectorILNS1_17partition_subalgoE2EsNS0_10empty_typeEbEEZZNS1_14partition_implILS5_2ELb0ES3_jN6thrust23THRUST_200600_302600_NS6detail15normal_iteratorINSA_7pointerIsNSA_11hip_rocprim3tagENSA_11use_defaultESG_EEEEPS6_NSA_18transform_iteratorI7is_evenIsENSC_INSA_10device_ptrIsEEEESG_SG_EENS0_5tupleIJPsSJ_EEENSR_IJSJ_SJ_EEES6_PlJS6_EEE10hipError_tPvRmT3_T4_T5_T6_T7_T9_mT8_P12ihipStream_tbDpT10_ENKUlT_T0_E_clISt17integral_constantIbLb0EES1E_IbLb1EEEEDaS1A_S1B_EUlS1A_E_NS1_11comp_targetILNS1_3genE8ELNS1_11target_archE1030ELNS1_3gpuE2ELNS1_3repE0EEENS1_30default_config_static_selectorELNS0_4arch9wavefront6targetE1EEEvT1_
; %bb.0:
	.section	.rodata,"a",@progbits
	.p2align	6, 0x0
	.amdhsa_kernel _ZN7rocprim17ROCPRIM_400000_NS6detail17trampoline_kernelINS0_14default_configENS1_25partition_config_selectorILNS1_17partition_subalgoE2EsNS0_10empty_typeEbEEZZNS1_14partition_implILS5_2ELb0ES3_jN6thrust23THRUST_200600_302600_NS6detail15normal_iteratorINSA_7pointerIsNSA_11hip_rocprim3tagENSA_11use_defaultESG_EEEEPS6_NSA_18transform_iteratorI7is_evenIsENSC_INSA_10device_ptrIsEEEESG_SG_EENS0_5tupleIJPsSJ_EEENSR_IJSJ_SJ_EEES6_PlJS6_EEE10hipError_tPvRmT3_T4_T5_T6_T7_T9_mT8_P12ihipStream_tbDpT10_ENKUlT_T0_E_clISt17integral_constantIbLb0EES1E_IbLb1EEEEDaS1A_S1B_EUlS1A_E_NS1_11comp_targetILNS1_3genE8ELNS1_11target_archE1030ELNS1_3gpuE2ELNS1_3repE0EEENS1_30default_config_static_selectorELNS0_4arch9wavefront6targetE1EEEvT1_
		.amdhsa_group_segment_fixed_size 0
		.amdhsa_private_segment_fixed_size 0
		.amdhsa_kernarg_size 144
		.amdhsa_user_sgpr_count 2
		.amdhsa_user_sgpr_dispatch_ptr 0
		.amdhsa_user_sgpr_queue_ptr 0
		.amdhsa_user_sgpr_kernarg_segment_ptr 1
		.amdhsa_user_sgpr_dispatch_id 0
		.amdhsa_user_sgpr_kernarg_preload_length 0
		.amdhsa_user_sgpr_kernarg_preload_offset 0
		.amdhsa_user_sgpr_private_segment_size 0
		.amdhsa_uses_dynamic_stack 0
		.amdhsa_enable_private_segment 0
		.amdhsa_system_sgpr_workgroup_id_x 1
		.amdhsa_system_sgpr_workgroup_id_y 0
		.amdhsa_system_sgpr_workgroup_id_z 0
		.amdhsa_system_sgpr_workgroup_info 0
		.amdhsa_system_vgpr_workitem_id 0
		.amdhsa_next_free_vgpr 1
		.amdhsa_next_free_sgpr 0
		.amdhsa_accum_offset 4
		.amdhsa_reserve_vcc 0
		.amdhsa_float_round_mode_32 0
		.amdhsa_float_round_mode_16_64 0
		.amdhsa_float_denorm_mode_32 3
		.amdhsa_float_denorm_mode_16_64 3
		.amdhsa_dx10_clamp 1
		.amdhsa_ieee_mode 1
		.amdhsa_fp16_overflow 0
		.amdhsa_tg_split 0
		.amdhsa_exception_fp_ieee_invalid_op 0
		.amdhsa_exception_fp_denorm_src 0
		.amdhsa_exception_fp_ieee_div_zero 0
		.amdhsa_exception_fp_ieee_overflow 0
		.amdhsa_exception_fp_ieee_underflow 0
		.amdhsa_exception_fp_ieee_inexact 0
		.amdhsa_exception_int_div_zero 0
	.end_amdhsa_kernel
	.section	.text._ZN7rocprim17ROCPRIM_400000_NS6detail17trampoline_kernelINS0_14default_configENS1_25partition_config_selectorILNS1_17partition_subalgoE2EsNS0_10empty_typeEbEEZZNS1_14partition_implILS5_2ELb0ES3_jN6thrust23THRUST_200600_302600_NS6detail15normal_iteratorINSA_7pointerIsNSA_11hip_rocprim3tagENSA_11use_defaultESG_EEEEPS6_NSA_18transform_iteratorI7is_evenIsENSC_INSA_10device_ptrIsEEEESG_SG_EENS0_5tupleIJPsSJ_EEENSR_IJSJ_SJ_EEES6_PlJS6_EEE10hipError_tPvRmT3_T4_T5_T6_T7_T9_mT8_P12ihipStream_tbDpT10_ENKUlT_T0_E_clISt17integral_constantIbLb0EES1E_IbLb1EEEEDaS1A_S1B_EUlS1A_E_NS1_11comp_targetILNS1_3genE8ELNS1_11target_archE1030ELNS1_3gpuE2ELNS1_3repE0EEENS1_30default_config_static_selectorELNS0_4arch9wavefront6targetE1EEEvT1_,"axG",@progbits,_ZN7rocprim17ROCPRIM_400000_NS6detail17trampoline_kernelINS0_14default_configENS1_25partition_config_selectorILNS1_17partition_subalgoE2EsNS0_10empty_typeEbEEZZNS1_14partition_implILS5_2ELb0ES3_jN6thrust23THRUST_200600_302600_NS6detail15normal_iteratorINSA_7pointerIsNSA_11hip_rocprim3tagENSA_11use_defaultESG_EEEEPS6_NSA_18transform_iteratorI7is_evenIsENSC_INSA_10device_ptrIsEEEESG_SG_EENS0_5tupleIJPsSJ_EEENSR_IJSJ_SJ_EEES6_PlJS6_EEE10hipError_tPvRmT3_T4_T5_T6_T7_T9_mT8_P12ihipStream_tbDpT10_ENKUlT_T0_E_clISt17integral_constantIbLb0EES1E_IbLb1EEEEDaS1A_S1B_EUlS1A_E_NS1_11comp_targetILNS1_3genE8ELNS1_11target_archE1030ELNS1_3gpuE2ELNS1_3repE0EEENS1_30default_config_static_selectorELNS0_4arch9wavefront6targetE1EEEvT1_,comdat
.Lfunc_end287:
	.size	_ZN7rocprim17ROCPRIM_400000_NS6detail17trampoline_kernelINS0_14default_configENS1_25partition_config_selectorILNS1_17partition_subalgoE2EsNS0_10empty_typeEbEEZZNS1_14partition_implILS5_2ELb0ES3_jN6thrust23THRUST_200600_302600_NS6detail15normal_iteratorINSA_7pointerIsNSA_11hip_rocprim3tagENSA_11use_defaultESG_EEEEPS6_NSA_18transform_iteratorI7is_evenIsENSC_INSA_10device_ptrIsEEEESG_SG_EENS0_5tupleIJPsSJ_EEENSR_IJSJ_SJ_EEES6_PlJS6_EEE10hipError_tPvRmT3_T4_T5_T6_T7_T9_mT8_P12ihipStream_tbDpT10_ENKUlT_T0_E_clISt17integral_constantIbLb0EES1E_IbLb1EEEEDaS1A_S1B_EUlS1A_E_NS1_11comp_targetILNS1_3genE8ELNS1_11target_archE1030ELNS1_3gpuE2ELNS1_3repE0EEENS1_30default_config_static_selectorELNS0_4arch9wavefront6targetE1EEEvT1_, .Lfunc_end287-_ZN7rocprim17ROCPRIM_400000_NS6detail17trampoline_kernelINS0_14default_configENS1_25partition_config_selectorILNS1_17partition_subalgoE2EsNS0_10empty_typeEbEEZZNS1_14partition_implILS5_2ELb0ES3_jN6thrust23THRUST_200600_302600_NS6detail15normal_iteratorINSA_7pointerIsNSA_11hip_rocprim3tagENSA_11use_defaultESG_EEEEPS6_NSA_18transform_iteratorI7is_evenIsENSC_INSA_10device_ptrIsEEEESG_SG_EENS0_5tupleIJPsSJ_EEENSR_IJSJ_SJ_EEES6_PlJS6_EEE10hipError_tPvRmT3_T4_T5_T6_T7_T9_mT8_P12ihipStream_tbDpT10_ENKUlT_T0_E_clISt17integral_constantIbLb0EES1E_IbLb1EEEEDaS1A_S1B_EUlS1A_E_NS1_11comp_targetILNS1_3genE8ELNS1_11target_archE1030ELNS1_3gpuE2ELNS1_3repE0EEENS1_30default_config_static_selectorELNS0_4arch9wavefront6targetE1EEEvT1_
                                        ; -- End function
	.section	.AMDGPU.csdata,"",@progbits
; Kernel info:
; codeLenInByte = 0
; NumSgprs: 6
; NumVgprs: 0
; NumAgprs: 0
; TotalNumVgprs: 0
; ScratchSize: 0
; MemoryBound: 0
; FloatMode: 240
; IeeeMode: 1
; LDSByteSize: 0 bytes/workgroup (compile time only)
; SGPRBlocks: 0
; VGPRBlocks: 0
; NumSGPRsForWavesPerEU: 6
; NumVGPRsForWavesPerEU: 1
; AccumOffset: 4
; Occupancy: 8
; WaveLimiterHint : 0
; COMPUTE_PGM_RSRC2:SCRATCH_EN: 0
; COMPUTE_PGM_RSRC2:USER_SGPR: 2
; COMPUTE_PGM_RSRC2:TRAP_HANDLER: 0
; COMPUTE_PGM_RSRC2:TGID_X_EN: 1
; COMPUTE_PGM_RSRC2:TGID_Y_EN: 0
; COMPUTE_PGM_RSRC2:TGID_Z_EN: 0
; COMPUTE_PGM_RSRC2:TIDIG_COMP_CNT: 0
; COMPUTE_PGM_RSRC3_GFX90A:ACCUM_OFFSET: 0
; COMPUTE_PGM_RSRC3_GFX90A:TG_SPLIT: 0
	.section	.text._ZN6thrust23THRUST_200600_302600_NS11hip_rocprim14__parallel_for6kernelILj256ENS1_13__swap_ranges6swap_fINS0_6detail15normal_iteratorINS0_10device_ptrIsEEEENS0_16reverse_iteratorISA_EEEElLj1EEEvT0_T1_SF_,"axG",@progbits,_ZN6thrust23THRUST_200600_302600_NS11hip_rocprim14__parallel_for6kernelILj256ENS1_13__swap_ranges6swap_fINS0_6detail15normal_iteratorINS0_10device_ptrIsEEEENS0_16reverse_iteratorISA_EEEElLj1EEEvT0_T1_SF_,comdat
	.protected	_ZN6thrust23THRUST_200600_302600_NS11hip_rocprim14__parallel_for6kernelILj256ENS1_13__swap_ranges6swap_fINS0_6detail15normal_iteratorINS0_10device_ptrIsEEEENS0_16reverse_iteratorISA_EEEElLj1EEEvT0_T1_SF_ ; -- Begin function _ZN6thrust23THRUST_200600_302600_NS11hip_rocprim14__parallel_for6kernelILj256ENS1_13__swap_ranges6swap_fINS0_6detail15normal_iteratorINS0_10device_ptrIsEEEENS0_16reverse_iteratorISA_EEEElLj1EEEvT0_T1_SF_
	.globl	_ZN6thrust23THRUST_200600_302600_NS11hip_rocprim14__parallel_for6kernelILj256ENS1_13__swap_ranges6swap_fINS0_6detail15normal_iteratorINS0_10device_ptrIsEEEENS0_16reverse_iteratorISA_EEEElLj1EEEvT0_T1_SF_
	.p2align	8
	.type	_ZN6thrust23THRUST_200600_302600_NS11hip_rocprim14__parallel_for6kernelILj256ENS1_13__swap_ranges6swap_fINS0_6detail15normal_iteratorINS0_10device_ptrIsEEEENS0_16reverse_iteratorISA_EEEElLj1EEEvT0_T1_SF_,@function
_ZN6thrust23THRUST_200600_302600_NS11hip_rocprim14__parallel_for6kernelILj256ENS1_13__swap_ranges6swap_fINS0_6detail15normal_iteratorINS0_10device_ptrIsEEEENS0_16reverse_iteratorISA_EEEElLj1EEEvT0_T1_SF_: ; @_ZN6thrust23THRUST_200600_302600_NS11hip_rocprim14__parallel_for6kernelILj256ENS1_13__swap_ranges6swap_fINS0_6detail15normal_iteratorINS0_10device_ptrIsEEEENS0_16reverse_iteratorISA_EEEElLj1EEEvT0_T1_SF_
; %bb.0:
	s_load_dwordx8 s[4:11], s[0:1], 0x0
	s_lshl_b32 s0, s2, 8
	v_mov_b64_e32 v[2:3], 0x100
	s_waitcnt lgkmcnt(0)
	s_add_u32 s0, s0, s10
	s_addc_u32 s1, 0, s11
	s_sub_u32 s2, s8, s0
	s_subb_u32 s3, s9, s1
	v_cmp_lt_i64_e32 vcc, s[2:3], v[2:3]
	s_and_b64 s[8:9], vcc, exec
	s_cselect_b32 s8, s2, 0x100
	s_cmpk_lg_i32 s8, 0x100
	s_mov_b64 s[2:3], -1
	s_cbranch_scc1 .LBB288_3
; %bb.1:
	s_andn2_b64 vcc, exec, s[2:3]
	s_cbranch_vccz .LBB288_6
.LBB288_2:
	s_endpgm
.LBB288_3:
	v_cmp_gt_u32_e32 vcc, s8, v0
	s_and_saveexec_b64 s[2:3], vcc
	s_cbranch_execz .LBB288_5
; %bb.4:
	v_mov_b32_e32 v1, 0
	v_lshl_add_u64 v[2:3], s[0:1], 0, v[0:1]
	v_lshlrev_b64 v[2:3], 1, v[2:3]
	v_mov_b32_e32 v1, s7
	v_sub_co_u32_e32 v4, vcc, s6, v2
	s_nop 1
	v_subb_co_u32_e32 v1, vcc, v1, v3, vcc
	v_add_co_u32_e32 v4, vcc, -2, v4
	v_lshl_add_u64 v[2:3], s[4:5], 0, v[2:3]
	s_nop 0
	v_addc_co_u32_e32 v5, vcc, -1, v1, vcc
	flat_load_ushort v1, v[4:5]
	flat_load_ushort v6, v[2:3]
	s_waitcnt vmcnt(0) lgkmcnt(0)
	flat_store_short v[2:3], v1
	flat_store_short v[4:5], v6
.LBB288_5:
	s_or_b64 exec, exec, s[2:3]
	s_cbranch_execnz .LBB288_2
.LBB288_6:
	v_mov_b32_e32 v1, 0
	v_lshl_add_u64 v[0:1], s[0:1], 0, v[0:1]
	v_lshlrev_b64 v[0:1], 1, v[0:1]
	v_lshl_add_u64 v[2:3], s[4:5], 0, v[0:1]
	v_mov_b32_e32 v4, s7
	v_sub_co_u32_e32 v0, vcc, s6, v0
	s_nop 1
	v_subb_co_u32_e32 v1, vcc, v4, v1, vcc
	v_add_co_u32_e32 v0, vcc, -2, v0
	s_nop 1
	v_addc_co_u32_e32 v1, vcc, -1, v1, vcc
	flat_load_ushort v4, v[0:1]
	flat_load_ushort v5, v[2:3]
	s_waitcnt vmcnt(0) lgkmcnt(0)
	flat_store_short v[2:3], v4
	flat_store_short v[0:1], v5
	s_endpgm
	.section	.rodata,"a",@progbits
	.p2align	6, 0x0
	.amdhsa_kernel _ZN6thrust23THRUST_200600_302600_NS11hip_rocprim14__parallel_for6kernelILj256ENS1_13__swap_ranges6swap_fINS0_6detail15normal_iteratorINS0_10device_ptrIsEEEENS0_16reverse_iteratorISA_EEEElLj1EEEvT0_T1_SF_
		.amdhsa_group_segment_fixed_size 0
		.amdhsa_private_segment_fixed_size 0
		.amdhsa_kernarg_size 32
		.amdhsa_user_sgpr_count 2
		.amdhsa_user_sgpr_dispatch_ptr 0
		.amdhsa_user_sgpr_queue_ptr 0
		.amdhsa_user_sgpr_kernarg_segment_ptr 1
		.amdhsa_user_sgpr_dispatch_id 0
		.amdhsa_user_sgpr_kernarg_preload_length 0
		.amdhsa_user_sgpr_kernarg_preload_offset 0
		.amdhsa_user_sgpr_private_segment_size 0
		.amdhsa_uses_dynamic_stack 0
		.amdhsa_enable_private_segment 0
		.amdhsa_system_sgpr_workgroup_id_x 1
		.amdhsa_system_sgpr_workgroup_id_y 0
		.amdhsa_system_sgpr_workgroup_id_z 0
		.amdhsa_system_sgpr_workgroup_info 0
		.amdhsa_system_vgpr_workitem_id 0
		.amdhsa_next_free_vgpr 7
		.amdhsa_next_free_sgpr 12
		.amdhsa_accum_offset 8
		.amdhsa_reserve_vcc 1
		.amdhsa_float_round_mode_32 0
		.amdhsa_float_round_mode_16_64 0
		.amdhsa_float_denorm_mode_32 3
		.amdhsa_float_denorm_mode_16_64 3
		.amdhsa_dx10_clamp 1
		.amdhsa_ieee_mode 1
		.amdhsa_fp16_overflow 0
		.amdhsa_tg_split 0
		.amdhsa_exception_fp_ieee_invalid_op 0
		.amdhsa_exception_fp_denorm_src 0
		.amdhsa_exception_fp_ieee_div_zero 0
		.amdhsa_exception_fp_ieee_overflow 0
		.amdhsa_exception_fp_ieee_underflow 0
		.amdhsa_exception_fp_ieee_inexact 0
		.amdhsa_exception_int_div_zero 0
	.end_amdhsa_kernel
	.section	.text._ZN6thrust23THRUST_200600_302600_NS11hip_rocprim14__parallel_for6kernelILj256ENS1_13__swap_ranges6swap_fINS0_6detail15normal_iteratorINS0_10device_ptrIsEEEENS0_16reverse_iteratorISA_EEEElLj1EEEvT0_T1_SF_,"axG",@progbits,_ZN6thrust23THRUST_200600_302600_NS11hip_rocprim14__parallel_for6kernelILj256ENS1_13__swap_ranges6swap_fINS0_6detail15normal_iteratorINS0_10device_ptrIsEEEENS0_16reverse_iteratorISA_EEEElLj1EEEvT0_T1_SF_,comdat
.Lfunc_end288:
	.size	_ZN6thrust23THRUST_200600_302600_NS11hip_rocprim14__parallel_for6kernelILj256ENS1_13__swap_ranges6swap_fINS0_6detail15normal_iteratorINS0_10device_ptrIsEEEENS0_16reverse_iteratorISA_EEEElLj1EEEvT0_T1_SF_, .Lfunc_end288-_ZN6thrust23THRUST_200600_302600_NS11hip_rocprim14__parallel_for6kernelILj256ENS1_13__swap_ranges6swap_fINS0_6detail15normal_iteratorINS0_10device_ptrIsEEEENS0_16reverse_iteratorISA_EEEElLj1EEEvT0_T1_SF_
                                        ; -- End function
	.section	.AMDGPU.csdata,"",@progbits
; Kernel info:
; codeLenInByte = 288
; NumSgprs: 18
; NumVgprs: 7
; NumAgprs: 0
; TotalNumVgprs: 7
; ScratchSize: 0
; MemoryBound: 0
; FloatMode: 240
; IeeeMode: 1
; LDSByteSize: 0 bytes/workgroup (compile time only)
; SGPRBlocks: 2
; VGPRBlocks: 0
; NumSGPRsForWavesPerEU: 18
; NumVGPRsForWavesPerEU: 7
; AccumOffset: 8
; Occupancy: 8
; WaveLimiterHint : 0
; COMPUTE_PGM_RSRC2:SCRATCH_EN: 0
; COMPUTE_PGM_RSRC2:USER_SGPR: 2
; COMPUTE_PGM_RSRC2:TRAP_HANDLER: 0
; COMPUTE_PGM_RSRC2:TGID_X_EN: 1
; COMPUTE_PGM_RSRC2:TGID_Y_EN: 0
; COMPUTE_PGM_RSRC2:TGID_Z_EN: 0
; COMPUTE_PGM_RSRC2:TIDIG_COMP_CNT: 0
; COMPUTE_PGM_RSRC3_GFX90A:ACCUM_OFFSET: 1
; COMPUTE_PGM_RSRC3_GFX90A:TG_SPLIT: 0
	.section	.text._ZN7rocprim17ROCPRIM_400000_NS6detail17trampoline_kernelINS0_14default_configENS1_25partition_config_selectorILNS1_17partition_subalgoE0ExNS0_10empty_typeEbEEZZNS1_14partition_implILS5_0ELb0ES3_jN6thrust23THRUST_200600_302600_NS6detail15normal_iteratorINSA_10device_ptrIxEEEEPS6_SG_NS0_5tupleIJSF_SF_EEENSH_IJSG_SG_EEES6_PlJ7is_evenIxEEEE10hipError_tPvRmT3_T4_T5_T6_T7_T9_mT8_P12ihipStream_tbDpT10_ENKUlT_T0_E_clISt17integral_constantIbLb0EES16_EEDaS11_S12_EUlS11_E_NS1_11comp_targetILNS1_3genE0ELNS1_11target_archE4294967295ELNS1_3gpuE0ELNS1_3repE0EEENS1_30default_config_static_selectorELNS0_4arch9wavefront6targetE1EEEvT1_,"axG",@progbits,_ZN7rocprim17ROCPRIM_400000_NS6detail17trampoline_kernelINS0_14default_configENS1_25partition_config_selectorILNS1_17partition_subalgoE0ExNS0_10empty_typeEbEEZZNS1_14partition_implILS5_0ELb0ES3_jN6thrust23THRUST_200600_302600_NS6detail15normal_iteratorINSA_10device_ptrIxEEEEPS6_SG_NS0_5tupleIJSF_SF_EEENSH_IJSG_SG_EEES6_PlJ7is_evenIxEEEE10hipError_tPvRmT3_T4_T5_T6_T7_T9_mT8_P12ihipStream_tbDpT10_ENKUlT_T0_E_clISt17integral_constantIbLb0EES16_EEDaS11_S12_EUlS11_E_NS1_11comp_targetILNS1_3genE0ELNS1_11target_archE4294967295ELNS1_3gpuE0ELNS1_3repE0EEENS1_30default_config_static_selectorELNS0_4arch9wavefront6targetE1EEEvT1_,comdat
	.protected	_ZN7rocprim17ROCPRIM_400000_NS6detail17trampoline_kernelINS0_14default_configENS1_25partition_config_selectorILNS1_17partition_subalgoE0ExNS0_10empty_typeEbEEZZNS1_14partition_implILS5_0ELb0ES3_jN6thrust23THRUST_200600_302600_NS6detail15normal_iteratorINSA_10device_ptrIxEEEEPS6_SG_NS0_5tupleIJSF_SF_EEENSH_IJSG_SG_EEES6_PlJ7is_evenIxEEEE10hipError_tPvRmT3_T4_T5_T6_T7_T9_mT8_P12ihipStream_tbDpT10_ENKUlT_T0_E_clISt17integral_constantIbLb0EES16_EEDaS11_S12_EUlS11_E_NS1_11comp_targetILNS1_3genE0ELNS1_11target_archE4294967295ELNS1_3gpuE0ELNS1_3repE0EEENS1_30default_config_static_selectorELNS0_4arch9wavefront6targetE1EEEvT1_ ; -- Begin function _ZN7rocprim17ROCPRIM_400000_NS6detail17trampoline_kernelINS0_14default_configENS1_25partition_config_selectorILNS1_17partition_subalgoE0ExNS0_10empty_typeEbEEZZNS1_14partition_implILS5_0ELb0ES3_jN6thrust23THRUST_200600_302600_NS6detail15normal_iteratorINSA_10device_ptrIxEEEEPS6_SG_NS0_5tupleIJSF_SF_EEENSH_IJSG_SG_EEES6_PlJ7is_evenIxEEEE10hipError_tPvRmT3_T4_T5_T6_T7_T9_mT8_P12ihipStream_tbDpT10_ENKUlT_T0_E_clISt17integral_constantIbLb0EES16_EEDaS11_S12_EUlS11_E_NS1_11comp_targetILNS1_3genE0ELNS1_11target_archE4294967295ELNS1_3gpuE0ELNS1_3repE0EEENS1_30default_config_static_selectorELNS0_4arch9wavefront6targetE1EEEvT1_
	.globl	_ZN7rocprim17ROCPRIM_400000_NS6detail17trampoline_kernelINS0_14default_configENS1_25partition_config_selectorILNS1_17partition_subalgoE0ExNS0_10empty_typeEbEEZZNS1_14partition_implILS5_0ELb0ES3_jN6thrust23THRUST_200600_302600_NS6detail15normal_iteratorINSA_10device_ptrIxEEEEPS6_SG_NS0_5tupleIJSF_SF_EEENSH_IJSG_SG_EEES6_PlJ7is_evenIxEEEE10hipError_tPvRmT3_T4_T5_T6_T7_T9_mT8_P12ihipStream_tbDpT10_ENKUlT_T0_E_clISt17integral_constantIbLb0EES16_EEDaS11_S12_EUlS11_E_NS1_11comp_targetILNS1_3genE0ELNS1_11target_archE4294967295ELNS1_3gpuE0ELNS1_3repE0EEENS1_30default_config_static_selectorELNS0_4arch9wavefront6targetE1EEEvT1_
	.p2align	8
	.type	_ZN7rocprim17ROCPRIM_400000_NS6detail17trampoline_kernelINS0_14default_configENS1_25partition_config_selectorILNS1_17partition_subalgoE0ExNS0_10empty_typeEbEEZZNS1_14partition_implILS5_0ELb0ES3_jN6thrust23THRUST_200600_302600_NS6detail15normal_iteratorINSA_10device_ptrIxEEEEPS6_SG_NS0_5tupleIJSF_SF_EEENSH_IJSG_SG_EEES6_PlJ7is_evenIxEEEE10hipError_tPvRmT3_T4_T5_T6_T7_T9_mT8_P12ihipStream_tbDpT10_ENKUlT_T0_E_clISt17integral_constantIbLb0EES16_EEDaS11_S12_EUlS11_E_NS1_11comp_targetILNS1_3genE0ELNS1_11target_archE4294967295ELNS1_3gpuE0ELNS1_3repE0EEENS1_30default_config_static_selectorELNS0_4arch9wavefront6targetE1EEEvT1_,@function
_ZN7rocprim17ROCPRIM_400000_NS6detail17trampoline_kernelINS0_14default_configENS1_25partition_config_selectorILNS1_17partition_subalgoE0ExNS0_10empty_typeEbEEZZNS1_14partition_implILS5_0ELb0ES3_jN6thrust23THRUST_200600_302600_NS6detail15normal_iteratorINSA_10device_ptrIxEEEEPS6_SG_NS0_5tupleIJSF_SF_EEENSH_IJSG_SG_EEES6_PlJ7is_evenIxEEEE10hipError_tPvRmT3_T4_T5_T6_T7_T9_mT8_P12ihipStream_tbDpT10_ENKUlT_T0_E_clISt17integral_constantIbLb0EES16_EEDaS11_S12_EUlS11_E_NS1_11comp_targetILNS1_3genE0ELNS1_11target_archE4294967295ELNS1_3gpuE0ELNS1_3repE0EEENS1_30default_config_static_selectorELNS0_4arch9wavefront6targetE1EEEvT1_: ; @_ZN7rocprim17ROCPRIM_400000_NS6detail17trampoline_kernelINS0_14default_configENS1_25partition_config_selectorILNS1_17partition_subalgoE0ExNS0_10empty_typeEbEEZZNS1_14partition_implILS5_0ELb0ES3_jN6thrust23THRUST_200600_302600_NS6detail15normal_iteratorINSA_10device_ptrIxEEEEPS6_SG_NS0_5tupleIJSF_SF_EEENSH_IJSG_SG_EEES6_PlJ7is_evenIxEEEE10hipError_tPvRmT3_T4_T5_T6_T7_T9_mT8_P12ihipStream_tbDpT10_ENKUlT_T0_E_clISt17integral_constantIbLb0EES16_EEDaS11_S12_EUlS11_E_NS1_11comp_targetILNS1_3genE0ELNS1_11target_archE4294967295ELNS1_3gpuE0ELNS1_3repE0EEENS1_30default_config_static_selectorELNS0_4arch9wavefront6targetE1EEEvT1_
; %bb.0:
	.section	.rodata,"a",@progbits
	.p2align	6, 0x0
	.amdhsa_kernel _ZN7rocprim17ROCPRIM_400000_NS6detail17trampoline_kernelINS0_14default_configENS1_25partition_config_selectorILNS1_17partition_subalgoE0ExNS0_10empty_typeEbEEZZNS1_14partition_implILS5_0ELb0ES3_jN6thrust23THRUST_200600_302600_NS6detail15normal_iteratorINSA_10device_ptrIxEEEEPS6_SG_NS0_5tupleIJSF_SF_EEENSH_IJSG_SG_EEES6_PlJ7is_evenIxEEEE10hipError_tPvRmT3_T4_T5_T6_T7_T9_mT8_P12ihipStream_tbDpT10_ENKUlT_T0_E_clISt17integral_constantIbLb0EES16_EEDaS11_S12_EUlS11_E_NS1_11comp_targetILNS1_3genE0ELNS1_11target_archE4294967295ELNS1_3gpuE0ELNS1_3repE0EEENS1_30default_config_static_selectorELNS0_4arch9wavefront6targetE1EEEvT1_
		.amdhsa_group_segment_fixed_size 0
		.amdhsa_private_segment_fixed_size 0
		.amdhsa_kernarg_size 120
		.amdhsa_user_sgpr_count 2
		.amdhsa_user_sgpr_dispatch_ptr 0
		.amdhsa_user_sgpr_queue_ptr 0
		.amdhsa_user_sgpr_kernarg_segment_ptr 1
		.amdhsa_user_sgpr_dispatch_id 0
		.amdhsa_user_sgpr_kernarg_preload_length 0
		.amdhsa_user_sgpr_kernarg_preload_offset 0
		.amdhsa_user_sgpr_private_segment_size 0
		.amdhsa_uses_dynamic_stack 0
		.amdhsa_enable_private_segment 0
		.amdhsa_system_sgpr_workgroup_id_x 1
		.amdhsa_system_sgpr_workgroup_id_y 0
		.amdhsa_system_sgpr_workgroup_id_z 0
		.amdhsa_system_sgpr_workgroup_info 0
		.amdhsa_system_vgpr_workitem_id 0
		.amdhsa_next_free_vgpr 1
		.amdhsa_next_free_sgpr 0
		.amdhsa_accum_offset 4
		.amdhsa_reserve_vcc 0
		.amdhsa_float_round_mode_32 0
		.amdhsa_float_round_mode_16_64 0
		.amdhsa_float_denorm_mode_32 3
		.amdhsa_float_denorm_mode_16_64 3
		.amdhsa_dx10_clamp 1
		.amdhsa_ieee_mode 1
		.amdhsa_fp16_overflow 0
		.amdhsa_tg_split 0
		.amdhsa_exception_fp_ieee_invalid_op 0
		.amdhsa_exception_fp_denorm_src 0
		.amdhsa_exception_fp_ieee_div_zero 0
		.amdhsa_exception_fp_ieee_overflow 0
		.amdhsa_exception_fp_ieee_underflow 0
		.amdhsa_exception_fp_ieee_inexact 0
		.amdhsa_exception_int_div_zero 0
	.end_amdhsa_kernel
	.section	.text._ZN7rocprim17ROCPRIM_400000_NS6detail17trampoline_kernelINS0_14default_configENS1_25partition_config_selectorILNS1_17partition_subalgoE0ExNS0_10empty_typeEbEEZZNS1_14partition_implILS5_0ELb0ES3_jN6thrust23THRUST_200600_302600_NS6detail15normal_iteratorINSA_10device_ptrIxEEEEPS6_SG_NS0_5tupleIJSF_SF_EEENSH_IJSG_SG_EEES6_PlJ7is_evenIxEEEE10hipError_tPvRmT3_T4_T5_T6_T7_T9_mT8_P12ihipStream_tbDpT10_ENKUlT_T0_E_clISt17integral_constantIbLb0EES16_EEDaS11_S12_EUlS11_E_NS1_11comp_targetILNS1_3genE0ELNS1_11target_archE4294967295ELNS1_3gpuE0ELNS1_3repE0EEENS1_30default_config_static_selectorELNS0_4arch9wavefront6targetE1EEEvT1_,"axG",@progbits,_ZN7rocprim17ROCPRIM_400000_NS6detail17trampoline_kernelINS0_14default_configENS1_25partition_config_selectorILNS1_17partition_subalgoE0ExNS0_10empty_typeEbEEZZNS1_14partition_implILS5_0ELb0ES3_jN6thrust23THRUST_200600_302600_NS6detail15normal_iteratorINSA_10device_ptrIxEEEEPS6_SG_NS0_5tupleIJSF_SF_EEENSH_IJSG_SG_EEES6_PlJ7is_evenIxEEEE10hipError_tPvRmT3_T4_T5_T6_T7_T9_mT8_P12ihipStream_tbDpT10_ENKUlT_T0_E_clISt17integral_constantIbLb0EES16_EEDaS11_S12_EUlS11_E_NS1_11comp_targetILNS1_3genE0ELNS1_11target_archE4294967295ELNS1_3gpuE0ELNS1_3repE0EEENS1_30default_config_static_selectorELNS0_4arch9wavefront6targetE1EEEvT1_,comdat
.Lfunc_end289:
	.size	_ZN7rocprim17ROCPRIM_400000_NS6detail17trampoline_kernelINS0_14default_configENS1_25partition_config_selectorILNS1_17partition_subalgoE0ExNS0_10empty_typeEbEEZZNS1_14partition_implILS5_0ELb0ES3_jN6thrust23THRUST_200600_302600_NS6detail15normal_iteratorINSA_10device_ptrIxEEEEPS6_SG_NS0_5tupleIJSF_SF_EEENSH_IJSG_SG_EEES6_PlJ7is_evenIxEEEE10hipError_tPvRmT3_T4_T5_T6_T7_T9_mT8_P12ihipStream_tbDpT10_ENKUlT_T0_E_clISt17integral_constantIbLb0EES16_EEDaS11_S12_EUlS11_E_NS1_11comp_targetILNS1_3genE0ELNS1_11target_archE4294967295ELNS1_3gpuE0ELNS1_3repE0EEENS1_30default_config_static_selectorELNS0_4arch9wavefront6targetE1EEEvT1_, .Lfunc_end289-_ZN7rocprim17ROCPRIM_400000_NS6detail17trampoline_kernelINS0_14default_configENS1_25partition_config_selectorILNS1_17partition_subalgoE0ExNS0_10empty_typeEbEEZZNS1_14partition_implILS5_0ELb0ES3_jN6thrust23THRUST_200600_302600_NS6detail15normal_iteratorINSA_10device_ptrIxEEEEPS6_SG_NS0_5tupleIJSF_SF_EEENSH_IJSG_SG_EEES6_PlJ7is_evenIxEEEE10hipError_tPvRmT3_T4_T5_T6_T7_T9_mT8_P12ihipStream_tbDpT10_ENKUlT_T0_E_clISt17integral_constantIbLb0EES16_EEDaS11_S12_EUlS11_E_NS1_11comp_targetILNS1_3genE0ELNS1_11target_archE4294967295ELNS1_3gpuE0ELNS1_3repE0EEENS1_30default_config_static_selectorELNS0_4arch9wavefront6targetE1EEEvT1_
                                        ; -- End function
	.section	.AMDGPU.csdata,"",@progbits
; Kernel info:
; codeLenInByte = 0
; NumSgprs: 6
; NumVgprs: 0
; NumAgprs: 0
; TotalNumVgprs: 0
; ScratchSize: 0
; MemoryBound: 0
; FloatMode: 240
; IeeeMode: 1
; LDSByteSize: 0 bytes/workgroup (compile time only)
; SGPRBlocks: 0
; VGPRBlocks: 0
; NumSGPRsForWavesPerEU: 6
; NumVGPRsForWavesPerEU: 1
; AccumOffset: 4
; Occupancy: 8
; WaveLimiterHint : 0
; COMPUTE_PGM_RSRC2:SCRATCH_EN: 0
; COMPUTE_PGM_RSRC2:USER_SGPR: 2
; COMPUTE_PGM_RSRC2:TRAP_HANDLER: 0
; COMPUTE_PGM_RSRC2:TGID_X_EN: 1
; COMPUTE_PGM_RSRC2:TGID_Y_EN: 0
; COMPUTE_PGM_RSRC2:TGID_Z_EN: 0
; COMPUTE_PGM_RSRC2:TIDIG_COMP_CNT: 0
; COMPUTE_PGM_RSRC3_GFX90A:ACCUM_OFFSET: 0
; COMPUTE_PGM_RSRC3_GFX90A:TG_SPLIT: 0
	.section	.text._ZN7rocprim17ROCPRIM_400000_NS6detail17trampoline_kernelINS0_14default_configENS1_25partition_config_selectorILNS1_17partition_subalgoE0ExNS0_10empty_typeEbEEZZNS1_14partition_implILS5_0ELb0ES3_jN6thrust23THRUST_200600_302600_NS6detail15normal_iteratorINSA_10device_ptrIxEEEEPS6_SG_NS0_5tupleIJSF_SF_EEENSH_IJSG_SG_EEES6_PlJ7is_evenIxEEEE10hipError_tPvRmT3_T4_T5_T6_T7_T9_mT8_P12ihipStream_tbDpT10_ENKUlT_T0_E_clISt17integral_constantIbLb0EES16_EEDaS11_S12_EUlS11_E_NS1_11comp_targetILNS1_3genE5ELNS1_11target_archE942ELNS1_3gpuE9ELNS1_3repE0EEENS1_30default_config_static_selectorELNS0_4arch9wavefront6targetE1EEEvT1_,"axG",@progbits,_ZN7rocprim17ROCPRIM_400000_NS6detail17trampoline_kernelINS0_14default_configENS1_25partition_config_selectorILNS1_17partition_subalgoE0ExNS0_10empty_typeEbEEZZNS1_14partition_implILS5_0ELb0ES3_jN6thrust23THRUST_200600_302600_NS6detail15normal_iteratorINSA_10device_ptrIxEEEEPS6_SG_NS0_5tupleIJSF_SF_EEENSH_IJSG_SG_EEES6_PlJ7is_evenIxEEEE10hipError_tPvRmT3_T4_T5_T6_T7_T9_mT8_P12ihipStream_tbDpT10_ENKUlT_T0_E_clISt17integral_constantIbLb0EES16_EEDaS11_S12_EUlS11_E_NS1_11comp_targetILNS1_3genE5ELNS1_11target_archE942ELNS1_3gpuE9ELNS1_3repE0EEENS1_30default_config_static_selectorELNS0_4arch9wavefront6targetE1EEEvT1_,comdat
	.protected	_ZN7rocprim17ROCPRIM_400000_NS6detail17trampoline_kernelINS0_14default_configENS1_25partition_config_selectorILNS1_17partition_subalgoE0ExNS0_10empty_typeEbEEZZNS1_14partition_implILS5_0ELb0ES3_jN6thrust23THRUST_200600_302600_NS6detail15normal_iteratorINSA_10device_ptrIxEEEEPS6_SG_NS0_5tupleIJSF_SF_EEENSH_IJSG_SG_EEES6_PlJ7is_evenIxEEEE10hipError_tPvRmT3_T4_T5_T6_T7_T9_mT8_P12ihipStream_tbDpT10_ENKUlT_T0_E_clISt17integral_constantIbLb0EES16_EEDaS11_S12_EUlS11_E_NS1_11comp_targetILNS1_3genE5ELNS1_11target_archE942ELNS1_3gpuE9ELNS1_3repE0EEENS1_30default_config_static_selectorELNS0_4arch9wavefront6targetE1EEEvT1_ ; -- Begin function _ZN7rocprim17ROCPRIM_400000_NS6detail17trampoline_kernelINS0_14default_configENS1_25partition_config_selectorILNS1_17partition_subalgoE0ExNS0_10empty_typeEbEEZZNS1_14partition_implILS5_0ELb0ES3_jN6thrust23THRUST_200600_302600_NS6detail15normal_iteratorINSA_10device_ptrIxEEEEPS6_SG_NS0_5tupleIJSF_SF_EEENSH_IJSG_SG_EEES6_PlJ7is_evenIxEEEE10hipError_tPvRmT3_T4_T5_T6_T7_T9_mT8_P12ihipStream_tbDpT10_ENKUlT_T0_E_clISt17integral_constantIbLb0EES16_EEDaS11_S12_EUlS11_E_NS1_11comp_targetILNS1_3genE5ELNS1_11target_archE942ELNS1_3gpuE9ELNS1_3repE0EEENS1_30default_config_static_selectorELNS0_4arch9wavefront6targetE1EEEvT1_
	.globl	_ZN7rocprim17ROCPRIM_400000_NS6detail17trampoline_kernelINS0_14default_configENS1_25partition_config_selectorILNS1_17partition_subalgoE0ExNS0_10empty_typeEbEEZZNS1_14partition_implILS5_0ELb0ES3_jN6thrust23THRUST_200600_302600_NS6detail15normal_iteratorINSA_10device_ptrIxEEEEPS6_SG_NS0_5tupleIJSF_SF_EEENSH_IJSG_SG_EEES6_PlJ7is_evenIxEEEE10hipError_tPvRmT3_T4_T5_T6_T7_T9_mT8_P12ihipStream_tbDpT10_ENKUlT_T0_E_clISt17integral_constantIbLb0EES16_EEDaS11_S12_EUlS11_E_NS1_11comp_targetILNS1_3genE5ELNS1_11target_archE942ELNS1_3gpuE9ELNS1_3repE0EEENS1_30default_config_static_selectorELNS0_4arch9wavefront6targetE1EEEvT1_
	.p2align	8
	.type	_ZN7rocprim17ROCPRIM_400000_NS6detail17trampoline_kernelINS0_14default_configENS1_25partition_config_selectorILNS1_17partition_subalgoE0ExNS0_10empty_typeEbEEZZNS1_14partition_implILS5_0ELb0ES3_jN6thrust23THRUST_200600_302600_NS6detail15normal_iteratorINSA_10device_ptrIxEEEEPS6_SG_NS0_5tupleIJSF_SF_EEENSH_IJSG_SG_EEES6_PlJ7is_evenIxEEEE10hipError_tPvRmT3_T4_T5_T6_T7_T9_mT8_P12ihipStream_tbDpT10_ENKUlT_T0_E_clISt17integral_constantIbLb0EES16_EEDaS11_S12_EUlS11_E_NS1_11comp_targetILNS1_3genE5ELNS1_11target_archE942ELNS1_3gpuE9ELNS1_3repE0EEENS1_30default_config_static_selectorELNS0_4arch9wavefront6targetE1EEEvT1_,@function
_ZN7rocprim17ROCPRIM_400000_NS6detail17trampoline_kernelINS0_14default_configENS1_25partition_config_selectorILNS1_17partition_subalgoE0ExNS0_10empty_typeEbEEZZNS1_14partition_implILS5_0ELb0ES3_jN6thrust23THRUST_200600_302600_NS6detail15normal_iteratorINSA_10device_ptrIxEEEEPS6_SG_NS0_5tupleIJSF_SF_EEENSH_IJSG_SG_EEES6_PlJ7is_evenIxEEEE10hipError_tPvRmT3_T4_T5_T6_T7_T9_mT8_P12ihipStream_tbDpT10_ENKUlT_T0_E_clISt17integral_constantIbLb0EES16_EEDaS11_S12_EUlS11_E_NS1_11comp_targetILNS1_3genE5ELNS1_11target_archE942ELNS1_3gpuE9ELNS1_3repE0EEENS1_30default_config_static_selectorELNS0_4arch9wavefront6targetE1EEEvT1_: ; @_ZN7rocprim17ROCPRIM_400000_NS6detail17trampoline_kernelINS0_14default_configENS1_25partition_config_selectorILNS1_17partition_subalgoE0ExNS0_10empty_typeEbEEZZNS1_14partition_implILS5_0ELb0ES3_jN6thrust23THRUST_200600_302600_NS6detail15normal_iteratorINSA_10device_ptrIxEEEEPS6_SG_NS0_5tupleIJSF_SF_EEENSH_IJSG_SG_EEES6_PlJ7is_evenIxEEEE10hipError_tPvRmT3_T4_T5_T6_T7_T9_mT8_P12ihipStream_tbDpT10_ENKUlT_T0_E_clISt17integral_constantIbLb0EES16_EEDaS11_S12_EUlS11_E_NS1_11comp_targetILNS1_3genE5ELNS1_11target_archE942ELNS1_3gpuE9ELNS1_3repE0EEENS1_30default_config_static_selectorELNS0_4arch9wavefront6targetE1EEEvT1_
; %bb.0:
	s_load_dwordx2 s[4:5], s[0:1], 0x58
	s_load_dwordx4 s[20:23], s[0:1], 0x8
	s_load_dwordx4 s[24:27], s[0:1], 0x48
	s_load_dword s3, s[0:1], 0x70
	s_mul_i32 s8, s2, 0xe00
	s_waitcnt lgkmcnt(0)
	v_mov_b32_e32 v3, s5
	s_lshl_b64 s[6:7], s[22:23], 3
	s_add_u32 s10, s20, s6
	s_addc_u32 s11, s21, s7
	s_add_i32 s6, s3, -1
	s_mulk_i32 s3, 0xe00
	s_add_i32 s5, s3, s22
	s_sub_i32 s33, s4, s5
	s_addk_i32 s33, 0xe00
	v_mov_b32_e32 v2, s4
	s_add_u32 s4, s22, s3
	s_addc_u32 s5, s23, 0
	s_cmp_eq_u32 s2, s6
	s_load_dwordx2 s[28:29], s[26:27], 0x0
	s_cselect_b64 s[26:27], -1, 0
	s_cmp_lg_u32 s2, s6
	s_mov_b32 s9, 0
	v_cmp_lt_u64_e32 vcc, s[4:5], v[2:3]
	s_cselect_b64 s[4:5], -1, 0
	s_or_b64 s[6:7], s[4:5], vcc
	s_lshl_b64 s[30:31], s[8:9], 3
	s_add_u32 s8, s10, s30
	s_addc_u32 s9, s11, s31
	s_mov_b64 s[4:5], -1
	s_and_b64 vcc, exec, s[6:7]
	v_lshlrev_b32_e32 v18, 3, v0
	s_cbranch_vccz .LBB290_2
; %bb.1:
	v_mov_b32_e32 v19, 0
	v_lshl_add_u64 v[2:3], s[8:9], 0, v[18:19]
	v_add_co_u32_e32 v4, vcc, 0x1000, v2
	s_mov_b64 s[4:5], 0
	s_nop 0
	v_addc_co_u32_e32 v5, vcc, 0, v3, vcc
	v_add_co_u32_e32 v6, vcc, 0x2000, v2
	s_nop 1
	v_addc_co_u32_e32 v7, vcc, 0, v3, vcc
	v_add_co_u32_e32 v8, vcc, 0x3000, v2
	s_nop 1
	v_addc_co_u32_e32 v9, vcc, 0, v3, vcc
	flat_load_dwordx2 v[10:11], v[2:3]
	flat_load_dwordx2 v[12:13], v[4:5]
	;; [unrolled: 1-line block ×4, first 2 shown]
	v_add_co_u32_e32 v4, vcc, 0x4000, v2
	s_nop 1
	v_addc_co_u32_e32 v5, vcc, 0, v3, vcc
	v_add_co_u32_e32 v6, vcc, 0x5000, v2
	s_nop 1
	v_addc_co_u32_e32 v7, vcc, 0, v3, vcc
	;; [unrolled: 3-line block ×3, first 2 shown]
	flat_load_dwordx2 v[8:9], v[4:5]
	flat_load_dwordx2 v[20:21], v[6:7]
	;; [unrolled: 1-line block ×3, first 2 shown]
	s_waitcnt vmcnt(0) lgkmcnt(0)
	ds_write2st64_b64 v18, v[10:11], v[12:13] offset1:8
	ds_write2st64_b64 v18, v[14:15], v[16:17] offset0:16 offset1:24
	ds_write2st64_b64 v18, v[8:9], v[20:21] offset0:32 offset1:40
	ds_write_b64 v18, v[22:23] offset:24576
	s_waitcnt lgkmcnt(0)
	s_barrier
.LBB290_2:
	s_andn2_b64 vcc, exec, s[4:5]
	v_cmp_gt_u32_e64 s[4:5], s33, v0
	s_cbranch_vccnz .LBB290_18
; %bb.3:
                                        ; implicit-def: $vgpr2_vgpr3_vgpr4_vgpr5_vgpr6_vgpr7_vgpr8_vgpr9_vgpr10_vgpr11_vgpr12_vgpr13_vgpr14_vgpr15_vgpr16_vgpr17
	s_and_saveexec_b64 s[10:11], s[4:5]
	s_cbranch_execz .LBB290_5
; %bb.4:
	v_mov_b32_e32 v19, 0
	v_lshl_add_u64 v[2:3], s[8:9], 0, v[18:19]
	flat_load_dwordx2 v[2:3], v[2:3]
.LBB290_5:
	s_or_b64 exec, exec, s[10:11]
	v_or_b32_e32 v1, 0x200, v0
	v_cmp_gt_u32_e32 vcc, s33, v1
	s_and_saveexec_b64 s[4:5], vcc
	s_cbranch_execz .LBB290_7
; %bb.6:
	v_lshlrev_b32_e32 v4, 3, v1
	v_mov_b32_e32 v5, 0
	v_lshl_add_u64 v[4:5], s[8:9], 0, v[4:5]
	flat_load_dwordx2 v[4:5], v[4:5]
.LBB290_7:
	s_or_b64 exec, exec, s[4:5]
	v_or_b32_e32 v1, 0x400, v0
	v_cmp_gt_u32_e32 vcc, s33, v1
	s_and_saveexec_b64 s[4:5], vcc
	s_cbranch_execz .LBB290_9
; %bb.8:
	v_lshlrev_b32_e32 v6, 3, v1
	v_mov_b32_e32 v7, 0
	v_lshl_add_u64 v[6:7], s[8:9], 0, v[6:7]
	flat_load_dwordx2 v[6:7], v[6:7]
.LBB290_9:
	;; [unrolled: 11-line block ×6, first 2 shown]
	s_or_b64 exec, exec, s[4:5]
	s_waitcnt vmcnt(0) lgkmcnt(0)
	ds_write2st64_b64 v18, v[2:3], v[4:5] offset1:8
	ds_write2st64_b64 v18, v[6:7], v[8:9] offset0:16 offset1:24
	ds_write2st64_b64 v18, v[10:11], v[12:13] offset0:32 offset1:40
	ds_write_b64 v18, v[14:15] offset:24576
	s_waitcnt lgkmcnt(0)
	s_barrier
.LBB290_18:
	v_mul_u32_u24_e32 v1, 7, v0
	v_lshlrev_b32_e32 v32, 3, v1
	s_waitcnt lgkmcnt(0)
	ds_read2_b64 v[10:13], v32 offset1:1
	ds_read2_b64 v[6:9], v32 offset0:2 offset1:3
	ds_read2_b64 v[2:5], v32 offset0:4 offset1:5
	ds_read_b64 v[14:15], v32 offset:48
	v_cndmask_b32_e64 v16, 0, 1, s[6:7]
	v_cmp_ne_u32_e64 s[20:21], 1, v16
	s_andn2_b64 vcc, exec, s[6:7]
	s_waitcnt lgkmcnt(3)
	v_xor_b32_e32 v24, -1, v10
	v_xor_b32_e32 v23, -1, v12
	s_waitcnt lgkmcnt(2)
	v_xor_b32_e32 v22, -1, v6
	v_xor_b32_e32 v21, -1, v8
	;; [unrolled: 3-line block ×3, first 2 shown]
	s_waitcnt lgkmcnt(0)
	v_xor_b32_e32 v16, -1, v14
	s_barrier
	s_cbranch_vccnz .LBB290_20
; %bb.19:
	v_mov_b32_e32 v19, 1
	v_and_b32_e32 v25, 1, v24
	v_and_b32_sdwa v26, v23, v19 dst_sel:BYTE_1 dst_unused:UNUSED_PAD src0_sel:DWORD src1_sel:DWORD
	v_and_b32_e32 v27, 1, v22
	v_and_b32_sdwa v30, v21, v19 dst_sel:BYTE_1 dst_unused:UNUSED_PAD src0_sel:DWORD src1_sel:DWORD
	v_or_b32_e32 v25, v25, v26
	v_or_b32_sdwa v26, v27, v30 dst_sel:WORD_1 dst_unused:UNUSED_PAD src0_sel:DWORD src1_sel:DWORD
	v_and_b32_e32 v29, 1, v20
	v_and_b32_e32 v28, 1, v17
	;; [unrolled: 1-line block ×3, first 2 shown]
	v_or_b32_sdwa v30, v25, v26 dst_sel:DWORD dst_unused:UNUSED_PAD src0_sel:WORD_0 src1_sel:DWORD
	s_load_dwordx2 s[34:35], s[0:1], 0x68
	s_cbranch_execz .LBB290_21
	s_branch .LBB290_22
.LBB290_20:
                                        ; implicit-def: $vgpr19
                                        ; implicit-def: $vgpr28
                                        ; implicit-def: $vgpr29
                                        ; implicit-def: $vgpr30
	s_load_dwordx2 s[34:35], s[0:1], 0x68
.LBB290_21:
	v_add_u32_e32 v19, 1, v1
	v_cmp_gt_u32_e32 vcc, s33, v1
	v_add_u32_e32 v25, 2, v1
	v_add_u32_e32 v26, 3, v1
	v_cndmask_b32_e64 v29, 0, 1, vcc
	v_cmp_gt_u32_e32 vcc, s33, v19
	v_add_u32_e32 v27, 4, v1
	v_add_u32_e32 v28, 5, v1
	v_cndmask_b32_e64 v19, 0, 1, vcc
	v_cmp_gt_u32_e32 vcc, s33, v25
	v_and_b32_sdwa v23, v19, v23 dst_sel:BYTE_1 dst_unused:UNUSED_PAD src0_sel:DWORD src1_sel:DWORD
	v_add_u32_e32 v30, 6, v1
	v_cndmask_b32_e64 v19, 0, 1, vcc
	v_cmp_gt_u32_e32 vcc, s33, v26
	v_and_b32_e32 v22, v19, v22
	v_and_b32_e32 v24, v29, v24
	v_cndmask_b32_e64 v19, 0, 1, vcc
	v_cmp_gt_u32_e32 vcc, s33, v27
	v_and_b32_sdwa v21, v19, v21 dst_sel:BYTE_1 dst_unused:UNUSED_PAD src0_sel:DWORD src1_sel:DWORD
	s_nop 0
	v_cndmask_b32_e64 v19, 0, 1, vcc
	v_cmp_gt_u32_e32 vcc, s33, v28
	v_and_b32_e32 v29, v19, v20
	s_nop 0
	v_cndmask_b32_e64 v19, 0, 1, vcc
	v_cmp_gt_u32_e32 vcc, s33, v30
	v_and_b32_e32 v28, v19, v17
	s_nop 0
	v_cndmask_b32_e64 v17, 0, 1, vcc
	v_and_b32_e32 v19, v17, v16
	v_or_b32_e32 v16, v24, v23
	v_or_b32_sdwa v17, v22, v21 dst_sel:WORD_1 dst_unused:UNUSED_PAD src0_sel:DWORD src1_sel:DWORD
	s_nop 0
	v_or_b32_sdwa v30, v16, v17 dst_sel:DWORD dst_unused:UNUSED_PAD src0_sel:WORD_0 src1_sel:DWORD
.LBB290_22:
	v_and_b32_e32 v33, 0xff, v30
	v_bfe_u32 v34, v30, 8, 8
	v_bfe_u32 v35, v30, 16, 8
	v_lshrrev_b32_e32 v31, 24, v30
	v_and_b32_e32 v36, 0xff, v29
	v_add3_u32 v17, v34, v33, v35
	v_and_b32_e32 v37, 0xff, v28
	v_and_b32_e32 v16, 0xff, v19
	v_add3_u32 v17, v17, v31, v36
	v_add3_u32 v40, v17, v37, v16
	v_mbcnt_lo_u32_b32 v16, -1, 0
	v_mbcnt_hi_u32_b32 v38, -1, v16
	v_and_b32_e32 v16, 15, v38
	v_cmp_eq_u32_e64 s[16:17], 0, v16
	v_cmp_lt_u32_e64 s[14:15], 1, v16
	v_cmp_lt_u32_e64 s[12:13], 3, v16
	v_cmp_lt_u32_e64 s[10:11], 7, v16
	v_and_b32_e32 v16, 16, v38
	v_cmp_eq_u32_e64 s[8:9], 0, v16
	v_or_b32_e32 v16, 63, v0
	s_cmp_lg_u32 s2, 0
	v_cmp_lt_u32_e64 s[4:5], 31, v38
	v_lshrrev_b32_e32 v39, 6, v0
	v_cmp_eq_u32_e64 s[6:7], v16, v0
	s_cbranch_scc0 .LBB290_49
; %bb.23:
	v_mov_b32_dpp v16, v40 row_shr:1 row_mask:0xf bank_mask:0xf
	v_cndmask_b32_e64 v16, v16, 0, s[16:17]
	v_add_u32_e32 v16, v16, v40
	s_nop 1
	v_mov_b32_dpp v17, v16 row_shr:2 row_mask:0xf bank_mask:0xf
	v_cndmask_b32_e64 v17, 0, v17, s[14:15]
	v_add_u32_e32 v16, v16, v17
	s_nop 1
	;; [unrolled: 4-line block ×4, first 2 shown]
	v_mov_b32_dpp v17, v16 row_bcast:15 row_mask:0xf bank_mask:0xf
	v_cndmask_b32_e64 v17, v17, 0, s[8:9]
	v_add_u32_e32 v16, v16, v17
	s_nop 1
	v_mov_b32_dpp v17, v16 row_bcast:31 row_mask:0xf bank_mask:0xf
	v_cndmask_b32_e64 v17, 0, v17, s[4:5]
	v_add_u32_e32 v16, v16, v17
	s_and_saveexec_b64 s[18:19], s[6:7]
	s_cbranch_execz .LBB290_25
; %bb.24:
	v_lshlrev_b32_e32 v17, 2, v39
	ds_write_b32 v17, v16
.LBB290_25:
	s_or_b64 exec, exec, s[18:19]
	v_cmp_gt_u32_e32 vcc, 8, v0
	s_waitcnt lgkmcnt(0)
	s_barrier
	s_and_saveexec_b64 s[18:19], vcc
	s_cbranch_execz .LBB290_27
; %bb.26:
	v_lshlrev_b32_e32 v17, 2, v0
	ds_read_b32 v20, v17
	v_and_b32_e32 v21, 7, v38
	v_cmp_ne_u32_e32 vcc, 0, v21
	s_waitcnt lgkmcnt(0)
	v_mov_b32_dpp v22, v20 row_shr:1 row_mask:0xf bank_mask:0xf
	v_cndmask_b32_e32 v22, 0, v22, vcc
	v_add_u32_e32 v20, v22, v20
	v_cmp_lt_u32_e32 vcc, 1, v21
	s_nop 0
	v_mov_b32_dpp v22, v20 row_shr:2 row_mask:0xf bank_mask:0xf
	v_cndmask_b32_e32 v22, 0, v22, vcc
	v_add_u32_e32 v20, v20, v22
	v_cmp_lt_u32_e32 vcc, 3, v21
	s_nop 0
	v_mov_b32_dpp v22, v20 row_shr:4 row_mask:0xf bank_mask:0xf
	v_cndmask_b32_e32 v21, 0, v22, vcc
	v_add_u32_e32 v20, v20, v21
	ds_write_b32 v17, v20
.LBB290_27:
	s_or_b64 exec, exec, s[18:19]
	v_cmp_gt_u32_e32 vcc, 64, v0
	v_cmp_lt_u32_e64 s[18:19], 63, v0
	s_waitcnt lgkmcnt(0)
	s_barrier
	s_waitcnt lgkmcnt(0)
                                        ; implicit-def: $vgpr41
	s_and_saveexec_b64 s[36:37], s[18:19]
	s_cbranch_execz .LBB290_29
; %bb.28:
	v_lshl_add_u32 v17, v39, 2, -4
	ds_read_b32 v41, v17
	s_waitcnt lgkmcnt(0)
	v_add_u32_e32 v16, v41, v16
.LBB290_29:
	s_or_b64 exec, exec, s[36:37]
	v_add_u32_e32 v17, -1, v38
	v_and_b32_e32 v20, 64, v38
	v_cmp_lt_i32_e64 s[18:19], v17, v20
	s_nop 1
	v_cndmask_b32_e64 v17, v17, v38, s[18:19]
	v_lshlrev_b32_e32 v17, 2, v17
	ds_bpermute_b32 v42, v17, v16
	v_cmp_eq_u32_e64 s[18:19], 0, v38
	s_and_saveexec_b64 s[36:37], vcc
	s_cbranch_execz .LBB290_48
; %bb.30:
	v_mov_b32_e32 v25, 0
	ds_read_b32 v16, v25 offset:28
	s_and_saveexec_b64 s[38:39], s[18:19]
	s_cbranch_execz .LBB290_32
; %bb.31:
	s_add_i32 s40, s2, 64
	s_mov_b32 s41, 0
	s_lshl_b64 s[40:41], s[40:41], 3
	s_add_u32 s40, s34, s40
	v_mov_b32_e32 v17, 1
	s_addc_u32 s41, s35, s41
	s_waitcnt lgkmcnt(0)
	global_store_dwordx2 v25, v[16:17], s[40:41] sc1
.LBB290_32:
	s_or_b64 exec, exec, s[38:39]
	v_xad_u32 v20, v38, -1, s2
	v_add_u32_e32 v24, 64, v20
	v_lshl_add_u64 v[26:27], v[24:25], 3, s[34:35]
	global_load_dwordx2 v[22:23], v[26:27], off sc1
	s_waitcnt vmcnt(0)
	v_cmp_eq_u16_sdwa s[40:41], v23, v25 src0_sel:BYTE_0 src1_sel:DWORD
	s_and_saveexec_b64 s[38:39], s[40:41]
	s_cbranch_execz .LBB290_36
; %bb.33:
	s_mov_b64 s[40:41], 0
	v_mov_b32_e32 v17, 0
.LBB290_34:                             ; =>This Inner Loop Header: Depth=1
	global_load_dwordx2 v[22:23], v[26:27], off sc1
	s_waitcnt vmcnt(0)
	v_cmp_ne_u16_sdwa s[42:43], v23, v17 src0_sel:BYTE_0 src1_sel:DWORD
	s_or_b64 s[40:41], s[42:43], s[40:41]
	s_andn2_b64 exec, exec, s[40:41]
	s_cbranch_execnz .LBB290_34
; %bb.35:
	s_or_b64 exec, exec, s[40:41]
.LBB290_36:
	s_or_b64 exec, exec, s[38:39]
	v_and_b32_e32 v44, 63, v38
	v_mov_b32_e32 v43, 2
	v_cmp_ne_u32_e32 vcc, 63, v44
	v_cmp_eq_u16_sdwa s[38:39], v23, v43 src0_sel:BYTE_0 src1_sel:DWORD
	v_lshlrev_b64 v[24:25], v38, -1
	v_addc_co_u32_e32 v26, vcc, 0, v38, vcc
	v_and_b32_e32 v17, s39, v25
	v_lshlrev_b32_e32 v45, 2, v26
	v_or_b32_e32 v17, 0x80000000, v17
	ds_bpermute_b32 v26, v45, v22
	v_and_b32_e32 v21, s38, v24
	v_ffbl_b32_e32 v17, v17
	v_add_u32_e32 v17, 32, v17
	v_ffbl_b32_e32 v21, v21
	v_min_u32_e32 v17, v21, v17
	v_cmp_lt_u32_e32 vcc, v44, v17
	v_add_u32_e32 v47, 2, v44
	v_add_u32_e32 v49, 4, v44
	s_waitcnt lgkmcnt(0)
	v_cndmask_b32_e32 v21, 0, v26, vcc
	v_cmp_gt_u32_e32 vcc, 62, v44
	v_add_u32_e32 v21, v21, v22
	v_add_u32_e32 v51, 8, v44
	v_cndmask_b32_e64 v22, 0, 1, vcc
	v_lshlrev_b32_e32 v22, 1, v22
	v_add_lshl_u32 v46, v22, v38, 2
	ds_bpermute_b32 v22, v46, v21
	v_cmp_le_u32_e32 vcc, v47, v17
	v_add_u32_e32 v53, 16, v44
	v_add_u32_e32 v55, 32, v44
	s_waitcnt lgkmcnt(0)
	v_cndmask_b32_e32 v22, 0, v22, vcc
	v_cmp_gt_u32_e32 vcc, 60, v44
	v_add_u32_e32 v21, v21, v22
	s_nop 0
	v_cndmask_b32_e64 v22, 0, 1, vcc
	v_lshlrev_b32_e32 v22, 2, v22
	v_add_lshl_u32 v48, v22, v38, 2
	ds_bpermute_b32 v22, v48, v21
	v_cmp_le_u32_e32 vcc, v49, v17
	s_waitcnt lgkmcnt(0)
	s_nop 0
	v_cndmask_b32_e32 v22, 0, v22, vcc
	v_cmp_gt_u32_e32 vcc, 56, v44
	v_add_u32_e32 v21, v21, v22
	s_nop 0
	v_cndmask_b32_e64 v22, 0, 1, vcc
	v_lshlrev_b32_e32 v22, 3, v22
	v_add_lshl_u32 v50, v22, v38, 2
	ds_bpermute_b32 v22, v50, v21
	v_cmp_le_u32_e32 vcc, v51, v17
	s_waitcnt lgkmcnt(0)
	s_nop 0
	;; [unrolled: 11-line block ×4, first 2 shown]
	v_cndmask_b32_e32 v17, 0, v22, vcc
	v_add_u32_e32 v22, v21, v17
	v_mov_b32_e32 v21, 0
	s_branch .LBB290_38
.LBB290_37:                             ;   in Loop: Header=BB290_38 Depth=1
	s_or_b64 exec, exec, s[38:39]
	v_cmp_eq_u16_sdwa s[38:39], v23, v43 src0_sel:BYTE_0 src1_sel:DWORD
	ds_bpermute_b32 v56, v45, v22
	v_subrev_u32_e32 v20, 64, v20
	v_and_b32_e32 v26, s39, v25
	v_or_b32_e32 v26, 0x80000000, v26
	v_and_b32_e32 v27, s38, v24
	v_ffbl_b32_e32 v26, v26
	v_add_u32_e32 v26, 32, v26
	v_ffbl_b32_e32 v27, v27
	v_min_u32_e32 v26, v27, v26
	v_cmp_lt_u32_e32 vcc, v44, v26
	s_waitcnt lgkmcnt(0)
	s_nop 0
	v_cndmask_b32_e32 v27, 0, v56, vcc
	v_add_u32_e32 v22, v27, v22
	ds_bpermute_b32 v27, v46, v22
	v_cmp_le_u32_e32 vcc, v47, v26
	s_waitcnt lgkmcnt(0)
	s_nop 0
	v_cndmask_b32_e32 v27, 0, v27, vcc
	v_add_u32_e32 v22, v22, v27
	ds_bpermute_b32 v27, v48, v22
	v_cmp_le_u32_e32 vcc, v49, v26
	s_waitcnt lgkmcnt(0)
	s_nop 0
	v_cndmask_b32_e32 v27, 0, v27, vcc
	v_add_u32_e32 v22, v22, v27
	ds_bpermute_b32 v27, v50, v22
	v_cmp_le_u32_e32 vcc, v51, v26
	s_waitcnt lgkmcnt(0)
	s_nop 0
	v_cndmask_b32_e32 v27, 0, v27, vcc
	v_add_u32_e32 v22, v22, v27
	ds_bpermute_b32 v27, v52, v22
	v_cmp_le_u32_e32 vcc, v53, v26
	s_waitcnt lgkmcnt(0)
	s_nop 0
	v_cndmask_b32_e32 v27, 0, v27, vcc
	v_add_u32_e32 v22, v22, v27
	ds_bpermute_b32 v27, v54, v22
	v_cmp_le_u32_e32 vcc, v55, v26
	s_waitcnt lgkmcnt(0)
	s_nop 0
	v_cndmask_b32_e32 v26, 0, v27, vcc
	v_add3_u32 v22, v26, v17, v22
.LBB290_38:                             ; =>This Loop Header: Depth=1
                                        ;     Child Loop BB290_41 Depth 2
	v_cmp_ne_u16_sdwa s[38:39], v23, v43 src0_sel:BYTE_0 src1_sel:DWORD
	s_nop 1
	v_cndmask_b32_e64 v17, 0, 1, s[38:39]
	;;#ASMSTART
	;;#ASMEND
	s_nop 0
	v_cmp_ne_u32_e32 vcc, 0, v17
	s_cmp_lg_u64 vcc, exec
	v_mov_b32_e32 v17, v22
	s_cbranch_scc1 .LBB290_43
; %bb.39:                               ;   in Loop: Header=BB290_38 Depth=1
	v_lshl_add_u64 v[26:27], v[20:21], 3, s[34:35]
	global_load_dwordx2 v[22:23], v[26:27], off sc1
	s_waitcnt vmcnt(0)
	v_cmp_eq_u16_sdwa s[40:41], v23, v21 src0_sel:BYTE_0 src1_sel:DWORD
	s_and_saveexec_b64 s[38:39], s[40:41]
	s_cbranch_execz .LBB290_37
; %bb.40:                               ;   in Loop: Header=BB290_38 Depth=1
	s_mov_b64 s[40:41], 0
.LBB290_41:                             ;   Parent Loop BB290_38 Depth=1
                                        ; =>  This Inner Loop Header: Depth=2
	global_load_dwordx2 v[22:23], v[26:27], off sc1
	s_waitcnt vmcnt(0)
	v_cmp_ne_u16_sdwa s[42:43], v23, v21 src0_sel:BYTE_0 src1_sel:DWORD
	s_or_b64 s[40:41], s[42:43], s[40:41]
	s_andn2_b64 exec, exec, s[40:41]
	s_cbranch_execnz .LBB290_41
; %bb.42:                               ;   in Loop: Header=BB290_38 Depth=1
	s_or_b64 exec, exec, s[40:41]
	s_branch .LBB290_37
.LBB290_43:                             ;   in Loop: Header=BB290_38 Depth=1
                                        ; implicit-def: $vgpr22
                                        ; implicit-def: $vgpr23
	s_cbranch_execz .LBB290_38
; %bb.44:
	s_and_saveexec_b64 s[38:39], s[18:19]
	s_cbranch_execz .LBB290_46
; %bb.45:
	s_add_i32 s2, s2, 64
	s_mov_b32 s3, 0
	s_lshl_b64 s[2:3], s[2:3], 3
	s_add_u32 s2, s34, s2
	v_add_u32_e32 v20, v17, v16
	v_mov_b32_e32 v21, 2
	s_addc_u32 s3, s35, s3
	v_mov_b32_e32 v22, 0
	global_store_dwordx2 v22, v[20:21], s[2:3] sc1
	ds_write_b64 v22, v[16:17] offset:28672
.LBB290_46:
	s_or_b64 exec, exec, s[38:39]
	v_cmp_eq_u32_e32 vcc, 0, v0
	s_and_b64 exec, exec, vcc
	s_cbranch_execz .LBB290_48
; %bb.47:
	v_mov_b32_e32 v16, 0
	ds_write_b32 v16, v17 offset:28
.LBB290_48:
	s_or_b64 exec, exec, s[36:37]
	v_mov_b32_e32 v16, 0
	s_waitcnt lgkmcnt(0)
	s_barrier
	ds_read_b32 v17, v16 offset:28
	v_cndmask_b32_e64 v20, v42, v41, s[18:19]
	v_cmp_ne_u32_e32 vcc, 0, v0
	s_waitcnt lgkmcnt(0)
	s_barrier
	v_cndmask_b32_e32 v20, 0, v20, vcc
	v_add_u32_e32 v27, v17, v20
	v_add_u32_e32 v26, v27, v33
	ds_read_b64 v[16:17], v16 offset:28672
	v_add_u32_e32 v25, v26, v34
	v_add_u32_e32 v24, v25, v35
	;; [unrolled: 1-line block ×5, first 2 shown]
	s_waitcnt lgkmcnt(0)
	v_mov_b32_e32 v20, v17
	s_branch .LBB290_59
.LBB290_49:
                                        ; implicit-def: $vgpr20
                                        ; implicit-def: $vgpr16
                                        ; implicit-def: $vgpr21
                                        ; implicit-def: $vgpr22
                                        ; implicit-def: $vgpr23
                                        ; implicit-def: $vgpr24
                                        ; implicit-def: $vgpr25
                                        ; implicit-def: $vgpr26
                                        ; implicit-def: $vgpr27
	s_cbranch_execz .LBB290_59
; %bb.50:
	s_nop 0
	v_mov_b32_dpp v16, v40 row_shr:1 row_mask:0xf bank_mask:0xf
	v_cndmask_b32_e64 v16, v16, 0, s[16:17]
	v_add_u32_e32 v16, v16, v40
	s_nop 1
	v_mov_b32_dpp v17, v16 row_shr:2 row_mask:0xf bank_mask:0xf
	v_cndmask_b32_e64 v17, 0, v17, s[14:15]
	v_add_u32_e32 v16, v16, v17
	;; [unrolled: 4-line block ×4, first 2 shown]
	s_nop 1
	v_mov_b32_dpp v17, v16 row_bcast:15 row_mask:0xf bank_mask:0xf
	v_cndmask_b32_e64 v17, v17, 0, s[8:9]
	v_add_u32_e32 v16, v16, v17
	s_nop 1
	v_mov_b32_dpp v17, v16 row_bcast:31 row_mask:0xf bank_mask:0xf
	v_cndmask_b32_e64 v17, 0, v17, s[4:5]
	v_add_u32_e32 v16, v16, v17
	s_and_saveexec_b64 s[2:3], s[6:7]
	s_cbranch_execz .LBB290_52
; %bb.51:
	v_lshlrev_b32_e32 v17, 2, v39
	ds_write_b32 v17, v16
.LBB290_52:
	s_or_b64 exec, exec, s[2:3]
	v_cmp_gt_u32_e32 vcc, 8, v0
	s_waitcnt lgkmcnt(0)
	s_barrier
	s_and_saveexec_b64 s[2:3], vcc
	s_cbranch_execz .LBB290_54
; %bb.53:
	s_movk_i32 s4, 0xffcc
	v_mad_i32_i24 v17, v0, s4, v32
	ds_read_b32 v20, v17
	v_and_b32_e32 v21, 7, v38
	v_cmp_ne_u32_e32 vcc, 0, v21
	s_waitcnt lgkmcnt(0)
	v_mov_b32_dpp v22, v20 row_shr:1 row_mask:0xf bank_mask:0xf
	v_cndmask_b32_e32 v22, 0, v22, vcc
	v_add_u32_e32 v20, v22, v20
	v_cmp_lt_u32_e32 vcc, 1, v21
	s_nop 0
	v_mov_b32_dpp v22, v20 row_shr:2 row_mask:0xf bank_mask:0xf
	v_cndmask_b32_e32 v22, 0, v22, vcc
	v_add_u32_e32 v20, v20, v22
	v_cmp_lt_u32_e32 vcc, 3, v21
	s_nop 0
	v_mov_b32_dpp v22, v20 row_shr:4 row_mask:0xf bank_mask:0xf
	v_cndmask_b32_e32 v21, 0, v22, vcc
	v_add_u32_e32 v20, v20, v21
	ds_write_b32 v17, v20
.LBB290_54:
	s_or_b64 exec, exec, s[2:3]
	v_cmp_lt_u32_e32 vcc, 63, v0
	v_mov_b32_e32 v17, 0
	v_mov_b32_e32 v20, 0
	s_waitcnt lgkmcnt(0)
	s_barrier
	s_and_saveexec_b64 s[2:3], vcc
	s_cbranch_execz .LBB290_56
; %bb.55:
	v_lshl_add_u32 v20, v39, 2, -4
	ds_read_b32 v20, v20
.LBB290_56:
	s_or_b64 exec, exec, s[2:3]
	v_add_u32_e32 v21, -1, v38
	v_and_b32_e32 v22, 64, v38
	v_cmp_lt_i32_e32 vcc, v21, v22
	s_waitcnt lgkmcnt(0)
	v_add_u32_e32 v16, v20, v16
	v_cndmask_b32_e32 v21, v21, v38, vcc
	v_lshlrev_b32_e32 v21, 2, v21
	ds_bpermute_b32 v21, v21, v16
	ds_read_b32 v16, v17 offset:28
	v_cmp_eq_u32_e32 vcc, 0, v0
	s_and_saveexec_b64 s[2:3], vcc
	s_cbranch_execz .LBB290_58
; %bb.57:
	v_mov_b32_e32 v22, 0
	v_mov_b32_e32 v17, 2
	s_waitcnt lgkmcnt(0)
	global_store_dwordx2 v22, v[16:17], s[34:35] offset:512 sc1
.LBB290_58:
	s_or_b64 exec, exec, s[2:3]
	v_cmp_eq_u32_e64 s[2:3], 0, v38
	s_waitcnt lgkmcnt(0)
	s_barrier
	v_cndmask_b32_e64 v17, v21, v20, s[2:3]
	v_cndmask_b32_e64 v27, v17, 0, vcc
	v_add_u32_e32 v26, v27, v33
	v_add_u32_e32 v25, v26, v34
	;; [unrolled: 1-line block ×5, first 2 shown]
	v_mov_b32_e32 v20, 0
	v_add_u32_e32 v21, v22, v37
.LBB290_59:
	v_add_u32_e32 v1, v16, v1
	v_sub_u32_e32 v27, v27, v20
	v_and_b32_e32 v33, 1, v30
	v_sub_u32_e32 v32, v1, v27
	v_cmp_eq_u32_e32 vcc, 1, v33
	v_lshrrev_b32_e32 v17, 8, v30
	v_and_b32_e32 v17, 1, v17
	v_cndmask_b32_e32 v27, v32, v27, vcc
	v_lshlrev_b32_e32 v27, 3, v27
	ds_write_b64 v27, v[10:11]
	v_sub_u32_e32 v10, v26, v20
	v_sub_u32_e32 v11, v1, v10
	v_add_u32_e32 v11, 1, v11
	v_cmp_eq_u32_e32 vcc, 1, v17
	s_load_dwordx4 s[0:3], s[0:1], 0x28
	v_or_b32_e32 v32, 0x200, v0
	v_cndmask_b32_e32 v10, v11, v10, vcc
	v_lshlrev_b32_e32 v10, 3, v10
	ds_write_b64 v10, v[12:13]
	v_sub_u32_e32 v10, v25, v20
	v_mov_b32_e32 v12, 1
	v_sub_u32_e32 v11, v1, v10
	v_and_b32_sdwa v12, v12, v30 dst_sel:DWORD dst_unused:UNUSED_PAD src0_sel:DWORD src1_sel:WORD_1
	v_add_u32_e32 v11, 2, v11
	v_cmp_eq_u32_e32 vcc, 1, v12
	v_or_b32_e32 v30, 0x600, v0
	s_nop 0
	v_cndmask_b32_e32 v10, v11, v10, vcc
	v_lshlrev_b32_e32 v10, 3, v10
	ds_write_b64 v10, v[6:7]
	v_sub_u32_e32 v6, v24, v20
	v_sub_u32_e32 v7, v1, v6
	v_and_b32_e32 v10, 1, v31
	v_add_u32_e32 v7, 3, v7
	v_cmp_eq_u32_e32 vcc, 1, v10
	v_or_b32_e32 v31, 0x400, v0
	s_nop 0
	v_cndmask_b32_e32 v6, v7, v6, vcc
	v_lshlrev_b32_e32 v6, 3, v6
	ds_write_b64 v6, v[8:9]
	v_sub_u32_e32 v6, v23, v20
	v_sub_u32_e32 v7, v1, v6
	v_and_b32_e32 v8, 1, v29
	v_add_u32_e32 v7, 4, v7
	v_cmp_eq_u32_e32 vcc, 1, v8
	v_or_b32_e32 v29, 0x800, v0
	s_nop 0
	v_cndmask_b32_e32 v6, v7, v6, vcc
	v_lshlrev_b32_e32 v6, 3, v6
	ds_write_b64 v6, v[2:3]
	v_sub_u32_e32 v2, v22, v20
	v_sub_u32_e32 v3, v1, v2
	v_and_b32_e32 v6, 1, v28
	v_add_u32_e32 v3, 5, v3
	v_cmp_eq_u32_e32 vcc, 1, v6
	v_or_b32_e32 v28, 0xa00, v0
	s_nop 0
	v_cndmask_b32_e32 v2, v3, v2, vcc
	v_lshlrev_b32_e32 v2, 3, v2
	ds_write_b64 v2, v[4:5]
	v_sub_u32_e32 v2, v21, v20
	v_sub_u32_e32 v1, v1, v2
	v_and_b32_e32 v3, 1, v19
	v_add_u32_e32 v1, 6, v1
	v_cmp_eq_u32_e32 vcc, 1, v3
	v_mov_b32_e32 v21, 0
	v_lshl_add_u64 v[26:27], s[28:29], 0, v[20:21]
	v_cndmask_b32_e32 v1, v1, v2, vcc
	v_lshlrev_b32_e32 v1, 3, v1
	v_mov_b32_e32 v17, v21
	ds_write_b64 v1, v[14:15]
	v_lshl_add_u64 v[14:15], v[26:27], 0, v[16:17]
	s_waitcnt lgkmcnt(0)
	s_barrier
	ds_read2st64_b64 v[10:13], v18 offset1:8
	ds_read2st64_b64 v[6:9], v18 offset0:16 offset1:24
	ds_read2st64_b64 v[2:5], v18 offset0:32 offset1:40
	ds_read_b64 v[22:23], v18 offset:24576
	v_mov_b32_e32 v17, s23
	v_sub_co_u32_e32 v24, vcc, s22, v14
	v_lshlrev_b64 v[26:27], 3, v[26:27]
	s_nop 0
	v_subb_co_u32_e32 v25, vcc, v17, v15, vcc
	v_lshlrev_b64 v[24:25], 3, v[24:25]
	v_lshl_add_u64 v[24:25], s[2:3], 0, v[24:25]
	v_or_b32_e32 v1, 0xc00, v0
	v_lshl_add_u64 v[24:25], v[24:25], 0, s[30:31]
	s_and_b64 vcc, exec, s[20:21]
	v_lshl_add_u64 v[26:27], s[0:1], 0, v[26:27]
	s_cbranch_vccnz .LBB290_61
; %bb.60:
	v_cmp_lt_u32_e32 vcc, v0, v16
	v_mov_b32_e32 v19, v21
	v_lshlrev_b32_e32 v20, 3, v32
	v_cndmask_b32_e32 v35, v25, v27, vcc
	v_cndmask_b32_e32 v34, v24, v26, vcc
	v_lshl_add_u64 v[34:35], v[34:35], 0, v[18:19]
	v_cmp_lt_u32_e32 vcc, v32, v16
	s_waitcnt lgkmcnt(3)
	global_store_dwordx2 v[34:35], v[10:11], off
	v_cndmask_b32_e32 v35, v25, v27, vcc
	v_cndmask_b32_e32 v34, v24, v26, vcc
	v_lshl_add_u64 v[34:35], v[34:35], 0, v[20:21]
	v_cmp_lt_u32_e32 vcc, v31, v16
	global_store_dwordx2 v[34:35], v[12:13], off
	v_lshlrev_b32_e32 v20, 3, v31
	v_cndmask_b32_e32 v35, v25, v27, vcc
	v_cndmask_b32_e32 v34, v24, v26, vcc
	v_lshl_add_u64 v[34:35], v[34:35], 0, v[20:21]
	v_cmp_lt_u32_e32 vcc, v30, v16
	s_waitcnt lgkmcnt(2)
	global_store_dwordx2 v[34:35], v[6:7], off
	v_lshlrev_b32_e32 v20, 3, v30
	v_cndmask_b32_e32 v35, v25, v27, vcc
	v_cndmask_b32_e32 v34, v24, v26, vcc
	v_lshl_add_u64 v[34:35], v[34:35], 0, v[20:21]
	v_cmp_lt_u32_e32 vcc, v29, v16
	global_store_dwordx2 v[34:35], v[8:9], off
	v_lshlrev_b32_e32 v20, 3, v29
	v_cndmask_b32_e32 v35, v25, v27, vcc
	v_cndmask_b32_e32 v34, v24, v26, vcc
	v_lshl_add_u64 v[34:35], v[34:35], 0, v[20:21]
	v_cmp_lt_u32_e32 vcc, v28, v16
	s_waitcnt lgkmcnt(1)
	global_store_dwordx2 v[34:35], v[2:3], off
	v_lshlrev_b32_e32 v20, 3, v28
	v_cndmask_b32_e32 v35, v25, v27, vcc
	v_cndmask_b32_e32 v34, v24, v26, vcc
	v_lshl_add_u64 v[20:21], v[34:35], 0, v[20:21]
	s_mov_b64 s[0:1], -1
	global_store_dwordx2 v[20:21], v[4:5], off
	s_cbranch_execz .LBB290_62
	s_branch .LBB290_70
.LBB290_61:
	s_mov_b64 s[0:1], 0
.LBB290_62:
	v_cmp_gt_u32_e32 vcc, s33, v0
	s_and_saveexec_b64 s[0:1], vcc
	s_cbranch_execnz .LBB290_75
; %bb.63:
	s_or_b64 exec, exec, s[0:1]
	v_cmp_gt_u32_e32 vcc, s33, v32
	s_and_saveexec_b64 s[0:1], vcc
	s_cbranch_execnz .LBB290_76
.LBB290_64:
	s_or_b64 exec, exec, s[0:1]
	v_cmp_gt_u32_e32 vcc, s33, v31
	s_and_saveexec_b64 s[0:1], vcc
	s_cbranch_execnz .LBB290_77
.LBB290_65:
	s_or_b64 exec, exec, s[0:1]
	v_cmp_gt_u32_e32 vcc, s33, v30
	s_and_saveexec_b64 s[0:1], vcc
	s_cbranch_execnz .LBB290_78
.LBB290_66:
	s_or_b64 exec, exec, s[0:1]
	v_cmp_gt_u32_e32 vcc, s33, v29
	s_and_saveexec_b64 s[0:1], vcc
	s_cbranch_execnz .LBB290_79
.LBB290_67:
	s_or_b64 exec, exec, s[0:1]
	v_cmp_gt_u32_e32 vcc, s33, v28
	s_and_saveexec_b64 s[0:1], vcc
	s_cbranch_execz .LBB290_69
.LBB290_68:
	v_cmp_lt_u32_e32 vcc, v28, v16
	s_waitcnt lgkmcnt(2)
	v_lshlrev_b32_e32 v6, 3, v28
	v_mov_b32_e32 v7, 0
	s_waitcnt lgkmcnt(1)
	v_cndmask_b32_e32 v3, v25, v27, vcc
	v_cndmask_b32_e32 v2, v24, v26, vcc
	v_lshl_add_u64 v[2:3], v[2:3], 0, v[6:7]
	global_store_dwordx2 v[2:3], v[4:5], off
.LBB290_69:
	s_or_b64 exec, exec, s[0:1]
	v_cmp_gt_u32_e64 s[0:1], s33, v1
.LBB290_70:
	s_and_saveexec_b64 s[2:3], s[0:1]
	s_cbranch_execz .LBB290_72
; %bb.71:
	v_cmp_lt_u32_e32 vcc, v1, v16
	s_waitcnt lgkmcnt(1)
	v_lshlrev_b32_e32 v4, 3, v1
	v_mov_b32_e32 v5, 0
	v_cndmask_b32_e32 v3, v25, v27, vcc
	v_cndmask_b32_e32 v2, v24, v26, vcc
	v_lshl_add_u64 v[2:3], v[2:3], 0, v[4:5]
	s_waitcnt lgkmcnt(0)
	global_store_dwordx2 v[2:3], v[22:23], off
.LBB290_72:
	s_or_b64 exec, exec, s[2:3]
	v_cmp_eq_u32_e32 vcc, 0, v0
	s_and_b64 s[0:1], vcc, s[26:27]
	s_and_saveexec_b64 s[2:3], s[0:1]
	s_cbranch_execz .LBB290_74
; %bb.73:
	v_mov_b32_e32 v0, 0
	global_store_dwordx2 v0, v[14:15], s[24:25]
.LBB290_74:
	s_endpgm
.LBB290_75:
	v_cmp_lt_u32_e32 vcc, v0, v16
	v_mov_b32_e32 v19, 0
	s_nop 0
	v_cndmask_b32_e32 v21, v25, v27, vcc
	v_cndmask_b32_e32 v20, v24, v26, vcc
	v_lshl_add_u64 v[18:19], v[20:21], 0, v[18:19]
	s_waitcnt lgkmcnt(3)
	global_store_dwordx2 v[18:19], v[10:11], off
	s_or_b64 exec, exec, s[0:1]
	v_cmp_gt_u32_e32 vcc, s33, v32
	s_and_saveexec_b64 s[0:1], vcc
	s_cbranch_execz .LBB290_64
.LBB290_76:
	v_cmp_lt_u32_e32 vcc, v32, v16
	v_lshlrev_b32_e32 v18, 3, v32
	v_mov_b32_e32 v19, 0
	s_waitcnt lgkmcnt(3)
	v_cndmask_b32_e32 v11, v25, v27, vcc
	v_cndmask_b32_e32 v10, v24, v26, vcc
	v_lshl_add_u64 v[10:11], v[10:11], 0, v[18:19]
	global_store_dwordx2 v[10:11], v[12:13], off
	s_or_b64 exec, exec, s[0:1]
	v_cmp_gt_u32_e32 vcc, s33, v31
	s_and_saveexec_b64 s[0:1], vcc
	s_cbranch_execz .LBB290_65
.LBB290_77:
	v_cmp_lt_u32_e32 vcc, v31, v16
	s_waitcnt lgkmcnt(3)
	v_lshlrev_b32_e32 v12, 3, v31
	v_mov_b32_e32 v13, 0
	v_cndmask_b32_e32 v11, v25, v27, vcc
	v_cndmask_b32_e32 v10, v24, v26, vcc
	v_lshl_add_u64 v[10:11], v[10:11], 0, v[12:13]
	s_waitcnt lgkmcnt(2)
	global_store_dwordx2 v[10:11], v[6:7], off
	s_or_b64 exec, exec, s[0:1]
	v_cmp_gt_u32_e32 vcc, s33, v30
	s_and_saveexec_b64 s[0:1], vcc
	s_cbranch_execz .LBB290_66
.LBB290_78:
	v_cmp_lt_u32_e32 vcc, v30, v16
	s_waitcnt lgkmcnt(3)
	v_lshlrev_b32_e32 v10, 3, v30
	v_mov_b32_e32 v11, 0
	s_waitcnt lgkmcnt(2)
	v_cndmask_b32_e32 v7, v25, v27, vcc
	v_cndmask_b32_e32 v6, v24, v26, vcc
	v_lshl_add_u64 v[6:7], v[6:7], 0, v[10:11]
	global_store_dwordx2 v[6:7], v[8:9], off
	s_or_b64 exec, exec, s[0:1]
	v_cmp_gt_u32_e32 vcc, s33, v29
	s_and_saveexec_b64 s[0:1], vcc
	s_cbranch_execz .LBB290_67
.LBB290_79:
	v_cmp_lt_u32_e32 vcc, v29, v16
	s_waitcnt lgkmcnt(2)
	v_lshlrev_b32_e32 v8, 3, v29
	v_mov_b32_e32 v9, 0
	v_cndmask_b32_e32 v7, v25, v27, vcc
	v_cndmask_b32_e32 v6, v24, v26, vcc
	v_lshl_add_u64 v[6:7], v[6:7], 0, v[8:9]
	s_waitcnt lgkmcnt(1)
	global_store_dwordx2 v[6:7], v[2:3], off
	s_or_b64 exec, exec, s[0:1]
	v_cmp_gt_u32_e32 vcc, s33, v28
	s_and_saveexec_b64 s[0:1], vcc
	s_cbranch_execnz .LBB290_68
	s_branch .LBB290_69
	.section	.rodata,"a",@progbits
	.p2align	6, 0x0
	.amdhsa_kernel _ZN7rocprim17ROCPRIM_400000_NS6detail17trampoline_kernelINS0_14default_configENS1_25partition_config_selectorILNS1_17partition_subalgoE0ExNS0_10empty_typeEbEEZZNS1_14partition_implILS5_0ELb0ES3_jN6thrust23THRUST_200600_302600_NS6detail15normal_iteratorINSA_10device_ptrIxEEEEPS6_SG_NS0_5tupleIJSF_SF_EEENSH_IJSG_SG_EEES6_PlJ7is_evenIxEEEE10hipError_tPvRmT3_T4_T5_T6_T7_T9_mT8_P12ihipStream_tbDpT10_ENKUlT_T0_E_clISt17integral_constantIbLb0EES16_EEDaS11_S12_EUlS11_E_NS1_11comp_targetILNS1_3genE5ELNS1_11target_archE942ELNS1_3gpuE9ELNS1_3repE0EEENS1_30default_config_static_selectorELNS0_4arch9wavefront6targetE1EEEvT1_
		.amdhsa_group_segment_fixed_size 28680
		.amdhsa_private_segment_fixed_size 0
		.amdhsa_kernarg_size 120
		.amdhsa_user_sgpr_count 2
		.amdhsa_user_sgpr_dispatch_ptr 0
		.amdhsa_user_sgpr_queue_ptr 0
		.amdhsa_user_sgpr_kernarg_segment_ptr 1
		.amdhsa_user_sgpr_dispatch_id 0
		.amdhsa_user_sgpr_kernarg_preload_length 0
		.amdhsa_user_sgpr_kernarg_preload_offset 0
		.amdhsa_user_sgpr_private_segment_size 0
		.amdhsa_uses_dynamic_stack 0
		.amdhsa_enable_private_segment 0
		.amdhsa_system_sgpr_workgroup_id_x 1
		.amdhsa_system_sgpr_workgroup_id_y 0
		.amdhsa_system_sgpr_workgroup_id_z 0
		.amdhsa_system_sgpr_workgroup_info 0
		.amdhsa_system_vgpr_workitem_id 0
		.amdhsa_next_free_vgpr 57
		.amdhsa_next_free_sgpr 44
		.amdhsa_accum_offset 60
		.amdhsa_reserve_vcc 1
		.amdhsa_float_round_mode_32 0
		.amdhsa_float_round_mode_16_64 0
		.amdhsa_float_denorm_mode_32 3
		.amdhsa_float_denorm_mode_16_64 3
		.amdhsa_dx10_clamp 1
		.amdhsa_ieee_mode 1
		.amdhsa_fp16_overflow 0
		.amdhsa_tg_split 0
		.amdhsa_exception_fp_ieee_invalid_op 0
		.amdhsa_exception_fp_denorm_src 0
		.amdhsa_exception_fp_ieee_div_zero 0
		.amdhsa_exception_fp_ieee_overflow 0
		.amdhsa_exception_fp_ieee_underflow 0
		.amdhsa_exception_fp_ieee_inexact 0
		.amdhsa_exception_int_div_zero 0
	.end_amdhsa_kernel
	.section	.text._ZN7rocprim17ROCPRIM_400000_NS6detail17trampoline_kernelINS0_14default_configENS1_25partition_config_selectorILNS1_17partition_subalgoE0ExNS0_10empty_typeEbEEZZNS1_14partition_implILS5_0ELb0ES3_jN6thrust23THRUST_200600_302600_NS6detail15normal_iteratorINSA_10device_ptrIxEEEEPS6_SG_NS0_5tupleIJSF_SF_EEENSH_IJSG_SG_EEES6_PlJ7is_evenIxEEEE10hipError_tPvRmT3_T4_T5_T6_T7_T9_mT8_P12ihipStream_tbDpT10_ENKUlT_T0_E_clISt17integral_constantIbLb0EES16_EEDaS11_S12_EUlS11_E_NS1_11comp_targetILNS1_3genE5ELNS1_11target_archE942ELNS1_3gpuE9ELNS1_3repE0EEENS1_30default_config_static_selectorELNS0_4arch9wavefront6targetE1EEEvT1_,"axG",@progbits,_ZN7rocprim17ROCPRIM_400000_NS6detail17trampoline_kernelINS0_14default_configENS1_25partition_config_selectorILNS1_17partition_subalgoE0ExNS0_10empty_typeEbEEZZNS1_14partition_implILS5_0ELb0ES3_jN6thrust23THRUST_200600_302600_NS6detail15normal_iteratorINSA_10device_ptrIxEEEEPS6_SG_NS0_5tupleIJSF_SF_EEENSH_IJSG_SG_EEES6_PlJ7is_evenIxEEEE10hipError_tPvRmT3_T4_T5_T6_T7_T9_mT8_P12ihipStream_tbDpT10_ENKUlT_T0_E_clISt17integral_constantIbLb0EES16_EEDaS11_S12_EUlS11_E_NS1_11comp_targetILNS1_3genE5ELNS1_11target_archE942ELNS1_3gpuE9ELNS1_3repE0EEENS1_30default_config_static_selectorELNS0_4arch9wavefront6targetE1EEEvT1_,comdat
.Lfunc_end290:
	.size	_ZN7rocprim17ROCPRIM_400000_NS6detail17trampoline_kernelINS0_14default_configENS1_25partition_config_selectorILNS1_17partition_subalgoE0ExNS0_10empty_typeEbEEZZNS1_14partition_implILS5_0ELb0ES3_jN6thrust23THRUST_200600_302600_NS6detail15normal_iteratorINSA_10device_ptrIxEEEEPS6_SG_NS0_5tupleIJSF_SF_EEENSH_IJSG_SG_EEES6_PlJ7is_evenIxEEEE10hipError_tPvRmT3_T4_T5_T6_T7_T9_mT8_P12ihipStream_tbDpT10_ENKUlT_T0_E_clISt17integral_constantIbLb0EES16_EEDaS11_S12_EUlS11_E_NS1_11comp_targetILNS1_3genE5ELNS1_11target_archE942ELNS1_3gpuE9ELNS1_3repE0EEENS1_30default_config_static_selectorELNS0_4arch9wavefront6targetE1EEEvT1_, .Lfunc_end290-_ZN7rocprim17ROCPRIM_400000_NS6detail17trampoline_kernelINS0_14default_configENS1_25partition_config_selectorILNS1_17partition_subalgoE0ExNS0_10empty_typeEbEEZZNS1_14partition_implILS5_0ELb0ES3_jN6thrust23THRUST_200600_302600_NS6detail15normal_iteratorINSA_10device_ptrIxEEEEPS6_SG_NS0_5tupleIJSF_SF_EEENSH_IJSG_SG_EEES6_PlJ7is_evenIxEEEE10hipError_tPvRmT3_T4_T5_T6_T7_T9_mT8_P12ihipStream_tbDpT10_ENKUlT_T0_E_clISt17integral_constantIbLb0EES16_EEDaS11_S12_EUlS11_E_NS1_11comp_targetILNS1_3genE5ELNS1_11target_archE942ELNS1_3gpuE9ELNS1_3repE0EEENS1_30default_config_static_selectorELNS0_4arch9wavefront6targetE1EEEvT1_
                                        ; -- End function
	.section	.AMDGPU.csdata,"",@progbits
; Kernel info:
; codeLenInByte = 4476
; NumSgprs: 50
; NumVgprs: 57
; NumAgprs: 0
; TotalNumVgprs: 57
; ScratchSize: 0
; MemoryBound: 0
; FloatMode: 240
; IeeeMode: 1
; LDSByteSize: 28680 bytes/workgroup (compile time only)
; SGPRBlocks: 6
; VGPRBlocks: 7
; NumSGPRsForWavesPerEU: 50
; NumVGPRsForWavesPerEU: 57
; AccumOffset: 60
; Occupancy: 4
; WaveLimiterHint : 1
; COMPUTE_PGM_RSRC2:SCRATCH_EN: 0
; COMPUTE_PGM_RSRC2:USER_SGPR: 2
; COMPUTE_PGM_RSRC2:TRAP_HANDLER: 0
; COMPUTE_PGM_RSRC2:TGID_X_EN: 1
; COMPUTE_PGM_RSRC2:TGID_Y_EN: 0
; COMPUTE_PGM_RSRC2:TGID_Z_EN: 0
; COMPUTE_PGM_RSRC2:TIDIG_COMP_CNT: 0
; COMPUTE_PGM_RSRC3_GFX90A:ACCUM_OFFSET: 14
; COMPUTE_PGM_RSRC3_GFX90A:TG_SPLIT: 0
	.section	.text._ZN7rocprim17ROCPRIM_400000_NS6detail17trampoline_kernelINS0_14default_configENS1_25partition_config_selectorILNS1_17partition_subalgoE0ExNS0_10empty_typeEbEEZZNS1_14partition_implILS5_0ELb0ES3_jN6thrust23THRUST_200600_302600_NS6detail15normal_iteratorINSA_10device_ptrIxEEEEPS6_SG_NS0_5tupleIJSF_SF_EEENSH_IJSG_SG_EEES6_PlJ7is_evenIxEEEE10hipError_tPvRmT3_T4_T5_T6_T7_T9_mT8_P12ihipStream_tbDpT10_ENKUlT_T0_E_clISt17integral_constantIbLb0EES16_EEDaS11_S12_EUlS11_E_NS1_11comp_targetILNS1_3genE4ELNS1_11target_archE910ELNS1_3gpuE8ELNS1_3repE0EEENS1_30default_config_static_selectorELNS0_4arch9wavefront6targetE1EEEvT1_,"axG",@progbits,_ZN7rocprim17ROCPRIM_400000_NS6detail17trampoline_kernelINS0_14default_configENS1_25partition_config_selectorILNS1_17partition_subalgoE0ExNS0_10empty_typeEbEEZZNS1_14partition_implILS5_0ELb0ES3_jN6thrust23THRUST_200600_302600_NS6detail15normal_iteratorINSA_10device_ptrIxEEEEPS6_SG_NS0_5tupleIJSF_SF_EEENSH_IJSG_SG_EEES6_PlJ7is_evenIxEEEE10hipError_tPvRmT3_T4_T5_T6_T7_T9_mT8_P12ihipStream_tbDpT10_ENKUlT_T0_E_clISt17integral_constantIbLb0EES16_EEDaS11_S12_EUlS11_E_NS1_11comp_targetILNS1_3genE4ELNS1_11target_archE910ELNS1_3gpuE8ELNS1_3repE0EEENS1_30default_config_static_selectorELNS0_4arch9wavefront6targetE1EEEvT1_,comdat
	.protected	_ZN7rocprim17ROCPRIM_400000_NS6detail17trampoline_kernelINS0_14default_configENS1_25partition_config_selectorILNS1_17partition_subalgoE0ExNS0_10empty_typeEbEEZZNS1_14partition_implILS5_0ELb0ES3_jN6thrust23THRUST_200600_302600_NS6detail15normal_iteratorINSA_10device_ptrIxEEEEPS6_SG_NS0_5tupleIJSF_SF_EEENSH_IJSG_SG_EEES6_PlJ7is_evenIxEEEE10hipError_tPvRmT3_T4_T5_T6_T7_T9_mT8_P12ihipStream_tbDpT10_ENKUlT_T0_E_clISt17integral_constantIbLb0EES16_EEDaS11_S12_EUlS11_E_NS1_11comp_targetILNS1_3genE4ELNS1_11target_archE910ELNS1_3gpuE8ELNS1_3repE0EEENS1_30default_config_static_selectorELNS0_4arch9wavefront6targetE1EEEvT1_ ; -- Begin function _ZN7rocprim17ROCPRIM_400000_NS6detail17trampoline_kernelINS0_14default_configENS1_25partition_config_selectorILNS1_17partition_subalgoE0ExNS0_10empty_typeEbEEZZNS1_14partition_implILS5_0ELb0ES3_jN6thrust23THRUST_200600_302600_NS6detail15normal_iteratorINSA_10device_ptrIxEEEEPS6_SG_NS0_5tupleIJSF_SF_EEENSH_IJSG_SG_EEES6_PlJ7is_evenIxEEEE10hipError_tPvRmT3_T4_T5_T6_T7_T9_mT8_P12ihipStream_tbDpT10_ENKUlT_T0_E_clISt17integral_constantIbLb0EES16_EEDaS11_S12_EUlS11_E_NS1_11comp_targetILNS1_3genE4ELNS1_11target_archE910ELNS1_3gpuE8ELNS1_3repE0EEENS1_30default_config_static_selectorELNS0_4arch9wavefront6targetE1EEEvT1_
	.globl	_ZN7rocprim17ROCPRIM_400000_NS6detail17trampoline_kernelINS0_14default_configENS1_25partition_config_selectorILNS1_17partition_subalgoE0ExNS0_10empty_typeEbEEZZNS1_14partition_implILS5_0ELb0ES3_jN6thrust23THRUST_200600_302600_NS6detail15normal_iteratorINSA_10device_ptrIxEEEEPS6_SG_NS0_5tupleIJSF_SF_EEENSH_IJSG_SG_EEES6_PlJ7is_evenIxEEEE10hipError_tPvRmT3_T4_T5_T6_T7_T9_mT8_P12ihipStream_tbDpT10_ENKUlT_T0_E_clISt17integral_constantIbLb0EES16_EEDaS11_S12_EUlS11_E_NS1_11comp_targetILNS1_3genE4ELNS1_11target_archE910ELNS1_3gpuE8ELNS1_3repE0EEENS1_30default_config_static_selectorELNS0_4arch9wavefront6targetE1EEEvT1_
	.p2align	8
	.type	_ZN7rocprim17ROCPRIM_400000_NS6detail17trampoline_kernelINS0_14default_configENS1_25partition_config_selectorILNS1_17partition_subalgoE0ExNS0_10empty_typeEbEEZZNS1_14partition_implILS5_0ELb0ES3_jN6thrust23THRUST_200600_302600_NS6detail15normal_iteratorINSA_10device_ptrIxEEEEPS6_SG_NS0_5tupleIJSF_SF_EEENSH_IJSG_SG_EEES6_PlJ7is_evenIxEEEE10hipError_tPvRmT3_T4_T5_T6_T7_T9_mT8_P12ihipStream_tbDpT10_ENKUlT_T0_E_clISt17integral_constantIbLb0EES16_EEDaS11_S12_EUlS11_E_NS1_11comp_targetILNS1_3genE4ELNS1_11target_archE910ELNS1_3gpuE8ELNS1_3repE0EEENS1_30default_config_static_selectorELNS0_4arch9wavefront6targetE1EEEvT1_,@function
_ZN7rocprim17ROCPRIM_400000_NS6detail17trampoline_kernelINS0_14default_configENS1_25partition_config_selectorILNS1_17partition_subalgoE0ExNS0_10empty_typeEbEEZZNS1_14partition_implILS5_0ELb0ES3_jN6thrust23THRUST_200600_302600_NS6detail15normal_iteratorINSA_10device_ptrIxEEEEPS6_SG_NS0_5tupleIJSF_SF_EEENSH_IJSG_SG_EEES6_PlJ7is_evenIxEEEE10hipError_tPvRmT3_T4_T5_T6_T7_T9_mT8_P12ihipStream_tbDpT10_ENKUlT_T0_E_clISt17integral_constantIbLb0EES16_EEDaS11_S12_EUlS11_E_NS1_11comp_targetILNS1_3genE4ELNS1_11target_archE910ELNS1_3gpuE8ELNS1_3repE0EEENS1_30default_config_static_selectorELNS0_4arch9wavefront6targetE1EEEvT1_: ; @_ZN7rocprim17ROCPRIM_400000_NS6detail17trampoline_kernelINS0_14default_configENS1_25partition_config_selectorILNS1_17partition_subalgoE0ExNS0_10empty_typeEbEEZZNS1_14partition_implILS5_0ELb0ES3_jN6thrust23THRUST_200600_302600_NS6detail15normal_iteratorINSA_10device_ptrIxEEEEPS6_SG_NS0_5tupleIJSF_SF_EEENSH_IJSG_SG_EEES6_PlJ7is_evenIxEEEE10hipError_tPvRmT3_T4_T5_T6_T7_T9_mT8_P12ihipStream_tbDpT10_ENKUlT_T0_E_clISt17integral_constantIbLb0EES16_EEDaS11_S12_EUlS11_E_NS1_11comp_targetILNS1_3genE4ELNS1_11target_archE910ELNS1_3gpuE8ELNS1_3repE0EEENS1_30default_config_static_selectorELNS0_4arch9wavefront6targetE1EEEvT1_
; %bb.0:
	.section	.rodata,"a",@progbits
	.p2align	6, 0x0
	.amdhsa_kernel _ZN7rocprim17ROCPRIM_400000_NS6detail17trampoline_kernelINS0_14default_configENS1_25partition_config_selectorILNS1_17partition_subalgoE0ExNS0_10empty_typeEbEEZZNS1_14partition_implILS5_0ELb0ES3_jN6thrust23THRUST_200600_302600_NS6detail15normal_iteratorINSA_10device_ptrIxEEEEPS6_SG_NS0_5tupleIJSF_SF_EEENSH_IJSG_SG_EEES6_PlJ7is_evenIxEEEE10hipError_tPvRmT3_T4_T5_T6_T7_T9_mT8_P12ihipStream_tbDpT10_ENKUlT_T0_E_clISt17integral_constantIbLb0EES16_EEDaS11_S12_EUlS11_E_NS1_11comp_targetILNS1_3genE4ELNS1_11target_archE910ELNS1_3gpuE8ELNS1_3repE0EEENS1_30default_config_static_selectorELNS0_4arch9wavefront6targetE1EEEvT1_
		.amdhsa_group_segment_fixed_size 0
		.amdhsa_private_segment_fixed_size 0
		.amdhsa_kernarg_size 120
		.amdhsa_user_sgpr_count 2
		.amdhsa_user_sgpr_dispatch_ptr 0
		.amdhsa_user_sgpr_queue_ptr 0
		.amdhsa_user_sgpr_kernarg_segment_ptr 1
		.amdhsa_user_sgpr_dispatch_id 0
		.amdhsa_user_sgpr_kernarg_preload_length 0
		.amdhsa_user_sgpr_kernarg_preload_offset 0
		.amdhsa_user_sgpr_private_segment_size 0
		.amdhsa_uses_dynamic_stack 0
		.amdhsa_enable_private_segment 0
		.amdhsa_system_sgpr_workgroup_id_x 1
		.amdhsa_system_sgpr_workgroup_id_y 0
		.amdhsa_system_sgpr_workgroup_id_z 0
		.amdhsa_system_sgpr_workgroup_info 0
		.amdhsa_system_vgpr_workitem_id 0
		.amdhsa_next_free_vgpr 1
		.amdhsa_next_free_sgpr 0
		.amdhsa_accum_offset 4
		.amdhsa_reserve_vcc 0
		.amdhsa_float_round_mode_32 0
		.amdhsa_float_round_mode_16_64 0
		.amdhsa_float_denorm_mode_32 3
		.amdhsa_float_denorm_mode_16_64 3
		.amdhsa_dx10_clamp 1
		.amdhsa_ieee_mode 1
		.amdhsa_fp16_overflow 0
		.amdhsa_tg_split 0
		.amdhsa_exception_fp_ieee_invalid_op 0
		.amdhsa_exception_fp_denorm_src 0
		.amdhsa_exception_fp_ieee_div_zero 0
		.amdhsa_exception_fp_ieee_overflow 0
		.amdhsa_exception_fp_ieee_underflow 0
		.amdhsa_exception_fp_ieee_inexact 0
		.amdhsa_exception_int_div_zero 0
	.end_amdhsa_kernel
	.section	.text._ZN7rocprim17ROCPRIM_400000_NS6detail17trampoline_kernelINS0_14default_configENS1_25partition_config_selectorILNS1_17partition_subalgoE0ExNS0_10empty_typeEbEEZZNS1_14partition_implILS5_0ELb0ES3_jN6thrust23THRUST_200600_302600_NS6detail15normal_iteratorINSA_10device_ptrIxEEEEPS6_SG_NS0_5tupleIJSF_SF_EEENSH_IJSG_SG_EEES6_PlJ7is_evenIxEEEE10hipError_tPvRmT3_T4_T5_T6_T7_T9_mT8_P12ihipStream_tbDpT10_ENKUlT_T0_E_clISt17integral_constantIbLb0EES16_EEDaS11_S12_EUlS11_E_NS1_11comp_targetILNS1_3genE4ELNS1_11target_archE910ELNS1_3gpuE8ELNS1_3repE0EEENS1_30default_config_static_selectorELNS0_4arch9wavefront6targetE1EEEvT1_,"axG",@progbits,_ZN7rocprim17ROCPRIM_400000_NS6detail17trampoline_kernelINS0_14default_configENS1_25partition_config_selectorILNS1_17partition_subalgoE0ExNS0_10empty_typeEbEEZZNS1_14partition_implILS5_0ELb0ES3_jN6thrust23THRUST_200600_302600_NS6detail15normal_iteratorINSA_10device_ptrIxEEEEPS6_SG_NS0_5tupleIJSF_SF_EEENSH_IJSG_SG_EEES6_PlJ7is_evenIxEEEE10hipError_tPvRmT3_T4_T5_T6_T7_T9_mT8_P12ihipStream_tbDpT10_ENKUlT_T0_E_clISt17integral_constantIbLb0EES16_EEDaS11_S12_EUlS11_E_NS1_11comp_targetILNS1_3genE4ELNS1_11target_archE910ELNS1_3gpuE8ELNS1_3repE0EEENS1_30default_config_static_selectorELNS0_4arch9wavefront6targetE1EEEvT1_,comdat
.Lfunc_end291:
	.size	_ZN7rocprim17ROCPRIM_400000_NS6detail17trampoline_kernelINS0_14default_configENS1_25partition_config_selectorILNS1_17partition_subalgoE0ExNS0_10empty_typeEbEEZZNS1_14partition_implILS5_0ELb0ES3_jN6thrust23THRUST_200600_302600_NS6detail15normal_iteratorINSA_10device_ptrIxEEEEPS6_SG_NS0_5tupleIJSF_SF_EEENSH_IJSG_SG_EEES6_PlJ7is_evenIxEEEE10hipError_tPvRmT3_T4_T5_T6_T7_T9_mT8_P12ihipStream_tbDpT10_ENKUlT_T0_E_clISt17integral_constantIbLb0EES16_EEDaS11_S12_EUlS11_E_NS1_11comp_targetILNS1_3genE4ELNS1_11target_archE910ELNS1_3gpuE8ELNS1_3repE0EEENS1_30default_config_static_selectorELNS0_4arch9wavefront6targetE1EEEvT1_, .Lfunc_end291-_ZN7rocprim17ROCPRIM_400000_NS6detail17trampoline_kernelINS0_14default_configENS1_25partition_config_selectorILNS1_17partition_subalgoE0ExNS0_10empty_typeEbEEZZNS1_14partition_implILS5_0ELb0ES3_jN6thrust23THRUST_200600_302600_NS6detail15normal_iteratorINSA_10device_ptrIxEEEEPS6_SG_NS0_5tupleIJSF_SF_EEENSH_IJSG_SG_EEES6_PlJ7is_evenIxEEEE10hipError_tPvRmT3_T4_T5_T6_T7_T9_mT8_P12ihipStream_tbDpT10_ENKUlT_T0_E_clISt17integral_constantIbLb0EES16_EEDaS11_S12_EUlS11_E_NS1_11comp_targetILNS1_3genE4ELNS1_11target_archE910ELNS1_3gpuE8ELNS1_3repE0EEENS1_30default_config_static_selectorELNS0_4arch9wavefront6targetE1EEEvT1_
                                        ; -- End function
	.section	.AMDGPU.csdata,"",@progbits
; Kernel info:
; codeLenInByte = 0
; NumSgprs: 6
; NumVgprs: 0
; NumAgprs: 0
; TotalNumVgprs: 0
; ScratchSize: 0
; MemoryBound: 0
; FloatMode: 240
; IeeeMode: 1
; LDSByteSize: 0 bytes/workgroup (compile time only)
; SGPRBlocks: 0
; VGPRBlocks: 0
; NumSGPRsForWavesPerEU: 6
; NumVGPRsForWavesPerEU: 1
; AccumOffset: 4
; Occupancy: 8
; WaveLimiterHint : 0
; COMPUTE_PGM_RSRC2:SCRATCH_EN: 0
; COMPUTE_PGM_RSRC2:USER_SGPR: 2
; COMPUTE_PGM_RSRC2:TRAP_HANDLER: 0
; COMPUTE_PGM_RSRC2:TGID_X_EN: 1
; COMPUTE_PGM_RSRC2:TGID_Y_EN: 0
; COMPUTE_PGM_RSRC2:TGID_Z_EN: 0
; COMPUTE_PGM_RSRC2:TIDIG_COMP_CNT: 0
; COMPUTE_PGM_RSRC3_GFX90A:ACCUM_OFFSET: 0
; COMPUTE_PGM_RSRC3_GFX90A:TG_SPLIT: 0
	.section	.text._ZN7rocprim17ROCPRIM_400000_NS6detail17trampoline_kernelINS0_14default_configENS1_25partition_config_selectorILNS1_17partition_subalgoE0ExNS0_10empty_typeEbEEZZNS1_14partition_implILS5_0ELb0ES3_jN6thrust23THRUST_200600_302600_NS6detail15normal_iteratorINSA_10device_ptrIxEEEEPS6_SG_NS0_5tupleIJSF_SF_EEENSH_IJSG_SG_EEES6_PlJ7is_evenIxEEEE10hipError_tPvRmT3_T4_T5_T6_T7_T9_mT8_P12ihipStream_tbDpT10_ENKUlT_T0_E_clISt17integral_constantIbLb0EES16_EEDaS11_S12_EUlS11_E_NS1_11comp_targetILNS1_3genE3ELNS1_11target_archE908ELNS1_3gpuE7ELNS1_3repE0EEENS1_30default_config_static_selectorELNS0_4arch9wavefront6targetE1EEEvT1_,"axG",@progbits,_ZN7rocprim17ROCPRIM_400000_NS6detail17trampoline_kernelINS0_14default_configENS1_25partition_config_selectorILNS1_17partition_subalgoE0ExNS0_10empty_typeEbEEZZNS1_14partition_implILS5_0ELb0ES3_jN6thrust23THRUST_200600_302600_NS6detail15normal_iteratorINSA_10device_ptrIxEEEEPS6_SG_NS0_5tupleIJSF_SF_EEENSH_IJSG_SG_EEES6_PlJ7is_evenIxEEEE10hipError_tPvRmT3_T4_T5_T6_T7_T9_mT8_P12ihipStream_tbDpT10_ENKUlT_T0_E_clISt17integral_constantIbLb0EES16_EEDaS11_S12_EUlS11_E_NS1_11comp_targetILNS1_3genE3ELNS1_11target_archE908ELNS1_3gpuE7ELNS1_3repE0EEENS1_30default_config_static_selectorELNS0_4arch9wavefront6targetE1EEEvT1_,comdat
	.protected	_ZN7rocprim17ROCPRIM_400000_NS6detail17trampoline_kernelINS0_14default_configENS1_25partition_config_selectorILNS1_17partition_subalgoE0ExNS0_10empty_typeEbEEZZNS1_14partition_implILS5_0ELb0ES3_jN6thrust23THRUST_200600_302600_NS6detail15normal_iteratorINSA_10device_ptrIxEEEEPS6_SG_NS0_5tupleIJSF_SF_EEENSH_IJSG_SG_EEES6_PlJ7is_evenIxEEEE10hipError_tPvRmT3_T4_T5_T6_T7_T9_mT8_P12ihipStream_tbDpT10_ENKUlT_T0_E_clISt17integral_constantIbLb0EES16_EEDaS11_S12_EUlS11_E_NS1_11comp_targetILNS1_3genE3ELNS1_11target_archE908ELNS1_3gpuE7ELNS1_3repE0EEENS1_30default_config_static_selectorELNS0_4arch9wavefront6targetE1EEEvT1_ ; -- Begin function _ZN7rocprim17ROCPRIM_400000_NS6detail17trampoline_kernelINS0_14default_configENS1_25partition_config_selectorILNS1_17partition_subalgoE0ExNS0_10empty_typeEbEEZZNS1_14partition_implILS5_0ELb0ES3_jN6thrust23THRUST_200600_302600_NS6detail15normal_iteratorINSA_10device_ptrIxEEEEPS6_SG_NS0_5tupleIJSF_SF_EEENSH_IJSG_SG_EEES6_PlJ7is_evenIxEEEE10hipError_tPvRmT3_T4_T5_T6_T7_T9_mT8_P12ihipStream_tbDpT10_ENKUlT_T0_E_clISt17integral_constantIbLb0EES16_EEDaS11_S12_EUlS11_E_NS1_11comp_targetILNS1_3genE3ELNS1_11target_archE908ELNS1_3gpuE7ELNS1_3repE0EEENS1_30default_config_static_selectorELNS0_4arch9wavefront6targetE1EEEvT1_
	.globl	_ZN7rocprim17ROCPRIM_400000_NS6detail17trampoline_kernelINS0_14default_configENS1_25partition_config_selectorILNS1_17partition_subalgoE0ExNS0_10empty_typeEbEEZZNS1_14partition_implILS5_0ELb0ES3_jN6thrust23THRUST_200600_302600_NS6detail15normal_iteratorINSA_10device_ptrIxEEEEPS6_SG_NS0_5tupleIJSF_SF_EEENSH_IJSG_SG_EEES6_PlJ7is_evenIxEEEE10hipError_tPvRmT3_T4_T5_T6_T7_T9_mT8_P12ihipStream_tbDpT10_ENKUlT_T0_E_clISt17integral_constantIbLb0EES16_EEDaS11_S12_EUlS11_E_NS1_11comp_targetILNS1_3genE3ELNS1_11target_archE908ELNS1_3gpuE7ELNS1_3repE0EEENS1_30default_config_static_selectorELNS0_4arch9wavefront6targetE1EEEvT1_
	.p2align	8
	.type	_ZN7rocprim17ROCPRIM_400000_NS6detail17trampoline_kernelINS0_14default_configENS1_25partition_config_selectorILNS1_17partition_subalgoE0ExNS0_10empty_typeEbEEZZNS1_14partition_implILS5_0ELb0ES3_jN6thrust23THRUST_200600_302600_NS6detail15normal_iteratorINSA_10device_ptrIxEEEEPS6_SG_NS0_5tupleIJSF_SF_EEENSH_IJSG_SG_EEES6_PlJ7is_evenIxEEEE10hipError_tPvRmT3_T4_T5_T6_T7_T9_mT8_P12ihipStream_tbDpT10_ENKUlT_T0_E_clISt17integral_constantIbLb0EES16_EEDaS11_S12_EUlS11_E_NS1_11comp_targetILNS1_3genE3ELNS1_11target_archE908ELNS1_3gpuE7ELNS1_3repE0EEENS1_30default_config_static_selectorELNS0_4arch9wavefront6targetE1EEEvT1_,@function
_ZN7rocprim17ROCPRIM_400000_NS6detail17trampoline_kernelINS0_14default_configENS1_25partition_config_selectorILNS1_17partition_subalgoE0ExNS0_10empty_typeEbEEZZNS1_14partition_implILS5_0ELb0ES3_jN6thrust23THRUST_200600_302600_NS6detail15normal_iteratorINSA_10device_ptrIxEEEEPS6_SG_NS0_5tupleIJSF_SF_EEENSH_IJSG_SG_EEES6_PlJ7is_evenIxEEEE10hipError_tPvRmT3_T4_T5_T6_T7_T9_mT8_P12ihipStream_tbDpT10_ENKUlT_T0_E_clISt17integral_constantIbLb0EES16_EEDaS11_S12_EUlS11_E_NS1_11comp_targetILNS1_3genE3ELNS1_11target_archE908ELNS1_3gpuE7ELNS1_3repE0EEENS1_30default_config_static_selectorELNS0_4arch9wavefront6targetE1EEEvT1_: ; @_ZN7rocprim17ROCPRIM_400000_NS6detail17trampoline_kernelINS0_14default_configENS1_25partition_config_selectorILNS1_17partition_subalgoE0ExNS0_10empty_typeEbEEZZNS1_14partition_implILS5_0ELb0ES3_jN6thrust23THRUST_200600_302600_NS6detail15normal_iteratorINSA_10device_ptrIxEEEEPS6_SG_NS0_5tupleIJSF_SF_EEENSH_IJSG_SG_EEES6_PlJ7is_evenIxEEEE10hipError_tPvRmT3_T4_T5_T6_T7_T9_mT8_P12ihipStream_tbDpT10_ENKUlT_T0_E_clISt17integral_constantIbLb0EES16_EEDaS11_S12_EUlS11_E_NS1_11comp_targetILNS1_3genE3ELNS1_11target_archE908ELNS1_3gpuE7ELNS1_3repE0EEENS1_30default_config_static_selectorELNS0_4arch9wavefront6targetE1EEEvT1_
; %bb.0:
	.section	.rodata,"a",@progbits
	.p2align	6, 0x0
	.amdhsa_kernel _ZN7rocprim17ROCPRIM_400000_NS6detail17trampoline_kernelINS0_14default_configENS1_25partition_config_selectorILNS1_17partition_subalgoE0ExNS0_10empty_typeEbEEZZNS1_14partition_implILS5_0ELb0ES3_jN6thrust23THRUST_200600_302600_NS6detail15normal_iteratorINSA_10device_ptrIxEEEEPS6_SG_NS0_5tupleIJSF_SF_EEENSH_IJSG_SG_EEES6_PlJ7is_evenIxEEEE10hipError_tPvRmT3_T4_T5_T6_T7_T9_mT8_P12ihipStream_tbDpT10_ENKUlT_T0_E_clISt17integral_constantIbLb0EES16_EEDaS11_S12_EUlS11_E_NS1_11comp_targetILNS1_3genE3ELNS1_11target_archE908ELNS1_3gpuE7ELNS1_3repE0EEENS1_30default_config_static_selectorELNS0_4arch9wavefront6targetE1EEEvT1_
		.amdhsa_group_segment_fixed_size 0
		.amdhsa_private_segment_fixed_size 0
		.amdhsa_kernarg_size 120
		.amdhsa_user_sgpr_count 2
		.amdhsa_user_sgpr_dispatch_ptr 0
		.amdhsa_user_sgpr_queue_ptr 0
		.amdhsa_user_sgpr_kernarg_segment_ptr 1
		.amdhsa_user_sgpr_dispatch_id 0
		.amdhsa_user_sgpr_kernarg_preload_length 0
		.amdhsa_user_sgpr_kernarg_preload_offset 0
		.amdhsa_user_sgpr_private_segment_size 0
		.amdhsa_uses_dynamic_stack 0
		.amdhsa_enable_private_segment 0
		.amdhsa_system_sgpr_workgroup_id_x 1
		.amdhsa_system_sgpr_workgroup_id_y 0
		.amdhsa_system_sgpr_workgroup_id_z 0
		.amdhsa_system_sgpr_workgroup_info 0
		.amdhsa_system_vgpr_workitem_id 0
		.amdhsa_next_free_vgpr 1
		.amdhsa_next_free_sgpr 0
		.amdhsa_accum_offset 4
		.amdhsa_reserve_vcc 0
		.amdhsa_float_round_mode_32 0
		.amdhsa_float_round_mode_16_64 0
		.amdhsa_float_denorm_mode_32 3
		.amdhsa_float_denorm_mode_16_64 3
		.amdhsa_dx10_clamp 1
		.amdhsa_ieee_mode 1
		.amdhsa_fp16_overflow 0
		.amdhsa_tg_split 0
		.amdhsa_exception_fp_ieee_invalid_op 0
		.amdhsa_exception_fp_denorm_src 0
		.amdhsa_exception_fp_ieee_div_zero 0
		.amdhsa_exception_fp_ieee_overflow 0
		.amdhsa_exception_fp_ieee_underflow 0
		.amdhsa_exception_fp_ieee_inexact 0
		.amdhsa_exception_int_div_zero 0
	.end_amdhsa_kernel
	.section	.text._ZN7rocprim17ROCPRIM_400000_NS6detail17trampoline_kernelINS0_14default_configENS1_25partition_config_selectorILNS1_17partition_subalgoE0ExNS0_10empty_typeEbEEZZNS1_14partition_implILS5_0ELb0ES3_jN6thrust23THRUST_200600_302600_NS6detail15normal_iteratorINSA_10device_ptrIxEEEEPS6_SG_NS0_5tupleIJSF_SF_EEENSH_IJSG_SG_EEES6_PlJ7is_evenIxEEEE10hipError_tPvRmT3_T4_T5_T6_T7_T9_mT8_P12ihipStream_tbDpT10_ENKUlT_T0_E_clISt17integral_constantIbLb0EES16_EEDaS11_S12_EUlS11_E_NS1_11comp_targetILNS1_3genE3ELNS1_11target_archE908ELNS1_3gpuE7ELNS1_3repE0EEENS1_30default_config_static_selectorELNS0_4arch9wavefront6targetE1EEEvT1_,"axG",@progbits,_ZN7rocprim17ROCPRIM_400000_NS6detail17trampoline_kernelINS0_14default_configENS1_25partition_config_selectorILNS1_17partition_subalgoE0ExNS0_10empty_typeEbEEZZNS1_14partition_implILS5_0ELb0ES3_jN6thrust23THRUST_200600_302600_NS6detail15normal_iteratorINSA_10device_ptrIxEEEEPS6_SG_NS0_5tupleIJSF_SF_EEENSH_IJSG_SG_EEES6_PlJ7is_evenIxEEEE10hipError_tPvRmT3_T4_T5_T6_T7_T9_mT8_P12ihipStream_tbDpT10_ENKUlT_T0_E_clISt17integral_constantIbLb0EES16_EEDaS11_S12_EUlS11_E_NS1_11comp_targetILNS1_3genE3ELNS1_11target_archE908ELNS1_3gpuE7ELNS1_3repE0EEENS1_30default_config_static_selectorELNS0_4arch9wavefront6targetE1EEEvT1_,comdat
.Lfunc_end292:
	.size	_ZN7rocprim17ROCPRIM_400000_NS6detail17trampoline_kernelINS0_14default_configENS1_25partition_config_selectorILNS1_17partition_subalgoE0ExNS0_10empty_typeEbEEZZNS1_14partition_implILS5_0ELb0ES3_jN6thrust23THRUST_200600_302600_NS6detail15normal_iteratorINSA_10device_ptrIxEEEEPS6_SG_NS0_5tupleIJSF_SF_EEENSH_IJSG_SG_EEES6_PlJ7is_evenIxEEEE10hipError_tPvRmT3_T4_T5_T6_T7_T9_mT8_P12ihipStream_tbDpT10_ENKUlT_T0_E_clISt17integral_constantIbLb0EES16_EEDaS11_S12_EUlS11_E_NS1_11comp_targetILNS1_3genE3ELNS1_11target_archE908ELNS1_3gpuE7ELNS1_3repE0EEENS1_30default_config_static_selectorELNS0_4arch9wavefront6targetE1EEEvT1_, .Lfunc_end292-_ZN7rocprim17ROCPRIM_400000_NS6detail17trampoline_kernelINS0_14default_configENS1_25partition_config_selectorILNS1_17partition_subalgoE0ExNS0_10empty_typeEbEEZZNS1_14partition_implILS5_0ELb0ES3_jN6thrust23THRUST_200600_302600_NS6detail15normal_iteratorINSA_10device_ptrIxEEEEPS6_SG_NS0_5tupleIJSF_SF_EEENSH_IJSG_SG_EEES6_PlJ7is_evenIxEEEE10hipError_tPvRmT3_T4_T5_T6_T7_T9_mT8_P12ihipStream_tbDpT10_ENKUlT_T0_E_clISt17integral_constantIbLb0EES16_EEDaS11_S12_EUlS11_E_NS1_11comp_targetILNS1_3genE3ELNS1_11target_archE908ELNS1_3gpuE7ELNS1_3repE0EEENS1_30default_config_static_selectorELNS0_4arch9wavefront6targetE1EEEvT1_
                                        ; -- End function
	.section	.AMDGPU.csdata,"",@progbits
; Kernel info:
; codeLenInByte = 0
; NumSgprs: 6
; NumVgprs: 0
; NumAgprs: 0
; TotalNumVgprs: 0
; ScratchSize: 0
; MemoryBound: 0
; FloatMode: 240
; IeeeMode: 1
; LDSByteSize: 0 bytes/workgroup (compile time only)
; SGPRBlocks: 0
; VGPRBlocks: 0
; NumSGPRsForWavesPerEU: 6
; NumVGPRsForWavesPerEU: 1
; AccumOffset: 4
; Occupancy: 8
; WaveLimiterHint : 0
; COMPUTE_PGM_RSRC2:SCRATCH_EN: 0
; COMPUTE_PGM_RSRC2:USER_SGPR: 2
; COMPUTE_PGM_RSRC2:TRAP_HANDLER: 0
; COMPUTE_PGM_RSRC2:TGID_X_EN: 1
; COMPUTE_PGM_RSRC2:TGID_Y_EN: 0
; COMPUTE_PGM_RSRC2:TGID_Z_EN: 0
; COMPUTE_PGM_RSRC2:TIDIG_COMP_CNT: 0
; COMPUTE_PGM_RSRC3_GFX90A:ACCUM_OFFSET: 0
; COMPUTE_PGM_RSRC3_GFX90A:TG_SPLIT: 0
	.section	.text._ZN7rocprim17ROCPRIM_400000_NS6detail17trampoline_kernelINS0_14default_configENS1_25partition_config_selectorILNS1_17partition_subalgoE0ExNS0_10empty_typeEbEEZZNS1_14partition_implILS5_0ELb0ES3_jN6thrust23THRUST_200600_302600_NS6detail15normal_iteratorINSA_10device_ptrIxEEEEPS6_SG_NS0_5tupleIJSF_SF_EEENSH_IJSG_SG_EEES6_PlJ7is_evenIxEEEE10hipError_tPvRmT3_T4_T5_T6_T7_T9_mT8_P12ihipStream_tbDpT10_ENKUlT_T0_E_clISt17integral_constantIbLb0EES16_EEDaS11_S12_EUlS11_E_NS1_11comp_targetILNS1_3genE2ELNS1_11target_archE906ELNS1_3gpuE6ELNS1_3repE0EEENS1_30default_config_static_selectorELNS0_4arch9wavefront6targetE1EEEvT1_,"axG",@progbits,_ZN7rocprim17ROCPRIM_400000_NS6detail17trampoline_kernelINS0_14default_configENS1_25partition_config_selectorILNS1_17partition_subalgoE0ExNS0_10empty_typeEbEEZZNS1_14partition_implILS5_0ELb0ES3_jN6thrust23THRUST_200600_302600_NS6detail15normal_iteratorINSA_10device_ptrIxEEEEPS6_SG_NS0_5tupleIJSF_SF_EEENSH_IJSG_SG_EEES6_PlJ7is_evenIxEEEE10hipError_tPvRmT3_T4_T5_T6_T7_T9_mT8_P12ihipStream_tbDpT10_ENKUlT_T0_E_clISt17integral_constantIbLb0EES16_EEDaS11_S12_EUlS11_E_NS1_11comp_targetILNS1_3genE2ELNS1_11target_archE906ELNS1_3gpuE6ELNS1_3repE0EEENS1_30default_config_static_selectorELNS0_4arch9wavefront6targetE1EEEvT1_,comdat
	.protected	_ZN7rocprim17ROCPRIM_400000_NS6detail17trampoline_kernelINS0_14default_configENS1_25partition_config_selectorILNS1_17partition_subalgoE0ExNS0_10empty_typeEbEEZZNS1_14partition_implILS5_0ELb0ES3_jN6thrust23THRUST_200600_302600_NS6detail15normal_iteratorINSA_10device_ptrIxEEEEPS6_SG_NS0_5tupleIJSF_SF_EEENSH_IJSG_SG_EEES6_PlJ7is_evenIxEEEE10hipError_tPvRmT3_T4_T5_T6_T7_T9_mT8_P12ihipStream_tbDpT10_ENKUlT_T0_E_clISt17integral_constantIbLb0EES16_EEDaS11_S12_EUlS11_E_NS1_11comp_targetILNS1_3genE2ELNS1_11target_archE906ELNS1_3gpuE6ELNS1_3repE0EEENS1_30default_config_static_selectorELNS0_4arch9wavefront6targetE1EEEvT1_ ; -- Begin function _ZN7rocprim17ROCPRIM_400000_NS6detail17trampoline_kernelINS0_14default_configENS1_25partition_config_selectorILNS1_17partition_subalgoE0ExNS0_10empty_typeEbEEZZNS1_14partition_implILS5_0ELb0ES3_jN6thrust23THRUST_200600_302600_NS6detail15normal_iteratorINSA_10device_ptrIxEEEEPS6_SG_NS0_5tupleIJSF_SF_EEENSH_IJSG_SG_EEES6_PlJ7is_evenIxEEEE10hipError_tPvRmT3_T4_T5_T6_T7_T9_mT8_P12ihipStream_tbDpT10_ENKUlT_T0_E_clISt17integral_constantIbLb0EES16_EEDaS11_S12_EUlS11_E_NS1_11comp_targetILNS1_3genE2ELNS1_11target_archE906ELNS1_3gpuE6ELNS1_3repE0EEENS1_30default_config_static_selectorELNS0_4arch9wavefront6targetE1EEEvT1_
	.globl	_ZN7rocprim17ROCPRIM_400000_NS6detail17trampoline_kernelINS0_14default_configENS1_25partition_config_selectorILNS1_17partition_subalgoE0ExNS0_10empty_typeEbEEZZNS1_14partition_implILS5_0ELb0ES3_jN6thrust23THRUST_200600_302600_NS6detail15normal_iteratorINSA_10device_ptrIxEEEEPS6_SG_NS0_5tupleIJSF_SF_EEENSH_IJSG_SG_EEES6_PlJ7is_evenIxEEEE10hipError_tPvRmT3_T4_T5_T6_T7_T9_mT8_P12ihipStream_tbDpT10_ENKUlT_T0_E_clISt17integral_constantIbLb0EES16_EEDaS11_S12_EUlS11_E_NS1_11comp_targetILNS1_3genE2ELNS1_11target_archE906ELNS1_3gpuE6ELNS1_3repE0EEENS1_30default_config_static_selectorELNS0_4arch9wavefront6targetE1EEEvT1_
	.p2align	8
	.type	_ZN7rocprim17ROCPRIM_400000_NS6detail17trampoline_kernelINS0_14default_configENS1_25partition_config_selectorILNS1_17partition_subalgoE0ExNS0_10empty_typeEbEEZZNS1_14partition_implILS5_0ELb0ES3_jN6thrust23THRUST_200600_302600_NS6detail15normal_iteratorINSA_10device_ptrIxEEEEPS6_SG_NS0_5tupleIJSF_SF_EEENSH_IJSG_SG_EEES6_PlJ7is_evenIxEEEE10hipError_tPvRmT3_T4_T5_T6_T7_T9_mT8_P12ihipStream_tbDpT10_ENKUlT_T0_E_clISt17integral_constantIbLb0EES16_EEDaS11_S12_EUlS11_E_NS1_11comp_targetILNS1_3genE2ELNS1_11target_archE906ELNS1_3gpuE6ELNS1_3repE0EEENS1_30default_config_static_selectorELNS0_4arch9wavefront6targetE1EEEvT1_,@function
_ZN7rocprim17ROCPRIM_400000_NS6detail17trampoline_kernelINS0_14default_configENS1_25partition_config_selectorILNS1_17partition_subalgoE0ExNS0_10empty_typeEbEEZZNS1_14partition_implILS5_0ELb0ES3_jN6thrust23THRUST_200600_302600_NS6detail15normal_iteratorINSA_10device_ptrIxEEEEPS6_SG_NS0_5tupleIJSF_SF_EEENSH_IJSG_SG_EEES6_PlJ7is_evenIxEEEE10hipError_tPvRmT3_T4_T5_T6_T7_T9_mT8_P12ihipStream_tbDpT10_ENKUlT_T0_E_clISt17integral_constantIbLb0EES16_EEDaS11_S12_EUlS11_E_NS1_11comp_targetILNS1_3genE2ELNS1_11target_archE906ELNS1_3gpuE6ELNS1_3repE0EEENS1_30default_config_static_selectorELNS0_4arch9wavefront6targetE1EEEvT1_: ; @_ZN7rocprim17ROCPRIM_400000_NS6detail17trampoline_kernelINS0_14default_configENS1_25partition_config_selectorILNS1_17partition_subalgoE0ExNS0_10empty_typeEbEEZZNS1_14partition_implILS5_0ELb0ES3_jN6thrust23THRUST_200600_302600_NS6detail15normal_iteratorINSA_10device_ptrIxEEEEPS6_SG_NS0_5tupleIJSF_SF_EEENSH_IJSG_SG_EEES6_PlJ7is_evenIxEEEE10hipError_tPvRmT3_T4_T5_T6_T7_T9_mT8_P12ihipStream_tbDpT10_ENKUlT_T0_E_clISt17integral_constantIbLb0EES16_EEDaS11_S12_EUlS11_E_NS1_11comp_targetILNS1_3genE2ELNS1_11target_archE906ELNS1_3gpuE6ELNS1_3repE0EEENS1_30default_config_static_selectorELNS0_4arch9wavefront6targetE1EEEvT1_
; %bb.0:
	.section	.rodata,"a",@progbits
	.p2align	6, 0x0
	.amdhsa_kernel _ZN7rocprim17ROCPRIM_400000_NS6detail17trampoline_kernelINS0_14default_configENS1_25partition_config_selectorILNS1_17partition_subalgoE0ExNS0_10empty_typeEbEEZZNS1_14partition_implILS5_0ELb0ES3_jN6thrust23THRUST_200600_302600_NS6detail15normal_iteratorINSA_10device_ptrIxEEEEPS6_SG_NS0_5tupleIJSF_SF_EEENSH_IJSG_SG_EEES6_PlJ7is_evenIxEEEE10hipError_tPvRmT3_T4_T5_T6_T7_T9_mT8_P12ihipStream_tbDpT10_ENKUlT_T0_E_clISt17integral_constantIbLb0EES16_EEDaS11_S12_EUlS11_E_NS1_11comp_targetILNS1_3genE2ELNS1_11target_archE906ELNS1_3gpuE6ELNS1_3repE0EEENS1_30default_config_static_selectorELNS0_4arch9wavefront6targetE1EEEvT1_
		.amdhsa_group_segment_fixed_size 0
		.amdhsa_private_segment_fixed_size 0
		.amdhsa_kernarg_size 120
		.amdhsa_user_sgpr_count 2
		.amdhsa_user_sgpr_dispatch_ptr 0
		.amdhsa_user_sgpr_queue_ptr 0
		.amdhsa_user_sgpr_kernarg_segment_ptr 1
		.amdhsa_user_sgpr_dispatch_id 0
		.amdhsa_user_sgpr_kernarg_preload_length 0
		.amdhsa_user_sgpr_kernarg_preload_offset 0
		.amdhsa_user_sgpr_private_segment_size 0
		.amdhsa_uses_dynamic_stack 0
		.amdhsa_enable_private_segment 0
		.amdhsa_system_sgpr_workgroup_id_x 1
		.amdhsa_system_sgpr_workgroup_id_y 0
		.amdhsa_system_sgpr_workgroup_id_z 0
		.amdhsa_system_sgpr_workgroup_info 0
		.amdhsa_system_vgpr_workitem_id 0
		.amdhsa_next_free_vgpr 1
		.amdhsa_next_free_sgpr 0
		.amdhsa_accum_offset 4
		.amdhsa_reserve_vcc 0
		.amdhsa_float_round_mode_32 0
		.amdhsa_float_round_mode_16_64 0
		.amdhsa_float_denorm_mode_32 3
		.amdhsa_float_denorm_mode_16_64 3
		.amdhsa_dx10_clamp 1
		.amdhsa_ieee_mode 1
		.amdhsa_fp16_overflow 0
		.amdhsa_tg_split 0
		.amdhsa_exception_fp_ieee_invalid_op 0
		.amdhsa_exception_fp_denorm_src 0
		.amdhsa_exception_fp_ieee_div_zero 0
		.amdhsa_exception_fp_ieee_overflow 0
		.amdhsa_exception_fp_ieee_underflow 0
		.amdhsa_exception_fp_ieee_inexact 0
		.amdhsa_exception_int_div_zero 0
	.end_amdhsa_kernel
	.section	.text._ZN7rocprim17ROCPRIM_400000_NS6detail17trampoline_kernelINS0_14default_configENS1_25partition_config_selectorILNS1_17partition_subalgoE0ExNS0_10empty_typeEbEEZZNS1_14partition_implILS5_0ELb0ES3_jN6thrust23THRUST_200600_302600_NS6detail15normal_iteratorINSA_10device_ptrIxEEEEPS6_SG_NS0_5tupleIJSF_SF_EEENSH_IJSG_SG_EEES6_PlJ7is_evenIxEEEE10hipError_tPvRmT3_T4_T5_T6_T7_T9_mT8_P12ihipStream_tbDpT10_ENKUlT_T0_E_clISt17integral_constantIbLb0EES16_EEDaS11_S12_EUlS11_E_NS1_11comp_targetILNS1_3genE2ELNS1_11target_archE906ELNS1_3gpuE6ELNS1_3repE0EEENS1_30default_config_static_selectorELNS0_4arch9wavefront6targetE1EEEvT1_,"axG",@progbits,_ZN7rocprim17ROCPRIM_400000_NS6detail17trampoline_kernelINS0_14default_configENS1_25partition_config_selectorILNS1_17partition_subalgoE0ExNS0_10empty_typeEbEEZZNS1_14partition_implILS5_0ELb0ES3_jN6thrust23THRUST_200600_302600_NS6detail15normal_iteratorINSA_10device_ptrIxEEEEPS6_SG_NS0_5tupleIJSF_SF_EEENSH_IJSG_SG_EEES6_PlJ7is_evenIxEEEE10hipError_tPvRmT3_T4_T5_T6_T7_T9_mT8_P12ihipStream_tbDpT10_ENKUlT_T0_E_clISt17integral_constantIbLb0EES16_EEDaS11_S12_EUlS11_E_NS1_11comp_targetILNS1_3genE2ELNS1_11target_archE906ELNS1_3gpuE6ELNS1_3repE0EEENS1_30default_config_static_selectorELNS0_4arch9wavefront6targetE1EEEvT1_,comdat
.Lfunc_end293:
	.size	_ZN7rocprim17ROCPRIM_400000_NS6detail17trampoline_kernelINS0_14default_configENS1_25partition_config_selectorILNS1_17partition_subalgoE0ExNS0_10empty_typeEbEEZZNS1_14partition_implILS5_0ELb0ES3_jN6thrust23THRUST_200600_302600_NS6detail15normal_iteratorINSA_10device_ptrIxEEEEPS6_SG_NS0_5tupleIJSF_SF_EEENSH_IJSG_SG_EEES6_PlJ7is_evenIxEEEE10hipError_tPvRmT3_T4_T5_T6_T7_T9_mT8_P12ihipStream_tbDpT10_ENKUlT_T0_E_clISt17integral_constantIbLb0EES16_EEDaS11_S12_EUlS11_E_NS1_11comp_targetILNS1_3genE2ELNS1_11target_archE906ELNS1_3gpuE6ELNS1_3repE0EEENS1_30default_config_static_selectorELNS0_4arch9wavefront6targetE1EEEvT1_, .Lfunc_end293-_ZN7rocprim17ROCPRIM_400000_NS6detail17trampoline_kernelINS0_14default_configENS1_25partition_config_selectorILNS1_17partition_subalgoE0ExNS0_10empty_typeEbEEZZNS1_14partition_implILS5_0ELb0ES3_jN6thrust23THRUST_200600_302600_NS6detail15normal_iteratorINSA_10device_ptrIxEEEEPS6_SG_NS0_5tupleIJSF_SF_EEENSH_IJSG_SG_EEES6_PlJ7is_evenIxEEEE10hipError_tPvRmT3_T4_T5_T6_T7_T9_mT8_P12ihipStream_tbDpT10_ENKUlT_T0_E_clISt17integral_constantIbLb0EES16_EEDaS11_S12_EUlS11_E_NS1_11comp_targetILNS1_3genE2ELNS1_11target_archE906ELNS1_3gpuE6ELNS1_3repE0EEENS1_30default_config_static_selectorELNS0_4arch9wavefront6targetE1EEEvT1_
                                        ; -- End function
	.section	.AMDGPU.csdata,"",@progbits
; Kernel info:
; codeLenInByte = 0
; NumSgprs: 6
; NumVgprs: 0
; NumAgprs: 0
; TotalNumVgprs: 0
; ScratchSize: 0
; MemoryBound: 0
; FloatMode: 240
; IeeeMode: 1
; LDSByteSize: 0 bytes/workgroup (compile time only)
; SGPRBlocks: 0
; VGPRBlocks: 0
; NumSGPRsForWavesPerEU: 6
; NumVGPRsForWavesPerEU: 1
; AccumOffset: 4
; Occupancy: 8
; WaveLimiterHint : 0
; COMPUTE_PGM_RSRC2:SCRATCH_EN: 0
; COMPUTE_PGM_RSRC2:USER_SGPR: 2
; COMPUTE_PGM_RSRC2:TRAP_HANDLER: 0
; COMPUTE_PGM_RSRC2:TGID_X_EN: 1
; COMPUTE_PGM_RSRC2:TGID_Y_EN: 0
; COMPUTE_PGM_RSRC2:TGID_Z_EN: 0
; COMPUTE_PGM_RSRC2:TIDIG_COMP_CNT: 0
; COMPUTE_PGM_RSRC3_GFX90A:ACCUM_OFFSET: 0
; COMPUTE_PGM_RSRC3_GFX90A:TG_SPLIT: 0
	.section	.text._ZN7rocprim17ROCPRIM_400000_NS6detail17trampoline_kernelINS0_14default_configENS1_25partition_config_selectorILNS1_17partition_subalgoE0ExNS0_10empty_typeEbEEZZNS1_14partition_implILS5_0ELb0ES3_jN6thrust23THRUST_200600_302600_NS6detail15normal_iteratorINSA_10device_ptrIxEEEEPS6_SG_NS0_5tupleIJSF_SF_EEENSH_IJSG_SG_EEES6_PlJ7is_evenIxEEEE10hipError_tPvRmT3_T4_T5_T6_T7_T9_mT8_P12ihipStream_tbDpT10_ENKUlT_T0_E_clISt17integral_constantIbLb0EES16_EEDaS11_S12_EUlS11_E_NS1_11comp_targetILNS1_3genE10ELNS1_11target_archE1200ELNS1_3gpuE4ELNS1_3repE0EEENS1_30default_config_static_selectorELNS0_4arch9wavefront6targetE1EEEvT1_,"axG",@progbits,_ZN7rocprim17ROCPRIM_400000_NS6detail17trampoline_kernelINS0_14default_configENS1_25partition_config_selectorILNS1_17partition_subalgoE0ExNS0_10empty_typeEbEEZZNS1_14partition_implILS5_0ELb0ES3_jN6thrust23THRUST_200600_302600_NS6detail15normal_iteratorINSA_10device_ptrIxEEEEPS6_SG_NS0_5tupleIJSF_SF_EEENSH_IJSG_SG_EEES6_PlJ7is_evenIxEEEE10hipError_tPvRmT3_T4_T5_T6_T7_T9_mT8_P12ihipStream_tbDpT10_ENKUlT_T0_E_clISt17integral_constantIbLb0EES16_EEDaS11_S12_EUlS11_E_NS1_11comp_targetILNS1_3genE10ELNS1_11target_archE1200ELNS1_3gpuE4ELNS1_3repE0EEENS1_30default_config_static_selectorELNS0_4arch9wavefront6targetE1EEEvT1_,comdat
	.protected	_ZN7rocprim17ROCPRIM_400000_NS6detail17trampoline_kernelINS0_14default_configENS1_25partition_config_selectorILNS1_17partition_subalgoE0ExNS0_10empty_typeEbEEZZNS1_14partition_implILS5_0ELb0ES3_jN6thrust23THRUST_200600_302600_NS6detail15normal_iteratorINSA_10device_ptrIxEEEEPS6_SG_NS0_5tupleIJSF_SF_EEENSH_IJSG_SG_EEES6_PlJ7is_evenIxEEEE10hipError_tPvRmT3_T4_T5_T6_T7_T9_mT8_P12ihipStream_tbDpT10_ENKUlT_T0_E_clISt17integral_constantIbLb0EES16_EEDaS11_S12_EUlS11_E_NS1_11comp_targetILNS1_3genE10ELNS1_11target_archE1200ELNS1_3gpuE4ELNS1_3repE0EEENS1_30default_config_static_selectorELNS0_4arch9wavefront6targetE1EEEvT1_ ; -- Begin function _ZN7rocprim17ROCPRIM_400000_NS6detail17trampoline_kernelINS0_14default_configENS1_25partition_config_selectorILNS1_17partition_subalgoE0ExNS0_10empty_typeEbEEZZNS1_14partition_implILS5_0ELb0ES3_jN6thrust23THRUST_200600_302600_NS6detail15normal_iteratorINSA_10device_ptrIxEEEEPS6_SG_NS0_5tupleIJSF_SF_EEENSH_IJSG_SG_EEES6_PlJ7is_evenIxEEEE10hipError_tPvRmT3_T4_T5_T6_T7_T9_mT8_P12ihipStream_tbDpT10_ENKUlT_T0_E_clISt17integral_constantIbLb0EES16_EEDaS11_S12_EUlS11_E_NS1_11comp_targetILNS1_3genE10ELNS1_11target_archE1200ELNS1_3gpuE4ELNS1_3repE0EEENS1_30default_config_static_selectorELNS0_4arch9wavefront6targetE1EEEvT1_
	.globl	_ZN7rocprim17ROCPRIM_400000_NS6detail17trampoline_kernelINS0_14default_configENS1_25partition_config_selectorILNS1_17partition_subalgoE0ExNS0_10empty_typeEbEEZZNS1_14partition_implILS5_0ELb0ES3_jN6thrust23THRUST_200600_302600_NS6detail15normal_iteratorINSA_10device_ptrIxEEEEPS6_SG_NS0_5tupleIJSF_SF_EEENSH_IJSG_SG_EEES6_PlJ7is_evenIxEEEE10hipError_tPvRmT3_T4_T5_T6_T7_T9_mT8_P12ihipStream_tbDpT10_ENKUlT_T0_E_clISt17integral_constantIbLb0EES16_EEDaS11_S12_EUlS11_E_NS1_11comp_targetILNS1_3genE10ELNS1_11target_archE1200ELNS1_3gpuE4ELNS1_3repE0EEENS1_30default_config_static_selectorELNS0_4arch9wavefront6targetE1EEEvT1_
	.p2align	8
	.type	_ZN7rocprim17ROCPRIM_400000_NS6detail17trampoline_kernelINS0_14default_configENS1_25partition_config_selectorILNS1_17partition_subalgoE0ExNS0_10empty_typeEbEEZZNS1_14partition_implILS5_0ELb0ES3_jN6thrust23THRUST_200600_302600_NS6detail15normal_iteratorINSA_10device_ptrIxEEEEPS6_SG_NS0_5tupleIJSF_SF_EEENSH_IJSG_SG_EEES6_PlJ7is_evenIxEEEE10hipError_tPvRmT3_T4_T5_T6_T7_T9_mT8_P12ihipStream_tbDpT10_ENKUlT_T0_E_clISt17integral_constantIbLb0EES16_EEDaS11_S12_EUlS11_E_NS1_11comp_targetILNS1_3genE10ELNS1_11target_archE1200ELNS1_3gpuE4ELNS1_3repE0EEENS1_30default_config_static_selectorELNS0_4arch9wavefront6targetE1EEEvT1_,@function
_ZN7rocprim17ROCPRIM_400000_NS6detail17trampoline_kernelINS0_14default_configENS1_25partition_config_selectorILNS1_17partition_subalgoE0ExNS0_10empty_typeEbEEZZNS1_14partition_implILS5_0ELb0ES3_jN6thrust23THRUST_200600_302600_NS6detail15normal_iteratorINSA_10device_ptrIxEEEEPS6_SG_NS0_5tupleIJSF_SF_EEENSH_IJSG_SG_EEES6_PlJ7is_evenIxEEEE10hipError_tPvRmT3_T4_T5_T6_T7_T9_mT8_P12ihipStream_tbDpT10_ENKUlT_T0_E_clISt17integral_constantIbLb0EES16_EEDaS11_S12_EUlS11_E_NS1_11comp_targetILNS1_3genE10ELNS1_11target_archE1200ELNS1_3gpuE4ELNS1_3repE0EEENS1_30default_config_static_selectorELNS0_4arch9wavefront6targetE1EEEvT1_: ; @_ZN7rocprim17ROCPRIM_400000_NS6detail17trampoline_kernelINS0_14default_configENS1_25partition_config_selectorILNS1_17partition_subalgoE0ExNS0_10empty_typeEbEEZZNS1_14partition_implILS5_0ELb0ES3_jN6thrust23THRUST_200600_302600_NS6detail15normal_iteratorINSA_10device_ptrIxEEEEPS6_SG_NS0_5tupleIJSF_SF_EEENSH_IJSG_SG_EEES6_PlJ7is_evenIxEEEE10hipError_tPvRmT3_T4_T5_T6_T7_T9_mT8_P12ihipStream_tbDpT10_ENKUlT_T0_E_clISt17integral_constantIbLb0EES16_EEDaS11_S12_EUlS11_E_NS1_11comp_targetILNS1_3genE10ELNS1_11target_archE1200ELNS1_3gpuE4ELNS1_3repE0EEENS1_30default_config_static_selectorELNS0_4arch9wavefront6targetE1EEEvT1_
; %bb.0:
	.section	.rodata,"a",@progbits
	.p2align	6, 0x0
	.amdhsa_kernel _ZN7rocprim17ROCPRIM_400000_NS6detail17trampoline_kernelINS0_14default_configENS1_25partition_config_selectorILNS1_17partition_subalgoE0ExNS0_10empty_typeEbEEZZNS1_14partition_implILS5_0ELb0ES3_jN6thrust23THRUST_200600_302600_NS6detail15normal_iteratorINSA_10device_ptrIxEEEEPS6_SG_NS0_5tupleIJSF_SF_EEENSH_IJSG_SG_EEES6_PlJ7is_evenIxEEEE10hipError_tPvRmT3_T4_T5_T6_T7_T9_mT8_P12ihipStream_tbDpT10_ENKUlT_T0_E_clISt17integral_constantIbLb0EES16_EEDaS11_S12_EUlS11_E_NS1_11comp_targetILNS1_3genE10ELNS1_11target_archE1200ELNS1_3gpuE4ELNS1_3repE0EEENS1_30default_config_static_selectorELNS0_4arch9wavefront6targetE1EEEvT1_
		.amdhsa_group_segment_fixed_size 0
		.amdhsa_private_segment_fixed_size 0
		.amdhsa_kernarg_size 120
		.amdhsa_user_sgpr_count 2
		.amdhsa_user_sgpr_dispatch_ptr 0
		.amdhsa_user_sgpr_queue_ptr 0
		.amdhsa_user_sgpr_kernarg_segment_ptr 1
		.amdhsa_user_sgpr_dispatch_id 0
		.amdhsa_user_sgpr_kernarg_preload_length 0
		.amdhsa_user_sgpr_kernarg_preload_offset 0
		.amdhsa_user_sgpr_private_segment_size 0
		.amdhsa_uses_dynamic_stack 0
		.amdhsa_enable_private_segment 0
		.amdhsa_system_sgpr_workgroup_id_x 1
		.amdhsa_system_sgpr_workgroup_id_y 0
		.amdhsa_system_sgpr_workgroup_id_z 0
		.amdhsa_system_sgpr_workgroup_info 0
		.amdhsa_system_vgpr_workitem_id 0
		.amdhsa_next_free_vgpr 1
		.amdhsa_next_free_sgpr 0
		.amdhsa_accum_offset 4
		.amdhsa_reserve_vcc 0
		.amdhsa_float_round_mode_32 0
		.amdhsa_float_round_mode_16_64 0
		.amdhsa_float_denorm_mode_32 3
		.amdhsa_float_denorm_mode_16_64 3
		.amdhsa_dx10_clamp 1
		.amdhsa_ieee_mode 1
		.amdhsa_fp16_overflow 0
		.amdhsa_tg_split 0
		.amdhsa_exception_fp_ieee_invalid_op 0
		.amdhsa_exception_fp_denorm_src 0
		.amdhsa_exception_fp_ieee_div_zero 0
		.amdhsa_exception_fp_ieee_overflow 0
		.amdhsa_exception_fp_ieee_underflow 0
		.amdhsa_exception_fp_ieee_inexact 0
		.amdhsa_exception_int_div_zero 0
	.end_amdhsa_kernel
	.section	.text._ZN7rocprim17ROCPRIM_400000_NS6detail17trampoline_kernelINS0_14default_configENS1_25partition_config_selectorILNS1_17partition_subalgoE0ExNS0_10empty_typeEbEEZZNS1_14partition_implILS5_0ELb0ES3_jN6thrust23THRUST_200600_302600_NS6detail15normal_iteratorINSA_10device_ptrIxEEEEPS6_SG_NS0_5tupleIJSF_SF_EEENSH_IJSG_SG_EEES6_PlJ7is_evenIxEEEE10hipError_tPvRmT3_T4_T5_T6_T7_T9_mT8_P12ihipStream_tbDpT10_ENKUlT_T0_E_clISt17integral_constantIbLb0EES16_EEDaS11_S12_EUlS11_E_NS1_11comp_targetILNS1_3genE10ELNS1_11target_archE1200ELNS1_3gpuE4ELNS1_3repE0EEENS1_30default_config_static_selectorELNS0_4arch9wavefront6targetE1EEEvT1_,"axG",@progbits,_ZN7rocprim17ROCPRIM_400000_NS6detail17trampoline_kernelINS0_14default_configENS1_25partition_config_selectorILNS1_17partition_subalgoE0ExNS0_10empty_typeEbEEZZNS1_14partition_implILS5_0ELb0ES3_jN6thrust23THRUST_200600_302600_NS6detail15normal_iteratorINSA_10device_ptrIxEEEEPS6_SG_NS0_5tupleIJSF_SF_EEENSH_IJSG_SG_EEES6_PlJ7is_evenIxEEEE10hipError_tPvRmT3_T4_T5_T6_T7_T9_mT8_P12ihipStream_tbDpT10_ENKUlT_T0_E_clISt17integral_constantIbLb0EES16_EEDaS11_S12_EUlS11_E_NS1_11comp_targetILNS1_3genE10ELNS1_11target_archE1200ELNS1_3gpuE4ELNS1_3repE0EEENS1_30default_config_static_selectorELNS0_4arch9wavefront6targetE1EEEvT1_,comdat
.Lfunc_end294:
	.size	_ZN7rocprim17ROCPRIM_400000_NS6detail17trampoline_kernelINS0_14default_configENS1_25partition_config_selectorILNS1_17partition_subalgoE0ExNS0_10empty_typeEbEEZZNS1_14partition_implILS5_0ELb0ES3_jN6thrust23THRUST_200600_302600_NS6detail15normal_iteratorINSA_10device_ptrIxEEEEPS6_SG_NS0_5tupleIJSF_SF_EEENSH_IJSG_SG_EEES6_PlJ7is_evenIxEEEE10hipError_tPvRmT3_T4_T5_T6_T7_T9_mT8_P12ihipStream_tbDpT10_ENKUlT_T0_E_clISt17integral_constantIbLb0EES16_EEDaS11_S12_EUlS11_E_NS1_11comp_targetILNS1_3genE10ELNS1_11target_archE1200ELNS1_3gpuE4ELNS1_3repE0EEENS1_30default_config_static_selectorELNS0_4arch9wavefront6targetE1EEEvT1_, .Lfunc_end294-_ZN7rocprim17ROCPRIM_400000_NS6detail17trampoline_kernelINS0_14default_configENS1_25partition_config_selectorILNS1_17partition_subalgoE0ExNS0_10empty_typeEbEEZZNS1_14partition_implILS5_0ELb0ES3_jN6thrust23THRUST_200600_302600_NS6detail15normal_iteratorINSA_10device_ptrIxEEEEPS6_SG_NS0_5tupleIJSF_SF_EEENSH_IJSG_SG_EEES6_PlJ7is_evenIxEEEE10hipError_tPvRmT3_T4_T5_T6_T7_T9_mT8_P12ihipStream_tbDpT10_ENKUlT_T0_E_clISt17integral_constantIbLb0EES16_EEDaS11_S12_EUlS11_E_NS1_11comp_targetILNS1_3genE10ELNS1_11target_archE1200ELNS1_3gpuE4ELNS1_3repE0EEENS1_30default_config_static_selectorELNS0_4arch9wavefront6targetE1EEEvT1_
                                        ; -- End function
	.section	.AMDGPU.csdata,"",@progbits
; Kernel info:
; codeLenInByte = 0
; NumSgprs: 6
; NumVgprs: 0
; NumAgprs: 0
; TotalNumVgprs: 0
; ScratchSize: 0
; MemoryBound: 0
; FloatMode: 240
; IeeeMode: 1
; LDSByteSize: 0 bytes/workgroup (compile time only)
; SGPRBlocks: 0
; VGPRBlocks: 0
; NumSGPRsForWavesPerEU: 6
; NumVGPRsForWavesPerEU: 1
; AccumOffset: 4
; Occupancy: 8
; WaveLimiterHint : 0
; COMPUTE_PGM_RSRC2:SCRATCH_EN: 0
; COMPUTE_PGM_RSRC2:USER_SGPR: 2
; COMPUTE_PGM_RSRC2:TRAP_HANDLER: 0
; COMPUTE_PGM_RSRC2:TGID_X_EN: 1
; COMPUTE_PGM_RSRC2:TGID_Y_EN: 0
; COMPUTE_PGM_RSRC2:TGID_Z_EN: 0
; COMPUTE_PGM_RSRC2:TIDIG_COMP_CNT: 0
; COMPUTE_PGM_RSRC3_GFX90A:ACCUM_OFFSET: 0
; COMPUTE_PGM_RSRC3_GFX90A:TG_SPLIT: 0
	.section	.text._ZN7rocprim17ROCPRIM_400000_NS6detail17trampoline_kernelINS0_14default_configENS1_25partition_config_selectorILNS1_17partition_subalgoE0ExNS0_10empty_typeEbEEZZNS1_14partition_implILS5_0ELb0ES3_jN6thrust23THRUST_200600_302600_NS6detail15normal_iteratorINSA_10device_ptrIxEEEEPS6_SG_NS0_5tupleIJSF_SF_EEENSH_IJSG_SG_EEES6_PlJ7is_evenIxEEEE10hipError_tPvRmT3_T4_T5_T6_T7_T9_mT8_P12ihipStream_tbDpT10_ENKUlT_T0_E_clISt17integral_constantIbLb0EES16_EEDaS11_S12_EUlS11_E_NS1_11comp_targetILNS1_3genE9ELNS1_11target_archE1100ELNS1_3gpuE3ELNS1_3repE0EEENS1_30default_config_static_selectorELNS0_4arch9wavefront6targetE1EEEvT1_,"axG",@progbits,_ZN7rocprim17ROCPRIM_400000_NS6detail17trampoline_kernelINS0_14default_configENS1_25partition_config_selectorILNS1_17partition_subalgoE0ExNS0_10empty_typeEbEEZZNS1_14partition_implILS5_0ELb0ES3_jN6thrust23THRUST_200600_302600_NS6detail15normal_iteratorINSA_10device_ptrIxEEEEPS6_SG_NS0_5tupleIJSF_SF_EEENSH_IJSG_SG_EEES6_PlJ7is_evenIxEEEE10hipError_tPvRmT3_T4_T5_T6_T7_T9_mT8_P12ihipStream_tbDpT10_ENKUlT_T0_E_clISt17integral_constantIbLb0EES16_EEDaS11_S12_EUlS11_E_NS1_11comp_targetILNS1_3genE9ELNS1_11target_archE1100ELNS1_3gpuE3ELNS1_3repE0EEENS1_30default_config_static_selectorELNS0_4arch9wavefront6targetE1EEEvT1_,comdat
	.protected	_ZN7rocprim17ROCPRIM_400000_NS6detail17trampoline_kernelINS0_14default_configENS1_25partition_config_selectorILNS1_17partition_subalgoE0ExNS0_10empty_typeEbEEZZNS1_14partition_implILS5_0ELb0ES3_jN6thrust23THRUST_200600_302600_NS6detail15normal_iteratorINSA_10device_ptrIxEEEEPS6_SG_NS0_5tupleIJSF_SF_EEENSH_IJSG_SG_EEES6_PlJ7is_evenIxEEEE10hipError_tPvRmT3_T4_T5_T6_T7_T9_mT8_P12ihipStream_tbDpT10_ENKUlT_T0_E_clISt17integral_constantIbLb0EES16_EEDaS11_S12_EUlS11_E_NS1_11comp_targetILNS1_3genE9ELNS1_11target_archE1100ELNS1_3gpuE3ELNS1_3repE0EEENS1_30default_config_static_selectorELNS0_4arch9wavefront6targetE1EEEvT1_ ; -- Begin function _ZN7rocprim17ROCPRIM_400000_NS6detail17trampoline_kernelINS0_14default_configENS1_25partition_config_selectorILNS1_17partition_subalgoE0ExNS0_10empty_typeEbEEZZNS1_14partition_implILS5_0ELb0ES3_jN6thrust23THRUST_200600_302600_NS6detail15normal_iteratorINSA_10device_ptrIxEEEEPS6_SG_NS0_5tupleIJSF_SF_EEENSH_IJSG_SG_EEES6_PlJ7is_evenIxEEEE10hipError_tPvRmT3_T4_T5_T6_T7_T9_mT8_P12ihipStream_tbDpT10_ENKUlT_T0_E_clISt17integral_constantIbLb0EES16_EEDaS11_S12_EUlS11_E_NS1_11comp_targetILNS1_3genE9ELNS1_11target_archE1100ELNS1_3gpuE3ELNS1_3repE0EEENS1_30default_config_static_selectorELNS0_4arch9wavefront6targetE1EEEvT1_
	.globl	_ZN7rocprim17ROCPRIM_400000_NS6detail17trampoline_kernelINS0_14default_configENS1_25partition_config_selectorILNS1_17partition_subalgoE0ExNS0_10empty_typeEbEEZZNS1_14partition_implILS5_0ELb0ES3_jN6thrust23THRUST_200600_302600_NS6detail15normal_iteratorINSA_10device_ptrIxEEEEPS6_SG_NS0_5tupleIJSF_SF_EEENSH_IJSG_SG_EEES6_PlJ7is_evenIxEEEE10hipError_tPvRmT3_T4_T5_T6_T7_T9_mT8_P12ihipStream_tbDpT10_ENKUlT_T0_E_clISt17integral_constantIbLb0EES16_EEDaS11_S12_EUlS11_E_NS1_11comp_targetILNS1_3genE9ELNS1_11target_archE1100ELNS1_3gpuE3ELNS1_3repE0EEENS1_30default_config_static_selectorELNS0_4arch9wavefront6targetE1EEEvT1_
	.p2align	8
	.type	_ZN7rocprim17ROCPRIM_400000_NS6detail17trampoline_kernelINS0_14default_configENS1_25partition_config_selectorILNS1_17partition_subalgoE0ExNS0_10empty_typeEbEEZZNS1_14partition_implILS5_0ELb0ES3_jN6thrust23THRUST_200600_302600_NS6detail15normal_iteratorINSA_10device_ptrIxEEEEPS6_SG_NS0_5tupleIJSF_SF_EEENSH_IJSG_SG_EEES6_PlJ7is_evenIxEEEE10hipError_tPvRmT3_T4_T5_T6_T7_T9_mT8_P12ihipStream_tbDpT10_ENKUlT_T0_E_clISt17integral_constantIbLb0EES16_EEDaS11_S12_EUlS11_E_NS1_11comp_targetILNS1_3genE9ELNS1_11target_archE1100ELNS1_3gpuE3ELNS1_3repE0EEENS1_30default_config_static_selectorELNS0_4arch9wavefront6targetE1EEEvT1_,@function
_ZN7rocprim17ROCPRIM_400000_NS6detail17trampoline_kernelINS0_14default_configENS1_25partition_config_selectorILNS1_17partition_subalgoE0ExNS0_10empty_typeEbEEZZNS1_14partition_implILS5_0ELb0ES3_jN6thrust23THRUST_200600_302600_NS6detail15normal_iteratorINSA_10device_ptrIxEEEEPS6_SG_NS0_5tupleIJSF_SF_EEENSH_IJSG_SG_EEES6_PlJ7is_evenIxEEEE10hipError_tPvRmT3_T4_T5_T6_T7_T9_mT8_P12ihipStream_tbDpT10_ENKUlT_T0_E_clISt17integral_constantIbLb0EES16_EEDaS11_S12_EUlS11_E_NS1_11comp_targetILNS1_3genE9ELNS1_11target_archE1100ELNS1_3gpuE3ELNS1_3repE0EEENS1_30default_config_static_selectorELNS0_4arch9wavefront6targetE1EEEvT1_: ; @_ZN7rocprim17ROCPRIM_400000_NS6detail17trampoline_kernelINS0_14default_configENS1_25partition_config_selectorILNS1_17partition_subalgoE0ExNS0_10empty_typeEbEEZZNS1_14partition_implILS5_0ELb0ES3_jN6thrust23THRUST_200600_302600_NS6detail15normal_iteratorINSA_10device_ptrIxEEEEPS6_SG_NS0_5tupleIJSF_SF_EEENSH_IJSG_SG_EEES6_PlJ7is_evenIxEEEE10hipError_tPvRmT3_T4_T5_T6_T7_T9_mT8_P12ihipStream_tbDpT10_ENKUlT_T0_E_clISt17integral_constantIbLb0EES16_EEDaS11_S12_EUlS11_E_NS1_11comp_targetILNS1_3genE9ELNS1_11target_archE1100ELNS1_3gpuE3ELNS1_3repE0EEENS1_30default_config_static_selectorELNS0_4arch9wavefront6targetE1EEEvT1_
; %bb.0:
	.section	.rodata,"a",@progbits
	.p2align	6, 0x0
	.amdhsa_kernel _ZN7rocprim17ROCPRIM_400000_NS6detail17trampoline_kernelINS0_14default_configENS1_25partition_config_selectorILNS1_17partition_subalgoE0ExNS0_10empty_typeEbEEZZNS1_14partition_implILS5_0ELb0ES3_jN6thrust23THRUST_200600_302600_NS6detail15normal_iteratorINSA_10device_ptrIxEEEEPS6_SG_NS0_5tupleIJSF_SF_EEENSH_IJSG_SG_EEES6_PlJ7is_evenIxEEEE10hipError_tPvRmT3_T4_T5_T6_T7_T9_mT8_P12ihipStream_tbDpT10_ENKUlT_T0_E_clISt17integral_constantIbLb0EES16_EEDaS11_S12_EUlS11_E_NS1_11comp_targetILNS1_3genE9ELNS1_11target_archE1100ELNS1_3gpuE3ELNS1_3repE0EEENS1_30default_config_static_selectorELNS0_4arch9wavefront6targetE1EEEvT1_
		.amdhsa_group_segment_fixed_size 0
		.amdhsa_private_segment_fixed_size 0
		.amdhsa_kernarg_size 120
		.amdhsa_user_sgpr_count 2
		.amdhsa_user_sgpr_dispatch_ptr 0
		.amdhsa_user_sgpr_queue_ptr 0
		.amdhsa_user_sgpr_kernarg_segment_ptr 1
		.amdhsa_user_sgpr_dispatch_id 0
		.amdhsa_user_sgpr_kernarg_preload_length 0
		.amdhsa_user_sgpr_kernarg_preload_offset 0
		.amdhsa_user_sgpr_private_segment_size 0
		.amdhsa_uses_dynamic_stack 0
		.amdhsa_enable_private_segment 0
		.amdhsa_system_sgpr_workgroup_id_x 1
		.amdhsa_system_sgpr_workgroup_id_y 0
		.amdhsa_system_sgpr_workgroup_id_z 0
		.amdhsa_system_sgpr_workgroup_info 0
		.amdhsa_system_vgpr_workitem_id 0
		.amdhsa_next_free_vgpr 1
		.amdhsa_next_free_sgpr 0
		.amdhsa_accum_offset 4
		.amdhsa_reserve_vcc 0
		.amdhsa_float_round_mode_32 0
		.amdhsa_float_round_mode_16_64 0
		.amdhsa_float_denorm_mode_32 3
		.amdhsa_float_denorm_mode_16_64 3
		.amdhsa_dx10_clamp 1
		.amdhsa_ieee_mode 1
		.amdhsa_fp16_overflow 0
		.amdhsa_tg_split 0
		.amdhsa_exception_fp_ieee_invalid_op 0
		.amdhsa_exception_fp_denorm_src 0
		.amdhsa_exception_fp_ieee_div_zero 0
		.amdhsa_exception_fp_ieee_overflow 0
		.amdhsa_exception_fp_ieee_underflow 0
		.amdhsa_exception_fp_ieee_inexact 0
		.amdhsa_exception_int_div_zero 0
	.end_amdhsa_kernel
	.section	.text._ZN7rocprim17ROCPRIM_400000_NS6detail17trampoline_kernelINS0_14default_configENS1_25partition_config_selectorILNS1_17partition_subalgoE0ExNS0_10empty_typeEbEEZZNS1_14partition_implILS5_0ELb0ES3_jN6thrust23THRUST_200600_302600_NS6detail15normal_iteratorINSA_10device_ptrIxEEEEPS6_SG_NS0_5tupleIJSF_SF_EEENSH_IJSG_SG_EEES6_PlJ7is_evenIxEEEE10hipError_tPvRmT3_T4_T5_T6_T7_T9_mT8_P12ihipStream_tbDpT10_ENKUlT_T0_E_clISt17integral_constantIbLb0EES16_EEDaS11_S12_EUlS11_E_NS1_11comp_targetILNS1_3genE9ELNS1_11target_archE1100ELNS1_3gpuE3ELNS1_3repE0EEENS1_30default_config_static_selectorELNS0_4arch9wavefront6targetE1EEEvT1_,"axG",@progbits,_ZN7rocprim17ROCPRIM_400000_NS6detail17trampoline_kernelINS0_14default_configENS1_25partition_config_selectorILNS1_17partition_subalgoE0ExNS0_10empty_typeEbEEZZNS1_14partition_implILS5_0ELb0ES3_jN6thrust23THRUST_200600_302600_NS6detail15normal_iteratorINSA_10device_ptrIxEEEEPS6_SG_NS0_5tupleIJSF_SF_EEENSH_IJSG_SG_EEES6_PlJ7is_evenIxEEEE10hipError_tPvRmT3_T4_T5_T6_T7_T9_mT8_P12ihipStream_tbDpT10_ENKUlT_T0_E_clISt17integral_constantIbLb0EES16_EEDaS11_S12_EUlS11_E_NS1_11comp_targetILNS1_3genE9ELNS1_11target_archE1100ELNS1_3gpuE3ELNS1_3repE0EEENS1_30default_config_static_selectorELNS0_4arch9wavefront6targetE1EEEvT1_,comdat
.Lfunc_end295:
	.size	_ZN7rocprim17ROCPRIM_400000_NS6detail17trampoline_kernelINS0_14default_configENS1_25partition_config_selectorILNS1_17partition_subalgoE0ExNS0_10empty_typeEbEEZZNS1_14partition_implILS5_0ELb0ES3_jN6thrust23THRUST_200600_302600_NS6detail15normal_iteratorINSA_10device_ptrIxEEEEPS6_SG_NS0_5tupleIJSF_SF_EEENSH_IJSG_SG_EEES6_PlJ7is_evenIxEEEE10hipError_tPvRmT3_T4_T5_T6_T7_T9_mT8_P12ihipStream_tbDpT10_ENKUlT_T0_E_clISt17integral_constantIbLb0EES16_EEDaS11_S12_EUlS11_E_NS1_11comp_targetILNS1_3genE9ELNS1_11target_archE1100ELNS1_3gpuE3ELNS1_3repE0EEENS1_30default_config_static_selectorELNS0_4arch9wavefront6targetE1EEEvT1_, .Lfunc_end295-_ZN7rocprim17ROCPRIM_400000_NS6detail17trampoline_kernelINS0_14default_configENS1_25partition_config_selectorILNS1_17partition_subalgoE0ExNS0_10empty_typeEbEEZZNS1_14partition_implILS5_0ELb0ES3_jN6thrust23THRUST_200600_302600_NS6detail15normal_iteratorINSA_10device_ptrIxEEEEPS6_SG_NS0_5tupleIJSF_SF_EEENSH_IJSG_SG_EEES6_PlJ7is_evenIxEEEE10hipError_tPvRmT3_T4_T5_T6_T7_T9_mT8_P12ihipStream_tbDpT10_ENKUlT_T0_E_clISt17integral_constantIbLb0EES16_EEDaS11_S12_EUlS11_E_NS1_11comp_targetILNS1_3genE9ELNS1_11target_archE1100ELNS1_3gpuE3ELNS1_3repE0EEENS1_30default_config_static_selectorELNS0_4arch9wavefront6targetE1EEEvT1_
                                        ; -- End function
	.section	.AMDGPU.csdata,"",@progbits
; Kernel info:
; codeLenInByte = 0
; NumSgprs: 6
; NumVgprs: 0
; NumAgprs: 0
; TotalNumVgprs: 0
; ScratchSize: 0
; MemoryBound: 0
; FloatMode: 240
; IeeeMode: 1
; LDSByteSize: 0 bytes/workgroup (compile time only)
; SGPRBlocks: 0
; VGPRBlocks: 0
; NumSGPRsForWavesPerEU: 6
; NumVGPRsForWavesPerEU: 1
; AccumOffset: 4
; Occupancy: 8
; WaveLimiterHint : 0
; COMPUTE_PGM_RSRC2:SCRATCH_EN: 0
; COMPUTE_PGM_RSRC2:USER_SGPR: 2
; COMPUTE_PGM_RSRC2:TRAP_HANDLER: 0
; COMPUTE_PGM_RSRC2:TGID_X_EN: 1
; COMPUTE_PGM_RSRC2:TGID_Y_EN: 0
; COMPUTE_PGM_RSRC2:TGID_Z_EN: 0
; COMPUTE_PGM_RSRC2:TIDIG_COMP_CNT: 0
; COMPUTE_PGM_RSRC3_GFX90A:ACCUM_OFFSET: 0
; COMPUTE_PGM_RSRC3_GFX90A:TG_SPLIT: 0
	.section	.text._ZN7rocprim17ROCPRIM_400000_NS6detail17trampoline_kernelINS0_14default_configENS1_25partition_config_selectorILNS1_17partition_subalgoE0ExNS0_10empty_typeEbEEZZNS1_14partition_implILS5_0ELb0ES3_jN6thrust23THRUST_200600_302600_NS6detail15normal_iteratorINSA_10device_ptrIxEEEEPS6_SG_NS0_5tupleIJSF_SF_EEENSH_IJSG_SG_EEES6_PlJ7is_evenIxEEEE10hipError_tPvRmT3_T4_T5_T6_T7_T9_mT8_P12ihipStream_tbDpT10_ENKUlT_T0_E_clISt17integral_constantIbLb0EES16_EEDaS11_S12_EUlS11_E_NS1_11comp_targetILNS1_3genE8ELNS1_11target_archE1030ELNS1_3gpuE2ELNS1_3repE0EEENS1_30default_config_static_selectorELNS0_4arch9wavefront6targetE1EEEvT1_,"axG",@progbits,_ZN7rocprim17ROCPRIM_400000_NS6detail17trampoline_kernelINS0_14default_configENS1_25partition_config_selectorILNS1_17partition_subalgoE0ExNS0_10empty_typeEbEEZZNS1_14partition_implILS5_0ELb0ES3_jN6thrust23THRUST_200600_302600_NS6detail15normal_iteratorINSA_10device_ptrIxEEEEPS6_SG_NS0_5tupleIJSF_SF_EEENSH_IJSG_SG_EEES6_PlJ7is_evenIxEEEE10hipError_tPvRmT3_T4_T5_T6_T7_T9_mT8_P12ihipStream_tbDpT10_ENKUlT_T0_E_clISt17integral_constantIbLb0EES16_EEDaS11_S12_EUlS11_E_NS1_11comp_targetILNS1_3genE8ELNS1_11target_archE1030ELNS1_3gpuE2ELNS1_3repE0EEENS1_30default_config_static_selectorELNS0_4arch9wavefront6targetE1EEEvT1_,comdat
	.protected	_ZN7rocprim17ROCPRIM_400000_NS6detail17trampoline_kernelINS0_14default_configENS1_25partition_config_selectorILNS1_17partition_subalgoE0ExNS0_10empty_typeEbEEZZNS1_14partition_implILS5_0ELb0ES3_jN6thrust23THRUST_200600_302600_NS6detail15normal_iteratorINSA_10device_ptrIxEEEEPS6_SG_NS0_5tupleIJSF_SF_EEENSH_IJSG_SG_EEES6_PlJ7is_evenIxEEEE10hipError_tPvRmT3_T4_T5_T6_T7_T9_mT8_P12ihipStream_tbDpT10_ENKUlT_T0_E_clISt17integral_constantIbLb0EES16_EEDaS11_S12_EUlS11_E_NS1_11comp_targetILNS1_3genE8ELNS1_11target_archE1030ELNS1_3gpuE2ELNS1_3repE0EEENS1_30default_config_static_selectorELNS0_4arch9wavefront6targetE1EEEvT1_ ; -- Begin function _ZN7rocprim17ROCPRIM_400000_NS6detail17trampoline_kernelINS0_14default_configENS1_25partition_config_selectorILNS1_17partition_subalgoE0ExNS0_10empty_typeEbEEZZNS1_14partition_implILS5_0ELb0ES3_jN6thrust23THRUST_200600_302600_NS6detail15normal_iteratorINSA_10device_ptrIxEEEEPS6_SG_NS0_5tupleIJSF_SF_EEENSH_IJSG_SG_EEES6_PlJ7is_evenIxEEEE10hipError_tPvRmT3_T4_T5_T6_T7_T9_mT8_P12ihipStream_tbDpT10_ENKUlT_T0_E_clISt17integral_constantIbLb0EES16_EEDaS11_S12_EUlS11_E_NS1_11comp_targetILNS1_3genE8ELNS1_11target_archE1030ELNS1_3gpuE2ELNS1_3repE0EEENS1_30default_config_static_selectorELNS0_4arch9wavefront6targetE1EEEvT1_
	.globl	_ZN7rocprim17ROCPRIM_400000_NS6detail17trampoline_kernelINS0_14default_configENS1_25partition_config_selectorILNS1_17partition_subalgoE0ExNS0_10empty_typeEbEEZZNS1_14partition_implILS5_0ELb0ES3_jN6thrust23THRUST_200600_302600_NS6detail15normal_iteratorINSA_10device_ptrIxEEEEPS6_SG_NS0_5tupleIJSF_SF_EEENSH_IJSG_SG_EEES6_PlJ7is_evenIxEEEE10hipError_tPvRmT3_T4_T5_T6_T7_T9_mT8_P12ihipStream_tbDpT10_ENKUlT_T0_E_clISt17integral_constantIbLb0EES16_EEDaS11_S12_EUlS11_E_NS1_11comp_targetILNS1_3genE8ELNS1_11target_archE1030ELNS1_3gpuE2ELNS1_3repE0EEENS1_30default_config_static_selectorELNS0_4arch9wavefront6targetE1EEEvT1_
	.p2align	8
	.type	_ZN7rocprim17ROCPRIM_400000_NS6detail17trampoline_kernelINS0_14default_configENS1_25partition_config_selectorILNS1_17partition_subalgoE0ExNS0_10empty_typeEbEEZZNS1_14partition_implILS5_0ELb0ES3_jN6thrust23THRUST_200600_302600_NS6detail15normal_iteratorINSA_10device_ptrIxEEEEPS6_SG_NS0_5tupleIJSF_SF_EEENSH_IJSG_SG_EEES6_PlJ7is_evenIxEEEE10hipError_tPvRmT3_T4_T5_T6_T7_T9_mT8_P12ihipStream_tbDpT10_ENKUlT_T0_E_clISt17integral_constantIbLb0EES16_EEDaS11_S12_EUlS11_E_NS1_11comp_targetILNS1_3genE8ELNS1_11target_archE1030ELNS1_3gpuE2ELNS1_3repE0EEENS1_30default_config_static_selectorELNS0_4arch9wavefront6targetE1EEEvT1_,@function
_ZN7rocprim17ROCPRIM_400000_NS6detail17trampoline_kernelINS0_14default_configENS1_25partition_config_selectorILNS1_17partition_subalgoE0ExNS0_10empty_typeEbEEZZNS1_14partition_implILS5_0ELb0ES3_jN6thrust23THRUST_200600_302600_NS6detail15normal_iteratorINSA_10device_ptrIxEEEEPS6_SG_NS0_5tupleIJSF_SF_EEENSH_IJSG_SG_EEES6_PlJ7is_evenIxEEEE10hipError_tPvRmT3_T4_T5_T6_T7_T9_mT8_P12ihipStream_tbDpT10_ENKUlT_T0_E_clISt17integral_constantIbLb0EES16_EEDaS11_S12_EUlS11_E_NS1_11comp_targetILNS1_3genE8ELNS1_11target_archE1030ELNS1_3gpuE2ELNS1_3repE0EEENS1_30default_config_static_selectorELNS0_4arch9wavefront6targetE1EEEvT1_: ; @_ZN7rocprim17ROCPRIM_400000_NS6detail17trampoline_kernelINS0_14default_configENS1_25partition_config_selectorILNS1_17partition_subalgoE0ExNS0_10empty_typeEbEEZZNS1_14partition_implILS5_0ELb0ES3_jN6thrust23THRUST_200600_302600_NS6detail15normal_iteratorINSA_10device_ptrIxEEEEPS6_SG_NS0_5tupleIJSF_SF_EEENSH_IJSG_SG_EEES6_PlJ7is_evenIxEEEE10hipError_tPvRmT3_T4_T5_T6_T7_T9_mT8_P12ihipStream_tbDpT10_ENKUlT_T0_E_clISt17integral_constantIbLb0EES16_EEDaS11_S12_EUlS11_E_NS1_11comp_targetILNS1_3genE8ELNS1_11target_archE1030ELNS1_3gpuE2ELNS1_3repE0EEENS1_30default_config_static_selectorELNS0_4arch9wavefront6targetE1EEEvT1_
; %bb.0:
	.section	.rodata,"a",@progbits
	.p2align	6, 0x0
	.amdhsa_kernel _ZN7rocprim17ROCPRIM_400000_NS6detail17trampoline_kernelINS0_14default_configENS1_25partition_config_selectorILNS1_17partition_subalgoE0ExNS0_10empty_typeEbEEZZNS1_14partition_implILS5_0ELb0ES3_jN6thrust23THRUST_200600_302600_NS6detail15normal_iteratorINSA_10device_ptrIxEEEEPS6_SG_NS0_5tupleIJSF_SF_EEENSH_IJSG_SG_EEES6_PlJ7is_evenIxEEEE10hipError_tPvRmT3_T4_T5_T6_T7_T9_mT8_P12ihipStream_tbDpT10_ENKUlT_T0_E_clISt17integral_constantIbLb0EES16_EEDaS11_S12_EUlS11_E_NS1_11comp_targetILNS1_3genE8ELNS1_11target_archE1030ELNS1_3gpuE2ELNS1_3repE0EEENS1_30default_config_static_selectorELNS0_4arch9wavefront6targetE1EEEvT1_
		.amdhsa_group_segment_fixed_size 0
		.amdhsa_private_segment_fixed_size 0
		.amdhsa_kernarg_size 120
		.amdhsa_user_sgpr_count 2
		.amdhsa_user_sgpr_dispatch_ptr 0
		.amdhsa_user_sgpr_queue_ptr 0
		.amdhsa_user_sgpr_kernarg_segment_ptr 1
		.amdhsa_user_sgpr_dispatch_id 0
		.amdhsa_user_sgpr_kernarg_preload_length 0
		.amdhsa_user_sgpr_kernarg_preload_offset 0
		.amdhsa_user_sgpr_private_segment_size 0
		.amdhsa_uses_dynamic_stack 0
		.amdhsa_enable_private_segment 0
		.amdhsa_system_sgpr_workgroup_id_x 1
		.amdhsa_system_sgpr_workgroup_id_y 0
		.amdhsa_system_sgpr_workgroup_id_z 0
		.amdhsa_system_sgpr_workgroup_info 0
		.amdhsa_system_vgpr_workitem_id 0
		.amdhsa_next_free_vgpr 1
		.amdhsa_next_free_sgpr 0
		.amdhsa_accum_offset 4
		.amdhsa_reserve_vcc 0
		.amdhsa_float_round_mode_32 0
		.amdhsa_float_round_mode_16_64 0
		.amdhsa_float_denorm_mode_32 3
		.amdhsa_float_denorm_mode_16_64 3
		.amdhsa_dx10_clamp 1
		.amdhsa_ieee_mode 1
		.amdhsa_fp16_overflow 0
		.amdhsa_tg_split 0
		.amdhsa_exception_fp_ieee_invalid_op 0
		.amdhsa_exception_fp_denorm_src 0
		.amdhsa_exception_fp_ieee_div_zero 0
		.amdhsa_exception_fp_ieee_overflow 0
		.amdhsa_exception_fp_ieee_underflow 0
		.amdhsa_exception_fp_ieee_inexact 0
		.amdhsa_exception_int_div_zero 0
	.end_amdhsa_kernel
	.section	.text._ZN7rocprim17ROCPRIM_400000_NS6detail17trampoline_kernelINS0_14default_configENS1_25partition_config_selectorILNS1_17partition_subalgoE0ExNS0_10empty_typeEbEEZZNS1_14partition_implILS5_0ELb0ES3_jN6thrust23THRUST_200600_302600_NS6detail15normal_iteratorINSA_10device_ptrIxEEEEPS6_SG_NS0_5tupleIJSF_SF_EEENSH_IJSG_SG_EEES6_PlJ7is_evenIxEEEE10hipError_tPvRmT3_T4_T5_T6_T7_T9_mT8_P12ihipStream_tbDpT10_ENKUlT_T0_E_clISt17integral_constantIbLb0EES16_EEDaS11_S12_EUlS11_E_NS1_11comp_targetILNS1_3genE8ELNS1_11target_archE1030ELNS1_3gpuE2ELNS1_3repE0EEENS1_30default_config_static_selectorELNS0_4arch9wavefront6targetE1EEEvT1_,"axG",@progbits,_ZN7rocprim17ROCPRIM_400000_NS6detail17trampoline_kernelINS0_14default_configENS1_25partition_config_selectorILNS1_17partition_subalgoE0ExNS0_10empty_typeEbEEZZNS1_14partition_implILS5_0ELb0ES3_jN6thrust23THRUST_200600_302600_NS6detail15normal_iteratorINSA_10device_ptrIxEEEEPS6_SG_NS0_5tupleIJSF_SF_EEENSH_IJSG_SG_EEES6_PlJ7is_evenIxEEEE10hipError_tPvRmT3_T4_T5_T6_T7_T9_mT8_P12ihipStream_tbDpT10_ENKUlT_T0_E_clISt17integral_constantIbLb0EES16_EEDaS11_S12_EUlS11_E_NS1_11comp_targetILNS1_3genE8ELNS1_11target_archE1030ELNS1_3gpuE2ELNS1_3repE0EEENS1_30default_config_static_selectorELNS0_4arch9wavefront6targetE1EEEvT1_,comdat
.Lfunc_end296:
	.size	_ZN7rocprim17ROCPRIM_400000_NS6detail17trampoline_kernelINS0_14default_configENS1_25partition_config_selectorILNS1_17partition_subalgoE0ExNS0_10empty_typeEbEEZZNS1_14partition_implILS5_0ELb0ES3_jN6thrust23THRUST_200600_302600_NS6detail15normal_iteratorINSA_10device_ptrIxEEEEPS6_SG_NS0_5tupleIJSF_SF_EEENSH_IJSG_SG_EEES6_PlJ7is_evenIxEEEE10hipError_tPvRmT3_T4_T5_T6_T7_T9_mT8_P12ihipStream_tbDpT10_ENKUlT_T0_E_clISt17integral_constantIbLb0EES16_EEDaS11_S12_EUlS11_E_NS1_11comp_targetILNS1_3genE8ELNS1_11target_archE1030ELNS1_3gpuE2ELNS1_3repE0EEENS1_30default_config_static_selectorELNS0_4arch9wavefront6targetE1EEEvT1_, .Lfunc_end296-_ZN7rocprim17ROCPRIM_400000_NS6detail17trampoline_kernelINS0_14default_configENS1_25partition_config_selectorILNS1_17partition_subalgoE0ExNS0_10empty_typeEbEEZZNS1_14partition_implILS5_0ELb0ES3_jN6thrust23THRUST_200600_302600_NS6detail15normal_iteratorINSA_10device_ptrIxEEEEPS6_SG_NS0_5tupleIJSF_SF_EEENSH_IJSG_SG_EEES6_PlJ7is_evenIxEEEE10hipError_tPvRmT3_T4_T5_T6_T7_T9_mT8_P12ihipStream_tbDpT10_ENKUlT_T0_E_clISt17integral_constantIbLb0EES16_EEDaS11_S12_EUlS11_E_NS1_11comp_targetILNS1_3genE8ELNS1_11target_archE1030ELNS1_3gpuE2ELNS1_3repE0EEENS1_30default_config_static_selectorELNS0_4arch9wavefront6targetE1EEEvT1_
                                        ; -- End function
	.section	.AMDGPU.csdata,"",@progbits
; Kernel info:
; codeLenInByte = 0
; NumSgprs: 6
; NumVgprs: 0
; NumAgprs: 0
; TotalNumVgprs: 0
; ScratchSize: 0
; MemoryBound: 0
; FloatMode: 240
; IeeeMode: 1
; LDSByteSize: 0 bytes/workgroup (compile time only)
; SGPRBlocks: 0
; VGPRBlocks: 0
; NumSGPRsForWavesPerEU: 6
; NumVGPRsForWavesPerEU: 1
; AccumOffset: 4
; Occupancy: 8
; WaveLimiterHint : 0
; COMPUTE_PGM_RSRC2:SCRATCH_EN: 0
; COMPUTE_PGM_RSRC2:USER_SGPR: 2
; COMPUTE_PGM_RSRC2:TRAP_HANDLER: 0
; COMPUTE_PGM_RSRC2:TGID_X_EN: 1
; COMPUTE_PGM_RSRC2:TGID_Y_EN: 0
; COMPUTE_PGM_RSRC2:TGID_Z_EN: 0
; COMPUTE_PGM_RSRC2:TIDIG_COMP_CNT: 0
; COMPUTE_PGM_RSRC3_GFX90A:ACCUM_OFFSET: 0
; COMPUTE_PGM_RSRC3_GFX90A:TG_SPLIT: 0
	.section	.text._ZN7rocprim17ROCPRIM_400000_NS6detail17trampoline_kernelINS0_14default_configENS1_25partition_config_selectorILNS1_17partition_subalgoE0ExNS0_10empty_typeEbEEZZNS1_14partition_implILS5_0ELb0ES3_jN6thrust23THRUST_200600_302600_NS6detail15normal_iteratorINSA_10device_ptrIxEEEEPS6_SG_NS0_5tupleIJSF_SF_EEENSH_IJSG_SG_EEES6_PlJ7is_evenIxEEEE10hipError_tPvRmT3_T4_T5_T6_T7_T9_mT8_P12ihipStream_tbDpT10_ENKUlT_T0_E_clISt17integral_constantIbLb1EES16_EEDaS11_S12_EUlS11_E_NS1_11comp_targetILNS1_3genE0ELNS1_11target_archE4294967295ELNS1_3gpuE0ELNS1_3repE0EEENS1_30default_config_static_selectorELNS0_4arch9wavefront6targetE1EEEvT1_,"axG",@progbits,_ZN7rocprim17ROCPRIM_400000_NS6detail17trampoline_kernelINS0_14default_configENS1_25partition_config_selectorILNS1_17partition_subalgoE0ExNS0_10empty_typeEbEEZZNS1_14partition_implILS5_0ELb0ES3_jN6thrust23THRUST_200600_302600_NS6detail15normal_iteratorINSA_10device_ptrIxEEEEPS6_SG_NS0_5tupleIJSF_SF_EEENSH_IJSG_SG_EEES6_PlJ7is_evenIxEEEE10hipError_tPvRmT3_T4_T5_T6_T7_T9_mT8_P12ihipStream_tbDpT10_ENKUlT_T0_E_clISt17integral_constantIbLb1EES16_EEDaS11_S12_EUlS11_E_NS1_11comp_targetILNS1_3genE0ELNS1_11target_archE4294967295ELNS1_3gpuE0ELNS1_3repE0EEENS1_30default_config_static_selectorELNS0_4arch9wavefront6targetE1EEEvT1_,comdat
	.protected	_ZN7rocprim17ROCPRIM_400000_NS6detail17trampoline_kernelINS0_14default_configENS1_25partition_config_selectorILNS1_17partition_subalgoE0ExNS0_10empty_typeEbEEZZNS1_14partition_implILS5_0ELb0ES3_jN6thrust23THRUST_200600_302600_NS6detail15normal_iteratorINSA_10device_ptrIxEEEEPS6_SG_NS0_5tupleIJSF_SF_EEENSH_IJSG_SG_EEES6_PlJ7is_evenIxEEEE10hipError_tPvRmT3_T4_T5_T6_T7_T9_mT8_P12ihipStream_tbDpT10_ENKUlT_T0_E_clISt17integral_constantIbLb1EES16_EEDaS11_S12_EUlS11_E_NS1_11comp_targetILNS1_3genE0ELNS1_11target_archE4294967295ELNS1_3gpuE0ELNS1_3repE0EEENS1_30default_config_static_selectorELNS0_4arch9wavefront6targetE1EEEvT1_ ; -- Begin function _ZN7rocprim17ROCPRIM_400000_NS6detail17trampoline_kernelINS0_14default_configENS1_25partition_config_selectorILNS1_17partition_subalgoE0ExNS0_10empty_typeEbEEZZNS1_14partition_implILS5_0ELb0ES3_jN6thrust23THRUST_200600_302600_NS6detail15normal_iteratorINSA_10device_ptrIxEEEEPS6_SG_NS0_5tupleIJSF_SF_EEENSH_IJSG_SG_EEES6_PlJ7is_evenIxEEEE10hipError_tPvRmT3_T4_T5_T6_T7_T9_mT8_P12ihipStream_tbDpT10_ENKUlT_T0_E_clISt17integral_constantIbLb1EES16_EEDaS11_S12_EUlS11_E_NS1_11comp_targetILNS1_3genE0ELNS1_11target_archE4294967295ELNS1_3gpuE0ELNS1_3repE0EEENS1_30default_config_static_selectorELNS0_4arch9wavefront6targetE1EEEvT1_
	.globl	_ZN7rocprim17ROCPRIM_400000_NS6detail17trampoline_kernelINS0_14default_configENS1_25partition_config_selectorILNS1_17partition_subalgoE0ExNS0_10empty_typeEbEEZZNS1_14partition_implILS5_0ELb0ES3_jN6thrust23THRUST_200600_302600_NS6detail15normal_iteratorINSA_10device_ptrIxEEEEPS6_SG_NS0_5tupleIJSF_SF_EEENSH_IJSG_SG_EEES6_PlJ7is_evenIxEEEE10hipError_tPvRmT3_T4_T5_T6_T7_T9_mT8_P12ihipStream_tbDpT10_ENKUlT_T0_E_clISt17integral_constantIbLb1EES16_EEDaS11_S12_EUlS11_E_NS1_11comp_targetILNS1_3genE0ELNS1_11target_archE4294967295ELNS1_3gpuE0ELNS1_3repE0EEENS1_30default_config_static_selectorELNS0_4arch9wavefront6targetE1EEEvT1_
	.p2align	8
	.type	_ZN7rocprim17ROCPRIM_400000_NS6detail17trampoline_kernelINS0_14default_configENS1_25partition_config_selectorILNS1_17partition_subalgoE0ExNS0_10empty_typeEbEEZZNS1_14partition_implILS5_0ELb0ES3_jN6thrust23THRUST_200600_302600_NS6detail15normal_iteratorINSA_10device_ptrIxEEEEPS6_SG_NS0_5tupleIJSF_SF_EEENSH_IJSG_SG_EEES6_PlJ7is_evenIxEEEE10hipError_tPvRmT3_T4_T5_T6_T7_T9_mT8_P12ihipStream_tbDpT10_ENKUlT_T0_E_clISt17integral_constantIbLb1EES16_EEDaS11_S12_EUlS11_E_NS1_11comp_targetILNS1_3genE0ELNS1_11target_archE4294967295ELNS1_3gpuE0ELNS1_3repE0EEENS1_30default_config_static_selectorELNS0_4arch9wavefront6targetE1EEEvT1_,@function
_ZN7rocprim17ROCPRIM_400000_NS6detail17trampoline_kernelINS0_14default_configENS1_25partition_config_selectorILNS1_17partition_subalgoE0ExNS0_10empty_typeEbEEZZNS1_14partition_implILS5_0ELb0ES3_jN6thrust23THRUST_200600_302600_NS6detail15normal_iteratorINSA_10device_ptrIxEEEEPS6_SG_NS0_5tupleIJSF_SF_EEENSH_IJSG_SG_EEES6_PlJ7is_evenIxEEEE10hipError_tPvRmT3_T4_T5_T6_T7_T9_mT8_P12ihipStream_tbDpT10_ENKUlT_T0_E_clISt17integral_constantIbLb1EES16_EEDaS11_S12_EUlS11_E_NS1_11comp_targetILNS1_3genE0ELNS1_11target_archE4294967295ELNS1_3gpuE0ELNS1_3repE0EEENS1_30default_config_static_selectorELNS0_4arch9wavefront6targetE1EEEvT1_: ; @_ZN7rocprim17ROCPRIM_400000_NS6detail17trampoline_kernelINS0_14default_configENS1_25partition_config_selectorILNS1_17partition_subalgoE0ExNS0_10empty_typeEbEEZZNS1_14partition_implILS5_0ELb0ES3_jN6thrust23THRUST_200600_302600_NS6detail15normal_iteratorINSA_10device_ptrIxEEEEPS6_SG_NS0_5tupleIJSF_SF_EEENSH_IJSG_SG_EEES6_PlJ7is_evenIxEEEE10hipError_tPvRmT3_T4_T5_T6_T7_T9_mT8_P12ihipStream_tbDpT10_ENKUlT_T0_E_clISt17integral_constantIbLb1EES16_EEDaS11_S12_EUlS11_E_NS1_11comp_targetILNS1_3genE0ELNS1_11target_archE4294967295ELNS1_3gpuE0ELNS1_3repE0EEENS1_30default_config_static_selectorELNS0_4arch9wavefront6targetE1EEEvT1_
; %bb.0:
	.section	.rodata,"a",@progbits
	.p2align	6, 0x0
	.amdhsa_kernel _ZN7rocprim17ROCPRIM_400000_NS6detail17trampoline_kernelINS0_14default_configENS1_25partition_config_selectorILNS1_17partition_subalgoE0ExNS0_10empty_typeEbEEZZNS1_14partition_implILS5_0ELb0ES3_jN6thrust23THRUST_200600_302600_NS6detail15normal_iteratorINSA_10device_ptrIxEEEEPS6_SG_NS0_5tupleIJSF_SF_EEENSH_IJSG_SG_EEES6_PlJ7is_evenIxEEEE10hipError_tPvRmT3_T4_T5_T6_T7_T9_mT8_P12ihipStream_tbDpT10_ENKUlT_T0_E_clISt17integral_constantIbLb1EES16_EEDaS11_S12_EUlS11_E_NS1_11comp_targetILNS1_3genE0ELNS1_11target_archE4294967295ELNS1_3gpuE0ELNS1_3repE0EEENS1_30default_config_static_selectorELNS0_4arch9wavefront6targetE1EEEvT1_
		.amdhsa_group_segment_fixed_size 0
		.amdhsa_private_segment_fixed_size 0
		.amdhsa_kernarg_size 136
		.amdhsa_user_sgpr_count 2
		.amdhsa_user_sgpr_dispatch_ptr 0
		.amdhsa_user_sgpr_queue_ptr 0
		.amdhsa_user_sgpr_kernarg_segment_ptr 1
		.amdhsa_user_sgpr_dispatch_id 0
		.amdhsa_user_sgpr_kernarg_preload_length 0
		.amdhsa_user_sgpr_kernarg_preload_offset 0
		.amdhsa_user_sgpr_private_segment_size 0
		.amdhsa_uses_dynamic_stack 0
		.amdhsa_enable_private_segment 0
		.amdhsa_system_sgpr_workgroup_id_x 1
		.amdhsa_system_sgpr_workgroup_id_y 0
		.amdhsa_system_sgpr_workgroup_id_z 0
		.amdhsa_system_sgpr_workgroup_info 0
		.amdhsa_system_vgpr_workitem_id 0
		.amdhsa_next_free_vgpr 1
		.amdhsa_next_free_sgpr 0
		.amdhsa_accum_offset 4
		.amdhsa_reserve_vcc 0
		.amdhsa_float_round_mode_32 0
		.amdhsa_float_round_mode_16_64 0
		.amdhsa_float_denorm_mode_32 3
		.amdhsa_float_denorm_mode_16_64 3
		.amdhsa_dx10_clamp 1
		.amdhsa_ieee_mode 1
		.amdhsa_fp16_overflow 0
		.amdhsa_tg_split 0
		.amdhsa_exception_fp_ieee_invalid_op 0
		.amdhsa_exception_fp_denorm_src 0
		.amdhsa_exception_fp_ieee_div_zero 0
		.amdhsa_exception_fp_ieee_overflow 0
		.amdhsa_exception_fp_ieee_underflow 0
		.amdhsa_exception_fp_ieee_inexact 0
		.amdhsa_exception_int_div_zero 0
	.end_amdhsa_kernel
	.section	.text._ZN7rocprim17ROCPRIM_400000_NS6detail17trampoline_kernelINS0_14default_configENS1_25partition_config_selectorILNS1_17partition_subalgoE0ExNS0_10empty_typeEbEEZZNS1_14partition_implILS5_0ELb0ES3_jN6thrust23THRUST_200600_302600_NS6detail15normal_iteratorINSA_10device_ptrIxEEEEPS6_SG_NS0_5tupleIJSF_SF_EEENSH_IJSG_SG_EEES6_PlJ7is_evenIxEEEE10hipError_tPvRmT3_T4_T5_T6_T7_T9_mT8_P12ihipStream_tbDpT10_ENKUlT_T0_E_clISt17integral_constantIbLb1EES16_EEDaS11_S12_EUlS11_E_NS1_11comp_targetILNS1_3genE0ELNS1_11target_archE4294967295ELNS1_3gpuE0ELNS1_3repE0EEENS1_30default_config_static_selectorELNS0_4arch9wavefront6targetE1EEEvT1_,"axG",@progbits,_ZN7rocprim17ROCPRIM_400000_NS6detail17trampoline_kernelINS0_14default_configENS1_25partition_config_selectorILNS1_17partition_subalgoE0ExNS0_10empty_typeEbEEZZNS1_14partition_implILS5_0ELb0ES3_jN6thrust23THRUST_200600_302600_NS6detail15normal_iteratorINSA_10device_ptrIxEEEEPS6_SG_NS0_5tupleIJSF_SF_EEENSH_IJSG_SG_EEES6_PlJ7is_evenIxEEEE10hipError_tPvRmT3_T4_T5_T6_T7_T9_mT8_P12ihipStream_tbDpT10_ENKUlT_T0_E_clISt17integral_constantIbLb1EES16_EEDaS11_S12_EUlS11_E_NS1_11comp_targetILNS1_3genE0ELNS1_11target_archE4294967295ELNS1_3gpuE0ELNS1_3repE0EEENS1_30default_config_static_selectorELNS0_4arch9wavefront6targetE1EEEvT1_,comdat
.Lfunc_end297:
	.size	_ZN7rocprim17ROCPRIM_400000_NS6detail17trampoline_kernelINS0_14default_configENS1_25partition_config_selectorILNS1_17partition_subalgoE0ExNS0_10empty_typeEbEEZZNS1_14partition_implILS5_0ELb0ES3_jN6thrust23THRUST_200600_302600_NS6detail15normal_iteratorINSA_10device_ptrIxEEEEPS6_SG_NS0_5tupleIJSF_SF_EEENSH_IJSG_SG_EEES6_PlJ7is_evenIxEEEE10hipError_tPvRmT3_T4_T5_T6_T7_T9_mT8_P12ihipStream_tbDpT10_ENKUlT_T0_E_clISt17integral_constantIbLb1EES16_EEDaS11_S12_EUlS11_E_NS1_11comp_targetILNS1_3genE0ELNS1_11target_archE4294967295ELNS1_3gpuE0ELNS1_3repE0EEENS1_30default_config_static_selectorELNS0_4arch9wavefront6targetE1EEEvT1_, .Lfunc_end297-_ZN7rocprim17ROCPRIM_400000_NS6detail17trampoline_kernelINS0_14default_configENS1_25partition_config_selectorILNS1_17partition_subalgoE0ExNS0_10empty_typeEbEEZZNS1_14partition_implILS5_0ELb0ES3_jN6thrust23THRUST_200600_302600_NS6detail15normal_iteratorINSA_10device_ptrIxEEEEPS6_SG_NS0_5tupleIJSF_SF_EEENSH_IJSG_SG_EEES6_PlJ7is_evenIxEEEE10hipError_tPvRmT3_T4_T5_T6_T7_T9_mT8_P12ihipStream_tbDpT10_ENKUlT_T0_E_clISt17integral_constantIbLb1EES16_EEDaS11_S12_EUlS11_E_NS1_11comp_targetILNS1_3genE0ELNS1_11target_archE4294967295ELNS1_3gpuE0ELNS1_3repE0EEENS1_30default_config_static_selectorELNS0_4arch9wavefront6targetE1EEEvT1_
                                        ; -- End function
	.section	.AMDGPU.csdata,"",@progbits
; Kernel info:
; codeLenInByte = 0
; NumSgprs: 6
; NumVgprs: 0
; NumAgprs: 0
; TotalNumVgprs: 0
; ScratchSize: 0
; MemoryBound: 0
; FloatMode: 240
; IeeeMode: 1
; LDSByteSize: 0 bytes/workgroup (compile time only)
; SGPRBlocks: 0
; VGPRBlocks: 0
; NumSGPRsForWavesPerEU: 6
; NumVGPRsForWavesPerEU: 1
; AccumOffset: 4
; Occupancy: 8
; WaveLimiterHint : 0
; COMPUTE_PGM_RSRC2:SCRATCH_EN: 0
; COMPUTE_PGM_RSRC2:USER_SGPR: 2
; COMPUTE_PGM_RSRC2:TRAP_HANDLER: 0
; COMPUTE_PGM_RSRC2:TGID_X_EN: 1
; COMPUTE_PGM_RSRC2:TGID_Y_EN: 0
; COMPUTE_PGM_RSRC2:TGID_Z_EN: 0
; COMPUTE_PGM_RSRC2:TIDIG_COMP_CNT: 0
; COMPUTE_PGM_RSRC3_GFX90A:ACCUM_OFFSET: 0
; COMPUTE_PGM_RSRC3_GFX90A:TG_SPLIT: 0
	.section	.text._ZN7rocprim17ROCPRIM_400000_NS6detail17trampoline_kernelINS0_14default_configENS1_25partition_config_selectorILNS1_17partition_subalgoE0ExNS0_10empty_typeEbEEZZNS1_14partition_implILS5_0ELb0ES3_jN6thrust23THRUST_200600_302600_NS6detail15normal_iteratorINSA_10device_ptrIxEEEEPS6_SG_NS0_5tupleIJSF_SF_EEENSH_IJSG_SG_EEES6_PlJ7is_evenIxEEEE10hipError_tPvRmT3_T4_T5_T6_T7_T9_mT8_P12ihipStream_tbDpT10_ENKUlT_T0_E_clISt17integral_constantIbLb1EES16_EEDaS11_S12_EUlS11_E_NS1_11comp_targetILNS1_3genE5ELNS1_11target_archE942ELNS1_3gpuE9ELNS1_3repE0EEENS1_30default_config_static_selectorELNS0_4arch9wavefront6targetE1EEEvT1_,"axG",@progbits,_ZN7rocprim17ROCPRIM_400000_NS6detail17trampoline_kernelINS0_14default_configENS1_25partition_config_selectorILNS1_17partition_subalgoE0ExNS0_10empty_typeEbEEZZNS1_14partition_implILS5_0ELb0ES3_jN6thrust23THRUST_200600_302600_NS6detail15normal_iteratorINSA_10device_ptrIxEEEEPS6_SG_NS0_5tupleIJSF_SF_EEENSH_IJSG_SG_EEES6_PlJ7is_evenIxEEEE10hipError_tPvRmT3_T4_T5_T6_T7_T9_mT8_P12ihipStream_tbDpT10_ENKUlT_T0_E_clISt17integral_constantIbLb1EES16_EEDaS11_S12_EUlS11_E_NS1_11comp_targetILNS1_3genE5ELNS1_11target_archE942ELNS1_3gpuE9ELNS1_3repE0EEENS1_30default_config_static_selectorELNS0_4arch9wavefront6targetE1EEEvT1_,comdat
	.protected	_ZN7rocprim17ROCPRIM_400000_NS6detail17trampoline_kernelINS0_14default_configENS1_25partition_config_selectorILNS1_17partition_subalgoE0ExNS0_10empty_typeEbEEZZNS1_14partition_implILS5_0ELb0ES3_jN6thrust23THRUST_200600_302600_NS6detail15normal_iteratorINSA_10device_ptrIxEEEEPS6_SG_NS0_5tupleIJSF_SF_EEENSH_IJSG_SG_EEES6_PlJ7is_evenIxEEEE10hipError_tPvRmT3_T4_T5_T6_T7_T9_mT8_P12ihipStream_tbDpT10_ENKUlT_T0_E_clISt17integral_constantIbLb1EES16_EEDaS11_S12_EUlS11_E_NS1_11comp_targetILNS1_3genE5ELNS1_11target_archE942ELNS1_3gpuE9ELNS1_3repE0EEENS1_30default_config_static_selectorELNS0_4arch9wavefront6targetE1EEEvT1_ ; -- Begin function _ZN7rocprim17ROCPRIM_400000_NS6detail17trampoline_kernelINS0_14default_configENS1_25partition_config_selectorILNS1_17partition_subalgoE0ExNS0_10empty_typeEbEEZZNS1_14partition_implILS5_0ELb0ES3_jN6thrust23THRUST_200600_302600_NS6detail15normal_iteratorINSA_10device_ptrIxEEEEPS6_SG_NS0_5tupleIJSF_SF_EEENSH_IJSG_SG_EEES6_PlJ7is_evenIxEEEE10hipError_tPvRmT3_T4_T5_T6_T7_T9_mT8_P12ihipStream_tbDpT10_ENKUlT_T0_E_clISt17integral_constantIbLb1EES16_EEDaS11_S12_EUlS11_E_NS1_11comp_targetILNS1_3genE5ELNS1_11target_archE942ELNS1_3gpuE9ELNS1_3repE0EEENS1_30default_config_static_selectorELNS0_4arch9wavefront6targetE1EEEvT1_
	.globl	_ZN7rocprim17ROCPRIM_400000_NS6detail17trampoline_kernelINS0_14default_configENS1_25partition_config_selectorILNS1_17partition_subalgoE0ExNS0_10empty_typeEbEEZZNS1_14partition_implILS5_0ELb0ES3_jN6thrust23THRUST_200600_302600_NS6detail15normal_iteratorINSA_10device_ptrIxEEEEPS6_SG_NS0_5tupleIJSF_SF_EEENSH_IJSG_SG_EEES6_PlJ7is_evenIxEEEE10hipError_tPvRmT3_T4_T5_T6_T7_T9_mT8_P12ihipStream_tbDpT10_ENKUlT_T0_E_clISt17integral_constantIbLb1EES16_EEDaS11_S12_EUlS11_E_NS1_11comp_targetILNS1_3genE5ELNS1_11target_archE942ELNS1_3gpuE9ELNS1_3repE0EEENS1_30default_config_static_selectorELNS0_4arch9wavefront6targetE1EEEvT1_
	.p2align	8
	.type	_ZN7rocprim17ROCPRIM_400000_NS6detail17trampoline_kernelINS0_14default_configENS1_25partition_config_selectorILNS1_17partition_subalgoE0ExNS0_10empty_typeEbEEZZNS1_14partition_implILS5_0ELb0ES3_jN6thrust23THRUST_200600_302600_NS6detail15normal_iteratorINSA_10device_ptrIxEEEEPS6_SG_NS0_5tupleIJSF_SF_EEENSH_IJSG_SG_EEES6_PlJ7is_evenIxEEEE10hipError_tPvRmT3_T4_T5_T6_T7_T9_mT8_P12ihipStream_tbDpT10_ENKUlT_T0_E_clISt17integral_constantIbLb1EES16_EEDaS11_S12_EUlS11_E_NS1_11comp_targetILNS1_3genE5ELNS1_11target_archE942ELNS1_3gpuE9ELNS1_3repE0EEENS1_30default_config_static_selectorELNS0_4arch9wavefront6targetE1EEEvT1_,@function
_ZN7rocprim17ROCPRIM_400000_NS6detail17trampoline_kernelINS0_14default_configENS1_25partition_config_selectorILNS1_17partition_subalgoE0ExNS0_10empty_typeEbEEZZNS1_14partition_implILS5_0ELb0ES3_jN6thrust23THRUST_200600_302600_NS6detail15normal_iteratorINSA_10device_ptrIxEEEEPS6_SG_NS0_5tupleIJSF_SF_EEENSH_IJSG_SG_EEES6_PlJ7is_evenIxEEEE10hipError_tPvRmT3_T4_T5_T6_T7_T9_mT8_P12ihipStream_tbDpT10_ENKUlT_T0_E_clISt17integral_constantIbLb1EES16_EEDaS11_S12_EUlS11_E_NS1_11comp_targetILNS1_3genE5ELNS1_11target_archE942ELNS1_3gpuE9ELNS1_3repE0EEENS1_30default_config_static_selectorELNS0_4arch9wavefront6targetE1EEEvT1_: ; @_ZN7rocprim17ROCPRIM_400000_NS6detail17trampoline_kernelINS0_14default_configENS1_25partition_config_selectorILNS1_17partition_subalgoE0ExNS0_10empty_typeEbEEZZNS1_14partition_implILS5_0ELb0ES3_jN6thrust23THRUST_200600_302600_NS6detail15normal_iteratorINSA_10device_ptrIxEEEEPS6_SG_NS0_5tupleIJSF_SF_EEENSH_IJSG_SG_EEES6_PlJ7is_evenIxEEEE10hipError_tPvRmT3_T4_T5_T6_T7_T9_mT8_P12ihipStream_tbDpT10_ENKUlT_T0_E_clISt17integral_constantIbLb1EES16_EEDaS11_S12_EUlS11_E_NS1_11comp_targetILNS1_3genE5ELNS1_11target_archE942ELNS1_3gpuE9ELNS1_3repE0EEENS1_30default_config_static_selectorELNS0_4arch9wavefront6targetE1EEEvT1_
; %bb.0:
	s_load_dwordx2 s[2:3], s[0:1], 0x58
	s_load_dwordx4 s[24:27], s[0:1], 0x48
	s_load_dwordx2 s[34:35], s[0:1], 0x68
	v_cmp_eq_u32_e64 s[20:21], 0, v0
	s_and_saveexec_b64 s[4:5], s[20:21]
	s_cbranch_execz .LBB298_4
; %bb.1:
	s_mov_b64 s[8:9], exec
	v_mbcnt_lo_u32_b32 v1, s8, 0
	v_mbcnt_hi_u32_b32 v1, s9, v1
	v_cmp_eq_u32_e32 vcc, 0, v1
                                        ; implicit-def: $vgpr2
	s_and_saveexec_b64 s[6:7], vcc
	s_cbranch_execz .LBB298_3
; %bb.2:
	s_load_dwordx2 s[10:11], s[0:1], 0x78
	s_bcnt1_i32_b64 s8, s[8:9]
	v_mov_b32_e32 v2, 0
	v_mov_b32_e32 v3, s8
	s_waitcnt lgkmcnt(0)
	global_atomic_add v2, v2, v3, s[10:11] sc0
.LBB298_3:
	s_or_b64 exec, exec, s[6:7]
	s_waitcnt vmcnt(0)
	v_readfirstlane_b32 s6, v2
	v_mov_b32_e32 v2, 0
	s_nop 0
	v_add_u32_e32 v1, s6, v1
	ds_write_b32 v2, v1
.LBB298_4:
	s_or_b64 exec, exec, s[4:5]
	v_mov_b32_e32 v19, 0
	s_load_dwordx4 s[36:39], s[0:1], 0x8
	s_load_dwordx4 s[28:31], s[0:1], 0x28
	s_load_dword s4, s[0:1], 0x70
	s_waitcnt lgkmcnt(0)
	s_barrier
	ds_read_b32 v1, v19
	s_waitcnt lgkmcnt(0)
	s_barrier
	global_load_dwordx2 v[20:21], v19, s[26:27]
	v_mov_b32_e32 v3, s3
	s_lshl_b64 s[0:1], s[38:39], 3
	s_movk_i32 s3, 0xe00
	s_add_u32 s0, s36, s0
	v_mul_lo_u32 v18, v1, s3
	s_mul_i32 s3, s4, 0xe00
	s_addc_u32 s1, s37, s1
	s_add_i32 s5, s4, -1
	s_add_i32 s4, s3, s38
	s_sub_i32 s33, s2, s4
	s_addk_i32 s33, 0xe00
	v_mov_b32_e32 v2, s2
	s_add_u32 s2, s38, s3
	v_readfirstlane_b32 s40, v1
	s_addc_u32 s3, s39, 0
	s_cmp_eq_u32 s40, s5
	s_cselect_b64 s[22:23], -1, 0
	s_cmp_lg_u32 s40, s5
	v_cmp_lt_u64_e32 vcc, s[2:3], v[2:3]
	s_cselect_b64 s[2:3], -1, 0
	s_or_b64 s[4:5], vcc, s[2:3]
	v_lshlrev_b64 v[22:23], 3, v[18:19]
	v_lshl_add_u64 v[24:25], s[0:1], 0, v[22:23]
	s_mov_b64 s[0:1], -1
	s_and_b64 vcc, exec, s[4:5]
	v_lshlrev_b32_e32 v18, 3, v0
	s_cbranch_vccz .LBB298_6
; %bb.5:
	v_lshl_add_u64 v[2:3], v[24:25], 0, v[18:19]
	v_add_co_u32_e32 v4, vcc, 0x1000, v2
	s_mov_b64 s[0:1], 0
	s_nop 0
	v_addc_co_u32_e32 v5, vcc, 0, v3, vcc
	v_add_co_u32_e32 v6, vcc, 0x2000, v2
	s_nop 1
	v_addc_co_u32_e32 v7, vcc, 0, v3, vcc
	v_add_co_u32_e32 v8, vcc, 0x3000, v2
	s_nop 1
	v_addc_co_u32_e32 v9, vcc, 0, v3, vcc
	flat_load_dwordx2 v[10:11], v[2:3]
	flat_load_dwordx2 v[12:13], v[4:5]
	;; [unrolled: 1-line block ×4, first 2 shown]
	v_add_co_u32_e32 v4, vcc, 0x4000, v2
	s_nop 1
	v_addc_co_u32_e32 v5, vcc, 0, v3, vcc
	v_add_co_u32_e32 v6, vcc, 0x5000, v2
	s_nop 1
	v_addc_co_u32_e32 v7, vcc, 0, v3, vcc
	;; [unrolled: 3-line block ×3, first 2 shown]
	flat_load_dwordx2 v[8:9], v[4:5]
	flat_load_dwordx2 v[26:27], v[6:7]
	;; [unrolled: 1-line block ×3, first 2 shown]
	s_waitcnt vmcnt(0) lgkmcnt(0)
	ds_write2st64_b64 v18, v[10:11], v[12:13] offset1:8
	ds_write2st64_b64 v18, v[14:15], v[16:17] offset0:16 offset1:24
	ds_write2st64_b64 v18, v[8:9], v[26:27] offset0:32 offset1:40
	ds_write_b64 v18, v[28:29] offset:24576
	s_waitcnt lgkmcnt(0)
	s_barrier
.LBB298_6:
	s_andn2_b64 vcc, exec, s[0:1]
	v_cmp_gt_u32_e64 s[0:1], s33, v0
	s_cbranch_vccnz .LBB298_22
; %bb.7:
                                        ; implicit-def: $vgpr2_vgpr3_vgpr4_vgpr5_vgpr6_vgpr7_vgpr8_vgpr9_vgpr10_vgpr11_vgpr12_vgpr13_vgpr14_vgpr15_vgpr16_vgpr17
	s_and_saveexec_b64 s[2:3], s[0:1]
	s_cbranch_execz .LBB298_9
; %bb.8:
	v_mov_b32_e32 v19, 0
	v_lshl_add_u64 v[2:3], v[24:25], 0, v[18:19]
	flat_load_dwordx2 v[2:3], v[2:3]
.LBB298_9:
	s_or_b64 exec, exec, s[2:3]
	v_or_b32_e32 v1, 0x200, v0
	v_cmp_gt_u32_e32 vcc, s33, v1
	s_and_saveexec_b64 s[0:1], vcc
	s_cbranch_execz .LBB298_11
; %bb.10:
	v_lshlrev_b32_e32 v4, 3, v1
	v_mov_b32_e32 v5, 0
	v_lshl_add_u64 v[4:5], v[24:25], 0, v[4:5]
	flat_load_dwordx2 v[4:5], v[4:5]
.LBB298_11:
	s_or_b64 exec, exec, s[0:1]
	v_or_b32_e32 v1, 0x400, v0
	v_cmp_gt_u32_e32 vcc, s33, v1
	s_and_saveexec_b64 s[0:1], vcc
	s_cbranch_execz .LBB298_13
; %bb.12:
	v_lshlrev_b32_e32 v6, 3, v1
	v_mov_b32_e32 v7, 0
	v_lshl_add_u64 v[6:7], v[24:25], 0, v[6:7]
	flat_load_dwordx2 v[6:7], v[6:7]
.LBB298_13:
	;; [unrolled: 11-line block ×6, first 2 shown]
	s_or_b64 exec, exec, s[0:1]
	s_waitcnt vmcnt(0) lgkmcnt(0)
	ds_write2st64_b64 v18, v[2:3], v[4:5] offset1:8
	ds_write2st64_b64 v18, v[6:7], v[8:9] offset0:16 offset1:24
	ds_write2st64_b64 v18, v[10:11], v[12:13] offset0:32 offset1:40
	ds_write_b64 v18, v[14:15] offset:24576
	s_waitcnt lgkmcnt(0)
	s_barrier
.LBB298_22:
	v_mul_u32_u24_e32 v1, 7, v0
	v_lshlrev_b32_e32 v36, 3, v1
	ds_read2_b64 v[10:13], v36 offset1:1
	ds_read2_b64 v[6:9], v36 offset0:2 offset1:3
	ds_read2_b64 v[2:5], v36 offset0:4 offset1:5
	ds_read_b64 v[14:15], v36 offset:48
	v_cndmask_b32_e64 v16, 0, 1, s[4:5]
	v_cmp_ne_u32_e64 s[2:3], 1, v16
	s_andn2_b64 vcc, exec, s[4:5]
	s_waitcnt lgkmcnt(3)
	v_xor_b32_e32 v28, -1, v10
	v_xor_b32_e32 v27, -1, v12
	s_waitcnt lgkmcnt(2)
	v_xor_b32_e32 v26, -1, v6
	v_xor_b32_e32 v25, -1, v8
	;; [unrolled: 3-line block ×3, first 2 shown]
	s_waitcnt lgkmcnt(0)
	v_xor_b32_e32 v16, -1, v14
	s_barrier
	s_cbranch_vccnz .LBB298_24
; %bb.23:
	v_mov_b32_e32 v19, 1
	v_and_b32_e32 v29, 1, v28
	v_and_b32_sdwa v30, v27, v19 dst_sel:BYTE_1 dst_unused:UNUSED_PAD src0_sel:DWORD src1_sel:DWORD
	v_and_b32_e32 v31, 1, v26
	v_and_b32_sdwa v34, v25, v19 dst_sel:BYTE_1 dst_unused:UNUSED_PAD src0_sel:DWORD src1_sel:DWORD
	v_or_b32_e32 v29, v29, v30
	v_or_b32_sdwa v30, v31, v34 dst_sel:WORD_1 dst_unused:UNUSED_PAD src0_sel:DWORD src1_sel:DWORD
	v_and_b32_e32 v33, 1, v24
	v_and_b32_e32 v32, 1, v17
	;; [unrolled: 1-line block ×3, first 2 shown]
	v_or_b32_sdwa v34, v29, v30 dst_sel:DWORD dst_unused:UNUSED_PAD src0_sel:WORD_0 src1_sel:DWORD
	s_cbranch_execz .LBB298_25
	s_branch .LBB298_26
.LBB298_24:
                                        ; implicit-def: $vgpr19
                                        ; implicit-def: $vgpr32
                                        ; implicit-def: $vgpr33
                                        ; implicit-def: $vgpr34
.LBB298_25:
	v_add_u32_e32 v19, 1, v1
	v_cmp_gt_u32_e32 vcc, s33, v1
	v_add_u32_e32 v29, 2, v1
	v_add_u32_e32 v30, 3, v1
	v_cndmask_b32_e64 v33, 0, 1, vcc
	v_cmp_gt_u32_e32 vcc, s33, v19
	v_add_u32_e32 v31, 4, v1
	v_add_u32_e32 v32, 5, v1
	v_cndmask_b32_e64 v19, 0, 1, vcc
	v_cmp_gt_u32_e32 vcc, s33, v29
	v_and_b32_sdwa v27, v19, v27 dst_sel:BYTE_1 dst_unused:UNUSED_PAD src0_sel:DWORD src1_sel:DWORD
	v_add_u32_e32 v34, 6, v1
	v_cndmask_b32_e64 v19, 0, 1, vcc
	v_cmp_gt_u32_e32 vcc, s33, v30
	v_and_b32_e32 v26, v19, v26
	v_and_b32_e32 v28, v33, v28
	v_cndmask_b32_e64 v19, 0, 1, vcc
	v_cmp_gt_u32_e32 vcc, s33, v31
	v_and_b32_sdwa v25, v19, v25 dst_sel:BYTE_1 dst_unused:UNUSED_PAD src0_sel:DWORD src1_sel:DWORD
	s_nop 0
	v_cndmask_b32_e64 v19, 0, 1, vcc
	v_cmp_gt_u32_e32 vcc, s33, v32
	v_and_b32_e32 v33, v19, v24
	s_nop 0
	v_cndmask_b32_e64 v19, 0, 1, vcc
	v_cmp_gt_u32_e32 vcc, s33, v34
	v_and_b32_e32 v32, v19, v17
	s_nop 0
	v_cndmask_b32_e64 v17, 0, 1, vcc
	v_and_b32_e32 v19, v17, v16
	v_or_b32_e32 v16, v28, v27
	v_or_b32_sdwa v17, v26, v25 dst_sel:WORD_1 dst_unused:UNUSED_PAD src0_sel:DWORD src1_sel:DWORD
	s_nop 0
	v_or_b32_sdwa v34, v16, v17 dst_sel:DWORD dst_unused:UNUSED_PAD src0_sel:WORD_0 src1_sel:DWORD
.LBB298_26:
	v_and_b32_e32 v37, 0xff, v34
	v_bfe_u32 v38, v34, 8, 8
	v_bfe_u32 v39, v34, 16, 8
	v_lshrrev_b32_e32 v35, 24, v34
	v_and_b32_e32 v40, 0xff, v33
	v_add3_u32 v17, v38, v37, v39
	v_and_b32_e32 v41, 0xff, v32
	v_and_b32_e32 v16, 0xff, v19
	v_add3_u32 v17, v17, v35, v40
	v_add3_u32 v44, v17, v41, v16
	v_mbcnt_lo_u32_b32 v16, -1, 0
	v_mbcnt_hi_u32_b32 v42, -1, v16
	v_and_b32_e32 v16, 15, v42
	v_cmp_eq_u32_e64 s[16:17], 0, v16
	v_cmp_lt_u32_e64 s[14:15], 1, v16
	v_cmp_lt_u32_e64 s[12:13], 3, v16
	;; [unrolled: 1-line block ×3, first 2 shown]
	v_and_b32_e32 v16, 16, v42
	v_cmp_eq_u32_e64 s[8:9], 0, v16
	v_or_b32_e32 v16, 63, v0
	s_cmp_lg_u32 s40, 0
	v_cmp_lt_u32_e64 s[4:5], 31, v42
	v_lshrrev_b32_e32 v43, 6, v0
	v_cmp_eq_u32_e64 s[6:7], v16, v0
	s_cbranch_scc0 .LBB298_57
; %bb.27:
	v_mov_b32_dpp v16, v44 row_shr:1 row_mask:0xf bank_mask:0xf
	v_cndmask_b32_e64 v16, v16, 0, s[16:17]
	v_add_u32_e32 v16, v16, v44
	s_nop 1
	v_mov_b32_dpp v17, v16 row_shr:2 row_mask:0xf bank_mask:0xf
	v_cndmask_b32_e64 v17, 0, v17, s[14:15]
	v_add_u32_e32 v16, v16, v17
	s_nop 1
	;; [unrolled: 4-line block ×4, first 2 shown]
	v_mov_b32_dpp v17, v16 row_bcast:15 row_mask:0xf bank_mask:0xf
	v_cndmask_b32_e64 v17, v17, 0, s[8:9]
	v_add_u32_e32 v16, v16, v17
	s_nop 1
	v_mov_b32_dpp v17, v16 row_bcast:31 row_mask:0xf bank_mask:0xf
	v_cndmask_b32_e64 v17, 0, v17, s[4:5]
	v_add_u32_e32 v16, v16, v17
	s_and_saveexec_b64 s[0:1], s[6:7]
	s_cbranch_execz .LBB298_29
; %bb.28:
	v_lshlrev_b32_e32 v17, 2, v43
	ds_write_b32 v17, v16
.LBB298_29:
	s_or_b64 exec, exec, s[0:1]
	v_cmp_gt_u32_e32 vcc, 8, v0
	s_waitcnt lgkmcnt(0)
	s_barrier
	s_and_saveexec_b64 s[0:1], vcc
	s_cbranch_execz .LBB298_31
; %bb.30:
	v_lshlrev_b32_e32 v17, 2, v0
	ds_read_b32 v24, v17
	v_and_b32_e32 v25, 7, v42
	v_cmp_ne_u32_e32 vcc, 0, v25
	s_waitcnt lgkmcnt(0)
	v_mov_b32_dpp v26, v24 row_shr:1 row_mask:0xf bank_mask:0xf
	v_cndmask_b32_e32 v26, 0, v26, vcc
	v_add_u32_e32 v24, v26, v24
	v_cmp_lt_u32_e32 vcc, 1, v25
	s_nop 0
	v_mov_b32_dpp v26, v24 row_shr:2 row_mask:0xf bank_mask:0xf
	v_cndmask_b32_e32 v26, 0, v26, vcc
	v_add_u32_e32 v24, v24, v26
	v_cmp_lt_u32_e32 vcc, 3, v25
	s_nop 0
	v_mov_b32_dpp v26, v24 row_shr:4 row_mask:0xf bank_mask:0xf
	v_cndmask_b32_e32 v25, 0, v26, vcc
	v_add_u32_e32 v24, v24, v25
	ds_write_b32 v17, v24
.LBB298_31:
	s_or_b64 exec, exec, s[0:1]
	v_cmp_gt_u32_e32 vcc, 64, v0
	v_cmp_lt_u32_e64 s[0:1], 63, v0
	s_waitcnt lgkmcnt(0)
	s_barrier
	s_waitcnt lgkmcnt(0)
                                        ; implicit-def: $vgpr45
	s_and_saveexec_b64 s[18:19], s[0:1]
	s_cbranch_execz .LBB298_33
; %bb.32:
	v_lshl_add_u32 v17, v43, 2, -4
	ds_read_b32 v45, v17
	s_waitcnt lgkmcnt(0)
	v_add_u32_e32 v16, v45, v16
.LBB298_33:
	s_or_b64 exec, exec, s[18:19]
	v_add_u32_e32 v17, -1, v42
	v_and_b32_e32 v24, 64, v42
	v_cmp_lt_i32_e64 s[0:1], v17, v24
	v_cmp_eq_u32_e64 s[18:19], 0, v42
	s_nop 0
	v_cndmask_b32_e64 v17, v17, v42, s[0:1]
	v_lshlrev_b32_e32 v17, 2, v17
	ds_bpermute_b32 v46, v17, v16
	s_and_saveexec_b64 s[0:1], vcc
	s_cbranch_execz .LBB298_56
; %bb.34:
	v_mov_b32_e32 v31, 0
	ds_read_b32 v16, v31 offset:28
	s_and_saveexec_b64 s[26:27], s[18:19]
	s_cbranch_execz .LBB298_36
; %bb.35:
	s_add_i32 s36, s40, 64
	s_mov_b32 s37, 0
	s_lshl_b64 s[36:37], s[36:37], 3
	s_add_u32 s36, s34, s36
	v_mov_b32_e32 v17, 1
	s_addc_u32 s37, s35, s37
	s_waitcnt lgkmcnt(0)
	global_store_dwordx2 v31, v[16:17], s[36:37] sc1
.LBB298_36:
	s_or_b64 exec, exec, s[26:27]
	v_xad_u32 v24, v42, -1, s40
	v_add_u32_e32 v30, 64, v24
	v_lshl_add_u64 v[26:27], v[30:31], 3, s[34:35]
	global_load_dwordx2 v[28:29], v[26:27], off sc1
	s_waitcnt vmcnt(0)
	v_cmp_eq_u16_sdwa s[36:37], v29, v31 src0_sel:BYTE_0 src1_sel:DWORD
	s_and_saveexec_b64 s[26:27], s[36:37]
	s_cbranch_execz .LBB298_42
; %bb.37:
	s_mov_b32 s41, 1
	s_mov_b64 s[36:37], 0
	v_mov_b32_e32 v17, 0
.LBB298_38:                             ; =>This Loop Header: Depth=1
                                        ;     Child Loop BB298_39 Depth 2
	s_max_u32 s42, s41, 1
.LBB298_39:                             ;   Parent Loop BB298_38 Depth=1
                                        ; =>  This Inner Loop Header: Depth=2
	s_add_i32 s42, s42, -1
	s_cmp_eq_u32 s42, 0
	s_sleep 1
	s_cbranch_scc0 .LBB298_39
; %bb.40:                               ;   in Loop: Header=BB298_38 Depth=1
	global_load_dwordx2 v[28:29], v[26:27], off sc1
	s_cmp_lt_u32 s41, 32
	s_cselect_b64 s[42:43], -1, 0
	s_cmp_lg_u64 s[42:43], 0
	s_addc_u32 s41, s41, 0
	s_waitcnt vmcnt(0)
	v_cmp_ne_u16_sdwa s[42:43], v29, v17 src0_sel:BYTE_0 src1_sel:DWORD
	s_or_b64 s[36:37], s[42:43], s[36:37]
	s_andn2_b64 exec, exec, s[36:37]
	s_cbranch_execnz .LBB298_38
; %bb.41:
	s_or_b64 exec, exec, s[36:37]
.LBB298_42:
	s_or_b64 exec, exec, s[26:27]
	v_and_b32_e32 v48, 63, v42
	v_mov_b32_e32 v47, 2
	v_cmp_ne_u32_e32 vcc, 63, v48
	v_cmp_eq_u16_sdwa s[26:27], v29, v47 src0_sel:BYTE_0 src1_sel:DWORD
	v_lshlrev_b64 v[26:27], v42, -1
	v_addc_co_u32_e32 v30, vcc, 0, v42, vcc
	v_and_b32_e32 v17, s27, v27
	v_lshlrev_b32_e32 v49, 2, v30
	v_or_b32_e32 v17, 0x80000000, v17
	ds_bpermute_b32 v30, v49, v28
	v_and_b32_e32 v25, s26, v26
	v_ffbl_b32_e32 v17, v17
	v_add_u32_e32 v17, 32, v17
	v_ffbl_b32_e32 v25, v25
	v_min_u32_e32 v17, v25, v17
	v_cmp_lt_u32_e32 vcc, v48, v17
	v_add_u32_e32 v51, 2, v48
	v_add_u32_e32 v53, 4, v48
	s_waitcnt lgkmcnt(0)
	v_cndmask_b32_e32 v25, 0, v30, vcc
	v_cmp_gt_u32_e32 vcc, 62, v48
	v_add_u32_e32 v25, v25, v28
	v_add_u32_e32 v55, 8, v48
	v_cndmask_b32_e64 v28, 0, 1, vcc
	v_lshlrev_b32_e32 v28, 1, v28
	v_add_lshl_u32 v50, v28, v42, 2
	ds_bpermute_b32 v28, v50, v25
	v_cmp_le_u32_e32 vcc, v51, v17
	v_add_u32_e32 v57, 16, v48
	v_add_u32_e32 v59, 32, v48
	s_waitcnt lgkmcnt(0)
	v_cndmask_b32_e32 v28, 0, v28, vcc
	v_cmp_gt_u32_e32 vcc, 60, v48
	v_add_u32_e32 v25, v25, v28
	s_nop 0
	v_cndmask_b32_e64 v28, 0, 1, vcc
	v_lshlrev_b32_e32 v28, 2, v28
	v_add_lshl_u32 v52, v28, v42, 2
	ds_bpermute_b32 v28, v52, v25
	v_cmp_le_u32_e32 vcc, v53, v17
	s_waitcnt lgkmcnt(0)
	s_nop 0
	v_cndmask_b32_e32 v28, 0, v28, vcc
	v_cmp_gt_u32_e32 vcc, 56, v48
	v_add_u32_e32 v25, v25, v28
	s_nop 0
	v_cndmask_b32_e64 v28, 0, 1, vcc
	v_lshlrev_b32_e32 v28, 3, v28
	v_add_lshl_u32 v54, v28, v42, 2
	ds_bpermute_b32 v28, v54, v25
	v_cmp_le_u32_e32 vcc, v55, v17
	s_waitcnt lgkmcnt(0)
	s_nop 0
	;; [unrolled: 11-line block ×4, first 2 shown]
	v_cndmask_b32_e32 v17, 0, v28, vcc
	v_add_u32_e32 v28, v25, v17
	v_mov_b32_e32 v25, 0
	s_branch .LBB298_44
.LBB298_43:                             ;   in Loop: Header=BB298_44 Depth=1
	s_or_b64 exec, exec, s[26:27]
	v_cmp_eq_u16_sdwa s[26:27], v29, v47 src0_sel:BYTE_0 src1_sel:DWORD
	ds_bpermute_b32 v60, v49, v28
	v_subrev_u32_e32 v24, 64, v24
	v_and_b32_e32 v30, s27, v27
	v_or_b32_e32 v30, 0x80000000, v30
	v_and_b32_e32 v31, s26, v26
	v_ffbl_b32_e32 v30, v30
	v_add_u32_e32 v30, 32, v30
	v_ffbl_b32_e32 v31, v31
	v_min_u32_e32 v30, v31, v30
	v_cmp_lt_u32_e32 vcc, v48, v30
	s_waitcnt lgkmcnt(0)
	s_nop 0
	v_cndmask_b32_e32 v31, 0, v60, vcc
	v_add_u32_e32 v28, v31, v28
	ds_bpermute_b32 v31, v50, v28
	v_cmp_le_u32_e32 vcc, v51, v30
	s_waitcnt lgkmcnt(0)
	s_nop 0
	v_cndmask_b32_e32 v31, 0, v31, vcc
	v_add_u32_e32 v28, v28, v31
	ds_bpermute_b32 v31, v52, v28
	v_cmp_le_u32_e32 vcc, v53, v30
	;; [unrolled: 6-line block ×5, first 2 shown]
	s_waitcnt lgkmcnt(0)
	s_nop 0
	v_cndmask_b32_e32 v30, 0, v31, vcc
	v_add3_u32 v28, v30, v17, v28
.LBB298_44:                             ; =>This Loop Header: Depth=1
                                        ;     Child Loop BB298_47 Depth 2
                                        ;       Child Loop BB298_48 Depth 3
	v_cmp_ne_u16_sdwa s[26:27], v29, v47 src0_sel:BYTE_0 src1_sel:DWORD
	s_nop 1
	v_cndmask_b32_e64 v17, 0, 1, s[26:27]
	;;#ASMSTART
	;;#ASMEND
	s_nop 0
	v_cmp_ne_u32_e32 vcc, 0, v17
	s_cmp_lg_u64 vcc, exec
	v_mov_b32_e32 v17, v28
	s_cbranch_scc1 .LBB298_51
; %bb.45:                               ;   in Loop: Header=BB298_44 Depth=1
	v_lshl_add_u64 v[30:31], v[24:25], 3, s[34:35]
	global_load_dwordx2 v[28:29], v[30:31], off sc1
	s_waitcnt vmcnt(0)
	v_cmp_eq_u16_sdwa s[36:37], v29, v25 src0_sel:BYTE_0 src1_sel:DWORD
	s_and_saveexec_b64 s[26:27], s[36:37]
	s_cbranch_execz .LBB298_43
; %bb.46:                               ;   in Loop: Header=BB298_44 Depth=1
	s_mov_b32 s41, 1
	s_mov_b64 s[36:37], 0
.LBB298_47:                             ;   Parent Loop BB298_44 Depth=1
                                        ; =>  This Loop Header: Depth=2
                                        ;       Child Loop BB298_48 Depth 3
	s_max_u32 s42, s41, 1
.LBB298_48:                             ;   Parent Loop BB298_44 Depth=1
                                        ;     Parent Loop BB298_47 Depth=2
                                        ; =>    This Inner Loop Header: Depth=3
	s_add_i32 s42, s42, -1
	s_cmp_eq_u32 s42, 0
	s_sleep 1
	s_cbranch_scc0 .LBB298_48
; %bb.49:                               ;   in Loop: Header=BB298_47 Depth=2
	global_load_dwordx2 v[28:29], v[30:31], off sc1
	s_cmp_lt_u32 s41, 32
	s_cselect_b64 s[42:43], -1, 0
	s_cmp_lg_u64 s[42:43], 0
	s_addc_u32 s41, s41, 0
	s_waitcnt vmcnt(0)
	v_cmp_ne_u16_sdwa s[42:43], v29, v25 src0_sel:BYTE_0 src1_sel:DWORD
	s_or_b64 s[36:37], s[42:43], s[36:37]
	s_andn2_b64 exec, exec, s[36:37]
	s_cbranch_execnz .LBB298_47
; %bb.50:                               ;   in Loop: Header=BB298_44 Depth=1
	s_or_b64 exec, exec, s[36:37]
	s_branch .LBB298_43
.LBB298_51:                             ;   in Loop: Header=BB298_44 Depth=1
                                        ; implicit-def: $vgpr28
                                        ; implicit-def: $vgpr29
	s_cbranch_execz .LBB298_44
; %bb.52:
	s_and_saveexec_b64 s[26:27], s[18:19]
	s_cbranch_execz .LBB298_54
; %bb.53:
	s_add_i32 s36, s40, 64
	s_mov_b32 s37, 0
	s_lshl_b64 s[36:37], s[36:37], 3
	s_add_u32 s36, s34, s36
	v_add_u32_e32 v24, v17, v16
	v_mov_b32_e32 v25, 2
	s_addc_u32 s37, s35, s37
	v_mov_b32_e32 v26, 0
	global_store_dwordx2 v26, v[24:25], s[36:37] sc1
	ds_write_b64 v26, v[16:17] offset:28672
.LBB298_54:
	s_or_b64 exec, exec, s[26:27]
	s_and_b64 exec, exec, s[20:21]
	s_cbranch_execz .LBB298_56
; %bb.55:
	v_mov_b32_e32 v16, 0
	ds_write_b32 v16, v17 offset:28
.LBB298_56:
	s_or_b64 exec, exec, s[0:1]
	v_mov_b32_e32 v16, 0
	s_waitcnt lgkmcnt(0)
	s_barrier
	ds_read_b32 v17, v16 offset:28
	v_cndmask_b32_e64 v24, v46, v45, s[18:19]
	v_cndmask_b32_e64 v24, v24, 0, s[20:21]
	s_waitcnt lgkmcnt(0)
	s_barrier
	v_add_u32_e32 v31, v17, v24
	v_add_u32_e32 v30, v31, v37
	ds_read_b64 v[16:17], v16 offset:28672
	v_add_u32_e32 v29, v30, v38
	v_add_u32_e32 v28, v29, v39
	;; [unrolled: 1-line block ×5, first 2 shown]
	s_waitcnt lgkmcnt(0)
	v_mov_b32_e32 v24, v17
	s_branch .LBB298_67
.LBB298_57:
                                        ; implicit-def: $vgpr24
                                        ; implicit-def: $vgpr16
                                        ; implicit-def: $vgpr25
                                        ; implicit-def: $vgpr26
                                        ; implicit-def: $vgpr27
                                        ; implicit-def: $vgpr28
                                        ; implicit-def: $vgpr29
                                        ; implicit-def: $vgpr30
                                        ; implicit-def: $vgpr31
	s_cbranch_execz .LBB298_67
; %bb.58:
	s_nop 0
	v_mov_b32_dpp v16, v44 row_shr:1 row_mask:0xf bank_mask:0xf
	v_cndmask_b32_e64 v16, v16, 0, s[16:17]
	v_add_u32_e32 v16, v16, v44
	s_nop 1
	v_mov_b32_dpp v17, v16 row_shr:2 row_mask:0xf bank_mask:0xf
	v_cndmask_b32_e64 v17, 0, v17, s[14:15]
	v_add_u32_e32 v16, v16, v17
	;; [unrolled: 4-line block ×4, first 2 shown]
	s_nop 1
	v_mov_b32_dpp v17, v16 row_bcast:15 row_mask:0xf bank_mask:0xf
	v_cndmask_b32_e64 v17, v17, 0, s[8:9]
	v_add_u32_e32 v16, v16, v17
	s_nop 1
	v_mov_b32_dpp v17, v16 row_bcast:31 row_mask:0xf bank_mask:0xf
	v_cndmask_b32_e64 v17, 0, v17, s[4:5]
	v_add_u32_e32 v16, v16, v17
	s_and_saveexec_b64 s[0:1], s[6:7]
	s_cbranch_execz .LBB298_60
; %bb.59:
	v_lshlrev_b32_e32 v17, 2, v43
	ds_write_b32 v17, v16
.LBB298_60:
	s_or_b64 exec, exec, s[0:1]
	v_cmp_gt_u32_e32 vcc, 8, v0
	s_waitcnt lgkmcnt(0)
	s_barrier
	s_and_saveexec_b64 s[0:1], vcc
	s_cbranch_execz .LBB298_62
; %bb.61:
	s_movk_i32 s4, 0xffcc
	v_mad_i32_i24 v17, v0, s4, v36
	ds_read_b32 v24, v17
	v_and_b32_e32 v25, 7, v42
	v_cmp_ne_u32_e32 vcc, 0, v25
	s_waitcnt lgkmcnt(0)
	v_mov_b32_dpp v26, v24 row_shr:1 row_mask:0xf bank_mask:0xf
	v_cndmask_b32_e32 v26, 0, v26, vcc
	v_add_u32_e32 v24, v26, v24
	v_cmp_lt_u32_e32 vcc, 1, v25
	s_nop 0
	v_mov_b32_dpp v26, v24 row_shr:2 row_mask:0xf bank_mask:0xf
	v_cndmask_b32_e32 v26, 0, v26, vcc
	v_add_u32_e32 v24, v24, v26
	v_cmp_lt_u32_e32 vcc, 3, v25
	s_nop 0
	v_mov_b32_dpp v26, v24 row_shr:4 row_mask:0xf bank_mask:0xf
	v_cndmask_b32_e32 v25, 0, v26, vcc
	v_add_u32_e32 v24, v24, v25
	ds_write_b32 v17, v24
.LBB298_62:
	s_or_b64 exec, exec, s[0:1]
	v_cmp_lt_u32_e32 vcc, 63, v0
	v_mov_b32_e32 v17, 0
	v_mov_b32_e32 v24, 0
	s_waitcnt lgkmcnt(0)
	s_barrier
	s_and_saveexec_b64 s[0:1], vcc
	s_cbranch_execz .LBB298_64
; %bb.63:
	v_lshl_add_u32 v24, v43, 2, -4
	ds_read_b32 v24, v24
.LBB298_64:
	s_or_b64 exec, exec, s[0:1]
	v_add_u32_e32 v25, -1, v42
	v_and_b32_e32 v26, 64, v42
	v_cmp_lt_i32_e32 vcc, v25, v26
	s_waitcnt lgkmcnt(0)
	v_add_u32_e32 v16, v24, v16
	v_cndmask_b32_e32 v25, v25, v42, vcc
	v_lshlrev_b32_e32 v25, 2, v25
	ds_bpermute_b32 v25, v25, v16
	ds_read_b32 v16, v17 offset:28
	s_and_saveexec_b64 s[0:1], s[20:21]
	s_cbranch_execz .LBB298_66
; %bb.65:
	v_mov_b32_e32 v26, 0
	v_mov_b32_e32 v17, 2
	s_waitcnt lgkmcnt(0)
	global_store_dwordx2 v26, v[16:17], s[34:35] offset:512 sc1
.LBB298_66:
	s_or_b64 exec, exec, s[0:1]
	v_cmp_eq_u32_e32 vcc, 0, v42
	s_waitcnt lgkmcnt(0)
	s_barrier
	v_cndmask_b32_e32 v17, v25, v24, vcc
	v_cndmask_b32_e64 v31, v17, 0, s[20:21]
	v_add_u32_e32 v30, v31, v37
	v_add_u32_e32 v29, v30, v38
	;; [unrolled: 1-line block ×5, first 2 shown]
	v_mov_b32_e32 v24, 0
	v_add_u32_e32 v25, v26, v41
.LBB298_67:
	v_add_u32_e32 v1, v16, v1
	v_sub_u32_e32 v31, v31, v24
	v_and_b32_e32 v37, 1, v34
	v_sub_u32_e32 v36, v1, v31
	v_cmp_eq_u32_e32 vcc, 1, v37
	v_lshrrev_b32_e32 v17, 8, v34
	v_and_b32_e32 v17, 1, v17
	v_cndmask_b32_e32 v31, v36, v31, vcc
	v_lshlrev_b32_e32 v31, 3, v31
	ds_write_b64 v31, v[10:11]
	v_sub_u32_e32 v10, v30, v24
	v_sub_u32_e32 v11, v1, v10
	v_add_u32_e32 v11, 1, v11
	v_cmp_eq_u32_e32 vcc, 1, v17
	v_or_b32_e32 v31, 0x400, v0
	v_or_b32_e32 v30, 0x600, v0
	v_cndmask_b32_e32 v10, v11, v10, vcc
	v_lshlrev_b32_e32 v10, 3, v10
	ds_write_b64 v10, v[12:13]
	v_sub_u32_e32 v10, v29, v24
	v_mov_b32_e32 v12, 1
	v_sub_u32_e32 v11, v1, v10
	v_and_b32_sdwa v12, v12, v34 dst_sel:DWORD dst_unused:UNUSED_PAD src0_sel:DWORD src1_sel:WORD_1
	v_add_u32_e32 v11, 2, v11
	v_cmp_eq_u32_e32 vcc, 1, v12
	v_or_b32_e32 v29, 0x800, v0
	s_nop 0
	v_cndmask_b32_e32 v10, v11, v10, vcc
	v_lshlrev_b32_e32 v10, 3, v10
	ds_write_b64 v10, v[6:7]
	v_sub_u32_e32 v6, v28, v24
	v_sub_u32_e32 v7, v1, v6
	v_and_b32_e32 v10, 1, v35
	v_add_u32_e32 v7, 3, v7
	v_cmp_eq_u32_e32 vcc, 1, v10
	v_or_b32_e32 v28, 0xa00, v0
	s_nop 0
	v_cndmask_b32_e32 v6, v7, v6, vcc
	v_lshlrev_b32_e32 v6, 3, v6
	ds_write_b64 v6, v[8:9]
	v_sub_u32_e32 v6, v27, v24
	v_sub_u32_e32 v7, v1, v6
	v_and_b32_e32 v8, 1, v33
	v_add_u32_e32 v7, 4, v7
	v_cmp_eq_u32_e32 vcc, 1, v8
	s_nop 1
	v_cndmask_b32_e32 v6, v7, v6, vcc
	v_lshlrev_b32_e32 v6, 3, v6
	ds_write_b64 v6, v[2:3]
	v_sub_u32_e32 v2, v26, v24
	v_sub_u32_e32 v3, v1, v2
	v_and_b32_e32 v6, 1, v32
	v_add_u32_e32 v3, 5, v3
	v_cmp_eq_u32_e32 vcc, 1, v6
	v_or_b32_e32 v32, 0x200, v0
	s_nop 0
	v_cndmask_b32_e32 v2, v3, v2, vcc
	v_lshlrev_b32_e32 v2, 3, v2
	ds_write_b64 v2, v[4:5]
	v_sub_u32_e32 v2, v25, v24
	v_sub_u32_e32 v1, v1, v2
	v_and_b32_e32 v3, 1, v19
	v_add_u32_e32 v1, 6, v1
	v_cmp_eq_u32_e32 vcc, 1, v3
	v_mov_b32_e32 v25, 0
	s_waitcnt vmcnt(0)
	v_lshl_add_u64 v[34:35], v[20:21], 0, v[24:25]
	v_cndmask_b32_e32 v1, v1, v2, vcc
	v_lshlrev_b32_e32 v1, 3, v1
	v_mov_b32_e32 v17, v25
	ds_write_b64 v1, v[14:15]
	v_lshl_add_u64 v[14:15], v[34:35], 0, v[16:17]
	v_mov_b32_e32 v17, s39
	v_sub_co_u32_e32 v20, vcc, s38, v14
	s_waitcnt lgkmcnt(0)
	s_barrier
	ds_read2st64_b64 v[10:13], v18 offset1:8
	ds_read2st64_b64 v[6:9], v18 offset0:16 offset1:24
	ds_read2st64_b64 v[2:5], v18 offset0:32 offset1:40
	ds_read_b64 v[26:27], v18 offset:24576
	v_subb_co_u32_e32 v21, vcc, v17, v15, vcc
	v_lshlrev_b64 v[20:21], 3, v[20:21]
	v_lshl_add_u64 v[20:21], s[30:31], 0, v[20:21]
	v_lshl_add_u64 v[20:21], v[20:21], 0, v[22:23]
	v_lshlrev_b64 v[22:23], 3, v[34:35]
	v_or_b32_e32 v1, 0xc00, v0
	s_and_b64 vcc, exec, s[2:3]
	v_lshl_add_u64 v[22:23], s[28:29], 0, v[22:23]
	s_cbranch_vccnz .LBB298_69
; %bb.68:
	v_cmp_lt_u32_e32 vcc, v0, v16
	v_mov_b32_e32 v19, v25
	v_lshlrev_b32_e32 v24, 3, v32
	v_cndmask_b32_e32 v35, v21, v23, vcc
	v_cndmask_b32_e32 v34, v20, v22, vcc
	v_lshl_add_u64 v[34:35], v[34:35], 0, v[18:19]
	v_cmp_lt_u32_e32 vcc, v32, v16
	s_waitcnt lgkmcnt(3)
	global_store_dwordx2 v[34:35], v[10:11], off
	v_cndmask_b32_e32 v35, v21, v23, vcc
	v_cndmask_b32_e32 v34, v20, v22, vcc
	v_lshl_add_u64 v[34:35], v[34:35], 0, v[24:25]
	v_cmp_lt_u32_e32 vcc, v31, v16
	global_store_dwordx2 v[34:35], v[12:13], off
	v_lshlrev_b32_e32 v24, 3, v31
	v_cndmask_b32_e32 v35, v21, v23, vcc
	v_cndmask_b32_e32 v34, v20, v22, vcc
	v_lshl_add_u64 v[34:35], v[34:35], 0, v[24:25]
	v_cmp_lt_u32_e32 vcc, v30, v16
	s_waitcnt lgkmcnt(2)
	global_store_dwordx2 v[34:35], v[6:7], off
	v_lshlrev_b32_e32 v24, 3, v30
	v_cndmask_b32_e32 v35, v21, v23, vcc
	v_cndmask_b32_e32 v34, v20, v22, vcc
	v_lshl_add_u64 v[34:35], v[34:35], 0, v[24:25]
	v_cmp_lt_u32_e32 vcc, v29, v16
	global_store_dwordx2 v[34:35], v[8:9], off
	v_lshlrev_b32_e32 v24, 3, v29
	v_cndmask_b32_e32 v35, v21, v23, vcc
	v_cndmask_b32_e32 v34, v20, v22, vcc
	v_lshl_add_u64 v[34:35], v[34:35], 0, v[24:25]
	v_cmp_lt_u32_e32 vcc, v28, v16
	s_waitcnt lgkmcnt(1)
	global_store_dwordx2 v[34:35], v[2:3], off
	v_lshlrev_b32_e32 v24, 3, v28
	v_cndmask_b32_e32 v35, v21, v23, vcc
	v_cndmask_b32_e32 v34, v20, v22, vcc
	v_lshl_add_u64 v[24:25], v[34:35], 0, v[24:25]
	s_mov_b64 s[0:1], -1
	global_store_dwordx2 v[24:25], v[4:5], off
	s_cbranch_execz .LBB298_70
	s_branch .LBB298_78
.LBB298_69:
	s_mov_b64 s[0:1], 0
.LBB298_70:
	v_cmp_gt_u32_e32 vcc, s33, v0
	s_and_saveexec_b64 s[0:1], vcc
	s_cbranch_execnz .LBB298_83
; %bb.71:
	s_or_b64 exec, exec, s[0:1]
	v_cmp_gt_u32_e32 vcc, s33, v32
	s_and_saveexec_b64 s[0:1], vcc
	s_cbranch_execnz .LBB298_84
.LBB298_72:
	s_or_b64 exec, exec, s[0:1]
	v_cmp_gt_u32_e32 vcc, s33, v31
	s_and_saveexec_b64 s[0:1], vcc
	s_cbranch_execnz .LBB298_85
.LBB298_73:
	s_or_b64 exec, exec, s[0:1]
	v_cmp_gt_u32_e32 vcc, s33, v30
	s_and_saveexec_b64 s[0:1], vcc
	s_cbranch_execnz .LBB298_86
.LBB298_74:
	s_or_b64 exec, exec, s[0:1]
	v_cmp_gt_u32_e32 vcc, s33, v29
	s_and_saveexec_b64 s[0:1], vcc
	s_cbranch_execnz .LBB298_87
.LBB298_75:
	s_or_b64 exec, exec, s[0:1]
	v_cmp_gt_u32_e32 vcc, s33, v28
	s_and_saveexec_b64 s[0:1], vcc
	s_cbranch_execz .LBB298_77
.LBB298_76:
	v_cmp_lt_u32_e32 vcc, v28, v16
	s_waitcnt lgkmcnt(2)
	v_lshlrev_b32_e32 v6, 3, v28
	v_mov_b32_e32 v7, 0
	s_waitcnt lgkmcnt(1)
	v_cndmask_b32_e32 v3, v21, v23, vcc
	v_cndmask_b32_e32 v2, v20, v22, vcc
	v_lshl_add_u64 v[2:3], v[2:3], 0, v[6:7]
	global_store_dwordx2 v[2:3], v[4:5], off
.LBB298_77:
	s_or_b64 exec, exec, s[0:1]
	v_cmp_gt_u32_e64 s[0:1], s33, v1
.LBB298_78:
	s_and_saveexec_b64 s[2:3], s[0:1]
	s_cbranch_execnz .LBB298_81
; %bb.79:
	s_or_b64 exec, exec, s[2:3]
	s_and_b64 s[0:1], s[20:21], s[22:23]
	s_and_saveexec_b64 s[2:3], s[0:1]
	s_cbranch_execnz .LBB298_82
.LBB298_80:
	s_endpgm
.LBB298_81:
	v_cmp_lt_u32_e32 vcc, v1, v16
	v_lshlrev_b32_e32 v0, 3, v1
	v_mov_b32_e32 v1, 0
	s_waitcnt lgkmcnt(1)
	v_cndmask_b32_e32 v3, v21, v23, vcc
	v_cndmask_b32_e32 v2, v20, v22, vcc
	v_lshl_add_u64 v[0:1], v[2:3], 0, v[0:1]
	s_waitcnt lgkmcnt(0)
	global_store_dwordx2 v[0:1], v[26:27], off
	s_or_b64 exec, exec, s[2:3]
	s_and_b64 s[0:1], s[20:21], s[22:23]
	s_and_saveexec_b64 s[2:3], s[0:1]
	s_cbranch_execz .LBB298_80
.LBB298_82:
	v_mov_b32_e32 v0, 0
	global_store_dwordx2 v0, v[14:15], s[24:25]
	s_endpgm
.LBB298_83:
	v_cmp_lt_u32_e32 vcc, v0, v16
	v_mov_b32_e32 v19, 0
	s_nop 0
	v_cndmask_b32_e32 v25, v21, v23, vcc
	v_cndmask_b32_e32 v24, v20, v22, vcc
	v_lshl_add_u64 v[18:19], v[24:25], 0, v[18:19]
	s_waitcnt lgkmcnt(3)
	global_store_dwordx2 v[18:19], v[10:11], off
	s_or_b64 exec, exec, s[0:1]
	v_cmp_gt_u32_e32 vcc, s33, v32
	s_and_saveexec_b64 s[0:1], vcc
	s_cbranch_execz .LBB298_72
.LBB298_84:
	v_cmp_lt_u32_e32 vcc, v32, v16
	v_lshlrev_b32_e32 v18, 3, v32
	v_mov_b32_e32 v19, 0
	s_waitcnt lgkmcnt(3)
	v_cndmask_b32_e32 v11, v21, v23, vcc
	v_cndmask_b32_e32 v10, v20, v22, vcc
	v_lshl_add_u64 v[10:11], v[10:11], 0, v[18:19]
	global_store_dwordx2 v[10:11], v[12:13], off
	s_or_b64 exec, exec, s[0:1]
	v_cmp_gt_u32_e32 vcc, s33, v31
	s_and_saveexec_b64 s[0:1], vcc
	s_cbranch_execz .LBB298_73
.LBB298_85:
	v_cmp_lt_u32_e32 vcc, v31, v16
	s_waitcnt lgkmcnt(3)
	v_lshlrev_b32_e32 v12, 3, v31
	v_mov_b32_e32 v13, 0
	v_cndmask_b32_e32 v11, v21, v23, vcc
	v_cndmask_b32_e32 v10, v20, v22, vcc
	v_lshl_add_u64 v[10:11], v[10:11], 0, v[12:13]
	s_waitcnt lgkmcnt(2)
	global_store_dwordx2 v[10:11], v[6:7], off
	s_or_b64 exec, exec, s[0:1]
	v_cmp_gt_u32_e32 vcc, s33, v30
	s_and_saveexec_b64 s[0:1], vcc
	s_cbranch_execz .LBB298_74
.LBB298_86:
	v_cmp_lt_u32_e32 vcc, v30, v16
	s_waitcnt lgkmcnt(3)
	v_lshlrev_b32_e32 v10, 3, v30
	v_mov_b32_e32 v11, 0
	s_waitcnt lgkmcnt(2)
	v_cndmask_b32_e32 v7, v21, v23, vcc
	v_cndmask_b32_e32 v6, v20, v22, vcc
	v_lshl_add_u64 v[6:7], v[6:7], 0, v[10:11]
	global_store_dwordx2 v[6:7], v[8:9], off
	s_or_b64 exec, exec, s[0:1]
	v_cmp_gt_u32_e32 vcc, s33, v29
	s_and_saveexec_b64 s[0:1], vcc
	s_cbranch_execz .LBB298_75
.LBB298_87:
	v_cmp_lt_u32_e32 vcc, v29, v16
	s_waitcnt lgkmcnt(2)
	v_lshlrev_b32_e32 v8, 3, v29
	v_mov_b32_e32 v9, 0
	v_cndmask_b32_e32 v7, v21, v23, vcc
	v_cndmask_b32_e32 v6, v20, v22, vcc
	v_lshl_add_u64 v[6:7], v[6:7], 0, v[8:9]
	s_waitcnt lgkmcnt(1)
	global_store_dwordx2 v[6:7], v[2:3], off
	s_or_b64 exec, exec, s[0:1]
	v_cmp_gt_u32_e32 vcc, s33, v28
	s_and_saveexec_b64 s[0:1], vcc
	s_cbranch_execnz .LBB298_76
	s_branch .LBB298_77
	.section	.rodata,"a",@progbits
	.p2align	6, 0x0
	.amdhsa_kernel _ZN7rocprim17ROCPRIM_400000_NS6detail17trampoline_kernelINS0_14default_configENS1_25partition_config_selectorILNS1_17partition_subalgoE0ExNS0_10empty_typeEbEEZZNS1_14partition_implILS5_0ELb0ES3_jN6thrust23THRUST_200600_302600_NS6detail15normal_iteratorINSA_10device_ptrIxEEEEPS6_SG_NS0_5tupleIJSF_SF_EEENSH_IJSG_SG_EEES6_PlJ7is_evenIxEEEE10hipError_tPvRmT3_T4_T5_T6_T7_T9_mT8_P12ihipStream_tbDpT10_ENKUlT_T0_E_clISt17integral_constantIbLb1EES16_EEDaS11_S12_EUlS11_E_NS1_11comp_targetILNS1_3genE5ELNS1_11target_archE942ELNS1_3gpuE9ELNS1_3repE0EEENS1_30default_config_static_selectorELNS0_4arch9wavefront6targetE1EEEvT1_
		.amdhsa_group_segment_fixed_size 28680
		.amdhsa_private_segment_fixed_size 0
		.amdhsa_kernarg_size 136
		.amdhsa_user_sgpr_count 2
		.amdhsa_user_sgpr_dispatch_ptr 0
		.amdhsa_user_sgpr_queue_ptr 0
		.amdhsa_user_sgpr_kernarg_segment_ptr 1
		.amdhsa_user_sgpr_dispatch_id 0
		.amdhsa_user_sgpr_kernarg_preload_length 0
		.amdhsa_user_sgpr_kernarg_preload_offset 0
		.amdhsa_user_sgpr_private_segment_size 0
		.amdhsa_uses_dynamic_stack 0
		.amdhsa_enable_private_segment 0
		.amdhsa_system_sgpr_workgroup_id_x 1
		.amdhsa_system_sgpr_workgroup_id_y 0
		.amdhsa_system_sgpr_workgroup_id_z 0
		.amdhsa_system_sgpr_workgroup_info 0
		.amdhsa_system_vgpr_workitem_id 0
		.amdhsa_next_free_vgpr 61
		.amdhsa_next_free_sgpr 44
		.amdhsa_accum_offset 64
		.amdhsa_reserve_vcc 1
		.amdhsa_float_round_mode_32 0
		.amdhsa_float_round_mode_16_64 0
		.amdhsa_float_denorm_mode_32 3
		.amdhsa_float_denorm_mode_16_64 3
		.amdhsa_dx10_clamp 1
		.amdhsa_ieee_mode 1
		.amdhsa_fp16_overflow 0
		.amdhsa_tg_split 0
		.amdhsa_exception_fp_ieee_invalid_op 0
		.amdhsa_exception_fp_denorm_src 0
		.amdhsa_exception_fp_ieee_div_zero 0
		.amdhsa_exception_fp_ieee_overflow 0
		.amdhsa_exception_fp_ieee_underflow 0
		.amdhsa_exception_fp_ieee_inexact 0
		.amdhsa_exception_int_div_zero 0
	.end_amdhsa_kernel
	.section	.text._ZN7rocprim17ROCPRIM_400000_NS6detail17trampoline_kernelINS0_14default_configENS1_25partition_config_selectorILNS1_17partition_subalgoE0ExNS0_10empty_typeEbEEZZNS1_14partition_implILS5_0ELb0ES3_jN6thrust23THRUST_200600_302600_NS6detail15normal_iteratorINSA_10device_ptrIxEEEEPS6_SG_NS0_5tupleIJSF_SF_EEENSH_IJSG_SG_EEES6_PlJ7is_evenIxEEEE10hipError_tPvRmT3_T4_T5_T6_T7_T9_mT8_P12ihipStream_tbDpT10_ENKUlT_T0_E_clISt17integral_constantIbLb1EES16_EEDaS11_S12_EUlS11_E_NS1_11comp_targetILNS1_3genE5ELNS1_11target_archE942ELNS1_3gpuE9ELNS1_3repE0EEENS1_30default_config_static_selectorELNS0_4arch9wavefront6targetE1EEEvT1_,"axG",@progbits,_ZN7rocprim17ROCPRIM_400000_NS6detail17trampoline_kernelINS0_14default_configENS1_25partition_config_selectorILNS1_17partition_subalgoE0ExNS0_10empty_typeEbEEZZNS1_14partition_implILS5_0ELb0ES3_jN6thrust23THRUST_200600_302600_NS6detail15normal_iteratorINSA_10device_ptrIxEEEEPS6_SG_NS0_5tupleIJSF_SF_EEENSH_IJSG_SG_EEES6_PlJ7is_evenIxEEEE10hipError_tPvRmT3_T4_T5_T6_T7_T9_mT8_P12ihipStream_tbDpT10_ENKUlT_T0_E_clISt17integral_constantIbLb1EES16_EEDaS11_S12_EUlS11_E_NS1_11comp_targetILNS1_3genE5ELNS1_11target_archE942ELNS1_3gpuE9ELNS1_3repE0EEENS1_30default_config_static_selectorELNS0_4arch9wavefront6targetE1EEEvT1_,comdat
.Lfunc_end298:
	.size	_ZN7rocprim17ROCPRIM_400000_NS6detail17trampoline_kernelINS0_14default_configENS1_25partition_config_selectorILNS1_17partition_subalgoE0ExNS0_10empty_typeEbEEZZNS1_14partition_implILS5_0ELb0ES3_jN6thrust23THRUST_200600_302600_NS6detail15normal_iteratorINSA_10device_ptrIxEEEEPS6_SG_NS0_5tupleIJSF_SF_EEENSH_IJSG_SG_EEES6_PlJ7is_evenIxEEEE10hipError_tPvRmT3_T4_T5_T6_T7_T9_mT8_P12ihipStream_tbDpT10_ENKUlT_T0_E_clISt17integral_constantIbLb1EES16_EEDaS11_S12_EUlS11_E_NS1_11comp_targetILNS1_3genE5ELNS1_11target_archE942ELNS1_3gpuE9ELNS1_3repE0EEENS1_30default_config_static_selectorELNS0_4arch9wavefront6targetE1EEEvT1_, .Lfunc_end298-_ZN7rocprim17ROCPRIM_400000_NS6detail17trampoline_kernelINS0_14default_configENS1_25partition_config_selectorILNS1_17partition_subalgoE0ExNS0_10empty_typeEbEEZZNS1_14partition_implILS5_0ELb0ES3_jN6thrust23THRUST_200600_302600_NS6detail15normal_iteratorINSA_10device_ptrIxEEEEPS6_SG_NS0_5tupleIJSF_SF_EEENSH_IJSG_SG_EEES6_PlJ7is_evenIxEEEE10hipError_tPvRmT3_T4_T5_T6_T7_T9_mT8_P12ihipStream_tbDpT10_ENKUlT_T0_E_clISt17integral_constantIbLb1EES16_EEDaS11_S12_EUlS11_E_NS1_11comp_targetILNS1_3genE5ELNS1_11target_archE942ELNS1_3gpuE9ELNS1_3repE0EEENS1_30default_config_static_selectorELNS0_4arch9wavefront6targetE1EEEvT1_
                                        ; -- End function
	.section	.AMDGPU.csdata,"",@progbits
; Kernel info:
; codeLenInByte = 4692
; NumSgprs: 50
; NumVgprs: 61
; NumAgprs: 0
; TotalNumVgprs: 61
; ScratchSize: 0
; MemoryBound: 0
; FloatMode: 240
; IeeeMode: 1
; LDSByteSize: 28680 bytes/workgroup (compile time only)
; SGPRBlocks: 6
; VGPRBlocks: 7
; NumSGPRsForWavesPerEU: 50
; NumVGPRsForWavesPerEU: 61
; AccumOffset: 64
; Occupancy: 4
; WaveLimiterHint : 1
; COMPUTE_PGM_RSRC2:SCRATCH_EN: 0
; COMPUTE_PGM_RSRC2:USER_SGPR: 2
; COMPUTE_PGM_RSRC2:TRAP_HANDLER: 0
; COMPUTE_PGM_RSRC2:TGID_X_EN: 1
; COMPUTE_PGM_RSRC2:TGID_Y_EN: 0
; COMPUTE_PGM_RSRC2:TGID_Z_EN: 0
; COMPUTE_PGM_RSRC2:TIDIG_COMP_CNT: 0
; COMPUTE_PGM_RSRC3_GFX90A:ACCUM_OFFSET: 15
; COMPUTE_PGM_RSRC3_GFX90A:TG_SPLIT: 0
	.section	.text._ZN7rocprim17ROCPRIM_400000_NS6detail17trampoline_kernelINS0_14default_configENS1_25partition_config_selectorILNS1_17partition_subalgoE0ExNS0_10empty_typeEbEEZZNS1_14partition_implILS5_0ELb0ES3_jN6thrust23THRUST_200600_302600_NS6detail15normal_iteratorINSA_10device_ptrIxEEEEPS6_SG_NS0_5tupleIJSF_SF_EEENSH_IJSG_SG_EEES6_PlJ7is_evenIxEEEE10hipError_tPvRmT3_T4_T5_T6_T7_T9_mT8_P12ihipStream_tbDpT10_ENKUlT_T0_E_clISt17integral_constantIbLb1EES16_EEDaS11_S12_EUlS11_E_NS1_11comp_targetILNS1_3genE4ELNS1_11target_archE910ELNS1_3gpuE8ELNS1_3repE0EEENS1_30default_config_static_selectorELNS0_4arch9wavefront6targetE1EEEvT1_,"axG",@progbits,_ZN7rocprim17ROCPRIM_400000_NS6detail17trampoline_kernelINS0_14default_configENS1_25partition_config_selectorILNS1_17partition_subalgoE0ExNS0_10empty_typeEbEEZZNS1_14partition_implILS5_0ELb0ES3_jN6thrust23THRUST_200600_302600_NS6detail15normal_iteratorINSA_10device_ptrIxEEEEPS6_SG_NS0_5tupleIJSF_SF_EEENSH_IJSG_SG_EEES6_PlJ7is_evenIxEEEE10hipError_tPvRmT3_T4_T5_T6_T7_T9_mT8_P12ihipStream_tbDpT10_ENKUlT_T0_E_clISt17integral_constantIbLb1EES16_EEDaS11_S12_EUlS11_E_NS1_11comp_targetILNS1_3genE4ELNS1_11target_archE910ELNS1_3gpuE8ELNS1_3repE0EEENS1_30default_config_static_selectorELNS0_4arch9wavefront6targetE1EEEvT1_,comdat
	.protected	_ZN7rocprim17ROCPRIM_400000_NS6detail17trampoline_kernelINS0_14default_configENS1_25partition_config_selectorILNS1_17partition_subalgoE0ExNS0_10empty_typeEbEEZZNS1_14partition_implILS5_0ELb0ES3_jN6thrust23THRUST_200600_302600_NS6detail15normal_iteratorINSA_10device_ptrIxEEEEPS6_SG_NS0_5tupleIJSF_SF_EEENSH_IJSG_SG_EEES6_PlJ7is_evenIxEEEE10hipError_tPvRmT3_T4_T5_T6_T7_T9_mT8_P12ihipStream_tbDpT10_ENKUlT_T0_E_clISt17integral_constantIbLb1EES16_EEDaS11_S12_EUlS11_E_NS1_11comp_targetILNS1_3genE4ELNS1_11target_archE910ELNS1_3gpuE8ELNS1_3repE0EEENS1_30default_config_static_selectorELNS0_4arch9wavefront6targetE1EEEvT1_ ; -- Begin function _ZN7rocprim17ROCPRIM_400000_NS6detail17trampoline_kernelINS0_14default_configENS1_25partition_config_selectorILNS1_17partition_subalgoE0ExNS0_10empty_typeEbEEZZNS1_14partition_implILS5_0ELb0ES3_jN6thrust23THRUST_200600_302600_NS6detail15normal_iteratorINSA_10device_ptrIxEEEEPS6_SG_NS0_5tupleIJSF_SF_EEENSH_IJSG_SG_EEES6_PlJ7is_evenIxEEEE10hipError_tPvRmT3_T4_T5_T6_T7_T9_mT8_P12ihipStream_tbDpT10_ENKUlT_T0_E_clISt17integral_constantIbLb1EES16_EEDaS11_S12_EUlS11_E_NS1_11comp_targetILNS1_3genE4ELNS1_11target_archE910ELNS1_3gpuE8ELNS1_3repE0EEENS1_30default_config_static_selectorELNS0_4arch9wavefront6targetE1EEEvT1_
	.globl	_ZN7rocprim17ROCPRIM_400000_NS6detail17trampoline_kernelINS0_14default_configENS1_25partition_config_selectorILNS1_17partition_subalgoE0ExNS0_10empty_typeEbEEZZNS1_14partition_implILS5_0ELb0ES3_jN6thrust23THRUST_200600_302600_NS6detail15normal_iteratorINSA_10device_ptrIxEEEEPS6_SG_NS0_5tupleIJSF_SF_EEENSH_IJSG_SG_EEES6_PlJ7is_evenIxEEEE10hipError_tPvRmT3_T4_T5_T6_T7_T9_mT8_P12ihipStream_tbDpT10_ENKUlT_T0_E_clISt17integral_constantIbLb1EES16_EEDaS11_S12_EUlS11_E_NS1_11comp_targetILNS1_3genE4ELNS1_11target_archE910ELNS1_3gpuE8ELNS1_3repE0EEENS1_30default_config_static_selectorELNS0_4arch9wavefront6targetE1EEEvT1_
	.p2align	8
	.type	_ZN7rocprim17ROCPRIM_400000_NS6detail17trampoline_kernelINS0_14default_configENS1_25partition_config_selectorILNS1_17partition_subalgoE0ExNS0_10empty_typeEbEEZZNS1_14partition_implILS5_0ELb0ES3_jN6thrust23THRUST_200600_302600_NS6detail15normal_iteratorINSA_10device_ptrIxEEEEPS6_SG_NS0_5tupleIJSF_SF_EEENSH_IJSG_SG_EEES6_PlJ7is_evenIxEEEE10hipError_tPvRmT3_T4_T5_T6_T7_T9_mT8_P12ihipStream_tbDpT10_ENKUlT_T0_E_clISt17integral_constantIbLb1EES16_EEDaS11_S12_EUlS11_E_NS1_11comp_targetILNS1_3genE4ELNS1_11target_archE910ELNS1_3gpuE8ELNS1_3repE0EEENS1_30default_config_static_selectorELNS0_4arch9wavefront6targetE1EEEvT1_,@function
_ZN7rocprim17ROCPRIM_400000_NS6detail17trampoline_kernelINS0_14default_configENS1_25partition_config_selectorILNS1_17partition_subalgoE0ExNS0_10empty_typeEbEEZZNS1_14partition_implILS5_0ELb0ES3_jN6thrust23THRUST_200600_302600_NS6detail15normal_iteratorINSA_10device_ptrIxEEEEPS6_SG_NS0_5tupleIJSF_SF_EEENSH_IJSG_SG_EEES6_PlJ7is_evenIxEEEE10hipError_tPvRmT3_T4_T5_T6_T7_T9_mT8_P12ihipStream_tbDpT10_ENKUlT_T0_E_clISt17integral_constantIbLb1EES16_EEDaS11_S12_EUlS11_E_NS1_11comp_targetILNS1_3genE4ELNS1_11target_archE910ELNS1_3gpuE8ELNS1_3repE0EEENS1_30default_config_static_selectorELNS0_4arch9wavefront6targetE1EEEvT1_: ; @_ZN7rocprim17ROCPRIM_400000_NS6detail17trampoline_kernelINS0_14default_configENS1_25partition_config_selectorILNS1_17partition_subalgoE0ExNS0_10empty_typeEbEEZZNS1_14partition_implILS5_0ELb0ES3_jN6thrust23THRUST_200600_302600_NS6detail15normal_iteratorINSA_10device_ptrIxEEEEPS6_SG_NS0_5tupleIJSF_SF_EEENSH_IJSG_SG_EEES6_PlJ7is_evenIxEEEE10hipError_tPvRmT3_T4_T5_T6_T7_T9_mT8_P12ihipStream_tbDpT10_ENKUlT_T0_E_clISt17integral_constantIbLb1EES16_EEDaS11_S12_EUlS11_E_NS1_11comp_targetILNS1_3genE4ELNS1_11target_archE910ELNS1_3gpuE8ELNS1_3repE0EEENS1_30default_config_static_selectorELNS0_4arch9wavefront6targetE1EEEvT1_
; %bb.0:
	.section	.rodata,"a",@progbits
	.p2align	6, 0x0
	.amdhsa_kernel _ZN7rocprim17ROCPRIM_400000_NS6detail17trampoline_kernelINS0_14default_configENS1_25partition_config_selectorILNS1_17partition_subalgoE0ExNS0_10empty_typeEbEEZZNS1_14partition_implILS5_0ELb0ES3_jN6thrust23THRUST_200600_302600_NS6detail15normal_iteratorINSA_10device_ptrIxEEEEPS6_SG_NS0_5tupleIJSF_SF_EEENSH_IJSG_SG_EEES6_PlJ7is_evenIxEEEE10hipError_tPvRmT3_T4_T5_T6_T7_T9_mT8_P12ihipStream_tbDpT10_ENKUlT_T0_E_clISt17integral_constantIbLb1EES16_EEDaS11_S12_EUlS11_E_NS1_11comp_targetILNS1_3genE4ELNS1_11target_archE910ELNS1_3gpuE8ELNS1_3repE0EEENS1_30default_config_static_selectorELNS0_4arch9wavefront6targetE1EEEvT1_
		.amdhsa_group_segment_fixed_size 0
		.amdhsa_private_segment_fixed_size 0
		.amdhsa_kernarg_size 136
		.amdhsa_user_sgpr_count 2
		.amdhsa_user_sgpr_dispatch_ptr 0
		.amdhsa_user_sgpr_queue_ptr 0
		.amdhsa_user_sgpr_kernarg_segment_ptr 1
		.amdhsa_user_sgpr_dispatch_id 0
		.amdhsa_user_sgpr_kernarg_preload_length 0
		.amdhsa_user_sgpr_kernarg_preload_offset 0
		.amdhsa_user_sgpr_private_segment_size 0
		.amdhsa_uses_dynamic_stack 0
		.amdhsa_enable_private_segment 0
		.amdhsa_system_sgpr_workgroup_id_x 1
		.amdhsa_system_sgpr_workgroup_id_y 0
		.amdhsa_system_sgpr_workgroup_id_z 0
		.amdhsa_system_sgpr_workgroup_info 0
		.amdhsa_system_vgpr_workitem_id 0
		.amdhsa_next_free_vgpr 1
		.amdhsa_next_free_sgpr 0
		.amdhsa_accum_offset 4
		.amdhsa_reserve_vcc 0
		.amdhsa_float_round_mode_32 0
		.amdhsa_float_round_mode_16_64 0
		.amdhsa_float_denorm_mode_32 3
		.amdhsa_float_denorm_mode_16_64 3
		.amdhsa_dx10_clamp 1
		.amdhsa_ieee_mode 1
		.amdhsa_fp16_overflow 0
		.amdhsa_tg_split 0
		.amdhsa_exception_fp_ieee_invalid_op 0
		.amdhsa_exception_fp_denorm_src 0
		.amdhsa_exception_fp_ieee_div_zero 0
		.amdhsa_exception_fp_ieee_overflow 0
		.amdhsa_exception_fp_ieee_underflow 0
		.amdhsa_exception_fp_ieee_inexact 0
		.amdhsa_exception_int_div_zero 0
	.end_amdhsa_kernel
	.section	.text._ZN7rocprim17ROCPRIM_400000_NS6detail17trampoline_kernelINS0_14default_configENS1_25partition_config_selectorILNS1_17partition_subalgoE0ExNS0_10empty_typeEbEEZZNS1_14partition_implILS5_0ELb0ES3_jN6thrust23THRUST_200600_302600_NS6detail15normal_iteratorINSA_10device_ptrIxEEEEPS6_SG_NS0_5tupleIJSF_SF_EEENSH_IJSG_SG_EEES6_PlJ7is_evenIxEEEE10hipError_tPvRmT3_T4_T5_T6_T7_T9_mT8_P12ihipStream_tbDpT10_ENKUlT_T0_E_clISt17integral_constantIbLb1EES16_EEDaS11_S12_EUlS11_E_NS1_11comp_targetILNS1_3genE4ELNS1_11target_archE910ELNS1_3gpuE8ELNS1_3repE0EEENS1_30default_config_static_selectorELNS0_4arch9wavefront6targetE1EEEvT1_,"axG",@progbits,_ZN7rocprim17ROCPRIM_400000_NS6detail17trampoline_kernelINS0_14default_configENS1_25partition_config_selectorILNS1_17partition_subalgoE0ExNS0_10empty_typeEbEEZZNS1_14partition_implILS5_0ELb0ES3_jN6thrust23THRUST_200600_302600_NS6detail15normal_iteratorINSA_10device_ptrIxEEEEPS6_SG_NS0_5tupleIJSF_SF_EEENSH_IJSG_SG_EEES6_PlJ7is_evenIxEEEE10hipError_tPvRmT3_T4_T5_T6_T7_T9_mT8_P12ihipStream_tbDpT10_ENKUlT_T0_E_clISt17integral_constantIbLb1EES16_EEDaS11_S12_EUlS11_E_NS1_11comp_targetILNS1_3genE4ELNS1_11target_archE910ELNS1_3gpuE8ELNS1_3repE0EEENS1_30default_config_static_selectorELNS0_4arch9wavefront6targetE1EEEvT1_,comdat
.Lfunc_end299:
	.size	_ZN7rocprim17ROCPRIM_400000_NS6detail17trampoline_kernelINS0_14default_configENS1_25partition_config_selectorILNS1_17partition_subalgoE0ExNS0_10empty_typeEbEEZZNS1_14partition_implILS5_0ELb0ES3_jN6thrust23THRUST_200600_302600_NS6detail15normal_iteratorINSA_10device_ptrIxEEEEPS6_SG_NS0_5tupleIJSF_SF_EEENSH_IJSG_SG_EEES6_PlJ7is_evenIxEEEE10hipError_tPvRmT3_T4_T5_T6_T7_T9_mT8_P12ihipStream_tbDpT10_ENKUlT_T0_E_clISt17integral_constantIbLb1EES16_EEDaS11_S12_EUlS11_E_NS1_11comp_targetILNS1_3genE4ELNS1_11target_archE910ELNS1_3gpuE8ELNS1_3repE0EEENS1_30default_config_static_selectorELNS0_4arch9wavefront6targetE1EEEvT1_, .Lfunc_end299-_ZN7rocprim17ROCPRIM_400000_NS6detail17trampoline_kernelINS0_14default_configENS1_25partition_config_selectorILNS1_17partition_subalgoE0ExNS0_10empty_typeEbEEZZNS1_14partition_implILS5_0ELb0ES3_jN6thrust23THRUST_200600_302600_NS6detail15normal_iteratorINSA_10device_ptrIxEEEEPS6_SG_NS0_5tupleIJSF_SF_EEENSH_IJSG_SG_EEES6_PlJ7is_evenIxEEEE10hipError_tPvRmT3_T4_T5_T6_T7_T9_mT8_P12ihipStream_tbDpT10_ENKUlT_T0_E_clISt17integral_constantIbLb1EES16_EEDaS11_S12_EUlS11_E_NS1_11comp_targetILNS1_3genE4ELNS1_11target_archE910ELNS1_3gpuE8ELNS1_3repE0EEENS1_30default_config_static_selectorELNS0_4arch9wavefront6targetE1EEEvT1_
                                        ; -- End function
	.section	.AMDGPU.csdata,"",@progbits
; Kernel info:
; codeLenInByte = 0
; NumSgprs: 6
; NumVgprs: 0
; NumAgprs: 0
; TotalNumVgprs: 0
; ScratchSize: 0
; MemoryBound: 0
; FloatMode: 240
; IeeeMode: 1
; LDSByteSize: 0 bytes/workgroup (compile time only)
; SGPRBlocks: 0
; VGPRBlocks: 0
; NumSGPRsForWavesPerEU: 6
; NumVGPRsForWavesPerEU: 1
; AccumOffset: 4
; Occupancy: 8
; WaveLimiterHint : 0
; COMPUTE_PGM_RSRC2:SCRATCH_EN: 0
; COMPUTE_PGM_RSRC2:USER_SGPR: 2
; COMPUTE_PGM_RSRC2:TRAP_HANDLER: 0
; COMPUTE_PGM_RSRC2:TGID_X_EN: 1
; COMPUTE_PGM_RSRC2:TGID_Y_EN: 0
; COMPUTE_PGM_RSRC2:TGID_Z_EN: 0
; COMPUTE_PGM_RSRC2:TIDIG_COMP_CNT: 0
; COMPUTE_PGM_RSRC3_GFX90A:ACCUM_OFFSET: 0
; COMPUTE_PGM_RSRC3_GFX90A:TG_SPLIT: 0
	.section	.text._ZN7rocprim17ROCPRIM_400000_NS6detail17trampoline_kernelINS0_14default_configENS1_25partition_config_selectorILNS1_17partition_subalgoE0ExNS0_10empty_typeEbEEZZNS1_14partition_implILS5_0ELb0ES3_jN6thrust23THRUST_200600_302600_NS6detail15normal_iteratorINSA_10device_ptrIxEEEEPS6_SG_NS0_5tupleIJSF_SF_EEENSH_IJSG_SG_EEES6_PlJ7is_evenIxEEEE10hipError_tPvRmT3_T4_T5_T6_T7_T9_mT8_P12ihipStream_tbDpT10_ENKUlT_T0_E_clISt17integral_constantIbLb1EES16_EEDaS11_S12_EUlS11_E_NS1_11comp_targetILNS1_3genE3ELNS1_11target_archE908ELNS1_3gpuE7ELNS1_3repE0EEENS1_30default_config_static_selectorELNS0_4arch9wavefront6targetE1EEEvT1_,"axG",@progbits,_ZN7rocprim17ROCPRIM_400000_NS6detail17trampoline_kernelINS0_14default_configENS1_25partition_config_selectorILNS1_17partition_subalgoE0ExNS0_10empty_typeEbEEZZNS1_14partition_implILS5_0ELb0ES3_jN6thrust23THRUST_200600_302600_NS6detail15normal_iteratorINSA_10device_ptrIxEEEEPS6_SG_NS0_5tupleIJSF_SF_EEENSH_IJSG_SG_EEES6_PlJ7is_evenIxEEEE10hipError_tPvRmT3_T4_T5_T6_T7_T9_mT8_P12ihipStream_tbDpT10_ENKUlT_T0_E_clISt17integral_constantIbLb1EES16_EEDaS11_S12_EUlS11_E_NS1_11comp_targetILNS1_3genE3ELNS1_11target_archE908ELNS1_3gpuE7ELNS1_3repE0EEENS1_30default_config_static_selectorELNS0_4arch9wavefront6targetE1EEEvT1_,comdat
	.protected	_ZN7rocprim17ROCPRIM_400000_NS6detail17trampoline_kernelINS0_14default_configENS1_25partition_config_selectorILNS1_17partition_subalgoE0ExNS0_10empty_typeEbEEZZNS1_14partition_implILS5_0ELb0ES3_jN6thrust23THRUST_200600_302600_NS6detail15normal_iteratorINSA_10device_ptrIxEEEEPS6_SG_NS0_5tupleIJSF_SF_EEENSH_IJSG_SG_EEES6_PlJ7is_evenIxEEEE10hipError_tPvRmT3_T4_T5_T6_T7_T9_mT8_P12ihipStream_tbDpT10_ENKUlT_T0_E_clISt17integral_constantIbLb1EES16_EEDaS11_S12_EUlS11_E_NS1_11comp_targetILNS1_3genE3ELNS1_11target_archE908ELNS1_3gpuE7ELNS1_3repE0EEENS1_30default_config_static_selectorELNS0_4arch9wavefront6targetE1EEEvT1_ ; -- Begin function _ZN7rocprim17ROCPRIM_400000_NS6detail17trampoline_kernelINS0_14default_configENS1_25partition_config_selectorILNS1_17partition_subalgoE0ExNS0_10empty_typeEbEEZZNS1_14partition_implILS5_0ELb0ES3_jN6thrust23THRUST_200600_302600_NS6detail15normal_iteratorINSA_10device_ptrIxEEEEPS6_SG_NS0_5tupleIJSF_SF_EEENSH_IJSG_SG_EEES6_PlJ7is_evenIxEEEE10hipError_tPvRmT3_T4_T5_T6_T7_T9_mT8_P12ihipStream_tbDpT10_ENKUlT_T0_E_clISt17integral_constantIbLb1EES16_EEDaS11_S12_EUlS11_E_NS1_11comp_targetILNS1_3genE3ELNS1_11target_archE908ELNS1_3gpuE7ELNS1_3repE0EEENS1_30default_config_static_selectorELNS0_4arch9wavefront6targetE1EEEvT1_
	.globl	_ZN7rocprim17ROCPRIM_400000_NS6detail17trampoline_kernelINS0_14default_configENS1_25partition_config_selectorILNS1_17partition_subalgoE0ExNS0_10empty_typeEbEEZZNS1_14partition_implILS5_0ELb0ES3_jN6thrust23THRUST_200600_302600_NS6detail15normal_iteratorINSA_10device_ptrIxEEEEPS6_SG_NS0_5tupleIJSF_SF_EEENSH_IJSG_SG_EEES6_PlJ7is_evenIxEEEE10hipError_tPvRmT3_T4_T5_T6_T7_T9_mT8_P12ihipStream_tbDpT10_ENKUlT_T0_E_clISt17integral_constantIbLb1EES16_EEDaS11_S12_EUlS11_E_NS1_11comp_targetILNS1_3genE3ELNS1_11target_archE908ELNS1_3gpuE7ELNS1_3repE0EEENS1_30default_config_static_selectorELNS0_4arch9wavefront6targetE1EEEvT1_
	.p2align	8
	.type	_ZN7rocprim17ROCPRIM_400000_NS6detail17trampoline_kernelINS0_14default_configENS1_25partition_config_selectorILNS1_17partition_subalgoE0ExNS0_10empty_typeEbEEZZNS1_14partition_implILS5_0ELb0ES3_jN6thrust23THRUST_200600_302600_NS6detail15normal_iteratorINSA_10device_ptrIxEEEEPS6_SG_NS0_5tupleIJSF_SF_EEENSH_IJSG_SG_EEES6_PlJ7is_evenIxEEEE10hipError_tPvRmT3_T4_T5_T6_T7_T9_mT8_P12ihipStream_tbDpT10_ENKUlT_T0_E_clISt17integral_constantIbLb1EES16_EEDaS11_S12_EUlS11_E_NS1_11comp_targetILNS1_3genE3ELNS1_11target_archE908ELNS1_3gpuE7ELNS1_3repE0EEENS1_30default_config_static_selectorELNS0_4arch9wavefront6targetE1EEEvT1_,@function
_ZN7rocprim17ROCPRIM_400000_NS6detail17trampoline_kernelINS0_14default_configENS1_25partition_config_selectorILNS1_17partition_subalgoE0ExNS0_10empty_typeEbEEZZNS1_14partition_implILS5_0ELb0ES3_jN6thrust23THRUST_200600_302600_NS6detail15normal_iteratorINSA_10device_ptrIxEEEEPS6_SG_NS0_5tupleIJSF_SF_EEENSH_IJSG_SG_EEES6_PlJ7is_evenIxEEEE10hipError_tPvRmT3_T4_T5_T6_T7_T9_mT8_P12ihipStream_tbDpT10_ENKUlT_T0_E_clISt17integral_constantIbLb1EES16_EEDaS11_S12_EUlS11_E_NS1_11comp_targetILNS1_3genE3ELNS1_11target_archE908ELNS1_3gpuE7ELNS1_3repE0EEENS1_30default_config_static_selectorELNS0_4arch9wavefront6targetE1EEEvT1_: ; @_ZN7rocprim17ROCPRIM_400000_NS6detail17trampoline_kernelINS0_14default_configENS1_25partition_config_selectorILNS1_17partition_subalgoE0ExNS0_10empty_typeEbEEZZNS1_14partition_implILS5_0ELb0ES3_jN6thrust23THRUST_200600_302600_NS6detail15normal_iteratorINSA_10device_ptrIxEEEEPS6_SG_NS0_5tupleIJSF_SF_EEENSH_IJSG_SG_EEES6_PlJ7is_evenIxEEEE10hipError_tPvRmT3_T4_T5_T6_T7_T9_mT8_P12ihipStream_tbDpT10_ENKUlT_T0_E_clISt17integral_constantIbLb1EES16_EEDaS11_S12_EUlS11_E_NS1_11comp_targetILNS1_3genE3ELNS1_11target_archE908ELNS1_3gpuE7ELNS1_3repE0EEENS1_30default_config_static_selectorELNS0_4arch9wavefront6targetE1EEEvT1_
; %bb.0:
	.section	.rodata,"a",@progbits
	.p2align	6, 0x0
	.amdhsa_kernel _ZN7rocprim17ROCPRIM_400000_NS6detail17trampoline_kernelINS0_14default_configENS1_25partition_config_selectorILNS1_17partition_subalgoE0ExNS0_10empty_typeEbEEZZNS1_14partition_implILS5_0ELb0ES3_jN6thrust23THRUST_200600_302600_NS6detail15normal_iteratorINSA_10device_ptrIxEEEEPS6_SG_NS0_5tupleIJSF_SF_EEENSH_IJSG_SG_EEES6_PlJ7is_evenIxEEEE10hipError_tPvRmT3_T4_T5_T6_T7_T9_mT8_P12ihipStream_tbDpT10_ENKUlT_T0_E_clISt17integral_constantIbLb1EES16_EEDaS11_S12_EUlS11_E_NS1_11comp_targetILNS1_3genE3ELNS1_11target_archE908ELNS1_3gpuE7ELNS1_3repE0EEENS1_30default_config_static_selectorELNS0_4arch9wavefront6targetE1EEEvT1_
		.amdhsa_group_segment_fixed_size 0
		.amdhsa_private_segment_fixed_size 0
		.amdhsa_kernarg_size 136
		.amdhsa_user_sgpr_count 2
		.amdhsa_user_sgpr_dispatch_ptr 0
		.amdhsa_user_sgpr_queue_ptr 0
		.amdhsa_user_sgpr_kernarg_segment_ptr 1
		.amdhsa_user_sgpr_dispatch_id 0
		.amdhsa_user_sgpr_kernarg_preload_length 0
		.amdhsa_user_sgpr_kernarg_preload_offset 0
		.amdhsa_user_sgpr_private_segment_size 0
		.amdhsa_uses_dynamic_stack 0
		.amdhsa_enable_private_segment 0
		.amdhsa_system_sgpr_workgroup_id_x 1
		.amdhsa_system_sgpr_workgroup_id_y 0
		.amdhsa_system_sgpr_workgroup_id_z 0
		.amdhsa_system_sgpr_workgroup_info 0
		.amdhsa_system_vgpr_workitem_id 0
		.amdhsa_next_free_vgpr 1
		.amdhsa_next_free_sgpr 0
		.amdhsa_accum_offset 4
		.amdhsa_reserve_vcc 0
		.amdhsa_float_round_mode_32 0
		.amdhsa_float_round_mode_16_64 0
		.amdhsa_float_denorm_mode_32 3
		.amdhsa_float_denorm_mode_16_64 3
		.amdhsa_dx10_clamp 1
		.amdhsa_ieee_mode 1
		.amdhsa_fp16_overflow 0
		.amdhsa_tg_split 0
		.amdhsa_exception_fp_ieee_invalid_op 0
		.amdhsa_exception_fp_denorm_src 0
		.amdhsa_exception_fp_ieee_div_zero 0
		.amdhsa_exception_fp_ieee_overflow 0
		.amdhsa_exception_fp_ieee_underflow 0
		.amdhsa_exception_fp_ieee_inexact 0
		.amdhsa_exception_int_div_zero 0
	.end_amdhsa_kernel
	.section	.text._ZN7rocprim17ROCPRIM_400000_NS6detail17trampoline_kernelINS0_14default_configENS1_25partition_config_selectorILNS1_17partition_subalgoE0ExNS0_10empty_typeEbEEZZNS1_14partition_implILS5_0ELb0ES3_jN6thrust23THRUST_200600_302600_NS6detail15normal_iteratorINSA_10device_ptrIxEEEEPS6_SG_NS0_5tupleIJSF_SF_EEENSH_IJSG_SG_EEES6_PlJ7is_evenIxEEEE10hipError_tPvRmT3_T4_T5_T6_T7_T9_mT8_P12ihipStream_tbDpT10_ENKUlT_T0_E_clISt17integral_constantIbLb1EES16_EEDaS11_S12_EUlS11_E_NS1_11comp_targetILNS1_3genE3ELNS1_11target_archE908ELNS1_3gpuE7ELNS1_3repE0EEENS1_30default_config_static_selectorELNS0_4arch9wavefront6targetE1EEEvT1_,"axG",@progbits,_ZN7rocprim17ROCPRIM_400000_NS6detail17trampoline_kernelINS0_14default_configENS1_25partition_config_selectorILNS1_17partition_subalgoE0ExNS0_10empty_typeEbEEZZNS1_14partition_implILS5_0ELb0ES3_jN6thrust23THRUST_200600_302600_NS6detail15normal_iteratorINSA_10device_ptrIxEEEEPS6_SG_NS0_5tupleIJSF_SF_EEENSH_IJSG_SG_EEES6_PlJ7is_evenIxEEEE10hipError_tPvRmT3_T4_T5_T6_T7_T9_mT8_P12ihipStream_tbDpT10_ENKUlT_T0_E_clISt17integral_constantIbLb1EES16_EEDaS11_S12_EUlS11_E_NS1_11comp_targetILNS1_3genE3ELNS1_11target_archE908ELNS1_3gpuE7ELNS1_3repE0EEENS1_30default_config_static_selectorELNS0_4arch9wavefront6targetE1EEEvT1_,comdat
.Lfunc_end300:
	.size	_ZN7rocprim17ROCPRIM_400000_NS6detail17trampoline_kernelINS0_14default_configENS1_25partition_config_selectorILNS1_17partition_subalgoE0ExNS0_10empty_typeEbEEZZNS1_14partition_implILS5_0ELb0ES3_jN6thrust23THRUST_200600_302600_NS6detail15normal_iteratorINSA_10device_ptrIxEEEEPS6_SG_NS0_5tupleIJSF_SF_EEENSH_IJSG_SG_EEES6_PlJ7is_evenIxEEEE10hipError_tPvRmT3_T4_T5_T6_T7_T9_mT8_P12ihipStream_tbDpT10_ENKUlT_T0_E_clISt17integral_constantIbLb1EES16_EEDaS11_S12_EUlS11_E_NS1_11comp_targetILNS1_3genE3ELNS1_11target_archE908ELNS1_3gpuE7ELNS1_3repE0EEENS1_30default_config_static_selectorELNS0_4arch9wavefront6targetE1EEEvT1_, .Lfunc_end300-_ZN7rocprim17ROCPRIM_400000_NS6detail17trampoline_kernelINS0_14default_configENS1_25partition_config_selectorILNS1_17partition_subalgoE0ExNS0_10empty_typeEbEEZZNS1_14partition_implILS5_0ELb0ES3_jN6thrust23THRUST_200600_302600_NS6detail15normal_iteratorINSA_10device_ptrIxEEEEPS6_SG_NS0_5tupleIJSF_SF_EEENSH_IJSG_SG_EEES6_PlJ7is_evenIxEEEE10hipError_tPvRmT3_T4_T5_T6_T7_T9_mT8_P12ihipStream_tbDpT10_ENKUlT_T0_E_clISt17integral_constantIbLb1EES16_EEDaS11_S12_EUlS11_E_NS1_11comp_targetILNS1_3genE3ELNS1_11target_archE908ELNS1_3gpuE7ELNS1_3repE0EEENS1_30default_config_static_selectorELNS0_4arch9wavefront6targetE1EEEvT1_
                                        ; -- End function
	.section	.AMDGPU.csdata,"",@progbits
; Kernel info:
; codeLenInByte = 0
; NumSgprs: 6
; NumVgprs: 0
; NumAgprs: 0
; TotalNumVgprs: 0
; ScratchSize: 0
; MemoryBound: 0
; FloatMode: 240
; IeeeMode: 1
; LDSByteSize: 0 bytes/workgroup (compile time only)
; SGPRBlocks: 0
; VGPRBlocks: 0
; NumSGPRsForWavesPerEU: 6
; NumVGPRsForWavesPerEU: 1
; AccumOffset: 4
; Occupancy: 8
; WaveLimiterHint : 0
; COMPUTE_PGM_RSRC2:SCRATCH_EN: 0
; COMPUTE_PGM_RSRC2:USER_SGPR: 2
; COMPUTE_PGM_RSRC2:TRAP_HANDLER: 0
; COMPUTE_PGM_RSRC2:TGID_X_EN: 1
; COMPUTE_PGM_RSRC2:TGID_Y_EN: 0
; COMPUTE_PGM_RSRC2:TGID_Z_EN: 0
; COMPUTE_PGM_RSRC2:TIDIG_COMP_CNT: 0
; COMPUTE_PGM_RSRC3_GFX90A:ACCUM_OFFSET: 0
; COMPUTE_PGM_RSRC3_GFX90A:TG_SPLIT: 0
	.section	.text._ZN7rocprim17ROCPRIM_400000_NS6detail17trampoline_kernelINS0_14default_configENS1_25partition_config_selectorILNS1_17partition_subalgoE0ExNS0_10empty_typeEbEEZZNS1_14partition_implILS5_0ELb0ES3_jN6thrust23THRUST_200600_302600_NS6detail15normal_iteratorINSA_10device_ptrIxEEEEPS6_SG_NS0_5tupleIJSF_SF_EEENSH_IJSG_SG_EEES6_PlJ7is_evenIxEEEE10hipError_tPvRmT3_T4_T5_T6_T7_T9_mT8_P12ihipStream_tbDpT10_ENKUlT_T0_E_clISt17integral_constantIbLb1EES16_EEDaS11_S12_EUlS11_E_NS1_11comp_targetILNS1_3genE2ELNS1_11target_archE906ELNS1_3gpuE6ELNS1_3repE0EEENS1_30default_config_static_selectorELNS0_4arch9wavefront6targetE1EEEvT1_,"axG",@progbits,_ZN7rocprim17ROCPRIM_400000_NS6detail17trampoline_kernelINS0_14default_configENS1_25partition_config_selectorILNS1_17partition_subalgoE0ExNS0_10empty_typeEbEEZZNS1_14partition_implILS5_0ELb0ES3_jN6thrust23THRUST_200600_302600_NS6detail15normal_iteratorINSA_10device_ptrIxEEEEPS6_SG_NS0_5tupleIJSF_SF_EEENSH_IJSG_SG_EEES6_PlJ7is_evenIxEEEE10hipError_tPvRmT3_T4_T5_T6_T7_T9_mT8_P12ihipStream_tbDpT10_ENKUlT_T0_E_clISt17integral_constantIbLb1EES16_EEDaS11_S12_EUlS11_E_NS1_11comp_targetILNS1_3genE2ELNS1_11target_archE906ELNS1_3gpuE6ELNS1_3repE0EEENS1_30default_config_static_selectorELNS0_4arch9wavefront6targetE1EEEvT1_,comdat
	.protected	_ZN7rocprim17ROCPRIM_400000_NS6detail17trampoline_kernelINS0_14default_configENS1_25partition_config_selectorILNS1_17partition_subalgoE0ExNS0_10empty_typeEbEEZZNS1_14partition_implILS5_0ELb0ES3_jN6thrust23THRUST_200600_302600_NS6detail15normal_iteratorINSA_10device_ptrIxEEEEPS6_SG_NS0_5tupleIJSF_SF_EEENSH_IJSG_SG_EEES6_PlJ7is_evenIxEEEE10hipError_tPvRmT3_T4_T5_T6_T7_T9_mT8_P12ihipStream_tbDpT10_ENKUlT_T0_E_clISt17integral_constantIbLb1EES16_EEDaS11_S12_EUlS11_E_NS1_11comp_targetILNS1_3genE2ELNS1_11target_archE906ELNS1_3gpuE6ELNS1_3repE0EEENS1_30default_config_static_selectorELNS0_4arch9wavefront6targetE1EEEvT1_ ; -- Begin function _ZN7rocprim17ROCPRIM_400000_NS6detail17trampoline_kernelINS0_14default_configENS1_25partition_config_selectorILNS1_17partition_subalgoE0ExNS0_10empty_typeEbEEZZNS1_14partition_implILS5_0ELb0ES3_jN6thrust23THRUST_200600_302600_NS6detail15normal_iteratorINSA_10device_ptrIxEEEEPS6_SG_NS0_5tupleIJSF_SF_EEENSH_IJSG_SG_EEES6_PlJ7is_evenIxEEEE10hipError_tPvRmT3_T4_T5_T6_T7_T9_mT8_P12ihipStream_tbDpT10_ENKUlT_T0_E_clISt17integral_constantIbLb1EES16_EEDaS11_S12_EUlS11_E_NS1_11comp_targetILNS1_3genE2ELNS1_11target_archE906ELNS1_3gpuE6ELNS1_3repE0EEENS1_30default_config_static_selectorELNS0_4arch9wavefront6targetE1EEEvT1_
	.globl	_ZN7rocprim17ROCPRIM_400000_NS6detail17trampoline_kernelINS0_14default_configENS1_25partition_config_selectorILNS1_17partition_subalgoE0ExNS0_10empty_typeEbEEZZNS1_14partition_implILS5_0ELb0ES3_jN6thrust23THRUST_200600_302600_NS6detail15normal_iteratorINSA_10device_ptrIxEEEEPS6_SG_NS0_5tupleIJSF_SF_EEENSH_IJSG_SG_EEES6_PlJ7is_evenIxEEEE10hipError_tPvRmT3_T4_T5_T6_T7_T9_mT8_P12ihipStream_tbDpT10_ENKUlT_T0_E_clISt17integral_constantIbLb1EES16_EEDaS11_S12_EUlS11_E_NS1_11comp_targetILNS1_3genE2ELNS1_11target_archE906ELNS1_3gpuE6ELNS1_3repE0EEENS1_30default_config_static_selectorELNS0_4arch9wavefront6targetE1EEEvT1_
	.p2align	8
	.type	_ZN7rocprim17ROCPRIM_400000_NS6detail17trampoline_kernelINS0_14default_configENS1_25partition_config_selectorILNS1_17partition_subalgoE0ExNS0_10empty_typeEbEEZZNS1_14partition_implILS5_0ELb0ES3_jN6thrust23THRUST_200600_302600_NS6detail15normal_iteratorINSA_10device_ptrIxEEEEPS6_SG_NS0_5tupleIJSF_SF_EEENSH_IJSG_SG_EEES6_PlJ7is_evenIxEEEE10hipError_tPvRmT3_T4_T5_T6_T7_T9_mT8_P12ihipStream_tbDpT10_ENKUlT_T0_E_clISt17integral_constantIbLb1EES16_EEDaS11_S12_EUlS11_E_NS1_11comp_targetILNS1_3genE2ELNS1_11target_archE906ELNS1_3gpuE6ELNS1_3repE0EEENS1_30default_config_static_selectorELNS0_4arch9wavefront6targetE1EEEvT1_,@function
_ZN7rocprim17ROCPRIM_400000_NS6detail17trampoline_kernelINS0_14default_configENS1_25partition_config_selectorILNS1_17partition_subalgoE0ExNS0_10empty_typeEbEEZZNS1_14partition_implILS5_0ELb0ES3_jN6thrust23THRUST_200600_302600_NS6detail15normal_iteratorINSA_10device_ptrIxEEEEPS6_SG_NS0_5tupleIJSF_SF_EEENSH_IJSG_SG_EEES6_PlJ7is_evenIxEEEE10hipError_tPvRmT3_T4_T5_T6_T7_T9_mT8_P12ihipStream_tbDpT10_ENKUlT_T0_E_clISt17integral_constantIbLb1EES16_EEDaS11_S12_EUlS11_E_NS1_11comp_targetILNS1_3genE2ELNS1_11target_archE906ELNS1_3gpuE6ELNS1_3repE0EEENS1_30default_config_static_selectorELNS0_4arch9wavefront6targetE1EEEvT1_: ; @_ZN7rocprim17ROCPRIM_400000_NS6detail17trampoline_kernelINS0_14default_configENS1_25partition_config_selectorILNS1_17partition_subalgoE0ExNS0_10empty_typeEbEEZZNS1_14partition_implILS5_0ELb0ES3_jN6thrust23THRUST_200600_302600_NS6detail15normal_iteratorINSA_10device_ptrIxEEEEPS6_SG_NS0_5tupleIJSF_SF_EEENSH_IJSG_SG_EEES6_PlJ7is_evenIxEEEE10hipError_tPvRmT3_T4_T5_T6_T7_T9_mT8_P12ihipStream_tbDpT10_ENKUlT_T0_E_clISt17integral_constantIbLb1EES16_EEDaS11_S12_EUlS11_E_NS1_11comp_targetILNS1_3genE2ELNS1_11target_archE906ELNS1_3gpuE6ELNS1_3repE0EEENS1_30default_config_static_selectorELNS0_4arch9wavefront6targetE1EEEvT1_
; %bb.0:
	.section	.rodata,"a",@progbits
	.p2align	6, 0x0
	.amdhsa_kernel _ZN7rocprim17ROCPRIM_400000_NS6detail17trampoline_kernelINS0_14default_configENS1_25partition_config_selectorILNS1_17partition_subalgoE0ExNS0_10empty_typeEbEEZZNS1_14partition_implILS5_0ELb0ES3_jN6thrust23THRUST_200600_302600_NS6detail15normal_iteratorINSA_10device_ptrIxEEEEPS6_SG_NS0_5tupleIJSF_SF_EEENSH_IJSG_SG_EEES6_PlJ7is_evenIxEEEE10hipError_tPvRmT3_T4_T5_T6_T7_T9_mT8_P12ihipStream_tbDpT10_ENKUlT_T0_E_clISt17integral_constantIbLb1EES16_EEDaS11_S12_EUlS11_E_NS1_11comp_targetILNS1_3genE2ELNS1_11target_archE906ELNS1_3gpuE6ELNS1_3repE0EEENS1_30default_config_static_selectorELNS0_4arch9wavefront6targetE1EEEvT1_
		.amdhsa_group_segment_fixed_size 0
		.amdhsa_private_segment_fixed_size 0
		.amdhsa_kernarg_size 136
		.amdhsa_user_sgpr_count 2
		.amdhsa_user_sgpr_dispatch_ptr 0
		.amdhsa_user_sgpr_queue_ptr 0
		.amdhsa_user_sgpr_kernarg_segment_ptr 1
		.amdhsa_user_sgpr_dispatch_id 0
		.amdhsa_user_sgpr_kernarg_preload_length 0
		.amdhsa_user_sgpr_kernarg_preload_offset 0
		.amdhsa_user_sgpr_private_segment_size 0
		.amdhsa_uses_dynamic_stack 0
		.amdhsa_enable_private_segment 0
		.amdhsa_system_sgpr_workgroup_id_x 1
		.amdhsa_system_sgpr_workgroup_id_y 0
		.amdhsa_system_sgpr_workgroup_id_z 0
		.amdhsa_system_sgpr_workgroup_info 0
		.amdhsa_system_vgpr_workitem_id 0
		.amdhsa_next_free_vgpr 1
		.amdhsa_next_free_sgpr 0
		.amdhsa_accum_offset 4
		.amdhsa_reserve_vcc 0
		.amdhsa_float_round_mode_32 0
		.amdhsa_float_round_mode_16_64 0
		.amdhsa_float_denorm_mode_32 3
		.amdhsa_float_denorm_mode_16_64 3
		.amdhsa_dx10_clamp 1
		.amdhsa_ieee_mode 1
		.amdhsa_fp16_overflow 0
		.amdhsa_tg_split 0
		.amdhsa_exception_fp_ieee_invalid_op 0
		.amdhsa_exception_fp_denorm_src 0
		.amdhsa_exception_fp_ieee_div_zero 0
		.amdhsa_exception_fp_ieee_overflow 0
		.amdhsa_exception_fp_ieee_underflow 0
		.amdhsa_exception_fp_ieee_inexact 0
		.amdhsa_exception_int_div_zero 0
	.end_amdhsa_kernel
	.section	.text._ZN7rocprim17ROCPRIM_400000_NS6detail17trampoline_kernelINS0_14default_configENS1_25partition_config_selectorILNS1_17partition_subalgoE0ExNS0_10empty_typeEbEEZZNS1_14partition_implILS5_0ELb0ES3_jN6thrust23THRUST_200600_302600_NS6detail15normal_iteratorINSA_10device_ptrIxEEEEPS6_SG_NS0_5tupleIJSF_SF_EEENSH_IJSG_SG_EEES6_PlJ7is_evenIxEEEE10hipError_tPvRmT3_T4_T5_T6_T7_T9_mT8_P12ihipStream_tbDpT10_ENKUlT_T0_E_clISt17integral_constantIbLb1EES16_EEDaS11_S12_EUlS11_E_NS1_11comp_targetILNS1_3genE2ELNS1_11target_archE906ELNS1_3gpuE6ELNS1_3repE0EEENS1_30default_config_static_selectorELNS0_4arch9wavefront6targetE1EEEvT1_,"axG",@progbits,_ZN7rocprim17ROCPRIM_400000_NS6detail17trampoline_kernelINS0_14default_configENS1_25partition_config_selectorILNS1_17partition_subalgoE0ExNS0_10empty_typeEbEEZZNS1_14partition_implILS5_0ELb0ES3_jN6thrust23THRUST_200600_302600_NS6detail15normal_iteratorINSA_10device_ptrIxEEEEPS6_SG_NS0_5tupleIJSF_SF_EEENSH_IJSG_SG_EEES6_PlJ7is_evenIxEEEE10hipError_tPvRmT3_T4_T5_T6_T7_T9_mT8_P12ihipStream_tbDpT10_ENKUlT_T0_E_clISt17integral_constantIbLb1EES16_EEDaS11_S12_EUlS11_E_NS1_11comp_targetILNS1_3genE2ELNS1_11target_archE906ELNS1_3gpuE6ELNS1_3repE0EEENS1_30default_config_static_selectorELNS0_4arch9wavefront6targetE1EEEvT1_,comdat
.Lfunc_end301:
	.size	_ZN7rocprim17ROCPRIM_400000_NS6detail17trampoline_kernelINS0_14default_configENS1_25partition_config_selectorILNS1_17partition_subalgoE0ExNS0_10empty_typeEbEEZZNS1_14partition_implILS5_0ELb0ES3_jN6thrust23THRUST_200600_302600_NS6detail15normal_iteratorINSA_10device_ptrIxEEEEPS6_SG_NS0_5tupleIJSF_SF_EEENSH_IJSG_SG_EEES6_PlJ7is_evenIxEEEE10hipError_tPvRmT3_T4_T5_T6_T7_T9_mT8_P12ihipStream_tbDpT10_ENKUlT_T0_E_clISt17integral_constantIbLb1EES16_EEDaS11_S12_EUlS11_E_NS1_11comp_targetILNS1_3genE2ELNS1_11target_archE906ELNS1_3gpuE6ELNS1_3repE0EEENS1_30default_config_static_selectorELNS0_4arch9wavefront6targetE1EEEvT1_, .Lfunc_end301-_ZN7rocprim17ROCPRIM_400000_NS6detail17trampoline_kernelINS0_14default_configENS1_25partition_config_selectorILNS1_17partition_subalgoE0ExNS0_10empty_typeEbEEZZNS1_14partition_implILS5_0ELb0ES3_jN6thrust23THRUST_200600_302600_NS6detail15normal_iteratorINSA_10device_ptrIxEEEEPS6_SG_NS0_5tupleIJSF_SF_EEENSH_IJSG_SG_EEES6_PlJ7is_evenIxEEEE10hipError_tPvRmT3_T4_T5_T6_T7_T9_mT8_P12ihipStream_tbDpT10_ENKUlT_T0_E_clISt17integral_constantIbLb1EES16_EEDaS11_S12_EUlS11_E_NS1_11comp_targetILNS1_3genE2ELNS1_11target_archE906ELNS1_3gpuE6ELNS1_3repE0EEENS1_30default_config_static_selectorELNS0_4arch9wavefront6targetE1EEEvT1_
                                        ; -- End function
	.section	.AMDGPU.csdata,"",@progbits
; Kernel info:
; codeLenInByte = 0
; NumSgprs: 6
; NumVgprs: 0
; NumAgprs: 0
; TotalNumVgprs: 0
; ScratchSize: 0
; MemoryBound: 0
; FloatMode: 240
; IeeeMode: 1
; LDSByteSize: 0 bytes/workgroup (compile time only)
; SGPRBlocks: 0
; VGPRBlocks: 0
; NumSGPRsForWavesPerEU: 6
; NumVGPRsForWavesPerEU: 1
; AccumOffset: 4
; Occupancy: 8
; WaveLimiterHint : 0
; COMPUTE_PGM_RSRC2:SCRATCH_EN: 0
; COMPUTE_PGM_RSRC2:USER_SGPR: 2
; COMPUTE_PGM_RSRC2:TRAP_HANDLER: 0
; COMPUTE_PGM_RSRC2:TGID_X_EN: 1
; COMPUTE_PGM_RSRC2:TGID_Y_EN: 0
; COMPUTE_PGM_RSRC2:TGID_Z_EN: 0
; COMPUTE_PGM_RSRC2:TIDIG_COMP_CNT: 0
; COMPUTE_PGM_RSRC3_GFX90A:ACCUM_OFFSET: 0
; COMPUTE_PGM_RSRC3_GFX90A:TG_SPLIT: 0
	.section	.text._ZN7rocprim17ROCPRIM_400000_NS6detail17trampoline_kernelINS0_14default_configENS1_25partition_config_selectorILNS1_17partition_subalgoE0ExNS0_10empty_typeEbEEZZNS1_14partition_implILS5_0ELb0ES3_jN6thrust23THRUST_200600_302600_NS6detail15normal_iteratorINSA_10device_ptrIxEEEEPS6_SG_NS0_5tupleIJSF_SF_EEENSH_IJSG_SG_EEES6_PlJ7is_evenIxEEEE10hipError_tPvRmT3_T4_T5_T6_T7_T9_mT8_P12ihipStream_tbDpT10_ENKUlT_T0_E_clISt17integral_constantIbLb1EES16_EEDaS11_S12_EUlS11_E_NS1_11comp_targetILNS1_3genE10ELNS1_11target_archE1200ELNS1_3gpuE4ELNS1_3repE0EEENS1_30default_config_static_selectorELNS0_4arch9wavefront6targetE1EEEvT1_,"axG",@progbits,_ZN7rocprim17ROCPRIM_400000_NS6detail17trampoline_kernelINS0_14default_configENS1_25partition_config_selectorILNS1_17partition_subalgoE0ExNS0_10empty_typeEbEEZZNS1_14partition_implILS5_0ELb0ES3_jN6thrust23THRUST_200600_302600_NS6detail15normal_iteratorINSA_10device_ptrIxEEEEPS6_SG_NS0_5tupleIJSF_SF_EEENSH_IJSG_SG_EEES6_PlJ7is_evenIxEEEE10hipError_tPvRmT3_T4_T5_T6_T7_T9_mT8_P12ihipStream_tbDpT10_ENKUlT_T0_E_clISt17integral_constantIbLb1EES16_EEDaS11_S12_EUlS11_E_NS1_11comp_targetILNS1_3genE10ELNS1_11target_archE1200ELNS1_3gpuE4ELNS1_3repE0EEENS1_30default_config_static_selectorELNS0_4arch9wavefront6targetE1EEEvT1_,comdat
	.protected	_ZN7rocprim17ROCPRIM_400000_NS6detail17trampoline_kernelINS0_14default_configENS1_25partition_config_selectorILNS1_17partition_subalgoE0ExNS0_10empty_typeEbEEZZNS1_14partition_implILS5_0ELb0ES3_jN6thrust23THRUST_200600_302600_NS6detail15normal_iteratorINSA_10device_ptrIxEEEEPS6_SG_NS0_5tupleIJSF_SF_EEENSH_IJSG_SG_EEES6_PlJ7is_evenIxEEEE10hipError_tPvRmT3_T4_T5_T6_T7_T9_mT8_P12ihipStream_tbDpT10_ENKUlT_T0_E_clISt17integral_constantIbLb1EES16_EEDaS11_S12_EUlS11_E_NS1_11comp_targetILNS1_3genE10ELNS1_11target_archE1200ELNS1_3gpuE4ELNS1_3repE0EEENS1_30default_config_static_selectorELNS0_4arch9wavefront6targetE1EEEvT1_ ; -- Begin function _ZN7rocprim17ROCPRIM_400000_NS6detail17trampoline_kernelINS0_14default_configENS1_25partition_config_selectorILNS1_17partition_subalgoE0ExNS0_10empty_typeEbEEZZNS1_14partition_implILS5_0ELb0ES3_jN6thrust23THRUST_200600_302600_NS6detail15normal_iteratorINSA_10device_ptrIxEEEEPS6_SG_NS0_5tupleIJSF_SF_EEENSH_IJSG_SG_EEES6_PlJ7is_evenIxEEEE10hipError_tPvRmT3_T4_T5_T6_T7_T9_mT8_P12ihipStream_tbDpT10_ENKUlT_T0_E_clISt17integral_constantIbLb1EES16_EEDaS11_S12_EUlS11_E_NS1_11comp_targetILNS1_3genE10ELNS1_11target_archE1200ELNS1_3gpuE4ELNS1_3repE0EEENS1_30default_config_static_selectorELNS0_4arch9wavefront6targetE1EEEvT1_
	.globl	_ZN7rocprim17ROCPRIM_400000_NS6detail17trampoline_kernelINS0_14default_configENS1_25partition_config_selectorILNS1_17partition_subalgoE0ExNS0_10empty_typeEbEEZZNS1_14partition_implILS5_0ELb0ES3_jN6thrust23THRUST_200600_302600_NS6detail15normal_iteratorINSA_10device_ptrIxEEEEPS6_SG_NS0_5tupleIJSF_SF_EEENSH_IJSG_SG_EEES6_PlJ7is_evenIxEEEE10hipError_tPvRmT3_T4_T5_T6_T7_T9_mT8_P12ihipStream_tbDpT10_ENKUlT_T0_E_clISt17integral_constantIbLb1EES16_EEDaS11_S12_EUlS11_E_NS1_11comp_targetILNS1_3genE10ELNS1_11target_archE1200ELNS1_3gpuE4ELNS1_3repE0EEENS1_30default_config_static_selectorELNS0_4arch9wavefront6targetE1EEEvT1_
	.p2align	8
	.type	_ZN7rocprim17ROCPRIM_400000_NS6detail17trampoline_kernelINS0_14default_configENS1_25partition_config_selectorILNS1_17partition_subalgoE0ExNS0_10empty_typeEbEEZZNS1_14partition_implILS5_0ELb0ES3_jN6thrust23THRUST_200600_302600_NS6detail15normal_iteratorINSA_10device_ptrIxEEEEPS6_SG_NS0_5tupleIJSF_SF_EEENSH_IJSG_SG_EEES6_PlJ7is_evenIxEEEE10hipError_tPvRmT3_T4_T5_T6_T7_T9_mT8_P12ihipStream_tbDpT10_ENKUlT_T0_E_clISt17integral_constantIbLb1EES16_EEDaS11_S12_EUlS11_E_NS1_11comp_targetILNS1_3genE10ELNS1_11target_archE1200ELNS1_3gpuE4ELNS1_3repE0EEENS1_30default_config_static_selectorELNS0_4arch9wavefront6targetE1EEEvT1_,@function
_ZN7rocprim17ROCPRIM_400000_NS6detail17trampoline_kernelINS0_14default_configENS1_25partition_config_selectorILNS1_17partition_subalgoE0ExNS0_10empty_typeEbEEZZNS1_14partition_implILS5_0ELb0ES3_jN6thrust23THRUST_200600_302600_NS6detail15normal_iteratorINSA_10device_ptrIxEEEEPS6_SG_NS0_5tupleIJSF_SF_EEENSH_IJSG_SG_EEES6_PlJ7is_evenIxEEEE10hipError_tPvRmT3_T4_T5_T6_T7_T9_mT8_P12ihipStream_tbDpT10_ENKUlT_T0_E_clISt17integral_constantIbLb1EES16_EEDaS11_S12_EUlS11_E_NS1_11comp_targetILNS1_3genE10ELNS1_11target_archE1200ELNS1_3gpuE4ELNS1_3repE0EEENS1_30default_config_static_selectorELNS0_4arch9wavefront6targetE1EEEvT1_: ; @_ZN7rocprim17ROCPRIM_400000_NS6detail17trampoline_kernelINS0_14default_configENS1_25partition_config_selectorILNS1_17partition_subalgoE0ExNS0_10empty_typeEbEEZZNS1_14partition_implILS5_0ELb0ES3_jN6thrust23THRUST_200600_302600_NS6detail15normal_iteratorINSA_10device_ptrIxEEEEPS6_SG_NS0_5tupleIJSF_SF_EEENSH_IJSG_SG_EEES6_PlJ7is_evenIxEEEE10hipError_tPvRmT3_T4_T5_T6_T7_T9_mT8_P12ihipStream_tbDpT10_ENKUlT_T0_E_clISt17integral_constantIbLb1EES16_EEDaS11_S12_EUlS11_E_NS1_11comp_targetILNS1_3genE10ELNS1_11target_archE1200ELNS1_3gpuE4ELNS1_3repE0EEENS1_30default_config_static_selectorELNS0_4arch9wavefront6targetE1EEEvT1_
; %bb.0:
	.section	.rodata,"a",@progbits
	.p2align	6, 0x0
	.amdhsa_kernel _ZN7rocprim17ROCPRIM_400000_NS6detail17trampoline_kernelINS0_14default_configENS1_25partition_config_selectorILNS1_17partition_subalgoE0ExNS0_10empty_typeEbEEZZNS1_14partition_implILS5_0ELb0ES3_jN6thrust23THRUST_200600_302600_NS6detail15normal_iteratorINSA_10device_ptrIxEEEEPS6_SG_NS0_5tupleIJSF_SF_EEENSH_IJSG_SG_EEES6_PlJ7is_evenIxEEEE10hipError_tPvRmT3_T4_T5_T6_T7_T9_mT8_P12ihipStream_tbDpT10_ENKUlT_T0_E_clISt17integral_constantIbLb1EES16_EEDaS11_S12_EUlS11_E_NS1_11comp_targetILNS1_3genE10ELNS1_11target_archE1200ELNS1_3gpuE4ELNS1_3repE0EEENS1_30default_config_static_selectorELNS0_4arch9wavefront6targetE1EEEvT1_
		.amdhsa_group_segment_fixed_size 0
		.amdhsa_private_segment_fixed_size 0
		.amdhsa_kernarg_size 136
		.amdhsa_user_sgpr_count 2
		.amdhsa_user_sgpr_dispatch_ptr 0
		.amdhsa_user_sgpr_queue_ptr 0
		.amdhsa_user_sgpr_kernarg_segment_ptr 1
		.amdhsa_user_sgpr_dispatch_id 0
		.amdhsa_user_sgpr_kernarg_preload_length 0
		.amdhsa_user_sgpr_kernarg_preload_offset 0
		.amdhsa_user_sgpr_private_segment_size 0
		.amdhsa_uses_dynamic_stack 0
		.amdhsa_enable_private_segment 0
		.amdhsa_system_sgpr_workgroup_id_x 1
		.amdhsa_system_sgpr_workgroup_id_y 0
		.amdhsa_system_sgpr_workgroup_id_z 0
		.amdhsa_system_sgpr_workgroup_info 0
		.amdhsa_system_vgpr_workitem_id 0
		.amdhsa_next_free_vgpr 1
		.amdhsa_next_free_sgpr 0
		.amdhsa_accum_offset 4
		.amdhsa_reserve_vcc 0
		.amdhsa_float_round_mode_32 0
		.amdhsa_float_round_mode_16_64 0
		.amdhsa_float_denorm_mode_32 3
		.amdhsa_float_denorm_mode_16_64 3
		.amdhsa_dx10_clamp 1
		.amdhsa_ieee_mode 1
		.amdhsa_fp16_overflow 0
		.amdhsa_tg_split 0
		.amdhsa_exception_fp_ieee_invalid_op 0
		.amdhsa_exception_fp_denorm_src 0
		.amdhsa_exception_fp_ieee_div_zero 0
		.amdhsa_exception_fp_ieee_overflow 0
		.amdhsa_exception_fp_ieee_underflow 0
		.amdhsa_exception_fp_ieee_inexact 0
		.amdhsa_exception_int_div_zero 0
	.end_amdhsa_kernel
	.section	.text._ZN7rocprim17ROCPRIM_400000_NS6detail17trampoline_kernelINS0_14default_configENS1_25partition_config_selectorILNS1_17partition_subalgoE0ExNS0_10empty_typeEbEEZZNS1_14partition_implILS5_0ELb0ES3_jN6thrust23THRUST_200600_302600_NS6detail15normal_iteratorINSA_10device_ptrIxEEEEPS6_SG_NS0_5tupleIJSF_SF_EEENSH_IJSG_SG_EEES6_PlJ7is_evenIxEEEE10hipError_tPvRmT3_T4_T5_T6_T7_T9_mT8_P12ihipStream_tbDpT10_ENKUlT_T0_E_clISt17integral_constantIbLb1EES16_EEDaS11_S12_EUlS11_E_NS1_11comp_targetILNS1_3genE10ELNS1_11target_archE1200ELNS1_3gpuE4ELNS1_3repE0EEENS1_30default_config_static_selectorELNS0_4arch9wavefront6targetE1EEEvT1_,"axG",@progbits,_ZN7rocprim17ROCPRIM_400000_NS6detail17trampoline_kernelINS0_14default_configENS1_25partition_config_selectorILNS1_17partition_subalgoE0ExNS0_10empty_typeEbEEZZNS1_14partition_implILS5_0ELb0ES3_jN6thrust23THRUST_200600_302600_NS6detail15normal_iteratorINSA_10device_ptrIxEEEEPS6_SG_NS0_5tupleIJSF_SF_EEENSH_IJSG_SG_EEES6_PlJ7is_evenIxEEEE10hipError_tPvRmT3_T4_T5_T6_T7_T9_mT8_P12ihipStream_tbDpT10_ENKUlT_T0_E_clISt17integral_constantIbLb1EES16_EEDaS11_S12_EUlS11_E_NS1_11comp_targetILNS1_3genE10ELNS1_11target_archE1200ELNS1_3gpuE4ELNS1_3repE0EEENS1_30default_config_static_selectorELNS0_4arch9wavefront6targetE1EEEvT1_,comdat
.Lfunc_end302:
	.size	_ZN7rocprim17ROCPRIM_400000_NS6detail17trampoline_kernelINS0_14default_configENS1_25partition_config_selectorILNS1_17partition_subalgoE0ExNS0_10empty_typeEbEEZZNS1_14partition_implILS5_0ELb0ES3_jN6thrust23THRUST_200600_302600_NS6detail15normal_iteratorINSA_10device_ptrIxEEEEPS6_SG_NS0_5tupleIJSF_SF_EEENSH_IJSG_SG_EEES6_PlJ7is_evenIxEEEE10hipError_tPvRmT3_T4_T5_T6_T7_T9_mT8_P12ihipStream_tbDpT10_ENKUlT_T0_E_clISt17integral_constantIbLb1EES16_EEDaS11_S12_EUlS11_E_NS1_11comp_targetILNS1_3genE10ELNS1_11target_archE1200ELNS1_3gpuE4ELNS1_3repE0EEENS1_30default_config_static_selectorELNS0_4arch9wavefront6targetE1EEEvT1_, .Lfunc_end302-_ZN7rocprim17ROCPRIM_400000_NS6detail17trampoline_kernelINS0_14default_configENS1_25partition_config_selectorILNS1_17partition_subalgoE0ExNS0_10empty_typeEbEEZZNS1_14partition_implILS5_0ELb0ES3_jN6thrust23THRUST_200600_302600_NS6detail15normal_iteratorINSA_10device_ptrIxEEEEPS6_SG_NS0_5tupleIJSF_SF_EEENSH_IJSG_SG_EEES6_PlJ7is_evenIxEEEE10hipError_tPvRmT3_T4_T5_T6_T7_T9_mT8_P12ihipStream_tbDpT10_ENKUlT_T0_E_clISt17integral_constantIbLb1EES16_EEDaS11_S12_EUlS11_E_NS1_11comp_targetILNS1_3genE10ELNS1_11target_archE1200ELNS1_3gpuE4ELNS1_3repE0EEENS1_30default_config_static_selectorELNS0_4arch9wavefront6targetE1EEEvT1_
                                        ; -- End function
	.section	.AMDGPU.csdata,"",@progbits
; Kernel info:
; codeLenInByte = 0
; NumSgprs: 6
; NumVgprs: 0
; NumAgprs: 0
; TotalNumVgprs: 0
; ScratchSize: 0
; MemoryBound: 0
; FloatMode: 240
; IeeeMode: 1
; LDSByteSize: 0 bytes/workgroup (compile time only)
; SGPRBlocks: 0
; VGPRBlocks: 0
; NumSGPRsForWavesPerEU: 6
; NumVGPRsForWavesPerEU: 1
; AccumOffset: 4
; Occupancy: 8
; WaveLimiterHint : 0
; COMPUTE_PGM_RSRC2:SCRATCH_EN: 0
; COMPUTE_PGM_RSRC2:USER_SGPR: 2
; COMPUTE_PGM_RSRC2:TRAP_HANDLER: 0
; COMPUTE_PGM_RSRC2:TGID_X_EN: 1
; COMPUTE_PGM_RSRC2:TGID_Y_EN: 0
; COMPUTE_PGM_RSRC2:TGID_Z_EN: 0
; COMPUTE_PGM_RSRC2:TIDIG_COMP_CNT: 0
; COMPUTE_PGM_RSRC3_GFX90A:ACCUM_OFFSET: 0
; COMPUTE_PGM_RSRC3_GFX90A:TG_SPLIT: 0
	.section	.text._ZN7rocprim17ROCPRIM_400000_NS6detail17trampoline_kernelINS0_14default_configENS1_25partition_config_selectorILNS1_17partition_subalgoE0ExNS0_10empty_typeEbEEZZNS1_14partition_implILS5_0ELb0ES3_jN6thrust23THRUST_200600_302600_NS6detail15normal_iteratorINSA_10device_ptrIxEEEEPS6_SG_NS0_5tupleIJSF_SF_EEENSH_IJSG_SG_EEES6_PlJ7is_evenIxEEEE10hipError_tPvRmT3_T4_T5_T6_T7_T9_mT8_P12ihipStream_tbDpT10_ENKUlT_T0_E_clISt17integral_constantIbLb1EES16_EEDaS11_S12_EUlS11_E_NS1_11comp_targetILNS1_3genE9ELNS1_11target_archE1100ELNS1_3gpuE3ELNS1_3repE0EEENS1_30default_config_static_selectorELNS0_4arch9wavefront6targetE1EEEvT1_,"axG",@progbits,_ZN7rocprim17ROCPRIM_400000_NS6detail17trampoline_kernelINS0_14default_configENS1_25partition_config_selectorILNS1_17partition_subalgoE0ExNS0_10empty_typeEbEEZZNS1_14partition_implILS5_0ELb0ES3_jN6thrust23THRUST_200600_302600_NS6detail15normal_iteratorINSA_10device_ptrIxEEEEPS6_SG_NS0_5tupleIJSF_SF_EEENSH_IJSG_SG_EEES6_PlJ7is_evenIxEEEE10hipError_tPvRmT3_T4_T5_T6_T7_T9_mT8_P12ihipStream_tbDpT10_ENKUlT_T0_E_clISt17integral_constantIbLb1EES16_EEDaS11_S12_EUlS11_E_NS1_11comp_targetILNS1_3genE9ELNS1_11target_archE1100ELNS1_3gpuE3ELNS1_3repE0EEENS1_30default_config_static_selectorELNS0_4arch9wavefront6targetE1EEEvT1_,comdat
	.protected	_ZN7rocprim17ROCPRIM_400000_NS6detail17trampoline_kernelINS0_14default_configENS1_25partition_config_selectorILNS1_17partition_subalgoE0ExNS0_10empty_typeEbEEZZNS1_14partition_implILS5_0ELb0ES3_jN6thrust23THRUST_200600_302600_NS6detail15normal_iteratorINSA_10device_ptrIxEEEEPS6_SG_NS0_5tupleIJSF_SF_EEENSH_IJSG_SG_EEES6_PlJ7is_evenIxEEEE10hipError_tPvRmT3_T4_T5_T6_T7_T9_mT8_P12ihipStream_tbDpT10_ENKUlT_T0_E_clISt17integral_constantIbLb1EES16_EEDaS11_S12_EUlS11_E_NS1_11comp_targetILNS1_3genE9ELNS1_11target_archE1100ELNS1_3gpuE3ELNS1_3repE0EEENS1_30default_config_static_selectorELNS0_4arch9wavefront6targetE1EEEvT1_ ; -- Begin function _ZN7rocprim17ROCPRIM_400000_NS6detail17trampoline_kernelINS0_14default_configENS1_25partition_config_selectorILNS1_17partition_subalgoE0ExNS0_10empty_typeEbEEZZNS1_14partition_implILS5_0ELb0ES3_jN6thrust23THRUST_200600_302600_NS6detail15normal_iteratorINSA_10device_ptrIxEEEEPS6_SG_NS0_5tupleIJSF_SF_EEENSH_IJSG_SG_EEES6_PlJ7is_evenIxEEEE10hipError_tPvRmT3_T4_T5_T6_T7_T9_mT8_P12ihipStream_tbDpT10_ENKUlT_T0_E_clISt17integral_constantIbLb1EES16_EEDaS11_S12_EUlS11_E_NS1_11comp_targetILNS1_3genE9ELNS1_11target_archE1100ELNS1_3gpuE3ELNS1_3repE0EEENS1_30default_config_static_selectorELNS0_4arch9wavefront6targetE1EEEvT1_
	.globl	_ZN7rocprim17ROCPRIM_400000_NS6detail17trampoline_kernelINS0_14default_configENS1_25partition_config_selectorILNS1_17partition_subalgoE0ExNS0_10empty_typeEbEEZZNS1_14partition_implILS5_0ELb0ES3_jN6thrust23THRUST_200600_302600_NS6detail15normal_iteratorINSA_10device_ptrIxEEEEPS6_SG_NS0_5tupleIJSF_SF_EEENSH_IJSG_SG_EEES6_PlJ7is_evenIxEEEE10hipError_tPvRmT3_T4_T5_T6_T7_T9_mT8_P12ihipStream_tbDpT10_ENKUlT_T0_E_clISt17integral_constantIbLb1EES16_EEDaS11_S12_EUlS11_E_NS1_11comp_targetILNS1_3genE9ELNS1_11target_archE1100ELNS1_3gpuE3ELNS1_3repE0EEENS1_30default_config_static_selectorELNS0_4arch9wavefront6targetE1EEEvT1_
	.p2align	8
	.type	_ZN7rocprim17ROCPRIM_400000_NS6detail17trampoline_kernelINS0_14default_configENS1_25partition_config_selectorILNS1_17partition_subalgoE0ExNS0_10empty_typeEbEEZZNS1_14partition_implILS5_0ELb0ES3_jN6thrust23THRUST_200600_302600_NS6detail15normal_iteratorINSA_10device_ptrIxEEEEPS6_SG_NS0_5tupleIJSF_SF_EEENSH_IJSG_SG_EEES6_PlJ7is_evenIxEEEE10hipError_tPvRmT3_T4_T5_T6_T7_T9_mT8_P12ihipStream_tbDpT10_ENKUlT_T0_E_clISt17integral_constantIbLb1EES16_EEDaS11_S12_EUlS11_E_NS1_11comp_targetILNS1_3genE9ELNS1_11target_archE1100ELNS1_3gpuE3ELNS1_3repE0EEENS1_30default_config_static_selectorELNS0_4arch9wavefront6targetE1EEEvT1_,@function
_ZN7rocprim17ROCPRIM_400000_NS6detail17trampoline_kernelINS0_14default_configENS1_25partition_config_selectorILNS1_17partition_subalgoE0ExNS0_10empty_typeEbEEZZNS1_14partition_implILS5_0ELb0ES3_jN6thrust23THRUST_200600_302600_NS6detail15normal_iteratorINSA_10device_ptrIxEEEEPS6_SG_NS0_5tupleIJSF_SF_EEENSH_IJSG_SG_EEES6_PlJ7is_evenIxEEEE10hipError_tPvRmT3_T4_T5_T6_T7_T9_mT8_P12ihipStream_tbDpT10_ENKUlT_T0_E_clISt17integral_constantIbLb1EES16_EEDaS11_S12_EUlS11_E_NS1_11comp_targetILNS1_3genE9ELNS1_11target_archE1100ELNS1_3gpuE3ELNS1_3repE0EEENS1_30default_config_static_selectorELNS0_4arch9wavefront6targetE1EEEvT1_: ; @_ZN7rocprim17ROCPRIM_400000_NS6detail17trampoline_kernelINS0_14default_configENS1_25partition_config_selectorILNS1_17partition_subalgoE0ExNS0_10empty_typeEbEEZZNS1_14partition_implILS5_0ELb0ES3_jN6thrust23THRUST_200600_302600_NS6detail15normal_iteratorINSA_10device_ptrIxEEEEPS6_SG_NS0_5tupleIJSF_SF_EEENSH_IJSG_SG_EEES6_PlJ7is_evenIxEEEE10hipError_tPvRmT3_T4_T5_T6_T7_T9_mT8_P12ihipStream_tbDpT10_ENKUlT_T0_E_clISt17integral_constantIbLb1EES16_EEDaS11_S12_EUlS11_E_NS1_11comp_targetILNS1_3genE9ELNS1_11target_archE1100ELNS1_3gpuE3ELNS1_3repE0EEENS1_30default_config_static_selectorELNS0_4arch9wavefront6targetE1EEEvT1_
; %bb.0:
	.section	.rodata,"a",@progbits
	.p2align	6, 0x0
	.amdhsa_kernel _ZN7rocprim17ROCPRIM_400000_NS6detail17trampoline_kernelINS0_14default_configENS1_25partition_config_selectorILNS1_17partition_subalgoE0ExNS0_10empty_typeEbEEZZNS1_14partition_implILS5_0ELb0ES3_jN6thrust23THRUST_200600_302600_NS6detail15normal_iteratorINSA_10device_ptrIxEEEEPS6_SG_NS0_5tupleIJSF_SF_EEENSH_IJSG_SG_EEES6_PlJ7is_evenIxEEEE10hipError_tPvRmT3_T4_T5_T6_T7_T9_mT8_P12ihipStream_tbDpT10_ENKUlT_T0_E_clISt17integral_constantIbLb1EES16_EEDaS11_S12_EUlS11_E_NS1_11comp_targetILNS1_3genE9ELNS1_11target_archE1100ELNS1_3gpuE3ELNS1_3repE0EEENS1_30default_config_static_selectorELNS0_4arch9wavefront6targetE1EEEvT1_
		.amdhsa_group_segment_fixed_size 0
		.amdhsa_private_segment_fixed_size 0
		.amdhsa_kernarg_size 136
		.amdhsa_user_sgpr_count 2
		.amdhsa_user_sgpr_dispatch_ptr 0
		.amdhsa_user_sgpr_queue_ptr 0
		.amdhsa_user_sgpr_kernarg_segment_ptr 1
		.amdhsa_user_sgpr_dispatch_id 0
		.amdhsa_user_sgpr_kernarg_preload_length 0
		.amdhsa_user_sgpr_kernarg_preload_offset 0
		.amdhsa_user_sgpr_private_segment_size 0
		.amdhsa_uses_dynamic_stack 0
		.amdhsa_enable_private_segment 0
		.amdhsa_system_sgpr_workgroup_id_x 1
		.amdhsa_system_sgpr_workgroup_id_y 0
		.amdhsa_system_sgpr_workgroup_id_z 0
		.amdhsa_system_sgpr_workgroup_info 0
		.amdhsa_system_vgpr_workitem_id 0
		.amdhsa_next_free_vgpr 1
		.amdhsa_next_free_sgpr 0
		.amdhsa_accum_offset 4
		.amdhsa_reserve_vcc 0
		.amdhsa_float_round_mode_32 0
		.amdhsa_float_round_mode_16_64 0
		.amdhsa_float_denorm_mode_32 3
		.amdhsa_float_denorm_mode_16_64 3
		.amdhsa_dx10_clamp 1
		.amdhsa_ieee_mode 1
		.amdhsa_fp16_overflow 0
		.amdhsa_tg_split 0
		.amdhsa_exception_fp_ieee_invalid_op 0
		.amdhsa_exception_fp_denorm_src 0
		.amdhsa_exception_fp_ieee_div_zero 0
		.amdhsa_exception_fp_ieee_overflow 0
		.amdhsa_exception_fp_ieee_underflow 0
		.amdhsa_exception_fp_ieee_inexact 0
		.amdhsa_exception_int_div_zero 0
	.end_amdhsa_kernel
	.section	.text._ZN7rocprim17ROCPRIM_400000_NS6detail17trampoline_kernelINS0_14default_configENS1_25partition_config_selectorILNS1_17partition_subalgoE0ExNS0_10empty_typeEbEEZZNS1_14partition_implILS5_0ELb0ES3_jN6thrust23THRUST_200600_302600_NS6detail15normal_iteratorINSA_10device_ptrIxEEEEPS6_SG_NS0_5tupleIJSF_SF_EEENSH_IJSG_SG_EEES6_PlJ7is_evenIxEEEE10hipError_tPvRmT3_T4_T5_T6_T7_T9_mT8_P12ihipStream_tbDpT10_ENKUlT_T0_E_clISt17integral_constantIbLb1EES16_EEDaS11_S12_EUlS11_E_NS1_11comp_targetILNS1_3genE9ELNS1_11target_archE1100ELNS1_3gpuE3ELNS1_3repE0EEENS1_30default_config_static_selectorELNS0_4arch9wavefront6targetE1EEEvT1_,"axG",@progbits,_ZN7rocprim17ROCPRIM_400000_NS6detail17trampoline_kernelINS0_14default_configENS1_25partition_config_selectorILNS1_17partition_subalgoE0ExNS0_10empty_typeEbEEZZNS1_14partition_implILS5_0ELb0ES3_jN6thrust23THRUST_200600_302600_NS6detail15normal_iteratorINSA_10device_ptrIxEEEEPS6_SG_NS0_5tupleIJSF_SF_EEENSH_IJSG_SG_EEES6_PlJ7is_evenIxEEEE10hipError_tPvRmT3_T4_T5_T6_T7_T9_mT8_P12ihipStream_tbDpT10_ENKUlT_T0_E_clISt17integral_constantIbLb1EES16_EEDaS11_S12_EUlS11_E_NS1_11comp_targetILNS1_3genE9ELNS1_11target_archE1100ELNS1_3gpuE3ELNS1_3repE0EEENS1_30default_config_static_selectorELNS0_4arch9wavefront6targetE1EEEvT1_,comdat
.Lfunc_end303:
	.size	_ZN7rocprim17ROCPRIM_400000_NS6detail17trampoline_kernelINS0_14default_configENS1_25partition_config_selectorILNS1_17partition_subalgoE0ExNS0_10empty_typeEbEEZZNS1_14partition_implILS5_0ELb0ES3_jN6thrust23THRUST_200600_302600_NS6detail15normal_iteratorINSA_10device_ptrIxEEEEPS6_SG_NS0_5tupleIJSF_SF_EEENSH_IJSG_SG_EEES6_PlJ7is_evenIxEEEE10hipError_tPvRmT3_T4_T5_T6_T7_T9_mT8_P12ihipStream_tbDpT10_ENKUlT_T0_E_clISt17integral_constantIbLb1EES16_EEDaS11_S12_EUlS11_E_NS1_11comp_targetILNS1_3genE9ELNS1_11target_archE1100ELNS1_3gpuE3ELNS1_3repE0EEENS1_30default_config_static_selectorELNS0_4arch9wavefront6targetE1EEEvT1_, .Lfunc_end303-_ZN7rocprim17ROCPRIM_400000_NS6detail17trampoline_kernelINS0_14default_configENS1_25partition_config_selectorILNS1_17partition_subalgoE0ExNS0_10empty_typeEbEEZZNS1_14partition_implILS5_0ELb0ES3_jN6thrust23THRUST_200600_302600_NS6detail15normal_iteratorINSA_10device_ptrIxEEEEPS6_SG_NS0_5tupleIJSF_SF_EEENSH_IJSG_SG_EEES6_PlJ7is_evenIxEEEE10hipError_tPvRmT3_T4_T5_T6_T7_T9_mT8_P12ihipStream_tbDpT10_ENKUlT_T0_E_clISt17integral_constantIbLb1EES16_EEDaS11_S12_EUlS11_E_NS1_11comp_targetILNS1_3genE9ELNS1_11target_archE1100ELNS1_3gpuE3ELNS1_3repE0EEENS1_30default_config_static_selectorELNS0_4arch9wavefront6targetE1EEEvT1_
                                        ; -- End function
	.section	.AMDGPU.csdata,"",@progbits
; Kernel info:
; codeLenInByte = 0
; NumSgprs: 6
; NumVgprs: 0
; NumAgprs: 0
; TotalNumVgprs: 0
; ScratchSize: 0
; MemoryBound: 0
; FloatMode: 240
; IeeeMode: 1
; LDSByteSize: 0 bytes/workgroup (compile time only)
; SGPRBlocks: 0
; VGPRBlocks: 0
; NumSGPRsForWavesPerEU: 6
; NumVGPRsForWavesPerEU: 1
; AccumOffset: 4
; Occupancy: 8
; WaveLimiterHint : 0
; COMPUTE_PGM_RSRC2:SCRATCH_EN: 0
; COMPUTE_PGM_RSRC2:USER_SGPR: 2
; COMPUTE_PGM_RSRC2:TRAP_HANDLER: 0
; COMPUTE_PGM_RSRC2:TGID_X_EN: 1
; COMPUTE_PGM_RSRC2:TGID_Y_EN: 0
; COMPUTE_PGM_RSRC2:TGID_Z_EN: 0
; COMPUTE_PGM_RSRC2:TIDIG_COMP_CNT: 0
; COMPUTE_PGM_RSRC3_GFX90A:ACCUM_OFFSET: 0
; COMPUTE_PGM_RSRC3_GFX90A:TG_SPLIT: 0
	.section	.text._ZN7rocprim17ROCPRIM_400000_NS6detail17trampoline_kernelINS0_14default_configENS1_25partition_config_selectorILNS1_17partition_subalgoE0ExNS0_10empty_typeEbEEZZNS1_14partition_implILS5_0ELb0ES3_jN6thrust23THRUST_200600_302600_NS6detail15normal_iteratorINSA_10device_ptrIxEEEEPS6_SG_NS0_5tupleIJSF_SF_EEENSH_IJSG_SG_EEES6_PlJ7is_evenIxEEEE10hipError_tPvRmT3_T4_T5_T6_T7_T9_mT8_P12ihipStream_tbDpT10_ENKUlT_T0_E_clISt17integral_constantIbLb1EES16_EEDaS11_S12_EUlS11_E_NS1_11comp_targetILNS1_3genE8ELNS1_11target_archE1030ELNS1_3gpuE2ELNS1_3repE0EEENS1_30default_config_static_selectorELNS0_4arch9wavefront6targetE1EEEvT1_,"axG",@progbits,_ZN7rocprim17ROCPRIM_400000_NS6detail17trampoline_kernelINS0_14default_configENS1_25partition_config_selectorILNS1_17partition_subalgoE0ExNS0_10empty_typeEbEEZZNS1_14partition_implILS5_0ELb0ES3_jN6thrust23THRUST_200600_302600_NS6detail15normal_iteratorINSA_10device_ptrIxEEEEPS6_SG_NS0_5tupleIJSF_SF_EEENSH_IJSG_SG_EEES6_PlJ7is_evenIxEEEE10hipError_tPvRmT3_T4_T5_T6_T7_T9_mT8_P12ihipStream_tbDpT10_ENKUlT_T0_E_clISt17integral_constantIbLb1EES16_EEDaS11_S12_EUlS11_E_NS1_11comp_targetILNS1_3genE8ELNS1_11target_archE1030ELNS1_3gpuE2ELNS1_3repE0EEENS1_30default_config_static_selectorELNS0_4arch9wavefront6targetE1EEEvT1_,comdat
	.protected	_ZN7rocprim17ROCPRIM_400000_NS6detail17trampoline_kernelINS0_14default_configENS1_25partition_config_selectorILNS1_17partition_subalgoE0ExNS0_10empty_typeEbEEZZNS1_14partition_implILS5_0ELb0ES3_jN6thrust23THRUST_200600_302600_NS6detail15normal_iteratorINSA_10device_ptrIxEEEEPS6_SG_NS0_5tupleIJSF_SF_EEENSH_IJSG_SG_EEES6_PlJ7is_evenIxEEEE10hipError_tPvRmT3_T4_T5_T6_T7_T9_mT8_P12ihipStream_tbDpT10_ENKUlT_T0_E_clISt17integral_constantIbLb1EES16_EEDaS11_S12_EUlS11_E_NS1_11comp_targetILNS1_3genE8ELNS1_11target_archE1030ELNS1_3gpuE2ELNS1_3repE0EEENS1_30default_config_static_selectorELNS0_4arch9wavefront6targetE1EEEvT1_ ; -- Begin function _ZN7rocprim17ROCPRIM_400000_NS6detail17trampoline_kernelINS0_14default_configENS1_25partition_config_selectorILNS1_17partition_subalgoE0ExNS0_10empty_typeEbEEZZNS1_14partition_implILS5_0ELb0ES3_jN6thrust23THRUST_200600_302600_NS6detail15normal_iteratorINSA_10device_ptrIxEEEEPS6_SG_NS0_5tupleIJSF_SF_EEENSH_IJSG_SG_EEES6_PlJ7is_evenIxEEEE10hipError_tPvRmT3_T4_T5_T6_T7_T9_mT8_P12ihipStream_tbDpT10_ENKUlT_T0_E_clISt17integral_constantIbLb1EES16_EEDaS11_S12_EUlS11_E_NS1_11comp_targetILNS1_3genE8ELNS1_11target_archE1030ELNS1_3gpuE2ELNS1_3repE0EEENS1_30default_config_static_selectorELNS0_4arch9wavefront6targetE1EEEvT1_
	.globl	_ZN7rocprim17ROCPRIM_400000_NS6detail17trampoline_kernelINS0_14default_configENS1_25partition_config_selectorILNS1_17partition_subalgoE0ExNS0_10empty_typeEbEEZZNS1_14partition_implILS5_0ELb0ES3_jN6thrust23THRUST_200600_302600_NS6detail15normal_iteratorINSA_10device_ptrIxEEEEPS6_SG_NS0_5tupleIJSF_SF_EEENSH_IJSG_SG_EEES6_PlJ7is_evenIxEEEE10hipError_tPvRmT3_T4_T5_T6_T7_T9_mT8_P12ihipStream_tbDpT10_ENKUlT_T0_E_clISt17integral_constantIbLb1EES16_EEDaS11_S12_EUlS11_E_NS1_11comp_targetILNS1_3genE8ELNS1_11target_archE1030ELNS1_3gpuE2ELNS1_3repE0EEENS1_30default_config_static_selectorELNS0_4arch9wavefront6targetE1EEEvT1_
	.p2align	8
	.type	_ZN7rocprim17ROCPRIM_400000_NS6detail17trampoline_kernelINS0_14default_configENS1_25partition_config_selectorILNS1_17partition_subalgoE0ExNS0_10empty_typeEbEEZZNS1_14partition_implILS5_0ELb0ES3_jN6thrust23THRUST_200600_302600_NS6detail15normal_iteratorINSA_10device_ptrIxEEEEPS6_SG_NS0_5tupleIJSF_SF_EEENSH_IJSG_SG_EEES6_PlJ7is_evenIxEEEE10hipError_tPvRmT3_T4_T5_T6_T7_T9_mT8_P12ihipStream_tbDpT10_ENKUlT_T0_E_clISt17integral_constantIbLb1EES16_EEDaS11_S12_EUlS11_E_NS1_11comp_targetILNS1_3genE8ELNS1_11target_archE1030ELNS1_3gpuE2ELNS1_3repE0EEENS1_30default_config_static_selectorELNS0_4arch9wavefront6targetE1EEEvT1_,@function
_ZN7rocprim17ROCPRIM_400000_NS6detail17trampoline_kernelINS0_14default_configENS1_25partition_config_selectorILNS1_17partition_subalgoE0ExNS0_10empty_typeEbEEZZNS1_14partition_implILS5_0ELb0ES3_jN6thrust23THRUST_200600_302600_NS6detail15normal_iteratorINSA_10device_ptrIxEEEEPS6_SG_NS0_5tupleIJSF_SF_EEENSH_IJSG_SG_EEES6_PlJ7is_evenIxEEEE10hipError_tPvRmT3_T4_T5_T6_T7_T9_mT8_P12ihipStream_tbDpT10_ENKUlT_T0_E_clISt17integral_constantIbLb1EES16_EEDaS11_S12_EUlS11_E_NS1_11comp_targetILNS1_3genE8ELNS1_11target_archE1030ELNS1_3gpuE2ELNS1_3repE0EEENS1_30default_config_static_selectorELNS0_4arch9wavefront6targetE1EEEvT1_: ; @_ZN7rocprim17ROCPRIM_400000_NS6detail17trampoline_kernelINS0_14default_configENS1_25partition_config_selectorILNS1_17partition_subalgoE0ExNS0_10empty_typeEbEEZZNS1_14partition_implILS5_0ELb0ES3_jN6thrust23THRUST_200600_302600_NS6detail15normal_iteratorINSA_10device_ptrIxEEEEPS6_SG_NS0_5tupleIJSF_SF_EEENSH_IJSG_SG_EEES6_PlJ7is_evenIxEEEE10hipError_tPvRmT3_T4_T5_T6_T7_T9_mT8_P12ihipStream_tbDpT10_ENKUlT_T0_E_clISt17integral_constantIbLb1EES16_EEDaS11_S12_EUlS11_E_NS1_11comp_targetILNS1_3genE8ELNS1_11target_archE1030ELNS1_3gpuE2ELNS1_3repE0EEENS1_30default_config_static_selectorELNS0_4arch9wavefront6targetE1EEEvT1_
; %bb.0:
	.section	.rodata,"a",@progbits
	.p2align	6, 0x0
	.amdhsa_kernel _ZN7rocprim17ROCPRIM_400000_NS6detail17trampoline_kernelINS0_14default_configENS1_25partition_config_selectorILNS1_17partition_subalgoE0ExNS0_10empty_typeEbEEZZNS1_14partition_implILS5_0ELb0ES3_jN6thrust23THRUST_200600_302600_NS6detail15normal_iteratorINSA_10device_ptrIxEEEEPS6_SG_NS0_5tupleIJSF_SF_EEENSH_IJSG_SG_EEES6_PlJ7is_evenIxEEEE10hipError_tPvRmT3_T4_T5_T6_T7_T9_mT8_P12ihipStream_tbDpT10_ENKUlT_T0_E_clISt17integral_constantIbLb1EES16_EEDaS11_S12_EUlS11_E_NS1_11comp_targetILNS1_3genE8ELNS1_11target_archE1030ELNS1_3gpuE2ELNS1_3repE0EEENS1_30default_config_static_selectorELNS0_4arch9wavefront6targetE1EEEvT1_
		.amdhsa_group_segment_fixed_size 0
		.amdhsa_private_segment_fixed_size 0
		.amdhsa_kernarg_size 136
		.amdhsa_user_sgpr_count 2
		.amdhsa_user_sgpr_dispatch_ptr 0
		.amdhsa_user_sgpr_queue_ptr 0
		.amdhsa_user_sgpr_kernarg_segment_ptr 1
		.amdhsa_user_sgpr_dispatch_id 0
		.amdhsa_user_sgpr_kernarg_preload_length 0
		.amdhsa_user_sgpr_kernarg_preload_offset 0
		.amdhsa_user_sgpr_private_segment_size 0
		.amdhsa_uses_dynamic_stack 0
		.amdhsa_enable_private_segment 0
		.amdhsa_system_sgpr_workgroup_id_x 1
		.amdhsa_system_sgpr_workgroup_id_y 0
		.amdhsa_system_sgpr_workgroup_id_z 0
		.amdhsa_system_sgpr_workgroup_info 0
		.amdhsa_system_vgpr_workitem_id 0
		.amdhsa_next_free_vgpr 1
		.amdhsa_next_free_sgpr 0
		.amdhsa_accum_offset 4
		.amdhsa_reserve_vcc 0
		.amdhsa_float_round_mode_32 0
		.amdhsa_float_round_mode_16_64 0
		.amdhsa_float_denorm_mode_32 3
		.amdhsa_float_denorm_mode_16_64 3
		.amdhsa_dx10_clamp 1
		.amdhsa_ieee_mode 1
		.amdhsa_fp16_overflow 0
		.amdhsa_tg_split 0
		.amdhsa_exception_fp_ieee_invalid_op 0
		.amdhsa_exception_fp_denorm_src 0
		.amdhsa_exception_fp_ieee_div_zero 0
		.amdhsa_exception_fp_ieee_overflow 0
		.amdhsa_exception_fp_ieee_underflow 0
		.amdhsa_exception_fp_ieee_inexact 0
		.amdhsa_exception_int_div_zero 0
	.end_amdhsa_kernel
	.section	.text._ZN7rocprim17ROCPRIM_400000_NS6detail17trampoline_kernelINS0_14default_configENS1_25partition_config_selectorILNS1_17partition_subalgoE0ExNS0_10empty_typeEbEEZZNS1_14partition_implILS5_0ELb0ES3_jN6thrust23THRUST_200600_302600_NS6detail15normal_iteratorINSA_10device_ptrIxEEEEPS6_SG_NS0_5tupleIJSF_SF_EEENSH_IJSG_SG_EEES6_PlJ7is_evenIxEEEE10hipError_tPvRmT3_T4_T5_T6_T7_T9_mT8_P12ihipStream_tbDpT10_ENKUlT_T0_E_clISt17integral_constantIbLb1EES16_EEDaS11_S12_EUlS11_E_NS1_11comp_targetILNS1_3genE8ELNS1_11target_archE1030ELNS1_3gpuE2ELNS1_3repE0EEENS1_30default_config_static_selectorELNS0_4arch9wavefront6targetE1EEEvT1_,"axG",@progbits,_ZN7rocprim17ROCPRIM_400000_NS6detail17trampoline_kernelINS0_14default_configENS1_25partition_config_selectorILNS1_17partition_subalgoE0ExNS0_10empty_typeEbEEZZNS1_14partition_implILS5_0ELb0ES3_jN6thrust23THRUST_200600_302600_NS6detail15normal_iteratorINSA_10device_ptrIxEEEEPS6_SG_NS0_5tupleIJSF_SF_EEENSH_IJSG_SG_EEES6_PlJ7is_evenIxEEEE10hipError_tPvRmT3_T4_T5_T6_T7_T9_mT8_P12ihipStream_tbDpT10_ENKUlT_T0_E_clISt17integral_constantIbLb1EES16_EEDaS11_S12_EUlS11_E_NS1_11comp_targetILNS1_3genE8ELNS1_11target_archE1030ELNS1_3gpuE2ELNS1_3repE0EEENS1_30default_config_static_selectorELNS0_4arch9wavefront6targetE1EEEvT1_,comdat
.Lfunc_end304:
	.size	_ZN7rocprim17ROCPRIM_400000_NS6detail17trampoline_kernelINS0_14default_configENS1_25partition_config_selectorILNS1_17partition_subalgoE0ExNS0_10empty_typeEbEEZZNS1_14partition_implILS5_0ELb0ES3_jN6thrust23THRUST_200600_302600_NS6detail15normal_iteratorINSA_10device_ptrIxEEEEPS6_SG_NS0_5tupleIJSF_SF_EEENSH_IJSG_SG_EEES6_PlJ7is_evenIxEEEE10hipError_tPvRmT3_T4_T5_T6_T7_T9_mT8_P12ihipStream_tbDpT10_ENKUlT_T0_E_clISt17integral_constantIbLb1EES16_EEDaS11_S12_EUlS11_E_NS1_11comp_targetILNS1_3genE8ELNS1_11target_archE1030ELNS1_3gpuE2ELNS1_3repE0EEENS1_30default_config_static_selectorELNS0_4arch9wavefront6targetE1EEEvT1_, .Lfunc_end304-_ZN7rocprim17ROCPRIM_400000_NS6detail17trampoline_kernelINS0_14default_configENS1_25partition_config_selectorILNS1_17partition_subalgoE0ExNS0_10empty_typeEbEEZZNS1_14partition_implILS5_0ELb0ES3_jN6thrust23THRUST_200600_302600_NS6detail15normal_iteratorINSA_10device_ptrIxEEEEPS6_SG_NS0_5tupleIJSF_SF_EEENSH_IJSG_SG_EEES6_PlJ7is_evenIxEEEE10hipError_tPvRmT3_T4_T5_T6_T7_T9_mT8_P12ihipStream_tbDpT10_ENKUlT_T0_E_clISt17integral_constantIbLb1EES16_EEDaS11_S12_EUlS11_E_NS1_11comp_targetILNS1_3genE8ELNS1_11target_archE1030ELNS1_3gpuE2ELNS1_3repE0EEENS1_30default_config_static_selectorELNS0_4arch9wavefront6targetE1EEEvT1_
                                        ; -- End function
	.section	.AMDGPU.csdata,"",@progbits
; Kernel info:
; codeLenInByte = 0
; NumSgprs: 6
; NumVgprs: 0
; NumAgprs: 0
; TotalNumVgprs: 0
; ScratchSize: 0
; MemoryBound: 0
; FloatMode: 240
; IeeeMode: 1
; LDSByteSize: 0 bytes/workgroup (compile time only)
; SGPRBlocks: 0
; VGPRBlocks: 0
; NumSGPRsForWavesPerEU: 6
; NumVGPRsForWavesPerEU: 1
; AccumOffset: 4
; Occupancy: 8
; WaveLimiterHint : 0
; COMPUTE_PGM_RSRC2:SCRATCH_EN: 0
; COMPUTE_PGM_RSRC2:USER_SGPR: 2
; COMPUTE_PGM_RSRC2:TRAP_HANDLER: 0
; COMPUTE_PGM_RSRC2:TGID_X_EN: 1
; COMPUTE_PGM_RSRC2:TGID_Y_EN: 0
; COMPUTE_PGM_RSRC2:TGID_Z_EN: 0
; COMPUTE_PGM_RSRC2:TIDIG_COMP_CNT: 0
; COMPUTE_PGM_RSRC3_GFX90A:ACCUM_OFFSET: 0
; COMPUTE_PGM_RSRC3_GFX90A:TG_SPLIT: 0
	.section	.text._ZN7rocprim17ROCPRIM_400000_NS6detail17trampoline_kernelINS0_14default_configENS1_25partition_config_selectorILNS1_17partition_subalgoE0ExNS0_10empty_typeEbEEZZNS1_14partition_implILS5_0ELb0ES3_jN6thrust23THRUST_200600_302600_NS6detail15normal_iteratorINSA_10device_ptrIxEEEEPS6_SG_NS0_5tupleIJSF_SF_EEENSH_IJSG_SG_EEES6_PlJ7is_evenIxEEEE10hipError_tPvRmT3_T4_T5_T6_T7_T9_mT8_P12ihipStream_tbDpT10_ENKUlT_T0_E_clISt17integral_constantIbLb1EES15_IbLb0EEEEDaS11_S12_EUlS11_E_NS1_11comp_targetILNS1_3genE0ELNS1_11target_archE4294967295ELNS1_3gpuE0ELNS1_3repE0EEENS1_30default_config_static_selectorELNS0_4arch9wavefront6targetE1EEEvT1_,"axG",@progbits,_ZN7rocprim17ROCPRIM_400000_NS6detail17trampoline_kernelINS0_14default_configENS1_25partition_config_selectorILNS1_17partition_subalgoE0ExNS0_10empty_typeEbEEZZNS1_14partition_implILS5_0ELb0ES3_jN6thrust23THRUST_200600_302600_NS6detail15normal_iteratorINSA_10device_ptrIxEEEEPS6_SG_NS0_5tupleIJSF_SF_EEENSH_IJSG_SG_EEES6_PlJ7is_evenIxEEEE10hipError_tPvRmT3_T4_T5_T6_T7_T9_mT8_P12ihipStream_tbDpT10_ENKUlT_T0_E_clISt17integral_constantIbLb1EES15_IbLb0EEEEDaS11_S12_EUlS11_E_NS1_11comp_targetILNS1_3genE0ELNS1_11target_archE4294967295ELNS1_3gpuE0ELNS1_3repE0EEENS1_30default_config_static_selectorELNS0_4arch9wavefront6targetE1EEEvT1_,comdat
	.protected	_ZN7rocprim17ROCPRIM_400000_NS6detail17trampoline_kernelINS0_14default_configENS1_25partition_config_selectorILNS1_17partition_subalgoE0ExNS0_10empty_typeEbEEZZNS1_14partition_implILS5_0ELb0ES3_jN6thrust23THRUST_200600_302600_NS6detail15normal_iteratorINSA_10device_ptrIxEEEEPS6_SG_NS0_5tupleIJSF_SF_EEENSH_IJSG_SG_EEES6_PlJ7is_evenIxEEEE10hipError_tPvRmT3_T4_T5_T6_T7_T9_mT8_P12ihipStream_tbDpT10_ENKUlT_T0_E_clISt17integral_constantIbLb1EES15_IbLb0EEEEDaS11_S12_EUlS11_E_NS1_11comp_targetILNS1_3genE0ELNS1_11target_archE4294967295ELNS1_3gpuE0ELNS1_3repE0EEENS1_30default_config_static_selectorELNS0_4arch9wavefront6targetE1EEEvT1_ ; -- Begin function _ZN7rocprim17ROCPRIM_400000_NS6detail17trampoline_kernelINS0_14default_configENS1_25partition_config_selectorILNS1_17partition_subalgoE0ExNS0_10empty_typeEbEEZZNS1_14partition_implILS5_0ELb0ES3_jN6thrust23THRUST_200600_302600_NS6detail15normal_iteratorINSA_10device_ptrIxEEEEPS6_SG_NS0_5tupleIJSF_SF_EEENSH_IJSG_SG_EEES6_PlJ7is_evenIxEEEE10hipError_tPvRmT3_T4_T5_T6_T7_T9_mT8_P12ihipStream_tbDpT10_ENKUlT_T0_E_clISt17integral_constantIbLb1EES15_IbLb0EEEEDaS11_S12_EUlS11_E_NS1_11comp_targetILNS1_3genE0ELNS1_11target_archE4294967295ELNS1_3gpuE0ELNS1_3repE0EEENS1_30default_config_static_selectorELNS0_4arch9wavefront6targetE1EEEvT1_
	.globl	_ZN7rocprim17ROCPRIM_400000_NS6detail17trampoline_kernelINS0_14default_configENS1_25partition_config_selectorILNS1_17partition_subalgoE0ExNS0_10empty_typeEbEEZZNS1_14partition_implILS5_0ELb0ES3_jN6thrust23THRUST_200600_302600_NS6detail15normal_iteratorINSA_10device_ptrIxEEEEPS6_SG_NS0_5tupleIJSF_SF_EEENSH_IJSG_SG_EEES6_PlJ7is_evenIxEEEE10hipError_tPvRmT3_T4_T5_T6_T7_T9_mT8_P12ihipStream_tbDpT10_ENKUlT_T0_E_clISt17integral_constantIbLb1EES15_IbLb0EEEEDaS11_S12_EUlS11_E_NS1_11comp_targetILNS1_3genE0ELNS1_11target_archE4294967295ELNS1_3gpuE0ELNS1_3repE0EEENS1_30default_config_static_selectorELNS0_4arch9wavefront6targetE1EEEvT1_
	.p2align	8
	.type	_ZN7rocprim17ROCPRIM_400000_NS6detail17trampoline_kernelINS0_14default_configENS1_25partition_config_selectorILNS1_17partition_subalgoE0ExNS0_10empty_typeEbEEZZNS1_14partition_implILS5_0ELb0ES3_jN6thrust23THRUST_200600_302600_NS6detail15normal_iteratorINSA_10device_ptrIxEEEEPS6_SG_NS0_5tupleIJSF_SF_EEENSH_IJSG_SG_EEES6_PlJ7is_evenIxEEEE10hipError_tPvRmT3_T4_T5_T6_T7_T9_mT8_P12ihipStream_tbDpT10_ENKUlT_T0_E_clISt17integral_constantIbLb1EES15_IbLb0EEEEDaS11_S12_EUlS11_E_NS1_11comp_targetILNS1_3genE0ELNS1_11target_archE4294967295ELNS1_3gpuE0ELNS1_3repE0EEENS1_30default_config_static_selectorELNS0_4arch9wavefront6targetE1EEEvT1_,@function
_ZN7rocprim17ROCPRIM_400000_NS6detail17trampoline_kernelINS0_14default_configENS1_25partition_config_selectorILNS1_17partition_subalgoE0ExNS0_10empty_typeEbEEZZNS1_14partition_implILS5_0ELb0ES3_jN6thrust23THRUST_200600_302600_NS6detail15normal_iteratorINSA_10device_ptrIxEEEEPS6_SG_NS0_5tupleIJSF_SF_EEENSH_IJSG_SG_EEES6_PlJ7is_evenIxEEEE10hipError_tPvRmT3_T4_T5_T6_T7_T9_mT8_P12ihipStream_tbDpT10_ENKUlT_T0_E_clISt17integral_constantIbLb1EES15_IbLb0EEEEDaS11_S12_EUlS11_E_NS1_11comp_targetILNS1_3genE0ELNS1_11target_archE4294967295ELNS1_3gpuE0ELNS1_3repE0EEENS1_30default_config_static_selectorELNS0_4arch9wavefront6targetE1EEEvT1_: ; @_ZN7rocprim17ROCPRIM_400000_NS6detail17trampoline_kernelINS0_14default_configENS1_25partition_config_selectorILNS1_17partition_subalgoE0ExNS0_10empty_typeEbEEZZNS1_14partition_implILS5_0ELb0ES3_jN6thrust23THRUST_200600_302600_NS6detail15normal_iteratorINSA_10device_ptrIxEEEEPS6_SG_NS0_5tupleIJSF_SF_EEENSH_IJSG_SG_EEES6_PlJ7is_evenIxEEEE10hipError_tPvRmT3_T4_T5_T6_T7_T9_mT8_P12ihipStream_tbDpT10_ENKUlT_T0_E_clISt17integral_constantIbLb1EES15_IbLb0EEEEDaS11_S12_EUlS11_E_NS1_11comp_targetILNS1_3genE0ELNS1_11target_archE4294967295ELNS1_3gpuE0ELNS1_3repE0EEENS1_30default_config_static_selectorELNS0_4arch9wavefront6targetE1EEEvT1_
; %bb.0:
	.section	.rodata,"a",@progbits
	.p2align	6, 0x0
	.amdhsa_kernel _ZN7rocprim17ROCPRIM_400000_NS6detail17trampoline_kernelINS0_14default_configENS1_25partition_config_selectorILNS1_17partition_subalgoE0ExNS0_10empty_typeEbEEZZNS1_14partition_implILS5_0ELb0ES3_jN6thrust23THRUST_200600_302600_NS6detail15normal_iteratorINSA_10device_ptrIxEEEEPS6_SG_NS0_5tupleIJSF_SF_EEENSH_IJSG_SG_EEES6_PlJ7is_evenIxEEEE10hipError_tPvRmT3_T4_T5_T6_T7_T9_mT8_P12ihipStream_tbDpT10_ENKUlT_T0_E_clISt17integral_constantIbLb1EES15_IbLb0EEEEDaS11_S12_EUlS11_E_NS1_11comp_targetILNS1_3genE0ELNS1_11target_archE4294967295ELNS1_3gpuE0ELNS1_3repE0EEENS1_30default_config_static_selectorELNS0_4arch9wavefront6targetE1EEEvT1_
		.amdhsa_group_segment_fixed_size 0
		.amdhsa_private_segment_fixed_size 0
		.amdhsa_kernarg_size 120
		.amdhsa_user_sgpr_count 2
		.amdhsa_user_sgpr_dispatch_ptr 0
		.amdhsa_user_sgpr_queue_ptr 0
		.amdhsa_user_sgpr_kernarg_segment_ptr 1
		.amdhsa_user_sgpr_dispatch_id 0
		.amdhsa_user_sgpr_kernarg_preload_length 0
		.amdhsa_user_sgpr_kernarg_preload_offset 0
		.amdhsa_user_sgpr_private_segment_size 0
		.amdhsa_uses_dynamic_stack 0
		.amdhsa_enable_private_segment 0
		.amdhsa_system_sgpr_workgroup_id_x 1
		.amdhsa_system_sgpr_workgroup_id_y 0
		.amdhsa_system_sgpr_workgroup_id_z 0
		.amdhsa_system_sgpr_workgroup_info 0
		.amdhsa_system_vgpr_workitem_id 0
		.amdhsa_next_free_vgpr 1
		.amdhsa_next_free_sgpr 0
		.amdhsa_accum_offset 4
		.amdhsa_reserve_vcc 0
		.amdhsa_float_round_mode_32 0
		.amdhsa_float_round_mode_16_64 0
		.amdhsa_float_denorm_mode_32 3
		.amdhsa_float_denorm_mode_16_64 3
		.amdhsa_dx10_clamp 1
		.amdhsa_ieee_mode 1
		.amdhsa_fp16_overflow 0
		.amdhsa_tg_split 0
		.amdhsa_exception_fp_ieee_invalid_op 0
		.amdhsa_exception_fp_denorm_src 0
		.amdhsa_exception_fp_ieee_div_zero 0
		.amdhsa_exception_fp_ieee_overflow 0
		.amdhsa_exception_fp_ieee_underflow 0
		.amdhsa_exception_fp_ieee_inexact 0
		.amdhsa_exception_int_div_zero 0
	.end_amdhsa_kernel
	.section	.text._ZN7rocprim17ROCPRIM_400000_NS6detail17trampoline_kernelINS0_14default_configENS1_25partition_config_selectorILNS1_17partition_subalgoE0ExNS0_10empty_typeEbEEZZNS1_14partition_implILS5_0ELb0ES3_jN6thrust23THRUST_200600_302600_NS6detail15normal_iteratorINSA_10device_ptrIxEEEEPS6_SG_NS0_5tupleIJSF_SF_EEENSH_IJSG_SG_EEES6_PlJ7is_evenIxEEEE10hipError_tPvRmT3_T4_T5_T6_T7_T9_mT8_P12ihipStream_tbDpT10_ENKUlT_T0_E_clISt17integral_constantIbLb1EES15_IbLb0EEEEDaS11_S12_EUlS11_E_NS1_11comp_targetILNS1_3genE0ELNS1_11target_archE4294967295ELNS1_3gpuE0ELNS1_3repE0EEENS1_30default_config_static_selectorELNS0_4arch9wavefront6targetE1EEEvT1_,"axG",@progbits,_ZN7rocprim17ROCPRIM_400000_NS6detail17trampoline_kernelINS0_14default_configENS1_25partition_config_selectorILNS1_17partition_subalgoE0ExNS0_10empty_typeEbEEZZNS1_14partition_implILS5_0ELb0ES3_jN6thrust23THRUST_200600_302600_NS6detail15normal_iteratorINSA_10device_ptrIxEEEEPS6_SG_NS0_5tupleIJSF_SF_EEENSH_IJSG_SG_EEES6_PlJ7is_evenIxEEEE10hipError_tPvRmT3_T4_T5_T6_T7_T9_mT8_P12ihipStream_tbDpT10_ENKUlT_T0_E_clISt17integral_constantIbLb1EES15_IbLb0EEEEDaS11_S12_EUlS11_E_NS1_11comp_targetILNS1_3genE0ELNS1_11target_archE4294967295ELNS1_3gpuE0ELNS1_3repE0EEENS1_30default_config_static_selectorELNS0_4arch9wavefront6targetE1EEEvT1_,comdat
.Lfunc_end305:
	.size	_ZN7rocprim17ROCPRIM_400000_NS6detail17trampoline_kernelINS0_14default_configENS1_25partition_config_selectorILNS1_17partition_subalgoE0ExNS0_10empty_typeEbEEZZNS1_14partition_implILS5_0ELb0ES3_jN6thrust23THRUST_200600_302600_NS6detail15normal_iteratorINSA_10device_ptrIxEEEEPS6_SG_NS0_5tupleIJSF_SF_EEENSH_IJSG_SG_EEES6_PlJ7is_evenIxEEEE10hipError_tPvRmT3_T4_T5_T6_T7_T9_mT8_P12ihipStream_tbDpT10_ENKUlT_T0_E_clISt17integral_constantIbLb1EES15_IbLb0EEEEDaS11_S12_EUlS11_E_NS1_11comp_targetILNS1_3genE0ELNS1_11target_archE4294967295ELNS1_3gpuE0ELNS1_3repE0EEENS1_30default_config_static_selectorELNS0_4arch9wavefront6targetE1EEEvT1_, .Lfunc_end305-_ZN7rocprim17ROCPRIM_400000_NS6detail17trampoline_kernelINS0_14default_configENS1_25partition_config_selectorILNS1_17partition_subalgoE0ExNS0_10empty_typeEbEEZZNS1_14partition_implILS5_0ELb0ES3_jN6thrust23THRUST_200600_302600_NS6detail15normal_iteratorINSA_10device_ptrIxEEEEPS6_SG_NS0_5tupleIJSF_SF_EEENSH_IJSG_SG_EEES6_PlJ7is_evenIxEEEE10hipError_tPvRmT3_T4_T5_T6_T7_T9_mT8_P12ihipStream_tbDpT10_ENKUlT_T0_E_clISt17integral_constantIbLb1EES15_IbLb0EEEEDaS11_S12_EUlS11_E_NS1_11comp_targetILNS1_3genE0ELNS1_11target_archE4294967295ELNS1_3gpuE0ELNS1_3repE0EEENS1_30default_config_static_selectorELNS0_4arch9wavefront6targetE1EEEvT1_
                                        ; -- End function
	.section	.AMDGPU.csdata,"",@progbits
; Kernel info:
; codeLenInByte = 0
; NumSgprs: 6
; NumVgprs: 0
; NumAgprs: 0
; TotalNumVgprs: 0
; ScratchSize: 0
; MemoryBound: 0
; FloatMode: 240
; IeeeMode: 1
; LDSByteSize: 0 bytes/workgroup (compile time only)
; SGPRBlocks: 0
; VGPRBlocks: 0
; NumSGPRsForWavesPerEU: 6
; NumVGPRsForWavesPerEU: 1
; AccumOffset: 4
; Occupancy: 8
; WaveLimiterHint : 0
; COMPUTE_PGM_RSRC2:SCRATCH_EN: 0
; COMPUTE_PGM_RSRC2:USER_SGPR: 2
; COMPUTE_PGM_RSRC2:TRAP_HANDLER: 0
; COMPUTE_PGM_RSRC2:TGID_X_EN: 1
; COMPUTE_PGM_RSRC2:TGID_Y_EN: 0
; COMPUTE_PGM_RSRC2:TGID_Z_EN: 0
; COMPUTE_PGM_RSRC2:TIDIG_COMP_CNT: 0
; COMPUTE_PGM_RSRC3_GFX90A:ACCUM_OFFSET: 0
; COMPUTE_PGM_RSRC3_GFX90A:TG_SPLIT: 0
	.section	.text._ZN7rocprim17ROCPRIM_400000_NS6detail17trampoline_kernelINS0_14default_configENS1_25partition_config_selectorILNS1_17partition_subalgoE0ExNS0_10empty_typeEbEEZZNS1_14partition_implILS5_0ELb0ES3_jN6thrust23THRUST_200600_302600_NS6detail15normal_iteratorINSA_10device_ptrIxEEEEPS6_SG_NS0_5tupleIJSF_SF_EEENSH_IJSG_SG_EEES6_PlJ7is_evenIxEEEE10hipError_tPvRmT3_T4_T5_T6_T7_T9_mT8_P12ihipStream_tbDpT10_ENKUlT_T0_E_clISt17integral_constantIbLb1EES15_IbLb0EEEEDaS11_S12_EUlS11_E_NS1_11comp_targetILNS1_3genE5ELNS1_11target_archE942ELNS1_3gpuE9ELNS1_3repE0EEENS1_30default_config_static_selectorELNS0_4arch9wavefront6targetE1EEEvT1_,"axG",@progbits,_ZN7rocprim17ROCPRIM_400000_NS6detail17trampoline_kernelINS0_14default_configENS1_25partition_config_selectorILNS1_17partition_subalgoE0ExNS0_10empty_typeEbEEZZNS1_14partition_implILS5_0ELb0ES3_jN6thrust23THRUST_200600_302600_NS6detail15normal_iteratorINSA_10device_ptrIxEEEEPS6_SG_NS0_5tupleIJSF_SF_EEENSH_IJSG_SG_EEES6_PlJ7is_evenIxEEEE10hipError_tPvRmT3_T4_T5_T6_T7_T9_mT8_P12ihipStream_tbDpT10_ENKUlT_T0_E_clISt17integral_constantIbLb1EES15_IbLb0EEEEDaS11_S12_EUlS11_E_NS1_11comp_targetILNS1_3genE5ELNS1_11target_archE942ELNS1_3gpuE9ELNS1_3repE0EEENS1_30default_config_static_selectorELNS0_4arch9wavefront6targetE1EEEvT1_,comdat
	.protected	_ZN7rocprim17ROCPRIM_400000_NS6detail17trampoline_kernelINS0_14default_configENS1_25partition_config_selectorILNS1_17partition_subalgoE0ExNS0_10empty_typeEbEEZZNS1_14partition_implILS5_0ELb0ES3_jN6thrust23THRUST_200600_302600_NS6detail15normal_iteratorINSA_10device_ptrIxEEEEPS6_SG_NS0_5tupleIJSF_SF_EEENSH_IJSG_SG_EEES6_PlJ7is_evenIxEEEE10hipError_tPvRmT3_T4_T5_T6_T7_T9_mT8_P12ihipStream_tbDpT10_ENKUlT_T0_E_clISt17integral_constantIbLb1EES15_IbLb0EEEEDaS11_S12_EUlS11_E_NS1_11comp_targetILNS1_3genE5ELNS1_11target_archE942ELNS1_3gpuE9ELNS1_3repE0EEENS1_30default_config_static_selectorELNS0_4arch9wavefront6targetE1EEEvT1_ ; -- Begin function _ZN7rocprim17ROCPRIM_400000_NS6detail17trampoline_kernelINS0_14default_configENS1_25partition_config_selectorILNS1_17partition_subalgoE0ExNS0_10empty_typeEbEEZZNS1_14partition_implILS5_0ELb0ES3_jN6thrust23THRUST_200600_302600_NS6detail15normal_iteratorINSA_10device_ptrIxEEEEPS6_SG_NS0_5tupleIJSF_SF_EEENSH_IJSG_SG_EEES6_PlJ7is_evenIxEEEE10hipError_tPvRmT3_T4_T5_T6_T7_T9_mT8_P12ihipStream_tbDpT10_ENKUlT_T0_E_clISt17integral_constantIbLb1EES15_IbLb0EEEEDaS11_S12_EUlS11_E_NS1_11comp_targetILNS1_3genE5ELNS1_11target_archE942ELNS1_3gpuE9ELNS1_3repE0EEENS1_30default_config_static_selectorELNS0_4arch9wavefront6targetE1EEEvT1_
	.globl	_ZN7rocprim17ROCPRIM_400000_NS6detail17trampoline_kernelINS0_14default_configENS1_25partition_config_selectorILNS1_17partition_subalgoE0ExNS0_10empty_typeEbEEZZNS1_14partition_implILS5_0ELb0ES3_jN6thrust23THRUST_200600_302600_NS6detail15normal_iteratorINSA_10device_ptrIxEEEEPS6_SG_NS0_5tupleIJSF_SF_EEENSH_IJSG_SG_EEES6_PlJ7is_evenIxEEEE10hipError_tPvRmT3_T4_T5_T6_T7_T9_mT8_P12ihipStream_tbDpT10_ENKUlT_T0_E_clISt17integral_constantIbLb1EES15_IbLb0EEEEDaS11_S12_EUlS11_E_NS1_11comp_targetILNS1_3genE5ELNS1_11target_archE942ELNS1_3gpuE9ELNS1_3repE0EEENS1_30default_config_static_selectorELNS0_4arch9wavefront6targetE1EEEvT1_
	.p2align	8
	.type	_ZN7rocprim17ROCPRIM_400000_NS6detail17trampoline_kernelINS0_14default_configENS1_25partition_config_selectorILNS1_17partition_subalgoE0ExNS0_10empty_typeEbEEZZNS1_14partition_implILS5_0ELb0ES3_jN6thrust23THRUST_200600_302600_NS6detail15normal_iteratorINSA_10device_ptrIxEEEEPS6_SG_NS0_5tupleIJSF_SF_EEENSH_IJSG_SG_EEES6_PlJ7is_evenIxEEEE10hipError_tPvRmT3_T4_T5_T6_T7_T9_mT8_P12ihipStream_tbDpT10_ENKUlT_T0_E_clISt17integral_constantIbLb1EES15_IbLb0EEEEDaS11_S12_EUlS11_E_NS1_11comp_targetILNS1_3genE5ELNS1_11target_archE942ELNS1_3gpuE9ELNS1_3repE0EEENS1_30default_config_static_selectorELNS0_4arch9wavefront6targetE1EEEvT1_,@function
_ZN7rocprim17ROCPRIM_400000_NS6detail17trampoline_kernelINS0_14default_configENS1_25partition_config_selectorILNS1_17partition_subalgoE0ExNS0_10empty_typeEbEEZZNS1_14partition_implILS5_0ELb0ES3_jN6thrust23THRUST_200600_302600_NS6detail15normal_iteratorINSA_10device_ptrIxEEEEPS6_SG_NS0_5tupleIJSF_SF_EEENSH_IJSG_SG_EEES6_PlJ7is_evenIxEEEE10hipError_tPvRmT3_T4_T5_T6_T7_T9_mT8_P12ihipStream_tbDpT10_ENKUlT_T0_E_clISt17integral_constantIbLb1EES15_IbLb0EEEEDaS11_S12_EUlS11_E_NS1_11comp_targetILNS1_3genE5ELNS1_11target_archE942ELNS1_3gpuE9ELNS1_3repE0EEENS1_30default_config_static_selectorELNS0_4arch9wavefront6targetE1EEEvT1_: ; @_ZN7rocprim17ROCPRIM_400000_NS6detail17trampoline_kernelINS0_14default_configENS1_25partition_config_selectorILNS1_17partition_subalgoE0ExNS0_10empty_typeEbEEZZNS1_14partition_implILS5_0ELb0ES3_jN6thrust23THRUST_200600_302600_NS6detail15normal_iteratorINSA_10device_ptrIxEEEEPS6_SG_NS0_5tupleIJSF_SF_EEENSH_IJSG_SG_EEES6_PlJ7is_evenIxEEEE10hipError_tPvRmT3_T4_T5_T6_T7_T9_mT8_P12ihipStream_tbDpT10_ENKUlT_T0_E_clISt17integral_constantIbLb1EES15_IbLb0EEEEDaS11_S12_EUlS11_E_NS1_11comp_targetILNS1_3genE5ELNS1_11target_archE942ELNS1_3gpuE9ELNS1_3repE0EEENS1_30default_config_static_selectorELNS0_4arch9wavefront6targetE1EEEvT1_
; %bb.0:
	s_load_dwordx2 s[4:5], s[0:1], 0x58
	s_load_dwordx4 s[20:23], s[0:1], 0x8
	s_load_dwordx4 s[24:27], s[0:1], 0x48
	s_load_dword s3, s[0:1], 0x70
	s_mul_i32 s8, s2, 0xe00
	s_waitcnt lgkmcnt(0)
	v_mov_b32_e32 v3, s5
	s_lshl_b64 s[6:7], s[22:23], 3
	s_add_u32 s10, s20, s6
	s_addc_u32 s11, s21, s7
	s_add_i32 s6, s3, -1
	s_mulk_i32 s3, 0xe00
	s_add_i32 s5, s3, s22
	s_sub_i32 s33, s4, s5
	s_addk_i32 s33, 0xe00
	v_mov_b32_e32 v2, s4
	s_add_u32 s4, s22, s3
	s_addc_u32 s5, s23, 0
	s_cmp_eq_u32 s2, s6
	s_load_dwordx2 s[28:29], s[26:27], 0x0
	s_cselect_b64 s[26:27], -1, 0
	s_cmp_lg_u32 s2, s6
	s_mov_b32 s9, 0
	v_cmp_lt_u64_e32 vcc, s[4:5], v[2:3]
	s_cselect_b64 s[4:5], -1, 0
	s_or_b64 s[6:7], s[4:5], vcc
	s_lshl_b64 s[30:31], s[8:9], 3
	s_add_u32 s8, s10, s30
	s_addc_u32 s9, s11, s31
	s_mov_b64 s[4:5], -1
	s_and_b64 vcc, exec, s[6:7]
	v_lshlrev_b32_e32 v18, 3, v0
	s_cbranch_vccz .LBB306_2
; %bb.1:
	v_mov_b32_e32 v19, 0
	v_lshl_add_u64 v[2:3], s[8:9], 0, v[18:19]
	v_add_co_u32_e32 v4, vcc, 0x1000, v2
	s_mov_b64 s[4:5], 0
	s_nop 0
	v_addc_co_u32_e32 v5, vcc, 0, v3, vcc
	v_add_co_u32_e32 v6, vcc, 0x2000, v2
	s_nop 1
	v_addc_co_u32_e32 v7, vcc, 0, v3, vcc
	v_add_co_u32_e32 v8, vcc, 0x3000, v2
	s_nop 1
	v_addc_co_u32_e32 v9, vcc, 0, v3, vcc
	flat_load_dwordx2 v[10:11], v[2:3]
	flat_load_dwordx2 v[12:13], v[4:5]
	;; [unrolled: 1-line block ×4, first 2 shown]
	v_add_co_u32_e32 v4, vcc, 0x4000, v2
	s_nop 1
	v_addc_co_u32_e32 v5, vcc, 0, v3, vcc
	v_add_co_u32_e32 v6, vcc, 0x5000, v2
	s_nop 1
	v_addc_co_u32_e32 v7, vcc, 0, v3, vcc
	;; [unrolled: 3-line block ×3, first 2 shown]
	flat_load_dwordx2 v[8:9], v[4:5]
	flat_load_dwordx2 v[20:21], v[6:7]
	;; [unrolled: 1-line block ×3, first 2 shown]
	s_waitcnt vmcnt(0) lgkmcnt(0)
	ds_write2st64_b64 v18, v[10:11], v[12:13] offset1:8
	ds_write2st64_b64 v18, v[14:15], v[16:17] offset0:16 offset1:24
	ds_write2st64_b64 v18, v[8:9], v[20:21] offset0:32 offset1:40
	ds_write_b64 v18, v[22:23] offset:24576
	s_waitcnt lgkmcnt(0)
	s_barrier
.LBB306_2:
	s_andn2_b64 vcc, exec, s[4:5]
	v_cmp_gt_u32_e64 s[4:5], s33, v0
	s_cbranch_vccnz .LBB306_18
; %bb.3:
                                        ; implicit-def: $vgpr2_vgpr3_vgpr4_vgpr5_vgpr6_vgpr7_vgpr8_vgpr9_vgpr10_vgpr11_vgpr12_vgpr13_vgpr14_vgpr15_vgpr16_vgpr17
	s_and_saveexec_b64 s[10:11], s[4:5]
	s_cbranch_execz .LBB306_5
; %bb.4:
	v_mov_b32_e32 v19, 0
	v_lshl_add_u64 v[2:3], s[8:9], 0, v[18:19]
	flat_load_dwordx2 v[2:3], v[2:3]
.LBB306_5:
	s_or_b64 exec, exec, s[10:11]
	v_or_b32_e32 v1, 0x200, v0
	v_cmp_gt_u32_e32 vcc, s33, v1
	s_and_saveexec_b64 s[4:5], vcc
	s_cbranch_execz .LBB306_7
; %bb.6:
	v_lshlrev_b32_e32 v4, 3, v1
	v_mov_b32_e32 v5, 0
	v_lshl_add_u64 v[4:5], s[8:9], 0, v[4:5]
	flat_load_dwordx2 v[4:5], v[4:5]
.LBB306_7:
	s_or_b64 exec, exec, s[4:5]
	v_or_b32_e32 v1, 0x400, v0
	v_cmp_gt_u32_e32 vcc, s33, v1
	s_and_saveexec_b64 s[4:5], vcc
	s_cbranch_execz .LBB306_9
; %bb.8:
	v_lshlrev_b32_e32 v6, 3, v1
	v_mov_b32_e32 v7, 0
	v_lshl_add_u64 v[6:7], s[8:9], 0, v[6:7]
	flat_load_dwordx2 v[6:7], v[6:7]
.LBB306_9:
	;; [unrolled: 11-line block ×6, first 2 shown]
	s_or_b64 exec, exec, s[4:5]
	s_waitcnt vmcnt(0) lgkmcnt(0)
	ds_write2st64_b64 v18, v[2:3], v[4:5] offset1:8
	ds_write2st64_b64 v18, v[6:7], v[8:9] offset0:16 offset1:24
	ds_write2st64_b64 v18, v[10:11], v[12:13] offset0:32 offset1:40
	ds_write_b64 v18, v[14:15] offset:24576
	s_waitcnt lgkmcnt(0)
	s_barrier
.LBB306_18:
	v_mul_u32_u24_e32 v1, 7, v0
	v_lshlrev_b32_e32 v32, 3, v1
	s_waitcnt lgkmcnt(0)
	ds_read2_b64 v[10:13], v32 offset1:1
	ds_read2_b64 v[6:9], v32 offset0:2 offset1:3
	ds_read2_b64 v[2:5], v32 offset0:4 offset1:5
	ds_read_b64 v[14:15], v32 offset:48
	v_cndmask_b32_e64 v16, 0, 1, s[6:7]
	v_cmp_ne_u32_e64 s[20:21], 1, v16
	s_andn2_b64 vcc, exec, s[6:7]
	s_waitcnt lgkmcnt(3)
	v_xor_b32_e32 v24, -1, v10
	v_xor_b32_e32 v23, -1, v12
	s_waitcnt lgkmcnt(2)
	v_xor_b32_e32 v22, -1, v6
	v_xor_b32_e32 v21, -1, v8
	;; [unrolled: 3-line block ×3, first 2 shown]
	s_waitcnt lgkmcnt(0)
	v_xor_b32_e32 v16, -1, v14
	s_barrier
	s_cbranch_vccnz .LBB306_20
; %bb.19:
	v_mov_b32_e32 v19, 1
	v_and_b32_e32 v25, 1, v24
	v_and_b32_sdwa v26, v23, v19 dst_sel:BYTE_1 dst_unused:UNUSED_PAD src0_sel:DWORD src1_sel:DWORD
	v_and_b32_e32 v27, 1, v22
	v_and_b32_sdwa v30, v21, v19 dst_sel:BYTE_1 dst_unused:UNUSED_PAD src0_sel:DWORD src1_sel:DWORD
	v_or_b32_e32 v25, v25, v26
	v_or_b32_sdwa v26, v27, v30 dst_sel:WORD_1 dst_unused:UNUSED_PAD src0_sel:DWORD src1_sel:DWORD
	v_and_b32_e32 v29, 1, v20
	v_and_b32_e32 v28, 1, v17
	;; [unrolled: 1-line block ×3, first 2 shown]
	v_or_b32_sdwa v30, v25, v26 dst_sel:DWORD dst_unused:UNUSED_PAD src0_sel:WORD_0 src1_sel:DWORD
	s_load_dwordx2 s[34:35], s[0:1], 0x68
	s_cbranch_execz .LBB306_21
	s_branch .LBB306_22
.LBB306_20:
                                        ; implicit-def: $vgpr19
                                        ; implicit-def: $vgpr28
                                        ; implicit-def: $vgpr29
                                        ; implicit-def: $vgpr30
	s_load_dwordx2 s[34:35], s[0:1], 0x68
.LBB306_21:
	v_add_u32_e32 v19, 1, v1
	v_cmp_gt_u32_e32 vcc, s33, v1
	v_add_u32_e32 v25, 2, v1
	v_add_u32_e32 v26, 3, v1
	v_cndmask_b32_e64 v29, 0, 1, vcc
	v_cmp_gt_u32_e32 vcc, s33, v19
	v_add_u32_e32 v27, 4, v1
	v_add_u32_e32 v28, 5, v1
	v_cndmask_b32_e64 v19, 0, 1, vcc
	v_cmp_gt_u32_e32 vcc, s33, v25
	v_and_b32_sdwa v23, v19, v23 dst_sel:BYTE_1 dst_unused:UNUSED_PAD src0_sel:DWORD src1_sel:DWORD
	v_add_u32_e32 v30, 6, v1
	v_cndmask_b32_e64 v19, 0, 1, vcc
	v_cmp_gt_u32_e32 vcc, s33, v26
	v_and_b32_e32 v22, v19, v22
	v_and_b32_e32 v24, v29, v24
	v_cndmask_b32_e64 v19, 0, 1, vcc
	v_cmp_gt_u32_e32 vcc, s33, v27
	v_and_b32_sdwa v21, v19, v21 dst_sel:BYTE_1 dst_unused:UNUSED_PAD src0_sel:DWORD src1_sel:DWORD
	s_nop 0
	v_cndmask_b32_e64 v19, 0, 1, vcc
	v_cmp_gt_u32_e32 vcc, s33, v28
	v_and_b32_e32 v29, v19, v20
	s_nop 0
	v_cndmask_b32_e64 v19, 0, 1, vcc
	v_cmp_gt_u32_e32 vcc, s33, v30
	v_and_b32_e32 v28, v19, v17
	s_nop 0
	v_cndmask_b32_e64 v17, 0, 1, vcc
	v_and_b32_e32 v19, v17, v16
	v_or_b32_e32 v16, v24, v23
	v_or_b32_sdwa v17, v22, v21 dst_sel:WORD_1 dst_unused:UNUSED_PAD src0_sel:DWORD src1_sel:DWORD
	s_nop 0
	v_or_b32_sdwa v30, v16, v17 dst_sel:DWORD dst_unused:UNUSED_PAD src0_sel:WORD_0 src1_sel:DWORD
.LBB306_22:
	v_and_b32_e32 v33, 0xff, v30
	v_bfe_u32 v34, v30, 8, 8
	v_bfe_u32 v35, v30, 16, 8
	v_lshrrev_b32_e32 v31, 24, v30
	v_and_b32_e32 v36, 0xff, v29
	v_add3_u32 v17, v34, v33, v35
	v_and_b32_e32 v37, 0xff, v28
	v_and_b32_e32 v16, 0xff, v19
	v_add3_u32 v17, v17, v31, v36
	v_add3_u32 v40, v17, v37, v16
	v_mbcnt_lo_u32_b32 v16, -1, 0
	v_mbcnt_hi_u32_b32 v38, -1, v16
	v_and_b32_e32 v16, 15, v38
	v_cmp_eq_u32_e64 s[16:17], 0, v16
	v_cmp_lt_u32_e64 s[14:15], 1, v16
	v_cmp_lt_u32_e64 s[12:13], 3, v16
	;; [unrolled: 1-line block ×3, first 2 shown]
	v_and_b32_e32 v16, 16, v38
	v_cmp_eq_u32_e64 s[8:9], 0, v16
	v_or_b32_e32 v16, 63, v0
	s_cmp_lg_u32 s2, 0
	v_cmp_lt_u32_e64 s[4:5], 31, v38
	v_lshrrev_b32_e32 v39, 6, v0
	v_cmp_eq_u32_e64 s[6:7], v16, v0
	s_cbranch_scc0 .LBB306_53
; %bb.23:
	v_mov_b32_dpp v16, v40 row_shr:1 row_mask:0xf bank_mask:0xf
	v_cndmask_b32_e64 v16, v16, 0, s[16:17]
	v_add_u32_e32 v16, v16, v40
	s_nop 1
	v_mov_b32_dpp v17, v16 row_shr:2 row_mask:0xf bank_mask:0xf
	v_cndmask_b32_e64 v17, 0, v17, s[14:15]
	v_add_u32_e32 v16, v16, v17
	s_nop 1
	;; [unrolled: 4-line block ×4, first 2 shown]
	v_mov_b32_dpp v17, v16 row_bcast:15 row_mask:0xf bank_mask:0xf
	v_cndmask_b32_e64 v17, v17, 0, s[8:9]
	v_add_u32_e32 v16, v16, v17
	s_nop 1
	v_mov_b32_dpp v17, v16 row_bcast:31 row_mask:0xf bank_mask:0xf
	v_cndmask_b32_e64 v17, 0, v17, s[4:5]
	v_add_u32_e32 v16, v16, v17
	s_and_saveexec_b64 s[18:19], s[6:7]
	s_cbranch_execz .LBB306_25
; %bb.24:
	v_lshlrev_b32_e32 v17, 2, v39
	ds_write_b32 v17, v16
.LBB306_25:
	s_or_b64 exec, exec, s[18:19]
	v_cmp_gt_u32_e32 vcc, 8, v0
	s_waitcnt lgkmcnt(0)
	s_barrier
	s_and_saveexec_b64 s[18:19], vcc
	s_cbranch_execz .LBB306_27
; %bb.26:
	v_lshlrev_b32_e32 v17, 2, v0
	ds_read_b32 v20, v17
	v_and_b32_e32 v21, 7, v38
	v_cmp_ne_u32_e32 vcc, 0, v21
	s_waitcnt lgkmcnt(0)
	v_mov_b32_dpp v22, v20 row_shr:1 row_mask:0xf bank_mask:0xf
	v_cndmask_b32_e32 v22, 0, v22, vcc
	v_add_u32_e32 v20, v22, v20
	v_cmp_lt_u32_e32 vcc, 1, v21
	s_nop 0
	v_mov_b32_dpp v22, v20 row_shr:2 row_mask:0xf bank_mask:0xf
	v_cndmask_b32_e32 v22, 0, v22, vcc
	v_add_u32_e32 v20, v20, v22
	v_cmp_lt_u32_e32 vcc, 3, v21
	s_nop 0
	v_mov_b32_dpp v22, v20 row_shr:4 row_mask:0xf bank_mask:0xf
	v_cndmask_b32_e32 v21, 0, v22, vcc
	v_add_u32_e32 v20, v20, v21
	ds_write_b32 v17, v20
.LBB306_27:
	s_or_b64 exec, exec, s[18:19]
	v_cmp_gt_u32_e32 vcc, 64, v0
	v_cmp_lt_u32_e64 s[18:19], 63, v0
	s_waitcnt lgkmcnt(0)
	s_barrier
	s_waitcnt lgkmcnt(0)
                                        ; implicit-def: $vgpr41
	s_and_saveexec_b64 s[36:37], s[18:19]
	s_cbranch_execz .LBB306_29
; %bb.28:
	v_lshl_add_u32 v17, v39, 2, -4
	ds_read_b32 v41, v17
	s_waitcnt lgkmcnt(0)
	v_add_u32_e32 v16, v41, v16
.LBB306_29:
	s_or_b64 exec, exec, s[36:37]
	v_add_u32_e32 v17, -1, v38
	v_and_b32_e32 v20, 64, v38
	v_cmp_lt_i32_e64 s[18:19], v17, v20
	s_nop 1
	v_cndmask_b32_e64 v17, v17, v38, s[18:19]
	v_lshlrev_b32_e32 v17, 2, v17
	ds_bpermute_b32 v42, v17, v16
	v_cmp_eq_u32_e64 s[18:19], 0, v38
	s_and_saveexec_b64 s[36:37], vcc
	s_cbranch_execz .LBB306_52
; %bb.30:
	v_mov_b32_e32 v27, 0
	ds_read_b32 v16, v27 offset:28
	s_and_saveexec_b64 s[38:39], s[18:19]
	s_cbranch_execz .LBB306_32
; %bb.31:
	s_add_i32 s40, s2, 64
	s_mov_b32 s41, 0
	s_lshl_b64 s[40:41], s[40:41], 3
	s_add_u32 s40, s34, s40
	v_mov_b32_e32 v17, 1
	s_addc_u32 s41, s35, s41
	s_waitcnt lgkmcnt(0)
	global_store_dwordx2 v27, v[16:17], s[40:41] sc1
.LBB306_32:
	s_or_b64 exec, exec, s[38:39]
	v_xad_u32 v20, v38, -1, s2
	v_add_u32_e32 v26, 64, v20
	v_lshl_add_u64 v[22:23], v[26:27], 3, s[34:35]
	global_load_dwordx2 v[24:25], v[22:23], off sc1
	s_waitcnt vmcnt(0)
	v_cmp_eq_u16_sdwa s[40:41], v25, v27 src0_sel:BYTE_0 src1_sel:DWORD
	s_and_saveexec_b64 s[38:39], s[40:41]
	s_cbranch_execz .LBB306_38
; %bb.33:
	s_mov_b32 s3, 1
	s_mov_b64 s[40:41], 0
	v_mov_b32_e32 v17, 0
.LBB306_34:                             ; =>This Loop Header: Depth=1
                                        ;     Child Loop BB306_35 Depth 2
	s_max_u32 s42, s3, 1
.LBB306_35:                             ;   Parent Loop BB306_34 Depth=1
                                        ; =>  This Inner Loop Header: Depth=2
	s_add_i32 s42, s42, -1
	s_cmp_eq_u32 s42, 0
	s_sleep 1
	s_cbranch_scc0 .LBB306_35
; %bb.36:                               ;   in Loop: Header=BB306_34 Depth=1
	global_load_dwordx2 v[24:25], v[22:23], off sc1
	s_cmp_lt_u32 s3, 32
	s_cselect_b64 s[42:43], -1, 0
	s_cmp_lg_u64 s[42:43], 0
	s_addc_u32 s3, s3, 0
	s_waitcnt vmcnt(0)
	v_cmp_ne_u16_sdwa s[42:43], v25, v17 src0_sel:BYTE_0 src1_sel:DWORD
	s_or_b64 s[40:41], s[42:43], s[40:41]
	s_andn2_b64 exec, exec, s[40:41]
	s_cbranch_execnz .LBB306_34
; %bb.37:
	s_or_b64 exec, exec, s[40:41]
.LBB306_38:
	s_or_b64 exec, exec, s[38:39]
	v_and_b32_e32 v44, 63, v38
	v_mov_b32_e32 v43, 2
	v_cmp_ne_u32_e32 vcc, 63, v44
	v_cmp_eq_u16_sdwa s[38:39], v25, v43 src0_sel:BYTE_0 src1_sel:DWORD
	v_lshlrev_b64 v[22:23], v38, -1
	v_addc_co_u32_e32 v26, vcc, 0, v38, vcc
	v_and_b32_e32 v17, s39, v23
	v_lshlrev_b32_e32 v45, 2, v26
	v_or_b32_e32 v17, 0x80000000, v17
	ds_bpermute_b32 v26, v45, v24
	v_and_b32_e32 v21, s38, v22
	v_ffbl_b32_e32 v17, v17
	v_add_u32_e32 v17, 32, v17
	v_ffbl_b32_e32 v21, v21
	v_min_u32_e32 v17, v21, v17
	v_cmp_lt_u32_e32 vcc, v44, v17
	v_add_u32_e32 v47, 2, v44
	v_add_u32_e32 v49, 4, v44
	s_waitcnt lgkmcnt(0)
	v_cndmask_b32_e32 v21, 0, v26, vcc
	v_cmp_gt_u32_e32 vcc, 62, v44
	v_add_u32_e32 v21, v21, v24
	v_add_u32_e32 v51, 8, v44
	v_cndmask_b32_e64 v24, 0, 1, vcc
	v_lshlrev_b32_e32 v24, 1, v24
	v_add_lshl_u32 v46, v24, v38, 2
	ds_bpermute_b32 v24, v46, v21
	v_cmp_le_u32_e32 vcc, v47, v17
	v_add_u32_e32 v53, 16, v44
	v_add_u32_e32 v55, 32, v44
	s_waitcnt lgkmcnt(0)
	v_cndmask_b32_e32 v24, 0, v24, vcc
	v_cmp_gt_u32_e32 vcc, 60, v44
	v_add_u32_e32 v21, v21, v24
	s_nop 0
	v_cndmask_b32_e64 v24, 0, 1, vcc
	v_lshlrev_b32_e32 v24, 2, v24
	v_add_lshl_u32 v48, v24, v38, 2
	ds_bpermute_b32 v24, v48, v21
	v_cmp_le_u32_e32 vcc, v49, v17
	s_waitcnt lgkmcnt(0)
	s_nop 0
	v_cndmask_b32_e32 v24, 0, v24, vcc
	v_cmp_gt_u32_e32 vcc, 56, v44
	v_add_u32_e32 v21, v21, v24
	s_nop 0
	v_cndmask_b32_e64 v24, 0, 1, vcc
	v_lshlrev_b32_e32 v24, 3, v24
	v_add_lshl_u32 v50, v24, v38, 2
	ds_bpermute_b32 v24, v50, v21
	v_cmp_le_u32_e32 vcc, v51, v17
	s_waitcnt lgkmcnt(0)
	s_nop 0
	;; [unrolled: 11-line block ×4, first 2 shown]
	v_cndmask_b32_e32 v17, 0, v24, vcc
	v_add_u32_e32 v24, v21, v17
	v_mov_b32_e32 v21, 0
	s_branch .LBB306_40
.LBB306_39:                             ;   in Loop: Header=BB306_40 Depth=1
	s_or_b64 exec, exec, s[38:39]
	v_cmp_eq_u16_sdwa s[38:39], v25, v43 src0_sel:BYTE_0 src1_sel:DWORD
	ds_bpermute_b32 v56, v45, v24
	v_subrev_u32_e32 v20, 64, v20
	v_and_b32_e32 v26, s39, v23
	v_or_b32_e32 v26, 0x80000000, v26
	v_and_b32_e32 v27, s38, v22
	v_ffbl_b32_e32 v26, v26
	v_add_u32_e32 v26, 32, v26
	v_ffbl_b32_e32 v27, v27
	v_min_u32_e32 v26, v27, v26
	v_cmp_lt_u32_e32 vcc, v44, v26
	s_waitcnt lgkmcnt(0)
	s_nop 0
	v_cndmask_b32_e32 v27, 0, v56, vcc
	v_add_u32_e32 v24, v27, v24
	ds_bpermute_b32 v27, v46, v24
	v_cmp_le_u32_e32 vcc, v47, v26
	s_waitcnt lgkmcnt(0)
	s_nop 0
	v_cndmask_b32_e32 v27, 0, v27, vcc
	v_add_u32_e32 v24, v24, v27
	ds_bpermute_b32 v27, v48, v24
	v_cmp_le_u32_e32 vcc, v49, v26
	;; [unrolled: 6-line block ×5, first 2 shown]
	s_waitcnt lgkmcnt(0)
	s_nop 0
	v_cndmask_b32_e32 v26, 0, v27, vcc
	v_add3_u32 v24, v26, v17, v24
.LBB306_40:                             ; =>This Loop Header: Depth=1
                                        ;     Child Loop BB306_43 Depth 2
                                        ;       Child Loop BB306_44 Depth 3
	v_cmp_ne_u16_sdwa s[38:39], v25, v43 src0_sel:BYTE_0 src1_sel:DWORD
	s_nop 1
	v_cndmask_b32_e64 v17, 0, 1, s[38:39]
	;;#ASMSTART
	;;#ASMEND
	s_nop 0
	v_cmp_ne_u32_e32 vcc, 0, v17
	s_cmp_lg_u64 vcc, exec
	v_mov_b32_e32 v17, v24
	s_cbranch_scc1 .LBB306_47
; %bb.41:                               ;   in Loop: Header=BB306_40 Depth=1
	v_lshl_add_u64 v[26:27], v[20:21], 3, s[34:35]
	global_load_dwordx2 v[24:25], v[26:27], off sc1
	s_waitcnt vmcnt(0)
	v_cmp_eq_u16_sdwa s[40:41], v25, v21 src0_sel:BYTE_0 src1_sel:DWORD
	s_and_saveexec_b64 s[38:39], s[40:41]
	s_cbranch_execz .LBB306_39
; %bb.42:                               ;   in Loop: Header=BB306_40 Depth=1
	s_mov_b32 s3, 1
	s_mov_b64 s[40:41], 0
.LBB306_43:                             ;   Parent Loop BB306_40 Depth=1
                                        ; =>  This Loop Header: Depth=2
                                        ;       Child Loop BB306_44 Depth 3
	s_max_u32 s42, s3, 1
.LBB306_44:                             ;   Parent Loop BB306_40 Depth=1
                                        ;     Parent Loop BB306_43 Depth=2
                                        ; =>    This Inner Loop Header: Depth=3
	s_add_i32 s42, s42, -1
	s_cmp_eq_u32 s42, 0
	s_sleep 1
	s_cbranch_scc0 .LBB306_44
; %bb.45:                               ;   in Loop: Header=BB306_43 Depth=2
	global_load_dwordx2 v[24:25], v[26:27], off sc1
	s_cmp_lt_u32 s3, 32
	s_cselect_b64 s[42:43], -1, 0
	s_cmp_lg_u64 s[42:43], 0
	s_addc_u32 s3, s3, 0
	s_waitcnt vmcnt(0)
	v_cmp_ne_u16_sdwa s[42:43], v25, v21 src0_sel:BYTE_0 src1_sel:DWORD
	s_or_b64 s[40:41], s[42:43], s[40:41]
	s_andn2_b64 exec, exec, s[40:41]
	s_cbranch_execnz .LBB306_43
; %bb.46:                               ;   in Loop: Header=BB306_40 Depth=1
	s_or_b64 exec, exec, s[40:41]
	s_branch .LBB306_39
.LBB306_47:                             ;   in Loop: Header=BB306_40 Depth=1
                                        ; implicit-def: $vgpr24
                                        ; implicit-def: $vgpr25
	s_cbranch_execz .LBB306_40
; %bb.48:
	s_and_saveexec_b64 s[38:39], s[18:19]
	s_cbranch_execz .LBB306_50
; %bb.49:
	s_add_i32 s2, s2, 64
	s_mov_b32 s3, 0
	s_lshl_b64 s[2:3], s[2:3], 3
	s_add_u32 s2, s34, s2
	v_add_u32_e32 v20, v17, v16
	v_mov_b32_e32 v21, 2
	s_addc_u32 s3, s35, s3
	v_mov_b32_e32 v22, 0
	global_store_dwordx2 v22, v[20:21], s[2:3] sc1
	ds_write_b64 v22, v[16:17] offset:28672
.LBB306_50:
	s_or_b64 exec, exec, s[38:39]
	v_cmp_eq_u32_e32 vcc, 0, v0
	s_and_b64 exec, exec, vcc
	s_cbranch_execz .LBB306_52
; %bb.51:
	v_mov_b32_e32 v16, 0
	ds_write_b32 v16, v17 offset:28
.LBB306_52:
	s_or_b64 exec, exec, s[36:37]
	v_mov_b32_e32 v16, 0
	s_waitcnt lgkmcnt(0)
	s_barrier
	ds_read_b32 v17, v16 offset:28
	v_cndmask_b32_e64 v20, v42, v41, s[18:19]
	v_cmp_ne_u32_e32 vcc, 0, v0
	s_waitcnt lgkmcnt(0)
	s_barrier
	v_cndmask_b32_e32 v20, 0, v20, vcc
	v_add_u32_e32 v27, v17, v20
	v_add_u32_e32 v26, v27, v33
	ds_read_b64 v[16:17], v16 offset:28672
	v_add_u32_e32 v25, v26, v34
	v_add_u32_e32 v24, v25, v35
	;; [unrolled: 1-line block ×5, first 2 shown]
	s_waitcnt lgkmcnt(0)
	v_mov_b32_e32 v20, v17
	s_branch .LBB306_63
.LBB306_53:
                                        ; implicit-def: $vgpr20
                                        ; implicit-def: $vgpr16
                                        ; implicit-def: $vgpr21
                                        ; implicit-def: $vgpr22
                                        ; implicit-def: $vgpr23
                                        ; implicit-def: $vgpr24
                                        ; implicit-def: $vgpr25
                                        ; implicit-def: $vgpr26
                                        ; implicit-def: $vgpr27
	s_cbranch_execz .LBB306_63
; %bb.54:
	s_nop 0
	v_mov_b32_dpp v16, v40 row_shr:1 row_mask:0xf bank_mask:0xf
	v_cndmask_b32_e64 v16, v16, 0, s[16:17]
	v_add_u32_e32 v16, v16, v40
	s_nop 1
	v_mov_b32_dpp v17, v16 row_shr:2 row_mask:0xf bank_mask:0xf
	v_cndmask_b32_e64 v17, 0, v17, s[14:15]
	v_add_u32_e32 v16, v16, v17
	;; [unrolled: 4-line block ×4, first 2 shown]
	s_nop 1
	v_mov_b32_dpp v17, v16 row_bcast:15 row_mask:0xf bank_mask:0xf
	v_cndmask_b32_e64 v17, v17, 0, s[8:9]
	v_add_u32_e32 v16, v16, v17
	s_nop 1
	v_mov_b32_dpp v17, v16 row_bcast:31 row_mask:0xf bank_mask:0xf
	v_cndmask_b32_e64 v17, 0, v17, s[4:5]
	v_add_u32_e32 v16, v16, v17
	s_and_saveexec_b64 s[2:3], s[6:7]
	s_cbranch_execz .LBB306_56
; %bb.55:
	v_lshlrev_b32_e32 v17, 2, v39
	ds_write_b32 v17, v16
.LBB306_56:
	s_or_b64 exec, exec, s[2:3]
	v_cmp_gt_u32_e32 vcc, 8, v0
	s_waitcnt lgkmcnt(0)
	s_barrier
	s_and_saveexec_b64 s[2:3], vcc
	s_cbranch_execz .LBB306_58
; %bb.57:
	s_movk_i32 s4, 0xffcc
	v_mad_i32_i24 v17, v0, s4, v32
	ds_read_b32 v20, v17
	v_and_b32_e32 v21, 7, v38
	v_cmp_ne_u32_e32 vcc, 0, v21
	s_waitcnt lgkmcnt(0)
	v_mov_b32_dpp v22, v20 row_shr:1 row_mask:0xf bank_mask:0xf
	v_cndmask_b32_e32 v22, 0, v22, vcc
	v_add_u32_e32 v20, v22, v20
	v_cmp_lt_u32_e32 vcc, 1, v21
	s_nop 0
	v_mov_b32_dpp v22, v20 row_shr:2 row_mask:0xf bank_mask:0xf
	v_cndmask_b32_e32 v22, 0, v22, vcc
	v_add_u32_e32 v20, v20, v22
	v_cmp_lt_u32_e32 vcc, 3, v21
	s_nop 0
	v_mov_b32_dpp v22, v20 row_shr:4 row_mask:0xf bank_mask:0xf
	v_cndmask_b32_e32 v21, 0, v22, vcc
	v_add_u32_e32 v20, v20, v21
	ds_write_b32 v17, v20
.LBB306_58:
	s_or_b64 exec, exec, s[2:3]
	v_cmp_lt_u32_e32 vcc, 63, v0
	v_mov_b32_e32 v17, 0
	v_mov_b32_e32 v20, 0
	s_waitcnt lgkmcnt(0)
	s_barrier
	s_and_saveexec_b64 s[2:3], vcc
	s_cbranch_execz .LBB306_60
; %bb.59:
	v_lshl_add_u32 v20, v39, 2, -4
	ds_read_b32 v20, v20
.LBB306_60:
	s_or_b64 exec, exec, s[2:3]
	v_add_u32_e32 v21, -1, v38
	v_and_b32_e32 v22, 64, v38
	v_cmp_lt_i32_e32 vcc, v21, v22
	s_waitcnt lgkmcnt(0)
	v_add_u32_e32 v16, v20, v16
	v_cndmask_b32_e32 v21, v21, v38, vcc
	v_lshlrev_b32_e32 v21, 2, v21
	ds_bpermute_b32 v21, v21, v16
	ds_read_b32 v16, v17 offset:28
	v_cmp_eq_u32_e32 vcc, 0, v0
	s_and_saveexec_b64 s[2:3], vcc
	s_cbranch_execz .LBB306_62
; %bb.61:
	v_mov_b32_e32 v22, 0
	v_mov_b32_e32 v17, 2
	s_waitcnt lgkmcnt(0)
	global_store_dwordx2 v22, v[16:17], s[34:35] offset:512 sc1
.LBB306_62:
	s_or_b64 exec, exec, s[2:3]
	v_cmp_eq_u32_e64 s[2:3], 0, v38
	s_waitcnt lgkmcnt(0)
	s_barrier
	v_cndmask_b32_e64 v17, v21, v20, s[2:3]
	v_cndmask_b32_e64 v27, v17, 0, vcc
	v_add_u32_e32 v26, v27, v33
	v_add_u32_e32 v25, v26, v34
	;; [unrolled: 1-line block ×5, first 2 shown]
	v_mov_b32_e32 v20, 0
	v_add_u32_e32 v21, v22, v37
.LBB306_63:
	v_add_u32_e32 v1, v16, v1
	v_sub_u32_e32 v27, v27, v20
	v_and_b32_e32 v33, 1, v30
	v_sub_u32_e32 v32, v1, v27
	v_cmp_eq_u32_e32 vcc, 1, v33
	v_lshrrev_b32_e32 v17, 8, v30
	v_and_b32_e32 v17, 1, v17
	v_cndmask_b32_e32 v27, v32, v27, vcc
	v_lshlrev_b32_e32 v27, 3, v27
	ds_write_b64 v27, v[10:11]
	v_sub_u32_e32 v10, v26, v20
	v_sub_u32_e32 v11, v1, v10
	v_add_u32_e32 v11, 1, v11
	v_cmp_eq_u32_e32 vcc, 1, v17
	s_load_dwordx4 s[0:3], s[0:1], 0x28
	v_or_b32_e32 v32, 0x200, v0
	v_cndmask_b32_e32 v10, v11, v10, vcc
	v_lshlrev_b32_e32 v10, 3, v10
	ds_write_b64 v10, v[12:13]
	v_sub_u32_e32 v10, v25, v20
	v_mov_b32_e32 v12, 1
	v_sub_u32_e32 v11, v1, v10
	v_and_b32_sdwa v12, v12, v30 dst_sel:DWORD dst_unused:UNUSED_PAD src0_sel:DWORD src1_sel:WORD_1
	v_add_u32_e32 v11, 2, v11
	v_cmp_eq_u32_e32 vcc, 1, v12
	v_or_b32_e32 v30, 0x600, v0
	s_nop 0
	v_cndmask_b32_e32 v10, v11, v10, vcc
	v_lshlrev_b32_e32 v10, 3, v10
	ds_write_b64 v10, v[6:7]
	v_sub_u32_e32 v6, v24, v20
	v_sub_u32_e32 v7, v1, v6
	v_and_b32_e32 v10, 1, v31
	v_add_u32_e32 v7, 3, v7
	v_cmp_eq_u32_e32 vcc, 1, v10
	v_or_b32_e32 v31, 0x400, v0
	s_nop 0
	v_cndmask_b32_e32 v6, v7, v6, vcc
	v_lshlrev_b32_e32 v6, 3, v6
	ds_write_b64 v6, v[8:9]
	v_sub_u32_e32 v6, v23, v20
	v_sub_u32_e32 v7, v1, v6
	v_and_b32_e32 v8, 1, v29
	;; [unrolled: 10-line block ×4, first 2 shown]
	v_add_u32_e32 v1, 6, v1
	v_cmp_eq_u32_e32 vcc, 1, v3
	v_mov_b32_e32 v21, 0
	v_lshl_add_u64 v[26:27], s[28:29], 0, v[20:21]
	v_cndmask_b32_e32 v1, v1, v2, vcc
	v_lshlrev_b32_e32 v1, 3, v1
	v_mov_b32_e32 v17, v21
	ds_write_b64 v1, v[14:15]
	v_lshl_add_u64 v[14:15], v[26:27], 0, v[16:17]
	s_waitcnt lgkmcnt(0)
	s_barrier
	ds_read2st64_b64 v[10:13], v18 offset1:8
	ds_read2st64_b64 v[6:9], v18 offset0:16 offset1:24
	ds_read2st64_b64 v[2:5], v18 offset0:32 offset1:40
	ds_read_b64 v[22:23], v18 offset:24576
	v_mov_b32_e32 v17, s23
	v_sub_co_u32_e32 v24, vcc, s22, v14
	v_lshlrev_b64 v[26:27], 3, v[26:27]
	s_nop 0
	v_subb_co_u32_e32 v25, vcc, v17, v15, vcc
	v_lshlrev_b64 v[24:25], 3, v[24:25]
	v_lshl_add_u64 v[24:25], s[2:3], 0, v[24:25]
	v_or_b32_e32 v1, 0xc00, v0
	v_lshl_add_u64 v[24:25], v[24:25], 0, s[30:31]
	s_and_b64 vcc, exec, s[20:21]
	v_lshl_add_u64 v[26:27], s[0:1], 0, v[26:27]
	s_cbranch_vccnz .LBB306_65
; %bb.64:
	v_cmp_lt_u32_e32 vcc, v0, v16
	v_mov_b32_e32 v19, v21
	v_lshlrev_b32_e32 v20, 3, v32
	v_cndmask_b32_e32 v35, v25, v27, vcc
	v_cndmask_b32_e32 v34, v24, v26, vcc
	v_lshl_add_u64 v[34:35], v[34:35], 0, v[18:19]
	v_cmp_lt_u32_e32 vcc, v32, v16
	s_waitcnt lgkmcnt(3)
	global_store_dwordx2 v[34:35], v[10:11], off
	v_cndmask_b32_e32 v35, v25, v27, vcc
	v_cndmask_b32_e32 v34, v24, v26, vcc
	v_lshl_add_u64 v[34:35], v[34:35], 0, v[20:21]
	v_cmp_lt_u32_e32 vcc, v31, v16
	global_store_dwordx2 v[34:35], v[12:13], off
	v_lshlrev_b32_e32 v20, 3, v31
	v_cndmask_b32_e32 v35, v25, v27, vcc
	v_cndmask_b32_e32 v34, v24, v26, vcc
	v_lshl_add_u64 v[34:35], v[34:35], 0, v[20:21]
	v_cmp_lt_u32_e32 vcc, v30, v16
	s_waitcnt lgkmcnt(2)
	global_store_dwordx2 v[34:35], v[6:7], off
	v_lshlrev_b32_e32 v20, 3, v30
	v_cndmask_b32_e32 v35, v25, v27, vcc
	v_cndmask_b32_e32 v34, v24, v26, vcc
	v_lshl_add_u64 v[34:35], v[34:35], 0, v[20:21]
	v_cmp_lt_u32_e32 vcc, v29, v16
	global_store_dwordx2 v[34:35], v[8:9], off
	v_lshlrev_b32_e32 v20, 3, v29
	v_cndmask_b32_e32 v35, v25, v27, vcc
	v_cndmask_b32_e32 v34, v24, v26, vcc
	v_lshl_add_u64 v[34:35], v[34:35], 0, v[20:21]
	v_cmp_lt_u32_e32 vcc, v28, v16
	s_waitcnt lgkmcnt(1)
	global_store_dwordx2 v[34:35], v[2:3], off
	v_lshlrev_b32_e32 v20, 3, v28
	v_cndmask_b32_e32 v35, v25, v27, vcc
	v_cndmask_b32_e32 v34, v24, v26, vcc
	v_lshl_add_u64 v[20:21], v[34:35], 0, v[20:21]
	s_mov_b64 s[0:1], -1
	global_store_dwordx2 v[20:21], v[4:5], off
	s_cbranch_execz .LBB306_66
	s_branch .LBB306_74
.LBB306_65:
	s_mov_b64 s[0:1], 0
.LBB306_66:
	v_cmp_gt_u32_e32 vcc, s33, v0
	s_and_saveexec_b64 s[0:1], vcc
	s_cbranch_execnz .LBB306_79
; %bb.67:
	s_or_b64 exec, exec, s[0:1]
	v_cmp_gt_u32_e32 vcc, s33, v32
	s_and_saveexec_b64 s[0:1], vcc
	s_cbranch_execnz .LBB306_80
.LBB306_68:
	s_or_b64 exec, exec, s[0:1]
	v_cmp_gt_u32_e32 vcc, s33, v31
	s_and_saveexec_b64 s[0:1], vcc
	s_cbranch_execnz .LBB306_81
.LBB306_69:
	s_or_b64 exec, exec, s[0:1]
	v_cmp_gt_u32_e32 vcc, s33, v30
	s_and_saveexec_b64 s[0:1], vcc
	s_cbranch_execnz .LBB306_82
.LBB306_70:
	s_or_b64 exec, exec, s[0:1]
	v_cmp_gt_u32_e32 vcc, s33, v29
	s_and_saveexec_b64 s[0:1], vcc
	s_cbranch_execnz .LBB306_83
.LBB306_71:
	s_or_b64 exec, exec, s[0:1]
	v_cmp_gt_u32_e32 vcc, s33, v28
	s_and_saveexec_b64 s[0:1], vcc
	s_cbranch_execz .LBB306_73
.LBB306_72:
	v_cmp_lt_u32_e32 vcc, v28, v16
	s_waitcnt lgkmcnt(2)
	v_lshlrev_b32_e32 v6, 3, v28
	v_mov_b32_e32 v7, 0
	s_waitcnt lgkmcnt(1)
	v_cndmask_b32_e32 v3, v25, v27, vcc
	v_cndmask_b32_e32 v2, v24, v26, vcc
	v_lshl_add_u64 v[2:3], v[2:3], 0, v[6:7]
	global_store_dwordx2 v[2:3], v[4:5], off
.LBB306_73:
	s_or_b64 exec, exec, s[0:1]
	v_cmp_gt_u32_e64 s[0:1], s33, v1
.LBB306_74:
	s_and_saveexec_b64 s[2:3], s[0:1]
	s_cbranch_execz .LBB306_76
; %bb.75:
	v_cmp_lt_u32_e32 vcc, v1, v16
	s_waitcnt lgkmcnt(1)
	v_lshlrev_b32_e32 v4, 3, v1
	v_mov_b32_e32 v5, 0
	v_cndmask_b32_e32 v3, v25, v27, vcc
	v_cndmask_b32_e32 v2, v24, v26, vcc
	v_lshl_add_u64 v[2:3], v[2:3], 0, v[4:5]
	s_waitcnt lgkmcnt(0)
	global_store_dwordx2 v[2:3], v[22:23], off
.LBB306_76:
	s_or_b64 exec, exec, s[2:3]
	v_cmp_eq_u32_e32 vcc, 0, v0
	s_and_b64 s[0:1], vcc, s[26:27]
	s_and_saveexec_b64 s[2:3], s[0:1]
	s_cbranch_execz .LBB306_78
; %bb.77:
	v_mov_b32_e32 v0, 0
	global_store_dwordx2 v0, v[14:15], s[24:25]
.LBB306_78:
	s_endpgm
.LBB306_79:
	v_cmp_lt_u32_e32 vcc, v0, v16
	v_mov_b32_e32 v19, 0
	s_nop 0
	v_cndmask_b32_e32 v21, v25, v27, vcc
	v_cndmask_b32_e32 v20, v24, v26, vcc
	v_lshl_add_u64 v[18:19], v[20:21], 0, v[18:19]
	s_waitcnt lgkmcnt(3)
	global_store_dwordx2 v[18:19], v[10:11], off
	s_or_b64 exec, exec, s[0:1]
	v_cmp_gt_u32_e32 vcc, s33, v32
	s_and_saveexec_b64 s[0:1], vcc
	s_cbranch_execz .LBB306_68
.LBB306_80:
	v_cmp_lt_u32_e32 vcc, v32, v16
	v_lshlrev_b32_e32 v18, 3, v32
	v_mov_b32_e32 v19, 0
	s_waitcnt lgkmcnt(3)
	v_cndmask_b32_e32 v11, v25, v27, vcc
	v_cndmask_b32_e32 v10, v24, v26, vcc
	v_lshl_add_u64 v[10:11], v[10:11], 0, v[18:19]
	global_store_dwordx2 v[10:11], v[12:13], off
	s_or_b64 exec, exec, s[0:1]
	v_cmp_gt_u32_e32 vcc, s33, v31
	s_and_saveexec_b64 s[0:1], vcc
	s_cbranch_execz .LBB306_69
.LBB306_81:
	v_cmp_lt_u32_e32 vcc, v31, v16
	s_waitcnt lgkmcnt(3)
	v_lshlrev_b32_e32 v12, 3, v31
	v_mov_b32_e32 v13, 0
	v_cndmask_b32_e32 v11, v25, v27, vcc
	v_cndmask_b32_e32 v10, v24, v26, vcc
	v_lshl_add_u64 v[10:11], v[10:11], 0, v[12:13]
	s_waitcnt lgkmcnt(2)
	global_store_dwordx2 v[10:11], v[6:7], off
	s_or_b64 exec, exec, s[0:1]
	v_cmp_gt_u32_e32 vcc, s33, v30
	s_and_saveexec_b64 s[0:1], vcc
	s_cbranch_execz .LBB306_70
.LBB306_82:
	v_cmp_lt_u32_e32 vcc, v30, v16
	s_waitcnt lgkmcnt(3)
	v_lshlrev_b32_e32 v10, 3, v30
	v_mov_b32_e32 v11, 0
	s_waitcnt lgkmcnt(2)
	v_cndmask_b32_e32 v7, v25, v27, vcc
	v_cndmask_b32_e32 v6, v24, v26, vcc
	v_lshl_add_u64 v[6:7], v[6:7], 0, v[10:11]
	global_store_dwordx2 v[6:7], v[8:9], off
	s_or_b64 exec, exec, s[0:1]
	v_cmp_gt_u32_e32 vcc, s33, v29
	s_and_saveexec_b64 s[0:1], vcc
	s_cbranch_execz .LBB306_71
.LBB306_83:
	v_cmp_lt_u32_e32 vcc, v29, v16
	s_waitcnt lgkmcnt(2)
	v_lshlrev_b32_e32 v8, 3, v29
	v_mov_b32_e32 v9, 0
	v_cndmask_b32_e32 v7, v25, v27, vcc
	v_cndmask_b32_e32 v6, v24, v26, vcc
	v_lshl_add_u64 v[6:7], v[6:7], 0, v[8:9]
	s_waitcnt lgkmcnt(1)
	global_store_dwordx2 v[6:7], v[2:3], off
	s_or_b64 exec, exec, s[0:1]
	v_cmp_gt_u32_e32 vcc, s33, v28
	s_and_saveexec_b64 s[0:1], vcc
	s_cbranch_execnz .LBB306_72
	s_branch .LBB306_73
	.section	.rodata,"a",@progbits
	.p2align	6, 0x0
	.amdhsa_kernel _ZN7rocprim17ROCPRIM_400000_NS6detail17trampoline_kernelINS0_14default_configENS1_25partition_config_selectorILNS1_17partition_subalgoE0ExNS0_10empty_typeEbEEZZNS1_14partition_implILS5_0ELb0ES3_jN6thrust23THRUST_200600_302600_NS6detail15normal_iteratorINSA_10device_ptrIxEEEEPS6_SG_NS0_5tupleIJSF_SF_EEENSH_IJSG_SG_EEES6_PlJ7is_evenIxEEEE10hipError_tPvRmT3_T4_T5_T6_T7_T9_mT8_P12ihipStream_tbDpT10_ENKUlT_T0_E_clISt17integral_constantIbLb1EES15_IbLb0EEEEDaS11_S12_EUlS11_E_NS1_11comp_targetILNS1_3genE5ELNS1_11target_archE942ELNS1_3gpuE9ELNS1_3repE0EEENS1_30default_config_static_selectorELNS0_4arch9wavefront6targetE1EEEvT1_
		.amdhsa_group_segment_fixed_size 28680
		.amdhsa_private_segment_fixed_size 0
		.amdhsa_kernarg_size 120
		.amdhsa_user_sgpr_count 2
		.amdhsa_user_sgpr_dispatch_ptr 0
		.amdhsa_user_sgpr_queue_ptr 0
		.amdhsa_user_sgpr_kernarg_segment_ptr 1
		.amdhsa_user_sgpr_dispatch_id 0
		.amdhsa_user_sgpr_kernarg_preload_length 0
		.amdhsa_user_sgpr_kernarg_preload_offset 0
		.amdhsa_user_sgpr_private_segment_size 0
		.amdhsa_uses_dynamic_stack 0
		.amdhsa_enable_private_segment 0
		.amdhsa_system_sgpr_workgroup_id_x 1
		.amdhsa_system_sgpr_workgroup_id_y 0
		.amdhsa_system_sgpr_workgroup_id_z 0
		.amdhsa_system_sgpr_workgroup_info 0
		.amdhsa_system_vgpr_workitem_id 0
		.amdhsa_next_free_vgpr 57
		.amdhsa_next_free_sgpr 44
		.amdhsa_accum_offset 60
		.amdhsa_reserve_vcc 1
		.amdhsa_float_round_mode_32 0
		.amdhsa_float_round_mode_16_64 0
		.amdhsa_float_denorm_mode_32 3
		.amdhsa_float_denorm_mode_16_64 3
		.amdhsa_dx10_clamp 1
		.amdhsa_ieee_mode 1
		.amdhsa_fp16_overflow 0
		.amdhsa_tg_split 0
		.amdhsa_exception_fp_ieee_invalid_op 0
		.amdhsa_exception_fp_denorm_src 0
		.amdhsa_exception_fp_ieee_div_zero 0
		.amdhsa_exception_fp_ieee_overflow 0
		.amdhsa_exception_fp_ieee_underflow 0
		.amdhsa_exception_fp_ieee_inexact 0
		.amdhsa_exception_int_div_zero 0
	.end_amdhsa_kernel
	.section	.text._ZN7rocprim17ROCPRIM_400000_NS6detail17trampoline_kernelINS0_14default_configENS1_25partition_config_selectorILNS1_17partition_subalgoE0ExNS0_10empty_typeEbEEZZNS1_14partition_implILS5_0ELb0ES3_jN6thrust23THRUST_200600_302600_NS6detail15normal_iteratorINSA_10device_ptrIxEEEEPS6_SG_NS0_5tupleIJSF_SF_EEENSH_IJSG_SG_EEES6_PlJ7is_evenIxEEEE10hipError_tPvRmT3_T4_T5_T6_T7_T9_mT8_P12ihipStream_tbDpT10_ENKUlT_T0_E_clISt17integral_constantIbLb1EES15_IbLb0EEEEDaS11_S12_EUlS11_E_NS1_11comp_targetILNS1_3genE5ELNS1_11target_archE942ELNS1_3gpuE9ELNS1_3repE0EEENS1_30default_config_static_selectorELNS0_4arch9wavefront6targetE1EEEvT1_,"axG",@progbits,_ZN7rocprim17ROCPRIM_400000_NS6detail17trampoline_kernelINS0_14default_configENS1_25partition_config_selectorILNS1_17partition_subalgoE0ExNS0_10empty_typeEbEEZZNS1_14partition_implILS5_0ELb0ES3_jN6thrust23THRUST_200600_302600_NS6detail15normal_iteratorINSA_10device_ptrIxEEEEPS6_SG_NS0_5tupleIJSF_SF_EEENSH_IJSG_SG_EEES6_PlJ7is_evenIxEEEE10hipError_tPvRmT3_T4_T5_T6_T7_T9_mT8_P12ihipStream_tbDpT10_ENKUlT_T0_E_clISt17integral_constantIbLb1EES15_IbLb0EEEEDaS11_S12_EUlS11_E_NS1_11comp_targetILNS1_3genE5ELNS1_11target_archE942ELNS1_3gpuE9ELNS1_3repE0EEENS1_30default_config_static_selectorELNS0_4arch9wavefront6targetE1EEEvT1_,comdat
.Lfunc_end306:
	.size	_ZN7rocprim17ROCPRIM_400000_NS6detail17trampoline_kernelINS0_14default_configENS1_25partition_config_selectorILNS1_17partition_subalgoE0ExNS0_10empty_typeEbEEZZNS1_14partition_implILS5_0ELb0ES3_jN6thrust23THRUST_200600_302600_NS6detail15normal_iteratorINSA_10device_ptrIxEEEEPS6_SG_NS0_5tupleIJSF_SF_EEENSH_IJSG_SG_EEES6_PlJ7is_evenIxEEEE10hipError_tPvRmT3_T4_T5_T6_T7_T9_mT8_P12ihipStream_tbDpT10_ENKUlT_T0_E_clISt17integral_constantIbLb1EES15_IbLb0EEEEDaS11_S12_EUlS11_E_NS1_11comp_targetILNS1_3genE5ELNS1_11target_archE942ELNS1_3gpuE9ELNS1_3repE0EEENS1_30default_config_static_selectorELNS0_4arch9wavefront6targetE1EEEvT1_, .Lfunc_end306-_ZN7rocprim17ROCPRIM_400000_NS6detail17trampoline_kernelINS0_14default_configENS1_25partition_config_selectorILNS1_17partition_subalgoE0ExNS0_10empty_typeEbEEZZNS1_14partition_implILS5_0ELb0ES3_jN6thrust23THRUST_200600_302600_NS6detail15normal_iteratorINSA_10device_ptrIxEEEEPS6_SG_NS0_5tupleIJSF_SF_EEENSH_IJSG_SG_EEES6_PlJ7is_evenIxEEEE10hipError_tPvRmT3_T4_T5_T6_T7_T9_mT8_P12ihipStream_tbDpT10_ENKUlT_T0_E_clISt17integral_constantIbLb1EES15_IbLb0EEEEDaS11_S12_EUlS11_E_NS1_11comp_targetILNS1_3genE5ELNS1_11target_archE942ELNS1_3gpuE9ELNS1_3repE0EEENS1_30default_config_static_selectorELNS0_4arch9wavefront6targetE1EEEvT1_
                                        ; -- End function
	.section	.AMDGPU.csdata,"",@progbits
; Kernel info:
; codeLenInByte = 4556
; NumSgprs: 50
; NumVgprs: 57
; NumAgprs: 0
; TotalNumVgprs: 57
; ScratchSize: 0
; MemoryBound: 0
; FloatMode: 240
; IeeeMode: 1
; LDSByteSize: 28680 bytes/workgroup (compile time only)
; SGPRBlocks: 6
; VGPRBlocks: 7
; NumSGPRsForWavesPerEU: 50
; NumVGPRsForWavesPerEU: 57
; AccumOffset: 60
; Occupancy: 4
; WaveLimiterHint : 1
; COMPUTE_PGM_RSRC2:SCRATCH_EN: 0
; COMPUTE_PGM_RSRC2:USER_SGPR: 2
; COMPUTE_PGM_RSRC2:TRAP_HANDLER: 0
; COMPUTE_PGM_RSRC2:TGID_X_EN: 1
; COMPUTE_PGM_RSRC2:TGID_Y_EN: 0
; COMPUTE_PGM_RSRC2:TGID_Z_EN: 0
; COMPUTE_PGM_RSRC2:TIDIG_COMP_CNT: 0
; COMPUTE_PGM_RSRC3_GFX90A:ACCUM_OFFSET: 14
; COMPUTE_PGM_RSRC3_GFX90A:TG_SPLIT: 0
	.section	.text._ZN7rocprim17ROCPRIM_400000_NS6detail17trampoline_kernelINS0_14default_configENS1_25partition_config_selectorILNS1_17partition_subalgoE0ExNS0_10empty_typeEbEEZZNS1_14partition_implILS5_0ELb0ES3_jN6thrust23THRUST_200600_302600_NS6detail15normal_iteratorINSA_10device_ptrIxEEEEPS6_SG_NS0_5tupleIJSF_SF_EEENSH_IJSG_SG_EEES6_PlJ7is_evenIxEEEE10hipError_tPvRmT3_T4_T5_T6_T7_T9_mT8_P12ihipStream_tbDpT10_ENKUlT_T0_E_clISt17integral_constantIbLb1EES15_IbLb0EEEEDaS11_S12_EUlS11_E_NS1_11comp_targetILNS1_3genE4ELNS1_11target_archE910ELNS1_3gpuE8ELNS1_3repE0EEENS1_30default_config_static_selectorELNS0_4arch9wavefront6targetE1EEEvT1_,"axG",@progbits,_ZN7rocprim17ROCPRIM_400000_NS6detail17trampoline_kernelINS0_14default_configENS1_25partition_config_selectorILNS1_17partition_subalgoE0ExNS0_10empty_typeEbEEZZNS1_14partition_implILS5_0ELb0ES3_jN6thrust23THRUST_200600_302600_NS6detail15normal_iteratorINSA_10device_ptrIxEEEEPS6_SG_NS0_5tupleIJSF_SF_EEENSH_IJSG_SG_EEES6_PlJ7is_evenIxEEEE10hipError_tPvRmT3_T4_T5_T6_T7_T9_mT8_P12ihipStream_tbDpT10_ENKUlT_T0_E_clISt17integral_constantIbLb1EES15_IbLb0EEEEDaS11_S12_EUlS11_E_NS1_11comp_targetILNS1_3genE4ELNS1_11target_archE910ELNS1_3gpuE8ELNS1_3repE0EEENS1_30default_config_static_selectorELNS0_4arch9wavefront6targetE1EEEvT1_,comdat
	.protected	_ZN7rocprim17ROCPRIM_400000_NS6detail17trampoline_kernelINS0_14default_configENS1_25partition_config_selectorILNS1_17partition_subalgoE0ExNS0_10empty_typeEbEEZZNS1_14partition_implILS5_0ELb0ES3_jN6thrust23THRUST_200600_302600_NS6detail15normal_iteratorINSA_10device_ptrIxEEEEPS6_SG_NS0_5tupleIJSF_SF_EEENSH_IJSG_SG_EEES6_PlJ7is_evenIxEEEE10hipError_tPvRmT3_T4_T5_T6_T7_T9_mT8_P12ihipStream_tbDpT10_ENKUlT_T0_E_clISt17integral_constantIbLb1EES15_IbLb0EEEEDaS11_S12_EUlS11_E_NS1_11comp_targetILNS1_3genE4ELNS1_11target_archE910ELNS1_3gpuE8ELNS1_3repE0EEENS1_30default_config_static_selectorELNS0_4arch9wavefront6targetE1EEEvT1_ ; -- Begin function _ZN7rocprim17ROCPRIM_400000_NS6detail17trampoline_kernelINS0_14default_configENS1_25partition_config_selectorILNS1_17partition_subalgoE0ExNS0_10empty_typeEbEEZZNS1_14partition_implILS5_0ELb0ES3_jN6thrust23THRUST_200600_302600_NS6detail15normal_iteratorINSA_10device_ptrIxEEEEPS6_SG_NS0_5tupleIJSF_SF_EEENSH_IJSG_SG_EEES6_PlJ7is_evenIxEEEE10hipError_tPvRmT3_T4_T5_T6_T7_T9_mT8_P12ihipStream_tbDpT10_ENKUlT_T0_E_clISt17integral_constantIbLb1EES15_IbLb0EEEEDaS11_S12_EUlS11_E_NS1_11comp_targetILNS1_3genE4ELNS1_11target_archE910ELNS1_3gpuE8ELNS1_3repE0EEENS1_30default_config_static_selectorELNS0_4arch9wavefront6targetE1EEEvT1_
	.globl	_ZN7rocprim17ROCPRIM_400000_NS6detail17trampoline_kernelINS0_14default_configENS1_25partition_config_selectorILNS1_17partition_subalgoE0ExNS0_10empty_typeEbEEZZNS1_14partition_implILS5_0ELb0ES3_jN6thrust23THRUST_200600_302600_NS6detail15normal_iteratorINSA_10device_ptrIxEEEEPS6_SG_NS0_5tupleIJSF_SF_EEENSH_IJSG_SG_EEES6_PlJ7is_evenIxEEEE10hipError_tPvRmT3_T4_T5_T6_T7_T9_mT8_P12ihipStream_tbDpT10_ENKUlT_T0_E_clISt17integral_constantIbLb1EES15_IbLb0EEEEDaS11_S12_EUlS11_E_NS1_11comp_targetILNS1_3genE4ELNS1_11target_archE910ELNS1_3gpuE8ELNS1_3repE0EEENS1_30default_config_static_selectorELNS0_4arch9wavefront6targetE1EEEvT1_
	.p2align	8
	.type	_ZN7rocprim17ROCPRIM_400000_NS6detail17trampoline_kernelINS0_14default_configENS1_25partition_config_selectorILNS1_17partition_subalgoE0ExNS0_10empty_typeEbEEZZNS1_14partition_implILS5_0ELb0ES3_jN6thrust23THRUST_200600_302600_NS6detail15normal_iteratorINSA_10device_ptrIxEEEEPS6_SG_NS0_5tupleIJSF_SF_EEENSH_IJSG_SG_EEES6_PlJ7is_evenIxEEEE10hipError_tPvRmT3_T4_T5_T6_T7_T9_mT8_P12ihipStream_tbDpT10_ENKUlT_T0_E_clISt17integral_constantIbLb1EES15_IbLb0EEEEDaS11_S12_EUlS11_E_NS1_11comp_targetILNS1_3genE4ELNS1_11target_archE910ELNS1_3gpuE8ELNS1_3repE0EEENS1_30default_config_static_selectorELNS0_4arch9wavefront6targetE1EEEvT1_,@function
_ZN7rocprim17ROCPRIM_400000_NS6detail17trampoline_kernelINS0_14default_configENS1_25partition_config_selectorILNS1_17partition_subalgoE0ExNS0_10empty_typeEbEEZZNS1_14partition_implILS5_0ELb0ES3_jN6thrust23THRUST_200600_302600_NS6detail15normal_iteratorINSA_10device_ptrIxEEEEPS6_SG_NS0_5tupleIJSF_SF_EEENSH_IJSG_SG_EEES6_PlJ7is_evenIxEEEE10hipError_tPvRmT3_T4_T5_T6_T7_T9_mT8_P12ihipStream_tbDpT10_ENKUlT_T0_E_clISt17integral_constantIbLb1EES15_IbLb0EEEEDaS11_S12_EUlS11_E_NS1_11comp_targetILNS1_3genE4ELNS1_11target_archE910ELNS1_3gpuE8ELNS1_3repE0EEENS1_30default_config_static_selectorELNS0_4arch9wavefront6targetE1EEEvT1_: ; @_ZN7rocprim17ROCPRIM_400000_NS6detail17trampoline_kernelINS0_14default_configENS1_25partition_config_selectorILNS1_17partition_subalgoE0ExNS0_10empty_typeEbEEZZNS1_14partition_implILS5_0ELb0ES3_jN6thrust23THRUST_200600_302600_NS6detail15normal_iteratorINSA_10device_ptrIxEEEEPS6_SG_NS0_5tupleIJSF_SF_EEENSH_IJSG_SG_EEES6_PlJ7is_evenIxEEEE10hipError_tPvRmT3_T4_T5_T6_T7_T9_mT8_P12ihipStream_tbDpT10_ENKUlT_T0_E_clISt17integral_constantIbLb1EES15_IbLb0EEEEDaS11_S12_EUlS11_E_NS1_11comp_targetILNS1_3genE4ELNS1_11target_archE910ELNS1_3gpuE8ELNS1_3repE0EEENS1_30default_config_static_selectorELNS0_4arch9wavefront6targetE1EEEvT1_
; %bb.0:
	.section	.rodata,"a",@progbits
	.p2align	6, 0x0
	.amdhsa_kernel _ZN7rocprim17ROCPRIM_400000_NS6detail17trampoline_kernelINS0_14default_configENS1_25partition_config_selectorILNS1_17partition_subalgoE0ExNS0_10empty_typeEbEEZZNS1_14partition_implILS5_0ELb0ES3_jN6thrust23THRUST_200600_302600_NS6detail15normal_iteratorINSA_10device_ptrIxEEEEPS6_SG_NS0_5tupleIJSF_SF_EEENSH_IJSG_SG_EEES6_PlJ7is_evenIxEEEE10hipError_tPvRmT3_T4_T5_T6_T7_T9_mT8_P12ihipStream_tbDpT10_ENKUlT_T0_E_clISt17integral_constantIbLb1EES15_IbLb0EEEEDaS11_S12_EUlS11_E_NS1_11comp_targetILNS1_3genE4ELNS1_11target_archE910ELNS1_3gpuE8ELNS1_3repE0EEENS1_30default_config_static_selectorELNS0_4arch9wavefront6targetE1EEEvT1_
		.amdhsa_group_segment_fixed_size 0
		.amdhsa_private_segment_fixed_size 0
		.amdhsa_kernarg_size 120
		.amdhsa_user_sgpr_count 2
		.amdhsa_user_sgpr_dispatch_ptr 0
		.amdhsa_user_sgpr_queue_ptr 0
		.amdhsa_user_sgpr_kernarg_segment_ptr 1
		.amdhsa_user_sgpr_dispatch_id 0
		.amdhsa_user_sgpr_kernarg_preload_length 0
		.amdhsa_user_sgpr_kernarg_preload_offset 0
		.amdhsa_user_sgpr_private_segment_size 0
		.amdhsa_uses_dynamic_stack 0
		.amdhsa_enable_private_segment 0
		.amdhsa_system_sgpr_workgroup_id_x 1
		.amdhsa_system_sgpr_workgroup_id_y 0
		.amdhsa_system_sgpr_workgroup_id_z 0
		.amdhsa_system_sgpr_workgroup_info 0
		.amdhsa_system_vgpr_workitem_id 0
		.amdhsa_next_free_vgpr 1
		.amdhsa_next_free_sgpr 0
		.amdhsa_accum_offset 4
		.amdhsa_reserve_vcc 0
		.amdhsa_float_round_mode_32 0
		.amdhsa_float_round_mode_16_64 0
		.amdhsa_float_denorm_mode_32 3
		.amdhsa_float_denorm_mode_16_64 3
		.amdhsa_dx10_clamp 1
		.amdhsa_ieee_mode 1
		.amdhsa_fp16_overflow 0
		.amdhsa_tg_split 0
		.amdhsa_exception_fp_ieee_invalid_op 0
		.amdhsa_exception_fp_denorm_src 0
		.amdhsa_exception_fp_ieee_div_zero 0
		.amdhsa_exception_fp_ieee_overflow 0
		.amdhsa_exception_fp_ieee_underflow 0
		.amdhsa_exception_fp_ieee_inexact 0
		.amdhsa_exception_int_div_zero 0
	.end_amdhsa_kernel
	.section	.text._ZN7rocprim17ROCPRIM_400000_NS6detail17trampoline_kernelINS0_14default_configENS1_25partition_config_selectorILNS1_17partition_subalgoE0ExNS0_10empty_typeEbEEZZNS1_14partition_implILS5_0ELb0ES3_jN6thrust23THRUST_200600_302600_NS6detail15normal_iteratorINSA_10device_ptrIxEEEEPS6_SG_NS0_5tupleIJSF_SF_EEENSH_IJSG_SG_EEES6_PlJ7is_evenIxEEEE10hipError_tPvRmT3_T4_T5_T6_T7_T9_mT8_P12ihipStream_tbDpT10_ENKUlT_T0_E_clISt17integral_constantIbLb1EES15_IbLb0EEEEDaS11_S12_EUlS11_E_NS1_11comp_targetILNS1_3genE4ELNS1_11target_archE910ELNS1_3gpuE8ELNS1_3repE0EEENS1_30default_config_static_selectorELNS0_4arch9wavefront6targetE1EEEvT1_,"axG",@progbits,_ZN7rocprim17ROCPRIM_400000_NS6detail17trampoline_kernelINS0_14default_configENS1_25partition_config_selectorILNS1_17partition_subalgoE0ExNS0_10empty_typeEbEEZZNS1_14partition_implILS5_0ELb0ES3_jN6thrust23THRUST_200600_302600_NS6detail15normal_iteratorINSA_10device_ptrIxEEEEPS6_SG_NS0_5tupleIJSF_SF_EEENSH_IJSG_SG_EEES6_PlJ7is_evenIxEEEE10hipError_tPvRmT3_T4_T5_T6_T7_T9_mT8_P12ihipStream_tbDpT10_ENKUlT_T0_E_clISt17integral_constantIbLb1EES15_IbLb0EEEEDaS11_S12_EUlS11_E_NS1_11comp_targetILNS1_3genE4ELNS1_11target_archE910ELNS1_3gpuE8ELNS1_3repE0EEENS1_30default_config_static_selectorELNS0_4arch9wavefront6targetE1EEEvT1_,comdat
.Lfunc_end307:
	.size	_ZN7rocprim17ROCPRIM_400000_NS6detail17trampoline_kernelINS0_14default_configENS1_25partition_config_selectorILNS1_17partition_subalgoE0ExNS0_10empty_typeEbEEZZNS1_14partition_implILS5_0ELb0ES3_jN6thrust23THRUST_200600_302600_NS6detail15normal_iteratorINSA_10device_ptrIxEEEEPS6_SG_NS0_5tupleIJSF_SF_EEENSH_IJSG_SG_EEES6_PlJ7is_evenIxEEEE10hipError_tPvRmT3_T4_T5_T6_T7_T9_mT8_P12ihipStream_tbDpT10_ENKUlT_T0_E_clISt17integral_constantIbLb1EES15_IbLb0EEEEDaS11_S12_EUlS11_E_NS1_11comp_targetILNS1_3genE4ELNS1_11target_archE910ELNS1_3gpuE8ELNS1_3repE0EEENS1_30default_config_static_selectorELNS0_4arch9wavefront6targetE1EEEvT1_, .Lfunc_end307-_ZN7rocprim17ROCPRIM_400000_NS6detail17trampoline_kernelINS0_14default_configENS1_25partition_config_selectorILNS1_17partition_subalgoE0ExNS0_10empty_typeEbEEZZNS1_14partition_implILS5_0ELb0ES3_jN6thrust23THRUST_200600_302600_NS6detail15normal_iteratorINSA_10device_ptrIxEEEEPS6_SG_NS0_5tupleIJSF_SF_EEENSH_IJSG_SG_EEES6_PlJ7is_evenIxEEEE10hipError_tPvRmT3_T4_T5_T6_T7_T9_mT8_P12ihipStream_tbDpT10_ENKUlT_T0_E_clISt17integral_constantIbLb1EES15_IbLb0EEEEDaS11_S12_EUlS11_E_NS1_11comp_targetILNS1_3genE4ELNS1_11target_archE910ELNS1_3gpuE8ELNS1_3repE0EEENS1_30default_config_static_selectorELNS0_4arch9wavefront6targetE1EEEvT1_
                                        ; -- End function
	.section	.AMDGPU.csdata,"",@progbits
; Kernel info:
; codeLenInByte = 0
; NumSgprs: 6
; NumVgprs: 0
; NumAgprs: 0
; TotalNumVgprs: 0
; ScratchSize: 0
; MemoryBound: 0
; FloatMode: 240
; IeeeMode: 1
; LDSByteSize: 0 bytes/workgroup (compile time only)
; SGPRBlocks: 0
; VGPRBlocks: 0
; NumSGPRsForWavesPerEU: 6
; NumVGPRsForWavesPerEU: 1
; AccumOffset: 4
; Occupancy: 8
; WaveLimiterHint : 0
; COMPUTE_PGM_RSRC2:SCRATCH_EN: 0
; COMPUTE_PGM_RSRC2:USER_SGPR: 2
; COMPUTE_PGM_RSRC2:TRAP_HANDLER: 0
; COMPUTE_PGM_RSRC2:TGID_X_EN: 1
; COMPUTE_PGM_RSRC2:TGID_Y_EN: 0
; COMPUTE_PGM_RSRC2:TGID_Z_EN: 0
; COMPUTE_PGM_RSRC2:TIDIG_COMP_CNT: 0
; COMPUTE_PGM_RSRC3_GFX90A:ACCUM_OFFSET: 0
; COMPUTE_PGM_RSRC3_GFX90A:TG_SPLIT: 0
	.section	.text._ZN7rocprim17ROCPRIM_400000_NS6detail17trampoline_kernelINS0_14default_configENS1_25partition_config_selectorILNS1_17partition_subalgoE0ExNS0_10empty_typeEbEEZZNS1_14partition_implILS5_0ELb0ES3_jN6thrust23THRUST_200600_302600_NS6detail15normal_iteratorINSA_10device_ptrIxEEEEPS6_SG_NS0_5tupleIJSF_SF_EEENSH_IJSG_SG_EEES6_PlJ7is_evenIxEEEE10hipError_tPvRmT3_T4_T5_T6_T7_T9_mT8_P12ihipStream_tbDpT10_ENKUlT_T0_E_clISt17integral_constantIbLb1EES15_IbLb0EEEEDaS11_S12_EUlS11_E_NS1_11comp_targetILNS1_3genE3ELNS1_11target_archE908ELNS1_3gpuE7ELNS1_3repE0EEENS1_30default_config_static_selectorELNS0_4arch9wavefront6targetE1EEEvT1_,"axG",@progbits,_ZN7rocprim17ROCPRIM_400000_NS6detail17trampoline_kernelINS0_14default_configENS1_25partition_config_selectorILNS1_17partition_subalgoE0ExNS0_10empty_typeEbEEZZNS1_14partition_implILS5_0ELb0ES3_jN6thrust23THRUST_200600_302600_NS6detail15normal_iteratorINSA_10device_ptrIxEEEEPS6_SG_NS0_5tupleIJSF_SF_EEENSH_IJSG_SG_EEES6_PlJ7is_evenIxEEEE10hipError_tPvRmT3_T4_T5_T6_T7_T9_mT8_P12ihipStream_tbDpT10_ENKUlT_T0_E_clISt17integral_constantIbLb1EES15_IbLb0EEEEDaS11_S12_EUlS11_E_NS1_11comp_targetILNS1_3genE3ELNS1_11target_archE908ELNS1_3gpuE7ELNS1_3repE0EEENS1_30default_config_static_selectorELNS0_4arch9wavefront6targetE1EEEvT1_,comdat
	.protected	_ZN7rocprim17ROCPRIM_400000_NS6detail17trampoline_kernelINS0_14default_configENS1_25partition_config_selectorILNS1_17partition_subalgoE0ExNS0_10empty_typeEbEEZZNS1_14partition_implILS5_0ELb0ES3_jN6thrust23THRUST_200600_302600_NS6detail15normal_iteratorINSA_10device_ptrIxEEEEPS6_SG_NS0_5tupleIJSF_SF_EEENSH_IJSG_SG_EEES6_PlJ7is_evenIxEEEE10hipError_tPvRmT3_T4_T5_T6_T7_T9_mT8_P12ihipStream_tbDpT10_ENKUlT_T0_E_clISt17integral_constantIbLb1EES15_IbLb0EEEEDaS11_S12_EUlS11_E_NS1_11comp_targetILNS1_3genE3ELNS1_11target_archE908ELNS1_3gpuE7ELNS1_3repE0EEENS1_30default_config_static_selectorELNS0_4arch9wavefront6targetE1EEEvT1_ ; -- Begin function _ZN7rocprim17ROCPRIM_400000_NS6detail17trampoline_kernelINS0_14default_configENS1_25partition_config_selectorILNS1_17partition_subalgoE0ExNS0_10empty_typeEbEEZZNS1_14partition_implILS5_0ELb0ES3_jN6thrust23THRUST_200600_302600_NS6detail15normal_iteratorINSA_10device_ptrIxEEEEPS6_SG_NS0_5tupleIJSF_SF_EEENSH_IJSG_SG_EEES6_PlJ7is_evenIxEEEE10hipError_tPvRmT3_T4_T5_T6_T7_T9_mT8_P12ihipStream_tbDpT10_ENKUlT_T0_E_clISt17integral_constantIbLb1EES15_IbLb0EEEEDaS11_S12_EUlS11_E_NS1_11comp_targetILNS1_3genE3ELNS1_11target_archE908ELNS1_3gpuE7ELNS1_3repE0EEENS1_30default_config_static_selectorELNS0_4arch9wavefront6targetE1EEEvT1_
	.globl	_ZN7rocprim17ROCPRIM_400000_NS6detail17trampoline_kernelINS0_14default_configENS1_25partition_config_selectorILNS1_17partition_subalgoE0ExNS0_10empty_typeEbEEZZNS1_14partition_implILS5_0ELb0ES3_jN6thrust23THRUST_200600_302600_NS6detail15normal_iteratorINSA_10device_ptrIxEEEEPS6_SG_NS0_5tupleIJSF_SF_EEENSH_IJSG_SG_EEES6_PlJ7is_evenIxEEEE10hipError_tPvRmT3_T4_T5_T6_T7_T9_mT8_P12ihipStream_tbDpT10_ENKUlT_T0_E_clISt17integral_constantIbLb1EES15_IbLb0EEEEDaS11_S12_EUlS11_E_NS1_11comp_targetILNS1_3genE3ELNS1_11target_archE908ELNS1_3gpuE7ELNS1_3repE0EEENS1_30default_config_static_selectorELNS0_4arch9wavefront6targetE1EEEvT1_
	.p2align	8
	.type	_ZN7rocprim17ROCPRIM_400000_NS6detail17trampoline_kernelINS0_14default_configENS1_25partition_config_selectorILNS1_17partition_subalgoE0ExNS0_10empty_typeEbEEZZNS1_14partition_implILS5_0ELb0ES3_jN6thrust23THRUST_200600_302600_NS6detail15normal_iteratorINSA_10device_ptrIxEEEEPS6_SG_NS0_5tupleIJSF_SF_EEENSH_IJSG_SG_EEES6_PlJ7is_evenIxEEEE10hipError_tPvRmT3_T4_T5_T6_T7_T9_mT8_P12ihipStream_tbDpT10_ENKUlT_T0_E_clISt17integral_constantIbLb1EES15_IbLb0EEEEDaS11_S12_EUlS11_E_NS1_11comp_targetILNS1_3genE3ELNS1_11target_archE908ELNS1_3gpuE7ELNS1_3repE0EEENS1_30default_config_static_selectorELNS0_4arch9wavefront6targetE1EEEvT1_,@function
_ZN7rocprim17ROCPRIM_400000_NS6detail17trampoline_kernelINS0_14default_configENS1_25partition_config_selectorILNS1_17partition_subalgoE0ExNS0_10empty_typeEbEEZZNS1_14partition_implILS5_0ELb0ES3_jN6thrust23THRUST_200600_302600_NS6detail15normal_iteratorINSA_10device_ptrIxEEEEPS6_SG_NS0_5tupleIJSF_SF_EEENSH_IJSG_SG_EEES6_PlJ7is_evenIxEEEE10hipError_tPvRmT3_T4_T5_T6_T7_T9_mT8_P12ihipStream_tbDpT10_ENKUlT_T0_E_clISt17integral_constantIbLb1EES15_IbLb0EEEEDaS11_S12_EUlS11_E_NS1_11comp_targetILNS1_3genE3ELNS1_11target_archE908ELNS1_3gpuE7ELNS1_3repE0EEENS1_30default_config_static_selectorELNS0_4arch9wavefront6targetE1EEEvT1_: ; @_ZN7rocprim17ROCPRIM_400000_NS6detail17trampoline_kernelINS0_14default_configENS1_25partition_config_selectorILNS1_17partition_subalgoE0ExNS0_10empty_typeEbEEZZNS1_14partition_implILS5_0ELb0ES3_jN6thrust23THRUST_200600_302600_NS6detail15normal_iteratorINSA_10device_ptrIxEEEEPS6_SG_NS0_5tupleIJSF_SF_EEENSH_IJSG_SG_EEES6_PlJ7is_evenIxEEEE10hipError_tPvRmT3_T4_T5_T6_T7_T9_mT8_P12ihipStream_tbDpT10_ENKUlT_T0_E_clISt17integral_constantIbLb1EES15_IbLb0EEEEDaS11_S12_EUlS11_E_NS1_11comp_targetILNS1_3genE3ELNS1_11target_archE908ELNS1_3gpuE7ELNS1_3repE0EEENS1_30default_config_static_selectorELNS0_4arch9wavefront6targetE1EEEvT1_
; %bb.0:
	.section	.rodata,"a",@progbits
	.p2align	6, 0x0
	.amdhsa_kernel _ZN7rocprim17ROCPRIM_400000_NS6detail17trampoline_kernelINS0_14default_configENS1_25partition_config_selectorILNS1_17partition_subalgoE0ExNS0_10empty_typeEbEEZZNS1_14partition_implILS5_0ELb0ES3_jN6thrust23THRUST_200600_302600_NS6detail15normal_iteratorINSA_10device_ptrIxEEEEPS6_SG_NS0_5tupleIJSF_SF_EEENSH_IJSG_SG_EEES6_PlJ7is_evenIxEEEE10hipError_tPvRmT3_T4_T5_T6_T7_T9_mT8_P12ihipStream_tbDpT10_ENKUlT_T0_E_clISt17integral_constantIbLb1EES15_IbLb0EEEEDaS11_S12_EUlS11_E_NS1_11comp_targetILNS1_3genE3ELNS1_11target_archE908ELNS1_3gpuE7ELNS1_3repE0EEENS1_30default_config_static_selectorELNS0_4arch9wavefront6targetE1EEEvT1_
		.amdhsa_group_segment_fixed_size 0
		.amdhsa_private_segment_fixed_size 0
		.amdhsa_kernarg_size 120
		.amdhsa_user_sgpr_count 2
		.amdhsa_user_sgpr_dispatch_ptr 0
		.amdhsa_user_sgpr_queue_ptr 0
		.amdhsa_user_sgpr_kernarg_segment_ptr 1
		.amdhsa_user_sgpr_dispatch_id 0
		.amdhsa_user_sgpr_kernarg_preload_length 0
		.amdhsa_user_sgpr_kernarg_preload_offset 0
		.amdhsa_user_sgpr_private_segment_size 0
		.amdhsa_uses_dynamic_stack 0
		.amdhsa_enable_private_segment 0
		.amdhsa_system_sgpr_workgroup_id_x 1
		.amdhsa_system_sgpr_workgroup_id_y 0
		.amdhsa_system_sgpr_workgroup_id_z 0
		.amdhsa_system_sgpr_workgroup_info 0
		.amdhsa_system_vgpr_workitem_id 0
		.amdhsa_next_free_vgpr 1
		.amdhsa_next_free_sgpr 0
		.amdhsa_accum_offset 4
		.amdhsa_reserve_vcc 0
		.amdhsa_float_round_mode_32 0
		.amdhsa_float_round_mode_16_64 0
		.amdhsa_float_denorm_mode_32 3
		.amdhsa_float_denorm_mode_16_64 3
		.amdhsa_dx10_clamp 1
		.amdhsa_ieee_mode 1
		.amdhsa_fp16_overflow 0
		.amdhsa_tg_split 0
		.amdhsa_exception_fp_ieee_invalid_op 0
		.amdhsa_exception_fp_denorm_src 0
		.amdhsa_exception_fp_ieee_div_zero 0
		.amdhsa_exception_fp_ieee_overflow 0
		.amdhsa_exception_fp_ieee_underflow 0
		.amdhsa_exception_fp_ieee_inexact 0
		.amdhsa_exception_int_div_zero 0
	.end_amdhsa_kernel
	.section	.text._ZN7rocprim17ROCPRIM_400000_NS6detail17trampoline_kernelINS0_14default_configENS1_25partition_config_selectorILNS1_17partition_subalgoE0ExNS0_10empty_typeEbEEZZNS1_14partition_implILS5_0ELb0ES3_jN6thrust23THRUST_200600_302600_NS6detail15normal_iteratorINSA_10device_ptrIxEEEEPS6_SG_NS0_5tupleIJSF_SF_EEENSH_IJSG_SG_EEES6_PlJ7is_evenIxEEEE10hipError_tPvRmT3_T4_T5_T6_T7_T9_mT8_P12ihipStream_tbDpT10_ENKUlT_T0_E_clISt17integral_constantIbLb1EES15_IbLb0EEEEDaS11_S12_EUlS11_E_NS1_11comp_targetILNS1_3genE3ELNS1_11target_archE908ELNS1_3gpuE7ELNS1_3repE0EEENS1_30default_config_static_selectorELNS0_4arch9wavefront6targetE1EEEvT1_,"axG",@progbits,_ZN7rocprim17ROCPRIM_400000_NS6detail17trampoline_kernelINS0_14default_configENS1_25partition_config_selectorILNS1_17partition_subalgoE0ExNS0_10empty_typeEbEEZZNS1_14partition_implILS5_0ELb0ES3_jN6thrust23THRUST_200600_302600_NS6detail15normal_iteratorINSA_10device_ptrIxEEEEPS6_SG_NS0_5tupleIJSF_SF_EEENSH_IJSG_SG_EEES6_PlJ7is_evenIxEEEE10hipError_tPvRmT3_T4_T5_T6_T7_T9_mT8_P12ihipStream_tbDpT10_ENKUlT_T0_E_clISt17integral_constantIbLb1EES15_IbLb0EEEEDaS11_S12_EUlS11_E_NS1_11comp_targetILNS1_3genE3ELNS1_11target_archE908ELNS1_3gpuE7ELNS1_3repE0EEENS1_30default_config_static_selectorELNS0_4arch9wavefront6targetE1EEEvT1_,comdat
.Lfunc_end308:
	.size	_ZN7rocprim17ROCPRIM_400000_NS6detail17trampoline_kernelINS0_14default_configENS1_25partition_config_selectorILNS1_17partition_subalgoE0ExNS0_10empty_typeEbEEZZNS1_14partition_implILS5_0ELb0ES3_jN6thrust23THRUST_200600_302600_NS6detail15normal_iteratorINSA_10device_ptrIxEEEEPS6_SG_NS0_5tupleIJSF_SF_EEENSH_IJSG_SG_EEES6_PlJ7is_evenIxEEEE10hipError_tPvRmT3_T4_T5_T6_T7_T9_mT8_P12ihipStream_tbDpT10_ENKUlT_T0_E_clISt17integral_constantIbLb1EES15_IbLb0EEEEDaS11_S12_EUlS11_E_NS1_11comp_targetILNS1_3genE3ELNS1_11target_archE908ELNS1_3gpuE7ELNS1_3repE0EEENS1_30default_config_static_selectorELNS0_4arch9wavefront6targetE1EEEvT1_, .Lfunc_end308-_ZN7rocprim17ROCPRIM_400000_NS6detail17trampoline_kernelINS0_14default_configENS1_25partition_config_selectorILNS1_17partition_subalgoE0ExNS0_10empty_typeEbEEZZNS1_14partition_implILS5_0ELb0ES3_jN6thrust23THRUST_200600_302600_NS6detail15normal_iteratorINSA_10device_ptrIxEEEEPS6_SG_NS0_5tupleIJSF_SF_EEENSH_IJSG_SG_EEES6_PlJ7is_evenIxEEEE10hipError_tPvRmT3_T4_T5_T6_T7_T9_mT8_P12ihipStream_tbDpT10_ENKUlT_T0_E_clISt17integral_constantIbLb1EES15_IbLb0EEEEDaS11_S12_EUlS11_E_NS1_11comp_targetILNS1_3genE3ELNS1_11target_archE908ELNS1_3gpuE7ELNS1_3repE0EEENS1_30default_config_static_selectorELNS0_4arch9wavefront6targetE1EEEvT1_
                                        ; -- End function
	.section	.AMDGPU.csdata,"",@progbits
; Kernel info:
; codeLenInByte = 0
; NumSgprs: 6
; NumVgprs: 0
; NumAgprs: 0
; TotalNumVgprs: 0
; ScratchSize: 0
; MemoryBound: 0
; FloatMode: 240
; IeeeMode: 1
; LDSByteSize: 0 bytes/workgroup (compile time only)
; SGPRBlocks: 0
; VGPRBlocks: 0
; NumSGPRsForWavesPerEU: 6
; NumVGPRsForWavesPerEU: 1
; AccumOffset: 4
; Occupancy: 8
; WaveLimiterHint : 0
; COMPUTE_PGM_RSRC2:SCRATCH_EN: 0
; COMPUTE_PGM_RSRC2:USER_SGPR: 2
; COMPUTE_PGM_RSRC2:TRAP_HANDLER: 0
; COMPUTE_PGM_RSRC2:TGID_X_EN: 1
; COMPUTE_PGM_RSRC2:TGID_Y_EN: 0
; COMPUTE_PGM_RSRC2:TGID_Z_EN: 0
; COMPUTE_PGM_RSRC2:TIDIG_COMP_CNT: 0
; COMPUTE_PGM_RSRC3_GFX90A:ACCUM_OFFSET: 0
; COMPUTE_PGM_RSRC3_GFX90A:TG_SPLIT: 0
	.section	.text._ZN7rocprim17ROCPRIM_400000_NS6detail17trampoline_kernelINS0_14default_configENS1_25partition_config_selectorILNS1_17partition_subalgoE0ExNS0_10empty_typeEbEEZZNS1_14partition_implILS5_0ELb0ES3_jN6thrust23THRUST_200600_302600_NS6detail15normal_iteratorINSA_10device_ptrIxEEEEPS6_SG_NS0_5tupleIJSF_SF_EEENSH_IJSG_SG_EEES6_PlJ7is_evenIxEEEE10hipError_tPvRmT3_T4_T5_T6_T7_T9_mT8_P12ihipStream_tbDpT10_ENKUlT_T0_E_clISt17integral_constantIbLb1EES15_IbLb0EEEEDaS11_S12_EUlS11_E_NS1_11comp_targetILNS1_3genE2ELNS1_11target_archE906ELNS1_3gpuE6ELNS1_3repE0EEENS1_30default_config_static_selectorELNS0_4arch9wavefront6targetE1EEEvT1_,"axG",@progbits,_ZN7rocprim17ROCPRIM_400000_NS6detail17trampoline_kernelINS0_14default_configENS1_25partition_config_selectorILNS1_17partition_subalgoE0ExNS0_10empty_typeEbEEZZNS1_14partition_implILS5_0ELb0ES3_jN6thrust23THRUST_200600_302600_NS6detail15normal_iteratorINSA_10device_ptrIxEEEEPS6_SG_NS0_5tupleIJSF_SF_EEENSH_IJSG_SG_EEES6_PlJ7is_evenIxEEEE10hipError_tPvRmT3_T4_T5_T6_T7_T9_mT8_P12ihipStream_tbDpT10_ENKUlT_T0_E_clISt17integral_constantIbLb1EES15_IbLb0EEEEDaS11_S12_EUlS11_E_NS1_11comp_targetILNS1_3genE2ELNS1_11target_archE906ELNS1_3gpuE6ELNS1_3repE0EEENS1_30default_config_static_selectorELNS0_4arch9wavefront6targetE1EEEvT1_,comdat
	.protected	_ZN7rocprim17ROCPRIM_400000_NS6detail17trampoline_kernelINS0_14default_configENS1_25partition_config_selectorILNS1_17partition_subalgoE0ExNS0_10empty_typeEbEEZZNS1_14partition_implILS5_0ELb0ES3_jN6thrust23THRUST_200600_302600_NS6detail15normal_iteratorINSA_10device_ptrIxEEEEPS6_SG_NS0_5tupleIJSF_SF_EEENSH_IJSG_SG_EEES6_PlJ7is_evenIxEEEE10hipError_tPvRmT3_T4_T5_T6_T7_T9_mT8_P12ihipStream_tbDpT10_ENKUlT_T0_E_clISt17integral_constantIbLb1EES15_IbLb0EEEEDaS11_S12_EUlS11_E_NS1_11comp_targetILNS1_3genE2ELNS1_11target_archE906ELNS1_3gpuE6ELNS1_3repE0EEENS1_30default_config_static_selectorELNS0_4arch9wavefront6targetE1EEEvT1_ ; -- Begin function _ZN7rocprim17ROCPRIM_400000_NS6detail17trampoline_kernelINS0_14default_configENS1_25partition_config_selectorILNS1_17partition_subalgoE0ExNS0_10empty_typeEbEEZZNS1_14partition_implILS5_0ELb0ES3_jN6thrust23THRUST_200600_302600_NS6detail15normal_iteratorINSA_10device_ptrIxEEEEPS6_SG_NS0_5tupleIJSF_SF_EEENSH_IJSG_SG_EEES6_PlJ7is_evenIxEEEE10hipError_tPvRmT3_T4_T5_T6_T7_T9_mT8_P12ihipStream_tbDpT10_ENKUlT_T0_E_clISt17integral_constantIbLb1EES15_IbLb0EEEEDaS11_S12_EUlS11_E_NS1_11comp_targetILNS1_3genE2ELNS1_11target_archE906ELNS1_3gpuE6ELNS1_3repE0EEENS1_30default_config_static_selectorELNS0_4arch9wavefront6targetE1EEEvT1_
	.globl	_ZN7rocprim17ROCPRIM_400000_NS6detail17trampoline_kernelINS0_14default_configENS1_25partition_config_selectorILNS1_17partition_subalgoE0ExNS0_10empty_typeEbEEZZNS1_14partition_implILS5_0ELb0ES3_jN6thrust23THRUST_200600_302600_NS6detail15normal_iteratorINSA_10device_ptrIxEEEEPS6_SG_NS0_5tupleIJSF_SF_EEENSH_IJSG_SG_EEES6_PlJ7is_evenIxEEEE10hipError_tPvRmT3_T4_T5_T6_T7_T9_mT8_P12ihipStream_tbDpT10_ENKUlT_T0_E_clISt17integral_constantIbLb1EES15_IbLb0EEEEDaS11_S12_EUlS11_E_NS1_11comp_targetILNS1_3genE2ELNS1_11target_archE906ELNS1_3gpuE6ELNS1_3repE0EEENS1_30default_config_static_selectorELNS0_4arch9wavefront6targetE1EEEvT1_
	.p2align	8
	.type	_ZN7rocprim17ROCPRIM_400000_NS6detail17trampoline_kernelINS0_14default_configENS1_25partition_config_selectorILNS1_17partition_subalgoE0ExNS0_10empty_typeEbEEZZNS1_14partition_implILS5_0ELb0ES3_jN6thrust23THRUST_200600_302600_NS6detail15normal_iteratorINSA_10device_ptrIxEEEEPS6_SG_NS0_5tupleIJSF_SF_EEENSH_IJSG_SG_EEES6_PlJ7is_evenIxEEEE10hipError_tPvRmT3_T4_T5_T6_T7_T9_mT8_P12ihipStream_tbDpT10_ENKUlT_T0_E_clISt17integral_constantIbLb1EES15_IbLb0EEEEDaS11_S12_EUlS11_E_NS1_11comp_targetILNS1_3genE2ELNS1_11target_archE906ELNS1_3gpuE6ELNS1_3repE0EEENS1_30default_config_static_selectorELNS0_4arch9wavefront6targetE1EEEvT1_,@function
_ZN7rocprim17ROCPRIM_400000_NS6detail17trampoline_kernelINS0_14default_configENS1_25partition_config_selectorILNS1_17partition_subalgoE0ExNS0_10empty_typeEbEEZZNS1_14partition_implILS5_0ELb0ES3_jN6thrust23THRUST_200600_302600_NS6detail15normal_iteratorINSA_10device_ptrIxEEEEPS6_SG_NS0_5tupleIJSF_SF_EEENSH_IJSG_SG_EEES6_PlJ7is_evenIxEEEE10hipError_tPvRmT3_T4_T5_T6_T7_T9_mT8_P12ihipStream_tbDpT10_ENKUlT_T0_E_clISt17integral_constantIbLb1EES15_IbLb0EEEEDaS11_S12_EUlS11_E_NS1_11comp_targetILNS1_3genE2ELNS1_11target_archE906ELNS1_3gpuE6ELNS1_3repE0EEENS1_30default_config_static_selectorELNS0_4arch9wavefront6targetE1EEEvT1_: ; @_ZN7rocprim17ROCPRIM_400000_NS6detail17trampoline_kernelINS0_14default_configENS1_25partition_config_selectorILNS1_17partition_subalgoE0ExNS0_10empty_typeEbEEZZNS1_14partition_implILS5_0ELb0ES3_jN6thrust23THRUST_200600_302600_NS6detail15normal_iteratorINSA_10device_ptrIxEEEEPS6_SG_NS0_5tupleIJSF_SF_EEENSH_IJSG_SG_EEES6_PlJ7is_evenIxEEEE10hipError_tPvRmT3_T4_T5_T6_T7_T9_mT8_P12ihipStream_tbDpT10_ENKUlT_T0_E_clISt17integral_constantIbLb1EES15_IbLb0EEEEDaS11_S12_EUlS11_E_NS1_11comp_targetILNS1_3genE2ELNS1_11target_archE906ELNS1_3gpuE6ELNS1_3repE0EEENS1_30default_config_static_selectorELNS0_4arch9wavefront6targetE1EEEvT1_
; %bb.0:
	.section	.rodata,"a",@progbits
	.p2align	6, 0x0
	.amdhsa_kernel _ZN7rocprim17ROCPRIM_400000_NS6detail17trampoline_kernelINS0_14default_configENS1_25partition_config_selectorILNS1_17partition_subalgoE0ExNS0_10empty_typeEbEEZZNS1_14partition_implILS5_0ELb0ES3_jN6thrust23THRUST_200600_302600_NS6detail15normal_iteratorINSA_10device_ptrIxEEEEPS6_SG_NS0_5tupleIJSF_SF_EEENSH_IJSG_SG_EEES6_PlJ7is_evenIxEEEE10hipError_tPvRmT3_T4_T5_T6_T7_T9_mT8_P12ihipStream_tbDpT10_ENKUlT_T0_E_clISt17integral_constantIbLb1EES15_IbLb0EEEEDaS11_S12_EUlS11_E_NS1_11comp_targetILNS1_3genE2ELNS1_11target_archE906ELNS1_3gpuE6ELNS1_3repE0EEENS1_30default_config_static_selectorELNS0_4arch9wavefront6targetE1EEEvT1_
		.amdhsa_group_segment_fixed_size 0
		.amdhsa_private_segment_fixed_size 0
		.amdhsa_kernarg_size 120
		.amdhsa_user_sgpr_count 2
		.amdhsa_user_sgpr_dispatch_ptr 0
		.amdhsa_user_sgpr_queue_ptr 0
		.amdhsa_user_sgpr_kernarg_segment_ptr 1
		.amdhsa_user_sgpr_dispatch_id 0
		.amdhsa_user_sgpr_kernarg_preload_length 0
		.amdhsa_user_sgpr_kernarg_preload_offset 0
		.amdhsa_user_sgpr_private_segment_size 0
		.amdhsa_uses_dynamic_stack 0
		.amdhsa_enable_private_segment 0
		.amdhsa_system_sgpr_workgroup_id_x 1
		.amdhsa_system_sgpr_workgroup_id_y 0
		.amdhsa_system_sgpr_workgroup_id_z 0
		.amdhsa_system_sgpr_workgroup_info 0
		.amdhsa_system_vgpr_workitem_id 0
		.amdhsa_next_free_vgpr 1
		.amdhsa_next_free_sgpr 0
		.amdhsa_accum_offset 4
		.amdhsa_reserve_vcc 0
		.amdhsa_float_round_mode_32 0
		.amdhsa_float_round_mode_16_64 0
		.amdhsa_float_denorm_mode_32 3
		.amdhsa_float_denorm_mode_16_64 3
		.amdhsa_dx10_clamp 1
		.amdhsa_ieee_mode 1
		.amdhsa_fp16_overflow 0
		.amdhsa_tg_split 0
		.amdhsa_exception_fp_ieee_invalid_op 0
		.amdhsa_exception_fp_denorm_src 0
		.amdhsa_exception_fp_ieee_div_zero 0
		.amdhsa_exception_fp_ieee_overflow 0
		.amdhsa_exception_fp_ieee_underflow 0
		.amdhsa_exception_fp_ieee_inexact 0
		.amdhsa_exception_int_div_zero 0
	.end_amdhsa_kernel
	.section	.text._ZN7rocprim17ROCPRIM_400000_NS6detail17trampoline_kernelINS0_14default_configENS1_25partition_config_selectorILNS1_17partition_subalgoE0ExNS0_10empty_typeEbEEZZNS1_14partition_implILS5_0ELb0ES3_jN6thrust23THRUST_200600_302600_NS6detail15normal_iteratorINSA_10device_ptrIxEEEEPS6_SG_NS0_5tupleIJSF_SF_EEENSH_IJSG_SG_EEES6_PlJ7is_evenIxEEEE10hipError_tPvRmT3_T4_T5_T6_T7_T9_mT8_P12ihipStream_tbDpT10_ENKUlT_T0_E_clISt17integral_constantIbLb1EES15_IbLb0EEEEDaS11_S12_EUlS11_E_NS1_11comp_targetILNS1_3genE2ELNS1_11target_archE906ELNS1_3gpuE6ELNS1_3repE0EEENS1_30default_config_static_selectorELNS0_4arch9wavefront6targetE1EEEvT1_,"axG",@progbits,_ZN7rocprim17ROCPRIM_400000_NS6detail17trampoline_kernelINS0_14default_configENS1_25partition_config_selectorILNS1_17partition_subalgoE0ExNS0_10empty_typeEbEEZZNS1_14partition_implILS5_0ELb0ES3_jN6thrust23THRUST_200600_302600_NS6detail15normal_iteratorINSA_10device_ptrIxEEEEPS6_SG_NS0_5tupleIJSF_SF_EEENSH_IJSG_SG_EEES6_PlJ7is_evenIxEEEE10hipError_tPvRmT3_T4_T5_T6_T7_T9_mT8_P12ihipStream_tbDpT10_ENKUlT_T0_E_clISt17integral_constantIbLb1EES15_IbLb0EEEEDaS11_S12_EUlS11_E_NS1_11comp_targetILNS1_3genE2ELNS1_11target_archE906ELNS1_3gpuE6ELNS1_3repE0EEENS1_30default_config_static_selectorELNS0_4arch9wavefront6targetE1EEEvT1_,comdat
.Lfunc_end309:
	.size	_ZN7rocprim17ROCPRIM_400000_NS6detail17trampoline_kernelINS0_14default_configENS1_25partition_config_selectorILNS1_17partition_subalgoE0ExNS0_10empty_typeEbEEZZNS1_14partition_implILS5_0ELb0ES3_jN6thrust23THRUST_200600_302600_NS6detail15normal_iteratorINSA_10device_ptrIxEEEEPS6_SG_NS0_5tupleIJSF_SF_EEENSH_IJSG_SG_EEES6_PlJ7is_evenIxEEEE10hipError_tPvRmT3_T4_T5_T6_T7_T9_mT8_P12ihipStream_tbDpT10_ENKUlT_T0_E_clISt17integral_constantIbLb1EES15_IbLb0EEEEDaS11_S12_EUlS11_E_NS1_11comp_targetILNS1_3genE2ELNS1_11target_archE906ELNS1_3gpuE6ELNS1_3repE0EEENS1_30default_config_static_selectorELNS0_4arch9wavefront6targetE1EEEvT1_, .Lfunc_end309-_ZN7rocprim17ROCPRIM_400000_NS6detail17trampoline_kernelINS0_14default_configENS1_25partition_config_selectorILNS1_17partition_subalgoE0ExNS0_10empty_typeEbEEZZNS1_14partition_implILS5_0ELb0ES3_jN6thrust23THRUST_200600_302600_NS6detail15normal_iteratorINSA_10device_ptrIxEEEEPS6_SG_NS0_5tupleIJSF_SF_EEENSH_IJSG_SG_EEES6_PlJ7is_evenIxEEEE10hipError_tPvRmT3_T4_T5_T6_T7_T9_mT8_P12ihipStream_tbDpT10_ENKUlT_T0_E_clISt17integral_constantIbLb1EES15_IbLb0EEEEDaS11_S12_EUlS11_E_NS1_11comp_targetILNS1_3genE2ELNS1_11target_archE906ELNS1_3gpuE6ELNS1_3repE0EEENS1_30default_config_static_selectorELNS0_4arch9wavefront6targetE1EEEvT1_
                                        ; -- End function
	.section	.AMDGPU.csdata,"",@progbits
; Kernel info:
; codeLenInByte = 0
; NumSgprs: 6
; NumVgprs: 0
; NumAgprs: 0
; TotalNumVgprs: 0
; ScratchSize: 0
; MemoryBound: 0
; FloatMode: 240
; IeeeMode: 1
; LDSByteSize: 0 bytes/workgroup (compile time only)
; SGPRBlocks: 0
; VGPRBlocks: 0
; NumSGPRsForWavesPerEU: 6
; NumVGPRsForWavesPerEU: 1
; AccumOffset: 4
; Occupancy: 8
; WaveLimiterHint : 0
; COMPUTE_PGM_RSRC2:SCRATCH_EN: 0
; COMPUTE_PGM_RSRC2:USER_SGPR: 2
; COMPUTE_PGM_RSRC2:TRAP_HANDLER: 0
; COMPUTE_PGM_RSRC2:TGID_X_EN: 1
; COMPUTE_PGM_RSRC2:TGID_Y_EN: 0
; COMPUTE_PGM_RSRC2:TGID_Z_EN: 0
; COMPUTE_PGM_RSRC2:TIDIG_COMP_CNT: 0
; COMPUTE_PGM_RSRC3_GFX90A:ACCUM_OFFSET: 0
; COMPUTE_PGM_RSRC3_GFX90A:TG_SPLIT: 0
	.section	.text._ZN7rocprim17ROCPRIM_400000_NS6detail17trampoline_kernelINS0_14default_configENS1_25partition_config_selectorILNS1_17partition_subalgoE0ExNS0_10empty_typeEbEEZZNS1_14partition_implILS5_0ELb0ES3_jN6thrust23THRUST_200600_302600_NS6detail15normal_iteratorINSA_10device_ptrIxEEEEPS6_SG_NS0_5tupleIJSF_SF_EEENSH_IJSG_SG_EEES6_PlJ7is_evenIxEEEE10hipError_tPvRmT3_T4_T5_T6_T7_T9_mT8_P12ihipStream_tbDpT10_ENKUlT_T0_E_clISt17integral_constantIbLb1EES15_IbLb0EEEEDaS11_S12_EUlS11_E_NS1_11comp_targetILNS1_3genE10ELNS1_11target_archE1200ELNS1_3gpuE4ELNS1_3repE0EEENS1_30default_config_static_selectorELNS0_4arch9wavefront6targetE1EEEvT1_,"axG",@progbits,_ZN7rocprim17ROCPRIM_400000_NS6detail17trampoline_kernelINS0_14default_configENS1_25partition_config_selectorILNS1_17partition_subalgoE0ExNS0_10empty_typeEbEEZZNS1_14partition_implILS5_0ELb0ES3_jN6thrust23THRUST_200600_302600_NS6detail15normal_iteratorINSA_10device_ptrIxEEEEPS6_SG_NS0_5tupleIJSF_SF_EEENSH_IJSG_SG_EEES6_PlJ7is_evenIxEEEE10hipError_tPvRmT3_T4_T5_T6_T7_T9_mT8_P12ihipStream_tbDpT10_ENKUlT_T0_E_clISt17integral_constantIbLb1EES15_IbLb0EEEEDaS11_S12_EUlS11_E_NS1_11comp_targetILNS1_3genE10ELNS1_11target_archE1200ELNS1_3gpuE4ELNS1_3repE0EEENS1_30default_config_static_selectorELNS0_4arch9wavefront6targetE1EEEvT1_,comdat
	.protected	_ZN7rocprim17ROCPRIM_400000_NS6detail17trampoline_kernelINS0_14default_configENS1_25partition_config_selectorILNS1_17partition_subalgoE0ExNS0_10empty_typeEbEEZZNS1_14partition_implILS5_0ELb0ES3_jN6thrust23THRUST_200600_302600_NS6detail15normal_iteratorINSA_10device_ptrIxEEEEPS6_SG_NS0_5tupleIJSF_SF_EEENSH_IJSG_SG_EEES6_PlJ7is_evenIxEEEE10hipError_tPvRmT3_T4_T5_T6_T7_T9_mT8_P12ihipStream_tbDpT10_ENKUlT_T0_E_clISt17integral_constantIbLb1EES15_IbLb0EEEEDaS11_S12_EUlS11_E_NS1_11comp_targetILNS1_3genE10ELNS1_11target_archE1200ELNS1_3gpuE4ELNS1_3repE0EEENS1_30default_config_static_selectorELNS0_4arch9wavefront6targetE1EEEvT1_ ; -- Begin function _ZN7rocprim17ROCPRIM_400000_NS6detail17trampoline_kernelINS0_14default_configENS1_25partition_config_selectorILNS1_17partition_subalgoE0ExNS0_10empty_typeEbEEZZNS1_14partition_implILS5_0ELb0ES3_jN6thrust23THRUST_200600_302600_NS6detail15normal_iteratorINSA_10device_ptrIxEEEEPS6_SG_NS0_5tupleIJSF_SF_EEENSH_IJSG_SG_EEES6_PlJ7is_evenIxEEEE10hipError_tPvRmT3_T4_T5_T6_T7_T9_mT8_P12ihipStream_tbDpT10_ENKUlT_T0_E_clISt17integral_constantIbLb1EES15_IbLb0EEEEDaS11_S12_EUlS11_E_NS1_11comp_targetILNS1_3genE10ELNS1_11target_archE1200ELNS1_3gpuE4ELNS1_3repE0EEENS1_30default_config_static_selectorELNS0_4arch9wavefront6targetE1EEEvT1_
	.globl	_ZN7rocprim17ROCPRIM_400000_NS6detail17trampoline_kernelINS0_14default_configENS1_25partition_config_selectorILNS1_17partition_subalgoE0ExNS0_10empty_typeEbEEZZNS1_14partition_implILS5_0ELb0ES3_jN6thrust23THRUST_200600_302600_NS6detail15normal_iteratorINSA_10device_ptrIxEEEEPS6_SG_NS0_5tupleIJSF_SF_EEENSH_IJSG_SG_EEES6_PlJ7is_evenIxEEEE10hipError_tPvRmT3_T4_T5_T6_T7_T9_mT8_P12ihipStream_tbDpT10_ENKUlT_T0_E_clISt17integral_constantIbLb1EES15_IbLb0EEEEDaS11_S12_EUlS11_E_NS1_11comp_targetILNS1_3genE10ELNS1_11target_archE1200ELNS1_3gpuE4ELNS1_3repE0EEENS1_30default_config_static_selectorELNS0_4arch9wavefront6targetE1EEEvT1_
	.p2align	8
	.type	_ZN7rocprim17ROCPRIM_400000_NS6detail17trampoline_kernelINS0_14default_configENS1_25partition_config_selectorILNS1_17partition_subalgoE0ExNS0_10empty_typeEbEEZZNS1_14partition_implILS5_0ELb0ES3_jN6thrust23THRUST_200600_302600_NS6detail15normal_iteratorINSA_10device_ptrIxEEEEPS6_SG_NS0_5tupleIJSF_SF_EEENSH_IJSG_SG_EEES6_PlJ7is_evenIxEEEE10hipError_tPvRmT3_T4_T5_T6_T7_T9_mT8_P12ihipStream_tbDpT10_ENKUlT_T0_E_clISt17integral_constantIbLb1EES15_IbLb0EEEEDaS11_S12_EUlS11_E_NS1_11comp_targetILNS1_3genE10ELNS1_11target_archE1200ELNS1_3gpuE4ELNS1_3repE0EEENS1_30default_config_static_selectorELNS0_4arch9wavefront6targetE1EEEvT1_,@function
_ZN7rocprim17ROCPRIM_400000_NS6detail17trampoline_kernelINS0_14default_configENS1_25partition_config_selectorILNS1_17partition_subalgoE0ExNS0_10empty_typeEbEEZZNS1_14partition_implILS5_0ELb0ES3_jN6thrust23THRUST_200600_302600_NS6detail15normal_iteratorINSA_10device_ptrIxEEEEPS6_SG_NS0_5tupleIJSF_SF_EEENSH_IJSG_SG_EEES6_PlJ7is_evenIxEEEE10hipError_tPvRmT3_T4_T5_T6_T7_T9_mT8_P12ihipStream_tbDpT10_ENKUlT_T0_E_clISt17integral_constantIbLb1EES15_IbLb0EEEEDaS11_S12_EUlS11_E_NS1_11comp_targetILNS1_3genE10ELNS1_11target_archE1200ELNS1_3gpuE4ELNS1_3repE0EEENS1_30default_config_static_selectorELNS0_4arch9wavefront6targetE1EEEvT1_: ; @_ZN7rocprim17ROCPRIM_400000_NS6detail17trampoline_kernelINS0_14default_configENS1_25partition_config_selectorILNS1_17partition_subalgoE0ExNS0_10empty_typeEbEEZZNS1_14partition_implILS5_0ELb0ES3_jN6thrust23THRUST_200600_302600_NS6detail15normal_iteratorINSA_10device_ptrIxEEEEPS6_SG_NS0_5tupleIJSF_SF_EEENSH_IJSG_SG_EEES6_PlJ7is_evenIxEEEE10hipError_tPvRmT3_T4_T5_T6_T7_T9_mT8_P12ihipStream_tbDpT10_ENKUlT_T0_E_clISt17integral_constantIbLb1EES15_IbLb0EEEEDaS11_S12_EUlS11_E_NS1_11comp_targetILNS1_3genE10ELNS1_11target_archE1200ELNS1_3gpuE4ELNS1_3repE0EEENS1_30default_config_static_selectorELNS0_4arch9wavefront6targetE1EEEvT1_
; %bb.0:
	.section	.rodata,"a",@progbits
	.p2align	6, 0x0
	.amdhsa_kernel _ZN7rocprim17ROCPRIM_400000_NS6detail17trampoline_kernelINS0_14default_configENS1_25partition_config_selectorILNS1_17partition_subalgoE0ExNS0_10empty_typeEbEEZZNS1_14partition_implILS5_0ELb0ES3_jN6thrust23THRUST_200600_302600_NS6detail15normal_iteratorINSA_10device_ptrIxEEEEPS6_SG_NS0_5tupleIJSF_SF_EEENSH_IJSG_SG_EEES6_PlJ7is_evenIxEEEE10hipError_tPvRmT3_T4_T5_T6_T7_T9_mT8_P12ihipStream_tbDpT10_ENKUlT_T0_E_clISt17integral_constantIbLb1EES15_IbLb0EEEEDaS11_S12_EUlS11_E_NS1_11comp_targetILNS1_3genE10ELNS1_11target_archE1200ELNS1_3gpuE4ELNS1_3repE0EEENS1_30default_config_static_selectorELNS0_4arch9wavefront6targetE1EEEvT1_
		.amdhsa_group_segment_fixed_size 0
		.amdhsa_private_segment_fixed_size 0
		.amdhsa_kernarg_size 120
		.amdhsa_user_sgpr_count 2
		.amdhsa_user_sgpr_dispatch_ptr 0
		.amdhsa_user_sgpr_queue_ptr 0
		.amdhsa_user_sgpr_kernarg_segment_ptr 1
		.amdhsa_user_sgpr_dispatch_id 0
		.amdhsa_user_sgpr_kernarg_preload_length 0
		.amdhsa_user_sgpr_kernarg_preload_offset 0
		.amdhsa_user_sgpr_private_segment_size 0
		.amdhsa_uses_dynamic_stack 0
		.amdhsa_enable_private_segment 0
		.amdhsa_system_sgpr_workgroup_id_x 1
		.amdhsa_system_sgpr_workgroup_id_y 0
		.amdhsa_system_sgpr_workgroup_id_z 0
		.amdhsa_system_sgpr_workgroup_info 0
		.amdhsa_system_vgpr_workitem_id 0
		.amdhsa_next_free_vgpr 1
		.amdhsa_next_free_sgpr 0
		.amdhsa_accum_offset 4
		.amdhsa_reserve_vcc 0
		.amdhsa_float_round_mode_32 0
		.amdhsa_float_round_mode_16_64 0
		.amdhsa_float_denorm_mode_32 3
		.amdhsa_float_denorm_mode_16_64 3
		.amdhsa_dx10_clamp 1
		.amdhsa_ieee_mode 1
		.amdhsa_fp16_overflow 0
		.amdhsa_tg_split 0
		.amdhsa_exception_fp_ieee_invalid_op 0
		.amdhsa_exception_fp_denorm_src 0
		.amdhsa_exception_fp_ieee_div_zero 0
		.amdhsa_exception_fp_ieee_overflow 0
		.amdhsa_exception_fp_ieee_underflow 0
		.amdhsa_exception_fp_ieee_inexact 0
		.amdhsa_exception_int_div_zero 0
	.end_amdhsa_kernel
	.section	.text._ZN7rocprim17ROCPRIM_400000_NS6detail17trampoline_kernelINS0_14default_configENS1_25partition_config_selectorILNS1_17partition_subalgoE0ExNS0_10empty_typeEbEEZZNS1_14partition_implILS5_0ELb0ES3_jN6thrust23THRUST_200600_302600_NS6detail15normal_iteratorINSA_10device_ptrIxEEEEPS6_SG_NS0_5tupleIJSF_SF_EEENSH_IJSG_SG_EEES6_PlJ7is_evenIxEEEE10hipError_tPvRmT3_T4_T5_T6_T7_T9_mT8_P12ihipStream_tbDpT10_ENKUlT_T0_E_clISt17integral_constantIbLb1EES15_IbLb0EEEEDaS11_S12_EUlS11_E_NS1_11comp_targetILNS1_3genE10ELNS1_11target_archE1200ELNS1_3gpuE4ELNS1_3repE0EEENS1_30default_config_static_selectorELNS0_4arch9wavefront6targetE1EEEvT1_,"axG",@progbits,_ZN7rocprim17ROCPRIM_400000_NS6detail17trampoline_kernelINS0_14default_configENS1_25partition_config_selectorILNS1_17partition_subalgoE0ExNS0_10empty_typeEbEEZZNS1_14partition_implILS5_0ELb0ES3_jN6thrust23THRUST_200600_302600_NS6detail15normal_iteratorINSA_10device_ptrIxEEEEPS6_SG_NS0_5tupleIJSF_SF_EEENSH_IJSG_SG_EEES6_PlJ7is_evenIxEEEE10hipError_tPvRmT3_T4_T5_T6_T7_T9_mT8_P12ihipStream_tbDpT10_ENKUlT_T0_E_clISt17integral_constantIbLb1EES15_IbLb0EEEEDaS11_S12_EUlS11_E_NS1_11comp_targetILNS1_3genE10ELNS1_11target_archE1200ELNS1_3gpuE4ELNS1_3repE0EEENS1_30default_config_static_selectorELNS0_4arch9wavefront6targetE1EEEvT1_,comdat
.Lfunc_end310:
	.size	_ZN7rocprim17ROCPRIM_400000_NS6detail17trampoline_kernelINS0_14default_configENS1_25partition_config_selectorILNS1_17partition_subalgoE0ExNS0_10empty_typeEbEEZZNS1_14partition_implILS5_0ELb0ES3_jN6thrust23THRUST_200600_302600_NS6detail15normal_iteratorINSA_10device_ptrIxEEEEPS6_SG_NS0_5tupleIJSF_SF_EEENSH_IJSG_SG_EEES6_PlJ7is_evenIxEEEE10hipError_tPvRmT3_T4_T5_T6_T7_T9_mT8_P12ihipStream_tbDpT10_ENKUlT_T0_E_clISt17integral_constantIbLb1EES15_IbLb0EEEEDaS11_S12_EUlS11_E_NS1_11comp_targetILNS1_3genE10ELNS1_11target_archE1200ELNS1_3gpuE4ELNS1_3repE0EEENS1_30default_config_static_selectorELNS0_4arch9wavefront6targetE1EEEvT1_, .Lfunc_end310-_ZN7rocprim17ROCPRIM_400000_NS6detail17trampoline_kernelINS0_14default_configENS1_25partition_config_selectorILNS1_17partition_subalgoE0ExNS0_10empty_typeEbEEZZNS1_14partition_implILS5_0ELb0ES3_jN6thrust23THRUST_200600_302600_NS6detail15normal_iteratorINSA_10device_ptrIxEEEEPS6_SG_NS0_5tupleIJSF_SF_EEENSH_IJSG_SG_EEES6_PlJ7is_evenIxEEEE10hipError_tPvRmT3_T4_T5_T6_T7_T9_mT8_P12ihipStream_tbDpT10_ENKUlT_T0_E_clISt17integral_constantIbLb1EES15_IbLb0EEEEDaS11_S12_EUlS11_E_NS1_11comp_targetILNS1_3genE10ELNS1_11target_archE1200ELNS1_3gpuE4ELNS1_3repE0EEENS1_30default_config_static_selectorELNS0_4arch9wavefront6targetE1EEEvT1_
                                        ; -- End function
	.section	.AMDGPU.csdata,"",@progbits
; Kernel info:
; codeLenInByte = 0
; NumSgprs: 6
; NumVgprs: 0
; NumAgprs: 0
; TotalNumVgprs: 0
; ScratchSize: 0
; MemoryBound: 0
; FloatMode: 240
; IeeeMode: 1
; LDSByteSize: 0 bytes/workgroup (compile time only)
; SGPRBlocks: 0
; VGPRBlocks: 0
; NumSGPRsForWavesPerEU: 6
; NumVGPRsForWavesPerEU: 1
; AccumOffset: 4
; Occupancy: 8
; WaveLimiterHint : 0
; COMPUTE_PGM_RSRC2:SCRATCH_EN: 0
; COMPUTE_PGM_RSRC2:USER_SGPR: 2
; COMPUTE_PGM_RSRC2:TRAP_HANDLER: 0
; COMPUTE_PGM_RSRC2:TGID_X_EN: 1
; COMPUTE_PGM_RSRC2:TGID_Y_EN: 0
; COMPUTE_PGM_RSRC2:TGID_Z_EN: 0
; COMPUTE_PGM_RSRC2:TIDIG_COMP_CNT: 0
; COMPUTE_PGM_RSRC3_GFX90A:ACCUM_OFFSET: 0
; COMPUTE_PGM_RSRC3_GFX90A:TG_SPLIT: 0
	.section	.text._ZN7rocprim17ROCPRIM_400000_NS6detail17trampoline_kernelINS0_14default_configENS1_25partition_config_selectorILNS1_17partition_subalgoE0ExNS0_10empty_typeEbEEZZNS1_14partition_implILS5_0ELb0ES3_jN6thrust23THRUST_200600_302600_NS6detail15normal_iteratorINSA_10device_ptrIxEEEEPS6_SG_NS0_5tupleIJSF_SF_EEENSH_IJSG_SG_EEES6_PlJ7is_evenIxEEEE10hipError_tPvRmT3_T4_T5_T6_T7_T9_mT8_P12ihipStream_tbDpT10_ENKUlT_T0_E_clISt17integral_constantIbLb1EES15_IbLb0EEEEDaS11_S12_EUlS11_E_NS1_11comp_targetILNS1_3genE9ELNS1_11target_archE1100ELNS1_3gpuE3ELNS1_3repE0EEENS1_30default_config_static_selectorELNS0_4arch9wavefront6targetE1EEEvT1_,"axG",@progbits,_ZN7rocprim17ROCPRIM_400000_NS6detail17trampoline_kernelINS0_14default_configENS1_25partition_config_selectorILNS1_17partition_subalgoE0ExNS0_10empty_typeEbEEZZNS1_14partition_implILS5_0ELb0ES3_jN6thrust23THRUST_200600_302600_NS6detail15normal_iteratorINSA_10device_ptrIxEEEEPS6_SG_NS0_5tupleIJSF_SF_EEENSH_IJSG_SG_EEES6_PlJ7is_evenIxEEEE10hipError_tPvRmT3_T4_T5_T6_T7_T9_mT8_P12ihipStream_tbDpT10_ENKUlT_T0_E_clISt17integral_constantIbLb1EES15_IbLb0EEEEDaS11_S12_EUlS11_E_NS1_11comp_targetILNS1_3genE9ELNS1_11target_archE1100ELNS1_3gpuE3ELNS1_3repE0EEENS1_30default_config_static_selectorELNS0_4arch9wavefront6targetE1EEEvT1_,comdat
	.protected	_ZN7rocprim17ROCPRIM_400000_NS6detail17trampoline_kernelINS0_14default_configENS1_25partition_config_selectorILNS1_17partition_subalgoE0ExNS0_10empty_typeEbEEZZNS1_14partition_implILS5_0ELb0ES3_jN6thrust23THRUST_200600_302600_NS6detail15normal_iteratorINSA_10device_ptrIxEEEEPS6_SG_NS0_5tupleIJSF_SF_EEENSH_IJSG_SG_EEES6_PlJ7is_evenIxEEEE10hipError_tPvRmT3_T4_T5_T6_T7_T9_mT8_P12ihipStream_tbDpT10_ENKUlT_T0_E_clISt17integral_constantIbLb1EES15_IbLb0EEEEDaS11_S12_EUlS11_E_NS1_11comp_targetILNS1_3genE9ELNS1_11target_archE1100ELNS1_3gpuE3ELNS1_3repE0EEENS1_30default_config_static_selectorELNS0_4arch9wavefront6targetE1EEEvT1_ ; -- Begin function _ZN7rocprim17ROCPRIM_400000_NS6detail17trampoline_kernelINS0_14default_configENS1_25partition_config_selectorILNS1_17partition_subalgoE0ExNS0_10empty_typeEbEEZZNS1_14partition_implILS5_0ELb0ES3_jN6thrust23THRUST_200600_302600_NS6detail15normal_iteratorINSA_10device_ptrIxEEEEPS6_SG_NS0_5tupleIJSF_SF_EEENSH_IJSG_SG_EEES6_PlJ7is_evenIxEEEE10hipError_tPvRmT3_T4_T5_T6_T7_T9_mT8_P12ihipStream_tbDpT10_ENKUlT_T0_E_clISt17integral_constantIbLb1EES15_IbLb0EEEEDaS11_S12_EUlS11_E_NS1_11comp_targetILNS1_3genE9ELNS1_11target_archE1100ELNS1_3gpuE3ELNS1_3repE0EEENS1_30default_config_static_selectorELNS0_4arch9wavefront6targetE1EEEvT1_
	.globl	_ZN7rocprim17ROCPRIM_400000_NS6detail17trampoline_kernelINS0_14default_configENS1_25partition_config_selectorILNS1_17partition_subalgoE0ExNS0_10empty_typeEbEEZZNS1_14partition_implILS5_0ELb0ES3_jN6thrust23THRUST_200600_302600_NS6detail15normal_iteratorINSA_10device_ptrIxEEEEPS6_SG_NS0_5tupleIJSF_SF_EEENSH_IJSG_SG_EEES6_PlJ7is_evenIxEEEE10hipError_tPvRmT3_T4_T5_T6_T7_T9_mT8_P12ihipStream_tbDpT10_ENKUlT_T0_E_clISt17integral_constantIbLb1EES15_IbLb0EEEEDaS11_S12_EUlS11_E_NS1_11comp_targetILNS1_3genE9ELNS1_11target_archE1100ELNS1_3gpuE3ELNS1_3repE0EEENS1_30default_config_static_selectorELNS0_4arch9wavefront6targetE1EEEvT1_
	.p2align	8
	.type	_ZN7rocprim17ROCPRIM_400000_NS6detail17trampoline_kernelINS0_14default_configENS1_25partition_config_selectorILNS1_17partition_subalgoE0ExNS0_10empty_typeEbEEZZNS1_14partition_implILS5_0ELb0ES3_jN6thrust23THRUST_200600_302600_NS6detail15normal_iteratorINSA_10device_ptrIxEEEEPS6_SG_NS0_5tupleIJSF_SF_EEENSH_IJSG_SG_EEES6_PlJ7is_evenIxEEEE10hipError_tPvRmT3_T4_T5_T6_T7_T9_mT8_P12ihipStream_tbDpT10_ENKUlT_T0_E_clISt17integral_constantIbLb1EES15_IbLb0EEEEDaS11_S12_EUlS11_E_NS1_11comp_targetILNS1_3genE9ELNS1_11target_archE1100ELNS1_3gpuE3ELNS1_3repE0EEENS1_30default_config_static_selectorELNS0_4arch9wavefront6targetE1EEEvT1_,@function
_ZN7rocprim17ROCPRIM_400000_NS6detail17trampoline_kernelINS0_14default_configENS1_25partition_config_selectorILNS1_17partition_subalgoE0ExNS0_10empty_typeEbEEZZNS1_14partition_implILS5_0ELb0ES3_jN6thrust23THRUST_200600_302600_NS6detail15normal_iteratorINSA_10device_ptrIxEEEEPS6_SG_NS0_5tupleIJSF_SF_EEENSH_IJSG_SG_EEES6_PlJ7is_evenIxEEEE10hipError_tPvRmT3_T4_T5_T6_T7_T9_mT8_P12ihipStream_tbDpT10_ENKUlT_T0_E_clISt17integral_constantIbLb1EES15_IbLb0EEEEDaS11_S12_EUlS11_E_NS1_11comp_targetILNS1_3genE9ELNS1_11target_archE1100ELNS1_3gpuE3ELNS1_3repE0EEENS1_30default_config_static_selectorELNS0_4arch9wavefront6targetE1EEEvT1_: ; @_ZN7rocprim17ROCPRIM_400000_NS6detail17trampoline_kernelINS0_14default_configENS1_25partition_config_selectorILNS1_17partition_subalgoE0ExNS0_10empty_typeEbEEZZNS1_14partition_implILS5_0ELb0ES3_jN6thrust23THRUST_200600_302600_NS6detail15normal_iteratorINSA_10device_ptrIxEEEEPS6_SG_NS0_5tupleIJSF_SF_EEENSH_IJSG_SG_EEES6_PlJ7is_evenIxEEEE10hipError_tPvRmT3_T4_T5_T6_T7_T9_mT8_P12ihipStream_tbDpT10_ENKUlT_T0_E_clISt17integral_constantIbLb1EES15_IbLb0EEEEDaS11_S12_EUlS11_E_NS1_11comp_targetILNS1_3genE9ELNS1_11target_archE1100ELNS1_3gpuE3ELNS1_3repE0EEENS1_30default_config_static_selectorELNS0_4arch9wavefront6targetE1EEEvT1_
; %bb.0:
	.section	.rodata,"a",@progbits
	.p2align	6, 0x0
	.amdhsa_kernel _ZN7rocprim17ROCPRIM_400000_NS6detail17trampoline_kernelINS0_14default_configENS1_25partition_config_selectorILNS1_17partition_subalgoE0ExNS0_10empty_typeEbEEZZNS1_14partition_implILS5_0ELb0ES3_jN6thrust23THRUST_200600_302600_NS6detail15normal_iteratorINSA_10device_ptrIxEEEEPS6_SG_NS0_5tupleIJSF_SF_EEENSH_IJSG_SG_EEES6_PlJ7is_evenIxEEEE10hipError_tPvRmT3_T4_T5_T6_T7_T9_mT8_P12ihipStream_tbDpT10_ENKUlT_T0_E_clISt17integral_constantIbLb1EES15_IbLb0EEEEDaS11_S12_EUlS11_E_NS1_11comp_targetILNS1_3genE9ELNS1_11target_archE1100ELNS1_3gpuE3ELNS1_3repE0EEENS1_30default_config_static_selectorELNS0_4arch9wavefront6targetE1EEEvT1_
		.amdhsa_group_segment_fixed_size 0
		.amdhsa_private_segment_fixed_size 0
		.amdhsa_kernarg_size 120
		.amdhsa_user_sgpr_count 2
		.amdhsa_user_sgpr_dispatch_ptr 0
		.amdhsa_user_sgpr_queue_ptr 0
		.amdhsa_user_sgpr_kernarg_segment_ptr 1
		.amdhsa_user_sgpr_dispatch_id 0
		.amdhsa_user_sgpr_kernarg_preload_length 0
		.amdhsa_user_sgpr_kernarg_preload_offset 0
		.amdhsa_user_sgpr_private_segment_size 0
		.amdhsa_uses_dynamic_stack 0
		.amdhsa_enable_private_segment 0
		.amdhsa_system_sgpr_workgroup_id_x 1
		.amdhsa_system_sgpr_workgroup_id_y 0
		.amdhsa_system_sgpr_workgroup_id_z 0
		.amdhsa_system_sgpr_workgroup_info 0
		.amdhsa_system_vgpr_workitem_id 0
		.amdhsa_next_free_vgpr 1
		.amdhsa_next_free_sgpr 0
		.amdhsa_accum_offset 4
		.amdhsa_reserve_vcc 0
		.amdhsa_float_round_mode_32 0
		.amdhsa_float_round_mode_16_64 0
		.amdhsa_float_denorm_mode_32 3
		.amdhsa_float_denorm_mode_16_64 3
		.amdhsa_dx10_clamp 1
		.amdhsa_ieee_mode 1
		.amdhsa_fp16_overflow 0
		.amdhsa_tg_split 0
		.amdhsa_exception_fp_ieee_invalid_op 0
		.amdhsa_exception_fp_denorm_src 0
		.amdhsa_exception_fp_ieee_div_zero 0
		.amdhsa_exception_fp_ieee_overflow 0
		.amdhsa_exception_fp_ieee_underflow 0
		.amdhsa_exception_fp_ieee_inexact 0
		.amdhsa_exception_int_div_zero 0
	.end_amdhsa_kernel
	.section	.text._ZN7rocprim17ROCPRIM_400000_NS6detail17trampoline_kernelINS0_14default_configENS1_25partition_config_selectorILNS1_17partition_subalgoE0ExNS0_10empty_typeEbEEZZNS1_14partition_implILS5_0ELb0ES3_jN6thrust23THRUST_200600_302600_NS6detail15normal_iteratorINSA_10device_ptrIxEEEEPS6_SG_NS0_5tupleIJSF_SF_EEENSH_IJSG_SG_EEES6_PlJ7is_evenIxEEEE10hipError_tPvRmT3_T4_T5_T6_T7_T9_mT8_P12ihipStream_tbDpT10_ENKUlT_T0_E_clISt17integral_constantIbLb1EES15_IbLb0EEEEDaS11_S12_EUlS11_E_NS1_11comp_targetILNS1_3genE9ELNS1_11target_archE1100ELNS1_3gpuE3ELNS1_3repE0EEENS1_30default_config_static_selectorELNS0_4arch9wavefront6targetE1EEEvT1_,"axG",@progbits,_ZN7rocprim17ROCPRIM_400000_NS6detail17trampoline_kernelINS0_14default_configENS1_25partition_config_selectorILNS1_17partition_subalgoE0ExNS0_10empty_typeEbEEZZNS1_14partition_implILS5_0ELb0ES3_jN6thrust23THRUST_200600_302600_NS6detail15normal_iteratorINSA_10device_ptrIxEEEEPS6_SG_NS0_5tupleIJSF_SF_EEENSH_IJSG_SG_EEES6_PlJ7is_evenIxEEEE10hipError_tPvRmT3_T4_T5_T6_T7_T9_mT8_P12ihipStream_tbDpT10_ENKUlT_T0_E_clISt17integral_constantIbLb1EES15_IbLb0EEEEDaS11_S12_EUlS11_E_NS1_11comp_targetILNS1_3genE9ELNS1_11target_archE1100ELNS1_3gpuE3ELNS1_3repE0EEENS1_30default_config_static_selectorELNS0_4arch9wavefront6targetE1EEEvT1_,comdat
.Lfunc_end311:
	.size	_ZN7rocprim17ROCPRIM_400000_NS6detail17trampoline_kernelINS0_14default_configENS1_25partition_config_selectorILNS1_17partition_subalgoE0ExNS0_10empty_typeEbEEZZNS1_14partition_implILS5_0ELb0ES3_jN6thrust23THRUST_200600_302600_NS6detail15normal_iteratorINSA_10device_ptrIxEEEEPS6_SG_NS0_5tupleIJSF_SF_EEENSH_IJSG_SG_EEES6_PlJ7is_evenIxEEEE10hipError_tPvRmT3_T4_T5_T6_T7_T9_mT8_P12ihipStream_tbDpT10_ENKUlT_T0_E_clISt17integral_constantIbLb1EES15_IbLb0EEEEDaS11_S12_EUlS11_E_NS1_11comp_targetILNS1_3genE9ELNS1_11target_archE1100ELNS1_3gpuE3ELNS1_3repE0EEENS1_30default_config_static_selectorELNS0_4arch9wavefront6targetE1EEEvT1_, .Lfunc_end311-_ZN7rocprim17ROCPRIM_400000_NS6detail17trampoline_kernelINS0_14default_configENS1_25partition_config_selectorILNS1_17partition_subalgoE0ExNS0_10empty_typeEbEEZZNS1_14partition_implILS5_0ELb0ES3_jN6thrust23THRUST_200600_302600_NS6detail15normal_iteratorINSA_10device_ptrIxEEEEPS6_SG_NS0_5tupleIJSF_SF_EEENSH_IJSG_SG_EEES6_PlJ7is_evenIxEEEE10hipError_tPvRmT3_T4_T5_T6_T7_T9_mT8_P12ihipStream_tbDpT10_ENKUlT_T0_E_clISt17integral_constantIbLb1EES15_IbLb0EEEEDaS11_S12_EUlS11_E_NS1_11comp_targetILNS1_3genE9ELNS1_11target_archE1100ELNS1_3gpuE3ELNS1_3repE0EEENS1_30default_config_static_selectorELNS0_4arch9wavefront6targetE1EEEvT1_
                                        ; -- End function
	.section	.AMDGPU.csdata,"",@progbits
; Kernel info:
; codeLenInByte = 0
; NumSgprs: 6
; NumVgprs: 0
; NumAgprs: 0
; TotalNumVgprs: 0
; ScratchSize: 0
; MemoryBound: 0
; FloatMode: 240
; IeeeMode: 1
; LDSByteSize: 0 bytes/workgroup (compile time only)
; SGPRBlocks: 0
; VGPRBlocks: 0
; NumSGPRsForWavesPerEU: 6
; NumVGPRsForWavesPerEU: 1
; AccumOffset: 4
; Occupancy: 8
; WaveLimiterHint : 0
; COMPUTE_PGM_RSRC2:SCRATCH_EN: 0
; COMPUTE_PGM_RSRC2:USER_SGPR: 2
; COMPUTE_PGM_RSRC2:TRAP_HANDLER: 0
; COMPUTE_PGM_RSRC2:TGID_X_EN: 1
; COMPUTE_PGM_RSRC2:TGID_Y_EN: 0
; COMPUTE_PGM_RSRC2:TGID_Z_EN: 0
; COMPUTE_PGM_RSRC2:TIDIG_COMP_CNT: 0
; COMPUTE_PGM_RSRC3_GFX90A:ACCUM_OFFSET: 0
; COMPUTE_PGM_RSRC3_GFX90A:TG_SPLIT: 0
	.section	.text._ZN7rocprim17ROCPRIM_400000_NS6detail17trampoline_kernelINS0_14default_configENS1_25partition_config_selectorILNS1_17partition_subalgoE0ExNS0_10empty_typeEbEEZZNS1_14partition_implILS5_0ELb0ES3_jN6thrust23THRUST_200600_302600_NS6detail15normal_iteratorINSA_10device_ptrIxEEEEPS6_SG_NS0_5tupleIJSF_SF_EEENSH_IJSG_SG_EEES6_PlJ7is_evenIxEEEE10hipError_tPvRmT3_T4_T5_T6_T7_T9_mT8_P12ihipStream_tbDpT10_ENKUlT_T0_E_clISt17integral_constantIbLb1EES15_IbLb0EEEEDaS11_S12_EUlS11_E_NS1_11comp_targetILNS1_3genE8ELNS1_11target_archE1030ELNS1_3gpuE2ELNS1_3repE0EEENS1_30default_config_static_selectorELNS0_4arch9wavefront6targetE1EEEvT1_,"axG",@progbits,_ZN7rocprim17ROCPRIM_400000_NS6detail17trampoline_kernelINS0_14default_configENS1_25partition_config_selectorILNS1_17partition_subalgoE0ExNS0_10empty_typeEbEEZZNS1_14partition_implILS5_0ELb0ES3_jN6thrust23THRUST_200600_302600_NS6detail15normal_iteratorINSA_10device_ptrIxEEEEPS6_SG_NS0_5tupleIJSF_SF_EEENSH_IJSG_SG_EEES6_PlJ7is_evenIxEEEE10hipError_tPvRmT3_T4_T5_T6_T7_T9_mT8_P12ihipStream_tbDpT10_ENKUlT_T0_E_clISt17integral_constantIbLb1EES15_IbLb0EEEEDaS11_S12_EUlS11_E_NS1_11comp_targetILNS1_3genE8ELNS1_11target_archE1030ELNS1_3gpuE2ELNS1_3repE0EEENS1_30default_config_static_selectorELNS0_4arch9wavefront6targetE1EEEvT1_,comdat
	.protected	_ZN7rocprim17ROCPRIM_400000_NS6detail17trampoline_kernelINS0_14default_configENS1_25partition_config_selectorILNS1_17partition_subalgoE0ExNS0_10empty_typeEbEEZZNS1_14partition_implILS5_0ELb0ES3_jN6thrust23THRUST_200600_302600_NS6detail15normal_iteratorINSA_10device_ptrIxEEEEPS6_SG_NS0_5tupleIJSF_SF_EEENSH_IJSG_SG_EEES6_PlJ7is_evenIxEEEE10hipError_tPvRmT3_T4_T5_T6_T7_T9_mT8_P12ihipStream_tbDpT10_ENKUlT_T0_E_clISt17integral_constantIbLb1EES15_IbLb0EEEEDaS11_S12_EUlS11_E_NS1_11comp_targetILNS1_3genE8ELNS1_11target_archE1030ELNS1_3gpuE2ELNS1_3repE0EEENS1_30default_config_static_selectorELNS0_4arch9wavefront6targetE1EEEvT1_ ; -- Begin function _ZN7rocprim17ROCPRIM_400000_NS6detail17trampoline_kernelINS0_14default_configENS1_25partition_config_selectorILNS1_17partition_subalgoE0ExNS0_10empty_typeEbEEZZNS1_14partition_implILS5_0ELb0ES3_jN6thrust23THRUST_200600_302600_NS6detail15normal_iteratorINSA_10device_ptrIxEEEEPS6_SG_NS0_5tupleIJSF_SF_EEENSH_IJSG_SG_EEES6_PlJ7is_evenIxEEEE10hipError_tPvRmT3_T4_T5_T6_T7_T9_mT8_P12ihipStream_tbDpT10_ENKUlT_T0_E_clISt17integral_constantIbLb1EES15_IbLb0EEEEDaS11_S12_EUlS11_E_NS1_11comp_targetILNS1_3genE8ELNS1_11target_archE1030ELNS1_3gpuE2ELNS1_3repE0EEENS1_30default_config_static_selectorELNS0_4arch9wavefront6targetE1EEEvT1_
	.globl	_ZN7rocprim17ROCPRIM_400000_NS6detail17trampoline_kernelINS0_14default_configENS1_25partition_config_selectorILNS1_17partition_subalgoE0ExNS0_10empty_typeEbEEZZNS1_14partition_implILS5_0ELb0ES3_jN6thrust23THRUST_200600_302600_NS6detail15normal_iteratorINSA_10device_ptrIxEEEEPS6_SG_NS0_5tupleIJSF_SF_EEENSH_IJSG_SG_EEES6_PlJ7is_evenIxEEEE10hipError_tPvRmT3_T4_T5_T6_T7_T9_mT8_P12ihipStream_tbDpT10_ENKUlT_T0_E_clISt17integral_constantIbLb1EES15_IbLb0EEEEDaS11_S12_EUlS11_E_NS1_11comp_targetILNS1_3genE8ELNS1_11target_archE1030ELNS1_3gpuE2ELNS1_3repE0EEENS1_30default_config_static_selectorELNS0_4arch9wavefront6targetE1EEEvT1_
	.p2align	8
	.type	_ZN7rocprim17ROCPRIM_400000_NS6detail17trampoline_kernelINS0_14default_configENS1_25partition_config_selectorILNS1_17partition_subalgoE0ExNS0_10empty_typeEbEEZZNS1_14partition_implILS5_0ELb0ES3_jN6thrust23THRUST_200600_302600_NS6detail15normal_iteratorINSA_10device_ptrIxEEEEPS6_SG_NS0_5tupleIJSF_SF_EEENSH_IJSG_SG_EEES6_PlJ7is_evenIxEEEE10hipError_tPvRmT3_T4_T5_T6_T7_T9_mT8_P12ihipStream_tbDpT10_ENKUlT_T0_E_clISt17integral_constantIbLb1EES15_IbLb0EEEEDaS11_S12_EUlS11_E_NS1_11comp_targetILNS1_3genE8ELNS1_11target_archE1030ELNS1_3gpuE2ELNS1_3repE0EEENS1_30default_config_static_selectorELNS0_4arch9wavefront6targetE1EEEvT1_,@function
_ZN7rocprim17ROCPRIM_400000_NS6detail17trampoline_kernelINS0_14default_configENS1_25partition_config_selectorILNS1_17partition_subalgoE0ExNS0_10empty_typeEbEEZZNS1_14partition_implILS5_0ELb0ES3_jN6thrust23THRUST_200600_302600_NS6detail15normal_iteratorINSA_10device_ptrIxEEEEPS6_SG_NS0_5tupleIJSF_SF_EEENSH_IJSG_SG_EEES6_PlJ7is_evenIxEEEE10hipError_tPvRmT3_T4_T5_T6_T7_T9_mT8_P12ihipStream_tbDpT10_ENKUlT_T0_E_clISt17integral_constantIbLb1EES15_IbLb0EEEEDaS11_S12_EUlS11_E_NS1_11comp_targetILNS1_3genE8ELNS1_11target_archE1030ELNS1_3gpuE2ELNS1_3repE0EEENS1_30default_config_static_selectorELNS0_4arch9wavefront6targetE1EEEvT1_: ; @_ZN7rocprim17ROCPRIM_400000_NS6detail17trampoline_kernelINS0_14default_configENS1_25partition_config_selectorILNS1_17partition_subalgoE0ExNS0_10empty_typeEbEEZZNS1_14partition_implILS5_0ELb0ES3_jN6thrust23THRUST_200600_302600_NS6detail15normal_iteratorINSA_10device_ptrIxEEEEPS6_SG_NS0_5tupleIJSF_SF_EEENSH_IJSG_SG_EEES6_PlJ7is_evenIxEEEE10hipError_tPvRmT3_T4_T5_T6_T7_T9_mT8_P12ihipStream_tbDpT10_ENKUlT_T0_E_clISt17integral_constantIbLb1EES15_IbLb0EEEEDaS11_S12_EUlS11_E_NS1_11comp_targetILNS1_3genE8ELNS1_11target_archE1030ELNS1_3gpuE2ELNS1_3repE0EEENS1_30default_config_static_selectorELNS0_4arch9wavefront6targetE1EEEvT1_
; %bb.0:
	.section	.rodata,"a",@progbits
	.p2align	6, 0x0
	.amdhsa_kernel _ZN7rocprim17ROCPRIM_400000_NS6detail17trampoline_kernelINS0_14default_configENS1_25partition_config_selectorILNS1_17partition_subalgoE0ExNS0_10empty_typeEbEEZZNS1_14partition_implILS5_0ELb0ES3_jN6thrust23THRUST_200600_302600_NS6detail15normal_iteratorINSA_10device_ptrIxEEEEPS6_SG_NS0_5tupleIJSF_SF_EEENSH_IJSG_SG_EEES6_PlJ7is_evenIxEEEE10hipError_tPvRmT3_T4_T5_T6_T7_T9_mT8_P12ihipStream_tbDpT10_ENKUlT_T0_E_clISt17integral_constantIbLb1EES15_IbLb0EEEEDaS11_S12_EUlS11_E_NS1_11comp_targetILNS1_3genE8ELNS1_11target_archE1030ELNS1_3gpuE2ELNS1_3repE0EEENS1_30default_config_static_selectorELNS0_4arch9wavefront6targetE1EEEvT1_
		.amdhsa_group_segment_fixed_size 0
		.amdhsa_private_segment_fixed_size 0
		.amdhsa_kernarg_size 120
		.amdhsa_user_sgpr_count 2
		.amdhsa_user_sgpr_dispatch_ptr 0
		.amdhsa_user_sgpr_queue_ptr 0
		.amdhsa_user_sgpr_kernarg_segment_ptr 1
		.amdhsa_user_sgpr_dispatch_id 0
		.amdhsa_user_sgpr_kernarg_preload_length 0
		.amdhsa_user_sgpr_kernarg_preload_offset 0
		.amdhsa_user_sgpr_private_segment_size 0
		.amdhsa_uses_dynamic_stack 0
		.amdhsa_enable_private_segment 0
		.amdhsa_system_sgpr_workgroup_id_x 1
		.amdhsa_system_sgpr_workgroup_id_y 0
		.amdhsa_system_sgpr_workgroup_id_z 0
		.amdhsa_system_sgpr_workgroup_info 0
		.amdhsa_system_vgpr_workitem_id 0
		.amdhsa_next_free_vgpr 1
		.amdhsa_next_free_sgpr 0
		.amdhsa_accum_offset 4
		.amdhsa_reserve_vcc 0
		.amdhsa_float_round_mode_32 0
		.amdhsa_float_round_mode_16_64 0
		.amdhsa_float_denorm_mode_32 3
		.amdhsa_float_denorm_mode_16_64 3
		.amdhsa_dx10_clamp 1
		.amdhsa_ieee_mode 1
		.amdhsa_fp16_overflow 0
		.amdhsa_tg_split 0
		.amdhsa_exception_fp_ieee_invalid_op 0
		.amdhsa_exception_fp_denorm_src 0
		.amdhsa_exception_fp_ieee_div_zero 0
		.amdhsa_exception_fp_ieee_overflow 0
		.amdhsa_exception_fp_ieee_underflow 0
		.amdhsa_exception_fp_ieee_inexact 0
		.amdhsa_exception_int_div_zero 0
	.end_amdhsa_kernel
	.section	.text._ZN7rocprim17ROCPRIM_400000_NS6detail17trampoline_kernelINS0_14default_configENS1_25partition_config_selectorILNS1_17partition_subalgoE0ExNS0_10empty_typeEbEEZZNS1_14partition_implILS5_0ELb0ES3_jN6thrust23THRUST_200600_302600_NS6detail15normal_iteratorINSA_10device_ptrIxEEEEPS6_SG_NS0_5tupleIJSF_SF_EEENSH_IJSG_SG_EEES6_PlJ7is_evenIxEEEE10hipError_tPvRmT3_T4_T5_T6_T7_T9_mT8_P12ihipStream_tbDpT10_ENKUlT_T0_E_clISt17integral_constantIbLb1EES15_IbLb0EEEEDaS11_S12_EUlS11_E_NS1_11comp_targetILNS1_3genE8ELNS1_11target_archE1030ELNS1_3gpuE2ELNS1_3repE0EEENS1_30default_config_static_selectorELNS0_4arch9wavefront6targetE1EEEvT1_,"axG",@progbits,_ZN7rocprim17ROCPRIM_400000_NS6detail17trampoline_kernelINS0_14default_configENS1_25partition_config_selectorILNS1_17partition_subalgoE0ExNS0_10empty_typeEbEEZZNS1_14partition_implILS5_0ELb0ES3_jN6thrust23THRUST_200600_302600_NS6detail15normal_iteratorINSA_10device_ptrIxEEEEPS6_SG_NS0_5tupleIJSF_SF_EEENSH_IJSG_SG_EEES6_PlJ7is_evenIxEEEE10hipError_tPvRmT3_T4_T5_T6_T7_T9_mT8_P12ihipStream_tbDpT10_ENKUlT_T0_E_clISt17integral_constantIbLb1EES15_IbLb0EEEEDaS11_S12_EUlS11_E_NS1_11comp_targetILNS1_3genE8ELNS1_11target_archE1030ELNS1_3gpuE2ELNS1_3repE0EEENS1_30default_config_static_selectorELNS0_4arch9wavefront6targetE1EEEvT1_,comdat
.Lfunc_end312:
	.size	_ZN7rocprim17ROCPRIM_400000_NS6detail17trampoline_kernelINS0_14default_configENS1_25partition_config_selectorILNS1_17partition_subalgoE0ExNS0_10empty_typeEbEEZZNS1_14partition_implILS5_0ELb0ES3_jN6thrust23THRUST_200600_302600_NS6detail15normal_iteratorINSA_10device_ptrIxEEEEPS6_SG_NS0_5tupleIJSF_SF_EEENSH_IJSG_SG_EEES6_PlJ7is_evenIxEEEE10hipError_tPvRmT3_T4_T5_T6_T7_T9_mT8_P12ihipStream_tbDpT10_ENKUlT_T0_E_clISt17integral_constantIbLb1EES15_IbLb0EEEEDaS11_S12_EUlS11_E_NS1_11comp_targetILNS1_3genE8ELNS1_11target_archE1030ELNS1_3gpuE2ELNS1_3repE0EEENS1_30default_config_static_selectorELNS0_4arch9wavefront6targetE1EEEvT1_, .Lfunc_end312-_ZN7rocprim17ROCPRIM_400000_NS6detail17trampoline_kernelINS0_14default_configENS1_25partition_config_selectorILNS1_17partition_subalgoE0ExNS0_10empty_typeEbEEZZNS1_14partition_implILS5_0ELb0ES3_jN6thrust23THRUST_200600_302600_NS6detail15normal_iteratorINSA_10device_ptrIxEEEEPS6_SG_NS0_5tupleIJSF_SF_EEENSH_IJSG_SG_EEES6_PlJ7is_evenIxEEEE10hipError_tPvRmT3_T4_T5_T6_T7_T9_mT8_P12ihipStream_tbDpT10_ENKUlT_T0_E_clISt17integral_constantIbLb1EES15_IbLb0EEEEDaS11_S12_EUlS11_E_NS1_11comp_targetILNS1_3genE8ELNS1_11target_archE1030ELNS1_3gpuE2ELNS1_3repE0EEENS1_30default_config_static_selectorELNS0_4arch9wavefront6targetE1EEEvT1_
                                        ; -- End function
	.section	.AMDGPU.csdata,"",@progbits
; Kernel info:
; codeLenInByte = 0
; NumSgprs: 6
; NumVgprs: 0
; NumAgprs: 0
; TotalNumVgprs: 0
; ScratchSize: 0
; MemoryBound: 0
; FloatMode: 240
; IeeeMode: 1
; LDSByteSize: 0 bytes/workgroup (compile time only)
; SGPRBlocks: 0
; VGPRBlocks: 0
; NumSGPRsForWavesPerEU: 6
; NumVGPRsForWavesPerEU: 1
; AccumOffset: 4
; Occupancy: 8
; WaveLimiterHint : 0
; COMPUTE_PGM_RSRC2:SCRATCH_EN: 0
; COMPUTE_PGM_RSRC2:USER_SGPR: 2
; COMPUTE_PGM_RSRC2:TRAP_HANDLER: 0
; COMPUTE_PGM_RSRC2:TGID_X_EN: 1
; COMPUTE_PGM_RSRC2:TGID_Y_EN: 0
; COMPUTE_PGM_RSRC2:TGID_Z_EN: 0
; COMPUTE_PGM_RSRC2:TIDIG_COMP_CNT: 0
; COMPUTE_PGM_RSRC3_GFX90A:ACCUM_OFFSET: 0
; COMPUTE_PGM_RSRC3_GFX90A:TG_SPLIT: 0
	.section	.text._ZN7rocprim17ROCPRIM_400000_NS6detail17trampoline_kernelINS0_14default_configENS1_25partition_config_selectorILNS1_17partition_subalgoE0ExNS0_10empty_typeEbEEZZNS1_14partition_implILS5_0ELb0ES3_jN6thrust23THRUST_200600_302600_NS6detail15normal_iteratorINSA_10device_ptrIxEEEEPS6_SG_NS0_5tupleIJSF_SF_EEENSH_IJSG_SG_EEES6_PlJ7is_evenIxEEEE10hipError_tPvRmT3_T4_T5_T6_T7_T9_mT8_P12ihipStream_tbDpT10_ENKUlT_T0_E_clISt17integral_constantIbLb0EES15_IbLb1EEEEDaS11_S12_EUlS11_E_NS1_11comp_targetILNS1_3genE0ELNS1_11target_archE4294967295ELNS1_3gpuE0ELNS1_3repE0EEENS1_30default_config_static_selectorELNS0_4arch9wavefront6targetE1EEEvT1_,"axG",@progbits,_ZN7rocprim17ROCPRIM_400000_NS6detail17trampoline_kernelINS0_14default_configENS1_25partition_config_selectorILNS1_17partition_subalgoE0ExNS0_10empty_typeEbEEZZNS1_14partition_implILS5_0ELb0ES3_jN6thrust23THRUST_200600_302600_NS6detail15normal_iteratorINSA_10device_ptrIxEEEEPS6_SG_NS0_5tupleIJSF_SF_EEENSH_IJSG_SG_EEES6_PlJ7is_evenIxEEEE10hipError_tPvRmT3_T4_T5_T6_T7_T9_mT8_P12ihipStream_tbDpT10_ENKUlT_T0_E_clISt17integral_constantIbLb0EES15_IbLb1EEEEDaS11_S12_EUlS11_E_NS1_11comp_targetILNS1_3genE0ELNS1_11target_archE4294967295ELNS1_3gpuE0ELNS1_3repE0EEENS1_30default_config_static_selectorELNS0_4arch9wavefront6targetE1EEEvT1_,comdat
	.protected	_ZN7rocprim17ROCPRIM_400000_NS6detail17trampoline_kernelINS0_14default_configENS1_25partition_config_selectorILNS1_17partition_subalgoE0ExNS0_10empty_typeEbEEZZNS1_14partition_implILS5_0ELb0ES3_jN6thrust23THRUST_200600_302600_NS6detail15normal_iteratorINSA_10device_ptrIxEEEEPS6_SG_NS0_5tupleIJSF_SF_EEENSH_IJSG_SG_EEES6_PlJ7is_evenIxEEEE10hipError_tPvRmT3_T4_T5_T6_T7_T9_mT8_P12ihipStream_tbDpT10_ENKUlT_T0_E_clISt17integral_constantIbLb0EES15_IbLb1EEEEDaS11_S12_EUlS11_E_NS1_11comp_targetILNS1_3genE0ELNS1_11target_archE4294967295ELNS1_3gpuE0ELNS1_3repE0EEENS1_30default_config_static_selectorELNS0_4arch9wavefront6targetE1EEEvT1_ ; -- Begin function _ZN7rocprim17ROCPRIM_400000_NS6detail17trampoline_kernelINS0_14default_configENS1_25partition_config_selectorILNS1_17partition_subalgoE0ExNS0_10empty_typeEbEEZZNS1_14partition_implILS5_0ELb0ES3_jN6thrust23THRUST_200600_302600_NS6detail15normal_iteratorINSA_10device_ptrIxEEEEPS6_SG_NS0_5tupleIJSF_SF_EEENSH_IJSG_SG_EEES6_PlJ7is_evenIxEEEE10hipError_tPvRmT3_T4_T5_T6_T7_T9_mT8_P12ihipStream_tbDpT10_ENKUlT_T0_E_clISt17integral_constantIbLb0EES15_IbLb1EEEEDaS11_S12_EUlS11_E_NS1_11comp_targetILNS1_3genE0ELNS1_11target_archE4294967295ELNS1_3gpuE0ELNS1_3repE0EEENS1_30default_config_static_selectorELNS0_4arch9wavefront6targetE1EEEvT1_
	.globl	_ZN7rocprim17ROCPRIM_400000_NS6detail17trampoline_kernelINS0_14default_configENS1_25partition_config_selectorILNS1_17partition_subalgoE0ExNS0_10empty_typeEbEEZZNS1_14partition_implILS5_0ELb0ES3_jN6thrust23THRUST_200600_302600_NS6detail15normal_iteratorINSA_10device_ptrIxEEEEPS6_SG_NS0_5tupleIJSF_SF_EEENSH_IJSG_SG_EEES6_PlJ7is_evenIxEEEE10hipError_tPvRmT3_T4_T5_T6_T7_T9_mT8_P12ihipStream_tbDpT10_ENKUlT_T0_E_clISt17integral_constantIbLb0EES15_IbLb1EEEEDaS11_S12_EUlS11_E_NS1_11comp_targetILNS1_3genE0ELNS1_11target_archE4294967295ELNS1_3gpuE0ELNS1_3repE0EEENS1_30default_config_static_selectorELNS0_4arch9wavefront6targetE1EEEvT1_
	.p2align	8
	.type	_ZN7rocprim17ROCPRIM_400000_NS6detail17trampoline_kernelINS0_14default_configENS1_25partition_config_selectorILNS1_17partition_subalgoE0ExNS0_10empty_typeEbEEZZNS1_14partition_implILS5_0ELb0ES3_jN6thrust23THRUST_200600_302600_NS6detail15normal_iteratorINSA_10device_ptrIxEEEEPS6_SG_NS0_5tupleIJSF_SF_EEENSH_IJSG_SG_EEES6_PlJ7is_evenIxEEEE10hipError_tPvRmT3_T4_T5_T6_T7_T9_mT8_P12ihipStream_tbDpT10_ENKUlT_T0_E_clISt17integral_constantIbLb0EES15_IbLb1EEEEDaS11_S12_EUlS11_E_NS1_11comp_targetILNS1_3genE0ELNS1_11target_archE4294967295ELNS1_3gpuE0ELNS1_3repE0EEENS1_30default_config_static_selectorELNS0_4arch9wavefront6targetE1EEEvT1_,@function
_ZN7rocprim17ROCPRIM_400000_NS6detail17trampoline_kernelINS0_14default_configENS1_25partition_config_selectorILNS1_17partition_subalgoE0ExNS0_10empty_typeEbEEZZNS1_14partition_implILS5_0ELb0ES3_jN6thrust23THRUST_200600_302600_NS6detail15normal_iteratorINSA_10device_ptrIxEEEEPS6_SG_NS0_5tupleIJSF_SF_EEENSH_IJSG_SG_EEES6_PlJ7is_evenIxEEEE10hipError_tPvRmT3_T4_T5_T6_T7_T9_mT8_P12ihipStream_tbDpT10_ENKUlT_T0_E_clISt17integral_constantIbLb0EES15_IbLb1EEEEDaS11_S12_EUlS11_E_NS1_11comp_targetILNS1_3genE0ELNS1_11target_archE4294967295ELNS1_3gpuE0ELNS1_3repE0EEENS1_30default_config_static_selectorELNS0_4arch9wavefront6targetE1EEEvT1_: ; @_ZN7rocprim17ROCPRIM_400000_NS6detail17trampoline_kernelINS0_14default_configENS1_25partition_config_selectorILNS1_17partition_subalgoE0ExNS0_10empty_typeEbEEZZNS1_14partition_implILS5_0ELb0ES3_jN6thrust23THRUST_200600_302600_NS6detail15normal_iteratorINSA_10device_ptrIxEEEEPS6_SG_NS0_5tupleIJSF_SF_EEENSH_IJSG_SG_EEES6_PlJ7is_evenIxEEEE10hipError_tPvRmT3_T4_T5_T6_T7_T9_mT8_P12ihipStream_tbDpT10_ENKUlT_T0_E_clISt17integral_constantIbLb0EES15_IbLb1EEEEDaS11_S12_EUlS11_E_NS1_11comp_targetILNS1_3genE0ELNS1_11target_archE4294967295ELNS1_3gpuE0ELNS1_3repE0EEENS1_30default_config_static_selectorELNS0_4arch9wavefront6targetE1EEEvT1_
; %bb.0:
	.section	.rodata,"a",@progbits
	.p2align	6, 0x0
	.amdhsa_kernel _ZN7rocprim17ROCPRIM_400000_NS6detail17trampoline_kernelINS0_14default_configENS1_25partition_config_selectorILNS1_17partition_subalgoE0ExNS0_10empty_typeEbEEZZNS1_14partition_implILS5_0ELb0ES3_jN6thrust23THRUST_200600_302600_NS6detail15normal_iteratorINSA_10device_ptrIxEEEEPS6_SG_NS0_5tupleIJSF_SF_EEENSH_IJSG_SG_EEES6_PlJ7is_evenIxEEEE10hipError_tPvRmT3_T4_T5_T6_T7_T9_mT8_P12ihipStream_tbDpT10_ENKUlT_T0_E_clISt17integral_constantIbLb0EES15_IbLb1EEEEDaS11_S12_EUlS11_E_NS1_11comp_targetILNS1_3genE0ELNS1_11target_archE4294967295ELNS1_3gpuE0ELNS1_3repE0EEENS1_30default_config_static_selectorELNS0_4arch9wavefront6targetE1EEEvT1_
		.amdhsa_group_segment_fixed_size 0
		.amdhsa_private_segment_fixed_size 0
		.amdhsa_kernarg_size 136
		.amdhsa_user_sgpr_count 2
		.amdhsa_user_sgpr_dispatch_ptr 0
		.amdhsa_user_sgpr_queue_ptr 0
		.amdhsa_user_sgpr_kernarg_segment_ptr 1
		.amdhsa_user_sgpr_dispatch_id 0
		.amdhsa_user_sgpr_kernarg_preload_length 0
		.amdhsa_user_sgpr_kernarg_preload_offset 0
		.amdhsa_user_sgpr_private_segment_size 0
		.amdhsa_uses_dynamic_stack 0
		.amdhsa_enable_private_segment 0
		.amdhsa_system_sgpr_workgroup_id_x 1
		.amdhsa_system_sgpr_workgroup_id_y 0
		.amdhsa_system_sgpr_workgroup_id_z 0
		.amdhsa_system_sgpr_workgroup_info 0
		.amdhsa_system_vgpr_workitem_id 0
		.amdhsa_next_free_vgpr 1
		.amdhsa_next_free_sgpr 0
		.amdhsa_accum_offset 4
		.amdhsa_reserve_vcc 0
		.amdhsa_float_round_mode_32 0
		.amdhsa_float_round_mode_16_64 0
		.amdhsa_float_denorm_mode_32 3
		.amdhsa_float_denorm_mode_16_64 3
		.amdhsa_dx10_clamp 1
		.amdhsa_ieee_mode 1
		.amdhsa_fp16_overflow 0
		.amdhsa_tg_split 0
		.amdhsa_exception_fp_ieee_invalid_op 0
		.amdhsa_exception_fp_denorm_src 0
		.amdhsa_exception_fp_ieee_div_zero 0
		.amdhsa_exception_fp_ieee_overflow 0
		.amdhsa_exception_fp_ieee_underflow 0
		.amdhsa_exception_fp_ieee_inexact 0
		.amdhsa_exception_int_div_zero 0
	.end_amdhsa_kernel
	.section	.text._ZN7rocprim17ROCPRIM_400000_NS6detail17trampoline_kernelINS0_14default_configENS1_25partition_config_selectorILNS1_17partition_subalgoE0ExNS0_10empty_typeEbEEZZNS1_14partition_implILS5_0ELb0ES3_jN6thrust23THRUST_200600_302600_NS6detail15normal_iteratorINSA_10device_ptrIxEEEEPS6_SG_NS0_5tupleIJSF_SF_EEENSH_IJSG_SG_EEES6_PlJ7is_evenIxEEEE10hipError_tPvRmT3_T4_T5_T6_T7_T9_mT8_P12ihipStream_tbDpT10_ENKUlT_T0_E_clISt17integral_constantIbLb0EES15_IbLb1EEEEDaS11_S12_EUlS11_E_NS1_11comp_targetILNS1_3genE0ELNS1_11target_archE4294967295ELNS1_3gpuE0ELNS1_3repE0EEENS1_30default_config_static_selectorELNS0_4arch9wavefront6targetE1EEEvT1_,"axG",@progbits,_ZN7rocprim17ROCPRIM_400000_NS6detail17trampoline_kernelINS0_14default_configENS1_25partition_config_selectorILNS1_17partition_subalgoE0ExNS0_10empty_typeEbEEZZNS1_14partition_implILS5_0ELb0ES3_jN6thrust23THRUST_200600_302600_NS6detail15normal_iteratorINSA_10device_ptrIxEEEEPS6_SG_NS0_5tupleIJSF_SF_EEENSH_IJSG_SG_EEES6_PlJ7is_evenIxEEEE10hipError_tPvRmT3_T4_T5_T6_T7_T9_mT8_P12ihipStream_tbDpT10_ENKUlT_T0_E_clISt17integral_constantIbLb0EES15_IbLb1EEEEDaS11_S12_EUlS11_E_NS1_11comp_targetILNS1_3genE0ELNS1_11target_archE4294967295ELNS1_3gpuE0ELNS1_3repE0EEENS1_30default_config_static_selectorELNS0_4arch9wavefront6targetE1EEEvT1_,comdat
.Lfunc_end313:
	.size	_ZN7rocprim17ROCPRIM_400000_NS6detail17trampoline_kernelINS0_14default_configENS1_25partition_config_selectorILNS1_17partition_subalgoE0ExNS0_10empty_typeEbEEZZNS1_14partition_implILS5_0ELb0ES3_jN6thrust23THRUST_200600_302600_NS6detail15normal_iteratorINSA_10device_ptrIxEEEEPS6_SG_NS0_5tupleIJSF_SF_EEENSH_IJSG_SG_EEES6_PlJ7is_evenIxEEEE10hipError_tPvRmT3_T4_T5_T6_T7_T9_mT8_P12ihipStream_tbDpT10_ENKUlT_T0_E_clISt17integral_constantIbLb0EES15_IbLb1EEEEDaS11_S12_EUlS11_E_NS1_11comp_targetILNS1_3genE0ELNS1_11target_archE4294967295ELNS1_3gpuE0ELNS1_3repE0EEENS1_30default_config_static_selectorELNS0_4arch9wavefront6targetE1EEEvT1_, .Lfunc_end313-_ZN7rocprim17ROCPRIM_400000_NS6detail17trampoline_kernelINS0_14default_configENS1_25partition_config_selectorILNS1_17partition_subalgoE0ExNS0_10empty_typeEbEEZZNS1_14partition_implILS5_0ELb0ES3_jN6thrust23THRUST_200600_302600_NS6detail15normal_iteratorINSA_10device_ptrIxEEEEPS6_SG_NS0_5tupleIJSF_SF_EEENSH_IJSG_SG_EEES6_PlJ7is_evenIxEEEE10hipError_tPvRmT3_T4_T5_T6_T7_T9_mT8_P12ihipStream_tbDpT10_ENKUlT_T0_E_clISt17integral_constantIbLb0EES15_IbLb1EEEEDaS11_S12_EUlS11_E_NS1_11comp_targetILNS1_3genE0ELNS1_11target_archE4294967295ELNS1_3gpuE0ELNS1_3repE0EEENS1_30default_config_static_selectorELNS0_4arch9wavefront6targetE1EEEvT1_
                                        ; -- End function
	.section	.AMDGPU.csdata,"",@progbits
; Kernel info:
; codeLenInByte = 0
; NumSgprs: 6
; NumVgprs: 0
; NumAgprs: 0
; TotalNumVgprs: 0
; ScratchSize: 0
; MemoryBound: 0
; FloatMode: 240
; IeeeMode: 1
; LDSByteSize: 0 bytes/workgroup (compile time only)
; SGPRBlocks: 0
; VGPRBlocks: 0
; NumSGPRsForWavesPerEU: 6
; NumVGPRsForWavesPerEU: 1
; AccumOffset: 4
; Occupancy: 8
; WaveLimiterHint : 0
; COMPUTE_PGM_RSRC2:SCRATCH_EN: 0
; COMPUTE_PGM_RSRC2:USER_SGPR: 2
; COMPUTE_PGM_RSRC2:TRAP_HANDLER: 0
; COMPUTE_PGM_RSRC2:TGID_X_EN: 1
; COMPUTE_PGM_RSRC2:TGID_Y_EN: 0
; COMPUTE_PGM_RSRC2:TGID_Z_EN: 0
; COMPUTE_PGM_RSRC2:TIDIG_COMP_CNT: 0
; COMPUTE_PGM_RSRC3_GFX90A:ACCUM_OFFSET: 0
; COMPUTE_PGM_RSRC3_GFX90A:TG_SPLIT: 0
	.section	.text._ZN7rocprim17ROCPRIM_400000_NS6detail17trampoline_kernelINS0_14default_configENS1_25partition_config_selectorILNS1_17partition_subalgoE0ExNS0_10empty_typeEbEEZZNS1_14partition_implILS5_0ELb0ES3_jN6thrust23THRUST_200600_302600_NS6detail15normal_iteratorINSA_10device_ptrIxEEEEPS6_SG_NS0_5tupleIJSF_SF_EEENSH_IJSG_SG_EEES6_PlJ7is_evenIxEEEE10hipError_tPvRmT3_T4_T5_T6_T7_T9_mT8_P12ihipStream_tbDpT10_ENKUlT_T0_E_clISt17integral_constantIbLb0EES15_IbLb1EEEEDaS11_S12_EUlS11_E_NS1_11comp_targetILNS1_3genE5ELNS1_11target_archE942ELNS1_3gpuE9ELNS1_3repE0EEENS1_30default_config_static_selectorELNS0_4arch9wavefront6targetE1EEEvT1_,"axG",@progbits,_ZN7rocprim17ROCPRIM_400000_NS6detail17trampoline_kernelINS0_14default_configENS1_25partition_config_selectorILNS1_17partition_subalgoE0ExNS0_10empty_typeEbEEZZNS1_14partition_implILS5_0ELb0ES3_jN6thrust23THRUST_200600_302600_NS6detail15normal_iteratorINSA_10device_ptrIxEEEEPS6_SG_NS0_5tupleIJSF_SF_EEENSH_IJSG_SG_EEES6_PlJ7is_evenIxEEEE10hipError_tPvRmT3_T4_T5_T6_T7_T9_mT8_P12ihipStream_tbDpT10_ENKUlT_T0_E_clISt17integral_constantIbLb0EES15_IbLb1EEEEDaS11_S12_EUlS11_E_NS1_11comp_targetILNS1_3genE5ELNS1_11target_archE942ELNS1_3gpuE9ELNS1_3repE0EEENS1_30default_config_static_selectorELNS0_4arch9wavefront6targetE1EEEvT1_,comdat
	.protected	_ZN7rocprim17ROCPRIM_400000_NS6detail17trampoline_kernelINS0_14default_configENS1_25partition_config_selectorILNS1_17partition_subalgoE0ExNS0_10empty_typeEbEEZZNS1_14partition_implILS5_0ELb0ES3_jN6thrust23THRUST_200600_302600_NS6detail15normal_iteratorINSA_10device_ptrIxEEEEPS6_SG_NS0_5tupleIJSF_SF_EEENSH_IJSG_SG_EEES6_PlJ7is_evenIxEEEE10hipError_tPvRmT3_T4_T5_T6_T7_T9_mT8_P12ihipStream_tbDpT10_ENKUlT_T0_E_clISt17integral_constantIbLb0EES15_IbLb1EEEEDaS11_S12_EUlS11_E_NS1_11comp_targetILNS1_3genE5ELNS1_11target_archE942ELNS1_3gpuE9ELNS1_3repE0EEENS1_30default_config_static_selectorELNS0_4arch9wavefront6targetE1EEEvT1_ ; -- Begin function _ZN7rocprim17ROCPRIM_400000_NS6detail17trampoline_kernelINS0_14default_configENS1_25partition_config_selectorILNS1_17partition_subalgoE0ExNS0_10empty_typeEbEEZZNS1_14partition_implILS5_0ELb0ES3_jN6thrust23THRUST_200600_302600_NS6detail15normal_iteratorINSA_10device_ptrIxEEEEPS6_SG_NS0_5tupleIJSF_SF_EEENSH_IJSG_SG_EEES6_PlJ7is_evenIxEEEE10hipError_tPvRmT3_T4_T5_T6_T7_T9_mT8_P12ihipStream_tbDpT10_ENKUlT_T0_E_clISt17integral_constantIbLb0EES15_IbLb1EEEEDaS11_S12_EUlS11_E_NS1_11comp_targetILNS1_3genE5ELNS1_11target_archE942ELNS1_3gpuE9ELNS1_3repE0EEENS1_30default_config_static_selectorELNS0_4arch9wavefront6targetE1EEEvT1_
	.globl	_ZN7rocprim17ROCPRIM_400000_NS6detail17trampoline_kernelINS0_14default_configENS1_25partition_config_selectorILNS1_17partition_subalgoE0ExNS0_10empty_typeEbEEZZNS1_14partition_implILS5_0ELb0ES3_jN6thrust23THRUST_200600_302600_NS6detail15normal_iteratorINSA_10device_ptrIxEEEEPS6_SG_NS0_5tupleIJSF_SF_EEENSH_IJSG_SG_EEES6_PlJ7is_evenIxEEEE10hipError_tPvRmT3_T4_T5_T6_T7_T9_mT8_P12ihipStream_tbDpT10_ENKUlT_T0_E_clISt17integral_constantIbLb0EES15_IbLb1EEEEDaS11_S12_EUlS11_E_NS1_11comp_targetILNS1_3genE5ELNS1_11target_archE942ELNS1_3gpuE9ELNS1_3repE0EEENS1_30default_config_static_selectorELNS0_4arch9wavefront6targetE1EEEvT1_
	.p2align	8
	.type	_ZN7rocprim17ROCPRIM_400000_NS6detail17trampoline_kernelINS0_14default_configENS1_25partition_config_selectorILNS1_17partition_subalgoE0ExNS0_10empty_typeEbEEZZNS1_14partition_implILS5_0ELb0ES3_jN6thrust23THRUST_200600_302600_NS6detail15normal_iteratorINSA_10device_ptrIxEEEEPS6_SG_NS0_5tupleIJSF_SF_EEENSH_IJSG_SG_EEES6_PlJ7is_evenIxEEEE10hipError_tPvRmT3_T4_T5_T6_T7_T9_mT8_P12ihipStream_tbDpT10_ENKUlT_T0_E_clISt17integral_constantIbLb0EES15_IbLb1EEEEDaS11_S12_EUlS11_E_NS1_11comp_targetILNS1_3genE5ELNS1_11target_archE942ELNS1_3gpuE9ELNS1_3repE0EEENS1_30default_config_static_selectorELNS0_4arch9wavefront6targetE1EEEvT1_,@function
_ZN7rocprim17ROCPRIM_400000_NS6detail17trampoline_kernelINS0_14default_configENS1_25partition_config_selectorILNS1_17partition_subalgoE0ExNS0_10empty_typeEbEEZZNS1_14partition_implILS5_0ELb0ES3_jN6thrust23THRUST_200600_302600_NS6detail15normal_iteratorINSA_10device_ptrIxEEEEPS6_SG_NS0_5tupleIJSF_SF_EEENSH_IJSG_SG_EEES6_PlJ7is_evenIxEEEE10hipError_tPvRmT3_T4_T5_T6_T7_T9_mT8_P12ihipStream_tbDpT10_ENKUlT_T0_E_clISt17integral_constantIbLb0EES15_IbLb1EEEEDaS11_S12_EUlS11_E_NS1_11comp_targetILNS1_3genE5ELNS1_11target_archE942ELNS1_3gpuE9ELNS1_3repE0EEENS1_30default_config_static_selectorELNS0_4arch9wavefront6targetE1EEEvT1_: ; @_ZN7rocprim17ROCPRIM_400000_NS6detail17trampoline_kernelINS0_14default_configENS1_25partition_config_selectorILNS1_17partition_subalgoE0ExNS0_10empty_typeEbEEZZNS1_14partition_implILS5_0ELb0ES3_jN6thrust23THRUST_200600_302600_NS6detail15normal_iteratorINSA_10device_ptrIxEEEEPS6_SG_NS0_5tupleIJSF_SF_EEENSH_IJSG_SG_EEES6_PlJ7is_evenIxEEEE10hipError_tPvRmT3_T4_T5_T6_T7_T9_mT8_P12ihipStream_tbDpT10_ENKUlT_T0_E_clISt17integral_constantIbLb0EES15_IbLb1EEEEDaS11_S12_EUlS11_E_NS1_11comp_targetILNS1_3genE5ELNS1_11target_archE942ELNS1_3gpuE9ELNS1_3repE0EEENS1_30default_config_static_selectorELNS0_4arch9wavefront6targetE1EEEvT1_
; %bb.0:
	s_load_dwordx2 s[2:3], s[0:1], 0x58
	s_load_dwordx4 s[24:27], s[0:1], 0x48
	s_load_dwordx2 s[34:35], s[0:1], 0x68
	v_cmp_eq_u32_e64 s[20:21], 0, v0
	s_and_saveexec_b64 s[4:5], s[20:21]
	s_cbranch_execz .LBB314_4
; %bb.1:
	s_mov_b64 s[8:9], exec
	v_mbcnt_lo_u32_b32 v1, s8, 0
	v_mbcnt_hi_u32_b32 v1, s9, v1
	v_cmp_eq_u32_e32 vcc, 0, v1
                                        ; implicit-def: $vgpr2
	s_and_saveexec_b64 s[6:7], vcc
	s_cbranch_execz .LBB314_3
; %bb.2:
	s_load_dwordx2 s[10:11], s[0:1], 0x78
	s_bcnt1_i32_b64 s8, s[8:9]
	v_mov_b32_e32 v2, 0
	v_mov_b32_e32 v3, s8
	s_waitcnt lgkmcnt(0)
	global_atomic_add v2, v2, v3, s[10:11] sc0
.LBB314_3:
	s_or_b64 exec, exec, s[6:7]
	s_waitcnt vmcnt(0)
	v_readfirstlane_b32 s6, v2
	v_mov_b32_e32 v2, 0
	s_nop 0
	v_add_u32_e32 v1, s6, v1
	ds_write_b32 v2, v1
.LBB314_4:
	s_or_b64 exec, exec, s[4:5]
	v_mov_b32_e32 v19, 0
	s_load_dwordx4 s[36:39], s[0:1], 0x8
	s_load_dwordx4 s[28:31], s[0:1], 0x28
	s_load_dword s4, s[0:1], 0x70
	s_waitcnt lgkmcnt(0)
	s_barrier
	ds_read_b32 v1, v19
	s_waitcnt lgkmcnt(0)
	s_barrier
	global_load_dwordx2 v[20:21], v19, s[26:27]
	v_mov_b32_e32 v3, s3
	s_lshl_b64 s[0:1], s[38:39], 3
	s_movk_i32 s3, 0xe00
	s_add_u32 s0, s36, s0
	v_mul_lo_u32 v18, v1, s3
	s_mul_i32 s3, s4, 0xe00
	s_addc_u32 s1, s37, s1
	s_add_i32 s5, s4, -1
	s_add_i32 s4, s3, s38
	s_sub_i32 s33, s2, s4
	s_addk_i32 s33, 0xe00
	v_mov_b32_e32 v2, s2
	s_add_u32 s2, s38, s3
	v_readfirstlane_b32 s40, v1
	s_addc_u32 s3, s39, 0
	s_cmp_eq_u32 s40, s5
	s_cselect_b64 s[22:23], -1, 0
	s_cmp_lg_u32 s40, s5
	v_cmp_lt_u64_e32 vcc, s[2:3], v[2:3]
	s_cselect_b64 s[2:3], -1, 0
	s_or_b64 s[4:5], vcc, s[2:3]
	v_lshlrev_b64 v[22:23], 3, v[18:19]
	v_lshl_add_u64 v[24:25], s[0:1], 0, v[22:23]
	s_mov_b64 s[0:1], -1
	s_and_b64 vcc, exec, s[4:5]
	v_lshlrev_b32_e32 v18, 3, v0
	s_cbranch_vccz .LBB314_6
; %bb.5:
	v_lshl_add_u64 v[2:3], v[24:25], 0, v[18:19]
	v_add_co_u32_e32 v4, vcc, 0x1000, v2
	s_mov_b64 s[0:1], 0
	s_nop 0
	v_addc_co_u32_e32 v5, vcc, 0, v3, vcc
	v_add_co_u32_e32 v6, vcc, 0x2000, v2
	s_nop 1
	v_addc_co_u32_e32 v7, vcc, 0, v3, vcc
	v_add_co_u32_e32 v8, vcc, 0x3000, v2
	s_nop 1
	v_addc_co_u32_e32 v9, vcc, 0, v3, vcc
	flat_load_dwordx2 v[10:11], v[2:3]
	flat_load_dwordx2 v[12:13], v[4:5]
	;; [unrolled: 1-line block ×4, first 2 shown]
	v_add_co_u32_e32 v4, vcc, 0x4000, v2
	s_nop 1
	v_addc_co_u32_e32 v5, vcc, 0, v3, vcc
	v_add_co_u32_e32 v6, vcc, 0x5000, v2
	s_nop 1
	v_addc_co_u32_e32 v7, vcc, 0, v3, vcc
	;; [unrolled: 3-line block ×3, first 2 shown]
	flat_load_dwordx2 v[8:9], v[4:5]
	flat_load_dwordx2 v[26:27], v[6:7]
	;; [unrolled: 1-line block ×3, first 2 shown]
	s_waitcnt vmcnt(0) lgkmcnt(0)
	ds_write2st64_b64 v18, v[10:11], v[12:13] offset1:8
	ds_write2st64_b64 v18, v[14:15], v[16:17] offset0:16 offset1:24
	ds_write2st64_b64 v18, v[8:9], v[26:27] offset0:32 offset1:40
	ds_write_b64 v18, v[28:29] offset:24576
	s_waitcnt lgkmcnt(0)
	s_barrier
.LBB314_6:
	s_andn2_b64 vcc, exec, s[0:1]
	v_cmp_gt_u32_e64 s[0:1], s33, v0
	s_cbranch_vccnz .LBB314_22
; %bb.7:
                                        ; implicit-def: $vgpr2_vgpr3_vgpr4_vgpr5_vgpr6_vgpr7_vgpr8_vgpr9_vgpr10_vgpr11_vgpr12_vgpr13_vgpr14_vgpr15_vgpr16_vgpr17
	s_and_saveexec_b64 s[2:3], s[0:1]
	s_cbranch_execz .LBB314_9
; %bb.8:
	v_mov_b32_e32 v19, 0
	v_lshl_add_u64 v[2:3], v[24:25], 0, v[18:19]
	flat_load_dwordx2 v[2:3], v[2:3]
.LBB314_9:
	s_or_b64 exec, exec, s[2:3]
	v_or_b32_e32 v1, 0x200, v0
	v_cmp_gt_u32_e32 vcc, s33, v1
	s_and_saveexec_b64 s[0:1], vcc
	s_cbranch_execz .LBB314_11
; %bb.10:
	v_lshlrev_b32_e32 v4, 3, v1
	v_mov_b32_e32 v5, 0
	v_lshl_add_u64 v[4:5], v[24:25], 0, v[4:5]
	flat_load_dwordx2 v[4:5], v[4:5]
.LBB314_11:
	s_or_b64 exec, exec, s[0:1]
	v_or_b32_e32 v1, 0x400, v0
	v_cmp_gt_u32_e32 vcc, s33, v1
	s_and_saveexec_b64 s[0:1], vcc
	s_cbranch_execz .LBB314_13
; %bb.12:
	v_lshlrev_b32_e32 v6, 3, v1
	v_mov_b32_e32 v7, 0
	v_lshl_add_u64 v[6:7], v[24:25], 0, v[6:7]
	flat_load_dwordx2 v[6:7], v[6:7]
.LBB314_13:
	;; [unrolled: 11-line block ×6, first 2 shown]
	s_or_b64 exec, exec, s[0:1]
	s_waitcnt vmcnt(0) lgkmcnt(0)
	ds_write2st64_b64 v18, v[2:3], v[4:5] offset1:8
	ds_write2st64_b64 v18, v[6:7], v[8:9] offset0:16 offset1:24
	ds_write2st64_b64 v18, v[10:11], v[12:13] offset0:32 offset1:40
	ds_write_b64 v18, v[14:15] offset:24576
	s_waitcnt lgkmcnt(0)
	s_barrier
.LBB314_22:
	v_mul_u32_u24_e32 v1, 7, v0
	v_lshlrev_b32_e32 v36, 3, v1
	ds_read2_b64 v[10:13], v36 offset1:1
	ds_read2_b64 v[6:9], v36 offset0:2 offset1:3
	ds_read2_b64 v[2:5], v36 offset0:4 offset1:5
	ds_read_b64 v[14:15], v36 offset:48
	v_cndmask_b32_e64 v16, 0, 1, s[4:5]
	v_cmp_ne_u32_e64 s[2:3], 1, v16
	s_andn2_b64 vcc, exec, s[4:5]
	s_waitcnt lgkmcnt(3)
	v_xor_b32_e32 v28, -1, v10
	v_xor_b32_e32 v27, -1, v12
	s_waitcnt lgkmcnt(2)
	v_xor_b32_e32 v26, -1, v6
	v_xor_b32_e32 v25, -1, v8
	;; [unrolled: 3-line block ×3, first 2 shown]
	s_waitcnt lgkmcnt(0)
	v_xor_b32_e32 v16, -1, v14
	s_barrier
	s_cbranch_vccnz .LBB314_24
; %bb.23:
	v_mov_b32_e32 v19, 1
	v_and_b32_e32 v29, 1, v28
	v_and_b32_sdwa v30, v27, v19 dst_sel:BYTE_1 dst_unused:UNUSED_PAD src0_sel:DWORD src1_sel:DWORD
	v_and_b32_e32 v31, 1, v26
	v_and_b32_sdwa v34, v25, v19 dst_sel:BYTE_1 dst_unused:UNUSED_PAD src0_sel:DWORD src1_sel:DWORD
	v_or_b32_e32 v29, v29, v30
	v_or_b32_sdwa v30, v31, v34 dst_sel:WORD_1 dst_unused:UNUSED_PAD src0_sel:DWORD src1_sel:DWORD
	v_and_b32_e32 v33, 1, v24
	v_and_b32_e32 v32, 1, v17
	;; [unrolled: 1-line block ×3, first 2 shown]
	v_or_b32_sdwa v34, v29, v30 dst_sel:DWORD dst_unused:UNUSED_PAD src0_sel:WORD_0 src1_sel:DWORD
	s_cbranch_execz .LBB314_25
	s_branch .LBB314_26
.LBB314_24:
                                        ; implicit-def: $vgpr19
                                        ; implicit-def: $vgpr32
                                        ; implicit-def: $vgpr33
                                        ; implicit-def: $vgpr34
.LBB314_25:
	v_add_u32_e32 v19, 1, v1
	v_cmp_gt_u32_e32 vcc, s33, v1
	v_add_u32_e32 v29, 2, v1
	v_add_u32_e32 v30, 3, v1
	v_cndmask_b32_e64 v33, 0, 1, vcc
	v_cmp_gt_u32_e32 vcc, s33, v19
	v_add_u32_e32 v31, 4, v1
	v_add_u32_e32 v32, 5, v1
	v_cndmask_b32_e64 v19, 0, 1, vcc
	v_cmp_gt_u32_e32 vcc, s33, v29
	v_and_b32_sdwa v27, v19, v27 dst_sel:BYTE_1 dst_unused:UNUSED_PAD src0_sel:DWORD src1_sel:DWORD
	v_add_u32_e32 v34, 6, v1
	v_cndmask_b32_e64 v19, 0, 1, vcc
	v_cmp_gt_u32_e32 vcc, s33, v30
	v_and_b32_e32 v26, v19, v26
	v_and_b32_e32 v28, v33, v28
	v_cndmask_b32_e64 v19, 0, 1, vcc
	v_cmp_gt_u32_e32 vcc, s33, v31
	v_and_b32_sdwa v25, v19, v25 dst_sel:BYTE_1 dst_unused:UNUSED_PAD src0_sel:DWORD src1_sel:DWORD
	s_nop 0
	v_cndmask_b32_e64 v19, 0, 1, vcc
	v_cmp_gt_u32_e32 vcc, s33, v32
	v_and_b32_e32 v33, v19, v24
	s_nop 0
	v_cndmask_b32_e64 v19, 0, 1, vcc
	v_cmp_gt_u32_e32 vcc, s33, v34
	v_and_b32_e32 v32, v19, v17
	s_nop 0
	v_cndmask_b32_e64 v17, 0, 1, vcc
	v_and_b32_e32 v19, v17, v16
	v_or_b32_e32 v16, v28, v27
	v_or_b32_sdwa v17, v26, v25 dst_sel:WORD_1 dst_unused:UNUSED_PAD src0_sel:DWORD src1_sel:DWORD
	s_nop 0
	v_or_b32_sdwa v34, v16, v17 dst_sel:DWORD dst_unused:UNUSED_PAD src0_sel:WORD_0 src1_sel:DWORD
.LBB314_26:
	v_and_b32_e32 v37, 0xff, v34
	v_bfe_u32 v38, v34, 8, 8
	v_bfe_u32 v39, v34, 16, 8
	v_lshrrev_b32_e32 v35, 24, v34
	v_and_b32_e32 v40, 0xff, v33
	v_add3_u32 v17, v38, v37, v39
	v_and_b32_e32 v41, 0xff, v32
	v_and_b32_e32 v16, 0xff, v19
	v_add3_u32 v17, v17, v35, v40
	v_add3_u32 v44, v17, v41, v16
	v_mbcnt_lo_u32_b32 v16, -1, 0
	v_mbcnt_hi_u32_b32 v42, -1, v16
	v_and_b32_e32 v16, 15, v42
	v_cmp_eq_u32_e64 s[16:17], 0, v16
	v_cmp_lt_u32_e64 s[14:15], 1, v16
	v_cmp_lt_u32_e64 s[12:13], 3, v16
	v_cmp_lt_u32_e64 s[10:11], 7, v16
	v_and_b32_e32 v16, 16, v42
	v_cmp_eq_u32_e64 s[8:9], 0, v16
	v_or_b32_e32 v16, 63, v0
	s_cmp_lg_u32 s40, 0
	v_cmp_lt_u32_e64 s[4:5], 31, v42
	v_lshrrev_b32_e32 v43, 6, v0
	v_cmp_eq_u32_e64 s[6:7], v16, v0
	s_cbranch_scc0 .LBB314_53
; %bb.27:
	v_mov_b32_dpp v16, v44 row_shr:1 row_mask:0xf bank_mask:0xf
	v_cndmask_b32_e64 v16, v16, 0, s[16:17]
	v_add_u32_e32 v16, v16, v44
	s_nop 1
	v_mov_b32_dpp v17, v16 row_shr:2 row_mask:0xf bank_mask:0xf
	v_cndmask_b32_e64 v17, 0, v17, s[14:15]
	v_add_u32_e32 v16, v16, v17
	s_nop 1
	;; [unrolled: 4-line block ×4, first 2 shown]
	v_mov_b32_dpp v17, v16 row_bcast:15 row_mask:0xf bank_mask:0xf
	v_cndmask_b32_e64 v17, v17, 0, s[8:9]
	v_add_u32_e32 v16, v16, v17
	s_nop 1
	v_mov_b32_dpp v17, v16 row_bcast:31 row_mask:0xf bank_mask:0xf
	v_cndmask_b32_e64 v17, 0, v17, s[4:5]
	v_add_u32_e32 v16, v16, v17
	s_and_saveexec_b64 s[0:1], s[6:7]
	s_cbranch_execz .LBB314_29
; %bb.28:
	v_lshlrev_b32_e32 v17, 2, v43
	ds_write_b32 v17, v16
.LBB314_29:
	s_or_b64 exec, exec, s[0:1]
	v_cmp_gt_u32_e32 vcc, 8, v0
	s_waitcnt lgkmcnt(0)
	s_barrier
	s_and_saveexec_b64 s[0:1], vcc
	s_cbranch_execz .LBB314_31
; %bb.30:
	v_lshlrev_b32_e32 v17, 2, v0
	ds_read_b32 v24, v17
	v_and_b32_e32 v25, 7, v42
	v_cmp_ne_u32_e32 vcc, 0, v25
	s_waitcnt lgkmcnt(0)
	v_mov_b32_dpp v26, v24 row_shr:1 row_mask:0xf bank_mask:0xf
	v_cndmask_b32_e32 v26, 0, v26, vcc
	v_add_u32_e32 v24, v26, v24
	v_cmp_lt_u32_e32 vcc, 1, v25
	s_nop 0
	v_mov_b32_dpp v26, v24 row_shr:2 row_mask:0xf bank_mask:0xf
	v_cndmask_b32_e32 v26, 0, v26, vcc
	v_add_u32_e32 v24, v24, v26
	v_cmp_lt_u32_e32 vcc, 3, v25
	s_nop 0
	v_mov_b32_dpp v26, v24 row_shr:4 row_mask:0xf bank_mask:0xf
	v_cndmask_b32_e32 v25, 0, v26, vcc
	v_add_u32_e32 v24, v24, v25
	ds_write_b32 v17, v24
.LBB314_31:
	s_or_b64 exec, exec, s[0:1]
	v_cmp_gt_u32_e32 vcc, 64, v0
	v_cmp_lt_u32_e64 s[0:1], 63, v0
	s_waitcnt lgkmcnt(0)
	s_barrier
	s_waitcnt lgkmcnt(0)
                                        ; implicit-def: $vgpr45
	s_and_saveexec_b64 s[18:19], s[0:1]
	s_cbranch_execz .LBB314_33
; %bb.32:
	v_lshl_add_u32 v17, v43, 2, -4
	ds_read_b32 v45, v17
	s_waitcnt lgkmcnt(0)
	v_add_u32_e32 v16, v45, v16
.LBB314_33:
	s_or_b64 exec, exec, s[18:19]
	v_add_u32_e32 v17, -1, v42
	v_and_b32_e32 v24, 64, v42
	v_cmp_lt_i32_e64 s[0:1], v17, v24
	v_cmp_eq_u32_e64 s[18:19], 0, v42
	s_nop 0
	v_cndmask_b32_e64 v17, v17, v42, s[0:1]
	v_lshlrev_b32_e32 v17, 2, v17
	ds_bpermute_b32 v46, v17, v16
	s_and_saveexec_b64 s[0:1], vcc
	s_cbranch_execz .LBB314_52
; %bb.34:
	v_mov_b32_e32 v29, 0
	ds_read_b32 v16, v29 offset:28
	s_and_saveexec_b64 s[26:27], s[18:19]
	s_cbranch_execz .LBB314_36
; %bb.35:
	s_add_i32 s36, s40, 64
	s_mov_b32 s37, 0
	s_lshl_b64 s[36:37], s[36:37], 3
	s_add_u32 s36, s34, s36
	v_mov_b32_e32 v17, 1
	s_addc_u32 s37, s35, s37
	s_waitcnt lgkmcnt(0)
	global_store_dwordx2 v29, v[16:17], s[36:37] sc1
.LBB314_36:
	s_or_b64 exec, exec, s[26:27]
	v_xad_u32 v24, v42, -1, s40
	v_add_u32_e32 v28, 64, v24
	v_lshl_add_u64 v[30:31], v[28:29], 3, s[34:35]
	global_load_dwordx2 v[26:27], v[30:31], off sc1
	s_waitcnt vmcnt(0)
	v_cmp_eq_u16_sdwa s[36:37], v27, v29 src0_sel:BYTE_0 src1_sel:DWORD
	s_and_saveexec_b64 s[26:27], s[36:37]
	s_cbranch_execz .LBB314_40
; %bb.37:
	s_mov_b64 s[36:37], 0
	v_mov_b32_e32 v17, 0
.LBB314_38:                             ; =>This Inner Loop Header: Depth=1
	global_load_dwordx2 v[26:27], v[30:31], off sc1
	s_waitcnt vmcnt(0)
	v_cmp_ne_u16_sdwa s[42:43], v27, v17 src0_sel:BYTE_0 src1_sel:DWORD
	s_or_b64 s[36:37], s[42:43], s[36:37]
	s_andn2_b64 exec, exec, s[36:37]
	s_cbranch_execnz .LBB314_38
; %bb.39:
	s_or_b64 exec, exec, s[36:37]
.LBB314_40:
	s_or_b64 exec, exec, s[26:27]
	v_and_b32_e32 v48, 63, v42
	v_mov_b32_e32 v47, 2
	v_cmp_ne_u32_e32 vcc, 63, v48
	v_cmp_eq_u16_sdwa s[26:27], v27, v47 src0_sel:BYTE_0 src1_sel:DWORD
	v_lshlrev_b64 v[28:29], v42, -1
	v_addc_co_u32_e32 v30, vcc, 0, v42, vcc
	v_and_b32_e32 v17, s27, v29
	v_lshlrev_b32_e32 v49, 2, v30
	v_or_b32_e32 v17, 0x80000000, v17
	ds_bpermute_b32 v30, v49, v26
	v_and_b32_e32 v25, s26, v28
	v_ffbl_b32_e32 v17, v17
	v_add_u32_e32 v17, 32, v17
	v_ffbl_b32_e32 v25, v25
	v_min_u32_e32 v17, v25, v17
	v_cmp_lt_u32_e32 vcc, v48, v17
	v_add_u32_e32 v51, 2, v48
	v_add_u32_e32 v53, 4, v48
	s_waitcnt lgkmcnt(0)
	v_cndmask_b32_e32 v25, 0, v30, vcc
	v_cmp_gt_u32_e32 vcc, 62, v48
	v_add_u32_e32 v25, v25, v26
	v_add_u32_e32 v55, 8, v48
	v_cndmask_b32_e64 v26, 0, 1, vcc
	v_lshlrev_b32_e32 v26, 1, v26
	v_add_lshl_u32 v50, v26, v42, 2
	ds_bpermute_b32 v26, v50, v25
	v_cmp_le_u32_e32 vcc, v51, v17
	v_add_u32_e32 v57, 16, v48
	v_add_u32_e32 v59, 32, v48
	s_waitcnt lgkmcnt(0)
	v_cndmask_b32_e32 v26, 0, v26, vcc
	v_cmp_gt_u32_e32 vcc, 60, v48
	v_add_u32_e32 v25, v25, v26
	s_nop 0
	v_cndmask_b32_e64 v26, 0, 1, vcc
	v_lshlrev_b32_e32 v26, 2, v26
	v_add_lshl_u32 v52, v26, v42, 2
	ds_bpermute_b32 v26, v52, v25
	v_cmp_le_u32_e32 vcc, v53, v17
	s_waitcnt lgkmcnt(0)
	s_nop 0
	v_cndmask_b32_e32 v26, 0, v26, vcc
	v_cmp_gt_u32_e32 vcc, 56, v48
	v_add_u32_e32 v25, v25, v26
	s_nop 0
	v_cndmask_b32_e64 v26, 0, 1, vcc
	v_lshlrev_b32_e32 v26, 3, v26
	v_add_lshl_u32 v54, v26, v42, 2
	ds_bpermute_b32 v26, v54, v25
	v_cmp_le_u32_e32 vcc, v55, v17
	s_waitcnt lgkmcnt(0)
	s_nop 0
	;; [unrolled: 11-line block ×4, first 2 shown]
	v_cndmask_b32_e32 v17, 0, v26, vcc
	v_add_u32_e32 v26, v25, v17
	v_mov_b32_e32 v25, 0
	s_branch .LBB314_42
.LBB314_41:                             ;   in Loop: Header=BB314_42 Depth=1
	s_or_b64 exec, exec, s[26:27]
	v_cmp_eq_u16_sdwa s[26:27], v27, v47 src0_sel:BYTE_0 src1_sel:DWORD
	ds_bpermute_b32 v60, v49, v26
	v_subrev_u32_e32 v24, 64, v24
	v_and_b32_e32 v30, s27, v29
	v_or_b32_e32 v30, 0x80000000, v30
	v_and_b32_e32 v31, s26, v28
	v_ffbl_b32_e32 v30, v30
	v_add_u32_e32 v30, 32, v30
	v_ffbl_b32_e32 v31, v31
	v_min_u32_e32 v30, v31, v30
	v_cmp_lt_u32_e32 vcc, v48, v30
	s_waitcnt lgkmcnt(0)
	s_nop 0
	v_cndmask_b32_e32 v31, 0, v60, vcc
	v_add_u32_e32 v26, v31, v26
	ds_bpermute_b32 v31, v50, v26
	v_cmp_le_u32_e32 vcc, v51, v30
	s_waitcnt lgkmcnt(0)
	s_nop 0
	v_cndmask_b32_e32 v31, 0, v31, vcc
	v_add_u32_e32 v26, v26, v31
	ds_bpermute_b32 v31, v52, v26
	v_cmp_le_u32_e32 vcc, v53, v30
	;; [unrolled: 6-line block ×5, first 2 shown]
	s_waitcnt lgkmcnt(0)
	s_nop 0
	v_cndmask_b32_e32 v30, 0, v31, vcc
	v_add3_u32 v26, v30, v17, v26
.LBB314_42:                             ; =>This Loop Header: Depth=1
                                        ;     Child Loop BB314_45 Depth 2
	v_cmp_ne_u16_sdwa s[26:27], v27, v47 src0_sel:BYTE_0 src1_sel:DWORD
	s_nop 1
	v_cndmask_b32_e64 v17, 0, 1, s[26:27]
	;;#ASMSTART
	;;#ASMEND
	s_nop 0
	v_cmp_ne_u32_e32 vcc, 0, v17
	s_cmp_lg_u64 vcc, exec
	v_mov_b32_e32 v17, v26
	s_cbranch_scc1 .LBB314_47
; %bb.43:                               ;   in Loop: Header=BB314_42 Depth=1
	v_lshl_add_u64 v[30:31], v[24:25], 3, s[34:35]
	global_load_dwordx2 v[26:27], v[30:31], off sc1
	s_waitcnt vmcnt(0)
	v_cmp_eq_u16_sdwa s[36:37], v27, v25 src0_sel:BYTE_0 src1_sel:DWORD
	s_and_saveexec_b64 s[26:27], s[36:37]
	s_cbranch_execz .LBB314_41
; %bb.44:                               ;   in Loop: Header=BB314_42 Depth=1
	s_mov_b64 s[36:37], 0
.LBB314_45:                             ;   Parent Loop BB314_42 Depth=1
                                        ; =>  This Inner Loop Header: Depth=2
	global_load_dwordx2 v[26:27], v[30:31], off sc1
	s_waitcnt vmcnt(0)
	v_cmp_ne_u16_sdwa s[42:43], v27, v25 src0_sel:BYTE_0 src1_sel:DWORD
	s_or_b64 s[36:37], s[42:43], s[36:37]
	s_andn2_b64 exec, exec, s[36:37]
	s_cbranch_execnz .LBB314_45
; %bb.46:                               ;   in Loop: Header=BB314_42 Depth=1
	s_or_b64 exec, exec, s[36:37]
	s_branch .LBB314_41
.LBB314_47:                             ;   in Loop: Header=BB314_42 Depth=1
                                        ; implicit-def: $vgpr26
                                        ; implicit-def: $vgpr27
	s_cbranch_execz .LBB314_42
; %bb.48:
	s_and_saveexec_b64 s[26:27], s[18:19]
	s_cbranch_execz .LBB314_50
; %bb.49:
	s_add_i32 s36, s40, 64
	s_mov_b32 s37, 0
	s_lshl_b64 s[36:37], s[36:37], 3
	s_add_u32 s36, s34, s36
	v_add_u32_e32 v24, v17, v16
	v_mov_b32_e32 v25, 2
	s_addc_u32 s37, s35, s37
	v_mov_b32_e32 v26, 0
	global_store_dwordx2 v26, v[24:25], s[36:37] sc1
	ds_write_b64 v26, v[16:17] offset:28672
.LBB314_50:
	s_or_b64 exec, exec, s[26:27]
	s_and_b64 exec, exec, s[20:21]
	s_cbranch_execz .LBB314_52
; %bb.51:
	v_mov_b32_e32 v16, 0
	ds_write_b32 v16, v17 offset:28
.LBB314_52:
	s_or_b64 exec, exec, s[0:1]
	v_mov_b32_e32 v16, 0
	s_waitcnt lgkmcnt(0)
	s_barrier
	ds_read_b32 v17, v16 offset:28
	v_cndmask_b32_e64 v24, v46, v45, s[18:19]
	v_cndmask_b32_e64 v24, v24, 0, s[20:21]
	s_waitcnt lgkmcnt(0)
	s_barrier
	v_add_u32_e32 v31, v17, v24
	v_add_u32_e32 v30, v31, v37
	ds_read_b64 v[16:17], v16 offset:28672
	v_add_u32_e32 v29, v30, v38
	v_add_u32_e32 v28, v29, v39
	;; [unrolled: 1-line block ×5, first 2 shown]
	s_waitcnt lgkmcnt(0)
	v_mov_b32_e32 v24, v17
	s_branch .LBB314_63
.LBB314_53:
                                        ; implicit-def: $vgpr24
                                        ; implicit-def: $vgpr16
                                        ; implicit-def: $vgpr25
                                        ; implicit-def: $vgpr26
                                        ; implicit-def: $vgpr27
                                        ; implicit-def: $vgpr28
                                        ; implicit-def: $vgpr29
                                        ; implicit-def: $vgpr30
                                        ; implicit-def: $vgpr31
	s_cbranch_execz .LBB314_63
; %bb.54:
	s_nop 0
	v_mov_b32_dpp v16, v44 row_shr:1 row_mask:0xf bank_mask:0xf
	v_cndmask_b32_e64 v16, v16, 0, s[16:17]
	v_add_u32_e32 v16, v16, v44
	s_nop 1
	v_mov_b32_dpp v17, v16 row_shr:2 row_mask:0xf bank_mask:0xf
	v_cndmask_b32_e64 v17, 0, v17, s[14:15]
	v_add_u32_e32 v16, v16, v17
	;; [unrolled: 4-line block ×4, first 2 shown]
	s_nop 1
	v_mov_b32_dpp v17, v16 row_bcast:15 row_mask:0xf bank_mask:0xf
	v_cndmask_b32_e64 v17, v17, 0, s[8:9]
	v_add_u32_e32 v16, v16, v17
	s_nop 1
	v_mov_b32_dpp v17, v16 row_bcast:31 row_mask:0xf bank_mask:0xf
	v_cndmask_b32_e64 v17, 0, v17, s[4:5]
	v_add_u32_e32 v16, v16, v17
	s_and_saveexec_b64 s[0:1], s[6:7]
	s_cbranch_execz .LBB314_56
; %bb.55:
	v_lshlrev_b32_e32 v17, 2, v43
	ds_write_b32 v17, v16
.LBB314_56:
	s_or_b64 exec, exec, s[0:1]
	v_cmp_gt_u32_e32 vcc, 8, v0
	s_waitcnt lgkmcnt(0)
	s_barrier
	s_and_saveexec_b64 s[0:1], vcc
	s_cbranch_execz .LBB314_58
; %bb.57:
	s_movk_i32 s4, 0xffcc
	v_mad_i32_i24 v17, v0, s4, v36
	ds_read_b32 v24, v17
	v_and_b32_e32 v25, 7, v42
	v_cmp_ne_u32_e32 vcc, 0, v25
	s_waitcnt lgkmcnt(0)
	v_mov_b32_dpp v26, v24 row_shr:1 row_mask:0xf bank_mask:0xf
	v_cndmask_b32_e32 v26, 0, v26, vcc
	v_add_u32_e32 v24, v26, v24
	v_cmp_lt_u32_e32 vcc, 1, v25
	s_nop 0
	v_mov_b32_dpp v26, v24 row_shr:2 row_mask:0xf bank_mask:0xf
	v_cndmask_b32_e32 v26, 0, v26, vcc
	v_add_u32_e32 v24, v24, v26
	v_cmp_lt_u32_e32 vcc, 3, v25
	s_nop 0
	v_mov_b32_dpp v26, v24 row_shr:4 row_mask:0xf bank_mask:0xf
	v_cndmask_b32_e32 v25, 0, v26, vcc
	v_add_u32_e32 v24, v24, v25
	ds_write_b32 v17, v24
.LBB314_58:
	s_or_b64 exec, exec, s[0:1]
	v_cmp_lt_u32_e32 vcc, 63, v0
	v_mov_b32_e32 v17, 0
	v_mov_b32_e32 v24, 0
	s_waitcnt lgkmcnt(0)
	s_barrier
	s_and_saveexec_b64 s[0:1], vcc
	s_cbranch_execz .LBB314_60
; %bb.59:
	v_lshl_add_u32 v24, v43, 2, -4
	ds_read_b32 v24, v24
.LBB314_60:
	s_or_b64 exec, exec, s[0:1]
	v_add_u32_e32 v25, -1, v42
	v_and_b32_e32 v26, 64, v42
	v_cmp_lt_i32_e32 vcc, v25, v26
	s_waitcnt lgkmcnt(0)
	v_add_u32_e32 v16, v24, v16
	v_cndmask_b32_e32 v25, v25, v42, vcc
	v_lshlrev_b32_e32 v25, 2, v25
	ds_bpermute_b32 v25, v25, v16
	ds_read_b32 v16, v17 offset:28
	s_and_saveexec_b64 s[0:1], s[20:21]
	s_cbranch_execz .LBB314_62
; %bb.61:
	v_mov_b32_e32 v26, 0
	v_mov_b32_e32 v17, 2
	s_waitcnt lgkmcnt(0)
	global_store_dwordx2 v26, v[16:17], s[34:35] offset:512 sc1
.LBB314_62:
	s_or_b64 exec, exec, s[0:1]
	v_cmp_eq_u32_e32 vcc, 0, v42
	s_waitcnt lgkmcnt(0)
	s_barrier
	v_cndmask_b32_e32 v17, v25, v24, vcc
	v_cndmask_b32_e64 v31, v17, 0, s[20:21]
	v_add_u32_e32 v30, v31, v37
	v_add_u32_e32 v29, v30, v38
	;; [unrolled: 1-line block ×5, first 2 shown]
	v_mov_b32_e32 v24, 0
	v_add_u32_e32 v25, v26, v41
.LBB314_63:
	v_add_u32_e32 v1, v16, v1
	v_sub_u32_e32 v31, v31, v24
	v_and_b32_e32 v37, 1, v34
	v_sub_u32_e32 v36, v1, v31
	v_cmp_eq_u32_e32 vcc, 1, v37
	v_lshrrev_b32_e32 v17, 8, v34
	v_and_b32_e32 v17, 1, v17
	v_cndmask_b32_e32 v31, v36, v31, vcc
	v_lshlrev_b32_e32 v31, 3, v31
	ds_write_b64 v31, v[10:11]
	v_sub_u32_e32 v10, v30, v24
	v_sub_u32_e32 v11, v1, v10
	v_add_u32_e32 v11, 1, v11
	v_cmp_eq_u32_e32 vcc, 1, v17
	v_or_b32_e32 v31, 0x400, v0
	v_or_b32_e32 v30, 0x600, v0
	v_cndmask_b32_e32 v10, v11, v10, vcc
	v_lshlrev_b32_e32 v10, 3, v10
	ds_write_b64 v10, v[12:13]
	v_sub_u32_e32 v10, v29, v24
	v_mov_b32_e32 v12, 1
	v_sub_u32_e32 v11, v1, v10
	v_and_b32_sdwa v12, v12, v34 dst_sel:DWORD dst_unused:UNUSED_PAD src0_sel:DWORD src1_sel:WORD_1
	v_add_u32_e32 v11, 2, v11
	v_cmp_eq_u32_e32 vcc, 1, v12
	v_or_b32_e32 v29, 0x800, v0
	s_nop 0
	v_cndmask_b32_e32 v10, v11, v10, vcc
	v_lshlrev_b32_e32 v10, 3, v10
	ds_write_b64 v10, v[6:7]
	v_sub_u32_e32 v6, v28, v24
	v_sub_u32_e32 v7, v1, v6
	v_and_b32_e32 v10, 1, v35
	v_add_u32_e32 v7, 3, v7
	v_cmp_eq_u32_e32 vcc, 1, v10
	v_or_b32_e32 v28, 0xa00, v0
	s_nop 0
	v_cndmask_b32_e32 v6, v7, v6, vcc
	v_lshlrev_b32_e32 v6, 3, v6
	ds_write_b64 v6, v[8:9]
	v_sub_u32_e32 v6, v27, v24
	v_sub_u32_e32 v7, v1, v6
	v_and_b32_e32 v8, 1, v33
	v_add_u32_e32 v7, 4, v7
	v_cmp_eq_u32_e32 vcc, 1, v8
	s_nop 1
	v_cndmask_b32_e32 v6, v7, v6, vcc
	v_lshlrev_b32_e32 v6, 3, v6
	ds_write_b64 v6, v[2:3]
	v_sub_u32_e32 v2, v26, v24
	v_sub_u32_e32 v3, v1, v2
	v_and_b32_e32 v6, 1, v32
	v_add_u32_e32 v3, 5, v3
	v_cmp_eq_u32_e32 vcc, 1, v6
	v_or_b32_e32 v32, 0x200, v0
	s_nop 0
	v_cndmask_b32_e32 v2, v3, v2, vcc
	v_lshlrev_b32_e32 v2, 3, v2
	ds_write_b64 v2, v[4:5]
	v_sub_u32_e32 v2, v25, v24
	v_sub_u32_e32 v1, v1, v2
	v_and_b32_e32 v3, 1, v19
	v_add_u32_e32 v1, 6, v1
	v_cmp_eq_u32_e32 vcc, 1, v3
	v_mov_b32_e32 v25, 0
	s_waitcnt vmcnt(0)
	v_lshl_add_u64 v[34:35], v[20:21], 0, v[24:25]
	v_cndmask_b32_e32 v1, v1, v2, vcc
	v_lshlrev_b32_e32 v1, 3, v1
	v_mov_b32_e32 v17, v25
	ds_write_b64 v1, v[14:15]
	v_lshl_add_u64 v[14:15], v[34:35], 0, v[16:17]
	v_mov_b32_e32 v17, s39
	v_sub_co_u32_e32 v20, vcc, s38, v14
	s_waitcnt lgkmcnt(0)
	s_barrier
	ds_read2st64_b64 v[10:13], v18 offset1:8
	ds_read2st64_b64 v[6:9], v18 offset0:16 offset1:24
	ds_read2st64_b64 v[2:5], v18 offset0:32 offset1:40
	ds_read_b64 v[26:27], v18 offset:24576
	v_subb_co_u32_e32 v21, vcc, v17, v15, vcc
	v_lshlrev_b64 v[20:21], 3, v[20:21]
	v_lshl_add_u64 v[20:21], s[30:31], 0, v[20:21]
	v_lshl_add_u64 v[20:21], v[20:21], 0, v[22:23]
	v_lshlrev_b64 v[22:23], 3, v[34:35]
	v_or_b32_e32 v1, 0xc00, v0
	s_and_b64 vcc, exec, s[2:3]
	v_lshl_add_u64 v[22:23], s[28:29], 0, v[22:23]
	s_cbranch_vccnz .LBB314_65
; %bb.64:
	v_cmp_lt_u32_e32 vcc, v0, v16
	v_mov_b32_e32 v19, v25
	v_lshlrev_b32_e32 v24, 3, v32
	v_cndmask_b32_e32 v35, v21, v23, vcc
	v_cndmask_b32_e32 v34, v20, v22, vcc
	v_lshl_add_u64 v[34:35], v[34:35], 0, v[18:19]
	v_cmp_lt_u32_e32 vcc, v32, v16
	s_waitcnt lgkmcnt(3)
	global_store_dwordx2 v[34:35], v[10:11], off
	v_cndmask_b32_e32 v35, v21, v23, vcc
	v_cndmask_b32_e32 v34, v20, v22, vcc
	v_lshl_add_u64 v[34:35], v[34:35], 0, v[24:25]
	v_cmp_lt_u32_e32 vcc, v31, v16
	global_store_dwordx2 v[34:35], v[12:13], off
	v_lshlrev_b32_e32 v24, 3, v31
	v_cndmask_b32_e32 v35, v21, v23, vcc
	v_cndmask_b32_e32 v34, v20, v22, vcc
	v_lshl_add_u64 v[34:35], v[34:35], 0, v[24:25]
	v_cmp_lt_u32_e32 vcc, v30, v16
	s_waitcnt lgkmcnt(2)
	global_store_dwordx2 v[34:35], v[6:7], off
	v_lshlrev_b32_e32 v24, 3, v30
	v_cndmask_b32_e32 v35, v21, v23, vcc
	v_cndmask_b32_e32 v34, v20, v22, vcc
	v_lshl_add_u64 v[34:35], v[34:35], 0, v[24:25]
	v_cmp_lt_u32_e32 vcc, v29, v16
	global_store_dwordx2 v[34:35], v[8:9], off
	v_lshlrev_b32_e32 v24, 3, v29
	v_cndmask_b32_e32 v35, v21, v23, vcc
	v_cndmask_b32_e32 v34, v20, v22, vcc
	v_lshl_add_u64 v[34:35], v[34:35], 0, v[24:25]
	v_cmp_lt_u32_e32 vcc, v28, v16
	s_waitcnt lgkmcnt(1)
	global_store_dwordx2 v[34:35], v[2:3], off
	v_lshlrev_b32_e32 v24, 3, v28
	v_cndmask_b32_e32 v35, v21, v23, vcc
	v_cndmask_b32_e32 v34, v20, v22, vcc
	v_lshl_add_u64 v[24:25], v[34:35], 0, v[24:25]
	s_mov_b64 s[0:1], -1
	global_store_dwordx2 v[24:25], v[4:5], off
	s_cbranch_execz .LBB314_66
	s_branch .LBB314_74
.LBB314_65:
	s_mov_b64 s[0:1], 0
.LBB314_66:
	v_cmp_gt_u32_e32 vcc, s33, v0
	s_and_saveexec_b64 s[0:1], vcc
	s_cbranch_execnz .LBB314_79
; %bb.67:
	s_or_b64 exec, exec, s[0:1]
	v_cmp_gt_u32_e32 vcc, s33, v32
	s_and_saveexec_b64 s[0:1], vcc
	s_cbranch_execnz .LBB314_80
.LBB314_68:
	s_or_b64 exec, exec, s[0:1]
	v_cmp_gt_u32_e32 vcc, s33, v31
	s_and_saveexec_b64 s[0:1], vcc
	s_cbranch_execnz .LBB314_81
.LBB314_69:
	s_or_b64 exec, exec, s[0:1]
	v_cmp_gt_u32_e32 vcc, s33, v30
	s_and_saveexec_b64 s[0:1], vcc
	s_cbranch_execnz .LBB314_82
.LBB314_70:
	s_or_b64 exec, exec, s[0:1]
	v_cmp_gt_u32_e32 vcc, s33, v29
	s_and_saveexec_b64 s[0:1], vcc
	s_cbranch_execnz .LBB314_83
.LBB314_71:
	s_or_b64 exec, exec, s[0:1]
	v_cmp_gt_u32_e32 vcc, s33, v28
	s_and_saveexec_b64 s[0:1], vcc
	s_cbranch_execz .LBB314_73
.LBB314_72:
	v_cmp_lt_u32_e32 vcc, v28, v16
	s_waitcnt lgkmcnt(2)
	v_lshlrev_b32_e32 v6, 3, v28
	v_mov_b32_e32 v7, 0
	s_waitcnt lgkmcnt(1)
	v_cndmask_b32_e32 v3, v21, v23, vcc
	v_cndmask_b32_e32 v2, v20, v22, vcc
	v_lshl_add_u64 v[2:3], v[2:3], 0, v[6:7]
	global_store_dwordx2 v[2:3], v[4:5], off
.LBB314_73:
	s_or_b64 exec, exec, s[0:1]
	v_cmp_gt_u32_e64 s[0:1], s33, v1
.LBB314_74:
	s_and_saveexec_b64 s[2:3], s[0:1]
	s_cbranch_execnz .LBB314_77
; %bb.75:
	s_or_b64 exec, exec, s[2:3]
	s_and_b64 s[0:1], s[20:21], s[22:23]
	s_and_saveexec_b64 s[2:3], s[0:1]
	s_cbranch_execnz .LBB314_78
.LBB314_76:
	s_endpgm
.LBB314_77:
	v_cmp_lt_u32_e32 vcc, v1, v16
	v_lshlrev_b32_e32 v0, 3, v1
	v_mov_b32_e32 v1, 0
	s_waitcnt lgkmcnt(1)
	v_cndmask_b32_e32 v3, v21, v23, vcc
	v_cndmask_b32_e32 v2, v20, v22, vcc
	v_lshl_add_u64 v[0:1], v[2:3], 0, v[0:1]
	s_waitcnt lgkmcnt(0)
	global_store_dwordx2 v[0:1], v[26:27], off
	s_or_b64 exec, exec, s[2:3]
	s_and_b64 s[0:1], s[20:21], s[22:23]
	s_and_saveexec_b64 s[2:3], s[0:1]
	s_cbranch_execz .LBB314_76
.LBB314_78:
	v_mov_b32_e32 v0, 0
	global_store_dwordx2 v0, v[14:15], s[24:25]
	s_endpgm
.LBB314_79:
	v_cmp_lt_u32_e32 vcc, v0, v16
	v_mov_b32_e32 v19, 0
	s_nop 0
	v_cndmask_b32_e32 v25, v21, v23, vcc
	v_cndmask_b32_e32 v24, v20, v22, vcc
	v_lshl_add_u64 v[18:19], v[24:25], 0, v[18:19]
	s_waitcnt lgkmcnt(3)
	global_store_dwordx2 v[18:19], v[10:11], off
	s_or_b64 exec, exec, s[0:1]
	v_cmp_gt_u32_e32 vcc, s33, v32
	s_and_saveexec_b64 s[0:1], vcc
	s_cbranch_execz .LBB314_68
.LBB314_80:
	v_cmp_lt_u32_e32 vcc, v32, v16
	v_lshlrev_b32_e32 v18, 3, v32
	v_mov_b32_e32 v19, 0
	s_waitcnt lgkmcnt(3)
	v_cndmask_b32_e32 v11, v21, v23, vcc
	v_cndmask_b32_e32 v10, v20, v22, vcc
	v_lshl_add_u64 v[10:11], v[10:11], 0, v[18:19]
	global_store_dwordx2 v[10:11], v[12:13], off
	s_or_b64 exec, exec, s[0:1]
	v_cmp_gt_u32_e32 vcc, s33, v31
	s_and_saveexec_b64 s[0:1], vcc
	s_cbranch_execz .LBB314_69
.LBB314_81:
	v_cmp_lt_u32_e32 vcc, v31, v16
	s_waitcnt lgkmcnt(3)
	v_lshlrev_b32_e32 v12, 3, v31
	v_mov_b32_e32 v13, 0
	v_cndmask_b32_e32 v11, v21, v23, vcc
	v_cndmask_b32_e32 v10, v20, v22, vcc
	v_lshl_add_u64 v[10:11], v[10:11], 0, v[12:13]
	s_waitcnt lgkmcnt(2)
	global_store_dwordx2 v[10:11], v[6:7], off
	s_or_b64 exec, exec, s[0:1]
	v_cmp_gt_u32_e32 vcc, s33, v30
	s_and_saveexec_b64 s[0:1], vcc
	s_cbranch_execz .LBB314_70
.LBB314_82:
	v_cmp_lt_u32_e32 vcc, v30, v16
	s_waitcnt lgkmcnt(3)
	v_lshlrev_b32_e32 v10, 3, v30
	v_mov_b32_e32 v11, 0
	s_waitcnt lgkmcnt(2)
	v_cndmask_b32_e32 v7, v21, v23, vcc
	v_cndmask_b32_e32 v6, v20, v22, vcc
	v_lshl_add_u64 v[6:7], v[6:7], 0, v[10:11]
	global_store_dwordx2 v[6:7], v[8:9], off
	s_or_b64 exec, exec, s[0:1]
	v_cmp_gt_u32_e32 vcc, s33, v29
	s_and_saveexec_b64 s[0:1], vcc
	s_cbranch_execz .LBB314_71
.LBB314_83:
	v_cmp_lt_u32_e32 vcc, v29, v16
	s_waitcnt lgkmcnt(2)
	v_lshlrev_b32_e32 v8, 3, v29
	v_mov_b32_e32 v9, 0
	v_cndmask_b32_e32 v7, v21, v23, vcc
	v_cndmask_b32_e32 v6, v20, v22, vcc
	v_lshl_add_u64 v[6:7], v[6:7], 0, v[8:9]
	s_waitcnt lgkmcnt(1)
	global_store_dwordx2 v[6:7], v[2:3], off
	s_or_b64 exec, exec, s[0:1]
	v_cmp_gt_u32_e32 vcc, s33, v28
	s_and_saveexec_b64 s[0:1], vcc
	s_cbranch_execnz .LBB314_72
	s_branch .LBB314_73
	.section	.rodata,"a",@progbits
	.p2align	6, 0x0
	.amdhsa_kernel _ZN7rocprim17ROCPRIM_400000_NS6detail17trampoline_kernelINS0_14default_configENS1_25partition_config_selectorILNS1_17partition_subalgoE0ExNS0_10empty_typeEbEEZZNS1_14partition_implILS5_0ELb0ES3_jN6thrust23THRUST_200600_302600_NS6detail15normal_iteratorINSA_10device_ptrIxEEEEPS6_SG_NS0_5tupleIJSF_SF_EEENSH_IJSG_SG_EEES6_PlJ7is_evenIxEEEE10hipError_tPvRmT3_T4_T5_T6_T7_T9_mT8_P12ihipStream_tbDpT10_ENKUlT_T0_E_clISt17integral_constantIbLb0EES15_IbLb1EEEEDaS11_S12_EUlS11_E_NS1_11comp_targetILNS1_3genE5ELNS1_11target_archE942ELNS1_3gpuE9ELNS1_3repE0EEENS1_30default_config_static_selectorELNS0_4arch9wavefront6targetE1EEEvT1_
		.amdhsa_group_segment_fixed_size 28680
		.amdhsa_private_segment_fixed_size 0
		.amdhsa_kernarg_size 136
		.amdhsa_user_sgpr_count 2
		.amdhsa_user_sgpr_dispatch_ptr 0
		.amdhsa_user_sgpr_queue_ptr 0
		.amdhsa_user_sgpr_kernarg_segment_ptr 1
		.amdhsa_user_sgpr_dispatch_id 0
		.amdhsa_user_sgpr_kernarg_preload_length 0
		.amdhsa_user_sgpr_kernarg_preload_offset 0
		.amdhsa_user_sgpr_private_segment_size 0
		.amdhsa_uses_dynamic_stack 0
		.amdhsa_enable_private_segment 0
		.amdhsa_system_sgpr_workgroup_id_x 1
		.amdhsa_system_sgpr_workgroup_id_y 0
		.amdhsa_system_sgpr_workgroup_id_z 0
		.amdhsa_system_sgpr_workgroup_info 0
		.amdhsa_system_vgpr_workitem_id 0
		.amdhsa_next_free_vgpr 61
		.amdhsa_next_free_sgpr 44
		.amdhsa_accum_offset 64
		.amdhsa_reserve_vcc 1
		.amdhsa_float_round_mode_32 0
		.amdhsa_float_round_mode_16_64 0
		.amdhsa_float_denorm_mode_32 3
		.amdhsa_float_denorm_mode_16_64 3
		.amdhsa_dx10_clamp 1
		.amdhsa_ieee_mode 1
		.amdhsa_fp16_overflow 0
		.amdhsa_tg_split 0
		.amdhsa_exception_fp_ieee_invalid_op 0
		.amdhsa_exception_fp_denorm_src 0
		.amdhsa_exception_fp_ieee_div_zero 0
		.amdhsa_exception_fp_ieee_overflow 0
		.amdhsa_exception_fp_ieee_underflow 0
		.amdhsa_exception_fp_ieee_inexact 0
		.amdhsa_exception_int_div_zero 0
	.end_amdhsa_kernel
	.section	.text._ZN7rocprim17ROCPRIM_400000_NS6detail17trampoline_kernelINS0_14default_configENS1_25partition_config_selectorILNS1_17partition_subalgoE0ExNS0_10empty_typeEbEEZZNS1_14partition_implILS5_0ELb0ES3_jN6thrust23THRUST_200600_302600_NS6detail15normal_iteratorINSA_10device_ptrIxEEEEPS6_SG_NS0_5tupleIJSF_SF_EEENSH_IJSG_SG_EEES6_PlJ7is_evenIxEEEE10hipError_tPvRmT3_T4_T5_T6_T7_T9_mT8_P12ihipStream_tbDpT10_ENKUlT_T0_E_clISt17integral_constantIbLb0EES15_IbLb1EEEEDaS11_S12_EUlS11_E_NS1_11comp_targetILNS1_3genE5ELNS1_11target_archE942ELNS1_3gpuE9ELNS1_3repE0EEENS1_30default_config_static_selectorELNS0_4arch9wavefront6targetE1EEEvT1_,"axG",@progbits,_ZN7rocprim17ROCPRIM_400000_NS6detail17trampoline_kernelINS0_14default_configENS1_25partition_config_selectorILNS1_17partition_subalgoE0ExNS0_10empty_typeEbEEZZNS1_14partition_implILS5_0ELb0ES3_jN6thrust23THRUST_200600_302600_NS6detail15normal_iteratorINSA_10device_ptrIxEEEEPS6_SG_NS0_5tupleIJSF_SF_EEENSH_IJSG_SG_EEES6_PlJ7is_evenIxEEEE10hipError_tPvRmT3_T4_T5_T6_T7_T9_mT8_P12ihipStream_tbDpT10_ENKUlT_T0_E_clISt17integral_constantIbLb0EES15_IbLb1EEEEDaS11_S12_EUlS11_E_NS1_11comp_targetILNS1_3genE5ELNS1_11target_archE942ELNS1_3gpuE9ELNS1_3repE0EEENS1_30default_config_static_selectorELNS0_4arch9wavefront6targetE1EEEvT1_,comdat
.Lfunc_end314:
	.size	_ZN7rocprim17ROCPRIM_400000_NS6detail17trampoline_kernelINS0_14default_configENS1_25partition_config_selectorILNS1_17partition_subalgoE0ExNS0_10empty_typeEbEEZZNS1_14partition_implILS5_0ELb0ES3_jN6thrust23THRUST_200600_302600_NS6detail15normal_iteratorINSA_10device_ptrIxEEEEPS6_SG_NS0_5tupleIJSF_SF_EEENSH_IJSG_SG_EEES6_PlJ7is_evenIxEEEE10hipError_tPvRmT3_T4_T5_T6_T7_T9_mT8_P12ihipStream_tbDpT10_ENKUlT_T0_E_clISt17integral_constantIbLb0EES15_IbLb1EEEEDaS11_S12_EUlS11_E_NS1_11comp_targetILNS1_3genE5ELNS1_11target_archE942ELNS1_3gpuE9ELNS1_3repE0EEENS1_30default_config_static_selectorELNS0_4arch9wavefront6targetE1EEEvT1_, .Lfunc_end314-_ZN7rocprim17ROCPRIM_400000_NS6detail17trampoline_kernelINS0_14default_configENS1_25partition_config_selectorILNS1_17partition_subalgoE0ExNS0_10empty_typeEbEEZZNS1_14partition_implILS5_0ELb0ES3_jN6thrust23THRUST_200600_302600_NS6detail15normal_iteratorINSA_10device_ptrIxEEEEPS6_SG_NS0_5tupleIJSF_SF_EEENSH_IJSG_SG_EEES6_PlJ7is_evenIxEEEE10hipError_tPvRmT3_T4_T5_T6_T7_T9_mT8_P12ihipStream_tbDpT10_ENKUlT_T0_E_clISt17integral_constantIbLb0EES15_IbLb1EEEEDaS11_S12_EUlS11_E_NS1_11comp_targetILNS1_3genE5ELNS1_11target_archE942ELNS1_3gpuE9ELNS1_3repE0EEENS1_30default_config_static_selectorELNS0_4arch9wavefront6targetE1EEEvT1_
                                        ; -- End function
	.section	.AMDGPU.csdata,"",@progbits
; Kernel info:
; codeLenInByte = 4612
; NumSgprs: 50
; NumVgprs: 61
; NumAgprs: 0
; TotalNumVgprs: 61
; ScratchSize: 0
; MemoryBound: 0
; FloatMode: 240
; IeeeMode: 1
; LDSByteSize: 28680 bytes/workgroup (compile time only)
; SGPRBlocks: 6
; VGPRBlocks: 7
; NumSGPRsForWavesPerEU: 50
; NumVGPRsForWavesPerEU: 61
; AccumOffset: 64
; Occupancy: 4
; WaveLimiterHint : 1
; COMPUTE_PGM_RSRC2:SCRATCH_EN: 0
; COMPUTE_PGM_RSRC2:USER_SGPR: 2
; COMPUTE_PGM_RSRC2:TRAP_HANDLER: 0
; COMPUTE_PGM_RSRC2:TGID_X_EN: 1
; COMPUTE_PGM_RSRC2:TGID_Y_EN: 0
; COMPUTE_PGM_RSRC2:TGID_Z_EN: 0
; COMPUTE_PGM_RSRC2:TIDIG_COMP_CNT: 0
; COMPUTE_PGM_RSRC3_GFX90A:ACCUM_OFFSET: 15
; COMPUTE_PGM_RSRC3_GFX90A:TG_SPLIT: 0
	.section	.text._ZN7rocprim17ROCPRIM_400000_NS6detail17trampoline_kernelINS0_14default_configENS1_25partition_config_selectorILNS1_17partition_subalgoE0ExNS0_10empty_typeEbEEZZNS1_14partition_implILS5_0ELb0ES3_jN6thrust23THRUST_200600_302600_NS6detail15normal_iteratorINSA_10device_ptrIxEEEEPS6_SG_NS0_5tupleIJSF_SF_EEENSH_IJSG_SG_EEES6_PlJ7is_evenIxEEEE10hipError_tPvRmT3_T4_T5_T6_T7_T9_mT8_P12ihipStream_tbDpT10_ENKUlT_T0_E_clISt17integral_constantIbLb0EES15_IbLb1EEEEDaS11_S12_EUlS11_E_NS1_11comp_targetILNS1_3genE4ELNS1_11target_archE910ELNS1_3gpuE8ELNS1_3repE0EEENS1_30default_config_static_selectorELNS0_4arch9wavefront6targetE1EEEvT1_,"axG",@progbits,_ZN7rocprim17ROCPRIM_400000_NS6detail17trampoline_kernelINS0_14default_configENS1_25partition_config_selectorILNS1_17partition_subalgoE0ExNS0_10empty_typeEbEEZZNS1_14partition_implILS5_0ELb0ES3_jN6thrust23THRUST_200600_302600_NS6detail15normal_iteratorINSA_10device_ptrIxEEEEPS6_SG_NS0_5tupleIJSF_SF_EEENSH_IJSG_SG_EEES6_PlJ7is_evenIxEEEE10hipError_tPvRmT3_T4_T5_T6_T7_T9_mT8_P12ihipStream_tbDpT10_ENKUlT_T0_E_clISt17integral_constantIbLb0EES15_IbLb1EEEEDaS11_S12_EUlS11_E_NS1_11comp_targetILNS1_3genE4ELNS1_11target_archE910ELNS1_3gpuE8ELNS1_3repE0EEENS1_30default_config_static_selectorELNS0_4arch9wavefront6targetE1EEEvT1_,comdat
	.protected	_ZN7rocprim17ROCPRIM_400000_NS6detail17trampoline_kernelINS0_14default_configENS1_25partition_config_selectorILNS1_17partition_subalgoE0ExNS0_10empty_typeEbEEZZNS1_14partition_implILS5_0ELb0ES3_jN6thrust23THRUST_200600_302600_NS6detail15normal_iteratorINSA_10device_ptrIxEEEEPS6_SG_NS0_5tupleIJSF_SF_EEENSH_IJSG_SG_EEES6_PlJ7is_evenIxEEEE10hipError_tPvRmT3_T4_T5_T6_T7_T9_mT8_P12ihipStream_tbDpT10_ENKUlT_T0_E_clISt17integral_constantIbLb0EES15_IbLb1EEEEDaS11_S12_EUlS11_E_NS1_11comp_targetILNS1_3genE4ELNS1_11target_archE910ELNS1_3gpuE8ELNS1_3repE0EEENS1_30default_config_static_selectorELNS0_4arch9wavefront6targetE1EEEvT1_ ; -- Begin function _ZN7rocprim17ROCPRIM_400000_NS6detail17trampoline_kernelINS0_14default_configENS1_25partition_config_selectorILNS1_17partition_subalgoE0ExNS0_10empty_typeEbEEZZNS1_14partition_implILS5_0ELb0ES3_jN6thrust23THRUST_200600_302600_NS6detail15normal_iteratorINSA_10device_ptrIxEEEEPS6_SG_NS0_5tupleIJSF_SF_EEENSH_IJSG_SG_EEES6_PlJ7is_evenIxEEEE10hipError_tPvRmT3_T4_T5_T6_T7_T9_mT8_P12ihipStream_tbDpT10_ENKUlT_T0_E_clISt17integral_constantIbLb0EES15_IbLb1EEEEDaS11_S12_EUlS11_E_NS1_11comp_targetILNS1_3genE4ELNS1_11target_archE910ELNS1_3gpuE8ELNS1_3repE0EEENS1_30default_config_static_selectorELNS0_4arch9wavefront6targetE1EEEvT1_
	.globl	_ZN7rocprim17ROCPRIM_400000_NS6detail17trampoline_kernelINS0_14default_configENS1_25partition_config_selectorILNS1_17partition_subalgoE0ExNS0_10empty_typeEbEEZZNS1_14partition_implILS5_0ELb0ES3_jN6thrust23THRUST_200600_302600_NS6detail15normal_iteratorINSA_10device_ptrIxEEEEPS6_SG_NS0_5tupleIJSF_SF_EEENSH_IJSG_SG_EEES6_PlJ7is_evenIxEEEE10hipError_tPvRmT3_T4_T5_T6_T7_T9_mT8_P12ihipStream_tbDpT10_ENKUlT_T0_E_clISt17integral_constantIbLb0EES15_IbLb1EEEEDaS11_S12_EUlS11_E_NS1_11comp_targetILNS1_3genE4ELNS1_11target_archE910ELNS1_3gpuE8ELNS1_3repE0EEENS1_30default_config_static_selectorELNS0_4arch9wavefront6targetE1EEEvT1_
	.p2align	8
	.type	_ZN7rocprim17ROCPRIM_400000_NS6detail17trampoline_kernelINS0_14default_configENS1_25partition_config_selectorILNS1_17partition_subalgoE0ExNS0_10empty_typeEbEEZZNS1_14partition_implILS5_0ELb0ES3_jN6thrust23THRUST_200600_302600_NS6detail15normal_iteratorINSA_10device_ptrIxEEEEPS6_SG_NS0_5tupleIJSF_SF_EEENSH_IJSG_SG_EEES6_PlJ7is_evenIxEEEE10hipError_tPvRmT3_T4_T5_T6_T7_T9_mT8_P12ihipStream_tbDpT10_ENKUlT_T0_E_clISt17integral_constantIbLb0EES15_IbLb1EEEEDaS11_S12_EUlS11_E_NS1_11comp_targetILNS1_3genE4ELNS1_11target_archE910ELNS1_3gpuE8ELNS1_3repE0EEENS1_30default_config_static_selectorELNS0_4arch9wavefront6targetE1EEEvT1_,@function
_ZN7rocprim17ROCPRIM_400000_NS6detail17trampoline_kernelINS0_14default_configENS1_25partition_config_selectorILNS1_17partition_subalgoE0ExNS0_10empty_typeEbEEZZNS1_14partition_implILS5_0ELb0ES3_jN6thrust23THRUST_200600_302600_NS6detail15normal_iteratorINSA_10device_ptrIxEEEEPS6_SG_NS0_5tupleIJSF_SF_EEENSH_IJSG_SG_EEES6_PlJ7is_evenIxEEEE10hipError_tPvRmT3_T4_T5_T6_T7_T9_mT8_P12ihipStream_tbDpT10_ENKUlT_T0_E_clISt17integral_constantIbLb0EES15_IbLb1EEEEDaS11_S12_EUlS11_E_NS1_11comp_targetILNS1_3genE4ELNS1_11target_archE910ELNS1_3gpuE8ELNS1_3repE0EEENS1_30default_config_static_selectorELNS0_4arch9wavefront6targetE1EEEvT1_: ; @_ZN7rocprim17ROCPRIM_400000_NS6detail17trampoline_kernelINS0_14default_configENS1_25partition_config_selectorILNS1_17partition_subalgoE0ExNS0_10empty_typeEbEEZZNS1_14partition_implILS5_0ELb0ES3_jN6thrust23THRUST_200600_302600_NS6detail15normal_iteratorINSA_10device_ptrIxEEEEPS6_SG_NS0_5tupleIJSF_SF_EEENSH_IJSG_SG_EEES6_PlJ7is_evenIxEEEE10hipError_tPvRmT3_T4_T5_T6_T7_T9_mT8_P12ihipStream_tbDpT10_ENKUlT_T0_E_clISt17integral_constantIbLb0EES15_IbLb1EEEEDaS11_S12_EUlS11_E_NS1_11comp_targetILNS1_3genE4ELNS1_11target_archE910ELNS1_3gpuE8ELNS1_3repE0EEENS1_30default_config_static_selectorELNS0_4arch9wavefront6targetE1EEEvT1_
; %bb.0:
	.section	.rodata,"a",@progbits
	.p2align	6, 0x0
	.amdhsa_kernel _ZN7rocprim17ROCPRIM_400000_NS6detail17trampoline_kernelINS0_14default_configENS1_25partition_config_selectorILNS1_17partition_subalgoE0ExNS0_10empty_typeEbEEZZNS1_14partition_implILS5_0ELb0ES3_jN6thrust23THRUST_200600_302600_NS6detail15normal_iteratorINSA_10device_ptrIxEEEEPS6_SG_NS0_5tupleIJSF_SF_EEENSH_IJSG_SG_EEES6_PlJ7is_evenIxEEEE10hipError_tPvRmT3_T4_T5_T6_T7_T9_mT8_P12ihipStream_tbDpT10_ENKUlT_T0_E_clISt17integral_constantIbLb0EES15_IbLb1EEEEDaS11_S12_EUlS11_E_NS1_11comp_targetILNS1_3genE4ELNS1_11target_archE910ELNS1_3gpuE8ELNS1_3repE0EEENS1_30default_config_static_selectorELNS0_4arch9wavefront6targetE1EEEvT1_
		.amdhsa_group_segment_fixed_size 0
		.amdhsa_private_segment_fixed_size 0
		.amdhsa_kernarg_size 136
		.amdhsa_user_sgpr_count 2
		.amdhsa_user_sgpr_dispatch_ptr 0
		.amdhsa_user_sgpr_queue_ptr 0
		.amdhsa_user_sgpr_kernarg_segment_ptr 1
		.amdhsa_user_sgpr_dispatch_id 0
		.amdhsa_user_sgpr_kernarg_preload_length 0
		.amdhsa_user_sgpr_kernarg_preload_offset 0
		.amdhsa_user_sgpr_private_segment_size 0
		.amdhsa_uses_dynamic_stack 0
		.amdhsa_enable_private_segment 0
		.amdhsa_system_sgpr_workgroup_id_x 1
		.amdhsa_system_sgpr_workgroup_id_y 0
		.amdhsa_system_sgpr_workgroup_id_z 0
		.amdhsa_system_sgpr_workgroup_info 0
		.amdhsa_system_vgpr_workitem_id 0
		.amdhsa_next_free_vgpr 1
		.amdhsa_next_free_sgpr 0
		.amdhsa_accum_offset 4
		.amdhsa_reserve_vcc 0
		.amdhsa_float_round_mode_32 0
		.amdhsa_float_round_mode_16_64 0
		.amdhsa_float_denorm_mode_32 3
		.amdhsa_float_denorm_mode_16_64 3
		.amdhsa_dx10_clamp 1
		.amdhsa_ieee_mode 1
		.amdhsa_fp16_overflow 0
		.amdhsa_tg_split 0
		.amdhsa_exception_fp_ieee_invalid_op 0
		.amdhsa_exception_fp_denorm_src 0
		.amdhsa_exception_fp_ieee_div_zero 0
		.amdhsa_exception_fp_ieee_overflow 0
		.amdhsa_exception_fp_ieee_underflow 0
		.amdhsa_exception_fp_ieee_inexact 0
		.amdhsa_exception_int_div_zero 0
	.end_amdhsa_kernel
	.section	.text._ZN7rocprim17ROCPRIM_400000_NS6detail17trampoline_kernelINS0_14default_configENS1_25partition_config_selectorILNS1_17partition_subalgoE0ExNS0_10empty_typeEbEEZZNS1_14partition_implILS5_0ELb0ES3_jN6thrust23THRUST_200600_302600_NS6detail15normal_iteratorINSA_10device_ptrIxEEEEPS6_SG_NS0_5tupleIJSF_SF_EEENSH_IJSG_SG_EEES6_PlJ7is_evenIxEEEE10hipError_tPvRmT3_T4_T5_T6_T7_T9_mT8_P12ihipStream_tbDpT10_ENKUlT_T0_E_clISt17integral_constantIbLb0EES15_IbLb1EEEEDaS11_S12_EUlS11_E_NS1_11comp_targetILNS1_3genE4ELNS1_11target_archE910ELNS1_3gpuE8ELNS1_3repE0EEENS1_30default_config_static_selectorELNS0_4arch9wavefront6targetE1EEEvT1_,"axG",@progbits,_ZN7rocprim17ROCPRIM_400000_NS6detail17trampoline_kernelINS0_14default_configENS1_25partition_config_selectorILNS1_17partition_subalgoE0ExNS0_10empty_typeEbEEZZNS1_14partition_implILS5_0ELb0ES3_jN6thrust23THRUST_200600_302600_NS6detail15normal_iteratorINSA_10device_ptrIxEEEEPS6_SG_NS0_5tupleIJSF_SF_EEENSH_IJSG_SG_EEES6_PlJ7is_evenIxEEEE10hipError_tPvRmT3_T4_T5_T6_T7_T9_mT8_P12ihipStream_tbDpT10_ENKUlT_T0_E_clISt17integral_constantIbLb0EES15_IbLb1EEEEDaS11_S12_EUlS11_E_NS1_11comp_targetILNS1_3genE4ELNS1_11target_archE910ELNS1_3gpuE8ELNS1_3repE0EEENS1_30default_config_static_selectorELNS0_4arch9wavefront6targetE1EEEvT1_,comdat
.Lfunc_end315:
	.size	_ZN7rocprim17ROCPRIM_400000_NS6detail17trampoline_kernelINS0_14default_configENS1_25partition_config_selectorILNS1_17partition_subalgoE0ExNS0_10empty_typeEbEEZZNS1_14partition_implILS5_0ELb0ES3_jN6thrust23THRUST_200600_302600_NS6detail15normal_iteratorINSA_10device_ptrIxEEEEPS6_SG_NS0_5tupleIJSF_SF_EEENSH_IJSG_SG_EEES6_PlJ7is_evenIxEEEE10hipError_tPvRmT3_T4_T5_T6_T7_T9_mT8_P12ihipStream_tbDpT10_ENKUlT_T0_E_clISt17integral_constantIbLb0EES15_IbLb1EEEEDaS11_S12_EUlS11_E_NS1_11comp_targetILNS1_3genE4ELNS1_11target_archE910ELNS1_3gpuE8ELNS1_3repE0EEENS1_30default_config_static_selectorELNS0_4arch9wavefront6targetE1EEEvT1_, .Lfunc_end315-_ZN7rocprim17ROCPRIM_400000_NS6detail17trampoline_kernelINS0_14default_configENS1_25partition_config_selectorILNS1_17partition_subalgoE0ExNS0_10empty_typeEbEEZZNS1_14partition_implILS5_0ELb0ES3_jN6thrust23THRUST_200600_302600_NS6detail15normal_iteratorINSA_10device_ptrIxEEEEPS6_SG_NS0_5tupleIJSF_SF_EEENSH_IJSG_SG_EEES6_PlJ7is_evenIxEEEE10hipError_tPvRmT3_T4_T5_T6_T7_T9_mT8_P12ihipStream_tbDpT10_ENKUlT_T0_E_clISt17integral_constantIbLb0EES15_IbLb1EEEEDaS11_S12_EUlS11_E_NS1_11comp_targetILNS1_3genE4ELNS1_11target_archE910ELNS1_3gpuE8ELNS1_3repE0EEENS1_30default_config_static_selectorELNS0_4arch9wavefront6targetE1EEEvT1_
                                        ; -- End function
	.section	.AMDGPU.csdata,"",@progbits
; Kernel info:
; codeLenInByte = 0
; NumSgprs: 6
; NumVgprs: 0
; NumAgprs: 0
; TotalNumVgprs: 0
; ScratchSize: 0
; MemoryBound: 0
; FloatMode: 240
; IeeeMode: 1
; LDSByteSize: 0 bytes/workgroup (compile time only)
; SGPRBlocks: 0
; VGPRBlocks: 0
; NumSGPRsForWavesPerEU: 6
; NumVGPRsForWavesPerEU: 1
; AccumOffset: 4
; Occupancy: 8
; WaveLimiterHint : 0
; COMPUTE_PGM_RSRC2:SCRATCH_EN: 0
; COMPUTE_PGM_RSRC2:USER_SGPR: 2
; COMPUTE_PGM_RSRC2:TRAP_HANDLER: 0
; COMPUTE_PGM_RSRC2:TGID_X_EN: 1
; COMPUTE_PGM_RSRC2:TGID_Y_EN: 0
; COMPUTE_PGM_RSRC2:TGID_Z_EN: 0
; COMPUTE_PGM_RSRC2:TIDIG_COMP_CNT: 0
; COMPUTE_PGM_RSRC3_GFX90A:ACCUM_OFFSET: 0
; COMPUTE_PGM_RSRC3_GFX90A:TG_SPLIT: 0
	.section	.text._ZN7rocprim17ROCPRIM_400000_NS6detail17trampoline_kernelINS0_14default_configENS1_25partition_config_selectorILNS1_17partition_subalgoE0ExNS0_10empty_typeEbEEZZNS1_14partition_implILS5_0ELb0ES3_jN6thrust23THRUST_200600_302600_NS6detail15normal_iteratorINSA_10device_ptrIxEEEEPS6_SG_NS0_5tupleIJSF_SF_EEENSH_IJSG_SG_EEES6_PlJ7is_evenIxEEEE10hipError_tPvRmT3_T4_T5_T6_T7_T9_mT8_P12ihipStream_tbDpT10_ENKUlT_T0_E_clISt17integral_constantIbLb0EES15_IbLb1EEEEDaS11_S12_EUlS11_E_NS1_11comp_targetILNS1_3genE3ELNS1_11target_archE908ELNS1_3gpuE7ELNS1_3repE0EEENS1_30default_config_static_selectorELNS0_4arch9wavefront6targetE1EEEvT1_,"axG",@progbits,_ZN7rocprim17ROCPRIM_400000_NS6detail17trampoline_kernelINS0_14default_configENS1_25partition_config_selectorILNS1_17partition_subalgoE0ExNS0_10empty_typeEbEEZZNS1_14partition_implILS5_0ELb0ES3_jN6thrust23THRUST_200600_302600_NS6detail15normal_iteratorINSA_10device_ptrIxEEEEPS6_SG_NS0_5tupleIJSF_SF_EEENSH_IJSG_SG_EEES6_PlJ7is_evenIxEEEE10hipError_tPvRmT3_T4_T5_T6_T7_T9_mT8_P12ihipStream_tbDpT10_ENKUlT_T0_E_clISt17integral_constantIbLb0EES15_IbLb1EEEEDaS11_S12_EUlS11_E_NS1_11comp_targetILNS1_3genE3ELNS1_11target_archE908ELNS1_3gpuE7ELNS1_3repE0EEENS1_30default_config_static_selectorELNS0_4arch9wavefront6targetE1EEEvT1_,comdat
	.protected	_ZN7rocprim17ROCPRIM_400000_NS6detail17trampoline_kernelINS0_14default_configENS1_25partition_config_selectorILNS1_17partition_subalgoE0ExNS0_10empty_typeEbEEZZNS1_14partition_implILS5_0ELb0ES3_jN6thrust23THRUST_200600_302600_NS6detail15normal_iteratorINSA_10device_ptrIxEEEEPS6_SG_NS0_5tupleIJSF_SF_EEENSH_IJSG_SG_EEES6_PlJ7is_evenIxEEEE10hipError_tPvRmT3_T4_T5_T6_T7_T9_mT8_P12ihipStream_tbDpT10_ENKUlT_T0_E_clISt17integral_constantIbLb0EES15_IbLb1EEEEDaS11_S12_EUlS11_E_NS1_11comp_targetILNS1_3genE3ELNS1_11target_archE908ELNS1_3gpuE7ELNS1_3repE0EEENS1_30default_config_static_selectorELNS0_4arch9wavefront6targetE1EEEvT1_ ; -- Begin function _ZN7rocprim17ROCPRIM_400000_NS6detail17trampoline_kernelINS0_14default_configENS1_25partition_config_selectorILNS1_17partition_subalgoE0ExNS0_10empty_typeEbEEZZNS1_14partition_implILS5_0ELb0ES3_jN6thrust23THRUST_200600_302600_NS6detail15normal_iteratorINSA_10device_ptrIxEEEEPS6_SG_NS0_5tupleIJSF_SF_EEENSH_IJSG_SG_EEES6_PlJ7is_evenIxEEEE10hipError_tPvRmT3_T4_T5_T6_T7_T9_mT8_P12ihipStream_tbDpT10_ENKUlT_T0_E_clISt17integral_constantIbLb0EES15_IbLb1EEEEDaS11_S12_EUlS11_E_NS1_11comp_targetILNS1_3genE3ELNS1_11target_archE908ELNS1_3gpuE7ELNS1_3repE0EEENS1_30default_config_static_selectorELNS0_4arch9wavefront6targetE1EEEvT1_
	.globl	_ZN7rocprim17ROCPRIM_400000_NS6detail17trampoline_kernelINS0_14default_configENS1_25partition_config_selectorILNS1_17partition_subalgoE0ExNS0_10empty_typeEbEEZZNS1_14partition_implILS5_0ELb0ES3_jN6thrust23THRUST_200600_302600_NS6detail15normal_iteratorINSA_10device_ptrIxEEEEPS6_SG_NS0_5tupleIJSF_SF_EEENSH_IJSG_SG_EEES6_PlJ7is_evenIxEEEE10hipError_tPvRmT3_T4_T5_T6_T7_T9_mT8_P12ihipStream_tbDpT10_ENKUlT_T0_E_clISt17integral_constantIbLb0EES15_IbLb1EEEEDaS11_S12_EUlS11_E_NS1_11comp_targetILNS1_3genE3ELNS1_11target_archE908ELNS1_3gpuE7ELNS1_3repE0EEENS1_30default_config_static_selectorELNS0_4arch9wavefront6targetE1EEEvT1_
	.p2align	8
	.type	_ZN7rocprim17ROCPRIM_400000_NS6detail17trampoline_kernelINS0_14default_configENS1_25partition_config_selectorILNS1_17partition_subalgoE0ExNS0_10empty_typeEbEEZZNS1_14partition_implILS5_0ELb0ES3_jN6thrust23THRUST_200600_302600_NS6detail15normal_iteratorINSA_10device_ptrIxEEEEPS6_SG_NS0_5tupleIJSF_SF_EEENSH_IJSG_SG_EEES6_PlJ7is_evenIxEEEE10hipError_tPvRmT3_T4_T5_T6_T7_T9_mT8_P12ihipStream_tbDpT10_ENKUlT_T0_E_clISt17integral_constantIbLb0EES15_IbLb1EEEEDaS11_S12_EUlS11_E_NS1_11comp_targetILNS1_3genE3ELNS1_11target_archE908ELNS1_3gpuE7ELNS1_3repE0EEENS1_30default_config_static_selectorELNS0_4arch9wavefront6targetE1EEEvT1_,@function
_ZN7rocprim17ROCPRIM_400000_NS6detail17trampoline_kernelINS0_14default_configENS1_25partition_config_selectorILNS1_17partition_subalgoE0ExNS0_10empty_typeEbEEZZNS1_14partition_implILS5_0ELb0ES3_jN6thrust23THRUST_200600_302600_NS6detail15normal_iteratorINSA_10device_ptrIxEEEEPS6_SG_NS0_5tupleIJSF_SF_EEENSH_IJSG_SG_EEES6_PlJ7is_evenIxEEEE10hipError_tPvRmT3_T4_T5_T6_T7_T9_mT8_P12ihipStream_tbDpT10_ENKUlT_T0_E_clISt17integral_constantIbLb0EES15_IbLb1EEEEDaS11_S12_EUlS11_E_NS1_11comp_targetILNS1_3genE3ELNS1_11target_archE908ELNS1_3gpuE7ELNS1_3repE0EEENS1_30default_config_static_selectorELNS0_4arch9wavefront6targetE1EEEvT1_: ; @_ZN7rocprim17ROCPRIM_400000_NS6detail17trampoline_kernelINS0_14default_configENS1_25partition_config_selectorILNS1_17partition_subalgoE0ExNS0_10empty_typeEbEEZZNS1_14partition_implILS5_0ELb0ES3_jN6thrust23THRUST_200600_302600_NS6detail15normal_iteratorINSA_10device_ptrIxEEEEPS6_SG_NS0_5tupleIJSF_SF_EEENSH_IJSG_SG_EEES6_PlJ7is_evenIxEEEE10hipError_tPvRmT3_T4_T5_T6_T7_T9_mT8_P12ihipStream_tbDpT10_ENKUlT_T0_E_clISt17integral_constantIbLb0EES15_IbLb1EEEEDaS11_S12_EUlS11_E_NS1_11comp_targetILNS1_3genE3ELNS1_11target_archE908ELNS1_3gpuE7ELNS1_3repE0EEENS1_30default_config_static_selectorELNS0_4arch9wavefront6targetE1EEEvT1_
; %bb.0:
	.section	.rodata,"a",@progbits
	.p2align	6, 0x0
	.amdhsa_kernel _ZN7rocprim17ROCPRIM_400000_NS6detail17trampoline_kernelINS0_14default_configENS1_25partition_config_selectorILNS1_17partition_subalgoE0ExNS0_10empty_typeEbEEZZNS1_14partition_implILS5_0ELb0ES3_jN6thrust23THRUST_200600_302600_NS6detail15normal_iteratorINSA_10device_ptrIxEEEEPS6_SG_NS0_5tupleIJSF_SF_EEENSH_IJSG_SG_EEES6_PlJ7is_evenIxEEEE10hipError_tPvRmT3_T4_T5_T6_T7_T9_mT8_P12ihipStream_tbDpT10_ENKUlT_T0_E_clISt17integral_constantIbLb0EES15_IbLb1EEEEDaS11_S12_EUlS11_E_NS1_11comp_targetILNS1_3genE3ELNS1_11target_archE908ELNS1_3gpuE7ELNS1_3repE0EEENS1_30default_config_static_selectorELNS0_4arch9wavefront6targetE1EEEvT1_
		.amdhsa_group_segment_fixed_size 0
		.amdhsa_private_segment_fixed_size 0
		.amdhsa_kernarg_size 136
		.amdhsa_user_sgpr_count 2
		.amdhsa_user_sgpr_dispatch_ptr 0
		.amdhsa_user_sgpr_queue_ptr 0
		.amdhsa_user_sgpr_kernarg_segment_ptr 1
		.amdhsa_user_sgpr_dispatch_id 0
		.amdhsa_user_sgpr_kernarg_preload_length 0
		.amdhsa_user_sgpr_kernarg_preload_offset 0
		.amdhsa_user_sgpr_private_segment_size 0
		.amdhsa_uses_dynamic_stack 0
		.amdhsa_enable_private_segment 0
		.amdhsa_system_sgpr_workgroup_id_x 1
		.amdhsa_system_sgpr_workgroup_id_y 0
		.amdhsa_system_sgpr_workgroup_id_z 0
		.amdhsa_system_sgpr_workgroup_info 0
		.amdhsa_system_vgpr_workitem_id 0
		.amdhsa_next_free_vgpr 1
		.amdhsa_next_free_sgpr 0
		.amdhsa_accum_offset 4
		.amdhsa_reserve_vcc 0
		.amdhsa_float_round_mode_32 0
		.amdhsa_float_round_mode_16_64 0
		.amdhsa_float_denorm_mode_32 3
		.amdhsa_float_denorm_mode_16_64 3
		.amdhsa_dx10_clamp 1
		.amdhsa_ieee_mode 1
		.amdhsa_fp16_overflow 0
		.amdhsa_tg_split 0
		.amdhsa_exception_fp_ieee_invalid_op 0
		.amdhsa_exception_fp_denorm_src 0
		.amdhsa_exception_fp_ieee_div_zero 0
		.amdhsa_exception_fp_ieee_overflow 0
		.amdhsa_exception_fp_ieee_underflow 0
		.amdhsa_exception_fp_ieee_inexact 0
		.amdhsa_exception_int_div_zero 0
	.end_amdhsa_kernel
	.section	.text._ZN7rocprim17ROCPRIM_400000_NS6detail17trampoline_kernelINS0_14default_configENS1_25partition_config_selectorILNS1_17partition_subalgoE0ExNS0_10empty_typeEbEEZZNS1_14partition_implILS5_0ELb0ES3_jN6thrust23THRUST_200600_302600_NS6detail15normal_iteratorINSA_10device_ptrIxEEEEPS6_SG_NS0_5tupleIJSF_SF_EEENSH_IJSG_SG_EEES6_PlJ7is_evenIxEEEE10hipError_tPvRmT3_T4_T5_T6_T7_T9_mT8_P12ihipStream_tbDpT10_ENKUlT_T0_E_clISt17integral_constantIbLb0EES15_IbLb1EEEEDaS11_S12_EUlS11_E_NS1_11comp_targetILNS1_3genE3ELNS1_11target_archE908ELNS1_3gpuE7ELNS1_3repE0EEENS1_30default_config_static_selectorELNS0_4arch9wavefront6targetE1EEEvT1_,"axG",@progbits,_ZN7rocprim17ROCPRIM_400000_NS6detail17trampoline_kernelINS0_14default_configENS1_25partition_config_selectorILNS1_17partition_subalgoE0ExNS0_10empty_typeEbEEZZNS1_14partition_implILS5_0ELb0ES3_jN6thrust23THRUST_200600_302600_NS6detail15normal_iteratorINSA_10device_ptrIxEEEEPS6_SG_NS0_5tupleIJSF_SF_EEENSH_IJSG_SG_EEES6_PlJ7is_evenIxEEEE10hipError_tPvRmT3_T4_T5_T6_T7_T9_mT8_P12ihipStream_tbDpT10_ENKUlT_T0_E_clISt17integral_constantIbLb0EES15_IbLb1EEEEDaS11_S12_EUlS11_E_NS1_11comp_targetILNS1_3genE3ELNS1_11target_archE908ELNS1_3gpuE7ELNS1_3repE0EEENS1_30default_config_static_selectorELNS0_4arch9wavefront6targetE1EEEvT1_,comdat
.Lfunc_end316:
	.size	_ZN7rocprim17ROCPRIM_400000_NS6detail17trampoline_kernelINS0_14default_configENS1_25partition_config_selectorILNS1_17partition_subalgoE0ExNS0_10empty_typeEbEEZZNS1_14partition_implILS5_0ELb0ES3_jN6thrust23THRUST_200600_302600_NS6detail15normal_iteratorINSA_10device_ptrIxEEEEPS6_SG_NS0_5tupleIJSF_SF_EEENSH_IJSG_SG_EEES6_PlJ7is_evenIxEEEE10hipError_tPvRmT3_T4_T5_T6_T7_T9_mT8_P12ihipStream_tbDpT10_ENKUlT_T0_E_clISt17integral_constantIbLb0EES15_IbLb1EEEEDaS11_S12_EUlS11_E_NS1_11comp_targetILNS1_3genE3ELNS1_11target_archE908ELNS1_3gpuE7ELNS1_3repE0EEENS1_30default_config_static_selectorELNS0_4arch9wavefront6targetE1EEEvT1_, .Lfunc_end316-_ZN7rocprim17ROCPRIM_400000_NS6detail17trampoline_kernelINS0_14default_configENS1_25partition_config_selectorILNS1_17partition_subalgoE0ExNS0_10empty_typeEbEEZZNS1_14partition_implILS5_0ELb0ES3_jN6thrust23THRUST_200600_302600_NS6detail15normal_iteratorINSA_10device_ptrIxEEEEPS6_SG_NS0_5tupleIJSF_SF_EEENSH_IJSG_SG_EEES6_PlJ7is_evenIxEEEE10hipError_tPvRmT3_T4_T5_T6_T7_T9_mT8_P12ihipStream_tbDpT10_ENKUlT_T0_E_clISt17integral_constantIbLb0EES15_IbLb1EEEEDaS11_S12_EUlS11_E_NS1_11comp_targetILNS1_3genE3ELNS1_11target_archE908ELNS1_3gpuE7ELNS1_3repE0EEENS1_30default_config_static_selectorELNS0_4arch9wavefront6targetE1EEEvT1_
                                        ; -- End function
	.section	.AMDGPU.csdata,"",@progbits
; Kernel info:
; codeLenInByte = 0
; NumSgprs: 6
; NumVgprs: 0
; NumAgprs: 0
; TotalNumVgprs: 0
; ScratchSize: 0
; MemoryBound: 0
; FloatMode: 240
; IeeeMode: 1
; LDSByteSize: 0 bytes/workgroup (compile time only)
; SGPRBlocks: 0
; VGPRBlocks: 0
; NumSGPRsForWavesPerEU: 6
; NumVGPRsForWavesPerEU: 1
; AccumOffset: 4
; Occupancy: 8
; WaveLimiterHint : 0
; COMPUTE_PGM_RSRC2:SCRATCH_EN: 0
; COMPUTE_PGM_RSRC2:USER_SGPR: 2
; COMPUTE_PGM_RSRC2:TRAP_HANDLER: 0
; COMPUTE_PGM_RSRC2:TGID_X_EN: 1
; COMPUTE_PGM_RSRC2:TGID_Y_EN: 0
; COMPUTE_PGM_RSRC2:TGID_Z_EN: 0
; COMPUTE_PGM_RSRC2:TIDIG_COMP_CNT: 0
; COMPUTE_PGM_RSRC3_GFX90A:ACCUM_OFFSET: 0
; COMPUTE_PGM_RSRC3_GFX90A:TG_SPLIT: 0
	.section	.text._ZN7rocprim17ROCPRIM_400000_NS6detail17trampoline_kernelINS0_14default_configENS1_25partition_config_selectorILNS1_17partition_subalgoE0ExNS0_10empty_typeEbEEZZNS1_14partition_implILS5_0ELb0ES3_jN6thrust23THRUST_200600_302600_NS6detail15normal_iteratorINSA_10device_ptrIxEEEEPS6_SG_NS0_5tupleIJSF_SF_EEENSH_IJSG_SG_EEES6_PlJ7is_evenIxEEEE10hipError_tPvRmT3_T4_T5_T6_T7_T9_mT8_P12ihipStream_tbDpT10_ENKUlT_T0_E_clISt17integral_constantIbLb0EES15_IbLb1EEEEDaS11_S12_EUlS11_E_NS1_11comp_targetILNS1_3genE2ELNS1_11target_archE906ELNS1_3gpuE6ELNS1_3repE0EEENS1_30default_config_static_selectorELNS0_4arch9wavefront6targetE1EEEvT1_,"axG",@progbits,_ZN7rocprim17ROCPRIM_400000_NS6detail17trampoline_kernelINS0_14default_configENS1_25partition_config_selectorILNS1_17partition_subalgoE0ExNS0_10empty_typeEbEEZZNS1_14partition_implILS5_0ELb0ES3_jN6thrust23THRUST_200600_302600_NS6detail15normal_iteratorINSA_10device_ptrIxEEEEPS6_SG_NS0_5tupleIJSF_SF_EEENSH_IJSG_SG_EEES6_PlJ7is_evenIxEEEE10hipError_tPvRmT3_T4_T5_T6_T7_T9_mT8_P12ihipStream_tbDpT10_ENKUlT_T0_E_clISt17integral_constantIbLb0EES15_IbLb1EEEEDaS11_S12_EUlS11_E_NS1_11comp_targetILNS1_3genE2ELNS1_11target_archE906ELNS1_3gpuE6ELNS1_3repE0EEENS1_30default_config_static_selectorELNS0_4arch9wavefront6targetE1EEEvT1_,comdat
	.protected	_ZN7rocprim17ROCPRIM_400000_NS6detail17trampoline_kernelINS0_14default_configENS1_25partition_config_selectorILNS1_17partition_subalgoE0ExNS0_10empty_typeEbEEZZNS1_14partition_implILS5_0ELb0ES3_jN6thrust23THRUST_200600_302600_NS6detail15normal_iteratorINSA_10device_ptrIxEEEEPS6_SG_NS0_5tupleIJSF_SF_EEENSH_IJSG_SG_EEES6_PlJ7is_evenIxEEEE10hipError_tPvRmT3_T4_T5_T6_T7_T9_mT8_P12ihipStream_tbDpT10_ENKUlT_T0_E_clISt17integral_constantIbLb0EES15_IbLb1EEEEDaS11_S12_EUlS11_E_NS1_11comp_targetILNS1_3genE2ELNS1_11target_archE906ELNS1_3gpuE6ELNS1_3repE0EEENS1_30default_config_static_selectorELNS0_4arch9wavefront6targetE1EEEvT1_ ; -- Begin function _ZN7rocprim17ROCPRIM_400000_NS6detail17trampoline_kernelINS0_14default_configENS1_25partition_config_selectorILNS1_17partition_subalgoE0ExNS0_10empty_typeEbEEZZNS1_14partition_implILS5_0ELb0ES3_jN6thrust23THRUST_200600_302600_NS6detail15normal_iteratorINSA_10device_ptrIxEEEEPS6_SG_NS0_5tupleIJSF_SF_EEENSH_IJSG_SG_EEES6_PlJ7is_evenIxEEEE10hipError_tPvRmT3_T4_T5_T6_T7_T9_mT8_P12ihipStream_tbDpT10_ENKUlT_T0_E_clISt17integral_constantIbLb0EES15_IbLb1EEEEDaS11_S12_EUlS11_E_NS1_11comp_targetILNS1_3genE2ELNS1_11target_archE906ELNS1_3gpuE6ELNS1_3repE0EEENS1_30default_config_static_selectorELNS0_4arch9wavefront6targetE1EEEvT1_
	.globl	_ZN7rocprim17ROCPRIM_400000_NS6detail17trampoline_kernelINS0_14default_configENS1_25partition_config_selectorILNS1_17partition_subalgoE0ExNS0_10empty_typeEbEEZZNS1_14partition_implILS5_0ELb0ES3_jN6thrust23THRUST_200600_302600_NS6detail15normal_iteratorINSA_10device_ptrIxEEEEPS6_SG_NS0_5tupleIJSF_SF_EEENSH_IJSG_SG_EEES6_PlJ7is_evenIxEEEE10hipError_tPvRmT3_T4_T5_T6_T7_T9_mT8_P12ihipStream_tbDpT10_ENKUlT_T0_E_clISt17integral_constantIbLb0EES15_IbLb1EEEEDaS11_S12_EUlS11_E_NS1_11comp_targetILNS1_3genE2ELNS1_11target_archE906ELNS1_3gpuE6ELNS1_3repE0EEENS1_30default_config_static_selectorELNS0_4arch9wavefront6targetE1EEEvT1_
	.p2align	8
	.type	_ZN7rocprim17ROCPRIM_400000_NS6detail17trampoline_kernelINS0_14default_configENS1_25partition_config_selectorILNS1_17partition_subalgoE0ExNS0_10empty_typeEbEEZZNS1_14partition_implILS5_0ELb0ES3_jN6thrust23THRUST_200600_302600_NS6detail15normal_iteratorINSA_10device_ptrIxEEEEPS6_SG_NS0_5tupleIJSF_SF_EEENSH_IJSG_SG_EEES6_PlJ7is_evenIxEEEE10hipError_tPvRmT3_T4_T5_T6_T7_T9_mT8_P12ihipStream_tbDpT10_ENKUlT_T0_E_clISt17integral_constantIbLb0EES15_IbLb1EEEEDaS11_S12_EUlS11_E_NS1_11comp_targetILNS1_3genE2ELNS1_11target_archE906ELNS1_3gpuE6ELNS1_3repE0EEENS1_30default_config_static_selectorELNS0_4arch9wavefront6targetE1EEEvT1_,@function
_ZN7rocprim17ROCPRIM_400000_NS6detail17trampoline_kernelINS0_14default_configENS1_25partition_config_selectorILNS1_17partition_subalgoE0ExNS0_10empty_typeEbEEZZNS1_14partition_implILS5_0ELb0ES3_jN6thrust23THRUST_200600_302600_NS6detail15normal_iteratorINSA_10device_ptrIxEEEEPS6_SG_NS0_5tupleIJSF_SF_EEENSH_IJSG_SG_EEES6_PlJ7is_evenIxEEEE10hipError_tPvRmT3_T4_T5_T6_T7_T9_mT8_P12ihipStream_tbDpT10_ENKUlT_T0_E_clISt17integral_constantIbLb0EES15_IbLb1EEEEDaS11_S12_EUlS11_E_NS1_11comp_targetILNS1_3genE2ELNS1_11target_archE906ELNS1_3gpuE6ELNS1_3repE0EEENS1_30default_config_static_selectorELNS0_4arch9wavefront6targetE1EEEvT1_: ; @_ZN7rocprim17ROCPRIM_400000_NS6detail17trampoline_kernelINS0_14default_configENS1_25partition_config_selectorILNS1_17partition_subalgoE0ExNS0_10empty_typeEbEEZZNS1_14partition_implILS5_0ELb0ES3_jN6thrust23THRUST_200600_302600_NS6detail15normal_iteratorINSA_10device_ptrIxEEEEPS6_SG_NS0_5tupleIJSF_SF_EEENSH_IJSG_SG_EEES6_PlJ7is_evenIxEEEE10hipError_tPvRmT3_T4_T5_T6_T7_T9_mT8_P12ihipStream_tbDpT10_ENKUlT_T0_E_clISt17integral_constantIbLb0EES15_IbLb1EEEEDaS11_S12_EUlS11_E_NS1_11comp_targetILNS1_3genE2ELNS1_11target_archE906ELNS1_3gpuE6ELNS1_3repE0EEENS1_30default_config_static_selectorELNS0_4arch9wavefront6targetE1EEEvT1_
; %bb.0:
	.section	.rodata,"a",@progbits
	.p2align	6, 0x0
	.amdhsa_kernel _ZN7rocprim17ROCPRIM_400000_NS6detail17trampoline_kernelINS0_14default_configENS1_25partition_config_selectorILNS1_17partition_subalgoE0ExNS0_10empty_typeEbEEZZNS1_14partition_implILS5_0ELb0ES3_jN6thrust23THRUST_200600_302600_NS6detail15normal_iteratorINSA_10device_ptrIxEEEEPS6_SG_NS0_5tupleIJSF_SF_EEENSH_IJSG_SG_EEES6_PlJ7is_evenIxEEEE10hipError_tPvRmT3_T4_T5_T6_T7_T9_mT8_P12ihipStream_tbDpT10_ENKUlT_T0_E_clISt17integral_constantIbLb0EES15_IbLb1EEEEDaS11_S12_EUlS11_E_NS1_11comp_targetILNS1_3genE2ELNS1_11target_archE906ELNS1_3gpuE6ELNS1_3repE0EEENS1_30default_config_static_selectorELNS0_4arch9wavefront6targetE1EEEvT1_
		.amdhsa_group_segment_fixed_size 0
		.amdhsa_private_segment_fixed_size 0
		.amdhsa_kernarg_size 136
		.amdhsa_user_sgpr_count 2
		.amdhsa_user_sgpr_dispatch_ptr 0
		.amdhsa_user_sgpr_queue_ptr 0
		.amdhsa_user_sgpr_kernarg_segment_ptr 1
		.amdhsa_user_sgpr_dispatch_id 0
		.amdhsa_user_sgpr_kernarg_preload_length 0
		.amdhsa_user_sgpr_kernarg_preload_offset 0
		.amdhsa_user_sgpr_private_segment_size 0
		.amdhsa_uses_dynamic_stack 0
		.amdhsa_enable_private_segment 0
		.amdhsa_system_sgpr_workgroup_id_x 1
		.amdhsa_system_sgpr_workgroup_id_y 0
		.amdhsa_system_sgpr_workgroup_id_z 0
		.amdhsa_system_sgpr_workgroup_info 0
		.amdhsa_system_vgpr_workitem_id 0
		.amdhsa_next_free_vgpr 1
		.amdhsa_next_free_sgpr 0
		.amdhsa_accum_offset 4
		.amdhsa_reserve_vcc 0
		.amdhsa_float_round_mode_32 0
		.amdhsa_float_round_mode_16_64 0
		.amdhsa_float_denorm_mode_32 3
		.amdhsa_float_denorm_mode_16_64 3
		.amdhsa_dx10_clamp 1
		.amdhsa_ieee_mode 1
		.amdhsa_fp16_overflow 0
		.amdhsa_tg_split 0
		.amdhsa_exception_fp_ieee_invalid_op 0
		.amdhsa_exception_fp_denorm_src 0
		.amdhsa_exception_fp_ieee_div_zero 0
		.amdhsa_exception_fp_ieee_overflow 0
		.amdhsa_exception_fp_ieee_underflow 0
		.amdhsa_exception_fp_ieee_inexact 0
		.amdhsa_exception_int_div_zero 0
	.end_amdhsa_kernel
	.section	.text._ZN7rocprim17ROCPRIM_400000_NS6detail17trampoline_kernelINS0_14default_configENS1_25partition_config_selectorILNS1_17partition_subalgoE0ExNS0_10empty_typeEbEEZZNS1_14partition_implILS5_0ELb0ES3_jN6thrust23THRUST_200600_302600_NS6detail15normal_iteratorINSA_10device_ptrIxEEEEPS6_SG_NS0_5tupleIJSF_SF_EEENSH_IJSG_SG_EEES6_PlJ7is_evenIxEEEE10hipError_tPvRmT3_T4_T5_T6_T7_T9_mT8_P12ihipStream_tbDpT10_ENKUlT_T0_E_clISt17integral_constantIbLb0EES15_IbLb1EEEEDaS11_S12_EUlS11_E_NS1_11comp_targetILNS1_3genE2ELNS1_11target_archE906ELNS1_3gpuE6ELNS1_3repE0EEENS1_30default_config_static_selectorELNS0_4arch9wavefront6targetE1EEEvT1_,"axG",@progbits,_ZN7rocprim17ROCPRIM_400000_NS6detail17trampoline_kernelINS0_14default_configENS1_25partition_config_selectorILNS1_17partition_subalgoE0ExNS0_10empty_typeEbEEZZNS1_14partition_implILS5_0ELb0ES3_jN6thrust23THRUST_200600_302600_NS6detail15normal_iteratorINSA_10device_ptrIxEEEEPS6_SG_NS0_5tupleIJSF_SF_EEENSH_IJSG_SG_EEES6_PlJ7is_evenIxEEEE10hipError_tPvRmT3_T4_T5_T6_T7_T9_mT8_P12ihipStream_tbDpT10_ENKUlT_T0_E_clISt17integral_constantIbLb0EES15_IbLb1EEEEDaS11_S12_EUlS11_E_NS1_11comp_targetILNS1_3genE2ELNS1_11target_archE906ELNS1_3gpuE6ELNS1_3repE0EEENS1_30default_config_static_selectorELNS0_4arch9wavefront6targetE1EEEvT1_,comdat
.Lfunc_end317:
	.size	_ZN7rocprim17ROCPRIM_400000_NS6detail17trampoline_kernelINS0_14default_configENS1_25partition_config_selectorILNS1_17partition_subalgoE0ExNS0_10empty_typeEbEEZZNS1_14partition_implILS5_0ELb0ES3_jN6thrust23THRUST_200600_302600_NS6detail15normal_iteratorINSA_10device_ptrIxEEEEPS6_SG_NS0_5tupleIJSF_SF_EEENSH_IJSG_SG_EEES6_PlJ7is_evenIxEEEE10hipError_tPvRmT3_T4_T5_T6_T7_T9_mT8_P12ihipStream_tbDpT10_ENKUlT_T0_E_clISt17integral_constantIbLb0EES15_IbLb1EEEEDaS11_S12_EUlS11_E_NS1_11comp_targetILNS1_3genE2ELNS1_11target_archE906ELNS1_3gpuE6ELNS1_3repE0EEENS1_30default_config_static_selectorELNS0_4arch9wavefront6targetE1EEEvT1_, .Lfunc_end317-_ZN7rocprim17ROCPRIM_400000_NS6detail17trampoline_kernelINS0_14default_configENS1_25partition_config_selectorILNS1_17partition_subalgoE0ExNS0_10empty_typeEbEEZZNS1_14partition_implILS5_0ELb0ES3_jN6thrust23THRUST_200600_302600_NS6detail15normal_iteratorINSA_10device_ptrIxEEEEPS6_SG_NS0_5tupleIJSF_SF_EEENSH_IJSG_SG_EEES6_PlJ7is_evenIxEEEE10hipError_tPvRmT3_T4_T5_T6_T7_T9_mT8_P12ihipStream_tbDpT10_ENKUlT_T0_E_clISt17integral_constantIbLb0EES15_IbLb1EEEEDaS11_S12_EUlS11_E_NS1_11comp_targetILNS1_3genE2ELNS1_11target_archE906ELNS1_3gpuE6ELNS1_3repE0EEENS1_30default_config_static_selectorELNS0_4arch9wavefront6targetE1EEEvT1_
                                        ; -- End function
	.section	.AMDGPU.csdata,"",@progbits
; Kernel info:
; codeLenInByte = 0
; NumSgprs: 6
; NumVgprs: 0
; NumAgprs: 0
; TotalNumVgprs: 0
; ScratchSize: 0
; MemoryBound: 0
; FloatMode: 240
; IeeeMode: 1
; LDSByteSize: 0 bytes/workgroup (compile time only)
; SGPRBlocks: 0
; VGPRBlocks: 0
; NumSGPRsForWavesPerEU: 6
; NumVGPRsForWavesPerEU: 1
; AccumOffset: 4
; Occupancy: 8
; WaveLimiterHint : 0
; COMPUTE_PGM_RSRC2:SCRATCH_EN: 0
; COMPUTE_PGM_RSRC2:USER_SGPR: 2
; COMPUTE_PGM_RSRC2:TRAP_HANDLER: 0
; COMPUTE_PGM_RSRC2:TGID_X_EN: 1
; COMPUTE_PGM_RSRC2:TGID_Y_EN: 0
; COMPUTE_PGM_RSRC2:TGID_Z_EN: 0
; COMPUTE_PGM_RSRC2:TIDIG_COMP_CNT: 0
; COMPUTE_PGM_RSRC3_GFX90A:ACCUM_OFFSET: 0
; COMPUTE_PGM_RSRC3_GFX90A:TG_SPLIT: 0
	.section	.text._ZN7rocprim17ROCPRIM_400000_NS6detail17trampoline_kernelINS0_14default_configENS1_25partition_config_selectorILNS1_17partition_subalgoE0ExNS0_10empty_typeEbEEZZNS1_14partition_implILS5_0ELb0ES3_jN6thrust23THRUST_200600_302600_NS6detail15normal_iteratorINSA_10device_ptrIxEEEEPS6_SG_NS0_5tupleIJSF_SF_EEENSH_IJSG_SG_EEES6_PlJ7is_evenIxEEEE10hipError_tPvRmT3_T4_T5_T6_T7_T9_mT8_P12ihipStream_tbDpT10_ENKUlT_T0_E_clISt17integral_constantIbLb0EES15_IbLb1EEEEDaS11_S12_EUlS11_E_NS1_11comp_targetILNS1_3genE10ELNS1_11target_archE1200ELNS1_3gpuE4ELNS1_3repE0EEENS1_30default_config_static_selectorELNS0_4arch9wavefront6targetE1EEEvT1_,"axG",@progbits,_ZN7rocprim17ROCPRIM_400000_NS6detail17trampoline_kernelINS0_14default_configENS1_25partition_config_selectorILNS1_17partition_subalgoE0ExNS0_10empty_typeEbEEZZNS1_14partition_implILS5_0ELb0ES3_jN6thrust23THRUST_200600_302600_NS6detail15normal_iteratorINSA_10device_ptrIxEEEEPS6_SG_NS0_5tupleIJSF_SF_EEENSH_IJSG_SG_EEES6_PlJ7is_evenIxEEEE10hipError_tPvRmT3_T4_T5_T6_T7_T9_mT8_P12ihipStream_tbDpT10_ENKUlT_T0_E_clISt17integral_constantIbLb0EES15_IbLb1EEEEDaS11_S12_EUlS11_E_NS1_11comp_targetILNS1_3genE10ELNS1_11target_archE1200ELNS1_3gpuE4ELNS1_3repE0EEENS1_30default_config_static_selectorELNS0_4arch9wavefront6targetE1EEEvT1_,comdat
	.protected	_ZN7rocprim17ROCPRIM_400000_NS6detail17trampoline_kernelINS0_14default_configENS1_25partition_config_selectorILNS1_17partition_subalgoE0ExNS0_10empty_typeEbEEZZNS1_14partition_implILS5_0ELb0ES3_jN6thrust23THRUST_200600_302600_NS6detail15normal_iteratorINSA_10device_ptrIxEEEEPS6_SG_NS0_5tupleIJSF_SF_EEENSH_IJSG_SG_EEES6_PlJ7is_evenIxEEEE10hipError_tPvRmT3_T4_T5_T6_T7_T9_mT8_P12ihipStream_tbDpT10_ENKUlT_T0_E_clISt17integral_constantIbLb0EES15_IbLb1EEEEDaS11_S12_EUlS11_E_NS1_11comp_targetILNS1_3genE10ELNS1_11target_archE1200ELNS1_3gpuE4ELNS1_3repE0EEENS1_30default_config_static_selectorELNS0_4arch9wavefront6targetE1EEEvT1_ ; -- Begin function _ZN7rocprim17ROCPRIM_400000_NS6detail17trampoline_kernelINS0_14default_configENS1_25partition_config_selectorILNS1_17partition_subalgoE0ExNS0_10empty_typeEbEEZZNS1_14partition_implILS5_0ELb0ES3_jN6thrust23THRUST_200600_302600_NS6detail15normal_iteratorINSA_10device_ptrIxEEEEPS6_SG_NS0_5tupleIJSF_SF_EEENSH_IJSG_SG_EEES6_PlJ7is_evenIxEEEE10hipError_tPvRmT3_T4_T5_T6_T7_T9_mT8_P12ihipStream_tbDpT10_ENKUlT_T0_E_clISt17integral_constantIbLb0EES15_IbLb1EEEEDaS11_S12_EUlS11_E_NS1_11comp_targetILNS1_3genE10ELNS1_11target_archE1200ELNS1_3gpuE4ELNS1_3repE0EEENS1_30default_config_static_selectorELNS0_4arch9wavefront6targetE1EEEvT1_
	.globl	_ZN7rocprim17ROCPRIM_400000_NS6detail17trampoline_kernelINS0_14default_configENS1_25partition_config_selectorILNS1_17partition_subalgoE0ExNS0_10empty_typeEbEEZZNS1_14partition_implILS5_0ELb0ES3_jN6thrust23THRUST_200600_302600_NS6detail15normal_iteratorINSA_10device_ptrIxEEEEPS6_SG_NS0_5tupleIJSF_SF_EEENSH_IJSG_SG_EEES6_PlJ7is_evenIxEEEE10hipError_tPvRmT3_T4_T5_T6_T7_T9_mT8_P12ihipStream_tbDpT10_ENKUlT_T0_E_clISt17integral_constantIbLb0EES15_IbLb1EEEEDaS11_S12_EUlS11_E_NS1_11comp_targetILNS1_3genE10ELNS1_11target_archE1200ELNS1_3gpuE4ELNS1_3repE0EEENS1_30default_config_static_selectorELNS0_4arch9wavefront6targetE1EEEvT1_
	.p2align	8
	.type	_ZN7rocprim17ROCPRIM_400000_NS6detail17trampoline_kernelINS0_14default_configENS1_25partition_config_selectorILNS1_17partition_subalgoE0ExNS0_10empty_typeEbEEZZNS1_14partition_implILS5_0ELb0ES3_jN6thrust23THRUST_200600_302600_NS6detail15normal_iteratorINSA_10device_ptrIxEEEEPS6_SG_NS0_5tupleIJSF_SF_EEENSH_IJSG_SG_EEES6_PlJ7is_evenIxEEEE10hipError_tPvRmT3_T4_T5_T6_T7_T9_mT8_P12ihipStream_tbDpT10_ENKUlT_T0_E_clISt17integral_constantIbLb0EES15_IbLb1EEEEDaS11_S12_EUlS11_E_NS1_11comp_targetILNS1_3genE10ELNS1_11target_archE1200ELNS1_3gpuE4ELNS1_3repE0EEENS1_30default_config_static_selectorELNS0_4arch9wavefront6targetE1EEEvT1_,@function
_ZN7rocprim17ROCPRIM_400000_NS6detail17trampoline_kernelINS0_14default_configENS1_25partition_config_selectorILNS1_17partition_subalgoE0ExNS0_10empty_typeEbEEZZNS1_14partition_implILS5_0ELb0ES3_jN6thrust23THRUST_200600_302600_NS6detail15normal_iteratorINSA_10device_ptrIxEEEEPS6_SG_NS0_5tupleIJSF_SF_EEENSH_IJSG_SG_EEES6_PlJ7is_evenIxEEEE10hipError_tPvRmT3_T4_T5_T6_T7_T9_mT8_P12ihipStream_tbDpT10_ENKUlT_T0_E_clISt17integral_constantIbLb0EES15_IbLb1EEEEDaS11_S12_EUlS11_E_NS1_11comp_targetILNS1_3genE10ELNS1_11target_archE1200ELNS1_3gpuE4ELNS1_3repE0EEENS1_30default_config_static_selectorELNS0_4arch9wavefront6targetE1EEEvT1_: ; @_ZN7rocprim17ROCPRIM_400000_NS6detail17trampoline_kernelINS0_14default_configENS1_25partition_config_selectorILNS1_17partition_subalgoE0ExNS0_10empty_typeEbEEZZNS1_14partition_implILS5_0ELb0ES3_jN6thrust23THRUST_200600_302600_NS6detail15normal_iteratorINSA_10device_ptrIxEEEEPS6_SG_NS0_5tupleIJSF_SF_EEENSH_IJSG_SG_EEES6_PlJ7is_evenIxEEEE10hipError_tPvRmT3_T4_T5_T6_T7_T9_mT8_P12ihipStream_tbDpT10_ENKUlT_T0_E_clISt17integral_constantIbLb0EES15_IbLb1EEEEDaS11_S12_EUlS11_E_NS1_11comp_targetILNS1_3genE10ELNS1_11target_archE1200ELNS1_3gpuE4ELNS1_3repE0EEENS1_30default_config_static_selectorELNS0_4arch9wavefront6targetE1EEEvT1_
; %bb.0:
	.section	.rodata,"a",@progbits
	.p2align	6, 0x0
	.amdhsa_kernel _ZN7rocprim17ROCPRIM_400000_NS6detail17trampoline_kernelINS0_14default_configENS1_25partition_config_selectorILNS1_17partition_subalgoE0ExNS0_10empty_typeEbEEZZNS1_14partition_implILS5_0ELb0ES3_jN6thrust23THRUST_200600_302600_NS6detail15normal_iteratorINSA_10device_ptrIxEEEEPS6_SG_NS0_5tupleIJSF_SF_EEENSH_IJSG_SG_EEES6_PlJ7is_evenIxEEEE10hipError_tPvRmT3_T4_T5_T6_T7_T9_mT8_P12ihipStream_tbDpT10_ENKUlT_T0_E_clISt17integral_constantIbLb0EES15_IbLb1EEEEDaS11_S12_EUlS11_E_NS1_11comp_targetILNS1_3genE10ELNS1_11target_archE1200ELNS1_3gpuE4ELNS1_3repE0EEENS1_30default_config_static_selectorELNS0_4arch9wavefront6targetE1EEEvT1_
		.amdhsa_group_segment_fixed_size 0
		.amdhsa_private_segment_fixed_size 0
		.amdhsa_kernarg_size 136
		.amdhsa_user_sgpr_count 2
		.amdhsa_user_sgpr_dispatch_ptr 0
		.amdhsa_user_sgpr_queue_ptr 0
		.amdhsa_user_sgpr_kernarg_segment_ptr 1
		.amdhsa_user_sgpr_dispatch_id 0
		.amdhsa_user_sgpr_kernarg_preload_length 0
		.amdhsa_user_sgpr_kernarg_preload_offset 0
		.amdhsa_user_sgpr_private_segment_size 0
		.amdhsa_uses_dynamic_stack 0
		.amdhsa_enable_private_segment 0
		.amdhsa_system_sgpr_workgroup_id_x 1
		.amdhsa_system_sgpr_workgroup_id_y 0
		.amdhsa_system_sgpr_workgroup_id_z 0
		.amdhsa_system_sgpr_workgroup_info 0
		.amdhsa_system_vgpr_workitem_id 0
		.amdhsa_next_free_vgpr 1
		.amdhsa_next_free_sgpr 0
		.amdhsa_accum_offset 4
		.amdhsa_reserve_vcc 0
		.amdhsa_float_round_mode_32 0
		.amdhsa_float_round_mode_16_64 0
		.amdhsa_float_denorm_mode_32 3
		.amdhsa_float_denorm_mode_16_64 3
		.amdhsa_dx10_clamp 1
		.amdhsa_ieee_mode 1
		.amdhsa_fp16_overflow 0
		.amdhsa_tg_split 0
		.amdhsa_exception_fp_ieee_invalid_op 0
		.amdhsa_exception_fp_denorm_src 0
		.amdhsa_exception_fp_ieee_div_zero 0
		.amdhsa_exception_fp_ieee_overflow 0
		.amdhsa_exception_fp_ieee_underflow 0
		.amdhsa_exception_fp_ieee_inexact 0
		.amdhsa_exception_int_div_zero 0
	.end_amdhsa_kernel
	.section	.text._ZN7rocprim17ROCPRIM_400000_NS6detail17trampoline_kernelINS0_14default_configENS1_25partition_config_selectorILNS1_17partition_subalgoE0ExNS0_10empty_typeEbEEZZNS1_14partition_implILS5_0ELb0ES3_jN6thrust23THRUST_200600_302600_NS6detail15normal_iteratorINSA_10device_ptrIxEEEEPS6_SG_NS0_5tupleIJSF_SF_EEENSH_IJSG_SG_EEES6_PlJ7is_evenIxEEEE10hipError_tPvRmT3_T4_T5_T6_T7_T9_mT8_P12ihipStream_tbDpT10_ENKUlT_T0_E_clISt17integral_constantIbLb0EES15_IbLb1EEEEDaS11_S12_EUlS11_E_NS1_11comp_targetILNS1_3genE10ELNS1_11target_archE1200ELNS1_3gpuE4ELNS1_3repE0EEENS1_30default_config_static_selectorELNS0_4arch9wavefront6targetE1EEEvT1_,"axG",@progbits,_ZN7rocprim17ROCPRIM_400000_NS6detail17trampoline_kernelINS0_14default_configENS1_25partition_config_selectorILNS1_17partition_subalgoE0ExNS0_10empty_typeEbEEZZNS1_14partition_implILS5_0ELb0ES3_jN6thrust23THRUST_200600_302600_NS6detail15normal_iteratorINSA_10device_ptrIxEEEEPS6_SG_NS0_5tupleIJSF_SF_EEENSH_IJSG_SG_EEES6_PlJ7is_evenIxEEEE10hipError_tPvRmT3_T4_T5_T6_T7_T9_mT8_P12ihipStream_tbDpT10_ENKUlT_T0_E_clISt17integral_constantIbLb0EES15_IbLb1EEEEDaS11_S12_EUlS11_E_NS1_11comp_targetILNS1_3genE10ELNS1_11target_archE1200ELNS1_3gpuE4ELNS1_3repE0EEENS1_30default_config_static_selectorELNS0_4arch9wavefront6targetE1EEEvT1_,comdat
.Lfunc_end318:
	.size	_ZN7rocprim17ROCPRIM_400000_NS6detail17trampoline_kernelINS0_14default_configENS1_25partition_config_selectorILNS1_17partition_subalgoE0ExNS0_10empty_typeEbEEZZNS1_14partition_implILS5_0ELb0ES3_jN6thrust23THRUST_200600_302600_NS6detail15normal_iteratorINSA_10device_ptrIxEEEEPS6_SG_NS0_5tupleIJSF_SF_EEENSH_IJSG_SG_EEES6_PlJ7is_evenIxEEEE10hipError_tPvRmT3_T4_T5_T6_T7_T9_mT8_P12ihipStream_tbDpT10_ENKUlT_T0_E_clISt17integral_constantIbLb0EES15_IbLb1EEEEDaS11_S12_EUlS11_E_NS1_11comp_targetILNS1_3genE10ELNS1_11target_archE1200ELNS1_3gpuE4ELNS1_3repE0EEENS1_30default_config_static_selectorELNS0_4arch9wavefront6targetE1EEEvT1_, .Lfunc_end318-_ZN7rocprim17ROCPRIM_400000_NS6detail17trampoline_kernelINS0_14default_configENS1_25partition_config_selectorILNS1_17partition_subalgoE0ExNS0_10empty_typeEbEEZZNS1_14partition_implILS5_0ELb0ES3_jN6thrust23THRUST_200600_302600_NS6detail15normal_iteratorINSA_10device_ptrIxEEEEPS6_SG_NS0_5tupleIJSF_SF_EEENSH_IJSG_SG_EEES6_PlJ7is_evenIxEEEE10hipError_tPvRmT3_T4_T5_T6_T7_T9_mT8_P12ihipStream_tbDpT10_ENKUlT_T0_E_clISt17integral_constantIbLb0EES15_IbLb1EEEEDaS11_S12_EUlS11_E_NS1_11comp_targetILNS1_3genE10ELNS1_11target_archE1200ELNS1_3gpuE4ELNS1_3repE0EEENS1_30default_config_static_selectorELNS0_4arch9wavefront6targetE1EEEvT1_
                                        ; -- End function
	.section	.AMDGPU.csdata,"",@progbits
; Kernel info:
; codeLenInByte = 0
; NumSgprs: 6
; NumVgprs: 0
; NumAgprs: 0
; TotalNumVgprs: 0
; ScratchSize: 0
; MemoryBound: 0
; FloatMode: 240
; IeeeMode: 1
; LDSByteSize: 0 bytes/workgroup (compile time only)
; SGPRBlocks: 0
; VGPRBlocks: 0
; NumSGPRsForWavesPerEU: 6
; NumVGPRsForWavesPerEU: 1
; AccumOffset: 4
; Occupancy: 8
; WaveLimiterHint : 0
; COMPUTE_PGM_RSRC2:SCRATCH_EN: 0
; COMPUTE_PGM_RSRC2:USER_SGPR: 2
; COMPUTE_PGM_RSRC2:TRAP_HANDLER: 0
; COMPUTE_PGM_RSRC2:TGID_X_EN: 1
; COMPUTE_PGM_RSRC2:TGID_Y_EN: 0
; COMPUTE_PGM_RSRC2:TGID_Z_EN: 0
; COMPUTE_PGM_RSRC2:TIDIG_COMP_CNT: 0
; COMPUTE_PGM_RSRC3_GFX90A:ACCUM_OFFSET: 0
; COMPUTE_PGM_RSRC3_GFX90A:TG_SPLIT: 0
	.section	.text._ZN7rocprim17ROCPRIM_400000_NS6detail17trampoline_kernelINS0_14default_configENS1_25partition_config_selectorILNS1_17partition_subalgoE0ExNS0_10empty_typeEbEEZZNS1_14partition_implILS5_0ELb0ES3_jN6thrust23THRUST_200600_302600_NS6detail15normal_iteratorINSA_10device_ptrIxEEEEPS6_SG_NS0_5tupleIJSF_SF_EEENSH_IJSG_SG_EEES6_PlJ7is_evenIxEEEE10hipError_tPvRmT3_T4_T5_T6_T7_T9_mT8_P12ihipStream_tbDpT10_ENKUlT_T0_E_clISt17integral_constantIbLb0EES15_IbLb1EEEEDaS11_S12_EUlS11_E_NS1_11comp_targetILNS1_3genE9ELNS1_11target_archE1100ELNS1_3gpuE3ELNS1_3repE0EEENS1_30default_config_static_selectorELNS0_4arch9wavefront6targetE1EEEvT1_,"axG",@progbits,_ZN7rocprim17ROCPRIM_400000_NS6detail17trampoline_kernelINS0_14default_configENS1_25partition_config_selectorILNS1_17partition_subalgoE0ExNS0_10empty_typeEbEEZZNS1_14partition_implILS5_0ELb0ES3_jN6thrust23THRUST_200600_302600_NS6detail15normal_iteratorINSA_10device_ptrIxEEEEPS6_SG_NS0_5tupleIJSF_SF_EEENSH_IJSG_SG_EEES6_PlJ7is_evenIxEEEE10hipError_tPvRmT3_T4_T5_T6_T7_T9_mT8_P12ihipStream_tbDpT10_ENKUlT_T0_E_clISt17integral_constantIbLb0EES15_IbLb1EEEEDaS11_S12_EUlS11_E_NS1_11comp_targetILNS1_3genE9ELNS1_11target_archE1100ELNS1_3gpuE3ELNS1_3repE0EEENS1_30default_config_static_selectorELNS0_4arch9wavefront6targetE1EEEvT1_,comdat
	.protected	_ZN7rocprim17ROCPRIM_400000_NS6detail17trampoline_kernelINS0_14default_configENS1_25partition_config_selectorILNS1_17partition_subalgoE0ExNS0_10empty_typeEbEEZZNS1_14partition_implILS5_0ELb0ES3_jN6thrust23THRUST_200600_302600_NS6detail15normal_iteratorINSA_10device_ptrIxEEEEPS6_SG_NS0_5tupleIJSF_SF_EEENSH_IJSG_SG_EEES6_PlJ7is_evenIxEEEE10hipError_tPvRmT3_T4_T5_T6_T7_T9_mT8_P12ihipStream_tbDpT10_ENKUlT_T0_E_clISt17integral_constantIbLb0EES15_IbLb1EEEEDaS11_S12_EUlS11_E_NS1_11comp_targetILNS1_3genE9ELNS1_11target_archE1100ELNS1_3gpuE3ELNS1_3repE0EEENS1_30default_config_static_selectorELNS0_4arch9wavefront6targetE1EEEvT1_ ; -- Begin function _ZN7rocprim17ROCPRIM_400000_NS6detail17trampoline_kernelINS0_14default_configENS1_25partition_config_selectorILNS1_17partition_subalgoE0ExNS0_10empty_typeEbEEZZNS1_14partition_implILS5_0ELb0ES3_jN6thrust23THRUST_200600_302600_NS6detail15normal_iteratorINSA_10device_ptrIxEEEEPS6_SG_NS0_5tupleIJSF_SF_EEENSH_IJSG_SG_EEES6_PlJ7is_evenIxEEEE10hipError_tPvRmT3_T4_T5_T6_T7_T9_mT8_P12ihipStream_tbDpT10_ENKUlT_T0_E_clISt17integral_constantIbLb0EES15_IbLb1EEEEDaS11_S12_EUlS11_E_NS1_11comp_targetILNS1_3genE9ELNS1_11target_archE1100ELNS1_3gpuE3ELNS1_3repE0EEENS1_30default_config_static_selectorELNS0_4arch9wavefront6targetE1EEEvT1_
	.globl	_ZN7rocprim17ROCPRIM_400000_NS6detail17trampoline_kernelINS0_14default_configENS1_25partition_config_selectorILNS1_17partition_subalgoE0ExNS0_10empty_typeEbEEZZNS1_14partition_implILS5_0ELb0ES3_jN6thrust23THRUST_200600_302600_NS6detail15normal_iteratorINSA_10device_ptrIxEEEEPS6_SG_NS0_5tupleIJSF_SF_EEENSH_IJSG_SG_EEES6_PlJ7is_evenIxEEEE10hipError_tPvRmT3_T4_T5_T6_T7_T9_mT8_P12ihipStream_tbDpT10_ENKUlT_T0_E_clISt17integral_constantIbLb0EES15_IbLb1EEEEDaS11_S12_EUlS11_E_NS1_11comp_targetILNS1_3genE9ELNS1_11target_archE1100ELNS1_3gpuE3ELNS1_3repE0EEENS1_30default_config_static_selectorELNS0_4arch9wavefront6targetE1EEEvT1_
	.p2align	8
	.type	_ZN7rocprim17ROCPRIM_400000_NS6detail17trampoline_kernelINS0_14default_configENS1_25partition_config_selectorILNS1_17partition_subalgoE0ExNS0_10empty_typeEbEEZZNS1_14partition_implILS5_0ELb0ES3_jN6thrust23THRUST_200600_302600_NS6detail15normal_iteratorINSA_10device_ptrIxEEEEPS6_SG_NS0_5tupleIJSF_SF_EEENSH_IJSG_SG_EEES6_PlJ7is_evenIxEEEE10hipError_tPvRmT3_T4_T5_T6_T7_T9_mT8_P12ihipStream_tbDpT10_ENKUlT_T0_E_clISt17integral_constantIbLb0EES15_IbLb1EEEEDaS11_S12_EUlS11_E_NS1_11comp_targetILNS1_3genE9ELNS1_11target_archE1100ELNS1_3gpuE3ELNS1_3repE0EEENS1_30default_config_static_selectorELNS0_4arch9wavefront6targetE1EEEvT1_,@function
_ZN7rocprim17ROCPRIM_400000_NS6detail17trampoline_kernelINS0_14default_configENS1_25partition_config_selectorILNS1_17partition_subalgoE0ExNS0_10empty_typeEbEEZZNS1_14partition_implILS5_0ELb0ES3_jN6thrust23THRUST_200600_302600_NS6detail15normal_iteratorINSA_10device_ptrIxEEEEPS6_SG_NS0_5tupleIJSF_SF_EEENSH_IJSG_SG_EEES6_PlJ7is_evenIxEEEE10hipError_tPvRmT3_T4_T5_T6_T7_T9_mT8_P12ihipStream_tbDpT10_ENKUlT_T0_E_clISt17integral_constantIbLb0EES15_IbLb1EEEEDaS11_S12_EUlS11_E_NS1_11comp_targetILNS1_3genE9ELNS1_11target_archE1100ELNS1_3gpuE3ELNS1_3repE0EEENS1_30default_config_static_selectorELNS0_4arch9wavefront6targetE1EEEvT1_: ; @_ZN7rocprim17ROCPRIM_400000_NS6detail17trampoline_kernelINS0_14default_configENS1_25partition_config_selectorILNS1_17partition_subalgoE0ExNS0_10empty_typeEbEEZZNS1_14partition_implILS5_0ELb0ES3_jN6thrust23THRUST_200600_302600_NS6detail15normal_iteratorINSA_10device_ptrIxEEEEPS6_SG_NS0_5tupleIJSF_SF_EEENSH_IJSG_SG_EEES6_PlJ7is_evenIxEEEE10hipError_tPvRmT3_T4_T5_T6_T7_T9_mT8_P12ihipStream_tbDpT10_ENKUlT_T0_E_clISt17integral_constantIbLb0EES15_IbLb1EEEEDaS11_S12_EUlS11_E_NS1_11comp_targetILNS1_3genE9ELNS1_11target_archE1100ELNS1_3gpuE3ELNS1_3repE0EEENS1_30default_config_static_selectorELNS0_4arch9wavefront6targetE1EEEvT1_
; %bb.0:
	.section	.rodata,"a",@progbits
	.p2align	6, 0x0
	.amdhsa_kernel _ZN7rocprim17ROCPRIM_400000_NS6detail17trampoline_kernelINS0_14default_configENS1_25partition_config_selectorILNS1_17partition_subalgoE0ExNS0_10empty_typeEbEEZZNS1_14partition_implILS5_0ELb0ES3_jN6thrust23THRUST_200600_302600_NS6detail15normal_iteratorINSA_10device_ptrIxEEEEPS6_SG_NS0_5tupleIJSF_SF_EEENSH_IJSG_SG_EEES6_PlJ7is_evenIxEEEE10hipError_tPvRmT3_T4_T5_T6_T7_T9_mT8_P12ihipStream_tbDpT10_ENKUlT_T0_E_clISt17integral_constantIbLb0EES15_IbLb1EEEEDaS11_S12_EUlS11_E_NS1_11comp_targetILNS1_3genE9ELNS1_11target_archE1100ELNS1_3gpuE3ELNS1_3repE0EEENS1_30default_config_static_selectorELNS0_4arch9wavefront6targetE1EEEvT1_
		.amdhsa_group_segment_fixed_size 0
		.amdhsa_private_segment_fixed_size 0
		.amdhsa_kernarg_size 136
		.amdhsa_user_sgpr_count 2
		.amdhsa_user_sgpr_dispatch_ptr 0
		.amdhsa_user_sgpr_queue_ptr 0
		.amdhsa_user_sgpr_kernarg_segment_ptr 1
		.amdhsa_user_sgpr_dispatch_id 0
		.amdhsa_user_sgpr_kernarg_preload_length 0
		.amdhsa_user_sgpr_kernarg_preload_offset 0
		.amdhsa_user_sgpr_private_segment_size 0
		.amdhsa_uses_dynamic_stack 0
		.amdhsa_enable_private_segment 0
		.amdhsa_system_sgpr_workgroup_id_x 1
		.amdhsa_system_sgpr_workgroup_id_y 0
		.amdhsa_system_sgpr_workgroup_id_z 0
		.amdhsa_system_sgpr_workgroup_info 0
		.amdhsa_system_vgpr_workitem_id 0
		.amdhsa_next_free_vgpr 1
		.amdhsa_next_free_sgpr 0
		.amdhsa_accum_offset 4
		.amdhsa_reserve_vcc 0
		.amdhsa_float_round_mode_32 0
		.amdhsa_float_round_mode_16_64 0
		.amdhsa_float_denorm_mode_32 3
		.amdhsa_float_denorm_mode_16_64 3
		.amdhsa_dx10_clamp 1
		.amdhsa_ieee_mode 1
		.amdhsa_fp16_overflow 0
		.amdhsa_tg_split 0
		.amdhsa_exception_fp_ieee_invalid_op 0
		.amdhsa_exception_fp_denorm_src 0
		.amdhsa_exception_fp_ieee_div_zero 0
		.amdhsa_exception_fp_ieee_overflow 0
		.amdhsa_exception_fp_ieee_underflow 0
		.amdhsa_exception_fp_ieee_inexact 0
		.amdhsa_exception_int_div_zero 0
	.end_amdhsa_kernel
	.section	.text._ZN7rocprim17ROCPRIM_400000_NS6detail17trampoline_kernelINS0_14default_configENS1_25partition_config_selectorILNS1_17partition_subalgoE0ExNS0_10empty_typeEbEEZZNS1_14partition_implILS5_0ELb0ES3_jN6thrust23THRUST_200600_302600_NS6detail15normal_iteratorINSA_10device_ptrIxEEEEPS6_SG_NS0_5tupleIJSF_SF_EEENSH_IJSG_SG_EEES6_PlJ7is_evenIxEEEE10hipError_tPvRmT3_T4_T5_T6_T7_T9_mT8_P12ihipStream_tbDpT10_ENKUlT_T0_E_clISt17integral_constantIbLb0EES15_IbLb1EEEEDaS11_S12_EUlS11_E_NS1_11comp_targetILNS1_3genE9ELNS1_11target_archE1100ELNS1_3gpuE3ELNS1_3repE0EEENS1_30default_config_static_selectorELNS0_4arch9wavefront6targetE1EEEvT1_,"axG",@progbits,_ZN7rocprim17ROCPRIM_400000_NS6detail17trampoline_kernelINS0_14default_configENS1_25partition_config_selectorILNS1_17partition_subalgoE0ExNS0_10empty_typeEbEEZZNS1_14partition_implILS5_0ELb0ES3_jN6thrust23THRUST_200600_302600_NS6detail15normal_iteratorINSA_10device_ptrIxEEEEPS6_SG_NS0_5tupleIJSF_SF_EEENSH_IJSG_SG_EEES6_PlJ7is_evenIxEEEE10hipError_tPvRmT3_T4_T5_T6_T7_T9_mT8_P12ihipStream_tbDpT10_ENKUlT_T0_E_clISt17integral_constantIbLb0EES15_IbLb1EEEEDaS11_S12_EUlS11_E_NS1_11comp_targetILNS1_3genE9ELNS1_11target_archE1100ELNS1_3gpuE3ELNS1_3repE0EEENS1_30default_config_static_selectorELNS0_4arch9wavefront6targetE1EEEvT1_,comdat
.Lfunc_end319:
	.size	_ZN7rocprim17ROCPRIM_400000_NS6detail17trampoline_kernelINS0_14default_configENS1_25partition_config_selectorILNS1_17partition_subalgoE0ExNS0_10empty_typeEbEEZZNS1_14partition_implILS5_0ELb0ES3_jN6thrust23THRUST_200600_302600_NS6detail15normal_iteratorINSA_10device_ptrIxEEEEPS6_SG_NS0_5tupleIJSF_SF_EEENSH_IJSG_SG_EEES6_PlJ7is_evenIxEEEE10hipError_tPvRmT3_T4_T5_T6_T7_T9_mT8_P12ihipStream_tbDpT10_ENKUlT_T0_E_clISt17integral_constantIbLb0EES15_IbLb1EEEEDaS11_S12_EUlS11_E_NS1_11comp_targetILNS1_3genE9ELNS1_11target_archE1100ELNS1_3gpuE3ELNS1_3repE0EEENS1_30default_config_static_selectorELNS0_4arch9wavefront6targetE1EEEvT1_, .Lfunc_end319-_ZN7rocprim17ROCPRIM_400000_NS6detail17trampoline_kernelINS0_14default_configENS1_25partition_config_selectorILNS1_17partition_subalgoE0ExNS0_10empty_typeEbEEZZNS1_14partition_implILS5_0ELb0ES3_jN6thrust23THRUST_200600_302600_NS6detail15normal_iteratorINSA_10device_ptrIxEEEEPS6_SG_NS0_5tupleIJSF_SF_EEENSH_IJSG_SG_EEES6_PlJ7is_evenIxEEEE10hipError_tPvRmT3_T4_T5_T6_T7_T9_mT8_P12ihipStream_tbDpT10_ENKUlT_T0_E_clISt17integral_constantIbLb0EES15_IbLb1EEEEDaS11_S12_EUlS11_E_NS1_11comp_targetILNS1_3genE9ELNS1_11target_archE1100ELNS1_3gpuE3ELNS1_3repE0EEENS1_30default_config_static_selectorELNS0_4arch9wavefront6targetE1EEEvT1_
                                        ; -- End function
	.section	.AMDGPU.csdata,"",@progbits
; Kernel info:
; codeLenInByte = 0
; NumSgprs: 6
; NumVgprs: 0
; NumAgprs: 0
; TotalNumVgprs: 0
; ScratchSize: 0
; MemoryBound: 0
; FloatMode: 240
; IeeeMode: 1
; LDSByteSize: 0 bytes/workgroup (compile time only)
; SGPRBlocks: 0
; VGPRBlocks: 0
; NumSGPRsForWavesPerEU: 6
; NumVGPRsForWavesPerEU: 1
; AccumOffset: 4
; Occupancy: 8
; WaveLimiterHint : 0
; COMPUTE_PGM_RSRC2:SCRATCH_EN: 0
; COMPUTE_PGM_RSRC2:USER_SGPR: 2
; COMPUTE_PGM_RSRC2:TRAP_HANDLER: 0
; COMPUTE_PGM_RSRC2:TGID_X_EN: 1
; COMPUTE_PGM_RSRC2:TGID_Y_EN: 0
; COMPUTE_PGM_RSRC2:TGID_Z_EN: 0
; COMPUTE_PGM_RSRC2:TIDIG_COMP_CNT: 0
; COMPUTE_PGM_RSRC3_GFX90A:ACCUM_OFFSET: 0
; COMPUTE_PGM_RSRC3_GFX90A:TG_SPLIT: 0
	.section	.text._ZN7rocprim17ROCPRIM_400000_NS6detail17trampoline_kernelINS0_14default_configENS1_25partition_config_selectorILNS1_17partition_subalgoE0ExNS0_10empty_typeEbEEZZNS1_14partition_implILS5_0ELb0ES3_jN6thrust23THRUST_200600_302600_NS6detail15normal_iteratorINSA_10device_ptrIxEEEEPS6_SG_NS0_5tupleIJSF_SF_EEENSH_IJSG_SG_EEES6_PlJ7is_evenIxEEEE10hipError_tPvRmT3_T4_T5_T6_T7_T9_mT8_P12ihipStream_tbDpT10_ENKUlT_T0_E_clISt17integral_constantIbLb0EES15_IbLb1EEEEDaS11_S12_EUlS11_E_NS1_11comp_targetILNS1_3genE8ELNS1_11target_archE1030ELNS1_3gpuE2ELNS1_3repE0EEENS1_30default_config_static_selectorELNS0_4arch9wavefront6targetE1EEEvT1_,"axG",@progbits,_ZN7rocprim17ROCPRIM_400000_NS6detail17trampoline_kernelINS0_14default_configENS1_25partition_config_selectorILNS1_17partition_subalgoE0ExNS0_10empty_typeEbEEZZNS1_14partition_implILS5_0ELb0ES3_jN6thrust23THRUST_200600_302600_NS6detail15normal_iteratorINSA_10device_ptrIxEEEEPS6_SG_NS0_5tupleIJSF_SF_EEENSH_IJSG_SG_EEES6_PlJ7is_evenIxEEEE10hipError_tPvRmT3_T4_T5_T6_T7_T9_mT8_P12ihipStream_tbDpT10_ENKUlT_T0_E_clISt17integral_constantIbLb0EES15_IbLb1EEEEDaS11_S12_EUlS11_E_NS1_11comp_targetILNS1_3genE8ELNS1_11target_archE1030ELNS1_3gpuE2ELNS1_3repE0EEENS1_30default_config_static_selectorELNS0_4arch9wavefront6targetE1EEEvT1_,comdat
	.protected	_ZN7rocprim17ROCPRIM_400000_NS6detail17trampoline_kernelINS0_14default_configENS1_25partition_config_selectorILNS1_17partition_subalgoE0ExNS0_10empty_typeEbEEZZNS1_14partition_implILS5_0ELb0ES3_jN6thrust23THRUST_200600_302600_NS6detail15normal_iteratorINSA_10device_ptrIxEEEEPS6_SG_NS0_5tupleIJSF_SF_EEENSH_IJSG_SG_EEES6_PlJ7is_evenIxEEEE10hipError_tPvRmT3_T4_T5_T6_T7_T9_mT8_P12ihipStream_tbDpT10_ENKUlT_T0_E_clISt17integral_constantIbLb0EES15_IbLb1EEEEDaS11_S12_EUlS11_E_NS1_11comp_targetILNS1_3genE8ELNS1_11target_archE1030ELNS1_3gpuE2ELNS1_3repE0EEENS1_30default_config_static_selectorELNS0_4arch9wavefront6targetE1EEEvT1_ ; -- Begin function _ZN7rocprim17ROCPRIM_400000_NS6detail17trampoline_kernelINS0_14default_configENS1_25partition_config_selectorILNS1_17partition_subalgoE0ExNS0_10empty_typeEbEEZZNS1_14partition_implILS5_0ELb0ES3_jN6thrust23THRUST_200600_302600_NS6detail15normal_iteratorINSA_10device_ptrIxEEEEPS6_SG_NS0_5tupleIJSF_SF_EEENSH_IJSG_SG_EEES6_PlJ7is_evenIxEEEE10hipError_tPvRmT3_T4_T5_T6_T7_T9_mT8_P12ihipStream_tbDpT10_ENKUlT_T0_E_clISt17integral_constantIbLb0EES15_IbLb1EEEEDaS11_S12_EUlS11_E_NS1_11comp_targetILNS1_3genE8ELNS1_11target_archE1030ELNS1_3gpuE2ELNS1_3repE0EEENS1_30default_config_static_selectorELNS0_4arch9wavefront6targetE1EEEvT1_
	.globl	_ZN7rocprim17ROCPRIM_400000_NS6detail17trampoline_kernelINS0_14default_configENS1_25partition_config_selectorILNS1_17partition_subalgoE0ExNS0_10empty_typeEbEEZZNS1_14partition_implILS5_0ELb0ES3_jN6thrust23THRUST_200600_302600_NS6detail15normal_iteratorINSA_10device_ptrIxEEEEPS6_SG_NS0_5tupleIJSF_SF_EEENSH_IJSG_SG_EEES6_PlJ7is_evenIxEEEE10hipError_tPvRmT3_T4_T5_T6_T7_T9_mT8_P12ihipStream_tbDpT10_ENKUlT_T0_E_clISt17integral_constantIbLb0EES15_IbLb1EEEEDaS11_S12_EUlS11_E_NS1_11comp_targetILNS1_3genE8ELNS1_11target_archE1030ELNS1_3gpuE2ELNS1_3repE0EEENS1_30default_config_static_selectorELNS0_4arch9wavefront6targetE1EEEvT1_
	.p2align	8
	.type	_ZN7rocprim17ROCPRIM_400000_NS6detail17trampoline_kernelINS0_14default_configENS1_25partition_config_selectorILNS1_17partition_subalgoE0ExNS0_10empty_typeEbEEZZNS1_14partition_implILS5_0ELb0ES3_jN6thrust23THRUST_200600_302600_NS6detail15normal_iteratorINSA_10device_ptrIxEEEEPS6_SG_NS0_5tupleIJSF_SF_EEENSH_IJSG_SG_EEES6_PlJ7is_evenIxEEEE10hipError_tPvRmT3_T4_T5_T6_T7_T9_mT8_P12ihipStream_tbDpT10_ENKUlT_T0_E_clISt17integral_constantIbLb0EES15_IbLb1EEEEDaS11_S12_EUlS11_E_NS1_11comp_targetILNS1_3genE8ELNS1_11target_archE1030ELNS1_3gpuE2ELNS1_3repE0EEENS1_30default_config_static_selectorELNS0_4arch9wavefront6targetE1EEEvT1_,@function
_ZN7rocprim17ROCPRIM_400000_NS6detail17trampoline_kernelINS0_14default_configENS1_25partition_config_selectorILNS1_17partition_subalgoE0ExNS0_10empty_typeEbEEZZNS1_14partition_implILS5_0ELb0ES3_jN6thrust23THRUST_200600_302600_NS6detail15normal_iteratorINSA_10device_ptrIxEEEEPS6_SG_NS0_5tupleIJSF_SF_EEENSH_IJSG_SG_EEES6_PlJ7is_evenIxEEEE10hipError_tPvRmT3_T4_T5_T6_T7_T9_mT8_P12ihipStream_tbDpT10_ENKUlT_T0_E_clISt17integral_constantIbLb0EES15_IbLb1EEEEDaS11_S12_EUlS11_E_NS1_11comp_targetILNS1_3genE8ELNS1_11target_archE1030ELNS1_3gpuE2ELNS1_3repE0EEENS1_30default_config_static_selectorELNS0_4arch9wavefront6targetE1EEEvT1_: ; @_ZN7rocprim17ROCPRIM_400000_NS6detail17trampoline_kernelINS0_14default_configENS1_25partition_config_selectorILNS1_17partition_subalgoE0ExNS0_10empty_typeEbEEZZNS1_14partition_implILS5_0ELb0ES3_jN6thrust23THRUST_200600_302600_NS6detail15normal_iteratorINSA_10device_ptrIxEEEEPS6_SG_NS0_5tupleIJSF_SF_EEENSH_IJSG_SG_EEES6_PlJ7is_evenIxEEEE10hipError_tPvRmT3_T4_T5_T6_T7_T9_mT8_P12ihipStream_tbDpT10_ENKUlT_T0_E_clISt17integral_constantIbLb0EES15_IbLb1EEEEDaS11_S12_EUlS11_E_NS1_11comp_targetILNS1_3genE8ELNS1_11target_archE1030ELNS1_3gpuE2ELNS1_3repE0EEENS1_30default_config_static_selectorELNS0_4arch9wavefront6targetE1EEEvT1_
; %bb.0:
	.section	.rodata,"a",@progbits
	.p2align	6, 0x0
	.amdhsa_kernel _ZN7rocprim17ROCPRIM_400000_NS6detail17trampoline_kernelINS0_14default_configENS1_25partition_config_selectorILNS1_17partition_subalgoE0ExNS0_10empty_typeEbEEZZNS1_14partition_implILS5_0ELb0ES3_jN6thrust23THRUST_200600_302600_NS6detail15normal_iteratorINSA_10device_ptrIxEEEEPS6_SG_NS0_5tupleIJSF_SF_EEENSH_IJSG_SG_EEES6_PlJ7is_evenIxEEEE10hipError_tPvRmT3_T4_T5_T6_T7_T9_mT8_P12ihipStream_tbDpT10_ENKUlT_T0_E_clISt17integral_constantIbLb0EES15_IbLb1EEEEDaS11_S12_EUlS11_E_NS1_11comp_targetILNS1_3genE8ELNS1_11target_archE1030ELNS1_3gpuE2ELNS1_3repE0EEENS1_30default_config_static_selectorELNS0_4arch9wavefront6targetE1EEEvT1_
		.amdhsa_group_segment_fixed_size 0
		.amdhsa_private_segment_fixed_size 0
		.amdhsa_kernarg_size 136
		.amdhsa_user_sgpr_count 2
		.amdhsa_user_sgpr_dispatch_ptr 0
		.amdhsa_user_sgpr_queue_ptr 0
		.amdhsa_user_sgpr_kernarg_segment_ptr 1
		.amdhsa_user_sgpr_dispatch_id 0
		.amdhsa_user_sgpr_kernarg_preload_length 0
		.amdhsa_user_sgpr_kernarg_preload_offset 0
		.amdhsa_user_sgpr_private_segment_size 0
		.amdhsa_uses_dynamic_stack 0
		.amdhsa_enable_private_segment 0
		.amdhsa_system_sgpr_workgroup_id_x 1
		.amdhsa_system_sgpr_workgroup_id_y 0
		.amdhsa_system_sgpr_workgroup_id_z 0
		.amdhsa_system_sgpr_workgroup_info 0
		.amdhsa_system_vgpr_workitem_id 0
		.amdhsa_next_free_vgpr 1
		.amdhsa_next_free_sgpr 0
		.amdhsa_accum_offset 4
		.amdhsa_reserve_vcc 0
		.amdhsa_float_round_mode_32 0
		.amdhsa_float_round_mode_16_64 0
		.amdhsa_float_denorm_mode_32 3
		.amdhsa_float_denorm_mode_16_64 3
		.amdhsa_dx10_clamp 1
		.amdhsa_ieee_mode 1
		.amdhsa_fp16_overflow 0
		.amdhsa_tg_split 0
		.amdhsa_exception_fp_ieee_invalid_op 0
		.amdhsa_exception_fp_denorm_src 0
		.amdhsa_exception_fp_ieee_div_zero 0
		.amdhsa_exception_fp_ieee_overflow 0
		.amdhsa_exception_fp_ieee_underflow 0
		.amdhsa_exception_fp_ieee_inexact 0
		.amdhsa_exception_int_div_zero 0
	.end_amdhsa_kernel
	.section	.text._ZN7rocprim17ROCPRIM_400000_NS6detail17trampoline_kernelINS0_14default_configENS1_25partition_config_selectorILNS1_17partition_subalgoE0ExNS0_10empty_typeEbEEZZNS1_14partition_implILS5_0ELb0ES3_jN6thrust23THRUST_200600_302600_NS6detail15normal_iteratorINSA_10device_ptrIxEEEEPS6_SG_NS0_5tupleIJSF_SF_EEENSH_IJSG_SG_EEES6_PlJ7is_evenIxEEEE10hipError_tPvRmT3_T4_T5_T6_T7_T9_mT8_P12ihipStream_tbDpT10_ENKUlT_T0_E_clISt17integral_constantIbLb0EES15_IbLb1EEEEDaS11_S12_EUlS11_E_NS1_11comp_targetILNS1_3genE8ELNS1_11target_archE1030ELNS1_3gpuE2ELNS1_3repE0EEENS1_30default_config_static_selectorELNS0_4arch9wavefront6targetE1EEEvT1_,"axG",@progbits,_ZN7rocprim17ROCPRIM_400000_NS6detail17trampoline_kernelINS0_14default_configENS1_25partition_config_selectorILNS1_17partition_subalgoE0ExNS0_10empty_typeEbEEZZNS1_14partition_implILS5_0ELb0ES3_jN6thrust23THRUST_200600_302600_NS6detail15normal_iteratorINSA_10device_ptrIxEEEEPS6_SG_NS0_5tupleIJSF_SF_EEENSH_IJSG_SG_EEES6_PlJ7is_evenIxEEEE10hipError_tPvRmT3_T4_T5_T6_T7_T9_mT8_P12ihipStream_tbDpT10_ENKUlT_T0_E_clISt17integral_constantIbLb0EES15_IbLb1EEEEDaS11_S12_EUlS11_E_NS1_11comp_targetILNS1_3genE8ELNS1_11target_archE1030ELNS1_3gpuE2ELNS1_3repE0EEENS1_30default_config_static_selectorELNS0_4arch9wavefront6targetE1EEEvT1_,comdat
.Lfunc_end320:
	.size	_ZN7rocprim17ROCPRIM_400000_NS6detail17trampoline_kernelINS0_14default_configENS1_25partition_config_selectorILNS1_17partition_subalgoE0ExNS0_10empty_typeEbEEZZNS1_14partition_implILS5_0ELb0ES3_jN6thrust23THRUST_200600_302600_NS6detail15normal_iteratorINSA_10device_ptrIxEEEEPS6_SG_NS0_5tupleIJSF_SF_EEENSH_IJSG_SG_EEES6_PlJ7is_evenIxEEEE10hipError_tPvRmT3_T4_T5_T6_T7_T9_mT8_P12ihipStream_tbDpT10_ENKUlT_T0_E_clISt17integral_constantIbLb0EES15_IbLb1EEEEDaS11_S12_EUlS11_E_NS1_11comp_targetILNS1_3genE8ELNS1_11target_archE1030ELNS1_3gpuE2ELNS1_3repE0EEENS1_30default_config_static_selectorELNS0_4arch9wavefront6targetE1EEEvT1_, .Lfunc_end320-_ZN7rocprim17ROCPRIM_400000_NS6detail17trampoline_kernelINS0_14default_configENS1_25partition_config_selectorILNS1_17partition_subalgoE0ExNS0_10empty_typeEbEEZZNS1_14partition_implILS5_0ELb0ES3_jN6thrust23THRUST_200600_302600_NS6detail15normal_iteratorINSA_10device_ptrIxEEEEPS6_SG_NS0_5tupleIJSF_SF_EEENSH_IJSG_SG_EEES6_PlJ7is_evenIxEEEE10hipError_tPvRmT3_T4_T5_T6_T7_T9_mT8_P12ihipStream_tbDpT10_ENKUlT_T0_E_clISt17integral_constantIbLb0EES15_IbLb1EEEEDaS11_S12_EUlS11_E_NS1_11comp_targetILNS1_3genE8ELNS1_11target_archE1030ELNS1_3gpuE2ELNS1_3repE0EEENS1_30default_config_static_selectorELNS0_4arch9wavefront6targetE1EEEvT1_
                                        ; -- End function
	.section	.AMDGPU.csdata,"",@progbits
; Kernel info:
; codeLenInByte = 0
; NumSgprs: 6
; NumVgprs: 0
; NumAgprs: 0
; TotalNumVgprs: 0
; ScratchSize: 0
; MemoryBound: 0
; FloatMode: 240
; IeeeMode: 1
; LDSByteSize: 0 bytes/workgroup (compile time only)
; SGPRBlocks: 0
; VGPRBlocks: 0
; NumSGPRsForWavesPerEU: 6
; NumVGPRsForWavesPerEU: 1
; AccumOffset: 4
; Occupancy: 8
; WaveLimiterHint : 0
; COMPUTE_PGM_RSRC2:SCRATCH_EN: 0
; COMPUTE_PGM_RSRC2:USER_SGPR: 2
; COMPUTE_PGM_RSRC2:TRAP_HANDLER: 0
; COMPUTE_PGM_RSRC2:TGID_X_EN: 1
; COMPUTE_PGM_RSRC2:TGID_Y_EN: 0
; COMPUTE_PGM_RSRC2:TGID_Z_EN: 0
; COMPUTE_PGM_RSRC2:TIDIG_COMP_CNT: 0
; COMPUTE_PGM_RSRC3_GFX90A:ACCUM_OFFSET: 0
; COMPUTE_PGM_RSRC3_GFX90A:TG_SPLIT: 0
	.section	.text._ZN7rocprim17ROCPRIM_400000_NS6detail17trampoline_kernelINS0_14default_configENS1_25partition_config_selectorILNS1_17partition_subalgoE0EiNS0_10empty_typeEbEEZZNS1_14partition_implILS5_0ELb0ES3_jN6thrust23THRUST_200600_302600_NS6detail15normal_iteratorINSA_10device_ptrIiEEEEPS6_SG_NS0_5tupleIJSF_SF_EEENSH_IJSG_SG_EEES6_PlJ7is_evenIiEEEE10hipError_tPvRmT3_T4_T5_T6_T7_T9_mT8_P12ihipStream_tbDpT10_ENKUlT_T0_E_clISt17integral_constantIbLb0EES16_EEDaS11_S12_EUlS11_E_NS1_11comp_targetILNS1_3genE0ELNS1_11target_archE4294967295ELNS1_3gpuE0ELNS1_3repE0EEENS1_30default_config_static_selectorELNS0_4arch9wavefront6targetE1EEEvT1_,"axG",@progbits,_ZN7rocprim17ROCPRIM_400000_NS6detail17trampoline_kernelINS0_14default_configENS1_25partition_config_selectorILNS1_17partition_subalgoE0EiNS0_10empty_typeEbEEZZNS1_14partition_implILS5_0ELb0ES3_jN6thrust23THRUST_200600_302600_NS6detail15normal_iteratorINSA_10device_ptrIiEEEEPS6_SG_NS0_5tupleIJSF_SF_EEENSH_IJSG_SG_EEES6_PlJ7is_evenIiEEEE10hipError_tPvRmT3_T4_T5_T6_T7_T9_mT8_P12ihipStream_tbDpT10_ENKUlT_T0_E_clISt17integral_constantIbLb0EES16_EEDaS11_S12_EUlS11_E_NS1_11comp_targetILNS1_3genE0ELNS1_11target_archE4294967295ELNS1_3gpuE0ELNS1_3repE0EEENS1_30default_config_static_selectorELNS0_4arch9wavefront6targetE1EEEvT1_,comdat
	.protected	_ZN7rocprim17ROCPRIM_400000_NS6detail17trampoline_kernelINS0_14default_configENS1_25partition_config_selectorILNS1_17partition_subalgoE0EiNS0_10empty_typeEbEEZZNS1_14partition_implILS5_0ELb0ES3_jN6thrust23THRUST_200600_302600_NS6detail15normal_iteratorINSA_10device_ptrIiEEEEPS6_SG_NS0_5tupleIJSF_SF_EEENSH_IJSG_SG_EEES6_PlJ7is_evenIiEEEE10hipError_tPvRmT3_T4_T5_T6_T7_T9_mT8_P12ihipStream_tbDpT10_ENKUlT_T0_E_clISt17integral_constantIbLb0EES16_EEDaS11_S12_EUlS11_E_NS1_11comp_targetILNS1_3genE0ELNS1_11target_archE4294967295ELNS1_3gpuE0ELNS1_3repE0EEENS1_30default_config_static_selectorELNS0_4arch9wavefront6targetE1EEEvT1_ ; -- Begin function _ZN7rocprim17ROCPRIM_400000_NS6detail17trampoline_kernelINS0_14default_configENS1_25partition_config_selectorILNS1_17partition_subalgoE0EiNS0_10empty_typeEbEEZZNS1_14partition_implILS5_0ELb0ES3_jN6thrust23THRUST_200600_302600_NS6detail15normal_iteratorINSA_10device_ptrIiEEEEPS6_SG_NS0_5tupleIJSF_SF_EEENSH_IJSG_SG_EEES6_PlJ7is_evenIiEEEE10hipError_tPvRmT3_T4_T5_T6_T7_T9_mT8_P12ihipStream_tbDpT10_ENKUlT_T0_E_clISt17integral_constantIbLb0EES16_EEDaS11_S12_EUlS11_E_NS1_11comp_targetILNS1_3genE0ELNS1_11target_archE4294967295ELNS1_3gpuE0ELNS1_3repE0EEENS1_30default_config_static_selectorELNS0_4arch9wavefront6targetE1EEEvT1_
	.globl	_ZN7rocprim17ROCPRIM_400000_NS6detail17trampoline_kernelINS0_14default_configENS1_25partition_config_selectorILNS1_17partition_subalgoE0EiNS0_10empty_typeEbEEZZNS1_14partition_implILS5_0ELb0ES3_jN6thrust23THRUST_200600_302600_NS6detail15normal_iteratorINSA_10device_ptrIiEEEEPS6_SG_NS0_5tupleIJSF_SF_EEENSH_IJSG_SG_EEES6_PlJ7is_evenIiEEEE10hipError_tPvRmT3_T4_T5_T6_T7_T9_mT8_P12ihipStream_tbDpT10_ENKUlT_T0_E_clISt17integral_constantIbLb0EES16_EEDaS11_S12_EUlS11_E_NS1_11comp_targetILNS1_3genE0ELNS1_11target_archE4294967295ELNS1_3gpuE0ELNS1_3repE0EEENS1_30default_config_static_selectorELNS0_4arch9wavefront6targetE1EEEvT1_
	.p2align	8
	.type	_ZN7rocprim17ROCPRIM_400000_NS6detail17trampoline_kernelINS0_14default_configENS1_25partition_config_selectorILNS1_17partition_subalgoE0EiNS0_10empty_typeEbEEZZNS1_14partition_implILS5_0ELb0ES3_jN6thrust23THRUST_200600_302600_NS6detail15normal_iteratorINSA_10device_ptrIiEEEEPS6_SG_NS0_5tupleIJSF_SF_EEENSH_IJSG_SG_EEES6_PlJ7is_evenIiEEEE10hipError_tPvRmT3_T4_T5_T6_T7_T9_mT8_P12ihipStream_tbDpT10_ENKUlT_T0_E_clISt17integral_constantIbLb0EES16_EEDaS11_S12_EUlS11_E_NS1_11comp_targetILNS1_3genE0ELNS1_11target_archE4294967295ELNS1_3gpuE0ELNS1_3repE0EEENS1_30default_config_static_selectorELNS0_4arch9wavefront6targetE1EEEvT1_,@function
_ZN7rocprim17ROCPRIM_400000_NS6detail17trampoline_kernelINS0_14default_configENS1_25partition_config_selectorILNS1_17partition_subalgoE0EiNS0_10empty_typeEbEEZZNS1_14partition_implILS5_0ELb0ES3_jN6thrust23THRUST_200600_302600_NS6detail15normal_iteratorINSA_10device_ptrIiEEEEPS6_SG_NS0_5tupleIJSF_SF_EEENSH_IJSG_SG_EEES6_PlJ7is_evenIiEEEE10hipError_tPvRmT3_T4_T5_T6_T7_T9_mT8_P12ihipStream_tbDpT10_ENKUlT_T0_E_clISt17integral_constantIbLb0EES16_EEDaS11_S12_EUlS11_E_NS1_11comp_targetILNS1_3genE0ELNS1_11target_archE4294967295ELNS1_3gpuE0ELNS1_3repE0EEENS1_30default_config_static_selectorELNS0_4arch9wavefront6targetE1EEEvT1_: ; @_ZN7rocprim17ROCPRIM_400000_NS6detail17trampoline_kernelINS0_14default_configENS1_25partition_config_selectorILNS1_17partition_subalgoE0EiNS0_10empty_typeEbEEZZNS1_14partition_implILS5_0ELb0ES3_jN6thrust23THRUST_200600_302600_NS6detail15normal_iteratorINSA_10device_ptrIiEEEEPS6_SG_NS0_5tupleIJSF_SF_EEENSH_IJSG_SG_EEES6_PlJ7is_evenIiEEEE10hipError_tPvRmT3_T4_T5_T6_T7_T9_mT8_P12ihipStream_tbDpT10_ENKUlT_T0_E_clISt17integral_constantIbLb0EES16_EEDaS11_S12_EUlS11_E_NS1_11comp_targetILNS1_3genE0ELNS1_11target_archE4294967295ELNS1_3gpuE0ELNS1_3repE0EEENS1_30default_config_static_selectorELNS0_4arch9wavefront6targetE1EEEvT1_
; %bb.0:
	.section	.rodata,"a",@progbits
	.p2align	6, 0x0
	.amdhsa_kernel _ZN7rocprim17ROCPRIM_400000_NS6detail17trampoline_kernelINS0_14default_configENS1_25partition_config_selectorILNS1_17partition_subalgoE0EiNS0_10empty_typeEbEEZZNS1_14partition_implILS5_0ELb0ES3_jN6thrust23THRUST_200600_302600_NS6detail15normal_iteratorINSA_10device_ptrIiEEEEPS6_SG_NS0_5tupleIJSF_SF_EEENSH_IJSG_SG_EEES6_PlJ7is_evenIiEEEE10hipError_tPvRmT3_T4_T5_T6_T7_T9_mT8_P12ihipStream_tbDpT10_ENKUlT_T0_E_clISt17integral_constantIbLb0EES16_EEDaS11_S12_EUlS11_E_NS1_11comp_targetILNS1_3genE0ELNS1_11target_archE4294967295ELNS1_3gpuE0ELNS1_3repE0EEENS1_30default_config_static_selectorELNS0_4arch9wavefront6targetE1EEEvT1_
		.amdhsa_group_segment_fixed_size 0
		.amdhsa_private_segment_fixed_size 0
		.amdhsa_kernarg_size 120
		.amdhsa_user_sgpr_count 2
		.amdhsa_user_sgpr_dispatch_ptr 0
		.amdhsa_user_sgpr_queue_ptr 0
		.amdhsa_user_sgpr_kernarg_segment_ptr 1
		.amdhsa_user_sgpr_dispatch_id 0
		.amdhsa_user_sgpr_kernarg_preload_length 0
		.amdhsa_user_sgpr_kernarg_preload_offset 0
		.amdhsa_user_sgpr_private_segment_size 0
		.amdhsa_uses_dynamic_stack 0
		.amdhsa_enable_private_segment 0
		.amdhsa_system_sgpr_workgroup_id_x 1
		.amdhsa_system_sgpr_workgroup_id_y 0
		.amdhsa_system_sgpr_workgroup_id_z 0
		.amdhsa_system_sgpr_workgroup_info 0
		.amdhsa_system_vgpr_workitem_id 0
		.amdhsa_next_free_vgpr 1
		.amdhsa_next_free_sgpr 0
		.amdhsa_accum_offset 4
		.amdhsa_reserve_vcc 0
		.amdhsa_float_round_mode_32 0
		.amdhsa_float_round_mode_16_64 0
		.amdhsa_float_denorm_mode_32 3
		.amdhsa_float_denorm_mode_16_64 3
		.amdhsa_dx10_clamp 1
		.amdhsa_ieee_mode 1
		.amdhsa_fp16_overflow 0
		.amdhsa_tg_split 0
		.amdhsa_exception_fp_ieee_invalid_op 0
		.amdhsa_exception_fp_denorm_src 0
		.amdhsa_exception_fp_ieee_div_zero 0
		.amdhsa_exception_fp_ieee_overflow 0
		.amdhsa_exception_fp_ieee_underflow 0
		.amdhsa_exception_fp_ieee_inexact 0
		.amdhsa_exception_int_div_zero 0
	.end_amdhsa_kernel
	.section	.text._ZN7rocprim17ROCPRIM_400000_NS6detail17trampoline_kernelINS0_14default_configENS1_25partition_config_selectorILNS1_17partition_subalgoE0EiNS0_10empty_typeEbEEZZNS1_14partition_implILS5_0ELb0ES3_jN6thrust23THRUST_200600_302600_NS6detail15normal_iteratorINSA_10device_ptrIiEEEEPS6_SG_NS0_5tupleIJSF_SF_EEENSH_IJSG_SG_EEES6_PlJ7is_evenIiEEEE10hipError_tPvRmT3_T4_T5_T6_T7_T9_mT8_P12ihipStream_tbDpT10_ENKUlT_T0_E_clISt17integral_constantIbLb0EES16_EEDaS11_S12_EUlS11_E_NS1_11comp_targetILNS1_3genE0ELNS1_11target_archE4294967295ELNS1_3gpuE0ELNS1_3repE0EEENS1_30default_config_static_selectorELNS0_4arch9wavefront6targetE1EEEvT1_,"axG",@progbits,_ZN7rocprim17ROCPRIM_400000_NS6detail17trampoline_kernelINS0_14default_configENS1_25partition_config_selectorILNS1_17partition_subalgoE0EiNS0_10empty_typeEbEEZZNS1_14partition_implILS5_0ELb0ES3_jN6thrust23THRUST_200600_302600_NS6detail15normal_iteratorINSA_10device_ptrIiEEEEPS6_SG_NS0_5tupleIJSF_SF_EEENSH_IJSG_SG_EEES6_PlJ7is_evenIiEEEE10hipError_tPvRmT3_T4_T5_T6_T7_T9_mT8_P12ihipStream_tbDpT10_ENKUlT_T0_E_clISt17integral_constantIbLb0EES16_EEDaS11_S12_EUlS11_E_NS1_11comp_targetILNS1_3genE0ELNS1_11target_archE4294967295ELNS1_3gpuE0ELNS1_3repE0EEENS1_30default_config_static_selectorELNS0_4arch9wavefront6targetE1EEEvT1_,comdat
.Lfunc_end321:
	.size	_ZN7rocprim17ROCPRIM_400000_NS6detail17trampoline_kernelINS0_14default_configENS1_25partition_config_selectorILNS1_17partition_subalgoE0EiNS0_10empty_typeEbEEZZNS1_14partition_implILS5_0ELb0ES3_jN6thrust23THRUST_200600_302600_NS6detail15normal_iteratorINSA_10device_ptrIiEEEEPS6_SG_NS0_5tupleIJSF_SF_EEENSH_IJSG_SG_EEES6_PlJ7is_evenIiEEEE10hipError_tPvRmT3_T4_T5_T6_T7_T9_mT8_P12ihipStream_tbDpT10_ENKUlT_T0_E_clISt17integral_constantIbLb0EES16_EEDaS11_S12_EUlS11_E_NS1_11comp_targetILNS1_3genE0ELNS1_11target_archE4294967295ELNS1_3gpuE0ELNS1_3repE0EEENS1_30default_config_static_selectorELNS0_4arch9wavefront6targetE1EEEvT1_, .Lfunc_end321-_ZN7rocprim17ROCPRIM_400000_NS6detail17trampoline_kernelINS0_14default_configENS1_25partition_config_selectorILNS1_17partition_subalgoE0EiNS0_10empty_typeEbEEZZNS1_14partition_implILS5_0ELb0ES3_jN6thrust23THRUST_200600_302600_NS6detail15normal_iteratorINSA_10device_ptrIiEEEEPS6_SG_NS0_5tupleIJSF_SF_EEENSH_IJSG_SG_EEES6_PlJ7is_evenIiEEEE10hipError_tPvRmT3_T4_T5_T6_T7_T9_mT8_P12ihipStream_tbDpT10_ENKUlT_T0_E_clISt17integral_constantIbLb0EES16_EEDaS11_S12_EUlS11_E_NS1_11comp_targetILNS1_3genE0ELNS1_11target_archE4294967295ELNS1_3gpuE0ELNS1_3repE0EEENS1_30default_config_static_selectorELNS0_4arch9wavefront6targetE1EEEvT1_
                                        ; -- End function
	.section	.AMDGPU.csdata,"",@progbits
; Kernel info:
; codeLenInByte = 0
; NumSgprs: 6
; NumVgprs: 0
; NumAgprs: 0
; TotalNumVgprs: 0
; ScratchSize: 0
; MemoryBound: 0
; FloatMode: 240
; IeeeMode: 1
; LDSByteSize: 0 bytes/workgroup (compile time only)
; SGPRBlocks: 0
; VGPRBlocks: 0
; NumSGPRsForWavesPerEU: 6
; NumVGPRsForWavesPerEU: 1
; AccumOffset: 4
; Occupancy: 8
; WaveLimiterHint : 0
; COMPUTE_PGM_RSRC2:SCRATCH_EN: 0
; COMPUTE_PGM_RSRC2:USER_SGPR: 2
; COMPUTE_PGM_RSRC2:TRAP_HANDLER: 0
; COMPUTE_PGM_RSRC2:TGID_X_EN: 1
; COMPUTE_PGM_RSRC2:TGID_Y_EN: 0
; COMPUTE_PGM_RSRC2:TGID_Z_EN: 0
; COMPUTE_PGM_RSRC2:TIDIG_COMP_CNT: 0
; COMPUTE_PGM_RSRC3_GFX90A:ACCUM_OFFSET: 0
; COMPUTE_PGM_RSRC3_GFX90A:TG_SPLIT: 0
	.section	.text._ZN7rocprim17ROCPRIM_400000_NS6detail17trampoline_kernelINS0_14default_configENS1_25partition_config_selectorILNS1_17partition_subalgoE0EiNS0_10empty_typeEbEEZZNS1_14partition_implILS5_0ELb0ES3_jN6thrust23THRUST_200600_302600_NS6detail15normal_iteratorINSA_10device_ptrIiEEEEPS6_SG_NS0_5tupleIJSF_SF_EEENSH_IJSG_SG_EEES6_PlJ7is_evenIiEEEE10hipError_tPvRmT3_T4_T5_T6_T7_T9_mT8_P12ihipStream_tbDpT10_ENKUlT_T0_E_clISt17integral_constantIbLb0EES16_EEDaS11_S12_EUlS11_E_NS1_11comp_targetILNS1_3genE5ELNS1_11target_archE942ELNS1_3gpuE9ELNS1_3repE0EEENS1_30default_config_static_selectorELNS0_4arch9wavefront6targetE1EEEvT1_,"axG",@progbits,_ZN7rocprim17ROCPRIM_400000_NS6detail17trampoline_kernelINS0_14default_configENS1_25partition_config_selectorILNS1_17partition_subalgoE0EiNS0_10empty_typeEbEEZZNS1_14partition_implILS5_0ELb0ES3_jN6thrust23THRUST_200600_302600_NS6detail15normal_iteratorINSA_10device_ptrIiEEEEPS6_SG_NS0_5tupleIJSF_SF_EEENSH_IJSG_SG_EEES6_PlJ7is_evenIiEEEE10hipError_tPvRmT3_T4_T5_T6_T7_T9_mT8_P12ihipStream_tbDpT10_ENKUlT_T0_E_clISt17integral_constantIbLb0EES16_EEDaS11_S12_EUlS11_E_NS1_11comp_targetILNS1_3genE5ELNS1_11target_archE942ELNS1_3gpuE9ELNS1_3repE0EEENS1_30default_config_static_selectorELNS0_4arch9wavefront6targetE1EEEvT1_,comdat
	.protected	_ZN7rocprim17ROCPRIM_400000_NS6detail17trampoline_kernelINS0_14default_configENS1_25partition_config_selectorILNS1_17partition_subalgoE0EiNS0_10empty_typeEbEEZZNS1_14partition_implILS5_0ELb0ES3_jN6thrust23THRUST_200600_302600_NS6detail15normal_iteratorINSA_10device_ptrIiEEEEPS6_SG_NS0_5tupleIJSF_SF_EEENSH_IJSG_SG_EEES6_PlJ7is_evenIiEEEE10hipError_tPvRmT3_T4_T5_T6_T7_T9_mT8_P12ihipStream_tbDpT10_ENKUlT_T0_E_clISt17integral_constantIbLb0EES16_EEDaS11_S12_EUlS11_E_NS1_11comp_targetILNS1_3genE5ELNS1_11target_archE942ELNS1_3gpuE9ELNS1_3repE0EEENS1_30default_config_static_selectorELNS0_4arch9wavefront6targetE1EEEvT1_ ; -- Begin function _ZN7rocprim17ROCPRIM_400000_NS6detail17trampoline_kernelINS0_14default_configENS1_25partition_config_selectorILNS1_17partition_subalgoE0EiNS0_10empty_typeEbEEZZNS1_14partition_implILS5_0ELb0ES3_jN6thrust23THRUST_200600_302600_NS6detail15normal_iteratorINSA_10device_ptrIiEEEEPS6_SG_NS0_5tupleIJSF_SF_EEENSH_IJSG_SG_EEES6_PlJ7is_evenIiEEEE10hipError_tPvRmT3_T4_T5_T6_T7_T9_mT8_P12ihipStream_tbDpT10_ENKUlT_T0_E_clISt17integral_constantIbLb0EES16_EEDaS11_S12_EUlS11_E_NS1_11comp_targetILNS1_3genE5ELNS1_11target_archE942ELNS1_3gpuE9ELNS1_3repE0EEENS1_30default_config_static_selectorELNS0_4arch9wavefront6targetE1EEEvT1_
	.globl	_ZN7rocprim17ROCPRIM_400000_NS6detail17trampoline_kernelINS0_14default_configENS1_25partition_config_selectorILNS1_17partition_subalgoE0EiNS0_10empty_typeEbEEZZNS1_14partition_implILS5_0ELb0ES3_jN6thrust23THRUST_200600_302600_NS6detail15normal_iteratorINSA_10device_ptrIiEEEEPS6_SG_NS0_5tupleIJSF_SF_EEENSH_IJSG_SG_EEES6_PlJ7is_evenIiEEEE10hipError_tPvRmT3_T4_T5_T6_T7_T9_mT8_P12ihipStream_tbDpT10_ENKUlT_T0_E_clISt17integral_constantIbLb0EES16_EEDaS11_S12_EUlS11_E_NS1_11comp_targetILNS1_3genE5ELNS1_11target_archE942ELNS1_3gpuE9ELNS1_3repE0EEENS1_30default_config_static_selectorELNS0_4arch9wavefront6targetE1EEEvT1_
	.p2align	8
	.type	_ZN7rocprim17ROCPRIM_400000_NS6detail17trampoline_kernelINS0_14default_configENS1_25partition_config_selectorILNS1_17partition_subalgoE0EiNS0_10empty_typeEbEEZZNS1_14partition_implILS5_0ELb0ES3_jN6thrust23THRUST_200600_302600_NS6detail15normal_iteratorINSA_10device_ptrIiEEEEPS6_SG_NS0_5tupleIJSF_SF_EEENSH_IJSG_SG_EEES6_PlJ7is_evenIiEEEE10hipError_tPvRmT3_T4_T5_T6_T7_T9_mT8_P12ihipStream_tbDpT10_ENKUlT_T0_E_clISt17integral_constantIbLb0EES16_EEDaS11_S12_EUlS11_E_NS1_11comp_targetILNS1_3genE5ELNS1_11target_archE942ELNS1_3gpuE9ELNS1_3repE0EEENS1_30default_config_static_selectorELNS0_4arch9wavefront6targetE1EEEvT1_,@function
_ZN7rocprim17ROCPRIM_400000_NS6detail17trampoline_kernelINS0_14default_configENS1_25partition_config_selectorILNS1_17partition_subalgoE0EiNS0_10empty_typeEbEEZZNS1_14partition_implILS5_0ELb0ES3_jN6thrust23THRUST_200600_302600_NS6detail15normal_iteratorINSA_10device_ptrIiEEEEPS6_SG_NS0_5tupleIJSF_SF_EEENSH_IJSG_SG_EEES6_PlJ7is_evenIiEEEE10hipError_tPvRmT3_T4_T5_T6_T7_T9_mT8_P12ihipStream_tbDpT10_ENKUlT_T0_E_clISt17integral_constantIbLb0EES16_EEDaS11_S12_EUlS11_E_NS1_11comp_targetILNS1_3genE5ELNS1_11target_archE942ELNS1_3gpuE9ELNS1_3repE0EEENS1_30default_config_static_selectorELNS0_4arch9wavefront6targetE1EEEvT1_: ; @_ZN7rocprim17ROCPRIM_400000_NS6detail17trampoline_kernelINS0_14default_configENS1_25partition_config_selectorILNS1_17partition_subalgoE0EiNS0_10empty_typeEbEEZZNS1_14partition_implILS5_0ELb0ES3_jN6thrust23THRUST_200600_302600_NS6detail15normal_iteratorINSA_10device_ptrIiEEEEPS6_SG_NS0_5tupleIJSF_SF_EEENSH_IJSG_SG_EEES6_PlJ7is_evenIiEEEE10hipError_tPvRmT3_T4_T5_T6_T7_T9_mT8_P12ihipStream_tbDpT10_ENKUlT_T0_E_clISt17integral_constantIbLb0EES16_EEDaS11_S12_EUlS11_E_NS1_11comp_targetILNS1_3genE5ELNS1_11target_archE942ELNS1_3gpuE9ELNS1_3repE0EEENS1_30default_config_static_selectorELNS0_4arch9wavefront6targetE1EEEvT1_
; %bb.0:
	s_load_dwordx2 s[4:5], s[0:1], 0x58
	s_load_dwordx4 s[20:23], s[0:1], 0x8
	s_load_dwordx4 s[24:27], s[0:1], 0x48
	s_load_dword s3, s[0:1], 0x70
	s_mul_i32 s8, s2, 0x1e00
	s_waitcnt lgkmcnt(0)
	v_mov_b32_e32 v3, s5
	s_lshl_b64 s[6:7], s[22:23], 2
	s_add_u32 s10, s20, s6
	s_addc_u32 s11, s21, s7
	s_add_i32 s6, s3, -1
	s_mulk_i32 s3, 0x1e00
	s_add_i32 s5, s3, s22
	s_sub_i32 s33, s4, s5
	s_addk_i32 s33, 0x1e00
	v_mov_b32_e32 v2, s4
	s_add_u32 s4, s22, s3
	s_addc_u32 s5, s23, 0
	s_cmp_eq_u32 s2, s6
	s_load_dwordx2 s[28:29], s[26:27], 0x0
	s_cselect_b64 s[26:27], -1, 0
	s_cmp_lg_u32 s2, s6
	s_mov_b32 s9, 0
	v_cmp_lt_u64_e32 vcc, s[4:5], v[2:3]
	s_cselect_b64 s[4:5], -1, 0
	s_or_b64 s[6:7], s[4:5], vcc
	s_lshl_b64 s[30:31], s[8:9], 2
	s_add_u32 s8, s10, s30
	s_addc_u32 s9, s11, s31
	s_mov_b64 s[4:5], -1
	s_and_b64 vcc, exec, s[6:7]
	v_lshlrev_b32_e32 v18, 2, v0
	s_cbranch_vccz .LBB322_2
; %bb.1:
	v_mov_b32_e32 v19, 0
	v_lshl_add_u64 v[2:3], s[8:9], 0, v[18:19]
	v_add_co_u32_e32 v4, vcc, 0x1000, v2
	s_mov_b64 s[4:5], 0
	s_nop 0
	v_addc_co_u32_e32 v5, vcc, 0, v3, vcc
	v_add_co_u32_e32 v6, vcc, 0x2000, v2
	s_nop 1
	v_addc_co_u32_e32 v7, vcc, 0, v3, vcc
	v_add_co_u32_e32 v8, vcc, 0x3000, v2
	s_nop 1
	v_addc_co_u32_e32 v9, vcc, 0, v3, vcc
	flat_load_dword v1, v[2:3]
	flat_load_dword v10, v[2:3] offset:2048
	flat_load_dword v11, v[4:5]
	flat_load_dword v12, v[4:5] offset:2048
	;; [unrolled: 2-line block ×4, first 2 shown]
	v_add_co_u32_e32 v4, vcc, 0x4000, v2
	s_nop 1
	v_addc_co_u32_e32 v5, vcc, 0, v3, vcc
	v_add_co_u32_e32 v6, vcc, 0x5000, v2
	s_nop 1
	v_addc_co_u32_e32 v7, vcc, 0, v3, vcc
	;; [unrolled: 3-line block ×4, first 2 shown]
	flat_load_dword v17, v[4:5]
	flat_load_dword v19, v[4:5] offset:2048
	flat_load_dword v20, v[6:7]
	flat_load_dword v21, v[6:7] offset:2048
	;; [unrolled: 2-line block ×3, first 2 shown]
	flat_load_dword v24, v[2:3]
	s_waitcnt vmcnt(0) lgkmcnt(0)
	ds_write2st64_b32 v18, v1, v10 offset1:8
	ds_write2st64_b32 v18, v11, v12 offset0:16 offset1:24
	ds_write2st64_b32 v18, v13, v14 offset0:32 offset1:40
	;; [unrolled: 1-line block ×6, first 2 shown]
	ds_write_b32 v18, v24 offset:28672
	s_waitcnt lgkmcnt(0)
	s_barrier
.LBB322_2:
	s_andn2_b64 vcc, exec, s[4:5]
	v_cmp_gt_u32_e64 s[4:5], s33, v0
	s_cbranch_vccnz .LBB322_34
; %bb.3:
                                        ; implicit-def: $vgpr2_vgpr3_vgpr4_vgpr5_vgpr6_vgpr7_vgpr8_vgpr9_vgpr10_vgpr11_vgpr12_vgpr13_vgpr14_vgpr15_vgpr16_vgpr17
	s_and_saveexec_b64 s[10:11], s[4:5]
	s_cbranch_execz .LBB322_5
; %bb.4:
	v_mov_b32_e32 v19, 0
	v_lshl_add_u64 v[2:3], s[8:9], 0, v[18:19]
	flat_load_dword v2, v[2:3]
.LBB322_5:
	s_or_b64 exec, exec, s[10:11]
	v_or_b32_e32 v1, 0x200, v0
	v_cmp_gt_u32_e32 vcc, s33, v1
	s_and_saveexec_b64 s[4:5], vcc
	s_cbranch_execz .LBB322_7
; %bb.6:
	v_mov_b32_e32 v19, 0
	v_lshl_add_u64 v[20:21], s[8:9], 0, v[18:19]
	flat_load_dword v3, v[20:21] offset:2048
.LBB322_7:
	s_or_b64 exec, exec, s[4:5]
	v_or_b32_e32 v1, 0x400, v0
	v_cmp_gt_u32_e32 vcc, s33, v1
	s_and_saveexec_b64 s[4:5], vcc
	s_cbranch_execz .LBB322_9
; %bb.8:
	v_lshlrev_b32_e32 v20, 2, v1
	v_mov_b32_e32 v21, 0
	v_lshl_add_u64 v[20:21], s[8:9], 0, v[20:21]
	flat_load_dword v4, v[20:21]
.LBB322_9:
	s_or_b64 exec, exec, s[4:5]
	v_or_b32_e32 v1, 0x600, v0
	v_cmp_gt_u32_e32 vcc, s33, v1
	s_and_saveexec_b64 s[4:5], vcc
	s_cbranch_execz .LBB322_11
; %bb.10:
	v_lshlrev_b32_e32 v20, 2, v1
	v_mov_b32_e32 v21, 0
	v_lshl_add_u64 v[20:21], s[8:9], 0, v[20:21]
	flat_load_dword v5, v[20:21]
.LBB322_11:
	;; [unrolled: 11-line block ×13, first 2 shown]
	s_or_b64 exec, exec, s[4:5]
	s_waitcnt vmcnt(0) lgkmcnt(0)
	ds_write2st64_b32 v18, v2, v3 offset1:8
	ds_write2st64_b32 v18, v4, v5 offset0:16 offset1:24
	ds_write2st64_b32 v18, v6, v7 offset0:32 offset1:40
	;; [unrolled: 1-line block ×6, first 2 shown]
	ds_write_b32 v18, v16 offset:28672
	s_waitcnt lgkmcnt(0)
	s_barrier
.LBB322_34:
	v_mul_u32_u24_e32 v38, 15, v0
	v_lshlrev_b32_e32 v1, 2, v38
	s_waitcnt lgkmcnt(0)
	ds_read2_b32 v[32:33], v1 offset1:1
	ds_read2_b32 v[30:31], v1 offset0:2 offset1:3
	ds_read2_b32 v[28:29], v1 offset0:4 offset1:5
	;; [unrolled: 1-line block ×6, first 2 shown]
	ds_read_b32 v1, v1 offset:56
	v_cndmask_b32_e64 v2, 0, 1, s[6:7]
	v_cmp_ne_u32_e64 s[20:21], 1, v2
	s_andn2_b64 vcc, exec, s[6:7]
	s_waitcnt lgkmcnt(7)
	v_xor_b32_e32 v16, -1, v32
	v_xor_b32_e32 v15, -1, v33
	s_waitcnt lgkmcnt(6)
	v_xor_b32_e32 v14, -1, v30
	v_xor_b32_e32 v13, -1, v31
	;; [unrolled: 3-line block ×7, first 2 shown]
	s_waitcnt lgkmcnt(0)
	v_xor_b32_e32 v2, -1, v1
	s_barrier
	s_cbranch_vccnz .LBB322_36
; %bb.35:
	v_and_b32_e32 v51, 1, v16
	v_and_b32_e32 v50, 1, v15
	;; [unrolled: 1-line block ×15, first 2 shown]
	s_load_dwordx2 s[34:35], s[0:1], 0x68
	s_cbranch_execz .LBB322_37
	s_branch .LBB322_38
.LBB322_36:
                                        ; implicit-def: $vgpr19
                                        ; implicit-def: $vgpr37
                                        ; implicit-def: $vgpr39
                                        ; implicit-def: $vgpr40
                                        ; implicit-def: $vgpr41
                                        ; implicit-def: $vgpr42
                                        ; implicit-def: $vgpr43
                                        ; implicit-def: $vgpr44
                                        ; implicit-def: $vgpr45
                                        ; implicit-def: $vgpr51
                                        ; implicit-def: $vgpr50
                                        ; implicit-def: $vgpr49
                                        ; implicit-def: $vgpr48
                                        ; implicit-def: $vgpr47
                                        ; implicit-def: $vgpr46
	s_load_dwordx2 s[34:35], s[0:1], 0x68
.LBB322_37:
	v_add_u32_e32 v44, 1, v38
	v_cmp_gt_u32_e32 vcc, s33, v38
	v_add_u32_e32 v17, 2, v38
	v_add_u32_e32 v43, 3, v38
	v_cndmask_b32_e64 v45, 0, 1, vcc
	v_cmp_gt_u32_e32 vcc, s33, v44
	v_and_b32_e32 v51, v45, v16
	v_add_u32_e32 v19, 4, v38
	v_cndmask_b32_e64 v16, 0, 1, vcc
	v_cmp_gt_u32_e32 vcc, s33, v17
	v_and_b32_e32 v50, v16, v15
	v_add_u32_e32 v42, 5, v38
	v_cndmask_b32_e64 v15, 0, 1, vcc
	v_cmp_gt_u32_e32 vcc, s33, v43
	v_and_b32_e32 v49, v15, v14
	v_add_u32_e32 v34, 6, v38
	v_cndmask_b32_e64 v14, 0, 1, vcc
	v_cmp_gt_u32_e32 vcc, s33, v19
	v_and_b32_e32 v48, v14, v13
	v_add_u32_e32 v41, 7, v38
	v_cndmask_b32_e64 v13, 0, 1, vcc
	v_cmp_gt_u32_e32 vcc, s33, v42
	v_and_b32_e32 v47, v13, v12
	v_add_u32_e32 v35, 8, v38
	v_cndmask_b32_e64 v12, 0, 1, vcc
	v_cmp_gt_u32_e32 vcc, s33, v34
	v_and_b32_e32 v46, v12, v11
	v_add_u32_e32 v40, 9, v38
	v_cndmask_b32_e64 v11, 0, 1, vcc
	v_cmp_gt_u32_e32 vcc, s33, v41
	v_and_b32_e32 v45, v11, v10
	v_add_u32_e32 v36, 10, v38
	v_cndmask_b32_e64 v10, 0, 1, vcc
	v_cmp_gt_u32_e32 vcc, s33, v35
	v_and_b32_e32 v44, v10, v9
	v_add_u32_e32 v39, 11, v38
	v_cndmask_b32_e64 v9, 0, 1, vcc
	v_cmp_gt_u32_e32 vcc, s33, v40
	v_and_b32_e32 v43, v9, v8
	v_add_u32_e32 v37, 12, v38
	v_cndmask_b32_e64 v8, 0, 1, vcc
	v_cmp_gt_u32_e32 vcc, s33, v36
	v_and_b32_e32 v42, v8, v7
	v_add_u32_e32 v53, 13, v38
	v_cndmask_b32_e64 v7, 0, 1, vcc
	v_cmp_gt_u32_e32 vcc, s33, v39
	v_and_b32_e32 v41, v7, v6
	v_add_u32_e32 v52, 14, v38
	v_cndmask_b32_e64 v6, 0, 1, vcc
	v_cmp_gt_u32_e32 vcc, s33, v37
	v_and_b32_e32 v40, v6, v5
	s_nop 0
	v_cndmask_b32_e64 v5, 0, 1, vcc
	v_cmp_gt_u32_e32 vcc, s33, v53
	v_and_b32_e32 v39, v5, v4
	s_nop 0
	v_cndmask_b32_e64 v4, 0, 1, vcc
	v_cmp_gt_u32_e32 vcc, s33, v52
	v_and_b32_e32 v37, v4, v3
	s_nop 0
	v_cndmask_b32_e64 v3, 0, 1, vcc
	v_and_b32_e32 v19, v3, v2
.LBB322_38:
	v_and_b32_e32 v55, 0xff, v48
	v_and_b32_e32 v56, 0xff, v47
	;; [unrolled: 1-line block ×5, first 2 shown]
	v_add3_u32 v3, v56, v57, v55
	v_and_b32_e32 v52, 0xff, v51
	v_and_b32_e32 v58, 0xff, v45
	v_add3_u32 v3, v3, v54, v53
	v_and_b32_e32 v59, 0xff, v44
	v_and_b32_e32 v60, 0xff, v43
	;; [unrolled: 3-line block ×5, first 2 shown]
	v_add3_u32 v3, v3, v63, v64
	v_add3_u32 v68, v3, v65, v2
	v_mbcnt_lo_u32_b32 v2, -1, 0
	v_mbcnt_hi_u32_b32 v66, -1, v2
	v_and_b32_e32 v2, 15, v66
	v_cmp_eq_u32_e64 s[16:17], 0, v2
	v_cmp_lt_u32_e64 s[14:15], 1, v2
	v_cmp_lt_u32_e64 s[12:13], 3, v2
	;; [unrolled: 1-line block ×3, first 2 shown]
	v_and_b32_e32 v2, 16, v66
	v_cmp_eq_u32_e64 s[8:9], 0, v2
	v_or_b32_e32 v2, 63, v0
	s_cmp_lg_u32 s2, 0
	v_cmp_lt_u32_e64 s[4:5], 31, v66
	v_lshrrev_b32_e32 v67, 6, v0
	v_cmp_eq_u32_e64 s[6:7], v2, v0
	s_cbranch_scc0 .LBB322_65
; %bb.39:
	v_mov_b32_dpp v2, v68 row_shr:1 row_mask:0xf bank_mask:0xf
	v_cndmask_b32_e64 v2, v2, 0, s[16:17]
	v_add_u32_e32 v2, v2, v68
	s_nop 1
	v_mov_b32_dpp v3, v2 row_shr:2 row_mask:0xf bank_mask:0xf
	v_cndmask_b32_e64 v3, 0, v3, s[14:15]
	v_add_u32_e32 v2, v2, v3
	s_nop 1
	;; [unrolled: 4-line block ×4, first 2 shown]
	v_mov_b32_dpp v3, v2 row_bcast:15 row_mask:0xf bank_mask:0xf
	v_cndmask_b32_e64 v3, v3, 0, s[8:9]
	v_add_u32_e32 v2, v2, v3
	s_nop 1
	v_mov_b32_dpp v3, v2 row_bcast:31 row_mask:0xf bank_mask:0xf
	v_cndmask_b32_e64 v3, 0, v3, s[4:5]
	v_add_u32_e32 v2, v2, v3
	s_and_saveexec_b64 s[18:19], s[6:7]
	s_cbranch_execz .LBB322_41
; %bb.40:
	v_lshlrev_b32_e32 v3, 2, v67
	ds_write_b32 v3, v2
.LBB322_41:
	s_or_b64 exec, exec, s[18:19]
	v_cmp_gt_u32_e32 vcc, 8, v0
	s_waitcnt lgkmcnt(0)
	s_barrier
	s_and_saveexec_b64 s[18:19], vcc
	s_cbranch_execz .LBB322_43
; %bb.42:
	ds_read_b32 v3, v18
	v_and_b32_e32 v4, 7, v66
	v_cmp_ne_u32_e32 vcc, 0, v4
	s_waitcnt lgkmcnt(0)
	v_mov_b32_dpp v5, v3 row_shr:1 row_mask:0xf bank_mask:0xf
	v_cndmask_b32_e32 v5, 0, v5, vcc
	v_add_u32_e32 v3, v5, v3
	v_cmp_lt_u32_e32 vcc, 1, v4
	s_nop 0
	v_mov_b32_dpp v5, v3 row_shr:2 row_mask:0xf bank_mask:0xf
	v_cndmask_b32_e32 v5, 0, v5, vcc
	v_add_u32_e32 v3, v3, v5
	v_cmp_lt_u32_e32 vcc, 3, v4
	s_nop 0
	v_mov_b32_dpp v5, v3 row_shr:4 row_mask:0xf bank_mask:0xf
	v_cndmask_b32_e32 v4, 0, v5, vcc
	v_add_u32_e32 v3, v3, v4
	ds_write_b32 v18, v3
.LBB322_43:
	s_or_b64 exec, exec, s[18:19]
	v_cmp_gt_u32_e32 vcc, 64, v0
	v_cmp_lt_u32_e64 s[18:19], 63, v0
	s_waitcnt lgkmcnt(0)
	s_barrier
	s_waitcnt lgkmcnt(0)
                                        ; implicit-def: $vgpr12
	s_and_saveexec_b64 s[36:37], s[18:19]
	s_cbranch_execz .LBB322_45
; %bb.44:
	v_lshl_add_u32 v3, v67, 2, -4
	ds_read_b32 v12, v3
	s_waitcnt lgkmcnt(0)
	v_add_u32_e32 v2, v12, v2
.LBB322_45:
	s_or_b64 exec, exec, s[36:37]
	v_add_u32_e32 v3, -1, v66
	v_and_b32_e32 v4, 64, v66
	v_cmp_lt_i32_e64 s[18:19], v3, v4
	s_nop 1
	v_cndmask_b32_e64 v3, v3, v66, s[18:19]
	v_lshlrev_b32_e32 v3, 2, v3
	ds_bpermute_b32 v13, v3, v2
	v_cmp_eq_u32_e64 s[18:19], 0, v66
	s_and_saveexec_b64 s[36:37], vcc
	s_cbranch_execz .LBB322_64
; %bb.46:
	v_mov_b32_e32 v9, 0
	ds_read_b32 v2, v9 offset:28
	s_and_saveexec_b64 s[38:39], s[18:19]
	s_cbranch_execz .LBB322_48
; %bb.47:
	s_add_i32 s40, s2, 64
	s_mov_b32 s41, 0
	s_lshl_b64 s[40:41], s[40:41], 3
	s_add_u32 s40, s34, s40
	v_mov_b32_e32 v3, 1
	s_addc_u32 s41, s35, s41
	s_waitcnt lgkmcnt(0)
	global_store_dwordx2 v9, v[2:3], s[40:41] sc1
.LBB322_48:
	s_or_b64 exec, exec, s[38:39]
	v_xad_u32 v4, v66, -1, s2
	v_add_u32_e32 v8, 64, v4
	v_lshl_add_u64 v[10:11], v[8:9], 3, s[34:35]
	global_load_dwordx2 v[6:7], v[10:11], off sc1
	s_waitcnt vmcnt(0)
	v_cmp_eq_u16_sdwa s[40:41], v7, v9 src0_sel:BYTE_0 src1_sel:DWORD
	s_and_saveexec_b64 s[38:39], s[40:41]
	s_cbranch_execz .LBB322_52
; %bb.49:
	s_mov_b64 s[40:41], 0
	v_mov_b32_e32 v3, 0
.LBB322_50:                             ; =>This Inner Loop Header: Depth=1
	global_load_dwordx2 v[6:7], v[10:11], off sc1
	s_waitcnt vmcnt(0)
	v_cmp_ne_u16_sdwa s[42:43], v7, v3 src0_sel:BYTE_0 src1_sel:DWORD
	s_or_b64 s[40:41], s[42:43], s[40:41]
	s_andn2_b64 exec, exec, s[40:41]
	s_cbranch_execnz .LBB322_50
; %bb.51:
	s_or_b64 exec, exec, s[40:41]
.LBB322_52:
	s_or_b64 exec, exec, s[38:39]
	v_and_b32_e32 v15, 63, v66
	v_mov_b32_e32 v14, 2
	v_cmp_ne_u32_e32 vcc, 63, v15
	v_cmp_eq_u16_sdwa s[38:39], v7, v14 src0_sel:BYTE_0 src1_sel:DWORD
	v_lshlrev_b64 v[8:9], v66, -1
	v_addc_co_u32_e32 v10, vcc, 0, v66, vcc
	v_and_b32_e32 v3, s39, v9
	v_lshlrev_b32_e32 v16, 2, v10
	v_or_b32_e32 v3, 0x80000000, v3
	ds_bpermute_b32 v10, v16, v6
	v_and_b32_e32 v5, s38, v8
	v_ffbl_b32_e32 v3, v3
	v_add_u32_e32 v3, 32, v3
	v_ffbl_b32_e32 v5, v5
	v_min_u32_e32 v3, v5, v3
	v_cmp_lt_u32_e32 vcc, v15, v3
	v_add_u32_e32 v34, 2, v15
	v_add_u32_e32 v36, 4, v15
	s_waitcnt lgkmcnt(0)
	v_cndmask_b32_e32 v5, 0, v10, vcc
	v_cmp_gt_u32_e32 vcc, 62, v15
	v_add_u32_e32 v5, v5, v6
	v_add_u32_e32 v70, 8, v15
	v_cndmask_b32_e64 v6, 0, 1, vcc
	v_lshlrev_b32_e32 v6, 1, v6
	v_add_lshl_u32 v17, v6, v66, 2
	ds_bpermute_b32 v6, v17, v5
	v_cmp_le_u32_e32 vcc, v34, v3
	v_add_u32_e32 v72, 16, v15
	v_add_u32_e32 v74, 32, v15
	s_waitcnt lgkmcnt(0)
	v_cndmask_b32_e32 v6, 0, v6, vcc
	v_cmp_gt_u32_e32 vcc, 60, v15
	v_add_u32_e32 v5, v5, v6
	s_nop 0
	v_cndmask_b32_e64 v6, 0, 1, vcc
	v_lshlrev_b32_e32 v6, 2, v6
	v_add_lshl_u32 v35, v6, v66, 2
	ds_bpermute_b32 v6, v35, v5
	v_cmp_le_u32_e32 vcc, v36, v3
	s_waitcnt lgkmcnt(0)
	s_nop 0
	v_cndmask_b32_e32 v6, 0, v6, vcc
	v_cmp_gt_u32_e32 vcc, 56, v15
	v_add_u32_e32 v5, v5, v6
	s_nop 0
	v_cndmask_b32_e64 v6, 0, 1, vcc
	v_lshlrev_b32_e32 v6, 3, v6
	v_add_lshl_u32 v69, v6, v66, 2
	ds_bpermute_b32 v6, v69, v5
	v_cmp_le_u32_e32 vcc, v70, v3
	s_waitcnt lgkmcnt(0)
	s_nop 0
	;; [unrolled: 11-line block ×4, first 2 shown]
	v_cndmask_b32_e32 v3, 0, v6, vcc
	v_add_u32_e32 v6, v5, v3
	v_mov_b32_e32 v5, 0
	s_branch .LBB322_54
.LBB322_53:                             ;   in Loop: Header=BB322_54 Depth=1
	s_or_b64 exec, exec, s[38:39]
	v_cmp_eq_u16_sdwa s[38:39], v7, v14 src0_sel:BYTE_0 src1_sel:DWORD
	ds_bpermute_b32 v75, v16, v6
	v_subrev_u32_e32 v4, 64, v4
	v_and_b32_e32 v10, s39, v9
	v_or_b32_e32 v10, 0x80000000, v10
	v_and_b32_e32 v11, s38, v8
	v_ffbl_b32_e32 v10, v10
	v_add_u32_e32 v10, 32, v10
	v_ffbl_b32_e32 v11, v11
	v_min_u32_e32 v10, v11, v10
	v_cmp_lt_u32_e32 vcc, v15, v10
	s_waitcnt lgkmcnt(0)
	s_nop 0
	v_cndmask_b32_e32 v11, 0, v75, vcc
	v_add_u32_e32 v6, v11, v6
	ds_bpermute_b32 v11, v17, v6
	v_cmp_le_u32_e32 vcc, v34, v10
	s_waitcnt lgkmcnt(0)
	s_nop 0
	v_cndmask_b32_e32 v11, 0, v11, vcc
	v_add_u32_e32 v6, v6, v11
	ds_bpermute_b32 v11, v35, v6
	v_cmp_le_u32_e32 vcc, v36, v10
	;; [unrolled: 6-line block ×5, first 2 shown]
	s_waitcnt lgkmcnt(0)
	s_nop 0
	v_cndmask_b32_e32 v10, 0, v11, vcc
	v_add3_u32 v6, v10, v3, v6
.LBB322_54:                             ; =>This Loop Header: Depth=1
                                        ;     Child Loop BB322_57 Depth 2
	v_cmp_ne_u16_sdwa s[38:39], v7, v14 src0_sel:BYTE_0 src1_sel:DWORD
	s_nop 1
	v_cndmask_b32_e64 v3, 0, 1, s[38:39]
	;;#ASMSTART
	;;#ASMEND
	s_nop 0
	v_cmp_ne_u32_e32 vcc, 0, v3
	s_cmp_lg_u64 vcc, exec
	v_mov_b32_e32 v3, v6
	s_cbranch_scc1 .LBB322_59
; %bb.55:                               ;   in Loop: Header=BB322_54 Depth=1
	v_lshl_add_u64 v[10:11], v[4:5], 3, s[34:35]
	global_load_dwordx2 v[6:7], v[10:11], off sc1
	s_waitcnt vmcnt(0)
	v_cmp_eq_u16_sdwa s[40:41], v7, v5 src0_sel:BYTE_0 src1_sel:DWORD
	s_and_saveexec_b64 s[38:39], s[40:41]
	s_cbranch_execz .LBB322_53
; %bb.56:                               ;   in Loop: Header=BB322_54 Depth=1
	s_mov_b64 s[40:41], 0
.LBB322_57:                             ;   Parent Loop BB322_54 Depth=1
                                        ; =>  This Inner Loop Header: Depth=2
	global_load_dwordx2 v[6:7], v[10:11], off sc1
	s_waitcnt vmcnt(0)
	v_cmp_ne_u16_sdwa s[42:43], v7, v5 src0_sel:BYTE_0 src1_sel:DWORD
	s_or_b64 s[40:41], s[42:43], s[40:41]
	s_andn2_b64 exec, exec, s[40:41]
	s_cbranch_execnz .LBB322_57
; %bb.58:                               ;   in Loop: Header=BB322_54 Depth=1
	s_or_b64 exec, exec, s[40:41]
	s_branch .LBB322_53
.LBB322_59:                             ;   in Loop: Header=BB322_54 Depth=1
                                        ; implicit-def: $vgpr6
                                        ; implicit-def: $vgpr7
	s_cbranch_execz .LBB322_54
; %bb.60:
	s_and_saveexec_b64 s[38:39], s[18:19]
	s_cbranch_execz .LBB322_62
; %bb.61:
	s_add_i32 s2, s2, 64
	s_mov_b32 s3, 0
	s_lshl_b64 s[2:3], s[2:3], 3
	s_add_u32 s2, s34, s2
	v_add_u32_e32 v4, v3, v2
	v_mov_b32_e32 v5, 2
	s_addc_u32 s3, s35, s3
	v_mov_b32_e32 v6, 0
	global_store_dwordx2 v6, v[4:5], s[2:3] sc1
	ds_write_b64 v6, v[2:3] offset:30720
.LBB322_62:
	s_or_b64 exec, exec, s[38:39]
	v_cmp_eq_u32_e32 vcc, 0, v0
	s_and_b64 exec, exec, vcc
	s_cbranch_execz .LBB322_64
; %bb.63:
	v_mov_b32_e32 v2, 0
	ds_write_b32 v2, v3 offset:28
.LBB322_64:
	s_or_b64 exec, exec, s[36:37]
	v_mov_b32_e32 v14, 0
	s_waitcnt lgkmcnt(0)
	s_barrier
	ds_read_b32 v2, v14 offset:28
	v_cndmask_b32_e64 v3, v13, v12, s[18:19]
	v_cmp_ne_u32_e32 vcc, 0, v0
	s_waitcnt lgkmcnt(0)
	s_barrier
	v_cndmask_b32_e32 v3, 0, v3, vcc
	v_add_u32_e32 v2, v2, v3
	v_add_u32_e32 v3, v2, v52
	;; [unrolled: 1-line block ×10, first 2 shown]
	ds_read_b64 v[34:35], v14 offset:30720
	v_add_u32_e32 v12, v11, v61
	v_add_u32_e32 v13, v12, v62
	;; [unrolled: 1-line block ×5, first 2 shown]
	s_waitcnt lgkmcnt(0)
	v_mov_b32_e32 v36, v35
	s_branch .LBB322_75
.LBB322_65:
                                        ; implicit-def: $vgpr36
                                        ; implicit-def: $vgpr34
                                        ; implicit-def: $vgpr2_vgpr3_vgpr4_vgpr5_vgpr6_vgpr7_vgpr8_vgpr9_vgpr10_vgpr11_vgpr12_vgpr13_vgpr14_vgpr15_vgpr16_vgpr17
	s_cbranch_execz .LBB322_75
; %bb.66:
	s_nop 0
	v_mov_b32_dpp v2, v68 row_shr:1 row_mask:0xf bank_mask:0xf
	v_cndmask_b32_e64 v2, v2, 0, s[16:17]
	v_add_u32_e32 v2, v2, v68
	s_nop 1
	v_mov_b32_dpp v3, v2 row_shr:2 row_mask:0xf bank_mask:0xf
	v_cndmask_b32_e64 v3, 0, v3, s[14:15]
	v_add_u32_e32 v2, v2, v3
	;; [unrolled: 4-line block ×4, first 2 shown]
	s_nop 1
	v_mov_b32_dpp v3, v2 row_bcast:15 row_mask:0xf bank_mask:0xf
	v_cndmask_b32_e64 v3, v3, 0, s[8:9]
	v_add_u32_e32 v2, v2, v3
	s_nop 1
	v_mov_b32_dpp v3, v2 row_bcast:31 row_mask:0xf bank_mask:0xf
	v_cndmask_b32_e64 v3, 0, v3, s[4:5]
	v_add_u32_e32 v2, v2, v3
	s_and_saveexec_b64 s[2:3], s[6:7]
	s_cbranch_execz .LBB322_68
; %bb.67:
	v_lshlrev_b32_e32 v3, 2, v67
	ds_write_b32 v3, v2
.LBB322_68:
	s_or_b64 exec, exec, s[2:3]
	v_cmp_gt_u32_e32 vcc, 8, v0
	s_waitcnt lgkmcnt(0)
	s_barrier
	s_and_saveexec_b64 s[2:3], vcc
	s_cbranch_execz .LBB322_70
; %bb.69:
	ds_read_b32 v3, v18
	v_and_b32_e32 v4, 7, v66
	v_cmp_ne_u32_e32 vcc, 0, v4
	s_waitcnt lgkmcnt(0)
	v_mov_b32_dpp v5, v3 row_shr:1 row_mask:0xf bank_mask:0xf
	v_cndmask_b32_e32 v5, 0, v5, vcc
	v_add_u32_e32 v3, v5, v3
	v_cmp_lt_u32_e32 vcc, 1, v4
	s_nop 0
	v_mov_b32_dpp v5, v3 row_shr:2 row_mask:0xf bank_mask:0xf
	v_cndmask_b32_e32 v5, 0, v5, vcc
	v_add_u32_e32 v3, v3, v5
	v_cmp_lt_u32_e32 vcc, 3, v4
	s_nop 0
	v_mov_b32_dpp v5, v3 row_shr:4 row_mask:0xf bank_mask:0xf
	v_cndmask_b32_e32 v4, 0, v5, vcc
	v_add_u32_e32 v3, v3, v4
	ds_write_b32 v18, v3
.LBB322_70:
	s_or_b64 exec, exec, s[2:3]
	v_cmp_lt_u32_e32 vcc, 63, v0
	v_mov_b32_e32 v4, 0
	v_mov_b32_e32 v3, 0
	s_waitcnt lgkmcnt(0)
	s_barrier
	s_and_saveexec_b64 s[2:3], vcc
	s_cbranch_execz .LBB322_72
; %bb.71:
	v_lshl_add_u32 v3, v67, 2, -4
	ds_read_b32 v3, v3
.LBB322_72:
	s_or_b64 exec, exec, s[2:3]
	v_add_u32_e32 v5, -1, v66
	v_and_b32_e32 v6, 64, v66
	v_cmp_lt_i32_e32 vcc, v5, v6
	s_waitcnt lgkmcnt(0)
	v_add_u32_e32 v2, v3, v2
	ds_read_b32 v34, v4 offset:28
	v_cndmask_b32_e32 v5, v5, v66, vcc
	v_lshlrev_b32_e32 v5, 2, v5
	ds_bpermute_b32 v2, v5, v2
	v_cmp_eq_u32_e32 vcc, 0, v0
	s_and_saveexec_b64 s[2:3], vcc
	s_cbranch_execz .LBB322_74
; %bb.73:
	v_mov_b32_e32 v4, 0
	v_mov_b32_e32 v35, 2
	s_waitcnt lgkmcnt(1)
	global_store_dwordx2 v4, v[34:35], s[34:35] offset:512 sc1
.LBB322_74:
	s_or_b64 exec, exec, s[2:3]
	v_cmp_eq_u32_e64 s[2:3], 0, v66
	v_mov_b32_e32 v36, 0
	s_waitcnt lgkmcnt(0)
	v_cndmask_b32_e64 v2, v2, v3, s[2:3]
	v_cndmask_b32_e64 v2, v2, 0, vcc
	v_add_u32_e32 v3, v2, v52
	v_add_u32_e32 v4, v3, v53
	;; [unrolled: 1-line block ×14, first 2 shown]
	s_barrier
.LBB322_75:
	v_add_u32_e32 v17, v34, v38
	v_sub_u32_e32 v2, v2, v36
	v_and_b32_e32 v38, 1, v51
	v_sub_u32_e32 v35, v17, v2
	v_cmp_eq_u32_e32 vcc, 1, v38
	s_load_dwordx4 s[0:3], s[0:1], 0x28
	v_or_b32_e32 v38, 0x800, v0
	v_cndmask_b32_e32 v2, v35, v2, vcc
	v_lshlrev_b32_e32 v2, 2, v2
	ds_write_b32 v2, v32
	v_sub_u32_e32 v2, v3, v36
	v_sub_u32_e32 v3, v17, v2
	v_and_b32_e32 v32, 1, v50
	v_add_u32_e32 v3, 1, v3
	v_cmp_eq_u32_e32 vcc, 1, v32
	v_or_b32_e32 v32, 0xc00, v0
	s_nop 0
	v_cndmask_b32_e32 v2, v3, v2, vcc
	v_lshlrev_b32_e32 v2, 2, v2
	ds_write_b32 v2, v33
	v_sub_u32_e32 v2, v4, v36
	v_sub_u32_e32 v3, v17, v2
	v_and_b32_e32 v4, 1, v49
	v_add_u32_e32 v3, 2, v3
	v_cmp_eq_u32_e32 vcc, 1, v4
	v_and_b32_e32 v4, 1, v48
	v_or_b32_e32 v33, 0xa00, v0
	v_cndmask_b32_e32 v2, v3, v2, vcc
	v_lshlrev_b32_e32 v2, 2, v2
	ds_write_b32 v2, v30
	v_sub_u32_e32 v2, v5, v36
	v_sub_u32_e32 v3, v17, v2
	v_add_u32_e32 v3, 3, v3
	v_cmp_eq_u32_e32 vcc, 1, v4
	v_and_b32_e32 v4, 1, v47
	v_or_b32_e32 v30, 0x1000, v0
	v_cndmask_b32_e32 v2, v3, v2, vcc
	v_lshlrev_b32_e32 v2, 2, v2
	ds_write_b32 v2, v31
	v_sub_u32_e32 v2, v6, v36
	v_sub_u32_e32 v3, v17, v2
	;; [unrolled: 9-line block ×3, first 2 shown]
	v_add_u32_e32 v3, 5, v3
	v_cmp_eq_u32_e32 vcc, 1, v4
	v_and_b32_e32 v4, 1, v45
	v_mov_b32_e32 v7, s23
	v_cndmask_b32_e32 v2, v3, v2, vcc
	v_lshlrev_b32_e32 v2, 2, v2
	ds_write_b32 v2, v29
	v_sub_u32_e32 v2, v8, v36
	v_sub_u32_e32 v3, v17, v2
	v_add_u32_e32 v3, 6, v3
	v_cmp_eq_u32_e32 vcc, 1, v4
	v_and_b32_e32 v4, 1, v44
	v_or_b32_e32 v29, 0x1200, v0
	v_cndmask_b32_e32 v2, v3, v2, vcc
	v_lshlrev_b32_e32 v2, 2, v2
	ds_write_b32 v2, v26
	v_sub_u32_e32 v2, v9, v36
	v_sub_u32_e32 v3, v17, v2
	v_add_u32_e32 v3, 7, v3
	v_cmp_eq_u32_e32 vcc, 1, v4
	v_and_b32_e32 v4, 1, v43
	v_or_b32_e32 v28, 0x1400, v0
	;; [unrolled: 9-line block ×6, first 2 shown]
	v_cndmask_b32_e32 v2, v3, v2, vcc
	v_lshlrev_b32_e32 v2, 2, v2
	ds_write_b32 v2, v23
	v_sub_u32_e32 v2, v14, v36
	v_sub_u32_e32 v3, v17, v2
	v_add_u32_e32 v3, 12, v3
	v_cmp_eq_u32_e32 vcc, 1, v4
	v_and_b32_e32 v4, 1, v37
	v_mov_b32_e32 v37, 0
	v_cndmask_b32_e32 v2, v3, v2, vcc
	v_lshlrev_b32_e32 v2, 2, v2
	ds_write_b32 v2, v20
	v_sub_u32_e32 v2, v15, v36
	v_sub_u32_e32 v3, v17, v2
	v_add_u32_e32 v3, 13, v3
	v_cmp_eq_u32_e32 vcc, 1, v4
	v_and_b32_e32 v4, 1, v19
	v_lshl_add_u64 v[8:9], s[28:29], 0, v[36:37]
	v_cndmask_b32_e32 v2, v3, v2, vcc
	v_lshlrev_b32_e32 v2, 2, v2
	ds_write_b32 v2, v21
	v_sub_u32_e32 v2, v16, v36
	v_sub_u32_e32 v3, v17, v2
	v_add_u32_e32 v3, 14, v3
	v_cmp_eq_u32_e32 vcc, 1, v4
	v_mov_b32_e32 v35, v37
	v_or_b32_e32 v26, 0x1800, v0
	v_cndmask_b32_e32 v2, v3, v2, vcc
	v_lshlrev_b32_e32 v2, 2, v2
	ds_write_b32 v2, v1
	v_lshl_add_u64 v[2:3], v[8:9], 0, v[34:35]
	s_waitcnt lgkmcnt(0)
	s_barrier
	ds_read2st64_b32 v[22:23], v18 offset1:8
	ds_read2st64_b32 v[20:21], v18 offset0:16 offset1:24
	ds_read2st64_b32 v[16:17], v18 offset0:32 offset1:40
	;; [unrolled: 1-line block ×6, first 2 shown]
	ds_read_b32 v1, v18 offset:28672
	v_sub_co_u32_e32 v6, vcc, s22, v2
	v_lshlrev_b64 v[8:9], 2, v[8:9]
	s_nop 0
	v_subb_co_u32_e32 v7, vcc, v7, v3, vcc
	v_lshlrev_b64 v[6:7], 2, v[6:7]
	v_lshl_add_u64 v[6:7], s[2:3], 0, v[6:7]
	v_or_b32_e32 v25, 0x1a00, v0
	v_or_b32_e32 v24, 0x1c00, v0
	v_lshl_add_u64 v[6:7], v[6:7], 0, s[30:31]
	s_and_b64 vcc, exec, s[20:21]
	v_lshl_add_u64 v[8:9], s[0:1], 0, v[8:9]
	s_cbranch_vccnz .LBB322_77
; %bb.76:
	v_cmp_gt_u32_e32 vcc, v34, v0
	v_mov_b32_e32 v19, v37
	v_lshlrev_b32_e32 v36, 2, v40
	v_cndmask_b32_e32 v43, v7, v9, vcc
	v_cndmask_b32_e32 v42, v6, v8, vcc
	v_lshl_add_u64 v[42:43], v[42:43], 0, v[18:19]
	v_cmp_lt_u32_e32 vcc, v41, v34
	s_waitcnt lgkmcnt(7)
	global_store_dword v[42:43], v22, off
	v_cndmask_b32_e32 v43, v7, v9, vcc
	v_cndmask_b32_e32 v42, v6, v8, vcc
	v_lshl_add_u64 v[42:43], v[42:43], 0, v[18:19]
	v_cmp_lt_u32_e32 vcc, v40, v34
	global_store_dword v[42:43], v23, off offset:2048
	s_mov_b64 s[0:1], -1
	v_cndmask_b32_e32 v43, v7, v9, vcc
	v_cndmask_b32_e32 v42, v6, v8, vcc
	v_lshl_add_u64 v[42:43], v[42:43], 0, v[36:37]
	v_cmp_lt_u32_e32 vcc, v39, v34
	s_waitcnt lgkmcnt(6)
	global_store_dword v[42:43], v20, off
	v_lshlrev_b32_e32 v36, 2, v39
	v_cndmask_b32_e32 v43, v7, v9, vcc
	v_cndmask_b32_e32 v42, v6, v8, vcc
	v_lshl_add_u64 v[42:43], v[42:43], 0, v[36:37]
	v_cmp_lt_u32_e32 vcc, v38, v34
	global_store_dword v[42:43], v21, off
	v_lshlrev_b32_e32 v36, 2, v38
	v_cndmask_b32_e32 v43, v7, v9, vcc
	v_cndmask_b32_e32 v42, v6, v8, vcc
	v_lshl_add_u64 v[42:43], v[42:43], 0, v[36:37]
	v_cmp_lt_u32_e32 vcc, v33, v34
	s_waitcnt lgkmcnt(5)
	global_store_dword v[42:43], v16, off
	v_lshlrev_b32_e32 v36, 2, v33
	v_cndmask_b32_e32 v43, v7, v9, vcc
	v_cndmask_b32_e32 v42, v6, v8, vcc
	v_lshl_add_u64 v[42:43], v[42:43], 0, v[36:37]
	v_cmp_lt_u32_e32 vcc, v32, v34
	global_store_dword v[42:43], v17, off
	v_lshlrev_b32_e32 v36, 2, v32
	v_cndmask_b32_e32 v43, v7, v9, vcc
	v_cndmask_b32_e32 v42, v6, v8, vcc
	v_lshl_add_u64 v[42:43], v[42:43], 0, v[36:37]
	v_cmp_lt_u32_e32 vcc, v31, v34
	s_waitcnt lgkmcnt(4)
	global_store_dword v[42:43], v14, off
	v_lshlrev_b32_e32 v36, 2, v31
	v_cndmask_b32_e32 v43, v7, v9, vcc
	v_cndmask_b32_e32 v42, v6, v8, vcc
	v_lshl_add_u64 v[42:43], v[42:43], 0, v[36:37]
	v_cmp_lt_u32_e32 vcc, v30, v34
	global_store_dword v[42:43], v15, off
	v_lshlrev_b32_e32 v36, 2, v30
	v_cndmask_b32_e32 v43, v7, v9, vcc
	v_cndmask_b32_e32 v42, v6, v8, vcc
	v_lshl_add_u64 v[42:43], v[42:43], 0, v[36:37]
	v_cmp_lt_u32_e32 vcc, v29, v34
	s_waitcnt lgkmcnt(3)
	global_store_dword v[42:43], v12, off
	v_lshlrev_b32_e32 v36, 2, v29
	v_cndmask_b32_e32 v43, v7, v9, vcc
	v_cndmask_b32_e32 v42, v6, v8, vcc
	v_lshl_add_u64 v[42:43], v[42:43], 0, v[36:37]
	v_cmp_lt_u32_e32 vcc, v28, v34
	global_store_dword v[42:43], v13, off
	v_lshlrev_b32_e32 v36, 2, v28
	v_cndmask_b32_e32 v43, v7, v9, vcc
	v_cndmask_b32_e32 v42, v6, v8, vcc
	v_lshl_add_u64 v[42:43], v[42:43], 0, v[36:37]
	v_cmp_lt_u32_e32 vcc, v27, v34
	s_waitcnt lgkmcnt(2)
	global_store_dword v[42:43], v10, off
	v_lshlrev_b32_e32 v36, 2, v27
	v_cndmask_b32_e32 v43, v7, v9, vcc
	v_cndmask_b32_e32 v42, v6, v8, vcc
	v_lshl_add_u64 v[42:43], v[42:43], 0, v[36:37]
	v_cmp_lt_u32_e32 vcc, v26, v34
	global_store_dword v[42:43], v11, off
	v_lshlrev_b32_e32 v36, 2, v26
	v_cndmask_b32_e32 v43, v7, v9, vcc
	v_cndmask_b32_e32 v42, v6, v8, vcc
	v_lshl_add_u64 v[42:43], v[42:43], 0, v[36:37]
	v_cmp_lt_u32_e32 vcc, v25, v34
	s_waitcnt lgkmcnt(1)
	global_store_dword v[42:43], v4, off
	v_lshlrev_b32_e32 v36, 2, v25
	v_cndmask_b32_e32 v43, v7, v9, vcc
	v_cndmask_b32_e32 v42, v6, v8, vcc
	v_lshl_add_u64 v[36:37], v[42:43], 0, v[36:37]
	global_store_dword v[36:37], v5, off
	s_cbranch_execz .LBB322_78
	s_branch .LBB322_94
.LBB322_77:
	s_mov_b64 s[0:1], 0
.LBB322_78:
	v_cmp_gt_u32_e32 vcc, s33, v0
	s_and_saveexec_b64 s[0:1], vcc
	s_cbranch_execnz .LBB322_99
; %bb.79:
	s_or_b64 exec, exec, s[0:1]
	v_cmp_gt_u32_e32 vcc, s33, v41
	s_and_saveexec_b64 s[0:1], vcc
	s_cbranch_execnz .LBB322_100
.LBB322_80:
	s_or_b64 exec, exec, s[0:1]
	v_cmp_gt_u32_e32 vcc, s33, v40
	s_and_saveexec_b64 s[0:1], vcc
	s_cbranch_execnz .LBB322_101
.LBB322_81:
	s_or_b64 exec, exec, s[0:1]
	v_cmp_gt_u32_e32 vcc, s33, v39
	s_and_saveexec_b64 s[0:1], vcc
	s_cbranch_execnz .LBB322_102
.LBB322_82:
	s_or_b64 exec, exec, s[0:1]
	v_cmp_gt_u32_e32 vcc, s33, v38
	s_and_saveexec_b64 s[0:1], vcc
	s_cbranch_execnz .LBB322_103
.LBB322_83:
	s_or_b64 exec, exec, s[0:1]
	v_cmp_gt_u32_e32 vcc, s33, v33
	s_and_saveexec_b64 s[0:1], vcc
	s_cbranch_execnz .LBB322_104
.LBB322_84:
	s_or_b64 exec, exec, s[0:1]
	v_cmp_gt_u32_e32 vcc, s33, v32
	s_and_saveexec_b64 s[0:1], vcc
	s_cbranch_execnz .LBB322_105
.LBB322_85:
	s_or_b64 exec, exec, s[0:1]
	v_cmp_gt_u32_e32 vcc, s33, v31
	s_and_saveexec_b64 s[0:1], vcc
	s_cbranch_execnz .LBB322_106
.LBB322_86:
	s_or_b64 exec, exec, s[0:1]
	v_cmp_gt_u32_e32 vcc, s33, v30
	s_and_saveexec_b64 s[0:1], vcc
	s_cbranch_execnz .LBB322_107
.LBB322_87:
	s_or_b64 exec, exec, s[0:1]
	v_cmp_gt_u32_e32 vcc, s33, v29
	s_and_saveexec_b64 s[0:1], vcc
	s_cbranch_execnz .LBB322_108
.LBB322_88:
	s_or_b64 exec, exec, s[0:1]
	v_cmp_gt_u32_e32 vcc, s33, v28
	s_and_saveexec_b64 s[0:1], vcc
	s_cbranch_execnz .LBB322_109
.LBB322_89:
	s_or_b64 exec, exec, s[0:1]
	v_cmp_gt_u32_e32 vcc, s33, v27
	s_and_saveexec_b64 s[0:1], vcc
	s_cbranch_execnz .LBB322_110
.LBB322_90:
	s_or_b64 exec, exec, s[0:1]
	v_cmp_gt_u32_e32 vcc, s33, v26
	s_and_saveexec_b64 s[0:1], vcc
	s_cbranch_execnz .LBB322_111
.LBB322_91:
	s_or_b64 exec, exec, s[0:1]
	v_cmp_gt_u32_e32 vcc, s33, v25
	s_and_saveexec_b64 s[0:1], vcc
	s_cbranch_execz .LBB322_93
.LBB322_92:
	v_cmp_lt_u32_e32 vcc, v25, v34
	s_waitcnt lgkmcnt(3)
	v_lshlrev_b32_e32 v12, 2, v25
	v_mov_b32_e32 v13, 0
	s_waitcnt lgkmcnt(2)
	v_cndmask_b32_e32 v11, v7, v9, vcc
	v_cndmask_b32_e32 v10, v6, v8, vcc
	v_lshl_add_u64 v[10:11], v[10:11], 0, v[12:13]
	s_waitcnt lgkmcnt(1)
	global_store_dword v[10:11], v5, off
.LBB322_93:
	s_or_b64 exec, exec, s[0:1]
	v_cmp_gt_u32_e64 s[0:1], s33, v24
.LBB322_94:
	s_and_saveexec_b64 s[2:3], s[0:1]
	s_cbranch_execz .LBB322_96
; %bb.95:
	v_cmp_lt_u32_e32 vcc, v24, v34
	s_waitcnt lgkmcnt(1)
	s_nop 0
	v_cndmask_b32_e32 v5, v7, v9, vcc
	v_cndmask_b32_e32 v4, v6, v8, vcc
	v_lshlrev_b32_e32 v6, 2, v24
	v_mov_b32_e32 v7, 0
	v_lshl_add_u64 v[4:5], v[4:5], 0, v[6:7]
	s_waitcnt lgkmcnt(0)
	global_store_dword v[4:5], v1, off
.LBB322_96:
	s_or_b64 exec, exec, s[2:3]
	v_cmp_eq_u32_e32 vcc, 0, v0
	s_and_b64 s[0:1], vcc, s[26:27]
	s_and_saveexec_b64 s[2:3], s[0:1]
	s_cbranch_execz .LBB322_98
; %bb.97:
	v_mov_b32_e32 v0, 0
	global_store_dwordx2 v0, v[2:3], s[24:25]
.LBB322_98:
	s_endpgm
.LBB322_99:
	v_cmp_gt_u32_e32 vcc, v34, v0
	v_mov_b32_e32 v19, 0
	s_nop 0
	v_cndmask_b32_e32 v37, v7, v9, vcc
	v_cndmask_b32_e32 v36, v6, v8, vcc
	v_lshl_add_u64 v[36:37], v[36:37], 0, v[18:19]
	s_waitcnt lgkmcnt(7)
	global_store_dword v[36:37], v22, off
	s_or_b64 exec, exec, s[0:1]
	v_cmp_gt_u32_e32 vcc, s33, v41
	s_and_saveexec_b64 s[0:1], vcc
	s_cbranch_execz .LBB322_80
.LBB322_100:
	v_cmp_lt_u32_e32 vcc, v41, v34
	v_mov_b32_e32 v19, 0
	s_nop 0
	v_cndmask_b32_e32 v37, v7, v9, vcc
	v_cndmask_b32_e32 v36, v6, v8, vcc
	v_lshl_add_u64 v[18:19], v[36:37], 0, v[18:19]
	s_waitcnt lgkmcnt(7)
	global_store_dword v[18:19], v23, off offset:2048
	s_or_b64 exec, exec, s[0:1]
	v_cmp_gt_u32_e32 vcc, s33, v40
	s_and_saveexec_b64 s[0:1], vcc
	s_cbranch_execz .LBB322_81
.LBB322_101:
	v_cmp_lt_u32_e32 vcc, v40, v34
	s_waitcnt lgkmcnt(7)
	v_lshlrev_b32_e32 v22, 2, v40
	v_mov_b32_e32 v23, 0
	v_cndmask_b32_e32 v19, v7, v9, vcc
	v_cndmask_b32_e32 v18, v6, v8, vcc
	v_lshl_add_u64 v[18:19], v[18:19], 0, v[22:23]
	s_waitcnt lgkmcnt(6)
	global_store_dword v[18:19], v20, off
	s_or_b64 exec, exec, s[0:1]
	v_cmp_gt_u32_e32 vcc, s33, v39
	s_and_saveexec_b64 s[0:1], vcc
	s_cbranch_execz .LBB322_82
.LBB322_102:
	v_cmp_lt_u32_e32 vcc, v39, v34
	s_waitcnt lgkmcnt(7)
	v_lshlrev_b32_e32 v22, 2, v39
	v_mov_b32_e32 v23, 0
	v_cndmask_b32_e32 v19, v7, v9, vcc
	v_cndmask_b32_e32 v18, v6, v8, vcc
	v_lshl_add_u64 v[18:19], v[18:19], 0, v[22:23]
	s_waitcnt lgkmcnt(6)
	global_store_dword v[18:19], v21, off
	s_or_b64 exec, exec, s[0:1]
	v_cmp_gt_u32_e32 vcc, s33, v38
	s_and_saveexec_b64 s[0:1], vcc
	s_cbranch_execz .LBB322_83
.LBB322_103:
	v_cmp_lt_u32_e32 vcc, v38, v34
	s_waitcnt lgkmcnt(6)
	v_lshlrev_b32_e32 v20, 2, v38
	v_mov_b32_e32 v21, 0
	v_cndmask_b32_e32 v19, v7, v9, vcc
	v_cndmask_b32_e32 v18, v6, v8, vcc
	v_lshl_add_u64 v[18:19], v[18:19], 0, v[20:21]
	s_waitcnt lgkmcnt(5)
	global_store_dword v[18:19], v16, off
	s_or_b64 exec, exec, s[0:1]
	v_cmp_gt_u32_e32 vcc, s33, v33
	s_and_saveexec_b64 s[0:1], vcc
	s_cbranch_execz .LBB322_84
.LBB322_104:
	v_cmp_lt_u32_e32 vcc, v33, v34
	s_waitcnt lgkmcnt(6)
	v_lshlrev_b32_e32 v20, 2, v33
	v_mov_b32_e32 v21, 0
	v_cndmask_b32_e32 v19, v7, v9, vcc
	v_cndmask_b32_e32 v18, v6, v8, vcc
	v_lshl_add_u64 v[18:19], v[18:19], 0, v[20:21]
	s_waitcnt lgkmcnt(5)
	global_store_dword v[18:19], v17, off
	s_or_b64 exec, exec, s[0:1]
	v_cmp_gt_u32_e32 vcc, s33, v32
	s_and_saveexec_b64 s[0:1], vcc
	s_cbranch_execz .LBB322_85
.LBB322_105:
	v_cmp_lt_u32_e32 vcc, v32, v34
	v_lshlrev_b32_e32 v18, 2, v32
	v_mov_b32_e32 v19, 0
	s_waitcnt lgkmcnt(5)
	v_cndmask_b32_e32 v17, v7, v9, vcc
	v_cndmask_b32_e32 v16, v6, v8, vcc
	v_lshl_add_u64 v[16:17], v[16:17], 0, v[18:19]
	s_waitcnt lgkmcnt(4)
	global_store_dword v[16:17], v14, off
	s_or_b64 exec, exec, s[0:1]
	v_cmp_gt_u32_e32 vcc, s33, v31
	s_and_saveexec_b64 s[0:1], vcc
	s_cbranch_execz .LBB322_86
.LBB322_106:
	v_cmp_lt_u32_e32 vcc, v31, v34
	v_lshlrev_b32_e32 v18, 2, v31
	v_mov_b32_e32 v19, 0
	s_waitcnt lgkmcnt(5)
	v_cndmask_b32_e32 v17, v7, v9, vcc
	v_cndmask_b32_e32 v16, v6, v8, vcc
	v_lshl_add_u64 v[16:17], v[16:17], 0, v[18:19]
	s_waitcnt lgkmcnt(4)
	global_store_dword v[16:17], v15, off
	s_or_b64 exec, exec, s[0:1]
	v_cmp_gt_u32_e32 vcc, s33, v30
	s_and_saveexec_b64 s[0:1], vcc
	s_cbranch_execz .LBB322_87
.LBB322_107:
	v_cmp_lt_u32_e32 vcc, v30, v34
	s_waitcnt lgkmcnt(5)
	v_lshlrev_b32_e32 v16, 2, v30
	v_mov_b32_e32 v17, 0
	s_waitcnt lgkmcnt(4)
	v_cndmask_b32_e32 v15, v7, v9, vcc
	v_cndmask_b32_e32 v14, v6, v8, vcc
	v_lshl_add_u64 v[14:15], v[14:15], 0, v[16:17]
	s_waitcnt lgkmcnt(3)
	global_store_dword v[14:15], v12, off
	s_or_b64 exec, exec, s[0:1]
	v_cmp_gt_u32_e32 vcc, s33, v29
	s_and_saveexec_b64 s[0:1], vcc
	s_cbranch_execz .LBB322_88
.LBB322_108:
	v_cmp_lt_u32_e32 vcc, v29, v34
	s_waitcnt lgkmcnt(5)
	v_lshlrev_b32_e32 v16, 2, v29
	v_mov_b32_e32 v17, 0
	s_waitcnt lgkmcnt(4)
	v_cndmask_b32_e32 v15, v7, v9, vcc
	v_cndmask_b32_e32 v14, v6, v8, vcc
	v_lshl_add_u64 v[14:15], v[14:15], 0, v[16:17]
	s_waitcnt lgkmcnt(3)
	global_store_dword v[14:15], v13, off
	s_or_b64 exec, exec, s[0:1]
	v_cmp_gt_u32_e32 vcc, s33, v28
	s_and_saveexec_b64 s[0:1], vcc
	s_cbranch_execz .LBB322_89
.LBB322_109:
	v_cmp_lt_u32_e32 vcc, v28, v34
	s_waitcnt lgkmcnt(4)
	v_lshlrev_b32_e32 v14, 2, v28
	v_mov_b32_e32 v15, 0
	s_waitcnt lgkmcnt(3)
	v_cndmask_b32_e32 v13, v7, v9, vcc
	v_cndmask_b32_e32 v12, v6, v8, vcc
	v_lshl_add_u64 v[12:13], v[12:13], 0, v[14:15]
	s_waitcnt lgkmcnt(2)
	global_store_dword v[12:13], v10, off
	s_or_b64 exec, exec, s[0:1]
	v_cmp_gt_u32_e32 vcc, s33, v27
	s_and_saveexec_b64 s[0:1], vcc
	s_cbranch_execz .LBB322_90
.LBB322_110:
	v_cmp_lt_u32_e32 vcc, v27, v34
	s_waitcnt lgkmcnt(4)
	v_lshlrev_b32_e32 v14, 2, v27
	v_mov_b32_e32 v15, 0
	s_waitcnt lgkmcnt(3)
	v_cndmask_b32_e32 v13, v7, v9, vcc
	v_cndmask_b32_e32 v12, v6, v8, vcc
	v_lshl_add_u64 v[12:13], v[12:13], 0, v[14:15]
	s_waitcnt lgkmcnt(2)
	global_store_dword v[12:13], v11, off
	s_or_b64 exec, exec, s[0:1]
	v_cmp_gt_u32_e32 vcc, s33, v26
	s_and_saveexec_b64 s[0:1], vcc
	s_cbranch_execz .LBB322_91
.LBB322_111:
	v_cmp_lt_u32_e32 vcc, v26, v34
	s_waitcnt lgkmcnt(3)
	v_lshlrev_b32_e32 v12, 2, v26
	v_mov_b32_e32 v13, 0
	s_waitcnt lgkmcnt(2)
	v_cndmask_b32_e32 v11, v7, v9, vcc
	v_cndmask_b32_e32 v10, v6, v8, vcc
	v_lshl_add_u64 v[10:11], v[10:11], 0, v[12:13]
	s_waitcnt lgkmcnt(1)
	global_store_dword v[10:11], v4, off
	s_or_b64 exec, exec, s[0:1]
	v_cmp_gt_u32_e32 vcc, s33, v25
	s_and_saveexec_b64 s[0:1], vcc
	s_cbranch_execnz .LBB322_92
	s_branch .LBB322_93
	.section	.rodata,"a",@progbits
	.p2align	6, 0x0
	.amdhsa_kernel _ZN7rocprim17ROCPRIM_400000_NS6detail17trampoline_kernelINS0_14default_configENS1_25partition_config_selectorILNS1_17partition_subalgoE0EiNS0_10empty_typeEbEEZZNS1_14partition_implILS5_0ELb0ES3_jN6thrust23THRUST_200600_302600_NS6detail15normal_iteratorINSA_10device_ptrIiEEEEPS6_SG_NS0_5tupleIJSF_SF_EEENSH_IJSG_SG_EEES6_PlJ7is_evenIiEEEE10hipError_tPvRmT3_T4_T5_T6_T7_T9_mT8_P12ihipStream_tbDpT10_ENKUlT_T0_E_clISt17integral_constantIbLb0EES16_EEDaS11_S12_EUlS11_E_NS1_11comp_targetILNS1_3genE5ELNS1_11target_archE942ELNS1_3gpuE9ELNS1_3repE0EEENS1_30default_config_static_selectorELNS0_4arch9wavefront6targetE1EEEvT1_
		.amdhsa_group_segment_fixed_size 30728
		.amdhsa_private_segment_fixed_size 0
		.amdhsa_kernarg_size 120
		.amdhsa_user_sgpr_count 2
		.amdhsa_user_sgpr_dispatch_ptr 0
		.amdhsa_user_sgpr_queue_ptr 0
		.amdhsa_user_sgpr_kernarg_segment_ptr 1
		.amdhsa_user_sgpr_dispatch_id 0
		.amdhsa_user_sgpr_kernarg_preload_length 0
		.amdhsa_user_sgpr_kernarg_preload_offset 0
		.amdhsa_user_sgpr_private_segment_size 0
		.amdhsa_uses_dynamic_stack 0
		.amdhsa_enable_private_segment 0
		.amdhsa_system_sgpr_workgroup_id_x 1
		.amdhsa_system_sgpr_workgroup_id_y 0
		.amdhsa_system_sgpr_workgroup_id_z 0
		.amdhsa_system_sgpr_workgroup_info 0
		.amdhsa_system_vgpr_workitem_id 0
		.amdhsa_next_free_vgpr 76
		.amdhsa_next_free_sgpr 44
		.amdhsa_accum_offset 76
		.amdhsa_reserve_vcc 1
		.amdhsa_float_round_mode_32 0
		.amdhsa_float_round_mode_16_64 0
		.amdhsa_float_denorm_mode_32 3
		.amdhsa_float_denorm_mode_16_64 3
		.amdhsa_dx10_clamp 1
		.amdhsa_ieee_mode 1
		.amdhsa_fp16_overflow 0
		.amdhsa_tg_split 0
		.amdhsa_exception_fp_ieee_invalid_op 0
		.amdhsa_exception_fp_denorm_src 0
		.amdhsa_exception_fp_ieee_div_zero 0
		.amdhsa_exception_fp_ieee_overflow 0
		.amdhsa_exception_fp_ieee_underflow 0
		.amdhsa_exception_fp_ieee_inexact 0
		.amdhsa_exception_int_div_zero 0
	.end_amdhsa_kernel
	.section	.text._ZN7rocprim17ROCPRIM_400000_NS6detail17trampoline_kernelINS0_14default_configENS1_25partition_config_selectorILNS1_17partition_subalgoE0EiNS0_10empty_typeEbEEZZNS1_14partition_implILS5_0ELb0ES3_jN6thrust23THRUST_200600_302600_NS6detail15normal_iteratorINSA_10device_ptrIiEEEEPS6_SG_NS0_5tupleIJSF_SF_EEENSH_IJSG_SG_EEES6_PlJ7is_evenIiEEEE10hipError_tPvRmT3_T4_T5_T6_T7_T9_mT8_P12ihipStream_tbDpT10_ENKUlT_T0_E_clISt17integral_constantIbLb0EES16_EEDaS11_S12_EUlS11_E_NS1_11comp_targetILNS1_3genE5ELNS1_11target_archE942ELNS1_3gpuE9ELNS1_3repE0EEENS1_30default_config_static_selectorELNS0_4arch9wavefront6targetE1EEEvT1_,"axG",@progbits,_ZN7rocprim17ROCPRIM_400000_NS6detail17trampoline_kernelINS0_14default_configENS1_25partition_config_selectorILNS1_17partition_subalgoE0EiNS0_10empty_typeEbEEZZNS1_14partition_implILS5_0ELb0ES3_jN6thrust23THRUST_200600_302600_NS6detail15normal_iteratorINSA_10device_ptrIiEEEEPS6_SG_NS0_5tupleIJSF_SF_EEENSH_IJSG_SG_EEES6_PlJ7is_evenIiEEEE10hipError_tPvRmT3_T4_T5_T6_T7_T9_mT8_P12ihipStream_tbDpT10_ENKUlT_T0_E_clISt17integral_constantIbLb0EES16_EEDaS11_S12_EUlS11_E_NS1_11comp_targetILNS1_3genE5ELNS1_11target_archE942ELNS1_3gpuE9ELNS1_3repE0EEENS1_30default_config_static_selectorELNS0_4arch9wavefront6targetE1EEEvT1_,comdat
.Lfunc_end322:
	.size	_ZN7rocprim17ROCPRIM_400000_NS6detail17trampoline_kernelINS0_14default_configENS1_25partition_config_selectorILNS1_17partition_subalgoE0EiNS0_10empty_typeEbEEZZNS1_14partition_implILS5_0ELb0ES3_jN6thrust23THRUST_200600_302600_NS6detail15normal_iteratorINSA_10device_ptrIiEEEEPS6_SG_NS0_5tupleIJSF_SF_EEENSH_IJSG_SG_EEES6_PlJ7is_evenIiEEEE10hipError_tPvRmT3_T4_T5_T6_T7_T9_mT8_P12ihipStream_tbDpT10_ENKUlT_T0_E_clISt17integral_constantIbLb0EES16_EEDaS11_S12_EUlS11_E_NS1_11comp_targetILNS1_3genE5ELNS1_11target_archE942ELNS1_3gpuE9ELNS1_3repE0EEENS1_30default_config_static_selectorELNS0_4arch9wavefront6targetE1EEEvT1_, .Lfunc_end322-_ZN7rocprim17ROCPRIM_400000_NS6detail17trampoline_kernelINS0_14default_configENS1_25partition_config_selectorILNS1_17partition_subalgoE0EiNS0_10empty_typeEbEEZZNS1_14partition_implILS5_0ELb0ES3_jN6thrust23THRUST_200600_302600_NS6detail15normal_iteratorINSA_10device_ptrIiEEEEPS6_SG_NS0_5tupleIJSF_SF_EEENSH_IJSG_SG_EEES6_PlJ7is_evenIiEEEE10hipError_tPvRmT3_T4_T5_T6_T7_T9_mT8_P12ihipStream_tbDpT10_ENKUlT_T0_E_clISt17integral_constantIbLb0EES16_EEDaS11_S12_EUlS11_E_NS1_11comp_targetILNS1_3genE5ELNS1_11target_archE942ELNS1_3gpuE9ELNS1_3repE0EEENS1_30default_config_static_selectorELNS0_4arch9wavefront6targetE1EEEvT1_
                                        ; -- End function
	.section	.AMDGPU.csdata,"",@progbits
; Kernel info:
; codeLenInByte = 6620
; NumSgprs: 50
; NumVgprs: 76
; NumAgprs: 0
; TotalNumVgprs: 76
; ScratchSize: 0
; MemoryBound: 0
; FloatMode: 240
; IeeeMode: 1
; LDSByteSize: 30728 bytes/workgroup (compile time only)
; SGPRBlocks: 6
; VGPRBlocks: 9
; NumSGPRsForWavesPerEU: 50
; NumVGPRsForWavesPerEU: 76
; AccumOffset: 76
; Occupancy: 4
; WaveLimiterHint : 1
; COMPUTE_PGM_RSRC2:SCRATCH_EN: 0
; COMPUTE_PGM_RSRC2:USER_SGPR: 2
; COMPUTE_PGM_RSRC2:TRAP_HANDLER: 0
; COMPUTE_PGM_RSRC2:TGID_X_EN: 1
; COMPUTE_PGM_RSRC2:TGID_Y_EN: 0
; COMPUTE_PGM_RSRC2:TGID_Z_EN: 0
; COMPUTE_PGM_RSRC2:TIDIG_COMP_CNT: 0
; COMPUTE_PGM_RSRC3_GFX90A:ACCUM_OFFSET: 18
; COMPUTE_PGM_RSRC3_GFX90A:TG_SPLIT: 0
	.section	.text._ZN7rocprim17ROCPRIM_400000_NS6detail17trampoline_kernelINS0_14default_configENS1_25partition_config_selectorILNS1_17partition_subalgoE0EiNS0_10empty_typeEbEEZZNS1_14partition_implILS5_0ELb0ES3_jN6thrust23THRUST_200600_302600_NS6detail15normal_iteratorINSA_10device_ptrIiEEEEPS6_SG_NS0_5tupleIJSF_SF_EEENSH_IJSG_SG_EEES6_PlJ7is_evenIiEEEE10hipError_tPvRmT3_T4_T5_T6_T7_T9_mT8_P12ihipStream_tbDpT10_ENKUlT_T0_E_clISt17integral_constantIbLb0EES16_EEDaS11_S12_EUlS11_E_NS1_11comp_targetILNS1_3genE4ELNS1_11target_archE910ELNS1_3gpuE8ELNS1_3repE0EEENS1_30default_config_static_selectorELNS0_4arch9wavefront6targetE1EEEvT1_,"axG",@progbits,_ZN7rocprim17ROCPRIM_400000_NS6detail17trampoline_kernelINS0_14default_configENS1_25partition_config_selectorILNS1_17partition_subalgoE0EiNS0_10empty_typeEbEEZZNS1_14partition_implILS5_0ELb0ES3_jN6thrust23THRUST_200600_302600_NS6detail15normal_iteratorINSA_10device_ptrIiEEEEPS6_SG_NS0_5tupleIJSF_SF_EEENSH_IJSG_SG_EEES6_PlJ7is_evenIiEEEE10hipError_tPvRmT3_T4_T5_T6_T7_T9_mT8_P12ihipStream_tbDpT10_ENKUlT_T0_E_clISt17integral_constantIbLb0EES16_EEDaS11_S12_EUlS11_E_NS1_11comp_targetILNS1_3genE4ELNS1_11target_archE910ELNS1_3gpuE8ELNS1_3repE0EEENS1_30default_config_static_selectorELNS0_4arch9wavefront6targetE1EEEvT1_,comdat
	.protected	_ZN7rocprim17ROCPRIM_400000_NS6detail17trampoline_kernelINS0_14default_configENS1_25partition_config_selectorILNS1_17partition_subalgoE0EiNS0_10empty_typeEbEEZZNS1_14partition_implILS5_0ELb0ES3_jN6thrust23THRUST_200600_302600_NS6detail15normal_iteratorINSA_10device_ptrIiEEEEPS6_SG_NS0_5tupleIJSF_SF_EEENSH_IJSG_SG_EEES6_PlJ7is_evenIiEEEE10hipError_tPvRmT3_T4_T5_T6_T7_T9_mT8_P12ihipStream_tbDpT10_ENKUlT_T0_E_clISt17integral_constantIbLb0EES16_EEDaS11_S12_EUlS11_E_NS1_11comp_targetILNS1_3genE4ELNS1_11target_archE910ELNS1_3gpuE8ELNS1_3repE0EEENS1_30default_config_static_selectorELNS0_4arch9wavefront6targetE1EEEvT1_ ; -- Begin function _ZN7rocprim17ROCPRIM_400000_NS6detail17trampoline_kernelINS0_14default_configENS1_25partition_config_selectorILNS1_17partition_subalgoE0EiNS0_10empty_typeEbEEZZNS1_14partition_implILS5_0ELb0ES3_jN6thrust23THRUST_200600_302600_NS6detail15normal_iteratorINSA_10device_ptrIiEEEEPS6_SG_NS0_5tupleIJSF_SF_EEENSH_IJSG_SG_EEES6_PlJ7is_evenIiEEEE10hipError_tPvRmT3_T4_T5_T6_T7_T9_mT8_P12ihipStream_tbDpT10_ENKUlT_T0_E_clISt17integral_constantIbLb0EES16_EEDaS11_S12_EUlS11_E_NS1_11comp_targetILNS1_3genE4ELNS1_11target_archE910ELNS1_3gpuE8ELNS1_3repE0EEENS1_30default_config_static_selectorELNS0_4arch9wavefront6targetE1EEEvT1_
	.globl	_ZN7rocprim17ROCPRIM_400000_NS6detail17trampoline_kernelINS0_14default_configENS1_25partition_config_selectorILNS1_17partition_subalgoE0EiNS0_10empty_typeEbEEZZNS1_14partition_implILS5_0ELb0ES3_jN6thrust23THRUST_200600_302600_NS6detail15normal_iteratorINSA_10device_ptrIiEEEEPS6_SG_NS0_5tupleIJSF_SF_EEENSH_IJSG_SG_EEES6_PlJ7is_evenIiEEEE10hipError_tPvRmT3_T4_T5_T6_T7_T9_mT8_P12ihipStream_tbDpT10_ENKUlT_T0_E_clISt17integral_constantIbLb0EES16_EEDaS11_S12_EUlS11_E_NS1_11comp_targetILNS1_3genE4ELNS1_11target_archE910ELNS1_3gpuE8ELNS1_3repE0EEENS1_30default_config_static_selectorELNS0_4arch9wavefront6targetE1EEEvT1_
	.p2align	8
	.type	_ZN7rocprim17ROCPRIM_400000_NS6detail17trampoline_kernelINS0_14default_configENS1_25partition_config_selectorILNS1_17partition_subalgoE0EiNS0_10empty_typeEbEEZZNS1_14partition_implILS5_0ELb0ES3_jN6thrust23THRUST_200600_302600_NS6detail15normal_iteratorINSA_10device_ptrIiEEEEPS6_SG_NS0_5tupleIJSF_SF_EEENSH_IJSG_SG_EEES6_PlJ7is_evenIiEEEE10hipError_tPvRmT3_T4_T5_T6_T7_T9_mT8_P12ihipStream_tbDpT10_ENKUlT_T0_E_clISt17integral_constantIbLb0EES16_EEDaS11_S12_EUlS11_E_NS1_11comp_targetILNS1_3genE4ELNS1_11target_archE910ELNS1_3gpuE8ELNS1_3repE0EEENS1_30default_config_static_selectorELNS0_4arch9wavefront6targetE1EEEvT1_,@function
_ZN7rocprim17ROCPRIM_400000_NS6detail17trampoline_kernelINS0_14default_configENS1_25partition_config_selectorILNS1_17partition_subalgoE0EiNS0_10empty_typeEbEEZZNS1_14partition_implILS5_0ELb0ES3_jN6thrust23THRUST_200600_302600_NS6detail15normal_iteratorINSA_10device_ptrIiEEEEPS6_SG_NS0_5tupleIJSF_SF_EEENSH_IJSG_SG_EEES6_PlJ7is_evenIiEEEE10hipError_tPvRmT3_T4_T5_T6_T7_T9_mT8_P12ihipStream_tbDpT10_ENKUlT_T0_E_clISt17integral_constantIbLb0EES16_EEDaS11_S12_EUlS11_E_NS1_11comp_targetILNS1_3genE4ELNS1_11target_archE910ELNS1_3gpuE8ELNS1_3repE0EEENS1_30default_config_static_selectorELNS0_4arch9wavefront6targetE1EEEvT1_: ; @_ZN7rocprim17ROCPRIM_400000_NS6detail17trampoline_kernelINS0_14default_configENS1_25partition_config_selectorILNS1_17partition_subalgoE0EiNS0_10empty_typeEbEEZZNS1_14partition_implILS5_0ELb0ES3_jN6thrust23THRUST_200600_302600_NS6detail15normal_iteratorINSA_10device_ptrIiEEEEPS6_SG_NS0_5tupleIJSF_SF_EEENSH_IJSG_SG_EEES6_PlJ7is_evenIiEEEE10hipError_tPvRmT3_T4_T5_T6_T7_T9_mT8_P12ihipStream_tbDpT10_ENKUlT_T0_E_clISt17integral_constantIbLb0EES16_EEDaS11_S12_EUlS11_E_NS1_11comp_targetILNS1_3genE4ELNS1_11target_archE910ELNS1_3gpuE8ELNS1_3repE0EEENS1_30default_config_static_selectorELNS0_4arch9wavefront6targetE1EEEvT1_
; %bb.0:
	.section	.rodata,"a",@progbits
	.p2align	6, 0x0
	.amdhsa_kernel _ZN7rocprim17ROCPRIM_400000_NS6detail17trampoline_kernelINS0_14default_configENS1_25partition_config_selectorILNS1_17partition_subalgoE0EiNS0_10empty_typeEbEEZZNS1_14partition_implILS5_0ELb0ES3_jN6thrust23THRUST_200600_302600_NS6detail15normal_iteratorINSA_10device_ptrIiEEEEPS6_SG_NS0_5tupleIJSF_SF_EEENSH_IJSG_SG_EEES6_PlJ7is_evenIiEEEE10hipError_tPvRmT3_T4_T5_T6_T7_T9_mT8_P12ihipStream_tbDpT10_ENKUlT_T0_E_clISt17integral_constantIbLb0EES16_EEDaS11_S12_EUlS11_E_NS1_11comp_targetILNS1_3genE4ELNS1_11target_archE910ELNS1_3gpuE8ELNS1_3repE0EEENS1_30default_config_static_selectorELNS0_4arch9wavefront6targetE1EEEvT1_
		.amdhsa_group_segment_fixed_size 0
		.amdhsa_private_segment_fixed_size 0
		.amdhsa_kernarg_size 120
		.amdhsa_user_sgpr_count 2
		.amdhsa_user_sgpr_dispatch_ptr 0
		.amdhsa_user_sgpr_queue_ptr 0
		.amdhsa_user_sgpr_kernarg_segment_ptr 1
		.amdhsa_user_sgpr_dispatch_id 0
		.amdhsa_user_sgpr_kernarg_preload_length 0
		.amdhsa_user_sgpr_kernarg_preload_offset 0
		.amdhsa_user_sgpr_private_segment_size 0
		.amdhsa_uses_dynamic_stack 0
		.amdhsa_enable_private_segment 0
		.amdhsa_system_sgpr_workgroup_id_x 1
		.amdhsa_system_sgpr_workgroup_id_y 0
		.amdhsa_system_sgpr_workgroup_id_z 0
		.amdhsa_system_sgpr_workgroup_info 0
		.amdhsa_system_vgpr_workitem_id 0
		.amdhsa_next_free_vgpr 1
		.amdhsa_next_free_sgpr 0
		.amdhsa_accum_offset 4
		.amdhsa_reserve_vcc 0
		.amdhsa_float_round_mode_32 0
		.amdhsa_float_round_mode_16_64 0
		.amdhsa_float_denorm_mode_32 3
		.amdhsa_float_denorm_mode_16_64 3
		.amdhsa_dx10_clamp 1
		.amdhsa_ieee_mode 1
		.amdhsa_fp16_overflow 0
		.amdhsa_tg_split 0
		.amdhsa_exception_fp_ieee_invalid_op 0
		.amdhsa_exception_fp_denorm_src 0
		.amdhsa_exception_fp_ieee_div_zero 0
		.amdhsa_exception_fp_ieee_overflow 0
		.amdhsa_exception_fp_ieee_underflow 0
		.amdhsa_exception_fp_ieee_inexact 0
		.amdhsa_exception_int_div_zero 0
	.end_amdhsa_kernel
	.section	.text._ZN7rocprim17ROCPRIM_400000_NS6detail17trampoline_kernelINS0_14default_configENS1_25partition_config_selectorILNS1_17partition_subalgoE0EiNS0_10empty_typeEbEEZZNS1_14partition_implILS5_0ELb0ES3_jN6thrust23THRUST_200600_302600_NS6detail15normal_iteratorINSA_10device_ptrIiEEEEPS6_SG_NS0_5tupleIJSF_SF_EEENSH_IJSG_SG_EEES6_PlJ7is_evenIiEEEE10hipError_tPvRmT3_T4_T5_T6_T7_T9_mT8_P12ihipStream_tbDpT10_ENKUlT_T0_E_clISt17integral_constantIbLb0EES16_EEDaS11_S12_EUlS11_E_NS1_11comp_targetILNS1_3genE4ELNS1_11target_archE910ELNS1_3gpuE8ELNS1_3repE0EEENS1_30default_config_static_selectorELNS0_4arch9wavefront6targetE1EEEvT1_,"axG",@progbits,_ZN7rocprim17ROCPRIM_400000_NS6detail17trampoline_kernelINS0_14default_configENS1_25partition_config_selectorILNS1_17partition_subalgoE0EiNS0_10empty_typeEbEEZZNS1_14partition_implILS5_0ELb0ES3_jN6thrust23THRUST_200600_302600_NS6detail15normal_iteratorINSA_10device_ptrIiEEEEPS6_SG_NS0_5tupleIJSF_SF_EEENSH_IJSG_SG_EEES6_PlJ7is_evenIiEEEE10hipError_tPvRmT3_T4_T5_T6_T7_T9_mT8_P12ihipStream_tbDpT10_ENKUlT_T0_E_clISt17integral_constantIbLb0EES16_EEDaS11_S12_EUlS11_E_NS1_11comp_targetILNS1_3genE4ELNS1_11target_archE910ELNS1_3gpuE8ELNS1_3repE0EEENS1_30default_config_static_selectorELNS0_4arch9wavefront6targetE1EEEvT1_,comdat
.Lfunc_end323:
	.size	_ZN7rocprim17ROCPRIM_400000_NS6detail17trampoline_kernelINS0_14default_configENS1_25partition_config_selectorILNS1_17partition_subalgoE0EiNS0_10empty_typeEbEEZZNS1_14partition_implILS5_0ELb0ES3_jN6thrust23THRUST_200600_302600_NS6detail15normal_iteratorINSA_10device_ptrIiEEEEPS6_SG_NS0_5tupleIJSF_SF_EEENSH_IJSG_SG_EEES6_PlJ7is_evenIiEEEE10hipError_tPvRmT3_T4_T5_T6_T7_T9_mT8_P12ihipStream_tbDpT10_ENKUlT_T0_E_clISt17integral_constantIbLb0EES16_EEDaS11_S12_EUlS11_E_NS1_11comp_targetILNS1_3genE4ELNS1_11target_archE910ELNS1_3gpuE8ELNS1_3repE0EEENS1_30default_config_static_selectorELNS0_4arch9wavefront6targetE1EEEvT1_, .Lfunc_end323-_ZN7rocprim17ROCPRIM_400000_NS6detail17trampoline_kernelINS0_14default_configENS1_25partition_config_selectorILNS1_17partition_subalgoE0EiNS0_10empty_typeEbEEZZNS1_14partition_implILS5_0ELb0ES3_jN6thrust23THRUST_200600_302600_NS6detail15normal_iteratorINSA_10device_ptrIiEEEEPS6_SG_NS0_5tupleIJSF_SF_EEENSH_IJSG_SG_EEES6_PlJ7is_evenIiEEEE10hipError_tPvRmT3_T4_T5_T6_T7_T9_mT8_P12ihipStream_tbDpT10_ENKUlT_T0_E_clISt17integral_constantIbLb0EES16_EEDaS11_S12_EUlS11_E_NS1_11comp_targetILNS1_3genE4ELNS1_11target_archE910ELNS1_3gpuE8ELNS1_3repE0EEENS1_30default_config_static_selectorELNS0_4arch9wavefront6targetE1EEEvT1_
                                        ; -- End function
	.section	.AMDGPU.csdata,"",@progbits
; Kernel info:
; codeLenInByte = 0
; NumSgprs: 6
; NumVgprs: 0
; NumAgprs: 0
; TotalNumVgprs: 0
; ScratchSize: 0
; MemoryBound: 0
; FloatMode: 240
; IeeeMode: 1
; LDSByteSize: 0 bytes/workgroup (compile time only)
; SGPRBlocks: 0
; VGPRBlocks: 0
; NumSGPRsForWavesPerEU: 6
; NumVGPRsForWavesPerEU: 1
; AccumOffset: 4
; Occupancy: 8
; WaveLimiterHint : 0
; COMPUTE_PGM_RSRC2:SCRATCH_EN: 0
; COMPUTE_PGM_RSRC2:USER_SGPR: 2
; COMPUTE_PGM_RSRC2:TRAP_HANDLER: 0
; COMPUTE_PGM_RSRC2:TGID_X_EN: 1
; COMPUTE_PGM_RSRC2:TGID_Y_EN: 0
; COMPUTE_PGM_RSRC2:TGID_Z_EN: 0
; COMPUTE_PGM_RSRC2:TIDIG_COMP_CNT: 0
; COMPUTE_PGM_RSRC3_GFX90A:ACCUM_OFFSET: 0
; COMPUTE_PGM_RSRC3_GFX90A:TG_SPLIT: 0
	.section	.text._ZN7rocprim17ROCPRIM_400000_NS6detail17trampoline_kernelINS0_14default_configENS1_25partition_config_selectorILNS1_17partition_subalgoE0EiNS0_10empty_typeEbEEZZNS1_14partition_implILS5_0ELb0ES3_jN6thrust23THRUST_200600_302600_NS6detail15normal_iteratorINSA_10device_ptrIiEEEEPS6_SG_NS0_5tupleIJSF_SF_EEENSH_IJSG_SG_EEES6_PlJ7is_evenIiEEEE10hipError_tPvRmT3_T4_T5_T6_T7_T9_mT8_P12ihipStream_tbDpT10_ENKUlT_T0_E_clISt17integral_constantIbLb0EES16_EEDaS11_S12_EUlS11_E_NS1_11comp_targetILNS1_3genE3ELNS1_11target_archE908ELNS1_3gpuE7ELNS1_3repE0EEENS1_30default_config_static_selectorELNS0_4arch9wavefront6targetE1EEEvT1_,"axG",@progbits,_ZN7rocprim17ROCPRIM_400000_NS6detail17trampoline_kernelINS0_14default_configENS1_25partition_config_selectorILNS1_17partition_subalgoE0EiNS0_10empty_typeEbEEZZNS1_14partition_implILS5_0ELb0ES3_jN6thrust23THRUST_200600_302600_NS6detail15normal_iteratorINSA_10device_ptrIiEEEEPS6_SG_NS0_5tupleIJSF_SF_EEENSH_IJSG_SG_EEES6_PlJ7is_evenIiEEEE10hipError_tPvRmT3_T4_T5_T6_T7_T9_mT8_P12ihipStream_tbDpT10_ENKUlT_T0_E_clISt17integral_constantIbLb0EES16_EEDaS11_S12_EUlS11_E_NS1_11comp_targetILNS1_3genE3ELNS1_11target_archE908ELNS1_3gpuE7ELNS1_3repE0EEENS1_30default_config_static_selectorELNS0_4arch9wavefront6targetE1EEEvT1_,comdat
	.protected	_ZN7rocprim17ROCPRIM_400000_NS6detail17trampoline_kernelINS0_14default_configENS1_25partition_config_selectorILNS1_17partition_subalgoE0EiNS0_10empty_typeEbEEZZNS1_14partition_implILS5_0ELb0ES3_jN6thrust23THRUST_200600_302600_NS6detail15normal_iteratorINSA_10device_ptrIiEEEEPS6_SG_NS0_5tupleIJSF_SF_EEENSH_IJSG_SG_EEES6_PlJ7is_evenIiEEEE10hipError_tPvRmT3_T4_T5_T6_T7_T9_mT8_P12ihipStream_tbDpT10_ENKUlT_T0_E_clISt17integral_constantIbLb0EES16_EEDaS11_S12_EUlS11_E_NS1_11comp_targetILNS1_3genE3ELNS1_11target_archE908ELNS1_3gpuE7ELNS1_3repE0EEENS1_30default_config_static_selectorELNS0_4arch9wavefront6targetE1EEEvT1_ ; -- Begin function _ZN7rocprim17ROCPRIM_400000_NS6detail17trampoline_kernelINS0_14default_configENS1_25partition_config_selectorILNS1_17partition_subalgoE0EiNS0_10empty_typeEbEEZZNS1_14partition_implILS5_0ELb0ES3_jN6thrust23THRUST_200600_302600_NS6detail15normal_iteratorINSA_10device_ptrIiEEEEPS6_SG_NS0_5tupleIJSF_SF_EEENSH_IJSG_SG_EEES6_PlJ7is_evenIiEEEE10hipError_tPvRmT3_T4_T5_T6_T7_T9_mT8_P12ihipStream_tbDpT10_ENKUlT_T0_E_clISt17integral_constantIbLb0EES16_EEDaS11_S12_EUlS11_E_NS1_11comp_targetILNS1_3genE3ELNS1_11target_archE908ELNS1_3gpuE7ELNS1_3repE0EEENS1_30default_config_static_selectorELNS0_4arch9wavefront6targetE1EEEvT1_
	.globl	_ZN7rocprim17ROCPRIM_400000_NS6detail17trampoline_kernelINS0_14default_configENS1_25partition_config_selectorILNS1_17partition_subalgoE0EiNS0_10empty_typeEbEEZZNS1_14partition_implILS5_0ELb0ES3_jN6thrust23THRUST_200600_302600_NS6detail15normal_iteratorINSA_10device_ptrIiEEEEPS6_SG_NS0_5tupleIJSF_SF_EEENSH_IJSG_SG_EEES6_PlJ7is_evenIiEEEE10hipError_tPvRmT3_T4_T5_T6_T7_T9_mT8_P12ihipStream_tbDpT10_ENKUlT_T0_E_clISt17integral_constantIbLb0EES16_EEDaS11_S12_EUlS11_E_NS1_11comp_targetILNS1_3genE3ELNS1_11target_archE908ELNS1_3gpuE7ELNS1_3repE0EEENS1_30default_config_static_selectorELNS0_4arch9wavefront6targetE1EEEvT1_
	.p2align	8
	.type	_ZN7rocprim17ROCPRIM_400000_NS6detail17trampoline_kernelINS0_14default_configENS1_25partition_config_selectorILNS1_17partition_subalgoE0EiNS0_10empty_typeEbEEZZNS1_14partition_implILS5_0ELb0ES3_jN6thrust23THRUST_200600_302600_NS6detail15normal_iteratorINSA_10device_ptrIiEEEEPS6_SG_NS0_5tupleIJSF_SF_EEENSH_IJSG_SG_EEES6_PlJ7is_evenIiEEEE10hipError_tPvRmT3_T4_T5_T6_T7_T9_mT8_P12ihipStream_tbDpT10_ENKUlT_T0_E_clISt17integral_constantIbLb0EES16_EEDaS11_S12_EUlS11_E_NS1_11comp_targetILNS1_3genE3ELNS1_11target_archE908ELNS1_3gpuE7ELNS1_3repE0EEENS1_30default_config_static_selectorELNS0_4arch9wavefront6targetE1EEEvT1_,@function
_ZN7rocprim17ROCPRIM_400000_NS6detail17trampoline_kernelINS0_14default_configENS1_25partition_config_selectorILNS1_17partition_subalgoE0EiNS0_10empty_typeEbEEZZNS1_14partition_implILS5_0ELb0ES3_jN6thrust23THRUST_200600_302600_NS6detail15normal_iteratorINSA_10device_ptrIiEEEEPS6_SG_NS0_5tupleIJSF_SF_EEENSH_IJSG_SG_EEES6_PlJ7is_evenIiEEEE10hipError_tPvRmT3_T4_T5_T6_T7_T9_mT8_P12ihipStream_tbDpT10_ENKUlT_T0_E_clISt17integral_constantIbLb0EES16_EEDaS11_S12_EUlS11_E_NS1_11comp_targetILNS1_3genE3ELNS1_11target_archE908ELNS1_3gpuE7ELNS1_3repE0EEENS1_30default_config_static_selectorELNS0_4arch9wavefront6targetE1EEEvT1_: ; @_ZN7rocprim17ROCPRIM_400000_NS6detail17trampoline_kernelINS0_14default_configENS1_25partition_config_selectorILNS1_17partition_subalgoE0EiNS0_10empty_typeEbEEZZNS1_14partition_implILS5_0ELb0ES3_jN6thrust23THRUST_200600_302600_NS6detail15normal_iteratorINSA_10device_ptrIiEEEEPS6_SG_NS0_5tupleIJSF_SF_EEENSH_IJSG_SG_EEES6_PlJ7is_evenIiEEEE10hipError_tPvRmT3_T4_T5_T6_T7_T9_mT8_P12ihipStream_tbDpT10_ENKUlT_T0_E_clISt17integral_constantIbLb0EES16_EEDaS11_S12_EUlS11_E_NS1_11comp_targetILNS1_3genE3ELNS1_11target_archE908ELNS1_3gpuE7ELNS1_3repE0EEENS1_30default_config_static_selectorELNS0_4arch9wavefront6targetE1EEEvT1_
; %bb.0:
	.section	.rodata,"a",@progbits
	.p2align	6, 0x0
	.amdhsa_kernel _ZN7rocprim17ROCPRIM_400000_NS6detail17trampoline_kernelINS0_14default_configENS1_25partition_config_selectorILNS1_17partition_subalgoE0EiNS0_10empty_typeEbEEZZNS1_14partition_implILS5_0ELb0ES3_jN6thrust23THRUST_200600_302600_NS6detail15normal_iteratorINSA_10device_ptrIiEEEEPS6_SG_NS0_5tupleIJSF_SF_EEENSH_IJSG_SG_EEES6_PlJ7is_evenIiEEEE10hipError_tPvRmT3_T4_T5_T6_T7_T9_mT8_P12ihipStream_tbDpT10_ENKUlT_T0_E_clISt17integral_constantIbLb0EES16_EEDaS11_S12_EUlS11_E_NS1_11comp_targetILNS1_3genE3ELNS1_11target_archE908ELNS1_3gpuE7ELNS1_3repE0EEENS1_30default_config_static_selectorELNS0_4arch9wavefront6targetE1EEEvT1_
		.amdhsa_group_segment_fixed_size 0
		.amdhsa_private_segment_fixed_size 0
		.amdhsa_kernarg_size 120
		.amdhsa_user_sgpr_count 2
		.amdhsa_user_sgpr_dispatch_ptr 0
		.amdhsa_user_sgpr_queue_ptr 0
		.amdhsa_user_sgpr_kernarg_segment_ptr 1
		.amdhsa_user_sgpr_dispatch_id 0
		.amdhsa_user_sgpr_kernarg_preload_length 0
		.amdhsa_user_sgpr_kernarg_preload_offset 0
		.amdhsa_user_sgpr_private_segment_size 0
		.amdhsa_uses_dynamic_stack 0
		.amdhsa_enable_private_segment 0
		.amdhsa_system_sgpr_workgroup_id_x 1
		.amdhsa_system_sgpr_workgroup_id_y 0
		.amdhsa_system_sgpr_workgroup_id_z 0
		.amdhsa_system_sgpr_workgroup_info 0
		.amdhsa_system_vgpr_workitem_id 0
		.amdhsa_next_free_vgpr 1
		.amdhsa_next_free_sgpr 0
		.amdhsa_accum_offset 4
		.amdhsa_reserve_vcc 0
		.amdhsa_float_round_mode_32 0
		.amdhsa_float_round_mode_16_64 0
		.amdhsa_float_denorm_mode_32 3
		.amdhsa_float_denorm_mode_16_64 3
		.amdhsa_dx10_clamp 1
		.amdhsa_ieee_mode 1
		.amdhsa_fp16_overflow 0
		.amdhsa_tg_split 0
		.amdhsa_exception_fp_ieee_invalid_op 0
		.amdhsa_exception_fp_denorm_src 0
		.amdhsa_exception_fp_ieee_div_zero 0
		.amdhsa_exception_fp_ieee_overflow 0
		.amdhsa_exception_fp_ieee_underflow 0
		.amdhsa_exception_fp_ieee_inexact 0
		.amdhsa_exception_int_div_zero 0
	.end_amdhsa_kernel
	.section	.text._ZN7rocprim17ROCPRIM_400000_NS6detail17trampoline_kernelINS0_14default_configENS1_25partition_config_selectorILNS1_17partition_subalgoE0EiNS0_10empty_typeEbEEZZNS1_14partition_implILS5_0ELb0ES3_jN6thrust23THRUST_200600_302600_NS6detail15normal_iteratorINSA_10device_ptrIiEEEEPS6_SG_NS0_5tupleIJSF_SF_EEENSH_IJSG_SG_EEES6_PlJ7is_evenIiEEEE10hipError_tPvRmT3_T4_T5_T6_T7_T9_mT8_P12ihipStream_tbDpT10_ENKUlT_T0_E_clISt17integral_constantIbLb0EES16_EEDaS11_S12_EUlS11_E_NS1_11comp_targetILNS1_3genE3ELNS1_11target_archE908ELNS1_3gpuE7ELNS1_3repE0EEENS1_30default_config_static_selectorELNS0_4arch9wavefront6targetE1EEEvT1_,"axG",@progbits,_ZN7rocprim17ROCPRIM_400000_NS6detail17trampoline_kernelINS0_14default_configENS1_25partition_config_selectorILNS1_17partition_subalgoE0EiNS0_10empty_typeEbEEZZNS1_14partition_implILS5_0ELb0ES3_jN6thrust23THRUST_200600_302600_NS6detail15normal_iteratorINSA_10device_ptrIiEEEEPS6_SG_NS0_5tupleIJSF_SF_EEENSH_IJSG_SG_EEES6_PlJ7is_evenIiEEEE10hipError_tPvRmT3_T4_T5_T6_T7_T9_mT8_P12ihipStream_tbDpT10_ENKUlT_T0_E_clISt17integral_constantIbLb0EES16_EEDaS11_S12_EUlS11_E_NS1_11comp_targetILNS1_3genE3ELNS1_11target_archE908ELNS1_3gpuE7ELNS1_3repE0EEENS1_30default_config_static_selectorELNS0_4arch9wavefront6targetE1EEEvT1_,comdat
.Lfunc_end324:
	.size	_ZN7rocprim17ROCPRIM_400000_NS6detail17trampoline_kernelINS0_14default_configENS1_25partition_config_selectorILNS1_17partition_subalgoE0EiNS0_10empty_typeEbEEZZNS1_14partition_implILS5_0ELb0ES3_jN6thrust23THRUST_200600_302600_NS6detail15normal_iteratorINSA_10device_ptrIiEEEEPS6_SG_NS0_5tupleIJSF_SF_EEENSH_IJSG_SG_EEES6_PlJ7is_evenIiEEEE10hipError_tPvRmT3_T4_T5_T6_T7_T9_mT8_P12ihipStream_tbDpT10_ENKUlT_T0_E_clISt17integral_constantIbLb0EES16_EEDaS11_S12_EUlS11_E_NS1_11comp_targetILNS1_3genE3ELNS1_11target_archE908ELNS1_3gpuE7ELNS1_3repE0EEENS1_30default_config_static_selectorELNS0_4arch9wavefront6targetE1EEEvT1_, .Lfunc_end324-_ZN7rocprim17ROCPRIM_400000_NS6detail17trampoline_kernelINS0_14default_configENS1_25partition_config_selectorILNS1_17partition_subalgoE0EiNS0_10empty_typeEbEEZZNS1_14partition_implILS5_0ELb0ES3_jN6thrust23THRUST_200600_302600_NS6detail15normal_iteratorINSA_10device_ptrIiEEEEPS6_SG_NS0_5tupleIJSF_SF_EEENSH_IJSG_SG_EEES6_PlJ7is_evenIiEEEE10hipError_tPvRmT3_T4_T5_T6_T7_T9_mT8_P12ihipStream_tbDpT10_ENKUlT_T0_E_clISt17integral_constantIbLb0EES16_EEDaS11_S12_EUlS11_E_NS1_11comp_targetILNS1_3genE3ELNS1_11target_archE908ELNS1_3gpuE7ELNS1_3repE0EEENS1_30default_config_static_selectorELNS0_4arch9wavefront6targetE1EEEvT1_
                                        ; -- End function
	.section	.AMDGPU.csdata,"",@progbits
; Kernel info:
; codeLenInByte = 0
; NumSgprs: 6
; NumVgprs: 0
; NumAgprs: 0
; TotalNumVgprs: 0
; ScratchSize: 0
; MemoryBound: 0
; FloatMode: 240
; IeeeMode: 1
; LDSByteSize: 0 bytes/workgroup (compile time only)
; SGPRBlocks: 0
; VGPRBlocks: 0
; NumSGPRsForWavesPerEU: 6
; NumVGPRsForWavesPerEU: 1
; AccumOffset: 4
; Occupancy: 8
; WaveLimiterHint : 0
; COMPUTE_PGM_RSRC2:SCRATCH_EN: 0
; COMPUTE_PGM_RSRC2:USER_SGPR: 2
; COMPUTE_PGM_RSRC2:TRAP_HANDLER: 0
; COMPUTE_PGM_RSRC2:TGID_X_EN: 1
; COMPUTE_PGM_RSRC2:TGID_Y_EN: 0
; COMPUTE_PGM_RSRC2:TGID_Z_EN: 0
; COMPUTE_PGM_RSRC2:TIDIG_COMP_CNT: 0
; COMPUTE_PGM_RSRC3_GFX90A:ACCUM_OFFSET: 0
; COMPUTE_PGM_RSRC3_GFX90A:TG_SPLIT: 0
	.section	.text._ZN7rocprim17ROCPRIM_400000_NS6detail17trampoline_kernelINS0_14default_configENS1_25partition_config_selectorILNS1_17partition_subalgoE0EiNS0_10empty_typeEbEEZZNS1_14partition_implILS5_0ELb0ES3_jN6thrust23THRUST_200600_302600_NS6detail15normal_iteratorINSA_10device_ptrIiEEEEPS6_SG_NS0_5tupleIJSF_SF_EEENSH_IJSG_SG_EEES6_PlJ7is_evenIiEEEE10hipError_tPvRmT3_T4_T5_T6_T7_T9_mT8_P12ihipStream_tbDpT10_ENKUlT_T0_E_clISt17integral_constantIbLb0EES16_EEDaS11_S12_EUlS11_E_NS1_11comp_targetILNS1_3genE2ELNS1_11target_archE906ELNS1_3gpuE6ELNS1_3repE0EEENS1_30default_config_static_selectorELNS0_4arch9wavefront6targetE1EEEvT1_,"axG",@progbits,_ZN7rocprim17ROCPRIM_400000_NS6detail17trampoline_kernelINS0_14default_configENS1_25partition_config_selectorILNS1_17partition_subalgoE0EiNS0_10empty_typeEbEEZZNS1_14partition_implILS5_0ELb0ES3_jN6thrust23THRUST_200600_302600_NS6detail15normal_iteratorINSA_10device_ptrIiEEEEPS6_SG_NS0_5tupleIJSF_SF_EEENSH_IJSG_SG_EEES6_PlJ7is_evenIiEEEE10hipError_tPvRmT3_T4_T5_T6_T7_T9_mT8_P12ihipStream_tbDpT10_ENKUlT_T0_E_clISt17integral_constantIbLb0EES16_EEDaS11_S12_EUlS11_E_NS1_11comp_targetILNS1_3genE2ELNS1_11target_archE906ELNS1_3gpuE6ELNS1_3repE0EEENS1_30default_config_static_selectorELNS0_4arch9wavefront6targetE1EEEvT1_,comdat
	.protected	_ZN7rocprim17ROCPRIM_400000_NS6detail17trampoline_kernelINS0_14default_configENS1_25partition_config_selectorILNS1_17partition_subalgoE0EiNS0_10empty_typeEbEEZZNS1_14partition_implILS5_0ELb0ES3_jN6thrust23THRUST_200600_302600_NS6detail15normal_iteratorINSA_10device_ptrIiEEEEPS6_SG_NS0_5tupleIJSF_SF_EEENSH_IJSG_SG_EEES6_PlJ7is_evenIiEEEE10hipError_tPvRmT3_T4_T5_T6_T7_T9_mT8_P12ihipStream_tbDpT10_ENKUlT_T0_E_clISt17integral_constantIbLb0EES16_EEDaS11_S12_EUlS11_E_NS1_11comp_targetILNS1_3genE2ELNS1_11target_archE906ELNS1_3gpuE6ELNS1_3repE0EEENS1_30default_config_static_selectorELNS0_4arch9wavefront6targetE1EEEvT1_ ; -- Begin function _ZN7rocprim17ROCPRIM_400000_NS6detail17trampoline_kernelINS0_14default_configENS1_25partition_config_selectorILNS1_17partition_subalgoE0EiNS0_10empty_typeEbEEZZNS1_14partition_implILS5_0ELb0ES3_jN6thrust23THRUST_200600_302600_NS6detail15normal_iteratorINSA_10device_ptrIiEEEEPS6_SG_NS0_5tupleIJSF_SF_EEENSH_IJSG_SG_EEES6_PlJ7is_evenIiEEEE10hipError_tPvRmT3_T4_T5_T6_T7_T9_mT8_P12ihipStream_tbDpT10_ENKUlT_T0_E_clISt17integral_constantIbLb0EES16_EEDaS11_S12_EUlS11_E_NS1_11comp_targetILNS1_3genE2ELNS1_11target_archE906ELNS1_3gpuE6ELNS1_3repE0EEENS1_30default_config_static_selectorELNS0_4arch9wavefront6targetE1EEEvT1_
	.globl	_ZN7rocprim17ROCPRIM_400000_NS6detail17trampoline_kernelINS0_14default_configENS1_25partition_config_selectorILNS1_17partition_subalgoE0EiNS0_10empty_typeEbEEZZNS1_14partition_implILS5_0ELb0ES3_jN6thrust23THRUST_200600_302600_NS6detail15normal_iteratorINSA_10device_ptrIiEEEEPS6_SG_NS0_5tupleIJSF_SF_EEENSH_IJSG_SG_EEES6_PlJ7is_evenIiEEEE10hipError_tPvRmT3_T4_T5_T6_T7_T9_mT8_P12ihipStream_tbDpT10_ENKUlT_T0_E_clISt17integral_constantIbLb0EES16_EEDaS11_S12_EUlS11_E_NS1_11comp_targetILNS1_3genE2ELNS1_11target_archE906ELNS1_3gpuE6ELNS1_3repE0EEENS1_30default_config_static_selectorELNS0_4arch9wavefront6targetE1EEEvT1_
	.p2align	8
	.type	_ZN7rocprim17ROCPRIM_400000_NS6detail17trampoline_kernelINS0_14default_configENS1_25partition_config_selectorILNS1_17partition_subalgoE0EiNS0_10empty_typeEbEEZZNS1_14partition_implILS5_0ELb0ES3_jN6thrust23THRUST_200600_302600_NS6detail15normal_iteratorINSA_10device_ptrIiEEEEPS6_SG_NS0_5tupleIJSF_SF_EEENSH_IJSG_SG_EEES6_PlJ7is_evenIiEEEE10hipError_tPvRmT3_T4_T5_T6_T7_T9_mT8_P12ihipStream_tbDpT10_ENKUlT_T0_E_clISt17integral_constantIbLb0EES16_EEDaS11_S12_EUlS11_E_NS1_11comp_targetILNS1_3genE2ELNS1_11target_archE906ELNS1_3gpuE6ELNS1_3repE0EEENS1_30default_config_static_selectorELNS0_4arch9wavefront6targetE1EEEvT1_,@function
_ZN7rocprim17ROCPRIM_400000_NS6detail17trampoline_kernelINS0_14default_configENS1_25partition_config_selectorILNS1_17partition_subalgoE0EiNS0_10empty_typeEbEEZZNS1_14partition_implILS5_0ELb0ES3_jN6thrust23THRUST_200600_302600_NS6detail15normal_iteratorINSA_10device_ptrIiEEEEPS6_SG_NS0_5tupleIJSF_SF_EEENSH_IJSG_SG_EEES6_PlJ7is_evenIiEEEE10hipError_tPvRmT3_T4_T5_T6_T7_T9_mT8_P12ihipStream_tbDpT10_ENKUlT_T0_E_clISt17integral_constantIbLb0EES16_EEDaS11_S12_EUlS11_E_NS1_11comp_targetILNS1_3genE2ELNS1_11target_archE906ELNS1_3gpuE6ELNS1_3repE0EEENS1_30default_config_static_selectorELNS0_4arch9wavefront6targetE1EEEvT1_: ; @_ZN7rocprim17ROCPRIM_400000_NS6detail17trampoline_kernelINS0_14default_configENS1_25partition_config_selectorILNS1_17partition_subalgoE0EiNS0_10empty_typeEbEEZZNS1_14partition_implILS5_0ELb0ES3_jN6thrust23THRUST_200600_302600_NS6detail15normal_iteratorINSA_10device_ptrIiEEEEPS6_SG_NS0_5tupleIJSF_SF_EEENSH_IJSG_SG_EEES6_PlJ7is_evenIiEEEE10hipError_tPvRmT3_T4_T5_T6_T7_T9_mT8_P12ihipStream_tbDpT10_ENKUlT_T0_E_clISt17integral_constantIbLb0EES16_EEDaS11_S12_EUlS11_E_NS1_11comp_targetILNS1_3genE2ELNS1_11target_archE906ELNS1_3gpuE6ELNS1_3repE0EEENS1_30default_config_static_selectorELNS0_4arch9wavefront6targetE1EEEvT1_
; %bb.0:
	.section	.rodata,"a",@progbits
	.p2align	6, 0x0
	.amdhsa_kernel _ZN7rocprim17ROCPRIM_400000_NS6detail17trampoline_kernelINS0_14default_configENS1_25partition_config_selectorILNS1_17partition_subalgoE0EiNS0_10empty_typeEbEEZZNS1_14partition_implILS5_0ELb0ES3_jN6thrust23THRUST_200600_302600_NS6detail15normal_iteratorINSA_10device_ptrIiEEEEPS6_SG_NS0_5tupleIJSF_SF_EEENSH_IJSG_SG_EEES6_PlJ7is_evenIiEEEE10hipError_tPvRmT3_T4_T5_T6_T7_T9_mT8_P12ihipStream_tbDpT10_ENKUlT_T0_E_clISt17integral_constantIbLb0EES16_EEDaS11_S12_EUlS11_E_NS1_11comp_targetILNS1_3genE2ELNS1_11target_archE906ELNS1_3gpuE6ELNS1_3repE0EEENS1_30default_config_static_selectorELNS0_4arch9wavefront6targetE1EEEvT1_
		.amdhsa_group_segment_fixed_size 0
		.amdhsa_private_segment_fixed_size 0
		.amdhsa_kernarg_size 120
		.amdhsa_user_sgpr_count 2
		.amdhsa_user_sgpr_dispatch_ptr 0
		.amdhsa_user_sgpr_queue_ptr 0
		.amdhsa_user_sgpr_kernarg_segment_ptr 1
		.amdhsa_user_sgpr_dispatch_id 0
		.amdhsa_user_sgpr_kernarg_preload_length 0
		.amdhsa_user_sgpr_kernarg_preload_offset 0
		.amdhsa_user_sgpr_private_segment_size 0
		.amdhsa_uses_dynamic_stack 0
		.amdhsa_enable_private_segment 0
		.amdhsa_system_sgpr_workgroup_id_x 1
		.amdhsa_system_sgpr_workgroup_id_y 0
		.amdhsa_system_sgpr_workgroup_id_z 0
		.amdhsa_system_sgpr_workgroup_info 0
		.amdhsa_system_vgpr_workitem_id 0
		.amdhsa_next_free_vgpr 1
		.amdhsa_next_free_sgpr 0
		.amdhsa_accum_offset 4
		.amdhsa_reserve_vcc 0
		.amdhsa_float_round_mode_32 0
		.amdhsa_float_round_mode_16_64 0
		.amdhsa_float_denorm_mode_32 3
		.amdhsa_float_denorm_mode_16_64 3
		.amdhsa_dx10_clamp 1
		.amdhsa_ieee_mode 1
		.amdhsa_fp16_overflow 0
		.amdhsa_tg_split 0
		.amdhsa_exception_fp_ieee_invalid_op 0
		.amdhsa_exception_fp_denorm_src 0
		.amdhsa_exception_fp_ieee_div_zero 0
		.amdhsa_exception_fp_ieee_overflow 0
		.amdhsa_exception_fp_ieee_underflow 0
		.amdhsa_exception_fp_ieee_inexact 0
		.amdhsa_exception_int_div_zero 0
	.end_amdhsa_kernel
	.section	.text._ZN7rocprim17ROCPRIM_400000_NS6detail17trampoline_kernelINS0_14default_configENS1_25partition_config_selectorILNS1_17partition_subalgoE0EiNS0_10empty_typeEbEEZZNS1_14partition_implILS5_0ELb0ES3_jN6thrust23THRUST_200600_302600_NS6detail15normal_iteratorINSA_10device_ptrIiEEEEPS6_SG_NS0_5tupleIJSF_SF_EEENSH_IJSG_SG_EEES6_PlJ7is_evenIiEEEE10hipError_tPvRmT3_T4_T5_T6_T7_T9_mT8_P12ihipStream_tbDpT10_ENKUlT_T0_E_clISt17integral_constantIbLb0EES16_EEDaS11_S12_EUlS11_E_NS1_11comp_targetILNS1_3genE2ELNS1_11target_archE906ELNS1_3gpuE6ELNS1_3repE0EEENS1_30default_config_static_selectorELNS0_4arch9wavefront6targetE1EEEvT1_,"axG",@progbits,_ZN7rocprim17ROCPRIM_400000_NS6detail17trampoline_kernelINS0_14default_configENS1_25partition_config_selectorILNS1_17partition_subalgoE0EiNS0_10empty_typeEbEEZZNS1_14partition_implILS5_0ELb0ES3_jN6thrust23THRUST_200600_302600_NS6detail15normal_iteratorINSA_10device_ptrIiEEEEPS6_SG_NS0_5tupleIJSF_SF_EEENSH_IJSG_SG_EEES6_PlJ7is_evenIiEEEE10hipError_tPvRmT3_T4_T5_T6_T7_T9_mT8_P12ihipStream_tbDpT10_ENKUlT_T0_E_clISt17integral_constantIbLb0EES16_EEDaS11_S12_EUlS11_E_NS1_11comp_targetILNS1_3genE2ELNS1_11target_archE906ELNS1_3gpuE6ELNS1_3repE0EEENS1_30default_config_static_selectorELNS0_4arch9wavefront6targetE1EEEvT1_,comdat
.Lfunc_end325:
	.size	_ZN7rocprim17ROCPRIM_400000_NS6detail17trampoline_kernelINS0_14default_configENS1_25partition_config_selectorILNS1_17partition_subalgoE0EiNS0_10empty_typeEbEEZZNS1_14partition_implILS5_0ELb0ES3_jN6thrust23THRUST_200600_302600_NS6detail15normal_iteratorINSA_10device_ptrIiEEEEPS6_SG_NS0_5tupleIJSF_SF_EEENSH_IJSG_SG_EEES6_PlJ7is_evenIiEEEE10hipError_tPvRmT3_T4_T5_T6_T7_T9_mT8_P12ihipStream_tbDpT10_ENKUlT_T0_E_clISt17integral_constantIbLb0EES16_EEDaS11_S12_EUlS11_E_NS1_11comp_targetILNS1_3genE2ELNS1_11target_archE906ELNS1_3gpuE6ELNS1_3repE0EEENS1_30default_config_static_selectorELNS0_4arch9wavefront6targetE1EEEvT1_, .Lfunc_end325-_ZN7rocprim17ROCPRIM_400000_NS6detail17trampoline_kernelINS0_14default_configENS1_25partition_config_selectorILNS1_17partition_subalgoE0EiNS0_10empty_typeEbEEZZNS1_14partition_implILS5_0ELb0ES3_jN6thrust23THRUST_200600_302600_NS6detail15normal_iteratorINSA_10device_ptrIiEEEEPS6_SG_NS0_5tupleIJSF_SF_EEENSH_IJSG_SG_EEES6_PlJ7is_evenIiEEEE10hipError_tPvRmT3_T4_T5_T6_T7_T9_mT8_P12ihipStream_tbDpT10_ENKUlT_T0_E_clISt17integral_constantIbLb0EES16_EEDaS11_S12_EUlS11_E_NS1_11comp_targetILNS1_3genE2ELNS1_11target_archE906ELNS1_3gpuE6ELNS1_3repE0EEENS1_30default_config_static_selectorELNS0_4arch9wavefront6targetE1EEEvT1_
                                        ; -- End function
	.section	.AMDGPU.csdata,"",@progbits
; Kernel info:
; codeLenInByte = 0
; NumSgprs: 6
; NumVgprs: 0
; NumAgprs: 0
; TotalNumVgprs: 0
; ScratchSize: 0
; MemoryBound: 0
; FloatMode: 240
; IeeeMode: 1
; LDSByteSize: 0 bytes/workgroup (compile time only)
; SGPRBlocks: 0
; VGPRBlocks: 0
; NumSGPRsForWavesPerEU: 6
; NumVGPRsForWavesPerEU: 1
; AccumOffset: 4
; Occupancy: 8
; WaveLimiterHint : 0
; COMPUTE_PGM_RSRC2:SCRATCH_EN: 0
; COMPUTE_PGM_RSRC2:USER_SGPR: 2
; COMPUTE_PGM_RSRC2:TRAP_HANDLER: 0
; COMPUTE_PGM_RSRC2:TGID_X_EN: 1
; COMPUTE_PGM_RSRC2:TGID_Y_EN: 0
; COMPUTE_PGM_RSRC2:TGID_Z_EN: 0
; COMPUTE_PGM_RSRC2:TIDIG_COMP_CNT: 0
; COMPUTE_PGM_RSRC3_GFX90A:ACCUM_OFFSET: 0
; COMPUTE_PGM_RSRC3_GFX90A:TG_SPLIT: 0
	.section	.text._ZN7rocprim17ROCPRIM_400000_NS6detail17trampoline_kernelINS0_14default_configENS1_25partition_config_selectorILNS1_17partition_subalgoE0EiNS0_10empty_typeEbEEZZNS1_14partition_implILS5_0ELb0ES3_jN6thrust23THRUST_200600_302600_NS6detail15normal_iteratorINSA_10device_ptrIiEEEEPS6_SG_NS0_5tupleIJSF_SF_EEENSH_IJSG_SG_EEES6_PlJ7is_evenIiEEEE10hipError_tPvRmT3_T4_T5_T6_T7_T9_mT8_P12ihipStream_tbDpT10_ENKUlT_T0_E_clISt17integral_constantIbLb0EES16_EEDaS11_S12_EUlS11_E_NS1_11comp_targetILNS1_3genE10ELNS1_11target_archE1200ELNS1_3gpuE4ELNS1_3repE0EEENS1_30default_config_static_selectorELNS0_4arch9wavefront6targetE1EEEvT1_,"axG",@progbits,_ZN7rocprim17ROCPRIM_400000_NS6detail17trampoline_kernelINS0_14default_configENS1_25partition_config_selectorILNS1_17partition_subalgoE0EiNS0_10empty_typeEbEEZZNS1_14partition_implILS5_0ELb0ES3_jN6thrust23THRUST_200600_302600_NS6detail15normal_iteratorINSA_10device_ptrIiEEEEPS6_SG_NS0_5tupleIJSF_SF_EEENSH_IJSG_SG_EEES6_PlJ7is_evenIiEEEE10hipError_tPvRmT3_T4_T5_T6_T7_T9_mT8_P12ihipStream_tbDpT10_ENKUlT_T0_E_clISt17integral_constantIbLb0EES16_EEDaS11_S12_EUlS11_E_NS1_11comp_targetILNS1_3genE10ELNS1_11target_archE1200ELNS1_3gpuE4ELNS1_3repE0EEENS1_30default_config_static_selectorELNS0_4arch9wavefront6targetE1EEEvT1_,comdat
	.protected	_ZN7rocprim17ROCPRIM_400000_NS6detail17trampoline_kernelINS0_14default_configENS1_25partition_config_selectorILNS1_17partition_subalgoE0EiNS0_10empty_typeEbEEZZNS1_14partition_implILS5_0ELb0ES3_jN6thrust23THRUST_200600_302600_NS6detail15normal_iteratorINSA_10device_ptrIiEEEEPS6_SG_NS0_5tupleIJSF_SF_EEENSH_IJSG_SG_EEES6_PlJ7is_evenIiEEEE10hipError_tPvRmT3_T4_T5_T6_T7_T9_mT8_P12ihipStream_tbDpT10_ENKUlT_T0_E_clISt17integral_constantIbLb0EES16_EEDaS11_S12_EUlS11_E_NS1_11comp_targetILNS1_3genE10ELNS1_11target_archE1200ELNS1_3gpuE4ELNS1_3repE0EEENS1_30default_config_static_selectorELNS0_4arch9wavefront6targetE1EEEvT1_ ; -- Begin function _ZN7rocprim17ROCPRIM_400000_NS6detail17trampoline_kernelINS0_14default_configENS1_25partition_config_selectorILNS1_17partition_subalgoE0EiNS0_10empty_typeEbEEZZNS1_14partition_implILS5_0ELb0ES3_jN6thrust23THRUST_200600_302600_NS6detail15normal_iteratorINSA_10device_ptrIiEEEEPS6_SG_NS0_5tupleIJSF_SF_EEENSH_IJSG_SG_EEES6_PlJ7is_evenIiEEEE10hipError_tPvRmT3_T4_T5_T6_T7_T9_mT8_P12ihipStream_tbDpT10_ENKUlT_T0_E_clISt17integral_constantIbLb0EES16_EEDaS11_S12_EUlS11_E_NS1_11comp_targetILNS1_3genE10ELNS1_11target_archE1200ELNS1_3gpuE4ELNS1_3repE0EEENS1_30default_config_static_selectorELNS0_4arch9wavefront6targetE1EEEvT1_
	.globl	_ZN7rocprim17ROCPRIM_400000_NS6detail17trampoline_kernelINS0_14default_configENS1_25partition_config_selectorILNS1_17partition_subalgoE0EiNS0_10empty_typeEbEEZZNS1_14partition_implILS5_0ELb0ES3_jN6thrust23THRUST_200600_302600_NS6detail15normal_iteratorINSA_10device_ptrIiEEEEPS6_SG_NS0_5tupleIJSF_SF_EEENSH_IJSG_SG_EEES6_PlJ7is_evenIiEEEE10hipError_tPvRmT3_T4_T5_T6_T7_T9_mT8_P12ihipStream_tbDpT10_ENKUlT_T0_E_clISt17integral_constantIbLb0EES16_EEDaS11_S12_EUlS11_E_NS1_11comp_targetILNS1_3genE10ELNS1_11target_archE1200ELNS1_3gpuE4ELNS1_3repE0EEENS1_30default_config_static_selectorELNS0_4arch9wavefront6targetE1EEEvT1_
	.p2align	8
	.type	_ZN7rocprim17ROCPRIM_400000_NS6detail17trampoline_kernelINS0_14default_configENS1_25partition_config_selectorILNS1_17partition_subalgoE0EiNS0_10empty_typeEbEEZZNS1_14partition_implILS5_0ELb0ES3_jN6thrust23THRUST_200600_302600_NS6detail15normal_iteratorINSA_10device_ptrIiEEEEPS6_SG_NS0_5tupleIJSF_SF_EEENSH_IJSG_SG_EEES6_PlJ7is_evenIiEEEE10hipError_tPvRmT3_T4_T5_T6_T7_T9_mT8_P12ihipStream_tbDpT10_ENKUlT_T0_E_clISt17integral_constantIbLb0EES16_EEDaS11_S12_EUlS11_E_NS1_11comp_targetILNS1_3genE10ELNS1_11target_archE1200ELNS1_3gpuE4ELNS1_3repE0EEENS1_30default_config_static_selectorELNS0_4arch9wavefront6targetE1EEEvT1_,@function
_ZN7rocprim17ROCPRIM_400000_NS6detail17trampoline_kernelINS0_14default_configENS1_25partition_config_selectorILNS1_17partition_subalgoE0EiNS0_10empty_typeEbEEZZNS1_14partition_implILS5_0ELb0ES3_jN6thrust23THRUST_200600_302600_NS6detail15normal_iteratorINSA_10device_ptrIiEEEEPS6_SG_NS0_5tupleIJSF_SF_EEENSH_IJSG_SG_EEES6_PlJ7is_evenIiEEEE10hipError_tPvRmT3_T4_T5_T6_T7_T9_mT8_P12ihipStream_tbDpT10_ENKUlT_T0_E_clISt17integral_constantIbLb0EES16_EEDaS11_S12_EUlS11_E_NS1_11comp_targetILNS1_3genE10ELNS1_11target_archE1200ELNS1_3gpuE4ELNS1_3repE0EEENS1_30default_config_static_selectorELNS0_4arch9wavefront6targetE1EEEvT1_: ; @_ZN7rocprim17ROCPRIM_400000_NS6detail17trampoline_kernelINS0_14default_configENS1_25partition_config_selectorILNS1_17partition_subalgoE0EiNS0_10empty_typeEbEEZZNS1_14partition_implILS5_0ELb0ES3_jN6thrust23THRUST_200600_302600_NS6detail15normal_iteratorINSA_10device_ptrIiEEEEPS6_SG_NS0_5tupleIJSF_SF_EEENSH_IJSG_SG_EEES6_PlJ7is_evenIiEEEE10hipError_tPvRmT3_T4_T5_T6_T7_T9_mT8_P12ihipStream_tbDpT10_ENKUlT_T0_E_clISt17integral_constantIbLb0EES16_EEDaS11_S12_EUlS11_E_NS1_11comp_targetILNS1_3genE10ELNS1_11target_archE1200ELNS1_3gpuE4ELNS1_3repE0EEENS1_30default_config_static_selectorELNS0_4arch9wavefront6targetE1EEEvT1_
; %bb.0:
	.section	.rodata,"a",@progbits
	.p2align	6, 0x0
	.amdhsa_kernel _ZN7rocprim17ROCPRIM_400000_NS6detail17trampoline_kernelINS0_14default_configENS1_25partition_config_selectorILNS1_17partition_subalgoE0EiNS0_10empty_typeEbEEZZNS1_14partition_implILS5_0ELb0ES3_jN6thrust23THRUST_200600_302600_NS6detail15normal_iteratorINSA_10device_ptrIiEEEEPS6_SG_NS0_5tupleIJSF_SF_EEENSH_IJSG_SG_EEES6_PlJ7is_evenIiEEEE10hipError_tPvRmT3_T4_T5_T6_T7_T9_mT8_P12ihipStream_tbDpT10_ENKUlT_T0_E_clISt17integral_constantIbLb0EES16_EEDaS11_S12_EUlS11_E_NS1_11comp_targetILNS1_3genE10ELNS1_11target_archE1200ELNS1_3gpuE4ELNS1_3repE0EEENS1_30default_config_static_selectorELNS0_4arch9wavefront6targetE1EEEvT1_
		.amdhsa_group_segment_fixed_size 0
		.amdhsa_private_segment_fixed_size 0
		.amdhsa_kernarg_size 120
		.amdhsa_user_sgpr_count 2
		.amdhsa_user_sgpr_dispatch_ptr 0
		.amdhsa_user_sgpr_queue_ptr 0
		.amdhsa_user_sgpr_kernarg_segment_ptr 1
		.amdhsa_user_sgpr_dispatch_id 0
		.amdhsa_user_sgpr_kernarg_preload_length 0
		.amdhsa_user_sgpr_kernarg_preload_offset 0
		.amdhsa_user_sgpr_private_segment_size 0
		.amdhsa_uses_dynamic_stack 0
		.amdhsa_enable_private_segment 0
		.amdhsa_system_sgpr_workgroup_id_x 1
		.amdhsa_system_sgpr_workgroup_id_y 0
		.amdhsa_system_sgpr_workgroup_id_z 0
		.amdhsa_system_sgpr_workgroup_info 0
		.amdhsa_system_vgpr_workitem_id 0
		.amdhsa_next_free_vgpr 1
		.amdhsa_next_free_sgpr 0
		.amdhsa_accum_offset 4
		.amdhsa_reserve_vcc 0
		.amdhsa_float_round_mode_32 0
		.amdhsa_float_round_mode_16_64 0
		.amdhsa_float_denorm_mode_32 3
		.amdhsa_float_denorm_mode_16_64 3
		.amdhsa_dx10_clamp 1
		.amdhsa_ieee_mode 1
		.amdhsa_fp16_overflow 0
		.amdhsa_tg_split 0
		.amdhsa_exception_fp_ieee_invalid_op 0
		.amdhsa_exception_fp_denorm_src 0
		.amdhsa_exception_fp_ieee_div_zero 0
		.amdhsa_exception_fp_ieee_overflow 0
		.amdhsa_exception_fp_ieee_underflow 0
		.amdhsa_exception_fp_ieee_inexact 0
		.amdhsa_exception_int_div_zero 0
	.end_amdhsa_kernel
	.section	.text._ZN7rocprim17ROCPRIM_400000_NS6detail17trampoline_kernelINS0_14default_configENS1_25partition_config_selectorILNS1_17partition_subalgoE0EiNS0_10empty_typeEbEEZZNS1_14partition_implILS5_0ELb0ES3_jN6thrust23THRUST_200600_302600_NS6detail15normal_iteratorINSA_10device_ptrIiEEEEPS6_SG_NS0_5tupleIJSF_SF_EEENSH_IJSG_SG_EEES6_PlJ7is_evenIiEEEE10hipError_tPvRmT3_T4_T5_T6_T7_T9_mT8_P12ihipStream_tbDpT10_ENKUlT_T0_E_clISt17integral_constantIbLb0EES16_EEDaS11_S12_EUlS11_E_NS1_11comp_targetILNS1_3genE10ELNS1_11target_archE1200ELNS1_3gpuE4ELNS1_3repE0EEENS1_30default_config_static_selectorELNS0_4arch9wavefront6targetE1EEEvT1_,"axG",@progbits,_ZN7rocprim17ROCPRIM_400000_NS6detail17trampoline_kernelINS0_14default_configENS1_25partition_config_selectorILNS1_17partition_subalgoE0EiNS0_10empty_typeEbEEZZNS1_14partition_implILS5_0ELb0ES3_jN6thrust23THRUST_200600_302600_NS6detail15normal_iteratorINSA_10device_ptrIiEEEEPS6_SG_NS0_5tupleIJSF_SF_EEENSH_IJSG_SG_EEES6_PlJ7is_evenIiEEEE10hipError_tPvRmT3_T4_T5_T6_T7_T9_mT8_P12ihipStream_tbDpT10_ENKUlT_T0_E_clISt17integral_constantIbLb0EES16_EEDaS11_S12_EUlS11_E_NS1_11comp_targetILNS1_3genE10ELNS1_11target_archE1200ELNS1_3gpuE4ELNS1_3repE0EEENS1_30default_config_static_selectorELNS0_4arch9wavefront6targetE1EEEvT1_,comdat
.Lfunc_end326:
	.size	_ZN7rocprim17ROCPRIM_400000_NS6detail17trampoline_kernelINS0_14default_configENS1_25partition_config_selectorILNS1_17partition_subalgoE0EiNS0_10empty_typeEbEEZZNS1_14partition_implILS5_0ELb0ES3_jN6thrust23THRUST_200600_302600_NS6detail15normal_iteratorINSA_10device_ptrIiEEEEPS6_SG_NS0_5tupleIJSF_SF_EEENSH_IJSG_SG_EEES6_PlJ7is_evenIiEEEE10hipError_tPvRmT3_T4_T5_T6_T7_T9_mT8_P12ihipStream_tbDpT10_ENKUlT_T0_E_clISt17integral_constantIbLb0EES16_EEDaS11_S12_EUlS11_E_NS1_11comp_targetILNS1_3genE10ELNS1_11target_archE1200ELNS1_3gpuE4ELNS1_3repE0EEENS1_30default_config_static_selectorELNS0_4arch9wavefront6targetE1EEEvT1_, .Lfunc_end326-_ZN7rocprim17ROCPRIM_400000_NS6detail17trampoline_kernelINS0_14default_configENS1_25partition_config_selectorILNS1_17partition_subalgoE0EiNS0_10empty_typeEbEEZZNS1_14partition_implILS5_0ELb0ES3_jN6thrust23THRUST_200600_302600_NS6detail15normal_iteratorINSA_10device_ptrIiEEEEPS6_SG_NS0_5tupleIJSF_SF_EEENSH_IJSG_SG_EEES6_PlJ7is_evenIiEEEE10hipError_tPvRmT3_T4_T5_T6_T7_T9_mT8_P12ihipStream_tbDpT10_ENKUlT_T0_E_clISt17integral_constantIbLb0EES16_EEDaS11_S12_EUlS11_E_NS1_11comp_targetILNS1_3genE10ELNS1_11target_archE1200ELNS1_3gpuE4ELNS1_3repE0EEENS1_30default_config_static_selectorELNS0_4arch9wavefront6targetE1EEEvT1_
                                        ; -- End function
	.section	.AMDGPU.csdata,"",@progbits
; Kernel info:
; codeLenInByte = 0
; NumSgprs: 6
; NumVgprs: 0
; NumAgprs: 0
; TotalNumVgprs: 0
; ScratchSize: 0
; MemoryBound: 0
; FloatMode: 240
; IeeeMode: 1
; LDSByteSize: 0 bytes/workgroup (compile time only)
; SGPRBlocks: 0
; VGPRBlocks: 0
; NumSGPRsForWavesPerEU: 6
; NumVGPRsForWavesPerEU: 1
; AccumOffset: 4
; Occupancy: 8
; WaveLimiterHint : 0
; COMPUTE_PGM_RSRC2:SCRATCH_EN: 0
; COMPUTE_PGM_RSRC2:USER_SGPR: 2
; COMPUTE_PGM_RSRC2:TRAP_HANDLER: 0
; COMPUTE_PGM_RSRC2:TGID_X_EN: 1
; COMPUTE_PGM_RSRC2:TGID_Y_EN: 0
; COMPUTE_PGM_RSRC2:TGID_Z_EN: 0
; COMPUTE_PGM_RSRC2:TIDIG_COMP_CNT: 0
; COMPUTE_PGM_RSRC3_GFX90A:ACCUM_OFFSET: 0
; COMPUTE_PGM_RSRC3_GFX90A:TG_SPLIT: 0
	.section	.text._ZN7rocprim17ROCPRIM_400000_NS6detail17trampoline_kernelINS0_14default_configENS1_25partition_config_selectorILNS1_17partition_subalgoE0EiNS0_10empty_typeEbEEZZNS1_14partition_implILS5_0ELb0ES3_jN6thrust23THRUST_200600_302600_NS6detail15normal_iteratorINSA_10device_ptrIiEEEEPS6_SG_NS0_5tupleIJSF_SF_EEENSH_IJSG_SG_EEES6_PlJ7is_evenIiEEEE10hipError_tPvRmT3_T4_T5_T6_T7_T9_mT8_P12ihipStream_tbDpT10_ENKUlT_T0_E_clISt17integral_constantIbLb0EES16_EEDaS11_S12_EUlS11_E_NS1_11comp_targetILNS1_3genE9ELNS1_11target_archE1100ELNS1_3gpuE3ELNS1_3repE0EEENS1_30default_config_static_selectorELNS0_4arch9wavefront6targetE1EEEvT1_,"axG",@progbits,_ZN7rocprim17ROCPRIM_400000_NS6detail17trampoline_kernelINS0_14default_configENS1_25partition_config_selectorILNS1_17partition_subalgoE0EiNS0_10empty_typeEbEEZZNS1_14partition_implILS5_0ELb0ES3_jN6thrust23THRUST_200600_302600_NS6detail15normal_iteratorINSA_10device_ptrIiEEEEPS6_SG_NS0_5tupleIJSF_SF_EEENSH_IJSG_SG_EEES6_PlJ7is_evenIiEEEE10hipError_tPvRmT3_T4_T5_T6_T7_T9_mT8_P12ihipStream_tbDpT10_ENKUlT_T0_E_clISt17integral_constantIbLb0EES16_EEDaS11_S12_EUlS11_E_NS1_11comp_targetILNS1_3genE9ELNS1_11target_archE1100ELNS1_3gpuE3ELNS1_3repE0EEENS1_30default_config_static_selectorELNS0_4arch9wavefront6targetE1EEEvT1_,comdat
	.protected	_ZN7rocprim17ROCPRIM_400000_NS6detail17trampoline_kernelINS0_14default_configENS1_25partition_config_selectorILNS1_17partition_subalgoE0EiNS0_10empty_typeEbEEZZNS1_14partition_implILS5_0ELb0ES3_jN6thrust23THRUST_200600_302600_NS6detail15normal_iteratorINSA_10device_ptrIiEEEEPS6_SG_NS0_5tupleIJSF_SF_EEENSH_IJSG_SG_EEES6_PlJ7is_evenIiEEEE10hipError_tPvRmT3_T4_T5_T6_T7_T9_mT8_P12ihipStream_tbDpT10_ENKUlT_T0_E_clISt17integral_constantIbLb0EES16_EEDaS11_S12_EUlS11_E_NS1_11comp_targetILNS1_3genE9ELNS1_11target_archE1100ELNS1_3gpuE3ELNS1_3repE0EEENS1_30default_config_static_selectorELNS0_4arch9wavefront6targetE1EEEvT1_ ; -- Begin function _ZN7rocprim17ROCPRIM_400000_NS6detail17trampoline_kernelINS0_14default_configENS1_25partition_config_selectorILNS1_17partition_subalgoE0EiNS0_10empty_typeEbEEZZNS1_14partition_implILS5_0ELb0ES3_jN6thrust23THRUST_200600_302600_NS6detail15normal_iteratorINSA_10device_ptrIiEEEEPS6_SG_NS0_5tupleIJSF_SF_EEENSH_IJSG_SG_EEES6_PlJ7is_evenIiEEEE10hipError_tPvRmT3_T4_T5_T6_T7_T9_mT8_P12ihipStream_tbDpT10_ENKUlT_T0_E_clISt17integral_constantIbLb0EES16_EEDaS11_S12_EUlS11_E_NS1_11comp_targetILNS1_3genE9ELNS1_11target_archE1100ELNS1_3gpuE3ELNS1_3repE0EEENS1_30default_config_static_selectorELNS0_4arch9wavefront6targetE1EEEvT1_
	.globl	_ZN7rocprim17ROCPRIM_400000_NS6detail17trampoline_kernelINS0_14default_configENS1_25partition_config_selectorILNS1_17partition_subalgoE0EiNS0_10empty_typeEbEEZZNS1_14partition_implILS5_0ELb0ES3_jN6thrust23THRUST_200600_302600_NS6detail15normal_iteratorINSA_10device_ptrIiEEEEPS6_SG_NS0_5tupleIJSF_SF_EEENSH_IJSG_SG_EEES6_PlJ7is_evenIiEEEE10hipError_tPvRmT3_T4_T5_T6_T7_T9_mT8_P12ihipStream_tbDpT10_ENKUlT_T0_E_clISt17integral_constantIbLb0EES16_EEDaS11_S12_EUlS11_E_NS1_11comp_targetILNS1_3genE9ELNS1_11target_archE1100ELNS1_3gpuE3ELNS1_3repE0EEENS1_30default_config_static_selectorELNS0_4arch9wavefront6targetE1EEEvT1_
	.p2align	8
	.type	_ZN7rocprim17ROCPRIM_400000_NS6detail17trampoline_kernelINS0_14default_configENS1_25partition_config_selectorILNS1_17partition_subalgoE0EiNS0_10empty_typeEbEEZZNS1_14partition_implILS5_0ELb0ES3_jN6thrust23THRUST_200600_302600_NS6detail15normal_iteratorINSA_10device_ptrIiEEEEPS6_SG_NS0_5tupleIJSF_SF_EEENSH_IJSG_SG_EEES6_PlJ7is_evenIiEEEE10hipError_tPvRmT3_T4_T5_T6_T7_T9_mT8_P12ihipStream_tbDpT10_ENKUlT_T0_E_clISt17integral_constantIbLb0EES16_EEDaS11_S12_EUlS11_E_NS1_11comp_targetILNS1_3genE9ELNS1_11target_archE1100ELNS1_3gpuE3ELNS1_3repE0EEENS1_30default_config_static_selectorELNS0_4arch9wavefront6targetE1EEEvT1_,@function
_ZN7rocprim17ROCPRIM_400000_NS6detail17trampoline_kernelINS0_14default_configENS1_25partition_config_selectorILNS1_17partition_subalgoE0EiNS0_10empty_typeEbEEZZNS1_14partition_implILS5_0ELb0ES3_jN6thrust23THRUST_200600_302600_NS6detail15normal_iteratorINSA_10device_ptrIiEEEEPS6_SG_NS0_5tupleIJSF_SF_EEENSH_IJSG_SG_EEES6_PlJ7is_evenIiEEEE10hipError_tPvRmT3_T4_T5_T6_T7_T9_mT8_P12ihipStream_tbDpT10_ENKUlT_T0_E_clISt17integral_constantIbLb0EES16_EEDaS11_S12_EUlS11_E_NS1_11comp_targetILNS1_3genE9ELNS1_11target_archE1100ELNS1_3gpuE3ELNS1_3repE0EEENS1_30default_config_static_selectorELNS0_4arch9wavefront6targetE1EEEvT1_: ; @_ZN7rocprim17ROCPRIM_400000_NS6detail17trampoline_kernelINS0_14default_configENS1_25partition_config_selectorILNS1_17partition_subalgoE0EiNS0_10empty_typeEbEEZZNS1_14partition_implILS5_0ELb0ES3_jN6thrust23THRUST_200600_302600_NS6detail15normal_iteratorINSA_10device_ptrIiEEEEPS6_SG_NS0_5tupleIJSF_SF_EEENSH_IJSG_SG_EEES6_PlJ7is_evenIiEEEE10hipError_tPvRmT3_T4_T5_T6_T7_T9_mT8_P12ihipStream_tbDpT10_ENKUlT_T0_E_clISt17integral_constantIbLb0EES16_EEDaS11_S12_EUlS11_E_NS1_11comp_targetILNS1_3genE9ELNS1_11target_archE1100ELNS1_3gpuE3ELNS1_3repE0EEENS1_30default_config_static_selectorELNS0_4arch9wavefront6targetE1EEEvT1_
; %bb.0:
	.section	.rodata,"a",@progbits
	.p2align	6, 0x0
	.amdhsa_kernel _ZN7rocprim17ROCPRIM_400000_NS6detail17trampoline_kernelINS0_14default_configENS1_25partition_config_selectorILNS1_17partition_subalgoE0EiNS0_10empty_typeEbEEZZNS1_14partition_implILS5_0ELb0ES3_jN6thrust23THRUST_200600_302600_NS6detail15normal_iteratorINSA_10device_ptrIiEEEEPS6_SG_NS0_5tupleIJSF_SF_EEENSH_IJSG_SG_EEES6_PlJ7is_evenIiEEEE10hipError_tPvRmT3_T4_T5_T6_T7_T9_mT8_P12ihipStream_tbDpT10_ENKUlT_T0_E_clISt17integral_constantIbLb0EES16_EEDaS11_S12_EUlS11_E_NS1_11comp_targetILNS1_3genE9ELNS1_11target_archE1100ELNS1_3gpuE3ELNS1_3repE0EEENS1_30default_config_static_selectorELNS0_4arch9wavefront6targetE1EEEvT1_
		.amdhsa_group_segment_fixed_size 0
		.amdhsa_private_segment_fixed_size 0
		.amdhsa_kernarg_size 120
		.amdhsa_user_sgpr_count 2
		.amdhsa_user_sgpr_dispatch_ptr 0
		.amdhsa_user_sgpr_queue_ptr 0
		.amdhsa_user_sgpr_kernarg_segment_ptr 1
		.amdhsa_user_sgpr_dispatch_id 0
		.amdhsa_user_sgpr_kernarg_preload_length 0
		.amdhsa_user_sgpr_kernarg_preload_offset 0
		.amdhsa_user_sgpr_private_segment_size 0
		.amdhsa_uses_dynamic_stack 0
		.amdhsa_enable_private_segment 0
		.amdhsa_system_sgpr_workgroup_id_x 1
		.amdhsa_system_sgpr_workgroup_id_y 0
		.amdhsa_system_sgpr_workgroup_id_z 0
		.amdhsa_system_sgpr_workgroup_info 0
		.amdhsa_system_vgpr_workitem_id 0
		.amdhsa_next_free_vgpr 1
		.amdhsa_next_free_sgpr 0
		.amdhsa_accum_offset 4
		.amdhsa_reserve_vcc 0
		.amdhsa_float_round_mode_32 0
		.amdhsa_float_round_mode_16_64 0
		.amdhsa_float_denorm_mode_32 3
		.amdhsa_float_denorm_mode_16_64 3
		.amdhsa_dx10_clamp 1
		.amdhsa_ieee_mode 1
		.amdhsa_fp16_overflow 0
		.amdhsa_tg_split 0
		.amdhsa_exception_fp_ieee_invalid_op 0
		.amdhsa_exception_fp_denorm_src 0
		.amdhsa_exception_fp_ieee_div_zero 0
		.amdhsa_exception_fp_ieee_overflow 0
		.amdhsa_exception_fp_ieee_underflow 0
		.amdhsa_exception_fp_ieee_inexact 0
		.amdhsa_exception_int_div_zero 0
	.end_amdhsa_kernel
	.section	.text._ZN7rocprim17ROCPRIM_400000_NS6detail17trampoline_kernelINS0_14default_configENS1_25partition_config_selectorILNS1_17partition_subalgoE0EiNS0_10empty_typeEbEEZZNS1_14partition_implILS5_0ELb0ES3_jN6thrust23THRUST_200600_302600_NS6detail15normal_iteratorINSA_10device_ptrIiEEEEPS6_SG_NS0_5tupleIJSF_SF_EEENSH_IJSG_SG_EEES6_PlJ7is_evenIiEEEE10hipError_tPvRmT3_T4_T5_T6_T7_T9_mT8_P12ihipStream_tbDpT10_ENKUlT_T0_E_clISt17integral_constantIbLb0EES16_EEDaS11_S12_EUlS11_E_NS1_11comp_targetILNS1_3genE9ELNS1_11target_archE1100ELNS1_3gpuE3ELNS1_3repE0EEENS1_30default_config_static_selectorELNS0_4arch9wavefront6targetE1EEEvT1_,"axG",@progbits,_ZN7rocprim17ROCPRIM_400000_NS6detail17trampoline_kernelINS0_14default_configENS1_25partition_config_selectorILNS1_17partition_subalgoE0EiNS0_10empty_typeEbEEZZNS1_14partition_implILS5_0ELb0ES3_jN6thrust23THRUST_200600_302600_NS6detail15normal_iteratorINSA_10device_ptrIiEEEEPS6_SG_NS0_5tupleIJSF_SF_EEENSH_IJSG_SG_EEES6_PlJ7is_evenIiEEEE10hipError_tPvRmT3_T4_T5_T6_T7_T9_mT8_P12ihipStream_tbDpT10_ENKUlT_T0_E_clISt17integral_constantIbLb0EES16_EEDaS11_S12_EUlS11_E_NS1_11comp_targetILNS1_3genE9ELNS1_11target_archE1100ELNS1_3gpuE3ELNS1_3repE0EEENS1_30default_config_static_selectorELNS0_4arch9wavefront6targetE1EEEvT1_,comdat
.Lfunc_end327:
	.size	_ZN7rocprim17ROCPRIM_400000_NS6detail17trampoline_kernelINS0_14default_configENS1_25partition_config_selectorILNS1_17partition_subalgoE0EiNS0_10empty_typeEbEEZZNS1_14partition_implILS5_0ELb0ES3_jN6thrust23THRUST_200600_302600_NS6detail15normal_iteratorINSA_10device_ptrIiEEEEPS6_SG_NS0_5tupleIJSF_SF_EEENSH_IJSG_SG_EEES6_PlJ7is_evenIiEEEE10hipError_tPvRmT3_T4_T5_T6_T7_T9_mT8_P12ihipStream_tbDpT10_ENKUlT_T0_E_clISt17integral_constantIbLb0EES16_EEDaS11_S12_EUlS11_E_NS1_11comp_targetILNS1_3genE9ELNS1_11target_archE1100ELNS1_3gpuE3ELNS1_3repE0EEENS1_30default_config_static_selectorELNS0_4arch9wavefront6targetE1EEEvT1_, .Lfunc_end327-_ZN7rocprim17ROCPRIM_400000_NS6detail17trampoline_kernelINS0_14default_configENS1_25partition_config_selectorILNS1_17partition_subalgoE0EiNS0_10empty_typeEbEEZZNS1_14partition_implILS5_0ELb0ES3_jN6thrust23THRUST_200600_302600_NS6detail15normal_iteratorINSA_10device_ptrIiEEEEPS6_SG_NS0_5tupleIJSF_SF_EEENSH_IJSG_SG_EEES6_PlJ7is_evenIiEEEE10hipError_tPvRmT3_T4_T5_T6_T7_T9_mT8_P12ihipStream_tbDpT10_ENKUlT_T0_E_clISt17integral_constantIbLb0EES16_EEDaS11_S12_EUlS11_E_NS1_11comp_targetILNS1_3genE9ELNS1_11target_archE1100ELNS1_3gpuE3ELNS1_3repE0EEENS1_30default_config_static_selectorELNS0_4arch9wavefront6targetE1EEEvT1_
                                        ; -- End function
	.section	.AMDGPU.csdata,"",@progbits
; Kernel info:
; codeLenInByte = 0
; NumSgprs: 6
; NumVgprs: 0
; NumAgprs: 0
; TotalNumVgprs: 0
; ScratchSize: 0
; MemoryBound: 0
; FloatMode: 240
; IeeeMode: 1
; LDSByteSize: 0 bytes/workgroup (compile time only)
; SGPRBlocks: 0
; VGPRBlocks: 0
; NumSGPRsForWavesPerEU: 6
; NumVGPRsForWavesPerEU: 1
; AccumOffset: 4
; Occupancy: 8
; WaveLimiterHint : 0
; COMPUTE_PGM_RSRC2:SCRATCH_EN: 0
; COMPUTE_PGM_RSRC2:USER_SGPR: 2
; COMPUTE_PGM_RSRC2:TRAP_HANDLER: 0
; COMPUTE_PGM_RSRC2:TGID_X_EN: 1
; COMPUTE_PGM_RSRC2:TGID_Y_EN: 0
; COMPUTE_PGM_RSRC2:TGID_Z_EN: 0
; COMPUTE_PGM_RSRC2:TIDIG_COMP_CNT: 0
; COMPUTE_PGM_RSRC3_GFX90A:ACCUM_OFFSET: 0
; COMPUTE_PGM_RSRC3_GFX90A:TG_SPLIT: 0
	.section	.text._ZN7rocprim17ROCPRIM_400000_NS6detail17trampoline_kernelINS0_14default_configENS1_25partition_config_selectorILNS1_17partition_subalgoE0EiNS0_10empty_typeEbEEZZNS1_14partition_implILS5_0ELb0ES3_jN6thrust23THRUST_200600_302600_NS6detail15normal_iteratorINSA_10device_ptrIiEEEEPS6_SG_NS0_5tupleIJSF_SF_EEENSH_IJSG_SG_EEES6_PlJ7is_evenIiEEEE10hipError_tPvRmT3_T4_T5_T6_T7_T9_mT8_P12ihipStream_tbDpT10_ENKUlT_T0_E_clISt17integral_constantIbLb0EES16_EEDaS11_S12_EUlS11_E_NS1_11comp_targetILNS1_3genE8ELNS1_11target_archE1030ELNS1_3gpuE2ELNS1_3repE0EEENS1_30default_config_static_selectorELNS0_4arch9wavefront6targetE1EEEvT1_,"axG",@progbits,_ZN7rocprim17ROCPRIM_400000_NS6detail17trampoline_kernelINS0_14default_configENS1_25partition_config_selectorILNS1_17partition_subalgoE0EiNS0_10empty_typeEbEEZZNS1_14partition_implILS5_0ELb0ES3_jN6thrust23THRUST_200600_302600_NS6detail15normal_iteratorINSA_10device_ptrIiEEEEPS6_SG_NS0_5tupleIJSF_SF_EEENSH_IJSG_SG_EEES6_PlJ7is_evenIiEEEE10hipError_tPvRmT3_T4_T5_T6_T7_T9_mT8_P12ihipStream_tbDpT10_ENKUlT_T0_E_clISt17integral_constantIbLb0EES16_EEDaS11_S12_EUlS11_E_NS1_11comp_targetILNS1_3genE8ELNS1_11target_archE1030ELNS1_3gpuE2ELNS1_3repE0EEENS1_30default_config_static_selectorELNS0_4arch9wavefront6targetE1EEEvT1_,comdat
	.protected	_ZN7rocprim17ROCPRIM_400000_NS6detail17trampoline_kernelINS0_14default_configENS1_25partition_config_selectorILNS1_17partition_subalgoE0EiNS0_10empty_typeEbEEZZNS1_14partition_implILS5_0ELb0ES3_jN6thrust23THRUST_200600_302600_NS6detail15normal_iteratorINSA_10device_ptrIiEEEEPS6_SG_NS0_5tupleIJSF_SF_EEENSH_IJSG_SG_EEES6_PlJ7is_evenIiEEEE10hipError_tPvRmT3_T4_T5_T6_T7_T9_mT8_P12ihipStream_tbDpT10_ENKUlT_T0_E_clISt17integral_constantIbLb0EES16_EEDaS11_S12_EUlS11_E_NS1_11comp_targetILNS1_3genE8ELNS1_11target_archE1030ELNS1_3gpuE2ELNS1_3repE0EEENS1_30default_config_static_selectorELNS0_4arch9wavefront6targetE1EEEvT1_ ; -- Begin function _ZN7rocprim17ROCPRIM_400000_NS6detail17trampoline_kernelINS0_14default_configENS1_25partition_config_selectorILNS1_17partition_subalgoE0EiNS0_10empty_typeEbEEZZNS1_14partition_implILS5_0ELb0ES3_jN6thrust23THRUST_200600_302600_NS6detail15normal_iteratorINSA_10device_ptrIiEEEEPS6_SG_NS0_5tupleIJSF_SF_EEENSH_IJSG_SG_EEES6_PlJ7is_evenIiEEEE10hipError_tPvRmT3_T4_T5_T6_T7_T9_mT8_P12ihipStream_tbDpT10_ENKUlT_T0_E_clISt17integral_constantIbLb0EES16_EEDaS11_S12_EUlS11_E_NS1_11comp_targetILNS1_3genE8ELNS1_11target_archE1030ELNS1_3gpuE2ELNS1_3repE0EEENS1_30default_config_static_selectorELNS0_4arch9wavefront6targetE1EEEvT1_
	.globl	_ZN7rocprim17ROCPRIM_400000_NS6detail17trampoline_kernelINS0_14default_configENS1_25partition_config_selectorILNS1_17partition_subalgoE0EiNS0_10empty_typeEbEEZZNS1_14partition_implILS5_0ELb0ES3_jN6thrust23THRUST_200600_302600_NS6detail15normal_iteratorINSA_10device_ptrIiEEEEPS6_SG_NS0_5tupleIJSF_SF_EEENSH_IJSG_SG_EEES6_PlJ7is_evenIiEEEE10hipError_tPvRmT3_T4_T5_T6_T7_T9_mT8_P12ihipStream_tbDpT10_ENKUlT_T0_E_clISt17integral_constantIbLb0EES16_EEDaS11_S12_EUlS11_E_NS1_11comp_targetILNS1_3genE8ELNS1_11target_archE1030ELNS1_3gpuE2ELNS1_3repE0EEENS1_30default_config_static_selectorELNS0_4arch9wavefront6targetE1EEEvT1_
	.p2align	8
	.type	_ZN7rocprim17ROCPRIM_400000_NS6detail17trampoline_kernelINS0_14default_configENS1_25partition_config_selectorILNS1_17partition_subalgoE0EiNS0_10empty_typeEbEEZZNS1_14partition_implILS5_0ELb0ES3_jN6thrust23THRUST_200600_302600_NS6detail15normal_iteratorINSA_10device_ptrIiEEEEPS6_SG_NS0_5tupleIJSF_SF_EEENSH_IJSG_SG_EEES6_PlJ7is_evenIiEEEE10hipError_tPvRmT3_T4_T5_T6_T7_T9_mT8_P12ihipStream_tbDpT10_ENKUlT_T0_E_clISt17integral_constantIbLb0EES16_EEDaS11_S12_EUlS11_E_NS1_11comp_targetILNS1_3genE8ELNS1_11target_archE1030ELNS1_3gpuE2ELNS1_3repE0EEENS1_30default_config_static_selectorELNS0_4arch9wavefront6targetE1EEEvT1_,@function
_ZN7rocprim17ROCPRIM_400000_NS6detail17trampoline_kernelINS0_14default_configENS1_25partition_config_selectorILNS1_17partition_subalgoE0EiNS0_10empty_typeEbEEZZNS1_14partition_implILS5_0ELb0ES3_jN6thrust23THRUST_200600_302600_NS6detail15normal_iteratorINSA_10device_ptrIiEEEEPS6_SG_NS0_5tupleIJSF_SF_EEENSH_IJSG_SG_EEES6_PlJ7is_evenIiEEEE10hipError_tPvRmT3_T4_T5_T6_T7_T9_mT8_P12ihipStream_tbDpT10_ENKUlT_T0_E_clISt17integral_constantIbLb0EES16_EEDaS11_S12_EUlS11_E_NS1_11comp_targetILNS1_3genE8ELNS1_11target_archE1030ELNS1_3gpuE2ELNS1_3repE0EEENS1_30default_config_static_selectorELNS0_4arch9wavefront6targetE1EEEvT1_: ; @_ZN7rocprim17ROCPRIM_400000_NS6detail17trampoline_kernelINS0_14default_configENS1_25partition_config_selectorILNS1_17partition_subalgoE0EiNS0_10empty_typeEbEEZZNS1_14partition_implILS5_0ELb0ES3_jN6thrust23THRUST_200600_302600_NS6detail15normal_iteratorINSA_10device_ptrIiEEEEPS6_SG_NS0_5tupleIJSF_SF_EEENSH_IJSG_SG_EEES6_PlJ7is_evenIiEEEE10hipError_tPvRmT3_T4_T5_T6_T7_T9_mT8_P12ihipStream_tbDpT10_ENKUlT_T0_E_clISt17integral_constantIbLb0EES16_EEDaS11_S12_EUlS11_E_NS1_11comp_targetILNS1_3genE8ELNS1_11target_archE1030ELNS1_3gpuE2ELNS1_3repE0EEENS1_30default_config_static_selectorELNS0_4arch9wavefront6targetE1EEEvT1_
; %bb.0:
	.section	.rodata,"a",@progbits
	.p2align	6, 0x0
	.amdhsa_kernel _ZN7rocprim17ROCPRIM_400000_NS6detail17trampoline_kernelINS0_14default_configENS1_25partition_config_selectorILNS1_17partition_subalgoE0EiNS0_10empty_typeEbEEZZNS1_14partition_implILS5_0ELb0ES3_jN6thrust23THRUST_200600_302600_NS6detail15normal_iteratorINSA_10device_ptrIiEEEEPS6_SG_NS0_5tupleIJSF_SF_EEENSH_IJSG_SG_EEES6_PlJ7is_evenIiEEEE10hipError_tPvRmT3_T4_T5_T6_T7_T9_mT8_P12ihipStream_tbDpT10_ENKUlT_T0_E_clISt17integral_constantIbLb0EES16_EEDaS11_S12_EUlS11_E_NS1_11comp_targetILNS1_3genE8ELNS1_11target_archE1030ELNS1_3gpuE2ELNS1_3repE0EEENS1_30default_config_static_selectorELNS0_4arch9wavefront6targetE1EEEvT1_
		.amdhsa_group_segment_fixed_size 0
		.amdhsa_private_segment_fixed_size 0
		.amdhsa_kernarg_size 120
		.amdhsa_user_sgpr_count 2
		.amdhsa_user_sgpr_dispatch_ptr 0
		.amdhsa_user_sgpr_queue_ptr 0
		.amdhsa_user_sgpr_kernarg_segment_ptr 1
		.amdhsa_user_sgpr_dispatch_id 0
		.amdhsa_user_sgpr_kernarg_preload_length 0
		.amdhsa_user_sgpr_kernarg_preload_offset 0
		.amdhsa_user_sgpr_private_segment_size 0
		.amdhsa_uses_dynamic_stack 0
		.amdhsa_enable_private_segment 0
		.amdhsa_system_sgpr_workgroup_id_x 1
		.amdhsa_system_sgpr_workgroup_id_y 0
		.amdhsa_system_sgpr_workgroup_id_z 0
		.amdhsa_system_sgpr_workgroup_info 0
		.amdhsa_system_vgpr_workitem_id 0
		.amdhsa_next_free_vgpr 1
		.amdhsa_next_free_sgpr 0
		.amdhsa_accum_offset 4
		.amdhsa_reserve_vcc 0
		.amdhsa_float_round_mode_32 0
		.amdhsa_float_round_mode_16_64 0
		.amdhsa_float_denorm_mode_32 3
		.amdhsa_float_denorm_mode_16_64 3
		.amdhsa_dx10_clamp 1
		.amdhsa_ieee_mode 1
		.amdhsa_fp16_overflow 0
		.amdhsa_tg_split 0
		.amdhsa_exception_fp_ieee_invalid_op 0
		.amdhsa_exception_fp_denorm_src 0
		.amdhsa_exception_fp_ieee_div_zero 0
		.amdhsa_exception_fp_ieee_overflow 0
		.amdhsa_exception_fp_ieee_underflow 0
		.amdhsa_exception_fp_ieee_inexact 0
		.amdhsa_exception_int_div_zero 0
	.end_amdhsa_kernel
	.section	.text._ZN7rocprim17ROCPRIM_400000_NS6detail17trampoline_kernelINS0_14default_configENS1_25partition_config_selectorILNS1_17partition_subalgoE0EiNS0_10empty_typeEbEEZZNS1_14partition_implILS5_0ELb0ES3_jN6thrust23THRUST_200600_302600_NS6detail15normal_iteratorINSA_10device_ptrIiEEEEPS6_SG_NS0_5tupleIJSF_SF_EEENSH_IJSG_SG_EEES6_PlJ7is_evenIiEEEE10hipError_tPvRmT3_T4_T5_T6_T7_T9_mT8_P12ihipStream_tbDpT10_ENKUlT_T0_E_clISt17integral_constantIbLb0EES16_EEDaS11_S12_EUlS11_E_NS1_11comp_targetILNS1_3genE8ELNS1_11target_archE1030ELNS1_3gpuE2ELNS1_3repE0EEENS1_30default_config_static_selectorELNS0_4arch9wavefront6targetE1EEEvT1_,"axG",@progbits,_ZN7rocprim17ROCPRIM_400000_NS6detail17trampoline_kernelINS0_14default_configENS1_25partition_config_selectorILNS1_17partition_subalgoE0EiNS0_10empty_typeEbEEZZNS1_14partition_implILS5_0ELb0ES3_jN6thrust23THRUST_200600_302600_NS6detail15normal_iteratorINSA_10device_ptrIiEEEEPS6_SG_NS0_5tupleIJSF_SF_EEENSH_IJSG_SG_EEES6_PlJ7is_evenIiEEEE10hipError_tPvRmT3_T4_T5_T6_T7_T9_mT8_P12ihipStream_tbDpT10_ENKUlT_T0_E_clISt17integral_constantIbLb0EES16_EEDaS11_S12_EUlS11_E_NS1_11comp_targetILNS1_3genE8ELNS1_11target_archE1030ELNS1_3gpuE2ELNS1_3repE0EEENS1_30default_config_static_selectorELNS0_4arch9wavefront6targetE1EEEvT1_,comdat
.Lfunc_end328:
	.size	_ZN7rocprim17ROCPRIM_400000_NS6detail17trampoline_kernelINS0_14default_configENS1_25partition_config_selectorILNS1_17partition_subalgoE0EiNS0_10empty_typeEbEEZZNS1_14partition_implILS5_0ELb0ES3_jN6thrust23THRUST_200600_302600_NS6detail15normal_iteratorINSA_10device_ptrIiEEEEPS6_SG_NS0_5tupleIJSF_SF_EEENSH_IJSG_SG_EEES6_PlJ7is_evenIiEEEE10hipError_tPvRmT3_T4_T5_T6_T7_T9_mT8_P12ihipStream_tbDpT10_ENKUlT_T0_E_clISt17integral_constantIbLb0EES16_EEDaS11_S12_EUlS11_E_NS1_11comp_targetILNS1_3genE8ELNS1_11target_archE1030ELNS1_3gpuE2ELNS1_3repE0EEENS1_30default_config_static_selectorELNS0_4arch9wavefront6targetE1EEEvT1_, .Lfunc_end328-_ZN7rocprim17ROCPRIM_400000_NS6detail17trampoline_kernelINS0_14default_configENS1_25partition_config_selectorILNS1_17partition_subalgoE0EiNS0_10empty_typeEbEEZZNS1_14partition_implILS5_0ELb0ES3_jN6thrust23THRUST_200600_302600_NS6detail15normal_iteratorINSA_10device_ptrIiEEEEPS6_SG_NS0_5tupleIJSF_SF_EEENSH_IJSG_SG_EEES6_PlJ7is_evenIiEEEE10hipError_tPvRmT3_T4_T5_T6_T7_T9_mT8_P12ihipStream_tbDpT10_ENKUlT_T0_E_clISt17integral_constantIbLb0EES16_EEDaS11_S12_EUlS11_E_NS1_11comp_targetILNS1_3genE8ELNS1_11target_archE1030ELNS1_3gpuE2ELNS1_3repE0EEENS1_30default_config_static_selectorELNS0_4arch9wavefront6targetE1EEEvT1_
                                        ; -- End function
	.section	.AMDGPU.csdata,"",@progbits
; Kernel info:
; codeLenInByte = 0
; NumSgprs: 6
; NumVgprs: 0
; NumAgprs: 0
; TotalNumVgprs: 0
; ScratchSize: 0
; MemoryBound: 0
; FloatMode: 240
; IeeeMode: 1
; LDSByteSize: 0 bytes/workgroup (compile time only)
; SGPRBlocks: 0
; VGPRBlocks: 0
; NumSGPRsForWavesPerEU: 6
; NumVGPRsForWavesPerEU: 1
; AccumOffset: 4
; Occupancy: 8
; WaveLimiterHint : 0
; COMPUTE_PGM_RSRC2:SCRATCH_EN: 0
; COMPUTE_PGM_RSRC2:USER_SGPR: 2
; COMPUTE_PGM_RSRC2:TRAP_HANDLER: 0
; COMPUTE_PGM_RSRC2:TGID_X_EN: 1
; COMPUTE_PGM_RSRC2:TGID_Y_EN: 0
; COMPUTE_PGM_RSRC2:TGID_Z_EN: 0
; COMPUTE_PGM_RSRC2:TIDIG_COMP_CNT: 0
; COMPUTE_PGM_RSRC3_GFX90A:ACCUM_OFFSET: 0
; COMPUTE_PGM_RSRC3_GFX90A:TG_SPLIT: 0
	.section	.text._ZN7rocprim17ROCPRIM_400000_NS6detail17trampoline_kernelINS0_14default_configENS1_25partition_config_selectorILNS1_17partition_subalgoE0EiNS0_10empty_typeEbEEZZNS1_14partition_implILS5_0ELb0ES3_jN6thrust23THRUST_200600_302600_NS6detail15normal_iteratorINSA_10device_ptrIiEEEEPS6_SG_NS0_5tupleIJSF_SF_EEENSH_IJSG_SG_EEES6_PlJ7is_evenIiEEEE10hipError_tPvRmT3_T4_T5_T6_T7_T9_mT8_P12ihipStream_tbDpT10_ENKUlT_T0_E_clISt17integral_constantIbLb1EES16_EEDaS11_S12_EUlS11_E_NS1_11comp_targetILNS1_3genE0ELNS1_11target_archE4294967295ELNS1_3gpuE0ELNS1_3repE0EEENS1_30default_config_static_selectorELNS0_4arch9wavefront6targetE1EEEvT1_,"axG",@progbits,_ZN7rocprim17ROCPRIM_400000_NS6detail17trampoline_kernelINS0_14default_configENS1_25partition_config_selectorILNS1_17partition_subalgoE0EiNS0_10empty_typeEbEEZZNS1_14partition_implILS5_0ELb0ES3_jN6thrust23THRUST_200600_302600_NS6detail15normal_iteratorINSA_10device_ptrIiEEEEPS6_SG_NS0_5tupleIJSF_SF_EEENSH_IJSG_SG_EEES6_PlJ7is_evenIiEEEE10hipError_tPvRmT3_T4_T5_T6_T7_T9_mT8_P12ihipStream_tbDpT10_ENKUlT_T0_E_clISt17integral_constantIbLb1EES16_EEDaS11_S12_EUlS11_E_NS1_11comp_targetILNS1_3genE0ELNS1_11target_archE4294967295ELNS1_3gpuE0ELNS1_3repE0EEENS1_30default_config_static_selectorELNS0_4arch9wavefront6targetE1EEEvT1_,comdat
	.protected	_ZN7rocprim17ROCPRIM_400000_NS6detail17trampoline_kernelINS0_14default_configENS1_25partition_config_selectorILNS1_17partition_subalgoE0EiNS0_10empty_typeEbEEZZNS1_14partition_implILS5_0ELb0ES3_jN6thrust23THRUST_200600_302600_NS6detail15normal_iteratorINSA_10device_ptrIiEEEEPS6_SG_NS0_5tupleIJSF_SF_EEENSH_IJSG_SG_EEES6_PlJ7is_evenIiEEEE10hipError_tPvRmT3_T4_T5_T6_T7_T9_mT8_P12ihipStream_tbDpT10_ENKUlT_T0_E_clISt17integral_constantIbLb1EES16_EEDaS11_S12_EUlS11_E_NS1_11comp_targetILNS1_3genE0ELNS1_11target_archE4294967295ELNS1_3gpuE0ELNS1_3repE0EEENS1_30default_config_static_selectorELNS0_4arch9wavefront6targetE1EEEvT1_ ; -- Begin function _ZN7rocprim17ROCPRIM_400000_NS6detail17trampoline_kernelINS0_14default_configENS1_25partition_config_selectorILNS1_17partition_subalgoE0EiNS0_10empty_typeEbEEZZNS1_14partition_implILS5_0ELb0ES3_jN6thrust23THRUST_200600_302600_NS6detail15normal_iteratorINSA_10device_ptrIiEEEEPS6_SG_NS0_5tupleIJSF_SF_EEENSH_IJSG_SG_EEES6_PlJ7is_evenIiEEEE10hipError_tPvRmT3_T4_T5_T6_T7_T9_mT8_P12ihipStream_tbDpT10_ENKUlT_T0_E_clISt17integral_constantIbLb1EES16_EEDaS11_S12_EUlS11_E_NS1_11comp_targetILNS1_3genE0ELNS1_11target_archE4294967295ELNS1_3gpuE0ELNS1_3repE0EEENS1_30default_config_static_selectorELNS0_4arch9wavefront6targetE1EEEvT1_
	.globl	_ZN7rocprim17ROCPRIM_400000_NS6detail17trampoline_kernelINS0_14default_configENS1_25partition_config_selectorILNS1_17partition_subalgoE0EiNS0_10empty_typeEbEEZZNS1_14partition_implILS5_0ELb0ES3_jN6thrust23THRUST_200600_302600_NS6detail15normal_iteratorINSA_10device_ptrIiEEEEPS6_SG_NS0_5tupleIJSF_SF_EEENSH_IJSG_SG_EEES6_PlJ7is_evenIiEEEE10hipError_tPvRmT3_T4_T5_T6_T7_T9_mT8_P12ihipStream_tbDpT10_ENKUlT_T0_E_clISt17integral_constantIbLb1EES16_EEDaS11_S12_EUlS11_E_NS1_11comp_targetILNS1_3genE0ELNS1_11target_archE4294967295ELNS1_3gpuE0ELNS1_3repE0EEENS1_30default_config_static_selectorELNS0_4arch9wavefront6targetE1EEEvT1_
	.p2align	8
	.type	_ZN7rocprim17ROCPRIM_400000_NS6detail17trampoline_kernelINS0_14default_configENS1_25partition_config_selectorILNS1_17partition_subalgoE0EiNS0_10empty_typeEbEEZZNS1_14partition_implILS5_0ELb0ES3_jN6thrust23THRUST_200600_302600_NS6detail15normal_iteratorINSA_10device_ptrIiEEEEPS6_SG_NS0_5tupleIJSF_SF_EEENSH_IJSG_SG_EEES6_PlJ7is_evenIiEEEE10hipError_tPvRmT3_T4_T5_T6_T7_T9_mT8_P12ihipStream_tbDpT10_ENKUlT_T0_E_clISt17integral_constantIbLb1EES16_EEDaS11_S12_EUlS11_E_NS1_11comp_targetILNS1_3genE0ELNS1_11target_archE4294967295ELNS1_3gpuE0ELNS1_3repE0EEENS1_30default_config_static_selectorELNS0_4arch9wavefront6targetE1EEEvT1_,@function
_ZN7rocprim17ROCPRIM_400000_NS6detail17trampoline_kernelINS0_14default_configENS1_25partition_config_selectorILNS1_17partition_subalgoE0EiNS0_10empty_typeEbEEZZNS1_14partition_implILS5_0ELb0ES3_jN6thrust23THRUST_200600_302600_NS6detail15normal_iteratorINSA_10device_ptrIiEEEEPS6_SG_NS0_5tupleIJSF_SF_EEENSH_IJSG_SG_EEES6_PlJ7is_evenIiEEEE10hipError_tPvRmT3_T4_T5_T6_T7_T9_mT8_P12ihipStream_tbDpT10_ENKUlT_T0_E_clISt17integral_constantIbLb1EES16_EEDaS11_S12_EUlS11_E_NS1_11comp_targetILNS1_3genE0ELNS1_11target_archE4294967295ELNS1_3gpuE0ELNS1_3repE0EEENS1_30default_config_static_selectorELNS0_4arch9wavefront6targetE1EEEvT1_: ; @_ZN7rocprim17ROCPRIM_400000_NS6detail17trampoline_kernelINS0_14default_configENS1_25partition_config_selectorILNS1_17partition_subalgoE0EiNS0_10empty_typeEbEEZZNS1_14partition_implILS5_0ELb0ES3_jN6thrust23THRUST_200600_302600_NS6detail15normal_iteratorINSA_10device_ptrIiEEEEPS6_SG_NS0_5tupleIJSF_SF_EEENSH_IJSG_SG_EEES6_PlJ7is_evenIiEEEE10hipError_tPvRmT3_T4_T5_T6_T7_T9_mT8_P12ihipStream_tbDpT10_ENKUlT_T0_E_clISt17integral_constantIbLb1EES16_EEDaS11_S12_EUlS11_E_NS1_11comp_targetILNS1_3genE0ELNS1_11target_archE4294967295ELNS1_3gpuE0ELNS1_3repE0EEENS1_30default_config_static_selectorELNS0_4arch9wavefront6targetE1EEEvT1_
; %bb.0:
	.section	.rodata,"a",@progbits
	.p2align	6, 0x0
	.amdhsa_kernel _ZN7rocprim17ROCPRIM_400000_NS6detail17trampoline_kernelINS0_14default_configENS1_25partition_config_selectorILNS1_17partition_subalgoE0EiNS0_10empty_typeEbEEZZNS1_14partition_implILS5_0ELb0ES3_jN6thrust23THRUST_200600_302600_NS6detail15normal_iteratorINSA_10device_ptrIiEEEEPS6_SG_NS0_5tupleIJSF_SF_EEENSH_IJSG_SG_EEES6_PlJ7is_evenIiEEEE10hipError_tPvRmT3_T4_T5_T6_T7_T9_mT8_P12ihipStream_tbDpT10_ENKUlT_T0_E_clISt17integral_constantIbLb1EES16_EEDaS11_S12_EUlS11_E_NS1_11comp_targetILNS1_3genE0ELNS1_11target_archE4294967295ELNS1_3gpuE0ELNS1_3repE0EEENS1_30default_config_static_selectorELNS0_4arch9wavefront6targetE1EEEvT1_
		.amdhsa_group_segment_fixed_size 0
		.amdhsa_private_segment_fixed_size 0
		.amdhsa_kernarg_size 136
		.amdhsa_user_sgpr_count 2
		.amdhsa_user_sgpr_dispatch_ptr 0
		.amdhsa_user_sgpr_queue_ptr 0
		.amdhsa_user_sgpr_kernarg_segment_ptr 1
		.amdhsa_user_sgpr_dispatch_id 0
		.amdhsa_user_sgpr_kernarg_preload_length 0
		.amdhsa_user_sgpr_kernarg_preload_offset 0
		.amdhsa_user_sgpr_private_segment_size 0
		.amdhsa_uses_dynamic_stack 0
		.amdhsa_enable_private_segment 0
		.amdhsa_system_sgpr_workgroup_id_x 1
		.amdhsa_system_sgpr_workgroup_id_y 0
		.amdhsa_system_sgpr_workgroup_id_z 0
		.amdhsa_system_sgpr_workgroup_info 0
		.amdhsa_system_vgpr_workitem_id 0
		.amdhsa_next_free_vgpr 1
		.amdhsa_next_free_sgpr 0
		.amdhsa_accum_offset 4
		.amdhsa_reserve_vcc 0
		.amdhsa_float_round_mode_32 0
		.amdhsa_float_round_mode_16_64 0
		.amdhsa_float_denorm_mode_32 3
		.amdhsa_float_denorm_mode_16_64 3
		.amdhsa_dx10_clamp 1
		.amdhsa_ieee_mode 1
		.amdhsa_fp16_overflow 0
		.amdhsa_tg_split 0
		.amdhsa_exception_fp_ieee_invalid_op 0
		.amdhsa_exception_fp_denorm_src 0
		.amdhsa_exception_fp_ieee_div_zero 0
		.amdhsa_exception_fp_ieee_overflow 0
		.amdhsa_exception_fp_ieee_underflow 0
		.amdhsa_exception_fp_ieee_inexact 0
		.amdhsa_exception_int_div_zero 0
	.end_amdhsa_kernel
	.section	.text._ZN7rocprim17ROCPRIM_400000_NS6detail17trampoline_kernelINS0_14default_configENS1_25partition_config_selectorILNS1_17partition_subalgoE0EiNS0_10empty_typeEbEEZZNS1_14partition_implILS5_0ELb0ES3_jN6thrust23THRUST_200600_302600_NS6detail15normal_iteratorINSA_10device_ptrIiEEEEPS6_SG_NS0_5tupleIJSF_SF_EEENSH_IJSG_SG_EEES6_PlJ7is_evenIiEEEE10hipError_tPvRmT3_T4_T5_T6_T7_T9_mT8_P12ihipStream_tbDpT10_ENKUlT_T0_E_clISt17integral_constantIbLb1EES16_EEDaS11_S12_EUlS11_E_NS1_11comp_targetILNS1_3genE0ELNS1_11target_archE4294967295ELNS1_3gpuE0ELNS1_3repE0EEENS1_30default_config_static_selectorELNS0_4arch9wavefront6targetE1EEEvT1_,"axG",@progbits,_ZN7rocprim17ROCPRIM_400000_NS6detail17trampoline_kernelINS0_14default_configENS1_25partition_config_selectorILNS1_17partition_subalgoE0EiNS0_10empty_typeEbEEZZNS1_14partition_implILS5_0ELb0ES3_jN6thrust23THRUST_200600_302600_NS6detail15normal_iteratorINSA_10device_ptrIiEEEEPS6_SG_NS0_5tupleIJSF_SF_EEENSH_IJSG_SG_EEES6_PlJ7is_evenIiEEEE10hipError_tPvRmT3_T4_T5_T6_T7_T9_mT8_P12ihipStream_tbDpT10_ENKUlT_T0_E_clISt17integral_constantIbLb1EES16_EEDaS11_S12_EUlS11_E_NS1_11comp_targetILNS1_3genE0ELNS1_11target_archE4294967295ELNS1_3gpuE0ELNS1_3repE0EEENS1_30default_config_static_selectorELNS0_4arch9wavefront6targetE1EEEvT1_,comdat
.Lfunc_end329:
	.size	_ZN7rocprim17ROCPRIM_400000_NS6detail17trampoline_kernelINS0_14default_configENS1_25partition_config_selectorILNS1_17partition_subalgoE0EiNS0_10empty_typeEbEEZZNS1_14partition_implILS5_0ELb0ES3_jN6thrust23THRUST_200600_302600_NS6detail15normal_iteratorINSA_10device_ptrIiEEEEPS6_SG_NS0_5tupleIJSF_SF_EEENSH_IJSG_SG_EEES6_PlJ7is_evenIiEEEE10hipError_tPvRmT3_T4_T5_T6_T7_T9_mT8_P12ihipStream_tbDpT10_ENKUlT_T0_E_clISt17integral_constantIbLb1EES16_EEDaS11_S12_EUlS11_E_NS1_11comp_targetILNS1_3genE0ELNS1_11target_archE4294967295ELNS1_3gpuE0ELNS1_3repE0EEENS1_30default_config_static_selectorELNS0_4arch9wavefront6targetE1EEEvT1_, .Lfunc_end329-_ZN7rocprim17ROCPRIM_400000_NS6detail17trampoline_kernelINS0_14default_configENS1_25partition_config_selectorILNS1_17partition_subalgoE0EiNS0_10empty_typeEbEEZZNS1_14partition_implILS5_0ELb0ES3_jN6thrust23THRUST_200600_302600_NS6detail15normal_iteratorINSA_10device_ptrIiEEEEPS6_SG_NS0_5tupleIJSF_SF_EEENSH_IJSG_SG_EEES6_PlJ7is_evenIiEEEE10hipError_tPvRmT3_T4_T5_T6_T7_T9_mT8_P12ihipStream_tbDpT10_ENKUlT_T0_E_clISt17integral_constantIbLb1EES16_EEDaS11_S12_EUlS11_E_NS1_11comp_targetILNS1_3genE0ELNS1_11target_archE4294967295ELNS1_3gpuE0ELNS1_3repE0EEENS1_30default_config_static_selectorELNS0_4arch9wavefront6targetE1EEEvT1_
                                        ; -- End function
	.section	.AMDGPU.csdata,"",@progbits
; Kernel info:
; codeLenInByte = 0
; NumSgprs: 6
; NumVgprs: 0
; NumAgprs: 0
; TotalNumVgprs: 0
; ScratchSize: 0
; MemoryBound: 0
; FloatMode: 240
; IeeeMode: 1
; LDSByteSize: 0 bytes/workgroup (compile time only)
; SGPRBlocks: 0
; VGPRBlocks: 0
; NumSGPRsForWavesPerEU: 6
; NumVGPRsForWavesPerEU: 1
; AccumOffset: 4
; Occupancy: 8
; WaveLimiterHint : 0
; COMPUTE_PGM_RSRC2:SCRATCH_EN: 0
; COMPUTE_PGM_RSRC2:USER_SGPR: 2
; COMPUTE_PGM_RSRC2:TRAP_HANDLER: 0
; COMPUTE_PGM_RSRC2:TGID_X_EN: 1
; COMPUTE_PGM_RSRC2:TGID_Y_EN: 0
; COMPUTE_PGM_RSRC2:TGID_Z_EN: 0
; COMPUTE_PGM_RSRC2:TIDIG_COMP_CNT: 0
; COMPUTE_PGM_RSRC3_GFX90A:ACCUM_OFFSET: 0
; COMPUTE_PGM_RSRC3_GFX90A:TG_SPLIT: 0
	.section	.text._ZN7rocprim17ROCPRIM_400000_NS6detail17trampoline_kernelINS0_14default_configENS1_25partition_config_selectorILNS1_17partition_subalgoE0EiNS0_10empty_typeEbEEZZNS1_14partition_implILS5_0ELb0ES3_jN6thrust23THRUST_200600_302600_NS6detail15normal_iteratorINSA_10device_ptrIiEEEEPS6_SG_NS0_5tupleIJSF_SF_EEENSH_IJSG_SG_EEES6_PlJ7is_evenIiEEEE10hipError_tPvRmT3_T4_T5_T6_T7_T9_mT8_P12ihipStream_tbDpT10_ENKUlT_T0_E_clISt17integral_constantIbLb1EES16_EEDaS11_S12_EUlS11_E_NS1_11comp_targetILNS1_3genE5ELNS1_11target_archE942ELNS1_3gpuE9ELNS1_3repE0EEENS1_30default_config_static_selectorELNS0_4arch9wavefront6targetE1EEEvT1_,"axG",@progbits,_ZN7rocprim17ROCPRIM_400000_NS6detail17trampoline_kernelINS0_14default_configENS1_25partition_config_selectorILNS1_17partition_subalgoE0EiNS0_10empty_typeEbEEZZNS1_14partition_implILS5_0ELb0ES3_jN6thrust23THRUST_200600_302600_NS6detail15normal_iteratorINSA_10device_ptrIiEEEEPS6_SG_NS0_5tupleIJSF_SF_EEENSH_IJSG_SG_EEES6_PlJ7is_evenIiEEEE10hipError_tPvRmT3_T4_T5_T6_T7_T9_mT8_P12ihipStream_tbDpT10_ENKUlT_T0_E_clISt17integral_constantIbLb1EES16_EEDaS11_S12_EUlS11_E_NS1_11comp_targetILNS1_3genE5ELNS1_11target_archE942ELNS1_3gpuE9ELNS1_3repE0EEENS1_30default_config_static_selectorELNS0_4arch9wavefront6targetE1EEEvT1_,comdat
	.protected	_ZN7rocprim17ROCPRIM_400000_NS6detail17trampoline_kernelINS0_14default_configENS1_25partition_config_selectorILNS1_17partition_subalgoE0EiNS0_10empty_typeEbEEZZNS1_14partition_implILS5_0ELb0ES3_jN6thrust23THRUST_200600_302600_NS6detail15normal_iteratorINSA_10device_ptrIiEEEEPS6_SG_NS0_5tupleIJSF_SF_EEENSH_IJSG_SG_EEES6_PlJ7is_evenIiEEEE10hipError_tPvRmT3_T4_T5_T6_T7_T9_mT8_P12ihipStream_tbDpT10_ENKUlT_T0_E_clISt17integral_constantIbLb1EES16_EEDaS11_S12_EUlS11_E_NS1_11comp_targetILNS1_3genE5ELNS1_11target_archE942ELNS1_3gpuE9ELNS1_3repE0EEENS1_30default_config_static_selectorELNS0_4arch9wavefront6targetE1EEEvT1_ ; -- Begin function _ZN7rocprim17ROCPRIM_400000_NS6detail17trampoline_kernelINS0_14default_configENS1_25partition_config_selectorILNS1_17partition_subalgoE0EiNS0_10empty_typeEbEEZZNS1_14partition_implILS5_0ELb0ES3_jN6thrust23THRUST_200600_302600_NS6detail15normal_iteratorINSA_10device_ptrIiEEEEPS6_SG_NS0_5tupleIJSF_SF_EEENSH_IJSG_SG_EEES6_PlJ7is_evenIiEEEE10hipError_tPvRmT3_T4_T5_T6_T7_T9_mT8_P12ihipStream_tbDpT10_ENKUlT_T0_E_clISt17integral_constantIbLb1EES16_EEDaS11_S12_EUlS11_E_NS1_11comp_targetILNS1_3genE5ELNS1_11target_archE942ELNS1_3gpuE9ELNS1_3repE0EEENS1_30default_config_static_selectorELNS0_4arch9wavefront6targetE1EEEvT1_
	.globl	_ZN7rocprim17ROCPRIM_400000_NS6detail17trampoline_kernelINS0_14default_configENS1_25partition_config_selectorILNS1_17partition_subalgoE0EiNS0_10empty_typeEbEEZZNS1_14partition_implILS5_0ELb0ES3_jN6thrust23THRUST_200600_302600_NS6detail15normal_iteratorINSA_10device_ptrIiEEEEPS6_SG_NS0_5tupleIJSF_SF_EEENSH_IJSG_SG_EEES6_PlJ7is_evenIiEEEE10hipError_tPvRmT3_T4_T5_T6_T7_T9_mT8_P12ihipStream_tbDpT10_ENKUlT_T0_E_clISt17integral_constantIbLb1EES16_EEDaS11_S12_EUlS11_E_NS1_11comp_targetILNS1_3genE5ELNS1_11target_archE942ELNS1_3gpuE9ELNS1_3repE0EEENS1_30default_config_static_selectorELNS0_4arch9wavefront6targetE1EEEvT1_
	.p2align	8
	.type	_ZN7rocprim17ROCPRIM_400000_NS6detail17trampoline_kernelINS0_14default_configENS1_25partition_config_selectorILNS1_17partition_subalgoE0EiNS0_10empty_typeEbEEZZNS1_14partition_implILS5_0ELb0ES3_jN6thrust23THRUST_200600_302600_NS6detail15normal_iteratorINSA_10device_ptrIiEEEEPS6_SG_NS0_5tupleIJSF_SF_EEENSH_IJSG_SG_EEES6_PlJ7is_evenIiEEEE10hipError_tPvRmT3_T4_T5_T6_T7_T9_mT8_P12ihipStream_tbDpT10_ENKUlT_T0_E_clISt17integral_constantIbLb1EES16_EEDaS11_S12_EUlS11_E_NS1_11comp_targetILNS1_3genE5ELNS1_11target_archE942ELNS1_3gpuE9ELNS1_3repE0EEENS1_30default_config_static_selectorELNS0_4arch9wavefront6targetE1EEEvT1_,@function
_ZN7rocprim17ROCPRIM_400000_NS6detail17trampoline_kernelINS0_14default_configENS1_25partition_config_selectorILNS1_17partition_subalgoE0EiNS0_10empty_typeEbEEZZNS1_14partition_implILS5_0ELb0ES3_jN6thrust23THRUST_200600_302600_NS6detail15normal_iteratorINSA_10device_ptrIiEEEEPS6_SG_NS0_5tupleIJSF_SF_EEENSH_IJSG_SG_EEES6_PlJ7is_evenIiEEEE10hipError_tPvRmT3_T4_T5_T6_T7_T9_mT8_P12ihipStream_tbDpT10_ENKUlT_T0_E_clISt17integral_constantIbLb1EES16_EEDaS11_S12_EUlS11_E_NS1_11comp_targetILNS1_3genE5ELNS1_11target_archE942ELNS1_3gpuE9ELNS1_3repE0EEENS1_30default_config_static_selectorELNS0_4arch9wavefront6targetE1EEEvT1_: ; @_ZN7rocprim17ROCPRIM_400000_NS6detail17trampoline_kernelINS0_14default_configENS1_25partition_config_selectorILNS1_17partition_subalgoE0EiNS0_10empty_typeEbEEZZNS1_14partition_implILS5_0ELb0ES3_jN6thrust23THRUST_200600_302600_NS6detail15normal_iteratorINSA_10device_ptrIiEEEEPS6_SG_NS0_5tupleIJSF_SF_EEENSH_IJSG_SG_EEES6_PlJ7is_evenIiEEEE10hipError_tPvRmT3_T4_T5_T6_T7_T9_mT8_P12ihipStream_tbDpT10_ENKUlT_T0_E_clISt17integral_constantIbLb1EES16_EEDaS11_S12_EUlS11_E_NS1_11comp_targetILNS1_3genE5ELNS1_11target_archE942ELNS1_3gpuE9ELNS1_3repE0EEENS1_30default_config_static_selectorELNS0_4arch9wavefront6targetE1EEEvT1_
; %bb.0:
	s_load_dwordx2 s[2:3], s[0:1], 0x58
	s_load_dwordx4 s[24:27], s[0:1], 0x48
	s_load_dwordx2 s[34:35], s[0:1], 0x68
	v_cmp_eq_u32_e64 s[20:21], 0, v0
	s_and_saveexec_b64 s[4:5], s[20:21]
	s_cbranch_execz .LBB330_4
; %bb.1:
	s_mov_b64 s[8:9], exec
	v_mbcnt_lo_u32_b32 v1, s8, 0
	v_mbcnt_hi_u32_b32 v1, s9, v1
	v_cmp_eq_u32_e32 vcc, 0, v1
                                        ; implicit-def: $vgpr2
	s_and_saveexec_b64 s[6:7], vcc
	s_cbranch_execz .LBB330_3
; %bb.2:
	s_load_dwordx2 s[10:11], s[0:1], 0x78
	s_bcnt1_i32_b64 s8, s[8:9]
	v_mov_b32_e32 v2, 0
	v_mov_b32_e32 v3, s8
	s_waitcnt lgkmcnt(0)
	global_atomic_add v2, v2, v3, s[10:11] sc0
.LBB330_3:
	s_or_b64 exec, exec, s[6:7]
	s_waitcnt vmcnt(0)
	v_readfirstlane_b32 s6, v2
	v_mov_b32_e32 v2, 0
	s_nop 0
	v_add_u32_e32 v1, s6, v1
	ds_write_b32 v2, v1
.LBB330_4:
	s_or_b64 exec, exec, s[4:5]
	v_mov_b32_e32 v19, 0
	s_load_dwordx4 s[36:39], s[0:1], 0x8
	s_load_dwordx4 s[28:31], s[0:1], 0x28
	s_load_dword s4, s[0:1], 0x70
	s_waitcnt lgkmcnt(0)
	s_barrier
	ds_read_b32 v1, v19
	s_waitcnt lgkmcnt(0)
	s_barrier
	global_load_dwordx2 v[20:21], v19, s[26:27]
	v_mov_b32_e32 v3, s3
	s_lshl_b64 s[0:1], s[38:39], 2
	s_movk_i32 s3, 0x1e00
	s_add_u32 s0, s36, s0
	v_mul_lo_u32 v18, v1, s3
	s_mul_i32 s3, s4, 0x1e00
	s_addc_u32 s1, s37, s1
	s_add_i32 s5, s4, -1
	s_add_i32 s4, s3, s38
	s_sub_i32 s33, s2, s4
	s_addk_i32 s33, 0x1e00
	v_mov_b32_e32 v2, s2
	s_add_u32 s2, s38, s3
	v_readfirstlane_b32 s40, v1
	s_addc_u32 s3, s39, 0
	s_cmp_eq_u32 s40, s5
	s_cselect_b64 s[22:23], -1, 0
	s_cmp_lg_u32 s40, s5
	v_cmp_lt_u64_e32 vcc, s[2:3], v[2:3]
	s_cselect_b64 s[2:3], -1, 0
	s_or_b64 s[4:5], vcc, s[2:3]
	v_lshlrev_b64 v[22:23], 2, v[18:19]
	v_lshl_add_u64 v[24:25], s[0:1], 0, v[22:23]
	s_mov_b64 s[0:1], -1
	s_and_b64 vcc, exec, s[4:5]
	v_lshlrev_b32_e32 v18, 2, v0
	s_cbranch_vccz .LBB330_6
; %bb.5:
	v_lshl_add_u64 v[2:3], v[24:25], 0, v[18:19]
	v_add_co_u32_e32 v4, vcc, 0x1000, v2
	s_mov_b64 s[0:1], 0
	s_nop 0
	v_addc_co_u32_e32 v5, vcc, 0, v3, vcc
	v_add_co_u32_e32 v6, vcc, 0x2000, v2
	s_nop 1
	v_addc_co_u32_e32 v7, vcc, 0, v3, vcc
	v_add_co_u32_e32 v8, vcc, 0x3000, v2
	s_nop 1
	v_addc_co_u32_e32 v9, vcc, 0, v3, vcc
	flat_load_dword v1, v[2:3]
	flat_load_dword v10, v[2:3] offset:2048
	flat_load_dword v11, v[4:5]
	flat_load_dword v12, v[4:5] offset:2048
	;; [unrolled: 2-line block ×4, first 2 shown]
	v_add_co_u32_e32 v4, vcc, 0x4000, v2
	s_nop 1
	v_addc_co_u32_e32 v5, vcc, 0, v3, vcc
	v_add_co_u32_e32 v6, vcc, 0x5000, v2
	s_nop 1
	v_addc_co_u32_e32 v7, vcc, 0, v3, vcc
	v_add_co_u32_e32 v8, vcc, 0x6000, v2
	s_nop 1
	v_addc_co_u32_e32 v9, vcc, 0, v3, vcc
	v_add_co_u32_e32 v2, vcc, 0x7000, v2
	s_nop 1
	v_addc_co_u32_e32 v3, vcc, 0, v3, vcc
	flat_load_dword v17, v[4:5]
	flat_load_dword v19, v[4:5] offset:2048
	flat_load_dword v26, v[6:7]
	flat_load_dword v27, v[6:7] offset:2048
	;; [unrolled: 2-line block ×3, first 2 shown]
	flat_load_dword v30, v[2:3]
	s_waitcnt vmcnt(0) lgkmcnt(0)
	ds_write2st64_b32 v18, v1, v10 offset1:8
	ds_write2st64_b32 v18, v11, v12 offset0:16 offset1:24
	ds_write2st64_b32 v18, v13, v14 offset0:32 offset1:40
	;; [unrolled: 1-line block ×6, first 2 shown]
	ds_write_b32 v18, v30 offset:28672
	s_waitcnt lgkmcnt(0)
	s_barrier
.LBB330_6:
	s_andn2_b64 vcc, exec, s[0:1]
	v_cmp_gt_u32_e64 s[0:1], s33, v0
	s_cbranch_vccnz .LBB330_38
; %bb.7:
                                        ; implicit-def: $vgpr2_vgpr3_vgpr4_vgpr5_vgpr6_vgpr7_vgpr8_vgpr9_vgpr10_vgpr11_vgpr12_vgpr13_vgpr14_vgpr15_vgpr16_vgpr17
	s_and_saveexec_b64 s[2:3], s[0:1]
	s_cbranch_execz .LBB330_9
; %bb.8:
	v_mov_b32_e32 v19, 0
	v_lshl_add_u64 v[2:3], v[24:25], 0, v[18:19]
	flat_load_dword v2, v[2:3]
.LBB330_9:
	s_or_b64 exec, exec, s[2:3]
	v_or_b32_e32 v1, 0x200, v0
	v_cmp_gt_u32_e32 vcc, s33, v1
	s_and_saveexec_b64 s[0:1], vcc
	s_cbranch_execz .LBB330_11
; %bb.10:
	v_mov_b32_e32 v19, 0
	v_lshl_add_u64 v[26:27], v[24:25], 0, v[18:19]
	flat_load_dword v3, v[26:27] offset:2048
.LBB330_11:
	s_or_b64 exec, exec, s[0:1]
	v_or_b32_e32 v1, 0x400, v0
	v_cmp_gt_u32_e32 vcc, s33, v1
	s_and_saveexec_b64 s[0:1], vcc
	s_cbranch_execz .LBB330_13
; %bb.12:
	v_lshlrev_b32_e32 v26, 2, v1
	v_mov_b32_e32 v27, 0
	v_lshl_add_u64 v[26:27], v[24:25], 0, v[26:27]
	flat_load_dword v4, v[26:27]
.LBB330_13:
	s_or_b64 exec, exec, s[0:1]
	v_or_b32_e32 v1, 0x600, v0
	v_cmp_gt_u32_e32 vcc, s33, v1
	s_and_saveexec_b64 s[0:1], vcc
	s_cbranch_execz .LBB330_15
; %bb.14:
	v_lshlrev_b32_e32 v26, 2, v1
	v_mov_b32_e32 v27, 0
	v_lshl_add_u64 v[26:27], v[24:25], 0, v[26:27]
	flat_load_dword v5, v[26:27]
.LBB330_15:
	;; [unrolled: 11-line block ×13, first 2 shown]
	s_or_b64 exec, exec, s[0:1]
	s_waitcnt vmcnt(0) lgkmcnt(0)
	ds_write2st64_b32 v18, v2, v3 offset1:8
	ds_write2st64_b32 v18, v4, v5 offset0:16 offset1:24
	ds_write2st64_b32 v18, v6, v7 offset0:32 offset1:40
	;; [unrolled: 1-line block ×6, first 2 shown]
	ds_write_b32 v18, v16 offset:28672
	s_waitcnt lgkmcnt(0)
	s_barrier
.LBB330_38:
	v_mul_u32_u24_e32 v42, 15, v0
	v_lshlrev_b32_e32 v1, 2, v42
	ds_read2_b32 v[36:37], v1 offset1:1
	ds_read2_b32 v[34:35], v1 offset0:2 offset1:3
	ds_read2_b32 v[32:33], v1 offset0:4 offset1:5
	;; [unrolled: 1-line block ×6, first 2 shown]
	ds_read_b32 v1, v1 offset:56
	v_cndmask_b32_e64 v2, 0, 1, s[4:5]
	v_cmp_ne_u32_e64 s[2:3], 1, v2
	s_andn2_b64 vcc, exec, s[4:5]
	s_waitcnt lgkmcnt(7)
	v_xor_b32_e32 v16, -1, v36
	v_xor_b32_e32 v15, -1, v37
	s_waitcnt lgkmcnt(6)
	v_xor_b32_e32 v14, -1, v34
	v_xor_b32_e32 v13, -1, v35
	;; [unrolled: 3-line block ×7, first 2 shown]
	s_waitcnt lgkmcnt(0)
	v_xor_b32_e32 v2, -1, v1
	s_barrier
	s_cbranch_vccnz .LBB330_40
; %bb.39:
	v_and_b32_e32 v55, 1, v16
	v_and_b32_e32 v54, 1, v15
	;; [unrolled: 1-line block ×15, first 2 shown]
	s_cbranch_execz .LBB330_41
	s_branch .LBB330_42
.LBB330_40:
                                        ; implicit-def: $vgpr19
                                        ; implicit-def: $vgpr41
                                        ; implicit-def: $vgpr43
                                        ; implicit-def: $vgpr44
                                        ; implicit-def: $vgpr45
                                        ; implicit-def: $vgpr46
                                        ; implicit-def: $vgpr47
                                        ; implicit-def: $vgpr48
                                        ; implicit-def: $vgpr49
                                        ; implicit-def: $vgpr55
                                        ; implicit-def: $vgpr54
                                        ; implicit-def: $vgpr53
                                        ; implicit-def: $vgpr52
                                        ; implicit-def: $vgpr51
                                        ; implicit-def: $vgpr50
.LBB330_41:
	v_add_u32_e32 v48, 1, v42
	v_cmp_gt_u32_e32 vcc, s33, v42
	v_add_u32_e32 v17, 2, v42
	v_add_u32_e32 v47, 3, v42
	v_cndmask_b32_e64 v49, 0, 1, vcc
	v_cmp_gt_u32_e32 vcc, s33, v48
	v_and_b32_e32 v55, v49, v16
	v_add_u32_e32 v19, 4, v42
	v_cndmask_b32_e64 v16, 0, 1, vcc
	v_cmp_gt_u32_e32 vcc, s33, v17
	v_and_b32_e32 v54, v16, v15
	;; [unrolled: 4-line block ×12, first 2 shown]
	s_nop 0
	v_cndmask_b32_e64 v5, 0, 1, vcc
	v_cmp_gt_u32_e32 vcc, s33, v57
	v_and_b32_e32 v43, v5, v4
	s_nop 0
	v_cndmask_b32_e64 v4, 0, 1, vcc
	v_cmp_gt_u32_e32 vcc, s33, v56
	v_and_b32_e32 v41, v4, v3
	s_nop 0
	v_cndmask_b32_e64 v3, 0, 1, vcc
	v_and_b32_e32 v19, v3, v2
.LBB330_42:
	v_and_b32_e32 v59, 0xff, v52
	v_and_b32_e32 v60, 0xff, v51
	;; [unrolled: 1-line block ×5, first 2 shown]
	v_add3_u32 v3, v60, v61, v59
	v_and_b32_e32 v56, 0xff, v55
	v_and_b32_e32 v62, 0xff, v49
	v_add3_u32 v3, v3, v58, v57
	v_and_b32_e32 v63, 0xff, v48
	v_and_b32_e32 v64, 0xff, v47
	;; [unrolled: 3-line block ×5, first 2 shown]
	v_add3_u32 v3, v3, v67, v68
	v_add3_u32 v72, v3, v69, v2
	v_mbcnt_lo_u32_b32 v2, -1, 0
	v_mbcnt_hi_u32_b32 v70, -1, v2
	v_and_b32_e32 v2, 15, v70
	v_cmp_eq_u32_e64 s[16:17], 0, v2
	v_cmp_lt_u32_e64 s[14:15], 1, v2
	v_cmp_lt_u32_e64 s[12:13], 3, v2
	;; [unrolled: 1-line block ×3, first 2 shown]
	v_and_b32_e32 v2, 16, v70
	v_cmp_eq_u32_e64 s[8:9], 0, v2
	v_or_b32_e32 v2, 63, v0
	s_cmp_lg_u32 s40, 0
	v_cmp_lt_u32_e64 s[4:5], 31, v70
	v_lshrrev_b32_e32 v71, 6, v0
	v_cmp_eq_u32_e64 s[6:7], v2, v0
	s_cbranch_scc0 .LBB330_73
; %bb.43:
	v_mov_b32_dpp v2, v72 row_shr:1 row_mask:0xf bank_mask:0xf
	v_cndmask_b32_e64 v2, v2, 0, s[16:17]
	v_add_u32_e32 v2, v2, v72
	s_nop 1
	v_mov_b32_dpp v3, v2 row_shr:2 row_mask:0xf bank_mask:0xf
	v_cndmask_b32_e64 v3, 0, v3, s[14:15]
	v_add_u32_e32 v2, v2, v3
	s_nop 1
	v_mov_b32_dpp v3, v2 row_shr:4 row_mask:0xf bank_mask:0xf
	v_cndmask_b32_e64 v3, 0, v3, s[12:13]
	v_add_u32_e32 v2, v2, v3
	s_nop 1
	v_mov_b32_dpp v3, v2 row_shr:8 row_mask:0xf bank_mask:0xf
	v_cndmask_b32_e64 v3, 0, v3, s[10:11]
	v_add_u32_e32 v2, v2, v3
	s_nop 1
	v_mov_b32_dpp v3, v2 row_bcast:15 row_mask:0xf bank_mask:0xf
	v_cndmask_b32_e64 v3, v3, 0, s[8:9]
	v_add_u32_e32 v2, v2, v3
	s_nop 1
	v_mov_b32_dpp v3, v2 row_bcast:31 row_mask:0xf bank_mask:0xf
	v_cndmask_b32_e64 v3, 0, v3, s[4:5]
	v_add_u32_e32 v2, v2, v3
	s_and_saveexec_b64 s[0:1], s[6:7]
	s_cbranch_execz .LBB330_45
; %bb.44:
	v_lshlrev_b32_e32 v3, 2, v71
	ds_write_b32 v3, v2
.LBB330_45:
	s_or_b64 exec, exec, s[0:1]
	v_cmp_gt_u32_e32 vcc, 8, v0
	s_waitcnt lgkmcnt(0)
	s_barrier
	s_and_saveexec_b64 s[0:1], vcc
	s_cbranch_execz .LBB330_47
; %bb.46:
	ds_read_b32 v3, v18
	v_and_b32_e32 v4, 7, v70
	v_cmp_ne_u32_e32 vcc, 0, v4
	s_waitcnt lgkmcnt(0)
	v_mov_b32_dpp v5, v3 row_shr:1 row_mask:0xf bank_mask:0xf
	v_cndmask_b32_e32 v5, 0, v5, vcc
	v_add_u32_e32 v3, v5, v3
	v_cmp_lt_u32_e32 vcc, 1, v4
	s_nop 0
	v_mov_b32_dpp v5, v3 row_shr:2 row_mask:0xf bank_mask:0xf
	v_cndmask_b32_e32 v5, 0, v5, vcc
	v_add_u32_e32 v3, v3, v5
	v_cmp_lt_u32_e32 vcc, 3, v4
	s_nop 0
	v_mov_b32_dpp v5, v3 row_shr:4 row_mask:0xf bank_mask:0xf
	v_cndmask_b32_e32 v4, 0, v5, vcc
	v_add_u32_e32 v3, v3, v4
	ds_write_b32 v18, v3
.LBB330_47:
	s_or_b64 exec, exec, s[0:1]
	v_cmp_gt_u32_e32 vcc, 64, v0
	v_cmp_lt_u32_e64 s[0:1], 63, v0
	s_waitcnt lgkmcnt(0)
	s_barrier
	s_waitcnt lgkmcnt(0)
                                        ; implicit-def: $vgpr12
	s_and_saveexec_b64 s[18:19], s[0:1]
	s_cbranch_execz .LBB330_49
; %bb.48:
	v_lshl_add_u32 v3, v71, 2, -4
	ds_read_b32 v12, v3
	s_waitcnt lgkmcnt(0)
	v_add_u32_e32 v2, v12, v2
.LBB330_49:
	s_or_b64 exec, exec, s[18:19]
	v_add_u32_e32 v3, -1, v70
	v_and_b32_e32 v4, 64, v70
	v_cmp_lt_i32_e64 s[0:1], v3, v4
	v_cmp_eq_u32_e64 s[18:19], 0, v70
	s_nop 0
	v_cndmask_b32_e64 v3, v3, v70, s[0:1]
	v_lshlrev_b32_e32 v3, 2, v3
	ds_bpermute_b32 v13, v3, v2
	s_and_saveexec_b64 s[0:1], vcc
	s_cbranch_execz .LBB330_72
; %bb.50:
	v_mov_b32_e32 v11, 0
	ds_read_b32 v2, v11 offset:28
	s_and_saveexec_b64 s[26:27], s[18:19]
	s_cbranch_execz .LBB330_52
; %bb.51:
	s_add_i32 s36, s40, 64
	s_mov_b32 s37, 0
	s_lshl_b64 s[36:37], s[36:37], 3
	s_add_u32 s36, s34, s36
	v_mov_b32_e32 v3, 1
	s_addc_u32 s37, s35, s37
	s_waitcnt lgkmcnt(0)
	global_store_dwordx2 v11, v[2:3], s[36:37] sc1
.LBB330_52:
	s_or_b64 exec, exec, s[26:27]
	v_xad_u32 v4, v70, -1, s40
	v_add_u32_e32 v10, 64, v4
	v_lshl_add_u64 v[6:7], v[10:11], 3, s[34:35]
	global_load_dwordx2 v[8:9], v[6:7], off sc1
	s_waitcnt vmcnt(0)
	v_cmp_eq_u16_sdwa s[36:37], v9, v11 src0_sel:BYTE_0 src1_sel:DWORD
	s_and_saveexec_b64 s[26:27], s[36:37]
	s_cbranch_execz .LBB330_58
; %bb.53:
	s_mov_b32 s41, 1
	s_mov_b64 s[36:37], 0
	v_mov_b32_e32 v3, 0
.LBB330_54:                             ; =>This Loop Header: Depth=1
                                        ;     Child Loop BB330_55 Depth 2
	s_max_u32 s42, s41, 1
.LBB330_55:                             ;   Parent Loop BB330_54 Depth=1
                                        ; =>  This Inner Loop Header: Depth=2
	s_add_i32 s42, s42, -1
	s_cmp_eq_u32 s42, 0
	s_sleep 1
	s_cbranch_scc0 .LBB330_55
; %bb.56:                               ;   in Loop: Header=BB330_54 Depth=1
	global_load_dwordx2 v[8:9], v[6:7], off sc1
	s_cmp_lt_u32 s41, 32
	s_cselect_b64 s[42:43], -1, 0
	s_cmp_lg_u64 s[42:43], 0
	s_addc_u32 s41, s41, 0
	s_waitcnt vmcnt(0)
	v_cmp_ne_u16_sdwa s[42:43], v9, v3 src0_sel:BYTE_0 src1_sel:DWORD
	s_or_b64 s[36:37], s[42:43], s[36:37]
	s_andn2_b64 exec, exec, s[36:37]
	s_cbranch_execnz .LBB330_54
; %bb.57:
	s_or_b64 exec, exec, s[36:37]
.LBB330_58:
	s_or_b64 exec, exec, s[26:27]
	v_and_b32_e32 v15, 63, v70
	v_mov_b32_e32 v14, 2
	v_cmp_ne_u32_e32 vcc, 63, v15
	v_cmp_eq_u16_sdwa s[26:27], v9, v14 src0_sel:BYTE_0 src1_sel:DWORD
	v_lshlrev_b64 v[6:7], v70, -1
	v_addc_co_u32_e32 v10, vcc, 0, v70, vcc
	v_and_b32_e32 v3, s27, v7
	v_lshlrev_b32_e32 v16, 2, v10
	v_or_b32_e32 v3, 0x80000000, v3
	ds_bpermute_b32 v10, v16, v8
	v_and_b32_e32 v5, s26, v6
	v_ffbl_b32_e32 v3, v3
	v_add_u32_e32 v3, 32, v3
	v_ffbl_b32_e32 v5, v5
	v_min_u32_e32 v3, v5, v3
	v_cmp_lt_u32_e32 vcc, v15, v3
	v_add_u32_e32 v38, 2, v15
	v_add_u32_e32 v40, 4, v15
	s_waitcnt lgkmcnt(0)
	v_cndmask_b32_e32 v5, 0, v10, vcc
	v_cmp_gt_u32_e32 vcc, 62, v15
	v_add_u32_e32 v5, v5, v8
	v_add_u32_e32 v74, 8, v15
	v_cndmask_b32_e64 v8, 0, 1, vcc
	v_lshlrev_b32_e32 v8, 1, v8
	v_add_lshl_u32 v17, v8, v70, 2
	ds_bpermute_b32 v8, v17, v5
	v_cmp_le_u32_e32 vcc, v38, v3
	v_add_u32_e32 v76, 16, v15
	v_add_u32_e32 v78, 32, v15
	s_waitcnt lgkmcnt(0)
	v_cndmask_b32_e32 v8, 0, v8, vcc
	v_cmp_gt_u32_e32 vcc, 60, v15
	v_add_u32_e32 v5, v5, v8
	s_nop 0
	v_cndmask_b32_e64 v8, 0, 1, vcc
	v_lshlrev_b32_e32 v8, 2, v8
	v_add_lshl_u32 v39, v8, v70, 2
	ds_bpermute_b32 v8, v39, v5
	v_cmp_le_u32_e32 vcc, v40, v3
	s_waitcnt lgkmcnt(0)
	s_nop 0
	v_cndmask_b32_e32 v8, 0, v8, vcc
	v_cmp_gt_u32_e32 vcc, 56, v15
	v_add_u32_e32 v5, v5, v8
	s_nop 0
	v_cndmask_b32_e64 v8, 0, 1, vcc
	v_lshlrev_b32_e32 v8, 3, v8
	v_add_lshl_u32 v73, v8, v70, 2
	ds_bpermute_b32 v8, v73, v5
	v_cmp_le_u32_e32 vcc, v74, v3
	s_waitcnt lgkmcnt(0)
	s_nop 0
	;; [unrolled: 11-line block ×4, first 2 shown]
	v_cndmask_b32_e32 v3, 0, v8, vcc
	v_add_u32_e32 v8, v5, v3
	v_mov_b32_e32 v5, 0
	s_branch .LBB330_60
.LBB330_59:                             ;   in Loop: Header=BB330_60 Depth=1
	s_or_b64 exec, exec, s[26:27]
	v_cmp_eq_u16_sdwa s[26:27], v9, v14 src0_sel:BYTE_0 src1_sel:DWORD
	ds_bpermute_b32 v79, v16, v8
	v_subrev_u32_e32 v4, 64, v4
	v_and_b32_e32 v10, s27, v7
	v_or_b32_e32 v10, 0x80000000, v10
	v_and_b32_e32 v11, s26, v6
	v_ffbl_b32_e32 v10, v10
	v_add_u32_e32 v10, 32, v10
	v_ffbl_b32_e32 v11, v11
	v_min_u32_e32 v10, v11, v10
	v_cmp_lt_u32_e32 vcc, v15, v10
	s_waitcnt lgkmcnt(0)
	s_nop 0
	v_cndmask_b32_e32 v11, 0, v79, vcc
	v_add_u32_e32 v8, v11, v8
	ds_bpermute_b32 v11, v17, v8
	v_cmp_le_u32_e32 vcc, v38, v10
	s_waitcnt lgkmcnt(0)
	s_nop 0
	v_cndmask_b32_e32 v11, 0, v11, vcc
	v_add_u32_e32 v8, v8, v11
	ds_bpermute_b32 v11, v39, v8
	v_cmp_le_u32_e32 vcc, v40, v10
	;; [unrolled: 6-line block ×5, first 2 shown]
	s_waitcnt lgkmcnt(0)
	s_nop 0
	v_cndmask_b32_e32 v10, 0, v11, vcc
	v_add3_u32 v8, v10, v3, v8
.LBB330_60:                             ; =>This Loop Header: Depth=1
                                        ;     Child Loop BB330_63 Depth 2
                                        ;       Child Loop BB330_64 Depth 3
	v_cmp_ne_u16_sdwa s[26:27], v9, v14 src0_sel:BYTE_0 src1_sel:DWORD
	s_nop 1
	v_cndmask_b32_e64 v3, 0, 1, s[26:27]
	;;#ASMSTART
	;;#ASMEND
	s_nop 0
	v_cmp_ne_u32_e32 vcc, 0, v3
	s_cmp_lg_u64 vcc, exec
	v_mov_b32_e32 v3, v8
	s_cbranch_scc1 .LBB330_67
; %bb.61:                               ;   in Loop: Header=BB330_60 Depth=1
	v_lshl_add_u64 v[10:11], v[4:5], 3, s[34:35]
	global_load_dwordx2 v[8:9], v[10:11], off sc1
	s_waitcnt vmcnt(0)
	v_cmp_eq_u16_sdwa s[36:37], v9, v5 src0_sel:BYTE_0 src1_sel:DWORD
	s_and_saveexec_b64 s[26:27], s[36:37]
	s_cbranch_execz .LBB330_59
; %bb.62:                               ;   in Loop: Header=BB330_60 Depth=1
	s_mov_b32 s41, 1
	s_mov_b64 s[36:37], 0
.LBB330_63:                             ;   Parent Loop BB330_60 Depth=1
                                        ; =>  This Loop Header: Depth=2
                                        ;       Child Loop BB330_64 Depth 3
	s_max_u32 s42, s41, 1
.LBB330_64:                             ;   Parent Loop BB330_60 Depth=1
                                        ;     Parent Loop BB330_63 Depth=2
                                        ; =>    This Inner Loop Header: Depth=3
	s_add_i32 s42, s42, -1
	s_cmp_eq_u32 s42, 0
	s_sleep 1
	s_cbranch_scc0 .LBB330_64
; %bb.65:                               ;   in Loop: Header=BB330_63 Depth=2
	global_load_dwordx2 v[8:9], v[10:11], off sc1
	s_cmp_lt_u32 s41, 32
	s_cselect_b64 s[42:43], -1, 0
	s_cmp_lg_u64 s[42:43], 0
	s_addc_u32 s41, s41, 0
	s_waitcnt vmcnt(0)
	v_cmp_ne_u16_sdwa s[42:43], v9, v5 src0_sel:BYTE_0 src1_sel:DWORD
	s_or_b64 s[36:37], s[42:43], s[36:37]
	s_andn2_b64 exec, exec, s[36:37]
	s_cbranch_execnz .LBB330_63
; %bb.66:                               ;   in Loop: Header=BB330_60 Depth=1
	s_or_b64 exec, exec, s[36:37]
	s_branch .LBB330_59
.LBB330_67:                             ;   in Loop: Header=BB330_60 Depth=1
                                        ; implicit-def: $vgpr8
                                        ; implicit-def: $vgpr9
	s_cbranch_execz .LBB330_60
; %bb.68:
	s_and_saveexec_b64 s[26:27], s[18:19]
	s_cbranch_execz .LBB330_70
; %bb.69:
	s_add_i32 s36, s40, 64
	s_mov_b32 s37, 0
	s_lshl_b64 s[36:37], s[36:37], 3
	s_add_u32 s36, s34, s36
	v_add_u32_e32 v4, v3, v2
	v_mov_b32_e32 v5, 2
	s_addc_u32 s37, s35, s37
	v_mov_b32_e32 v6, 0
	global_store_dwordx2 v6, v[4:5], s[36:37] sc1
	ds_write_b64 v6, v[2:3] offset:30720
.LBB330_70:
	s_or_b64 exec, exec, s[26:27]
	s_and_b64 exec, exec, s[20:21]
	s_cbranch_execz .LBB330_72
; %bb.71:
	v_mov_b32_e32 v2, 0
	ds_write_b32 v2, v3 offset:28
.LBB330_72:
	s_or_b64 exec, exec, s[0:1]
	v_mov_b32_e32 v14, 0
	s_waitcnt lgkmcnt(0)
	s_barrier
	ds_read_b32 v2, v14 offset:28
	v_cndmask_b32_e64 v3, v13, v12, s[18:19]
	v_cndmask_b32_e64 v3, v3, 0, s[20:21]
	s_waitcnt lgkmcnt(0)
	s_barrier
	v_add_u32_e32 v2, v2, v3
	v_add_u32_e32 v3, v2, v56
	;; [unrolled: 1-line block ×10, first 2 shown]
	ds_read_b64 v[38:39], v14 offset:30720
	v_add_u32_e32 v12, v11, v65
	v_add_u32_e32 v13, v12, v66
	;; [unrolled: 1-line block ×5, first 2 shown]
	s_waitcnt lgkmcnt(0)
	v_mov_b32_e32 v40, v39
	s_branch .LBB330_83
.LBB330_73:
                                        ; implicit-def: $vgpr40
                                        ; implicit-def: $vgpr38
                                        ; implicit-def: $vgpr2_vgpr3_vgpr4_vgpr5_vgpr6_vgpr7_vgpr8_vgpr9_vgpr10_vgpr11_vgpr12_vgpr13_vgpr14_vgpr15_vgpr16_vgpr17
	s_cbranch_execz .LBB330_83
; %bb.74:
	s_nop 0
	v_mov_b32_dpp v2, v72 row_shr:1 row_mask:0xf bank_mask:0xf
	v_cndmask_b32_e64 v2, v2, 0, s[16:17]
	v_add_u32_e32 v2, v2, v72
	s_nop 1
	v_mov_b32_dpp v3, v2 row_shr:2 row_mask:0xf bank_mask:0xf
	v_cndmask_b32_e64 v3, 0, v3, s[14:15]
	v_add_u32_e32 v2, v2, v3
	s_nop 1
	v_mov_b32_dpp v3, v2 row_shr:4 row_mask:0xf bank_mask:0xf
	v_cndmask_b32_e64 v3, 0, v3, s[12:13]
	v_add_u32_e32 v2, v2, v3
	s_nop 1
	v_mov_b32_dpp v3, v2 row_shr:8 row_mask:0xf bank_mask:0xf
	v_cndmask_b32_e64 v3, 0, v3, s[10:11]
	v_add_u32_e32 v2, v2, v3
	s_nop 1
	v_mov_b32_dpp v3, v2 row_bcast:15 row_mask:0xf bank_mask:0xf
	v_cndmask_b32_e64 v3, v3, 0, s[8:9]
	v_add_u32_e32 v2, v2, v3
	s_nop 1
	v_mov_b32_dpp v3, v2 row_bcast:31 row_mask:0xf bank_mask:0xf
	v_cndmask_b32_e64 v3, 0, v3, s[4:5]
	v_add_u32_e32 v2, v2, v3
	s_and_saveexec_b64 s[0:1], s[6:7]
	s_cbranch_execz .LBB330_76
; %bb.75:
	v_lshlrev_b32_e32 v3, 2, v71
	ds_write_b32 v3, v2
.LBB330_76:
	s_or_b64 exec, exec, s[0:1]
	v_cmp_gt_u32_e32 vcc, 8, v0
	s_waitcnt lgkmcnt(0)
	s_barrier
	s_and_saveexec_b64 s[0:1], vcc
	s_cbranch_execz .LBB330_78
; %bb.77:
	ds_read_b32 v3, v18
	v_and_b32_e32 v4, 7, v70
	v_cmp_ne_u32_e32 vcc, 0, v4
	s_waitcnt lgkmcnt(0)
	v_mov_b32_dpp v5, v3 row_shr:1 row_mask:0xf bank_mask:0xf
	v_cndmask_b32_e32 v5, 0, v5, vcc
	v_add_u32_e32 v3, v5, v3
	v_cmp_lt_u32_e32 vcc, 1, v4
	s_nop 0
	v_mov_b32_dpp v5, v3 row_shr:2 row_mask:0xf bank_mask:0xf
	v_cndmask_b32_e32 v5, 0, v5, vcc
	v_add_u32_e32 v3, v3, v5
	v_cmp_lt_u32_e32 vcc, 3, v4
	s_nop 0
	v_mov_b32_dpp v5, v3 row_shr:4 row_mask:0xf bank_mask:0xf
	v_cndmask_b32_e32 v4, 0, v5, vcc
	v_add_u32_e32 v3, v3, v4
	ds_write_b32 v18, v3
.LBB330_78:
	s_or_b64 exec, exec, s[0:1]
	v_cmp_lt_u32_e32 vcc, 63, v0
	v_mov_b32_e32 v4, 0
	v_mov_b32_e32 v3, 0
	s_waitcnt lgkmcnt(0)
	s_barrier
	s_and_saveexec_b64 s[0:1], vcc
	s_cbranch_execz .LBB330_80
; %bb.79:
	v_lshl_add_u32 v3, v71, 2, -4
	ds_read_b32 v3, v3
.LBB330_80:
	s_or_b64 exec, exec, s[0:1]
	v_add_u32_e32 v5, -1, v70
	v_and_b32_e32 v6, 64, v70
	v_cmp_lt_i32_e32 vcc, v5, v6
	s_waitcnt lgkmcnt(0)
	v_add_u32_e32 v2, v3, v2
	ds_read_b32 v38, v4 offset:28
	v_cndmask_b32_e32 v5, v5, v70, vcc
	v_lshlrev_b32_e32 v5, 2, v5
	ds_bpermute_b32 v2, v5, v2
	s_and_saveexec_b64 s[0:1], s[20:21]
	s_cbranch_execz .LBB330_82
; %bb.81:
	v_mov_b32_e32 v4, 0
	v_mov_b32_e32 v39, 2
	s_waitcnt lgkmcnt(1)
	global_store_dwordx2 v4, v[38:39], s[34:35] offset:512 sc1
.LBB330_82:
	s_or_b64 exec, exec, s[0:1]
	v_cmp_eq_u32_e32 vcc, 0, v70
	v_mov_b32_e32 v40, 0
	s_waitcnt lgkmcnt(0)
	v_cndmask_b32_e32 v2, v2, v3, vcc
	v_cndmask_b32_e64 v2, v2, 0, s[20:21]
	v_add_u32_e32 v3, v2, v56
	v_add_u32_e32 v4, v3, v57
	;; [unrolled: 1-line block ×14, first 2 shown]
	s_barrier
.LBB330_83:
	v_add_u32_e32 v17, v38, v42
	v_sub_u32_e32 v2, v2, v40
	v_and_b32_e32 v42, 1, v55
	v_sub_u32_e32 v39, v17, v2
	v_cmp_eq_u32_e32 vcc, 1, v42
	v_or_b32_e32 v42, 0x800, v0
	s_nop 0
	v_cndmask_b32_e32 v2, v39, v2, vcc
	v_lshlrev_b32_e32 v2, 2, v2
	ds_write_b32 v2, v36
	v_sub_u32_e32 v2, v3, v40
	v_sub_u32_e32 v3, v17, v2
	v_and_b32_e32 v36, 1, v54
	v_add_u32_e32 v3, 1, v3
	v_cmp_eq_u32_e32 vcc, 1, v36
	v_or_b32_e32 v36, 0xc00, v0
	s_nop 0
	v_cndmask_b32_e32 v2, v3, v2, vcc
	v_lshlrev_b32_e32 v2, 2, v2
	ds_write_b32 v2, v37
	v_sub_u32_e32 v2, v4, v40
	v_sub_u32_e32 v3, v17, v2
	v_and_b32_e32 v4, 1, v53
	v_add_u32_e32 v3, 2, v3
	v_cmp_eq_u32_e32 vcc, 1, v4
	v_and_b32_e32 v4, 1, v52
	v_or_b32_e32 v37, 0xa00, v0
	v_cndmask_b32_e32 v2, v3, v2, vcc
	v_lshlrev_b32_e32 v2, 2, v2
	ds_write_b32 v2, v34
	v_sub_u32_e32 v2, v5, v40
	v_sub_u32_e32 v3, v17, v2
	v_add_u32_e32 v3, 3, v3
	v_cmp_eq_u32_e32 vcc, 1, v4
	v_and_b32_e32 v4, 1, v51
	v_or_b32_e32 v34, 0x1000, v0
	v_cndmask_b32_e32 v2, v3, v2, vcc
	v_lshlrev_b32_e32 v2, 2, v2
	ds_write_b32 v2, v35
	v_sub_u32_e32 v2, v6, v40
	v_sub_u32_e32 v3, v17, v2
	;; [unrolled: 9-line block ×3, first 2 shown]
	v_add_u32_e32 v3, 5, v3
	v_cmp_eq_u32_e32 vcc, 1, v4
	v_and_b32_e32 v4, 1, v49
	v_mov_b32_e32 v7, s39
	v_cndmask_b32_e32 v2, v3, v2, vcc
	v_lshlrev_b32_e32 v2, 2, v2
	ds_write_b32 v2, v33
	v_sub_u32_e32 v2, v8, v40
	v_sub_u32_e32 v3, v17, v2
	v_add_u32_e32 v3, 6, v3
	v_cmp_eq_u32_e32 vcc, 1, v4
	v_and_b32_e32 v4, 1, v48
	v_or_b32_e32 v33, 0x1200, v0
	v_cndmask_b32_e32 v2, v3, v2, vcc
	v_lshlrev_b32_e32 v2, 2, v2
	ds_write_b32 v2, v30
	v_sub_u32_e32 v2, v9, v40
	v_sub_u32_e32 v3, v17, v2
	v_add_u32_e32 v3, 7, v3
	v_cmp_eq_u32_e32 vcc, 1, v4
	v_and_b32_e32 v4, 1, v47
	v_or_b32_e32 v32, 0x1400, v0
	;; [unrolled: 9-line block ×6, first 2 shown]
	v_cndmask_b32_e32 v2, v3, v2, vcc
	v_lshlrev_b32_e32 v2, 2, v2
	ds_write_b32 v2, v27
	v_sub_u32_e32 v2, v14, v40
	v_sub_u32_e32 v3, v17, v2
	v_add_u32_e32 v3, 12, v3
	v_cmp_eq_u32_e32 vcc, 1, v4
	v_and_b32_e32 v4, 1, v41
	v_mov_b32_e32 v41, 0
	v_cndmask_b32_e32 v2, v3, v2, vcc
	v_lshlrev_b32_e32 v2, 2, v2
	ds_write_b32 v2, v24
	v_sub_u32_e32 v2, v15, v40
	v_sub_u32_e32 v3, v17, v2
	v_add_u32_e32 v3, 13, v3
	v_cmp_eq_u32_e32 vcc, 1, v4
	v_and_b32_e32 v4, 1, v19
	s_waitcnt vmcnt(0)
	v_lshl_add_u64 v[8:9], v[20:21], 0, v[40:41]
	v_cndmask_b32_e32 v2, v3, v2, vcc
	v_lshlrev_b32_e32 v2, 2, v2
	ds_write_b32 v2, v25
	v_sub_u32_e32 v2, v16, v40
	v_sub_u32_e32 v3, v17, v2
	v_add_u32_e32 v3, 14, v3
	v_cmp_eq_u32_e32 vcc, 1, v4
	v_mov_b32_e32 v39, v41
	v_or_b32_e32 v30, 0x1800, v0
	v_cndmask_b32_e32 v2, v3, v2, vcc
	v_lshlrev_b32_e32 v2, 2, v2
	ds_write_b32 v2, v1
	v_lshl_add_u64 v[2:3], v[8:9], 0, v[38:39]
	s_waitcnt lgkmcnt(0)
	s_barrier
	ds_read2st64_b32 v[26:27], v18 offset1:8
	ds_read2st64_b32 v[24:25], v18 offset0:16 offset1:24
	ds_read2st64_b32 v[16:17], v18 offset0:32 offset1:40
	;; [unrolled: 1-line block ×6, first 2 shown]
	ds_read_b32 v1, v18 offset:28672
	v_sub_co_u32_e32 v6, vcc, s38, v2
	v_lshlrev_b64 v[8:9], 2, v[8:9]
	s_nop 0
	v_subb_co_u32_e32 v7, vcc, v7, v3, vcc
	v_lshlrev_b64 v[6:7], 2, v[6:7]
	v_lshl_add_u64 v[6:7], s[30:31], 0, v[6:7]
	v_or_b32_e32 v29, 0x1a00, v0
	v_or_b32_e32 v28, 0x1c00, v0
	v_lshl_add_u64 v[6:7], v[6:7], 0, v[22:23]
	s_and_b64 vcc, exec, s[2:3]
	v_lshl_add_u64 v[8:9], s[28:29], 0, v[8:9]
	s_cbranch_vccnz .LBB330_85
; %bb.84:
	v_cmp_gt_u32_e32 vcc, v38, v0
	v_mov_b32_e32 v19, v41
	v_lshlrev_b32_e32 v40, 2, v44
	v_cndmask_b32_e32 v21, v7, v9, vcc
	v_cndmask_b32_e32 v20, v6, v8, vcc
	v_lshl_add_u64 v[20:21], v[20:21], 0, v[18:19]
	v_cmp_lt_u32_e32 vcc, v45, v38
	s_waitcnt lgkmcnt(7)
	global_store_dword v[20:21], v26, off
	v_cndmask_b32_e32 v21, v7, v9, vcc
	v_cndmask_b32_e32 v20, v6, v8, vcc
	v_lshl_add_u64 v[20:21], v[20:21], 0, v[18:19]
	v_cmp_lt_u32_e32 vcc, v44, v38
	global_store_dword v[20:21], v27, off offset:2048
	s_mov_b64 s[0:1], -1
	v_cndmask_b32_e32 v21, v7, v9, vcc
	v_cndmask_b32_e32 v20, v6, v8, vcc
	v_lshl_add_u64 v[20:21], v[20:21], 0, v[40:41]
	v_cmp_lt_u32_e32 vcc, v43, v38
	s_waitcnt lgkmcnt(6)
	global_store_dword v[20:21], v24, off
	v_lshlrev_b32_e32 v40, 2, v43
	v_cndmask_b32_e32 v21, v7, v9, vcc
	v_cndmask_b32_e32 v20, v6, v8, vcc
	v_lshl_add_u64 v[20:21], v[20:21], 0, v[40:41]
	v_cmp_lt_u32_e32 vcc, v42, v38
	global_store_dword v[20:21], v25, off
	v_lshlrev_b32_e32 v40, 2, v42
	v_cndmask_b32_e32 v21, v7, v9, vcc
	v_cndmask_b32_e32 v20, v6, v8, vcc
	v_lshl_add_u64 v[20:21], v[20:21], 0, v[40:41]
	v_cmp_lt_u32_e32 vcc, v37, v38
	s_waitcnt lgkmcnt(5)
	global_store_dword v[20:21], v16, off
	v_lshlrev_b32_e32 v40, 2, v37
	v_cndmask_b32_e32 v21, v7, v9, vcc
	v_cndmask_b32_e32 v20, v6, v8, vcc
	v_lshl_add_u64 v[20:21], v[20:21], 0, v[40:41]
	v_cmp_lt_u32_e32 vcc, v36, v38
	global_store_dword v[20:21], v17, off
	v_lshlrev_b32_e32 v40, 2, v36
	;; [unrolled: 13-line block ×5, first 2 shown]
	v_cndmask_b32_e32 v21, v7, v9, vcc
	v_cndmask_b32_e32 v20, v6, v8, vcc
	v_lshl_add_u64 v[20:21], v[20:21], 0, v[40:41]
	v_cmp_lt_u32_e32 vcc, v29, v38
	s_waitcnt lgkmcnt(1)
	global_store_dword v[20:21], v4, off
	v_lshlrev_b32_e32 v40, 2, v29
	v_cndmask_b32_e32 v21, v7, v9, vcc
	v_cndmask_b32_e32 v20, v6, v8, vcc
	v_lshl_add_u64 v[20:21], v[20:21], 0, v[40:41]
	global_store_dword v[20:21], v5, off
	s_cbranch_execz .LBB330_86
	s_branch .LBB330_102
.LBB330_85:
	s_mov_b64 s[0:1], 0
.LBB330_86:
	v_cmp_gt_u32_e32 vcc, s33, v0
	s_and_saveexec_b64 s[0:1], vcc
	s_cbranch_execnz .LBB330_107
; %bb.87:
	s_or_b64 exec, exec, s[0:1]
	v_cmp_gt_u32_e32 vcc, s33, v45
	s_and_saveexec_b64 s[0:1], vcc
	s_cbranch_execnz .LBB330_108
.LBB330_88:
	s_or_b64 exec, exec, s[0:1]
	v_cmp_gt_u32_e32 vcc, s33, v44
	s_and_saveexec_b64 s[0:1], vcc
	s_cbranch_execnz .LBB330_109
.LBB330_89:
	s_or_b64 exec, exec, s[0:1]
	v_cmp_gt_u32_e32 vcc, s33, v43
	s_and_saveexec_b64 s[0:1], vcc
	s_cbranch_execnz .LBB330_110
.LBB330_90:
	s_or_b64 exec, exec, s[0:1]
	v_cmp_gt_u32_e32 vcc, s33, v42
	s_and_saveexec_b64 s[0:1], vcc
	s_cbranch_execnz .LBB330_111
.LBB330_91:
	s_or_b64 exec, exec, s[0:1]
	v_cmp_gt_u32_e32 vcc, s33, v37
	s_and_saveexec_b64 s[0:1], vcc
	s_cbranch_execnz .LBB330_112
.LBB330_92:
	s_or_b64 exec, exec, s[0:1]
	v_cmp_gt_u32_e32 vcc, s33, v36
	s_and_saveexec_b64 s[0:1], vcc
	s_cbranch_execnz .LBB330_113
.LBB330_93:
	s_or_b64 exec, exec, s[0:1]
	v_cmp_gt_u32_e32 vcc, s33, v35
	s_and_saveexec_b64 s[0:1], vcc
	s_cbranch_execnz .LBB330_114
.LBB330_94:
	s_or_b64 exec, exec, s[0:1]
	v_cmp_gt_u32_e32 vcc, s33, v34
	s_and_saveexec_b64 s[0:1], vcc
	s_cbranch_execnz .LBB330_115
.LBB330_95:
	s_or_b64 exec, exec, s[0:1]
	v_cmp_gt_u32_e32 vcc, s33, v33
	s_and_saveexec_b64 s[0:1], vcc
	s_cbranch_execnz .LBB330_116
.LBB330_96:
	s_or_b64 exec, exec, s[0:1]
	v_cmp_gt_u32_e32 vcc, s33, v32
	s_and_saveexec_b64 s[0:1], vcc
	s_cbranch_execnz .LBB330_117
.LBB330_97:
	s_or_b64 exec, exec, s[0:1]
	v_cmp_gt_u32_e32 vcc, s33, v31
	s_and_saveexec_b64 s[0:1], vcc
	s_cbranch_execnz .LBB330_118
.LBB330_98:
	s_or_b64 exec, exec, s[0:1]
	v_cmp_gt_u32_e32 vcc, s33, v30
	s_and_saveexec_b64 s[0:1], vcc
	s_cbranch_execnz .LBB330_119
.LBB330_99:
	s_or_b64 exec, exec, s[0:1]
	v_cmp_gt_u32_e32 vcc, s33, v29
	s_and_saveexec_b64 s[0:1], vcc
	s_cbranch_execz .LBB330_101
.LBB330_100:
	v_cmp_lt_u32_e32 vcc, v29, v38
	s_waitcnt lgkmcnt(3)
	v_lshlrev_b32_e32 v12, 2, v29
	v_mov_b32_e32 v13, 0
	s_waitcnt lgkmcnt(2)
	v_cndmask_b32_e32 v11, v7, v9, vcc
	v_cndmask_b32_e32 v10, v6, v8, vcc
	v_lshl_add_u64 v[10:11], v[10:11], 0, v[12:13]
	s_waitcnt lgkmcnt(1)
	global_store_dword v[10:11], v5, off
.LBB330_101:
	s_or_b64 exec, exec, s[0:1]
	v_cmp_gt_u32_e64 s[0:1], s33, v28
.LBB330_102:
	s_and_saveexec_b64 s[2:3], s[0:1]
	s_cbranch_execnz .LBB330_105
; %bb.103:
	s_or_b64 exec, exec, s[2:3]
	s_and_b64 s[0:1], s[20:21], s[22:23]
	s_and_saveexec_b64 s[2:3], s[0:1]
	s_cbranch_execnz .LBB330_106
.LBB330_104:
	s_endpgm
.LBB330_105:
	v_cmp_lt_u32_e32 vcc, v28, v38
	s_waitcnt lgkmcnt(1)
	s_nop 0
	v_cndmask_b32_e32 v5, v7, v9, vcc
	v_cndmask_b32_e32 v4, v6, v8, vcc
	v_lshlrev_b32_e32 v6, 2, v28
	v_mov_b32_e32 v7, 0
	v_lshl_add_u64 v[4:5], v[4:5], 0, v[6:7]
	s_waitcnt lgkmcnt(0)
	global_store_dword v[4:5], v1, off
	s_or_b64 exec, exec, s[2:3]
	s_and_b64 s[0:1], s[20:21], s[22:23]
	s_and_saveexec_b64 s[2:3], s[0:1]
	s_cbranch_execz .LBB330_104
.LBB330_106:
	v_mov_b32_e32 v0, 0
	global_store_dwordx2 v0, v[2:3], s[24:25]
	s_endpgm
.LBB330_107:
	v_cmp_gt_u32_e32 vcc, v38, v0
	v_mov_b32_e32 v19, 0
	s_nop 0
	v_cndmask_b32_e32 v21, v7, v9, vcc
	v_cndmask_b32_e32 v20, v6, v8, vcc
	v_lshl_add_u64 v[20:21], v[20:21], 0, v[18:19]
	s_waitcnt lgkmcnt(7)
	global_store_dword v[20:21], v26, off
	s_or_b64 exec, exec, s[0:1]
	v_cmp_gt_u32_e32 vcc, s33, v45
	s_and_saveexec_b64 s[0:1], vcc
	s_cbranch_execz .LBB330_88
.LBB330_108:
	v_cmp_lt_u32_e32 vcc, v45, v38
	v_mov_b32_e32 v19, 0
	s_nop 0
	v_cndmask_b32_e32 v21, v7, v9, vcc
	v_cndmask_b32_e32 v20, v6, v8, vcc
	v_lshl_add_u64 v[18:19], v[20:21], 0, v[18:19]
	s_waitcnt lgkmcnt(7)
	global_store_dword v[18:19], v27, off offset:2048
	s_or_b64 exec, exec, s[0:1]
	v_cmp_gt_u32_e32 vcc, s33, v44
	s_and_saveexec_b64 s[0:1], vcc
	s_cbranch_execz .LBB330_89
.LBB330_109:
	v_cmp_lt_u32_e32 vcc, v44, v38
	v_lshlrev_b32_e32 v20, 2, v44
	v_mov_b32_e32 v21, 0
	v_cndmask_b32_e32 v19, v7, v9, vcc
	v_cndmask_b32_e32 v18, v6, v8, vcc
	v_lshl_add_u64 v[18:19], v[18:19], 0, v[20:21]
	s_waitcnt lgkmcnt(6)
	global_store_dword v[18:19], v24, off
	s_or_b64 exec, exec, s[0:1]
	v_cmp_gt_u32_e32 vcc, s33, v43
	s_and_saveexec_b64 s[0:1], vcc
	s_cbranch_execz .LBB330_90
.LBB330_110:
	v_cmp_lt_u32_e32 vcc, v43, v38
	v_lshlrev_b32_e32 v20, 2, v43
	v_mov_b32_e32 v21, 0
	v_cndmask_b32_e32 v19, v7, v9, vcc
	v_cndmask_b32_e32 v18, v6, v8, vcc
	v_lshl_add_u64 v[18:19], v[18:19], 0, v[20:21]
	s_waitcnt lgkmcnt(6)
	global_store_dword v[18:19], v25, off
	s_or_b64 exec, exec, s[0:1]
	v_cmp_gt_u32_e32 vcc, s33, v42
	s_and_saveexec_b64 s[0:1], vcc
	s_cbranch_execz .LBB330_91
.LBB330_111:
	v_cmp_lt_u32_e32 vcc, v42, v38
	v_lshlrev_b32_e32 v20, 2, v42
	v_mov_b32_e32 v21, 0
	v_cndmask_b32_e32 v19, v7, v9, vcc
	v_cndmask_b32_e32 v18, v6, v8, vcc
	v_lshl_add_u64 v[18:19], v[18:19], 0, v[20:21]
	s_waitcnt lgkmcnt(5)
	global_store_dword v[18:19], v16, off
	s_or_b64 exec, exec, s[0:1]
	v_cmp_gt_u32_e32 vcc, s33, v37
	s_and_saveexec_b64 s[0:1], vcc
	s_cbranch_execz .LBB330_92
.LBB330_112:
	v_cmp_lt_u32_e32 vcc, v37, v38
	v_lshlrev_b32_e32 v20, 2, v37
	v_mov_b32_e32 v21, 0
	v_cndmask_b32_e32 v19, v7, v9, vcc
	v_cndmask_b32_e32 v18, v6, v8, vcc
	v_lshl_add_u64 v[18:19], v[18:19], 0, v[20:21]
	s_waitcnt lgkmcnt(5)
	global_store_dword v[18:19], v17, off
	s_or_b64 exec, exec, s[0:1]
	v_cmp_gt_u32_e32 vcc, s33, v36
	s_and_saveexec_b64 s[0:1], vcc
	s_cbranch_execz .LBB330_93
.LBB330_113:
	v_cmp_lt_u32_e32 vcc, v36, v38
	v_lshlrev_b32_e32 v18, 2, v36
	v_mov_b32_e32 v19, 0
	s_waitcnt lgkmcnt(5)
	v_cndmask_b32_e32 v17, v7, v9, vcc
	v_cndmask_b32_e32 v16, v6, v8, vcc
	v_lshl_add_u64 v[16:17], v[16:17], 0, v[18:19]
	s_waitcnt lgkmcnt(4)
	global_store_dword v[16:17], v14, off
	s_or_b64 exec, exec, s[0:1]
	v_cmp_gt_u32_e32 vcc, s33, v35
	s_and_saveexec_b64 s[0:1], vcc
	s_cbranch_execz .LBB330_94
.LBB330_114:
	v_cmp_lt_u32_e32 vcc, v35, v38
	v_lshlrev_b32_e32 v18, 2, v35
	v_mov_b32_e32 v19, 0
	s_waitcnt lgkmcnt(5)
	v_cndmask_b32_e32 v17, v7, v9, vcc
	v_cndmask_b32_e32 v16, v6, v8, vcc
	v_lshl_add_u64 v[16:17], v[16:17], 0, v[18:19]
	s_waitcnt lgkmcnt(4)
	global_store_dword v[16:17], v15, off
	s_or_b64 exec, exec, s[0:1]
	v_cmp_gt_u32_e32 vcc, s33, v34
	s_and_saveexec_b64 s[0:1], vcc
	s_cbranch_execz .LBB330_95
.LBB330_115:
	v_cmp_lt_u32_e32 vcc, v34, v38
	s_waitcnt lgkmcnt(5)
	v_lshlrev_b32_e32 v16, 2, v34
	v_mov_b32_e32 v17, 0
	s_waitcnt lgkmcnt(4)
	v_cndmask_b32_e32 v15, v7, v9, vcc
	v_cndmask_b32_e32 v14, v6, v8, vcc
	v_lshl_add_u64 v[14:15], v[14:15], 0, v[16:17]
	s_waitcnt lgkmcnt(3)
	global_store_dword v[14:15], v12, off
	s_or_b64 exec, exec, s[0:1]
	v_cmp_gt_u32_e32 vcc, s33, v33
	s_and_saveexec_b64 s[0:1], vcc
	s_cbranch_execz .LBB330_96
.LBB330_116:
	v_cmp_lt_u32_e32 vcc, v33, v38
	s_waitcnt lgkmcnt(5)
	v_lshlrev_b32_e32 v16, 2, v33
	v_mov_b32_e32 v17, 0
	s_waitcnt lgkmcnt(4)
	v_cndmask_b32_e32 v15, v7, v9, vcc
	v_cndmask_b32_e32 v14, v6, v8, vcc
	v_lshl_add_u64 v[14:15], v[14:15], 0, v[16:17]
	s_waitcnt lgkmcnt(3)
	global_store_dword v[14:15], v13, off
	s_or_b64 exec, exec, s[0:1]
	v_cmp_gt_u32_e32 vcc, s33, v32
	s_and_saveexec_b64 s[0:1], vcc
	s_cbranch_execz .LBB330_97
.LBB330_117:
	v_cmp_lt_u32_e32 vcc, v32, v38
	s_waitcnt lgkmcnt(4)
	v_lshlrev_b32_e32 v14, 2, v32
	v_mov_b32_e32 v15, 0
	s_waitcnt lgkmcnt(3)
	v_cndmask_b32_e32 v13, v7, v9, vcc
	v_cndmask_b32_e32 v12, v6, v8, vcc
	v_lshl_add_u64 v[12:13], v[12:13], 0, v[14:15]
	s_waitcnt lgkmcnt(2)
	global_store_dword v[12:13], v10, off
	s_or_b64 exec, exec, s[0:1]
	v_cmp_gt_u32_e32 vcc, s33, v31
	s_and_saveexec_b64 s[0:1], vcc
	s_cbranch_execz .LBB330_98
.LBB330_118:
	v_cmp_lt_u32_e32 vcc, v31, v38
	s_waitcnt lgkmcnt(4)
	v_lshlrev_b32_e32 v14, 2, v31
	v_mov_b32_e32 v15, 0
	s_waitcnt lgkmcnt(3)
	v_cndmask_b32_e32 v13, v7, v9, vcc
	v_cndmask_b32_e32 v12, v6, v8, vcc
	v_lshl_add_u64 v[12:13], v[12:13], 0, v[14:15]
	s_waitcnt lgkmcnt(2)
	global_store_dword v[12:13], v11, off
	s_or_b64 exec, exec, s[0:1]
	v_cmp_gt_u32_e32 vcc, s33, v30
	s_and_saveexec_b64 s[0:1], vcc
	s_cbranch_execz .LBB330_99
.LBB330_119:
	v_cmp_lt_u32_e32 vcc, v30, v38
	s_waitcnt lgkmcnt(3)
	v_lshlrev_b32_e32 v12, 2, v30
	v_mov_b32_e32 v13, 0
	s_waitcnt lgkmcnt(2)
	v_cndmask_b32_e32 v11, v7, v9, vcc
	v_cndmask_b32_e32 v10, v6, v8, vcc
	v_lshl_add_u64 v[10:11], v[10:11], 0, v[12:13]
	s_waitcnt lgkmcnt(1)
	global_store_dword v[10:11], v4, off
	s_or_b64 exec, exec, s[0:1]
	v_cmp_gt_u32_e32 vcc, s33, v29
	s_and_saveexec_b64 s[0:1], vcc
	s_cbranch_execnz .LBB330_100
	s_branch .LBB330_101
	.section	.rodata,"a",@progbits
	.p2align	6, 0x0
	.amdhsa_kernel _ZN7rocprim17ROCPRIM_400000_NS6detail17trampoline_kernelINS0_14default_configENS1_25partition_config_selectorILNS1_17partition_subalgoE0EiNS0_10empty_typeEbEEZZNS1_14partition_implILS5_0ELb0ES3_jN6thrust23THRUST_200600_302600_NS6detail15normal_iteratorINSA_10device_ptrIiEEEEPS6_SG_NS0_5tupleIJSF_SF_EEENSH_IJSG_SG_EEES6_PlJ7is_evenIiEEEE10hipError_tPvRmT3_T4_T5_T6_T7_T9_mT8_P12ihipStream_tbDpT10_ENKUlT_T0_E_clISt17integral_constantIbLb1EES16_EEDaS11_S12_EUlS11_E_NS1_11comp_targetILNS1_3genE5ELNS1_11target_archE942ELNS1_3gpuE9ELNS1_3repE0EEENS1_30default_config_static_selectorELNS0_4arch9wavefront6targetE1EEEvT1_
		.amdhsa_group_segment_fixed_size 30728
		.amdhsa_private_segment_fixed_size 0
		.amdhsa_kernarg_size 136
		.amdhsa_user_sgpr_count 2
		.amdhsa_user_sgpr_dispatch_ptr 0
		.amdhsa_user_sgpr_queue_ptr 0
		.amdhsa_user_sgpr_kernarg_segment_ptr 1
		.amdhsa_user_sgpr_dispatch_id 0
		.amdhsa_user_sgpr_kernarg_preload_length 0
		.amdhsa_user_sgpr_kernarg_preload_offset 0
		.amdhsa_user_sgpr_private_segment_size 0
		.amdhsa_uses_dynamic_stack 0
		.amdhsa_enable_private_segment 0
		.amdhsa_system_sgpr_workgroup_id_x 1
		.amdhsa_system_sgpr_workgroup_id_y 0
		.amdhsa_system_sgpr_workgroup_id_z 0
		.amdhsa_system_sgpr_workgroup_info 0
		.amdhsa_system_vgpr_workitem_id 0
		.amdhsa_next_free_vgpr 80
		.amdhsa_next_free_sgpr 44
		.amdhsa_accum_offset 80
		.amdhsa_reserve_vcc 1
		.amdhsa_float_round_mode_32 0
		.amdhsa_float_round_mode_16_64 0
		.amdhsa_float_denorm_mode_32 3
		.amdhsa_float_denorm_mode_16_64 3
		.amdhsa_dx10_clamp 1
		.amdhsa_ieee_mode 1
		.amdhsa_fp16_overflow 0
		.amdhsa_tg_split 0
		.amdhsa_exception_fp_ieee_invalid_op 0
		.amdhsa_exception_fp_denorm_src 0
		.amdhsa_exception_fp_ieee_div_zero 0
		.amdhsa_exception_fp_ieee_overflow 0
		.amdhsa_exception_fp_ieee_underflow 0
		.amdhsa_exception_fp_ieee_inexact 0
		.amdhsa_exception_int_div_zero 0
	.end_amdhsa_kernel
	.section	.text._ZN7rocprim17ROCPRIM_400000_NS6detail17trampoline_kernelINS0_14default_configENS1_25partition_config_selectorILNS1_17partition_subalgoE0EiNS0_10empty_typeEbEEZZNS1_14partition_implILS5_0ELb0ES3_jN6thrust23THRUST_200600_302600_NS6detail15normal_iteratorINSA_10device_ptrIiEEEEPS6_SG_NS0_5tupleIJSF_SF_EEENSH_IJSG_SG_EEES6_PlJ7is_evenIiEEEE10hipError_tPvRmT3_T4_T5_T6_T7_T9_mT8_P12ihipStream_tbDpT10_ENKUlT_T0_E_clISt17integral_constantIbLb1EES16_EEDaS11_S12_EUlS11_E_NS1_11comp_targetILNS1_3genE5ELNS1_11target_archE942ELNS1_3gpuE9ELNS1_3repE0EEENS1_30default_config_static_selectorELNS0_4arch9wavefront6targetE1EEEvT1_,"axG",@progbits,_ZN7rocprim17ROCPRIM_400000_NS6detail17trampoline_kernelINS0_14default_configENS1_25partition_config_selectorILNS1_17partition_subalgoE0EiNS0_10empty_typeEbEEZZNS1_14partition_implILS5_0ELb0ES3_jN6thrust23THRUST_200600_302600_NS6detail15normal_iteratorINSA_10device_ptrIiEEEEPS6_SG_NS0_5tupleIJSF_SF_EEENSH_IJSG_SG_EEES6_PlJ7is_evenIiEEEE10hipError_tPvRmT3_T4_T5_T6_T7_T9_mT8_P12ihipStream_tbDpT10_ENKUlT_T0_E_clISt17integral_constantIbLb1EES16_EEDaS11_S12_EUlS11_E_NS1_11comp_targetILNS1_3genE5ELNS1_11target_archE942ELNS1_3gpuE9ELNS1_3repE0EEENS1_30default_config_static_selectorELNS0_4arch9wavefront6targetE1EEEvT1_,comdat
.Lfunc_end330:
	.size	_ZN7rocprim17ROCPRIM_400000_NS6detail17trampoline_kernelINS0_14default_configENS1_25partition_config_selectorILNS1_17partition_subalgoE0EiNS0_10empty_typeEbEEZZNS1_14partition_implILS5_0ELb0ES3_jN6thrust23THRUST_200600_302600_NS6detail15normal_iteratorINSA_10device_ptrIiEEEEPS6_SG_NS0_5tupleIJSF_SF_EEENSH_IJSG_SG_EEES6_PlJ7is_evenIiEEEE10hipError_tPvRmT3_T4_T5_T6_T7_T9_mT8_P12ihipStream_tbDpT10_ENKUlT_T0_E_clISt17integral_constantIbLb1EES16_EEDaS11_S12_EUlS11_E_NS1_11comp_targetILNS1_3genE5ELNS1_11target_archE942ELNS1_3gpuE9ELNS1_3repE0EEENS1_30default_config_static_selectorELNS0_4arch9wavefront6targetE1EEEvT1_, .Lfunc_end330-_ZN7rocprim17ROCPRIM_400000_NS6detail17trampoline_kernelINS0_14default_configENS1_25partition_config_selectorILNS1_17partition_subalgoE0EiNS0_10empty_typeEbEEZZNS1_14partition_implILS5_0ELb0ES3_jN6thrust23THRUST_200600_302600_NS6detail15normal_iteratorINSA_10device_ptrIiEEEEPS6_SG_NS0_5tupleIJSF_SF_EEENSH_IJSG_SG_EEES6_PlJ7is_evenIiEEEE10hipError_tPvRmT3_T4_T5_T6_T7_T9_mT8_P12ihipStream_tbDpT10_ENKUlT_T0_E_clISt17integral_constantIbLb1EES16_EEDaS11_S12_EUlS11_E_NS1_11comp_targetILNS1_3genE5ELNS1_11target_archE942ELNS1_3gpuE9ELNS1_3repE0EEENS1_30default_config_static_selectorELNS0_4arch9wavefront6targetE1EEEvT1_
                                        ; -- End function
	.section	.AMDGPU.csdata,"",@progbits
; Kernel info:
; codeLenInByte = 6828
; NumSgprs: 50
; NumVgprs: 80
; NumAgprs: 0
; TotalNumVgprs: 80
; ScratchSize: 0
; MemoryBound: 0
; FloatMode: 240
; IeeeMode: 1
; LDSByteSize: 30728 bytes/workgroup (compile time only)
; SGPRBlocks: 6
; VGPRBlocks: 9
; NumSGPRsForWavesPerEU: 50
; NumVGPRsForWavesPerEU: 80
; AccumOffset: 80
; Occupancy: 4
; WaveLimiterHint : 1
; COMPUTE_PGM_RSRC2:SCRATCH_EN: 0
; COMPUTE_PGM_RSRC2:USER_SGPR: 2
; COMPUTE_PGM_RSRC2:TRAP_HANDLER: 0
; COMPUTE_PGM_RSRC2:TGID_X_EN: 1
; COMPUTE_PGM_RSRC2:TGID_Y_EN: 0
; COMPUTE_PGM_RSRC2:TGID_Z_EN: 0
; COMPUTE_PGM_RSRC2:TIDIG_COMP_CNT: 0
; COMPUTE_PGM_RSRC3_GFX90A:ACCUM_OFFSET: 19
; COMPUTE_PGM_RSRC3_GFX90A:TG_SPLIT: 0
	.section	.text._ZN7rocprim17ROCPRIM_400000_NS6detail17trampoline_kernelINS0_14default_configENS1_25partition_config_selectorILNS1_17partition_subalgoE0EiNS0_10empty_typeEbEEZZNS1_14partition_implILS5_0ELb0ES3_jN6thrust23THRUST_200600_302600_NS6detail15normal_iteratorINSA_10device_ptrIiEEEEPS6_SG_NS0_5tupleIJSF_SF_EEENSH_IJSG_SG_EEES6_PlJ7is_evenIiEEEE10hipError_tPvRmT3_T4_T5_T6_T7_T9_mT8_P12ihipStream_tbDpT10_ENKUlT_T0_E_clISt17integral_constantIbLb1EES16_EEDaS11_S12_EUlS11_E_NS1_11comp_targetILNS1_3genE4ELNS1_11target_archE910ELNS1_3gpuE8ELNS1_3repE0EEENS1_30default_config_static_selectorELNS0_4arch9wavefront6targetE1EEEvT1_,"axG",@progbits,_ZN7rocprim17ROCPRIM_400000_NS6detail17trampoline_kernelINS0_14default_configENS1_25partition_config_selectorILNS1_17partition_subalgoE0EiNS0_10empty_typeEbEEZZNS1_14partition_implILS5_0ELb0ES3_jN6thrust23THRUST_200600_302600_NS6detail15normal_iteratorINSA_10device_ptrIiEEEEPS6_SG_NS0_5tupleIJSF_SF_EEENSH_IJSG_SG_EEES6_PlJ7is_evenIiEEEE10hipError_tPvRmT3_T4_T5_T6_T7_T9_mT8_P12ihipStream_tbDpT10_ENKUlT_T0_E_clISt17integral_constantIbLb1EES16_EEDaS11_S12_EUlS11_E_NS1_11comp_targetILNS1_3genE4ELNS1_11target_archE910ELNS1_3gpuE8ELNS1_3repE0EEENS1_30default_config_static_selectorELNS0_4arch9wavefront6targetE1EEEvT1_,comdat
	.protected	_ZN7rocprim17ROCPRIM_400000_NS6detail17trampoline_kernelINS0_14default_configENS1_25partition_config_selectorILNS1_17partition_subalgoE0EiNS0_10empty_typeEbEEZZNS1_14partition_implILS5_0ELb0ES3_jN6thrust23THRUST_200600_302600_NS6detail15normal_iteratorINSA_10device_ptrIiEEEEPS6_SG_NS0_5tupleIJSF_SF_EEENSH_IJSG_SG_EEES6_PlJ7is_evenIiEEEE10hipError_tPvRmT3_T4_T5_T6_T7_T9_mT8_P12ihipStream_tbDpT10_ENKUlT_T0_E_clISt17integral_constantIbLb1EES16_EEDaS11_S12_EUlS11_E_NS1_11comp_targetILNS1_3genE4ELNS1_11target_archE910ELNS1_3gpuE8ELNS1_3repE0EEENS1_30default_config_static_selectorELNS0_4arch9wavefront6targetE1EEEvT1_ ; -- Begin function _ZN7rocprim17ROCPRIM_400000_NS6detail17trampoline_kernelINS0_14default_configENS1_25partition_config_selectorILNS1_17partition_subalgoE0EiNS0_10empty_typeEbEEZZNS1_14partition_implILS5_0ELb0ES3_jN6thrust23THRUST_200600_302600_NS6detail15normal_iteratorINSA_10device_ptrIiEEEEPS6_SG_NS0_5tupleIJSF_SF_EEENSH_IJSG_SG_EEES6_PlJ7is_evenIiEEEE10hipError_tPvRmT3_T4_T5_T6_T7_T9_mT8_P12ihipStream_tbDpT10_ENKUlT_T0_E_clISt17integral_constantIbLb1EES16_EEDaS11_S12_EUlS11_E_NS1_11comp_targetILNS1_3genE4ELNS1_11target_archE910ELNS1_3gpuE8ELNS1_3repE0EEENS1_30default_config_static_selectorELNS0_4arch9wavefront6targetE1EEEvT1_
	.globl	_ZN7rocprim17ROCPRIM_400000_NS6detail17trampoline_kernelINS0_14default_configENS1_25partition_config_selectorILNS1_17partition_subalgoE0EiNS0_10empty_typeEbEEZZNS1_14partition_implILS5_0ELb0ES3_jN6thrust23THRUST_200600_302600_NS6detail15normal_iteratorINSA_10device_ptrIiEEEEPS6_SG_NS0_5tupleIJSF_SF_EEENSH_IJSG_SG_EEES6_PlJ7is_evenIiEEEE10hipError_tPvRmT3_T4_T5_T6_T7_T9_mT8_P12ihipStream_tbDpT10_ENKUlT_T0_E_clISt17integral_constantIbLb1EES16_EEDaS11_S12_EUlS11_E_NS1_11comp_targetILNS1_3genE4ELNS1_11target_archE910ELNS1_3gpuE8ELNS1_3repE0EEENS1_30default_config_static_selectorELNS0_4arch9wavefront6targetE1EEEvT1_
	.p2align	8
	.type	_ZN7rocprim17ROCPRIM_400000_NS6detail17trampoline_kernelINS0_14default_configENS1_25partition_config_selectorILNS1_17partition_subalgoE0EiNS0_10empty_typeEbEEZZNS1_14partition_implILS5_0ELb0ES3_jN6thrust23THRUST_200600_302600_NS6detail15normal_iteratorINSA_10device_ptrIiEEEEPS6_SG_NS0_5tupleIJSF_SF_EEENSH_IJSG_SG_EEES6_PlJ7is_evenIiEEEE10hipError_tPvRmT3_T4_T5_T6_T7_T9_mT8_P12ihipStream_tbDpT10_ENKUlT_T0_E_clISt17integral_constantIbLb1EES16_EEDaS11_S12_EUlS11_E_NS1_11comp_targetILNS1_3genE4ELNS1_11target_archE910ELNS1_3gpuE8ELNS1_3repE0EEENS1_30default_config_static_selectorELNS0_4arch9wavefront6targetE1EEEvT1_,@function
_ZN7rocprim17ROCPRIM_400000_NS6detail17trampoline_kernelINS0_14default_configENS1_25partition_config_selectorILNS1_17partition_subalgoE0EiNS0_10empty_typeEbEEZZNS1_14partition_implILS5_0ELb0ES3_jN6thrust23THRUST_200600_302600_NS6detail15normal_iteratorINSA_10device_ptrIiEEEEPS6_SG_NS0_5tupleIJSF_SF_EEENSH_IJSG_SG_EEES6_PlJ7is_evenIiEEEE10hipError_tPvRmT3_T4_T5_T6_T7_T9_mT8_P12ihipStream_tbDpT10_ENKUlT_T0_E_clISt17integral_constantIbLb1EES16_EEDaS11_S12_EUlS11_E_NS1_11comp_targetILNS1_3genE4ELNS1_11target_archE910ELNS1_3gpuE8ELNS1_3repE0EEENS1_30default_config_static_selectorELNS0_4arch9wavefront6targetE1EEEvT1_: ; @_ZN7rocprim17ROCPRIM_400000_NS6detail17trampoline_kernelINS0_14default_configENS1_25partition_config_selectorILNS1_17partition_subalgoE0EiNS0_10empty_typeEbEEZZNS1_14partition_implILS5_0ELb0ES3_jN6thrust23THRUST_200600_302600_NS6detail15normal_iteratorINSA_10device_ptrIiEEEEPS6_SG_NS0_5tupleIJSF_SF_EEENSH_IJSG_SG_EEES6_PlJ7is_evenIiEEEE10hipError_tPvRmT3_T4_T5_T6_T7_T9_mT8_P12ihipStream_tbDpT10_ENKUlT_T0_E_clISt17integral_constantIbLb1EES16_EEDaS11_S12_EUlS11_E_NS1_11comp_targetILNS1_3genE4ELNS1_11target_archE910ELNS1_3gpuE8ELNS1_3repE0EEENS1_30default_config_static_selectorELNS0_4arch9wavefront6targetE1EEEvT1_
; %bb.0:
	.section	.rodata,"a",@progbits
	.p2align	6, 0x0
	.amdhsa_kernel _ZN7rocprim17ROCPRIM_400000_NS6detail17trampoline_kernelINS0_14default_configENS1_25partition_config_selectorILNS1_17partition_subalgoE0EiNS0_10empty_typeEbEEZZNS1_14partition_implILS5_0ELb0ES3_jN6thrust23THRUST_200600_302600_NS6detail15normal_iteratorINSA_10device_ptrIiEEEEPS6_SG_NS0_5tupleIJSF_SF_EEENSH_IJSG_SG_EEES6_PlJ7is_evenIiEEEE10hipError_tPvRmT3_T4_T5_T6_T7_T9_mT8_P12ihipStream_tbDpT10_ENKUlT_T0_E_clISt17integral_constantIbLb1EES16_EEDaS11_S12_EUlS11_E_NS1_11comp_targetILNS1_3genE4ELNS1_11target_archE910ELNS1_3gpuE8ELNS1_3repE0EEENS1_30default_config_static_selectorELNS0_4arch9wavefront6targetE1EEEvT1_
		.amdhsa_group_segment_fixed_size 0
		.amdhsa_private_segment_fixed_size 0
		.amdhsa_kernarg_size 136
		.amdhsa_user_sgpr_count 2
		.amdhsa_user_sgpr_dispatch_ptr 0
		.amdhsa_user_sgpr_queue_ptr 0
		.amdhsa_user_sgpr_kernarg_segment_ptr 1
		.amdhsa_user_sgpr_dispatch_id 0
		.amdhsa_user_sgpr_kernarg_preload_length 0
		.amdhsa_user_sgpr_kernarg_preload_offset 0
		.amdhsa_user_sgpr_private_segment_size 0
		.amdhsa_uses_dynamic_stack 0
		.amdhsa_enable_private_segment 0
		.amdhsa_system_sgpr_workgroup_id_x 1
		.amdhsa_system_sgpr_workgroup_id_y 0
		.amdhsa_system_sgpr_workgroup_id_z 0
		.amdhsa_system_sgpr_workgroup_info 0
		.amdhsa_system_vgpr_workitem_id 0
		.amdhsa_next_free_vgpr 1
		.amdhsa_next_free_sgpr 0
		.amdhsa_accum_offset 4
		.amdhsa_reserve_vcc 0
		.amdhsa_float_round_mode_32 0
		.amdhsa_float_round_mode_16_64 0
		.amdhsa_float_denorm_mode_32 3
		.amdhsa_float_denorm_mode_16_64 3
		.amdhsa_dx10_clamp 1
		.amdhsa_ieee_mode 1
		.amdhsa_fp16_overflow 0
		.amdhsa_tg_split 0
		.amdhsa_exception_fp_ieee_invalid_op 0
		.amdhsa_exception_fp_denorm_src 0
		.amdhsa_exception_fp_ieee_div_zero 0
		.amdhsa_exception_fp_ieee_overflow 0
		.amdhsa_exception_fp_ieee_underflow 0
		.amdhsa_exception_fp_ieee_inexact 0
		.amdhsa_exception_int_div_zero 0
	.end_amdhsa_kernel
	.section	.text._ZN7rocprim17ROCPRIM_400000_NS6detail17trampoline_kernelINS0_14default_configENS1_25partition_config_selectorILNS1_17partition_subalgoE0EiNS0_10empty_typeEbEEZZNS1_14partition_implILS5_0ELb0ES3_jN6thrust23THRUST_200600_302600_NS6detail15normal_iteratorINSA_10device_ptrIiEEEEPS6_SG_NS0_5tupleIJSF_SF_EEENSH_IJSG_SG_EEES6_PlJ7is_evenIiEEEE10hipError_tPvRmT3_T4_T5_T6_T7_T9_mT8_P12ihipStream_tbDpT10_ENKUlT_T0_E_clISt17integral_constantIbLb1EES16_EEDaS11_S12_EUlS11_E_NS1_11comp_targetILNS1_3genE4ELNS1_11target_archE910ELNS1_3gpuE8ELNS1_3repE0EEENS1_30default_config_static_selectorELNS0_4arch9wavefront6targetE1EEEvT1_,"axG",@progbits,_ZN7rocprim17ROCPRIM_400000_NS6detail17trampoline_kernelINS0_14default_configENS1_25partition_config_selectorILNS1_17partition_subalgoE0EiNS0_10empty_typeEbEEZZNS1_14partition_implILS5_0ELb0ES3_jN6thrust23THRUST_200600_302600_NS6detail15normal_iteratorINSA_10device_ptrIiEEEEPS6_SG_NS0_5tupleIJSF_SF_EEENSH_IJSG_SG_EEES6_PlJ7is_evenIiEEEE10hipError_tPvRmT3_T4_T5_T6_T7_T9_mT8_P12ihipStream_tbDpT10_ENKUlT_T0_E_clISt17integral_constantIbLb1EES16_EEDaS11_S12_EUlS11_E_NS1_11comp_targetILNS1_3genE4ELNS1_11target_archE910ELNS1_3gpuE8ELNS1_3repE0EEENS1_30default_config_static_selectorELNS0_4arch9wavefront6targetE1EEEvT1_,comdat
.Lfunc_end331:
	.size	_ZN7rocprim17ROCPRIM_400000_NS6detail17trampoline_kernelINS0_14default_configENS1_25partition_config_selectorILNS1_17partition_subalgoE0EiNS0_10empty_typeEbEEZZNS1_14partition_implILS5_0ELb0ES3_jN6thrust23THRUST_200600_302600_NS6detail15normal_iteratorINSA_10device_ptrIiEEEEPS6_SG_NS0_5tupleIJSF_SF_EEENSH_IJSG_SG_EEES6_PlJ7is_evenIiEEEE10hipError_tPvRmT3_T4_T5_T6_T7_T9_mT8_P12ihipStream_tbDpT10_ENKUlT_T0_E_clISt17integral_constantIbLb1EES16_EEDaS11_S12_EUlS11_E_NS1_11comp_targetILNS1_3genE4ELNS1_11target_archE910ELNS1_3gpuE8ELNS1_3repE0EEENS1_30default_config_static_selectorELNS0_4arch9wavefront6targetE1EEEvT1_, .Lfunc_end331-_ZN7rocprim17ROCPRIM_400000_NS6detail17trampoline_kernelINS0_14default_configENS1_25partition_config_selectorILNS1_17partition_subalgoE0EiNS0_10empty_typeEbEEZZNS1_14partition_implILS5_0ELb0ES3_jN6thrust23THRUST_200600_302600_NS6detail15normal_iteratorINSA_10device_ptrIiEEEEPS6_SG_NS0_5tupleIJSF_SF_EEENSH_IJSG_SG_EEES6_PlJ7is_evenIiEEEE10hipError_tPvRmT3_T4_T5_T6_T7_T9_mT8_P12ihipStream_tbDpT10_ENKUlT_T0_E_clISt17integral_constantIbLb1EES16_EEDaS11_S12_EUlS11_E_NS1_11comp_targetILNS1_3genE4ELNS1_11target_archE910ELNS1_3gpuE8ELNS1_3repE0EEENS1_30default_config_static_selectorELNS0_4arch9wavefront6targetE1EEEvT1_
                                        ; -- End function
	.section	.AMDGPU.csdata,"",@progbits
; Kernel info:
; codeLenInByte = 0
; NumSgprs: 6
; NumVgprs: 0
; NumAgprs: 0
; TotalNumVgprs: 0
; ScratchSize: 0
; MemoryBound: 0
; FloatMode: 240
; IeeeMode: 1
; LDSByteSize: 0 bytes/workgroup (compile time only)
; SGPRBlocks: 0
; VGPRBlocks: 0
; NumSGPRsForWavesPerEU: 6
; NumVGPRsForWavesPerEU: 1
; AccumOffset: 4
; Occupancy: 8
; WaveLimiterHint : 0
; COMPUTE_PGM_RSRC2:SCRATCH_EN: 0
; COMPUTE_PGM_RSRC2:USER_SGPR: 2
; COMPUTE_PGM_RSRC2:TRAP_HANDLER: 0
; COMPUTE_PGM_RSRC2:TGID_X_EN: 1
; COMPUTE_PGM_RSRC2:TGID_Y_EN: 0
; COMPUTE_PGM_RSRC2:TGID_Z_EN: 0
; COMPUTE_PGM_RSRC2:TIDIG_COMP_CNT: 0
; COMPUTE_PGM_RSRC3_GFX90A:ACCUM_OFFSET: 0
; COMPUTE_PGM_RSRC3_GFX90A:TG_SPLIT: 0
	.section	.text._ZN7rocprim17ROCPRIM_400000_NS6detail17trampoline_kernelINS0_14default_configENS1_25partition_config_selectorILNS1_17partition_subalgoE0EiNS0_10empty_typeEbEEZZNS1_14partition_implILS5_0ELb0ES3_jN6thrust23THRUST_200600_302600_NS6detail15normal_iteratorINSA_10device_ptrIiEEEEPS6_SG_NS0_5tupleIJSF_SF_EEENSH_IJSG_SG_EEES6_PlJ7is_evenIiEEEE10hipError_tPvRmT3_T4_T5_T6_T7_T9_mT8_P12ihipStream_tbDpT10_ENKUlT_T0_E_clISt17integral_constantIbLb1EES16_EEDaS11_S12_EUlS11_E_NS1_11comp_targetILNS1_3genE3ELNS1_11target_archE908ELNS1_3gpuE7ELNS1_3repE0EEENS1_30default_config_static_selectorELNS0_4arch9wavefront6targetE1EEEvT1_,"axG",@progbits,_ZN7rocprim17ROCPRIM_400000_NS6detail17trampoline_kernelINS0_14default_configENS1_25partition_config_selectorILNS1_17partition_subalgoE0EiNS0_10empty_typeEbEEZZNS1_14partition_implILS5_0ELb0ES3_jN6thrust23THRUST_200600_302600_NS6detail15normal_iteratorINSA_10device_ptrIiEEEEPS6_SG_NS0_5tupleIJSF_SF_EEENSH_IJSG_SG_EEES6_PlJ7is_evenIiEEEE10hipError_tPvRmT3_T4_T5_T6_T7_T9_mT8_P12ihipStream_tbDpT10_ENKUlT_T0_E_clISt17integral_constantIbLb1EES16_EEDaS11_S12_EUlS11_E_NS1_11comp_targetILNS1_3genE3ELNS1_11target_archE908ELNS1_3gpuE7ELNS1_3repE0EEENS1_30default_config_static_selectorELNS0_4arch9wavefront6targetE1EEEvT1_,comdat
	.protected	_ZN7rocprim17ROCPRIM_400000_NS6detail17trampoline_kernelINS0_14default_configENS1_25partition_config_selectorILNS1_17partition_subalgoE0EiNS0_10empty_typeEbEEZZNS1_14partition_implILS5_0ELb0ES3_jN6thrust23THRUST_200600_302600_NS6detail15normal_iteratorINSA_10device_ptrIiEEEEPS6_SG_NS0_5tupleIJSF_SF_EEENSH_IJSG_SG_EEES6_PlJ7is_evenIiEEEE10hipError_tPvRmT3_T4_T5_T6_T7_T9_mT8_P12ihipStream_tbDpT10_ENKUlT_T0_E_clISt17integral_constantIbLb1EES16_EEDaS11_S12_EUlS11_E_NS1_11comp_targetILNS1_3genE3ELNS1_11target_archE908ELNS1_3gpuE7ELNS1_3repE0EEENS1_30default_config_static_selectorELNS0_4arch9wavefront6targetE1EEEvT1_ ; -- Begin function _ZN7rocprim17ROCPRIM_400000_NS6detail17trampoline_kernelINS0_14default_configENS1_25partition_config_selectorILNS1_17partition_subalgoE0EiNS0_10empty_typeEbEEZZNS1_14partition_implILS5_0ELb0ES3_jN6thrust23THRUST_200600_302600_NS6detail15normal_iteratorINSA_10device_ptrIiEEEEPS6_SG_NS0_5tupleIJSF_SF_EEENSH_IJSG_SG_EEES6_PlJ7is_evenIiEEEE10hipError_tPvRmT3_T4_T5_T6_T7_T9_mT8_P12ihipStream_tbDpT10_ENKUlT_T0_E_clISt17integral_constantIbLb1EES16_EEDaS11_S12_EUlS11_E_NS1_11comp_targetILNS1_3genE3ELNS1_11target_archE908ELNS1_3gpuE7ELNS1_3repE0EEENS1_30default_config_static_selectorELNS0_4arch9wavefront6targetE1EEEvT1_
	.globl	_ZN7rocprim17ROCPRIM_400000_NS6detail17trampoline_kernelINS0_14default_configENS1_25partition_config_selectorILNS1_17partition_subalgoE0EiNS0_10empty_typeEbEEZZNS1_14partition_implILS5_0ELb0ES3_jN6thrust23THRUST_200600_302600_NS6detail15normal_iteratorINSA_10device_ptrIiEEEEPS6_SG_NS0_5tupleIJSF_SF_EEENSH_IJSG_SG_EEES6_PlJ7is_evenIiEEEE10hipError_tPvRmT3_T4_T5_T6_T7_T9_mT8_P12ihipStream_tbDpT10_ENKUlT_T0_E_clISt17integral_constantIbLb1EES16_EEDaS11_S12_EUlS11_E_NS1_11comp_targetILNS1_3genE3ELNS1_11target_archE908ELNS1_3gpuE7ELNS1_3repE0EEENS1_30default_config_static_selectorELNS0_4arch9wavefront6targetE1EEEvT1_
	.p2align	8
	.type	_ZN7rocprim17ROCPRIM_400000_NS6detail17trampoline_kernelINS0_14default_configENS1_25partition_config_selectorILNS1_17partition_subalgoE0EiNS0_10empty_typeEbEEZZNS1_14partition_implILS5_0ELb0ES3_jN6thrust23THRUST_200600_302600_NS6detail15normal_iteratorINSA_10device_ptrIiEEEEPS6_SG_NS0_5tupleIJSF_SF_EEENSH_IJSG_SG_EEES6_PlJ7is_evenIiEEEE10hipError_tPvRmT3_T4_T5_T6_T7_T9_mT8_P12ihipStream_tbDpT10_ENKUlT_T0_E_clISt17integral_constantIbLb1EES16_EEDaS11_S12_EUlS11_E_NS1_11comp_targetILNS1_3genE3ELNS1_11target_archE908ELNS1_3gpuE7ELNS1_3repE0EEENS1_30default_config_static_selectorELNS0_4arch9wavefront6targetE1EEEvT1_,@function
_ZN7rocprim17ROCPRIM_400000_NS6detail17trampoline_kernelINS0_14default_configENS1_25partition_config_selectorILNS1_17partition_subalgoE0EiNS0_10empty_typeEbEEZZNS1_14partition_implILS5_0ELb0ES3_jN6thrust23THRUST_200600_302600_NS6detail15normal_iteratorINSA_10device_ptrIiEEEEPS6_SG_NS0_5tupleIJSF_SF_EEENSH_IJSG_SG_EEES6_PlJ7is_evenIiEEEE10hipError_tPvRmT3_T4_T5_T6_T7_T9_mT8_P12ihipStream_tbDpT10_ENKUlT_T0_E_clISt17integral_constantIbLb1EES16_EEDaS11_S12_EUlS11_E_NS1_11comp_targetILNS1_3genE3ELNS1_11target_archE908ELNS1_3gpuE7ELNS1_3repE0EEENS1_30default_config_static_selectorELNS0_4arch9wavefront6targetE1EEEvT1_: ; @_ZN7rocprim17ROCPRIM_400000_NS6detail17trampoline_kernelINS0_14default_configENS1_25partition_config_selectorILNS1_17partition_subalgoE0EiNS0_10empty_typeEbEEZZNS1_14partition_implILS5_0ELb0ES3_jN6thrust23THRUST_200600_302600_NS6detail15normal_iteratorINSA_10device_ptrIiEEEEPS6_SG_NS0_5tupleIJSF_SF_EEENSH_IJSG_SG_EEES6_PlJ7is_evenIiEEEE10hipError_tPvRmT3_T4_T5_T6_T7_T9_mT8_P12ihipStream_tbDpT10_ENKUlT_T0_E_clISt17integral_constantIbLb1EES16_EEDaS11_S12_EUlS11_E_NS1_11comp_targetILNS1_3genE3ELNS1_11target_archE908ELNS1_3gpuE7ELNS1_3repE0EEENS1_30default_config_static_selectorELNS0_4arch9wavefront6targetE1EEEvT1_
; %bb.0:
	.section	.rodata,"a",@progbits
	.p2align	6, 0x0
	.amdhsa_kernel _ZN7rocprim17ROCPRIM_400000_NS6detail17trampoline_kernelINS0_14default_configENS1_25partition_config_selectorILNS1_17partition_subalgoE0EiNS0_10empty_typeEbEEZZNS1_14partition_implILS5_0ELb0ES3_jN6thrust23THRUST_200600_302600_NS6detail15normal_iteratorINSA_10device_ptrIiEEEEPS6_SG_NS0_5tupleIJSF_SF_EEENSH_IJSG_SG_EEES6_PlJ7is_evenIiEEEE10hipError_tPvRmT3_T4_T5_T6_T7_T9_mT8_P12ihipStream_tbDpT10_ENKUlT_T0_E_clISt17integral_constantIbLb1EES16_EEDaS11_S12_EUlS11_E_NS1_11comp_targetILNS1_3genE3ELNS1_11target_archE908ELNS1_3gpuE7ELNS1_3repE0EEENS1_30default_config_static_selectorELNS0_4arch9wavefront6targetE1EEEvT1_
		.amdhsa_group_segment_fixed_size 0
		.amdhsa_private_segment_fixed_size 0
		.amdhsa_kernarg_size 136
		.amdhsa_user_sgpr_count 2
		.amdhsa_user_sgpr_dispatch_ptr 0
		.amdhsa_user_sgpr_queue_ptr 0
		.amdhsa_user_sgpr_kernarg_segment_ptr 1
		.amdhsa_user_sgpr_dispatch_id 0
		.amdhsa_user_sgpr_kernarg_preload_length 0
		.amdhsa_user_sgpr_kernarg_preload_offset 0
		.amdhsa_user_sgpr_private_segment_size 0
		.amdhsa_uses_dynamic_stack 0
		.amdhsa_enable_private_segment 0
		.amdhsa_system_sgpr_workgroup_id_x 1
		.amdhsa_system_sgpr_workgroup_id_y 0
		.amdhsa_system_sgpr_workgroup_id_z 0
		.amdhsa_system_sgpr_workgroup_info 0
		.amdhsa_system_vgpr_workitem_id 0
		.amdhsa_next_free_vgpr 1
		.amdhsa_next_free_sgpr 0
		.amdhsa_accum_offset 4
		.amdhsa_reserve_vcc 0
		.amdhsa_float_round_mode_32 0
		.amdhsa_float_round_mode_16_64 0
		.amdhsa_float_denorm_mode_32 3
		.amdhsa_float_denorm_mode_16_64 3
		.amdhsa_dx10_clamp 1
		.amdhsa_ieee_mode 1
		.amdhsa_fp16_overflow 0
		.amdhsa_tg_split 0
		.amdhsa_exception_fp_ieee_invalid_op 0
		.amdhsa_exception_fp_denorm_src 0
		.amdhsa_exception_fp_ieee_div_zero 0
		.amdhsa_exception_fp_ieee_overflow 0
		.amdhsa_exception_fp_ieee_underflow 0
		.amdhsa_exception_fp_ieee_inexact 0
		.amdhsa_exception_int_div_zero 0
	.end_amdhsa_kernel
	.section	.text._ZN7rocprim17ROCPRIM_400000_NS6detail17trampoline_kernelINS0_14default_configENS1_25partition_config_selectorILNS1_17partition_subalgoE0EiNS0_10empty_typeEbEEZZNS1_14partition_implILS5_0ELb0ES3_jN6thrust23THRUST_200600_302600_NS6detail15normal_iteratorINSA_10device_ptrIiEEEEPS6_SG_NS0_5tupleIJSF_SF_EEENSH_IJSG_SG_EEES6_PlJ7is_evenIiEEEE10hipError_tPvRmT3_T4_T5_T6_T7_T9_mT8_P12ihipStream_tbDpT10_ENKUlT_T0_E_clISt17integral_constantIbLb1EES16_EEDaS11_S12_EUlS11_E_NS1_11comp_targetILNS1_3genE3ELNS1_11target_archE908ELNS1_3gpuE7ELNS1_3repE0EEENS1_30default_config_static_selectorELNS0_4arch9wavefront6targetE1EEEvT1_,"axG",@progbits,_ZN7rocprim17ROCPRIM_400000_NS6detail17trampoline_kernelINS0_14default_configENS1_25partition_config_selectorILNS1_17partition_subalgoE0EiNS0_10empty_typeEbEEZZNS1_14partition_implILS5_0ELb0ES3_jN6thrust23THRUST_200600_302600_NS6detail15normal_iteratorINSA_10device_ptrIiEEEEPS6_SG_NS0_5tupleIJSF_SF_EEENSH_IJSG_SG_EEES6_PlJ7is_evenIiEEEE10hipError_tPvRmT3_T4_T5_T6_T7_T9_mT8_P12ihipStream_tbDpT10_ENKUlT_T0_E_clISt17integral_constantIbLb1EES16_EEDaS11_S12_EUlS11_E_NS1_11comp_targetILNS1_3genE3ELNS1_11target_archE908ELNS1_3gpuE7ELNS1_3repE0EEENS1_30default_config_static_selectorELNS0_4arch9wavefront6targetE1EEEvT1_,comdat
.Lfunc_end332:
	.size	_ZN7rocprim17ROCPRIM_400000_NS6detail17trampoline_kernelINS0_14default_configENS1_25partition_config_selectorILNS1_17partition_subalgoE0EiNS0_10empty_typeEbEEZZNS1_14partition_implILS5_0ELb0ES3_jN6thrust23THRUST_200600_302600_NS6detail15normal_iteratorINSA_10device_ptrIiEEEEPS6_SG_NS0_5tupleIJSF_SF_EEENSH_IJSG_SG_EEES6_PlJ7is_evenIiEEEE10hipError_tPvRmT3_T4_T5_T6_T7_T9_mT8_P12ihipStream_tbDpT10_ENKUlT_T0_E_clISt17integral_constantIbLb1EES16_EEDaS11_S12_EUlS11_E_NS1_11comp_targetILNS1_3genE3ELNS1_11target_archE908ELNS1_3gpuE7ELNS1_3repE0EEENS1_30default_config_static_selectorELNS0_4arch9wavefront6targetE1EEEvT1_, .Lfunc_end332-_ZN7rocprim17ROCPRIM_400000_NS6detail17trampoline_kernelINS0_14default_configENS1_25partition_config_selectorILNS1_17partition_subalgoE0EiNS0_10empty_typeEbEEZZNS1_14partition_implILS5_0ELb0ES3_jN6thrust23THRUST_200600_302600_NS6detail15normal_iteratorINSA_10device_ptrIiEEEEPS6_SG_NS0_5tupleIJSF_SF_EEENSH_IJSG_SG_EEES6_PlJ7is_evenIiEEEE10hipError_tPvRmT3_T4_T5_T6_T7_T9_mT8_P12ihipStream_tbDpT10_ENKUlT_T0_E_clISt17integral_constantIbLb1EES16_EEDaS11_S12_EUlS11_E_NS1_11comp_targetILNS1_3genE3ELNS1_11target_archE908ELNS1_3gpuE7ELNS1_3repE0EEENS1_30default_config_static_selectorELNS0_4arch9wavefront6targetE1EEEvT1_
                                        ; -- End function
	.section	.AMDGPU.csdata,"",@progbits
; Kernel info:
; codeLenInByte = 0
; NumSgprs: 6
; NumVgprs: 0
; NumAgprs: 0
; TotalNumVgprs: 0
; ScratchSize: 0
; MemoryBound: 0
; FloatMode: 240
; IeeeMode: 1
; LDSByteSize: 0 bytes/workgroup (compile time only)
; SGPRBlocks: 0
; VGPRBlocks: 0
; NumSGPRsForWavesPerEU: 6
; NumVGPRsForWavesPerEU: 1
; AccumOffset: 4
; Occupancy: 8
; WaveLimiterHint : 0
; COMPUTE_PGM_RSRC2:SCRATCH_EN: 0
; COMPUTE_PGM_RSRC2:USER_SGPR: 2
; COMPUTE_PGM_RSRC2:TRAP_HANDLER: 0
; COMPUTE_PGM_RSRC2:TGID_X_EN: 1
; COMPUTE_PGM_RSRC2:TGID_Y_EN: 0
; COMPUTE_PGM_RSRC2:TGID_Z_EN: 0
; COMPUTE_PGM_RSRC2:TIDIG_COMP_CNT: 0
; COMPUTE_PGM_RSRC3_GFX90A:ACCUM_OFFSET: 0
; COMPUTE_PGM_RSRC3_GFX90A:TG_SPLIT: 0
	.section	.text._ZN7rocprim17ROCPRIM_400000_NS6detail17trampoline_kernelINS0_14default_configENS1_25partition_config_selectorILNS1_17partition_subalgoE0EiNS0_10empty_typeEbEEZZNS1_14partition_implILS5_0ELb0ES3_jN6thrust23THRUST_200600_302600_NS6detail15normal_iteratorINSA_10device_ptrIiEEEEPS6_SG_NS0_5tupleIJSF_SF_EEENSH_IJSG_SG_EEES6_PlJ7is_evenIiEEEE10hipError_tPvRmT3_T4_T5_T6_T7_T9_mT8_P12ihipStream_tbDpT10_ENKUlT_T0_E_clISt17integral_constantIbLb1EES16_EEDaS11_S12_EUlS11_E_NS1_11comp_targetILNS1_3genE2ELNS1_11target_archE906ELNS1_3gpuE6ELNS1_3repE0EEENS1_30default_config_static_selectorELNS0_4arch9wavefront6targetE1EEEvT1_,"axG",@progbits,_ZN7rocprim17ROCPRIM_400000_NS6detail17trampoline_kernelINS0_14default_configENS1_25partition_config_selectorILNS1_17partition_subalgoE0EiNS0_10empty_typeEbEEZZNS1_14partition_implILS5_0ELb0ES3_jN6thrust23THRUST_200600_302600_NS6detail15normal_iteratorINSA_10device_ptrIiEEEEPS6_SG_NS0_5tupleIJSF_SF_EEENSH_IJSG_SG_EEES6_PlJ7is_evenIiEEEE10hipError_tPvRmT3_T4_T5_T6_T7_T9_mT8_P12ihipStream_tbDpT10_ENKUlT_T0_E_clISt17integral_constantIbLb1EES16_EEDaS11_S12_EUlS11_E_NS1_11comp_targetILNS1_3genE2ELNS1_11target_archE906ELNS1_3gpuE6ELNS1_3repE0EEENS1_30default_config_static_selectorELNS0_4arch9wavefront6targetE1EEEvT1_,comdat
	.protected	_ZN7rocprim17ROCPRIM_400000_NS6detail17trampoline_kernelINS0_14default_configENS1_25partition_config_selectorILNS1_17partition_subalgoE0EiNS0_10empty_typeEbEEZZNS1_14partition_implILS5_0ELb0ES3_jN6thrust23THRUST_200600_302600_NS6detail15normal_iteratorINSA_10device_ptrIiEEEEPS6_SG_NS0_5tupleIJSF_SF_EEENSH_IJSG_SG_EEES6_PlJ7is_evenIiEEEE10hipError_tPvRmT3_T4_T5_T6_T7_T9_mT8_P12ihipStream_tbDpT10_ENKUlT_T0_E_clISt17integral_constantIbLb1EES16_EEDaS11_S12_EUlS11_E_NS1_11comp_targetILNS1_3genE2ELNS1_11target_archE906ELNS1_3gpuE6ELNS1_3repE0EEENS1_30default_config_static_selectorELNS0_4arch9wavefront6targetE1EEEvT1_ ; -- Begin function _ZN7rocprim17ROCPRIM_400000_NS6detail17trampoline_kernelINS0_14default_configENS1_25partition_config_selectorILNS1_17partition_subalgoE0EiNS0_10empty_typeEbEEZZNS1_14partition_implILS5_0ELb0ES3_jN6thrust23THRUST_200600_302600_NS6detail15normal_iteratorINSA_10device_ptrIiEEEEPS6_SG_NS0_5tupleIJSF_SF_EEENSH_IJSG_SG_EEES6_PlJ7is_evenIiEEEE10hipError_tPvRmT3_T4_T5_T6_T7_T9_mT8_P12ihipStream_tbDpT10_ENKUlT_T0_E_clISt17integral_constantIbLb1EES16_EEDaS11_S12_EUlS11_E_NS1_11comp_targetILNS1_3genE2ELNS1_11target_archE906ELNS1_3gpuE6ELNS1_3repE0EEENS1_30default_config_static_selectorELNS0_4arch9wavefront6targetE1EEEvT1_
	.globl	_ZN7rocprim17ROCPRIM_400000_NS6detail17trampoline_kernelINS0_14default_configENS1_25partition_config_selectorILNS1_17partition_subalgoE0EiNS0_10empty_typeEbEEZZNS1_14partition_implILS5_0ELb0ES3_jN6thrust23THRUST_200600_302600_NS6detail15normal_iteratorINSA_10device_ptrIiEEEEPS6_SG_NS0_5tupleIJSF_SF_EEENSH_IJSG_SG_EEES6_PlJ7is_evenIiEEEE10hipError_tPvRmT3_T4_T5_T6_T7_T9_mT8_P12ihipStream_tbDpT10_ENKUlT_T0_E_clISt17integral_constantIbLb1EES16_EEDaS11_S12_EUlS11_E_NS1_11comp_targetILNS1_3genE2ELNS1_11target_archE906ELNS1_3gpuE6ELNS1_3repE0EEENS1_30default_config_static_selectorELNS0_4arch9wavefront6targetE1EEEvT1_
	.p2align	8
	.type	_ZN7rocprim17ROCPRIM_400000_NS6detail17trampoline_kernelINS0_14default_configENS1_25partition_config_selectorILNS1_17partition_subalgoE0EiNS0_10empty_typeEbEEZZNS1_14partition_implILS5_0ELb0ES3_jN6thrust23THRUST_200600_302600_NS6detail15normal_iteratorINSA_10device_ptrIiEEEEPS6_SG_NS0_5tupleIJSF_SF_EEENSH_IJSG_SG_EEES6_PlJ7is_evenIiEEEE10hipError_tPvRmT3_T4_T5_T6_T7_T9_mT8_P12ihipStream_tbDpT10_ENKUlT_T0_E_clISt17integral_constantIbLb1EES16_EEDaS11_S12_EUlS11_E_NS1_11comp_targetILNS1_3genE2ELNS1_11target_archE906ELNS1_3gpuE6ELNS1_3repE0EEENS1_30default_config_static_selectorELNS0_4arch9wavefront6targetE1EEEvT1_,@function
_ZN7rocprim17ROCPRIM_400000_NS6detail17trampoline_kernelINS0_14default_configENS1_25partition_config_selectorILNS1_17partition_subalgoE0EiNS0_10empty_typeEbEEZZNS1_14partition_implILS5_0ELb0ES3_jN6thrust23THRUST_200600_302600_NS6detail15normal_iteratorINSA_10device_ptrIiEEEEPS6_SG_NS0_5tupleIJSF_SF_EEENSH_IJSG_SG_EEES6_PlJ7is_evenIiEEEE10hipError_tPvRmT3_T4_T5_T6_T7_T9_mT8_P12ihipStream_tbDpT10_ENKUlT_T0_E_clISt17integral_constantIbLb1EES16_EEDaS11_S12_EUlS11_E_NS1_11comp_targetILNS1_3genE2ELNS1_11target_archE906ELNS1_3gpuE6ELNS1_3repE0EEENS1_30default_config_static_selectorELNS0_4arch9wavefront6targetE1EEEvT1_: ; @_ZN7rocprim17ROCPRIM_400000_NS6detail17trampoline_kernelINS0_14default_configENS1_25partition_config_selectorILNS1_17partition_subalgoE0EiNS0_10empty_typeEbEEZZNS1_14partition_implILS5_0ELb0ES3_jN6thrust23THRUST_200600_302600_NS6detail15normal_iteratorINSA_10device_ptrIiEEEEPS6_SG_NS0_5tupleIJSF_SF_EEENSH_IJSG_SG_EEES6_PlJ7is_evenIiEEEE10hipError_tPvRmT3_T4_T5_T6_T7_T9_mT8_P12ihipStream_tbDpT10_ENKUlT_T0_E_clISt17integral_constantIbLb1EES16_EEDaS11_S12_EUlS11_E_NS1_11comp_targetILNS1_3genE2ELNS1_11target_archE906ELNS1_3gpuE6ELNS1_3repE0EEENS1_30default_config_static_selectorELNS0_4arch9wavefront6targetE1EEEvT1_
; %bb.0:
	.section	.rodata,"a",@progbits
	.p2align	6, 0x0
	.amdhsa_kernel _ZN7rocprim17ROCPRIM_400000_NS6detail17trampoline_kernelINS0_14default_configENS1_25partition_config_selectorILNS1_17partition_subalgoE0EiNS0_10empty_typeEbEEZZNS1_14partition_implILS5_0ELb0ES3_jN6thrust23THRUST_200600_302600_NS6detail15normal_iteratorINSA_10device_ptrIiEEEEPS6_SG_NS0_5tupleIJSF_SF_EEENSH_IJSG_SG_EEES6_PlJ7is_evenIiEEEE10hipError_tPvRmT3_T4_T5_T6_T7_T9_mT8_P12ihipStream_tbDpT10_ENKUlT_T0_E_clISt17integral_constantIbLb1EES16_EEDaS11_S12_EUlS11_E_NS1_11comp_targetILNS1_3genE2ELNS1_11target_archE906ELNS1_3gpuE6ELNS1_3repE0EEENS1_30default_config_static_selectorELNS0_4arch9wavefront6targetE1EEEvT1_
		.amdhsa_group_segment_fixed_size 0
		.amdhsa_private_segment_fixed_size 0
		.amdhsa_kernarg_size 136
		.amdhsa_user_sgpr_count 2
		.amdhsa_user_sgpr_dispatch_ptr 0
		.amdhsa_user_sgpr_queue_ptr 0
		.amdhsa_user_sgpr_kernarg_segment_ptr 1
		.amdhsa_user_sgpr_dispatch_id 0
		.amdhsa_user_sgpr_kernarg_preload_length 0
		.amdhsa_user_sgpr_kernarg_preload_offset 0
		.amdhsa_user_sgpr_private_segment_size 0
		.amdhsa_uses_dynamic_stack 0
		.amdhsa_enable_private_segment 0
		.amdhsa_system_sgpr_workgroup_id_x 1
		.amdhsa_system_sgpr_workgroup_id_y 0
		.amdhsa_system_sgpr_workgroup_id_z 0
		.amdhsa_system_sgpr_workgroup_info 0
		.amdhsa_system_vgpr_workitem_id 0
		.amdhsa_next_free_vgpr 1
		.amdhsa_next_free_sgpr 0
		.amdhsa_accum_offset 4
		.amdhsa_reserve_vcc 0
		.amdhsa_float_round_mode_32 0
		.amdhsa_float_round_mode_16_64 0
		.amdhsa_float_denorm_mode_32 3
		.amdhsa_float_denorm_mode_16_64 3
		.amdhsa_dx10_clamp 1
		.amdhsa_ieee_mode 1
		.amdhsa_fp16_overflow 0
		.amdhsa_tg_split 0
		.amdhsa_exception_fp_ieee_invalid_op 0
		.amdhsa_exception_fp_denorm_src 0
		.amdhsa_exception_fp_ieee_div_zero 0
		.amdhsa_exception_fp_ieee_overflow 0
		.amdhsa_exception_fp_ieee_underflow 0
		.amdhsa_exception_fp_ieee_inexact 0
		.amdhsa_exception_int_div_zero 0
	.end_amdhsa_kernel
	.section	.text._ZN7rocprim17ROCPRIM_400000_NS6detail17trampoline_kernelINS0_14default_configENS1_25partition_config_selectorILNS1_17partition_subalgoE0EiNS0_10empty_typeEbEEZZNS1_14partition_implILS5_0ELb0ES3_jN6thrust23THRUST_200600_302600_NS6detail15normal_iteratorINSA_10device_ptrIiEEEEPS6_SG_NS0_5tupleIJSF_SF_EEENSH_IJSG_SG_EEES6_PlJ7is_evenIiEEEE10hipError_tPvRmT3_T4_T5_T6_T7_T9_mT8_P12ihipStream_tbDpT10_ENKUlT_T0_E_clISt17integral_constantIbLb1EES16_EEDaS11_S12_EUlS11_E_NS1_11comp_targetILNS1_3genE2ELNS1_11target_archE906ELNS1_3gpuE6ELNS1_3repE0EEENS1_30default_config_static_selectorELNS0_4arch9wavefront6targetE1EEEvT1_,"axG",@progbits,_ZN7rocprim17ROCPRIM_400000_NS6detail17trampoline_kernelINS0_14default_configENS1_25partition_config_selectorILNS1_17partition_subalgoE0EiNS0_10empty_typeEbEEZZNS1_14partition_implILS5_0ELb0ES3_jN6thrust23THRUST_200600_302600_NS6detail15normal_iteratorINSA_10device_ptrIiEEEEPS6_SG_NS0_5tupleIJSF_SF_EEENSH_IJSG_SG_EEES6_PlJ7is_evenIiEEEE10hipError_tPvRmT3_T4_T5_T6_T7_T9_mT8_P12ihipStream_tbDpT10_ENKUlT_T0_E_clISt17integral_constantIbLb1EES16_EEDaS11_S12_EUlS11_E_NS1_11comp_targetILNS1_3genE2ELNS1_11target_archE906ELNS1_3gpuE6ELNS1_3repE0EEENS1_30default_config_static_selectorELNS0_4arch9wavefront6targetE1EEEvT1_,comdat
.Lfunc_end333:
	.size	_ZN7rocprim17ROCPRIM_400000_NS6detail17trampoline_kernelINS0_14default_configENS1_25partition_config_selectorILNS1_17partition_subalgoE0EiNS0_10empty_typeEbEEZZNS1_14partition_implILS5_0ELb0ES3_jN6thrust23THRUST_200600_302600_NS6detail15normal_iteratorINSA_10device_ptrIiEEEEPS6_SG_NS0_5tupleIJSF_SF_EEENSH_IJSG_SG_EEES6_PlJ7is_evenIiEEEE10hipError_tPvRmT3_T4_T5_T6_T7_T9_mT8_P12ihipStream_tbDpT10_ENKUlT_T0_E_clISt17integral_constantIbLb1EES16_EEDaS11_S12_EUlS11_E_NS1_11comp_targetILNS1_3genE2ELNS1_11target_archE906ELNS1_3gpuE6ELNS1_3repE0EEENS1_30default_config_static_selectorELNS0_4arch9wavefront6targetE1EEEvT1_, .Lfunc_end333-_ZN7rocprim17ROCPRIM_400000_NS6detail17trampoline_kernelINS0_14default_configENS1_25partition_config_selectorILNS1_17partition_subalgoE0EiNS0_10empty_typeEbEEZZNS1_14partition_implILS5_0ELb0ES3_jN6thrust23THRUST_200600_302600_NS6detail15normal_iteratorINSA_10device_ptrIiEEEEPS6_SG_NS0_5tupleIJSF_SF_EEENSH_IJSG_SG_EEES6_PlJ7is_evenIiEEEE10hipError_tPvRmT3_T4_T5_T6_T7_T9_mT8_P12ihipStream_tbDpT10_ENKUlT_T0_E_clISt17integral_constantIbLb1EES16_EEDaS11_S12_EUlS11_E_NS1_11comp_targetILNS1_3genE2ELNS1_11target_archE906ELNS1_3gpuE6ELNS1_3repE0EEENS1_30default_config_static_selectorELNS0_4arch9wavefront6targetE1EEEvT1_
                                        ; -- End function
	.section	.AMDGPU.csdata,"",@progbits
; Kernel info:
; codeLenInByte = 0
; NumSgprs: 6
; NumVgprs: 0
; NumAgprs: 0
; TotalNumVgprs: 0
; ScratchSize: 0
; MemoryBound: 0
; FloatMode: 240
; IeeeMode: 1
; LDSByteSize: 0 bytes/workgroup (compile time only)
; SGPRBlocks: 0
; VGPRBlocks: 0
; NumSGPRsForWavesPerEU: 6
; NumVGPRsForWavesPerEU: 1
; AccumOffset: 4
; Occupancy: 8
; WaveLimiterHint : 0
; COMPUTE_PGM_RSRC2:SCRATCH_EN: 0
; COMPUTE_PGM_RSRC2:USER_SGPR: 2
; COMPUTE_PGM_RSRC2:TRAP_HANDLER: 0
; COMPUTE_PGM_RSRC2:TGID_X_EN: 1
; COMPUTE_PGM_RSRC2:TGID_Y_EN: 0
; COMPUTE_PGM_RSRC2:TGID_Z_EN: 0
; COMPUTE_PGM_RSRC2:TIDIG_COMP_CNT: 0
; COMPUTE_PGM_RSRC3_GFX90A:ACCUM_OFFSET: 0
; COMPUTE_PGM_RSRC3_GFX90A:TG_SPLIT: 0
	.section	.text._ZN7rocprim17ROCPRIM_400000_NS6detail17trampoline_kernelINS0_14default_configENS1_25partition_config_selectorILNS1_17partition_subalgoE0EiNS0_10empty_typeEbEEZZNS1_14partition_implILS5_0ELb0ES3_jN6thrust23THRUST_200600_302600_NS6detail15normal_iteratorINSA_10device_ptrIiEEEEPS6_SG_NS0_5tupleIJSF_SF_EEENSH_IJSG_SG_EEES6_PlJ7is_evenIiEEEE10hipError_tPvRmT3_T4_T5_T6_T7_T9_mT8_P12ihipStream_tbDpT10_ENKUlT_T0_E_clISt17integral_constantIbLb1EES16_EEDaS11_S12_EUlS11_E_NS1_11comp_targetILNS1_3genE10ELNS1_11target_archE1200ELNS1_3gpuE4ELNS1_3repE0EEENS1_30default_config_static_selectorELNS0_4arch9wavefront6targetE1EEEvT1_,"axG",@progbits,_ZN7rocprim17ROCPRIM_400000_NS6detail17trampoline_kernelINS0_14default_configENS1_25partition_config_selectorILNS1_17partition_subalgoE0EiNS0_10empty_typeEbEEZZNS1_14partition_implILS5_0ELb0ES3_jN6thrust23THRUST_200600_302600_NS6detail15normal_iteratorINSA_10device_ptrIiEEEEPS6_SG_NS0_5tupleIJSF_SF_EEENSH_IJSG_SG_EEES6_PlJ7is_evenIiEEEE10hipError_tPvRmT3_T4_T5_T6_T7_T9_mT8_P12ihipStream_tbDpT10_ENKUlT_T0_E_clISt17integral_constantIbLb1EES16_EEDaS11_S12_EUlS11_E_NS1_11comp_targetILNS1_3genE10ELNS1_11target_archE1200ELNS1_3gpuE4ELNS1_3repE0EEENS1_30default_config_static_selectorELNS0_4arch9wavefront6targetE1EEEvT1_,comdat
	.protected	_ZN7rocprim17ROCPRIM_400000_NS6detail17trampoline_kernelINS0_14default_configENS1_25partition_config_selectorILNS1_17partition_subalgoE0EiNS0_10empty_typeEbEEZZNS1_14partition_implILS5_0ELb0ES3_jN6thrust23THRUST_200600_302600_NS6detail15normal_iteratorINSA_10device_ptrIiEEEEPS6_SG_NS0_5tupleIJSF_SF_EEENSH_IJSG_SG_EEES6_PlJ7is_evenIiEEEE10hipError_tPvRmT3_T4_T5_T6_T7_T9_mT8_P12ihipStream_tbDpT10_ENKUlT_T0_E_clISt17integral_constantIbLb1EES16_EEDaS11_S12_EUlS11_E_NS1_11comp_targetILNS1_3genE10ELNS1_11target_archE1200ELNS1_3gpuE4ELNS1_3repE0EEENS1_30default_config_static_selectorELNS0_4arch9wavefront6targetE1EEEvT1_ ; -- Begin function _ZN7rocprim17ROCPRIM_400000_NS6detail17trampoline_kernelINS0_14default_configENS1_25partition_config_selectorILNS1_17partition_subalgoE0EiNS0_10empty_typeEbEEZZNS1_14partition_implILS5_0ELb0ES3_jN6thrust23THRUST_200600_302600_NS6detail15normal_iteratorINSA_10device_ptrIiEEEEPS6_SG_NS0_5tupleIJSF_SF_EEENSH_IJSG_SG_EEES6_PlJ7is_evenIiEEEE10hipError_tPvRmT3_T4_T5_T6_T7_T9_mT8_P12ihipStream_tbDpT10_ENKUlT_T0_E_clISt17integral_constantIbLb1EES16_EEDaS11_S12_EUlS11_E_NS1_11comp_targetILNS1_3genE10ELNS1_11target_archE1200ELNS1_3gpuE4ELNS1_3repE0EEENS1_30default_config_static_selectorELNS0_4arch9wavefront6targetE1EEEvT1_
	.globl	_ZN7rocprim17ROCPRIM_400000_NS6detail17trampoline_kernelINS0_14default_configENS1_25partition_config_selectorILNS1_17partition_subalgoE0EiNS0_10empty_typeEbEEZZNS1_14partition_implILS5_0ELb0ES3_jN6thrust23THRUST_200600_302600_NS6detail15normal_iteratorINSA_10device_ptrIiEEEEPS6_SG_NS0_5tupleIJSF_SF_EEENSH_IJSG_SG_EEES6_PlJ7is_evenIiEEEE10hipError_tPvRmT3_T4_T5_T6_T7_T9_mT8_P12ihipStream_tbDpT10_ENKUlT_T0_E_clISt17integral_constantIbLb1EES16_EEDaS11_S12_EUlS11_E_NS1_11comp_targetILNS1_3genE10ELNS1_11target_archE1200ELNS1_3gpuE4ELNS1_3repE0EEENS1_30default_config_static_selectorELNS0_4arch9wavefront6targetE1EEEvT1_
	.p2align	8
	.type	_ZN7rocprim17ROCPRIM_400000_NS6detail17trampoline_kernelINS0_14default_configENS1_25partition_config_selectorILNS1_17partition_subalgoE0EiNS0_10empty_typeEbEEZZNS1_14partition_implILS5_0ELb0ES3_jN6thrust23THRUST_200600_302600_NS6detail15normal_iteratorINSA_10device_ptrIiEEEEPS6_SG_NS0_5tupleIJSF_SF_EEENSH_IJSG_SG_EEES6_PlJ7is_evenIiEEEE10hipError_tPvRmT3_T4_T5_T6_T7_T9_mT8_P12ihipStream_tbDpT10_ENKUlT_T0_E_clISt17integral_constantIbLb1EES16_EEDaS11_S12_EUlS11_E_NS1_11comp_targetILNS1_3genE10ELNS1_11target_archE1200ELNS1_3gpuE4ELNS1_3repE0EEENS1_30default_config_static_selectorELNS0_4arch9wavefront6targetE1EEEvT1_,@function
_ZN7rocprim17ROCPRIM_400000_NS6detail17trampoline_kernelINS0_14default_configENS1_25partition_config_selectorILNS1_17partition_subalgoE0EiNS0_10empty_typeEbEEZZNS1_14partition_implILS5_0ELb0ES3_jN6thrust23THRUST_200600_302600_NS6detail15normal_iteratorINSA_10device_ptrIiEEEEPS6_SG_NS0_5tupleIJSF_SF_EEENSH_IJSG_SG_EEES6_PlJ7is_evenIiEEEE10hipError_tPvRmT3_T4_T5_T6_T7_T9_mT8_P12ihipStream_tbDpT10_ENKUlT_T0_E_clISt17integral_constantIbLb1EES16_EEDaS11_S12_EUlS11_E_NS1_11comp_targetILNS1_3genE10ELNS1_11target_archE1200ELNS1_3gpuE4ELNS1_3repE0EEENS1_30default_config_static_selectorELNS0_4arch9wavefront6targetE1EEEvT1_: ; @_ZN7rocprim17ROCPRIM_400000_NS6detail17trampoline_kernelINS0_14default_configENS1_25partition_config_selectorILNS1_17partition_subalgoE0EiNS0_10empty_typeEbEEZZNS1_14partition_implILS5_0ELb0ES3_jN6thrust23THRUST_200600_302600_NS6detail15normal_iteratorINSA_10device_ptrIiEEEEPS6_SG_NS0_5tupleIJSF_SF_EEENSH_IJSG_SG_EEES6_PlJ7is_evenIiEEEE10hipError_tPvRmT3_T4_T5_T6_T7_T9_mT8_P12ihipStream_tbDpT10_ENKUlT_T0_E_clISt17integral_constantIbLb1EES16_EEDaS11_S12_EUlS11_E_NS1_11comp_targetILNS1_3genE10ELNS1_11target_archE1200ELNS1_3gpuE4ELNS1_3repE0EEENS1_30default_config_static_selectorELNS0_4arch9wavefront6targetE1EEEvT1_
; %bb.0:
	.section	.rodata,"a",@progbits
	.p2align	6, 0x0
	.amdhsa_kernel _ZN7rocprim17ROCPRIM_400000_NS6detail17trampoline_kernelINS0_14default_configENS1_25partition_config_selectorILNS1_17partition_subalgoE0EiNS0_10empty_typeEbEEZZNS1_14partition_implILS5_0ELb0ES3_jN6thrust23THRUST_200600_302600_NS6detail15normal_iteratorINSA_10device_ptrIiEEEEPS6_SG_NS0_5tupleIJSF_SF_EEENSH_IJSG_SG_EEES6_PlJ7is_evenIiEEEE10hipError_tPvRmT3_T4_T5_T6_T7_T9_mT8_P12ihipStream_tbDpT10_ENKUlT_T0_E_clISt17integral_constantIbLb1EES16_EEDaS11_S12_EUlS11_E_NS1_11comp_targetILNS1_3genE10ELNS1_11target_archE1200ELNS1_3gpuE4ELNS1_3repE0EEENS1_30default_config_static_selectorELNS0_4arch9wavefront6targetE1EEEvT1_
		.amdhsa_group_segment_fixed_size 0
		.amdhsa_private_segment_fixed_size 0
		.amdhsa_kernarg_size 136
		.amdhsa_user_sgpr_count 2
		.amdhsa_user_sgpr_dispatch_ptr 0
		.amdhsa_user_sgpr_queue_ptr 0
		.amdhsa_user_sgpr_kernarg_segment_ptr 1
		.amdhsa_user_sgpr_dispatch_id 0
		.amdhsa_user_sgpr_kernarg_preload_length 0
		.amdhsa_user_sgpr_kernarg_preload_offset 0
		.amdhsa_user_sgpr_private_segment_size 0
		.amdhsa_uses_dynamic_stack 0
		.amdhsa_enable_private_segment 0
		.amdhsa_system_sgpr_workgroup_id_x 1
		.amdhsa_system_sgpr_workgroup_id_y 0
		.amdhsa_system_sgpr_workgroup_id_z 0
		.amdhsa_system_sgpr_workgroup_info 0
		.amdhsa_system_vgpr_workitem_id 0
		.amdhsa_next_free_vgpr 1
		.amdhsa_next_free_sgpr 0
		.amdhsa_accum_offset 4
		.amdhsa_reserve_vcc 0
		.amdhsa_float_round_mode_32 0
		.amdhsa_float_round_mode_16_64 0
		.amdhsa_float_denorm_mode_32 3
		.amdhsa_float_denorm_mode_16_64 3
		.amdhsa_dx10_clamp 1
		.amdhsa_ieee_mode 1
		.amdhsa_fp16_overflow 0
		.amdhsa_tg_split 0
		.amdhsa_exception_fp_ieee_invalid_op 0
		.amdhsa_exception_fp_denorm_src 0
		.amdhsa_exception_fp_ieee_div_zero 0
		.amdhsa_exception_fp_ieee_overflow 0
		.amdhsa_exception_fp_ieee_underflow 0
		.amdhsa_exception_fp_ieee_inexact 0
		.amdhsa_exception_int_div_zero 0
	.end_amdhsa_kernel
	.section	.text._ZN7rocprim17ROCPRIM_400000_NS6detail17trampoline_kernelINS0_14default_configENS1_25partition_config_selectorILNS1_17partition_subalgoE0EiNS0_10empty_typeEbEEZZNS1_14partition_implILS5_0ELb0ES3_jN6thrust23THRUST_200600_302600_NS6detail15normal_iteratorINSA_10device_ptrIiEEEEPS6_SG_NS0_5tupleIJSF_SF_EEENSH_IJSG_SG_EEES6_PlJ7is_evenIiEEEE10hipError_tPvRmT3_T4_T5_T6_T7_T9_mT8_P12ihipStream_tbDpT10_ENKUlT_T0_E_clISt17integral_constantIbLb1EES16_EEDaS11_S12_EUlS11_E_NS1_11comp_targetILNS1_3genE10ELNS1_11target_archE1200ELNS1_3gpuE4ELNS1_3repE0EEENS1_30default_config_static_selectorELNS0_4arch9wavefront6targetE1EEEvT1_,"axG",@progbits,_ZN7rocprim17ROCPRIM_400000_NS6detail17trampoline_kernelINS0_14default_configENS1_25partition_config_selectorILNS1_17partition_subalgoE0EiNS0_10empty_typeEbEEZZNS1_14partition_implILS5_0ELb0ES3_jN6thrust23THRUST_200600_302600_NS6detail15normal_iteratorINSA_10device_ptrIiEEEEPS6_SG_NS0_5tupleIJSF_SF_EEENSH_IJSG_SG_EEES6_PlJ7is_evenIiEEEE10hipError_tPvRmT3_T4_T5_T6_T7_T9_mT8_P12ihipStream_tbDpT10_ENKUlT_T0_E_clISt17integral_constantIbLb1EES16_EEDaS11_S12_EUlS11_E_NS1_11comp_targetILNS1_3genE10ELNS1_11target_archE1200ELNS1_3gpuE4ELNS1_3repE0EEENS1_30default_config_static_selectorELNS0_4arch9wavefront6targetE1EEEvT1_,comdat
.Lfunc_end334:
	.size	_ZN7rocprim17ROCPRIM_400000_NS6detail17trampoline_kernelINS0_14default_configENS1_25partition_config_selectorILNS1_17partition_subalgoE0EiNS0_10empty_typeEbEEZZNS1_14partition_implILS5_0ELb0ES3_jN6thrust23THRUST_200600_302600_NS6detail15normal_iteratorINSA_10device_ptrIiEEEEPS6_SG_NS0_5tupleIJSF_SF_EEENSH_IJSG_SG_EEES6_PlJ7is_evenIiEEEE10hipError_tPvRmT3_T4_T5_T6_T7_T9_mT8_P12ihipStream_tbDpT10_ENKUlT_T0_E_clISt17integral_constantIbLb1EES16_EEDaS11_S12_EUlS11_E_NS1_11comp_targetILNS1_3genE10ELNS1_11target_archE1200ELNS1_3gpuE4ELNS1_3repE0EEENS1_30default_config_static_selectorELNS0_4arch9wavefront6targetE1EEEvT1_, .Lfunc_end334-_ZN7rocprim17ROCPRIM_400000_NS6detail17trampoline_kernelINS0_14default_configENS1_25partition_config_selectorILNS1_17partition_subalgoE0EiNS0_10empty_typeEbEEZZNS1_14partition_implILS5_0ELb0ES3_jN6thrust23THRUST_200600_302600_NS6detail15normal_iteratorINSA_10device_ptrIiEEEEPS6_SG_NS0_5tupleIJSF_SF_EEENSH_IJSG_SG_EEES6_PlJ7is_evenIiEEEE10hipError_tPvRmT3_T4_T5_T6_T7_T9_mT8_P12ihipStream_tbDpT10_ENKUlT_T0_E_clISt17integral_constantIbLb1EES16_EEDaS11_S12_EUlS11_E_NS1_11comp_targetILNS1_3genE10ELNS1_11target_archE1200ELNS1_3gpuE4ELNS1_3repE0EEENS1_30default_config_static_selectorELNS0_4arch9wavefront6targetE1EEEvT1_
                                        ; -- End function
	.section	.AMDGPU.csdata,"",@progbits
; Kernel info:
; codeLenInByte = 0
; NumSgprs: 6
; NumVgprs: 0
; NumAgprs: 0
; TotalNumVgprs: 0
; ScratchSize: 0
; MemoryBound: 0
; FloatMode: 240
; IeeeMode: 1
; LDSByteSize: 0 bytes/workgroup (compile time only)
; SGPRBlocks: 0
; VGPRBlocks: 0
; NumSGPRsForWavesPerEU: 6
; NumVGPRsForWavesPerEU: 1
; AccumOffset: 4
; Occupancy: 8
; WaveLimiterHint : 0
; COMPUTE_PGM_RSRC2:SCRATCH_EN: 0
; COMPUTE_PGM_RSRC2:USER_SGPR: 2
; COMPUTE_PGM_RSRC2:TRAP_HANDLER: 0
; COMPUTE_PGM_RSRC2:TGID_X_EN: 1
; COMPUTE_PGM_RSRC2:TGID_Y_EN: 0
; COMPUTE_PGM_RSRC2:TGID_Z_EN: 0
; COMPUTE_PGM_RSRC2:TIDIG_COMP_CNT: 0
; COMPUTE_PGM_RSRC3_GFX90A:ACCUM_OFFSET: 0
; COMPUTE_PGM_RSRC3_GFX90A:TG_SPLIT: 0
	.section	.text._ZN7rocprim17ROCPRIM_400000_NS6detail17trampoline_kernelINS0_14default_configENS1_25partition_config_selectorILNS1_17partition_subalgoE0EiNS0_10empty_typeEbEEZZNS1_14partition_implILS5_0ELb0ES3_jN6thrust23THRUST_200600_302600_NS6detail15normal_iteratorINSA_10device_ptrIiEEEEPS6_SG_NS0_5tupleIJSF_SF_EEENSH_IJSG_SG_EEES6_PlJ7is_evenIiEEEE10hipError_tPvRmT3_T4_T5_T6_T7_T9_mT8_P12ihipStream_tbDpT10_ENKUlT_T0_E_clISt17integral_constantIbLb1EES16_EEDaS11_S12_EUlS11_E_NS1_11comp_targetILNS1_3genE9ELNS1_11target_archE1100ELNS1_3gpuE3ELNS1_3repE0EEENS1_30default_config_static_selectorELNS0_4arch9wavefront6targetE1EEEvT1_,"axG",@progbits,_ZN7rocprim17ROCPRIM_400000_NS6detail17trampoline_kernelINS0_14default_configENS1_25partition_config_selectorILNS1_17partition_subalgoE0EiNS0_10empty_typeEbEEZZNS1_14partition_implILS5_0ELb0ES3_jN6thrust23THRUST_200600_302600_NS6detail15normal_iteratorINSA_10device_ptrIiEEEEPS6_SG_NS0_5tupleIJSF_SF_EEENSH_IJSG_SG_EEES6_PlJ7is_evenIiEEEE10hipError_tPvRmT3_T4_T5_T6_T7_T9_mT8_P12ihipStream_tbDpT10_ENKUlT_T0_E_clISt17integral_constantIbLb1EES16_EEDaS11_S12_EUlS11_E_NS1_11comp_targetILNS1_3genE9ELNS1_11target_archE1100ELNS1_3gpuE3ELNS1_3repE0EEENS1_30default_config_static_selectorELNS0_4arch9wavefront6targetE1EEEvT1_,comdat
	.protected	_ZN7rocprim17ROCPRIM_400000_NS6detail17trampoline_kernelINS0_14default_configENS1_25partition_config_selectorILNS1_17partition_subalgoE0EiNS0_10empty_typeEbEEZZNS1_14partition_implILS5_0ELb0ES3_jN6thrust23THRUST_200600_302600_NS6detail15normal_iteratorINSA_10device_ptrIiEEEEPS6_SG_NS0_5tupleIJSF_SF_EEENSH_IJSG_SG_EEES6_PlJ7is_evenIiEEEE10hipError_tPvRmT3_T4_T5_T6_T7_T9_mT8_P12ihipStream_tbDpT10_ENKUlT_T0_E_clISt17integral_constantIbLb1EES16_EEDaS11_S12_EUlS11_E_NS1_11comp_targetILNS1_3genE9ELNS1_11target_archE1100ELNS1_3gpuE3ELNS1_3repE0EEENS1_30default_config_static_selectorELNS0_4arch9wavefront6targetE1EEEvT1_ ; -- Begin function _ZN7rocprim17ROCPRIM_400000_NS6detail17trampoline_kernelINS0_14default_configENS1_25partition_config_selectorILNS1_17partition_subalgoE0EiNS0_10empty_typeEbEEZZNS1_14partition_implILS5_0ELb0ES3_jN6thrust23THRUST_200600_302600_NS6detail15normal_iteratorINSA_10device_ptrIiEEEEPS6_SG_NS0_5tupleIJSF_SF_EEENSH_IJSG_SG_EEES6_PlJ7is_evenIiEEEE10hipError_tPvRmT3_T4_T5_T6_T7_T9_mT8_P12ihipStream_tbDpT10_ENKUlT_T0_E_clISt17integral_constantIbLb1EES16_EEDaS11_S12_EUlS11_E_NS1_11comp_targetILNS1_3genE9ELNS1_11target_archE1100ELNS1_3gpuE3ELNS1_3repE0EEENS1_30default_config_static_selectorELNS0_4arch9wavefront6targetE1EEEvT1_
	.globl	_ZN7rocprim17ROCPRIM_400000_NS6detail17trampoline_kernelINS0_14default_configENS1_25partition_config_selectorILNS1_17partition_subalgoE0EiNS0_10empty_typeEbEEZZNS1_14partition_implILS5_0ELb0ES3_jN6thrust23THRUST_200600_302600_NS6detail15normal_iteratorINSA_10device_ptrIiEEEEPS6_SG_NS0_5tupleIJSF_SF_EEENSH_IJSG_SG_EEES6_PlJ7is_evenIiEEEE10hipError_tPvRmT3_T4_T5_T6_T7_T9_mT8_P12ihipStream_tbDpT10_ENKUlT_T0_E_clISt17integral_constantIbLb1EES16_EEDaS11_S12_EUlS11_E_NS1_11comp_targetILNS1_3genE9ELNS1_11target_archE1100ELNS1_3gpuE3ELNS1_3repE0EEENS1_30default_config_static_selectorELNS0_4arch9wavefront6targetE1EEEvT1_
	.p2align	8
	.type	_ZN7rocprim17ROCPRIM_400000_NS6detail17trampoline_kernelINS0_14default_configENS1_25partition_config_selectorILNS1_17partition_subalgoE0EiNS0_10empty_typeEbEEZZNS1_14partition_implILS5_0ELb0ES3_jN6thrust23THRUST_200600_302600_NS6detail15normal_iteratorINSA_10device_ptrIiEEEEPS6_SG_NS0_5tupleIJSF_SF_EEENSH_IJSG_SG_EEES6_PlJ7is_evenIiEEEE10hipError_tPvRmT3_T4_T5_T6_T7_T9_mT8_P12ihipStream_tbDpT10_ENKUlT_T0_E_clISt17integral_constantIbLb1EES16_EEDaS11_S12_EUlS11_E_NS1_11comp_targetILNS1_3genE9ELNS1_11target_archE1100ELNS1_3gpuE3ELNS1_3repE0EEENS1_30default_config_static_selectorELNS0_4arch9wavefront6targetE1EEEvT1_,@function
_ZN7rocprim17ROCPRIM_400000_NS6detail17trampoline_kernelINS0_14default_configENS1_25partition_config_selectorILNS1_17partition_subalgoE0EiNS0_10empty_typeEbEEZZNS1_14partition_implILS5_0ELb0ES3_jN6thrust23THRUST_200600_302600_NS6detail15normal_iteratorINSA_10device_ptrIiEEEEPS6_SG_NS0_5tupleIJSF_SF_EEENSH_IJSG_SG_EEES6_PlJ7is_evenIiEEEE10hipError_tPvRmT3_T4_T5_T6_T7_T9_mT8_P12ihipStream_tbDpT10_ENKUlT_T0_E_clISt17integral_constantIbLb1EES16_EEDaS11_S12_EUlS11_E_NS1_11comp_targetILNS1_3genE9ELNS1_11target_archE1100ELNS1_3gpuE3ELNS1_3repE0EEENS1_30default_config_static_selectorELNS0_4arch9wavefront6targetE1EEEvT1_: ; @_ZN7rocprim17ROCPRIM_400000_NS6detail17trampoline_kernelINS0_14default_configENS1_25partition_config_selectorILNS1_17partition_subalgoE0EiNS0_10empty_typeEbEEZZNS1_14partition_implILS5_0ELb0ES3_jN6thrust23THRUST_200600_302600_NS6detail15normal_iteratorINSA_10device_ptrIiEEEEPS6_SG_NS0_5tupleIJSF_SF_EEENSH_IJSG_SG_EEES6_PlJ7is_evenIiEEEE10hipError_tPvRmT3_T4_T5_T6_T7_T9_mT8_P12ihipStream_tbDpT10_ENKUlT_T0_E_clISt17integral_constantIbLb1EES16_EEDaS11_S12_EUlS11_E_NS1_11comp_targetILNS1_3genE9ELNS1_11target_archE1100ELNS1_3gpuE3ELNS1_3repE0EEENS1_30default_config_static_selectorELNS0_4arch9wavefront6targetE1EEEvT1_
; %bb.0:
	.section	.rodata,"a",@progbits
	.p2align	6, 0x0
	.amdhsa_kernel _ZN7rocprim17ROCPRIM_400000_NS6detail17trampoline_kernelINS0_14default_configENS1_25partition_config_selectorILNS1_17partition_subalgoE0EiNS0_10empty_typeEbEEZZNS1_14partition_implILS5_0ELb0ES3_jN6thrust23THRUST_200600_302600_NS6detail15normal_iteratorINSA_10device_ptrIiEEEEPS6_SG_NS0_5tupleIJSF_SF_EEENSH_IJSG_SG_EEES6_PlJ7is_evenIiEEEE10hipError_tPvRmT3_T4_T5_T6_T7_T9_mT8_P12ihipStream_tbDpT10_ENKUlT_T0_E_clISt17integral_constantIbLb1EES16_EEDaS11_S12_EUlS11_E_NS1_11comp_targetILNS1_3genE9ELNS1_11target_archE1100ELNS1_3gpuE3ELNS1_3repE0EEENS1_30default_config_static_selectorELNS0_4arch9wavefront6targetE1EEEvT1_
		.amdhsa_group_segment_fixed_size 0
		.amdhsa_private_segment_fixed_size 0
		.amdhsa_kernarg_size 136
		.amdhsa_user_sgpr_count 2
		.amdhsa_user_sgpr_dispatch_ptr 0
		.amdhsa_user_sgpr_queue_ptr 0
		.amdhsa_user_sgpr_kernarg_segment_ptr 1
		.amdhsa_user_sgpr_dispatch_id 0
		.amdhsa_user_sgpr_kernarg_preload_length 0
		.amdhsa_user_sgpr_kernarg_preload_offset 0
		.amdhsa_user_sgpr_private_segment_size 0
		.amdhsa_uses_dynamic_stack 0
		.amdhsa_enable_private_segment 0
		.amdhsa_system_sgpr_workgroup_id_x 1
		.amdhsa_system_sgpr_workgroup_id_y 0
		.amdhsa_system_sgpr_workgroup_id_z 0
		.amdhsa_system_sgpr_workgroup_info 0
		.amdhsa_system_vgpr_workitem_id 0
		.amdhsa_next_free_vgpr 1
		.amdhsa_next_free_sgpr 0
		.amdhsa_accum_offset 4
		.amdhsa_reserve_vcc 0
		.amdhsa_float_round_mode_32 0
		.amdhsa_float_round_mode_16_64 0
		.amdhsa_float_denorm_mode_32 3
		.amdhsa_float_denorm_mode_16_64 3
		.amdhsa_dx10_clamp 1
		.amdhsa_ieee_mode 1
		.amdhsa_fp16_overflow 0
		.amdhsa_tg_split 0
		.amdhsa_exception_fp_ieee_invalid_op 0
		.amdhsa_exception_fp_denorm_src 0
		.amdhsa_exception_fp_ieee_div_zero 0
		.amdhsa_exception_fp_ieee_overflow 0
		.amdhsa_exception_fp_ieee_underflow 0
		.amdhsa_exception_fp_ieee_inexact 0
		.amdhsa_exception_int_div_zero 0
	.end_amdhsa_kernel
	.section	.text._ZN7rocprim17ROCPRIM_400000_NS6detail17trampoline_kernelINS0_14default_configENS1_25partition_config_selectorILNS1_17partition_subalgoE0EiNS0_10empty_typeEbEEZZNS1_14partition_implILS5_0ELb0ES3_jN6thrust23THRUST_200600_302600_NS6detail15normal_iteratorINSA_10device_ptrIiEEEEPS6_SG_NS0_5tupleIJSF_SF_EEENSH_IJSG_SG_EEES6_PlJ7is_evenIiEEEE10hipError_tPvRmT3_T4_T5_T6_T7_T9_mT8_P12ihipStream_tbDpT10_ENKUlT_T0_E_clISt17integral_constantIbLb1EES16_EEDaS11_S12_EUlS11_E_NS1_11comp_targetILNS1_3genE9ELNS1_11target_archE1100ELNS1_3gpuE3ELNS1_3repE0EEENS1_30default_config_static_selectorELNS0_4arch9wavefront6targetE1EEEvT1_,"axG",@progbits,_ZN7rocprim17ROCPRIM_400000_NS6detail17trampoline_kernelINS0_14default_configENS1_25partition_config_selectorILNS1_17partition_subalgoE0EiNS0_10empty_typeEbEEZZNS1_14partition_implILS5_0ELb0ES3_jN6thrust23THRUST_200600_302600_NS6detail15normal_iteratorINSA_10device_ptrIiEEEEPS6_SG_NS0_5tupleIJSF_SF_EEENSH_IJSG_SG_EEES6_PlJ7is_evenIiEEEE10hipError_tPvRmT3_T4_T5_T6_T7_T9_mT8_P12ihipStream_tbDpT10_ENKUlT_T0_E_clISt17integral_constantIbLb1EES16_EEDaS11_S12_EUlS11_E_NS1_11comp_targetILNS1_3genE9ELNS1_11target_archE1100ELNS1_3gpuE3ELNS1_3repE0EEENS1_30default_config_static_selectorELNS0_4arch9wavefront6targetE1EEEvT1_,comdat
.Lfunc_end335:
	.size	_ZN7rocprim17ROCPRIM_400000_NS6detail17trampoline_kernelINS0_14default_configENS1_25partition_config_selectorILNS1_17partition_subalgoE0EiNS0_10empty_typeEbEEZZNS1_14partition_implILS5_0ELb0ES3_jN6thrust23THRUST_200600_302600_NS6detail15normal_iteratorINSA_10device_ptrIiEEEEPS6_SG_NS0_5tupleIJSF_SF_EEENSH_IJSG_SG_EEES6_PlJ7is_evenIiEEEE10hipError_tPvRmT3_T4_T5_T6_T7_T9_mT8_P12ihipStream_tbDpT10_ENKUlT_T0_E_clISt17integral_constantIbLb1EES16_EEDaS11_S12_EUlS11_E_NS1_11comp_targetILNS1_3genE9ELNS1_11target_archE1100ELNS1_3gpuE3ELNS1_3repE0EEENS1_30default_config_static_selectorELNS0_4arch9wavefront6targetE1EEEvT1_, .Lfunc_end335-_ZN7rocprim17ROCPRIM_400000_NS6detail17trampoline_kernelINS0_14default_configENS1_25partition_config_selectorILNS1_17partition_subalgoE0EiNS0_10empty_typeEbEEZZNS1_14partition_implILS5_0ELb0ES3_jN6thrust23THRUST_200600_302600_NS6detail15normal_iteratorINSA_10device_ptrIiEEEEPS6_SG_NS0_5tupleIJSF_SF_EEENSH_IJSG_SG_EEES6_PlJ7is_evenIiEEEE10hipError_tPvRmT3_T4_T5_T6_T7_T9_mT8_P12ihipStream_tbDpT10_ENKUlT_T0_E_clISt17integral_constantIbLb1EES16_EEDaS11_S12_EUlS11_E_NS1_11comp_targetILNS1_3genE9ELNS1_11target_archE1100ELNS1_3gpuE3ELNS1_3repE0EEENS1_30default_config_static_selectorELNS0_4arch9wavefront6targetE1EEEvT1_
                                        ; -- End function
	.section	.AMDGPU.csdata,"",@progbits
; Kernel info:
; codeLenInByte = 0
; NumSgprs: 6
; NumVgprs: 0
; NumAgprs: 0
; TotalNumVgprs: 0
; ScratchSize: 0
; MemoryBound: 0
; FloatMode: 240
; IeeeMode: 1
; LDSByteSize: 0 bytes/workgroup (compile time only)
; SGPRBlocks: 0
; VGPRBlocks: 0
; NumSGPRsForWavesPerEU: 6
; NumVGPRsForWavesPerEU: 1
; AccumOffset: 4
; Occupancy: 8
; WaveLimiterHint : 0
; COMPUTE_PGM_RSRC2:SCRATCH_EN: 0
; COMPUTE_PGM_RSRC2:USER_SGPR: 2
; COMPUTE_PGM_RSRC2:TRAP_HANDLER: 0
; COMPUTE_PGM_RSRC2:TGID_X_EN: 1
; COMPUTE_PGM_RSRC2:TGID_Y_EN: 0
; COMPUTE_PGM_RSRC2:TGID_Z_EN: 0
; COMPUTE_PGM_RSRC2:TIDIG_COMP_CNT: 0
; COMPUTE_PGM_RSRC3_GFX90A:ACCUM_OFFSET: 0
; COMPUTE_PGM_RSRC3_GFX90A:TG_SPLIT: 0
	.section	.text._ZN7rocprim17ROCPRIM_400000_NS6detail17trampoline_kernelINS0_14default_configENS1_25partition_config_selectorILNS1_17partition_subalgoE0EiNS0_10empty_typeEbEEZZNS1_14partition_implILS5_0ELb0ES3_jN6thrust23THRUST_200600_302600_NS6detail15normal_iteratorINSA_10device_ptrIiEEEEPS6_SG_NS0_5tupleIJSF_SF_EEENSH_IJSG_SG_EEES6_PlJ7is_evenIiEEEE10hipError_tPvRmT3_T4_T5_T6_T7_T9_mT8_P12ihipStream_tbDpT10_ENKUlT_T0_E_clISt17integral_constantIbLb1EES16_EEDaS11_S12_EUlS11_E_NS1_11comp_targetILNS1_3genE8ELNS1_11target_archE1030ELNS1_3gpuE2ELNS1_3repE0EEENS1_30default_config_static_selectorELNS0_4arch9wavefront6targetE1EEEvT1_,"axG",@progbits,_ZN7rocprim17ROCPRIM_400000_NS6detail17trampoline_kernelINS0_14default_configENS1_25partition_config_selectorILNS1_17partition_subalgoE0EiNS0_10empty_typeEbEEZZNS1_14partition_implILS5_0ELb0ES3_jN6thrust23THRUST_200600_302600_NS6detail15normal_iteratorINSA_10device_ptrIiEEEEPS6_SG_NS0_5tupleIJSF_SF_EEENSH_IJSG_SG_EEES6_PlJ7is_evenIiEEEE10hipError_tPvRmT3_T4_T5_T6_T7_T9_mT8_P12ihipStream_tbDpT10_ENKUlT_T0_E_clISt17integral_constantIbLb1EES16_EEDaS11_S12_EUlS11_E_NS1_11comp_targetILNS1_3genE8ELNS1_11target_archE1030ELNS1_3gpuE2ELNS1_3repE0EEENS1_30default_config_static_selectorELNS0_4arch9wavefront6targetE1EEEvT1_,comdat
	.protected	_ZN7rocprim17ROCPRIM_400000_NS6detail17trampoline_kernelINS0_14default_configENS1_25partition_config_selectorILNS1_17partition_subalgoE0EiNS0_10empty_typeEbEEZZNS1_14partition_implILS5_0ELb0ES3_jN6thrust23THRUST_200600_302600_NS6detail15normal_iteratorINSA_10device_ptrIiEEEEPS6_SG_NS0_5tupleIJSF_SF_EEENSH_IJSG_SG_EEES6_PlJ7is_evenIiEEEE10hipError_tPvRmT3_T4_T5_T6_T7_T9_mT8_P12ihipStream_tbDpT10_ENKUlT_T0_E_clISt17integral_constantIbLb1EES16_EEDaS11_S12_EUlS11_E_NS1_11comp_targetILNS1_3genE8ELNS1_11target_archE1030ELNS1_3gpuE2ELNS1_3repE0EEENS1_30default_config_static_selectorELNS0_4arch9wavefront6targetE1EEEvT1_ ; -- Begin function _ZN7rocprim17ROCPRIM_400000_NS6detail17trampoline_kernelINS0_14default_configENS1_25partition_config_selectorILNS1_17partition_subalgoE0EiNS0_10empty_typeEbEEZZNS1_14partition_implILS5_0ELb0ES3_jN6thrust23THRUST_200600_302600_NS6detail15normal_iteratorINSA_10device_ptrIiEEEEPS6_SG_NS0_5tupleIJSF_SF_EEENSH_IJSG_SG_EEES6_PlJ7is_evenIiEEEE10hipError_tPvRmT3_T4_T5_T6_T7_T9_mT8_P12ihipStream_tbDpT10_ENKUlT_T0_E_clISt17integral_constantIbLb1EES16_EEDaS11_S12_EUlS11_E_NS1_11comp_targetILNS1_3genE8ELNS1_11target_archE1030ELNS1_3gpuE2ELNS1_3repE0EEENS1_30default_config_static_selectorELNS0_4arch9wavefront6targetE1EEEvT1_
	.globl	_ZN7rocprim17ROCPRIM_400000_NS6detail17trampoline_kernelINS0_14default_configENS1_25partition_config_selectorILNS1_17partition_subalgoE0EiNS0_10empty_typeEbEEZZNS1_14partition_implILS5_0ELb0ES3_jN6thrust23THRUST_200600_302600_NS6detail15normal_iteratorINSA_10device_ptrIiEEEEPS6_SG_NS0_5tupleIJSF_SF_EEENSH_IJSG_SG_EEES6_PlJ7is_evenIiEEEE10hipError_tPvRmT3_T4_T5_T6_T7_T9_mT8_P12ihipStream_tbDpT10_ENKUlT_T0_E_clISt17integral_constantIbLb1EES16_EEDaS11_S12_EUlS11_E_NS1_11comp_targetILNS1_3genE8ELNS1_11target_archE1030ELNS1_3gpuE2ELNS1_3repE0EEENS1_30default_config_static_selectorELNS0_4arch9wavefront6targetE1EEEvT1_
	.p2align	8
	.type	_ZN7rocprim17ROCPRIM_400000_NS6detail17trampoline_kernelINS0_14default_configENS1_25partition_config_selectorILNS1_17partition_subalgoE0EiNS0_10empty_typeEbEEZZNS1_14partition_implILS5_0ELb0ES3_jN6thrust23THRUST_200600_302600_NS6detail15normal_iteratorINSA_10device_ptrIiEEEEPS6_SG_NS0_5tupleIJSF_SF_EEENSH_IJSG_SG_EEES6_PlJ7is_evenIiEEEE10hipError_tPvRmT3_T4_T5_T6_T7_T9_mT8_P12ihipStream_tbDpT10_ENKUlT_T0_E_clISt17integral_constantIbLb1EES16_EEDaS11_S12_EUlS11_E_NS1_11comp_targetILNS1_3genE8ELNS1_11target_archE1030ELNS1_3gpuE2ELNS1_3repE0EEENS1_30default_config_static_selectorELNS0_4arch9wavefront6targetE1EEEvT1_,@function
_ZN7rocprim17ROCPRIM_400000_NS6detail17trampoline_kernelINS0_14default_configENS1_25partition_config_selectorILNS1_17partition_subalgoE0EiNS0_10empty_typeEbEEZZNS1_14partition_implILS5_0ELb0ES3_jN6thrust23THRUST_200600_302600_NS6detail15normal_iteratorINSA_10device_ptrIiEEEEPS6_SG_NS0_5tupleIJSF_SF_EEENSH_IJSG_SG_EEES6_PlJ7is_evenIiEEEE10hipError_tPvRmT3_T4_T5_T6_T7_T9_mT8_P12ihipStream_tbDpT10_ENKUlT_T0_E_clISt17integral_constantIbLb1EES16_EEDaS11_S12_EUlS11_E_NS1_11comp_targetILNS1_3genE8ELNS1_11target_archE1030ELNS1_3gpuE2ELNS1_3repE0EEENS1_30default_config_static_selectorELNS0_4arch9wavefront6targetE1EEEvT1_: ; @_ZN7rocprim17ROCPRIM_400000_NS6detail17trampoline_kernelINS0_14default_configENS1_25partition_config_selectorILNS1_17partition_subalgoE0EiNS0_10empty_typeEbEEZZNS1_14partition_implILS5_0ELb0ES3_jN6thrust23THRUST_200600_302600_NS6detail15normal_iteratorINSA_10device_ptrIiEEEEPS6_SG_NS0_5tupleIJSF_SF_EEENSH_IJSG_SG_EEES6_PlJ7is_evenIiEEEE10hipError_tPvRmT3_T4_T5_T6_T7_T9_mT8_P12ihipStream_tbDpT10_ENKUlT_T0_E_clISt17integral_constantIbLb1EES16_EEDaS11_S12_EUlS11_E_NS1_11comp_targetILNS1_3genE8ELNS1_11target_archE1030ELNS1_3gpuE2ELNS1_3repE0EEENS1_30default_config_static_selectorELNS0_4arch9wavefront6targetE1EEEvT1_
; %bb.0:
	.section	.rodata,"a",@progbits
	.p2align	6, 0x0
	.amdhsa_kernel _ZN7rocprim17ROCPRIM_400000_NS6detail17trampoline_kernelINS0_14default_configENS1_25partition_config_selectorILNS1_17partition_subalgoE0EiNS0_10empty_typeEbEEZZNS1_14partition_implILS5_0ELb0ES3_jN6thrust23THRUST_200600_302600_NS6detail15normal_iteratorINSA_10device_ptrIiEEEEPS6_SG_NS0_5tupleIJSF_SF_EEENSH_IJSG_SG_EEES6_PlJ7is_evenIiEEEE10hipError_tPvRmT3_T4_T5_T6_T7_T9_mT8_P12ihipStream_tbDpT10_ENKUlT_T0_E_clISt17integral_constantIbLb1EES16_EEDaS11_S12_EUlS11_E_NS1_11comp_targetILNS1_3genE8ELNS1_11target_archE1030ELNS1_3gpuE2ELNS1_3repE0EEENS1_30default_config_static_selectorELNS0_4arch9wavefront6targetE1EEEvT1_
		.amdhsa_group_segment_fixed_size 0
		.amdhsa_private_segment_fixed_size 0
		.amdhsa_kernarg_size 136
		.amdhsa_user_sgpr_count 2
		.amdhsa_user_sgpr_dispatch_ptr 0
		.amdhsa_user_sgpr_queue_ptr 0
		.amdhsa_user_sgpr_kernarg_segment_ptr 1
		.amdhsa_user_sgpr_dispatch_id 0
		.amdhsa_user_sgpr_kernarg_preload_length 0
		.amdhsa_user_sgpr_kernarg_preload_offset 0
		.amdhsa_user_sgpr_private_segment_size 0
		.amdhsa_uses_dynamic_stack 0
		.amdhsa_enable_private_segment 0
		.amdhsa_system_sgpr_workgroup_id_x 1
		.amdhsa_system_sgpr_workgroup_id_y 0
		.amdhsa_system_sgpr_workgroup_id_z 0
		.amdhsa_system_sgpr_workgroup_info 0
		.amdhsa_system_vgpr_workitem_id 0
		.amdhsa_next_free_vgpr 1
		.amdhsa_next_free_sgpr 0
		.amdhsa_accum_offset 4
		.amdhsa_reserve_vcc 0
		.amdhsa_float_round_mode_32 0
		.amdhsa_float_round_mode_16_64 0
		.amdhsa_float_denorm_mode_32 3
		.amdhsa_float_denorm_mode_16_64 3
		.amdhsa_dx10_clamp 1
		.amdhsa_ieee_mode 1
		.amdhsa_fp16_overflow 0
		.amdhsa_tg_split 0
		.amdhsa_exception_fp_ieee_invalid_op 0
		.amdhsa_exception_fp_denorm_src 0
		.amdhsa_exception_fp_ieee_div_zero 0
		.amdhsa_exception_fp_ieee_overflow 0
		.amdhsa_exception_fp_ieee_underflow 0
		.amdhsa_exception_fp_ieee_inexact 0
		.amdhsa_exception_int_div_zero 0
	.end_amdhsa_kernel
	.section	.text._ZN7rocprim17ROCPRIM_400000_NS6detail17trampoline_kernelINS0_14default_configENS1_25partition_config_selectorILNS1_17partition_subalgoE0EiNS0_10empty_typeEbEEZZNS1_14partition_implILS5_0ELb0ES3_jN6thrust23THRUST_200600_302600_NS6detail15normal_iteratorINSA_10device_ptrIiEEEEPS6_SG_NS0_5tupleIJSF_SF_EEENSH_IJSG_SG_EEES6_PlJ7is_evenIiEEEE10hipError_tPvRmT3_T4_T5_T6_T7_T9_mT8_P12ihipStream_tbDpT10_ENKUlT_T0_E_clISt17integral_constantIbLb1EES16_EEDaS11_S12_EUlS11_E_NS1_11comp_targetILNS1_3genE8ELNS1_11target_archE1030ELNS1_3gpuE2ELNS1_3repE0EEENS1_30default_config_static_selectorELNS0_4arch9wavefront6targetE1EEEvT1_,"axG",@progbits,_ZN7rocprim17ROCPRIM_400000_NS6detail17trampoline_kernelINS0_14default_configENS1_25partition_config_selectorILNS1_17partition_subalgoE0EiNS0_10empty_typeEbEEZZNS1_14partition_implILS5_0ELb0ES3_jN6thrust23THRUST_200600_302600_NS6detail15normal_iteratorINSA_10device_ptrIiEEEEPS6_SG_NS0_5tupleIJSF_SF_EEENSH_IJSG_SG_EEES6_PlJ7is_evenIiEEEE10hipError_tPvRmT3_T4_T5_T6_T7_T9_mT8_P12ihipStream_tbDpT10_ENKUlT_T0_E_clISt17integral_constantIbLb1EES16_EEDaS11_S12_EUlS11_E_NS1_11comp_targetILNS1_3genE8ELNS1_11target_archE1030ELNS1_3gpuE2ELNS1_3repE0EEENS1_30default_config_static_selectorELNS0_4arch9wavefront6targetE1EEEvT1_,comdat
.Lfunc_end336:
	.size	_ZN7rocprim17ROCPRIM_400000_NS6detail17trampoline_kernelINS0_14default_configENS1_25partition_config_selectorILNS1_17partition_subalgoE0EiNS0_10empty_typeEbEEZZNS1_14partition_implILS5_0ELb0ES3_jN6thrust23THRUST_200600_302600_NS6detail15normal_iteratorINSA_10device_ptrIiEEEEPS6_SG_NS0_5tupleIJSF_SF_EEENSH_IJSG_SG_EEES6_PlJ7is_evenIiEEEE10hipError_tPvRmT3_T4_T5_T6_T7_T9_mT8_P12ihipStream_tbDpT10_ENKUlT_T0_E_clISt17integral_constantIbLb1EES16_EEDaS11_S12_EUlS11_E_NS1_11comp_targetILNS1_3genE8ELNS1_11target_archE1030ELNS1_3gpuE2ELNS1_3repE0EEENS1_30default_config_static_selectorELNS0_4arch9wavefront6targetE1EEEvT1_, .Lfunc_end336-_ZN7rocprim17ROCPRIM_400000_NS6detail17trampoline_kernelINS0_14default_configENS1_25partition_config_selectorILNS1_17partition_subalgoE0EiNS0_10empty_typeEbEEZZNS1_14partition_implILS5_0ELb0ES3_jN6thrust23THRUST_200600_302600_NS6detail15normal_iteratorINSA_10device_ptrIiEEEEPS6_SG_NS0_5tupleIJSF_SF_EEENSH_IJSG_SG_EEES6_PlJ7is_evenIiEEEE10hipError_tPvRmT3_T4_T5_T6_T7_T9_mT8_P12ihipStream_tbDpT10_ENKUlT_T0_E_clISt17integral_constantIbLb1EES16_EEDaS11_S12_EUlS11_E_NS1_11comp_targetILNS1_3genE8ELNS1_11target_archE1030ELNS1_3gpuE2ELNS1_3repE0EEENS1_30default_config_static_selectorELNS0_4arch9wavefront6targetE1EEEvT1_
                                        ; -- End function
	.section	.AMDGPU.csdata,"",@progbits
; Kernel info:
; codeLenInByte = 0
; NumSgprs: 6
; NumVgprs: 0
; NumAgprs: 0
; TotalNumVgprs: 0
; ScratchSize: 0
; MemoryBound: 0
; FloatMode: 240
; IeeeMode: 1
; LDSByteSize: 0 bytes/workgroup (compile time only)
; SGPRBlocks: 0
; VGPRBlocks: 0
; NumSGPRsForWavesPerEU: 6
; NumVGPRsForWavesPerEU: 1
; AccumOffset: 4
; Occupancy: 8
; WaveLimiterHint : 0
; COMPUTE_PGM_RSRC2:SCRATCH_EN: 0
; COMPUTE_PGM_RSRC2:USER_SGPR: 2
; COMPUTE_PGM_RSRC2:TRAP_HANDLER: 0
; COMPUTE_PGM_RSRC2:TGID_X_EN: 1
; COMPUTE_PGM_RSRC2:TGID_Y_EN: 0
; COMPUTE_PGM_RSRC2:TGID_Z_EN: 0
; COMPUTE_PGM_RSRC2:TIDIG_COMP_CNT: 0
; COMPUTE_PGM_RSRC3_GFX90A:ACCUM_OFFSET: 0
; COMPUTE_PGM_RSRC3_GFX90A:TG_SPLIT: 0
	.section	.text._ZN7rocprim17ROCPRIM_400000_NS6detail17trampoline_kernelINS0_14default_configENS1_25partition_config_selectorILNS1_17partition_subalgoE0EiNS0_10empty_typeEbEEZZNS1_14partition_implILS5_0ELb0ES3_jN6thrust23THRUST_200600_302600_NS6detail15normal_iteratorINSA_10device_ptrIiEEEEPS6_SG_NS0_5tupleIJSF_SF_EEENSH_IJSG_SG_EEES6_PlJ7is_evenIiEEEE10hipError_tPvRmT3_T4_T5_T6_T7_T9_mT8_P12ihipStream_tbDpT10_ENKUlT_T0_E_clISt17integral_constantIbLb1EES15_IbLb0EEEEDaS11_S12_EUlS11_E_NS1_11comp_targetILNS1_3genE0ELNS1_11target_archE4294967295ELNS1_3gpuE0ELNS1_3repE0EEENS1_30default_config_static_selectorELNS0_4arch9wavefront6targetE1EEEvT1_,"axG",@progbits,_ZN7rocprim17ROCPRIM_400000_NS6detail17trampoline_kernelINS0_14default_configENS1_25partition_config_selectorILNS1_17partition_subalgoE0EiNS0_10empty_typeEbEEZZNS1_14partition_implILS5_0ELb0ES3_jN6thrust23THRUST_200600_302600_NS6detail15normal_iteratorINSA_10device_ptrIiEEEEPS6_SG_NS0_5tupleIJSF_SF_EEENSH_IJSG_SG_EEES6_PlJ7is_evenIiEEEE10hipError_tPvRmT3_T4_T5_T6_T7_T9_mT8_P12ihipStream_tbDpT10_ENKUlT_T0_E_clISt17integral_constantIbLb1EES15_IbLb0EEEEDaS11_S12_EUlS11_E_NS1_11comp_targetILNS1_3genE0ELNS1_11target_archE4294967295ELNS1_3gpuE0ELNS1_3repE0EEENS1_30default_config_static_selectorELNS0_4arch9wavefront6targetE1EEEvT1_,comdat
	.protected	_ZN7rocprim17ROCPRIM_400000_NS6detail17trampoline_kernelINS0_14default_configENS1_25partition_config_selectorILNS1_17partition_subalgoE0EiNS0_10empty_typeEbEEZZNS1_14partition_implILS5_0ELb0ES3_jN6thrust23THRUST_200600_302600_NS6detail15normal_iteratorINSA_10device_ptrIiEEEEPS6_SG_NS0_5tupleIJSF_SF_EEENSH_IJSG_SG_EEES6_PlJ7is_evenIiEEEE10hipError_tPvRmT3_T4_T5_T6_T7_T9_mT8_P12ihipStream_tbDpT10_ENKUlT_T0_E_clISt17integral_constantIbLb1EES15_IbLb0EEEEDaS11_S12_EUlS11_E_NS1_11comp_targetILNS1_3genE0ELNS1_11target_archE4294967295ELNS1_3gpuE0ELNS1_3repE0EEENS1_30default_config_static_selectorELNS0_4arch9wavefront6targetE1EEEvT1_ ; -- Begin function _ZN7rocprim17ROCPRIM_400000_NS6detail17trampoline_kernelINS0_14default_configENS1_25partition_config_selectorILNS1_17partition_subalgoE0EiNS0_10empty_typeEbEEZZNS1_14partition_implILS5_0ELb0ES3_jN6thrust23THRUST_200600_302600_NS6detail15normal_iteratorINSA_10device_ptrIiEEEEPS6_SG_NS0_5tupleIJSF_SF_EEENSH_IJSG_SG_EEES6_PlJ7is_evenIiEEEE10hipError_tPvRmT3_T4_T5_T6_T7_T9_mT8_P12ihipStream_tbDpT10_ENKUlT_T0_E_clISt17integral_constantIbLb1EES15_IbLb0EEEEDaS11_S12_EUlS11_E_NS1_11comp_targetILNS1_3genE0ELNS1_11target_archE4294967295ELNS1_3gpuE0ELNS1_3repE0EEENS1_30default_config_static_selectorELNS0_4arch9wavefront6targetE1EEEvT1_
	.globl	_ZN7rocprim17ROCPRIM_400000_NS6detail17trampoline_kernelINS0_14default_configENS1_25partition_config_selectorILNS1_17partition_subalgoE0EiNS0_10empty_typeEbEEZZNS1_14partition_implILS5_0ELb0ES3_jN6thrust23THRUST_200600_302600_NS6detail15normal_iteratorINSA_10device_ptrIiEEEEPS6_SG_NS0_5tupleIJSF_SF_EEENSH_IJSG_SG_EEES6_PlJ7is_evenIiEEEE10hipError_tPvRmT3_T4_T5_T6_T7_T9_mT8_P12ihipStream_tbDpT10_ENKUlT_T0_E_clISt17integral_constantIbLb1EES15_IbLb0EEEEDaS11_S12_EUlS11_E_NS1_11comp_targetILNS1_3genE0ELNS1_11target_archE4294967295ELNS1_3gpuE0ELNS1_3repE0EEENS1_30default_config_static_selectorELNS0_4arch9wavefront6targetE1EEEvT1_
	.p2align	8
	.type	_ZN7rocprim17ROCPRIM_400000_NS6detail17trampoline_kernelINS0_14default_configENS1_25partition_config_selectorILNS1_17partition_subalgoE0EiNS0_10empty_typeEbEEZZNS1_14partition_implILS5_0ELb0ES3_jN6thrust23THRUST_200600_302600_NS6detail15normal_iteratorINSA_10device_ptrIiEEEEPS6_SG_NS0_5tupleIJSF_SF_EEENSH_IJSG_SG_EEES6_PlJ7is_evenIiEEEE10hipError_tPvRmT3_T4_T5_T6_T7_T9_mT8_P12ihipStream_tbDpT10_ENKUlT_T0_E_clISt17integral_constantIbLb1EES15_IbLb0EEEEDaS11_S12_EUlS11_E_NS1_11comp_targetILNS1_3genE0ELNS1_11target_archE4294967295ELNS1_3gpuE0ELNS1_3repE0EEENS1_30default_config_static_selectorELNS0_4arch9wavefront6targetE1EEEvT1_,@function
_ZN7rocprim17ROCPRIM_400000_NS6detail17trampoline_kernelINS0_14default_configENS1_25partition_config_selectorILNS1_17partition_subalgoE0EiNS0_10empty_typeEbEEZZNS1_14partition_implILS5_0ELb0ES3_jN6thrust23THRUST_200600_302600_NS6detail15normal_iteratorINSA_10device_ptrIiEEEEPS6_SG_NS0_5tupleIJSF_SF_EEENSH_IJSG_SG_EEES6_PlJ7is_evenIiEEEE10hipError_tPvRmT3_T4_T5_T6_T7_T9_mT8_P12ihipStream_tbDpT10_ENKUlT_T0_E_clISt17integral_constantIbLb1EES15_IbLb0EEEEDaS11_S12_EUlS11_E_NS1_11comp_targetILNS1_3genE0ELNS1_11target_archE4294967295ELNS1_3gpuE0ELNS1_3repE0EEENS1_30default_config_static_selectorELNS0_4arch9wavefront6targetE1EEEvT1_: ; @_ZN7rocprim17ROCPRIM_400000_NS6detail17trampoline_kernelINS0_14default_configENS1_25partition_config_selectorILNS1_17partition_subalgoE0EiNS0_10empty_typeEbEEZZNS1_14partition_implILS5_0ELb0ES3_jN6thrust23THRUST_200600_302600_NS6detail15normal_iteratorINSA_10device_ptrIiEEEEPS6_SG_NS0_5tupleIJSF_SF_EEENSH_IJSG_SG_EEES6_PlJ7is_evenIiEEEE10hipError_tPvRmT3_T4_T5_T6_T7_T9_mT8_P12ihipStream_tbDpT10_ENKUlT_T0_E_clISt17integral_constantIbLb1EES15_IbLb0EEEEDaS11_S12_EUlS11_E_NS1_11comp_targetILNS1_3genE0ELNS1_11target_archE4294967295ELNS1_3gpuE0ELNS1_3repE0EEENS1_30default_config_static_selectorELNS0_4arch9wavefront6targetE1EEEvT1_
; %bb.0:
	.section	.rodata,"a",@progbits
	.p2align	6, 0x0
	.amdhsa_kernel _ZN7rocprim17ROCPRIM_400000_NS6detail17trampoline_kernelINS0_14default_configENS1_25partition_config_selectorILNS1_17partition_subalgoE0EiNS0_10empty_typeEbEEZZNS1_14partition_implILS5_0ELb0ES3_jN6thrust23THRUST_200600_302600_NS6detail15normal_iteratorINSA_10device_ptrIiEEEEPS6_SG_NS0_5tupleIJSF_SF_EEENSH_IJSG_SG_EEES6_PlJ7is_evenIiEEEE10hipError_tPvRmT3_T4_T5_T6_T7_T9_mT8_P12ihipStream_tbDpT10_ENKUlT_T0_E_clISt17integral_constantIbLb1EES15_IbLb0EEEEDaS11_S12_EUlS11_E_NS1_11comp_targetILNS1_3genE0ELNS1_11target_archE4294967295ELNS1_3gpuE0ELNS1_3repE0EEENS1_30default_config_static_selectorELNS0_4arch9wavefront6targetE1EEEvT1_
		.amdhsa_group_segment_fixed_size 0
		.amdhsa_private_segment_fixed_size 0
		.amdhsa_kernarg_size 120
		.amdhsa_user_sgpr_count 2
		.amdhsa_user_sgpr_dispatch_ptr 0
		.amdhsa_user_sgpr_queue_ptr 0
		.amdhsa_user_sgpr_kernarg_segment_ptr 1
		.amdhsa_user_sgpr_dispatch_id 0
		.amdhsa_user_sgpr_kernarg_preload_length 0
		.amdhsa_user_sgpr_kernarg_preload_offset 0
		.amdhsa_user_sgpr_private_segment_size 0
		.amdhsa_uses_dynamic_stack 0
		.amdhsa_enable_private_segment 0
		.amdhsa_system_sgpr_workgroup_id_x 1
		.amdhsa_system_sgpr_workgroup_id_y 0
		.amdhsa_system_sgpr_workgroup_id_z 0
		.amdhsa_system_sgpr_workgroup_info 0
		.amdhsa_system_vgpr_workitem_id 0
		.amdhsa_next_free_vgpr 1
		.amdhsa_next_free_sgpr 0
		.amdhsa_accum_offset 4
		.amdhsa_reserve_vcc 0
		.amdhsa_float_round_mode_32 0
		.amdhsa_float_round_mode_16_64 0
		.amdhsa_float_denorm_mode_32 3
		.amdhsa_float_denorm_mode_16_64 3
		.amdhsa_dx10_clamp 1
		.amdhsa_ieee_mode 1
		.amdhsa_fp16_overflow 0
		.amdhsa_tg_split 0
		.amdhsa_exception_fp_ieee_invalid_op 0
		.amdhsa_exception_fp_denorm_src 0
		.amdhsa_exception_fp_ieee_div_zero 0
		.amdhsa_exception_fp_ieee_overflow 0
		.amdhsa_exception_fp_ieee_underflow 0
		.amdhsa_exception_fp_ieee_inexact 0
		.amdhsa_exception_int_div_zero 0
	.end_amdhsa_kernel
	.section	.text._ZN7rocprim17ROCPRIM_400000_NS6detail17trampoline_kernelINS0_14default_configENS1_25partition_config_selectorILNS1_17partition_subalgoE0EiNS0_10empty_typeEbEEZZNS1_14partition_implILS5_0ELb0ES3_jN6thrust23THRUST_200600_302600_NS6detail15normal_iteratorINSA_10device_ptrIiEEEEPS6_SG_NS0_5tupleIJSF_SF_EEENSH_IJSG_SG_EEES6_PlJ7is_evenIiEEEE10hipError_tPvRmT3_T4_T5_T6_T7_T9_mT8_P12ihipStream_tbDpT10_ENKUlT_T0_E_clISt17integral_constantIbLb1EES15_IbLb0EEEEDaS11_S12_EUlS11_E_NS1_11comp_targetILNS1_3genE0ELNS1_11target_archE4294967295ELNS1_3gpuE0ELNS1_3repE0EEENS1_30default_config_static_selectorELNS0_4arch9wavefront6targetE1EEEvT1_,"axG",@progbits,_ZN7rocprim17ROCPRIM_400000_NS6detail17trampoline_kernelINS0_14default_configENS1_25partition_config_selectorILNS1_17partition_subalgoE0EiNS0_10empty_typeEbEEZZNS1_14partition_implILS5_0ELb0ES3_jN6thrust23THRUST_200600_302600_NS6detail15normal_iteratorINSA_10device_ptrIiEEEEPS6_SG_NS0_5tupleIJSF_SF_EEENSH_IJSG_SG_EEES6_PlJ7is_evenIiEEEE10hipError_tPvRmT3_T4_T5_T6_T7_T9_mT8_P12ihipStream_tbDpT10_ENKUlT_T0_E_clISt17integral_constantIbLb1EES15_IbLb0EEEEDaS11_S12_EUlS11_E_NS1_11comp_targetILNS1_3genE0ELNS1_11target_archE4294967295ELNS1_3gpuE0ELNS1_3repE0EEENS1_30default_config_static_selectorELNS0_4arch9wavefront6targetE1EEEvT1_,comdat
.Lfunc_end337:
	.size	_ZN7rocprim17ROCPRIM_400000_NS6detail17trampoline_kernelINS0_14default_configENS1_25partition_config_selectorILNS1_17partition_subalgoE0EiNS0_10empty_typeEbEEZZNS1_14partition_implILS5_0ELb0ES3_jN6thrust23THRUST_200600_302600_NS6detail15normal_iteratorINSA_10device_ptrIiEEEEPS6_SG_NS0_5tupleIJSF_SF_EEENSH_IJSG_SG_EEES6_PlJ7is_evenIiEEEE10hipError_tPvRmT3_T4_T5_T6_T7_T9_mT8_P12ihipStream_tbDpT10_ENKUlT_T0_E_clISt17integral_constantIbLb1EES15_IbLb0EEEEDaS11_S12_EUlS11_E_NS1_11comp_targetILNS1_3genE0ELNS1_11target_archE4294967295ELNS1_3gpuE0ELNS1_3repE0EEENS1_30default_config_static_selectorELNS0_4arch9wavefront6targetE1EEEvT1_, .Lfunc_end337-_ZN7rocprim17ROCPRIM_400000_NS6detail17trampoline_kernelINS0_14default_configENS1_25partition_config_selectorILNS1_17partition_subalgoE0EiNS0_10empty_typeEbEEZZNS1_14partition_implILS5_0ELb0ES3_jN6thrust23THRUST_200600_302600_NS6detail15normal_iteratorINSA_10device_ptrIiEEEEPS6_SG_NS0_5tupleIJSF_SF_EEENSH_IJSG_SG_EEES6_PlJ7is_evenIiEEEE10hipError_tPvRmT3_T4_T5_T6_T7_T9_mT8_P12ihipStream_tbDpT10_ENKUlT_T0_E_clISt17integral_constantIbLb1EES15_IbLb0EEEEDaS11_S12_EUlS11_E_NS1_11comp_targetILNS1_3genE0ELNS1_11target_archE4294967295ELNS1_3gpuE0ELNS1_3repE0EEENS1_30default_config_static_selectorELNS0_4arch9wavefront6targetE1EEEvT1_
                                        ; -- End function
	.section	.AMDGPU.csdata,"",@progbits
; Kernel info:
; codeLenInByte = 0
; NumSgprs: 6
; NumVgprs: 0
; NumAgprs: 0
; TotalNumVgprs: 0
; ScratchSize: 0
; MemoryBound: 0
; FloatMode: 240
; IeeeMode: 1
; LDSByteSize: 0 bytes/workgroup (compile time only)
; SGPRBlocks: 0
; VGPRBlocks: 0
; NumSGPRsForWavesPerEU: 6
; NumVGPRsForWavesPerEU: 1
; AccumOffset: 4
; Occupancy: 8
; WaveLimiterHint : 0
; COMPUTE_PGM_RSRC2:SCRATCH_EN: 0
; COMPUTE_PGM_RSRC2:USER_SGPR: 2
; COMPUTE_PGM_RSRC2:TRAP_HANDLER: 0
; COMPUTE_PGM_RSRC2:TGID_X_EN: 1
; COMPUTE_PGM_RSRC2:TGID_Y_EN: 0
; COMPUTE_PGM_RSRC2:TGID_Z_EN: 0
; COMPUTE_PGM_RSRC2:TIDIG_COMP_CNT: 0
; COMPUTE_PGM_RSRC3_GFX90A:ACCUM_OFFSET: 0
; COMPUTE_PGM_RSRC3_GFX90A:TG_SPLIT: 0
	.section	.text._ZN7rocprim17ROCPRIM_400000_NS6detail17trampoline_kernelINS0_14default_configENS1_25partition_config_selectorILNS1_17partition_subalgoE0EiNS0_10empty_typeEbEEZZNS1_14partition_implILS5_0ELb0ES3_jN6thrust23THRUST_200600_302600_NS6detail15normal_iteratorINSA_10device_ptrIiEEEEPS6_SG_NS0_5tupleIJSF_SF_EEENSH_IJSG_SG_EEES6_PlJ7is_evenIiEEEE10hipError_tPvRmT3_T4_T5_T6_T7_T9_mT8_P12ihipStream_tbDpT10_ENKUlT_T0_E_clISt17integral_constantIbLb1EES15_IbLb0EEEEDaS11_S12_EUlS11_E_NS1_11comp_targetILNS1_3genE5ELNS1_11target_archE942ELNS1_3gpuE9ELNS1_3repE0EEENS1_30default_config_static_selectorELNS0_4arch9wavefront6targetE1EEEvT1_,"axG",@progbits,_ZN7rocprim17ROCPRIM_400000_NS6detail17trampoline_kernelINS0_14default_configENS1_25partition_config_selectorILNS1_17partition_subalgoE0EiNS0_10empty_typeEbEEZZNS1_14partition_implILS5_0ELb0ES3_jN6thrust23THRUST_200600_302600_NS6detail15normal_iteratorINSA_10device_ptrIiEEEEPS6_SG_NS0_5tupleIJSF_SF_EEENSH_IJSG_SG_EEES6_PlJ7is_evenIiEEEE10hipError_tPvRmT3_T4_T5_T6_T7_T9_mT8_P12ihipStream_tbDpT10_ENKUlT_T0_E_clISt17integral_constantIbLb1EES15_IbLb0EEEEDaS11_S12_EUlS11_E_NS1_11comp_targetILNS1_3genE5ELNS1_11target_archE942ELNS1_3gpuE9ELNS1_3repE0EEENS1_30default_config_static_selectorELNS0_4arch9wavefront6targetE1EEEvT1_,comdat
	.protected	_ZN7rocprim17ROCPRIM_400000_NS6detail17trampoline_kernelINS0_14default_configENS1_25partition_config_selectorILNS1_17partition_subalgoE0EiNS0_10empty_typeEbEEZZNS1_14partition_implILS5_0ELb0ES3_jN6thrust23THRUST_200600_302600_NS6detail15normal_iteratorINSA_10device_ptrIiEEEEPS6_SG_NS0_5tupleIJSF_SF_EEENSH_IJSG_SG_EEES6_PlJ7is_evenIiEEEE10hipError_tPvRmT3_T4_T5_T6_T7_T9_mT8_P12ihipStream_tbDpT10_ENKUlT_T0_E_clISt17integral_constantIbLb1EES15_IbLb0EEEEDaS11_S12_EUlS11_E_NS1_11comp_targetILNS1_3genE5ELNS1_11target_archE942ELNS1_3gpuE9ELNS1_3repE0EEENS1_30default_config_static_selectorELNS0_4arch9wavefront6targetE1EEEvT1_ ; -- Begin function _ZN7rocprim17ROCPRIM_400000_NS6detail17trampoline_kernelINS0_14default_configENS1_25partition_config_selectorILNS1_17partition_subalgoE0EiNS0_10empty_typeEbEEZZNS1_14partition_implILS5_0ELb0ES3_jN6thrust23THRUST_200600_302600_NS6detail15normal_iteratorINSA_10device_ptrIiEEEEPS6_SG_NS0_5tupleIJSF_SF_EEENSH_IJSG_SG_EEES6_PlJ7is_evenIiEEEE10hipError_tPvRmT3_T4_T5_T6_T7_T9_mT8_P12ihipStream_tbDpT10_ENKUlT_T0_E_clISt17integral_constantIbLb1EES15_IbLb0EEEEDaS11_S12_EUlS11_E_NS1_11comp_targetILNS1_3genE5ELNS1_11target_archE942ELNS1_3gpuE9ELNS1_3repE0EEENS1_30default_config_static_selectorELNS0_4arch9wavefront6targetE1EEEvT1_
	.globl	_ZN7rocprim17ROCPRIM_400000_NS6detail17trampoline_kernelINS0_14default_configENS1_25partition_config_selectorILNS1_17partition_subalgoE0EiNS0_10empty_typeEbEEZZNS1_14partition_implILS5_0ELb0ES3_jN6thrust23THRUST_200600_302600_NS6detail15normal_iteratorINSA_10device_ptrIiEEEEPS6_SG_NS0_5tupleIJSF_SF_EEENSH_IJSG_SG_EEES6_PlJ7is_evenIiEEEE10hipError_tPvRmT3_T4_T5_T6_T7_T9_mT8_P12ihipStream_tbDpT10_ENKUlT_T0_E_clISt17integral_constantIbLb1EES15_IbLb0EEEEDaS11_S12_EUlS11_E_NS1_11comp_targetILNS1_3genE5ELNS1_11target_archE942ELNS1_3gpuE9ELNS1_3repE0EEENS1_30default_config_static_selectorELNS0_4arch9wavefront6targetE1EEEvT1_
	.p2align	8
	.type	_ZN7rocprim17ROCPRIM_400000_NS6detail17trampoline_kernelINS0_14default_configENS1_25partition_config_selectorILNS1_17partition_subalgoE0EiNS0_10empty_typeEbEEZZNS1_14partition_implILS5_0ELb0ES3_jN6thrust23THRUST_200600_302600_NS6detail15normal_iteratorINSA_10device_ptrIiEEEEPS6_SG_NS0_5tupleIJSF_SF_EEENSH_IJSG_SG_EEES6_PlJ7is_evenIiEEEE10hipError_tPvRmT3_T4_T5_T6_T7_T9_mT8_P12ihipStream_tbDpT10_ENKUlT_T0_E_clISt17integral_constantIbLb1EES15_IbLb0EEEEDaS11_S12_EUlS11_E_NS1_11comp_targetILNS1_3genE5ELNS1_11target_archE942ELNS1_3gpuE9ELNS1_3repE0EEENS1_30default_config_static_selectorELNS0_4arch9wavefront6targetE1EEEvT1_,@function
_ZN7rocprim17ROCPRIM_400000_NS6detail17trampoline_kernelINS0_14default_configENS1_25partition_config_selectorILNS1_17partition_subalgoE0EiNS0_10empty_typeEbEEZZNS1_14partition_implILS5_0ELb0ES3_jN6thrust23THRUST_200600_302600_NS6detail15normal_iteratorINSA_10device_ptrIiEEEEPS6_SG_NS0_5tupleIJSF_SF_EEENSH_IJSG_SG_EEES6_PlJ7is_evenIiEEEE10hipError_tPvRmT3_T4_T5_T6_T7_T9_mT8_P12ihipStream_tbDpT10_ENKUlT_T0_E_clISt17integral_constantIbLb1EES15_IbLb0EEEEDaS11_S12_EUlS11_E_NS1_11comp_targetILNS1_3genE5ELNS1_11target_archE942ELNS1_3gpuE9ELNS1_3repE0EEENS1_30default_config_static_selectorELNS0_4arch9wavefront6targetE1EEEvT1_: ; @_ZN7rocprim17ROCPRIM_400000_NS6detail17trampoline_kernelINS0_14default_configENS1_25partition_config_selectorILNS1_17partition_subalgoE0EiNS0_10empty_typeEbEEZZNS1_14partition_implILS5_0ELb0ES3_jN6thrust23THRUST_200600_302600_NS6detail15normal_iteratorINSA_10device_ptrIiEEEEPS6_SG_NS0_5tupleIJSF_SF_EEENSH_IJSG_SG_EEES6_PlJ7is_evenIiEEEE10hipError_tPvRmT3_T4_T5_T6_T7_T9_mT8_P12ihipStream_tbDpT10_ENKUlT_T0_E_clISt17integral_constantIbLb1EES15_IbLb0EEEEDaS11_S12_EUlS11_E_NS1_11comp_targetILNS1_3genE5ELNS1_11target_archE942ELNS1_3gpuE9ELNS1_3repE0EEENS1_30default_config_static_selectorELNS0_4arch9wavefront6targetE1EEEvT1_
; %bb.0:
	s_load_dwordx2 s[4:5], s[0:1], 0x58
	s_load_dwordx4 s[20:23], s[0:1], 0x8
	s_load_dwordx4 s[24:27], s[0:1], 0x48
	s_load_dword s3, s[0:1], 0x70
	s_mul_i32 s8, s2, 0x1e00
	s_waitcnt lgkmcnt(0)
	v_mov_b32_e32 v3, s5
	s_lshl_b64 s[6:7], s[22:23], 2
	s_add_u32 s10, s20, s6
	s_addc_u32 s11, s21, s7
	s_add_i32 s6, s3, -1
	s_mulk_i32 s3, 0x1e00
	s_add_i32 s5, s3, s22
	s_sub_i32 s33, s4, s5
	s_addk_i32 s33, 0x1e00
	v_mov_b32_e32 v2, s4
	s_add_u32 s4, s22, s3
	s_addc_u32 s5, s23, 0
	s_cmp_eq_u32 s2, s6
	s_load_dwordx2 s[28:29], s[26:27], 0x0
	s_cselect_b64 s[26:27], -1, 0
	s_cmp_lg_u32 s2, s6
	s_mov_b32 s9, 0
	v_cmp_lt_u64_e32 vcc, s[4:5], v[2:3]
	s_cselect_b64 s[4:5], -1, 0
	s_or_b64 s[6:7], s[4:5], vcc
	s_lshl_b64 s[30:31], s[8:9], 2
	s_add_u32 s8, s10, s30
	s_addc_u32 s9, s11, s31
	s_mov_b64 s[4:5], -1
	s_and_b64 vcc, exec, s[6:7]
	v_lshlrev_b32_e32 v18, 2, v0
	s_cbranch_vccz .LBB338_2
; %bb.1:
	v_mov_b32_e32 v19, 0
	v_lshl_add_u64 v[2:3], s[8:9], 0, v[18:19]
	v_add_co_u32_e32 v4, vcc, 0x1000, v2
	s_mov_b64 s[4:5], 0
	s_nop 0
	v_addc_co_u32_e32 v5, vcc, 0, v3, vcc
	v_add_co_u32_e32 v6, vcc, 0x2000, v2
	s_nop 1
	v_addc_co_u32_e32 v7, vcc, 0, v3, vcc
	v_add_co_u32_e32 v8, vcc, 0x3000, v2
	s_nop 1
	v_addc_co_u32_e32 v9, vcc, 0, v3, vcc
	flat_load_dword v1, v[2:3]
	flat_load_dword v10, v[2:3] offset:2048
	flat_load_dword v11, v[4:5]
	flat_load_dword v12, v[4:5] offset:2048
	;; [unrolled: 2-line block ×4, first 2 shown]
	v_add_co_u32_e32 v4, vcc, 0x4000, v2
	s_nop 1
	v_addc_co_u32_e32 v5, vcc, 0, v3, vcc
	v_add_co_u32_e32 v6, vcc, 0x5000, v2
	s_nop 1
	v_addc_co_u32_e32 v7, vcc, 0, v3, vcc
	;; [unrolled: 3-line block ×4, first 2 shown]
	flat_load_dword v17, v[4:5]
	flat_load_dword v19, v[4:5] offset:2048
	flat_load_dword v20, v[6:7]
	flat_load_dword v21, v[6:7] offset:2048
	;; [unrolled: 2-line block ×3, first 2 shown]
	flat_load_dword v24, v[2:3]
	s_waitcnt vmcnt(0) lgkmcnt(0)
	ds_write2st64_b32 v18, v1, v10 offset1:8
	ds_write2st64_b32 v18, v11, v12 offset0:16 offset1:24
	ds_write2st64_b32 v18, v13, v14 offset0:32 offset1:40
	;; [unrolled: 1-line block ×6, first 2 shown]
	ds_write_b32 v18, v24 offset:28672
	s_waitcnt lgkmcnt(0)
	s_barrier
.LBB338_2:
	s_andn2_b64 vcc, exec, s[4:5]
	v_cmp_gt_u32_e64 s[4:5], s33, v0
	s_cbranch_vccnz .LBB338_34
; %bb.3:
                                        ; implicit-def: $vgpr2_vgpr3_vgpr4_vgpr5_vgpr6_vgpr7_vgpr8_vgpr9_vgpr10_vgpr11_vgpr12_vgpr13_vgpr14_vgpr15_vgpr16_vgpr17
	s_and_saveexec_b64 s[10:11], s[4:5]
	s_cbranch_execz .LBB338_5
; %bb.4:
	v_mov_b32_e32 v19, 0
	v_lshl_add_u64 v[2:3], s[8:9], 0, v[18:19]
	flat_load_dword v2, v[2:3]
.LBB338_5:
	s_or_b64 exec, exec, s[10:11]
	v_or_b32_e32 v1, 0x200, v0
	v_cmp_gt_u32_e32 vcc, s33, v1
	s_and_saveexec_b64 s[4:5], vcc
	s_cbranch_execz .LBB338_7
; %bb.6:
	v_mov_b32_e32 v19, 0
	v_lshl_add_u64 v[20:21], s[8:9], 0, v[18:19]
	flat_load_dword v3, v[20:21] offset:2048
.LBB338_7:
	s_or_b64 exec, exec, s[4:5]
	v_or_b32_e32 v1, 0x400, v0
	v_cmp_gt_u32_e32 vcc, s33, v1
	s_and_saveexec_b64 s[4:5], vcc
	s_cbranch_execz .LBB338_9
; %bb.8:
	v_lshlrev_b32_e32 v20, 2, v1
	v_mov_b32_e32 v21, 0
	v_lshl_add_u64 v[20:21], s[8:9], 0, v[20:21]
	flat_load_dword v4, v[20:21]
.LBB338_9:
	s_or_b64 exec, exec, s[4:5]
	v_or_b32_e32 v1, 0x600, v0
	v_cmp_gt_u32_e32 vcc, s33, v1
	s_and_saveexec_b64 s[4:5], vcc
	s_cbranch_execz .LBB338_11
; %bb.10:
	v_lshlrev_b32_e32 v20, 2, v1
	v_mov_b32_e32 v21, 0
	v_lshl_add_u64 v[20:21], s[8:9], 0, v[20:21]
	flat_load_dword v5, v[20:21]
.LBB338_11:
	;; [unrolled: 11-line block ×13, first 2 shown]
	s_or_b64 exec, exec, s[4:5]
	s_waitcnt vmcnt(0) lgkmcnt(0)
	ds_write2st64_b32 v18, v2, v3 offset1:8
	ds_write2st64_b32 v18, v4, v5 offset0:16 offset1:24
	ds_write2st64_b32 v18, v6, v7 offset0:32 offset1:40
	;; [unrolled: 1-line block ×6, first 2 shown]
	ds_write_b32 v18, v16 offset:28672
	s_waitcnt lgkmcnt(0)
	s_barrier
.LBB338_34:
	v_mul_u32_u24_e32 v38, 15, v0
	v_lshlrev_b32_e32 v1, 2, v38
	s_waitcnt lgkmcnt(0)
	ds_read2_b32 v[32:33], v1 offset1:1
	ds_read2_b32 v[30:31], v1 offset0:2 offset1:3
	ds_read2_b32 v[28:29], v1 offset0:4 offset1:5
	;; [unrolled: 1-line block ×6, first 2 shown]
	ds_read_b32 v1, v1 offset:56
	v_cndmask_b32_e64 v2, 0, 1, s[6:7]
	v_cmp_ne_u32_e64 s[20:21], 1, v2
	s_andn2_b64 vcc, exec, s[6:7]
	s_waitcnt lgkmcnt(7)
	v_xor_b32_e32 v16, -1, v32
	v_xor_b32_e32 v15, -1, v33
	s_waitcnt lgkmcnt(6)
	v_xor_b32_e32 v14, -1, v30
	v_xor_b32_e32 v13, -1, v31
	s_waitcnt lgkmcnt(5)
	v_xor_b32_e32 v12, -1, v28
	v_xor_b32_e32 v11, -1, v29
	s_waitcnt lgkmcnt(4)
	v_xor_b32_e32 v10, -1, v26
	v_xor_b32_e32 v9, -1, v27
	s_waitcnt lgkmcnt(3)
	v_xor_b32_e32 v8, -1, v24
	v_xor_b32_e32 v7, -1, v25
	s_waitcnt lgkmcnt(2)
	v_xor_b32_e32 v6, -1, v22
	v_xor_b32_e32 v5, -1, v23
	s_waitcnt lgkmcnt(1)
	v_xor_b32_e32 v4, -1, v20
	v_xor_b32_e32 v3, -1, v21
	s_waitcnt lgkmcnt(0)
	v_xor_b32_e32 v2, -1, v1
	s_barrier
	s_cbranch_vccnz .LBB338_36
; %bb.35:
	v_and_b32_e32 v51, 1, v16
	v_and_b32_e32 v50, 1, v15
	;; [unrolled: 1-line block ×15, first 2 shown]
	s_load_dwordx2 s[34:35], s[0:1], 0x68
	s_cbranch_execz .LBB338_37
	s_branch .LBB338_38
.LBB338_36:
                                        ; implicit-def: $vgpr19
                                        ; implicit-def: $vgpr37
                                        ; implicit-def: $vgpr39
                                        ; implicit-def: $vgpr40
                                        ; implicit-def: $vgpr41
                                        ; implicit-def: $vgpr42
                                        ; implicit-def: $vgpr43
                                        ; implicit-def: $vgpr44
                                        ; implicit-def: $vgpr45
                                        ; implicit-def: $vgpr51
                                        ; implicit-def: $vgpr50
                                        ; implicit-def: $vgpr49
                                        ; implicit-def: $vgpr48
                                        ; implicit-def: $vgpr47
                                        ; implicit-def: $vgpr46
	s_load_dwordx2 s[34:35], s[0:1], 0x68
.LBB338_37:
	v_add_u32_e32 v44, 1, v38
	v_cmp_gt_u32_e32 vcc, s33, v38
	v_add_u32_e32 v17, 2, v38
	v_add_u32_e32 v43, 3, v38
	v_cndmask_b32_e64 v45, 0, 1, vcc
	v_cmp_gt_u32_e32 vcc, s33, v44
	v_and_b32_e32 v51, v45, v16
	v_add_u32_e32 v19, 4, v38
	v_cndmask_b32_e64 v16, 0, 1, vcc
	v_cmp_gt_u32_e32 vcc, s33, v17
	v_and_b32_e32 v50, v16, v15
	;; [unrolled: 4-line block ×12, first 2 shown]
	s_nop 0
	v_cndmask_b32_e64 v5, 0, 1, vcc
	v_cmp_gt_u32_e32 vcc, s33, v53
	v_and_b32_e32 v39, v5, v4
	s_nop 0
	v_cndmask_b32_e64 v4, 0, 1, vcc
	v_cmp_gt_u32_e32 vcc, s33, v52
	v_and_b32_e32 v37, v4, v3
	s_nop 0
	v_cndmask_b32_e64 v3, 0, 1, vcc
	v_and_b32_e32 v19, v3, v2
.LBB338_38:
	v_and_b32_e32 v55, 0xff, v48
	v_and_b32_e32 v56, 0xff, v47
	;; [unrolled: 1-line block ×5, first 2 shown]
	v_add3_u32 v3, v56, v57, v55
	v_and_b32_e32 v52, 0xff, v51
	v_and_b32_e32 v58, 0xff, v45
	v_add3_u32 v3, v3, v54, v53
	v_and_b32_e32 v59, 0xff, v44
	v_and_b32_e32 v60, 0xff, v43
	;; [unrolled: 3-line block ×5, first 2 shown]
	v_add3_u32 v3, v3, v63, v64
	v_add3_u32 v68, v3, v65, v2
	v_mbcnt_lo_u32_b32 v2, -1, 0
	v_mbcnt_hi_u32_b32 v66, -1, v2
	v_and_b32_e32 v2, 15, v66
	v_cmp_eq_u32_e64 s[16:17], 0, v2
	v_cmp_lt_u32_e64 s[14:15], 1, v2
	v_cmp_lt_u32_e64 s[12:13], 3, v2
	;; [unrolled: 1-line block ×3, first 2 shown]
	v_and_b32_e32 v2, 16, v66
	v_cmp_eq_u32_e64 s[8:9], 0, v2
	v_or_b32_e32 v2, 63, v0
	s_cmp_lg_u32 s2, 0
	v_cmp_lt_u32_e64 s[4:5], 31, v66
	v_lshrrev_b32_e32 v67, 6, v0
	v_cmp_eq_u32_e64 s[6:7], v2, v0
	s_cbranch_scc0 .LBB338_69
; %bb.39:
	v_mov_b32_dpp v2, v68 row_shr:1 row_mask:0xf bank_mask:0xf
	v_cndmask_b32_e64 v2, v2, 0, s[16:17]
	v_add_u32_e32 v2, v2, v68
	s_nop 1
	v_mov_b32_dpp v3, v2 row_shr:2 row_mask:0xf bank_mask:0xf
	v_cndmask_b32_e64 v3, 0, v3, s[14:15]
	v_add_u32_e32 v2, v2, v3
	s_nop 1
	;; [unrolled: 4-line block ×4, first 2 shown]
	v_mov_b32_dpp v3, v2 row_bcast:15 row_mask:0xf bank_mask:0xf
	v_cndmask_b32_e64 v3, v3, 0, s[8:9]
	v_add_u32_e32 v2, v2, v3
	s_nop 1
	v_mov_b32_dpp v3, v2 row_bcast:31 row_mask:0xf bank_mask:0xf
	v_cndmask_b32_e64 v3, 0, v3, s[4:5]
	v_add_u32_e32 v2, v2, v3
	s_and_saveexec_b64 s[18:19], s[6:7]
	s_cbranch_execz .LBB338_41
; %bb.40:
	v_lshlrev_b32_e32 v3, 2, v67
	ds_write_b32 v3, v2
.LBB338_41:
	s_or_b64 exec, exec, s[18:19]
	v_cmp_gt_u32_e32 vcc, 8, v0
	s_waitcnt lgkmcnt(0)
	s_barrier
	s_and_saveexec_b64 s[18:19], vcc
	s_cbranch_execz .LBB338_43
; %bb.42:
	ds_read_b32 v3, v18
	v_and_b32_e32 v4, 7, v66
	v_cmp_ne_u32_e32 vcc, 0, v4
	s_waitcnt lgkmcnt(0)
	v_mov_b32_dpp v5, v3 row_shr:1 row_mask:0xf bank_mask:0xf
	v_cndmask_b32_e32 v5, 0, v5, vcc
	v_add_u32_e32 v3, v5, v3
	v_cmp_lt_u32_e32 vcc, 1, v4
	s_nop 0
	v_mov_b32_dpp v5, v3 row_shr:2 row_mask:0xf bank_mask:0xf
	v_cndmask_b32_e32 v5, 0, v5, vcc
	v_add_u32_e32 v3, v3, v5
	v_cmp_lt_u32_e32 vcc, 3, v4
	s_nop 0
	v_mov_b32_dpp v5, v3 row_shr:4 row_mask:0xf bank_mask:0xf
	v_cndmask_b32_e32 v4, 0, v5, vcc
	v_add_u32_e32 v3, v3, v4
	ds_write_b32 v18, v3
.LBB338_43:
	s_or_b64 exec, exec, s[18:19]
	v_cmp_gt_u32_e32 vcc, 64, v0
	v_cmp_lt_u32_e64 s[18:19], 63, v0
	s_waitcnt lgkmcnt(0)
	s_barrier
	s_waitcnt lgkmcnt(0)
                                        ; implicit-def: $vgpr12
	s_and_saveexec_b64 s[36:37], s[18:19]
	s_cbranch_execz .LBB338_45
; %bb.44:
	v_lshl_add_u32 v3, v67, 2, -4
	ds_read_b32 v12, v3
	s_waitcnt lgkmcnt(0)
	v_add_u32_e32 v2, v12, v2
.LBB338_45:
	s_or_b64 exec, exec, s[36:37]
	v_add_u32_e32 v3, -1, v66
	v_and_b32_e32 v4, 64, v66
	v_cmp_lt_i32_e64 s[18:19], v3, v4
	s_nop 1
	v_cndmask_b32_e64 v3, v3, v66, s[18:19]
	v_lshlrev_b32_e32 v3, 2, v3
	ds_bpermute_b32 v13, v3, v2
	v_cmp_eq_u32_e64 s[18:19], 0, v66
	s_and_saveexec_b64 s[36:37], vcc
	s_cbranch_execz .LBB338_68
; %bb.46:
	v_mov_b32_e32 v11, 0
	ds_read_b32 v2, v11 offset:28
	s_and_saveexec_b64 s[38:39], s[18:19]
	s_cbranch_execz .LBB338_48
; %bb.47:
	s_add_i32 s40, s2, 64
	s_mov_b32 s41, 0
	s_lshl_b64 s[40:41], s[40:41], 3
	s_add_u32 s40, s34, s40
	v_mov_b32_e32 v3, 1
	s_addc_u32 s41, s35, s41
	s_waitcnt lgkmcnt(0)
	global_store_dwordx2 v11, v[2:3], s[40:41] sc1
.LBB338_48:
	s_or_b64 exec, exec, s[38:39]
	v_xad_u32 v4, v66, -1, s2
	v_add_u32_e32 v10, 64, v4
	v_lshl_add_u64 v[6:7], v[10:11], 3, s[34:35]
	global_load_dwordx2 v[8:9], v[6:7], off sc1
	s_waitcnt vmcnt(0)
	v_cmp_eq_u16_sdwa s[40:41], v9, v11 src0_sel:BYTE_0 src1_sel:DWORD
	s_and_saveexec_b64 s[38:39], s[40:41]
	s_cbranch_execz .LBB338_54
; %bb.49:
	s_mov_b32 s3, 1
	s_mov_b64 s[40:41], 0
	v_mov_b32_e32 v3, 0
.LBB338_50:                             ; =>This Loop Header: Depth=1
                                        ;     Child Loop BB338_51 Depth 2
	s_max_u32 s42, s3, 1
.LBB338_51:                             ;   Parent Loop BB338_50 Depth=1
                                        ; =>  This Inner Loop Header: Depth=2
	s_add_i32 s42, s42, -1
	s_cmp_eq_u32 s42, 0
	s_sleep 1
	s_cbranch_scc0 .LBB338_51
; %bb.52:                               ;   in Loop: Header=BB338_50 Depth=1
	global_load_dwordx2 v[8:9], v[6:7], off sc1
	s_cmp_lt_u32 s3, 32
	s_cselect_b64 s[42:43], -1, 0
	s_cmp_lg_u64 s[42:43], 0
	s_addc_u32 s3, s3, 0
	s_waitcnt vmcnt(0)
	v_cmp_ne_u16_sdwa s[42:43], v9, v3 src0_sel:BYTE_0 src1_sel:DWORD
	s_or_b64 s[40:41], s[42:43], s[40:41]
	s_andn2_b64 exec, exec, s[40:41]
	s_cbranch_execnz .LBB338_50
; %bb.53:
	s_or_b64 exec, exec, s[40:41]
.LBB338_54:
	s_or_b64 exec, exec, s[38:39]
	v_and_b32_e32 v15, 63, v66
	v_mov_b32_e32 v14, 2
	v_cmp_ne_u32_e32 vcc, 63, v15
	v_cmp_eq_u16_sdwa s[38:39], v9, v14 src0_sel:BYTE_0 src1_sel:DWORD
	v_lshlrev_b64 v[6:7], v66, -1
	v_addc_co_u32_e32 v10, vcc, 0, v66, vcc
	v_and_b32_e32 v3, s39, v7
	v_lshlrev_b32_e32 v16, 2, v10
	v_or_b32_e32 v3, 0x80000000, v3
	ds_bpermute_b32 v10, v16, v8
	v_and_b32_e32 v5, s38, v6
	v_ffbl_b32_e32 v3, v3
	v_add_u32_e32 v3, 32, v3
	v_ffbl_b32_e32 v5, v5
	v_min_u32_e32 v3, v5, v3
	v_cmp_lt_u32_e32 vcc, v15, v3
	v_add_u32_e32 v34, 2, v15
	v_add_u32_e32 v36, 4, v15
	s_waitcnt lgkmcnt(0)
	v_cndmask_b32_e32 v5, 0, v10, vcc
	v_cmp_gt_u32_e32 vcc, 62, v15
	v_add_u32_e32 v5, v5, v8
	v_add_u32_e32 v70, 8, v15
	v_cndmask_b32_e64 v8, 0, 1, vcc
	v_lshlrev_b32_e32 v8, 1, v8
	v_add_lshl_u32 v17, v8, v66, 2
	ds_bpermute_b32 v8, v17, v5
	v_cmp_le_u32_e32 vcc, v34, v3
	v_add_u32_e32 v72, 16, v15
	v_add_u32_e32 v74, 32, v15
	s_waitcnt lgkmcnt(0)
	v_cndmask_b32_e32 v8, 0, v8, vcc
	v_cmp_gt_u32_e32 vcc, 60, v15
	v_add_u32_e32 v5, v5, v8
	s_nop 0
	v_cndmask_b32_e64 v8, 0, 1, vcc
	v_lshlrev_b32_e32 v8, 2, v8
	v_add_lshl_u32 v35, v8, v66, 2
	ds_bpermute_b32 v8, v35, v5
	v_cmp_le_u32_e32 vcc, v36, v3
	s_waitcnt lgkmcnt(0)
	s_nop 0
	v_cndmask_b32_e32 v8, 0, v8, vcc
	v_cmp_gt_u32_e32 vcc, 56, v15
	v_add_u32_e32 v5, v5, v8
	s_nop 0
	v_cndmask_b32_e64 v8, 0, 1, vcc
	v_lshlrev_b32_e32 v8, 3, v8
	v_add_lshl_u32 v69, v8, v66, 2
	ds_bpermute_b32 v8, v69, v5
	v_cmp_le_u32_e32 vcc, v70, v3
	s_waitcnt lgkmcnt(0)
	s_nop 0
	v_cndmask_b32_e32 v8, 0, v8, vcc
	v_cmp_gt_u32_e32 vcc, 48, v15
	v_add_u32_e32 v5, v5, v8
	s_nop 0
	v_cndmask_b32_e64 v8, 0, 1, vcc
	v_lshlrev_b32_e32 v8, 4, v8
	v_add_lshl_u32 v71, v8, v66, 2
	ds_bpermute_b32 v8, v71, v5
	v_cmp_le_u32_e32 vcc, v72, v3
	s_waitcnt lgkmcnt(0)
	s_nop 0
	v_cndmask_b32_e32 v8, 0, v8, vcc
	v_cmp_gt_u32_e32 vcc, 32, v15
	v_add_u32_e32 v5, v5, v8
	s_nop 0
	v_cndmask_b32_e64 v8, 0, 1, vcc
	v_lshlrev_b32_e32 v8, 5, v8
	v_add_lshl_u32 v73, v8, v66, 2
	ds_bpermute_b32 v8, v73, v5
	v_cmp_le_u32_e32 vcc, v74, v3
	s_waitcnt lgkmcnt(0)
	s_nop 0
	v_cndmask_b32_e32 v3, 0, v8, vcc
	v_add_u32_e32 v8, v5, v3
	v_mov_b32_e32 v5, 0
	s_branch .LBB338_56
.LBB338_55:                             ;   in Loop: Header=BB338_56 Depth=1
	s_or_b64 exec, exec, s[38:39]
	v_cmp_eq_u16_sdwa s[38:39], v9, v14 src0_sel:BYTE_0 src1_sel:DWORD
	ds_bpermute_b32 v75, v16, v8
	v_subrev_u32_e32 v4, 64, v4
	v_and_b32_e32 v10, s39, v7
	v_or_b32_e32 v10, 0x80000000, v10
	v_and_b32_e32 v11, s38, v6
	v_ffbl_b32_e32 v10, v10
	v_add_u32_e32 v10, 32, v10
	v_ffbl_b32_e32 v11, v11
	v_min_u32_e32 v10, v11, v10
	v_cmp_lt_u32_e32 vcc, v15, v10
	s_waitcnt lgkmcnt(0)
	s_nop 0
	v_cndmask_b32_e32 v11, 0, v75, vcc
	v_add_u32_e32 v8, v11, v8
	ds_bpermute_b32 v11, v17, v8
	v_cmp_le_u32_e32 vcc, v34, v10
	s_waitcnt lgkmcnt(0)
	s_nop 0
	v_cndmask_b32_e32 v11, 0, v11, vcc
	v_add_u32_e32 v8, v8, v11
	ds_bpermute_b32 v11, v35, v8
	v_cmp_le_u32_e32 vcc, v36, v10
	;; [unrolled: 6-line block ×5, first 2 shown]
	s_waitcnt lgkmcnt(0)
	s_nop 0
	v_cndmask_b32_e32 v10, 0, v11, vcc
	v_add3_u32 v8, v10, v3, v8
.LBB338_56:                             ; =>This Loop Header: Depth=1
                                        ;     Child Loop BB338_59 Depth 2
                                        ;       Child Loop BB338_60 Depth 3
	v_cmp_ne_u16_sdwa s[38:39], v9, v14 src0_sel:BYTE_0 src1_sel:DWORD
	s_nop 1
	v_cndmask_b32_e64 v3, 0, 1, s[38:39]
	;;#ASMSTART
	;;#ASMEND
	s_nop 0
	v_cmp_ne_u32_e32 vcc, 0, v3
	s_cmp_lg_u64 vcc, exec
	v_mov_b32_e32 v3, v8
	s_cbranch_scc1 .LBB338_63
; %bb.57:                               ;   in Loop: Header=BB338_56 Depth=1
	v_lshl_add_u64 v[10:11], v[4:5], 3, s[34:35]
	global_load_dwordx2 v[8:9], v[10:11], off sc1
	s_waitcnt vmcnt(0)
	v_cmp_eq_u16_sdwa s[40:41], v9, v5 src0_sel:BYTE_0 src1_sel:DWORD
	s_and_saveexec_b64 s[38:39], s[40:41]
	s_cbranch_execz .LBB338_55
; %bb.58:                               ;   in Loop: Header=BB338_56 Depth=1
	s_mov_b32 s3, 1
	s_mov_b64 s[40:41], 0
.LBB338_59:                             ;   Parent Loop BB338_56 Depth=1
                                        ; =>  This Loop Header: Depth=2
                                        ;       Child Loop BB338_60 Depth 3
	s_max_u32 s42, s3, 1
.LBB338_60:                             ;   Parent Loop BB338_56 Depth=1
                                        ;     Parent Loop BB338_59 Depth=2
                                        ; =>    This Inner Loop Header: Depth=3
	s_add_i32 s42, s42, -1
	s_cmp_eq_u32 s42, 0
	s_sleep 1
	s_cbranch_scc0 .LBB338_60
; %bb.61:                               ;   in Loop: Header=BB338_59 Depth=2
	global_load_dwordx2 v[8:9], v[10:11], off sc1
	s_cmp_lt_u32 s3, 32
	s_cselect_b64 s[42:43], -1, 0
	s_cmp_lg_u64 s[42:43], 0
	s_addc_u32 s3, s3, 0
	s_waitcnt vmcnt(0)
	v_cmp_ne_u16_sdwa s[42:43], v9, v5 src0_sel:BYTE_0 src1_sel:DWORD
	s_or_b64 s[40:41], s[42:43], s[40:41]
	s_andn2_b64 exec, exec, s[40:41]
	s_cbranch_execnz .LBB338_59
; %bb.62:                               ;   in Loop: Header=BB338_56 Depth=1
	s_or_b64 exec, exec, s[40:41]
	s_branch .LBB338_55
.LBB338_63:                             ;   in Loop: Header=BB338_56 Depth=1
                                        ; implicit-def: $vgpr8
                                        ; implicit-def: $vgpr9
	s_cbranch_execz .LBB338_56
; %bb.64:
	s_and_saveexec_b64 s[38:39], s[18:19]
	s_cbranch_execz .LBB338_66
; %bb.65:
	s_add_i32 s2, s2, 64
	s_mov_b32 s3, 0
	s_lshl_b64 s[2:3], s[2:3], 3
	s_add_u32 s2, s34, s2
	v_add_u32_e32 v4, v3, v2
	v_mov_b32_e32 v5, 2
	s_addc_u32 s3, s35, s3
	v_mov_b32_e32 v6, 0
	global_store_dwordx2 v6, v[4:5], s[2:3] sc1
	ds_write_b64 v6, v[2:3] offset:30720
.LBB338_66:
	s_or_b64 exec, exec, s[38:39]
	v_cmp_eq_u32_e32 vcc, 0, v0
	s_and_b64 exec, exec, vcc
	s_cbranch_execz .LBB338_68
; %bb.67:
	v_mov_b32_e32 v2, 0
	ds_write_b32 v2, v3 offset:28
.LBB338_68:
	s_or_b64 exec, exec, s[36:37]
	v_mov_b32_e32 v14, 0
	s_waitcnt lgkmcnt(0)
	s_barrier
	ds_read_b32 v2, v14 offset:28
	v_cndmask_b32_e64 v3, v13, v12, s[18:19]
	v_cmp_ne_u32_e32 vcc, 0, v0
	s_waitcnt lgkmcnt(0)
	s_barrier
	v_cndmask_b32_e32 v3, 0, v3, vcc
	v_add_u32_e32 v2, v2, v3
	v_add_u32_e32 v3, v2, v52
	;; [unrolled: 1-line block ×10, first 2 shown]
	ds_read_b64 v[34:35], v14 offset:30720
	v_add_u32_e32 v12, v11, v61
	v_add_u32_e32 v13, v12, v62
	;; [unrolled: 1-line block ×5, first 2 shown]
	s_waitcnt lgkmcnt(0)
	v_mov_b32_e32 v36, v35
	s_branch .LBB338_79
.LBB338_69:
                                        ; implicit-def: $vgpr36
                                        ; implicit-def: $vgpr34
                                        ; implicit-def: $vgpr2_vgpr3_vgpr4_vgpr5_vgpr6_vgpr7_vgpr8_vgpr9_vgpr10_vgpr11_vgpr12_vgpr13_vgpr14_vgpr15_vgpr16_vgpr17
	s_cbranch_execz .LBB338_79
; %bb.70:
	s_nop 0
	v_mov_b32_dpp v2, v68 row_shr:1 row_mask:0xf bank_mask:0xf
	v_cndmask_b32_e64 v2, v2, 0, s[16:17]
	v_add_u32_e32 v2, v2, v68
	s_nop 1
	v_mov_b32_dpp v3, v2 row_shr:2 row_mask:0xf bank_mask:0xf
	v_cndmask_b32_e64 v3, 0, v3, s[14:15]
	v_add_u32_e32 v2, v2, v3
	;; [unrolled: 4-line block ×4, first 2 shown]
	s_nop 1
	v_mov_b32_dpp v3, v2 row_bcast:15 row_mask:0xf bank_mask:0xf
	v_cndmask_b32_e64 v3, v3, 0, s[8:9]
	v_add_u32_e32 v2, v2, v3
	s_nop 1
	v_mov_b32_dpp v3, v2 row_bcast:31 row_mask:0xf bank_mask:0xf
	v_cndmask_b32_e64 v3, 0, v3, s[4:5]
	v_add_u32_e32 v2, v2, v3
	s_and_saveexec_b64 s[2:3], s[6:7]
	s_cbranch_execz .LBB338_72
; %bb.71:
	v_lshlrev_b32_e32 v3, 2, v67
	ds_write_b32 v3, v2
.LBB338_72:
	s_or_b64 exec, exec, s[2:3]
	v_cmp_gt_u32_e32 vcc, 8, v0
	s_waitcnt lgkmcnt(0)
	s_barrier
	s_and_saveexec_b64 s[2:3], vcc
	s_cbranch_execz .LBB338_74
; %bb.73:
	ds_read_b32 v3, v18
	v_and_b32_e32 v4, 7, v66
	v_cmp_ne_u32_e32 vcc, 0, v4
	s_waitcnt lgkmcnt(0)
	v_mov_b32_dpp v5, v3 row_shr:1 row_mask:0xf bank_mask:0xf
	v_cndmask_b32_e32 v5, 0, v5, vcc
	v_add_u32_e32 v3, v5, v3
	v_cmp_lt_u32_e32 vcc, 1, v4
	s_nop 0
	v_mov_b32_dpp v5, v3 row_shr:2 row_mask:0xf bank_mask:0xf
	v_cndmask_b32_e32 v5, 0, v5, vcc
	v_add_u32_e32 v3, v3, v5
	v_cmp_lt_u32_e32 vcc, 3, v4
	s_nop 0
	v_mov_b32_dpp v5, v3 row_shr:4 row_mask:0xf bank_mask:0xf
	v_cndmask_b32_e32 v4, 0, v5, vcc
	v_add_u32_e32 v3, v3, v4
	ds_write_b32 v18, v3
.LBB338_74:
	s_or_b64 exec, exec, s[2:3]
	v_cmp_lt_u32_e32 vcc, 63, v0
	v_mov_b32_e32 v4, 0
	v_mov_b32_e32 v3, 0
	s_waitcnt lgkmcnt(0)
	s_barrier
	s_and_saveexec_b64 s[2:3], vcc
	s_cbranch_execz .LBB338_76
; %bb.75:
	v_lshl_add_u32 v3, v67, 2, -4
	ds_read_b32 v3, v3
.LBB338_76:
	s_or_b64 exec, exec, s[2:3]
	v_add_u32_e32 v5, -1, v66
	v_and_b32_e32 v6, 64, v66
	v_cmp_lt_i32_e32 vcc, v5, v6
	s_waitcnt lgkmcnt(0)
	v_add_u32_e32 v2, v3, v2
	ds_read_b32 v34, v4 offset:28
	v_cndmask_b32_e32 v5, v5, v66, vcc
	v_lshlrev_b32_e32 v5, 2, v5
	ds_bpermute_b32 v2, v5, v2
	v_cmp_eq_u32_e32 vcc, 0, v0
	s_and_saveexec_b64 s[2:3], vcc
	s_cbranch_execz .LBB338_78
; %bb.77:
	v_mov_b32_e32 v4, 0
	v_mov_b32_e32 v35, 2
	s_waitcnt lgkmcnt(1)
	global_store_dwordx2 v4, v[34:35], s[34:35] offset:512 sc1
.LBB338_78:
	s_or_b64 exec, exec, s[2:3]
	v_cmp_eq_u32_e64 s[2:3], 0, v66
	v_mov_b32_e32 v36, 0
	s_waitcnt lgkmcnt(0)
	v_cndmask_b32_e64 v2, v2, v3, s[2:3]
	v_cndmask_b32_e64 v2, v2, 0, vcc
	v_add_u32_e32 v3, v2, v52
	v_add_u32_e32 v4, v3, v53
	;; [unrolled: 1-line block ×14, first 2 shown]
	s_barrier
.LBB338_79:
	v_add_u32_e32 v17, v34, v38
	v_sub_u32_e32 v2, v2, v36
	v_and_b32_e32 v38, 1, v51
	v_sub_u32_e32 v35, v17, v2
	v_cmp_eq_u32_e32 vcc, 1, v38
	s_load_dwordx4 s[0:3], s[0:1], 0x28
	v_or_b32_e32 v38, 0x800, v0
	v_cndmask_b32_e32 v2, v35, v2, vcc
	v_lshlrev_b32_e32 v2, 2, v2
	ds_write_b32 v2, v32
	v_sub_u32_e32 v2, v3, v36
	v_sub_u32_e32 v3, v17, v2
	v_and_b32_e32 v32, 1, v50
	v_add_u32_e32 v3, 1, v3
	v_cmp_eq_u32_e32 vcc, 1, v32
	v_or_b32_e32 v32, 0xc00, v0
	s_nop 0
	v_cndmask_b32_e32 v2, v3, v2, vcc
	v_lshlrev_b32_e32 v2, 2, v2
	ds_write_b32 v2, v33
	v_sub_u32_e32 v2, v4, v36
	v_sub_u32_e32 v3, v17, v2
	v_and_b32_e32 v4, 1, v49
	v_add_u32_e32 v3, 2, v3
	v_cmp_eq_u32_e32 vcc, 1, v4
	v_and_b32_e32 v4, 1, v48
	v_or_b32_e32 v33, 0xa00, v0
	v_cndmask_b32_e32 v2, v3, v2, vcc
	v_lshlrev_b32_e32 v2, 2, v2
	ds_write_b32 v2, v30
	v_sub_u32_e32 v2, v5, v36
	v_sub_u32_e32 v3, v17, v2
	v_add_u32_e32 v3, 3, v3
	v_cmp_eq_u32_e32 vcc, 1, v4
	v_and_b32_e32 v4, 1, v47
	v_or_b32_e32 v30, 0x1000, v0
	v_cndmask_b32_e32 v2, v3, v2, vcc
	v_lshlrev_b32_e32 v2, 2, v2
	ds_write_b32 v2, v31
	v_sub_u32_e32 v2, v6, v36
	v_sub_u32_e32 v3, v17, v2
	;; [unrolled: 9-line block ×3, first 2 shown]
	v_add_u32_e32 v3, 5, v3
	v_cmp_eq_u32_e32 vcc, 1, v4
	v_and_b32_e32 v4, 1, v45
	v_mov_b32_e32 v7, s23
	v_cndmask_b32_e32 v2, v3, v2, vcc
	v_lshlrev_b32_e32 v2, 2, v2
	ds_write_b32 v2, v29
	v_sub_u32_e32 v2, v8, v36
	v_sub_u32_e32 v3, v17, v2
	v_add_u32_e32 v3, 6, v3
	v_cmp_eq_u32_e32 vcc, 1, v4
	v_and_b32_e32 v4, 1, v44
	v_or_b32_e32 v29, 0x1200, v0
	v_cndmask_b32_e32 v2, v3, v2, vcc
	v_lshlrev_b32_e32 v2, 2, v2
	ds_write_b32 v2, v26
	v_sub_u32_e32 v2, v9, v36
	v_sub_u32_e32 v3, v17, v2
	v_add_u32_e32 v3, 7, v3
	v_cmp_eq_u32_e32 vcc, 1, v4
	v_and_b32_e32 v4, 1, v43
	v_or_b32_e32 v28, 0x1400, v0
	;; [unrolled: 9-line block ×6, first 2 shown]
	v_cndmask_b32_e32 v2, v3, v2, vcc
	v_lshlrev_b32_e32 v2, 2, v2
	ds_write_b32 v2, v23
	v_sub_u32_e32 v2, v14, v36
	v_sub_u32_e32 v3, v17, v2
	v_add_u32_e32 v3, 12, v3
	v_cmp_eq_u32_e32 vcc, 1, v4
	v_and_b32_e32 v4, 1, v37
	v_mov_b32_e32 v37, 0
	v_cndmask_b32_e32 v2, v3, v2, vcc
	v_lshlrev_b32_e32 v2, 2, v2
	ds_write_b32 v2, v20
	v_sub_u32_e32 v2, v15, v36
	v_sub_u32_e32 v3, v17, v2
	v_add_u32_e32 v3, 13, v3
	v_cmp_eq_u32_e32 vcc, 1, v4
	v_and_b32_e32 v4, 1, v19
	v_lshl_add_u64 v[8:9], s[28:29], 0, v[36:37]
	v_cndmask_b32_e32 v2, v3, v2, vcc
	v_lshlrev_b32_e32 v2, 2, v2
	ds_write_b32 v2, v21
	v_sub_u32_e32 v2, v16, v36
	v_sub_u32_e32 v3, v17, v2
	v_add_u32_e32 v3, 14, v3
	v_cmp_eq_u32_e32 vcc, 1, v4
	v_mov_b32_e32 v35, v37
	v_or_b32_e32 v26, 0x1800, v0
	v_cndmask_b32_e32 v2, v3, v2, vcc
	v_lshlrev_b32_e32 v2, 2, v2
	ds_write_b32 v2, v1
	v_lshl_add_u64 v[2:3], v[8:9], 0, v[34:35]
	s_waitcnt lgkmcnt(0)
	s_barrier
	ds_read2st64_b32 v[22:23], v18 offset1:8
	ds_read2st64_b32 v[20:21], v18 offset0:16 offset1:24
	ds_read2st64_b32 v[16:17], v18 offset0:32 offset1:40
	;; [unrolled: 1-line block ×6, first 2 shown]
	ds_read_b32 v1, v18 offset:28672
	v_sub_co_u32_e32 v6, vcc, s22, v2
	v_lshlrev_b64 v[8:9], 2, v[8:9]
	s_nop 0
	v_subb_co_u32_e32 v7, vcc, v7, v3, vcc
	v_lshlrev_b64 v[6:7], 2, v[6:7]
	v_lshl_add_u64 v[6:7], s[2:3], 0, v[6:7]
	v_or_b32_e32 v25, 0x1a00, v0
	v_or_b32_e32 v24, 0x1c00, v0
	v_lshl_add_u64 v[6:7], v[6:7], 0, s[30:31]
	s_and_b64 vcc, exec, s[20:21]
	v_lshl_add_u64 v[8:9], s[0:1], 0, v[8:9]
	s_cbranch_vccnz .LBB338_81
; %bb.80:
	v_cmp_gt_u32_e32 vcc, v34, v0
	v_mov_b32_e32 v19, v37
	v_lshlrev_b32_e32 v36, 2, v40
	v_cndmask_b32_e32 v43, v7, v9, vcc
	v_cndmask_b32_e32 v42, v6, v8, vcc
	v_lshl_add_u64 v[42:43], v[42:43], 0, v[18:19]
	v_cmp_lt_u32_e32 vcc, v41, v34
	s_waitcnt lgkmcnt(7)
	global_store_dword v[42:43], v22, off
	v_cndmask_b32_e32 v43, v7, v9, vcc
	v_cndmask_b32_e32 v42, v6, v8, vcc
	v_lshl_add_u64 v[42:43], v[42:43], 0, v[18:19]
	v_cmp_lt_u32_e32 vcc, v40, v34
	global_store_dword v[42:43], v23, off offset:2048
	s_mov_b64 s[0:1], -1
	v_cndmask_b32_e32 v43, v7, v9, vcc
	v_cndmask_b32_e32 v42, v6, v8, vcc
	v_lshl_add_u64 v[42:43], v[42:43], 0, v[36:37]
	v_cmp_lt_u32_e32 vcc, v39, v34
	s_waitcnt lgkmcnt(6)
	global_store_dword v[42:43], v20, off
	v_lshlrev_b32_e32 v36, 2, v39
	v_cndmask_b32_e32 v43, v7, v9, vcc
	v_cndmask_b32_e32 v42, v6, v8, vcc
	v_lshl_add_u64 v[42:43], v[42:43], 0, v[36:37]
	v_cmp_lt_u32_e32 vcc, v38, v34
	global_store_dword v[42:43], v21, off
	v_lshlrev_b32_e32 v36, 2, v38
	v_cndmask_b32_e32 v43, v7, v9, vcc
	v_cndmask_b32_e32 v42, v6, v8, vcc
	v_lshl_add_u64 v[42:43], v[42:43], 0, v[36:37]
	v_cmp_lt_u32_e32 vcc, v33, v34
	s_waitcnt lgkmcnt(5)
	global_store_dword v[42:43], v16, off
	v_lshlrev_b32_e32 v36, 2, v33
	v_cndmask_b32_e32 v43, v7, v9, vcc
	v_cndmask_b32_e32 v42, v6, v8, vcc
	v_lshl_add_u64 v[42:43], v[42:43], 0, v[36:37]
	v_cmp_lt_u32_e32 vcc, v32, v34
	global_store_dword v[42:43], v17, off
	v_lshlrev_b32_e32 v36, 2, v32
	;; [unrolled: 13-line block ×5, first 2 shown]
	v_cndmask_b32_e32 v43, v7, v9, vcc
	v_cndmask_b32_e32 v42, v6, v8, vcc
	v_lshl_add_u64 v[42:43], v[42:43], 0, v[36:37]
	v_cmp_lt_u32_e32 vcc, v25, v34
	s_waitcnt lgkmcnt(1)
	global_store_dword v[42:43], v4, off
	v_lshlrev_b32_e32 v36, 2, v25
	v_cndmask_b32_e32 v43, v7, v9, vcc
	v_cndmask_b32_e32 v42, v6, v8, vcc
	v_lshl_add_u64 v[36:37], v[42:43], 0, v[36:37]
	global_store_dword v[36:37], v5, off
	s_cbranch_execz .LBB338_82
	s_branch .LBB338_98
.LBB338_81:
	s_mov_b64 s[0:1], 0
.LBB338_82:
	v_cmp_gt_u32_e32 vcc, s33, v0
	s_and_saveexec_b64 s[0:1], vcc
	s_cbranch_execnz .LBB338_103
; %bb.83:
	s_or_b64 exec, exec, s[0:1]
	v_cmp_gt_u32_e32 vcc, s33, v41
	s_and_saveexec_b64 s[0:1], vcc
	s_cbranch_execnz .LBB338_104
.LBB338_84:
	s_or_b64 exec, exec, s[0:1]
	v_cmp_gt_u32_e32 vcc, s33, v40
	s_and_saveexec_b64 s[0:1], vcc
	s_cbranch_execnz .LBB338_105
.LBB338_85:
	s_or_b64 exec, exec, s[0:1]
	v_cmp_gt_u32_e32 vcc, s33, v39
	s_and_saveexec_b64 s[0:1], vcc
	s_cbranch_execnz .LBB338_106
.LBB338_86:
	s_or_b64 exec, exec, s[0:1]
	v_cmp_gt_u32_e32 vcc, s33, v38
	s_and_saveexec_b64 s[0:1], vcc
	s_cbranch_execnz .LBB338_107
.LBB338_87:
	s_or_b64 exec, exec, s[0:1]
	v_cmp_gt_u32_e32 vcc, s33, v33
	s_and_saveexec_b64 s[0:1], vcc
	s_cbranch_execnz .LBB338_108
.LBB338_88:
	s_or_b64 exec, exec, s[0:1]
	v_cmp_gt_u32_e32 vcc, s33, v32
	s_and_saveexec_b64 s[0:1], vcc
	s_cbranch_execnz .LBB338_109
.LBB338_89:
	s_or_b64 exec, exec, s[0:1]
	v_cmp_gt_u32_e32 vcc, s33, v31
	s_and_saveexec_b64 s[0:1], vcc
	s_cbranch_execnz .LBB338_110
.LBB338_90:
	s_or_b64 exec, exec, s[0:1]
	v_cmp_gt_u32_e32 vcc, s33, v30
	s_and_saveexec_b64 s[0:1], vcc
	s_cbranch_execnz .LBB338_111
.LBB338_91:
	s_or_b64 exec, exec, s[0:1]
	v_cmp_gt_u32_e32 vcc, s33, v29
	s_and_saveexec_b64 s[0:1], vcc
	s_cbranch_execnz .LBB338_112
.LBB338_92:
	s_or_b64 exec, exec, s[0:1]
	v_cmp_gt_u32_e32 vcc, s33, v28
	s_and_saveexec_b64 s[0:1], vcc
	s_cbranch_execnz .LBB338_113
.LBB338_93:
	s_or_b64 exec, exec, s[0:1]
	v_cmp_gt_u32_e32 vcc, s33, v27
	s_and_saveexec_b64 s[0:1], vcc
	s_cbranch_execnz .LBB338_114
.LBB338_94:
	s_or_b64 exec, exec, s[0:1]
	v_cmp_gt_u32_e32 vcc, s33, v26
	s_and_saveexec_b64 s[0:1], vcc
	s_cbranch_execnz .LBB338_115
.LBB338_95:
	s_or_b64 exec, exec, s[0:1]
	v_cmp_gt_u32_e32 vcc, s33, v25
	s_and_saveexec_b64 s[0:1], vcc
	s_cbranch_execz .LBB338_97
.LBB338_96:
	v_cmp_lt_u32_e32 vcc, v25, v34
	s_waitcnt lgkmcnt(3)
	v_lshlrev_b32_e32 v12, 2, v25
	v_mov_b32_e32 v13, 0
	s_waitcnt lgkmcnt(2)
	v_cndmask_b32_e32 v11, v7, v9, vcc
	v_cndmask_b32_e32 v10, v6, v8, vcc
	v_lshl_add_u64 v[10:11], v[10:11], 0, v[12:13]
	s_waitcnt lgkmcnt(1)
	global_store_dword v[10:11], v5, off
.LBB338_97:
	s_or_b64 exec, exec, s[0:1]
	v_cmp_gt_u32_e64 s[0:1], s33, v24
.LBB338_98:
	s_and_saveexec_b64 s[2:3], s[0:1]
	s_cbranch_execz .LBB338_100
; %bb.99:
	v_cmp_lt_u32_e32 vcc, v24, v34
	s_waitcnt lgkmcnt(1)
	s_nop 0
	v_cndmask_b32_e32 v5, v7, v9, vcc
	v_cndmask_b32_e32 v4, v6, v8, vcc
	v_lshlrev_b32_e32 v6, 2, v24
	v_mov_b32_e32 v7, 0
	v_lshl_add_u64 v[4:5], v[4:5], 0, v[6:7]
	s_waitcnt lgkmcnt(0)
	global_store_dword v[4:5], v1, off
.LBB338_100:
	s_or_b64 exec, exec, s[2:3]
	v_cmp_eq_u32_e32 vcc, 0, v0
	s_and_b64 s[0:1], vcc, s[26:27]
	s_and_saveexec_b64 s[2:3], s[0:1]
	s_cbranch_execz .LBB338_102
; %bb.101:
	v_mov_b32_e32 v0, 0
	global_store_dwordx2 v0, v[2:3], s[24:25]
.LBB338_102:
	s_endpgm
.LBB338_103:
	v_cmp_gt_u32_e32 vcc, v34, v0
	v_mov_b32_e32 v19, 0
	s_nop 0
	v_cndmask_b32_e32 v37, v7, v9, vcc
	v_cndmask_b32_e32 v36, v6, v8, vcc
	v_lshl_add_u64 v[36:37], v[36:37], 0, v[18:19]
	s_waitcnt lgkmcnt(7)
	global_store_dword v[36:37], v22, off
	s_or_b64 exec, exec, s[0:1]
	v_cmp_gt_u32_e32 vcc, s33, v41
	s_and_saveexec_b64 s[0:1], vcc
	s_cbranch_execz .LBB338_84
.LBB338_104:
	v_cmp_lt_u32_e32 vcc, v41, v34
	v_mov_b32_e32 v19, 0
	s_nop 0
	v_cndmask_b32_e32 v37, v7, v9, vcc
	v_cndmask_b32_e32 v36, v6, v8, vcc
	v_lshl_add_u64 v[18:19], v[36:37], 0, v[18:19]
	s_waitcnt lgkmcnt(7)
	global_store_dword v[18:19], v23, off offset:2048
	s_or_b64 exec, exec, s[0:1]
	v_cmp_gt_u32_e32 vcc, s33, v40
	s_and_saveexec_b64 s[0:1], vcc
	s_cbranch_execz .LBB338_85
.LBB338_105:
	v_cmp_lt_u32_e32 vcc, v40, v34
	s_waitcnt lgkmcnt(7)
	v_lshlrev_b32_e32 v22, 2, v40
	v_mov_b32_e32 v23, 0
	v_cndmask_b32_e32 v19, v7, v9, vcc
	v_cndmask_b32_e32 v18, v6, v8, vcc
	v_lshl_add_u64 v[18:19], v[18:19], 0, v[22:23]
	s_waitcnt lgkmcnt(6)
	global_store_dword v[18:19], v20, off
	s_or_b64 exec, exec, s[0:1]
	v_cmp_gt_u32_e32 vcc, s33, v39
	s_and_saveexec_b64 s[0:1], vcc
	s_cbranch_execz .LBB338_86
.LBB338_106:
	v_cmp_lt_u32_e32 vcc, v39, v34
	s_waitcnt lgkmcnt(7)
	v_lshlrev_b32_e32 v22, 2, v39
	v_mov_b32_e32 v23, 0
	v_cndmask_b32_e32 v19, v7, v9, vcc
	v_cndmask_b32_e32 v18, v6, v8, vcc
	v_lshl_add_u64 v[18:19], v[18:19], 0, v[22:23]
	s_waitcnt lgkmcnt(6)
	global_store_dword v[18:19], v21, off
	s_or_b64 exec, exec, s[0:1]
	v_cmp_gt_u32_e32 vcc, s33, v38
	s_and_saveexec_b64 s[0:1], vcc
	s_cbranch_execz .LBB338_87
.LBB338_107:
	v_cmp_lt_u32_e32 vcc, v38, v34
	s_waitcnt lgkmcnt(6)
	v_lshlrev_b32_e32 v20, 2, v38
	v_mov_b32_e32 v21, 0
	v_cndmask_b32_e32 v19, v7, v9, vcc
	v_cndmask_b32_e32 v18, v6, v8, vcc
	v_lshl_add_u64 v[18:19], v[18:19], 0, v[20:21]
	s_waitcnt lgkmcnt(5)
	global_store_dword v[18:19], v16, off
	s_or_b64 exec, exec, s[0:1]
	v_cmp_gt_u32_e32 vcc, s33, v33
	s_and_saveexec_b64 s[0:1], vcc
	s_cbranch_execz .LBB338_88
.LBB338_108:
	v_cmp_lt_u32_e32 vcc, v33, v34
	s_waitcnt lgkmcnt(6)
	v_lshlrev_b32_e32 v20, 2, v33
	v_mov_b32_e32 v21, 0
	v_cndmask_b32_e32 v19, v7, v9, vcc
	v_cndmask_b32_e32 v18, v6, v8, vcc
	v_lshl_add_u64 v[18:19], v[18:19], 0, v[20:21]
	s_waitcnt lgkmcnt(5)
	global_store_dword v[18:19], v17, off
	s_or_b64 exec, exec, s[0:1]
	v_cmp_gt_u32_e32 vcc, s33, v32
	s_and_saveexec_b64 s[0:1], vcc
	s_cbranch_execz .LBB338_89
.LBB338_109:
	v_cmp_lt_u32_e32 vcc, v32, v34
	v_lshlrev_b32_e32 v18, 2, v32
	v_mov_b32_e32 v19, 0
	s_waitcnt lgkmcnt(5)
	v_cndmask_b32_e32 v17, v7, v9, vcc
	v_cndmask_b32_e32 v16, v6, v8, vcc
	v_lshl_add_u64 v[16:17], v[16:17], 0, v[18:19]
	s_waitcnt lgkmcnt(4)
	global_store_dword v[16:17], v14, off
	s_or_b64 exec, exec, s[0:1]
	v_cmp_gt_u32_e32 vcc, s33, v31
	s_and_saveexec_b64 s[0:1], vcc
	s_cbranch_execz .LBB338_90
.LBB338_110:
	v_cmp_lt_u32_e32 vcc, v31, v34
	v_lshlrev_b32_e32 v18, 2, v31
	v_mov_b32_e32 v19, 0
	s_waitcnt lgkmcnt(5)
	v_cndmask_b32_e32 v17, v7, v9, vcc
	v_cndmask_b32_e32 v16, v6, v8, vcc
	v_lshl_add_u64 v[16:17], v[16:17], 0, v[18:19]
	s_waitcnt lgkmcnt(4)
	global_store_dword v[16:17], v15, off
	s_or_b64 exec, exec, s[0:1]
	v_cmp_gt_u32_e32 vcc, s33, v30
	s_and_saveexec_b64 s[0:1], vcc
	s_cbranch_execz .LBB338_91
.LBB338_111:
	v_cmp_lt_u32_e32 vcc, v30, v34
	s_waitcnt lgkmcnt(5)
	v_lshlrev_b32_e32 v16, 2, v30
	v_mov_b32_e32 v17, 0
	s_waitcnt lgkmcnt(4)
	v_cndmask_b32_e32 v15, v7, v9, vcc
	v_cndmask_b32_e32 v14, v6, v8, vcc
	v_lshl_add_u64 v[14:15], v[14:15], 0, v[16:17]
	s_waitcnt lgkmcnt(3)
	global_store_dword v[14:15], v12, off
	s_or_b64 exec, exec, s[0:1]
	v_cmp_gt_u32_e32 vcc, s33, v29
	s_and_saveexec_b64 s[0:1], vcc
	s_cbranch_execz .LBB338_92
.LBB338_112:
	v_cmp_lt_u32_e32 vcc, v29, v34
	s_waitcnt lgkmcnt(5)
	v_lshlrev_b32_e32 v16, 2, v29
	v_mov_b32_e32 v17, 0
	s_waitcnt lgkmcnt(4)
	v_cndmask_b32_e32 v15, v7, v9, vcc
	v_cndmask_b32_e32 v14, v6, v8, vcc
	v_lshl_add_u64 v[14:15], v[14:15], 0, v[16:17]
	s_waitcnt lgkmcnt(3)
	global_store_dword v[14:15], v13, off
	s_or_b64 exec, exec, s[0:1]
	v_cmp_gt_u32_e32 vcc, s33, v28
	s_and_saveexec_b64 s[0:1], vcc
	s_cbranch_execz .LBB338_93
.LBB338_113:
	v_cmp_lt_u32_e32 vcc, v28, v34
	s_waitcnt lgkmcnt(4)
	v_lshlrev_b32_e32 v14, 2, v28
	v_mov_b32_e32 v15, 0
	s_waitcnt lgkmcnt(3)
	v_cndmask_b32_e32 v13, v7, v9, vcc
	v_cndmask_b32_e32 v12, v6, v8, vcc
	v_lshl_add_u64 v[12:13], v[12:13], 0, v[14:15]
	s_waitcnt lgkmcnt(2)
	global_store_dword v[12:13], v10, off
	s_or_b64 exec, exec, s[0:1]
	v_cmp_gt_u32_e32 vcc, s33, v27
	s_and_saveexec_b64 s[0:1], vcc
	s_cbranch_execz .LBB338_94
.LBB338_114:
	v_cmp_lt_u32_e32 vcc, v27, v34
	s_waitcnt lgkmcnt(4)
	v_lshlrev_b32_e32 v14, 2, v27
	v_mov_b32_e32 v15, 0
	s_waitcnt lgkmcnt(3)
	v_cndmask_b32_e32 v13, v7, v9, vcc
	v_cndmask_b32_e32 v12, v6, v8, vcc
	v_lshl_add_u64 v[12:13], v[12:13], 0, v[14:15]
	s_waitcnt lgkmcnt(2)
	global_store_dword v[12:13], v11, off
	s_or_b64 exec, exec, s[0:1]
	v_cmp_gt_u32_e32 vcc, s33, v26
	s_and_saveexec_b64 s[0:1], vcc
	s_cbranch_execz .LBB338_95
.LBB338_115:
	v_cmp_lt_u32_e32 vcc, v26, v34
	s_waitcnt lgkmcnt(3)
	v_lshlrev_b32_e32 v12, 2, v26
	v_mov_b32_e32 v13, 0
	s_waitcnt lgkmcnt(2)
	v_cndmask_b32_e32 v11, v7, v9, vcc
	v_cndmask_b32_e32 v10, v6, v8, vcc
	v_lshl_add_u64 v[10:11], v[10:11], 0, v[12:13]
	s_waitcnt lgkmcnt(1)
	global_store_dword v[10:11], v4, off
	s_or_b64 exec, exec, s[0:1]
	v_cmp_gt_u32_e32 vcc, s33, v25
	s_and_saveexec_b64 s[0:1], vcc
	s_cbranch_execnz .LBB338_96
	s_branch .LBB338_97
	.section	.rodata,"a",@progbits
	.p2align	6, 0x0
	.amdhsa_kernel _ZN7rocprim17ROCPRIM_400000_NS6detail17trampoline_kernelINS0_14default_configENS1_25partition_config_selectorILNS1_17partition_subalgoE0EiNS0_10empty_typeEbEEZZNS1_14partition_implILS5_0ELb0ES3_jN6thrust23THRUST_200600_302600_NS6detail15normal_iteratorINSA_10device_ptrIiEEEEPS6_SG_NS0_5tupleIJSF_SF_EEENSH_IJSG_SG_EEES6_PlJ7is_evenIiEEEE10hipError_tPvRmT3_T4_T5_T6_T7_T9_mT8_P12ihipStream_tbDpT10_ENKUlT_T0_E_clISt17integral_constantIbLb1EES15_IbLb0EEEEDaS11_S12_EUlS11_E_NS1_11comp_targetILNS1_3genE5ELNS1_11target_archE942ELNS1_3gpuE9ELNS1_3repE0EEENS1_30default_config_static_selectorELNS0_4arch9wavefront6targetE1EEEvT1_
		.amdhsa_group_segment_fixed_size 30728
		.amdhsa_private_segment_fixed_size 0
		.amdhsa_kernarg_size 120
		.amdhsa_user_sgpr_count 2
		.amdhsa_user_sgpr_dispatch_ptr 0
		.amdhsa_user_sgpr_queue_ptr 0
		.amdhsa_user_sgpr_kernarg_segment_ptr 1
		.amdhsa_user_sgpr_dispatch_id 0
		.amdhsa_user_sgpr_kernarg_preload_length 0
		.amdhsa_user_sgpr_kernarg_preload_offset 0
		.amdhsa_user_sgpr_private_segment_size 0
		.amdhsa_uses_dynamic_stack 0
		.amdhsa_enable_private_segment 0
		.amdhsa_system_sgpr_workgroup_id_x 1
		.amdhsa_system_sgpr_workgroup_id_y 0
		.amdhsa_system_sgpr_workgroup_id_z 0
		.amdhsa_system_sgpr_workgroup_info 0
		.amdhsa_system_vgpr_workitem_id 0
		.amdhsa_next_free_vgpr 76
		.amdhsa_next_free_sgpr 44
		.amdhsa_accum_offset 76
		.amdhsa_reserve_vcc 1
		.amdhsa_float_round_mode_32 0
		.amdhsa_float_round_mode_16_64 0
		.amdhsa_float_denorm_mode_32 3
		.amdhsa_float_denorm_mode_16_64 3
		.amdhsa_dx10_clamp 1
		.amdhsa_ieee_mode 1
		.amdhsa_fp16_overflow 0
		.amdhsa_tg_split 0
		.amdhsa_exception_fp_ieee_invalid_op 0
		.amdhsa_exception_fp_denorm_src 0
		.amdhsa_exception_fp_ieee_div_zero 0
		.amdhsa_exception_fp_ieee_overflow 0
		.amdhsa_exception_fp_ieee_underflow 0
		.amdhsa_exception_fp_ieee_inexact 0
		.amdhsa_exception_int_div_zero 0
	.end_amdhsa_kernel
	.section	.text._ZN7rocprim17ROCPRIM_400000_NS6detail17trampoline_kernelINS0_14default_configENS1_25partition_config_selectorILNS1_17partition_subalgoE0EiNS0_10empty_typeEbEEZZNS1_14partition_implILS5_0ELb0ES3_jN6thrust23THRUST_200600_302600_NS6detail15normal_iteratorINSA_10device_ptrIiEEEEPS6_SG_NS0_5tupleIJSF_SF_EEENSH_IJSG_SG_EEES6_PlJ7is_evenIiEEEE10hipError_tPvRmT3_T4_T5_T6_T7_T9_mT8_P12ihipStream_tbDpT10_ENKUlT_T0_E_clISt17integral_constantIbLb1EES15_IbLb0EEEEDaS11_S12_EUlS11_E_NS1_11comp_targetILNS1_3genE5ELNS1_11target_archE942ELNS1_3gpuE9ELNS1_3repE0EEENS1_30default_config_static_selectorELNS0_4arch9wavefront6targetE1EEEvT1_,"axG",@progbits,_ZN7rocprim17ROCPRIM_400000_NS6detail17trampoline_kernelINS0_14default_configENS1_25partition_config_selectorILNS1_17partition_subalgoE0EiNS0_10empty_typeEbEEZZNS1_14partition_implILS5_0ELb0ES3_jN6thrust23THRUST_200600_302600_NS6detail15normal_iteratorINSA_10device_ptrIiEEEEPS6_SG_NS0_5tupleIJSF_SF_EEENSH_IJSG_SG_EEES6_PlJ7is_evenIiEEEE10hipError_tPvRmT3_T4_T5_T6_T7_T9_mT8_P12ihipStream_tbDpT10_ENKUlT_T0_E_clISt17integral_constantIbLb1EES15_IbLb0EEEEDaS11_S12_EUlS11_E_NS1_11comp_targetILNS1_3genE5ELNS1_11target_archE942ELNS1_3gpuE9ELNS1_3repE0EEENS1_30default_config_static_selectorELNS0_4arch9wavefront6targetE1EEEvT1_,comdat
.Lfunc_end338:
	.size	_ZN7rocprim17ROCPRIM_400000_NS6detail17trampoline_kernelINS0_14default_configENS1_25partition_config_selectorILNS1_17partition_subalgoE0EiNS0_10empty_typeEbEEZZNS1_14partition_implILS5_0ELb0ES3_jN6thrust23THRUST_200600_302600_NS6detail15normal_iteratorINSA_10device_ptrIiEEEEPS6_SG_NS0_5tupleIJSF_SF_EEENSH_IJSG_SG_EEES6_PlJ7is_evenIiEEEE10hipError_tPvRmT3_T4_T5_T6_T7_T9_mT8_P12ihipStream_tbDpT10_ENKUlT_T0_E_clISt17integral_constantIbLb1EES15_IbLb0EEEEDaS11_S12_EUlS11_E_NS1_11comp_targetILNS1_3genE5ELNS1_11target_archE942ELNS1_3gpuE9ELNS1_3repE0EEENS1_30default_config_static_selectorELNS0_4arch9wavefront6targetE1EEEvT1_, .Lfunc_end338-_ZN7rocprim17ROCPRIM_400000_NS6detail17trampoline_kernelINS0_14default_configENS1_25partition_config_selectorILNS1_17partition_subalgoE0EiNS0_10empty_typeEbEEZZNS1_14partition_implILS5_0ELb0ES3_jN6thrust23THRUST_200600_302600_NS6detail15normal_iteratorINSA_10device_ptrIiEEEEPS6_SG_NS0_5tupleIJSF_SF_EEENSH_IJSG_SG_EEES6_PlJ7is_evenIiEEEE10hipError_tPvRmT3_T4_T5_T6_T7_T9_mT8_P12ihipStream_tbDpT10_ENKUlT_T0_E_clISt17integral_constantIbLb1EES15_IbLb0EEEEDaS11_S12_EUlS11_E_NS1_11comp_targetILNS1_3genE5ELNS1_11target_archE942ELNS1_3gpuE9ELNS1_3repE0EEENS1_30default_config_static_selectorELNS0_4arch9wavefront6targetE1EEEvT1_
                                        ; -- End function
	.section	.AMDGPU.csdata,"",@progbits
; Kernel info:
; codeLenInByte = 6700
; NumSgprs: 50
; NumVgprs: 76
; NumAgprs: 0
; TotalNumVgprs: 76
; ScratchSize: 0
; MemoryBound: 0
; FloatMode: 240
; IeeeMode: 1
; LDSByteSize: 30728 bytes/workgroup (compile time only)
; SGPRBlocks: 6
; VGPRBlocks: 9
; NumSGPRsForWavesPerEU: 50
; NumVGPRsForWavesPerEU: 76
; AccumOffset: 76
; Occupancy: 4
; WaveLimiterHint : 1
; COMPUTE_PGM_RSRC2:SCRATCH_EN: 0
; COMPUTE_PGM_RSRC2:USER_SGPR: 2
; COMPUTE_PGM_RSRC2:TRAP_HANDLER: 0
; COMPUTE_PGM_RSRC2:TGID_X_EN: 1
; COMPUTE_PGM_RSRC2:TGID_Y_EN: 0
; COMPUTE_PGM_RSRC2:TGID_Z_EN: 0
; COMPUTE_PGM_RSRC2:TIDIG_COMP_CNT: 0
; COMPUTE_PGM_RSRC3_GFX90A:ACCUM_OFFSET: 18
; COMPUTE_PGM_RSRC3_GFX90A:TG_SPLIT: 0
	.section	.text._ZN7rocprim17ROCPRIM_400000_NS6detail17trampoline_kernelINS0_14default_configENS1_25partition_config_selectorILNS1_17partition_subalgoE0EiNS0_10empty_typeEbEEZZNS1_14partition_implILS5_0ELb0ES3_jN6thrust23THRUST_200600_302600_NS6detail15normal_iteratorINSA_10device_ptrIiEEEEPS6_SG_NS0_5tupleIJSF_SF_EEENSH_IJSG_SG_EEES6_PlJ7is_evenIiEEEE10hipError_tPvRmT3_T4_T5_T6_T7_T9_mT8_P12ihipStream_tbDpT10_ENKUlT_T0_E_clISt17integral_constantIbLb1EES15_IbLb0EEEEDaS11_S12_EUlS11_E_NS1_11comp_targetILNS1_3genE4ELNS1_11target_archE910ELNS1_3gpuE8ELNS1_3repE0EEENS1_30default_config_static_selectorELNS0_4arch9wavefront6targetE1EEEvT1_,"axG",@progbits,_ZN7rocprim17ROCPRIM_400000_NS6detail17trampoline_kernelINS0_14default_configENS1_25partition_config_selectorILNS1_17partition_subalgoE0EiNS0_10empty_typeEbEEZZNS1_14partition_implILS5_0ELb0ES3_jN6thrust23THRUST_200600_302600_NS6detail15normal_iteratorINSA_10device_ptrIiEEEEPS6_SG_NS0_5tupleIJSF_SF_EEENSH_IJSG_SG_EEES6_PlJ7is_evenIiEEEE10hipError_tPvRmT3_T4_T5_T6_T7_T9_mT8_P12ihipStream_tbDpT10_ENKUlT_T0_E_clISt17integral_constantIbLb1EES15_IbLb0EEEEDaS11_S12_EUlS11_E_NS1_11comp_targetILNS1_3genE4ELNS1_11target_archE910ELNS1_3gpuE8ELNS1_3repE0EEENS1_30default_config_static_selectorELNS0_4arch9wavefront6targetE1EEEvT1_,comdat
	.protected	_ZN7rocprim17ROCPRIM_400000_NS6detail17trampoline_kernelINS0_14default_configENS1_25partition_config_selectorILNS1_17partition_subalgoE0EiNS0_10empty_typeEbEEZZNS1_14partition_implILS5_0ELb0ES3_jN6thrust23THRUST_200600_302600_NS6detail15normal_iteratorINSA_10device_ptrIiEEEEPS6_SG_NS0_5tupleIJSF_SF_EEENSH_IJSG_SG_EEES6_PlJ7is_evenIiEEEE10hipError_tPvRmT3_T4_T5_T6_T7_T9_mT8_P12ihipStream_tbDpT10_ENKUlT_T0_E_clISt17integral_constantIbLb1EES15_IbLb0EEEEDaS11_S12_EUlS11_E_NS1_11comp_targetILNS1_3genE4ELNS1_11target_archE910ELNS1_3gpuE8ELNS1_3repE0EEENS1_30default_config_static_selectorELNS0_4arch9wavefront6targetE1EEEvT1_ ; -- Begin function _ZN7rocprim17ROCPRIM_400000_NS6detail17trampoline_kernelINS0_14default_configENS1_25partition_config_selectorILNS1_17partition_subalgoE0EiNS0_10empty_typeEbEEZZNS1_14partition_implILS5_0ELb0ES3_jN6thrust23THRUST_200600_302600_NS6detail15normal_iteratorINSA_10device_ptrIiEEEEPS6_SG_NS0_5tupleIJSF_SF_EEENSH_IJSG_SG_EEES6_PlJ7is_evenIiEEEE10hipError_tPvRmT3_T4_T5_T6_T7_T9_mT8_P12ihipStream_tbDpT10_ENKUlT_T0_E_clISt17integral_constantIbLb1EES15_IbLb0EEEEDaS11_S12_EUlS11_E_NS1_11comp_targetILNS1_3genE4ELNS1_11target_archE910ELNS1_3gpuE8ELNS1_3repE0EEENS1_30default_config_static_selectorELNS0_4arch9wavefront6targetE1EEEvT1_
	.globl	_ZN7rocprim17ROCPRIM_400000_NS6detail17trampoline_kernelINS0_14default_configENS1_25partition_config_selectorILNS1_17partition_subalgoE0EiNS0_10empty_typeEbEEZZNS1_14partition_implILS5_0ELb0ES3_jN6thrust23THRUST_200600_302600_NS6detail15normal_iteratorINSA_10device_ptrIiEEEEPS6_SG_NS0_5tupleIJSF_SF_EEENSH_IJSG_SG_EEES6_PlJ7is_evenIiEEEE10hipError_tPvRmT3_T4_T5_T6_T7_T9_mT8_P12ihipStream_tbDpT10_ENKUlT_T0_E_clISt17integral_constantIbLb1EES15_IbLb0EEEEDaS11_S12_EUlS11_E_NS1_11comp_targetILNS1_3genE4ELNS1_11target_archE910ELNS1_3gpuE8ELNS1_3repE0EEENS1_30default_config_static_selectorELNS0_4arch9wavefront6targetE1EEEvT1_
	.p2align	8
	.type	_ZN7rocprim17ROCPRIM_400000_NS6detail17trampoline_kernelINS0_14default_configENS1_25partition_config_selectorILNS1_17partition_subalgoE0EiNS0_10empty_typeEbEEZZNS1_14partition_implILS5_0ELb0ES3_jN6thrust23THRUST_200600_302600_NS6detail15normal_iteratorINSA_10device_ptrIiEEEEPS6_SG_NS0_5tupleIJSF_SF_EEENSH_IJSG_SG_EEES6_PlJ7is_evenIiEEEE10hipError_tPvRmT3_T4_T5_T6_T7_T9_mT8_P12ihipStream_tbDpT10_ENKUlT_T0_E_clISt17integral_constantIbLb1EES15_IbLb0EEEEDaS11_S12_EUlS11_E_NS1_11comp_targetILNS1_3genE4ELNS1_11target_archE910ELNS1_3gpuE8ELNS1_3repE0EEENS1_30default_config_static_selectorELNS0_4arch9wavefront6targetE1EEEvT1_,@function
_ZN7rocprim17ROCPRIM_400000_NS6detail17trampoline_kernelINS0_14default_configENS1_25partition_config_selectorILNS1_17partition_subalgoE0EiNS0_10empty_typeEbEEZZNS1_14partition_implILS5_0ELb0ES3_jN6thrust23THRUST_200600_302600_NS6detail15normal_iteratorINSA_10device_ptrIiEEEEPS6_SG_NS0_5tupleIJSF_SF_EEENSH_IJSG_SG_EEES6_PlJ7is_evenIiEEEE10hipError_tPvRmT3_T4_T5_T6_T7_T9_mT8_P12ihipStream_tbDpT10_ENKUlT_T0_E_clISt17integral_constantIbLb1EES15_IbLb0EEEEDaS11_S12_EUlS11_E_NS1_11comp_targetILNS1_3genE4ELNS1_11target_archE910ELNS1_3gpuE8ELNS1_3repE0EEENS1_30default_config_static_selectorELNS0_4arch9wavefront6targetE1EEEvT1_: ; @_ZN7rocprim17ROCPRIM_400000_NS6detail17trampoline_kernelINS0_14default_configENS1_25partition_config_selectorILNS1_17partition_subalgoE0EiNS0_10empty_typeEbEEZZNS1_14partition_implILS5_0ELb0ES3_jN6thrust23THRUST_200600_302600_NS6detail15normal_iteratorINSA_10device_ptrIiEEEEPS6_SG_NS0_5tupleIJSF_SF_EEENSH_IJSG_SG_EEES6_PlJ7is_evenIiEEEE10hipError_tPvRmT3_T4_T5_T6_T7_T9_mT8_P12ihipStream_tbDpT10_ENKUlT_T0_E_clISt17integral_constantIbLb1EES15_IbLb0EEEEDaS11_S12_EUlS11_E_NS1_11comp_targetILNS1_3genE4ELNS1_11target_archE910ELNS1_3gpuE8ELNS1_3repE0EEENS1_30default_config_static_selectorELNS0_4arch9wavefront6targetE1EEEvT1_
; %bb.0:
	.section	.rodata,"a",@progbits
	.p2align	6, 0x0
	.amdhsa_kernel _ZN7rocprim17ROCPRIM_400000_NS6detail17trampoline_kernelINS0_14default_configENS1_25partition_config_selectorILNS1_17partition_subalgoE0EiNS0_10empty_typeEbEEZZNS1_14partition_implILS5_0ELb0ES3_jN6thrust23THRUST_200600_302600_NS6detail15normal_iteratorINSA_10device_ptrIiEEEEPS6_SG_NS0_5tupleIJSF_SF_EEENSH_IJSG_SG_EEES6_PlJ7is_evenIiEEEE10hipError_tPvRmT3_T4_T5_T6_T7_T9_mT8_P12ihipStream_tbDpT10_ENKUlT_T0_E_clISt17integral_constantIbLb1EES15_IbLb0EEEEDaS11_S12_EUlS11_E_NS1_11comp_targetILNS1_3genE4ELNS1_11target_archE910ELNS1_3gpuE8ELNS1_3repE0EEENS1_30default_config_static_selectorELNS0_4arch9wavefront6targetE1EEEvT1_
		.amdhsa_group_segment_fixed_size 0
		.amdhsa_private_segment_fixed_size 0
		.amdhsa_kernarg_size 120
		.amdhsa_user_sgpr_count 2
		.amdhsa_user_sgpr_dispatch_ptr 0
		.amdhsa_user_sgpr_queue_ptr 0
		.amdhsa_user_sgpr_kernarg_segment_ptr 1
		.amdhsa_user_sgpr_dispatch_id 0
		.amdhsa_user_sgpr_kernarg_preload_length 0
		.amdhsa_user_sgpr_kernarg_preload_offset 0
		.amdhsa_user_sgpr_private_segment_size 0
		.amdhsa_uses_dynamic_stack 0
		.amdhsa_enable_private_segment 0
		.amdhsa_system_sgpr_workgroup_id_x 1
		.amdhsa_system_sgpr_workgroup_id_y 0
		.amdhsa_system_sgpr_workgroup_id_z 0
		.amdhsa_system_sgpr_workgroup_info 0
		.amdhsa_system_vgpr_workitem_id 0
		.amdhsa_next_free_vgpr 1
		.amdhsa_next_free_sgpr 0
		.amdhsa_accum_offset 4
		.amdhsa_reserve_vcc 0
		.amdhsa_float_round_mode_32 0
		.amdhsa_float_round_mode_16_64 0
		.amdhsa_float_denorm_mode_32 3
		.amdhsa_float_denorm_mode_16_64 3
		.amdhsa_dx10_clamp 1
		.amdhsa_ieee_mode 1
		.amdhsa_fp16_overflow 0
		.amdhsa_tg_split 0
		.amdhsa_exception_fp_ieee_invalid_op 0
		.amdhsa_exception_fp_denorm_src 0
		.amdhsa_exception_fp_ieee_div_zero 0
		.amdhsa_exception_fp_ieee_overflow 0
		.amdhsa_exception_fp_ieee_underflow 0
		.amdhsa_exception_fp_ieee_inexact 0
		.amdhsa_exception_int_div_zero 0
	.end_amdhsa_kernel
	.section	.text._ZN7rocprim17ROCPRIM_400000_NS6detail17trampoline_kernelINS0_14default_configENS1_25partition_config_selectorILNS1_17partition_subalgoE0EiNS0_10empty_typeEbEEZZNS1_14partition_implILS5_0ELb0ES3_jN6thrust23THRUST_200600_302600_NS6detail15normal_iteratorINSA_10device_ptrIiEEEEPS6_SG_NS0_5tupleIJSF_SF_EEENSH_IJSG_SG_EEES6_PlJ7is_evenIiEEEE10hipError_tPvRmT3_T4_T5_T6_T7_T9_mT8_P12ihipStream_tbDpT10_ENKUlT_T0_E_clISt17integral_constantIbLb1EES15_IbLb0EEEEDaS11_S12_EUlS11_E_NS1_11comp_targetILNS1_3genE4ELNS1_11target_archE910ELNS1_3gpuE8ELNS1_3repE0EEENS1_30default_config_static_selectorELNS0_4arch9wavefront6targetE1EEEvT1_,"axG",@progbits,_ZN7rocprim17ROCPRIM_400000_NS6detail17trampoline_kernelINS0_14default_configENS1_25partition_config_selectorILNS1_17partition_subalgoE0EiNS0_10empty_typeEbEEZZNS1_14partition_implILS5_0ELb0ES3_jN6thrust23THRUST_200600_302600_NS6detail15normal_iteratorINSA_10device_ptrIiEEEEPS6_SG_NS0_5tupleIJSF_SF_EEENSH_IJSG_SG_EEES6_PlJ7is_evenIiEEEE10hipError_tPvRmT3_T4_T5_T6_T7_T9_mT8_P12ihipStream_tbDpT10_ENKUlT_T0_E_clISt17integral_constantIbLb1EES15_IbLb0EEEEDaS11_S12_EUlS11_E_NS1_11comp_targetILNS1_3genE4ELNS1_11target_archE910ELNS1_3gpuE8ELNS1_3repE0EEENS1_30default_config_static_selectorELNS0_4arch9wavefront6targetE1EEEvT1_,comdat
.Lfunc_end339:
	.size	_ZN7rocprim17ROCPRIM_400000_NS6detail17trampoline_kernelINS0_14default_configENS1_25partition_config_selectorILNS1_17partition_subalgoE0EiNS0_10empty_typeEbEEZZNS1_14partition_implILS5_0ELb0ES3_jN6thrust23THRUST_200600_302600_NS6detail15normal_iteratorINSA_10device_ptrIiEEEEPS6_SG_NS0_5tupleIJSF_SF_EEENSH_IJSG_SG_EEES6_PlJ7is_evenIiEEEE10hipError_tPvRmT3_T4_T5_T6_T7_T9_mT8_P12ihipStream_tbDpT10_ENKUlT_T0_E_clISt17integral_constantIbLb1EES15_IbLb0EEEEDaS11_S12_EUlS11_E_NS1_11comp_targetILNS1_3genE4ELNS1_11target_archE910ELNS1_3gpuE8ELNS1_3repE0EEENS1_30default_config_static_selectorELNS0_4arch9wavefront6targetE1EEEvT1_, .Lfunc_end339-_ZN7rocprim17ROCPRIM_400000_NS6detail17trampoline_kernelINS0_14default_configENS1_25partition_config_selectorILNS1_17partition_subalgoE0EiNS0_10empty_typeEbEEZZNS1_14partition_implILS5_0ELb0ES3_jN6thrust23THRUST_200600_302600_NS6detail15normal_iteratorINSA_10device_ptrIiEEEEPS6_SG_NS0_5tupleIJSF_SF_EEENSH_IJSG_SG_EEES6_PlJ7is_evenIiEEEE10hipError_tPvRmT3_T4_T5_T6_T7_T9_mT8_P12ihipStream_tbDpT10_ENKUlT_T0_E_clISt17integral_constantIbLb1EES15_IbLb0EEEEDaS11_S12_EUlS11_E_NS1_11comp_targetILNS1_3genE4ELNS1_11target_archE910ELNS1_3gpuE8ELNS1_3repE0EEENS1_30default_config_static_selectorELNS0_4arch9wavefront6targetE1EEEvT1_
                                        ; -- End function
	.section	.AMDGPU.csdata,"",@progbits
; Kernel info:
; codeLenInByte = 0
; NumSgprs: 6
; NumVgprs: 0
; NumAgprs: 0
; TotalNumVgprs: 0
; ScratchSize: 0
; MemoryBound: 0
; FloatMode: 240
; IeeeMode: 1
; LDSByteSize: 0 bytes/workgroup (compile time only)
; SGPRBlocks: 0
; VGPRBlocks: 0
; NumSGPRsForWavesPerEU: 6
; NumVGPRsForWavesPerEU: 1
; AccumOffset: 4
; Occupancy: 8
; WaveLimiterHint : 0
; COMPUTE_PGM_RSRC2:SCRATCH_EN: 0
; COMPUTE_PGM_RSRC2:USER_SGPR: 2
; COMPUTE_PGM_RSRC2:TRAP_HANDLER: 0
; COMPUTE_PGM_RSRC2:TGID_X_EN: 1
; COMPUTE_PGM_RSRC2:TGID_Y_EN: 0
; COMPUTE_PGM_RSRC2:TGID_Z_EN: 0
; COMPUTE_PGM_RSRC2:TIDIG_COMP_CNT: 0
; COMPUTE_PGM_RSRC3_GFX90A:ACCUM_OFFSET: 0
; COMPUTE_PGM_RSRC3_GFX90A:TG_SPLIT: 0
	.section	.text._ZN7rocprim17ROCPRIM_400000_NS6detail17trampoline_kernelINS0_14default_configENS1_25partition_config_selectorILNS1_17partition_subalgoE0EiNS0_10empty_typeEbEEZZNS1_14partition_implILS5_0ELb0ES3_jN6thrust23THRUST_200600_302600_NS6detail15normal_iteratorINSA_10device_ptrIiEEEEPS6_SG_NS0_5tupleIJSF_SF_EEENSH_IJSG_SG_EEES6_PlJ7is_evenIiEEEE10hipError_tPvRmT3_T4_T5_T6_T7_T9_mT8_P12ihipStream_tbDpT10_ENKUlT_T0_E_clISt17integral_constantIbLb1EES15_IbLb0EEEEDaS11_S12_EUlS11_E_NS1_11comp_targetILNS1_3genE3ELNS1_11target_archE908ELNS1_3gpuE7ELNS1_3repE0EEENS1_30default_config_static_selectorELNS0_4arch9wavefront6targetE1EEEvT1_,"axG",@progbits,_ZN7rocprim17ROCPRIM_400000_NS6detail17trampoline_kernelINS0_14default_configENS1_25partition_config_selectorILNS1_17partition_subalgoE0EiNS0_10empty_typeEbEEZZNS1_14partition_implILS5_0ELb0ES3_jN6thrust23THRUST_200600_302600_NS6detail15normal_iteratorINSA_10device_ptrIiEEEEPS6_SG_NS0_5tupleIJSF_SF_EEENSH_IJSG_SG_EEES6_PlJ7is_evenIiEEEE10hipError_tPvRmT3_T4_T5_T6_T7_T9_mT8_P12ihipStream_tbDpT10_ENKUlT_T0_E_clISt17integral_constantIbLb1EES15_IbLb0EEEEDaS11_S12_EUlS11_E_NS1_11comp_targetILNS1_3genE3ELNS1_11target_archE908ELNS1_3gpuE7ELNS1_3repE0EEENS1_30default_config_static_selectorELNS0_4arch9wavefront6targetE1EEEvT1_,comdat
	.protected	_ZN7rocprim17ROCPRIM_400000_NS6detail17trampoline_kernelINS0_14default_configENS1_25partition_config_selectorILNS1_17partition_subalgoE0EiNS0_10empty_typeEbEEZZNS1_14partition_implILS5_0ELb0ES3_jN6thrust23THRUST_200600_302600_NS6detail15normal_iteratorINSA_10device_ptrIiEEEEPS6_SG_NS0_5tupleIJSF_SF_EEENSH_IJSG_SG_EEES6_PlJ7is_evenIiEEEE10hipError_tPvRmT3_T4_T5_T6_T7_T9_mT8_P12ihipStream_tbDpT10_ENKUlT_T0_E_clISt17integral_constantIbLb1EES15_IbLb0EEEEDaS11_S12_EUlS11_E_NS1_11comp_targetILNS1_3genE3ELNS1_11target_archE908ELNS1_3gpuE7ELNS1_3repE0EEENS1_30default_config_static_selectorELNS0_4arch9wavefront6targetE1EEEvT1_ ; -- Begin function _ZN7rocprim17ROCPRIM_400000_NS6detail17trampoline_kernelINS0_14default_configENS1_25partition_config_selectorILNS1_17partition_subalgoE0EiNS0_10empty_typeEbEEZZNS1_14partition_implILS5_0ELb0ES3_jN6thrust23THRUST_200600_302600_NS6detail15normal_iteratorINSA_10device_ptrIiEEEEPS6_SG_NS0_5tupleIJSF_SF_EEENSH_IJSG_SG_EEES6_PlJ7is_evenIiEEEE10hipError_tPvRmT3_T4_T5_T6_T7_T9_mT8_P12ihipStream_tbDpT10_ENKUlT_T0_E_clISt17integral_constantIbLb1EES15_IbLb0EEEEDaS11_S12_EUlS11_E_NS1_11comp_targetILNS1_3genE3ELNS1_11target_archE908ELNS1_3gpuE7ELNS1_3repE0EEENS1_30default_config_static_selectorELNS0_4arch9wavefront6targetE1EEEvT1_
	.globl	_ZN7rocprim17ROCPRIM_400000_NS6detail17trampoline_kernelINS0_14default_configENS1_25partition_config_selectorILNS1_17partition_subalgoE0EiNS0_10empty_typeEbEEZZNS1_14partition_implILS5_0ELb0ES3_jN6thrust23THRUST_200600_302600_NS6detail15normal_iteratorINSA_10device_ptrIiEEEEPS6_SG_NS0_5tupleIJSF_SF_EEENSH_IJSG_SG_EEES6_PlJ7is_evenIiEEEE10hipError_tPvRmT3_T4_T5_T6_T7_T9_mT8_P12ihipStream_tbDpT10_ENKUlT_T0_E_clISt17integral_constantIbLb1EES15_IbLb0EEEEDaS11_S12_EUlS11_E_NS1_11comp_targetILNS1_3genE3ELNS1_11target_archE908ELNS1_3gpuE7ELNS1_3repE0EEENS1_30default_config_static_selectorELNS0_4arch9wavefront6targetE1EEEvT1_
	.p2align	8
	.type	_ZN7rocprim17ROCPRIM_400000_NS6detail17trampoline_kernelINS0_14default_configENS1_25partition_config_selectorILNS1_17partition_subalgoE0EiNS0_10empty_typeEbEEZZNS1_14partition_implILS5_0ELb0ES3_jN6thrust23THRUST_200600_302600_NS6detail15normal_iteratorINSA_10device_ptrIiEEEEPS6_SG_NS0_5tupleIJSF_SF_EEENSH_IJSG_SG_EEES6_PlJ7is_evenIiEEEE10hipError_tPvRmT3_T4_T5_T6_T7_T9_mT8_P12ihipStream_tbDpT10_ENKUlT_T0_E_clISt17integral_constantIbLb1EES15_IbLb0EEEEDaS11_S12_EUlS11_E_NS1_11comp_targetILNS1_3genE3ELNS1_11target_archE908ELNS1_3gpuE7ELNS1_3repE0EEENS1_30default_config_static_selectorELNS0_4arch9wavefront6targetE1EEEvT1_,@function
_ZN7rocprim17ROCPRIM_400000_NS6detail17trampoline_kernelINS0_14default_configENS1_25partition_config_selectorILNS1_17partition_subalgoE0EiNS0_10empty_typeEbEEZZNS1_14partition_implILS5_0ELb0ES3_jN6thrust23THRUST_200600_302600_NS6detail15normal_iteratorINSA_10device_ptrIiEEEEPS6_SG_NS0_5tupleIJSF_SF_EEENSH_IJSG_SG_EEES6_PlJ7is_evenIiEEEE10hipError_tPvRmT3_T4_T5_T6_T7_T9_mT8_P12ihipStream_tbDpT10_ENKUlT_T0_E_clISt17integral_constantIbLb1EES15_IbLb0EEEEDaS11_S12_EUlS11_E_NS1_11comp_targetILNS1_3genE3ELNS1_11target_archE908ELNS1_3gpuE7ELNS1_3repE0EEENS1_30default_config_static_selectorELNS0_4arch9wavefront6targetE1EEEvT1_: ; @_ZN7rocprim17ROCPRIM_400000_NS6detail17trampoline_kernelINS0_14default_configENS1_25partition_config_selectorILNS1_17partition_subalgoE0EiNS0_10empty_typeEbEEZZNS1_14partition_implILS5_0ELb0ES3_jN6thrust23THRUST_200600_302600_NS6detail15normal_iteratorINSA_10device_ptrIiEEEEPS6_SG_NS0_5tupleIJSF_SF_EEENSH_IJSG_SG_EEES6_PlJ7is_evenIiEEEE10hipError_tPvRmT3_T4_T5_T6_T7_T9_mT8_P12ihipStream_tbDpT10_ENKUlT_T0_E_clISt17integral_constantIbLb1EES15_IbLb0EEEEDaS11_S12_EUlS11_E_NS1_11comp_targetILNS1_3genE3ELNS1_11target_archE908ELNS1_3gpuE7ELNS1_3repE0EEENS1_30default_config_static_selectorELNS0_4arch9wavefront6targetE1EEEvT1_
; %bb.0:
	.section	.rodata,"a",@progbits
	.p2align	6, 0x0
	.amdhsa_kernel _ZN7rocprim17ROCPRIM_400000_NS6detail17trampoline_kernelINS0_14default_configENS1_25partition_config_selectorILNS1_17partition_subalgoE0EiNS0_10empty_typeEbEEZZNS1_14partition_implILS5_0ELb0ES3_jN6thrust23THRUST_200600_302600_NS6detail15normal_iteratorINSA_10device_ptrIiEEEEPS6_SG_NS0_5tupleIJSF_SF_EEENSH_IJSG_SG_EEES6_PlJ7is_evenIiEEEE10hipError_tPvRmT3_T4_T5_T6_T7_T9_mT8_P12ihipStream_tbDpT10_ENKUlT_T0_E_clISt17integral_constantIbLb1EES15_IbLb0EEEEDaS11_S12_EUlS11_E_NS1_11comp_targetILNS1_3genE3ELNS1_11target_archE908ELNS1_3gpuE7ELNS1_3repE0EEENS1_30default_config_static_selectorELNS0_4arch9wavefront6targetE1EEEvT1_
		.amdhsa_group_segment_fixed_size 0
		.amdhsa_private_segment_fixed_size 0
		.amdhsa_kernarg_size 120
		.amdhsa_user_sgpr_count 2
		.amdhsa_user_sgpr_dispatch_ptr 0
		.amdhsa_user_sgpr_queue_ptr 0
		.amdhsa_user_sgpr_kernarg_segment_ptr 1
		.amdhsa_user_sgpr_dispatch_id 0
		.amdhsa_user_sgpr_kernarg_preload_length 0
		.amdhsa_user_sgpr_kernarg_preload_offset 0
		.amdhsa_user_sgpr_private_segment_size 0
		.amdhsa_uses_dynamic_stack 0
		.amdhsa_enable_private_segment 0
		.amdhsa_system_sgpr_workgroup_id_x 1
		.amdhsa_system_sgpr_workgroup_id_y 0
		.amdhsa_system_sgpr_workgroup_id_z 0
		.amdhsa_system_sgpr_workgroup_info 0
		.amdhsa_system_vgpr_workitem_id 0
		.amdhsa_next_free_vgpr 1
		.amdhsa_next_free_sgpr 0
		.amdhsa_accum_offset 4
		.amdhsa_reserve_vcc 0
		.amdhsa_float_round_mode_32 0
		.amdhsa_float_round_mode_16_64 0
		.amdhsa_float_denorm_mode_32 3
		.amdhsa_float_denorm_mode_16_64 3
		.amdhsa_dx10_clamp 1
		.amdhsa_ieee_mode 1
		.amdhsa_fp16_overflow 0
		.amdhsa_tg_split 0
		.amdhsa_exception_fp_ieee_invalid_op 0
		.amdhsa_exception_fp_denorm_src 0
		.amdhsa_exception_fp_ieee_div_zero 0
		.amdhsa_exception_fp_ieee_overflow 0
		.amdhsa_exception_fp_ieee_underflow 0
		.amdhsa_exception_fp_ieee_inexact 0
		.amdhsa_exception_int_div_zero 0
	.end_amdhsa_kernel
	.section	.text._ZN7rocprim17ROCPRIM_400000_NS6detail17trampoline_kernelINS0_14default_configENS1_25partition_config_selectorILNS1_17partition_subalgoE0EiNS0_10empty_typeEbEEZZNS1_14partition_implILS5_0ELb0ES3_jN6thrust23THRUST_200600_302600_NS6detail15normal_iteratorINSA_10device_ptrIiEEEEPS6_SG_NS0_5tupleIJSF_SF_EEENSH_IJSG_SG_EEES6_PlJ7is_evenIiEEEE10hipError_tPvRmT3_T4_T5_T6_T7_T9_mT8_P12ihipStream_tbDpT10_ENKUlT_T0_E_clISt17integral_constantIbLb1EES15_IbLb0EEEEDaS11_S12_EUlS11_E_NS1_11comp_targetILNS1_3genE3ELNS1_11target_archE908ELNS1_3gpuE7ELNS1_3repE0EEENS1_30default_config_static_selectorELNS0_4arch9wavefront6targetE1EEEvT1_,"axG",@progbits,_ZN7rocprim17ROCPRIM_400000_NS6detail17trampoline_kernelINS0_14default_configENS1_25partition_config_selectorILNS1_17partition_subalgoE0EiNS0_10empty_typeEbEEZZNS1_14partition_implILS5_0ELb0ES3_jN6thrust23THRUST_200600_302600_NS6detail15normal_iteratorINSA_10device_ptrIiEEEEPS6_SG_NS0_5tupleIJSF_SF_EEENSH_IJSG_SG_EEES6_PlJ7is_evenIiEEEE10hipError_tPvRmT3_T4_T5_T6_T7_T9_mT8_P12ihipStream_tbDpT10_ENKUlT_T0_E_clISt17integral_constantIbLb1EES15_IbLb0EEEEDaS11_S12_EUlS11_E_NS1_11comp_targetILNS1_3genE3ELNS1_11target_archE908ELNS1_3gpuE7ELNS1_3repE0EEENS1_30default_config_static_selectorELNS0_4arch9wavefront6targetE1EEEvT1_,comdat
.Lfunc_end340:
	.size	_ZN7rocprim17ROCPRIM_400000_NS6detail17trampoline_kernelINS0_14default_configENS1_25partition_config_selectorILNS1_17partition_subalgoE0EiNS0_10empty_typeEbEEZZNS1_14partition_implILS5_0ELb0ES3_jN6thrust23THRUST_200600_302600_NS6detail15normal_iteratorINSA_10device_ptrIiEEEEPS6_SG_NS0_5tupleIJSF_SF_EEENSH_IJSG_SG_EEES6_PlJ7is_evenIiEEEE10hipError_tPvRmT3_T4_T5_T6_T7_T9_mT8_P12ihipStream_tbDpT10_ENKUlT_T0_E_clISt17integral_constantIbLb1EES15_IbLb0EEEEDaS11_S12_EUlS11_E_NS1_11comp_targetILNS1_3genE3ELNS1_11target_archE908ELNS1_3gpuE7ELNS1_3repE0EEENS1_30default_config_static_selectorELNS0_4arch9wavefront6targetE1EEEvT1_, .Lfunc_end340-_ZN7rocprim17ROCPRIM_400000_NS6detail17trampoline_kernelINS0_14default_configENS1_25partition_config_selectorILNS1_17partition_subalgoE0EiNS0_10empty_typeEbEEZZNS1_14partition_implILS5_0ELb0ES3_jN6thrust23THRUST_200600_302600_NS6detail15normal_iteratorINSA_10device_ptrIiEEEEPS6_SG_NS0_5tupleIJSF_SF_EEENSH_IJSG_SG_EEES6_PlJ7is_evenIiEEEE10hipError_tPvRmT3_T4_T5_T6_T7_T9_mT8_P12ihipStream_tbDpT10_ENKUlT_T0_E_clISt17integral_constantIbLb1EES15_IbLb0EEEEDaS11_S12_EUlS11_E_NS1_11comp_targetILNS1_3genE3ELNS1_11target_archE908ELNS1_3gpuE7ELNS1_3repE0EEENS1_30default_config_static_selectorELNS0_4arch9wavefront6targetE1EEEvT1_
                                        ; -- End function
	.section	.AMDGPU.csdata,"",@progbits
; Kernel info:
; codeLenInByte = 0
; NumSgprs: 6
; NumVgprs: 0
; NumAgprs: 0
; TotalNumVgprs: 0
; ScratchSize: 0
; MemoryBound: 0
; FloatMode: 240
; IeeeMode: 1
; LDSByteSize: 0 bytes/workgroup (compile time only)
; SGPRBlocks: 0
; VGPRBlocks: 0
; NumSGPRsForWavesPerEU: 6
; NumVGPRsForWavesPerEU: 1
; AccumOffset: 4
; Occupancy: 8
; WaveLimiterHint : 0
; COMPUTE_PGM_RSRC2:SCRATCH_EN: 0
; COMPUTE_PGM_RSRC2:USER_SGPR: 2
; COMPUTE_PGM_RSRC2:TRAP_HANDLER: 0
; COMPUTE_PGM_RSRC2:TGID_X_EN: 1
; COMPUTE_PGM_RSRC2:TGID_Y_EN: 0
; COMPUTE_PGM_RSRC2:TGID_Z_EN: 0
; COMPUTE_PGM_RSRC2:TIDIG_COMP_CNT: 0
; COMPUTE_PGM_RSRC3_GFX90A:ACCUM_OFFSET: 0
; COMPUTE_PGM_RSRC3_GFX90A:TG_SPLIT: 0
	.section	.text._ZN7rocprim17ROCPRIM_400000_NS6detail17trampoline_kernelINS0_14default_configENS1_25partition_config_selectorILNS1_17partition_subalgoE0EiNS0_10empty_typeEbEEZZNS1_14partition_implILS5_0ELb0ES3_jN6thrust23THRUST_200600_302600_NS6detail15normal_iteratorINSA_10device_ptrIiEEEEPS6_SG_NS0_5tupleIJSF_SF_EEENSH_IJSG_SG_EEES6_PlJ7is_evenIiEEEE10hipError_tPvRmT3_T4_T5_T6_T7_T9_mT8_P12ihipStream_tbDpT10_ENKUlT_T0_E_clISt17integral_constantIbLb1EES15_IbLb0EEEEDaS11_S12_EUlS11_E_NS1_11comp_targetILNS1_3genE2ELNS1_11target_archE906ELNS1_3gpuE6ELNS1_3repE0EEENS1_30default_config_static_selectorELNS0_4arch9wavefront6targetE1EEEvT1_,"axG",@progbits,_ZN7rocprim17ROCPRIM_400000_NS6detail17trampoline_kernelINS0_14default_configENS1_25partition_config_selectorILNS1_17partition_subalgoE0EiNS0_10empty_typeEbEEZZNS1_14partition_implILS5_0ELb0ES3_jN6thrust23THRUST_200600_302600_NS6detail15normal_iteratorINSA_10device_ptrIiEEEEPS6_SG_NS0_5tupleIJSF_SF_EEENSH_IJSG_SG_EEES6_PlJ7is_evenIiEEEE10hipError_tPvRmT3_T4_T5_T6_T7_T9_mT8_P12ihipStream_tbDpT10_ENKUlT_T0_E_clISt17integral_constantIbLb1EES15_IbLb0EEEEDaS11_S12_EUlS11_E_NS1_11comp_targetILNS1_3genE2ELNS1_11target_archE906ELNS1_3gpuE6ELNS1_3repE0EEENS1_30default_config_static_selectorELNS0_4arch9wavefront6targetE1EEEvT1_,comdat
	.protected	_ZN7rocprim17ROCPRIM_400000_NS6detail17trampoline_kernelINS0_14default_configENS1_25partition_config_selectorILNS1_17partition_subalgoE0EiNS0_10empty_typeEbEEZZNS1_14partition_implILS5_0ELb0ES3_jN6thrust23THRUST_200600_302600_NS6detail15normal_iteratorINSA_10device_ptrIiEEEEPS6_SG_NS0_5tupleIJSF_SF_EEENSH_IJSG_SG_EEES6_PlJ7is_evenIiEEEE10hipError_tPvRmT3_T4_T5_T6_T7_T9_mT8_P12ihipStream_tbDpT10_ENKUlT_T0_E_clISt17integral_constantIbLb1EES15_IbLb0EEEEDaS11_S12_EUlS11_E_NS1_11comp_targetILNS1_3genE2ELNS1_11target_archE906ELNS1_3gpuE6ELNS1_3repE0EEENS1_30default_config_static_selectorELNS0_4arch9wavefront6targetE1EEEvT1_ ; -- Begin function _ZN7rocprim17ROCPRIM_400000_NS6detail17trampoline_kernelINS0_14default_configENS1_25partition_config_selectorILNS1_17partition_subalgoE0EiNS0_10empty_typeEbEEZZNS1_14partition_implILS5_0ELb0ES3_jN6thrust23THRUST_200600_302600_NS6detail15normal_iteratorINSA_10device_ptrIiEEEEPS6_SG_NS0_5tupleIJSF_SF_EEENSH_IJSG_SG_EEES6_PlJ7is_evenIiEEEE10hipError_tPvRmT3_T4_T5_T6_T7_T9_mT8_P12ihipStream_tbDpT10_ENKUlT_T0_E_clISt17integral_constantIbLb1EES15_IbLb0EEEEDaS11_S12_EUlS11_E_NS1_11comp_targetILNS1_3genE2ELNS1_11target_archE906ELNS1_3gpuE6ELNS1_3repE0EEENS1_30default_config_static_selectorELNS0_4arch9wavefront6targetE1EEEvT1_
	.globl	_ZN7rocprim17ROCPRIM_400000_NS6detail17trampoline_kernelINS0_14default_configENS1_25partition_config_selectorILNS1_17partition_subalgoE0EiNS0_10empty_typeEbEEZZNS1_14partition_implILS5_0ELb0ES3_jN6thrust23THRUST_200600_302600_NS6detail15normal_iteratorINSA_10device_ptrIiEEEEPS6_SG_NS0_5tupleIJSF_SF_EEENSH_IJSG_SG_EEES6_PlJ7is_evenIiEEEE10hipError_tPvRmT3_T4_T5_T6_T7_T9_mT8_P12ihipStream_tbDpT10_ENKUlT_T0_E_clISt17integral_constantIbLb1EES15_IbLb0EEEEDaS11_S12_EUlS11_E_NS1_11comp_targetILNS1_3genE2ELNS1_11target_archE906ELNS1_3gpuE6ELNS1_3repE0EEENS1_30default_config_static_selectorELNS0_4arch9wavefront6targetE1EEEvT1_
	.p2align	8
	.type	_ZN7rocprim17ROCPRIM_400000_NS6detail17trampoline_kernelINS0_14default_configENS1_25partition_config_selectorILNS1_17partition_subalgoE0EiNS0_10empty_typeEbEEZZNS1_14partition_implILS5_0ELb0ES3_jN6thrust23THRUST_200600_302600_NS6detail15normal_iteratorINSA_10device_ptrIiEEEEPS6_SG_NS0_5tupleIJSF_SF_EEENSH_IJSG_SG_EEES6_PlJ7is_evenIiEEEE10hipError_tPvRmT3_T4_T5_T6_T7_T9_mT8_P12ihipStream_tbDpT10_ENKUlT_T0_E_clISt17integral_constantIbLb1EES15_IbLb0EEEEDaS11_S12_EUlS11_E_NS1_11comp_targetILNS1_3genE2ELNS1_11target_archE906ELNS1_3gpuE6ELNS1_3repE0EEENS1_30default_config_static_selectorELNS0_4arch9wavefront6targetE1EEEvT1_,@function
_ZN7rocprim17ROCPRIM_400000_NS6detail17trampoline_kernelINS0_14default_configENS1_25partition_config_selectorILNS1_17partition_subalgoE0EiNS0_10empty_typeEbEEZZNS1_14partition_implILS5_0ELb0ES3_jN6thrust23THRUST_200600_302600_NS6detail15normal_iteratorINSA_10device_ptrIiEEEEPS6_SG_NS0_5tupleIJSF_SF_EEENSH_IJSG_SG_EEES6_PlJ7is_evenIiEEEE10hipError_tPvRmT3_T4_T5_T6_T7_T9_mT8_P12ihipStream_tbDpT10_ENKUlT_T0_E_clISt17integral_constantIbLb1EES15_IbLb0EEEEDaS11_S12_EUlS11_E_NS1_11comp_targetILNS1_3genE2ELNS1_11target_archE906ELNS1_3gpuE6ELNS1_3repE0EEENS1_30default_config_static_selectorELNS0_4arch9wavefront6targetE1EEEvT1_: ; @_ZN7rocprim17ROCPRIM_400000_NS6detail17trampoline_kernelINS0_14default_configENS1_25partition_config_selectorILNS1_17partition_subalgoE0EiNS0_10empty_typeEbEEZZNS1_14partition_implILS5_0ELb0ES3_jN6thrust23THRUST_200600_302600_NS6detail15normal_iteratorINSA_10device_ptrIiEEEEPS6_SG_NS0_5tupleIJSF_SF_EEENSH_IJSG_SG_EEES6_PlJ7is_evenIiEEEE10hipError_tPvRmT3_T4_T5_T6_T7_T9_mT8_P12ihipStream_tbDpT10_ENKUlT_T0_E_clISt17integral_constantIbLb1EES15_IbLb0EEEEDaS11_S12_EUlS11_E_NS1_11comp_targetILNS1_3genE2ELNS1_11target_archE906ELNS1_3gpuE6ELNS1_3repE0EEENS1_30default_config_static_selectorELNS0_4arch9wavefront6targetE1EEEvT1_
; %bb.0:
	.section	.rodata,"a",@progbits
	.p2align	6, 0x0
	.amdhsa_kernel _ZN7rocprim17ROCPRIM_400000_NS6detail17trampoline_kernelINS0_14default_configENS1_25partition_config_selectorILNS1_17partition_subalgoE0EiNS0_10empty_typeEbEEZZNS1_14partition_implILS5_0ELb0ES3_jN6thrust23THRUST_200600_302600_NS6detail15normal_iteratorINSA_10device_ptrIiEEEEPS6_SG_NS0_5tupleIJSF_SF_EEENSH_IJSG_SG_EEES6_PlJ7is_evenIiEEEE10hipError_tPvRmT3_T4_T5_T6_T7_T9_mT8_P12ihipStream_tbDpT10_ENKUlT_T0_E_clISt17integral_constantIbLb1EES15_IbLb0EEEEDaS11_S12_EUlS11_E_NS1_11comp_targetILNS1_3genE2ELNS1_11target_archE906ELNS1_3gpuE6ELNS1_3repE0EEENS1_30default_config_static_selectorELNS0_4arch9wavefront6targetE1EEEvT1_
		.amdhsa_group_segment_fixed_size 0
		.amdhsa_private_segment_fixed_size 0
		.amdhsa_kernarg_size 120
		.amdhsa_user_sgpr_count 2
		.amdhsa_user_sgpr_dispatch_ptr 0
		.amdhsa_user_sgpr_queue_ptr 0
		.amdhsa_user_sgpr_kernarg_segment_ptr 1
		.amdhsa_user_sgpr_dispatch_id 0
		.amdhsa_user_sgpr_kernarg_preload_length 0
		.amdhsa_user_sgpr_kernarg_preload_offset 0
		.amdhsa_user_sgpr_private_segment_size 0
		.amdhsa_uses_dynamic_stack 0
		.amdhsa_enable_private_segment 0
		.amdhsa_system_sgpr_workgroup_id_x 1
		.amdhsa_system_sgpr_workgroup_id_y 0
		.amdhsa_system_sgpr_workgroup_id_z 0
		.amdhsa_system_sgpr_workgroup_info 0
		.amdhsa_system_vgpr_workitem_id 0
		.amdhsa_next_free_vgpr 1
		.amdhsa_next_free_sgpr 0
		.amdhsa_accum_offset 4
		.amdhsa_reserve_vcc 0
		.amdhsa_float_round_mode_32 0
		.amdhsa_float_round_mode_16_64 0
		.amdhsa_float_denorm_mode_32 3
		.amdhsa_float_denorm_mode_16_64 3
		.amdhsa_dx10_clamp 1
		.amdhsa_ieee_mode 1
		.amdhsa_fp16_overflow 0
		.amdhsa_tg_split 0
		.amdhsa_exception_fp_ieee_invalid_op 0
		.amdhsa_exception_fp_denorm_src 0
		.amdhsa_exception_fp_ieee_div_zero 0
		.amdhsa_exception_fp_ieee_overflow 0
		.amdhsa_exception_fp_ieee_underflow 0
		.amdhsa_exception_fp_ieee_inexact 0
		.amdhsa_exception_int_div_zero 0
	.end_amdhsa_kernel
	.section	.text._ZN7rocprim17ROCPRIM_400000_NS6detail17trampoline_kernelINS0_14default_configENS1_25partition_config_selectorILNS1_17partition_subalgoE0EiNS0_10empty_typeEbEEZZNS1_14partition_implILS5_0ELb0ES3_jN6thrust23THRUST_200600_302600_NS6detail15normal_iteratorINSA_10device_ptrIiEEEEPS6_SG_NS0_5tupleIJSF_SF_EEENSH_IJSG_SG_EEES6_PlJ7is_evenIiEEEE10hipError_tPvRmT3_T4_T5_T6_T7_T9_mT8_P12ihipStream_tbDpT10_ENKUlT_T0_E_clISt17integral_constantIbLb1EES15_IbLb0EEEEDaS11_S12_EUlS11_E_NS1_11comp_targetILNS1_3genE2ELNS1_11target_archE906ELNS1_3gpuE6ELNS1_3repE0EEENS1_30default_config_static_selectorELNS0_4arch9wavefront6targetE1EEEvT1_,"axG",@progbits,_ZN7rocprim17ROCPRIM_400000_NS6detail17trampoline_kernelINS0_14default_configENS1_25partition_config_selectorILNS1_17partition_subalgoE0EiNS0_10empty_typeEbEEZZNS1_14partition_implILS5_0ELb0ES3_jN6thrust23THRUST_200600_302600_NS6detail15normal_iteratorINSA_10device_ptrIiEEEEPS6_SG_NS0_5tupleIJSF_SF_EEENSH_IJSG_SG_EEES6_PlJ7is_evenIiEEEE10hipError_tPvRmT3_T4_T5_T6_T7_T9_mT8_P12ihipStream_tbDpT10_ENKUlT_T0_E_clISt17integral_constantIbLb1EES15_IbLb0EEEEDaS11_S12_EUlS11_E_NS1_11comp_targetILNS1_3genE2ELNS1_11target_archE906ELNS1_3gpuE6ELNS1_3repE0EEENS1_30default_config_static_selectorELNS0_4arch9wavefront6targetE1EEEvT1_,comdat
.Lfunc_end341:
	.size	_ZN7rocprim17ROCPRIM_400000_NS6detail17trampoline_kernelINS0_14default_configENS1_25partition_config_selectorILNS1_17partition_subalgoE0EiNS0_10empty_typeEbEEZZNS1_14partition_implILS5_0ELb0ES3_jN6thrust23THRUST_200600_302600_NS6detail15normal_iteratorINSA_10device_ptrIiEEEEPS6_SG_NS0_5tupleIJSF_SF_EEENSH_IJSG_SG_EEES6_PlJ7is_evenIiEEEE10hipError_tPvRmT3_T4_T5_T6_T7_T9_mT8_P12ihipStream_tbDpT10_ENKUlT_T0_E_clISt17integral_constantIbLb1EES15_IbLb0EEEEDaS11_S12_EUlS11_E_NS1_11comp_targetILNS1_3genE2ELNS1_11target_archE906ELNS1_3gpuE6ELNS1_3repE0EEENS1_30default_config_static_selectorELNS0_4arch9wavefront6targetE1EEEvT1_, .Lfunc_end341-_ZN7rocprim17ROCPRIM_400000_NS6detail17trampoline_kernelINS0_14default_configENS1_25partition_config_selectorILNS1_17partition_subalgoE0EiNS0_10empty_typeEbEEZZNS1_14partition_implILS5_0ELb0ES3_jN6thrust23THRUST_200600_302600_NS6detail15normal_iteratorINSA_10device_ptrIiEEEEPS6_SG_NS0_5tupleIJSF_SF_EEENSH_IJSG_SG_EEES6_PlJ7is_evenIiEEEE10hipError_tPvRmT3_T4_T5_T6_T7_T9_mT8_P12ihipStream_tbDpT10_ENKUlT_T0_E_clISt17integral_constantIbLb1EES15_IbLb0EEEEDaS11_S12_EUlS11_E_NS1_11comp_targetILNS1_3genE2ELNS1_11target_archE906ELNS1_3gpuE6ELNS1_3repE0EEENS1_30default_config_static_selectorELNS0_4arch9wavefront6targetE1EEEvT1_
                                        ; -- End function
	.section	.AMDGPU.csdata,"",@progbits
; Kernel info:
; codeLenInByte = 0
; NumSgprs: 6
; NumVgprs: 0
; NumAgprs: 0
; TotalNumVgprs: 0
; ScratchSize: 0
; MemoryBound: 0
; FloatMode: 240
; IeeeMode: 1
; LDSByteSize: 0 bytes/workgroup (compile time only)
; SGPRBlocks: 0
; VGPRBlocks: 0
; NumSGPRsForWavesPerEU: 6
; NumVGPRsForWavesPerEU: 1
; AccumOffset: 4
; Occupancy: 8
; WaveLimiterHint : 0
; COMPUTE_PGM_RSRC2:SCRATCH_EN: 0
; COMPUTE_PGM_RSRC2:USER_SGPR: 2
; COMPUTE_PGM_RSRC2:TRAP_HANDLER: 0
; COMPUTE_PGM_RSRC2:TGID_X_EN: 1
; COMPUTE_PGM_RSRC2:TGID_Y_EN: 0
; COMPUTE_PGM_RSRC2:TGID_Z_EN: 0
; COMPUTE_PGM_RSRC2:TIDIG_COMP_CNT: 0
; COMPUTE_PGM_RSRC3_GFX90A:ACCUM_OFFSET: 0
; COMPUTE_PGM_RSRC3_GFX90A:TG_SPLIT: 0
	.section	.text._ZN7rocprim17ROCPRIM_400000_NS6detail17trampoline_kernelINS0_14default_configENS1_25partition_config_selectorILNS1_17partition_subalgoE0EiNS0_10empty_typeEbEEZZNS1_14partition_implILS5_0ELb0ES3_jN6thrust23THRUST_200600_302600_NS6detail15normal_iteratorINSA_10device_ptrIiEEEEPS6_SG_NS0_5tupleIJSF_SF_EEENSH_IJSG_SG_EEES6_PlJ7is_evenIiEEEE10hipError_tPvRmT3_T4_T5_T6_T7_T9_mT8_P12ihipStream_tbDpT10_ENKUlT_T0_E_clISt17integral_constantIbLb1EES15_IbLb0EEEEDaS11_S12_EUlS11_E_NS1_11comp_targetILNS1_3genE10ELNS1_11target_archE1200ELNS1_3gpuE4ELNS1_3repE0EEENS1_30default_config_static_selectorELNS0_4arch9wavefront6targetE1EEEvT1_,"axG",@progbits,_ZN7rocprim17ROCPRIM_400000_NS6detail17trampoline_kernelINS0_14default_configENS1_25partition_config_selectorILNS1_17partition_subalgoE0EiNS0_10empty_typeEbEEZZNS1_14partition_implILS5_0ELb0ES3_jN6thrust23THRUST_200600_302600_NS6detail15normal_iteratorINSA_10device_ptrIiEEEEPS6_SG_NS0_5tupleIJSF_SF_EEENSH_IJSG_SG_EEES6_PlJ7is_evenIiEEEE10hipError_tPvRmT3_T4_T5_T6_T7_T9_mT8_P12ihipStream_tbDpT10_ENKUlT_T0_E_clISt17integral_constantIbLb1EES15_IbLb0EEEEDaS11_S12_EUlS11_E_NS1_11comp_targetILNS1_3genE10ELNS1_11target_archE1200ELNS1_3gpuE4ELNS1_3repE0EEENS1_30default_config_static_selectorELNS0_4arch9wavefront6targetE1EEEvT1_,comdat
	.protected	_ZN7rocprim17ROCPRIM_400000_NS6detail17trampoline_kernelINS0_14default_configENS1_25partition_config_selectorILNS1_17partition_subalgoE0EiNS0_10empty_typeEbEEZZNS1_14partition_implILS5_0ELb0ES3_jN6thrust23THRUST_200600_302600_NS6detail15normal_iteratorINSA_10device_ptrIiEEEEPS6_SG_NS0_5tupleIJSF_SF_EEENSH_IJSG_SG_EEES6_PlJ7is_evenIiEEEE10hipError_tPvRmT3_T4_T5_T6_T7_T9_mT8_P12ihipStream_tbDpT10_ENKUlT_T0_E_clISt17integral_constantIbLb1EES15_IbLb0EEEEDaS11_S12_EUlS11_E_NS1_11comp_targetILNS1_3genE10ELNS1_11target_archE1200ELNS1_3gpuE4ELNS1_3repE0EEENS1_30default_config_static_selectorELNS0_4arch9wavefront6targetE1EEEvT1_ ; -- Begin function _ZN7rocprim17ROCPRIM_400000_NS6detail17trampoline_kernelINS0_14default_configENS1_25partition_config_selectorILNS1_17partition_subalgoE0EiNS0_10empty_typeEbEEZZNS1_14partition_implILS5_0ELb0ES3_jN6thrust23THRUST_200600_302600_NS6detail15normal_iteratorINSA_10device_ptrIiEEEEPS6_SG_NS0_5tupleIJSF_SF_EEENSH_IJSG_SG_EEES6_PlJ7is_evenIiEEEE10hipError_tPvRmT3_T4_T5_T6_T7_T9_mT8_P12ihipStream_tbDpT10_ENKUlT_T0_E_clISt17integral_constantIbLb1EES15_IbLb0EEEEDaS11_S12_EUlS11_E_NS1_11comp_targetILNS1_3genE10ELNS1_11target_archE1200ELNS1_3gpuE4ELNS1_3repE0EEENS1_30default_config_static_selectorELNS0_4arch9wavefront6targetE1EEEvT1_
	.globl	_ZN7rocprim17ROCPRIM_400000_NS6detail17trampoline_kernelINS0_14default_configENS1_25partition_config_selectorILNS1_17partition_subalgoE0EiNS0_10empty_typeEbEEZZNS1_14partition_implILS5_0ELb0ES3_jN6thrust23THRUST_200600_302600_NS6detail15normal_iteratorINSA_10device_ptrIiEEEEPS6_SG_NS0_5tupleIJSF_SF_EEENSH_IJSG_SG_EEES6_PlJ7is_evenIiEEEE10hipError_tPvRmT3_T4_T5_T6_T7_T9_mT8_P12ihipStream_tbDpT10_ENKUlT_T0_E_clISt17integral_constantIbLb1EES15_IbLb0EEEEDaS11_S12_EUlS11_E_NS1_11comp_targetILNS1_3genE10ELNS1_11target_archE1200ELNS1_3gpuE4ELNS1_3repE0EEENS1_30default_config_static_selectorELNS0_4arch9wavefront6targetE1EEEvT1_
	.p2align	8
	.type	_ZN7rocprim17ROCPRIM_400000_NS6detail17trampoline_kernelINS0_14default_configENS1_25partition_config_selectorILNS1_17partition_subalgoE0EiNS0_10empty_typeEbEEZZNS1_14partition_implILS5_0ELb0ES3_jN6thrust23THRUST_200600_302600_NS6detail15normal_iteratorINSA_10device_ptrIiEEEEPS6_SG_NS0_5tupleIJSF_SF_EEENSH_IJSG_SG_EEES6_PlJ7is_evenIiEEEE10hipError_tPvRmT3_T4_T5_T6_T7_T9_mT8_P12ihipStream_tbDpT10_ENKUlT_T0_E_clISt17integral_constantIbLb1EES15_IbLb0EEEEDaS11_S12_EUlS11_E_NS1_11comp_targetILNS1_3genE10ELNS1_11target_archE1200ELNS1_3gpuE4ELNS1_3repE0EEENS1_30default_config_static_selectorELNS0_4arch9wavefront6targetE1EEEvT1_,@function
_ZN7rocprim17ROCPRIM_400000_NS6detail17trampoline_kernelINS0_14default_configENS1_25partition_config_selectorILNS1_17partition_subalgoE0EiNS0_10empty_typeEbEEZZNS1_14partition_implILS5_0ELb0ES3_jN6thrust23THRUST_200600_302600_NS6detail15normal_iteratorINSA_10device_ptrIiEEEEPS6_SG_NS0_5tupleIJSF_SF_EEENSH_IJSG_SG_EEES6_PlJ7is_evenIiEEEE10hipError_tPvRmT3_T4_T5_T6_T7_T9_mT8_P12ihipStream_tbDpT10_ENKUlT_T0_E_clISt17integral_constantIbLb1EES15_IbLb0EEEEDaS11_S12_EUlS11_E_NS1_11comp_targetILNS1_3genE10ELNS1_11target_archE1200ELNS1_3gpuE4ELNS1_3repE0EEENS1_30default_config_static_selectorELNS0_4arch9wavefront6targetE1EEEvT1_: ; @_ZN7rocprim17ROCPRIM_400000_NS6detail17trampoline_kernelINS0_14default_configENS1_25partition_config_selectorILNS1_17partition_subalgoE0EiNS0_10empty_typeEbEEZZNS1_14partition_implILS5_0ELb0ES3_jN6thrust23THRUST_200600_302600_NS6detail15normal_iteratorINSA_10device_ptrIiEEEEPS6_SG_NS0_5tupleIJSF_SF_EEENSH_IJSG_SG_EEES6_PlJ7is_evenIiEEEE10hipError_tPvRmT3_T4_T5_T6_T7_T9_mT8_P12ihipStream_tbDpT10_ENKUlT_T0_E_clISt17integral_constantIbLb1EES15_IbLb0EEEEDaS11_S12_EUlS11_E_NS1_11comp_targetILNS1_3genE10ELNS1_11target_archE1200ELNS1_3gpuE4ELNS1_3repE0EEENS1_30default_config_static_selectorELNS0_4arch9wavefront6targetE1EEEvT1_
; %bb.0:
	.section	.rodata,"a",@progbits
	.p2align	6, 0x0
	.amdhsa_kernel _ZN7rocprim17ROCPRIM_400000_NS6detail17trampoline_kernelINS0_14default_configENS1_25partition_config_selectorILNS1_17partition_subalgoE0EiNS0_10empty_typeEbEEZZNS1_14partition_implILS5_0ELb0ES3_jN6thrust23THRUST_200600_302600_NS6detail15normal_iteratorINSA_10device_ptrIiEEEEPS6_SG_NS0_5tupleIJSF_SF_EEENSH_IJSG_SG_EEES6_PlJ7is_evenIiEEEE10hipError_tPvRmT3_T4_T5_T6_T7_T9_mT8_P12ihipStream_tbDpT10_ENKUlT_T0_E_clISt17integral_constantIbLb1EES15_IbLb0EEEEDaS11_S12_EUlS11_E_NS1_11comp_targetILNS1_3genE10ELNS1_11target_archE1200ELNS1_3gpuE4ELNS1_3repE0EEENS1_30default_config_static_selectorELNS0_4arch9wavefront6targetE1EEEvT1_
		.amdhsa_group_segment_fixed_size 0
		.amdhsa_private_segment_fixed_size 0
		.amdhsa_kernarg_size 120
		.amdhsa_user_sgpr_count 2
		.amdhsa_user_sgpr_dispatch_ptr 0
		.amdhsa_user_sgpr_queue_ptr 0
		.amdhsa_user_sgpr_kernarg_segment_ptr 1
		.amdhsa_user_sgpr_dispatch_id 0
		.amdhsa_user_sgpr_kernarg_preload_length 0
		.amdhsa_user_sgpr_kernarg_preload_offset 0
		.amdhsa_user_sgpr_private_segment_size 0
		.amdhsa_uses_dynamic_stack 0
		.amdhsa_enable_private_segment 0
		.amdhsa_system_sgpr_workgroup_id_x 1
		.amdhsa_system_sgpr_workgroup_id_y 0
		.amdhsa_system_sgpr_workgroup_id_z 0
		.amdhsa_system_sgpr_workgroup_info 0
		.amdhsa_system_vgpr_workitem_id 0
		.amdhsa_next_free_vgpr 1
		.amdhsa_next_free_sgpr 0
		.amdhsa_accum_offset 4
		.amdhsa_reserve_vcc 0
		.amdhsa_float_round_mode_32 0
		.amdhsa_float_round_mode_16_64 0
		.amdhsa_float_denorm_mode_32 3
		.amdhsa_float_denorm_mode_16_64 3
		.amdhsa_dx10_clamp 1
		.amdhsa_ieee_mode 1
		.amdhsa_fp16_overflow 0
		.amdhsa_tg_split 0
		.amdhsa_exception_fp_ieee_invalid_op 0
		.amdhsa_exception_fp_denorm_src 0
		.amdhsa_exception_fp_ieee_div_zero 0
		.amdhsa_exception_fp_ieee_overflow 0
		.amdhsa_exception_fp_ieee_underflow 0
		.amdhsa_exception_fp_ieee_inexact 0
		.amdhsa_exception_int_div_zero 0
	.end_amdhsa_kernel
	.section	.text._ZN7rocprim17ROCPRIM_400000_NS6detail17trampoline_kernelINS0_14default_configENS1_25partition_config_selectorILNS1_17partition_subalgoE0EiNS0_10empty_typeEbEEZZNS1_14partition_implILS5_0ELb0ES3_jN6thrust23THRUST_200600_302600_NS6detail15normal_iteratorINSA_10device_ptrIiEEEEPS6_SG_NS0_5tupleIJSF_SF_EEENSH_IJSG_SG_EEES6_PlJ7is_evenIiEEEE10hipError_tPvRmT3_T4_T5_T6_T7_T9_mT8_P12ihipStream_tbDpT10_ENKUlT_T0_E_clISt17integral_constantIbLb1EES15_IbLb0EEEEDaS11_S12_EUlS11_E_NS1_11comp_targetILNS1_3genE10ELNS1_11target_archE1200ELNS1_3gpuE4ELNS1_3repE0EEENS1_30default_config_static_selectorELNS0_4arch9wavefront6targetE1EEEvT1_,"axG",@progbits,_ZN7rocprim17ROCPRIM_400000_NS6detail17trampoline_kernelINS0_14default_configENS1_25partition_config_selectorILNS1_17partition_subalgoE0EiNS0_10empty_typeEbEEZZNS1_14partition_implILS5_0ELb0ES3_jN6thrust23THRUST_200600_302600_NS6detail15normal_iteratorINSA_10device_ptrIiEEEEPS6_SG_NS0_5tupleIJSF_SF_EEENSH_IJSG_SG_EEES6_PlJ7is_evenIiEEEE10hipError_tPvRmT3_T4_T5_T6_T7_T9_mT8_P12ihipStream_tbDpT10_ENKUlT_T0_E_clISt17integral_constantIbLb1EES15_IbLb0EEEEDaS11_S12_EUlS11_E_NS1_11comp_targetILNS1_3genE10ELNS1_11target_archE1200ELNS1_3gpuE4ELNS1_3repE0EEENS1_30default_config_static_selectorELNS0_4arch9wavefront6targetE1EEEvT1_,comdat
.Lfunc_end342:
	.size	_ZN7rocprim17ROCPRIM_400000_NS6detail17trampoline_kernelINS0_14default_configENS1_25partition_config_selectorILNS1_17partition_subalgoE0EiNS0_10empty_typeEbEEZZNS1_14partition_implILS5_0ELb0ES3_jN6thrust23THRUST_200600_302600_NS6detail15normal_iteratorINSA_10device_ptrIiEEEEPS6_SG_NS0_5tupleIJSF_SF_EEENSH_IJSG_SG_EEES6_PlJ7is_evenIiEEEE10hipError_tPvRmT3_T4_T5_T6_T7_T9_mT8_P12ihipStream_tbDpT10_ENKUlT_T0_E_clISt17integral_constantIbLb1EES15_IbLb0EEEEDaS11_S12_EUlS11_E_NS1_11comp_targetILNS1_3genE10ELNS1_11target_archE1200ELNS1_3gpuE4ELNS1_3repE0EEENS1_30default_config_static_selectorELNS0_4arch9wavefront6targetE1EEEvT1_, .Lfunc_end342-_ZN7rocprim17ROCPRIM_400000_NS6detail17trampoline_kernelINS0_14default_configENS1_25partition_config_selectorILNS1_17partition_subalgoE0EiNS0_10empty_typeEbEEZZNS1_14partition_implILS5_0ELb0ES3_jN6thrust23THRUST_200600_302600_NS6detail15normal_iteratorINSA_10device_ptrIiEEEEPS6_SG_NS0_5tupleIJSF_SF_EEENSH_IJSG_SG_EEES6_PlJ7is_evenIiEEEE10hipError_tPvRmT3_T4_T5_T6_T7_T9_mT8_P12ihipStream_tbDpT10_ENKUlT_T0_E_clISt17integral_constantIbLb1EES15_IbLb0EEEEDaS11_S12_EUlS11_E_NS1_11comp_targetILNS1_3genE10ELNS1_11target_archE1200ELNS1_3gpuE4ELNS1_3repE0EEENS1_30default_config_static_selectorELNS0_4arch9wavefront6targetE1EEEvT1_
                                        ; -- End function
	.section	.AMDGPU.csdata,"",@progbits
; Kernel info:
; codeLenInByte = 0
; NumSgprs: 6
; NumVgprs: 0
; NumAgprs: 0
; TotalNumVgprs: 0
; ScratchSize: 0
; MemoryBound: 0
; FloatMode: 240
; IeeeMode: 1
; LDSByteSize: 0 bytes/workgroup (compile time only)
; SGPRBlocks: 0
; VGPRBlocks: 0
; NumSGPRsForWavesPerEU: 6
; NumVGPRsForWavesPerEU: 1
; AccumOffset: 4
; Occupancy: 8
; WaveLimiterHint : 0
; COMPUTE_PGM_RSRC2:SCRATCH_EN: 0
; COMPUTE_PGM_RSRC2:USER_SGPR: 2
; COMPUTE_PGM_RSRC2:TRAP_HANDLER: 0
; COMPUTE_PGM_RSRC2:TGID_X_EN: 1
; COMPUTE_PGM_RSRC2:TGID_Y_EN: 0
; COMPUTE_PGM_RSRC2:TGID_Z_EN: 0
; COMPUTE_PGM_RSRC2:TIDIG_COMP_CNT: 0
; COMPUTE_PGM_RSRC3_GFX90A:ACCUM_OFFSET: 0
; COMPUTE_PGM_RSRC3_GFX90A:TG_SPLIT: 0
	.section	.text._ZN7rocprim17ROCPRIM_400000_NS6detail17trampoline_kernelINS0_14default_configENS1_25partition_config_selectorILNS1_17partition_subalgoE0EiNS0_10empty_typeEbEEZZNS1_14partition_implILS5_0ELb0ES3_jN6thrust23THRUST_200600_302600_NS6detail15normal_iteratorINSA_10device_ptrIiEEEEPS6_SG_NS0_5tupleIJSF_SF_EEENSH_IJSG_SG_EEES6_PlJ7is_evenIiEEEE10hipError_tPvRmT3_T4_T5_T6_T7_T9_mT8_P12ihipStream_tbDpT10_ENKUlT_T0_E_clISt17integral_constantIbLb1EES15_IbLb0EEEEDaS11_S12_EUlS11_E_NS1_11comp_targetILNS1_3genE9ELNS1_11target_archE1100ELNS1_3gpuE3ELNS1_3repE0EEENS1_30default_config_static_selectorELNS0_4arch9wavefront6targetE1EEEvT1_,"axG",@progbits,_ZN7rocprim17ROCPRIM_400000_NS6detail17trampoline_kernelINS0_14default_configENS1_25partition_config_selectorILNS1_17partition_subalgoE0EiNS0_10empty_typeEbEEZZNS1_14partition_implILS5_0ELb0ES3_jN6thrust23THRUST_200600_302600_NS6detail15normal_iteratorINSA_10device_ptrIiEEEEPS6_SG_NS0_5tupleIJSF_SF_EEENSH_IJSG_SG_EEES6_PlJ7is_evenIiEEEE10hipError_tPvRmT3_T4_T5_T6_T7_T9_mT8_P12ihipStream_tbDpT10_ENKUlT_T0_E_clISt17integral_constantIbLb1EES15_IbLb0EEEEDaS11_S12_EUlS11_E_NS1_11comp_targetILNS1_3genE9ELNS1_11target_archE1100ELNS1_3gpuE3ELNS1_3repE0EEENS1_30default_config_static_selectorELNS0_4arch9wavefront6targetE1EEEvT1_,comdat
	.protected	_ZN7rocprim17ROCPRIM_400000_NS6detail17trampoline_kernelINS0_14default_configENS1_25partition_config_selectorILNS1_17partition_subalgoE0EiNS0_10empty_typeEbEEZZNS1_14partition_implILS5_0ELb0ES3_jN6thrust23THRUST_200600_302600_NS6detail15normal_iteratorINSA_10device_ptrIiEEEEPS6_SG_NS0_5tupleIJSF_SF_EEENSH_IJSG_SG_EEES6_PlJ7is_evenIiEEEE10hipError_tPvRmT3_T4_T5_T6_T7_T9_mT8_P12ihipStream_tbDpT10_ENKUlT_T0_E_clISt17integral_constantIbLb1EES15_IbLb0EEEEDaS11_S12_EUlS11_E_NS1_11comp_targetILNS1_3genE9ELNS1_11target_archE1100ELNS1_3gpuE3ELNS1_3repE0EEENS1_30default_config_static_selectorELNS0_4arch9wavefront6targetE1EEEvT1_ ; -- Begin function _ZN7rocprim17ROCPRIM_400000_NS6detail17trampoline_kernelINS0_14default_configENS1_25partition_config_selectorILNS1_17partition_subalgoE0EiNS0_10empty_typeEbEEZZNS1_14partition_implILS5_0ELb0ES3_jN6thrust23THRUST_200600_302600_NS6detail15normal_iteratorINSA_10device_ptrIiEEEEPS6_SG_NS0_5tupleIJSF_SF_EEENSH_IJSG_SG_EEES6_PlJ7is_evenIiEEEE10hipError_tPvRmT3_T4_T5_T6_T7_T9_mT8_P12ihipStream_tbDpT10_ENKUlT_T0_E_clISt17integral_constantIbLb1EES15_IbLb0EEEEDaS11_S12_EUlS11_E_NS1_11comp_targetILNS1_3genE9ELNS1_11target_archE1100ELNS1_3gpuE3ELNS1_3repE0EEENS1_30default_config_static_selectorELNS0_4arch9wavefront6targetE1EEEvT1_
	.globl	_ZN7rocprim17ROCPRIM_400000_NS6detail17trampoline_kernelINS0_14default_configENS1_25partition_config_selectorILNS1_17partition_subalgoE0EiNS0_10empty_typeEbEEZZNS1_14partition_implILS5_0ELb0ES3_jN6thrust23THRUST_200600_302600_NS6detail15normal_iteratorINSA_10device_ptrIiEEEEPS6_SG_NS0_5tupleIJSF_SF_EEENSH_IJSG_SG_EEES6_PlJ7is_evenIiEEEE10hipError_tPvRmT3_T4_T5_T6_T7_T9_mT8_P12ihipStream_tbDpT10_ENKUlT_T0_E_clISt17integral_constantIbLb1EES15_IbLb0EEEEDaS11_S12_EUlS11_E_NS1_11comp_targetILNS1_3genE9ELNS1_11target_archE1100ELNS1_3gpuE3ELNS1_3repE0EEENS1_30default_config_static_selectorELNS0_4arch9wavefront6targetE1EEEvT1_
	.p2align	8
	.type	_ZN7rocprim17ROCPRIM_400000_NS6detail17trampoline_kernelINS0_14default_configENS1_25partition_config_selectorILNS1_17partition_subalgoE0EiNS0_10empty_typeEbEEZZNS1_14partition_implILS5_0ELb0ES3_jN6thrust23THRUST_200600_302600_NS6detail15normal_iteratorINSA_10device_ptrIiEEEEPS6_SG_NS0_5tupleIJSF_SF_EEENSH_IJSG_SG_EEES6_PlJ7is_evenIiEEEE10hipError_tPvRmT3_T4_T5_T6_T7_T9_mT8_P12ihipStream_tbDpT10_ENKUlT_T0_E_clISt17integral_constantIbLb1EES15_IbLb0EEEEDaS11_S12_EUlS11_E_NS1_11comp_targetILNS1_3genE9ELNS1_11target_archE1100ELNS1_3gpuE3ELNS1_3repE0EEENS1_30default_config_static_selectorELNS0_4arch9wavefront6targetE1EEEvT1_,@function
_ZN7rocprim17ROCPRIM_400000_NS6detail17trampoline_kernelINS0_14default_configENS1_25partition_config_selectorILNS1_17partition_subalgoE0EiNS0_10empty_typeEbEEZZNS1_14partition_implILS5_0ELb0ES3_jN6thrust23THRUST_200600_302600_NS6detail15normal_iteratorINSA_10device_ptrIiEEEEPS6_SG_NS0_5tupleIJSF_SF_EEENSH_IJSG_SG_EEES6_PlJ7is_evenIiEEEE10hipError_tPvRmT3_T4_T5_T6_T7_T9_mT8_P12ihipStream_tbDpT10_ENKUlT_T0_E_clISt17integral_constantIbLb1EES15_IbLb0EEEEDaS11_S12_EUlS11_E_NS1_11comp_targetILNS1_3genE9ELNS1_11target_archE1100ELNS1_3gpuE3ELNS1_3repE0EEENS1_30default_config_static_selectorELNS0_4arch9wavefront6targetE1EEEvT1_: ; @_ZN7rocprim17ROCPRIM_400000_NS6detail17trampoline_kernelINS0_14default_configENS1_25partition_config_selectorILNS1_17partition_subalgoE0EiNS0_10empty_typeEbEEZZNS1_14partition_implILS5_0ELb0ES3_jN6thrust23THRUST_200600_302600_NS6detail15normal_iteratorINSA_10device_ptrIiEEEEPS6_SG_NS0_5tupleIJSF_SF_EEENSH_IJSG_SG_EEES6_PlJ7is_evenIiEEEE10hipError_tPvRmT3_T4_T5_T6_T7_T9_mT8_P12ihipStream_tbDpT10_ENKUlT_T0_E_clISt17integral_constantIbLb1EES15_IbLb0EEEEDaS11_S12_EUlS11_E_NS1_11comp_targetILNS1_3genE9ELNS1_11target_archE1100ELNS1_3gpuE3ELNS1_3repE0EEENS1_30default_config_static_selectorELNS0_4arch9wavefront6targetE1EEEvT1_
; %bb.0:
	.section	.rodata,"a",@progbits
	.p2align	6, 0x0
	.amdhsa_kernel _ZN7rocprim17ROCPRIM_400000_NS6detail17trampoline_kernelINS0_14default_configENS1_25partition_config_selectorILNS1_17partition_subalgoE0EiNS0_10empty_typeEbEEZZNS1_14partition_implILS5_0ELb0ES3_jN6thrust23THRUST_200600_302600_NS6detail15normal_iteratorINSA_10device_ptrIiEEEEPS6_SG_NS0_5tupleIJSF_SF_EEENSH_IJSG_SG_EEES6_PlJ7is_evenIiEEEE10hipError_tPvRmT3_T4_T5_T6_T7_T9_mT8_P12ihipStream_tbDpT10_ENKUlT_T0_E_clISt17integral_constantIbLb1EES15_IbLb0EEEEDaS11_S12_EUlS11_E_NS1_11comp_targetILNS1_3genE9ELNS1_11target_archE1100ELNS1_3gpuE3ELNS1_3repE0EEENS1_30default_config_static_selectorELNS0_4arch9wavefront6targetE1EEEvT1_
		.amdhsa_group_segment_fixed_size 0
		.amdhsa_private_segment_fixed_size 0
		.amdhsa_kernarg_size 120
		.amdhsa_user_sgpr_count 2
		.amdhsa_user_sgpr_dispatch_ptr 0
		.amdhsa_user_sgpr_queue_ptr 0
		.amdhsa_user_sgpr_kernarg_segment_ptr 1
		.amdhsa_user_sgpr_dispatch_id 0
		.amdhsa_user_sgpr_kernarg_preload_length 0
		.amdhsa_user_sgpr_kernarg_preload_offset 0
		.amdhsa_user_sgpr_private_segment_size 0
		.amdhsa_uses_dynamic_stack 0
		.amdhsa_enable_private_segment 0
		.amdhsa_system_sgpr_workgroup_id_x 1
		.amdhsa_system_sgpr_workgroup_id_y 0
		.amdhsa_system_sgpr_workgroup_id_z 0
		.amdhsa_system_sgpr_workgroup_info 0
		.amdhsa_system_vgpr_workitem_id 0
		.amdhsa_next_free_vgpr 1
		.amdhsa_next_free_sgpr 0
		.amdhsa_accum_offset 4
		.amdhsa_reserve_vcc 0
		.amdhsa_float_round_mode_32 0
		.amdhsa_float_round_mode_16_64 0
		.amdhsa_float_denorm_mode_32 3
		.amdhsa_float_denorm_mode_16_64 3
		.amdhsa_dx10_clamp 1
		.amdhsa_ieee_mode 1
		.amdhsa_fp16_overflow 0
		.amdhsa_tg_split 0
		.amdhsa_exception_fp_ieee_invalid_op 0
		.amdhsa_exception_fp_denorm_src 0
		.amdhsa_exception_fp_ieee_div_zero 0
		.amdhsa_exception_fp_ieee_overflow 0
		.amdhsa_exception_fp_ieee_underflow 0
		.amdhsa_exception_fp_ieee_inexact 0
		.amdhsa_exception_int_div_zero 0
	.end_amdhsa_kernel
	.section	.text._ZN7rocprim17ROCPRIM_400000_NS6detail17trampoline_kernelINS0_14default_configENS1_25partition_config_selectorILNS1_17partition_subalgoE0EiNS0_10empty_typeEbEEZZNS1_14partition_implILS5_0ELb0ES3_jN6thrust23THRUST_200600_302600_NS6detail15normal_iteratorINSA_10device_ptrIiEEEEPS6_SG_NS0_5tupleIJSF_SF_EEENSH_IJSG_SG_EEES6_PlJ7is_evenIiEEEE10hipError_tPvRmT3_T4_T5_T6_T7_T9_mT8_P12ihipStream_tbDpT10_ENKUlT_T0_E_clISt17integral_constantIbLb1EES15_IbLb0EEEEDaS11_S12_EUlS11_E_NS1_11comp_targetILNS1_3genE9ELNS1_11target_archE1100ELNS1_3gpuE3ELNS1_3repE0EEENS1_30default_config_static_selectorELNS0_4arch9wavefront6targetE1EEEvT1_,"axG",@progbits,_ZN7rocprim17ROCPRIM_400000_NS6detail17trampoline_kernelINS0_14default_configENS1_25partition_config_selectorILNS1_17partition_subalgoE0EiNS0_10empty_typeEbEEZZNS1_14partition_implILS5_0ELb0ES3_jN6thrust23THRUST_200600_302600_NS6detail15normal_iteratorINSA_10device_ptrIiEEEEPS6_SG_NS0_5tupleIJSF_SF_EEENSH_IJSG_SG_EEES6_PlJ7is_evenIiEEEE10hipError_tPvRmT3_T4_T5_T6_T7_T9_mT8_P12ihipStream_tbDpT10_ENKUlT_T0_E_clISt17integral_constantIbLb1EES15_IbLb0EEEEDaS11_S12_EUlS11_E_NS1_11comp_targetILNS1_3genE9ELNS1_11target_archE1100ELNS1_3gpuE3ELNS1_3repE0EEENS1_30default_config_static_selectorELNS0_4arch9wavefront6targetE1EEEvT1_,comdat
.Lfunc_end343:
	.size	_ZN7rocprim17ROCPRIM_400000_NS6detail17trampoline_kernelINS0_14default_configENS1_25partition_config_selectorILNS1_17partition_subalgoE0EiNS0_10empty_typeEbEEZZNS1_14partition_implILS5_0ELb0ES3_jN6thrust23THRUST_200600_302600_NS6detail15normal_iteratorINSA_10device_ptrIiEEEEPS6_SG_NS0_5tupleIJSF_SF_EEENSH_IJSG_SG_EEES6_PlJ7is_evenIiEEEE10hipError_tPvRmT3_T4_T5_T6_T7_T9_mT8_P12ihipStream_tbDpT10_ENKUlT_T0_E_clISt17integral_constantIbLb1EES15_IbLb0EEEEDaS11_S12_EUlS11_E_NS1_11comp_targetILNS1_3genE9ELNS1_11target_archE1100ELNS1_3gpuE3ELNS1_3repE0EEENS1_30default_config_static_selectorELNS0_4arch9wavefront6targetE1EEEvT1_, .Lfunc_end343-_ZN7rocprim17ROCPRIM_400000_NS6detail17trampoline_kernelINS0_14default_configENS1_25partition_config_selectorILNS1_17partition_subalgoE0EiNS0_10empty_typeEbEEZZNS1_14partition_implILS5_0ELb0ES3_jN6thrust23THRUST_200600_302600_NS6detail15normal_iteratorINSA_10device_ptrIiEEEEPS6_SG_NS0_5tupleIJSF_SF_EEENSH_IJSG_SG_EEES6_PlJ7is_evenIiEEEE10hipError_tPvRmT3_T4_T5_T6_T7_T9_mT8_P12ihipStream_tbDpT10_ENKUlT_T0_E_clISt17integral_constantIbLb1EES15_IbLb0EEEEDaS11_S12_EUlS11_E_NS1_11comp_targetILNS1_3genE9ELNS1_11target_archE1100ELNS1_3gpuE3ELNS1_3repE0EEENS1_30default_config_static_selectorELNS0_4arch9wavefront6targetE1EEEvT1_
                                        ; -- End function
	.section	.AMDGPU.csdata,"",@progbits
; Kernel info:
; codeLenInByte = 0
; NumSgprs: 6
; NumVgprs: 0
; NumAgprs: 0
; TotalNumVgprs: 0
; ScratchSize: 0
; MemoryBound: 0
; FloatMode: 240
; IeeeMode: 1
; LDSByteSize: 0 bytes/workgroup (compile time only)
; SGPRBlocks: 0
; VGPRBlocks: 0
; NumSGPRsForWavesPerEU: 6
; NumVGPRsForWavesPerEU: 1
; AccumOffset: 4
; Occupancy: 8
; WaveLimiterHint : 0
; COMPUTE_PGM_RSRC2:SCRATCH_EN: 0
; COMPUTE_PGM_RSRC2:USER_SGPR: 2
; COMPUTE_PGM_RSRC2:TRAP_HANDLER: 0
; COMPUTE_PGM_RSRC2:TGID_X_EN: 1
; COMPUTE_PGM_RSRC2:TGID_Y_EN: 0
; COMPUTE_PGM_RSRC2:TGID_Z_EN: 0
; COMPUTE_PGM_RSRC2:TIDIG_COMP_CNT: 0
; COMPUTE_PGM_RSRC3_GFX90A:ACCUM_OFFSET: 0
; COMPUTE_PGM_RSRC3_GFX90A:TG_SPLIT: 0
	.section	.text._ZN7rocprim17ROCPRIM_400000_NS6detail17trampoline_kernelINS0_14default_configENS1_25partition_config_selectorILNS1_17partition_subalgoE0EiNS0_10empty_typeEbEEZZNS1_14partition_implILS5_0ELb0ES3_jN6thrust23THRUST_200600_302600_NS6detail15normal_iteratorINSA_10device_ptrIiEEEEPS6_SG_NS0_5tupleIJSF_SF_EEENSH_IJSG_SG_EEES6_PlJ7is_evenIiEEEE10hipError_tPvRmT3_T4_T5_T6_T7_T9_mT8_P12ihipStream_tbDpT10_ENKUlT_T0_E_clISt17integral_constantIbLb1EES15_IbLb0EEEEDaS11_S12_EUlS11_E_NS1_11comp_targetILNS1_3genE8ELNS1_11target_archE1030ELNS1_3gpuE2ELNS1_3repE0EEENS1_30default_config_static_selectorELNS0_4arch9wavefront6targetE1EEEvT1_,"axG",@progbits,_ZN7rocprim17ROCPRIM_400000_NS6detail17trampoline_kernelINS0_14default_configENS1_25partition_config_selectorILNS1_17partition_subalgoE0EiNS0_10empty_typeEbEEZZNS1_14partition_implILS5_0ELb0ES3_jN6thrust23THRUST_200600_302600_NS6detail15normal_iteratorINSA_10device_ptrIiEEEEPS6_SG_NS0_5tupleIJSF_SF_EEENSH_IJSG_SG_EEES6_PlJ7is_evenIiEEEE10hipError_tPvRmT3_T4_T5_T6_T7_T9_mT8_P12ihipStream_tbDpT10_ENKUlT_T0_E_clISt17integral_constantIbLb1EES15_IbLb0EEEEDaS11_S12_EUlS11_E_NS1_11comp_targetILNS1_3genE8ELNS1_11target_archE1030ELNS1_3gpuE2ELNS1_3repE0EEENS1_30default_config_static_selectorELNS0_4arch9wavefront6targetE1EEEvT1_,comdat
	.protected	_ZN7rocprim17ROCPRIM_400000_NS6detail17trampoline_kernelINS0_14default_configENS1_25partition_config_selectorILNS1_17partition_subalgoE0EiNS0_10empty_typeEbEEZZNS1_14partition_implILS5_0ELb0ES3_jN6thrust23THRUST_200600_302600_NS6detail15normal_iteratorINSA_10device_ptrIiEEEEPS6_SG_NS0_5tupleIJSF_SF_EEENSH_IJSG_SG_EEES6_PlJ7is_evenIiEEEE10hipError_tPvRmT3_T4_T5_T6_T7_T9_mT8_P12ihipStream_tbDpT10_ENKUlT_T0_E_clISt17integral_constantIbLb1EES15_IbLb0EEEEDaS11_S12_EUlS11_E_NS1_11comp_targetILNS1_3genE8ELNS1_11target_archE1030ELNS1_3gpuE2ELNS1_3repE0EEENS1_30default_config_static_selectorELNS0_4arch9wavefront6targetE1EEEvT1_ ; -- Begin function _ZN7rocprim17ROCPRIM_400000_NS6detail17trampoline_kernelINS0_14default_configENS1_25partition_config_selectorILNS1_17partition_subalgoE0EiNS0_10empty_typeEbEEZZNS1_14partition_implILS5_0ELb0ES3_jN6thrust23THRUST_200600_302600_NS6detail15normal_iteratorINSA_10device_ptrIiEEEEPS6_SG_NS0_5tupleIJSF_SF_EEENSH_IJSG_SG_EEES6_PlJ7is_evenIiEEEE10hipError_tPvRmT3_T4_T5_T6_T7_T9_mT8_P12ihipStream_tbDpT10_ENKUlT_T0_E_clISt17integral_constantIbLb1EES15_IbLb0EEEEDaS11_S12_EUlS11_E_NS1_11comp_targetILNS1_3genE8ELNS1_11target_archE1030ELNS1_3gpuE2ELNS1_3repE0EEENS1_30default_config_static_selectorELNS0_4arch9wavefront6targetE1EEEvT1_
	.globl	_ZN7rocprim17ROCPRIM_400000_NS6detail17trampoline_kernelINS0_14default_configENS1_25partition_config_selectorILNS1_17partition_subalgoE0EiNS0_10empty_typeEbEEZZNS1_14partition_implILS5_0ELb0ES3_jN6thrust23THRUST_200600_302600_NS6detail15normal_iteratorINSA_10device_ptrIiEEEEPS6_SG_NS0_5tupleIJSF_SF_EEENSH_IJSG_SG_EEES6_PlJ7is_evenIiEEEE10hipError_tPvRmT3_T4_T5_T6_T7_T9_mT8_P12ihipStream_tbDpT10_ENKUlT_T0_E_clISt17integral_constantIbLb1EES15_IbLb0EEEEDaS11_S12_EUlS11_E_NS1_11comp_targetILNS1_3genE8ELNS1_11target_archE1030ELNS1_3gpuE2ELNS1_3repE0EEENS1_30default_config_static_selectorELNS0_4arch9wavefront6targetE1EEEvT1_
	.p2align	8
	.type	_ZN7rocprim17ROCPRIM_400000_NS6detail17trampoline_kernelINS0_14default_configENS1_25partition_config_selectorILNS1_17partition_subalgoE0EiNS0_10empty_typeEbEEZZNS1_14partition_implILS5_0ELb0ES3_jN6thrust23THRUST_200600_302600_NS6detail15normal_iteratorINSA_10device_ptrIiEEEEPS6_SG_NS0_5tupleIJSF_SF_EEENSH_IJSG_SG_EEES6_PlJ7is_evenIiEEEE10hipError_tPvRmT3_T4_T5_T6_T7_T9_mT8_P12ihipStream_tbDpT10_ENKUlT_T0_E_clISt17integral_constantIbLb1EES15_IbLb0EEEEDaS11_S12_EUlS11_E_NS1_11comp_targetILNS1_3genE8ELNS1_11target_archE1030ELNS1_3gpuE2ELNS1_3repE0EEENS1_30default_config_static_selectorELNS0_4arch9wavefront6targetE1EEEvT1_,@function
_ZN7rocprim17ROCPRIM_400000_NS6detail17trampoline_kernelINS0_14default_configENS1_25partition_config_selectorILNS1_17partition_subalgoE0EiNS0_10empty_typeEbEEZZNS1_14partition_implILS5_0ELb0ES3_jN6thrust23THRUST_200600_302600_NS6detail15normal_iteratorINSA_10device_ptrIiEEEEPS6_SG_NS0_5tupleIJSF_SF_EEENSH_IJSG_SG_EEES6_PlJ7is_evenIiEEEE10hipError_tPvRmT3_T4_T5_T6_T7_T9_mT8_P12ihipStream_tbDpT10_ENKUlT_T0_E_clISt17integral_constantIbLb1EES15_IbLb0EEEEDaS11_S12_EUlS11_E_NS1_11comp_targetILNS1_3genE8ELNS1_11target_archE1030ELNS1_3gpuE2ELNS1_3repE0EEENS1_30default_config_static_selectorELNS0_4arch9wavefront6targetE1EEEvT1_: ; @_ZN7rocprim17ROCPRIM_400000_NS6detail17trampoline_kernelINS0_14default_configENS1_25partition_config_selectorILNS1_17partition_subalgoE0EiNS0_10empty_typeEbEEZZNS1_14partition_implILS5_0ELb0ES3_jN6thrust23THRUST_200600_302600_NS6detail15normal_iteratorINSA_10device_ptrIiEEEEPS6_SG_NS0_5tupleIJSF_SF_EEENSH_IJSG_SG_EEES6_PlJ7is_evenIiEEEE10hipError_tPvRmT3_T4_T5_T6_T7_T9_mT8_P12ihipStream_tbDpT10_ENKUlT_T0_E_clISt17integral_constantIbLb1EES15_IbLb0EEEEDaS11_S12_EUlS11_E_NS1_11comp_targetILNS1_3genE8ELNS1_11target_archE1030ELNS1_3gpuE2ELNS1_3repE0EEENS1_30default_config_static_selectorELNS0_4arch9wavefront6targetE1EEEvT1_
; %bb.0:
	.section	.rodata,"a",@progbits
	.p2align	6, 0x0
	.amdhsa_kernel _ZN7rocprim17ROCPRIM_400000_NS6detail17trampoline_kernelINS0_14default_configENS1_25partition_config_selectorILNS1_17partition_subalgoE0EiNS0_10empty_typeEbEEZZNS1_14partition_implILS5_0ELb0ES3_jN6thrust23THRUST_200600_302600_NS6detail15normal_iteratorINSA_10device_ptrIiEEEEPS6_SG_NS0_5tupleIJSF_SF_EEENSH_IJSG_SG_EEES6_PlJ7is_evenIiEEEE10hipError_tPvRmT3_T4_T5_T6_T7_T9_mT8_P12ihipStream_tbDpT10_ENKUlT_T0_E_clISt17integral_constantIbLb1EES15_IbLb0EEEEDaS11_S12_EUlS11_E_NS1_11comp_targetILNS1_3genE8ELNS1_11target_archE1030ELNS1_3gpuE2ELNS1_3repE0EEENS1_30default_config_static_selectorELNS0_4arch9wavefront6targetE1EEEvT1_
		.amdhsa_group_segment_fixed_size 0
		.amdhsa_private_segment_fixed_size 0
		.amdhsa_kernarg_size 120
		.amdhsa_user_sgpr_count 2
		.amdhsa_user_sgpr_dispatch_ptr 0
		.amdhsa_user_sgpr_queue_ptr 0
		.amdhsa_user_sgpr_kernarg_segment_ptr 1
		.amdhsa_user_sgpr_dispatch_id 0
		.amdhsa_user_sgpr_kernarg_preload_length 0
		.amdhsa_user_sgpr_kernarg_preload_offset 0
		.amdhsa_user_sgpr_private_segment_size 0
		.amdhsa_uses_dynamic_stack 0
		.amdhsa_enable_private_segment 0
		.amdhsa_system_sgpr_workgroup_id_x 1
		.amdhsa_system_sgpr_workgroup_id_y 0
		.amdhsa_system_sgpr_workgroup_id_z 0
		.amdhsa_system_sgpr_workgroup_info 0
		.amdhsa_system_vgpr_workitem_id 0
		.amdhsa_next_free_vgpr 1
		.amdhsa_next_free_sgpr 0
		.amdhsa_accum_offset 4
		.amdhsa_reserve_vcc 0
		.amdhsa_float_round_mode_32 0
		.amdhsa_float_round_mode_16_64 0
		.amdhsa_float_denorm_mode_32 3
		.amdhsa_float_denorm_mode_16_64 3
		.amdhsa_dx10_clamp 1
		.amdhsa_ieee_mode 1
		.amdhsa_fp16_overflow 0
		.amdhsa_tg_split 0
		.amdhsa_exception_fp_ieee_invalid_op 0
		.amdhsa_exception_fp_denorm_src 0
		.amdhsa_exception_fp_ieee_div_zero 0
		.amdhsa_exception_fp_ieee_overflow 0
		.amdhsa_exception_fp_ieee_underflow 0
		.amdhsa_exception_fp_ieee_inexact 0
		.amdhsa_exception_int_div_zero 0
	.end_amdhsa_kernel
	.section	.text._ZN7rocprim17ROCPRIM_400000_NS6detail17trampoline_kernelINS0_14default_configENS1_25partition_config_selectorILNS1_17partition_subalgoE0EiNS0_10empty_typeEbEEZZNS1_14partition_implILS5_0ELb0ES3_jN6thrust23THRUST_200600_302600_NS6detail15normal_iteratorINSA_10device_ptrIiEEEEPS6_SG_NS0_5tupleIJSF_SF_EEENSH_IJSG_SG_EEES6_PlJ7is_evenIiEEEE10hipError_tPvRmT3_T4_T5_T6_T7_T9_mT8_P12ihipStream_tbDpT10_ENKUlT_T0_E_clISt17integral_constantIbLb1EES15_IbLb0EEEEDaS11_S12_EUlS11_E_NS1_11comp_targetILNS1_3genE8ELNS1_11target_archE1030ELNS1_3gpuE2ELNS1_3repE0EEENS1_30default_config_static_selectorELNS0_4arch9wavefront6targetE1EEEvT1_,"axG",@progbits,_ZN7rocprim17ROCPRIM_400000_NS6detail17trampoline_kernelINS0_14default_configENS1_25partition_config_selectorILNS1_17partition_subalgoE0EiNS0_10empty_typeEbEEZZNS1_14partition_implILS5_0ELb0ES3_jN6thrust23THRUST_200600_302600_NS6detail15normal_iteratorINSA_10device_ptrIiEEEEPS6_SG_NS0_5tupleIJSF_SF_EEENSH_IJSG_SG_EEES6_PlJ7is_evenIiEEEE10hipError_tPvRmT3_T4_T5_T6_T7_T9_mT8_P12ihipStream_tbDpT10_ENKUlT_T0_E_clISt17integral_constantIbLb1EES15_IbLb0EEEEDaS11_S12_EUlS11_E_NS1_11comp_targetILNS1_3genE8ELNS1_11target_archE1030ELNS1_3gpuE2ELNS1_3repE0EEENS1_30default_config_static_selectorELNS0_4arch9wavefront6targetE1EEEvT1_,comdat
.Lfunc_end344:
	.size	_ZN7rocprim17ROCPRIM_400000_NS6detail17trampoline_kernelINS0_14default_configENS1_25partition_config_selectorILNS1_17partition_subalgoE0EiNS0_10empty_typeEbEEZZNS1_14partition_implILS5_0ELb0ES3_jN6thrust23THRUST_200600_302600_NS6detail15normal_iteratorINSA_10device_ptrIiEEEEPS6_SG_NS0_5tupleIJSF_SF_EEENSH_IJSG_SG_EEES6_PlJ7is_evenIiEEEE10hipError_tPvRmT3_T4_T5_T6_T7_T9_mT8_P12ihipStream_tbDpT10_ENKUlT_T0_E_clISt17integral_constantIbLb1EES15_IbLb0EEEEDaS11_S12_EUlS11_E_NS1_11comp_targetILNS1_3genE8ELNS1_11target_archE1030ELNS1_3gpuE2ELNS1_3repE0EEENS1_30default_config_static_selectorELNS0_4arch9wavefront6targetE1EEEvT1_, .Lfunc_end344-_ZN7rocprim17ROCPRIM_400000_NS6detail17trampoline_kernelINS0_14default_configENS1_25partition_config_selectorILNS1_17partition_subalgoE0EiNS0_10empty_typeEbEEZZNS1_14partition_implILS5_0ELb0ES3_jN6thrust23THRUST_200600_302600_NS6detail15normal_iteratorINSA_10device_ptrIiEEEEPS6_SG_NS0_5tupleIJSF_SF_EEENSH_IJSG_SG_EEES6_PlJ7is_evenIiEEEE10hipError_tPvRmT3_T4_T5_T6_T7_T9_mT8_P12ihipStream_tbDpT10_ENKUlT_T0_E_clISt17integral_constantIbLb1EES15_IbLb0EEEEDaS11_S12_EUlS11_E_NS1_11comp_targetILNS1_3genE8ELNS1_11target_archE1030ELNS1_3gpuE2ELNS1_3repE0EEENS1_30default_config_static_selectorELNS0_4arch9wavefront6targetE1EEEvT1_
                                        ; -- End function
	.section	.AMDGPU.csdata,"",@progbits
; Kernel info:
; codeLenInByte = 0
; NumSgprs: 6
; NumVgprs: 0
; NumAgprs: 0
; TotalNumVgprs: 0
; ScratchSize: 0
; MemoryBound: 0
; FloatMode: 240
; IeeeMode: 1
; LDSByteSize: 0 bytes/workgroup (compile time only)
; SGPRBlocks: 0
; VGPRBlocks: 0
; NumSGPRsForWavesPerEU: 6
; NumVGPRsForWavesPerEU: 1
; AccumOffset: 4
; Occupancy: 8
; WaveLimiterHint : 0
; COMPUTE_PGM_RSRC2:SCRATCH_EN: 0
; COMPUTE_PGM_RSRC2:USER_SGPR: 2
; COMPUTE_PGM_RSRC2:TRAP_HANDLER: 0
; COMPUTE_PGM_RSRC2:TGID_X_EN: 1
; COMPUTE_PGM_RSRC2:TGID_Y_EN: 0
; COMPUTE_PGM_RSRC2:TGID_Z_EN: 0
; COMPUTE_PGM_RSRC2:TIDIG_COMP_CNT: 0
; COMPUTE_PGM_RSRC3_GFX90A:ACCUM_OFFSET: 0
; COMPUTE_PGM_RSRC3_GFX90A:TG_SPLIT: 0
	.section	.text._ZN7rocprim17ROCPRIM_400000_NS6detail17trampoline_kernelINS0_14default_configENS1_25partition_config_selectorILNS1_17partition_subalgoE0EiNS0_10empty_typeEbEEZZNS1_14partition_implILS5_0ELb0ES3_jN6thrust23THRUST_200600_302600_NS6detail15normal_iteratorINSA_10device_ptrIiEEEEPS6_SG_NS0_5tupleIJSF_SF_EEENSH_IJSG_SG_EEES6_PlJ7is_evenIiEEEE10hipError_tPvRmT3_T4_T5_T6_T7_T9_mT8_P12ihipStream_tbDpT10_ENKUlT_T0_E_clISt17integral_constantIbLb0EES15_IbLb1EEEEDaS11_S12_EUlS11_E_NS1_11comp_targetILNS1_3genE0ELNS1_11target_archE4294967295ELNS1_3gpuE0ELNS1_3repE0EEENS1_30default_config_static_selectorELNS0_4arch9wavefront6targetE1EEEvT1_,"axG",@progbits,_ZN7rocprim17ROCPRIM_400000_NS6detail17trampoline_kernelINS0_14default_configENS1_25partition_config_selectorILNS1_17partition_subalgoE0EiNS0_10empty_typeEbEEZZNS1_14partition_implILS5_0ELb0ES3_jN6thrust23THRUST_200600_302600_NS6detail15normal_iteratorINSA_10device_ptrIiEEEEPS6_SG_NS0_5tupleIJSF_SF_EEENSH_IJSG_SG_EEES6_PlJ7is_evenIiEEEE10hipError_tPvRmT3_T4_T5_T6_T7_T9_mT8_P12ihipStream_tbDpT10_ENKUlT_T0_E_clISt17integral_constantIbLb0EES15_IbLb1EEEEDaS11_S12_EUlS11_E_NS1_11comp_targetILNS1_3genE0ELNS1_11target_archE4294967295ELNS1_3gpuE0ELNS1_3repE0EEENS1_30default_config_static_selectorELNS0_4arch9wavefront6targetE1EEEvT1_,comdat
	.protected	_ZN7rocprim17ROCPRIM_400000_NS6detail17trampoline_kernelINS0_14default_configENS1_25partition_config_selectorILNS1_17partition_subalgoE0EiNS0_10empty_typeEbEEZZNS1_14partition_implILS5_0ELb0ES3_jN6thrust23THRUST_200600_302600_NS6detail15normal_iteratorINSA_10device_ptrIiEEEEPS6_SG_NS0_5tupleIJSF_SF_EEENSH_IJSG_SG_EEES6_PlJ7is_evenIiEEEE10hipError_tPvRmT3_T4_T5_T6_T7_T9_mT8_P12ihipStream_tbDpT10_ENKUlT_T0_E_clISt17integral_constantIbLb0EES15_IbLb1EEEEDaS11_S12_EUlS11_E_NS1_11comp_targetILNS1_3genE0ELNS1_11target_archE4294967295ELNS1_3gpuE0ELNS1_3repE0EEENS1_30default_config_static_selectorELNS0_4arch9wavefront6targetE1EEEvT1_ ; -- Begin function _ZN7rocprim17ROCPRIM_400000_NS6detail17trampoline_kernelINS0_14default_configENS1_25partition_config_selectorILNS1_17partition_subalgoE0EiNS0_10empty_typeEbEEZZNS1_14partition_implILS5_0ELb0ES3_jN6thrust23THRUST_200600_302600_NS6detail15normal_iteratorINSA_10device_ptrIiEEEEPS6_SG_NS0_5tupleIJSF_SF_EEENSH_IJSG_SG_EEES6_PlJ7is_evenIiEEEE10hipError_tPvRmT3_T4_T5_T6_T7_T9_mT8_P12ihipStream_tbDpT10_ENKUlT_T0_E_clISt17integral_constantIbLb0EES15_IbLb1EEEEDaS11_S12_EUlS11_E_NS1_11comp_targetILNS1_3genE0ELNS1_11target_archE4294967295ELNS1_3gpuE0ELNS1_3repE0EEENS1_30default_config_static_selectorELNS0_4arch9wavefront6targetE1EEEvT1_
	.globl	_ZN7rocprim17ROCPRIM_400000_NS6detail17trampoline_kernelINS0_14default_configENS1_25partition_config_selectorILNS1_17partition_subalgoE0EiNS0_10empty_typeEbEEZZNS1_14partition_implILS5_0ELb0ES3_jN6thrust23THRUST_200600_302600_NS6detail15normal_iteratorINSA_10device_ptrIiEEEEPS6_SG_NS0_5tupleIJSF_SF_EEENSH_IJSG_SG_EEES6_PlJ7is_evenIiEEEE10hipError_tPvRmT3_T4_T5_T6_T7_T9_mT8_P12ihipStream_tbDpT10_ENKUlT_T0_E_clISt17integral_constantIbLb0EES15_IbLb1EEEEDaS11_S12_EUlS11_E_NS1_11comp_targetILNS1_3genE0ELNS1_11target_archE4294967295ELNS1_3gpuE0ELNS1_3repE0EEENS1_30default_config_static_selectorELNS0_4arch9wavefront6targetE1EEEvT1_
	.p2align	8
	.type	_ZN7rocprim17ROCPRIM_400000_NS6detail17trampoline_kernelINS0_14default_configENS1_25partition_config_selectorILNS1_17partition_subalgoE0EiNS0_10empty_typeEbEEZZNS1_14partition_implILS5_0ELb0ES3_jN6thrust23THRUST_200600_302600_NS6detail15normal_iteratorINSA_10device_ptrIiEEEEPS6_SG_NS0_5tupleIJSF_SF_EEENSH_IJSG_SG_EEES6_PlJ7is_evenIiEEEE10hipError_tPvRmT3_T4_T5_T6_T7_T9_mT8_P12ihipStream_tbDpT10_ENKUlT_T0_E_clISt17integral_constantIbLb0EES15_IbLb1EEEEDaS11_S12_EUlS11_E_NS1_11comp_targetILNS1_3genE0ELNS1_11target_archE4294967295ELNS1_3gpuE0ELNS1_3repE0EEENS1_30default_config_static_selectorELNS0_4arch9wavefront6targetE1EEEvT1_,@function
_ZN7rocprim17ROCPRIM_400000_NS6detail17trampoline_kernelINS0_14default_configENS1_25partition_config_selectorILNS1_17partition_subalgoE0EiNS0_10empty_typeEbEEZZNS1_14partition_implILS5_0ELb0ES3_jN6thrust23THRUST_200600_302600_NS6detail15normal_iteratorINSA_10device_ptrIiEEEEPS6_SG_NS0_5tupleIJSF_SF_EEENSH_IJSG_SG_EEES6_PlJ7is_evenIiEEEE10hipError_tPvRmT3_T4_T5_T6_T7_T9_mT8_P12ihipStream_tbDpT10_ENKUlT_T0_E_clISt17integral_constantIbLb0EES15_IbLb1EEEEDaS11_S12_EUlS11_E_NS1_11comp_targetILNS1_3genE0ELNS1_11target_archE4294967295ELNS1_3gpuE0ELNS1_3repE0EEENS1_30default_config_static_selectorELNS0_4arch9wavefront6targetE1EEEvT1_: ; @_ZN7rocprim17ROCPRIM_400000_NS6detail17trampoline_kernelINS0_14default_configENS1_25partition_config_selectorILNS1_17partition_subalgoE0EiNS0_10empty_typeEbEEZZNS1_14partition_implILS5_0ELb0ES3_jN6thrust23THRUST_200600_302600_NS6detail15normal_iteratorINSA_10device_ptrIiEEEEPS6_SG_NS0_5tupleIJSF_SF_EEENSH_IJSG_SG_EEES6_PlJ7is_evenIiEEEE10hipError_tPvRmT3_T4_T5_T6_T7_T9_mT8_P12ihipStream_tbDpT10_ENKUlT_T0_E_clISt17integral_constantIbLb0EES15_IbLb1EEEEDaS11_S12_EUlS11_E_NS1_11comp_targetILNS1_3genE0ELNS1_11target_archE4294967295ELNS1_3gpuE0ELNS1_3repE0EEENS1_30default_config_static_selectorELNS0_4arch9wavefront6targetE1EEEvT1_
; %bb.0:
	.section	.rodata,"a",@progbits
	.p2align	6, 0x0
	.amdhsa_kernel _ZN7rocprim17ROCPRIM_400000_NS6detail17trampoline_kernelINS0_14default_configENS1_25partition_config_selectorILNS1_17partition_subalgoE0EiNS0_10empty_typeEbEEZZNS1_14partition_implILS5_0ELb0ES3_jN6thrust23THRUST_200600_302600_NS6detail15normal_iteratorINSA_10device_ptrIiEEEEPS6_SG_NS0_5tupleIJSF_SF_EEENSH_IJSG_SG_EEES6_PlJ7is_evenIiEEEE10hipError_tPvRmT3_T4_T5_T6_T7_T9_mT8_P12ihipStream_tbDpT10_ENKUlT_T0_E_clISt17integral_constantIbLb0EES15_IbLb1EEEEDaS11_S12_EUlS11_E_NS1_11comp_targetILNS1_3genE0ELNS1_11target_archE4294967295ELNS1_3gpuE0ELNS1_3repE0EEENS1_30default_config_static_selectorELNS0_4arch9wavefront6targetE1EEEvT1_
		.amdhsa_group_segment_fixed_size 0
		.amdhsa_private_segment_fixed_size 0
		.amdhsa_kernarg_size 136
		.amdhsa_user_sgpr_count 2
		.amdhsa_user_sgpr_dispatch_ptr 0
		.amdhsa_user_sgpr_queue_ptr 0
		.amdhsa_user_sgpr_kernarg_segment_ptr 1
		.amdhsa_user_sgpr_dispatch_id 0
		.amdhsa_user_sgpr_kernarg_preload_length 0
		.amdhsa_user_sgpr_kernarg_preload_offset 0
		.amdhsa_user_sgpr_private_segment_size 0
		.amdhsa_uses_dynamic_stack 0
		.amdhsa_enable_private_segment 0
		.amdhsa_system_sgpr_workgroup_id_x 1
		.amdhsa_system_sgpr_workgroup_id_y 0
		.amdhsa_system_sgpr_workgroup_id_z 0
		.amdhsa_system_sgpr_workgroup_info 0
		.amdhsa_system_vgpr_workitem_id 0
		.amdhsa_next_free_vgpr 1
		.amdhsa_next_free_sgpr 0
		.amdhsa_accum_offset 4
		.amdhsa_reserve_vcc 0
		.amdhsa_float_round_mode_32 0
		.amdhsa_float_round_mode_16_64 0
		.amdhsa_float_denorm_mode_32 3
		.amdhsa_float_denorm_mode_16_64 3
		.amdhsa_dx10_clamp 1
		.amdhsa_ieee_mode 1
		.amdhsa_fp16_overflow 0
		.amdhsa_tg_split 0
		.amdhsa_exception_fp_ieee_invalid_op 0
		.amdhsa_exception_fp_denorm_src 0
		.amdhsa_exception_fp_ieee_div_zero 0
		.amdhsa_exception_fp_ieee_overflow 0
		.amdhsa_exception_fp_ieee_underflow 0
		.amdhsa_exception_fp_ieee_inexact 0
		.amdhsa_exception_int_div_zero 0
	.end_amdhsa_kernel
	.section	.text._ZN7rocprim17ROCPRIM_400000_NS6detail17trampoline_kernelINS0_14default_configENS1_25partition_config_selectorILNS1_17partition_subalgoE0EiNS0_10empty_typeEbEEZZNS1_14partition_implILS5_0ELb0ES3_jN6thrust23THRUST_200600_302600_NS6detail15normal_iteratorINSA_10device_ptrIiEEEEPS6_SG_NS0_5tupleIJSF_SF_EEENSH_IJSG_SG_EEES6_PlJ7is_evenIiEEEE10hipError_tPvRmT3_T4_T5_T6_T7_T9_mT8_P12ihipStream_tbDpT10_ENKUlT_T0_E_clISt17integral_constantIbLb0EES15_IbLb1EEEEDaS11_S12_EUlS11_E_NS1_11comp_targetILNS1_3genE0ELNS1_11target_archE4294967295ELNS1_3gpuE0ELNS1_3repE0EEENS1_30default_config_static_selectorELNS0_4arch9wavefront6targetE1EEEvT1_,"axG",@progbits,_ZN7rocprim17ROCPRIM_400000_NS6detail17trampoline_kernelINS0_14default_configENS1_25partition_config_selectorILNS1_17partition_subalgoE0EiNS0_10empty_typeEbEEZZNS1_14partition_implILS5_0ELb0ES3_jN6thrust23THRUST_200600_302600_NS6detail15normal_iteratorINSA_10device_ptrIiEEEEPS6_SG_NS0_5tupleIJSF_SF_EEENSH_IJSG_SG_EEES6_PlJ7is_evenIiEEEE10hipError_tPvRmT3_T4_T5_T6_T7_T9_mT8_P12ihipStream_tbDpT10_ENKUlT_T0_E_clISt17integral_constantIbLb0EES15_IbLb1EEEEDaS11_S12_EUlS11_E_NS1_11comp_targetILNS1_3genE0ELNS1_11target_archE4294967295ELNS1_3gpuE0ELNS1_3repE0EEENS1_30default_config_static_selectorELNS0_4arch9wavefront6targetE1EEEvT1_,comdat
.Lfunc_end345:
	.size	_ZN7rocprim17ROCPRIM_400000_NS6detail17trampoline_kernelINS0_14default_configENS1_25partition_config_selectorILNS1_17partition_subalgoE0EiNS0_10empty_typeEbEEZZNS1_14partition_implILS5_0ELb0ES3_jN6thrust23THRUST_200600_302600_NS6detail15normal_iteratorINSA_10device_ptrIiEEEEPS6_SG_NS0_5tupleIJSF_SF_EEENSH_IJSG_SG_EEES6_PlJ7is_evenIiEEEE10hipError_tPvRmT3_T4_T5_T6_T7_T9_mT8_P12ihipStream_tbDpT10_ENKUlT_T0_E_clISt17integral_constantIbLb0EES15_IbLb1EEEEDaS11_S12_EUlS11_E_NS1_11comp_targetILNS1_3genE0ELNS1_11target_archE4294967295ELNS1_3gpuE0ELNS1_3repE0EEENS1_30default_config_static_selectorELNS0_4arch9wavefront6targetE1EEEvT1_, .Lfunc_end345-_ZN7rocprim17ROCPRIM_400000_NS6detail17trampoline_kernelINS0_14default_configENS1_25partition_config_selectorILNS1_17partition_subalgoE0EiNS0_10empty_typeEbEEZZNS1_14partition_implILS5_0ELb0ES3_jN6thrust23THRUST_200600_302600_NS6detail15normal_iteratorINSA_10device_ptrIiEEEEPS6_SG_NS0_5tupleIJSF_SF_EEENSH_IJSG_SG_EEES6_PlJ7is_evenIiEEEE10hipError_tPvRmT3_T4_T5_T6_T7_T9_mT8_P12ihipStream_tbDpT10_ENKUlT_T0_E_clISt17integral_constantIbLb0EES15_IbLb1EEEEDaS11_S12_EUlS11_E_NS1_11comp_targetILNS1_3genE0ELNS1_11target_archE4294967295ELNS1_3gpuE0ELNS1_3repE0EEENS1_30default_config_static_selectorELNS0_4arch9wavefront6targetE1EEEvT1_
                                        ; -- End function
	.section	.AMDGPU.csdata,"",@progbits
; Kernel info:
; codeLenInByte = 0
; NumSgprs: 6
; NumVgprs: 0
; NumAgprs: 0
; TotalNumVgprs: 0
; ScratchSize: 0
; MemoryBound: 0
; FloatMode: 240
; IeeeMode: 1
; LDSByteSize: 0 bytes/workgroup (compile time only)
; SGPRBlocks: 0
; VGPRBlocks: 0
; NumSGPRsForWavesPerEU: 6
; NumVGPRsForWavesPerEU: 1
; AccumOffset: 4
; Occupancy: 8
; WaveLimiterHint : 0
; COMPUTE_PGM_RSRC2:SCRATCH_EN: 0
; COMPUTE_PGM_RSRC2:USER_SGPR: 2
; COMPUTE_PGM_RSRC2:TRAP_HANDLER: 0
; COMPUTE_PGM_RSRC2:TGID_X_EN: 1
; COMPUTE_PGM_RSRC2:TGID_Y_EN: 0
; COMPUTE_PGM_RSRC2:TGID_Z_EN: 0
; COMPUTE_PGM_RSRC2:TIDIG_COMP_CNT: 0
; COMPUTE_PGM_RSRC3_GFX90A:ACCUM_OFFSET: 0
; COMPUTE_PGM_RSRC3_GFX90A:TG_SPLIT: 0
	.section	.text._ZN7rocprim17ROCPRIM_400000_NS6detail17trampoline_kernelINS0_14default_configENS1_25partition_config_selectorILNS1_17partition_subalgoE0EiNS0_10empty_typeEbEEZZNS1_14partition_implILS5_0ELb0ES3_jN6thrust23THRUST_200600_302600_NS6detail15normal_iteratorINSA_10device_ptrIiEEEEPS6_SG_NS0_5tupleIJSF_SF_EEENSH_IJSG_SG_EEES6_PlJ7is_evenIiEEEE10hipError_tPvRmT3_T4_T5_T6_T7_T9_mT8_P12ihipStream_tbDpT10_ENKUlT_T0_E_clISt17integral_constantIbLb0EES15_IbLb1EEEEDaS11_S12_EUlS11_E_NS1_11comp_targetILNS1_3genE5ELNS1_11target_archE942ELNS1_3gpuE9ELNS1_3repE0EEENS1_30default_config_static_selectorELNS0_4arch9wavefront6targetE1EEEvT1_,"axG",@progbits,_ZN7rocprim17ROCPRIM_400000_NS6detail17trampoline_kernelINS0_14default_configENS1_25partition_config_selectorILNS1_17partition_subalgoE0EiNS0_10empty_typeEbEEZZNS1_14partition_implILS5_0ELb0ES3_jN6thrust23THRUST_200600_302600_NS6detail15normal_iteratorINSA_10device_ptrIiEEEEPS6_SG_NS0_5tupleIJSF_SF_EEENSH_IJSG_SG_EEES6_PlJ7is_evenIiEEEE10hipError_tPvRmT3_T4_T5_T6_T7_T9_mT8_P12ihipStream_tbDpT10_ENKUlT_T0_E_clISt17integral_constantIbLb0EES15_IbLb1EEEEDaS11_S12_EUlS11_E_NS1_11comp_targetILNS1_3genE5ELNS1_11target_archE942ELNS1_3gpuE9ELNS1_3repE0EEENS1_30default_config_static_selectorELNS0_4arch9wavefront6targetE1EEEvT1_,comdat
	.protected	_ZN7rocprim17ROCPRIM_400000_NS6detail17trampoline_kernelINS0_14default_configENS1_25partition_config_selectorILNS1_17partition_subalgoE0EiNS0_10empty_typeEbEEZZNS1_14partition_implILS5_0ELb0ES3_jN6thrust23THRUST_200600_302600_NS6detail15normal_iteratorINSA_10device_ptrIiEEEEPS6_SG_NS0_5tupleIJSF_SF_EEENSH_IJSG_SG_EEES6_PlJ7is_evenIiEEEE10hipError_tPvRmT3_T4_T5_T6_T7_T9_mT8_P12ihipStream_tbDpT10_ENKUlT_T0_E_clISt17integral_constantIbLb0EES15_IbLb1EEEEDaS11_S12_EUlS11_E_NS1_11comp_targetILNS1_3genE5ELNS1_11target_archE942ELNS1_3gpuE9ELNS1_3repE0EEENS1_30default_config_static_selectorELNS0_4arch9wavefront6targetE1EEEvT1_ ; -- Begin function _ZN7rocprim17ROCPRIM_400000_NS6detail17trampoline_kernelINS0_14default_configENS1_25partition_config_selectorILNS1_17partition_subalgoE0EiNS0_10empty_typeEbEEZZNS1_14partition_implILS5_0ELb0ES3_jN6thrust23THRUST_200600_302600_NS6detail15normal_iteratorINSA_10device_ptrIiEEEEPS6_SG_NS0_5tupleIJSF_SF_EEENSH_IJSG_SG_EEES6_PlJ7is_evenIiEEEE10hipError_tPvRmT3_T4_T5_T6_T7_T9_mT8_P12ihipStream_tbDpT10_ENKUlT_T0_E_clISt17integral_constantIbLb0EES15_IbLb1EEEEDaS11_S12_EUlS11_E_NS1_11comp_targetILNS1_3genE5ELNS1_11target_archE942ELNS1_3gpuE9ELNS1_3repE0EEENS1_30default_config_static_selectorELNS0_4arch9wavefront6targetE1EEEvT1_
	.globl	_ZN7rocprim17ROCPRIM_400000_NS6detail17trampoline_kernelINS0_14default_configENS1_25partition_config_selectorILNS1_17partition_subalgoE0EiNS0_10empty_typeEbEEZZNS1_14partition_implILS5_0ELb0ES3_jN6thrust23THRUST_200600_302600_NS6detail15normal_iteratorINSA_10device_ptrIiEEEEPS6_SG_NS0_5tupleIJSF_SF_EEENSH_IJSG_SG_EEES6_PlJ7is_evenIiEEEE10hipError_tPvRmT3_T4_T5_T6_T7_T9_mT8_P12ihipStream_tbDpT10_ENKUlT_T0_E_clISt17integral_constantIbLb0EES15_IbLb1EEEEDaS11_S12_EUlS11_E_NS1_11comp_targetILNS1_3genE5ELNS1_11target_archE942ELNS1_3gpuE9ELNS1_3repE0EEENS1_30default_config_static_selectorELNS0_4arch9wavefront6targetE1EEEvT1_
	.p2align	8
	.type	_ZN7rocprim17ROCPRIM_400000_NS6detail17trampoline_kernelINS0_14default_configENS1_25partition_config_selectorILNS1_17partition_subalgoE0EiNS0_10empty_typeEbEEZZNS1_14partition_implILS5_0ELb0ES3_jN6thrust23THRUST_200600_302600_NS6detail15normal_iteratorINSA_10device_ptrIiEEEEPS6_SG_NS0_5tupleIJSF_SF_EEENSH_IJSG_SG_EEES6_PlJ7is_evenIiEEEE10hipError_tPvRmT3_T4_T5_T6_T7_T9_mT8_P12ihipStream_tbDpT10_ENKUlT_T0_E_clISt17integral_constantIbLb0EES15_IbLb1EEEEDaS11_S12_EUlS11_E_NS1_11comp_targetILNS1_3genE5ELNS1_11target_archE942ELNS1_3gpuE9ELNS1_3repE0EEENS1_30default_config_static_selectorELNS0_4arch9wavefront6targetE1EEEvT1_,@function
_ZN7rocprim17ROCPRIM_400000_NS6detail17trampoline_kernelINS0_14default_configENS1_25partition_config_selectorILNS1_17partition_subalgoE0EiNS0_10empty_typeEbEEZZNS1_14partition_implILS5_0ELb0ES3_jN6thrust23THRUST_200600_302600_NS6detail15normal_iteratorINSA_10device_ptrIiEEEEPS6_SG_NS0_5tupleIJSF_SF_EEENSH_IJSG_SG_EEES6_PlJ7is_evenIiEEEE10hipError_tPvRmT3_T4_T5_T6_T7_T9_mT8_P12ihipStream_tbDpT10_ENKUlT_T0_E_clISt17integral_constantIbLb0EES15_IbLb1EEEEDaS11_S12_EUlS11_E_NS1_11comp_targetILNS1_3genE5ELNS1_11target_archE942ELNS1_3gpuE9ELNS1_3repE0EEENS1_30default_config_static_selectorELNS0_4arch9wavefront6targetE1EEEvT1_: ; @_ZN7rocprim17ROCPRIM_400000_NS6detail17trampoline_kernelINS0_14default_configENS1_25partition_config_selectorILNS1_17partition_subalgoE0EiNS0_10empty_typeEbEEZZNS1_14partition_implILS5_0ELb0ES3_jN6thrust23THRUST_200600_302600_NS6detail15normal_iteratorINSA_10device_ptrIiEEEEPS6_SG_NS0_5tupleIJSF_SF_EEENSH_IJSG_SG_EEES6_PlJ7is_evenIiEEEE10hipError_tPvRmT3_T4_T5_T6_T7_T9_mT8_P12ihipStream_tbDpT10_ENKUlT_T0_E_clISt17integral_constantIbLb0EES15_IbLb1EEEEDaS11_S12_EUlS11_E_NS1_11comp_targetILNS1_3genE5ELNS1_11target_archE942ELNS1_3gpuE9ELNS1_3repE0EEENS1_30default_config_static_selectorELNS0_4arch9wavefront6targetE1EEEvT1_
; %bb.0:
	s_load_dwordx2 s[2:3], s[0:1], 0x58
	s_load_dwordx4 s[24:27], s[0:1], 0x48
	s_load_dwordx2 s[34:35], s[0:1], 0x68
	v_cmp_eq_u32_e64 s[20:21], 0, v0
	s_and_saveexec_b64 s[4:5], s[20:21]
	s_cbranch_execz .LBB346_4
; %bb.1:
	s_mov_b64 s[8:9], exec
	v_mbcnt_lo_u32_b32 v1, s8, 0
	v_mbcnt_hi_u32_b32 v1, s9, v1
	v_cmp_eq_u32_e32 vcc, 0, v1
                                        ; implicit-def: $vgpr2
	s_and_saveexec_b64 s[6:7], vcc
	s_cbranch_execz .LBB346_3
; %bb.2:
	s_load_dwordx2 s[10:11], s[0:1], 0x78
	s_bcnt1_i32_b64 s8, s[8:9]
	v_mov_b32_e32 v2, 0
	v_mov_b32_e32 v3, s8
	s_waitcnt lgkmcnt(0)
	global_atomic_add v2, v2, v3, s[10:11] sc0
.LBB346_3:
	s_or_b64 exec, exec, s[6:7]
	s_waitcnt vmcnt(0)
	v_readfirstlane_b32 s6, v2
	v_mov_b32_e32 v2, 0
	s_nop 0
	v_add_u32_e32 v1, s6, v1
	ds_write_b32 v2, v1
.LBB346_4:
	s_or_b64 exec, exec, s[4:5]
	v_mov_b32_e32 v19, 0
	s_load_dwordx4 s[36:39], s[0:1], 0x8
	s_load_dwordx4 s[28:31], s[0:1], 0x28
	s_load_dword s4, s[0:1], 0x70
	s_waitcnt lgkmcnt(0)
	s_barrier
	ds_read_b32 v1, v19
	s_waitcnt lgkmcnt(0)
	s_barrier
	global_load_dwordx2 v[20:21], v19, s[26:27]
	v_mov_b32_e32 v3, s3
	s_lshl_b64 s[0:1], s[38:39], 2
	s_movk_i32 s3, 0x1e00
	s_add_u32 s0, s36, s0
	v_mul_lo_u32 v18, v1, s3
	s_mul_i32 s3, s4, 0x1e00
	s_addc_u32 s1, s37, s1
	s_add_i32 s5, s4, -1
	s_add_i32 s4, s3, s38
	s_sub_i32 s33, s2, s4
	s_addk_i32 s33, 0x1e00
	v_mov_b32_e32 v2, s2
	s_add_u32 s2, s38, s3
	v_readfirstlane_b32 s40, v1
	s_addc_u32 s3, s39, 0
	s_cmp_eq_u32 s40, s5
	s_cselect_b64 s[22:23], -1, 0
	s_cmp_lg_u32 s40, s5
	v_cmp_lt_u64_e32 vcc, s[2:3], v[2:3]
	s_cselect_b64 s[2:3], -1, 0
	s_or_b64 s[4:5], vcc, s[2:3]
	v_lshlrev_b64 v[22:23], 2, v[18:19]
	v_lshl_add_u64 v[24:25], s[0:1], 0, v[22:23]
	s_mov_b64 s[0:1], -1
	s_and_b64 vcc, exec, s[4:5]
	v_lshlrev_b32_e32 v18, 2, v0
	s_cbranch_vccz .LBB346_6
; %bb.5:
	v_lshl_add_u64 v[2:3], v[24:25], 0, v[18:19]
	v_add_co_u32_e32 v4, vcc, 0x1000, v2
	s_mov_b64 s[0:1], 0
	s_nop 0
	v_addc_co_u32_e32 v5, vcc, 0, v3, vcc
	v_add_co_u32_e32 v6, vcc, 0x2000, v2
	s_nop 1
	v_addc_co_u32_e32 v7, vcc, 0, v3, vcc
	v_add_co_u32_e32 v8, vcc, 0x3000, v2
	s_nop 1
	v_addc_co_u32_e32 v9, vcc, 0, v3, vcc
	flat_load_dword v1, v[2:3]
	flat_load_dword v10, v[2:3] offset:2048
	flat_load_dword v11, v[4:5]
	flat_load_dword v12, v[4:5] offset:2048
	;; [unrolled: 2-line block ×4, first 2 shown]
	v_add_co_u32_e32 v4, vcc, 0x4000, v2
	s_nop 1
	v_addc_co_u32_e32 v5, vcc, 0, v3, vcc
	v_add_co_u32_e32 v6, vcc, 0x5000, v2
	s_nop 1
	v_addc_co_u32_e32 v7, vcc, 0, v3, vcc
	;; [unrolled: 3-line block ×4, first 2 shown]
	flat_load_dword v17, v[4:5]
	flat_load_dword v19, v[4:5] offset:2048
	flat_load_dword v26, v[6:7]
	flat_load_dword v27, v[6:7] offset:2048
	;; [unrolled: 2-line block ×3, first 2 shown]
	flat_load_dword v30, v[2:3]
	s_waitcnt vmcnt(0) lgkmcnt(0)
	ds_write2st64_b32 v18, v1, v10 offset1:8
	ds_write2st64_b32 v18, v11, v12 offset0:16 offset1:24
	ds_write2st64_b32 v18, v13, v14 offset0:32 offset1:40
	;; [unrolled: 1-line block ×6, first 2 shown]
	ds_write_b32 v18, v30 offset:28672
	s_waitcnt lgkmcnt(0)
	s_barrier
.LBB346_6:
	s_andn2_b64 vcc, exec, s[0:1]
	v_cmp_gt_u32_e64 s[0:1], s33, v0
	s_cbranch_vccnz .LBB346_38
; %bb.7:
                                        ; implicit-def: $vgpr2_vgpr3_vgpr4_vgpr5_vgpr6_vgpr7_vgpr8_vgpr9_vgpr10_vgpr11_vgpr12_vgpr13_vgpr14_vgpr15_vgpr16_vgpr17
	s_and_saveexec_b64 s[2:3], s[0:1]
	s_cbranch_execz .LBB346_9
; %bb.8:
	v_mov_b32_e32 v19, 0
	v_lshl_add_u64 v[2:3], v[24:25], 0, v[18:19]
	flat_load_dword v2, v[2:3]
.LBB346_9:
	s_or_b64 exec, exec, s[2:3]
	v_or_b32_e32 v1, 0x200, v0
	v_cmp_gt_u32_e32 vcc, s33, v1
	s_and_saveexec_b64 s[0:1], vcc
	s_cbranch_execz .LBB346_11
; %bb.10:
	v_mov_b32_e32 v19, 0
	v_lshl_add_u64 v[26:27], v[24:25], 0, v[18:19]
	flat_load_dword v3, v[26:27] offset:2048
.LBB346_11:
	s_or_b64 exec, exec, s[0:1]
	v_or_b32_e32 v1, 0x400, v0
	v_cmp_gt_u32_e32 vcc, s33, v1
	s_and_saveexec_b64 s[0:1], vcc
	s_cbranch_execz .LBB346_13
; %bb.12:
	v_lshlrev_b32_e32 v26, 2, v1
	v_mov_b32_e32 v27, 0
	v_lshl_add_u64 v[26:27], v[24:25], 0, v[26:27]
	flat_load_dword v4, v[26:27]
.LBB346_13:
	s_or_b64 exec, exec, s[0:1]
	v_or_b32_e32 v1, 0x600, v0
	v_cmp_gt_u32_e32 vcc, s33, v1
	s_and_saveexec_b64 s[0:1], vcc
	s_cbranch_execz .LBB346_15
; %bb.14:
	v_lshlrev_b32_e32 v26, 2, v1
	v_mov_b32_e32 v27, 0
	v_lshl_add_u64 v[26:27], v[24:25], 0, v[26:27]
	flat_load_dword v5, v[26:27]
.LBB346_15:
	;; [unrolled: 11-line block ×13, first 2 shown]
	s_or_b64 exec, exec, s[0:1]
	s_waitcnt vmcnt(0) lgkmcnt(0)
	ds_write2st64_b32 v18, v2, v3 offset1:8
	ds_write2st64_b32 v18, v4, v5 offset0:16 offset1:24
	ds_write2st64_b32 v18, v6, v7 offset0:32 offset1:40
	;; [unrolled: 1-line block ×6, first 2 shown]
	ds_write_b32 v18, v16 offset:28672
	s_waitcnt lgkmcnt(0)
	s_barrier
.LBB346_38:
	v_mul_u32_u24_e32 v42, 15, v0
	v_lshlrev_b32_e32 v1, 2, v42
	ds_read2_b32 v[36:37], v1 offset1:1
	ds_read2_b32 v[34:35], v1 offset0:2 offset1:3
	ds_read2_b32 v[32:33], v1 offset0:4 offset1:5
	;; [unrolled: 1-line block ×6, first 2 shown]
	ds_read_b32 v1, v1 offset:56
	v_cndmask_b32_e64 v2, 0, 1, s[4:5]
	v_cmp_ne_u32_e64 s[2:3], 1, v2
	s_andn2_b64 vcc, exec, s[4:5]
	s_waitcnt lgkmcnt(7)
	v_xor_b32_e32 v16, -1, v36
	v_xor_b32_e32 v15, -1, v37
	s_waitcnt lgkmcnt(6)
	v_xor_b32_e32 v14, -1, v34
	v_xor_b32_e32 v13, -1, v35
	;; [unrolled: 3-line block ×7, first 2 shown]
	s_waitcnt lgkmcnt(0)
	v_xor_b32_e32 v2, -1, v1
	s_barrier
	s_cbranch_vccnz .LBB346_40
; %bb.39:
	v_and_b32_e32 v55, 1, v16
	v_and_b32_e32 v54, 1, v15
	;; [unrolled: 1-line block ×15, first 2 shown]
	s_cbranch_execz .LBB346_41
	s_branch .LBB346_42
.LBB346_40:
                                        ; implicit-def: $vgpr19
                                        ; implicit-def: $vgpr41
                                        ; implicit-def: $vgpr43
                                        ; implicit-def: $vgpr44
                                        ; implicit-def: $vgpr45
                                        ; implicit-def: $vgpr46
                                        ; implicit-def: $vgpr47
                                        ; implicit-def: $vgpr48
                                        ; implicit-def: $vgpr49
                                        ; implicit-def: $vgpr55
                                        ; implicit-def: $vgpr54
                                        ; implicit-def: $vgpr53
                                        ; implicit-def: $vgpr52
                                        ; implicit-def: $vgpr51
                                        ; implicit-def: $vgpr50
.LBB346_41:
	v_add_u32_e32 v48, 1, v42
	v_cmp_gt_u32_e32 vcc, s33, v42
	v_add_u32_e32 v17, 2, v42
	v_add_u32_e32 v47, 3, v42
	v_cndmask_b32_e64 v49, 0, 1, vcc
	v_cmp_gt_u32_e32 vcc, s33, v48
	v_and_b32_e32 v55, v49, v16
	v_add_u32_e32 v19, 4, v42
	v_cndmask_b32_e64 v16, 0, 1, vcc
	v_cmp_gt_u32_e32 vcc, s33, v17
	v_and_b32_e32 v54, v16, v15
	;; [unrolled: 4-line block ×12, first 2 shown]
	s_nop 0
	v_cndmask_b32_e64 v5, 0, 1, vcc
	v_cmp_gt_u32_e32 vcc, s33, v57
	v_and_b32_e32 v43, v5, v4
	s_nop 0
	v_cndmask_b32_e64 v4, 0, 1, vcc
	v_cmp_gt_u32_e32 vcc, s33, v56
	v_and_b32_e32 v41, v4, v3
	s_nop 0
	v_cndmask_b32_e64 v3, 0, 1, vcc
	v_and_b32_e32 v19, v3, v2
.LBB346_42:
	v_and_b32_e32 v59, 0xff, v52
	v_and_b32_e32 v60, 0xff, v51
	;; [unrolled: 1-line block ×5, first 2 shown]
	v_add3_u32 v3, v60, v61, v59
	v_and_b32_e32 v56, 0xff, v55
	v_and_b32_e32 v62, 0xff, v49
	v_add3_u32 v3, v3, v58, v57
	v_and_b32_e32 v63, 0xff, v48
	v_and_b32_e32 v64, 0xff, v47
	;; [unrolled: 3-line block ×5, first 2 shown]
	v_add3_u32 v3, v3, v67, v68
	v_add3_u32 v72, v3, v69, v2
	v_mbcnt_lo_u32_b32 v2, -1, 0
	v_mbcnt_hi_u32_b32 v70, -1, v2
	v_and_b32_e32 v2, 15, v70
	v_cmp_eq_u32_e64 s[16:17], 0, v2
	v_cmp_lt_u32_e64 s[14:15], 1, v2
	v_cmp_lt_u32_e64 s[12:13], 3, v2
	v_cmp_lt_u32_e64 s[10:11], 7, v2
	v_and_b32_e32 v2, 16, v70
	v_cmp_eq_u32_e64 s[8:9], 0, v2
	v_or_b32_e32 v2, 63, v0
	s_cmp_lg_u32 s40, 0
	v_cmp_lt_u32_e64 s[4:5], 31, v70
	v_lshrrev_b32_e32 v71, 6, v0
	v_cmp_eq_u32_e64 s[6:7], v2, v0
	s_cbranch_scc0 .LBB346_69
; %bb.43:
	v_mov_b32_dpp v2, v72 row_shr:1 row_mask:0xf bank_mask:0xf
	v_cndmask_b32_e64 v2, v2, 0, s[16:17]
	v_add_u32_e32 v2, v2, v72
	s_nop 1
	v_mov_b32_dpp v3, v2 row_shr:2 row_mask:0xf bank_mask:0xf
	v_cndmask_b32_e64 v3, 0, v3, s[14:15]
	v_add_u32_e32 v2, v2, v3
	s_nop 1
	;; [unrolled: 4-line block ×4, first 2 shown]
	v_mov_b32_dpp v3, v2 row_bcast:15 row_mask:0xf bank_mask:0xf
	v_cndmask_b32_e64 v3, v3, 0, s[8:9]
	v_add_u32_e32 v2, v2, v3
	s_nop 1
	v_mov_b32_dpp v3, v2 row_bcast:31 row_mask:0xf bank_mask:0xf
	v_cndmask_b32_e64 v3, 0, v3, s[4:5]
	v_add_u32_e32 v2, v2, v3
	s_and_saveexec_b64 s[0:1], s[6:7]
	s_cbranch_execz .LBB346_45
; %bb.44:
	v_lshlrev_b32_e32 v3, 2, v71
	ds_write_b32 v3, v2
.LBB346_45:
	s_or_b64 exec, exec, s[0:1]
	v_cmp_gt_u32_e32 vcc, 8, v0
	s_waitcnt lgkmcnt(0)
	s_barrier
	s_and_saveexec_b64 s[0:1], vcc
	s_cbranch_execz .LBB346_47
; %bb.46:
	ds_read_b32 v3, v18
	v_and_b32_e32 v4, 7, v70
	v_cmp_ne_u32_e32 vcc, 0, v4
	s_waitcnt lgkmcnt(0)
	v_mov_b32_dpp v5, v3 row_shr:1 row_mask:0xf bank_mask:0xf
	v_cndmask_b32_e32 v5, 0, v5, vcc
	v_add_u32_e32 v3, v5, v3
	v_cmp_lt_u32_e32 vcc, 1, v4
	s_nop 0
	v_mov_b32_dpp v5, v3 row_shr:2 row_mask:0xf bank_mask:0xf
	v_cndmask_b32_e32 v5, 0, v5, vcc
	v_add_u32_e32 v3, v3, v5
	v_cmp_lt_u32_e32 vcc, 3, v4
	s_nop 0
	v_mov_b32_dpp v5, v3 row_shr:4 row_mask:0xf bank_mask:0xf
	v_cndmask_b32_e32 v4, 0, v5, vcc
	v_add_u32_e32 v3, v3, v4
	ds_write_b32 v18, v3
.LBB346_47:
	s_or_b64 exec, exec, s[0:1]
	v_cmp_gt_u32_e32 vcc, 64, v0
	v_cmp_lt_u32_e64 s[0:1], 63, v0
	s_waitcnt lgkmcnt(0)
	s_barrier
	s_waitcnt lgkmcnt(0)
                                        ; implicit-def: $vgpr12
	s_and_saveexec_b64 s[18:19], s[0:1]
	s_cbranch_execz .LBB346_49
; %bb.48:
	v_lshl_add_u32 v3, v71, 2, -4
	ds_read_b32 v12, v3
	s_waitcnt lgkmcnt(0)
	v_add_u32_e32 v2, v12, v2
.LBB346_49:
	s_or_b64 exec, exec, s[18:19]
	v_add_u32_e32 v3, -1, v70
	v_and_b32_e32 v4, 64, v70
	v_cmp_lt_i32_e64 s[0:1], v3, v4
	v_cmp_eq_u32_e64 s[18:19], 0, v70
	s_nop 0
	v_cndmask_b32_e64 v3, v3, v70, s[0:1]
	v_lshlrev_b32_e32 v3, 2, v3
	ds_bpermute_b32 v13, v3, v2
	s_and_saveexec_b64 s[0:1], vcc
	s_cbranch_execz .LBB346_68
; %bb.50:
	v_mov_b32_e32 v9, 0
	ds_read_b32 v2, v9 offset:28
	s_and_saveexec_b64 s[26:27], s[18:19]
	s_cbranch_execz .LBB346_52
; %bb.51:
	s_add_i32 s36, s40, 64
	s_mov_b32 s37, 0
	s_lshl_b64 s[36:37], s[36:37], 3
	s_add_u32 s36, s34, s36
	v_mov_b32_e32 v3, 1
	s_addc_u32 s37, s35, s37
	s_waitcnt lgkmcnt(0)
	global_store_dwordx2 v9, v[2:3], s[36:37] sc1
.LBB346_52:
	s_or_b64 exec, exec, s[26:27]
	v_xad_u32 v4, v70, -1, s40
	v_add_u32_e32 v8, 64, v4
	v_lshl_add_u64 v[10:11], v[8:9], 3, s[34:35]
	global_load_dwordx2 v[6:7], v[10:11], off sc1
	s_waitcnt vmcnt(0)
	v_cmp_eq_u16_sdwa s[36:37], v7, v9 src0_sel:BYTE_0 src1_sel:DWORD
	s_and_saveexec_b64 s[26:27], s[36:37]
	s_cbranch_execz .LBB346_56
; %bb.53:
	s_mov_b64 s[36:37], 0
	v_mov_b32_e32 v3, 0
.LBB346_54:                             ; =>This Inner Loop Header: Depth=1
	global_load_dwordx2 v[6:7], v[10:11], off sc1
	s_waitcnt vmcnt(0)
	v_cmp_ne_u16_sdwa s[42:43], v7, v3 src0_sel:BYTE_0 src1_sel:DWORD
	s_or_b64 s[36:37], s[42:43], s[36:37]
	s_andn2_b64 exec, exec, s[36:37]
	s_cbranch_execnz .LBB346_54
; %bb.55:
	s_or_b64 exec, exec, s[36:37]
.LBB346_56:
	s_or_b64 exec, exec, s[26:27]
	v_and_b32_e32 v15, 63, v70
	v_mov_b32_e32 v14, 2
	v_cmp_ne_u32_e32 vcc, 63, v15
	v_cmp_eq_u16_sdwa s[26:27], v7, v14 src0_sel:BYTE_0 src1_sel:DWORD
	v_lshlrev_b64 v[8:9], v70, -1
	v_addc_co_u32_e32 v10, vcc, 0, v70, vcc
	v_and_b32_e32 v3, s27, v9
	v_lshlrev_b32_e32 v16, 2, v10
	v_or_b32_e32 v3, 0x80000000, v3
	ds_bpermute_b32 v10, v16, v6
	v_and_b32_e32 v5, s26, v8
	v_ffbl_b32_e32 v3, v3
	v_add_u32_e32 v3, 32, v3
	v_ffbl_b32_e32 v5, v5
	v_min_u32_e32 v3, v5, v3
	v_cmp_lt_u32_e32 vcc, v15, v3
	v_add_u32_e32 v38, 2, v15
	v_add_u32_e32 v40, 4, v15
	s_waitcnt lgkmcnt(0)
	v_cndmask_b32_e32 v5, 0, v10, vcc
	v_cmp_gt_u32_e32 vcc, 62, v15
	v_add_u32_e32 v5, v5, v6
	v_add_u32_e32 v74, 8, v15
	v_cndmask_b32_e64 v6, 0, 1, vcc
	v_lshlrev_b32_e32 v6, 1, v6
	v_add_lshl_u32 v17, v6, v70, 2
	ds_bpermute_b32 v6, v17, v5
	v_cmp_le_u32_e32 vcc, v38, v3
	v_add_u32_e32 v76, 16, v15
	v_add_u32_e32 v78, 32, v15
	s_waitcnt lgkmcnt(0)
	v_cndmask_b32_e32 v6, 0, v6, vcc
	v_cmp_gt_u32_e32 vcc, 60, v15
	v_add_u32_e32 v5, v5, v6
	s_nop 0
	v_cndmask_b32_e64 v6, 0, 1, vcc
	v_lshlrev_b32_e32 v6, 2, v6
	v_add_lshl_u32 v39, v6, v70, 2
	ds_bpermute_b32 v6, v39, v5
	v_cmp_le_u32_e32 vcc, v40, v3
	s_waitcnt lgkmcnt(0)
	s_nop 0
	v_cndmask_b32_e32 v6, 0, v6, vcc
	v_cmp_gt_u32_e32 vcc, 56, v15
	v_add_u32_e32 v5, v5, v6
	s_nop 0
	v_cndmask_b32_e64 v6, 0, 1, vcc
	v_lshlrev_b32_e32 v6, 3, v6
	v_add_lshl_u32 v73, v6, v70, 2
	ds_bpermute_b32 v6, v73, v5
	v_cmp_le_u32_e32 vcc, v74, v3
	s_waitcnt lgkmcnt(0)
	s_nop 0
	v_cndmask_b32_e32 v6, 0, v6, vcc
	v_cmp_gt_u32_e32 vcc, 48, v15
	v_add_u32_e32 v5, v5, v6
	s_nop 0
	v_cndmask_b32_e64 v6, 0, 1, vcc
	v_lshlrev_b32_e32 v6, 4, v6
	v_add_lshl_u32 v75, v6, v70, 2
	ds_bpermute_b32 v6, v75, v5
	v_cmp_le_u32_e32 vcc, v76, v3
	s_waitcnt lgkmcnt(0)
	s_nop 0
	v_cndmask_b32_e32 v6, 0, v6, vcc
	v_cmp_gt_u32_e32 vcc, 32, v15
	v_add_u32_e32 v5, v5, v6
	s_nop 0
	v_cndmask_b32_e64 v6, 0, 1, vcc
	v_lshlrev_b32_e32 v6, 5, v6
	v_add_lshl_u32 v77, v6, v70, 2
	ds_bpermute_b32 v6, v77, v5
	v_cmp_le_u32_e32 vcc, v78, v3
	s_waitcnt lgkmcnt(0)
	s_nop 0
	v_cndmask_b32_e32 v3, 0, v6, vcc
	v_add_u32_e32 v6, v5, v3
	v_mov_b32_e32 v5, 0
	s_branch .LBB346_58
.LBB346_57:                             ;   in Loop: Header=BB346_58 Depth=1
	s_or_b64 exec, exec, s[26:27]
	v_cmp_eq_u16_sdwa s[26:27], v7, v14 src0_sel:BYTE_0 src1_sel:DWORD
	ds_bpermute_b32 v79, v16, v6
	v_subrev_u32_e32 v4, 64, v4
	v_and_b32_e32 v10, s27, v9
	v_or_b32_e32 v10, 0x80000000, v10
	v_and_b32_e32 v11, s26, v8
	v_ffbl_b32_e32 v10, v10
	v_add_u32_e32 v10, 32, v10
	v_ffbl_b32_e32 v11, v11
	v_min_u32_e32 v10, v11, v10
	v_cmp_lt_u32_e32 vcc, v15, v10
	s_waitcnt lgkmcnt(0)
	s_nop 0
	v_cndmask_b32_e32 v11, 0, v79, vcc
	v_add_u32_e32 v6, v11, v6
	ds_bpermute_b32 v11, v17, v6
	v_cmp_le_u32_e32 vcc, v38, v10
	s_waitcnt lgkmcnt(0)
	s_nop 0
	v_cndmask_b32_e32 v11, 0, v11, vcc
	v_add_u32_e32 v6, v6, v11
	ds_bpermute_b32 v11, v39, v6
	v_cmp_le_u32_e32 vcc, v40, v10
	;; [unrolled: 6-line block ×5, first 2 shown]
	s_waitcnt lgkmcnt(0)
	s_nop 0
	v_cndmask_b32_e32 v10, 0, v11, vcc
	v_add3_u32 v6, v10, v3, v6
.LBB346_58:                             ; =>This Loop Header: Depth=1
                                        ;     Child Loop BB346_61 Depth 2
	v_cmp_ne_u16_sdwa s[26:27], v7, v14 src0_sel:BYTE_0 src1_sel:DWORD
	s_nop 1
	v_cndmask_b32_e64 v3, 0, 1, s[26:27]
	;;#ASMSTART
	;;#ASMEND
	s_nop 0
	v_cmp_ne_u32_e32 vcc, 0, v3
	s_cmp_lg_u64 vcc, exec
	v_mov_b32_e32 v3, v6
	s_cbranch_scc1 .LBB346_63
; %bb.59:                               ;   in Loop: Header=BB346_58 Depth=1
	v_lshl_add_u64 v[10:11], v[4:5], 3, s[34:35]
	global_load_dwordx2 v[6:7], v[10:11], off sc1
	s_waitcnt vmcnt(0)
	v_cmp_eq_u16_sdwa s[36:37], v7, v5 src0_sel:BYTE_0 src1_sel:DWORD
	s_and_saveexec_b64 s[26:27], s[36:37]
	s_cbranch_execz .LBB346_57
; %bb.60:                               ;   in Loop: Header=BB346_58 Depth=1
	s_mov_b64 s[36:37], 0
.LBB346_61:                             ;   Parent Loop BB346_58 Depth=1
                                        ; =>  This Inner Loop Header: Depth=2
	global_load_dwordx2 v[6:7], v[10:11], off sc1
	s_waitcnt vmcnt(0)
	v_cmp_ne_u16_sdwa s[42:43], v7, v5 src0_sel:BYTE_0 src1_sel:DWORD
	s_or_b64 s[36:37], s[42:43], s[36:37]
	s_andn2_b64 exec, exec, s[36:37]
	s_cbranch_execnz .LBB346_61
; %bb.62:                               ;   in Loop: Header=BB346_58 Depth=1
	s_or_b64 exec, exec, s[36:37]
	s_branch .LBB346_57
.LBB346_63:                             ;   in Loop: Header=BB346_58 Depth=1
                                        ; implicit-def: $vgpr6
                                        ; implicit-def: $vgpr7
	s_cbranch_execz .LBB346_58
; %bb.64:
	s_and_saveexec_b64 s[26:27], s[18:19]
	s_cbranch_execz .LBB346_66
; %bb.65:
	s_add_i32 s36, s40, 64
	s_mov_b32 s37, 0
	s_lshl_b64 s[36:37], s[36:37], 3
	s_add_u32 s36, s34, s36
	v_add_u32_e32 v4, v3, v2
	v_mov_b32_e32 v5, 2
	s_addc_u32 s37, s35, s37
	v_mov_b32_e32 v6, 0
	global_store_dwordx2 v6, v[4:5], s[36:37] sc1
	ds_write_b64 v6, v[2:3] offset:30720
.LBB346_66:
	s_or_b64 exec, exec, s[26:27]
	s_and_b64 exec, exec, s[20:21]
	s_cbranch_execz .LBB346_68
; %bb.67:
	v_mov_b32_e32 v2, 0
	ds_write_b32 v2, v3 offset:28
.LBB346_68:
	s_or_b64 exec, exec, s[0:1]
	v_mov_b32_e32 v14, 0
	s_waitcnt lgkmcnt(0)
	s_barrier
	ds_read_b32 v2, v14 offset:28
	v_cndmask_b32_e64 v3, v13, v12, s[18:19]
	v_cndmask_b32_e64 v3, v3, 0, s[20:21]
	s_waitcnt lgkmcnt(0)
	s_barrier
	v_add_u32_e32 v2, v2, v3
	v_add_u32_e32 v3, v2, v56
	;; [unrolled: 1-line block ×10, first 2 shown]
	ds_read_b64 v[38:39], v14 offset:30720
	v_add_u32_e32 v12, v11, v65
	v_add_u32_e32 v13, v12, v66
	;; [unrolled: 1-line block ×5, first 2 shown]
	s_waitcnt lgkmcnt(0)
	v_mov_b32_e32 v40, v39
	s_branch .LBB346_79
.LBB346_69:
                                        ; implicit-def: $vgpr40
                                        ; implicit-def: $vgpr38
                                        ; implicit-def: $vgpr2_vgpr3_vgpr4_vgpr5_vgpr6_vgpr7_vgpr8_vgpr9_vgpr10_vgpr11_vgpr12_vgpr13_vgpr14_vgpr15_vgpr16_vgpr17
	s_cbranch_execz .LBB346_79
; %bb.70:
	s_nop 0
	v_mov_b32_dpp v2, v72 row_shr:1 row_mask:0xf bank_mask:0xf
	v_cndmask_b32_e64 v2, v2, 0, s[16:17]
	v_add_u32_e32 v2, v2, v72
	s_nop 1
	v_mov_b32_dpp v3, v2 row_shr:2 row_mask:0xf bank_mask:0xf
	v_cndmask_b32_e64 v3, 0, v3, s[14:15]
	v_add_u32_e32 v2, v2, v3
	;; [unrolled: 4-line block ×4, first 2 shown]
	s_nop 1
	v_mov_b32_dpp v3, v2 row_bcast:15 row_mask:0xf bank_mask:0xf
	v_cndmask_b32_e64 v3, v3, 0, s[8:9]
	v_add_u32_e32 v2, v2, v3
	s_nop 1
	v_mov_b32_dpp v3, v2 row_bcast:31 row_mask:0xf bank_mask:0xf
	v_cndmask_b32_e64 v3, 0, v3, s[4:5]
	v_add_u32_e32 v2, v2, v3
	s_and_saveexec_b64 s[0:1], s[6:7]
	s_cbranch_execz .LBB346_72
; %bb.71:
	v_lshlrev_b32_e32 v3, 2, v71
	ds_write_b32 v3, v2
.LBB346_72:
	s_or_b64 exec, exec, s[0:1]
	v_cmp_gt_u32_e32 vcc, 8, v0
	s_waitcnt lgkmcnt(0)
	s_barrier
	s_and_saveexec_b64 s[0:1], vcc
	s_cbranch_execz .LBB346_74
; %bb.73:
	ds_read_b32 v3, v18
	v_and_b32_e32 v4, 7, v70
	v_cmp_ne_u32_e32 vcc, 0, v4
	s_waitcnt lgkmcnt(0)
	v_mov_b32_dpp v5, v3 row_shr:1 row_mask:0xf bank_mask:0xf
	v_cndmask_b32_e32 v5, 0, v5, vcc
	v_add_u32_e32 v3, v5, v3
	v_cmp_lt_u32_e32 vcc, 1, v4
	s_nop 0
	v_mov_b32_dpp v5, v3 row_shr:2 row_mask:0xf bank_mask:0xf
	v_cndmask_b32_e32 v5, 0, v5, vcc
	v_add_u32_e32 v3, v3, v5
	v_cmp_lt_u32_e32 vcc, 3, v4
	s_nop 0
	v_mov_b32_dpp v5, v3 row_shr:4 row_mask:0xf bank_mask:0xf
	v_cndmask_b32_e32 v4, 0, v5, vcc
	v_add_u32_e32 v3, v3, v4
	ds_write_b32 v18, v3
.LBB346_74:
	s_or_b64 exec, exec, s[0:1]
	v_cmp_lt_u32_e32 vcc, 63, v0
	v_mov_b32_e32 v4, 0
	v_mov_b32_e32 v3, 0
	s_waitcnt lgkmcnt(0)
	s_barrier
	s_and_saveexec_b64 s[0:1], vcc
	s_cbranch_execz .LBB346_76
; %bb.75:
	v_lshl_add_u32 v3, v71, 2, -4
	ds_read_b32 v3, v3
.LBB346_76:
	s_or_b64 exec, exec, s[0:1]
	v_add_u32_e32 v5, -1, v70
	v_and_b32_e32 v6, 64, v70
	v_cmp_lt_i32_e32 vcc, v5, v6
	s_waitcnt lgkmcnt(0)
	v_add_u32_e32 v2, v3, v2
	ds_read_b32 v38, v4 offset:28
	v_cndmask_b32_e32 v5, v5, v70, vcc
	v_lshlrev_b32_e32 v5, 2, v5
	ds_bpermute_b32 v2, v5, v2
	s_and_saveexec_b64 s[0:1], s[20:21]
	s_cbranch_execz .LBB346_78
; %bb.77:
	v_mov_b32_e32 v4, 0
	v_mov_b32_e32 v39, 2
	s_waitcnt lgkmcnt(1)
	global_store_dwordx2 v4, v[38:39], s[34:35] offset:512 sc1
.LBB346_78:
	s_or_b64 exec, exec, s[0:1]
	v_cmp_eq_u32_e32 vcc, 0, v70
	v_mov_b32_e32 v40, 0
	s_waitcnt lgkmcnt(0)
	v_cndmask_b32_e32 v2, v2, v3, vcc
	v_cndmask_b32_e64 v2, v2, 0, s[20:21]
	v_add_u32_e32 v3, v2, v56
	v_add_u32_e32 v4, v3, v57
	;; [unrolled: 1-line block ×14, first 2 shown]
	s_barrier
.LBB346_79:
	v_add_u32_e32 v17, v38, v42
	v_sub_u32_e32 v2, v2, v40
	v_and_b32_e32 v42, 1, v55
	v_sub_u32_e32 v39, v17, v2
	v_cmp_eq_u32_e32 vcc, 1, v42
	v_or_b32_e32 v42, 0x800, v0
	s_nop 0
	v_cndmask_b32_e32 v2, v39, v2, vcc
	v_lshlrev_b32_e32 v2, 2, v2
	ds_write_b32 v2, v36
	v_sub_u32_e32 v2, v3, v40
	v_sub_u32_e32 v3, v17, v2
	v_and_b32_e32 v36, 1, v54
	v_add_u32_e32 v3, 1, v3
	v_cmp_eq_u32_e32 vcc, 1, v36
	v_or_b32_e32 v36, 0xc00, v0
	s_nop 0
	v_cndmask_b32_e32 v2, v3, v2, vcc
	v_lshlrev_b32_e32 v2, 2, v2
	ds_write_b32 v2, v37
	v_sub_u32_e32 v2, v4, v40
	v_sub_u32_e32 v3, v17, v2
	v_and_b32_e32 v4, 1, v53
	v_add_u32_e32 v3, 2, v3
	v_cmp_eq_u32_e32 vcc, 1, v4
	v_and_b32_e32 v4, 1, v52
	v_or_b32_e32 v37, 0xa00, v0
	v_cndmask_b32_e32 v2, v3, v2, vcc
	v_lshlrev_b32_e32 v2, 2, v2
	ds_write_b32 v2, v34
	v_sub_u32_e32 v2, v5, v40
	v_sub_u32_e32 v3, v17, v2
	v_add_u32_e32 v3, 3, v3
	v_cmp_eq_u32_e32 vcc, 1, v4
	v_and_b32_e32 v4, 1, v51
	v_or_b32_e32 v34, 0x1000, v0
	v_cndmask_b32_e32 v2, v3, v2, vcc
	v_lshlrev_b32_e32 v2, 2, v2
	ds_write_b32 v2, v35
	v_sub_u32_e32 v2, v6, v40
	v_sub_u32_e32 v3, v17, v2
	;; [unrolled: 9-line block ×3, first 2 shown]
	v_add_u32_e32 v3, 5, v3
	v_cmp_eq_u32_e32 vcc, 1, v4
	v_and_b32_e32 v4, 1, v49
	v_mov_b32_e32 v7, s39
	v_cndmask_b32_e32 v2, v3, v2, vcc
	v_lshlrev_b32_e32 v2, 2, v2
	ds_write_b32 v2, v33
	v_sub_u32_e32 v2, v8, v40
	v_sub_u32_e32 v3, v17, v2
	v_add_u32_e32 v3, 6, v3
	v_cmp_eq_u32_e32 vcc, 1, v4
	v_and_b32_e32 v4, 1, v48
	v_or_b32_e32 v33, 0x1200, v0
	v_cndmask_b32_e32 v2, v3, v2, vcc
	v_lshlrev_b32_e32 v2, 2, v2
	ds_write_b32 v2, v30
	v_sub_u32_e32 v2, v9, v40
	v_sub_u32_e32 v3, v17, v2
	v_add_u32_e32 v3, 7, v3
	v_cmp_eq_u32_e32 vcc, 1, v4
	v_and_b32_e32 v4, 1, v47
	v_or_b32_e32 v32, 0x1400, v0
	;; [unrolled: 9-line block ×6, first 2 shown]
	v_cndmask_b32_e32 v2, v3, v2, vcc
	v_lshlrev_b32_e32 v2, 2, v2
	ds_write_b32 v2, v27
	v_sub_u32_e32 v2, v14, v40
	v_sub_u32_e32 v3, v17, v2
	v_add_u32_e32 v3, 12, v3
	v_cmp_eq_u32_e32 vcc, 1, v4
	v_and_b32_e32 v4, 1, v41
	v_mov_b32_e32 v41, 0
	v_cndmask_b32_e32 v2, v3, v2, vcc
	v_lshlrev_b32_e32 v2, 2, v2
	ds_write_b32 v2, v24
	v_sub_u32_e32 v2, v15, v40
	v_sub_u32_e32 v3, v17, v2
	v_add_u32_e32 v3, 13, v3
	v_cmp_eq_u32_e32 vcc, 1, v4
	v_and_b32_e32 v4, 1, v19
	s_waitcnt vmcnt(0)
	v_lshl_add_u64 v[8:9], v[20:21], 0, v[40:41]
	v_cndmask_b32_e32 v2, v3, v2, vcc
	v_lshlrev_b32_e32 v2, 2, v2
	ds_write_b32 v2, v25
	v_sub_u32_e32 v2, v16, v40
	v_sub_u32_e32 v3, v17, v2
	v_add_u32_e32 v3, 14, v3
	v_cmp_eq_u32_e32 vcc, 1, v4
	v_mov_b32_e32 v39, v41
	v_or_b32_e32 v30, 0x1800, v0
	v_cndmask_b32_e32 v2, v3, v2, vcc
	v_lshlrev_b32_e32 v2, 2, v2
	ds_write_b32 v2, v1
	v_lshl_add_u64 v[2:3], v[8:9], 0, v[38:39]
	s_waitcnt lgkmcnt(0)
	s_barrier
	ds_read2st64_b32 v[26:27], v18 offset1:8
	ds_read2st64_b32 v[24:25], v18 offset0:16 offset1:24
	ds_read2st64_b32 v[16:17], v18 offset0:32 offset1:40
	;; [unrolled: 1-line block ×6, first 2 shown]
	ds_read_b32 v1, v18 offset:28672
	v_sub_co_u32_e32 v6, vcc, s38, v2
	v_lshlrev_b64 v[8:9], 2, v[8:9]
	s_nop 0
	v_subb_co_u32_e32 v7, vcc, v7, v3, vcc
	v_lshlrev_b64 v[6:7], 2, v[6:7]
	v_lshl_add_u64 v[6:7], s[30:31], 0, v[6:7]
	v_or_b32_e32 v29, 0x1a00, v0
	v_or_b32_e32 v28, 0x1c00, v0
	v_lshl_add_u64 v[6:7], v[6:7], 0, v[22:23]
	s_and_b64 vcc, exec, s[2:3]
	v_lshl_add_u64 v[8:9], s[28:29], 0, v[8:9]
	s_cbranch_vccnz .LBB346_81
; %bb.80:
	v_cmp_gt_u32_e32 vcc, v38, v0
	v_mov_b32_e32 v19, v41
	v_lshlrev_b32_e32 v40, 2, v44
	v_cndmask_b32_e32 v21, v7, v9, vcc
	v_cndmask_b32_e32 v20, v6, v8, vcc
	v_lshl_add_u64 v[20:21], v[20:21], 0, v[18:19]
	v_cmp_lt_u32_e32 vcc, v45, v38
	s_waitcnt lgkmcnt(7)
	global_store_dword v[20:21], v26, off
	v_cndmask_b32_e32 v21, v7, v9, vcc
	v_cndmask_b32_e32 v20, v6, v8, vcc
	v_lshl_add_u64 v[20:21], v[20:21], 0, v[18:19]
	v_cmp_lt_u32_e32 vcc, v44, v38
	global_store_dword v[20:21], v27, off offset:2048
	s_mov_b64 s[0:1], -1
	v_cndmask_b32_e32 v21, v7, v9, vcc
	v_cndmask_b32_e32 v20, v6, v8, vcc
	v_lshl_add_u64 v[20:21], v[20:21], 0, v[40:41]
	v_cmp_lt_u32_e32 vcc, v43, v38
	s_waitcnt lgkmcnt(6)
	global_store_dword v[20:21], v24, off
	v_lshlrev_b32_e32 v40, 2, v43
	v_cndmask_b32_e32 v21, v7, v9, vcc
	v_cndmask_b32_e32 v20, v6, v8, vcc
	v_lshl_add_u64 v[20:21], v[20:21], 0, v[40:41]
	v_cmp_lt_u32_e32 vcc, v42, v38
	global_store_dword v[20:21], v25, off
	v_lshlrev_b32_e32 v40, 2, v42
	v_cndmask_b32_e32 v21, v7, v9, vcc
	v_cndmask_b32_e32 v20, v6, v8, vcc
	v_lshl_add_u64 v[20:21], v[20:21], 0, v[40:41]
	v_cmp_lt_u32_e32 vcc, v37, v38
	s_waitcnt lgkmcnt(5)
	global_store_dword v[20:21], v16, off
	v_lshlrev_b32_e32 v40, 2, v37
	v_cndmask_b32_e32 v21, v7, v9, vcc
	v_cndmask_b32_e32 v20, v6, v8, vcc
	v_lshl_add_u64 v[20:21], v[20:21], 0, v[40:41]
	v_cmp_lt_u32_e32 vcc, v36, v38
	global_store_dword v[20:21], v17, off
	v_lshlrev_b32_e32 v40, 2, v36
	v_cndmask_b32_e32 v21, v7, v9, vcc
	v_cndmask_b32_e32 v20, v6, v8, vcc
	v_lshl_add_u64 v[20:21], v[20:21], 0, v[40:41]
	v_cmp_lt_u32_e32 vcc, v35, v38
	s_waitcnt lgkmcnt(4)
	global_store_dword v[20:21], v14, off
	v_lshlrev_b32_e32 v40, 2, v35
	v_cndmask_b32_e32 v21, v7, v9, vcc
	v_cndmask_b32_e32 v20, v6, v8, vcc
	v_lshl_add_u64 v[20:21], v[20:21], 0, v[40:41]
	v_cmp_lt_u32_e32 vcc, v34, v38
	global_store_dword v[20:21], v15, off
	v_lshlrev_b32_e32 v40, 2, v34
	v_cndmask_b32_e32 v21, v7, v9, vcc
	v_cndmask_b32_e32 v20, v6, v8, vcc
	v_lshl_add_u64 v[20:21], v[20:21], 0, v[40:41]
	v_cmp_lt_u32_e32 vcc, v33, v38
	s_waitcnt lgkmcnt(3)
	global_store_dword v[20:21], v12, off
	v_lshlrev_b32_e32 v40, 2, v33
	v_cndmask_b32_e32 v21, v7, v9, vcc
	v_cndmask_b32_e32 v20, v6, v8, vcc
	v_lshl_add_u64 v[20:21], v[20:21], 0, v[40:41]
	v_cmp_lt_u32_e32 vcc, v32, v38
	global_store_dword v[20:21], v13, off
	v_lshlrev_b32_e32 v40, 2, v32
	v_cndmask_b32_e32 v21, v7, v9, vcc
	v_cndmask_b32_e32 v20, v6, v8, vcc
	v_lshl_add_u64 v[20:21], v[20:21], 0, v[40:41]
	v_cmp_lt_u32_e32 vcc, v31, v38
	s_waitcnt lgkmcnt(2)
	global_store_dword v[20:21], v10, off
	v_lshlrev_b32_e32 v40, 2, v31
	v_cndmask_b32_e32 v21, v7, v9, vcc
	v_cndmask_b32_e32 v20, v6, v8, vcc
	v_lshl_add_u64 v[20:21], v[20:21], 0, v[40:41]
	v_cmp_lt_u32_e32 vcc, v30, v38
	global_store_dword v[20:21], v11, off
	v_lshlrev_b32_e32 v40, 2, v30
	v_cndmask_b32_e32 v21, v7, v9, vcc
	v_cndmask_b32_e32 v20, v6, v8, vcc
	v_lshl_add_u64 v[20:21], v[20:21], 0, v[40:41]
	v_cmp_lt_u32_e32 vcc, v29, v38
	s_waitcnt lgkmcnt(1)
	global_store_dword v[20:21], v4, off
	v_lshlrev_b32_e32 v40, 2, v29
	v_cndmask_b32_e32 v21, v7, v9, vcc
	v_cndmask_b32_e32 v20, v6, v8, vcc
	v_lshl_add_u64 v[20:21], v[20:21], 0, v[40:41]
	global_store_dword v[20:21], v5, off
	s_cbranch_execz .LBB346_82
	s_branch .LBB346_98
.LBB346_81:
	s_mov_b64 s[0:1], 0
.LBB346_82:
	v_cmp_gt_u32_e32 vcc, s33, v0
	s_and_saveexec_b64 s[0:1], vcc
	s_cbranch_execnz .LBB346_103
; %bb.83:
	s_or_b64 exec, exec, s[0:1]
	v_cmp_gt_u32_e32 vcc, s33, v45
	s_and_saveexec_b64 s[0:1], vcc
	s_cbranch_execnz .LBB346_104
.LBB346_84:
	s_or_b64 exec, exec, s[0:1]
	v_cmp_gt_u32_e32 vcc, s33, v44
	s_and_saveexec_b64 s[0:1], vcc
	s_cbranch_execnz .LBB346_105
.LBB346_85:
	s_or_b64 exec, exec, s[0:1]
	v_cmp_gt_u32_e32 vcc, s33, v43
	s_and_saveexec_b64 s[0:1], vcc
	s_cbranch_execnz .LBB346_106
.LBB346_86:
	s_or_b64 exec, exec, s[0:1]
	v_cmp_gt_u32_e32 vcc, s33, v42
	s_and_saveexec_b64 s[0:1], vcc
	s_cbranch_execnz .LBB346_107
.LBB346_87:
	s_or_b64 exec, exec, s[0:1]
	v_cmp_gt_u32_e32 vcc, s33, v37
	s_and_saveexec_b64 s[0:1], vcc
	s_cbranch_execnz .LBB346_108
.LBB346_88:
	s_or_b64 exec, exec, s[0:1]
	v_cmp_gt_u32_e32 vcc, s33, v36
	s_and_saveexec_b64 s[0:1], vcc
	s_cbranch_execnz .LBB346_109
.LBB346_89:
	s_or_b64 exec, exec, s[0:1]
	v_cmp_gt_u32_e32 vcc, s33, v35
	s_and_saveexec_b64 s[0:1], vcc
	s_cbranch_execnz .LBB346_110
.LBB346_90:
	s_or_b64 exec, exec, s[0:1]
	v_cmp_gt_u32_e32 vcc, s33, v34
	s_and_saveexec_b64 s[0:1], vcc
	s_cbranch_execnz .LBB346_111
.LBB346_91:
	s_or_b64 exec, exec, s[0:1]
	v_cmp_gt_u32_e32 vcc, s33, v33
	s_and_saveexec_b64 s[0:1], vcc
	s_cbranch_execnz .LBB346_112
.LBB346_92:
	s_or_b64 exec, exec, s[0:1]
	v_cmp_gt_u32_e32 vcc, s33, v32
	s_and_saveexec_b64 s[0:1], vcc
	s_cbranch_execnz .LBB346_113
.LBB346_93:
	s_or_b64 exec, exec, s[0:1]
	v_cmp_gt_u32_e32 vcc, s33, v31
	s_and_saveexec_b64 s[0:1], vcc
	s_cbranch_execnz .LBB346_114
.LBB346_94:
	s_or_b64 exec, exec, s[0:1]
	v_cmp_gt_u32_e32 vcc, s33, v30
	s_and_saveexec_b64 s[0:1], vcc
	s_cbranch_execnz .LBB346_115
.LBB346_95:
	s_or_b64 exec, exec, s[0:1]
	v_cmp_gt_u32_e32 vcc, s33, v29
	s_and_saveexec_b64 s[0:1], vcc
	s_cbranch_execz .LBB346_97
.LBB346_96:
	v_cmp_lt_u32_e32 vcc, v29, v38
	s_waitcnt lgkmcnt(3)
	v_lshlrev_b32_e32 v12, 2, v29
	v_mov_b32_e32 v13, 0
	s_waitcnt lgkmcnt(2)
	v_cndmask_b32_e32 v11, v7, v9, vcc
	v_cndmask_b32_e32 v10, v6, v8, vcc
	v_lshl_add_u64 v[10:11], v[10:11], 0, v[12:13]
	s_waitcnt lgkmcnt(1)
	global_store_dword v[10:11], v5, off
.LBB346_97:
	s_or_b64 exec, exec, s[0:1]
	v_cmp_gt_u32_e64 s[0:1], s33, v28
.LBB346_98:
	s_and_saveexec_b64 s[2:3], s[0:1]
	s_cbranch_execnz .LBB346_101
; %bb.99:
	s_or_b64 exec, exec, s[2:3]
	s_and_b64 s[0:1], s[20:21], s[22:23]
	s_and_saveexec_b64 s[2:3], s[0:1]
	s_cbranch_execnz .LBB346_102
.LBB346_100:
	s_endpgm
.LBB346_101:
	v_cmp_lt_u32_e32 vcc, v28, v38
	s_waitcnt lgkmcnt(1)
	s_nop 0
	v_cndmask_b32_e32 v5, v7, v9, vcc
	v_cndmask_b32_e32 v4, v6, v8, vcc
	v_lshlrev_b32_e32 v6, 2, v28
	v_mov_b32_e32 v7, 0
	v_lshl_add_u64 v[4:5], v[4:5], 0, v[6:7]
	s_waitcnt lgkmcnt(0)
	global_store_dword v[4:5], v1, off
	s_or_b64 exec, exec, s[2:3]
	s_and_b64 s[0:1], s[20:21], s[22:23]
	s_and_saveexec_b64 s[2:3], s[0:1]
	s_cbranch_execz .LBB346_100
.LBB346_102:
	v_mov_b32_e32 v0, 0
	global_store_dwordx2 v0, v[2:3], s[24:25]
	s_endpgm
.LBB346_103:
	v_cmp_gt_u32_e32 vcc, v38, v0
	v_mov_b32_e32 v19, 0
	s_nop 0
	v_cndmask_b32_e32 v21, v7, v9, vcc
	v_cndmask_b32_e32 v20, v6, v8, vcc
	v_lshl_add_u64 v[20:21], v[20:21], 0, v[18:19]
	s_waitcnt lgkmcnt(7)
	global_store_dword v[20:21], v26, off
	s_or_b64 exec, exec, s[0:1]
	v_cmp_gt_u32_e32 vcc, s33, v45
	s_and_saveexec_b64 s[0:1], vcc
	s_cbranch_execz .LBB346_84
.LBB346_104:
	v_cmp_lt_u32_e32 vcc, v45, v38
	v_mov_b32_e32 v19, 0
	s_nop 0
	v_cndmask_b32_e32 v21, v7, v9, vcc
	v_cndmask_b32_e32 v20, v6, v8, vcc
	v_lshl_add_u64 v[18:19], v[20:21], 0, v[18:19]
	s_waitcnt lgkmcnt(7)
	global_store_dword v[18:19], v27, off offset:2048
	s_or_b64 exec, exec, s[0:1]
	v_cmp_gt_u32_e32 vcc, s33, v44
	s_and_saveexec_b64 s[0:1], vcc
	s_cbranch_execz .LBB346_85
.LBB346_105:
	v_cmp_lt_u32_e32 vcc, v44, v38
	v_lshlrev_b32_e32 v20, 2, v44
	v_mov_b32_e32 v21, 0
	v_cndmask_b32_e32 v19, v7, v9, vcc
	v_cndmask_b32_e32 v18, v6, v8, vcc
	v_lshl_add_u64 v[18:19], v[18:19], 0, v[20:21]
	s_waitcnt lgkmcnt(6)
	global_store_dword v[18:19], v24, off
	s_or_b64 exec, exec, s[0:1]
	v_cmp_gt_u32_e32 vcc, s33, v43
	s_and_saveexec_b64 s[0:1], vcc
	s_cbranch_execz .LBB346_86
.LBB346_106:
	v_cmp_lt_u32_e32 vcc, v43, v38
	v_lshlrev_b32_e32 v20, 2, v43
	v_mov_b32_e32 v21, 0
	v_cndmask_b32_e32 v19, v7, v9, vcc
	v_cndmask_b32_e32 v18, v6, v8, vcc
	v_lshl_add_u64 v[18:19], v[18:19], 0, v[20:21]
	s_waitcnt lgkmcnt(6)
	global_store_dword v[18:19], v25, off
	s_or_b64 exec, exec, s[0:1]
	v_cmp_gt_u32_e32 vcc, s33, v42
	s_and_saveexec_b64 s[0:1], vcc
	s_cbranch_execz .LBB346_87
.LBB346_107:
	v_cmp_lt_u32_e32 vcc, v42, v38
	v_lshlrev_b32_e32 v20, 2, v42
	v_mov_b32_e32 v21, 0
	v_cndmask_b32_e32 v19, v7, v9, vcc
	v_cndmask_b32_e32 v18, v6, v8, vcc
	v_lshl_add_u64 v[18:19], v[18:19], 0, v[20:21]
	s_waitcnt lgkmcnt(5)
	global_store_dword v[18:19], v16, off
	s_or_b64 exec, exec, s[0:1]
	v_cmp_gt_u32_e32 vcc, s33, v37
	s_and_saveexec_b64 s[0:1], vcc
	s_cbranch_execz .LBB346_88
.LBB346_108:
	v_cmp_lt_u32_e32 vcc, v37, v38
	v_lshlrev_b32_e32 v20, 2, v37
	v_mov_b32_e32 v21, 0
	v_cndmask_b32_e32 v19, v7, v9, vcc
	v_cndmask_b32_e32 v18, v6, v8, vcc
	v_lshl_add_u64 v[18:19], v[18:19], 0, v[20:21]
	s_waitcnt lgkmcnt(5)
	global_store_dword v[18:19], v17, off
	s_or_b64 exec, exec, s[0:1]
	v_cmp_gt_u32_e32 vcc, s33, v36
	s_and_saveexec_b64 s[0:1], vcc
	s_cbranch_execz .LBB346_89
.LBB346_109:
	v_cmp_lt_u32_e32 vcc, v36, v38
	v_lshlrev_b32_e32 v18, 2, v36
	v_mov_b32_e32 v19, 0
	s_waitcnt lgkmcnt(5)
	v_cndmask_b32_e32 v17, v7, v9, vcc
	v_cndmask_b32_e32 v16, v6, v8, vcc
	v_lshl_add_u64 v[16:17], v[16:17], 0, v[18:19]
	s_waitcnt lgkmcnt(4)
	global_store_dword v[16:17], v14, off
	s_or_b64 exec, exec, s[0:1]
	v_cmp_gt_u32_e32 vcc, s33, v35
	s_and_saveexec_b64 s[0:1], vcc
	s_cbranch_execz .LBB346_90
.LBB346_110:
	v_cmp_lt_u32_e32 vcc, v35, v38
	v_lshlrev_b32_e32 v18, 2, v35
	v_mov_b32_e32 v19, 0
	s_waitcnt lgkmcnt(5)
	v_cndmask_b32_e32 v17, v7, v9, vcc
	v_cndmask_b32_e32 v16, v6, v8, vcc
	v_lshl_add_u64 v[16:17], v[16:17], 0, v[18:19]
	s_waitcnt lgkmcnt(4)
	global_store_dword v[16:17], v15, off
	s_or_b64 exec, exec, s[0:1]
	v_cmp_gt_u32_e32 vcc, s33, v34
	s_and_saveexec_b64 s[0:1], vcc
	s_cbranch_execz .LBB346_91
.LBB346_111:
	v_cmp_lt_u32_e32 vcc, v34, v38
	s_waitcnt lgkmcnt(5)
	v_lshlrev_b32_e32 v16, 2, v34
	v_mov_b32_e32 v17, 0
	s_waitcnt lgkmcnt(4)
	v_cndmask_b32_e32 v15, v7, v9, vcc
	v_cndmask_b32_e32 v14, v6, v8, vcc
	v_lshl_add_u64 v[14:15], v[14:15], 0, v[16:17]
	s_waitcnt lgkmcnt(3)
	global_store_dword v[14:15], v12, off
	s_or_b64 exec, exec, s[0:1]
	v_cmp_gt_u32_e32 vcc, s33, v33
	s_and_saveexec_b64 s[0:1], vcc
	s_cbranch_execz .LBB346_92
.LBB346_112:
	v_cmp_lt_u32_e32 vcc, v33, v38
	s_waitcnt lgkmcnt(5)
	v_lshlrev_b32_e32 v16, 2, v33
	v_mov_b32_e32 v17, 0
	s_waitcnt lgkmcnt(4)
	v_cndmask_b32_e32 v15, v7, v9, vcc
	v_cndmask_b32_e32 v14, v6, v8, vcc
	v_lshl_add_u64 v[14:15], v[14:15], 0, v[16:17]
	s_waitcnt lgkmcnt(3)
	global_store_dword v[14:15], v13, off
	s_or_b64 exec, exec, s[0:1]
	v_cmp_gt_u32_e32 vcc, s33, v32
	s_and_saveexec_b64 s[0:1], vcc
	s_cbranch_execz .LBB346_93
.LBB346_113:
	v_cmp_lt_u32_e32 vcc, v32, v38
	s_waitcnt lgkmcnt(4)
	v_lshlrev_b32_e32 v14, 2, v32
	v_mov_b32_e32 v15, 0
	s_waitcnt lgkmcnt(3)
	v_cndmask_b32_e32 v13, v7, v9, vcc
	v_cndmask_b32_e32 v12, v6, v8, vcc
	v_lshl_add_u64 v[12:13], v[12:13], 0, v[14:15]
	s_waitcnt lgkmcnt(2)
	global_store_dword v[12:13], v10, off
	s_or_b64 exec, exec, s[0:1]
	v_cmp_gt_u32_e32 vcc, s33, v31
	s_and_saveexec_b64 s[0:1], vcc
	s_cbranch_execz .LBB346_94
.LBB346_114:
	v_cmp_lt_u32_e32 vcc, v31, v38
	s_waitcnt lgkmcnt(4)
	v_lshlrev_b32_e32 v14, 2, v31
	v_mov_b32_e32 v15, 0
	s_waitcnt lgkmcnt(3)
	v_cndmask_b32_e32 v13, v7, v9, vcc
	v_cndmask_b32_e32 v12, v6, v8, vcc
	v_lshl_add_u64 v[12:13], v[12:13], 0, v[14:15]
	s_waitcnt lgkmcnt(2)
	global_store_dword v[12:13], v11, off
	s_or_b64 exec, exec, s[0:1]
	v_cmp_gt_u32_e32 vcc, s33, v30
	s_and_saveexec_b64 s[0:1], vcc
	s_cbranch_execz .LBB346_95
.LBB346_115:
	v_cmp_lt_u32_e32 vcc, v30, v38
	s_waitcnt lgkmcnt(3)
	v_lshlrev_b32_e32 v12, 2, v30
	v_mov_b32_e32 v13, 0
	s_waitcnt lgkmcnt(2)
	v_cndmask_b32_e32 v11, v7, v9, vcc
	v_cndmask_b32_e32 v10, v6, v8, vcc
	v_lshl_add_u64 v[10:11], v[10:11], 0, v[12:13]
	s_waitcnt lgkmcnt(1)
	global_store_dword v[10:11], v4, off
	s_or_b64 exec, exec, s[0:1]
	v_cmp_gt_u32_e32 vcc, s33, v29
	s_and_saveexec_b64 s[0:1], vcc
	s_cbranch_execnz .LBB346_96
	s_branch .LBB346_97
	.section	.rodata,"a",@progbits
	.p2align	6, 0x0
	.amdhsa_kernel _ZN7rocprim17ROCPRIM_400000_NS6detail17trampoline_kernelINS0_14default_configENS1_25partition_config_selectorILNS1_17partition_subalgoE0EiNS0_10empty_typeEbEEZZNS1_14partition_implILS5_0ELb0ES3_jN6thrust23THRUST_200600_302600_NS6detail15normal_iteratorINSA_10device_ptrIiEEEEPS6_SG_NS0_5tupleIJSF_SF_EEENSH_IJSG_SG_EEES6_PlJ7is_evenIiEEEE10hipError_tPvRmT3_T4_T5_T6_T7_T9_mT8_P12ihipStream_tbDpT10_ENKUlT_T0_E_clISt17integral_constantIbLb0EES15_IbLb1EEEEDaS11_S12_EUlS11_E_NS1_11comp_targetILNS1_3genE5ELNS1_11target_archE942ELNS1_3gpuE9ELNS1_3repE0EEENS1_30default_config_static_selectorELNS0_4arch9wavefront6targetE1EEEvT1_
		.amdhsa_group_segment_fixed_size 30728
		.amdhsa_private_segment_fixed_size 0
		.amdhsa_kernarg_size 136
		.amdhsa_user_sgpr_count 2
		.amdhsa_user_sgpr_dispatch_ptr 0
		.amdhsa_user_sgpr_queue_ptr 0
		.amdhsa_user_sgpr_kernarg_segment_ptr 1
		.amdhsa_user_sgpr_dispatch_id 0
		.amdhsa_user_sgpr_kernarg_preload_length 0
		.amdhsa_user_sgpr_kernarg_preload_offset 0
		.amdhsa_user_sgpr_private_segment_size 0
		.amdhsa_uses_dynamic_stack 0
		.amdhsa_enable_private_segment 0
		.amdhsa_system_sgpr_workgroup_id_x 1
		.amdhsa_system_sgpr_workgroup_id_y 0
		.amdhsa_system_sgpr_workgroup_id_z 0
		.amdhsa_system_sgpr_workgroup_info 0
		.amdhsa_system_vgpr_workitem_id 0
		.amdhsa_next_free_vgpr 80
		.amdhsa_next_free_sgpr 44
		.amdhsa_accum_offset 80
		.amdhsa_reserve_vcc 1
		.amdhsa_float_round_mode_32 0
		.amdhsa_float_round_mode_16_64 0
		.amdhsa_float_denorm_mode_32 3
		.amdhsa_float_denorm_mode_16_64 3
		.amdhsa_dx10_clamp 1
		.amdhsa_ieee_mode 1
		.amdhsa_fp16_overflow 0
		.amdhsa_tg_split 0
		.amdhsa_exception_fp_ieee_invalid_op 0
		.amdhsa_exception_fp_denorm_src 0
		.amdhsa_exception_fp_ieee_div_zero 0
		.amdhsa_exception_fp_ieee_overflow 0
		.amdhsa_exception_fp_ieee_underflow 0
		.amdhsa_exception_fp_ieee_inexact 0
		.amdhsa_exception_int_div_zero 0
	.end_amdhsa_kernel
	.section	.text._ZN7rocprim17ROCPRIM_400000_NS6detail17trampoline_kernelINS0_14default_configENS1_25partition_config_selectorILNS1_17partition_subalgoE0EiNS0_10empty_typeEbEEZZNS1_14partition_implILS5_0ELb0ES3_jN6thrust23THRUST_200600_302600_NS6detail15normal_iteratorINSA_10device_ptrIiEEEEPS6_SG_NS0_5tupleIJSF_SF_EEENSH_IJSG_SG_EEES6_PlJ7is_evenIiEEEE10hipError_tPvRmT3_T4_T5_T6_T7_T9_mT8_P12ihipStream_tbDpT10_ENKUlT_T0_E_clISt17integral_constantIbLb0EES15_IbLb1EEEEDaS11_S12_EUlS11_E_NS1_11comp_targetILNS1_3genE5ELNS1_11target_archE942ELNS1_3gpuE9ELNS1_3repE0EEENS1_30default_config_static_selectorELNS0_4arch9wavefront6targetE1EEEvT1_,"axG",@progbits,_ZN7rocprim17ROCPRIM_400000_NS6detail17trampoline_kernelINS0_14default_configENS1_25partition_config_selectorILNS1_17partition_subalgoE0EiNS0_10empty_typeEbEEZZNS1_14partition_implILS5_0ELb0ES3_jN6thrust23THRUST_200600_302600_NS6detail15normal_iteratorINSA_10device_ptrIiEEEEPS6_SG_NS0_5tupleIJSF_SF_EEENSH_IJSG_SG_EEES6_PlJ7is_evenIiEEEE10hipError_tPvRmT3_T4_T5_T6_T7_T9_mT8_P12ihipStream_tbDpT10_ENKUlT_T0_E_clISt17integral_constantIbLb0EES15_IbLb1EEEEDaS11_S12_EUlS11_E_NS1_11comp_targetILNS1_3genE5ELNS1_11target_archE942ELNS1_3gpuE9ELNS1_3repE0EEENS1_30default_config_static_selectorELNS0_4arch9wavefront6targetE1EEEvT1_,comdat
.Lfunc_end346:
	.size	_ZN7rocprim17ROCPRIM_400000_NS6detail17trampoline_kernelINS0_14default_configENS1_25partition_config_selectorILNS1_17partition_subalgoE0EiNS0_10empty_typeEbEEZZNS1_14partition_implILS5_0ELb0ES3_jN6thrust23THRUST_200600_302600_NS6detail15normal_iteratorINSA_10device_ptrIiEEEEPS6_SG_NS0_5tupleIJSF_SF_EEENSH_IJSG_SG_EEES6_PlJ7is_evenIiEEEE10hipError_tPvRmT3_T4_T5_T6_T7_T9_mT8_P12ihipStream_tbDpT10_ENKUlT_T0_E_clISt17integral_constantIbLb0EES15_IbLb1EEEEDaS11_S12_EUlS11_E_NS1_11comp_targetILNS1_3genE5ELNS1_11target_archE942ELNS1_3gpuE9ELNS1_3repE0EEENS1_30default_config_static_selectorELNS0_4arch9wavefront6targetE1EEEvT1_, .Lfunc_end346-_ZN7rocprim17ROCPRIM_400000_NS6detail17trampoline_kernelINS0_14default_configENS1_25partition_config_selectorILNS1_17partition_subalgoE0EiNS0_10empty_typeEbEEZZNS1_14partition_implILS5_0ELb0ES3_jN6thrust23THRUST_200600_302600_NS6detail15normal_iteratorINSA_10device_ptrIiEEEEPS6_SG_NS0_5tupleIJSF_SF_EEENSH_IJSG_SG_EEES6_PlJ7is_evenIiEEEE10hipError_tPvRmT3_T4_T5_T6_T7_T9_mT8_P12ihipStream_tbDpT10_ENKUlT_T0_E_clISt17integral_constantIbLb0EES15_IbLb1EEEEDaS11_S12_EUlS11_E_NS1_11comp_targetILNS1_3genE5ELNS1_11target_archE942ELNS1_3gpuE9ELNS1_3repE0EEENS1_30default_config_static_selectorELNS0_4arch9wavefront6targetE1EEEvT1_
                                        ; -- End function
	.section	.AMDGPU.csdata,"",@progbits
; Kernel info:
; codeLenInByte = 6748
; NumSgprs: 50
; NumVgprs: 80
; NumAgprs: 0
; TotalNumVgprs: 80
; ScratchSize: 0
; MemoryBound: 0
; FloatMode: 240
; IeeeMode: 1
; LDSByteSize: 30728 bytes/workgroup (compile time only)
; SGPRBlocks: 6
; VGPRBlocks: 9
; NumSGPRsForWavesPerEU: 50
; NumVGPRsForWavesPerEU: 80
; AccumOffset: 80
; Occupancy: 4
; WaveLimiterHint : 1
; COMPUTE_PGM_RSRC2:SCRATCH_EN: 0
; COMPUTE_PGM_RSRC2:USER_SGPR: 2
; COMPUTE_PGM_RSRC2:TRAP_HANDLER: 0
; COMPUTE_PGM_RSRC2:TGID_X_EN: 1
; COMPUTE_PGM_RSRC2:TGID_Y_EN: 0
; COMPUTE_PGM_RSRC2:TGID_Z_EN: 0
; COMPUTE_PGM_RSRC2:TIDIG_COMP_CNT: 0
; COMPUTE_PGM_RSRC3_GFX90A:ACCUM_OFFSET: 19
; COMPUTE_PGM_RSRC3_GFX90A:TG_SPLIT: 0
	.section	.text._ZN7rocprim17ROCPRIM_400000_NS6detail17trampoline_kernelINS0_14default_configENS1_25partition_config_selectorILNS1_17partition_subalgoE0EiNS0_10empty_typeEbEEZZNS1_14partition_implILS5_0ELb0ES3_jN6thrust23THRUST_200600_302600_NS6detail15normal_iteratorINSA_10device_ptrIiEEEEPS6_SG_NS0_5tupleIJSF_SF_EEENSH_IJSG_SG_EEES6_PlJ7is_evenIiEEEE10hipError_tPvRmT3_T4_T5_T6_T7_T9_mT8_P12ihipStream_tbDpT10_ENKUlT_T0_E_clISt17integral_constantIbLb0EES15_IbLb1EEEEDaS11_S12_EUlS11_E_NS1_11comp_targetILNS1_3genE4ELNS1_11target_archE910ELNS1_3gpuE8ELNS1_3repE0EEENS1_30default_config_static_selectorELNS0_4arch9wavefront6targetE1EEEvT1_,"axG",@progbits,_ZN7rocprim17ROCPRIM_400000_NS6detail17trampoline_kernelINS0_14default_configENS1_25partition_config_selectorILNS1_17partition_subalgoE0EiNS0_10empty_typeEbEEZZNS1_14partition_implILS5_0ELb0ES3_jN6thrust23THRUST_200600_302600_NS6detail15normal_iteratorINSA_10device_ptrIiEEEEPS6_SG_NS0_5tupleIJSF_SF_EEENSH_IJSG_SG_EEES6_PlJ7is_evenIiEEEE10hipError_tPvRmT3_T4_T5_T6_T7_T9_mT8_P12ihipStream_tbDpT10_ENKUlT_T0_E_clISt17integral_constantIbLb0EES15_IbLb1EEEEDaS11_S12_EUlS11_E_NS1_11comp_targetILNS1_3genE4ELNS1_11target_archE910ELNS1_3gpuE8ELNS1_3repE0EEENS1_30default_config_static_selectorELNS0_4arch9wavefront6targetE1EEEvT1_,comdat
	.protected	_ZN7rocprim17ROCPRIM_400000_NS6detail17trampoline_kernelINS0_14default_configENS1_25partition_config_selectorILNS1_17partition_subalgoE0EiNS0_10empty_typeEbEEZZNS1_14partition_implILS5_0ELb0ES3_jN6thrust23THRUST_200600_302600_NS6detail15normal_iteratorINSA_10device_ptrIiEEEEPS6_SG_NS0_5tupleIJSF_SF_EEENSH_IJSG_SG_EEES6_PlJ7is_evenIiEEEE10hipError_tPvRmT3_T4_T5_T6_T7_T9_mT8_P12ihipStream_tbDpT10_ENKUlT_T0_E_clISt17integral_constantIbLb0EES15_IbLb1EEEEDaS11_S12_EUlS11_E_NS1_11comp_targetILNS1_3genE4ELNS1_11target_archE910ELNS1_3gpuE8ELNS1_3repE0EEENS1_30default_config_static_selectorELNS0_4arch9wavefront6targetE1EEEvT1_ ; -- Begin function _ZN7rocprim17ROCPRIM_400000_NS6detail17trampoline_kernelINS0_14default_configENS1_25partition_config_selectorILNS1_17partition_subalgoE0EiNS0_10empty_typeEbEEZZNS1_14partition_implILS5_0ELb0ES3_jN6thrust23THRUST_200600_302600_NS6detail15normal_iteratorINSA_10device_ptrIiEEEEPS6_SG_NS0_5tupleIJSF_SF_EEENSH_IJSG_SG_EEES6_PlJ7is_evenIiEEEE10hipError_tPvRmT3_T4_T5_T6_T7_T9_mT8_P12ihipStream_tbDpT10_ENKUlT_T0_E_clISt17integral_constantIbLb0EES15_IbLb1EEEEDaS11_S12_EUlS11_E_NS1_11comp_targetILNS1_3genE4ELNS1_11target_archE910ELNS1_3gpuE8ELNS1_3repE0EEENS1_30default_config_static_selectorELNS0_4arch9wavefront6targetE1EEEvT1_
	.globl	_ZN7rocprim17ROCPRIM_400000_NS6detail17trampoline_kernelINS0_14default_configENS1_25partition_config_selectorILNS1_17partition_subalgoE0EiNS0_10empty_typeEbEEZZNS1_14partition_implILS5_0ELb0ES3_jN6thrust23THRUST_200600_302600_NS6detail15normal_iteratorINSA_10device_ptrIiEEEEPS6_SG_NS0_5tupleIJSF_SF_EEENSH_IJSG_SG_EEES6_PlJ7is_evenIiEEEE10hipError_tPvRmT3_T4_T5_T6_T7_T9_mT8_P12ihipStream_tbDpT10_ENKUlT_T0_E_clISt17integral_constantIbLb0EES15_IbLb1EEEEDaS11_S12_EUlS11_E_NS1_11comp_targetILNS1_3genE4ELNS1_11target_archE910ELNS1_3gpuE8ELNS1_3repE0EEENS1_30default_config_static_selectorELNS0_4arch9wavefront6targetE1EEEvT1_
	.p2align	8
	.type	_ZN7rocprim17ROCPRIM_400000_NS6detail17trampoline_kernelINS0_14default_configENS1_25partition_config_selectorILNS1_17partition_subalgoE0EiNS0_10empty_typeEbEEZZNS1_14partition_implILS5_0ELb0ES3_jN6thrust23THRUST_200600_302600_NS6detail15normal_iteratorINSA_10device_ptrIiEEEEPS6_SG_NS0_5tupleIJSF_SF_EEENSH_IJSG_SG_EEES6_PlJ7is_evenIiEEEE10hipError_tPvRmT3_T4_T5_T6_T7_T9_mT8_P12ihipStream_tbDpT10_ENKUlT_T0_E_clISt17integral_constantIbLb0EES15_IbLb1EEEEDaS11_S12_EUlS11_E_NS1_11comp_targetILNS1_3genE4ELNS1_11target_archE910ELNS1_3gpuE8ELNS1_3repE0EEENS1_30default_config_static_selectorELNS0_4arch9wavefront6targetE1EEEvT1_,@function
_ZN7rocprim17ROCPRIM_400000_NS6detail17trampoline_kernelINS0_14default_configENS1_25partition_config_selectorILNS1_17partition_subalgoE0EiNS0_10empty_typeEbEEZZNS1_14partition_implILS5_0ELb0ES3_jN6thrust23THRUST_200600_302600_NS6detail15normal_iteratorINSA_10device_ptrIiEEEEPS6_SG_NS0_5tupleIJSF_SF_EEENSH_IJSG_SG_EEES6_PlJ7is_evenIiEEEE10hipError_tPvRmT3_T4_T5_T6_T7_T9_mT8_P12ihipStream_tbDpT10_ENKUlT_T0_E_clISt17integral_constantIbLb0EES15_IbLb1EEEEDaS11_S12_EUlS11_E_NS1_11comp_targetILNS1_3genE4ELNS1_11target_archE910ELNS1_3gpuE8ELNS1_3repE0EEENS1_30default_config_static_selectorELNS0_4arch9wavefront6targetE1EEEvT1_: ; @_ZN7rocprim17ROCPRIM_400000_NS6detail17trampoline_kernelINS0_14default_configENS1_25partition_config_selectorILNS1_17partition_subalgoE0EiNS0_10empty_typeEbEEZZNS1_14partition_implILS5_0ELb0ES3_jN6thrust23THRUST_200600_302600_NS6detail15normal_iteratorINSA_10device_ptrIiEEEEPS6_SG_NS0_5tupleIJSF_SF_EEENSH_IJSG_SG_EEES6_PlJ7is_evenIiEEEE10hipError_tPvRmT3_T4_T5_T6_T7_T9_mT8_P12ihipStream_tbDpT10_ENKUlT_T0_E_clISt17integral_constantIbLb0EES15_IbLb1EEEEDaS11_S12_EUlS11_E_NS1_11comp_targetILNS1_3genE4ELNS1_11target_archE910ELNS1_3gpuE8ELNS1_3repE0EEENS1_30default_config_static_selectorELNS0_4arch9wavefront6targetE1EEEvT1_
; %bb.0:
	.section	.rodata,"a",@progbits
	.p2align	6, 0x0
	.amdhsa_kernel _ZN7rocprim17ROCPRIM_400000_NS6detail17trampoline_kernelINS0_14default_configENS1_25partition_config_selectorILNS1_17partition_subalgoE0EiNS0_10empty_typeEbEEZZNS1_14partition_implILS5_0ELb0ES3_jN6thrust23THRUST_200600_302600_NS6detail15normal_iteratorINSA_10device_ptrIiEEEEPS6_SG_NS0_5tupleIJSF_SF_EEENSH_IJSG_SG_EEES6_PlJ7is_evenIiEEEE10hipError_tPvRmT3_T4_T5_T6_T7_T9_mT8_P12ihipStream_tbDpT10_ENKUlT_T0_E_clISt17integral_constantIbLb0EES15_IbLb1EEEEDaS11_S12_EUlS11_E_NS1_11comp_targetILNS1_3genE4ELNS1_11target_archE910ELNS1_3gpuE8ELNS1_3repE0EEENS1_30default_config_static_selectorELNS0_4arch9wavefront6targetE1EEEvT1_
		.amdhsa_group_segment_fixed_size 0
		.amdhsa_private_segment_fixed_size 0
		.amdhsa_kernarg_size 136
		.amdhsa_user_sgpr_count 2
		.amdhsa_user_sgpr_dispatch_ptr 0
		.amdhsa_user_sgpr_queue_ptr 0
		.amdhsa_user_sgpr_kernarg_segment_ptr 1
		.amdhsa_user_sgpr_dispatch_id 0
		.amdhsa_user_sgpr_kernarg_preload_length 0
		.amdhsa_user_sgpr_kernarg_preload_offset 0
		.amdhsa_user_sgpr_private_segment_size 0
		.amdhsa_uses_dynamic_stack 0
		.amdhsa_enable_private_segment 0
		.amdhsa_system_sgpr_workgroup_id_x 1
		.amdhsa_system_sgpr_workgroup_id_y 0
		.amdhsa_system_sgpr_workgroup_id_z 0
		.amdhsa_system_sgpr_workgroup_info 0
		.amdhsa_system_vgpr_workitem_id 0
		.amdhsa_next_free_vgpr 1
		.amdhsa_next_free_sgpr 0
		.amdhsa_accum_offset 4
		.amdhsa_reserve_vcc 0
		.amdhsa_float_round_mode_32 0
		.amdhsa_float_round_mode_16_64 0
		.amdhsa_float_denorm_mode_32 3
		.amdhsa_float_denorm_mode_16_64 3
		.amdhsa_dx10_clamp 1
		.amdhsa_ieee_mode 1
		.amdhsa_fp16_overflow 0
		.amdhsa_tg_split 0
		.amdhsa_exception_fp_ieee_invalid_op 0
		.amdhsa_exception_fp_denorm_src 0
		.amdhsa_exception_fp_ieee_div_zero 0
		.amdhsa_exception_fp_ieee_overflow 0
		.amdhsa_exception_fp_ieee_underflow 0
		.amdhsa_exception_fp_ieee_inexact 0
		.amdhsa_exception_int_div_zero 0
	.end_amdhsa_kernel
	.section	.text._ZN7rocprim17ROCPRIM_400000_NS6detail17trampoline_kernelINS0_14default_configENS1_25partition_config_selectorILNS1_17partition_subalgoE0EiNS0_10empty_typeEbEEZZNS1_14partition_implILS5_0ELb0ES3_jN6thrust23THRUST_200600_302600_NS6detail15normal_iteratorINSA_10device_ptrIiEEEEPS6_SG_NS0_5tupleIJSF_SF_EEENSH_IJSG_SG_EEES6_PlJ7is_evenIiEEEE10hipError_tPvRmT3_T4_T5_T6_T7_T9_mT8_P12ihipStream_tbDpT10_ENKUlT_T0_E_clISt17integral_constantIbLb0EES15_IbLb1EEEEDaS11_S12_EUlS11_E_NS1_11comp_targetILNS1_3genE4ELNS1_11target_archE910ELNS1_3gpuE8ELNS1_3repE0EEENS1_30default_config_static_selectorELNS0_4arch9wavefront6targetE1EEEvT1_,"axG",@progbits,_ZN7rocprim17ROCPRIM_400000_NS6detail17trampoline_kernelINS0_14default_configENS1_25partition_config_selectorILNS1_17partition_subalgoE0EiNS0_10empty_typeEbEEZZNS1_14partition_implILS5_0ELb0ES3_jN6thrust23THRUST_200600_302600_NS6detail15normal_iteratorINSA_10device_ptrIiEEEEPS6_SG_NS0_5tupleIJSF_SF_EEENSH_IJSG_SG_EEES6_PlJ7is_evenIiEEEE10hipError_tPvRmT3_T4_T5_T6_T7_T9_mT8_P12ihipStream_tbDpT10_ENKUlT_T0_E_clISt17integral_constantIbLb0EES15_IbLb1EEEEDaS11_S12_EUlS11_E_NS1_11comp_targetILNS1_3genE4ELNS1_11target_archE910ELNS1_3gpuE8ELNS1_3repE0EEENS1_30default_config_static_selectorELNS0_4arch9wavefront6targetE1EEEvT1_,comdat
.Lfunc_end347:
	.size	_ZN7rocprim17ROCPRIM_400000_NS6detail17trampoline_kernelINS0_14default_configENS1_25partition_config_selectorILNS1_17partition_subalgoE0EiNS0_10empty_typeEbEEZZNS1_14partition_implILS5_0ELb0ES3_jN6thrust23THRUST_200600_302600_NS6detail15normal_iteratorINSA_10device_ptrIiEEEEPS6_SG_NS0_5tupleIJSF_SF_EEENSH_IJSG_SG_EEES6_PlJ7is_evenIiEEEE10hipError_tPvRmT3_T4_T5_T6_T7_T9_mT8_P12ihipStream_tbDpT10_ENKUlT_T0_E_clISt17integral_constantIbLb0EES15_IbLb1EEEEDaS11_S12_EUlS11_E_NS1_11comp_targetILNS1_3genE4ELNS1_11target_archE910ELNS1_3gpuE8ELNS1_3repE0EEENS1_30default_config_static_selectorELNS0_4arch9wavefront6targetE1EEEvT1_, .Lfunc_end347-_ZN7rocprim17ROCPRIM_400000_NS6detail17trampoline_kernelINS0_14default_configENS1_25partition_config_selectorILNS1_17partition_subalgoE0EiNS0_10empty_typeEbEEZZNS1_14partition_implILS5_0ELb0ES3_jN6thrust23THRUST_200600_302600_NS6detail15normal_iteratorINSA_10device_ptrIiEEEEPS6_SG_NS0_5tupleIJSF_SF_EEENSH_IJSG_SG_EEES6_PlJ7is_evenIiEEEE10hipError_tPvRmT3_T4_T5_T6_T7_T9_mT8_P12ihipStream_tbDpT10_ENKUlT_T0_E_clISt17integral_constantIbLb0EES15_IbLb1EEEEDaS11_S12_EUlS11_E_NS1_11comp_targetILNS1_3genE4ELNS1_11target_archE910ELNS1_3gpuE8ELNS1_3repE0EEENS1_30default_config_static_selectorELNS0_4arch9wavefront6targetE1EEEvT1_
                                        ; -- End function
	.section	.AMDGPU.csdata,"",@progbits
; Kernel info:
; codeLenInByte = 0
; NumSgprs: 6
; NumVgprs: 0
; NumAgprs: 0
; TotalNumVgprs: 0
; ScratchSize: 0
; MemoryBound: 0
; FloatMode: 240
; IeeeMode: 1
; LDSByteSize: 0 bytes/workgroup (compile time only)
; SGPRBlocks: 0
; VGPRBlocks: 0
; NumSGPRsForWavesPerEU: 6
; NumVGPRsForWavesPerEU: 1
; AccumOffset: 4
; Occupancy: 8
; WaveLimiterHint : 0
; COMPUTE_PGM_RSRC2:SCRATCH_EN: 0
; COMPUTE_PGM_RSRC2:USER_SGPR: 2
; COMPUTE_PGM_RSRC2:TRAP_HANDLER: 0
; COMPUTE_PGM_RSRC2:TGID_X_EN: 1
; COMPUTE_PGM_RSRC2:TGID_Y_EN: 0
; COMPUTE_PGM_RSRC2:TGID_Z_EN: 0
; COMPUTE_PGM_RSRC2:TIDIG_COMP_CNT: 0
; COMPUTE_PGM_RSRC3_GFX90A:ACCUM_OFFSET: 0
; COMPUTE_PGM_RSRC3_GFX90A:TG_SPLIT: 0
	.section	.text._ZN7rocprim17ROCPRIM_400000_NS6detail17trampoline_kernelINS0_14default_configENS1_25partition_config_selectorILNS1_17partition_subalgoE0EiNS0_10empty_typeEbEEZZNS1_14partition_implILS5_0ELb0ES3_jN6thrust23THRUST_200600_302600_NS6detail15normal_iteratorINSA_10device_ptrIiEEEEPS6_SG_NS0_5tupleIJSF_SF_EEENSH_IJSG_SG_EEES6_PlJ7is_evenIiEEEE10hipError_tPvRmT3_T4_T5_T6_T7_T9_mT8_P12ihipStream_tbDpT10_ENKUlT_T0_E_clISt17integral_constantIbLb0EES15_IbLb1EEEEDaS11_S12_EUlS11_E_NS1_11comp_targetILNS1_3genE3ELNS1_11target_archE908ELNS1_3gpuE7ELNS1_3repE0EEENS1_30default_config_static_selectorELNS0_4arch9wavefront6targetE1EEEvT1_,"axG",@progbits,_ZN7rocprim17ROCPRIM_400000_NS6detail17trampoline_kernelINS0_14default_configENS1_25partition_config_selectorILNS1_17partition_subalgoE0EiNS0_10empty_typeEbEEZZNS1_14partition_implILS5_0ELb0ES3_jN6thrust23THRUST_200600_302600_NS6detail15normal_iteratorINSA_10device_ptrIiEEEEPS6_SG_NS0_5tupleIJSF_SF_EEENSH_IJSG_SG_EEES6_PlJ7is_evenIiEEEE10hipError_tPvRmT3_T4_T5_T6_T7_T9_mT8_P12ihipStream_tbDpT10_ENKUlT_T0_E_clISt17integral_constantIbLb0EES15_IbLb1EEEEDaS11_S12_EUlS11_E_NS1_11comp_targetILNS1_3genE3ELNS1_11target_archE908ELNS1_3gpuE7ELNS1_3repE0EEENS1_30default_config_static_selectorELNS0_4arch9wavefront6targetE1EEEvT1_,comdat
	.protected	_ZN7rocprim17ROCPRIM_400000_NS6detail17trampoline_kernelINS0_14default_configENS1_25partition_config_selectorILNS1_17partition_subalgoE0EiNS0_10empty_typeEbEEZZNS1_14partition_implILS5_0ELb0ES3_jN6thrust23THRUST_200600_302600_NS6detail15normal_iteratorINSA_10device_ptrIiEEEEPS6_SG_NS0_5tupleIJSF_SF_EEENSH_IJSG_SG_EEES6_PlJ7is_evenIiEEEE10hipError_tPvRmT3_T4_T5_T6_T7_T9_mT8_P12ihipStream_tbDpT10_ENKUlT_T0_E_clISt17integral_constantIbLb0EES15_IbLb1EEEEDaS11_S12_EUlS11_E_NS1_11comp_targetILNS1_3genE3ELNS1_11target_archE908ELNS1_3gpuE7ELNS1_3repE0EEENS1_30default_config_static_selectorELNS0_4arch9wavefront6targetE1EEEvT1_ ; -- Begin function _ZN7rocprim17ROCPRIM_400000_NS6detail17trampoline_kernelINS0_14default_configENS1_25partition_config_selectorILNS1_17partition_subalgoE0EiNS0_10empty_typeEbEEZZNS1_14partition_implILS5_0ELb0ES3_jN6thrust23THRUST_200600_302600_NS6detail15normal_iteratorINSA_10device_ptrIiEEEEPS6_SG_NS0_5tupleIJSF_SF_EEENSH_IJSG_SG_EEES6_PlJ7is_evenIiEEEE10hipError_tPvRmT3_T4_T5_T6_T7_T9_mT8_P12ihipStream_tbDpT10_ENKUlT_T0_E_clISt17integral_constantIbLb0EES15_IbLb1EEEEDaS11_S12_EUlS11_E_NS1_11comp_targetILNS1_3genE3ELNS1_11target_archE908ELNS1_3gpuE7ELNS1_3repE0EEENS1_30default_config_static_selectorELNS0_4arch9wavefront6targetE1EEEvT1_
	.globl	_ZN7rocprim17ROCPRIM_400000_NS6detail17trampoline_kernelINS0_14default_configENS1_25partition_config_selectorILNS1_17partition_subalgoE0EiNS0_10empty_typeEbEEZZNS1_14partition_implILS5_0ELb0ES3_jN6thrust23THRUST_200600_302600_NS6detail15normal_iteratorINSA_10device_ptrIiEEEEPS6_SG_NS0_5tupleIJSF_SF_EEENSH_IJSG_SG_EEES6_PlJ7is_evenIiEEEE10hipError_tPvRmT3_T4_T5_T6_T7_T9_mT8_P12ihipStream_tbDpT10_ENKUlT_T0_E_clISt17integral_constantIbLb0EES15_IbLb1EEEEDaS11_S12_EUlS11_E_NS1_11comp_targetILNS1_3genE3ELNS1_11target_archE908ELNS1_3gpuE7ELNS1_3repE0EEENS1_30default_config_static_selectorELNS0_4arch9wavefront6targetE1EEEvT1_
	.p2align	8
	.type	_ZN7rocprim17ROCPRIM_400000_NS6detail17trampoline_kernelINS0_14default_configENS1_25partition_config_selectorILNS1_17partition_subalgoE0EiNS0_10empty_typeEbEEZZNS1_14partition_implILS5_0ELb0ES3_jN6thrust23THRUST_200600_302600_NS6detail15normal_iteratorINSA_10device_ptrIiEEEEPS6_SG_NS0_5tupleIJSF_SF_EEENSH_IJSG_SG_EEES6_PlJ7is_evenIiEEEE10hipError_tPvRmT3_T4_T5_T6_T7_T9_mT8_P12ihipStream_tbDpT10_ENKUlT_T0_E_clISt17integral_constantIbLb0EES15_IbLb1EEEEDaS11_S12_EUlS11_E_NS1_11comp_targetILNS1_3genE3ELNS1_11target_archE908ELNS1_3gpuE7ELNS1_3repE0EEENS1_30default_config_static_selectorELNS0_4arch9wavefront6targetE1EEEvT1_,@function
_ZN7rocprim17ROCPRIM_400000_NS6detail17trampoline_kernelINS0_14default_configENS1_25partition_config_selectorILNS1_17partition_subalgoE0EiNS0_10empty_typeEbEEZZNS1_14partition_implILS5_0ELb0ES3_jN6thrust23THRUST_200600_302600_NS6detail15normal_iteratorINSA_10device_ptrIiEEEEPS6_SG_NS0_5tupleIJSF_SF_EEENSH_IJSG_SG_EEES6_PlJ7is_evenIiEEEE10hipError_tPvRmT3_T4_T5_T6_T7_T9_mT8_P12ihipStream_tbDpT10_ENKUlT_T0_E_clISt17integral_constantIbLb0EES15_IbLb1EEEEDaS11_S12_EUlS11_E_NS1_11comp_targetILNS1_3genE3ELNS1_11target_archE908ELNS1_3gpuE7ELNS1_3repE0EEENS1_30default_config_static_selectorELNS0_4arch9wavefront6targetE1EEEvT1_: ; @_ZN7rocprim17ROCPRIM_400000_NS6detail17trampoline_kernelINS0_14default_configENS1_25partition_config_selectorILNS1_17partition_subalgoE0EiNS0_10empty_typeEbEEZZNS1_14partition_implILS5_0ELb0ES3_jN6thrust23THRUST_200600_302600_NS6detail15normal_iteratorINSA_10device_ptrIiEEEEPS6_SG_NS0_5tupleIJSF_SF_EEENSH_IJSG_SG_EEES6_PlJ7is_evenIiEEEE10hipError_tPvRmT3_T4_T5_T6_T7_T9_mT8_P12ihipStream_tbDpT10_ENKUlT_T0_E_clISt17integral_constantIbLb0EES15_IbLb1EEEEDaS11_S12_EUlS11_E_NS1_11comp_targetILNS1_3genE3ELNS1_11target_archE908ELNS1_3gpuE7ELNS1_3repE0EEENS1_30default_config_static_selectorELNS0_4arch9wavefront6targetE1EEEvT1_
; %bb.0:
	.section	.rodata,"a",@progbits
	.p2align	6, 0x0
	.amdhsa_kernel _ZN7rocprim17ROCPRIM_400000_NS6detail17trampoline_kernelINS0_14default_configENS1_25partition_config_selectorILNS1_17partition_subalgoE0EiNS0_10empty_typeEbEEZZNS1_14partition_implILS5_0ELb0ES3_jN6thrust23THRUST_200600_302600_NS6detail15normal_iteratorINSA_10device_ptrIiEEEEPS6_SG_NS0_5tupleIJSF_SF_EEENSH_IJSG_SG_EEES6_PlJ7is_evenIiEEEE10hipError_tPvRmT3_T4_T5_T6_T7_T9_mT8_P12ihipStream_tbDpT10_ENKUlT_T0_E_clISt17integral_constantIbLb0EES15_IbLb1EEEEDaS11_S12_EUlS11_E_NS1_11comp_targetILNS1_3genE3ELNS1_11target_archE908ELNS1_3gpuE7ELNS1_3repE0EEENS1_30default_config_static_selectorELNS0_4arch9wavefront6targetE1EEEvT1_
		.amdhsa_group_segment_fixed_size 0
		.amdhsa_private_segment_fixed_size 0
		.amdhsa_kernarg_size 136
		.amdhsa_user_sgpr_count 2
		.amdhsa_user_sgpr_dispatch_ptr 0
		.amdhsa_user_sgpr_queue_ptr 0
		.amdhsa_user_sgpr_kernarg_segment_ptr 1
		.amdhsa_user_sgpr_dispatch_id 0
		.amdhsa_user_sgpr_kernarg_preload_length 0
		.amdhsa_user_sgpr_kernarg_preload_offset 0
		.amdhsa_user_sgpr_private_segment_size 0
		.amdhsa_uses_dynamic_stack 0
		.amdhsa_enable_private_segment 0
		.amdhsa_system_sgpr_workgroup_id_x 1
		.amdhsa_system_sgpr_workgroup_id_y 0
		.amdhsa_system_sgpr_workgroup_id_z 0
		.amdhsa_system_sgpr_workgroup_info 0
		.amdhsa_system_vgpr_workitem_id 0
		.amdhsa_next_free_vgpr 1
		.amdhsa_next_free_sgpr 0
		.amdhsa_accum_offset 4
		.amdhsa_reserve_vcc 0
		.amdhsa_float_round_mode_32 0
		.amdhsa_float_round_mode_16_64 0
		.amdhsa_float_denorm_mode_32 3
		.amdhsa_float_denorm_mode_16_64 3
		.amdhsa_dx10_clamp 1
		.amdhsa_ieee_mode 1
		.amdhsa_fp16_overflow 0
		.amdhsa_tg_split 0
		.amdhsa_exception_fp_ieee_invalid_op 0
		.amdhsa_exception_fp_denorm_src 0
		.amdhsa_exception_fp_ieee_div_zero 0
		.amdhsa_exception_fp_ieee_overflow 0
		.amdhsa_exception_fp_ieee_underflow 0
		.amdhsa_exception_fp_ieee_inexact 0
		.amdhsa_exception_int_div_zero 0
	.end_amdhsa_kernel
	.section	.text._ZN7rocprim17ROCPRIM_400000_NS6detail17trampoline_kernelINS0_14default_configENS1_25partition_config_selectorILNS1_17partition_subalgoE0EiNS0_10empty_typeEbEEZZNS1_14partition_implILS5_0ELb0ES3_jN6thrust23THRUST_200600_302600_NS6detail15normal_iteratorINSA_10device_ptrIiEEEEPS6_SG_NS0_5tupleIJSF_SF_EEENSH_IJSG_SG_EEES6_PlJ7is_evenIiEEEE10hipError_tPvRmT3_T4_T5_T6_T7_T9_mT8_P12ihipStream_tbDpT10_ENKUlT_T0_E_clISt17integral_constantIbLb0EES15_IbLb1EEEEDaS11_S12_EUlS11_E_NS1_11comp_targetILNS1_3genE3ELNS1_11target_archE908ELNS1_3gpuE7ELNS1_3repE0EEENS1_30default_config_static_selectorELNS0_4arch9wavefront6targetE1EEEvT1_,"axG",@progbits,_ZN7rocprim17ROCPRIM_400000_NS6detail17trampoline_kernelINS0_14default_configENS1_25partition_config_selectorILNS1_17partition_subalgoE0EiNS0_10empty_typeEbEEZZNS1_14partition_implILS5_0ELb0ES3_jN6thrust23THRUST_200600_302600_NS6detail15normal_iteratorINSA_10device_ptrIiEEEEPS6_SG_NS0_5tupleIJSF_SF_EEENSH_IJSG_SG_EEES6_PlJ7is_evenIiEEEE10hipError_tPvRmT3_T4_T5_T6_T7_T9_mT8_P12ihipStream_tbDpT10_ENKUlT_T0_E_clISt17integral_constantIbLb0EES15_IbLb1EEEEDaS11_S12_EUlS11_E_NS1_11comp_targetILNS1_3genE3ELNS1_11target_archE908ELNS1_3gpuE7ELNS1_3repE0EEENS1_30default_config_static_selectorELNS0_4arch9wavefront6targetE1EEEvT1_,comdat
.Lfunc_end348:
	.size	_ZN7rocprim17ROCPRIM_400000_NS6detail17trampoline_kernelINS0_14default_configENS1_25partition_config_selectorILNS1_17partition_subalgoE0EiNS0_10empty_typeEbEEZZNS1_14partition_implILS5_0ELb0ES3_jN6thrust23THRUST_200600_302600_NS6detail15normal_iteratorINSA_10device_ptrIiEEEEPS6_SG_NS0_5tupleIJSF_SF_EEENSH_IJSG_SG_EEES6_PlJ7is_evenIiEEEE10hipError_tPvRmT3_T4_T5_T6_T7_T9_mT8_P12ihipStream_tbDpT10_ENKUlT_T0_E_clISt17integral_constantIbLb0EES15_IbLb1EEEEDaS11_S12_EUlS11_E_NS1_11comp_targetILNS1_3genE3ELNS1_11target_archE908ELNS1_3gpuE7ELNS1_3repE0EEENS1_30default_config_static_selectorELNS0_4arch9wavefront6targetE1EEEvT1_, .Lfunc_end348-_ZN7rocprim17ROCPRIM_400000_NS6detail17trampoline_kernelINS0_14default_configENS1_25partition_config_selectorILNS1_17partition_subalgoE0EiNS0_10empty_typeEbEEZZNS1_14partition_implILS5_0ELb0ES3_jN6thrust23THRUST_200600_302600_NS6detail15normal_iteratorINSA_10device_ptrIiEEEEPS6_SG_NS0_5tupleIJSF_SF_EEENSH_IJSG_SG_EEES6_PlJ7is_evenIiEEEE10hipError_tPvRmT3_T4_T5_T6_T7_T9_mT8_P12ihipStream_tbDpT10_ENKUlT_T0_E_clISt17integral_constantIbLb0EES15_IbLb1EEEEDaS11_S12_EUlS11_E_NS1_11comp_targetILNS1_3genE3ELNS1_11target_archE908ELNS1_3gpuE7ELNS1_3repE0EEENS1_30default_config_static_selectorELNS0_4arch9wavefront6targetE1EEEvT1_
                                        ; -- End function
	.section	.AMDGPU.csdata,"",@progbits
; Kernel info:
; codeLenInByte = 0
; NumSgprs: 6
; NumVgprs: 0
; NumAgprs: 0
; TotalNumVgprs: 0
; ScratchSize: 0
; MemoryBound: 0
; FloatMode: 240
; IeeeMode: 1
; LDSByteSize: 0 bytes/workgroup (compile time only)
; SGPRBlocks: 0
; VGPRBlocks: 0
; NumSGPRsForWavesPerEU: 6
; NumVGPRsForWavesPerEU: 1
; AccumOffset: 4
; Occupancy: 8
; WaveLimiterHint : 0
; COMPUTE_PGM_RSRC2:SCRATCH_EN: 0
; COMPUTE_PGM_RSRC2:USER_SGPR: 2
; COMPUTE_PGM_RSRC2:TRAP_HANDLER: 0
; COMPUTE_PGM_RSRC2:TGID_X_EN: 1
; COMPUTE_PGM_RSRC2:TGID_Y_EN: 0
; COMPUTE_PGM_RSRC2:TGID_Z_EN: 0
; COMPUTE_PGM_RSRC2:TIDIG_COMP_CNT: 0
; COMPUTE_PGM_RSRC3_GFX90A:ACCUM_OFFSET: 0
; COMPUTE_PGM_RSRC3_GFX90A:TG_SPLIT: 0
	.section	.text._ZN7rocprim17ROCPRIM_400000_NS6detail17trampoline_kernelINS0_14default_configENS1_25partition_config_selectorILNS1_17partition_subalgoE0EiNS0_10empty_typeEbEEZZNS1_14partition_implILS5_0ELb0ES3_jN6thrust23THRUST_200600_302600_NS6detail15normal_iteratorINSA_10device_ptrIiEEEEPS6_SG_NS0_5tupleIJSF_SF_EEENSH_IJSG_SG_EEES6_PlJ7is_evenIiEEEE10hipError_tPvRmT3_T4_T5_T6_T7_T9_mT8_P12ihipStream_tbDpT10_ENKUlT_T0_E_clISt17integral_constantIbLb0EES15_IbLb1EEEEDaS11_S12_EUlS11_E_NS1_11comp_targetILNS1_3genE2ELNS1_11target_archE906ELNS1_3gpuE6ELNS1_3repE0EEENS1_30default_config_static_selectorELNS0_4arch9wavefront6targetE1EEEvT1_,"axG",@progbits,_ZN7rocprim17ROCPRIM_400000_NS6detail17trampoline_kernelINS0_14default_configENS1_25partition_config_selectorILNS1_17partition_subalgoE0EiNS0_10empty_typeEbEEZZNS1_14partition_implILS5_0ELb0ES3_jN6thrust23THRUST_200600_302600_NS6detail15normal_iteratorINSA_10device_ptrIiEEEEPS6_SG_NS0_5tupleIJSF_SF_EEENSH_IJSG_SG_EEES6_PlJ7is_evenIiEEEE10hipError_tPvRmT3_T4_T5_T6_T7_T9_mT8_P12ihipStream_tbDpT10_ENKUlT_T0_E_clISt17integral_constantIbLb0EES15_IbLb1EEEEDaS11_S12_EUlS11_E_NS1_11comp_targetILNS1_3genE2ELNS1_11target_archE906ELNS1_3gpuE6ELNS1_3repE0EEENS1_30default_config_static_selectorELNS0_4arch9wavefront6targetE1EEEvT1_,comdat
	.protected	_ZN7rocprim17ROCPRIM_400000_NS6detail17trampoline_kernelINS0_14default_configENS1_25partition_config_selectorILNS1_17partition_subalgoE0EiNS0_10empty_typeEbEEZZNS1_14partition_implILS5_0ELb0ES3_jN6thrust23THRUST_200600_302600_NS6detail15normal_iteratorINSA_10device_ptrIiEEEEPS6_SG_NS0_5tupleIJSF_SF_EEENSH_IJSG_SG_EEES6_PlJ7is_evenIiEEEE10hipError_tPvRmT3_T4_T5_T6_T7_T9_mT8_P12ihipStream_tbDpT10_ENKUlT_T0_E_clISt17integral_constantIbLb0EES15_IbLb1EEEEDaS11_S12_EUlS11_E_NS1_11comp_targetILNS1_3genE2ELNS1_11target_archE906ELNS1_3gpuE6ELNS1_3repE0EEENS1_30default_config_static_selectorELNS0_4arch9wavefront6targetE1EEEvT1_ ; -- Begin function _ZN7rocprim17ROCPRIM_400000_NS6detail17trampoline_kernelINS0_14default_configENS1_25partition_config_selectorILNS1_17partition_subalgoE0EiNS0_10empty_typeEbEEZZNS1_14partition_implILS5_0ELb0ES3_jN6thrust23THRUST_200600_302600_NS6detail15normal_iteratorINSA_10device_ptrIiEEEEPS6_SG_NS0_5tupleIJSF_SF_EEENSH_IJSG_SG_EEES6_PlJ7is_evenIiEEEE10hipError_tPvRmT3_T4_T5_T6_T7_T9_mT8_P12ihipStream_tbDpT10_ENKUlT_T0_E_clISt17integral_constantIbLb0EES15_IbLb1EEEEDaS11_S12_EUlS11_E_NS1_11comp_targetILNS1_3genE2ELNS1_11target_archE906ELNS1_3gpuE6ELNS1_3repE0EEENS1_30default_config_static_selectorELNS0_4arch9wavefront6targetE1EEEvT1_
	.globl	_ZN7rocprim17ROCPRIM_400000_NS6detail17trampoline_kernelINS0_14default_configENS1_25partition_config_selectorILNS1_17partition_subalgoE0EiNS0_10empty_typeEbEEZZNS1_14partition_implILS5_0ELb0ES3_jN6thrust23THRUST_200600_302600_NS6detail15normal_iteratorINSA_10device_ptrIiEEEEPS6_SG_NS0_5tupleIJSF_SF_EEENSH_IJSG_SG_EEES6_PlJ7is_evenIiEEEE10hipError_tPvRmT3_T4_T5_T6_T7_T9_mT8_P12ihipStream_tbDpT10_ENKUlT_T0_E_clISt17integral_constantIbLb0EES15_IbLb1EEEEDaS11_S12_EUlS11_E_NS1_11comp_targetILNS1_3genE2ELNS1_11target_archE906ELNS1_3gpuE6ELNS1_3repE0EEENS1_30default_config_static_selectorELNS0_4arch9wavefront6targetE1EEEvT1_
	.p2align	8
	.type	_ZN7rocprim17ROCPRIM_400000_NS6detail17trampoline_kernelINS0_14default_configENS1_25partition_config_selectorILNS1_17partition_subalgoE0EiNS0_10empty_typeEbEEZZNS1_14partition_implILS5_0ELb0ES3_jN6thrust23THRUST_200600_302600_NS6detail15normal_iteratorINSA_10device_ptrIiEEEEPS6_SG_NS0_5tupleIJSF_SF_EEENSH_IJSG_SG_EEES6_PlJ7is_evenIiEEEE10hipError_tPvRmT3_T4_T5_T6_T7_T9_mT8_P12ihipStream_tbDpT10_ENKUlT_T0_E_clISt17integral_constantIbLb0EES15_IbLb1EEEEDaS11_S12_EUlS11_E_NS1_11comp_targetILNS1_3genE2ELNS1_11target_archE906ELNS1_3gpuE6ELNS1_3repE0EEENS1_30default_config_static_selectorELNS0_4arch9wavefront6targetE1EEEvT1_,@function
_ZN7rocprim17ROCPRIM_400000_NS6detail17trampoline_kernelINS0_14default_configENS1_25partition_config_selectorILNS1_17partition_subalgoE0EiNS0_10empty_typeEbEEZZNS1_14partition_implILS5_0ELb0ES3_jN6thrust23THRUST_200600_302600_NS6detail15normal_iteratorINSA_10device_ptrIiEEEEPS6_SG_NS0_5tupleIJSF_SF_EEENSH_IJSG_SG_EEES6_PlJ7is_evenIiEEEE10hipError_tPvRmT3_T4_T5_T6_T7_T9_mT8_P12ihipStream_tbDpT10_ENKUlT_T0_E_clISt17integral_constantIbLb0EES15_IbLb1EEEEDaS11_S12_EUlS11_E_NS1_11comp_targetILNS1_3genE2ELNS1_11target_archE906ELNS1_3gpuE6ELNS1_3repE0EEENS1_30default_config_static_selectorELNS0_4arch9wavefront6targetE1EEEvT1_: ; @_ZN7rocprim17ROCPRIM_400000_NS6detail17trampoline_kernelINS0_14default_configENS1_25partition_config_selectorILNS1_17partition_subalgoE0EiNS0_10empty_typeEbEEZZNS1_14partition_implILS5_0ELb0ES3_jN6thrust23THRUST_200600_302600_NS6detail15normal_iteratorINSA_10device_ptrIiEEEEPS6_SG_NS0_5tupleIJSF_SF_EEENSH_IJSG_SG_EEES6_PlJ7is_evenIiEEEE10hipError_tPvRmT3_T4_T5_T6_T7_T9_mT8_P12ihipStream_tbDpT10_ENKUlT_T0_E_clISt17integral_constantIbLb0EES15_IbLb1EEEEDaS11_S12_EUlS11_E_NS1_11comp_targetILNS1_3genE2ELNS1_11target_archE906ELNS1_3gpuE6ELNS1_3repE0EEENS1_30default_config_static_selectorELNS0_4arch9wavefront6targetE1EEEvT1_
; %bb.0:
	.section	.rodata,"a",@progbits
	.p2align	6, 0x0
	.amdhsa_kernel _ZN7rocprim17ROCPRIM_400000_NS6detail17trampoline_kernelINS0_14default_configENS1_25partition_config_selectorILNS1_17partition_subalgoE0EiNS0_10empty_typeEbEEZZNS1_14partition_implILS5_0ELb0ES3_jN6thrust23THRUST_200600_302600_NS6detail15normal_iteratorINSA_10device_ptrIiEEEEPS6_SG_NS0_5tupleIJSF_SF_EEENSH_IJSG_SG_EEES6_PlJ7is_evenIiEEEE10hipError_tPvRmT3_T4_T5_T6_T7_T9_mT8_P12ihipStream_tbDpT10_ENKUlT_T0_E_clISt17integral_constantIbLb0EES15_IbLb1EEEEDaS11_S12_EUlS11_E_NS1_11comp_targetILNS1_3genE2ELNS1_11target_archE906ELNS1_3gpuE6ELNS1_3repE0EEENS1_30default_config_static_selectorELNS0_4arch9wavefront6targetE1EEEvT1_
		.amdhsa_group_segment_fixed_size 0
		.amdhsa_private_segment_fixed_size 0
		.amdhsa_kernarg_size 136
		.amdhsa_user_sgpr_count 2
		.amdhsa_user_sgpr_dispatch_ptr 0
		.amdhsa_user_sgpr_queue_ptr 0
		.amdhsa_user_sgpr_kernarg_segment_ptr 1
		.amdhsa_user_sgpr_dispatch_id 0
		.amdhsa_user_sgpr_kernarg_preload_length 0
		.amdhsa_user_sgpr_kernarg_preload_offset 0
		.amdhsa_user_sgpr_private_segment_size 0
		.amdhsa_uses_dynamic_stack 0
		.amdhsa_enable_private_segment 0
		.amdhsa_system_sgpr_workgroup_id_x 1
		.amdhsa_system_sgpr_workgroup_id_y 0
		.amdhsa_system_sgpr_workgroup_id_z 0
		.amdhsa_system_sgpr_workgroup_info 0
		.amdhsa_system_vgpr_workitem_id 0
		.amdhsa_next_free_vgpr 1
		.amdhsa_next_free_sgpr 0
		.amdhsa_accum_offset 4
		.amdhsa_reserve_vcc 0
		.amdhsa_float_round_mode_32 0
		.amdhsa_float_round_mode_16_64 0
		.amdhsa_float_denorm_mode_32 3
		.amdhsa_float_denorm_mode_16_64 3
		.amdhsa_dx10_clamp 1
		.amdhsa_ieee_mode 1
		.amdhsa_fp16_overflow 0
		.amdhsa_tg_split 0
		.amdhsa_exception_fp_ieee_invalid_op 0
		.amdhsa_exception_fp_denorm_src 0
		.amdhsa_exception_fp_ieee_div_zero 0
		.amdhsa_exception_fp_ieee_overflow 0
		.amdhsa_exception_fp_ieee_underflow 0
		.amdhsa_exception_fp_ieee_inexact 0
		.amdhsa_exception_int_div_zero 0
	.end_amdhsa_kernel
	.section	.text._ZN7rocprim17ROCPRIM_400000_NS6detail17trampoline_kernelINS0_14default_configENS1_25partition_config_selectorILNS1_17partition_subalgoE0EiNS0_10empty_typeEbEEZZNS1_14partition_implILS5_0ELb0ES3_jN6thrust23THRUST_200600_302600_NS6detail15normal_iteratorINSA_10device_ptrIiEEEEPS6_SG_NS0_5tupleIJSF_SF_EEENSH_IJSG_SG_EEES6_PlJ7is_evenIiEEEE10hipError_tPvRmT3_T4_T5_T6_T7_T9_mT8_P12ihipStream_tbDpT10_ENKUlT_T0_E_clISt17integral_constantIbLb0EES15_IbLb1EEEEDaS11_S12_EUlS11_E_NS1_11comp_targetILNS1_3genE2ELNS1_11target_archE906ELNS1_3gpuE6ELNS1_3repE0EEENS1_30default_config_static_selectorELNS0_4arch9wavefront6targetE1EEEvT1_,"axG",@progbits,_ZN7rocprim17ROCPRIM_400000_NS6detail17trampoline_kernelINS0_14default_configENS1_25partition_config_selectorILNS1_17partition_subalgoE0EiNS0_10empty_typeEbEEZZNS1_14partition_implILS5_0ELb0ES3_jN6thrust23THRUST_200600_302600_NS6detail15normal_iteratorINSA_10device_ptrIiEEEEPS6_SG_NS0_5tupleIJSF_SF_EEENSH_IJSG_SG_EEES6_PlJ7is_evenIiEEEE10hipError_tPvRmT3_T4_T5_T6_T7_T9_mT8_P12ihipStream_tbDpT10_ENKUlT_T0_E_clISt17integral_constantIbLb0EES15_IbLb1EEEEDaS11_S12_EUlS11_E_NS1_11comp_targetILNS1_3genE2ELNS1_11target_archE906ELNS1_3gpuE6ELNS1_3repE0EEENS1_30default_config_static_selectorELNS0_4arch9wavefront6targetE1EEEvT1_,comdat
.Lfunc_end349:
	.size	_ZN7rocprim17ROCPRIM_400000_NS6detail17trampoline_kernelINS0_14default_configENS1_25partition_config_selectorILNS1_17partition_subalgoE0EiNS0_10empty_typeEbEEZZNS1_14partition_implILS5_0ELb0ES3_jN6thrust23THRUST_200600_302600_NS6detail15normal_iteratorINSA_10device_ptrIiEEEEPS6_SG_NS0_5tupleIJSF_SF_EEENSH_IJSG_SG_EEES6_PlJ7is_evenIiEEEE10hipError_tPvRmT3_T4_T5_T6_T7_T9_mT8_P12ihipStream_tbDpT10_ENKUlT_T0_E_clISt17integral_constantIbLb0EES15_IbLb1EEEEDaS11_S12_EUlS11_E_NS1_11comp_targetILNS1_3genE2ELNS1_11target_archE906ELNS1_3gpuE6ELNS1_3repE0EEENS1_30default_config_static_selectorELNS0_4arch9wavefront6targetE1EEEvT1_, .Lfunc_end349-_ZN7rocprim17ROCPRIM_400000_NS6detail17trampoline_kernelINS0_14default_configENS1_25partition_config_selectorILNS1_17partition_subalgoE0EiNS0_10empty_typeEbEEZZNS1_14partition_implILS5_0ELb0ES3_jN6thrust23THRUST_200600_302600_NS6detail15normal_iteratorINSA_10device_ptrIiEEEEPS6_SG_NS0_5tupleIJSF_SF_EEENSH_IJSG_SG_EEES6_PlJ7is_evenIiEEEE10hipError_tPvRmT3_T4_T5_T6_T7_T9_mT8_P12ihipStream_tbDpT10_ENKUlT_T0_E_clISt17integral_constantIbLb0EES15_IbLb1EEEEDaS11_S12_EUlS11_E_NS1_11comp_targetILNS1_3genE2ELNS1_11target_archE906ELNS1_3gpuE6ELNS1_3repE0EEENS1_30default_config_static_selectorELNS0_4arch9wavefront6targetE1EEEvT1_
                                        ; -- End function
	.section	.AMDGPU.csdata,"",@progbits
; Kernel info:
; codeLenInByte = 0
; NumSgprs: 6
; NumVgprs: 0
; NumAgprs: 0
; TotalNumVgprs: 0
; ScratchSize: 0
; MemoryBound: 0
; FloatMode: 240
; IeeeMode: 1
; LDSByteSize: 0 bytes/workgroup (compile time only)
; SGPRBlocks: 0
; VGPRBlocks: 0
; NumSGPRsForWavesPerEU: 6
; NumVGPRsForWavesPerEU: 1
; AccumOffset: 4
; Occupancy: 8
; WaveLimiterHint : 0
; COMPUTE_PGM_RSRC2:SCRATCH_EN: 0
; COMPUTE_PGM_RSRC2:USER_SGPR: 2
; COMPUTE_PGM_RSRC2:TRAP_HANDLER: 0
; COMPUTE_PGM_RSRC2:TGID_X_EN: 1
; COMPUTE_PGM_RSRC2:TGID_Y_EN: 0
; COMPUTE_PGM_RSRC2:TGID_Z_EN: 0
; COMPUTE_PGM_RSRC2:TIDIG_COMP_CNT: 0
; COMPUTE_PGM_RSRC3_GFX90A:ACCUM_OFFSET: 0
; COMPUTE_PGM_RSRC3_GFX90A:TG_SPLIT: 0
	.section	.text._ZN7rocprim17ROCPRIM_400000_NS6detail17trampoline_kernelINS0_14default_configENS1_25partition_config_selectorILNS1_17partition_subalgoE0EiNS0_10empty_typeEbEEZZNS1_14partition_implILS5_0ELb0ES3_jN6thrust23THRUST_200600_302600_NS6detail15normal_iteratorINSA_10device_ptrIiEEEEPS6_SG_NS0_5tupleIJSF_SF_EEENSH_IJSG_SG_EEES6_PlJ7is_evenIiEEEE10hipError_tPvRmT3_T4_T5_T6_T7_T9_mT8_P12ihipStream_tbDpT10_ENKUlT_T0_E_clISt17integral_constantIbLb0EES15_IbLb1EEEEDaS11_S12_EUlS11_E_NS1_11comp_targetILNS1_3genE10ELNS1_11target_archE1200ELNS1_3gpuE4ELNS1_3repE0EEENS1_30default_config_static_selectorELNS0_4arch9wavefront6targetE1EEEvT1_,"axG",@progbits,_ZN7rocprim17ROCPRIM_400000_NS6detail17trampoline_kernelINS0_14default_configENS1_25partition_config_selectorILNS1_17partition_subalgoE0EiNS0_10empty_typeEbEEZZNS1_14partition_implILS5_0ELb0ES3_jN6thrust23THRUST_200600_302600_NS6detail15normal_iteratorINSA_10device_ptrIiEEEEPS6_SG_NS0_5tupleIJSF_SF_EEENSH_IJSG_SG_EEES6_PlJ7is_evenIiEEEE10hipError_tPvRmT3_T4_T5_T6_T7_T9_mT8_P12ihipStream_tbDpT10_ENKUlT_T0_E_clISt17integral_constantIbLb0EES15_IbLb1EEEEDaS11_S12_EUlS11_E_NS1_11comp_targetILNS1_3genE10ELNS1_11target_archE1200ELNS1_3gpuE4ELNS1_3repE0EEENS1_30default_config_static_selectorELNS0_4arch9wavefront6targetE1EEEvT1_,comdat
	.protected	_ZN7rocprim17ROCPRIM_400000_NS6detail17trampoline_kernelINS0_14default_configENS1_25partition_config_selectorILNS1_17partition_subalgoE0EiNS0_10empty_typeEbEEZZNS1_14partition_implILS5_0ELb0ES3_jN6thrust23THRUST_200600_302600_NS6detail15normal_iteratorINSA_10device_ptrIiEEEEPS6_SG_NS0_5tupleIJSF_SF_EEENSH_IJSG_SG_EEES6_PlJ7is_evenIiEEEE10hipError_tPvRmT3_T4_T5_T6_T7_T9_mT8_P12ihipStream_tbDpT10_ENKUlT_T0_E_clISt17integral_constantIbLb0EES15_IbLb1EEEEDaS11_S12_EUlS11_E_NS1_11comp_targetILNS1_3genE10ELNS1_11target_archE1200ELNS1_3gpuE4ELNS1_3repE0EEENS1_30default_config_static_selectorELNS0_4arch9wavefront6targetE1EEEvT1_ ; -- Begin function _ZN7rocprim17ROCPRIM_400000_NS6detail17trampoline_kernelINS0_14default_configENS1_25partition_config_selectorILNS1_17partition_subalgoE0EiNS0_10empty_typeEbEEZZNS1_14partition_implILS5_0ELb0ES3_jN6thrust23THRUST_200600_302600_NS6detail15normal_iteratorINSA_10device_ptrIiEEEEPS6_SG_NS0_5tupleIJSF_SF_EEENSH_IJSG_SG_EEES6_PlJ7is_evenIiEEEE10hipError_tPvRmT3_T4_T5_T6_T7_T9_mT8_P12ihipStream_tbDpT10_ENKUlT_T0_E_clISt17integral_constantIbLb0EES15_IbLb1EEEEDaS11_S12_EUlS11_E_NS1_11comp_targetILNS1_3genE10ELNS1_11target_archE1200ELNS1_3gpuE4ELNS1_3repE0EEENS1_30default_config_static_selectorELNS0_4arch9wavefront6targetE1EEEvT1_
	.globl	_ZN7rocprim17ROCPRIM_400000_NS6detail17trampoline_kernelINS0_14default_configENS1_25partition_config_selectorILNS1_17partition_subalgoE0EiNS0_10empty_typeEbEEZZNS1_14partition_implILS5_0ELb0ES3_jN6thrust23THRUST_200600_302600_NS6detail15normal_iteratorINSA_10device_ptrIiEEEEPS6_SG_NS0_5tupleIJSF_SF_EEENSH_IJSG_SG_EEES6_PlJ7is_evenIiEEEE10hipError_tPvRmT3_T4_T5_T6_T7_T9_mT8_P12ihipStream_tbDpT10_ENKUlT_T0_E_clISt17integral_constantIbLb0EES15_IbLb1EEEEDaS11_S12_EUlS11_E_NS1_11comp_targetILNS1_3genE10ELNS1_11target_archE1200ELNS1_3gpuE4ELNS1_3repE0EEENS1_30default_config_static_selectorELNS0_4arch9wavefront6targetE1EEEvT1_
	.p2align	8
	.type	_ZN7rocprim17ROCPRIM_400000_NS6detail17trampoline_kernelINS0_14default_configENS1_25partition_config_selectorILNS1_17partition_subalgoE0EiNS0_10empty_typeEbEEZZNS1_14partition_implILS5_0ELb0ES3_jN6thrust23THRUST_200600_302600_NS6detail15normal_iteratorINSA_10device_ptrIiEEEEPS6_SG_NS0_5tupleIJSF_SF_EEENSH_IJSG_SG_EEES6_PlJ7is_evenIiEEEE10hipError_tPvRmT3_T4_T5_T6_T7_T9_mT8_P12ihipStream_tbDpT10_ENKUlT_T0_E_clISt17integral_constantIbLb0EES15_IbLb1EEEEDaS11_S12_EUlS11_E_NS1_11comp_targetILNS1_3genE10ELNS1_11target_archE1200ELNS1_3gpuE4ELNS1_3repE0EEENS1_30default_config_static_selectorELNS0_4arch9wavefront6targetE1EEEvT1_,@function
_ZN7rocprim17ROCPRIM_400000_NS6detail17trampoline_kernelINS0_14default_configENS1_25partition_config_selectorILNS1_17partition_subalgoE0EiNS0_10empty_typeEbEEZZNS1_14partition_implILS5_0ELb0ES3_jN6thrust23THRUST_200600_302600_NS6detail15normal_iteratorINSA_10device_ptrIiEEEEPS6_SG_NS0_5tupleIJSF_SF_EEENSH_IJSG_SG_EEES6_PlJ7is_evenIiEEEE10hipError_tPvRmT3_T4_T5_T6_T7_T9_mT8_P12ihipStream_tbDpT10_ENKUlT_T0_E_clISt17integral_constantIbLb0EES15_IbLb1EEEEDaS11_S12_EUlS11_E_NS1_11comp_targetILNS1_3genE10ELNS1_11target_archE1200ELNS1_3gpuE4ELNS1_3repE0EEENS1_30default_config_static_selectorELNS0_4arch9wavefront6targetE1EEEvT1_: ; @_ZN7rocprim17ROCPRIM_400000_NS6detail17trampoline_kernelINS0_14default_configENS1_25partition_config_selectorILNS1_17partition_subalgoE0EiNS0_10empty_typeEbEEZZNS1_14partition_implILS5_0ELb0ES3_jN6thrust23THRUST_200600_302600_NS6detail15normal_iteratorINSA_10device_ptrIiEEEEPS6_SG_NS0_5tupleIJSF_SF_EEENSH_IJSG_SG_EEES6_PlJ7is_evenIiEEEE10hipError_tPvRmT3_T4_T5_T6_T7_T9_mT8_P12ihipStream_tbDpT10_ENKUlT_T0_E_clISt17integral_constantIbLb0EES15_IbLb1EEEEDaS11_S12_EUlS11_E_NS1_11comp_targetILNS1_3genE10ELNS1_11target_archE1200ELNS1_3gpuE4ELNS1_3repE0EEENS1_30default_config_static_selectorELNS0_4arch9wavefront6targetE1EEEvT1_
; %bb.0:
	.section	.rodata,"a",@progbits
	.p2align	6, 0x0
	.amdhsa_kernel _ZN7rocprim17ROCPRIM_400000_NS6detail17trampoline_kernelINS0_14default_configENS1_25partition_config_selectorILNS1_17partition_subalgoE0EiNS0_10empty_typeEbEEZZNS1_14partition_implILS5_0ELb0ES3_jN6thrust23THRUST_200600_302600_NS6detail15normal_iteratorINSA_10device_ptrIiEEEEPS6_SG_NS0_5tupleIJSF_SF_EEENSH_IJSG_SG_EEES6_PlJ7is_evenIiEEEE10hipError_tPvRmT3_T4_T5_T6_T7_T9_mT8_P12ihipStream_tbDpT10_ENKUlT_T0_E_clISt17integral_constantIbLb0EES15_IbLb1EEEEDaS11_S12_EUlS11_E_NS1_11comp_targetILNS1_3genE10ELNS1_11target_archE1200ELNS1_3gpuE4ELNS1_3repE0EEENS1_30default_config_static_selectorELNS0_4arch9wavefront6targetE1EEEvT1_
		.amdhsa_group_segment_fixed_size 0
		.amdhsa_private_segment_fixed_size 0
		.amdhsa_kernarg_size 136
		.amdhsa_user_sgpr_count 2
		.amdhsa_user_sgpr_dispatch_ptr 0
		.amdhsa_user_sgpr_queue_ptr 0
		.amdhsa_user_sgpr_kernarg_segment_ptr 1
		.amdhsa_user_sgpr_dispatch_id 0
		.amdhsa_user_sgpr_kernarg_preload_length 0
		.amdhsa_user_sgpr_kernarg_preload_offset 0
		.amdhsa_user_sgpr_private_segment_size 0
		.amdhsa_uses_dynamic_stack 0
		.amdhsa_enable_private_segment 0
		.amdhsa_system_sgpr_workgroup_id_x 1
		.amdhsa_system_sgpr_workgroup_id_y 0
		.amdhsa_system_sgpr_workgroup_id_z 0
		.amdhsa_system_sgpr_workgroup_info 0
		.amdhsa_system_vgpr_workitem_id 0
		.amdhsa_next_free_vgpr 1
		.amdhsa_next_free_sgpr 0
		.amdhsa_accum_offset 4
		.amdhsa_reserve_vcc 0
		.amdhsa_float_round_mode_32 0
		.amdhsa_float_round_mode_16_64 0
		.amdhsa_float_denorm_mode_32 3
		.amdhsa_float_denorm_mode_16_64 3
		.amdhsa_dx10_clamp 1
		.amdhsa_ieee_mode 1
		.amdhsa_fp16_overflow 0
		.amdhsa_tg_split 0
		.amdhsa_exception_fp_ieee_invalid_op 0
		.amdhsa_exception_fp_denorm_src 0
		.amdhsa_exception_fp_ieee_div_zero 0
		.amdhsa_exception_fp_ieee_overflow 0
		.amdhsa_exception_fp_ieee_underflow 0
		.amdhsa_exception_fp_ieee_inexact 0
		.amdhsa_exception_int_div_zero 0
	.end_amdhsa_kernel
	.section	.text._ZN7rocprim17ROCPRIM_400000_NS6detail17trampoline_kernelINS0_14default_configENS1_25partition_config_selectorILNS1_17partition_subalgoE0EiNS0_10empty_typeEbEEZZNS1_14partition_implILS5_0ELb0ES3_jN6thrust23THRUST_200600_302600_NS6detail15normal_iteratorINSA_10device_ptrIiEEEEPS6_SG_NS0_5tupleIJSF_SF_EEENSH_IJSG_SG_EEES6_PlJ7is_evenIiEEEE10hipError_tPvRmT3_T4_T5_T6_T7_T9_mT8_P12ihipStream_tbDpT10_ENKUlT_T0_E_clISt17integral_constantIbLb0EES15_IbLb1EEEEDaS11_S12_EUlS11_E_NS1_11comp_targetILNS1_3genE10ELNS1_11target_archE1200ELNS1_3gpuE4ELNS1_3repE0EEENS1_30default_config_static_selectorELNS0_4arch9wavefront6targetE1EEEvT1_,"axG",@progbits,_ZN7rocprim17ROCPRIM_400000_NS6detail17trampoline_kernelINS0_14default_configENS1_25partition_config_selectorILNS1_17partition_subalgoE0EiNS0_10empty_typeEbEEZZNS1_14partition_implILS5_0ELb0ES3_jN6thrust23THRUST_200600_302600_NS6detail15normal_iteratorINSA_10device_ptrIiEEEEPS6_SG_NS0_5tupleIJSF_SF_EEENSH_IJSG_SG_EEES6_PlJ7is_evenIiEEEE10hipError_tPvRmT3_T4_T5_T6_T7_T9_mT8_P12ihipStream_tbDpT10_ENKUlT_T0_E_clISt17integral_constantIbLb0EES15_IbLb1EEEEDaS11_S12_EUlS11_E_NS1_11comp_targetILNS1_3genE10ELNS1_11target_archE1200ELNS1_3gpuE4ELNS1_3repE0EEENS1_30default_config_static_selectorELNS0_4arch9wavefront6targetE1EEEvT1_,comdat
.Lfunc_end350:
	.size	_ZN7rocprim17ROCPRIM_400000_NS6detail17trampoline_kernelINS0_14default_configENS1_25partition_config_selectorILNS1_17partition_subalgoE0EiNS0_10empty_typeEbEEZZNS1_14partition_implILS5_0ELb0ES3_jN6thrust23THRUST_200600_302600_NS6detail15normal_iteratorINSA_10device_ptrIiEEEEPS6_SG_NS0_5tupleIJSF_SF_EEENSH_IJSG_SG_EEES6_PlJ7is_evenIiEEEE10hipError_tPvRmT3_T4_T5_T6_T7_T9_mT8_P12ihipStream_tbDpT10_ENKUlT_T0_E_clISt17integral_constantIbLb0EES15_IbLb1EEEEDaS11_S12_EUlS11_E_NS1_11comp_targetILNS1_3genE10ELNS1_11target_archE1200ELNS1_3gpuE4ELNS1_3repE0EEENS1_30default_config_static_selectorELNS0_4arch9wavefront6targetE1EEEvT1_, .Lfunc_end350-_ZN7rocprim17ROCPRIM_400000_NS6detail17trampoline_kernelINS0_14default_configENS1_25partition_config_selectorILNS1_17partition_subalgoE0EiNS0_10empty_typeEbEEZZNS1_14partition_implILS5_0ELb0ES3_jN6thrust23THRUST_200600_302600_NS6detail15normal_iteratorINSA_10device_ptrIiEEEEPS6_SG_NS0_5tupleIJSF_SF_EEENSH_IJSG_SG_EEES6_PlJ7is_evenIiEEEE10hipError_tPvRmT3_T4_T5_T6_T7_T9_mT8_P12ihipStream_tbDpT10_ENKUlT_T0_E_clISt17integral_constantIbLb0EES15_IbLb1EEEEDaS11_S12_EUlS11_E_NS1_11comp_targetILNS1_3genE10ELNS1_11target_archE1200ELNS1_3gpuE4ELNS1_3repE0EEENS1_30default_config_static_selectorELNS0_4arch9wavefront6targetE1EEEvT1_
                                        ; -- End function
	.section	.AMDGPU.csdata,"",@progbits
; Kernel info:
; codeLenInByte = 0
; NumSgprs: 6
; NumVgprs: 0
; NumAgprs: 0
; TotalNumVgprs: 0
; ScratchSize: 0
; MemoryBound: 0
; FloatMode: 240
; IeeeMode: 1
; LDSByteSize: 0 bytes/workgroup (compile time only)
; SGPRBlocks: 0
; VGPRBlocks: 0
; NumSGPRsForWavesPerEU: 6
; NumVGPRsForWavesPerEU: 1
; AccumOffset: 4
; Occupancy: 8
; WaveLimiterHint : 0
; COMPUTE_PGM_RSRC2:SCRATCH_EN: 0
; COMPUTE_PGM_RSRC2:USER_SGPR: 2
; COMPUTE_PGM_RSRC2:TRAP_HANDLER: 0
; COMPUTE_PGM_RSRC2:TGID_X_EN: 1
; COMPUTE_PGM_RSRC2:TGID_Y_EN: 0
; COMPUTE_PGM_RSRC2:TGID_Z_EN: 0
; COMPUTE_PGM_RSRC2:TIDIG_COMP_CNT: 0
; COMPUTE_PGM_RSRC3_GFX90A:ACCUM_OFFSET: 0
; COMPUTE_PGM_RSRC3_GFX90A:TG_SPLIT: 0
	.section	.text._ZN7rocprim17ROCPRIM_400000_NS6detail17trampoline_kernelINS0_14default_configENS1_25partition_config_selectorILNS1_17partition_subalgoE0EiNS0_10empty_typeEbEEZZNS1_14partition_implILS5_0ELb0ES3_jN6thrust23THRUST_200600_302600_NS6detail15normal_iteratorINSA_10device_ptrIiEEEEPS6_SG_NS0_5tupleIJSF_SF_EEENSH_IJSG_SG_EEES6_PlJ7is_evenIiEEEE10hipError_tPvRmT3_T4_T5_T6_T7_T9_mT8_P12ihipStream_tbDpT10_ENKUlT_T0_E_clISt17integral_constantIbLb0EES15_IbLb1EEEEDaS11_S12_EUlS11_E_NS1_11comp_targetILNS1_3genE9ELNS1_11target_archE1100ELNS1_3gpuE3ELNS1_3repE0EEENS1_30default_config_static_selectorELNS0_4arch9wavefront6targetE1EEEvT1_,"axG",@progbits,_ZN7rocprim17ROCPRIM_400000_NS6detail17trampoline_kernelINS0_14default_configENS1_25partition_config_selectorILNS1_17partition_subalgoE0EiNS0_10empty_typeEbEEZZNS1_14partition_implILS5_0ELb0ES3_jN6thrust23THRUST_200600_302600_NS6detail15normal_iteratorINSA_10device_ptrIiEEEEPS6_SG_NS0_5tupleIJSF_SF_EEENSH_IJSG_SG_EEES6_PlJ7is_evenIiEEEE10hipError_tPvRmT3_T4_T5_T6_T7_T9_mT8_P12ihipStream_tbDpT10_ENKUlT_T0_E_clISt17integral_constantIbLb0EES15_IbLb1EEEEDaS11_S12_EUlS11_E_NS1_11comp_targetILNS1_3genE9ELNS1_11target_archE1100ELNS1_3gpuE3ELNS1_3repE0EEENS1_30default_config_static_selectorELNS0_4arch9wavefront6targetE1EEEvT1_,comdat
	.protected	_ZN7rocprim17ROCPRIM_400000_NS6detail17trampoline_kernelINS0_14default_configENS1_25partition_config_selectorILNS1_17partition_subalgoE0EiNS0_10empty_typeEbEEZZNS1_14partition_implILS5_0ELb0ES3_jN6thrust23THRUST_200600_302600_NS6detail15normal_iteratorINSA_10device_ptrIiEEEEPS6_SG_NS0_5tupleIJSF_SF_EEENSH_IJSG_SG_EEES6_PlJ7is_evenIiEEEE10hipError_tPvRmT3_T4_T5_T6_T7_T9_mT8_P12ihipStream_tbDpT10_ENKUlT_T0_E_clISt17integral_constantIbLb0EES15_IbLb1EEEEDaS11_S12_EUlS11_E_NS1_11comp_targetILNS1_3genE9ELNS1_11target_archE1100ELNS1_3gpuE3ELNS1_3repE0EEENS1_30default_config_static_selectorELNS0_4arch9wavefront6targetE1EEEvT1_ ; -- Begin function _ZN7rocprim17ROCPRIM_400000_NS6detail17trampoline_kernelINS0_14default_configENS1_25partition_config_selectorILNS1_17partition_subalgoE0EiNS0_10empty_typeEbEEZZNS1_14partition_implILS5_0ELb0ES3_jN6thrust23THRUST_200600_302600_NS6detail15normal_iteratorINSA_10device_ptrIiEEEEPS6_SG_NS0_5tupleIJSF_SF_EEENSH_IJSG_SG_EEES6_PlJ7is_evenIiEEEE10hipError_tPvRmT3_T4_T5_T6_T7_T9_mT8_P12ihipStream_tbDpT10_ENKUlT_T0_E_clISt17integral_constantIbLb0EES15_IbLb1EEEEDaS11_S12_EUlS11_E_NS1_11comp_targetILNS1_3genE9ELNS1_11target_archE1100ELNS1_3gpuE3ELNS1_3repE0EEENS1_30default_config_static_selectorELNS0_4arch9wavefront6targetE1EEEvT1_
	.globl	_ZN7rocprim17ROCPRIM_400000_NS6detail17trampoline_kernelINS0_14default_configENS1_25partition_config_selectorILNS1_17partition_subalgoE0EiNS0_10empty_typeEbEEZZNS1_14partition_implILS5_0ELb0ES3_jN6thrust23THRUST_200600_302600_NS6detail15normal_iteratorINSA_10device_ptrIiEEEEPS6_SG_NS0_5tupleIJSF_SF_EEENSH_IJSG_SG_EEES6_PlJ7is_evenIiEEEE10hipError_tPvRmT3_T4_T5_T6_T7_T9_mT8_P12ihipStream_tbDpT10_ENKUlT_T0_E_clISt17integral_constantIbLb0EES15_IbLb1EEEEDaS11_S12_EUlS11_E_NS1_11comp_targetILNS1_3genE9ELNS1_11target_archE1100ELNS1_3gpuE3ELNS1_3repE0EEENS1_30default_config_static_selectorELNS0_4arch9wavefront6targetE1EEEvT1_
	.p2align	8
	.type	_ZN7rocprim17ROCPRIM_400000_NS6detail17trampoline_kernelINS0_14default_configENS1_25partition_config_selectorILNS1_17partition_subalgoE0EiNS0_10empty_typeEbEEZZNS1_14partition_implILS5_0ELb0ES3_jN6thrust23THRUST_200600_302600_NS6detail15normal_iteratorINSA_10device_ptrIiEEEEPS6_SG_NS0_5tupleIJSF_SF_EEENSH_IJSG_SG_EEES6_PlJ7is_evenIiEEEE10hipError_tPvRmT3_T4_T5_T6_T7_T9_mT8_P12ihipStream_tbDpT10_ENKUlT_T0_E_clISt17integral_constantIbLb0EES15_IbLb1EEEEDaS11_S12_EUlS11_E_NS1_11comp_targetILNS1_3genE9ELNS1_11target_archE1100ELNS1_3gpuE3ELNS1_3repE0EEENS1_30default_config_static_selectorELNS0_4arch9wavefront6targetE1EEEvT1_,@function
_ZN7rocprim17ROCPRIM_400000_NS6detail17trampoline_kernelINS0_14default_configENS1_25partition_config_selectorILNS1_17partition_subalgoE0EiNS0_10empty_typeEbEEZZNS1_14partition_implILS5_0ELb0ES3_jN6thrust23THRUST_200600_302600_NS6detail15normal_iteratorINSA_10device_ptrIiEEEEPS6_SG_NS0_5tupleIJSF_SF_EEENSH_IJSG_SG_EEES6_PlJ7is_evenIiEEEE10hipError_tPvRmT3_T4_T5_T6_T7_T9_mT8_P12ihipStream_tbDpT10_ENKUlT_T0_E_clISt17integral_constantIbLb0EES15_IbLb1EEEEDaS11_S12_EUlS11_E_NS1_11comp_targetILNS1_3genE9ELNS1_11target_archE1100ELNS1_3gpuE3ELNS1_3repE0EEENS1_30default_config_static_selectorELNS0_4arch9wavefront6targetE1EEEvT1_: ; @_ZN7rocprim17ROCPRIM_400000_NS6detail17trampoline_kernelINS0_14default_configENS1_25partition_config_selectorILNS1_17partition_subalgoE0EiNS0_10empty_typeEbEEZZNS1_14partition_implILS5_0ELb0ES3_jN6thrust23THRUST_200600_302600_NS6detail15normal_iteratorINSA_10device_ptrIiEEEEPS6_SG_NS0_5tupleIJSF_SF_EEENSH_IJSG_SG_EEES6_PlJ7is_evenIiEEEE10hipError_tPvRmT3_T4_T5_T6_T7_T9_mT8_P12ihipStream_tbDpT10_ENKUlT_T0_E_clISt17integral_constantIbLb0EES15_IbLb1EEEEDaS11_S12_EUlS11_E_NS1_11comp_targetILNS1_3genE9ELNS1_11target_archE1100ELNS1_3gpuE3ELNS1_3repE0EEENS1_30default_config_static_selectorELNS0_4arch9wavefront6targetE1EEEvT1_
; %bb.0:
	.section	.rodata,"a",@progbits
	.p2align	6, 0x0
	.amdhsa_kernel _ZN7rocprim17ROCPRIM_400000_NS6detail17trampoline_kernelINS0_14default_configENS1_25partition_config_selectorILNS1_17partition_subalgoE0EiNS0_10empty_typeEbEEZZNS1_14partition_implILS5_0ELb0ES3_jN6thrust23THRUST_200600_302600_NS6detail15normal_iteratorINSA_10device_ptrIiEEEEPS6_SG_NS0_5tupleIJSF_SF_EEENSH_IJSG_SG_EEES6_PlJ7is_evenIiEEEE10hipError_tPvRmT3_T4_T5_T6_T7_T9_mT8_P12ihipStream_tbDpT10_ENKUlT_T0_E_clISt17integral_constantIbLb0EES15_IbLb1EEEEDaS11_S12_EUlS11_E_NS1_11comp_targetILNS1_3genE9ELNS1_11target_archE1100ELNS1_3gpuE3ELNS1_3repE0EEENS1_30default_config_static_selectorELNS0_4arch9wavefront6targetE1EEEvT1_
		.amdhsa_group_segment_fixed_size 0
		.amdhsa_private_segment_fixed_size 0
		.amdhsa_kernarg_size 136
		.amdhsa_user_sgpr_count 2
		.amdhsa_user_sgpr_dispatch_ptr 0
		.amdhsa_user_sgpr_queue_ptr 0
		.amdhsa_user_sgpr_kernarg_segment_ptr 1
		.amdhsa_user_sgpr_dispatch_id 0
		.amdhsa_user_sgpr_kernarg_preload_length 0
		.amdhsa_user_sgpr_kernarg_preload_offset 0
		.amdhsa_user_sgpr_private_segment_size 0
		.amdhsa_uses_dynamic_stack 0
		.amdhsa_enable_private_segment 0
		.amdhsa_system_sgpr_workgroup_id_x 1
		.amdhsa_system_sgpr_workgroup_id_y 0
		.amdhsa_system_sgpr_workgroup_id_z 0
		.amdhsa_system_sgpr_workgroup_info 0
		.amdhsa_system_vgpr_workitem_id 0
		.amdhsa_next_free_vgpr 1
		.amdhsa_next_free_sgpr 0
		.amdhsa_accum_offset 4
		.amdhsa_reserve_vcc 0
		.amdhsa_float_round_mode_32 0
		.amdhsa_float_round_mode_16_64 0
		.amdhsa_float_denorm_mode_32 3
		.amdhsa_float_denorm_mode_16_64 3
		.amdhsa_dx10_clamp 1
		.amdhsa_ieee_mode 1
		.amdhsa_fp16_overflow 0
		.amdhsa_tg_split 0
		.amdhsa_exception_fp_ieee_invalid_op 0
		.amdhsa_exception_fp_denorm_src 0
		.amdhsa_exception_fp_ieee_div_zero 0
		.amdhsa_exception_fp_ieee_overflow 0
		.amdhsa_exception_fp_ieee_underflow 0
		.amdhsa_exception_fp_ieee_inexact 0
		.amdhsa_exception_int_div_zero 0
	.end_amdhsa_kernel
	.section	.text._ZN7rocprim17ROCPRIM_400000_NS6detail17trampoline_kernelINS0_14default_configENS1_25partition_config_selectorILNS1_17partition_subalgoE0EiNS0_10empty_typeEbEEZZNS1_14partition_implILS5_0ELb0ES3_jN6thrust23THRUST_200600_302600_NS6detail15normal_iteratorINSA_10device_ptrIiEEEEPS6_SG_NS0_5tupleIJSF_SF_EEENSH_IJSG_SG_EEES6_PlJ7is_evenIiEEEE10hipError_tPvRmT3_T4_T5_T6_T7_T9_mT8_P12ihipStream_tbDpT10_ENKUlT_T0_E_clISt17integral_constantIbLb0EES15_IbLb1EEEEDaS11_S12_EUlS11_E_NS1_11comp_targetILNS1_3genE9ELNS1_11target_archE1100ELNS1_3gpuE3ELNS1_3repE0EEENS1_30default_config_static_selectorELNS0_4arch9wavefront6targetE1EEEvT1_,"axG",@progbits,_ZN7rocprim17ROCPRIM_400000_NS6detail17trampoline_kernelINS0_14default_configENS1_25partition_config_selectorILNS1_17partition_subalgoE0EiNS0_10empty_typeEbEEZZNS1_14partition_implILS5_0ELb0ES3_jN6thrust23THRUST_200600_302600_NS6detail15normal_iteratorINSA_10device_ptrIiEEEEPS6_SG_NS0_5tupleIJSF_SF_EEENSH_IJSG_SG_EEES6_PlJ7is_evenIiEEEE10hipError_tPvRmT3_T4_T5_T6_T7_T9_mT8_P12ihipStream_tbDpT10_ENKUlT_T0_E_clISt17integral_constantIbLb0EES15_IbLb1EEEEDaS11_S12_EUlS11_E_NS1_11comp_targetILNS1_3genE9ELNS1_11target_archE1100ELNS1_3gpuE3ELNS1_3repE0EEENS1_30default_config_static_selectorELNS0_4arch9wavefront6targetE1EEEvT1_,comdat
.Lfunc_end351:
	.size	_ZN7rocprim17ROCPRIM_400000_NS6detail17trampoline_kernelINS0_14default_configENS1_25partition_config_selectorILNS1_17partition_subalgoE0EiNS0_10empty_typeEbEEZZNS1_14partition_implILS5_0ELb0ES3_jN6thrust23THRUST_200600_302600_NS6detail15normal_iteratorINSA_10device_ptrIiEEEEPS6_SG_NS0_5tupleIJSF_SF_EEENSH_IJSG_SG_EEES6_PlJ7is_evenIiEEEE10hipError_tPvRmT3_T4_T5_T6_T7_T9_mT8_P12ihipStream_tbDpT10_ENKUlT_T0_E_clISt17integral_constantIbLb0EES15_IbLb1EEEEDaS11_S12_EUlS11_E_NS1_11comp_targetILNS1_3genE9ELNS1_11target_archE1100ELNS1_3gpuE3ELNS1_3repE0EEENS1_30default_config_static_selectorELNS0_4arch9wavefront6targetE1EEEvT1_, .Lfunc_end351-_ZN7rocprim17ROCPRIM_400000_NS6detail17trampoline_kernelINS0_14default_configENS1_25partition_config_selectorILNS1_17partition_subalgoE0EiNS0_10empty_typeEbEEZZNS1_14partition_implILS5_0ELb0ES3_jN6thrust23THRUST_200600_302600_NS6detail15normal_iteratorINSA_10device_ptrIiEEEEPS6_SG_NS0_5tupleIJSF_SF_EEENSH_IJSG_SG_EEES6_PlJ7is_evenIiEEEE10hipError_tPvRmT3_T4_T5_T6_T7_T9_mT8_P12ihipStream_tbDpT10_ENKUlT_T0_E_clISt17integral_constantIbLb0EES15_IbLb1EEEEDaS11_S12_EUlS11_E_NS1_11comp_targetILNS1_3genE9ELNS1_11target_archE1100ELNS1_3gpuE3ELNS1_3repE0EEENS1_30default_config_static_selectorELNS0_4arch9wavefront6targetE1EEEvT1_
                                        ; -- End function
	.section	.AMDGPU.csdata,"",@progbits
; Kernel info:
; codeLenInByte = 0
; NumSgprs: 6
; NumVgprs: 0
; NumAgprs: 0
; TotalNumVgprs: 0
; ScratchSize: 0
; MemoryBound: 0
; FloatMode: 240
; IeeeMode: 1
; LDSByteSize: 0 bytes/workgroup (compile time only)
; SGPRBlocks: 0
; VGPRBlocks: 0
; NumSGPRsForWavesPerEU: 6
; NumVGPRsForWavesPerEU: 1
; AccumOffset: 4
; Occupancy: 8
; WaveLimiterHint : 0
; COMPUTE_PGM_RSRC2:SCRATCH_EN: 0
; COMPUTE_PGM_RSRC2:USER_SGPR: 2
; COMPUTE_PGM_RSRC2:TRAP_HANDLER: 0
; COMPUTE_PGM_RSRC2:TGID_X_EN: 1
; COMPUTE_PGM_RSRC2:TGID_Y_EN: 0
; COMPUTE_PGM_RSRC2:TGID_Z_EN: 0
; COMPUTE_PGM_RSRC2:TIDIG_COMP_CNT: 0
; COMPUTE_PGM_RSRC3_GFX90A:ACCUM_OFFSET: 0
; COMPUTE_PGM_RSRC3_GFX90A:TG_SPLIT: 0
	.section	.text._ZN7rocprim17ROCPRIM_400000_NS6detail17trampoline_kernelINS0_14default_configENS1_25partition_config_selectorILNS1_17partition_subalgoE0EiNS0_10empty_typeEbEEZZNS1_14partition_implILS5_0ELb0ES3_jN6thrust23THRUST_200600_302600_NS6detail15normal_iteratorINSA_10device_ptrIiEEEEPS6_SG_NS0_5tupleIJSF_SF_EEENSH_IJSG_SG_EEES6_PlJ7is_evenIiEEEE10hipError_tPvRmT3_T4_T5_T6_T7_T9_mT8_P12ihipStream_tbDpT10_ENKUlT_T0_E_clISt17integral_constantIbLb0EES15_IbLb1EEEEDaS11_S12_EUlS11_E_NS1_11comp_targetILNS1_3genE8ELNS1_11target_archE1030ELNS1_3gpuE2ELNS1_3repE0EEENS1_30default_config_static_selectorELNS0_4arch9wavefront6targetE1EEEvT1_,"axG",@progbits,_ZN7rocprim17ROCPRIM_400000_NS6detail17trampoline_kernelINS0_14default_configENS1_25partition_config_selectorILNS1_17partition_subalgoE0EiNS0_10empty_typeEbEEZZNS1_14partition_implILS5_0ELb0ES3_jN6thrust23THRUST_200600_302600_NS6detail15normal_iteratorINSA_10device_ptrIiEEEEPS6_SG_NS0_5tupleIJSF_SF_EEENSH_IJSG_SG_EEES6_PlJ7is_evenIiEEEE10hipError_tPvRmT3_T4_T5_T6_T7_T9_mT8_P12ihipStream_tbDpT10_ENKUlT_T0_E_clISt17integral_constantIbLb0EES15_IbLb1EEEEDaS11_S12_EUlS11_E_NS1_11comp_targetILNS1_3genE8ELNS1_11target_archE1030ELNS1_3gpuE2ELNS1_3repE0EEENS1_30default_config_static_selectorELNS0_4arch9wavefront6targetE1EEEvT1_,comdat
	.protected	_ZN7rocprim17ROCPRIM_400000_NS6detail17trampoline_kernelINS0_14default_configENS1_25partition_config_selectorILNS1_17partition_subalgoE0EiNS0_10empty_typeEbEEZZNS1_14partition_implILS5_0ELb0ES3_jN6thrust23THRUST_200600_302600_NS6detail15normal_iteratorINSA_10device_ptrIiEEEEPS6_SG_NS0_5tupleIJSF_SF_EEENSH_IJSG_SG_EEES6_PlJ7is_evenIiEEEE10hipError_tPvRmT3_T4_T5_T6_T7_T9_mT8_P12ihipStream_tbDpT10_ENKUlT_T0_E_clISt17integral_constantIbLb0EES15_IbLb1EEEEDaS11_S12_EUlS11_E_NS1_11comp_targetILNS1_3genE8ELNS1_11target_archE1030ELNS1_3gpuE2ELNS1_3repE0EEENS1_30default_config_static_selectorELNS0_4arch9wavefront6targetE1EEEvT1_ ; -- Begin function _ZN7rocprim17ROCPRIM_400000_NS6detail17trampoline_kernelINS0_14default_configENS1_25partition_config_selectorILNS1_17partition_subalgoE0EiNS0_10empty_typeEbEEZZNS1_14partition_implILS5_0ELb0ES3_jN6thrust23THRUST_200600_302600_NS6detail15normal_iteratorINSA_10device_ptrIiEEEEPS6_SG_NS0_5tupleIJSF_SF_EEENSH_IJSG_SG_EEES6_PlJ7is_evenIiEEEE10hipError_tPvRmT3_T4_T5_T6_T7_T9_mT8_P12ihipStream_tbDpT10_ENKUlT_T0_E_clISt17integral_constantIbLb0EES15_IbLb1EEEEDaS11_S12_EUlS11_E_NS1_11comp_targetILNS1_3genE8ELNS1_11target_archE1030ELNS1_3gpuE2ELNS1_3repE0EEENS1_30default_config_static_selectorELNS0_4arch9wavefront6targetE1EEEvT1_
	.globl	_ZN7rocprim17ROCPRIM_400000_NS6detail17trampoline_kernelINS0_14default_configENS1_25partition_config_selectorILNS1_17partition_subalgoE0EiNS0_10empty_typeEbEEZZNS1_14partition_implILS5_0ELb0ES3_jN6thrust23THRUST_200600_302600_NS6detail15normal_iteratorINSA_10device_ptrIiEEEEPS6_SG_NS0_5tupleIJSF_SF_EEENSH_IJSG_SG_EEES6_PlJ7is_evenIiEEEE10hipError_tPvRmT3_T4_T5_T6_T7_T9_mT8_P12ihipStream_tbDpT10_ENKUlT_T0_E_clISt17integral_constantIbLb0EES15_IbLb1EEEEDaS11_S12_EUlS11_E_NS1_11comp_targetILNS1_3genE8ELNS1_11target_archE1030ELNS1_3gpuE2ELNS1_3repE0EEENS1_30default_config_static_selectorELNS0_4arch9wavefront6targetE1EEEvT1_
	.p2align	8
	.type	_ZN7rocprim17ROCPRIM_400000_NS6detail17trampoline_kernelINS0_14default_configENS1_25partition_config_selectorILNS1_17partition_subalgoE0EiNS0_10empty_typeEbEEZZNS1_14partition_implILS5_0ELb0ES3_jN6thrust23THRUST_200600_302600_NS6detail15normal_iteratorINSA_10device_ptrIiEEEEPS6_SG_NS0_5tupleIJSF_SF_EEENSH_IJSG_SG_EEES6_PlJ7is_evenIiEEEE10hipError_tPvRmT3_T4_T5_T6_T7_T9_mT8_P12ihipStream_tbDpT10_ENKUlT_T0_E_clISt17integral_constantIbLb0EES15_IbLb1EEEEDaS11_S12_EUlS11_E_NS1_11comp_targetILNS1_3genE8ELNS1_11target_archE1030ELNS1_3gpuE2ELNS1_3repE0EEENS1_30default_config_static_selectorELNS0_4arch9wavefront6targetE1EEEvT1_,@function
_ZN7rocprim17ROCPRIM_400000_NS6detail17trampoline_kernelINS0_14default_configENS1_25partition_config_selectorILNS1_17partition_subalgoE0EiNS0_10empty_typeEbEEZZNS1_14partition_implILS5_0ELb0ES3_jN6thrust23THRUST_200600_302600_NS6detail15normal_iteratorINSA_10device_ptrIiEEEEPS6_SG_NS0_5tupleIJSF_SF_EEENSH_IJSG_SG_EEES6_PlJ7is_evenIiEEEE10hipError_tPvRmT3_T4_T5_T6_T7_T9_mT8_P12ihipStream_tbDpT10_ENKUlT_T0_E_clISt17integral_constantIbLb0EES15_IbLb1EEEEDaS11_S12_EUlS11_E_NS1_11comp_targetILNS1_3genE8ELNS1_11target_archE1030ELNS1_3gpuE2ELNS1_3repE0EEENS1_30default_config_static_selectorELNS0_4arch9wavefront6targetE1EEEvT1_: ; @_ZN7rocprim17ROCPRIM_400000_NS6detail17trampoline_kernelINS0_14default_configENS1_25partition_config_selectorILNS1_17partition_subalgoE0EiNS0_10empty_typeEbEEZZNS1_14partition_implILS5_0ELb0ES3_jN6thrust23THRUST_200600_302600_NS6detail15normal_iteratorINSA_10device_ptrIiEEEEPS6_SG_NS0_5tupleIJSF_SF_EEENSH_IJSG_SG_EEES6_PlJ7is_evenIiEEEE10hipError_tPvRmT3_T4_T5_T6_T7_T9_mT8_P12ihipStream_tbDpT10_ENKUlT_T0_E_clISt17integral_constantIbLb0EES15_IbLb1EEEEDaS11_S12_EUlS11_E_NS1_11comp_targetILNS1_3genE8ELNS1_11target_archE1030ELNS1_3gpuE2ELNS1_3repE0EEENS1_30default_config_static_selectorELNS0_4arch9wavefront6targetE1EEEvT1_
; %bb.0:
	.section	.rodata,"a",@progbits
	.p2align	6, 0x0
	.amdhsa_kernel _ZN7rocprim17ROCPRIM_400000_NS6detail17trampoline_kernelINS0_14default_configENS1_25partition_config_selectorILNS1_17partition_subalgoE0EiNS0_10empty_typeEbEEZZNS1_14partition_implILS5_0ELb0ES3_jN6thrust23THRUST_200600_302600_NS6detail15normal_iteratorINSA_10device_ptrIiEEEEPS6_SG_NS0_5tupleIJSF_SF_EEENSH_IJSG_SG_EEES6_PlJ7is_evenIiEEEE10hipError_tPvRmT3_T4_T5_T6_T7_T9_mT8_P12ihipStream_tbDpT10_ENKUlT_T0_E_clISt17integral_constantIbLb0EES15_IbLb1EEEEDaS11_S12_EUlS11_E_NS1_11comp_targetILNS1_3genE8ELNS1_11target_archE1030ELNS1_3gpuE2ELNS1_3repE0EEENS1_30default_config_static_selectorELNS0_4arch9wavefront6targetE1EEEvT1_
		.amdhsa_group_segment_fixed_size 0
		.amdhsa_private_segment_fixed_size 0
		.amdhsa_kernarg_size 136
		.amdhsa_user_sgpr_count 2
		.amdhsa_user_sgpr_dispatch_ptr 0
		.amdhsa_user_sgpr_queue_ptr 0
		.amdhsa_user_sgpr_kernarg_segment_ptr 1
		.amdhsa_user_sgpr_dispatch_id 0
		.amdhsa_user_sgpr_kernarg_preload_length 0
		.amdhsa_user_sgpr_kernarg_preload_offset 0
		.amdhsa_user_sgpr_private_segment_size 0
		.amdhsa_uses_dynamic_stack 0
		.amdhsa_enable_private_segment 0
		.amdhsa_system_sgpr_workgroup_id_x 1
		.amdhsa_system_sgpr_workgroup_id_y 0
		.amdhsa_system_sgpr_workgroup_id_z 0
		.amdhsa_system_sgpr_workgroup_info 0
		.amdhsa_system_vgpr_workitem_id 0
		.amdhsa_next_free_vgpr 1
		.amdhsa_next_free_sgpr 0
		.amdhsa_accum_offset 4
		.amdhsa_reserve_vcc 0
		.amdhsa_float_round_mode_32 0
		.amdhsa_float_round_mode_16_64 0
		.amdhsa_float_denorm_mode_32 3
		.amdhsa_float_denorm_mode_16_64 3
		.amdhsa_dx10_clamp 1
		.amdhsa_ieee_mode 1
		.amdhsa_fp16_overflow 0
		.amdhsa_tg_split 0
		.amdhsa_exception_fp_ieee_invalid_op 0
		.amdhsa_exception_fp_denorm_src 0
		.amdhsa_exception_fp_ieee_div_zero 0
		.amdhsa_exception_fp_ieee_overflow 0
		.amdhsa_exception_fp_ieee_underflow 0
		.amdhsa_exception_fp_ieee_inexact 0
		.amdhsa_exception_int_div_zero 0
	.end_amdhsa_kernel
	.section	.text._ZN7rocprim17ROCPRIM_400000_NS6detail17trampoline_kernelINS0_14default_configENS1_25partition_config_selectorILNS1_17partition_subalgoE0EiNS0_10empty_typeEbEEZZNS1_14partition_implILS5_0ELb0ES3_jN6thrust23THRUST_200600_302600_NS6detail15normal_iteratorINSA_10device_ptrIiEEEEPS6_SG_NS0_5tupleIJSF_SF_EEENSH_IJSG_SG_EEES6_PlJ7is_evenIiEEEE10hipError_tPvRmT3_T4_T5_T6_T7_T9_mT8_P12ihipStream_tbDpT10_ENKUlT_T0_E_clISt17integral_constantIbLb0EES15_IbLb1EEEEDaS11_S12_EUlS11_E_NS1_11comp_targetILNS1_3genE8ELNS1_11target_archE1030ELNS1_3gpuE2ELNS1_3repE0EEENS1_30default_config_static_selectorELNS0_4arch9wavefront6targetE1EEEvT1_,"axG",@progbits,_ZN7rocprim17ROCPRIM_400000_NS6detail17trampoline_kernelINS0_14default_configENS1_25partition_config_selectorILNS1_17partition_subalgoE0EiNS0_10empty_typeEbEEZZNS1_14partition_implILS5_0ELb0ES3_jN6thrust23THRUST_200600_302600_NS6detail15normal_iteratorINSA_10device_ptrIiEEEEPS6_SG_NS0_5tupleIJSF_SF_EEENSH_IJSG_SG_EEES6_PlJ7is_evenIiEEEE10hipError_tPvRmT3_T4_T5_T6_T7_T9_mT8_P12ihipStream_tbDpT10_ENKUlT_T0_E_clISt17integral_constantIbLb0EES15_IbLb1EEEEDaS11_S12_EUlS11_E_NS1_11comp_targetILNS1_3genE8ELNS1_11target_archE1030ELNS1_3gpuE2ELNS1_3repE0EEENS1_30default_config_static_selectorELNS0_4arch9wavefront6targetE1EEEvT1_,comdat
.Lfunc_end352:
	.size	_ZN7rocprim17ROCPRIM_400000_NS6detail17trampoline_kernelINS0_14default_configENS1_25partition_config_selectorILNS1_17partition_subalgoE0EiNS0_10empty_typeEbEEZZNS1_14partition_implILS5_0ELb0ES3_jN6thrust23THRUST_200600_302600_NS6detail15normal_iteratorINSA_10device_ptrIiEEEEPS6_SG_NS0_5tupleIJSF_SF_EEENSH_IJSG_SG_EEES6_PlJ7is_evenIiEEEE10hipError_tPvRmT3_T4_T5_T6_T7_T9_mT8_P12ihipStream_tbDpT10_ENKUlT_T0_E_clISt17integral_constantIbLb0EES15_IbLb1EEEEDaS11_S12_EUlS11_E_NS1_11comp_targetILNS1_3genE8ELNS1_11target_archE1030ELNS1_3gpuE2ELNS1_3repE0EEENS1_30default_config_static_selectorELNS0_4arch9wavefront6targetE1EEEvT1_, .Lfunc_end352-_ZN7rocprim17ROCPRIM_400000_NS6detail17trampoline_kernelINS0_14default_configENS1_25partition_config_selectorILNS1_17partition_subalgoE0EiNS0_10empty_typeEbEEZZNS1_14partition_implILS5_0ELb0ES3_jN6thrust23THRUST_200600_302600_NS6detail15normal_iteratorINSA_10device_ptrIiEEEEPS6_SG_NS0_5tupleIJSF_SF_EEENSH_IJSG_SG_EEES6_PlJ7is_evenIiEEEE10hipError_tPvRmT3_T4_T5_T6_T7_T9_mT8_P12ihipStream_tbDpT10_ENKUlT_T0_E_clISt17integral_constantIbLb0EES15_IbLb1EEEEDaS11_S12_EUlS11_E_NS1_11comp_targetILNS1_3genE8ELNS1_11target_archE1030ELNS1_3gpuE2ELNS1_3repE0EEENS1_30default_config_static_selectorELNS0_4arch9wavefront6targetE1EEEvT1_
                                        ; -- End function
	.section	.AMDGPU.csdata,"",@progbits
; Kernel info:
; codeLenInByte = 0
; NumSgprs: 6
; NumVgprs: 0
; NumAgprs: 0
; TotalNumVgprs: 0
; ScratchSize: 0
; MemoryBound: 0
; FloatMode: 240
; IeeeMode: 1
; LDSByteSize: 0 bytes/workgroup (compile time only)
; SGPRBlocks: 0
; VGPRBlocks: 0
; NumSGPRsForWavesPerEU: 6
; NumVGPRsForWavesPerEU: 1
; AccumOffset: 4
; Occupancy: 8
; WaveLimiterHint : 0
; COMPUTE_PGM_RSRC2:SCRATCH_EN: 0
; COMPUTE_PGM_RSRC2:USER_SGPR: 2
; COMPUTE_PGM_RSRC2:TRAP_HANDLER: 0
; COMPUTE_PGM_RSRC2:TGID_X_EN: 1
; COMPUTE_PGM_RSRC2:TGID_Y_EN: 0
; COMPUTE_PGM_RSRC2:TGID_Z_EN: 0
; COMPUTE_PGM_RSRC2:TIDIG_COMP_CNT: 0
; COMPUTE_PGM_RSRC3_GFX90A:ACCUM_OFFSET: 0
; COMPUTE_PGM_RSRC3_GFX90A:TG_SPLIT: 0
	.section	.text._ZN7rocprim17ROCPRIM_400000_NS6detail17trampoline_kernelINS0_14default_configENS1_25partition_config_selectorILNS1_17partition_subalgoE0EsNS0_10empty_typeEbEEZZNS1_14partition_implILS5_0ELb0ES3_jN6thrust23THRUST_200600_302600_NS6detail15normal_iteratorINSA_10device_ptrIsEEEEPS6_SG_NS0_5tupleIJSF_SF_EEENSH_IJSG_SG_EEES6_PlJ7is_evenIsEEEE10hipError_tPvRmT3_T4_T5_T6_T7_T9_mT8_P12ihipStream_tbDpT10_ENKUlT_T0_E_clISt17integral_constantIbLb0EES16_EEDaS11_S12_EUlS11_E_NS1_11comp_targetILNS1_3genE0ELNS1_11target_archE4294967295ELNS1_3gpuE0ELNS1_3repE0EEENS1_30default_config_static_selectorELNS0_4arch9wavefront6targetE1EEEvT1_,"axG",@progbits,_ZN7rocprim17ROCPRIM_400000_NS6detail17trampoline_kernelINS0_14default_configENS1_25partition_config_selectorILNS1_17partition_subalgoE0EsNS0_10empty_typeEbEEZZNS1_14partition_implILS5_0ELb0ES3_jN6thrust23THRUST_200600_302600_NS6detail15normal_iteratorINSA_10device_ptrIsEEEEPS6_SG_NS0_5tupleIJSF_SF_EEENSH_IJSG_SG_EEES6_PlJ7is_evenIsEEEE10hipError_tPvRmT3_T4_T5_T6_T7_T9_mT8_P12ihipStream_tbDpT10_ENKUlT_T0_E_clISt17integral_constantIbLb0EES16_EEDaS11_S12_EUlS11_E_NS1_11comp_targetILNS1_3genE0ELNS1_11target_archE4294967295ELNS1_3gpuE0ELNS1_3repE0EEENS1_30default_config_static_selectorELNS0_4arch9wavefront6targetE1EEEvT1_,comdat
	.protected	_ZN7rocprim17ROCPRIM_400000_NS6detail17trampoline_kernelINS0_14default_configENS1_25partition_config_selectorILNS1_17partition_subalgoE0EsNS0_10empty_typeEbEEZZNS1_14partition_implILS5_0ELb0ES3_jN6thrust23THRUST_200600_302600_NS6detail15normal_iteratorINSA_10device_ptrIsEEEEPS6_SG_NS0_5tupleIJSF_SF_EEENSH_IJSG_SG_EEES6_PlJ7is_evenIsEEEE10hipError_tPvRmT3_T4_T5_T6_T7_T9_mT8_P12ihipStream_tbDpT10_ENKUlT_T0_E_clISt17integral_constantIbLb0EES16_EEDaS11_S12_EUlS11_E_NS1_11comp_targetILNS1_3genE0ELNS1_11target_archE4294967295ELNS1_3gpuE0ELNS1_3repE0EEENS1_30default_config_static_selectorELNS0_4arch9wavefront6targetE1EEEvT1_ ; -- Begin function _ZN7rocprim17ROCPRIM_400000_NS6detail17trampoline_kernelINS0_14default_configENS1_25partition_config_selectorILNS1_17partition_subalgoE0EsNS0_10empty_typeEbEEZZNS1_14partition_implILS5_0ELb0ES3_jN6thrust23THRUST_200600_302600_NS6detail15normal_iteratorINSA_10device_ptrIsEEEEPS6_SG_NS0_5tupleIJSF_SF_EEENSH_IJSG_SG_EEES6_PlJ7is_evenIsEEEE10hipError_tPvRmT3_T4_T5_T6_T7_T9_mT8_P12ihipStream_tbDpT10_ENKUlT_T0_E_clISt17integral_constantIbLb0EES16_EEDaS11_S12_EUlS11_E_NS1_11comp_targetILNS1_3genE0ELNS1_11target_archE4294967295ELNS1_3gpuE0ELNS1_3repE0EEENS1_30default_config_static_selectorELNS0_4arch9wavefront6targetE1EEEvT1_
	.globl	_ZN7rocprim17ROCPRIM_400000_NS6detail17trampoline_kernelINS0_14default_configENS1_25partition_config_selectorILNS1_17partition_subalgoE0EsNS0_10empty_typeEbEEZZNS1_14partition_implILS5_0ELb0ES3_jN6thrust23THRUST_200600_302600_NS6detail15normal_iteratorINSA_10device_ptrIsEEEEPS6_SG_NS0_5tupleIJSF_SF_EEENSH_IJSG_SG_EEES6_PlJ7is_evenIsEEEE10hipError_tPvRmT3_T4_T5_T6_T7_T9_mT8_P12ihipStream_tbDpT10_ENKUlT_T0_E_clISt17integral_constantIbLb0EES16_EEDaS11_S12_EUlS11_E_NS1_11comp_targetILNS1_3genE0ELNS1_11target_archE4294967295ELNS1_3gpuE0ELNS1_3repE0EEENS1_30default_config_static_selectorELNS0_4arch9wavefront6targetE1EEEvT1_
	.p2align	8
	.type	_ZN7rocprim17ROCPRIM_400000_NS6detail17trampoline_kernelINS0_14default_configENS1_25partition_config_selectorILNS1_17partition_subalgoE0EsNS0_10empty_typeEbEEZZNS1_14partition_implILS5_0ELb0ES3_jN6thrust23THRUST_200600_302600_NS6detail15normal_iteratorINSA_10device_ptrIsEEEEPS6_SG_NS0_5tupleIJSF_SF_EEENSH_IJSG_SG_EEES6_PlJ7is_evenIsEEEE10hipError_tPvRmT3_T4_T5_T6_T7_T9_mT8_P12ihipStream_tbDpT10_ENKUlT_T0_E_clISt17integral_constantIbLb0EES16_EEDaS11_S12_EUlS11_E_NS1_11comp_targetILNS1_3genE0ELNS1_11target_archE4294967295ELNS1_3gpuE0ELNS1_3repE0EEENS1_30default_config_static_selectorELNS0_4arch9wavefront6targetE1EEEvT1_,@function
_ZN7rocprim17ROCPRIM_400000_NS6detail17trampoline_kernelINS0_14default_configENS1_25partition_config_selectorILNS1_17partition_subalgoE0EsNS0_10empty_typeEbEEZZNS1_14partition_implILS5_0ELb0ES3_jN6thrust23THRUST_200600_302600_NS6detail15normal_iteratorINSA_10device_ptrIsEEEEPS6_SG_NS0_5tupleIJSF_SF_EEENSH_IJSG_SG_EEES6_PlJ7is_evenIsEEEE10hipError_tPvRmT3_T4_T5_T6_T7_T9_mT8_P12ihipStream_tbDpT10_ENKUlT_T0_E_clISt17integral_constantIbLb0EES16_EEDaS11_S12_EUlS11_E_NS1_11comp_targetILNS1_3genE0ELNS1_11target_archE4294967295ELNS1_3gpuE0ELNS1_3repE0EEENS1_30default_config_static_selectorELNS0_4arch9wavefront6targetE1EEEvT1_: ; @_ZN7rocprim17ROCPRIM_400000_NS6detail17trampoline_kernelINS0_14default_configENS1_25partition_config_selectorILNS1_17partition_subalgoE0EsNS0_10empty_typeEbEEZZNS1_14partition_implILS5_0ELb0ES3_jN6thrust23THRUST_200600_302600_NS6detail15normal_iteratorINSA_10device_ptrIsEEEEPS6_SG_NS0_5tupleIJSF_SF_EEENSH_IJSG_SG_EEES6_PlJ7is_evenIsEEEE10hipError_tPvRmT3_T4_T5_T6_T7_T9_mT8_P12ihipStream_tbDpT10_ENKUlT_T0_E_clISt17integral_constantIbLb0EES16_EEDaS11_S12_EUlS11_E_NS1_11comp_targetILNS1_3genE0ELNS1_11target_archE4294967295ELNS1_3gpuE0ELNS1_3repE0EEENS1_30default_config_static_selectorELNS0_4arch9wavefront6targetE1EEEvT1_
; %bb.0:
	.section	.rodata,"a",@progbits
	.p2align	6, 0x0
	.amdhsa_kernel _ZN7rocprim17ROCPRIM_400000_NS6detail17trampoline_kernelINS0_14default_configENS1_25partition_config_selectorILNS1_17partition_subalgoE0EsNS0_10empty_typeEbEEZZNS1_14partition_implILS5_0ELb0ES3_jN6thrust23THRUST_200600_302600_NS6detail15normal_iteratorINSA_10device_ptrIsEEEEPS6_SG_NS0_5tupleIJSF_SF_EEENSH_IJSG_SG_EEES6_PlJ7is_evenIsEEEE10hipError_tPvRmT3_T4_T5_T6_T7_T9_mT8_P12ihipStream_tbDpT10_ENKUlT_T0_E_clISt17integral_constantIbLb0EES16_EEDaS11_S12_EUlS11_E_NS1_11comp_targetILNS1_3genE0ELNS1_11target_archE4294967295ELNS1_3gpuE0ELNS1_3repE0EEENS1_30default_config_static_selectorELNS0_4arch9wavefront6targetE1EEEvT1_
		.amdhsa_group_segment_fixed_size 0
		.amdhsa_private_segment_fixed_size 0
		.amdhsa_kernarg_size 120
		.amdhsa_user_sgpr_count 2
		.amdhsa_user_sgpr_dispatch_ptr 0
		.amdhsa_user_sgpr_queue_ptr 0
		.amdhsa_user_sgpr_kernarg_segment_ptr 1
		.amdhsa_user_sgpr_dispatch_id 0
		.amdhsa_user_sgpr_kernarg_preload_length 0
		.amdhsa_user_sgpr_kernarg_preload_offset 0
		.amdhsa_user_sgpr_private_segment_size 0
		.amdhsa_uses_dynamic_stack 0
		.amdhsa_enable_private_segment 0
		.amdhsa_system_sgpr_workgroup_id_x 1
		.amdhsa_system_sgpr_workgroup_id_y 0
		.amdhsa_system_sgpr_workgroup_id_z 0
		.amdhsa_system_sgpr_workgroup_info 0
		.amdhsa_system_vgpr_workitem_id 0
		.amdhsa_next_free_vgpr 1
		.amdhsa_next_free_sgpr 0
		.amdhsa_accum_offset 4
		.amdhsa_reserve_vcc 0
		.amdhsa_float_round_mode_32 0
		.amdhsa_float_round_mode_16_64 0
		.amdhsa_float_denorm_mode_32 3
		.amdhsa_float_denorm_mode_16_64 3
		.amdhsa_dx10_clamp 1
		.amdhsa_ieee_mode 1
		.amdhsa_fp16_overflow 0
		.amdhsa_tg_split 0
		.amdhsa_exception_fp_ieee_invalid_op 0
		.amdhsa_exception_fp_denorm_src 0
		.amdhsa_exception_fp_ieee_div_zero 0
		.amdhsa_exception_fp_ieee_overflow 0
		.amdhsa_exception_fp_ieee_underflow 0
		.amdhsa_exception_fp_ieee_inexact 0
		.amdhsa_exception_int_div_zero 0
	.end_amdhsa_kernel
	.section	.text._ZN7rocprim17ROCPRIM_400000_NS6detail17trampoline_kernelINS0_14default_configENS1_25partition_config_selectorILNS1_17partition_subalgoE0EsNS0_10empty_typeEbEEZZNS1_14partition_implILS5_0ELb0ES3_jN6thrust23THRUST_200600_302600_NS6detail15normal_iteratorINSA_10device_ptrIsEEEEPS6_SG_NS0_5tupleIJSF_SF_EEENSH_IJSG_SG_EEES6_PlJ7is_evenIsEEEE10hipError_tPvRmT3_T4_T5_T6_T7_T9_mT8_P12ihipStream_tbDpT10_ENKUlT_T0_E_clISt17integral_constantIbLb0EES16_EEDaS11_S12_EUlS11_E_NS1_11comp_targetILNS1_3genE0ELNS1_11target_archE4294967295ELNS1_3gpuE0ELNS1_3repE0EEENS1_30default_config_static_selectorELNS0_4arch9wavefront6targetE1EEEvT1_,"axG",@progbits,_ZN7rocprim17ROCPRIM_400000_NS6detail17trampoline_kernelINS0_14default_configENS1_25partition_config_selectorILNS1_17partition_subalgoE0EsNS0_10empty_typeEbEEZZNS1_14partition_implILS5_0ELb0ES3_jN6thrust23THRUST_200600_302600_NS6detail15normal_iteratorINSA_10device_ptrIsEEEEPS6_SG_NS0_5tupleIJSF_SF_EEENSH_IJSG_SG_EEES6_PlJ7is_evenIsEEEE10hipError_tPvRmT3_T4_T5_T6_T7_T9_mT8_P12ihipStream_tbDpT10_ENKUlT_T0_E_clISt17integral_constantIbLb0EES16_EEDaS11_S12_EUlS11_E_NS1_11comp_targetILNS1_3genE0ELNS1_11target_archE4294967295ELNS1_3gpuE0ELNS1_3repE0EEENS1_30default_config_static_selectorELNS0_4arch9wavefront6targetE1EEEvT1_,comdat
.Lfunc_end353:
	.size	_ZN7rocprim17ROCPRIM_400000_NS6detail17trampoline_kernelINS0_14default_configENS1_25partition_config_selectorILNS1_17partition_subalgoE0EsNS0_10empty_typeEbEEZZNS1_14partition_implILS5_0ELb0ES3_jN6thrust23THRUST_200600_302600_NS6detail15normal_iteratorINSA_10device_ptrIsEEEEPS6_SG_NS0_5tupleIJSF_SF_EEENSH_IJSG_SG_EEES6_PlJ7is_evenIsEEEE10hipError_tPvRmT3_T4_T5_T6_T7_T9_mT8_P12ihipStream_tbDpT10_ENKUlT_T0_E_clISt17integral_constantIbLb0EES16_EEDaS11_S12_EUlS11_E_NS1_11comp_targetILNS1_3genE0ELNS1_11target_archE4294967295ELNS1_3gpuE0ELNS1_3repE0EEENS1_30default_config_static_selectorELNS0_4arch9wavefront6targetE1EEEvT1_, .Lfunc_end353-_ZN7rocprim17ROCPRIM_400000_NS6detail17trampoline_kernelINS0_14default_configENS1_25partition_config_selectorILNS1_17partition_subalgoE0EsNS0_10empty_typeEbEEZZNS1_14partition_implILS5_0ELb0ES3_jN6thrust23THRUST_200600_302600_NS6detail15normal_iteratorINSA_10device_ptrIsEEEEPS6_SG_NS0_5tupleIJSF_SF_EEENSH_IJSG_SG_EEES6_PlJ7is_evenIsEEEE10hipError_tPvRmT3_T4_T5_T6_T7_T9_mT8_P12ihipStream_tbDpT10_ENKUlT_T0_E_clISt17integral_constantIbLb0EES16_EEDaS11_S12_EUlS11_E_NS1_11comp_targetILNS1_3genE0ELNS1_11target_archE4294967295ELNS1_3gpuE0ELNS1_3repE0EEENS1_30default_config_static_selectorELNS0_4arch9wavefront6targetE1EEEvT1_
                                        ; -- End function
	.section	.AMDGPU.csdata,"",@progbits
; Kernel info:
; codeLenInByte = 0
; NumSgprs: 6
; NumVgprs: 0
; NumAgprs: 0
; TotalNumVgprs: 0
; ScratchSize: 0
; MemoryBound: 0
; FloatMode: 240
; IeeeMode: 1
; LDSByteSize: 0 bytes/workgroup (compile time only)
; SGPRBlocks: 0
; VGPRBlocks: 0
; NumSGPRsForWavesPerEU: 6
; NumVGPRsForWavesPerEU: 1
; AccumOffset: 4
; Occupancy: 8
; WaveLimiterHint : 0
; COMPUTE_PGM_RSRC2:SCRATCH_EN: 0
; COMPUTE_PGM_RSRC2:USER_SGPR: 2
; COMPUTE_PGM_RSRC2:TRAP_HANDLER: 0
; COMPUTE_PGM_RSRC2:TGID_X_EN: 1
; COMPUTE_PGM_RSRC2:TGID_Y_EN: 0
; COMPUTE_PGM_RSRC2:TGID_Z_EN: 0
; COMPUTE_PGM_RSRC2:TIDIG_COMP_CNT: 0
; COMPUTE_PGM_RSRC3_GFX90A:ACCUM_OFFSET: 0
; COMPUTE_PGM_RSRC3_GFX90A:TG_SPLIT: 0
	.section	.text._ZN7rocprim17ROCPRIM_400000_NS6detail17trampoline_kernelINS0_14default_configENS1_25partition_config_selectorILNS1_17partition_subalgoE0EsNS0_10empty_typeEbEEZZNS1_14partition_implILS5_0ELb0ES3_jN6thrust23THRUST_200600_302600_NS6detail15normal_iteratorINSA_10device_ptrIsEEEEPS6_SG_NS0_5tupleIJSF_SF_EEENSH_IJSG_SG_EEES6_PlJ7is_evenIsEEEE10hipError_tPvRmT3_T4_T5_T6_T7_T9_mT8_P12ihipStream_tbDpT10_ENKUlT_T0_E_clISt17integral_constantIbLb0EES16_EEDaS11_S12_EUlS11_E_NS1_11comp_targetILNS1_3genE5ELNS1_11target_archE942ELNS1_3gpuE9ELNS1_3repE0EEENS1_30default_config_static_selectorELNS0_4arch9wavefront6targetE1EEEvT1_,"axG",@progbits,_ZN7rocprim17ROCPRIM_400000_NS6detail17trampoline_kernelINS0_14default_configENS1_25partition_config_selectorILNS1_17partition_subalgoE0EsNS0_10empty_typeEbEEZZNS1_14partition_implILS5_0ELb0ES3_jN6thrust23THRUST_200600_302600_NS6detail15normal_iteratorINSA_10device_ptrIsEEEEPS6_SG_NS0_5tupleIJSF_SF_EEENSH_IJSG_SG_EEES6_PlJ7is_evenIsEEEE10hipError_tPvRmT3_T4_T5_T6_T7_T9_mT8_P12ihipStream_tbDpT10_ENKUlT_T0_E_clISt17integral_constantIbLb0EES16_EEDaS11_S12_EUlS11_E_NS1_11comp_targetILNS1_3genE5ELNS1_11target_archE942ELNS1_3gpuE9ELNS1_3repE0EEENS1_30default_config_static_selectorELNS0_4arch9wavefront6targetE1EEEvT1_,comdat
	.protected	_ZN7rocprim17ROCPRIM_400000_NS6detail17trampoline_kernelINS0_14default_configENS1_25partition_config_selectorILNS1_17partition_subalgoE0EsNS0_10empty_typeEbEEZZNS1_14partition_implILS5_0ELb0ES3_jN6thrust23THRUST_200600_302600_NS6detail15normal_iteratorINSA_10device_ptrIsEEEEPS6_SG_NS0_5tupleIJSF_SF_EEENSH_IJSG_SG_EEES6_PlJ7is_evenIsEEEE10hipError_tPvRmT3_T4_T5_T6_T7_T9_mT8_P12ihipStream_tbDpT10_ENKUlT_T0_E_clISt17integral_constantIbLb0EES16_EEDaS11_S12_EUlS11_E_NS1_11comp_targetILNS1_3genE5ELNS1_11target_archE942ELNS1_3gpuE9ELNS1_3repE0EEENS1_30default_config_static_selectorELNS0_4arch9wavefront6targetE1EEEvT1_ ; -- Begin function _ZN7rocprim17ROCPRIM_400000_NS6detail17trampoline_kernelINS0_14default_configENS1_25partition_config_selectorILNS1_17partition_subalgoE0EsNS0_10empty_typeEbEEZZNS1_14partition_implILS5_0ELb0ES3_jN6thrust23THRUST_200600_302600_NS6detail15normal_iteratorINSA_10device_ptrIsEEEEPS6_SG_NS0_5tupleIJSF_SF_EEENSH_IJSG_SG_EEES6_PlJ7is_evenIsEEEE10hipError_tPvRmT3_T4_T5_T6_T7_T9_mT8_P12ihipStream_tbDpT10_ENKUlT_T0_E_clISt17integral_constantIbLb0EES16_EEDaS11_S12_EUlS11_E_NS1_11comp_targetILNS1_3genE5ELNS1_11target_archE942ELNS1_3gpuE9ELNS1_3repE0EEENS1_30default_config_static_selectorELNS0_4arch9wavefront6targetE1EEEvT1_
	.globl	_ZN7rocprim17ROCPRIM_400000_NS6detail17trampoline_kernelINS0_14default_configENS1_25partition_config_selectorILNS1_17partition_subalgoE0EsNS0_10empty_typeEbEEZZNS1_14partition_implILS5_0ELb0ES3_jN6thrust23THRUST_200600_302600_NS6detail15normal_iteratorINSA_10device_ptrIsEEEEPS6_SG_NS0_5tupleIJSF_SF_EEENSH_IJSG_SG_EEES6_PlJ7is_evenIsEEEE10hipError_tPvRmT3_T4_T5_T6_T7_T9_mT8_P12ihipStream_tbDpT10_ENKUlT_T0_E_clISt17integral_constantIbLb0EES16_EEDaS11_S12_EUlS11_E_NS1_11comp_targetILNS1_3genE5ELNS1_11target_archE942ELNS1_3gpuE9ELNS1_3repE0EEENS1_30default_config_static_selectorELNS0_4arch9wavefront6targetE1EEEvT1_
	.p2align	8
	.type	_ZN7rocprim17ROCPRIM_400000_NS6detail17trampoline_kernelINS0_14default_configENS1_25partition_config_selectorILNS1_17partition_subalgoE0EsNS0_10empty_typeEbEEZZNS1_14partition_implILS5_0ELb0ES3_jN6thrust23THRUST_200600_302600_NS6detail15normal_iteratorINSA_10device_ptrIsEEEEPS6_SG_NS0_5tupleIJSF_SF_EEENSH_IJSG_SG_EEES6_PlJ7is_evenIsEEEE10hipError_tPvRmT3_T4_T5_T6_T7_T9_mT8_P12ihipStream_tbDpT10_ENKUlT_T0_E_clISt17integral_constantIbLb0EES16_EEDaS11_S12_EUlS11_E_NS1_11comp_targetILNS1_3genE5ELNS1_11target_archE942ELNS1_3gpuE9ELNS1_3repE0EEENS1_30default_config_static_selectorELNS0_4arch9wavefront6targetE1EEEvT1_,@function
_ZN7rocprim17ROCPRIM_400000_NS6detail17trampoline_kernelINS0_14default_configENS1_25partition_config_selectorILNS1_17partition_subalgoE0EsNS0_10empty_typeEbEEZZNS1_14partition_implILS5_0ELb0ES3_jN6thrust23THRUST_200600_302600_NS6detail15normal_iteratorINSA_10device_ptrIsEEEEPS6_SG_NS0_5tupleIJSF_SF_EEENSH_IJSG_SG_EEES6_PlJ7is_evenIsEEEE10hipError_tPvRmT3_T4_T5_T6_T7_T9_mT8_P12ihipStream_tbDpT10_ENKUlT_T0_E_clISt17integral_constantIbLb0EES16_EEDaS11_S12_EUlS11_E_NS1_11comp_targetILNS1_3genE5ELNS1_11target_archE942ELNS1_3gpuE9ELNS1_3repE0EEENS1_30default_config_static_selectorELNS0_4arch9wavefront6targetE1EEEvT1_: ; @_ZN7rocprim17ROCPRIM_400000_NS6detail17trampoline_kernelINS0_14default_configENS1_25partition_config_selectorILNS1_17partition_subalgoE0EsNS0_10empty_typeEbEEZZNS1_14partition_implILS5_0ELb0ES3_jN6thrust23THRUST_200600_302600_NS6detail15normal_iteratorINSA_10device_ptrIsEEEEPS6_SG_NS0_5tupleIJSF_SF_EEENSH_IJSG_SG_EEES6_PlJ7is_evenIsEEEE10hipError_tPvRmT3_T4_T5_T6_T7_T9_mT8_P12ihipStream_tbDpT10_ENKUlT_T0_E_clISt17integral_constantIbLb0EES16_EEDaS11_S12_EUlS11_E_NS1_11comp_targetILNS1_3genE5ELNS1_11target_archE942ELNS1_3gpuE9ELNS1_3repE0EEENS1_30default_config_static_selectorELNS0_4arch9wavefront6targetE1EEEvT1_
; %bb.0:
	s_load_dwordx2 s[4:5], s[0:1], 0x58
	s_load_dwordx4 s[20:23], s[0:1], 0x8
	s_load_dwordx4 s[24:27], s[0:1], 0x48
	s_load_dword s3, s[0:1], 0x70
	s_mul_i32 s8, s2, 0x3c00
	s_waitcnt lgkmcnt(0)
	v_mov_b32_e32 v3, s5
	s_lshl_b64 s[6:7], s[22:23], 1
	s_add_u32 s10, s20, s6
	s_addc_u32 s11, s21, s7
	s_add_i32 s6, s3, -1
	s_mulk_i32 s3, 0x3c00
	s_add_i32 s5, s3, s22
	s_sub_i32 s33, s4, s5
	s_addk_i32 s33, 0x3c00
	v_mov_b32_e32 v2, s4
	s_add_u32 s4, s22, s3
	s_addc_u32 s5, s23, 0
	s_cmp_eq_u32 s2, s6
	s_load_dwordx2 s[28:29], s[26:27], 0x0
	s_cselect_b64 s[26:27], -1, 0
	s_cmp_lg_u32 s2, s6
	s_mov_b32 s9, 0
	v_cmp_lt_u64_e32 vcc, s[4:5], v[2:3]
	s_cselect_b64 s[4:5], -1, 0
	s_or_b64 s[6:7], s[4:5], vcc
	s_lshl_b64 s[30:31], s[8:9], 1
	s_add_u32 s8, s10, s30
	s_addc_u32 s9, s11, s31
	s_mov_b64 s[4:5], -1
	s_and_b64 vcc, exec, s[6:7]
	v_lshlrev_b32_e32 v2, 1, v0
	s_cbranch_vccz .LBB354_2
; %bb.1:
	v_mov_b32_e32 v3, 0
	v_lshl_add_u64 v[4:5], s[8:9], 0, v[2:3]
	v_add_co_u32_e32 v6, vcc, 0x1000, v4
	s_mov_b64 s[4:5], 0
	s_nop 0
	v_addc_co_u32_e32 v7, vcc, 0, v5, vcc
	flat_load_ushort v1, v[4:5]
	flat_load_ushort v3, v[4:5] offset:1024
	flat_load_ushort v10, v[4:5] offset:2048
	flat_load_ushort v11, v[4:5] offset:3072
	flat_load_ushort v12, v[6:7]
	flat_load_ushort v13, v[6:7] offset:1024
	flat_load_ushort v14, v[6:7] offset:2048
	flat_load_ushort v15, v[6:7] offset:3072
	v_add_co_u32_e32 v6, vcc, 0x2000, v4
	s_nop 1
	v_addc_co_u32_e32 v7, vcc, 0, v5, vcc
	v_add_co_u32_e32 v8, vcc, 0x3000, v4
	s_nop 1
	v_addc_co_u32_e32 v9, vcc, 0, v5, vcc
	flat_load_ushort v16, v[6:7]
	flat_load_ushort v17, v[6:7] offset:1024
	flat_load_ushort v18, v[6:7] offset:2048
	flat_load_ushort v19, v[6:7] offset:3072
	flat_load_ushort v20, v[8:9]
	flat_load_ushort v21, v[8:9] offset:1024
	flat_load_ushort v22, v[8:9] offset:2048
	flat_load_ushort v23, v[8:9] offset:3072
	v_add_co_u32_e32 v6, vcc, 0x4000, v4
	s_nop 1
	v_addc_co_u32_e32 v7, vcc, 0, v5, vcc
	v_add_co_u32_e32 v8, vcc, 0x5000, v4
	;; [unrolled: 14-line block ×3, first 2 shown]
	s_nop 1
	v_addc_co_u32_e32 v5, vcc, 0, v5, vcc
	flat_load_ushort v8, v[6:7]
	flat_load_ushort v9, v[6:7] offset:1024
	flat_load_ushort v32, v[6:7] offset:2048
	;; [unrolled: 1-line block ×3, first 2 shown]
	flat_load_ushort v34, v[4:5]
	flat_load_ushort v35, v[4:5] offset:1024
	s_waitcnt vmcnt(0) lgkmcnt(0)
	ds_write_b16 v2, v1
	ds_write_b16 v2, v3 offset:1024
	ds_write_b16 v2, v10 offset:2048
	;; [unrolled: 1-line block ×29, first 2 shown]
	s_waitcnt lgkmcnt(0)
	s_barrier
.LBB354_2:
	s_andn2_b64 vcc, exec, s[4:5]
	v_cmp_gt_u32_e64 s[4:5], s33, v0
	s_cbranch_vccnz .LBB354_64
; %bb.3:
                                        ; implicit-def: $vgpr1
	s_and_saveexec_b64 s[10:11], s[4:5]
	s_cbranch_execz .LBB354_5
; %bb.4:
	v_mov_b32_e32 v3, 0
	v_lshl_add_u64 v[4:5], s[8:9], 0, v[2:3]
	flat_load_ushort v1, v[4:5]
.LBB354_5:
	s_or_b64 exec, exec, s[10:11]
	v_or_b32_e32 v3, 0x200, v0
	v_cmp_gt_u32_e32 vcc, s33, v3
                                        ; implicit-def: $vgpr4
	s_and_saveexec_b64 s[4:5], vcc
	s_cbranch_execz .LBB354_7
; %bb.6:
	v_mov_b32_e32 v3, 0
	v_lshl_add_u64 v[4:5], s[8:9], 0, v[2:3]
	flat_load_ushort v4, v[4:5] offset:1024
.LBB354_7:
	s_or_b64 exec, exec, s[4:5]
	v_or_b32_e32 v3, 0x400, v0
	v_cmp_gt_u32_e32 vcc, s33, v3
                                        ; implicit-def: $vgpr5
	s_and_saveexec_b64 s[4:5], vcc
	s_cbranch_execz .LBB354_9
; %bb.8:
	v_mov_b32_e32 v3, 0
	v_lshl_add_u64 v[6:7], s[8:9], 0, v[2:3]
	flat_load_ushort v5, v[6:7] offset:2048
.LBB354_9:
	s_or_b64 exec, exec, s[4:5]
	v_or_b32_e32 v3, 0x600, v0
	v_cmp_gt_u32_e32 vcc, s33, v3
                                        ; implicit-def: $vgpr3
	s_and_saveexec_b64 s[4:5], vcc
	s_cbranch_execz .LBB354_11
; %bb.10:
	v_mov_b32_e32 v3, 0
	v_lshl_add_u64 v[6:7], s[8:9], 0, v[2:3]
	flat_load_ushort v3, v[6:7] offset:3072
.LBB354_11:
	s_or_b64 exec, exec, s[4:5]
	v_or_b32_e32 v7, 0x800, v0
	v_cmp_gt_u32_e32 vcc, s33, v7
                                        ; implicit-def: $vgpr6
	s_and_saveexec_b64 s[4:5], vcc
	s_cbranch_execz .LBB354_13
; %bb.12:
	v_lshlrev_b32_e32 v6, 1, v7
	v_mov_b32_e32 v7, 0
	v_lshl_add_u64 v[6:7], s[8:9], 0, v[6:7]
	flat_load_ushort v6, v[6:7]
.LBB354_13:
	s_or_b64 exec, exec, s[4:5]
	v_or_b32_e32 v8, 0xa00, v0
	v_cmp_gt_u32_e32 vcc, s33, v8
                                        ; implicit-def: $vgpr7
	s_and_saveexec_b64 s[4:5], vcc
	s_cbranch_execz .LBB354_15
; %bb.14:
	v_lshlrev_b32_e32 v8, 1, v8
	v_mov_b32_e32 v9, 0
	v_lshl_add_u64 v[8:9], s[8:9], 0, v[8:9]
	flat_load_ushort v7, v[8:9]
.LBB354_15:
	s_or_b64 exec, exec, s[4:5]
	v_or_b32_e32 v9, 0xc00, v0
	v_cmp_gt_u32_e32 vcc, s33, v9
                                        ; implicit-def: $vgpr8
	s_and_saveexec_b64 s[4:5], vcc
	s_cbranch_execz .LBB354_17
; %bb.16:
	v_lshlrev_b32_e32 v8, 1, v9
	v_mov_b32_e32 v9, 0
	v_lshl_add_u64 v[8:9], s[8:9], 0, v[8:9]
	flat_load_ushort v8, v[8:9]
.LBB354_17:
	s_or_b64 exec, exec, s[4:5]
	v_or_b32_e32 v10, 0xe00, v0
	v_cmp_gt_u32_e32 vcc, s33, v10
                                        ; implicit-def: $vgpr9
	s_and_saveexec_b64 s[4:5], vcc
	s_cbranch_execz .LBB354_19
; %bb.18:
	v_lshlrev_b32_e32 v10, 1, v10
	v_mov_b32_e32 v11, 0
	v_lshl_add_u64 v[10:11], s[8:9], 0, v[10:11]
	flat_load_ushort v9, v[10:11]
.LBB354_19:
	s_or_b64 exec, exec, s[4:5]
	v_or_b32_e32 v11, 0x1000, v0
	v_cmp_gt_u32_e32 vcc, s33, v11
                                        ; implicit-def: $vgpr10
	s_and_saveexec_b64 s[4:5], vcc
	s_cbranch_execz .LBB354_21
; %bb.20:
	v_lshlrev_b32_e32 v10, 1, v11
	v_mov_b32_e32 v11, 0
	v_lshl_add_u64 v[10:11], s[8:9], 0, v[10:11]
	flat_load_ushort v10, v[10:11]
.LBB354_21:
	s_or_b64 exec, exec, s[4:5]
	v_or_b32_e32 v12, 0x1200, v0
	v_cmp_gt_u32_e32 vcc, s33, v12
                                        ; implicit-def: $vgpr11
	s_and_saveexec_b64 s[4:5], vcc
	s_cbranch_execz .LBB354_23
; %bb.22:
	v_lshlrev_b32_e32 v12, 1, v12
	v_mov_b32_e32 v13, 0
	v_lshl_add_u64 v[12:13], s[8:9], 0, v[12:13]
	flat_load_ushort v11, v[12:13]
.LBB354_23:
	s_or_b64 exec, exec, s[4:5]
	v_or_b32_e32 v13, 0x1400, v0
	v_cmp_gt_u32_e32 vcc, s33, v13
                                        ; implicit-def: $vgpr12
	s_and_saveexec_b64 s[4:5], vcc
	s_cbranch_execz .LBB354_25
; %bb.24:
	v_lshlrev_b32_e32 v12, 1, v13
	v_mov_b32_e32 v13, 0
	v_lshl_add_u64 v[12:13], s[8:9], 0, v[12:13]
	flat_load_ushort v12, v[12:13]
.LBB354_25:
	s_or_b64 exec, exec, s[4:5]
	v_or_b32_e32 v14, 0x1600, v0
	v_cmp_gt_u32_e32 vcc, s33, v14
                                        ; implicit-def: $vgpr13
	s_and_saveexec_b64 s[4:5], vcc
	s_cbranch_execz .LBB354_27
; %bb.26:
	v_lshlrev_b32_e32 v14, 1, v14
	v_mov_b32_e32 v15, 0
	v_lshl_add_u64 v[14:15], s[8:9], 0, v[14:15]
	flat_load_ushort v13, v[14:15]
.LBB354_27:
	s_or_b64 exec, exec, s[4:5]
	v_or_b32_e32 v15, 0x1800, v0
	v_cmp_gt_u32_e32 vcc, s33, v15
                                        ; implicit-def: $vgpr14
	s_and_saveexec_b64 s[4:5], vcc
	s_cbranch_execz .LBB354_29
; %bb.28:
	v_lshlrev_b32_e32 v14, 1, v15
	v_mov_b32_e32 v15, 0
	v_lshl_add_u64 v[14:15], s[8:9], 0, v[14:15]
	flat_load_ushort v14, v[14:15]
.LBB354_29:
	s_or_b64 exec, exec, s[4:5]
	v_or_b32_e32 v16, 0x1a00, v0
	v_cmp_gt_u32_e32 vcc, s33, v16
                                        ; implicit-def: $vgpr15
	s_and_saveexec_b64 s[4:5], vcc
	s_cbranch_execz .LBB354_31
; %bb.30:
	v_lshlrev_b32_e32 v16, 1, v16
	v_mov_b32_e32 v17, 0
	v_lshl_add_u64 v[16:17], s[8:9], 0, v[16:17]
	flat_load_ushort v15, v[16:17]
.LBB354_31:
	s_or_b64 exec, exec, s[4:5]
	v_or_b32_e32 v17, 0x1c00, v0
	v_cmp_gt_u32_e32 vcc, s33, v17
                                        ; implicit-def: $vgpr16
	s_and_saveexec_b64 s[4:5], vcc
	s_cbranch_execz .LBB354_33
; %bb.32:
	v_lshlrev_b32_e32 v16, 1, v17
	v_mov_b32_e32 v17, 0
	v_lshl_add_u64 v[16:17], s[8:9], 0, v[16:17]
	flat_load_ushort v16, v[16:17]
.LBB354_33:
	s_or_b64 exec, exec, s[4:5]
	v_or_b32_e32 v18, 0x1e00, v0
	v_cmp_gt_u32_e32 vcc, s33, v18
                                        ; implicit-def: $vgpr17
	s_and_saveexec_b64 s[4:5], vcc
	s_cbranch_execz .LBB354_35
; %bb.34:
	v_lshlrev_b32_e32 v18, 1, v18
	v_mov_b32_e32 v19, 0
	v_lshl_add_u64 v[18:19], s[8:9], 0, v[18:19]
	flat_load_ushort v17, v[18:19]
.LBB354_35:
	s_or_b64 exec, exec, s[4:5]
	v_or_b32_e32 v19, 0x2000, v0
	v_cmp_gt_u32_e32 vcc, s33, v19
                                        ; implicit-def: $vgpr18
	s_and_saveexec_b64 s[4:5], vcc
	s_cbranch_execz .LBB354_37
; %bb.36:
	v_lshlrev_b32_e32 v18, 1, v19
	v_mov_b32_e32 v19, 0
	v_lshl_add_u64 v[18:19], s[8:9], 0, v[18:19]
	flat_load_ushort v18, v[18:19]
.LBB354_37:
	s_or_b64 exec, exec, s[4:5]
	v_or_b32_e32 v20, 0x2200, v0
	v_cmp_gt_u32_e32 vcc, s33, v20
                                        ; implicit-def: $vgpr19
	s_and_saveexec_b64 s[4:5], vcc
	s_cbranch_execz .LBB354_39
; %bb.38:
	v_lshlrev_b32_e32 v20, 1, v20
	v_mov_b32_e32 v21, 0
	v_lshl_add_u64 v[20:21], s[8:9], 0, v[20:21]
	flat_load_ushort v19, v[20:21]
.LBB354_39:
	s_or_b64 exec, exec, s[4:5]
	v_or_b32_e32 v21, 0x2400, v0
	v_cmp_gt_u32_e32 vcc, s33, v21
                                        ; implicit-def: $vgpr20
	s_and_saveexec_b64 s[4:5], vcc
	s_cbranch_execz .LBB354_41
; %bb.40:
	v_lshlrev_b32_e32 v20, 1, v21
	v_mov_b32_e32 v21, 0
	v_lshl_add_u64 v[20:21], s[8:9], 0, v[20:21]
	flat_load_ushort v20, v[20:21]
.LBB354_41:
	s_or_b64 exec, exec, s[4:5]
	v_or_b32_e32 v22, 0x2600, v0
	v_cmp_gt_u32_e32 vcc, s33, v22
                                        ; implicit-def: $vgpr21
	s_and_saveexec_b64 s[4:5], vcc
	s_cbranch_execz .LBB354_43
; %bb.42:
	v_lshlrev_b32_e32 v22, 1, v22
	v_mov_b32_e32 v23, 0
	v_lshl_add_u64 v[22:23], s[8:9], 0, v[22:23]
	flat_load_ushort v21, v[22:23]
.LBB354_43:
	s_or_b64 exec, exec, s[4:5]
	v_or_b32_e32 v23, 0x2800, v0
	v_cmp_gt_u32_e32 vcc, s33, v23
                                        ; implicit-def: $vgpr22
	s_and_saveexec_b64 s[4:5], vcc
	s_cbranch_execz .LBB354_45
; %bb.44:
	v_lshlrev_b32_e32 v22, 1, v23
	v_mov_b32_e32 v23, 0
	v_lshl_add_u64 v[22:23], s[8:9], 0, v[22:23]
	flat_load_ushort v22, v[22:23]
.LBB354_45:
	s_or_b64 exec, exec, s[4:5]
	v_or_b32_e32 v24, 0x2a00, v0
	v_cmp_gt_u32_e32 vcc, s33, v24
                                        ; implicit-def: $vgpr23
	s_and_saveexec_b64 s[4:5], vcc
	s_cbranch_execz .LBB354_47
; %bb.46:
	v_lshlrev_b32_e32 v24, 1, v24
	v_mov_b32_e32 v25, 0
	v_lshl_add_u64 v[24:25], s[8:9], 0, v[24:25]
	flat_load_ushort v23, v[24:25]
.LBB354_47:
	s_or_b64 exec, exec, s[4:5]
	v_or_b32_e32 v25, 0x2c00, v0
	v_cmp_gt_u32_e32 vcc, s33, v25
                                        ; implicit-def: $vgpr24
	s_and_saveexec_b64 s[4:5], vcc
	s_cbranch_execz .LBB354_49
; %bb.48:
	v_lshlrev_b32_e32 v24, 1, v25
	v_mov_b32_e32 v25, 0
	v_lshl_add_u64 v[24:25], s[8:9], 0, v[24:25]
	flat_load_ushort v24, v[24:25]
.LBB354_49:
	s_or_b64 exec, exec, s[4:5]
	v_or_b32_e32 v26, 0x2e00, v0
	v_cmp_gt_u32_e32 vcc, s33, v26
                                        ; implicit-def: $vgpr25
	s_and_saveexec_b64 s[4:5], vcc
	s_cbranch_execz .LBB354_51
; %bb.50:
	v_lshlrev_b32_e32 v26, 1, v26
	v_mov_b32_e32 v27, 0
	v_lshl_add_u64 v[26:27], s[8:9], 0, v[26:27]
	flat_load_ushort v25, v[26:27]
.LBB354_51:
	s_or_b64 exec, exec, s[4:5]
	v_or_b32_e32 v27, 0x3000, v0
	v_cmp_gt_u32_e32 vcc, s33, v27
                                        ; implicit-def: $vgpr26
	s_and_saveexec_b64 s[4:5], vcc
	s_cbranch_execz .LBB354_53
; %bb.52:
	v_lshlrev_b32_e32 v26, 1, v27
	v_mov_b32_e32 v27, 0
	v_lshl_add_u64 v[26:27], s[8:9], 0, v[26:27]
	flat_load_ushort v26, v[26:27]
.LBB354_53:
	s_or_b64 exec, exec, s[4:5]
	v_or_b32_e32 v28, 0x3200, v0
	v_cmp_gt_u32_e32 vcc, s33, v28
                                        ; implicit-def: $vgpr27
	s_and_saveexec_b64 s[4:5], vcc
	s_cbranch_execz .LBB354_55
; %bb.54:
	v_lshlrev_b32_e32 v28, 1, v28
	v_mov_b32_e32 v29, 0
	v_lshl_add_u64 v[28:29], s[8:9], 0, v[28:29]
	flat_load_ushort v27, v[28:29]
.LBB354_55:
	s_or_b64 exec, exec, s[4:5]
	v_or_b32_e32 v29, 0x3400, v0
	v_cmp_gt_u32_e32 vcc, s33, v29
                                        ; implicit-def: $vgpr28
	s_and_saveexec_b64 s[4:5], vcc
	s_cbranch_execz .LBB354_57
; %bb.56:
	v_lshlrev_b32_e32 v28, 1, v29
	v_mov_b32_e32 v29, 0
	v_lshl_add_u64 v[28:29], s[8:9], 0, v[28:29]
	flat_load_ushort v28, v[28:29]
.LBB354_57:
	s_or_b64 exec, exec, s[4:5]
	v_or_b32_e32 v30, 0x3600, v0
	v_cmp_gt_u32_e32 vcc, s33, v30
                                        ; implicit-def: $vgpr29
	s_and_saveexec_b64 s[4:5], vcc
	s_cbranch_execz .LBB354_59
; %bb.58:
	v_lshlrev_b32_e32 v30, 1, v30
	v_mov_b32_e32 v31, 0
	v_lshl_add_u64 v[30:31], s[8:9], 0, v[30:31]
	flat_load_ushort v29, v[30:31]
.LBB354_59:
	s_or_b64 exec, exec, s[4:5]
	v_or_b32_e32 v31, 0x3800, v0
	v_cmp_gt_u32_e32 vcc, s33, v31
                                        ; implicit-def: $vgpr30
	s_and_saveexec_b64 s[4:5], vcc
	s_cbranch_execz .LBB354_61
; %bb.60:
	v_lshlrev_b32_e32 v30, 1, v31
	v_mov_b32_e32 v31, 0
	v_lshl_add_u64 v[30:31], s[8:9], 0, v[30:31]
	flat_load_ushort v30, v[30:31]
.LBB354_61:
	s_or_b64 exec, exec, s[4:5]
	v_or_b32_e32 v32, 0x3a00, v0
	v_cmp_gt_u32_e32 vcc, s33, v32
                                        ; implicit-def: $vgpr31
	s_and_saveexec_b64 s[4:5], vcc
	s_cbranch_execz .LBB354_63
; %bb.62:
	v_lshlrev_b32_e32 v32, 1, v32
	v_mov_b32_e32 v33, 0
	v_lshl_add_u64 v[32:33], s[8:9], 0, v[32:33]
	flat_load_ushort v31, v[32:33]
.LBB354_63:
	s_or_b64 exec, exec, s[4:5]
	s_waitcnt vmcnt(0) lgkmcnt(0)
	ds_write_b16 v2, v1
	ds_write_b16 v2, v4 offset:1024
	ds_write_b16 v2, v5 offset:2048
	;; [unrolled: 1-line block ×29, first 2 shown]
	s_waitcnt lgkmcnt(0)
	s_barrier
.LBB354_64:
	v_mul_u32_u24_e32 v40, 30, v0
	v_lshlrev_b32_e32 v4, 1, v40
	s_waitcnt lgkmcnt(0)
	ds_read_b32 v3, v4 offset:56
	ds_read2_b32 v[6:7], v4 offset0:12 offset1:13
	ds_read2_b32 v[8:9], v4 offset0:10 offset1:11
	;; [unrolled: 1-line block ×3, first 2 shown]
	ds_read2_b32 v[18:19], v4 offset1:1
	ds_read2_b32 v[16:17], v4 offset0:2 offset1:3
	ds_read2_b32 v[14:15], v4 offset0:4 offset1:5
	;; [unrolled: 1-line block ×3, first 2 shown]
	s_waitcnt lgkmcnt(7)
	v_lshrrev_b32_e32 v1, 16, v3
	s_waitcnt lgkmcnt(6)
	v_lshrrev_b32_e32 v29, 16, v6
	v_lshrrev_b32_e32 v28, 16, v7
	s_waitcnt lgkmcnt(5)
	v_lshrrev_b32_e32 v31, 16, v8
	;; [unrolled: 3-line block ×6, first 2 shown]
	v_lshrrev_b32_e32 v34, 16, v13
	v_lshrrev_b32_e32 v33, 16, v10
	;; [unrolled: 1-line block ×3, first 2 shown]
	v_cndmask_b32_e64 v4, 0, 1, s[6:7]
	v_cmp_ne_u32_e64 s[20:21], 1, v4
	s_andn2_b64 vcc, exec, s[6:7]
	v_xor_b32_e32 v92, -1, v18
	v_xor_b32_e32 v91, -1, v42
	;; [unrolled: 1-line block ×30, first 2 shown]
	s_barrier
	s_cbranch_vccnz .LBB354_66
; %bb.65:
	v_and_b32_e32 v72, 1, v92
	v_and_b32_e32 v71, 1, v91
	;; [unrolled: 1-line block ×30, first 2 shown]
	s_load_dwordx2 s[34:35], s[0:1], 0x68
	s_cbranch_execz .LBB354_67
	s_branch .LBB354_68
.LBB354_66:
                                        ; implicit-def: $vgpr72
                                        ; implicit-def: $vgpr71
                                        ; implicit-def: $vgpr70
                                        ; implicit-def: $vgpr69
                                        ; implicit-def: $vgpr68
                                        ; implicit-def: $vgpr67
                                        ; implicit-def: $vgpr66
                                        ; implicit-def: $vgpr65
                                        ; implicit-def: $vgpr64
                                        ; implicit-def: $vgpr63
                                        ; implicit-def: $vgpr62
                                        ; implicit-def: $vgpr61
                                        ; implicit-def: $vgpr60
                                        ; implicit-def: $vgpr59
                                        ; implicit-def: $vgpr58
                                        ; implicit-def: $vgpr57
                                        ; implicit-def: $vgpr56
                                        ; implicit-def: $vgpr55
                                        ; implicit-def: $vgpr54
                                        ; implicit-def: $vgpr53
                                        ; implicit-def: $vgpr52
                                        ; implicit-def: $vgpr51
                                        ; implicit-def: $vgpr50
                                        ; implicit-def: $vgpr49
                                        ; implicit-def: $vgpr48
                                        ; implicit-def: $vgpr47
                                        ; implicit-def: $vgpr46
                                        ; implicit-def: $vgpr45
                                        ; implicit-def: $vgpr43
                                        ; implicit-def: $vgpr44
	s_load_dwordx2 s[34:35], s[0:1], 0x68
.LBB354_67:
	v_or_b32_e32 v52, 1, v40
	v_cmp_gt_u32_e32 vcc, s33, v40
	v_add_u32_e32 v53, 2, v40
	v_add_u32_e32 v54, 3, v40
	v_cndmask_b32_e64 v62, 0, 1, vcc
	v_cmp_gt_u32_e32 vcc, s33, v52
	v_add_u32_e32 v55, 4, v40
	v_add_u32_e32 v56, 5, v40
	v_cndmask_b32_e64 v52, 0, 1, vcc
	v_cmp_gt_u32_e32 vcc, s33, v53
	v_and_b32_e32 v71, v52, v91
	v_add_u32_e32 v57, 6, v40
	v_cndmask_b32_e64 v52, 0, 1, vcc
	v_cmp_gt_u32_e32 vcc, s33, v54
	v_and_b32_e32 v70, v52, v90
	;; [unrolled: 4-line block ×9, first 2 shown]
	v_and_b32_e32 v72, v62, v92
	v_cndmask_b32_e64 v52, 0, 1, vcc
	v_cmp_gt_u32_e32 vcc, s33, v93
	v_and_b32_e32 v62, v52, v82
	v_add_u32_e32 v96, 14, v40
	v_cndmask_b32_e64 v52, 0, 1, vcc
	v_cmp_gt_u32_e32 vcc, s33, v94
	v_and_b32_e32 v61, v52, v81
	v_add_u32_e32 v97, 15, v40
	;; [unrolled: 4-line block ×16, first 2 shown]
	v_cndmask_b32_e64 v22, 0, 1, vcc
	v_cmp_gt_u32_e32 vcc, s33, v45
	v_and_b32_e32 v46, v22, v21
	s_nop 0
	v_cndmask_b32_e64 v21, 0, 1, vcc
	v_cmp_gt_u32_e32 vcc, s33, v43
	v_and_b32_e32 v45, v21, v20
	s_nop 0
	;; [unrolled: 4-line block ×3, first 2 shown]
	v_cndmask_b32_e64 v5, 0, 1, vcc
	v_and_b32_e32 v44, v5, v4
.LBB354_68:
	v_and_b32_e32 v99, 0xff, v46
	v_and_b32_e32 v100, 0xff, v45
	v_add_u32_sdwa v4, v43, v44 dst_sel:DWORD dst_unused:UNUSED_PAD src0_sel:BYTE_0 src1_sel:BYTE_0
	v_and_b32_e32 v97, 0xff, v48
	v_and_b32_e32 v98, 0xff, v47
	v_add3_u32 v4, v4, v100, v99
	v_and_b32_e32 v95, 0xff, v50
	v_and_b32_e32 v96, 0xff, v49
	v_add3_u32 v4, v4, v98, v97
	v_and_b32_e32 v93, 0xff, v52
	v_and_b32_e32 v94, 0xff, v51
	v_add3_u32 v4, v4, v96, v95
	v_and_b32_e32 v91, 0xff, v54
	v_and_b32_e32 v92, 0xff, v53
	v_add3_u32 v4, v4, v94, v93
	v_and_b32_e32 v89, 0xff, v56
	v_and_b32_e32 v90, 0xff, v55
	v_add3_u32 v4, v4, v92, v91
	v_and_b32_e32 v87, 0xff, v58
	v_and_b32_e32 v88, 0xff, v57
	v_add3_u32 v4, v4, v90, v89
	v_and_b32_e32 v85, 0xff, v60
	v_and_b32_e32 v86, 0xff, v59
	v_add3_u32 v4, v4, v88, v87
	v_and_b32_e32 v83, 0xff, v62
	v_and_b32_e32 v84, 0xff, v61
	v_add3_u32 v4, v4, v86, v85
	v_and_b32_e32 v81, 0xff, v64
	v_and_b32_e32 v82, 0xff, v63
	v_add3_u32 v4, v4, v84, v83
	v_and_b32_e32 v79, 0xff, v66
	v_and_b32_e32 v80, 0xff, v65
	v_add3_u32 v4, v4, v82, v81
	v_and_b32_e32 v77, 0xff, v68
	v_and_b32_e32 v78, 0xff, v67
	v_add3_u32 v4, v4, v80, v79
	v_and_b32_e32 v75, 0xff, v70
	v_and_b32_e32 v76, 0xff, v69
	v_add3_u32 v4, v4, v78, v77
	v_and_b32_e32 v73, 0xff, v72
	v_and_b32_e32 v74, 0xff, v71
	v_add3_u32 v4, v4, v76, v75
	v_add3_u32 v103, v4, v74, v73
	v_mbcnt_lo_u32_b32 v4, -1, 0
	v_mbcnt_hi_u32_b32 v101, -1, v4
	v_and_b32_e32 v4, 15, v101
	v_cmp_eq_u32_e64 s[16:17], 0, v4
	v_cmp_lt_u32_e64 s[14:15], 1, v4
	v_cmp_lt_u32_e64 s[12:13], 3, v4
	;; [unrolled: 1-line block ×3, first 2 shown]
	v_and_b32_e32 v4, 16, v101
	v_cmp_eq_u32_e64 s[8:9], 0, v4
	v_or_b32_e32 v4, 63, v0
	s_cmp_lg_u32 s2, 0
	v_cmp_lt_u32_e64 s[4:5], 31, v101
	v_lshrrev_b32_e32 v102, 6, v0
	v_cmp_eq_u32_e64 s[6:7], v4, v0
	s_cbranch_scc0 .LBB354_95
; %bb.69:
	v_mov_b32_dpp v4, v103 row_shr:1 row_mask:0xf bank_mask:0xf
	v_cndmask_b32_e64 v4, v4, 0, s[16:17]
	v_add_u32_e32 v4, v4, v103
	s_nop 1
	v_mov_b32_dpp v5, v4 row_shr:2 row_mask:0xf bank_mask:0xf
	v_cndmask_b32_e64 v5, 0, v5, s[14:15]
	v_add_u32_e32 v4, v4, v5
	s_nop 1
	v_mov_b32_dpp v5, v4 row_shr:4 row_mask:0xf bank_mask:0xf
	v_cndmask_b32_e64 v5, 0, v5, s[12:13]
	v_add_u32_e32 v4, v4, v5
	s_nop 1
	v_mov_b32_dpp v5, v4 row_shr:8 row_mask:0xf bank_mask:0xf
	v_cndmask_b32_e64 v5, 0, v5, s[10:11]
	v_add_u32_e32 v4, v4, v5
	s_nop 1
	v_mov_b32_dpp v5, v4 row_bcast:15 row_mask:0xf bank_mask:0xf
	v_cndmask_b32_e64 v5, v5, 0, s[8:9]
	v_add_u32_e32 v4, v4, v5
	s_nop 1
	v_mov_b32_dpp v5, v4 row_bcast:31 row_mask:0xf bank_mask:0xf
	v_cndmask_b32_e64 v5, 0, v5, s[4:5]
	v_add_u32_e32 v4, v4, v5
	s_and_saveexec_b64 s[18:19], s[6:7]
	s_cbranch_execz .LBB354_71
; %bb.70:
	v_lshlrev_b32_e32 v5, 2, v102
	ds_write_b32 v5, v4
.LBB354_71:
	s_or_b64 exec, exec, s[18:19]
	v_cmp_gt_u32_e32 vcc, 8, v0
	s_waitcnt lgkmcnt(0)
	s_barrier
	s_and_saveexec_b64 s[18:19], vcc
	s_cbranch_execz .LBB354_73
; %bb.72:
	v_lshlrev_b32_e32 v5, 2, v0
	ds_read_b32 v20, v5
	v_and_b32_e32 v21, 7, v101
	v_cmp_ne_u32_e32 vcc, 0, v21
	s_waitcnt lgkmcnt(0)
	v_mov_b32_dpp v22, v20 row_shr:1 row_mask:0xf bank_mask:0xf
	v_cndmask_b32_e32 v22, 0, v22, vcc
	v_add_u32_e32 v20, v22, v20
	v_cmp_lt_u32_e32 vcc, 1, v21
	s_nop 0
	v_mov_b32_dpp v22, v20 row_shr:2 row_mask:0xf bank_mask:0xf
	v_cndmask_b32_e32 v22, 0, v22, vcc
	v_add_u32_e32 v20, v20, v22
	v_cmp_lt_u32_e32 vcc, 3, v21
	s_nop 0
	v_mov_b32_dpp v22, v20 row_shr:4 row_mask:0xf bank_mask:0xf
	v_cndmask_b32_e32 v21, 0, v22, vcc
	v_add_u32_e32 v20, v20, v21
	ds_write_b32 v5, v20
.LBB354_73:
	s_or_b64 exec, exec, s[18:19]
	v_cmp_gt_u32_e32 vcc, 64, v0
	v_cmp_lt_u32_e64 s[18:19], 63, v0
	s_waitcnt lgkmcnt(0)
	s_barrier
	s_waitcnt lgkmcnt(0)
                                        ; implicit-def: $vgpr104
	s_and_saveexec_b64 s[36:37], s[18:19]
	s_cbranch_execz .LBB354_75
; %bb.74:
	v_lshl_add_u32 v5, v102, 2, -4
	ds_read_b32 v104, v5
	s_waitcnt lgkmcnt(0)
	v_add_u32_e32 v4, v104, v4
.LBB354_75:
	s_or_b64 exec, exec, s[36:37]
	v_add_u32_e32 v5, -1, v101
	v_and_b32_e32 v20, 64, v101
	v_cmp_lt_i32_e64 s[18:19], v5, v20
	s_nop 1
	v_cndmask_b32_e64 v5, v5, v101, s[18:19]
	v_lshlrev_b32_e32 v5, 2, v5
	ds_bpermute_b32 v105, v5, v4
	v_cmp_eq_u32_e64 s[18:19], 0, v101
	s_and_saveexec_b64 s[36:37], vcc
	s_cbranch_execz .LBB354_94
; %bb.76:
	v_mov_b32_e32 v25, 0
	ds_read_b32 v4, v25 offset:28
	s_and_saveexec_b64 s[38:39], s[18:19]
	s_cbranch_execz .LBB354_78
; %bb.77:
	s_add_i32 s40, s2, 64
	s_mov_b32 s41, 0
	s_lshl_b64 s[40:41], s[40:41], 3
	s_add_u32 s40, s34, s40
	v_mov_b32_e32 v5, 1
	s_addc_u32 s41, s35, s41
	s_waitcnt lgkmcnt(0)
	global_store_dwordx2 v25, v[4:5], s[40:41] sc1
.LBB354_78:
	s_or_b64 exec, exec, s[38:39]
	v_xad_u32 v20, v101, -1, s2
	v_add_u32_e32 v24, 64, v20
	v_lshl_add_u64 v[26:27], v[24:25], 3, s[34:35]
	global_load_dwordx2 v[22:23], v[26:27], off sc1
	s_waitcnt vmcnt(0)
	v_cmp_eq_u16_sdwa s[40:41], v23, v25 src0_sel:BYTE_0 src1_sel:DWORD
	s_and_saveexec_b64 s[38:39], s[40:41]
	s_cbranch_execz .LBB354_82
; %bb.79:
	s_mov_b64 s[40:41], 0
	v_mov_b32_e32 v5, 0
.LBB354_80:                             ; =>This Inner Loop Header: Depth=1
	global_load_dwordx2 v[22:23], v[26:27], off sc1
	s_waitcnt vmcnt(0)
	v_cmp_ne_u16_sdwa s[42:43], v23, v5 src0_sel:BYTE_0 src1_sel:DWORD
	s_or_b64 s[40:41], s[42:43], s[40:41]
	s_andn2_b64 exec, exec, s[40:41]
	s_cbranch_execnz .LBB354_80
; %bb.81:
	s_or_b64 exec, exec, s[40:41]
.LBB354_82:
	s_or_b64 exec, exec, s[38:39]
	v_and_b32_e32 v107, 63, v101
	v_mov_b32_e32 v106, 2
	v_cmp_ne_u32_e32 vcc, 63, v107
	v_cmp_eq_u16_sdwa s[38:39], v23, v106 src0_sel:BYTE_0 src1_sel:DWORD
	v_lshlrev_b64 v[24:25], v101, -1
	v_addc_co_u32_e32 v26, vcc, 0, v101, vcc
	v_and_b32_e32 v5, s39, v25
	v_lshlrev_b32_e32 v108, 2, v26
	v_or_b32_e32 v5, 0x80000000, v5
	ds_bpermute_b32 v26, v108, v22
	v_and_b32_e32 v21, s38, v24
	v_ffbl_b32_e32 v5, v5
	v_add_u32_e32 v5, 32, v5
	v_ffbl_b32_e32 v21, v21
	v_min_u32_e32 v5, v21, v5
	v_cmp_lt_u32_e32 vcc, v107, v5
	v_add_u32_e32 v110, 2, v107
	v_add_u32_e32 v112, 4, v107
	s_waitcnt lgkmcnt(0)
	v_cndmask_b32_e32 v21, 0, v26, vcc
	v_cmp_gt_u32_e32 vcc, 62, v107
	v_add_u32_e32 v21, v21, v22
	v_add_u32_e32 v114, 8, v107
	v_cndmask_b32_e64 v22, 0, 1, vcc
	v_lshlrev_b32_e32 v22, 1, v22
	v_add_lshl_u32 v109, v22, v101, 2
	ds_bpermute_b32 v22, v109, v21
	v_cmp_le_u32_e32 vcc, v110, v5
	v_add_u32_e32 v116, 16, v107
	v_add_u32_e32 v118, 32, v107
	s_waitcnt lgkmcnt(0)
	v_cndmask_b32_e32 v22, 0, v22, vcc
	v_cmp_gt_u32_e32 vcc, 60, v107
	v_add_u32_e32 v21, v21, v22
	s_nop 0
	v_cndmask_b32_e64 v22, 0, 1, vcc
	v_lshlrev_b32_e32 v22, 2, v22
	v_add_lshl_u32 v111, v22, v101, 2
	ds_bpermute_b32 v22, v111, v21
	v_cmp_le_u32_e32 vcc, v112, v5
	s_waitcnt lgkmcnt(0)
	s_nop 0
	v_cndmask_b32_e32 v22, 0, v22, vcc
	v_cmp_gt_u32_e32 vcc, 56, v107
	v_add_u32_e32 v21, v21, v22
	s_nop 0
	v_cndmask_b32_e64 v22, 0, 1, vcc
	v_lshlrev_b32_e32 v22, 3, v22
	v_add_lshl_u32 v113, v22, v101, 2
	ds_bpermute_b32 v22, v113, v21
	v_cmp_le_u32_e32 vcc, v114, v5
	s_waitcnt lgkmcnt(0)
	s_nop 0
	;; [unrolled: 11-line block ×4, first 2 shown]
	v_cndmask_b32_e32 v5, 0, v22, vcc
	v_add_u32_e32 v22, v21, v5
	v_mov_b32_e32 v21, 0
	s_branch .LBB354_84
.LBB354_83:                             ;   in Loop: Header=BB354_84 Depth=1
	s_or_b64 exec, exec, s[38:39]
	v_cmp_eq_u16_sdwa s[38:39], v23, v106 src0_sel:BYTE_0 src1_sel:DWORD
	ds_bpermute_b32 v119, v108, v22
	v_subrev_u32_e32 v20, 64, v20
	v_and_b32_e32 v26, s39, v25
	v_or_b32_e32 v26, 0x80000000, v26
	v_and_b32_e32 v27, s38, v24
	v_ffbl_b32_e32 v26, v26
	v_add_u32_e32 v26, 32, v26
	v_ffbl_b32_e32 v27, v27
	v_min_u32_e32 v26, v27, v26
	v_cmp_lt_u32_e32 vcc, v107, v26
	s_waitcnt lgkmcnt(0)
	s_nop 0
	v_cndmask_b32_e32 v27, 0, v119, vcc
	v_add_u32_e32 v22, v27, v22
	ds_bpermute_b32 v27, v109, v22
	v_cmp_le_u32_e32 vcc, v110, v26
	s_waitcnt lgkmcnt(0)
	s_nop 0
	v_cndmask_b32_e32 v27, 0, v27, vcc
	v_add_u32_e32 v22, v22, v27
	ds_bpermute_b32 v27, v111, v22
	v_cmp_le_u32_e32 vcc, v112, v26
	;; [unrolled: 6-line block ×5, first 2 shown]
	s_waitcnt lgkmcnt(0)
	s_nop 0
	v_cndmask_b32_e32 v26, 0, v27, vcc
	v_add3_u32 v22, v26, v5, v22
.LBB354_84:                             ; =>This Loop Header: Depth=1
                                        ;     Child Loop BB354_87 Depth 2
	v_cmp_ne_u16_sdwa s[38:39], v23, v106 src0_sel:BYTE_0 src1_sel:DWORD
	s_nop 1
	v_cndmask_b32_e64 v5, 0, 1, s[38:39]
	;;#ASMSTART
	;;#ASMEND
	s_nop 0
	v_cmp_ne_u32_e32 vcc, 0, v5
	s_cmp_lg_u64 vcc, exec
	v_mov_b32_e32 v5, v22
	s_cbranch_scc1 .LBB354_89
; %bb.85:                               ;   in Loop: Header=BB354_84 Depth=1
	v_lshl_add_u64 v[26:27], v[20:21], 3, s[34:35]
	global_load_dwordx2 v[22:23], v[26:27], off sc1
	s_waitcnt vmcnt(0)
	v_cmp_eq_u16_sdwa s[40:41], v23, v21 src0_sel:BYTE_0 src1_sel:DWORD
	s_and_saveexec_b64 s[38:39], s[40:41]
	s_cbranch_execz .LBB354_83
; %bb.86:                               ;   in Loop: Header=BB354_84 Depth=1
	s_mov_b64 s[40:41], 0
.LBB354_87:                             ;   Parent Loop BB354_84 Depth=1
                                        ; =>  This Inner Loop Header: Depth=2
	global_load_dwordx2 v[22:23], v[26:27], off sc1
	s_waitcnt vmcnt(0)
	v_cmp_ne_u16_sdwa s[42:43], v23, v21 src0_sel:BYTE_0 src1_sel:DWORD
	s_or_b64 s[40:41], s[42:43], s[40:41]
	s_andn2_b64 exec, exec, s[40:41]
	s_cbranch_execnz .LBB354_87
; %bb.88:                               ;   in Loop: Header=BB354_84 Depth=1
	s_or_b64 exec, exec, s[40:41]
	s_branch .LBB354_83
.LBB354_89:                             ;   in Loop: Header=BB354_84 Depth=1
                                        ; implicit-def: $vgpr22
                                        ; implicit-def: $vgpr23
	s_cbranch_execz .LBB354_84
; %bb.90:
	s_and_saveexec_b64 s[38:39], s[18:19]
	s_cbranch_execz .LBB354_92
; %bb.91:
	s_add_i32 s2, s2, 64
	s_mov_b32 s3, 0
	s_lshl_b64 s[2:3], s[2:3], 3
	s_add_u32 s2, s34, s2
	v_add_u32_e32 v20, v5, v4
	v_mov_b32_e32 v21, 2
	s_addc_u32 s3, s35, s3
	v_mov_b32_e32 v22, 0
	global_store_dwordx2 v22, v[20:21], s[2:3] sc1
	ds_write_b64 v22, v[4:5] offset:30720
.LBB354_92:
	s_or_b64 exec, exec, s[38:39]
	v_cmp_eq_u32_e32 vcc, 0, v0
	s_and_b64 exec, exec, vcc
	s_cbranch_execz .LBB354_94
; %bb.93:
	v_mov_b32_e32 v4, 0
	ds_write_b32 v4, v5 offset:28
.LBB354_94:
	s_or_b64 exec, exec, s[36:37]
	v_mov_b32_e32 v4, 0
	s_waitcnt lgkmcnt(0)
	s_barrier
	ds_read_b32 v21, v4 offset:28
	s_waitcnt lgkmcnt(0)
	s_barrier
	ds_read_b64 v[4:5], v4 offset:30720
	v_cndmask_b32_e64 v20, v105, v104, s[18:19]
	v_cmp_ne_u32_e32 vcc, 0, v0
	s_nop 1
	v_cndmask_b32_e32 v20, 0, v20, vcc
	v_add_u32_e32 v21, v21, v20
	s_waitcnt lgkmcnt(0)
	v_mov_b32_e32 v20, v5
	s_branch .LBB354_105
.LBB354_95:
                                        ; implicit-def: $vgpr20
                                        ; implicit-def: $vgpr4
                                        ; implicit-def: $vgpr21
	s_cbranch_execz .LBB354_105
; %bb.96:
	s_nop 0
	v_mov_b32_dpp v4, v103 row_shr:1 row_mask:0xf bank_mask:0xf
	v_cndmask_b32_e64 v4, v4, 0, s[16:17]
	v_add_u32_e32 v4, v4, v103
	s_nop 1
	v_mov_b32_dpp v5, v4 row_shr:2 row_mask:0xf bank_mask:0xf
	v_cndmask_b32_e64 v5, 0, v5, s[14:15]
	v_add_u32_e32 v4, v4, v5
	;; [unrolled: 4-line block ×4, first 2 shown]
	s_nop 1
	v_mov_b32_dpp v5, v4 row_bcast:15 row_mask:0xf bank_mask:0xf
	v_cndmask_b32_e64 v5, v5, 0, s[8:9]
	v_add_u32_e32 v4, v4, v5
	s_nop 1
	v_mov_b32_dpp v5, v4 row_bcast:31 row_mask:0xf bank_mask:0xf
	v_cndmask_b32_e64 v5, 0, v5, s[4:5]
	v_add_u32_e32 v4, v4, v5
	s_and_saveexec_b64 s[2:3], s[6:7]
	s_cbranch_execz .LBB354_98
; %bb.97:
	v_lshlrev_b32_e32 v5, 2, v102
	ds_write_b32 v5, v4
.LBB354_98:
	s_or_b64 exec, exec, s[2:3]
	v_cmp_gt_u32_e32 vcc, 8, v0
	s_waitcnt lgkmcnt(0)
	s_barrier
	s_and_saveexec_b64 s[2:3], vcc
	s_cbranch_execz .LBB354_100
; %bb.99:
	v_lshlrev_b32_e32 v5, 2, v0
	ds_read_b32 v20, v5
	v_and_b32_e32 v21, 7, v101
	v_cmp_ne_u32_e32 vcc, 0, v21
	s_waitcnt lgkmcnt(0)
	v_mov_b32_dpp v22, v20 row_shr:1 row_mask:0xf bank_mask:0xf
	v_cndmask_b32_e32 v22, 0, v22, vcc
	v_add_u32_e32 v20, v22, v20
	v_cmp_lt_u32_e32 vcc, 1, v21
	s_nop 0
	v_mov_b32_dpp v22, v20 row_shr:2 row_mask:0xf bank_mask:0xf
	v_cndmask_b32_e32 v22, 0, v22, vcc
	v_add_u32_e32 v20, v20, v22
	v_cmp_lt_u32_e32 vcc, 3, v21
	s_nop 0
	v_mov_b32_dpp v22, v20 row_shr:4 row_mask:0xf bank_mask:0xf
	v_cndmask_b32_e32 v21, 0, v22, vcc
	v_add_u32_e32 v20, v20, v21
	ds_write_b32 v5, v20
.LBB354_100:
	s_or_b64 exec, exec, s[2:3]
	v_cmp_lt_u32_e32 vcc, 63, v0
	v_mov_b32_e32 v5, 0
	v_mov_b32_e32 v20, 0
	s_waitcnt lgkmcnt(0)
	s_barrier
	s_and_saveexec_b64 s[2:3], vcc
	s_cbranch_execz .LBB354_102
; %bb.101:
	v_lshl_add_u32 v20, v102, 2, -4
	ds_read_b32 v20, v20
.LBB354_102:
	s_or_b64 exec, exec, s[2:3]
	v_add_u32_e32 v21, -1, v101
	v_and_b32_e32 v22, 64, v101
	v_cmp_lt_i32_e32 vcc, v21, v22
	s_waitcnt lgkmcnt(0)
	v_add_u32_e32 v4, v20, v4
	v_cndmask_b32_e32 v21, v21, v101, vcc
	v_lshlrev_b32_e32 v21, 2, v21
	ds_bpermute_b32 v21, v21, v4
	ds_read_b32 v4, v5 offset:28
	v_cmp_eq_u32_e32 vcc, 0, v0
	s_and_saveexec_b64 s[2:3], vcc
	s_cbranch_execz .LBB354_104
; %bb.103:
	v_mov_b32_e32 v22, 0
	v_mov_b32_e32 v5, 2
	s_waitcnt lgkmcnt(0)
	global_store_dwordx2 v22, v[4:5], s[34:35] offset:512 sc1
.LBB354_104:
	s_or_b64 exec, exec, s[2:3]
	v_cmp_eq_u32_e64 s[2:3], 0, v101
	s_waitcnt lgkmcnt(0)
	s_barrier
	v_cndmask_b32_e64 v5, v21, v20, s[2:3]
	v_mov_b32_e32 v20, 0
	v_cndmask_b32_e64 v21, v5, 0, vcc
.LBB354_105:
	v_add_u32_e32 v5, v21, v73
	v_add_u32_e32 v22, v5, v74
	;; [unrolled: 1-line block ×22, first 2 shown]
	v_sub_u32_e32 v21, v21, v20
	v_and_b32_e32 v72, 1, v72
	v_add_u32_e32 v87, v86, v94
	v_sub_u32_e32 v94, v40, v21
	v_cmp_eq_u32_e32 vcc, 1, v72
	v_sub_u32_e32 v5, v5, v20
	v_add_u32_e32 v88, v87, v95
	v_cndmask_b32_e32 v21, v94, v21, vcc
	v_lshlrev_b32_e32 v21, 1, v21
	ds_write_b16 v21, v18
	v_sub_u32_e32 v18, v40, v5
	v_and_b32_e32 v21, 1, v71
	v_add_u32_e32 v18, 1, v18
	v_cmp_eq_u32_e32 vcc, 1, v21
	v_and_b32_e32 v21, 1, v70
	v_add_u32_e32 v89, v88, v96
	v_cndmask_b32_e32 v5, v18, v5, vcc
	v_lshlrev_b32_e32 v5, 1, v5
	ds_write_b16 v5, v42
	v_sub_u32_e32 v5, v22, v20
	v_sub_u32_e32 v18, v40, v5
	v_add_u32_e32 v18, 2, v18
	v_cmp_eq_u32_e32 vcc, 1, v21
	v_add_u32_e32 v90, v89, v97
	v_add_u32_e32 v91, v90, v98
	v_cndmask_b32_e32 v5, v18, v5, vcc
	v_lshlrev_b32_e32 v5, 1, v5
	ds_write_b16 v5, v19
	v_sub_u32_e32 v5, v23, v20
	v_sub_u32_e32 v18, v40, v5
	v_and_b32_e32 v19, 1, v69
	v_add_u32_e32 v18, 3, v18
	v_cmp_eq_u32_e32 vcc, 1, v19
	v_and_b32_e32 v19, 1, v68
	v_add_u32_e32 v92, v91, v99
	v_cndmask_b32_e32 v5, v18, v5, vcc
	v_lshlrev_b32_e32 v5, 1, v5
	ds_write_b16 v5, v41
	v_sub_u32_e32 v5, v24, v20
	v_sub_u32_e32 v18, v40, v5
	v_add_u32_e32 v18, 4, v18
	v_cmp_eq_u32_e32 vcc, 1, v19
	v_add_u32_e32 v93, v92, v100
	v_mov_b32_e32 v21, 0
	v_cndmask_b32_e32 v5, v18, v5, vcc
	v_lshlrev_b32_e32 v5, 1, v5
	ds_write_b16 v5, v16
	v_sub_u32_e32 v5, v25, v20
	v_sub_u32_e32 v16, v40, v5
	v_and_b32_e32 v18, 1, v67
	v_add_u32_e32 v16, 5, v16
	v_cmp_eq_u32_e32 vcc, 1, v18
	v_and_b32_e32 v18, 1, v66
	s_load_dwordx4 s[0:3], s[0:1], 0x28
	v_cndmask_b32_e32 v5, v16, v5, vcc
	v_lshlrev_b32_e32 v5, 1, v5
	ds_write_b16 v5, v39
	v_sub_u32_e32 v5, v26, v20
	v_sub_u32_e32 v16, v40, v5
	v_add_u32_e32 v16, 6, v16
	v_cmp_eq_u32_e32 vcc, 1, v18
	v_or_b32_e32 v69, 0x200, v0
	v_or_b32_e32 v67, 0x400, v0
	v_cndmask_b32_e32 v5, v16, v5, vcc
	v_lshlrev_b32_e32 v5, 1, v5
	ds_write_b16 v5, v17
	v_sub_u32_e32 v5, v27, v20
	v_sub_u32_e32 v16, v40, v5
	v_and_b32_e32 v17, 1, v65
	v_add_u32_e32 v16, 7, v16
	v_cmp_eq_u32_e32 vcc, 1, v17
	v_and_b32_e32 v17, 1, v64
	v_or_b32_e32 v65, 0x600, v0
	v_cndmask_b32_e32 v5, v16, v5, vcc
	v_lshlrev_b32_e32 v5, 1, v5
	ds_write_b16 v5, v38
	v_sub_u32_e32 v5, v73, v20
	v_sub_u32_e32 v16, v40, v5
	v_add_u32_e32 v16, 8, v16
	v_cmp_eq_u32_e32 vcc, 1, v17
	v_or_b32_e32 v41, 0x1e00, v0
	v_or_b32_e32 v39, 0x2000, v0
	v_cndmask_b32_e32 v5, v16, v5, vcc
	v_lshlrev_b32_e32 v5, 1, v5
	ds_write_b16 v5, v14
	v_sub_u32_e32 v5, v74, v20
	v_sub_u32_e32 v14, v40, v5
	v_and_b32_e32 v16, 1, v63
	v_add_u32_e32 v14, 9, v14
	v_cmp_eq_u32_e32 vcc, 1, v16
	v_and_b32_e32 v16, 1, v62
	v_or_b32_e32 v63, 0x800, v0
	;; [unrolled: 19-line block ×7, first 2 shown]
	v_cndmask_b32_e32 v5, v10, v5, vcc
	v_lshlrev_b32_e32 v5, 1, v5
	ds_write_b16 v5, v32
	v_sub_u32_e32 v5, v85, v20
	v_sub_u32_e32 v10, v40, v5
	v_add_u32_e32 v10, 20, v10
	v_cmp_eq_u32_e32 vcc, 1, v11
	s_nop 1
	v_cndmask_b32_e32 v5, v10, v5, vcc
	v_lshlrev_b32_e32 v5, 1, v5
	ds_write_b16 v5, v8
	v_sub_u32_e32 v5, v86, v20
	v_sub_u32_e32 v8, v40, v5
	v_and_b32_e32 v10, 1, v51
	v_add_u32_e32 v8, 21, v8
	v_cmp_eq_u32_e32 vcc, 1, v10
	v_and_b32_e32 v10, 1, v50
	v_or_b32_e32 v51, 0x1400, v0
	v_cndmask_b32_e32 v5, v8, v5, vcc
	v_lshlrev_b32_e32 v5, 1, v5
	ds_write_b16 v5, v31
	v_sub_u32_e32 v5, v87, v20
	v_sub_u32_e32 v8, v40, v5
	v_add_u32_e32 v8, 22, v8
	v_cmp_eq_u32_e32 vcc, 1, v10
	v_lshl_add_u64 v[10:11], s[28:29], 0, v[20:21]
	v_or_b32_e32 v31, 0x2800, v0
	v_cndmask_b32_e32 v5, v8, v5, vcc
	v_lshlrev_b32_e32 v5, 1, v5
	ds_write_b16 v5, v9
	v_sub_u32_e32 v5, v88, v20
	v_sub_u32_e32 v8, v40, v5
	v_and_b32_e32 v9, 1, v49
	v_add_u32_e32 v8, 23, v8
	v_cmp_eq_u32_e32 vcc, 1, v9
	v_and_b32_e32 v9, 1, v48
	v_or_b32_e32 v49, 0x1600, v0
	v_cndmask_b32_e32 v5, v8, v5, vcc
	v_lshlrev_b32_e32 v5, 1, v5
	ds_write_b16 v5, v30
	v_sub_u32_e32 v5, v89, v20
	v_sub_u32_e32 v8, v40, v5
	v_add_u32_e32 v8, 24, v8
	v_cmp_eq_u32_e32 vcc, 1, v9
	s_nop 1
	v_cndmask_b32_e32 v5, v8, v5, vcc
	v_lshlrev_b32_e32 v5, 1, v5
	ds_write_b16 v5, v6
	v_sub_u32_e32 v5, v90, v20
	v_sub_u32_e32 v6, v40, v5
	v_and_b32_e32 v8, 1, v47
	v_add_u32_e32 v6, 25, v6
	v_cmp_eq_u32_e32 vcc, 1, v8
	v_and_b32_e32 v8, 1, v46
	v_or_b32_e32 v47, 0x1800, v0
	v_cndmask_b32_e32 v5, v6, v5, vcc
	v_lshlrev_b32_e32 v5, 1, v5
	ds_write_b16 v5, v29
	v_sub_u32_e32 v5, v91, v20
	v_sub_u32_e32 v6, v40, v5
	v_add_u32_e32 v6, 26, v6
	v_cmp_eq_u32_e32 vcc, 1, v8
	v_or_b32_e32 v29, 0x2a00, v0
	s_nop 0
	v_cndmask_b32_e32 v5, v6, v5, vcc
	v_lshlrev_b32_e32 v5, 1, v5
	ds_write_b16 v5, v7
	v_sub_u32_e32 v5, v92, v20
	v_sub_u32_e32 v6, v40, v5
	v_and_b32_e32 v7, 1, v45
	v_add_u32_e32 v6, 27, v6
	v_cmp_eq_u32_e32 vcc, 1, v7
	v_and_b32_e32 v7, 1, v43
	v_or_b32_e32 v45, 0x1a00, v0
	v_cndmask_b32_e32 v5, v6, v5, vcc
	v_lshlrev_b32_e32 v5, 1, v5
	ds_write_b16 v5, v28
	v_sub_u32_e32 v5, v93, v20
	v_sub_u32_e32 v6, v40, v5
	v_add_u32_e32 v6, 28, v6
	v_cmp_eq_u32_e32 vcc, 1, v7
	s_nop 1
	v_cndmask_b32_e32 v5, v6, v5, vcc
	v_lshlrev_b32_e32 v5, 1, v5
	ds_write_b16 v5, v3
	v_sub_u32_sdwa v3, v43, v20 dst_sel:DWORD dst_unused:UNUSED_PAD src0_sel:BYTE_0 src1_sel:DWORD
	v_add_u32_e32 v3, v93, v3
	v_sub_u32_e32 v5, v40, v3
	v_and_b32_e32 v6, 1, v44
	v_add_u32_e32 v5, 29, v5
	v_cmp_eq_u32_e32 vcc, 1, v6
	v_or_b32_e32 v43, 0x1c00, v0
	s_nop 0
	v_cndmask_b32_e32 v3, v5, v3, vcc
	v_lshlrev_b32_e32 v3, 1, v3
	ds_write_b16 v3, v1
	s_waitcnt lgkmcnt(0)
	s_barrier
	ds_read_u16 v71, v2
	ds_read_u16 v70, v2 offset:1024
	ds_read_u16 v68, v2 offset:2048
	ds_read_u16 v66, v2 offset:3072
	ds_read_u16 v64, v2 offset:4096
	ds_read_u16 v62, v2 offset:5120
	ds_read_u16 v60, v2 offset:6144
	ds_read_u16 v58, v2 offset:7168
	ds_read_u16 v56, v2 offset:8192
	ds_read_u16 v54, v2 offset:9216
	ds_read_u16 v52, v2 offset:10240
	ds_read_u16 v50, v2 offset:11264
	ds_read_u16 v48, v2 offset:12288
	ds_read_u16 v46, v2 offset:13312
	ds_read_u16 v44, v2 offset:14336
	ds_read_u16 v42, v2 offset:15360
	ds_read_u16 v40, v2 offset:16384
	ds_read_u16 v38, v2 offset:17408
	ds_read_u16 v36, v2 offset:18432
	ds_read_u16 v34, v2 offset:19456
	ds_read_u16 v32, v2 offset:20480
	ds_read_u16 v30, v2 offset:21504
	ds_read_u16 v28, v2 offset:22528
	ds_read_u16 v26, v2 offset:23552
	ds_read_u16 v24, v2 offset:24576
	ds_read_u16 v22, v2 offset:25600
	ds_read_u16 v18, v2 offset:26624
	ds_read_u16 v16, v2 offset:27648
	ds_read_u16 v14, v2 offset:28672
	ds_read_u16 v12, v2 offset:29696
	v_mov_b32_e32 v5, v21
	v_lshl_add_u64 v[6:7], v[10:11], 0, v[4:5]
	v_mov_b32_e32 v3, s23
	v_sub_co_u32_e32 v8, vcc, s22, v6
	v_lshlrev_b64 v[10:11], 1, v[10:11]
	s_nop 0
	v_subb_co_u32_e32 v9, vcc, v3, v7, vcc
	v_lshlrev_b64 v[8:9], 1, v[8:9]
	v_lshl_add_u64 v[8:9], s[2:3], 0, v[8:9]
	v_or_b32_e32 v1, 0x3a00, v0
	v_lshl_add_u64 v[8:9], v[8:9], 0, s[30:31]
	s_and_b64 vcc, exec, s[20:21]
	v_lshl_add_u64 v[10:11], s[0:1], 0, v[10:11]
	s_cbranch_vccnz .LBB354_107
; %bb.106:
	v_cmp_lt_u32_e32 vcc, v0, v4
	v_mov_b32_e32 v3, v21
	v_lshlrev_b32_e32 v20, 1, v63
	v_cndmask_b32_e32 v73, v9, v11, vcc
	v_cndmask_b32_e32 v72, v8, v10, vcc
	v_lshl_add_u64 v[72:73], v[72:73], 0, v[2:3]
	v_cmp_lt_u32_e32 vcc, v69, v4
	s_waitcnt lgkmcnt(14)
	global_store_short v[72:73], v71, off
	v_cndmask_b32_e32 v73, v9, v11, vcc
	v_cndmask_b32_e32 v72, v8, v10, vcc
	v_lshl_add_u64 v[72:73], v[72:73], 0, v[2:3]
	v_cmp_lt_u32_e32 vcc, v67, v4
	global_store_short v[72:73], v70, off offset:1024
	s_mov_b64 s[0:1], -1
	v_cndmask_b32_e32 v73, v9, v11, vcc
	v_cndmask_b32_e32 v72, v8, v10, vcc
	v_lshl_add_u64 v[72:73], v[72:73], 0, v[2:3]
	v_cmp_lt_u32_e32 vcc, v65, v4
	global_store_short v[72:73], v68, off offset:2048
	s_nop 0
	v_cndmask_b32_e32 v73, v9, v11, vcc
	v_cndmask_b32_e32 v72, v8, v10, vcc
	v_lshl_add_u64 v[72:73], v[72:73], 0, v[2:3]
	v_cmp_lt_u32_e32 vcc, v63, v4
	global_store_short v[72:73], v66, off offset:3072
	s_nop 0
	v_cndmask_b32_e32 v73, v9, v11, vcc
	v_cndmask_b32_e32 v72, v8, v10, vcc
	v_lshl_add_u64 v[72:73], v[72:73], 0, v[20:21]
	v_cmp_lt_u32_e32 vcc, v61, v4
	global_store_short v[72:73], v64, off
	v_lshlrev_b32_e32 v20, 1, v61
	v_cndmask_b32_e32 v73, v9, v11, vcc
	v_cndmask_b32_e32 v72, v8, v10, vcc
	v_lshl_add_u64 v[72:73], v[72:73], 0, v[20:21]
	v_cmp_lt_u32_e32 vcc, v59, v4
	global_store_short v[72:73], v62, off
	v_lshlrev_b32_e32 v20, 1, v59
	;; [unrolled: 6-line block ×12, first 2 shown]
	v_cndmask_b32_e32 v73, v9, v11, vcc
	v_cndmask_b32_e32 v72, v8, v10, vcc
	v_lshl_add_u64 v[72:73], v[72:73], 0, v[20:21]
	v_cmp_lt_u32_e32 vcc, v37, v4
	s_waitcnt lgkmcnt(13)
	global_store_short v[72:73], v40, off
	v_lshlrev_b32_e32 v20, 1, v37
	v_cndmask_b32_e32 v73, v9, v11, vcc
	v_cndmask_b32_e32 v72, v8, v10, vcc
	v_lshl_add_u64 v[72:73], v[72:73], 0, v[20:21]
	v_cmp_lt_u32_e32 vcc, v35, v4
	s_waitcnt lgkmcnt(12)
	global_store_short v[72:73], v38, off
	v_lshlrev_b32_e32 v20, 1, v35
	;; [unrolled: 7-line block ×12, first 2 shown]
	v_cndmask_b32_e32 v73, v9, v11, vcc
	v_cndmask_b32_e32 v72, v8, v10, vcc
	v_lshl_add_u64 v[20:21], v[72:73], 0, v[20:21]
	s_waitcnt lgkmcnt(1)
	global_store_short v[20:21], v14, off
	s_cbranch_execz .LBB354_108
	s_branch .LBB354_139
.LBB354_107:
	s_mov_b64 s[0:1], 0
.LBB354_108:
	v_cmp_gt_u32_e32 vcc, s33, v0
	s_and_saveexec_b64 s[0:1], vcc
	s_cbranch_execnz .LBB354_144
; %bb.109:
	s_or_b64 exec, exec, s[0:1]
	v_cmp_gt_u32_e32 vcc, s33, v69
	s_and_saveexec_b64 s[0:1], vcc
	s_cbranch_execnz .LBB354_145
.LBB354_110:
	s_or_b64 exec, exec, s[0:1]
	v_cmp_gt_u32_e32 vcc, s33, v67
	s_and_saveexec_b64 s[0:1], vcc
	s_cbranch_execnz .LBB354_146
.LBB354_111:
	s_or_b64 exec, exec, s[0:1]
	v_cmp_gt_u32_e32 vcc, s33, v65
	s_and_saveexec_b64 s[0:1], vcc
	s_cbranch_execnz .LBB354_147
.LBB354_112:
	s_or_b64 exec, exec, s[0:1]
	v_cmp_gt_u32_e32 vcc, s33, v63
	s_and_saveexec_b64 s[0:1], vcc
	s_cbranch_execnz .LBB354_148
.LBB354_113:
	s_or_b64 exec, exec, s[0:1]
	v_cmp_gt_u32_e32 vcc, s33, v61
	s_and_saveexec_b64 s[0:1], vcc
	s_cbranch_execnz .LBB354_149
.LBB354_114:
	s_or_b64 exec, exec, s[0:1]
	v_cmp_gt_u32_e32 vcc, s33, v59
	s_and_saveexec_b64 s[0:1], vcc
	s_cbranch_execnz .LBB354_150
.LBB354_115:
	s_or_b64 exec, exec, s[0:1]
	v_cmp_gt_u32_e32 vcc, s33, v57
	s_and_saveexec_b64 s[0:1], vcc
	s_cbranch_execnz .LBB354_151
.LBB354_116:
	s_or_b64 exec, exec, s[0:1]
	v_cmp_gt_u32_e32 vcc, s33, v55
	s_and_saveexec_b64 s[0:1], vcc
	s_cbranch_execnz .LBB354_152
.LBB354_117:
	s_or_b64 exec, exec, s[0:1]
	v_cmp_gt_u32_e32 vcc, s33, v53
	s_and_saveexec_b64 s[0:1], vcc
	s_cbranch_execnz .LBB354_153
.LBB354_118:
	s_or_b64 exec, exec, s[0:1]
	v_cmp_gt_u32_e32 vcc, s33, v51
	s_and_saveexec_b64 s[0:1], vcc
	s_cbranch_execnz .LBB354_154
.LBB354_119:
	s_or_b64 exec, exec, s[0:1]
	v_cmp_gt_u32_e32 vcc, s33, v49
	s_and_saveexec_b64 s[0:1], vcc
	s_cbranch_execnz .LBB354_155
.LBB354_120:
	s_or_b64 exec, exec, s[0:1]
	v_cmp_gt_u32_e32 vcc, s33, v47
	s_and_saveexec_b64 s[0:1], vcc
	s_cbranch_execnz .LBB354_156
.LBB354_121:
	s_or_b64 exec, exec, s[0:1]
	v_cmp_gt_u32_e32 vcc, s33, v45
	s_and_saveexec_b64 s[0:1], vcc
	s_cbranch_execnz .LBB354_157
.LBB354_122:
	s_or_b64 exec, exec, s[0:1]
	v_cmp_gt_u32_e32 vcc, s33, v43
	s_and_saveexec_b64 s[0:1], vcc
	s_cbranch_execnz .LBB354_158
.LBB354_123:
	s_or_b64 exec, exec, s[0:1]
	v_cmp_gt_u32_e32 vcc, s33, v41
	s_and_saveexec_b64 s[0:1], vcc
	s_cbranch_execnz .LBB354_159
.LBB354_124:
	s_or_b64 exec, exec, s[0:1]
	v_cmp_gt_u32_e32 vcc, s33, v39
	s_and_saveexec_b64 s[0:1], vcc
	s_cbranch_execnz .LBB354_160
.LBB354_125:
	s_or_b64 exec, exec, s[0:1]
	v_cmp_gt_u32_e32 vcc, s33, v37
	s_and_saveexec_b64 s[0:1], vcc
	s_cbranch_execnz .LBB354_161
.LBB354_126:
	s_or_b64 exec, exec, s[0:1]
	v_cmp_gt_u32_e32 vcc, s33, v35
	s_and_saveexec_b64 s[0:1], vcc
	s_cbranch_execnz .LBB354_162
.LBB354_127:
	s_or_b64 exec, exec, s[0:1]
	v_cmp_gt_u32_e32 vcc, s33, v33
	s_and_saveexec_b64 s[0:1], vcc
	s_cbranch_execnz .LBB354_163
.LBB354_128:
	s_or_b64 exec, exec, s[0:1]
	v_cmp_gt_u32_e32 vcc, s33, v31
	s_and_saveexec_b64 s[0:1], vcc
	s_cbranch_execnz .LBB354_164
.LBB354_129:
	s_or_b64 exec, exec, s[0:1]
	v_cmp_gt_u32_e32 vcc, s33, v29
	s_and_saveexec_b64 s[0:1], vcc
	s_cbranch_execnz .LBB354_165
.LBB354_130:
	s_or_b64 exec, exec, s[0:1]
	v_cmp_gt_u32_e32 vcc, s33, v27
	s_and_saveexec_b64 s[0:1], vcc
	s_cbranch_execnz .LBB354_166
.LBB354_131:
	s_or_b64 exec, exec, s[0:1]
	v_cmp_gt_u32_e32 vcc, s33, v25
	s_and_saveexec_b64 s[0:1], vcc
	s_cbranch_execnz .LBB354_167
.LBB354_132:
	s_or_b64 exec, exec, s[0:1]
	v_cmp_gt_u32_e32 vcc, s33, v23
	s_and_saveexec_b64 s[0:1], vcc
	s_cbranch_execnz .LBB354_168
.LBB354_133:
	s_or_b64 exec, exec, s[0:1]
	v_cmp_gt_u32_e32 vcc, s33, v19
	s_and_saveexec_b64 s[0:1], vcc
	s_cbranch_execnz .LBB354_169
.LBB354_134:
	s_or_b64 exec, exec, s[0:1]
	v_cmp_gt_u32_e32 vcc, s33, v17
	s_and_saveexec_b64 s[0:1], vcc
	s_cbranch_execnz .LBB354_170
.LBB354_135:
	s_or_b64 exec, exec, s[0:1]
	v_cmp_gt_u32_e32 vcc, s33, v15
	s_and_saveexec_b64 s[0:1], vcc
	s_cbranch_execnz .LBB354_171
.LBB354_136:
	s_or_b64 exec, exec, s[0:1]
	v_cmp_gt_u32_e32 vcc, s33, v13
	s_and_saveexec_b64 s[0:1], vcc
	s_cbranch_execz .LBB354_138
.LBB354_137:
	v_cmp_lt_u32_e32 vcc, v13, v4
	s_waitcnt lgkmcnt(2)
	v_lshlrev_b32_e32 v16, 1, v13
	v_mov_b32_e32 v17, 0
	v_cndmask_b32_e32 v3, v9, v11, vcc
	v_cndmask_b32_e32 v2, v8, v10, vcc
	v_lshl_add_u64 v[2:3], v[2:3], 0, v[16:17]
	s_waitcnt lgkmcnt(1)
	global_store_short v[2:3], v14, off
.LBB354_138:
	s_or_b64 exec, exec, s[0:1]
	v_cmp_gt_u32_e64 s[0:1], s33, v1
.LBB354_139:
	s_and_saveexec_b64 s[2:3], s[0:1]
	s_cbranch_execz .LBB354_141
; %bb.140:
	v_cmp_lt_u32_e32 vcc, v1, v4
	v_lshlrev_b32_e32 v4, 1, v1
	v_mov_b32_e32 v5, 0
	v_cndmask_b32_e32 v3, v9, v11, vcc
	v_cndmask_b32_e32 v2, v8, v10, vcc
	v_lshl_add_u64 v[2:3], v[2:3], 0, v[4:5]
	s_waitcnt lgkmcnt(0)
	global_store_short v[2:3], v12, off
.LBB354_141:
	s_or_b64 exec, exec, s[2:3]
	v_cmp_eq_u32_e32 vcc, 0, v0
	s_and_b64 s[0:1], vcc, s[26:27]
	s_and_saveexec_b64 s[2:3], s[0:1]
	s_cbranch_execz .LBB354_143
; %bb.142:
	v_mov_b32_e32 v0, 0
	global_store_dwordx2 v0, v[6:7], s[24:25]
.LBB354_143:
	s_endpgm
.LBB354_144:
	v_cmp_lt_u32_e32 vcc, v0, v4
	v_mov_b32_e32 v3, 0
	s_nop 0
	v_cndmask_b32_e32 v21, v9, v11, vcc
	v_cndmask_b32_e32 v20, v8, v10, vcc
	v_lshl_add_u64 v[20:21], v[20:21], 0, v[2:3]
	s_waitcnt lgkmcnt(14)
	global_store_short v[20:21], v71, off
	s_or_b64 exec, exec, s[0:1]
	v_cmp_gt_u32_e32 vcc, s33, v69
	s_and_saveexec_b64 s[0:1], vcc
	s_cbranch_execz .LBB354_110
.LBB354_145:
	v_cmp_lt_u32_e32 vcc, v69, v4
	v_mov_b32_e32 v3, 0
	s_nop 0
	v_cndmask_b32_e32 v21, v9, v11, vcc
	v_cndmask_b32_e32 v20, v8, v10, vcc
	v_lshl_add_u64 v[20:21], v[20:21], 0, v[2:3]
	s_waitcnt lgkmcnt(14)
	global_store_short v[20:21], v70, off offset:1024
	s_or_b64 exec, exec, s[0:1]
	v_cmp_gt_u32_e32 vcc, s33, v67
	s_and_saveexec_b64 s[0:1], vcc
	s_cbranch_execz .LBB354_111
.LBB354_146:
	v_cmp_lt_u32_e32 vcc, v67, v4
	v_mov_b32_e32 v3, 0
	s_nop 0
	v_cndmask_b32_e32 v21, v9, v11, vcc
	v_cndmask_b32_e32 v20, v8, v10, vcc
	v_lshl_add_u64 v[20:21], v[20:21], 0, v[2:3]
	s_waitcnt lgkmcnt(14)
	global_store_short v[20:21], v68, off offset:2048
	s_or_b64 exec, exec, s[0:1]
	v_cmp_gt_u32_e32 vcc, s33, v65
	s_and_saveexec_b64 s[0:1], vcc
	s_cbranch_execz .LBB354_112
.LBB354_147:
	v_cmp_lt_u32_e32 vcc, v65, v4
	v_mov_b32_e32 v3, 0
	s_nop 0
	v_cndmask_b32_e32 v21, v9, v11, vcc
	v_cndmask_b32_e32 v20, v8, v10, vcc
	v_lshl_add_u64 v[2:3], v[20:21], 0, v[2:3]
	s_waitcnt lgkmcnt(14)
	global_store_short v[2:3], v66, off offset:3072
	s_or_b64 exec, exec, s[0:1]
	v_cmp_gt_u32_e32 vcc, s33, v63
	s_and_saveexec_b64 s[0:1], vcc
	s_cbranch_execz .LBB354_113
.LBB354_148:
	v_cmp_lt_u32_e32 vcc, v63, v4
	v_lshlrev_b32_e32 v20, 1, v63
	v_mov_b32_e32 v21, 0
	v_cndmask_b32_e32 v3, v9, v11, vcc
	v_cndmask_b32_e32 v2, v8, v10, vcc
	v_lshl_add_u64 v[2:3], v[2:3], 0, v[20:21]
	s_waitcnt lgkmcnt(14)
	global_store_short v[2:3], v64, off
	s_or_b64 exec, exec, s[0:1]
	v_cmp_gt_u32_e32 vcc, s33, v61
	s_and_saveexec_b64 s[0:1], vcc
	s_cbranch_execz .LBB354_114
.LBB354_149:
	v_cmp_lt_u32_e32 vcc, v61, v4
	v_lshlrev_b32_e32 v20, 1, v61
	v_mov_b32_e32 v21, 0
	v_cndmask_b32_e32 v3, v9, v11, vcc
	v_cndmask_b32_e32 v2, v8, v10, vcc
	v_lshl_add_u64 v[2:3], v[2:3], 0, v[20:21]
	s_waitcnt lgkmcnt(14)
	global_store_short v[2:3], v62, off
	s_or_b64 exec, exec, s[0:1]
	v_cmp_gt_u32_e32 vcc, s33, v59
	s_and_saveexec_b64 s[0:1], vcc
	s_cbranch_execz .LBB354_115
.LBB354_150:
	v_cmp_lt_u32_e32 vcc, v59, v4
	v_lshlrev_b32_e32 v20, 1, v59
	v_mov_b32_e32 v21, 0
	v_cndmask_b32_e32 v3, v9, v11, vcc
	v_cndmask_b32_e32 v2, v8, v10, vcc
	v_lshl_add_u64 v[2:3], v[2:3], 0, v[20:21]
	s_waitcnt lgkmcnt(14)
	global_store_short v[2:3], v60, off
	s_or_b64 exec, exec, s[0:1]
	v_cmp_gt_u32_e32 vcc, s33, v57
	s_and_saveexec_b64 s[0:1], vcc
	s_cbranch_execz .LBB354_116
.LBB354_151:
	v_cmp_lt_u32_e32 vcc, v57, v4
	v_lshlrev_b32_e32 v20, 1, v57
	v_mov_b32_e32 v21, 0
	v_cndmask_b32_e32 v3, v9, v11, vcc
	v_cndmask_b32_e32 v2, v8, v10, vcc
	v_lshl_add_u64 v[2:3], v[2:3], 0, v[20:21]
	s_waitcnt lgkmcnt(14)
	global_store_short v[2:3], v58, off
	s_or_b64 exec, exec, s[0:1]
	v_cmp_gt_u32_e32 vcc, s33, v55
	s_and_saveexec_b64 s[0:1], vcc
	s_cbranch_execz .LBB354_117
.LBB354_152:
	v_cmp_lt_u32_e32 vcc, v55, v4
	v_lshlrev_b32_e32 v20, 1, v55
	v_mov_b32_e32 v21, 0
	v_cndmask_b32_e32 v3, v9, v11, vcc
	v_cndmask_b32_e32 v2, v8, v10, vcc
	v_lshl_add_u64 v[2:3], v[2:3], 0, v[20:21]
	s_waitcnt lgkmcnt(14)
	global_store_short v[2:3], v56, off
	s_or_b64 exec, exec, s[0:1]
	v_cmp_gt_u32_e32 vcc, s33, v53
	s_and_saveexec_b64 s[0:1], vcc
	s_cbranch_execz .LBB354_118
.LBB354_153:
	v_cmp_lt_u32_e32 vcc, v53, v4
	v_lshlrev_b32_e32 v20, 1, v53
	v_mov_b32_e32 v21, 0
	v_cndmask_b32_e32 v3, v9, v11, vcc
	v_cndmask_b32_e32 v2, v8, v10, vcc
	v_lshl_add_u64 v[2:3], v[2:3], 0, v[20:21]
	s_waitcnt lgkmcnt(14)
	global_store_short v[2:3], v54, off
	s_or_b64 exec, exec, s[0:1]
	v_cmp_gt_u32_e32 vcc, s33, v51
	s_and_saveexec_b64 s[0:1], vcc
	s_cbranch_execz .LBB354_119
.LBB354_154:
	v_cmp_lt_u32_e32 vcc, v51, v4
	v_lshlrev_b32_e32 v20, 1, v51
	v_mov_b32_e32 v21, 0
	v_cndmask_b32_e32 v3, v9, v11, vcc
	v_cndmask_b32_e32 v2, v8, v10, vcc
	v_lshl_add_u64 v[2:3], v[2:3], 0, v[20:21]
	s_waitcnt lgkmcnt(14)
	global_store_short v[2:3], v52, off
	s_or_b64 exec, exec, s[0:1]
	v_cmp_gt_u32_e32 vcc, s33, v49
	s_and_saveexec_b64 s[0:1], vcc
	s_cbranch_execz .LBB354_120
.LBB354_155:
	v_cmp_lt_u32_e32 vcc, v49, v4
	v_lshlrev_b32_e32 v20, 1, v49
	v_mov_b32_e32 v21, 0
	v_cndmask_b32_e32 v3, v9, v11, vcc
	v_cndmask_b32_e32 v2, v8, v10, vcc
	v_lshl_add_u64 v[2:3], v[2:3], 0, v[20:21]
	s_waitcnt lgkmcnt(14)
	global_store_short v[2:3], v50, off
	s_or_b64 exec, exec, s[0:1]
	v_cmp_gt_u32_e32 vcc, s33, v47
	s_and_saveexec_b64 s[0:1], vcc
	s_cbranch_execz .LBB354_121
.LBB354_156:
	v_cmp_lt_u32_e32 vcc, v47, v4
	v_lshlrev_b32_e32 v20, 1, v47
	v_mov_b32_e32 v21, 0
	v_cndmask_b32_e32 v3, v9, v11, vcc
	v_cndmask_b32_e32 v2, v8, v10, vcc
	v_lshl_add_u64 v[2:3], v[2:3], 0, v[20:21]
	s_waitcnt lgkmcnt(14)
	global_store_short v[2:3], v48, off
	s_or_b64 exec, exec, s[0:1]
	v_cmp_gt_u32_e32 vcc, s33, v45
	s_and_saveexec_b64 s[0:1], vcc
	s_cbranch_execz .LBB354_122
.LBB354_157:
	v_cmp_lt_u32_e32 vcc, v45, v4
	v_lshlrev_b32_e32 v20, 1, v45
	v_mov_b32_e32 v21, 0
	v_cndmask_b32_e32 v3, v9, v11, vcc
	v_cndmask_b32_e32 v2, v8, v10, vcc
	v_lshl_add_u64 v[2:3], v[2:3], 0, v[20:21]
	s_waitcnt lgkmcnt(14)
	global_store_short v[2:3], v46, off
	s_or_b64 exec, exec, s[0:1]
	v_cmp_gt_u32_e32 vcc, s33, v43
	s_and_saveexec_b64 s[0:1], vcc
	s_cbranch_execz .LBB354_123
.LBB354_158:
	v_cmp_lt_u32_e32 vcc, v43, v4
	v_lshlrev_b32_e32 v20, 1, v43
	v_mov_b32_e32 v21, 0
	v_cndmask_b32_e32 v3, v9, v11, vcc
	v_cndmask_b32_e32 v2, v8, v10, vcc
	v_lshl_add_u64 v[2:3], v[2:3], 0, v[20:21]
	s_waitcnt lgkmcnt(14)
	global_store_short v[2:3], v44, off
	s_or_b64 exec, exec, s[0:1]
	v_cmp_gt_u32_e32 vcc, s33, v41
	s_and_saveexec_b64 s[0:1], vcc
	s_cbranch_execz .LBB354_124
.LBB354_159:
	v_cmp_lt_u32_e32 vcc, v41, v4
	v_lshlrev_b32_e32 v20, 1, v41
	v_mov_b32_e32 v21, 0
	v_cndmask_b32_e32 v3, v9, v11, vcc
	v_cndmask_b32_e32 v2, v8, v10, vcc
	v_lshl_add_u64 v[2:3], v[2:3], 0, v[20:21]
	s_waitcnt lgkmcnt(14)
	global_store_short v[2:3], v42, off
	s_or_b64 exec, exec, s[0:1]
	v_cmp_gt_u32_e32 vcc, s33, v39
	s_and_saveexec_b64 s[0:1], vcc
	s_cbranch_execz .LBB354_125
.LBB354_160:
	v_cmp_lt_u32_e32 vcc, v39, v4
	v_lshlrev_b32_e32 v20, 1, v39
	v_mov_b32_e32 v21, 0
	v_cndmask_b32_e32 v3, v9, v11, vcc
	v_cndmask_b32_e32 v2, v8, v10, vcc
	v_lshl_add_u64 v[2:3], v[2:3], 0, v[20:21]
	s_waitcnt lgkmcnt(13)
	global_store_short v[2:3], v40, off
	s_or_b64 exec, exec, s[0:1]
	v_cmp_gt_u32_e32 vcc, s33, v37
	s_and_saveexec_b64 s[0:1], vcc
	s_cbranch_execz .LBB354_126
.LBB354_161:
	v_cmp_lt_u32_e32 vcc, v37, v4
	v_lshlrev_b32_e32 v20, 1, v37
	v_mov_b32_e32 v21, 0
	v_cndmask_b32_e32 v3, v9, v11, vcc
	v_cndmask_b32_e32 v2, v8, v10, vcc
	v_lshl_add_u64 v[2:3], v[2:3], 0, v[20:21]
	s_waitcnt lgkmcnt(12)
	global_store_short v[2:3], v38, off
	s_or_b64 exec, exec, s[0:1]
	v_cmp_gt_u32_e32 vcc, s33, v35
	s_and_saveexec_b64 s[0:1], vcc
	s_cbranch_execz .LBB354_127
.LBB354_162:
	v_cmp_lt_u32_e32 vcc, v35, v4
	v_lshlrev_b32_e32 v20, 1, v35
	v_mov_b32_e32 v21, 0
	v_cndmask_b32_e32 v3, v9, v11, vcc
	v_cndmask_b32_e32 v2, v8, v10, vcc
	v_lshl_add_u64 v[2:3], v[2:3], 0, v[20:21]
	s_waitcnt lgkmcnt(11)
	global_store_short v[2:3], v36, off
	s_or_b64 exec, exec, s[0:1]
	v_cmp_gt_u32_e32 vcc, s33, v33
	s_and_saveexec_b64 s[0:1], vcc
	s_cbranch_execz .LBB354_128
.LBB354_163:
	v_cmp_lt_u32_e32 vcc, v33, v4
	v_lshlrev_b32_e32 v20, 1, v33
	v_mov_b32_e32 v21, 0
	v_cndmask_b32_e32 v3, v9, v11, vcc
	v_cndmask_b32_e32 v2, v8, v10, vcc
	v_lshl_add_u64 v[2:3], v[2:3], 0, v[20:21]
	s_waitcnt lgkmcnt(10)
	global_store_short v[2:3], v34, off
	s_or_b64 exec, exec, s[0:1]
	v_cmp_gt_u32_e32 vcc, s33, v31
	s_and_saveexec_b64 s[0:1], vcc
	s_cbranch_execz .LBB354_129
.LBB354_164:
	v_cmp_lt_u32_e32 vcc, v31, v4
	v_lshlrev_b32_e32 v20, 1, v31
	v_mov_b32_e32 v21, 0
	v_cndmask_b32_e32 v3, v9, v11, vcc
	v_cndmask_b32_e32 v2, v8, v10, vcc
	v_lshl_add_u64 v[2:3], v[2:3], 0, v[20:21]
	s_waitcnt lgkmcnt(9)
	global_store_short v[2:3], v32, off
	s_or_b64 exec, exec, s[0:1]
	v_cmp_gt_u32_e32 vcc, s33, v29
	s_and_saveexec_b64 s[0:1], vcc
	s_cbranch_execz .LBB354_130
.LBB354_165:
	v_cmp_lt_u32_e32 vcc, v29, v4
	v_lshlrev_b32_e32 v20, 1, v29
	v_mov_b32_e32 v21, 0
	v_cndmask_b32_e32 v3, v9, v11, vcc
	v_cndmask_b32_e32 v2, v8, v10, vcc
	v_lshl_add_u64 v[2:3], v[2:3], 0, v[20:21]
	s_waitcnt lgkmcnt(8)
	global_store_short v[2:3], v30, off
	s_or_b64 exec, exec, s[0:1]
	v_cmp_gt_u32_e32 vcc, s33, v27
	s_and_saveexec_b64 s[0:1], vcc
	s_cbranch_execz .LBB354_131
.LBB354_166:
	v_cmp_lt_u32_e32 vcc, v27, v4
	v_lshlrev_b32_e32 v20, 1, v27
	v_mov_b32_e32 v21, 0
	v_cndmask_b32_e32 v3, v9, v11, vcc
	v_cndmask_b32_e32 v2, v8, v10, vcc
	v_lshl_add_u64 v[2:3], v[2:3], 0, v[20:21]
	s_waitcnt lgkmcnt(7)
	global_store_short v[2:3], v28, off
	s_or_b64 exec, exec, s[0:1]
	v_cmp_gt_u32_e32 vcc, s33, v25
	s_and_saveexec_b64 s[0:1], vcc
	s_cbranch_execz .LBB354_132
.LBB354_167:
	v_cmp_lt_u32_e32 vcc, v25, v4
	v_lshlrev_b32_e32 v20, 1, v25
	v_mov_b32_e32 v21, 0
	v_cndmask_b32_e32 v3, v9, v11, vcc
	v_cndmask_b32_e32 v2, v8, v10, vcc
	v_lshl_add_u64 v[2:3], v[2:3], 0, v[20:21]
	s_waitcnt lgkmcnt(6)
	global_store_short v[2:3], v26, off
	s_or_b64 exec, exec, s[0:1]
	v_cmp_gt_u32_e32 vcc, s33, v23
	s_and_saveexec_b64 s[0:1], vcc
	s_cbranch_execz .LBB354_133
.LBB354_168:
	v_cmp_lt_u32_e32 vcc, v23, v4
	v_lshlrev_b32_e32 v20, 1, v23
	v_mov_b32_e32 v21, 0
	v_cndmask_b32_e32 v3, v9, v11, vcc
	v_cndmask_b32_e32 v2, v8, v10, vcc
	v_lshl_add_u64 v[2:3], v[2:3], 0, v[20:21]
	s_waitcnt lgkmcnt(5)
	global_store_short v[2:3], v24, off
	s_or_b64 exec, exec, s[0:1]
	v_cmp_gt_u32_e32 vcc, s33, v19
	s_and_saveexec_b64 s[0:1], vcc
	s_cbranch_execz .LBB354_134
.LBB354_169:
	v_cmp_lt_u32_e32 vcc, v19, v4
	v_lshlrev_b32_e32 v20, 1, v19
	v_mov_b32_e32 v21, 0
	v_cndmask_b32_e32 v3, v9, v11, vcc
	v_cndmask_b32_e32 v2, v8, v10, vcc
	v_lshl_add_u64 v[2:3], v[2:3], 0, v[20:21]
	s_waitcnt lgkmcnt(4)
	global_store_short v[2:3], v22, off
	s_or_b64 exec, exec, s[0:1]
	v_cmp_gt_u32_e32 vcc, s33, v17
	s_and_saveexec_b64 s[0:1], vcc
	s_cbranch_execz .LBB354_135
.LBB354_170:
	v_cmp_lt_u32_e32 vcc, v17, v4
	v_lshlrev_b32_e32 v20, 1, v17
	v_mov_b32_e32 v21, 0
	v_cndmask_b32_e32 v3, v9, v11, vcc
	v_cndmask_b32_e32 v2, v8, v10, vcc
	v_lshl_add_u64 v[2:3], v[2:3], 0, v[20:21]
	s_waitcnt lgkmcnt(3)
	global_store_short v[2:3], v18, off
	s_or_b64 exec, exec, s[0:1]
	v_cmp_gt_u32_e32 vcc, s33, v15
	s_and_saveexec_b64 s[0:1], vcc
	s_cbranch_execz .LBB354_136
.LBB354_171:
	v_cmp_lt_u32_e32 vcc, v15, v4
	s_waitcnt lgkmcnt(3)
	v_lshlrev_b32_e32 v18, 1, v15
	v_mov_b32_e32 v19, 0
	v_cndmask_b32_e32 v3, v9, v11, vcc
	v_cndmask_b32_e32 v2, v8, v10, vcc
	v_lshl_add_u64 v[2:3], v[2:3], 0, v[18:19]
	s_waitcnt lgkmcnt(2)
	global_store_short v[2:3], v16, off
	s_or_b64 exec, exec, s[0:1]
	v_cmp_gt_u32_e32 vcc, s33, v13
	s_and_saveexec_b64 s[0:1], vcc
	s_cbranch_execnz .LBB354_137
	s_branch .LBB354_138
	.section	.rodata,"a",@progbits
	.p2align	6, 0x0
	.amdhsa_kernel _ZN7rocprim17ROCPRIM_400000_NS6detail17trampoline_kernelINS0_14default_configENS1_25partition_config_selectorILNS1_17partition_subalgoE0EsNS0_10empty_typeEbEEZZNS1_14partition_implILS5_0ELb0ES3_jN6thrust23THRUST_200600_302600_NS6detail15normal_iteratorINSA_10device_ptrIsEEEEPS6_SG_NS0_5tupleIJSF_SF_EEENSH_IJSG_SG_EEES6_PlJ7is_evenIsEEEE10hipError_tPvRmT3_T4_T5_T6_T7_T9_mT8_P12ihipStream_tbDpT10_ENKUlT_T0_E_clISt17integral_constantIbLb0EES16_EEDaS11_S12_EUlS11_E_NS1_11comp_targetILNS1_3genE5ELNS1_11target_archE942ELNS1_3gpuE9ELNS1_3repE0EEENS1_30default_config_static_selectorELNS0_4arch9wavefront6targetE1EEEvT1_
		.amdhsa_group_segment_fixed_size 30728
		.amdhsa_private_segment_fixed_size 0
		.amdhsa_kernarg_size 120
		.amdhsa_user_sgpr_count 2
		.amdhsa_user_sgpr_dispatch_ptr 0
		.amdhsa_user_sgpr_queue_ptr 0
		.amdhsa_user_sgpr_kernarg_segment_ptr 1
		.amdhsa_user_sgpr_dispatch_id 0
		.amdhsa_user_sgpr_kernarg_preload_length 0
		.amdhsa_user_sgpr_kernarg_preload_offset 0
		.amdhsa_user_sgpr_private_segment_size 0
		.amdhsa_uses_dynamic_stack 0
		.amdhsa_enable_private_segment 0
		.amdhsa_system_sgpr_workgroup_id_x 1
		.amdhsa_system_sgpr_workgroup_id_y 0
		.amdhsa_system_sgpr_workgroup_id_z 0
		.amdhsa_system_sgpr_workgroup_info 0
		.amdhsa_system_vgpr_workitem_id 0
		.amdhsa_next_free_vgpr 120
		.amdhsa_next_free_sgpr 44
		.amdhsa_accum_offset 120
		.amdhsa_reserve_vcc 1
		.amdhsa_float_round_mode_32 0
		.amdhsa_float_round_mode_16_64 0
		.amdhsa_float_denorm_mode_32 3
		.amdhsa_float_denorm_mode_16_64 3
		.amdhsa_dx10_clamp 1
		.amdhsa_ieee_mode 1
		.amdhsa_fp16_overflow 0
		.amdhsa_tg_split 0
		.amdhsa_exception_fp_ieee_invalid_op 0
		.amdhsa_exception_fp_denorm_src 0
		.amdhsa_exception_fp_ieee_div_zero 0
		.amdhsa_exception_fp_ieee_overflow 0
		.amdhsa_exception_fp_ieee_underflow 0
		.amdhsa_exception_fp_ieee_inexact 0
		.amdhsa_exception_int_div_zero 0
	.end_amdhsa_kernel
	.section	.text._ZN7rocprim17ROCPRIM_400000_NS6detail17trampoline_kernelINS0_14default_configENS1_25partition_config_selectorILNS1_17partition_subalgoE0EsNS0_10empty_typeEbEEZZNS1_14partition_implILS5_0ELb0ES3_jN6thrust23THRUST_200600_302600_NS6detail15normal_iteratorINSA_10device_ptrIsEEEEPS6_SG_NS0_5tupleIJSF_SF_EEENSH_IJSG_SG_EEES6_PlJ7is_evenIsEEEE10hipError_tPvRmT3_T4_T5_T6_T7_T9_mT8_P12ihipStream_tbDpT10_ENKUlT_T0_E_clISt17integral_constantIbLb0EES16_EEDaS11_S12_EUlS11_E_NS1_11comp_targetILNS1_3genE5ELNS1_11target_archE942ELNS1_3gpuE9ELNS1_3repE0EEENS1_30default_config_static_selectorELNS0_4arch9wavefront6targetE1EEEvT1_,"axG",@progbits,_ZN7rocprim17ROCPRIM_400000_NS6detail17trampoline_kernelINS0_14default_configENS1_25partition_config_selectorILNS1_17partition_subalgoE0EsNS0_10empty_typeEbEEZZNS1_14partition_implILS5_0ELb0ES3_jN6thrust23THRUST_200600_302600_NS6detail15normal_iteratorINSA_10device_ptrIsEEEEPS6_SG_NS0_5tupleIJSF_SF_EEENSH_IJSG_SG_EEES6_PlJ7is_evenIsEEEE10hipError_tPvRmT3_T4_T5_T6_T7_T9_mT8_P12ihipStream_tbDpT10_ENKUlT_T0_E_clISt17integral_constantIbLb0EES16_EEDaS11_S12_EUlS11_E_NS1_11comp_targetILNS1_3genE5ELNS1_11target_archE942ELNS1_3gpuE9ELNS1_3repE0EEENS1_30default_config_static_selectorELNS0_4arch9wavefront6targetE1EEEvT1_,comdat
.Lfunc_end354:
	.size	_ZN7rocprim17ROCPRIM_400000_NS6detail17trampoline_kernelINS0_14default_configENS1_25partition_config_selectorILNS1_17partition_subalgoE0EsNS0_10empty_typeEbEEZZNS1_14partition_implILS5_0ELb0ES3_jN6thrust23THRUST_200600_302600_NS6detail15normal_iteratorINSA_10device_ptrIsEEEEPS6_SG_NS0_5tupleIJSF_SF_EEENSH_IJSG_SG_EEES6_PlJ7is_evenIsEEEE10hipError_tPvRmT3_T4_T5_T6_T7_T9_mT8_P12ihipStream_tbDpT10_ENKUlT_T0_E_clISt17integral_constantIbLb0EES16_EEDaS11_S12_EUlS11_E_NS1_11comp_targetILNS1_3genE5ELNS1_11target_archE942ELNS1_3gpuE9ELNS1_3repE0EEENS1_30default_config_static_selectorELNS0_4arch9wavefront6targetE1EEEvT1_, .Lfunc_end354-_ZN7rocprim17ROCPRIM_400000_NS6detail17trampoline_kernelINS0_14default_configENS1_25partition_config_selectorILNS1_17partition_subalgoE0EsNS0_10empty_typeEbEEZZNS1_14partition_implILS5_0ELb0ES3_jN6thrust23THRUST_200600_302600_NS6detail15normal_iteratorINSA_10device_ptrIsEEEEPS6_SG_NS0_5tupleIJSF_SF_EEENSH_IJSG_SG_EEES6_PlJ7is_evenIsEEEE10hipError_tPvRmT3_T4_T5_T6_T7_T9_mT8_P12ihipStream_tbDpT10_ENKUlT_T0_E_clISt17integral_constantIbLb0EES16_EEDaS11_S12_EUlS11_E_NS1_11comp_targetILNS1_3genE5ELNS1_11target_archE942ELNS1_3gpuE9ELNS1_3repE0EEENS1_30default_config_static_selectorELNS0_4arch9wavefront6targetE1EEEvT1_
                                        ; -- End function
	.section	.AMDGPU.csdata,"",@progbits
; Kernel info:
; codeLenInByte = 10836
; NumSgprs: 50
; NumVgprs: 120
; NumAgprs: 0
; TotalNumVgprs: 120
; ScratchSize: 0
; MemoryBound: 0
; FloatMode: 240
; IeeeMode: 1
; LDSByteSize: 30728 bytes/workgroup (compile time only)
; SGPRBlocks: 6
; VGPRBlocks: 14
; NumSGPRsForWavesPerEU: 50
; NumVGPRsForWavesPerEU: 120
; AccumOffset: 120
; Occupancy: 4
; WaveLimiterHint : 1
; COMPUTE_PGM_RSRC2:SCRATCH_EN: 0
; COMPUTE_PGM_RSRC2:USER_SGPR: 2
; COMPUTE_PGM_RSRC2:TRAP_HANDLER: 0
; COMPUTE_PGM_RSRC2:TGID_X_EN: 1
; COMPUTE_PGM_RSRC2:TGID_Y_EN: 0
; COMPUTE_PGM_RSRC2:TGID_Z_EN: 0
; COMPUTE_PGM_RSRC2:TIDIG_COMP_CNT: 0
; COMPUTE_PGM_RSRC3_GFX90A:ACCUM_OFFSET: 29
; COMPUTE_PGM_RSRC3_GFX90A:TG_SPLIT: 0
	.section	.text._ZN7rocprim17ROCPRIM_400000_NS6detail17trampoline_kernelINS0_14default_configENS1_25partition_config_selectorILNS1_17partition_subalgoE0EsNS0_10empty_typeEbEEZZNS1_14partition_implILS5_0ELb0ES3_jN6thrust23THRUST_200600_302600_NS6detail15normal_iteratorINSA_10device_ptrIsEEEEPS6_SG_NS0_5tupleIJSF_SF_EEENSH_IJSG_SG_EEES6_PlJ7is_evenIsEEEE10hipError_tPvRmT3_T4_T5_T6_T7_T9_mT8_P12ihipStream_tbDpT10_ENKUlT_T0_E_clISt17integral_constantIbLb0EES16_EEDaS11_S12_EUlS11_E_NS1_11comp_targetILNS1_3genE4ELNS1_11target_archE910ELNS1_3gpuE8ELNS1_3repE0EEENS1_30default_config_static_selectorELNS0_4arch9wavefront6targetE1EEEvT1_,"axG",@progbits,_ZN7rocprim17ROCPRIM_400000_NS6detail17trampoline_kernelINS0_14default_configENS1_25partition_config_selectorILNS1_17partition_subalgoE0EsNS0_10empty_typeEbEEZZNS1_14partition_implILS5_0ELb0ES3_jN6thrust23THRUST_200600_302600_NS6detail15normal_iteratorINSA_10device_ptrIsEEEEPS6_SG_NS0_5tupleIJSF_SF_EEENSH_IJSG_SG_EEES6_PlJ7is_evenIsEEEE10hipError_tPvRmT3_T4_T5_T6_T7_T9_mT8_P12ihipStream_tbDpT10_ENKUlT_T0_E_clISt17integral_constantIbLb0EES16_EEDaS11_S12_EUlS11_E_NS1_11comp_targetILNS1_3genE4ELNS1_11target_archE910ELNS1_3gpuE8ELNS1_3repE0EEENS1_30default_config_static_selectorELNS0_4arch9wavefront6targetE1EEEvT1_,comdat
	.protected	_ZN7rocprim17ROCPRIM_400000_NS6detail17trampoline_kernelINS0_14default_configENS1_25partition_config_selectorILNS1_17partition_subalgoE0EsNS0_10empty_typeEbEEZZNS1_14partition_implILS5_0ELb0ES3_jN6thrust23THRUST_200600_302600_NS6detail15normal_iteratorINSA_10device_ptrIsEEEEPS6_SG_NS0_5tupleIJSF_SF_EEENSH_IJSG_SG_EEES6_PlJ7is_evenIsEEEE10hipError_tPvRmT3_T4_T5_T6_T7_T9_mT8_P12ihipStream_tbDpT10_ENKUlT_T0_E_clISt17integral_constantIbLb0EES16_EEDaS11_S12_EUlS11_E_NS1_11comp_targetILNS1_3genE4ELNS1_11target_archE910ELNS1_3gpuE8ELNS1_3repE0EEENS1_30default_config_static_selectorELNS0_4arch9wavefront6targetE1EEEvT1_ ; -- Begin function _ZN7rocprim17ROCPRIM_400000_NS6detail17trampoline_kernelINS0_14default_configENS1_25partition_config_selectorILNS1_17partition_subalgoE0EsNS0_10empty_typeEbEEZZNS1_14partition_implILS5_0ELb0ES3_jN6thrust23THRUST_200600_302600_NS6detail15normal_iteratorINSA_10device_ptrIsEEEEPS6_SG_NS0_5tupleIJSF_SF_EEENSH_IJSG_SG_EEES6_PlJ7is_evenIsEEEE10hipError_tPvRmT3_T4_T5_T6_T7_T9_mT8_P12ihipStream_tbDpT10_ENKUlT_T0_E_clISt17integral_constantIbLb0EES16_EEDaS11_S12_EUlS11_E_NS1_11comp_targetILNS1_3genE4ELNS1_11target_archE910ELNS1_3gpuE8ELNS1_3repE0EEENS1_30default_config_static_selectorELNS0_4arch9wavefront6targetE1EEEvT1_
	.globl	_ZN7rocprim17ROCPRIM_400000_NS6detail17trampoline_kernelINS0_14default_configENS1_25partition_config_selectorILNS1_17partition_subalgoE0EsNS0_10empty_typeEbEEZZNS1_14partition_implILS5_0ELb0ES3_jN6thrust23THRUST_200600_302600_NS6detail15normal_iteratorINSA_10device_ptrIsEEEEPS6_SG_NS0_5tupleIJSF_SF_EEENSH_IJSG_SG_EEES6_PlJ7is_evenIsEEEE10hipError_tPvRmT3_T4_T5_T6_T7_T9_mT8_P12ihipStream_tbDpT10_ENKUlT_T0_E_clISt17integral_constantIbLb0EES16_EEDaS11_S12_EUlS11_E_NS1_11comp_targetILNS1_3genE4ELNS1_11target_archE910ELNS1_3gpuE8ELNS1_3repE0EEENS1_30default_config_static_selectorELNS0_4arch9wavefront6targetE1EEEvT1_
	.p2align	8
	.type	_ZN7rocprim17ROCPRIM_400000_NS6detail17trampoline_kernelINS0_14default_configENS1_25partition_config_selectorILNS1_17partition_subalgoE0EsNS0_10empty_typeEbEEZZNS1_14partition_implILS5_0ELb0ES3_jN6thrust23THRUST_200600_302600_NS6detail15normal_iteratorINSA_10device_ptrIsEEEEPS6_SG_NS0_5tupleIJSF_SF_EEENSH_IJSG_SG_EEES6_PlJ7is_evenIsEEEE10hipError_tPvRmT3_T4_T5_T6_T7_T9_mT8_P12ihipStream_tbDpT10_ENKUlT_T0_E_clISt17integral_constantIbLb0EES16_EEDaS11_S12_EUlS11_E_NS1_11comp_targetILNS1_3genE4ELNS1_11target_archE910ELNS1_3gpuE8ELNS1_3repE0EEENS1_30default_config_static_selectorELNS0_4arch9wavefront6targetE1EEEvT1_,@function
_ZN7rocprim17ROCPRIM_400000_NS6detail17trampoline_kernelINS0_14default_configENS1_25partition_config_selectorILNS1_17partition_subalgoE0EsNS0_10empty_typeEbEEZZNS1_14partition_implILS5_0ELb0ES3_jN6thrust23THRUST_200600_302600_NS6detail15normal_iteratorINSA_10device_ptrIsEEEEPS6_SG_NS0_5tupleIJSF_SF_EEENSH_IJSG_SG_EEES6_PlJ7is_evenIsEEEE10hipError_tPvRmT3_T4_T5_T6_T7_T9_mT8_P12ihipStream_tbDpT10_ENKUlT_T0_E_clISt17integral_constantIbLb0EES16_EEDaS11_S12_EUlS11_E_NS1_11comp_targetILNS1_3genE4ELNS1_11target_archE910ELNS1_3gpuE8ELNS1_3repE0EEENS1_30default_config_static_selectorELNS0_4arch9wavefront6targetE1EEEvT1_: ; @_ZN7rocprim17ROCPRIM_400000_NS6detail17trampoline_kernelINS0_14default_configENS1_25partition_config_selectorILNS1_17partition_subalgoE0EsNS0_10empty_typeEbEEZZNS1_14partition_implILS5_0ELb0ES3_jN6thrust23THRUST_200600_302600_NS6detail15normal_iteratorINSA_10device_ptrIsEEEEPS6_SG_NS0_5tupleIJSF_SF_EEENSH_IJSG_SG_EEES6_PlJ7is_evenIsEEEE10hipError_tPvRmT3_T4_T5_T6_T7_T9_mT8_P12ihipStream_tbDpT10_ENKUlT_T0_E_clISt17integral_constantIbLb0EES16_EEDaS11_S12_EUlS11_E_NS1_11comp_targetILNS1_3genE4ELNS1_11target_archE910ELNS1_3gpuE8ELNS1_3repE0EEENS1_30default_config_static_selectorELNS0_4arch9wavefront6targetE1EEEvT1_
; %bb.0:
	.section	.rodata,"a",@progbits
	.p2align	6, 0x0
	.amdhsa_kernel _ZN7rocprim17ROCPRIM_400000_NS6detail17trampoline_kernelINS0_14default_configENS1_25partition_config_selectorILNS1_17partition_subalgoE0EsNS0_10empty_typeEbEEZZNS1_14partition_implILS5_0ELb0ES3_jN6thrust23THRUST_200600_302600_NS6detail15normal_iteratorINSA_10device_ptrIsEEEEPS6_SG_NS0_5tupleIJSF_SF_EEENSH_IJSG_SG_EEES6_PlJ7is_evenIsEEEE10hipError_tPvRmT3_T4_T5_T6_T7_T9_mT8_P12ihipStream_tbDpT10_ENKUlT_T0_E_clISt17integral_constantIbLb0EES16_EEDaS11_S12_EUlS11_E_NS1_11comp_targetILNS1_3genE4ELNS1_11target_archE910ELNS1_3gpuE8ELNS1_3repE0EEENS1_30default_config_static_selectorELNS0_4arch9wavefront6targetE1EEEvT1_
		.amdhsa_group_segment_fixed_size 0
		.amdhsa_private_segment_fixed_size 0
		.amdhsa_kernarg_size 120
		.amdhsa_user_sgpr_count 2
		.amdhsa_user_sgpr_dispatch_ptr 0
		.amdhsa_user_sgpr_queue_ptr 0
		.amdhsa_user_sgpr_kernarg_segment_ptr 1
		.amdhsa_user_sgpr_dispatch_id 0
		.amdhsa_user_sgpr_kernarg_preload_length 0
		.amdhsa_user_sgpr_kernarg_preload_offset 0
		.amdhsa_user_sgpr_private_segment_size 0
		.amdhsa_uses_dynamic_stack 0
		.amdhsa_enable_private_segment 0
		.amdhsa_system_sgpr_workgroup_id_x 1
		.amdhsa_system_sgpr_workgroup_id_y 0
		.amdhsa_system_sgpr_workgroup_id_z 0
		.amdhsa_system_sgpr_workgroup_info 0
		.amdhsa_system_vgpr_workitem_id 0
		.amdhsa_next_free_vgpr 1
		.amdhsa_next_free_sgpr 0
		.amdhsa_accum_offset 4
		.amdhsa_reserve_vcc 0
		.amdhsa_float_round_mode_32 0
		.amdhsa_float_round_mode_16_64 0
		.amdhsa_float_denorm_mode_32 3
		.amdhsa_float_denorm_mode_16_64 3
		.amdhsa_dx10_clamp 1
		.amdhsa_ieee_mode 1
		.amdhsa_fp16_overflow 0
		.amdhsa_tg_split 0
		.amdhsa_exception_fp_ieee_invalid_op 0
		.amdhsa_exception_fp_denorm_src 0
		.amdhsa_exception_fp_ieee_div_zero 0
		.amdhsa_exception_fp_ieee_overflow 0
		.amdhsa_exception_fp_ieee_underflow 0
		.amdhsa_exception_fp_ieee_inexact 0
		.amdhsa_exception_int_div_zero 0
	.end_amdhsa_kernel
	.section	.text._ZN7rocprim17ROCPRIM_400000_NS6detail17trampoline_kernelINS0_14default_configENS1_25partition_config_selectorILNS1_17partition_subalgoE0EsNS0_10empty_typeEbEEZZNS1_14partition_implILS5_0ELb0ES3_jN6thrust23THRUST_200600_302600_NS6detail15normal_iteratorINSA_10device_ptrIsEEEEPS6_SG_NS0_5tupleIJSF_SF_EEENSH_IJSG_SG_EEES6_PlJ7is_evenIsEEEE10hipError_tPvRmT3_T4_T5_T6_T7_T9_mT8_P12ihipStream_tbDpT10_ENKUlT_T0_E_clISt17integral_constantIbLb0EES16_EEDaS11_S12_EUlS11_E_NS1_11comp_targetILNS1_3genE4ELNS1_11target_archE910ELNS1_3gpuE8ELNS1_3repE0EEENS1_30default_config_static_selectorELNS0_4arch9wavefront6targetE1EEEvT1_,"axG",@progbits,_ZN7rocprim17ROCPRIM_400000_NS6detail17trampoline_kernelINS0_14default_configENS1_25partition_config_selectorILNS1_17partition_subalgoE0EsNS0_10empty_typeEbEEZZNS1_14partition_implILS5_0ELb0ES3_jN6thrust23THRUST_200600_302600_NS6detail15normal_iteratorINSA_10device_ptrIsEEEEPS6_SG_NS0_5tupleIJSF_SF_EEENSH_IJSG_SG_EEES6_PlJ7is_evenIsEEEE10hipError_tPvRmT3_T4_T5_T6_T7_T9_mT8_P12ihipStream_tbDpT10_ENKUlT_T0_E_clISt17integral_constantIbLb0EES16_EEDaS11_S12_EUlS11_E_NS1_11comp_targetILNS1_3genE4ELNS1_11target_archE910ELNS1_3gpuE8ELNS1_3repE0EEENS1_30default_config_static_selectorELNS0_4arch9wavefront6targetE1EEEvT1_,comdat
.Lfunc_end355:
	.size	_ZN7rocprim17ROCPRIM_400000_NS6detail17trampoline_kernelINS0_14default_configENS1_25partition_config_selectorILNS1_17partition_subalgoE0EsNS0_10empty_typeEbEEZZNS1_14partition_implILS5_0ELb0ES3_jN6thrust23THRUST_200600_302600_NS6detail15normal_iteratorINSA_10device_ptrIsEEEEPS6_SG_NS0_5tupleIJSF_SF_EEENSH_IJSG_SG_EEES6_PlJ7is_evenIsEEEE10hipError_tPvRmT3_T4_T5_T6_T7_T9_mT8_P12ihipStream_tbDpT10_ENKUlT_T0_E_clISt17integral_constantIbLb0EES16_EEDaS11_S12_EUlS11_E_NS1_11comp_targetILNS1_3genE4ELNS1_11target_archE910ELNS1_3gpuE8ELNS1_3repE0EEENS1_30default_config_static_selectorELNS0_4arch9wavefront6targetE1EEEvT1_, .Lfunc_end355-_ZN7rocprim17ROCPRIM_400000_NS6detail17trampoline_kernelINS0_14default_configENS1_25partition_config_selectorILNS1_17partition_subalgoE0EsNS0_10empty_typeEbEEZZNS1_14partition_implILS5_0ELb0ES3_jN6thrust23THRUST_200600_302600_NS6detail15normal_iteratorINSA_10device_ptrIsEEEEPS6_SG_NS0_5tupleIJSF_SF_EEENSH_IJSG_SG_EEES6_PlJ7is_evenIsEEEE10hipError_tPvRmT3_T4_T5_T6_T7_T9_mT8_P12ihipStream_tbDpT10_ENKUlT_T0_E_clISt17integral_constantIbLb0EES16_EEDaS11_S12_EUlS11_E_NS1_11comp_targetILNS1_3genE4ELNS1_11target_archE910ELNS1_3gpuE8ELNS1_3repE0EEENS1_30default_config_static_selectorELNS0_4arch9wavefront6targetE1EEEvT1_
                                        ; -- End function
	.section	.AMDGPU.csdata,"",@progbits
; Kernel info:
; codeLenInByte = 0
; NumSgprs: 6
; NumVgprs: 0
; NumAgprs: 0
; TotalNumVgprs: 0
; ScratchSize: 0
; MemoryBound: 0
; FloatMode: 240
; IeeeMode: 1
; LDSByteSize: 0 bytes/workgroup (compile time only)
; SGPRBlocks: 0
; VGPRBlocks: 0
; NumSGPRsForWavesPerEU: 6
; NumVGPRsForWavesPerEU: 1
; AccumOffset: 4
; Occupancy: 8
; WaveLimiterHint : 0
; COMPUTE_PGM_RSRC2:SCRATCH_EN: 0
; COMPUTE_PGM_RSRC2:USER_SGPR: 2
; COMPUTE_PGM_RSRC2:TRAP_HANDLER: 0
; COMPUTE_PGM_RSRC2:TGID_X_EN: 1
; COMPUTE_PGM_RSRC2:TGID_Y_EN: 0
; COMPUTE_PGM_RSRC2:TGID_Z_EN: 0
; COMPUTE_PGM_RSRC2:TIDIG_COMP_CNT: 0
; COMPUTE_PGM_RSRC3_GFX90A:ACCUM_OFFSET: 0
; COMPUTE_PGM_RSRC3_GFX90A:TG_SPLIT: 0
	.section	.text._ZN7rocprim17ROCPRIM_400000_NS6detail17trampoline_kernelINS0_14default_configENS1_25partition_config_selectorILNS1_17partition_subalgoE0EsNS0_10empty_typeEbEEZZNS1_14partition_implILS5_0ELb0ES3_jN6thrust23THRUST_200600_302600_NS6detail15normal_iteratorINSA_10device_ptrIsEEEEPS6_SG_NS0_5tupleIJSF_SF_EEENSH_IJSG_SG_EEES6_PlJ7is_evenIsEEEE10hipError_tPvRmT3_T4_T5_T6_T7_T9_mT8_P12ihipStream_tbDpT10_ENKUlT_T0_E_clISt17integral_constantIbLb0EES16_EEDaS11_S12_EUlS11_E_NS1_11comp_targetILNS1_3genE3ELNS1_11target_archE908ELNS1_3gpuE7ELNS1_3repE0EEENS1_30default_config_static_selectorELNS0_4arch9wavefront6targetE1EEEvT1_,"axG",@progbits,_ZN7rocprim17ROCPRIM_400000_NS6detail17trampoline_kernelINS0_14default_configENS1_25partition_config_selectorILNS1_17partition_subalgoE0EsNS0_10empty_typeEbEEZZNS1_14partition_implILS5_0ELb0ES3_jN6thrust23THRUST_200600_302600_NS6detail15normal_iteratorINSA_10device_ptrIsEEEEPS6_SG_NS0_5tupleIJSF_SF_EEENSH_IJSG_SG_EEES6_PlJ7is_evenIsEEEE10hipError_tPvRmT3_T4_T5_T6_T7_T9_mT8_P12ihipStream_tbDpT10_ENKUlT_T0_E_clISt17integral_constantIbLb0EES16_EEDaS11_S12_EUlS11_E_NS1_11comp_targetILNS1_3genE3ELNS1_11target_archE908ELNS1_3gpuE7ELNS1_3repE0EEENS1_30default_config_static_selectorELNS0_4arch9wavefront6targetE1EEEvT1_,comdat
	.protected	_ZN7rocprim17ROCPRIM_400000_NS6detail17trampoline_kernelINS0_14default_configENS1_25partition_config_selectorILNS1_17partition_subalgoE0EsNS0_10empty_typeEbEEZZNS1_14partition_implILS5_0ELb0ES3_jN6thrust23THRUST_200600_302600_NS6detail15normal_iteratorINSA_10device_ptrIsEEEEPS6_SG_NS0_5tupleIJSF_SF_EEENSH_IJSG_SG_EEES6_PlJ7is_evenIsEEEE10hipError_tPvRmT3_T4_T5_T6_T7_T9_mT8_P12ihipStream_tbDpT10_ENKUlT_T0_E_clISt17integral_constantIbLb0EES16_EEDaS11_S12_EUlS11_E_NS1_11comp_targetILNS1_3genE3ELNS1_11target_archE908ELNS1_3gpuE7ELNS1_3repE0EEENS1_30default_config_static_selectorELNS0_4arch9wavefront6targetE1EEEvT1_ ; -- Begin function _ZN7rocprim17ROCPRIM_400000_NS6detail17trampoline_kernelINS0_14default_configENS1_25partition_config_selectorILNS1_17partition_subalgoE0EsNS0_10empty_typeEbEEZZNS1_14partition_implILS5_0ELb0ES3_jN6thrust23THRUST_200600_302600_NS6detail15normal_iteratorINSA_10device_ptrIsEEEEPS6_SG_NS0_5tupleIJSF_SF_EEENSH_IJSG_SG_EEES6_PlJ7is_evenIsEEEE10hipError_tPvRmT3_T4_T5_T6_T7_T9_mT8_P12ihipStream_tbDpT10_ENKUlT_T0_E_clISt17integral_constantIbLb0EES16_EEDaS11_S12_EUlS11_E_NS1_11comp_targetILNS1_3genE3ELNS1_11target_archE908ELNS1_3gpuE7ELNS1_3repE0EEENS1_30default_config_static_selectorELNS0_4arch9wavefront6targetE1EEEvT1_
	.globl	_ZN7rocprim17ROCPRIM_400000_NS6detail17trampoline_kernelINS0_14default_configENS1_25partition_config_selectorILNS1_17partition_subalgoE0EsNS0_10empty_typeEbEEZZNS1_14partition_implILS5_0ELb0ES3_jN6thrust23THRUST_200600_302600_NS6detail15normal_iteratorINSA_10device_ptrIsEEEEPS6_SG_NS0_5tupleIJSF_SF_EEENSH_IJSG_SG_EEES6_PlJ7is_evenIsEEEE10hipError_tPvRmT3_T4_T5_T6_T7_T9_mT8_P12ihipStream_tbDpT10_ENKUlT_T0_E_clISt17integral_constantIbLb0EES16_EEDaS11_S12_EUlS11_E_NS1_11comp_targetILNS1_3genE3ELNS1_11target_archE908ELNS1_3gpuE7ELNS1_3repE0EEENS1_30default_config_static_selectorELNS0_4arch9wavefront6targetE1EEEvT1_
	.p2align	8
	.type	_ZN7rocprim17ROCPRIM_400000_NS6detail17trampoline_kernelINS0_14default_configENS1_25partition_config_selectorILNS1_17partition_subalgoE0EsNS0_10empty_typeEbEEZZNS1_14partition_implILS5_0ELb0ES3_jN6thrust23THRUST_200600_302600_NS6detail15normal_iteratorINSA_10device_ptrIsEEEEPS6_SG_NS0_5tupleIJSF_SF_EEENSH_IJSG_SG_EEES6_PlJ7is_evenIsEEEE10hipError_tPvRmT3_T4_T5_T6_T7_T9_mT8_P12ihipStream_tbDpT10_ENKUlT_T0_E_clISt17integral_constantIbLb0EES16_EEDaS11_S12_EUlS11_E_NS1_11comp_targetILNS1_3genE3ELNS1_11target_archE908ELNS1_3gpuE7ELNS1_3repE0EEENS1_30default_config_static_selectorELNS0_4arch9wavefront6targetE1EEEvT1_,@function
_ZN7rocprim17ROCPRIM_400000_NS6detail17trampoline_kernelINS0_14default_configENS1_25partition_config_selectorILNS1_17partition_subalgoE0EsNS0_10empty_typeEbEEZZNS1_14partition_implILS5_0ELb0ES3_jN6thrust23THRUST_200600_302600_NS6detail15normal_iteratorINSA_10device_ptrIsEEEEPS6_SG_NS0_5tupleIJSF_SF_EEENSH_IJSG_SG_EEES6_PlJ7is_evenIsEEEE10hipError_tPvRmT3_T4_T5_T6_T7_T9_mT8_P12ihipStream_tbDpT10_ENKUlT_T0_E_clISt17integral_constantIbLb0EES16_EEDaS11_S12_EUlS11_E_NS1_11comp_targetILNS1_3genE3ELNS1_11target_archE908ELNS1_3gpuE7ELNS1_3repE0EEENS1_30default_config_static_selectorELNS0_4arch9wavefront6targetE1EEEvT1_: ; @_ZN7rocprim17ROCPRIM_400000_NS6detail17trampoline_kernelINS0_14default_configENS1_25partition_config_selectorILNS1_17partition_subalgoE0EsNS0_10empty_typeEbEEZZNS1_14partition_implILS5_0ELb0ES3_jN6thrust23THRUST_200600_302600_NS6detail15normal_iteratorINSA_10device_ptrIsEEEEPS6_SG_NS0_5tupleIJSF_SF_EEENSH_IJSG_SG_EEES6_PlJ7is_evenIsEEEE10hipError_tPvRmT3_T4_T5_T6_T7_T9_mT8_P12ihipStream_tbDpT10_ENKUlT_T0_E_clISt17integral_constantIbLb0EES16_EEDaS11_S12_EUlS11_E_NS1_11comp_targetILNS1_3genE3ELNS1_11target_archE908ELNS1_3gpuE7ELNS1_3repE0EEENS1_30default_config_static_selectorELNS0_4arch9wavefront6targetE1EEEvT1_
; %bb.0:
	.section	.rodata,"a",@progbits
	.p2align	6, 0x0
	.amdhsa_kernel _ZN7rocprim17ROCPRIM_400000_NS6detail17trampoline_kernelINS0_14default_configENS1_25partition_config_selectorILNS1_17partition_subalgoE0EsNS0_10empty_typeEbEEZZNS1_14partition_implILS5_0ELb0ES3_jN6thrust23THRUST_200600_302600_NS6detail15normal_iteratorINSA_10device_ptrIsEEEEPS6_SG_NS0_5tupleIJSF_SF_EEENSH_IJSG_SG_EEES6_PlJ7is_evenIsEEEE10hipError_tPvRmT3_T4_T5_T6_T7_T9_mT8_P12ihipStream_tbDpT10_ENKUlT_T0_E_clISt17integral_constantIbLb0EES16_EEDaS11_S12_EUlS11_E_NS1_11comp_targetILNS1_3genE3ELNS1_11target_archE908ELNS1_3gpuE7ELNS1_3repE0EEENS1_30default_config_static_selectorELNS0_4arch9wavefront6targetE1EEEvT1_
		.amdhsa_group_segment_fixed_size 0
		.amdhsa_private_segment_fixed_size 0
		.amdhsa_kernarg_size 120
		.amdhsa_user_sgpr_count 2
		.amdhsa_user_sgpr_dispatch_ptr 0
		.amdhsa_user_sgpr_queue_ptr 0
		.amdhsa_user_sgpr_kernarg_segment_ptr 1
		.amdhsa_user_sgpr_dispatch_id 0
		.amdhsa_user_sgpr_kernarg_preload_length 0
		.amdhsa_user_sgpr_kernarg_preload_offset 0
		.amdhsa_user_sgpr_private_segment_size 0
		.amdhsa_uses_dynamic_stack 0
		.amdhsa_enable_private_segment 0
		.amdhsa_system_sgpr_workgroup_id_x 1
		.amdhsa_system_sgpr_workgroup_id_y 0
		.amdhsa_system_sgpr_workgroup_id_z 0
		.amdhsa_system_sgpr_workgroup_info 0
		.amdhsa_system_vgpr_workitem_id 0
		.amdhsa_next_free_vgpr 1
		.amdhsa_next_free_sgpr 0
		.amdhsa_accum_offset 4
		.amdhsa_reserve_vcc 0
		.amdhsa_float_round_mode_32 0
		.amdhsa_float_round_mode_16_64 0
		.amdhsa_float_denorm_mode_32 3
		.amdhsa_float_denorm_mode_16_64 3
		.amdhsa_dx10_clamp 1
		.amdhsa_ieee_mode 1
		.amdhsa_fp16_overflow 0
		.amdhsa_tg_split 0
		.amdhsa_exception_fp_ieee_invalid_op 0
		.amdhsa_exception_fp_denorm_src 0
		.amdhsa_exception_fp_ieee_div_zero 0
		.amdhsa_exception_fp_ieee_overflow 0
		.amdhsa_exception_fp_ieee_underflow 0
		.amdhsa_exception_fp_ieee_inexact 0
		.amdhsa_exception_int_div_zero 0
	.end_amdhsa_kernel
	.section	.text._ZN7rocprim17ROCPRIM_400000_NS6detail17trampoline_kernelINS0_14default_configENS1_25partition_config_selectorILNS1_17partition_subalgoE0EsNS0_10empty_typeEbEEZZNS1_14partition_implILS5_0ELb0ES3_jN6thrust23THRUST_200600_302600_NS6detail15normal_iteratorINSA_10device_ptrIsEEEEPS6_SG_NS0_5tupleIJSF_SF_EEENSH_IJSG_SG_EEES6_PlJ7is_evenIsEEEE10hipError_tPvRmT3_T4_T5_T6_T7_T9_mT8_P12ihipStream_tbDpT10_ENKUlT_T0_E_clISt17integral_constantIbLb0EES16_EEDaS11_S12_EUlS11_E_NS1_11comp_targetILNS1_3genE3ELNS1_11target_archE908ELNS1_3gpuE7ELNS1_3repE0EEENS1_30default_config_static_selectorELNS0_4arch9wavefront6targetE1EEEvT1_,"axG",@progbits,_ZN7rocprim17ROCPRIM_400000_NS6detail17trampoline_kernelINS0_14default_configENS1_25partition_config_selectorILNS1_17partition_subalgoE0EsNS0_10empty_typeEbEEZZNS1_14partition_implILS5_0ELb0ES3_jN6thrust23THRUST_200600_302600_NS6detail15normal_iteratorINSA_10device_ptrIsEEEEPS6_SG_NS0_5tupleIJSF_SF_EEENSH_IJSG_SG_EEES6_PlJ7is_evenIsEEEE10hipError_tPvRmT3_T4_T5_T6_T7_T9_mT8_P12ihipStream_tbDpT10_ENKUlT_T0_E_clISt17integral_constantIbLb0EES16_EEDaS11_S12_EUlS11_E_NS1_11comp_targetILNS1_3genE3ELNS1_11target_archE908ELNS1_3gpuE7ELNS1_3repE0EEENS1_30default_config_static_selectorELNS0_4arch9wavefront6targetE1EEEvT1_,comdat
.Lfunc_end356:
	.size	_ZN7rocprim17ROCPRIM_400000_NS6detail17trampoline_kernelINS0_14default_configENS1_25partition_config_selectorILNS1_17partition_subalgoE0EsNS0_10empty_typeEbEEZZNS1_14partition_implILS5_0ELb0ES3_jN6thrust23THRUST_200600_302600_NS6detail15normal_iteratorINSA_10device_ptrIsEEEEPS6_SG_NS0_5tupleIJSF_SF_EEENSH_IJSG_SG_EEES6_PlJ7is_evenIsEEEE10hipError_tPvRmT3_T4_T5_T6_T7_T9_mT8_P12ihipStream_tbDpT10_ENKUlT_T0_E_clISt17integral_constantIbLb0EES16_EEDaS11_S12_EUlS11_E_NS1_11comp_targetILNS1_3genE3ELNS1_11target_archE908ELNS1_3gpuE7ELNS1_3repE0EEENS1_30default_config_static_selectorELNS0_4arch9wavefront6targetE1EEEvT1_, .Lfunc_end356-_ZN7rocprim17ROCPRIM_400000_NS6detail17trampoline_kernelINS0_14default_configENS1_25partition_config_selectorILNS1_17partition_subalgoE0EsNS0_10empty_typeEbEEZZNS1_14partition_implILS5_0ELb0ES3_jN6thrust23THRUST_200600_302600_NS6detail15normal_iteratorINSA_10device_ptrIsEEEEPS6_SG_NS0_5tupleIJSF_SF_EEENSH_IJSG_SG_EEES6_PlJ7is_evenIsEEEE10hipError_tPvRmT3_T4_T5_T6_T7_T9_mT8_P12ihipStream_tbDpT10_ENKUlT_T0_E_clISt17integral_constantIbLb0EES16_EEDaS11_S12_EUlS11_E_NS1_11comp_targetILNS1_3genE3ELNS1_11target_archE908ELNS1_3gpuE7ELNS1_3repE0EEENS1_30default_config_static_selectorELNS0_4arch9wavefront6targetE1EEEvT1_
                                        ; -- End function
	.section	.AMDGPU.csdata,"",@progbits
; Kernel info:
; codeLenInByte = 0
; NumSgprs: 6
; NumVgprs: 0
; NumAgprs: 0
; TotalNumVgprs: 0
; ScratchSize: 0
; MemoryBound: 0
; FloatMode: 240
; IeeeMode: 1
; LDSByteSize: 0 bytes/workgroup (compile time only)
; SGPRBlocks: 0
; VGPRBlocks: 0
; NumSGPRsForWavesPerEU: 6
; NumVGPRsForWavesPerEU: 1
; AccumOffset: 4
; Occupancy: 8
; WaveLimiterHint : 0
; COMPUTE_PGM_RSRC2:SCRATCH_EN: 0
; COMPUTE_PGM_RSRC2:USER_SGPR: 2
; COMPUTE_PGM_RSRC2:TRAP_HANDLER: 0
; COMPUTE_PGM_RSRC2:TGID_X_EN: 1
; COMPUTE_PGM_RSRC2:TGID_Y_EN: 0
; COMPUTE_PGM_RSRC2:TGID_Z_EN: 0
; COMPUTE_PGM_RSRC2:TIDIG_COMP_CNT: 0
; COMPUTE_PGM_RSRC3_GFX90A:ACCUM_OFFSET: 0
; COMPUTE_PGM_RSRC3_GFX90A:TG_SPLIT: 0
	.section	.text._ZN7rocprim17ROCPRIM_400000_NS6detail17trampoline_kernelINS0_14default_configENS1_25partition_config_selectorILNS1_17partition_subalgoE0EsNS0_10empty_typeEbEEZZNS1_14partition_implILS5_0ELb0ES3_jN6thrust23THRUST_200600_302600_NS6detail15normal_iteratorINSA_10device_ptrIsEEEEPS6_SG_NS0_5tupleIJSF_SF_EEENSH_IJSG_SG_EEES6_PlJ7is_evenIsEEEE10hipError_tPvRmT3_T4_T5_T6_T7_T9_mT8_P12ihipStream_tbDpT10_ENKUlT_T0_E_clISt17integral_constantIbLb0EES16_EEDaS11_S12_EUlS11_E_NS1_11comp_targetILNS1_3genE2ELNS1_11target_archE906ELNS1_3gpuE6ELNS1_3repE0EEENS1_30default_config_static_selectorELNS0_4arch9wavefront6targetE1EEEvT1_,"axG",@progbits,_ZN7rocprim17ROCPRIM_400000_NS6detail17trampoline_kernelINS0_14default_configENS1_25partition_config_selectorILNS1_17partition_subalgoE0EsNS0_10empty_typeEbEEZZNS1_14partition_implILS5_0ELb0ES3_jN6thrust23THRUST_200600_302600_NS6detail15normal_iteratorINSA_10device_ptrIsEEEEPS6_SG_NS0_5tupleIJSF_SF_EEENSH_IJSG_SG_EEES6_PlJ7is_evenIsEEEE10hipError_tPvRmT3_T4_T5_T6_T7_T9_mT8_P12ihipStream_tbDpT10_ENKUlT_T0_E_clISt17integral_constantIbLb0EES16_EEDaS11_S12_EUlS11_E_NS1_11comp_targetILNS1_3genE2ELNS1_11target_archE906ELNS1_3gpuE6ELNS1_3repE0EEENS1_30default_config_static_selectorELNS0_4arch9wavefront6targetE1EEEvT1_,comdat
	.protected	_ZN7rocprim17ROCPRIM_400000_NS6detail17trampoline_kernelINS0_14default_configENS1_25partition_config_selectorILNS1_17partition_subalgoE0EsNS0_10empty_typeEbEEZZNS1_14partition_implILS5_0ELb0ES3_jN6thrust23THRUST_200600_302600_NS6detail15normal_iteratorINSA_10device_ptrIsEEEEPS6_SG_NS0_5tupleIJSF_SF_EEENSH_IJSG_SG_EEES6_PlJ7is_evenIsEEEE10hipError_tPvRmT3_T4_T5_T6_T7_T9_mT8_P12ihipStream_tbDpT10_ENKUlT_T0_E_clISt17integral_constantIbLb0EES16_EEDaS11_S12_EUlS11_E_NS1_11comp_targetILNS1_3genE2ELNS1_11target_archE906ELNS1_3gpuE6ELNS1_3repE0EEENS1_30default_config_static_selectorELNS0_4arch9wavefront6targetE1EEEvT1_ ; -- Begin function _ZN7rocprim17ROCPRIM_400000_NS6detail17trampoline_kernelINS0_14default_configENS1_25partition_config_selectorILNS1_17partition_subalgoE0EsNS0_10empty_typeEbEEZZNS1_14partition_implILS5_0ELb0ES3_jN6thrust23THRUST_200600_302600_NS6detail15normal_iteratorINSA_10device_ptrIsEEEEPS6_SG_NS0_5tupleIJSF_SF_EEENSH_IJSG_SG_EEES6_PlJ7is_evenIsEEEE10hipError_tPvRmT3_T4_T5_T6_T7_T9_mT8_P12ihipStream_tbDpT10_ENKUlT_T0_E_clISt17integral_constantIbLb0EES16_EEDaS11_S12_EUlS11_E_NS1_11comp_targetILNS1_3genE2ELNS1_11target_archE906ELNS1_3gpuE6ELNS1_3repE0EEENS1_30default_config_static_selectorELNS0_4arch9wavefront6targetE1EEEvT1_
	.globl	_ZN7rocprim17ROCPRIM_400000_NS6detail17trampoline_kernelINS0_14default_configENS1_25partition_config_selectorILNS1_17partition_subalgoE0EsNS0_10empty_typeEbEEZZNS1_14partition_implILS5_0ELb0ES3_jN6thrust23THRUST_200600_302600_NS6detail15normal_iteratorINSA_10device_ptrIsEEEEPS6_SG_NS0_5tupleIJSF_SF_EEENSH_IJSG_SG_EEES6_PlJ7is_evenIsEEEE10hipError_tPvRmT3_T4_T5_T6_T7_T9_mT8_P12ihipStream_tbDpT10_ENKUlT_T0_E_clISt17integral_constantIbLb0EES16_EEDaS11_S12_EUlS11_E_NS1_11comp_targetILNS1_3genE2ELNS1_11target_archE906ELNS1_3gpuE6ELNS1_3repE0EEENS1_30default_config_static_selectorELNS0_4arch9wavefront6targetE1EEEvT1_
	.p2align	8
	.type	_ZN7rocprim17ROCPRIM_400000_NS6detail17trampoline_kernelINS0_14default_configENS1_25partition_config_selectorILNS1_17partition_subalgoE0EsNS0_10empty_typeEbEEZZNS1_14partition_implILS5_0ELb0ES3_jN6thrust23THRUST_200600_302600_NS6detail15normal_iteratorINSA_10device_ptrIsEEEEPS6_SG_NS0_5tupleIJSF_SF_EEENSH_IJSG_SG_EEES6_PlJ7is_evenIsEEEE10hipError_tPvRmT3_T4_T5_T6_T7_T9_mT8_P12ihipStream_tbDpT10_ENKUlT_T0_E_clISt17integral_constantIbLb0EES16_EEDaS11_S12_EUlS11_E_NS1_11comp_targetILNS1_3genE2ELNS1_11target_archE906ELNS1_3gpuE6ELNS1_3repE0EEENS1_30default_config_static_selectorELNS0_4arch9wavefront6targetE1EEEvT1_,@function
_ZN7rocprim17ROCPRIM_400000_NS6detail17trampoline_kernelINS0_14default_configENS1_25partition_config_selectorILNS1_17partition_subalgoE0EsNS0_10empty_typeEbEEZZNS1_14partition_implILS5_0ELb0ES3_jN6thrust23THRUST_200600_302600_NS6detail15normal_iteratorINSA_10device_ptrIsEEEEPS6_SG_NS0_5tupleIJSF_SF_EEENSH_IJSG_SG_EEES6_PlJ7is_evenIsEEEE10hipError_tPvRmT3_T4_T5_T6_T7_T9_mT8_P12ihipStream_tbDpT10_ENKUlT_T0_E_clISt17integral_constantIbLb0EES16_EEDaS11_S12_EUlS11_E_NS1_11comp_targetILNS1_3genE2ELNS1_11target_archE906ELNS1_3gpuE6ELNS1_3repE0EEENS1_30default_config_static_selectorELNS0_4arch9wavefront6targetE1EEEvT1_: ; @_ZN7rocprim17ROCPRIM_400000_NS6detail17trampoline_kernelINS0_14default_configENS1_25partition_config_selectorILNS1_17partition_subalgoE0EsNS0_10empty_typeEbEEZZNS1_14partition_implILS5_0ELb0ES3_jN6thrust23THRUST_200600_302600_NS6detail15normal_iteratorINSA_10device_ptrIsEEEEPS6_SG_NS0_5tupleIJSF_SF_EEENSH_IJSG_SG_EEES6_PlJ7is_evenIsEEEE10hipError_tPvRmT3_T4_T5_T6_T7_T9_mT8_P12ihipStream_tbDpT10_ENKUlT_T0_E_clISt17integral_constantIbLb0EES16_EEDaS11_S12_EUlS11_E_NS1_11comp_targetILNS1_3genE2ELNS1_11target_archE906ELNS1_3gpuE6ELNS1_3repE0EEENS1_30default_config_static_selectorELNS0_4arch9wavefront6targetE1EEEvT1_
; %bb.0:
	.section	.rodata,"a",@progbits
	.p2align	6, 0x0
	.amdhsa_kernel _ZN7rocprim17ROCPRIM_400000_NS6detail17trampoline_kernelINS0_14default_configENS1_25partition_config_selectorILNS1_17partition_subalgoE0EsNS0_10empty_typeEbEEZZNS1_14partition_implILS5_0ELb0ES3_jN6thrust23THRUST_200600_302600_NS6detail15normal_iteratorINSA_10device_ptrIsEEEEPS6_SG_NS0_5tupleIJSF_SF_EEENSH_IJSG_SG_EEES6_PlJ7is_evenIsEEEE10hipError_tPvRmT3_T4_T5_T6_T7_T9_mT8_P12ihipStream_tbDpT10_ENKUlT_T0_E_clISt17integral_constantIbLb0EES16_EEDaS11_S12_EUlS11_E_NS1_11comp_targetILNS1_3genE2ELNS1_11target_archE906ELNS1_3gpuE6ELNS1_3repE0EEENS1_30default_config_static_selectorELNS0_4arch9wavefront6targetE1EEEvT1_
		.amdhsa_group_segment_fixed_size 0
		.amdhsa_private_segment_fixed_size 0
		.amdhsa_kernarg_size 120
		.amdhsa_user_sgpr_count 2
		.amdhsa_user_sgpr_dispatch_ptr 0
		.amdhsa_user_sgpr_queue_ptr 0
		.amdhsa_user_sgpr_kernarg_segment_ptr 1
		.amdhsa_user_sgpr_dispatch_id 0
		.amdhsa_user_sgpr_kernarg_preload_length 0
		.amdhsa_user_sgpr_kernarg_preload_offset 0
		.amdhsa_user_sgpr_private_segment_size 0
		.amdhsa_uses_dynamic_stack 0
		.amdhsa_enable_private_segment 0
		.amdhsa_system_sgpr_workgroup_id_x 1
		.amdhsa_system_sgpr_workgroup_id_y 0
		.amdhsa_system_sgpr_workgroup_id_z 0
		.amdhsa_system_sgpr_workgroup_info 0
		.amdhsa_system_vgpr_workitem_id 0
		.amdhsa_next_free_vgpr 1
		.amdhsa_next_free_sgpr 0
		.amdhsa_accum_offset 4
		.amdhsa_reserve_vcc 0
		.amdhsa_float_round_mode_32 0
		.amdhsa_float_round_mode_16_64 0
		.amdhsa_float_denorm_mode_32 3
		.amdhsa_float_denorm_mode_16_64 3
		.amdhsa_dx10_clamp 1
		.amdhsa_ieee_mode 1
		.amdhsa_fp16_overflow 0
		.amdhsa_tg_split 0
		.amdhsa_exception_fp_ieee_invalid_op 0
		.amdhsa_exception_fp_denorm_src 0
		.amdhsa_exception_fp_ieee_div_zero 0
		.amdhsa_exception_fp_ieee_overflow 0
		.amdhsa_exception_fp_ieee_underflow 0
		.amdhsa_exception_fp_ieee_inexact 0
		.amdhsa_exception_int_div_zero 0
	.end_amdhsa_kernel
	.section	.text._ZN7rocprim17ROCPRIM_400000_NS6detail17trampoline_kernelINS0_14default_configENS1_25partition_config_selectorILNS1_17partition_subalgoE0EsNS0_10empty_typeEbEEZZNS1_14partition_implILS5_0ELb0ES3_jN6thrust23THRUST_200600_302600_NS6detail15normal_iteratorINSA_10device_ptrIsEEEEPS6_SG_NS0_5tupleIJSF_SF_EEENSH_IJSG_SG_EEES6_PlJ7is_evenIsEEEE10hipError_tPvRmT3_T4_T5_T6_T7_T9_mT8_P12ihipStream_tbDpT10_ENKUlT_T0_E_clISt17integral_constantIbLb0EES16_EEDaS11_S12_EUlS11_E_NS1_11comp_targetILNS1_3genE2ELNS1_11target_archE906ELNS1_3gpuE6ELNS1_3repE0EEENS1_30default_config_static_selectorELNS0_4arch9wavefront6targetE1EEEvT1_,"axG",@progbits,_ZN7rocprim17ROCPRIM_400000_NS6detail17trampoline_kernelINS0_14default_configENS1_25partition_config_selectorILNS1_17partition_subalgoE0EsNS0_10empty_typeEbEEZZNS1_14partition_implILS5_0ELb0ES3_jN6thrust23THRUST_200600_302600_NS6detail15normal_iteratorINSA_10device_ptrIsEEEEPS6_SG_NS0_5tupleIJSF_SF_EEENSH_IJSG_SG_EEES6_PlJ7is_evenIsEEEE10hipError_tPvRmT3_T4_T5_T6_T7_T9_mT8_P12ihipStream_tbDpT10_ENKUlT_T0_E_clISt17integral_constantIbLb0EES16_EEDaS11_S12_EUlS11_E_NS1_11comp_targetILNS1_3genE2ELNS1_11target_archE906ELNS1_3gpuE6ELNS1_3repE0EEENS1_30default_config_static_selectorELNS0_4arch9wavefront6targetE1EEEvT1_,comdat
.Lfunc_end357:
	.size	_ZN7rocprim17ROCPRIM_400000_NS6detail17trampoline_kernelINS0_14default_configENS1_25partition_config_selectorILNS1_17partition_subalgoE0EsNS0_10empty_typeEbEEZZNS1_14partition_implILS5_0ELb0ES3_jN6thrust23THRUST_200600_302600_NS6detail15normal_iteratorINSA_10device_ptrIsEEEEPS6_SG_NS0_5tupleIJSF_SF_EEENSH_IJSG_SG_EEES6_PlJ7is_evenIsEEEE10hipError_tPvRmT3_T4_T5_T6_T7_T9_mT8_P12ihipStream_tbDpT10_ENKUlT_T0_E_clISt17integral_constantIbLb0EES16_EEDaS11_S12_EUlS11_E_NS1_11comp_targetILNS1_3genE2ELNS1_11target_archE906ELNS1_3gpuE6ELNS1_3repE0EEENS1_30default_config_static_selectorELNS0_4arch9wavefront6targetE1EEEvT1_, .Lfunc_end357-_ZN7rocprim17ROCPRIM_400000_NS6detail17trampoline_kernelINS0_14default_configENS1_25partition_config_selectorILNS1_17partition_subalgoE0EsNS0_10empty_typeEbEEZZNS1_14partition_implILS5_0ELb0ES3_jN6thrust23THRUST_200600_302600_NS6detail15normal_iteratorINSA_10device_ptrIsEEEEPS6_SG_NS0_5tupleIJSF_SF_EEENSH_IJSG_SG_EEES6_PlJ7is_evenIsEEEE10hipError_tPvRmT3_T4_T5_T6_T7_T9_mT8_P12ihipStream_tbDpT10_ENKUlT_T0_E_clISt17integral_constantIbLb0EES16_EEDaS11_S12_EUlS11_E_NS1_11comp_targetILNS1_3genE2ELNS1_11target_archE906ELNS1_3gpuE6ELNS1_3repE0EEENS1_30default_config_static_selectorELNS0_4arch9wavefront6targetE1EEEvT1_
                                        ; -- End function
	.section	.AMDGPU.csdata,"",@progbits
; Kernel info:
; codeLenInByte = 0
; NumSgprs: 6
; NumVgprs: 0
; NumAgprs: 0
; TotalNumVgprs: 0
; ScratchSize: 0
; MemoryBound: 0
; FloatMode: 240
; IeeeMode: 1
; LDSByteSize: 0 bytes/workgroup (compile time only)
; SGPRBlocks: 0
; VGPRBlocks: 0
; NumSGPRsForWavesPerEU: 6
; NumVGPRsForWavesPerEU: 1
; AccumOffset: 4
; Occupancy: 8
; WaveLimiterHint : 0
; COMPUTE_PGM_RSRC2:SCRATCH_EN: 0
; COMPUTE_PGM_RSRC2:USER_SGPR: 2
; COMPUTE_PGM_RSRC2:TRAP_HANDLER: 0
; COMPUTE_PGM_RSRC2:TGID_X_EN: 1
; COMPUTE_PGM_RSRC2:TGID_Y_EN: 0
; COMPUTE_PGM_RSRC2:TGID_Z_EN: 0
; COMPUTE_PGM_RSRC2:TIDIG_COMP_CNT: 0
; COMPUTE_PGM_RSRC3_GFX90A:ACCUM_OFFSET: 0
; COMPUTE_PGM_RSRC3_GFX90A:TG_SPLIT: 0
	.section	.text._ZN7rocprim17ROCPRIM_400000_NS6detail17trampoline_kernelINS0_14default_configENS1_25partition_config_selectorILNS1_17partition_subalgoE0EsNS0_10empty_typeEbEEZZNS1_14partition_implILS5_0ELb0ES3_jN6thrust23THRUST_200600_302600_NS6detail15normal_iteratorINSA_10device_ptrIsEEEEPS6_SG_NS0_5tupleIJSF_SF_EEENSH_IJSG_SG_EEES6_PlJ7is_evenIsEEEE10hipError_tPvRmT3_T4_T5_T6_T7_T9_mT8_P12ihipStream_tbDpT10_ENKUlT_T0_E_clISt17integral_constantIbLb0EES16_EEDaS11_S12_EUlS11_E_NS1_11comp_targetILNS1_3genE10ELNS1_11target_archE1200ELNS1_3gpuE4ELNS1_3repE0EEENS1_30default_config_static_selectorELNS0_4arch9wavefront6targetE1EEEvT1_,"axG",@progbits,_ZN7rocprim17ROCPRIM_400000_NS6detail17trampoline_kernelINS0_14default_configENS1_25partition_config_selectorILNS1_17partition_subalgoE0EsNS0_10empty_typeEbEEZZNS1_14partition_implILS5_0ELb0ES3_jN6thrust23THRUST_200600_302600_NS6detail15normal_iteratorINSA_10device_ptrIsEEEEPS6_SG_NS0_5tupleIJSF_SF_EEENSH_IJSG_SG_EEES6_PlJ7is_evenIsEEEE10hipError_tPvRmT3_T4_T5_T6_T7_T9_mT8_P12ihipStream_tbDpT10_ENKUlT_T0_E_clISt17integral_constantIbLb0EES16_EEDaS11_S12_EUlS11_E_NS1_11comp_targetILNS1_3genE10ELNS1_11target_archE1200ELNS1_3gpuE4ELNS1_3repE0EEENS1_30default_config_static_selectorELNS0_4arch9wavefront6targetE1EEEvT1_,comdat
	.protected	_ZN7rocprim17ROCPRIM_400000_NS6detail17trampoline_kernelINS0_14default_configENS1_25partition_config_selectorILNS1_17partition_subalgoE0EsNS0_10empty_typeEbEEZZNS1_14partition_implILS5_0ELb0ES3_jN6thrust23THRUST_200600_302600_NS6detail15normal_iteratorINSA_10device_ptrIsEEEEPS6_SG_NS0_5tupleIJSF_SF_EEENSH_IJSG_SG_EEES6_PlJ7is_evenIsEEEE10hipError_tPvRmT3_T4_T5_T6_T7_T9_mT8_P12ihipStream_tbDpT10_ENKUlT_T0_E_clISt17integral_constantIbLb0EES16_EEDaS11_S12_EUlS11_E_NS1_11comp_targetILNS1_3genE10ELNS1_11target_archE1200ELNS1_3gpuE4ELNS1_3repE0EEENS1_30default_config_static_selectorELNS0_4arch9wavefront6targetE1EEEvT1_ ; -- Begin function _ZN7rocprim17ROCPRIM_400000_NS6detail17trampoline_kernelINS0_14default_configENS1_25partition_config_selectorILNS1_17partition_subalgoE0EsNS0_10empty_typeEbEEZZNS1_14partition_implILS5_0ELb0ES3_jN6thrust23THRUST_200600_302600_NS6detail15normal_iteratorINSA_10device_ptrIsEEEEPS6_SG_NS0_5tupleIJSF_SF_EEENSH_IJSG_SG_EEES6_PlJ7is_evenIsEEEE10hipError_tPvRmT3_T4_T5_T6_T7_T9_mT8_P12ihipStream_tbDpT10_ENKUlT_T0_E_clISt17integral_constantIbLb0EES16_EEDaS11_S12_EUlS11_E_NS1_11comp_targetILNS1_3genE10ELNS1_11target_archE1200ELNS1_3gpuE4ELNS1_3repE0EEENS1_30default_config_static_selectorELNS0_4arch9wavefront6targetE1EEEvT1_
	.globl	_ZN7rocprim17ROCPRIM_400000_NS6detail17trampoline_kernelINS0_14default_configENS1_25partition_config_selectorILNS1_17partition_subalgoE0EsNS0_10empty_typeEbEEZZNS1_14partition_implILS5_0ELb0ES3_jN6thrust23THRUST_200600_302600_NS6detail15normal_iteratorINSA_10device_ptrIsEEEEPS6_SG_NS0_5tupleIJSF_SF_EEENSH_IJSG_SG_EEES6_PlJ7is_evenIsEEEE10hipError_tPvRmT3_T4_T5_T6_T7_T9_mT8_P12ihipStream_tbDpT10_ENKUlT_T0_E_clISt17integral_constantIbLb0EES16_EEDaS11_S12_EUlS11_E_NS1_11comp_targetILNS1_3genE10ELNS1_11target_archE1200ELNS1_3gpuE4ELNS1_3repE0EEENS1_30default_config_static_selectorELNS0_4arch9wavefront6targetE1EEEvT1_
	.p2align	8
	.type	_ZN7rocprim17ROCPRIM_400000_NS6detail17trampoline_kernelINS0_14default_configENS1_25partition_config_selectorILNS1_17partition_subalgoE0EsNS0_10empty_typeEbEEZZNS1_14partition_implILS5_0ELb0ES3_jN6thrust23THRUST_200600_302600_NS6detail15normal_iteratorINSA_10device_ptrIsEEEEPS6_SG_NS0_5tupleIJSF_SF_EEENSH_IJSG_SG_EEES6_PlJ7is_evenIsEEEE10hipError_tPvRmT3_T4_T5_T6_T7_T9_mT8_P12ihipStream_tbDpT10_ENKUlT_T0_E_clISt17integral_constantIbLb0EES16_EEDaS11_S12_EUlS11_E_NS1_11comp_targetILNS1_3genE10ELNS1_11target_archE1200ELNS1_3gpuE4ELNS1_3repE0EEENS1_30default_config_static_selectorELNS0_4arch9wavefront6targetE1EEEvT1_,@function
_ZN7rocprim17ROCPRIM_400000_NS6detail17trampoline_kernelINS0_14default_configENS1_25partition_config_selectorILNS1_17partition_subalgoE0EsNS0_10empty_typeEbEEZZNS1_14partition_implILS5_0ELb0ES3_jN6thrust23THRUST_200600_302600_NS6detail15normal_iteratorINSA_10device_ptrIsEEEEPS6_SG_NS0_5tupleIJSF_SF_EEENSH_IJSG_SG_EEES6_PlJ7is_evenIsEEEE10hipError_tPvRmT3_T4_T5_T6_T7_T9_mT8_P12ihipStream_tbDpT10_ENKUlT_T0_E_clISt17integral_constantIbLb0EES16_EEDaS11_S12_EUlS11_E_NS1_11comp_targetILNS1_3genE10ELNS1_11target_archE1200ELNS1_3gpuE4ELNS1_3repE0EEENS1_30default_config_static_selectorELNS0_4arch9wavefront6targetE1EEEvT1_: ; @_ZN7rocprim17ROCPRIM_400000_NS6detail17trampoline_kernelINS0_14default_configENS1_25partition_config_selectorILNS1_17partition_subalgoE0EsNS0_10empty_typeEbEEZZNS1_14partition_implILS5_0ELb0ES3_jN6thrust23THRUST_200600_302600_NS6detail15normal_iteratorINSA_10device_ptrIsEEEEPS6_SG_NS0_5tupleIJSF_SF_EEENSH_IJSG_SG_EEES6_PlJ7is_evenIsEEEE10hipError_tPvRmT3_T4_T5_T6_T7_T9_mT8_P12ihipStream_tbDpT10_ENKUlT_T0_E_clISt17integral_constantIbLb0EES16_EEDaS11_S12_EUlS11_E_NS1_11comp_targetILNS1_3genE10ELNS1_11target_archE1200ELNS1_3gpuE4ELNS1_3repE0EEENS1_30default_config_static_selectorELNS0_4arch9wavefront6targetE1EEEvT1_
; %bb.0:
	.section	.rodata,"a",@progbits
	.p2align	6, 0x0
	.amdhsa_kernel _ZN7rocprim17ROCPRIM_400000_NS6detail17trampoline_kernelINS0_14default_configENS1_25partition_config_selectorILNS1_17partition_subalgoE0EsNS0_10empty_typeEbEEZZNS1_14partition_implILS5_0ELb0ES3_jN6thrust23THRUST_200600_302600_NS6detail15normal_iteratorINSA_10device_ptrIsEEEEPS6_SG_NS0_5tupleIJSF_SF_EEENSH_IJSG_SG_EEES6_PlJ7is_evenIsEEEE10hipError_tPvRmT3_T4_T5_T6_T7_T9_mT8_P12ihipStream_tbDpT10_ENKUlT_T0_E_clISt17integral_constantIbLb0EES16_EEDaS11_S12_EUlS11_E_NS1_11comp_targetILNS1_3genE10ELNS1_11target_archE1200ELNS1_3gpuE4ELNS1_3repE0EEENS1_30default_config_static_selectorELNS0_4arch9wavefront6targetE1EEEvT1_
		.amdhsa_group_segment_fixed_size 0
		.amdhsa_private_segment_fixed_size 0
		.amdhsa_kernarg_size 120
		.amdhsa_user_sgpr_count 2
		.amdhsa_user_sgpr_dispatch_ptr 0
		.amdhsa_user_sgpr_queue_ptr 0
		.amdhsa_user_sgpr_kernarg_segment_ptr 1
		.amdhsa_user_sgpr_dispatch_id 0
		.amdhsa_user_sgpr_kernarg_preload_length 0
		.amdhsa_user_sgpr_kernarg_preload_offset 0
		.amdhsa_user_sgpr_private_segment_size 0
		.amdhsa_uses_dynamic_stack 0
		.amdhsa_enable_private_segment 0
		.amdhsa_system_sgpr_workgroup_id_x 1
		.amdhsa_system_sgpr_workgroup_id_y 0
		.amdhsa_system_sgpr_workgroup_id_z 0
		.amdhsa_system_sgpr_workgroup_info 0
		.amdhsa_system_vgpr_workitem_id 0
		.amdhsa_next_free_vgpr 1
		.amdhsa_next_free_sgpr 0
		.amdhsa_accum_offset 4
		.amdhsa_reserve_vcc 0
		.amdhsa_float_round_mode_32 0
		.amdhsa_float_round_mode_16_64 0
		.amdhsa_float_denorm_mode_32 3
		.amdhsa_float_denorm_mode_16_64 3
		.amdhsa_dx10_clamp 1
		.amdhsa_ieee_mode 1
		.amdhsa_fp16_overflow 0
		.amdhsa_tg_split 0
		.amdhsa_exception_fp_ieee_invalid_op 0
		.amdhsa_exception_fp_denorm_src 0
		.amdhsa_exception_fp_ieee_div_zero 0
		.amdhsa_exception_fp_ieee_overflow 0
		.amdhsa_exception_fp_ieee_underflow 0
		.amdhsa_exception_fp_ieee_inexact 0
		.amdhsa_exception_int_div_zero 0
	.end_amdhsa_kernel
	.section	.text._ZN7rocprim17ROCPRIM_400000_NS6detail17trampoline_kernelINS0_14default_configENS1_25partition_config_selectorILNS1_17partition_subalgoE0EsNS0_10empty_typeEbEEZZNS1_14partition_implILS5_0ELb0ES3_jN6thrust23THRUST_200600_302600_NS6detail15normal_iteratorINSA_10device_ptrIsEEEEPS6_SG_NS0_5tupleIJSF_SF_EEENSH_IJSG_SG_EEES6_PlJ7is_evenIsEEEE10hipError_tPvRmT3_T4_T5_T6_T7_T9_mT8_P12ihipStream_tbDpT10_ENKUlT_T0_E_clISt17integral_constantIbLb0EES16_EEDaS11_S12_EUlS11_E_NS1_11comp_targetILNS1_3genE10ELNS1_11target_archE1200ELNS1_3gpuE4ELNS1_3repE0EEENS1_30default_config_static_selectorELNS0_4arch9wavefront6targetE1EEEvT1_,"axG",@progbits,_ZN7rocprim17ROCPRIM_400000_NS6detail17trampoline_kernelINS0_14default_configENS1_25partition_config_selectorILNS1_17partition_subalgoE0EsNS0_10empty_typeEbEEZZNS1_14partition_implILS5_0ELb0ES3_jN6thrust23THRUST_200600_302600_NS6detail15normal_iteratorINSA_10device_ptrIsEEEEPS6_SG_NS0_5tupleIJSF_SF_EEENSH_IJSG_SG_EEES6_PlJ7is_evenIsEEEE10hipError_tPvRmT3_T4_T5_T6_T7_T9_mT8_P12ihipStream_tbDpT10_ENKUlT_T0_E_clISt17integral_constantIbLb0EES16_EEDaS11_S12_EUlS11_E_NS1_11comp_targetILNS1_3genE10ELNS1_11target_archE1200ELNS1_3gpuE4ELNS1_3repE0EEENS1_30default_config_static_selectorELNS0_4arch9wavefront6targetE1EEEvT1_,comdat
.Lfunc_end358:
	.size	_ZN7rocprim17ROCPRIM_400000_NS6detail17trampoline_kernelINS0_14default_configENS1_25partition_config_selectorILNS1_17partition_subalgoE0EsNS0_10empty_typeEbEEZZNS1_14partition_implILS5_0ELb0ES3_jN6thrust23THRUST_200600_302600_NS6detail15normal_iteratorINSA_10device_ptrIsEEEEPS6_SG_NS0_5tupleIJSF_SF_EEENSH_IJSG_SG_EEES6_PlJ7is_evenIsEEEE10hipError_tPvRmT3_T4_T5_T6_T7_T9_mT8_P12ihipStream_tbDpT10_ENKUlT_T0_E_clISt17integral_constantIbLb0EES16_EEDaS11_S12_EUlS11_E_NS1_11comp_targetILNS1_3genE10ELNS1_11target_archE1200ELNS1_3gpuE4ELNS1_3repE0EEENS1_30default_config_static_selectorELNS0_4arch9wavefront6targetE1EEEvT1_, .Lfunc_end358-_ZN7rocprim17ROCPRIM_400000_NS6detail17trampoline_kernelINS0_14default_configENS1_25partition_config_selectorILNS1_17partition_subalgoE0EsNS0_10empty_typeEbEEZZNS1_14partition_implILS5_0ELb0ES3_jN6thrust23THRUST_200600_302600_NS6detail15normal_iteratorINSA_10device_ptrIsEEEEPS6_SG_NS0_5tupleIJSF_SF_EEENSH_IJSG_SG_EEES6_PlJ7is_evenIsEEEE10hipError_tPvRmT3_T4_T5_T6_T7_T9_mT8_P12ihipStream_tbDpT10_ENKUlT_T0_E_clISt17integral_constantIbLb0EES16_EEDaS11_S12_EUlS11_E_NS1_11comp_targetILNS1_3genE10ELNS1_11target_archE1200ELNS1_3gpuE4ELNS1_3repE0EEENS1_30default_config_static_selectorELNS0_4arch9wavefront6targetE1EEEvT1_
                                        ; -- End function
	.section	.AMDGPU.csdata,"",@progbits
; Kernel info:
; codeLenInByte = 0
; NumSgprs: 6
; NumVgprs: 0
; NumAgprs: 0
; TotalNumVgprs: 0
; ScratchSize: 0
; MemoryBound: 0
; FloatMode: 240
; IeeeMode: 1
; LDSByteSize: 0 bytes/workgroup (compile time only)
; SGPRBlocks: 0
; VGPRBlocks: 0
; NumSGPRsForWavesPerEU: 6
; NumVGPRsForWavesPerEU: 1
; AccumOffset: 4
; Occupancy: 8
; WaveLimiterHint : 0
; COMPUTE_PGM_RSRC2:SCRATCH_EN: 0
; COMPUTE_PGM_RSRC2:USER_SGPR: 2
; COMPUTE_PGM_RSRC2:TRAP_HANDLER: 0
; COMPUTE_PGM_RSRC2:TGID_X_EN: 1
; COMPUTE_PGM_RSRC2:TGID_Y_EN: 0
; COMPUTE_PGM_RSRC2:TGID_Z_EN: 0
; COMPUTE_PGM_RSRC2:TIDIG_COMP_CNT: 0
; COMPUTE_PGM_RSRC3_GFX90A:ACCUM_OFFSET: 0
; COMPUTE_PGM_RSRC3_GFX90A:TG_SPLIT: 0
	.section	.text._ZN7rocprim17ROCPRIM_400000_NS6detail17trampoline_kernelINS0_14default_configENS1_25partition_config_selectorILNS1_17partition_subalgoE0EsNS0_10empty_typeEbEEZZNS1_14partition_implILS5_0ELb0ES3_jN6thrust23THRUST_200600_302600_NS6detail15normal_iteratorINSA_10device_ptrIsEEEEPS6_SG_NS0_5tupleIJSF_SF_EEENSH_IJSG_SG_EEES6_PlJ7is_evenIsEEEE10hipError_tPvRmT3_T4_T5_T6_T7_T9_mT8_P12ihipStream_tbDpT10_ENKUlT_T0_E_clISt17integral_constantIbLb0EES16_EEDaS11_S12_EUlS11_E_NS1_11comp_targetILNS1_3genE9ELNS1_11target_archE1100ELNS1_3gpuE3ELNS1_3repE0EEENS1_30default_config_static_selectorELNS0_4arch9wavefront6targetE1EEEvT1_,"axG",@progbits,_ZN7rocprim17ROCPRIM_400000_NS6detail17trampoline_kernelINS0_14default_configENS1_25partition_config_selectorILNS1_17partition_subalgoE0EsNS0_10empty_typeEbEEZZNS1_14partition_implILS5_0ELb0ES3_jN6thrust23THRUST_200600_302600_NS6detail15normal_iteratorINSA_10device_ptrIsEEEEPS6_SG_NS0_5tupleIJSF_SF_EEENSH_IJSG_SG_EEES6_PlJ7is_evenIsEEEE10hipError_tPvRmT3_T4_T5_T6_T7_T9_mT8_P12ihipStream_tbDpT10_ENKUlT_T0_E_clISt17integral_constantIbLb0EES16_EEDaS11_S12_EUlS11_E_NS1_11comp_targetILNS1_3genE9ELNS1_11target_archE1100ELNS1_3gpuE3ELNS1_3repE0EEENS1_30default_config_static_selectorELNS0_4arch9wavefront6targetE1EEEvT1_,comdat
	.protected	_ZN7rocprim17ROCPRIM_400000_NS6detail17trampoline_kernelINS0_14default_configENS1_25partition_config_selectorILNS1_17partition_subalgoE0EsNS0_10empty_typeEbEEZZNS1_14partition_implILS5_0ELb0ES3_jN6thrust23THRUST_200600_302600_NS6detail15normal_iteratorINSA_10device_ptrIsEEEEPS6_SG_NS0_5tupleIJSF_SF_EEENSH_IJSG_SG_EEES6_PlJ7is_evenIsEEEE10hipError_tPvRmT3_T4_T5_T6_T7_T9_mT8_P12ihipStream_tbDpT10_ENKUlT_T0_E_clISt17integral_constantIbLb0EES16_EEDaS11_S12_EUlS11_E_NS1_11comp_targetILNS1_3genE9ELNS1_11target_archE1100ELNS1_3gpuE3ELNS1_3repE0EEENS1_30default_config_static_selectorELNS0_4arch9wavefront6targetE1EEEvT1_ ; -- Begin function _ZN7rocprim17ROCPRIM_400000_NS6detail17trampoline_kernelINS0_14default_configENS1_25partition_config_selectorILNS1_17partition_subalgoE0EsNS0_10empty_typeEbEEZZNS1_14partition_implILS5_0ELb0ES3_jN6thrust23THRUST_200600_302600_NS6detail15normal_iteratorINSA_10device_ptrIsEEEEPS6_SG_NS0_5tupleIJSF_SF_EEENSH_IJSG_SG_EEES6_PlJ7is_evenIsEEEE10hipError_tPvRmT3_T4_T5_T6_T7_T9_mT8_P12ihipStream_tbDpT10_ENKUlT_T0_E_clISt17integral_constantIbLb0EES16_EEDaS11_S12_EUlS11_E_NS1_11comp_targetILNS1_3genE9ELNS1_11target_archE1100ELNS1_3gpuE3ELNS1_3repE0EEENS1_30default_config_static_selectorELNS0_4arch9wavefront6targetE1EEEvT1_
	.globl	_ZN7rocprim17ROCPRIM_400000_NS6detail17trampoline_kernelINS0_14default_configENS1_25partition_config_selectorILNS1_17partition_subalgoE0EsNS0_10empty_typeEbEEZZNS1_14partition_implILS5_0ELb0ES3_jN6thrust23THRUST_200600_302600_NS6detail15normal_iteratorINSA_10device_ptrIsEEEEPS6_SG_NS0_5tupleIJSF_SF_EEENSH_IJSG_SG_EEES6_PlJ7is_evenIsEEEE10hipError_tPvRmT3_T4_T5_T6_T7_T9_mT8_P12ihipStream_tbDpT10_ENKUlT_T0_E_clISt17integral_constantIbLb0EES16_EEDaS11_S12_EUlS11_E_NS1_11comp_targetILNS1_3genE9ELNS1_11target_archE1100ELNS1_3gpuE3ELNS1_3repE0EEENS1_30default_config_static_selectorELNS0_4arch9wavefront6targetE1EEEvT1_
	.p2align	8
	.type	_ZN7rocprim17ROCPRIM_400000_NS6detail17trampoline_kernelINS0_14default_configENS1_25partition_config_selectorILNS1_17partition_subalgoE0EsNS0_10empty_typeEbEEZZNS1_14partition_implILS5_0ELb0ES3_jN6thrust23THRUST_200600_302600_NS6detail15normal_iteratorINSA_10device_ptrIsEEEEPS6_SG_NS0_5tupleIJSF_SF_EEENSH_IJSG_SG_EEES6_PlJ7is_evenIsEEEE10hipError_tPvRmT3_T4_T5_T6_T7_T9_mT8_P12ihipStream_tbDpT10_ENKUlT_T0_E_clISt17integral_constantIbLb0EES16_EEDaS11_S12_EUlS11_E_NS1_11comp_targetILNS1_3genE9ELNS1_11target_archE1100ELNS1_3gpuE3ELNS1_3repE0EEENS1_30default_config_static_selectorELNS0_4arch9wavefront6targetE1EEEvT1_,@function
_ZN7rocprim17ROCPRIM_400000_NS6detail17trampoline_kernelINS0_14default_configENS1_25partition_config_selectorILNS1_17partition_subalgoE0EsNS0_10empty_typeEbEEZZNS1_14partition_implILS5_0ELb0ES3_jN6thrust23THRUST_200600_302600_NS6detail15normal_iteratorINSA_10device_ptrIsEEEEPS6_SG_NS0_5tupleIJSF_SF_EEENSH_IJSG_SG_EEES6_PlJ7is_evenIsEEEE10hipError_tPvRmT3_T4_T5_T6_T7_T9_mT8_P12ihipStream_tbDpT10_ENKUlT_T0_E_clISt17integral_constantIbLb0EES16_EEDaS11_S12_EUlS11_E_NS1_11comp_targetILNS1_3genE9ELNS1_11target_archE1100ELNS1_3gpuE3ELNS1_3repE0EEENS1_30default_config_static_selectorELNS0_4arch9wavefront6targetE1EEEvT1_: ; @_ZN7rocprim17ROCPRIM_400000_NS6detail17trampoline_kernelINS0_14default_configENS1_25partition_config_selectorILNS1_17partition_subalgoE0EsNS0_10empty_typeEbEEZZNS1_14partition_implILS5_0ELb0ES3_jN6thrust23THRUST_200600_302600_NS6detail15normal_iteratorINSA_10device_ptrIsEEEEPS6_SG_NS0_5tupleIJSF_SF_EEENSH_IJSG_SG_EEES6_PlJ7is_evenIsEEEE10hipError_tPvRmT3_T4_T5_T6_T7_T9_mT8_P12ihipStream_tbDpT10_ENKUlT_T0_E_clISt17integral_constantIbLb0EES16_EEDaS11_S12_EUlS11_E_NS1_11comp_targetILNS1_3genE9ELNS1_11target_archE1100ELNS1_3gpuE3ELNS1_3repE0EEENS1_30default_config_static_selectorELNS0_4arch9wavefront6targetE1EEEvT1_
; %bb.0:
	.section	.rodata,"a",@progbits
	.p2align	6, 0x0
	.amdhsa_kernel _ZN7rocprim17ROCPRIM_400000_NS6detail17trampoline_kernelINS0_14default_configENS1_25partition_config_selectorILNS1_17partition_subalgoE0EsNS0_10empty_typeEbEEZZNS1_14partition_implILS5_0ELb0ES3_jN6thrust23THRUST_200600_302600_NS6detail15normal_iteratorINSA_10device_ptrIsEEEEPS6_SG_NS0_5tupleIJSF_SF_EEENSH_IJSG_SG_EEES6_PlJ7is_evenIsEEEE10hipError_tPvRmT3_T4_T5_T6_T7_T9_mT8_P12ihipStream_tbDpT10_ENKUlT_T0_E_clISt17integral_constantIbLb0EES16_EEDaS11_S12_EUlS11_E_NS1_11comp_targetILNS1_3genE9ELNS1_11target_archE1100ELNS1_3gpuE3ELNS1_3repE0EEENS1_30default_config_static_selectorELNS0_4arch9wavefront6targetE1EEEvT1_
		.amdhsa_group_segment_fixed_size 0
		.amdhsa_private_segment_fixed_size 0
		.amdhsa_kernarg_size 120
		.amdhsa_user_sgpr_count 2
		.amdhsa_user_sgpr_dispatch_ptr 0
		.amdhsa_user_sgpr_queue_ptr 0
		.amdhsa_user_sgpr_kernarg_segment_ptr 1
		.amdhsa_user_sgpr_dispatch_id 0
		.amdhsa_user_sgpr_kernarg_preload_length 0
		.amdhsa_user_sgpr_kernarg_preload_offset 0
		.amdhsa_user_sgpr_private_segment_size 0
		.amdhsa_uses_dynamic_stack 0
		.amdhsa_enable_private_segment 0
		.amdhsa_system_sgpr_workgroup_id_x 1
		.amdhsa_system_sgpr_workgroup_id_y 0
		.amdhsa_system_sgpr_workgroup_id_z 0
		.amdhsa_system_sgpr_workgroup_info 0
		.amdhsa_system_vgpr_workitem_id 0
		.amdhsa_next_free_vgpr 1
		.amdhsa_next_free_sgpr 0
		.amdhsa_accum_offset 4
		.amdhsa_reserve_vcc 0
		.amdhsa_float_round_mode_32 0
		.amdhsa_float_round_mode_16_64 0
		.amdhsa_float_denorm_mode_32 3
		.amdhsa_float_denorm_mode_16_64 3
		.amdhsa_dx10_clamp 1
		.amdhsa_ieee_mode 1
		.amdhsa_fp16_overflow 0
		.amdhsa_tg_split 0
		.amdhsa_exception_fp_ieee_invalid_op 0
		.amdhsa_exception_fp_denorm_src 0
		.amdhsa_exception_fp_ieee_div_zero 0
		.amdhsa_exception_fp_ieee_overflow 0
		.amdhsa_exception_fp_ieee_underflow 0
		.amdhsa_exception_fp_ieee_inexact 0
		.amdhsa_exception_int_div_zero 0
	.end_amdhsa_kernel
	.section	.text._ZN7rocprim17ROCPRIM_400000_NS6detail17trampoline_kernelINS0_14default_configENS1_25partition_config_selectorILNS1_17partition_subalgoE0EsNS0_10empty_typeEbEEZZNS1_14partition_implILS5_0ELb0ES3_jN6thrust23THRUST_200600_302600_NS6detail15normal_iteratorINSA_10device_ptrIsEEEEPS6_SG_NS0_5tupleIJSF_SF_EEENSH_IJSG_SG_EEES6_PlJ7is_evenIsEEEE10hipError_tPvRmT3_T4_T5_T6_T7_T9_mT8_P12ihipStream_tbDpT10_ENKUlT_T0_E_clISt17integral_constantIbLb0EES16_EEDaS11_S12_EUlS11_E_NS1_11comp_targetILNS1_3genE9ELNS1_11target_archE1100ELNS1_3gpuE3ELNS1_3repE0EEENS1_30default_config_static_selectorELNS0_4arch9wavefront6targetE1EEEvT1_,"axG",@progbits,_ZN7rocprim17ROCPRIM_400000_NS6detail17trampoline_kernelINS0_14default_configENS1_25partition_config_selectorILNS1_17partition_subalgoE0EsNS0_10empty_typeEbEEZZNS1_14partition_implILS5_0ELb0ES3_jN6thrust23THRUST_200600_302600_NS6detail15normal_iteratorINSA_10device_ptrIsEEEEPS6_SG_NS0_5tupleIJSF_SF_EEENSH_IJSG_SG_EEES6_PlJ7is_evenIsEEEE10hipError_tPvRmT3_T4_T5_T6_T7_T9_mT8_P12ihipStream_tbDpT10_ENKUlT_T0_E_clISt17integral_constantIbLb0EES16_EEDaS11_S12_EUlS11_E_NS1_11comp_targetILNS1_3genE9ELNS1_11target_archE1100ELNS1_3gpuE3ELNS1_3repE0EEENS1_30default_config_static_selectorELNS0_4arch9wavefront6targetE1EEEvT1_,comdat
.Lfunc_end359:
	.size	_ZN7rocprim17ROCPRIM_400000_NS6detail17trampoline_kernelINS0_14default_configENS1_25partition_config_selectorILNS1_17partition_subalgoE0EsNS0_10empty_typeEbEEZZNS1_14partition_implILS5_0ELb0ES3_jN6thrust23THRUST_200600_302600_NS6detail15normal_iteratorINSA_10device_ptrIsEEEEPS6_SG_NS0_5tupleIJSF_SF_EEENSH_IJSG_SG_EEES6_PlJ7is_evenIsEEEE10hipError_tPvRmT3_T4_T5_T6_T7_T9_mT8_P12ihipStream_tbDpT10_ENKUlT_T0_E_clISt17integral_constantIbLb0EES16_EEDaS11_S12_EUlS11_E_NS1_11comp_targetILNS1_3genE9ELNS1_11target_archE1100ELNS1_3gpuE3ELNS1_3repE0EEENS1_30default_config_static_selectorELNS0_4arch9wavefront6targetE1EEEvT1_, .Lfunc_end359-_ZN7rocprim17ROCPRIM_400000_NS6detail17trampoline_kernelINS0_14default_configENS1_25partition_config_selectorILNS1_17partition_subalgoE0EsNS0_10empty_typeEbEEZZNS1_14partition_implILS5_0ELb0ES3_jN6thrust23THRUST_200600_302600_NS6detail15normal_iteratorINSA_10device_ptrIsEEEEPS6_SG_NS0_5tupleIJSF_SF_EEENSH_IJSG_SG_EEES6_PlJ7is_evenIsEEEE10hipError_tPvRmT3_T4_T5_T6_T7_T9_mT8_P12ihipStream_tbDpT10_ENKUlT_T0_E_clISt17integral_constantIbLb0EES16_EEDaS11_S12_EUlS11_E_NS1_11comp_targetILNS1_3genE9ELNS1_11target_archE1100ELNS1_3gpuE3ELNS1_3repE0EEENS1_30default_config_static_selectorELNS0_4arch9wavefront6targetE1EEEvT1_
                                        ; -- End function
	.section	.AMDGPU.csdata,"",@progbits
; Kernel info:
; codeLenInByte = 0
; NumSgprs: 6
; NumVgprs: 0
; NumAgprs: 0
; TotalNumVgprs: 0
; ScratchSize: 0
; MemoryBound: 0
; FloatMode: 240
; IeeeMode: 1
; LDSByteSize: 0 bytes/workgroup (compile time only)
; SGPRBlocks: 0
; VGPRBlocks: 0
; NumSGPRsForWavesPerEU: 6
; NumVGPRsForWavesPerEU: 1
; AccumOffset: 4
; Occupancy: 8
; WaveLimiterHint : 0
; COMPUTE_PGM_RSRC2:SCRATCH_EN: 0
; COMPUTE_PGM_RSRC2:USER_SGPR: 2
; COMPUTE_PGM_RSRC2:TRAP_HANDLER: 0
; COMPUTE_PGM_RSRC2:TGID_X_EN: 1
; COMPUTE_PGM_RSRC2:TGID_Y_EN: 0
; COMPUTE_PGM_RSRC2:TGID_Z_EN: 0
; COMPUTE_PGM_RSRC2:TIDIG_COMP_CNT: 0
; COMPUTE_PGM_RSRC3_GFX90A:ACCUM_OFFSET: 0
; COMPUTE_PGM_RSRC3_GFX90A:TG_SPLIT: 0
	.section	.text._ZN7rocprim17ROCPRIM_400000_NS6detail17trampoline_kernelINS0_14default_configENS1_25partition_config_selectorILNS1_17partition_subalgoE0EsNS0_10empty_typeEbEEZZNS1_14partition_implILS5_0ELb0ES3_jN6thrust23THRUST_200600_302600_NS6detail15normal_iteratorINSA_10device_ptrIsEEEEPS6_SG_NS0_5tupleIJSF_SF_EEENSH_IJSG_SG_EEES6_PlJ7is_evenIsEEEE10hipError_tPvRmT3_T4_T5_T6_T7_T9_mT8_P12ihipStream_tbDpT10_ENKUlT_T0_E_clISt17integral_constantIbLb0EES16_EEDaS11_S12_EUlS11_E_NS1_11comp_targetILNS1_3genE8ELNS1_11target_archE1030ELNS1_3gpuE2ELNS1_3repE0EEENS1_30default_config_static_selectorELNS0_4arch9wavefront6targetE1EEEvT1_,"axG",@progbits,_ZN7rocprim17ROCPRIM_400000_NS6detail17trampoline_kernelINS0_14default_configENS1_25partition_config_selectorILNS1_17partition_subalgoE0EsNS0_10empty_typeEbEEZZNS1_14partition_implILS5_0ELb0ES3_jN6thrust23THRUST_200600_302600_NS6detail15normal_iteratorINSA_10device_ptrIsEEEEPS6_SG_NS0_5tupleIJSF_SF_EEENSH_IJSG_SG_EEES6_PlJ7is_evenIsEEEE10hipError_tPvRmT3_T4_T5_T6_T7_T9_mT8_P12ihipStream_tbDpT10_ENKUlT_T0_E_clISt17integral_constantIbLb0EES16_EEDaS11_S12_EUlS11_E_NS1_11comp_targetILNS1_3genE8ELNS1_11target_archE1030ELNS1_3gpuE2ELNS1_3repE0EEENS1_30default_config_static_selectorELNS0_4arch9wavefront6targetE1EEEvT1_,comdat
	.protected	_ZN7rocprim17ROCPRIM_400000_NS6detail17trampoline_kernelINS0_14default_configENS1_25partition_config_selectorILNS1_17partition_subalgoE0EsNS0_10empty_typeEbEEZZNS1_14partition_implILS5_0ELb0ES3_jN6thrust23THRUST_200600_302600_NS6detail15normal_iteratorINSA_10device_ptrIsEEEEPS6_SG_NS0_5tupleIJSF_SF_EEENSH_IJSG_SG_EEES6_PlJ7is_evenIsEEEE10hipError_tPvRmT3_T4_T5_T6_T7_T9_mT8_P12ihipStream_tbDpT10_ENKUlT_T0_E_clISt17integral_constantIbLb0EES16_EEDaS11_S12_EUlS11_E_NS1_11comp_targetILNS1_3genE8ELNS1_11target_archE1030ELNS1_3gpuE2ELNS1_3repE0EEENS1_30default_config_static_selectorELNS0_4arch9wavefront6targetE1EEEvT1_ ; -- Begin function _ZN7rocprim17ROCPRIM_400000_NS6detail17trampoline_kernelINS0_14default_configENS1_25partition_config_selectorILNS1_17partition_subalgoE0EsNS0_10empty_typeEbEEZZNS1_14partition_implILS5_0ELb0ES3_jN6thrust23THRUST_200600_302600_NS6detail15normal_iteratorINSA_10device_ptrIsEEEEPS6_SG_NS0_5tupleIJSF_SF_EEENSH_IJSG_SG_EEES6_PlJ7is_evenIsEEEE10hipError_tPvRmT3_T4_T5_T6_T7_T9_mT8_P12ihipStream_tbDpT10_ENKUlT_T0_E_clISt17integral_constantIbLb0EES16_EEDaS11_S12_EUlS11_E_NS1_11comp_targetILNS1_3genE8ELNS1_11target_archE1030ELNS1_3gpuE2ELNS1_3repE0EEENS1_30default_config_static_selectorELNS0_4arch9wavefront6targetE1EEEvT1_
	.globl	_ZN7rocprim17ROCPRIM_400000_NS6detail17trampoline_kernelINS0_14default_configENS1_25partition_config_selectorILNS1_17partition_subalgoE0EsNS0_10empty_typeEbEEZZNS1_14partition_implILS5_0ELb0ES3_jN6thrust23THRUST_200600_302600_NS6detail15normal_iteratorINSA_10device_ptrIsEEEEPS6_SG_NS0_5tupleIJSF_SF_EEENSH_IJSG_SG_EEES6_PlJ7is_evenIsEEEE10hipError_tPvRmT3_T4_T5_T6_T7_T9_mT8_P12ihipStream_tbDpT10_ENKUlT_T0_E_clISt17integral_constantIbLb0EES16_EEDaS11_S12_EUlS11_E_NS1_11comp_targetILNS1_3genE8ELNS1_11target_archE1030ELNS1_3gpuE2ELNS1_3repE0EEENS1_30default_config_static_selectorELNS0_4arch9wavefront6targetE1EEEvT1_
	.p2align	8
	.type	_ZN7rocprim17ROCPRIM_400000_NS6detail17trampoline_kernelINS0_14default_configENS1_25partition_config_selectorILNS1_17partition_subalgoE0EsNS0_10empty_typeEbEEZZNS1_14partition_implILS5_0ELb0ES3_jN6thrust23THRUST_200600_302600_NS6detail15normal_iteratorINSA_10device_ptrIsEEEEPS6_SG_NS0_5tupleIJSF_SF_EEENSH_IJSG_SG_EEES6_PlJ7is_evenIsEEEE10hipError_tPvRmT3_T4_T5_T6_T7_T9_mT8_P12ihipStream_tbDpT10_ENKUlT_T0_E_clISt17integral_constantIbLb0EES16_EEDaS11_S12_EUlS11_E_NS1_11comp_targetILNS1_3genE8ELNS1_11target_archE1030ELNS1_3gpuE2ELNS1_3repE0EEENS1_30default_config_static_selectorELNS0_4arch9wavefront6targetE1EEEvT1_,@function
_ZN7rocprim17ROCPRIM_400000_NS6detail17trampoline_kernelINS0_14default_configENS1_25partition_config_selectorILNS1_17partition_subalgoE0EsNS0_10empty_typeEbEEZZNS1_14partition_implILS5_0ELb0ES3_jN6thrust23THRUST_200600_302600_NS6detail15normal_iteratorINSA_10device_ptrIsEEEEPS6_SG_NS0_5tupleIJSF_SF_EEENSH_IJSG_SG_EEES6_PlJ7is_evenIsEEEE10hipError_tPvRmT3_T4_T5_T6_T7_T9_mT8_P12ihipStream_tbDpT10_ENKUlT_T0_E_clISt17integral_constantIbLb0EES16_EEDaS11_S12_EUlS11_E_NS1_11comp_targetILNS1_3genE8ELNS1_11target_archE1030ELNS1_3gpuE2ELNS1_3repE0EEENS1_30default_config_static_selectorELNS0_4arch9wavefront6targetE1EEEvT1_: ; @_ZN7rocprim17ROCPRIM_400000_NS6detail17trampoline_kernelINS0_14default_configENS1_25partition_config_selectorILNS1_17partition_subalgoE0EsNS0_10empty_typeEbEEZZNS1_14partition_implILS5_0ELb0ES3_jN6thrust23THRUST_200600_302600_NS6detail15normal_iteratorINSA_10device_ptrIsEEEEPS6_SG_NS0_5tupleIJSF_SF_EEENSH_IJSG_SG_EEES6_PlJ7is_evenIsEEEE10hipError_tPvRmT3_T4_T5_T6_T7_T9_mT8_P12ihipStream_tbDpT10_ENKUlT_T0_E_clISt17integral_constantIbLb0EES16_EEDaS11_S12_EUlS11_E_NS1_11comp_targetILNS1_3genE8ELNS1_11target_archE1030ELNS1_3gpuE2ELNS1_3repE0EEENS1_30default_config_static_selectorELNS0_4arch9wavefront6targetE1EEEvT1_
; %bb.0:
	.section	.rodata,"a",@progbits
	.p2align	6, 0x0
	.amdhsa_kernel _ZN7rocprim17ROCPRIM_400000_NS6detail17trampoline_kernelINS0_14default_configENS1_25partition_config_selectorILNS1_17partition_subalgoE0EsNS0_10empty_typeEbEEZZNS1_14partition_implILS5_0ELb0ES3_jN6thrust23THRUST_200600_302600_NS6detail15normal_iteratorINSA_10device_ptrIsEEEEPS6_SG_NS0_5tupleIJSF_SF_EEENSH_IJSG_SG_EEES6_PlJ7is_evenIsEEEE10hipError_tPvRmT3_T4_T5_T6_T7_T9_mT8_P12ihipStream_tbDpT10_ENKUlT_T0_E_clISt17integral_constantIbLb0EES16_EEDaS11_S12_EUlS11_E_NS1_11comp_targetILNS1_3genE8ELNS1_11target_archE1030ELNS1_3gpuE2ELNS1_3repE0EEENS1_30default_config_static_selectorELNS0_4arch9wavefront6targetE1EEEvT1_
		.amdhsa_group_segment_fixed_size 0
		.amdhsa_private_segment_fixed_size 0
		.amdhsa_kernarg_size 120
		.amdhsa_user_sgpr_count 2
		.amdhsa_user_sgpr_dispatch_ptr 0
		.amdhsa_user_sgpr_queue_ptr 0
		.amdhsa_user_sgpr_kernarg_segment_ptr 1
		.amdhsa_user_sgpr_dispatch_id 0
		.amdhsa_user_sgpr_kernarg_preload_length 0
		.amdhsa_user_sgpr_kernarg_preload_offset 0
		.amdhsa_user_sgpr_private_segment_size 0
		.amdhsa_uses_dynamic_stack 0
		.amdhsa_enable_private_segment 0
		.amdhsa_system_sgpr_workgroup_id_x 1
		.amdhsa_system_sgpr_workgroup_id_y 0
		.amdhsa_system_sgpr_workgroup_id_z 0
		.amdhsa_system_sgpr_workgroup_info 0
		.amdhsa_system_vgpr_workitem_id 0
		.amdhsa_next_free_vgpr 1
		.amdhsa_next_free_sgpr 0
		.amdhsa_accum_offset 4
		.amdhsa_reserve_vcc 0
		.amdhsa_float_round_mode_32 0
		.amdhsa_float_round_mode_16_64 0
		.amdhsa_float_denorm_mode_32 3
		.amdhsa_float_denorm_mode_16_64 3
		.amdhsa_dx10_clamp 1
		.amdhsa_ieee_mode 1
		.amdhsa_fp16_overflow 0
		.amdhsa_tg_split 0
		.amdhsa_exception_fp_ieee_invalid_op 0
		.amdhsa_exception_fp_denorm_src 0
		.amdhsa_exception_fp_ieee_div_zero 0
		.amdhsa_exception_fp_ieee_overflow 0
		.amdhsa_exception_fp_ieee_underflow 0
		.amdhsa_exception_fp_ieee_inexact 0
		.amdhsa_exception_int_div_zero 0
	.end_amdhsa_kernel
	.section	.text._ZN7rocprim17ROCPRIM_400000_NS6detail17trampoline_kernelINS0_14default_configENS1_25partition_config_selectorILNS1_17partition_subalgoE0EsNS0_10empty_typeEbEEZZNS1_14partition_implILS5_0ELb0ES3_jN6thrust23THRUST_200600_302600_NS6detail15normal_iteratorINSA_10device_ptrIsEEEEPS6_SG_NS0_5tupleIJSF_SF_EEENSH_IJSG_SG_EEES6_PlJ7is_evenIsEEEE10hipError_tPvRmT3_T4_T5_T6_T7_T9_mT8_P12ihipStream_tbDpT10_ENKUlT_T0_E_clISt17integral_constantIbLb0EES16_EEDaS11_S12_EUlS11_E_NS1_11comp_targetILNS1_3genE8ELNS1_11target_archE1030ELNS1_3gpuE2ELNS1_3repE0EEENS1_30default_config_static_selectorELNS0_4arch9wavefront6targetE1EEEvT1_,"axG",@progbits,_ZN7rocprim17ROCPRIM_400000_NS6detail17trampoline_kernelINS0_14default_configENS1_25partition_config_selectorILNS1_17partition_subalgoE0EsNS0_10empty_typeEbEEZZNS1_14partition_implILS5_0ELb0ES3_jN6thrust23THRUST_200600_302600_NS6detail15normal_iteratorINSA_10device_ptrIsEEEEPS6_SG_NS0_5tupleIJSF_SF_EEENSH_IJSG_SG_EEES6_PlJ7is_evenIsEEEE10hipError_tPvRmT3_T4_T5_T6_T7_T9_mT8_P12ihipStream_tbDpT10_ENKUlT_T0_E_clISt17integral_constantIbLb0EES16_EEDaS11_S12_EUlS11_E_NS1_11comp_targetILNS1_3genE8ELNS1_11target_archE1030ELNS1_3gpuE2ELNS1_3repE0EEENS1_30default_config_static_selectorELNS0_4arch9wavefront6targetE1EEEvT1_,comdat
.Lfunc_end360:
	.size	_ZN7rocprim17ROCPRIM_400000_NS6detail17trampoline_kernelINS0_14default_configENS1_25partition_config_selectorILNS1_17partition_subalgoE0EsNS0_10empty_typeEbEEZZNS1_14partition_implILS5_0ELb0ES3_jN6thrust23THRUST_200600_302600_NS6detail15normal_iteratorINSA_10device_ptrIsEEEEPS6_SG_NS0_5tupleIJSF_SF_EEENSH_IJSG_SG_EEES6_PlJ7is_evenIsEEEE10hipError_tPvRmT3_T4_T5_T6_T7_T9_mT8_P12ihipStream_tbDpT10_ENKUlT_T0_E_clISt17integral_constantIbLb0EES16_EEDaS11_S12_EUlS11_E_NS1_11comp_targetILNS1_3genE8ELNS1_11target_archE1030ELNS1_3gpuE2ELNS1_3repE0EEENS1_30default_config_static_selectorELNS0_4arch9wavefront6targetE1EEEvT1_, .Lfunc_end360-_ZN7rocprim17ROCPRIM_400000_NS6detail17trampoline_kernelINS0_14default_configENS1_25partition_config_selectorILNS1_17partition_subalgoE0EsNS0_10empty_typeEbEEZZNS1_14partition_implILS5_0ELb0ES3_jN6thrust23THRUST_200600_302600_NS6detail15normal_iteratorINSA_10device_ptrIsEEEEPS6_SG_NS0_5tupleIJSF_SF_EEENSH_IJSG_SG_EEES6_PlJ7is_evenIsEEEE10hipError_tPvRmT3_T4_T5_T6_T7_T9_mT8_P12ihipStream_tbDpT10_ENKUlT_T0_E_clISt17integral_constantIbLb0EES16_EEDaS11_S12_EUlS11_E_NS1_11comp_targetILNS1_3genE8ELNS1_11target_archE1030ELNS1_3gpuE2ELNS1_3repE0EEENS1_30default_config_static_selectorELNS0_4arch9wavefront6targetE1EEEvT1_
                                        ; -- End function
	.section	.AMDGPU.csdata,"",@progbits
; Kernel info:
; codeLenInByte = 0
; NumSgprs: 6
; NumVgprs: 0
; NumAgprs: 0
; TotalNumVgprs: 0
; ScratchSize: 0
; MemoryBound: 0
; FloatMode: 240
; IeeeMode: 1
; LDSByteSize: 0 bytes/workgroup (compile time only)
; SGPRBlocks: 0
; VGPRBlocks: 0
; NumSGPRsForWavesPerEU: 6
; NumVGPRsForWavesPerEU: 1
; AccumOffset: 4
; Occupancy: 8
; WaveLimiterHint : 0
; COMPUTE_PGM_RSRC2:SCRATCH_EN: 0
; COMPUTE_PGM_RSRC2:USER_SGPR: 2
; COMPUTE_PGM_RSRC2:TRAP_HANDLER: 0
; COMPUTE_PGM_RSRC2:TGID_X_EN: 1
; COMPUTE_PGM_RSRC2:TGID_Y_EN: 0
; COMPUTE_PGM_RSRC2:TGID_Z_EN: 0
; COMPUTE_PGM_RSRC2:TIDIG_COMP_CNT: 0
; COMPUTE_PGM_RSRC3_GFX90A:ACCUM_OFFSET: 0
; COMPUTE_PGM_RSRC3_GFX90A:TG_SPLIT: 0
	.section	.text._ZN7rocprim17ROCPRIM_400000_NS6detail17trampoline_kernelINS0_14default_configENS1_25partition_config_selectorILNS1_17partition_subalgoE0EsNS0_10empty_typeEbEEZZNS1_14partition_implILS5_0ELb0ES3_jN6thrust23THRUST_200600_302600_NS6detail15normal_iteratorINSA_10device_ptrIsEEEEPS6_SG_NS0_5tupleIJSF_SF_EEENSH_IJSG_SG_EEES6_PlJ7is_evenIsEEEE10hipError_tPvRmT3_T4_T5_T6_T7_T9_mT8_P12ihipStream_tbDpT10_ENKUlT_T0_E_clISt17integral_constantIbLb1EES16_EEDaS11_S12_EUlS11_E_NS1_11comp_targetILNS1_3genE0ELNS1_11target_archE4294967295ELNS1_3gpuE0ELNS1_3repE0EEENS1_30default_config_static_selectorELNS0_4arch9wavefront6targetE1EEEvT1_,"axG",@progbits,_ZN7rocprim17ROCPRIM_400000_NS6detail17trampoline_kernelINS0_14default_configENS1_25partition_config_selectorILNS1_17partition_subalgoE0EsNS0_10empty_typeEbEEZZNS1_14partition_implILS5_0ELb0ES3_jN6thrust23THRUST_200600_302600_NS6detail15normal_iteratorINSA_10device_ptrIsEEEEPS6_SG_NS0_5tupleIJSF_SF_EEENSH_IJSG_SG_EEES6_PlJ7is_evenIsEEEE10hipError_tPvRmT3_T4_T5_T6_T7_T9_mT8_P12ihipStream_tbDpT10_ENKUlT_T0_E_clISt17integral_constantIbLb1EES16_EEDaS11_S12_EUlS11_E_NS1_11comp_targetILNS1_3genE0ELNS1_11target_archE4294967295ELNS1_3gpuE0ELNS1_3repE0EEENS1_30default_config_static_selectorELNS0_4arch9wavefront6targetE1EEEvT1_,comdat
	.protected	_ZN7rocprim17ROCPRIM_400000_NS6detail17trampoline_kernelINS0_14default_configENS1_25partition_config_selectorILNS1_17partition_subalgoE0EsNS0_10empty_typeEbEEZZNS1_14partition_implILS5_0ELb0ES3_jN6thrust23THRUST_200600_302600_NS6detail15normal_iteratorINSA_10device_ptrIsEEEEPS6_SG_NS0_5tupleIJSF_SF_EEENSH_IJSG_SG_EEES6_PlJ7is_evenIsEEEE10hipError_tPvRmT3_T4_T5_T6_T7_T9_mT8_P12ihipStream_tbDpT10_ENKUlT_T0_E_clISt17integral_constantIbLb1EES16_EEDaS11_S12_EUlS11_E_NS1_11comp_targetILNS1_3genE0ELNS1_11target_archE4294967295ELNS1_3gpuE0ELNS1_3repE0EEENS1_30default_config_static_selectorELNS0_4arch9wavefront6targetE1EEEvT1_ ; -- Begin function _ZN7rocprim17ROCPRIM_400000_NS6detail17trampoline_kernelINS0_14default_configENS1_25partition_config_selectorILNS1_17partition_subalgoE0EsNS0_10empty_typeEbEEZZNS1_14partition_implILS5_0ELb0ES3_jN6thrust23THRUST_200600_302600_NS6detail15normal_iteratorINSA_10device_ptrIsEEEEPS6_SG_NS0_5tupleIJSF_SF_EEENSH_IJSG_SG_EEES6_PlJ7is_evenIsEEEE10hipError_tPvRmT3_T4_T5_T6_T7_T9_mT8_P12ihipStream_tbDpT10_ENKUlT_T0_E_clISt17integral_constantIbLb1EES16_EEDaS11_S12_EUlS11_E_NS1_11comp_targetILNS1_3genE0ELNS1_11target_archE4294967295ELNS1_3gpuE0ELNS1_3repE0EEENS1_30default_config_static_selectorELNS0_4arch9wavefront6targetE1EEEvT1_
	.globl	_ZN7rocprim17ROCPRIM_400000_NS6detail17trampoline_kernelINS0_14default_configENS1_25partition_config_selectorILNS1_17partition_subalgoE0EsNS0_10empty_typeEbEEZZNS1_14partition_implILS5_0ELb0ES3_jN6thrust23THRUST_200600_302600_NS6detail15normal_iteratorINSA_10device_ptrIsEEEEPS6_SG_NS0_5tupleIJSF_SF_EEENSH_IJSG_SG_EEES6_PlJ7is_evenIsEEEE10hipError_tPvRmT3_T4_T5_T6_T7_T9_mT8_P12ihipStream_tbDpT10_ENKUlT_T0_E_clISt17integral_constantIbLb1EES16_EEDaS11_S12_EUlS11_E_NS1_11comp_targetILNS1_3genE0ELNS1_11target_archE4294967295ELNS1_3gpuE0ELNS1_3repE0EEENS1_30default_config_static_selectorELNS0_4arch9wavefront6targetE1EEEvT1_
	.p2align	8
	.type	_ZN7rocprim17ROCPRIM_400000_NS6detail17trampoline_kernelINS0_14default_configENS1_25partition_config_selectorILNS1_17partition_subalgoE0EsNS0_10empty_typeEbEEZZNS1_14partition_implILS5_0ELb0ES3_jN6thrust23THRUST_200600_302600_NS6detail15normal_iteratorINSA_10device_ptrIsEEEEPS6_SG_NS0_5tupleIJSF_SF_EEENSH_IJSG_SG_EEES6_PlJ7is_evenIsEEEE10hipError_tPvRmT3_T4_T5_T6_T7_T9_mT8_P12ihipStream_tbDpT10_ENKUlT_T0_E_clISt17integral_constantIbLb1EES16_EEDaS11_S12_EUlS11_E_NS1_11comp_targetILNS1_3genE0ELNS1_11target_archE4294967295ELNS1_3gpuE0ELNS1_3repE0EEENS1_30default_config_static_selectorELNS0_4arch9wavefront6targetE1EEEvT1_,@function
_ZN7rocprim17ROCPRIM_400000_NS6detail17trampoline_kernelINS0_14default_configENS1_25partition_config_selectorILNS1_17partition_subalgoE0EsNS0_10empty_typeEbEEZZNS1_14partition_implILS5_0ELb0ES3_jN6thrust23THRUST_200600_302600_NS6detail15normal_iteratorINSA_10device_ptrIsEEEEPS6_SG_NS0_5tupleIJSF_SF_EEENSH_IJSG_SG_EEES6_PlJ7is_evenIsEEEE10hipError_tPvRmT3_T4_T5_T6_T7_T9_mT8_P12ihipStream_tbDpT10_ENKUlT_T0_E_clISt17integral_constantIbLb1EES16_EEDaS11_S12_EUlS11_E_NS1_11comp_targetILNS1_3genE0ELNS1_11target_archE4294967295ELNS1_3gpuE0ELNS1_3repE0EEENS1_30default_config_static_selectorELNS0_4arch9wavefront6targetE1EEEvT1_: ; @_ZN7rocprim17ROCPRIM_400000_NS6detail17trampoline_kernelINS0_14default_configENS1_25partition_config_selectorILNS1_17partition_subalgoE0EsNS0_10empty_typeEbEEZZNS1_14partition_implILS5_0ELb0ES3_jN6thrust23THRUST_200600_302600_NS6detail15normal_iteratorINSA_10device_ptrIsEEEEPS6_SG_NS0_5tupleIJSF_SF_EEENSH_IJSG_SG_EEES6_PlJ7is_evenIsEEEE10hipError_tPvRmT3_T4_T5_T6_T7_T9_mT8_P12ihipStream_tbDpT10_ENKUlT_T0_E_clISt17integral_constantIbLb1EES16_EEDaS11_S12_EUlS11_E_NS1_11comp_targetILNS1_3genE0ELNS1_11target_archE4294967295ELNS1_3gpuE0ELNS1_3repE0EEENS1_30default_config_static_selectorELNS0_4arch9wavefront6targetE1EEEvT1_
; %bb.0:
	.section	.rodata,"a",@progbits
	.p2align	6, 0x0
	.amdhsa_kernel _ZN7rocprim17ROCPRIM_400000_NS6detail17trampoline_kernelINS0_14default_configENS1_25partition_config_selectorILNS1_17partition_subalgoE0EsNS0_10empty_typeEbEEZZNS1_14partition_implILS5_0ELb0ES3_jN6thrust23THRUST_200600_302600_NS6detail15normal_iteratorINSA_10device_ptrIsEEEEPS6_SG_NS0_5tupleIJSF_SF_EEENSH_IJSG_SG_EEES6_PlJ7is_evenIsEEEE10hipError_tPvRmT3_T4_T5_T6_T7_T9_mT8_P12ihipStream_tbDpT10_ENKUlT_T0_E_clISt17integral_constantIbLb1EES16_EEDaS11_S12_EUlS11_E_NS1_11comp_targetILNS1_3genE0ELNS1_11target_archE4294967295ELNS1_3gpuE0ELNS1_3repE0EEENS1_30default_config_static_selectorELNS0_4arch9wavefront6targetE1EEEvT1_
		.amdhsa_group_segment_fixed_size 0
		.amdhsa_private_segment_fixed_size 0
		.amdhsa_kernarg_size 136
		.amdhsa_user_sgpr_count 2
		.amdhsa_user_sgpr_dispatch_ptr 0
		.amdhsa_user_sgpr_queue_ptr 0
		.amdhsa_user_sgpr_kernarg_segment_ptr 1
		.amdhsa_user_sgpr_dispatch_id 0
		.amdhsa_user_sgpr_kernarg_preload_length 0
		.amdhsa_user_sgpr_kernarg_preload_offset 0
		.amdhsa_user_sgpr_private_segment_size 0
		.amdhsa_uses_dynamic_stack 0
		.amdhsa_enable_private_segment 0
		.amdhsa_system_sgpr_workgroup_id_x 1
		.amdhsa_system_sgpr_workgroup_id_y 0
		.amdhsa_system_sgpr_workgroup_id_z 0
		.amdhsa_system_sgpr_workgroup_info 0
		.amdhsa_system_vgpr_workitem_id 0
		.amdhsa_next_free_vgpr 1
		.amdhsa_next_free_sgpr 0
		.amdhsa_accum_offset 4
		.amdhsa_reserve_vcc 0
		.amdhsa_float_round_mode_32 0
		.amdhsa_float_round_mode_16_64 0
		.amdhsa_float_denorm_mode_32 3
		.amdhsa_float_denorm_mode_16_64 3
		.amdhsa_dx10_clamp 1
		.amdhsa_ieee_mode 1
		.amdhsa_fp16_overflow 0
		.amdhsa_tg_split 0
		.amdhsa_exception_fp_ieee_invalid_op 0
		.amdhsa_exception_fp_denorm_src 0
		.amdhsa_exception_fp_ieee_div_zero 0
		.amdhsa_exception_fp_ieee_overflow 0
		.amdhsa_exception_fp_ieee_underflow 0
		.amdhsa_exception_fp_ieee_inexact 0
		.amdhsa_exception_int_div_zero 0
	.end_amdhsa_kernel
	.section	.text._ZN7rocprim17ROCPRIM_400000_NS6detail17trampoline_kernelINS0_14default_configENS1_25partition_config_selectorILNS1_17partition_subalgoE0EsNS0_10empty_typeEbEEZZNS1_14partition_implILS5_0ELb0ES3_jN6thrust23THRUST_200600_302600_NS6detail15normal_iteratorINSA_10device_ptrIsEEEEPS6_SG_NS0_5tupleIJSF_SF_EEENSH_IJSG_SG_EEES6_PlJ7is_evenIsEEEE10hipError_tPvRmT3_T4_T5_T6_T7_T9_mT8_P12ihipStream_tbDpT10_ENKUlT_T0_E_clISt17integral_constantIbLb1EES16_EEDaS11_S12_EUlS11_E_NS1_11comp_targetILNS1_3genE0ELNS1_11target_archE4294967295ELNS1_3gpuE0ELNS1_3repE0EEENS1_30default_config_static_selectorELNS0_4arch9wavefront6targetE1EEEvT1_,"axG",@progbits,_ZN7rocprim17ROCPRIM_400000_NS6detail17trampoline_kernelINS0_14default_configENS1_25partition_config_selectorILNS1_17partition_subalgoE0EsNS0_10empty_typeEbEEZZNS1_14partition_implILS5_0ELb0ES3_jN6thrust23THRUST_200600_302600_NS6detail15normal_iteratorINSA_10device_ptrIsEEEEPS6_SG_NS0_5tupleIJSF_SF_EEENSH_IJSG_SG_EEES6_PlJ7is_evenIsEEEE10hipError_tPvRmT3_T4_T5_T6_T7_T9_mT8_P12ihipStream_tbDpT10_ENKUlT_T0_E_clISt17integral_constantIbLb1EES16_EEDaS11_S12_EUlS11_E_NS1_11comp_targetILNS1_3genE0ELNS1_11target_archE4294967295ELNS1_3gpuE0ELNS1_3repE0EEENS1_30default_config_static_selectorELNS0_4arch9wavefront6targetE1EEEvT1_,comdat
.Lfunc_end361:
	.size	_ZN7rocprim17ROCPRIM_400000_NS6detail17trampoline_kernelINS0_14default_configENS1_25partition_config_selectorILNS1_17partition_subalgoE0EsNS0_10empty_typeEbEEZZNS1_14partition_implILS5_0ELb0ES3_jN6thrust23THRUST_200600_302600_NS6detail15normal_iteratorINSA_10device_ptrIsEEEEPS6_SG_NS0_5tupleIJSF_SF_EEENSH_IJSG_SG_EEES6_PlJ7is_evenIsEEEE10hipError_tPvRmT3_T4_T5_T6_T7_T9_mT8_P12ihipStream_tbDpT10_ENKUlT_T0_E_clISt17integral_constantIbLb1EES16_EEDaS11_S12_EUlS11_E_NS1_11comp_targetILNS1_3genE0ELNS1_11target_archE4294967295ELNS1_3gpuE0ELNS1_3repE0EEENS1_30default_config_static_selectorELNS0_4arch9wavefront6targetE1EEEvT1_, .Lfunc_end361-_ZN7rocprim17ROCPRIM_400000_NS6detail17trampoline_kernelINS0_14default_configENS1_25partition_config_selectorILNS1_17partition_subalgoE0EsNS0_10empty_typeEbEEZZNS1_14partition_implILS5_0ELb0ES3_jN6thrust23THRUST_200600_302600_NS6detail15normal_iteratorINSA_10device_ptrIsEEEEPS6_SG_NS0_5tupleIJSF_SF_EEENSH_IJSG_SG_EEES6_PlJ7is_evenIsEEEE10hipError_tPvRmT3_T4_T5_T6_T7_T9_mT8_P12ihipStream_tbDpT10_ENKUlT_T0_E_clISt17integral_constantIbLb1EES16_EEDaS11_S12_EUlS11_E_NS1_11comp_targetILNS1_3genE0ELNS1_11target_archE4294967295ELNS1_3gpuE0ELNS1_3repE0EEENS1_30default_config_static_selectorELNS0_4arch9wavefront6targetE1EEEvT1_
                                        ; -- End function
	.section	.AMDGPU.csdata,"",@progbits
; Kernel info:
; codeLenInByte = 0
; NumSgprs: 6
; NumVgprs: 0
; NumAgprs: 0
; TotalNumVgprs: 0
; ScratchSize: 0
; MemoryBound: 0
; FloatMode: 240
; IeeeMode: 1
; LDSByteSize: 0 bytes/workgroup (compile time only)
; SGPRBlocks: 0
; VGPRBlocks: 0
; NumSGPRsForWavesPerEU: 6
; NumVGPRsForWavesPerEU: 1
; AccumOffset: 4
; Occupancy: 8
; WaveLimiterHint : 0
; COMPUTE_PGM_RSRC2:SCRATCH_EN: 0
; COMPUTE_PGM_RSRC2:USER_SGPR: 2
; COMPUTE_PGM_RSRC2:TRAP_HANDLER: 0
; COMPUTE_PGM_RSRC2:TGID_X_EN: 1
; COMPUTE_PGM_RSRC2:TGID_Y_EN: 0
; COMPUTE_PGM_RSRC2:TGID_Z_EN: 0
; COMPUTE_PGM_RSRC2:TIDIG_COMP_CNT: 0
; COMPUTE_PGM_RSRC3_GFX90A:ACCUM_OFFSET: 0
; COMPUTE_PGM_RSRC3_GFX90A:TG_SPLIT: 0
	.section	.text._ZN7rocprim17ROCPRIM_400000_NS6detail17trampoline_kernelINS0_14default_configENS1_25partition_config_selectorILNS1_17partition_subalgoE0EsNS0_10empty_typeEbEEZZNS1_14partition_implILS5_0ELb0ES3_jN6thrust23THRUST_200600_302600_NS6detail15normal_iteratorINSA_10device_ptrIsEEEEPS6_SG_NS0_5tupleIJSF_SF_EEENSH_IJSG_SG_EEES6_PlJ7is_evenIsEEEE10hipError_tPvRmT3_T4_T5_T6_T7_T9_mT8_P12ihipStream_tbDpT10_ENKUlT_T0_E_clISt17integral_constantIbLb1EES16_EEDaS11_S12_EUlS11_E_NS1_11comp_targetILNS1_3genE5ELNS1_11target_archE942ELNS1_3gpuE9ELNS1_3repE0EEENS1_30default_config_static_selectorELNS0_4arch9wavefront6targetE1EEEvT1_,"axG",@progbits,_ZN7rocprim17ROCPRIM_400000_NS6detail17trampoline_kernelINS0_14default_configENS1_25partition_config_selectorILNS1_17partition_subalgoE0EsNS0_10empty_typeEbEEZZNS1_14partition_implILS5_0ELb0ES3_jN6thrust23THRUST_200600_302600_NS6detail15normal_iteratorINSA_10device_ptrIsEEEEPS6_SG_NS0_5tupleIJSF_SF_EEENSH_IJSG_SG_EEES6_PlJ7is_evenIsEEEE10hipError_tPvRmT3_T4_T5_T6_T7_T9_mT8_P12ihipStream_tbDpT10_ENKUlT_T0_E_clISt17integral_constantIbLb1EES16_EEDaS11_S12_EUlS11_E_NS1_11comp_targetILNS1_3genE5ELNS1_11target_archE942ELNS1_3gpuE9ELNS1_3repE0EEENS1_30default_config_static_selectorELNS0_4arch9wavefront6targetE1EEEvT1_,comdat
	.protected	_ZN7rocprim17ROCPRIM_400000_NS6detail17trampoline_kernelINS0_14default_configENS1_25partition_config_selectorILNS1_17partition_subalgoE0EsNS0_10empty_typeEbEEZZNS1_14partition_implILS5_0ELb0ES3_jN6thrust23THRUST_200600_302600_NS6detail15normal_iteratorINSA_10device_ptrIsEEEEPS6_SG_NS0_5tupleIJSF_SF_EEENSH_IJSG_SG_EEES6_PlJ7is_evenIsEEEE10hipError_tPvRmT3_T4_T5_T6_T7_T9_mT8_P12ihipStream_tbDpT10_ENKUlT_T0_E_clISt17integral_constantIbLb1EES16_EEDaS11_S12_EUlS11_E_NS1_11comp_targetILNS1_3genE5ELNS1_11target_archE942ELNS1_3gpuE9ELNS1_3repE0EEENS1_30default_config_static_selectorELNS0_4arch9wavefront6targetE1EEEvT1_ ; -- Begin function _ZN7rocprim17ROCPRIM_400000_NS6detail17trampoline_kernelINS0_14default_configENS1_25partition_config_selectorILNS1_17partition_subalgoE0EsNS0_10empty_typeEbEEZZNS1_14partition_implILS5_0ELb0ES3_jN6thrust23THRUST_200600_302600_NS6detail15normal_iteratorINSA_10device_ptrIsEEEEPS6_SG_NS0_5tupleIJSF_SF_EEENSH_IJSG_SG_EEES6_PlJ7is_evenIsEEEE10hipError_tPvRmT3_T4_T5_T6_T7_T9_mT8_P12ihipStream_tbDpT10_ENKUlT_T0_E_clISt17integral_constantIbLb1EES16_EEDaS11_S12_EUlS11_E_NS1_11comp_targetILNS1_3genE5ELNS1_11target_archE942ELNS1_3gpuE9ELNS1_3repE0EEENS1_30default_config_static_selectorELNS0_4arch9wavefront6targetE1EEEvT1_
	.globl	_ZN7rocprim17ROCPRIM_400000_NS6detail17trampoline_kernelINS0_14default_configENS1_25partition_config_selectorILNS1_17partition_subalgoE0EsNS0_10empty_typeEbEEZZNS1_14partition_implILS5_0ELb0ES3_jN6thrust23THRUST_200600_302600_NS6detail15normal_iteratorINSA_10device_ptrIsEEEEPS6_SG_NS0_5tupleIJSF_SF_EEENSH_IJSG_SG_EEES6_PlJ7is_evenIsEEEE10hipError_tPvRmT3_T4_T5_T6_T7_T9_mT8_P12ihipStream_tbDpT10_ENKUlT_T0_E_clISt17integral_constantIbLb1EES16_EEDaS11_S12_EUlS11_E_NS1_11comp_targetILNS1_3genE5ELNS1_11target_archE942ELNS1_3gpuE9ELNS1_3repE0EEENS1_30default_config_static_selectorELNS0_4arch9wavefront6targetE1EEEvT1_
	.p2align	8
	.type	_ZN7rocprim17ROCPRIM_400000_NS6detail17trampoline_kernelINS0_14default_configENS1_25partition_config_selectorILNS1_17partition_subalgoE0EsNS0_10empty_typeEbEEZZNS1_14partition_implILS5_0ELb0ES3_jN6thrust23THRUST_200600_302600_NS6detail15normal_iteratorINSA_10device_ptrIsEEEEPS6_SG_NS0_5tupleIJSF_SF_EEENSH_IJSG_SG_EEES6_PlJ7is_evenIsEEEE10hipError_tPvRmT3_T4_T5_T6_T7_T9_mT8_P12ihipStream_tbDpT10_ENKUlT_T0_E_clISt17integral_constantIbLb1EES16_EEDaS11_S12_EUlS11_E_NS1_11comp_targetILNS1_3genE5ELNS1_11target_archE942ELNS1_3gpuE9ELNS1_3repE0EEENS1_30default_config_static_selectorELNS0_4arch9wavefront6targetE1EEEvT1_,@function
_ZN7rocprim17ROCPRIM_400000_NS6detail17trampoline_kernelINS0_14default_configENS1_25partition_config_selectorILNS1_17partition_subalgoE0EsNS0_10empty_typeEbEEZZNS1_14partition_implILS5_0ELb0ES3_jN6thrust23THRUST_200600_302600_NS6detail15normal_iteratorINSA_10device_ptrIsEEEEPS6_SG_NS0_5tupleIJSF_SF_EEENSH_IJSG_SG_EEES6_PlJ7is_evenIsEEEE10hipError_tPvRmT3_T4_T5_T6_T7_T9_mT8_P12ihipStream_tbDpT10_ENKUlT_T0_E_clISt17integral_constantIbLb1EES16_EEDaS11_S12_EUlS11_E_NS1_11comp_targetILNS1_3genE5ELNS1_11target_archE942ELNS1_3gpuE9ELNS1_3repE0EEENS1_30default_config_static_selectorELNS0_4arch9wavefront6targetE1EEEvT1_: ; @_ZN7rocprim17ROCPRIM_400000_NS6detail17trampoline_kernelINS0_14default_configENS1_25partition_config_selectorILNS1_17partition_subalgoE0EsNS0_10empty_typeEbEEZZNS1_14partition_implILS5_0ELb0ES3_jN6thrust23THRUST_200600_302600_NS6detail15normal_iteratorINSA_10device_ptrIsEEEEPS6_SG_NS0_5tupleIJSF_SF_EEENSH_IJSG_SG_EEES6_PlJ7is_evenIsEEEE10hipError_tPvRmT3_T4_T5_T6_T7_T9_mT8_P12ihipStream_tbDpT10_ENKUlT_T0_E_clISt17integral_constantIbLb1EES16_EEDaS11_S12_EUlS11_E_NS1_11comp_targetILNS1_3genE5ELNS1_11target_archE942ELNS1_3gpuE9ELNS1_3repE0EEENS1_30default_config_static_selectorELNS0_4arch9wavefront6targetE1EEEvT1_
; %bb.0:
	s_load_dwordx2 s[2:3], s[0:1], 0x58
	s_load_dwordx4 s[24:27], s[0:1], 0x48
	s_load_dwordx2 s[34:35], s[0:1], 0x68
	v_cmp_eq_u32_e64 s[20:21], 0, v0
	s_and_saveexec_b64 s[4:5], s[20:21]
	s_cbranch_execz .LBB362_4
; %bb.1:
	s_mov_b64 s[8:9], exec
	v_mbcnt_lo_u32_b32 v1, s8, 0
	v_mbcnt_hi_u32_b32 v1, s9, v1
	v_cmp_eq_u32_e32 vcc, 0, v1
                                        ; implicit-def: $vgpr2
	s_and_saveexec_b64 s[6:7], vcc
	s_cbranch_execz .LBB362_3
; %bb.2:
	s_load_dwordx2 s[10:11], s[0:1], 0x78
	s_bcnt1_i32_b64 s8, s[8:9]
	v_mov_b32_e32 v2, 0
	v_mov_b32_e32 v3, s8
	s_waitcnt lgkmcnt(0)
	global_atomic_add v2, v2, v3, s[10:11] sc0
.LBB362_3:
	s_or_b64 exec, exec, s[6:7]
	s_waitcnt vmcnt(0)
	v_readfirstlane_b32 s6, v2
	v_mov_b32_e32 v2, 0
	s_nop 0
	v_add_u32_e32 v1, s6, v1
	ds_write_b32 v2, v1
.LBB362_4:
	s_or_b64 exec, exec, s[4:5]
	v_mov_b32_e32 v3, 0
	s_load_dwordx4 s[36:39], s[0:1], 0x8
	s_load_dwordx4 s[28:31], s[0:1], 0x28
	s_load_dword s4, s[0:1], 0x70
	s_waitcnt lgkmcnt(0)
	s_barrier
	ds_read_b32 v1, v3
	s_waitcnt lgkmcnt(0)
	s_barrier
	global_load_dwordx2 v[4:5], v3, s[26:27]
	v_mov_b32_e32 v7, s3
	s_lshl_b64 s[0:1], s[38:39], 1
	s_movk_i32 s3, 0x3c00
	s_add_u32 s0, s36, s0
	v_mul_lo_u32 v2, v1, s3
	s_mul_i32 s3, s4, 0x3c00
	s_addc_u32 s1, s37, s1
	s_add_i32 s5, s4, -1
	s_add_i32 s4, s3, s38
	s_sub_i32 s33, s2, s4
	s_addk_i32 s33, 0x3c00
	v_mov_b32_e32 v6, s2
	s_add_u32 s2, s38, s3
	v_readfirstlane_b32 s40, v1
	s_addc_u32 s3, s39, 0
	s_cmp_eq_u32 s40, s5
	s_cselect_b64 s[22:23], -1, 0
	s_cmp_lg_u32 s40, s5
	v_cmp_lt_u64_e32 vcc, s[2:3], v[6:7]
	s_cselect_b64 s[2:3], -1, 0
	s_or_b64 s[4:5], vcc, s[2:3]
	v_lshlrev_b64 v[6:7], 1, v[2:3]
	v_lshl_add_u64 v[8:9], s[0:1], 0, v[6:7]
	s_mov_b64 s[0:1], -1
	s_and_b64 vcc, exec, s[4:5]
	v_lshlrev_b32_e32 v2, 1, v0
	s_cbranch_vccz .LBB362_6
; %bb.5:
	v_lshl_add_u64 v[10:11], v[8:9], 0, v[2:3]
	v_add_co_u32_e32 v12, vcc, 0x1000, v10
	s_mov_b64 s[0:1], 0
	s_nop 0
	v_addc_co_u32_e32 v13, vcc, 0, v11, vcc
	flat_load_ushort v1, v[10:11]
	flat_load_ushort v3, v[10:11] offset:1024
	flat_load_ushort v16, v[10:11] offset:2048
	flat_load_ushort v17, v[10:11] offset:3072
	flat_load_ushort v18, v[12:13]
	flat_load_ushort v19, v[12:13] offset:1024
	flat_load_ushort v20, v[12:13] offset:2048
	flat_load_ushort v21, v[12:13] offset:3072
	v_add_co_u32_e32 v12, vcc, 0x2000, v10
	s_nop 1
	v_addc_co_u32_e32 v13, vcc, 0, v11, vcc
	v_add_co_u32_e32 v14, vcc, 0x3000, v10
	s_nop 1
	v_addc_co_u32_e32 v15, vcc, 0, v11, vcc
	flat_load_ushort v22, v[12:13]
	flat_load_ushort v23, v[12:13] offset:1024
	flat_load_ushort v24, v[12:13] offset:2048
	flat_load_ushort v25, v[12:13] offset:3072
	flat_load_ushort v26, v[14:15]
	flat_load_ushort v27, v[14:15] offset:1024
	flat_load_ushort v28, v[14:15] offset:2048
	flat_load_ushort v29, v[14:15] offset:3072
	v_add_co_u32_e32 v12, vcc, 0x4000, v10
	s_nop 1
	v_addc_co_u32_e32 v13, vcc, 0, v11, vcc
	v_add_co_u32_e32 v14, vcc, 0x5000, v10
	s_nop 1
	v_addc_co_u32_e32 v15, vcc, 0, v11, vcc
	flat_load_ushort v30, v[12:13]
	flat_load_ushort v31, v[12:13] offset:1024
	flat_load_ushort v32, v[12:13] offset:2048
	flat_load_ushort v33, v[12:13] offset:3072
	flat_load_ushort v34, v[14:15]
	flat_load_ushort v35, v[14:15] offset:1024
	flat_load_ushort v36, v[14:15] offset:2048
	flat_load_ushort v37, v[14:15] offset:3072
	v_add_co_u32_e32 v12, vcc, 0x6000, v10
	s_nop 1
	v_addc_co_u32_e32 v13, vcc, 0, v11, vcc
	v_add_co_u32_e32 v10, vcc, 0x7000, v10
	s_nop 1
	v_addc_co_u32_e32 v11, vcc, 0, v11, vcc
	flat_load_ushort v14, v[12:13]
	flat_load_ushort v15, v[12:13] offset:1024
	flat_load_ushort v38, v[12:13] offset:2048
	flat_load_ushort v39, v[12:13] offset:3072
	flat_load_ushort v40, v[10:11]
	flat_load_ushort v41, v[10:11] offset:1024
	s_waitcnt vmcnt(0) lgkmcnt(0)
	ds_write_b16 v2, v1
	ds_write_b16 v2, v3 offset:1024
	ds_write_b16 v2, v16 offset:2048
	;; [unrolled: 1-line block ×29, first 2 shown]
	s_waitcnt lgkmcnt(0)
	s_barrier
.LBB362_6:
	s_andn2_b64 vcc, exec, s[0:1]
	v_cmp_gt_u32_e64 s[0:1], s33, v0
	s_cbranch_vccnz .LBB362_68
; %bb.7:
                                        ; implicit-def: $vgpr1
	s_and_saveexec_b64 s[2:3], s[0:1]
	s_cbranch_execz .LBB362_9
; %bb.8:
	v_mov_b32_e32 v3, 0
	v_lshl_add_u64 v[10:11], v[8:9], 0, v[2:3]
	flat_load_ushort v1, v[10:11]
.LBB362_9:
	s_or_b64 exec, exec, s[2:3]
	v_or_b32_e32 v3, 0x200, v0
	v_cmp_gt_u32_e32 vcc, s33, v3
                                        ; implicit-def: $vgpr10
	s_and_saveexec_b64 s[0:1], vcc
	s_cbranch_execz .LBB362_11
; %bb.10:
	v_mov_b32_e32 v3, 0
	v_lshl_add_u64 v[10:11], v[8:9], 0, v[2:3]
	flat_load_ushort v10, v[10:11] offset:1024
.LBB362_11:
	s_or_b64 exec, exec, s[0:1]
	v_or_b32_e32 v3, 0x400, v0
	v_cmp_gt_u32_e32 vcc, s33, v3
                                        ; implicit-def: $vgpr11
	s_and_saveexec_b64 s[0:1], vcc
	s_cbranch_execz .LBB362_13
; %bb.12:
	v_mov_b32_e32 v3, 0
	v_lshl_add_u64 v[12:13], v[8:9], 0, v[2:3]
	flat_load_ushort v11, v[12:13] offset:2048
.LBB362_13:
	s_or_b64 exec, exec, s[0:1]
	v_or_b32_e32 v3, 0x600, v0
	v_cmp_gt_u32_e32 vcc, s33, v3
                                        ; implicit-def: $vgpr3
	s_and_saveexec_b64 s[0:1], vcc
	s_cbranch_execz .LBB362_15
; %bb.14:
	v_mov_b32_e32 v3, 0
	v_lshl_add_u64 v[12:13], v[8:9], 0, v[2:3]
	flat_load_ushort v3, v[12:13] offset:3072
.LBB362_15:
	s_or_b64 exec, exec, s[0:1]
	v_or_b32_e32 v13, 0x800, v0
	v_cmp_gt_u32_e32 vcc, s33, v13
                                        ; implicit-def: $vgpr12
	s_and_saveexec_b64 s[0:1], vcc
	s_cbranch_execz .LBB362_17
; %bb.16:
	v_lshlrev_b32_e32 v12, 1, v13
	v_mov_b32_e32 v13, 0
	v_lshl_add_u64 v[12:13], v[8:9], 0, v[12:13]
	flat_load_ushort v12, v[12:13]
.LBB362_17:
	s_or_b64 exec, exec, s[0:1]
	v_or_b32_e32 v14, 0xa00, v0
	v_cmp_gt_u32_e32 vcc, s33, v14
                                        ; implicit-def: $vgpr13
	s_and_saveexec_b64 s[0:1], vcc
	s_cbranch_execz .LBB362_19
; %bb.18:
	v_lshlrev_b32_e32 v14, 1, v14
	v_mov_b32_e32 v15, 0
	v_lshl_add_u64 v[14:15], v[8:9], 0, v[14:15]
	flat_load_ushort v13, v[14:15]
.LBB362_19:
	s_or_b64 exec, exec, s[0:1]
	v_or_b32_e32 v15, 0xc00, v0
	v_cmp_gt_u32_e32 vcc, s33, v15
                                        ; implicit-def: $vgpr14
	s_and_saveexec_b64 s[0:1], vcc
	s_cbranch_execz .LBB362_21
; %bb.20:
	v_lshlrev_b32_e32 v14, 1, v15
	v_mov_b32_e32 v15, 0
	v_lshl_add_u64 v[14:15], v[8:9], 0, v[14:15]
	flat_load_ushort v14, v[14:15]
.LBB362_21:
	s_or_b64 exec, exec, s[0:1]
	v_or_b32_e32 v16, 0xe00, v0
	v_cmp_gt_u32_e32 vcc, s33, v16
                                        ; implicit-def: $vgpr15
	s_and_saveexec_b64 s[0:1], vcc
	s_cbranch_execz .LBB362_23
; %bb.22:
	v_lshlrev_b32_e32 v16, 1, v16
	v_mov_b32_e32 v17, 0
	v_lshl_add_u64 v[16:17], v[8:9], 0, v[16:17]
	flat_load_ushort v15, v[16:17]
.LBB362_23:
	s_or_b64 exec, exec, s[0:1]
	v_or_b32_e32 v17, 0x1000, v0
	v_cmp_gt_u32_e32 vcc, s33, v17
                                        ; implicit-def: $vgpr16
	s_and_saveexec_b64 s[0:1], vcc
	s_cbranch_execz .LBB362_25
; %bb.24:
	v_lshlrev_b32_e32 v16, 1, v17
	v_mov_b32_e32 v17, 0
	v_lshl_add_u64 v[16:17], v[8:9], 0, v[16:17]
	flat_load_ushort v16, v[16:17]
.LBB362_25:
	s_or_b64 exec, exec, s[0:1]
	v_or_b32_e32 v18, 0x1200, v0
	v_cmp_gt_u32_e32 vcc, s33, v18
                                        ; implicit-def: $vgpr17
	s_and_saveexec_b64 s[0:1], vcc
	s_cbranch_execz .LBB362_27
; %bb.26:
	v_lshlrev_b32_e32 v18, 1, v18
	v_mov_b32_e32 v19, 0
	v_lshl_add_u64 v[18:19], v[8:9], 0, v[18:19]
	flat_load_ushort v17, v[18:19]
.LBB362_27:
	s_or_b64 exec, exec, s[0:1]
	v_or_b32_e32 v19, 0x1400, v0
	v_cmp_gt_u32_e32 vcc, s33, v19
                                        ; implicit-def: $vgpr18
	s_and_saveexec_b64 s[0:1], vcc
	s_cbranch_execz .LBB362_29
; %bb.28:
	v_lshlrev_b32_e32 v18, 1, v19
	v_mov_b32_e32 v19, 0
	v_lshl_add_u64 v[18:19], v[8:9], 0, v[18:19]
	flat_load_ushort v18, v[18:19]
.LBB362_29:
	s_or_b64 exec, exec, s[0:1]
	v_or_b32_e32 v20, 0x1600, v0
	v_cmp_gt_u32_e32 vcc, s33, v20
                                        ; implicit-def: $vgpr19
	s_and_saveexec_b64 s[0:1], vcc
	s_cbranch_execz .LBB362_31
; %bb.30:
	v_lshlrev_b32_e32 v20, 1, v20
	v_mov_b32_e32 v21, 0
	v_lshl_add_u64 v[20:21], v[8:9], 0, v[20:21]
	flat_load_ushort v19, v[20:21]
.LBB362_31:
	s_or_b64 exec, exec, s[0:1]
	v_or_b32_e32 v21, 0x1800, v0
	v_cmp_gt_u32_e32 vcc, s33, v21
                                        ; implicit-def: $vgpr20
	s_and_saveexec_b64 s[0:1], vcc
	s_cbranch_execz .LBB362_33
; %bb.32:
	v_lshlrev_b32_e32 v20, 1, v21
	v_mov_b32_e32 v21, 0
	v_lshl_add_u64 v[20:21], v[8:9], 0, v[20:21]
	flat_load_ushort v20, v[20:21]
.LBB362_33:
	s_or_b64 exec, exec, s[0:1]
	v_or_b32_e32 v22, 0x1a00, v0
	v_cmp_gt_u32_e32 vcc, s33, v22
                                        ; implicit-def: $vgpr21
	s_and_saveexec_b64 s[0:1], vcc
	s_cbranch_execz .LBB362_35
; %bb.34:
	v_lshlrev_b32_e32 v22, 1, v22
	v_mov_b32_e32 v23, 0
	v_lshl_add_u64 v[22:23], v[8:9], 0, v[22:23]
	flat_load_ushort v21, v[22:23]
.LBB362_35:
	s_or_b64 exec, exec, s[0:1]
	v_or_b32_e32 v23, 0x1c00, v0
	v_cmp_gt_u32_e32 vcc, s33, v23
                                        ; implicit-def: $vgpr22
	s_and_saveexec_b64 s[0:1], vcc
	s_cbranch_execz .LBB362_37
; %bb.36:
	v_lshlrev_b32_e32 v22, 1, v23
	v_mov_b32_e32 v23, 0
	v_lshl_add_u64 v[22:23], v[8:9], 0, v[22:23]
	flat_load_ushort v22, v[22:23]
.LBB362_37:
	s_or_b64 exec, exec, s[0:1]
	v_or_b32_e32 v24, 0x1e00, v0
	v_cmp_gt_u32_e32 vcc, s33, v24
                                        ; implicit-def: $vgpr23
	s_and_saveexec_b64 s[0:1], vcc
	s_cbranch_execz .LBB362_39
; %bb.38:
	v_lshlrev_b32_e32 v24, 1, v24
	v_mov_b32_e32 v25, 0
	v_lshl_add_u64 v[24:25], v[8:9], 0, v[24:25]
	flat_load_ushort v23, v[24:25]
.LBB362_39:
	s_or_b64 exec, exec, s[0:1]
	v_or_b32_e32 v25, 0x2000, v0
	v_cmp_gt_u32_e32 vcc, s33, v25
                                        ; implicit-def: $vgpr24
	s_and_saveexec_b64 s[0:1], vcc
	s_cbranch_execz .LBB362_41
; %bb.40:
	v_lshlrev_b32_e32 v24, 1, v25
	v_mov_b32_e32 v25, 0
	v_lshl_add_u64 v[24:25], v[8:9], 0, v[24:25]
	flat_load_ushort v24, v[24:25]
.LBB362_41:
	s_or_b64 exec, exec, s[0:1]
	v_or_b32_e32 v26, 0x2200, v0
	v_cmp_gt_u32_e32 vcc, s33, v26
                                        ; implicit-def: $vgpr25
	s_and_saveexec_b64 s[0:1], vcc
	s_cbranch_execz .LBB362_43
; %bb.42:
	v_lshlrev_b32_e32 v26, 1, v26
	v_mov_b32_e32 v27, 0
	v_lshl_add_u64 v[26:27], v[8:9], 0, v[26:27]
	flat_load_ushort v25, v[26:27]
.LBB362_43:
	s_or_b64 exec, exec, s[0:1]
	v_or_b32_e32 v27, 0x2400, v0
	v_cmp_gt_u32_e32 vcc, s33, v27
                                        ; implicit-def: $vgpr26
	s_and_saveexec_b64 s[0:1], vcc
	s_cbranch_execz .LBB362_45
; %bb.44:
	v_lshlrev_b32_e32 v26, 1, v27
	v_mov_b32_e32 v27, 0
	v_lshl_add_u64 v[26:27], v[8:9], 0, v[26:27]
	flat_load_ushort v26, v[26:27]
.LBB362_45:
	s_or_b64 exec, exec, s[0:1]
	v_or_b32_e32 v28, 0x2600, v0
	v_cmp_gt_u32_e32 vcc, s33, v28
                                        ; implicit-def: $vgpr27
	s_and_saveexec_b64 s[0:1], vcc
	s_cbranch_execz .LBB362_47
; %bb.46:
	v_lshlrev_b32_e32 v28, 1, v28
	v_mov_b32_e32 v29, 0
	v_lshl_add_u64 v[28:29], v[8:9], 0, v[28:29]
	flat_load_ushort v27, v[28:29]
.LBB362_47:
	s_or_b64 exec, exec, s[0:1]
	v_or_b32_e32 v29, 0x2800, v0
	v_cmp_gt_u32_e32 vcc, s33, v29
                                        ; implicit-def: $vgpr28
	s_and_saveexec_b64 s[0:1], vcc
	s_cbranch_execz .LBB362_49
; %bb.48:
	v_lshlrev_b32_e32 v28, 1, v29
	v_mov_b32_e32 v29, 0
	v_lshl_add_u64 v[28:29], v[8:9], 0, v[28:29]
	flat_load_ushort v28, v[28:29]
.LBB362_49:
	s_or_b64 exec, exec, s[0:1]
	v_or_b32_e32 v30, 0x2a00, v0
	v_cmp_gt_u32_e32 vcc, s33, v30
                                        ; implicit-def: $vgpr29
	s_and_saveexec_b64 s[0:1], vcc
	s_cbranch_execz .LBB362_51
; %bb.50:
	v_lshlrev_b32_e32 v30, 1, v30
	v_mov_b32_e32 v31, 0
	v_lshl_add_u64 v[30:31], v[8:9], 0, v[30:31]
	flat_load_ushort v29, v[30:31]
.LBB362_51:
	s_or_b64 exec, exec, s[0:1]
	v_or_b32_e32 v31, 0x2c00, v0
	v_cmp_gt_u32_e32 vcc, s33, v31
                                        ; implicit-def: $vgpr30
	s_and_saveexec_b64 s[0:1], vcc
	s_cbranch_execz .LBB362_53
; %bb.52:
	v_lshlrev_b32_e32 v30, 1, v31
	v_mov_b32_e32 v31, 0
	v_lshl_add_u64 v[30:31], v[8:9], 0, v[30:31]
	flat_load_ushort v30, v[30:31]
.LBB362_53:
	s_or_b64 exec, exec, s[0:1]
	v_or_b32_e32 v32, 0x2e00, v0
	v_cmp_gt_u32_e32 vcc, s33, v32
                                        ; implicit-def: $vgpr31
	s_and_saveexec_b64 s[0:1], vcc
	s_cbranch_execz .LBB362_55
; %bb.54:
	v_lshlrev_b32_e32 v32, 1, v32
	v_mov_b32_e32 v33, 0
	v_lshl_add_u64 v[32:33], v[8:9], 0, v[32:33]
	flat_load_ushort v31, v[32:33]
.LBB362_55:
	s_or_b64 exec, exec, s[0:1]
	v_or_b32_e32 v33, 0x3000, v0
	v_cmp_gt_u32_e32 vcc, s33, v33
                                        ; implicit-def: $vgpr32
	s_and_saveexec_b64 s[0:1], vcc
	s_cbranch_execz .LBB362_57
; %bb.56:
	v_lshlrev_b32_e32 v32, 1, v33
	v_mov_b32_e32 v33, 0
	v_lshl_add_u64 v[32:33], v[8:9], 0, v[32:33]
	flat_load_ushort v32, v[32:33]
.LBB362_57:
	s_or_b64 exec, exec, s[0:1]
	v_or_b32_e32 v34, 0x3200, v0
	v_cmp_gt_u32_e32 vcc, s33, v34
                                        ; implicit-def: $vgpr33
	s_and_saveexec_b64 s[0:1], vcc
	s_cbranch_execz .LBB362_59
; %bb.58:
	v_lshlrev_b32_e32 v34, 1, v34
	v_mov_b32_e32 v35, 0
	v_lshl_add_u64 v[34:35], v[8:9], 0, v[34:35]
	flat_load_ushort v33, v[34:35]
.LBB362_59:
	s_or_b64 exec, exec, s[0:1]
	v_or_b32_e32 v35, 0x3400, v0
	v_cmp_gt_u32_e32 vcc, s33, v35
                                        ; implicit-def: $vgpr34
	s_and_saveexec_b64 s[0:1], vcc
	s_cbranch_execz .LBB362_61
; %bb.60:
	v_lshlrev_b32_e32 v34, 1, v35
	v_mov_b32_e32 v35, 0
	v_lshl_add_u64 v[34:35], v[8:9], 0, v[34:35]
	flat_load_ushort v34, v[34:35]
.LBB362_61:
	s_or_b64 exec, exec, s[0:1]
	v_or_b32_e32 v36, 0x3600, v0
	v_cmp_gt_u32_e32 vcc, s33, v36
                                        ; implicit-def: $vgpr35
	s_and_saveexec_b64 s[0:1], vcc
	s_cbranch_execz .LBB362_63
; %bb.62:
	v_lshlrev_b32_e32 v36, 1, v36
	v_mov_b32_e32 v37, 0
	v_lshl_add_u64 v[36:37], v[8:9], 0, v[36:37]
	flat_load_ushort v35, v[36:37]
.LBB362_63:
	s_or_b64 exec, exec, s[0:1]
	v_or_b32_e32 v37, 0x3800, v0
	v_cmp_gt_u32_e32 vcc, s33, v37
                                        ; implicit-def: $vgpr36
	s_and_saveexec_b64 s[0:1], vcc
	s_cbranch_execz .LBB362_65
; %bb.64:
	v_lshlrev_b32_e32 v36, 1, v37
	v_mov_b32_e32 v37, 0
	v_lshl_add_u64 v[36:37], v[8:9], 0, v[36:37]
	flat_load_ushort v36, v[36:37]
.LBB362_65:
	s_or_b64 exec, exec, s[0:1]
	v_or_b32_e32 v38, 0x3a00, v0
	v_cmp_gt_u32_e32 vcc, s33, v38
                                        ; implicit-def: $vgpr37
	s_and_saveexec_b64 s[0:1], vcc
	s_cbranch_execz .LBB362_67
; %bb.66:
	v_lshlrev_b32_e32 v38, 1, v38
	v_mov_b32_e32 v39, 0
	v_lshl_add_u64 v[8:9], v[8:9], 0, v[38:39]
	flat_load_ushort v37, v[8:9]
.LBB362_67:
	s_or_b64 exec, exec, s[0:1]
	s_waitcnt vmcnt(0) lgkmcnt(0)
	ds_write_b16 v2, v1
	ds_write_b16 v2, v10 offset:1024
	ds_write_b16 v2, v11 offset:2048
	;; [unrolled: 1-line block ×29, first 2 shown]
	s_waitcnt lgkmcnt(0)
	s_barrier
.LBB362_68:
	v_mul_u32_u24_e32 v44, 30, v0
	v_lshlrev_b32_e32 v8, 1, v44
	ds_read_b32 v3, v8 offset:56
	ds_read2_b32 v[10:11], v8 offset0:12 offset1:13
	ds_read2_b32 v[12:13], v8 offset0:10 offset1:11
	;; [unrolled: 1-line block ×3, first 2 shown]
	ds_read2_b32 v[22:23], v8 offset1:1
	ds_read2_b32 v[20:21], v8 offset0:2 offset1:3
	ds_read2_b32 v[18:19], v8 offset0:4 offset1:5
	;; [unrolled: 1-line block ×3, first 2 shown]
	s_waitcnt lgkmcnt(7)
	v_lshrrev_b32_e32 v1, 16, v3
	s_waitcnt lgkmcnt(6)
	v_lshrrev_b32_e32 v33, 16, v10
	v_lshrrev_b32_e32 v32, 16, v11
	s_waitcnt lgkmcnt(5)
	v_lshrrev_b32_e32 v35, 16, v12
	;; [unrolled: 3-line block ×6, first 2 shown]
	v_lshrrev_b32_e32 v38, 16, v17
	v_lshrrev_b32_e32 v37, 16, v14
	;; [unrolled: 1-line block ×3, first 2 shown]
	v_cndmask_b32_e64 v8, 0, 1, s[4:5]
	v_cmp_ne_u32_e64 s[2:3], 1, v8
	s_andn2_b64 vcc, exec, s[4:5]
	v_xor_b32_e32 v96, -1, v22
	v_xor_b32_e32 v95, -1, v46
	;; [unrolled: 1-line block ×30, first 2 shown]
	s_barrier
	s_cbranch_vccnz .LBB362_70
; %bb.69:
	v_and_b32_e32 v76, 1, v96
	v_and_b32_e32 v75, 1, v95
	;; [unrolled: 1-line block ×30, first 2 shown]
	s_cbranch_execz .LBB362_71
	s_branch .LBB362_72
.LBB362_70:
                                        ; implicit-def: $vgpr76
                                        ; implicit-def: $vgpr75
                                        ; implicit-def: $vgpr74
                                        ; implicit-def: $vgpr73
                                        ; implicit-def: $vgpr72
                                        ; implicit-def: $vgpr71
                                        ; implicit-def: $vgpr70
                                        ; implicit-def: $vgpr69
                                        ; implicit-def: $vgpr68
                                        ; implicit-def: $vgpr67
                                        ; implicit-def: $vgpr66
                                        ; implicit-def: $vgpr65
                                        ; implicit-def: $vgpr64
                                        ; implicit-def: $vgpr63
                                        ; implicit-def: $vgpr62
                                        ; implicit-def: $vgpr61
                                        ; implicit-def: $vgpr60
                                        ; implicit-def: $vgpr59
                                        ; implicit-def: $vgpr58
                                        ; implicit-def: $vgpr57
                                        ; implicit-def: $vgpr56
                                        ; implicit-def: $vgpr55
                                        ; implicit-def: $vgpr54
                                        ; implicit-def: $vgpr53
                                        ; implicit-def: $vgpr52
                                        ; implicit-def: $vgpr51
                                        ; implicit-def: $vgpr50
                                        ; implicit-def: $vgpr49
                                        ; implicit-def: $vgpr47
                                        ; implicit-def: $vgpr48
.LBB362_71:
	v_or_b32_e32 v56, 1, v44
	v_cmp_gt_u32_e32 vcc, s33, v44
	v_add_u32_e32 v57, 2, v44
	v_add_u32_e32 v58, 3, v44
	v_cndmask_b32_e64 v66, 0, 1, vcc
	v_cmp_gt_u32_e32 vcc, s33, v56
	v_add_u32_e32 v59, 4, v44
	v_add_u32_e32 v60, 5, v44
	v_cndmask_b32_e64 v56, 0, 1, vcc
	v_cmp_gt_u32_e32 vcc, s33, v57
	v_and_b32_e32 v75, v56, v95
	v_add_u32_e32 v61, 6, v44
	v_cndmask_b32_e64 v56, 0, 1, vcc
	v_cmp_gt_u32_e32 vcc, s33, v58
	v_and_b32_e32 v74, v56, v94
	;; [unrolled: 4-line block ×9, first 2 shown]
	v_and_b32_e32 v76, v66, v96
	v_cndmask_b32_e64 v56, 0, 1, vcc
	v_cmp_gt_u32_e32 vcc, s33, v97
	v_and_b32_e32 v66, v56, v86
	v_add_u32_e32 v100, 14, v44
	v_cndmask_b32_e64 v56, 0, 1, vcc
	v_cmp_gt_u32_e32 vcc, s33, v98
	v_and_b32_e32 v65, v56, v85
	v_add_u32_e32 v101, 15, v44
	;; [unrolled: 4-line block ×16, first 2 shown]
	v_cndmask_b32_e64 v26, 0, 1, vcc
	v_cmp_gt_u32_e32 vcc, s33, v49
	v_and_b32_e32 v50, v26, v25
	s_nop 0
	v_cndmask_b32_e64 v25, 0, 1, vcc
	v_cmp_gt_u32_e32 vcc, s33, v47
	v_and_b32_e32 v49, v25, v24
	s_nop 0
	;; [unrolled: 4-line block ×3, first 2 shown]
	v_cndmask_b32_e64 v9, 0, 1, vcc
	v_and_b32_e32 v48, v9, v8
.LBB362_72:
	v_and_b32_e32 v103, 0xff, v50
	v_and_b32_e32 v104, 0xff, v49
	v_add_u32_sdwa v8, v47, v48 dst_sel:DWORD dst_unused:UNUSED_PAD src0_sel:BYTE_0 src1_sel:BYTE_0
	v_and_b32_e32 v101, 0xff, v52
	v_and_b32_e32 v102, 0xff, v51
	v_add3_u32 v8, v8, v104, v103
	v_and_b32_e32 v99, 0xff, v54
	v_and_b32_e32 v100, 0xff, v53
	v_add3_u32 v8, v8, v102, v101
	;; [unrolled: 3-line block ×13, first 2 shown]
	v_add3_u32 v107, v8, v78, v77
	v_mbcnt_lo_u32_b32 v8, -1, 0
	v_mbcnt_hi_u32_b32 v105, -1, v8
	v_and_b32_e32 v8, 15, v105
	v_cmp_eq_u32_e64 s[16:17], 0, v8
	v_cmp_lt_u32_e64 s[14:15], 1, v8
	v_cmp_lt_u32_e64 s[12:13], 3, v8
	;; [unrolled: 1-line block ×3, first 2 shown]
	v_and_b32_e32 v8, 16, v105
	v_cmp_eq_u32_e64 s[8:9], 0, v8
	v_or_b32_e32 v8, 63, v0
	s_cmp_lg_u32 s40, 0
	v_cmp_lt_u32_e64 s[4:5], 31, v105
	v_lshrrev_b32_e32 v106, 6, v0
	v_cmp_eq_u32_e64 s[6:7], v8, v0
	s_cbranch_scc0 .LBB362_103
; %bb.73:
	v_mov_b32_dpp v8, v107 row_shr:1 row_mask:0xf bank_mask:0xf
	v_cndmask_b32_e64 v8, v8, 0, s[16:17]
	v_add_u32_e32 v8, v8, v107
	s_nop 1
	v_mov_b32_dpp v9, v8 row_shr:2 row_mask:0xf bank_mask:0xf
	v_cndmask_b32_e64 v9, 0, v9, s[14:15]
	v_add_u32_e32 v8, v8, v9
	s_nop 1
	v_mov_b32_dpp v9, v8 row_shr:4 row_mask:0xf bank_mask:0xf
	v_cndmask_b32_e64 v9, 0, v9, s[12:13]
	v_add_u32_e32 v8, v8, v9
	s_nop 1
	v_mov_b32_dpp v9, v8 row_shr:8 row_mask:0xf bank_mask:0xf
	v_cndmask_b32_e64 v9, 0, v9, s[10:11]
	v_add_u32_e32 v8, v8, v9
	s_nop 1
	v_mov_b32_dpp v9, v8 row_bcast:15 row_mask:0xf bank_mask:0xf
	v_cndmask_b32_e64 v9, v9, 0, s[8:9]
	v_add_u32_e32 v8, v8, v9
	s_nop 1
	v_mov_b32_dpp v9, v8 row_bcast:31 row_mask:0xf bank_mask:0xf
	v_cndmask_b32_e64 v9, 0, v9, s[4:5]
	v_add_u32_e32 v8, v8, v9
	s_and_saveexec_b64 s[0:1], s[6:7]
	s_cbranch_execz .LBB362_75
; %bb.74:
	v_lshlrev_b32_e32 v9, 2, v106
	ds_write_b32 v9, v8
.LBB362_75:
	s_or_b64 exec, exec, s[0:1]
	v_cmp_gt_u32_e32 vcc, 8, v0
	s_waitcnt lgkmcnt(0)
	s_barrier
	s_and_saveexec_b64 s[0:1], vcc
	s_cbranch_execz .LBB362_77
; %bb.76:
	v_lshlrev_b32_e32 v9, 2, v0
	ds_read_b32 v24, v9
	v_and_b32_e32 v25, 7, v105
	v_cmp_ne_u32_e32 vcc, 0, v25
	s_waitcnt lgkmcnt(0)
	v_mov_b32_dpp v26, v24 row_shr:1 row_mask:0xf bank_mask:0xf
	v_cndmask_b32_e32 v26, 0, v26, vcc
	v_add_u32_e32 v24, v26, v24
	v_cmp_lt_u32_e32 vcc, 1, v25
	s_nop 0
	v_mov_b32_dpp v26, v24 row_shr:2 row_mask:0xf bank_mask:0xf
	v_cndmask_b32_e32 v26, 0, v26, vcc
	v_add_u32_e32 v24, v24, v26
	v_cmp_lt_u32_e32 vcc, 3, v25
	s_nop 0
	v_mov_b32_dpp v26, v24 row_shr:4 row_mask:0xf bank_mask:0xf
	v_cndmask_b32_e32 v25, 0, v26, vcc
	v_add_u32_e32 v24, v24, v25
	ds_write_b32 v9, v24
.LBB362_77:
	s_or_b64 exec, exec, s[0:1]
	v_cmp_gt_u32_e32 vcc, 64, v0
	v_cmp_lt_u32_e64 s[0:1], 63, v0
	s_waitcnt lgkmcnt(0)
	s_barrier
	s_waitcnt lgkmcnt(0)
                                        ; implicit-def: $vgpr108
	s_and_saveexec_b64 s[18:19], s[0:1]
	s_cbranch_execz .LBB362_79
; %bb.78:
	v_lshl_add_u32 v9, v106, 2, -4
	ds_read_b32 v108, v9
	s_waitcnt lgkmcnt(0)
	v_add_u32_e32 v8, v108, v8
.LBB362_79:
	s_or_b64 exec, exec, s[18:19]
	v_add_u32_e32 v9, -1, v105
	v_and_b32_e32 v24, 64, v105
	v_cmp_lt_i32_e64 s[0:1], v9, v24
	v_cmp_eq_u32_e64 s[18:19], 0, v105
	s_nop 0
	v_cndmask_b32_e64 v9, v9, v105, s[0:1]
	v_lshlrev_b32_e32 v9, 2, v9
	ds_bpermute_b32 v109, v9, v8
	s_and_saveexec_b64 s[0:1], vcc
	s_cbranch_execz .LBB362_102
; %bb.80:
	v_mov_b32_e32 v31, 0
	ds_read_b32 v8, v31 offset:28
	s_and_saveexec_b64 s[26:27], s[18:19]
	s_cbranch_execz .LBB362_82
; %bb.81:
	s_add_i32 s36, s40, 64
	s_mov_b32 s37, 0
	s_lshl_b64 s[36:37], s[36:37], 3
	s_add_u32 s36, s34, s36
	v_mov_b32_e32 v9, 1
	s_addc_u32 s37, s35, s37
	s_waitcnt lgkmcnt(0)
	global_store_dwordx2 v31, v[8:9], s[36:37] sc1
.LBB362_82:
	s_or_b64 exec, exec, s[26:27]
	v_xad_u32 v24, v105, -1, s40
	v_add_u32_e32 v30, 64, v24
	v_lshl_add_u64 v[26:27], v[30:31], 3, s[34:35]
	global_load_dwordx2 v[28:29], v[26:27], off sc1
	s_waitcnt vmcnt(0)
	v_cmp_eq_u16_sdwa s[36:37], v29, v31 src0_sel:BYTE_0 src1_sel:DWORD
	s_and_saveexec_b64 s[26:27], s[36:37]
	s_cbranch_execz .LBB362_88
; %bb.83:
	s_mov_b32 s41, 1
	s_mov_b64 s[36:37], 0
	v_mov_b32_e32 v9, 0
.LBB362_84:                             ; =>This Loop Header: Depth=1
                                        ;     Child Loop BB362_85 Depth 2
	s_max_u32 s42, s41, 1
.LBB362_85:                             ;   Parent Loop BB362_84 Depth=1
                                        ; =>  This Inner Loop Header: Depth=2
	s_add_i32 s42, s42, -1
	s_cmp_eq_u32 s42, 0
	s_sleep 1
	s_cbranch_scc0 .LBB362_85
; %bb.86:                               ;   in Loop: Header=BB362_84 Depth=1
	global_load_dwordx2 v[28:29], v[26:27], off sc1
	s_cmp_lt_u32 s41, 32
	s_cselect_b64 s[42:43], -1, 0
	s_cmp_lg_u64 s[42:43], 0
	s_addc_u32 s41, s41, 0
	s_waitcnt vmcnt(0)
	v_cmp_ne_u16_sdwa s[42:43], v29, v9 src0_sel:BYTE_0 src1_sel:DWORD
	s_or_b64 s[36:37], s[42:43], s[36:37]
	s_andn2_b64 exec, exec, s[36:37]
	s_cbranch_execnz .LBB362_84
; %bb.87:
	s_or_b64 exec, exec, s[36:37]
.LBB362_88:
	s_or_b64 exec, exec, s[26:27]
	v_and_b32_e32 v111, 63, v105
	v_mov_b32_e32 v110, 2
	v_cmp_ne_u32_e32 vcc, 63, v111
	v_cmp_eq_u16_sdwa s[26:27], v29, v110 src0_sel:BYTE_0 src1_sel:DWORD
	v_lshlrev_b64 v[26:27], v105, -1
	v_addc_co_u32_e32 v30, vcc, 0, v105, vcc
	v_and_b32_e32 v9, s27, v27
	v_lshlrev_b32_e32 v112, 2, v30
	v_or_b32_e32 v9, 0x80000000, v9
	ds_bpermute_b32 v30, v112, v28
	v_and_b32_e32 v25, s26, v26
	v_ffbl_b32_e32 v9, v9
	v_add_u32_e32 v9, 32, v9
	v_ffbl_b32_e32 v25, v25
	v_min_u32_e32 v9, v25, v9
	v_cmp_lt_u32_e32 vcc, v111, v9
	v_add_u32_e32 v114, 2, v111
	v_add_u32_e32 v116, 4, v111
	s_waitcnt lgkmcnt(0)
	v_cndmask_b32_e32 v25, 0, v30, vcc
	v_cmp_gt_u32_e32 vcc, 62, v111
	v_add_u32_e32 v25, v25, v28
	v_add_u32_e32 v118, 8, v111
	v_cndmask_b32_e64 v28, 0, 1, vcc
	v_lshlrev_b32_e32 v28, 1, v28
	v_add_lshl_u32 v113, v28, v105, 2
	ds_bpermute_b32 v28, v113, v25
	v_cmp_le_u32_e32 vcc, v114, v9
	v_add_u32_e32 v120, 16, v111
	v_add_u32_e32 v122, 32, v111
	s_waitcnt lgkmcnt(0)
	v_cndmask_b32_e32 v28, 0, v28, vcc
	v_cmp_gt_u32_e32 vcc, 60, v111
	v_add_u32_e32 v25, v25, v28
	s_nop 0
	v_cndmask_b32_e64 v28, 0, 1, vcc
	v_lshlrev_b32_e32 v28, 2, v28
	v_add_lshl_u32 v115, v28, v105, 2
	ds_bpermute_b32 v28, v115, v25
	v_cmp_le_u32_e32 vcc, v116, v9
	s_waitcnt lgkmcnt(0)
	s_nop 0
	v_cndmask_b32_e32 v28, 0, v28, vcc
	v_cmp_gt_u32_e32 vcc, 56, v111
	v_add_u32_e32 v25, v25, v28
	s_nop 0
	v_cndmask_b32_e64 v28, 0, 1, vcc
	v_lshlrev_b32_e32 v28, 3, v28
	v_add_lshl_u32 v117, v28, v105, 2
	ds_bpermute_b32 v28, v117, v25
	v_cmp_le_u32_e32 vcc, v118, v9
	s_waitcnt lgkmcnt(0)
	s_nop 0
	v_cndmask_b32_e32 v28, 0, v28, vcc
	v_cmp_gt_u32_e32 vcc, 48, v111
	v_add_u32_e32 v25, v25, v28
	s_nop 0
	v_cndmask_b32_e64 v28, 0, 1, vcc
	v_lshlrev_b32_e32 v28, 4, v28
	v_add_lshl_u32 v119, v28, v105, 2
	ds_bpermute_b32 v28, v119, v25
	v_cmp_le_u32_e32 vcc, v120, v9
	s_waitcnt lgkmcnt(0)
	s_nop 0
	v_cndmask_b32_e32 v28, 0, v28, vcc
	v_cmp_gt_u32_e32 vcc, 32, v111
	v_add_u32_e32 v25, v25, v28
	s_nop 0
	v_cndmask_b32_e64 v28, 0, 1, vcc
	v_lshlrev_b32_e32 v28, 5, v28
	v_add_lshl_u32 v121, v28, v105, 2
	ds_bpermute_b32 v28, v121, v25
	v_cmp_le_u32_e32 vcc, v122, v9
	s_waitcnt lgkmcnt(0)
	s_nop 0
	v_cndmask_b32_e32 v9, 0, v28, vcc
	v_add_u32_e32 v28, v25, v9
	v_mov_b32_e32 v25, 0
	s_branch .LBB362_90
.LBB362_89:                             ;   in Loop: Header=BB362_90 Depth=1
	s_or_b64 exec, exec, s[26:27]
	v_cmp_eq_u16_sdwa s[26:27], v29, v110 src0_sel:BYTE_0 src1_sel:DWORD
	ds_bpermute_b32 v123, v112, v28
	v_subrev_u32_e32 v24, 64, v24
	v_and_b32_e32 v30, s27, v27
	v_or_b32_e32 v30, 0x80000000, v30
	v_and_b32_e32 v31, s26, v26
	v_ffbl_b32_e32 v30, v30
	v_add_u32_e32 v30, 32, v30
	v_ffbl_b32_e32 v31, v31
	v_min_u32_e32 v30, v31, v30
	v_cmp_lt_u32_e32 vcc, v111, v30
	s_waitcnt lgkmcnt(0)
	s_nop 0
	v_cndmask_b32_e32 v31, 0, v123, vcc
	v_add_u32_e32 v28, v31, v28
	ds_bpermute_b32 v31, v113, v28
	v_cmp_le_u32_e32 vcc, v114, v30
	s_waitcnt lgkmcnt(0)
	s_nop 0
	v_cndmask_b32_e32 v31, 0, v31, vcc
	v_add_u32_e32 v28, v28, v31
	ds_bpermute_b32 v31, v115, v28
	v_cmp_le_u32_e32 vcc, v116, v30
	s_waitcnt lgkmcnt(0)
	s_nop 0
	v_cndmask_b32_e32 v31, 0, v31, vcc
	v_add_u32_e32 v28, v28, v31
	ds_bpermute_b32 v31, v117, v28
	v_cmp_le_u32_e32 vcc, v118, v30
	s_waitcnt lgkmcnt(0)
	s_nop 0
	v_cndmask_b32_e32 v31, 0, v31, vcc
	v_add_u32_e32 v28, v28, v31
	ds_bpermute_b32 v31, v119, v28
	v_cmp_le_u32_e32 vcc, v120, v30
	s_waitcnt lgkmcnt(0)
	s_nop 0
	v_cndmask_b32_e32 v31, 0, v31, vcc
	v_add_u32_e32 v28, v28, v31
	ds_bpermute_b32 v31, v121, v28
	v_cmp_le_u32_e32 vcc, v122, v30
	s_waitcnt lgkmcnt(0)
	s_nop 0
	v_cndmask_b32_e32 v30, 0, v31, vcc
	v_add3_u32 v28, v30, v9, v28
.LBB362_90:                             ; =>This Loop Header: Depth=1
                                        ;     Child Loop BB362_93 Depth 2
                                        ;       Child Loop BB362_94 Depth 3
	v_cmp_ne_u16_sdwa s[26:27], v29, v110 src0_sel:BYTE_0 src1_sel:DWORD
	s_nop 1
	v_cndmask_b32_e64 v9, 0, 1, s[26:27]
	;;#ASMSTART
	;;#ASMEND
	s_nop 0
	v_cmp_ne_u32_e32 vcc, 0, v9
	s_cmp_lg_u64 vcc, exec
	v_mov_b32_e32 v9, v28
	s_cbranch_scc1 .LBB362_97
; %bb.91:                               ;   in Loop: Header=BB362_90 Depth=1
	v_lshl_add_u64 v[30:31], v[24:25], 3, s[34:35]
	global_load_dwordx2 v[28:29], v[30:31], off sc1
	s_waitcnt vmcnt(0)
	v_cmp_eq_u16_sdwa s[36:37], v29, v25 src0_sel:BYTE_0 src1_sel:DWORD
	s_and_saveexec_b64 s[26:27], s[36:37]
	s_cbranch_execz .LBB362_89
; %bb.92:                               ;   in Loop: Header=BB362_90 Depth=1
	s_mov_b32 s41, 1
	s_mov_b64 s[36:37], 0
.LBB362_93:                             ;   Parent Loop BB362_90 Depth=1
                                        ; =>  This Loop Header: Depth=2
                                        ;       Child Loop BB362_94 Depth 3
	s_max_u32 s42, s41, 1
.LBB362_94:                             ;   Parent Loop BB362_90 Depth=1
                                        ;     Parent Loop BB362_93 Depth=2
                                        ; =>    This Inner Loop Header: Depth=3
	s_add_i32 s42, s42, -1
	s_cmp_eq_u32 s42, 0
	s_sleep 1
	s_cbranch_scc0 .LBB362_94
; %bb.95:                               ;   in Loop: Header=BB362_93 Depth=2
	global_load_dwordx2 v[28:29], v[30:31], off sc1
	s_cmp_lt_u32 s41, 32
	s_cselect_b64 s[42:43], -1, 0
	s_cmp_lg_u64 s[42:43], 0
	s_addc_u32 s41, s41, 0
	s_waitcnt vmcnt(0)
	v_cmp_ne_u16_sdwa s[42:43], v29, v25 src0_sel:BYTE_0 src1_sel:DWORD
	s_or_b64 s[36:37], s[42:43], s[36:37]
	s_andn2_b64 exec, exec, s[36:37]
	s_cbranch_execnz .LBB362_93
; %bb.96:                               ;   in Loop: Header=BB362_90 Depth=1
	s_or_b64 exec, exec, s[36:37]
	s_branch .LBB362_89
.LBB362_97:                             ;   in Loop: Header=BB362_90 Depth=1
                                        ; implicit-def: $vgpr28
                                        ; implicit-def: $vgpr29
	s_cbranch_execz .LBB362_90
; %bb.98:
	s_and_saveexec_b64 s[26:27], s[18:19]
	s_cbranch_execz .LBB362_100
; %bb.99:
	s_add_i32 s36, s40, 64
	s_mov_b32 s37, 0
	s_lshl_b64 s[36:37], s[36:37], 3
	s_add_u32 s36, s34, s36
	v_add_u32_e32 v24, v9, v8
	v_mov_b32_e32 v25, 2
	s_addc_u32 s37, s35, s37
	v_mov_b32_e32 v26, 0
	global_store_dwordx2 v26, v[24:25], s[36:37] sc1
	ds_write_b64 v26, v[8:9] offset:30720
.LBB362_100:
	s_or_b64 exec, exec, s[26:27]
	s_and_b64 exec, exec, s[20:21]
	s_cbranch_execz .LBB362_102
; %bb.101:
	v_mov_b32_e32 v8, 0
	ds_write_b32 v8, v9 offset:28
.LBB362_102:
	s_or_b64 exec, exec, s[0:1]
	v_mov_b32_e32 v8, 0
	s_waitcnt lgkmcnt(0)
	s_barrier
	ds_read_b32 v24, v8 offset:28
	s_waitcnt lgkmcnt(0)
	s_barrier
	ds_read_b64 v[8:9], v8 offset:30720
	v_cndmask_b32_e64 v25, v109, v108, s[18:19]
	v_cndmask_b32_e64 v25, v25, 0, s[20:21]
	v_add_u32_e32 v25, v24, v25
	s_waitcnt lgkmcnt(0)
	v_mov_b32_e32 v24, v9
	s_branch .LBB362_113
.LBB362_103:
                                        ; implicit-def: $vgpr24
                                        ; implicit-def: $vgpr8
                                        ; implicit-def: $vgpr25
	s_cbranch_execz .LBB362_113
; %bb.104:
	s_nop 0
	v_mov_b32_dpp v8, v107 row_shr:1 row_mask:0xf bank_mask:0xf
	v_cndmask_b32_e64 v8, v8, 0, s[16:17]
	v_add_u32_e32 v8, v8, v107
	s_nop 1
	v_mov_b32_dpp v9, v8 row_shr:2 row_mask:0xf bank_mask:0xf
	v_cndmask_b32_e64 v9, 0, v9, s[14:15]
	v_add_u32_e32 v8, v8, v9
	;; [unrolled: 4-line block ×4, first 2 shown]
	s_nop 1
	v_mov_b32_dpp v9, v8 row_bcast:15 row_mask:0xf bank_mask:0xf
	v_cndmask_b32_e64 v9, v9, 0, s[8:9]
	v_add_u32_e32 v8, v8, v9
	s_nop 1
	v_mov_b32_dpp v9, v8 row_bcast:31 row_mask:0xf bank_mask:0xf
	v_cndmask_b32_e64 v9, 0, v9, s[4:5]
	v_add_u32_e32 v8, v8, v9
	s_and_saveexec_b64 s[0:1], s[6:7]
	s_cbranch_execz .LBB362_106
; %bb.105:
	v_lshlrev_b32_e32 v9, 2, v106
	ds_write_b32 v9, v8
.LBB362_106:
	s_or_b64 exec, exec, s[0:1]
	v_cmp_gt_u32_e32 vcc, 8, v0
	s_waitcnt lgkmcnt(0)
	s_barrier
	s_and_saveexec_b64 s[0:1], vcc
	s_cbranch_execz .LBB362_108
; %bb.107:
	v_lshlrev_b32_e32 v9, 2, v0
	ds_read_b32 v24, v9
	v_and_b32_e32 v25, 7, v105
	v_cmp_ne_u32_e32 vcc, 0, v25
	s_waitcnt lgkmcnt(0)
	v_mov_b32_dpp v26, v24 row_shr:1 row_mask:0xf bank_mask:0xf
	v_cndmask_b32_e32 v26, 0, v26, vcc
	v_add_u32_e32 v24, v26, v24
	v_cmp_lt_u32_e32 vcc, 1, v25
	s_nop 0
	v_mov_b32_dpp v26, v24 row_shr:2 row_mask:0xf bank_mask:0xf
	v_cndmask_b32_e32 v26, 0, v26, vcc
	v_add_u32_e32 v24, v24, v26
	v_cmp_lt_u32_e32 vcc, 3, v25
	s_nop 0
	v_mov_b32_dpp v26, v24 row_shr:4 row_mask:0xf bank_mask:0xf
	v_cndmask_b32_e32 v25, 0, v26, vcc
	v_add_u32_e32 v24, v24, v25
	ds_write_b32 v9, v24
.LBB362_108:
	s_or_b64 exec, exec, s[0:1]
	v_cmp_lt_u32_e32 vcc, 63, v0
	v_mov_b32_e32 v9, 0
	v_mov_b32_e32 v24, 0
	s_waitcnt lgkmcnt(0)
	s_barrier
	s_and_saveexec_b64 s[0:1], vcc
	s_cbranch_execz .LBB362_110
; %bb.109:
	v_lshl_add_u32 v24, v106, 2, -4
	ds_read_b32 v24, v24
.LBB362_110:
	s_or_b64 exec, exec, s[0:1]
	v_add_u32_e32 v25, -1, v105
	v_and_b32_e32 v26, 64, v105
	v_cmp_lt_i32_e32 vcc, v25, v26
	s_waitcnt lgkmcnt(0)
	v_add_u32_e32 v8, v24, v8
	v_cndmask_b32_e32 v25, v25, v105, vcc
	v_lshlrev_b32_e32 v25, 2, v25
	ds_bpermute_b32 v25, v25, v8
	ds_read_b32 v8, v9 offset:28
	s_and_saveexec_b64 s[0:1], s[20:21]
	s_cbranch_execz .LBB362_112
; %bb.111:
	v_mov_b32_e32 v26, 0
	v_mov_b32_e32 v9, 2
	s_waitcnt lgkmcnt(0)
	global_store_dwordx2 v26, v[8:9], s[34:35] offset:512 sc1
.LBB362_112:
	s_or_b64 exec, exec, s[0:1]
	v_cmp_eq_u32_e32 vcc, 0, v105
	s_waitcnt lgkmcnt(0)
	s_barrier
	v_cndmask_b32_e32 v9, v25, v24, vcc
	v_mov_b32_e32 v24, 0
	v_cndmask_b32_e64 v25, v9, 0, s[20:21]
.LBB362_113:
	v_add_u32_e32 v9, v25, v77
	v_add_u32_e32 v26, v9, v78
	;; [unrolled: 1-line block ×22, first 2 shown]
	v_sub_u32_e32 v25, v25, v24
	v_and_b32_e32 v76, 1, v76
	v_add_u32_e32 v91, v90, v98
	v_sub_u32_e32 v98, v44, v25
	v_cmp_eq_u32_e32 vcc, 1, v76
	v_sub_u32_e32 v9, v9, v24
	v_add_u32_e32 v92, v91, v99
	v_cndmask_b32_e32 v25, v98, v25, vcc
	v_lshlrev_b32_e32 v25, 1, v25
	ds_write_b16 v25, v22
	v_sub_u32_e32 v22, v44, v9
	v_and_b32_e32 v25, 1, v75
	v_add_u32_e32 v22, 1, v22
	v_cmp_eq_u32_e32 vcc, 1, v25
	v_and_b32_e32 v25, 1, v74
	v_add_u32_e32 v93, v92, v100
	v_cndmask_b32_e32 v9, v22, v9, vcc
	v_lshlrev_b32_e32 v9, 1, v9
	ds_write_b16 v9, v46
	v_sub_u32_e32 v9, v26, v24
	v_sub_u32_e32 v22, v44, v9
	v_add_u32_e32 v22, 2, v22
	v_cmp_eq_u32_e32 vcc, 1, v25
	v_add_u32_e32 v94, v93, v101
	v_add_u32_e32 v95, v94, v102
	v_cndmask_b32_e32 v9, v22, v9, vcc
	v_lshlrev_b32_e32 v9, 1, v9
	ds_write_b16 v9, v23
	v_sub_u32_e32 v9, v27, v24
	v_sub_u32_e32 v22, v44, v9
	v_and_b32_e32 v23, 1, v73
	v_add_u32_e32 v22, 3, v22
	v_cmp_eq_u32_e32 vcc, 1, v23
	v_and_b32_e32 v23, 1, v72
	v_add_u32_e32 v96, v95, v103
	v_cndmask_b32_e32 v9, v22, v9, vcc
	v_lshlrev_b32_e32 v9, 1, v9
	ds_write_b16 v9, v45
	v_sub_u32_e32 v9, v28, v24
	v_sub_u32_e32 v22, v44, v9
	v_add_u32_e32 v22, 4, v22
	v_cmp_eq_u32_e32 vcc, 1, v23
	v_add_u32_e32 v97, v96, v104
	v_mov_b32_e32 v25, 0
	v_cndmask_b32_e32 v9, v22, v9, vcc
	v_lshlrev_b32_e32 v9, 1, v9
	ds_write_b16 v9, v20
	v_sub_u32_e32 v9, v29, v24
	v_sub_u32_e32 v20, v44, v9
	v_and_b32_e32 v22, 1, v71
	v_add_u32_e32 v20, 5, v20
	v_cmp_eq_u32_e32 vcc, 1, v22
	v_and_b32_e32 v22, 1, v70
	v_or_b32_e32 v45, 0x1a00, v0
	v_cndmask_b32_e32 v9, v20, v9, vcc
	v_lshlrev_b32_e32 v9, 1, v9
	ds_write_b16 v9, v43
	v_sub_u32_e32 v9, v30, v24
	v_sub_u32_e32 v20, v44, v9
	v_add_u32_e32 v20, 6, v20
	v_cmp_eq_u32_e32 vcc, 1, v22
	v_or_b32_e32 v43, 0x1c00, v0
	v_or_b32_e32 v29, 0x2a00, v0
	v_cndmask_b32_e32 v9, v20, v9, vcc
	v_lshlrev_b32_e32 v9, 1, v9
	ds_write_b16 v9, v21
	v_sub_u32_e32 v9, v31, v24
	v_sub_u32_e32 v20, v44, v9
	v_and_b32_e32 v21, 1, v69
	v_add_u32_e32 v20, 7, v20
	v_cmp_eq_u32_e32 vcc, 1, v21
	v_and_b32_e32 v21, 1, v68
	v_or_b32_e32 v69, 0x200, v0
	v_cndmask_b32_e32 v9, v20, v9, vcc
	v_lshlrev_b32_e32 v9, 1, v9
	ds_write_b16 v9, v42
	v_sub_u32_e32 v9, v77, v24
	v_sub_u32_e32 v20, v44, v9
	v_add_u32_e32 v20, 8, v20
	v_cmp_eq_u32_e32 vcc, 1, v21
	v_or_b32_e32 v31, 0x2800, v0
	v_or_b32_e32 v27, 0x2c00, v0
	;; [unrolled: 19-line block ×4, first 2 shown]
	v_cndmask_b32_e32 v9, v18, v9, vcc
	v_lshlrev_b32_e32 v9, 1, v9
	ds_write_b16 v9, v16
	v_sub_u32_e32 v9, v82, v24
	v_sub_u32_e32 v16, v44, v9
	v_and_b32_e32 v18, 1, v63
	v_add_u32_e32 v16, 13, v16
	v_cmp_eq_u32_e32 vcc, 1, v18
	v_and_b32_e32 v18, 1, v62
	v_or_b32_e32 v63, 0x800, v0
	v_cndmask_b32_e32 v9, v16, v9, vcc
	v_lshlrev_b32_e32 v9, 1, v9
	ds_write_b16 v9, v39
	v_sub_u32_e32 v9, v83, v24
	v_sub_u32_e32 v16, v44, v9
	v_add_u32_e32 v16, 14, v16
	v_cmp_eq_u32_e32 vcc, 1, v18
	v_or_b32_e32 v39, 0x2000, v0
	s_nop 0
	v_cndmask_b32_e32 v9, v16, v9, vcc
	v_lshlrev_b32_e32 v9, 1, v9
	ds_write_b16 v9, v17
	v_sub_u32_e32 v9, v84, v24
	v_sub_u32_e32 v16, v44, v9
	v_and_b32_e32 v17, 1, v61
	v_add_u32_e32 v16, 15, v16
	v_cmp_eq_u32_e32 vcc, 1, v17
	v_and_b32_e32 v17, 1, v60
	v_or_b32_e32 v61, 0xa00, v0
	v_cndmask_b32_e32 v9, v16, v9, vcc
	v_lshlrev_b32_e32 v9, 1, v9
	ds_write_b16 v9, v38
	v_sub_u32_e32 v9, v85, v24
	v_sub_u32_e32 v16, v44, v9
	v_add_u32_e32 v16, 16, v16
	v_cmp_eq_u32_e32 vcc, 1, v17
	v_or_b32_e32 v17, 0x3400, v0
	s_nop 0
	;; [unrolled: 19-line block ×7, first 2 shown]
	v_cndmask_b32_e32 v9, v10, v9, vcc
	v_lshlrev_b32_e32 v9, 1, v9
	ds_write_b16 v9, v11
	v_sub_u32_e32 v9, v96, v24
	v_sub_u32_e32 v10, v44, v9
	v_and_b32_e32 v11, 1, v49
	v_add_u32_e32 v10, 27, v10
	v_cmp_eq_u32_e32 vcc, 1, v11
	v_and_b32_e32 v11, 1, v47
	v_or_b32_e32 v49, 0x1600, v0
	v_cndmask_b32_e32 v9, v10, v9, vcc
	v_lshlrev_b32_e32 v9, 1, v9
	ds_write_b16 v9, v32
	v_sub_u32_e32 v9, v97, v24
	v_sub_u32_e32 v10, v44, v9
	v_add_u32_e32 v10, 28, v10
	v_cmp_eq_u32_e32 vcc, 1, v11
	s_nop 1
	v_cndmask_b32_e32 v9, v10, v9, vcc
	v_lshlrev_b32_e32 v9, 1, v9
	ds_write_b16 v9, v3
	v_sub_u32_sdwa v3, v47, v24 dst_sel:DWORD dst_unused:UNUSED_PAD src0_sel:BYTE_0 src1_sel:DWORD
	v_add_u32_e32 v3, v97, v3
	v_sub_u32_e32 v9, v44, v3
	v_and_b32_e32 v10, 1, v48
	v_add_u32_e32 v9, 29, v9
	v_cmp_eq_u32_e32 vcc, 1, v10
	s_waitcnt vmcnt(0)
	v_lshl_add_u64 v[10:11], v[4:5], 0, v[24:25]
	v_or_b32_e32 v47, 0x1800, v0
	v_cndmask_b32_e32 v3, v9, v3, vcc
	v_lshlrev_b32_e32 v3, 1, v3
	ds_write_b16 v3, v1
	s_waitcnt lgkmcnt(0)
	s_barrier
	ds_read_u16 v71, v2
	ds_read_u16 v70, v2 offset:1024
	ds_read_u16 v68, v2 offset:2048
	;; [unrolled: 1-line block ×29, first 2 shown]
	v_mov_b32_e32 v9, v25
	v_lshl_add_u64 v[4:5], v[10:11], 0, v[8:9]
	v_mov_b32_e32 v3, s39
	v_sub_co_u32_e32 v72, vcc, s38, v4
	v_lshlrev_b64 v[10:11], 1, v[10:11]
	s_nop 0
	v_subb_co_u32_e32 v73, vcc, v3, v5, vcc
	v_lshlrev_b64 v[72:73], 1, v[72:73]
	v_lshl_add_u64 v[72:73], s[30:31], 0, v[72:73]
	v_or_b32_e32 v1, 0x3a00, v0
	v_lshl_add_u64 v[6:7], v[72:73], 0, v[6:7]
	s_and_b64 vcc, exec, s[2:3]
	v_lshl_add_u64 v[10:11], s[28:29], 0, v[10:11]
	s_cbranch_vccnz .LBB362_115
; %bb.114:
	v_cmp_lt_u32_e32 vcc, v0, v8
	v_mov_b32_e32 v3, v25
	v_lshlrev_b32_e32 v24, 1, v63
	v_cndmask_b32_e32 v73, v7, v11, vcc
	v_cndmask_b32_e32 v72, v6, v10, vcc
	v_lshl_add_u64 v[72:73], v[72:73], 0, v[2:3]
	v_cmp_lt_u32_e32 vcc, v69, v8
	s_waitcnt lgkmcnt(14)
	global_store_short v[72:73], v71, off
	v_cndmask_b32_e32 v73, v7, v11, vcc
	v_cndmask_b32_e32 v72, v6, v10, vcc
	v_lshl_add_u64 v[72:73], v[72:73], 0, v[2:3]
	v_cmp_lt_u32_e32 vcc, v67, v8
	global_store_short v[72:73], v70, off offset:1024
	s_mov_b64 s[0:1], -1
	v_cndmask_b32_e32 v73, v7, v11, vcc
	v_cndmask_b32_e32 v72, v6, v10, vcc
	v_lshl_add_u64 v[72:73], v[72:73], 0, v[2:3]
	v_cmp_lt_u32_e32 vcc, v65, v8
	global_store_short v[72:73], v68, off offset:2048
	s_nop 0
	v_cndmask_b32_e32 v73, v7, v11, vcc
	v_cndmask_b32_e32 v72, v6, v10, vcc
	v_lshl_add_u64 v[72:73], v[72:73], 0, v[2:3]
	v_cmp_lt_u32_e32 vcc, v63, v8
	global_store_short v[72:73], v66, off offset:3072
	s_nop 0
	v_cndmask_b32_e32 v73, v7, v11, vcc
	v_cndmask_b32_e32 v72, v6, v10, vcc
	v_lshl_add_u64 v[72:73], v[72:73], 0, v[24:25]
	v_cmp_lt_u32_e32 vcc, v61, v8
	global_store_short v[72:73], v64, off
	v_lshlrev_b32_e32 v24, 1, v61
	v_cndmask_b32_e32 v73, v7, v11, vcc
	v_cndmask_b32_e32 v72, v6, v10, vcc
	v_lshl_add_u64 v[72:73], v[72:73], 0, v[24:25]
	v_cmp_lt_u32_e32 vcc, v59, v8
	global_store_short v[72:73], v62, off
	v_lshlrev_b32_e32 v24, 1, v59
	;; [unrolled: 6-line block ×12, first 2 shown]
	v_cndmask_b32_e32 v73, v7, v11, vcc
	v_cndmask_b32_e32 v72, v6, v10, vcc
	v_lshl_add_u64 v[72:73], v[72:73], 0, v[24:25]
	v_cmp_lt_u32_e32 vcc, v37, v8
	s_waitcnt lgkmcnt(13)
	global_store_short v[72:73], v40, off
	v_lshlrev_b32_e32 v24, 1, v37
	v_cndmask_b32_e32 v73, v7, v11, vcc
	v_cndmask_b32_e32 v72, v6, v10, vcc
	v_lshl_add_u64 v[72:73], v[72:73], 0, v[24:25]
	v_cmp_lt_u32_e32 vcc, v35, v8
	s_waitcnt lgkmcnt(12)
	global_store_short v[72:73], v38, off
	v_lshlrev_b32_e32 v24, 1, v35
	;; [unrolled: 7-line block ×12, first 2 shown]
	v_cndmask_b32_e32 v73, v7, v11, vcc
	v_cndmask_b32_e32 v72, v6, v10, vcc
	v_lshl_add_u64 v[24:25], v[72:73], 0, v[24:25]
	s_waitcnt lgkmcnt(1)
	global_store_short v[24:25], v14, off
	s_cbranch_execz .LBB362_116
	s_branch .LBB362_147
.LBB362_115:
	s_mov_b64 s[0:1], 0
.LBB362_116:
	v_cmp_gt_u32_e32 vcc, s33, v0
	s_and_saveexec_b64 s[0:1], vcc
	s_cbranch_execnz .LBB362_152
; %bb.117:
	s_or_b64 exec, exec, s[0:1]
	v_cmp_gt_u32_e32 vcc, s33, v69
	s_and_saveexec_b64 s[0:1], vcc
	s_cbranch_execnz .LBB362_153
.LBB362_118:
	s_or_b64 exec, exec, s[0:1]
	v_cmp_gt_u32_e32 vcc, s33, v67
	s_and_saveexec_b64 s[0:1], vcc
	s_cbranch_execnz .LBB362_154
.LBB362_119:
	s_or_b64 exec, exec, s[0:1]
	v_cmp_gt_u32_e32 vcc, s33, v65
	s_and_saveexec_b64 s[0:1], vcc
	s_cbranch_execnz .LBB362_155
.LBB362_120:
	s_or_b64 exec, exec, s[0:1]
	v_cmp_gt_u32_e32 vcc, s33, v63
	s_and_saveexec_b64 s[0:1], vcc
	s_cbranch_execnz .LBB362_156
.LBB362_121:
	s_or_b64 exec, exec, s[0:1]
	v_cmp_gt_u32_e32 vcc, s33, v61
	s_and_saveexec_b64 s[0:1], vcc
	s_cbranch_execnz .LBB362_157
.LBB362_122:
	s_or_b64 exec, exec, s[0:1]
	v_cmp_gt_u32_e32 vcc, s33, v59
	s_and_saveexec_b64 s[0:1], vcc
	s_cbranch_execnz .LBB362_158
.LBB362_123:
	s_or_b64 exec, exec, s[0:1]
	v_cmp_gt_u32_e32 vcc, s33, v57
	s_and_saveexec_b64 s[0:1], vcc
	s_cbranch_execnz .LBB362_159
.LBB362_124:
	s_or_b64 exec, exec, s[0:1]
	v_cmp_gt_u32_e32 vcc, s33, v55
	s_and_saveexec_b64 s[0:1], vcc
	s_cbranch_execnz .LBB362_160
.LBB362_125:
	s_or_b64 exec, exec, s[0:1]
	v_cmp_gt_u32_e32 vcc, s33, v53
	s_and_saveexec_b64 s[0:1], vcc
	s_cbranch_execnz .LBB362_161
.LBB362_126:
	s_or_b64 exec, exec, s[0:1]
	v_cmp_gt_u32_e32 vcc, s33, v51
	s_and_saveexec_b64 s[0:1], vcc
	s_cbranch_execnz .LBB362_162
.LBB362_127:
	s_or_b64 exec, exec, s[0:1]
	v_cmp_gt_u32_e32 vcc, s33, v49
	s_and_saveexec_b64 s[0:1], vcc
	s_cbranch_execnz .LBB362_163
.LBB362_128:
	s_or_b64 exec, exec, s[0:1]
	v_cmp_gt_u32_e32 vcc, s33, v47
	s_and_saveexec_b64 s[0:1], vcc
	s_cbranch_execnz .LBB362_164
.LBB362_129:
	s_or_b64 exec, exec, s[0:1]
	v_cmp_gt_u32_e32 vcc, s33, v45
	s_and_saveexec_b64 s[0:1], vcc
	s_cbranch_execnz .LBB362_165
.LBB362_130:
	s_or_b64 exec, exec, s[0:1]
	v_cmp_gt_u32_e32 vcc, s33, v43
	s_and_saveexec_b64 s[0:1], vcc
	s_cbranch_execnz .LBB362_166
.LBB362_131:
	s_or_b64 exec, exec, s[0:1]
	v_cmp_gt_u32_e32 vcc, s33, v41
	s_and_saveexec_b64 s[0:1], vcc
	s_cbranch_execnz .LBB362_167
.LBB362_132:
	s_or_b64 exec, exec, s[0:1]
	v_cmp_gt_u32_e32 vcc, s33, v39
	s_and_saveexec_b64 s[0:1], vcc
	s_cbranch_execnz .LBB362_168
.LBB362_133:
	s_or_b64 exec, exec, s[0:1]
	v_cmp_gt_u32_e32 vcc, s33, v37
	s_and_saveexec_b64 s[0:1], vcc
	s_cbranch_execnz .LBB362_169
.LBB362_134:
	s_or_b64 exec, exec, s[0:1]
	v_cmp_gt_u32_e32 vcc, s33, v35
	s_and_saveexec_b64 s[0:1], vcc
	s_cbranch_execnz .LBB362_170
.LBB362_135:
	s_or_b64 exec, exec, s[0:1]
	v_cmp_gt_u32_e32 vcc, s33, v33
	s_and_saveexec_b64 s[0:1], vcc
	s_cbranch_execnz .LBB362_171
.LBB362_136:
	s_or_b64 exec, exec, s[0:1]
	v_cmp_gt_u32_e32 vcc, s33, v31
	s_and_saveexec_b64 s[0:1], vcc
	s_cbranch_execnz .LBB362_172
.LBB362_137:
	s_or_b64 exec, exec, s[0:1]
	v_cmp_gt_u32_e32 vcc, s33, v29
	s_and_saveexec_b64 s[0:1], vcc
	s_cbranch_execnz .LBB362_173
.LBB362_138:
	s_or_b64 exec, exec, s[0:1]
	v_cmp_gt_u32_e32 vcc, s33, v27
	s_and_saveexec_b64 s[0:1], vcc
	s_cbranch_execnz .LBB362_174
.LBB362_139:
	s_or_b64 exec, exec, s[0:1]
	v_cmp_gt_u32_e32 vcc, s33, v23
	s_and_saveexec_b64 s[0:1], vcc
	s_cbranch_execnz .LBB362_175
.LBB362_140:
	s_or_b64 exec, exec, s[0:1]
	v_cmp_gt_u32_e32 vcc, s33, v21
	s_and_saveexec_b64 s[0:1], vcc
	s_cbranch_execnz .LBB362_176
.LBB362_141:
	s_or_b64 exec, exec, s[0:1]
	v_cmp_gt_u32_e32 vcc, s33, v19
	s_and_saveexec_b64 s[0:1], vcc
	s_cbranch_execnz .LBB362_177
.LBB362_142:
	s_or_b64 exec, exec, s[0:1]
	v_cmp_gt_u32_e32 vcc, s33, v17
	s_and_saveexec_b64 s[0:1], vcc
	s_cbranch_execnz .LBB362_178
.LBB362_143:
	s_or_b64 exec, exec, s[0:1]
	v_cmp_gt_u32_e32 vcc, s33, v15
	s_and_saveexec_b64 s[0:1], vcc
	s_cbranch_execnz .LBB362_179
.LBB362_144:
	s_or_b64 exec, exec, s[0:1]
	v_cmp_gt_u32_e32 vcc, s33, v13
	s_and_saveexec_b64 s[0:1], vcc
	s_cbranch_execz .LBB362_146
.LBB362_145:
	v_cmp_lt_u32_e32 vcc, v13, v8
	s_waitcnt lgkmcnt(2)
	v_lshlrev_b32_e32 v16, 1, v13
	v_mov_b32_e32 v17, 0
	v_cndmask_b32_e32 v3, v7, v11, vcc
	v_cndmask_b32_e32 v2, v6, v10, vcc
	v_lshl_add_u64 v[2:3], v[2:3], 0, v[16:17]
	s_waitcnt lgkmcnt(1)
	global_store_short v[2:3], v14, off
.LBB362_146:
	s_or_b64 exec, exec, s[0:1]
	v_cmp_gt_u32_e64 s[0:1], s33, v1
.LBB362_147:
	s_and_saveexec_b64 s[2:3], s[0:1]
	s_cbranch_execnz .LBB362_150
; %bb.148:
	s_or_b64 exec, exec, s[2:3]
	s_and_b64 s[0:1], s[20:21], s[22:23]
	s_and_saveexec_b64 s[2:3], s[0:1]
	s_cbranch_execnz .LBB362_151
.LBB362_149:
	s_endpgm
.LBB362_150:
	v_cmp_lt_u32_e32 vcc, v1, v8
	v_lshlrev_b32_e32 v0, 1, v1
	v_mov_b32_e32 v1, 0
	v_cndmask_b32_e32 v3, v7, v11, vcc
	v_cndmask_b32_e32 v2, v6, v10, vcc
	v_lshl_add_u64 v[0:1], v[2:3], 0, v[0:1]
	s_waitcnt lgkmcnt(0)
	global_store_short v[0:1], v12, off
	s_or_b64 exec, exec, s[2:3]
	s_and_b64 s[0:1], s[20:21], s[22:23]
	s_and_saveexec_b64 s[2:3], s[0:1]
	s_cbranch_execz .LBB362_149
.LBB362_151:
	v_mov_b32_e32 v0, 0
	global_store_dwordx2 v0, v[4:5], s[24:25]
	s_endpgm
.LBB362_152:
	v_cmp_lt_u32_e32 vcc, v0, v8
	v_mov_b32_e32 v3, 0
	s_nop 0
	v_cndmask_b32_e32 v25, v7, v11, vcc
	v_cndmask_b32_e32 v24, v6, v10, vcc
	v_lshl_add_u64 v[24:25], v[24:25], 0, v[2:3]
	s_waitcnt lgkmcnt(14)
	global_store_short v[24:25], v71, off
	s_or_b64 exec, exec, s[0:1]
	v_cmp_gt_u32_e32 vcc, s33, v69
	s_and_saveexec_b64 s[0:1], vcc
	s_cbranch_execz .LBB362_118
.LBB362_153:
	v_cmp_lt_u32_e32 vcc, v69, v8
	v_mov_b32_e32 v3, 0
	s_nop 0
	v_cndmask_b32_e32 v25, v7, v11, vcc
	v_cndmask_b32_e32 v24, v6, v10, vcc
	v_lshl_add_u64 v[24:25], v[24:25], 0, v[2:3]
	s_waitcnt lgkmcnt(14)
	global_store_short v[24:25], v70, off offset:1024
	s_or_b64 exec, exec, s[0:1]
	v_cmp_gt_u32_e32 vcc, s33, v67
	s_and_saveexec_b64 s[0:1], vcc
	s_cbranch_execz .LBB362_119
.LBB362_154:
	v_cmp_lt_u32_e32 vcc, v67, v8
	v_mov_b32_e32 v3, 0
	s_nop 0
	v_cndmask_b32_e32 v25, v7, v11, vcc
	v_cndmask_b32_e32 v24, v6, v10, vcc
	v_lshl_add_u64 v[24:25], v[24:25], 0, v[2:3]
	s_waitcnt lgkmcnt(14)
	global_store_short v[24:25], v68, off offset:2048
	s_or_b64 exec, exec, s[0:1]
	v_cmp_gt_u32_e32 vcc, s33, v65
	s_and_saveexec_b64 s[0:1], vcc
	s_cbranch_execz .LBB362_120
.LBB362_155:
	v_cmp_lt_u32_e32 vcc, v65, v8
	v_mov_b32_e32 v3, 0
	s_nop 0
	v_cndmask_b32_e32 v25, v7, v11, vcc
	v_cndmask_b32_e32 v24, v6, v10, vcc
	v_lshl_add_u64 v[2:3], v[24:25], 0, v[2:3]
	s_waitcnt lgkmcnt(14)
	global_store_short v[2:3], v66, off offset:3072
	s_or_b64 exec, exec, s[0:1]
	v_cmp_gt_u32_e32 vcc, s33, v63
	s_and_saveexec_b64 s[0:1], vcc
	s_cbranch_execz .LBB362_121
.LBB362_156:
	v_cmp_lt_u32_e32 vcc, v63, v8
	v_lshlrev_b32_e32 v24, 1, v63
	v_mov_b32_e32 v25, 0
	v_cndmask_b32_e32 v3, v7, v11, vcc
	v_cndmask_b32_e32 v2, v6, v10, vcc
	v_lshl_add_u64 v[2:3], v[2:3], 0, v[24:25]
	s_waitcnt lgkmcnt(14)
	global_store_short v[2:3], v64, off
	s_or_b64 exec, exec, s[0:1]
	v_cmp_gt_u32_e32 vcc, s33, v61
	s_and_saveexec_b64 s[0:1], vcc
	s_cbranch_execz .LBB362_122
.LBB362_157:
	v_cmp_lt_u32_e32 vcc, v61, v8
	v_lshlrev_b32_e32 v24, 1, v61
	v_mov_b32_e32 v25, 0
	v_cndmask_b32_e32 v3, v7, v11, vcc
	v_cndmask_b32_e32 v2, v6, v10, vcc
	v_lshl_add_u64 v[2:3], v[2:3], 0, v[24:25]
	s_waitcnt lgkmcnt(14)
	global_store_short v[2:3], v62, off
	s_or_b64 exec, exec, s[0:1]
	v_cmp_gt_u32_e32 vcc, s33, v59
	s_and_saveexec_b64 s[0:1], vcc
	s_cbranch_execz .LBB362_123
.LBB362_158:
	v_cmp_lt_u32_e32 vcc, v59, v8
	v_lshlrev_b32_e32 v24, 1, v59
	v_mov_b32_e32 v25, 0
	v_cndmask_b32_e32 v3, v7, v11, vcc
	v_cndmask_b32_e32 v2, v6, v10, vcc
	v_lshl_add_u64 v[2:3], v[2:3], 0, v[24:25]
	s_waitcnt lgkmcnt(14)
	global_store_short v[2:3], v60, off
	s_or_b64 exec, exec, s[0:1]
	v_cmp_gt_u32_e32 vcc, s33, v57
	s_and_saveexec_b64 s[0:1], vcc
	s_cbranch_execz .LBB362_124
.LBB362_159:
	v_cmp_lt_u32_e32 vcc, v57, v8
	v_lshlrev_b32_e32 v24, 1, v57
	v_mov_b32_e32 v25, 0
	v_cndmask_b32_e32 v3, v7, v11, vcc
	v_cndmask_b32_e32 v2, v6, v10, vcc
	v_lshl_add_u64 v[2:3], v[2:3], 0, v[24:25]
	s_waitcnt lgkmcnt(14)
	global_store_short v[2:3], v58, off
	s_or_b64 exec, exec, s[0:1]
	v_cmp_gt_u32_e32 vcc, s33, v55
	s_and_saveexec_b64 s[0:1], vcc
	s_cbranch_execz .LBB362_125
.LBB362_160:
	v_cmp_lt_u32_e32 vcc, v55, v8
	v_lshlrev_b32_e32 v24, 1, v55
	v_mov_b32_e32 v25, 0
	v_cndmask_b32_e32 v3, v7, v11, vcc
	v_cndmask_b32_e32 v2, v6, v10, vcc
	v_lshl_add_u64 v[2:3], v[2:3], 0, v[24:25]
	s_waitcnt lgkmcnt(14)
	global_store_short v[2:3], v56, off
	s_or_b64 exec, exec, s[0:1]
	v_cmp_gt_u32_e32 vcc, s33, v53
	s_and_saveexec_b64 s[0:1], vcc
	s_cbranch_execz .LBB362_126
.LBB362_161:
	v_cmp_lt_u32_e32 vcc, v53, v8
	v_lshlrev_b32_e32 v24, 1, v53
	v_mov_b32_e32 v25, 0
	v_cndmask_b32_e32 v3, v7, v11, vcc
	v_cndmask_b32_e32 v2, v6, v10, vcc
	v_lshl_add_u64 v[2:3], v[2:3], 0, v[24:25]
	s_waitcnt lgkmcnt(14)
	global_store_short v[2:3], v54, off
	s_or_b64 exec, exec, s[0:1]
	v_cmp_gt_u32_e32 vcc, s33, v51
	s_and_saveexec_b64 s[0:1], vcc
	s_cbranch_execz .LBB362_127
.LBB362_162:
	v_cmp_lt_u32_e32 vcc, v51, v8
	v_lshlrev_b32_e32 v24, 1, v51
	v_mov_b32_e32 v25, 0
	v_cndmask_b32_e32 v3, v7, v11, vcc
	v_cndmask_b32_e32 v2, v6, v10, vcc
	v_lshl_add_u64 v[2:3], v[2:3], 0, v[24:25]
	s_waitcnt lgkmcnt(14)
	global_store_short v[2:3], v52, off
	s_or_b64 exec, exec, s[0:1]
	v_cmp_gt_u32_e32 vcc, s33, v49
	s_and_saveexec_b64 s[0:1], vcc
	s_cbranch_execz .LBB362_128
.LBB362_163:
	v_cmp_lt_u32_e32 vcc, v49, v8
	v_lshlrev_b32_e32 v24, 1, v49
	v_mov_b32_e32 v25, 0
	v_cndmask_b32_e32 v3, v7, v11, vcc
	v_cndmask_b32_e32 v2, v6, v10, vcc
	v_lshl_add_u64 v[2:3], v[2:3], 0, v[24:25]
	s_waitcnt lgkmcnt(14)
	global_store_short v[2:3], v50, off
	s_or_b64 exec, exec, s[0:1]
	v_cmp_gt_u32_e32 vcc, s33, v47
	s_and_saveexec_b64 s[0:1], vcc
	s_cbranch_execz .LBB362_129
.LBB362_164:
	v_cmp_lt_u32_e32 vcc, v47, v8
	v_lshlrev_b32_e32 v24, 1, v47
	v_mov_b32_e32 v25, 0
	v_cndmask_b32_e32 v3, v7, v11, vcc
	v_cndmask_b32_e32 v2, v6, v10, vcc
	v_lshl_add_u64 v[2:3], v[2:3], 0, v[24:25]
	s_waitcnt lgkmcnt(14)
	global_store_short v[2:3], v48, off
	s_or_b64 exec, exec, s[0:1]
	v_cmp_gt_u32_e32 vcc, s33, v45
	s_and_saveexec_b64 s[0:1], vcc
	s_cbranch_execz .LBB362_130
.LBB362_165:
	v_cmp_lt_u32_e32 vcc, v45, v8
	v_lshlrev_b32_e32 v24, 1, v45
	v_mov_b32_e32 v25, 0
	v_cndmask_b32_e32 v3, v7, v11, vcc
	v_cndmask_b32_e32 v2, v6, v10, vcc
	v_lshl_add_u64 v[2:3], v[2:3], 0, v[24:25]
	s_waitcnt lgkmcnt(14)
	global_store_short v[2:3], v46, off
	s_or_b64 exec, exec, s[0:1]
	v_cmp_gt_u32_e32 vcc, s33, v43
	s_and_saveexec_b64 s[0:1], vcc
	s_cbranch_execz .LBB362_131
.LBB362_166:
	v_cmp_lt_u32_e32 vcc, v43, v8
	v_lshlrev_b32_e32 v24, 1, v43
	v_mov_b32_e32 v25, 0
	v_cndmask_b32_e32 v3, v7, v11, vcc
	v_cndmask_b32_e32 v2, v6, v10, vcc
	v_lshl_add_u64 v[2:3], v[2:3], 0, v[24:25]
	s_waitcnt lgkmcnt(14)
	global_store_short v[2:3], v44, off
	s_or_b64 exec, exec, s[0:1]
	v_cmp_gt_u32_e32 vcc, s33, v41
	s_and_saveexec_b64 s[0:1], vcc
	s_cbranch_execz .LBB362_132
.LBB362_167:
	v_cmp_lt_u32_e32 vcc, v41, v8
	v_lshlrev_b32_e32 v24, 1, v41
	v_mov_b32_e32 v25, 0
	v_cndmask_b32_e32 v3, v7, v11, vcc
	v_cndmask_b32_e32 v2, v6, v10, vcc
	v_lshl_add_u64 v[2:3], v[2:3], 0, v[24:25]
	s_waitcnt lgkmcnt(14)
	global_store_short v[2:3], v42, off
	s_or_b64 exec, exec, s[0:1]
	v_cmp_gt_u32_e32 vcc, s33, v39
	s_and_saveexec_b64 s[0:1], vcc
	s_cbranch_execz .LBB362_133
.LBB362_168:
	v_cmp_lt_u32_e32 vcc, v39, v8
	v_lshlrev_b32_e32 v24, 1, v39
	v_mov_b32_e32 v25, 0
	v_cndmask_b32_e32 v3, v7, v11, vcc
	v_cndmask_b32_e32 v2, v6, v10, vcc
	v_lshl_add_u64 v[2:3], v[2:3], 0, v[24:25]
	s_waitcnt lgkmcnt(13)
	global_store_short v[2:3], v40, off
	s_or_b64 exec, exec, s[0:1]
	v_cmp_gt_u32_e32 vcc, s33, v37
	s_and_saveexec_b64 s[0:1], vcc
	s_cbranch_execz .LBB362_134
.LBB362_169:
	v_cmp_lt_u32_e32 vcc, v37, v8
	v_lshlrev_b32_e32 v24, 1, v37
	v_mov_b32_e32 v25, 0
	v_cndmask_b32_e32 v3, v7, v11, vcc
	v_cndmask_b32_e32 v2, v6, v10, vcc
	v_lshl_add_u64 v[2:3], v[2:3], 0, v[24:25]
	s_waitcnt lgkmcnt(12)
	global_store_short v[2:3], v38, off
	s_or_b64 exec, exec, s[0:1]
	v_cmp_gt_u32_e32 vcc, s33, v35
	s_and_saveexec_b64 s[0:1], vcc
	s_cbranch_execz .LBB362_135
.LBB362_170:
	v_cmp_lt_u32_e32 vcc, v35, v8
	v_lshlrev_b32_e32 v24, 1, v35
	v_mov_b32_e32 v25, 0
	v_cndmask_b32_e32 v3, v7, v11, vcc
	v_cndmask_b32_e32 v2, v6, v10, vcc
	v_lshl_add_u64 v[2:3], v[2:3], 0, v[24:25]
	s_waitcnt lgkmcnt(11)
	global_store_short v[2:3], v36, off
	s_or_b64 exec, exec, s[0:1]
	v_cmp_gt_u32_e32 vcc, s33, v33
	s_and_saveexec_b64 s[0:1], vcc
	s_cbranch_execz .LBB362_136
.LBB362_171:
	v_cmp_lt_u32_e32 vcc, v33, v8
	v_lshlrev_b32_e32 v24, 1, v33
	v_mov_b32_e32 v25, 0
	v_cndmask_b32_e32 v3, v7, v11, vcc
	v_cndmask_b32_e32 v2, v6, v10, vcc
	v_lshl_add_u64 v[2:3], v[2:3], 0, v[24:25]
	s_waitcnt lgkmcnt(10)
	global_store_short v[2:3], v34, off
	s_or_b64 exec, exec, s[0:1]
	v_cmp_gt_u32_e32 vcc, s33, v31
	s_and_saveexec_b64 s[0:1], vcc
	s_cbranch_execz .LBB362_137
.LBB362_172:
	v_cmp_lt_u32_e32 vcc, v31, v8
	v_lshlrev_b32_e32 v24, 1, v31
	v_mov_b32_e32 v25, 0
	v_cndmask_b32_e32 v3, v7, v11, vcc
	v_cndmask_b32_e32 v2, v6, v10, vcc
	v_lshl_add_u64 v[2:3], v[2:3], 0, v[24:25]
	s_waitcnt lgkmcnt(9)
	global_store_short v[2:3], v32, off
	s_or_b64 exec, exec, s[0:1]
	v_cmp_gt_u32_e32 vcc, s33, v29
	s_and_saveexec_b64 s[0:1], vcc
	s_cbranch_execz .LBB362_138
.LBB362_173:
	v_cmp_lt_u32_e32 vcc, v29, v8
	v_lshlrev_b32_e32 v24, 1, v29
	v_mov_b32_e32 v25, 0
	v_cndmask_b32_e32 v3, v7, v11, vcc
	v_cndmask_b32_e32 v2, v6, v10, vcc
	v_lshl_add_u64 v[2:3], v[2:3], 0, v[24:25]
	s_waitcnt lgkmcnt(8)
	global_store_short v[2:3], v30, off
	s_or_b64 exec, exec, s[0:1]
	v_cmp_gt_u32_e32 vcc, s33, v27
	s_and_saveexec_b64 s[0:1], vcc
	s_cbranch_execz .LBB362_139
.LBB362_174:
	v_cmp_lt_u32_e32 vcc, v27, v8
	v_lshlrev_b32_e32 v24, 1, v27
	v_mov_b32_e32 v25, 0
	v_cndmask_b32_e32 v3, v7, v11, vcc
	v_cndmask_b32_e32 v2, v6, v10, vcc
	v_lshl_add_u64 v[2:3], v[2:3], 0, v[24:25]
	s_waitcnt lgkmcnt(7)
	global_store_short v[2:3], v28, off
	s_or_b64 exec, exec, s[0:1]
	v_cmp_gt_u32_e32 vcc, s33, v23
	s_and_saveexec_b64 s[0:1], vcc
	s_cbranch_execz .LBB362_140
.LBB362_175:
	v_cmp_lt_u32_e32 vcc, v23, v8
	v_lshlrev_b32_e32 v24, 1, v23
	v_mov_b32_e32 v25, 0
	v_cndmask_b32_e32 v3, v7, v11, vcc
	v_cndmask_b32_e32 v2, v6, v10, vcc
	v_lshl_add_u64 v[2:3], v[2:3], 0, v[24:25]
	s_waitcnt lgkmcnt(6)
	global_store_short v[2:3], v26, off
	s_or_b64 exec, exec, s[0:1]
	v_cmp_gt_u32_e32 vcc, s33, v21
	s_and_saveexec_b64 s[0:1], vcc
	s_cbranch_execz .LBB362_141
.LBB362_176:
	v_cmp_lt_u32_e32 vcc, v21, v8
	v_lshlrev_b32_e32 v24, 1, v21
	v_mov_b32_e32 v25, 0
	v_cndmask_b32_e32 v3, v7, v11, vcc
	v_cndmask_b32_e32 v2, v6, v10, vcc
	v_lshl_add_u64 v[2:3], v[2:3], 0, v[24:25]
	s_waitcnt lgkmcnt(5)
	global_store_short v[2:3], v22, off
	s_or_b64 exec, exec, s[0:1]
	v_cmp_gt_u32_e32 vcc, s33, v19
	s_and_saveexec_b64 s[0:1], vcc
	s_cbranch_execz .LBB362_142
.LBB362_177:
	v_cmp_lt_u32_e32 vcc, v19, v8
	s_waitcnt lgkmcnt(5)
	v_lshlrev_b32_e32 v22, 1, v19
	v_mov_b32_e32 v23, 0
	v_cndmask_b32_e32 v3, v7, v11, vcc
	v_cndmask_b32_e32 v2, v6, v10, vcc
	v_lshl_add_u64 v[2:3], v[2:3], 0, v[22:23]
	s_waitcnt lgkmcnt(4)
	global_store_short v[2:3], v20, off
	s_or_b64 exec, exec, s[0:1]
	v_cmp_gt_u32_e32 vcc, s33, v17
	s_and_saveexec_b64 s[0:1], vcc
	s_cbranch_execz .LBB362_143
.LBB362_178:
	v_cmp_lt_u32_e32 vcc, v17, v8
	s_waitcnt lgkmcnt(4)
	v_lshlrev_b32_e32 v20, 1, v17
	v_mov_b32_e32 v21, 0
	v_cndmask_b32_e32 v3, v7, v11, vcc
	v_cndmask_b32_e32 v2, v6, v10, vcc
	v_lshl_add_u64 v[2:3], v[2:3], 0, v[20:21]
	s_waitcnt lgkmcnt(3)
	global_store_short v[2:3], v18, off
	s_or_b64 exec, exec, s[0:1]
	v_cmp_gt_u32_e32 vcc, s33, v15
	s_and_saveexec_b64 s[0:1], vcc
	s_cbranch_execz .LBB362_144
.LBB362_179:
	v_cmp_lt_u32_e32 vcc, v15, v8
	s_waitcnt lgkmcnt(3)
	v_lshlrev_b32_e32 v18, 1, v15
	v_mov_b32_e32 v19, 0
	v_cndmask_b32_e32 v3, v7, v11, vcc
	v_cndmask_b32_e32 v2, v6, v10, vcc
	v_lshl_add_u64 v[2:3], v[2:3], 0, v[18:19]
	s_waitcnt lgkmcnt(2)
	global_store_short v[2:3], v16, off
	s_or_b64 exec, exec, s[0:1]
	v_cmp_gt_u32_e32 vcc, s33, v13
	s_and_saveexec_b64 s[0:1], vcc
	s_cbranch_execnz .LBB362_145
	s_branch .LBB362_146
	.section	.rodata,"a",@progbits
	.p2align	6, 0x0
	.amdhsa_kernel _ZN7rocprim17ROCPRIM_400000_NS6detail17trampoline_kernelINS0_14default_configENS1_25partition_config_selectorILNS1_17partition_subalgoE0EsNS0_10empty_typeEbEEZZNS1_14partition_implILS5_0ELb0ES3_jN6thrust23THRUST_200600_302600_NS6detail15normal_iteratorINSA_10device_ptrIsEEEEPS6_SG_NS0_5tupleIJSF_SF_EEENSH_IJSG_SG_EEES6_PlJ7is_evenIsEEEE10hipError_tPvRmT3_T4_T5_T6_T7_T9_mT8_P12ihipStream_tbDpT10_ENKUlT_T0_E_clISt17integral_constantIbLb1EES16_EEDaS11_S12_EUlS11_E_NS1_11comp_targetILNS1_3genE5ELNS1_11target_archE942ELNS1_3gpuE9ELNS1_3repE0EEENS1_30default_config_static_selectorELNS0_4arch9wavefront6targetE1EEEvT1_
		.amdhsa_group_segment_fixed_size 30728
		.amdhsa_private_segment_fixed_size 0
		.amdhsa_kernarg_size 136
		.amdhsa_user_sgpr_count 2
		.amdhsa_user_sgpr_dispatch_ptr 0
		.amdhsa_user_sgpr_queue_ptr 0
		.amdhsa_user_sgpr_kernarg_segment_ptr 1
		.amdhsa_user_sgpr_dispatch_id 0
		.amdhsa_user_sgpr_kernarg_preload_length 0
		.amdhsa_user_sgpr_kernarg_preload_offset 0
		.amdhsa_user_sgpr_private_segment_size 0
		.amdhsa_uses_dynamic_stack 0
		.amdhsa_enable_private_segment 0
		.amdhsa_system_sgpr_workgroup_id_x 1
		.amdhsa_system_sgpr_workgroup_id_y 0
		.amdhsa_system_sgpr_workgroup_id_z 0
		.amdhsa_system_sgpr_workgroup_info 0
		.amdhsa_system_vgpr_workitem_id 0
		.amdhsa_next_free_vgpr 124
		.amdhsa_next_free_sgpr 44
		.amdhsa_accum_offset 124
		.amdhsa_reserve_vcc 1
		.amdhsa_float_round_mode_32 0
		.amdhsa_float_round_mode_16_64 0
		.amdhsa_float_denorm_mode_32 3
		.amdhsa_float_denorm_mode_16_64 3
		.amdhsa_dx10_clamp 1
		.amdhsa_ieee_mode 1
		.amdhsa_fp16_overflow 0
		.amdhsa_tg_split 0
		.amdhsa_exception_fp_ieee_invalid_op 0
		.amdhsa_exception_fp_denorm_src 0
		.amdhsa_exception_fp_ieee_div_zero 0
		.amdhsa_exception_fp_ieee_overflow 0
		.amdhsa_exception_fp_ieee_underflow 0
		.amdhsa_exception_fp_ieee_inexact 0
		.amdhsa_exception_int_div_zero 0
	.end_amdhsa_kernel
	.section	.text._ZN7rocprim17ROCPRIM_400000_NS6detail17trampoline_kernelINS0_14default_configENS1_25partition_config_selectorILNS1_17partition_subalgoE0EsNS0_10empty_typeEbEEZZNS1_14partition_implILS5_0ELb0ES3_jN6thrust23THRUST_200600_302600_NS6detail15normal_iteratorINSA_10device_ptrIsEEEEPS6_SG_NS0_5tupleIJSF_SF_EEENSH_IJSG_SG_EEES6_PlJ7is_evenIsEEEE10hipError_tPvRmT3_T4_T5_T6_T7_T9_mT8_P12ihipStream_tbDpT10_ENKUlT_T0_E_clISt17integral_constantIbLb1EES16_EEDaS11_S12_EUlS11_E_NS1_11comp_targetILNS1_3genE5ELNS1_11target_archE942ELNS1_3gpuE9ELNS1_3repE0EEENS1_30default_config_static_selectorELNS0_4arch9wavefront6targetE1EEEvT1_,"axG",@progbits,_ZN7rocprim17ROCPRIM_400000_NS6detail17trampoline_kernelINS0_14default_configENS1_25partition_config_selectorILNS1_17partition_subalgoE0EsNS0_10empty_typeEbEEZZNS1_14partition_implILS5_0ELb0ES3_jN6thrust23THRUST_200600_302600_NS6detail15normal_iteratorINSA_10device_ptrIsEEEEPS6_SG_NS0_5tupleIJSF_SF_EEENSH_IJSG_SG_EEES6_PlJ7is_evenIsEEEE10hipError_tPvRmT3_T4_T5_T6_T7_T9_mT8_P12ihipStream_tbDpT10_ENKUlT_T0_E_clISt17integral_constantIbLb1EES16_EEDaS11_S12_EUlS11_E_NS1_11comp_targetILNS1_3genE5ELNS1_11target_archE942ELNS1_3gpuE9ELNS1_3repE0EEENS1_30default_config_static_selectorELNS0_4arch9wavefront6targetE1EEEvT1_,comdat
.Lfunc_end362:
	.size	_ZN7rocprim17ROCPRIM_400000_NS6detail17trampoline_kernelINS0_14default_configENS1_25partition_config_selectorILNS1_17partition_subalgoE0EsNS0_10empty_typeEbEEZZNS1_14partition_implILS5_0ELb0ES3_jN6thrust23THRUST_200600_302600_NS6detail15normal_iteratorINSA_10device_ptrIsEEEEPS6_SG_NS0_5tupleIJSF_SF_EEENSH_IJSG_SG_EEES6_PlJ7is_evenIsEEEE10hipError_tPvRmT3_T4_T5_T6_T7_T9_mT8_P12ihipStream_tbDpT10_ENKUlT_T0_E_clISt17integral_constantIbLb1EES16_EEDaS11_S12_EUlS11_E_NS1_11comp_targetILNS1_3genE5ELNS1_11target_archE942ELNS1_3gpuE9ELNS1_3repE0EEENS1_30default_config_static_selectorELNS0_4arch9wavefront6targetE1EEEvT1_, .Lfunc_end362-_ZN7rocprim17ROCPRIM_400000_NS6detail17trampoline_kernelINS0_14default_configENS1_25partition_config_selectorILNS1_17partition_subalgoE0EsNS0_10empty_typeEbEEZZNS1_14partition_implILS5_0ELb0ES3_jN6thrust23THRUST_200600_302600_NS6detail15normal_iteratorINSA_10device_ptrIsEEEEPS6_SG_NS0_5tupleIJSF_SF_EEENSH_IJSG_SG_EEES6_PlJ7is_evenIsEEEE10hipError_tPvRmT3_T4_T5_T6_T7_T9_mT8_P12ihipStream_tbDpT10_ENKUlT_T0_E_clISt17integral_constantIbLb1EES16_EEDaS11_S12_EUlS11_E_NS1_11comp_targetILNS1_3genE5ELNS1_11target_archE942ELNS1_3gpuE9ELNS1_3repE0EEENS1_30default_config_static_selectorELNS0_4arch9wavefront6targetE1EEEvT1_
                                        ; -- End function
	.section	.AMDGPU.csdata,"",@progbits
; Kernel info:
; codeLenInByte = 11072
; NumSgprs: 50
; NumVgprs: 124
; NumAgprs: 0
; TotalNumVgprs: 124
; ScratchSize: 0
; MemoryBound: 0
; FloatMode: 240
; IeeeMode: 1
; LDSByteSize: 30728 bytes/workgroup (compile time only)
; SGPRBlocks: 6
; VGPRBlocks: 15
; NumSGPRsForWavesPerEU: 50
; NumVGPRsForWavesPerEU: 124
; AccumOffset: 124
; Occupancy: 4
; WaveLimiterHint : 1
; COMPUTE_PGM_RSRC2:SCRATCH_EN: 0
; COMPUTE_PGM_RSRC2:USER_SGPR: 2
; COMPUTE_PGM_RSRC2:TRAP_HANDLER: 0
; COMPUTE_PGM_RSRC2:TGID_X_EN: 1
; COMPUTE_PGM_RSRC2:TGID_Y_EN: 0
; COMPUTE_PGM_RSRC2:TGID_Z_EN: 0
; COMPUTE_PGM_RSRC2:TIDIG_COMP_CNT: 0
; COMPUTE_PGM_RSRC3_GFX90A:ACCUM_OFFSET: 30
; COMPUTE_PGM_RSRC3_GFX90A:TG_SPLIT: 0
	.section	.text._ZN7rocprim17ROCPRIM_400000_NS6detail17trampoline_kernelINS0_14default_configENS1_25partition_config_selectorILNS1_17partition_subalgoE0EsNS0_10empty_typeEbEEZZNS1_14partition_implILS5_0ELb0ES3_jN6thrust23THRUST_200600_302600_NS6detail15normal_iteratorINSA_10device_ptrIsEEEEPS6_SG_NS0_5tupleIJSF_SF_EEENSH_IJSG_SG_EEES6_PlJ7is_evenIsEEEE10hipError_tPvRmT3_T4_T5_T6_T7_T9_mT8_P12ihipStream_tbDpT10_ENKUlT_T0_E_clISt17integral_constantIbLb1EES16_EEDaS11_S12_EUlS11_E_NS1_11comp_targetILNS1_3genE4ELNS1_11target_archE910ELNS1_3gpuE8ELNS1_3repE0EEENS1_30default_config_static_selectorELNS0_4arch9wavefront6targetE1EEEvT1_,"axG",@progbits,_ZN7rocprim17ROCPRIM_400000_NS6detail17trampoline_kernelINS0_14default_configENS1_25partition_config_selectorILNS1_17partition_subalgoE0EsNS0_10empty_typeEbEEZZNS1_14partition_implILS5_0ELb0ES3_jN6thrust23THRUST_200600_302600_NS6detail15normal_iteratorINSA_10device_ptrIsEEEEPS6_SG_NS0_5tupleIJSF_SF_EEENSH_IJSG_SG_EEES6_PlJ7is_evenIsEEEE10hipError_tPvRmT3_T4_T5_T6_T7_T9_mT8_P12ihipStream_tbDpT10_ENKUlT_T0_E_clISt17integral_constantIbLb1EES16_EEDaS11_S12_EUlS11_E_NS1_11comp_targetILNS1_3genE4ELNS1_11target_archE910ELNS1_3gpuE8ELNS1_3repE0EEENS1_30default_config_static_selectorELNS0_4arch9wavefront6targetE1EEEvT1_,comdat
	.protected	_ZN7rocprim17ROCPRIM_400000_NS6detail17trampoline_kernelINS0_14default_configENS1_25partition_config_selectorILNS1_17partition_subalgoE0EsNS0_10empty_typeEbEEZZNS1_14partition_implILS5_0ELb0ES3_jN6thrust23THRUST_200600_302600_NS6detail15normal_iteratorINSA_10device_ptrIsEEEEPS6_SG_NS0_5tupleIJSF_SF_EEENSH_IJSG_SG_EEES6_PlJ7is_evenIsEEEE10hipError_tPvRmT3_T4_T5_T6_T7_T9_mT8_P12ihipStream_tbDpT10_ENKUlT_T0_E_clISt17integral_constantIbLb1EES16_EEDaS11_S12_EUlS11_E_NS1_11comp_targetILNS1_3genE4ELNS1_11target_archE910ELNS1_3gpuE8ELNS1_3repE0EEENS1_30default_config_static_selectorELNS0_4arch9wavefront6targetE1EEEvT1_ ; -- Begin function _ZN7rocprim17ROCPRIM_400000_NS6detail17trampoline_kernelINS0_14default_configENS1_25partition_config_selectorILNS1_17partition_subalgoE0EsNS0_10empty_typeEbEEZZNS1_14partition_implILS5_0ELb0ES3_jN6thrust23THRUST_200600_302600_NS6detail15normal_iteratorINSA_10device_ptrIsEEEEPS6_SG_NS0_5tupleIJSF_SF_EEENSH_IJSG_SG_EEES6_PlJ7is_evenIsEEEE10hipError_tPvRmT3_T4_T5_T6_T7_T9_mT8_P12ihipStream_tbDpT10_ENKUlT_T0_E_clISt17integral_constantIbLb1EES16_EEDaS11_S12_EUlS11_E_NS1_11comp_targetILNS1_3genE4ELNS1_11target_archE910ELNS1_3gpuE8ELNS1_3repE0EEENS1_30default_config_static_selectorELNS0_4arch9wavefront6targetE1EEEvT1_
	.globl	_ZN7rocprim17ROCPRIM_400000_NS6detail17trampoline_kernelINS0_14default_configENS1_25partition_config_selectorILNS1_17partition_subalgoE0EsNS0_10empty_typeEbEEZZNS1_14partition_implILS5_0ELb0ES3_jN6thrust23THRUST_200600_302600_NS6detail15normal_iteratorINSA_10device_ptrIsEEEEPS6_SG_NS0_5tupleIJSF_SF_EEENSH_IJSG_SG_EEES6_PlJ7is_evenIsEEEE10hipError_tPvRmT3_T4_T5_T6_T7_T9_mT8_P12ihipStream_tbDpT10_ENKUlT_T0_E_clISt17integral_constantIbLb1EES16_EEDaS11_S12_EUlS11_E_NS1_11comp_targetILNS1_3genE4ELNS1_11target_archE910ELNS1_3gpuE8ELNS1_3repE0EEENS1_30default_config_static_selectorELNS0_4arch9wavefront6targetE1EEEvT1_
	.p2align	8
	.type	_ZN7rocprim17ROCPRIM_400000_NS6detail17trampoline_kernelINS0_14default_configENS1_25partition_config_selectorILNS1_17partition_subalgoE0EsNS0_10empty_typeEbEEZZNS1_14partition_implILS5_0ELb0ES3_jN6thrust23THRUST_200600_302600_NS6detail15normal_iteratorINSA_10device_ptrIsEEEEPS6_SG_NS0_5tupleIJSF_SF_EEENSH_IJSG_SG_EEES6_PlJ7is_evenIsEEEE10hipError_tPvRmT3_T4_T5_T6_T7_T9_mT8_P12ihipStream_tbDpT10_ENKUlT_T0_E_clISt17integral_constantIbLb1EES16_EEDaS11_S12_EUlS11_E_NS1_11comp_targetILNS1_3genE4ELNS1_11target_archE910ELNS1_3gpuE8ELNS1_3repE0EEENS1_30default_config_static_selectorELNS0_4arch9wavefront6targetE1EEEvT1_,@function
_ZN7rocprim17ROCPRIM_400000_NS6detail17trampoline_kernelINS0_14default_configENS1_25partition_config_selectorILNS1_17partition_subalgoE0EsNS0_10empty_typeEbEEZZNS1_14partition_implILS5_0ELb0ES3_jN6thrust23THRUST_200600_302600_NS6detail15normal_iteratorINSA_10device_ptrIsEEEEPS6_SG_NS0_5tupleIJSF_SF_EEENSH_IJSG_SG_EEES6_PlJ7is_evenIsEEEE10hipError_tPvRmT3_T4_T5_T6_T7_T9_mT8_P12ihipStream_tbDpT10_ENKUlT_T0_E_clISt17integral_constantIbLb1EES16_EEDaS11_S12_EUlS11_E_NS1_11comp_targetILNS1_3genE4ELNS1_11target_archE910ELNS1_3gpuE8ELNS1_3repE0EEENS1_30default_config_static_selectorELNS0_4arch9wavefront6targetE1EEEvT1_: ; @_ZN7rocprim17ROCPRIM_400000_NS6detail17trampoline_kernelINS0_14default_configENS1_25partition_config_selectorILNS1_17partition_subalgoE0EsNS0_10empty_typeEbEEZZNS1_14partition_implILS5_0ELb0ES3_jN6thrust23THRUST_200600_302600_NS6detail15normal_iteratorINSA_10device_ptrIsEEEEPS6_SG_NS0_5tupleIJSF_SF_EEENSH_IJSG_SG_EEES6_PlJ7is_evenIsEEEE10hipError_tPvRmT3_T4_T5_T6_T7_T9_mT8_P12ihipStream_tbDpT10_ENKUlT_T0_E_clISt17integral_constantIbLb1EES16_EEDaS11_S12_EUlS11_E_NS1_11comp_targetILNS1_3genE4ELNS1_11target_archE910ELNS1_3gpuE8ELNS1_3repE0EEENS1_30default_config_static_selectorELNS0_4arch9wavefront6targetE1EEEvT1_
; %bb.0:
	.section	.rodata,"a",@progbits
	.p2align	6, 0x0
	.amdhsa_kernel _ZN7rocprim17ROCPRIM_400000_NS6detail17trampoline_kernelINS0_14default_configENS1_25partition_config_selectorILNS1_17partition_subalgoE0EsNS0_10empty_typeEbEEZZNS1_14partition_implILS5_0ELb0ES3_jN6thrust23THRUST_200600_302600_NS6detail15normal_iteratorINSA_10device_ptrIsEEEEPS6_SG_NS0_5tupleIJSF_SF_EEENSH_IJSG_SG_EEES6_PlJ7is_evenIsEEEE10hipError_tPvRmT3_T4_T5_T6_T7_T9_mT8_P12ihipStream_tbDpT10_ENKUlT_T0_E_clISt17integral_constantIbLb1EES16_EEDaS11_S12_EUlS11_E_NS1_11comp_targetILNS1_3genE4ELNS1_11target_archE910ELNS1_3gpuE8ELNS1_3repE0EEENS1_30default_config_static_selectorELNS0_4arch9wavefront6targetE1EEEvT1_
		.amdhsa_group_segment_fixed_size 0
		.amdhsa_private_segment_fixed_size 0
		.amdhsa_kernarg_size 136
		.amdhsa_user_sgpr_count 2
		.amdhsa_user_sgpr_dispatch_ptr 0
		.amdhsa_user_sgpr_queue_ptr 0
		.amdhsa_user_sgpr_kernarg_segment_ptr 1
		.amdhsa_user_sgpr_dispatch_id 0
		.amdhsa_user_sgpr_kernarg_preload_length 0
		.amdhsa_user_sgpr_kernarg_preload_offset 0
		.amdhsa_user_sgpr_private_segment_size 0
		.amdhsa_uses_dynamic_stack 0
		.amdhsa_enable_private_segment 0
		.amdhsa_system_sgpr_workgroup_id_x 1
		.amdhsa_system_sgpr_workgroup_id_y 0
		.amdhsa_system_sgpr_workgroup_id_z 0
		.amdhsa_system_sgpr_workgroup_info 0
		.amdhsa_system_vgpr_workitem_id 0
		.amdhsa_next_free_vgpr 1
		.amdhsa_next_free_sgpr 0
		.amdhsa_accum_offset 4
		.amdhsa_reserve_vcc 0
		.amdhsa_float_round_mode_32 0
		.amdhsa_float_round_mode_16_64 0
		.amdhsa_float_denorm_mode_32 3
		.amdhsa_float_denorm_mode_16_64 3
		.amdhsa_dx10_clamp 1
		.amdhsa_ieee_mode 1
		.amdhsa_fp16_overflow 0
		.amdhsa_tg_split 0
		.amdhsa_exception_fp_ieee_invalid_op 0
		.amdhsa_exception_fp_denorm_src 0
		.amdhsa_exception_fp_ieee_div_zero 0
		.amdhsa_exception_fp_ieee_overflow 0
		.amdhsa_exception_fp_ieee_underflow 0
		.amdhsa_exception_fp_ieee_inexact 0
		.amdhsa_exception_int_div_zero 0
	.end_amdhsa_kernel
	.section	.text._ZN7rocprim17ROCPRIM_400000_NS6detail17trampoline_kernelINS0_14default_configENS1_25partition_config_selectorILNS1_17partition_subalgoE0EsNS0_10empty_typeEbEEZZNS1_14partition_implILS5_0ELb0ES3_jN6thrust23THRUST_200600_302600_NS6detail15normal_iteratorINSA_10device_ptrIsEEEEPS6_SG_NS0_5tupleIJSF_SF_EEENSH_IJSG_SG_EEES6_PlJ7is_evenIsEEEE10hipError_tPvRmT3_T4_T5_T6_T7_T9_mT8_P12ihipStream_tbDpT10_ENKUlT_T0_E_clISt17integral_constantIbLb1EES16_EEDaS11_S12_EUlS11_E_NS1_11comp_targetILNS1_3genE4ELNS1_11target_archE910ELNS1_3gpuE8ELNS1_3repE0EEENS1_30default_config_static_selectorELNS0_4arch9wavefront6targetE1EEEvT1_,"axG",@progbits,_ZN7rocprim17ROCPRIM_400000_NS6detail17trampoline_kernelINS0_14default_configENS1_25partition_config_selectorILNS1_17partition_subalgoE0EsNS0_10empty_typeEbEEZZNS1_14partition_implILS5_0ELb0ES3_jN6thrust23THRUST_200600_302600_NS6detail15normal_iteratorINSA_10device_ptrIsEEEEPS6_SG_NS0_5tupleIJSF_SF_EEENSH_IJSG_SG_EEES6_PlJ7is_evenIsEEEE10hipError_tPvRmT3_T4_T5_T6_T7_T9_mT8_P12ihipStream_tbDpT10_ENKUlT_T0_E_clISt17integral_constantIbLb1EES16_EEDaS11_S12_EUlS11_E_NS1_11comp_targetILNS1_3genE4ELNS1_11target_archE910ELNS1_3gpuE8ELNS1_3repE0EEENS1_30default_config_static_selectorELNS0_4arch9wavefront6targetE1EEEvT1_,comdat
.Lfunc_end363:
	.size	_ZN7rocprim17ROCPRIM_400000_NS6detail17trampoline_kernelINS0_14default_configENS1_25partition_config_selectorILNS1_17partition_subalgoE0EsNS0_10empty_typeEbEEZZNS1_14partition_implILS5_0ELb0ES3_jN6thrust23THRUST_200600_302600_NS6detail15normal_iteratorINSA_10device_ptrIsEEEEPS6_SG_NS0_5tupleIJSF_SF_EEENSH_IJSG_SG_EEES6_PlJ7is_evenIsEEEE10hipError_tPvRmT3_T4_T5_T6_T7_T9_mT8_P12ihipStream_tbDpT10_ENKUlT_T0_E_clISt17integral_constantIbLb1EES16_EEDaS11_S12_EUlS11_E_NS1_11comp_targetILNS1_3genE4ELNS1_11target_archE910ELNS1_3gpuE8ELNS1_3repE0EEENS1_30default_config_static_selectorELNS0_4arch9wavefront6targetE1EEEvT1_, .Lfunc_end363-_ZN7rocprim17ROCPRIM_400000_NS6detail17trampoline_kernelINS0_14default_configENS1_25partition_config_selectorILNS1_17partition_subalgoE0EsNS0_10empty_typeEbEEZZNS1_14partition_implILS5_0ELb0ES3_jN6thrust23THRUST_200600_302600_NS6detail15normal_iteratorINSA_10device_ptrIsEEEEPS6_SG_NS0_5tupleIJSF_SF_EEENSH_IJSG_SG_EEES6_PlJ7is_evenIsEEEE10hipError_tPvRmT3_T4_T5_T6_T7_T9_mT8_P12ihipStream_tbDpT10_ENKUlT_T0_E_clISt17integral_constantIbLb1EES16_EEDaS11_S12_EUlS11_E_NS1_11comp_targetILNS1_3genE4ELNS1_11target_archE910ELNS1_3gpuE8ELNS1_3repE0EEENS1_30default_config_static_selectorELNS0_4arch9wavefront6targetE1EEEvT1_
                                        ; -- End function
	.section	.AMDGPU.csdata,"",@progbits
; Kernel info:
; codeLenInByte = 0
; NumSgprs: 6
; NumVgprs: 0
; NumAgprs: 0
; TotalNumVgprs: 0
; ScratchSize: 0
; MemoryBound: 0
; FloatMode: 240
; IeeeMode: 1
; LDSByteSize: 0 bytes/workgroup (compile time only)
; SGPRBlocks: 0
; VGPRBlocks: 0
; NumSGPRsForWavesPerEU: 6
; NumVGPRsForWavesPerEU: 1
; AccumOffset: 4
; Occupancy: 8
; WaveLimiterHint : 0
; COMPUTE_PGM_RSRC2:SCRATCH_EN: 0
; COMPUTE_PGM_RSRC2:USER_SGPR: 2
; COMPUTE_PGM_RSRC2:TRAP_HANDLER: 0
; COMPUTE_PGM_RSRC2:TGID_X_EN: 1
; COMPUTE_PGM_RSRC2:TGID_Y_EN: 0
; COMPUTE_PGM_RSRC2:TGID_Z_EN: 0
; COMPUTE_PGM_RSRC2:TIDIG_COMP_CNT: 0
; COMPUTE_PGM_RSRC3_GFX90A:ACCUM_OFFSET: 0
; COMPUTE_PGM_RSRC3_GFX90A:TG_SPLIT: 0
	.section	.text._ZN7rocprim17ROCPRIM_400000_NS6detail17trampoline_kernelINS0_14default_configENS1_25partition_config_selectorILNS1_17partition_subalgoE0EsNS0_10empty_typeEbEEZZNS1_14partition_implILS5_0ELb0ES3_jN6thrust23THRUST_200600_302600_NS6detail15normal_iteratorINSA_10device_ptrIsEEEEPS6_SG_NS0_5tupleIJSF_SF_EEENSH_IJSG_SG_EEES6_PlJ7is_evenIsEEEE10hipError_tPvRmT3_T4_T5_T6_T7_T9_mT8_P12ihipStream_tbDpT10_ENKUlT_T0_E_clISt17integral_constantIbLb1EES16_EEDaS11_S12_EUlS11_E_NS1_11comp_targetILNS1_3genE3ELNS1_11target_archE908ELNS1_3gpuE7ELNS1_3repE0EEENS1_30default_config_static_selectorELNS0_4arch9wavefront6targetE1EEEvT1_,"axG",@progbits,_ZN7rocprim17ROCPRIM_400000_NS6detail17trampoline_kernelINS0_14default_configENS1_25partition_config_selectorILNS1_17partition_subalgoE0EsNS0_10empty_typeEbEEZZNS1_14partition_implILS5_0ELb0ES3_jN6thrust23THRUST_200600_302600_NS6detail15normal_iteratorINSA_10device_ptrIsEEEEPS6_SG_NS0_5tupleIJSF_SF_EEENSH_IJSG_SG_EEES6_PlJ7is_evenIsEEEE10hipError_tPvRmT3_T4_T5_T6_T7_T9_mT8_P12ihipStream_tbDpT10_ENKUlT_T0_E_clISt17integral_constantIbLb1EES16_EEDaS11_S12_EUlS11_E_NS1_11comp_targetILNS1_3genE3ELNS1_11target_archE908ELNS1_3gpuE7ELNS1_3repE0EEENS1_30default_config_static_selectorELNS0_4arch9wavefront6targetE1EEEvT1_,comdat
	.protected	_ZN7rocprim17ROCPRIM_400000_NS6detail17trampoline_kernelINS0_14default_configENS1_25partition_config_selectorILNS1_17partition_subalgoE0EsNS0_10empty_typeEbEEZZNS1_14partition_implILS5_0ELb0ES3_jN6thrust23THRUST_200600_302600_NS6detail15normal_iteratorINSA_10device_ptrIsEEEEPS6_SG_NS0_5tupleIJSF_SF_EEENSH_IJSG_SG_EEES6_PlJ7is_evenIsEEEE10hipError_tPvRmT3_T4_T5_T6_T7_T9_mT8_P12ihipStream_tbDpT10_ENKUlT_T0_E_clISt17integral_constantIbLb1EES16_EEDaS11_S12_EUlS11_E_NS1_11comp_targetILNS1_3genE3ELNS1_11target_archE908ELNS1_3gpuE7ELNS1_3repE0EEENS1_30default_config_static_selectorELNS0_4arch9wavefront6targetE1EEEvT1_ ; -- Begin function _ZN7rocprim17ROCPRIM_400000_NS6detail17trampoline_kernelINS0_14default_configENS1_25partition_config_selectorILNS1_17partition_subalgoE0EsNS0_10empty_typeEbEEZZNS1_14partition_implILS5_0ELb0ES3_jN6thrust23THRUST_200600_302600_NS6detail15normal_iteratorINSA_10device_ptrIsEEEEPS6_SG_NS0_5tupleIJSF_SF_EEENSH_IJSG_SG_EEES6_PlJ7is_evenIsEEEE10hipError_tPvRmT3_T4_T5_T6_T7_T9_mT8_P12ihipStream_tbDpT10_ENKUlT_T0_E_clISt17integral_constantIbLb1EES16_EEDaS11_S12_EUlS11_E_NS1_11comp_targetILNS1_3genE3ELNS1_11target_archE908ELNS1_3gpuE7ELNS1_3repE0EEENS1_30default_config_static_selectorELNS0_4arch9wavefront6targetE1EEEvT1_
	.globl	_ZN7rocprim17ROCPRIM_400000_NS6detail17trampoline_kernelINS0_14default_configENS1_25partition_config_selectorILNS1_17partition_subalgoE0EsNS0_10empty_typeEbEEZZNS1_14partition_implILS5_0ELb0ES3_jN6thrust23THRUST_200600_302600_NS6detail15normal_iteratorINSA_10device_ptrIsEEEEPS6_SG_NS0_5tupleIJSF_SF_EEENSH_IJSG_SG_EEES6_PlJ7is_evenIsEEEE10hipError_tPvRmT3_T4_T5_T6_T7_T9_mT8_P12ihipStream_tbDpT10_ENKUlT_T0_E_clISt17integral_constantIbLb1EES16_EEDaS11_S12_EUlS11_E_NS1_11comp_targetILNS1_3genE3ELNS1_11target_archE908ELNS1_3gpuE7ELNS1_3repE0EEENS1_30default_config_static_selectorELNS0_4arch9wavefront6targetE1EEEvT1_
	.p2align	8
	.type	_ZN7rocprim17ROCPRIM_400000_NS6detail17trampoline_kernelINS0_14default_configENS1_25partition_config_selectorILNS1_17partition_subalgoE0EsNS0_10empty_typeEbEEZZNS1_14partition_implILS5_0ELb0ES3_jN6thrust23THRUST_200600_302600_NS6detail15normal_iteratorINSA_10device_ptrIsEEEEPS6_SG_NS0_5tupleIJSF_SF_EEENSH_IJSG_SG_EEES6_PlJ7is_evenIsEEEE10hipError_tPvRmT3_T4_T5_T6_T7_T9_mT8_P12ihipStream_tbDpT10_ENKUlT_T0_E_clISt17integral_constantIbLb1EES16_EEDaS11_S12_EUlS11_E_NS1_11comp_targetILNS1_3genE3ELNS1_11target_archE908ELNS1_3gpuE7ELNS1_3repE0EEENS1_30default_config_static_selectorELNS0_4arch9wavefront6targetE1EEEvT1_,@function
_ZN7rocprim17ROCPRIM_400000_NS6detail17trampoline_kernelINS0_14default_configENS1_25partition_config_selectorILNS1_17partition_subalgoE0EsNS0_10empty_typeEbEEZZNS1_14partition_implILS5_0ELb0ES3_jN6thrust23THRUST_200600_302600_NS6detail15normal_iteratorINSA_10device_ptrIsEEEEPS6_SG_NS0_5tupleIJSF_SF_EEENSH_IJSG_SG_EEES6_PlJ7is_evenIsEEEE10hipError_tPvRmT3_T4_T5_T6_T7_T9_mT8_P12ihipStream_tbDpT10_ENKUlT_T0_E_clISt17integral_constantIbLb1EES16_EEDaS11_S12_EUlS11_E_NS1_11comp_targetILNS1_3genE3ELNS1_11target_archE908ELNS1_3gpuE7ELNS1_3repE0EEENS1_30default_config_static_selectorELNS0_4arch9wavefront6targetE1EEEvT1_: ; @_ZN7rocprim17ROCPRIM_400000_NS6detail17trampoline_kernelINS0_14default_configENS1_25partition_config_selectorILNS1_17partition_subalgoE0EsNS0_10empty_typeEbEEZZNS1_14partition_implILS5_0ELb0ES3_jN6thrust23THRUST_200600_302600_NS6detail15normal_iteratorINSA_10device_ptrIsEEEEPS6_SG_NS0_5tupleIJSF_SF_EEENSH_IJSG_SG_EEES6_PlJ7is_evenIsEEEE10hipError_tPvRmT3_T4_T5_T6_T7_T9_mT8_P12ihipStream_tbDpT10_ENKUlT_T0_E_clISt17integral_constantIbLb1EES16_EEDaS11_S12_EUlS11_E_NS1_11comp_targetILNS1_3genE3ELNS1_11target_archE908ELNS1_3gpuE7ELNS1_3repE0EEENS1_30default_config_static_selectorELNS0_4arch9wavefront6targetE1EEEvT1_
; %bb.0:
	.section	.rodata,"a",@progbits
	.p2align	6, 0x0
	.amdhsa_kernel _ZN7rocprim17ROCPRIM_400000_NS6detail17trampoline_kernelINS0_14default_configENS1_25partition_config_selectorILNS1_17partition_subalgoE0EsNS0_10empty_typeEbEEZZNS1_14partition_implILS5_0ELb0ES3_jN6thrust23THRUST_200600_302600_NS6detail15normal_iteratorINSA_10device_ptrIsEEEEPS6_SG_NS0_5tupleIJSF_SF_EEENSH_IJSG_SG_EEES6_PlJ7is_evenIsEEEE10hipError_tPvRmT3_T4_T5_T6_T7_T9_mT8_P12ihipStream_tbDpT10_ENKUlT_T0_E_clISt17integral_constantIbLb1EES16_EEDaS11_S12_EUlS11_E_NS1_11comp_targetILNS1_3genE3ELNS1_11target_archE908ELNS1_3gpuE7ELNS1_3repE0EEENS1_30default_config_static_selectorELNS0_4arch9wavefront6targetE1EEEvT1_
		.amdhsa_group_segment_fixed_size 0
		.amdhsa_private_segment_fixed_size 0
		.amdhsa_kernarg_size 136
		.amdhsa_user_sgpr_count 2
		.amdhsa_user_sgpr_dispatch_ptr 0
		.amdhsa_user_sgpr_queue_ptr 0
		.amdhsa_user_sgpr_kernarg_segment_ptr 1
		.amdhsa_user_sgpr_dispatch_id 0
		.amdhsa_user_sgpr_kernarg_preload_length 0
		.amdhsa_user_sgpr_kernarg_preload_offset 0
		.amdhsa_user_sgpr_private_segment_size 0
		.amdhsa_uses_dynamic_stack 0
		.amdhsa_enable_private_segment 0
		.amdhsa_system_sgpr_workgroup_id_x 1
		.amdhsa_system_sgpr_workgroup_id_y 0
		.amdhsa_system_sgpr_workgroup_id_z 0
		.amdhsa_system_sgpr_workgroup_info 0
		.amdhsa_system_vgpr_workitem_id 0
		.amdhsa_next_free_vgpr 1
		.amdhsa_next_free_sgpr 0
		.amdhsa_accum_offset 4
		.amdhsa_reserve_vcc 0
		.amdhsa_float_round_mode_32 0
		.amdhsa_float_round_mode_16_64 0
		.amdhsa_float_denorm_mode_32 3
		.amdhsa_float_denorm_mode_16_64 3
		.amdhsa_dx10_clamp 1
		.amdhsa_ieee_mode 1
		.amdhsa_fp16_overflow 0
		.amdhsa_tg_split 0
		.amdhsa_exception_fp_ieee_invalid_op 0
		.amdhsa_exception_fp_denorm_src 0
		.amdhsa_exception_fp_ieee_div_zero 0
		.amdhsa_exception_fp_ieee_overflow 0
		.amdhsa_exception_fp_ieee_underflow 0
		.amdhsa_exception_fp_ieee_inexact 0
		.amdhsa_exception_int_div_zero 0
	.end_amdhsa_kernel
	.section	.text._ZN7rocprim17ROCPRIM_400000_NS6detail17trampoline_kernelINS0_14default_configENS1_25partition_config_selectorILNS1_17partition_subalgoE0EsNS0_10empty_typeEbEEZZNS1_14partition_implILS5_0ELb0ES3_jN6thrust23THRUST_200600_302600_NS6detail15normal_iteratorINSA_10device_ptrIsEEEEPS6_SG_NS0_5tupleIJSF_SF_EEENSH_IJSG_SG_EEES6_PlJ7is_evenIsEEEE10hipError_tPvRmT3_T4_T5_T6_T7_T9_mT8_P12ihipStream_tbDpT10_ENKUlT_T0_E_clISt17integral_constantIbLb1EES16_EEDaS11_S12_EUlS11_E_NS1_11comp_targetILNS1_3genE3ELNS1_11target_archE908ELNS1_3gpuE7ELNS1_3repE0EEENS1_30default_config_static_selectorELNS0_4arch9wavefront6targetE1EEEvT1_,"axG",@progbits,_ZN7rocprim17ROCPRIM_400000_NS6detail17trampoline_kernelINS0_14default_configENS1_25partition_config_selectorILNS1_17partition_subalgoE0EsNS0_10empty_typeEbEEZZNS1_14partition_implILS5_0ELb0ES3_jN6thrust23THRUST_200600_302600_NS6detail15normal_iteratorINSA_10device_ptrIsEEEEPS6_SG_NS0_5tupleIJSF_SF_EEENSH_IJSG_SG_EEES6_PlJ7is_evenIsEEEE10hipError_tPvRmT3_T4_T5_T6_T7_T9_mT8_P12ihipStream_tbDpT10_ENKUlT_T0_E_clISt17integral_constantIbLb1EES16_EEDaS11_S12_EUlS11_E_NS1_11comp_targetILNS1_3genE3ELNS1_11target_archE908ELNS1_3gpuE7ELNS1_3repE0EEENS1_30default_config_static_selectorELNS0_4arch9wavefront6targetE1EEEvT1_,comdat
.Lfunc_end364:
	.size	_ZN7rocprim17ROCPRIM_400000_NS6detail17trampoline_kernelINS0_14default_configENS1_25partition_config_selectorILNS1_17partition_subalgoE0EsNS0_10empty_typeEbEEZZNS1_14partition_implILS5_0ELb0ES3_jN6thrust23THRUST_200600_302600_NS6detail15normal_iteratorINSA_10device_ptrIsEEEEPS6_SG_NS0_5tupleIJSF_SF_EEENSH_IJSG_SG_EEES6_PlJ7is_evenIsEEEE10hipError_tPvRmT3_T4_T5_T6_T7_T9_mT8_P12ihipStream_tbDpT10_ENKUlT_T0_E_clISt17integral_constantIbLb1EES16_EEDaS11_S12_EUlS11_E_NS1_11comp_targetILNS1_3genE3ELNS1_11target_archE908ELNS1_3gpuE7ELNS1_3repE0EEENS1_30default_config_static_selectorELNS0_4arch9wavefront6targetE1EEEvT1_, .Lfunc_end364-_ZN7rocprim17ROCPRIM_400000_NS6detail17trampoline_kernelINS0_14default_configENS1_25partition_config_selectorILNS1_17partition_subalgoE0EsNS0_10empty_typeEbEEZZNS1_14partition_implILS5_0ELb0ES3_jN6thrust23THRUST_200600_302600_NS6detail15normal_iteratorINSA_10device_ptrIsEEEEPS6_SG_NS0_5tupleIJSF_SF_EEENSH_IJSG_SG_EEES6_PlJ7is_evenIsEEEE10hipError_tPvRmT3_T4_T5_T6_T7_T9_mT8_P12ihipStream_tbDpT10_ENKUlT_T0_E_clISt17integral_constantIbLb1EES16_EEDaS11_S12_EUlS11_E_NS1_11comp_targetILNS1_3genE3ELNS1_11target_archE908ELNS1_3gpuE7ELNS1_3repE0EEENS1_30default_config_static_selectorELNS0_4arch9wavefront6targetE1EEEvT1_
                                        ; -- End function
	.section	.AMDGPU.csdata,"",@progbits
; Kernel info:
; codeLenInByte = 0
; NumSgprs: 6
; NumVgprs: 0
; NumAgprs: 0
; TotalNumVgprs: 0
; ScratchSize: 0
; MemoryBound: 0
; FloatMode: 240
; IeeeMode: 1
; LDSByteSize: 0 bytes/workgroup (compile time only)
; SGPRBlocks: 0
; VGPRBlocks: 0
; NumSGPRsForWavesPerEU: 6
; NumVGPRsForWavesPerEU: 1
; AccumOffset: 4
; Occupancy: 8
; WaveLimiterHint : 0
; COMPUTE_PGM_RSRC2:SCRATCH_EN: 0
; COMPUTE_PGM_RSRC2:USER_SGPR: 2
; COMPUTE_PGM_RSRC2:TRAP_HANDLER: 0
; COMPUTE_PGM_RSRC2:TGID_X_EN: 1
; COMPUTE_PGM_RSRC2:TGID_Y_EN: 0
; COMPUTE_PGM_RSRC2:TGID_Z_EN: 0
; COMPUTE_PGM_RSRC2:TIDIG_COMP_CNT: 0
; COMPUTE_PGM_RSRC3_GFX90A:ACCUM_OFFSET: 0
; COMPUTE_PGM_RSRC3_GFX90A:TG_SPLIT: 0
	.section	.text._ZN7rocprim17ROCPRIM_400000_NS6detail17trampoline_kernelINS0_14default_configENS1_25partition_config_selectorILNS1_17partition_subalgoE0EsNS0_10empty_typeEbEEZZNS1_14partition_implILS5_0ELb0ES3_jN6thrust23THRUST_200600_302600_NS6detail15normal_iteratorINSA_10device_ptrIsEEEEPS6_SG_NS0_5tupleIJSF_SF_EEENSH_IJSG_SG_EEES6_PlJ7is_evenIsEEEE10hipError_tPvRmT3_T4_T5_T6_T7_T9_mT8_P12ihipStream_tbDpT10_ENKUlT_T0_E_clISt17integral_constantIbLb1EES16_EEDaS11_S12_EUlS11_E_NS1_11comp_targetILNS1_3genE2ELNS1_11target_archE906ELNS1_3gpuE6ELNS1_3repE0EEENS1_30default_config_static_selectorELNS0_4arch9wavefront6targetE1EEEvT1_,"axG",@progbits,_ZN7rocprim17ROCPRIM_400000_NS6detail17trampoline_kernelINS0_14default_configENS1_25partition_config_selectorILNS1_17partition_subalgoE0EsNS0_10empty_typeEbEEZZNS1_14partition_implILS5_0ELb0ES3_jN6thrust23THRUST_200600_302600_NS6detail15normal_iteratorINSA_10device_ptrIsEEEEPS6_SG_NS0_5tupleIJSF_SF_EEENSH_IJSG_SG_EEES6_PlJ7is_evenIsEEEE10hipError_tPvRmT3_T4_T5_T6_T7_T9_mT8_P12ihipStream_tbDpT10_ENKUlT_T0_E_clISt17integral_constantIbLb1EES16_EEDaS11_S12_EUlS11_E_NS1_11comp_targetILNS1_3genE2ELNS1_11target_archE906ELNS1_3gpuE6ELNS1_3repE0EEENS1_30default_config_static_selectorELNS0_4arch9wavefront6targetE1EEEvT1_,comdat
	.protected	_ZN7rocprim17ROCPRIM_400000_NS6detail17trampoline_kernelINS0_14default_configENS1_25partition_config_selectorILNS1_17partition_subalgoE0EsNS0_10empty_typeEbEEZZNS1_14partition_implILS5_0ELb0ES3_jN6thrust23THRUST_200600_302600_NS6detail15normal_iteratorINSA_10device_ptrIsEEEEPS6_SG_NS0_5tupleIJSF_SF_EEENSH_IJSG_SG_EEES6_PlJ7is_evenIsEEEE10hipError_tPvRmT3_T4_T5_T6_T7_T9_mT8_P12ihipStream_tbDpT10_ENKUlT_T0_E_clISt17integral_constantIbLb1EES16_EEDaS11_S12_EUlS11_E_NS1_11comp_targetILNS1_3genE2ELNS1_11target_archE906ELNS1_3gpuE6ELNS1_3repE0EEENS1_30default_config_static_selectorELNS0_4arch9wavefront6targetE1EEEvT1_ ; -- Begin function _ZN7rocprim17ROCPRIM_400000_NS6detail17trampoline_kernelINS0_14default_configENS1_25partition_config_selectorILNS1_17partition_subalgoE0EsNS0_10empty_typeEbEEZZNS1_14partition_implILS5_0ELb0ES3_jN6thrust23THRUST_200600_302600_NS6detail15normal_iteratorINSA_10device_ptrIsEEEEPS6_SG_NS0_5tupleIJSF_SF_EEENSH_IJSG_SG_EEES6_PlJ7is_evenIsEEEE10hipError_tPvRmT3_T4_T5_T6_T7_T9_mT8_P12ihipStream_tbDpT10_ENKUlT_T0_E_clISt17integral_constantIbLb1EES16_EEDaS11_S12_EUlS11_E_NS1_11comp_targetILNS1_3genE2ELNS1_11target_archE906ELNS1_3gpuE6ELNS1_3repE0EEENS1_30default_config_static_selectorELNS0_4arch9wavefront6targetE1EEEvT1_
	.globl	_ZN7rocprim17ROCPRIM_400000_NS6detail17trampoline_kernelINS0_14default_configENS1_25partition_config_selectorILNS1_17partition_subalgoE0EsNS0_10empty_typeEbEEZZNS1_14partition_implILS5_0ELb0ES3_jN6thrust23THRUST_200600_302600_NS6detail15normal_iteratorINSA_10device_ptrIsEEEEPS6_SG_NS0_5tupleIJSF_SF_EEENSH_IJSG_SG_EEES6_PlJ7is_evenIsEEEE10hipError_tPvRmT3_T4_T5_T6_T7_T9_mT8_P12ihipStream_tbDpT10_ENKUlT_T0_E_clISt17integral_constantIbLb1EES16_EEDaS11_S12_EUlS11_E_NS1_11comp_targetILNS1_3genE2ELNS1_11target_archE906ELNS1_3gpuE6ELNS1_3repE0EEENS1_30default_config_static_selectorELNS0_4arch9wavefront6targetE1EEEvT1_
	.p2align	8
	.type	_ZN7rocprim17ROCPRIM_400000_NS6detail17trampoline_kernelINS0_14default_configENS1_25partition_config_selectorILNS1_17partition_subalgoE0EsNS0_10empty_typeEbEEZZNS1_14partition_implILS5_0ELb0ES3_jN6thrust23THRUST_200600_302600_NS6detail15normal_iteratorINSA_10device_ptrIsEEEEPS6_SG_NS0_5tupleIJSF_SF_EEENSH_IJSG_SG_EEES6_PlJ7is_evenIsEEEE10hipError_tPvRmT3_T4_T5_T6_T7_T9_mT8_P12ihipStream_tbDpT10_ENKUlT_T0_E_clISt17integral_constantIbLb1EES16_EEDaS11_S12_EUlS11_E_NS1_11comp_targetILNS1_3genE2ELNS1_11target_archE906ELNS1_3gpuE6ELNS1_3repE0EEENS1_30default_config_static_selectorELNS0_4arch9wavefront6targetE1EEEvT1_,@function
_ZN7rocprim17ROCPRIM_400000_NS6detail17trampoline_kernelINS0_14default_configENS1_25partition_config_selectorILNS1_17partition_subalgoE0EsNS0_10empty_typeEbEEZZNS1_14partition_implILS5_0ELb0ES3_jN6thrust23THRUST_200600_302600_NS6detail15normal_iteratorINSA_10device_ptrIsEEEEPS6_SG_NS0_5tupleIJSF_SF_EEENSH_IJSG_SG_EEES6_PlJ7is_evenIsEEEE10hipError_tPvRmT3_T4_T5_T6_T7_T9_mT8_P12ihipStream_tbDpT10_ENKUlT_T0_E_clISt17integral_constantIbLb1EES16_EEDaS11_S12_EUlS11_E_NS1_11comp_targetILNS1_3genE2ELNS1_11target_archE906ELNS1_3gpuE6ELNS1_3repE0EEENS1_30default_config_static_selectorELNS0_4arch9wavefront6targetE1EEEvT1_: ; @_ZN7rocprim17ROCPRIM_400000_NS6detail17trampoline_kernelINS0_14default_configENS1_25partition_config_selectorILNS1_17partition_subalgoE0EsNS0_10empty_typeEbEEZZNS1_14partition_implILS5_0ELb0ES3_jN6thrust23THRUST_200600_302600_NS6detail15normal_iteratorINSA_10device_ptrIsEEEEPS6_SG_NS0_5tupleIJSF_SF_EEENSH_IJSG_SG_EEES6_PlJ7is_evenIsEEEE10hipError_tPvRmT3_T4_T5_T6_T7_T9_mT8_P12ihipStream_tbDpT10_ENKUlT_T0_E_clISt17integral_constantIbLb1EES16_EEDaS11_S12_EUlS11_E_NS1_11comp_targetILNS1_3genE2ELNS1_11target_archE906ELNS1_3gpuE6ELNS1_3repE0EEENS1_30default_config_static_selectorELNS0_4arch9wavefront6targetE1EEEvT1_
; %bb.0:
	.section	.rodata,"a",@progbits
	.p2align	6, 0x0
	.amdhsa_kernel _ZN7rocprim17ROCPRIM_400000_NS6detail17trampoline_kernelINS0_14default_configENS1_25partition_config_selectorILNS1_17partition_subalgoE0EsNS0_10empty_typeEbEEZZNS1_14partition_implILS5_0ELb0ES3_jN6thrust23THRUST_200600_302600_NS6detail15normal_iteratorINSA_10device_ptrIsEEEEPS6_SG_NS0_5tupleIJSF_SF_EEENSH_IJSG_SG_EEES6_PlJ7is_evenIsEEEE10hipError_tPvRmT3_T4_T5_T6_T7_T9_mT8_P12ihipStream_tbDpT10_ENKUlT_T0_E_clISt17integral_constantIbLb1EES16_EEDaS11_S12_EUlS11_E_NS1_11comp_targetILNS1_3genE2ELNS1_11target_archE906ELNS1_3gpuE6ELNS1_3repE0EEENS1_30default_config_static_selectorELNS0_4arch9wavefront6targetE1EEEvT1_
		.amdhsa_group_segment_fixed_size 0
		.amdhsa_private_segment_fixed_size 0
		.amdhsa_kernarg_size 136
		.amdhsa_user_sgpr_count 2
		.amdhsa_user_sgpr_dispatch_ptr 0
		.amdhsa_user_sgpr_queue_ptr 0
		.amdhsa_user_sgpr_kernarg_segment_ptr 1
		.amdhsa_user_sgpr_dispatch_id 0
		.amdhsa_user_sgpr_kernarg_preload_length 0
		.amdhsa_user_sgpr_kernarg_preload_offset 0
		.amdhsa_user_sgpr_private_segment_size 0
		.amdhsa_uses_dynamic_stack 0
		.amdhsa_enable_private_segment 0
		.amdhsa_system_sgpr_workgroup_id_x 1
		.amdhsa_system_sgpr_workgroup_id_y 0
		.amdhsa_system_sgpr_workgroup_id_z 0
		.amdhsa_system_sgpr_workgroup_info 0
		.amdhsa_system_vgpr_workitem_id 0
		.amdhsa_next_free_vgpr 1
		.amdhsa_next_free_sgpr 0
		.amdhsa_accum_offset 4
		.amdhsa_reserve_vcc 0
		.amdhsa_float_round_mode_32 0
		.amdhsa_float_round_mode_16_64 0
		.amdhsa_float_denorm_mode_32 3
		.amdhsa_float_denorm_mode_16_64 3
		.amdhsa_dx10_clamp 1
		.amdhsa_ieee_mode 1
		.amdhsa_fp16_overflow 0
		.amdhsa_tg_split 0
		.amdhsa_exception_fp_ieee_invalid_op 0
		.amdhsa_exception_fp_denorm_src 0
		.amdhsa_exception_fp_ieee_div_zero 0
		.amdhsa_exception_fp_ieee_overflow 0
		.amdhsa_exception_fp_ieee_underflow 0
		.amdhsa_exception_fp_ieee_inexact 0
		.amdhsa_exception_int_div_zero 0
	.end_amdhsa_kernel
	.section	.text._ZN7rocprim17ROCPRIM_400000_NS6detail17trampoline_kernelINS0_14default_configENS1_25partition_config_selectorILNS1_17partition_subalgoE0EsNS0_10empty_typeEbEEZZNS1_14partition_implILS5_0ELb0ES3_jN6thrust23THRUST_200600_302600_NS6detail15normal_iteratorINSA_10device_ptrIsEEEEPS6_SG_NS0_5tupleIJSF_SF_EEENSH_IJSG_SG_EEES6_PlJ7is_evenIsEEEE10hipError_tPvRmT3_T4_T5_T6_T7_T9_mT8_P12ihipStream_tbDpT10_ENKUlT_T0_E_clISt17integral_constantIbLb1EES16_EEDaS11_S12_EUlS11_E_NS1_11comp_targetILNS1_3genE2ELNS1_11target_archE906ELNS1_3gpuE6ELNS1_3repE0EEENS1_30default_config_static_selectorELNS0_4arch9wavefront6targetE1EEEvT1_,"axG",@progbits,_ZN7rocprim17ROCPRIM_400000_NS6detail17trampoline_kernelINS0_14default_configENS1_25partition_config_selectorILNS1_17partition_subalgoE0EsNS0_10empty_typeEbEEZZNS1_14partition_implILS5_0ELb0ES3_jN6thrust23THRUST_200600_302600_NS6detail15normal_iteratorINSA_10device_ptrIsEEEEPS6_SG_NS0_5tupleIJSF_SF_EEENSH_IJSG_SG_EEES6_PlJ7is_evenIsEEEE10hipError_tPvRmT3_T4_T5_T6_T7_T9_mT8_P12ihipStream_tbDpT10_ENKUlT_T0_E_clISt17integral_constantIbLb1EES16_EEDaS11_S12_EUlS11_E_NS1_11comp_targetILNS1_3genE2ELNS1_11target_archE906ELNS1_3gpuE6ELNS1_3repE0EEENS1_30default_config_static_selectorELNS0_4arch9wavefront6targetE1EEEvT1_,comdat
.Lfunc_end365:
	.size	_ZN7rocprim17ROCPRIM_400000_NS6detail17trampoline_kernelINS0_14default_configENS1_25partition_config_selectorILNS1_17partition_subalgoE0EsNS0_10empty_typeEbEEZZNS1_14partition_implILS5_0ELb0ES3_jN6thrust23THRUST_200600_302600_NS6detail15normal_iteratorINSA_10device_ptrIsEEEEPS6_SG_NS0_5tupleIJSF_SF_EEENSH_IJSG_SG_EEES6_PlJ7is_evenIsEEEE10hipError_tPvRmT3_T4_T5_T6_T7_T9_mT8_P12ihipStream_tbDpT10_ENKUlT_T0_E_clISt17integral_constantIbLb1EES16_EEDaS11_S12_EUlS11_E_NS1_11comp_targetILNS1_3genE2ELNS1_11target_archE906ELNS1_3gpuE6ELNS1_3repE0EEENS1_30default_config_static_selectorELNS0_4arch9wavefront6targetE1EEEvT1_, .Lfunc_end365-_ZN7rocprim17ROCPRIM_400000_NS6detail17trampoline_kernelINS0_14default_configENS1_25partition_config_selectorILNS1_17partition_subalgoE0EsNS0_10empty_typeEbEEZZNS1_14partition_implILS5_0ELb0ES3_jN6thrust23THRUST_200600_302600_NS6detail15normal_iteratorINSA_10device_ptrIsEEEEPS6_SG_NS0_5tupleIJSF_SF_EEENSH_IJSG_SG_EEES6_PlJ7is_evenIsEEEE10hipError_tPvRmT3_T4_T5_T6_T7_T9_mT8_P12ihipStream_tbDpT10_ENKUlT_T0_E_clISt17integral_constantIbLb1EES16_EEDaS11_S12_EUlS11_E_NS1_11comp_targetILNS1_3genE2ELNS1_11target_archE906ELNS1_3gpuE6ELNS1_3repE0EEENS1_30default_config_static_selectorELNS0_4arch9wavefront6targetE1EEEvT1_
                                        ; -- End function
	.section	.AMDGPU.csdata,"",@progbits
; Kernel info:
; codeLenInByte = 0
; NumSgprs: 6
; NumVgprs: 0
; NumAgprs: 0
; TotalNumVgprs: 0
; ScratchSize: 0
; MemoryBound: 0
; FloatMode: 240
; IeeeMode: 1
; LDSByteSize: 0 bytes/workgroup (compile time only)
; SGPRBlocks: 0
; VGPRBlocks: 0
; NumSGPRsForWavesPerEU: 6
; NumVGPRsForWavesPerEU: 1
; AccumOffset: 4
; Occupancy: 8
; WaveLimiterHint : 0
; COMPUTE_PGM_RSRC2:SCRATCH_EN: 0
; COMPUTE_PGM_RSRC2:USER_SGPR: 2
; COMPUTE_PGM_RSRC2:TRAP_HANDLER: 0
; COMPUTE_PGM_RSRC2:TGID_X_EN: 1
; COMPUTE_PGM_RSRC2:TGID_Y_EN: 0
; COMPUTE_PGM_RSRC2:TGID_Z_EN: 0
; COMPUTE_PGM_RSRC2:TIDIG_COMP_CNT: 0
; COMPUTE_PGM_RSRC3_GFX90A:ACCUM_OFFSET: 0
; COMPUTE_PGM_RSRC3_GFX90A:TG_SPLIT: 0
	.section	.text._ZN7rocprim17ROCPRIM_400000_NS6detail17trampoline_kernelINS0_14default_configENS1_25partition_config_selectorILNS1_17partition_subalgoE0EsNS0_10empty_typeEbEEZZNS1_14partition_implILS5_0ELb0ES3_jN6thrust23THRUST_200600_302600_NS6detail15normal_iteratorINSA_10device_ptrIsEEEEPS6_SG_NS0_5tupleIJSF_SF_EEENSH_IJSG_SG_EEES6_PlJ7is_evenIsEEEE10hipError_tPvRmT3_T4_T5_T6_T7_T9_mT8_P12ihipStream_tbDpT10_ENKUlT_T0_E_clISt17integral_constantIbLb1EES16_EEDaS11_S12_EUlS11_E_NS1_11comp_targetILNS1_3genE10ELNS1_11target_archE1200ELNS1_3gpuE4ELNS1_3repE0EEENS1_30default_config_static_selectorELNS0_4arch9wavefront6targetE1EEEvT1_,"axG",@progbits,_ZN7rocprim17ROCPRIM_400000_NS6detail17trampoline_kernelINS0_14default_configENS1_25partition_config_selectorILNS1_17partition_subalgoE0EsNS0_10empty_typeEbEEZZNS1_14partition_implILS5_0ELb0ES3_jN6thrust23THRUST_200600_302600_NS6detail15normal_iteratorINSA_10device_ptrIsEEEEPS6_SG_NS0_5tupleIJSF_SF_EEENSH_IJSG_SG_EEES6_PlJ7is_evenIsEEEE10hipError_tPvRmT3_T4_T5_T6_T7_T9_mT8_P12ihipStream_tbDpT10_ENKUlT_T0_E_clISt17integral_constantIbLb1EES16_EEDaS11_S12_EUlS11_E_NS1_11comp_targetILNS1_3genE10ELNS1_11target_archE1200ELNS1_3gpuE4ELNS1_3repE0EEENS1_30default_config_static_selectorELNS0_4arch9wavefront6targetE1EEEvT1_,comdat
	.protected	_ZN7rocprim17ROCPRIM_400000_NS6detail17trampoline_kernelINS0_14default_configENS1_25partition_config_selectorILNS1_17partition_subalgoE0EsNS0_10empty_typeEbEEZZNS1_14partition_implILS5_0ELb0ES3_jN6thrust23THRUST_200600_302600_NS6detail15normal_iteratorINSA_10device_ptrIsEEEEPS6_SG_NS0_5tupleIJSF_SF_EEENSH_IJSG_SG_EEES6_PlJ7is_evenIsEEEE10hipError_tPvRmT3_T4_T5_T6_T7_T9_mT8_P12ihipStream_tbDpT10_ENKUlT_T0_E_clISt17integral_constantIbLb1EES16_EEDaS11_S12_EUlS11_E_NS1_11comp_targetILNS1_3genE10ELNS1_11target_archE1200ELNS1_3gpuE4ELNS1_3repE0EEENS1_30default_config_static_selectorELNS0_4arch9wavefront6targetE1EEEvT1_ ; -- Begin function _ZN7rocprim17ROCPRIM_400000_NS6detail17trampoline_kernelINS0_14default_configENS1_25partition_config_selectorILNS1_17partition_subalgoE0EsNS0_10empty_typeEbEEZZNS1_14partition_implILS5_0ELb0ES3_jN6thrust23THRUST_200600_302600_NS6detail15normal_iteratorINSA_10device_ptrIsEEEEPS6_SG_NS0_5tupleIJSF_SF_EEENSH_IJSG_SG_EEES6_PlJ7is_evenIsEEEE10hipError_tPvRmT3_T4_T5_T6_T7_T9_mT8_P12ihipStream_tbDpT10_ENKUlT_T0_E_clISt17integral_constantIbLb1EES16_EEDaS11_S12_EUlS11_E_NS1_11comp_targetILNS1_3genE10ELNS1_11target_archE1200ELNS1_3gpuE4ELNS1_3repE0EEENS1_30default_config_static_selectorELNS0_4arch9wavefront6targetE1EEEvT1_
	.globl	_ZN7rocprim17ROCPRIM_400000_NS6detail17trampoline_kernelINS0_14default_configENS1_25partition_config_selectorILNS1_17partition_subalgoE0EsNS0_10empty_typeEbEEZZNS1_14partition_implILS5_0ELb0ES3_jN6thrust23THRUST_200600_302600_NS6detail15normal_iteratorINSA_10device_ptrIsEEEEPS6_SG_NS0_5tupleIJSF_SF_EEENSH_IJSG_SG_EEES6_PlJ7is_evenIsEEEE10hipError_tPvRmT3_T4_T5_T6_T7_T9_mT8_P12ihipStream_tbDpT10_ENKUlT_T0_E_clISt17integral_constantIbLb1EES16_EEDaS11_S12_EUlS11_E_NS1_11comp_targetILNS1_3genE10ELNS1_11target_archE1200ELNS1_3gpuE4ELNS1_3repE0EEENS1_30default_config_static_selectorELNS0_4arch9wavefront6targetE1EEEvT1_
	.p2align	8
	.type	_ZN7rocprim17ROCPRIM_400000_NS6detail17trampoline_kernelINS0_14default_configENS1_25partition_config_selectorILNS1_17partition_subalgoE0EsNS0_10empty_typeEbEEZZNS1_14partition_implILS5_0ELb0ES3_jN6thrust23THRUST_200600_302600_NS6detail15normal_iteratorINSA_10device_ptrIsEEEEPS6_SG_NS0_5tupleIJSF_SF_EEENSH_IJSG_SG_EEES6_PlJ7is_evenIsEEEE10hipError_tPvRmT3_T4_T5_T6_T7_T9_mT8_P12ihipStream_tbDpT10_ENKUlT_T0_E_clISt17integral_constantIbLb1EES16_EEDaS11_S12_EUlS11_E_NS1_11comp_targetILNS1_3genE10ELNS1_11target_archE1200ELNS1_3gpuE4ELNS1_3repE0EEENS1_30default_config_static_selectorELNS0_4arch9wavefront6targetE1EEEvT1_,@function
_ZN7rocprim17ROCPRIM_400000_NS6detail17trampoline_kernelINS0_14default_configENS1_25partition_config_selectorILNS1_17partition_subalgoE0EsNS0_10empty_typeEbEEZZNS1_14partition_implILS5_0ELb0ES3_jN6thrust23THRUST_200600_302600_NS6detail15normal_iteratorINSA_10device_ptrIsEEEEPS6_SG_NS0_5tupleIJSF_SF_EEENSH_IJSG_SG_EEES6_PlJ7is_evenIsEEEE10hipError_tPvRmT3_T4_T5_T6_T7_T9_mT8_P12ihipStream_tbDpT10_ENKUlT_T0_E_clISt17integral_constantIbLb1EES16_EEDaS11_S12_EUlS11_E_NS1_11comp_targetILNS1_3genE10ELNS1_11target_archE1200ELNS1_3gpuE4ELNS1_3repE0EEENS1_30default_config_static_selectorELNS0_4arch9wavefront6targetE1EEEvT1_: ; @_ZN7rocprim17ROCPRIM_400000_NS6detail17trampoline_kernelINS0_14default_configENS1_25partition_config_selectorILNS1_17partition_subalgoE0EsNS0_10empty_typeEbEEZZNS1_14partition_implILS5_0ELb0ES3_jN6thrust23THRUST_200600_302600_NS6detail15normal_iteratorINSA_10device_ptrIsEEEEPS6_SG_NS0_5tupleIJSF_SF_EEENSH_IJSG_SG_EEES6_PlJ7is_evenIsEEEE10hipError_tPvRmT3_T4_T5_T6_T7_T9_mT8_P12ihipStream_tbDpT10_ENKUlT_T0_E_clISt17integral_constantIbLb1EES16_EEDaS11_S12_EUlS11_E_NS1_11comp_targetILNS1_3genE10ELNS1_11target_archE1200ELNS1_3gpuE4ELNS1_3repE0EEENS1_30default_config_static_selectorELNS0_4arch9wavefront6targetE1EEEvT1_
; %bb.0:
	.section	.rodata,"a",@progbits
	.p2align	6, 0x0
	.amdhsa_kernel _ZN7rocprim17ROCPRIM_400000_NS6detail17trampoline_kernelINS0_14default_configENS1_25partition_config_selectorILNS1_17partition_subalgoE0EsNS0_10empty_typeEbEEZZNS1_14partition_implILS5_0ELb0ES3_jN6thrust23THRUST_200600_302600_NS6detail15normal_iteratorINSA_10device_ptrIsEEEEPS6_SG_NS0_5tupleIJSF_SF_EEENSH_IJSG_SG_EEES6_PlJ7is_evenIsEEEE10hipError_tPvRmT3_T4_T5_T6_T7_T9_mT8_P12ihipStream_tbDpT10_ENKUlT_T0_E_clISt17integral_constantIbLb1EES16_EEDaS11_S12_EUlS11_E_NS1_11comp_targetILNS1_3genE10ELNS1_11target_archE1200ELNS1_3gpuE4ELNS1_3repE0EEENS1_30default_config_static_selectorELNS0_4arch9wavefront6targetE1EEEvT1_
		.amdhsa_group_segment_fixed_size 0
		.amdhsa_private_segment_fixed_size 0
		.amdhsa_kernarg_size 136
		.amdhsa_user_sgpr_count 2
		.amdhsa_user_sgpr_dispatch_ptr 0
		.amdhsa_user_sgpr_queue_ptr 0
		.amdhsa_user_sgpr_kernarg_segment_ptr 1
		.amdhsa_user_sgpr_dispatch_id 0
		.amdhsa_user_sgpr_kernarg_preload_length 0
		.amdhsa_user_sgpr_kernarg_preload_offset 0
		.amdhsa_user_sgpr_private_segment_size 0
		.amdhsa_uses_dynamic_stack 0
		.amdhsa_enable_private_segment 0
		.amdhsa_system_sgpr_workgroup_id_x 1
		.amdhsa_system_sgpr_workgroup_id_y 0
		.amdhsa_system_sgpr_workgroup_id_z 0
		.amdhsa_system_sgpr_workgroup_info 0
		.amdhsa_system_vgpr_workitem_id 0
		.amdhsa_next_free_vgpr 1
		.amdhsa_next_free_sgpr 0
		.amdhsa_accum_offset 4
		.amdhsa_reserve_vcc 0
		.amdhsa_float_round_mode_32 0
		.amdhsa_float_round_mode_16_64 0
		.amdhsa_float_denorm_mode_32 3
		.amdhsa_float_denorm_mode_16_64 3
		.amdhsa_dx10_clamp 1
		.amdhsa_ieee_mode 1
		.amdhsa_fp16_overflow 0
		.amdhsa_tg_split 0
		.amdhsa_exception_fp_ieee_invalid_op 0
		.amdhsa_exception_fp_denorm_src 0
		.amdhsa_exception_fp_ieee_div_zero 0
		.amdhsa_exception_fp_ieee_overflow 0
		.amdhsa_exception_fp_ieee_underflow 0
		.amdhsa_exception_fp_ieee_inexact 0
		.amdhsa_exception_int_div_zero 0
	.end_amdhsa_kernel
	.section	.text._ZN7rocprim17ROCPRIM_400000_NS6detail17trampoline_kernelINS0_14default_configENS1_25partition_config_selectorILNS1_17partition_subalgoE0EsNS0_10empty_typeEbEEZZNS1_14partition_implILS5_0ELb0ES3_jN6thrust23THRUST_200600_302600_NS6detail15normal_iteratorINSA_10device_ptrIsEEEEPS6_SG_NS0_5tupleIJSF_SF_EEENSH_IJSG_SG_EEES6_PlJ7is_evenIsEEEE10hipError_tPvRmT3_T4_T5_T6_T7_T9_mT8_P12ihipStream_tbDpT10_ENKUlT_T0_E_clISt17integral_constantIbLb1EES16_EEDaS11_S12_EUlS11_E_NS1_11comp_targetILNS1_3genE10ELNS1_11target_archE1200ELNS1_3gpuE4ELNS1_3repE0EEENS1_30default_config_static_selectorELNS0_4arch9wavefront6targetE1EEEvT1_,"axG",@progbits,_ZN7rocprim17ROCPRIM_400000_NS6detail17trampoline_kernelINS0_14default_configENS1_25partition_config_selectorILNS1_17partition_subalgoE0EsNS0_10empty_typeEbEEZZNS1_14partition_implILS5_0ELb0ES3_jN6thrust23THRUST_200600_302600_NS6detail15normal_iteratorINSA_10device_ptrIsEEEEPS6_SG_NS0_5tupleIJSF_SF_EEENSH_IJSG_SG_EEES6_PlJ7is_evenIsEEEE10hipError_tPvRmT3_T4_T5_T6_T7_T9_mT8_P12ihipStream_tbDpT10_ENKUlT_T0_E_clISt17integral_constantIbLb1EES16_EEDaS11_S12_EUlS11_E_NS1_11comp_targetILNS1_3genE10ELNS1_11target_archE1200ELNS1_3gpuE4ELNS1_3repE0EEENS1_30default_config_static_selectorELNS0_4arch9wavefront6targetE1EEEvT1_,comdat
.Lfunc_end366:
	.size	_ZN7rocprim17ROCPRIM_400000_NS6detail17trampoline_kernelINS0_14default_configENS1_25partition_config_selectorILNS1_17partition_subalgoE0EsNS0_10empty_typeEbEEZZNS1_14partition_implILS5_0ELb0ES3_jN6thrust23THRUST_200600_302600_NS6detail15normal_iteratorINSA_10device_ptrIsEEEEPS6_SG_NS0_5tupleIJSF_SF_EEENSH_IJSG_SG_EEES6_PlJ7is_evenIsEEEE10hipError_tPvRmT3_T4_T5_T6_T7_T9_mT8_P12ihipStream_tbDpT10_ENKUlT_T0_E_clISt17integral_constantIbLb1EES16_EEDaS11_S12_EUlS11_E_NS1_11comp_targetILNS1_3genE10ELNS1_11target_archE1200ELNS1_3gpuE4ELNS1_3repE0EEENS1_30default_config_static_selectorELNS0_4arch9wavefront6targetE1EEEvT1_, .Lfunc_end366-_ZN7rocprim17ROCPRIM_400000_NS6detail17trampoline_kernelINS0_14default_configENS1_25partition_config_selectorILNS1_17partition_subalgoE0EsNS0_10empty_typeEbEEZZNS1_14partition_implILS5_0ELb0ES3_jN6thrust23THRUST_200600_302600_NS6detail15normal_iteratorINSA_10device_ptrIsEEEEPS6_SG_NS0_5tupleIJSF_SF_EEENSH_IJSG_SG_EEES6_PlJ7is_evenIsEEEE10hipError_tPvRmT3_T4_T5_T6_T7_T9_mT8_P12ihipStream_tbDpT10_ENKUlT_T0_E_clISt17integral_constantIbLb1EES16_EEDaS11_S12_EUlS11_E_NS1_11comp_targetILNS1_3genE10ELNS1_11target_archE1200ELNS1_3gpuE4ELNS1_3repE0EEENS1_30default_config_static_selectorELNS0_4arch9wavefront6targetE1EEEvT1_
                                        ; -- End function
	.section	.AMDGPU.csdata,"",@progbits
; Kernel info:
; codeLenInByte = 0
; NumSgprs: 6
; NumVgprs: 0
; NumAgprs: 0
; TotalNumVgprs: 0
; ScratchSize: 0
; MemoryBound: 0
; FloatMode: 240
; IeeeMode: 1
; LDSByteSize: 0 bytes/workgroup (compile time only)
; SGPRBlocks: 0
; VGPRBlocks: 0
; NumSGPRsForWavesPerEU: 6
; NumVGPRsForWavesPerEU: 1
; AccumOffset: 4
; Occupancy: 8
; WaveLimiterHint : 0
; COMPUTE_PGM_RSRC2:SCRATCH_EN: 0
; COMPUTE_PGM_RSRC2:USER_SGPR: 2
; COMPUTE_PGM_RSRC2:TRAP_HANDLER: 0
; COMPUTE_PGM_RSRC2:TGID_X_EN: 1
; COMPUTE_PGM_RSRC2:TGID_Y_EN: 0
; COMPUTE_PGM_RSRC2:TGID_Z_EN: 0
; COMPUTE_PGM_RSRC2:TIDIG_COMP_CNT: 0
; COMPUTE_PGM_RSRC3_GFX90A:ACCUM_OFFSET: 0
; COMPUTE_PGM_RSRC3_GFX90A:TG_SPLIT: 0
	.section	.text._ZN7rocprim17ROCPRIM_400000_NS6detail17trampoline_kernelINS0_14default_configENS1_25partition_config_selectorILNS1_17partition_subalgoE0EsNS0_10empty_typeEbEEZZNS1_14partition_implILS5_0ELb0ES3_jN6thrust23THRUST_200600_302600_NS6detail15normal_iteratorINSA_10device_ptrIsEEEEPS6_SG_NS0_5tupleIJSF_SF_EEENSH_IJSG_SG_EEES6_PlJ7is_evenIsEEEE10hipError_tPvRmT3_T4_T5_T6_T7_T9_mT8_P12ihipStream_tbDpT10_ENKUlT_T0_E_clISt17integral_constantIbLb1EES16_EEDaS11_S12_EUlS11_E_NS1_11comp_targetILNS1_3genE9ELNS1_11target_archE1100ELNS1_3gpuE3ELNS1_3repE0EEENS1_30default_config_static_selectorELNS0_4arch9wavefront6targetE1EEEvT1_,"axG",@progbits,_ZN7rocprim17ROCPRIM_400000_NS6detail17trampoline_kernelINS0_14default_configENS1_25partition_config_selectorILNS1_17partition_subalgoE0EsNS0_10empty_typeEbEEZZNS1_14partition_implILS5_0ELb0ES3_jN6thrust23THRUST_200600_302600_NS6detail15normal_iteratorINSA_10device_ptrIsEEEEPS6_SG_NS0_5tupleIJSF_SF_EEENSH_IJSG_SG_EEES6_PlJ7is_evenIsEEEE10hipError_tPvRmT3_T4_T5_T6_T7_T9_mT8_P12ihipStream_tbDpT10_ENKUlT_T0_E_clISt17integral_constantIbLb1EES16_EEDaS11_S12_EUlS11_E_NS1_11comp_targetILNS1_3genE9ELNS1_11target_archE1100ELNS1_3gpuE3ELNS1_3repE0EEENS1_30default_config_static_selectorELNS0_4arch9wavefront6targetE1EEEvT1_,comdat
	.protected	_ZN7rocprim17ROCPRIM_400000_NS6detail17trampoline_kernelINS0_14default_configENS1_25partition_config_selectorILNS1_17partition_subalgoE0EsNS0_10empty_typeEbEEZZNS1_14partition_implILS5_0ELb0ES3_jN6thrust23THRUST_200600_302600_NS6detail15normal_iteratorINSA_10device_ptrIsEEEEPS6_SG_NS0_5tupleIJSF_SF_EEENSH_IJSG_SG_EEES6_PlJ7is_evenIsEEEE10hipError_tPvRmT3_T4_T5_T6_T7_T9_mT8_P12ihipStream_tbDpT10_ENKUlT_T0_E_clISt17integral_constantIbLb1EES16_EEDaS11_S12_EUlS11_E_NS1_11comp_targetILNS1_3genE9ELNS1_11target_archE1100ELNS1_3gpuE3ELNS1_3repE0EEENS1_30default_config_static_selectorELNS0_4arch9wavefront6targetE1EEEvT1_ ; -- Begin function _ZN7rocprim17ROCPRIM_400000_NS6detail17trampoline_kernelINS0_14default_configENS1_25partition_config_selectorILNS1_17partition_subalgoE0EsNS0_10empty_typeEbEEZZNS1_14partition_implILS5_0ELb0ES3_jN6thrust23THRUST_200600_302600_NS6detail15normal_iteratorINSA_10device_ptrIsEEEEPS6_SG_NS0_5tupleIJSF_SF_EEENSH_IJSG_SG_EEES6_PlJ7is_evenIsEEEE10hipError_tPvRmT3_T4_T5_T6_T7_T9_mT8_P12ihipStream_tbDpT10_ENKUlT_T0_E_clISt17integral_constantIbLb1EES16_EEDaS11_S12_EUlS11_E_NS1_11comp_targetILNS1_3genE9ELNS1_11target_archE1100ELNS1_3gpuE3ELNS1_3repE0EEENS1_30default_config_static_selectorELNS0_4arch9wavefront6targetE1EEEvT1_
	.globl	_ZN7rocprim17ROCPRIM_400000_NS6detail17trampoline_kernelINS0_14default_configENS1_25partition_config_selectorILNS1_17partition_subalgoE0EsNS0_10empty_typeEbEEZZNS1_14partition_implILS5_0ELb0ES3_jN6thrust23THRUST_200600_302600_NS6detail15normal_iteratorINSA_10device_ptrIsEEEEPS6_SG_NS0_5tupleIJSF_SF_EEENSH_IJSG_SG_EEES6_PlJ7is_evenIsEEEE10hipError_tPvRmT3_T4_T5_T6_T7_T9_mT8_P12ihipStream_tbDpT10_ENKUlT_T0_E_clISt17integral_constantIbLb1EES16_EEDaS11_S12_EUlS11_E_NS1_11comp_targetILNS1_3genE9ELNS1_11target_archE1100ELNS1_3gpuE3ELNS1_3repE0EEENS1_30default_config_static_selectorELNS0_4arch9wavefront6targetE1EEEvT1_
	.p2align	8
	.type	_ZN7rocprim17ROCPRIM_400000_NS6detail17trampoline_kernelINS0_14default_configENS1_25partition_config_selectorILNS1_17partition_subalgoE0EsNS0_10empty_typeEbEEZZNS1_14partition_implILS5_0ELb0ES3_jN6thrust23THRUST_200600_302600_NS6detail15normal_iteratorINSA_10device_ptrIsEEEEPS6_SG_NS0_5tupleIJSF_SF_EEENSH_IJSG_SG_EEES6_PlJ7is_evenIsEEEE10hipError_tPvRmT3_T4_T5_T6_T7_T9_mT8_P12ihipStream_tbDpT10_ENKUlT_T0_E_clISt17integral_constantIbLb1EES16_EEDaS11_S12_EUlS11_E_NS1_11comp_targetILNS1_3genE9ELNS1_11target_archE1100ELNS1_3gpuE3ELNS1_3repE0EEENS1_30default_config_static_selectorELNS0_4arch9wavefront6targetE1EEEvT1_,@function
_ZN7rocprim17ROCPRIM_400000_NS6detail17trampoline_kernelINS0_14default_configENS1_25partition_config_selectorILNS1_17partition_subalgoE0EsNS0_10empty_typeEbEEZZNS1_14partition_implILS5_0ELb0ES3_jN6thrust23THRUST_200600_302600_NS6detail15normal_iteratorINSA_10device_ptrIsEEEEPS6_SG_NS0_5tupleIJSF_SF_EEENSH_IJSG_SG_EEES6_PlJ7is_evenIsEEEE10hipError_tPvRmT3_T4_T5_T6_T7_T9_mT8_P12ihipStream_tbDpT10_ENKUlT_T0_E_clISt17integral_constantIbLb1EES16_EEDaS11_S12_EUlS11_E_NS1_11comp_targetILNS1_3genE9ELNS1_11target_archE1100ELNS1_3gpuE3ELNS1_3repE0EEENS1_30default_config_static_selectorELNS0_4arch9wavefront6targetE1EEEvT1_: ; @_ZN7rocprim17ROCPRIM_400000_NS6detail17trampoline_kernelINS0_14default_configENS1_25partition_config_selectorILNS1_17partition_subalgoE0EsNS0_10empty_typeEbEEZZNS1_14partition_implILS5_0ELb0ES3_jN6thrust23THRUST_200600_302600_NS6detail15normal_iteratorINSA_10device_ptrIsEEEEPS6_SG_NS0_5tupleIJSF_SF_EEENSH_IJSG_SG_EEES6_PlJ7is_evenIsEEEE10hipError_tPvRmT3_T4_T5_T6_T7_T9_mT8_P12ihipStream_tbDpT10_ENKUlT_T0_E_clISt17integral_constantIbLb1EES16_EEDaS11_S12_EUlS11_E_NS1_11comp_targetILNS1_3genE9ELNS1_11target_archE1100ELNS1_3gpuE3ELNS1_3repE0EEENS1_30default_config_static_selectorELNS0_4arch9wavefront6targetE1EEEvT1_
; %bb.0:
	.section	.rodata,"a",@progbits
	.p2align	6, 0x0
	.amdhsa_kernel _ZN7rocprim17ROCPRIM_400000_NS6detail17trampoline_kernelINS0_14default_configENS1_25partition_config_selectorILNS1_17partition_subalgoE0EsNS0_10empty_typeEbEEZZNS1_14partition_implILS5_0ELb0ES3_jN6thrust23THRUST_200600_302600_NS6detail15normal_iteratorINSA_10device_ptrIsEEEEPS6_SG_NS0_5tupleIJSF_SF_EEENSH_IJSG_SG_EEES6_PlJ7is_evenIsEEEE10hipError_tPvRmT3_T4_T5_T6_T7_T9_mT8_P12ihipStream_tbDpT10_ENKUlT_T0_E_clISt17integral_constantIbLb1EES16_EEDaS11_S12_EUlS11_E_NS1_11comp_targetILNS1_3genE9ELNS1_11target_archE1100ELNS1_3gpuE3ELNS1_3repE0EEENS1_30default_config_static_selectorELNS0_4arch9wavefront6targetE1EEEvT1_
		.amdhsa_group_segment_fixed_size 0
		.amdhsa_private_segment_fixed_size 0
		.amdhsa_kernarg_size 136
		.amdhsa_user_sgpr_count 2
		.amdhsa_user_sgpr_dispatch_ptr 0
		.amdhsa_user_sgpr_queue_ptr 0
		.amdhsa_user_sgpr_kernarg_segment_ptr 1
		.amdhsa_user_sgpr_dispatch_id 0
		.amdhsa_user_sgpr_kernarg_preload_length 0
		.amdhsa_user_sgpr_kernarg_preload_offset 0
		.amdhsa_user_sgpr_private_segment_size 0
		.amdhsa_uses_dynamic_stack 0
		.amdhsa_enable_private_segment 0
		.amdhsa_system_sgpr_workgroup_id_x 1
		.amdhsa_system_sgpr_workgroup_id_y 0
		.amdhsa_system_sgpr_workgroup_id_z 0
		.amdhsa_system_sgpr_workgroup_info 0
		.amdhsa_system_vgpr_workitem_id 0
		.amdhsa_next_free_vgpr 1
		.amdhsa_next_free_sgpr 0
		.amdhsa_accum_offset 4
		.amdhsa_reserve_vcc 0
		.amdhsa_float_round_mode_32 0
		.amdhsa_float_round_mode_16_64 0
		.amdhsa_float_denorm_mode_32 3
		.amdhsa_float_denorm_mode_16_64 3
		.amdhsa_dx10_clamp 1
		.amdhsa_ieee_mode 1
		.amdhsa_fp16_overflow 0
		.amdhsa_tg_split 0
		.amdhsa_exception_fp_ieee_invalid_op 0
		.amdhsa_exception_fp_denorm_src 0
		.amdhsa_exception_fp_ieee_div_zero 0
		.amdhsa_exception_fp_ieee_overflow 0
		.amdhsa_exception_fp_ieee_underflow 0
		.amdhsa_exception_fp_ieee_inexact 0
		.amdhsa_exception_int_div_zero 0
	.end_amdhsa_kernel
	.section	.text._ZN7rocprim17ROCPRIM_400000_NS6detail17trampoline_kernelINS0_14default_configENS1_25partition_config_selectorILNS1_17partition_subalgoE0EsNS0_10empty_typeEbEEZZNS1_14partition_implILS5_0ELb0ES3_jN6thrust23THRUST_200600_302600_NS6detail15normal_iteratorINSA_10device_ptrIsEEEEPS6_SG_NS0_5tupleIJSF_SF_EEENSH_IJSG_SG_EEES6_PlJ7is_evenIsEEEE10hipError_tPvRmT3_T4_T5_T6_T7_T9_mT8_P12ihipStream_tbDpT10_ENKUlT_T0_E_clISt17integral_constantIbLb1EES16_EEDaS11_S12_EUlS11_E_NS1_11comp_targetILNS1_3genE9ELNS1_11target_archE1100ELNS1_3gpuE3ELNS1_3repE0EEENS1_30default_config_static_selectorELNS0_4arch9wavefront6targetE1EEEvT1_,"axG",@progbits,_ZN7rocprim17ROCPRIM_400000_NS6detail17trampoline_kernelINS0_14default_configENS1_25partition_config_selectorILNS1_17partition_subalgoE0EsNS0_10empty_typeEbEEZZNS1_14partition_implILS5_0ELb0ES3_jN6thrust23THRUST_200600_302600_NS6detail15normal_iteratorINSA_10device_ptrIsEEEEPS6_SG_NS0_5tupleIJSF_SF_EEENSH_IJSG_SG_EEES6_PlJ7is_evenIsEEEE10hipError_tPvRmT3_T4_T5_T6_T7_T9_mT8_P12ihipStream_tbDpT10_ENKUlT_T0_E_clISt17integral_constantIbLb1EES16_EEDaS11_S12_EUlS11_E_NS1_11comp_targetILNS1_3genE9ELNS1_11target_archE1100ELNS1_3gpuE3ELNS1_3repE0EEENS1_30default_config_static_selectorELNS0_4arch9wavefront6targetE1EEEvT1_,comdat
.Lfunc_end367:
	.size	_ZN7rocprim17ROCPRIM_400000_NS6detail17trampoline_kernelINS0_14default_configENS1_25partition_config_selectorILNS1_17partition_subalgoE0EsNS0_10empty_typeEbEEZZNS1_14partition_implILS5_0ELb0ES3_jN6thrust23THRUST_200600_302600_NS6detail15normal_iteratorINSA_10device_ptrIsEEEEPS6_SG_NS0_5tupleIJSF_SF_EEENSH_IJSG_SG_EEES6_PlJ7is_evenIsEEEE10hipError_tPvRmT3_T4_T5_T6_T7_T9_mT8_P12ihipStream_tbDpT10_ENKUlT_T0_E_clISt17integral_constantIbLb1EES16_EEDaS11_S12_EUlS11_E_NS1_11comp_targetILNS1_3genE9ELNS1_11target_archE1100ELNS1_3gpuE3ELNS1_3repE0EEENS1_30default_config_static_selectorELNS0_4arch9wavefront6targetE1EEEvT1_, .Lfunc_end367-_ZN7rocprim17ROCPRIM_400000_NS6detail17trampoline_kernelINS0_14default_configENS1_25partition_config_selectorILNS1_17partition_subalgoE0EsNS0_10empty_typeEbEEZZNS1_14partition_implILS5_0ELb0ES3_jN6thrust23THRUST_200600_302600_NS6detail15normal_iteratorINSA_10device_ptrIsEEEEPS6_SG_NS0_5tupleIJSF_SF_EEENSH_IJSG_SG_EEES6_PlJ7is_evenIsEEEE10hipError_tPvRmT3_T4_T5_T6_T7_T9_mT8_P12ihipStream_tbDpT10_ENKUlT_T0_E_clISt17integral_constantIbLb1EES16_EEDaS11_S12_EUlS11_E_NS1_11comp_targetILNS1_3genE9ELNS1_11target_archE1100ELNS1_3gpuE3ELNS1_3repE0EEENS1_30default_config_static_selectorELNS0_4arch9wavefront6targetE1EEEvT1_
                                        ; -- End function
	.section	.AMDGPU.csdata,"",@progbits
; Kernel info:
; codeLenInByte = 0
; NumSgprs: 6
; NumVgprs: 0
; NumAgprs: 0
; TotalNumVgprs: 0
; ScratchSize: 0
; MemoryBound: 0
; FloatMode: 240
; IeeeMode: 1
; LDSByteSize: 0 bytes/workgroup (compile time only)
; SGPRBlocks: 0
; VGPRBlocks: 0
; NumSGPRsForWavesPerEU: 6
; NumVGPRsForWavesPerEU: 1
; AccumOffset: 4
; Occupancy: 8
; WaveLimiterHint : 0
; COMPUTE_PGM_RSRC2:SCRATCH_EN: 0
; COMPUTE_PGM_RSRC2:USER_SGPR: 2
; COMPUTE_PGM_RSRC2:TRAP_HANDLER: 0
; COMPUTE_PGM_RSRC2:TGID_X_EN: 1
; COMPUTE_PGM_RSRC2:TGID_Y_EN: 0
; COMPUTE_PGM_RSRC2:TGID_Z_EN: 0
; COMPUTE_PGM_RSRC2:TIDIG_COMP_CNT: 0
; COMPUTE_PGM_RSRC3_GFX90A:ACCUM_OFFSET: 0
; COMPUTE_PGM_RSRC3_GFX90A:TG_SPLIT: 0
	.section	.text._ZN7rocprim17ROCPRIM_400000_NS6detail17trampoline_kernelINS0_14default_configENS1_25partition_config_selectorILNS1_17partition_subalgoE0EsNS0_10empty_typeEbEEZZNS1_14partition_implILS5_0ELb0ES3_jN6thrust23THRUST_200600_302600_NS6detail15normal_iteratorINSA_10device_ptrIsEEEEPS6_SG_NS0_5tupleIJSF_SF_EEENSH_IJSG_SG_EEES6_PlJ7is_evenIsEEEE10hipError_tPvRmT3_T4_T5_T6_T7_T9_mT8_P12ihipStream_tbDpT10_ENKUlT_T0_E_clISt17integral_constantIbLb1EES16_EEDaS11_S12_EUlS11_E_NS1_11comp_targetILNS1_3genE8ELNS1_11target_archE1030ELNS1_3gpuE2ELNS1_3repE0EEENS1_30default_config_static_selectorELNS0_4arch9wavefront6targetE1EEEvT1_,"axG",@progbits,_ZN7rocprim17ROCPRIM_400000_NS6detail17trampoline_kernelINS0_14default_configENS1_25partition_config_selectorILNS1_17partition_subalgoE0EsNS0_10empty_typeEbEEZZNS1_14partition_implILS5_0ELb0ES3_jN6thrust23THRUST_200600_302600_NS6detail15normal_iteratorINSA_10device_ptrIsEEEEPS6_SG_NS0_5tupleIJSF_SF_EEENSH_IJSG_SG_EEES6_PlJ7is_evenIsEEEE10hipError_tPvRmT3_T4_T5_T6_T7_T9_mT8_P12ihipStream_tbDpT10_ENKUlT_T0_E_clISt17integral_constantIbLb1EES16_EEDaS11_S12_EUlS11_E_NS1_11comp_targetILNS1_3genE8ELNS1_11target_archE1030ELNS1_3gpuE2ELNS1_3repE0EEENS1_30default_config_static_selectorELNS0_4arch9wavefront6targetE1EEEvT1_,comdat
	.protected	_ZN7rocprim17ROCPRIM_400000_NS6detail17trampoline_kernelINS0_14default_configENS1_25partition_config_selectorILNS1_17partition_subalgoE0EsNS0_10empty_typeEbEEZZNS1_14partition_implILS5_0ELb0ES3_jN6thrust23THRUST_200600_302600_NS6detail15normal_iteratorINSA_10device_ptrIsEEEEPS6_SG_NS0_5tupleIJSF_SF_EEENSH_IJSG_SG_EEES6_PlJ7is_evenIsEEEE10hipError_tPvRmT3_T4_T5_T6_T7_T9_mT8_P12ihipStream_tbDpT10_ENKUlT_T0_E_clISt17integral_constantIbLb1EES16_EEDaS11_S12_EUlS11_E_NS1_11comp_targetILNS1_3genE8ELNS1_11target_archE1030ELNS1_3gpuE2ELNS1_3repE0EEENS1_30default_config_static_selectorELNS0_4arch9wavefront6targetE1EEEvT1_ ; -- Begin function _ZN7rocprim17ROCPRIM_400000_NS6detail17trampoline_kernelINS0_14default_configENS1_25partition_config_selectorILNS1_17partition_subalgoE0EsNS0_10empty_typeEbEEZZNS1_14partition_implILS5_0ELb0ES3_jN6thrust23THRUST_200600_302600_NS6detail15normal_iteratorINSA_10device_ptrIsEEEEPS6_SG_NS0_5tupleIJSF_SF_EEENSH_IJSG_SG_EEES6_PlJ7is_evenIsEEEE10hipError_tPvRmT3_T4_T5_T6_T7_T9_mT8_P12ihipStream_tbDpT10_ENKUlT_T0_E_clISt17integral_constantIbLb1EES16_EEDaS11_S12_EUlS11_E_NS1_11comp_targetILNS1_3genE8ELNS1_11target_archE1030ELNS1_3gpuE2ELNS1_3repE0EEENS1_30default_config_static_selectorELNS0_4arch9wavefront6targetE1EEEvT1_
	.globl	_ZN7rocprim17ROCPRIM_400000_NS6detail17trampoline_kernelINS0_14default_configENS1_25partition_config_selectorILNS1_17partition_subalgoE0EsNS0_10empty_typeEbEEZZNS1_14partition_implILS5_0ELb0ES3_jN6thrust23THRUST_200600_302600_NS6detail15normal_iteratorINSA_10device_ptrIsEEEEPS6_SG_NS0_5tupleIJSF_SF_EEENSH_IJSG_SG_EEES6_PlJ7is_evenIsEEEE10hipError_tPvRmT3_T4_T5_T6_T7_T9_mT8_P12ihipStream_tbDpT10_ENKUlT_T0_E_clISt17integral_constantIbLb1EES16_EEDaS11_S12_EUlS11_E_NS1_11comp_targetILNS1_3genE8ELNS1_11target_archE1030ELNS1_3gpuE2ELNS1_3repE0EEENS1_30default_config_static_selectorELNS0_4arch9wavefront6targetE1EEEvT1_
	.p2align	8
	.type	_ZN7rocprim17ROCPRIM_400000_NS6detail17trampoline_kernelINS0_14default_configENS1_25partition_config_selectorILNS1_17partition_subalgoE0EsNS0_10empty_typeEbEEZZNS1_14partition_implILS5_0ELb0ES3_jN6thrust23THRUST_200600_302600_NS6detail15normal_iteratorINSA_10device_ptrIsEEEEPS6_SG_NS0_5tupleIJSF_SF_EEENSH_IJSG_SG_EEES6_PlJ7is_evenIsEEEE10hipError_tPvRmT3_T4_T5_T6_T7_T9_mT8_P12ihipStream_tbDpT10_ENKUlT_T0_E_clISt17integral_constantIbLb1EES16_EEDaS11_S12_EUlS11_E_NS1_11comp_targetILNS1_3genE8ELNS1_11target_archE1030ELNS1_3gpuE2ELNS1_3repE0EEENS1_30default_config_static_selectorELNS0_4arch9wavefront6targetE1EEEvT1_,@function
_ZN7rocprim17ROCPRIM_400000_NS6detail17trampoline_kernelINS0_14default_configENS1_25partition_config_selectorILNS1_17partition_subalgoE0EsNS0_10empty_typeEbEEZZNS1_14partition_implILS5_0ELb0ES3_jN6thrust23THRUST_200600_302600_NS6detail15normal_iteratorINSA_10device_ptrIsEEEEPS6_SG_NS0_5tupleIJSF_SF_EEENSH_IJSG_SG_EEES6_PlJ7is_evenIsEEEE10hipError_tPvRmT3_T4_T5_T6_T7_T9_mT8_P12ihipStream_tbDpT10_ENKUlT_T0_E_clISt17integral_constantIbLb1EES16_EEDaS11_S12_EUlS11_E_NS1_11comp_targetILNS1_3genE8ELNS1_11target_archE1030ELNS1_3gpuE2ELNS1_3repE0EEENS1_30default_config_static_selectorELNS0_4arch9wavefront6targetE1EEEvT1_: ; @_ZN7rocprim17ROCPRIM_400000_NS6detail17trampoline_kernelINS0_14default_configENS1_25partition_config_selectorILNS1_17partition_subalgoE0EsNS0_10empty_typeEbEEZZNS1_14partition_implILS5_0ELb0ES3_jN6thrust23THRUST_200600_302600_NS6detail15normal_iteratorINSA_10device_ptrIsEEEEPS6_SG_NS0_5tupleIJSF_SF_EEENSH_IJSG_SG_EEES6_PlJ7is_evenIsEEEE10hipError_tPvRmT3_T4_T5_T6_T7_T9_mT8_P12ihipStream_tbDpT10_ENKUlT_T0_E_clISt17integral_constantIbLb1EES16_EEDaS11_S12_EUlS11_E_NS1_11comp_targetILNS1_3genE8ELNS1_11target_archE1030ELNS1_3gpuE2ELNS1_3repE0EEENS1_30default_config_static_selectorELNS0_4arch9wavefront6targetE1EEEvT1_
; %bb.0:
	.section	.rodata,"a",@progbits
	.p2align	6, 0x0
	.amdhsa_kernel _ZN7rocprim17ROCPRIM_400000_NS6detail17trampoline_kernelINS0_14default_configENS1_25partition_config_selectorILNS1_17partition_subalgoE0EsNS0_10empty_typeEbEEZZNS1_14partition_implILS5_0ELb0ES3_jN6thrust23THRUST_200600_302600_NS6detail15normal_iteratorINSA_10device_ptrIsEEEEPS6_SG_NS0_5tupleIJSF_SF_EEENSH_IJSG_SG_EEES6_PlJ7is_evenIsEEEE10hipError_tPvRmT3_T4_T5_T6_T7_T9_mT8_P12ihipStream_tbDpT10_ENKUlT_T0_E_clISt17integral_constantIbLb1EES16_EEDaS11_S12_EUlS11_E_NS1_11comp_targetILNS1_3genE8ELNS1_11target_archE1030ELNS1_3gpuE2ELNS1_3repE0EEENS1_30default_config_static_selectorELNS0_4arch9wavefront6targetE1EEEvT1_
		.amdhsa_group_segment_fixed_size 0
		.amdhsa_private_segment_fixed_size 0
		.amdhsa_kernarg_size 136
		.amdhsa_user_sgpr_count 2
		.amdhsa_user_sgpr_dispatch_ptr 0
		.amdhsa_user_sgpr_queue_ptr 0
		.amdhsa_user_sgpr_kernarg_segment_ptr 1
		.amdhsa_user_sgpr_dispatch_id 0
		.amdhsa_user_sgpr_kernarg_preload_length 0
		.amdhsa_user_sgpr_kernarg_preload_offset 0
		.amdhsa_user_sgpr_private_segment_size 0
		.amdhsa_uses_dynamic_stack 0
		.amdhsa_enable_private_segment 0
		.amdhsa_system_sgpr_workgroup_id_x 1
		.amdhsa_system_sgpr_workgroup_id_y 0
		.amdhsa_system_sgpr_workgroup_id_z 0
		.amdhsa_system_sgpr_workgroup_info 0
		.amdhsa_system_vgpr_workitem_id 0
		.amdhsa_next_free_vgpr 1
		.amdhsa_next_free_sgpr 0
		.amdhsa_accum_offset 4
		.amdhsa_reserve_vcc 0
		.amdhsa_float_round_mode_32 0
		.amdhsa_float_round_mode_16_64 0
		.amdhsa_float_denorm_mode_32 3
		.amdhsa_float_denorm_mode_16_64 3
		.amdhsa_dx10_clamp 1
		.amdhsa_ieee_mode 1
		.amdhsa_fp16_overflow 0
		.amdhsa_tg_split 0
		.amdhsa_exception_fp_ieee_invalid_op 0
		.amdhsa_exception_fp_denorm_src 0
		.amdhsa_exception_fp_ieee_div_zero 0
		.amdhsa_exception_fp_ieee_overflow 0
		.amdhsa_exception_fp_ieee_underflow 0
		.amdhsa_exception_fp_ieee_inexact 0
		.amdhsa_exception_int_div_zero 0
	.end_amdhsa_kernel
	.section	.text._ZN7rocprim17ROCPRIM_400000_NS6detail17trampoline_kernelINS0_14default_configENS1_25partition_config_selectorILNS1_17partition_subalgoE0EsNS0_10empty_typeEbEEZZNS1_14partition_implILS5_0ELb0ES3_jN6thrust23THRUST_200600_302600_NS6detail15normal_iteratorINSA_10device_ptrIsEEEEPS6_SG_NS0_5tupleIJSF_SF_EEENSH_IJSG_SG_EEES6_PlJ7is_evenIsEEEE10hipError_tPvRmT3_T4_T5_T6_T7_T9_mT8_P12ihipStream_tbDpT10_ENKUlT_T0_E_clISt17integral_constantIbLb1EES16_EEDaS11_S12_EUlS11_E_NS1_11comp_targetILNS1_3genE8ELNS1_11target_archE1030ELNS1_3gpuE2ELNS1_3repE0EEENS1_30default_config_static_selectorELNS0_4arch9wavefront6targetE1EEEvT1_,"axG",@progbits,_ZN7rocprim17ROCPRIM_400000_NS6detail17trampoline_kernelINS0_14default_configENS1_25partition_config_selectorILNS1_17partition_subalgoE0EsNS0_10empty_typeEbEEZZNS1_14partition_implILS5_0ELb0ES3_jN6thrust23THRUST_200600_302600_NS6detail15normal_iteratorINSA_10device_ptrIsEEEEPS6_SG_NS0_5tupleIJSF_SF_EEENSH_IJSG_SG_EEES6_PlJ7is_evenIsEEEE10hipError_tPvRmT3_T4_T5_T6_T7_T9_mT8_P12ihipStream_tbDpT10_ENKUlT_T0_E_clISt17integral_constantIbLb1EES16_EEDaS11_S12_EUlS11_E_NS1_11comp_targetILNS1_3genE8ELNS1_11target_archE1030ELNS1_3gpuE2ELNS1_3repE0EEENS1_30default_config_static_selectorELNS0_4arch9wavefront6targetE1EEEvT1_,comdat
.Lfunc_end368:
	.size	_ZN7rocprim17ROCPRIM_400000_NS6detail17trampoline_kernelINS0_14default_configENS1_25partition_config_selectorILNS1_17partition_subalgoE0EsNS0_10empty_typeEbEEZZNS1_14partition_implILS5_0ELb0ES3_jN6thrust23THRUST_200600_302600_NS6detail15normal_iteratorINSA_10device_ptrIsEEEEPS6_SG_NS0_5tupleIJSF_SF_EEENSH_IJSG_SG_EEES6_PlJ7is_evenIsEEEE10hipError_tPvRmT3_T4_T5_T6_T7_T9_mT8_P12ihipStream_tbDpT10_ENKUlT_T0_E_clISt17integral_constantIbLb1EES16_EEDaS11_S12_EUlS11_E_NS1_11comp_targetILNS1_3genE8ELNS1_11target_archE1030ELNS1_3gpuE2ELNS1_3repE0EEENS1_30default_config_static_selectorELNS0_4arch9wavefront6targetE1EEEvT1_, .Lfunc_end368-_ZN7rocprim17ROCPRIM_400000_NS6detail17trampoline_kernelINS0_14default_configENS1_25partition_config_selectorILNS1_17partition_subalgoE0EsNS0_10empty_typeEbEEZZNS1_14partition_implILS5_0ELb0ES3_jN6thrust23THRUST_200600_302600_NS6detail15normal_iteratorINSA_10device_ptrIsEEEEPS6_SG_NS0_5tupleIJSF_SF_EEENSH_IJSG_SG_EEES6_PlJ7is_evenIsEEEE10hipError_tPvRmT3_T4_T5_T6_T7_T9_mT8_P12ihipStream_tbDpT10_ENKUlT_T0_E_clISt17integral_constantIbLb1EES16_EEDaS11_S12_EUlS11_E_NS1_11comp_targetILNS1_3genE8ELNS1_11target_archE1030ELNS1_3gpuE2ELNS1_3repE0EEENS1_30default_config_static_selectorELNS0_4arch9wavefront6targetE1EEEvT1_
                                        ; -- End function
	.section	.AMDGPU.csdata,"",@progbits
; Kernel info:
; codeLenInByte = 0
; NumSgprs: 6
; NumVgprs: 0
; NumAgprs: 0
; TotalNumVgprs: 0
; ScratchSize: 0
; MemoryBound: 0
; FloatMode: 240
; IeeeMode: 1
; LDSByteSize: 0 bytes/workgroup (compile time only)
; SGPRBlocks: 0
; VGPRBlocks: 0
; NumSGPRsForWavesPerEU: 6
; NumVGPRsForWavesPerEU: 1
; AccumOffset: 4
; Occupancy: 8
; WaveLimiterHint : 0
; COMPUTE_PGM_RSRC2:SCRATCH_EN: 0
; COMPUTE_PGM_RSRC2:USER_SGPR: 2
; COMPUTE_PGM_RSRC2:TRAP_HANDLER: 0
; COMPUTE_PGM_RSRC2:TGID_X_EN: 1
; COMPUTE_PGM_RSRC2:TGID_Y_EN: 0
; COMPUTE_PGM_RSRC2:TGID_Z_EN: 0
; COMPUTE_PGM_RSRC2:TIDIG_COMP_CNT: 0
; COMPUTE_PGM_RSRC3_GFX90A:ACCUM_OFFSET: 0
; COMPUTE_PGM_RSRC3_GFX90A:TG_SPLIT: 0
	.section	.text._ZN7rocprim17ROCPRIM_400000_NS6detail17trampoline_kernelINS0_14default_configENS1_25partition_config_selectorILNS1_17partition_subalgoE0EsNS0_10empty_typeEbEEZZNS1_14partition_implILS5_0ELb0ES3_jN6thrust23THRUST_200600_302600_NS6detail15normal_iteratorINSA_10device_ptrIsEEEEPS6_SG_NS0_5tupleIJSF_SF_EEENSH_IJSG_SG_EEES6_PlJ7is_evenIsEEEE10hipError_tPvRmT3_T4_T5_T6_T7_T9_mT8_P12ihipStream_tbDpT10_ENKUlT_T0_E_clISt17integral_constantIbLb1EES15_IbLb0EEEEDaS11_S12_EUlS11_E_NS1_11comp_targetILNS1_3genE0ELNS1_11target_archE4294967295ELNS1_3gpuE0ELNS1_3repE0EEENS1_30default_config_static_selectorELNS0_4arch9wavefront6targetE1EEEvT1_,"axG",@progbits,_ZN7rocprim17ROCPRIM_400000_NS6detail17trampoline_kernelINS0_14default_configENS1_25partition_config_selectorILNS1_17partition_subalgoE0EsNS0_10empty_typeEbEEZZNS1_14partition_implILS5_0ELb0ES3_jN6thrust23THRUST_200600_302600_NS6detail15normal_iteratorINSA_10device_ptrIsEEEEPS6_SG_NS0_5tupleIJSF_SF_EEENSH_IJSG_SG_EEES6_PlJ7is_evenIsEEEE10hipError_tPvRmT3_T4_T5_T6_T7_T9_mT8_P12ihipStream_tbDpT10_ENKUlT_T0_E_clISt17integral_constantIbLb1EES15_IbLb0EEEEDaS11_S12_EUlS11_E_NS1_11comp_targetILNS1_3genE0ELNS1_11target_archE4294967295ELNS1_3gpuE0ELNS1_3repE0EEENS1_30default_config_static_selectorELNS0_4arch9wavefront6targetE1EEEvT1_,comdat
	.protected	_ZN7rocprim17ROCPRIM_400000_NS6detail17trampoline_kernelINS0_14default_configENS1_25partition_config_selectorILNS1_17partition_subalgoE0EsNS0_10empty_typeEbEEZZNS1_14partition_implILS5_0ELb0ES3_jN6thrust23THRUST_200600_302600_NS6detail15normal_iteratorINSA_10device_ptrIsEEEEPS6_SG_NS0_5tupleIJSF_SF_EEENSH_IJSG_SG_EEES6_PlJ7is_evenIsEEEE10hipError_tPvRmT3_T4_T5_T6_T7_T9_mT8_P12ihipStream_tbDpT10_ENKUlT_T0_E_clISt17integral_constantIbLb1EES15_IbLb0EEEEDaS11_S12_EUlS11_E_NS1_11comp_targetILNS1_3genE0ELNS1_11target_archE4294967295ELNS1_3gpuE0ELNS1_3repE0EEENS1_30default_config_static_selectorELNS0_4arch9wavefront6targetE1EEEvT1_ ; -- Begin function _ZN7rocprim17ROCPRIM_400000_NS6detail17trampoline_kernelINS0_14default_configENS1_25partition_config_selectorILNS1_17partition_subalgoE0EsNS0_10empty_typeEbEEZZNS1_14partition_implILS5_0ELb0ES3_jN6thrust23THRUST_200600_302600_NS6detail15normal_iteratorINSA_10device_ptrIsEEEEPS6_SG_NS0_5tupleIJSF_SF_EEENSH_IJSG_SG_EEES6_PlJ7is_evenIsEEEE10hipError_tPvRmT3_T4_T5_T6_T7_T9_mT8_P12ihipStream_tbDpT10_ENKUlT_T0_E_clISt17integral_constantIbLb1EES15_IbLb0EEEEDaS11_S12_EUlS11_E_NS1_11comp_targetILNS1_3genE0ELNS1_11target_archE4294967295ELNS1_3gpuE0ELNS1_3repE0EEENS1_30default_config_static_selectorELNS0_4arch9wavefront6targetE1EEEvT1_
	.globl	_ZN7rocprim17ROCPRIM_400000_NS6detail17trampoline_kernelINS0_14default_configENS1_25partition_config_selectorILNS1_17partition_subalgoE0EsNS0_10empty_typeEbEEZZNS1_14partition_implILS5_0ELb0ES3_jN6thrust23THRUST_200600_302600_NS6detail15normal_iteratorINSA_10device_ptrIsEEEEPS6_SG_NS0_5tupleIJSF_SF_EEENSH_IJSG_SG_EEES6_PlJ7is_evenIsEEEE10hipError_tPvRmT3_T4_T5_T6_T7_T9_mT8_P12ihipStream_tbDpT10_ENKUlT_T0_E_clISt17integral_constantIbLb1EES15_IbLb0EEEEDaS11_S12_EUlS11_E_NS1_11comp_targetILNS1_3genE0ELNS1_11target_archE4294967295ELNS1_3gpuE0ELNS1_3repE0EEENS1_30default_config_static_selectorELNS0_4arch9wavefront6targetE1EEEvT1_
	.p2align	8
	.type	_ZN7rocprim17ROCPRIM_400000_NS6detail17trampoline_kernelINS0_14default_configENS1_25partition_config_selectorILNS1_17partition_subalgoE0EsNS0_10empty_typeEbEEZZNS1_14partition_implILS5_0ELb0ES3_jN6thrust23THRUST_200600_302600_NS6detail15normal_iteratorINSA_10device_ptrIsEEEEPS6_SG_NS0_5tupleIJSF_SF_EEENSH_IJSG_SG_EEES6_PlJ7is_evenIsEEEE10hipError_tPvRmT3_T4_T5_T6_T7_T9_mT8_P12ihipStream_tbDpT10_ENKUlT_T0_E_clISt17integral_constantIbLb1EES15_IbLb0EEEEDaS11_S12_EUlS11_E_NS1_11comp_targetILNS1_3genE0ELNS1_11target_archE4294967295ELNS1_3gpuE0ELNS1_3repE0EEENS1_30default_config_static_selectorELNS0_4arch9wavefront6targetE1EEEvT1_,@function
_ZN7rocprim17ROCPRIM_400000_NS6detail17trampoline_kernelINS0_14default_configENS1_25partition_config_selectorILNS1_17partition_subalgoE0EsNS0_10empty_typeEbEEZZNS1_14partition_implILS5_0ELb0ES3_jN6thrust23THRUST_200600_302600_NS6detail15normal_iteratorINSA_10device_ptrIsEEEEPS6_SG_NS0_5tupleIJSF_SF_EEENSH_IJSG_SG_EEES6_PlJ7is_evenIsEEEE10hipError_tPvRmT3_T4_T5_T6_T7_T9_mT8_P12ihipStream_tbDpT10_ENKUlT_T0_E_clISt17integral_constantIbLb1EES15_IbLb0EEEEDaS11_S12_EUlS11_E_NS1_11comp_targetILNS1_3genE0ELNS1_11target_archE4294967295ELNS1_3gpuE0ELNS1_3repE0EEENS1_30default_config_static_selectorELNS0_4arch9wavefront6targetE1EEEvT1_: ; @_ZN7rocprim17ROCPRIM_400000_NS6detail17trampoline_kernelINS0_14default_configENS1_25partition_config_selectorILNS1_17partition_subalgoE0EsNS0_10empty_typeEbEEZZNS1_14partition_implILS5_0ELb0ES3_jN6thrust23THRUST_200600_302600_NS6detail15normal_iteratorINSA_10device_ptrIsEEEEPS6_SG_NS0_5tupleIJSF_SF_EEENSH_IJSG_SG_EEES6_PlJ7is_evenIsEEEE10hipError_tPvRmT3_T4_T5_T6_T7_T9_mT8_P12ihipStream_tbDpT10_ENKUlT_T0_E_clISt17integral_constantIbLb1EES15_IbLb0EEEEDaS11_S12_EUlS11_E_NS1_11comp_targetILNS1_3genE0ELNS1_11target_archE4294967295ELNS1_3gpuE0ELNS1_3repE0EEENS1_30default_config_static_selectorELNS0_4arch9wavefront6targetE1EEEvT1_
; %bb.0:
	.section	.rodata,"a",@progbits
	.p2align	6, 0x0
	.amdhsa_kernel _ZN7rocprim17ROCPRIM_400000_NS6detail17trampoline_kernelINS0_14default_configENS1_25partition_config_selectorILNS1_17partition_subalgoE0EsNS0_10empty_typeEbEEZZNS1_14partition_implILS5_0ELb0ES3_jN6thrust23THRUST_200600_302600_NS6detail15normal_iteratorINSA_10device_ptrIsEEEEPS6_SG_NS0_5tupleIJSF_SF_EEENSH_IJSG_SG_EEES6_PlJ7is_evenIsEEEE10hipError_tPvRmT3_T4_T5_T6_T7_T9_mT8_P12ihipStream_tbDpT10_ENKUlT_T0_E_clISt17integral_constantIbLb1EES15_IbLb0EEEEDaS11_S12_EUlS11_E_NS1_11comp_targetILNS1_3genE0ELNS1_11target_archE4294967295ELNS1_3gpuE0ELNS1_3repE0EEENS1_30default_config_static_selectorELNS0_4arch9wavefront6targetE1EEEvT1_
		.amdhsa_group_segment_fixed_size 0
		.amdhsa_private_segment_fixed_size 0
		.amdhsa_kernarg_size 120
		.amdhsa_user_sgpr_count 2
		.amdhsa_user_sgpr_dispatch_ptr 0
		.amdhsa_user_sgpr_queue_ptr 0
		.amdhsa_user_sgpr_kernarg_segment_ptr 1
		.amdhsa_user_sgpr_dispatch_id 0
		.amdhsa_user_sgpr_kernarg_preload_length 0
		.amdhsa_user_sgpr_kernarg_preload_offset 0
		.amdhsa_user_sgpr_private_segment_size 0
		.amdhsa_uses_dynamic_stack 0
		.amdhsa_enable_private_segment 0
		.amdhsa_system_sgpr_workgroup_id_x 1
		.amdhsa_system_sgpr_workgroup_id_y 0
		.amdhsa_system_sgpr_workgroup_id_z 0
		.amdhsa_system_sgpr_workgroup_info 0
		.amdhsa_system_vgpr_workitem_id 0
		.amdhsa_next_free_vgpr 1
		.amdhsa_next_free_sgpr 0
		.amdhsa_accum_offset 4
		.amdhsa_reserve_vcc 0
		.amdhsa_float_round_mode_32 0
		.amdhsa_float_round_mode_16_64 0
		.amdhsa_float_denorm_mode_32 3
		.amdhsa_float_denorm_mode_16_64 3
		.amdhsa_dx10_clamp 1
		.amdhsa_ieee_mode 1
		.amdhsa_fp16_overflow 0
		.amdhsa_tg_split 0
		.amdhsa_exception_fp_ieee_invalid_op 0
		.amdhsa_exception_fp_denorm_src 0
		.amdhsa_exception_fp_ieee_div_zero 0
		.amdhsa_exception_fp_ieee_overflow 0
		.amdhsa_exception_fp_ieee_underflow 0
		.amdhsa_exception_fp_ieee_inexact 0
		.amdhsa_exception_int_div_zero 0
	.end_amdhsa_kernel
	.section	.text._ZN7rocprim17ROCPRIM_400000_NS6detail17trampoline_kernelINS0_14default_configENS1_25partition_config_selectorILNS1_17partition_subalgoE0EsNS0_10empty_typeEbEEZZNS1_14partition_implILS5_0ELb0ES3_jN6thrust23THRUST_200600_302600_NS6detail15normal_iteratorINSA_10device_ptrIsEEEEPS6_SG_NS0_5tupleIJSF_SF_EEENSH_IJSG_SG_EEES6_PlJ7is_evenIsEEEE10hipError_tPvRmT3_T4_T5_T6_T7_T9_mT8_P12ihipStream_tbDpT10_ENKUlT_T0_E_clISt17integral_constantIbLb1EES15_IbLb0EEEEDaS11_S12_EUlS11_E_NS1_11comp_targetILNS1_3genE0ELNS1_11target_archE4294967295ELNS1_3gpuE0ELNS1_3repE0EEENS1_30default_config_static_selectorELNS0_4arch9wavefront6targetE1EEEvT1_,"axG",@progbits,_ZN7rocprim17ROCPRIM_400000_NS6detail17trampoline_kernelINS0_14default_configENS1_25partition_config_selectorILNS1_17partition_subalgoE0EsNS0_10empty_typeEbEEZZNS1_14partition_implILS5_0ELb0ES3_jN6thrust23THRUST_200600_302600_NS6detail15normal_iteratorINSA_10device_ptrIsEEEEPS6_SG_NS0_5tupleIJSF_SF_EEENSH_IJSG_SG_EEES6_PlJ7is_evenIsEEEE10hipError_tPvRmT3_T4_T5_T6_T7_T9_mT8_P12ihipStream_tbDpT10_ENKUlT_T0_E_clISt17integral_constantIbLb1EES15_IbLb0EEEEDaS11_S12_EUlS11_E_NS1_11comp_targetILNS1_3genE0ELNS1_11target_archE4294967295ELNS1_3gpuE0ELNS1_3repE0EEENS1_30default_config_static_selectorELNS0_4arch9wavefront6targetE1EEEvT1_,comdat
.Lfunc_end369:
	.size	_ZN7rocprim17ROCPRIM_400000_NS6detail17trampoline_kernelINS0_14default_configENS1_25partition_config_selectorILNS1_17partition_subalgoE0EsNS0_10empty_typeEbEEZZNS1_14partition_implILS5_0ELb0ES3_jN6thrust23THRUST_200600_302600_NS6detail15normal_iteratorINSA_10device_ptrIsEEEEPS6_SG_NS0_5tupleIJSF_SF_EEENSH_IJSG_SG_EEES6_PlJ7is_evenIsEEEE10hipError_tPvRmT3_T4_T5_T6_T7_T9_mT8_P12ihipStream_tbDpT10_ENKUlT_T0_E_clISt17integral_constantIbLb1EES15_IbLb0EEEEDaS11_S12_EUlS11_E_NS1_11comp_targetILNS1_3genE0ELNS1_11target_archE4294967295ELNS1_3gpuE0ELNS1_3repE0EEENS1_30default_config_static_selectorELNS0_4arch9wavefront6targetE1EEEvT1_, .Lfunc_end369-_ZN7rocprim17ROCPRIM_400000_NS6detail17trampoline_kernelINS0_14default_configENS1_25partition_config_selectorILNS1_17partition_subalgoE0EsNS0_10empty_typeEbEEZZNS1_14partition_implILS5_0ELb0ES3_jN6thrust23THRUST_200600_302600_NS6detail15normal_iteratorINSA_10device_ptrIsEEEEPS6_SG_NS0_5tupleIJSF_SF_EEENSH_IJSG_SG_EEES6_PlJ7is_evenIsEEEE10hipError_tPvRmT3_T4_T5_T6_T7_T9_mT8_P12ihipStream_tbDpT10_ENKUlT_T0_E_clISt17integral_constantIbLb1EES15_IbLb0EEEEDaS11_S12_EUlS11_E_NS1_11comp_targetILNS1_3genE0ELNS1_11target_archE4294967295ELNS1_3gpuE0ELNS1_3repE0EEENS1_30default_config_static_selectorELNS0_4arch9wavefront6targetE1EEEvT1_
                                        ; -- End function
	.section	.AMDGPU.csdata,"",@progbits
; Kernel info:
; codeLenInByte = 0
; NumSgprs: 6
; NumVgprs: 0
; NumAgprs: 0
; TotalNumVgprs: 0
; ScratchSize: 0
; MemoryBound: 0
; FloatMode: 240
; IeeeMode: 1
; LDSByteSize: 0 bytes/workgroup (compile time only)
; SGPRBlocks: 0
; VGPRBlocks: 0
; NumSGPRsForWavesPerEU: 6
; NumVGPRsForWavesPerEU: 1
; AccumOffset: 4
; Occupancy: 8
; WaveLimiterHint : 0
; COMPUTE_PGM_RSRC2:SCRATCH_EN: 0
; COMPUTE_PGM_RSRC2:USER_SGPR: 2
; COMPUTE_PGM_RSRC2:TRAP_HANDLER: 0
; COMPUTE_PGM_RSRC2:TGID_X_EN: 1
; COMPUTE_PGM_RSRC2:TGID_Y_EN: 0
; COMPUTE_PGM_RSRC2:TGID_Z_EN: 0
; COMPUTE_PGM_RSRC2:TIDIG_COMP_CNT: 0
; COMPUTE_PGM_RSRC3_GFX90A:ACCUM_OFFSET: 0
; COMPUTE_PGM_RSRC3_GFX90A:TG_SPLIT: 0
	.section	.text._ZN7rocprim17ROCPRIM_400000_NS6detail17trampoline_kernelINS0_14default_configENS1_25partition_config_selectorILNS1_17partition_subalgoE0EsNS0_10empty_typeEbEEZZNS1_14partition_implILS5_0ELb0ES3_jN6thrust23THRUST_200600_302600_NS6detail15normal_iteratorINSA_10device_ptrIsEEEEPS6_SG_NS0_5tupleIJSF_SF_EEENSH_IJSG_SG_EEES6_PlJ7is_evenIsEEEE10hipError_tPvRmT3_T4_T5_T6_T7_T9_mT8_P12ihipStream_tbDpT10_ENKUlT_T0_E_clISt17integral_constantIbLb1EES15_IbLb0EEEEDaS11_S12_EUlS11_E_NS1_11comp_targetILNS1_3genE5ELNS1_11target_archE942ELNS1_3gpuE9ELNS1_3repE0EEENS1_30default_config_static_selectorELNS0_4arch9wavefront6targetE1EEEvT1_,"axG",@progbits,_ZN7rocprim17ROCPRIM_400000_NS6detail17trampoline_kernelINS0_14default_configENS1_25partition_config_selectorILNS1_17partition_subalgoE0EsNS0_10empty_typeEbEEZZNS1_14partition_implILS5_0ELb0ES3_jN6thrust23THRUST_200600_302600_NS6detail15normal_iteratorINSA_10device_ptrIsEEEEPS6_SG_NS0_5tupleIJSF_SF_EEENSH_IJSG_SG_EEES6_PlJ7is_evenIsEEEE10hipError_tPvRmT3_T4_T5_T6_T7_T9_mT8_P12ihipStream_tbDpT10_ENKUlT_T0_E_clISt17integral_constantIbLb1EES15_IbLb0EEEEDaS11_S12_EUlS11_E_NS1_11comp_targetILNS1_3genE5ELNS1_11target_archE942ELNS1_3gpuE9ELNS1_3repE0EEENS1_30default_config_static_selectorELNS0_4arch9wavefront6targetE1EEEvT1_,comdat
	.protected	_ZN7rocprim17ROCPRIM_400000_NS6detail17trampoline_kernelINS0_14default_configENS1_25partition_config_selectorILNS1_17partition_subalgoE0EsNS0_10empty_typeEbEEZZNS1_14partition_implILS5_0ELb0ES3_jN6thrust23THRUST_200600_302600_NS6detail15normal_iteratorINSA_10device_ptrIsEEEEPS6_SG_NS0_5tupleIJSF_SF_EEENSH_IJSG_SG_EEES6_PlJ7is_evenIsEEEE10hipError_tPvRmT3_T4_T5_T6_T7_T9_mT8_P12ihipStream_tbDpT10_ENKUlT_T0_E_clISt17integral_constantIbLb1EES15_IbLb0EEEEDaS11_S12_EUlS11_E_NS1_11comp_targetILNS1_3genE5ELNS1_11target_archE942ELNS1_3gpuE9ELNS1_3repE0EEENS1_30default_config_static_selectorELNS0_4arch9wavefront6targetE1EEEvT1_ ; -- Begin function _ZN7rocprim17ROCPRIM_400000_NS6detail17trampoline_kernelINS0_14default_configENS1_25partition_config_selectorILNS1_17partition_subalgoE0EsNS0_10empty_typeEbEEZZNS1_14partition_implILS5_0ELb0ES3_jN6thrust23THRUST_200600_302600_NS6detail15normal_iteratorINSA_10device_ptrIsEEEEPS6_SG_NS0_5tupleIJSF_SF_EEENSH_IJSG_SG_EEES6_PlJ7is_evenIsEEEE10hipError_tPvRmT3_T4_T5_T6_T7_T9_mT8_P12ihipStream_tbDpT10_ENKUlT_T0_E_clISt17integral_constantIbLb1EES15_IbLb0EEEEDaS11_S12_EUlS11_E_NS1_11comp_targetILNS1_3genE5ELNS1_11target_archE942ELNS1_3gpuE9ELNS1_3repE0EEENS1_30default_config_static_selectorELNS0_4arch9wavefront6targetE1EEEvT1_
	.globl	_ZN7rocprim17ROCPRIM_400000_NS6detail17trampoline_kernelINS0_14default_configENS1_25partition_config_selectorILNS1_17partition_subalgoE0EsNS0_10empty_typeEbEEZZNS1_14partition_implILS5_0ELb0ES3_jN6thrust23THRUST_200600_302600_NS6detail15normal_iteratorINSA_10device_ptrIsEEEEPS6_SG_NS0_5tupleIJSF_SF_EEENSH_IJSG_SG_EEES6_PlJ7is_evenIsEEEE10hipError_tPvRmT3_T4_T5_T6_T7_T9_mT8_P12ihipStream_tbDpT10_ENKUlT_T0_E_clISt17integral_constantIbLb1EES15_IbLb0EEEEDaS11_S12_EUlS11_E_NS1_11comp_targetILNS1_3genE5ELNS1_11target_archE942ELNS1_3gpuE9ELNS1_3repE0EEENS1_30default_config_static_selectorELNS0_4arch9wavefront6targetE1EEEvT1_
	.p2align	8
	.type	_ZN7rocprim17ROCPRIM_400000_NS6detail17trampoline_kernelINS0_14default_configENS1_25partition_config_selectorILNS1_17partition_subalgoE0EsNS0_10empty_typeEbEEZZNS1_14partition_implILS5_0ELb0ES3_jN6thrust23THRUST_200600_302600_NS6detail15normal_iteratorINSA_10device_ptrIsEEEEPS6_SG_NS0_5tupleIJSF_SF_EEENSH_IJSG_SG_EEES6_PlJ7is_evenIsEEEE10hipError_tPvRmT3_T4_T5_T6_T7_T9_mT8_P12ihipStream_tbDpT10_ENKUlT_T0_E_clISt17integral_constantIbLb1EES15_IbLb0EEEEDaS11_S12_EUlS11_E_NS1_11comp_targetILNS1_3genE5ELNS1_11target_archE942ELNS1_3gpuE9ELNS1_3repE0EEENS1_30default_config_static_selectorELNS0_4arch9wavefront6targetE1EEEvT1_,@function
_ZN7rocprim17ROCPRIM_400000_NS6detail17trampoline_kernelINS0_14default_configENS1_25partition_config_selectorILNS1_17partition_subalgoE0EsNS0_10empty_typeEbEEZZNS1_14partition_implILS5_0ELb0ES3_jN6thrust23THRUST_200600_302600_NS6detail15normal_iteratorINSA_10device_ptrIsEEEEPS6_SG_NS0_5tupleIJSF_SF_EEENSH_IJSG_SG_EEES6_PlJ7is_evenIsEEEE10hipError_tPvRmT3_T4_T5_T6_T7_T9_mT8_P12ihipStream_tbDpT10_ENKUlT_T0_E_clISt17integral_constantIbLb1EES15_IbLb0EEEEDaS11_S12_EUlS11_E_NS1_11comp_targetILNS1_3genE5ELNS1_11target_archE942ELNS1_3gpuE9ELNS1_3repE0EEENS1_30default_config_static_selectorELNS0_4arch9wavefront6targetE1EEEvT1_: ; @_ZN7rocprim17ROCPRIM_400000_NS6detail17trampoline_kernelINS0_14default_configENS1_25partition_config_selectorILNS1_17partition_subalgoE0EsNS0_10empty_typeEbEEZZNS1_14partition_implILS5_0ELb0ES3_jN6thrust23THRUST_200600_302600_NS6detail15normal_iteratorINSA_10device_ptrIsEEEEPS6_SG_NS0_5tupleIJSF_SF_EEENSH_IJSG_SG_EEES6_PlJ7is_evenIsEEEE10hipError_tPvRmT3_T4_T5_T6_T7_T9_mT8_P12ihipStream_tbDpT10_ENKUlT_T0_E_clISt17integral_constantIbLb1EES15_IbLb0EEEEDaS11_S12_EUlS11_E_NS1_11comp_targetILNS1_3genE5ELNS1_11target_archE942ELNS1_3gpuE9ELNS1_3repE0EEENS1_30default_config_static_selectorELNS0_4arch9wavefront6targetE1EEEvT1_
; %bb.0:
	s_load_dwordx2 s[4:5], s[0:1], 0x58
	s_load_dwordx4 s[20:23], s[0:1], 0x8
	s_load_dwordx4 s[24:27], s[0:1], 0x48
	s_load_dword s3, s[0:1], 0x70
	s_mul_i32 s8, s2, 0x3c00
	s_waitcnt lgkmcnt(0)
	v_mov_b32_e32 v3, s5
	s_lshl_b64 s[6:7], s[22:23], 1
	s_add_u32 s10, s20, s6
	s_addc_u32 s11, s21, s7
	s_add_i32 s6, s3, -1
	s_mulk_i32 s3, 0x3c00
	s_add_i32 s5, s3, s22
	s_sub_i32 s33, s4, s5
	s_addk_i32 s33, 0x3c00
	v_mov_b32_e32 v2, s4
	s_add_u32 s4, s22, s3
	s_addc_u32 s5, s23, 0
	s_cmp_eq_u32 s2, s6
	s_load_dwordx2 s[28:29], s[26:27], 0x0
	s_cselect_b64 s[26:27], -1, 0
	s_cmp_lg_u32 s2, s6
	s_mov_b32 s9, 0
	v_cmp_lt_u64_e32 vcc, s[4:5], v[2:3]
	s_cselect_b64 s[4:5], -1, 0
	s_or_b64 s[6:7], s[4:5], vcc
	s_lshl_b64 s[30:31], s[8:9], 1
	s_add_u32 s8, s10, s30
	s_addc_u32 s9, s11, s31
	s_mov_b64 s[4:5], -1
	s_and_b64 vcc, exec, s[6:7]
	v_lshlrev_b32_e32 v2, 1, v0
	s_cbranch_vccz .LBB370_2
; %bb.1:
	v_mov_b32_e32 v3, 0
	v_lshl_add_u64 v[4:5], s[8:9], 0, v[2:3]
	v_add_co_u32_e32 v6, vcc, 0x1000, v4
	s_mov_b64 s[4:5], 0
	s_nop 0
	v_addc_co_u32_e32 v7, vcc, 0, v5, vcc
	flat_load_ushort v1, v[4:5]
	flat_load_ushort v3, v[4:5] offset:1024
	flat_load_ushort v10, v[4:5] offset:2048
	flat_load_ushort v11, v[4:5] offset:3072
	flat_load_ushort v12, v[6:7]
	flat_load_ushort v13, v[6:7] offset:1024
	flat_load_ushort v14, v[6:7] offset:2048
	flat_load_ushort v15, v[6:7] offset:3072
	v_add_co_u32_e32 v6, vcc, 0x2000, v4
	s_nop 1
	v_addc_co_u32_e32 v7, vcc, 0, v5, vcc
	v_add_co_u32_e32 v8, vcc, 0x3000, v4
	s_nop 1
	v_addc_co_u32_e32 v9, vcc, 0, v5, vcc
	flat_load_ushort v16, v[6:7]
	flat_load_ushort v17, v[6:7] offset:1024
	flat_load_ushort v18, v[6:7] offset:2048
	flat_load_ushort v19, v[6:7] offset:3072
	flat_load_ushort v20, v[8:9]
	flat_load_ushort v21, v[8:9] offset:1024
	flat_load_ushort v22, v[8:9] offset:2048
	flat_load_ushort v23, v[8:9] offset:3072
	v_add_co_u32_e32 v6, vcc, 0x4000, v4
	s_nop 1
	v_addc_co_u32_e32 v7, vcc, 0, v5, vcc
	v_add_co_u32_e32 v8, vcc, 0x5000, v4
	s_nop 1
	v_addc_co_u32_e32 v9, vcc, 0, v5, vcc
	flat_load_ushort v24, v[6:7]
	flat_load_ushort v25, v[6:7] offset:1024
	flat_load_ushort v26, v[6:7] offset:2048
	flat_load_ushort v27, v[6:7] offset:3072
	flat_load_ushort v28, v[8:9]
	flat_load_ushort v29, v[8:9] offset:1024
	flat_load_ushort v30, v[8:9] offset:2048
	flat_load_ushort v31, v[8:9] offset:3072
	v_add_co_u32_e32 v6, vcc, 0x6000, v4
	s_nop 1
	v_addc_co_u32_e32 v7, vcc, 0, v5, vcc
	v_add_co_u32_e32 v4, vcc, 0x7000, v4
	s_nop 1
	v_addc_co_u32_e32 v5, vcc, 0, v5, vcc
	flat_load_ushort v8, v[6:7]
	flat_load_ushort v9, v[6:7] offset:1024
	flat_load_ushort v32, v[6:7] offset:2048
	;; [unrolled: 1-line block ×3, first 2 shown]
	flat_load_ushort v34, v[4:5]
	flat_load_ushort v35, v[4:5] offset:1024
	s_waitcnt vmcnt(0) lgkmcnt(0)
	ds_write_b16 v2, v1
	ds_write_b16 v2, v3 offset:1024
	ds_write_b16 v2, v10 offset:2048
	;; [unrolled: 1-line block ×29, first 2 shown]
	s_waitcnt lgkmcnt(0)
	s_barrier
.LBB370_2:
	s_andn2_b64 vcc, exec, s[4:5]
	v_cmp_gt_u32_e64 s[4:5], s33, v0
	s_cbranch_vccnz .LBB370_64
; %bb.3:
                                        ; implicit-def: $vgpr1
	s_and_saveexec_b64 s[10:11], s[4:5]
	s_cbranch_execz .LBB370_5
; %bb.4:
	v_mov_b32_e32 v3, 0
	v_lshl_add_u64 v[4:5], s[8:9], 0, v[2:3]
	flat_load_ushort v1, v[4:5]
.LBB370_5:
	s_or_b64 exec, exec, s[10:11]
	v_or_b32_e32 v3, 0x200, v0
	v_cmp_gt_u32_e32 vcc, s33, v3
                                        ; implicit-def: $vgpr4
	s_and_saveexec_b64 s[4:5], vcc
	s_cbranch_execz .LBB370_7
; %bb.6:
	v_mov_b32_e32 v3, 0
	v_lshl_add_u64 v[4:5], s[8:9], 0, v[2:3]
	flat_load_ushort v4, v[4:5] offset:1024
.LBB370_7:
	s_or_b64 exec, exec, s[4:5]
	v_or_b32_e32 v3, 0x400, v0
	v_cmp_gt_u32_e32 vcc, s33, v3
                                        ; implicit-def: $vgpr5
	s_and_saveexec_b64 s[4:5], vcc
	s_cbranch_execz .LBB370_9
; %bb.8:
	v_mov_b32_e32 v3, 0
	v_lshl_add_u64 v[6:7], s[8:9], 0, v[2:3]
	flat_load_ushort v5, v[6:7] offset:2048
.LBB370_9:
	s_or_b64 exec, exec, s[4:5]
	v_or_b32_e32 v3, 0x600, v0
	v_cmp_gt_u32_e32 vcc, s33, v3
                                        ; implicit-def: $vgpr3
	s_and_saveexec_b64 s[4:5], vcc
	s_cbranch_execz .LBB370_11
; %bb.10:
	v_mov_b32_e32 v3, 0
	v_lshl_add_u64 v[6:7], s[8:9], 0, v[2:3]
	flat_load_ushort v3, v[6:7] offset:3072
.LBB370_11:
	s_or_b64 exec, exec, s[4:5]
	v_or_b32_e32 v7, 0x800, v0
	v_cmp_gt_u32_e32 vcc, s33, v7
                                        ; implicit-def: $vgpr6
	s_and_saveexec_b64 s[4:5], vcc
	s_cbranch_execz .LBB370_13
; %bb.12:
	v_lshlrev_b32_e32 v6, 1, v7
	v_mov_b32_e32 v7, 0
	v_lshl_add_u64 v[6:7], s[8:9], 0, v[6:7]
	flat_load_ushort v6, v[6:7]
.LBB370_13:
	s_or_b64 exec, exec, s[4:5]
	v_or_b32_e32 v8, 0xa00, v0
	v_cmp_gt_u32_e32 vcc, s33, v8
                                        ; implicit-def: $vgpr7
	s_and_saveexec_b64 s[4:5], vcc
	s_cbranch_execz .LBB370_15
; %bb.14:
	v_lshlrev_b32_e32 v8, 1, v8
	v_mov_b32_e32 v9, 0
	v_lshl_add_u64 v[8:9], s[8:9], 0, v[8:9]
	flat_load_ushort v7, v[8:9]
.LBB370_15:
	s_or_b64 exec, exec, s[4:5]
	v_or_b32_e32 v9, 0xc00, v0
	v_cmp_gt_u32_e32 vcc, s33, v9
                                        ; implicit-def: $vgpr8
	s_and_saveexec_b64 s[4:5], vcc
	s_cbranch_execz .LBB370_17
; %bb.16:
	v_lshlrev_b32_e32 v8, 1, v9
	v_mov_b32_e32 v9, 0
	v_lshl_add_u64 v[8:9], s[8:9], 0, v[8:9]
	flat_load_ushort v8, v[8:9]
.LBB370_17:
	s_or_b64 exec, exec, s[4:5]
	v_or_b32_e32 v10, 0xe00, v0
	v_cmp_gt_u32_e32 vcc, s33, v10
                                        ; implicit-def: $vgpr9
	s_and_saveexec_b64 s[4:5], vcc
	s_cbranch_execz .LBB370_19
; %bb.18:
	v_lshlrev_b32_e32 v10, 1, v10
	v_mov_b32_e32 v11, 0
	v_lshl_add_u64 v[10:11], s[8:9], 0, v[10:11]
	flat_load_ushort v9, v[10:11]
.LBB370_19:
	s_or_b64 exec, exec, s[4:5]
	v_or_b32_e32 v11, 0x1000, v0
	v_cmp_gt_u32_e32 vcc, s33, v11
                                        ; implicit-def: $vgpr10
	s_and_saveexec_b64 s[4:5], vcc
	s_cbranch_execz .LBB370_21
; %bb.20:
	v_lshlrev_b32_e32 v10, 1, v11
	v_mov_b32_e32 v11, 0
	v_lshl_add_u64 v[10:11], s[8:9], 0, v[10:11]
	flat_load_ushort v10, v[10:11]
.LBB370_21:
	s_or_b64 exec, exec, s[4:5]
	v_or_b32_e32 v12, 0x1200, v0
	v_cmp_gt_u32_e32 vcc, s33, v12
                                        ; implicit-def: $vgpr11
	s_and_saveexec_b64 s[4:5], vcc
	s_cbranch_execz .LBB370_23
; %bb.22:
	v_lshlrev_b32_e32 v12, 1, v12
	v_mov_b32_e32 v13, 0
	v_lshl_add_u64 v[12:13], s[8:9], 0, v[12:13]
	flat_load_ushort v11, v[12:13]
.LBB370_23:
	s_or_b64 exec, exec, s[4:5]
	v_or_b32_e32 v13, 0x1400, v0
	v_cmp_gt_u32_e32 vcc, s33, v13
                                        ; implicit-def: $vgpr12
	s_and_saveexec_b64 s[4:5], vcc
	s_cbranch_execz .LBB370_25
; %bb.24:
	v_lshlrev_b32_e32 v12, 1, v13
	v_mov_b32_e32 v13, 0
	v_lshl_add_u64 v[12:13], s[8:9], 0, v[12:13]
	flat_load_ushort v12, v[12:13]
.LBB370_25:
	s_or_b64 exec, exec, s[4:5]
	v_or_b32_e32 v14, 0x1600, v0
	v_cmp_gt_u32_e32 vcc, s33, v14
                                        ; implicit-def: $vgpr13
	s_and_saveexec_b64 s[4:5], vcc
	s_cbranch_execz .LBB370_27
; %bb.26:
	v_lshlrev_b32_e32 v14, 1, v14
	v_mov_b32_e32 v15, 0
	v_lshl_add_u64 v[14:15], s[8:9], 0, v[14:15]
	flat_load_ushort v13, v[14:15]
.LBB370_27:
	s_or_b64 exec, exec, s[4:5]
	v_or_b32_e32 v15, 0x1800, v0
	v_cmp_gt_u32_e32 vcc, s33, v15
                                        ; implicit-def: $vgpr14
	s_and_saveexec_b64 s[4:5], vcc
	s_cbranch_execz .LBB370_29
; %bb.28:
	v_lshlrev_b32_e32 v14, 1, v15
	v_mov_b32_e32 v15, 0
	v_lshl_add_u64 v[14:15], s[8:9], 0, v[14:15]
	flat_load_ushort v14, v[14:15]
.LBB370_29:
	s_or_b64 exec, exec, s[4:5]
	v_or_b32_e32 v16, 0x1a00, v0
	v_cmp_gt_u32_e32 vcc, s33, v16
                                        ; implicit-def: $vgpr15
	s_and_saveexec_b64 s[4:5], vcc
	s_cbranch_execz .LBB370_31
; %bb.30:
	v_lshlrev_b32_e32 v16, 1, v16
	v_mov_b32_e32 v17, 0
	v_lshl_add_u64 v[16:17], s[8:9], 0, v[16:17]
	flat_load_ushort v15, v[16:17]
.LBB370_31:
	s_or_b64 exec, exec, s[4:5]
	v_or_b32_e32 v17, 0x1c00, v0
	v_cmp_gt_u32_e32 vcc, s33, v17
                                        ; implicit-def: $vgpr16
	s_and_saveexec_b64 s[4:5], vcc
	s_cbranch_execz .LBB370_33
; %bb.32:
	v_lshlrev_b32_e32 v16, 1, v17
	v_mov_b32_e32 v17, 0
	v_lshl_add_u64 v[16:17], s[8:9], 0, v[16:17]
	flat_load_ushort v16, v[16:17]
.LBB370_33:
	s_or_b64 exec, exec, s[4:5]
	v_or_b32_e32 v18, 0x1e00, v0
	v_cmp_gt_u32_e32 vcc, s33, v18
                                        ; implicit-def: $vgpr17
	s_and_saveexec_b64 s[4:5], vcc
	s_cbranch_execz .LBB370_35
; %bb.34:
	v_lshlrev_b32_e32 v18, 1, v18
	v_mov_b32_e32 v19, 0
	v_lshl_add_u64 v[18:19], s[8:9], 0, v[18:19]
	flat_load_ushort v17, v[18:19]
.LBB370_35:
	s_or_b64 exec, exec, s[4:5]
	v_or_b32_e32 v19, 0x2000, v0
	v_cmp_gt_u32_e32 vcc, s33, v19
                                        ; implicit-def: $vgpr18
	s_and_saveexec_b64 s[4:5], vcc
	s_cbranch_execz .LBB370_37
; %bb.36:
	v_lshlrev_b32_e32 v18, 1, v19
	v_mov_b32_e32 v19, 0
	v_lshl_add_u64 v[18:19], s[8:9], 0, v[18:19]
	flat_load_ushort v18, v[18:19]
.LBB370_37:
	s_or_b64 exec, exec, s[4:5]
	v_or_b32_e32 v20, 0x2200, v0
	v_cmp_gt_u32_e32 vcc, s33, v20
                                        ; implicit-def: $vgpr19
	s_and_saveexec_b64 s[4:5], vcc
	s_cbranch_execz .LBB370_39
; %bb.38:
	v_lshlrev_b32_e32 v20, 1, v20
	v_mov_b32_e32 v21, 0
	v_lshl_add_u64 v[20:21], s[8:9], 0, v[20:21]
	flat_load_ushort v19, v[20:21]
.LBB370_39:
	s_or_b64 exec, exec, s[4:5]
	v_or_b32_e32 v21, 0x2400, v0
	v_cmp_gt_u32_e32 vcc, s33, v21
                                        ; implicit-def: $vgpr20
	s_and_saveexec_b64 s[4:5], vcc
	s_cbranch_execz .LBB370_41
; %bb.40:
	v_lshlrev_b32_e32 v20, 1, v21
	v_mov_b32_e32 v21, 0
	v_lshl_add_u64 v[20:21], s[8:9], 0, v[20:21]
	flat_load_ushort v20, v[20:21]
.LBB370_41:
	s_or_b64 exec, exec, s[4:5]
	v_or_b32_e32 v22, 0x2600, v0
	v_cmp_gt_u32_e32 vcc, s33, v22
                                        ; implicit-def: $vgpr21
	s_and_saveexec_b64 s[4:5], vcc
	s_cbranch_execz .LBB370_43
; %bb.42:
	v_lshlrev_b32_e32 v22, 1, v22
	v_mov_b32_e32 v23, 0
	v_lshl_add_u64 v[22:23], s[8:9], 0, v[22:23]
	flat_load_ushort v21, v[22:23]
.LBB370_43:
	s_or_b64 exec, exec, s[4:5]
	v_or_b32_e32 v23, 0x2800, v0
	v_cmp_gt_u32_e32 vcc, s33, v23
                                        ; implicit-def: $vgpr22
	s_and_saveexec_b64 s[4:5], vcc
	s_cbranch_execz .LBB370_45
; %bb.44:
	v_lshlrev_b32_e32 v22, 1, v23
	v_mov_b32_e32 v23, 0
	v_lshl_add_u64 v[22:23], s[8:9], 0, v[22:23]
	flat_load_ushort v22, v[22:23]
.LBB370_45:
	s_or_b64 exec, exec, s[4:5]
	v_or_b32_e32 v24, 0x2a00, v0
	v_cmp_gt_u32_e32 vcc, s33, v24
                                        ; implicit-def: $vgpr23
	s_and_saveexec_b64 s[4:5], vcc
	s_cbranch_execz .LBB370_47
; %bb.46:
	v_lshlrev_b32_e32 v24, 1, v24
	v_mov_b32_e32 v25, 0
	v_lshl_add_u64 v[24:25], s[8:9], 0, v[24:25]
	flat_load_ushort v23, v[24:25]
.LBB370_47:
	s_or_b64 exec, exec, s[4:5]
	v_or_b32_e32 v25, 0x2c00, v0
	v_cmp_gt_u32_e32 vcc, s33, v25
                                        ; implicit-def: $vgpr24
	s_and_saveexec_b64 s[4:5], vcc
	s_cbranch_execz .LBB370_49
; %bb.48:
	v_lshlrev_b32_e32 v24, 1, v25
	v_mov_b32_e32 v25, 0
	v_lshl_add_u64 v[24:25], s[8:9], 0, v[24:25]
	flat_load_ushort v24, v[24:25]
.LBB370_49:
	s_or_b64 exec, exec, s[4:5]
	v_or_b32_e32 v26, 0x2e00, v0
	v_cmp_gt_u32_e32 vcc, s33, v26
                                        ; implicit-def: $vgpr25
	s_and_saveexec_b64 s[4:5], vcc
	s_cbranch_execz .LBB370_51
; %bb.50:
	v_lshlrev_b32_e32 v26, 1, v26
	v_mov_b32_e32 v27, 0
	v_lshl_add_u64 v[26:27], s[8:9], 0, v[26:27]
	flat_load_ushort v25, v[26:27]
.LBB370_51:
	s_or_b64 exec, exec, s[4:5]
	v_or_b32_e32 v27, 0x3000, v0
	v_cmp_gt_u32_e32 vcc, s33, v27
                                        ; implicit-def: $vgpr26
	s_and_saveexec_b64 s[4:5], vcc
	s_cbranch_execz .LBB370_53
; %bb.52:
	v_lshlrev_b32_e32 v26, 1, v27
	v_mov_b32_e32 v27, 0
	v_lshl_add_u64 v[26:27], s[8:9], 0, v[26:27]
	flat_load_ushort v26, v[26:27]
.LBB370_53:
	s_or_b64 exec, exec, s[4:5]
	v_or_b32_e32 v28, 0x3200, v0
	v_cmp_gt_u32_e32 vcc, s33, v28
                                        ; implicit-def: $vgpr27
	s_and_saveexec_b64 s[4:5], vcc
	s_cbranch_execz .LBB370_55
; %bb.54:
	v_lshlrev_b32_e32 v28, 1, v28
	v_mov_b32_e32 v29, 0
	v_lshl_add_u64 v[28:29], s[8:9], 0, v[28:29]
	flat_load_ushort v27, v[28:29]
.LBB370_55:
	s_or_b64 exec, exec, s[4:5]
	v_or_b32_e32 v29, 0x3400, v0
	v_cmp_gt_u32_e32 vcc, s33, v29
                                        ; implicit-def: $vgpr28
	s_and_saveexec_b64 s[4:5], vcc
	s_cbranch_execz .LBB370_57
; %bb.56:
	v_lshlrev_b32_e32 v28, 1, v29
	v_mov_b32_e32 v29, 0
	v_lshl_add_u64 v[28:29], s[8:9], 0, v[28:29]
	flat_load_ushort v28, v[28:29]
.LBB370_57:
	s_or_b64 exec, exec, s[4:5]
	v_or_b32_e32 v30, 0x3600, v0
	v_cmp_gt_u32_e32 vcc, s33, v30
                                        ; implicit-def: $vgpr29
	s_and_saveexec_b64 s[4:5], vcc
	s_cbranch_execz .LBB370_59
; %bb.58:
	v_lshlrev_b32_e32 v30, 1, v30
	v_mov_b32_e32 v31, 0
	v_lshl_add_u64 v[30:31], s[8:9], 0, v[30:31]
	flat_load_ushort v29, v[30:31]
.LBB370_59:
	s_or_b64 exec, exec, s[4:5]
	v_or_b32_e32 v31, 0x3800, v0
	v_cmp_gt_u32_e32 vcc, s33, v31
                                        ; implicit-def: $vgpr30
	s_and_saveexec_b64 s[4:5], vcc
	s_cbranch_execz .LBB370_61
; %bb.60:
	v_lshlrev_b32_e32 v30, 1, v31
	v_mov_b32_e32 v31, 0
	v_lshl_add_u64 v[30:31], s[8:9], 0, v[30:31]
	flat_load_ushort v30, v[30:31]
.LBB370_61:
	s_or_b64 exec, exec, s[4:5]
	v_or_b32_e32 v32, 0x3a00, v0
	v_cmp_gt_u32_e32 vcc, s33, v32
                                        ; implicit-def: $vgpr31
	s_and_saveexec_b64 s[4:5], vcc
	s_cbranch_execz .LBB370_63
; %bb.62:
	v_lshlrev_b32_e32 v32, 1, v32
	v_mov_b32_e32 v33, 0
	v_lshl_add_u64 v[32:33], s[8:9], 0, v[32:33]
	flat_load_ushort v31, v[32:33]
.LBB370_63:
	s_or_b64 exec, exec, s[4:5]
	s_waitcnt vmcnt(0) lgkmcnt(0)
	ds_write_b16 v2, v1
	ds_write_b16 v2, v4 offset:1024
	ds_write_b16 v2, v5 offset:2048
	;; [unrolled: 1-line block ×29, first 2 shown]
	s_waitcnt lgkmcnt(0)
	s_barrier
.LBB370_64:
	v_mul_u32_u24_e32 v40, 30, v0
	v_lshlrev_b32_e32 v4, 1, v40
	s_waitcnt lgkmcnt(0)
	ds_read_b32 v3, v4 offset:56
	ds_read2_b32 v[6:7], v4 offset0:12 offset1:13
	ds_read2_b32 v[8:9], v4 offset0:10 offset1:11
	;; [unrolled: 1-line block ×3, first 2 shown]
	ds_read2_b32 v[18:19], v4 offset1:1
	ds_read2_b32 v[16:17], v4 offset0:2 offset1:3
	ds_read2_b32 v[14:15], v4 offset0:4 offset1:5
	;; [unrolled: 1-line block ×3, first 2 shown]
	s_waitcnt lgkmcnt(7)
	v_lshrrev_b32_e32 v1, 16, v3
	s_waitcnt lgkmcnt(6)
	v_lshrrev_b32_e32 v29, 16, v6
	v_lshrrev_b32_e32 v28, 16, v7
	s_waitcnt lgkmcnt(5)
	v_lshrrev_b32_e32 v31, 16, v8
	;; [unrolled: 3-line block ×6, first 2 shown]
	v_lshrrev_b32_e32 v34, 16, v13
	v_lshrrev_b32_e32 v33, 16, v10
	;; [unrolled: 1-line block ×3, first 2 shown]
	v_cndmask_b32_e64 v4, 0, 1, s[6:7]
	v_cmp_ne_u32_e64 s[20:21], 1, v4
	s_andn2_b64 vcc, exec, s[6:7]
	v_xor_b32_e32 v92, -1, v18
	v_xor_b32_e32 v91, -1, v42
	;; [unrolled: 1-line block ×30, first 2 shown]
	s_barrier
	s_cbranch_vccnz .LBB370_66
; %bb.65:
	v_and_b32_e32 v72, 1, v92
	v_and_b32_e32 v71, 1, v91
	;; [unrolled: 1-line block ×30, first 2 shown]
	s_load_dwordx2 s[34:35], s[0:1], 0x68
	s_cbranch_execz .LBB370_67
	s_branch .LBB370_68
.LBB370_66:
                                        ; implicit-def: $vgpr72
                                        ; implicit-def: $vgpr71
                                        ; implicit-def: $vgpr70
                                        ; implicit-def: $vgpr69
                                        ; implicit-def: $vgpr68
                                        ; implicit-def: $vgpr67
                                        ; implicit-def: $vgpr66
                                        ; implicit-def: $vgpr65
                                        ; implicit-def: $vgpr64
                                        ; implicit-def: $vgpr63
                                        ; implicit-def: $vgpr62
                                        ; implicit-def: $vgpr61
                                        ; implicit-def: $vgpr60
                                        ; implicit-def: $vgpr59
                                        ; implicit-def: $vgpr58
                                        ; implicit-def: $vgpr57
                                        ; implicit-def: $vgpr56
                                        ; implicit-def: $vgpr55
                                        ; implicit-def: $vgpr54
                                        ; implicit-def: $vgpr53
                                        ; implicit-def: $vgpr52
                                        ; implicit-def: $vgpr51
                                        ; implicit-def: $vgpr50
                                        ; implicit-def: $vgpr49
                                        ; implicit-def: $vgpr48
                                        ; implicit-def: $vgpr47
                                        ; implicit-def: $vgpr46
                                        ; implicit-def: $vgpr45
                                        ; implicit-def: $vgpr43
                                        ; implicit-def: $vgpr44
	s_load_dwordx2 s[34:35], s[0:1], 0x68
.LBB370_67:
	v_or_b32_e32 v52, 1, v40
	v_cmp_gt_u32_e32 vcc, s33, v40
	v_add_u32_e32 v53, 2, v40
	v_add_u32_e32 v54, 3, v40
	v_cndmask_b32_e64 v62, 0, 1, vcc
	v_cmp_gt_u32_e32 vcc, s33, v52
	v_add_u32_e32 v55, 4, v40
	v_add_u32_e32 v56, 5, v40
	v_cndmask_b32_e64 v52, 0, 1, vcc
	v_cmp_gt_u32_e32 vcc, s33, v53
	v_and_b32_e32 v71, v52, v91
	v_add_u32_e32 v57, 6, v40
	v_cndmask_b32_e64 v52, 0, 1, vcc
	v_cmp_gt_u32_e32 vcc, s33, v54
	v_and_b32_e32 v70, v52, v90
	;; [unrolled: 4-line block ×9, first 2 shown]
	v_and_b32_e32 v72, v62, v92
	v_cndmask_b32_e64 v52, 0, 1, vcc
	v_cmp_gt_u32_e32 vcc, s33, v93
	v_and_b32_e32 v62, v52, v82
	v_add_u32_e32 v96, 14, v40
	v_cndmask_b32_e64 v52, 0, 1, vcc
	v_cmp_gt_u32_e32 vcc, s33, v94
	v_and_b32_e32 v61, v52, v81
	v_add_u32_e32 v97, 15, v40
	;; [unrolled: 4-line block ×16, first 2 shown]
	v_cndmask_b32_e64 v22, 0, 1, vcc
	v_cmp_gt_u32_e32 vcc, s33, v45
	v_and_b32_e32 v46, v22, v21
	s_nop 0
	v_cndmask_b32_e64 v21, 0, 1, vcc
	v_cmp_gt_u32_e32 vcc, s33, v43
	v_and_b32_e32 v45, v21, v20
	s_nop 0
	;; [unrolled: 4-line block ×3, first 2 shown]
	v_cndmask_b32_e64 v5, 0, 1, vcc
	v_and_b32_e32 v44, v5, v4
.LBB370_68:
	v_and_b32_e32 v99, 0xff, v46
	v_and_b32_e32 v100, 0xff, v45
	v_add_u32_sdwa v4, v43, v44 dst_sel:DWORD dst_unused:UNUSED_PAD src0_sel:BYTE_0 src1_sel:BYTE_0
	v_and_b32_e32 v97, 0xff, v48
	v_and_b32_e32 v98, 0xff, v47
	v_add3_u32 v4, v4, v100, v99
	v_and_b32_e32 v95, 0xff, v50
	v_and_b32_e32 v96, 0xff, v49
	v_add3_u32 v4, v4, v98, v97
	;; [unrolled: 3-line block ×13, first 2 shown]
	v_add3_u32 v103, v4, v74, v73
	v_mbcnt_lo_u32_b32 v4, -1, 0
	v_mbcnt_hi_u32_b32 v101, -1, v4
	v_and_b32_e32 v4, 15, v101
	v_cmp_eq_u32_e64 s[16:17], 0, v4
	v_cmp_lt_u32_e64 s[14:15], 1, v4
	v_cmp_lt_u32_e64 s[12:13], 3, v4
	;; [unrolled: 1-line block ×3, first 2 shown]
	v_and_b32_e32 v4, 16, v101
	v_cmp_eq_u32_e64 s[8:9], 0, v4
	v_or_b32_e32 v4, 63, v0
	s_cmp_lg_u32 s2, 0
	v_cmp_lt_u32_e64 s[4:5], 31, v101
	v_lshrrev_b32_e32 v102, 6, v0
	v_cmp_eq_u32_e64 s[6:7], v4, v0
	s_cbranch_scc0 .LBB370_99
; %bb.69:
	v_mov_b32_dpp v4, v103 row_shr:1 row_mask:0xf bank_mask:0xf
	v_cndmask_b32_e64 v4, v4, 0, s[16:17]
	v_add_u32_e32 v4, v4, v103
	s_nop 1
	v_mov_b32_dpp v5, v4 row_shr:2 row_mask:0xf bank_mask:0xf
	v_cndmask_b32_e64 v5, 0, v5, s[14:15]
	v_add_u32_e32 v4, v4, v5
	s_nop 1
	;; [unrolled: 4-line block ×4, first 2 shown]
	v_mov_b32_dpp v5, v4 row_bcast:15 row_mask:0xf bank_mask:0xf
	v_cndmask_b32_e64 v5, v5, 0, s[8:9]
	v_add_u32_e32 v4, v4, v5
	s_nop 1
	v_mov_b32_dpp v5, v4 row_bcast:31 row_mask:0xf bank_mask:0xf
	v_cndmask_b32_e64 v5, 0, v5, s[4:5]
	v_add_u32_e32 v4, v4, v5
	s_and_saveexec_b64 s[18:19], s[6:7]
	s_cbranch_execz .LBB370_71
; %bb.70:
	v_lshlrev_b32_e32 v5, 2, v102
	ds_write_b32 v5, v4
.LBB370_71:
	s_or_b64 exec, exec, s[18:19]
	v_cmp_gt_u32_e32 vcc, 8, v0
	s_waitcnt lgkmcnt(0)
	s_barrier
	s_and_saveexec_b64 s[18:19], vcc
	s_cbranch_execz .LBB370_73
; %bb.72:
	v_lshlrev_b32_e32 v5, 2, v0
	ds_read_b32 v20, v5
	v_and_b32_e32 v21, 7, v101
	v_cmp_ne_u32_e32 vcc, 0, v21
	s_waitcnt lgkmcnt(0)
	v_mov_b32_dpp v22, v20 row_shr:1 row_mask:0xf bank_mask:0xf
	v_cndmask_b32_e32 v22, 0, v22, vcc
	v_add_u32_e32 v20, v22, v20
	v_cmp_lt_u32_e32 vcc, 1, v21
	s_nop 0
	v_mov_b32_dpp v22, v20 row_shr:2 row_mask:0xf bank_mask:0xf
	v_cndmask_b32_e32 v22, 0, v22, vcc
	v_add_u32_e32 v20, v20, v22
	v_cmp_lt_u32_e32 vcc, 3, v21
	s_nop 0
	v_mov_b32_dpp v22, v20 row_shr:4 row_mask:0xf bank_mask:0xf
	v_cndmask_b32_e32 v21, 0, v22, vcc
	v_add_u32_e32 v20, v20, v21
	ds_write_b32 v5, v20
.LBB370_73:
	s_or_b64 exec, exec, s[18:19]
	v_cmp_gt_u32_e32 vcc, 64, v0
	v_cmp_lt_u32_e64 s[18:19], 63, v0
	s_waitcnt lgkmcnt(0)
	s_barrier
	s_waitcnt lgkmcnt(0)
                                        ; implicit-def: $vgpr104
	s_and_saveexec_b64 s[36:37], s[18:19]
	s_cbranch_execz .LBB370_75
; %bb.74:
	v_lshl_add_u32 v5, v102, 2, -4
	ds_read_b32 v104, v5
	s_waitcnt lgkmcnt(0)
	v_add_u32_e32 v4, v104, v4
.LBB370_75:
	s_or_b64 exec, exec, s[36:37]
	v_add_u32_e32 v5, -1, v101
	v_and_b32_e32 v20, 64, v101
	v_cmp_lt_i32_e64 s[18:19], v5, v20
	s_nop 1
	v_cndmask_b32_e64 v5, v5, v101, s[18:19]
	v_lshlrev_b32_e32 v5, 2, v5
	ds_bpermute_b32 v105, v5, v4
	v_cmp_eq_u32_e64 s[18:19], 0, v101
	s_and_saveexec_b64 s[36:37], vcc
	s_cbranch_execz .LBB370_98
; %bb.76:
	v_mov_b32_e32 v27, 0
	ds_read_b32 v4, v27 offset:28
	s_and_saveexec_b64 s[38:39], s[18:19]
	s_cbranch_execz .LBB370_78
; %bb.77:
	s_add_i32 s40, s2, 64
	s_mov_b32 s41, 0
	s_lshl_b64 s[40:41], s[40:41], 3
	s_add_u32 s40, s34, s40
	v_mov_b32_e32 v5, 1
	s_addc_u32 s41, s35, s41
	s_waitcnt lgkmcnt(0)
	global_store_dwordx2 v27, v[4:5], s[40:41] sc1
.LBB370_78:
	s_or_b64 exec, exec, s[38:39]
	v_xad_u32 v20, v101, -1, s2
	v_add_u32_e32 v26, 64, v20
	v_lshl_add_u64 v[22:23], v[26:27], 3, s[34:35]
	global_load_dwordx2 v[24:25], v[22:23], off sc1
	s_waitcnt vmcnt(0)
	v_cmp_eq_u16_sdwa s[40:41], v25, v27 src0_sel:BYTE_0 src1_sel:DWORD
	s_and_saveexec_b64 s[38:39], s[40:41]
	s_cbranch_execz .LBB370_84
; %bb.79:
	s_mov_b32 s3, 1
	s_mov_b64 s[40:41], 0
	v_mov_b32_e32 v5, 0
.LBB370_80:                             ; =>This Loop Header: Depth=1
                                        ;     Child Loop BB370_81 Depth 2
	s_max_u32 s42, s3, 1
.LBB370_81:                             ;   Parent Loop BB370_80 Depth=1
                                        ; =>  This Inner Loop Header: Depth=2
	s_add_i32 s42, s42, -1
	s_cmp_eq_u32 s42, 0
	s_sleep 1
	s_cbranch_scc0 .LBB370_81
; %bb.82:                               ;   in Loop: Header=BB370_80 Depth=1
	global_load_dwordx2 v[24:25], v[22:23], off sc1
	s_cmp_lt_u32 s3, 32
	s_cselect_b64 s[42:43], -1, 0
	s_cmp_lg_u64 s[42:43], 0
	s_addc_u32 s3, s3, 0
	s_waitcnt vmcnt(0)
	v_cmp_ne_u16_sdwa s[42:43], v25, v5 src0_sel:BYTE_0 src1_sel:DWORD
	s_or_b64 s[40:41], s[42:43], s[40:41]
	s_andn2_b64 exec, exec, s[40:41]
	s_cbranch_execnz .LBB370_80
; %bb.83:
	s_or_b64 exec, exec, s[40:41]
.LBB370_84:
	s_or_b64 exec, exec, s[38:39]
	v_and_b32_e32 v107, 63, v101
	v_mov_b32_e32 v106, 2
	v_cmp_ne_u32_e32 vcc, 63, v107
	v_cmp_eq_u16_sdwa s[38:39], v25, v106 src0_sel:BYTE_0 src1_sel:DWORD
	v_lshlrev_b64 v[22:23], v101, -1
	v_addc_co_u32_e32 v26, vcc, 0, v101, vcc
	v_and_b32_e32 v5, s39, v23
	v_lshlrev_b32_e32 v108, 2, v26
	v_or_b32_e32 v5, 0x80000000, v5
	ds_bpermute_b32 v26, v108, v24
	v_and_b32_e32 v21, s38, v22
	v_ffbl_b32_e32 v5, v5
	v_add_u32_e32 v5, 32, v5
	v_ffbl_b32_e32 v21, v21
	v_min_u32_e32 v5, v21, v5
	v_cmp_lt_u32_e32 vcc, v107, v5
	v_add_u32_e32 v110, 2, v107
	v_add_u32_e32 v112, 4, v107
	s_waitcnt lgkmcnt(0)
	v_cndmask_b32_e32 v21, 0, v26, vcc
	v_cmp_gt_u32_e32 vcc, 62, v107
	v_add_u32_e32 v21, v21, v24
	v_add_u32_e32 v114, 8, v107
	v_cndmask_b32_e64 v24, 0, 1, vcc
	v_lshlrev_b32_e32 v24, 1, v24
	v_add_lshl_u32 v109, v24, v101, 2
	ds_bpermute_b32 v24, v109, v21
	v_cmp_le_u32_e32 vcc, v110, v5
	v_add_u32_e32 v116, 16, v107
	v_add_u32_e32 v118, 32, v107
	s_waitcnt lgkmcnt(0)
	v_cndmask_b32_e32 v24, 0, v24, vcc
	v_cmp_gt_u32_e32 vcc, 60, v107
	v_add_u32_e32 v21, v21, v24
	s_nop 0
	v_cndmask_b32_e64 v24, 0, 1, vcc
	v_lshlrev_b32_e32 v24, 2, v24
	v_add_lshl_u32 v111, v24, v101, 2
	ds_bpermute_b32 v24, v111, v21
	v_cmp_le_u32_e32 vcc, v112, v5
	s_waitcnt lgkmcnt(0)
	s_nop 0
	v_cndmask_b32_e32 v24, 0, v24, vcc
	v_cmp_gt_u32_e32 vcc, 56, v107
	v_add_u32_e32 v21, v21, v24
	s_nop 0
	v_cndmask_b32_e64 v24, 0, 1, vcc
	v_lshlrev_b32_e32 v24, 3, v24
	v_add_lshl_u32 v113, v24, v101, 2
	ds_bpermute_b32 v24, v113, v21
	v_cmp_le_u32_e32 vcc, v114, v5
	s_waitcnt lgkmcnt(0)
	s_nop 0
	;; [unrolled: 11-line block ×4, first 2 shown]
	v_cndmask_b32_e32 v5, 0, v24, vcc
	v_add_u32_e32 v24, v21, v5
	v_mov_b32_e32 v21, 0
	s_branch .LBB370_86
.LBB370_85:                             ;   in Loop: Header=BB370_86 Depth=1
	s_or_b64 exec, exec, s[38:39]
	v_cmp_eq_u16_sdwa s[38:39], v25, v106 src0_sel:BYTE_0 src1_sel:DWORD
	ds_bpermute_b32 v119, v108, v24
	v_subrev_u32_e32 v20, 64, v20
	v_and_b32_e32 v26, s39, v23
	v_or_b32_e32 v26, 0x80000000, v26
	v_and_b32_e32 v27, s38, v22
	v_ffbl_b32_e32 v26, v26
	v_add_u32_e32 v26, 32, v26
	v_ffbl_b32_e32 v27, v27
	v_min_u32_e32 v26, v27, v26
	v_cmp_lt_u32_e32 vcc, v107, v26
	s_waitcnt lgkmcnt(0)
	s_nop 0
	v_cndmask_b32_e32 v27, 0, v119, vcc
	v_add_u32_e32 v24, v27, v24
	ds_bpermute_b32 v27, v109, v24
	v_cmp_le_u32_e32 vcc, v110, v26
	s_waitcnt lgkmcnt(0)
	s_nop 0
	v_cndmask_b32_e32 v27, 0, v27, vcc
	v_add_u32_e32 v24, v24, v27
	ds_bpermute_b32 v27, v111, v24
	v_cmp_le_u32_e32 vcc, v112, v26
	;; [unrolled: 6-line block ×5, first 2 shown]
	s_waitcnt lgkmcnt(0)
	s_nop 0
	v_cndmask_b32_e32 v26, 0, v27, vcc
	v_add3_u32 v24, v26, v5, v24
.LBB370_86:                             ; =>This Loop Header: Depth=1
                                        ;     Child Loop BB370_89 Depth 2
                                        ;       Child Loop BB370_90 Depth 3
	v_cmp_ne_u16_sdwa s[38:39], v25, v106 src0_sel:BYTE_0 src1_sel:DWORD
	s_nop 1
	v_cndmask_b32_e64 v5, 0, 1, s[38:39]
	;;#ASMSTART
	;;#ASMEND
	s_nop 0
	v_cmp_ne_u32_e32 vcc, 0, v5
	s_cmp_lg_u64 vcc, exec
	v_mov_b32_e32 v5, v24
	s_cbranch_scc1 .LBB370_93
; %bb.87:                               ;   in Loop: Header=BB370_86 Depth=1
	v_lshl_add_u64 v[26:27], v[20:21], 3, s[34:35]
	global_load_dwordx2 v[24:25], v[26:27], off sc1
	s_waitcnt vmcnt(0)
	v_cmp_eq_u16_sdwa s[40:41], v25, v21 src0_sel:BYTE_0 src1_sel:DWORD
	s_and_saveexec_b64 s[38:39], s[40:41]
	s_cbranch_execz .LBB370_85
; %bb.88:                               ;   in Loop: Header=BB370_86 Depth=1
	s_mov_b32 s3, 1
	s_mov_b64 s[40:41], 0
.LBB370_89:                             ;   Parent Loop BB370_86 Depth=1
                                        ; =>  This Loop Header: Depth=2
                                        ;       Child Loop BB370_90 Depth 3
	s_max_u32 s42, s3, 1
.LBB370_90:                             ;   Parent Loop BB370_86 Depth=1
                                        ;     Parent Loop BB370_89 Depth=2
                                        ; =>    This Inner Loop Header: Depth=3
	s_add_i32 s42, s42, -1
	s_cmp_eq_u32 s42, 0
	s_sleep 1
	s_cbranch_scc0 .LBB370_90
; %bb.91:                               ;   in Loop: Header=BB370_89 Depth=2
	global_load_dwordx2 v[24:25], v[26:27], off sc1
	s_cmp_lt_u32 s3, 32
	s_cselect_b64 s[42:43], -1, 0
	s_cmp_lg_u64 s[42:43], 0
	s_addc_u32 s3, s3, 0
	s_waitcnt vmcnt(0)
	v_cmp_ne_u16_sdwa s[42:43], v25, v21 src0_sel:BYTE_0 src1_sel:DWORD
	s_or_b64 s[40:41], s[42:43], s[40:41]
	s_andn2_b64 exec, exec, s[40:41]
	s_cbranch_execnz .LBB370_89
; %bb.92:                               ;   in Loop: Header=BB370_86 Depth=1
	s_or_b64 exec, exec, s[40:41]
	s_branch .LBB370_85
.LBB370_93:                             ;   in Loop: Header=BB370_86 Depth=1
                                        ; implicit-def: $vgpr24
                                        ; implicit-def: $vgpr25
	s_cbranch_execz .LBB370_86
; %bb.94:
	s_and_saveexec_b64 s[38:39], s[18:19]
	s_cbranch_execz .LBB370_96
; %bb.95:
	s_add_i32 s2, s2, 64
	s_mov_b32 s3, 0
	s_lshl_b64 s[2:3], s[2:3], 3
	s_add_u32 s2, s34, s2
	v_add_u32_e32 v20, v5, v4
	v_mov_b32_e32 v21, 2
	s_addc_u32 s3, s35, s3
	v_mov_b32_e32 v22, 0
	global_store_dwordx2 v22, v[20:21], s[2:3] sc1
	ds_write_b64 v22, v[4:5] offset:30720
.LBB370_96:
	s_or_b64 exec, exec, s[38:39]
	v_cmp_eq_u32_e32 vcc, 0, v0
	s_and_b64 exec, exec, vcc
	s_cbranch_execz .LBB370_98
; %bb.97:
	v_mov_b32_e32 v4, 0
	ds_write_b32 v4, v5 offset:28
.LBB370_98:
	s_or_b64 exec, exec, s[36:37]
	v_mov_b32_e32 v4, 0
	s_waitcnt lgkmcnt(0)
	s_barrier
	ds_read_b32 v21, v4 offset:28
	s_waitcnt lgkmcnt(0)
	s_barrier
	ds_read_b64 v[4:5], v4 offset:30720
	v_cndmask_b32_e64 v20, v105, v104, s[18:19]
	v_cmp_ne_u32_e32 vcc, 0, v0
	s_nop 1
	v_cndmask_b32_e32 v20, 0, v20, vcc
	v_add_u32_e32 v21, v21, v20
	s_waitcnt lgkmcnt(0)
	v_mov_b32_e32 v20, v5
	s_branch .LBB370_109
.LBB370_99:
                                        ; implicit-def: $vgpr20
                                        ; implicit-def: $vgpr4
                                        ; implicit-def: $vgpr21
	s_cbranch_execz .LBB370_109
; %bb.100:
	s_nop 0
	v_mov_b32_dpp v4, v103 row_shr:1 row_mask:0xf bank_mask:0xf
	v_cndmask_b32_e64 v4, v4, 0, s[16:17]
	v_add_u32_e32 v4, v4, v103
	s_nop 1
	v_mov_b32_dpp v5, v4 row_shr:2 row_mask:0xf bank_mask:0xf
	v_cndmask_b32_e64 v5, 0, v5, s[14:15]
	v_add_u32_e32 v4, v4, v5
	;; [unrolled: 4-line block ×4, first 2 shown]
	s_nop 1
	v_mov_b32_dpp v5, v4 row_bcast:15 row_mask:0xf bank_mask:0xf
	v_cndmask_b32_e64 v5, v5, 0, s[8:9]
	v_add_u32_e32 v4, v4, v5
	s_nop 1
	v_mov_b32_dpp v5, v4 row_bcast:31 row_mask:0xf bank_mask:0xf
	v_cndmask_b32_e64 v5, 0, v5, s[4:5]
	v_add_u32_e32 v4, v4, v5
	s_and_saveexec_b64 s[2:3], s[6:7]
	s_cbranch_execz .LBB370_102
; %bb.101:
	v_lshlrev_b32_e32 v5, 2, v102
	ds_write_b32 v5, v4
.LBB370_102:
	s_or_b64 exec, exec, s[2:3]
	v_cmp_gt_u32_e32 vcc, 8, v0
	s_waitcnt lgkmcnt(0)
	s_barrier
	s_and_saveexec_b64 s[2:3], vcc
	s_cbranch_execz .LBB370_104
; %bb.103:
	v_lshlrev_b32_e32 v5, 2, v0
	ds_read_b32 v20, v5
	v_and_b32_e32 v21, 7, v101
	v_cmp_ne_u32_e32 vcc, 0, v21
	s_waitcnt lgkmcnt(0)
	v_mov_b32_dpp v22, v20 row_shr:1 row_mask:0xf bank_mask:0xf
	v_cndmask_b32_e32 v22, 0, v22, vcc
	v_add_u32_e32 v20, v22, v20
	v_cmp_lt_u32_e32 vcc, 1, v21
	s_nop 0
	v_mov_b32_dpp v22, v20 row_shr:2 row_mask:0xf bank_mask:0xf
	v_cndmask_b32_e32 v22, 0, v22, vcc
	v_add_u32_e32 v20, v20, v22
	v_cmp_lt_u32_e32 vcc, 3, v21
	s_nop 0
	v_mov_b32_dpp v22, v20 row_shr:4 row_mask:0xf bank_mask:0xf
	v_cndmask_b32_e32 v21, 0, v22, vcc
	v_add_u32_e32 v20, v20, v21
	ds_write_b32 v5, v20
.LBB370_104:
	s_or_b64 exec, exec, s[2:3]
	v_cmp_lt_u32_e32 vcc, 63, v0
	v_mov_b32_e32 v5, 0
	v_mov_b32_e32 v20, 0
	s_waitcnt lgkmcnt(0)
	s_barrier
	s_and_saveexec_b64 s[2:3], vcc
	s_cbranch_execz .LBB370_106
; %bb.105:
	v_lshl_add_u32 v20, v102, 2, -4
	ds_read_b32 v20, v20
.LBB370_106:
	s_or_b64 exec, exec, s[2:3]
	v_add_u32_e32 v21, -1, v101
	v_and_b32_e32 v22, 64, v101
	v_cmp_lt_i32_e32 vcc, v21, v22
	s_waitcnt lgkmcnt(0)
	v_add_u32_e32 v4, v20, v4
	v_cndmask_b32_e32 v21, v21, v101, vcc
	v_lshlrev_b32_e32 v21, 2, v21
	ds_bpermute_b32 v21, v21, v4
	ds_read_b32 v4, v5 offset:28
	v_cmp_eq_u32_e32 vcc, 0, v0
	s_and_saveexec_b64 s[2:3], vcc
	s_cbranch_execz .LBB370_108
; %bb.107:
	v_mov_b32_e32 v22, 0
	v_mov_b32_e32 v5, 2
	s_waitcnt lgkmcnt(0)
	global_store_dwordx2 v22, v[4:5], s[34:35] offset:512 sc1
.LBB370_108:
	s_or_b64 exec, exec, s[2:3]
	v_cmp_eq_u32_e64 s[2:3], 0, v101
	s_waitcnt lgkmcnt(0)
	s_barrier
	v_cndmask_b32_e64 v5, v21, v20, s[2:3]
	v_mov_b32_e32 v20, 0
	v_cndmask_b32_e64 v21, v5, 0, vcc
.LBB370_109:
	v_add_u32_e32 v5, v21, v73
	v_add_u32_e32 v22, v5, v74
	;; [unrolled: 1-line block ×22, first 2 shown]
	v_sub_u32_e32 v21, v21, v20
	v_and_b32_e32 v72, 1, v72
	v_add_u32_e32 v87, v86, v94
	v_sub_u32_e32 v94, v40, v21
	v_cmp_eq_u32_e32 vcc, 1, v72
	v_sub_u32_e32 v5, v5, v20
	v_add_u32_e32 v88, v87, v95
	v_cndmask_b32_e32 v21, v94, v21, vcc
	v_lshlrev_b32_e32 v21, 1, v21
	ds_write_b16 v21, v18
	v_sub_u32_e32 v18, v40, v5
	v_and_b32_e32 v21, 1, v71
	v_add_u32_e32 v18, 1, v18
	v_cmp_eq_u32_e32 vcc, 1, v21
	v_and_b32_e32 v21, 1, v70
	v_add_u32_e32 v89, v88, v96
	v_cndmask_b32_e32 v5, v18, v5, vcc
	v_lshlrev_b32_e32 v5, 1, v5
	ds_write_b16 v5, v42
	v_sub_u32_e32 v5, v22, v20
	v_sub_u32_e32 v18, v40, v5
	v_add_u32_e32 v18, 2, v18
	v_cmp_eq_u32_e32 vcc, 1, v21
	v_add_u32_e32 v90, v89, v97
	v_add_u32_e32 v91, v90, v98
	v_cndmask_b32_e32 v5, v18, v5, vcc
	v_lshlrev_b32_e32 v5, 1, v5
	ds_write_b16 v5, v19
	v_sub_u32_e32 v5, v23, v20
	v_sub_u32_e32 v18, v40, v5
	v_and_b32_e32 v19, 1, v69
	v_add_u32_e32 v18, 3, v18
	v_cmp_eq_u32_e32 vcc, 1, v19
	v_and_b32_e32 v19, 1, v68
	v_add_u32_e32 v92, v91, v99
	v_cndmask_b32_e32 v5, v18, v5, vcc
	v_lshlrev_b32_e32 v5, 1, v5
	ds_write_b16 v5, v41
	v_sub_u32_e32 v5, v24, v20
	v_sub_u32_e32 v18, v40, v5
	v_add_u32_e32 v18, 4, v18
	v_cmp_eq_u32_e32 vcc, 1, v19
	v_add_u32_e32 v93, v92, v100
	v_mov_b32_e32 v21, 0
	v_cndmask_b32_e32 v5, v18, v5, vcc
	v_lshlrev_b32_e32 v5, 1, v5
	ds_write_b16 v5, v16
	v_sub_u32_e32 v5, v25, v20
	v_sub_u32_e32 v16, v40, v5
	v_and_b32_e32 v18, 1, v67
	v_add_u32_e32 v16, 5, v16
	v_cmp_eq_u32_e32 vcc, 1, v18
	v_and_b32_e32 v18, 1, v66
	s_load_dwordx4 s[0:3], s[0:1], 0x28
	v_cndmask_b32_e32 v5, v16, v5, vcc
	v_lshlrev_b32_e32 v5, 1, v5
	ds_write_b16 v5, v39
	v_sub_u32_e32 v5, v26, v20
	v_sub_u32_e32 v16, v40, v5
	v_add_u32_e32 v16, 6, v16
	v_cmp_eq_u32_e32 vcc, 1, v18
	v_or_b32_e32 v69, 0x200, v0
	v_or_b32_e32 v67, 0x400, v0
	v_cndmask_b32_e32 v5, v16, v5, vcc
	v_lshlrev_b32_e32 v5, 1, v5
	ds_write_b16 v5, v17
	v_sub_u32_e32 v5, v27, v20
	v_sub_u32_e32 v16, v40, v5
	v_and_b32_e32 v17, 1, v65
	v_add_u32_e32 v16, 7, v16
	v_cmp_eq_u32_e32 vcc, 1, v17
	v_and_b32_e32 v17, 1, v64
	v_or_b32_e32 v65, 0x600, v0
	v_cndmask_b32_e32 v5, v16, v5, vcc
	v_lshlrev_b32_e32 v5, 1, v5
	ds_write_b16 v5, v38
	v_sub_u32_e32 v5, v73, v20
	v_sub_u32_e32 v16, v40, v5
	v_add_u32_e32 v16, 8, v16
	v_cmp_eq_u32_e32 vcc, 1, v17
	v_or_b32_e32 v41, 0x1e00, v0
	v_or_b32_e32 v39, 0x2000, v0
	v_cndmask_b32_e32 v5, v16, v5, vcc
	v_lshlrev_b32_e32 v5, 1, v5
	ds_write_b16 v5, v14
	v_sub_u32_e32 v5, v74, v20
	v_sub_u32_e32 v14, v40, v5
	v_and_b32_e32 v16, 1, v63
	v_add_u32_e32 v14, 9, v14
	v_cmp_eq_u32_e32 vcc, 1, v16
	v_and_b32_e32 v16, 1, v62
	v_or_b32_e32 v63, 0x800, v0
	v_cndmask_b32_e32 v5, v14, v5, vcc
	v_lshlrev_b32_e32 v5, 1, v5
	ds_write_b16 v5, v37
	v_sub_u32_e32 v5, v75, v20
	v_sub_u32_e32 v14, v40, v5
	v_add_u32_e32 v14, 10, v14
	v_cmp_eq_u32_e32 vcc, 1, v16
	v_or_b32_e32 v37, 0x2200, v0
	v_or_b32_e32 v27, 0x2c00, v0
	v_cndmask_b32_e32 v5, v14, v5, vcc
	v_lshlrev_b32_e32 v5, 1, v5
	ds_write_b16 v5, v15
	v_sub_u32_e32 v5, v76, v20
	v_sub_u32_e32 v14, v40, v5
	v_and_b32_e32 v15, 1, v61
	v_add_u32_e32 v14, 11, v14
	v_cmp_eq_u32_e32 vcc, 1, v15
	v_and_b32_e32 v15, 1, v60
	v_or_b32_e32 v61, 0xa00, v0
	v_cndmask_b32_e32 v5, v14, v5, vcc
	v_lshlrev_b32_e32 v5, 1, v5
	ds_write_b16 v5, v36
	v_sub_u32_e32 v5, v77, v20
	v_sub_u32_e32 v14, v40, v5
	v_add_u32_e32 v14, 12, v14
	v_cmp_eq_u32_e32 vcc, 1, v15
	v_or_b32_e32 v25, 0x2e00, v0
	v_or_b32_e32 v23, 0x3000, v0
	v_cndmask_b32_e32 v5, v14, v5, vcc
	v_lshlrev_b32_e32 v5, 1, v5
	ds_write_b16 v5, v12
	v_sub_u32_e32 v5, v78, v20
	v_sub_u32_e32 v12, v40, v5
	v_and_b32_e32 v14, 1, v59
	v_add_u32_e32 v12, 13, v12
	v_cmp_eq_u32_e32 vcc, 1, v14
	v_and_b32_e32 v14, 1, v58
	v_or_b32_e32 v59, 0xc00, v0
	v_cndmask_b32_e32 v5, v12, v5, vcc
	v_lshlrev_b32_e32 v5, 1, v5
	ds_write_b16 v5, v35
	v_sub_u32_e32 v5, v79, v20
	v_sub_u32_e32 v12, v40, v5
	v_add_u32_e32 v12, 14, v12
	v_cmp_eq_u32_e32 vcc, 1, v14
	v_or_b32_e32 v35, 0x2400, v0
	v_or_b32_e32 v19, 0x3200, v0
	v_cndmask_b32_e32 v5, v12, v5, vcc
	v_lshlrev_b32_e32 v5, 1, v5
	ds_write_b16 v5, v13
	v_sub_u32_e32 v5, v80, v20
	v_sub_u32_e32 v12, v40, v5
	v_and_b32_e32 v13, 1, v57
	v_add_u32_e32 v12, 15, v12
	v_cmp_eq_u32_e32 vcc, 1, v13
	v_and_b32_e32 v13, 1, v56
	v_or_b32_e32 v57, 0xe00, v0
	v_cndmask_b32_e32 v5, v12, v5, vcc
	v_lshlrev_b32_e32 v5, 1, v5
	ds_write_b16 v5, v34
	v_sub_u32_e32 v5, v81, v20
	v_sub_u32_e32 v12, v40, v5
	v_add_u32_e32 v12, 16, v12
	v_cmp_eq_u32_e32 vcc, 1, v13
	v_or_b32_e32 v17, 0x3400, v0
	v_or_b32_e32 v15, 0x3600, v0
	v_cndmask_b32_e32 v5, v12, v5, vcc
	v_lshlrev_b32_e32 v5, 1, v5
	ds_write_b16 v5, v10
	v_sub_u32_e32 v5, v82, v20
	v_sub_u32_e32 v10, v40, v5
	v_and_b32_e32 v12, 1, v55
	v_add_u32_e32 v10, 17, v10
	v_cmp_eq_u32_e32 vcc, 1, v12
	v_and_b32_e32 v12, 1, v54
	v_or_b32_e32 v55, 0x1000, v0
	v_cndmask_b32_e32 v5, v10, v5, vcc
	v_lshlrev_b32_e32 v5, 1, v5
	ds_write_b16 v5, v33
	v_sub_u32_e32 v5, v83, v20
	v_sub_u32_e32 v10, v40, v5
	v_add_u32_e32 v10, 18, v10
	v_cmp_eq_u32_e32 vcc, 1, v12
	v_or_b32_e32 v33, 0x2600, v0
	v_or_b32_e32 v13, 0x3800, v0
	v_cndmask_b32_e32 v5, v10, v5, vcc
	v_lshlrev_b32_e32 v5, 1, v5
	ds_write_b16 v5, v11
	v_sub_u32_e32 v5, v84, v20
	v_sub_u32_e32 v10, v40, v5
	v_and_b32_e32 v11, 1, v53
	v_add_u32_e32 v10, 19, v10
	v_cmp_eq_u32_e32 vcc, 1, v11
	v_and_b32_e32 v11, 1, v52
	v_or_b32_e32 v53, 0x1200, v0
	v_cndmask_b32_e32 v5, v10, v5, vcc
	v_lshlrev_b32_e32 v5, 1, v5
	ds_write_b16 v5, v32
	v_sub_u32_e32 v5, v85, v20
	v_sub_u32_e32 v10, v40, v5
	v_add_u32_e32 v10, 20, v10
	v_cmp_eq_u32_e32 vcc, 1, v11
	s_nop 1
	v_cndmask_b32_e32 v5, v10, v5, vcc
	v_lshlrev_b32_e32 v5, 1, v5
	ds_write_b16 v5, v8
	v_sub_u32_e32 v5, v86, v20
	v_sub_u32_e32 v8, v40, v5
	v_and_b32_e32 v10, 1, v51
	v_add_u32_e32 v8, 21, v8
	v_cmp_eq_u32_e32 vcc, 1, v10
	v_and_b32_e32 v10, 1, v50
	v_or_b32_e32 v51, 0x1400, v0
	v_cndmask_b32_e32 v5, v8, v5, vcc
	v_lshlrev_b32_e32 v5, 1, v5
	ds_write_b16 v5, v31
	v_sub_u32_e32 v5, v87, v20
	v_sub_u32_e32 v8, v40, v5
	v_add_u32_e32 v8, 22, v8
	v_cmp_eq_u32_e32 vcc, 1, v10
	v_lshl_add_u64 v[10:11], s[28:29], 0, v[20:21]
	v_or_b32_e32 v31, 0x2800, v0
	v_cndmask_b32_e32 v5, v8, v5, vcc
	v_lshlrev_b32_e32 v5, 1, v5
	ds_write_b16 v5, v9
	v_sub_u32_e32 v5, v88, v20
	v_sub_u32_e32 v8, v40, v5
	v_and_b32_e32 v9, 1, v49
	v_add_u32_e32 v8, 23, v8
	v_cmp_eq_u32_e32 vcc, 1, v9
	v_and_b32_e32 v9, 1, v48
	v_or_b32_e32 v49, 0x1600, v0
	v_cndmask_b32_e32 v5, v8, v5, vcc
	v_lshlrev_b32_e32 v5, 1, v5
	ds_write_b16 v5, v30
	v_sub_u32_e32 v5, v89, v20
	v_sub_u32_e32 v8, v40, v5
	v_add_u32_e32 v8, 24, v8
	v_cmp_eq_u32_e32 vcc, 1, v9
	s_nop 1
	v_cndmask_b32_e32 v5, v8, v5, vcc
	v_lshlrev_b32_e32 v5, 1, v5
	ds_write_b16 v5, v6
	v_sub_u32_e32 v5, v90, v20
	v_sub_u32_e32 v6, v40, v5
	v_and_b32_e32 v8, 1, v47
	v_add_u32_e32 v6, 25, v6
	v_cmp_eq_u32_e32 vcc, 1, v8
	v_and_b32_e32 v8, 1, v46
	v_or_b32_e32 v47, 0x1800, v0
	v_cndmask_b32_e32 v5, v6, v5, vcc
	v_lshlrev_b32_e32 v5, 1, v5
	ds_write_b16 v5, v29
	v_sub_u32_e32 v5, v91, v20
	v_sub_u32_e32 v6, v40, v5
	v_add_u32_e32 v6, 26, v6
	v_cmp_eq_u32_e32 vcc, 1, v8
	v_or_b32_e32 v29, 0x2a00, v0
	s_nop 0
	v_cndmask_b32_e32 v5, v6, v5, vcc
	v_lshlrev_b32_e32 v5, 1, v5
	ds_write_b16 v5, v7
	v_sub_u32_e32 v5, v92, v20
	v_sub_u32_e32 v6, v40, v5
	v_and_b32_e32 v7, 1, v45
	v_add_u32_e32 v6, 27, v6
	v_cmp_eq_u32_e32 vcc, 1, v7
	v_and_b32_e32 v7, 1, v43
	v_or_b32_e32 v45, 0x1a00, v0
	v_cndmask_b32_e32 v5, v6, v5, vcc
	v_lshlrev_b32_e32 v5, 1, v5
	ds_write_b16 v5, v28
	v_sub_u32_e32 v5, v93, v20
	v_sub_u32_e32 v6, v40, v5
	v_add_u32_e32 v6, 28, v6
	v_cmp_eq_u32_e32 vcc, 1, v7
	s_nop 1
	v_cndmask_b32_e32 v5, v6, v5, vcc
	v_lshlrev_b32_e32 v5, 1, v5
	ds_write_b16 v5, v3
	v_sub_u32_sdwa v3, v43, v20 dst_sel:DWORD dst_unused:UNUSED_PAD src0_sel:BYTE_0 src1_sel:DWORD
	v_add_u32_e32 v3, v93, v3
	v_sub_u32_e32 v5, v40, v3
	v_and_b32_e32 v6, 1, v44
	v_add_u32_e32 v5, 29, v5
	v_cmp_eq_u32_e32 vcc, 1, v6
	v_or_b32_e32 v43, 0x1c00, v0
	s_nop 0
	v_cndmask_b32_e32 v3, v5, v3, vcc
	v_lshlrev_b32_e32 v3, 1, v3
	ds_write_b16 v3, v1
	s_waitcnt lgkmcnt(0)
	s_barrier
	ds_read_u16 v71, v2
	ds_read_u16 v70, v2 offset:1024
	ds_read_u16 v68, v2 offset:2048
	;; [unrolled: 1-line block ×29, first 2 shown]
	v_mov_b32_e32 v5, v21
	v_lshl_add_u64 v[6:7], v[10:11], 0, v[4:5]
	v_mov_b32_e32 v3, s23
	v_sub_co_u32_e32 v8, vcc, s22, v6
	v_lshlrev_b64 v[10:11], 1, v[10:11]
	s_nop 0
	v_subb_co_u32_e32 v9, vcc, v3, v7, vcc
	v_lshlrev_b64 v[8:9], 1, v[8:9]
	v_lshl_add_u64 v[8:9], s[2:3], 0, v[8:9]
	v_or_b32_e32 v1, 0x3a00, v0
	v_lshl_add_u64 v[8:9], v[8:9], 0, s[30:31]
	s_and_b64 vcc, exec, s[20:21]
	v_lshl_add_u64 v[10:11], s[0:1], 0, v[10:11]
	s_cbranch_vccnz .LBB370_111
; %bb.110:
	v_cmp_lt_u32_e32 vcc, v0, v4
	v_mov_b32_e32 v3, v21
	v_lshlrev_b32_e32 v20, 1, v63
	v_cndmask_b32_e32 v73, v9, v11, vcc
	v_cndmask_b32_e32 v72, v8, v10, vcc
	v_lshl_add_u64 v[72:73], v[72:73], 0, v[2:3]
	v_cmp_lt_u32_e32 vcc, v69, v4
	s_waitcnt lgkmcnt(14)
	global_store_short v[72:73], v71, off
	v_cndmask_b32_e32 v73, v9, v11, vcc
	v_cndmask_b32_e32 v72, v8, v10, vcc
	v_lshl_add_u64 v[72:73], v[72:73], 0, v[2:3]
	v_cmp_lt_u32_e32 vcc, v67, v4
	global_store_short v[72:73], v70, off offset:1024
	s_mov_b64 s[0:1], -1
	v_cndmask_b32_e32 v73, v9, v11, vcc
	v_cndmask_b32_e32 v72, v8, v10, vcc
	v_lshl_add_u64 v[72:73], v[72:73], 0, v[2:3]
	v_cmp_lt_u32_e32 vcc, v65, v4
	global_store_short v[72:73], v68, off offset:2048
	s_nop 0
	v_cndmask_b32_e32 v73, v9, v11, vcc
	v_cndmask_b32_e32 v72, v8, v10, vcc
	v_lshl_add_u64 v[72:73], v[72:73], 0, v[2:3]
	v_cmp_lt_u32_e32 vcc, v63, v4
	global_store_short v[72:73], v66, off offset:3072
	s_nop 0
	v_cndmask_b32_e32 v73, v9, v11, vcc
	v_cndmask_b32_e32 v72, v8, v10, vcc
	v_lshl_add_u64 v[72:73], v[72:73], 0, v[20:21]
	v_cmp_lt_u32_e32 vcc, v61, v4
	global_store_short v[72:73], v64, off
	v_lshlrev_b32_e32 v20, 1, v61
	v_cndmask_b32_e32 v73, v9, v11, vcc
	v_cndmask_b32_e32 v72, v8, v10, vcc
	v_lshl_add_u64 v[72:73], v[72:73], 0, v[20:21]
	v_cmp_lt_u32_e32 vcc, v59, v4
	global_store_short v[72:73], v62, off
	v_lshlrev_b32_e32 v20, 1, v59
	;; [unrolled: 6-line block ×12, first 2 shown]
	v_cndmask_b32_e32 v73, v9, v11, vcc
	v_cndmask_b32_e32 v72, v8, v10, vcc
	v_lshl_add_u64 v[72:73], v[72:73], 0, v[20:21]
	v_cmp_lt_u32_e32 vcc, v37, v4
	s_waitcnt lgkmcnt(13)
	global_store_short v[72:73], v40, off
	v_lshlrev_b32_e32 v20, 1, v37
	v_cndmask_b32_e32 v73, v9, v11, vcc
	v_cndmask_b32_e32 v72, v8, v10, vcc
	v_lshl_add_u64 v[72:73], v[72:73], 0, v[20:21]
	v_cmp_lt_u32_e32 vcc, v35, v4
	s_waitcnt lgkmcnt(12)
	global_store_short v[72:73], v38, off
	v_lshlrev_b32_e32 v20, 1, v35
	;; [unrolled: 7-line block ×12, first 2 shown]
	v_cndmask_b32_e32 v73, v9, v11, vcc
	v_cndmask_b32_e32 v72, v8, v10, vcc
	v_lshl_add_u64 v[20:21], v[72:73], 0, v[20:21]
	s_waitcnt lgkmcnt(1)
	global_store_short v[20:21], v14, off
	s_cbranch_execz .LBB370_112
	s_branch .LBB370_143
.LBB370_111:
	s_mov_b64 s[0:1], 0
.LBB370_112:
	v_cmp_gt_u32_e32 vcc, s33, v0
	s_and_saveexec_b64 s[0:1], vcc
	s_cbranch_execnz .LBB370_148
; %bb.113:
	s_or_b64 exec, exec, s[0:1]
	v_cmp_gt_u32_e32 vcc, s33, v69
	s_and_saveexec_b64 s[0:1], vcc
	s_cbranch_execnz .LBB370_149
.LBB370_114:
	s_or_b64 exec, exec, s[0:1]
	v_cmp_gt_u32_e32 vcc, s33, v67
	s_and_saveexec_b64 s[0:1], vcc
	s_cbranch_execnz .LBB370_150
.LBB370_115:
	s_or_b64 exec, exec, s[0:1]
	v_cmp_gt_u32_e32 vcc, s33, v65
	s_and_saveexec_b64 s[0:1], vcc
	s_cbranch_execnz .LBB370_151
.LBB370_116:
	s_or_b64 exec, exec, s[0:1]
	v_cmp_gt_u32_e32 vcc, s33, v63
	s_and_saveexec_b64 s[0:1], vcc
	s_cbranch_execnz .LBB370_152
.LBB370_117:
	s_or_b64 exec, exec, s[0:1]
	v_cmp_gt_u32_e32 vcc, s33, v61
	s_and_saveexec_b64 s[0:1], vcc
	s_cbranch_execnz .LBB370_153
.LBB370_118:
	s_or_b64 exec, exec, s[0:1]
	v_cmp_gt_u32_e32 vcc, s33, v59
	s_and_saveexec_b64 s[0:1], vcc
	s_cbranch_execnz .LBB370_154
.LBB370_119:
	s_or_b64 exec, exec, s[0:1]
	v_cmp_gt_u32_e32 vcc, s33, v57
	s_and_saveexec_b64 s[0:1], vcc
	s_cbranch_execnz .LBB370_155
.LBB370_120:
	s_or_b64 exec, exec, s[0:1]
	v_cmp_gt_u32_e32 vcc, s33, v55
	s_and_saveexec_b64 s[0:1], vcc
	s_cbranch_execnz .LBB370_156
.LBB370_121:
	s_or_b64 exec, exec, s[0:1]
	v_cmp_gt_u32_e32 vcc, s33, v53
	s_and_saveexec_b64 s[0:1], vcc
	s_cbranch_execnz .LBB370_157
.LBB370_122:
	s_or_b64 exec, exec, s[0:1]
	v_cmp_gt_u32_e32 vcc, s33, v51
	s_and_saveexec_b64 s[0:1], vcc
	s_cbranch_execnz .LBB370_158
.LBB370_123:
	s_or_b64 exec, exec, s[0:1]
	v_cmp_gt_u32_e32 vcc, s33, v49
	s_and_saveexec_b64 s[0:1], vcc
	s_cbranch_execnz .LBB370_159
.LBB370_124:
	s_or_b64 exec, exec, s[0:1]
	v_cmp_gt_u32_e32 vcc, s33, v47
	s_and_saveexec_b64 s[0:1], vcc
	s_cbranch_execnz .LBB370_160
.LBB370_125:
	s_or_b64 exec, exec, s[0:1]
	v_cmp_gt_u32_e32 vcc, s33, v45
	s_and_saveexec_b64 s[0:1], vcc
	s_cbranch_execnz .LBB370_161
.LBB370_126:
	s_or_b64 exec, exec, s[0:1]
	v_cmp_gt_u32_e32 vcc, s33, v43
	s_and_saveexec_b64 s[0:1], vcc
	s_cbranch_execnz .LBB370_162
.LBB370_127:
	s_or_b64 exec, exec, s[0:1]
	v_cmp_gt_u32_e32 vcc, s33, v41
	s_and_saveexec_b64 s[0:1], vcc
	s_cbranch_execnz .LBB370_163
.LBB370_128:
	s_or_b64 exec, exec, s[0:1]
	v_cmp_gt_u32_e32 vcc, s33, v39
	s_and_saveexec_b64 s[0:1], vcc
	s_cbranch_execnz .LBB370_164
.LBB370_129:
	s_or_b64 exec, exec, s[0:1]
	v_cmp_gt_u32_e32 vcc, s33, v37
	s_and_saveexec_b64 s[0:1], vcc
	s_cbranch_execnz .LBB370_165
.LBB370_130:
	s_or_b64 exec, exec, s[0:1]
	v_cmp_gt_u32_e32 vcc, s33, v35
	s_and_saveexec_b64 s[0:1], vcc
	s_cbranch_execnz .LBB370_166
.LBB370_131:
	s_or_b64 exec, exec, s[0:1]
	v_cmp_gt_u32_e32 vcc, s33, v33
	s_and_saveexec_b64 s[0:1], vcc
	s_cbranch_execnz .LBB370_167
.LBB370_132:
	s_or_b64 exec, exec, s[0:1]
	v_cmp_gt_u32_e32 vcc, s33, v31
	s_and_saveexec_b64 s[0:1], vcc
	s_cbranch_execnz .LBB370_168
.LBB370_133:
	s_or_b64 exec, exec, s[0:1]
	v_cmp_gt_u32_e32 vcc, s33, v29
	s_and_saveexec_b64 s[0:1], vcc
	s_cbranch_execnz .LBB370_169
.LBB370_134:
	s_or_b64 exec, exec, s[0:1]
	v_cmp_gt_u32_e32 vcc, s33, v27
	s_and_saveexec_b64 s[0:1], vcc
	s_cbranch_execnz .LBB370_170
.LBB370_135:
	s_or_b64 exec, exec, s[0:1]
	v_cmp_gt_u32_e32 vcc, s33, v25
	s_and_saveexec_b64 s[0:1], vcc
	s_cbranch_execnz .LBB370_171
.LBB370_136:
	s_or_b64 exec, exec, s[0:1]
	v_cmp_gt_u32_e32 vcc, s33, v23
	s_and_saveexec_b64 s[0:1], vcc
	s_cbranch_execnz .LBB370_172
.LBB370_137:
	s_or_b64 exec, exec, s[0:1]
	v_cmp_gt_u32_e32 vcc, s33, v19
	s_and_saveexec_b64 s[0:1], vcc
	s_cbranch_execnz .LBB370_173
.LBB370_138:
	s_or_b64 exec, exec, s[0:1]
	v_cmp_gt_u32_e32 vcc, s33, v17
	s_and_saveexec_b64 s[0:1], vcc
	s_cbranch_execnz .LBB370_174
.LBB370_139:
	s_or_b64 exec, exec, s[0:1]
	v_cmp_gt_u32_e32 vcc, s33, v15
	s_and_saveexec_b64 s[0:1], vcc
	s_cbranch_execnz .LBB370_175
.LBB370_140:
	s_or_b64 exec, exec, s[0:1]
	v_cmp_gt_u32_e32 vcc, s33, v13
	s_and_saveexec_b64 s[0:1], vcc
	s_cbranch_execz .LBB370_142
.LBB370_141:
	v_cmp_lt_u32_e32 vcc, v13, v4
	s_waitcnt lgkmcnt(2)
	v_lshlrev_b32_e32 v16, 1, v13
	v_mov_b32_e32 v17, 0
	v_cndmask_b32_e32 v3, v9, v11, vcc
	v_cndmask_b32_e32 v2, v8, v10, vcc
	v_lshl_add_u64 v[2:3], v[2:3], 0, v[16:17]
	s_waitcnt lgkmcnt(1)
	global_store_short v[2:3], v14, off
.LBB370_142:
	s_or_b64 exec, exec, s[0:1]
	v_cmp_gt_u32_e64 s[0:1], s33, v1
.LBB370_143:
	s_and_saveexec_b64 s[2:3], s[0:1]
	s_cbranch_execz .LBB370_145
; %bb.144:
	v_cmp_lt_u32_e32 vcc, v1, v4
	v_lshlrev_b32_e32 v4, 1, v1
	v_mov_b32_e32 v5, 0
	v_cndmask_b32_e32 v3, v9, v11, vcc
	v_cndmask_b32_e32 v2, v8, v10, vcc
	v_lshl_add_u64 v[2:3], v[2:3], 0, v[4:5]
	s_waitcnt lgkmcnt(0)
	global_store_short v[2:3], v12, off
.LBB370_145:
	s_or_b64 exec, exec, s[2:3]
	v_cmp_eq_u32_e32 vcc, 0, v0
	s_and_b64 s[0:1], vcc, s[26:27]
	s_and_saveexec_b64 s[2:3], s[0:1]
	s_cbranch_execz .LBB370_147
; %bb.146:
	v_mov_b32_e32 v0, 0
	global_store_dwordx2 v0, v[6:7], s[24:25]
.LBB370_147:
	s_endpgm
.LBB370_148:
	v_cmp_lt_u32_e32 vcc, v0, v4
	v_mov_b32_e32 v3, 0
	s_nop 0
	v_cndmask_b32_e32 v21, v9, v11, vcc
	v_cndmask_b32_e32 v20, v8, v10, vcc
	v_lshl_add_u64 v[20:21], v[20:21], 0, v[2:3]
	s_waitcnt lgkmcnt(14)
	global_store_short v[20:21], v71, off
	s_or_b64 exec, exec, s[0:1]
	v_cmp_gt_u32_e32 vcc, s33, v69
	s_and_saveexec_b64 s[0:1], vcc
	s_cbranch_execz .LBB370_114
.LBB370_149:
	v_cmp_lt_u32_e32 vcc, v69, v4
	v_mov_b32_e32 v3, 0
	s_nop 0
	v_cndmask_b32_e32 v21, v9, v11, vcc
	v_cndmask_b32_e32 v20, v8, v10, vcc
	v_lshl_add_u64 v[20:21], v[20:21], 0, v[2:3]
	s_waitcnt lgkmcnt(14)
	global_store_short v[20:21], v70, off offset:1024
	s_or_b64 exec, exec, s[0:1]
	v_cmp_gt_u32_e32 vcc, s33, v67
	s_and_saveexec_b64 s[0:1], vcc
	s_cbranch_execz .LBB370_115
.LBB370_150:
	v_cmp_lt_u32_e32 vcc, v67, v4
	v_mov_b32_e32 v3, 0
	s_nop 0
	v_cndmask_b32_e32 v21, v9, v11, vcc
	v_cndmask_b32_e32 v20, v8, v10, vcc
	v_lshl_add_u64 v[20:21], v[20:21], 0, v[2:3]
	s_waitcnt lgkmcnt(14)
	global_store_short v[20:21], v68, off offset:2048
	s_or_b64 exec, exec, s[0:1]
	v_cmp_gt_u32_e32 vcc, s33, v65
	s_and_saveexec_b64 s[0:1], vcc
	s_cbranch_execz .LBB370_116
.LBB370_151:
	v_cmp_lt_u32_e32 vcc, v65, v4
	v_mov_b32_e32 v3, 0
	s_nop 0
	v_cndmask_b32_e32 v21, v9, v11, vcc
	v_cndmask_b32_e32 v20, v8, v10, vcc
	v_lshl_add_u64 v[2:3], v[20:21], 0, v[2:3]
	s_waitcnt lgkmcnt(14)
	global_store_short v[2:3], v66, off offset:3072
	s_or_b64 exec, exec, s[0:1]
	v_cmp_gt_u32_e32 vcc, s33, v63
	s_and_saveexec_b64 s[0:1], vcc
	s_cbranch_execz .LBB370_117
.LBB370_152:
	v_cmp_lt_u32_e32 vcc, v63, v4
	v_lshlrev_b32_e32 v20, 1, v63
	v_mov_b32_e32 v21, 0
	v_cndmask_b32_e32 v3, v9, v11, vcc
	v_cndmask_b32_e32 v2, v8, v10, vcc
	v_lshl_add_u64 v[2:3], v[2:3], 0, v[20:21]
	s_waitcnt lgkmcnt(14)
	global_store_short v[2:3], v64, off
	s_or_b64 exec, exec, s[0:1]
	v_cmp_gt_u32_e32 vcc, s33, v61
	s_and_saveexec_b64 s[0:1], vcc
	s_cbranch_execz .LBB370_118
.LBB370_153:
	v_cmp_lt_u32_e32 vcc, v61, v4
	v_lshlrev_b32_e32 v20, 1, v61
	v_mov_b32_e32 v21, 0
	v_cndmask_b32_e32 v3, v9, v11, vcc
	v_cndmask_b32_e32 v2, v8, v10, vcc
	v_lshl_add_u64 v[2:3], v[2:3], 0, v[20:21]
	s_waitcnt lgkmcnt(14)
	global_store_short v[2:3], v62, off
	s_or_b64 exec, exec, s[0:1]
	v_cmp_gt_u32_e32 vcc, s33, v59
	s_and_saveexec_b64 s[0:1], vcc
	s_cbranch_execz .LBB370_119
.LBB370_154:
	v_cmp_lt_u32_e32 vcc, v59, v4
	v_lshlrev_b32_e32 v20, 1, v59
	v_mov_b32_e32 v21, 0
	v_cndmask_b32_e32 v3, v9, v11, vcc
	v_cndmask_b32_e32 v2, v8, v10, vcc
	v_lshl_add_u64 v[2:3], v[2:3], 0, v[20:21]
	s_waitcnt lgkmcnt(14)
	global_store_short v[2:3], v60, off
	s_or_b64 exec, exec, s[0:1]
	v_cmp_gt_u32_e32 vcc, s33, v57
	s_and_saveexec_b64 s[0:1], vcc
	s_cbranch_execz .LBB370_120
.LBB370_155:
	v_cmp_lt_u32_e32 vcc, v57, v4
	v_lshlrev_b32_e32 v20, 1, v57
	v_mov_b32_e32 v21, 0
	v_cndmask_b32_e32 v3, v9, v11, vcc
	v_cndmask_b32_e32 v2, v8, v10, vcc
	v_lshl_add_u64 v[2:3], v[2:3], 0, v[20:21]
	s_waitcnt lgkmcnt(14)
	global_store_short v[2:3], v58, off
	s_or_b64 exec, exec, s[0:1]
	v_cmp_gt_u32_e32 vcc, s33, v55
	s_and_saveexec_b64 s[0:1], vcc
	s_cbranch_execz .LBB370_121
.LBB370_156:
	v_cmp_lt_u32_e32 vcc, v55, v4
	v_lshlrev_b32_e32 v20, 1, v55
	v_mov_b32_e32 v21, 0
	v_cndmask_b32_e32 v3, v9, v11, vcc
	v_cndmask_b32_e32 v2, v8, v10, vcc
	v_lshl_add_u64 v[2:3], v[2:3], 0, v[20:21]
	s_waitcnt lgkmcnt(14)
	global_store_short v[2:3], v56, off
	s_or_b64 exec, exec, s[0:1]
	v_cmp_gt_u32_e32 vcc, s33, v53
	s_and_saveexec_b64 s[0:1], vcc
	s_cbranch_execz .LBB370_122
.LBB370_157:
	v_cmp_lt_u32_e32 vcc, v53, v4
	v_lshlrev_b32_e32 v20, 1, v53
	v_mov_b32_e32 v21, 0
	v_cndmask_b32_e32 v3, v9, v11, vcc
	v_cndmask_b32_e32 v2, v8, v10, vcc
	v_lshl_add_u64 v[2:3], v[2:3], 0, v[20:21]
	s_waitcnt lgkmcnt(14)
	global_store_short v[2:3], v54, off
	s_or_b64 exec, exec, s[0:1]
	v_cmp_gt_u32_e32 vcc, s33, v51
	s_and_saveexec_b64 s[0:1], vcc
	s_cbranch_execz .LBB370_123
.LBB370_158:
	v_cmp_lt_u32_e32 vcc, v51, v4
	v_lshlrev_b32_e32 v20, 1, v51
	v_mov_b32_e32 v21, 0
	v_cndmask_b32_e32 v3, v9, v11, vcc
	v_cndmask_b32_e32 v2, v8, v10, vcc
	v_lshl_add_u64 v[2:3], v[2:3], 0, v[20:21]
	s_waitcnt lgkmcnt(14)
	global_store_short v[2:3], v52, off
	s_or_b64 exec, exec, s[0:1]
	v_cmp_gt_u32_e32 vcc, s33, v49
	s_and_saveexec_b64 s[0:1], vcc
	s_cbranch_execz .LBB370_124
.LBB370_159:
	v_cmp_lt_u32_e32 vcc, v49, v4
	v_lshlrev_b32_e32 v20, 1, v49
	v_mov_b32_e32 v21, 0
	v_cndmask_b32_e32 v3, v9, v11, vcc
	v_cndmask_b32_e32 v2, v8, v10, vcc
	v_lshl_add_u64 v[2:3], v[2:3], 0, v[20:21]
	s_waitcnt lgkmcnt(14)
	global_store_short v[2:3], v50, off
	s_or_b64 exec, exec, s[0:1]
	v_cmp_gt_u32_e32 vcc, s33, v47
	s_and_saveexec_b64 s[0:1], vcc
	s_cbranch_execz .LBB370_125
.LBB370_160:
	v_cmp_lt_u32_e32 vcc, v47, v4
	v_lshlrev_b32_e32 v20, 1, v47
	v_mov_b32_e32 v21, 0
	v_cndmask_b32_e32 v3, v9, v11, vcc
	v_cndmask_b32_e32 v2, v8, v10, vcc
	v_lshl_add_u64 v[2:3], v[2:3], 0, v[20:21]
	s_waitcnt lgkmcnt(14)
	global_store_short v[2:3], v48, off
	s_or_b64 exec, exec, s[0:1]
	v_cmp_gt_u32_e32 vcc, s33, v45
	s_and_saveexec_b64 s[0:1], vcc
	s_cbranch_execz .LBB370_126
.LBB370_161:
	v_cmp_lt_u32_e32 vcc, v45, v4
	v_lshlrev_b32_e32 v20, 1, v45
	v_mov_b32_e32 v21, 0
	v_cndmask_b32_e32 v3, v9, v11, vcc
	v_cndmask_b32_e32 v2, v8, v10, vcc
	v_lshl_add_u64 v[2:3], v[2:3], 0, v[20:21]
	s_waitcnt lgkmcnt(14)
	global_store_short v[2:3], v46, off
	s_or_b64 exec, exec, s[0:1]
	v_cmp_gt_u32_e32 vcc, s33, v43
	s_and_saveexec_b64 s[0:1], vcc
	s_cbranch_execz .LBB370_127
.LBB370_162:
	v_cmp_lt_u32_e32 vcc, v43, v4
	v_lshlrev_b32_e32 v20, 1, v43
	v_mov_b32_e32 v21, 0
	v_cndmask_b32_e32 v3, v9, v11, vcc
	v_cndmask_b32_e32 v2, v8, v10, vcc
	v_lshl_add_u64 v[2:3], v[2:3], 0, v[20:21]
	s_waitcnt lgkmcnt(14)
	global_store_short v[2:3], v44, off
	s_or_b64 exec, exec, s[0:1]
	v_cmp_gt_u32_e32 vcc, s33, v41
	s_and_saveexec_b64 s[0:1], vcc
	s_cbranch_execz .LBB370_128
.LBB370_163:
	v_cmp_lt_u32_e32 vcc, v41, v4
	v_lshlrev_b32_e32 v20, 1, v41
	v_mov_b32_e32 v21, 0
	v_cndmask_b32_e32 v3, v9, v11, vcc
	v_cndmask_b32_e32 v2, v8, v10, vcc
	v_lshl_add_u64 v[2:3], v[2:3], 0, v[20:21]
	s_waitcnt lgkmcnt(14)
	global_store_short v[2:3], v42, off
	s_or_b64 exec, exec, s[0:1]
	v_cmp_gt_u32_e32 vcc, s33, v39
	s_and_saveexec_b64 s[0:1], vcc
	s_cbranch_execz .LBB370_129
.LBB370_164:
	v_cmp_lt_u32_e32 vcc, v39, v4
	v_lshlrev_b32_e32 v20, 1, v39
	v_mov_b32_e32 v21, 0
	v_cndmask_b32_e32 v3, v9, v11, vcc
	v_cndmask_b32_e32 v2, v8, v10, vcc
	v_lshl_add_u64 v[2:3], v[2:3], 0, v[20:21]
	s_waitcnt lgkmcnt(13)
	global_store_short v[2:3], v40, off
	s_or_b64 exec, exec, s[0:1]
	v_cmp_gt_u32_e32 vcc, s33, v37
	s_and_saveexec_b64 s[0:1], vcc
	s_cbranch_execz .LBB370_130
.LBB370_165:
	v_cmp_lt_u32_e32 vcc, v37, v4
	v_lshlrev_b32_e32 v20, 1, v37
	v_mov_b32_e32 v21, 0
	v_cndmask_b32_e32 v3, v9, v11, vcc
	v_cndmask_b32_e32 v2, v8, v10, vcc
	v_lshl_add_u64 v[2:3], v[2:3], 0, v[20:21]
	s_waitcnt lgkmcnt(12)
	global_store_short v[2:3], v38, off
	s_or_b64 exec, exec, s[0:1]
	v_cmp_gt_u32_e32 vcc, s33, v35
	s_and_saveexec_b64 s[0:1], vcc
	s_cbranch_execz .LBB370_131
.LBB370_166:
	v_cmp_lt_u32_e32 vcc, v35, v4
	v_lshlrev_b32_e32 v20, 1, v35
	v_mov_b32_e32 v21, 0
	v_cndmask_b32_e32 v3, v9, v11, vcc
	v_cndmask_b32_e32 v2, v8, v10, vcc
	v_lshl_add_u64 v[2:3], v[2:3], 0, v[20:21]
	s_waitcnt lgkmcnt(11)
	global_store_short v[2:3], v36, off
	s_or_b64 exec, exec, s[0:1]
	v_cmp_gt_u32_e32 vcc, s33, v33
	s_and_saveexec_b64 s[0:1], vcc
	s_cbranch_execz .LBB370_132
.LBB370_167:
	v_cmp_lt_u32_e32 vcc, v33, v4
	v_lshlrev_b32_e32 v20, 1, v33
	v_mov_b32_e32 v21, 0
	v_cndmask_b32_e32 v3, v9, v11, vcc
	v_cndmask_b32_e32 v2, v8, v10, vcc
	v_lshl_add_u64 v[2:3], v[2:3], 0, v[20:21]
	s_waitcnt lgkmcnt(10)
	global_store_short v[2:3], v34, off
	s_or_b64 exec, exec, s[0:1]
	v_cmp_gt_u32_e32 vcc, s33, v31
	s_and_saveexec_b64 s[0:1], vcc
	s_cbranch_execz .LBB370_133
.LBB370_168:
	v_cmp_lt_u32_e32 vcc, v31, v4
	v_lshlrev_b32_e32 v20, 1, v31
	v_mov_b32_e32 v21, 0
	v_cndmask_b32_e32 v3, v9, v11, vcc
	v_cndmask_b32_e32 v2, v8, v10, vcc
	v_lshl_add_u64 v[2:3], v[2:3], 0, v[20:21]
	s_waitcnt lgkmcnt(9)
	global_store_short v[2:3], v32, off
	s_or_b64 exec, exec, s[0:1]
	v_cmp_gt_u32_e32 vcc, s33, v29
	s_and_saveexec_b64 s[0:1], vcc
	s_cbranch_execz .LBB370_134
.LBB370_169:
	v_cmp_lt_u32_e32 vcc, v29, v4
	v_lshlrev_b32_e32 v20, 1, v29
	v_mov_b32_e32 v21, 0
	v_cndmask_b32_e32 v3, v9, v11, vcc
	v_cndmask_b32_e32 v2, v8, v10, vcc
	v_lshl_add_u64 v[2:3], v[2:3], 0, v[20:21]
	s_waitcnt lgkmcnt(8)
	global_store_short v[2:3], v30, off
	s_or_b64 exec, exec, s[0:1]
	v_cmp_gt_u32_e32 vcc, s33, v27
	s_and_saveexec_b64 s[0:1], vcc
	s_cbranch_execz .LBB370_135
.LBB370_170:
	v_cmp_lt_u32_e32 vcc, v27, v4
	v_lshlrev_b32_e32 v20, 1, v27
	v_mov_b32_e32 v21, 0
	v_cndmask_b32_e32 v3, v9, v11, vcc
	v_cndmask_b32_e32 v2, v8, v10, vcc
	v_lshl_add_u64 v[2:3], v[2:3], 0, v[20:21]
	s_waitcnt lgkmcnt(7)
	global_store_short v[2:3], v28, off
	s_or_b64 exec, exec, s[0:1]
	v_cmp_gt_u32_e32 vcc, s33, v25
	s_and_saveexec_b64 s[0:1], vcc
	s_cbranch_execz .LBB370_136
.LBB370_171:
	v_cmp_lt_u32_e32 vcc, v25, v4
	v_lshlrev_b32_e32 v20, 1, v25
	v_mov_b32_e32 v21, 0
	v_cndmask_b32_e32 v3, v9, v11, vcc
	v_cndmask_b32_e32 v2, v8, v10, vcc
	v_lshl_add_u64 v[2:3], v[2:3], 0, v[20:21]
	s_waitcnt lgkmcnt(6)
	global_store_short v[2:3], v26, off
	s_or_b64 exec, exec, s[0:1]
	v_cmp_gt_u32_e32 vcc, s33, v23
	s_and_saveexec_b64 s[0:1], vcc
	s_cbranch_execz .LBB370_137
.LBB370_172:
	v_cmp_lt_u32_e32 vcc, v23, v4
	v_lshlrev_b32_e32 v20, 1, v23
	v_mov_b32_e32 v21, 0
	v_cndmask_b32_e32 v3, v9, v11, vcc
	v_cndmask_b32_e32 v2, v8, v10, vcc
	v_lshl_add_u64 v[2:3], v[2:3], 0, v[20:21]
	s_waitcnt lgkmcnt(5)
	global_store_short v[2:3], v24, off
	s_or_b64 exec, exec, s[0:1]
	v_cmp_gt_u32_e32 vcc, s33, v19
	s_and_saveexec_b64 s[0:1], vcc
	s_cbranch_execz .LBB370_138
.LBB370_173:
	v_cmp_lt_u32_e32 vcc, v19, v4
	v_lshlrev_b32_e32 v20, 1, v19
	v_mov_b32_e32 v21, 0
	v_cndmask_b32_e32 v3, v9, v11, vcc
	v_cndmask_b32_e32 v2, v8, v10, vcc
	v_lshl_add_u64 v[2:3], v[2:3], 0, v[20:21]
	s_waitcnt lgkmcnt(4)
	global_store_short v[2:3], v22, off
	s_or_b64 exec, exec, s[0:1]
	v_cmp_gt_u32_e32 vcc, s33, v17
	s_and_saveexec_b64 s[0:1], vcc
	s_cbranch_execz .LBB370_139
.LBB370_174:
	v_cmp_lt_u32_e32 vcc, v17, v4
	v_lshlrev_b32_e32 v20, 1, v17
	v_mov_b32_e32 v21, 0
	v_cndmask_b32_e32 v3, v9, v11, vcc
	v_cndmask_b32_e32 v2, v8, v10, vcc
	v_lshl_add_u64 v[2:3], v[2:3], 0, v[20:21]
	s_waitcnt lgkmcnt(3)
	global_store_short v[2:3], v18, off
	s_or_b64 exec, exec, s[0:1]
	v_cmp_gt_u32_e32 vcc, s33, v15
	s_and_saveexec_b64 s[0:1], vcc
	s_cbranch_execz .LBB370_140
.LBB370_175:
	v_cmp_lt_u32_e32 vcc, v15, v4
	s_waitcnt lgkmcnt(3)
	v_lshlrev_b32_e32 v18, 1, v15
	v_mov_b32_e32 v19, 0
	v_cndmask_b32_e32 v3, v9, v11, vcc
	v_cndmask_b32_e32 v2, v8, v10, vcc
	v_lshl_add_u64 v[2:3], v[2:3], 0, v[18:19]
	s_waitcnt lgkmcnt(2)
	global_store_short v[2:3], v16, off
	s_or_b64 exec, exec, s[0:1]
	v_cmp_gt_u32_e32 vcc, s33, v13
	s_and_saveexec_b64 s[0:1], vcc
	s_cbranch_execnz .LBB370_141
	s_branch .LBB370_142
	.section	.rodata,"a",@progbits
	.p2align	6, 0x0
	.amdhsa_kernel _ZN7rocprim17ROCPRIM_400000_NS6detail17trampoline_kernelINS0_14default_configENS1_25partition_config_selectorILNS1_17partition_subalgoE0EsNS0_10empty_typeEbEEZZNS1_14partition_implILS5_0ELb0ES3_jN6thrust23THRUST_200600_302600_NS6detail15normal_iteratorINSA_10device_ptrIsEEEEPS6_SG_NS0_5tupleIJSF_SF_EEENSH_IJSG_SG_EEES6_PlJ7is_evenIsEEEE10hipError_tPvRmT3_T4_T5_T6_T7_T9_mT8_P12ihipStream_tbDpT10_ENKUlT_T0_E_clISt17integral_constantIbLb1EES15_IbLb0EEEEDaS11_S12_EUlS11_E_NS1_11comp_targetILNS1_3genE5ELNS1_11target_archE942ELNS1_3gpuE9ELNS1_3repE0EEENS1_30default_config_static_selectorELNS0_4arch9wavefront6targetE1EEEvT1_
		.amdhsa_group_segment_fixed_size 30728
		.amdhsa_private_segment_fixed_size 0
		.amdhsa_kernarg_size 120
		.amdhsa_user_sgpr_count 2
		.amdhsa_user_sgpr_dispatch_ptr 0
		.amdhsa_user_sgpr_queue_ptr 0
		.amdhsa_user_sgpr_kernarg_segment_ptr 1
		.amdhsa_user_sgpr_dispatch_id 0
		.amdhsa_user_sgpr_kernarg_preload_length 0
		.amdhsa_user_sgpr_kernarg_preload_offset 0
		.amdhsa_user_sgpr_private_segment_size 0
		.amdhsa_uses_dynamic_stack 0
		.amdhsa_enable_private_segment 0
		.amdhsa_system_sgpr_workgroup_id_x 1
		.amdhsa_system_sgpr_workgroup_id_y 0
		.amdhsa_system_sgpr_workgroup_id_z 0
		.amdhsa_system_sgpr_workgroup_info 0
		.amdhsa_system_vgpr_workitem_id 0
		.amdhsa_next_free_vgpr 120
		.amdhsa_next_free_sgpr 44
		.amdhsa_accum_offset 120
		.amdhsa_reserve_vcc 1
		.amdhsa_float_round_mode_32 0
		.amdhsa_float_round_mode_16_64 0
		.amdhsa_float_denorm_mode_32 3
		.amdhsa_float_denorm_mode_16_64 3
		.amdhsa_dx10_clamp 1
		.amdhsa_ieee_mode 1
		.amdhsa_fp16_overflow 0
		.amdhsa_tg_split 0
		.amdhsa_exception_fp_ieee_invalid_op 0
		.amdhsa_exception_fp_denorm_src 0
		.amdhsa_exception_fp_ieee_div_zero 0
		.amdhsa_exception_fp_ieee_overflow 0
		.amdhsa_exception_fp_ieee_underflow 0
		.amdhsa_exception_fp_ieee_inexact 0
		.amdhsa_exception_int_div_zero 0
	.end_amdhsa_kernel
	.section	.text._ZN7rocprim17ROCPRIM_400000_NS6detail17trampoline_kernelINS0_14default_configENS1_25partition_config_selectorILNS1_17partition_subalgoE0EsNS0_10empty_typeEbEEZZNS1_14partition_implILS5_0ELb0ES3_jN6thrust23THRUST_200600_302600_NS6detail15normal_iteratorINSA_10device_ptrIsEEEEPS6_SG_NS0_5tupleIJSF_SF_EEENSH_IJSG_SG_EEES6_PlJ7is_evenIsEEEE10hipError_tPvRmT3_T4_T5_T6_T7_T9_mT8_P12ihipStream_tbDpT10_ENKUlT_T0_E_clISt17integral_constantIbLb1EES15_IbLb0EEEEDaS11_S12_EUlS11_E_NS1_11comp_targetILNS1_3genE5ELNS1_11target_archE942ELNS1_3gpuE9ELNS1_3repE0EEENS1_30default_config_static_selectorELNS0_4arch9wavefront6targetE1EEEvT1_,"axG",@progbits,_ZN7rocprim17ROCPRIM_400000_NS6detail17trampoline_kernelINS0_14default_configENS1_25partition_config_selectorILNS1_17partition_subalgoE0EsNS0_10empty_typeEbEEZZNS1_14partition_implILS5_0ELb0ES3_jN6thrust23THRUST_200600_302600_NS6detail15normal_iteratorINSA_10device_ptrIsEEEEPS6_SG_NS0_5tupleIJSF_SF_EEENSH_IJSG_SG_EEES6_PlJ7is_evenIsEEEE10hipError_tPvRmT3_T4_T5_T6_T7_T9_mT8_P12ihipStream_tbDpT10_ENKUlT_T0_E_clISt17integral_constantIbLb1EES15_IbLb0EEEEDaS11_S12_EUlS11_E_NS1_11comp_targetILNS1_3genE5ELNS1_11target_archE942ELNS1_3gpuE9ELNS1_3repE0EEENS1_30default_config_static_selectorELNS0_4arch9wavefront6targetE1EEEvT1_,comdat
.Lfunc_end370:
	.size	_ZN7rocprim17ROCPRIM_400000_NS6detail17trampoline_kernelINS0_14default_configENS1_25partition_config_selectorILNS1_17partition_subalgoE0EsNS0_10empty_typeEbEEZZNS1_14partition_implILS5_0ELb0ES3_jN6thrust23THRUST_200600_302600_NS6detail15normal_iteratorINSA_10device_ptrIsEEEEPS6_SG_NS0_5tupleIJSF_SF_EEENSH_IJSG_SG_EEES6_PlJ7is_evenIsEEEE10hipError_tPvRmT3_T4_T5_T6_T7_T9_mT8_P12ihipStream_tbDpT10_ENKUlT_T0_E_clISt17integral_constantIbLb1EES15_IbLb0EEEEDaS11_S12_EUlS11_E_NS1_11comp_targetILNS1_3genE5ELNS1_11target_archE942ELNS1_3gpuE9ELNS1_3repE0EEENS1_30default_config_static_selectorELNS0_4arch9wavefront6targetE1EEEvT1_, .Lfunc_end370-_ZN7rocprim17ROCPRIM_400000_NS6detail17trampoline_kernelINS0_14default_configENS1_25partition_config_selectorILNS1_17partition_subalgoE0EsNS0_10empty_typeEbEEZZNS1_14partition_implILS5_0ELb0ES3_jN6thrust23THRUST_200600_302600_NS6detail15normal_iteratorINSA_10device_ptrIsEEEEPS6_SG_NS0_5tupleIJSF_SF_EEENSH_IJSG_SG_EEES6_PlJ7is_evenIsEEEE10hipError_tPvRmT3_T4_T5_T6_T7_T9_mT8_P12ihipStream_tbDpT10_ENKUlT_T0_E_clISt17integral_constantIbLb1EES15_IbLb0EEEEDaS11_S12_EUlS11_E_NS1_11comp_targetILNS1_3genE5ELNS1_11target_archE942ELNS1_3gpuE9ELNS1_3repE0EEENS1_30default_config_static_selectorELNS0_4arch9wavefront6targetE1EEEvT1_
                                        ; -- End function
	.section	.AMDGPU.csdata,"",@progbits
; Kernel info:
; codeLenInByte = 10916
; NumSgprs: 50
; NumVgprs: 120
; NumAgprs: 0
; TotalNumVgprs: 120
; ScratchSize: 0
; MemoryBound: 0
; FloatMode: 240
; IeeeMode: 1
; LDSByteSize: 30728 bytes/workgroup (compile time only)
; SGPRBlocks: 6
; VGPRBlocks: 14
; NumSGPRsForWavesPerEU: 50
; NumVGPRsForWavesPerEU: 120
; AccumOffset: 120
; Occupancy: 4
; WaveLimiterHint : 1
; COMPUTE_PGM_RSRC2:SCRATCH_EN: 0
; COMPUTE_PGM_RSRC2:USER_SGPR: 2
; COMPUTE_PGM_RSRC2:TRAP_HANDLER: 0
; COMPUTE_PGM_RSRC2:TGID_X_EN: 1
; COMPUTE_PGM_RSRC2:TGID_Y_EN: 0
; COMPUTE_PGM_RSRC2:TGID_Z_EN: 0
; COMPUTE_PGM_RSRC2:TIDIG_COMP_CNT: 0
; COMPUTE_PGM_RSRC3_GFX90A:ACCUM_OFFSET: 29
; COMPUTE_PGM_RSRC3_GFX90A:TG_SPLIT: 0
	.section	.text._ZN7rocprim17ROCPRIM_400000_NS6detail17trampoline_kernelINS0_14default_configENS1_25partition_config_selectorILNS1_17partition_subalgoE0EsNS0_10empty_typeEbEEZZNS1_14partition_implILS5_0ELb0ES3_jN6thrust23THRUST_200600_302600_NS6detail15normal_iteratorINSA_10device_ptrIsEEEEPS6_SG_NS0_5tupleIJSF_SF_EEENSH_IJSG_SG_EEES6_PlJ7is_evenIsEEEE10hipError_tPvRmT3_T4_T5_T6_T7_T9_mT8_P12ihipStream_tbDpT10_ENKUlT_T0_E_clISt17integral_constantIbLb1EES15_IbLb0EEEEDaS11_S12_EUlS11_E_NS1_11comp_targetILNS1_3genE4ELNS1_11target_archE910ELNS1_3gpuE8ELNS1_3repE0EEENS1_30default_config_static_selectorELNS0_4arch9wavefront6targetE1EEEvT1_,"axG",@progbits,_ZN7rocprim17ROCPRIM_400000_NS6detail17trampoline_kernelINS0_14default_configENS1_25partition_config_selectorILNS1_17partition_subalgoE0EsNS0_10empty_typeEbEEZZNS1_14partition_implILS5_0ELb0ES3_jN6thrust23THRUST_200600_302600_NS6detail15normal_iteratorINSA_10device_ptrIsEEEEPS6_SG_NS0_5tupleIJSF_SF_EEENSH_IJSG_SG_EEES6_PlJ7is_evenIsEEEE10hipError_tPvRmT3_T4_T5_T6_T7_T9_mT8_P12ihipStream_tbDpT10_ENKUlT_T0_E_clISt17integral_constantIbLb1EES15_IbLb0EEEEDaS11_S12_EUlS11_E_NS1_11comp_targetILNS1_3genE4ELNS1_11target_archE910ELNS1_3gpuE8ELNS1_3repE0EEENS1_30default_config_static_selectorELNS0_4arch9wavefront6targetE1EEEvT1_,comdat
	.protected	_ZN7rocprim17ROCPRIM_400000_NS6detail17trampoline_kernelINS0_14default_configENS1_25partition_config_selectorILNS1_17partition_subalgoE0EsNS0_10empty_typeEbEEZZNS1_14partition_implILS5_0ELb0ES3_jN6thrust23THRUST_200600_302600_NS6detail15normal_iteratorINSA_10device_ptrIsEEEEPS6_SG_NS0_5tupleIJSF_SF_EEENSH_IJSG_SG_EEES6_PlJ7is_evenIsEEEE10hipError_tPvRmT3_T4_T5_T6_T7_T9_mT8_P12ihipStream_tbDpT10_ENKUlT_T0_E_clISt17integral_constantIbLb1EES15_IbLb0EEEEDaS11_S12_EUlS11_E_NS1_11comp_targetILNS1_3genE4ELNS1_11target_archE910ELNS1_3gpuE8ELNS1_3repE0EEENS1_30default_config_static_selectorELNS0_4arch9wavefront6targetE1EEEvT1_ ; -- Begin function _ZN7rocprim17ROCPRIM_400000_NS6detail17trampoline_kernelINS0_14default_configENS1_25partition_config_selectorILNS1_17partition_subalgoE0EsNS0_10empty_typeEbEEZZNS1_14partition_implILS5_0ELb0ES3_jN6thrust23THRUST_200600_302600_NS6detail15normal_iteratorINSA_10device_ptrIsEEEEPS6_SG_NS0_5tupleIJSF_SF_EEENSH_IJSG_SG_EEES6_PlJ7is_evenIsEEEE10hipError_tPvRmT3_T4_T5_T6_T7_T9_mT8_P12ihipStream_tbDpT10_ENKUlT_T0_E_clISt17integral_constantIbLb1EES15_IbLb0EEEEDaS11_S12_EUlS11_E_NS1_11comp_targetILNS1_3genE4ELNS1_11target_archE910ELNS1_3gpuE8ELNS1_3repE0EEENS1_30default_config_static_selectorELNS0_4arch9wavefront6targetE1EEEvT1_
	.globl	_ZN7rocprim17ROCPRIM_400000_NS6detail17trampoline_kernelINS0_14default_configENS1_25partition_config_selectorILNS1_17partition_subalgoE0EsNS0_10empty_typeEbEEZZNS1_14partition_implILS5_0ELb0ES3_jN6thrust23THRUST_200600_302600_NS6detail15normal_iteratorINSA_10device_ptrIsEEEEPS6_SG_NS0_5tupleIJSF_SF_EEENSH_IJSG_SG_EEES6_PlJ7is_evenIsEEEE10hipError_tPvRmT3_T4_T5_T6_T7_T9_mT8_P12ihipStream_tbDpT10_ENKUlT_T0_E_clISt17integral_constantIbLb1EES15_IbLb0EEEEDaS11_S12_EUlS11_E_NS1_11comp_targetILNS1_3genE4ELNS1_11target_archE910ELNS1_3gpuE8ELNS1_3repE0EEENS1_30default_config_static_selectorELNS0_4arch9wavefront6targetE1EEEvT1_
	.p2align	8
	.type	_ZN7rocprim17ROCPRIM_400000_NS6detail17trampoline_kernelINS0_14default_configENS1_25partition_config_selectorILNS1_17partition_subalgoE0EsNS0_10empty_typeEbEEZZNS1_14partition_implILS5_0ELb0ES3_jN6thrust23THRUST_200600_302600_NS6detail15normal_iteratorINSA_10device_ptrIsEEEEPS6_SG_NS0_5tupleIJSF_SF_EEENSH_IJSG_SG_EEES6_PlJ7is_evenIsEEEE10hipError_tPvRmT3_T4_T5_T6_T7_T9_mT8_P12ihipStream_tbDpT10_ENKUlT_T0_E_clISt17integral_constantIbLb1EES15_IbLb0EEEEDaS11_S12_EUlS11_E_NS1_11comp_targetILNS1_3genE4ELNS1_11target_archE910ELNS1_3gpuE8ELNS1_3repE0EEENS1_30default_config_static_selectorELNS0_4arch9wavefront6targetE1EEEvT1_,@function
_ZN7rocprim17ROCPRIM_400000_NS6detail17trampoline_kernelINS0_14default_configENS1_25partition_config_selectorILNS1_17partition_subalgoE0EsNS0_10empty_typeEbEEZZNS1_14partition_implILS5_0ELb0ES3_jN6thrust23THRUST_200600_302600_NS6detail15normal_iteratorINSA_10device_ptrIsEEEEPS6_SG_NS0_5tupleIJSF_SF_EEENSH_IJSG_SG_EEES6_PlJ7is_evenIsEEEE10hipError_tPvRmT3_T4_T5_T6_T7_T9_mT8_P12ihipStream_tbDpT10_ENKUlT_T0_E_clISt17integral_constantIbLb1EES15_IbLb0EEEEDaS11_S12_EUlS11_E_NS1_11comp_targetILNS1_3genE4ELNS1_11target_archE910ELNS1_3gpuE8ELNS1_3repE0EEENS1_30default_config_static_selectorELNS0_4arch9wavefront6targetE1EEEvT1_: ; @_ZN7rocprim17ROCPRIM_400000_NS6detail17trampoline_kernelINS0_14default_configENS1_25partition_config_selectorILNS1_17partition_subalgoE0EsNS0_10empty_typeEbEEZZNS1_14partition_implILS5_0ELb0ES3_jN6thrust23THRUST_200600_302600_NS6detail15normal_iteratorINSA_10device_ptrIsEEEEPS6_SG_NS0_5tupleIJSF_SF_EEENSH_IJSG_SG_EEES6_PlJ7is_evenIsEEEE10hipError_tPvRmT3_T4_T5_T6_T7_T9_mT8_P12ihipStream_tbDpT10_ENKUlT_T0_E_clISt17integral_constantIbLb1EES15_IbLb0EEEEDaS11_S12_EUlS11_E_NS1_11comp_targetILNS1_3genE4ELNS1_11target_archE910ELNS1_3gpuE8ELNS1_3repE0EEENS1_30default_config_static_selectorELNS0_4arch9wavefront6targetE1EEEvT1_
; %bb.0:
	.section	.rodata,"a",@progbits
	.p2align	6, 0x0
	.amdhsa_kernel _ZN7rocprim17ROCPRIM_400000_NS6detail17trampoline_kernelINS0_14default_configENS1_25partition_config_selectorILNS1_17partition_subalgoE0EsNS0_10empty_typeEbEEZZNS1_14partition_implILS5_0ELb0ES3_jN6thrust23THRUST_200600_302600_NS6detail15normal_iteratorINSA_10device_ptrIsEEEEPS6_SG_NS0_5tupleIJSF_SF_EEENSH_IJSG_SG_EEES6_PlJ7is_evenIsEEEE10hipError_tPvRmT3_T4_T5_T6_T7_T9_mT8_P12ihipStream_tbDpT10_ENKUlT_T0_E_clISt17integral_constantIbLb1EES15_IbLb0EEEEDaS11_S12_EUlS11_E_NS1_11comp_targetILNS1_3genE4ELNS1_11target_archE910ELNS1_3gpuE8ELNS1_3repE0EEENS1_30default_config_static_selectorELNS0_4arch9wavefront6targetE1EEEvT1_
		.amdhsa_group_segment_fixed_size 0
		.amdhsa_private_segment_fixed_size 0
		.amdhsa_kernarg_size 120
		.amdhsa_user_sgpr_count 2
		.amdhsa_user_sgpr_dispatch_ptr 0
		.amdhsa_user_sgpr_queue_ptr 0
		.amdhsa_user_sgpr_kernarg_segment_ptr 1
		.amdhsa_user_sgpr_dispatch_id 0
		.amdhsa_user_sgpr_kernarg_preload_length 0
		.amdhsa_user_sgpr_kernarg_preload_offset 0
		.amdhsa_user_sgpr_private_segment_size 0
		.amdhsa_uses_dynamic_stack 0
		.amdhsa_enable_private_segment 0
		.amdhsa_system_sgpr_workgroup_id_x 1
		.amdhsa_system_sgpr_workgroup_id_y 0
		.amdhsa_system_sgpr_workgroup_id_z 0
		.amdhsa_system_sgpr_workgroup_info 0
		.amdhsa_system_vgpr_workitem_id 0
		.amdhsa_next_free_vgpr 1
		.amdhsa_next_free_sgpr 0
		.amdhsa_accum_offset 4
		.amdhsa_reserve_vcc 0
		.amdhsa_float_round_mode_32 0
		.amdhsa_float_round_mode_16_64 0
		.amdhsa_float_denorm_mode_32 3
		.amdhsa_float_denorm_mode_16_64 3
		.amdhsa_dx10_clamp 1
		.amdhsa_ieee_mode 1
		.amdhsa_fp16_overflow 0
		.amdhsa_tg_split 0
		.amdhsa_exception_fp_ieee_invalid_op 0
		.amdhsa_exception_fp_denorm_src 0
		.amdhsa_exception_fp_ieee_div_zero 0
		.amdhsa_exception_fp_ieee_overflow 0
		.amdhsa_exception_fp_ieee_underflow 0
		.amdhsa_exception_fp_ieee_inexact 0
		.amdhsa_exception_int_div_zero 0
	.end_amdhsa_kernel
	.section	.text._ZN7rocprim17ROCPRIM_400000_NS6detail17trampoline_kernelINS0_14default_configENS1_25partition_config_selectorILNS1_17partition_subalgoE0EsNS0_10empty_typeEbEEZZNS1_14partition_implILS5_0ELb0ES3_jN6thrust23THRUST_200600_302600_NS6detail15normal_iteratorINSA_10device_ptrIsEEEEPS6_SG_NS0_5tupleIJSF_SF_EEENSH_IJSG_SG_EEES6_PlJ7is_evenIsEEEE10hipError_tPvRmT3_T4_T5_T6_T7_T9_mT8_P12ihipStream_tbDpT10_ENKUlT_T0_E_clISt17integral_constantIbLb1EES15_IbLb0EEEEDaS11_S12_EUlS11_E_NS1_11comp_targetILNS1_3genE4ELNS1_11target_archE910ELNS1_3gpuE8ELNS1_3repE0EEENS1_30default_config_static_selectorELNS0_4arch9wavefront6targetE1EEEvT1_,"axG",@progbits,_ZN7rocprim17ROCPRIM_400000_NS6detail17trampoline_kernelINS0_14default_configENS1_25partition_config_selectorILNS1_17partition_subalgoE0EsNS0_10empty_typeEbEEZZNS1_14partition_implILS5_0ELb0ES3_jN6thrust23THRUST_200600_302600_NS6detail15normal_iteratorINSA_10device_ptrIsEEEEPS6_SG_NS0_5tupleIJSF_SF_EEENSH_IJSG_SG_EEES6_PlJ7is_evenIsEEEE10hipError_tPvRmT3_T4_T5_T6_T7_T9_mT8_P12ihipStream_tbDpT10_ENKUlT_T0_E_clISt17integral_constantIbLb1EES15_IbLb0EEEEDaS11_S12_EUlS11_E_NS1_11comp_targetILNS1_3genE4ELNS1_11target_archE910ELNS1_3gpuE8ELNS1_3repE0EEENS1_30default_config_static_selectorELNS0_4arch9wavefront6targetE1EEEvT1_,comdat
.Lfunc_end371:
	.size	_ZN7rocprim17ROCPRIM_400000_NS6detail17trampoline_kernelINS0_14default_configENS1_25partition_config_selectorILNS1_17partition_subalgoE0EsNS0_10empty_typeEbEEZZNS1_14partition_implILS5_0ELb0ES3_jN6thrust23THRUST_200600_302600_NS6detail15normal_iteratorINSA_10device_ptrIsEEEEPS6_SG_NS0_5tupleIJSF_SF_EEENSH_IJSG_SG_EEES6_PlJ7is_evenIsEEEE10hipError_tPvRmT3_T4_T5_T6_T7_T9_mT8_P12ihipStream_tbDpT10_ENKUlT_T0_E_clISt17integral_constantIbLb1EES15_IbLb0EEEEDaS11_S12_EUlS11_E_NS1_11comp_targetILNS1_3genE4ELNS1_11target_archE910ELNS1_3gpuE8ELNS1_3repE0EEENS1_30default_config_static_selectorELNS0_4arch9wavefront6targetE1EEEvT1_, .Lfunc_end371-_ZN7rocprim17ROCPRIM_400000_NS6detail17trampoline_kernelINS0_14default_configENS1_25partition_config_selectorILNS1_17partition_subalgoE0EsNS0_10empty_typeEbEEZZNS1_14partition_implILS5_0ELb0ES3_jN6thrust23THRUST_200600_302600_NS6detail15normal_iteratorINSA_10device_ptrIsEEEEPS6_SG_NS0_5tupleIJSF_SF_EEENSH_IJSG_SG_EEES6_PlJ7is_evenIsEEEE10hipError_tPvRmT3_T4_T5_T6_T7_T9_mT8_P12ihipStream_tbDpT10_ENKUlT_T0_E_clISt17integral_constantIbLb1EES15_IbLb0EEEEDaS11_S12_EUlS11_E_NS1_11comp_targetILNS1_3genE4ELNS1_11target_archE910ELNS1_3gpuE8ELNS1_3repE0EEENS1_30default_config_static_selectorELNS0_4arch9wavefront6targetE1EEEvT1_
                                        ; -- End function
	.section	.AMDGPU.csdata,"",@progbits
; Kernel info:
; codeLenInByte = 0
; NumSgprs: 6
; NumVgprs: 0
; NumAgprs: 0
; TotalNumVgprs: 0
; ScratchSize: 0
; MemoryBound: 0
; FloatMode: 240
; IeeeMode: 1
; LDSByteSize: 0 bytes/workgroup (compile time only)
; SGPRBlocks: 0
; VGPRBlocks: 0
; NumSGPRsForWavesPerEU: 6
; NumVGPRsForWavesPerEU: 1
; AccumOffset: 4
; Occupancy: 8
; WaveLimiterHint : 0
; COMPUTE_PGM_RSRC2:SCRATCH_EN: 0
; COMPUTE_PGM_RSRC2:USER_SGPR: 2
; COMPUTE_PGM_RSRC2:TRAP_HANDLER: 0
; COMPUTE_PGM_RSRC2:TGID_X_EN: 1
; COMPUTE_PGM_RSRC2:TGID_Y_EN: 0
; COMPUTE_PGM_RSRC2:TGID_Z_EN: 0
; COMPUTE_PGM_RSRC2:TIDIG_COMP_CNT: 0
; COMPUTE_PGM_RSRC3_GFX90A:ACCUM_OFFSET: 0
; COMPUTE_PGM_RSRC3_GFX90A:TG_SPLIT: 0
	.section	.text._ZN7rocprim17ROCPRIM_400000_NS6detail17trampoline_kernelINS0_14default_configENS1_25partition_config_selectorILNS1_17partition_subalgoE0EsNS0_10empty_typeEbEEZZNS1_14partition_implILS5_0ELb0ES3_jN6thrust23THRUST_200600_302600_NS6detail15normal_iteratorINSA_10device_ptrIsEEEEPS6_SG_NS0_5tupleIJSF_SF_EEENSH_IJSG_SG_EEES6_PlJ7is_evenIsEEEE10hipError_tPvRmT3_T4_T5_T6_T7_T9_mT8_P12ihipStream_tbDpT10_ENKUlT_T0_E_clISt17integral_constantIbLb1EES15_IbLb0EEEEDaS11_S12_EUlS11_E_NS1_11comp_targetILNS1_3genE3ELNS1_11target_archE908ELNS1_3gpuE7ELNS1_3repE0EEENS1_30default_config_static_selectorELNS0_4arch9wavefront6targetE1EEEvT1_,"axG",@progbits,_ZN7rocprim17ROCPRIM_400000_NS6detail17trampoline_kernelINS0_14default_configENS1_25partition_config_selectorILNS1_17partition_subalgoE0EsNS0_10empty_typeEbEEZZNS1_14partition_implILS5_0ELb0ES3_jN6thrust23THRUST_200600_302600_NS6detail15normal_iteratorINSA_10device_ptrIsEEEEPS6_SG_NS0_5tupleIJSF_SF_EEENSH_IJSG_SG_EEES6_PlJ7is_evenIsEEEE10hipError_tPvRmT3_T4_T5_T6_T7_T9_mT8_P12ihipStream_tbDpT10_ENKUlT_T0_E_clISt17integral_constantIbLb1EES15_IbLb0EEEEDaS11_S12_EUlS11_E_NS1_11comp_targetILNS1_3genE3ELNS1_11target_archE908ELNS1_3gpuE7ELNS1_3repE0EEENS1_30default_config_static_selectorELNS0_4arch9wavefront6targetE1EEEvT1_,comdat
	.protected	_ZN7rocprim17ROCPRIM_400000_NS6detail17trampoline_kernelINS0_14default_configENS1_25partition_config_selectorILNS1_17partition_subalgoE0EsNS0_10empty_typeEbEEZZNS1_14partition_implILS5_0ELb0ES3_jN6thrust23THRUST_200600_302600_NS6detail15normal_iteratorINSA_10device_ptrIsEEEEPS6_SG_NS0_5tupleIJSF_SF_EEENSH_IJSG_SG_EEES6_PlJ7is_evenIsEEEE10hipError_tPvRmT3_T4_T5_T6_T7_T9_mT8_P12ihipStream_tbDpT10_ENKUlT_T0_E_clISt17integral_constantIbLb1EES15_IbLb0EEEEDaS11_S12_EUlS11_E_NS1_11comp_targetILNS1_3genE3ELNS1_11target_archE908ELNS1_3gpuE7ELNS1_3repE0EEENS1_30default_config_static_selectorELNS0_4arch9wavefront6targetE1EEEvT1_ ; -- Begin function _ZN7rocprim17ROCPRIM_400000_NS6detail17trampoline_kernelINS0_14default_configENS1_25partition_config_selectorILNS1_17partition_subalgoE0EsNS0_10empty_typeEbEEZZNS1_14partition_implILS5_0ELb0ES3_jN6thrust23THRUST_200600_302600_NS6detail15normal_iteratorINSA_10device_ptrIsEEEEPS6_SG_NS0_5tupleIJSF_SF_EEENSH_IJSG_SG_EEES6_PlJ7is_evenIsEEEE10hipError_tPvRmT3_T4_T5_T6_T7_T9_mT8_P12ihipStream_tbDpT10_ENKUlT_T0_E_clISt17integral_constantIbLb1EES15_IbLb0EEEEDaS11_S12_EUlS11_E_NS1_11comp_targetILNS1_3genE3ELNS1_11target_archE908ELNS1_3gpuE7ELNS1_3repE0EEENS1_30default_config_static_selectorELNS0_4arch9wavefront6targetE1EEEvT1_
	.globl	_ZN7rocprim17ROCPRIM_400000_NS6detail17trampoline_kernelINS0_14default_configENS1_25partition_config_selectorILNS1_17partition_subalgoE0EsNS0_10empty_typeEbEEZZNS1_14partition_implILS5_0ELb0ES3_jN6thrust23THRUST_200600_302600_NS6detail15normal_iteratorINSA_10device_ptrIsEEEEPS6_SG_NS0_5tupleIJSF_SF_EEENSH_IJSG_SG_EEES6_PlJ7is_evenIsEEEE10hipError_tPvRmT3_T4_T5_T6_T7_T9_mT8_P12ihipStream_tbDpT10_ENKUlT_T0_E_clISt17integral_constantIbLb1EES15_IbLb0EEEEDaS11_S12_EUlS11_E_NS1_11comp_targetILNS1_3genE3ELNS1_11target_archE908ELNS1_3gpuE7ELNS1_3repE0EEENS1_30default_config_static_selectorELNS0_4arch9wavefront6targetE1EEEvT1_
	.p2align	8
	.type	_ZN7rocprim17ROCPRIM_400000_NS6detail17trampoline_kernelINS0_14default_configENS1_25partition_config_selectorILNS1_17partition_subalgoE0EsNS0_10empty_typeEbEEZZNS1_14partition_implILS5_0ELb0ES3_jN6thrust23THRUST_200600_302600_NS6detail15normal_iteratorINSA_10device_ptrIsEEEEPS6_SG_NS0_5tupleIJSF_SF_EEENSH_IJSG_SG_EEES6_PlJ7is_evenIsEEEE10hipError_tPvRmT3_T4_T5_T6_T7_T9_mT8_P12ihipStream_tbDpT10_ENKUlT_T0_E_clISt17integral_constantIbLb1EES15_IbLb0EEEEDaS11_S12_EUlS11_E_NS1_11comp_targetILNS1_3genE3ELNS1_11target_archE908ELNS1_3gpuE7ELNS1_3repE0EEENS1_30default_config_static_selectorELNS0_4arch9wavefront6targetE1EEEvT1_,@function
_ZN7rocprim17ROCPRIM_400000_NS6detail17trampoline_kernelINS0_14default_configENS1_25partition_config_selectorILNS1_17partition_subalgoE0EsNS0_10empty_typeEbEEZZNS1_14partition_implILS5_0ELb0ES3_jN6thrust23THRUST_200600_302600_NS6detail15normal_iteratorINSA_10device_ptrIsEEEEPS6_SG_NS0_5tupleIJSF_SF_EEENSH_IJSG_SG_EEES6_PlJ7is_evenIsEEEE10hipError_tPvRmT3_T4_T5_T6_T7_T9_mT8_P12ihipStream_tbDpT10_ENKUlT_T0_E_clISt17integral_constantIbLb1EES15_IbLb0EEEEDaS11_S12_EUlS11_E_NS1_11comp_targetILNS1_3genE3ELNS1_11target_archE908ELNS1_3gpuE7ELNS1_3repE0EEENS1_30default_config_static_selectorELNS0_4arch9wavefront6targetE1EEEvT1_: ; @_ZN7rocprim17ROCPRIM_400000_NS6detail17trampoline_kernelINS0_14default_configENS1_25partition_config_selectorILNS1_17partition_subalgoE0EsNS0_10empty_typeEbEEZZNS1_14partition_implILS5_0ELb0ES3_jN6thrust23THRUST_200600_302600_NS6detail15normal_iteratorINSA_10device_ptrIsEEEEPS6_SG_NS0_5tupleIJSF_SF_EEENSH_IJSG_SG_EEES6_PlJ7is_evenIsEEEE10hipError_tPvRmT3_T4_T5_T6_T7_T9_mT8_P12ihipStream_tbDpT10_ENKUlT_T0_E_clISt17integral_constantIbLb1EES15_IbLb0EEEEDaS11_S12_EUlS11_E_NS1_11comp_targetILNS1_3genE3ELNS1_11target_archE908ELNS1_3gpuE7ELNS1_3repE0EEENS1_30default_config_static_selectorELNS0_4arch9wavefront6targetE1EEEvT1_
; %bb.0:
	.section	.rodata,"a",@progbits
	.p2align	6, 0x0
	.amdhsa_kernel _ZN7rocprim17ROCPRIM_400000_NS6detail17trampoline_kernelINS0_14default_configENS1_25partition_config_selectorILNS1_17partition_subalgoE0EsNS0_10empty_typeEbEEZZNS1_14partition_implILS5_0ELb0ES3_jN6thrust23THRUST_200600_302600_NS6detail15normal_iteratorINSA_10device_ptrIsEEEEPS6_SG_NS0_5tupleIJSF_SF_EEENSH_IJSG_SG_EEES6_PlJ7is_evenIsEEEE10hipError_tPvRmT3_T4_T5_T6_T7_T9_mT8_P12ihipStream_tbDpT10_ENKUlT_T0_E_clISt17integral_constantIbLb1EES15_IbLb0EEEEDaS11_S12_EUlS11_E_NS1_11comp_targetILNS1_3genE3ELNS1_11target_archE908ELNS1_3gpuE7ELNS1_3repE0EEENS1_30default_config_static_selectorELNS0_4arch9wavefront6targetE1EEEvT1_
		.amdhsa_group_segment_fixed_size 0
		.amdhsa_private_segment_fixed_size 0
		.amdhsa_kernarg_size 120
		.amdhsa_user_sgpr_count 2
		.amdhsa_user_sgpr_dispatch_ptr 0
		.amdhsa_user_sgpr_queue_ptr 0
		.amdhsa_user_sgpr_kernarg_segment_ptr 1
		.amdhsa_user_sgpr_dispatch_id 0
		.amdhsa_user_sgpr_kernarg_preload_length 0
		.amdhsa_user_sgpr_kernarg_preload_offset 0
		.amdhsa_user_sgpr_private_segment_size 0
		.amdhsa_uses_dynamic_stack 0
		.amdhsa_enable_private_segment 0
		.amdhsa_system_sgpr_workgroup_id_x 1
		.amdhsa_system_sgpr_workgroup_id_y 0
		.amdhsa_system_sgpr_workgroup_id_z 0
		.amdhsa_system_sgpr_workgroup_info 0
		.amdhsa_system_vgpr_workitem_id 0
		.amdhsa_next_free_vgpr 1
		.amdhsa_next_free_sgpr 0
		.amdhsa_accum_offset 4
		.amdhsa_reserve_vcc 0
		.amdhsa_float_round_mode_32 0
		.amdhsa_float_round_mode_16_64 0
		.amdhsa_float_denorm_mode_32 3
		.amdhsa_float_denorm_mode_16_64 3
		.amdhsa_dx10_clamp 1
		.amdhsa_ieee_mode 1
		.amdhsa_fp16_overflow 0
		.amdhsa_tg_split 0
		.amdhsa_exception_fp_ieee_invalid_op 0
		.amdhsa_exception_fp_denorm_src 0
		.amdhsa_exception_fp_ieee_div_zero 0
		.amdhsa_exception_fp_ieee_overflow 0
		.amdhsa_exception_fp_ieee_underflow 0
		.amdhsa_exception_fp_ieee_inexact 0
		.amdhsa_exception_int_div_zero 0
	.end_amdhsa_kernel
	.section	.text._ZN7rocprim17ROCPRIM_400000_NS6detail17trampoline_kernelINS0_14default_configENS1_25partition_config_selectorILNS1_17partition_subalgoE0EsNS0_10empty_typeEbEEZZNS1_14partition_implILS5_0ELb0ES3_jN6thrust23THRUST_200600_302600_NS6detail15normal_iteratorINSA_10device_ptrIsEEEEPS6_SG_NS0_5tupleIJSF_SF_EEENSH_IJSG_SG_EEES6_PlJ7is_evenIsEEEE10hipError_tPvRmT3_T4_T5_T6_T7_T9_mT8_P12ihipStream_tbDpT10_ENKUlT_T0_E_clISt17integral_constantIbLb1EES15_IbLb0EEEEDaS11_S12_EUlS11_E_NS1_11comp_targetILNS1_3genE3ELNS1_11target_archE908ELNS1_3gpuE7ELNS1_3repE0EEENS1_30default_config_static_selectorELNS0_4arch9wavefront6targetE1EEEvT1_,"axG",@progbits,_ZN7rocprim17ROCPRIM_400000_NS6detail17trampoline_kernelINS0_14default_configENS1_25partition_config_selectorILNS1_17partition_subalgoE0EsNS0_10empty_typeEbEEZZNS1_14partition_implILS5_0ELb0ES3_jN6thrust23THRUST_200600_302600_NS6detail15normal_iteratorINSA_10device_ptrIsEEEEPS6_SG_NS0_5tupleIJSF_SF_EEENSH_IJSG_SG_EEES6_PlJ7is_evenIsEEEE10hipError_tPvRmT3_T4_T5_T6_T7_T9_mT8_P12ihipStream_tbDpT10_ENKUlT_T0_E_clISt17integral_constantIbLb1EES15_IbLb0EEEEDaS11_S12_EUlS11_E_NS1_11comp_targetILNS1_3genE3ELNS1_11target_archE908ELNS1_3gpuE7ELNS1_3repE0EEENS1_30default_config_static_selectorELNS0_4arch9wavefront6targetE1EEEvT1_,comdat
.Lfunc_end372:
	.size	_ZN7rocprim17ROCPRIM_400000_NS6detail17trampoline_kernelINS0_14default_configENS1_25partition_config_selectorILNS1_17partition_subalgoE0EsNS0_10empty_typeEbEEZZNS1_14partition_implILS5_0ELb0ES3_jN6thrust23THRUST_200600_302600_NS6detail15normal_iteratorINSA_10device_ptrIsEEEEPS6_SG_NS0_5tupleIJSF_SF_EEENSH_IJSG_SG_EEES6_PlJ7is_evenIsEEEE10hipError_tPvRmT3_T4_T5_T6_T7_T9_mT8_P12ihipStream_tbDpT10_ENKUlT_T0_E_clISt17integral_constantIbLb1EES15_IbLb0EEEEDaS11_S12_EUlS11_E_NS1_11comp_targetILNS1_3genE3ELNS1_11target_archE908ELNS1_3gpuE7ELNS1_3repE0EEENS1_30default_config_static_selectorELNS0_4arch9wavefront6targetE1EEEvT1_, .Lfunc_end372-_ZN7rocprim17ROCPRIM_400000_NS6detail17trampoline_kernelINS0_14default_configENS1_25partition_config_selectorILNS1_17partition_subalgoE0EsNS0_10empty_typeEbEEZZNS1_14partition_implILS5_0ELb0ES3_jN6thrust23THRUST_200600_302600_NS6detail15normal_iteratorINSA_10device_ptrIsEEEEPS6_SG_NS0_5tupleIJSF_SF_EEENSH_IJSG_SG_EEES6_PlJ7is_evenIsEEEE10hipError_tPvRmT3_T4_T5_T6_T7_T9_mT8_P12ihipStream_tbDpT10_ENKUlT_T0_E_clISt17integral_constantIbLb1EES15_IbLb0EEEEDaS11_S12_EUlS11_E_NS1_11comp_targetILNS1_3genE3ELNS1_11target_archE908ELNS1_3gpuE7ELNS1_3repE0EEENS1_30default_config_static_selectorELNS0_4arch9wavefront6targetE1EEEvT1_
                                        ; -- End function
	.section	.AMDGPU.csdata,"",@progbits
; Kernel info:
; codeLenInByte = 0
; NumSgprs: 6
; NumVgprs: 0
; NumAgprs: 0
; TotalNumVgprs: 0
; ScratchSize: 0
; MemoryBound: 0
; FloatMode: 240
; IeeeMode: 1
; LDSByteSize: 0 bytes/workgroup (compile time only)
; SGPRBlocks: 0
; VGPRBlocks: 0
; NumSGPRsForWavesPerEU: 6
; NumVGPRsForWavesPerEU: 1
; AccumOffset: 4
; Occupancy: 8
; WaveLimiterHint : 0
; COMPUTE_PGM_RSRC2:SCRATCH_EN: 0
; COMPUTE_PGM_RSRC2:USER_SGPR: 2
; COMPUTE_PGM_RSRC2:TRAP_HANDLER: 0
; COMPUTE_PGM_RSRC2:TGID_X_EN: 1
; COMPUTE_PGM_RSRC2:TGID_Y_EN: 0
; COMPUTE_PGM_RSRC2:TGID_Z_EN: 0
; COMPUTE_PGM_RSRC2:TIDIG_COMP_CNT: 0
; COMPUTE_PGM_RSRC3_GFX90A:ACCUM_OFFSET: 0
; COMPUTE_PGM_RSRC3_GFX90A:TG_SPLIT: 0
	.section	.text._ZN7rocprim17ROCPRIM_400000_NS6detail17trampoline_kernelINS0_14default_configENS1_25partition_config_selectorILNS1_17partition_subalgoE0EsNS0_10empty_typeEbEEZZNS1_14partition_implILS5_0ELb0ES3_jN6thrust23THRUST_200600_302600_NS6detail15normal_iteratorINSA_10device_ptrIsEEEEPS6_SG_NS0_5tupleIJSF_SF_EEENSH_IJSG_SG_EEES6_PlJ7is_evenIsEEEE10hipError_tPvRmT3_T4_T5_T6_T7_T9_mT8_P12ihipStream_tbDpT10_ENKUlT_T0_E_clISt17integral_constantIbLb1EES15_IbLb0EEEEDaS11_S12_EUlS11_E_NS1_11comp_targetILNS1_3genE2ELNS1_11target_archE906ELNS1_3gpuE6ELNS1_3repE0EEENS1_30default_config_static_selectorELNS0_4arch9wavefront6targetE1EEEvT1_,"axG",@progbits,_ZN7rocprim17ROCPRIM_400000_NS6detail17trampoline_kernelINS0_14default_configENS1_25partition_config_selectorILNS1_17partition_subalgoE0EsNS0_10empty_typeEbEEZZNS1_14partition_implILS5_0ELb0ES3_jN6thrust23THRUST_200600_302600_NS6detail15normal_iteratorINSA_10device_ptrIsEEEEPS6_SG_NS0_5tupleIJSF_SF_EEENSH_IJSG_SG_EEES6_PlJ7is_evenIsEEEE10hipError_tPvRmT3_T4_T5_T6_T7_T9_mT8_P12ihipStream_tbDpT10_ENKUlT_T0_E_clISt17integral_constantIbLb1EES15_IbLb0EEEEDaS11_S12_EUlS11_E_NS1_11comp_targetILNS1_3genE2ELNS1_11target_archE906ELNS1_3gpuE6ELNS1_3repE0EEENS1_30default_config_static_selectorELNS0_4arch9wavefront6targetE1EEEvT1_,comdat
	.protected	_ZN7rocprim17ROCPRIM_400000_NS6detail17trampoline_kernelINS0_14default_configENS1_25partition_config_selectorILNS1_17partition_subalgoE0EsNS0_10empty_typeEbEEZZNS1_14partition_implILS5_0ELb0ES3_jN6thrust23THRUST_200600_302600_NS6detail15normal_iteratorINSA_10device_ptrIsEEEEPS6_SG_NS0_5tupleIJSF_SF_EEENSH_IJSG_SG_EEES6_PlJ7is_evenIsEEEE10hipError_tPvRmT3_T4_T5_T6_T7_T9_mT8_P12ihipStream_tbDpT10_ENKUlT_T0_E_clISt17integral_constantIbLb1EES15_IbLb0EEEEDaS11_S12_EUlS11_E_NS1_11comp_targetILNS1_3genE2ELNS1_11target_archE906ELNS1_3gpuE6ELNS1_3repE0EEENS1_30default_config_static_selectorELNS0_4arch9wavefront6targetE1EEEvT1_ ; -- Begin function _ZN7rocprim17ROCPRIM_400000_NS6detail17trampoline_kernelINS0_14default_configENS1_25partition_config_selectorILNS1_17partition_subalgoE0EsNS0_10empty_typeEbEEZZNS1_14partition_implILS5_0ELb0ES3_jN6thrust23THRUST_200600_302600_NS6detail15normal_iteratorINSA_10device_ptrIsEEEEPS6_SG_NS0_5tupleIJSF_SF_EEENSH_IJSG_SG_EEES6_PlJ7is_evenIsEEEE10hipError_tPvRmT3_T4_T5_T6_T7_T9_mT8_P12ihipStream_tbDpT10_ENKUlT_T0_E_clISt17integral_constantIbLb1EES15_IbLb0EEEEDaS11_S12_EUlS11_E_NS1_11comp_targetILNS1_3genE2ELNS1_11target_archE906ELNS1_3gpuE6ELNS1_3repE0EEENS1_30default_config_static_selectorELNS0_4arch9wavefront6targetE1EEEvT1_
	.globl	_ZN7rocprim17ROCPRIM_400000_NS6detail17trampoline_kernelINS0_14default_configENS1_25partition_config_selectorILNS1_17partition_subalgoE0EsNS0_10empty_typeEbEEZZNS1_14partition_implILS5_0ELb0ES3_jN6thrust23THRUST_200600_302600_NS6detail15normal_iteratorINSA_10device_ptrIsEEEEPS6_SG_NS0_5tupleIJSF_SF_EEENSH_IJSG_SG_EEES6_PlJ7is_evenIsEEEE10hipError_tPvRmT3_T4_T5_T6_T7_T9_mT8_P12ihipStream_tbDpT10_ENKUlT_T0_E_clISt17integral_constantIbLb1EES15_IbLb0EEEEDaS11_S12_EUlS11_E_NS1_11comp_targetILNS1_3genE2ELNS1_11target_archE906ELNS1_3gpuE6ELNS1_3repE0EEENS1_30default_config_static_selectorELNS0_4arch9wavefront6targetE1EEEvT1_
	.p2align	8
	.type	_ZN7rocprim17ROCPRIM_400000_NS6detail17trampoline_kernelINS0_14default_configENS1_25partition_config_selectorILNS1_17partition_subalgoE0EsNS0_10empty_typeEbEEZZNS1_14partition_implILS5_0ELb0ES3_jN6thrust23THRUST_200600_302600_NS6detail15normal_iteratorINSA_10device_ptrIsEEEEPS6_SG_NS0_5tupleIJSF_SF_EEENSH_IJSG_SG_EEES6_PlJ7is_evenIsEEEE10hipError_tPvRmT3_T4_T5_T6_T7_T9_mT8_P12ihipStream_tbDpT10_ENKUlT_T0_E_clISt17integral_constantIbLb1EES15_IbLb0EEEEDaS11_S12_EUlS11_E_NS1_11comp_targetILNS1_3genE2ELNS1_11target_archE906ELNS1_3gpuE6ELNS1_3repE0EEENS1_30default_config_static_selectorELNS0_4arch9wavefront6targetE1EEEvT1_,@function
_ZN7rocprim17ROCPRIM_400000_NS6detail17trampoline_kernelINS0_14default_configENS1_25partition_config_selectorILNS1_17partition_subalgoE0EsNS0_10empty_typeEbEEZZNS1_14partition_implILS5_0ELb0ES3_jN6thrust23THRUST_200600_302600_NS6detail15normal_iteratorINSA_10device_ptrIsEEEEPS6_SG_NS0_5tupleIJSF_SF_EEENSH_IJSG_SG_EEES6_PlJ7is_evenIsEEEE10hipError_tPvRmT3_T4_T5_T6_T7_T9_mT8_P12ihipStream_tbDpT10_ENKUlT_T0_E_clISt17integral_constantIbLb1EES15_IbLb0EEEEDaS11_S12_EUlS11_E_NS1_11comp_targetILNS1_3genE2ELNS1_11target_archE906ELNS1_3gpuE6ELNS1_3repE0EEENS1_30default_config_static_selectorELNS0_4arch9wavefront6targetE1EEEvT1_: ; @_ZN7rocprim17ROCPRIM_400000_NS6detail17trampoline_kernelINS0_14default_configENS1_25partition_config_selectorILNS1_17partition_subalgoE0EsNS0_10empty_typeEbEEZZNS1_14partition_implILS5_0ELb0ES3_jN6thrust23THRUST_200600_302600_NS6detail15normal_iteratorINSA_10device_ptrIsEEEEPS6_SG_NS0_5tupleIJSF_SF_EEENSH_IJSG_SG_EEES6_PlJ7is_evenIsEEEE10hipError_tPvRmT3_T4_T5_T6_T7_T9_mT8_P12ihipStream_tbDpT10_ENKUlT_T0_E_clISt17integral_constantIbLb1EES15_IbLb0EEEEDaS11_S12_EUlS11_E_NS1_11comp_targetILNS1_3genE2ELNS1_11target_archE906ELNS1_3gpuE6ELNS1_3repE0EEENS1_30default_config_static_selectorELNS0_4arch9wavefront6targetE1EEEvT1_
; %bb.0:
	.section	.rodata,"a",@progbits
	.p2align	6, 0x0
	.amdhsa_kernel _ZN7rocprim17ROCPRIM_400000_NS6detail17trampoline_kernelINS0_14default_configENS1_25partition_config_selectorILNS1_17partition_subalgoE0EsNS0_10empty_typeEbEEZZNS1_14partition_implILS5_0ELb0ES3_jN6thrust23THRUST_200600_302600_NS6detail15normal_iteratorINSA_10device_ptrIsEEEEPS6_SG_NS0_5tupleIJSF_SF_EEENSH_IJSG_SG_EEES6_PlJ7is_evenIsEEEE10hipError_tPvRmT3_T4_T5_T6_T7_T9_mT8_P12ihipStream_tbDpT10_ENKUlT_T0_E_clISt17integral_constantIbLb1EES15_IbLb0EEEEDaS11_S12_EUlS11_E_NS1_11comp_targetILNS1_3genE2ELNS1_11target_archE906ELNS1_3gpuE6ELNS1_3repE0EEENS1_30default_config_static_selectorELNS0_4arch9wavefront6targetE1EEEvT1_
		.amdhsa_group_segment_fixed_size 0
		.amdhsa_private_segment_fixed_size 0
		.amdhsa_kernarg_size 120
		.amdhsa_user_sgpr_count 2
		.amdhsa_user_sgpr_dispatch_ptr 0
		.amdhsa_user_sgpr_queue_ptr 0
		.amdhsa_user_sgpr_kernarg_segment_ptr 1
		.amdhsa_user_sgpr_dispatch_id 0
		.amdhsa_user_sgpr_kernarg_preload_length 0
		.amdhsa_user_sgpr_kernarg_preload_offset 0
		.amdhsa_user_sgpr_private_segment_size 0
		.amdhsa_uses_dynamic_stack 0
		.amdhsa_enable_private_segment 0
		.amdhsa_system_sgpr_workgroup_id_x 1
		.amdhsa_system_sgpr_workgroup_id_y 0
		.amdhsa_system_sgpr_workgroup_id_z 0
		.amdhsa_system_sgpr_workgroup_info 0
		.amdhsa_system_vgpr_workitem_id 0
		.amdhsa_next_free_vgpr 1
		.amdhsa_next_free_sgpr 0
		.amdhsa_accum_offset 4
		.amdhsa_reserve_vcc 0
		.amdhsa_float_round_mode_32 0
		.amdhsa_float_round_mode_16_64 0
		.amdhsa_float_denorm_mode_32 3
		.amdhsa_float_denorm_mode_16_64 3
		.amdhsa_dx10_clamp 1
		.amdhsa_ieee_mode 1
		.amdhsa_fp16_overflow 0
		.amdhsa_tg_split 0
		.amdhsa_exception_fp_ieee_invalid_op 0
		.amdhsa_exception_fp_denorm_src 0
		.amdhsa_exception_fp_ieee_div_zero 0
		.amdhsa_exception_fp_ieee_overflow 0
		.amdhsa_exception_fp_ieee_underflow 0
		.amdhsa_exception_fp_ieee_inexact 0
		.amdhsa_exception_int_div_zero 0
	.end_amdhsa_kernel
	.section	.text._ZN7rocprim17ROCPRIM_400000_NS6detail17trampoline_kernelINS0_14default_configENS1_25partition_config_selectorILNS1_17partition_subalgoE0EsNS0_10empty_typeEbEEZZNS1_14partition_implILS5_0ELb0ES3_jN6thrust23THRUST_200600_302600_NS6detail15normal_iteratorINSA_10device_ptrIsEEEEPS6_SG_NS0_5tupleIJSF_SF_EEENSH_IJSG_SG_EEES6_PlJ7is_evenIsEEEE10hipError_tPvRmT3_T4_T5_T6_T7_T9_mT8_P12ihipStream_tbDpT10_ENKUlT_T0_E_clISt17integral_constantIbLb1EES15_IbLb0EEEEDaS11_S12_EUlS11_E_NS1_11comp_targetILNS1_3genE2ELNS1_11target_archE906ELNS1_3gpuE6ELNS1_3repE0EEENS1_30default_config_static_selectorELNS0_4arch9wavefront6targetE1EEEvT1_,"axG",@progbits,_ZN7rocprim17ROCPRIM_400000_NS6detail17trampoline_kernelINS0_14default_configENS1_25partition_config_selectorILNS1_17partition_subalgoE0EsNS0_10empty_typeEbEEZZNS1_14partition_implILS5_0ELb0ES3_jN6thrust23THRUST_200600_302600_NS6detail15normal_iteratorINSA_10device_ptrIsEEEEPS6_SG_NS0_5tupleIJSF_SF_EEENSH_IJSG_SG_EEES6_PlJ7is_evenIsEEEE10hipError_tPvRmT3_T4_T5_T6_T7_T9_mT8_P12ihipStream_tbDpT10_ENKUlT_T0_E_clISt17integral_constantIbLb1EES15_IbLb0EEEEDaS11_S12_EUlS11_E_NS1_11comp_targetILNS1_3genE2ELNS1_11target_archE906ELNS1_3gpuE6ELNS1_3repE0EEENS1_30default_config_static_selectorELNS0_4arch9wavefront6targetE1EEEvT1_,comdat
.Lfunc_end373:
	.size	_ZN7rocprim17ROCPRIM_400000_NS6detail17trampoline_kernelINS0_14default_configENS1_25partition_config_selectorILNS1_17partition_subalgoE0EsNS0_10empty_typeEbEEZZNS1_14partition_implILS5_0ELb0ES3_jN6thrust23THRUST_200600_302600_NS6detail15normal_iteratorINSA_10device_ptrIsEEEEPS6_SG_NS0_5tupleIJSF_SF_EEENSH_IJSG_SG_EEES6_PlJ7is_evenIsEEEE10hipError_tPvRmT3_T4_T5_T6_T7_T9_mT8_P12ihipStream_tbDpT10_ENKUlT_T0_E_clISt17integral_constantIbLb1EES15_IbLb0EEEEDaS11_S12_EUlS11_E_NS1_11comp_targetILNS1_3genE2ELNS1_11target_archE906ELNS1_3gpuE6ELNS1_3repE0EEENS1_30default_config_static_selectorELNS0_4arch9wavefront6targetE1EEEvT1_, .Lfunc_end373-_ZN7rocprim17ROCPRIM_400000_NS6detail17trampoline_kernelINS0_14default_configENS1_25partition_config_selectorILNS1_17partition_subalgoE0EsNS0_10empty_typeEbEEZZNS1_14partition_implILS5_0ELb0ES3_jN6thrust23THRUST_200600_302600_NS6detail15normal_iteratorINSA_10device_ptrIsEEEEPS6_SG_NS0_5tupleIJSF_SF_EEENSH_IJSG_SG_EEES6_PlJ7is_evenIsEEEE10hipError_tPvRmT3_T4_T5_T6_T7_T9_mT8_P12ihipStream_tbDpT10_ENKUlT_T0_E_clISt17integral_constantIbLb1EES15_IbLb0EEEEDaS11_S12_EUlS11_E_NS1_11comp_targetILNS1_3genE2ELNS1_11target_archE906ELNS1_3gpuE6ELNS1_3repE0EEENS1_30default_config_static_selectorELNS0_4arch9wavefront6targetE1EEEvT1_
                                        ; -- End function
	.section	.AMDGPU.csdata,"",@progbits
; Kernel info:
; codeLenInByte = 0
; NumSgprs: 6
; NumVgprs: 0
; NumAgprs: 0
; TotalNumVgprs: 0
; ScratchSize: 0
; MemoryBound: 0
; FloatMode: 240
; IeeeMode: 1
; LDSByteSize: 0 bytes/workgroup (compile time only)
; SGPRBlocks: 0
; VGPRBlocks: 0
; NumSGPRsForWavesPerEU: 6
; NumVGPRsForWavesPerEU: 1
; AccumOffset: 4
; Occupancy: 8
; WaveLimiterHint : 0
; COMPUTE_PGM_RSRC2:SCRATCH_EN: 0
; COMPUTE_PGM_RSRC2:USER_SGPR: 2
; COMPUTE_PGM_RSRC2:TRAP_HANDLER: 0
; COMPUTE_PGM_RSRC2:TGID_X_EN: 1
; COMPUTE_PGM_RSRC2:TGID_Y_EN: 0
; COMPUTE_PGM_RSRC2:TGID_Z_EN: 0
; COMPUTE_PGM_RSRC2:TIDIG_COMP_CNT: 0
; COMPUTE_PGM_RSRC3_GFX90A:ACCUM_OFFSET: 0
; COMPUTE_PGM_RSRC3_GFX90A:TG_SPLIT: 0
	.section	.text._ZN7rocprim17ROCPRIM_400000_NS6detail17trampoline_kernelINS0_14default_configENS1_25partition_config_selectorILNS1_17partition_subalgoE0EsNS0_10empty_typeEbEEZZNS1_14partition_implILS5_0ELb0ES3_jN6thrust23THRUST_200600_302600_NS6detail15normal_iteratorINSA_10device_ptrIsEEEEPS6_SG_NS0_5tupleIJSF_SF_EEENSH_IJSG_SG_EEES6_PlJ7is_evenIsEEEE10hipError_tPvRmT3_T4_T5_T6_T7_T9_mT8_P12ihipStream_tbDpT10_ENKUlT_T0_E_clISt17integral_constantIbLb1EES15_IbLb0EEEEDaS11_S12_EUlS11_E_NS1_11comp_targetILNS1_3genE10ELNS1_11target_archE1200ELNS1_3gpuE4ELNS1_3repE0EEENS1_30default_config_static_selectorELNS0_4arch9wavefront6targetE1EEEvT1_,"axG",@progbits,_ZN7rocprim17ROCPRIM_400000_NS6detail17trampoline_kernelINS0_14default_configENS1_25partition_config_selectorILNS1_17partition_subalgoE0EsNS0_10empty_typeEbEEZZNS1_14partition_implILS5_0ELb0ES3_jN6thrust23THRUST_200600_302600_NS6detail15normal_iteratorINSA_10device_ptrIsEEEEPS6_SG_NS0_5tupleIJSF_SF_EEENSH_IJSG_SG_EEES6_PlJ7is_evenIsEEEE10hipError_tPvRmT3_T4_T5_T6_T7_T9_mT8_P12ihipStream_tbDpT10_ENKUlT_T0_E_clISt17integral_constantIbLb1EES15_IbLb0EEEEDaS11_S12_EUlS11_E_NS1_11comp_targetILNS1_3genE10ELNS1_11target_archE1200ELNS1_3gpuE4ELNS1_3repE0EEENS1_30default_config_static_selectorELNS0_4arch9wavefront6targetE1EEEvT1_,comdat
	.protected	_ZN7rocprim17ROCPRIM_400000_NS6detail17trampoline_kernelINS0_14default_configENS1_25partition_config_selectorILNS1_17partition_subalgoE0EsNS0_10empty_typeEbEEZZNS1_14partition_implILS5_0ELb0ES3_jN6thrust23THRUST_200600_302600_NS6detail15normal_iteratorINSA_10device_ptrIsEEEEPS6_SG_NS0_5tupleIJSF_SF_EEENSH_IJSG_SG_EEES6_PlJ7is_evenIsEEEE10hipError_tPvRmT3_T4_T5_T6_T7_T9_mT8_P12ihipStream_tbDpT10_ENKUlT_T0_E_clISt17integral_constantIbLb1EES15_IbLb0EEEEDaS11_S12_EUlS11_E_NS1_11comp_targetILNS1_3genE10ELNS1_11target_archE1200ELNS1_3gpuE4ELNS1_3repE0EEENS1_30default_config_static_selectorELNS0_4arch9wavefront6targetE1EEEvT1_ ; -- Begin function _ZN7rocprim17ROCPRIM_400000_NS6detail17trampoline_kernelINS0_14default_configENS1_25partition_config_selectorILNS1_17partition_subalgoE0EsNS0_10empty_typeEbEEZZNS1_14partition_implILS5_0ELb0ES3_jN6thrust23THRUST_200600_302600_NS6detail15normal_iteratorINSA_10device_ptrIsEEEEPS6_SG_NS0_5tupleIJSF_SF_EEENSH_IJSG_SG_EEES6_PlJ7is_evenIsEEEE10hipError_tPvRmT3_T4_T5_T6_T7_T9_mT8_P12ihipStream_tbDpT10_ENKUlT_T0_E_clISt17integral_constantIbLb1EES15_IbLb0EEEEDaS11_S12_EUlS11_E_NS1_11comp_targetILNS1_3genE10ELNS1_11target_archE1200ELNS1_3gpuE4ELNS1_3repE0EEENS1_30default_config_static_selectorELNS0_4arch9wavefront6targetE1EEEvT1_
	.globl	_ZN7rocprim17ROCPRIM_400000_NS6detail17trampoline_kernelINS0_14default_configENS1_25partition_config_selectorILNS1_17partition_subalgoE0EsNS0_10empty_typeEbEEZZNS1_14partition_implILS5_0ELb0ES3_jN6thrust23THRUST_200600_302600_NS6detail15normal_iteratorINSA_10device_ptrIsEEEEPS6_SG_NS0_5tupleIJSF_SF_EEENSH_IJSG_SG_EEES6_PlJ7is_evenIsEEEE10hipError_tPvRmT3_T4_T5_T6_T7_T9_mT8_P12ihipStream_tbDpT10_ENKUlT_T0_E_clISt17integral_constantIbLb1EES15_IbLb0EEEEDaS11_S12_EUlS11_E_NS1_11comp_targetILNS1_3genE10ELNS1_11target_archE1200ELNS1_3gpuE4ELNS1_3repE0EEENS1_30default_config_static_selectorELNS0_4arch9wavefront6targetE1EEEvT1_
	.p2align	8
	.type	_ZN7rocprim17ROCPRIM_400000_NS6detail17trampoline_kernelINS0_14default_configENS1_25partition_config_selectorILNS1_17partition_subalgoE0EsNS0_10empty_typeEbEEZZNS1_14partition_implILS5_0ELb0ES3_jN6thrust23THRUST_200600_302600_NS6detail15normal_iteratorINSA_10device_ptrIsEEEEPS6_SG_NS0_5tupleIJSF_SF_EEENSH_IJSG_SG_EEES6_PlJ7is_evenIsEEEE10hipError_tPvRmT3_T4_T5_T6_T7_T9_mT8_P12ihipStream_tbDpT10_ENKUlT_T0_E_clISt17integral_constantIbLb1EES15_IbLb0EEEEDaS11_S12_EUlS11_E_NS1_11comp_targetILNS1_3genE10ELNS1_11target_archE1200ELNS1_3gpuE4ELNS1_3repE0EEENS1_30default_config_static_selectorELNS0_4arch9wavefront6targetE1EEEvT1_,@function
_ZN7rocprim17ROCPRIM_400000_NS6detail17trampoline_kernelINS0_14default_configENS1_25partition_config_selectorILNS1_17partition_subalgoE0EsNS0_10empty_typeEbEEZZNS1_14partition_implILS5_0ELb0ES3_jN6thrust23THRUST_200600_302600_NS6detail15normal_iteratorINSA_10device_ptrIsEEEEPS6_SG_NS0_5tupleIJSF_SF_EEENSH_IJSG_SG_EEES6_PlJ7is_evenIsEEEE10hipError_tPvRmT3_T4_T5_T6_T7_T9_mT8_P12ihipStream_tbDpT10_ENKUlT_T0_E_clISt17integral_constantIbLb1EES15_IbLb0EEEEDaS11_S12_EUlS11_E_NS1_11comp_targetILNS1_3genE10ELNS1_11target_archE1200ELNS1_3gpuE4ELNS1_3repE0EEENS1_30default_config_static_selectorELNS0_4arch9wavefront6targetE1EEEvT1_: ; @_ZN7rocprim17ROCPRIM_400000_NS6detail17trampoline_kernelINS0_14default_configENS1_25partition_config_selectorILNS1_17partition_subalgoE0EsNS0_10empty_typeEbEEZZNS1_14partition_implILS5_0ELb0ES3_jN6thrust23THRUST_200600_302600_NS6detail15normal_iteratorINSA_10device_ptrIsEEEEPS6_SG_NS0_5tupleIJSF_SF_EEENSH_IJSG_SG_EEES6_PlJ7is_evenIsEEEE10hipError_tPvRmT3_T4_T5_T6_T7_T9_mT8_P12ihipStream_tbDpT10_ENKUlT_T0_E_clISt17integral_constantIbLb1EES15_IbLb0EEEEDaS11_S12_EUlS11_E_NS1_11comp_targetILNS1_3genE10ELNS1_11target_archE1200ELNS1_3gpuE4ELNS1_3repE0EEENS1_30default_config_static_selectorELNS0_4arch9wavefront6targetE1EEEvT1_
; %bb.0:
	.section	.rodata,"a",@progbits
	.p2align	6, 0x0
	.amdhsa_kernel _ZN7rocprim17ROCPRIM_400000_NS6detail17trampoline_kernelINS0_14default_configENS1_25partition_config_selectorILNS1_17partition_subalgoE0EsNS0_10empty_typeEbEEZZNS1_14partition_implILS5_0ELb0ES3_jN6thrust23THRUST_200600_302600_NS6detail15normal_iteratorINSA_10device_ptrIsEEEEPS6_SG_NS0_5tupleIJSF_SF_EEENSH_IJSG_SG_EEES6_PlJ7is_evenIsEEEE10hipError_tPvRmT3_T4_T5_T6_T7_T9_mT8_P12ihipStream_tbDpT10_ENKUlT_T0_E_clISt17integral_constantIbLb1EES15_IbLb0EEEEDaS11_S12_EUlS11_E_NS1_11comp_targetILNS1_3genE10ELNS1_11target_archE1200ELNS1_3gpuE4ELNS1_3repE0EEENS1_30default_config_static_selectorELNS0_4arch9wavefront6targetE1EEEvT1_
		.amdhsa_group_segment_fixed_size 0
		.amdhsa_private_segment_fixed_size 0
		.amdhsa_kernarg_size 120
		.amdhsa_user_sgpr_count 2
		.amdhsa_user_sgpr_dispatch_ptr 0
		.amdhsa_user_sgpr_queue_ptr 0
		.amdhsa_user_sgpr_kernarg_segment_ptr 1
		.amdhsa_user_sgpr_dispatch_id 0
		.amdhsa_user_sgpr_kernarg_preload_length 0
		.amdhsa_user_sgpr_kernarg_preload_offset 0
		.amdhsa_user_sgpr_private_segment_size 0
		.amdhsa_uses_dynamic_stack 0
		.amdhsa_enable_private_segment 0
		.amdhsa_system_sgpr_workgroup_id_x 1
		.amdhsa_system_sgpr_workgroup_id_y 0
		.amdhsa_system_sgpr_workgroup_id_z 0
		.amdhsa_system_sgpr_workgroup_info 0
		.amdhsa_system_vgpr_workitem_id 0
		.amdhsa_next_free_vgpr 1
		.amdhsa_next_free_sgpr 0
		.amdhsa_accum_offset 4
		.amdhsa_reserve_vcc 0
		.amdhsa_float_round_mode_32 0
		.amdhsa_float_round_mode_16_64 0
		.amdhsa_float_denorm_mode_32 3
		.amdhsa_float_denorm_mode_16_64 3
		.amdhsa_dx10_clamp 1
		.amdhsa_ieee_mode 1
		.amdhsa_fp16_overflow 0
		.amdhsa_tg_split 0
		.amdhsa_exception_fp_ieee_invalid_op 0
		.amdhsa_exception_fp_denorm_src 0
		.amdhsa_exception_fp_ieee_div_zero 0
		.amdhsa_exception_fp_ieee_overflow 0
		.amdhsa_exception_fp_ieee_underflow 0
		.amdhsa_exception_fp_ieee_inexact 0
		.amdhsa_exception_int_div_zero 0
	.end_amdhsa_kernel
	.section	.text._ZN7rocprim17ROCPRIM_400000_NS6detail17trampoline_kernelINS0_14default_configENS1_25partition_config_selectorILNS1_17partition_subalgoE0EsNS0_10empty_typeEbEEZZNS1_14partition_implILS5_0ELb0ES3_jN6thrust23THRUST_200600_302600_NS6detail15normal_iteratorINSA_10device_ptrIsEEEEPS6_SG_NS0_5tupleIJSF_SF_EEENSH_IJSG_SG_EEES6_PlJ7is_evenIsEEEE10hipError_tPvRmT3_T4_T5_T6_T7_T9_mT8_P12ihipStream_tbDpT10_ENKUlT_T0_E_clISt17integral_constantIbLb1EES15_IbLb0EEEEDaS11_S12_EUlS11_E_NS1_11comp_targetILNS1_3genE10ELNS1_11target_archE1200ELNS1_3gpuE4ELNS1_3repE0EEENS1_30default_config_static_selectorELNS0_4arch9wavefront6targetE1EEEvT1_,"axG",@progbits,_ZN7rocprim17ROCPRIM_400000_NS6detail17trampoline_kernelINS0_14default_configENS1_25partition_config_selectorILNS1_17partition_subalgoE0EsNS0_10empty_typeEbEEZZNS1_14partition_implILS5_0ELb0ES3_jN6thrust23THRUST_200600_302600_NS6detail15normal_iteratorINSA_10device_ptrIsEEEEPS6_SG_NS0_5tupleIJSF_SF_EEENSH_IJSG_SG_EEES6_PlJ7is_evenIsEEEE10hipError_tPvRmT3_T4_T5_T6_T7_T9_mT8_P12ihipStream_tbDpT10_ENKUlT_T0_E_clISt17integral_constantIbLb1EES15_IbLb0EEEEDaS11_S12_EUlS11_E_NS1_11comp_targetILNS1_3genE10ELNS1_11target_archE1200ELNS1_3gpuE4ELNS1_3repE0EEENS1_30default_config_static_selectorELNS0_4arch9wavefront6targetE1EEEvT1_,comdat
.Lfunc_end374:
	.size	_ZN7rocprim17ROCPRIM_400000_NS6detail17trampoline_kernelINS0_14default_configENS1_25partition_config_selectorILNS1_17partition_subalgoE0EsNS0_10empty_typeEbEEZZNS1_14partition_implILS5_0ELb0ES3_jN6thrust23THRUST_200600_302600_NS6detail15normal_iteratorINSA_10device_ptrIsEEEEPS6_SG_NS0_5tupleIJSF_SF_EEENSH_IJSG_SG_EEES6_PlJ7is_evenIsEEEE10hipError_tPvRmT3_T4_T5_T6_T7_T9_mT8_P12ihipStream_tbDpT10_ENKUlT_T0_E_clISt17integral_constantIbLb1EES15_IbLb0EEEEDaS11_S12_EUlS11_E_NS1_11comp_targetILNS1_3genE10ELNS1_11target_archE1200ELNS1_3gpuE4ELNS1_3repE0EEENS1_30default_config_static_selectorELNS0_4arch9wavefront6targetE1EEEvT1_, .Lfunc_end374-_ZN7rocprim17ROCPRIM_400000_NS6detail17trampoline_kernelINS0_14default_configENS1_25partition_config_selectorILNS1_17partition_subalgoE0EsNS0_10empty_typeEbEEZZNS1_14partition_implILS5_0ELb0ES3_jN6thrust23THRUST_200600_302600_NS6detail15normal_iteratorINSA_10device_ptrIsEEEEPS6_SG_NS0_5tupleIJSF_SF_EEENSH_IJSG_SG_EEES6_PlJ7is_evenIsEEEE10hipError_tPvRmT3_T4_T5_T6_T7_T9_mT8_P12ihipStream_tbDpT10_ENKUlT_T0_E_clISt17integral_constantIbLb1EES15_IbLb0EEEEDaS11_S12_EUlS11_E_NS1_11comp_targetILNS1_3genE10ELNS1_11target_archE1200ELNS1_3gpuE4ELNS1_3repE0EEENS1_30default_config_static_selectorELNS0_4arch9wavefront6targetE1EEEvT1_
                                        ; -- End function
	.section	.AMDGPU.csdata,"",@progbits
; Kernel info:
; codeLenInByte = 0
; NumSgprs: 6
; NumVgprs: 0
; NumAgprs: 0
; TotalNumVgprs: 0
; ScratchSize: 0
; MemoryBound: 0
; FloatMode: 240
; IeeeMode: 1
; LDSByteSize: 0 bytes/workgroup (compile time only)
; SGPRBlocks: 0
; VGPRBlocks: 0
; NumSGPRsForWavesPerEU: 6
; NumVGPRsForWavesPerEU: 1
; AccumOffset: 4
; Occupancy: 8
; WaveLimiterHint : 0
; COMPUTE_PGM_RSRC2:SCRATCH_EN: 0
; COMPUTE_PGM_RSRC2:USER_SGPR: 2
; COMPUTE_PGM_RSRC2:TRAP_HANDLER: 0
; COMPUTE_PGM_RSRC2:TGID_X_EN: 1
; COMPUTE_PGM_RSRC2:TGID_Y_EN: 0
; COMPUTE_PGM_RSRC2:TGID_Z_EN: 0
; COMPUTE_PGM_RSRC2:TIDIG_COMP_CNT: 0
; COMPUTE_PGM_RSRC3_GFX90A:ACCUM_OFFSET: 0
; COMPUTE_PGM_RSRC3_GFX90A:TG_SPLIT: 0
	.section	.text._ZN7rocprim17ROCPRIM_400000_NS6detail17trampoline_kernelINS0_14default_configENS1_25partition_config_selectorILNS1_17partition_subalgoE0EsNS0_10empty_typeEbEEZZNS1_14partition_implILS5_0ELb0ES3_jN6thrust23THRUST_200600_302600_NS6detail15normal_iteratorINSA_10device_ptrIsEEEEPS6_SG_NS0_5tupleIJSF_SF_EEENSH_IJSG_SG_EEES6_PlJ7is_evenIsEEEE10hipError_tPvRmT3_T4_T5_T6_T7_T9_mT8_P12ihipStream_tbDpT10_ENKUlT_T0_E_clISt17integral_constantIbLb1EES15_IbLb0EEEEDaS11_S12_EUlS11_E_NS1_11comp_targetILNS1_3genE9ELNS1_11target_archE1100ELNS1_3gpuE3ELNS1_3repE0EEENS1_30default_config_static_selectorELNS0_4arch9wavefront6targetE1EEEvT1_,"axG",@progbits,_ZN7rocprim17ROCPRIM_400000_NS6detail17trampoline_kernelINS0_14default_configENS1_25partition_config_selectorILNS1_17partition_subalgoE0EsNS0_10empty_typeEbEEZZNS1_14partition_implILS5_0ELb0ES3_jN6thrust23THRUST_200600_302600_NS6detail15normal_iteratorINSA_10device_ptrIsEEEEPS6_SG_NS0_5tupleIJSF_SF_EEENSH_IJSG_SG_EEES6_PlJ7is_evenIsEEEE10hipError_tPvRmT3_T4_T5_T6_T7_T9_mT8_P12ihipStream_tbDpT10_ENKUlT_T0_E_clISt17integral_constantIbLb1EES15_IbLb0EEEEDaS11_S12_EUlS11_E_NS1_11comp_targetILNS1_3genE9ELNS1_11target_archE1100ELNS1_3gpuE3ELNS1_3repE0EEENS1_30default_config_static_selectorELNS0_4arch9wavefront6targetE1EEEvT1_,comdat
	.protected	_ZN7rocprim17ROCPRIM_400000_NS6detail17trampoline_kernelINS0_14default_configENS1_25partition_config_selectorILNS1_17partition_subalgoE0EsNS0_10empty_typeEbEEZZNS1_14partition_implILS5_0ELb0ES3_jN6thrust23THRUST_200600_302600_NS6detail15normal_iteratorINSA_10device_ptrIsEEEEPS6_SG_NS0_5tupleIJSF_SF_EEENSH_IJSG_SG_EEES6_PlJ7is_evenIsEEEE10hipError_tPvRmT3_T4_T5_T6_T7_T9_mT8_P12ihipStream_tbDpT10_ENKUlT_T0_E_clISt17integral_constantIbLb1EES15_IbLb0EEEEDaS11_S12_EUlS11_E_NS1_11comp_targetILNS1_3genE9ELNS1_11target_archE1100ELNS1_3gpuE3ELNS1_3repE0EEENS1_30default_config_static_selectorELNS0_4arch9wavefront6targetE1EEEvT1_ ; -- Begin function _ZN7rocprim17ROCPRIM_400000_NS6detail17trampoline_kernelINS0_14default_configENS1_25partition_config_selectorILNS1_17partition_subalgoE0EsNS0_10empty_typeEbEEZZNS1_14partition_implILS5_0ELb0ES3_jN6thrust23THRUST_200600_302600_NS6detail15normal_iteratorINSA_10device_ptrIsEEEEPS6_SG_NS0_5tupleIJSF_SF_EEENSH_IJSG_SG_EEES6_PlJ7is_evenIsEEEE10hipError_tPvRmT3_T4_T5_T6_T7_T9_mT8_P12ihipStream_tbDpT10_ENKUlT_T0_E_clISt17integral_constantIbLb1EES15_IbLb0EEEEDaS11_S12_EUlS11_E_NS1_11comp_targetILNS1_3genE9ELNS1_11target_archE1100ELNS1_3gpuE3ELNS1_3repE0EEENS1_30default_config_static_selectorELNS0_4arch9wavefront6targetE1EEEvT1_
	.globl	_ZN7rocprim17ROCPRIM_400000_NS6detail17trampoline_kernelINS0_14default_configENS1_25partition_config_selectorILNS1_17partition_subalgoE0EsNS0_10empty_typeEbEEZZNS1_14partition_implILS5_0ELb0ES3_jN6thrust23THRUST_200600_302600_NS6detail15normal_iteratorINSA_10device_ptrIsEEEEPS6_SG_NS0_5tupleIJSF_SF_EEENSH_IJSG_SG_EEES6_PlJ7is_evenIsEEEE10hipError_tPvRmT3_T4_T5_T6_T7_T9_mT8_P12ihipStream_tbDpT10_ENKUlT_T0_E_clISt17integral_constantIbLb1EES15_IbLb0EEEEDaS11_S12_EUlS11_E_NS1_11comp_targetILNS1_3genE9ELNS1_11target_archE1100ELNS1_3gpuE3ELNS1_3repE0EEENS1_30default_config_static_selectorELNS0_4arch9wavefront6targetE1EEEvT1_
	.p2align	8
	.type	_ZN7rocprim17ROCPRIM_400000_NS6detail17trampoline_kernelINS0_14default_configENS1_25partition_config_selectorILNS1_17partition_subalgoE0EsNS0_10empty_typeEbEEZZNS1_14partition_implILS5_0ELb0ES3_jN6thrust23THRUST_200600_302600_NS6detail15normal_iteratorINSA_10device_ptrIsEEEEPS6_SG_NS0_5tupleIJSF_SF_EEENSH_IJSG_SG_EEES6_PlJ7is_evenIsEEEE10hipError_tPvRmT3_T4_T5_T6_T7_T9_mT8_P12ihipStream_tbDpT10_ENKUlT_T0_E_clISt17integral_constantIbLb1EES15_IbLb0EEEEDaS11_S12_EUlS11_E_NS1_11comp_targetILNS1_3genE9ELNS1_11target_archE1100ELNS1_3gpuE3ELNS1_3repE0EEENS1_30default_config_static_selectorELNS0_4arch9wavefront6targetE1EEEvT1_,@function
_ZN7rocprim17ROCPRIM_400000_NS6detail17trampoline_kernelINS0_14default_configENS1_25partition_config_selectorILNS1_17partition_subalgoE0EsNS0_10empty_typeEbEEZZNS1_14partition_implILS5_0ELb0ES3_jN6thrust23THRUST_200600_302600_NS6detail15normal_iteratorINSA_10device_ptrIsEEEEPS6_SG_NS0_5tupleIJSF_SF_EEENSH_IJSG_SG_EEES6_PlJ7is_evenIsEEEE10hipError_tPvRmT3_T4_T5_T6_T7_T9_mT8_P12ihipStream_tbDpT10_ENKUlT_T0_E_clISt17integral_constantIbLb1EES15_IbLb0EEEEDaS11_S12_EUlS11_E_NS1_11comp_targetILNS1_3genE9ELNS1_11target_archE1100ELNS1_3gpuE3ELNS1_3repE0EEENS1_30default_config_static_selectorELNS0_4arch9wavefront6targetE1EEEvT1_: ; @_ZN7rocprim17ROCPRIM_400000_NS6detail17trampoline_kernelINS0_14default_configENS1_25partition_config_selectorILNS1_17partition_subalgoE0EsNS0_10empty_typeEbEEZZNS1_14partition_implILS5_0ELb0ES3_jN6thrust23THRUST_200600_302600_NS6detail15normal_iteratorINSA_10device_ptrIsEEEEPS6_SG_NS0_5tupleIJSF_SF_EEENSH_IJSG_SG_EEES6_PlJ7is_evenIsEEEE10hipError_tPvRmT3_T4_T5_T6_T7_T9_mT8_P12ihipStream_tbDpT10_ENKUlT_T0_E_clISt17integral_constantIbLb1EES15_IbLb0EEEEDaS11_S12_EUlS11_E_NS1_11comp_targetILNS1_3genE9ELNS1_11target_archE1100ELNS1_3gpuE3ELNS1_3repE0EEENS1_30default_config_static_selectorELNS0_4arch9wavefront6targetE1EEEvT1_
; %bb.0:
	.section	.rodata,"a",@progbits
	.p2align	6, 0x0
	.amdhsa_kernel _ZN7rocprim17ROCPRIM_400000_NS6detail17trampoline_kernelINS0_14default_configENS1_25partition_config_selectorILNS1_17partition_subalgoE0EsNS0_10empty_typeEbEEZZNS1_14partition_implILS5_0ELb0ES3_jN6thrust23THRUST_200600_302600_NS6detail15normal_iteratorINSA_10device_ptrIsEEEEPS6_SG_NS0_5tupleIJSF_SF_EEENSH_IJSG_SG_EEES6_PlJ7is_evenIsEEEE10hipError_tPvRmT3_T4_T5_T6_T7_T9_mT8_P12ihipStream_tbDpT10_ENKUlT_T0_E_clISt17integral_constantIbLb1EES15_IbLb0EEEEDaS11_S12_EUlS11_E_NS1_11comp_targetILNS1_3genE9ELNS1_11target_archE1100ELNS1_3gpuE3ELNS1_3repE0EEENS1_30default_config_static_selectorELNS0_4arch9wavefront6targetE1EEEvT1_
		.amdhsa_group_segment_fixed_size 0
		.amdhsa_private_segment_fixed_size 0
		.amdhsa_kernarg_size 120
		.amdhsa_user_sgpr_count 2
		.amdhsa_user_sgpr_dispatch_ptr 0
		.amdhsa_user_sgpr_queue_ptr 0
		.amdhsa_user_sgpr_kernarg_segment_ptr 1
		.amdhsa_user_sgpr_dispatch_id 0
		.amdhsa_user_sgpr_kernarg_preload_length 0
		.amdhsa_user_sgpr_kernarg_preload_offset 0
		.amdhsa_user_sgpr_private_segment_size 0
		.amdhsa_uses_dynamic_stack 0
		.amdhsa_enable_private_segment 0
		.amdhsa_system_sgpr_workgroup_id_x 1
		.amdhsa_system_sgpr_workgroup_id_y 0
		.amdhsa_system_sgpr_workgroup_id_z 0
		.amdhsa_system_sgpr_workgroup_info 0
		.amdhsa_system_vgpr_workitem_id 0
		.amdhsa_next_free_vgpr 1
		.amdhsa_next_free_sgpr 0
		.amdhsa_accum_offset 4
		.amdhsa_reserve_vcc 0
		.amdhsa_float_round_mode_32 0
		.amdhsa_float_round_mode_16_64 0
		.amdhsa_float_denorm_mode_32 3
		.amdhsa_float_denorm_mode_16_64 3
		.amdhsa_dx10_clamp 1
		.amdhsa_ieee_mode 1
		.amdhsa_fp16_overflow 0
		.amdhsa_tg_split 0
		.amdhsa_exception_fp_ieee_invalid_op 0
		.amdhsa_exception_fp_denorm_src 0
		.amdhsa_exception_fp_ieee_div_zero 0
		.amdhsa_exception_fp_ieee_overflow 0
		.amdhsa_exception_fp_ieee_underflow 0
		.amdhsa_exception_fp_ieee_inexact 0
		.amdhsa_exception_int_div_zero 0
	.end_amdhsa_kernel
	.section	.text._ZN7rocprim17ROCPRIM_400000_NS6detail17trampoline_kernelINS0_14default_configENS1_25partition_config_selectorILNS1_17partition_subalgoE0EsNS0_10empty_typeEbEEZZNS1_14partition_implILS5_0ELb0ES3_jN6thrust23THRUST_200600_302600_NS6detail15normal_iteratorINSA_10device_ptrIsEEEEPS6_SG_NS0_5tupleIJSF_SF_EEENSH_IJSG_SG_EEES6_PlJ7is_evenIsEEEE10hipError_tPvRmT3_T4_T5_T6_T7_T9_mT8_P12ihipStream_tbDpT10_ENKUlT_T0_E_clISt17integral_constantIbLb1EES15_IbLb0EEEEDaS11_S12_EUlS11_E_NS1_11comp_targetILNS1_3genE9ELNS1_11target_archE1100ELNS1_3gpuE3ELNS1_3repE0EEENS1_30default_config_static_selectorELNS0_4arch9wavefront6targetE1EEEvT1_,"axG",@progbits,_ZN7rocprim17ROCPRIM_400000_NS6detail17trampoline_kernelINS0_14default_configENS1_25partition_config_selectorILNS1_17partition_subalgoE0EsNS0_10empty_typeEbEEZZNS1_14partition_implILS5_0ELb0ES3_jN6thrust23THRUST_200600_302600_NS6detail15normal_iteratorINSA_10device_ptrIsEEEEPS6_SG_NS0_5tupleIJSF_SF_EEENSH_IJSG_SG_EEES6_PlJ7is_evenIsEEEE10hipError_tPvRmT3_T4_T5_T6_T7_T9_mT8_P12ihipStream_tbDpT10_ENKUlT_T0_E_clISt17integral_constantIbLb1EES15_IbLb0EEEEDaS11_S12_EUlS11_E_NS1_11comp_targetILNS1_3genE9ELNS1_11target_archE1100ELNS1_3gpuE3ELNS1_3repE0EEENS1_30default_config_static_selectorELNS0_4arch9wavefront6targetE1EEEvT1_,comdat
.Lfunc_end375:
	.size	_ZN7rocprim17ROCPRIM_400000_NS6detail17trampoline_kernelINS0_14default_configENS1_25partition_config_selectorILNS1_17partition_subalgoE0EsNS0_10empty_typeEbEEZZNS1_14partition_implILS5_0ELb0ES3_jN6thrust23THRUST_200600_302600_NS6detail15normal_iteratorINSA_10device_ptrIsEEEEPS6_SG_NS0_5tupleIJSF_SF_EEENSH_IJSG_SG_EEES6_PlJ7is_evenIsEEEE10hipError_tPvRmT3_T4_T5_T6_T7_T9_mT8_P12ihipStream_tbDpT10_ENKUlT_T0_E_clISt17integral_constantIbLb1EES15_IbLb0EEEEDaS11_S12_EUlS11_E_NS1_11comp_targetILNS1_3genE9ELNS1_11target_archE1100ELNS1_3gpuE3ELNS1_3repE0EEENS1_30default_config_static_selectorELNS0_4arch9wavefront6targetE1EEEvT1_, .Lfunc_end375-_ZN7rocprim17ROCPRIM_400000_NS6detail17trampoline_kernelINS0_14default_configENS1_25partition_config_selectorILNS1_17partition_subalgoE0EsNS0_10empty_typeEbEEZZNS1_14partition_implILS5_0ELb0ES3_jN6thrust23THRUST_200600_302600_NS6detail15normal_iteratorINSA_10device_ptrIsEEEEPS6_SG_NS0_5tupleIJSF_SF_EEENSH_IJSG_SG_EEES6_PlJ7is_evenIsEEEE10hipError_tPvRmT3_T4_T5_T6_T7_T9_mT8_P12ihipStream_tbDpT10_ENKUlT_T0_E_clISt17integral_constantIbLb1EES15_IbLb0EEEEDaS11_S12_EUlS11_E_NS1_11comp_targetILNS1_3genE9ELNS1_11target_archE1100ELNS1_3gpuE3ELNS1_3repE0EEENS1_30default_config_static_selectorELNS0_4arch9wavefront6targetE1EEEvT1_
                                        ; -- End function
	.section	.AMDGPU.csdata,"",@progbits
; Kernel info:
; codeLenInByte = 0
; NumSgprs: 6
; NumVgprs: 0
; NumAgprs: 0
; TotalNumVgprs: 0
; ScratchSize: 0
; MemoryBound: 0
; FloatMode: 240
; IeeeMode: 1
; LDSByteSize: 0 bytes/workgroup (compile time only)
; SGPRBlocks: 0
; VGPRBlocks: 0
; NumSGPRsForWavesPerEU: 6
; NumVGPRsForWavesPerEU: 1
; AccumOffset: 4
; Occupancy: 8
; WaveLimiterHint : 0
; COMPUTE_PGM_RSRC2:SCRATCH_EN: 0
; COMPUTE_PGM_RSRC2:USER_SGPR: 2
; COMPUTE_PGM_RSRC2:TRAP_HANDLER: 0
; COMPUTE_PGM_RSRC2:TGID_X_EN: 1
; COMPUTE_PGM_RSRC2:TGID_Y_EN: 0
; COMPUTE_PGM_RSRC2:TGID_Z_EN: 0
; COMPUTE_PGM_RSRC2:TIDIG_COMP_CNT: 0
; COMPUTE_PGM_RSRC3_GFX90A:ACCUM_OFFSET: 0
; COMPUTE_PGM_RSRC3_GFX90A:TG_SPLIT: 0
	.section	.text._ZN7rocprim17ROCPRIM_400000_NS6detail17trampoline_kernelINS0_14default_configENS1_25partition_config_selectorILNS1_17partition_subalgoE0EsNS0_10empty_typeEbEEZZNS1_14partition_implILS5_0ELb0ES3_jN6thrust23THRUST_200600_302600_NS6detail15normal_iteratorINSA_10device_ptrIsEEEEPS6_SG_NS0_5tupleIJSF_SF_EEENSH_IJSG_SG_EEES6_PlJ7is_evenIsEEEE10hipError_tPvRmT3_T4_T5_T6_T7_T9_mT8_P12ihipStream_tbDpT10_ENKUlT_T0_E_clISt17integral_constantIbLb1EES15_IbLb0EEEEDaS11_S12_EUlS11_E_NS1_11comp_targetILNS1_3genE8ELNS1_11target_archE1030ELNS1_3gpuE2ELNS1_3repE0EEENS1_30default_config_static_selectorELNS0_4arch9wavefront6targetE1EEEvT1_,"axG",@progbits,_ZN7rocprim17ROCPRIM_400000_NS6detail17trampoline_kernelINS0_14default_configENS1_25partition_config_selectorILNS1_17partition_subalgoE0EsNS0_10empty_typeEbEEZZNS1_14partition_implILS5_0ELb0ES3_jN6thrust23THRUST_200600_302600_NS6detail15normal_iteratorINSA_10device_ptrIsEEEEPS6_SG_NS0_5tupleIJSF_SF_EEENSH_IJSG_SG_EEES6_PlJ7is_evenIsEEEE10hipError_tPvRmT3_T4_T5_T6_T7_T9_mT8_P12ihipStream_tbDpT10_ENKUlT_T0_E_clISt17integral_constantIbLb1EES15_IbLb0EEEEDaS11_S12_EUlS11_E_NS1_11comp_targetILNS1_3genE8ELNS1_11target_archE1030ELNS1_3gpuE2ELNS1_3repE0EEENS1_30default_config_static_selectorELNS0_4arch9wavefront6targetE1EEEvT1_,comdat
	.protected	_ZN7rocprim17ROCPRIM_400000_NS6detail17trampoline_kernelINS0_14default_configENS1_25partition_config_selectorILNS1_17partition_subalgoE0EsNS0_10empty_typeEbEEZZNS1_14partition_implILS5_0ELb0ES3_jN6thrust23THRUST_200600_302600_NS6detail15normal_iteratorINSA_10device_ptrIsEEEEPS6_SG_NS0_5tupleIJSF_SF_EEENSH_IJSG_SG_EEES6_PlJ7is_evenIsEEEE10hipError_tPvRmT3_T4_T5_T6_T7_T9_mT8_P12ihipStream_tbDpT10_ENKUlT_T0_E_clISt17integral_constantIbLb1EES15_IbLb0EEEEDaS11_S12_EUlS11_E_NS1_11comp_targetILNS1_3genE8ELNS1_11target_archE1030ELNS1_3gpuE2ELNS1_3repE0EEENS1_30default_config_static_selectorELNS0_4arch9wavefront6targetE1EEEvT1_ ; -- Begin function _ZN7rocprim17ROCPRIM_400000_NS6detail17trampoline_kernelINS0_14default_configENS1_25partition_config_selectorILNS1_17partition_subalgoE0EsNS0_10empty_typeEbEEZZNS1_14partition_implILS5_0ELb0ES3_jN6thrust23THRUST_200600_302600_NS6detail15normal_iteratorINSA_10device_ptrIsEEEEPS6_SG_NS0_5tupleIJSF_SF_EEENSH_IJSG_SG_EEES6_PlJ7is_evenIsEEEE10hipError_tPvRmT3_T4_T5_T6_T7_T9_mT8_P12ihipStream_tbDpT10_ENKUlT_T0_E_clISt17integral_constantIbLb1EES15_IbLb0EEEEDaS11_S12_EUlS11_E_NS1_11comp_targetILNS1_3genE8ELNS1_11target_archE1030ELNS1_3gpuE2ELNS1_3repE0EEENS1_30default_config_static_selectorELNS0_4arch9wavefront6targetE1EEEvT1_
	.globl	_ZN7rocprim17ROCPRIM_400000_NS6detail17trampoline_kernelINS0_14default_configENS1_25partition_config_selectorILNS1_17partition_subalgoE0EsNS0_10empty_typeEbEEZZNS1_14partition_implILS5_0ELb0ES3_jN6thrust23THRUST_200600_302600_NS6detail15normal_iteratorINSA_10device_ptrIsEEEEPS6_SG_NS0_5tupleIJSF_SF_EEENSH_IJSG_SG_EEES6_PlJ7is_evenIsEEEE10hipError_tPvRmT3_T4_T5_T6_T7_T9_mT8_P12ihipStream_tbDpT10_ENKUlT_T0_E_clISt17integral_constantIbLb1EES15_IbLb0EEEEDaS11_S12_EUlS11_E_NS1_11comp_targetILNS1_3genE8ELNS1_11target_archE1030ELNS1_3gpuE2ELNS1_3repE0EEENS1_30default_config_static_selectorELNS0_4arch9wavefront6targetE1EEEvT1_
	.p2align	8
	.type	_ZN7rocprim17ROCPRIM_400000_NS6detail17trampoline_kernelINS0_14default_configENS1_25partition_config_selectorILNS1_17partition_subalgoE0EsNS0_10empty_typeEbEEZZNS1_14partition_implILS5_0ELb0ES3_jN6thrust23THRUST_200600_302600_NS6detail15normal_iteratorINSA_10device_ptrIsEEEEPS6_SG_NS0_5tupleIJSF_SF_EEENSH_IJSG_SG_EEES6_PlJ7is_evenIsEEEE10hipError_tPvRmT3_T4_T5_T6_T7_T9_mT8_P12ihipStream_tbDpT10_ENKUlT_T0_E_clISt17integral_constantIbLb1EES15_IbLb0EEEEDaS11_S12_EUlS11_E_NS1_11comp_targetILNS1_3genE8ELNS1_11target_archE1030ELNS1_3gpuE2ELNS1_3repE0EEENS1_30default_config_static_selectorELNS0_4arch9wavefront6targetE1EEEvT1_,@function
_ZN7rocprim17ROCPRIM_400000_NS6detail17trampoline_kernelINS0_14default_configENS1_25partition_config_selectorILNS1_17partition_subalgoE0EsNS0_10empty_typeEbEEZZNS1_14partition_implILS5_0ELb0ES3_jN6thrust23THRUST_200600_302600_NS6detail15normal_iteratorINSA_10device_ptrIsEEEEPS6_SG_NS0_5tupleIJSF_SF_EEENSH_IJSG_SG_EEES6_PlJ7is_evenIsEEEE10hipError_tPvRmT3_T4_T5_T6_T7_T9_mT8_P12ihipStream_tbDpT10_ENKUlT_T0_E_clISt17integral_constantIbLb1EES15_IbLb0EEEEDaS11_S12_EUlS11_E_NS1_11comp_targetILNS1_3genE8ELNS1_11target_archE1030ELNS1_3gpuE2ELNS1_3repE0EEENS1_30default_config_static_selectorELNS0_4arch9wavefront6targetE1EEEvT1_: ; @_ZN7rocprim17ROCPRIM_400000_NS6detail17trampoline_kernelINS0_14default_configENS1_25partition_config_selectorILNS1_17partition_subalgoE0EsNS0_10empty_typeEbEEZZNS1_14partition_implILS5_0ELb0ES3_jN6thrust23THRUST_200600_302600_NS6detail15normal_iteratorINSA_10device_ptrIsEEEEPS6_SG_NS0_5tupleIJSF_SF_EEENSH_IJSG_SG_EEES6_PlJ7is_evenIsEEEE10hipError_tPvRmT3_T4_T5_T6_T7_T9_mT8_P12ihipStream_tbDpT10_ENKUlT_T0_E_clISt17integral_constantIbLb1EES15_IbLb0EEEEDaS11_S12_EUlS11_E_NS1_11comp_targetILNS1_3genE8ELNS1_11target_archE1030ELNS1_3gpuE2ELNS1_3repE0EEENS1_30default_config_static_selectorELNS0_4arch9wavefront6targetE1EEEvT1_
; %bb.0:
	.section	.rodata,"a",@progbits
	.p2align	6, 0x0
	.amdhsa_kernel _ZN7rocprim17ROCPRIM_400000_NS6detail17trampoline_kernelINS0_14default_configENS1_25partition_config_selectorILNS1_17partition_subalgoE0EsNS0_10empty_typeEbEEZZNS1_14partition_implILS5_0ELb0ES3_jN6thrust23THRUST_200600_302600_NS6detail15normal_iteratorINSA_10device_ptrIsEEEEPS6_SG_NS0_5tupleIJSF_SF_EEENSH_IJSG_SG_EEES6_PlJ7is_evenIsEEEE10hipError_tPvRmT3_T4_T5_T6_T7_T9_mT8_P12ihipStream_tbDpT10_ENKUlT_T0_E_clISt17integral_constantIbLb1EES15_IbLb0EEEEDaS11_S12_EUlS11_E_NS1_11comp_targetILNS1_3genE8ELNS1_11target_archE1030ELNS1_3gpuE2ELNS1_3repE0EEENS1_30default_config_static_selectorELNS0_4arch9wavefront6targetE1EEEvT1_
		.amdhsa_group_segment_fixed_size 0
		.amdhsa_private_segment_fixed_size 0
		.amdhsa_kernarg_size 120
		.amdhsa_user_sgpr_count 2
		.amdhsa_user_sgpr_dispatch_ptr 0
		.amdhsa_user_sgpr_queue_ptr 0
		.amdhsa_user_sgpr_kernarg_segment_ptr 1
		.amdhsa_user_sgpr_dispatch_id 0
		.amdhsa_user_sgpr_kernarg_preload_length 0
		.amdhsa_user_sgpr_kernarg_preload_offset 0
		.amdhsa_user_sgpr_private_segment_size 0
		.amdhsa_uses_dynamic_stack 0
		.amdhsa_enable_private_segment 0
		.amdhsa_system_sgpr_workgroup_id_x 1
		.amdhsa_system_sgpr_workgroup_id_y 0
		.amdhsa_system_sgpr_workgroup_id_z 0
		.amdhsa_system_sgpr_workgroup_info 0
		.amdhsa_system_vgpr_workitem_id 0
		.amdhsa_next_free_vgpr 1
		.amdhsa_next_free_sgpr 0
		.amdhsa_accum_offset 4
		.amdhsa_reserve_vcc 0
		.amdhsa_float_round_mode_32 0
		.amdhsa_float_round_mode_16_64 0
		.amdhsa_float_denorm_mode_32 3
		.amdhsa_float_denorm_mode_16_64 3
		.amdhsa_dx10_clamp 1
		.amdhsa_ieee_mode 1
		.amdhsa_fp16_overflow 0
		.amdhsa_tg_split 0
		.amdhsa_exception_fp_ieee_invalid_op 0
		.amdhsa_exception_fp_denorm_src 0
		.amdhsa_exception_fp_ieee_div_zero 0
		.amdhsa_exception_fp_ieee_overflow 0
		.amdhsa_exception_fp_ieee_underflow 0
		.amdhsa_exception_fp_ieee_inexact 0
		.amdhsa_exception_int_div_zero 0
	.end_amdhsa_kernel
	.section	.text._ZN7rocprim17ROCPRIM_400000_NS6detail17trampoline_kernelINS0_14default_configENS1_25partition_config_selectorILNS1_17partition_subalgoE0EsNS0_10empty_typeEbEEZZNS1_14partition_implILS5_0ELb0ES3_jN6thrust23THRUST_200600_302600_NS6detail15normal_iteratorINSA_10device_ptrIsEEEEPS6_SG_NS0_5tupleIJSF_SF_EEENSH_IJSG_SG_EEES6_PlJ7is_evenIsEEEE10hipError_tPvRmT3_T4_T5_T6_T7_T9_mT8_P12ihipStream_tbDpT10_ENKUlT_T0_E_clISt17integral_constantIbLb1EES15_IbLb0EEEEDaS11_S12_EUlS11_E_NS1_11comp_targetILNS1_3genE8ELNS1_11target_archE1030ELNS1_3gpuE2ELNS1_3repE0EEENS1_30default_config_static_selectorELNS0_4arch9wavefront6targetE1EEEvT1_,"axG",@progbits,_ZN7rocprim17ROCPRIM_400000_NS6detail17trampoline_kernelINS0_14default_configENS1_25partition_config_selectorILNS1_17partition_subalgoE0EsNS0_10empty_typeEbEEZZNS1_14partition_implILS5_0ELb0ES3_jN6thrust23THRUST_200600_302600_NS6detail15normal_iteratorINSA_10device_ptrIsEEEEPS6_SG_NS0_5tupleIJSF_SF_EEENSH_IJSG_SG_EEES6_PlJ7is_evenIsEEEE10hipError_tPvRmT3_T4_T5_T6_T7_T9_mT8_P12ihipStream_tbDpT10_ENKUlT_T0_E_clISt17integral_constantIbLb1EES15_IbLb0EEEEDaS11_S12_EUlS11_E_NS1_11comp_targetILNS1_3genE8ELNS1_11target_archE1030ELNS1_3gpuE2ELNS1_3repE0EEENS1_30default_config_static_selectorELNS0_4arch9wavefront6targetE1EEEvT1_,comdat
.Lfunc_end376:
	.size	_ZN7rocprim17ROCPRIM_400000_NS6detail17trampoline_kernelINS0_14default_configENS1_25partition_config_selectorILNS1_17partition_subalgoE0EsNS0_10empty_typeEbEEZZNS1_14partition_implILS5_0ELb0ES3_jN6thrust23THRUST_200600_302600_NS6detail15normal_iteratorINSA_10device_ptrIsEEEEPS6_SG_NS0_5tupleIJSF_SF_EEENSH_IJSG_SG_EEES6_PlJ7is_evenIsEEEE10hipError_tPvRmT3_T4_T5_T6_T7_T9_mT8_P12ihipStream_tbDpT10_ENKUlT_T0_E_clISt17integral_constantIbLb1EES15_IbLb0EEEEDaS11_S12_EUlS11_E_NS1_11comp_targetILNS1_3genE8ELNS1_11target_archE1030ELNS1_3gpuE2ELNS1_3repE0EEENS1_30default_config_static_selectorELNS0_4arch9wavefront6targetE1EEEvT1_, .Lfunc_end376-_ZN7rocprim17ROCPRIM_400000_NS6detail17trampoline_kernelINS0_14default_configENS1_25partition_config_selectorILNS1_17partition_subalgoE0EsNS0_10empty_typeEbEEZZNS1_14partition_implILS5_0ELb0ES3_jN6thrust23THRUST_200600_302600_NS6detail15normal_iteratorINSA_10device_ptrIsEEEEPS6_SG_NS0_5tupleIJSF_SF_EEENSH_IJSG_SG_EEES6_PlJ7is_evenIsEEEE10hipError_tPvRmT3_T4_T5_T6_T7_T9_mT8_P12ihipStream_tbDpT10_ENKUlT_T0_E_clISt17integral_constantIbLb1EES15_IbLb0EEEEDaS11_S12_EUlS11_E_NS1_11comp_targetILNS1_3genE8ELNS1_11target_archE1030ELNS1_3gpuE2ELNS1_3repE0EEENS1_30default_config_static_selectorELNS0_4arch9wavefront6targetE1EEEvT1_
                                        ; -- End function
	.section	.AMDGPU.csdata,"",@progbits
; Kernel info:
; codeLenInByte = 0
; NumSgprs: 6
; NumVgprs: 0
; NumAgprs: 0
; TotalNumVgprs: 0
; ScratchSize: 0
; MemoryBound: 0
; FloatMode: 240
; IeeeMode: 1
; LDSByteSize: 0 bytes/workgroup (compile time only)
; SGPRBlocks: 0
; VGPRBlocks: 0
; NumSGPRsForWavesPerEU: 6
; NumVGPRsForWavesPerEU: 1
; AccumOffset: 4
; Occupancy: 8
; WaveLimiterHint : 0
; COMPUTE_PGM_RSRC2:SCRATCH_EN: 0
; COMPUTE_PGM_RSRC2:USER_SGPR: 2
; COMPUTE_PGM_RSRC2:TRAP_HANDLER: 0
; COMPUTE_PGM_RSRC2:TGID_X_EN: 1
; COMPUTE_PGM_RSRC2:TGID_Y_EN: 0
; COMPUTE_PGM_RSRC2:TGID_Z_EN: 0
; COMPUTE_PGM_RSRC2:TIDIG_COMP_CNT: 0
; COMPUTE_PGM_RSRC3_GFX90A:ACCUM_OFFSET: 0
; COMPUTE_PGM_RSRC3_GFX90A:TG_SPLIT: 0
	.section	.text._ZN7rocprim17ROCPRIM_400000_NS6detail17trampoline_kernelINS0_14default_configENS1_25partition_config_selectorILNS1_17partition_subalgoE0EsNS0_10empty_typeEbEEZZNS1_14partition_implILS5_0ELb0ES3_jN6thrust23THRUST_200600_302600_NS6detail15normal_iteratorINSA_10device_ptrIsEEEEPS6_SG_NS0_5tupleIJSF_SF_EEENSH_IJSG_SG_EEES6_PlJ7is_evenIsEEEE10hipError_tPvRmT3_T4_T5_T6_T7_T9_mT8_P12ihipStream_tbDpT10_ENKUlT_T0_E_clISt17integral_constantIbLb0EES15_IbLb1EEEEDaS11_S12_EUlS11_E_NS1_11comp_targetILNS1_3genE0ELNS1_11target_archE4294967295ELNS1_3gpuE0ELNS1_3repE0EEENS1_30default_config_static_selectorELNS0_4arch9wavefront6targetE1EEEvT1_,"axG",@progbits,_ZN7rocprim17ROCPRIM_400000_NS6detail17trampoline_kernelINS0_14default_configENS1_25partition_config_selectorILNS1_17partition_subalgoE0EsNS0_10empty_typeEbEEZZNS1_14partition_implILS5_0ELb0ES3_jN6thrust23THRUST_200600_302600_NS6detail15normal_iteratorINSA_10device_ptrIsEEEEPS6_SG_NS0_5tupleIJSF_SF_EEENSH_IJSG_SG_EEES6_PlJ7is_evenIsEEEE10hipError_tPvRmT3_T4_T5_T6_T7_T9_mT8_P12ihipStream_tbDpT10_ENKUlT_T0_E_clISt17integral_constantIbLb0EES15_IbLb1EEEEDaS11_S12_EUlS11_E_NS1_11comp_targetILNS1_3genE0ELNS1_11target_archE4294967295ELNS1_3gpuE0ELNS1_3repE0EEENS1_30default_config_static_selectorELNS0_4arch9wavefront6targetE1EEEvT1_,comdat
	.protected	_ZN7rocprim17ROCPRIM_400000_NS6detail17trampoline_kernelINS0_14default_configENS1_25partition_config_selectorILNS1_17partition_subalgoE0EsNS0_10empty_typeEbEEZZNS1_14partition_implILS5_0ELb0ES3_jN6thrust23THRUST_200600_302600_NS6detail15normal_iteratorINSA_10device_ptrIsEEEEPS6_SG_NS0_5tupleIJSF_SF_EEENSH_IJSG_SG_EEES6_PlJ7is_evenIsEEEE10hipError_tPvRmT3_T4_T5_T6_T7_T9_mT8_P12ihipStream_tbDpT10_ENKUlT_T0_E_clISt17integral_constantIbLb0EES15_IbLb1EEEEDaS11_S12_EUlS11_E_NS1_11comp_targetILNS1_3genE0ELNS1_11target_archE4294967295ELNS1_3gpuE0ELNS1_3repE0EEENS1_30default_config_static_selectorELNS0_4arch9wavefront6targetE1EEEvT1_ ; -- Begin function _ZN7rocprim17ROCPRIM_400000_NS6detail17trampoline_kernelINS0_14default_configENS1_25partition_config_selectorILNS1_17partition_subalgoE0EsNS0_10empty_typeEbEEZZNS1_14partition_implILS5_0ELb0ES3_jN6thrust23THRUST_200600_302600_NS6detail15normal_iteratorINSA_10device_ptrIsEEEEPS6_SG_NS0_5tupleIJSF_SF_EEENSH_IJSG_SG_EEES6_PlJ7is_evenIsEEEE10hipError_tPvRmT3_T4_T5_T6_T7_T9_mT8_P12ihipStream_tbDpT10_ENKUlT_T0_E_clISt17integral_constantIbLb0EES15_IbLb1EEEEDaS11_S12_EUlS11_E_NS1_11comp_targetILNS1_3genE0ELNS1_11target_archE4294967295ELNS1_3gpuE0ELNS1_3repE0EEENS1_30default_config_static_selectorELNS0_4arch9wavefront6targetE1EEEvT1_
	.globl	_ZN7rocprim17ROCPRIM_400000_NS6detail17trampoline_kernelINS0_14default_configENS1_25partition_config_selectorILNS1_17partition_subalgoE0EsNS0_10empty_typeEbEEZZNS1_14partition_implILS5_0ELb0ES3_jN6thrust23THRUST_200600_302600_NS6detail15normal_iteratorINSA_10device_ptrIsEEEEPS6_SG_NS0_5tupleIJSF_SF_EEENSH_IJSG_SG_EEES6_PlJ7is_evenIsEEEE10hipError_tPvRmT3_T4_T5_T6_T7_T9_mT8_P12ihipStream_tbDpT10_ENKUlT_T0_E_clISt17integral_constantIbLb0EES15_IbLb1EEEEDaS11_S12_EUlS11_E_NS1_11comp_targetILNS1_3genE0ELNS1_11target_archE4294967295ELNS1_3gpuE0ELNS1_3repE0EEENS1_30default_config_static_selectorELNS0_4arch9wavefront6targetE1EEEvT1_
	.p2align	8
	.type	_ZN7rocprim17ROCPRIM_400000_NS6detail17trampoline_kernelINS0_14default_configENS1_25partition_config_selectorILNS1_17partition_subalgoE0EsNS0_10empty_typeEbEEZZNS1_14partition_implILS5_0ELb0ES3_jN6thrust23THRUST_200600_302600_NS6detail15normal_iteratorINSA_10device_ptrIsEEEEPS6_SG_NS0_5tupleIJSF_SF_EEENSH_IJSG_SG_EEES6_PlJ7is_evenIsEEEE10hipError_tPvRmT3_T4_T5_T6_T7_T9_mT8_P12ihipStream_tbDpT10_ENKUlT_T0_E_clISt17integral_constantIbLb0EES15_IbLb1EEEEDaS11_S12_EUlS11_E_NS1_11comp_targetILNS1_3genE0ELNS1_11target_archE4294967295ELNS1_3gpuE0ELNS1_3repE0EEENS1_30default_config_static_selectorELNS0_4arch9wavefront6targetE1EEEvT1_,@function
_ZN7rocprim17ROCPRIM_400000_NS6detail17trampoline_kernelINS0_14default_configENS1_25partition_config_selectorILNS1_17partition_subalgoE0EsNS0_10empty_typeEbEEZZNS1_14partition_implILS5_0ELb0ES3_jN6thrust23THRUST_200600_302600_NS6detail15normal_iteratorINSA_10device_ptrIsEEEEPS6_SG_NS0_5tupleIJSF_SF_EEENSH_IJSG_SG_EEES6_PlJ7is_evenIsEEEE10hipError_tPvRmT3_T4_T5_T6_T7_T9_mT8_P12ihipStream_tbDpT10_ENKUlT_T0_E_clISt17integral_constantIbLb0EES15_IbLb1EEEEDaS11_S12_EUlS11_E_NS1_11comp_targetILNS1_3genE0ELNS1_11target_archE4294967295ELNS1_3gpuE0ELNS1_3repE0EEENS1_30default_config_static_selectorELNS0_4arch9wavefront6targetE1EEEvT1_: ; @_ZN7rocprim17ROCPRIM_400000_NS6detail17trampoline_kernelINS0_14default_configENS1_25partition_config_selectorILNS1_17partition_subalgoE0EsNS0_10empty_typeEbEEZZNS1_14partition_implILS5_0ELb0ES3_jN6thrust23THRUST_200600_302600_NS6detail15normal_iteratorINSA_10device_ptrIsEEEEPS6_SG_NS0_5tupleIJSF_SF_EEENSH_IJSG_SG_EEES6_PlJ7is_evenIsEEEE10hipError_tPvRmT3_T4_T5_T6_T7_T9_mT8_P12ihipStream_tbDpT10_ENKUlT_T0_E_clISt17integral_constantIbLb0EES15_IbLb1EEEEDaS11_S12_EUlS11_E_NS1_11comp_targetILNS1_3genE0ELNS1_11target_archE4294967295ELNS1_3gpuE0ELNS1_3repE0EEENS1_30default_config_static_selectorELNS0_4arch9wavefront6targetE1EEEvT1_
; %bb.0:
	.section	.rodata,"a",@progbits
	.p2align	6, 0x0
	.amdhsa_kernel _ZN7rocprim17ROCPRIM_400000_NS6detail17trampoline_kernelINS0_14default_configENS1_25partition_config_selectorILNS1_17partition_subalgoE0EsNS0_10empty_typeEbEEZZNS1_14partition_implILS5_0ELb0ES3_jN6thrust23THRUST_200600_302600_NS6detail15normal_iteratorINSA_10device_ptrIsEEEEPS6_SG_NS0_5tupleIJSF_SF_EEENSH_IJSG_SG_EEES6_PlJ7is_evenIsEEEE10hipError_tPvRmT3_T4_T5_T6_T7_T9_mT8_P12ihipStream_tbDpT10_ENKUlT_T0_E_clISt17integral_constantIbLb0EES15_IbLb1EEEEDaS11_S12_EUlS11_E_NS1_11comp_targetILNS1_3genE0ELNS1_11target_archE4294967295ELNS1_3gpuE0ELNS1_3repE0EEENS1_30default_config_static_selectorELNS0_4arch9wavefront6targetE1EEEvT1_
		.amdhsa_group_segment_fixed_size 0
		.amdhsa_private_segment_fixed_size 0
		.amdhsa_kernarg_size 136
		.amdhsa_user_sgpr_count 2
		.amdhsa_user_sgpr_dispatch_ptr 0
		.amdhsa_user_sgpr_queue_ptr 0
		.amdhsa_user_sgpr_kernarg_segment_ptr 1
		.amdhsa_user_sgpr_dispatch_id 0
		.amdhsa_user_sgpr_kernarg_preload_length 0
		.amdhsa_user_sgpr_kernarg_preload_offset 0
		.amdhsa_user_sgpr_private_segment_size 0
		.amdhsa_uses_dynamic_stack 0
		.amdhsa_enable_private_segment 0
		.amdhsa_system_sgpr_workgroup_id_x 1
		.amdhsa_system_sgpr_workgroup_id_y 0
		.amdhsa_system_sgpr_workgroup_id_z 0
		.amdhsa_system_sgpr_workgroup_info 0
		.amdhsa_system_vgpr_workitem_id 0
		.amdhsa_next_free_vgpr 1
		.amdhsa_next_free_sgpr 0
		.amdhsa_accum_offset 4
		.amdhsa_reserve_vcc 0
		.amdhsa_float_round_mode_32 0
		.amdhsa_float_round_mode_16_64 0
		.amdhsa_float_denorm_mode_32 3
		.amdhsa_float_denorm_mode_16_64 3
		.amdhsa_dx10_clamp 1
		.amdhsa_ieee_mode 1
		.amdhsa_fp16_overflow 0
		.amdhsa_tg_split 0
		.amdhsa_exception_fp_ieee_invalid_op 0
		.amdhsa_exception_fp_denorm_src 0
		.amdhsa_exception_fp_ieee_div_zero 0
		.amdhsa_exception_fp_ieee_overflow 0
		.amdhsa_exception_fp_ieee_underflow 0
		.amdhsa_exception_fp_ieee_inexact 0
		.amdhsa_exception_int_div_zero 0
	.end_amdhsa_kernel
	.section	.text._ZN7rocprim17ROCPRIM_400000_NS6detail17trampoline_kernelINS0_14default_configENS1_25partition_config_selectorILNS1_17partition_subalgoE0EsNS0_10empty_typeEbEEZZNS1_14partition_implILS5_0ELb0ES3_jN6thrust23THRUST_200600_302600_NS6detail15normal_iteratorINSA_10device_ptrIsEEEEPS6_SG_NS0_5tupleIJSF_SF_EEENSH_IJSG_SG_EEES6_PlJ7is_evenIsEEEE10hipError_tPvRmT3_T4_T5_T6_T7_T9_mT8_P12ihipStream_tbDpT10_ENKUlT_T0_E_clISt17integral_constantIbLb0EES15_IbLb1EEEEDaS11_S12_EUlS11_E_NS1_11comp_targetILNS1_3genE0ELNS1_11target_archE4294967295ELNS1_3gpuE0ELNS1_3repE0EEENS1_30default_config_static_selectorELNS0_4arch9wavefront6targetE1EEEvT1_,"axG",@progbits,_ZN7rocprim17ROCPRIM_400000_NS6detail17trampoline_kernelINS0_14default_configENS1_25partition_config_selectorILNS1_17partition_subalgoE0EsNS0_10empty_typeEbEEZZNS1_14partition_implILS5_0ELb0ES3_jN6thrust23THRUST_200600_302600_NS6detail15normal_iteratorINSA_10device_ptrIsEEEEPS6_SG_NS0_5tupleIJSF_SF_EEENSH_IJSG_SG_EEES6_PlJ7is_evenIsEEEE10hipError_tPvRmT3_T4_T5_T6_T7_T9_mT8_P12ihipStream_tbDpT10_ENKUlT_T0_E_clISt17integral_constantIbLb0EES15_IbLb1EEEEDaS11_S12_EUlS11_E_NS1_11comp_targetILNS1_3genE0ELNS1_11target_archE4294967295ELNS1_3gpuE0ELNS1_3repE0EEENS1_30default_config_static_selectorELNS0_4arch9wavefront6targetE1EEEvT1_,comdat
.Lfunc_end377:
	.size	_ZN7rocprim17ROCPRIM_400000_NS6detail17trampoline_kernelINS0_14default_configENS1_25partition_config_selectorILNS1_17partition_subalgoE0EsNS0_10empty_typeEbEEZZNS1_14partition_implILS5_0ELb0ES3_jN6thrust23THRUST_200600_302600_NS6detail15normal_iteratorINSA_10device_ptrIsEEEEPS6_SG_NS0_5tupleIJSF_SF_EEENSH_IJSG_SG_EEES6_PlJ7is_evenIsEEEE10hipError_tPvRmT3_T4_T5_T6_T7_T9_mT8_P12ihipStream_tbDpT10_ENKUlT_T0_E_clISt17integral_constantIbLb0EES15_IbLb1EEEEDaS11_S12_EUlS11_E_NS1_11comp_targetILNS1_3genE0ELNS1_11target_archE4294967295ELNS1_3gpuE0ELNS1_3repE0EEENS1_30default_config_static_selectorELNS0_4arch9wavefront6targetE1EEEvT1_, .Lfunc_end377-_ZN7rocprim17ROCPRIM_400000_NS6detail17trampoline_kernelINS0_14default_configENS1_25partition_config_selectorILNS1_17partition_subalgoE0EsNS0_10empty_typeEbEEZZNS1_14partition_implILS5_0ELb0ES3_jN6thrust23THRUST_200600_302600_NS6detail15normal_iteratorINSA_10device_ptrIsEEEEPS6_SG_NS0_5tupleIJSF_SF_EEENSH_IJSG_SG_EEES6_PlJ7is_evenIsEEEE10hipError_tPvRmT3_T4_T5_T6_T7_T9_mT8_P12ihipStream_tbDpT10_ENKUlT_T0_E_clISt17integral_constantIbLb0EES15_IbLb1EEEEDaS11_S12_EUlS11_E_NS1_11comp_targetILNS1_3genE0ELNS1_11target_archE4294967295ELNS1_3gpuE0ELNS1_3repE0EEENS1_30default_config_static_selectorELNS0_4arch9wavefront6targetE1EEEvT1_
                                        ; -- End function
	.section	.AMDGPU.csdata,"",@progbits
; Kernel info:
; codeLenInByte = 0
; NumSgprs: 6
; NumVgprs: 0
; NumAgprs: 0
; TotalNumVgprs: 0
; ScratchSize: 0
; MemoryBound: 0
; FloatMode: 240
; IeeeMode: 1
; LDSByteSize: 0 bytes/workgroup (compile time only)
; SGPRBlocks: 0
; VGPRBlocks: 0
; NumSGPRsForWavesPerEU: 6
; NumVGPRsForWavesPerEU: 1
; AccumOffset: 4
; Occupancy: 8
; WaveLimiterHint : 0
; COMPUTE_PGM_RSRC2:SCRATCH_EN: 0
; COMPUTE_PGM_RSRC2:USER_SGPR: 2
; COMPUTE_PGM_RSRC2:TRAP_HANDLER: 0
; COMPUTE_PGM_RSRC2:TGID_X_EN: 1
; COMPUTE_PGM_RSRC2:TGID_Y_EN: 0
; COMPUTE_PGM_RSRC2:TGID_Z_EN: 0
; COMPUTE_PGM_RSRC2:TIDIG_COMP_CNT: 0
; COMPUTE_PGM_RSRC3_GFX90A:ACCUM_OFFSET: 0
; COMPUTE_PGM_RSRC3_GFX90A:TG_SPLIT: 0
	.section	.text._ZN7rocprim17ROCPRIM_400000_NS6detail17trampoline_kernelINS0_14default_configENS1_25partition_config_selectorILNS1_17partition_subalgoE0EsNS0_10empty_typeEbEEZZNS1_14partition_implILS5_0ELb0ES3_jN6thrust23THRUST_200600_302600_NS6detail15normal_iteratorINSA_10device_ptrIsEEEEPS6_SG_NS0_5tupleIJSF_SF_EEENSH_IJSG_SG_EEES6_PlJ7is_evenIsEEEE10hipError_tPvRmT3_T4_T5_T6_T7_T9_mT8_P12ihipStream_tbDpT10_ENKUlT_T0_E_clISt17integral_constantIbLb0EES15_IbLb1EEEEDaS11_S12_EUlS11_E_NS1_11comp_targetILNS1_3genE5ELNS1_11target_archE942ELNS1_3gpuE9ELNS1_3repE0EEENS1_30default_config_static_selectorELNS0_4arch9wavefront6targetE1EEEvT1_,"axG",@progbits,_ZN7rocprim17ROCPRIM_400000_NS6detail17trampoline_kernelINS0_14default_configENS1_25partition_config_selectorILNS1_17partition_subalgoE0EsNS0_10empty_typeEbEEZZNS1_14partition_implILS5_0ELb0ES3_jN6thrust23THRUST_200600_302600_NS6detail15normal_iteratorINSA_10device_ptrIsEEEEPS6_SG_NS0_5tupleIJSF_SF_EEENSH_IJSG_SG_EEES6_PlJ7is_evenIsEEEE10hipError_tPvRmT3_T4_T5_T6_T7_T9_mT8_P12ihipStream_tbDpT10_ENKUlT_T0_E_clISt17integral_constantIbLb0EES15_IbLb1EEEEDaS11_S12_EUlS11_E_NS1_11comp_targetILNS1_3genE5ELNS1_11target_archE942ELNS1_3gpuE9ELNS1_3repE0EEENS1_30default_config_static_selectorELNS0_4arch9wavefront6targetE1EEEvT1_,comdat
	.protected	_ZN7rocprim17ROCPRIM_400000_NS6detail17trampoline_kernelINS0_14default_configENS1_25partition_config_selectorILNS1_17partition_subalgoE0EsNS0_10empty_typeEbEEZZNS1_14partition_implILS5_0ELb0ES3_jN6thrust23THRUST_200600_302600_NS6detail15normal_iteratorINSA_10device_ptrIsEEEEPS6_SG_NS0_5tupleIJSF_SF_EEENSH_IJSG_SG_EEES6_PlJ7is_evenIsEEEE10hipError_tPvRmT3_T4_T5_T6_T7_T9_mT8_P12ihipStream_tbDpT10_ENKUlT_T0_E_clISt17integral_constantIbLb0EES15_IbLb1EEEEDaS11_S12_EUlS11_E_NS1_11comp_targetILNS1_3genE5ELNS1_11target_archE942ELNS1_3gpuE9ELNS1_3repE0EEENS1_30default_config_static_selectorELNS0_4arch9wavefront6targetE1EEEvT1_ ; -- Begin function _ZN7rocprim17ROCPRIM_400000_NS6detail17trampoline_kernelINS0_14default_configENS1_25partition_config_selectorILNS1_17partition_subalgoE0EsNS0_10empty_typeEbEEZZNS1_14partition_implILS5_0ELb0ES3_jN6thrust23THRUST_200600_302600_NS6detail15normal_iteratorINSA_10device_ptrIsEEEEPS6_SG_NS0_5tupleIJSF_SF_EEENSH_IJSG_SG_EEES6_PlJ7is_evenIsEEEE10hipError_tPvRmT3_T4_T5_T6_T7_T9_mT8_P12ihipStream_tbDpT10_ENKUlT_T0_E_clISt17integral_constantIbLb0EES15_IbLb1EEEEDaS11_S12_EUlS11_E_NS1_11comp_targetILNS1_3genE5ELNS1_11target_archE942ELNS1_3gpuE9ELNS1_3repE0EEENS1_30default_config_static_selectorELNS0_4arch9wavefront6targetE1EEEvT1_
	.globl	_ZN7rocprim17ROCPRIM_400000_NS6detail17trampoline_kernelINS0_14default_configENS1_25partition_config_selectorILNS1_17partition_subalgoE0EsNS0_10empty_typeEbEEZZNS1_14partition_implILS5_0ELb0ES3_jN6thrust23THRUST_200600_302600_NS6detail15normal_iteratorINSA_10device_ptrIsEEEEPS6_SG_NS0_5tupleIJSF_SF_EEENSH_IJSG_SG_EEES6_PlJ7is_evenIsEEEE10hipError_tPvRmT3_T4_T5_T6_T7_T9_mT8_P12ihipStream_tbDpT10_ENKUlT_T0_E_clISt17integral_constantIbLb0EES15_IbLb1EEEEDaS11_S12_EUlS11_E_NS1_11comp_targetILNS1_3genE5ELNS1_11target_archE942ELNS1_3gpuE9ELNS1_3repE0EEENS1_30default_config_static_selectorELNS0_4arch9wavefront6targetE1EEEvT1_
	.p2align	8
	.type	_ZN7rocprim17ROCPRIM_400000_NS6detail17trampoline_kernelINS0_14default_configENS1_25partition_config_selectorILNS1_17partition_subalgoE0EsNS0_10empty_typeEbEEZZNS1_14partition_implILS5_0ELb0ES3_jN6thrust23THRUST_200600_302600_NS6detail15normal_iteratorINSA_10device_ptrIsEEEEPS6_SG_NS0_5tupleIJSF_SF_EEENSH_IJSG_SG_EEES6_PlJ7is_evenIsEEEE10hipError_tPvRmT3_T4_T5_T6_T7_T9_mT8_P12ihipStream_tbDpT10_ENKUlT_T0_E_clISt17integral_constantIbLb0EES15_IbLb1EEEEDaS11_S12_EUlS11_E_NS1_11comp_targetILNS1_3genE5ELNS1_11target_archE942ELNS1_3gpuE9ELNS1_3repE0EEENS1_30default_config_static_selectorELNS0_4arch9wavefront6targetE1EEEvT1_,@function
_ZN7rocprim17ROCPRIM_400000_NS6detail17trampoline_kernelINS0_14default_configENS1_25partition_config_selectorILNS1_17partition_subalgoE0EsNS0_10empty_typeEbEEZZNS1_14partition_implILS5_0ELb0ES3_jN6thrust23THRUST_200600_302600_NS6detail15normal_iteratorINSA_10device_ptrIsEEEEPS6_SG_NS0_5tupleIJSF_SF_EEENSH_IJSG_SG_EEES6_PlJ7is_evenIsEEEE10hipError_tPvRmT3_T4_T5_T6_T7_T9_mT8_P12ihipStream_tbDpT10_ENKUlT_T0_E_clISt17integral_constantIbLb0EES15_IbLb1EEEEDaS11_S12_EUlS11_E_NS1_11comp_targetILNS1_3genE5ELNS1_11target_archE942ELNS1_3gpuE9ELNS1_3repE0EEENS1_30default_config_static_selectorELNS0_4arch9wavefront6targetE1EEEvT1_: ; @_ZN7rocprim17ROCPRIM_400000_NS6detail17trampoline_kernelINS0_14default_configENS1_25partition_config_selectorILNS1_17partition_subalgoE0EsNS0_10empty_typeEbEEZZNS1_14partition_implILS5_0ELb0ES3_jN6thrust23THRUST_200600_302600_NS6detail15normal_iteratorINSA_10device_ptrIsEEEEPS6_SG_NS0_5tupleIJSF_SF_EEENSH_IJSG_SG_EEES6_PlJ7is_evenIsEEEE10hipError_tPvRmT3_T4_T5_T6_T7_T9_mT8_P12ihipStream_tbDpT10_ENKUlT_T0_E_clISt17integral_constantIbLb0EES15_IbLb1EEEEDaS11_S12_EUlS11_E_NS1_11comp_targetILNS1_3genE5ELNS1_11target_archE942ELNS1_3gpuE9ELNS1_3repE0EEENS1_30default_config_static_selectorELNS0_4arch9wavefront6targetE1EEEvT1_
; %bb.0:
	s_load_dwordx2 s[2:3], s[0:1], 0x58
	s_load_dwordx4 s[24:27], s[0:1], 0x48
	s_load_dwordx2 s[34:35], s[0:1], 0x68
	v_cmp_eq_u32_e64 s[20:21], 0, v0
	s_and_saveexec_b64 s[4:5], s[20:21]
	s_cbranch_execz .LBB378_4
; %bb.1:
	s_mov_b64 s[8:9], exec
	v_mbcnt_lo_u32_b32 v1, s8, 0
	v_mbcnt_hi_u32_b32 v1, s9, v1
	v_cmp_eq_u32_e32 vcc, 0, v1
                                        ; implicit-def: $vgpr2
	s_and_saveexec_b64 s[6:7], vcc
	s_cbranch_execz .LBB378_3
; %bb.2:
	s_load_dwordx2 s[10:11], s[0:1], 0x78
	s_bcnt1_i32_b64 s8, s[8:9]
	v_mov_b32_e32 v2, 0
	v_mov_b32_e32 v3, s8
	s_waitcnt lgkmcnt(0)
	global_atomic_add v2, v2, v3, s[10:11] sc0
.LBB378_3:
	s_or_b64 exec, exec, s[6:7]
	s_waitcnt vmcnt(0)
	v_readfirstlane_b32 s6, v2
	v_mov_b32_e32 v2, 0
	s_nop 0
	v_add_u32_e32 v1, s6, v1
	ds_write_b32 v2, v1
.LBB378_4:
	s_or_b64 exec, exec, s[4:5]
	v_mov_b32_e32 v3, 0
	s_load_dwordx4 s[36:39], s[0:1], 0x8
	s_load_dwordx4 s[28:31], s[0:1], 0x28
	s_load_dword s4, s[0:1], 0x70
	s_waitcnt lgkmcnt(0)
	s_barrier
	ds_read_b32 v1, v3
	s_waitcnt lgkmcnt(0)
	s_barrier
	global_load_dwordx2 v[4:5], v3, s[26:27]
	v_mov_b32_e32 v7, s3
	s_lshl_b64 s[0:1], s[38:39], 1
	s_movk_i32 s3, 0x3c00
	s_add_u32 s0, s36, s0
	v_mul_lo_u32 v2, v1, s3
	s_mul_i32 s3, s4, 0x3c00
	s_addc_u32 s1, s37, s1
	s_add_i32 s5, s4, -1
	s_add_i32 s4, s3, s38
	s_sub_i32 s33, s2, s4
	s_addk_i32 s33, 0x3c00
	v_mov_b32_e32 v6, s2
	s_add_u32 s2, s38, s3
	v_readfirstlane_b32 s40, v1
	s_addc_u32 s3, s39, 0
	s_cmp_eq_u32 s40, s5
	s_cselect_b64 s[22:23], -1, 0
	s_cmp_lg_u32 s40, s5
	v_cmp_lt_u64_e32 vcc, s[2:3], v[6:7]
	s_cselect_b64 s[2:3], -1, 0
	s_or_b64 s[4:5], vcc, s[2:3]
	v_lshlrev_b64 v[6:7], 1, v[2:3]
	v_lshl_add_u64 v[8:9], s[0:1], 0, v[6:7]
	s_mov_b64 s[0:1], -1
	s_and_b64 vcc, exec, s[4:5]
	v_lshlrev_b32_e32 v2, 1, v0
	s_cbranch_vccz .LBB378_6
; %bb.5:
	v_lshl_add_u64 v[10:11], v[8:9], 0, v[2:3]
	v_add_co_u32_e32 v12, vcc, 0x1000, v10
	s_mov_b64 s[0:1], 0
	s_nop 0
	v_addc_co_u32_e32 v13, vcc, 0, v11, vcc
	flat_load_ushort v1, v[10:11]
	flat_load_ushort v3, v[10:11] offset:1024
	flat_load_ushort v16, v[10:11] offset:2048
	flat_load_ushort v17, v[10:11] offset:3072
	flat_load_ushort v18, v[12:13]
	flat_load_ushort v19, v[12:13] offset:1024
	flat_load_ushort v20, v[12:13] offset:2048
	flat_load_ushort v21, v[12:13] offset:3072
	v_add_co_u32_e32 v12, vcc, 0x2000, v10
	s_nop 1
	v_addc_co_u32_e32 v13, vcc, 0, v11, vcc
	v_add_co_u32_e32 v14, vcc, 0x3000, v10
	s_nop 1
	v_addc_co_u32_e32 v15, vcc, 0, v11, vcc
	flat_load_ushort v22, v[12:13]
	flat_load_ushort v23, v[12:13] offset:1024
	flat_load_ushort v24, v[12:13] offset:2048
	flat_load_ushort v25, v[12:13] offset:3072
	flat_load_ushort v26, v[14:15]
	flat_load_ushort v27, v[14:15] offset:1024
	flat_load_ushort v28, v[14:15] offset:2048
	flat_load_ushort v29, v[14:15] offset:3072
	v_add_co_u32_e32 v12, vcc, 0x4000, v10
	s_nop 1
	v_addc_co_u32_e32 v13, vcc, 0, v11, vcc
	v_add_co_u32_e32 v14, vcc, 0x5000, v10
	;; [unrolled: 14-line block ×3, first 2 shown]
	s_nop 1
	v_addc_co_u32_e32 v11, vcc, 0, v11, vcc
	flat_load_ushort v14, v[12:13]
	flat_load_ushort v15, v[12:13] offset:1024
	flat_load_ushort v38, v[12:13] offset:2048
	flat_load_ushort v39, v[12:13] offset:3072
	flat_load_ushort v40, v[10:11]
	flat_load_ushort v41, v[10:11] offset:1024
	s_waitcnt vmcnt(0) lgkmcnt(0)
	ds_write_b16 v2, v1
	ds_write_b16 v2, v3 offset:1024
	ds_write_b16 v2, v16 offset:2048
	;; [unrolled: 1-line block ×29, first 2 shown]
	s_waitcnt lgkmcnt(0)
	s_barrier
.LBB378_6:
	s_andn2_b64 vcc, exec, s[0:1]
	v_cmp_gt_u32_e64 s[0:1], s33, v0
	s_cbranch_vccnz .LBB378_68
; %bb.7:
                                        ; implicit-def: $vgpr1
	s_and_saveexec_b64 s[2:3], s[0:1]
	s_cbranch_execz .LBB378_9
; %bb.8:
	v_mov_b32_e32 v3, 0
	v_lshl_add_u64 v[10:11], v[8:9], 0, v[2:3]
	flat_load_ushort v1, v[10:11]
.LBB378_9:
	s_or_b64 exec, exec, s[2:3]
	v_or_b32_e32 v3, 0x200, v0
	v_cmp_gt_u32_e32 vcc, s33, v3
                                        ; implicit-def: $vgpr10
	s_and_saveexec_b64 s[0:1], vcc
	s_cbranch_execz .LBB378_11
; %bb.10:
	v_mov_b32_e32 v3, 0
	v_lshl_add_u64 v[10:11], v[8:9], 0, v[2:3]
	flat_load_ushort v10, v[10:11] offset:1024
.LBB378_11:
	s_or_b64 exec, exec, s[0:1]
	v_or_b32_e32 v3, 0x400, v0
	v_cmp_gt_u32_e32 vcc, s33, v3
                                        ; implicit-def: $vgpr11
	s_and_saveexec_b64 s[0:1], vcc
	s_cbranch_execz .LBB378_13
; %bb.12:
	v_mov_b32_e32 v3, 0
	v_lshl_add_u64 v[12:13], v[8:9], 0, v[2:3]
	flat_load_ushort v11, v[12:13] offset:2048
.LBB378_13:
	s_or_b64 exec, exec, s[0:1]
	v_or_b32_e32 v3, 0x600, v0
	v_cmp_gt_u32_e32 vcc, s33, v3
                                        ; implicit-def: $vgpr3
	s_and_saveexec_b64 s[0:1], vcc
	s_cbranch_execz .LBB378_15
; %bb.14:
	v_mov_b32_e32 v3, 0
	v_lshl_add_u64 v[12:13], v[8:9], 0, v[2:3]
	flat_load_ushort v3, v[12:13] offset:3072
.LBB378_15:
	s_or_b64 exec, exec, s[0:1]
	v_or_b32_e32 v13, 0x800, v0
	v_cmp_gt_u32_e32 vcc, s33, v13
                                        ; implicit-def: $vgpr12
	s_and_saveexec_b64 s[0:1], vcc
	s_cbranch_execz .LBB378_17
; %bb.16:
	v_lshlrev_b32_e32 v12, 1, v13
	v_mov_b32_e32 v13, 0
	v_lshl_add_u64 v[12:13], v[8:9], 0, v[12:13]
	flat_load_ushort v12, v[12:13]
.LBB378_17:
	s_or_b64 exec, exec, s[0:1]
	v_or_b32_e32 v14, 0xa00, v0
	v_cmp_gt_u32_e32 vcc, s33, v14
                                        ; implicit-def: $vgpr13
	s_and_saveexec_b64 s[0:1], vcc
	s_cbranch_execz .LBB378_19
; %bb.18:
	v_lshlrev_b32_e32 v14, 1, v14
	v_mov_b32_e32 v15, 0
	v_lshl_add_u64 v[14:15], v[8:9], 0, v[14:15]
	flat_load_ushort v13, v[14:15]
.LBB378_19:
	s_or_b64 exec, exec, s[0:1]
	v_or_b32_e32 v15, 0xc00, v0
	v_cmp_gt_u32_e32 vcc, s33, v15
                                        ; implicit-def: $vgpr14
	s_and_saveexec_b64 s[0:1], vcc
	s_cbranch_execz .LBB378_21
; %bb.20:
	v_lshlrev_b32_e32 v14, 1, v15
	v_mov_b32_e32 v15, 0
	v_lshl_add_u64 v[14:15], v[8:9], 0, v[14:15]
	flat_load_ushort v14, v[14:15]
.LBB378_21:
	s_or_b64 exec, exec, s[0:1]
	v_or_b32_e32 v16, 0xe00, v0
	v_cmp_gt_u32_e32 vcc, s33, v16
                                        ; implicit-def: $vgpr15
	s_and_saveexec_b64 s[0:1], vcc
	s_cbranch_execz .LBB378_23
; %bb.22:
	v_lshlrev_b32_e32 v16, 1, v16
	v_mov_b32_e32 v17, 0
	v_lshl_add_u64 v[16:17], v[8:9], 0, v[16:17]
	flat_load_ushort v15, v[16:17]
.LBB378_23:
	s_or_b64 exec, exec, s[0:1]
	v_or_b32_e32 v17, 0x1000, v0
	v_cmp_gt_u32_e32 vcc, s33, v17
                                        ; implicit-def: $vgpr16
	s_and_saveexec_b64 s[0:1], vcc
	s_cbranch_execz .LBB378_25
; %bb.24:
	v_lshlrev_b32_e32 v16, 1, v17
	v_mov_b32_e32 v17, 0
	v_lshl_add_u64 v[16:17], v[8:9], 0, v[16:17]
	flat_load_ushort v16, v[16:17]
.LBB378_25:
	s_or_b64 exec, exec, s[0:1]
	v_or_b32_e32 v18, 0x1200, v0
	v_cmp_gt_u32_e32 vcc, s33, v18
                                        ; implicit-def: $vgpr17
	s_and_saveexec_b64 s[0:1], vcc
	s_cbranch_execz .LBB378_27
; %bb.26:
	v_lshlrev_b32_e32 v18, 1, v18
	v_mov_b32_e32 v19, 0
	v_lshl_add_u64 v[18:19], v[8:9], 0, v[18:19]
	flat_load_ushort v17, v[18:19]
.LBB378_27:
	s_or_b64 exec, exec, s[0:1]
	v_or_b32_e32 v19, 0x1400, v0
	v_cmp_gt_u32_e32 vcc, s33, v19
                                        ; implicit-def: $vgpr18
	s_and_saveexec_b64 s[0:1], vcc
	s_cbranch_execz .LBB378_29
; %bb.28:
	v_lshlrev_b32_e32 v18, 1, v19
	v_mov_b32_e32 v19, 0
	v_lshl_add_u64 v[18:19], v[8:9], 0, v[18:19]
	flat_load_ushort v18, v[18:19]
.LBB378_29:
	s_or_b64 exec, exec, s[0:1]
	v_or_b32_e32 v20, 0x1600, v0
	v_cmp_gt_u32_e32 vcc, s33, v20
                                        ; implicit-def: $vgpr19
	s_and_saveexec_b64 s[0:1], vcc
	s_cbranch_execz .LBB378_31
; %bb.30:
	v_lshlrev_b32_e32 v20, 1, v20
	v_mov_b32_e32 v21, 0
	v_lshl_add_u64 v[20:21], v[8:9], 0, v[20:21]
	flat_load_ushort v19, v[20:21]
.LBB378_31:
	s_or_b64 exec, exec, s[0:1]
	v_or_b32_e32 v21, 0x1800, v0
	v_cmp_gt_u32_e32 vcc, s33, v21
                                        ; implicit-def: $vgpr20
	s_and_saveexec_b64 s[0:1], vcc
	s_cbranch_execz .LBB378_33
; %bb.32:
	v_lshlrev_b32_e32 v20, 1, v21
	v_mov_b32_e32 v21, 0
	v_lshl_add_u64 v[20:21], v[8:9], 0, v[20:21]
	flat_load_ushort v20, v[20:21]
.LBB378_33:
	s_or_b64 exec, exec, s[0:1]
	v_or_b32_e32 v22, 0x1a00, v0
	v_cmp_gt_u32_e32 vcc, s33, v22
                                        ; implicit-def: $vgpr21
	s_and_saveexec_b64 s[0:1], vcc
	s_cbranch_execz .LBB378_35
; %bb.34:
	v_lshlrev_b32_e32 v22, 1, v22
	v_mov_b32_e32 v23, 0
	v_lshl_add_u64 v[22:23], v[8:9], 0, v[22:23]
	flat_load_ushort v21, v[22:23]
.LBB378_35:
	s_or_b64 exec, exec, s[0:1]
	v_or_b32_e32 v23, 0x1c00, v0
	v_cmp_gt_u32_e32 vcc, s33, v23
                                        ; implicit-def: $vgpr22
	s_and_saveexec_b64 s[0:1], vcc
	s_cbranch_execz .LBB378_37
; %bb.36:
	v_lshlrev_b32_e32 v22, 1, v23
	v_mov_b32_e32 v23, 0
	v_lshl_add_u64 v[22:23], v[8:9], 0, v[22:23]
	flat_load_ushort v22, v[22:23]
.LBB378_37:
	s_or_b64 exec, exec, s[0:1]
	v_or_b32_e32 v24, 0x1e00, v0
	v_cmp_gt_u32_e32 vcc, s33, v24
                                        ; implicit-def: $vgpr23
	s_and_saveexec_b64 s[0:1], vcc
	s_cbranch_execz .LBB378_39
; %bb.38:
	v_lshlrev_b32_e32 v24, 1, v24
	v_mov_b32_e32 v25, 0
	v_lshl_add_u64 v[24:25], v[8:9], 0, v[24:25]
	flat_load_ushort v23, v[24:25]
.LBB378_39:
	s_or_b64 exec, exec, s[0:1]
	v_or_b32_e32 v25, 0x2000, v0
	v_cmp_gt_u32_e32 vcc, s33, v25
                                        ; implicit-def: $vgpr24
	s_and_saveexec_b64 s[0:1], vcc
	s_cbranch_execz .LBB378_41
; %bb.40:
	v_lshlrev_b32_e32 v24, 1, v25
	v_mov_b32_e32 v25, 0
	v_lshl_add_u64 v[24:25], v[8:9], 0, v[24:25]
	flat_load_ushort v24, v[24:25]
.LBB378_41:
	s_or_b64 exec, exec, s[0:1]
	v_or_b32_e32 v26, 0x2200, v0
	v_cmp_gt_u32_e32 vcc, s33, v26
                                        ; implicit-def: $vgpr25
	s_and_saveexec_b64 s[0:1], vcc
	s_cbranch_execz .LBB378_43
; %bb.42:
	v_lshlrev_b32_e32 v26, 1, v26
	v_mov_b32_e32 v27, 0
	v_lshl_add_u64 v[26:27], v[8:9], 0, v[26:27]
	flat_load_ushort v25, v[26:27]
.LBB378_43:
	s_or_b64 exec, exec, s[0:1]
	v_or_b32_e32 v27, 0x2400, v0
	v_cmp_gt_u32_e32 vcc, s33, v27
                                        ; implicit-def: $vgpr26
	s_and_saveexec_b64 s[0:1], vcc
	s_cbranch_execz .LBB378_45
; %bb.44:
	v_lshlrev_b32_e32 v26, 1, v27
	v_mov_b32_e32 v27, 0
	v_lshl_add_u64 v[26:27], v[8:9], 0, v[26:27]
	flat_load_ushort v26, v[26:27]
.LBB378_45:
	s_or_b64 exec, exec, s[0:1]
	v_or_b32_e32 v28, 0x2600, v0
	v_cmp_gt_u32_e32 vcc, s33, v28
                                        ; implicit-def: $vgpr27
	s_and_saveexec_b64 s[0:1], vcc
	s_cbranch_execz .LBB378_47
; %bb.46:
	v_lshlrev_b32_e32 v28, 1, v28
	v_mov_b32_e32 v29, 0
	v_lshl_add_u64 v[28:29], v[8:9], 0, v[28:29]
	flat_load_ushort v27, v[28:29]
.LBB378_47:
	s_or_b64 exec, exec, s[0:1]
	v_or_b32_e32 v29, 0x2800, v0
	v_cmp_gt_u32_e32 vcc, s33, v29
                                        ; implicit-def: $vgpr28
	s_and_saveexec_b64 s[0:1], vcc
	s_cbranch_execz .LBB378_49
; %bb.48:
	v_lshlrev_b32_e32 v28, 1, v29
	v_mov_b32_e32 v29, 0
	v_lshl_add_u64 v[28:29], v[8:9], 0, v[28:29]
	flat_load_ushort v28, v[28:29]
.LBB378_49:
	s_or_b64 exec, exec, s[0:1]
	v_or_b32_e32 v30, 0x2a00, v0
	v_cmp_gt_u32_e32 vcc, s33, v30
                                        ; implicit-def: $vgpr29
	s_and_saveexec_b64 s[0:1], vcc
	s_cbranch_execz .LBB378_51
; %bb.50:
	v_lshlrev_b32_e32 v30, 1, v30
	v_mov_b32_e32 v31, 0
	v_lshl_add_u64 v[30:31], v[8:9], 0, v[30:31]
	flat_load_ushort v29, v[30:31]
.LBB378_51:
	s_or_b64 exec, exec, s[0:1]
	v_or_b32_e32 v31, 0x2c00, v0
	v_cmp_gt_u32_e32 vcc, s33, v31
                                        ; implicit-def: $vgpr30
	s_and_saveexec_b64 s[0:1], vcc
	s_cbranch_execz .LBB378_53
; %bb.52:
	v_lshlrev_b32_e32 v30, 1, v31
	v_mov_b32_e32 v31, 0
	v_lshl_add_u64 v[30:31], v[8:9], 0, v[30:31]
	flat_load_ushort v30, v[30:31]
.LBB378_53:
	s_or_b64 exec, exec, s[0:1]
	v_or_b32_e32 v32, 0x2e00, v0
	v_cmp_gt_u32_e32 vcc, s33, v32
                                        ; implicit-def: $vgpr31
	s_and_saveexec_b64 s[0:1], vcc
	s_cbranch_execz .LBB378_55
; %bb.54:
	v_lshlrev_b32_e32 v32, 1, v32
	v_mov_b32_e32 v33, 0
	v_lshl_add_u64 v[32:33], v[8:9], 0, v[32:33]
	flat_load_ushort v31, v[32:33]
.LBB378_55:
	s_or_b64 exec, exec, s[0:1]
	v_or_b32_e32 v33, 0x3000, v0
	v_cmp_gt_u32_e32 vcc, s33, v33
                                        ; implicit-def: $vgpr32
	s_and_saveexec_b64 s[0:1], vcc
	s_cbranch_execz .LBB378_57
; %bb.56:
	v_lshlrev_b32_e32 v32, 1, v33
	v_mov_b32_e32 v33, 0
	v_lshl_add_u64 v[32:33], v[8:9], 0, v[32:33]
	flat_load_ushort v32, v[32:33]
.LBB378_57:
	s_or_b64 exec, exec, s[0:1]
	v_or_b32_e32 v34, 0x3200, v0
	v_cmp_gt_u32_e32 vcc, s33, v34
                                        ; implicit-def: $vgpr33
	s_and_saveexec_b64 s[0:1], vcc
	s_cbranch_execz .LBB378_59
; %bb.58:
	v_lshlrev_b32_e32 v34, 1, v34
	v_mov_b32_e32 v35, 0
	v_lshl_add_u64 v[34:35], v[8:9], 0, v[34:35]
	flat_load_ushort v33, v[34:35]
.LBB378_59:
	s_or_b64 exec, exec, s[0:1]
	v_or_b32_e32 v35, 0x3400, v0
	v_cmp_gt_u32_e32 vcc, s33, v35
                                        ; implicit-def: $vgpr34
	s_and_saveexec_b64 s[0:1], vcc
	s_cbranch_execz .LBB378_61
; %bb.60:
	v_lshlrev_b32_e32 v34, 1, v35
	v_mov_b32_e32 v35, 0
	v_lshl_add_u64 v[34:35], v[8:9], 0, v[34:35]
	flat_load_ushort v34, v[34:35]
.LBB378_61:
	s_or_b64 exec, exec, s[0:1]
	v_or_b32_e32 v36, 0x3600, v0
	v_cmp_gt_u32_e32 vcc, s33, v36
                                        ; implicit-def: $vgpr35
	s_and_saveexec_b64 s[0:1], vcc
	s_cbranch_execz .LBB378_63
; %bb.62:
	v_lshlrev_b32_e32 v36, 1, v36
	v_mov_b32_e32 v37, 0
	v_lshl_add_u64 v[36:37], v[8:9], 0, v[36:37]
	flat_load_ushort v35, v[36:37]
.LBB378_63:
	s_or_b64 exec, exec, s[0:1]
	v_or_b32_e32 v37, 0x3800, v0
	v_cmp_gt_u32_e32 vcc, s33, v37
                                        ; implicit-def: $vgpr36
	s_and_saveexec_b64 s[0:1], vcc
	s_cbranch_execz .LBB378_65
; %bb.64:
	v_lshlrev_b32_e32 v36, 1, v37
	v_mov_b32_e32 v37, 0
	v_lshl_add_u64 v[36:37], v[8:9], 0, v[36:37]
	flat_load_ushort v36, v[36:37]
.LBB378_65:
	s_or_b64 exec, exec, s[0:1]
	v_or_b32_e32 v38, 0x3a00, v0
	v_cmp_gt_u32_e32 vcc, s33, v38
                                        ; implicit-def: $vgpr37
	s_and_saveexec_b64 s[0:1], vcc
	s_cbranch_execz .LBB378_67
; %bb.66:
	v_lshlrev_b32_e32 v38, 1, v38
	v_mov_b32_e32 v39, 0
	v_lshl_add_u64 v[8:9], v[8:9], 0, v[38:39]
	flat_load_ushort v37, v[8:9]
.LBB378_67:
	s_or_b64 exec, exec, s[0:1]
	s_waitcnt vmcnt(0) lgkmcnt(0)
	ds_write_b16 v2, v1
	ds_write_b16 v2, v10 offset:1024
	ds_write_b16 v2, v11 offset:2048
	;; [unrolled: 1-line block ×29, first 2 shown]
	s_waitcnt lgkmcnt(0)
	s_barrier
.LBB378_68:
	v_mul_u32_u24_e32 v44, 30, v0
	v_lshlrev_b32_e32 v8, 1, v44
	ds_read_b32 v3, v8 offset:56
	ds_read2_b32 v[10:11], v8 offset0:12 offset1:13
	ds_read2_b32 v[12:13], v8 offset0:10 offset1:11
	ds_read2_b32 v[14:15], v8 offset0:8 offset1:9
	ds_read2_b32 v[22:23], v8 offset1:1
	ds_read2_b32 v[20:21], v8 offset0:2 offset1:3
	ds_read2_b32 v[18:19], v8 offset0:4 offset1:5
	;; [unrolled: 1-line block ×3, first 2 shown]
	s_waitcnt lgkmcnt(7)
	v_lshrrev_b32_e32 v1, 16, v3
	s_waitcnt lgkmcnt(6)
	v_lshrrev_b32_e32 v33, 16, v10
	v_lshrrev_b32_e32 v32, 16, v11
	s_waitcnt lgkmcnt(5)
	v_lshrrev_b32_e32 v35, 16, v12
	;; [unrolled: 3-line block ×6, first 2 shown]
	v_lshrrev_b32_e32 v38, 16, v17
	v_lshrrev_b32_e32 v37, 16, v14
	v_lshrrev_b32_e32 v36, 16, v15
	v_cndmask_b32_e64 v8, 0, 1, s[4:5]
	v_cmp_ne_u32_e64 s[2:3], 1, v8
	s_andn2_b64 vcc, exec, s[4:5]
	v_xor_b32_e32 v96, -1, v22
	v_xor_b32_e32 v95, -1, v46
	;; [unrolled: 1-line block ×30, first 2 shown]
	s_barrier
	s_cbranch_vccnz .LBB378_70
; %bb.69:
	v_and_b32_e32 v76, 1, v96
	v_and_b32_e32 v75, 1, v95
	;; [unrolled: 1-line block ×30, first 2 shown]
	s_cbranch_execz .LBB378_71
	s_branch .LBB378_72
.LBB378_70:
                                        ; implicit-def: $vgpr76
                                        ; implicit-def: $vgpr75
                                        ; implicit-def: $vgpr74
                                        ; implicit-def: $vgpr73
                                        ; implicit-def: $vgpr72
                                        ; implicit-def: $vgpr71
                                        ; implicit-def: $vgpr70
                                        ; implicit-def: $vgpr69
                                        ; implicit-def: $vgpr68
                                        ; implicit-def: $vgpr67
                                        ; implicit-def: $vgpr66
                                        ; implicit-def: $vgpr65
                                        ; implicit-def: $vgpr64
                                        ; implicit-def: $vgpr63
                                        ; implicit-def: $vgpr62
                                        ; implicit-def: $vgpr61
                                        ; implicit-def: $vgpr60
                                        ; implicit-def: $vgpr59
                                        ; implicit-def: $vgpr58
                                        ; implicit-def: $vgpr57
                                        ; implicit-def: $vgpr56
                                        ; implicit-def: $vgpr55
                                        ; implicit-def: $vgpr54
                                        ; implicit-def: $vgpr53
                                        ; implicit-def: $vgpr52
                                        ; implicit-def: $vgpr51
                                        ; implicit-def: $vgpr50
                                        ; implicit-def: $vgpr49
                                        ; implicit-def: $vgpr47
                                        ; implicit-def: $vgpr48
.LBB378_71:
	v_or_b32_e32 v56, 1, v44
	v_cmp_gt_u32_e32 vcc, s33, v44
	v_add_u32_e32 v57, 2, v44
	v_add_u32_e32 v58, 3, v44
	v_cndmask_b32_e64 v66, 0, 1, vcc
	v_cmp_gt_u32_e32 vcc, s33, v56
	v_add_u32_e32 v59, 4, v44
	v_add_u32_e32 v60, 5, v44
	v_cndmask_b32_e64 v56, 0, 1, vcc
	v_cmp_gt_u32_e32 vcc, s33, v57
	v_and_b32_e32 v75, v56, v95
	v_add_u32_e32 v61, 6, v44
	v_cndmask_b32_e64 v56, 0, 1, vcc
	v_cmp_gt_u32_e32 vcc, s33, v58
	v_and_b32_e32 v74, v56, v94
	;; [unrolled: 4-line block ×9, first 2 shown]
	v_and_b32_e32 v76, v66, v96
	v_cndmask_b32_e64 v56, 0, 1, vcc
	v_cmp_gt_u32_e32 vcc, s33, v97
	v_and_b32_e32 v66, v56, v86
	v_add_u32_e32 v100, 14, v44
	v_cndmask_b32_e64 v56, 0, 1, vcc
	v_cmp_gt_u32_e32 vcc, s33, v98
	v_and_b32_e32 v65, v56, v85
	v_add_u32_e32 v101, 15, v44
	;; [unrolled: 4-line block ×16, first 2 shown]
	v_cndmask_b32_e64 v26, 0, 1, vcc
	v_cmp_gt_u32_e32 vcc, s33, v49
	v_and_b32_e32 v50, v26, v25
	s_nop 0
	v_cndmask_b32_e64 v25, 0, 1, vcc
	v_cmp_gt_u32_e32 vcc, s33, v47
	v_and_b32_e32 v49, v25, v24
	s_nop 0
	;; [unrolled: 4-line block ×3, first 2 shown]
	v_cndmask_b32_e64 v9, 0, 1, vcc
	v_and_b32_e32 v48, v9, v8
.LBB378_72:
	v_and_b32_e32 v103, 0xff, v50
	v_and_b32_e32 v104, 0xff, v49
	v_add_u32_sdwa v8, v47, v48 dst_sel:DWORD dst_unused:UNUSED_PAD src0_sel:BYTE_0 src1_sel:BYTE_0
	v_and_b32_e32 v101, 0xff, v52
	v_and_b32_e32 v102, 0xff, v51
	v_add3_u32 v8, v8, v104, v103
	v_and_b32_e32 v99, 0xff, v54
	v_and_b32_e32 v100, 0xff, v53
	v_add3_u32 v8, v8, v102, v101
	;; [unrolled: 3-line block ×13, first 2 shown]
	v_add3_u32 v107, v8, v78, v77
	v_mbcnt_lo_u32_b32 v8, -1, 0
	v_mbcnt_hi_u32_b32 v105, -1, v8
	v_and_b32_e32 v8, 15, v105
	v_cmp_eq_u32_e64 s[16:17], 0, v8
	v_cmp_lt_u32_e64 s[14:15], 1, v8
	v_cmp_lt_u32_e64 s[12:13], 3, v8
	;; [unrolled: 1-line block ×3, first 2 shown]
	v_and_b32_e32 v8, 16, v105
	v_cmp_eq_u32_e64 s[8:9], 0, v8
	v_or_b32_e32 v8, 63, v0
	s_cmp_lg_u32 s40, 0
	v_cmp_lt_u32_e64 s[4:5], 31, v105
	v_lshrrev_b32_e32 v106, 6, v0
	v_cmp_eq_u32_e64 s[6:7], v8, v0
	s_cbranch_scc0 .LBB378_99
; %bb.73:
	v_mov_b32_dpp v8, v107 row_shr:1 row_mask:0xf bank_mask:0xf
	v_cndmask_b32_e64 v8, v8, 0, s[16:17]
	v_add_u32_e32 v8, v8, v107
	s_nop 1
	v_mov_b32_dpp v9, v8 row_shr:2 row_mask:0xf bank_mask:0xf
	v_cndmask_b32_e64 v9, 0, v9, s[14:15]
	v_add_u32_e32 v8, v8, v9
	s_nop 1
	;; [unrolled: 4-line block ×4, first 2 shown]
	v_mov_b32_dpp v9, v8 row_bcast:15 row_mask:0xf bank_mask:0xf
	v_cndmask_b32_e64 v9, v9, 0, s[8:9]
	v_add_u32_e32 v8, v8, v9
	s_nop 1
	v_mov_b32_dpp v9, v8 row_bcast:31 row_mask:0xf bank_mask:0xf
	v_cndmask_b32_e64 v9, 0, v9, s[4:5]
	v_add_u32_e32 v8, v8, v9
	s_and_saveexec_b64 s[0:1], s[6:7]
	s_cbranch_execz .LBB378_75
; %bb.74:
	v_lshlrev_b32_e32 v9, 2, v106
	ds_write_b32 v9, v8
.LBB378_75:
	s_or_b64 exec, exec, s[0:1]
	v_cmp_gt_u32_e32 vcc, 8, v0
	s_waitcnt lgkmcnt(0)
	s_barrier
	s_and_saveexec_b64 s[0:1], vcc
	s_cbranch_execz .LBB378_77
; %bb.76:
	v_lshlrev_b32_e32 v9, 2, v0
	ds_read_b32 v24, v9
	v_and_b32_e32 v25, 7, v105
	v_cmp_ne_u32_e32 vcc, 0, v25
	s_waitcnt lgkmcnt(0)
	v_mov_b32_dpp v26, v24 row_shr:1 row_mask:0xf bank_mask:0xf
	v_cndmask_b32_e32 v26, 0, v26, vcc
	v_add_u32_e32 v24, v26, v24
	v_cmp_lt_u32_e32 vcc, 1, v25
	s_nop 0
	v_mov_b32_dpp v26, v24 row_shr:2 row_mask:0xf bank_mask:0xf
	v_cndmask_b32_e32 v26, 0, v26, vcc
	v_add_u32_e32 v24, v24, v26
	v_cmp_lt_u32_e32 vcc, 3, v25
	s_nop 0
	v_mov_b32_dpp v26, v24 row_shr:4 row_mask:0xf bank_mask:0xf
	v_cndmask_b32_e32 v25, 0, v26, vcc
	v_add_u32_e32 v24, v24, v25
	ds_write_b32 v9, v24
.LBB378_77:
	s_or_b64 exec, exec, s[0:1]
	v_cmp_gt_u32_e32 vcc, 64, v0
	v_cmp_lt_u32_e64 s[0:1], 63, v0
	s_waitcnt lgkmcnt(0)
	s_barrier
	s_waitcnt lgkmcnt(0)
                                        ; implicit-def: $vgpr108
	s_and_saveexec_b64 s[18:19], s[0:1]
	s_cbranch_execz .LBB378_79
; %bb.78:
	v_lshl_add_u32 v9, v106, 2, -4
	ds_read_b32 v108, v9
	s_waitcnt lgkmcnt(0)
	v_add_u32_e32 v8, v108, v8
.LBB378_79:
	s_or_b64 exec, exec, s[18:19]
	v_add_u32_e32 v9, -1, v105
	v_and_b32_e32 v24, 64, v105
	v_cmp_lt_i32_e64 s[0:1], v9, v24
	v_cmp_eq_u32_e64 s[18:19], 0, v105
	s_nop 0
	v_cndmask_b32_e64 v9, v9, v105, s[0:1]
	v_lshlrev_b32_e32 v9, 2, v9
	ds_bpermute_b32 v109, v9, v8
	s_and_saveexec_b64 s[0:1], vcc
	s_cbranch_execz .LBB378_98
; %bb.80:
	v_mov_b32_e32 v29, 0
	ds_read_b32 v8, v29 offset:28
	s_and_saveexec_b64 s[26:27], s[18:19]
	s_cbranch_execz .LBB378_82
; %bb.81:
	s_add_i32 s36, s40, 64
	s_mov_b32 s37, 0
	s_lshl_b64 s[36:37], s[36:37], 3
	s_add_u32 s36, s34, s36
	v_mov_b32_e32 v9, 1
	s_addc_u32 s37, s35, s37
	s_waitcnt lgkmcnt(0)
	global_store_dwordx2 v29, v[8:9], s[36:37] sc1
.LBB378_82:
	s_or_b64 exec, exec, s[26:27]
	v_xad_u32 v24, v105, -1, s40
	v_add_u32_e32 v28, 64, v24
	v_lshl_add_u64 v[30:31], v[28:29], 3, s[34:35]
	global_load_dwordx2 v[26:27], v[30:31], off sc1
	s_waitcnt vmcnt(0)
	v_cmp_eq_u16_sdwa s[36:37], v27, v29 src0_sel:BYTE_0 src1_sel:DWORD
	s_and_saveexec_b64 s[26:27], s[36:37]
	s_cbranch_execz .LBB378_86
; %bb.83:
	s_mov_b64 s[36:37], 0
	v_mov_b32_e32 v9, 0
.LBB378_84:                             ; =>This Inner Loop Header: Depth=1
	global_load_dwordx2 v[26:27], v[30:31], off sc1
	s_waitcnt vmcnt(0)
	v_cmp_ne_u16_sdwa s[42:43], v27, v9 src0_sel:BYTE_0 src1_sel:DWORD
	s_or_b64 s[36:37], s[42:43], s[36:37]
	s_andn2_b64 exec, exec, s[36:37]
	s_cbranch_execnz .LBB378_84
; %bb.85:
	s_or_b64 exec, exec, s[36:37]
.LBB378_86:
	s_or_b64 exec, exec, s[26:27]
	v_and_b32_e32 v111, 63, v105
	v_mov_b32_e32 v110, 2
	v_cmp_ne_u32_e32 vcc, 63, v111
	v_cmp_eq_u16_sdwa s[26:27], v27, v110 src0_sel:BYTE_0 src1_sel:DWORD
	v_lshlrev_b64 v[28:29], v105, -1
	v_addc_co_u32_e32 v30, vcc, 0, v105, vcc
	v_and_b32_e32 v9, s27, v29
	v_lshlrev_b32_e32 v112, 2, v30
	v_or_b32_e32 v9, 0x80000000, v9
	ds_bpermute_b32 v30, v112, v26
	v_and_b32_e32 v25, s26, v28
	v_ffbl_b32_e32 v9, v9
	v_add_u32_e32 v9, 32, v9
	v_ffbl_b32_e32 v25, v25
	v_min_u32_e32 v9, v25, v9
	v_cmp_lt_u32_e32 vcc, v111, v9
	v_add_u32_e32 v114, 2, v111
	v_add_u32_e32 v116, 4, v111
	s_waitcnt lgkmcnt(0)
	v_cndmask_b32_e32 v25, 0, v30, vcc
	v_cmp_gt_u32_e32 vcc, 62, v111
	v_add_u32_e32 v25, v25, v26
	v_add_u32_e32 v118, 8, v111
	v_cndmask_b32_e64 v26, 0, 1, vcc
	v_lshlrev_b32_e32 v26, 1, v26
	v_add_lshl_u32 v113, v26, v105, 2
	ds_bpermute_b32 v26, v113, v25
	v_cmp_le_u32_e32 vcc, v114, v9
	v_add_u32_e32 v120, 16, v111
	v_add_u32_e32 v122, 32, v111
	s_waitcnt lgkmcnt(0)
	v_cndmask_b32_e32 v26, 0, v26, vcc
	v_cmp_gt_u32_e32 vcc, 60, v111
	v_add_u32_e32 v25, v25, v26
	s_nop 0
	v_cndmask_b32_e64 v26, 0, 1, vcc
	v_lshlrev_b32_e32 v26, 2, v26
	v_add_lshl_u32 v115, v26, v105, 2
	ds_bpermute_b32 v26, v115, v25
	v_cmp_le_u32_e32 vcc, v116, v9
	s_waitcnt lgkmcnt(0)
	s_nop 0
	v_cndmask_b32_e32 v26, 0, v26, vcc
	v_cmp_gt_u32_e32 vcc, 56, v111
	v_add_u32_e32 v25, v25, v26
	s_nop 0
	v_cndmask_b32_e64 v26, 0, 1, vcc
	v_lshlrev_b32_e32 v26, 3, v26
	v_add_lshl_u32 v117, v26, v105, 2
	ds_bpermute_b32 v26, v117, v25
	v_cmp_le_u32_e32 vcc, v118, v9
	s_waitcnt lgkmcnt(0)
	s_nop 0
	;; [unrolled: 11-line block ×4, first 2 shown]
	v_cndmask_b32_e32 v9, 0, v26, vcc
	v_add_u32_e32 v26, v25, v9
	v_mov_b32_e32 v25, 0
	s_branch .LBB378_88
.LBB378_87:                             ;   in Loop: Header=BB378_88 Depth=1
	s_or_b64 exec, exec, s[26:27]
	v_cmp_eq_u16_sdwa s[26:27], v27, v110 src0_sel:BYTE_0 src1_sel:DWORD
	ds_bpermute_b32 v123, v112, v26
	v_subrev_u32_e32 v24, 64, v24
	v_and_b32_e32 v30, s27, v29
	v_or_b32_e32 v30, 0x80000000, v30
	v_and_b32_e32 v31, s26, v28
	v_ffbl_b32_e32 v30, v30
	v_add_u32_e32 v30, 32, v30
	v_ffbl_b32_e32 v31, v31
	v_min_u32_e32 v30, v31, v30
	v_cmp_lt_u32_e32 vcc, v111, v30
	s_waitcnt lgkmcnt(0)
	s_nop 0
	v_cndmask_b32_e32 v31, 0, v123, vcc
	v_add_u32_e32 v26, v31, v26
	ds_bpermute_b32 v31, v113, v26
	v_cmp_le_u32_e32 vcc, v114, v30
	s_waitcnt lgkmcnt(0)
	s_nop 0
	v_cndmask_b32_e32 v31, 0, v31, vcc
	v_add_u32_e32 v26, v26, v31
	ds_bpermute_b32 v31, v115, v26
	v_cmp_le_u32_e32 vcc, v116, v30
	;; [unrolled: 6-line block ×5, first 2 shown]
	s_waitcnt lgkmcnt(0)
	s_nop 0
	v_cndmask_b32_e32 v30, 0, v31, vcc
	v_add3_u32 v26, v30, v9, v26
.LBB378_88:                             ; =>This Loop Header: Depth=1
                                        ;     Child Loop BB378_91 Depth 2
	v_cmp_ne_u16_sdwa s[26:27], v27, v110 src0_sel:BYTE_0 src1_sel:DWORD
	s_nop 1
	v_cndmask_b32_e64 v9, 0, 1, s[26:27]
	;;#ASMSTART
	;;#ASMEND
	s_nop 0
	v_cmp_ne_u32_e32 vcc, 0, v9
	s_cmp_lg_u64 vcc, exec
	v_mov_b32_e32 v9, v26
	s_cbranch_scc1 .LBB378_93
; %bb.89:                               ;   in Loop: Header=BB378_88 Depth=1
	v_lshl_add_u64 v[30:31], v[24:25], 3, s[34:35]
	global_load_dwordx2 v[26:27], v[30:31], off sc1
	s_waitcnt vmcnt(0)
	v_cmp_eq_u16_sdwa s[36:37], v27, v25 src0_sel:BYTE_0 src1_sel:DWORD
	s_and_saveexec_b64 s[26:27], s[36:37]
	s_cbranch_execz .LBB378_87
; %bb.90:                               ;   in Loop: Header=BB378_88 Depth=1
	s_mov_b64 s[36:37], 0
.LBB378_91:                             ;   Parent Loop BB378_88 Depth=1
                                        ; =>  This Inner Loop Header: Depth=2
	global_load_dwordx2 v[26:27], v[30:31], off sc1
	s_waitcnt vmcnt(0)
	v_cmp_ne_u16_sdwa s[42:43], v27, v25 src0_sel:BYTE_0 src1_sel:DWORD
	s_or_b64 s[36:37], s[42:43], s[36:37]
	s_andn2_b64 exec, exec, s[36:37]
	s_cbranch_execnz .LBB378_91
; %bb.92:                               ;   in Loop: Header=BB378_88 Depth=1
	s_or_b64 exec, exec, s[36:37]
	s_branch .LBB378_87
.LBB378_93:                             ;   in Loop: Header=BB378_88 Depth=1
                                        ; implicit-def: $vgpr26
                                        ; implicit-def: $vgpr27
	s_cbranch_execz .LBB378_88
; %bb.94:
	s_and_saveexec_b64 s[26:27], s[18:19]
	s_cbranch_execz .LBB378_96
; %bb.95:
	s_add_i32 s36, s40, 64
	s_mov_b32 s37, 0
	s_lshl_b64 s[36:37], s[36:37], 3
	s_add_u32 s36, s34, s36
	v_add_u32_e32 v24, v9, v8
	v_mov_b32_e32 v25, 2
	s_addc_u32 s37, s35, s37
	v_mov_b32_e32 v26, 0
	global_store_dwordx2 v26, v[24:25], s[36:37] sc1
	ds_write_b64 v26, v[8:9] offset:30720
.LBB378_96:
	s_or_b64 exec, exec, s[26:27]
	s_and_b64 exec, exec, s[20:21]
	s_cbranch_execz .LBB378_98
; %bb.97:
	v_mov_b32_e32 v8, 0
	ds_write_b32 v8, v9 offset:28
.LBB378_98:
	s_or_b64 exec, exec, s[0:1]
	v_mov_b32_e32 v8, 0
	s_waitcnt lgkmcnt(0)
	s_barrier
	ds_read_b32 v24, v8 offset:28
	s_waitcnt lgkmcnt(0)
	s_barrier
	ds_read_b64 v[8:9], v8 offset:30720
	v_cndmask_b32_e64 v25, v109, v108, s[18:19]
	v_cndmask_b32_e64 v25, v25, 0, s[20:21]
	v_add_u32_e32 v25, v24, v25
	s_waitcnt lgkmcnt(0)
	v_mov_b32_e32 v24, v9
	s_branch .LBB378_109
.LBB378_99:
                                        ; implicit-def: $vgpr24
                                        ; implicit-def: $vgpr8
                                        ; implicit-def: $vgpr25
	s_cbranch_execz .LBB378_109
; %bb.100:
	s_nop 0
	v_mov_b32_dpp v8, v107 row_shr:1 row_mask:0xf bank_mask:0xf
	v_cndmask_b32_e64 v8, v8, 0, s[16:17]
	v_add_u32_e32 v8, v8, v107
	s_nop 1
	v_mov_b32_dpp v9, v8 row_shr:2 row_mask:0xf bank_mask:0xf
	v_cndmask_b32_e64 v9, 0, v9, s[14:15]
	v_add_u32_e32 v8, v8, v9
	;; [unrolled: 4-line block ×4, first 2 shown]
	s_nop 1
	v_mov_b32_dpp v9, v8 row_bcast:15 row_mask:0xf bank_mask:0xf
	v_cndmask_b32_e64 v9, v9, 0, s[8:9]
	v_add_u32_e32 v8, v8, v9
	s_nop 1
	v_mov_b32_dpp v9, v8 row_bcast:31 row_mask:0xf bank_mask:0xf
	v_cndmask_b32_e64 v9, 0, v9, s[4:5]
	v_add_u32_e32 v8, v8, v9
	s_and_saveexec_b64 s[0:1], s[6:7]
	s_cbranch_execz .LBB378_102
; %bb.101:
	v_lshlrev_b32_e32 v9, 2, v106
	ds_write_b32 v9, v8
.LBB378_102:
	s_or_b64 exec, exec, s[0:1]
	v_cmp_gt_u32_e32 vcc, 8, v0
	s_waitcnt lgkmcnt(0)
	s_barrier
	s_and_saveexec_b64 s[0:1], vcc
	s_cbranch_execz .LBB378_104
; %bb.103:
	v_lshlrev_b32_e32 v9, 2, v0
	ds_read_b32 v24, v9
	v_and_b32_e32 v25, 7, v105
	v_cmp_ne_u32_e32 vcc, 0, v25
	s_waitcnt lgkmcnt(0)
	v_mov_b32_dpp v26, v24 row_shr:1 row_mask:0xf bank_mask:0xf
	v_cndmask_b32_e32 v26, 0, v26, vcc
	v_add_u32_e32 v24, v26, v24
	v_cmp_lt_u32_e32 vcc, 1, v25
	s_nop 0
	v_mov_b32_dpp v26, v24 row_shr:2 row_mask:0xf bank_mask:0xf
	v_cndmask_b32_e32 v26, 0, v26, vcc
	v_add_u32_e32 v24, v24, v26
	v_cmp_lt_u32_e32 vcc, 3, v25
	s_nop 0
	v_mov_b32_dpp v26, v24 row_shr:4 row_mask:0xf bank_mask:0xf
	v_cndmask_b32_e32 v25, 0, v26, vcc
	v_add_u32_e32 v24, v24, v25
	ds_write_b32 v9, v24
.LBB378_104:
	s_or_b64 exec, exec, s[0:1]
	v_cmp_lt_u32_e32 vcc, 63, v0
	v_mov_b32_e32 v9, 0
	v_mov_b32_e32 v24, 0
	s_waitcnt lgkmcnt(0)
	s_barrier
	s_and_saveexec_b64 s[0:1], vcc
	s_cbranch_execz .LBB378_106
; %bb.105:
	v_lshl_add_u32 v24, v106, 2, -4
	ds_read_b32 v24, v24
.LBB378_106:
	s_or_b64 exec, exec, s[0:1]
	v_add_u32_e32 v25, -1, v105
	v_and_b32_e32 v26, 64, v105
	v_cmp_lt_i32_e32 vcc, v25, v26
	s_waitcnt lgkmcnt(0)
	v_add_u32_e32 v8, v24, v8
	v_cndmask_b32_e32 v25, v25, v105, vcc
	v_lshlrev_b32_e32 v25, 2, v25
	ds_bpermute_b32 v25, v25, v8
	ds_read_b32 v8, v9 offset:28
	s_and_saveexec_b64 s[0:1], s[20:21]
	s_cbranch_execz .LBB378_108
; %bb.107:
	v_mov_b32_e32 v26, 0
	v_mov_b32_e32 v9, 2
	s_waitcnt lgkmcnt(0)
	global_store_dwordx2 v26, v[8:9], s[34:35] offset:512 sc1
.LBB378_108:
	s_or_b64 exec, exec, s[0:1]
	v_cmp_eq_u32_e32 vcc, 0, v105
	s_waitcnt lgkmcnt(0)
	s_barrier
	v_cndmask_b32_e32 v9, v25, v24, vcc
	v_mov_b32_e32 v24, 0
	v_cndmask_b32_e64 v25, v9, 0, s[20:21]
.LBB378_109:
	v_add_u32_e32 v9, v25, v77
	v_add_u32_e32 v26, v9, v78
	;; [unrolled: 1-line block ×22, first 2 shown]
	v_sub_u32_e32 v25, v25, v24
	v_and_b32_e32 v76, 1, v76
	v_add_u32_e32 v91, v90, v98
	v_sub_u32_e32 v98, v44, v25
	v_cmp_eq_u32_e32 vcc, 1, v76
	v_sub_u32_e32 v9, v9, v24
	v_add_u32_e32 v92, v91, v99
	v_cndmask_b32_e32 v25, v98, v25, vcc
	v_lshlrev_b32_e32 v25, 1, v25
	ds_write_b16 v25, v22
	v_sub_u32_e32 v22, v44, v9
	v_and_b32_e32 v25, 1, v75
	v_add_u32_e32 v22, 1, v22
	v_cmp_eq_u32_e32 vcc, 1, v25
	v_and_b32_e32 v25, 1, v74
	v_add_u32_e32 v93, v92, v100
	v_cndmask_b32_e32 v9, v22, v9, vcc
	v_lshlrev_b32_e32 v9, 1, v9
	ds_write_b16 v9, v46
	v_sub_u32_e32 v9, v26, v24
	v_sub_u32_e32 v22, v44, v9
	v_add_u32_e32 v22, 2, v22
	v_cmp_eq_u32_e32 vcc, 1, v25
	v_add_u32_e32 v94, v93, v101
	v_add_u32_e32 v95, v94, v102
	v_cndmask_b32_e32 v9, v22, v9, vcc
	v_lshlrev_b32_e32 v9, 1, v9
	ds_write_b16 v9, v23
	v_sub_u32_e32 v9, v27, v24
	v_sub_u32_e32 v22, v44, v9
	v_and_b32_e32 v23, 1, v73
	v_add_u32_e32 v22, 3, v22
	v_cmp_eq_u32_e32 vcc, 1, v23
	v_and_b32_e32 v23, 1, v72
	v_add_u32_e32 v96, v95, v103
	v_cndmask_b32_e32 v9, v22, v9, vcc
	v_lshlrev_b32_e32 v9, 1, v9
	ds_write_b16 v9, v45
	v_sub_u32_e32 v9, v28, v24
	v_sub_u32_e32 v22, v44, v9
	v_add_u32_e32 v22, 4, v22
	v_cmp_eq_u32_e32 vcc, 1, v23
	v_add_u32_e32 v97, v96, v104
	v_mov_b32_e32 v25, 0
	v_cndmask_b32_e32 v9, v22, v9, vcc
	v_lshlrev_b32_e32 v9, 1, v9
	ds_write_b16 v9, v20
	v_sub_u32_e32 v9, v29, v24
	v_sub_u32_e32 v20, v44, v9
	v_and_b32_e32 v22, 1, v71
	v_add_u32_e32 v20, 5, v20
	v_cmp_eq_u32_e32 vcc, 1, v22
	v_and_b32_e32 v22, 1, v70
	v_or_b32_e32 v45, 0x1a00, v0
	v_cndmask_b32_e32 v9, v20, v9, vcc
	v_lshlrev_b32_e32 v9, 1, v9
	ds_write_b16 v9, v43
	v_sub_u32_e32 v9, v30, v24
	v_sub_u32_e32 v20, v44, v9
	v_add_u32_e32 v20, 6, v20
	v_cmp_eq_u32_e32 vcc, 1, v22
	v_or_b32_e32 v43, 0x1c00, v0
	v_or_b32_e32 v29, 0x2a00, v0
	v_cndmask_b32_e32 v9, v20, v9, vcc
	v_lshlrev_b32_e32 v9, 1, v9
	ds_write_b16 v9, v21
	v_sub_u32_e32 v9, v31, v24
	v_sub_u32_e32 v20, v44, v9
	v_and_b32_e32 v21, 1, v69
	v_add_u32_e32 v20, 7, v20
	v_cmp_eq_u32_e32 vcc, 1, v21
	v_and_b32_e32 v21, 1, v68
	v_or_b32_e32 v69, 0x200, v0
	v_cndmask_b32_e32 v9, v20, v9, vcc
	v_lshlrev_b32_e32 v9, 1, v9
	ds_write_b16 v9, v42
	v_sub_u32_e32 v9, v77, v24
	v_sub_u32_e32 v20, v44, v9
	v_add_u32_e32 v20, 8, v20
	v_cmp_eq_u32_e32 vcc, 1, v21
	v_or_b32_e32 v31, 0x2800, v0
	v_or_b32_e32 v27, 0x2c00, v0
	;; [unrolled: 19-line block ×4, first 2 shown]
	v_cndmask_b32_e32 v9, v18, v9, vcc
	v_lshlrev_b32_e32 v9, 1, v9
	ds_write_b16 v9, v16
	v_sub_u32_e32 v9, v82, v24
	v_sub_u32_e32 v16, v44, v9
	v_and_b32_e32 v18, 1, v63
	v_add_u32_e32 v16, 13, v16
	v_cmp_eq_u32_e32 vcc, 1, v18
	v_and_b32_e32 v18, 1, v62
	v_or_b32_e32 v63, 0x800, v0
	v_cndmask_b32_e32 v9, v16, v9, vcc
	v_lshlrev_b32_e32 v9, 1, v9
	ds_write_b16 v9, v39
	v_sub_u32_e32 v9, v83, v24
	v_sub_u32_e32 v16, v44, v9
	v_add_u32_e32 v16, 14, v16
	v_cmp_eq_u32_e32 vcc, 1, v18
	v_or_b32_e32 v39, 0x2000, v0
	s_nop 0
	v_cndmask_b32_e32 v9, v16, v9, vcc
	v_lshlrev_b32_e32 v9, 1, v9
	ds_write_b16 v9, v17
	v_sub_u32_e32 v9, v84, v24
	v_sub_u32_e32 v16, v44, v9
	v_and_b32_e32 v17, 1, v61
	v_add_u32_e32 v16, 15, v16
	v_cmp_eq_u32_e32 vcc, 1, v17
	v_and_b32_e32 v17, 1, v60
	v_or_b32_e32 v61, 0xa00, v0
	v_cndmask_b32_e32 v9, v16, v9, vcc
	v_lshlrev_b32_e32 v9, 1, v9
	ds_write_b16 v9, v38
	v_sub_u32_e32 v9, v85, v24
	v_sub_u32_e32 v16, v44, v9
	v_add_u32_e32 v16, 16, v16
	v_cmp_eq_u32_e32 vcc, 1, v17
	v_or_b32_e32 v17, 0x3400, v0
	s_nop 0
	;; [unrolled: 19-line block ×7, first 2 shown]
	v_cndmask_b32_e32 v9, v10, v9, vcc
	v_lshlrev_b32_e32 v9, 1, v9
	ds_write_b16 v9, v11
	v_sub_u32_e32 v9, v96, v24
	v_sub_u32_e32 v10, v44, v9
	v_and_b32_e32 v11, 1, v49
	v_add_u32_e32 v10, 27, v10
	v_cmp_eq_u32_e32 vcc, 1, v11
	v_and_b32_e32 v11, 1, v47
	v_or_b32_e32 v49, 0x1600, v0
	v_cndmask_b32_e32 v9, v10, v9, vcc
	v_lshlrev_b32_e32 v9, 1, v9
	ds_write_b16 v9, v32
	v_sub_u32_e32 v9, v97, v24
	v_sub_u32_e32 v10, v44, v9
	v_add_u32_e32 v10, 28, v10
	v_cmp_eq_u32_e32 vcc, 1, v11
	s_nop 1
	v_cndmask_b32_e32 v9, v10, v9, vcc
	v_lshlrev_b32_e32 v9, 1, v9
	ds_write_b16 v9, v3
	v_sub_u32_sdwa v3, v47, v24 dst_sel:DWORD dst_unused:UNUSED_PAD src0_sel:BYTE_0 src1_sel:DWORD
	v_add_u32_e32 v3, v97, v3
	v_sub_u32_e32 v9, v44, v3
	v_and_b32_e32 v10, 1, v48
	v_add_u32_e32 v9, 29, v9
	v_cmp_eq_u32_e32 vcc, 1, v10
	s_waitcnt vmcnt(0)
	v_lshl_add_u64 v[10:11], v[4:5], 0, v[24:25]
	v_or_b32_e32 v47, 0x1800, v0
	v_cndmask_b32_e32 v3, v9, v3, vcc
	v_lshlrev_b32_e32 v3, 1, v3
	ds_write_b16 v3, v1
	s_waitcnt lgkmcnt(0)
	s_barrier
	ds_read_u16 v71, v2
	ds_read_u16 v70, v2 offset:1024
	ds_read_u16 v68, v2 offset:2048
	;; [unrolled: 1-line block ×29, first 2 shown]
	v_mov_b32_e32 v9, v25
	v_lshl_add_u64 v[4:5], v[10:11], 0, v[8:9]
	v_mov_b32_e32 v3, s39
	v_sub_co_u32_e32 v72, vcc, s38, v4
	v_lshlrev_b64 v[10:11], 1, v[10:11]
	s_nop 0
	v_subb_co_u32_e32 v73, vcc, v3, v5, vcc
	v_lshlrev_b64 v[72:73], 1, v[72:73]
	v_lshl_add_u64 v[72:73], s[30:31], 0, v[72:73]
	v_or_b32_e32 v1, 0x3a00, v0
	v_lshl_add_u64 v[6:7], v[72:73], 0, v[6:7]
	s_and_b64 vcc, exec, s[2:3]
	v_lshl_add_u64 v[10:11], s[28:29], 0, v[10:11]
	s_cbranch_vccnz .LBB378_111
; %bb.110:
	v_cmp_lt_u32_e32 vcc, v0, v8
	v_mov_b32_e32 v3, v25
	v_lshlrev_b32_e32 v24, 1, v63
	v_cndmask_b32_e32 v73, v7, v11, vcc
	v_cndmask_b32_e32 v72, v6, v10, vcc
	v_lshl_add_u64 v[72:73], v[72:73], 0, v[2:3]
	v_cmp_lt_u32_e32 vcc, v69, v8
	s_waitcnt lgkmcnt(14)
	global_store_short v[72:73], v71, off
	v_cndmask_b32_e32 v73, v7, v11, vcc
	v_cndmask_b32_e32 v72, v6, v10, vcc
	v_lshl_add_u64 v[72:73], v[72:73], 0, v[2:3]
	v_cmp_lt_u32_e32 vcc, v67, v8
	global_store_short v[72:73], v70, off offset:1024
	s_mov_b64 s[0:1], -1
	v_cndmask_b32_e32 v73, v7, v11, vcc
	v_cndmask_b32_e32 v72, v6, v10, vcc
	v_lshl_add_u64 v[72:73], v[72:73], 0, v[2:3]
	v_cmp_lt_u32_e32 vcc, v65, v8
	global_store_short v[72:73], v68, off offset:2048
	s_nop 0
	v_cndmask_b32_e32 v73, v7, v11, vcc
	v_cndmask_b32_e32 v72, v6, v10, vcc
	v_lshl_add_u64 v[72:73], v[72:73], 0, v[2:3]
	v_cmp_lt_u32_e32 vcc, v63, v8
	global_store_short v[72:73], v66, off offset:3072
	s_nop 0
	v_cndmask_b32_e32 v73, v7, v11, vcc
	v_cndmask_b32_e32 v72, v6, v10, vcc
	v_lshl_add_u64 v[72:73], v[72:73], 0, v[24:25]
	v_cmp_lt_u32_e32 vcc, v61, v8
	global_store_short v[72:73], v64, off
	v_lshlrev_b32_e32 v24, 1, v61
	v_cndmask_b32_e32 v73, v7, v11, vcc
	v_cndmask_b32_e32 v72, v6, v10, vcc
	v_lshl_add_u64 v[72:73], v[72:73], 0, v[24:25]
	v_cmp_lt_u32_e32 vcc, v59, v8
	global_store_short v[72:73], v62, off
	v_lshlrev_b32_e32 v24, 1, v59
	;; [unrolled: 6-line block ×12, first 2 shown]
	v_cndmask_b32_e32 v73, v7, v11, vcc
	v_cndmask_b32_e32 v72, v6, v10, vcc
	v_lshl_add_u64 v[72:73], v[72:73], 0, v[24:25]
	v_cmp_lt_u32_e32 vcc, v37, v8
	s_waitcnt lgkmcnt(13)
	global_store_short v[72:73], v40, off
	v_lshlrev_b32_e32 v24, 1, v37
	v_cndmask_b32_e32 v73, v7, v11, vcc
	v_cndmask_b32_e32 v72, v6, v10, vcc
	v_lshl_add_u64 v[72:73], v[72:73], 0, v[24:25]
	v_cmp_lt_u32_e32 vcc, v35, v8
	s_waitcnt lgkmcnt(12)
	global_store_short v[72:73], v38, off
	v_lshlrev_b32_e32 v24, 1, v35
	v_cndmask_b32_e32 v73, v7, v11, vcc
	v_cndmask_b32_e32 v72, v6, v10, vcc
	v_lshl_add_u64 v[72:73], v[72:73], 0, v[24:25]
	v_cmp_lt_u32_e32 vcc, v33, v8
	s_waitcnt lgkmcnt(11)
	global_store_short v[72:73], v36, off
	v_lshlrev_b32_e32 v24, 1, v33
	v_cndmask_b32_e32 v73, v7, v11, vcc
	v_cndmask_b32_e32 v72, v6, v10, vcc
	v_lshl_add_u64 v[72:73], v[72:73], 0, v[24:25]
	v_cmp_lt_u32_e32 vcc, v31, v8
	s_waitcnt lgkmcnt(10)
	global_store_short v[72:73], v34, off
	v_lshlrev_b32_e32 v24, 1, v31
	v_cndmask_b32_e32 v73, v7, v11, vcc
	v_cndmask_b32_e32 v72, v6, v10, vcc
	v_lshl_add_u64 v[72:73], v[72:73], 0, v[24:25]
	v_cmp_lt_u32_e32 vcc, v29, v8
	s_waitcnt lgkmcnt(9)
	global_store_short v[72:73], v32, off
	v_lshlrev_b32_e32 v24, 1, v29
	v_cndmask_b32_e32 v73, v7, v11, vcc
	v_cndmask_b32_e32 v72, v6, v10, vcc
	v_lshl_add_u64 v[72:73], v[72:73], 0, v[24:25]
	v_cmp_lt_u32_e32 vcc, v27, v8
	s_waitcnt lgkmcnt(8)
	global_store_short v[72:73], v30, off
	v_lshlrev_b32_e32 v24, 1, v27
	v_cndmask_b32_e32 v73, v7, v11, vcc
	v_cndmask_b32_e32 v72, v6, v10, vcc
	v_lshl_add_u64 v[72:73], v[72:73], 0, v[24:25]
	v_cmp_lt_u32_e32 vcc, v23, v8
	s_waitcnt lgkmcnt(7)
	global_store_short v[72:73], v28, off
	v_lshlrev_b32_e32 v24, 1, v23
	v_cndmask_b32_e32 v73, v7, v11, vcc
	v_cndmask_b32_e32 v72, v6, v10, vcc
	v_lshl_add_u64 v[72:73], v[72:73], 0, v[24:25]
	v_cmp_lt_u32_e32 vcc, v21, v8
	s_waitcnt lgkmcnt(6)
	global_store_short v[72:73], v26, off
	v_lshlrev_b32_e32 v24, 1, v21
	v_cndmask_b32_e32 v73, v7, v11, vcc
	v_cndmask_b32_e32 v72, v6, v10, vcc
	v_lshl_add_u64 v[72:73], v[72:73], 0, v[24:25]
	v_cmp_lt_u32_e32 vcc, v19, v8
	s_waitcnt lgkmcnt(5)
	global_store_short v[72:73], v22, off
	v_lshlrev_b32_e32 v24, 1, v19
	v_cndmask_b32_e32 v73, v7, v11, vcc
	v_cndmask_b32_e32 v72, v6, v10, vcc
	v_lshl_add_u64 v[72:73], v[72:73], 0, v[24:25]
	v_cmp_lt_u32_e32 vcc, v17, v8
	s_waitcnt lgkmcnt(4)
	global_store_short v[72:73], v20, off
	v_lshlrev_b32_e32 v24, 1, v17
	v_cndmask_b32_e32 v73, v7, v11, vcc
	v_cndmask_b32_e32 v72, v6, v10, vcc
	v_lshl_add_u64 v[72:73], v[72:73], 0, v[24:25]
	v_cmp_lt_u32_e32 vcc, v15, v8
	s_waitcnt lgkmcnt(3)
	global_store_short v[72:73], v18, off
	v_lshlrev_b32_e32 v24, 1, v15
	v_cndmask_b32_e32 v73, v7, v11, vcc
	v_cndmask_b32_e32 v72, v6, v10, vcc
	v_lshl_add_u64 v[72:73], v[72:73], 0, v[24:25]
	v_cmp_lt_u32_e32 vcc, v13, v8
	s_waitcnt lgkmcnt(2)
	global_store_short v[72:73], v16, off
	v_lshlrev_b32_e32 v24, 1, v13
	v_cndmask_b32_e32 v73, v7, v11, vcc
	v_cndmask_b32_e32 v72, v6, v10, vcc
	v_lshl_add_u64 v[24:25], v[72:73], 0, v[24:25]
	s_waitcnt lgkmcnt(1)
	global_store_short v[24:25], v14, off
	s_cbranch_execz .LBB378_112
	s_branch .LBB378_143
.LBB378_111:
	s_mov_b64 s[0:1], 0
.LBB378_112:
	v_cmp_gt_u32_e32 vcc, s33, v0
	s_and_saveexec_b64 s[0:1], vcc
	s_cbranch_execnz .LBB378_148
; %bb.113:
	s_or_b64 exec, exec, s[0:1]
	v_cmp_gt_u32_e32 vcc, s33, v69
	s_and_saveexec_b64 s[0:1], vcc
	s_cbranch_execnz .LBB378_149
.LBB378_114:
	s_or_b64 exec, exec, s[0:1]
	v_cmp_gt_u32_e32 vcc, s33, v67
	s_and_saveexec_b64 s[0:1], vcc
	s_cbranch_execnz .LBB378_150
.LBB378_115:
	s_or_b64 exec, exec, s[0:1]
	v_cmp_gt_u32_e32 vcc, s33, v65
	s_and_saveexec_b64 s[0:1], vcc
	s_cbranch_execnz .LBB378_151
.LBB378_116:
	s_or_b64 exec, exec, s[0:1]
	v_cmp_gt_u32_e32 vcc, s33, v63
	s_and_saveexec_b64 s[0:1], vcc
	s_cbranch_execnz .LBB378_152
.LBB378_117:
	s_or_b64 exec, exec, s[0:1]
	v_cmp_gt_u32_e32 vcc, s33, v61
	s_and_saveexec_b64 s[0:1], vcc
	s_cbranch_execnz .LBB378_153
.LBB378_118:
	s_or_b64 exec, exec, s[0:1]
	v_cmp_gt_u32_e32 vcc, s33, v59
	s_and_saveexec_b64 s[0:1], vcc
	s_cbranch_execnz .LBB378_154
.LBB378_119:
	s_or_b64 exec, exec, s[0:1]
	v_cmp_gt_u32_e32 vcc, s33, v57
	s_and_saveexec_b64 s[0:1], vcc
	s_cbranch_execnz .LBB378_155
.LBB378_120:
	s_or_b64 exec, exec, s[0:1]
	v_cmp_gt_u32_e32 vcc, s33, v55
	s_and_saveexec_b64 s[0:1], vcc
	s_cbranch_execnz .LBB378_156
.LBB378_121:
	s_or_b64 exec, exec, s[0:1]
	v_cmp_gt_u32_e32 vcc, s33, v53
	s_and_saveexec_b64 s[0:1], vcc
	s_cbranch_execnz .LBB378_157
.LBB378_122:
	s_or_b64 exec, exec, s[0:1]
	v_cmp_gt_u32_e32 vcc, s33, v51
	s_and_saveexec_b64 s[0:1], vcc
	s_cbranch_execnz .LBB378_158
.LBB378_123:
	s_or_b64 exec, exec, s[0:1]
	v_cmp_gt_u32_e32 vcc, s33, v49
	s_and_saveexec_b64 s[0:1], vcc
	s_cbranch_execnz .LBB378_159
.LBB378_124:
	s_or_b64 exec, exec, s[0:1]
	v_cmp_gt_u32_e32 vcc, s33, v47
	s_and_saveexec_b64 s[0:1], vcc
	s_cbranch_execnz .LBB378_160
.LBB378_125:
	s_or_b64 exec, exec, s[0:1]
	v_cmp_gt_u32_e32 vcc, s33, v45
	s_and_saveexec_b64 s[0:1], vcc
	s_cbranch_execnz .LBB378_161
.LBB378_126:
	s_or_b64 exec, exec, s[0:1]
	v_cmp_gt_u32_e32 vcc, s33, v43
	s_and_saveexec_b64 s[0:1], vcc
	s_cbranch_execnz .LBB378_162
.LBB378_127:
	s_or_b64 exec, exec, s[0:1]
	v_cmp_gt_u32_e32 vcc, s33, v41
	s_and_saveexec_b64 s[0:1], vcc
	s_cbranch_execnz .LBB378_163
.LBB378_128:
	s_or_b64 exec, exec, s[0:1]
	v_cmp_gt_u32_e32 vcc, s33, v39
	s_and_saveexec_b64 s[0:1], vcc
	s_cbranch_execnz .LBB378_164
.LBB378_129:
	s_or_b64 exec, exec, s[0:1]
	v_cmp_gt_u32_e32 vcc, s33, v37
	s_and_saveexec_b64 s[0:1], vcc
	s_cbranch_execnz .LBB378_165
.LBB378_130:
	s_or_b64 exec, exec, s[0:1]
	v_cmp_gt_u32_e32 vcc, s33, v35
	s_and_saveexec_b64 s[0:1], vcc
	s_cbranch_execnz .LBB378_166
.LBB378_131:
	s_or_b64 exec, exec, s[0:1]
	v_cmp_gt_u32_e32 vcc, s33, v33
	s_and_saveexec_b64 s[0:1], vcc
	s_cbranch_execnz .LBB378_167
.LBB378_132:
	s_or_b64 exec, exec, s[0:1]
	v_cmp_gt_u32_e32 vcc, s33, v31
	s_and_saveexec_b64 s[0:1], vcc
	s_cbranch_execnz .LBB378_168
.LBB378_133:
	s_or_b64 exec, exec, s[0:1]
	v_cmp_gt_u32_e32 vcc, s33, v29
	s_and_saveexec_b64 s[0:1], vcc
	s_cbranch_execnz .LBB378_169
.LBB378_134:
	s_or_b64 exec, exec, s[0:1]
	v_cmp_gt_u32_e32 vcc, s33, v27
	s_and_saveexec_b64 s[0:1], vcc
	s_cbranch_execnz .LBB378_170
.LBB378_135:
	s_or_b64 exec, exec, s[0:1]
	v_cmp_gt_u32_e32 vcc, s33, v23
	s_and_saveexec_b64 s[0:1], vcc
	s_cbranch_execnz .LBB378_171
.LBB378_136:
	s_or_b64 exec, exec, s[0:1]
	v_cmp_gt_u32_e32 vcc, s33, v21
	s_and_saveexec_b64 s[0:1], vcc
	s_cbranch_execnz .LBB378_172
.LBB378_137:
	s_or_b64 exec, exec, s[0:1]
	v_cmp_gt_u32_e32 vcc, s33, v19
	s_and_saveexec_b64 s[0:1], vcc
	s_cbranch_execnz .LBB378_173
.LBB378_138:
	s_or_b64 exec, exec, s[0:1]
	v_cmp_gt_u32_e32 vcc, s33, v17
	s_and_saveexec_b64 s[0:1], vcc
	s_cbranch_execnz .LBB378_174
.LBB378_139:
	s_or_b64 exec, exec, s[0:1]
	v_cmp_gt_u32_e32 vcc, s33, v15
	s_and_saveexec_b64 s[0:1], vcc
	s_cbranch_execnz .LBB378_175
.LBB378_140:
	s_or_b64 exec, exec, s[0:1]
	v_cmp_gt_u32_e32 vcc, s33, v13
	s_and_saveexec_b64 s[0:1], vcc
	s_cbranch_execz .LBB378_142
.LBB378_141:
	v_cmp_lt_u32_e32 vcc, v13, v8
	s_waitcnt lgkmcnt(2)
	v_lshlrev_b32_e32 v16, 1, v13
	v_mov_b32_e32 v17, 0
	v_cndmask_b32_e32 v3, v7, v11, vcc
	v_cndmask_b32_e32 v2, v6, v10, vcc
	v_lshl_add_u64 v[2:3], v[2:3], 0, v[16:17]
	s_waitcnt lgkmcnt(1)
	global_store_short v[2:3], v14, off
.LBB378_142:
	s_or_b64 exec, exec, s[0:1]
	v_cmp_gt_u32_e64 s[0:1], s33, v1
.LBB378_143:
	s_and_saveexec_b64 s[2:3], s[0:1]
	s_cbranch_execnz .LBB378_146
; %bb.144:
	s_or_b64 exec, exec, s[2:3]
	s_and_b64 s[0:1], s[20:21], s[22:23]
	s_and_saveexec_b64 s[2:3], s[0:1]
	s_cbranch_execnz .LBB378_147
.LBB378_145:
	s_endpgm
.LBB378_146:
	v_cmp_lt_u32_e32 vcc, v1, v8
	v_lshlrev_b32_e32 v0, 1, v1
	v_mov_b32_e32 v1, 0
	v_cndmask_b32_e32 v3, v7, v11, vcc
	v_cndmask_b32_e32 v2, v6, v10, vcc
	v_lshl_add_u64 v[0:1], v[2:3], 0, v[0:1]
	s_waitcnt lgkmcnt(0)
	global_store_short v[0:1], v12, off
	s_or_b64 exec, exec, s[2:3]
	s_and_b64 s[0:1], s[20:21], s[22:23]
	s_and_saveexec_b64 s[2:3], s[0:1]
	s_cbranch_execz .LBB378_145
.LBB378_147:
	v_mov_b32_e32 v0, 0
	global_store_dwordx2 v0, v[4:5], s[24:25]
	s_endpgm
.LBB378_148:
	v_cmp_lt_u32_e32 vcc, v0, v8
	v_mov_b32_e32 v3, 0
	s_nop 0
	v_cndmask_b32_e32 v25, v7, v11, vcc
	v_cndmask_b32_e32 v24, v6, v10, vcc
	v_lshl_add_u64 v[24:25], v[24:25], 0, v[2:3]
	s_waitcnt lgkmcnt(14)
	global_store_short v[24:25], v71, off
	s_or_b64 exec, exec, s[0:1]
	v_cmp_gt_u32_e32 vcc, s33, v69
	s_and_saveexec_b64 s[0:1], vcc
	s_cbranch_execz .LBB378_114
.LBB378_149:
	v_cmp_lt_u32_e32 vcc, v69, v8
	v_mov_b32_e32 v3, 0
	s_nop 0
	v_cndmask_b32_e32 v25, v7, v11, vcc
	v_cndmask_b32_e32 v24, v6, v10, vcc
	v_lshl_add_u64 v[24:25], v[24:25], 0, v[2:3]
	s_waitcnt lgkmcnt(14)
	global_store_short v[24:25], v70, off offset:1024
	s_or_b64 exec, exec, s[0:1]
	v_cmp_gt_u32_e32 vcc, s33, v67
	s_and_saveexec_b64 s[0:1], vcc
	s_cbranch_execz .LBB378_115
.LBB378_150:
	v_cmp_lt_u32_e32 vcc, v67, v8
	v_mov_b32_e32 v3, 0
	s_nop 0
	v_cndmask_b32_e32 v25, v7, v11, vcc
	v_cndmask_b32_e32 v24, v6, v10, vcc
	v_lshl_add_u64 v[24:25], v[24:25], 0, v[2:3]
	s_waitcnt lgkmcnt(14)
	global_store_short v[24:25], v68, off offset:2048
	s_or_b64 exec, exec, s[0:1]
	v_cmp_gt_u32_e32 vcc, s33, v65
	s_and_saveexec_b64 s[0:1], vcc
	s_cbranch_execz .LBB378_116
.LBB378_151:
	v_cmp_lt_u32_e32 vcc, v65, v8
	v_mov_b32_e32 v3, 0
	s_nop 0
	v_cndmask_b32_e32 v25, v7, v11, vcc
	v_cndmask_b32_e32 v24, v6, v10, vcc
	v_lshl_add_u64 v[2:3], v[24:25], 0, v[2:3]
	s_waitcnt lgkmcnt(14)
	global_store_short v[2:3], v66, off offset:3072
	s_or_b64 exec, exec, s[0:1]
	v_cmp_gt_u32_e32 vcc, s33, v63
	s_and_saveexec_b64 s[0:1], vcc
	s_cbranch_execz .LBB378_117
.LBB378_152:
	v_cmp_lt_u32_e32 vcc, v63, v8
	v_lshlrev_b32_e32 v24, 1, v63
	v_mov_b32_e32 v25, 0
	v_cndmask_b32_e32 v3, v7, v11, vcc
	v_cndmask_b32_e32 v2, v6, v10, vcc
	v_lshl_add_u64 v[2:3], v[2:3], 0, v[24:25]
	s_waitcnt lgkmcnt(14)
	global_store_short v[2:3], v64, off
	s_or_b64 exec, exec, s[0:1]
	v_cmp_gt_u32_e32 vcc, s33, v61
	s_and_saveexec_b64 s[0:1], vcc
	s_cbranch_execz .LBB378_118
.LBB378_153:
	v_cmp_lt_u32_e32 vcc, v61, v8
	v_lshlrev_b32_e32 v24, 1, v61
	v_mov_b32_e32 v25, 0
	v_cndmask_b32_e32 v3, v7, v11, vcc
	v_cndmask_b32_e32 v2, v6, v10, vcc
	v_lshl_add_u64 v[2:3], v[2:3], 0, v[24:25]
	s_waitcnt lgkmcnt(14)
	global_store_short v[2:3], v62, off
	s_or_b64 exec, exec, s[0:1]
	v_cmp_gt_u32_e32 vcc, s33, v59
	s_and_saveexec_b64 s[0:1], vcc
	s_cbranch_execz .LBB378_119
.LBB378_154:
	v_cmp_lt_u32_e32 vcc, v59, v8
	v_lshlrev_b32_e32 v24, 1, v59
	v_mov_b32_e32 v25, 0
	v_cndmask_b32_e32 v3, v7, v11, vcc
	v_cndmask_b32_e32 v2, v6, v10, vcc
	v_lshl_add_u64 v[2:3], v[2:3], 0, v[24:25]
	s_waitcnt lgkmcnt(14)
	global_store_short v[2:3], v60, off
	s_or_b64 exec, exec, s[0:1]
	v_cmp_gt_u32_e32 vcc, s33, v57
	s_and_saveexec_b64 s[0:1], vcc
	s_cbranch_execz .LBB378_120
.LBB378_155:
	v_cmp_lt_u32_e32 vcc, v57, v8
	v_lshlrev_b32_e32 v24, 1, v57
	v_mov_b32_e32 v25, 0
	v_cndmask_b32_e32 v3, v7, v11, vcc
	v_cndmask_b32_e32 v2, v6, v10, vcc
	v_lshl_add_u64 v[2:3], v[2:3], 0, v[24:25]
	s_waitcnt lgkmcnt(14)
	global_store_short v[2:3], v58, off
	s_or_b64 exec, exec, s[0:1]
	v_cmp_gt_u32_e32 vcc, s33, v55
	s_and_saveexec_b64 s[0:1], vcc
	s_cbranch_execz .LBB378_121
.LBB378_156:
	v_cmp_lt_u32_e32 vcc, v55, v8
	v_lshlrev_b32_e32 v24, 1, v55
	v_mov_b32_e32 v25, 0
	v_cndmask_b32_e32 v3, v7, v11, vcc
	v_cndmask_b32_e32 v2, v6, v10, vcc
	v_lshl_add_u64 v[2:3], v[2:3], 0, v[24:25]
	s_waitcnt lgkmcnt(14)
	global_store_short v[2:3], v56, off
	s_or_b64 exec, exec, s[0:1]
	v_cmp_gt_u32_e32 vcc, s33, v53
	s_and_saveexec_b64 s[0:1], vcc
	s_cbranch_execz .LBB378_122
.LBB378_157:
	v_cmp_lt_u32_e32 vcc, v53, v8
	v_lshlrev_b32_e32 v24, 1, v53
	v_mov_b32_e32 v25, 0
	v_cndmask_b32_e32 v3, v7, v11, vcc
	v_cndmask_b32_e32 v2, v6, v10, vcc
	v_lshl_add_u64 v[2:3], v[2:3], 0, v[24:25]
	s_waitcnt lgkmcnt(14)
	global_store_short v[2:3], v54, off
	s_or_b64 exec, exec, s[0:1]
	v_cmp_gt_u32_e32 vcc, s33, v51
	s_and_saveexec_b64 s[0:1], vcc
	s_cbranch_execz .LBB378_123
.LBB378_158:
	v_cmp_lt_u32_e32 vcc, v51, v8
	v_lshlrev_b32_e32 v24, 1, v51
	v_mov_b32_e32 v25, 0
	v_cndmask_b32_e32 v3, v7, v11, vcc
	v_cndmask_b32_e32 v2, v6, v10, vcc
	v_lshl_add_u64 v[2:3], v[2:3], 0, v[24:25]
	s_waitcnt lgkmcnt(14)
	global_store_short v[2:3], v52, off
	s_or_b64 exec, exec, s[0:1]
	v_cmp_gt_u32_e32 vcc, s33, v49
	s_and_saveexec_b64 s[0:1], vcc
	s_cbranch_execz .LBB378_124
.LBB378_159:
	v_cmp_lt_u32_e32 vcc, v49, v8
	v_lshlrev_b32_e32 v24, 1, v49
	v_mov_b32_e32 v25, 0
	v_cndmask_b32_e32 v3, v7, v11, vcc
	v_cndmask_b32_e32 v2, v6, v10, vcc
	v_lshl_add_u64 v[2:3], v[2:3], 0, v[24:25]
	s_waitcnt lgkmcnt(14)
	global_store_short v[2:3], v50, off
	s_or_b64 exec, exec, s[0:1]
	v_cmp_gt_u32_e32 vcc, s33, v47
	s_and_saveexec_b64 s[0:1], vcc
	s_cbranch_execz .LBB378_125
.LBB378_160:
	v_cmp_lt_u32_e32 vcc, v47, v8
	v_lshlrev_b32_e32 v24, 1, v47
	v_mov_b32_e32 v25, 0
	v_cndmask_b32_e32 v3, v7, v11, vcc
	v_cndmask_b32_e32 v2, v6, v10, vcc
	v_lshl_add_u64 v[2:3], v[2:3], 0, v[24:25]
	s_waitcnt lgkmcnt(14)
	global_store_short v[2:3], v48, off
	s_or_b64 exec, exec, s[0:1]
	v_cmp_gt_u32_e32 vcc, s33, v45
	s_and_saveexec_b64 s[0:1], vcc
	s_cbranch_execz .LBB378_126
.LBB378_161:
	v_cmp_lt_u32_e32 vcc, v45, v8
	v_lshlrev_b32_e32 v24, 1, v45
	v_mov_b32_e32 v25, 0
	v_cndmask_b32_e32 v3, v7, v11, vcc
	v_cndmask_b32_e32 v2, v6, v10, vcc
	v_lshl_add_u64 v[2:3], v[2:3], 0, v[24:25]
	s_waitcnt lgkmcnt(14)
	global_store_short v[2:3], v46, off
	s_or_b64 exec, exec, s[0:1]
	v_cmp_gt_u32_e32 vcc, s33, v43
	s_and_saveexec_b64 s[0:1], vcc
	s_cbranch_execz .LBB378_127
.LBB378_162:
	v_cmp_lt_u32_e32 vcc, v43, v8
	v_lshlrev_b32_e32 v24, 1, v43
	v_mov_b32_e32 v25, 0
	v_cndmask_b32_e32 v3, v7, v11, vcc
	v_cndmask_b32_e32 v2, v6, v10, vcc
	v_lshl_add_u64 v[2:3], v[2:3], 0, v[24:25]
	s_waitcnt lgkmcnt(14)
	global_store_short v[2:3], v44, off
	s_or_b64 exec, exec, s[0:1]
	v_cmp_gt_u32_e32 vcc, s33, v41
	s_and_saveexec_b64 s[0:1], vcc
	s_cbranch_execz .LBB378_128
.LBB378_163:
	v_cmp_lt_u32_e32 vcc, v41, v8
	v_lshlrev_b32_e32 v24, 1, v41
	v_mov_b32_e32 v25, 0
	v_cndmask_b32_e32 v3, v7, v11, vcc
	v_cndmask_b32_e32 v2, v6, v10, vcc
	v_lshl_add_u64 v[2:3], v[2:3], 0, v[24:25]
	s_waitcnt lgkmcnt(14)
	global_store_short v[2:3], v42, off
	s_or_b64 exec, exec, s[0:1]
	v_cmp_gt_u32_e32 vcc, s33, v39
	s_and_saveexec_b64 s[0:1], vcc
	s_cbranch_execz .LBB378_129
.LBB378_164:
	v_cmp_lt_u32_e32 vcc, v39, v8
	v_lshlrev_b32_e32 v24, 1, v39
	v_mov_b32_e32 v25, 0
	v_cndmask_b32_e32 v3, v7, v11, vcc
	v_cndmask_b32_e32 v2, v6, v10, vcc
	v_lshl_add_u64 v[2:3], v[2:3], 0, v[24:25]
	s_waitcnt lgkmcnt(13)
	global_store_short v[2:3], v40, off
	s_or_b64 exec, exec, s[0:1]
	v_cmp_gt_u32_e32 vcc, s33, v37
	s_and_saveexec_b64 s[0:1], vcc
	s_cbranch_execz .LBB378_130
.LBB378_165:
	v_cmp_lt_u32_e32 vcc, v37, v8
	v_lshlrev_b32_e32 v24, 1, v37
	v_mov_b32_e32 v25, 0
	v_cndmask_b32_e32 v3, v7, v11, vcc
	v_cndmask_b32_e32 v2, v6, v10, vcc
	v_lshl_add_u64 v[2:3], v[2:3], 0, v[24:25]
	s_waitcnt lgkmcnt(12)
	global_store_short v[2:3], v38, off
	s_or_b64 exec, exec, s[0:1]
	v_cmp_gt_u32_e32 vcc, s33, v35
	s_and_saveexec_b64 s[0:1], vcc
	s_cbranch_execz .LBB378_131
.LBB378_166:
	v_cmp_lt_u32_e32 vcc, v35, v8
	v_lshlrev_b32_e32 v24, 1, v35
	v_mov_b32_e32 v25, 0
	v_cndmask_b32_e32 v3, v7, v11, vcc
	v_cndmask_b32_e32 v2, v6, v10, vcc
	v_lshl_add_u64 v[2:3], v[2:3], 0, v[24:25]
	s_waitcnt lgkmcnt(11)
	global_store_short v[2:3], v36, off
	s_or_b64 exec, exec, s[0:1]
	v_cmp_gt_u32_e32 vcc, s33, v33
	s_and_saveexec_b64 s[0:1], vcc
	s_cbranch_execz .LBB378_132
.LBB378_167:
	v_cmp_lt_u32_e32 vcc, v33, v8
	v_lshlrev_b32_e32 v24, 1, v33
	v_mov_b32_e32 v25, 0
	v_cndmask_b32_e32 v3, v7, v11, vcc
	v_cndmask_b32_e32 v2, v6, v10, vcc
	v_lshl_add_u64 v[2:3], v[2:3], 0, v[24:25]
	s_waitcnt lgkmcnt(10)
	global_store_short v[2:3], v34, off
	s_or_b64 exec, exec, s[0:1]
	v_cmp_gt_u32_e32 vcc, s33, v31
	s_and_saveexec_b64 s[0:1], vcc
	s_cbranch_execz .LBB378_133
.LBB378_168:
	v_cmp_lt_u32_e32 vcc, v31, v8
	v_lshlrev_b32_e32 v24, 1, v31
	v_mov_b32_e32 v25, 0
	v_cndmask_b32_e32 v3, v7, v11, vcc
	v_cndmask_b32_e32 v2, v6, v10, vcc
	v_lshl_add_u64 v[2:3], v[2:3], 0, v[24:25]
	s_waitcnt lgkmcnt(9)
	global_store_short v[2:3], v32, off
	s_or_b64 exec, exec, s[0:1]
	v_cmp_gt_u32_e32 vcc, s33, v29
	s_and_saveexec_b64 s[0:1], vcc
	s_cbranch_execz .LBB378_134
.LBB378_169:
	v_cmp_lt_u32_e32 vcc, v29, v8
	v_lshlrev_b32_e32 v24, 1, v29
	v_mov_b32_e32 v25, 0
	v_cndmask_b32_e32 v3, v7, v11, vcc
	v_cndmask_b32_e32 v2, v6, v10, vcc
	v_lshl_add_u64 v[2:3], v[2:3], 0, v[24:25]
	s_waitcnt lgkmcnt(8)
	global_store_short v[2:3], v30, off
	s_or_b64 exec, exec, s[0:1]
	v_cmp_gt_u32_e32 vcc, s33, v27
	s_and_saveexec_b64 s[0:1], vcc
	s_cbranch_execz .LBB378_135
.LBB378_170:
	v_cmp_lt_u32_e32 vcc, v27, v8
	v_lshlrev_b32_e32 v24, 1, v27
	v_mov_b32_e32 v25, 0
	v_cndmask_b32_e32 v3, v7, v11, vcc
	v_cndmask_b32_e32 v2, v6, v10, vcc
	v_lshl_add_u64 v[2:3], v[2:3], 0, v[24:25]
	s_waitcnt lgkmcnt(7)
	global_store_short v[2:3], v28, off
	s_or_b64 exec, exec, s[0:1]
	v_cmp_gt_u32_e32 vcc, s33, v23
	s_and_saveexec_b64 s[0:1], vcc
	s_cbranch_execz .LBB378_136
.LBB378_171:
	v_cmp_lt_u32_e32 vcc, v23, v8
	v_lshlrev_b32_e32 v24, 1, v23
	v_mov_b32_e32 v25, 0
	v_cndmask_b32_e32 v3, v7, v11, vcc
	v_cndmask_b32_e32 v2, v6, v10, vcc
	v_lshl_add_u64 v[2:3], v[2:3], 0, v[24:25]
	s_waitcnt lgkmcnt(6)
	global_store_short v[2:3], v26, off
	s_or_b64 exec, exec, s[0:1]
	v_cmp_gt_u32_e32 vcc, s33, v21
	s_and_saveexec_b64 s[0:1], vcc
	s_cbranch_execz .LBB378_137
.LBB378_172:
	v_cmp_lt_u32_e32 vcc, v21, v8
	v_lshlrev_b32_e32 v24, 1, v21
	v_mov_b32_e32 v25, 0
	v_cndmask_b32_e32 v3, v7, v11, vcc
	v_cndmask_b32_e32 v2, v6, v10, vcc
	v_lshl_add_u64 v[2:3], v[2:3], 0, v[24:25]
	s_waitcnt lgkmcnt(5)
	global_store_short v[2:3], v22, off
	s_or_b64 exec, exec, s[0:1]
	v_cmp_gt_u32_e32 vcc, s33, v19
	s_and_saveexec_b64 s[0:1], vcc
	s_cbranch_execz .LBB378_138
.LBB378_173:
	v_cmp_lt_u32_e32 vcc, v19, v8
	s_waitcnt lgkmcnt(5)
	v_lshlrev_b32_e32 v22, 1, v19
	v_mov_b32_e32 v23, 0
	v_cndmask_b32_e32 v3, v7, v11, vcc
	v_cndmask_b32_e32 v2, v6, v10, vcc
	v_lshl_add_u64 v[2:3], v[2:3], 0, v[22:23]
	s_waitcnt lgkmcnt(4)
	global_store_short v[2:3], v20, off
	s_or_b64 exec, exec, s[0:1]
	v_cmp_gt_u32_e32 vcc, s33, v17
	s_and_saveexec_b64 s[0:1], vcc
	s_cbranch_execz .LBB378_139
.LBB378_174:
	v_cmp_lt_u32_e32 vcc, v17, v8
	s_waitcnt lgkmcnt(4)
	v_lshlrev_b32_e32 v20, 1, v17
	v_mov_b32_e32 v21, 0
	v_cndmask_b32_e32 v3, v7, v11, vcc
	v_cndmask_b32_e32 v2, v6, v10, vcc
	v_lshl_add_u64 v[2:3], v[2:3], 0, v[20:21]
	s_waitcnt lgkmcnt(3)
	global_store_short v[2:3], v18, off
	s_or_b64 exec, exec, s[0:1]
	v_cmp_gt_u32_e32 vcc, s33, v15
	s_and_saveexec_b64 s[0:1], vcc
	s_cbranch_execz .LBB378_140
.LBB378_175:
	v_cmp_lt_u32_e32 vcc, v15, v8
	s_waitcnt lgkmcnt(3)
	v_lshlrev_b32_e32 v18, 1, v15
	v_mov_b32_e32 v19, 0
	v_cndmask_b32_e32 v3, v7, v11, vcc
	v_cndmask_b32_e32 v2, v6, v10, vcc
	v_lshl_add_u64 v[2:3], v[2:3], 0, v[18:19]
	s_waitcnt lgkmcnt(2)
	global_store_short v[2:3], v16, off
	s_or_b64 exec, exec, s[0:1]
	v_cmp_gt_u32_e32 vcc, s33, v13
	s_and_saveexec_b64 s[0:1], vcc
	s_cbranch_execnz .LBB378_141
	s_branch .LBB378_142
	.section	.rodata,"a",@progbits
	.p2align	6, 0x0
	.amdhsa_kernel _ZN7rocprim17ROCPRIM_400000_NS6detail17trampoline_kernelINS0_14default_configENS1_25partition_config_selectorILNS1_17partition_subalgoE0EsNS0_10empty_typeEbEEZZNS1_14partition_implILS5_0ELb0ES3_jN6thrust23THRUST_200600_302600_NS6detail15normal_iteratorINSA_10device_ptrIsEEEEPS6_SG_NS0_5tupleIJSF_SF_EEENSH_IJSG_SG_EEES6_PlJ7is_evenIsEEEE10hipError_tPvRmT3_T4_T5_T6_T7_T9_mT8_P12ihipStream_tbDpT10_ENKUlT_T0_E_clISt17integral_constantIbLb0EES15_IbLb1EEEEDaS11_S12_EUlS11_E_NS1_11comp_targetILNS1_3genE5ELNS1_11target_archE942ELNS1_3gpuE9ELNS1_3repE0EEENS1_30default_config_static_selectorELNS0_4arch9wavefront6targetE1EEEvT1_
		.amdhsa_group_segment_fixed_size 30728
		.amdhsa_private_segment_fixed_size 0
		.amdhsa_kernarg_size 136
		.amdhsa_user_sgpr_count 2
		.amdhsa_user_sgpr_dispatch_ptr 0
		.amdhsa_user_sgpr_queue_ptr 0
		.amdhsa_user_sgpr_kernarg_segment_ptr 1
		.amdhsa_user_sgpr_dispatch_id 0
		.amdhsa_user_sgpr_kernarg_preload_length 0
		.amdhsa_user_sgpr_kernarg_preload_offset 0
		.amdhsa_user_sgpr_private_segment_size 0
		.amdhsa_uses_dynamic_stack 0
		.amdhsa_enable_private_segment 0
		.amdhsa_system_sgpr_workgroup_id_x 1
		.amdhsa_system_sgpr_workgroup_id_y 0
		.amdhsa_system_sgpr_workgroup_id_z 0
		.amdhsa_system_sgpr_workgroup_info 0
		.amdhsa_system_vgpr_workitem_id 0
		.amdhsa_next_free_vgpr 124
		.amdhsa_next_free_sgpr 44
		.amdhsa_accum_offset 124
		.amdhsa_reserve_vcc 1
		.amdhsa_float_round_mode_32 0
		.amdhsa_float_round_mode_16_64 0
		.amdhsa_float_denorm_mode_32 3
		.amdhsa_float_denorm_mode_16_64 3
		.amdhsa_dx10_clamp 1
		.amdhsa_ieee_mode 1
		.amdhsa_fp16_overflow 0
		.amdhsa_tg_split 0
		.amdhsa_exception_fp_ieee_invalid_op 0
		.amdhsa_exception_fp_denorm_src 0
		.amdhsa_exception_fp_ieee_div_zero 0
		.amdhsa_exception_fp_ieee_overflow 0
		.amdhsa_exception_fp_ieee_underflow 0
		.amdhsa_exception_fp_ieee_inexact 0
		.amdhsa_exception_int_div_zero 0
	.end_amdhsa_kernel
	.section	.text._ZN7rocprim17ROCPRIM_400000_NS6detail17trampoline_kernelINS0_14default_configENS1_25partition_config_selectorILNS1_17partition_subalgoE0EsNS0_10empty_typeEbEEZZNS1_14partition_implILS5_0ELb0ES3_jN6thrust23THRUST_200600_302600_NS6detail15normal_iteratorINSA_10device_ptrIsEEEEPS6_SG_NS0_5tupleIJSF_SF_EEENSH_IJSG_SG_EEES6_PlJ7is_evenIsEEEE10hipError_tPvRmT3_T4_T5_T6_T7_T9_mT8_P12ihipStream_tbDpT10_ENKUlT_T0_E_clISt17integral_constantIbLb0EES15_IbLb1EEEEDaS11_S12_EUlS11_E_NS1_11comp_targetILNS1_3genE5ELNS1_11target_archE942ELNS1_3gpuE9ELNS1_3repE0EEENS1_30default_config_static_selectorELNS0_4arch9wavefront6targetE1EEEvT1_,"axG",@progbits,_ZN7rocprim17ROCPRIM_400000_NS6detail17trampoline_kernelINS0_14default_configENS1_25partition_config_selectorILNS1_17partition_subalgoE0EsNS0_10empty_typeEbEEZZNS1_14partition_implILS5_0ELb0ES3_jN6thrust23THRUST_200600_302600_NS6detail15normal_iteratorINSA_10device_ptrIsEEEEPS6_SG_NS0_5tupleIJSF_SF_EEENSH_IJSG_SG_EEES6_PlJ7is_evenIsEEEE10hipError_tPvRmT3_T4_T5_T6_T7_T9_mT8_P12ihipStream_tbDpT10_ENKUlT_T0_E_clISt17integral_constantIbLb0EES15_IbLb1EEEEDaS11_S12_EUlS11_E_NS1_11comp_targetILNS1_3genE5ELNS1_11target_archE942ELNS1_3gpuE9ELNS1_3repE0EEENS1_30default_config_static_selectorELNS0_4arch9wavefront6targetE1EEEvT1_,comdat
.Lfunc_end378:
	.size	_ZN7rocprim17ROCPRIM_400000_NS6detail17trampoline_kernelINS0_14default_configENS1_25partition_config_selectorILNS1_17partition_subalgoE0EsNS0_10empty_typeEbEEZZNS1_14partition_implILS5_0ELb0ES3_jN6thrust23THRUST_200600_302600_NS6detail15normal_iteratorINSA_10device_ptrIsEEEEPS6_SG_NS0_5tupleIJSF_SF_EEENSH_IJSG_SG_EEES6_PlJ7is_evenIsEEEE10hipError_tPvRmT3_T4_T5_T6_T7_T9_mT8_P12ihipStream_tbDpT10_ENKUlT_T0_E_clISt17integral_constantIbLb0EES15_IbLb1EEEEDaS11_S12_EUlS11_E_NS1_11comp_targetILNS1_3genE5ELNS1_11target_archE942ELNS1_3gpuE9ELNS1_3repE0EEENS1_30default_config_static_selectorELNS0_4arch9wavefront6targetE1EEEvT1_, .Lfunc_end378-_ZN7rocprim17ROCPRIM_400000_NS6detail17trampoline_kernelINS0_14default_configENS1_25partition_config_selectorILNS1_17partition_subalgoE0EsNS0_10empty_typeEbEEZZNS1_14partition_implILS5_0ELb0ES3_jN6thrust23THRUST_200600_302600_NS6detail15normal_iteratorINSA_10device_ptrIsEEEEPS6_SG_NS0_5tupleIJSF_SF_EEENSH_IJSG_SG_EEES6_PlJ7is_evenIsEEEE10hipError_tPvRmT3_T4_T5_T6_T7_T9_mT8_P12ihipStream_tbDpT10_ENKUlT_T0_E_clISt17integral_constantIbLb0EES15_IbLb1EEEEDaS11_S12_EUlS11_E_NS1_11comp_targetILNS1_3genE5ELNS1_11target_archE942ELNS1_3gpuE9ELNS1_3repE0EEENS1_30default_config_static_selectorELNS0_4arch9wavefront6targetE1EEEvT1_
                                        ; -- End function
	.section	.AMDGPU.csdata,"",@progbits
; Kernel info:
; codeLenInByte = 10992
; NumSgprs: 50
; NumVgprs: 124
; NumAgprs: 0
; TotalNumVgprs: 124
; ScratchSize: 0
; MemoryBound: 0
; FloatMode: 240
; IeeeMode: 1
; LDSByteSize: 30728 bytes/workgroup (compile time only)
; SGPRBlocks: 6
; VGPRBlocks: 15
; NumSGPRsForWavesPerEU: 50
; NumVGPRsForWavesPerEU: 124
; AccumOffset: 124
; Occupancy: 4
; WaveLimiterHint : 1
; COMPUTE_PGM_RSRC2:SCRATCH_EN: 0
; COMPUTE_PGM_RSRC2:USER_SGPR: 2
; COMPUTE_PGM_RSRC2:TRAP_HANDLER: 0
; COMPUTE_PGM_RSRC2:TGID_X_EN: 1
; COMPUTE_PGM_RSRC2:TGID_Y_EN: 0
; COMPUTE_PGM_RSRC2:TGID_Z_EN: 0
; COMPUTE_PGM_RSRC2:TIDIG_COMP_CNT: 0
; COMPUTE_PGM_RSRC3_GFX90A:ACCUM_OFFSET: 30
; COMPUTE_PGM_RSRC3_GFX90A:TG_SPLIT: 0
	.section	.text._ZN7rocprim17ROCPRIM_400000_NS6detail17trampoline_kernelINS0_14default_configENS1_25partition_config_selectorILNS1_17partition_subalgoE0EsNS0_10empty_typeEbEEZZNS1_14partition_implILS5_0ELb0ES3_jN6thrust23THRUST_200600_302600_NS6detail15normal_iteratorINSA_10device_ptrIsEEEEPS6_SG_NS0_5tupleIJSF_SF_EEENSH_IJSG_SG_EEES6_PlJ7is_evenIsEEEE10hipError_tPvRmT3_T4_T5_T6_T7_T9_mT8_P12ihipStream_tbDpT10_ENKUlT_T0_E_clISt17integral_constantIbLb0EES15_IbLb1EEEEDaS11_S12_EUlS11_E_NS1_11comp_targetILNS1_3genE4ELNS1_11target_archE910ELNS1_3gpuE8ELNS1_3repE0EEENS1_30default_config_static_selectorELNS0_4arch9wavefront6targetE1EEEvT1_,"axG",@progbits,_ZN7rocprim17ROCPRIM_400000_NS6detail17trampoline_kernelINS0_14default_configENS1_25partition_config_selectorILNS1_17partition_subalgoE0EsNS0_10empty_typeEbEEZZNS1_14partition_implILS5_0ELb0ES3_jN6thrust23THRUST_200600_302600_NS6detail15normal_iteratorINSA_10device_ptrIsEEEEPS6_SG_NS0_5tupleIJSF_SF_EEENSH_IJSG_SG_EEES6_PlJ7is_evenIsEEEE10hipError_tPvRmT3_T4_T5_T6_T7_T9_mT8_P12ihipStream_tbDpT10_ENKUlT_T0_E_clISt17integral_constantIbLb0EES15_IbLb1EEEEDaS11_S12_EUlS11_E_NS1_11comp_targetILNS1_3genE4ELNS1_11target_archE910ELNS1_3gpuE8ELNS1_3repE0EEENS1_30default_config_static_selectorELNS0_4arch9wavefront6targetE1EEEvT1_,comdat
	.protected	_ZN7rocprim17ROCPRIM_400000_NS6detail17trampoline_kernelINS0_14default_configENS1_25partition_config_selectorILNS1_17partition_subalgoE0EsNS0_10empty_typeEbEEZZNS1_14partition_implILS5_0ELb0ES3_jN6thrust23THRUST_200600_302600_NS6detail15normal_iteratorINSA_10device_ptrIsEEEEPS6_SG_NS0_5tupleIJSF_SF_EEENSH_IJSG_SG_EEES6_PlJ7is_evenIsEEEE10hipError_tPvRmT3_T4_T5_T6_T7_T9_mT8_P12ihipStream_tbDpT10_ENKUlT_T0_E_clISt17integral_constantIbLb0EES15_IbLb1EEEEDaS11_S12_EUlS11_E_NS1_11comp_targetILNS1_3genE4ELNS1_11target_archE910ELNS1_3gpuE8ELNS1_3repE0EEENS1_30default_config_static_selectorELNS0_4arch9wavefront6targetE1EEEvT1_ ; -- Begin function _ZN7rocprim17ROCPRIM_400000_NS6detail17trampoline_kernelINS0_14default_configENS1_25partition_config_selectorILNS1_17partition_subalgoE0EsNS0_10empty_typeEbEEZZNS1_14partition_implILS5_0ELb0ES3_jN6thrust23THRUST_200600_302600_NS6detail15normal_iteratorINSA_10device_ptrIsEEEEPS6_SG_NS0_5tupleIJSF_SF_EEENSH_IJSG_SG_EEES6_PlJ7is_evenIsEEEE10hipError_tPvRmT3_T4_T5_T6_T7_T9_mT8_P12ihipStream_tbDpT10_ENKUlT_T0_E_clISt17integral_constantIbLb0EES15_IbLb1EEEEDaS11_S12_EUlS11_E_NS1_11comp_targetILNS1_3genE4ELNS1_11target_archE910ELNS1_3gpuE8ELNS1_3repE0EEENS1_30default_config_static_selectorELNS0_4arch9wavefront6targetE1EEEvT1_
	.globl	_ZN7rocprim17ROCPRIM_400000_NS6detail17trampoline_kernelINS0_14default_configENS1_25partition_config_selectorILNS1_17partition_subalgoE0EsNS0_10empty_typeEbEEZZNS1_14partition_implILS5_0ELb0ES3_jN6thrust23THRUST_200600_302600_NS6detail15normal_iteratorINSA_10device_ptrIsEEEEPS6_SG_NS0_5tupleIJSF_SF_EEENSH_IJSG_SG_EEES6_PlJ7is_evenIsEEEE10hipError_tPvRmT3_T4_T5_T6_T7_T9_mT8_P12ihipStream_tbDpT10_ENKUlT_T0_E_clISt17integral_constantIbLb0EES15_IbLb1EEEEDaS11_S12_EUlS11_E_NS1_11comp_targetILNS1_3genE4ELNS1_11target_archE910ELNS1_3gpuE8ELNS1_3repE0EEENS1_30default_config_static_selectorELNS0_4arch9wavefront6targetE1EEEvT1_
	.p2align	8
	.type	_ZN7rocprim17ROCPRIM_400000_NS6detail17trampoline_kernelINS0_14default_configENS1_25partition_config_selectorILNS1_17partition_subalgoE0EsNS0_10empty_typeEbEEZZNS1_14partition_implILS5_0ELb0ES3_jN6thrust23THRUST_200600_302600_NS6detail15normal_iteratorINSA_10device_ptrIsEEEEPS6_SG_NS0_5tupleIJSF_SF_EEENSH_IJSG_SG_EEES6_PlJ7is_evenIsEEEE10hipError_tPvRmT3_T4_T5_T6_T7_T9_mT8_P12ihipStream_tbDpT10_ENKUlT_T0_E_clISt17integral_constantIbLb0EES15_IbLb1EEEEDaS11_S12_EUlS11_E_NS1_11comp_targetILNS1_3genE4ELNS1_11target_archE910ELNS1_3gpuE8ELNS1_3repE0EEENS1_30default_config_static_selectorELNS0_4arch9wavefront6targetE1EEEvT1_,@function
_ZN7rocprim17ROCPRIM_400000_NS6detail17trampoline_kernelINS0_14default_configENS1_25partition_config_selectorILNS1_17partition_subalgoE0EsNS0_10empty_typeEbEEZZNS1_14partition_implILS5_0ELb0ES3_jN6thrust23THRUST_200600_302600_NS6detail15normal_iteratorINSA_10device_ptrIsEEEEPS6_SG_NS0_5tupleIJSF_SF_EEENSH_IJSG_SG_EEES6_PlJ7is_evenIsEEEE10hipError_tPvRmT3_T4_T5_T6_T7_T9_mT8_P12ihipStream_tbDpT10_ENKUlT_T0_E_clISt17integral_constantIbLb0EES15_IbLb1EEEEDaS11_S12_EUlS11_E_NS1_11comp_targetILNS1_3genE4ELNS1_11target_archE910ELNS1_3gpuE8ELNS1_3repE0EEENS1_30default_config_static_selectorELNS0_4arch9wavefront6targetE1EEEvT1_: ; @_ZN7rocprim17ROCPRIM_400000_NS6detail17trampoline_kernelINS0_14default_configENS1_25partition_config_selectorILNS1_17partition_subalgoE0EsNS0_10empty_typeEbEEZZNS1_14partition_implILS5_0ELb0ES3_jN6thrust23THRUST_200600_302600_NS6detail15normal_iteratorINSA_10device_ptrIsEEEEPS6_SG_NS0_5tupleIJSF_SF_EEENSH_IJSG_SG_EEES6_PlJ7is_evenIsEEEE10hipError_tPvRmT3_T4_T5_T6_T7_T9_mT8_P12ihipStream_tbDpT10_ENKUlT_T0_E_clISt17integral_constantIbLb0EES15_IbLb1EEEEDaS11_S12_EUlS11_E_NS1_11comp_targetILNS1_3genE4ELNS1_11target_archE910ELNS1_3gpuE8ELNS1_3repE0EEENS1_30default_config_static_selectorELNS0_4arch9wavefront6targetE1EEEvT1_
; %bb.0:
	.section	.rodata,"a",@progbits
	.p2align	6, 0x0
	.amdhsa_kernel _ZN7rocprim17ROCPRIM_400000_NS6detail17trampoline_kernelINS0_14default_configENS1_25partition_config_selectorILNS1_17partition_subalgoE0EsNS0_10empty_typeEbEEZZNS1_14partition_implILS5_0ELb0ES3_jN6thrust23THRUST_200600_302600_NS6detail15normal_iteratorINSA_10device_ptrIsEEEEPS6_SG_NS0_5tupleIJSF_SF_EEENSH_IJSG_SG_EEES6_PlJ7is_evenIsEEEE10hipError_tPvRmT3_T4_T5_T6_T7_T9_mT8_P12ihipStream_tbDpT10_ENKUlT_T0_E_clISt17integral_constantIbLb0EES15_IbLb1EEEEDaS11_S12_EUlS11_E_NS1_11comp_targetILNS1_3genE4ELNS1_11target_archE910ELNS1_3gpuE8ELNS1_3repE0EEENS1_30default_config_static_selectorELNS0_4arch9wavefront6targetE1EEEvT1_
		.amdhsa_group_segment_fixed_size 0
		.amdhsa_private_segment_fixed_size 0
		.amdhsa_kernarg_size 136
		.amdhsa_user_sgpr_count 2
		.amdhsa_user_sgpr_dispatch_ptr 0
		.amdhsa_user_sgpr_queue_ptr 0
		.amdhsa_user_sgpr_kernarg_segment_ptr 1
		.amdhsa_user_sgpr_dispatch_id 0
		.amdhsa_user_sgpr_kernarg_preload_length 0
		.amdhsa_user_sgpr_kernarg_preload_offset 0
		.amdhsa_user_sgpr_private_segment_size 0
		.amdhsa_uses_dynamic_stack 0
		.amdhsa_enable_private_segment 0
		.amdhsa_system_sgpr_workgroup_id_x 1
		.amdhsa_system_sgpr_workgroup_id_y 0
		.amdhsa_system_sgpr_workgroup_id_z 0
		.amdhsa_system_sgpr_workgroup_info 0
		.amdhsa_system_vgpr_workitem_id 0
		.amdhsa_next_free_vgpr 1
		.amdhsa_next_free_sgpr 0
		.amdhsa_accum_offset 4
		.amdhsa_reserve_vcc 0
		.amdhsa_float_round_mode_32 0
		.amdhsa_float_round_mode_16_64 0
		.amdhsa_float_denorm_mode_32 3
		.amdhsa_float_denorm_mode_16_64 3
		.amdhsa_dx10_clamp 1
		.amdhsa_ieee_mode 1
		.amdhsa_fp16_overflow 0
		.amdhsa_tg_split 0
		.amdhsa_exception_fp_ieee_invalid_op 0
		.amdhsa_exception_fp_denorm_src 0
		.amdhsa_exception_fp_ieee_div_zero 0
		.amdhsa_exception_fp_ieee_overflow 0
		.amdhsa_exception_fp_ieee_underflow 0
		.amdhsa_exception_fp_ieee_inexact 0
		.amdhsa_exception_int_div_zero 0
	.end_amdhsa_kernel
	.section	.text._ZN7rocprim17ROCPRIM_400000_NS6detail17trampoline_kernelINS0_14default_configENS1_25partition_config_selectorILNS1_17partition_subalgoE0EsNS0_10empty_typeEbEEZZNS1_14partition_implILS5_0ELb0ES3_jN6thrust23THRUST_200600_302600_NS6detail15normal_iteratorINSA_10device_ptrIsEEEEPS6_SG_NS0_5tupleIJSF_SF_EEENSH_IJSG_SG_EEES6_PlJ7is_evenIsEEEE10hipError_tPvRmT3_T4_T5_T6_T7_T9_mT8_P12ihipStream_tbDpT10_ENKUlT_T0_E_clISt17integral_constantIbLb0EES15_IbLb1EEEEDaS11_S12_EUlS11_E_NS1_11comp_targetILNS1_3genE4ELNS1_11target_archE910ELNS1_3gpuE8ELNS1_3repE0EEENS1_30default_config_static_selectorELNS0_4arch9wavefront6targetE1EEEvT1_,"axG",@progbits,_ZN7rocprim17ROCPRIM_400000_NS6detail17trampoline_kernelINS0_14default_configENS1_25partition_config_selectorILNS1_17partition_subalgoE0EsNS0_10empty_typeEbEEZZNS1_14partition_implILS5_0ELb0ES3_jN6thrust23THRUST_200600_302600_NS6detail15normal_iteratorINSA_10device_ptrIsEEEEPS6_SG_NS0_5tupleIJSF_SF_EEENSH_IJSG_SG_EEES6_PlJ7is_evenIsEEEE10hipError_tPvRmT3_T4_T5_T6_T7_T9_mT8_P12ihipStream_tbDpT10_ENKUlT_T0_E_clISt17integral_constantIbLb0EES15_IbLb1EEEEDaS11_S12_EUlS11_E_NS1_11comp_targetILNS1_3genE4ELNS1_11target_archE910ELNS1_3gpuE8ELNS1_3repE0EEENS1_30default_config_static_selectorELNS0_4arch9wavefront6targetE1EEEvT1_,comdat
.Lfunc_end379:
	.size	_ZN7rocprim17ROCPRIM_400000_NS6detail17trampoline_kernelINS0_14default_configENS1_25partition_config_selectorILNS1_17partition_subalgoE0EsNS0_10empty_typeEbEEZZNS1_14partition_implILS5_0ELb0ES3_jN6thrust23THRUST_200600_302600_NS6detail15normal_iteratorINSA_10device_ptrIsEEEEPS6_SG_NS0_5tupleIJSF_SF_EEENSH_IJSG_SG_EEES6_PlJ7is_evenIsEEEE10hipError_tPvRmT3_T4_T5_T6_T7_T9_mT8_P12ihipStream_tbDpT10_ENKUlT_T0_E_clISt17integral_constantIbLb0EES15_IbLb1EEEEDaS11_S12_EUlS11_E_NS1_11comp_targetILNS1_3genE4ELNS1_11target_archE910ELNS1_3gpuE8ELNS1_3repE0EEENS1_30default_config_static_selectorELNS0_4arch9wavefront6targetE1EEEvT1_, .Lfunc_end379-_ZN7rocprim17ROCPRIM_400000_NS6detail17trampoline_kernelINS0_14default_configENS1_25partition_config_selectorILNS1_17partition_subalgoE0EsNS0_10empty_typeEbEEZZNS1_14partition_implILS5_0ELb0ES3_jN6thrust23THRUST_200600_302600_NS6detail15normal_iteratorINSA_10device_ptrIsEEEEPS6_SG_NS0_5tupleIJSF_SF_EEENSH_IJSG_SG_EEES6_PlJ7is_evenIsEEEE10hipError_tPvRmT3_T4_T5_T6_T7_T9_mT8_P12ihipStream_tbDpT10_ENKUlT_T0_E_clISt17integral_constantIbLb0EES15_IbLb1EEEEDaS11_S12_EUlS11_E_NS1_11comp_targetILNS1_3genE4ELNS1_11target_archE910ELNS1_3gpuE8ELNS1_3repE0EEENS1_30default_config_static_selectorELNS0_4arch9wavefront6targetE1EEEvT1_
                                        ; -- End function
	.section	.AMDGPU.csdata,"",@progbits
; Kernel info:
; codeLenInByte = 0
; NumSgprs: 6
; NumVgprs: 0
; NumAgprs: 0
; TotalNumVgprs: 0
; ScratchSize: 0
; MemoryBound: 0
; FloatMode: 240
; IeeeMode: 1
; LDSByteSize: 0 bytes/workgroup (compile time only)
; SGPRBlocks: 0
; VGPRBlocks: 0
; NumSGPRsForWavesPerEU: 6
; NumVGPRsForWavesPerEU: 1
; AccumOffset: 4
; Occupancy: 8
; WaveLimiterHint : 0
; COMPUTE_PGM_RSRC2:SCRATCH_EN: 0
; COMPUTE_PGM_RSRC2:USER_SGPR: 2
; COMPUTE_PGM_RSRC2:TRAP_HANDLER: 0
; COMPUTE_PGM_RSRC2:TGID_X_EN: 1
; COMPUTE_PGM_RSRC2:TGID_Y_EN: 0
; COMPUTE_PGM_RSRC2:TGID_Z_EN: 0
; COMPUTE_PGM_RSRC2:TIDIG_COMP_CNT: 0
; COMPUTE_PGM_RSRC3_GFX90A:ACCUM_OFFSET: 0
; COMPUTE_PGM_RSRC3_GFX90A:TG_SPLIT: 0
	.section	.text._ZN7rocprim17ROCPRIM_400000_NS6detail17trampoline_kernelINS0_14default_configENS1_25partition_config_selectorILNS1_17partition_subalgoE0EsNS0_10empty_typeEbEEZZNS1_14partition_implILS5_0ELb0ES3_jN6thrust23THRUST_200600_302600_NS6detail15normal_iteratorINSA_10device_ptrIsEEEEPS6_SG_NS0_5tupleIJSF_SF_EEENSH_IJSG_SG_EEES6_PlJ7is_evenIsEEEE10hipError_tPvRmT3_T4_T5_T6_T7_T9_mT8_P12ihipStream_tbDpT10_ENKUlT_T0_E_clISt17integral_constantIbLb0EES15_IbLb1EEEEDaS11_S12_EUlS11_E_NS1_11comp_targetILNS1_3genE3ELNS1_11target_archE908ELNS1_3gpuE7ELNS1_3repE0EEENS1_30default_config_static_selectorELNS0_4arch9wavefront6targetE1EEEvT1_,"axG",@progbits,_ZN7rocprim17ROCPRIM_400000_NS6detail17trampoline_kernelINS0_14default_configENS1_25partition_config_selectorILNS1_17partition_subalgoE0EsNS0_10empty_typeEbEEZZNS1_14partition_implILS5_0ELb0ES3_jN6thrust23THRUST_200600_302600_NS6detail15normal_iteratorINSA_10device_ptrIsEEEEPS6_SG_NS0_5tupleIJSF_SF_EEENSH_IJSG_SG_EEES6_PlJ7is_evenIsEEEE10hipError_tPvRmT3_T4_T5_T6_T7_T9_mT8_P12ihipStream_tbDpT10_ENKUlT_T0_E_clISt17integral_constantIbLb0EES15_IbLb1EEEEDaS11_S12_EUlS11_E_NS1_11comp_targetILNS1_3genE3ELNS1_11target_archE908ELNS1_3gpuE7ELNS1_3repE0EEENS1_30default_config_static_selectorELNS0_4arch9wavefront6targetE1EEEvT1_,comdat
	.protected	_ZN7rocprim17ROCPRIM_400000_NS6detail17trampoline_kernelINS0_14default_configENS1_25partition_config_selectorILNS1_17partition_subalgoE0EsNS0_10empty_typeEbEEZZNS1_14partition_implILS5_0ELb0ES3_jN6thrust23THRUST_200600_302600_NS6detail15normal_iteratorINSA_10device_ptrIsEEEEPS6_SG_NS0_5tupleIJSF_SF_EEENSH_IJSG_SG_EEES6_PlJ7is_evenIsEEEE10hipError_tPvRmT3_T4_T5_T6_T7_T9_mT8_P12ihipStream_tbDpT10_ENKUlT_T0_E_clISt17integral_constantIbLb0EES15_IbLb1EEEEDaS11_S12_EUlS11_E_NS1_11comp_targetILNS1_3genE3ELNS1_11target_archE908ELNS1_3gpuE7ELNS1_3repE0EEENS1_30default_config_static_selectorELNS0_4arch9wavefront6targetE1EEEvT1_ ; -- Begin function _ZN7rocprim17ROCPRIM_400000_NS6detail17trampoline_kernelINS0_14default_configENS1_25partition_config_selectorILNS1_17partition_subalgoE0EsNS0_10empty_typeEbEEZZNS1_14partition_implILS5_0ELb0ES3_jN6thrust23THRUST_200600_302600_NS6detail15normal_iteratorINSA_10device_ptrIsEEEEPS6_SG_NS0_5tupleIJSF_SF_EEENSH_IJSG_SG_EEES6_PlJ7is_evenIsEEEE10hipError_tPvRmT3_T4_T5_T6_T7_T9_mT8_P12ihipStream_tbDpT10_ENKUlT_T0_E_clISt17integral_constantIbLb0EES15_IbLb1EEEEDaS11_S12_EUlS11_E_NS1_11comp_targetILNS1_3genE3ELNS1_11target_archE908ELNS1_3gpuE7ELNS1_3repE0EEENS1_30default_config_static_selectorELNS0_4arch9wavefront6targetE1EEEvT1_
	.globl	_ZN7rocprim17ROCPRIM_400000_NS6detail17trampoline_kernelINS0_14default_configENS1_25partition_config_selectorILNS1_17partition_subalgoE0EsNS0_10empty_typeEbEEZZNS1_14partition_implILS5_0ELb0ES3_jN6thrust23THRUST_200600_302600_NS6detail15normal_iteratorINSA_10device_ptrIsEEEEPS6_SG_NS0_5tupleIJSF_SF_EEENSH_IJSG_SG_EEES6_PlJ7is_evenIsEEEE10hipError_tPvRmT3_T4_T5_T6_T7_T9_mT8_P12ihipStream_tbDpT10_ENKUlT_T0_E_clISt17integral_constantIbLb0EES15_IbLb1EEEEDaS11_S12_EUlS11_E_NS1_11comp_targetILNS1_3genE3ELNS1_11target_archE908ELNS1_3gpuE7ELNS1_3repE0EEENS1_30default_config_static_selectorELNS0_4arch9wavefront6targetE1EEEvT1_
	.p2align	8
	.type	_ZN7rocprim17ROCPRIM_400000_NS6detail17trampoline_kernelINS0_14default_configENS1_25partition_config_selectorILNS1_17partition_subalgoE0EsNS0_10empty_typeEbEEZZNS1_14partition_implILS5_0ELb0ES3_jN6thrust23THRUST_200600_302600_NS6detail15normal_iteratorINSA_10device_ptrIsEEEEPS6_SG_NS0_5tupleIJSF_SF_EEENSH_IJSG_SG_EEES6_PlJ7is_evenIsEEEE10hipError_tPvRmT3_T4_T5_T6_T7_T9_mT8_P12ihipStream_tbDpT10_ENKUlT_T0_E_clISt17integral_constantIbLb0EES15_IbLb1EEEEDaS11_S12_EUlS11_E_NS1_11comp_targetILNS1_3genE3ELNS1_11target_archE908ELNS1_3gpuE7ELNS1_3repE0EEENS1_30default_config_static_selectorELNS0_4arch9wavefront6targetE1EEEvT1_,@function
_ZN7rocprim17ROCPRIM_400000_NS6detail17trampoline_kernelINS0_14default_configENS1_25partition_config_selectorILNS1_17partition_subalgoE0EsNS0_10empty_typeEbEEZZNS1_14partition_implILS5_0ELb0ES3_jN6thrust23THRUST_200600_302600_NS6detail15normal_iteratorINSA_10device_ptrIsEEEEPS6_SG_NS0_5tupleIJSF_SF_EEENSH_IJSG_SG_EEES6_PlJ7is_evenIsEEEE10hipError_tPvRmT3_T4_T5_T6_T7_T9_mT8_P12ihipStream_tbDpT10_ENKUlT_T0_E_clISt17integral_constantIbLb0EES15_IbLb1EEEEDaS11_S12_EUlS11_E_NS1_11comp_targetILNS1_3genE3ELNS1_11target_archE908ELNS1_3gpuE7ELNS1_3repE0EEENS1_30default_config_static_selectorELNS0_4arch9wavefront6targetE1EEEvT1_: ; @_ZN7rocprim17ROCPRIM_400000_NS6detail17trampoline_kernelINS0_14default_configENS1_25partition_config_selectorILNS1_17partition_subalgoE0EsNS0_10empty_typeEbEEZZNS1_14partition_implILS5_0ELb0ES3_jN6thrust23THRUST_200600_302600_NS6detail15normal_iteratorINSA_10device_ptrIsEEEEPS6_SG_NS0_5tupleIJSF_SF_EEENSH_IJSG_SG_EEES6_PlJ7is_evenIsEEEE10hipError_tPvRmT3_T4_T5_T6_T7_T9_mT8_P12ihipStream_tbDpT10_ENKUlT_T0_E_clISt17integral_constantIbLb0EES15_IbLb1EEEEDaS11_S12_EUlS11_E_NS1_11comp_targetILNS1_3genE3ELNS1_11target_archE908ELNS1_3gpuE7ELNS1_3repE0EEENS1_30default_config_static_selectorELNS0_4arch9wavefront6targetE1EEEvT1_
; %bb.0:
	.section	.rodata,"a",@progbits
	.p2align	6, 0x0
	.amdhsa_kernel _ZN7rocprim17ROCPRIM_400000_NS6detail17trampoline_kernelINS0_14default_configENS1_25partition_config_selectorILNS1_17partition_subalgoE0EsNS0_10empty_typeEbEEZZNS1_14partition_implILS5_0ELb0ES3_jN6thrust23THRUST_200600_302600_NS6detail15normal_iteratorINSA_10device_ptrIsEEEEPS6_SG_NS0_5tupleIJSF_SF_EEENSH_IJSG_SG_EEES6_PlJ7is_evenIsEEEE10hipError_tPvRmT3_T4_T5_T6_T7_T9_mT8_P12ihipStream_tbDpT10_ENKUlT_T0_E_clISt17integral_constantIbLb0EES15_IbLb1EEEEDaS11_S12_EUlS11_E_NS1_11comp_targetILNS1_3genE3ELNS1_11target_archE908ELNS1_3gpuE7ELNS1_3repE0EEENS1_30default_config_static_selectorELNS0_4arch9wavefront6targetE1EEEvT1_
		.amdhsa_group_segment_fixed_size 0
		.amdhsa_private_segment_fixed_size 0
		.amdhsa_kernarg_size 136
		.amdhsa_user_sgpr_count 2
		.amdhsa_user_sgpr_dispatch_ptr 0
		.amdhsa_user_sgpr_queue_ptr 0
		.amdhsa_user_sgpr_kernarg_segment_ptr 1
		.amdhsa_user_sgpr_dispatch_id 0
		.amdhsa_user_sgpr_kernarg_preload_length 0
		.amdhsa_user_sgpr_kernarg_preload_offset 0
		.amdhsa_user_sgpr_private_segment_size 0
		.amdhsa_uses_dynamic_stack 0
		.amdhsa_enable_private_segment 0
		.amdhsa_system_sgpr_workgroup_id_x 1
		.amdhsa_system_sgpr_workgroup_id_y 0
		.amdhsa_system_sgpr_workgroup_id_z 0
		.amdhsa_system_sgpr_workgroup_info 0
		.amdhsa_system_vgpr_workitem_id 0
		.amdhsa_next_free_vgpr 1
		.amdhsa_next_free_sgpr 0
		.amdhsa_accum_offset 4
		.amdhsa_reserve_vcc 0
		.amdhsa_float_round_mode_32 0
		.amdhsa_float_round_mode_16_64 0
		.amdhsa_float_denorm_mode_32 3
		.amdhsa_float_denorm_mode_16_64 3
		.amdhsa_dx10_clamp 1
		.amdhsa_ieee_mode 1
		.amdhsa_fp16_overflow 0
		.amdhsa_tg_split 0
		.amdhsa_exception_fp_ieee_invalid_op 0
		.amdhsa_exception_fp_denorm_src 0
		.amdhsa_exception_fp_ieee_div_zero 0
		.amdhsa_exception_fp_ieee_overflow 0
		.amdhsa_exception_fp_ieee_underflow 0
		.amdhsa_exception_fp_ieee_inexact 0
		.amdhsa_exception_int_div_zero 0
	.end_amdhsa_kernel
	.section	.text._ZN7rocprim17ROCPRIM_400000_NS6detail17trampoline_kernelINS0_14default_configENS1_25partition_config_selectorILNS1_17partition_subalgoE0EsNS0_10empty_typeEbEEZZNS1_14partition_implILS5_0ELb0ES3_jN6thrust23THRUST_200600_302600_NS6detail15normal_iteratorINSA_10device_ptrIsEEEEPS6_SG_NS0_5tupleIJSF_SF_EEENSH_IJSG_SG_EEES6_PlJ7is_evenIsEEEE10hipError_tPvRmT3_T4_T5_T6_T7_T9_mT8_P12ihipStream_tbDpT10_ENKUlT_T0_E_clISt17integral_constantIbLb0EES15_IbLb1EEEEDaS11_S12_EUlS11_E_NS1_11comp_targetILNS1_3genE3ELNS1_11target_archE908ELNS1_3gpuE7ELNS1_3repE0EEENS1_30default_config_static_selectorELNS0_4arch9wavefront6targetE1EEEvT1_,"axG",@progbits,_ZN7rocprim17ROCPRIM_400000_NS6detail17trampoline_kernelINS0_14default_configENS1_25partition_config_selectorILNS1_17partition_subalgoE0EsNS0_10empty_typeEbEEZZNS1_14partition_implILS5_0ELb0ES3_jN6thrust23THRUST_200600_302600_NS6detail15normal_iteratorINSA_10device_ptrIsEEEEPS6_SG_NS0_5tupleIJSF_SF_EEENSH_IJSG_SG_EEES6_PlJ7is_evenIsEEEE10hipError_tPvRmT3_T4_T5_T6_T7_T9_mT8_P12ihipStream_tbDpT10_ENKUlT_T0_E_clISt17integral_constantIbLb0EES15_IbLb1EEEEDaS11_S12_EUlS11_E_NS1_11comp_targetILNS1_3genE3ELNS1_11target_archE908ELNS1_3gpuE7ELNS1_3repE0EEENS1_30default_config_static_selectorELNS0_4arch9wavefront6targetE1EEEvT1_,comdat
.Lfunc_end380:
	.size	_ZN7rocprim17ROCPRIM_400000_NS6detail17trampoline_kernelINS0_14default_configENS1_25partition_config_selectorILNS1_17partition_subalgoE0EsNS0_10empty_typeEbEEZZNS1_14partition_implILS5_0ELb0ES3_jN6thrust23THRUST_200600_302600_NS6detail15normal_iteratorINSA_10device_ptrIsEEEEPS6_SG_NS0_5tupleIJSF_SF_EEENSH_IJSG_SG_EEES6_PlJ7is_evenIsEEEE10hipError_tPvRmT3_T4_T5_T6_T7_T9_mT8_P12ihipStream_tbDpT10_ENKUlT_T0_E_clISt17integral_constantIbLb0EES15_IbLb1EEEEDaS11_S12_EUlS11_E_NS1_11comp_targetILNS1_3genE3ELNS1_11target_archE908ELNS1_3gpuE7ELNS1_3repE0EEENS1_30default_config_static_selectorELNS0_4arch9wavefront6targetE1EEEvT1_, .Lfunc_end380-_ZN7rocprim17ROCPRIM_400000_NS6detail17trampoline_kernelINS0_14default_configENS1_25partition_config_selectorILNS1_17partition_subalgoE0EsNS0_10empty_typeEbEEZZNS1_14partition_implILS5_0ELb0ES3_jN6thrust23THRUST_200600_302600_NS6detail15normal_iteratorINSA_10device_ptrIsEEEEPS6_SG_NS0_5tupleIJSF_SF_EEENSH_IJSG_SG_EEES6_PlJ7is_evenIsEEEE10hipError_tPvRmT3_T4_T5_T6_T7_T9_mT8_P12ihipStream_tbDpT10_ENKUlT_T0_E_clISt17integral_constantIbLb0EES15_IbLb1EEEEDaS11_S12_EUlS11_E_NS1_11comp_targetILNS1_3genE3ELNS1_11target_archE908ELNS1_3gpuE7ELNS1_3repE0EEENS1_30default_config_static_selectorELNS0_4arch9wavefront6targetE1EEEvT1_
                                        ; -- End function
	.section	.AMDGPU.csdata,"",@progbits
; Kernel info:
; codeLenInByte = 0
; NumSgprs: 6
; NumVgprs: 0
; NumAgprs: 0
; TotalNumVgprs: 0
; ScratchSize: 0
; MemoryBound: 0
; FloatMode: 240
; IeeeMode: 1
; LDSByteSize: 0 bytes/workgroup (compile time only)
; SGPRBlocks: 0
; VGPRBlocks: 0
; NumSGPRsForWavesPerEU: 6
; NumVGPRsForWavesPerEU: 1
; AccumOffset: 4
; Occupancy: 8
; WaveLimiterHint : 0
; COMPUTE_PGM_RSRC2:SCRATCH_EN: 0
; COMPUTE_PGM_RSRC2:USER_SGPR: 2
; COMPUTE_PGM_RSRC2:TRAP_HANDLER: 0
; COMPUTE_PGM_RSRC2:TGID_X_EN: 1
; COMPUTE_PGM_RSRC2:TGID_Y_EN: 0
; COMPUTE_PGM_RSRC2:TGID_Z_EN: 0
; COMPUTE_PGM_RSRC2:TIDIG_COMP_CNT: 0
; COMPUTE_PGM_RSRC3_GFX90A:ACCUM_OFFSET: 0
; COMPUTE_PGM_RSRC3_GFX90A:TG_SPLIT: 0
	.section	.text._ZN7rocprim17ROCPRIM_400000_NS6detail17trampoline_kernelINS0_14default_configENS1_25partition_config_selectorILNS1_17partition_subalgoE0EsNS0_10empty_typeEbEEZZNS1_14partition_implILS5_0ELb0ES3_jN6thrust23THRUST_200600_302600_NS6detail15normal_iteratorINSA_10device_ptrIsEEEEPS6_SG_NS0_5tupleIJSF_SF_EEENSH_IJSG_SG_EEES6_PlJ7is_evenIsEEEE10hipError_tPvRmT3_T4_T5_T6_T7_T9_mT8_P12ihipStream_tbDpT10_ENKUlT_T0_E_clISt17integral_constantIbLb0EES15_IbLb1EEEEDaS11_S12_EUlS11_E_NS1_11comp_targetILNS1_3genE2ELNS1_11target_archE906ELNS1_3gpuE6ELNS1_3repE0EEENS1_30default_config_static_selectorELNS0_4arch9wavefront6targetE1EEEvT1_,"axG",@progbits,_ZN7rocprim17ROCPRIM_400000_NS6detail17trampoline_kernelINS0_14default_configENS1_25partition_config_selectorILNS1_17partition_subalgoE0EsNS0_10empty_typeEbEEZZNS1_14partition_implILS5_0ELb0ES3_jN6thrust23THRUST_200600_302600_NS6detail15normal_iteratorINSA_10device_ptrIsEEEEPS6_SG_NS0_5tupleIJSF_SF_EEENSH_IJSG_SG_EEES6_PlJ7is_evenIsEEEE10hipError_tPvRmT3_T4_T5_T6_T7_T9_mT8_P12ihipStream_tbDpT10_ENKUlT_T0_E_clISt17integral_constantIbLb0EES15_IbLb1EEEEDaS11_S12_EUlS11_E_NS1_11comp_targetILNS1_3genE2ELNS1_11target_archE906ELNS1_3gpuE6ELNS1_3repE0EEENS1_30default_config_static_selectorELNS0_4arch9wavefront6targetE1EEEvT1_,comdat
	.protected	_ZN7rocprim17ROCPRIM_400000_NS6detail17trampoline_kernelINS0_14default_configENS1_25partition_config_selectorILNS1_17partition_subalgoE0EsNS0_10empty_typeEbEEZZNS1_14partition_implILS5_0ELb0ES3_jN6thrust23THRUST_200600_302600_NS6detail15normal_iteratorINSA_10device_ptrIsEEEEPS6_SG_NS0_5tupleIJSF_SF_EEENSH_IJSG_SG_EEES6_PlJ7is_evenIsEEEE10hipError_tPvRmT3_T4_T5_T6_T7_T9_mT8_P12ihipStream_tbDpT10_ENKUlT_T0_E_clISt17integral_constantIbLb0EES15_IbLb1EEEEDaS11_S12_EUlS11_E_NS1_11comp_targetILNS1_3genE2ELNS1_11target_archE906ELNS1_3gpuE6ELNS1_3repE0EEENS1_30default_config_static_selectorELNS0_4arch9wavefront6targetE1EEEvT1_ ; -- Begin function _ZN7rocprim17ROCPRIM_400000_NS6detail17trampoline_kernelINS0_14default_configENS1_25partition_config_selectorILNS1_17partition_subalgoE0EsNS0_10empty_typeEbEEZZNS1_14partition_implILS5_0ELb0ES3_jN6thrust23THRUST_200600_302600_NS6detail15normal_iteratorINSA_10device_ptrIsEEEEPS6_SG_NS0_5tupleIJSF_SF_EEENSH_IJSG_SG_EEES6_PlJ7is_evenIsEEEE10hipError_tPvRmT3_T4_T5_T6_T7_T9_mT8_P12ihipStream_tbDpT10_ENKUlT_T0_E_clISt17integral_constantIbLb0EES15_IbLb1EEEEDaS11_S12_EUlS11_E_NS1_11comp_targetILNS1_3genE2ELNS1_11target_archE906ELNS1_3gpuE6ELNS1_3repE0EEENS1_30default_config_static_selectorELNS0_4arch9wavefront6targetE1EEEvT1_
	.globl	_ZN7rocprim17ROCPRIM_400000_NS6detail17trampoline_kernelINS0_14default_configENS1_25partition_config_selectorILNS1_17partition_subalgoE0EsNS0_10empty_typeEbEEZZNS1_14partition_implILS5_0ELb0ES3_jN6thrust23THRUST_200600_302600_NS6detail15normal_iteratorINSA_10device_ptrIsEEEEPS6_SG_NS0_5tupleIJSF_SF_EEENSH_IJSG_SG_EEES6_PlJ7is_evenIsEEEE10hipError_tPvRmT3_T4_T5_T6_T7_T9_mT8_P12ihipStream_tbDpT10_ENKUlT_T0_E_clISt17integral_constantIbLb0EES15_IbLb1EEEEDaS11_S12_EUlS11_E_NS1_11comp_targetILNS1_3genE2ELNS1_11target_archE906ELNS1_3gpuE6ELNS1_3repE0EEENS1_30default_config_static_selectorELNS0_4arch9wavefront6targetE1EEEvT1_
	.p2align	8
	.type	_ZN7rocprim17ROCPRIM_400000_NS6detail17trampoline_kernelINS0_14default_configENS1_25partition_config_selectorILNS1_17partition_subalgoE0EsNS0_10empty_typeEbEEZZNS1_14partition_implILS5_0ELb0ES3_jN6thrust23THRUST_200600_302600_NS6detail15normal_iteratorINSA_10device_ptrIsEEEEPS6_SG_NS0_5tupleIJSF_SF_EEENSH_IJSG_SG_EEES6_PlJ7is_evenIsEEEE10hipError_tPvRmT3_T4_T5_T6_T7_T9_mT8_P12ihipStream_tbDpT10_ENKUlT_T0_E_clISt17integral_constantIbLb0EES15_IbLb1EEEEDaS11_S12_EUlS11_E_NS1_11comp_targetILNS1_3genE2ELNS1_11target_archE906ELNS1_3gpuE6ELNS1_3repE0EEENS1_30default_config_static_selectorELNS0_4arch9wavefront6targetE1EEEvT1_,@function
_ZN7rocprim17ROCPRIM_400000_NS6detail17trampoline_kernelINS0_14default_configENS1_25partition_config_selectorILNS1_17partition_subalgoE0EsNS0_10empty_typeEbEEZZNS1_14partition_implILS5_0ELb0ES3_jN6thrust23THRUST_200600_302600_NS6detail15normal_iteratorINSA_10device_ptrIsEEEEPS6_SG_NS0_5tupleIJSF_SF_EEENSH_IJSG_SG_EEES6_PlJ7is_evenIsEEEE10hipError_tPvRmT3_T4_T5_T6_T7_T9_mT8_P12ihipStream_tbDpT10_ENKUlT_T0_E_clISt17integral_constantIbLb0EES15_IbLb1EEEEDaS11_S12_EUlS11_E_NS1_11comp_targetILNS1_3genE2ELNS1_11target_archE906ELNS1_3gpuE6ELNS1_3repE0EEENS1_30default_config_static_selectorELNS0_4arch9wavefront6targetE1EEEvT1_: ; @_ZN7rocprim17ROCPRIM_400000_NS6detail17trampoline_kernelINS0_14default_configENS1_25partition_config_selectorILNS1_17partition_subalgoE0EsNS0_10empty_typeEbEEZZNS1_14partition_implILS5_0ELb0ES3_jN6thrust23THRUST_200600_302600_NS6detail15normal_iteratorINSA_10device_ptrIsEEEEPS6_SG_NS0_5tupleIJSF_SF_EEENSH_IJSG_SG_EEES6_PlJ7is_evenIsEEEE10hipError_tPvRmT3_T4_T5_T6_T7_T9_mT8_P12ihipStream_tbDpT10_ENKUlT_T0_E_clISt17integral_constantIbLb0EES15_IbLb1EEEEDaS11_S12_EUlS11_E_NS1_11comp_targetILNS1_3genE2ELNS1_11target_archE906ELNS1_3gpuE6ELNS1_3repE0EEENS1_30default_config_static_selectorELNS0_4arch9wavefront6targetE1EEEvT1_
; %bb.0:
	.section	.rodata,"a",@progbits
	.p2align	6, 0x0
	.amdhsa_kernel _ZN7rocprim17ROCPRIM_400000_NS6detail17trampoline_kernelINS0_14default_configENS1_25partition_config_selectorILNS1_17partition_subalgoE0EsNS0_10empty_typeEbEEZZNS1_14partition_implILS5_0ELb0ES3_jN6thrust23THRUST_200600_302600_NS6detail15normal_iteratorINSA_10device_ptrIsEEEEPS6_SG_NS0_5tupleIJSF_SF_EEENSH_IJSG_SG_EEES6_PlJ7is_evenIsEEEE10hipError_tPvRmT3_T4_T5_T6_T7_T9_mT8_P12ihipStream_tbDpT10_ENKUlT_T0_E_clISt17integral_constantIbLb0EES15_IbLb1EEEEDaS11_S12_EUlS11_E_NS1_11comp_targetILNS1_3genE2ELNS1_11target_archE906ELNS1_3gpuE6ELNS1_3repE0EEENS1_30default_config_static_selectorELNS0_4arch9wavefront6targetE1EEEvT1_
		.amdhsa_group_segment_fixed_size 0
		.amdhsa_private_segment_fixed_size 0
		.amdhsa_kernarg_size 136
		.amdhsa_user_sgpr_count 2
		.amdhsa_user_sgpr_dispatch_ptr 0
		.amdhsa_user_sgpr_queue_ptr 0
		.amdhsa_user_sgpr_kernarg_segment_ptr 1
		.amdhsa_user_sgpr_dispatch_id 0
		.amdhsa_user_sgpr_kernarg_preload_length 0
		.amdhsa_user_sgpr_kernarg_preload_offset 0
		.amdhsa_user_sgpr_private_segment_size 0
		.amdhsa_uses_dynamic_stack 0
		.amdhsa_enable_private_segment 0
		.amdhsa_system_sgpr_workgroup_id_x 1
		.amdhsa_system_sgpr_workgroup_id_y 0
		.amdhsa_system_sgpr_workgroup_id_z 0
		.amdhsa_system_sgpr_workgroup_info 0
		.amdhsa_system_vgpr_workitem_id 0
		.amdhsa_next_free_vgpr 1
		.amdhsa_next_free_sgpr 0
		.amdhsa_accum_offset 4
		.amdhsa_reserve_vcc 0
		.amdhsa_float_round_mode_32 0
		.amdhsa_float_round_mode_16_64 0
		.amdhsa_float_denorm_mode_32 3
		.amdhsa_float_denorm_mode_16_64 3
		.amdhsa_dx10_clamp 1
		.amdhsa_ieee_mode 1
		.amdhsa_fp16_overflow 0
		.amdhsa_tg_split 0
		.amdhsa_exception_fp_ieee_invalid_op 0
		.amdhsa_exception_fp_denorm_src 0
		.amdhsa_exception_fp_ieee_div_zero 0
		.amdhsa_exception_fp_ieee_overflow 0
		.amdhsa_exception_fp_ieee_underflow 0
		.amdhsa_exception_fp_ieee_inexact 0
		.amdhsa_exception_int_div_zero 0
	.end_amdhsa_kernel
	.section	.text._ZN7rocprim17ROCPRIM_400000_NS6detail17trampoline_kernelINS0_14default_configENS1_25partition_config_selectorILNS1_17partition_subalgoE0EsNS0_10empty_typeEbEEZZNS1_14partition_implILS5_0ELb0ES3_jN6thrust23THRUST_200600_302600_NS6detail15normal_iteratorINSA_10device_ptrIsEEEEPS6_SG_NS0_5tupleIJSF_SF_EEENSH_IJSG_SG_EEES6_PlJ7is_evenIsEEEE10hipError_tPvRmT3_T4_T5_T6_T7_T9_mT8_P12ihipStream_tbDpT10_ENKUlT_T0_E_clISt17integral_constantIbLb0EES15_IbLb1EEEEDaS11_S12_EUlS11_E_NS1_11comp_targetILNS1_3genE2ELNS1_11target_archE906ELNS1_3gpuE6ELNS1_3repE0EEENS1_30default_config_static_selectorELNS0_4arch9wavefront6targetE1EEEvT1_,"axG",@progbits,_ZN7rocprim17ROCPRIM_400000_NS6detail17trampoline_kernelINS0_14default_configENS1_25partition_config_selectorILNS1_17partition_subalgoE0EsNS0_10empty_typeEbEEZZNS1_14partition_implILS5_0ELb0ES3_jN6thrust23THRUST_200600_302600_NS6detail15normal_iteratorINSA_10device_ptrIsEEEEPS6_SG_NS0_5tupleIJSF_SF_EEENSH_IJSG_SG_EEES6_PlJ7is_evenIsEEEE10hipError_tPvRmT3_T4_T5_T6_T7_T9_mT8_P12ihipStream_tbDpT10_ENKUlT_T0_E_clISt17integral_constantIbLb0EES15_IbLb1EEEEDaS11_S12_EUlS11_E_NS1_11comp_targetILNS1_3genE2ELNS1_11target_archE906ELNS1_3gpuE6ELNS1_3repE0EEENS1_30default_config_static_selectorELNS0_4arch9wavefront6targetE1EEEvT1_,comdat
.Lfunc_end381:
	.size	_ZN7rocprim17ROCPRIM_400000_NS6detail17trampoline_kernelINS0_14default_configENS1_25partition_config_selectorILNS1_17partition_subalgoE0EsNS0_10empty_typeEbEEZZNS1_14partition_implILS5_0ELb0ES3_jN6thrust23THRUST_200600_302600_NS6detail15normal_iteratorINSA_10device_ptrIsEEEEPS6_SG_NS0_5tupleIJSF_SF_EEENSH_IJSG_SG_EEES6_PlJ7is_evenIsEEEE10hipError_tPvRmT3_T4_T5_T6_T7_T9_mT8_P12ihipStream_tbDpT10_ENKUlT_T0_E_clISt17integral_constantIbLb0EES15_IbLb1EEEEDaS11_S12_EUlS11_E_NS1_11comp_targetILNS1_3genE2ELNS1_11target_archE906ELNS1_3gpuE6ELNS1_3repE0EEENS1_30default_config_static_selectorELNS0_4arch9wavefront6targetE1EEEvT1_, .Lfunc_end381-_ZN7rocprim17ROCPRIM_400000_NS6detail17trampoline_kernelINS0_14default_configENS1_25partition_config_selectorILNS1_17partition_subalgoE0EsNS0_10empty_typeEbEEZZNS1_14partition_implILS5_0ELb0ES3_jN6thrust23THRUST_200600_302600_NS6detail15normal_iteratorINSA_10device_ptrIsEEEEPS6_SG_NS0_5tupleIJSF_SF_EEENSH_IJSG_SG_EEES6_PlJ7is_evenIsEEEE10hipError_tPvRmT3_T4_T5_T6_T7_T9_mT8_P12ihipStream_tbDpT10_ENKUlT_T0_E_clISt17integral_constantIbLb0EES15_IbLb1EEEEDaS11_S12_EUlS11_E_NS1_11comp_targetILNS1_3genE2ELNS1_11target_archE906ELNS1_3gpuE6ELNS1_3repE0EEENS1_30default_config_static_selectorELNS0_4arch9wavefront6targetE1EEEvT1_
                                        ; -- End function
	.section	.AMDGPU.csdata,"",@progbits
; Kernel info:
; codeLenInByte = 0
; NumSgprs: 6
; NumVgprs: 0
; NumAgprs: 0
; TotalNumVgprs: 0
; ScratchSize: 0
; MemoryBound: 0
; FloatMode: 240
; IeeeMode: 1
; LDSByteSize: 0 bytes/workgroup (compile time only)
; SGPRBlocks: 0
; VGPRBlocks: 0
; NumSGPRsForWavesPerEU: 6
; NumVGPRsForWavesPerEU: 1
; AccumOffset: 4
; Occupancy: 8
; WaveLimiterHint : 0
; COMPUTE_PGM_RSRC2:SCRATCH_EN: 0
; COMPUTE_PGM_RSRC2:USER_SGPR: 2
; COMPUTE_PGM_RSRC2:TRAP_HANDLER: 0
; COMPUTE_PGM_RSRC2:TGID_X_EN: 1
; COMPUTE_PGM_RSRC2:TGID_Y_EN: 0
; COMPUTE_PGM_RSRC2:TGID_Z_EN: 0
; COMPUTE_PGM_RSRC2:TIDIG_COMP_CNT: 0
; COMPUTE_PGM_RSRC3_GFX90A:ACCUM_OFFSET: 0
; COMPUTE_PGM_RSRC3_GFX90A:TG_SPLIT: 0
	.section	.text._ZN7rocprim17ROCPRIM_400000_NS6detail17trampoline_kernelINS0_14default_configENS1_25partition_config_selectorILNS1_17partition_subalgoE0EsNS0_10empty_typeEbEEZZNS1_14partition_implILS5_0ELb0ES3_jN6thrust23THRUST_200600_302600_NS6detail15normal_iteratorINSA_10device_ptrIsEEEEPS6_SG_NS0_5tupleIJSF_SF_EEENSH_IJSG_SG_EEES6_PlJ7is_evenIsEEEE10hipError_tPvRmT3_T4_T5_T6_T7_T9_mT8_P12ihipStream_tbDpT10_ENKUlT_T0_E_clISt17integral_constantIbLb0EES15_IbLb1EEEEDaS11_S12_EUlS11_E_NS1_11comp_targetILNS1_3genE10ELNS1_11target_archE1200ELNS1_3gpuE4ELNS1_3repE0EEENS1_30default_config_static_selectorELNS0_4arch9wavefront6targetE1EEEvT1_,"axG",@progbits,_ZN7rocprim17ROCPRIM_400000_NS6detail17trampoline_kernelINS0_14default_configENS1_25partition_config_selectorILNS1_17partition_subalgoE0EsNS0_10empty_typeEbEEZZNS1_14partition_implILS5_0ELb0ES3_jN6thrust23THRUST_200600_302600_NS6detail15normal_iteratorINSA_10device_ptrIsEEEEPS6_SG_NS0_5tupleIJSF_SF_EEENSH_IJSG_SG_EEES6_PlJ7is_evenIsEEEE10hipError_tPvRmT3_T4_T5_T6_T7_T9_mT8_P12ihipStream_tbDpT10_ENKUlT_T0_E_clISt17integral_constantIbLb0EES15_IbLb1EEEEDaS11_S12_EUlS11_E_NS1_11comp_targetILNS1_3genE10ELNS1_11target_archE1200ELNS1_3gpuE4ELNS1_3repE0EEENS1_30default_config_static_selectorELNS0_4arch9wavefront6targetE1EEEvT1_,comdat
	.protected	_ZN7rocprim17ROCPRIM_400000_NS6detail17trampoline_kernelINS0_14default_configENS1_25partition_config_selectorILNS1_17partition_subalgoE0EsNS0_10empty_typeEbEEZZNS1_14partition_implILS5_0ELb0ES3_jN6thrust23THRUST_200600_302600_NS6detail15normal_iteratorINSA_10device_ptrIsEEEEPS6_SG_NS0_5tupleIJSF_SF_EEENSH_IJSG_SG_EEES6_PlJ7is_evenIsEEEE10hipError_tPvRmT3_T4_T5_T6_T7_T9_mT8_P12ihipStream_tbDpT10_ENKUlT_T0_E_clISt17integral_constantIbLb0EES15_IbLb1EEEEDaS11_S12_EUlS11_E_NS1_11comp_targetILNS1_3genE10ELNS1_11target_archE1200ELNS1_3gpuE4ELNS1_3repE0EEENS1_30default_config_static_selectorELNS0_4arch9wavefront6targetE1EEEvT1_ ; -- Begin function _ZN7rocprim17ROCPRIM_400000_NS6detail17trampoline_kernelINS0_14default_configENS1_25partition_config_selectorILNS1_17partition_subalgoE0EsNS0_10empty_typeEbEEZZNS1_14partition_implILS5_0ELb0ES3_jN6thrust23THRUST_200600_302600_NS6detail15normal_iteratorINSA_10device_ptrIsEEEEPS6_SG_NS0_5tupleIJSF_SF_EEENSH_IJSG_SG_EEES6_PlJ7is_evenIsEEEE10hipError_tPvRmT3_T4_T5_T6_T7_T9_mT8_P12ihipStream_tbDpT10_ENKUlT_T0_E_clISt17integral_constantIbLb0EES15_IbLb1EEEEDaS11_S12_EUlS11_E_NS1_11comp_targetILNS1_3genE10ELNS1_11target_archE1200ELNS1_3gpuE4ELNS1_3repE0EEENS1_30default_config_static_selectorELNS0_4arch9wavefront6targetE1EEEvT1_
	.globl	_ZN7rocprim17ROCPRIM_400000_NS6detail17trampoline_kernelINS0_14default_configENS1_25partition_config_selectorILNS1_17partition_subalgoE0EsNS0_10empty_typeEbEEZZNS1_14partition_implILS5_0ELb0ES3_jN6thrust23THRUST_200600_302600_NS6detail15normal_iteratorINSA_10device_ptrIsEEEEPS6_SG_NS0_5tupleIJSF_SF_EEENSH_IJSG_SG_EEES6_PlJ7is_evenIsEEEE10hipError_tPvRmT3_T4_T5_T6_T7_T9_mT8_P12ihipStream_tbDpT10_ENKUlT_T0_E_clISt17integral_constantIbLb0EES15_IbLb1EEEEDaS11_S12_EUlS11_E_NS1_11comp_targetILNS1_3genE10ELNS1_11target_archE1200ELNS1_3gpuE4ELNS1_3repE0EEENS1_30default_config_static_selectorELNS0_4arch9wavefront6targetE1EEEvT1_
	.p2align	8
	.type	_ZN7rocprim17ROCPRIM_400000_NS6detail17trampoline_kernelINS0_14default_configENS1_25partition_config_selectorILNS1_17partition_subalgoE0EsNS0_10empty_typeEbEEZZNS1_14partition_implILS5_0ELb0ES3_jN6thrust23THRUST_200600_302600_NS6detail15normal_iteratorINSA_10device_ptrIsEEEEPS6_SG_NS0_5tupleIJSF_SF_EEENSH_IJSG_SG_EEES6_PlJ7is_evenIsEEEE10hipError_tPvRmT3_T4_T5_T6_T7_T9_mT8_P12ihipStream_tbDpT10_ENKUlT_T0_E_clISt17integral_constantIbLb0EES15_IbLb1EEEEDaS11_S12_EUlS11_E_NS1_11comp_targetILNS1_3genE10ELNS1_11target_archE1200ELNS1_3gpuE4ELNS1_3repE0EEENS1_30default_config_static_selectorELNS0_4arch9wavefront6targetE1EEEvT1_,@function
_ZN7rocprim17ROCPRIM_400000_NS6detail17trampoline_kernelINS0_14default_configENS1_25partition_config_selectorILNS1_17partition_subalgoE0EsNS0_10empty_typeEbEEZZNS1_14partition_implILS5_0ELb0ES3_jN6thrust23THRUST_200600_302600_NS6detail15normal_iteratorINSA_10device_ptrIsEEEEPS6_SG_NS0_5tupleIJSF_SF_EEENSH_IJSG_SG_EEES6_PlJ7is_evenIsEEEE10hipError_tPvRmT3_T4_T5_T6_T7_T9_mT8_P12ihipStream_tbDpT10_ENKUlT_T0_E_clISt17integral_constantIbLb0EES15_IbLb1EEEEDaS11_S12_EUlS11_E_NS1_11comp_targetILNS1_3genE10ELNS1_11target_archE1200ELNS1_3gpuE4ELNS1_3repE0EEENS1_30default_config_static_selectorELNS0_4arch9wavefront6targetE1EEEvT1_: ; @_ZN7rocprim17ROCPRIM_400000_NS6detail17trampoline_kernelINS0_14default_configENS1_25partition_config_selectorILNS1_17partition_subalgoE0EsNS0_10empty_typeEbEEZZNS1_14partition_implILS5_0ELb0ES3_jN6thrust23THRUST_200600_302600_NS6detail15normal_iteratorINSA_10device_ptrIsEEEEPS6_SG_NS0_5tupleIJSF_SF_EEENSH_IJSG_SG_EEES6_PlJ7is_evenIsEEEE10hipError_tPvRmT3_T4_T5_T6_T7_T9_mT8_P12ihipStream_tbDpT10_ENKUlT_T0_E_clISt17integral_constantIbLb0EES15_IbLb1EEEEDaS11_S12_EUlS11_E_NS1_11comp_targetILNS1_3genE10ELNS1_11target_archE1200ELNS1_3gpuE4ELNS1_3repE0EEENS1_30default_config_static_selectorELNS0_4arch9wavefront6targetE1EEEvT1_
; %bb.0:
	.section	.rodata,"a",@progbits
	.p2align	6, 0x0
	.amdhsa_kernel _ZN7rocprim17ROCPRIM_400000_NS6detail17trampoline_kernelINS0_14default_configENS1_25partition_config_selectorILNS1_17partition_subalgoE0EsNS0_10empty_typeEbEEZZNS1_14partition_implILS5_0ELb0ES3_jN6thrust23THRUST_200600_302600_NS6detail15normal_iteratorINSA_10device_ptrIsEEEEPS6_SG_NS0_5tupleIJSF_SF_EEENSH_IJSG_SG_EEES6_PlJ7is_evenIsEEEE10hipError_tPvRmT3_T4_T5_T6_T7_T9_mT8_P12ihipStream_tbDpT10_ENKUlT_T0_E_clISt17integral_constantIbLb0EES15_IbLb1EEEEDaS11_S12_EUlS11_E_NS1_11comp_targetILNS1_3genE10ELNS1_11target_archE1200ELNS1_3gpuE4ELNS1_3repE0EEENS1_30default_config_static_selectorELNS0_4arch9wavefront6targetE1EEEvT1_
		.amdhsa_group_segment_fixed_size 0
		.amdhsa_private_segment_fixed_size 0
		.amdhsa_kernarg_size 136
		.amdhsa_user_sgpr_count 2
		.amdhsa_user_sgpr_dispatch_ptr 0
		.amdhsa_user_sgpr_queue_ptr 0
		.amdhsa_user_sgpr_kernarg_segment_ptr 1
		.amdhsa_user_sgpr_dispatch_id 0
		.amdhsa_user_sgpr_kernarg_preload_length 0
		.amdhsa_user_sgpr_kernarg_preload_offset 0
		.amdhsa_user_sgpr_private_segment_size 0
		.amdhsa_uses_dynamic_stack 0
		.amdhsa_enable_private_segment 0
		.amdhsa_system_sgpr_workgroup_id_x 1
		.amdhsa_system_sgpr_workgroup_id_y 0
		.amdhsa_system_sgpr_workgroup_id_z 0
		.amdhsa_system_sgpr_workgroup_info 0
		.amdhsa_system_vgpr_workitem_id 0
		.amdhsa_next_free_vgpr 1
		.amdhsa_next_free_sgpr 0
		.amdhsa_accum_offset 4
		.amdhsa_reserve_vcc 0
		.amdhsa_float_round_mode_32 0
		.amdhsa_float_round_mode_16_64 0
		.amdhsa_float_denorm_mode_32 3
		.amdhsa_float_denorm_mode_16_64 3
		.amdhsa_dx10_clamp 1
		.amdhsa_ieee_mode 1
		.amdhsa_fp16_overflow 0
		.amdhsa_tg_split 0
		.amdhsa_exception_fp_ieee_invalid_op 0
		.amdhsa_exception_fp_denorm_src 0
		.amdhsa_exception_fp_ieee_div_zero 0
		.amdhsa_exception_fp_ieee_overflow 0
		.amdhsa_exception_fp_ieee_underflow 0
		.amdhsa_exception_fp_ieee_inexact 0
		.amdhsa_exception_int_div_zero 0
	.end_amdhsa_kernel
	.section	.text._ZN7rocprim17ROCPRIM_400000_NS6detail17trampoline_kernelINS0_14default_configENS1_25partition_config_selectorILNS1_17partition_subalgoE0EsNS0_10empty_typeEbEEZZNS1_14partition_implILS5_0ELb0ES3_jN6thrust23THRUST_200600_302600_NS6detail15normal_iteratorINSA_10device_ptrIsEEEEPS6_SG_NS0_5tupleIJSF_SF_EEENSH_IJSG_SG_EEES6_PlJ7is_evenIsEEEE10hipError_tPvRmT3_T4_T5_T6_T7_T9_mT8_P12ihipStream_tbDpT10_ENKUlT_T0_E_clISt17integral_constantIbLb0EES15_IbLb1EEEEDaS11_S12_EUlS11_E_NS1_11comp_targetILNS1_3genE10ELNS1_11target_archE1200ELNS1_3gpuE4ELNS1_3repE0EEENS1_30default_config_static_selectorELNS0_4arch9wavefront6targetE1EEEvT1_,"axG",@progbits,_ZN7rocprim17ROCPRIM_400000_NS6detail17trampoline_kernelINS0_14default_configENS1_25partition_config_selectorILNS1_17partition_subalgoE0EsNS0_10empty_typeEbEEZZNS1_14partition_implILS5_0ELb0ES3_jN6thrust23THRUST_200600_302600_NS6detail15normal_iteratorINSA_10device_ptrIsEEEEPS6_SG_NS0_5tupleIJSF_SF_EEENSH_IJSG_SG_EEES6_PlJ7is_evenIsEEEE10hipError_tPvRmT3_T4_T5_T6_T7_T9_mT8_P12ihipStream_tbDpT10_ENKUlT_T0_E_clISt17integral_constantIbLb0EES15_IbLb1EEEEDaS11_S12_EUlS11_E_NS1_11comp_targetILNS1_3genE10ELNS1_11target_archE1200ELNS1_3gpuE4ELNS1_3repE0EEENS1_30default_config_static_selectorELNS0_4arch9wavefront6targetE1EEEvT1_,comdat
.Lfunc_end382:
	.size	_ZN7rocprim17ROCPRIM_400000_NS6detail17trampoline_kernelINS0_14default_configENS1_25partition_config_selectorILNS1_17partition_subalgoE0EsNS0_10empty_typeEbEEZZNS1_14partition_implILS5_0ELb0ES3_jN6thrust23THRUST_200600_302600_NS6detail15normal_iteratorINSA_10device_ptrIsEEEEPS6_SG_NS0_5tupleIJSF_SF_EEENSH_IJSG_SG_EEES6_PlJ7is_evenIsEEEE10hipError_tPvRmT3_T4_T5_T6_T7_T9_mT8_P12ihipStream_tbDpT10_ENKUlT_T0_E_clISt17integral_constantIbLb0EES15_IbLb1EEEEDaS11_S12_EUlS11_E_NS1_11comp_targetILNS1_3genE10ELNS1_11target_archE1200ELNS1_3gpuE4ELNS1_3repE0EEENS1_30default_config_static_selectorELNS0_4arch9wavefront6targetE1EEEvT1_, .Lfunc_end382-_ZN7rocprim17ROCPRIM_400000_NS6detail17trampoline_kernelINS0_14default_configENS1_25partition_config_selectorILNS1_17partition_subalgoE0EsNS0_10empty_typeEbEEZZNS1_14partition_implILS5_0ELb0ES3_jN6thrust23THRUST_200600_302600_NS6detail15normal_iteratorINSA_10device_ptrIsEEEEPS6_SG_NS0_5tupleIJSF_SF_EEENSH_IJSG_SG_EEES6_PlJ7is_evenIsEEEE10hipError_tPvRmT3_T4_T5_T6_T7_T9_mT8_P12ihipStream_tbDpT10_ENKUlT_T0_E_clISt17integral_constantIbLb0EES15_IbLb1EEEEDaS11_S12_EUlS11_E_NS1_11comp_targetILNS1_3genE10ELNS1_11target_archE1200ELNS1_3gpuE4ELNS1_3repE0EEENS1_30default_config_static_selectorELNS0_4arch9wavefront6targetE1EEEvT1_
                                        ; -- End function
	.section	.AMDGPU.csdata,"",@progbits
; Kernel info:
; codeLenInByte = 0
; NumSgprs: 6
; NumVgprs: 0
; NumAgprs: 0
; TotalNumVgprs: 0
; ScratchSize: 0
; MemoryBound: 0
; FloatMode: 240
; IeeeMode: 1
; LDSByteSize: 0 bytes/workgroup (compile time only)
; SGPRBlocks: 0
; VGPRBlocks: 0
; NumSGPRsForWavesPerEU: 6
; NumVGPRsForWavesPerEU: 1
; AccumOffset: 4
; Occupancy: 8
; WaveLimiterHint : 0
; COMPUTE_PGM_RSRC2:SCRATCH_EN: 0
; COMPUTE_PGM_RSRC2:USER_SGPR: 2
; COMPUTE_PGM_RSRC2:TRAP_HANDLER: 0
; COMPUTE_PGM_RSRC2:TGID_X_EN: 1
; COMPUTE_PGM_RSRC2:TGID_Y_EN: 0
; COMPUTE_PGM_RSRC2:TGID_Z_EN: 0
; COMPUTE_PGM_RSRC2:TIDIG_COMP_CNT: 0
; COMPUTE_PGM_RSRC3_GFX90A:ACCUM_OFFSET: 0
; COMPUTE_PGM_RSRC3_GFX90A:TG_SPLIT: 0
	.section	.text._ZN7rocprim17ROCPRIM_400000_NS6detail17trampoline_kernelINS0_14default_configENS1_25partition_config_selectorILNS1_17partition_subalgoE0EsNS0_10empty_typeEbEEZZNS1_14partition_implILS5_0ELb0ES3_jN6thrust23THRUST_200600_302600_NS6detail15normal_iteratorINSA_10device_ptrIsEEEEPS6_SG_NS0_5tupleIJSF_SF_EEENSH_IJSG_SG_EEES6_PlJ7is_evenIsEEEE10hipError_tPvRmT3_T4_T5_T6_T7_T9_mT8_P12ihipStream_tbDpT10_ENKUlT_T0_E_clISt17integral_constantIbLb0EES15_IbLb1EEEEDaS11_S12_EUlS11_E_NS1_11comp_targetILNS1_3genE9ELNS1_11target_archE1100ELNS1_3gpuE3ELNS1_3repE0EEENS1_30default_config_static_selectorELNS0_4arch9wavefront6targetE1EEEvT1_,"axG",@progbits,_ZN7rocprim17ROCPRIM_400000_NS6detail17trampoline_kernelINS0_14default_configENS1_25partition_config_selectorILNS1_17partition_subalgoE0EsNS0_10empty_typeEbEEZZNS1_14partition_implILS5_0ELb0ES3_jN6thrust23THRUST_200600_302600_NS6detail15normal_iteratorINSA_10device_ptrIsEEEEPS6_SG_NS0_5tupleIJSF_SF_EEENSH_IJSG_SG_EEES6_PlJ7is_evenIsEEEE10hipError_tPvRmT3_T4_T5_T6_T7_T9_mT8_P12ihipStream_tbDpT10_ENKUlT_T0_E_clISt17integral_constantIbLb0EES15_IbLb1EEEEDaS11_S12_EUlS11_E_NS1_11comp_targetILNS1_3genE9ELNS1_11target_archE1100ELNS1_3gpuE3ELNS1_3repE0EEENS1_30default_config_static_selectorELNS0_4arch9wavefront6targetE1EEEvT1_,comdat
	.protected	_ZN7rocprim17ROCPRIM_400000_NS6detail17trampoline_kernelINS0_14default_configENS1_25partition_config_selectorILNS1_17partition_subalgoE0EsNS0_10empty_typeEbEEZZNS1_14partition_implILS5_0ELb0ES3_jN6thrust23THRUST_200600_302600_NS6detail15normal_iteratorINSA_10device_ptrIsEEEEPS6_SG_NS0_5tupleIJSF_SF_EEENSH_IJSG_SG_EEES6_PlJ7is_evenIsEEEE10hipError_tPvRmT3_T4_T5_T6_T7_T9_mT8_P12ihipStream_tbDpT10_ENKUlT_T0_E_clISt17integral_constantIbLb0EES15_IbLb1EEEEDaS11_S12_EUlS11_E_NS1_11comp_targetILNS1_3genE9ELNS1_11target_archE1100ELNS1_3gpuE3ELNS1_3repE0EEENS1_30default_config_static_selectorELNS0_4arch9wavefront6targetE1EEEvT1_ ; -- Begin function _ZN7rocprim17ROCPRIM_400000_NS6detail17trampoline_kernelINS0_14default_configENS1_25partition_config_selectorILNS1_17partition_subalgoE0EsNS0_10empty_typeEbEEZZNS1_14partition_implILS5_0ELb0ES3_jN6thrust23THRUST_200600_302600_NS6detail15normal_iteratorINSA_10device_ptrIsEEEEPS6_SG_NS0_5tupleIJSF_SF_EEENSH_IJSG_SG_EEES6_PlJ7is_evenIsEEEE10hipError_tPvRmT3_T4_T5_T6_T7_T9_mT8_P12ihipStream_tbDpT10_ENKUlT_T0_E_clISt17integral_constantIbLb0EES15_IbLb1EEEEDaS11_S12_EUlS11_E_NS1_11comp_targetILNS1_3genE9ELNS1_11target_archE1100ELNS1_3gpuE3ELNS1_3repE0EEENS1_30default_config_static_selectorELNS0_4arch9wavefront6targetE1EEEvT1_
	.globl	_ZN7rocprim17ROCPRIM_400000_NS6detail17trampoline_kernelINS0_14default_configENS1_25partition_config_selectorILNS1_17partition_subalgoE0EsNS0_10empty_typeEbEEZZNS1_14partition_implILS5_0ELb0ES3_jN6thrust23THRUST_200600_302600_NS6detail15normal_iteratorINSA_10device_ptrIsEEEEPS6_SG_NS0_5tupleIJSF_SF_EEENSH_IJSG_SG_EEES6_PlJ7is_evenIsEEEE10hipError_tPvRmT3_T4_T5_T6_T7_T9_mT8_P12ihipStream_tbDpT10_ENKUlT_T0_E_clISt17integral_constantIbLb0EES15_IbLb1EEEEDaS11_S12_EUlS11_E_NS1_11comp_targetILNS1_3genE9ELNS1_11target_archE1100ELNS1_3gpuE3ELNS1_3repE0EEENS1_30default_config_static_selectorELNS0_4arch9wavefront6targetE1EEEvT1_
	.p2align	8
	.type	_ZN7rocprim17ROCPRIM_400000_NS6detail17trampoline_kernelINS0_14default_configENS1_25partition_config_selectorILNS1_17partition_subalgoE0EsNS0_10empty_typeEbEEZZNS1_14partition_implILS5_0ELb0ES3_jN6thrust23THRUST_200600_302600_NS6detail15normal_iteratorINSA_10device_ptrIsEEEEPS6_SG_NS0_5tupleIJSF_SF_EEENSH_IJSG_SG_EEES6_PlJ7is_evenIsEEEE10hipError_tPvRmT3_T4_T5_T6_T7_T9_mT8_P12ihipStream_tbDpT10_ENKUlT_T0_E_clISt17integral_constantIbLb0EES15_IbLb1EEEEDaS11_S12_EUlS11_E_NS1_11comp_targetILNS1_3genE9ELNS1_11target_archE1100ELNS1_3gpuE3ELNS1_3repE0EEENS1_30default_config_static_selectorELNS0_4arch9wavefront6targetE1EEEvT1_,@function
_ZN7rocprim17ROCPRIM_400000_NS6detail17trampoline_kernelINS0_14default_configENS1_25partition_config_selectorILNS1_17partition_subalgoE0EsNS0_10empty_typeEbEEZZNS1_14partition_implILS5_0ELb0ES3_jN6thrust23THRUST_200600_302600_NS6detail15normal_iteratorINSA_10device_ptrIsEEEEPS6_SG_NS0_5tupleIJSF_SF_EEENSH_IJSG_SG_EEES6_PlJ7is_evenIsEEEE10hipError_tPvRmT3_T4_T5_T6_T7_T9_mT8_P12ihipStream_tbDpT10_ENKUlT_T0_E_clISt17integral_constantIbLb0EES15_IbLb1EEEEDaS11_S12_EUlS11_E_NS1_11comp_targetILNS1_3genE9ELNS1_11target_archE1100ELNS1_3gpuE3ELNS1_3repE0EEENS1_30default_config_static_selectorELNS0_4arch9wavefront6targetE1EEEvT1_: ; @_ZN7rocprim17ROCPRIM_400000_NS6detail17trampoline_kernelINS0_14default_configENS1_25partition_config_selectorILNS1_17partition_subalgoE0EsNS0_10empty_typeEbEEZZNS1_14partition_implILS5_0ELb0ES3_jN6thrust23THRUST_200600_302600_NS6detail15normal_iteratorINSA_10device_ptrIsEEEEPS6_SG_NS0_5tupleIJSF_SF_EEENSH_IJSG_SG_EEES6_PlJ7is_evenIsEEEE10hipError_tPvRmT3_T4_T5_T6_T7_T9_mT8_P12ihipStream_tbDpT10_ENKUlT_T0_E_clISt17integral_constantIbLb0EES15_IbLb1EEEEDaS11_S12_EUlS11_E_NS1_11comp_targetILNS1_3genE9ELNS1_11target_archE1100ELNS1_3gpuE3ELNS1_3repE0EEENS1_30default_config_static_selectorELNS0_4arch9wavefront6targetE1EEEvT1_
; %bb.0:
	.section	.rodata,"a",@progbits
	.p2align	6, 0x0
	.amdhsa_kernel _ZN7rocprim17ROCPRIM_400000_NS6detail17trampoline_kernelINS0_14default_configENS1_25partition_config_selectorILNS1_17partition_subalgoE0EsNS0_10empty_typeEbEEZZNS1_14partition_implILS5_0ELb0ES3_jN6thrust23THRUST_200600_302600_NS6detail15normal_iteratorINSA_10device_ptrIsEEEEPS6_SG_NS0_5tupleIJSF_SF_EEENSH_IJSG_SG_EEES6_PlJ7is_evenIsEEEE10hipError_tPvRmT3_T4_T5_T6_T7_T9_mT8_P12ihipStream_tbDpT10_ENKUlT_T0_E_clISt17integral_constantIbLb0EES15_IbLb1EEEEDaS11_S12_EUlS11_E_NS1_11comp_targetILNS1_3genE9ELNS1_11target_archE1100ELNS1_3gpuE3ELNS1_3repE0EEENS1_30default_config_static_selectorELNS0_4arch9wavefront6targetE1EEEvT1_
		.amdhsa_group_segment_fixed_size 0
		.amdhsa_private_segment_fixed_size 0
		.amdhsa_kernarg_size 136
		.amdhsa_user_sgpr_count 2
		.amdhsa_user_sgpr_dispatch_ptr 0
		.amdhsa_user_sgpr_queue_ptr 0
		.amdhsa_user_sgpr_kernarg_segment_ptr 1
		.amdhsa_user_sgpr_dispatch_id 0
		.amdhsa_user_sgpr_kernarg_preload_length 0
		.amdhsa_user_sgpr_kernarg_preload_offset 0
		.amdhsa_user_sgpr_private_segment_size 0
		.amdhsa_uses_dynamic_stack 0
		.amdhsa_enable_private_segment 0
		.amdhsa_system_sgpr_workgroup_id_x 1
		.amdhsa_system_sgpr_workgroup_id_y 0
		.amdhsa_system_sgpr_workgroup_id_z 0
		.amdhsa_system_sgpr_workgroup_info 0
		.amdhsa_system_vgpr_workitem_id 0
		.amdhsa_next_free_vgpr 1
		.amdhsa_next_free_sgpr 0
		.amdhsa_accum_offset 4
		.amdhsa_reserve_vcc 0
		.amdhsa_float_round_mode_32 0
		.amdhsa_float_round_mode_16_64 0
		.amdhsa_float_denorm_mode_32 3
		.amdhsa_float_denorm_mode_16_64 3
		.amdhsa_dx10_clamp 1
		.amdhsa_ieee_mode 1
		.amdhsa_fp16_overflow 0
		.amdhsa_tg_split 0
		.amdhsa_exception_fp_ieee_invalid_op 0
		.amdhsa_exception_fp_denorm_src 0
		.amdhsa_exception_fp_ieee_div_zero 0
		.amdhsa_exception_fp_ieee_overflow 0
		.amdhsa_exception_fp_ieee_underflow 0
		.amdhsa_exception_fp_ieee_inexact 0
		.amdhsa_exception_int_div_zero 0
	.end_amdhsa_kernel
	.section	.text._ZN7rocprim17ROCPRIM_400000_NS6detail17trampoline_kernelINS0_14default_configENS1_25partition_config_selectorILNS1_17partition_subalgoE0EsNS0_10empty_typeEbEEZZNS1_14partition_implILS5_0ELb0ES3_jN6thrust23THRUST_200600_302600_NS6detail15normal_iteratorINSA_10device_ptrIsEEEEPS6_SG_NS0_5tupleIJSF_SF_EEENSH_IJSG_SG_EEES6_PlJ7is_evenIsEEEE10hipError_tPvRmT3_T4_T5_T6_T7_T9_mT8_P12ihipStream_tbDpT10_ENKUlT_T0_E_clISt17integral_constantIbLb0EES15_IbLb1EEEEDaS11_S12_EUlS11_E_NS1_11comp_targetILNS1_3genE9ELNS1_11target_archE1100ELNS1_3gpuE3ELNS1_3repE0EEENS1_30default_config_static_selectorELNS0_4arch9wavefront6targetE1EEEvT1_,"axG",@progbits,_ZN7rocprim17ROCPRIM_400000_NS6detail17trampoline_kernelINS0_14default_configENS1_25partition_config_selectorILNS1_17partition_subalgoE0EsNS0_10empty_typeEbEEZZNS1_14partition_implILS5_0ELb0ES3_jN6thrust23THRUST_200600_302600_NS6detail15normal_iteratorINSA_10device_ptrIsEEEEPS6_SG_NS0_5tupleIJSF_SF_EEENSH_IJSG_SG_EEES6_PlJ7is_evenIsEEEE10hipError_tPvRmT3_T4_T5_T6_T7_T9_mT8_P12ihipStream_tbDpT10_ENKUlT_T0_E_clISt17integral_constantIbLb0EES15_IbLb1EEEEDaS11_S12_EUlS11_E_NS1_11comp_targetILNS1_3genE9ELNS1_11target_archE1100ELNS1_3gpuE3ELNS1_3repE0EEENS1_30default_config_static_selectorELNS0_4arch9wavefront6targetE1EEEvT1_,comdat
.Lfunc_end383:
	.size	_ZN7rocprim17ROCPRIM_400000_NS6detail17trampoline_kernelINS0_14default_configENS1_25partition_config_selectorILNS1_17partition_subalgoE0EsNS0_10empty_typeEbEEZZNS1_14partition_implILS5_0ELb0ES3_jN6thrust23THRUST_200600_302600_NS6detail15normal_iteratorINSA_10device_ptrIsEEEEPS6_SG_NS0_5tupleIJSF_SF_EEENSH_IJSG_SG_EEES6_PlJ7is_evenIsEEEE10hipError_tPvRmT3_T4_T5_T6_T7_T9_mT8_P12ihipStream_tbDpT10_ENKUlT_T0_E_clISt17integral_constantIbLb0EES15_IbLb1EEEEDaS11_S12_EUlS11_E_NS1_11comp_targetILNS1_3genE9ELNS1_11target_archE1100ELNS1_3gpuE3ELNS1_3repE0EEENS1_30default_config_static_selectorELNS0_4arch9wavefront6targetE1EEEvT1_, .Lfunc_end383-_ZN7rocprim17ROCPRIM_400000_NS6detail17trampoline_kernelINS0_14default_configENS1_25partition_config_selectorILNS1_17partition_subalgoE0EsNS0_10empty_typeEbEEZZNS1_14partition_implILS5_0ELb0ES3_jN6thrust23THRUST_200600_302600_NS6detail15normal_iteratorINSA_10device_ptrIsEEEEPS6_SG_NS0_5tupleIJSF_SF_EEENSH_IJSG_SG_EEES6_PlJ7is_evenIsEEEE10hipError_tPvRmT3_T4_T5_T6_T7_T9_mT8_P12ihipStream_tbDpT10_ENKUlT_T0_E_clISt17integral_constantIbLb0EES15_IbLb1EEEEDaS11_S12_EUlS11_E_NS1_11comp_targetILNS1_3genE9ELNS1_11target_archE1100ELNS1_3gpuE3ELNS1_3repE0EEENS1_30default_config_static_selectorELNS0_4arch9wavefront6targetE1EEEvT1_
                                        ; -- End function
	.section	.AMDGPU.csdata,"",@progbits
; Kernel info:
; codeLenInByte = 0
; NumSgprs: 6
; NumVgprs: 0
; NumAgprs: 0
; TotalNumVgprs: 0
; ScratchSize: 0
; MemoryBound: 0
; FloatMode: 240
; IeeeMode: 1
; LDSByteSize: 0 bytes/workgroup (compile time only)
; SGPRBlocks: 0
; VGPRBlocks: 0
; NumSGPRsForWavesPerEU: 6
; NumVGPRsForWavesPerEU: 1
; AccumOffset: 4
; Occupancy: 8
; WaveLimiterHint : 0
; COMPUTE_PGM_RSRC2:SCRATCH_EN: 0
; COMPUTE_PGM_RSRC2:USER_SGPR: 2
; COMPUTE_PGM_RSRC2:TRAP_HANDLER: 0
; COMPUTE_PGM_RSRC2:TGID_X_EN: 1
; COMPUTE_PGM_RSRC2:TGID_Y_EN: 0
; COMPUTE_PGM_RSRC2:TGID_Z_EN: 0
; COMPUTE_PGM_RSRC2:TIDIG_COMP_CNT: 0
; COMPUTE_PGM_RSRC3_GFX90A:ACCUM_OFFSET: 0
; COMPUTE_PGM_RSRC3_GFX90A:TG_SPLIT: 0
	.section	.text._ZN7rocprim17ROCPRIM_400000_NS6detail17trampoline_kernelINS0_14default_configENS1_25partition_config_selectorILNS1_17partition_subalgoE0EsNS0_10empty_typeEbEEZZNS1_14partition_implILS5_0ELb0ES3_jN6thrust23THRUST_200600_302600_NS6detail15normal_iteratorINSA_10device_ptrIsEEEEPS6_SG_NS0_5tupleIJSF_SF_EEENSH_IJSG_SG_EEES6_PlJ7is_evenIsEEEE10hipError_tPvRmT3_T4_T5_T6_T7_T9_mT8_P12ihipStream_tbDpT10_ENKUlT_T0_E_clISt17integral_constantIbLb0EES15_IbLb1EEEEDaS11_S12_EUlS11_E_NS1_11comp_targetILNS1_3genE8ELNS1_11target_archE1030ELNS1_3gpuE2ELNS1_3repE0EEENS1_30default_config_static_selectorELNS0_4arch9wavefront6targetE1EEEvT1_,"axG",@progbits,_ZN7rocprim17ROCPRIM_400000_NS6detail17trampoline_kernelINS0_14default_configENS1_25partition_config_selectorILNS1_17partition_subalgoE0EsNS0_10empty_typeEbEEZZNS1_14partition_implILS5_0ELb0ES3_jN6thrust23THRUST_200600_302600_NS6detail15normal_iteratorINSA_10device_ptrIsEEEEPS6_SG_NS0_5tupleIJSF_SF_EEENSH_IJSG_SG_EEES6_PlJ7is_evenIsEEEE10hipError_tPvRmT3_T4_T5_T6_T7_T9_mT8_P12ihipStream_tbDpT10_ENKUlT_T0_E_clISt17integral_constantIbLb0EES15_IbLb1EEEEDaS11_S12_EUlS11_E_NS1_11comp_targetILNS1_3genE8ELNS1_11target_archE1030ELNS1_3gpuE2ELNS1_3repE0EEENS1_30default_config_static_selectorELNS0_4arch9wavefront6targetE1EEEvT1_,comdat
	.protected	_ZN7rocprim17ROCPRIM_400000_NS6detail17trampoline_kernelINS0_14default_configENS1_25partition_config_selectorILNS1_17partition_subalgoE0EsNS0_10empty_typeEbEEZZNS1_14partition_implILS5_0ELb0ES3_jN6thrust23THRUST_200600_302600_NS6detail15normal_iteratorINSA_10device_ptrIsEEEEPS6_SG_NS0_5tupleIJSF_SF_EEENSH_IJSG_SG_EEES6_PlJ7is_evenIsEEEE10hipError_tPvRmT3_T4_T5_T6_T7_T9_mT8_P12ihipStream_tbDpT10_ENKUlT_T0_E_clISt17integral_constantIbLb0EES15_IbLb1EEEEDaS11_S12_EUlS11_E_NS1_11comp_targetILNS1_3genE8ELNS1_11target_archE1030ELNS1_3gpuE2ELNS1_3repE0EEENS1_30default_config_static_selectorELNS0_4arch9wavefront6targetE1EEEvT1_ ; -- Begin function _ZN7rocprim17ROCPRIM_400000_NS6detail17trampoline_kernelINS0_14default_configENS1_25partition_config_selectorILNS1_17partition_subalgoE0EsNS0_10empty_typeEbEEZZNS1_14partition_implILS5_0ELb0ES3_jN6thrust23THRUST_200600_302600_NS6detail15normal_iteratorINSA_10device_ptrIsEEEEPS6_SG_NS0_5tupleIJSF_SF_EEENSH_IJSG_SG_EEES6_PlJ7is_evenIsEEEE10hipError_tPvRmT3_T4_T5_T6_T7_T9_mT8_P12ihipStream_tbDpT10_ENKUlT_T0_E_clISt17integral_constantIbLb0EES15_IbLb1EEEEDaS11_S12_EUlS11_E_NS1_11comp_targetILNS1_3genE8ELNS1_11target_archE1030ELNS1_3gpuE2ELNS1_3repE0EEENS1_30default_config_static_selectorELNS0_4arch9wavefront6targetE1EEEvT1_
	.globl	_ZN7rocprim17ROCPRIM_400000_NS6detail17trampoline_kernelINS0_14default_configENS1_25partition_config_selectorILNS1_17partition_subalgoE0EsNS0_10empty_typeEbEEZZNS1_14partition_implILS5_0ELb0ES3_jN6thrust23THRUST_200600_302600_NS6detail15normal_iteratorINSA_10device_ptrIsEEEEPS6_SG_NS0_5tupleIJSF_SF_EEENSH_IJSG_SG_EEES6_PlJ7is_evenIsEEEE10hipError_tPvRmT3_T4_T5_T6_T7_T9_mT8_P12ihipStream_tbDpT10_ENKUlT_T0_E_clISt17integral_constantIbLb0EES15_IbLb1EEEEDaS11_S12_EUlS11_E_NS1_11comp_targetILNS1_3genE8ELNS1_11target_archE1030ELNS1_3gpuE2ELNS1_3repE0EEENS1_30default_config_static_selectorELNS0_4arch9wavefront6targetE1EEEvT1_
	.p2align	8
	.type	_ZN7rocprim17ROCPRIM_400000_NS6detail17trampoline_kernelINS0_14default_configENS1_25partition_config_selectorILNS1_17partition_subalgoE0EsNS0_10empty_typeEbEEZZNS1_14partition_implILS5_0ELb0ES3_jN6thrust23THRUST_200600_302600_NS6detail15normal_iteratorINSA_10device_ptrIsEEEEPS6_SG_NS0_5tupleIJSF_SF_EEENSH_IJSG_SG_EEES6_PlJ7is_evenIsEEEE10hipError_tPvRmT3_T4_T5_T6_T7_T9_mT8_P12ihipStream_tbDpT10_ENKUlT_T0_E_clISt17integral_constantIbLb0EES15_IbLb1EEEEDaS11_S12_EUlS11_E_NS1_11comp_targetILNS1_3genE8ELNS1_11target_archE1030ELNS1_3gpuE2ELNS1_3repE0EEENS1_30default_config_static_selectorELNS0_4arch9wavefront6targetE1EEEvT1_,@function
_ZN7rocprim17ROCPRIM_400000_NS6detail17trampoline_kernelINS0_14default_configENS1_25partition_config_selectorILNS1_17partition_subalgoE0EsNS0_10empty_typeEbEEZZNS1_14partition_implILS5_0ELb0ES3_jN6thrust23THRUST_200600_302600_NS6detail15normal_iteratorINSA_10device_ptrIsEEEEPS6_SG_NS0_5tupleIJSF_SF_EEENSH_IJSG_SG_EEES6_PlJ7is_evenIsEEEE10hipError_tPvRmT3_T4_T5_T6_T7_T9_mT8_P12ihipStream_tbDpT10_ENKUlT_T0_E_clISt17integral_constantIbLb0EES15_IbLb1EEEEDaS11_S12_EUlS11_E_NS1_11comp_targetILNS1_3genE8ELNS1_11target_archE1030ELNS1_3gpuE2ELNS1_3repE0EEENS1_30default_config_static_selectorELNS0_4arch9wavefront6targetE1EEEvT1_: ; @_ZN7rocprim17ROCPRIM_400000_NS6detail17trampoline_kernelINS0_14default_configENS1_25partition_config_selectorILNS1_17partition_subalgoE0EsNS0_10empty_typeEbEEZZNS1_14partition_implILS5_0ELb0ES3_jN6thrust23THRUST_200600_302600_NS6detail15normal_iteratorINSA_10device_ptrIsEEEEPS6_SG_NS0_5tupleIJSF_SF_EEENSH_IJSG_SG_EEES6_PlJ7is_evenIsEEEE10hipError_tPvRmT3_T4_T5_T6_T7_T9_mT8_P12ihipStream_tbDpT10_ENKUlT_T0_E_clISt17integral_constantIbLb0EES15_IbLb1EEEEDaS11_S12_EUlS11_E_NS1_11comp_targetILNS1_3genE8ELNS1_11target_archE1030ELNS1_3gpuE2ELNS1_3repE0EEENS1_30default_config_static_selectorELNS0_4arch9wavefront6targetE1EEEvT1_
; %bb.0:
	.section	.rodata,"a",@progbits
	.p2align	6, 0x0
	.amdhsa_kernel _ZN7rocprim17ROCPRIM_400000_NS6detail17trampoline_kernelINS0_14default_configENS1_25partition_config_selectorILNS1_17partition_subalgoE0EsNS0_10empty_typeEbEEZZNS1_14partition_implILS5_0ELb0ES3_jN6thrust23THRUST_200600_302600_NS6detail15normal_iteratorINSA_10device_ptrIsEEEEPS6_SG_NS0_5tupleIJSF_SF_EEENSH_IJSG_SG_EEES6_PlJ7is_evenIsEEEE10hipError_tPvRmT3_T4_T5_T6_T7_T9_mT8_P12ihipStream_tbDpT10_ENKUlT_T0_E_clISt17integral_constantIbLb0EES15_IbLb1EEEEDaS11_S12_EUlS11_E_NS1_11comp_targetILNS1_3genE8ELNS1_11target_archE1030ELNS1_3gpuE2ELNS1_3repE0EEENS1_30default_config_static_selectorELNS0_4arch9wavefront6targetE1EEEvT1_
		.amdhsa_group_segment_fixed_size 0
		.amdhsa_private_segment_fixed_size 0
		.amdhsa_kernarg_size 136
		.amdhsa_user_sgpr_count 2
		.amdhsa_user_sgpr_dispatch_ptr 0
		.amdhsa_user_sgpr_queue_ptr 0
		.amdhsa_user_sgpr_kernarg_segment_ptr 1
		.amdhsa_user_sgpr_dispatch_id 0
		.amdhsa_user_sgpr_kernarg_preload_length 0
		.amdhsa_user_sgpr_kernarg_preload_offset 0
		.amdhsa_user_sgpr_private_segment_size 0
		.amdhsa_uses_dynamic_stack 0
		.amdhsa_enable_private_segment 0
		.amdhsa_system_sgpr_workgroup_id_x 1
		.amdhsa_system_sgpr_workgroup_id_y 0
		.amdhsa_system_sgpr_workgroup_id_z 0
		.amdhsa_system_sgpr_workgroup_info 0
		.amdhsa_system_vgpr_workitem_id 0
		.amdhsa_next_free_vgpr 1
		.amdhsa_next_free_sgpr 0
		.amdhsa_accum_offset 4
		.amdhsa_reserve_vcc 0
		.amdhsa_float_round_mode_32 0
		.amdhsa_float_round_mode_16_64 0
		.amdhsa_float_denorm_mode_32 3
		.amdhsa_float_denorm_mode_16_64 3
		.amdhsa_dx10_clamp 1
		.amdhsa_ieee_mode 1
		.amdhsa_fp16_overflow 0
		.amdhsa_tg_split 0
		.amdhsa_exception_fp_ieee_invalid_op 0
		.amdhsa_exception_fp_denorm_src 0
		.amdhsa_exception_fp_ieee_div_zero 0
		.amdhsa_exception_fp_ieee_overflow 0
		.amdhsa_exception_fp_ieee_underflow 0
		.amdhsa_exception_fp_ieee_inexact 0
		.amdhsa_exception_int_div_zero 0
	.end_amdhsa_kernel
	.section	.text._ZN7rocprim17ROCPRIM_400000_NS6detail17trampoline_kernelINS0_14default_configENS1_25partition_config_selectorILNS1_17partition_subalgoE0EsNS0_10empty_typeEbEEZZNS1_14partition_implILS5_0ELb0ES3_jN6thrust23THRUST_200600_302600_NS6detail15normal_iteratorINSA_10device_ptrIsEEEEPS6_SG_NS0_5tupleIJSF_SF_EEENSH_IJSG_SG_EEES6_PlJ7is_evenIsEEEE10hipError_tPvRmT3_T4_T5_T6_T7_T9_mT8_P12ihipStream_tbDpT10_ENKUlT_T0_E_clISt17integral_constantIbLb0EES15_IbLb1EEEEDaS11_S12_EUlS11_E_NS1_11comp_targetILNS1_3genE8ELNS1_11target_archE1030ELNS1_3gpuE2ELNS1_3repE0EEENS1_30default_config_static_selectorELNS0_4arch9wavefront6targetE1EEEvT1_,"axG",@progbits,_ZN7rocprim17ROCPRIM_400000_NS6detail17trampoline_kernelINS0_14default_configENS1_25partition_config_selectorILNS1_17partition_subalgoE0EsNS0_10empty_typeEbEEZZNS1_14partition_implILS5_0ELb0ES3_jN6thrust23THRUST_200600_302600_NS6detail15normal_iteratorINSA_10device_ptrIsEEEEPS6_SG_NS0_5tupleIJSF_SF_EEENSH_IJSG_SG_EEES6_PlJ7is_evenIsEEEE10hipError_tPvRmT3_T4_T5_T6_T7_T9_mT8_P12ihipStream_tbDpT10_ENKUlT_T0_E_clISt17integral_constantIbLb0EES15_IbLb1EEEEDaS11_S12_EUlS11_E_NS1_11comp_targetILNS1_3genE8ELNS1_11target_archE1030ELNS1_3gpuE2ELNS1_3repE0EEENS1_30default_config_static_selectorELNS0_4arch9wavefront6targetE1EEEvT1_,comdat
.Lfunc_end384:
	.size	_ZN7rocprim17ROCPRIM_400000_NS6detail17trampoline_kernelINS0_14default_configENS1_25partition_config_selectorILNS1_17partition_subalgoE0EsNS0_10empty_typeEbEEZZNS1_14partition_implILS5_0ELb0ES3_jN6thrust23THRUST_200600_302600_NS6detail15normal_iteratorINSA_10device_ptrIsEEEEPS6_SG_NS0_5tupleIJSF_SF_EEENSH_IJSG_SG_EEES6_PlJ7is_evenIsEEEE10hipError_tPvRmT3_T4_T5_T6_T7_T9_mT8_P12ihipStream_tbDpT10_ENKUlT_T0_E_clISt17integral_constantIbLb0EES15_IbLb1EEEEDaS11_S12_EUlS11_E_NS1_11comp_targetILNS1_3genE8ELNS1_11target_archE1030ELNS1_3gpuE2ELNS1_3repE0EEENS1_30default_config_static_selectorELNS0_4arch9wavefront6targetE1EEEvT1_, .Lfunc_end384-_ZN7rocprim17ROCPRIM_400000_NS6detail17trampoline_kernelINS0_14default_configENS1_25partition_config_selectorILNS1_17partition_subalgoE0EsNS0_10empty_typeEbEEZZNS1_14partition_implILS5_0ELb0ES3_jN6thrust23THRUST_200600_302600_NS6detail15normal_iteratorINSA_10device_ptrIsEEEEPS6_SG_NS0_5tupleIJSF_SF_EEENSH_IJSG_SG_EEES6_PlJ7is_evenIsEEEE10hipError_tPvRmT3_T4_T5_T6_T7_T9_mT8_P12ihipStream_tbDpT10_ENKUlT_T0_E_clISt17integral_constantIbLb0EES15_IbLb1EEEEDaS11_S12_EUlS11_E_NS1_11comp_targetILNS1_3genE8ELNS1_11target_archE1030ELNS1_3gpuE2ELNS1_3repE0EEENS1_30default_config_static_selectorELNS0_4arch9wavefront6targetE1EEEvT1_
                                        ; -- End function
	.section	.AMDGPU.csdata,"",@progbits
; Kernel info:
; codeLenInByte = 0
; NumSgprs: 6
; NumVgprs: 0
; NumAgprs: 0
; TotalNumVgprs: 0
; ScratchSize: 0
; MemoryBound: 0
; FloatMode: 240
; IeeeMode: 1
; LDSByteSize: 0 bytes/workgroup (compile time only)
; SGPRBlocks: 0
; VGPRBlocks: 0
; NumSGPRsForWavesPerEU: 6
; NumVGPRsForWavesPerEU: 1
; AccumOffset: 4
; Occupancy: 8
; WaveLimiterHint : 0
; COMPUTE_PGM_RSRC2:SCRATCH_EN: 0
; COMPUTE_PGM_RSRC2:USER_SGPR: 2
; COMPUTE_PGM_RSRC2:TRAP_HANDLER: 0
; COMPUTE_PGM_RSRC2:TGID_X_EN: 1
; COMPUTE_PGM_RSRC2:TGID_Y_EN: 0
; COMPUTE_PGM_RSRC2:TGID_Z_EN: 0
; COMPUTE_PGM_RSRC2:TIDIG_COMP_CNT: 0
; COMPUTE_PGM_RSRC3_GFX90A:ACCUM_OFFSET: 0
; COMPUTE_PGM_RSRC3_GFX90A:TG_SPLIT: 0
	.section	.text._ZN7rocprim17ROCPRIM_400000_NS6detail17trampoline_kernelINS0_14default_configENS1_25partition_config_selectorILNS1_17partition_subalgoE1ExNS0_10empty_typeEbEEZZNS1_14partition_implILS5_1ELb0ES3_jN6thrust23THRUST_200600_302600_NS6detail15normal_iteratorINSA_10device_ptrIxEEEEPS6_NSA_18transform_iteratorI7is_evenIxESF_NSA_11use_defaultESK_EENS0_5tupleIJSF_SF_EEENSM_IJSG_SG_EEES6_PlJS6_EEE10hipError_tPvRmT3_T4_T5_T6_T7_T9_mT8_P12ihipStream_tbDpT10_ENKUlT_T0_E_clISt17integral_constantIbLb0EES19_EEDaS14_S15_EUlS14_E_NS1_11comp_targetILNS1_3genE0ELNS1_11target_archE4294967295ELNS1_3gpuE0ELNS1_3repE0EEENS1_30default_config_static_selectorELNS0_4arch9wavefront6targetE1EEEvT1_,"axG",@progbits,_ZN7rocprim17ROCPRIM_400000_NS6detail17trampoline_kernelINS0_14default_configENS1_25partition_config_selectorILNS1_17partition_subalgoE1ExNS0_10empty_typeEbEEZZNS1_14partition_implILS5_1ELb0ES3_jN6thrust23THRUST_200600_302600_NS6detail15normal_iteratorINSA_10device_ptrIxEEEEPS6_NSA_18transform_iteratorI7is_evenIxESF_NSA_11use_defaultESK_EENS0_5tupleIJSF_SF_EEENSM_IJSG_SG_EEES6_PlJS6_EEE10hipError_tPvRmT3_T4_T5_T6_T7_T9_mT8_P12ihipStream_tbDpT10_ENKUlT_T0_E_clISt17integral_constantIbLb0EES19_EEDaS14_S15_EUlS14_E_NS1_11comp_targetILNS1_3genE0ELNS1_11target_archE4294967295ELNS1_3gpuE0ELNS1_3repE0EEENS1_30default_config_static_selectorELNS0_4arch9wavefront6targetE1EEEvT1_,comdat
	.protected	_ZN7rocprim17ROCPRIM_400000_NS6detail17trampoline_kernelINS0_14default_configENS1_25partition_config_selectorILNS1_17partition_subalgoE1ExNS0_10empty_typeEbEEZZNS1_14partition_implILS5_1ELb0ES3_jN6thrust23THRUST_200600_302600_NS6detail15normal_iteratorINSA_10device_ptrIxEEEEPS6_NSA_18transform_iteratorI7is_evenIxESF_NSA_11use_defaultESK_EENS0_5tupleIJSF_SF_EEENSM_IJSG_SG_EEES6_PlJS6_EEE10hipError_tPvRmT3_T4_T5_T6_T7_T9_mT8_P12ihipStream_tbDpT10_ENKUlT_T0_E_clISt17integral_constantIbLb0EES19_EEDaS14_S15_EUlS14_E_NS1_11comp_targetILNS1_3genE0ELNS1_11target_archE4294967295ELNS1_3gpuE0ELNS1_3repE0EEENS1_30default_config_static_selectorELNS0_4arch9wavefront6targetE1EEEvT1_ ; -- Begin function _ZN7rocprim17ROCPRIM_400000_NS6detail17trampoline_kernelINS0_14default_configENS1_25partition_config_selectorILNS1_17partition_subalgoE1ExNS0_10empty_typeEbEEZZNS1_14partition_implILS5_1ELb0ES3_jN6thrust23THRUST_200600_302600_NS6detail15normal_iteratorINSA_10device_ptrIxEEEEPS6_NSA_18transform_iteratorI7is_evenIxESF_NSA_11use_defaultESK_EENS0_5tupleIJSF_SF_EEENSM_IJSG_SG_EEES6_PlJS6_EEE10hipError_tPvRmT3_T4_T5_T6_T7_T9_mT8_P12ihipStream_tbDpT10_ENKUlT_T0_E_clISt17integral_constantIbLb0EES19_EEDaS14_S15_EUlS14_E_NS1_11comp_targetILNS1_3genE0ELNS1_11target_archE4294967295ELNS1_3gpuE0ELNS1_3repE0EEENS1_30default_config_static_selectorELNS0_4arch9wavefront6targetE1EEEvT1_
	.globl	_ZN7rocprim17ROCPRIM_400000_NS6detail17trampoline_kernelINS0_14default_configENS1_25partition_config_selectorILNS1_17partition_subalgoE1ExNS0_10empty_typeEbEEZZNS1_14partition_implILS5_1ELb0ES3_jN6thrust23THRUST_200600_302600_NS6detail15normal_iteratorINSA_10device_ptrIxEEEEPS6_NSA_18transform_iteratorI7is_evenIxESF_NSA_11use_defaultESK_EENS0_5tupleIJSF_SF_EEENSM_IJSG_SG_EEES6_PlJS6_EEE10hipError_tPvRmT3_T4_T5_T6_T7_T9_mT8_P12ihipStream_tbDpT10_ENKUlT_T0_E_clISt17integral_constantIbLb0EES19_EEDaS14_S15_EUlS14_E_NS1_11comp_targetILNS1_3genE0ELNS1_11target_archE4294967295ELNS1_3gpuE0ELNS1_3repE0EEENS1_30default_config_static_selectorELNS0_4arch9wavefront6targetE1EEEvT1_
	.p2align	8
	.type	_ZN7rocprim17ROCPRIM_400000_NS6detail17trampoline_kernelINS0_14default_configENS1_25partition_config_selectorILNS1_17partition_subalgoE1ExNS0_10empty_typeEbEEZZNS1_14partition_implILS5_1ELb0ES3_jN6thrust23THRUST_200600_302600_NS6detail15normal_iteratorINSA_10device_ptrIxEEEEPS6_NSA_18transform_iteratorI7is_evenIxESF_NSA_11use_defaultESK_EENS0_5tupleIJSF_SF_EEENSM_IJSG_SG_EEES6_PlJS6_EEE10hipError_tPvRmT3_T4_T5_T6_T7_T9_mT8_P12ihipStream_tbDpT10_ENKUlT_T0_E_clISt17integral_constantIbLb0EES19_EEDaS14_S15_EUlS14_E_NS1_11comp_targetILNS1_3genE0ELNS1_11target_archE4294967295ELNS1_3gpuE0ELNS1_3repE0EEENS1_30default_config_static_selectorELNS0_4arch9wavefront6targetE1EEEvT1_,@function
_ZN7rocprim17ROCPRIM_400000_NS6detail17trampoline_kernelINS0_14default_configENS1_25partition_config_selectorILNS1_17partition_subalgoE1ExNS0_10empty_typeEbEEZZNS1_14partition_implILS5_1ELb0ES3_jN6thrust23THRUST_200600_302600_NS6detail15normal_iteratorINSA_10device_ptrIxEEEEPS6_NSA_18transform_iteratorI7is_evenIxESF_NSA_11use_defaultESK_EENS0_5tupleIJSF_SF_EEENSM_IJSG_SG_EEES6_PlJS6_EEE10hipError_tPvRmT3_T4_T5_T6_T7_T9_mT8_P12ihipStream_tbDpT10_ENKUlT_T0_E_clISt17integral_constantIbLb0EES19_EEDaS14_S15_EUlS14_E_NS1_11comp_targetILNS1_3genE0ELNS1_11target_archE4294967295ELNS1_3gpuE0ELNS1_3repE0EEENS1_30default_config_static_selectorELNS0_4arch9wavefront6targetE1EEEvT1_: ; @_ZN7rocprim17ROCPRIM_400000_NS6detail17trampoline_kernelINS0_14default_configENS1_25partition_config_selectorILNS1_17partition_subalgoE1ExNS0_10empty_typeEbEEZZNS1_14partition_implILS5_1ELb0ES3_jN6thrust23THRUST_200600_302600_NS6detail15normal_iteratorINSA_10device_ptrIxEEEEPS6_NSA_18transform_iteratorI7is_evenIxESF_NSA_11use_defaultESK_EENS0_5tupleIJSF_SF_EEENSM_IJSG_SG_EEES6_PlJS6_EEE10hipError_tPvRmT3_T4_T5_T6_T7_T9_mT8_P12ihipStream_tbDpT10_ENKUlT_T0_E_clISt17integral_constantIbLb0EES19_EEDaS14_S15_EUlS14_E_NS1_11comp_targetILNS1_3genE0ELNS1_11target_archE4294967295ELNS1_3gpuE0ELNS1_3repE0EEENS1_30default_config_static_selectorELNS0_4arch9wavefront6targetE1EEEvT1_
; %bb.0:
	.section	.rodata,"a",@progbits
	.p2align	6, 0x0
	.amdhsa_kernel _ZN7rocprim17ROCPRIM_400000_NS6detail17trampoline_kernelINS0_14default_configENS1_25partition_config_selectorILNS1_17partition_subalgoE1ExNS0_10empty_typeEbEEZZNS1_14partition_implILS5_1ELb0ES3_jN6thrust23THRUST_200600_302600_NS6detail15normal_iteratorINSA_10device_ptrIxEEEEPS6_NSA_18transform_iteratorI7is_evenIxESF_NSA_11use_defaultESK_EENS0_5tupleIJSF_SF_EEENSM_IJSG_SG_EEES6_PlJS6_EEE10hipError_tPvRmT3_T4_T5_T6_T7_T9_mT8_P12ihipStream_tbDpT10_ENKUlT_T0_E_clISt17integral_constantIbLb0EES19_EEDaS14_S15_EUlS14_E_NS1_11comp_targetILNS1_3genE0ELNS1_11target_archE4294967295ELNS1_3gpuE0ELNS1_3repE0EEENS1_30default_config_static_selectorELNS0_4arch9wavefront6targetE1EEEvT1_
		.amdhsa_group_segment_fixed_size 0
		.amdhsa_private_segment_fixed_size 0
		.amdhsa_kernarg_size 128
		.amdhsa_user_sgpr_count 2
		.amdhsa_user_sgpr_dispatch_ptr 0
		.amdhsa_user_sgpr_queue_ptr 0
		.amdhsa_user_sgpr_kernarg_segment_ptr 1
		.amdhsa_user_sgpr_dispatch_id 0
		.amdhsa_user_sgpr_kernarg_preload_length 0
		.amdhsa_user_sgpr_kernarg_preload_offset 0
		.amdhsa_user_sgpr_private_segment_size 0
		.amdhsa_uses_dynamic_stack 0
		.amdhsa_enable_private_segment 0
		.amdhsa_system_sgpr_workgroup_id_x 1
		.amdhsa_system_sgpr_workgroup_id_y 0
		.amdhsa_system_sgpr_workgroup_id_z 0
		.amdhsa_system_sgpr_workgroup_info 0
		.amdhsa_system_vgpr_workitem_id 0
		.amdhsa_next_free_vgpr 1
		.amdhsa_next_free_sgpr 0
		.amdhsa_accum_offset 4
		.amdhsa_reserve_vcc 0
		.amdhsa_float_round_mode_32 0
		.amdhsa_float_round_mode_16_64 0
		.amdhsa_float_denorm_mode_32 3
		.amdhsa_float_denorm_mode_16_64 3
		.amdhsa_dx10_clamp 1
		.amdhsa_ieee_mode 1
		.amdhsa_fp16_overflow 0
		.amdhsa_tg_split 0
		.amdhsa_exception_fp_ieee_invalid_op 0
		.amdhsa_exception_fp_denorm_src 0
		.amdhsa_exception_fp_ieee_div_zero 0
		.amdhsa_exception_fp_ieee_overflow 0
		.amdhsa_exception_fp_ieee_underflow 0
		.amdhsa_exception_fp_ieee_inexact 0
		.amdhsa_exception_int_div_zero 0
	.end_amdhsa_kernel
	.section	.text._ZN7rocprim17ROCPRIM_400000_NS6detail17trampoline_kernelINS0_14default_configENS1_25partition_config_selectorILNS1_17partition_subalgoE1ExNS0_10empty_typeEbEEZZNS1_14partition_implILS5_1ELb0ES3_jN6thrust23THRUST_200600_302600_NS6detail15normal_iteratorINSA_10device_ptrIxEEEEPS6_NSA_18transform_iteratorI7is_evenIxESF_NSA_11use_defaultESK_EENS0_5tupleIJSF_SF_EEENSM_IJSG_SG_EEES6_PlJS6_EEE10hipError_tPvRmT3_T4_T5_T6_T7_T9_mT8_P12ihipStream_tbDpT10_ENKUlT_T0_E_clISt17integral_constantIbLb0EES19_EEDaS14_S15_EUlS14_E_NS1_11comp_targetILNS1_3genE0ELNS1_11target_archE4294967295ELNS1_3gpuE0ELNS1_3repE0EEENS1_30default_config_static_selectorELNS0_4arch9wavefront6targetE1EEEvT1_,"axG",@progbits,_ZN7rocprim17ROCPRIM_400000_NS6detail17trampoline_kernelINS0_14default_configENS1_25partition_config_selectorILNS1_17partition_subalgoE1ExNS0_10empty_typeEbEEZZNS1_14partition_implILS5_1ELb0ES3_jN6thrust23THRUST_200600_302600_NS6detail15normal_iteratorINSA_10device_ptrIxEEEEPS6_NSA_18transform_iteratorI7is_evenIxESF_NSA_11use_defaultESK_EENS0_5tupleIJSF_SF_EEENSM_IJSG_SG_EEES6_PlJS6_EEE10hipError_tPvRmT3_T4_T5_T6_T7_T9_mT8_P12ihipStream_tbDpT10_ENKUlT_T0_E_clISt17integral_constantIbLb0EES19_EEDaS14_S15_EUlS14_E_NS1_11comp_targetILNS1_3genE0ELNS1_11target_archE4294967295ELNS1_3gpuE0ELNS1_3repE0EEENS1_30default_config_static_selectorELNS0_4arch9wavefront6targetE1EEEvT1_,comdat
.Lfunc_end385:
	.size	_ZN7rocprim17ROCPRIM_400000_NS6detail17trampoline_kernelINS0_14default_configENS1_25partition_config_selectorILNS1_17partition_subalgoE1ExNS0_10empty_typeEbEEZZNS1_14partition_implILS5_1ELb0ES3_jN6thrust23THRUST_200600_302600_NS6detail15normal_iteratorINSA_10device_ptrIxEEEEPS6_NSA_18transform_iteratorI7is_evenIxESF_NSA_11use_defaultESK_EENS0_5tupleIJSF_SF_EEENSM_IJSG_SG_EEES6_PlJS6_EEE10hipError_tPvRmT3_T4_T5_T6_T7_T9_mT8_P12ihipStream_tbDpT10_ENKUlT_T0_E_clISt17integral_constantIbLb0EES19_EEDaS14_S15_EUlS14_E_NS1_11comp_targetILNS1_3genE0ELNS1_11target_archE4294967295ELNS1_3gpuE0ELNS1_3repE0EEENS1_30default_config_static_selectorELNS0_4arch9wavefront6targetE1EEEvT1_, .Lfunc_end385-_ZN7rocprim17ROCPRIM_400000_NS6detail17trampoline_kernelINS0_14default_configENS1_25partition_config_selectorILNS1_17partition_subalgoE1ExNS0_10empty_typeEbEEZZNS1_14partition_implILS5_1ELb0ES3_jN6thrust23THRUST_200600_302600_NS6detail15normal_iteratorINSA_10device_ptrIxEEEEPS6_NSA_18transform_iteratorI7is_evenIxESF_NSA_11use_defaultESK_EENS0_5tupleIJSF_SF_EEENSM_IJSG_SG_EEES6_PlJS6_EEE10hipError_tPvRmT3_T4_T5_T6_T7_T9_mT8_P12ihipStream_tbDpT10_ENKUlT_T0_E_clISt17integral_constantIbLb0EES19_EEDaS14_S15_EUlS14_E_NS1_11comp_targetILNS1_3genE0ELNS1_11target_archE4294967295ELNS1_3gpuE0ELNS1_3repE0EEENS1_30default_config_static_selectorELNS0_4arch9wavefront6targetE1EEEvT1_
                                        ; -- End function
	.section	.AMDGPU.csdata,"",@progbits
; Kernel info:
; codeLenInByte = 0
; NumSgprs: 6
; NumVgprs: 0
; NumAgprs: 0
; TotalNumVgprs: 0
; ScratchSize: 0
; MemoryBound: 0
; FloatMode: 240
; IeeeMode: 1
; LDSByteSize: 0 bytes/workgroup (compile time only)
; SGPRBlocks: 0
; VGPRBlocks: 0
; NumSGPRsForWavesPerEU: 6
; NumVGPRsForWavesPerEU: 1
; AccumOffset: 4
; Occupancy: 8
; WaveLimiterHint : 0
; COMPUTE_PGM_RSRC2:SCRATCH_EN: 0
; COMPUTE_PGM_RSRC2:USER_SGPR: 2
; COMPUTE_PGM_RSRC2:TRAP_HANDLER: 0
; COMPUTE_PGM_RSRC2:TGID_X_EN: 1
; COMPUTE_PGM_RSRC2:TGID_Y_EN: 0
; COMPUTE_PGM_RSRC2:TGID_Z_EN: 0
; COMPUTE_PGM_RSRC2:TIDIG_COMP_CNT: 0
; COMPUTE_PGM_RSRC3_GFX90A:ACCUM_OFFSET: 0
; COMPUTE_PGM_RSRC3_GFX90A:TG_SPLIT: 0
	.section	.text._ZN7rocprim17ROCPRIM_400000_NS6detail17trampoline_kernelINS0_14default_configENS1_25partition_config_selectorILNS1_17partition_subalgoE1ExNS0_10empty_typeEbEEZZNS1_14partition_implILS5_1ELb0ES3_jN6thrust23THRUST_200600_302600_NS6detail15normal_iteratorINSA_10device_ptrIxEEEEPS6_NSA_18transform_iteratorI7is_evenIxESF_NSA_11use_defaultESK_EENS0_5tupleIJSF_SF_EEENSM_IJSG_SG_EEES6_PlJS6_EEE10hipError_tPvRmT3_T4_T5_T6_T7_T9_mT8_P12ihipStream_tbDpT10_ENKUlT_T0_E_clISt17integral_constantIbLb0EES19_EEDaS14_S15_EUlS14_E_NS1_11comp_targetILNS1_3genE5ELNS1_11target_archE942ELNS1_3gpuE9ELNS1_3repE0EEENS1_30default_config_static_selectorELNS0_4arch9wavefront6targetE1EEEvT1_,"axG",@progbits,_ZN7rocprim17ROCPRIM_400000_NS6detail17trampoline_kernelINS0_14default_configENS1_25partition_config_selectorILNS1_17partition_subalgoE1ExNS0_10empty_typeEbEEZZNS1_14partition_implILS5_1ELb0ES3_jN6thrust23THRUST_200600_302600_NS6detail15normal_iteratorINSA_10device_ptrIxEEEEPS6_NSA_18transform_iteratorI7is_evenIxESF_NSA_11use_defaultESK_EENS0_5tupleIJSF_SF_EEENSM_IJSG_SG_EEES6_PlJS6_EEE10hipError_tPvRmT3_T4_T5_T6_T7_T9_mT8_P12ihipStream_tbDpT10_ENKUlT_T0_E_clISt17integral_constantIbLb0EES19_EEDaS14_S15_EUlS14_E_NS1_11comp_targetILNS1_3genE5ELNS1_11target_archE942ELNS1_3gpuE9ELNS1_3repE0EEENS1_30default_config_static_selectorELNS0_4arch9wavefront6targetE1EEEvT1_,comdat
	.protected	_ZN7rocprim17ROCPRIM_400000_NS6detail17trampoline_kernelINS0_14default_configENS1_25partition_config_selectorILNS1_17partition_subalgoE1ExNS0_10empty_typeEbEEZZNS1_14partition_implILS5_1ELb0ES3_jN6thrust23THRUST_200600_302600_NS6detail15normal_iteratorINSA_10device_ptrIxEEEEPS6_NSA_18transform_iteratorI7is_evenIxESF_NSA_11use_defaultESK_EENS0_5tupleIJSF_SF_EEENSM_IJSG_SG_EEES6_PlJS6_EEE10hipError_tPvRmT3_T4_T5_T6_T7_T9_mT8_P12ihipStream_tbDpT10_ENKUlT_T0_E_clISt17integral_constantIbLb0EES19_EEDaS14_S15_EUlS14_E_NS1_11comp_targetILNS1_3genE5ELNS1_11target_archE942ELNS1_3gpuE9ELNS1_3repE0EEENS1_30default_config_static_selectorELNS0_4arch9wavefront6targetE1EEEvT1_ ; -- Begin function _ZN7rocprim17ROCPRIM_400000_NS6detail17trampoline_kernelINS0_14default_configENS1_25partition_config_selectorILNS1_17partition_subalgoE1ExNS0_10empty_typeEbEEZZNS1_14partition_implILS5_1ELb0ES3_jN6thrust23THRUST_200600_302600_NS6detail15normal_iteratorINSA_10device_ptrIxEEEEPS6_NSA_18transform_iteratorI7is_evenIxESF_NSA_11use_defaultESK_EENS0_5tupleIJSF_SF_EEENSM_IJSG_SG_EEES6_PlJS6_EEE10hipError_tPvRmT3_T4_T5_T6_T7_T9_mT8_P12ihipStream_tbDpT10_ENKUlT_T0_E_clISt17integral_constantIbLb0EES19_EEDaS14_S15_EUlS14_E_NS1_11comp_targetILNS1_3genE5ELNS1_11target_archE942ELNS1_3gpuE9ELNS1_3repE0EEENS1_30default_config_static_selectorELNS0_4arch9wavefront6targetE1EEEvT1_
	.globl	_ZN7rocprim17ROCPRIM_400000_NS6detail17trampoline_kernelINS0_14default_configENS1_25partition_config_selectorILNS1_17partition_subalgoE1ExNS0_10empty_typeEbEEZZNS1_14partition_implILS5_1ELb0ES3_jN6thrust23THRUST_200600_302600_NS6detail15normal_iteratorINSA_10device_ptrIxEEEEPS6_NSA_18transform_iteratorI7is_evenIxESF_NSA_11use_defaultESK_EENS0_5tupleIJSF_SF_EEENSM_IJSG_SG_EEES6_PlJS6_EEE10hipError_tPvRmT3_T4_T5_T6_T7_T9_mT8_P12ihipStream_tbDpT10_ENKUlT_T0_E_clISt17integral_constantIbLb0EES19_EEDaS14_S15_EUlS14_E_NS1_11comp_targetILNS1_3genE5ELNS1_11target_archE942ELNS1_3gpuE9ELNS1_3repE0EEENS1_30default_config_static_selectorELNS0_4arch9wavefront6targetE1EEEvT1_
	.p2align	8
	.type	_ZN7rocprim17ROCPRIM_400000_NS6detail17trampoline_kernelINS0_14default_configENS1_25partition_config_selectorILNS1_17partition_subalgoE1ExNS0_10empty_typeEbEEZZNS1_14partition_implILS5_1ELb0ES3_jN6thrust23THRUST_200600_302600_NS6detail15normal_iteratorINSA_10device_ptrIxEEEEPS6_NSA_18transform_iteratorI7is_evenIxESF_NSA_11use_defaultESK_EENS0_5tupleIJSF_SF_EEENSM_IJSG_SG_EEES6_PlJS6_EEE10hipError_tPvRmT3_T4_T5_T6_T7_T9_mT8_P12ihipStream_tbDpT10_ENKUlT_T0_E_clISt17integral_constantIbLb0EES19_EEDaS14_S15_EUlS14_E_NS1_11comp_targetILNS1_3genE5ELNS1_11target_archE942ELNS1_3gpuE9ELNS1_3repE0EEENS1_30default_config_static_selectorELNS0_4arch9wavefront6targetE1EEEvT1_,@function
_ZN7rocprim17ROCPRIM_400000_NS6detail17trampoline_kernelINS0_14default_configENS1_25partition_config_selectorILNS1_17partition_subalgoE1ExNS0_10empty_typeEbEEZZNS1_14partition_implILS5_1ELb0ES3_jN6thrust23THRUST_200600_302600_NS6detail15normal_iteratorINSA_10device_ptrIxEEEEPS6_NSA_18transform_iteratorI7is_evenIxESF_NSA_11use_defaultESK_EENS0_5tupleIJSF_SF_EEENSM_IJSG_SG_EEES6_PlJS6_EEE10hipError_tPvRmT3_T4_T5_T6_T7_T9_mT8_P12ihipStream_tbDpT10_ENKUlT_T0_E_clISt17integral_constantIbLb0EES19_EEDaS14_S15_EUlS14_E_NS1_11comp_targetILNS1_3genE5ELNS1_11target_archE942ELNS1_3gpuE9ELNS1_3repE0EEENS1_30default_config_static_selectorELNS0_4arch9wavefront6targetE1EEEvT1_: ; @_ZN7rocprim17ROCPRIM_400000_NS6detail17trampoline_kernelINS0_14default_configENS1_25partition_config_selectorILNS1_17partition_subalgoE1ExNS0_10empty_typeEbEEZZNS1_14partition_implILS5_1ELb0ES3_jN6thrust23THRUST_200600_302600_NS6detail15normal_iteratorINSA_10device_ptrIxEEEEPS6_NSA_18transform_iteratorI7is_evenIxESF_NSA_11use_defaultESK_EENS0_5tupleIJSF_SF_EEENSM_IJSG_SG_EEES6_PlJS6_EEE10hipError_tPvRmT3_T4_T5_T6_T7_T9_mT8_P12ihipStream_tbDpT10_ENKUlT_T0_E_clISt17integral_constantIbLb0EES19_EEDaS14_S15_EUlS14_E_NS1_11comp_targetILNS1_3genE5ELNS1_11target_archE942ELNS1_3gpuE9ELNS1_3repE0EEENS1_30default_config_static_selectorELNS0_4arch9wavefront6targetE1EEEvT1_
; %bb.0:
	s_load_dwordx2 s[4:5], s[0:1], 0x60
	s_load_dwordx4 s[24:27], s[0:1], 0x8
	s_load_dwordx2 s[6:7], s[0:1], 0x20
	s_load_dwordx4 s[20:23], s[0:1], 0x50
	s_load_dword s3, s[0:1], 0x78
	s_waitcnt lgkmcnt(0)
	v_mov_b32_e32 v3, s5
	s_lshl_b64 s[8:9], s[26:27], 3
	s_add_u32 s12, s24, s8
	s_addc_u32 s13, s25, s9
	s_add_i32 s14, s3, -1
	s_mulk_i32 s3, 0xe00
	s_add_i32 s5, s3, s26
	s_sub_i32 s33, s4, s5
	s_addk_i32 s33, 0xe00
	v_mov_b32_e32 v2, s4
	s_add_u32 s4, s26, s3
	s_addc_u32 s5, s27, 0
	s_cmp_eq_u32 s2, s14
	s_load_dwordx2 s[28:29], s[22:23], 0x0
	s_cselect_b64 s[22:23], -1, 0
	s_cmp_lg_u32 s2, s14
	s_mul_i32 s10, s2, 0xe00
	s_mov_b32 s11, 0
	v_cmp_lt_u64_e32 vcc, s[4:5], v[2:3]
	s_cselect_b64 s[4:5], -1, 0
	s_or_b64 s[24:25], s[4:5], vcc
	s_lshl_b64 s[30:31], s[10:11], 3
	s_add_u32 s10, s12, s30
	s_addc_u32 s11, s13, s31
	s_mov_b64 s[4:5], -1
	s_and_b64 vcc, exec, s[24:25]
	v_lshlrev_b32_e32 v18, 3, v0
	s_cbranch_vccz .LBB386_2
; %bb.1:
	v_mov_b32_e32 v19, 0
	v_lshl_add_u64 v[2:3], s[10:11], 0, v[18:19]
	v_add_co_u32_e32 v4, vcc, 0x1000, v2
	s_mov_b64 s[4:5], 0
	s_nop 0
	v_addc_co_u32_e32 v5, vcc, 0, v3, vcc
	v_add_co_u32_e32 v6, vcc, 0x2000, v2
	s_nop 1
	v_addc_co_u32_e32 v7, vcc, 0, v3, vcc
	v_add_co_u32_e32 v8, vcc, 0x3000, v2
	s_nop 1
	v_addc_co_u32_e32 v9, vcc, 0, v3, vcc
	flat_load_dwordx2 v[10:11], v[2:3]
	flat_load_dwordx2 v[12:13], v[4:5]
	;; [unrolled: 1-line block ×4, first 2 shown]
	v_add_co_u32_e32 v4, vcc, 0x4000, v2
	s_nop 1
	v_addc_co_u32_e32 v5, vcc, 0, v3, vcc
	v_add_co_u32_e32 v6, vcc, 0x5000, v2
	s_nop 1
	v_addc_co_u32_e32 v7, vcc, 0, v3, vcc
	;; [unrolled: 3-line block ×3, first 2 shown]
	flat_load_dwordx2 v[8:9], v[4:5]
	flat_load_dwordx2 v[20:21], v[6:7]
	;; [unrolled: 1-line block ×3, first 2 shown]
	s_waitcnt vmcnt(0) lgkmcnt(0)
	ds_write2st64_b64 v18, v[10:11], v[12:13] offset1:8
	ds_write2st64_b64 v18, v[14:15], v[16:17] offset0:16 offset1:24
	ds_write2st64_b64 v18, v[8:9], v[20:21] offset0:32 offset1:40
	ds_write_b64 v18, v[22:23] offset:24576
	s_waitcnt lgkmcnt(0)
	s_barrier
.LBB386_2:
	s_andn2_b64 vcc, exec, s[4:5]
	v_cmp_gt_u32_e64 s[4:5], s33, v0
	s_cbranch_vccnz .LBB386_18
; %bb.3:
                                        ; implicit-def: $vgpr2_vgpr3_vgpr4_vgpr5_vgpr6_vgpr7_vgpr8_vgpr9_vgpr10_vgpr11_vgpr12_vgpr13_vgpr14_vgpr15_vgpr16_vgpr17
	s_and_saveexec_b64 s[12:13], s[4:5]
	s_cbranch_execz .LBB386_5
; %bb.4:
	v_mov_b32_e32 v19, 0
	v_lshl_add_u64 v[2:3], s[10:11], 0, v[18:19]
	flat_load_dwordx2 v[2:3], v[2:3]
.LBB386_5:
	s_or_b64 exec, exec, s[12:13]
	v_or_b32_e32 v1, 0x200, v0
	v_cmp_gt_u32_e32 vcc, s33, v1
	s_and_saveexec_b64 s[4:5], vcc
	s_cbranch_execz .LBB386_7
; %bb.6:
	v_lshlrev_b32_e32 v4, 3, v1
	v_mov_b32_e32 v5, 0
	v_lshl_add_u64 v[4:5], s[10:11], 0, v[4:5]
	flat_load_dwordx2 v[4:5], v[4:5]
.LBB386_7:
	s_or_b64 exec, exec, s[4:5]
	v_or_b32_e32 v1, 0x400, v0
	v_cmp_gt_u32_e32 vcc, s33, v1
	s_and_saveexec_b64 s[4:5], vcc
	s_cbranch_execz .LBB386_9
; %bb.8:
	v_lshlrev_b32_e32 v6, 3, v1
	v_mov_b32_e32 v7, 0
	v_lshl_add_u64 v[6:7], s[10:11], 0, v[6:7]
	flat_load_dwordx2 v[6:7], v[6:7]
.LBB386_9:
	;; [unrolled: 11-line block ×6, first 2 shown]
	s_or_b64 exec, exec, s[4:5]
	s_waitcnt vmcnt(0) lgkmcnt(0)
	ds_write2st64_b64 v18, v[2:3], v[4:5] offset1:8
	ds_write2st64_b64 v18, v[6:7], v[8:9] offset0:16 offset1:24
	ds_write2st64_b64 v18, v[10:11], v[12:13] offset0:32 offset1:40
	ds_write_b64 v18, v[14:15] offset:24576
	s_waitcnt lgkmcnt(0)
	s_barrier
.LBB386_18:
	v_mul_u32_u24_e32 v1, 7, v0
	v_lshlrev_b32_e32 v16, 3, v1
	s_waitcnt lgkmcnt(0)
	ds_read2_b64 v[10:13], v16 offset1:1
	ds_read2_b64 v[6:9], v16 offset0:2 offset1:3
	ds_read2_b64 v[2:5], v16 offset0:4 offset1:5
	ds_read_b64 v[14:15], v16 offset:48
	s_add_u32 s3, s6, s8
	s_addc_u32 s5, s7, s9
	s_add_u32 s4, s3, s30
	s_addc_u32 s5, s5, s31
	s_mov_b64 s[6:7], -1
	s_and_b64 vcc, exec, s[24:25]
	s_waitcnt lgkmcnt(0)
	s_barrier
	s_cbranch_vccz .LBB386_20
; %bb.19:
	v_mov_b32_e32 v19, 0
	v_lshl_add_u64 v[20:21], s[4:5], 0, v[18:19]
	v_add_co_u32_e32 v24, vcc, 0x1000, v20
	global_load_dwordx2 v[22:23], v18, s[4:5]
	s_nop 0
	v_addc_co_u32_e32 v25, vcc, 0, v21, vcc
	v_add_co_u32_e32 v26, vcc, 0x2000, v20
	s_mov_b64 s[6:7], 0
	s_nop 0
	v_addc_co_u32_e32 v27, vcc, 0, v21, vcc
	v_add_co_u32_e32 v28, vcc, 0x3000, v20
	s_waitcnt vmcnt(0)
	v_xor_b32_e32 v17, -1, v22
	v_addc_co_u32_e32 v29, vcc, 0, v21, vcc
	v_add_co_u32_e32 v30, vcc, 0x4000, v20
	v_and_b32_e32 v17, 1, v17
	s_nop 0
	v_addc_co_u32_e32 v31, vcc, 0, v21, vcc
	global_load_dwordx2 v[32:33], v[24:25], off
	global_load_dwordx2 v[34:35], v[26:27], off
	;; [unrolled: 1-line block ×4, first 2 shown]
	v_add_co_u32_e32 v24, vcc, 0x5000, v20
	ds_write_b8 v0, v17
	s_nop 0
	v_addc_co_u32_e32 v25, vcc, 0, v21, vcc
	v_add_co_u32_e32 v20, vcc, 0x6000, v20
	global_load_dwordx2 v[24:25], v[24:25], off
	s_nop 0
	v_addc_co_u32_e32 v21, vcc, 0, v21, vcc
	global_load_dwordx2 v[20:21], v[20:21], off
	s_waitcnt vmcnt(5)
	v_xor_b32_e32 v17, -1, v32
	v_and_b32_e32 v17, 1, v17
	s_waitcnt vmcnt(4)
	v_xor_b32_e32 v19, -1, v34
	s_waitcnt vmcnt(0)
	v_xor_b32_e32 v21, -1, v36
	v_and_b32_e32 v19, 1, v19
	ds_write_b8 v0, v17 offset:512
	v_and_b32_e32 v17, 1, v21
	v_xor_b32_e32 v21, -1, v38
	ds_write_b8 v0, v19 offset:1024
	v_and_b32_e32 v19, 1, v21
	ds_write_b8 v0, v17 offset:1536
	v_xor_b32_e32 v21, -1, v24
	v_and_b32_e32 v17, 1, v21
	ds_write_b8 v0, v19 offset:2048
	v_xor_b32_e32 v20, -1, v20
	v_and_b32_e32 v19, 1, v20
	ds_write_b8 v0, v17 offset:2560
	ds_write_b8 v0, v19 offset:3072
	s_waitcnt lgkmcnt(0)
	s_barrier
.LBB386_20:
	s_load_dwordx2 s[34:35], s[0:1], 0x70
	s_andn2_b64 vcc, exec, s[6:7]
	s_cbranch_vccnz .LBB386_36
; %bb.21:
	v_cmp_gt_u32_e32 vcc, s33, v0
	v_mov_b32_e32 v17, 0
	v_mov_b32_e32 v19, 0
	s_and_saveexec_b64 s[6:7], vcc
	s_cbranch_execz .LBB386_23
; %bb.22:
	global_load_dwordx2 v[20:21], v18, s[4:5]
	s_waitcnt vmcnt(0)
	v_xor_b32_e32 v19, -1, v20
	v_and_b32_e32 v19, 1, v19
.LBB386_23:
	s_or_b64 exec, exec, s[6:7]
	v_or_b32_e32 v20, 0x200, v0
	v_cmp_gt_u32_e32 vcc, s33, v20
	s_and_saveexec_b64 s[6:7], vcc
	s_cbranch_execz .LBB386_25
; %bb.24:
	v_lshlrev_b32_e32 v17, 3, v20
	global_load_dwordx2 v[20:21], v17, s[4:5]
	s_waitcnt vmcnt(0)
	v_xor_b32_e32 v17, -1, v20
	v_and_b32_e32 v17, 1, v17
.LBB386_25:
	s_or_b64 exec, exec, s[6:7]
	v_or_b32_e32 v22, 0x400, v0
	v_cmp_gt_u32_e32 vcc, s33, v22
	v_mov_b32_e32 v20, 0
	v_mov_b32_e32 v21, 0
	s_and_saveexec_b64 s[6:7], vcc
	s_cbranch_execz .LBB386_27
; %bb.26:
	v_lshlrev_b32_e32 v21, 3, v22
	global_load_dwordx2 v[22:23], v21, s[4:5]
	s_waitcnt vmcnt(0)
	v_xor_b32_e32 v21, -1, v22
	v_and_b32_e32 v21, 1, v21
.LBB386_27:
	s_or_b64 exec, exec, s[6:7]
	v_or_b32_e32 v22, 0x600, v0
	v_cmp_gt_u32_e32 vcc, s33, v22
	s_and_saveexec_b64 s[6:7], vcc
	s_cbranch_execz .LBB386_29
; %bb.28:
	v_lshlrev_b32_e32 v20, 3, v22
	global_load_dwordx2 v[22:23], v20, s[4:5]
	s_waitcnt vmcnt(0)
	v_xor_b32_e32 v20, -1, v22
	v_and_b32_e32 v20, 1, v20
.LBB386_29:
	s_or_b64 exec, exec, s[6:7]
	v_or_b32_e32 v24, 0x800, v0
	v_cmp_gt_u32_e32 vcc, s33, v24
	v_mov_b32_e32 v22, 0
	v_mov_b32_e32 v23, 0
	s_and_saveexec_b64 s[6:7], vcc
	s_cbranch_execz .LBB386_31
; %bb.30:
	v_lshlrev_b32_e32 v23, 3, v24
	global_load_dwordx2 v[24:25], v23, s[4:5]
	s_waitcnt vmcnt(0)
	v_xor_b32_e32 v23, -1, v24
	v_and_b32_e32 v23, 1, v23
.LBB386_31:
	s_or_b64 exec, exec, s[6:7]
	v_or_b32_e32 v24, 0xa00, v0
	v_cmp_gt_u32_e32 vcc, s33, v24
	s_and_saveexec_b64 s[6:7], vcc
	s_cbranch_execz .LBB386_33
; %bb.32:
	v_lshlrev_b32_e32 v22, 3, v24
	global_load_dwordx2 v[24:25], v22, s[4:5]
	s_waitcnt vmcnt(0)
	v_xor_b32_e32 v22, -1, v24
	v_and_b32_e32 v22, 1, v22
.LBB386_33:
	s_or_b64 exec, exec, s[6:7]
	v_or_b32_e32 v25, 0xc00, v0
	v_cmp_gt_u32_e32 vcc, s33, v25
	v_mov_b32_e32 v24, 0
	s_and_saveexec_b64 s[6:7], vcc
	s_cbranch_execz .LBB386_35
; %bb.34:
	v_lshlrev_b32_e32 v24, 3, v25
	global_load_dwordx2 v[24:25], v24, s[4:5]
	s_waitcnt vmcnt(0)
	v_xor_b32_e32 v24, -1, v24
	v_and_b32_e32 v24, 1, v24
.LBB386_35:
	s_or_b64 exec, exec, s[6:7]
	ds_write_b8 v0, v19
	ds_write_b8 v0, v17 offset:512
	ds_write_b8 v0, v21 offset:1024
	;; [unrolled: 1-line block ×6, first 2 shown]
	s_waitcnt lgkmcnt(0)
	s_barrier
.LBB386_36:
	s_movk_i32 s3, 0xffcf
	v_mad_i32_i24 v35, v0, s3, v16
	s_waitcnt lgkmcnt(0)
	ds_read_u8 v16, v35
	ds_read_u8 v17, v35 offset:1
	ds_read_u8 v19, v35 offset:2
	;; [unrolled: 1-line block ×6, first 2 shown]
	s_waitcnt lgkmcnt(6)
	v_and_b32_e32 v33, 1, v16
	s_waitcnt lgkmcnt(5)
	v_and_b32_e32 v32, 1, v17
	;; [unrolled: 2-line block ×5, first 2 shown]
	v_add3_u32 v16, v32, v33, v31
	s_waitcnt lgkmcnt(1)
	v_and_b32_e32 v28, 1, v22
	s_waitcnt lgkmcnt(0)
	v_and_b32_e32 v19, 1, v23
	v_add3_u32 v16, v16, v30, v29
	v_add3_u32 v37, v16, v28, v19
	v_mbcnt_lo_u32_b32 v16, -1, 0
	v_mbcnt_hi_u32_b32 v34, -1, v16
	v_and_b32_e32 v16, 15, v34
	v_cmp_eq_u32_e64 s[14:15], 0, v16
	v_cmp_lt_u32_e64 s[12:13], 1, v16
	v_cmp_lt_u32_e64 s[10:11], 3, v16
	;; [unrolled: 1-line block ×3, first 2 shown]
	v_and_b32_e32 v16, 16, v34
	v_cmp_eq_u32_e64 s[6:7], 0, v16
	v_or_b32_e32 v16, 63, v0
	s_cmp_lg_u32 s2, 0
	v_cmp_lt_u32_e64 s[18:19], 31, v34
	v_lshrrev_b32_e32 v36, 6, v0
	v_cmp_eq_u32_e64 s[4:5], v16, v0
	s_barrier
	s_cbranch_scc0 .LBB386_63
; %bb.37:
	v_mov_b32_dpp v16, v37 row_shr:1 row_mask:0xf bank_mask:0xf
	v_cndmask_b32_e64 v16, v16, 0, s[14:15]
	v_add_u32_e32 v16, v16, v37
	s_nop 1
	v_mov_b32_dpp v17, v16 row_shr:2 row_mask:0xf bank_mask:0xf
	v_cndmask_b32_e64 v17, 0, v17, s[12:13]
	v_add_u32_e32 v16, v16, v17
	s_nop 1
	;; [unrolled: 4-line block ×4, first 2 shown]
	v_mov_b32_dpp v17, v16 row_bcast:15 row_mask:0xf bank_mask:0xf
	v_cndmask_b32_e64 v17, v17, 0, s[6:7]
	v_add_u32_e32 v16, v16, v17
	s_nop 1
	v_mov_b32_dpp v17, v16 row_bcast:31 row_mask:0xf bank_mask:0xf
	v_cndmask_b32_e64 v17, 0, v17, s[18:19]
	v_add_u32_e32 v16, v16, v17
	s_and_saveexec_b64 s[16:17], s[4:5]
	s_cbranch_execz .LBB386_39
; %bb.38:
	v_lshlrev_b32_e32 v17, 2, v36
	ds_write_b32 v17, v16
.LBB386_39:
	s_or_b64 exec, exec, s[16:17]
	v_cmp_gt_u32_e32 vcc, 8, v0
	s_waitcnt lgkmcnt(0)
	s_barrier
	s_and_saveexec_b64 s[16:17], vcc
	s_cbranch_execz .LBB386_41
; %bb.40:
	v_lshlrev_b32_e32 v17, 2, v0
	ds_read_b32 v20, v17
	v_and_b32_e32 v21, 7, v34
	v_cmp_ne_u32_e32 vcc, 0, v21
	s_waitcnt lgkmcnt(0)
	v_mov_b32_dpp v22, v20 row_shr:1 row_mask:0xf bank_mask:0xf
	v_cndmask_b32_e32 v22, 0, v22, vcc
	v_add_u32_e32 v20, v22, v20
	v_cmp_lt_u32_e32 vcc, 1, v21
	s_nop 0
	v_mov_b32_dpp v22, v20 row_shr:2 row_mask:0xf bank_mask:0xf
	v_cndmask_b32_e32 v22, 0, v22, vcc
	v_add_u32_e32 v20, v20, v22
	v_cmp_lt_u32_e32 vcc, 3, v21
	s_nop 0
	v_mov_b32_dpp v22, v20 row_shr:4 row_mask:0xf bank_mask:0xf
	v_cndmask_b32_e32 v21, 0, v22, vcc
	v_add_u32_e32 v20, v20, v21
	ds_write_b32 v17, v20
.LBB386_41:
	s_or_b64 exec, exec, s[16:17]
	v_cmp_gt_u32_e32 vcc, 64, v0
	v_cmp_lt_u32_e64 s[16:17], 63, v0
	s_waitcnt lgkmcnt(0)
	s_barrier
	s_waitcnt lgkmcnt(0)
                                        ; implicit-def: $vgpr38
	s_and_saveexec_b64 s[36:37], s[16:17]
	s_cbranch_execz .LBB386_43
; %bb.42:
	v_lshl_add_u32 v17, v36, 2, -4
	ds_read_b32 v38, v17
	s_waitcnt lgkmcnt(0)
	v_add_u32_e32 v16, v38, v16
.LBB386_43:
	s_or_b64 exec, exec, s[36:37]
	v_add_u32_e32 v17, -1, v34
	v_and_b32_e32 v20, 64, v34
	v_cmp_lt_i32_e64 s[16:17], v17, v20
	s_nop 1
	v_cndmask_b32_e64 v17, v17, v34, s[16:17]
	v_lshlrev_b32_e32 v17, 2, v17
	ds_bpermute_b32 v39, v17, v16
	v_cmp_eq_u32_e64 s[16:17], 0, v34
	s_and_saveexec_b64 s[36:37], vcc
	s_cbranch_execz .LBB386_62
; %bb.44:
	v_mov_b32_e32 v25, 0
	ds_read_b32 v16, v25 offset:28
	s_and_saveexec_b64 s[38:39], s[16:17]
	s_cbranch_execz .LBB386_46
; %bb.45:
	s_add_i32 s40, s2, 64
	s_mov_b32 s41, 0
	s_lshl_b64 s[40:41], s[40:41], 3
	s_add_u32 s40, s34, s40
	v_mov_b32_e32 v17, 1
	s_addc_u32 s41, s35, s41
	s_waitcnt lgkmcnt(0)
	global_store_dwordx2 v25, v[16:17], s[40:41] sc1
.LBB386_46:
	s_or_b64 exec, exec, s[38:39]
	v_xad_u32 v20, v34, -1, s2
	v_add_u32_e32 v24, 64, v20
	v_lshl_add_u64 v[26:27], v[24:25], 3, s[34:35]
	global_load_dwordx2 v[22:23], v[26:27], off sc1
	s_waitcnt vmcnt(0)
	v_cmp_eq_u16_sdwa s[40:41], v23, v25 src0_sel:BYTE_0 src1_sel:DWORD
	s_and_saveexec_b64 s[38:39], s[40:41]
	s_cbranch_execz .LBB386_50
; %bb.47:
	s_mov_b64 s[40:41], 0
	v_mov_b32_e32 v17, 0
.LBB386_48:                             ; =>This Inner Loop Header: Depth=1
	global_load_dwordx2 v[22:23], v[26:27], off sc1
	s_waitcnt vmcnt(0)
	v_cmp_ne_u16_sdwa s[42:43], v23, v17 src0_sel:BYTE_0 src1_sel:DWORD
	s_or_b64 s[40:41], s[42:43], s[40:41]
	s_andn2_b64 exec, exec, s[40:41]
	s_cbranch_execnz .LBB386_48
; %bb.49:
	s_or_b64 exec, exec, s[40:41]
.LBB386_50:
	s_or_b64 exec, exec, s[38:39]
	v_and_b32_e32 v41, 63, v34
	v_mov_b32_e32 v40, 2
	v_cmp_ne_u32_e32 vcc, 63, v41
	v_cmp_eq_u16_sdwa s[38:39], v23, v40 src0_sel:BYTE_0 src1_sel:DWORD
	v_lshlrev_b64 v[24:25], v34, -1
	v_addc_co_u32_e32 v26, vcc, 0, v34, vcc
	v_and_b32_e32 v17, s39, v25
	v_lshlrev_b32_e32 v42, 2, v26
	v_or_b32_e32 v17, 0x80000000, v17
	ds_bpermute_b32 v26, v42, v22
	v_and_b32_e32 v21, s38, v24
	v_ffbl_b32_e32 v17, v17
	v_add_u32_e32 v17, 32, v17
	v_ffbl_b32_e32 v21, v21
	v_min_u32_e32 v17, v21, v17
	v_cmp_lt_u32_e32 vcc, v41, v17
	v_add_u32_e32 v44, 2, v41
	v_add_u32_e32 v46, 4, v41
	s_waitcnt lgkmcnt(0)
	v_cndmask_b32_e32 v21, 0, v26, vcc
	v_cmp_gt_u32_e32 vcc, 62, v41
	v_add_u32_e32 v21, v21, v22
	v_add_u32_e32 v48, 8, v41
	v_cndmask_b32_e64 v22, 0, 1, vcc
	v_lshlrev_b32_e32 v22, 1, v22
	v_add_lshl_u32 v43, v22, v34, 2
	ds_bpermute_b32 v22, v43, v21
	v_cmp_le_u32_e32 vcc, v44, v17
	v_add_u32_e32 v50, 16, v41
	v_add_u32_e32 v52, 32, v41
	s_waitcnt lgkmcnt(0)
	v_cndmask_b32_e32 v22, 0, v22, vcc
	v_cmp_gt_u32_e32 vcc, 60, v41
	v_add_u32_e32 v21, v21, v22
	s_nop 0
	v_cndmask_b32_e64 v22, 0, 1, vcc
	v_lshlrev_b32_e32 v22, 2, v22
	v_add_lshl_u32 v45, v22, v34, 2
	ds_bpermute_b32 v22, v45, v21
	v_cmp_le_u32_e32 vcc, v46, v17
	s_waitcnt lgkmcnt(0)
	s_nop 0
	v_cndmask_b32_e32 v22, 0, v22, vcc
	v_cmp_gt_u32_e32 vcc, 56, v41
	v_add_u32_e32 v21, v21, v22
	s_nop 0
	v_cndmask_b32_e64 v22, 0, 1, vcc
	v_lshlrev_b32_e32 v22, 3, v22
	v_add_lshl_u32 v47, v22, v34, 2
	ds_bpermute_b32 v22, v47, v21
	v_cmp_le_u32_e32 vcc, v48, v17
	s_waitcnt lgkmcnt(0)
	s_nop 0
	;; [unrolled: 11-line block ×4, first 2 shown]
	v_cndmask_b32_e32 v17, 0, v22, vcc
	v_add_u32_e32 v22, v21, v17
	v_mov_b32_e32 v21, 0
	s_branch .LBB386_52
.LBB386_51:                             ;   in Loop: Header=BB386_52 Depth=1
	s_or_b64 exec, exec, s[38:39]
	v_cmp_eq_u16_sdwa s[38:39], v23, v40 src0_sel:BYTE_0 src1_sel:DWORD
	ds_bpermute_b32 v53, v42, v22
	v_subrev_u32_e32 v20, 64, v20
	v_and_b32_e32 v26, s39, v25
	v_or_b32_e32 v26, 0x80000000, v26
	v_and_b32_e32 v27, s38, v24
	v_ffbl_b32_e32 v26, v26
	v_add_u32_e32 v26, 32, v26
	v_ffbl_b32_e32 v27, v27
	v_min_u32_e32 v26, v27, v26
	v_cmp_lt_u32_e32 vcc, v41, v26
	s_waitcnt lgkmcnt(0)
	s_nop 0
	v_cndmask_b32_e32 v27, 0, v53, vcc
	v_add_u32_e32 v22, v27, v22
	ds_bpermute_b32 v27, v43, v22
	v_cmp_le_u32_e32 vcc, v44, v26
	s_waitcnt lgkmcnt(0)
	s_nop 0
	v_cndmask_b32_e32 v27, 0, v27, vcc
	v_add_u32_e32 v22, v22, v27
	ds_bpermute_b32 v27, v45, v22
	v_cmp_le_u32_e32 vcc, v46, v26
	s_waitcnt lgkmcnt(0)
	s_nop 0
	v_cndmask_b32_e32 v27, 0, v27, vcc
	v_add_u32_e32 v22, v22, v27
	ds_bpermute_b32 v27, v47, v22
	v_cmp_le_u32_e32 vcc, v48, v26
	s_waitcnt lgkmcnt(0)
	s_nop 0
	v_cndmask_b32_e32 v27, 0, v27, vcc
	v_add_u32_e32 v22, v22, v27
	ds_bpermute_b32 v27, v49, v22
	v_cmp_le_u32_e32 vcc, v50, v26
	s_waitcnt lgkmcnt(0)
	s_nop 0
	v_cndmask_b32_e32 v27, 0, v27, vcc
	v_add_u32_e32 v22, v22, v27
	ds_bpermute_b32 v27, v51, v22
	v_cmp_le_u32_e32 vcc, v52, v26
	s_waitcnt lgkmcnt(0)
	s_nop 0
	v_cndmask_b32_e32 v26, 0, v27, vcc
	v_add3_u32 v22, v26, v17, v22
.LBB386_52:                             ; =>This Loop Header: Depth=1
                                        ;     Child Loop BB386_55 Depth 2
	v_cmp_ne_u16_sdwa s[38:39], v23, v40 src0_sel:BYTE_0 src1_sel:DWORD
	s_nop 1
	v_cndmask_b32_e64 v17, 0, 1, s[38:39]
	;;#ASMSTART
	;;#ASMEND
	s_nop 0
	v_cmp_ne_u32_e32 vcc, 0, v17
	s_cmp_lg_u64 vcc, exec
	v_mov_b32_e32 v17, v22
	s_cbranch_scc1 .LBB386_57
; %bb.53:                               ;   in Loop: Header=BB386_52 Depth=1
	v_lshl_add_u64 v[26:27], v[20:21], 3, s[34:35]
	global_load_dwordx2 v[22:23], v[26:27], off sc1
	s_waitcnt vmcnt(0)
	v_cmp_eq_u16_sdwa s[40:41], v23, v21 src0_sel:BYTE_0 src1_sel:DWORD
	s_and_saveexec_b64 s[38:39], s[40:41]
	s_cbranch_execz .LBB386_51
; %bb.54:                               ;   in Loop: Header=BB386_52 Depth=1
	s_mov_b64 s[40:41], 0
.LBB386_55:                             ;   Parent Loop BB386_52 Depth=1
                                        ; =>  This Inner Loop Header: Depth=2
	global_load_dwordx2 v[22:23], v[26:27], off sc1
	s_waitcnt vmcnt(0)
	v_cmp_ne_u16_sdwa s[42:43], v23, v21 src0_sel:BYTE_0 src1_sel:DWORD
	s_or_b64 s[40:41], s[42:43], s[40:41]
	s_andn2_b64 exec, exec, s[40:41]
	s_cbranch_execnz .LBB386_55
; %bb.56:                               ;   in Loop: Header=BB386_52 Depth=1
	s_or_b64 exec, exec, s[40:41]
	s_branch .LBB386_51
.LBB386_57:                             ;   in Loop: Header=BB386_52 Depth=1
                                        ; implicit-def: $vgpr22
                                        ; implicit-def: $vgpr23
	s_cbranch_execz .LBB386_52
; %bb.58:
	s_and_saveexec_b64 s[38:39], s[16:17]
	s_cbranch_execz .LBB386_60
; %bb.59:
	s_add_i32 s2, s2, 64
	s_mov_b32 s3, 0
	s_lshl_b64 s[2:3], s[2:3], 3
	s_add_u32 s2, s34, s2
	v_add_u32_e32 v20, v17, v16
	v_mov_b32_e32 v21, 2
	s_addc_u32 s3, s35, s3
	v_mov_b32_e32 v22, 0
	global_store_dwordx2 v22, v[20:21], s[2:3] sc1
	ds_write_b64 v22, v[16:17] offset:28672
.LBB386_60:
	s_or_b64 exec, exec, s[38:39]
	v_cmp_eq_u32_e32 vcc, 0, v0
	s_and_b64 exec, exec, vcc
	s_cbranch_execz .LBB386_62
; %bb.61:
	v_mov_b32_e32 v16, 0
	ds_write_b32 v16, v17 offset:28
.LBB386_62:
	s_or_b64 exec, exec, s[36:37]
	v_mov_b32_e32 v16, 0
	s_waitcnt lgkmcnt(0)
	s_barrier
	ds_read_b32 v17, v16 offset:28
	v_cndmask_b32_e64 v20, v39, v38, s[16:17]
	v_cmp_ne_u32_e32 vcc, 0, v0
	s_waitcnt lgkmcnt(0)
	s_barrier
	v_cndmask_b32_e32 v20, 0, v20, vcc
	v_add_u32_e32 v27, v17, v20
	v_add_u32_e32 v26, v27, v33
	ds_read_b64 v[16:17], v16 offset:28672
	v_add_u32_e32 v25, v26, v32
	v_add_u32_e32 v23, v25, v31
	;; [unrolled: 1-line block ×5, first 2 shown]
	s_waitcnt lgkmcnt(0)
	v_mov_b32_e32 v20, v17
	s_branch .LBB386_73
.LBB386_63:
                                        ; implicit-def: $vgpr20
                                        ; implicit-def: $vgpr16
                                        ; implicit-def: $vgpr21
                                        ; implicit-def: $vgpr22
                                        ; implicit-def: $vgpr24
                                        ; implicit-def: $vgpr23
                                        ; implicit-def: $vgpr25
                                        ; implicit-def: $vgpr26
                                        ; implicit-def: $vgpr27
	s_cbranch_execz .LBB386_73
; %bb.64:
	s_nop 0
	v_mov_b32_dpp v16, v37 row_shr:1 row_mask:0xf bank_mask:0xf
	v_cndmask_b32_e64 v16, v16, 0, s[14:15]
	v_add_u32_e32 v16, v16, v37
	s_nop 1
	v_mov_b32_dpp v17, v16 row_shr:2 row_mask:0xf bank_mask:0xf
	v_cndmask_b32_e64 v17, 0, v17, s[12:13]
	v_add_u32_e32 v16, v16, v17
	;; [unrolled: 4-line block ×4, first 2 shown]
	s_nop 1
	v_mov_b32_dpp v17, v16 row_bcast:15 row_mask:0xf bank_mask:0xf
	v_cndmask_b32_e64 v17, v17, 0, s[6:7]
	v_add_u32_e32 v16, v16, v17
	s_nop 1
	v_mov_b32_dpp v17, v16 row_bcast:31 row_mask:0xf bank_mask:0xf
	v_cndmask_b32_e64 v17, 0, v17, s[18:19]
	v_add_u32_e32 v16, v16, v17
	s_and_saveexec_b64 s[2:3], s[4:5]
	s_cbranch_execz .LBB386_66
; %bb.65:
	v_lshlrev_b32_e32 v17, 2, v36
	ds_write_b32 v17, v16
.LBB386_66:
	s_or_b64 exec, exec, s[2:3]
	v_cmp_gt_u32_e32 vcc, 8, v0
	s_waitcnt lgkmcnt(0)
	s_barrier
	s_and_saveexec_b64 s[2:3], vcc
	s_cbranch_execz .LBB386_68
; %bb.67:
	v_mad_i32_i24 v17, v0, -3, v35
	ds_read_b32 v20, v17
	v_and_b32_e32 v21, 7, v34
	v_cmp_ne_u32_e32 vcc, 0, v21
	s_waitcnt lgkmcnt(0)
	v_mov_b32_dpp v22, v20 row_shr:1 row_mask:0xf bank_mask:0xf
	v_cndmask_b32_e32 v22, 0, v22, vcc
	v_add_u32_e32 v20, v22, v20
	v_cmp_lt_u32_e32 vcc, 1, v21
	s_nop 0
	v_mov_b32_dpp v22, v20 row_shr:2 row_mask:0xf bank_mask:0xf
	v_cndmask_b32_e32 v22, 0, v22, vcc
	v_add_u32_e32 v20, v20, v22
	v_cmp_lt_u32_e32 vcc, 3, v21
	s_nop 0
	v_mov_b32_dpp v22, v20 row_shr:4 row_mask:0xf bank_mask:0xf
	v_cndmask_b32_e32 v21, 0, v22, vcc
	v_add_u32_e32 v20, v20, v21
	ds_write_b32 v17, v20
.LBB386_68:
	s_or_b64 exec, exec, s[2:3]
	v_cmp_lt_u32_e32 vcc, 63, v0
	v_mov_b32_e32 v17, 0
	v_mov_b32_e32 v20, 0
	s_waitcnt lgkmcnt(0)
	s_barrier
	s_and_saveexec_b64 s[2:3], vcc
	s_cbranch_execz .LBB386_70
; %bb.69:
	v_lshl_add_u32 v20, v36, 2, -4
	ds_read_b32 v20, v20
.LBB386_70:
	s_or_b64 exec, exec, s[2:3]
	v_add_u32_e32 v21, -1, v34
	v_and_b32_e32 v22, 64, v34
	v_cmp_lt_i32_e32 vcc, v21, v22
	s_waitcnt lgkmcnt(0)
	v_add_u32_e32 v16, v20, v16
	v_cndmask_b32_e32 v21, v21, v34, vcc
	v_lshlrev_b32_e32 v21, 2, v21
	ds_bpermute_b32 v21, v21, v16
	ds_read_b32 v16, v17 offset:28
	v_cmp_eq_u32_e32 vcc, 0, v0
	s_and_saveexec_b64 s[2:3], vcc
	s_cbranch_execz .LBB386_72
; %bb.71:
	v_mov_b32_e32 v22, 0
	v_mov_b32_e32 v17, 2
	s_waitcnt lgkmcnt(0)
	global_store_dwordx2 v22, v[16:17], s[34:35] offset:512 sc1
.LBB386_72:
	s_or_b64 exec, exec, s[2:3]
	v_cmp_eq_u32_e64 s[2:3], 0, v34
	s_waitcnt lgkmcnt(0)
	s_barrier
	v_cndmask_b32_e64 v17, v21, v20, s[2:3]
	v_cndmask_b32_e64 v27, v17, 0, vcc
	v_add_u32_e32 v26, v27, v33
	v_add_u32_e32 v25, v26, v32
	v_add_u32_e32 v23, v25, v31
	v_add_u32_e32 v24, v23, v30
	v_add_u32_e32 v22, v24, v29
	v_mov_b32_e32 v20, 0
	v_add_u32_e32 v21, v22, v28
.LBB386_73:
	v_add_u32_e32 v1, v16, v1
	v_sub_u32_e32 v17, v27, v20
	v_sub_u32_e32 v27, v1, v17
	v_cmp_eq_u32_e32 vcc, 1, v33
	s_load_dwordx4 s[0:3], s[0:1], 0x30
	s_nop 0
	v_cndmask_b32_e32 v17, v27, v17, vcc
	v_lshlrev_b32_e32 v17, 3, v17
	ds_write_b64 v17, v[10:11]
	v_sub_u32_e32 v10, v26, v20
	v_sub_u32_e32 v11, v1, v10
	v_add_u32_e32 v11, 1, v11
	v_cmp_eq_u32_e32 vcc, 1, v32
	v_or_b32_e32 v32, 0x200, v0
	s_nop 0
	v_cndmask_b32_e32 v10, v11, v10, vcc
	v_lshlrev_b32_e32 v10, 3, v10
	ds_write_b64 v10, v[12:13]
	v_sub_u32_e32 v10, v25, v20
	v_sub_u32_e32 v11, v1, v10
	v_add_u32_e32 v11, 2, v11
	v_cmp_eq_u32_e32 vcc, 1, v31
	v_or_b32_e32 v31, 0x400, v0
	;; [unrolled: 9-line block ×5, first 2 shown]
	s_nop 0
	v_cndmask_b32_e32 v2, v3, v2, vcc
	v_lshlrev_b32_e32 v2, 3, v2
	ds_write_b64 v2, v[4:5]
	v_sub_u32_e32 v2, v21, v20
	v_sub_u32_e32 v1, v1, v2
	v_add_u32_e32 v1, 6, v1
	v_cmp_eq_u32_e32 vcc, 1, v19
	v_mov_b32_e32 v21, 0
	v_lshl_add_u64 v[26:27], s[28:29], 0, v[20:21]
	v_cndmask_b32_e32 v1, v1, v2, vcc
	v_lshlrev_b32_e32 v1, 3, v1
	v_mov_b32_e32 v17, v21
	ds_write_b64 v1, v[14:15]
	v_lshl_add_u64 v[14:15], v[26:27], 0, v[16:17]
	s_waitcnt lgkmcnt(0)
	s_barrier
	ds_read2st64_b64 v[10:13], v18 offset1:8
	ds_read2st64_b64 v[6:9], v18 offset0:16 offset1:24
	ds_read2st64_b64 v[2:5], v18 offset0:32 offset1:40
	ds_read_b64 v[22:23], v18 offset:24576
	v_mov_b32_e32 v17, s27
	v_sub_co_u32_e32 v24, vcc, s26, v14
	v_lshlrev_b64 v[26:27], 3, v[26:27]
	s_nop 0
	v_subb_co_u32_e32 v25, vcc, v17, v15, vcc
	v_lshlrev_b64 v[24:25], 3, v[24:25]
	v_lshl_add_u64 v[24:25], s[2:3], 0, v[24:25]
	v_or_b32_e32 v1, 0xc00, v0
	v_lshl_add_u64 v[24:25], v[24:25], 0, s[30:31]
	s_andn2_b64 vcc, exec, s[24:25]
	v_lshl_add_u64 v[26:27], s[0:1], 0, v[26:27]
	s_cbranch_vccnz .LBB386_75
; %bb.74:
	v_cmp_lt_u32_e32 vcc, v0, v16
	v_mov_b32_e32 v19, v21
	v_lshlrev_b32_e32 v20, 3, v32
	v_cndmask_b32_e32 v35, v25, v27, vcc
	v_cndmask_b32_e32 v34, v24, v26, vcc
	v_lshl_add_u64 v[34:35], v[34:35], 0, v[18:19]
	v_cmp_lt_u32_e32 vcc, v32, v16
	s_waitcnt lgkmcnt(3)
	global_store_dwordx2 v[34:35], v[10:11], off
	v_cndmask_b32_e32 v35, v25, v27, vcc
	v_cndmask_b32_e32 v34, v24, v26, vcc
	v_lshl_add_u64 v[34:35], v[34:35], 0, v[20:21]
	v_cmp_lt_u32_e32 vcc, v31, v16
	global_store_dwordx2 v[34:35], v[12:13], off
	v_lshlrev_b32_e32 v20, 3, v31
	v_cndmask_b32_e32 v35, v25, v27, vcc
	v_cndmask_b32_e32 v34, v24, v26, vcc
	v_lshl_add_u64 v[34:35], v[34:35], 0, v[20:21]
	v_cmp_lt_u32_e32 vcc, v30, v16
	s_waitcnt lgkmcnt(2)
	global_store_dwordx2 v[34:35], v[6:7], off
	v_lshlrev_b32_e32 v20, 3, v30
	v_cndmask_b32_e32 v35, v25, v27, vcc
	v_cndmask_b32_e32 v34, v24, v26, vcc
	v_lshl_add_u64 v[34:35], v[34:35], 0, v[20:21]
	v_cmp_lt_u32_e32 vcc, v29, v16
	global_store_dwordx2 v[34:35], v[8:9], off
	v_lshlrev_b32_e32 v20, 3, v29
	v_cndmask_b32_e32 v35, v25, v27, vcc
	v_cndmask_b32_e32 v34, v24, v26, vcc
	v_lshl_add_u64 v[34:35], v[34:35], 0, v[20:21]
	v_cmp_lt_u32_e32 vcc, v28, v16
	s_waitcnt lgkmcnt(1)
	global_store_dwordx2 v[34:35], v[2:3], off
	v_lshlrev_b32_e32 v20, 3, v28
	v_cndmask_b32_e32 v35, v25, v27, vcc
	v_cndmask_b32_e32 v34, v24, v26, vcc
	v_lshl_add_u64 v[20:21], v[34:35], 0, v[20:21]
	s_mov_b64 s[0:1], -1
	global_store_dwordx2 v[20:21], v[4:5], off
	s_cbranch_execz .LBB386_76
	s_branch .LBB386_84
.LBB386_75:
	s_mov_b64 s[0:1], 0
.LBB386_76:
	v_cmp_gt_u32_e32 vcc, s33, v0
	s_and_saveexec_b64 s[0:1], vcc
	s_cbranch_execnz .LBB386_89
; %bb.77:
	s_or_b64 exec, exec, s[0:1]
	v_cmp_gt_u32_e32 vcc, s33, v32
	s_and_saveexec_b64 s[0:1], vcc
	s_cbranch_execnz .LBB386_90
.LBB386_78:
	s_or_b64 exec, exec, s[0:1]
	v_cmp_gt_u32_e32 vcc, s33, v31
	s_and_saveexec_b64 s[0:1], vcc
	s_cbranch_execnz .LBB386_91
.LBB386_79:
	s_or_b64 exec, exec, s[0:1]
	v_cmp_gt_u32_e32 vcc, s33, v30
	s_and_saveexec_b64 s[0:1], vcc
	s_cbranch_execnz .LBB386_92
.LBB386_80:
	s_or_b64 exec, exec, s[0:1]
	v_cmp_gt_u32_e32 vcc, s33, v29
	s_and_saveexec_b64 s[0:1], vcc
	s_cbranch_execnz .LBB386_93
.LBB386_81:
	s_or_b64 exec, exec, s[0:1]
	v_cmp_gt_u32_e32 vcc, s33, v28
	s_and_saveexec_b64 s[0:1], vcc
	s_cbranch_execz .LBB386_83
.LBB386_82:
	v_cmp_lt_u32_e32 vcc, v28, v16
	s_waitcnt lgkmcnt(2)
	v_lshlrev_b32_e32 v6, 3, v28
	v_mov_b32_e32 v7, 0
	s_waitcnt lgkmcnt(1)
	v_cndmask_b32_e32 v3, v25, v27, vcc
	v_cndmask_b32_e32 v2, v24, v26, vcc
	v_lshl_add_u64 v[2:3], v[2:3], 0, v[6:7]
	global_store_dwordx2 v[2:3], v[4:5], off
.LBB386_83:
	s_or_b64 exec, exec, s[0:1]
	v_cmp_gt_u32_e64 s[0:1], s33, v1
.LBB386_84:
	s_and_saveexec_b64 s[2:3], s[0:1]
	s_cbranch_execz .LBB386_86
; %bb.85:
	v_cmp_lt_u32_e32 vcc, v1, v16
	s_waitcnt lgkmcnt(1)
	v_lshlrev_b32_e32 v4, 3, v1
	v_mov_b32_e32 v5, 0
	v_cndmask_b32_e32 v3, v25, v27, vcc
	v_cndmask_b32_e32 v2, v24, v26, vcc
	v_lshl_add_u64 v[2:3], v[2:3], 0, v[4:5]
	s_waitcnt lgkmcnt(0)
	global_store_dwordx2 v[2:3], v[22:23], off
.LBB386_86:
	s_or_b64 exec, exec, s[2:3]
	v_cmp_eq_u32_e32 vcc, 0, v0
	s_and_b64 s[0:1], vcc, s[22:23]
	s_and_saveexec_b64 s[2:3], s[0:1]
	s_cbranch_execz .LBB386_88
; %bb.87:
	v_mov_b32_e32 v0, 0
	global_store_dwordx2 v0, v[14:15], s[20:21]
.LBB386_88:
	s_endpgm
.LBB386_89:
	v_cmp_lt_u32_e32 vcc, v0, v16
	v_mov_b32_e32 v19, 0
	s_nop 0
	v_cndmask_b32_e32 v21, v25, v27, vcc
	v_cndmask_b32_e32 v20, v24, v26, vcc
	v_lshl_add_u64 v[18:19], v[20:21], 0, v[18:19]
	s_waitcnt lgkmcnt(3)
	global_store_dwordx2 v[18:19], v[10:11], off
	s_or_b64 exec, exec, s[0:1]
	v_cmp_gt_u32_e32 vcc, s33, v32
	s_and_saveexec_b64 s[0:1], vcc
	s_cbranch_execz .LBB386_78
.LBB386_90:
	v_cmp_lt_u32_e32 vcc, v32, v16
	v_lshlrev_b32_e32 v18, 3, v32
	v_mov_b32_e32 v19, 0
	s_waitcnt lgkmcnt(3)
	v_cndmask_b32_e32 v11, v25, v27, vcc
	v_cndmask_b32_e32 v10, v24, v26, vcc
	v_lshl_add_u64 v[10:11], v[10:11], 0, v[18:19]
	global_store_dwordx2 v[10:11], v[12:13], off
	s_or_b64 exec, exec, s[0:1]
	v_cmp_gt_u32_e32 vcc, s33, v31
	s_and_saveexec_b64 s[0:1], vcc
	s_cbranch_execz .LBB386_79
.LBB386_91:
	v_cmp_lt_u32_e32 vcc, v31, v16
	s_waitcnt lgkmcnt(3)
	v_lshlrev_b32_e32 v12, 3, v31
	v_mov_b32_e32 v13, 0
	v_cndmask_b32_e32 v11, v25, v27, vcc
	v_cndmask_b32_e32 v10, v24, v26, vcc
	v_lshl_add_u64 v[10:11], v[10:11], 0, v[12:13]
	s_waitcnt lgkmcnt(2)
	global_store_dwordx2 v[10:11], v[6:7], off
	s_or_b64 exec, exec, s[0:1]
	v_cmp_gt_u32_e32 vcc, s33, v30
	s_and_saveexec_b64 s[0:1], vcc
	s_cbranch_execz .LBB386_80
.LBB386_92:
	v_cmp_lt_u32_e32 vcc, v30, v16
	s_waitcnt lgkmcnt(3)
	v_lshlrev_b32_e32 v10, 3, v30
	v_mov_b32_e32 v11, 0
	s_waitcnt lgkmcnt(2)
	v_cndmask_b32_e32 v7, v25, v27, vcc
	v_cndmask_b32_e32 v6, v24, v26, vcc
	v_lshl_add_u64 v[6:7], v[6:7], 0, v[10:11]
	global_store_dwordx2 v[6:7], v[8:9], off
	s_or_b64 exec, exec, s[0:1]
	v_cmp_gt_u32_e32 vcc, s33, v29
	s_and_saveexec_b64 s[0:1], vcc
	s_cbranch_execz .LBB386_81
.LBB386_93:
	v_cmp_lt_u32_e32 vcc, v29, v16
	s_waitcnt lgkmcnt(2)
	v_lshlrev_b32_e32 v8, 3, v29
	v_mov_b32_e32 v9, 0
	v_cndmask_b32_e32 v7, v25, v27, vcc
	v_cndmask_b32_e32 v6, v24, v26, vcc
	v_lshl_add_u64 v[6:7], v[6:7], 0, v[8:9]
	s_waitcnt lgkmcnt(1)
	global_store_dwordx2 v[6:7], v[2:3], off
	s_or_b64 exec, exec, s[0:1]
	v_cmp_gt_u32_e32 vcc, s33, v28
	s_and_saveexec_b64 s[0:1], vcc
	s_cbranch_execnz .LBB386_82
	s_branch .LBB386_83
	.section	.rodata,"a",@progbits
	.p2align	6, 0x0
	.amdhsa_kernel _ZN7rocprim17ROCPRIM_400000_NS6detail17trampoline_kernelINS0_14default_configENS1_25partition_config_selectorILNS1_17partition_subalgoE1ExNS0_10empty_typeEbEEZZNS1_14partition_implILS5_1ELb0ES3_jN6thrust23THRUST_200600_302600_NS6detail15normal_iteratorINSA_10device_ptrIxEEEEPS6_NSA_18transform_iteratorI7is_evenIxESF_NSA_11use_defaultESK_EENS0_5tupleIJSF_SF_EEENSM_IJSG_SG_EEES6_PlJS6_EEE10hipError_tPvRmT3_T4_T5_T6_T7_T9_mT8_P12ihipStream_tbDpT10_ENKUlT_T0_E_clISt17integral_constantIbLb0EES19_EEDaS14_S15_EUlS14_E_NS1_11comp_targetILNS1_3genE5ELNS1_11target_archE942ELNS1_3gpuE9ELNS1_3repE0EEENS1_30default_config_static_selectorELNS0_4arch9wavefront6targetE1EEEvT1_
		.amdhsa_group_segment_fixed_size 28680
		.amdhsa_private_segment_fixed_size 0
		.amdhsa_kernarg_size 128
		.amdhsa_user_sgpr_count 2
		.amdhsa_user_sgpr_dispatch_ptr 0
		.amdhsa_user_sgpr_queue_ptr 0
		.amdhsa_user_sgpr_kernarg_segment_ptr 1
		.amdhsa_user_sgpr_dispatch_id 0
		.amdhsa_user_sgpr_kernarg_preload_length 0
		.amdhsa_user_sgpr_kernarg_preload_offset 0
		.amdhsa_user_sgpr_private_segment_size 0
		.amdhsa_uses_dynamic_stack 0
		.amdhsa_enable_private_segment 0
		.amdhsa_system_sgpr_workgroup_id_x 1
		.amdhsa_system_sgpr_workgroup_id_y 0
		.amdhsa_system_sgpr_workgroup_id_z 0
		.amdhsa_system_sgpr_workgroup_info 0
		.amdhsa_system_vgpr_workitem_id 0
		.amdhsa_next_free_vgpr 54
		.amdhsa_next_free_sgpr 44
		.amdhsa_accum_offset 56
		.amdhsa_reserve_vcc 1
		.amdhsa_float_round_mode_32 0
		.amdhsa_float_round_mode_16_64 0
		.amdhsa_float_denorm_mode_32 3
		.amdhsa_float_denorm_mode_16_64 3
		.amdhsa_dx10_clamp 1
		.amdhsa_ieee_mode 1
		.amdhsa_fp16_overflow 0
		.amdhsa_tg_split 0
		.amdhsa_exception_fp_ieee_invalid_op 0
		.amdhsa_exception_fp_denorm_src 0
		.amdhsa_exception_fp_ieee_div_zero 0
		.amdhsa_exception_fp_ieee_overflow 0
		.amdhsa_exception_fp_ieee_underflow 0
		.amdhsa_exception_fp_ieee_inexact 0
		.amdhsa_exception_int_div_zero 0
	.end_amdhsa_kernel
	.section	.text._ZN7rocprim17ROCPRIM_400000_NS6detail17trampoline_kernelINS0_14default_configENS1_25partition_config_selectorILNS1_17partition_subalgoE1ExNS0_10empty_typeEbEEZZNS1_14partition_implILS5_1ELb0ES3_jN6thrust23THRUST_200600_302600_NS6detail15normal_iteratorINSA_10device_ptrIxEEEEPS6_NSA_18transform_iteratorI7is_evenIxESF_NSA_11use_defaultESK_EENS0_5tupleIJSF_SF_EEENSM_IJSG_SG_EEES6_PlJS6_EEE10hipError_tPvRmT3_T4_T5_T6_T7_T9_mT8_P12ihipStream_tbDpT10_ENKUlT_T0_E_clISt17integral_constantIbLb0EES19_EEDaS14_S15_EUlS14_E_NS1_11comp_targetILNS1_3genE5ELNS1_11target_archE942ELNS1_3gpuE9ELNS1_3repE0EEENS1_30default_config_static_selectorELNS0_4arch9wavefront6targetE1EEEvT1_,"axG",@progbits,_ZN7rocprim17ROCPRIM_400000_NS6detail17trampoline_kernelINS0_14default_configENS1_25partition_config_selectorILNS1_17partition_subalgoE1ExNS0_10empty_typeEbEEZZNS1_14partition_implILS5_1ELb0ES3_jN6thrust23THRUST_200600_302600_NS6detail15normal_iteratorINSA_10device_ptrIxEEEEPS6_NSA_18transform_iteratorI7is_evenIxESF_NSA_11use_defaultESK_EENS0_5tupleIJSF_SF_EEENSM_IJSG_SG_EEES6_PlJS6_EEE10hipError_tPvRmT3_T4_T5_T6_T7_T9_mT8_P12ihipStream_tbDpT10_ENKUlT_T0_E_clISt17integral_constantIbLb0EES19_EEDaS14_S15_EUlS14_E_NS1_11comp_targetILNS1_3genE5ELNS1_11target_archE942ELNS1_3gpuE9ELNS1_3repE0EEENS1_30default_config_static_selectorELNS0_4arch9wavefront6targetE1EEEvT1_,comdat
.Lfunc_end386:
	.size	_ZN7rocprim17ROCPRIM_400000_NS6detail17trampoline_kernelINS0_14default_configENS1_25partition_config_selectorILNS1_17partition_subalgoE1ExNS0_10empty_typeEbEEZZNS1_14partition_implILS5_1ELb0ES3_jN6thrust23THRUST_200600_302600_NS6detail15normal_iteratorINSA_10device_ptrIxEEEEPS6_NSA_18transform_iteratorI7is_evenIxESF_NSA_11use_defaultESK_EENS0_5tupleIJSF_SF_EEENSM_IJSG_SG_EEES6_PlJS6_EEE10hipError_tPvRmT3_T4_T5_T6_T7_T9_mT8_P12ihipStream_tbDpT10_ENKUlT_T0_E_clISt17integral_constantIbLb0EES19_EEDaS14_S15_EUlS14_E_NS1_11comp_targetILNS1_3genE5ELNS1_11target_archE942ELNS1_3gpuE9ELNS1_3repE0EEENS1_30default_config_static_selectorELNS0_4arch9wavefront6targetE1EEEvT1_, .Lfunc_end386-_ZN7rocprim17ROCPRIM_400000_NS6detail17trampoline_kernelINS0_14default_configENS1_25partition_config_selectorILNS1_17partition_subalgoE1ExNS0_10empty_typeEbEEZZNS1_14partition_implILS5_1ELb0ES3_jN6thrust23THRUST_200600_302600_NS6detail15normal_iteratorINSA_10device_ptrIxEEEEPS6_NSA_18transform_iteratorI7is_evenIxESF_NSA_11use_defaultESK_EENS0_5tupleIJSF_SF_EEENSM_IJSG_SG_EEES6_PlJS6_EEE10hipError_tPvRmT3_T4_T5_T6_T7_T9_mT8_P12ihipStream_tbDpT10_ENKUlT_T0_E_clISt17integral_constantIbLb0EES19_EEDaS14_S15_EUlS14_E_NS1_11comp_targetILNS1_3genE5ELNS1_11target_archE942ELNS1_3gpuE9ELNS1_3repE0EEENS1_30default_config_static_selectorELNS0_4arch9wavefront6targetE1EEEvT1_
                                        ; -- End function
	.section	.AMDGPU.csdata,"",@progbits
; Kernel info:
; codeLenInByte = 4960
; NumSgprs: 50
; NumVgprs: 54
; NumAgprs: 0
; TotalNumVgprs: 54
; ScratchSize: 0
; MemoryBound: 0
; FloatMode: 240
; IeeeMode: 1
; LDSByteSize: 28680 bytes/workgroup (compile time only)
; SGPRBlocks: 6
; VGPRBlocks: 6
; NumSGPRsForWavesPerEU: 50
; NumVGPRsForWavesPerEU: 54
; AccumOffset: 56
; Occupancy: 4
; WaveLimiterHint : 1
; COMPUTE_PGM_RSRC2:SCRATCH_EN: 0
; COMPUTE_PGM_RSRC2:USER_SGPR: 2
; COMPUTE_PGM_RSRC2:TRAP_HANDLER: 0
; COMPUTE_PGM_RSRC2:TGID_X_EN: 1
; COMPUTE_PGM_RSRC2:TGID_Y_EN: 0
; COMPUTE_PGM_RSRC2:TGID_Z_EN: 0
; COMPUTE_PGM_RSRC2:TIDIG_COMP_CNT: 0
; COMPUTE_PGM_RSRC3_GFX90A:ACCUM_OFFSET: 13
; COMPUTE_PGM_RSRC3_GFX90A:TG_SPLIT: 0
	.section	.text._ZN7rocprim17ROCPRIM_400000_NS6detail17trampoline_kernelINS0_14default_configENS1_25partition_config_selectorILNS1_17partition_subalgoE1ExNS0_10empty_typeEbEEZZNS1_14partition_implILS5_1ELb0ES3_jN6thrust23THRUST_200600_302600_NS6detail15normal_iteratorINSA_10device_ptrIxEEEEPS6_NSA_18transform_iteratorI7is_evenIxESF_NSA_11use_defaultESK_EENS0_5tupleIJSF_SF_EEENSM_IJSG_SG_EEES6_PlJS6_EEE10hipError_tPvRmT3_T4_T5_T6_T7_T9_mT8_P12ihipStream_tbDpT10_ENKUlT_T0_E_clISt17integral_constantIbLb0EES19_EEDaS14_S15_EUlS14_E_NS1_11comp_targetILNS1_3genE4ELNS1_11target_archE910ELNS1_3gpuE8ELNS1_3repE0EEENS1_30default_config_static_selectorELNS0_4arch9wavefront6targetE1EEEvT1_,"axG",@progbits,_ZN7rocprim17ROCPRIM_400000_NS6detail17trampoline_kernelINS0_14default_configENS1_25partition_config_selectorILNS1_17partition_subalgoE1ExNS0_10empty_typeEbEEZZNS1_14partition_implILS5_1ELb0ES3_jN6thrust23THRUST_200600_302600_NS6detail15normal_iteratorINSA_10device_ptrIxEEEEPS6_NSA_18transform_iteratorI7is_evenIxESF_NSA_11use_defaultESK_EENS0_5tupleIJSF_SF_EEENSM_IJSG_SG_EEES6_PlJS6_EEE10hipError_tPvRmT3_T4_T5_T6_T7_T9_mT8_P12ihipStream_tbDpT10_ENKUlT_T0_E_clISt17integral_constantIbLb0EES19_EEDaS14_S15_EUlS14_E_NS1_11comp_targetILNS1_3genE4ELNS1_11target_archE910ELNS1_3gpuE8ELNS1_3repE0EEENS1_30default_config_static_selectorELNS0_4arch9wavefront6targetE1EEEvT1_,comdat
	.protected	_ZN7rocprim17ROCPRIM_400000_NS6detail17trampoline_kernelINS0_14default_configENS1_25partition_config_selectorILNS1_17partition_subalgoE1ExNS0_10empty_typeEbEEZZNS1_14partition_implILS5_1ELb0ES3_jN6thrust23THRUST_200600_302600_NS6detail15normal_iteratorINSA_10device_ptrIxEEEEPS6_NSA_18transform_iteratorI7is_evenIxESF_NSA_11use_defaultESK_EENS0_5tupleIJSF_SF_EEENSM_IJSG_SG_EEES6_PlJS6_EEE10hipError_tPvRmT3_T4_T5_T6_T7_T9_mT8_P12ihipStream_tbDpT10_ENKUlT_T0_E_clISt17integral_constantIbLb0EES19_EEDaS14_S15_EUlS14_E_NS1_11comp_targetILNS1_3genE4ELNS1_11target_archE910ELNS1_3gpuE8ELNS1_3repE0EEENS1_30default_config_static_selectorELNS0_4arch9wavefront6targetE1EEEvT1_ ; -- Begin function _ZN7rocprim17ROCPRIM_400000_NS6detail17trampoline_kernelINS0_14default_configENS1_25partition_config_selectorILNS1_17partition_subalgoE1ExNS0_10empty_typeEbEEZZNS1_14partition_implILS5_1ELb0ES3_jN6thrust23THRUST_200600_302600_NS6detail15normal_iteratorINSA_10device_ptrIxEEEEPS6_NSA_18transform_iteratorI7is_evenIxESF_NSA_11use_defaultESK_EENS0_5tupleIJSF_SF_EEENSM_IJSG_SG_EEES6_PlJS6_EEE10hipError_tPvRmT3_T4_T5_T6_T7_T9_mT8_P12ihipStream_tbDpT10_ENKUlT_T0_E_clISt17integral_constantIbLb0EES19_EEDaS14_S15_EUlS14_E_NS1_11comp_targetILNS1_3genE4ELNS1_11target_archE910ELNS1_3gpuE8ELNS1_3repE0EEENS1_30default_config_static_selectorELNS0_4arch9wavefront6targetE1EEEvT1_
	.globl	_ZN7rocprim17ROCPRIM_400000_NS6detail17trampoline_kernelINS0_14default_configENS1_25partition_config_selectorILNS1_17partition_subalgoE1ExNS0_10empty_typeEbEEZZNS1_14partition_implILS5_1ELb0ES3_jN6thrust23THRUST_200600_302600_NS6detail15normal_iteratorINSA_10device_ptrIxEEEEPS6_NSA_18transform_iteratorI7is_evenIxESF_NSA_11use_defaultESK_EENS0_5tupleIJSF_SF_EEENSM_IJSG_SG_EEES6_PlJS6_EEE10hipError_tPvRmT3_T4_T5_T6_T7_T9_mT8_P12ihipStream_tbDpT10_ENKUlT_T0_E_clISt17integral_constantIbLb0EES19_EEDaS14_S15_EUlS14_E_NS1_11comp_targetILNS1_3genE4ELNS1_11target_archE910ELNS1_3gpuE8ELNS1_3repE0EEENS1_30default_config_static_selectorELNS0_4arch9wavefront6targetE1EEEvT1_
	.p2align	8
	.type	_ZN7rocprim17ROCPRIM_400000_NS6detail17trampoline_kernelINS0_14default_configENS1_25partition_config_selectorILNS1_17partition_subalgoE1ExNS0_10empty_typeEbEEZZNS1_14partition_implILS5_1ELb0ES3_jN6thrust23THRUST_200600_302600_NS6detail15normal_iteratorINSA_10device_ptrIxEEEEPS6_NSA_18transform_iteratorI7is_evenIxESF_NSA_11use_defaultESK_EENS0_5tupleIJSF_SF_EEENSM_IJSG_SG_EEES6_PlJS6_EEE10hipError_tPvRmT3_T4_T5_T6_T7_T9_mT8_P12ihipStream_tbDpT10_ENKUlT_T0_E_clISt17integral_constantIbLb0EES19_EEDaS14_S15_EUlS14_E_NS1_11comp_targetILNS1_3genE4ELNS1_11target_archE910ELNS1_3gpuE8ELNS1_3repE0EEENS1_30default_config_static_selectorELNS0_4arch9wavefront6targetE1EEEvT1_,@function
_ZN7rocprim17ROCPRIM_400000_NS6detail17trampoline_kernelINS0_14default_configENS1_25partition_config_selectorILNS1_17partition_subalgoE1ExNS0_10empty_typeEbEEZZNS1_14partition_implILS5_1ELb0ES3_jN6thrust23THRUST_200600_302600_NS6detail15normal_iteratorINSA_10device_ptrIxEEEEPS6_NSA_18transform_iteratorI7is_evenIxESF_NSA_11use_defaultESK_EENS0_5tupleIJSF_SF_EEENSM_IJSG_SG_EEES6_PlJS6_EEE10hipError_tPvRmT3_T4_T5_T6_T7_T9_mT8_P12ihipStream_tbDpT10_ENKUlT_T0_E_clISt17integral_constantIbLb0EES19_EEDaS14_S15_EUlS14_E_NS1_11comp_targetILNS1_3genE4ELNS1_11target_archE910ELNS1_3gpuE8ELNS1_3repE0EEENS1_30default_config_static_selectorELNS0_4arch9wavefront6targetE1EEEvT1_: ; @_ZN7rocprim17ROCPRIM_400000_NS6detail17trampoline_kernelINS0_14default_configENS1_25partition_config_selectorILNS1_17partition_subalgoE1ExNS0_10empty_typeEbEEZZNS1_14partition_implILS5_1ELb0ES3_jN6thrust23THRUST_200600_302600_NS6detail15normal_iteratorINSA_10device_ptrIxEEEEPS6_NSA_18transform_iteratorI7is_evenIxESF_NSA_11use_defaultESK_EENS0_5tupleIJSF_SF_EEENSM_IJSG_SG_EEES6_PlJS6_EEE10hipError_tPvRmT3_T4_T5_T6_T7_T9_mT8_P12ihipStream_tbDpT10_ENKUlT_T0_E_clISt17integral_constantIbLb0EES19_EEDaS14_S15_EUlS14_E_NS1_11comp_targetILNS1_3genE4ELNS1_11target_archE910ELNS1_3gpuE8ELNS1_3repE0EEENS1_30default_config_static_selectorELNS0_4arch9wavefront6targetE1EEEvT1_
; %bb.0:
	.section	.rodata,"a",@progbits
	.p2align	6, 0x0
	.amdhsa_kernel _ZN7rocprim17ROCPRIM_400000_NS6detail17trampoline_kernelINS0_14default_configENS1_25partition_config_selectorILNS1_17partition_subalgoE1ExNS0_10empty_typeEbEEZZNS1_14partition_implILS5_1ELb0ES3_jN6thrust23THRUST_200600_302600_NS6detail15normal_iteratorINSA_10device_ptrIxEEEEPS6_NSA_18transform_iteratorI7is_evenIxESF_NSA_11use_defaultESK_EENS0_5tupleIJSF_SF_EEENSM_IJSG_SG_EEES6_PlJS6_EEE10hipError_tPvRmT3_T4_T5_T6_T7_T9_mT8_P12ihipStream_tbDpT10_ENKUlT_T0_E_clISt17integral_constantIbLb0EES19_EEDaS14_S15_EUlS14_E_NS1_11comp_targetILNS1_3genE4ELNS1_11target_archE910ELNS1_3gpuE8ELNS1_3repE0EEENS1_30default_config_static_selectorELNS0_4arch9wavefront6targetE1EEEvT1_
		.amdhsa_group_segment_fixed_size 0
		.amdhsa_private_segment_fixed_size 0
		.amdhsa_kernarg_size 128
		.amdhsa_user_sgpr_count 2
		.amdhsa_user_sgpr_dispatch_ptr 0
		.amdhsa_user_sgpr_queue_ptr 0
		.amdhsa_user_sgpr_kernarg_segment_ptr 1
		.amdhsa_user_sgpr_dispatch_id 0
		.amdhsa_user_sgpr_kernarg_preload_length 0
		.amdhsa_user_sgpr_kernarg_preload_offset 0
		.amdhsa_user_sgpr_private_segment_size 0
		.amdhsa_uses_dynamic_stack 0
		.amdhsa_enable_private_segment 0
		.amdhsa_system_sgpr_workgroup_id_x 1
		.amdhsa_system_sgpr_workgroup_id_y 0
		.amdhsa_system_sgpr_workgroup_id_z 0
		.amdhsa_system_sgpr_workgroup_info 0
		.amdhsa_system_vgpr_workitem_id 0
		.amdhsa_next_free_vgpr 1
		.amdhsa_next_free_sgpr 0
		.amdhsa_accum_offset 4
		.amdhsa_reserve_vcc 0
		.amdhsa_float_round_mode_32 0
		.amdhsa_float_round_mode_16_64 0
		.amdhsa_float_denorm_mode_32 3
		.amdhsa_float_denorm_mode_16_64 3
		.amdhsa_dx10_clamp 1
		.amdhsa_ieee_mode 1
		.amdhsa_fp16_overflow 0
		.amdhsa_tg_split 0
		.amdhsa_exception_fp_ieee_invalid_op 0
		.amdhsa_exception_fp_denorm_src 0
		.amdhsa_exception_fp_ieee_div_zero 0
		.amdhsa_exception_fp_ieee_overflow 0
		.amdhsa_exception_fp_ieee_underflow 0
		.amdhsa_exception_fp_ieee_inexact 0
		.amdhsa_exception_int_div_zero 0
	.end_amdhsa_kernel
	.section	.text._ZN7rocprim17ROCPRIM_400000_NS6detail17trampoline_kernelINS0_14default_configENS1_25partition_config_selectorILNS1_17partition_subalgoE1ExNS0_10empty_typeEbEEZZNS1_14partition_implILS5_1ELb0ES3_jN6thrust23THRUST_200600_302600_NS6detail15normal_iteratorINSA_10device_ptrIxEEEEPS6_NSA_18transform_iteratorI7is_evenIxESF_NSA_11use_defaultESK_EENS0_5tupleIJSF_SF_EEENSM_IJSG_SG_EEES6_PlJS6_EEE10hipError_tPvRmT3_T4_T5_T6_T7_T9_mT8_P12ihipStream_tbDpT10_ENKUlT_T0_E_clISt17integral_constantIbLb0EES19_EEDaS14_S15_EUlS14_E_NS1_11comp_targetILNS1_3genE4ELNS1_11target_archE910ELNS1_3gpuE8ELNS1_3repE0EEENS1_30default_config_static_selectorELNS0_4arch9wavefront6targetE1EEEvT1_,"axG",@progbits,_ZN7rocprim17ROCPRIM_400000_NS6detail17trampoline_kernelINS0_14default_configENS1_25partition_config_selectorILNS1_17partition_subalgoE1ExNS0_10empty_typeEbEEZZNS1_14partition_implILS5_1ELb0ES3_jN6thrust23THRUST_200600_302600_NS6detail15normal_iteratorINSA_10device_ptrIxEEEEPS6_NSA_18transform_iteratorI7is_evenIxESF_NSA_11use_defaultESK_EENS0_5tupleIJSF_SF_EEENSM_IJSG_SG_EEES6_PlJS6_EEE10hipError_tPvRmT3_T4_T5_T6_T7_T9_mT8_P12ihipStream_tbDpT10_ENKUlT_T0_E_clISt17integral_constantIbLb0EES19_EEDaS14_S15_EUlS14_E_NS1_11comp_targetILNS1_3genE4ELNS1_11target_archE910ELNS1_3gpuE8ELNS1_3repE0EEENS1_30default_config_static_selectorELNS0_4arch9wavefront6targetE1EEEvT1_,comdat
.Lfunc_end387:
	.size	_ZN7rocprim17ROCPRIM_400000_NS6detail17trampoline_kernelINS0_14default_configENS1_25partition_config_selectorILNS1_17partition_subalgoE1ExNS0_10empty_typeEbEEZZNS1_14partition_implILS5_1ELb0ES3_jN6thrust23THRUST_200600_302600_NS6detail15normal_iteratorINSA_10device_ptrIxEEEEPS6_NSA_18transform_iteratorI7is_evenIxESF_NSA_11use_defaultESK_EENS0_5tupleIJSF_SF_EEENSM_IJSG_SG_EEES6_PlJS6_EEE10hipError_tPvRmT3_T4_T5_T6_T7_T9_mT8_P12ihipStream_tbDpT10_ENKUlT_T0_E_clISt17integral_constantIbLb0EES19_EEDaS14_S15_EUlS14_E_NS1_11comp_targetILNS1_3genE4ELNS1_11target_archE910ELNS1_3gpuE8ELNS1_3repE0EEENS1_30default_config_static_selectorELNS0_4arch9wavefront6targetE1EEEvT1_, .Lfunc_end387-_ZN7rocprim17ROCPRIM_400000_NS6detail17trampoline_kernelINS0_14default_configENS1_25partition_config_selectorILNS1_17partition_subalgoE1ExNS0_10empty_typeEbEEZZNS1_14partition_implILS5_1ELb0ES3_jN6thrust23THRUST_200600_302600_NS6detail15normal_iteratorINSA_10device_ptrIxEEEEPS6_NSA_18transform_iteratorI7is_evenIxESF_NSA_11use_defaultESK_EENS0_5tupleIJSF_SF_EEENSM_IJSG_SG_EEES6_PlJS6_EEE10hipError_tPvRmT3_T4_T5_T6_T7_T9_mT8_P12ihipStream_tbDpT10_ENKUlT_T0_E_clISt17integral_constantIbLb0EES19_EEDaS14_S15_EUlS14_E_NS1_11comp_targetILNS1_3genE4ELNS1_11target_archE910ELNS1_3gpuE8ELNS1_3repE0EEENS1_30default_config_static_selectorELNS0_4arch9wavefront6targetE1EEEvT1_
                                        ; -- End function
	.section	.AMDGPU.csdata,"",@progbits
; Kernel info:
; codeLenInByte = 0
; NumSgprs: 6
; NumVgprs: 0
; NumAgprs: 0
; TotalNumVgprs: 0
; ScratchSize: 0
; MemoryBound: 0
; FloatMode: 240
; IeeeMode: 1
; LDSByteSize: 0 bytes/workgroup (compile time only)
; SGPRBlocks: 0
; VGPRBlocks: 0
; NumSGPRsForWavesPerEU: 6
; NumVGPRsForWavesPerEU: 1
; AccumOffset: 4
; Occupancy: 8
; WaveLimiterHint : 0
; COMPUTE_PGM_RSRC2:SCRATCH_EN: 0
; COMPUTE_PGM_RSRC2:USER_SGPR: 2
; COMPUTE_PGM_RSRC2:TRAP_HANDLER: 0
; COMPUTE_PGM_RSRC2:TGID_X_EN: 1
; COMPUTE_PGM_RSRC2:TGID_Y_EN: 0
; COMPUTE_PGM_RSRC2:TGID_Z_EN: 0
; COMPUTE_PGM_RSRC2:TIDIG_COMP_CNT: 0
; COMPUTE_PGM_RSRC3_GFX90A:ACCUM_OFFSET: 0
; COMPUTE_PGM_RSRC3_GFX90A:TG_SPLIT: 0
	.section	.text._ZN7rocprim17ROCPRIM_400000_NS6detail17trampoline_kernelINS0_14default_configENS1_25partition_config_selectorILNS1_17partition_subalgoE1ExNS0_10empty_typeEbEEZZNS1_14partition_implILS5_1ELb0ES3_jN6thrust23THRUST_200600_302600_NS6detail15normal_iteratorINSA_10device_ptrIxEEEEPS6_NSA_18transform_iteratorI7is_evenIxESF_NSA_11use_defaultESK_EENS0_5tupleIJSF_SF_EEENSM_IJSG_SG_EEES6_PlJS6_EEE10hipError_tPvRmT3_T4_T5_T6_T7_T9_mT8_P12ihipStream_tbDpT10_ENKUlT_T0_E_clISt17integral_constantIbLb0EES19_EEDaS14_S15_EUlS14_E_NS1_11comp_targetILNS1_3genE3ELNS1_11target_archE908ELNS1_3gpuE7ELNS1_3repE0EEENS1_30default_config_static_selectorELNS0_4arch9wavefront6targetE1EEEvT1_,"axG",@progbits,_ZN7rocprim17ROCPRIM_400000_NS6detail17trampoline_kernelINS0_14default_configENS1_25partition_config_selectorILNS1_17partition_subalgoE1ExNS0_10empty_typeEbEEZZNS1_14partition_implILS5_1ELb0ES3_jN6thrust23THRUST_200600_302600_NS6detail15normal_iteratorINSA_10device_ptrIxEEEEPS6_NSA_18transform_iteratorI7is_evenIxESF_NSA_11use_defaultESK_EENS0_5tupleIJSF_SF_EEENSM_IJSG_SG_EEES6_PlJS6_EEE10hipError_tPvRmT3_T4_T5_T6_T7_T9_mT8_P12ihipStream_tbDpT10_ENKUlT_T0_E_clISt17integral_constantIbLb0EES19_EEDaS14_S15_EUlS14_E_NS1_11comp_targetILNS1_3genE3ELNS1_11target_archE908ELNS1_3gpuE7ELNS1_3repE0EEENS1_30default_config_static_selectorELNS0_4arch9wavefront6targetE1EEEvT1_,comdat
	.protected	_ZN7rocprim17ROCPRIM_400000_NS6detail17trampoline_kernelINS0_14default_configENS1_25partition_config_selectorILNS1_17partition_subalgoE1ExNS0_10empty_typeEbEEZZNS1_14partition_implILS5_1ELb0ES3_jN6thrust23THRUST_200600_302600_NS6detail15normal_iteratorINSA_10device_ptrIxEEEEPS6_NSA_18transform_iteratorI7is_evenIxESF_NSA_11use_defaultESK_EENS0_5tupleIJSF_SF_EEENSM_IJSG_SG_EEES6_PlJS6_EEE10hipError_tPvRmT3_T4_T5_T6_T7_T9_mT8_P12ihipStream_tbDpT10_ENKUlT_T0_E_clISt17integral_constantIbLb0EES19_EEDaS14_S15_EUlS14_E_NS1_11comp_targetILNS1_3genE3ELNS1_11target_archE908ELNS1_3gpuE7ELNS1_3repE0EEENS1_30default_config_static_selectorELNS0_4arch9wavefront6targetE1EEEvT1_ ; -- Begin function _ZN7rocprim17ROCPRIM_400000_NS6detail17trampoline_kernelINS0_14default_configENS1_25partition_config_selectorILNS1_17partition_subalgoE1ExNS0_10empty_typeEbEEZZNS1_14partition_implILS5_1ELb0ES3_jN6thrust23THRUST_200600_302600_NS6detail15normal_iteratorINSA_10device_ptrIxEEEEPS6_NSA_18transform_iteratorI7is_evenIxESF_NSA_11use_defaultESK_EENS0_5tupleIJSF_SF_EEENSM_IJSG_SG_EEES6_PlJS6_EEE10hipError_tPvRmT3_T4_T5_T6_T7_T9_mT8_P12ihipStream_tbDpT10_ENKUlT_T0_E_clISt17integral_constantIbLb0EES19_EEDaS14_S15_EUlS14_E_NS1_11comp_targetILNS1_3genE3ELNS1_11target_archE908ELNS1_3gpuE7ELNS1_3repE0EEENS1_30default_config_static_selectorELNS0_4arch9wavefront6targetE1EEEvT1_
	.globl	_ZN7rocprim17ROCPRIM_400000_NS6detail17trampoline_kernelINS0_14default_configENS1_25partition_config_selectorILNS1_17partition_subalgoE1ExNS0_10empty_typeEbEEZZNS1_14partition_implILS5_1ELb0ES3_jN6thrust23THRUST_200600_302600_NS6detail15normal_iteratorINSA_10device_ptrIxEEEEPS6_NSA_18transform_iteratorI7is_evenIxESF_NSA_11use_defaultESK_EENS0_5tupleIJSF_SF_EEENSM_IJSG_SG_EEES6_PlJS6_EEE10hipError_tPvRmT3_T4_T5_T6_T7_T9_mT8_P12ihipStream_tbDpT10_ENKUlT_T0_E_clISt17integral_constantIbLb0EES19_EEDaS14_S15_EUlS14_E_NS1_11comp_targetILNS1_3genE3ELNS1_11target_archE908ELNS1_3gpuE7ELNS1_3repE0EEENS1_30default_config_static_selectorELNS0_4arch9wavefront6targetE1EEEvT1_
	.p2align	8
	.type	_ZN7rocprim17ROCPRIM_400000_NS6detail17trampoline_kernelINS0_14default_configENS1_25partition_config_selectorILNS1_17partition_subalgoE1ExNS0_10empty_typeEbEEZZNS1_14partition_implILS5_1ELb0ES3_jN6thrust23THRUST_200600_302600_NS6detail15normal_iteratorINSA_10device_ptrIxEEEEPS6_NSA_18transform_iteratorI7is_evenIxESF_NSA_11use_defaultESK_EENS0_5tupleIJSF_SF_EEENSM_IJSG_SG_EEES6_PlJS6_EEE10hipError_tPvRmT3_T4_T5_T6_T7_T9_mT8_P12ihipStream_tbDpT10_ENKUlT_T0_E_clISt17integral_constantIbLb0EES19_EEDaS14_S15_EUlS14_E_NS1_11comp_targetILNS1_3genE3ELNS1_11target_archE908ELNS1_3gpuE7ELNS1_3repE0EEENS1_30default_config_static_selectorELNS0_4arch9wavefront6targetE1EEEvT1_,@function
_ZN7rocprim17ROCPRIM_400000_NS6detail17trampoline_kernelINS0_14default_configENS1_25partition_config_selectorILNS1_17partition_subalgoE1ExNS0_10empty_typeEbEEZZNS1_14partition_implILS5_1ELb0ES3_jN6thrust23THRUST_200600_302600_NS6detail15normal_iteratorINSA_10device_ptrIxEEEEPS6_NSA_18transform_iteratorI7is_evenIxESF_NSA_11use_defaultESK_EENS0_5tupleIJSF_SF_EEENSM_IJSG_SG_EEES6_PlJS6_EEE10hipError_tPvRmT3_T4_T5_T6_T7_T9_mT8_P12ihipStream_tbDpT10_ENKUlT_T0_E_clISt17integral_constantIbLb0EES19_EEDaS14_S15_EUlS14_E_NS1_11comp_targetILNS1_3genE3ELNS1_11target_archE908ELNS1_3gpuE7ELNS1_3repE0EEENS1_30default_config_static_selectorELNS0_4arch9wavefront6targetE1EEEvT1_: ; @_ZN7rocprim17ROCPRIM_400000_NS6detail17trampoline_kernelINS0_14default_configENS1_25partition_config_selectorILNS1_17partition_subalgoE1ExNS0_10empty_typeEbEEZZNS1_14partition_implILS5_1ELb0ES3_jN6thrust23THRUST_200600_302600_NS6detail15normal_iteratorINSA_10device_ptrIxEEEEPS6_NSA_18transform_iteratorI7is_evenIxESF_NSA_11use_defaultESK_EENS0_5tupleIJSF_SF_EEENSM_IJSG_SG_EEES6_PlJS6_EEE10hipError_tPvRmT3_T4_T5_T6_T7_T9_mT8_P12ihipStream_tbDpT10_ENKUlT_T0_E_clISt17integral_constantIbLb0EES19_EEDaS14_S15_EUlS14_E_NS1_11comp_targetILNS1_3genE3ELNS1_11target_archE908ELNS1_3gpuE7ELNS1_3repE0EEENS1_30default_config_static_selectorELNS0_4arch9wavefront6targetE1EEEvT1_
; %bb.0:
	.section	.rodata,"a",@progbits
	.p2align	6, 0x0
	.amdhsa_kernel _ZN7rocprim17ROCPRIM_400000_NS6detail17trampoline_kernelINS0_14default_configENS1_25partition_config_selectorILNS1_17partition_subalgoE1ExNS0_10empty_typeEbEEZZNS1_14partition_implILS5_1ELb0ES3_jN6thrust23THRUST_200600_302600_NS6detail15normal_iteratorINSA_10device_ptrIxEEEEPS6_NSA_18transform_iteratorI7is_evenIxESF_NSA_11use_defaultESK_EENS0_5tupleIJSF_SF_EEENSM_IJSG_SG_EEES6_PlJS6_EEE10hipError_tPvRmT3_T4_T5_T6_T7_T9_mT8_P12ihipStream_tbDpT10_ENKUlT_T0_E_clISt17integral_constantIbLb0EES19_EEDaS14_S15_EUlS14_E_NS1_11comp_targetILNS1_3genE3ELNS1_11target_archE908ELNS1_3gpuE7ELNS1_3repE0EEENS1_30default_config_static_selectorELNS0_4arch9wavefront6targetE1EEEvT1_
		.amdhsa_group_segment_fixed_size 0
		.amdhsa_private_segment_fixed_size 0
		.amdhsa_kernarg_size 128
		.amdhsa_user_sgpr_count 2
		.amdhsa_user_sgpr_dispatch_ptr 0
		.amdhsa_user_sgpr_queue_ptr 0
		.amdhsa_user_sgpr_kernarg_segment_ptr 1
		.amdhsa_user_sgpr_dispatch_id 0
		.amdhsa_user_sgpr_kernarg_preload_length 0
		.amdhsa_user_sgpr_kernarg_preload_offset 0
		.amdhsa_user_sgpr_private_segment_size 0
		.amdhsa_uses_dynamic_stack 0
		.amdhsa_enable_private_segment 0
		.amdhsa_system_sgpr_workgroup_id_x 1
		.amdhsa_system_sgpr_workgroup_id_y 0
		.amdhsa_system_sgpr_workgroup_id_z 0
		.amdhsa_system_sgpr_workgroup_info 0
		.amdhsa_system_vgpr_workitem_id 0
		.amdhsa_next_free_vgpr 1
		.amdhsa_next_free_sgpr 0
		.amdhsa_accum_offset 4
		.amdhsa_reserve_vcc 0
		.amdhsa_float_round_mode_32 0
		.amdhsa_float_round_mode_16_64 0
		.amdhsa_float_denorm_mode_32 3
		.amdhsa_float_denorm_mode_16_64 3
		.amdhsa_dx10_clamp 1
		.amdhsa_ieee_mode 1
		.amdhsa_fp16_overflow 0
		.amdhsa_tg_split 0
		.amdhsa_exception_fp_ieee_invalid_op 0
		.amdhsa_exception_fp_denorm_src 0
		.amdhsa_exception_fp_ieee_div_zero 0
		.amdhsa_exception_fp_ieee_overflow 0
		.amdhsa_exception_fp_ieee_underflow 0
		.amdhsa_exception_fp_ieee_inexact 0
		.amdhsa_exception_int_div_zero 0
	.end_amdhsa_kernel
	.section	.text._ZN7rocprim17ROCPRIM_400000_NS6detail17trampoline_kernelINS0_14default_configENS1_25partition_config_selectorILNS1_17partition_subalgoE1ExNS0_10empty_typeEbEEZZNS1_14partition_implILS5_1ELb0ES3_jN6thrust23THRUST_200600_302600_NS6detail15normal_iteratorINSA_10device_ptrIxEEEEPS6_NSA_18transform_iteratorI7is_evenIxESF_NSA_11use_defaultESK_EENS0_5tupleIJSF_SF_EEENSM_IJSG_SG_EEES6_PlJS6_EEE10hipError_tPvRmT3_T4_T5_T6_T7_T9_mT8_P12ihipStream_tbDpT10_ENKUlT_T0_E_clISt17integral_constantIbLb0EES19_EEDaS14_S15_EUlS14_E_NS1_11comp_targetILNS1_3genE3ELNS1_11target_archE908ELNS1_3gpuE7ELNS1_3repE0EEENS1_30default_config_static_selectorELNS0_4arch9wavefront6targetE1EEEvT1_,"axG",@progbits,_ZN7rocprim17ROCPRIM_400000_NS6detail17trampoline_kernelINS0_14default_configENS1_25partition_config_selectorILNS1_17partition_subalgoE1ExNS0_10empty_typeEbEEZZNS1_14partition_implILS5_1ELb0ES3_jN6thrust23THRUST_200600_302600_NS6detail15normal_iteratorINSA_10device_ptrIxEEEEPS6_NSA_18transform_iteratorI7is_evenIxESF_NSA_11use_defaultESK_EENS0_5tupleIJSF_SF_EEENSM_IJSG_SG_EEES6_PlJS6_EEE10hipError_tPvRmT3_T4_T5_T6_T7_T9_mT8_P12ihipStream_tbDpT10_ENKUlT_T0_E_clISt17integral_constantIbLb0EES19_EEDaS14_S15_EUlS14_E_NS1_11comp_targetILNS1_3genE3ELNS1_11target_archE908ELNS1_3gpuE7ELNS1_3repE0EEENS1_30default_config_static_selectorELNS0_4arch9wavefront6targetE1EEEvT1_,comdat
.Lfunc_end388:
	.size	_ZN7rocprim17ROCPRIM_400000_NS6detail17trampoline_kernelINS0_14default_configENS1_25partition_config_selectorILNS1_17partition_subalgoE1ExNS0_10empty_typeEbEEZZNS1_14partition_implILS5_1ELb0ES3_jN6thrust23THRUST_200600_302600_NS6detail15normal_iteratorINSA_10device_ptrIxEEEEPS6_NSA_18transform_iteratorI7is_evenIxESF_NSA_11use_defaultESK_EENS0_5tupleIJSF_SF_EEENSM_IJSG_SG_EEES6_PlJS6_EEE10hipError_tPvRmT3_T4_T5_T6_T7_T9_mT8_P12ihipStream_tbDpT10_ENKUlT_T0_E_clISt17integral_constantIbLb0EES19_EEDaS14_S15_EUlS14_E_NS1_11comp_targetILNS1_3genE3ELNS1_11target_archE908ELNS1_3gpuE7ELNS1_3repE0EEENS1_30default_config_static_selectorELNS0_4arch9wavefront6targetE1EEEvT1_, .Lfunc_end388-_ZN7rocprim17ROCPRIM_400000_NS6detail17trampoline_kernelINS0_14default_configENS1_25partition_config_selectorILNS1_17partition_subalgoE1ExNS0_10empty_typeEbEEZZNS1_14partition_implILS5_1ELb0ES3_jN6thrust23THRUST_200600_302600_NS6detail15normal_iteratorINSA_10device_ptrIxEEEEPS6_NSA_18transform_iteratorI7is_evenIxESF_NSA_11use_defaultESK_EENS0_5tupleIJSF_SF_EEENSM_IJSG_SG_EEES6_PlJS6_EEE10hipError_tPvRmT3_T4_T5_T6_T7_T9_mT8_P12ihipStream_tbDpT10_ENKUlT_T0_E_clISt17integral_constantIbLb0EES19_EEDaS14_S15_EUlS14_E_NS1_11comp_targetILNS1_3genE3ELNS1_11target_archE908ELNS1_3gpuE7ELNS1_3repE0EEENS1_30default_config_static_selectorELNS0_4arch9wavefront6targetE1EEEvT1_
                                        ; -- End function
	.section	.AMDGPU.csdata,"",@progbits
; Kernel info:
; codeLenInByte = 0
; NumSgprs: 6
; NumVgprs: 0
; NumAgprs: 0
; TotalNumVgprs: 0
; ScratchSize: 0
; MemoryBound: 0
; FloatMode: 240
; IeeeMode: 1
; LDSByteSize: 0 bytes/workgroup (compile time only)
; SGPRBlocks: 0
; VGPRBlocks: 0
; NumSGPRsForWavesPerEU: 6
; NumVGPRsForWavesPerEU: 1
; AccumOffset: 4
; Occupancy: 8
; WaveLimiterHint : 0
; COMPUTE_PGM_RSRC2:SCRATCH_EN: 0
; COMPUTE_PGM_RSRC2:USER_SGPR: 2
; COMPUTE_PGM_RSRC2:TRAP_HANDLER: 0
; COMPUTE_PGM_RSRC2:TGID_X_EN: 1
; COMPUTE_PGM_RSRC2:TGID_Y_EN: 0
; COMPUTE_PGM_RSRC2:TGID_Z_EN: 0
; COMPUTE_PGM_RSRC2:TIDIG_COMP_CNT: 0
; COMPUTE_PGM_RSRC3_GFX90A:ACCUM_OFFSET: 0
; COMPUTE_PGM_RSRC3_GFX90A:TG_SPLIT: 0
	.section	.text._ZN7rocprim17ROCPRIM_400000_NS6detail17trampoline_kernelINS0_14default_configENS1_25partition_config_selectorILNS1_17partition_subalgoE1ExNS0_10empty_typeEbEEZZNS1_14partition_implILS5_1ELb0ES3_jN6thrust23THRUST_200600_302600_NS6detail15normal_iteratorINSA_10device_ptrIxEEEEPS6_NSA_18transform_iteratorI7is_evenIxESF_NSA_11use_defaultESK_EENS0_5tupleIJSF_SF_EEENSM_IJSG_SG_EEES6_PlJS6_EEE10hipError_tPvRmT3_T4_T5_T6_T7_T9_mT8_P12ihipStream_tbDpT10_ENKUlT_T0_E_clISt17integral_constantIbLb0EES19_EEDaS14_S15_EUlS14_E_NS1_11comp_targetILNS1_3genE2ELNS1_11target_archE906ELNS1_3gpuE6ELNS1_3repE0EEENS1_30default_config_static_selectorELNS0_4arch9wavefront6targetE1EEEvT1_,"axG",@progbits,_ZN7rocprim17ROCPRIM_400000_NS6detail17trampoline_kernelINS0_14default_configENS1_25partition_config_selectorILNS1_17partition_subalgoE1ExNS0_10empty_typeEbEEZZNS1_14partition_implILS5_1ELb0ES3_jN6thrust23THRUST_200600_302600_NS6detail15normal_iteratorINSA_10device_ptrIxEEEEPS6_NSA_18transform_iteratorI7is_evenIxESF_NSA_11use_defaultESK_EENS0_5tupleIJSF_SF_EEENSM_IJSG_SG_EEES6_PlJS6_EEE10hipError_tPvRmT3_T4_T5_T6_T7_T9_mT8_P12ihipStream_tbDpT10_ENKUlT_T0_E_clISt17integral_constantIbLb0EES19_EEDaS14_S15_EUlS14_E_NS1_11comp_targetILNS1_3genE2ELNS1_11target_archE906ELNS1_3gpuE6ELNS1_3repE0EEENS1_30default_config_static_selectorELNS0_4arch9wavefront6targetE1EEEvT1_,comdat
	.protected	_ZN7rocprim17ROCPRIM_400000_NS6detail17trampoline_kernelINS0_14default_configENS1_25partition_config_selectorILNS1_17partition_subalgoE1ExNS0_10empty_typeEbEEZZNS1_14partition_implILS5_1ELb0ES3_jN6thrust23THRUST_200600_302600_NS6detail15normal_iteratorINSA_10device_ptrIxEEEEPS6_NSA_18transform_iteratorI7is_evenIxESF_NSA_11use_defaultESK_EENS0_5tupleIJSF_SF_EEENSM_IJSG_SG_EEES6_PlJS6_EEE10hipError_tPvRmT3_T4_T5_T6_T7_T9_mT8_P12ihipStream_tbDpT10_ENKUlT_T0_E_clISt17integral_constantIbLb0EES19_EEDaS14_S15_EUlS14_E_NS1_11comp_targetILNS1_3genE2ELNS1_11target_archE906ELNS1_3gpuE6ELNS1_3repE0EEENS1_30default_config_static_selectorELNS0_4arch9wavefront6targetE1EEEvT1_ ; -- Begin function _ZN7rocprim17ROCPRIM_400000_NS6detail17trampoline_kernelINS0_14default_configENS1_25partition_config_selectorILNS1_17partition_subalgoE1ExNS0_10empty_typeEbEEZZNS1_14partition_implILS5_1ELb0ES3_jN6thrust23THRUST_200600_302600_NS6detail15normal_iteratorINSA_10device_ptrIxEEEEPS6_NSA_18transform_iteratorI7is_evenIxESF_NSA_11use_defaultESK_EENS0_5tupleIJSF_SF_EEENSM_IJSG_SG_EEES6_PlJS6_EEE10hipError_tPvRmT3_T4_T5_T6_T7_T9_mT8_P12ihipStream_tbDpT10_ENKUlT_T0_E_clISt17integral_constantIbLb0EES19_EEDaS14_S15_EUlS14_E_NS1_11comp_targetILNS1_3genE2ELNS1_11target_archE906ELNS1_3gpuE6ELNS1_3repE0EEENS1_30default_config_static_selectorELNS0_4arch9wavefront6targetE1EEEvT1_
	.globl	_ZN7rocprim17ROCPRIM_400000_NS6detail17trampoline_kernelINS0_14default_configENS1_25partition_config_selectorILNS1_17partition_subalgoE1ExNS0_10empty_typeEbEEZZNS1_14partition_implILS5_1ELb0ES3_jN6thrust23THRUST_200600_302600_NS6detail15normal_iteratorINSA_10device_ptrIxEEEEPS6_NSA_18transform_iteratorI7is_evenIxESF_NSA_11use_defaultESK_EENS0_5tupleIJSF_SF_EEENSM_IJSG_SG_EEES6_PlJS6_EEE10hipError_tPvRmT3_T4_T5_T6_T7_T9_mT8_P12ihipStream_tbDpT10_ENKUlT_T0_E_clISt17integral_constantIbLb0EES19_EEDaS14_S15_EUlS14_E_NS1_11comp_targetILNS1_3genE2ELNS1_11target_archE906ELNS1_3gpuE6ELNS1_3repE0EEENS1_30default_config_static_selectorELNS0_4arch9wavefront6targetE1EEEvT1_
	.p2align	8
	.type	_ZN7rocprim17ROCPRIM_400000_NS6detail17trampoline_kernelINS0_14default_configENS1_25partition_config_selectorILNS1_17partition_subalgoE1ExNS0_10empty_typeEbEEZZNS1_14partition_implILS5_1ELb0ES3_jN6thrust23THRUST_200600_302600_NS6detail15normal_iteratorINSA_10device_ptrIxEEEEPS6_NSA_18transform_iteratorI7is_evenIxESF_NSA_11use_defaultESK_EENS0_5tupleIJSF_SF_EEENSM_IJSG_SG_EEES6_PlJS6_EEE10hipError_tPvRmT3_T4_T5_T6_T7_T9_mT8_P12ihipStream_tbDpT10_ENKUlT_T0_E_clISt17integral_constantIbLb0EES19_EEDaS14_S15_EUlS14_E_NS1_11comp_targetILNS1_3genE2ELNS1_11target_archE906ELNS1_3gpuE6ELNS1_3repE0EEENS1_30default_config_static_selectorELNS0_4arch9wavefront6targetE1EEEvT1_,@function
_ZN7rocprim17ROCPRIM_400000_NS6detail17trampoline_kernelINS0_14default_configENS1_25partition_config_selectorILNS1_17partition_subalgoE1ExNS0_10empty_typeEbEEZZNS1_14partition_implILS5_1ELb0ES3_jN6thrust23THRUST_200600_302600_NS6detail15normal_iteratorINSA_10device_ptrIxEEEEPS6_NSA_18transform_iteratorI7is_evenIxESF_NSA_11use_defaultESK_EENS0_5tupleIJSF_SF_EEENSM_IJSG_SG_EEES6_PlJS6_EEE10hipError_tPvRmT3_T4_T5_T6_T7_T9_mT8_P12ihipStream_tbDpT10_ENKUlT_T0_E_clISt17integral_constantIbLb0EES19_EEDaS14_S15_EUlS14_E_NS1_11comp_targetILNS1_3genE2ELNS1_11target_archE906ELNS1_3gpuE6ELNS1_3repE0EEENS1_30default_config_static_selectorELNS0_4arch9wavefront6targetE1EEEvT1_: ; @_ZN7rocprim17ROCPRIM_400000_NS6detail17trampoline_kernelINS0_14default_configENS1_25partition_config_selectorILNS1_17partition_subalgoE1ExNS0_10empty_typeEbEEZZNS1_14partition_implILS5_1ELb0ES3_jN6thrust23THRUST_200600_302600_NS6detail15normal_iteratorINSA_10device_ptrIxEEEEPS6_NSA_18transform_iteratorI7is_evenIxESF_NSA_11use_defaultESK_EENS0_5tupleIJSF_SF_EEENSM_IJSG_SG_EEES6_PlJS6_EEE10hipError_tPvRmT3_T4_T5_T6_T7_T9_mT8_P12ihipStream_tbDpT10_ENKUlT_T0_E_clISt17integral_constantIbLb0EES19_EEDaS14_S15_EUlS14_E_NS1_11comp_targetILNS1_3genE2ELNS1_11target_archE906ELNS1_3gpuE6ELNS1_3repE0EEENS1_30default_config_static_selectorELNS0_4arch9wavefront6targetE1EEEvT1_
; %bb.0:
	.section	.rodata,"a",@progbits
	.p2align	6, 0x0
	.amdhsa_kernel _ZN7rocprim17ROCPRIM_400000_NS6detail17trampoline_kernelINS0_14default_configENS1_25partition_config_selectorILNS1_17partition_subalgoE1ExNS0_10empty_typeEbEEZZNS1_14partition_implILS5_1ELb0ES3_jN6thrust23THRUST_200600_302600_NS6detail15normal_iteratorINSA_10device_ptrIxEEEEPS6_NSA_18transform_iteratorI7is_evenIxESF_NSA_11use_defaultESK_EENS0_5tupleIJSF_SF_EEENSM_IJSG_SG_EEES6_PlJS6_EEE10hipError_tPvRmT3_T4_T5_T6_T7_T9_mT8_P12ihipStream_tbDpT10_ENKUlT_T0_E_clISt17integral_constantIbLb0EES19_EEDaS14_S15_EUlS14_E_NS1_11comp_targetILNS1_3genE2ELNS1_11target_archE906ELNS1_3gpuE6ELNS1_3repE0EEENS1_30default_config_static_selectorELNS0_4arch9wavefront6targetE1EEEvT1_
		.amdhsa_group_segment_fixed_size 0
		.amdhsa_private_segment_fixed_size 0
		.amdhsa_kernarg_size 128
		.amdhsa_user_sgpr_count 2
		.amdhsa_user_sgpr_dispatch_ptr 0
		.amdhsa_user_sgpr_queue_ptr 0
		.amdhsa_user_sgpr_kernarg_segment_ptr 1
		.amdhsa_user_sgpr_dispatch_id 0
		.amdhsa_user_sgpr_kernarg_preload_length 0
		.amdhsa_user_sgpr_kernarg_preload_offset 0
		.amdhsa_user_sgpr_private_segment_size 0
		.amdhsa_uses_dynamic_stack 0
		.amdhsa_enable_private_segment 0
		.amdhsa_system_sgpr_workgroup_id_x 1
		.amdhsa_system_sgpr_workgroup_id_y 0
		.amdhsa_system_sgpr_workgroup_id_z 0
		.amdhsa_system_sgpr_workgroup_info 0
		.amdhsa_system_vgpr_workitem_id 0
		.amdhsa_next_free_vgpr 1
		.amdhsa_next_free_sgpr 0
		.amdhsa_accum_offset 4
		.amdhsa_reserve_vcc 0
		.amdhsa_float_round_mode_32 0
		.amdhsa_float_round_mode_16_64 0
		.amdhsa_float_denorm_mode_32 3
		.amdhsa_float_denorm_mode_16_64 3
		.amdhsa_dx10_clamp 1
		.amdhsa_ieee_mode 1
		.amdhsa_fp16_overflow 0
		.amdhsa_tg_split 0
		.amdhsa_exception_fp_ieee_invalid_op 0
		.amdhsa_exception_fp_denorm_src 0
		.amdhsa_exception_fp_ieee_div_zero 0
		.amdhsa_exception_fp_ieee_overflow 0
		.amdhsa_exception_fp_ieee_underflow 0
		.amdhsa_exception_fp_ieee_inexact 0
		.amdhsa_exception_int_div_zero 0
	.end_amdhsa_kernel
	.section	.text._ZN7rocprim17ROCPRIM_400000_NS6detail17trampoline_kernelINS0_14default_configENS1_25partition_config_selectorILNS1_17partition_subalgoE1ExNS0_10empty_typeEbEEZZNS1_14partition_implILS5_1ELb0ES3_jN6thrust23THRUST_200600_302600_NS6detail15normal_iteratorINSA_10device_ptrIxEEEEPS6_NSA_18transform_iteratorI7is_evenIxESF_NSA_11use_defaultESK_EENS0_5tupleIJSF_SF_EEENSM_IJSG_SG_EEES6_PlJS6_EEE10hipError_tPvRmT3_T4_T5_T6_T7_T9_mT8_P12ihipStream_tbDpT10_ENKUlT_T0_E_clISt17integral_constantIbLb0EES19_EEDaS14_S15_EUlS14_E_NS1_11comp_targetILNS1_3genE2ELNS1_11target_archE906ELNS1_3gpuE6ELNS1_3repE0EEENS1_30default_config_static_selectorELNS0_4arch9wavefront6targetE1EEEvT1_,"axG",@progbits,_ZN7rocprim17ROCPRIM_400000_NS6detail17trampoline_kernelINS0_14default_configENS1_25partition_config_selectorILNS1_17partition_subalgoE1ExNS0_10empty_typeEbEEZZNS1_14partition_implILS5_1ELb0ES3_jN6thrust23THRUST_200600_302600_NS6detail15normal_iteratorINSA_10device_ptrIxEEEEPS6_NSA_18transform_iteratorI7is_evenIxESF_NSA_11use_defaultESK_EENS0_5tupleIJSF_SF_EEENSM_IJSG_SG_EEES6_PlJS6_EEE10hipError_tPvRmT3_T4_T5_T6_T7_T9_mT8_P12ihipStream_tbDpT10_ENKUlT_T0_E_clISt17integral_constantIbLb0EES19_EEDaS14_S15_EUlS14_E_NS1_11comp_targetILNS1_3genE2ELNS1_11target_archE906ELNS1_3gpuE6ELNS1_3repE0EEENS1_30default_config_static_selectorELNS0_4arch9wavefront6targetE1EEEvT1_,comdat
.Lfunc_end389:
	.size	_ZN7rocprim17ROCPRIM_400000_NS6detail17trampoline_kernelINS0_14default_configENS1_25partition_config_selectorILNS1_17partition_subalgoE1ExNS0_10empty_typeEbEEZZNS1_14partition_implILS5_1ELb0ES3_jN6thrust23THRUST_200600_302600_NS6detail15normal_iteratorINSA_10device_ptrIxEEEEPS6_NSA_18transform_iteratorI7is_evenIxESF_NSA_11use_defaultESK_EENS0_5tupleIJSF_SF_EEENSM_IJSG_SG_EEES6_PlJS6_EEE10hipError_tPvRmT3_T4_T5_T6_T7_T9_mT8_P12ihipStream_tbDpT10_ENKUlT_T0_E_clISt17integral_constantIbLb0EES19_EEDaS14_S15_EUlS14_E_NS1_11comp_targetILNS1_3genE2ELNS1_11target_archE906ELNS1_3gpuE6ELNS1_3repE0EEENS1_30default_config_static_selectorELNS0_4arch9wavefront6targetE1EEEvT1_, .Lfunc_end389-_ZN7rocprim17ROCPRIM_400000_NS6detail17trampoline_kernelINS0_14default_configENS1_25partition_config_selectorILNS1_17partition_subalgoE1ExNS0_10empty_typeEbEEZZNS1_14partition_implILS5_1ELb0ES3_jN6thrust23THRUST_200600_302600_NS6detail15normal_iteratorINSA_10device_ptrIxEEEEPS6_NSA_18transform_iteratorI7is_evenIxESF_NSA_11use_defaultESK_EENS0_5tupleIJSF_SF_EEENSM_IJSG_SG_EEES6_PlJS6_EEE10hipError_tPvRmT3_T4_T5_T6_T7_T9_mT8_P12ihipStream_tbDpT10_ENKUlT_T0_E_clISt17integral_constantIbLb0EES19_EEDaS14_S15_EUlS14_E_NS1_11comp_targetILNS1_3genE2ELNS1_11target_archE906ELNS1_3gpuE6ELNS1_3repE0EEENS1_30default_config_static_selectorELNS0_4arch9wavefront6targetE1EEEvT1_
                                        ; -- End function
	.section	.AMDGPU.csdata,"",@progbits
; Kernel info:
; codeLenInByte = 0
; NumSgprs: 6
; NumVgprs: 0
; NumAgprs: 0
; TotalNumVgprs: 0
; ScratchSize: 0
; MemoryBound: 0
; FloatMode: 240
; IeeeMode: 1
; LDSByteSize: 0 bytes/workgroup (compile time only)
; SGPRBlocks: 0
; VGPRBlocks: 0
; NumSGPRsForWavesPerEU: 6
; NumVGPRsForWavesPerEU: 1
; AccumOffset: 4
; Occupancy: 8
; WaveLimiterHint : 0
; COMPUTE_PGM_RSRC2:SCRATCH_EN: 0
; COMPUTE_PGM_RSRC2:USER_SGPR: 2
; COMPUTE_PGM_RSRC2:TRAP_HANDLER: 0
; COMPUTE_PGM_RSRC2:TGID_X_EN: 1
; COMPUTE_PGM_RSRC2:TGID_Y_EN: 0
; COMPUTE_PGM_RSRC2:TGID_Z_EN: 0
; COMPUTE_PGM_RSRC2:TIDIG_COMP_CNT: 0
; COMPUTE_PGM_RSRC3_GFX90A:ACCUM_OFFSET: 0
; COMPUTE_PGM_RSRC3_GFX90A:TG_SPLIT: 0
	.section	.text._ZN7rocprim17ROCPRIM_400000_NS6detail17trampoline_kernelINS0_14default_configENS1_25partition_config_selectorILNS1_17partition_subalgoE1ExNS0_10empty_typeEbEEZZNS1_14partition_implILS5_1ELb0ES3_jN6thrust23THRUST_200600_302600_NS6detail15normal_iteratorINSA_10device_ptrIxEEEEPS6_NSA_18transform_iteratorI7is_evenIxESF_NSA_11use_defaultESK_EENS0_5tupleIJSF_SF_EEENSM_IJSG_SG_EEES6_PlJS6_EEE10hipError_tPvRmT3_T4_T5_T6_T7_T9_mT8_P12ihipStream_tbDpT10_ENKUlT_T0_E_clISt17integral_constantIbLb0EES19_EEDaS14_S15_EUlS14_E_NS1_11comp_targetILNS1_3genE10ELNS1_11target_archE1200ELNS1_3gpuE4ELNS1_3repE0EEENS1_30default_config_static_selectorELNS0_4arch9wavefront6targetE1EEEvT1_,"axG",@progbits,_ZN7rocprim17ROCPRIM_400000_NS6detail17trampoline_kernelINS0_14default_configENS1_25partition_config_selectorILNS1_17partition_subalgoE1ExNS0_10empty_typeEbEEZZNS1_14partition_implILS5_1ELb0ES3_jN6thrust23THRUST_200600_302600_NS6detail15normal_iteratorINSA_10device_ptrIxEEEEPS6_NSA_18transform_iteratorI7is_evenIxESF_NSA_11use_defaultESK_EENS0_5tupleIJSF_SF_EEENSM_IJSG_SG_EEES6_PlJS6_EEE10hipError_tPvRmT3_T4_T5_T6_T7_T9_mT8_P12ihipStream_tbDpT10_ENKUlT_T0_E_clISt17integral_constantIbLb0EES19_EEDaS14_S15_EUlS14_E_NS1_11comp_targetILNS1_3genE10ELNS1_11target_archE1200ELNS1_3gpuE4ELNS1_3repE0EEENS1_30default_config_static_selectorELNS0_4arch9wavefront6targetE1EEEvT1_,comdat
	.protected	_ZN7rocprim17ROCPRIM_400000_NS6detail17trampoline_kernelINS0_14default_configENS1_25partition_config_selectorILNS1_17partition_subalgoE1ExNS0_10empty_typeEbEEZZNS1_14partition_implILS5_1ELb0ES3_jN6thrust23THRUST_200600_302600_NS6detail15normal_iteratorINSA_10device_ptrIxEEEEPS6_NSA_18transform_iteratorI7is_evenIxESF_NSA_11use_defaultESK_EENS0_5tupleIJSF_SF_EEENSM_IJSG_SG_EEES6_PlJS6_EEE10hipError_tPvRmT3_T4_T5_T6_T7_T9_mT8_P12ihipStream_tbDpT10_ENKUlT_T0_E_clISt17integral_constantIbLb0EES19_EEDaS14_S15_EUlS14_E_NS1_11comp_targetILNS1_3genE10ELNS1_11target_archE1200ELNS1_3gpuE4ELNS1_3repE0EEENS1_30default_config_static_selectorELNS0_4arch9wavefront6targetE1EEEvT1_ ; -- Begin function _ZN7rocprim17ROCPRIM_400000_NS6detail17trampoline_kernelINS0_14default_configENS1_25partition_config_selectorILNS1_17partition_subalgoE1ExNS0_10empty_typeEbEEZZNS1_14partition_implILS5_1ELb0ES3_jN6thrust23THRUST_200600_302600_NS6detail15normal_iteratorINSA_10device_ptrIxEEEEPS6_NSA_18transform_iteratorI7is_evenIxESF_NSA_11use_defaultESK_EENS0_5tupleIJSF_SF_EEENSM_IJSG_SG_EEES6_PlJS6_EEE10hipError_tPvRmT3_T4_T5_T6_T7_T9_mT8_P12ihipStream_tbDpT10_ENKUlT_T0_E_clISt17integral_constantIbLb0EES19_EEDaS14_S15_EUlS14_E_NS1_11comp_targetILNS1_3genE10ELNS1_11target_archE1200ELNS1_3gpuE4ELNS1_3repE0EEENS1_30default_config_static_selectorELNS0_4arch9wavefront6targetE1EEEvT1_
	.globl	_ZN7rocprim17ROCPRIM_400000_NS6detail17trampoline_kernelINS0_14default_configENS1_25partition_config_selectorILNS1_17partition_subalgoE1ExNS0_10empty_typeEbEEZZNS1_14partition_implILS5_1ELb0ES3_jN6thrust23THRUST_200600_302600_NS6detail15normal_iteratorINSA_10device_ptrIxEEEEPS6_NSA_18transform_iteratorI7is_evenIxESF_NSA_11use_defaultESK_EENS0_5tupleIJSF_SF_EEENSM_IJSG_SG_EEES6_PlJS6_EEE10hipError_tPvRmT3_T4_T5_T6_T7_T9_mT8_P12ihipStream_tbDpT10_ENKUlT_T0_E_clISt17integral_constantIbLb0EES19_EEDaS14_S15_EUlS14_E_NS1_11comp_targetILNS1_3genE10ELNS1_11target_archE1200ELNS1_3gpuE4ELNS1_3repE0EEENS1_30default_config_static_selectorELNS0_4arch9wavefront6targetE1EEEvT1_
	.p2align	8
	.type	_ZN7rocprim17ROCPRIM_400000_NS6detail17trampoline_kernelINS0_14default_configENS1_25partition_config_selectorILNS1_17partition_subalgoE1ExNS0_10empty_typeEbEEZZNS1_14partition_implILS5_1ELb0ES3_jN6thrust23THRUST_200600_302600_NS6detail15normal_iteratorINSA_10device_ptrIxEEEEPS6_NSA_18transform_iteratorI7is_evenIxESF_NSA_11use_defaultESK_EENS0_5tupleIJSF_SF_EEENSM_IJSG_SG_EEES6_PlJS6_EEE10hipError_tPvRmT3_T4_T5_T6_T7_T9_mT8_P12ihipStream_tbDpT10_ENKUlT_T0_E_clISt17integral_constantIbLb0EES19_EEDaS14_S15_EUlS14_E_NS1_11comp_targetILNS1_3genE10ELNS1_11target_archE1200ELNS1_3gpuE4ELNS1_3repE0EEENS1_30default_config_static_selectorELNS0_4arch9wavefront6targetE1EEEvT1_,@function
_ZN7rocprim17ROCPRIM_400000_NS6detail17trampoline_kernelINS0_14default_configENS1_25partition_config_selectorILNS1_17partition_subalgoE1ExNS0_10empty_typeEbEEZZNS1_14partition_implILS5_1ELb0ES3_jN6thrust23THRUST_200600_302600_NS6detail15normal_iteratorINSA_10device_ptrIxEEEEPS6_NSA_18transform_iteratorI7is_evenIxESF_NSA_11use_defaultESK_EENS0_5tupleIJSF_SF_EEENSM_IJSG_SG_EEES6_PlJS6_EEE10hipError_tPvRmT3_T4_T5_T6_T7_T9_mT8_P12ihipStream_tbDpT10_ENKUlT_T0_E_clISt17integral_constantIbLb0EES19_EEDaS14_S15_EUlS14_E_NS1_11comp_targetILNS1_3genE10ELNS1_11target_archE1200ELNS1_3gpuE4ELNS1_3repE0EEENS1_30default_config_static_selectorELNS0_4arch9wavefront6targetE1EEEvT1_: ; @_ZN7rocprim17ROCPRIM_400000_NS6detail17trampoline_kernelINS0_14default_configENS1_25partition_config_selectorILNS1_17partition_subalgoE1ExNS0_10empty_typeEbEEZZNS1_14partition_implILS5_1ELb0ES3_jN6thrust23THRUST_200600_302600_NS6detail15normal_iteratorINSA_10device_ptrIxEEEEPS6_NSA_18transform_iteratorI7is_evenIxESF_NSA_11use_defaultESK_EENS0_5tupleIJSF_SF_EEENSM_IJSG_SG_EEES6_PlJS6_EEE10hipError_tPvRmT3_T4_T5_T6_T7_T9_mT8_P12ihipStream_tbDpT10_ENKUlT_T0_E_clISt17integral_constantIbLb0EES19_EEDaS14_S15_EUlS14_E_NS1_11comp_targetILNS1_3genE10ELNS1_11target_archE1200ELNS1_3gpuE4ELNS1_3repE0EEENS1_30default_config_static_selectorELNS0_4arch9wavefront6targetE1EEEvT1_
; %bb.0:
	.section	.rodata,"a",@progbits
	.p2align	6, 0x0
	.amdhsa_kernel _ZN7rocprim17ROCPRIM_400000_NS6detail17trampoline_kernelINS0_14default_configENS1_25partition_config_selectorILNS1_17partition_subalgoE1ExNS0_10empty_typeEbEEZZNS1_14partition_implILS5_1ELb0ES3_jN6thrust23THRUST_200600_302600_NS6detail15normal_iteratorINSA_10device_ptrIxEEEEPS6_NSA_18transform_iteratorI7is_evenIxESF_NSA_11use_defaultESK_EENS0_5tupleIJSF_SF_EEENSM_IJSG_SG_EEES6_PlJS6_EEE10hipError_tPvRmT3_T4_T5_T6_T7_T9_mT8_P12ihipStream_tbDpT10_ENKUlT_T0_E_clISt17integral_constantIbLb0EES19_EEDaS14_S15_EUlS14_E_NS1_11comp_targetILNS1_3genE10ELNS1_11target_archE1200ELNS1_3gpuE4ELNS1_3repE0EEENS1_30default_config_static_selectorELNS0_4arch9wavefront6targetE1EEEvT1_
		.amdhsa_group_segment_fixed_size 0
		.amdhsa_private_segment_fixed_size 0
		.amdhsa_kernarg_size 128
		.amdhsa_user_sgpr_count 2
		.amdhsa_user_sgpr_dispatch_ptr 0
		.amdhsa_user_sgpr_queue_ptr 0
		.amdhsa_user_sgpr_kernarg_segment_ptr 1
		.amdhsa_user_sgpr_dispatch_id 0
		.amdhsa_user_sgpr_kernarg_preload_length 0
		.amdhsa_user_sgpr_kernarg_preload_offset 0
		.amdhsa_user_sgpr_private_segment_size 0
		.amdhsa_uses_dynamic_stack 0
		.amdhsa_enable_private_segment 0
		.amdhsa_system_sgpr_workgroup_id_x 1
		.amdhsa_system_sgpr_workgroup_id_y 0
		.amdhsa_system_sgpr_workgroup_id_z 0
		.amdhsa_system_sgpr_workgroup_info 0
		.amdhsa_system_vgpr_workitem_id 0
		.amdhsa_next_free_vgpr 1
		.amdhsa_next_free_sgpr 0
		.amdhsa_accum_offset 4
		.amdhsa_reserve_vcc 0
		.amdhsa_float_round_mode_32 0
		.amdhsa_float_round_mode_16_64 0
		.amdhsa_float_denorm_mode_32 3
		.amdhsa_float_denorm_mode_16_64 3
		.amdhsa_dx10_clamp 1
		.amdhsa_ieee_mode 1
		.amdhsa_fp16_overflow 0
		.amdhsa_tg_split 0
		.amdhsa_exception_fp_ieee_invalid_op 0
		.amdhsa_exception_fp_denorm_src 0
		.amdhsa_exception_fp_ieee_div_zero 0
		.amdhsa_exception_fp_ieee_overflow 0
		.amdhsa_exception_fp_ieee_underflow 0
		.amdhsa_exception_fp_ieee_inexact 0
		.amdhsa_exception_int_div_zero 0
	.end_amdhsa_kernel
	.section	.text._ZN7rocprim17ROCPRIM_400000_NS6detail17trampoline_kernelINS0_14default_configENS1_25partition_config_selectorILNS1_17partition_subalgoE1ExNS0_10empty_typeEbEEZZNS1_14partition_implILS5_1ELb0ES3_jN6thrust23THRUST_200600_302600_NS6detail15normal_iteratorINSA_10device_ptrIxEEEEPS6_NSA_18transform_iteratorI7is_evenIxESF_NSA_11use_defaultESK_EENS0_5tupleIJSF_SF_EEENSM_IJSG_SG_EEES6_PlJS6_EEE10hipError_tPvRmT3_T4_T5_T6_T7_T9_mT8_P12ihipStream_tbDpT10_ENKUlT_T0_E_clISt17integral_constantIbLb0EES19_EEDaS14_S15_EUlS14_E_NS1_11comp_targetILNS1_3genE10ELNS1_11target_archE1200ELNS1_3gpuE4ELNS1_3repE0EEENS1_30default_config_static_selectorELNS0_4arch9wavefront6targetE1EEEvT1_,"axG",@progbits,_ZN7rocprim17ROCPRIM_400000_NS6detail17trampoline_kernelINS0_14default_configENS1_25partition_config_selectorILNS1_17partition_subalgoE1ExNS0_10empty_typeEbEEZZNS1_14partition_implILS5_1ELb0ES3_jN6thrust23THRUST_200600_302600_NS6detail15normal_iteratorINSA_10device_ptrIxEEEEPS6_NSA_18transform_iteratorI7is_evenIxESF_NSA_11use_defaultESK_EENS0_5tupleIJSF_SF_EEENSM_IJSG_SG_EEES6_PlJS6_EEE10hipError_tPvRmT3_T4_T5_T6_T7_T9_mT8_P12ihipStream_tbDpT10_ENKUlT_T0_E_clISt17integral_constantIbLb0EES19_EEDaS14_S15_EUlS14_E_NS1_11comp_targetILNS1_3genE10ELNS1_11target_archE1200ELNS1_3gpuE4ELNS1_3repE0EEENS1_30default_config_static_selectorELNS0_4arch9wavefront6targetE1EEEvT1_,comdat
.Lfunc_end390:
	.size	_ZN7rocprim17ROCPRIM_400000_NS6detail17trampoline_kernelINS0_14default_configENS1_25partition_config_selectorILNS1_17partition_subalgoE1ExNS0_10empty_typeEbEEZZNS1_14partition_implILS5_1ELb0ES3_jN6thrust23THRUST_200600_302600_NS6detail15normal_iteratorINSA_10device_ptrIxEEEEPS6_NSA_18transform_iteratorI7is_evenIxESF_NSA_11use_defaultESK_EENS0_5tupleIJSF_SF_EEENSM_IJSG_SG_EEES6_PlJS6_EEE10hipError_tPvRmT3_T4_T5_T6_T7_T9_mT8_P12ihipStream_tbDpT10_ENKUlT_T0_E_clISt17integral_constantIbLb0EES19_EEDaS14_S15_EUlS14_E_NS1_11comp_targetILNS1_3genE10ELNS1_11target_archE1200ELNS1_3gpuE4ELNS1_3repE0EEENS1_30default_config_static_selectorELNS0_4arch9wavefront6targetE1EEEvT1_, .Lfunc_end390-_ZN7rocprim17ROCPRIM_400000_NS6detail17trampoline_kernelINS0_14default_configENS1_25partition_config_selectorILNS1_17partition_subalgoE1ExNS0_10empty_typeEbEEZZNS1_14partition_implILS5_1ELb0ES3_jN6thrust23THRUST_200600_302600_NS6detail15normal_iteratorINSA_10device_ptrIxEEEEPS6_NSA_18transform_iteratorI7is_evenIxESF_NSA_11use_defaultESK_EENS0_5tupleIJSF_SF_EEENSM_IJSG_SG_EEES6_PlJS6_EEE10hipError_tPvRmT3_T4_T5_T6_T7_T9_mT8_P12ihipStream_tbDpT10_ENKUlT_T0_E_clISt17integral_constantIbLb0EES19_EEDaS14_S15_EUlS14_E_NS1_11comp_targetILNS1_3genE10ELNS1_11target_archE1200ELNS1_3gpuE4ELNS1_3repE0EEENS1_30default_config_static_selectorELNS0_4arch9wavefront6targetE1EEEvT1_
                                        ; -- End function
	.section	.AMDGPU.csdata,"",@progbits
; Kernel info:
; codeLenInByte = 0
; NumSgprs: 6
; NumVgprs: 0
; NumAgprs: 0
; TotalNumVgprs: 0
; ScratchSize: 0
; MemoryBound: 0
; FloatMode: 240
; IeeeMode: 1
; LDSByteSize: 0 bytes/workgroup (compile time only)
; SGPRBlocks: 0
; VGPRBlocks: 0
; NumSGPRsForWavesPerEU: 6
; NumVGPRsForWavesPerEU: 1
; AccumOffset: 4
; Occupancy: 8
; WaveLimiterHint : 0
; COMPUTE_PGM_RSRC2:SCRATCH_EN: 0
; COMPUTE_PGM_RSRC2:USER_SGPR: 2
; COMPUTE_PGM_RSRC2:TRAP_HANDLER: 0
; COMPUTE_PGM_RSRC2:TGID_X_EN: 1
; COMPUTE_PGM_RSRC2:TGID_Y_EN: 0
; COMPUTE_PGM_RSRC2:TGID_Z_EN: 0
; COMPUTE_PGM_RSRC2:TIDIG_COMP_CNT: 0
; COMPUTE_PGM_RSRC3_GFX90A:ACCUM_OFFSET: 0
; COMPUTE_PGM_RSRC3_GFX90A:TG_SPLIT: 0
	.section	.text._ZN7rocprim17ROCPRIM_400000_NS6detail17trampoline_kernelINS0_14default_configENS1_25partition_config_selectorILNS1_17partition_subalgoE1ExNS0_10empty_typeEbEEZZNS1_14partition_implILS5_1ELb0ES3_jN6thrust23THRUST_200600_302600_NS6detail15normal_iteratorINSA_10device_ptrIxEEEEPS6_NSA_18transform_iteratorI7is_evenIxESF_NSA_11use_defaultESK_EENS0_5tupleIJSF_SF_EEENSM_IJSG_SG_EEES6_PlJS6_EEE10hipError_tPvRmT3_T4_T5_T6_T7_T9_mT8_P12ihipStream_tbDpT10_ENKUlT_T0_E_clISt17integral_constantIbLb0EES19_EEDaS14_S15_EUlS14_E_NS1_11comp_targetILNS1_3genE9ELNS1_11target_archE1100ELNS1_3gpuE3ELNS1_3repE0EEENS1_30default_config_static_selectorELNS0_4arch9wavefront6targetE1EEEvT1_,"axG",@progbits,_ZN7rocprim17ROCPRIM_400000_NS6detail17trampoline_kernelINS0_14default_configENS1_25partition_config_selectorILNS1_17partition_subalgoE1ExNS0_10empty_typeEbEEZZNS1_14partition_implILS5_1ELb0ES3_jN6thrust23THRUST_200600_302600_NS6detail15normal_iteratorINSA_10device_ptrIxEEEEPS6_NSA_18transform_iteratorI7is_evenIxESF_NSA_11use_defaultESK_EENS0_5tupleIJSF_SF_EEENSM_IJSG_SG_EEES6_PlJS6_EEE10hipError_tPvRmT3_T4_T5_T6_T7_T9_mT8_P12ihipStream_tbDpT10_ENKUlT_T0_E_clISt17integral_constantIbLb0EES19_EEDaS14_S15_EUlS14_E_NS1_11comp_targetILNS1_3genE9ELNS1_11target_archE1100ELNS1_3gpuE3ELNS1_3repE0EEENS1_30default_config_static_selectorELNS0_4arch9wavefront6targetE1EEEvT1_,comdat
	.protected	_ZN7rocprim17ROCPRIM_400000_NS6detail17trampoline_kernelINS0_14default_configENS1_25partition_config_selectorILNS1_17partition_subalgoE1ExNS0_10empty_typeEbEEZZNS1_14partition_implILS5_1ELb0ES3_jN6thrust23THRUST_200600_302600_NS6detail15normal_iteratorINSA_10device_ptrIxEEEEPS6_NSA_18transform_iteratorI7is_evenIxESF_NSA_11use_defaultESK_EENS0_5tupleIJSF_SF_EEENSM_IJSG_SG_EEES6_PlJS6_EEE10hipError_tPvRmT3_T4_T5_T6_T7_T9_mT8_P12ihipStream_tbDpT10_ENKUlT_T0_E_clISt17integral_constantIbLb0EES19_EEDaS14_S15_EUlS14_E_NS1_11comp_targetILNS1_3genE9ELNS1_11target_archE1100ELNS1_3gpuE3ELNS1_3repE0EEENS1_30default_config_static_selectorELNS0_4arch9wavefront6targetE1EEEvT1_ ; -- Begin function _ZN7rocprim17ROCPRIM_400000_NS6detail17trampoline_kernelINS0_14default_configENS1_25partition_config_selectorILNS1_17partition_subalgoE1ExNS0_10empty_typeEbEEZZNS1_14partition_implILS5_1ELb0ES3_jN6thrust23THRUST_200600_302600_NS6detail15normal_iteratorINSA_10device_ptrIxEEEEPS6_NSA_18transform_iteratorI7is_evenIxESF_NSA_11use_defaultESK_EENS0_5tupleIJSF_SF_EEENSM_IJSG_SG_EEES6_PlJS6_EEE10hipError_tPvRmT3_T4_T5_T6_T7_T9_mT8_P12ihipStream_tbDpT10_ENKUlT_T0_E_clISt17integral_constantIbLb0EES19_EEDaS14_S15_EUlS14_E_NS1_11comp_targetILNS1_3genE9ELNS1_11target_archE1100ELNS1_3gpuE3ELNS1_3repE0EEENS1_30default_config_static_selectorELNS0_4arch9wavefront6targetE1EEEvT1_
	.globl	_ZN7rocprim17ROCPRIM_400000_NS6detail17trampoline_kernelINS0_14default_configENS1_25partition_config_selectorILNS1_17partition_subalgoE1ExNS0_10empty_typeEbEEZZNS1_14partition_implILS5_1ELb0ES3_jN6thrust23THRUST_200600_302600_NS6detail15normal_iteratorINSA_10device_ptrIxEEEEPS6_NSA_18transform_iteratorI7is_evenIxESF_NSA_11use_defaultESK_EENS0_5tupleIJSF_SF_EEENSM_IJSG_SG_EEES6_PlJS6_EEE10hipError_tPvRmT3_T4_T5_T6_T7_T9_mT8_P12ihipStream_tbDpT10_ENKUlT_T0_E_clISt17integral_constantIbLb0EES19_EEDaS14_S15_EUlS14_E_NS1_11comp_targetILNS1_3genE9ELNS1_11target_archE1100ELNS1_3gpuE3ELNS1_3repE0EEENS1_30default_config_static_selectorELNS0_4arch9wavefront6targetE1EEEvT1_
	.p2align	8
	.type	_ZN7rocprim17ROCPRIM_400000_NS6detail17trampoline_kernelINS0_14default_configENS1_25partition_config_selectorILNS1_17partition_subalgoE1ExNS0_10empty_typeEbEEZZNS1_14partition_implILS5_1ELb0ES3_jN6thrust23THRUST_200600_302600_NS6detail15normal_iteratorINSA_10device_ptrIxEEEEPS6_NSA_18transform_iteratorI7is_evenIxESF_NSA_11use_defaultESK_EENS0_5tupleIJSF_SF_EEENSM_IJSG_SG_EEES6_PlJS6_EEE10hipError_tPvRmT3_T4_T5_T6_T7_T9_mT8_P12ihipStream_tbDpT10_ENKUlT_T0_E_clISt17integral_constantIbLb0EES19_EEDaS14_S15_EUlS14_E_NS1_11comp_targetILNS1_3genE9ELNS1_11target_archE1100ELNS1_3gpuE3ELNS1_3repE0EEENS1_30default_config_static_selectorELNS0_4arch9wavefront6targetE1EEEvT1_,@function
_ZN7rocprim17ROCPRIM_400000_NS6detail17trampoline_kernelINS0_14default_configENS1_25partition_config_selectorILNS1_17partition_subalgoE1ExNS0_10empty_typeEbEEZZNS1_14partition_implILS5_1ELb0ES3_jN6thrust23THRUST_200600_302600_NS6detail15normal_iteratorINSA_10device_ptrIxEEEEPS6_NSA_18transform_iteratorI7is_evenIxESF_NSA_11use_defaultESK_EENS0_5tupleIJSF_SF_EEENSM_IJSG_SG_EEES6_PlJS6_EEE10hipError_tPvRmT3_T4_T5_T6_T7_T9_mT8_P12ihipStream_tbDpT10_ENKUlT_T0_E_clISt17integral_constantIbLb0EES19_EEDaS14_S15_EUlS14_E_NS1_11comp_targetILNS1_3genE9ELNS1_11target_archE1100ELNS1_3gpuE3ELNS1_3repE0EEENS1_30default_config_static_selectorELNS0_4arch9wavefront6targetE1EEEvT1_: ; @_ZN7rocprim17ROCPRIM_400000_NS6detail17trampoline_kernelINS0_14default_configENS1_25partition_config_selectorILNS1_17partition_subalgoE1ExNS0_10empty_typeEbEEZZNS1_14partition_implILS5_1ELb0ES3_jN6thrust23THRUST_200600_302600_NS6detail15normal_iteratorINSA_10device_ptrIxEEEEPS6_NSA_18transform_iteratorI7is_evenIxESF_NSA_11use_defaultESK_EENS0_5tupleIJSF_SF_EEENSM_IJSG_SG_EEES6_PlJS6_EEE10hipError_tPvRmT3_T4_T5_T6_T7_T9_mT8_P12ihipStream_tbDpT10_ENKUlT_T0_E_clISt17integral_constantIbLb0EES19_EEDaS14_S15_EUlS14_E_NS1_11comp_targetILNS1_3genE9ELNS1_11target_archE1100ELNS1_3gpuE3ELNS1_3repE0EEENS1_30default_config_static_selectorELNS0_4arch9wavefront6targetE1EEEvT1_
; %bb.0:
	.section	.rodata,"a",@progbits
	.p2align	6, 0x0
	.amdhsa_kernel _ZN7rocprim17ROCPRIM_400000_NS6detail17trampoline_kernelINS0_14default_configENS1_25partition_config_selectorILNS1_17partition_subalgoE1ExNS0_10empty_typeEbEEZZNS1_14partition_implILS5_1ELb0ES3_jN6thrust23THRUST_200600_302600_NS6detail15normal_iteratorINSA_10device_ptrIxEEEEPS6_NSA_18transform_iteratorI7is_evenIxESF_NSA_11use_defaultESK_EENS0_5tupleIJSF_SF_EEENSM_IJSG_SG_EEES6_PlJS6_EEE10hipError_tPvRmT3_T4_T5_T6_T7_T9_mT8_P12ihipStream_tbDpT10_ENKUlT_T0_E_clISt17integral_constantIbLb0EES19_EEDaS14_S15_EUlS14_E_NS1_11comp_targetILNS1_3genE9ELNS1_11target_archE1100ELNS1_3gpuE3ELNS1_3repE0EEENS1_30default_config_static_selectorELNS0_4arch9wavefront6targetE1EEEvT1_
		.amdhsa_group_segment_fixed_size 0
		.amdhsa_private_segment_fixed_size 0
		.amdhsa_kernarg_size 128
		.amdhsa_user_sgpr_count 2
		.amdhsa_user_sgpr_dispatch_ptr 0
		.amdhsa_user_sgpr_queue_ptr 0
		.amdhsa_user_sgpr_kernarg_segment_ptr 1
		.amdhsa_user_sgpr_dispatch_id 0
		.amdhsa_user_sgpr_kernarg_preload_length 0
		.amdhsa_user_sgpr_kernarg_preload_offset 0
		.amdhsa_user_sgpr_private_segment_size 0
		.amdhsa_uses_dynamic_stack 0
		.amdhsa_enable_private_segment 0
		.amdhsa_system_sgpr_workgroup_id_x 1
		.amdhsa_system_sgpr_workgroup_id_y 0
		.amdhsa_system_sgpr_workgroup_id_z 0
		.amdhsa_system_sgpr_workgroup_info 0
		.amdhsa_system_vgpr_workitem_id 0
		.amdhsa_next_free_vgpr 1
		.amdhsa_next_free_sgpr 0
		.amdhsa_accum_offset 4
		.amdhsa_reserve_vcc 0
		.amdhsa_float_round_mode_32 0
		.amdhsa_float_round_mode_16_64 0
		.amdhsa_float_denorm_mode_32 3
		.amdhsa_float_denorm_mode_16_64 3
		.amdhsa_dx10_clamp 1
		.amdhsa_ieee_mode 1
		.amdhsa_fp16_overflow 0
		.amdhsa_tg_split 0
		.amdhsa_exception_fp_ieee_invalid_op 0
		.amdhsa_exception_fp_denorm_src 0
		.amdhsa_exception_fp_ieee_div_zero 0
		.amdhsa_exception_fp_ieee_overflow 0
		.amdhsa_exception_fp_ieee_underflow 0
		.amdhsa_exception_fp_ieee_inexact 0
		.amdhsa_exception_int_div_zero 0
	.end_amdhsa_kernel
	.section	.text._ZN7rocprim17ROCPRIM_400000_NS6detail17trampoline_kernelINS0_14default_configENS1_25partition_config_selectorILNS1_17partition_subalgoE1ExNS0_10empty_typeEbEEZZNS1_14partition_implILS5_1ELb0ES3_jN6thrust23THRUST_200600_302600_NS6detail15normal_iteratorINSA_10device_ptrIxEEEEPS6_NSA_18transform_iteratorI7is_evenIxESF_NSA_11use_defaultESK_EENS0_5tupleIJSF_SF_EEENSM_IJSG_SG_EEES6_PlJS6_EEE10hipError_tPvRmT3_T4_T5_T6_T7_T9_mT8_P12ihipStream_tbDpT10_ENKUlT_T0_E_clISt17integral_constantIbLb0EES19_EEDaS14_S15_EUlS14_E_NS1_11comp_targetILNS1_3genE9ELNS1_11target_archE1100ELNS1_3gpuE3ELNS1_3repE0EEENS1_30default_config_static_selectorELNS0_4arch9wavefront6targetE1EEEvT1_,"axG",@progbits,_ZN7rocprim17ROCPRIM_400000_NS6detail17trampoline_kernelINS0_14default_configENS1_25partition_config_selectorILNS1_17partition_subalgoE1ExNS0_10empty_typeEbEEZZNS1_14partition_implILS5_1ELb0ES3_jN6thrust23THRUST_200600_302600_NS6detail15normal_iteratorINSA_10device_ptrIxEEEEPS6_NSA_18transform_iteratorI7is_evenIxESF_NSA_11use_defaultESK_EENS0_5tupleIJSF_SF_EEENSM_IJSG_SG_EEES6_PlJS6_EEE10hipError_tPvRmT3_T4_T5_T6_T7_T9_mT8_P12ihipStream_tbDpT10_ENKUlT_T0_E_clISt17integral_constantIbLb0EES19_EEDaS14_S15_EUlS14_E_NS1_11comp_targetILNS1_3genE9ELNS1_11target_archE1100ELNS1_3gpuE3ELNS1_3repE0EEENS1_30default_config_static_selectorELNS0_4arch9wavefront6targetE1EEEvT1_,comdat
.Lfunc_end391:
	.size	_ZN7rocprim17ROCPRIM_400000_NS6detail17trampoline_kernelINS0_14default_configENS1_25partition_config_selectorILNS1_17partition_subalgoE1ExNS0_10empty_typeEbEEZZNS1_14partition_implILS5_1ELb0ES3_jN6thrust23THRUST_200600_302600_NS6detail15normal_iteratorINSA_10device_ptrIxEEEEPS6_NSA_18transform_iteratorI7is_evenIxESF_NSA_11use_defaultESK_EENS0_5tupleIJSF_SF_EEENSM_IJSG_SG_EEES6_PlJS6_EEE10hipError_tPvRmT3_T4_T5_T6_T7_T9_mT8_P12ihipStream_tbDpT10_ENKUlT_T0_E_clISt17integral_constantIbLb0EES19_EEDaS14_S15_EUlS14_E_NS1_11comp_targetILNS1_3genE9ELNS1_11target_archE1100ELNS1_3gpuE3ELNS1_3repE0EEENS1_30default_config_static_selectorELNS0_4arch9wavefront6targetE1EEEvT1_, .Lfunc_end391-_ZN7rocprim17ROCPRIM_400000_NS6detail17trampoline_kernelINS0_14default_configENS1_25partition_config_selectorILNS1_17partition_subalgoE1ExNS0_10empty_typeEbEEZZNS1_14partition_implILS5_1ELb0ES3_jN6thrust23THRUST_200600_302600_NS6detail15normal_iteratorINSA_10device_ptrIxEEEEPS6_NSA_18transform_iteratorI7is_evenIxESF_NSA_11use_defaultESK_EENS0_5tupleIJSF_SF_EEENSM_IJSG_SG_EEES6_PlJS6_EEE10hipError_tPvRmT3_T4_T5_T6_T7_T9_mT8_P12ihipStream_tbDpT10_ENKUlT_T0_E_clISt17integral_constantIbLb0EES19_EEDaS14_S15_EUlS14_E_NS1_11comp_targetILNS1_3genE9ELNS1_11target_archE1100ELNS1_3gpuE3ELNS1_3repE0EEENS1_30default_config_static_selectorELNS0_4arch9wavefront6targetE1EEEvT1_
                                        ; -- End function
	.section	.AMDGPU.csdata,"",@progbits
; Kernel info:
; codeLenInByte = 0
; NumSgprs: 6
; NumVgprs: 0
; NumAgprs: 0
; TotalNumVgprs: 0
; ScratchSize: 0
; MemoryBound: 0
; FloatMode: 240
; IeeeMode: 1
; LDSByteSize: 0 bytes/workgroup (compile time only)
; SGPRBlocks: 0
; VGPRBlocks: 0
; NumSGPRsForWavesPerEU: 6
; NumVGPRsForWavesPerEU: 1
; AccumOffset: 4
; Occupancy: 8
; WaveLimiterHint : 0
; COMPUTE_PGM_RSRC2:SCRATCH_EN: 0
; COMPUTE_PGM_RSRC2:USER_SGPR: 2
; COMPUTE_PGM_RSRC2:TRAP_HANDLER: 0
; COMPUTE_PGM_RSRC2:TGID_X_EN: 1
; COMPUTE_PGM_RSRC2:TGID_Y_EN: 0
; COMPUTE_PGM_RSRC2:TGID_Z_EN: 0
; COMPUTE_PGM_RSRC2:TIDIG_COMP_CNT: 0
; COMPUTE_PGM_RSRC3_GFX90A:ACCUM_OFFSET: 0
; COMPUTE_PGM_RSRC3_GFX90A:TG_SPLIT: 0
	.section	.text._ZN7rocprim17ROCPRIM_400000_NS6detail17trampoline_kernelINS0_14default_configENS1_25partition_config_selectorILNS1_17partition_subalgoE1ExNS0_10empty_typeEbEEZZNS1_14partition_implILS5_1ELb0ES3_jN6thrust23THRUST_200600_302600_NS6detail15normal_iteratorINSA_10device_ptrIxEEEEPS6_NSA_18transform_iteratorI7is_evenIxESF_NSA_11use_defaultESK_EENS0_5tupleIJSF_SF_EEENSM_IJSG_SG_EEES6_PlJS6_EEE10hipError_tPvRmT3_T4_T5_T6_T7_T9_mT8_P12ihipStream_tbDpT10_ENKUlT_T0_E_clISt17integral_constantIbLb0EES19_EEDaS14_S15_EUlS14_E_NS1_11comp_targetILNS1_3genE8ELNS1_11target_archE1030ELNS1_3gpuE2ELNS1_3repE0EEENS1_30default_config_static_selectorELNS0_4arch9wavefront6targetE1EEEvT1_,"axG",@progbits,_ZN7rocprim17ROCPRIM_400000_NS6detail17trampoline_kernelINS0_14default_configENS1_25partition_config_selectorILNS1_17partition_subalgoE1ExNS0_10empty_typeEbEEZZNS1_14partition_implILS5_1ELb0ES3_jN6thrust23THRUST_200600_302600_NS6detail15normal_iteratorINSA_10device_ptrIxEEEEPS6_NSA_18transform_iteratorI7is_evenIxESF_NSA_11use_defaultESK_EENS0_5tupleIJSF_SF_EEENSM_IJSG_SG_EEES6_PlJS6_EEE10hipError_tPvRmT3_T4_T5_T6_T7_T9_mT8_P12ihipStream_tbDpT10_ENKUlT_T0_E_clISt17integral_constantIbLb0EES19_EEDaS14_S15_EUlS14_E_NS1_11comp_targetILNS1_3genE8ELNS1_11target_archE1030ELNS1_3gpuE2ELNS1_3repE0EEENS1_30default_config_static_selectorELNS0_4arch9wavefront6targetE1EEEvT1_,comdat
	.protected	_ZN7rocprim17ROCPRIM_400000_NS6detail17trampoline_kernelINS0_14default_configENS1_25partition_config_selectorILNS1_17partition_subalgoE1ExNS0_10empty_typeEbEEZZNS1_14partition_implILS5_1ELb0ES3_jN6thrust23THRUST_200600_302600_NS6detail15normal_iteratorINSA_10device_ptrIxEEEEPS6_NSA_18transform_iteratorI7is_evenIxESF_NSA_11use_defaultESK_EENS0_5tupleIJSF_SF_EEENSM_IJSG_SG_EEES6_PlJS6_EEE10hipError_tPvRmT3_T4_T5_T6_T7_T9_mT8_P12ihipStream_tbDpT10_ENKUlT_T0_E_clISt17integral_constantIbLb0EES19_EEDaS14_S15_EUlS14_E_NS1_11comp_targetILNS1_3genE8ELNS1_11target_archE1030ELNS1_3gpuE2ELNS1_3repE0EEENS1_30default_config_static_selectorELNS0_4arch9wavefront6targetE1EEEvT1_ ; -- Begin function _ZN7rocprim17ROCPRIM_400000_NS6detail17trampoline_kernelINS0_14default_configENS1_25partition_config_selectorILNS1_17partition_subalgoE1ExNS0_10empty_typeEbEEZZNS1_14partition_implILS5_1ELb0ES3_jN6thrust23THRUST_200600_302600_NS6detail15normal_iteratorINSA_10device_ptrIxEEEEPS6_NSA_18transform_iteratorI7is_evenIxESF_NSA_11use_defaultESK_EENS0_5tupleIJSF_SF_EEENSM_IJSG_SG_EEES6_PlJS6_EEE10hipError_tPvRmT3_T4_T5_T6_T7_T9_mT8_P12ihipStream_tbDpT10_ENKUlT_T0_E_clISt17integral_constantIbLb0EES19_EEDaS14_S15_EUlS14_E_NS1_11comp_targetILNS1_3genE8ELNS1_11target_archE1030ELNS1_3gpuE2ELNS1_3repE0EEENS1_30default_config_static_selectorELNS0_4arch9wavefront6targetE1EEEvT1_
	.globl	_ZN7rocprim17ROCPRIM_400000_NS6detail17trampoline_kernelINS0_14default_configENS1_25partition_config_selectorILNS1_17partition_subalgoE1ExNS0_10empty_typeEbEEZZNS1_14partition_implILS5_1ELb0ES3_jN6thrust23THRUST_200600_302600_NS6detail15normal_iteratorINSA_10device_ptrIxEEEEPS6_NSA_18transform_iteratorI7is_evenIxESF_NSA_11use_defaultESK_EENS0_5tupleIJSF_SF_EEENSM_IJSG_SG_EEES6_PlJS6_EEE10hipError_tPvRmT3_T4_T5_T6_T7_T9_mT8_P12ihipStream_tbDpT10_ENKUlT_T0_E_clISt17integral_constantIbLb0EES19_EEDaS14_S15_EUlS14_E_NS1_11comp_targetILNS1_3genE8ELNS1_11target_archE1030ELNS1_3gpuE2ELNS1_3repE0EEENS1_30default_config_static_selectorELNS0_4arch9wavefront6targetE1EEEvT1_
	.p2align	8
	.type	_ZN7rocprim17ROCPRIM_400000_NS6detail17trampoline_kernelINS0_14default_configENS1_25partition_config_selectorILNS1_17partition_subalgoE1ExNS0_10empty_typeEbEEZZNS1_14partition_implILS5_1ELb0ES3_jN6thrust23THRUST_200600_302600_NS6detail15normal_iteratorINSA_10device_ptrIxEEEEPS6_NSA_18transform_iteratorI7is_evenIxESF_NSA_11use_defaultESK_EENS0_5tupleIJSF_SF_EEENSM_IJSG_SG_EEES6_PlJS6_EEE10hipError_tPvRmT3_T4_T5_T6_T7_T9_mT8_P12ihipStream_tbDpT10_ENKUlT_T0_E_clISt17integral_constantIbLb0EES19_EEDaS14_S15_EUlS14_E_NS1_11comp_targetILNS1_3genE8ELNS1_11target_archE1030ELNS1_3gpuE2ELNS1_3repE0EEENS1_30default_config_static_selectorELNS0_4arch9wavefront6targetE1EEEvT1_,@function
_ZN7rocprim17ROCPRIM_400000_NS6detail17trampoline_kernelINS0_14default_configENS1_25partition_config_selectorILNS1_17partition_subalgoE1ExNS0_10empty_typeEbEEZZNS1_14partition_implILS5_1ELb0ES3_jN6thrust23THRUST_200600_302600_NS6detail15normal_iteratorINSA_10device_ptrIxEEEEPS6_NSA_18transform_iteratorI7is_evenIxESF_NSA_11use_defaultESK_EENS0_5tupleIJSF_SF_EEENSM_IJSG_SG_EEES6_PlJS6_EEE10hipError_tPvRmT3_T4_T5_T6_T7_T9_mT8_P12ihipStream_tbDpT10_ENKUlT_T0_E_clISt17integral_constantIbLb0EES19_EEDaS14_S15_EUlS14_E_NS1_11comp_targetILNS1_3genE8ELNS1_11target_archE1030ELNS1_3gpuE2ELNS1_3repE0EEENS1_30default_config_static_selectorELNS0_4arch9wavefront6targetE1EEEvT1_: ; @_ZN7rocprim17ROCPRIM_400000_NS6detail17trampoline_kernelINS0_14default_configENS1_25partition_config_selectorILNS1_17partition_subalgoE1ExNS0_10empty_typeEbEEZZNS1_14partition_implILS5_1ELb0ES3_jN6thrust23THRUST_200600_302600_NS6detail15normal_iteratorINSA_10device_ptrIxEEEEPS6_NSA_18transform_iteratorI7is_evenIxESF_NSA_11use_defaultESK_EENS0_5tupleIJSF_SF_EEENSM_IJSG_SG_EEES6_PlJS6_EEE10hipError_tPvRmT3_T4_T5_T6_T7_T9_mT8_P12ihipStream_tbDpT10_ENKUlT_T0_E_clISt17integral_constantIbLb0EES19_EEDaS14_S15_EUlS14_E_NS1_11comp_targetILNS1_3genE8ELNS1_11target_archE1030ELNS1_3gpuE2ELNS1_3repE0EEENS1_30default_config_static_selectorELNS0_4arch9wavefront6targetE1EEEvT1_
; %bb.0:
	.section	.rodata,"a",@progbits
	.p2align	6, 0x0
	.amdhsa_kernel _ZN7rocprim17ROCPRIM_400000_NS6detail17trampoline_kernelINS0_14default_configENS1_25partition_config_selectorILNS1_17partition_subalgoE1ExNS0_10empty_typeEbEEZZNS1_14partition_implILS5_1ELb0ES3_jN6thrust23THRUST_200600_302600_NS6detail15normal_iteratorINSA_10device_ptrIxEEEEPS6_NSA_18transform_iteratorI7is_evenIxESF_NSA_11use_defaultESK_EENS0_5tupleIJSF_SF_EEENSM_IJSG_SG_EEES6_PlJS6_EEE10hipError_tPvRmT3_T4_T5_T6_T7_T9_mT8_P12ihipStream_tbDpT10_ENKUlT_T0_E_clISt17integral_constantIbLb0EES19_EEDaS14_S15_EUlS14_E_NS1_11comp_targetILNS1_3genE8ELNS1_11target_archE1030ELNS1_3gpuE2ELNS1_3repE0EEENS1_30default_config_static_selectorELNS0_4arch9wavefront6targetE1EEEvT1_
		.amdhsa_group_segment_fixed_size 0
		.amdhsa_private_segment_fixed_size 0
		.amdhsa_kernarg_size 128
		.amdhsa_user_sgpr_count 2
		.amdhsa_user_sgpr_dispatch_ptr 0
		.amdhsa_user_sgpr_queue_ptr 0
		.amdhsa_user_sgpr_kernarg_segment_ptr 1
		.amdhsa_user_sgpr_dispatch_id 0
		.amdhsa_user_sgpr_kernarg_preload_length 0
		.amdhsa_user_sgpr_kernarg_preload_offset 0
		.amdhsa_user_sgpr_private_segment_size 0
		.amdhsa_uses_dynamic_stack 0
		.amdhsa_enable_private_segment 0
		.amdhsa_system_sgpr_workgroup_id_x 1
		.amdhsa_system_sgpr_workgroup_id_y 0
		.amdhsa_system_sgpr_workgroup_id_z 0
		.amdhsa_system_sgpr_workgroup_info 0
		.amdhsa_system_vgpr_workitem_id 0
		.amdhsa_next_free_vgpr 1
		.amdhsa_next_free_sgpr 0
		.amdhsa_accum_offset 4
		.amdhsa_reserve_vcc 0
		.amdhsa_float_round_mode_32 0
		.amdhsa_float_round_mode_16_64 0
		.amdhsa_float_denorm_mode_32 3
		.amdhsa_float_denorm_mode_16_64 3
		.amdhsa_dx10_clamp 1
		.amdhsa_ieee_mode 1
		.amdhsa_fp16_overflow 0
		.amdhsa_tg_split 0
		.amdhsa_exception_fp_ieee_invalid_op 0
		.amdhsa_exception_fp_denorm_src 0
		.amdhsa_exception_fp_ieee_div_zero 0
		.amdhsa_exception_fp_ieee_overflow 0
		.amdhsa_exception_fp_ieee_underflow 0
		.amdhsa_exception_fp_ieee_inexact 0
		.amdhsa_exception_int_div_zero 0
	.end_amdhsa_kernel
	.section	.text._ZN7rocprim17ROCPRIM_400000_NS6detail17trampoline_kernelINS0_14default_configENS1_25partition_config_selectorILNS1_17partition_subalgoE1ExNS0_10empty_typeEbEEZZNS1_14partition_implILS5_1ELb0ES3_jN6thrust23THRUST_200600_302600_NS6detail15normal_iteratorINSA_10device_ptrIxEEEEPS6_NSA_18transform_iteratorI7is_evenIxESF_NSA_11use_defaultESK_EENS0_5tupleIJSF_SF_EEENSM_IJSG_SG_EEES6_PlJS6_EEE10hipError_tPvRmT3_T4_T5_T6_T7_T9_mT8_P12ihipStream_tbDpT10_ENKUlT_T0_E_clISt17integral_constantIbLb0EES19_EEDaS14_S15_EUlS14_E_NS1_11comp_targetILNS1_3genE8ELNS1_11target_archE1030ELNS1_3gpuE2ELNS1_3repE0EEENS1_30default_config_static_selectorELNS0_4arch9wavefront6targetE1EEEvT1_,"axG",@progbits,_ZN7rocprim17ROCPRIM_400000_NS6detail17trampoline_kernelINS0_14default_configENS1_25partition_config_selectorILNS1_17partition_subalgoE1ExNS0_10empty_typeEbEEZZNS1_14partition_implILS5_1ELb0ES3_jN6thrust23THRUST_200600_302600_NS6detail15normal_iteratorINSA_10device_ptrIxEEEEPS6_NSA_18transform_iteratorI7is_evenIxESF_NSA_11use_defaultESK_EENS0_5tupleIJSF_SF_EEENSM_IJSG_SG_EEES6_PlJS6_EEE10hipError_tPvRmT3_T4_T5_T6_T7_T9_mT8_P12ihipStream_tbDpT10_ENKUlT_T0_E_clISt17integral_constantIbLb0EES19_EEDaS14_S15_EUlS14_E_NS1_11comp_targetILNS1_3genE8ELNS1_11target_archE1030ELNS1_3gpuE2ELNS1_3repE0EEENS1_30default_config_static_selectorELNS0_4arch9wavefront6targetE1EEEvT1_,comdat
.Lfunc_end392:
	.size	_ZN7rocprim17ROCPRIM_400000_NS6detail17trampoline_kernelINS0_14default_configENS1_25partition_config_selectorILNS1_17partition_subalgoE1ExNS0_10empty_typeEbEEZZNS1_14partition_implILS5_1ELb0ES3_jN6thrust23THRUST_200600_302600_NS6detail15normal_iteratorINSA_10device_ptrIxEEEEPS6_NSA_18transform_iteratorI7is_evenIxESF_NSA_11use_defaultESK_EENS0_5tupleIJSF_SF_EEENSM_IJSG_SG_EEES6_PlJS6_EEE10hipError_tPvRmT3_T4_T5_T6_T7_T9_mT8_P12ihipStream_tbDpT10_ENKUlT_T0_E_clISt17integral_constantIbLb0EES19_EEDaS14_S15_EUlS14_E_NS1_11comp_targetILNS1_3genE8ELNS1_11target_archE1030ELNS1_3gpuE2ELNS1_3repE0EEENS1_30default_config_static_selectorELNS0_4arch9wavefront6targetE1EEEvT1_, .Lfunc_end392-_ZN7rocprim17ROCPRIM_400000_NS6detail17trampoline_kernelINS0_14default_configENS1_25partition_config_selectorILNS1_17partition_subalgoE1ExNS0_10empty_typeEbEEZZNS1_14partition_implILS5_1ELb0ES3_jN6thrust23THRUST_200600_302600_NS6detail15normal_iteratorINSA_10device_ptrIxEEEEPS6_NSA_18transform_iteratorI7is_evenIxESF_NSA_11use_defaultESK_EENS0_5tupleIJSF_SF_EEENSM_IJSG_SG_EEES6_PlJS6_EEE10hipError_tPvRmT3_T4_T5_T6_T7_T9_mT8_P12ihipStream_tbDpT10_ENKUlT_T0_E_clISt17integral_constantIbLb0EES19_EEDaS14_S15_EUlS14_E_NS1_11comp_targetILNS1_3genE8ELNS1_11target_archE1030ELNS1_3gpuE2ELNS1_3repE0EEENS1_30default_config_static_selectorELNS0_4arch9wavefront6targetE1EEEvT1_
                                        ; -- End function
	.section	.AMDGPU.csdata,"",@progbits
; Kernel info:
; codeLenInByte = 0
; NumSgprs: 6
; NumVgprs: 0
; NumAgprs: 0
; TotalNumVgprs: 0
; ScratchSize: 0
; MemoryBound: 0
; FloatMode: 240
; IeeeMode: 1
; LDSByteSize: 0 bytes/workgroup (compile time only)
; SGPRBlocks: 0
; VGPRBlocks: 0
; NumSGPRsForWavesPerEU: 6
; NumVGPRsForWavesPerEU: 1
; AccumOffset: 4
; Occupancy: 8
; WaveLimiterHint : 0
; COMPUTE_PGM_RSRC2:SCRATCH_EN: 0
; COMPUTE_PGM_RSRC2:USER_SGPR: 2
; COMPUTE_PGM_RSRC2:TRAP_HANDLER: 0
; COMPUTE_PGM_RSRC2:TGID_X_EN: 1
; COMPUTE_PGM_RSRC2:TGID_Y_EN: 0
; COMPUTE_PGM_RSRC2:TGID_Z_EN: 0
; COMPUTE_PGM_RSRC2:TIDIG_COMP_CNT: 0
; COMPUTE_PGM_RSRC3_GFX90A:ACCUM_OFFSET: 0
; COMPUTE_PGM_RSRC3_GFX90A:TG_SPLIT: 0
	.section	.text._ZN7rocprim17ROCPRIM_400000_NS6detail17trampoline_kernelINS0_14default_configENS1_25partition_config_selectorILNS1_17partition_subalgoE1ExNS0_10empty_typeEbEEZZNS1_14partition_implILS5_1ELb0ES3_jN6thrust23THRUST_200600_302600_NS6detail15normal_iteratorINSA_10device_ptrIxEEEEPS6_NSA_18transform_iteratorI7is_evenIxESF_NSA_11use_defaultESK_EENS0_5tupleIJSF_SF_EEENSM_IJSG_SG_EEES6_PlJS6_EEE10hipError_tPvRmT3_T4_T5_T6_T7_T9_mT8_P12ihipStream_tbDpT10_ENKUlT_T0_E_clISt17integral_constantIbLb1EES19_EEDaS14_S15_EUlS14_E_NS1_11comp_targetILNS1_3genE0ELNS1_11target_archE4294967295ELNS1_3gpuE0ELNS1_3repE0EEENS1_30default_config_static_selectorELNS0_4arch9wavefront6targetE1EEEvT1_,"axG",@progbits,_ZN7rocprim17ROCPRIM_400000_NS6detail17trampoline_kernelINS0_14default_configENS1_25partition_config_selectorILNS1_17partition_subalgoE1ExNS0_10empty_typeEbEEZZNS1_14partition_implILS5_1ELb0ES3_jN6thrust23THRUST_200600_302600_NS6detail15normal_iteratorINSA_10device_ptrIxEEEEPS6_NSA_18transform_iteratorI7is_evenIxESF_NSA_11use_defaultESK_EENS0_5tupleIJSF_SF_EEENSM_IJSG_SG_EEES6_PlJS6_EEE10hipError_tPvRmT3_T4_T5_T6_T7_T9_mT8_P12ihipStream_tbDpT10_ENKUlT_T0_E_clISt17integral_constantIbLb1EES19_EEDaS14_S15_EUlS14_E_NS1_11comp_targetILNS1_3genE0ELNS1_11target_archE4294967295ELNS1_3gpuE0ELNS1_3repE0EEENS1_30default_config_static_selectorELNS0_4arch9wavefront6targetE1EEEvT1_,comdat
	.protected	_ZN7rocprim17ROCPRIM_400000_NS6detail17trampoline_kernelINS0_14default_configENS1_25partition_config_selectorILNS1_17partition_subalgoE1ExNS0_10empty_typeEbEEZZNS1_14partition_implILS5_1ELb0ES3_jN6thrust23THRUST_200600_302600_NS6detail15normal_iteratorINSA_10device_ptrIxEEEEPS6_NSA_18transform_iteratorI7is_evenIxESF_NSA_11use_defaultESK_EENS0_5tupleIJSF_SF_EEENSM_IJSG_SG_EEES6_PlJS6_EEE10hipError_tPvRmT3_T4_T5_T6_T7_T9_mT8_P12ihipStream_tbDpT10_ENKUlT_T0_E_clISt17integral_constantIbLb1EES19_EEDaS14_S15_EUlS14_E_NS1_11comp_targetILNS1_3genE0ELNS1_11target_archE4294967295ELNS1_3gpuE0ELNS1_3repE0EEENS1_30default_config_static_selectorELNS0_4arch9wavefront6targetE1EEEvT1_ ; -- Begin function _ZN7rocprim17ROCPRIM_400000_NS6detail17trampoline_kernelINS0_14default_configENS1_25partition_config_selectorILNS1_17partition_subalgoE1ExNS0_10empty_typeEbEEZZNS1_14partition_implILS5_1ELb0ES3_jN6thrust23THRUST_200600_302600_NS6detail15normal_iteratorINSA_10device_ptrIxEEEEPS6_NSA_18transform_iteratorI7is_evenIxESF_NSA_11use_defaultESK_EENS0_5tupleIJSF_SF_EEENSM_IJSG_SG_EEES6_PlJS6_EEE10hipError_tPvRmT3_T4_T5_T6_T7_T9_mT8_P12ihipStream_tbDpT10_ENKUlT_T0_E_clISt17integral_constantIbLb1EES19_EEDaS14_S15_EUlS14_E_NS1_11comp_targetILNS1_3genE0ELNS1_11target_archE4294967295ELNS1_3gpuE0ELNS1_3repE0EEENS1_30default_config_static_selectorELNS0_4arch9wavefront6targetE1EEEvT1_
	.globl	_ZN7rocprim17ROCPRIM_400000_NS6detail17trampoline_kernelINS0_14default_configENS1_25partition_config_selectorILNS1_17partition_subalgoE1ExNS0_10empty_typeEbEEZZNS1_14partition_implILS5_1ELb0ES3_jN6thrust23THRUST_200600_302600_NS6detail15normal_iteratorINSA_10device_ptrIxEEEEPS6_NSA_18transform_iteratorI7is_evenIxESF_NSA_11use_defaultESK_EENS0_5tupleIJSF_SF_EEENSM_IJSG_SG_EEES6_PlJS6_EEE10hipError_tPvRmT3_T4_T5_T6_T7_T9_mT8_P12ihipStream_tbDpT10_ENKUlT_T0_E_clISt17integral_constantIbLb1EES19_EEDaS14_S15_EUlS14_E_NS1_11comp_targetILNS1_3genE0ELNS1_11target_archE4294967295ELNS1_3gpuE0ELNS1_3repE0EEENS1_30default_config_static_selectorELNS0_4arch9wavefront6targetE1EEEvT1_
	.p2align	8
	.type	_ZN7rocprim17ROCPRIM_400000_NS6detail17trampoline_kernelINS0_14default_configENS1_25partition_config_selectorILNS1_17partition_subalgoE1ExNS0_10empty_typeEbEEZZNS1_14partition_implILS5_1ELb0ES3_jN6thrust23THRUST_200600_302600_NS6detail15normal_iteratorINSA_10device_ptrIxEEEEPS6_NSA_18transform_iteratorI7is_evenIxESF_NSA_11use_defaultESK_EENS0_5tupleIJSF_SF_EEENSM_IJSG_SG_EEES6_PlJS6_EEE10hipError_tPvRmT3_T4_T5_T6_T7_T9_mT8_P12ihipStream_tbDpT10_ENKUlT_T0_E_clISt17integral_constantIbLb1EES19_EEDaS14_S15_EUlS14_E_NS1_11comp_targetILNS1_3genE0ELNS1_11target_archE4294967295ELNS1_3gpuE0ELNS1_3repE0EEENS1_30default_config_static_selectorELNS0_4arch9wavefront6targetE1EEEvT1_,@function
_ZN7rocprim17ROCPRIM_400000_NS6detail17trampoline_kernelINS0_14default_configENS1_25partition_config_selectorILNS1_17partition_subalgoE1ExNS0_10empty_typeEbEEZZNS1_14partition_implILS5_1ELb0ES3_jN6thrust23THRUST_200600_302600_NS6detail15normal_iteratorINSA_10device_ptrIxEEEEPS6_NSA_18transform_iteratorI7is_evenIxESF_NSA_11use_defaultESK_EENS0_5tupleIJSF_SF_EEENSM_IJSG_SG_EEES6_PlJS6_EEE10hipError_tPvRmT3_T4_T5_T6_T7_T9_mT8_P12ihipStream_tbDpT10_ENKUlT_T0_E_clISt17integral_constantIbLb1EES19_EEDaS14_S15_EUlS14_E_NS1_11comp_targetILNS1_3genE0ELNS1_11target_archE4294967295ELNS1_3gpuE0ELNS1_3repE0EEENS1_30default_config_static_selectorELNS0_4arch9wavefront6targetE1EEEvT1_: ; @_ZN7rocprim17ROCPRIM_400000_NS6detail17trampoline_kernelINS0_14default_configENS1_25partition_config_selectorILNS1_17partition_subalgoE1ExNS0_10empty_typeEbEEZZNS1_14partition_implILS5_1ELb0ES3_jN6thrust23THRUST_200600_302600_NS6detail15normal_iteratorINSA_10device_ptrIxEEEEPS6_NSA_18transform_iteratorI7is_evenIxESF_NSA_11use_defaultESK_EENS0_5tupleIJSF_SF_EEENSM_IJSG_SG_EEES6_PlJS6_EEE10hipError_tPvRmT3_T4_T5_T6_T7_T9_mT8_P12ihipStream_tbDpT10_ENKUlT_T0_E_clISt17integral_constantIbLb1EES19_EEDaS14_S15_EUlS14_E_NS1_11comp_targetILNS1_3genE0ELNS1_11target_archE4294967295ELNS1_3gpuE0ELNS1_3repE0EEENS1_30default_config_static_selectorELNS0_4arch9wavefront6targetE1EEEvT1_
; %bb.0:
	.section	.rodata,"a",@progbits
	.p2align	6, 0x0
	.amdhsa_kernel _ZN7rocprim17ROCPRIM_400000_NS6detail17trampoline_kernelINS0_14default_configENS1_25partition_config_selectorILNS1_17partition_subalgoE1ExNS0_10empty_typeEbEEZZNS1_14partition_implILS5_1ELb0ES3_jN6thrust23THRUST_200600_302600_NS6detail15normal_iteratorINSA_10device_ptrIxEEEEPS6_NSA_18transform_iteratorI7is_evenIxESF_NSA_11use_defaultESK_EENS0_5tupleIJSF_SF_EEENSM_IJSG_SG_EEES6_PlJS6_EEE10hipError_tPvRmT3_T4_T5_T6_T7_T9_mT8_P12ihipStream_tbDpT10_ENKUlT_T0_E_clISt17integral_constantIbLb1EES19_EEDaS14_S15_EUlS14_E_NS1_11comp_targetILNS1_3genE0ELNS1_11target_archE4294967295ELNS1_3gpuE0ELNS1_3repE0EEENS1_30default_config_static_selectorELNS0_4arch9wavefront6targetE1EEEvT1_
		.amdhsa_group_segment_fixed_size 0
		.amdhsa_private_segment_fixed_size 0
		.amdhsa_kernarg_size 144
		.amdhsa_user_sgpr_count 2
		.amdhsa_user_sgpr_dispatch_ptr 0
		.amdhsa_user_sgpr_queue_ptr 0
		.amdhsa_user_sgpr_kernarg_segment_ptr 1
		.amdhsa_user_sgpr_dispatch_id 0
		.amdhsa_user_sgpr_kernarg_preload_length 0
		.amdhsa_user_sgpr_kernarg_preload_offset 0
		.amdhsa_user_sgpr_private_segment_size 0
		.amdhsa_uses_dynamic_stack 0
		.amdhsa_enable_private_segment 0
		.amdhsa_system_sgpr_workgroup_id_x 1
		.amdhsa_system_sgpr_workgroup_id_y 0
		.amdhsa_system_sgpr_workgroup_id_z 0
		.amdhsa_system_sgpr_workgroup_info 0
		.amdhsa_system_vgpr_workitem_id 0
		.amdhsa_next_free_vgpr 1
		.amdhsa_next_free_sgpr 0
		.amdhsa_accum_offset 4
		.amdhsa_reserve_vcc 0
		.amdhsa_float_round_mode_32 0
		.amdhsa_float_round_mode_16_64 0
		.amdhsa_float_denorm_mode_32 3
		.amdhsa_float_denorm_mode_16_64 3
		.amdhsa_dx10_clamp 1
		.amdhsa_ieee_mode 1
		.amdhsa_fp16_overflow 0
		.amdhsa_tg_split 0
		.amdhsa_exception_fp_ieee_invalid_op 0
		.amdhsa_exception_fp_denorm_src 0
		.amdhsa_exception_fp_ieee_div_zero 0
		.amdhsa_exception_fp_ieee_overflow 0
		.amdhsa_exception_fp_ieee_underflow 0
		.amdhsa_exception_fp_ieee_inexact 0
		.amdhsa_exception_int_div_zero 0
	.end_amdhsa_kernel
	.section	.text._ZN7rocprim17ROCPRIM_400000_NS6detail17trampoline_kernelINS0_14default_configENS1_25partition_config_selectorILNS1_17partition_subalgoE1ExNS0_10empty_typeEbEEZZNS1_14partition_implILS5_1ELb0ES3_jN6thrust23THRUST_200600_302600_NS6detail15normal_iteratorINSA_10device_ptrIxEEEEPS6_NSA_18transform_iteratorI7is_evenIxESF_NSA_11use_defaultESK_EENS0_5tupleIJSF_SF_EEENSM_IJSG_SG_EEES6_PlJS6_EEE10hipError_tPvRmT3_T4_T5_T6_T7_T9_mT8_P12ihipStream_tbDpT10_ENKUlT_T0_E_clISt17integral_constantIbLb1EES19_EEDaS14_S15_EUlS14_E_NS1_11comp_targetILNS1_3genE0ELNS1_11target_archE4294967295ELNS1_3gpuE0ELNS1_3repE0EEENS1_30default_config_static_selectorELNS0_4arch9wavefront6targetE1EEEvT1_,"axG",@progbits,_ZN7rocprim17ROCPRIM_400000_NS6detail17trampoline_kernelINS0_14default_configENS1_25partition_config_selectorILNS1_17partition_subalgoE1ExNS0_10empty_typeEbEEZZNS1_14partition_implILS5_1ELb0ES3_jN6thrust23THRUST_200600_302600_NS6detail15normal_iteratorINSA_10device_ptrIxEEEEPS6_NSA_18transform_iteratorI7is_evenIxESF_NSA_11use_defaultESK_EENS0_5tupleIJSF_SF_EEENSM_IJSG_SG_EEES6_PlJS6_EEE10hipError_tPvRmT3_T4_T5_T6_T7_T9_mT8_P12ihipStream_tbDpT10_ENKUlT_T0_E_clISt17integral_constantIbLb1EES19_EEDaS14_S15_EUlS14_E_NS1_11comp_targetILNS1_3genE0ELNS1_11target_archE4294967295ELNS1_3gpuE0ELNS1_3repE0EEENS1_30default_config_static_selectorELNS0_4arch9wavefront6targetE1EEEvT1_,comdat
.Lfunc_end393:
	.size	_ZN7rocprim17ROCPRIM_400000_NS6detail17trampoline_kernelINS0_14default_configENS1_25partition_config_selectorILNS1_17partition_subalgoE1ExNS0_10empty_typeEbEEZZNS1_14partition_implILS5_1ELb0ES3_jN6thrust23THRUST_200600_302600_NS6detail15normal_iteratorINSA_10device_ptrIxEEEEPS6_NSA_18transform_iteratorI7is_evenIxESF_NSA_11use_defaultESK_EENS0_5tupleIJSF_SF_EEENSM_IJSG_SG_EEES6_PlJS6_EEE10hipError_tPvRmT3_T4_T5_T6_T7_T9_mT8_P12ihipStream_tbDpT10_ENKUlT_T0_E_clISt17integral_constantIbLb1EES19_EEDaS14_S15_EUlS14_E_NS1_11comp_targetILNS1_3genE0ELNS1_11target_archE4294967295ELNS1_3gpuE0ELNS1_3repE0EEENS1_30default_config_static_selectorELNS0_4arch9wavefront6targetE1EEEvT1_, .Lfunc_end393-_ZN7rocprim17ROCPRIM_400000_NS6detail17trampoline_kernelINS0_14default_configENS1_25partition_config_selectorILNS1_17partition_subalgoE1ExNS0_10empty_typeEbEEZZNS1_14partition_implILS5_1ELb0ES3_jN6thrust23THRUST_200600_302600_NS6detail15normal_iteratorINSA_10device_ptrIxEEEEPS6_NSA_18transform_iteratorI7is_evenIxESF_NSA_11use_defaultESK_EENS0_5tupleIJSF_SF_EEENSM_IJSG_SG_EEES6_PlJS6_EEE10hipError_tPvRmT3_T4_T5_T6_T7_T9_mT8_P12ihipStream_tbDpT10_ENKUlT_T0_E_clISt17integral_constantIbLb1EES19_EEDaS14_S15_EUlS14_E_NS1_11comp_targetILNS1_3genE0ELNS1_11target_archE4294967295ELNS1_3gpuE0ELNS1_3repE0EEENS1_30default_config_static_selectorELNS0_4arch9wavefront6targetE1EEEvT1_
                                        ; -- End function
	.section	.AMDGPU.csdata,"",@progbits
; Kernel info:
; codeLenInByte = 0
; NumSgprs: 6
; NumVgprs: 0
; NumAgprs: 0
; TotalNumVgprs: 0
; ScratchSize: 0
; MemoryBound: 0
; FloatMode: 240
; IeeeMode: 1
; LDSByteSize: 0 bytes/workgroup (compile time only)
; SGPRBlocks: 0
; VGPRBlocks: 0
; NumSGPRsForWavesPerEU: 6
; NumVGPRsForWavesPerEU: 1
; AccumOffset: 4
; Occupancy: 8
; WaveLimiterHint : 0
; COMPUTE_PGM_RSRC2:SCRATCH_EN: 0
; COMPUTE_PGM_RSRC2:USER_SGPR: 2
; COMPUTE_PGM_RSRC2:TRAP_HANDLER: 0
; COMPUTE_PGM_RSRC2:TGID_X_EN: 1
; COMPUTE_PGM_RSRC2:TGID_Y_EN: 0
; COMPUTE_PGM_RSRC2:TGID_Z_EN: 0
; COMPUTE_PGM_RSRC2:TIDIG_COMP_CNT: 0
; COMPUTE_PGM_RSRC3_GFX90A:ACCUM_OFFSET: 0
; COMPUTE_PGM_RSRC3_GFX90A:TG_SPLIT: 0
	.section	.text._ZN7rocprim17ROCPRIM_400000_NS6detail17trampoline_kernelINS0_14default_configENS1_25partition_config_selectorILNS1_17partition_subalgoE1ExNS0_10empty_typeEbEEZZNS1_14partition_implILS5_1ELb0ES3_jN6thrust23THRUST_200600_302600_NS6detail15normal_iteratorINSA_10device_ptrIxEEEEPS6_NSA_18transform_iteratorI7is_evenIxESF_NSA_11use_defaultESK_EENS0_5tupleIJSF_SF_EEENSM_IJSG_SG_EEES6_PlJS6_EEE10hipError_tPvRmT3_T4_T5_T6_T7_T9_mT8_P12ihipStream_tbDpT10_ENKUlT_T0_E_clISt17integral_constantIbLb1EES19_EEDaS14_S15_EUlS14_E_NS1_11comp_targetILNS1_3genE5ELNS1_11target_archE942ELNS1_3gpuE9ELNS1_3repE0EEENS1_30default_config_static_selectorELNS0_4arch9wavefront6targetE1EEEvT1_,"axG",@progbits,_ZN7rocprim17ROCPRIM_400000_NS6detail17trampoline_kernelINS0_14default_configENS1_25partition_config_selectorILNS1_17partition_subalgoE1ExNS0_10empty_typeEbEEZZNS1_14partition_implILS5_1ELb0ES3_jN6thrust23THRUST_200600_302600_NS6detail15normal_iteratorINSA_10device_ptrIxEEEEPS6_NSA_18transform_iteratorI7is_evenIxESF_NSA_11use_defaultESK_EENS0_5tupleIJSF_SF_EEENSM_IJSG_SG_EEES6_PlJS6_EEE10hipError_tPvRmT3_T4_T5_T6_T7_T9_mT8_P12ihipStream_tbDpT10_ENKUlT_T0_E_clISt17integral_constantIbLb1EES19_EEDaS14_S15_EUlS14_E_NS1_11comp_targetILNS1_3genE5ELNS1_11target_archE942ELNS1_3gpuE9ELNS1_3repE0EEENS1_30default_config_static_selectorELNS0_4arch9wavefront6targetE1EEEvT1_,comdat
	.protected	_ZN7rocprim17ROCPRIM_400000_NS6detail17trampoline_kernelINS0_14default_configENS1_25partition_config_selectorILNS1_17partition_subalgoE1ExNS0_10empty_typeEbEEZZNS1_14partition_implILS5_1ELb0ES3_jN6thrust23THRUST_200600_302600_NS6detail15normal_iteratorINSA_10device_ptrIxEEEEPS6_NSA_18transform_iteratorI7is_evenIxESF_NSA_11use_defaultESK_EENS0_5tupleIJSF_SF_EEENSM_IJSG_SG_EEES6_PlJS6_EEE10hipError_tPvRmT3_T4_T5_T6_T7_T9_mT8_P12ihipStream_tbDpT10_ENKUlT_T0_E_clISt17integral_constantIbLb1EES19_EEDaS14_S15_EUlS14_E_NS1_11comp_targetILNS1_3genE5ELNS1_11target_archE942ELNS1_3gpuE9ELNS1_3repE0EEENS1_30default_config_static_selectorELNS0_4arch9wavefront6targetE1EEEvT1_ ; -- Begin function _ZN7rocprim17ROCPRIM_400000_NS6detail17trampoline_kernelINS0_14default_configENS1_25partition_config_selectorILNS1_17partition_subalgoE1ExNS0_10empty_typeEbEEZZNS1_14partition_implILS5_1ELb0ES3_jN6thrust23THRUST_200600_302600_NS6detail15normal_iteratorINSA_10device_ptrIxEEEEPS6_NSA_18transform_iteratorI7is_evenIxESF_NSA_11use_defaultESK_EENS0_5tupleIJSF_SF_EEENSM_IJSG_SG_EEES6_PlJS6_EEE10hipError_tPvRmT3_T4_T5_T6_T7_T9_mT8_P12ihipStream_tbDpT10_ENKUlT_T0_E_clISt17integral_constantIbLb1EES19_EEDaS14_S15_EUlS14_E_NS1_11comp_targetILNS1_3genE5ELNS1_11target_archE942ELNS1_3gpuE9ELNS1_3repE0EEENS1_30default_config_static_selectorELNS0_4arch9wavefront6targetE1EEEvT1_
	.globl	_ZN7rocprim17ROCPRIM_400000_NS6detail17trampoline_kernelINS0_14default_configENS1_25partition_config_selectorILNS1_17partition_subalgoE1ExNS0_10empty_typeEbEEZZNS1_14partition_implILS5_1ELb0ES3_jN6thrust23THRUST_200600_302600_NS6detail15normal_iteratorINSA_10device_ptrIxEEEEPS6_NSA_18transform_iteratorI7is_evenIxESF_NSA_11use_defaultESK_EENS0_5tupleIJSF_SF_EEENSM_IJSG_SG_EEES6_PlJS6_EEE10hipError_tPvRmT3_T4_T5_T6_T7_T9_mT8_P12ihipStream_tbDpT10_ENKUlT_T0_E_clISt17integral_constantIbLb1EES19_EEDaS14_S15_EUlS14_E_NS1_11comp_targetILNS1_3genE5ELNS1_11target_archE942ELNS1_3gpuE9ELNS1_3repE0EEENS1_30default_config_static_selectorELNS0_4arch9wavefront6targetE1EEEvT1_
	.p2align	8
	.type	_ZN7rocprim17ROCPRIM_400000_NS6detail17trampoline_kernelINS0_14default_configENS1_25partition_config_selectorILNS1_17partition_subalgoE1ExNS0_10empty_typeEbEEZZNS1_14partition_implILS5_1ELb0ES3_jN6thrust23THRUST_200600_302600_NS6detail15normal_iteratorINSA_10device_ptrIxEEEEPS6_NSA_18transform_iteratorI7is_evenIxESF_NSA_11use_defaultESK_EENS0_5tupleIJSF_SF_EEENSM_IJSG_SG_EEES6_PlJS6_EEE10hipError_tPvRmT3_T4_T5_T6_T7_T9_mT8_P12ihipStream_tbDpT10_ENKUlT_T0_E_clISt17integral_constantIbLb1EES19_EEDaS14_S15_EUlS14_E_NS1_11comp_targetILNS1_3genE5ELNS1_11target_archE942ELNS1_3gpuE9ELNS1_3repE0EEENS1_30default_config_static_selectorELNS0_4arch9wavefront6targetE1EEEvT1_,@function
_ZN7rocprim17ROCPRIM_400000_NS6detail17trampoline_kernelINS0_14default_configENS1_25partition_config_selectorILNS1_17partition_subalgoE1ExNS0_10empty_typeEbEEZZNS1_14partition_implILS5_1ELb0ES3_jN6thrust23THRUST_200600_302600_NS6detail15normal_iteratorINSA_10device_ptrIxEEEEPS6_NSA_18transform_iteratorI7is_evenIxESF_NSA_11use_defaultESK_EENS0_5tupleIJSF_SF_EEENSM_IJSG_SG_EEES6_PlJS6_EEE10hipError_tPvRmT3_T4_T5_T6_T7_T9_mT8_P12ihipStream_tbDpT10_ENKUlT_T0_E_clISt17integral_constantIbLb1EES19_EEDaS14_S15_EUlS14_E_NS1_11comp_targetILNS1_3genE5ELNS1_11target_archE942ELNS1_3gpuE9ELNS1_3repE0EEENS1_30default_config_static_selectorELNS0_4arch9wavefront6targetE1EEEvT1_: ; @_ZN7rocprim17ROCPRIM_400000_NS6detail17trampoline_kernelINS0_14default_configENS1_25partition_config_selectorILNS1_17partition_subalgoE1ExNS0_10empty_typeEbEEZZNS1_14partition_implILS5_1ELb0ES3_jN6thrust23THRUST_200600_302600_NS6detail15normal_iteratorINSA_10device_ptrIxEEEEPS6_NSA_18transform_iteratorI7is_evenIxESF_NSA_11use_defaultESK_EENS0_5tupleIJSF_SF_EEENSM_IJSG_SG_EEES6_PlJS6_EEE10hipError_tPvRmT3_T4_T5_T6_T7_T9_mT8_P12ihipStream_tbDpT10_ENKUlT_T0_E_clISt17integral_constantIbLb1EES19_EEDaS14_S15_EUlS14_E_NS1_11comp_targetILNS1_3genE5ELNS1_11target_archE942ELNS1_3gpuE9ELNS1_3repE0EEENS1_30default_config_static_selectorELNS0_4arch9wavefront6targetE1EEEvT1_
; %bb.0:
	s_load_dwordx2 s[2:3], s[0:1], 0x20
	s_load_dwordx4 s[20:23], s[0:1], 0x50
	s_load_dwordx2 s[6:7], s[0:1], 0x60
	s_load_dwordx2 s[34:35], s[0:1], 0x70
	v_cmp_eq_u32_e64 s[18:19], 0, v0
	s_and_saveexec_b64 s[4:5], s[18:19]
	s_cbranch_execz .LBB394_4
; %bb.1:
	s_mov_b64 s[10:11], exec
	v_mbcnt_lo_u32_b32 v1, s10, 0
	v_mbcnt_hi_u32_b32 v1, s11, v1
	v_cmp_eq_u32_e32 vcc, 0, v1
                                        ; implicit-def: $vgpr2
	s_and_saveexec_b64 s[8:9], vcc
	s_cbranch_execz .LBB394_3
; %bb.2:
	s_load_dwordx2 s[12:13], s[0:1], 0x80
	s_bcnt1_i32_b64 s10, s[10:11]
	v_mov_b32_e32 v2, 0
	v_mov_b32_e32 v3, s10
	s_waitcnt lgkmcnt(0)
	global_atomic_add v2, v2, v3, s[12:13] sc0
.LBB394_3:
	s_or_b64 exec, exec, s[8:9]
	s_waitcnt vmcnt(0)
	v_readfirstlane_b32 s8, v2
	v_mov_b32_e32 v2, 0
	s_nop 0
	v_add_u32_e32 v1, s8, v1
	ds_write_b32 v2, v1
.LBB394_4:
	s_or_b64 exec, exec, s[4:5]
	v_mov_b32_e32 v19, 0
	s_load_dwordx4 s[28:31], s[0:1], 0x8
	s_load_dwordx4 s[24:27], s[0:1], 0x30
	s_load_dword s8, s[0:1], 0x78
	s_waitcnt lgkmcnt(0)
	s_barrier
	ds_read_b32 v1, v19
	s_waitcnt lgkmcnt(0)
	s_barrier
	global_load_dwordx2 v[20:21], v19, s[22:23]
	v_mov_b32_e32 v3, s7
	s_lshl_b64 s[4:5], s[30:31], 3
	s_movk_i32 s7, 0xe00
	s_add_u32 s0, s28, s4
	v_mul_lo_u32 v18, v1, s7
	s_mul_i32 s7, s8, 0xe00
	s_addc_u32 s1, s29, s5
	s_add_i32 s9, s8, -1
	s_add_i32 s8, s7, s30
	s_sub_i32 s33, s6, s8
	s_addk_i32 s33, 0xe00
	v_mov_b32_e32 v2, s6
	s_add_u32 s6, s30, s7
	v_readfirstlane_b32 s40, v1
	s_addc_u32 s7, s31, 0
	s_cmp_eq_u32 s40, s9
	s_cselect_b64 s[22:23], -1, 0
	s_cmp_lg_u32 s40, s9
	v_cmp_lt_u64_e32 vcc, s[6:7], v[2:3]
	s_cselect_b64 s[6:7], -1, 0
	s_or_b64 s[28:29], vcc, s[6:7]
	v_lshlrev_b64 v[22:23], 3, v[18:19]
	v_lshl_add_u64 v[24:25], s[0:1], 0, v[22:23]
	s_mov_b64 s[0:1], -1
	s_and_b64 vcc, exec, s[28:29]
	v_lshlrev_b32_e32 v18, 3, v0
	s_cbranch_vccz .LBB394_6
; %bb.5:
	v_lshl_add_u64 v[2:3], v[24:25], 0, v[18:19]
	v_add_co_u32_e32 v4, vcc, 0x1000, v2
	s_mov_b64 s[0:1], 0
	s_nop 0
	v_addc_co_u32_e32 v5, vcc, 0, v3, vcc
	v_add_co_u32_e32 v6, vcc, 0x2000, v2
	s_nop 1
	v_addc_co_u32_e32 v7, vcc, 0, v3, vcc
	v_add_co_u32_e32 v8, vcc, 0x3000, v2
	s_nop 1
	v_addc_co_u32_e32 v9, vcc, 0, v3, vcc
	flat_load_dwordx2 v[10:11], v[2:3]
	flat_load_dwordx2 v[12:13], v[4:5]
	;; [unrolled: 1-line block ×4, first 2 shown]
	v_add_co_u32_e32 v4, vcc, 0x4000, v2
	s_nop 1
	v_addc_co_u32_e32 v5, vcc, 0, v3, vcc
	v_add_co_u32_e32 v6, vcc, 0x5000, v2
	s_nop 1
	v_addc_co_u32_e32 v7, vcc, 0, v3, vcc
	;; [unrolled: 3-line block ×3, first 2 shown]
	flat_load_dwordx2 v[8:9], v[4:5]
	flat_load_dwordx2 v[26:27], v[6:7]
	;; [unrolled: 1-line block ×3, first 2 shown]
	s_waitcnt vmcnt(0) lgkmcnt(0)
	ds_write2st64_b64 v18, v[10:11], v[12:13] offset1:8
	ds_write2st64_b64 v18, v[14:15], v[16:17] offset0:16 offset1:24
	ds_write2st64_b64 v18, v[8:9], v[26:27] offset0:32 offset1:40
	ds_write_b64 v18, v[28:29] offset:24576
	s_waitcnt lgkmcnt(0)
	s_barrier
.LBB394_6:
	s_andn2_b64 vcc, exec, s[0:1]
	v_cmp_gt_u32_e64 s[0:1], s33, v0
	s_cbranch_vccnz .LBB394_22
; %bb.7:
                                        ; implicit-def: $vgpr2_vgpr3_vgpr4_vgpr5_vgpr6_vgpr7_vgpr8_vgpr9_vgpr10_vgpr11_vgpr12_vgpr13_vgpr14_vgpr15_vgpr16_vgpr17
	s_and_saveexec_b64 s[6:7], s[0:1]
	s_cbranch_execz .LBB394_9
; %bb.8:
	v_mov_b32_e32 v19, 0
	v_lshl_add_u64 v[2:3], v[24:25], 0, v[18:19]
	flat_load_dwordx2 v[2:3], v[2:3]
.LBB394_9:
	s_or_b64 exec, exec, s[6:7]
	v_or_b32_e32 v1, 0x200, v0
	v_cmp_gt_u32_e32 vcc, s33, v1
	s_and_saveexec_b64 s[0:1], vcc
	s_cbranch_execz .LBB394_11
; %bb.10:
	v_lshlrev_b32_e32 v4, 3, v1
	v_mov_b32_e32 v5, 0
	v_lshl_add_u64 v[4:5], v[24:25], 0, v[4:5]
	flat_load_dwordx2 v[4:5], v[4:5]
.LBB394_11:
	s_or_b64 exec, exec, s[0:1]
	v_or_b32_e32 v1, 0x400, v0
	v_cmp_gt_u32_e32 vcc, s33, v1
	s_and_saveexec_b64 s[0:1], vcc
	s_cbranch_execz .LBB394_13
; %bb.12:
	v_lshlrev_b32_e32 v6, 3, v1
	v_mov_b32_e32 v7, 0
	v_lshl_add_u64 v[6:7], v[24:25], 0, v[6:7]
	flat_load_dwordx2 v[6:7], v[6:7]
.LBB394_13:
	;; [unrolled: 11-line block ×6, first 2 shown]
	s_or_b64 exec, exec, s[0:1]
	s_waitcnt vmcnt(0) lgkmcnt(0)
	ds_write2st64_b64 v18, v[2:3], v[4:5] offset1:8
	ds_write2st64_b64 v18, v[6:7], v[8:9] offset0:16 offset1:24
	ds_write2st64_b64 v18, v[10:11], v[12:13] offset0:32 offset1:40
	ds_write_b64 v18, v[14:15] offset:24576
	s_waitcnt lgkmcnt(0)
	s_barrier
.LBB394_22:
	v_mul_u32_u24_e32 v1, 7, v0
	v_lshlrev_b32_e32 v24, 3, v1
	ds_read2_b64 v[10:13], v24 offset1:1
	ds_read2_b64 v[6:9], v24 offset0:2 offset1:3
	ds_read2_b64 v[2:5], v24 offset0:4 offset1:5
	ds_read_b64 v[14:15], v24 offset:48
	s_add_u32 s0, s2, s4
	s_addc_u32 s1, s3, s5
	v_lshl_add_u64 v[16:17], s[0:1], 0, v[22:23]
	s_mov_b64 s[0:1], -1
	s_and_b64 vcc, exec, s[28:29]
	s_waitcnt lgkmcnt(0)
	s_barrier
	s_cbranch_vccz .LBB394_24
; %bb.23:
	v_mov_b32_e32 v19, 0
	v_lshl_add_u64 v[26:27], v[16:17], 0, v[18:19]
	v_add_co_u32_e32 v30, vcc, 0x1000, v26
	v_readfirstlane_b32 s0, v16
	s_nop 0
	v_addc_co_u32_e32 v31, vcc, 0, v27, vcc
	v_add_co_u32_e32 v32, vcc, 0x2000, v26
	v_readfirstlane_b32 s1, v17
	s_nop 0
	v_addc_co_u32_e32 v33, vcc, 0, v27, vcc
	v_add_co_u32_e32 v34, vcc, 0x3000, v26
	s_nop 1
	v_addc_co_u32_e32 v35, vcc, 0, v27, vcc
	global_load_dwordx2 v[28:29], v18, s[0:1]
	v_add_co_u32_e32 v36, vcc, 0x4000, v26
	s_mov_b64 s[0:1], 0
	s_nop 0
	v_addc_co_u32_e32 v37, vcc, 0, v27, vcc
	global_load_dwordx2 v[38:39], v[30:31], off
	global_load_dwordx2 v[40:41], v[32:33], off
	;; [unrolled: 1-line block ×4, first 2 shown]
	v_add_co_u32_e32 v30, vcc, 0x5000, v26
	s_waitcnt vmcnt(4)
	v_xor_b32_e32 v19, -1, v28
	v_addc_co_u32_e32 v31, vcc, 0, v27, vcc
	v_add_co_u32_e32 v26, vcc, 0x6000, v26
	global_load_dwordx2 v[30:31], v[30:31], off
	s_nop 0
	v_addc_co_u32_e32 v27, vcc, 0, v27, vcc
	global_load_dwordx2 v[26:27], v[26:27], off
	v_and_b32_e32 v19, 1, v19
	ds_write_b8 v0, v19
	s_waitcnt vmcnt(5)
	v_xor_b32_e32 v19, -1, v38
	v_and_b32_e32 v19, 1, v19
	s_waitcnt vmcnt(4)
	v_xor_b32_e32 v25, -1, v40
	s_waitcnt vmcnt(0)
	v_xor_b32_e32 v27, -1, v42
	v_and_b32_e32 v25, 1, v25
	ds_write_b8 v0, v19 offset:512
	v_and_b32_e32 v19, 1, v27
	v_xor_b32_e32 v27, -1, v44
	ds_write_b8 v0, v25 offset:1024
	v_and_b32_e32 v25, 1, v27
	ds_write_b8 v0, v19 offset:1536
	ds_write_b8 v0, v25 offset:2048
	v_xor_b32_e32 v27, -1, v30
	v_and_b32_e32 v19, 1, v27
	v_xor_b32_e32 v26, -1, v26
	v_and_b32_e32 v25, 1, v26
	ds_write_b8 v0, v19 offset:2560
	ds_write_b8 v0, v25 offset:3072
	s_waitcnt lgkmcnt(0)
	s_barrier
.LBB394_24:
	s_andn2_b64 vcc, exec, s[0:1]
	s_cbranch_vccnz .LBB394_40
; %bb.25:
	v_cmp_gt_u32_e32 vcc, s33, v0
	v_mov_b32_e32 v19, 0
	v_mov_b32_e32 v25, 0
	s_and_saveexec_b64 s[0:1], vcc
	s_cbranch_execz .LBB394_27
; %bb.26:
	v_readfirstlane_b32 s2, v16
	v_readfirstlane_b32 s3, v17
	s_nop 4
	global_load_dwordx2 v[26:27], v18, s[2:3]
	s_waitcnt vmcnt(0)
	v_xor_b32_e32 v25, -1, v26
	v_and_b32_e32 v25, 1, v25
.LBB394_27:
	s_or_b64 exec, exec, s[0:1]
	v_or_b32_e32 v26, 0x200, v0
	v_cmp_gt_u32_e32 vcc, s33, v26
	s_and_saveexec_b64 s[0:1], vcc
	s_cbranch_execz .LBB394_29
; %bb.28:
	v_lshlrev_b32_e32 v19, 3, v26
	v_readfirstlane_b32 s2, v16
	v_readfirstlane_b32 s3, v17
	s_nop 4
	global_load_dwordx2 v[26:27], v19, s[2:3]
	s_waitcnt vmcnt(0)
	v_xor_b32_e32 v19, -1, v26
	v_and_b32_e32 v19, 1, v19
.LBB394_29:
	s_or_b64 exec, exec, s[0:1]
	v_or_b32_e32 v28, 0x400, v0
	v_cmp_gt_u32_e32 vcc, s33, v28
	v_mov_b32_e32 v26, 0
	v_mov_b32_e32 v27, 0
	s_and_saveexec_b64 s[0:1], vcc
	s_cbranch_execz .LBB394_31
; %bb.30:
	v_lshlrev_b32_e32 v27, 3, v28
	v_readfirstlane_b32 s2, v16
	v_readfirstlane_b32 s3, v17
	s_nop 4
	global_load_dwordx2 v[28:29], v27, s[2:3]
	s_waitcnt vmcnt(0)
	v_xor_b32_e32 v27, -1, v28
	v_and_b32_e32 v27, 1, v27
.LBB394_31:
	s_or_b64 exec, exec, s[0:1]
	v_or_b32_e32 v28, 0x600, v0
	v_cmp_gt_u32_e32 vcc, s33, v28
	s_and_saveexec_b64 s[0:1], vcc
	s_cbranch_execz .LBB394_33
; %bb.32:
	v_lshlrev_b32_e32 v26, 3, v28
	v_readfirstlane_b32 s2, v16
	v_readfirstlane_b32 s3, v17
	s_nop 4
	global_load_dwordx2 v[28:29], v26, s[2:3]
	s_waitcnt vmcnt(0)
	v_xor_b32_e32 v26, -1, v28
	v_and_b32_e32 v26, 1, v26
.LBB394_33:
	s_or_b64 exec, exec, s[0:1]
	v_or_b32_e32 v30, 0x800, v0
	v_cmp_gt_u32_e32 vcc, s33, v30
	v_mov_b32_e32 v28, 0
	v_mov_b32_e32 v29, 0
	s_and_saveexec_b64 s[0:1], vcc
	s_cbranch_execz .LBB394_35
; %bb.34:
	v_lshlrev_b32_e32 v29, 3, v30
	v_readfirstlane_b32 s2, v16
	v_readfirstlane_b32 s3, v17
	s_nop 4
	global_load_dwordx2 v[30:31], v29, s[2:3]
	s_waitcnt vmcnt(0)
	v_xor_b32_e32 v29, -1, v30
	v_and_b32_e32 v29, 1, v29
.LBB394_35:
	s_or_b64 exec, exec, s[0:1]
	v_or_b32_e32 v30, 0xa00, v0
	v_cmp_gt_u32_e32 vcc, s33, v30
	s_and_saveexec_b64 s[0:1], vcc
	s_cbranch_execz .LBB394_37
; %bb.36:
	v_lshlrev_b32_e32 v28, 3, v30
	v_readfirstlane_b32 s2, v16
	v_readfirstlane_b32 s3, v17
	s_nop 4
	global_load_dwordx2 v[30:31], v28, s[2:3]
	s_waitcnt vmcnt(0)
	v_xor_b32_e32 v28, -1, v30
	v_and_b32_e32 v28, 1, v28
.LBB394_37:
	s_or_b64 exec, exec, s[0:1]
	v_or_b32_e32 v31, 0xc00, v0
	v_cmp_gt_u32_e32 vcc, s33, v31
	v_mov_b32_e32 v30, 0
	s_and_saveexec_b64 s[0:1], vcc
	s_cbranch_execz .LBB394_39
; %bb.38:
	v_lshlrev_b32_e32 v30, 3, v31
	v_readfirstlane_b32 s2, v16
	v_readfirstlane_b32 s3, v17
	s_nop 4
	global_load_dwordx2 v[16:17], v30, s[2:3]
	s_waitcnt vmcnt(0)
	v_xor_b32_e32 v16, -1, v16
	v_and_b32_e32 v30, 1, v16
.LBB394_39:
	s_or_b64 exec, exec, s[0:1]
	ds_write_b8 v0, v25
	ds_write_b8 v0, v19 offset:512
	ds_write_b8 v0, v27 offset:1024
	;; [unrolled: 1-line block ×6, first 2 shown]
	s_waitcnt lgkmcnt(0)
	s_barrier
.LBB394_40:
	s_movk_i32 s0, 0xffcf
	v_mad_i32_i24 v39, v0, s0, v24
	ds_read_u8 v16, v39
	ds_read_u8 v17, v39 offset:1
	ds_read_u8 v19, v39 offset:2
	;; [unrolled: 1-line block ×6, first 2 shown]
	s_waitcnt lgkmcnt(6)
	v_and_b32_e32 v37, 1, v16
	s_waitcnt lgkmcnt(5)
	v_and_b32_e32 v36, 1, v17
	;; [unrolled: 2-line block ×5, first 2 shown]
	v_add3_u32 v16, v36, v37, v35
	s_waitcnt lgkmcnt(1)
	v_and_b32_e32 v32, 1, v26
	s_waitcnt lgkmcnt(0)
	v_and_b32_e32 v19, 1, v27
	v_add3_u32 v16, v16, v34, v33
	v_add3_u32 v41, v16, v32, v19
	v_mbcnt_lo_u32_b32 v16, -1, 0
	v_mbcnt_hi_u32_b32 v38, -1, v16
	v_and_b32_e32 v16, 15, v38
	v_cmp_eq_u32_e64 s[14:15], 0, v16
	v_cmp_lt_u32_e64 s[12:13], 1, v16
	v_cmp_lt_u32_e64 s[10:11], 3, v16
	;; [unrolled: 1-line block ×3, first 2 shown]
	v_and_b32_e32 v16, 16, v38
	v_cmp_eq_u32_e64 s[6:7], 0, v16
	v_or_b32_e32 v16, 63, v0
	s_cmp_lg_u32 s40, 0
	v_cmp_lt_u32_e64 s[2:3], 31, v38
	v_lshrrev_b32_e32 v40, 6, v0
	v_cmp_eq_u32_e64 s[4:5], v16, v0
	s_barrier
	s_cbranch_scc0 .LBB394_71
; %bb.41:
	v_mov_b32_dpp v16, v41 row_shr:1 row_mask:0xf bank_mask:0xf
	v_cndmask_b32_e64 v16, v16, 0, s[14:15]
	v_add_u32_e32 v16, v16, v41
	s_nop 1
	v_mov_b32_dpp v17, v16 row_shr:2 row_mask:0xf bank_mask:0xf
	v_cndmask_b32_e64 v17, 0, v17, s[12:13]
	v_add_u32_e32 v16, v16, v17
	s_nop 1
	;; [unrolled: 4-line block ×4, first 2 shown]
	v_mov_b32_dpp v17, v16 row_bcast:15 row_mask:0xf bank_mask:0xf
	v_cndmask_b32_e64 v17, v17, 0, s[6:7]
	v_add_u32_e32 v16, v16, v17
	s_nop 1
	v_mov_b32_dpp v17, v16 row_bcast:31 row_mask:0xf bank_mask:0xf
	v_cndmask_b32_e64 v17, 0, v17, s[2:3]
	v_add_u32_e32 v16, v16, v17
	s_and_saveexec_b64 s[0:1], s[4:5]
	s_cbranch_execz .LBB394_43
; %bb.42:
	v_lshlrev_b32_e32 v17, 2, v40
	ds_write_b32 v17, v16
.LBB394_43:
	s_or_b64 exec, exec, s[0:1]
	v_cmp_gt_u32_e32 vcc, 8, v0
	s_waitcnt lgkmcnt(0)
	s_barrier
	s_and_saveexec_b64 s[0:1], vcc
	s_cbranch_execz .LBB394_45
; %bb.44:
	v_lshlrev_b32_e32 v17, 2, v0
	ds_read_b32 v24, v17
	v_and_b32_e32 v25, 7, v38
	v_cmp_ne_u32_e32 vcc, 0, v25
	s_waitcnt lgkmcnt(0)
	v_mov_b32_dpp v26, v24 row_shr:1 row_mask:0xf bank_mask:0xf
	v_cndmask_b32_e32 v26, 0, v26, vcc
	v_add_u32_e32 v24, v26, v24
	v_cmp_lt_u32_e32 vcc, 1, v25
	s_nop 0
	v_mov_b32_dpp v26, v24 row_shr:2 row_mask:0xf bank_mask:0xf
	v_cndmask_b32_e32 v26, 0, v26, vcc
	v_add_u32_e32 v24, v24, v26
	v_cmp_lt_u32_e32 vcc, 3, v25
	s_nop 0
	v_mov_b32_dpp v26, v24 row_shr:4 row_mask:0xf bank_mask:0xf
	v_cndmask_b32_e32 v25, 0, v26, vcc
	v_add_u32_e32 v24, v24, v25
	ds_write_b32 v17, v24
.LBB394_45:
	s_or_b64 exec, exec, s[0:1]
	v_cmp_gt_u32_e32 vcc, 64, v0
	v_cmp_lt_u32_e64 s[0:1], 63, v0
	s_waitcnt lgkmcnt(0)
	s_barrier
	s_waitcnt lgkmcnt(0)
                                        ; implicit-def: $vgpr42
	s_and_saveexec_b64 s[16:17], s[0:1]
	s_cbranch_execz .LBB394_47
; %bb.46:
	v_lshl_add_u32 v17, v40, 2, -4
	ds_read_b32 v42, v17
	s_waitcnt lgkmcnt(0)
	v_add_u32_e32 v16, v42, v16
.LBB394_47:
	s_or_b64 exec, exec, s[16:17]
	v_add_u32_e32 v17, -1, v38
	v_and_b32_e32 v24, 64, v38
	v_cmp_lt_i32_e64 s[0:1], v17, v24
	v_cmp_eq_u32_e64 s[16:17], 0, v38
	s_nop 0
	v_cndmask_b32_e64 v17, v17, v38, s[0:1]
	v_lshlrev_b32_e32 v17, 2, v17
	ds_bpermute_b32 v43, v17, v16
	s_and_saveexec_b64 s[0:1], vcc
	s_cbranch_execz .LBB394_70
; %bb.48:
	v_mov_b32_e32 v31, 0
	ds_read_b32 v16, v31 offset:28
	s_and_saveexec_b64 s[36:37], s[16:17]
	s_cbranch_execz .LBB394_50
; %bb.49:
	s_add_i32 s38, s40, 64
	s_mov_b32 s39, 0
	s_lshl_b64 s[38:39], s[38:39], 3
	s_add_u32 s38, s34, s38
	v_mov_b32_e32 v17, 1
	s_addc_u32 s39, s35, s39
	s_waitcnt lgkmcnt(0)
	global_store_dwordx2 v31, v[16:17], s[38:39] sc1
.LBB394_50:
	s_or_b64 exec, exec, s[36:37]
	v_xad_u32 v24, v38, -1, s40
	v_add_u32_e32 v30, 64, v24
	v_lshl_add_u64 v[26:27], v[30:31], 3, s[34:35]
	global_load_dwordx2 v[28:29], v[26:27], off sc1
	s_waitcnt vmcnt(0)
	v_cmp_eq_u16_sdwa s[38:39], v29, v31 src0_sel:BYTE_0 src1_sel:DWORD
	s_and_saveexec_b64 s[36:37], s[38:39]
	s_cbranch_execz .LBB394_56
; %bb.51:
	s_mov_b32 s41, 1
	s_mov_b64 s[38:39], 0
	v_mov_b32_e32 v17, 0
.LBB394_52:                             ; =>This Loop Header: Depth=1
                                        ;     Child Loop BB394_53 Depth 2
	s_max_u32 s42, s41, 1
.LBB394_53:                             ;   Parent Loop BB394_52 Depth=1
                                        ; =>  This Inner Loop Header: Depth=2
	s_add_i32 s42, s42, -1
	s_cmp_eq_u32 s42, 0
	s_sleep 1
	s_cbranch_scc0 .LBB394_53
; %bb.54:                               ;   in Loop: Header=BB394_52 Depth=1
	global_load_dwordx2 v[28:29], v[26:27], off sc1
	s_cmp_lt_u32 s41, 32
	s_cselect_b64 s[42:43], -1, 0
	s_cmp_lg_u64 s[42:43], 0
	s_addc_u32 s41, s41, 0
	s_waitcnt vmcnt(0)
	v_cmp_ne_u16_sdwa s[42:43], v29, v17 src0_sel:BYTE_0 src1_sel:DWORD
	s_or_b64 s[38:39], s[42:43], s[38:39]
	s_andn2_b64 exec, exec, s[38:39]
	s_cbranch_execnz .LBB394_52
; %bb.55:
	s_or_b64 exec, exec, s[38:39]
.LBB394_56:
	s_or_b64 exec, exec, s[36:37]
	v_and_b32_e32 v45, 63, v38
	v_mov_b32_e32 v44, 2
	v_cmp_ne_u32_e32 vcc, 63, v45
	v_cmp_eq_u16_sdwa s[36:37], v29, v44 src0_sel:BYTE_0 src1_sel:DWORD
	v_lshlrev_b64 v[26:27], v38, -1
	v_addc_co_u32_e32 v30, vcc, 0, v38, vcc
	v_and_b32_e32 v17, s37, v27
	v_lshlrev_b32_e32 v46, 2, v30
	v_or_b32_e32 v17, 0x80000000, v17
	ds_bpermute_b32 v30, v46, v28
	v_and_b32_e32 v25, s36, v26
	v_ffbl_b32_e32 v17, v17
	v_add_u32_e32 v17, 32, v17
	v_ffbl_b32_e32 v25, v25
	v_min_u32_e32 v17, v25, v17
	v_cmp_lt_u32_e32 vcc, v45, v17
	v_add_u32_e32 v48, 2, v45
	v_add_u32_e32 v50, 4, v45
	s_waitcnt lgkmcnt(0)
	v_cndmask_b32_e32 v25, 0, v30, vcc
	v_cmp_gt_u32_e32 vcc, 62, v45
	v_add_u32_e32 v25, v25, v28
	v_add_u32_e32 v52, 8, v45
	v_cndmask_b32_e64 v28, 0, 1, vcc
	v_lshlrev_b32_e32 v28, 1, v28
	v_add_lshl_u32 v47, v28, v38, 2
	ds_bpermute_b32 v28, v47, v25
	v_cmp_le_u32_e32 vcc, v48, v17
	v_add_u32_e32 v54, 16, v45
	v_add_u32_e32 v56, 32, v45
	s_waitcnt lgkmcnt(0)
	v_cndmask_b32_e32 v28, 0, v28, vcc
	v_cmp_gt_u32_e32 vcc, 60, v45
	v_add_u32_e32 v25, v25, v28
	s_nop 0
	v_cndmask_b32_e64 v28, 0, 1, vcc
	v_lshlrev_b32_e32 v28, 2, v28
	v_add_lshl_u32 v49, v28, v38, 2
	ds_bpermute_b32 v28, v49, v25
	v_cmp_le_u32_e32 vcc, v50, v17
	s_waitcnt lgkmcnt(0)
	s_nop 0
	v_cndmask_b32_e32 v28, 0, v28, vcc
	v_cmp_gt_u32_e32 vcc, 56, v45
	v_add_u32_e32 v25, v25, v28
	s_nop 0
	v_cndmask_b32_e64 v28, 0, 1, vcc
	v_lshlrev_b32_e32 v28, 3, v28
	v_add_lshl_u32 v51, v28, v38, 2
	ds_bpermute_b32 v28, v51, v25
	v_cmp_le_u32_e32 vcc, v52, v17
	s_waitcnt lgkmcnt(0)
	s_nop 0
	;; [unrolled: 11-line block ×4, first 2 shown]
	v_cndmask_b32_e32 v17, 0, v28, vcc
	v_add_u32_e32 v28, v25, v17
	v_mov_b32_e32 v25, 0
	s_branch .LBB394_58
.LBB394_57:                             ;   in Loop: Header=BB394_58 Depth=1
	s_or_b64 exec, exec, s[36:37]
	v_cmp_eq_u16_sdwa s[36:37], v29, v44 src0_sel:BYTE_0 src1_sel:DWORD
	ds_bpermute_b32 v57, v46, v28
	v_subrev_u32_e32 v24, 64, v24
	v_and_b32_e32 v30, s37, v27
	v_or_b32_e32 v30, 0x80000000, v30
	v_and_b32_e32 v31, s36, v26
	v_ffbl_b32_e32 v30, v30
	v_add_u32_e32 v30, 32, v30
	v_ffbl_b32_e32 v31, v31
	v_min_u32_e32 v30, v31, v30
	v_cmp_lt_u32_e32 vcc, v45, v30
	s_waitcnt lgkmcnt(0)
	s_nop 0
	v_cndmask_b32_e32 v31, 0, v57, vcc
	v_add_u32_e32 v28, v31, v28
	ds_bpermute_b32 v31, v47, v28
	v_cmp_le_u32_e32 vcc, v48, v30
	s_waitcnt lgkmcnt(0)
	s_nop 0
	v_cndmask_b32_e32 v31, 0, v31, vcc
	v_add_u32_e32 v28, v28, v31
	ds_bpermute_b32 v31, v49, v28
	v_cmp_le_u32_e32 vcc, v50, v30
	;; [unrolled: 6-line block ×5, first 2 shown]
	s_waitcnt lgkmcnt(0)
	s_nop 0
	v_cndmask_b32_e32 v30, 0, v31, vcc
	v_add3_u32 v28, v30, v17, v28
.LBB394_58:                             ; =>This Loop Header: Depth=1
                                        ;     Child Loop BB394_61 Depth 2
                                        ;       Child Loop BB394_62 Depth 3
	v_cmp_ne_u16_sdwa s[36:37], v29, v44 src0_sel:BYTE_0 src1_sel:DWORD
	s_nop 1
	v_cndmask_b32_e64 v17, 0, 1, s[36:37]
	;;#ASMSTART
	;;#ASMEND
	s_nop 0
	v_cmp_ne_u32_e32 vcc, 0, v17
	s_cmp_lg_u64 vcc, exec
	v_mov_b32_e32 v17, v28
	s_cbranch_scc1 .LBB394_65
; %bb.59:                               ;   in Loop: Header=BB394_58 Depth=1
	v_lshl_add_u64 v[30:31], v[24:25], 3, s[34:35]
	global_load_dwordx2 v[28:29], v[30:31], off sc1
	s_waitcnt vmcnt(0)
	v_cmp_eq_u16_sdwa s[38:39], v29, v25 src0_sel:BYTE_0 src1_sel:DWORD
	s_and_saveexec_b64 s[36:37], s[38:39]
	s_cbranch_execz .LBB394_57
; %bb.60:                               ;   in Loop: Header=BB394_58 Depth=1
	s_mov_b32 s41, 1
	s_mov_b64 s[38:39], 0
.LBB394_61:                             ;   Parent Loop BB394_58 Depth=1
                                        ; =>  This Loop Header: Depth=2
                                        ;       Child Loop BB394_62 Depth 3
	s_max_u32 s42, s41, 1
.LBB394_62:                             ;   Parent Loop BB394_58 Depth=1
                                        ;     Parent Loop BB394_61 Depth=2
                                        ; =>    This Inner Loop Header: Depth=3
	s_add_i32 s42, s42, -1
	s_cmp_eq_u32 s42, 0
	s_sleep 1
	s_cbranch_scc0 .LBB394_62
; %bb.63:                               ;   in Loop: Header=BB394_61 Depth=2
	global_load_dwordx2 v[28:29], v[30:31], off sc1
	s_cmp_lt_u32 s41, 32
	s_cselect_b64 s[42:43], -1, 0
	s_cmp_lg_u64 s[42:43], 0
	s_addc_u32 s41, s41, 0
	s_waitcnt vmcnt(0)
	v_cmp_ne_u16_sdwa s[42:43], v29, v25 src0_sel:BYTE_0 src1_sel:DWORD
	s_or_b64 s[38:39], s[42:43], s[38:39]
	s_andn2_b64 exec, exec, s[38:39]
	s_cbranch_execnz .LBB394_61
; %bb.64:                               ;   in Loop: Header=BB394_58 Depth=1
	s_or_b64 exec, exec, s[38:39]
	s_branch .LBB394_57
.LBB394_65:                             ;   in Loop: Header=BB394_58 Depth=1
                                        ; implicit-def: $vgpr28
                                        ; implicit-def: $vgpr29
	s_cbranch_execz .LBB394_58
; %bb.66:
	s_and_saveexec_b64 s[36:37], s[16:17]
	s_cbranch_execz .LBB394_68
; %bb.67:
	s_add_i32 s38, s40, 64
	s_mov_b32 s39, 0
	s_lshl_b64 s[38:39], s[38:39], 3
	s_add_u32 s38, s34, s38
	v_add_u32_e32 v24, v17, v16
	v_mov_b32_e32 v25, 2
	s_addc_u32 s39, s35, s39
	v_mov_b32_e32 v26, 0
	global_store_dwordx2 v26, v[24:25], s[38:39] sc1
	ds_write_b64 v26, v[16:17] offset:28672
.LBB394_68:
	s_or_b64 exec, exec, s[36:37]
	s_and_b64 exec, exec, s[18:19]
	s_cbranch_execz .LBB394_70
; %bb.69:
	v_mov_b32_e32 v16, 0
	ds_write_b32 v16, v17 offset:28
.LBB394_70:
	s_or_b64 exec, exec, s[0:1]
	v_mov_b32_e32 v16, 0
	s_waitcnt lgkmcnt(0)
	s_barrier
	ds_read_b32 v17, v16 offset:28
	v_cndmask_b32_e64 v24, v43, v42, s[16:17]
	v_cndmask_b32_e64 v24, v24, 0, s[18:19]
	s_waitcnt lgkmcnt(0)
	s_barrier
	v_add_u32_e32 v31, v17, v24
	v_add_u32_e32 v30, v31, v37
	ds_read_b64 v[16:17], v16 offset:28672
	v_add_u32_e32 v29, v30, v36
	v_add_u32_e32 v27, v29, v35
	v_add_u32_e32 v28, v27, v34
	v_add_u32_e32 v26, v28, v33
	v_add_u32_e32 v25, v26, v32
	s_waitcnt lgkmcnt(0)
	v_mov_b32_e32 v24, v17
	s_branch .LBB394_81
.LBB394_71:
                                        ; implicit-def: $vgpr24
                                        ; implicit-def: $vgpr16
                                        ; implicit-def: $vgpr25
                                        ; implicit-def: $vgpr26
                                        ; implicit-def: $vgpr28
                                        ; implicit-def: $vgpr27
                                        ; implicit-def: $vgpr29
                                        ; implicit-def: $vgpr30
                                        ; implicit-def: $vgpr31
	s_cbranch_execz .LBB394_81
; %bb.72:
	s_nop 0
	v_mov_b32_dpp v16, v41 row_shr:1 row_mask:0xf bank_mask:0xf
	v_cndmask_b32_e64 v16, v16, 0, s[14:15]
	v_add_u32_e32 v16, v16, v41
	s_nop 1
	v_mov_b32_dpp v17, v16 row_shr:2 row_mask:0xf bank_mask:0xf
	v_cndmask_b32_e64 v17, 0, v17, s[12:13]
	v_add_u32_e32 v16, v16, v17
	;; [unrolled: 4-line block ×4, first 2 shown]
	s_nop 1
	v_mov_b32_dpp v17, v16 row_bcast:15 row_mask:0xf bank_mask:0xf
	v_cndmask_b32_e64 v17, v17, 0, s[6:7]
	v_add_u32_e32 v16, v16, v17
	s_nop 1
	v_mov_b32_dpp v17, v16 row_bcast:31 row_mask:0xf bank_mask:0xf
	v_cndmask_b32_e64 v17, 0, v17, s[2:3]
	v_add_u32_e32 v16, v16, v17
	s_and_saveexec_b64 s[0:1], s[4:5]
	s_cbranch_execz .LBB394_74
; %bb.73:
	v_lshlrev_b32_e32 v17, 2, v40
	ds_write_b32 v17, v16
.LBB394_74:
	s_or_b64 exec, exec, s[0:1]
	v_cmp_gt_u32_e32 vcc, 8, v0
	s_waitcnt lgkmcnt(0)
	s_barrier
	s_and_saveexec_b64 s[0:1], vcc
	s_cbranch_execz .LBB394_76
; %bb.75:
	v_mad_i32_i24 v17, v0, -3, v39
	ds_read_b32 v24, v17
	v_and_b32_e32 v25, 7, v38
	v_cmp_ne_u32_e32 vcc, 0, v25
	s_waitcnt lgkmcnt(0)
	v_mov_b32_dpp v26, v24 row_shr:1 row_mask:0xf bank_mask:0xf
	v_cndmask_b32_e32 v26, 0, v26, vcc
	v_add_u32_e32 v24, v26, v24
	v_cmp_lt_u32_e32 vcc, 1, v25
	s_nop 0
	v_mov_b32_dpp v26, v24 row_shr:2 row_mask:0xf bank_mask:0xf
	v_cndmask_b32_e32 v26, 0, v26, vcc
	v_add_u32_e32 v24, v24, v26
	v_cmp_lt_u32_e32 vcc, 3, v25
	s_nop 0
	v_mov_b32_dpp v26, v24 row_shr:4 row_mask:0xf bank_mask:0xf
	v_cndmask_b32_e32 v25, 0, v26, vcc
	v_add_u32_e32 v24, v24, v25
	ds_write_b32 v17, v24
.LBB394_76:
	s_or_b64 exec, exec, s[0:1]
	v_cmp_lt_u32_e32 vcc, 63, v0
	v_mov_b32_e32 v17, 0
	v_mov_b32_e32 v24, 0
	s_waitcnt lgkmcnt(0)
	s_barrier
	s_and_saveexec_b64 s[0:1], vcc
	s_cbranch_execz .LBB394_78
; %bb.77:
	v_lshl_add_u32 v24, v40, 2, -4
	ds_read_b32 v24, v24
.LBB394_78:
	s_or_b64 exec, exec, s[0:1]
	v_add_u32_e32 v25, -1, v38
	v_and_b32_e32 v26, 64, v38
	v_cmp_lt_i32_e32 vcc, v25, v26
	s_waitcnt lgkmcnt(0)
	v_add_u32_e32 v16, v24, v16
	v_cndmask_b32_e32 v25, v25, v38, vcc
	v_lshlrev_b32_e32 v25, 2, v25
	ds_bpermute_b32 v25, v25, v16
	ds_read_b32 v16, v17 offset:28
	s_and_saveexec_b64 s[0:1], s[18:19]
	s_cbranch_execz .LBB394_80
; %bb.79:
	v_mov_b32_e32 v26, 0
	v_mov_b32_e32 v17, 2
	s_waitcnt lgkmcnt(0)
	global_store_dwordx2 v26, v[16:17], s[34:35] offset:512 sc1
.LBB394_80:
	s_or_b64 exec, exec, s[0:1]
	v_cmp_eq_u32_e32 vcc, 0, v38
	s_waitcnt lgkmcnt(0)
	s_barrier
	v_cndmask_b32_e32 v17, v25, v24, vcc
	v_cndmask_b32_e64 v31, v17, 0, s[18:19]
	v_add_u32_e32 v30, v31, v37
	v_add_u32_e32 v29, v30, v36
	;; [unrolled: 1-line block ×5, first 2 shown]
	v_mov_b32_e32 v24, 0
	v_add_u32_e32 v25, v26, v32
.LBB394_81:
	v_add_u32_e32 v1, v16, v1
	v_sub_u32_e32 v17, v31, v24
	v_sub_u32_e32 v31, v1, v17
	v_cmp_eq_u32_e32 vcc, 1, v37
	s_nop 1
	v_cndmask_b32_e32 v17, v31, v17, vcc
	v_lshlrev_b32_e32 v17, 3, v17
	ds_write_b64 v17, v[10:11]
	v_sub_u32_e32 v10, v30, v24
	v_sub_u32_e32 v11, v1, v10
	v_add_u32_e32 v11, 1, v11
	v_cmp_eq_u32_e32 vcc, 1, v36
	v_or_b32_e32 v31, 0x400, v0
	v_or_b32_e32 v30, 0x600, v0
	v_cndmask_b32_e32 v10, v11, v10, vcc
	v_lshlrev_b32_e32 v10, 3, v10
	ds_write_b64 v10, v[12:13]
	v_sub_u32_e32 v10, v29, v24
	v_sub_u32_e32 v11, v1, v10
	v_add_u32_e32 v11, 2, v11
	v_cmp_eq_u32_e32 vcc, 1, v35
	v_or_b32_e32 v29, 0x800, v0
	s_nop 0
	v_cndmask_b32_e32 v10, v11, v10, vcc
	v_lshlrev_b32_e32 v10, 3, v10
	ds_write_b64 v10, v[6:7]
	v_sub_u32_e32 v6, v27, v24
	v_sub_u32_e32 v7, v1, v6
	v_add_u32_e32 v7, 3, v7
	v_cmp_eq_u32_e32 vcc, 1, v34
	s_nop 1
	v_cndmask_b32_e32 v6, v7, v6, vcc
	v_lshlrev_b32_e32 v6, 3, v6
	ds_write_b64 v6, v[8:9]
	v_sub_u32_e32 v6, v28, v24
	v_sub_u32_e32 v7, v1, v6
	v_add_u32_e32 v7, 4, v7
	v_cmp_eq_u32_e32 vcc, 1, v33
	v_or_b32_e32 v28, 0xa00, v0
	s_nop 0
	v_cndmask_b32_e32 v6, v7, v6, vcc
	v_lshlrev_b32_e32 v6, 3, v6
	ds_write_b64 v6, v[2:3]
	v_sub_u32_e32 v2, v26, v24
	v_sub_u32_e32 v3, v1, v2
	v_add_u32_e32 v3, 5, v3
	v_cmp_eq_u32_e32 vcc, 1, v32
	v_or_b32_e32 v32, 0x200, v0
	s_nop 0
	v_cndmask_b32_e32 v2, v3, v2, vcc
	v_lshlrev_b32_e32 v2, 3, v2
	ds_write_b64 v2, v[4:5]
	v_sub_u32_e32 v2, v25, v24
	v_sub_u32_e32 v1, v1, v2
	v_add_u32_e32 v1, 6, v1
	v_cmp_eq_u32_e32 vcc, 1, v19
	v_mov_b32_e32 v25, 0
	s_waitcnt vmcnt(0)
	v_lshl_add_u64 v[34:35], v[20:21], 0, v[24:25]
	v_cndmask_b32_e32 v1, v1, v2, vcc
	v_lshlrev_b32_e32 v1, 3, v1
	v_mov_b32_e32 v17, v25
	ds_write_b64 v1, v[14:15]
	v_lshl_add_u64 v[14:15], v[34:35], 0, v[16:17]
	v_mov_b32_e32 v17, s31
	v_sub_co_u32_e32 v20, vcc, s30, v14
	s_waitcnt lgkmcnt(0)
	s_barrier
	ds_read2st64_b64 v[10:13], v18 offset1:8
	ds_read2st64_b64 v[6:9], v18 offset0:16 offset1:24
	ds_read2st64_b64 v[2:5], v18 offset0:32 offset1:40
	ds_read_b64 v[26:27], v18 offset:24576
	v_subb_co_u32_e32 v21, vcc, v17, v15, vcc
	v_lshlrev_b64 v[20:21], 3, v[20:21]
	v_lshl_add_u64 v[20:21], s[26:27], 0, v[20:21]
	v_lshl_add_u64 v[20:21], v[20:21], 0, v[22:23]
	v_lshlrev_b64 v[22:23], 3, v[34:35]
	v_or_b32_e32 v1, 0xc00, v0
	s_andn2_b64 vcc, exec, s[28:29]
	v_lshl_add_u64 v[22:23], s[24:25], 0, v[22:23]
	s_cbranch_vccnz .LBB394_83
; %bb.82:
	v_cmp_lt_u32_e32 vcc, v0, v16
	v_mov_b32_e32 v19, v25
	v_lshlrev_b32_e32 v24, 3, v32
	v_cndmask_b32_e32 v35, v21, v23, vcc
	v_cndmask_b32_e32 v34, v20, v22, vcc
	v_lshl_add_u64 v[34:35], v[34:35], 0, v[18:19]
	v_cmp_lt_u32_e32 vcc, v32, v16
	s_waitcnt lgkmcnt(3)
	global_store_dwordx2 v[34:35], v[10:11], off
	v_cndmask_b32_e32 v35, v21, v23, vcc
	v_cndmask_b32_e32 v34, v20, v22, vcc
	v_lshl_add_u64 v[34:35], v[34:35], 0, v[24:25]
	v_cmp_lt_u32_e32 vcc, v31, v16
	global_store_dwordx2 v[34:35], v[12:13], off
	v_lshlrev_b32_e32 v24, 3, v31
	v_cndmask_b32_e32 v35, v21, v23, vcc
	v_cndmask_b32_e32 v34, v20, v22, vcc
	v_lshl_add_u64 v[34:35], v[34:35], 0, v[24:25]
	v_cmp_lt_u32_e32 vcc, v30, v16
	s_waitcnt lgkmcnt(2)
	global_store_dwordx2 v[34:35], v[6:7], off
	v_lshlrev_b32_e32 v24, 3, v30
	v_cndmask_b32_e32 v35, v21, v23, vcc
	v_cndmask_b32_e32 v34, v20, v22, vcc
	v_lshl_add_u64 v[34:35], v[34:35], 0, v[24:25]
	v_cmp_lt_u32_e32 vcc, v29, v16
	global_store_dwordx2 v[34:35], v[8:9], off
	v_lshlrev_b32_e32 v24, 3, v29
	v_cndmask_b32_e32 v35, v21, v23, vcc
	v_cndmask_b32_e32 v34, v20, v22, vcc
	v_lshl_add_u64 v[34:35], v[34:35], 0, v[24:25]
	v_cmp_lt_u32_e32 vcc, v28, v16
	s_waitcnt lgkmcnt(1)
	global_store_dwordx2 v[34:35], v[2:3], off
	v_lshlrev_b32_e32 v24, 3, v28
	v_cndmask_b32_e32 v35, v21, v23, vcc
	v_cndmask_b32_e32 v34, v20, v22, vcc
	v_lshl_add_u64 v[24:25], v[34:35], 0, v[24:25]
	s_mov_b64 s[0:1], -1
	global_store_dwordx2 v[24:25], v[4:5], off
	s_cbranch_execz .LBB394_84
	s_branch .LBB394_92
.LBB394_83:
	s_mov_b64 s[0:1], 0
.LBB394_84:
	v_cmp_gt_u32_e32 vcc, s33, v0
	s_and_saveexec_b64 s[0:1], vcc
	s_cbranch_execnz .LBB394_97
; %bb.85:
	s_or_b64 exec, exec, s[0:1]
	v_cmp_gt_u32_e32 vcc, s33, v32
	s_and_saveexec_b64 s[0:1], vcc
	s_cbranch_execnz .LBB394_98
.LBB394_86:
	s_or_b64 exec, exec, s[0:1]
	v_cmp_gt_u32_e32 vcc, s33, v31
	s_and_saveexec_b64 s[0:1], vcc
	s_cbranch_execnz .LBB394_99
.LBB394_87:
	s_or_b64 exec, exec, s[0:1]
	v_cmp_gt_u32_e32 vcc, s33, v30
	s_and_saveexec_b64 s[0:1], vcc
	s_cbranch_execnz .LBB394_100
.LBB394_88:
	s_or_b64 exec, exec, s[0:1]
	v_cmp_gt_u32_e32 vcc, s33, v29
	s_and_saveexec_b64 s[0:1], vcc
	s_cbranch_execnz .LBB394_101
.LBB394_89:
	s_or_b64 exec, exec, s[0:1]
	v_cmp_gt_u32_e32 vcc, s33, v28
	s_and_saveexec_b64 s[0:1], vcc
	s_cbranch_execz .LBB394_91
.LBB394_90:
	v_cmp_lt_u32_e32 vcc, v28, v16
	s_waitcnt lgkmcnt(2)
	v_lshlrev_b32_e32 v6, 3, v28
	v_mov_b32_e32 v7, 0
	s_waitcnt lgkmcnt(1)
	v_cndmask_b32_e32 v3, v21, v23, vcc
	v_cndmask_b32_e32 v2, v20, v22, vcc
	v_lshl_add_u64 v[2:3], v[2:3], 0, v[6:7]
	global_store_dwordx2 v[2:3], v[4:5], off
.LBB394_91:
	s_or_b64 exec, exec, s[0:1]
	v_cmp_gt_u32_e64 s[0:1], s33, v1
.LBB394_92:
	s_and_saveexec_b64 s[2:3], s[0:1]
	s_cbranch_execnz .LBB394_95
; %bb.93:
	s_or_b64 exec, exec, s[2:3]
	s_and_b64 s[0:1], s[18:19], s[22:23]
	s_and_saveexec_b64 s[2:3], s[0:1]
	s_cbranch_execnz .LBB394_96
.LBB394_94:
	s_endpgm
.LBB394_95:
	v_cmp_lt_u32_e32 vcc, v1, v16
	v_lshlrev_b32_e32 v0, 3, v1
	v_mov_b32_e32 v1, 0
	s_waitcnt lgkmcnt(1)
	v_cndmask_b32_e32 v3, v21, v23, vcc
	v_cndmask_b32_e32 v2, v20, v22, vcc
	v_lshl_add_u64 v[0:1], v[2:3], 0, v[0:1]
	s_waitcnt lgkmcnt(0)
	global_store_dwordx2 v[0:1], v[26:27], off
	s_or_b64 exec, exec, s[2:3]
	s_and_b64 s[0:1], s[18:19], s[22:23]
	s_and_saveexec_b64 s[2:3], s[0:1]
	s_cbranch_execz .LBB394_94
.LBB394_96:
	v_mov_b32_e32 v0, 0
	global_store_dwordx2 v0, v[14:15], s[20:21]
	s_endpgm
.LBB394_97:
	v_cmp_lt_u32_e32 vcc, v0, v16
	v_mov_b32_e32 v19, 0
	s_nop 0
	v_cndmask_b32_e32 v25, v21, v23, vcc
	v_cndmask_b32_e32 v24, v20, v22, vcc
	v_lshl_add_u64 v[18:19], v[24:25], 0, v[18:19]
	s_waitcnt lgkmcnt(3)
	global_store_dwordx2 v[18:19], v[10:11], off
	s_or_b64 exec, exec, s[0:1]
	v_cmp_gt_u32_e32 vcc, s33, v32
	s_and_saveexec_b64 s[0:1], vcc
	s_cbranch_execz .LBB394_86
.LBB394_98:
	v_cmp_lt_u32_e32 vcc, v32, v16
	v_lshlrev_b32_e32 v18, 3, v32
	v_mov_b32_e32 v19, 0
	s_waitcnt lgkmcnt(3)
	v_cndmask_b32_e32 v11, v21, v23, vcc
	v_cndmask_b32_e32 v10, v20, v22, vcc
	v_lshl_add_u64 v[10:11], v[10:11], 0, v[18:19]
	global_store_dwordx2 v[10:11], v[12:13], off
	s_or_b64 exec, exec, s[0:1]
	v_cmp_gt_u32_e32 vcc, s33, v31
	s_and_saveexec_b64 s[0:1], vcc
	s_cbranch_execz .LBB394_87
.LBB394_99:
	v_cmp_lt_u32_e32 vcc, v31, v16
	s_waitcnt lgkmcnt(3)
	v_lshlrev_b32_e32 v12, 3, v31
	v_mov_b32_e32 v13, 0
	v_cndmask_b32_e32 v11, v21, v23, vcc
	v_cndmask_b32_e32 v10, v20, v22, vcc
	v_lshl_add_u64 v[10:11], v[10:11], 0, v[12:13]
	s_waitcnt lgkmcnt(2)
	global_store_dwordx2 v[10:11], v[6:7], off
	s_or_b64 exec, exec, s[0:1]
	v_cmp_gt_u32_e32 vcc, s33, v30
	s_and_saveexec_b64 s[0:1], vcc
	s_cbranch_execz .LBB394_88
.LBB394_100:
	v_cmp_lt_u32_e32 vcc, v30, v16
	s_waitcnt lgkmcnt(3)
	v_lshlrev_b32_e32 v10, 3, v30
	v_mov_b32_e32 v11, 0
	s_waitcnt lgkmcnt(2)
	v_cndmask_b32_e32 v7, v21, v23, vcc
	v_cndmask_b32_e32 v6, v20, v22, vcc
	v_lshl_add_u64 v[6:7], v[6:7], 0, v[10:11]
	global_store_dwordx2 v[6:7], v[8:9], off
	s_or_b64 exec, exec, s[0:1]
	v_cmp_gt_u32_e32 vcc, s33, v29
	s_and_saveexec_b64 s[0:1], vcc
	s_cbranch_execz .LBB394_89
.LBB394_101:
	v_cmp_lt_u32_e32 vcc, v29, v16
	s_waitcnt lgkmcnt(2)
	v_lshlrev_b32_e32 v8, 3, v29
	v_mov_b32_e32 v9, 0
	v_cndmask_b32_e32 v7, v21, v23, vcc
	v_cndmask_b32_e32 v6, v20, v22, vcc
	v_lshl_add_u64 v[6:7], v[6:7], 0, v[8:9]
	s_waitcnt lgkmcnt(1)
	global_store_dwordx2 v[6:7], v[2:3], off
	s_or_b64 exec, exec, s[0:1]
	v_cmp_gt_u32_e32 vcc, s33, v28
	s_and_saveexec_b64 s[0:1], vcc
	s_cbranch_execnz .LBB394_90
	s_branch .LBB394_91
	.section	.rodata,"a",@progbits
	.p2align	6, 0x0
	.amdhsa_kernel _ZN7rocprim17ROCPRIM_400000_NS6detail17trampoline_kernelINS0_14default_configENS1_25partition_config_selectorILNS1_17partition_subalgoE1ExNS0_10empty_typeEbEEZZNS1_14partition_implILS5_1ELb0ES3_jN6thrust23THRUST_200600_302600_NS6detail15normal_iteratorINSA_10device_ptrIxEEEEPS6_NSA_18transform_iteratorI7is_evenIxESF_NSA_11use_defaultESK_EENS0_5tupleIJSF_SF_EEENSM_IJSG_SG_EEES6_PlJS6_EEE10hipError_tPvRmT3_T4_T5_T6_T7_T9_mT8_P12ihipStream_tbDpT10_ENKUlT_T0_E_clISt17integral_constantIbLb1EES19_EEDaS14_S15_EUlS14_E_NS1_11comp_targetILNS1_3genE5ELNS1_11target_archE942ELNS1_3gpuE9ELNS1_3repE0EEENS1_30default_config_static_selectorELNS0_4arch9wavefront6targetE1EEEvT1_
		.amdhsa_group_segment_fixed_size 28680
		.amdhsa_private_segment_fixed_size 0
		.amdhsa_kernarg_size 144
		.amdhsa_user_sgpr_count 2
		.amdhsa_user_sgpr_dispatch_ptr 0
		.amdhsa_user_sgpr_queue_ptr 0
		.amdhsa_user_sgpr_kernarg_segment_ptr 1
		.amdhsa_user_sgpr_dispatch_id 0
		.amdhsa_user_sgpr_kernarg_preload_length 0
		.amdhsa_user_sgpr_kernarg_preload_offset 0
		.amdhsa_user_sgpr_private_segment_size 0
		.amdhsa_uses_dynamic_stack 0
		.amdhsa_enable_private_segment 0
		.amdhsa_system_sgpr_workgroup_id_x 1
		.amdhsa_system_sgpr_workgroup_id_y 0
		.amdhsa_system_sgpr_workgroup_id_z 0
		.amdhsa_system_sgpr_workgroup_info 0
		.amdhsa_system_vgpr_workitem_id 0
		.amdhsa_next_free_vgpr 58
		.amdhsa_next_free_sgpr 44
		.amdhsa_accum_offset 60
		.amdhsa_reserve_vcc 1
		.amdhsa_float_round_mode_32 0
		.amdhsa_float_round_mode_16_64 0
		.amdhsa_float_denorm_mode_32 3
		.amdhsa_float_denorm_mode_16_64 3
		.amdhsa_dx10_clamp 1
		.amdhsa_ieee_mode 1
		.amdhsa_fp16_overflow 0
		.amdhsa_tg_split 0
		.amdhsa_exception_fp_ieee_invalid_op 0
		.amdhsa_exception_fp_denorm_src 0
		.amdhsa_exception_fp_ieee_div_zero 0
		.amdhsa_exception_fp_ieee_overflow 0
		.amdhsa_exception_fp_ieee_underflow 0
		.amdhsa_exception_fp_ieee_inexact 0
		.amdhsa_exception_int_div_zero 0
	.end_amdhsa_kernel
	.section	.text._ZN7rocprim17ROCPRIM_400000_NS6detail17trampoline_kernelINS0_14default_configENS1_25partition_config_selectorILNS1_17partition_subalgoE1ExNS0_10empty_typeEbEEZZNS1_14partition_implILS5_1ELb0ES3_jN6thrust23THRUST_200600_302600_NS6detail15normal_iteratorINSA_10device_ptrIxEEEEPS6_NSA_18transform_iteratorI7is_evenIxESF_NSA_11use_defaultESK_EENS0_5tupleIJSF_SF_EEENSM_IJSG_SG_EEES6_PlJS6_EEE10hipError_tPvRmT3_T4_T5_T6_T7_T9_mT8_P12ihipStream_tbDpT10_ENKUlT_T0_E_clISt17integral_constantIbLb1EES19_EEDaS14_S15_EUlS14_E_NS1_11comp_targetILNS1_3genE5ELNS1_11target_archE942ELNS1_3gpuE9ELNS1_3repE0EEENS1_30default_config_static_selectorELNS0_4arch9wavefront6targetE1EEEvT1_,"axG",@progbits,_ZN7rocprim17ROCPRIM_400000_NS6detail17trampoline_kernelINS0_14default_configENS1_25partition_config_selectorILNS1_17partition_subalgoE1ExNS0_10empty_typeEbEEZZNS1_14partition_implILS5_1ELb0ES3_jN6thrust23THRUST_200600_302600_NS6detail15normal_iteratorINSA_10device_ptrIxEEEEPS6_NSA_18transform_iteratorI7is_evenIxESF_NSA_11use_defaultESK_EENS0_5tupleIJSF_SF_EEENSM_IJSG_SG_EEES6_PlJS6_EEE10hipError_tPvRmT3_T4_T5_T6_T7_T9_mT8_P12ihipStream_tbDpT10_ENKUlT_T0_E_clISt17integral_constantIbLb1EES19_EEDaS14_S15_EUlS14_E_NS1_11comp_targetILNS1_3genE5ELNS1_11target_archE942ELNS1_3gpuE9ELNS1_3repE0EEENS1_30default_config_static_selectorELNS0_4arch9wavefront6targetE1EEEvT1_,comdat
.Lfunc_end394:
	.size	_ZN7rocprim17ROCPRIM_400000_NS6detail17trampoline_kernelINS0_14default_configENS1_25partition_config_selectorILNS1_17partition_subalgoE1ExNS0_10empty_typeEbEEZZNS1_14partition_implILS5_1ELb0ES3_jN6thrust23THRUST_200600_302600_NS6detail15normal_iteratorINSA_10device_ptrIxEEEEPS6_NSA_18transform_iteratorI7is_evenIxESF_NSA_11use_defaultESK_EENS0_5tupleIJSF_SF_EEENSM_IJSG_SG_EEES6_PlJS6_EEE10hipError_tPvRmT3_T4_T5_T6_T7_T9_mT8_P12ihipStream_tbDpT10_ENKUlT_T0_E_clISt17integral_constantIbLb1EES19_EEDaS14_S15_EUlS14_E_NS1_11comp_targetILNS1_3genE5ELNS1_11target_archE942ELNS1_3gpuE9ELNS1_3repE0EEENS1_30default_config_static_selectorELNS0_4arch9wavefront6targetE1EEEvT1_, .Lfunc_end394-_ZN7rocprim17ROCPRIM_400000_NS6detail17trampoline_kernelINS0_14default_configENS1_25partition_config_selectorILNS1_17partition_subalgoE1ExNS0_10empty_typeEbEEZZNS1_14partition_implILS5_1ELb0ES3_jN6thrust23THRUST_200600_302600_NS6detail15normal_iteratorINSA_10device_ptrIxEEEEPS6_NSA_18transform_iteratorI7is_evenIxESF_NSA_11use_defaultESK_EENS0_5tupleIJSF_SF_EEENSM_IJSG_SG_EEES6_PlJS6_EEE10hipError_tPvRmT3_T4_T5_T6_T7_T9_mT8_P12ihipStream_tbDpT10_ENKUlT_T0_E_clISt17integral_constantIbLb1EES19_EEDaS14_S15_EUlS14_E_NS1_11comp_targetILNS1_3genE5ELNS1_11target_archE942ELNS1_3gpuE9ELNS1_3repE0EEENS1_30default_config_static_selectorELNS0_4arch9wavefront6targetE1EEEvT1_
                                        ; -- End function
	.section	.AMDGPU.csdata,"",@progbits
; Kernel info:
; codeLenInByte = 5268
; NumSgprs: 50
; NumVgprs: 58
; NumAgprs: 0
; TotalNumVgprs: 58
; ScratchSize: 0
; MemoryBound: 0
; FloatMode: 240
; IeeeMode: 1
; LDSByteSize: 28680 bytes/workgroup (compile time only)
; SGPRBlocks: 6
; VGPRBlocks: 7
; NumSGPRsForWavesPerEU: 50
; NumVGPRsForWavesPerEU: 58
; AccumOffset: 60
; Occupancy: 4
; WaveLimiterHint : 1
; COMPUTE_PGM_RSRC2:SCRATCH_EN: 0
; COMPUTE_PGM_RSRC2:USER_SGPR: 2
; COMPUTE_PGM_RSRC2:TRAP_HANDLER: 0
; COMPUTE_PGM_RSRC2:TGID_X_EN: 1
; COMPUTE_PGM_RSRC2:TGID_Y_EN: 0
; COMPUTE_PGM_RSRC2:TGID_Z_EN: 0
; COMPUTE_PGM_RSRC2:TIDIG_COMP_CNT: 0
; COMPUTE_PGM_RSRC3_GFX90A:ACCUM_OFFSET: 14
; COMPUTE_PGM_RSRC3_GFX90A:TG_SPLIT: 0
	.section	.text._ZN7rocprim17ROCPRIM_400000_NS6detail17trampoline_kernelINS0_14default_configENS1_25partition_config_selectorILNS1_17partition_subalgoE1ExNS0_10empty_typeEbEEZZNS1_14partition_implILS5_1ELb0ES3_jN6thrust23THRUST_200600_302600_NS6detail15normal_iteratorINSA_10device_ptrIxEEEEPS6_NSA_18transform_iteratorI7is_evenIxESF_NSA_11use_defaultESK_EENS0_5tupleIJSF_SF_EEENSM_IJSG_SG_EEES6_PlJS6_EEE10hipError_tPvRmT3_T4_T5_T6_T7_T9_mT8_P12ihipStream_tbDpT10_ENKUlT_T0_E_clISt17integral_constantIbLb1EES19_EEDaS14_S15_EUlS14_E_NS1_11comp_targetILNS1_3genE4ELNS1_11target_archE910ELNS1_3gpuE8ELNS1_3repE0EEENS1_30default_config_static_selectorELNS0_4arch9wavefront6targetE1EEEvT1_,"axG",@progbits,_ZN7rocprim17ROCPRIM_400000_NS6detail17trampoline_kernelINS0_14default_configENS1_25partition_config_selectorILNS1_17partition_subalgoE1ExNS0_10empty_typeEbEEZZNS1_14partition_implILS5_1ELb0ES3_jN6thrust23THRUST_200600_302600_NS6detail15normal_iteratorINSA_10device_ptrIxEEEEPS6_NSA_18transform_iteratorI7is_evenIxESF_NSA_11use_defaultESK_EENS0_5tupleIJSF_SF_EEENSM_IJSG_SG_EEES6_PlJS6_EEE10hipError_tPvRmT3_T4_T5_T6_T7_T9_mT8_P12ihipStream_tbDpT10_ENKUlT_T0_E_clISt17integral_constantIbLb1EES19_EEDaS14_S15_EUlS14_E_NS1_11comp_targetILNS1_3genE4ELNS1_11target_archE910ELNS1_3gpuE8ELNS1_3repE0EEENS1_30default_config_static_selectorELNS0_4arch9wavefront6targetE1EEEvT1_,comdat
	.protected	_ZN7rocprim17ROCPRIM_400000_NS6detail17trampoline_kernelINS0_14default_configENS1_25partition_config_selectorILNS1_17partition_subalgoE1ExNS0_10empty_typeEbEEZZNS1_14partition_implILS5_1ELb0ES3_jN6thrust23THRUST_200600_302600_NS6detail15normal_iteratorINSA_10device_ptrIxEEEEPS6_NSA_18transform_iteratorI7is_evenIxESF_NSA_11use_defaultESK_EENS0_5tupleIJSF_SF_EEENSM_IJSG_SG_EEES6_PlJS6_EEE10hipError_tPvRmT3_T4_T5_T6_T7_T9_mT8_P12ihipStream_tbDpT10_ENKUlT_T0_E_clISt17integral_constantIbLb1EES19_EEDaS14_S15_EUlS14_E_NS1_11comp_targetILNS1_3genE4ELNS1_11target_archE910ELNS1_3gpuE8ELNS1_3repE0EEENS1_30default_config_static_selectorELNS0_4arch9wavefront6targetE1EEEvT1_ ; -- Begin function _ZN7rocprim17ROCPRIM_400000_NS6detail17trampoline_kernelINS0_14default_configENS1_25partition_config_selectorILNS1_17partition_subalgoE1ExNS0_10empty_typeEbEEZZNS1_14partition_implILS5_1ELb0ES3_jN6thrust23THRUST_200600_302600_NS6detail15normal_iteratorINSA_10device_ptrIxEEEEPS6_NSA_18transform_iteratorI7is_evenIxESF_NSA_11use_defaultESK_EENS0_5tupleIJSF_SF_EEENSM_IJSG_SG_EEES6_PlJS6_EEE10hipError_tPvRmT3_T4_T5_T6_T7_T9_mT8_P12ihipStream_tbDpT10_ENKUlT_T0_E_clISt17integral_constantIbLb1EES19_EEDaS14_S15_EUlS14_E_NS1_11comp_targetILNS1_3genE4ELNS1_11target_archE910ELNS1_3gpuE8ELNS1_3repE0EEENS1_30default_config_static_selectorELNS0_4arch9wavefront6targetE1EEEvT1_
	.globl	_ZN7rocprim17ROCPRIM_400000_NS6detail17trampoline_kernelINS0_14default_configENS1_25partition_config_selectorILNS1_17partition_subalgoE1ExNS0_10empty_typeEbEEZZNS1_14partition_implILS5_1ELb0ES3_jN6thrust23THRUST_200600_302600_NS6detail15normal_iteratorINSA_10device_ptrIxEEEEPS6_NSA_18transform_iteratorI7is_evenIxESF_NSA_11use_defaultESK_EENS0_5tupleIJSF_SF_EEENSM_IJSG_SG_EEES6_PlJS6_EEE10hipError_tPvRmT3_T4_T5_T6_T7_T9_mT8_P12ihipStream_tbDpT10_ENKUlT_T0_E_clISt17integral_constantIbLb1EES19_EEDaS14_S15_EUlS14_E_NS1_11comp_targetILNS1_3genE4ELNS1_11target_archE910ELNS1_3gpuE8ELNS1_3repE0EEENS1_30default_config_static_selectorELNS0_4arch9wavefront6targetE1EEEvT1_
	.p2align	8
	.type	_ZN7rocprim17ROCPRIM_400000_NS6detail17trampoline_kernelINS0_14default_configENS1_25partition_config_selectorILNS1_17partition_subalgoE1ExNS0_10empty_typeEbEEZZNS1_14partition_implILS5_1ELb0ES3_jN6thrust23THRUST_200600_302600_NS6detail15normal_iteratorINSA_10device_ptrIxEEEEPS6_NSA_18transform_iteratorI7is_evenIxESF_NSA_11use_defaultESK_EENS0_5tupleIJSF_SF_EEENSM_IJSG_SG_EEES6_PlJS6_EEE10hipError_tPvRmT3_T4_T5_T6_T7_T9_mT8_P12ihipStream_tbDpT10_ENKUlT_T0_E_clISt17integral_constantIbLb1EES19_EEDaS14_S15_EUlS14_E_NS1_11comp_targetILNS1_3genE4ELNS1_11target_archE910ELNS1_3gpuE8ELNS1_3repE0EEENS1_30default_config_static_selectorELNS0_4arch9wavefront6targetE1EEEvT1_,@function
_ZN7rocprim17ROCPRIM_400000_NS6detail17trampoline_kernelINS0_14default_configENS1_25partition_config_selectorILNS1_17partition_subalgoE1ExNS0_10empty_typeEbEEZZNS1_14partition_implILS5_1ELb0ES3_jN6thrust23THRUST_200600_302600_NS6detail15normal_iteratorINSA_10device_ptrIxEEEEPS6_NSA_18transform_iteratorI7is_evenIxESF_NSA_11use_defaultESK_EENS0_5tupleIJSF_SF_EEENSM_IJSG_SG_EEES6_PlJS6_EEE10hipError_tPvRmT3_T4_T5_T6_T7_T9_mT8_P12ihipStream_tbDpT10_ENKUlT_T0_E_clISt17integral_constantIbLb1EES19_EEDaS14_S15_EUlS14_E_NS1_11comp_targetILNS1_3genE4ELNS1_11target_archE910ELNS1_3gpuE8ELNS1_3repE0EEENS1_30default_config_static_selectorELNS0_4arch9wavefront6targetE1EEEvT1_: ; @_ZN7rocprim17ROCPRIM_400000_NS6detail17trampoline_kernelINS0_14default_configENS1_25partition_config_selectorILNS1_17partition_subalgoE1ExNS0_10empty_typeEbEEZZNS1_14partition_implILS5_1ELb0ES3_jN6thrust23THRUST_200600_302600_NS6detail15normal_iteratorINSA_10device_ptrIxEEEEPS6_NSA_18transform_iteratorI7is_evenIxESF_NSA_11use_defaultESK_EENS0_5tupleIJSF_SF_EEENSM_IJSG_SG_EEES6_PlJS6_EEE10hipError_tPvRmT3_T4_T5_T6_T7_T9_mT8_P12ihipStream_tbDpT10_ENKUlT_T0_E_clISt17integral_constantIbLb1EES19_EEDaS14_S15_EUlS14_E_NS1_11comp_targetILNS1_3genE4ELNS1_11target_archE910ELNS1_3gpuE8ELNS1_3repE0EEENS1_30default_config_static_selectorELNS0_4arch9wavefront6targetE1EEEvT1_
; %bb.0:
	.section	.rodata,"a",@progbits
	.p2align	6, 0x0
	.amdhsa_kernel _ZN7rocprim17ROCPRIM_400000_NS6detail17trampoline_kernelINS0_14default_configENS1_25partition_config_selectorILNS1_17partition_subalgoE1ExNS0_10empty_typeEbEEZZNS1_14partition_implILS5_1ELb0ES3_jN6thrust23THRUST_200600_302600_NS6detail15normal_iteratorINSA_10device_ptrIxEEEEPS6_NSA_18transform_iteratorI7is_evenIxESF_NSA_11use_defaultESK_EENS0_5tupleIJSF_SF_EEENSM_IJSG_SG_EEES6_PlJS6_EEE10hipError_tPvRmT3_T4_T5_T6_T7_T9_mT8_P12ihipStream_tbDpT10_ENKUlT_T0_E_clISt17integral_constantIbLb1EES19_EEDaS14_S15_EUlS14_E_NS1_11comp_targetILNS1_3genE4ELNS1_11target_archE910ELNS1_3gpuE8ELNS1_3repE0EEENS1_30default_config_static_selectorELNS0_4arch9wavefront6targetE1EEEvT1_
		.amdhsa_group_segment_fixed_size 0
		.amdhsa_private_segment_fixed_size 0
		.amdhsa_kernarg_size 144
		.amdhsa_user_sgpr_count 2
		.amdhsa_user_sgpr_dispatch_ptr 0
		.amdhsa_user_sgpr_queue_ptr 0
		.amdhsa_user_sgpr_kernarg_segment_ptr 1
		.amdhsa_user_sgpr_dispatch_id 0
		.amdhsa_user_sgpr_kernarg_preload_length 0
		.amdhsa_user_sgpr_kernarg_preload_offset 0
		.amdhsa_user_sgpr_private_segment_size 0
		.amdhsa_uses_dynamic_stack 0
		.amdhsa_enable_private_segment 0
		.amdhsa_system_sgpr_workgroup_id_x 1
		.amdhsa_system_sgpr_workgroup_id_y 0
		.amdhsa_system_sgpr_workgroup_id_z 0
		.amdhsa_system_sgpr_workgroup_info 0
		.amdhsa_system_vgpr_workitem_id 0
		.amdhsa_next_free_vgpr 1
		.amdhsa_next_free_sgpr 0
		.amdhsa_accum_offset 4
		.amdhsa_reserve_vcc 0
		.amdhsa_float_round_mode_32 0
		.amdhsa_float_round_mode_16_64 0
		.amdhsa_float_denorm_mode_32 3
		.amdhsa_float_denorm_mode_16_64 3
		.amdhsa_dx10_clamp 1
		.amdhsa_ieee_mode 1
		.amdhsa_fp16_overflow 0
		.amdhsa_tg_split 0
		.amdhsa_exception_fp_ieee_invalid_op 0
		.amdhsa_exception_fp_denorm_src 0
		.amdhsa_exception_fp_ieee_div_zero 0
		.amdhsa_exception_fp_ieee_overflow 0
		.amdhsa_exception_fp_ieee_underflow 0
		.amdhsa_exception_fp_ieee_inexact 0
		.amdhsa_exception_int_div_zero 0
	.end_amdhsa_kernel
	.section	.text._ZN7rocprim17ROCPRIM_400000_NS6detail17trampoline_kernelINS0_14default_configENS1_25partition_config_selectorILNS1_17partition_subalgoE1ExNS0_10empty_typeEbEEZZNS1_14partition_implILS5_1ELb0ES3_jN6thrust23THRUST_200600_302600_NS6detail15normal_iteratorINSA_10device_ptrIxEEEEPS6_NSA_18transform_iteratorI7is_evenIxESF_NSA_11use_defaultESK_EENS0_5tupleIJSF_SF_EEENSM_IJSG_SG_EEES6_PlJS6_EEE10hipError_tPvRmT3_T4_T5_T6_T7_T9_mT8_P12ihipStream_tbDpT10_ENKUlT_T0_E_clISt17integral_constantIbLb1EES19_EEDaS14_S15_EUlS14_E_NS1_11comp_targetILNS1_3genE4ELNS1_11target_archE910ELNS1_3gpuE8ELNS1_3repE0EEENS1_30default_config_static_selectorELNS0_4arch9wavefront6targetE1EEEvT1_,"axG",@progbits,_ZN7rocprim17ROCPRIM_400000_NS6detail17trampoline_kernelINS0_14default_configENS1_25partition_config_selectorILNS1_17partition_subalgoE1ExNS0_10empty_typeEbEEZZNS1_14partition_implILS5_1ELb0ES3_jN6thrust23THRUST_200600_302600_NS6detail15normal_iteratorINSA_10device_ptrIxEEEEPS6_NSA_18transform_iteratorI7is_evenIxESF_NSA_11use_defaultESK_EENS0_5tupleIJSF_SF_EEENSM_IJSG_SG_EEES6_PlJS6_EEE10hipError_tPvRmT3_T4_T5_T6_T7_T9_mT8_P12ihipStream_tbDpT10_ENKUlT_T0_E_clISt17integral_constantIbLb1EES19_EEDaS14_S15_EUlS14_E_NS1_11comp_targetILNS1_3genE4ELNS1_11target_archE910ELNS1_3gpuE8ELNS1_3repE0EEENS1_30default_config_static_selectorELNS0_4arch9wavefront6targetE1EEEvT1_,comdat
.Lfunc_end395:
	.size	_ZN7rocprim17ROCPRIM_400000_NS6detail17trampoline_kernelINS0_14default_configENS1_25partition_config_selectorILNS1_17partition_subalgoE1ExNS0_10empty_typeEbEEZZNS1_14partition_implILS5_1ELb0ES3_jN6thrust23THRUST_200600_302600_NS6detail15normal_iteratorINSA_10device_ptrIxEEEEPS6_NSA_18transform_iteratorI7is_evenIxESF_NSA_11use_defaultESK_EENS0_5tupleIJSF_SF_EEENSM_IJSG_SG_EEES6_PlJS6_EEE10hipError_tPvRmT3_T4_T5_T6_T7_T9_mT8_P12ihipStream_tbDpT10_ENKUlT_T0_E_clISt17integral_constantIbLb1EES19_EEDaS14_S15_EUlS14_E_NS1_11comp_targetILNS1_3genE4ELNS1_11target_archE910ELNS1_3gpuE8ELNS1_3repE0EEENS1_30default_config_static_selectorELNS0_4arch9wavefront6targetE1EEEvT1_, .Lfunc_end395-_ZN7rocprim17ROCPRIM_400000_NS6detail17trampoline_kernelINS0_14default_configENS1_25partition_config_selectorILNS1_17partition_subalgoE1ExNS0_10empty_typeEbEEZZNS1_14partition_implILS5_1ELb0ES3_jN6thrust23THRUST_200600_302600_NS6detail15normal_iteratorINSA_10device_ptrIxEEEEPS6_NSA_18transform_iteratorI7is_evenIxESF_NSA_11use_defaultESK_EENS0_5tupleIJSF_SF_EEENSM_IJSG_SG_EEES6_PlJS6_EEE10hipError_tPvRmT3_T4_T5_T6_T7_T9_mT8_P12ihipStream_tbDpT10_ENKUlT_T0_E_clISt17integral_constantIbLb1EES19_EEDaS14_S15_EUlS14_E_NS1_11comp_targetILNS1_3genE4ELNS1_11target_archE910ELNS1_3gpuE8ELNS1_3repE0EEENS1_30default_config_static_selectorELNS0_4arch9wavefront6targetE1EEEvT1_
                                        ; -- End function
	.section	.AMDGPU.csdata,"",@progbits
; Kernel info:
; codeLenInByte = 0
; NumSgprs: 6
; NumVgprs: 0
; NumAgprs: 0
; TotalNumVgprs: 0
; ScratchSize: 0
; MemoryBound: 0
; FloatMode: 240
; IeeeMode: 1
; LDSByteSize: 0 bytes/workgroup (compile time only)
; SGPRBlocks: 0
; VGPRBlocks: 0
; NumSGPRsForWavesPerEU: 6
; NumVGPRsForWavesPerEU: 1
; AccumOffset: 4
; Occupancy: 8
; WaveLimiterHint : 0
; COMPUTE_PGM_RSRC2:SCRATCH_EN: 0
; COMPUTE_PGM_RSRC2:USER_SGPR: 2
; COMPUTE_PGM_RSRC2:TRAP_HANDLER: 0
; COMPUTE_PGM_RSRC2:TGID_X_EN: 1
; COMPUTE_PGM_RSRC2:TGID_Y_EN: 0
; COMPUTE_PGM_RSRC2:TGID_Z_EN: 0
; COMPUTE_PGM_RSRC2:TIDIG_COMP_CNT: 0
; COMPUTE_PGM_RSRC3_GFX90A:ACCUM_OFFSET: 0
; COMPUTE_PGM_RSRC3_GFX90A:TG_SPLIT: 0
	.section	.text._ZN7rocprim17ROCPRIM_400000_NS6detail17trampoline_kernelINS0_14default_configENS1_25partition_config_selectorILNS1_17partition_subalgoE1ExNS0_10empty_typeEbEEZZNS1_14partition_implILS5_1ELb0ES3_jN6thrust23THRUST_200600_302600_NS6detail15normal_iteratorINSA_10device_ptrIxEEEEPS6_NSA_18transform_iteratorI7is_evenIxESF_NSA_11use_defaultESK_EENS0_5tupleIJSF_SF_EEENSM_IJSG_SG_EEES6_PlJS6_EEE10hipError_tPvRmT3_T4_T5_T6_T7_T9_mT8_P12ihipStream_tbDpT10_ENKUlT_T0_E_clISt17integral_constantIbLb1EES19_EEDaS14_S15_EUlS14_E_NS1_11comp_targetILNS1_3genE3ELNS1_11target_archE908ELNS1_3gpuE7ELNS1_3repE0EEENS1_30default_config_static_selectorELNS0_4arch9wavefront6targetE1EEEvT1_,"axG",@progbits,_ZN7rocprim17ROCPRIM_400000_NS6detail17trampoline_kernelINS0_14default_configENS1_25partition_config_selectorILNS1_17partition_subalgoE1ExNS0_10empty_typeEbEEZZNS1_14partition_implILS5_1ELb0ES3_jN6thrust23THRUST_200600_302600_NS6detail15normal_iteratorINSA_10device_ptrIxEEEEPS6_NSA_18transform_iteratorI7is_evenIxESF_NSA_11use_defaultESK_EENS0_5tupleIJSF_SF_EEENSM_IJSG_SG_EEES6_PlJS6_EEE10hipError_tPvRmT3_T4_T5_T6_T7_T9_mT8_P12ihipStream_tbDpT10_ENKUlT_T0_E_clISt17integral_constantIbLb1EES19_EEDaS14_S15_EUlS14_E_NS1_11comp_targetILNS1_3genE3ELNS1_11target_archE908ELNS1_3gpuE7ELNS1_3repE0EEENS1_30default_config_static_selectorELNS0_4arch9wavefront6targetE1EEEvT1_,comdat
	.protected	_ZN7rocprim17ROCPRIM_400000_NS6detail17trampoline_kernelINS0_14default_configENS1_25partition_config_selectorILNS1_17partition_subalgoE1ExNS0_10empty_typeEbEEZZNS1_14partition_implILS5_1ELb0ES3_jN6thrust23THRUST_200600_302600_NS6detail15normal_iteratorINSA_10device_ptrIxEEEEPS6_NSA_18transform_iteratorI7is_evenIxESF_NSA_11use_defaultESK_EENS0_5tupleIJSF_SF_EEENSM_IJSG_SG_EEES6_PlJS6_EEE10hipError_tPvRmT3_T4_T5_T6_T7_T9_mT8_P12ihipStream_tbDpT10_ENKUlT_T0_E_clISt17integral_constantIbLb1EES19_EEDaS14_S15_EUlS14_E_NS1_11comp_targetILNS1_3genE3ELNS1_11target_archE908ELNS1_3gpuE7ELNS1_3repE0EEENS1_30default_config_static_selectorELNS0_4arch9wavefront6targetE1EEEvT1_ ; -- Begin function _ZN7rocprim17ROCPRIM_400000_NS6detail17trampoline_kernelINS0_14default_configENS1_25partition_config_selectorILNS1_17partition_subalgoE1ExNS0_10empty_typeEbEEZZNS1_14partition_implILS5_1ELb0ES3_jN6thrust23THRUST_200600_302600_NS6detail15normal_iteratorINSA_10device_ptrIxEEEEPS6_NSA_18transform_iteratorI7is_evenIxESF_NSA_11use_defaultESK_EENS0_5tupleIJSF_SF_EEENSM_IJSG_SG_EEES6_PlJS6_EEE10hipError_tPvRmT3_T4_T5_T6_T7_T9_mT8_P12ihipStream_tbDpT10_ENKUlT_T0_E_clISt17integral_constantIbLb1EES19_EEDaS14_S15_EUlS14_E_NS1_11comp_targetILNS1_3genE3ELNS1_11target_archE908ELNS1_3gpuE7ELNS1_3repE0EEENS1_30default_config_static_selectorELNS0_4arch9wavefront6targetE1EEEvT1_
	.globl	_ZN7rocprim17ROCPRIM_400000_NS6detail17trampoline_kernelINS0_14default_configENS1_25partition_config_selectorILNS1_17partition_subalgoE1ExNS0_10empty_typeEbEEZZNS1_14partition_implILS5_1ELb0ES3_jN6thrust23THRUST_200600_302600_NS6detail15normal_iteratorINSA_10device_ptrIxEEEEPS6_NSA_18transform_iteratorI7is_evenIxESF_NSA_11use_defaultESK_EENS0_5tupleIJSF_SF_EEENSM_IJSG_SG_EEES6_PlJS6_EEE10hipError_tPvRmT3_T4_T5_T6_T7_T9_mT8_P12ihipStream_tbDpT10_ENKUlT_T0_E_clISt17integral_constantIbLb1EES19_EEDaS14_S15_EUlS14_E_NS1_11comp_targetILNS1_3genE3ELNS1_11target_archE908ELNS1_3gpuE7ELNS1_3repE0EEENS1_30default_config_static_selectorELNS0_4arch9wavefront6targetE1EEEvT1_
	.p2align	8
	.type	_ZN7rocprim17ROCPRIM_400000_NS6detail17trampoline_kernelINS0_14default_configENS1_25partition_config_selectorILNS1_17partition_subalgoE1ExNS0_10empty_typeEbEEZZNS1_14partition_implILS5_1ELb0ES3_jN6thrust23THRUST_200600_302600_NS6detail15normal_iteratorINSA_10device_ptrIxEEEEPS6_NSA_18transform_iteratorI7is_evenIxESF_NSA_11use_defaultESK_EENS0_5tupleIJSF_SF_EEENSM_IJSG_SG_EEES6_PlJS6_EEE10hipError_tPvRmT3_T4_T5_T6_T7_T9_mT8_P12ihipStream_tbDpT10_ENKUlT_T0_E_clISt17integral_constantIbLb1EES19_EEDaS14_S15_EUlS14_E_NS1_11comp_targetILNS1_3genE3ELNS1_11target_archE908ELNS1_3gpuE7ELNS1_3repE0EEENS1_30default_config_static_selectorELNS0_4arch9wavefront6targetE1EEEvT1_,@function
_ZN7rocprim17ROCPRIM_400000_NS6detail17trampoline_kernelINS0_14default_configENS1_25partition_config_selectorILNS1_17partition_subalgoE1ExNS0_10empty_typeEbEEZZNS1_14partition_implILS5_1ELb0ES3_jN6thrust23THRUST_200600_302600_NS6detail15normal_iteratorINSA_10device_ptrIxEEEEPS6_NSA_18transform_iteratorI7is_evenIxESF_NSA_11use_defaultESK_EENS0_5tupleIJSF_SF_EEENSM_IJSG_SG_EEES6_PlJS6_EEE10hipError_tPvRmT3_T4_T5_T6_T7_T9_mT8_P12ihipStream_tbDpT10_ENKUlT_T0_E_clISt17integral_constantIbLb1EES19_EEDaS14_S15_EUlS14_E_NS1_11comp_targetILNS1_3genE3ELNS1_11target_archE908ELNS1_3gpuE7ELNS1_3repE0EEENS1_30default_config_static_selectorELNS0_4arch9wavefront6targetE1EEEvT1_: ; @_ZN7rocprim17ROCPRIM_400000_NS6detail17trampoline_kernelINS0_14default_configENS1_25partition_config_selectorILNS1_17partition_subalgoE1ExNS0_10empty_typeEbEEZZNS1_14partition_implILS5_1ELb0ES3_jN6thrust23THRUST_200600_302600_NS6detail15normal_iteratorINSA_10device_ptrIxEEEEPS6_NSA_18transform_iteratorI7is_evenIxESF_NSA_11use_defaultESK_EENS0_5tupleIJSF_SF_EEENSM_IJSG_SG_EEES6_PlJS6_EEE10hipError_tPvRmT3_T4_T5_T6_T7_T9_mT8_P12ihipStream_tbDpT10_ENKUlT_T0_E_clISt17integral_constantIbLb1EES19_EEDaS14_S15_EUlS14_E_NS1_11comp_targetILNS1_3genE3ELNS1_11target_archE908ELNS1_3gpuE7ELNS1_3repE0EEENS1_30default_config_static_selectorELNS0_4arch9wavefront6targetE1EEEvT1_
; %bb.0:
	.section	.rodata,"a",@progbits
	.p2align	6, 0x0
	.amdhsa_kernel _ZN7rocprim17ROCPRIM_400000_NS6detail17trampoline_kernelINS0_14default_configENS1_25partition_config_selectorILNS1_17partition_subalgoE1ExNS0_10empty_typeEbEEZZNS1_14partition_implILS5_1ELb0ES3_jN6thrust23THRUST_200600_302600_NS6detail15normal_iteratorINSA_10device_ptrIxEEEEPS6_NSA_18transform_iteratorI7is_evenIxESF_NSA_11use_defaultESK_EENS0_5tupleIJSF_SF_EEENSM_IJSG_SG_EEES6_PlJS6_EEE10hipError_tPvRmT3_T4_T5_T6_T7_T9_mT8_P12ihipStream_tbDpT10_ENKUlT_T0_E_clISt17integral_constantIbLb1EES19_EEDaS14_S15_EUlS14_E_NS1_11comp_targetILNS1_3genE3ELNS1_11target_archE908ELNS1_3gpuE7ELNS1_3repE0EEENS1_30default_config_static_selectorELNS0_4arch9wavefront6targetE1EEEvT1_
		.amdhsa_group_segment_fixed_size 0
		.amdhsa_private_segment_fixed_size 0
		.amdhsa_kernarg_size 144
		.amdhsa_user_sgpr_count 2
		.amdhsa_user_sgpr_dispatch_ptr 0
		.amdhsa_user_sgpr_queue_ptr 0
		.amdhsa_user_sgpr_kernarg_segment_ptr 1
		.amdhsa_user_sgpr_dispatch_id 0
		.amdhsa_user_sgpr_kernarg_preload_length 0
		.amdhsa_user_sgpr_kernarg_preload_offset 0
		.amdhsa_user_sgpr_private_segment_size 0
		.amdhsa_uses_dynamic_stack 0
		.amdhsa_enable_private_segment 0
		.amdhsa_system_sgpr_workgroup_id_x 1
		.amdhsa_system_sgpr_workgroup_id_y 0
		.amdhsa_system_sgpr_workgroup_id_z 0
		.amdhsa_system_sgpr_workgroup_info 0
		.amdhsa_system_vgpr_workitem_id 0
		.amdhsa_next_free_vgpr 1
		.amdhsa_next_free_sgpr 0
		.amdhsa_accum_offset 4
		.amdhsa_reserve_vcc 0
		.amdhsa_float_round_mode_32 0
		.amdhsa_float_round_mode_16_64 0
		.amdhsa_float_denorm_mode_32 3
		.amdhsa_float_denorm_mode_16_64 3
		.amdhsa_dx10_clamp 1
		.amdhsa_ieee_mode 1
		.amdhsa_fp16_overflow 0
		.amdhsa_tg_split 0
		.amdhsa_exception_fp_ieee_invalid_op 0
		.amdhsa_exception_fp_denorm_src 0
		.amdhsa_exception_fp_ieee_div_zero 0
		.amdhsa_exception_fp_ieee_overflow 0
		.amdhsa_exception_fp_ieee_underflow 0
		.amdhsa_exception_fp_ieee_inexact 0
		.amdhsa_exception_int_div_zero 0
	.end_amdhsa_kernel
	.section	.text._ZN7rocprim17ROCPRIM_400000_NS6detail17trampoline_kernelINS0_14default_configENS1_25partition_config_selectorILNS1_17partition_subalgoE1ExNS0_10empty_typeEbEEZZNS1_14partition_implILS5_1ELb0ES3_jN6thrust23THRUST_200600_302600_NS6detail15normal_iteratorINSA_10device_ptrIxEEEEPS6_NSA_18transform_iteratorI7is_evenIxESF_NSA_11use_defaultESK_EENS0_5tupleIJSF_SF_EEENSM_IJSG_SG_EEES6_PlJS6_EEE10hipError_tPvRmT3_T4_T5_T6_T7_T9_mT8_P12ihipStream_tbDpT10_ENKUlT_T0_E_clISt17integral_constantIbLb1EES19_EEDaS14_S15_EUlS14_E_NS1_11comp_targetILNS1_3genE3ELNS1_11target_archE908ELNS1_3gpuE7ELNS1_3repE0EEENS1_30default_config_static_selectorELNS0_4arch9wavefront6targetE1EEEvT1_,"axG",@progbits,_ZN7rocprim17ROCPRIM_400000_NS6detail17trampoline_kernelINS0_14default_configENS1_25partition_config_selectorILNS1_17partition_subalgoE1ExNS0_10empty_typeEbEEZZNS1_14partition_implILS5_1ELb0ES3_jN6thrust23THRUST_200600_302600_NS6detail15normal_iteratorINSA_10device_ptrIxEEEEPS6_NSA_18transform_iteratorI7is_evenIxESF_NSA_11use_defaultESK_EENS0_5tupleIJSF_SF_EEENSM_IJSG_SG_EEES6_PlJS6_EEE10hipError_tPvRmT3_T4_T5_T6_T7_T9_mT8_P12ihipStream_tbDpT10_ENKUlT_T0_E_clISt17integral_constantIbLb1EES19_EEDaS14_S15_EUlS14_E_NS1_11comp_targetILNS1_3genE3ELNS1_11target_archE908ELNS1_3gpuE7ELNS1_3repE0EEENS1_30default_config_static_selectorELNS0_4arch9wavefront6targetE1EEEvT1_,comdat
.Lfunc_end396:
	.size	_ZN7rocprim17ROCPRIM_400000_NS6detail17trampoline_kernelINS0_14default_configENS1_25partition_config_selectorILNS1_17partition_subalgoE1ExNS0_10empty_typeEbEEZZNS1_14partition_implILS5_1ELb0ES3_jN6thrust23THRUST_200600_302600_NS6detail15normal_iteratorINSA_10device_ptrIxEEEEPS6_NSA_18transform_iteratorI7is_evenIxESF_NSA_11use_defaultESK_EENS0_5tupleIJSF_SF_EEENSM_IJSG_SG_EEES6_PlJS6_EEE10hipError_tPvRmT3_T4_T5_T6_T7_T9_mT8_P12ihipStream_tbDpT10_ENKUlT_T0_E_clISt17integral_constantIbLb1EES19_EEDaS14_S15_EUlS14_E_NS1_11comp_targetILNS1_3genE3ELNS1_11target_archE908ELNS1_3gpuE7ELNS1_3repE0EEENS1_30default_config_static_selectorELNS0_4arch9wavefront6targetE1EEEvT1_, .Lfunc_end396-_ZN7rocprim17ROCPRIM_400000_NS6detail17trampoline_kernelINS0_14default_configENS1_25partition_config_selectorILNS1_17partition_subalgoE1ExNS0_10empty_typeEbEEZZNS1_14partition_implILS5_1ELb0ES3_jN6thrust23THRUST_200600_302600_NS6detail15normal_iteratorINSA_10device_ptrIxEEEEPS6_NSA_18transform_iteratorI7is_evenIxESF_NSA_11use_defaultESK_EENS0_5tupleIJSF_SF_EEENSM_IJSG_SG_EEES6_PlJS6_EEE10hipError_tPvRmT3_T4_T5_T6_T7_T9_mT8_P12ihipStream_tbDpT10_ENKUlT_T0_E_clISt17integral_constantIbLb1EES19_EEDaS14_S15_EUlS14_E_NS1_11comp_targetILNS1_3genE3ELNS1_11target_archE908ELNS1_3gpuE7ELNS1_3repE0EEENS1_30default_config_static_selectorELNS0_4arch9wavefront6targetE1EEEvT1_
                                        ; -- End function
	.section	.AMDGPU.csdata,"",@progbits
; Kernel info:
; codeLenInByte = 0
; NumSgprs: 6
; NumVgprs: 0
; NumAgprs: 0
; TotalNumVgprs: 0
; ScratchSize: 0
; MemoryBound: 0
; FloatMode: 240
; IeeeMode: 1
; LDSByteSize: 0 bytes/workgroup (compile time only)
; SGPRBlocks: 0
; VGPRBlocks: 0
; NumSGPRsForWavesPerEU: 6
; NumVGPRsForWavesPerEU: 1
; AccumOffset: 4
; Occupancy: 8
; WaveLimiterHint : 0
; COMPUTE_PGM_RSRC2:SCRATCH_EN: 0
; COMPUTE_PGM_RSRC2:USER_SGPR: 2
; COMPUTE_PGM_RSRC2:TRAP_HANDLER: 0
; COMPUTE_PGM_RSRC2:TGID_X_EN: 1
; COMPUTE_PGM_RSRC2:TGID_Y_EN: 0
; COMPUTE_PGM_RSRC2:TGID_Z_EN: 0
; COMPUTE_PGM_RSRC2:TIDIG_COMP_CNT: 0
; COMPUTE_PGM_RSRC3_GFX90A:ACCUM_OFFSET: 0
; COMPUTE_PGM_RSRC3_GFX90A:TG_SPLIT: 0
	.section	.text._ZN7rocprim17ROCPRIM_400000_NS6detail17trampoline_kernelINS0_14default_configENS1_25partition_config_selectorILNS1_17partition_subalgoE1ExNS0_10empty_typeEbEEZZNS1_14partition_implILS5_1ELb0ES3_jN6thrust23THRUST_200600_302600_NS6detail15normal_iteratorINSA_10device_ptrIxEEEEPS6_NSA_18transform_iteratorI7is_evenIxESF_NSA_11use_defaultESK_EENS0_5tupleIJSF_SF_EEENSM_IJSG_SG_EEES6_PlJS6_EEE10hipError_tPvRmT3_T4_T5_T6_T7_T9_mT8_P12ihipStream_tbDpT10_ENKUlT_T0_E_clISt17integral_constantIbLb1EES19_EEDaS14_S15_EUlS14_E_NS1_11comp_targetILNS1_3genE2ELNS1_11target_archE906ELNS1_3gpuE6ELNS1_3repE0EEENS1_30default_config_static_selectorELNS0_4arch9wavefront6targetE1EEEvT1_,"axG",@progbits,_ZN7rocprim17ROCPRIM_400000_NS6detail17trampoline_kernelINS0_14default_configENS1_25partition_config_selectorILNS1_17partition_subalgoE1ExNS0_10empty_typeEbEEZZNS1_14partition_implILS5_1ELb0ES3_jN6thrust23THRUST_200600_302600_NS6detail15normal_iteratorINSA_10device_ptrIxEEEEPS6_NSA_18transform_iteratorI7is_evenIxESF_NSA_11use_defaultESK_EENS0_5tupleIJSF_SF_EEENSM_IJSG_SG_EEES6_PlJS6_EEE10hipError_tPvRmT3_T4_T5_T6_T7_T9_mT8_P12ihipStream_tbDpT10_ENKUlT_T0_E_clISt17integral_constantIbLb1EES19_EEDaS14_S15_EUlS14_E_NS1_11comp_targetILNS1_3genE2ELNS1_11target_archE906ELNS1_3gpuE6ELNS1_3repE0EEENS1_30default_config_static_selectorELNS0_4arch9wavefront6targetE1EEEvT1_,comdat
	.protected	_ZN7rocprim17ROCPRIM_400000_NS6detail17trampoline_kernelINS0_14default_configENS1_25partition_config_selectorILNS1_17partition_subalgoE1ExNS0_10empty_typeEbEEZZNS1_14partition_implILS5_1ELb0ES3_jN6thrust23THRUST_200600_302600_NS6detail15normal_iteratorINSA_10device_ptrIxEEEEPS6_NSA_18transform_iteratorI7is_evenIxESF_NSA_11use_defaultESK_EENS0_5tupleIJSF_SF_EEENSM_IJSG_SG_EEES6_PlJS6_EEE10hipError_tPvRmT3_T4_T5_T6_T7_T9_mT8_P12ihipStream_tbDpT10_ENKUlT_T0_E_clISt17integral_constantIbLb1EES19_EEDaS14_S15_EUlS14_E_NS1_11comp_targetILNS1_3genE2ELNS1_11target_archE906ELNS1_3gpuE6ELNS1_3repE0EEENS1_30default_config_static_selectorELNS0_4arch9wavefront6targetE1EEEvT1_ ; -- Begin function _ZN7rocprim17ROCPRIM_400000_NS6detail17trampoline_kernelINS0_14default_configENS1_25partition_config_selectorILNS1_17partition_subalgoE1ExNS0_10empty_typeEbEEZZNS1_14partition_implILS5_1ELb0ES3_jN6thrust23THRUST_200600_302600_NS6detail15normal_iteratorINSA_10device_ptrIxEEEEPS6_NSA_18transform_iteratorI7is_evenIxESF_NSA_11use_defaultESK_EENS0_5tupleIJSF_SF_EEENSM_IJSG_SG_EEES6_PlJS6_EEE10hipError_tPvRmT3_T4_T5_T6_T7_T9_mT8_P12ihipStream_tbDpT10_ENKUlT_T0_E_clISt17integral_constantIbLb1EES19_EEDaS14_S15_EUlS14_E_NS1_11comp_targetILNS1_3genE2ELNS1_11target_archE906ELNS1_3gpuE6ELNS1_3repE0EEENS1_30default_config_static_selectorELNS0_4arch9wavefront6targetE1EEEvT1_
	.globl	_ZN7rocprim17ROCPRIM_400000_NS6detail17trampoline_kernelINS0_14default_configENS1_25partition_config_selectorILNS1_17partition_subalgoE1ExNS0_10empty_typeEbEEZZNS1_14partition_implILS5_1ELb0ES3_jN6thrust23THRUST_200600_302600_NS6detail15normal_iteratorINSA_10device_ptrIxEEEEPS6_NSA_18transform_iteratorI7is_evenIxESF_NSA_11use_defaultESK_EENS0_5tupleIJSF_SF_EEENSM_IJSG_SG_EEES6_PlJS6_EEE10hipError_tPvRmT3_T4_T5_T6_T7_T9_mT8_P12ihipStream_tbDpT10_ENKUlT_T0_E_clISt17integral_constantIbLb1EES19_EEDaS14_S15_EUlS14_E_NS1_11comp_targetILNS1_3genE2ELNS1_11target_archE906ELNS1_3gpuE6ELNS1_3repE0EEENS1_30default_config_static_selectorELNS0_4arch9wavefront6targetE1EEEvT1_
	.p2align	8
	.type	_ZN7rocprim17ROCPRIM_400000_NS6detail17trampoline_kernelINS0_14default_configENS1_25partition_config_selectorILNS1_17partition_subalgoE1ExNS0_10empty_typeEbEEZZNS1_14partition_implILS5_1ELb0ES3_jN6thrust23THRUST_200600_302600_NS6detail15normal_iteratorINSA_10device_ptrIxEEEEPS6_NSA_18transform_iteratorI7is_evenIxESF_NSA_11use_defaultESK_EENS0_5tupleIJSF_SF_EEENSM_IJSG_SG_EEES6_PlJS6_EEE10hipError_tPvRmT3_T4_T5_T6_T7_T9_mT8_P12ihipStream_tbDpT10_ENKUlT_T0_E_clISt17integral_constantIbLb1EES19_EEDaS14_S15_EUlS14_E_NS1_11comp_targetILNS1_3genE2ELNS1_11target_archE906ELNS1_3gpuE6ELNS1_3repE0EEENS1_30default_config_static_selectorELNS0_4arch9wavefront6targetE1EEEvT1_,@function
_ZN7rocprim17ROCPRIM_400000_NS6detail17trampoline_kernelINS0_14default_configENS1_25partition_config_selectorILNS1_17partition_subalgoE1ExNS0_10empty_typeEbEEZZNS1_14partition_implILS5_1ELb0ES3_jN6thrust23THRUST_200600_302600_NS6detail15normal_iteratorINSA_10device_ptrIxEEEEPS6_NSA_18transform_iteratorI7is_evenIxESF_NSA_11use_defaultESK_EENS0_5tupleIJSF_SF_EEENSM_IJSG_SG_EEES6_PlJS6_EEE10hipError_tPvRmT3_T4_T5_T6_T7_T9_mT8_P12ihipStream_tbDpT10_ENKUlT_T0_E_clISt17integral_constantIbLb1EES19_EEDaS14_S15_EUlS14_E_NS1_11comp_targetILNS1_3genE2ELNS1_11target_archE906ELNS1_3gpuE6ELNS1_3repE0EEENS1_30default_config_static_selectorELNS0_4arch9wavefront6targetE1EEEvT1_: ; @_ZN7rocprim17ROCPRIM_400000_NS6detail17trampoline_kernelINS0_14default_configENS1_25partition_config_selectorILNS1_17partition_subalgoE1ExNS0_10empty_typeEbEEZZNS1_14partition_implILS5_1ELb0ES3_jN6thrust23THRUST_200600_302600_NS6detail15normal_iteratorINSA_10device_ptrIxEEEEPS6_NSA_18transform_iteratorI7is_evenIxESF_NSA_11use_defaultESK_EENS0_5tupleIJSF_SF_EEENSM_IJSG_SG_EEES6_PlJS6_EEE10hipError_tPvRmT3_T4_T5_T6_T7_T9_mT8_P12ihipStream_tbDpT10_ENKUlT_T0_E_clISt17integral_constantIbLb1EES19_EEDaS14_S15_EUlS14_E_NS1_11comp_targetILNS1_3genE2ELNS1_11target_archE906ELNS1_3gpuE6ELNS1_3repE0EEENS1_30default_config_static_selectorELNS0_4arch9wavefront6targetE1EEEvT1_
; %bb.0:
	.section	.rodata,"a",@progbits
	.p2align	6, 0x0
	.amdhsa_kernel _ZN7rocprim17ROCPRIM_400000_NS6detail17trampoline_kernelINS0_14default_configENS1_25partition_config_selectorILNS1_17partition_subalgoE1ExNS0_10empty_typeEbEEZZNS1_14partition_implILS5_1ELb0ES3_jN6thrust23THRUST_200600_302600_NS6detail15normal_iteratorINSA_10device_ptrIxEEEEPS6_NSA_18transform_iteratorI7is_evenIxESF_NSA_11use_defaultESK_EENS0_5tupleIJSF_SF_EEENSM_IJSG_SG_EEES6_PlJS6_EEE10hipError_tPvRmT3_T4_T5_T6_T7_T9_mT8_P12ihipStream_tbDpT10_ENKUlT_T0_E_clISt17integral_constantIbLb1EES19_EEDaS14_S15_EUlS14_E_NS1_11comp_targetILNS1_3genE2ELNS1_11target_archE906ELNS1_3gpuE6ELNS1_3repE0EEENS1_30default_config_static_selectorELNS0_4arch9wavefront6targetE1EEEvT1_
		.amdhsa_group_segment_fixed_size 0
		.amdhsa_private_segment_fixed_size 0
		.amdhsa_kernarg_size 144
		.amdhsa_user_sgpr_count 2
		.amdhsa_user_sgpr_dispatch_ptr 0
		.amdhsa_user_sgpr_queue_ptr 0
		.amdhsa_user_sgpr_kernarg_segment_ptr 1
		.amdhsa_user_sgpr_dispatch_id 0
		.amdhsa_user_sgpr_kernarg_preload_length 0
		.amdhsa_user_sgpr_kernarg_preload_offset 0
		.amdhsa_user_sgpr_private_segment_size 0
		.amdhsa_uses_dynamic_stack 0
		.amdhsa_enable_private_segment 0
		.amdhsa_system_sgpr_workgroup_id_x 1
		.amdhsa_system_sgpr_workgroup_id_y 0
		.amdhsa_system_sgpr_workgroup_id_z 0
		.amdhsa_system_sgpr_workgroup_info 0
		.amdhsa_system_vgpr_workitem_id 0
		.amdhsa_next_free_vgpr 1
		.amdhsa_next_free_sgpr 0
		.amdhsa_accum_offset 4
		.amdhsa_reserve_vcc 0
		.amdhsa_float_round_mode_32 0
		.amdhsa_float_round_mode_16_64 0
		.amdhsa_float_denorm_mode_32 3
		.amdhsa_float_denorm_mode_16_64 3
		.amdhsa_dx10_clamp 1
		.amdhsa_ieee_mode 1
		.amdhsa_fp16_overflow 0
		.amdhsa_tg_split 0
		.amdhsa_exception_fp_ieee_invalid_op 0
		.amdhsa_exception_fp_denorm_src 0
		.amdhsa_exception_fp_ieee_div_zero 0
		.amdhsa_exception_fp_ieee_overflow 0
		.amdhsa_exception_fp_ieee_underflow 0
		.amdhsa_exception_fp_ieee_inexact 0
		.amdhsa_exception_int_div_zero 0
	.end_amdhsa_kernel
	.section	.text._ZN7rocprim17ROCPRIM_400000_NS6detail17trampoline_kernelINS0_14default_configENS1_25partition_config_selectorILNS1_17partition_subalgoE1ExNS0_10empty_typeEbEEZZNS1_14partition_implILS5_1ELb0ES3_jN6thrust23THRUST_200600_302600_NS6detail15normal_iteratorINSA_10device_ptrIxEEEEPS6_NSA_18transform_iteratorI7is_evenIxESF_NSA_11use_defaultESK_EENS0_5tupleIJSF_SF_EEENSM_IJSG_SG_EEES6_PlJS6_EEE10hipError_tPvRmT3_T4_T5_T6_T7_T9_mT8_P12ihipStream_tbDpT10_ENKUlT_T0_E_clISt17integral_constantIbLb1EES19_EEDaS14_S15_EUlS14_E_NS1_11comp_targetILNS1_3genE2ELNS1_11target_archE906ELNS1_3gpuE6ELNS1_3repE0EEENS1_30default_config_static_selectorELNS0_4arch9wavefront6targetE1EEEvT1_,"axG",@progbits,_ZN7rocprim17ROCPRIM_400000_NS6detail17trampoline_kernelINS0_14default_configENS1_25partition_config_selectorILNS1_17partition_subalgoE1ExNS0_10empty_typeEbEEZZNS1_14partition_implILS5_1ELb0ES3_jN6thrust23THRUST_200600_302600_NS6detail15normal_iteratorINSA_10device_ptrIxEEEEPS6_NSA_18transform_iteratorI7is_evenIxESF_NSA_11use_defaultESK_EENS0_5tupleIJSF_SF_EEENSM_IJSG_SG_EEES6_PlJS6_EEE10hipError_tPvRmT3_T4_T5_T6_T7_T9_mT8_P12ihipStream_tbDpT10_ENKUlT_T0_E_clISt17integral_constantIbLb1EES19_EEDaS14_S15_EUlS14_E_NS1_11comp_targetILNS1_3genE2ELNS1_11target_archE906ELNS1_3gpuE6ELNS1_3repE0EEENS1_30default_config_static_selectorELNS0_4arch9wavefront6targetE1EEEvT1_,comdat
.Lfunc_end397:
	.size	_ZN7rocprim17ROCPRIM_400000_NS6detail17trampoline_kernelINS0_14default_configENS1_25partition_config_selectorILNS1_17partition_subalgoE1ExNS0_10empty_typeEbEEZZNS1_14partition_implILS5_1ELb0ES3_jN6thrust23THRUST_200600_302600_NS6detail15normal_iteratorINSA_10device_ptrIxEEEEPS6_NSA_18transform_iteratorI7is_evenIxESF_NSA_11use_defaultESK_EENS0_5tupleIJSF_SF_EEENSM_IJSG_SG_EEES6_PlJS6_EEE10hipError_tPvRmT3_T4_T5_T6_T7_T9_mT8_P12ihipStream_tbDpT10_ENKUlT_T0_E_clISt17integral_constantIbLb1EES19_EEDaS14_S15_EUlS14_E_NS1_11comp_targetILNS1_3genE2ELNS1_11target_archE906ELNS1_3gpuE6ELNS1_3repE0EEENS1_30default_config_static_selectorELNS0_4arch9wavefront6targetE1EEEvT1_, .Lfunc_end397-_ZN7rocprim17ROCPRIM_400000_NS6detail17trampoline_kernelINS0_14default_configENS1_25partition_config_selectorILNS1_17partition_subalgoE1ExNS0_10empty_typeEbEEZZNS1_14partition_implILS5_1ELb0ES3_jN6thrust23THRUST_200600_302600_NS6detail15normal_iteratorINSA_10device_ptrIxEEEEPS6_NSA_18transform_iteratorI7is_evenIxESF_NSA_11use_defaultESK_EENS0_5tupleIJSF_SF_EEENSM_IJSG_SG_EEES6_PlJS6_EEE10hipError_tPvRmT3_T4_T5_T6_T7_T9_mT8_P12ihipStream_tbDpT10_ENKUlT_T0_E_clISt17integral_constantIbLb1EES19_EEDaS14_S15_EUlS14_E_NS1_11comp_targetILNS1_3genE2ELNS1_11target_archE906ELNS1_3gpuE6ELNS1_3repE0EEENS1_30default_config_static_selectorELNS0_4arch9wavefront6targetE1EEEvT1_
                                        ; -- End function
	.section	.AMDGPU.csdata,"",@progbits
; Kernel info:
; codeLenInByte = 0
; NumSgprs: 6
; NumVgprs: 0
; NumAgprs: 0
; TotalNumVgprs: 0
; ScratchSize: 0
; MemoryBound: 0
; FloatMode: 240
; IeeeMode: 1
; LDSByteSize: 0 bytes/workgroup (compile time only)
; SGPRBlocks: 0
; VGPRBlocks: 0
; NumSGPRsForWavesPerEU: 6
; NumVGPRsForWavesPerEU: 1
; AccumOffset: 4
; Occupancy: 8
; WaveLimiterHint : 0
; COMPUTE_PGM_RSRC2:SCRATCH_EN: 0
; COMPUTE_PGM_RSRC2:USER_SGPR: 2
; COMPUTE_PGM_RSRC2:TRAP_HANDLER: 0
; COMPUTE_PGM_RSRC2:TGID_X_EN: 1
; COMPUTE_PGM_RSRC2:TGID_Y_EN: 0
; COMPUTE_PGM_RSRC2:TGID_Z_EN: 0
; COMPUTE_PGM_RSRC2:TIDIG_COMP_CNT: 0
; COMPUTE_PGM_RSRC3_GFX90A:ACCUM_OFFSET: 0
; COMPUTE_PGM_RSRC3_GFX90A:TG_SPLIT: 0
	.section	.text._ZN7rocprim17ROCPRIM_400000_NS6detail17trampoline_kernelINS0_14default_configENS1_25partition_config_selectorILNS1_17partition_subalgoE1ExNS0_10empty_typeEbEEZZNS1_14partition_implILS5_1ELb0ES3_jN6thrust23THRUST_200600_302600_NS6detail15normal_iteratorINSA_10device_ptrIxEEEEPS6_NSA_18transform_iteratorI7is_evenIxESF_NSA_11use_defaultESK_EENS0_5tupleIJSF_SF_EEENSM_IJSG_SG_EEES6_PlJS6_EEE10hipError_tPvRmT3_T4_T5_T6_T7_T9_mT8_P12ihipStream_tbDpT10_ENKUlT_T0_E_clISt17integral_constantIbLb1EES19_EEDaS14_S15_EUlS14_E_NS1_11comp_targetILNS1_3genE10ELNS1_11target_archE1200ELNS1_3gpuE4ELNS1_3repE0EEENS1_30default_config_static_selectorELNS0_4arch9wavefront6targetE1EEEvT1_,"axG",@progbits,_ZN7rocprim17ROCPRIM_400000_NS6detail17trampoline_kernelINS0_14default_configENS1_25partition_config_selectorILNS1_17partition_subalgoE1ExNS0_10empty_typeEbEEZZNS1_14partition_implILS5_1ELb0ES3_jN6thrust23THRUST_200600_302600_NS6detail15normal_iteratorINSA_10device_ptrIxEEEEPS6_NSA_18transform_iteratorI7is_evenIxESF_NSA_11use_defaultESK_EENS0_5tupleIJSF_SF_EEENSM_IJSG_SG_EEES6_PlJS6_EEE10hipError_tPvRmT3_T4_T5_T6_T7_T9_mT8_P12ihipStream_tbDpT10_ENKUlT_T0_E_clISt17integral_constantIbLb1EES19_EEDaS14_S15_EUlS14_E_NS1_11comp_targetILNS1_3genE10ELNS1_11target_archE1200ELNS1_3gpuE4ELNS1_3repE0EEENS1_30default_config_static_selectorELNS0_4arch9wavefront6targetE1EEEvT1_,comdat
	.protected	_ZN7rocprim17ROCPRIM_400000_NS6detail17trampoline_kernelINS0_14default_configENS1_25partition_config_selectorILNS1_17partition_subalgoE1ExNS0_10empty_typeEbEEZZNS1_14partition_implILS5_1ELb0ES3_jN6thrust23THRUST_200600_302600_NS6detail15normal_iteratorINSA_10device_ptrIxEEEEPS6_NSA_18transform_iteratorI7is_evenIxESF_NSA_11use_defaultESK_EENS0_5tupleIJSF_SF_EEENSM_IJSG_SG_EEES6_PlJS6_EEE10hipError_tPvRmT3_T4_T5_T6_T7_T9_mT8_P12ihipStream_tbDpT10_ENKUlT_T0_E_clISt17integral_constantIbLb1EES19_EEDaS14_S15_EUlS14_E_NS1_11comp_targetILNS1_3genE10ELNS1_11target_archE1200ELNS1_3gpuE4ELNS1_3repE0EEENS1_30default_config_static_selectorELNS0_4arch9wavefront6targetE1EEEvT1_ ; -- Begin function _ZN7rocprim17ROCPRIM_400000_NS6detail17trampoline_kernelINS0_14default_configENS1_25partition_config_selectorILNS1_17partition_subalgoE1ExNS0_10empty_typeEbEEZZNS1_14partition_implILS5_1ELb0ES3_jN6thrust23THRUST_200600_302600_NS6detail15normal_iteratorINSA_10device_ptrIxEEEEPS6_NSA_18transform_iteratorI7is_evenIxESF_NSA_11use_defaultESK_EENS0_5tupleIJSF_SF_EEENSM_IJSG_SG_EEES6_PlJS6_EEE10hipError_tPvRmT3_T4_T5_T6_T7_T9_mT8_P12ihipStream_tbDpT10_ENKUlT_T0_E_clISt17integral_constantIbLb1EES19_EEDaS14_S15_EUlS14_E_NS1_11comp_targetILNS1_3genE10ELNS1_11target_archE1200ELNS1_3gpuE4ELNS1_3repE0EEENS1_30default_config_static_selectorELNS0_4arch9wavefront6targetE1EEEvT1_
	.globl	_ZN7rocprim17ROCPRIM_400000_NS6detail17trampoline_kernelINS0_14default_configENS1_25partition_config_selectorILNS1_17partition_subalgoE1ExNS0_10empty_typeEbEEZZNS1_14partition_implILS5_1ELb0ES3_jN6thrust23THRUST_200600_302600_NS6detail15normal_iteratorINSA_10device_ptrIxEEEEPS6_NSA_18transform_iteratorI7is_evenIxESF_NSA_11use_defaultESK_EENS0_5tupleIJSF_SF_EEENSM_IJSG_SG_EEES6_PlJS6_EEE10hipError_tPvRmT3_T4_T5_T6_T7_T9_mT8_P12ihipStream_tbDpT10_ENKUlT_T0_E_clISt17integral_constantIbLb1EES19_EEDaS14_S15_EUlS14_E_NS1_11comp_targetILNS1_3genE10ELNS1_11target_archE1200ELNS1_3gpuE4ELNS1_3repE0EEENS1_30default_config_static_selectorELNS0_4arch9wavefront6targetE1EEEvT1_
	.p2align	8
	.type	_ZN7rocprim17ROCPRIM_400000_NS6detail17trampoline_kernelINS0_14default_configENS1_25partition_config_selectorILNS1_17partition_subalgoE1ExNS0_10empty_typeEbEEZZNS1_14partition_implILS5_1ELb0ES3_jN6thrust23THRUST_200600_302600_NS6detail15normal_iteratorINSA_10device_ptrIxEEEEPS6_NSA_18transform_iteratorI7is_evenIxESF_NSA_11use_defaultESK_EENS0_5tupleIJSF_SF_EEENSM_IJSG_SG_EEES6_PlJS6_EEE10hipError_tPvRmT3_T4_T5_T6_T7_T9_mT8_P12ihipStream_tbDpT10_ENKUlT_T0_E_clISt17integral_constantIbLb1EES19_EEDaS14_S15_EUlS14_E_NS1_11comp_targetILNS1_3genE10ELNS1_11target_archE1200ELNS1_3gpuE4ELNS1_3repE0EEENS1_30default_config_static_selectorELNS0_4arch9wavefront6targetE1EEEvT1_,@function
_ZN7rocprim17ROCPRIM_400000_NS6detail17trampoline_kernelINS0_14default_configENS1_25partition_config_selectorILNS1_17partition_subalgoE1ExNS0_10empty_typeEbEEZZNS1_14partition_implILS5_1ELb0ES3_jN6thrust23THRUST_200600_302600_NS6detail15normal_iteratorINSA_10device_ptrIxEEEEPS6_NSA_18transform_iteratorI7is_evenIxESF_NSA_11use_defaultESK_EENS0_5tupleIJSF_SF_EEENSM_IJSG_SG_EEES6_PlJS6_EEE10hipError_tPvRmT3_T4_T5_T6_T7_T9_mT8_P12ihipStream_tbDpT10_ENKUlT_T0_E_clISt17integral_constantIbLb1EES19_EEDaS14_S15_EUlS14_E_NS1_11comp_targetILNS1_3genE10ELNS1_11target_archE1200ELNS1_3gpuE4ELNS1_3repE0EEENS1_30default_config_static_selectorELNS0_4arch9wavefront6targetE1EEEvT1_: ; @_ZN7rocprim17ROCPRIM_400000_NS6detail17trampoline_kernelINS0_14default_configENS1_25partition_config_selectorILNS1_17partition_subalgoE1ExNS0_10empty_typeEbEEZZNS1_14partition_implILS5_1ELb0ES3_jN6thrust23THRUST_200600_302600_NS6detail15normal_iteratorINSA_10device_ptrIxEEEEPS6_NSA_18transform_iteratorI7is_evenIxESF_NSA_11use_defaultESK_EENS0_5tupleIJSF_SF_EEENSM_IJSG_SG_EEES6_PlJS6_EEE10hipError_tPvRmT3_T4_T5_T6_T7_T9_mT8_P12ihipStream_tbDpT10_ENKUlT_T0_E_clISt17integral_constantIbLb1EES19_EEDaS14_S15_EUlS14_E_NS1_11comp_targetILNS1_3genE10ELNS1_11target_archE1200ELNS1_3gpuE4ELNS1_3repE0EEENS1_30default_config_static_selectorELNS0_4arch9wavefront6targetE1EEEvT1_
; %bb.0:
	.section	.rodata,"a",@progbits
	.p2align	6, 0x0
	.amdhsa_kernel _ZN7rocprim17ROCPRIM_400000_NS6detail17trampoline_kernelINS0_14default_configENS1_25partition_config_selectorILNS1_17partition_subalgoE1ExNS0_10empty_typeEbEEZZNS1_14partition_implILS5_1ELb0ES3_jN6thrust23THRUST_200600_302600_NS6detail15normal_iteratorINSA_10device_ptrIxEEEEPS6_NSA_18transform_iteratorI7is_evenIxESF_NSA_11use_defaultESK_EENS0_5tupleIJSF_SF_EEENSM_IJSG_SG_EEES6_PlJS6_EEE10hipError_tPvRmT3_T4_T5_T6_T7_T9_mT8_P12ihipStream_tbDpT10_ENKUlT_T0_E_clISt17integral_constantIbLb1EES19_EEDaS14_S15_EUlS14_E_NS1_11comp_targetILNS1_3genE10ELNS1_11target_archE1200ELNS1_3gpuE4ELNS1_3repE0EEENS1_30default_config_static_selectorELNS0_4arch9wavefront6targetE1EEEvT1_
		.amdhsa_group_segment_fixed_size 0
		.amdhsa_private_segment_fixed_size 0
		.amdhsa_kernarg_size 144
		.amdhsa_user_sgpr_count 2
		.amdhsa_user_sgpr_dispatch_ptr 0
		.amdhsa_user_sgpr_queue_ptr 0
		.amdhsa_user_sgpr_kernarg_segment_ptr 1
		.amdhsa_user_sgpr_dispatch_id 0
		.amdhsa_user_sgpr_kernarg_preload_length 0
		.amdhsa_user_sgpr_kernarg_preload_offset 0
		.amdhsa_user_sgpr_private_segment_size 0
		.amdhsa_uses_dynamic_stack 0
		.amdhsa_enable_private_segment 0
		.amdhsa_system_sgpr_workgroup_id_x 1
		.amdhsa_system_sgpr_workgroup_id_y 0
		.amdhsa_system_sgpr_workgroup_id_z 0
		.amdhsa_system_sgpr_workgroup_info 0
		.amdhsa_system_vgpr_workitem_id 0
		.amdhsa_next_free_vgpr 1
		.amdhsa_next_free_sgpr 0
		.amdhsa_accum_offset 4
		.amdhsa_reserve_vcc 0
		.amdhsa_float_round_mode_32 0
		.amdhsa_float_round_mode_16_64 0
		.amdhsa_float_denorm_mode_32 3
		.amdhsa_float_denorm_mode_16_64 3
		.amdhsa_dx10_clamp 1
		.amdhsa_ieee_mode 1
		.amdhsa_fp16_overflow 0
		.amdhsa_tg_split 0
		.amdhsa_exception_fp_ieee_invalid_op 0
		.amdhsa_exception_fp_denorm_src 0
		.amdhsa_exception_fp_ieee_div_zero 0
		.amdhsa_exception_fp_ieee_overflow 0
		.amdhsa_exception_fp_ieee_underflow 0
		.amdhsa_exception_fp_ieee_inexact 0
		.amdhsa_exception_int_div_zero 0
	.end_amdhsa_kernel
	.section	.text._ZN7rocprim17ROCPRIM_400000_NS6detail17trampoline_kernelINS0_14default_configENS1_25partition_config_selectorILNS1_17partition_subalgoE1ExNS0_10empty_typeEbEEZZNS1_14partition_implILS5_1ELb0ES3_jN6thrust23THRUST_200600_302600_NS6detail15normal_iteratorINSA_10device_ptrIxEEEEPS6_NSA_18transform_iteratorI7is_evenIxESF_NSA_11use_defaultESK_EENS0_5tupleIJSF_SF_EEENSM_IJSG_SG_EEES6_PlJS6_EEE10hipError_tPvRmT3_T4_T5_T6_T7_T9_mT8_P12ihipStream_tbDpT10_ENKUlT_T0_E_clISt17integral_constantIbLb1EES19_EEDaS14_S15_EUlS14_E_NS1_11comp_targetILNS1_3genE10ELNS1_11target_archE1200ELNS1_3gpuE4ELNS1_3repE0EEENS1_30default_config_static_selectorELNS0_4arch9wavefront6targetE1EEEvT1_,"axG",@progbits,_ZN7rocprim17ROCPRIM_400000_NS6detail17trampoline_kernelINS0_14default_configENS1_25partition_config_selectorILNS1_17partition_subalgoE1ExNS0_10empty_typeEbEEZZNS1_14partition_implILS5_1ELb0ES3_jN6thrust23THRUST_200600_302600_NS6detail15normal_iteratorINSA_10device_ptrIxEEEEPS6_NSA_18transform_iteratorI7is_evenIxESF_NSA_11use_defaultESK_EENS0_5tupleIJSF_SF_EEENSM_IJSG_SG_EEES6_PlJS6_EEE10hipError_tPvRmT3_T4_T5_T6_T7_T9_mT8_P12ihipStream_tbDpT10_ENKUlT_T0_E_clISt17integral_constantIbLb1EES19_EEDaS14_S15_EUlS14_E_NS1_11comp_targetILNS1_3genE10ELNS1_11target_archE1200ELNS1_3gpuE4ELNS1_3repE0EEENS1_30default_config_static_selectorELNS0_4arch9wavefront6targetE1EEEvT1_,comdat
.Lfunc_end398:
	.size	_ZN7rocprim17ROCPRIM_400000_NS6detail17trampoline_kernelINS0_14default_configENS1_25partition_config_selectorILNS1_17partition_subalgoE1ExNS0_10empty_typeEbEEZZNS1_14partition_implILS5_1ELb0ES3_jN6thrust23THRUST_200600_302600_NS6detail15normal_iteratorINSA_10device_ptrIxEEEEPS6_NSA_18transform_iteratorI7is_evenIxESF_NSA_11use_defaultESK_EENS0_5tupleIJSF_SF_EEENSM_IJSG_SG_EEES6_PlJS6_EEE10hipError_tPvRmT3_T4_T5_T6_T7_T9_mT8_P12ihipStream_tbDpT10_ENKUlT_T0_E_clISt17integral_constantIbLb1EES19_EEDaS14_S15_EUlS14_E_NS1_11comp_targetILNS1_3genE10ELNS1_11target_archE1200ELNS1_3gpuE4ELNS1_3repE0EEENS1_30default_config_static_selectorELNS0_4arch9wavefront6targetE1EEEvT1_, .Lfunc_end398-_ZN7rocprim17ROCPRIM_400000_NS6detail17trampoline_kernelINS0_14default_configENS1_25partition_config_selectorILNS1_17partition_subalgoE1ExNS0_10empty_typeEbEEZZNS1_14partition_implILS5_1ELb0ES3_jN6thrust23THRUST_200600_302600_NS6detail15normal_iteratorINSA_10device_ptrIxEEEEPS6_NSA_18transform_iteratorI7is_evenIxESF_NSA_11use_defaultESK_EENS0_5tupleIJSF_SF_EEENSM_IJSG_SG_EEES6_PlJS6_EEE10hipError_tPvRmT3_T4_T5_T6_T7_T9_mT8_P12ihipStream_tbDpT10_ENKUlT_T0_E_clISt17integral_constantIbLb1EES19_EEDaS14_S15_EUlS14_E_NS1_11comp_targetILNS1_3genE10ELNS1_11target_archE1200ELNS1_3gpuE4ELNS1_3repE0EEENS1_30default_config_static_selectorELNS0_4arch9wavefront6targetE1EEEvT1_
                                        ; -- End function
	.section	.AMDGPU.csdata,"",@progbits
; Kernel info:
; codeLenInByte = 0
; NumSgprs: 6
; NumVgprs: 0
; NumAgprs: 0
; TotalNumVgprs: 0
; ScratchSize: 0
; MemoryBound: 0
; FloatMode: 240
; IeeeMode: 1
; LDSByteSize: 0 bytes/workgroup (compile time only)
; SGPRBlocks: 0
; VGPRBlocks: 0
; NumSGPRsForWavesPerEU: 6
; NumVGPRsForWavesPerEU: 1
; AccumOffset: 4
; Occupancy: 8
; WaveLimiterHint : 0
; COMPUTE_PGM_RSRC2:SCRATCH_EN: 0
; COMPUTE_PGM_RSRC2:USER_SGPR: 2
; COMPUTE_PGM_RSRC2:TRAP_HANDLER: 0
; COMPUTE_PGM_RSRC2:TGID_X_EN: 1
; COMPUTE_PGM_RSRC2:TGID_Y_EN: 0
; COMPUTE_PGM_RSRC2:TGID_Z_EN: 0
; COMPUTE_PGM_RSRC2:TIDIG_COMP_CNT: 0
; COMPUTE_PGM_RSRC3_GFX90A:ACCUM_OFFSET: 0
; COMPUTE_PGM_RSRC3_GFX90A:TG_SPLIT: 0
	.section	.text._ZN7rocprim17ROCPRIM_400000_NS6detail17trampoline_kernelINS0_14default_configENS1_25partition_config_selectorILNS1_17partition_subalgoE1ExNS0_10empty_typeEbEEZZNS1_14partition_implILS5_1ELb0ES3_jN6thrust23THRUST_200600_302600_NS6detail15normal_iteratorINSA_10device_ptrIxEEEEPS6_NSA_18transform_iteratorI7is_evenIxESF_NSA_11use_defaultESK_EENS0_5tupleIJSF_SF_EEENSM_IJSG_SG_EEES6_PlJS6_EEE10hipError_tPvRmT3_T4_T5_T6_T7_T9_mT8_P12ihipStream_tbDpT10_ENKUlT_T0_E_clISt17integral_constantIbLb1EES19_EEDaS14_S15_EUlS14_E_NS1_11comp_targetILNS1_3genE9ELNS1_11target_archE1100ELNS1_3gpuE3ELNS1_3repE0EEENS1_30default_config_static_selectorELNS0_4arch9wavefront6targetE1EEEvT1_,"axG",@progbits,_ZN7rocprim17ROCPRIM_400000_NS6detail17trampoline_kernelINS0_14default_configENS1_25partition_config_selectorILNS1_17partition_subalgoE1ExNS0_10empty_typeEbEEZZNS1_14partition_implILS5_1ELb0ES3_jN6thrust23THRUST_200600_302600_NS6detail15normal_iteratorINSA_10device_ptrIxEEEEPS6_NSA_18transform_iteratorI7is_evenIxESF_NSA_11use_defaultESK_EENS0_5tupleIJSF_SF_EEENSM_IJSG_SG_EEES6_PlJS6_EEE10hipError_tPvRmT3_T4_T5_T6_T7_T9_mT8_P12ihipStream_tbDpT10_ENKUlT_T0_E_clISt17integral_constantIbLb1EES19_EEDaS14_S15_EUlS14_E_NS1_11comp_targetILNS1_3genE9ELNS1_11target_archE1100ELNS1_3gpuE3ELNS1_3repE0EEENS1_30default_config_static_selectorELNS0_4arch9wavefront6targetE1EEEvT1_,comdat
	.protected	_ZN7rocprim17ROCPRIM_400000_NS6detail17trampoline_kernelINS0_14default_configENS1_25partition_config_selectorILNS1_17partition_subalgoE1ExNS0_10empty_typeEbEEZZNS1_14partition_implILS5_1ELb0ES3_jN6thrust23THRUST_200600_302600_NS6detail15normal_iteratorINSA_10device_ptrIxEEEEPS6_NSA_18transform_iteratorI7is_evenIxESF_NSA_11use_defaultESK_EENS0_5tupleIJSF_SF_EEENSM_IJSG_SG_EEES6_PlJS6_EEE10hipError_tPvRmT3_T4_T5_T6_T7_T9_mT8_P12ihipStream_tbDpT10_ENKUlT_T0_E_clISt17integral_constantIbLb1EES19_EEDaS14_S15_EUlS14_E_NS1_11comp_targetILNS1_3genE9ELNS1_11target_archE1100ELNS1_3gpuE3ELNS1_3repE0EEENS1_30default_config_static_selectorELNS0_4arch9wavefront6targetE1EEEvT1_ ; -- Begin function _ZN7rocprim17ROCPRIM_400000_NS6detail17trampoline_kernelINS0_14default_configENS1_25partition_config_selectorILNS1_17partition_subalgoE1ExNS0_10empty_typeEbEEZZNS1_14partition_implILS5_1ELb0ES3_jN6thrust23THRUST_200600_302600_NS6detail15normal_iteratorINSA_10device_ptrIxEEEEPS6_NSA_18transform_iteratorI7is_evenIxESF_NSA_11use_defaultESK_EENS0_5tupleIJSF_SF_EEENSM_IJSG_SG_EEES6_PlJS6_EEE10hipError_tPvRmT3_T4_T5_T6_T7_T9_mT8_P12ihipStream_tbDpT10_ENKUlT_T0_E_clISt17integral_constantIbLb1EES19_EEDaS14_S15_EUlS14_E_NS1_11comp_targetILNS1_3genE9ELNS1_11target_archE1100ELNS1_3gpuE3ELNS1_3repE0EEENS1_30default_config_static_selectorELNS0_4arch9wavefront6targetE1EEEvT1_
	.globl	_ZN7rocprim17ROCPRIM_400000_NS6detail17trampoline_kernelINS0_14default_configENS1_25partition_config_selectorILNS1_17partition_subalgoE1ExNS0_10empty_typeEbEEZZNS1_14partition_implILS5_1ELb0ES3_jN6thrust23THRUST_200600_302600_NS6detail15normal_iteratorINSA_10device_ptrIxEEEEPS6_NSA_18transform_iteratorI7is_evenIxESF_NSA_11use_defaultESK_EENS0_5tupleIJSF_SF_EEENSM_IJSG_SG_EEES6_PlJS6_EEE10hipError_tPvRmT3_T4_T5_T6_T7_T9_mT8_P12ihipStream_tbDpT10_ENKUlT_T0_E_clISt17integral_constantIbLb1EES19_EEDaS14_S15_EUlS14_E_NS1_11comp_targetILNS1_3genE9ELNS1_11target_archE1100ELNS1_3gpuE3ELNS1_3repE0EEENS1_30default_config_static_selectorELNS0_4arch9wavefront6targetE1EEEvT1_
	.p2align	8
	.type	_ZN7rocprim17ROCPRIM_400000_NS6detail17trampoline_kernelINS0_14default_configENS1_25partition_config_selectorILNS1_17partition_subalgoE1ExNS0_10empty_typeEbEEZZNS1_14partition_implILS5_1ELb0ES3_jN6thrust23THRUST_200600_302600_NS6detail15normal_iteratorINSA_10device_ptrIxEEEEPS6_NSA_18transform_iteratorI7is_evenIxESF_NSA_11use_defaultESK_EENS0_5tupleIJSF_SF_EEENSM_IJSG_SG_EEES6_PlJS6_EEE10hipError_tPvRmT3_T4_T5_T6_T7_T9_mT8_P12ihipStream_tbDpT10_ENKUlT_T0_E_clISt17integral_constantIbLb1EES19_EEDaS14_S15_EUlS14_E_NS1_11comp_targetILNS1_3genE9ELNS1_11target_archE1100ELNS1_3gpuE3ELNS1_3repE0EEENS1_30default_config_static_selectorELNS0_4arch9wavefront6targetE1EEEvT1_,@function
_ZN7rocprim17ROCPRIM_400000_NS6detail17trampoline_kernelINS0_14default_configENS1_25partition_config_selectorILNS1_17partition_subalgoE1ExNS0_10empty_typeEbEEZZNS1_14partition_implILS5_1ELb0ES3_jN6thrust23THRUST_200600_302600_NS6detail15normal_iteratorINSA_10device_ptrIxEEEEPS6_NSA_18transform_iteratorI7is_evenIxESF_NSA_11use_defaultESK_EENS0_5tupleIJSF_SF_EEENSM_IJSG_SG_EEES6_PlJS6_EEE10hipError_tPvRmT3_T4_T5_T6_T7_T9_mT8_P12ihipStream_tbDpT10_ENKUlT_T0_E_clISt17integral_constantIbLb1EES19_EEDaS14_S15_EUlS14_E_NS1_11comp_targetILNS1_3genE9ELNS1_11target_archE1100ELNS1_3gpuE3ELNS1_3repE0EEENS1_30default_config_static_selectorELNS0_4arch9wavefront6targetE1EEEvT1_: ; @_ZN7rocprim17ROCPRIM_400000_NS6detail17trampoline_kernelINS0_14default_configENS1_25partition_config_selectorILNS1_17partition_subalgoE1ExNS0_10empty_typeEbEEZZNS1_14partition_implILS5_1ELb0ES3_jN6thrust23THRUST_200600_302600_NS6detail15normal_iteratorINSA_10device_ptrIxEEEEPS6_NSA_18transform_iteratorI7is_evenIxESF_NSA_11use_defaultESK_EENS0_5tupleIJSF_SF_EEENSM_IJSG_SG_EEES6_PlJS6_EEE10hipError_tPvRmT3_T4_T5_T6_T7_T9_mT8_P12ihipStream_tbDpT10_ENKUlT_T0_E_clISt17integral_constantIbLb1EES19_EEDaS14_S15_EUlS14_E_NS1_11comp_targetILNS1_3genE9ELNS1_11target_archE1100ELNS1_3gpuE3ELNS1_3repE0EEENS1_30default_config_static_selectorELNS0_4arch9wavefront6targetE1EEEvT1_
; %bb.0:
	.section	.rodata,"a",@progbits
	.p2align	6, 0x0
	.amdhsa_kernel _ZN7rocprim17ROCPRIM_400000_NS6detail17trampoline_kernelINS0_14default_configENS1_25partition_config_selectorILNS1_17partition_subalgoE1ExNS0_10empty_typeEbEEZZNS1_14partition_implILS5_1ELb0ES3_jN6thrust23THRUST_200600_302600_NS6detail15normal_iteratorINSA_10device_ptrIxEEEEPS6_NSA_18transform_iteratorI7is_evenIxESF_NSA_11use_defaultESK_EENS0_5tupleIJSF_SF_EEENSM_IJSG_SG_EEES6_PlJS6_EEE10hipError_tPvRmT3_T4_T5_T6_T7_T9_mT8_P12ihipStream_tbDpT10_ENKUlT_T0_E_clISt17integral_constantIbLb1EES19_EEDaS14_S15_EUlS14_E_NS1_11comp_targetILNS1_3genE9ELNS1_11target_archE1100ELNS1_3gpuE3ELNS1_3repE0EEENS1_30default_config_static_selectorELNS0_4arch9wavefront6targetE1EEEvT1_
		.amdhsa_group_segment_fixed_size 0
		.amdhsa_private_segment_fixed_size 0
		.amdhsa_kernarg_size 144
		.amdhsa_user_sgpr_count 2
		.amdhsa_user_sgpr_dispatch_ptr 0
		.amdhsa_user_sgpr_queue_ptr 0
		.amdhsa_user_sgpr_kernarg_segment_ptr 1
		.amdhsa_user_sgpr_dispatch_id 0
		.amdhsa_user_sgpr_kernarg_preload_length 0
		.amdhsa_user_sgpr_kernarg_preload_offset 0
		.amdhsa_user_sgpr_private_segment_size 0
		.amdhsa_uses_dynamic_stack 0
		.amdhsa_enable_private_segment 0
		.amdhsa_system_sgpr_workgroup_id_x 1
		.amdhsa_system_sgpr_workgroup_id_y 0
		.amdhsa_system_sgpr_workgroup_id_z 0
		.amdhsa_system_sgpr_workgroup_info 0
		.amdhsa_system_vgpr_workitem_id 0
		.amdhsa_next_free_vgpr 1
		.amdhsa_next_free_sgpr 0
		.amdhsa_accum_offset 4
		.amdhsa_reserve_vcc 0
		.amdhsa_float_round_mode_32 0
		.amdhsa_float_round_mode_16_64 0
		.amdhsa_float_denorm_mode_32 3
		.amdhsa_float_denorm_mode_16_64 3
		.amdhsa_dx10_clamp 1
		.amdhsa_ieee_mode 1
		.amdhsa_fp16_overflow 0
		.amdhsa_tg_split 0
		.amdhsa_exception_fp_ieee_invalid_op 0
		.amdhsa_exception_fp_denorm_src 0
		.amdhsa_exception_fp_ieee_div_zero 0
		.amdhsa_exception_fp_ieee_overflow 0
		.amdhsa_exception_fp_ieee_underflow 0
		.amdhsa_exception_fp_ieee_inexact 0
		.amdhsa_exception_int_div_zero 0
	.end_amdhsa_kernel
	.section	.text._ZN7rocprim17ROCPRIM_400000_NS6detail17trampoline_kernelINS0_14default_configENS1_25partition_config_selectorILNS1_17partition_subalgoE1ExNS0_10empty_typeEbEEZZNS1_14partition_implILS5_1ELb0ES3_jN6thrust23THRUST_200600_302600_NS6detail15normal_iteratorINSA_10device_ptrIxEEEEPS6_NSA_18transform_iteratorI7is_evenIxESF_NSA_11use_defaultESK_EENS0_5tupleIJSF_SF_EEENSM_IJSG_SG_EEES6_PlJS6_EEE10hipError_tPvRmT3_T4_T5_T6_T7_T9_mT8_P12ihipStream_tbDpT10_ENKUlT_T0_E_clISt17integral_constantIbLb1EES19_EEDaS14_S15_EUlS14_E_NS1_11comp_targetILNS1_3genE9ELNS1_11target_archE1100ELNS1_3gpuE3ELNS1_3repE0EEENS1_30default_config_static_selectorELNS0_4arch9wavefront6targetE1EEEvT1_,"axG",@progbits,_ZN7rocprim17ROCPRIM_400000_NS6detail17trampoline_kernelINS0_14default_configENS1_25partition_config_selectorILNS1_17partition_subalgoE1ExNS0_10empty_typeEbEEZZNS1_14partition_implILS5_1ELb0ES3_jN6thrust23THRUST_200600_302600_NS6detail15normal_iteratorINSA_10device_ptrIxEEEEPS6_NSA_18transform_iteratorI7is_evenIxESF_NSA_11use_defaultESK_EENS0_5tupleIJSF_SF_EEENSM_IJSG_SG_EEES6_PlJS6_EEE10hipError_tPvRmT3_T4_T5_T6_T7_T9_mT8_P12ihipStream_tbDpT10_ENKUlT_T0_E_clISt17integral_constantIbLb1EES19_EEDaS14_S15_EUlS14_E_NS1_11comp_targetILNS1_3genE9ELNS1_11target_archE1100ELNS1_3gpuE3ELNS1_3repE0EEENS1_30default_config_static_selectorELNS0_4arch9wavefront6targetE1EEEvT1_,comdat
.Lfunc_end399:
	.size	_ZN7rocprim17ROCPRIM_400000_NS6detail17trampoline_kernelINS0_14default_configENS1_25partition_config_selectorILNS1_17partition_subalgoE1ExNS0_10empty_typeEbEEZZNS1_14partition_implILS5_1ELb0ES3_jN6thrust23THRUST_200600_302600_NS6detail15normal_iteratorINSA_10device_ptrIxEEEEPS6_NSA_18transform_iteratorI7is_evenIxESF_NSA_11use_defaultESK_EENS0_5tupleIJSF_SF_EEENSM_IJSG_SG_EEES6_PlJS6_EEE10hipError_tPvRmT3_T4_T5_T6_T7_T9_mT8_P12ihipStream_tbDpT10_ENKUlT_T0_E_clISt17integral_constantIbLb1EES19_EEDaS14_S15_EUlS14_E_NS1_11comp_targetILNS1_3genE9ELNS1_11target_archE1100ELNS1_3gpuE3ELNS1_3repE0EEENS1_30default_config_static_selectorELNS0_4arch9wavefront6targetE1EEEvT1_, .Lfunc_end399-_ZN7rocprim17ROCPRIM_400000_NS6detail17trampoline_kernelINS0_14default_configENS1_25partition_config_selectorILNS1_17partition_subalgoE1ExNS0_10empty_typeEbEEZZNS1_14partition_implILS5_1ELb0ES3_jN6thrust23THRUST_200600_302600_NS6detail15normal_iteratorINSA_10device_ptrIxEEEEPS6_NSA_18transform_iteratorI7is_evenIxESF_NSA_11use_defaultESK_EENS0_5tupleIJSF_SF_EEENSM_IJSG_SG_EEES6_PlJS6_EEE10hipError_tPvRmT3_T4_T5_T6_T7_T9_mT8_P12ihipStream_tbDpT10_ENKUlT_T0_E_clISt17integral_constantIbLb1EES19_EEDaS14_S15_EUlS14_E_NS1_11comp_targetILNS1_3genE9ELNS1_11target_archE1100ELNS1_3gpuE3ELNS1_3repE0EEENS1_30default_config_static_selectorELNS0_4arch9wavefront6targetE1EEEvT1_
                                        ; -- End function
	.section	.AMDGPU.csdata,"",@progbits
; Kernel info:
; codeLenInByte = 0
; NumSgprs: 6
; NumVgprs: 0
; NumAgprs: 0
; TotalNumVgprs: 0
; ScratchSize: 0
; MemoryBound: 0
; FloatMode: 240
; IeeeMode: 1
; LDSByteSize: 0 bytes/workgroup (compile time only)
; SGPRBlocks: 0
; VGPRBlocks: 0
; NumSGPRsForWavesPerEU: 6
; NumVGPRsForWavesPerEU: 1
; AccumOffset: 4
; Occupancy: 8
; WaveLimiterHint : 0
; COMPUTE_PGM_RSRC2:SCRATCH_EN: 0
; COMPUTE_PGM_RSRC2:USER_SGPR: 2
; COMPUTE_PGM_RSRC2:TRAP_HANDLER: 0
; COMPUTE_PGM_RSRC2:TGID_X_EN: 1
; COMPUTE_PGM_RSRC2:TGID_Y_EN: 0
; COMPUTE_PGM_RSRC2:TGID_Z_EN: 0
; COMPUTE_PGM_RSRC2:TIDIG_COMP_CNT: 0
; COMPUTE_PGM_RSRC3_GFX90A:ACCUM_OFFSET: 0
; COMPUTE_PGM_RSRC3_GFX90A:TG_SPLIT: 0
	.section	.text._ZN7rocprim17ROCPRIM_400000_NS6detail17trampoline_kernelINS0_14default_configENS1_25partition_config_selectorILNS1_17partition_subalgoE1ExNS0_10empty_typeEbEEZZNS1_14partition_implILS5_1ELb0ES3_jN6thrust23THRUST_200600_302600_NS6detail15normal_iteratorINSA_10device_ptrIxEEEEPS6_NSA_18transform_iteratorI7is_evenIxESF_NSA_11use_defaultESK_EENS0_5tupleIJSF_SF_EEENSM_IJSG_SG_EEES6_PlJS6_EEE10hipError_tPvRmT3_T4_T5_T6_T7_T9_mT8_P12ihipStream_tbDpT10_ENKUlT_T0_E_clISt17integral_constantIbLb1EES19_EEDaS14_S15_EUlS14_E_NS1_11comp_targetILNS1_3genE8ELNS1_11target_archE1030ELNS1_3gpuE2ELNS1_3repE0EEENS1_30default_config_static_selectorELNS0_4arch9wavefront6targetE1EEEvT1_,"axG",@progbits,_ZN7rocprim17ROCPRIM_400000_NS6detail17trampoline_kernelINS0_14default_configENS1_25partition_config_selectorILNS1_17partition_subalgoE1ExNS0_10empty_typeEbEEZZNS1_14partition_implILS5_1ELb0ES3_jN6thrust23THRUST_200600_302600_NS6detail15normal_iteratorINSA_10device_ptrIxEEEEPS6_NSA_18transform_iteratorI7is_evenIxESF_NSA_11use_defaultESK_EENS0_5tupleIJSF_SF_EEENSM_IJSG_SG_EEES6_PlJS6_EEE10hipError_tPvRmT3_T4_T5_T6_T7_T9_mT8_P12ihipStream_tbDpT10_ENKUlT_T0_E_clISt17integral_constantIbLb1EES19_EEDaS14_S15_EUlS14_E_NS1_11comp_targetILNS1_3genE8ELNS1_11target_archE1030ELNS1_3gpuE2ELNS1_3repE0EEENS1_30default_config_static_selectorELNS0_4arch9wavefront6targetE1EEEvT1_,comdat
	.protected	_ZN7rocprim17ROCPRIM_400000_NS6detail17trampoline_kernelINS0_14default_configENS1_25partition_config_selectorILNS1_17partition_subalgoE1ExNS0_10empty_typeEbEEZZNS1_14partition_implILS5_1ELb0ES3_jN6thrust23THRUST_200600_302600_NS6detail15normal_iteratorINSA_10device_ptrIxEEEEPS6_NSA_18transform_iteratorI7is_evenIxESF_NSA_11use_defaultESK_EENS0_5tupleIJSF_SF_EEENSM_IJSG_SG_EEES6_PlJS6_EEE10hipError_tPvRmT3_T4_T5_T6_T7_T9_mT8_P12ihipStream_tbDpT10_ENKUlT_T0_E_clISt17integral_constantIbLb1EES19_EEDaS14_S15_EUlS14_E_NS1_11comp_targetILNS1_3genE8ELNS1_11target_archE1030ELNS1_3gpuE2ELNS1_3repE0EEENS1_30default_config_static_selectorELNS0_4arch9wavefront6targetE1EEEvT1_ ; -- Begin function _ZN7rocprim17ROCPRIM_400000_NS6detail17trampoline_kernelINS0_14default_configENS1_25partition_config_selectorILNS1_17partition_subalgoE1ExNS0_10empty_typeEbEEZZNS1_14partition_implILS5_1ELb0ES3_jN6thrust23THRUST_200600_302600_NS6detail15normal_iteratorINSA_10device_ptrIxEEEEPS6_NSA_18transform_iteratorI7is_evenIxESF_NSA_11use_defaultESK_EENS0_5tupleIJSF_SF_EEENSM_IJSG_SG_EEES6_PlJS6_EEE10hipError_tPvRmT3_T4_T5_T6_T7_T9_mT8_P12ihipStream_tbDpT10_ENKUlT_T0_E_clISt17integral_constantIbLb1EES19_EEDaS14_S15_EUlS14_E_NS1_11comp_targetILNS1_3genE8ELNS1_11target_archE1030ELNS1_3gpuE2ELNS1_3repE0EEENS1_30default_config_static_selectorELNS0_4arch9wavefront6targetE1EEEvT1_
	.globl	_ZN7rocprim17ROCPRIM_400000_NS6detail17trampoline_kernelINS0_14default_configENS1_25partition_config_selectorILNS1_17partition_subalgoE1ExNS0_10empty_typeEbEEZZNS1_14partition_implILS5_1ELb0ES3_jN6thrust23THRUST_200600_302600_NS6detail15normal_iteratorINSA_10device_ptrIxEEEEPS6_NSA_18transform_iteratorI7is_evenIxESF_NSA_11use_defaultESK_EENS0_5tupleIJSF_SF_EEENSM_IJSG_SG_EEES6_PlJS6_EEE10hipError_tPvRmT3_T4_T5_T6_T7_T9_mT8_P12ihipStream_tbDpT10_ENKUlT_T0_E_clISt17integral_constantIbLb1EES19_EEDaS14_S15_EUlS14_E_NS1_11comp_targetILNS1_3genE8ELNS1_11target_archE1030ELNS1_3gpuE2ELNS1_3repE0EEENS1_30default_config_static_selectorELNS0_4arch9wavefront6targetE1EEEvT1_
	.p2align	8
	.type	_ZN7rocprim17ROCPRIM_400000_NS6detail17trampoline_kernelINS0_14default_configENS1_25partition_config_selectorILNS1_17partition_subalgoE1ExNS0_10empty_typeEbEEZZNS1_14partition_implILS5_1ELb0ES3_jN6thrust23THRUST_200600_302600_NS6detail15normal_iteratorINSA_10device_ptrIxEEEEPS6_NSA_18transform_iteratorI7is_evenIxESF_NSA_11use_defaultESK_EENS0_5tupleIJSF_SF_EEENSM_IJSG_SG_EEES6_PlJS6_EEE10hipError_tPvRmT3_T4_T5_T6_T7_T9_mT8_P12ihipStream_tbDpT10_ENKUlT_T0_E_clISt17integral_constantIbLb1EES19_EEDaS14_S15_EUlS14_E_NS1_11comp_targetILNS1_3genE8ELNS1_11target_archE1030ELNS1_3gpuE2ELNS1_3repE0EEENS1_30default_config_static_selectorELNS0_4arch9wavefront6targetE1EEEvT1_,@function
_ZN7rocprim17ROCPRIM_400000_NS6detail17trampoline_kernelINS0_14default_configENS1_25partition_config_selectorILNS1_17partition_subalgoE1ExNS0_10empty_typeEbEEZZNS1_14partition_implILS5_1ELb0ES3_jN6thrust23THRUST_200600_302600_NS6detail15normal_iteratorINSA_10device_ptrIxEEEEPS6_NSA_18transform_iteratorI7is_evenIxESF_NSA_11use_defaultESK_EENS0_5tupleIJSF_SF_EEENSM_IJSG_SG_EEES6_PlJS6_EEE10hipError_tPvRmT3_T4_T5_T6_T7_T9_mT8_P12ihipStream_tbDpT10_ENKUlT_T0_E_clISt17integral_constantIbLb1EES19_EEDaS14_S15_EUlS14_E_NS1_11comp_targetILNS1_3genE8ELNS1_11target_archE1030ELNS1_3gpuE2ELNS1_3repE0EEENS1_30default_config_static_selectorELNS0_4arch9wavefront6targetE1EEEvT1_: ; @_ZN7rocprim17ROCPRIM_400000_NS6detail17trampoline_kernelINS0_14default_configENS1_25partition_config_selectorILNS1_17partition_subalgoE1ExNS0_10empty_typeEbEEZZNS1_14partition_implILS5_1ELb0ES3_jN6thrust23THRUST_200600_302600_NS6detail15normal_iteratorINSA_10device_ptrIxEEEEPS6_NSA_18transform_iteratorI7is_evenIxESF_NSA_11use_defaultESK_EENS0_5tupleIJSF_SF_EEENSM_IJSG_SG_EEES6_PlJS6_EEE10hipError_tPvRmT3_T4_T5_T6_T7_T9_mT8_P12ihipStream_tbDpT10_ENKUlT_T0_E_clISt17integral_constantIbLb1EES19_EEDaS14_S15_EUlS14_E_NS1_11comp_targetILNS1_3genE8ELNS1_11target_archE1030ELNS1_3gpuE2ELNS1_3repE0EEENS1_30default_config_static_selectorELNS0_4arch9wavefront6targetE1EEEvT1_
; %bb.0:
	.section	.rodata,"a",@progbits
	.p2align	6, 0x0
	.amdhsa_kernel _ZN7rocprim17ROCPRIM_400000_NS6detail17trampoline_kernelINS0_14default_configENS1_25partition_config_selectorILNS1_17partition_subalgoE1ExNS0_10empty_typeEbEEZZNS1_14partition_implILS5_1ELb0ES3_jN6thrust23THRUST_200600_302600_NS6detail15normal_iteratorINSA_10device_ptrIxEEEEPS6_NSA_18transform_iteratorI7is_evenIxESF_NSA_11use_defaultESK_EENS0_5tupleIJSF_SF_EEENSM_IJSG_SG_EEES6_PlJS6_EEE10hipError_tPvRmT3_T4_T5_T6_T7_T9_mT8_P12ihipStream_tbDpT10_ENKUlT_T0_E_clISt17integral_constantIbLb1EES19_EEDaS14_S15_EUlS14_E_NS1_11comp_targetILNS1_3genE8ELNS1_11target_archE1030ELNS1_3gpuE2ELNS1_3repE0EEENS1_30default_config_static_selectorELNS0_4arch9wavefront6targetE1EEEvT1_
		.amdhsa_group_segment_fixed_size 0
		.amdhsa_private_segment_fixed_size 0
		.amdhsa_kernarg_size 144
		.amdhsa_user_sgpr_count 2
		.amdhsa_user_sgpr_dispatch_ptr 0
		.amdhsa_user_sgpr_queue_ptr 0
		.amdhsa_user_sgpr_kernarg_segment_ptr 1
		.amdhsa_user_sgpr_dispatch_id 0
		.amdhsa_user_sgpr_kernarg_preload_length 0
		.amdhsa_user_sgpr_kernarg_preload_offset 0
		.amdhsa_user_sgpr_private_segment_size 0
		.amdhsa_uses_dynamic_stack 0
		.amdhsa_enable_private_segment 0
		.amdhsa_system_sgpr_workgroup_id_x 1
		.amdhsa_system_sgpr_workgroup_id_y 0
		.amdhsa_system_sgpr_workgroup_id_z 0
		.amdhsa_system_sgpr_workgroup_info 0
		.amdhsa_system_vgpr_workitem_id 0
		.amdhsa_next_free_vgpr 1
		.amdhsa_next_free_sgpr 0
		.amdhsa_accum_offset 4
		.amdhsa_reserve_vcc 0
		.amdhsa_float_round_mode_32 0
		.amdhsa_float_round_mode_16_64 0
		.amdhsa_float_denorm_mode_32 3
		.amdhsa_float_denorm_mode_16_64 3
		.amdhsa_dx10_clamp 1
		.amdhsa_ieee_mode 1
		.amdhsa_fp16_overflow 0
		.amdhsa_tg_split 0
		.amdhsa_exception_fp_ieee_invalid_op 0
		.amdhsa_exception_fp_denorm_src 0
		.amdhsa_exception_fp_ieee_div_zero 0
		.amdhsa_exception_fp_ieee_overflow 0
		.amdhsa_exception_fp_ieee_underflow 0
		.amdhsa_exception_fp_ieee_inexact 0
		.amdhsa_exception_int_div_zero 0
	.end_amdhsa_kernel
	.section	.text._ZN7rocprim17ROCPRIM_400000_NS6detail17trampoline_kernelINS0_14default_configENS1_25partition_config_selectorILNS1_17partition_subalgoE1ExNS0_10empty_typeEbEEZZNS1_14partition_implILS5_1ELb0ES3_jN6thrust23THRUST_200600_302600_NS6detail15normal_iteratorINSA_10device_ptrIxEEEEPS6_NSA_18transform_iteratorI7is_evenIxESF_NSA_11use_defaultESK_EENS0_5tupleIJSF_SF_EEENSM_IJSG_SG_EEES6_PlJS6_EEE10hipError_tPvRmT3_T4_T5_T6_T7_T9_mT8_P12ihipStream_tbDpT10_ENKUlT_T0_E_clISt17integral_constantIbLb1EES19_EEDaS14_S15_EUlS14_E_NS1_11comp_targetILNS1_3genE8ELNS1_11target_archE1030ELNS1_3gpuE2ELNS1_3repE0EEENS1_30default_config_static_selectorELNS0_4arch9wavefront6targetE1EEEvT1_,"axG",@progbits,_ZN7rocprim17ROCPRIM_400000_NS6detail17trampoline_kernelINS0_14default_configENS1_25partition_config_selectorILNS1_17partition_subalgoE1ExNS0_10empty_typeEbEEZZNS1_14partition_implILS5_1ELb0ES3_jN6thrust23THRUST_200600_302600_NS6detail15normal_iteratorINSA_10device_ptrIxEEEEPS6_NSA_18transform_iteratorI7is_evenIxESF_NSA_11use_defaultESK_EENS0_5tupleIJSF_SF_EEENSM_IJSG_SG_EEES6_PlJS6_EEE10hipError_tPvRmT3_T4_T5_T6_T7_T9_mT8_P12ihipStream_tbDpT10_ENKUlT_T0_E_clISt17integral_constantIbLb1EES19_EEDaS14_S15_EUlS14_E_NS1_11comp_targetILNS1_3genE8ELNS1_11target_archE1030ELNS1_3gpuE2ELNS1_3repE0EEENS1_30default_config_static_selectorELNS0_4arch9wavefront6targetE1EEEvT1_,comdat
.Lfunc_end400:
	.size	_ZN7rocprim17ROCPRIM_400000_NS6detail17trampoline_kernelINS0_14default_configENS1_25partition_config_selectorILNS1_17partition_subalgoE1ExNS0_10empty_typeEbEEZZNS1_14partition_implILS5_1ELb0ES3_jN6thrust23THRUST_200600_302600_NS6detail15normal_iteratorINSA_10device_ptrIxEEEEPS6_NSA_18transform_iteratorI7is_evenIxESF_NSA_11use_defaultESK_EENS0_5tupleIJSF_SF_EEENSM_IJSG_SG_EEES6_PlJS6_EEE10hipError_tPvRmT3_T4_T5_T6_T7_T9_mT8_P12ihipStream_tbDpT10_ENKUlT_T0_E_clISt17integral_constantIbLb1EES19_EEDaS14_S15_EUlS14_E_NS1_11comp_targetILNS1_3genE8ELNS1_11target_archE1030ELNS1_3gpuE2ELNS1_3repE0EEENS1_30default_config_static_selectorELNS0_4arch9wavefront6targetE1EEEvT1_, .Lfunc_end400-_ZN7rocprim17ROCPRIM_400000_NS6detail17trampoline_kernelINS0_14default_configENS1_25partition_config_selectorILNS1_17partition_subalgoE1ExNS0_10empty_typeEbEEZZNS1_14partition_implILS5_1ELb0ES3_jN6thrust23THRUST_200600_302600_NS6detail15normal_iteratorINSA_10device_ptrIxEEEEPS6_NSA_18transform_iteratorI7is_evenIxESF_NSA_11use_defaultESK_EENS0_5tupleIJSF_SF_EEENSM_IJSG_SG_EEES6_PlJS6_EEE10hipError_tPvRmT3_T4_T5_T6_T7_T9_mT8_P12ihipStream_tbDpT10_ENKUlT_T0_E_clISt17integral_constantIbLb1EES19_EEDaS14_S15_EUlS14_E_NS1_11comp_targetILNS1_3genE8ELNS1_11target_archE1030ELNS1_3gpuE2ELNS1_3repE0EEENS1_30default_config_static_selectorELNS0_4arch9wavefront6targetE1EEEvT1_
                                        ; -- End function
	.section	.AMDGPU.csdata,"",@progbits
; Kernel info:
; codeLenInByte = 0
; NumSgprs: 6
; NumVgprs: 0
; NumAgprs: 0
; TotalNumVgprs: 0
; ScratchSize: 0
; MemoryBound: 0
; FloatMode: 240
; IeeeMode: 1
; LDSByteSize: 0 bytes/workgroup (compile time only)
; SGPRBlocks: 0
; VGPRBlocks: 0
; NumSGPRsForWavesPerEU: 6
; NumVGPRsForWavesPerEU: 1
; AccumOffset: 4
; Occupancy: 8
; WaveLimiterHint : 0
; COMPUTE_PGM_RSRC2:SCRATCH_EN: 0
; COMPUTE_PGM_RSRC2:USER_SGPR: 2
; COMPUTE_PGM_RSRC2:TRAP_HANDLER: 0
; COMPUTE_PGM_RSRC2:TGID_X_EN: 1
; COMPUTE_PGM_RSRC2:TGID_Y_EN: 0
; COMPUTE_PGM_RSRC2:TGID_Z_EN: 0
; COMPUTE_PGM_RSRC2:TIDIG_COMP_CNT: 0
; COMPUTE_PGM_RSRC3_GFX90A:ACCUM_OFFSET: 0
; COMPUTE_PGM_RSRC3_GFX90A:TG_SPLIT: 0
	.section	.text._ZN7rocprim17ROCPRIM_400000_NS6detail17trampoline_kernelINS0_14default_configENS1_25partition_config_selectorILNS1_17partition_subalgoE1ExNS0_10empty_typeEbEEZZNS1_14partition_implILS5_1ELb0ES3_jN6thrust23THRUST_200600_302600_NS6detail15normal_iteratorINSA_10device_ptrIxEEEEPS6_NSA_18transform_iteratorI7is_evenIxESF_NSA_11use_defaultESK_EENS0_5tupleIJSF_SF_EEENSM_IJSG_SG_EEES6_PlJS6_EEE10hipError_tPvRmT3_T4_T5_T6_T7_T9_mT8_P12ihipStream_tbDpT10_ENKUlT_T0_E_clISt17integral_constantIbLb1EES18_IbLb0EEEEDaS14_S15_EUlS14_E_NS1_11comp_targetILNS1_3genE0ELNS1_11target_archE4294967295ELNS1_3gpuE0ELNS1_3repE0EEENS1_30default_config_static_selectorELNS0_4arch9wavefront6targetE1EEEvT1_,"axG",@progbits,_ZN7rocprim17ROCPRIM_400000_NS6detail17trampoline_kernelINS0_14default_configENS1_25partition_config_selectorILNS1_17partition_subalgoE1ExNS0_10empty_typeEbEEZZNS1_14partition_implILS5_1ELb0ES3_jN6thrust23THRUST_200600_302600_NS6detail15normal_iteratorINSA_10device_ptrIxEEEEPS6_NSA_18transform_iteratorI7is_evenIxESF_NSA_11use_defaultESK_EENS0_5tupleIJSF_SF_EEENSM_IJSG_SG_EEES6_PlJS6_EEE10hipError_tPvRmT3_T4_T5_T6_T7_T9_mT8_P12ihipStream_tbDpT10_ENKUlT_T0_E_clISt17integral_constantIbLb1EES18_IbLb0EEEEDaS14_S15_EUlS14_E_NS1_11comp_targetILNS1_3genE0ELNS1_11target_archE4294967295ELNS1_3gpuE0ELNS1_3repE0EEENS1_30default_config_static_selectorELNS0_4arch9wavefront6targetE1EEEvT1_,comdat
	.protected	_ZN7rocprim17ROCPRIM_400000_NS6detail17trampoline_kernelINS0_14default_configENS1_25partition_config_selectorILNS1_17partition_subalgoE1ExNS0_10empty_typeEbEEZZNS1_14partition_implILS5_1ELb0ES3_jN6thrust23THRUST_200600_302600_NS6detail15normal_iteratorINSA_10device_ptrIxEEEEPS6_NSA_18transform_iteratorI7is_evenIxESF_NSA_11use_defaultESK_EENS0_5tupleIJSF_SF_EEENSM_IJSG_SG_EEES6_PlJS6_EEE10hipError_tPvRmT3_T4_T5_T6_T7_T9_mT8_P12ihipStream_tbDpT10_ENKUlT_T0_E_clISt17integral_constantIbLb1EES18_IbLb0EEEEDaS14_S15_EUlS14_E_NS1_11comp_targetILNS1_3genE0ELNS1_11target_archE4294967295ELNS1_3gpuE0ELNS1_3repE0EEENS1_30default_config_static_selectorELNS0_4arch9wavefront6targetE1EEEvT1_ ; -- Begin function _ZN7rocprim17ROCPRIM_400000_NS6detail17trampoline_kernelINS0_14default_configENS1_25partition_config_selectorILNS1_17partition_subalgoE1ExNS0_10empty_typeEbEEZZNS1_14partition_implILS5_1ELb0ES3_jN6thrust23THRUST_200600_302600_NS6detail15normal_iteratorINSA_10device_ptrIxEEEEPS6_NSA_18transform_iteratorI7is_evenIxESF_NSA_11use_defaultESK_EENS0_5tupleIJSF_SF_EEENSM_IJSG_SG_EEES6_PlJS6_EEE10hipError_tPvRmT3_T4_T5_T6_T7_T9_mT8_P12ihipStream_tbDpT10_ENKUlT_T0_E_clISt17integral_constantIbLb1EES18_IbLb0EEEEDaS14_S15_EUlS14_E_NS1_11comp_targetILNS1_3genE0ELNS1_11target_archE4294967295ELNS1_3gpuE0ELNS1_3repE0EEENS1_30default_config_static_selectorELNS0_4arch9wavefront6targetE1EEEvT1_
	.globl	_ZN7rocprim17ROCPRIM_400000_NS6detail17trampoline_kernelINS0_14default_configENS1_25partition_config_selectorILNS1_17partition_subalgoE1ExNS0_10empty_typeEbEEZZNS1_14partition_implILS5_1ELb0ES3_jN6thrust23THRUST_200600_302600_NS6detail15normal_iteratorINSA_10device_ptrIxEEEEPS6_NSA_18transform_iteratorI7is_evenIxESF_NSA_11use_defaultESK_EENS0_5tupleIJSF_SF_EEENSM_IJSG_SG_EEES6_PlJS6_EEE10hipError_tPvRmT3_T4_T5_T6_T7_T9_mT8_P12ihipStream_tbDpT10_ENKUlT_T0_E_clISt17integral_constantIbLb1EES18_IbLb0EEEEDaS14_S15_EUlS14_E_NS1_11comp_targetILNS1_3genE0ELNS1_11target_archE4294967295ELNS1_3gpuE0ELNS1_3repE0EEENS1_30default_config_static_selectorELNS0_4arch9wavefront6targetE1EEEvT1_
	.p2align	8
	.type	_ZN7rocprim17ROCPRIM_400000_NS6detail17trampoline_kernelINS0_14default_configENS1_25partition_config_selectorILNS1_17partition_subalgoE1ExNS0_10empty_typeEbEEZZNS1_14partition_implILS5_1ELb0ES3_jN6thrust23THRUST_200600_302600_NS6detail15normal_iteratorINSA_10device_ptrIxEEEEPS6_NSA_18transform_iteratorI7is_evenIxESF_NSA_11use_defaultESK_EENS0_5tupleIJSF_SF_EEENSM_IJSG_SG_EEES6_PlJS6_EEE10hipError_tPvRmT3_T4_T5_T6_T7_T9_mT8_P12ihipStream_tbDpT10_ENKUlT_T0_E_clISt17integral_constantIbLb1EES18_IbLb0EEEEDaS14_S15_EUlS14_E_NS1_11comp_targetILNS1_3genE0ELNS1_11target_archE4294967295ELNS1_3gpuE0ELNS1_3repE0EEENS1_30default_config_static_selectorELNS0_4arch9wavefront6targetE1EEEvT1_,@function
_ZN7rocprim17ROCPRIM_400000_NS6detail17trampoline_kernelINS0_14default_configENS1_25partition_config_selectorILNS1_17partition_subalgoE1ExNS0_10empty_typeEbEEZZNS1_14partition_implILS5_1ELb0ES3_jN6thrust23THRUST_200600_302600_NS6detail15normal_iteratorINSA_10device_ptrIxEEEEPS6_NSA_18transform_iteratorI7is_evenIxESF_NSA_11use_defaultESK_EENS0_5tupleIJSF_SF_EEENSM_IJSG_SG_EEES6_PlJS6_EEE10hipError_tPvRmT3_T4_T5_T6_T7_T9_mT8_P12ihipStream_tbDpT10_ENKUlT_T0_E_clISt17integral_constantIbLb1EES18_IbLb0EEEEDaS14_S15_EUlS14_E_NS1_11comp_targetILNS1_3genE0ELNS1_11target_archE4294967295ELNS1_3gpuE0ELNS1_3repE0EEENS1_30default_config_static_selectorELNS0_4arch9wavefront6targetE1EEEvT1_: ; @_ZN7rocprim17ROCPRIM_400000_NS6detail17trampoline_kernelINS0_14default_configENS1_25partition_config_selectorILNS1_17partition_subalgoE1ExNS0_10empty_typeEbEEZZNS1_14partition_implILS5_1ELb0ES3_jN6thrust23THRUST_200600_302600_NS6detail15normal_iteratorINSA_10device_ptrIxEEEEPS6_NSA_18transform_iteratorI7is_evenIxESF_NSA_11use_defaultESK_EENS0_5tupleIJSF_SF_EEENSM_IJSG_SG_EEES6_PlJS6_EEE10hipError_tPvRmT3_T4_T5_T6_T7_T9_mT8_P12ihipStream_tbDpT10_ENKUlT_T0_E_clISt17integral_constantIbLb1EES18_IbLb0EEEEDaS14_S15_EUlS14_E_NS1_11comp_targetILNS1_3genE0ELNS1_11target_archE4294967295ELNS1_3gpuE0ELNS1_3repE0EEENS1_30default_config_static_selectorELNS0_4arch9wavefront6targetE1EEEvT1_
; %bb.0:
	.section	.rodata,"a",@progbits
	.p2align	6, 0x0
	.amdhsa_kernel _ZN7rocprim17ROCPRIM_400000_NS6detail17trampoline_kernelINS0_14default_configENS1_25partition_config_selectorILNS1_17partition_subalgoE1ExNS0_10empty_typeEbEEZZNS1_14partition_implILS5_1ELb0ES3_jN6thrust23THRUST_200600_302600_NS6detail15normal_iteratorINSA_10device_ptrIxEEEEPS6_NSA_18transform_iteratorI7is_evenIxESF_NSA_11use_defaultESK_EENS0_5tupleIJSF_SF_EEENSM_IJSG_SG_EEES6_PlJS6_EEE10hipError_tPvRmT3_T4_T5_T6_T7_T9_mT8_P12ihipStream_tbDpT10_ENKUlT_T0_E_clISt17integral_constantIbLb1EES18_IbLb0EEEEDaS14_S15_EUlS14_E_NS1_11comp_targetILNS1_3genE0ELNS1_11target_archE4294967295ELNS1_3gpuE0ELNS1_3repE0EEENS1_30default_config_static_selectorELNS0_4arch9wavefront6targetE1EEEvT1_
		.amdhsa_group_segment_fixed_size 0
		.amdhsa_private_segment_fixed_size 0
		.amdhsa_kernarg_size 128
		.amdhsa_user_sgpr_count 2
		.amdhsa_user_sgpr_dispatch_ptr 0
		.amdhsa_user_sgpr_queue_ptr 0
		.amdhsa_user_sgpr_kernarg_segment_ptr 1
		.amdhsa_user_sgpr_dispatch_id 0
		.amdhsa_user_sgpr_kernarg_preload_length 0
		.amdhsa_user_sgpr_kernarg_preload_offset 0
		.amdhsa_user_sgpr_private_segment_size 0
		.amdhsa_uses_dynamic_stack 0
		.amdhsa_enable_private_segment 0
		.amdhsa_system_sgpr_workgroup_id_x 1
		.amdhsa_system_sgpr_workgroup_id_y 0
		.amdhsa_system_sgpr_workgroup_id_z 0
		.amdhsa_system_sgpr_workgroup_info 0
		.amdhsa_system_vgpr_workitem_id 0
		.amdhsa_next_free_vgpr 1
		.amdhsa_next_free_sgpr 0
		.amdhsa_accum_offset 4
		.amdhsa_reserve_vcc 0
		.amdhsa_float_round_mode_32 0
		.amdhsa_float_round_mode_16_64 0
		.amdhsa_float_denorm_mode_32 3
		.amdhsa_float_denorm_mode_16_64 3
		.amdhsa_dx10_clamp 1
		.amdhsa_ieee_mode 1
		.amdhsa_fp16_overflow 0
		.amdhsa_tg_split 0
		.amdhsa_exception_fp_ieee_invalid_op 0
		.amdhsa_exception_fp_denorm_src 0
		.amdhsa_exception_fp_ieee_div_zero 0
		.amdhsa_exception_fp_ieee_overflow 0
		.amdhsa_exception_fp_ieee_underflow 0
		.amdhsa_exception_fp_ieee_inexact 0
		.amdhsa_exception_int_div_zero 0
	.end_amdhsa_kernel
	.section	.text._ZN7rocprim17ROCPRIM_400000_NS6detail17trampoline_kernelINS0_14default_configENS1_25partition_config_selectorILNS1_17partition_subalgoE1ExNS0_10empty_typeEbEEZZNS1_14partition_implILS5_1ELb0ES3_jN6thrust23THRUST_200600_302600_NS6detail15normal_iteratorINSA_10device_ptrIxEEEEPS6_NSA_18transform_iteratorI7is_evenIxESF_NSA_11use_defaultESK_EENS0_5tupleIJSF_SF_EEENSM_IJSG_SG_EEES6_PlJS6_EEE10hipError_tPvRmT3_T4_T5_T6_T7_T9_mT8_P12ihipStream_tbDpT10_ENKUlT_T0_E_clISt17integral_constantIbLb1EES18_IbLb0EEEEDaS14_S15_EUlS14_E_NS1_11comp_targetILNS1_3genE0ELNS1_11target_archE4294967295ELNS1_3gpuE0ELNS1_3repE0EEENS1_30default_config_static_selectorELNS0_4arch9wavefront6targetE1EEEvT1_,"axG",@progbits,_ZN7rocprim17ROCPRIM_400000_NS6detail17trampoline_kernelINS0_14default_configENS1_25partition_config_selectorILNS1_17partition_subalgoE1ExNS0_10empty_typeEbEEZZNS1_14partition_implILS5_1ELb0ES3_jN6thrust23THRUST_200600_302600_NS6detail15normal_iteratorINSA_10device_ptrIxEEEEPS6_NSA_18transform_iteratorI7is_evenIxESF_NSA_11use_defaultESK_EENS0_5tupleIJSF_SF_EEENSM_IJSG_SG_EEES6_PlJS6_EEE10hipError_tPvRmT3_T4_T5_T6_T7_T9_mT8_P12ihipStream_tbDpT10_ENKUlT_T0_E_clISt17integral_constantIbLb1EES18_IbLb0EEEEDaS14_S15_EUlS14_E_NS1_11comp_targetILNS1_3genE0ELNS1_11target_archE4294967295ELNS1_3gpuE0ELNS1_3repE0EEENS1_30default_config_static_selectorELNS0_4arch9wavefront6targetE1EEEvT1_,comdat
.Lfunc_end401:
	.size	_ZN7rocprim17ROCPRIM_400000_NS6detail17trampoline_kernelINS0_14default_configENS1_25partition_config_selectorILNS1_17partition_subalgoE1ExNS0_10empty_typeEbEEZZNS1_14partition_implILS5_1ELb0ES3_jN6thrust23THRUST_200600_302600_NS6detail15normal_iteratorINSA_10device_ptrIxEEEEPS6_NSA_18transform_iteratorI7is_evenIxESF_NSA_11use_defaultESK_EENS0_5tupleIJSF_SF_EEENSM_IJSG_SG_EEES6_PlJS6_EEE10hipError_tPvRmT3_T4_T5_T6_T7_T9_mT8_P12ihipStream_tbDpT10_ENKUlT_T0_E_clISt17integral_constantIbLb1EES18_IbLb0EEEEDaS14_S15_EUlS14_E_NS1_11comp_targetILNS1_3genE0ELNS1_11target_archE4294967295ELNS1_3gpuE0ELNS1_3repE0EEENS1_30default_config_static_selectorELNS0_4arch9wavefront6targetE1EEEvT1_, .Lfunc_end401-_ZN7rocprim17ROCPRIM_400000_NS6detail17trampoline_kernelINS0_14default_configENS1_25partition_config_selectorILNS1_17partition_subalgoE1ExNS0_10empty_typeEbEEZZNS1_14partition_implILS5_1ELb0ES3_jN6thrust23THRUST_200600_302600_NS6detail15normal_iteratorINSA_10device_ptrIxEEEEPS6_NSA_18transform_iteratorI7is_evenIxESF_NSA_11use_defaultESK_EENS0_5tupleIJSF_SF_EEENSM_IJSG_SG_EEES6_PlJS6_EEE10hipError_tPvRmT3_T4_T5_T6_T7_T9_mT8_P12ihipStream_tbDpT10_ENKUlT_T0_E_clISt17integral_constantIbLb1EES18_IbLb0EEEEDaS14_S15_EUlS14_E_NS1_11comp_targetILNS1_3genE0ELNS1_11target_archE4294967295ELNS1_3gpuE0ELNS1_3repE0EEENS1_30default_config_static_selectorELNS0_4arch9wavefront6targetE1EEEvT1_
                                        ; -- End function
	.section	.AMDGPU.csdata,"",@progbits
; Kernel info:
; codeLenInByte = 0
; NumSgprs: 6
; NumVgprs: 0
; NumAgprs: 0
; TotalNumVgprs: 0
; ScratchSize: 0
; MemoryBound: 0
; FloatMode: 240
; IeeeMode: 1
; LDSByteSize: 0 bytes/workgroup (compile time only)
; SGPRBlocks: 0
; VGPRBlocks: 0
; NumSGPRsForWavesPerEU: 6
; NumVGPRsForWavesPerEU: 1
; AccumOffset: 4
; Occupancy: 8
; WaveLimiterHint : 0
; COMPUTE_PGM_RSRC2:SCRATCH_EN: 0
; COMPUTE_PGM_RSRC2:USER_SGPR: 2
; COMPUTE_PGM_RSRC2:TRAP_HANDLER: 0
; COMPUTE_PGM_RSRC2:TGID_X_EN: 1
; COMPUTE_PGM_RSRC2:TGID_Y_EN: 0
; COMPUTE_PGM_RSRC2:TGID_Z_EN: 0
; COMPUTE_PGM_RSRC2:TIDIG_COMP_CNT: 0
; COMPUTE_PGM_RSRC3_GFX90A:ACCUM_OFFSET: 0
; COMPUTE_PGM_RSRC3_GFX90A:TG_SPLIT: 0
	.section	.text._ZN7rocprim17ROCPRIM_400000_NS6detail17trampoline_kernelINS0_14default_configENS1_25partition_config_selectorILNS1_17partition_subalgoE1ExNS0_10empty_typeEbEEZZNS1_14partition_implILS5_1ELb0ES3_jN6thrust23THRUST_200600_302600_NS6detail15normal_iteratorINSA_10device_ptrIxEEEEPS6_NSA_18transform_iteratorI7is_evenIxESF_NSA_11use_defaultESK_EENS0_5tupleIJSF_SF_EEENSM_IJSG_SG_EEES6_PlJS6_EEE10hipError_tPvRmT3_T4_T5_T6_T7_T9_mT8_P12ihipStream_tbDpT10_ENKUlT_T0_E_clISt17integral_constantIbLb1EES18_IbLb0EEEEDaS14_S15_EUlS14_E_NS1_11comp_targetILNS1_3genE5ELNS1_11target_archE942ELNS1_3gpuE9ELNS1_3repE0EEENS1_30default_config_static_selectorELNS0_4arch9wavefront6targetE1EEEvT1_,"axG",@progbits,_ZN7rocprim17ROCPRIM_400000_NS6detail17trampoline_kernelINS0_14default_configENS1_25partition_config_selectorILNS1_17partition_subalgoE1ExNS0_10empty_typeEbEEZZNS1_14partition_implILS5_1ELb0ES3_jN6thrust23THRUST_200600_302600_NS6detail15normal_iteratorINSA_10device_ptrIxEEEEPS6_NSA_18transform_iteratorI7is_evenIxESF_NSA_11use_defaultESK_EENS0_5tupleIJSF_SF_EEENSM_IJSG_SG_EEES6_PlJS6_EEE10hipError_tPvRmT3_T4_T5_T6_T7_T9_mT8_P12ihipStream_tbDpT10_ENKUlT_T0_E_clISt17integral_constantIbLb1EES18_IbLb0EEEEDaS14_S15_EUlS14_E_NS1_11comp_targetILNS1_3genE5ELNS1_11target_archE942ELNS1_3gpuE9ELNS1_3repE0EEENS1_30default_config_static_selectorELNS0_4arch9wavefront6targetE1EEEvT1_,comdat
	.protected	_ZN7rocprim17ROCPRIM_400000_NS6detail17trampoline_kernelINS0_14default_configENS1_25partition_config_selectorILNS1_17partition_subalgoE1ExNS0_10empty_typeEbEEZZNS1_14partition_implILS5_1ELb0ES3_jN6thrust23THRUST_200600_302600_NS6detail15normal_iteratorINSA_10device_ptrIxEEEEPS6_NSA_18transform_iteratorI7is_evenIxESF_NSA_11use_defaultESK_EENS0_5tupleIJSF_SF_EEENSM_IJSG_SG_EEES6_PlJS6_EEE10hipError_tPvRmT3_T4_T5_T6_T7_T9_mT8_P12ihipStream_tbDpT10_ENKUlT_T0_E_clISt17integral_constantIbLb1EES18_IbLb0EEEEDaS14_S15_EUlS14_E_NS1_11comp_targetILNS1_3genE5ELNS1_11target_archE942ELNS1_3gpuE9ELNS1_3repE0EEENS1_30default_config_static_selectorELNS0_4arch9wavefront6targetE1EEEvT1_ ; -- Begin function _ZN7rocprim17ROCPRIM_400000_NS6detail17trampoline_kernelINS0_14default_configENS1_25partition_config_selectorILNS1_17partition_subalgoE1ExNS0_10empty_typeEbEEZZNS1_14partition_implILS5_1ELb0ES3_jN6thrust23THRUST_200600_302600_NS6detail15normal_iteratorINSA_10device_ptrIxEEEEPS6_NSA_18transform_iteratorI7is_evenIxESF_NSA_11use_defaultESK_EENS0_5tupleIJSF_SF_EEENSM_IJSG_SG_EEES6_PlJS6_EEE10hipError_tPvRmT3_T4_T5_T6_T7_T9_mT8_P12ihipStream_tbDpT10_ENKUlT_T0_E_clISt17integral_constantIbLb1EES18_IbLb0EEEEDaS14_S15_EUlS14_E_NS1_11comp_targetILNS1_3genE5ELNS1_11target_archE942ELNS1_3gpuE9ELNS1_3repE0EEENS1_30default_config_static_selectorELNS0_4arch9wavefront6targetE1EEEvT1_
	.globl	_ZN7rocprim17ROCPRIM_400000_NS6detail17trampoline_kernelINS0_14default_configENS1_25partition_config_selectorILNS1_17partition_subalgoE1ExNS0_10empty_typeEbEEZZNS1_14partition_implILS5_1ELb0ES3_jN6thrust23THRUST_200600_302600_NS6detail15normal_iteratorINSA_10device_ptrIxEEEEPS6_NSA_18transform_iteratorI7is_evenIxESF_NSA_11use_defaultESK_EENS0_5tupleIJSF_SF_EEENSM_IJSG_SG_EEES6_PlJS6_EEE10hipError_tPvRmT3_T4_T5_T6_T7_T9_mT8_P12ihipStream_tbDpT10_ENKUlT_T0_E_clISt17integral_constantIbLb1EES18_IbLb0EEEEDaS14_S15_EUlS14_E_NS1_11comp_targetILNS1_3genE5ELNS1_11target_archE942ELNS1_3gpuE9ELNS1_3repE0EEENS1_30default_config_static_selectorELNS0_4arch9wavefront6targetE1EEEvT1_
	.p2align	8
	.type	_ZN7rocprim17ROCPRIM_400000_NS6detail17trampoline_kernelINS0_14default_configENS1_25partition_config_selectorILNS1_17partition_subalgoE1ExNS0_10empty_typeEbEEZZNS1_14partition_implILS5_1ELb0ES3_jN6thrust23THRUST_200600_302600_NS6detail15normal_iteratorINSA_10device_ptrIxEEEEPS6_NSA_18transform_iteratorI7is_evenIxESF_NSA_11use_defaultESK_EENS0_5tupleIJSF_SF_EEENSM_IJSG_SG_EEES6_PlJS6_EEE10hipError_tPvRmT3_T4_T5_T6_T7_T9_mT8_P12ihipStream_tbDpT10_ENKUlT_T0_E_clISt17integral_constantIbLb1EES18_IbLb0EEEEDaS14_S15_EUlS14_E_NS1_11comp_targetILNS1_3genE5ELNS1_11target_archE942ELNS1_3gpuE9ELNS1_3repE0EEENS1_30default_config_static_selectorELNS0_4arch9wavefront6targetE1EEEvT1_,@function
_ZN7rocprim17ROCPRIM_400000_NS6detail17trampoline_kernelINS0_14default_configENS1_25partition_config_selectorILNS1_17partition_subalgoE1ExNS0_10empty_typeEbEEZZNS1_14partition_implILS5_1ELb0ES3_jN6thrust23THRUST_200600_302600_NS6detail15normal_iteratorINSA_10device_ptrIxEEEEPS6_NSA_18transform_iteratorI7is_evenIxESF_NSA_11use_defaultESK_EENS0_5tupleIJSF_SF_EEENSM_IJSG_SG_EEES6_PlJS6_EEE10hipError_tPvRmT3_T4_T5_T6_T7_T9_mT8_P12ihipStream_tbDpT10_ENKUlT_T0_E_clISt17integral_constantIbLb1EES18_IbLb0EEEEDaS14_S15_EUlS14_E_NS1_11comp_targetILNS1_3genE5ELNS1_11target_archE942ELNS1_3gpuE9ELNS1_3repE0EEENS1_30default_config_static_selectorELNS0_4arch9wavefront6targetE1EEEvT1_: ; @_ZN7rocprim17ROCPRIM_400000_NS6detail17trampoline_kernelINS0_14default_configENS1_25partition_config_selectorILNS1_17partition_subalgoE1ExNS0_10empty_typeEbEEZZNS1_14partition_implILS5_1ELb0ES3_jN6thrust23THRUST_200600_302600_NS6detail15normal_iteratorINSA_10device_ptrIxEEEEPS6_NSA_18transform_iteratorI7is_evenIxESF_NSA_11use_defaultESK_EENS0_5tupleIJSF_SF_EEENSM_IJSG_SG_EEES6_PlJS6_EEE10hipError_tPvRmT3_T4_T5_T6_T7_T9_mT8_P12ihipStream_tbDpT10_ENKUlT_T0_E_clISt17integral_constantIbLb1EES18_IbLb0EEEEDaS14_S15_EUlS14_E_NS1_11comp_targetILNS1_3genE5ELNS1_11target_archE942ELNS1_3gpuE9ELNS1_3repE0EEENS1_30default_config_static_selectorELNS0_4arch9wavefront6targetE1EEEvT1_
; %bb.0:
	s_load_dwordx2 s[4:5], s[0:1], 0x60
	s_load_dwordx4 s[24:27], s[0:1], 0x8
	s_load_dwordx2 s[6:7], s[0:1], 0x20
	s_load_dwordx4 s[20:23], s[0:1], 0x50
	s_load_dword s3, s[0:1], 0x78
	s_waitcnt lgkmcnt(0)
	v_mov_b32_e32 v3, s5
	s_lshl_b64 s[8:9], s[26:27], 3
	s_add_u32 s12, s24, s8
	s_addc_u32 s13, s25, s9
	s_add_i32 s14, s3, -1
	s_mulk_i32 s3, 0xe00
	s_add_i32 s5, s3, s26
	s_sub_i32 s33, s4, s5
	s_addk_i32 s33, 0xe00
	v_mov_b32_e32 v2, s4
	s_add_u32 s4, s26, s3
	s_addc_u32 s5, s27, 0
	s_cmp_eq_u32 s2, s14
	s_load_dwordx2 s[28:29], s[22:23], 0x0
	s_cselect_b64 s[22:23], -1, 0
	s_cmp_lg_u32 s2, s14
	s_mul_i32 s10, s2, 0xe00
	s_mov_b32 s11, 0
	v_cmp_lt_u64_e32 vcc, s[4:5], v[2:3]
	s_cselect_b64 s[4:5], -1, 0
	s_or_b64 s[24:25], s[4:5], vcc
	s_lshl_b64 s[30:31], s[10:11], 3
	s_add_u32 s10, s12, s30
	s_addc_u32 s11, s13, s31
	s_mov_b64 s[4:5], -1
	s_and_b64 vcc, exec, s[24:25]
	v_lshlrev_b32_e32 v18, 3, v0
	s_cbranch_vccz .LBB402_2
; %bb.1:
	v_mov_b32_e32 v19, 0
	v_lshl_add_u64 v[2:3], s[10:11], 0, v[18:19]
	v_add_co_u32_e32 v4, vcc, 0x1000, v2
	s_mov_b64 s[4:5], 0
	s_nop 0
	v_addc_co_u32_e32 v5, vcc, 0, v3, vcc
	v_add_co_u32_e32 v6, vcc, 0x2000, v2
	s_nop 1
	v_addc_co_u32_e32 v7, vcc, 0, v3, vcc
	v_add_co_u32_e32 v8, vcc, 0x3000, v2
	s_nop 1
	v_addc_co_u32_e32 v9, vcc, 0, v3, vcc
	flat_load_dwordx2 v[10:11], v[2:3]
	flat_load_dwordx2 v[12:13], v[4:5]
	;; [unrolled: 1-line block ×4, first 2 shown]
	v_add_co_u32_e32 v4, vcc, 0x4000, v2
	s_nop 1
	v_addc_co_u32_e32 v5, vcc, 0, v3, vcc
	v_add_co_u32_e32 v6, vcc, 0x5000, v2
	s_nop 1
	v_addc_co_u32_e32 v7, vcc, 0, v3, vcc
	v_add_co_u32_e32 v2, vcc, 0x6000, v2
	s_nop 1
	v_addc_co_u32_e32 v3, vcc, 0, v3, vcc
	flat_load_dwordx2 v[8:9], v[4:5]
	flat_load_dwordx2 v[20:21], v[6:7]
	flat_load_dwordx2 v[22:23], v[2:3]
	s_waitcnt vmcnt(0) lgkmcnt(0)
	ds_write2st64_b64 v18, v[10:11], v[12:13] offset1:8
	ds_write2st64_b64 v18, v[14:15], v[16:17] offset0:16 offset1:24
	ds_write2st64_b64 v18, v[8:9], v[20:21] offset0:32 offset1:40
	ds_write_b64 v18, v[22:23] offset:24576
	s_waitcnt lgkmcnt(0)
	s_barrier
.LBB402_2:
	s_andn2_b64 vcc, exec, s[4:5]
	v_cmp_gt_u32_e64 s[4:5], s33, v0
	s_cbranch_vccnz .LBB402_18
; %bb.3:
                                        ; implicit-def: $vgpr2_vgpr3_vgpr4_vgpr5_vgpr6_vgpr7_vgpr8_vgpr9_vgpr10_vgpr11_vgpr12_vgpr13_vgpr14_vgpr15_vgpr16_vgpr17
	s_and_saveexec_b64 s[12:13], s[4:5]
	s_cbranch_execz .LBB402_5
; %bb.4:
	v_mov_b32_e32 v19, 0
	v_lshl_add_u64 v[2:3], s[10:11], 0, v[18:19]
	flat_load_dwordx2 v[2:3], v[2:3]
.LBB402_5:
	s_or_b64 exec, exec, s[12:13]
	v_or_b32_e32 v1, 0x200, v0
	v_cmp_gt_u32_e32 vcc, s33, v1
	s_and_saveexec_b64 s[4:5], vcc
	s_cbranch_execz .LBB402_7
; %bb.6:
	v_lshlrev_b32_e32 v4, 3, v1
	v_mov_b32_e32 v5, 0
	v_lshl_add_u64 v[4:5], s[10:11], 0, v[4:5]
	flat_load_dwordx2 v[4:5], v[4:5]
.LBB402_7:
	s_or_b64 exec, exec, s[4:5]
	v_or_b32_e32 v1, 0x400, v0
	v_cmp_gt_u32_e32 vcc, s33, v1
	s_and_saveexec_b64 s[4:5], vcc
	s_cbranch_execz .LBB402_9
; %bb.8:
	v_lshlrev_b32_e32 v6, 3, v1
	v_mov_b32_e32 v7, 0
	v_lshl_add_u64 v[6:7], s[10:11], 0, v[6:7]
	flat_load_dwordx2 v[6:7], v[6:7]
.LBB402_9:
	s_or_b64 exec, exec, s[4:5]
	v_or_b32_e32 v1, 0x600, v0
	v_cmp_gt_u32_e32 vcc, s33, v1
	s_and_saveexec_b64 s[4:5], vcc
	s_cbranch_execz .LBB402_11
; %bb.10:
	v_lshlrev_b32_e32 v8, 3, v1
	v_mov_b32_e32 v9, 0
	v_lshl_add_u64 v[8:9], s[10:11], 0, v[8:9]
	flat_load_dwordx2 v[8:9], v[8:9]
.LBB402_11:
	s_or_b64 exec, exec, s[4:5]
	v_or_b32_e32 v1, 0x800, v0
	v_cmp_gt_u32_e32 vcc, s33, v1
	s_and_saveexec_b64 s[4:5], vcc
	s_cbranch_execz .LBB402_13
; %bb.12:
	v_lshlrev_b32_e32 v10, 3, v1
	v_mov_b32_e32 v11, 0
	v_lshl_add_u64 v[10:11], s[10:11], 0, v[10:11]
	flat_load_dwordx2 v[10:11], v[10:11]
.LBB402_13:
	s_or_b64 exec, exec, s[4:5]
	v_or_b32_e32 v1, 0xa00, v0
	v_cmp_gt_u32_e32 vcc, s33, v1
	s_and_saveexec_b64 s[4:5], vcc
	s_cbranch_execz .LBB402_15
; %bb.14:
	v_lshlrev_b32_e32 v12, 3, v1
	v_mov_b32_e32 v13, 0
	v_lshl_add_u64 v[12:13], s[10:11], 0, v[12:13]
	flat_load_dwordx2 v[12:13], v[12:13]
.LBB402_15:
	s_or_b64 exec, exec, s[4:5]
	v_or_b32_e32 v1, 0xc00, v0
	v_cmp_gt_u32_e32 vcc, s33, v1
	s_and_saveexec_b64 s[4:5], vcc
	s_cbranch_execz .LBB402_17
; %bb.16:
	v_lshlrev_b32_e32 v14, 3, v1
	v_mov_b32_e32 v15, 0
	v_lshl_add_u64 v[14:15], s[10:11], 0, v[14:15]
	flat_load_dwordx2 v[14:15], v[14:15]
.LBB402_17:
	s_or_b64 exec, exec, s[4:5]
	s_waitcnt vmcnt(0) lgkmcnt(0)
	ds_write2st64_b64 v18, v[2:3], v[4:5] offset1:8
	ds_write2st64_b64 v18, v[6:7], v[8:9] offset0:16 offset1:24
	ds_write2st64_b64 v18, v[10:11], v[12:13] offset0:32 offset1:40
	ds_write_b64 v18, v[14:15] offset:24576
	s_waitcnt lgkmcnt(0)
	s_barrier
.LBB402_18:
	v_mul_u32_u24_e32 v1, 7, v0
	v_lshlrev_b32_e32 v16, 3, v1
	s_waitcnt lgkmcnt(0)
	ds_read2_b64 v[10:13], v16 offset1:1
	ds_read2_b64 v[6:9], v16 offset0:2 offset1:3
	ds_read2_b64 v[2:5], v16 offset0:4 offset1:5
	ds_read_b64 v[14:15], v16 offset:48
	s_add_u32 s3, s6, s8
	s_addc_u32 s5, s7, s9
	s_add_u32 s4, s3, s30
	s_addc_u32 s5, s5, s31
	s_mov_b64 s[6:7], -1
	s_and_b64 vcc, exec, s[24:25]
	s_waitcnt lgkmcnt(0)
	s_barrier
	s_cbranch_vccz .LBB402_20
; %bb.19:
	v_mov_b32_e32 v19, 0
	v_lshl_add_u64 v[20:21], s[4:5], 0, v[18:19]
	v_add_co_u32_e32 v24, vcc, 0x1000, v20
	global_load_dwordx2 v[22:23], v18, s[4:5]
	s_nop 0
	v_addc_co_u32_e32 v25, vcc, 0, v21, vcc
	v_add_co_u32_e32 v26, vcc, 0x2000, v20
	s_mov_b64 s[6:7], 0
	s_nop 0
	v_addc_co_u32_e32 v27, vcc, 0, v21, vcc
	v_add_co_u32_e32 v28, vcc, 0x3000, v20
	s_waitcnt vmcnt(0)
	v_xor_b32_e32 v17, -1, v22
	v_addc_co_u32_e32 v29, vcc, 0, v21, vcc
	v_add_co_u32_e32 v30, vcc, 0x4000, v20
	v_and_b32_e32 v17, 1, v17
	s_nop 0
	v_addc_co_u32_e32 v31, vcc, 0, v21, vcc
	global_load_dwordx2 v[32:33], v[24:25], off
	global_load_dwordx2 v[34:35], v[26:27], off
	;; [unrolled: 1-line block ×4, first 2 shown]
	v_add_co_u32_e32 v24, vcc, 0x5000, v20
	ds_write_b8 v0, v17
	s_nop 0
	v_addc_co_u32_e32 v25, vcc, 0, v21, vcc
	v_add_co_u32_e32 v20, vcc, 0x6000, v20
	global_load_dwordx2 v[24:25], v[24:25], off
	s_nop 0
	v_addc_co_u32_e32 v21, vcc, 0, v21, vcc
	global_load_dwordx2 v[20:21], v[20:21], off
	s_waitcnt vmcnt(5)
	v_xor_b32_e32 v17, -1, v32
	v_and_b32_e32 v17, 1, v17
	s_waitcnt vmcnt(4)
	v_xor_b32_e32 v19, -1, v34
	s_waitcnt vmcnt(0)
	v_xor_b32_e32 v21, -1, v36
	v_and_b32_e32 v19, 1, v19
	ds_write_b8 v0, v17 offset:512
	v_and_b32_e32 v17, 1, v21
	v_xor_b32_e32 v21, -1, v38
	ds_write_b8 v0, v19 offset:1024
	v_and_b32_e32 v19, 1, v21
	ds_write_b8 v0, v17 offset:1536
	v_xor_b32_e32 v21, -1, v24
	v_and_b32_e32 v17, 1, v21
	ds_write_b8 v0, v19 offset:2048
	v_xor_b32_e32 v20, -1, v20
	v_and_b32_e32 v19, 1, v20
	ds_write_b8 v0, v17 offset:2560
	ds_write_b8 v0, v19 offset:3072
	s_waitcnt lgkmcnt(0)
	s_barrier
.LBB402_20:
	s_load_dwordx2 s[34:35], s[0:1], 0x70
	s_andn2_b64 vcc, exec, s[6:7]
	s_cbranch_vccnz .LBB402_36
; %bb.21:
	v_cmp_gt_u32_e32 vcc, s33, v0
	v_mov_b32_e32 v17, 0
	v_mov_b32_e32 v19, 0
	s_and_saveexec_b64 s[6:7], vcc
	s_cbranch_execz .LBB402_23
; %bb.22:
	global_load_dwordx2 v[20:21], v18, s[4:5]
	s_waitcnt vmcnt(0)
	v_xor_b32_e32 v19, -1, v20
	v_and_b32_e32 v19, 1, v19
.LBB402_23:
	s_or_b64 exec, exec, s[6:7]
	v_or_b32_e32 v20, 0x200, v0
	v_cmp_gt_u32_e32 vcc, s33, v20
	s_and_saveexec_b64 s[6:7], vcc
	s_cbranch_execz .LBB402_25
; %bb.24:
	v_lshlrev_b32_e32 v17, 3, v20
	global_load_dwordx2 v[20:21], v17, s[4:5]
	s_waitcnt vmcnt(0)
	v_xor_b32_e32 v17, -1, v20
	v_and_b32_e32 v17, 1, v17
.LBB402_25:
	s_or_b64 exec, exec, s[6:7]
	v_or_b32_e32 v22, 0x400, v0
	v_cmp_gt_u32_e32 vcc, s33, v22
	v_mov_b32_e32 v20, 0
	v_mov_b32_e32 v21, 0
	s_and_saveexec_b64 s[6:7], vcc
	s_cbranch_execz .LBB402_27
; %bb.26:
	v_lshlrev_b32_e32 v21, 3, v22
	global_load_dwordx2 v[22:23], v21, s[4:5]
	s_waitcnt vmcnt(0)
	v_xor_b32_e32 v21, -1, v22
	v_and_b32_e32 v21, 1, v21
.LBB402_27:
	s_or_b64 exec, exec, s[6:7]
	v_or_b32_e32 v22, 0x600, v0
	v_cmp_gt_u32_e32 vcc, s33, v22
	s_and_saveexec_b64 s[6:7], vcc
	s_cbranch_execz .LBB402_29
; %bb.28:
	v_lshlrev_b32_e32 v20, 3, v22
	global_load_dwordx2 v[22:23], v20, s[4:5]
	s_waitcnt vmcnt(0)
	v_xor_b32_e32 v20, -1, v22
	v_and_b32_e32 v20, 1, v20
.LBB402_29:
	s_or_b64 exec, exec, s[6:7]
	v_or_b32_e32 v24, 0x800, v0
	v_cmp_gt_u32_e32 vcc, s33, v24
	v_mov_b32_e32 v22, 0
	v_mov_b32_e32 v23, 0
	s_and_saveexec_b64 s[6:7], vcc
	s_cbranch_execz .LBB402_31
; %bb.30:
	v_lshlrev_b32_e32 v23, 3, v24
	global_load_dwordx2 v[24:25], v23, s[4:5]
	s_waitcnt vmcnt(0)
	v_xor_b32_e32 v23, -1, v24
	v_and_b32_e32 v23, 1, v23
.LBB402_31:
	s_or_b64 exec, exec, s[6:7]
	v_or_b32_e32 v24, 0xa00, v0
	v_cmp_gt_u32_e32 vcc, s33, v24
	s_and_saveexec_b64 s[6:7], vcc
	s_cbranch_execz .LBB402_33
; %bb.32:
	v_lshlrev_b32_e32 v22, 3, v24
	global_load_dwordx2 v[24:25], v22, s[4:5]
	s_waitcnt vmcnt(0)
	v_xor_b32_e32 v22, -1, v24
	v_and_b32_e32 v22, 1, v22
.LBB402_33:
	s_or_b64 exec, exec, s[6:7]
	v_or_b32_e32 v25, 0xc00, v0
	v_cmp_gt_u32_e32 vcc, s33, v25
	v_mov_b32_e32 v24, 0
	s_and_saveexec_b64 s[6:7], vcc
	s_cbranch_execz .LBB402_35
; %bb.34:
	v_lshlrev_b32_e32 v24, 3, v25
	global_load_dwordx2 v[24:25], v24, s[4:5]
	s_waitcnt vmcnt(0)
	v_xor_b32_e32 v24, -1, v24
	v_and_b32_e32 v24, 1, v24
.LBB402_35:
	s_or_b64 exec, exec, s[6:7]
	ds_write_b8 v0, v19
	ds_write_b8 v0, v17 offset:512
	ds_write_b8 v0, v21 offset:1024
	;; [unrolled: 1-line block ×6, first 2 shown]
	s_waitcnt lgkmcnt(0)
	s_barrier
.LBB402_36:
	s_movk_i32 s3, 0xffcf
	v_mad_i32_i24 v35, v0, s3, v16
	s_waitcnt lgkmcnt(0)
	ds_read_u8 v16, v35
	ds_read_u8 v17, v35 offset:1
	ds_read_u8 v19, v35 offset:2
	ds_read_u8 v20, v35 offset:3
	ds_read_u8 v21, v35 offset:4
	ds_read_u8 v22, v35 offset:5
	ds_read_u8 v23, v35 offset:6
	s_waitcnt lgkmcnt(6)
	v_and_b32_e32 v33, 1, v16
	s_waitcnt lgkmcnt(5)
	v_and_b32_e32 v32, 1, v17
	;; [unrolled: 2-line block ×5, first 2 shown]
	v_add3_u32 v16, v32, v33, v31
	s_waitcnt lgkmcnt(1)
	v_and_b32_e32 v28, 1, v22
	s_waitcnt lgkmcnt(0)
	v_and_b32_e32 v19, 1, v23
	v_add3_u32 v16, v16, v30, v29
	v_add3_u32 v37, v16, v28, v19
	v_mbcnt_lo_u32_b32 v16, -1, 0
	v_mbcnt_hi_u32_b32 v34, -1, v16
	v_and_b32_e32 v16, 15, v34
	v_cmp_eq_u32_e64 s[14:15], 0, v16
	v_cmp_lt_u32_e64 s[12:13], 1, v16
	v_cmp_lt_u32_e64 s[10:11], 3, v16
	;; [unrolled: 1-line block ×3, first 2 shown]
	v_and_b32_e32 v16, 16, v34
	v_cmp_eq_u32_e64 s[6:7], 0, v16
	v_or_b32_e32 v16, 63, v0
	s_cmp_lg_u32 s2, 0
	v_cmp_lt_u32_e64 s[18:19], 31, v34
	v_lshrrev_b32_e32 v36, 6, v0
	v_cmp_eq_u32_e64 s[4:5], v16, v0
	s_barrier
	s_cbranch_scc0 .LBB402_67
; %bb.37:
	v_mov_b32_dpp v16, v37 row_shr:1 row_mask:0xf bank_mask:0xf
	v_cndmask_b32_e64 v16, v16, 0, s[14:15]
	v_add_u32_e32 v16, v16, v37
	s_nop 1
	v_mov_b32_dpp v17, v16 row_shr:2 row_mask:0xf bank_mask:0xf
	v_cndmask_b32_e64 v17, 0, v17, s[12:13]
	v_add_u32_e32 v16, v16, v17
	s_nop 1
	;; [unrolled: 4-line block ×4, first 2 shown]
	v_mov_b32_dpp v17, v16 row_bcast:15 row_mask:0xf bank_mask:0xf
	v_cndmask_b32_e64 v17, v17, 0, s[6:7]
	v_add_u32_e32 v16, v16, v17
	s_nop 1
	v_mov_b32_dpp v17, v16 row_bcast:31 row_mask:0xf bank_mask:0xf
	v_cndmask_b32_e64 v17, 0, v17, s[18:19]
	v_add_u32_e32 v16, v16, v17
	s_and_saveexec_b64 s[16:17], s[4:5]
	s_cbranch_execz .LBB402_39
; %bb.38:
	v_lshlrev_b32_e32 v17, 2, v36
	ds_write_b32 v17, v16
.LBB402_39:
	s_or_b64 exec, exec, s[16:17]
	v_cmp_gt_u32_e32 vcc, 8, v0
	s_waitcnt lgkmcnt(0)
	s_barrier
	s_and_saveexec_b64 s[16:17], vcc
	s_cbranch_execz .LBB402_41
; %bb.40:
	v_lshlrev_b32_e32 v17, 2, v0
	ds_read_b32 v20, v17
	v_and_b32_e32 v21, 7, v34
	v_cmp_ne_u32_e32 vcc, 0, v21
	s_waitcnt lgkmcnt(0)
	v_mov_b32_dpp v22, v20 row_shr:1 row_mask:0xf bank_mask:0xf
	v_cndmask_b32_e32 v22, 0, v22, vcc
	v_add_u32_e32 v20, v22, v20
	v_cmp_lt_u32_e32 vcc, 1, v21
	s_nop 0
	v_mov_b32_dpp v22, v20 row_shr:2 row_mask:0xf bank_mask:0xf
	v_cndmask_b32_e32 v22, 0, v22, vcc
	v_add_u32_e32 v20, v20, v22
	v_cmp_lt_u32_e32 vcc, 3, v21
	s_nop 0
	v_mov_b32_dpp v22, v20 row_shr:4 row_mask:0xf bank_mask:0xf
	v_cndmask_b32_e32 v21, 0, v22, vcc
	v_add_u32_e32 v20, v20, v21
	ds_write_b32 v17, v20
.LBB402_41:
	s_or_b64 exec, exec, s[16:17]
	v_cmp_gt_u32_e32 vcc, 64, v0
	v_cmp_lt_u32_e64 s[16:17], 63, v0
	s_waitcnt lgkmcnt(0)
	s_barrier
	s_waitcnt lgkmcnt(0)
                                        ; implicit-def: $vgpr38
	s_and_saveexec_b64 s[36:37], s[16:17]
	s_cbranch_execz .LBB402_43
; %bb.42:
	v_lshl_add_u32 v17, v36, 2, -4
	ds_read_b32 v38, v17
	s_waitcnt lgkmcnt(0)
	v_add_u32_e32 v16, v38, v16
.LBB402_43:
	s_or_b64 exec, exec, s[36:37]
	v_add_u32_e32 v17, -1, v34
	v_and_b32_e32 v20, 64, v34
	v_cmp_lt_i32_e64 s[16:17], v17, v20
	s_nop 1
	v_cndmask_b32_e64 v17, v17, v34, s[16:17]
	v_lshlrev_b32_e32 v17, 2, v17
	ds_bpermute_b32 v39, v17, v16
	v_cmp_eq_u32_e64 s[16:17], 0, v34
	s_and_saveexec_b64 s[36:37], vcc
	s_cbranch_execz .LBB402_66
; %bb.44:
	v_mov_b32_e32 v27, 0
	ds_read_b32 v16, v27 offset:28
	s_and_saveexec_b64 s[38:39], s[16:17]
	s_cbranch_execz .LBB402_46
; %bb.45:
	s_add_i32 s40, s2, 64
	s_mov_b32 s41, 0
	s_lshl_b64 s[40:41], s[40:41], 3
	s_add_u32 s40, s34, s40
	v_mov_b32_e32 v17, 1
	s_addc_u32 s41, s35, s41
	s_waitcnt lgkmcnt(0)
	global_store_dwordx2 v27, v[16:17], s[40:41] sc1
.LBB402_46:
	s_or_b64 exec, exec, s[38:39]
	v_xad_u32 v20, v34, -1, s2
	v_add_u32_e32 v26, 64, v20
	v_lshl_add_u64 v[22:23], v[26:27], 3, s[34:35]
	global_load_dwordx2 v[24:25], v[22:23], off sc1
	s_waitcnt vmcnt(0)
	v_cmp_eq_u16_sdwa s[40:41], v25, v27 src0_sel:BYTE_0 src1_sel:DWORD
	s_and_saveexec_b64 s[38:39], s[40:41]
	s_cbranch_execz .LBB402_52
; %bb.47:
	s_mov_b32 s3, 1
	s_mov_b64 s[40:41], 0
	v_mov_b32_e32 v17, 0
.LBB402_48:                             ; =>This Loop Header: Depth=1
                                        ;     Child Loop BB402_49 Depth 2
	s_max_u32 s42, s3, 1
.LBB402_49:                             ;   Parent Loop BB402_48 Depth=1
                                        ; =>  This Inner Loop Header: Depth=2
	s_add_i32 s42, s42, -1
	s_cmp_eq_u32 s42, 0
	s_sleep 1
	s_cbranch_scc0 .LBB402_49
; %bb.50:                               ;   in Loop: Header=BB402_48 Depth=1
	global_load_dwordx2 v[24:25], v[22:23], off sc1
	s_cmp_lt_u32 s3, 32
	s_cselect_b64 s[42:43], -1, 0
	s_cmp_lg_u64 s[42:43], 0
	s_addc_u32 s3, s3, 0
	s_waitcnt vmcnt(0)
	v_cmp_ne_u16_sdwa s[42:43], v25, v17 src0_sel:BYTE_0 src1_sel:DWORD
	s_or_b64 s[40:41], s[42:43], s[40:41]
	s_andn2_b64 exec, exec, s[40:41]
	s_cbranch_execnz .LBB402_48
; %bb.51:
	s_or_b64 exec, exec, s[40:41]
.LBB402_52:
	s_or_b64 exec, exec, s[38:39]
	v_and_b32_e32 v41, 63, v34
	v_mov_b32_e32 v40, 2
	v_cmp_ne_u32_e32 vcc, 63, v41
	v_cmp_eq_u16_sdwa s[38:39], v25, v40 src0_sel:BYTE_0 src1_sel:DWORD
	v_lshlrev_b64 v[22:23], v34, -1
	v_addc_co_u32_e32 v26, vcc, 0, v34, vcc
	v_and_b32_e32 v17, s39, v23
	v_lshlrev_b32_e32 v42, 2, v26
	v_or_b32_e32 v17, 0x80000000, v17
	ds_bpermute_b32 v26, v42, v24
	v_and_b32_e32 v21, s38, v22
	v_ffbl_b32_e32 v17, v17
	v_add_u32_e32 v17, 32, v17
	v_ffbl_b32_e32 v21, v21
	v_min_u32_e32 v17, v21, v17
	v_cmp_lt_u32_e32 vcc, v41, v17
	v_add_u32_e32 v44, 2, v41
	v_add_u32_e32 v46, 4, v41
	s_waitcnt lgkmcnt(0)
	v_cndmask_b32_e32 v21, 0, v26, vcc
	v_cmp_gt_u32_e32 vcc, 62, v41
	v_add_u32_e32 v21, v21, v24
	v_add_u32_e32 v48, 8, v41
	v_cndmask_b32_e64 v24, 0, 1, vcc
	v_lshlrev_b32_e32 v24, 1, v24
	v_add_lshl_u32 v43, v24, v34, 2
	ds_bpermute_b32 v24, v43, v21
	v_cmp_le_u32_e32 vcc, v44, v17
	v_add_u32_e32 v50, 16, v41
	v_add_u32_e32 v52, 32, v41
	s_waitcnt lgkmcnt(0)
	v_cndmask_b32_e32 v24, 0, v24, vcc
	v_cmp_gt_u32_e32 vcc, 60, v41
	v_add_u32_e32 v21, v21, v24
	s_nop 0
	v_cndmask_b32_e64 v24, 0, 1, vcc
	v_lshlrev_b32_e32 v24, 2, v24
	v_add_lshl_u32 v45, v24, v34, 2
	ds_bpermute_b32 v24, v45, v21
	v_cmp_le_u32_e32 vcc, v46, v17
	s_waitcnt lgkmcnt(0)
	s_nop 0
	v_cndmask_b32_e32 v24, 0, v24, vcc
	v_cmp_gt_u32_e32 vcc, 56, v41
	v_add_u32_e32 v21, v21, v24
	s_nop 0
	v_cndmask_b32_e64 v24, 0, 1, vcc
	v_lshlrev_b32_e32 v24, 3, v24
	v_add_lshl_u32 v47, v24, v34, 2
	ds_bpermute_b32 v24, v47, v21
	v_cmp_le_u32_e32 vcc, v48, v17
	s_waitcnt lgkmcnt(0)
	s_nop 0
	;; [unrolled: 11-line block ×4, first 2 shown]
	v_cndmask_b32_e32 v17, 0, v24, vcc
	v_add_u32_e32 v24, v21, v17
	v_mov_b32_e32 v21, 0
	s_branch .LBB402_54
.LBB402_53:                             ;   in Loop: Header=BB402_54 Depth=1
	s_or_b64 exec, exec, s[38:39]
	v_cmp_eq_u16_sdwa s[38:39], v25, v40 src0_sel:BYTE_0 src1_sel:DWORD
	ds_bpermute_b32 v53, v42, v24
	v_subrev_u32_e32 v20, 64, v20
	v_and_b32_e32 v26, s39, v23
	v_or_b32_e32 v26, 0x80000000, v26
	v_and_b32_e32 v27, s38, v22
	v_ffbl_b32_e32 v26, v26
	v_add_u32_e32 v26, 32, v26
	v_ffbl_b32_e32 v27, v27
	v_min_u32_e32 v26, v27, v26
	v_cmp_lt_u32_e32 vcc, v41, v26
	s_waitcnt lgkmcnt(0)
	s_nop 0
	v_cndmask_b32_e32 v27, 0, v53, vcc
	v_add_u32_e32 v24, v27, v24
	ds_bpermute_b32 v27, v43, v24
	v_cmp_le_u32_e32 vcc, v44, v26
	s_waitcnt lgkmcnt(0)
	s_nop 0
	v_cndmask_b32_e32 v27, 0, v27, vcc
	v_add_u32_e32 v24, v24, v27
	ds_bpermute_b32 v27, v45, v24
	v_cmp_le_u32_e32 vcc, v46, v26
	;; [unrolled: 6-line block ×5, first 2 shown]
	s_waitcnt lgkmcnt(0)
	s_nop 0
	v_cndmask_b32_e32 v26, 0, v27, vcc
	v_add3_u32 v24, v26, v17, v24
.LBB402_54:                             ; =>This Loop Header: Depth=1
                                        ;     Child Loop BB402_57 Depth 2
                                        ;       Child Loop BB402_58 Depth 3
	v_cmp_ne_u16_sdwa s[38:39], v25, v40 src0_sel:BYTE_0 src1_sel:DWORD
	s_nop 1
	v_cndmask_b32_e64 v17, 0, 1, s[38:39]
	;;#ASMSTART
	;;#ASMEND
	s_nop 0
	v_cmp_ne_u32_e32 vcc, 0, v17
	s_cmp_lg_u64 vcc, exec
	v_mov_b32_e32 v17, v24
	s_cbranch_scc1 .LBB402_61
; %bb.55:                               ;   in Loop: Header=BB402_54 Depth=1
	v_lshl_add_u64 v[26:27], v[20:21], 3, s[34:35]
	global_load_dwordx2 v[24:25], v[26:27], off sc1
	s_waitcnt vmcnt(0)
	v_cmp_eq_u16_sdwa s[40:41], v25, v21 src0_sel:BYTE_0 src1_sel:DWORD
	s_and_saveexec_b64 s[38:39], s[40:41]
	s_cbranch_execz .LBB402_53
; %bb.56:                               ;   in Loop: Header=BB402_54 Depth=1
	s_mov_b32 s3, 1
	s_mov_b64 s[40:41], 0
.LBB402_57:                             ;   Parent Loop BB402_54 Depth=1
                                        ; =>  This Loop Header: Depth=2
                                        ;       Child Loop BB402_58 Depth 3
	s_max_u32 s42, s3, 1
.LBB402_58:                             ;   Parent Loop BB402_54 Depth=1
                                        ;     Parent Loop BB402_57 Depth=2
                                        ; =>    This Inner Loop Header: Depth=3
	s_add_i32 s42, s42, -1
	s_cmp_eq_u32 s42, 0
	s_sleep 1
	s_cbranch_scc0 .LBB402_58
; %bb.59:                               ;   in Loop: Header=BB402_57 Depth=2
	global_load_dwordx2 v[24:25], v[26:27], off sc1
	s_cmp_lt_u32 s3, 32
	s_cselect_b64 s[42:43], -1, 0
	s_cmp_lg_u64 s[42:43], 0
	s_addc_u32 s3, s3, 0
	s_waitcnt vmcnt(0)
	v_cmp_ne_u16_sdwa s[42:43], v25, v21 src0_sel:BYTE_0 src1_sel:DWORD
	s_or_b64 s[40:41], s[42:43], s[40:41]
	s_andn2_b64 exec, exec, s[40:41]
	s_cbranch_execnz .LBB402_57
; %bb.60:                               ;   in Loop: Header=BB402_54 Depth=1
	s_or_b64 exec, exec, s[40:41]
	s_branch .LBB402_53
.LBB402_61:                             ;   in Loop: Header=BB402_54 Depth=1
                                        ; implicit-def: $vgpr24
                                        ; implicit-def: $vgpr25
	s_cbranch_execz .LBB402_54
; %bb.62:
	s_and_saveexec_b64 s[38:39], s[16:17]
	s_cbranch_execz .LBB402_64
; %bb.63:
	s_add_i32 s2, s2, 64
	s_mov_b32 s3, 0
	s_lshl_b64 s[2:3], s[2:3], 3
	s_add_u32 s2, s34, s2
	v_add_u32_e32 v20, v17, v16
	v_mov_b32_e32 v21, 2
	s_addc_u32 s3, s35, s3
	v_mov_b32_e32 v22, 0
	global_store_dwordx2 v22, v[20:21], s[2:3] sc1
	ds_write_b64 v22, v[16:17] offset:28672
.LBB402_64:
	s_or_b64 exec, exec, s[38:39]
	v_cmp_eq_u32_e32 vcc, 0, v0
	s_and_b64 exec, exec, vcc
	s_cbranch_execz .LBB402_66
; %bb.65:
	v_mov_b32_e32 v16, 0
	ds_write_b32 v16, v17 offset:28
.LBB402_66:
	s_or_b64 exec, exec, s[36:37]
	v_mov_b32_e32 v16, 0
	s_waitcnt lgkmcnt(0)
	s_barrier
	ds_read_b32 v17, v16 offset:28
	v_cndmask_b32_e64 v20, v39, v38, s[16:17]
	v_cmp_ne_u32_e32 vcc, 0, v0
	s_waitcnt lgkmcnt(0)
	s_barrier
	v_cndmask_b32_e32 v20, 0, v20, vcc
	v_add_u32_e32 v27, v17, v20
	v_add_u32_e32 v26, v27, v33
	ds_read_b64 v[16:17], v16 offset:28672
	v_add_u32_e32 v25, v26, v32
	v_add_u32_e32 v23, v25, v31
	;; [unrolled: 1-line block ×5, first 2 shown]
	s_waitcnt lgkmcnt(0)
	v_mov_b32_e32 v20, v17
	s_branch .LBB402_77
.LBB402_67:
                                        ; implicit-def: $vgpr20
                                        ; implicit-def: $vgpr16
                                        ; implicit-def: $vgpr21
                                        ; implicit-def: $vgpr22
                                        ; implicit-def: $vgpr24
                                        ; implicit-def: $vgpr23
                                        ; implicit-def: $vgpr25
                                        ; implicit-def: $vgpr26
                                        ; implicit-def: $vgpr27
	s_cbranch_execz .LBB402_77
; %bb.68:
	s_nop 0
	v_mov_b32_dpp v16, v37 row_shr:1 row_mask:0xf bank_mask:0xf
	v_cndmask_b32_e64 v16, v16, 0, s[14:15]
	v_add_u32_e32 v16, v16, v37
	s_nop 1
	v_mov_b32_dpp v17, v16 row_shr:2 row_mask:0xf bank_mask:0xf
	v_cndmask_b32_e64 v17, 0, v17, s[12:13]
	v_add_u32_e32 v16, v16, v17
	;; [unrolled: 4-line block ×4, first 2 shown]
	s_nop 1
	v_mov_b32_dpp v17, v16 row_bcast:15 row_mask:0xf bank_mask:0xf
	v_cndmask_b32_e64 v17, v17, 0, s[6:7]
	v_add_u32_e32 v16, v16, v17
	s_nop 1
	v_mov_b32_dpp v17, v16 row_bcast:31 row_mask:0xf bank_mask:0xf
	v_cndmask_b32_e64 v17, 0, v17, s[18:19]
	v_add_u32_e32 v16, v16, v17
	s_and_saveexec_b64 s[2:3], s[4:5]
	s_cbranch_execz .LBB402_70
; %bb.69:
	v_lshlrev_b32_e32 v17, 2, v36
	ds_write_b32 v17, v16
.LBB402_70:
	s_or_b64 exec, exec, s[2:3]
	v_cmp_gt_u32_e32 vcc, 8, v0
	s_waitcnt lgkmcnt(0)
	s_barrier
	s_and_saveexec_b64 s[2:3], vcc
	s_cbranch_execz .LBB402_72
; %bb.71:
	v_mad_i32_i24 v17, v0, -3, v35
	ds_read_b32 v20, v17
	v_and_b32_e32 v21, 7, v34
	v_cmp_ne_u32_e32 vcc, 0, v21
	s_waitcnt lgkmcnt(0)
	v_mov_b32_dpp v22, v20 row_shr:1 row_mask:0xf bank_mask:0xf
	v_cndmask_b32_e32 v22, 0, v22, vcc
	v_add_u32_e32 v20, v22, v20
	v_cmp_lt_u32_e32 vcc, 1, v21
	s_nop 0
	v_mov_b32_dpp v22, v20 row_shr:2 row_mask:0xf bank_mask:0xf
	v_cndmask_b32_e32 v22, 0, v22, vcc
	v_add_u32_e32 v20, v20, v22
	v_cmp_lt_u32_e32 vcc, 3, v21
	s_nop 0
	v_mov_b32_dpp v22, v20 row_shr:4 row_mask:0xf bank_mask:0xf
	v_cndmask_b32_e32 v21, 0, v22, vcc
	v_add_u32_e32 v20, v20, v21
	ds_write_b32 v17, v20
.LBB402_72:
	s_or_b64 exec, exec, s[2:3]
	v_cmp_lt_u32_e32 vcc, 63, v0
	v_mov_b32_e32 v17, 0
	v_mov_b32_e32 v20, 0
	s_waitcnt lgkmcnt(0)
	s_barrier
	s_and_saveexec_b64 s[2:3], vcc
	s_cbranch_execz .LBB402_74
; %bb.73:
	v_lshl_add_u32 v20, v36, 2, -4
	ds_read_b32 v20, v20
.LBB402_74:
	s_or_b64 exec, exec, s[2:3]
	v_add_u32_e32 v21, -1, v34
	v_and_b32_e32 v22, 64, v34
	v_cmp_lt_i32_e32 vcc, v21, v22
	s_waitcnt lgkmcnt(0)
	v_add_u32_e32 v16, v20, v16
	v_cndmask_b32_e32 v21, v21, v34, vcc
	v_lshlrev_b32_e32 v21, 2, v21
	ds_bpermute_b32 v21, v21, v16
	ds_read_b32 v16, v17 offset:28
	v_cmp_eq_u32_e32 vcc, 0, v0
	s_and_saveexec_b64 s[2:3], vcc
	s_cbranch_execz .LBB402_76
; %bb.75:
	v_mov_b32_e32 v22, 0
	v_mov_b32_e32 v17, 2
	s_waitcnt lgkmcnt(0)
	global_store_dwordx2 v22, v[16:17], s[34:35] offset:512 sc1
.LBB402_76:
	s_or_b64 exec, exec, s[2:3]
	v_cmp_eq_u32_e64 s[2:3], 0, v34
	s_waitcnt lgkmcnt(0)
	s_barrier
	v_cndmask_b32_e64 v17, v21, v20, s[2:3]
	v_cndmask_b32_e64 v27, v17, 0, vcc
	v_add_u32_e32 v26, v27, v33
	v_add_u32_e32 v25, v26, v32
	;; [unrolled: 1-line block ×5, first 2 shown]
	v_mov_b32_e32 v20, 0
	v_add_u32_e32 v21, v22, v28
.LBB402_77:
	v_add_u32_e32 v1, v16, v1
	v_sub_u32_e32 v17, v27, v20
	v_sub_u32_e32 v27, v1, v17
	v_cmp_eq_u32_e32 vcc, 1, v33
	s_load_dwordx4 s[0:3], s[0:1], 0x30
	s_nop 0
	v_cndmask_b32_e32 v17, v27, v17, vcc
	v_lshlrev_b32_e32 v17, 3, v17
	ds_write_b64 v17, v[10:11]
	v_sub_u32_e32 v10, v26, v20
	v_sub_u32_e32 v11, v1, v10
	v_add_u32_e32 v11, 1, v11
	v_cmp_eq_u32_e32 vcc, 1, v32
	v_or_b32_e32 v32, 0x200, v0
	s_nop 0
	v_cndmask_b32_e32 v10, v11, v10, vcc
	v_lshlrev_b32_e32 v10, 3, v10
	ds_write_b64 v10, v[12:13]
	v_sub_u32_e32 v10, v25, v20
	v_sub_u32_e32 v11, v1, v10
	v_add_u32_e32 v11, 2, v11
	v_cmp_eq_u32_e32 vcc, 1, v31
	v_or_b32_e32 v31, 0x400, v0
	;; [unrolled: 9-line block ×5, first 2 shown]
	s_nop 0
	v_cndmask_b32_e32 v2, v3, v2, vcc
	v_lshlrev_b32_e32 v2, 3, v2
	ds_write_b64 v2, v[4:5]
	v_sub_u32_e32 v2, v21, v20
	v_sub_u32_e32 v1, v1, v2
	v_add_u32_e32 v1, 6, v1
	v_cmp_eq_u32_e32 vcc, 1, v19
	v_mov_b32_e32 v21, 0
	v_lshl_add_u64 v[26:27], s[28:29], 0, v[20:21]
	v_cndmask_b32_e32 v1, v1, v2, vcc
	v_lshlrev_b32_e32 v1, 3, v1
	v_mov_b32_e32 v17, v21
	ds_write_b64 v1, v[14:15]
	v_lshl_add_u64 v[14:15], v[26:27], 0, v[16:17]
	s_waitcnt lgkmcnt(0)
	s_barrier
	ds_read2st64_b64 v[10:13], v18 offset1:8
	ds_read2st64_b64 v[6:9], v18 offset0:16 offset1:24
	ds_read2st64_b64 v[2:5], v18 offset0:32 offset1:40
	ds_read_b64 v[22:23], v18 offset:24576
	v_mov_b32_e32 v17, s27
	v_sub_co_u32_e32 v24, vcc, s26, v14
	v_lshlrev_b64 v[26:27], 3, v[26:27]
	s_nop 0
	v_subb_co_u32_e32 v25, vcc, v17, v15, vcc
	v_lshlrev_b64 v[24:25], 3, v[24:25]
	v_lshl_add_u64 v[24:25], s[2:3], 0, v[24:25]
	v_or_b32_e32 v1, 0xc00, v0
	v_lshl_add_u64 v[24:25], v[24:25], 0, s[30:31]
	s_andn2_b64 vcc, exec, s[24:25]
	v_lshl_add_u64 v[26:27], s[0:1], 0, v[26:27]
	s_cbranch_vccnz .LBB402_79
; %bb.78:
	v_cmp_lt_u32_e32 vcc, v0, v16
	v_mov_b32_e32 v19, v21
	v_lshlrev_b32_e32 v20, 3, v32
	v_cndmask_b32_e32 v35, v25, v27, vcc
	v_cndmask_b32_e32 v34, v24, v26, vcc
	v_lshl_add_u64 v[34:35], v[34:35], 0, v[18:19]
	v_cmp_lt_u32_e32 vcc, v32, v16
	s_waitcnt lgkmcnt(3)
	global_store_dwordx2 v[34:35], v[10:11], off
	v_cndmask_b32_e32 v35, v25, v27, vcc
	v_cndmask_b32_e32 v34, v24, v26, vcc
	v_lshl_add_u64 v[34:35], v[34:35], 0, v[20:21]
	v_cmp_lt_u32_e32 vcc, v31, v16
	global_store_dwordx2 v[34:35], v[12:13], off
	v_lshlrev_b32_e32 v20, 3, v31
	v_cndmask_b32_e32 v35, v25, v27, vcc
	v_cndmask_b32_e32 v34, v24, v26, vcc
	v_lshl_add_u64 v[34:35], v[34:35], 0, v[20:21]
	v_cmp_lt_u32_e32 vcc, v30, v16
	s_waitcnt lgkmcnt(2)
	global_store_dwordx2 v[34:35], v[6:7], off
	v_lshlrev_b32_e32 v20, 3, v30
	v_cndmask_b32_e32 v35, v25, v27, vcc
	v_cndmask_b32_e32 v34, v24, v26, vcc
	v_lshl_add_u64 v[34:35], v[34:35], 0, v[20:21]
	v_cmp_lt_u32_e32 vcc, v29, v16
	global_store_dwordx2 v[34:35], v[8:9], off
	v_lshlrev_b32_e32 v20, 3, v29
	v_cndmask_b32_e32 v35, v25, v27, vcc
	v_cndmask_b32_e32 v34, v24, v26, vcc
	v_lshl_add_u64 v[34:35], v[34:35], 0, v[20:21]
	v_cmp_lt_u32_e32 vcc, v28, v16
	s_waitcnt lgkmcnt(1)
	global_store_dwordx2 v[34:35], v[2:3], off
	v_lshlrev_b32_e32 v20, 3, v28
	v_cndmask_b32_e32 v35, v25, v27, vcc
	v_cndmask_b32_e32 v34, v24, v26, vcc
	v_lshl_add_u64 v[20:21], v[34:35], 0, v[20:21]
	s_mov_b64 s[0:1], -1
	global_store_dwordx2 v[20:21], v[4:5], off
	s_cbranch_execz .LBB402_80
	s_branch .LBB402_88
.LBB402_79:
	s_mov_b64 s[0:1], 0
.LBB402_80:
	v_cmp_gt_u32_e32 vcc, s33, v0
	s_and_saveexec_b64 s[0:1], vcc
	s_cbranch_execnz .LBB402_93
; %bb.81:
	s_or_b64 exec, exec, s[0:1]
	v_cmp_gt_u32_e32 vcc, s33, v32
	s_and_saveexec_b64 s[0:1], vcc
	s_cbranch_execnz .LBB402_94
.LBB402_82:
	s_or_b64 exec, exec, s[0:1]
	v_cmp_gt_u32_e32 vcc, s33, v31
	s_and_saveexec_b64 s[0:1], vcc
	s_cbranch_execnz .LBB402_95
.LBB402_83:
	s_or_b64 exec, exec, s[0:1]
	v_cmp_gt_u32_e32 vcc, s33, v30
	s_and_saveexec_b64 s[0:1], vcc
	s_cbranch_execnz .LBB402_96
.LBB402_84:
	s_or_b64 exec, exec, s[0:1]
	v_cmp_gt_u32_e32 vcc, s33, v29
	s_and_saveexec_b64 s[0:1], vcc
	s_cbranch_execnz .LBB402_97
.LBB402_85:
	s_or_b64 exec, exec, s[0:1]
	v_cmp_gt_u32_e32 vcc, s33, v28
	s_and_saveexec_b64 s[0:1], vcc
	s_cbranch_execz .LBB402_87
.LBB402_86:
	v_cmp_lt_u32_e32 vcc, v28, v16
	s_waitcnt lgkmcnt(2)
	v_lshlrev_b32_e32 v6, 3, v28
	v_mov_b32_e32 v7, 0
	s_waitcnt lgkmcnt(1)
	v_cndmask_b32_e32 v3, v25, v27, vcc
	v_cndmask_b32_e32 v2, v24, v26, vcc
	v_lshl_add_u64 v[2:3], v[2:3], 0, v[6:7]
	global_store_dwordx2 v[2:3], v[4:5], off
.LBB402_87:
	s_or_b64 exec, exec, s[0:1]
	v_cmp_gt_u32_e64 s[0:1], s33, v1
.LBB402_88:
	s_and_saveexec_b64 s[2:3], s[0:1]
	s_cbranch_execz .LBB402_90
; %bb.89:
	v_cmp_lt_u32_e32 vcc, v1, v16
	s_waitcnt lgkmcnt(1)
	v_lshlrev_b32_e32 v4, 3, v1
	v_mov_b32_e32 v5, 0
	v_cndmask_b32_e32 v3, v25, v27, vcc
	v_cndmask_b32_e32 v2, v24, v26, vcc
	v_lshl_add_u64 v[2:3], v[2:3], 0, v[4:5]
	s_waitcnt lgkmcnt(0)
	global_store_dwordx2 v[2:3], v[22:23], off
.LBB402_90:
	s_or_b64 exec, exec, s[2:3]
	v_cmp_eq_u32_e32 vcc, 0, v0
	s_and_b64 s[0:1], vcc, s[22:23]
	s_and_saveexec_b64 s[2:3], s[0:1]
	s_cbranch_execz .LBB402_92
; %bb.91:
	v_mov_b32_e32 v0, 0
	global_store_dwordx2 v0, v[14:15], s[20:21]
.LBB402_92:
	s_endpgm
.LBB402_93:
	v_cmp_lt_u32_e32 vcc, v0, v16
	v_mov_b32_e32 v19, 0
	s_nop 0
	v_cndmask_b32_e32 v21, v25, v27, vcc
	v_cndmask_b32_e32 v20, v24, v26, vcc
	v_lshl_add_u64 v[18:19], v[20:21], 0, v[18:19]
	s_waitcnt lgkmcnt(3)
	global_store_dwordx2 v[18:19], v[10:11], off
	s_or_b64 exec, exec, s[0:1]
	v_cmp_gt_u32_e32 vcc, s33, v32
	s_and_saveexec_b64 s[0:1], vcc
	s_cbranch_execz .LBB402_82
.LBB402_94:
	v_cmp_lt_u32_e32 vcc, v32, v16
	v_lshlrev_b32_e32 v18, 3, v32
	v_mov_b32_e32 v19, 0
	s_waitcnt lgkmcnt(3)
	v_cndmask_b32_e32 v11, v25, v27, vcc
	v_cndmask_b32_e32 v10, v24, v26, vcc
	v_lshl_add_u64 v[10:11], v[10:11], 0, v[18:19]
	global_store_dwordx2 v[10:11], v[12:13], off
	s_or_b64 exec, exec, s[0:1]
	v_cmp_gt_u32_e32 vcc, s33, v31
	s_and_saveexec_b64 s[0:1], vcc
	s_cbranch_execz .LBB402_83
.LBB402_95:
	v_cmp_lt_u32_e32 vcc, v31, v16
	s_waitcnt lgkmcnt(3)
	v_lshlrev_b32_e32 v12, 3, v31
	v_mov_b32_e32 v13, 0
	v_cndmask_b32_e32 v11, v25, v27, vcc
	v_cndmask_b32_e32 v10, v24, v26, vcc
	v_lshl_add_u64 v[10:11], v[10:11], 0, v[12:13]
	s_waitcnt lgkmcnt(2)
	global_store_dwordx2 v[10:11], v[6:7], off
	s_or_b64 exec, exec, s[0:1]
	v_cmp_gt_u32_e32 vcc, s33, v30
	s_and_saveexec_b64 s[0:1], vcc
	s_cbranch_execz .LBB402_84
.LBB402_96:
	v_cmp_lt_u32_e32 vcc, v30, v16
	s_waitcnt lgkmcnt(3)
	v_lshlrev_b32_e32 v10, 3, v30
	v_mov_b32_e32 v11, 0
	s_waitcnt lgkmcnt(2)
	v_cndmask_b32_e32 v7, v25, v27, vcc
	v_cndmask_b32_e32 v6, v24, v26, vcc
	v_lshl_add_u64 v[6:7], v[6:7], 0, v[10:11]
	global_store_dwordx2 v[6:7], v[8:9], off
	s_or_b64 exec, exec, s[0:1]
	v_cmp_gt_u32_e32 vcc, s33, v29
	s_and_saveexec_b64 s[0:1], vcc
	s_cbranch_execz .LBB402_85
.LBB402_97:
	v_cmp_lt_u32_e32 vcc, v29, v16
	s_waitcnt lgkmcnt(2)
	v_lshlrev_b32_e32 v8, 3, v29
	v_mov_b32_e32 v9, 0
	v_cndmask_b32_e32 v7, v25, v27, vcc
	v_cndmask_b32_e32 v6, v24, v26, vcc
	v_lshl_add_u64 v[6:7], v[6:7], 0, v[8:9]
	s_waitcnt lgkmcnt(1)
	global_store_dwordx2 v[6:7], v[2:3], off
	s_or_b64 exec, exec, s[0:1]
	v_cmp_gt_u32_e32 vcc, s33, v28
	s_and_saveexec_b64 s[0:1], vcc
	s_cbranch_execnz .LBB402_86
	s_branch .LBB402_87
	.section	.rodata,"a",@progbits
	.p2align	6, 0x0
	.amdhsa_kernel _ZN7rocprim17ROCPRIM_400000_NS6detail17trampoline_kernelINS0_14default_configENS1_25partition_config_selectorILNS1_17partition_subalgoE1ExNS0_10empty_typeEbEEZZNS1_14partition_implILS5_1ELb0ES3_jN6thrust23THRUST_200600_302600_NS6detail15normal_iteratorINSA_10device_ptrIxEEEEPS6_NSA_18transform_iteratorI7is_evenIxESF_NSA_11use_defaultESK_EENS0_5tupleIJSF_SF_EEENSM_IJSG_SG_EEES6_PlJS6_EEE10hipError_tPvRmT3_T4_T5_T6_T7_T9_mT8_P12ihipStream_tbDpT10_ENKUlT_T0_E_clISt17integral_constantIbLb1EES18_IbLb0EEEEDaS14_S15_EUlS14_E_NS1_11comp_targetILNS1_3genE5ELNS1_11target_archE942ELNS1_3gpuE9ELNS1_3repE0EEENS1_30default_config_static_selectorELNS0_4arch9wavefront6targetE1EEEvT1_
		.amdhsa_group_segment_fixed_size 28680
		.amdhsa_private_segment_fixed_size 0
		.amdhsa_kernarg_size 128
		.amdhsa_user_sgpr_count 2
		.amdhsa_user_sgpr_dispatch_ptr 0
		.amdhsa_user_sgpr_queue_ptr 0
		.amdhsa_user_sgpr_kernarg_segment_ptr 1
		.amdhsa_user_sgpr_dispatch_id 0
		.amdhsa_user_sgpr_kernarg_preload_length 0
		.amdhsa_user_sgpr_kernarg_preload_offset 0
		.amdhsa_user_sgpr_private_segment_size 0
		.amdhsa_uses_dynamic_stack 0
		.amdhsa_enable_private_segment 0
		.amdhsa_system_sgpr_workgroup_id_x 1
		.amdhsa_system_sgpr_workgroup_id_y 0
		.amdhsa_system_sgpr_workgroup_id_z 0
		.amdhsa_system_sgpr_workgroup_info 0
		.amdhsa_system_vgpr_workitem_id 0
		.amdhsa_next_free_vgpr 54
		.amdhsa_next_free_sgpr 44
		.amdhsa_accum_offset 56
		.amdhsa_reserve_vcc 1
		.amdhsa_float_round_mode_32 0
		.amdhsa_float_round_mode_16_64 0
		.amdhsa_float_denorm_mode_32 3
		.amdhsa_float_denorm_mode_16_64 3
		.amdhsa_dx10_clamp 1
		.amdhsa_ieee_mode 1
		.amdhsa_fp16_overflow 0
		.amdhsa_tg_split 0
		.amdhsa_exception_fp_ieee_invalid_op 0
		.amdhsa_exception_fp_denorm_src 0
		.amdhsa_exception_fp_ieee_div_zero 0
		.amdhsa_exception_fp_ieee_overflow 0
		.amdhsa_exception_fp_ieee_underflow 0
		.amdhsa_exception_fp_ieee_inexact 0
		.amdhsa_exception_int_div_zero 0
	.end_amdhsa_kernel
	.section	.text._ZN7rocprim17ROCPRIM_400000_NS6detail17trampoline_kernelINS0_14default_configENS1_25partition_config_selectorILNS1_17partition_subalgoE1ExNS0_10empty_typeEbEEZZNS1_14partition_implILS5_1ELb0ES3_jN6thrust23THRUST_200600_302600_NS6detail15normal_iteratorINSA_10device_ptrIxEEEEPS6_NSA_18transform_iteratorI7is_evenIxESF_NSA_11use_defaultESK_EENS0_5tupleIJSF_SF_EEENSM_IJSG_SG_EEES6_PlJS6_EEE10hipError_tPvRmT3_T4_T5_T6_T7_T9_mT8_P12ihipStream_tbDpT10_ENKUlT_T0_E_clISt17integral_constantIbLb1EES18_IbLb0EEEEDaS14_S15_EUlS14_E_NS1_11comp_targetILNS1_3genE5ELNS1_11target_archE942ELNS1_3gpuE9ELNS1_3repE0EEENS1_30default_config_static_selectorELNS0_4arch9wavefront6targetE1EEEvT1_,"axG",@progbits,_ZN7rocprim17ROCPRIM_400000_NS6detail17trampoline_kernelINS0_14default_configENS1_25partition_config_selectorILNS1_17partition_subalgoE1ExNS0_10empty_typeEbEEZZNS1_14partition_implILS5_1ELb0ES3_jN6thrust23THRUST_200600_302600_NS6detail15normal_iteratorINSA_10device_ptrIxEEEEPS6_NSA_18transform_iteratorI7is_evenIxESF_NSA_11use_defaultESK_EENS0_5tupleIJSF_SF_EEENSM_IJSG_SG_EEES6_PlJS6_EEE10hipError_tPvRmT3_T4_T5_T6_T7_T9_mT8_P12ihipStream_tbDpT10_ENKUlT_T0_E_clISt17integral_constantIbLb1EES18_IbLb0EEEEDaS14_S15_EUlS14_E_NS1_11comp_targetILNS1_3genE5ELNS1_11target_archE942ELNS1_3gpuE9ELNS1_3repE0EEENS1_30default_config_static_selectorELNS0_4arch9wavefront6targetE1EEEvT1_,comdat
.Lfunc_end402:
	.size	_ZN7rocprim17ROCPRIM_400000_NS6detail17trampoline_kernelINS0_14default_configENS1_25partition_config_selectorILNS1_17partition_subalgoE1ExNS0_10empty_typeEbEEZZNS1_14partition_implILS5_1ELb0ES3_jN6thrust23THRUST_200600_302600_NS6detail15normal_iteratorINSA_10device_ptrIxEEEEPS6_NSA_18transform_iteratorI7is_evenIxESF_NSA_11use_defaultESK_EENS0_5tupleIJSF_SF_EEENSM_IJSG_SG_EEES6_PlJS6_EEE10hipError_tPvRmT3_T4_T5_T6_T7_T9_mT8_P12ihipStream_tbDpT10_ENKUlT_T0_E_clISt17integral_constantIbLb1EES18_IbLb0EEEEDaS14_S15_EUlS14_E_NS1_11comp_targetILNS1_3genE5ELNS1_11target_archE942ELNS1_3gpuE9ELNS1_3repE0EEENS1_30default_config_static_selectorELNS0_4arch9wavefront6targetE1EEEvT1_, .Lfunc_end402-_ZN7rocprim17ROCPRIM_400000_NS6detail17trampoline_kernelINS0_14default_configENS1_25partition_config_selectorILNS1_17partition_subalgoE1ExNS0_10empty_typeEbEEZZNS1_14partition_implILS5_1ELb0ES3_jN6thrust23THRUST_200600_302600_NS6detail15normal_iteratorINSA_10device_ptrIxEEEEPS6_NSA_18transform_iteratorI7is_evenIxESF_NSA_11use_defaultESK_EENS0_5tupleIJSF_SF_EEENSM_IJSG_SG_EEES6_PlJS6_EEE10hipError_tPvRmT3_T4_T5_T6_T7_T9_mT8_P12ihipStream_tbDpT10_ENKUlT_T0_E_clISt17integral_constantIbLb1EES18_IbLb0EEEEDaS14_S15_EUlS14_E_NS1_11comp_targetILNS1_3genE5ELNS1_11target_archE942ELNS1_3gpuE9ELNS1_3repE0EEENS1_30default_config_static_selectorELNS0_4arch9wavefront6targetE1EEEvT1_
                                        ; -- End function
	.section	.AMDGPU.csdata,"",@progbits
; Kernel info:
; codeLenInByte = 5040
; NumSgprs: 50
; NumVgprs: 54
; NumAgprs: 0
; TotalNumVgprs: 54
; ScratchSize: 0
; MemoryBound: 0
; FloatMode: 240
; IeeeMode: 1
; LDSByteSize: 28680 bytes/workgroup (compile time only)
; SGPRBlocks: 6
; VGPRBlocks: 6
; NumSGPRsForWavesPerEU: 50
; NumVGPRsForWavesPerEU: 54
; AccumOffset: 56
; Occupancy: 4
; WaveLimiterHint : 1
; COMPUTE_PGM_RSRC2:SCRATCH_EN: 0
; COMPUTE_PGM_RSRC2:USER_SGPR: 2
; COMPUTE_PGM_RSRC2:TRAP_HANDLER: 0
; COMPUTE_PGM_RSRC2:TGID_X_EN: 1
; COMPUTE_PGM_RSRC2:TGID_Y_EN: 0
; COMPUTE_PGM_RSRC2:TGID_Z_EN: 0
; COMPUTE_PGM_RSRC2:TIDIG_COMP_CNT: 0
; COMPUTE_PGM_RSRC3_GFX90A:ACCUM_OFFSET: 13
; COMPUTE_PGM_RSRC3_GFX90A:TG_SPLIT: 0
	.section	.text._ZN7rocprim17ROCPRIM_400000_NS6detail17trampoline_kernelINS0_14default_configENS1_25partition_config_selectorILNS1_17partition_subalgoE1ExNS0_10empty_typeEbEEZZNS1_14partition_implILS5_1ELb0ES3_jN6thrust23THRUST_200600_302600_NS6detail15normal_iteratorINSA_10device_ptrIxEEEEPS6_NSA_18transform_iteratorI7is_evenIxESF_NSA_11use_defaultESK_EENS0_5tupleIJSF_SF_EEENSM_IJSG_SG_EEES6_PlJS6_EEE10hipError_tPvRmT3_T4_T5_T6_T7_T9_mT8_P12ihipStream_tbDpT10_ENKUlT_T0_E_clISt17integral_constantIbLb1EES18_IbLb0EEEEDaS14_S15_EUlS14_E_NS1_11comp_targetILNS1_3genE4ELNS1_11target_archE910ELNS1_3gpuE8ELNS1_3repE0EEENS1_30default_config_static_selectorELNS0_4arch9wavefront6targetE1EEEvT1_,"axG",@progbits,_ZN7rocprim17ROCPRIM_400000_NS6detail17trampoline_kernelINS0_14default_configENS1_25partition_config_selectorILNS1_17partition_subalgoE1ExNS0_10empty_typeEbEEZZNS1_14partition_implILS5_1ELb0ES3_jN6thrust23THRUST_200600_302600_NS6detail15normal_iteratorINSA_10device_ptrIxEEEEPS6_NSA_18transform_iteratorI7is_evenIxESF_NSA_11use_defaultESK_EENS0_5tupleIJSF_SF_EEENSM_IJSG_SG_EEES6_PlJS6_EEE10hipError_tPvRmT3_T4_T5_T6_T7_T9_mT8_P12ihipStream_tbDpT10_ENKUlT_T0_E_clISt17integral_constantIbLb1EES18_IbLb0EEEEDaS14_S15_EUlS14_E_NS1_11comp_targetILNS1_3genE4ELNS1_11target_archE910ELNS1_3gpuE8ELNS1_3repE0EEENS1_30default_config_static_selectorELNS0_4arch9wavefront6targetE1EEEvT1_,comdat
	.protected	_ZN7rocprim17ROCPRIM_400000_NS6detail17trampoline_kernelINS0_14default_configENS1_25partition_config_selectorILNS1_17partition_subalgoE1ExNS0_10empty_typeEbEEZZNS1_14partition_implILS5_1ELb0ES3_jN6thrust23THRUST_200600_302600_NS6detail15normal_iteratorINSA_10device_ptrIxEEEEPS6_NSA_18transform_iteratorI7is_evenIxESF_NSA_11use_defaultESK_EENS0_5tupleIJSF_SF_EEENSM_IJSG_SG_EEES6_PlJS6_EEE10hipError_tPvRmT3_T4_T5_T6_T7_T9_mT8_P12ihipStream_tbDpT10_ENKUlT_T0_E_clISt17integral_constantIbLb1EES18_IbLb0EEEEDaS14_S15_EUlS14_E_NS1_11comp_targetILNS1_3genE4ELNS1_11target_archE910ELNS1_3gpuE8ELNS1_3repE0EEENS1_30default_config_static_selectorELNS0_4arch9wavefront6targetE1EEEvT1_ ; -- Begin function _ZN7rocprim17ROCPRIM_400000_NS6detail17trampoline_kernelINS0_14default_configENS1_25partition_config_selectorILNS1_17partition_subalgoE1ExNS0_10empty_typeEbEEZZNS1_14partition_implILS5_1ELb0ES3_jN6thrust23THRUST_200600_302600_NS6detail15normal_iteratorINSA_10device_ptrIxEEEEPS6_NSA_18transform_iteratorI7is_evenIxESF_NSA_11use_defaultESK_EENS0_5tupleIJSF_SF_EEENSM_IJSG_SG_EEES6_PlJS6_EEE10hipError_tPvRmT3_T4_T5_T6_T7_T9_mT8_P12ihipStream_tbDpT10_ENKUlT_T0_E_clISt17integral_constantIbLb1EES18_IbLb0EEEEDaS14_S15_EUlS14_E_NS1_11comp_targetILNS1_3genE4ELNS1_11target_archE910ELNS1_3gpuE8ELNS1_3repE0EEENS1_30default_config_static_selectorELNS0_4arch9wavefront6targetE1EEEvT1_
	.globl	_ZN7rocprim17ROCPRIM_400000_NS6detail17trampoline_kernelINS0_14default_configENS1_25partition_config_selectorILNS1_17partition_subalgoE1ExNS0_10empty_typeEbEEZZNS1_14partition_implILS5_1ELb0ES3_jN6thrust23THRUST_200600_302600_NS6detail15normal_iteratorINSA_10device_ptrIxEEEEPS6_NSA_18transform_iteratorI7is_evenIxESF_NSA_11use_defaultESK_EENS0_5tupleIJSF_SF_EEENSM_IJSG_SG_EEES6_PlJS6_EEE10hipError_tPvRmT3_T4_T5_T6_T7_T9_mT8_P12ihipStream_tbDpT10_ENKUlT_T0_E_clISt17integral_constantIbLb1EES18_IbLb0EEEEDaS14_S15_EUlS14_E_NS1_11comp_targetILNS1_3genE4ELNS1_11target_archE910ELNS1_3gpuE8ELNS1_3repE0EEENS1_30default_config_static_selectorELNS0_4arch9wavefront6targetE1EEEvT1_
	.p2align	8
	.type	_ZN7rocprim17ROCPRIM_400000_NS6detail17trampoline_kernelINS0_14default_configENS1_25partition_config_selectorILNS1_17partition_subalgoE1ExNS0_10empty_typeEbEEZZNS1_14partition_implILS5_1ELb0ES3_jN6thrust23THRUST_200600_302600_NS6detail15normal_iteratorINSA_10device_ptrIxEEEEPS6_NSA_18transform_iteratorI7is_evenIxESF_NSA_11use_defaultESK_EENS0_5tupleIJSF_SF_EEENSM_IJSG_SG_EEES6_PlJS6_EEE10hipError_tPvRmT3_T4_T5_T6_T7_T9_mT8_P12ihipStream_tbDpT10_ENKUlT_T0_E_clISt17integral_constantIbLb1EES18_IbLb0EEEEDaS14_S15_EUlS14_E_NS1_11comp_targetILNS1_3genE4ELNS1_11target_archE910ELNS1_3gpuE8ELNS1_3repE0EEENS1_30default_config_static_selectorELNS0_4arch9wavefront6targetE1EEEvT1_,@function
_ZN7rocprim17ROCPRIM_400000_NS6detail17trampoline_kernelINS0_14default_configENS1_25partition_config_selectorILNS1_17partition_subalgoE1ExNS0_10empty_typeEbEEZZNS1_14partition_implILS5_1ELb0ES3_jN6thrust23THRUST_200600_302600_NS6detail15normal_iteratorINSA_10device_ptrIxEEEEPS6_NSA_18transform_iteratorI7is_evenIxESF_NSA_11use_defaultESK_EENS0_5tupleIJSF_SF_EEENSM_IJSG_SG_EEES6_PlJS6_EEE10hipError_tPvRmT3_T4_T5_T6_T7_T9_mT8_P12ihipStream_tbDpT10_ENKUlT_T0_E_clISt17integral_constantIbLb1EES18_IbLb0EEEEDaS14_S15_EUlS14_E_NS1_11comp_targetILNS1_3genE4ELNS1_11target_archE910ELNS1_3gpuE8ELNS1_3repE0EEENS1_30default_config_static_selectorELNS0_4arch9wavefront6targetE1EEEvT1_: ; @_ZN7rocprim17ROCPRIM_400000_NS6detail17trampoline_kernelINS0_14default_configENS1_25partition_config_selectorILNS1_17partition_subalgoE1ExNS0_10empty_typeEbEEZZNS1_14partition_implILS5_1ELb0ES3_jN6thrust23THRUST_200600_302600_NS6detail15normal_iteratorINSA_10device_ptrIxEEEEPS6_NSA_18transform_iteratorI7is_evenIxESF_NSA_11use_defaultESK_EENS0_5tupleIJSF_SF_EEENSM_IJSG_SG_EEES6_PlJS6_EEE10hipError_tPvRmT3_T4_T5_T6_T7_T9_mT8_P12ihipStream_tbDpT10_ENKUlT_T0_E_clISt17integral_constantIbLb1EES18_IbLb0EEEEDaS14_S15_EUlS14_E_NS1_11comp_targetILNS1_3genE4ELNS1_11target_archE910ELNS1_3gpuE8ELNS1_3repE0EEENS1_30default_config_static_selectorELNS0_4arch9wavefront6targetE1EEEvT1_
; %bb.0:
	.section	.rodata,"a",@progbits
	.p2align	6, 0x0
	.amdhsa_kernel _ZN7rocprim17ROCPRIM_400000_NS6detail17trampoline_kernelINS0_14default_configENS1_25partition_config_selectorILNS1_17partition_subalgoE1ExNS0_10empty_typeEbEEZZNS1_14partition_implILS5_1ELb0ES3_jN6thrust23THRUST_200600_302600_NS6detail15normal_iteratorINSA_10device_ptrIxEEEEPS6_NSA_18transform_iteratorI7is_evenIxESF_NSA_11use_defaultESK_EENS0_5tupleIJSF_SF_EEENSM_IJSG_SG_EEES6_PlJS6_EEE10hipError_tPvRmT3_T4_T5_T6_T7_T9_mT8_P12ihipStream_tbDpT10_ENKUlT_T0_E_clISt17integral_constantIbLb1EES18_IbLb0EEEEDaS14_S15_EUlS14_E_NS1_11comp_targetILNS1_3genE4ELNS1_11target_archE910ELNS1_3gpuE8ELNS1_3repE0EEENS1_30default_config_static_selectorELNS0_4arch9wavefront6targetE1EEEvT1_
		.amdhsa_group_segment_fixed_size 0
		.amdhsa_private_segment_fixed_size 0
		.amdhsa_kernarg_size 128
		.amdhsa_user_sgpr_count 2
		.amdhsa_user_sgpr_dispatch_ptr 0
		.amdhsa_user_sgpr_queue_ptr 0
		.amdhsa_user_sgpr_kernarg_segment_ptr 1
		.amdhsa_user_sgpr_dispatch_id 0
		.amdhsa_user_sgpr_kernarg_preload_length 0
		.amdhsa_user_sgpr_kernarg_preload_offset 0
		.amdhsa_user_sgpr_private_segment_size 0
		.amdhsa_uses_dynamic_stack 0
		.amdhsa_enable_private_segment 0
		.amdhsa_system_sgpr_workgroup_id_x 1
		.amdhsa_system_sgpr_workgroup_id_y 0
		.amdhsa_system_sgpr_workgroup_id_z 0
		.amdhsa_system_sgpr_workgroup_info 0
		.amdhsa_system_vgpr_workitem_id 0
		.amdhsa_next_free_vgpr 1
		.amdhsa_next_free_sgpr 0
		.amdhsa_accum_offset 4
		.amdhsa_reserve_vcc 0
		.amdhsa_float_round_mode_32 0
		.amdhsa_float_round_mode_16_64 0
		.amdhsa_float_denorm_mode_32 3
		.amdhsa_float_denorm_mode_16_64 3
		.amdhsa_dx10_clamp 1
		.amdhsa_ieee_mode 1
		.amdhsa_fp16_overflow 0
		.amdhsa_tg_split 0
		.amdhsa_exception_fp_ieee_invalid_op 0
		.amdhsa_exception_fp_denorm_src 0
		.amdhsa_exception_fp_ieee_div_zero 0
		.amdhsa_exception_fp_ieee_overflow 0
		.amdhsa_exception_fp_ieee_underflow 0
		.amdhsa_exception_fp_ieee_inexact 0
		.amdhsa_exception_int_div_zero 0
	.end_amdhsa_kernel
	.section	.text._ZN7rocprim17ROCPRIM_400000_NS6detail17trampoline_kernelINS0_14default_configENS1_25partition_config_selectorILNS1_17partition_subalgoE1ExNS0_10empty_typeEbEEZZNS1_14partition_implILS5_1ELb0ES3_jN6thrust23THRUST_200600_302600_NS6detail15normal_iteratorINSA_10device_ptrIxEEEEPS6_NSA_18transform_iteratorI7is_evenIxESF_NSA_11use_defaultESK_EENS0_5tupleIJSF_SF_EEENSM_IJSG_SG_EEES6_PlJS6_EEE10hipError_tPvRmT3_T4_T5_T6_T7_T9_mT8_P12ihipStream_tbDpT10_ENKUlT_T0_E_clISt17integral_constantIbLb1EES18_IbLb0EEEEDaS14_S15_EUlS14_E_NS1_11comp_targetILNS1_3genE4ELNS1_11target_archE910ELNS1_3gpuE8ELNS1_3repE0EEENS1_30default_config_static_selectorELNS0_4arch9wavefront6targetE1EEEvT1_,"axG",@progbits,_ZN7rocprim17ROCPRIM_400000_NS6detail17trampoline_kernelINS0_14default_configENS1_25partition_config_selectorILNS1_17partition_subalgoE1ExNS0_10empty_typeEbEEZZNS1_14partition_implILS5_1ELb0ES3_jN6thrust23THRUST_200600_302600_NS6detail15normal_iteratorINSA_10device_ptrIxEEEEPS6_NSA_18transform_iteratorI7is_evenIxESF_NSA_11use_defaultESK_EENS0_5tupleIJSF_SF_EEENSM_IJSG_SG_EEES6_PlJS6_EEE10hipError_tPvRmT3_T4_T5_T6_T7_T9_mT8_P12ihipStream_tbDpT10_ENKUlT_T0_E_clISt17integral_constantIbLb1EES18_IbLb0EEEEDaS14_S15_EUlS14_E_NS1_11comp_targetILNS1_3genE4ELNS1_11target_archE910ELNS1_3gpuE8ELNS1_3repE0EEENS1_30default_config_static_selectorELNS0_4arch9wavefront6targetE1EEEvT1_,comdat
.Lfunc_end403:
	.size	_ZN7rocprim17ROCPRIM_400000_NS6detail17trampoline_kernelINS0_14default_configENS1_25partition_config_selectorILNS1_17partition_subalgoE1ExNS0_10empty_typeEbEEZZNS1_14partition_implILS5_1ELb0ES3_jN6thrust23THRUST_200600_302600_NS6detail15normal_iteratorINSA_10device_ptrIxEEEEPS6_NSA_18transform_iteratorI7is_evenIxESF_NSA_11use_defaultESK_EENS0_5tupleIJSF_SF_EEENSM_IJSG_SG_EEES6_PlJS6_EEE10hipError_tPvRmT3_T4_T5_T6_T7_T9_mT8_P12ihipStream_tbDpT10_ENKUlT_T0_E_clISt17integral_constantIbLb1EES18_IbLb0EEEEDaS14_S15_EUlS14_E_NS1_11comp_targetILNS1_3genE4ELNS1_11target_archE910ELNS1_3gpuE8ELNS1_3repE0EEENS1_30default_config_static_selectorELNS0_4arch9wavefront6targetE1EEEvT1_, .Lfunc_end403-_ZN7rocprim17ROCPRIM_400000_NS6detail17trampoline_kernelINS0_14default_configENS1_25partition_config_selectorILNS1_17partition_subalgoE1ExNS0_10empty_typeEbEEZZNS1_14partition_implILS5_1ELb0ES3_jN6thrust23THRUST_200600_302600_NS6detail15normal_iteratorINSA_10device_ptrIxEEEEPS6_NSA_18transform_iteratorI7is_evenIxESF_NSA_11use_defaultESK_EENS0_5tupleIJSF_SF_EEENSM_IJSG_SG_EEES6_PlJS6_EEE10hipError_tPvRmT3_T4_T5_T6_T7_T9_mT8_P12ihipStream_tbDpT10_ENKUlT_T0_E_clISt17integral_constantIbLb1EES18_IbLb0EEEEDaS14_S15_EUlS14_E_NS1_11comp_targetILNS1_3genE4ELNS1_11target_archE910ELNS1_3gpuE8ELNS1_3repE0EEENS1_30default_config_static_selectorELNS0_4arch9wavefront6targetE1EEEvT1_
                                        ; -- End function
	.section	.AMDGPU.csdata,"",@progbits
; Kernel info:
; codeLenInByte = 0
; NumSgprs: 6
; NumVgprs: 0
; NumAgprs: 0
; TotalNumVgprs: 0
; ScratchSize: 0
; MemoryBound: 0
; FloatMode: 240
; IeeeMode: 1
; LDSByteSize: 0 bytes/workgroup (compile time only)
; SGPRBlocks: 0
; VGPRBlocks: 0
; NumSGPRsForWavesPerEU: 6
; NumVGPRsForWavesPerEU: 1
; AccumOffset: 4
; Occupancy: 8
; WaveLimiterHint : 0
; COMPUTE_PGM_RSRC2:SCRATCH_EN: 0
; COMPUTE_PGM_RSRC2:USER_SGPR: 2
; COMPUTE_PGM_RSRC2:TRAP_HANDLER: 0
; COMPUTE_PGM_RSRC2:TGID_X_EN: 1
; COMPUTE_PGM_RSRC2:TGID_Y_EN: 0
; COMPUTE_PGM_RSRC2:TGID_Z_EN: 0
; COMPUTE_PGM_RSRC2:TIDIG_COMP_CNT: 0
; COMPUTE_PGM_RSRC3_GFX90A:ACCUM_OFFSET: 0
; COMPUTE_PGM_RSRC3_GFX90A:TG_SPLIT: 0
	.section	.text._ZN7rocprim17ROCPRIM_400000_NS6detail17trampoline_kernelINS0_14default_configENS1_25partition_config_selectorILNS1_17partition_subalgoE1ExNS0_10empty_typeEbEEZZNS1_14partition_implILS5_1ELb0ES3_jN6thrust23THRUST_200600_302600_NS6detail15normal_iteratorINSA_10device_ptrIxEEEEPS6_NSA_18transform_iteratorI7is_evenIxESF_NSA_11use_defaultESK_EENS0_5tupleIJSF_SF_EEENSM_IJSG_SG_EEES6_PlJS6_EEE10hipError_tPvRmT3_T4_T5_T6_T7_T9_mT8_P12ihipStream_tbDpT10_ENKUlT_T0_E_clISt17integral_constantIbLb1EES18_IbLb0EEEEDaS14_S15_EUlS14_E_NS1_11comp_targetILNS1_3genE3ELNS1_11target_archE908ELNS1_3gpuE7ELNS1_3repE0EEENS1_30default_config_static_selectorELNS0_4arch9wavefront6targetE1EEEvT1_,"axG",@progbits,_ZN7rocprim17ROCPRIM_400000_NS6detail17trampoline_kernelINS0_14default_configENS1_25partition_config_selectorILNS1_17partition_subalgoE1ExNS0_10empty_typeEbEEZZNS1_14partition_implILS5_1ELb0ES3_jN6thrust23THRUST_200600_302600_NS6detail15normal_iteratorINSA_10device_ptrIxEEEEPS6_NSA_18transform_iteratorI7is_evenIxESF_NSA_11use_defaultESK_EENS0_5tupleIJSF_SF_EEENSM_IJSG_SG_EEES6_PlJS6_EEE10hipError_tPvRmT3_T4_T5_T6_T7_T9_mT8_P12ihipStream_tbDpT10_ENKUlT_T0_E_clISt17integral_constantIbLb1EES18_IbLb0EEEEDaS14_S15_EUlS14_E_NS1_11comp_targetILNS1_3genE3ELNS1_11target_archE908ELNS1_3gpuE7ELNS1_3repE0EEENS1_30default_config_static_selectorELNS0_4arch9wavefront6targetE1EEEvT1_,comdat
	.protected	_ZN7rocprim17ROCPRIM_400000_NS6detail17trampoline_kernelINS0_14default_configENS1_25partition_config_selectorILNS1_17partition_subalgoE1ExNS0_10empty_typeEbEEZZNS1_14partition_implILS5_1ELb0ES3_jN6thrust23THRUST_200600_302600_NS6detail15normal_iteratorINSA_10device_ptrIxEEEEPS6_NSA_18transform_iteratorI7is_evenIxESF_NSA_11use_defaultESK_EENS0_5tupleIJSF_SF_EEENSM_IJSG_SG_EEES6_PlJS6_EEE10hipError_tPvRmT3_T4_T5_T6_T7_T9_mT8_P12ihipStream_tbDpT10_ENKUlT_T0_E_clISt17integral_constantIbLb1EES18_IbLb0EEEEDaS14_S15_EUlS14_E_NS1_11comp_targetILNS1_3genE3ELNS1_11target_archE908ELNS1_3gpuE7ELNS1_3repE0EEENS1_30default_config_static_selectorELNS0_4arch9wavefront6targetE1EEEvT1_ ; -- Begin function _ZN7rocprim17ROCPRIM_400000_NS6detail17trampoline_kernelINS0_14default_configENS1_25partition_config_selectorILNS1_17partition_subalgoE1ExNS0_10empty_typeEbEEZZNS1_14partition_implILS5_1ELb0ES3_jN6thrust23THRUST_200600_302600_NS6detail15normal_iteratorINSA_10device_ptrIxEEEEPS6_NSA_18transform_iteratorI7is_evenIxESF_NSA_11use_defaultESK_EENS0_5tupleIJSF_SF_EEENSM_IJSG_SG_EEES6_PlJS6_EEE10hipError_tPvRmT3_T4_T5_T6_T7_T9_mT8_P12ihipStream_tbDpT10_ENKUlT_T0_E_clISt17integral_constantIbLb1EES18_IbLb0EEEEDaS14_S15_EUlS14_E_NS1_11comp_targetILNS1_3genE3ELNS1_11target_archE908ELNS1_3gpuE7ELNS1_3repE0EEENS1_30default_config_static_selectorELNS0_4arch9wavefront6targetE1EEEvT1_
	.globl	_ZN7rocprim17ROCPRIM_400000_NS6detail17trampoline_kernelINS0_14default_configENS1_25partition_config_selectorILNS1_17partition_subalgoE1ExNS0_10empty_typeEbEEZZNS1_14partition_implILS5_1ELb0ES3_jN6thrust23THRUST_200600_302600_NS6detail15normal_iteratorINSA_10device_ptrIxEEEEPS6_NSA_18transform_iteratorI7is_evenIxESF_NSA_11use_defaultESK_EENS0_5tupleIJSF_SF_EEENSM_IJSG_SG_EEES6_PlJS6_EEE10hipError_tPvRmT3_T4_T5_T6_T7_T9_mT8_P12ihipStream_tbDpT10_ENKUlT_T0_E_clISt17integral_constantIbLb1EES18_IbLb0EEEEDaS14_S15_EUlS14_E_NS1_11comp_targetILNS1_3genE3ELNS1_11target_archE908ELNS1_3gpuE7ELNS1_3repE0EEENS1_30default_config_static_selectorELNS0_4arch9wavefront6targetE1EEEvT1_
	.p2align	8
	.type	_ZN7rocprim17ROCPRIM_400000_NS6detail17trampoline_kernelINS0_14default_configENS1_25partition_config_selectorILNS1_17partition_subalgoE1ExNS0_10empty_typeEbEEZZNS1_14partition_implILS5_1ELb0ES3_jN6thrust23THRUST_200600_302600_NS6detail15normal_iteratorINSA_10device_ptrIxEEEEPS6_NSA_18transform_iteratorI7is_evenIxESF_NSA_11use_defaultESK_EENS0_5tupleIJSF_SF_EEENSM_IJSG_SG_EEES6_PlJS6_EEE10hipError_tPvRmT3_T4_T5_T6_T7_T9_mT8_P12ihipStream_tbDpT10_ENKUlT_T0_E_clISt17integral_constantIbLb1EES18_IbLb0EEEEDaS14_S15_EUlS14_E_NS1_11comp_targetILNS1_3genE3ELNS1_11target_archE908ELNS1_3gpuE7ELNS1_3repE0EEENS1_30default_config_static_selectorELNS0_4arch9wavefront6targetE1EEEvT1_,@function
_ZN7rocprim17ROCPRIM_400000_NS6detail17trampoline_kernelINS0_14default_configENS1_25partition_config_selectorILNS1_17partition_subalgoE1ExNS0_10empty_typeEbEEZZNS1_14partition_implILS5_1ELb0ES3_jN6thrust23THRUST_200600_302600_NS6detail15normal_iteratorINSA_10device_ptrIxEEEEPS6_NSA_18transform_iteratorI7is_evenIxESF_NSA_11use_defaultESK_EENS0_5tupleIJSF_SF_EEENSM_IJSG_SG_EEES6_PlJS6_EEE10hipError_tPvRmT3_T4_T5_T6_T7_T9_mT8_P12ihipStream_tbDpT10_ENKUlT_T0_E_clISt17integral_constantIbLb1EES18_IbLb0EEEEDaS14_S15_EUlS14_E_NS1_11comp_targetILNS1_3genE3ELNS1_11target_archE908ELNS1_3gpuE7ELNS1_3repE0EEENS1_30default_config_static_selectorELNS0_4arch9wavefront6targetE1EEEvT1_: ; @_ZN7rocprim17ROCPRIM_400000_NS6detail17trampoline_kernelINS0_14default_configENS1_25partition_config_selectorILNS1_17partition_subalgoE1ExNS0_10empty_typeEbEEZZNS1_14partition_implILS5_1ELb0ES3_jN6thrust23THRUST_200600_302600_NS6detail15normal_iteratorINSA_10device_ptrIxEEEEPS6_NSA_18transform_iteratorI7is_evenIxESF_NSA_11use_defaultESK_EENS0_5tupleIJSF_SF_EEENSM_IJSG_SG_EEES6_PlJS6_EEE10hipError_tPvRmT3_T4_T5_T6_T7_T9_mT8_P12ihipStream_tbDpT10_ENKUlT_T0_E_clISt17integral_constantIbLb1EES18_IbLb0EEEEDaS14_S15_EUlS14_E_NS1_11comp_targetILNS1_3genE3ELNS1_11target_archE908ELNS1_3gpuE7ELNS1_3repE0EEENS1_30default_config_static_selectorELNS0_4arch9wavefront6targetE1EEEvT1_
; %bb.0:
	.section	.rodata,"a",@progbits
	.p2align	6, 0x0
	.amdhsa_kernel _ZN7rocprim17ROCPRIM_400000_NS6detail17trampoline_kernelINS0_14default_configENS1_25partition_config_selectorILNS1_17partition_subalgoE1ExNS0_10empty_typeEbEEZZNS1_14partition_implILS5_1ELb0ES3_jN6thrust23THRUST_200600_302600_NS6detail15normal_iteratorINSA_10device_ptrIxEEEEPS6_NSA_18transform_iteratorI7is_evenIxESF_NSA_11use_defaultESK_EENS0_5tupleIJSF_SF_EEENSM_IJSG_SG_EEES6_PlJS6_EEE10hipError_tPvRmT3_T4_T5_T6_T7_T9_mT8_P12ihipStream_tbDpT10_ENKUlT_T0_E_clISt17integral_constantIbLb1EES18_IbLb0EEEEDaS14_S15_EUlS14_E_NS1_11comp_targetILNS1_3genE3ELNS1_11target_archE908ELNS1_3gpuE7ELNS1_3repE0EEENS1_30default_config_static_selectorELNS0_4arch9wavefront6targetE1EEEvT1_
		.amdhsa_group_segment_fixed_size 0
		.amdhsa_private_segment_fixed_size 0
		.amdhsa_kernarg_size 128
		.amdhsa_user_sgpr_count 2
		.amdhsa_user_sgpr_dispatch_ptr 0
		.amdhsa_user_sgpr_queue_ptr 0
		.amdhsa_user_sgpr_kernarg_segment_ptr 1
		.amdhsa_user_sgpr_dispatch_id 0
		.amdhsa_user_sgpr_kernarg_preload_length 0
		.amdhsa_user_sgpr_kernarg_preload_offset 0
		.amdhsa_user_sgpr_private_segment_size 0
		.amdhsa_uses_dynamic_stack 0
		.amdhsa_enable_private_segment 0
		.amdhsa_system_sgpr_workgroup_id_x 1
		.amdhsa_system_sgpr_workgroup_id_y 0
		.amdhsa_system_sgpr_workgroup_id_z 0
		.amdhsa_system_sgpr_workgroup_info 0
		.amdhsa_system_vgpr_workitem_id 0
		.amdhsa_next_free_vgpr 1
		.amdhsa_next_free_sgpr 0
		.amdhsa_accum_offset 4
		.amdhsa_reserve_vcc 0
		.amdhsa_float_round_mode_32 0
		.amdhsa_float_round_mode_16_64 0
		.amdhsa_float_denorm_mode_32 3
		.amdhsa_float_denorm_mode_16_64 3
		.amdhsa_dx10_clamp 1
		.amdhsa_ieee_mode 1
		.amdhsa_fp16_overflow 0
		.amdhsa_tg_split 0
		.amdhsa_exception_fp_ieee_invalid_op 0
		.amdhsa_exception_fp_denorm_src 0
		.amdhsa_exception_fp_ieee_div_zero 0
		.amdhsa_exception_fp_ieee_overflow 0
		.amdhsa_exception_fp_ieee_underflow 0
		.amdhsa_exception_fp_ieee_inexact 0
		.amdhsa_exception_int_div_zero 0
	.end_amdhsa_kernel
	.section	.text._ZN7rocprim17ROCPRIM_400000_NS6detail17trampoline_kernelINS0_14default_configENS1_25partition_config_selectorILNS1_17partition_subalgoE1ExNS0_10empty_typeEbEEZZNS1_14partition_implILS5_1ELb0ES3_jN6thrust23THRUST_200600_302600_NS6detail15normal_iteratorINSA_10device_ptrIxEEEEPS6_NSA_18transform_iteratorI7is_evenIxESF_NSA_11use_defaultESK_EENS0_5tupleIJSF_SF_EEENSM_IJSG_SG_EEES6_PlJS6_EEE10hipError_tPvRmT3_T4_T5_T6_T7_T9_mT8_P12ihipStream_tbDpT10_ENKUlT_T0_E_clISt17integral_constantIbLb1EES18_IbLb0EEEEDaS14_S15_EUlS14_E_NS1_11comp_targetILNS1_3genE3ELNS1_11target_archE908ELNS1_3gpuE7ELNS1_3repE0EEENS1_30default_config_static_selectorELNS0_4arch9wavefront6targetE1EEEvT1_,"axG",@progbits,_ZN7rocprim17ROCPRIM_400000_NS6detail17trampoline_kernelINS0_14default_configENS1_25partition_config_selectorILNS1_17partition_subalgoE1ExNS0_10empty_typeEbEEZZNS1_14partition_implILS5_1ELb0ES3_jN6thrust23THRUST_200600_302600_NS6detail15normal_iteratorINSA_10device_ptrIxEEEEPS6_NSA_18transform_iteratorI7is_evenIxESF_NSA_11use_defaultESK_EENS0_5tupleIJSF_SF_EEENSM_IJSG_SG_EEES6_PlJS6_EEE10hipError_tPvRmT3_T4_T5_T6_T7_T9_mT8_P12ihipStream_tbDpT10_ENKUlT_T0_E_clISt17integral_constantIbLb1EES18_IbLb0EEEEDaS14_S15_EUlS14_E_NS1_11comp_targetILNS1_3genE3ELNS1_11target_archE908ELNS1_3gpuE7ELNS1_3repE0EEENS1_30default_config_static_selectorELNS0_4arch9wavefront6targetE1EEEvT1_,comdat
.Lfunc_end404:
	.size	_ZN7rocprim17ROCPRIM_400000_NS6detail17trampoline_kernelINS0_14default_configENS1_25partition_config_selectorILNS1_17partition_subalgoE1ExNS0_10empty_typeEbEEZZNS1_14partition_implILS5_1ELb0ES3_jN6thrust23THRUST_200600_302600_NS6detail15normal_iteratorINSA_10device_ptrIxEEEEPS6_NSA_18transform_iteratorI7is_evenIxESF_NSA_11use_defaultESK_EENS0_5tupleIJSF_SF_EEENSM_IJSG_SG_EEES6_PlJS6_EEE10hipError_tPvRmT3_T4_T5_T6_T7_T9_mT8_P12ihipStream_tbDpT10_ENKUlT_T0_E_clISt17integral_constantIbLb1EES18_IbLb0EEEEDaS14_S15_EUlS14_E_NS1_11comp_targetILNS1_3genE3ELNS1_11target_archE908ELNS1_3gpuE7ELNS1_3repE0EEENS1_30default_config_static_selectorELNS0_4arch9wavefront6targetE1EEEvT1_, .Lfunc_end404-_ZN7rocprim17ROCPRIM_400000_NS6detail17trampoline_kernelINS0_14default_configENS1_25partition_config_selectorILNS1_17partition_subalgoE1ExNS0_10empty_typeEbEEZZNS1_14partition_implILS5_1ELb0ES3_jN6thrust23THRUST_200600_302600_NS6detail15normal_iteratorINSA_10device_ptrIxEEEEPS6_NSA_18transform_iteratorI7is_evenIxESF_NSA_11use_defaultESK_EENS0_5tupleIJSF_SF_EEENSM_IJSG_SG_EEES6_PlJS6_EEE10hipError_tPvRmT3_T4_T5_T6_T7_T9_mT8_P12ihipStream_tbDpT10_ENKUlT_T0_E_clISt17integral_constantIbLb1EES18_IbLb0EEEEDaS14_S15_EUlS14_E_NS1_11comp_targetILNS1_3genE3ELNS1_11target_archE908ELNS1_3gpuE7ELNS1_3repE0EEENS1_30default_config_static_selectorELNS0_4arch9wavefront6targetE1EEEvT1_
                                        ; -- End function
	.section	.AMDGPU.csdata,"",@progbits
; Kernel info:
; codeLenInByte = 0
; NumSgprs: 6
; NumVgprs: 0
; NumAgprs: 0
; TotalNumVgprs: 0
; ScratchSize: 0
; MemoryBound: 0
; FloatMode: 240
; IeeeMode: 1
; LDSByteSize: 0 bytes/workgroup (compile time only)
; SGPRBlocks: 0
; VGPRBlocks: 0
; NumSGPRsForWavesPerEU: 6
; NumVGPRsForWavesPerEU: 1
; AccumOffset: 4
; Occupancy: 8
; WaveLimiterHint : 0
; COMPUTE_PGM_RSRC2:SCRATCH_EN: 0
; COMPUTE_PGM_RSRC2:USER_SGPR: 2
; COMPUTE_PGM_RSRC2:TRAP_HANDLER: 0
; COMPUTE_PGM_RSRC2:TGID_X_EN: 1
; COMPUTE_PGM_RSRC2:TGID_Y_EN: 0
; COMPUTE_PGM_RSRC2:TGID_Z_EN: 0
; COMPUTE_PGM_RSRC2:TIDIG_COMP_CNT: 0
; COMPUTE_PGM_RSRC3_GFX90A:ACCUM_OFFSET: 0
; COMPUTE_PGM_RSRC3_GFX90A:TG_SPLIT: 0
	.section	.text._ZN7rocprim17ROCPRIM_400000_NS6detail17trampoline_kernelINS0_14default_configENS1_25partition_config_selectorILNS1_17partition_subalgoE1ExNS0_10empty_typeEbEEZZNS1_14partition_implILS5_1ELb0ES3_jN6thrust23THRUST_200600_302600_NS6detail15normal_iteratorINSA_10device_ptrIxEEEEPS6_NSA_18transform_iteratorI7is_evenIxESF_NSA_11use_defaultESK_EENS0_5tupleIJSF_SF_EEENSM_IJSG_SG_EEES6_PlJS6_EEE10hipError_tPvRmT3_T4_T5_T6_T7_T9_mT8_P12ihipStream_tbDpT10_ENKUlT_T0_E_clISt17integral_constantIbLb1EES18_IbLb0EEEEDaS14_S15_EUlS14_E_NS1_11comp_targetILNS1_3genE2ELNS1_11target_archE906ELNS1_3gpuE6ELNS1_3repE0EEENS1_30default_config_static_selectorELNS0_4arch9wavefront6targetE1EEEvT1_,"axG",@progbits,_ZN7rocprim17ROCPRIM_400000_NS6detail17trampoline_kernelINS0_14default_configENS1_25partition_config_selectorILNS1_17partition_subalgoE1ExNS0_10empty_typeEbEEZZNS1_14partition_implILS5_1ELb0ES3_jN6thrust23THRUST_200600_302600_NS6detail15normal_iteratorINSA_10device_ptrIxEEEEPS6_NSA_18transform_iteratorI7is_evenIxESF_NSA_11use_defaultESK_EENS0_5tupleIJSF_SF_EEENSM_IJSG_SG_EEES6_PlJS6_EEE10hipError_tPvRmT3_T4_T5_T6_T7_T9_mT8_P12ihipStream_tbDpT10_ENKUlT_T0_E_clISt17integral_constantIbLb1EES18_IbLb0EEEEDaS14_S15_EUlS14_E_NS1_11comp_targetILNS1_3genE2ELNS1_11target_archE906ELNS1_3gpuE6ELNS1_3repE0EEENS1_30default_config_static_selectorELNS0_4arch9wavefront6targetE1EEEvT1_,comdat
	.protected	_ZN7rocprim17ROCPRIM_400000_NS6detail17trampoline_kernelINS0_14default_configENS1_25partition_config_selectorILNS1_17partition_subalgoE1ExNS0_10empty_typeEbEEZZNS1_14partition_implILS5_1ELb0ES3_jN6thrust23THRUST_200600_302600_NS6detail15normal_iteratorINSA_10device_ptrIxEEEEPS6_NSA_18transform_iteratorI7is_evenIxESF_NSA_11use_defaultESK_EENS0_5tupleIJSF_SF_EEENSM_IJSG_SG_EEES6_PlJS6_EEE10hipError_tPvRmT3_T4_T5_T6_T7_T9_mT8_P12ihipStream_tbDpT10_ENKUlT_T0_E_clISt17integral_constantIbLb1EES18_IbLb0EEEEDaS14_S15_EUlS14_E_NS1_11comp_targetILNS1_3genE2ELNS1_11target_archE906ELNS1_3gpuE6ELNS1_3repE0EEENS1_30default_config_static_selectorELNS0_4arch9wavefront6targetE1EEEvT1_ ; -- Begin function _ZN7rocprim17ROCPRIM_400000_NS6detail17trampoline_kernelINS0_14default_configENS1_25partition_config_selectorILNS1_17partition_subalgoE1ExNS0_10empty_typeEbEEZZNS1_14partition_implILS5_1ELb0ES3_jN6thrust23THRUST_200600_302600_NS6detail15normal_iteratorINSA_10device_ptrIxEEEEPS6_NSA_18transform_iteratorI7is_evenIxESF_NSA_11use_defaultESK_EENS0_5tupleIJSF_SF_EEENSM_IJSG_SG_EEES6_PlJS6_EEE10hipError_tPvRmT3_T4_T5_T6_T7_T9_mT8_P12ihipStream_tbDpT10_ENKUlT_T0_E_clISt17integral_constantIbLb1EES18_IbLb0EEEEDaS14_S15_EUlS14_E_NS1_11comp_targetILNS1_3genE2ELNS1_11target_archE906ELNS1_3gpuE6ELNS1_3repE0EEENS1_30default_config_static_selectorELNS0_4arch9wavefront6targetE1EEEvT1_
	.globl	_ZN7rocprim17ROCPRIM_400000_NS6detail17trampoline_kernelINS0_14default_configENS1_25partition_config_selectorILNS1_17partition_subalgoE1ExNS0_10empty_typeEbEEZZNS1_14partition_implILS5_1ELb0ES3_jN6thrust23THRUST_200600_302600_NS6detail15normal_iteratorINSA_10device_ptrIxEEEEPS6_NSA_18transform_iteratorI7is_evenIxESF_NSA_11use_defaultESK_EENS0_5tupleIJSF_SF_EEENSM_IJSG_SG_EEES6_PlJS6_EEE10hipError_tPvRmT3_T4_T5_T6_T7_T9_mT8_P12ihipStream_tbDpT10_ENKUlT_T0_E_clISt17integral_constantIbLb1EES18_IbLb0EEEEDaS14_S15_EUlS14_E_NS1_11comp_targetILNS1_3genE2ELNS1_11target_archE906ELNS1_3gpuE6ELNS1_3repE0EEENS1_30default_config_static_selectorELNS0_4arch9wavefront6targetE1EEEvT1_
	.p2align	8
	.type	_ZN7rocprim17ROCPRIM_400000_NS6detail17trampoline_kernelINS0_14default_configENS1_25partition_config_selectorILNS1_17partition_subalgoE1ExNS0_10empty_typeEbEEZZNS1_14partition_implILS5_1ELb0ES3_jN6thrust23THRUST_200600_302600_NS6detail15normal_iteratorINSA_10device_ptrIxEEEEPS6_NSA_18transform_iteratorI7is_evenIxESF_NSA_11use_defaultESK_EENS0_5tupleIJSF_SF_EEENSM_IJSG_SG_EEES6_PlJS6_EEE10hipError_tPvRmT3_T4_T5_T6_T7_T9_mT8_P12ihipStream_tbDpT10_ENKUlT_T0_E_clISt17integral_constantIbLb1EES18_IbLb0EEEEDaS14_S15_EUlS14_E_NS1_11comp_targetILNS1_3genE2ELNS1_11target_archE906ELNS1_3gpuE6ELNS1_3repE0EEENS1_30default_config_static_selectorELNS0_4arch9wavefront6targetE1EEEvT1_,@function
_ZN7rocprim17ROCPRIM_400000_NS6detail17trampoline_kernelINS0_14default_configENS1_25partition_config_selectorILNS1_17partition_subalgoE1ExNS0_10empty_typeEbEEZZNS1_14partition_implILS5_1ELb0ES3_jN6thrust23THRUST_200600_302600_NS6detail15normal_iteratorINSA_10device_ptrIxEEEEPS6_NSA_18transform_iteratorI7is_evenIxESF_NSA_11use_defaultESK_EENS0_5tupleIJSF_SF_EEENSM_IJSG_SG_EEES6_PlJS6_EEE10hipError_tPvRmT3_T4_T5_T6_T7_T9_mT8_P12ihipStream_tbDpT10_ENKUlT_T0_E_clISt17integral_constantIbLb1EES18_IbLb0EEEEDaS14_S15_EUlS14_E_NS1_11comp_targetILNS1_3genE2ELNS1_11target_archE906ELNS1_3gpuE6ELNS1_3repE0EEENS1_30default_config_static_selectorELNS0_4arch9wavefront6targetE1EEEvT1_: ; @_ZN7rocprim17ROCPRIM_400000_NS6detail17trampoline_kernelINS0_14default_configENS1_25partition_config_selectorILNS1_17partition_subalgoE1ExNS0_10empty_typeEbEEZZNS1_14partition_implILS5_1ELb0ES3_jN6thrust23THRUST_200600_302600_NS6detail15normal_iteratorINSA_10device_ptrIxEEEEPS6_NSA_18transform_iteratorI7is_evenIxESF_NSA_11use_defaultESK_EENS0_5tupleIJSF_SF_EEENSM_IJSG_SG_EEES6_PlJS6_EEE10hipError_tPvRmT3_T4_T5_T6_T7_T9_mT8_P12ihipStream_tbDpT10_ENKUlT_T0_E_clISt17integral_constantIbLb1EES18_IbLb0EEEEDaS14_S15_EUlS14_E_NS1_11comp_targetILNS1_3genE2ELNS1_11target_archE906ELNS1_3gpuE6ELNS1_3repE0EEENS1_30default_config_static_selectorELNS0_4arch9wavefront6targetE1EEEvT1_
; %bb.0:
	.section	.rodata,"a",@progbits
	.p2align	6, 0x0
	.amdhsa_kernel _ZN7rocprim17ROCPRIM_400000_NS6detail17trampoline_kernelINS0_14default_configENS1_25partition_config_selectorILNS1_17partition_subalgoE1ExNS0_10empty_typeEbEEZZNS1_14partition_implILS5_1ELb0ES3_jN6thrust23THRUST_200600_302600_NS6detail15normal_iteratorINSA_10device_ptrIxEEEEPS6_NSA_18transform_iteratorI7is_evenIxESF_NSA_11use_defaultESK_EENS0_5tupleIJSF_SF_EEENSM_IJSG_SG_EEES6_PlJS6_EEE10hipError_tPvRmT3_T4_T5_T6_T7_T9_mT8_P12ihipStream_tbDpT10_ENKUlT_T0_E_clISt17integral_constantIbLb1EES18_IbLb0EEEEDaS14_S15_EUlS14_E_NS1_11comp_targetILNS1_3genE2ELNS1_11target_archE906ELNS1_3gpuE6ELNS1_3repE0EEENS1_30default_config_static_selectorELNS0_4arch9wavefront6targetE1EEEvT1_
		.amdhsa_group_segment_fixed_size 0
		.amdhsa_private_segment_fixed_size 0
		.amdhsa_kernarg_size 128
		.amdhsa_user_sgpr_count 2
		.amdhsa_user_sgpr_dispatch_ptr 0
		.amdhsa_user_sgpr_queue_ptr 0
		.amdhsa_user_sgpr_kernarg_segment_ptr 1
		.amdhsa_user_sgpr_dispatch_id 0
		.amdhsa_user_sgpr_kernarg_preload_length 0
		.amdhsa_user_sgpr_kernarg_preload_offset 0
		.amdhsa_user_sgpr_private_segment_size 0
		.amdhsa_uses_dynamic_stack 0
		.amdhsa_enable_private_segment 0
		.amdhsa_system_sgpr_workgroup_id_x 1
		.amdhsa_system_sgpr_workgroup_id_y 0
		.amdhsa_system_sgpr_workgroup_id_z 0
		.amdhsa_system_sgpr_workgroup_info 0
		.amdhsa_system_vgpr_workitem_id 0
		.amdhsa_next_free_vgpr 1
		.amdhsa_next_free_sgpr 0
		.amdhsa_accum_offset 4
		.amdhsa_reserve_vcc 0
		.amdhsa_float_round_mode_32 0
		.amdhsa_float_round_mode_16_64 0
		.amdhsa_float_denorm_mode_32 3
		.amdhsa_float_denorm_mode_16_64 3
		.amdhsa_dx10_clamp 1
		.amdhsa_ieee_mode 1
		.amdhsa_fp16_overflow 0
		.amdhsa_tg_split 0
		.amdhsa_exception_fp_ieee_invalid_op 0
		.amdhsa_exception_fp_denorm_src 0
		.amdhsa_exception_fp_ieee_div_zero 0
		.amdhsa_exception_fp_ieee_overflow 0
		.amdhsa_exception_fp_ieee_underflow 0
		.amdhsa_exception_fp_ieee_inexact 0
		.amdhsa_exception_int_div_zero 0
	.end_amdhsa_kernel
	.section	.text._ZN7rocprim17ROCPRIM_400000_NS6detail17trampoline_kernelINS0_14default_configENS1_25partition_config_selectorILNS1_17partition_subalgoE1ExNS0_10empty_typeEbEEZZNS1_14partition_implILS5_1ELb0ES3_jN6thrust23THRUST_200600_302600_NS6detail15normal_iteratorINSA_10device_ptrIxEEEEPS6_NSA_18transform_iteratorI7is_evenIxESF_NSA_11use_defaultESK_EENS0_5tupleIJSF_SF_EEENSM_IJSG_SG_EEES6_PlJS6_EEE10hipError_tPvRmT3_T4_T5_T6_T7_T9_mT8_P12ihipStream_tbDpT10_ENKUlT_T0_E_clISt17integral_constantIbLb1EES18_IbLb0EEEEDaS14_S15_EUlS14_E_NS1_11comp_targetILNS1_3genE2ELNS1_11target_archE906ELNS1_3gpuE6ELNS1_3repE0EEENS1_30default_config_static_selectorELNS0_4arch9wavefront6targetE1EEEvT1_,"axG",@progbits,_ZN7rocprim17ROCPRIM_400000_NS6detail17trampoline_kernelINS0_14default_configENS1_25partition_config_selectorILNS1_17partition_subalgoE1ExNS0_10empty_typeEbEEZZNS1_14partition_implILS5_1ELb0ES3_jN6thrust23THRUST_200600_302600_NS6detail15normal_iteratorINSA_10device_ptrIxEEEEPS6_NSA_18transform_iteratorI7is_evenIxESF_NSA_11use_defaultESK_EENS0_5tupleIJSF_SF_EEENSM_IJSG_SG_EEES6_PlJS6_EEE10hipError_tPvRmT3_T4_T5_T6_T7_T9_mT8_P12ihipStream_tbDpT10_ENKUlT_T0_E_clISt17integral_constantIbLb1EES18_IbLb0EEEEDaS14_S15_EUlS14_E_NS1_11comp_targetILNS1_3genE2ELNS1_11target_archE906ELNS1_3gpuE6ELNS1_3repE0EEENS1_30default_config_static_selectorELNS0_4arch9wavefront6targetE1EEEvT1_,comdat
.Lfunc_end405:
	.size	_ZN7rocprim17ROCPRIM_400000_NS6detail17trampoline_kernelINS0_14default_configENS1_25partition_config_selectorILNS1_17partition_subalgoE1ExNS0_10empty_typeEbEEZZNS1_14partition_implILS5_1ELb0ES3_jN6thrust23THRUST_200600_302600_NS6detail15normal_iteratorINSA_10device_ptrIxEEEEPS6_NSA_18transform_iteratorI7is_evenIxESF_NSA_11use_defaultESK_EENS0_5tupleIJSF_SF_EEENSM_IJSG_SG_EEES6_PlJS6_EEE10hipError_tPvRmT3_T4_T5_T6_T7_T9_mT8_P12ihipStream_tbDpT10_ENKUlT_T0_E_clISt17integral_constantIbLb1EES18_IbLb0EEEEDaS14_S15_EUlS14_E_NS1_11comp_targetILNS1_3genE2ELNS1_11target_archE906ELNS1_3gpuE6ELNS1_3repE0EEENS1_30default_config_static_selectorELNS0_4arch9wavefront6targetE1EEEvT1_, .Lfunc_end405-_ZN7rocprim17ROCPRIM_400000_NS6detail17trampoline_kernelINS0_14default_configENS1_25partition_config_selectorILNS1_17partition_subalgoE1ExNS0_10empty_typeEbEEZZNS1_14partition_implILS5_1ELb0ES3_jN6thrust23THRUST_200600_302600_NS6detail15normal_iteratorINSA_10device_ptrIxEEEEPS6_NSA_18transform_iteratorI7is_evenIxESF_NSA_11use_defaultESK_EENS0_5tupleIJSF_SF_EEENSM_IJSG_SG_EEES6_PlJS6_EEE10hipError_tPvRmT3_T4_T5_T6_T7_T9_mT8_P12ihipStream_tbDpT10_ENKUlT_T0_E_clISt17integral_constantIbLb1EES18_IbLb0EEEEDaS14_S15_EUlS14_E_NS1_11comp_targetILNS1_3genE2ELNS1_11target_archE906ELNS1_3gpuE6ELNS1_3repE0EEENS1_30default_config_static_selectorELNS0_4arch9wavefront6targetE1EEEvT1_
                                        ; -- End function
	.section	.AMDGPU.csdata,"",@progbits
; Kernel info:
; codeLenInByte = 0
; NumSgprs: 6
; NumVgprs: 0
; NumAgprs: 0
; TotalNumVgprs: 0
; ScratchSize: 0
; MemoryBound: 0
; FloatMode: 240
; IeeeMode: 1
; LDSByteSize: 0 bytes/workgroup (compile time only)
; SGPRBlocks: 0
; VGPRBlocks: 0
; NumSGPRsForWavesPerEU: 6
; NumVGPRsForWavesPerEU: 1
; AccumOffset: 4
; Occupancy: 8
; WaveLimiterHint : 0
; COMPUTE_PGM_RSRC2:SCRATCH_EN: 0
; COMPUTE_PGM_RSRC2:USER_SGPR: 2
; COMPUTE_PGM_RSRC2:TRAP_HANDLER: 0
; COMPUTE_PGM_RSRC2:TGID_X_EN: 1
; COMPUTE_PGM_RSRC2:TGID_Y_EN: 0
; COMPUTE_PGM_RSRC2:TGID_Z_EN: 0
; COMPUTE_PGM_RSRC2:TIDIG_COMP_CNT: 0
; COMPUTE_PGM_RSRC3_GFX90A:ACCUM_OFFSET: 0
; COMPUTE_PGM_RSRC3_GFX90A:TG_SPLIT: 0
	.section	.text._ZN7rocprim17ROCPRIM_400000_NS6detail17trampoline_kernelINS0_14default_configENS1_25partition_config_selectorILNS1_17partition_subalgoE1ExNS0_10empty_typeEbEEZZNS1_14partition_implILS5_1ELb0ES3_jN6thrust23THRUST_200600_302600_NS6detail15normal_iteratorINSA_10device_ptrIxEEEEPS6_NSA_18transform_iteratorI7is_evenIxESF_NSA_11use_defaultESK_EENS0_5tupleIJSF_SF_EEENSM_IJSG_SG_EEES6_PlJS6_EEE10hipError_tPvRmT3_T4_T5_T6_T7_T9_mT8_P12ihipStream_tbDpT10_ENKUlT_T0_E_clISt17integral_constantIbLb1EES18_IbLb0EEEEDaS14_S15_EUlS14_E_NS1_11comp_targetILNS1_3genE10ELNS1_11target_archE1200ELNS1_3gpuE4ELNS1_3repE0EEENS1_30default_config_static_selectorELNS0_4arch9wavefront6targetE1EEEvT1_,"axG",@progbits,_ZN7rocprim17ROCPRIM_400000_NS6detail17trampoline_kernelINS0_14default_configENS1_25partition_config_selectorILNS1_17partition_subalgoE1ExNS0_10empty_typeEbEEZZNS1_14partition_implILS5_1ELb0ES3_jN6thrust23THRUST_200600_302600_NS6detail15normal_iteratorINSA_10device_ptrIxEEEEPS6_NSA_18transform_iteratorI7is_evenIxESF_NSA_11use_defaultESK_EENS0_5tupleIJSF_SF_EEENSM_IJSG_SG_EEES6_PlJS6_EEE10hipError_tPvRmT3_T4_T5_T6_T7_T9_mT8_P12ihipStream_tbDpT10_ENKUlT_T0_E_clISt17integral_constantIbLb1EES18_IbLb0EEEEDaS14_S15_EUlS14_E_NS1_11comp_targetILNS1_3genE10ELNS1_11target_archE1200ELNS1_3gpuE4ELNS1_3repE0EEENS1_30default_config_static_selectorELNS0_4arch9wavefront6targetE1EEEvT1_,comdat
	.protected	_ZN7rocprim17ROCPRIM_400000_NS6detail17trampoline_kernelINS0_14default_configENS1_25partition_config_selectorILNS1_17partition_subalgoE1ExNS0_10empty_typeEbEEZZNS1_14partition_implILS5_1ELb0ES3_jN6thrust23THRUST_200600_302600_NS6detail15normal_iteratorINSA_10device_ptrIxEEEEPS6_NSA_18transform_iteratorI7is_evenIxESF_NSA_11use_defaultESK_EENS0_5tupleIJSF_SF_EEENSM_IJSG_SG_EEES6_PlJS6_EEE10hipError_tPvRmT3_T4_T5_T6_T7_T9_mT8_P12ihipStream_tbDpT10_ENKUlT_T0_E_clISt17integral_constantIbLb1EES18_IbLb0EEEEDaS14_S15_EUlS14_E_NS1_11comp_targetILNS1_3genE10ELNS1_11target_archE1200ELNS1_3gpuE4ELNS1_3repE0EEENS1_30default_config_static_selectorELNS0_4arch9wavefront6targetE1EEEvT1_ ; -- Begin function _ZN7rocprim17ROCPRIM_400000_NS6detail17trampoline_kernelINS0_14default_configENS1_25partition_config_selectorILNS1_17partition_subalgoE1ExNS0_10empty_typeEbEEZZNS1_14partition_implILS5_1ELb0ES3_jN6thrust23THRUST_200600_302600_NS6detail15normal_iteratorINSA_10device_ptrIxEEEEPS6_NSA_18transform_iteratorI7is_evenIxESF_NSA_11use_defaultESK_EENS0_5tupleIJSF_SF_EEENSM_IJSG_SG_EEES6_PlJS6_EEE10hipError_tPvRmT3_T4_T5_T6_T7_T9_mT8_P12ihipStream_tbDpT10_ENKUlT_T0_E_clISt17integral_constantIbLb1EES18_IbLb0EEEEDaS14_S15_EUlS14_E_NS1_11comp_targetILNS1_3genE10ELNS1_11target_archE1200ELNS1_3gpuE4ELNS1_3repE0EEENS1_30default_config_static_selectorELNS0_4arch9wavefront6targetE1EEEvT1_
	.globl	_ZN7rocprim17ROCPRIM_400000_NS6detail17trampoline_kernelINS0_14default_configENS1_25partition_config_selectorILNS1_17partition_subalgoE1ExNS0_10empty_typeEbEEZZNS1_14partition_implILS5_1ELb0ES3_jN6thrust23THRUST_200600_302600_NS6detail15normal_iteratorINSA_10device_ptrIxEEEEPS6_NSA_18transform_iteratorI7is_evenIxESF_NSA_11use_defaultESK_EENS0_5tupleIJSF_SF_EEENSM_IJSG_SG_EEES6_PlJS6_EEE10hipError_tPvRmT3_T4_T5_T6_T7_T9_mT8_P12ihipStream_tbDpT10_ENKUlT_T0_E_clISt17integral_constantIbLb1EES18_IbLb0EEEEDaS14_S15_EUlS14_E_NS1_11comp_targetILNS1_3genE10ELNS1_11target_archE1200ELNS1_3gpuE4ELNS1_3repE0EEENS1_30default_config_static_selectorELNS0_4arch9wavefront6targetE1EEEvT1_
	.p2align	8
	.type	_ZN7rocprim17ROCPRIM_400000_NS6detail17trampoline_kernelINS0_14default_configENS1_25partition_config_selectorILNS1_17partition_subalgoE1ExNS0_10empty_typeEbEEZZNS1_14partition_implILS5_1ELb0ES3_jN6thrust23THRUST_200600_302600_NS6detail15normal_iteratorINSA_10device_ptrIxEEEEPS6_NSA_18transform_iteratorI7is_evenIxESF_NSA_11use_defaultESK_EENS0_5tupleIJSF_SF_EEENSM_IJSG_SG_EEES6_PlJS6_EEE10hipError_tPvRmT3_T4_T5_T6_T7_T9_mT8_P12ihipStream_tbDpT10_ENKUlT_T0_E_clISt17integral_constantIbLb1EES18_IbLb0EEEEDaS14_S15_EUlS14_E_NS1_11comp_targetILNS1_3genE10ELNS1_11target_archE1200ELNS1_3gpuE4ELNS1_3repE0EEENS1_30default_config_static_selectorELNS0_4arch9wavefront6targetE1EEEvT1_,@function
_ZN7rocprim17ROCPRIM_400000_NS6detail17trampoline_kernelINS0_14default_configENS1_25partition_config_selectorILNS1_17partition_subalgoE1ExNS0_10empty_typeEbEEZZNS1_14partition_implILS5_1ELb0ES3_jN6thrust23THRUST_200600_302600_NS6detail15normal_iteratorINSA_10device_ptrIxEEEEPS6_NSA_18transform_iteratorI7is_evenIxESF_NSA_11use_defaultESK_EENS0_5tupleIJSF_SF_EEENSM_IJSG_SG_EEES6_PlJS6_EEE10hipError_tPvRmT3_T4_T5_T6_T7_T9_mT8_P12ihipStream_tbDpT10_ENKUlT_T0_E_clISt17integral_constantIbLb1EES18_IbLb0EEEEDaS14_S15_EUlS14_E_NS1_11comp_targetILNS1_3genE10ELNS1_11target_archE1200ELNS1_3gpuE4ELNS1_3repE0EEENS1_30default_config_static_selectorELNS0_4arch9wavefront6targetE1EEEvT1_: ; @_ZN7rocprim17ROCPRIM_400000_NS6detail17trampoline_kernelINS0_14default_configENS1_25partition_config_selectorILNS1_17partition_subalgoE1ExNS0_10empty_typeEbEEZZNS1_14partition_implILS5_1ELb0ES3_jN6thrust23THRUST_200600_302600_NS6detail15normal_iteratorINSA_10device_ptrIxEEEEPS6_NSA_18transform_iteratorI7is_evenIxESF_NSA_11use_defaultESK_EENS0_5tupleIJSF_SF_EEENSM_IJSG_SG_EEES6_PlJS6_EEE10hipError_tPvRmT3_T4_T5_T6_T7_T9_mT8_P12ihipStream_tbDpT10_ENKUlT_T0_E_clISt17integral_constantIbLb1EES18_IbLb0EEEEDaS14_S15_EUlS14_E_NS1_11comp_targetILNS1_3genE10ELNS1_11target_archE1200ELNS1_3gpuE4ELNS1_3repE0EEENS1_30default_config_static_selectorELNS0_4arch9wavefront6targetE1EEEvT1_
; %bb.0:
	.section	.rodata,"a",@progbits
	.p2align	6, 0x0
	.amdhsa_kernel _ZN7rocprim17ROCPRIM_400000_NS6detail17trampoline_kernelINS0_14default_configENS1_25partition_config_selectorILNS1_17partition_subalgoE1ExNS0_10empty_typeEbEEZZNS1_14partition_implILS5_1ELb0ES3_jN6thrust23THRUST_200600_302600_NS6detail15normal_iteratorINSA_10device_ptrIxEEEEPS6_NSA_18transform_iteratorI7is_evenIxESF_NSA_11use_defaultESK_EENS0_5tupleIJSF_SF_EEENSM_IJSG_SG_EEES6_PlJS6_EEE10hipError_tPvRmT3_T4_T5_T6_T7_T9_mT8_P12ihipStream_tbDpT10_ENKUlT_T0_E_clISt17integral_constantIbLb1EES18_IbLb0EEEEDaS14_S15_EUlS14_E_NS1_11comp_targetILNS1_3genE10ELNS1_11target_archE1200ELNS1_3gpuE4ELNS1_3repE0EEENS1_30default_config_static_selectorELNS0_4arch9wavefront6targetE1EEEvT1_
		.amdhsa_group_segment_fixed_size 0
		.amdhsa_private_segment_fixed_size 0
		.amdhsa_kernarg_size 128
		.amdhsa_user_sgpr_count 2
		.amdhsa_user_sgpr_dispatch_ptr 0
		.amdhsa_user_sgpr_queue_ptr 0
		.amdhsa_user_sgpr_kernarg_segment_ptr 1
		.amdhsa_user_sgpr_dispatch_id 0
		.amdhsa_user_sgpr_kernarg_preload_length 0
		.amdhsa_user_sgpr_kernarg_preload_offset 0
		.amdhsa_user_sgpr_private_segment_size 0
		.amdhsa_uses_dynamic_stack 0
		.amdhsa_enable_private_segment 0
		.amdhsa_system_sgpr_workgroup_id_x 1
		.amdhsa_system_sgpr_workgroup_id_y 0
		.amdhsa_system_sgpr_workgroup_id_z 0
		.amdhsa_system_sgpr_workgroup_info 0
		.amdhsa_system_vgpr_workitem_id 0
		.amdhsa_next_free_vgpr 1
		.amdhsa_next_free_sgpr 0
		.amdhsa_accum_offset 4
		.amdhsa_reserve_vcc 0
		.amdhsa_float_round_mode_32 0
		.amdhsa_float_round_mode_16_64 0
		.amdhsa_float_denorm_mode_32 3
		.amdhsa_float_denorm_mode_16_64 3
		.amdhsa_dx10_clamp 1
		.amdhsa_ieee_mode 1
		.amdhsa_fp16_overflow 0
		.amdhsa_tg_split 0
		.amdhsa_exception_fp_ieee_invalid_op 0
		.amdhsa_exception_fp_denorm_src 0
		.amdhsa_exception_fp_ieee_div_zero 0
		.amdhsa_exception_fp_ieee_overflow 0
		.amdhsa_exception_fp_ieee_underflow 0
		.amdhsa_exception_fp_ieee_inexact 0
		.amdhsa_exception_int_div_zero 0
	.end_amdhsa_kernel
	.section	.text._ZN7rocprim17ROCPRIM_400000_NS6detail17trampoline_kernelINS0_14default_configENS1_25partition_config_selectorILNS1_17partition_subalgoE1ExNS0_10empty_typeEbEEZZNS1_14partition_implILS5_1ELb0ES3_jN6thrust23THRUST_200600_302600_NS6detail15normal_iteratorINSA_10device_ptrIxEEEEPS6_NSA_18transform_iteratorI7is_evenIxESF_NSA_11use_defaultESK_EENS0_5tupleIJSF_SF_EEENSM_IJSG_SG_EEES6_PlJS6_EEE10hipError_tPvRmT3_T4_T5_T6_T7_T9_mT8_P12ihipStream_tbDpT10_ENKUlT_T0_E_clISt17integral_constantIbLb1EES18_IbLb0EEEEDaS14_S15_EUlS14_E_NS1_11comp_targetILNS1_3genE10ELNS1_11target_archE1200ELNS1_3gpuE4ELNS1_3repE0EEENS1_30default_config_static_selectorELNS0_4arch9wavefront6targetE1EEEvT1_,"axG",@progbits,_ZN7rocprim17ROCPRIM_400000_NS6detail17trampoline_kernelINS0_14default_configENS1_25partition_config_selectorILNS1_17partition_subalgoE1ExNS0_10empty_typeEbEEZZNS1_14partition_implILS5_1ELb0ES3_jN6thrust23THRUST_200600_302600_NS6detail15normal_iteratorINSA_10device_ptrIxEEEEPS6_NSA_18transform_iteratorI7is_evenIxESF_NSA_11use_defaultESK_EENS0_5tupleIJSF_SF_EEENSM_IJSG_SG_EEES6_PlJS6_EEE10hipError_tPvRmT3_T4_T5_T6_T7_T9_mT8_P12ihipStream_tbDpT10_ENKUlT_T0_E_clISt17integral_constantIbLb1EES18_IbLb0EEEEDaS14_S15_EUlS14_E_NS1_11comp_targetILNS1_3genE10ELNS1_11target_archE1200ELNS1_3gpuE4ELNS1_3repE0EEENS1_30default_config_static_selectorELNS0_4arch9wavefront6targetE1EEEvT1_,comdat
.Lfunc_end406:
	.size	_ZN7rocprim17ROCPRIM_400000_NS6detail17trampoline_kernelINS0_14default_configENS1_25partition_config_selectorILNS1_17partition_subalgoE1ExNS0_10empty_typeEbEEZZNS1_14partition_implILS5_1ELb0ES3_jN6thrust23THRUST_200600_302600_NS6detail15normal_iteratorINSA_10device_ptrIxEEEEPS6_NSA_18transform_iteratorI7is_evenIxESF_NSA_11use_defaultESK_EENS0_5tupleIJSF_SF_EEENSM_IJSG_SG_EEES6_PlJS6_EEE10hipError_tPvRmT3_T4_T5_T6_T7_T9_mT8_P12ihipStream_tbDpT10_ENKUlT_T0_E_clISt17integral_constantIbLb1EES18_IbLb0EEEEDaS14_S15_EUlS14_E_NS1_11comp_targetILNS1_3genE10ELNS1_11target_archE1200ELNS1_3gpuE4ELNS1_3repE0EEENS1_30default_config_static_selectorELNS0_4arch9wavefront6targetE1EEEvT1_, .Lfunc_end406-_ZN7rocprim17ROCPRIM_400000_NS6detail17trampoline_kernelINS0_14default_configENS1_25partition_config_selectorILNS1_17partition_subalgoE1ExNS0_10empty_typeEbEEZZNS1_14partition_implILS5_1ELb0ES3_jN6thrust23THRUST_200600_302600_NS6detail15normal_iteratorINSA_10device_ptrIxEEEEPS6_NSA_18transform_iteratorI7is_evenIxESF_NSA_11use_defaultESK_EENS0_5tupleIJSF_SF_EEENSM_IJSG_SG_EEES6_PlJS6_EEE10hipError_tPvRmT3_T4_T5_T6_T7_T9_mT8_P12ihipStream_tbDpT10_ENKUlT_T0_E_clISt17integral_constantIbLb1EES18_IbLb0EEEEDaS14_S15_EUlS14_E_NS1_11comp_targetILNS1_3genE10ELNS1_11target_archE1200ELNS1_3gpuE4ELNS1_3repE0EEENS1_30default_config_static_selectorELNS0_4arch9wavefront6targetE1EEEvT1_
                                        ; -- End function
	.section	.AMDGPU.csdata,"",@progbits
; Kernel info:
; codeLenInByte = 0
; NumSgprs: 6
; NumVgprs: 0
; NumAgprs: 0
; TotalNumVgprs: 0
; ScratchSize: 0
; MemoryBound: 0
; FloatMode: 240
; IeeeMode: 1
; LDSByteSize: 0 bytes/workgroup (compile time only)
; SGPRBlocks: 0
; VGPRBlocks: 0
; NumSGPRsForWavesPerEU: 6
; NumVGPRsForWavesPerEU: 1
; AccumOffset: 4
; Occupancy: 8
; WaveLimiterHint : 0
; COMPUTE_PGM_RSRC2:SCRATCH_EN: 0
; COMPUTE_PGM_RSRC2:USER_SGPR: 2
; COMPUTE_PGM_RSRC2:TRAP_HANDLER: 0
; COMPUTE_PGM_RSRC2:TGID_X_EN: 1
; COMPUTE_PGM_RSRC2:TGID_Y_EN: 0
; COMPUTE_PGM_RSRC2:TGID_Z_EN: 0
; COMPUTE_PGM_RSRC2:TIDIG_COMP_CNT: 0
; COMPUTE_PGM_RSRC3_GFX90A:ACCUM_OFFSET: 0
; COMPUTE_PGM_RSRC3_GFX90A:TG_SPLIT: 0
	.section	.text._ZN7rocprim17ROCPRIM_400000_NS6detail17trampoline_kernelINS0_14default_configENS1_25partition_config_selectorILNS1_17partition_subalgoE1ExNS0_10empty_typeEbEEZZNS1_14partition_implILS5_1ELb0ES3_jN6thrust23THRUST_200600_302600_NS6detail15normal_iteratorINSA_10device_ptrIxEEEEPS6_NSA_18transform_iteratorI7is_evenIxESF_NSA_11use_defaultESK_EENS0_5tupleIJSF_SF_EEENSM_IJSG_SG_EEES6_PlJS6_EEE10hipError_tPvRmT3_T4_T5_T6_T7_T9_mT8_P12ihipStream_tbDpT10_ENKUlT_T0_E_clISt17integral_constantIbLb1EES18_IbLb0EEEEDaS14_S15_EUlS14_E_NS1_11comp_targetILNS1_3genE9ELNS1_11target_archE1100ELNS1_3gpuE3ELNS1_3repE0EEENS1_30default_config_static_selectorELNS0_4arch9wavefront6targetE1EEEvT1_,"axG",@progbits,_ZN7rocprim17ROCPRIM_400000_NS6detail17trampoline_kernelINS0_14default_configENS1_25partition_config_selectorILNS1_17partition_subalgoE1ExNS0_10empty_typeEbEEZZNS1_14partition_implILS5_1ELb0ES3_jN6thrust23THRUST_200600_302600_NS6detail15normal_iteratorINSA_10device_ptrIxEEEEPS6_NSA_18transform_iteratorI7is_evenIxESF_NSA_11use_defaultESK_EENS0_5tupleIJSF_SF_EEENSM_IJSG_SG_EEES6_PlJS6_EEE10hipError_tPvRmT3_T4_T5_T6_T7_T9_mT8_P12ihipStream_tbDpT10_ENKUlT_T0_E_clISt17integral_constantIbLb1EES18_IbLb0EEEEDaS14_S15_EUlS14_E_NS1_11comp_targetILNS1_3genE9ELNS1_11target_archE1100ELNS1_3gpuE3ELNS1_3repE0EEENS1_30default_config_static_selectorELNS0_4arch9wavefront6targetE1EEEvT1_,comdat
	.protected	_ZN7rocprim17ROCPRIM_400000_NS6detail17trampoline_kernelINS0_14default_configENS1_25partition_config_selectorILNS1_17partition_subalgoE1ExNS0_10empty_typeEbEEZZNS1_14partition_implILS5_1ELb0ES3_jN6thrust23THRUST_200600_302600_NS6detail15normal_iteratorINSA_10device_ptrIxEEEEPS6_NSA_18transform_iteratorI7is_evenIxESF_NSA_11use_defaultESK_EENS0_5tupleIJSF_SF_EEENSM_IJSG_SG_EEES6_PlJS6_EEE10hipError_tPvRmT3_T4_T5_T6_T7_T9_mT8_P12ihipStream_tbDpT10_ENKUlT_T0_E_clISt17integral_constantIbLb1EES18_IbLb0EEEEDaS14_S15_EUlS14_E_NS1_11comp_targetILNS1_3genE9ELNS1_11target_archE1100ELNS1_3gpuE3ELNS1_3repE0EEENS1_30default_config_static_selectorELNS0_4arch9wavefront6targetE1EEEvT1_ ; -- Begin function _ZN7rocprim17ROCPRIM_400000_NS6detail17trampoline_kernelINS0_14default_configENS1_25partition_config_selectorILNS1_17partition_subalgoE1ExNS0_10empty_typeEbEEZZNS1_14partition_implILS5_1ELb0ES3_jN6thrust23THRUST_200600_302600_NS6detail15normal_iteratorINSA_10device_ptrIxEEEEPS6_NSA_18transform_iteratorI7is_evenIxESF_NSA_11use_defaultESK_EENS0_5tupleIJSF_SF_EEENSM_IJSG_SG_EEES6_PlJS6_EEE10hipError_tPvRmT3_T4_T5_T6_T7_T9_mT8_P12ihipStream_tbDpT10_ENKUlT_T0_E_clISt17integral_constantIbLb1EES18_IbLb0EEEEDaS14_S15_EUlS14_E_NS1_11comp_targetILNS1_3genE9ELNS1_11target_archE1100ELNS1_3gpuE3ELNS1_3repE0EEENS1_30default_config_static_selectorELNS0_4arch9wavefront6targetE1EEEvT1_
	.globl	_ZN7rocprim17ROCPRIM_400000_NS6detail17trampoline_kernelINS0_14default_configENS1_25partition_config_selectorILNS1_17partition_subalgoE1ExNS0_10empty_typeEbEEZZNS1_14partition_implILS5_1ELb0ES3_jN6thrust23THRUST_200600_302600_NS6detail15normal_iteratorINSA_10device_ptrIxEEEEPS6_NSA_18transform_iteratorI7is_evenIxESF_NSA_11use_defaultESK_EENS0_5tupleIJSF_SF_EEENSM_IJSG_SG_EEES6_PlJS6_EEE10hipError_tPvRmT3_T4_T5_T6_T7_T9_mT8_P12ihipStream_tbDpT10_ENKUlT_T0_E_clISt17integral_constantIbLb1EES18_IbLb0EEEEDaS14_S15_EUlS14_E_NS1_11comp_targetILNS1_3genE9ELNS1_11target_archE1100ELNS1_3gpuE3ELNS1_3repE0EEENS1_30default_config_static_selectorELNS0_4arch9wavefront6targetE1EEEvT1_
	.p2align	8
	.type	_ZN7rocprim17ROCPRIM_400000_NS6detail17trampoline_kernelINS0_14default_configENS1_25partition_config_selectorILNS1_17partition_subalgoE1ExNS0_10empty_typeEbEEZZNS1_14partition_implILS5_1ELb0ES3_jN6thrust23THRUST_200600_302600_NS6detail15normal_iteratorINSA_10device_ptrIxEEEEPS6_NSA_18transform_iteratorI7is_evenIxESF_NSA_11use_defaultESK_EENS0_5tupleIJSF_SF_EEENSM_IJSG_SG_EEES6_PlJS6_EEE10hipError_tPvRmT3_T4_T5_T6_T7_T9_mT8_P12ihipStream_tbDpT10_ENKUlT_T0_E_clISt17integral_constantIbLb1EES18_IbLb0EEEEDaS14_S15_EUlS14_E_NS1_11comp_targetILNS1_3genE9ELNS1_11target_archE1100ELNS1_3gpuE3ELNS1_3repE0EEENS1_30default_config_static_selectorELNS0_4arch9wavefront6targetE1EEEvT1_,@function
_ZN7rocprim17ROCPRIM_400000_NS6detail17trampoline_kernelINS0_14default_configENS1_25partition_config_selectorILNS1_17partition_subalgoE1ExNS0_10empty_typeEbEEZZNS1_14partition_implILS5_1ELb0ES3_jN6thrust23THRUST_200600_302600_NS6detail15normal_iteratorINSA_10device_ptrIxEEEEPS6_NSA_18transform_iteratorI7is_evenIxESF_NSA_11use_defaultESK_EENS0_5tupleIJSF_SF_EEENSM_IJSG_SG_EEES6_PlJS6_EEE10hipError_tPvRmT3_T4_T5_T6_T7_T9_mT8_P12ihipStream_tbDpT10_ENKUlT_T0_E_clISt17integral_constantIbLb1EES18_IbLb0EEEEDaS14_S15_EUlS14_E_NS1_11comp_targetILNS1_3genE9ELNS1_11target_archE1100ELNS1_3gpuE3ELNS1_3repE0EEENS1_30default_config_static_selectorELNS0_4arch9wavefront6targetE1EEEvT1_: ; @_ZN7rocprim17ROCPRIM_400000_NS6detail17trampoline_kernelINS0_14default_configENS1_25partition_config_selectorILNS1_17partition_subalgoE1ExNS0_10empty_typeEbEEZZNS1_14partition_implILS5_1ELb0ES3_jN6thrust23THRUST_200600_302600_NS6detail15normal_iteratorINSA_10device_ptrIxEEEEPS6_NSA_18transform_iteratorI7is_evenIxESF_NSA_11use_defaultESK_EENS0_5tupleIJSF_SF_EEENSM_IJSG_SG_EEES6_PlJS6_EEE10hipError_tPvRmT3_T4_T5_T6_T7_T9_mT8_P12ihipStream_tbDpT10_ENKUlT_T0_E_clISt17integral_constantIbLb1EES18_IbLb0EEEEDaS14_S15_EUlS14_E_NS1_11comp_targetILNS1_3genE9ELNS1_11target_archE1100ELNS1_3gpuE3ELNS1_3repE0EEENS1_30default_config_static_selectorELNS0_4arch9wavefront6targetE1EEEvT1_
; %bb.0:
	.section	.rodata,"a",@progbits
	.p2align	6, 0x0
	.amdhsa_kernel _ZN7rocprim17ROCPRIM_400000_NS6detail17trampoline_kernelINS0_14default_configENS1_25partition_config_selectorILNS1_17partition_subalgoE1ExNS0_10empty_typeEbEEZZNS1_14partition_implILS5_1ELb0ES3_jN6thrust23THRUST_200600_302600_NS6detail15normal_iteratorINSA_10device_ptrIxEEEEPS6_NSA_18transform_iteratorI7is_evenIxESF_NSA_11use_defaultESK_EENS0_5tupleIJSF_SF_EEENSM_IJSG_SG_EEES6_PlJS6_EEE10hipError_tPvRmT3_T4_T5_T6_T7_T9_mT8_P12ihipStream_tbDpT10_ENKUlT_T0_E_clISt17integral_constantIbLb1EES18_IbLb0EEEEDaS14_S15_EUlS14_E_NS1_11comp_targetILNS1_3genE9ELNS1_11target_archE1100ELNS1_3gpuE3ELNS1_3repE0EEENS1_30default_config_static_selectorELNS0_4arch9wavefront6targetE1EEEvT1_
		.amdhsa_group_segment_fixed_size 0
		.amdhsa_private_segment_fixed_size 0
		.amdhsa_kernarg_size 128
		.amdhsa_user_sgpr_count 2
		.amdhsa_user_sgpr_dispatch_ptr 0
		.amdhsa_user_sgpr_queue_ptr 0
		.amdhsa_user_sgpr_kernarg_segment_ptr 1
		.amdhsa_user_sgpr_dispatch_id 0
		.amdhsa_user_sgpr_kernarg_preload_length 0
		.amdhsa_user_sgpr_kernarg_preload_offset 0
		.amdhsa_user_sgpr_private_segment_size 0
		.amdhsa_uses_dynamic_stack 0
		.amdhsa_enable_private_segment 0
		.amdhsa_system_sgpr_workgroup_id_x 1
		.amdhsa_system_sgpr_workgroup_id_y 0
		.amdhsa_system_sgpr_workgroup_id_z 0
		.amdhsa_system_sgpr_workgroup_info 0
		.amdhsa_system_vgpr_workitem_id 0
		.amdhsa_next_free_vgpr 1
		.amdhsa_next_free_sgpr 0
		.amdhsa_accum_offset 4
		.amdhsa_reserve_vcc 0
		.amdhsa_float_round_mode_32 0
		.amdhsa_float_round_mode_16_64 0
		.amdhsa_float_denorm_mode_32 3
		.amdhsa_float_denorm_mode_16_64 3
		.amdhsa_dx10_clamp 1
		.amdhsa_ieee_mode 1
		.amdhsa_fp16_overflow 0
		.amdhsa_tg_split 0
		.amdhsa_exception_fp_ieee_invalid_op 0
		.amdhsa_exception_fp_denorm_src 0
		.amdhsa_exception_fp_ieee_div_zero 0
		.amdhsa_exception_fp_ieee_overflow 0
		.amdhsa_exception_fp_ieee_underflow 0
		.amdhsa_exception_fp_ieee_inexact 0
		.amdhsa_exception_int_div_zero 0
	.end_amdhsa_kernel
	.section	.text._ZN7rocprim17ROCPRIM_400000_NS6detail17trampoline_kernelINS0_14default_configENS1_25partition_config_selectorILNS1_17partition_subalgoE1ExNS0_10empty_typeEbEEZZNS1_14partition_implILS5_1ELb0ES3_jN6thrust23THRUST_200600_302600_NS6detail15normal_iteratorINSA_10device_ptrIxEEEEPS6_NSA_18transform_iteratorI7is_evenIxESF_NSA_11use_defaultESK_EENS0_5tupleIJSF_SF_EEENSM_IJSG_SG_EEES6_PlJS6_EEE10hipError_tPvRmT3_T4_T5_T6_T7_T9_mT8_P12ihipStream_tbDpT10_ENKUlT_T0_E_clISt17integral_constantIbLb1EES18_IbLb0EEEEDaS14_S15_EUlS14_E_NS1_11comp_targetILNS1_3genE9ELNS1_11target_archE1100ELNS1_3gpuE3ELNS1_3repE0EEENS1_30default_config_static_selectorELNS0_4arch9wavefront6targetE1EEEvT1_,"axG",@progbits,_ZN7rocprim17ROCPRIM_400000_NS6detail17trampoline_kernelINS0_14default_configENS1_25partition_config_selectorILNS1_17partition_subalgoE1ExNS0_10empty_typeEbEEZZNS1_14partition_implILS5_1ELb0ES3_jN6thrust23THRUST_200600_302600_NS6detail15normal_iteratorINSA_10device_ptrIxEEEEPS6_NSA_18transform_iteratorI7is_evenIxESF_NSA_11use_defaultESK_EENS0_5tupleIJSF_SF_EEENSM_IJSG_SG_EEES6_PlJS6_EEE10hipError_tPvRmT3_T4_T5_T6_T7_T9_mT8_P12ihipStream_tbDpT10_ENKUlT_T0_E_clISt17integral_constantIbLb1EES18_IbLb0EEEEDaS14_S15_EUlS14_E_NS1_11comp_targetILNS1_3genE9ELNS1_11target_archE1100ELNS1_3gpuE3ELNS1_3repE0EEENS1_30default_config_static_selectorELNS0_4arch9wavefront6targetE1EEEvT1_,comdat
.Lfunc_end407:
	.size	_ZN7rocprim17ROCPRIM_400000_NS6detail17trampoline_kernelINS0_14default_configENS1_25partition_config_selectorILNS1_17partition_subalgoE1ExNS0_10empty_typeEbEEZZNS1_14partition_implILS5_1ELb0ES3_jN6thrust23THRUST_200600_302600_NS6detail15normal_iteratorINSA_10device_ptrIxEEEEPS6_NSA_18transform_iteratorI7is_evenIxESF_NSA_11use_defaultESK_EENS0_5tupleIJSF_SF_EEENSM_IJSG_SG_EEES6_PlJS6_EEE10hipError_tPvRmT3_T4_T5_T6_T7_T9_mT8_P12ihipStream_tbDpT10_ENKUlT_T0_E_clISt17integral_constantIbLb1EES18_IbLb0EEEEDaS14_S15_EUlS14_E_NS1_11comp_targetILNS1_3genE9ELNS1_11target_archE1100ELNS1_3gpuE3ELNS1_3repE0EEENS1_30default_config_static_selectorELNS0_4arch9wavefront6targetE1EEEvT1_, .Lfunc_end407-_ZN7rocprim17ROCPRIM_400000_NS6detail17trampoline_kernelINS0_14default_configENS1_25partition_config_selectorILNS1_17partition_subalgoE1ExNS0_10empty_typeEbEEZZNS1_14partition_implILS5_1ELb0ES3_jN6thrust23THRUST_200600_302600_NS6detail15normal_iteratorINSA_10device_ptrIxEEEEPS6_NSA_18transform_iteratorI7is_evenIxESF_NSA_11use_defaultESK_EENS0_5tupleIJSF_SF_EEENSM_IJSG_SG_EEES6_PlJS6_EEE10hipError_tPvRmT3_T4_T5_T6_T7_T9_mT8_P12ihipStream_tbDpT10_ENKUlT_T0_E_clISt17integral_constantIbLb1EES18_IbLb0EEEEDaS14_S15_EUlS14_E_NS1_11comp_targetILNS1_3genE9ELNS1_11target_archE1100ELNS1_3gpuE3ELNS1_3repE0EEENS1_30default_config_static_selectorELNS0_4arch9wavefront6targetE1EEEvT1_
                                        ; -- End function
	.section	.AMDGPU.csdata,"",@progbits
; Kernel info:
; codeLenInByte = 0
; NumSgprs: 6
; NumVgprs: 0
; NumAgprs: 0
; TotalNumVgprs: 0
; ScratchSize: 0
; MemoryBound: 0
; FloatMode: 240
; IeeeMode: 1
; LDSByteSize: 0 bytes/workgroup (compile time only)
; SGPRBlocks: 0
; VGPRBlocks: 0
; NumSGPRsForWavesPerEU: 6
; NumVGPRsForWavesPerEU: 1
; AccumOffset: 4
; Occupancy: 8
; WaveLimiterHint : 0
; COMPUTE_PGM_RSRC2:SCRATCH_EN: 0
; COMPUTE_PGM_RSRC2:USER_SGPR: 2
; COMPUTE_PGM_RSRC2:TRAP_HANDLER: 0
; COMPUTE_PGM_RSRC2:TGID_X_EN: 1
; COMPUTE_PGM_RSRC2:TGID_Y_EN: 0
; COMPUTE_PGM_RSRC2:TGID_Z_EN: 0
; COMPUTE_PGM_RSRC2:TIDIG_COMP_CNT: 0
; COMPUTE_PGM_RSRC3_GFX90A:ACCUM_OFFSET: 0
; COMPUTE_PGM_RSRC3_GFX90A:TG_SPLIT: 0
	.section	.text._ZN7rocprim17ROCPRIM_400000_NS6detail17trampoline_kernelINS0_14default_configENS1_25partition_config_selectorILNS1_17partition_subalgoE1ExNS0_10empty_typeEbEEZZNS1_14partition_implILS5_1ELb0ES3_jN6thrust23THRUST_200600_302600_NS6detail15normal_iteratorINSA_10device_ptrIxEEEEPS6_NSA_18transform_iteratorI7is_evenIxESF_NSA_11use_defaultESK_EENS0_5tupleIJSF_SF_EEENSM_IJSG_SG_EEES6_PlJS6_EEE10hipError_tPvRmT3_T4_T5_T6_T7_T9_mT8_P12ihipStream_tbDpT10_ENKUlT_T0_E_clISt17integral_constantIbLb1EES18_IbLb0EEEEDaS14_S15_EUlS14_E_NS1_11comp_targetILNS1_3genE8ELNS1_11target_archE1030ELNS1_3gpuE2ELNS1_3repE0EEENS1_30default_config_static_selectorELNS0_4arch9wavefront6targetE1EEEvT1_,"axG",@progbits,_ZN7rocprim17ROCPRIM_400000_NS6detail17trampoline_kernelINS0_14default_configENS1_25partition_config_selectorILNS1_17partition_subalgoE1ExNS0_10empty_typeEbEEZZNS1_14partition_implILS5_1ELb0ES3_jN6thrust23THRUST_200600_302600_NS6detail15normal_iteratorINSA_10device_ptrIxEEEEPS6_NSA_18transform_iteratorI7is_evenIxESF_NSA_11use_defaultESK_EENS0_5tupleIJSF_SF_EEENSM_IJSG_SG_EEES6_PlJS6_EEE10hipError_tPvRmT3_T4_T5_T6_T7_T9_mT8_P12ihipStream_tbDpT10_ENKUlT_T0_E_clISt17integral_constantIbLb1EES18_IbLb0EEEEDaS14_S15_EUlS14_E_NS1_11comp_targetILNS1_3genE8ELNS1_11target_archE1030ELNS1_3gpuE2ELNS1_3repE0EEENS1_30default_config_static_selectorELNS0_4arch9wavefront6targetE1EEEvT1_,comdat
	.protected	_ZN7rocprim17ROCPRIM_400000_NS6detail17trampoline_kernelINS0_14default_configENS1_25partition_config_selectorILNS1_17partition_subalgoE1ExNS0_10empty_typeEbEEZZNS1_14partition_implILS5_1ELb0ES3_jN6thrust23THRUST_200600_302600_NS6detail15normal_iteratorINSA_10device_ptrIxEEEEPS6_NSA_18transform_iteratorI7is_evenIxESF_NSA_11use_defaultESK_EENS0_5tupleIJSF_SF_EEENSM_IJSG_SG_EEES6_PlJS6_EEE10hipError_tPvRmT3_T4_T5_T6_T7_T9_mT8_P12ihipStream_tbDpT10_ENKUlT_T0_E_clISt17integral_constantIbLb1EES18_IbLb0EEEEDaS14_S15_EUlS14_E_NS1_11comp_targetILNS1_3genE8ELNS1_11target_archE1030ELNS1_3gpuE2ELNS1_3repE0EEENS1_30default_config_static_selectorELNS0_4arch9wavefront6targetE1EEEvT1_ ; -- Begin function _ZN7rocprim17ROCPRIM_400000_NS6detail17trampoline_kernelINS0_14default_configENS1_25partition_config_selectorILNS1_17partition_subalgoE1ExNS0_10empty_typeEbEEZZNS1_14partition_implILS5_1ELb0ES3_jN6thrust23THRUST_200600_302600_NS6detail15normal_iteratorINSA_10device_ptrIxEEEEPS6_NSA_18transform_iteratorI7is_evenIxESF_NSA_11use_defaultESK_EENS0_5tupleIJSF_SF_EEENSM_IJSG_SG_EEES6_PlJS6_EEE10hipError_tPvRmT3_T4_T5_T6_T7_T9_mT8_P12ihipStream_tbDpT10_ENKUlT_T0_E_clISt17integral_constantIbLb1EES18_IbLb0EEEEDaS14_S15_EUlS14_E_NS1_11comp_targetILNS1_3genE8ELNS1_11target_archE1030ELNS1_3gpuE2ELNS1_3repE0EEENS1_30default_config_static_selectorELNS0_4arch9wavefront6targetE1EEEvT1_
	.globl	_ZN7rocprim17ROCPRIM_400000_NS6detail17trampoline_kernelINS0_14default_configENS1_25partition_config_selectorILNS1_17partition_subalgoE1ExNS0_10empty_typeEbEEZZNS1_14partition_implILS5_1ELb0ES3_jN6thrust23THRUST_200600_302600_NS6detail15normal_iteratorINSA_10device_ptrIxEEEEPS6_NSA_18transform_iteratorI7is_evenIxESF_NSA_11use_defaultESK_EENS0_5tupleIJSF_SF_EEENSM_IJSG_SG_EEES6_PlJS6_EEE10hipError_tPvRmT3_T4_T5_T6_T7_T9_mT8_P12ihipStream_tbDpT10_ENKUlT_T0_E_clISt17integral_constantIbLb1EES18_IbLb0EEEEDaS14_S15_EUlS14_E_NS1_11comp_targetILNS1_3genE8ELNS1_11target_archE1030ELNS1_3gpuE2ELNS1_3repE0EEENS1_30default_config_static_selectorELNS0_4arch9wavefront6targetE1EEEvT1_
	.p2align	8
	.type	_ZN7rocprim17ROCPRIM_400000_NS6detail17trampoline_kernelINS0_14default_configENS1_25partition_config_selectorILNS1_17partition_subalgoE1ExNS0_10empty_typeEbEEZZNS1_14partition_implILS5_1ELb0ES3_jN6thrust23THRUST_200600_302600_NS6detail15normal_iteratorINSA_10device_ptrIxEEEEPS6_NSA_18transform_iteratorI7is_evenIxESF_NSA_11use_defaultESK_EENS0_5tupleIJSF_SF_EEENSM_IJSG_SG_EEES6_PlJS6_EEE10hipError_tPvRmT3_T4_T5_T6_T7_T9_mT8_P12ihipStream_tbDpT10_ENKUlT_T0_E_clISt17integral_constantIbLb1EES18_IbLb0EEEEDaS14_S15_EUlS14_E_NS1_11comp_targetILNS1_3genE8ELNS1_11target_archE1030ELNS1_3gpuE2ELNS1_3repE0EEENS1_30default_config_static_selectorELNS0_4arch9wavefront6targetE1EEEvT1_,@function
_ZN7rocprim17ROCPRIM_400000_NS6detail17trampoline_kernelINS0_14default_configENS1_25partition_config_selectorILNS1_17partition_subalgoE1ExNS0_10empty_typeEbEEZZNS1_14partition_implILS5_1ELb0ES3_jN6thrust23THRUST_200600_302600_NS6detail15normal_iteratorINSA_10device_ptrIxEEEEPS6_NSA_18transform_iteratorI7is_evenIxESF_NSA_11use_defaultESK_EENS0_5tupleIJSF_SF_EEENSM_IJSG_SG_EEES6_PlJS6_EEE10hipError_tPvRmT3_T4_T5_T6_T7_T9_mT8_P12ihipStream_tbDpT10_ENKUlT_T0_E_clISt17integral_constantIbLb1EES18_IbLb0EEEEDaS14_S15_EUlS14_E_NS1_11comp_targetILNS1_3genE8ELNS1_11target_archE1030ELNS1_3gpuE2ELNS1_3repE0EEENS1_30default_config_static_selectorELNS0_4arch9wavefront6targetE1EEEvT1_: ; @_ZN7rocprim17ROCPRIM_400000_NS6detail17trampoline_kernelINS0_14default_configENS1_25partition_config_selectorILNS1_17partition_subalgoE1ExNS0_10empty_typeEbEEZZNS1_14partition_implILS5_1ELb0ES3_jN6thrust23THRUST_200600_302600_NS6detail15normal_iteratorINSA_10device_ptrIxEEEEPS6_NSA_18transform_iteratorI7is_evenIxESF_NSA_11use_defaultESK_EENS0_5tupleIJSF_SF_EEENSM_IJSG_SG_EEES6_PlJS6_EEE10hipError_tPvRmT3_T4_T5_T6_T7_T9_mT8_P12ihipStream_tbDpT10_ENKUlT_T0_E_clISt17integral_constantIbLb1EES18_IbLb0EEEEDaS14_S15_EUlS14_E_NS1_11comp_targetILNS1_3genE8ELNS1_11target_archE1030ELNS1_3gpuE2ELNS1_3repE0EEENS1_30default_config_static_selectorELNS0_4arch9wavefront6targetE1EEEvT1_
; %bb.0:
	.section	.rodata,"a",@progbits
	.p2align	6, 0x0
	.amdhsa_kernel _ZN7rocprim17ROCPRIM_400000_NS6detail17trampoline_kernelINS0_14default_configENS1_25partition_config_selectorILNS1_17partition_subalgoE1ExNS0_10empty_typeEbEEZZNS1_14partition_implILS5_1ELb0ES3_jN6thrust23THRUST_200600_302600_NS6detail15normal_iteratorINSA_10device_ptrIxEEEEPS6_NSA_18transform_iteratorI7is_evenIxESF_NSA_11use_defaultESK_EENS0_5tupleIJSF_SF_EEENSM_IJSG_SG_EEES6_PlJS6_EEE10hipError_tPvRmT3_T4_T5_T6_T7_T9_mT8_P12ihipStream_tbDpT10_ENKUlT_T0_E_clISt17integral_constantIbLb1EES18_IbLb0EEEEDaS14_S15_EUlS14_E_NS1_11comp_targetILNS1_3genE8ELNS1_11target_archE1030ELNS1_3gpuE2ELNS1_3repE0EEENS1_30default_config_static_selectorELNS0_4arch9wavefront6targetE1EEEvT1_
		.amdhsa_group_segment_fixed_size 0
		.amdhsa_private_segment_fixed_size 0
		.amdhsa_kernarg_size 128
		.amdhsa_user_sgpr_count 2
		.amdhsa_user_sgpr_dispatch_ptr 0
		.amdhsa_user_sgpr_queue_ptr 0
		.amdhsa_user_sgpr_kernarg_segment_ptr 1
		.amdhsa_user_sgpr_dispatch_id 0
		.amdhsa_user_sgpr_kernarg_preload_length 0
		.amdhsa_user_sgpr_kernarg_preload_offset 0
		.amdhsa_user_sgpr_private_segment_size 0
		.amdhsa_uses_dynamic_stack 0
		.amdhsa_enable_private_segment 0
		.amdhsa_system_sgpr_workgroup_id_x 1
		.amdhsa_system_sgpr_workgroup_id_y 0
		.amdhsa_system_sgpr_workgroup_id_z 0
		.amdhsa_system_sgpr_workgroup_info 0
		.amdhsa_system_vgpr_workitem_id 0
		.amdhsa_next_free_vgpr 1
		.amdhsa_next_free_sgpr 0
		.amdhsa_accum_offset 4
		.amdhsa_reserve_vcc 0
		.amdhsa_float_round_mode_32 0
		.amdhsa_float_round_mode_16_64 0
		.amdhsa_float_denorm_mode_32 3
		.amdhsa_float_denorm_mode_16_64 3
		.amdhsa_dx10_clamp 1
		.amdhsa_ieee_mode 1
		.amdhsa_fp16_overflow 0
		.amdhsa_tg_split 0
		.amdhsa_exception_fp_ieee_invalid_op 0
		.amdhsa_exception_fp_denorm_src 0
		.amdhsa_exception_fp_ieee_div_zero 0
		.amdhsa_exception_fp_ieee_overflow 0
		.amdhsa_exception_fp_ieee_underflow 0
		.amdhsa_exception_fp_ieee_inexact 0
		.amdhsa_exception_int_div_zero 0
	.end_amdhsa_kernel
	.section	.text._ZN7rocprim17ROCPRIM_400000_NS6detail17trampoline_kernelINS0_14default_configENS1_25partition_config_selectorILNS1_17partition_subalgoE1ExNS0_10empty_typeEbEEZZNS1_14partition_implILS5_1ELb0ES3_jN6thrust23THRUST_200600_302600_NS6detail15normal_iteratorINSA_10device_ptrIxEEEEPS6_NSA_18transform_iteratorI7is_evenIxESF_NSA_11use_defaultESK_EENS0_5tupleIJSF_SF_EEENSM_IJSG_SG_EEES6_PlJS6_EEE10hipError_tPvRmT3_T4_T5_T6_T7_T9_mT8_P12ihipStream_tbDpT10_ENKUlT_T0_E_clISt17integral_constantIbLb1EES18_IbLb0EEEEDaS14_S15_EUlS14_E_NS1_11comp_targetILNS1_3genE8ELNS1_11target_archE1030ELNS1_3gpuE2ELNS1_3repE0EEENS1_30default_config_static_selectorELNS0_4arch9wavefront6targetE1EEEvT1_,"axG",@progbits,_ZN7rocprim17ROCPRIM_400000_NS6detail17trampoline_kernelINS0_14default_configENS1_25partition_config_selectorILNS1_17partition_subalgoE1ExNS0_10empty_typeEbEEZZNS1_14partition_implILS5_1ELb0ES3_jN6thrust23THRUST_200600_302600_NS6detail15normal_iteratorINSA_10device_ptrIxEEEEPS6_NSA_18transform_iteratorI7is_evenIxESF_NSA_11use_defaultESK_EENS0_5tupleIJSF_SF_EEENSM_IJSG_SG_EEES6_PlJS6_EEE10hipError_tPvRmT3_T4_T5_T6_T7_T9_mT8_P12ihipStream_tbDpT10_ENKUlT_T0_E_clISt17integral_constantIbLb1EES18_IbLb0EEEEDaS14_S15_EUlS14_E_NS1_11comp_targetILNS1_3genE8ELNS1_11target_archE1030ELNS1_3gpuE2ELNS1_3repE0EEENS1_30default_config_static_selectorELNS0_4arch9wavefront6targetE1EEEvT1_,comdat
.Lfunc_end408:
	.size	_ZN7rocprim17ROCPRIM_400000_NS6detail17trampoline_kernelINS0_14default_configENS1_25partition_config_selectorILNS1_17partition_subalgoE1ExNS0_10empty_typeEbEEZZNS1_14partition_implILS5_1ELb0ES3_jN6thrust23THRUST_200600_302600_NS6detail15normal_iteratorINSA_10device_ptrIxEEEEPS6_NSA_18transform_iteratorI7is_evenIxESF_NSA_11use_defaultESK_EENS0_5tupleIJSF_SF_EEENSM_IJSG_SG_EEES6_PlJS6_EEE10hipError_tPvRmT3_T4_T5_T6_T7_T9_mT8_P12ihipStream_tbDpT10_ENKUlT_T0_E_clISt17integral_constantIbLb1EES18_IbLb0EEEEDaS14_S15_EUlS14_E_NS1_11comp_targetILNS1_3genE8ELNS1_11target_archE1030ELNS1_3gpuE2ELNS1_3repE0EEENS1_30default_config_static_selectorELNS0_4arch9wavefront6targetE1EEEvT1_, .Lfunc_end408-_ZN7rocprim17ROCPRIM_400000_NS6detail17trampoline_kernelINS0_14default_configENS1_25partition_config_selectorILNS1_17partition_subalgoE1ExNS0_10empty_typeEbEEZZNS1_14partition_implILS5_1ELb0ES3_jN6thrust23THRUST_200600_302600_NS6detail15normal_iteratorINSA_10device_ptrIxEEEEPS6_NSA_18transform_iteratorI7is_evenIxESF_NSA_11use_defaultESK_EENS0_5tupleIJSF_SF_EEENSM_IJSG_SG_EEES6_PlJS6_EEE10hipError_tPvRmT3_T4_T5_T6_T7_T9_mT8_P12ihipStream_tbDpT10_ENKUlT_T0_E_clISt17integral_constantIbLb1EES18_IbLb0EEEEDaS14_S15_EUlS14_E_NS1_11comp_targetILNS1_3genE8ELNS1_11target_archE1030ELNS1_3gpuE2ELNS1_3repE0EEENS1_30default_config_static_selectorELNS0_4arch9wavefront6targetE1EEEvT1_
                                        ; -- End function
	.section	.AMDGPU.csdata,"",@progbits
; Kernel info:
; codeLenInByte = 0
; NumSgprs: 6
; NumVgprs: 0
; NumAgprs: 0
; TotalNumVgprs: 0
; ScratchSize: 0
; MemoryBound: 0
; FloatMode: 240
; IeeeMode: 1
; LDSByteSize: 0 bytes/workgroup (compile time only)
; SGPRBlocks: 0
; VGPRBlocks: 0
; NumSGPRsForWavesPerEU: 6
; NumVGPRsForWavesPerEU: 1
; AccumOffset: 4
; Occupancy: 8
; WaveLimiterHint : 0
; COMPUTE_PGM_RSRC2:SCRATCH_EN: 0
; COMPUTE_PGM_RSRC2:USER_SGPR: 2
; COMPUTE_PGM_RSRC2:TRAP_HANDLER: 0
; COMPUTE_PGM_RSRC2:TGID_X_EN: 1
; COMPUTE_PGM_RSRC2:TGID_Y_EN: 0
; COMPUTE_PGM_RSRC2:TGID_Z_EN: 0
; COMPUTE_PGM_RSRC2:TIDIG_COMP_CNT: 0
; COMPUTE_PGM_RSRC3_GFX90A:ACCUM_OFFSET: 0
; COMPUTE_PGM_RSRC3_GFX90A:TG_SPLIT: 0
	.section	.text._ZN7rocprim17ROCPRIM_400000_NS6detail17trampoline_kernelINS0_14default_configENS1_25partition_config_selectorILNS1_17partition_subalgoE1ExNS0_10empty_typeEbEEZZNS1_14partition_implILS5_1ELb0ES3_jN6thrust23THRUST_200600_302600_NS6detail15normal_iteratorINSA_10device_ptrIxEEEEPS6_NSA_18transform_iteratorI7is_evenIxESF_NSA_11use_defaultESK_EENS0_5tupleIJSF_SF_EEENSM_IJSG_SG_EEES6_PlJS6_EEE10hipError_tPvRmT3_T4_T5_T6_T7_T9_mT8_P12ihipStream_tbDpT10_ENKUlT_T0_E_clISt17integral_constantIbLb0EES18_IbLb1EEEEDaS14_S15_EUlS14_E_NS1_11comp_targetILNS1_3genE0ELNS1_11target_archE4294967295ELNS1_3gpuE0ELNS1_3repE0EEENS1_30default_config_static_selectorELNS0_4arch9wavefront6targetE1EEEvT1_,"axG",@progbits,_ZN7rocprim17ROCPRIM_400000_NS6detail17trampoline_kernelINS0_14default_configENS1_25partition_config_selectorILNS1_17partition_subalgoE1ExNS0_10empty_typeEbEEZZNS1_14partition_implILS5_1ELb0ES3_jN6thrust23THRUST_200600_302600_NS6detail15normal_iteratorINSA_10device_ptrIxEEEEPS6_NSA_18transform_iteratorI7is_evenIxESF_NSA_11use_defaultESK_EENS0_5tupleIJSF_SF_EEENSM_IJSG_SG_EEES6_PlJS6_EEE10hipError_tPvRmT3_T4_T5_T6_T7_T9_mT8_P12ihipStream_tbDpT10_ENKUlT_T0_E_clISt17integral_constantIbLb0EES18_IbLb1EEEEDaS14_S15_EUlS14_E_NS1_11comp_targetILNS1_3genE0ELNS1_11target_archE4294967295ELNS1_3gpuE0ELNS1_3repE0EEENS1_30default_config_static_selectorELNS0_4arch9wavefront6targetE1EEEvT1_,comdat
	.protected	_ZN7rocprim17ROCPRIM_400000_NS6detail17trampoline_kernelINS0_14default_configENS1_25partition_config_selectorILNS1_17partition_subalgoE1ExNS0_10empty_typeEbEEZZNS1_14partition_implILS5_1ELb0ES3_jN6thrust23THRUST_200600_302600_NS6detail15normal_iteratorINSA_10device_ptrIxEEEEPS6_NSA_18transform_iteratorI7is_evenIxESF_NSA_11use_defaultESK_EENS0_5tupleIJSF_SF_EEENSM_IJSG_SG_EEES6_PlJS6_EEE10hipError_tPvRmT3_T4_T5_T6_T7_T9_mT8_P12ihipStream_tbDpT10_ENKUlT_T0_E_clISt17integral_constantIbLb0EES18_IbLb1EEEEDaS14_S15_EUlS14_E_NS1_11comp_targetILNS1_3genE0ELNS1_11target_archE4294967295ELNS1_3gpuE0ELNS1_3repE0EEENS1_30default_config_static_selectorELNS0_4arch9wavefront6targetE1EEEvT1_ ; -- Begin function _ZN7rocprim17ROCPRIM_400000_NS6detail17trampoline_kernelINS0_14default_configENS1_25partition_config_selectorILNS1_17partition_subalgoE1ExNS0_10empty_typeEbEEZZNS1_14partition_implILS5_1ELb0ES3_jN6thrust23THRUST_200600_302600_NS6detail15normal_iteratorINSA_10device_ptrIxEEEEPS6_NSA_18transform_iteratorI7is_evenIxESF_NSA_11use_defaultESK_EENS0_5tupleIJSF_SF_EEENSM_IJSG_SG_EEES6_PlJS6_EEE10hipError_tPvRmT3_T4_T5_T6_T7_T9_mT8_P12ihipStream_tbDpT10_ENKUlT_T0_E_clISt17integral_constantIbLb0EES18_IbLb1EEEEDaS14_S15_EUlS14_E_NS1_11comp_targetILNS1_3genE0ELNS1_11target_archE4294967295ELNS1_3gpuE0ELNS1_3repE0EEENS1_30default_config_static_selectorELNS0_4arch9wavefront6targetE1EEEvT1_
	.globl	_ZN7rocprim17ROCPRIM_400000_NS6detail17trampoline_kernelINS0_14default_configENS1_25partition_config_selectorILNS1_17partition_subalgoE1ExNS0_10empty_typeEbEEZZNS1_14partition_implILS5_1ELb0ES3_jN6thrust23THRUST_200600_302600_NS6detail15normal_iteratorINSA_10device_ptrIxEEEEPS6_NSA_18transform_iteratorI7is_evenIxESF_NSA_11use_defaultESK_EENS0_5tupleIJSF_SF_EEENSM_IJSG_SG_EEES6_PlJS6_EEE10hipError_tPvRmT3_T4_T5_T6_T7_T9_mT8_P12ihipStream_tbDpT10_ENKUlT_T0_E_clISt17integral_constantIbLb0EES18_IbLb1EEEEDaS14_S15_EUlS14_E_NS1_11comp_targetILNS1_3genE0ELNS1_11target_archE4294967295ELNS1_3gpuE0ELNS1_3repE0EEENS1_30default_config_static_selectorELNS0_4arch9wavefront6targetE1EEEvT1_
	.p2align	8
	.type	_ZN7rocprim17ROCPRIM_400000_NS6detail17trampoline_kernelINS0_14default_configENS1_25partition_config_selectorILNS1_17partition_subalgoE1ExNS0_10empty_typeEbEEZZNS1_14partition_implILS5_1ELb0ES3_jN6thrust23THRUST_200600_302600_NS6detail15normal_iteratorINSA_10device_ptrIxEEEEPS6_NSA_18transform_iteratorI7is_evenIxESF_NSA_11use_defaultESK_EENS0_5tupleIJSF_SF_EEENSM_IJSG_SG_EEES6_PlJS6_EEE10hipError_tPvRmT3_T4_T5_T6_T7_T9_mT8_P12ihipStream_tbDpT10_ENKUlT_T0_E_clISt17integral_constantIbLb0EES18_IbLb1EEEEDaS14_S15_EUlS14_E_NS1_11comp_targetILNS1_3genE0ELNS1_11target_archE4294967295ELNS1_3gpuE0ELNS1_3repE0EEENS1_30default_config_static_selectorELNS0_4arch9wavefront6targetE1EEEvT1_,@function
_ZN7rocprim17ROCPRIM_400000_NS6detail17trampoline_kernelINS0_14default_configENS1_25partition_config_selectorILNS1_17partition_subalgoE1ExNS0_10empty_typeEbEEZZNS1_14partition_implILS5_1ELb0ES3_jN6thrust23THRUST_200600_302600_NS6detail15normal_iteratorINSA_10device_ptrIxEEEEPS6_NSA_18transform_iteratorI7is_evenIxESF_NSA_11use_defaultESK_EENS0_5tupleIJSF_SF_EEENSM_IJSG_SG_EEES6_PlJS6_EEE10hipError_tPvRmT3_T4_T5_T6_T7_T9_mT8_P12ihipStream_tbDpT10_ENKUlT_T0_E_clISt17integral_constantIbLb0EES18_IbLb1EEEEDaS14_S15_EUlS14_E_NS1_11comp_targetILNS1_3genE0ELNS1_11target_archE4294967295ELNS1_3gpuE0ELNS1_3repE0EEENS1_30default_config_static_selectorELNS0_4arch9wavefront6targetE1EEEvT1_: ; @_ZN7rocprim17ROCPRIM_400000_NS6detail17trampoline_kernelINS0_14default_configENS1_25partition_config_selectorILNS1_17partition_subalgoE1ExNS0_10empty_typeEbEEZZNS1_14partition_implILS5_1ELb0ES3_jN6thrust23THRUST_200600_302600_NS6detail15normal_iteratorINSA_10device_ptrIxEEEEPS6_NSA_18transform_iteratorI7is_evenIxESF_NSA_11use_defaultESK_EENS0_5tupleIJSF_SF_EEENSM_IJSG_SG_EEES6_PlJS6_EEE10hipError_tPvRmT3_T4_T5_T6_T7_T9_mT8_P12ihipStream_tbDpT10_ENKUlT_T0_E_clISt17integral_constantIbLb0EES18_IbLb1EEEEDaS14_S15_EUlS14_E_NS1_11comp_targetILNS1_3genE0ELNS1_11target_archE4294967295ELNS1_3gpuE0ELNS1_3repE0EEENS1_30default_config_static_selectorELNS0_4arch9wavefront6targetE1EEEvT1_
; %bb.0:
	.section	.rodata,"a",@progbits
	.p2align	6, 0x0
	.amdhsa_kernel _ZN7rocprim17ROCPRIM_400000_NS6detail17trampoline_kernelINS0_14default_configENS1_25partition_config_selectorILNS1_17partition_subalgoE1ExNS0_10empty_typeEbEEZZNS1_14partition_implILS5_1ELb0ES3_jN6thrust23THRUST_200600_302600_NS6detail15normal_iteratorINSA_10device_ptrIxEEEEPS6_NSA_18transform_iteratorI7is_evenIxESF_NSA_11use_defaultESK_EENS0_5tupleIJSF_SF_EEENSM_IJSG_SG_EEES6_PlJS6_EEE10hipError_tPvRmT3_T4_T5_T6_T7_T9_mT8_P12ihipStream_tbDpT10_ENKUlT_T0_E_clISt17integral_constantIbLb0EES18_IbLb1EEEEDaS14_S15_EUlS14_E_NS1_11comp_targetILNS1_3genE0ELNS1_11target_archE4294967295ELNS1_3gpuE0ELNS1_3repE0EEENS1_30default_config_static_selectorELNS0_4arch9wavefront6targetE1EEEvT1_
		.amdhsa_group_segment_fixed_size 0
		.amdhsa_private_segment_fixed_size 0
		.amdhsa_kernarg_size 144
		.amdhsa_user_sgpr_count 2
		.amdhsa_user_sgpr_dispatch_ptr 0
		.amdhsa_user_sgpr_queue_ptr 0
		.amdhsa_user_sgpr_kernarg_segment_ptr 1
		.amdhsa_user_sgpr_dispatch_id 0
		.amdhsa_user_sgpr_kernarg_preload_length 0
		.amdhsa_user_sgpr_kernarg_preload_offset 0
		.amdhsa_user_sgpr_private_segment_size 0
		.amdhsa_uses_dynamic_stack 0
		.amdhsa_enable_private_segment 0
		.amdhsa_system_sgpr_workgroup_id_x 1
		.amdhsa_system_sgpr_workgroup_id_y 0
		.amdhsa_system_sgpr_workgroup_id_z 0
		.amdhsa_system_sgpr_workgroup_info 0
		.amdhsa_system_vgpr_workitem_id 0
		.amdhsa_next_free_vgpr 1
		.amdhsa_next_free_sgpr 0
		.amdhsa_accum_offset 4
		.amdhsa_reserve_vcc 0
		.amdhsa_float_round_mode_32 0
		.amdhsa_float_round_mode_16_64 0
		.amdhsa_float_denorm_mode_32 3
		.amdhsa_float_denorm_mode_16_64 3
		.amdhsa_dx10_clamp 1
		.amdhsa_ieee_mode 1
		.amdhsa_fp16_overflow 0
		.amdhsa_tg_split 0
		.amdhsa_exception_fp_ieee_invalid_op 0
		.amdhsa_exception_fp_denorm_src 0
		.amdhsa_exception_fp_ieee_div_zero 0
		.amdhsa_exception_fp_ieee_overflow 0
		.amdhsa_exception_fp_ieee_underflow 0
		.amdhsa_exception_fp_ieee_inexact 0
		.amdhsa_exception_int_div_zero 0
	.end_amdhsa_kernel
	.section	.text._ZN7rocprim17ROCPRIM_400000_NS6detail17trampoline_kernelINS0_14default_configENS1_25partition_config_selectorILNS1_17partition_subalgoE1ExNS0_10empty_typeEbEEZZNS1_14partition_implILS5_1ELb0ES3_jN6thrust23THRUST_200600_302600_NS6detail15normal_iteratorINSA_10device_ptrIxEEEEPS6_NSA_18transform_iteratorI7is_evenIxESF_NSA_11use_defaultESK_EENS0_5tupleIJSF_SF_EEENSM_IJSG_SG_EEES6_PlJS6_EEE10hipError_tPvRmT3_T4_T5_T6_T7_T9_mT8_P12ihipStream_tbDpT10_ENKUlT_T0_E_clISt17integral_constantIbLb0EES18_IbLb1EEEEDaS14_S15_EUlS14_E_NS1_11comp_targetILNS1_3genE0ELNS1_11target_archE4294967295ELNS1_3gpuE0ELNS1_3repE0EEENS1_30default_config_static_selectorELNS0_4arch9wavefront6targetE1EEEvT1_,"axG",@progbits,_ZN7rocprim17ROCPRIM_400000_NS6detail17trampoline_kernelINS0_14default_configENS1_25partition_config_selectorILNS1_17partition_subalgoE1ExNS0_10empty_typeEbEEZZNS1_14partition_implILS5_1ELb0ES3_jN6thrust23THRUST_200600_302600_NS6detail15normal_iteratorINSA_10device_ptrIxEEEEPS6_NSA_18transform_iteratorI7is_evenIxESF_NSA_11use_defaultESK_EENS0_5tupleIJSF_SF_EEENSM_IJSG_SG_EEES6_PlJS6_EEE10hipError_tPvRmT3_T4_T5_T6_T7_T9_mT8_P12ihipStream_tbDpT10_ENKUlT_T0_E_clISt17integral_constantIbLb0EES18_IbLb1EEEEDaS14_S15_EUlS14_E_NS1_11comp_targetILNS1_3genE0ELNS1_11target_archE4294967295ELNS1_3gpuE0ELNS1_3repE0EEENS1_30default_config_static_selectorELNS0_4arch9wavefront6targetE1EEEvT1_,comdat
.Lfunc_end409:
	.size	_ZN7rocprim17ROCPRIM_400000_NS6detail17trampoline_kernelINS0_14default_configENS1_25partition_config_selectorILNS1_17partition_subalgoE1ExNS0_10empty_typeEbEEZZNS1_14partition_implILS5_1ELb0ES3_jN6thrust23THRUST_200600_302600_NS6detail15normal_iteratorINSA_10device_ptrIxEEEEPS6_NSA_18transform_iteratorI7is_evenIxESF_NSA_11use_defaultESK_EENS0_5tupleIJSF_SF_EEENSM_IJSG_SG_EEES6_PlJS6_EEE10hipError_tPvRmT3_T4_T5_T6_T7_T9_mT8_P12ihipStream_tbDpT10_ENKUlT_T0_E_clISt17integral_constantIbLb0EES18_IbLb1EEEEDaS14_S15_EUlS14_E_NS1_11comp_targetILNS1_3genE0ELNS1_11target_archE4294967295ELNS1_3gpuE0ELNS1_3repE0EEENS1_30default_config_static_selectorELNS0_4arch9wavefront6targetE1EEEvT1_, .Lfunc_end409-_ZN7rocprim17ROCPRIM_400000_NS6detail17trampoline_kernelINS0_14default_configENS1_25partition_config_selectorILNS1_17partition_subalgoE1ExNS0_10empty_typeEbEEZZNS1_14partition_implILS5_1ELb0ES3_jN6thrust23THRUST_200600_302600_NS6detail15normal_iteratorINSA_10device_ptrIxEEEEPS6_NSA_18transform_iteratorI7is_evenIxESF_NSA_11use_defaultESK_EENS0_5tupleIJSF_SF_EEENSM_IJSG_SG_EEES6_PlJS6_EEE10hipError_tPvRmT3_T4_T5_T6_T7_T9_mT8_P12ihipStream_tbDpT10_ENKUlT_T0_E_clISt17integral_constantIbLb0EES18_IbLb1EEEEDaS14_S15_EUlS14_E_NS1_11comp_targetILNS1_3genE0ELNS1_11target_archE4294967295ELNS1_3gpuE0ELNS1_3repE0EEENS1_30default_config_static_selectorELNS0_4arch9wavefront6targetE1EEEvT1_
                                        ; -- End function
	.section	.AMDGPU.csdata,"",@progbits
; Kernel info:
; codeLenInByte = 0
; NumSgprs: 6
; NumVgprs: 0
; NumAgprs: 0
; TotalNumVgprs: 0
; ScratchSize: 0
; MemoryBound: 0
; FloatMode: 240
; IeeeMode: 1
; LDSByteSize: 0 bytes/workgroup (compile time only)
; SGPRBlocks: 0
; VGPRBlocks: 0
; NumSGPRsForWavesPerEU: 6
; NumVGPRsForWavesPerEU: 1
; AccumOffset: 4
; Occupancy: 8
; WaveLimiterHint : 0
; COMPUTE_PGM_RSRC2:SCRATCH_EN: 0
; COMPUTE_PGM_RSRC2:USER_SGPR: 2
; COMPUTE_PGM_RSRC2:TRAP_HANDLER: 0
; COMPUTE_PGM_RSRC2:TGID_X_EN: 1
; COMPUTE_PGM_RSRC2:TGID_Y_EN: 0
; COMPUTE_PGM_RSRC2:TGID_Z_EN: 0
; COMPUTE_PGM_RSRC2:TIDIG_COMP_CNT: 0
; COMPUTE_PGM_RSRC3_GFX90A:ACCUM_OFFSET: 0
; COMPUTE_PGM_RSRC3_GFX90A:TG_SPLIT: 0
	.section	.text._ZN7rocprim17ROCPRIM_400000_NS6detail17trampoline_kernelINS0_14default_configENS1_25partition_config_selectorILNS1_17partition_subalgoE1ExNS0_10empty_typeEbEEZZNS1_14partition_implILS5_1ELb0ES3_jN6thrust23THRUST_200600_302600_NS6detail15normal_iteratorINSA_10device_ptrIxEEEEPS6_NSA_18transform_iteratorI7is_evenIxESF_NSA_11use_defaultESK_EENS0_5tupleIJSF_SF_EEENSM_IJSG_SG_EEES6_PlJS6_EEE10hipError_tPvRmT3_T4_T5_T6_T7_T9_mT8_P12ihipStream_tbDpT10_ENKUlT_T0_E_clISt17integral_constantIbLb0EES18_IbLb1EEEEDaS14_S15_EUlS14_E_NS1_11comp_targetILNS1_3genE5ELNS1_11target_archE942ELNS1_3gpuE9ELNS1_3repE0EEENS1_30default_config_static_selectorELNS0_4arch9wavefront6targetE1EEEvT1_,"axG",@progbits,_ZN7rocprim17ROCPRIM_400000_NS6detail17trampoline_kernelINS0_14default_configENS1_25partition_config_selectorILNS1_17partition_subalgoE1ExNS0_10empty_typeEbEEZZNS1_14partition_implILS5_1ELb0ES3_jN6thrust23THRUST_200600_302600_NS6detail15normal_iteratorINSA_10device_ptrIxEEEEPS6_NSA_18transform_iteratorI7is_evenIxESF_NSA_11use_defaultESK_EENS0_5tupleIJSF_SF_EEENSM_IJSG_SG_EEES6_PlJS6_EEE10hipError_tPvRmT3_T4_T5_T6_T7_T9_mT8_P12ihipStream_tbDpT10_ENKUlT_T0_E_clISt17integral_constantIbLb0EES18_IbLb1EEEEDaS14_S15_EUlS14_E_NS1_11comp_targetILNS1_3genE5ELNS1_11target_archE942ELNS1_3gpuE9ELNS1_3repE0EEENS1_30default_config_static_selectorELNS0_4arch9wavefront6targetE1EEEvT1_,comdat
	.protected	_ZN7rocprim17ROCPRIM_400000_NS6detail17trampoline_kernelINS0_14default_configENS1_25partition_config_selectorILNS1_17partition_subalgoE1ExNS0_10empty_typeEbEEZZNS1_14partition_implILS5_1ELb0ES3_jN6thrust23THRUST_200600_302600_NS6detail15normal_iteratorINSA_10device_ptrIxEEEEPS6_NSA_18transform_iteratorI7is_evenIxESF_NSA_11use_defaultESK_EENS0_5tupleIJSF_SF_EEENSM_IJSG_SG_EEES6_PlJS6_EEE10hipError_tPvRmT3_T4_T5_T6_T7_T9_mT8_P12ihipStream_tbDpT10_ENKUlT_T0_E_clISt17integral_constantIbLb0EES18_IbLb1EEEEDaS14_S15_EUlS14_E_NS1_11comp_targetILNS1_3genE5ELNS1_11target_archE942ELNS1_3gpuE9ELNS1_3repE0EEENS1_30default_config_static_selectorELNS0_4arch9wavefront6targetE1EEEvT1_ ; -- Begin function _ZN7rocprim17ROCPRIM_400000_NS6detail17trampoline_kernelINS0_14default_configENS1_25partition_config_selectorILNS1_17partition_subalgoE1ExNS0_10empty_typeEbEEZZNS1_14partition_implILS5_1ELb0ES3_jN6thrust23THRUST_200600_302600_NS6detail15normal_iteratorINSA_10device_ptrIxEEEEPS6_NSA_18transform_iteratorI7is_evenIxESF_NSA_11use_defaultESK_EENS0_5tupleIJSF_SF_EEENSM_IJSG_SG_EEES6_PlJS6_EEE10hipError_tPvRmT3_T4_T5_T6_T7_T9_mT8_P12ihipStream_tbDpT10_ENKUlT_T0_E_clISt17integral_constantIbLb0EES18_IbLb1EEEEDaS14_S15_EUlS14_E_NS1_11comp_targetILNS1_3genE5ELNS1_11target_archE942ELNS1_3gpuE9ELNS1_3repE0EEENS1_30default_config_static_selectorELNS0_4arch9wavefront6targetE1EEEvT1_
	.globl	_ZN7rocprim17ROCPRIM_400000_NS6detail17trampoline_kernelINS0_14default_configENS1_25partition_config_selectorILNS1_17partition_subalgoE1ExNS0_10empty_typeEbEEZZNS1_14partition_implILS5_1ELb0ES3_jN6thrust23THRUST_200600_302600_NS6detail15normal_iteratorINSA_10device_ptrIxEEEEPS6_NSA_18transform_iteratorI7is_evenIxESF_NSA_11use_defaultESK_EENS0_5tupleIJSF_SF_EEENSM_IJSG_SG_EEES6_PlJS6_EEE10hipError_tPvRmT3_T4_T5_T6_T7_T9_mT8_P12ihipStream_tbDpT10_ENKUlT_T0_E_clISt17integral_constantIbLb0EES18_IbLb1EEEEDaS14_S15_EUlS14_E_NS1_11comp_targetILNS1_3genE5ELNS1_11target_archE942ELNS1_3gpuE9ELNS1_3repE0EEENS1_30default_config_static_selectorELNS0_4arch9wavefront6targetE1EEEvT1_
	.p2align	8
	.type	_ZN7rocprim17ROCPRIM_400000_NS6detail17trampoline_kernelINS0_14default_configENS1_25partition_config_selectorILNS1_17partition_subalgoE1ExNS0_10empty_typeEbEEZZNS1_14partition_implILS5_1ELb0ES3_jN6thrust23THRUST_200600_302600_NS6detail15normal_iteratorINSA_10device_ptrIxEEEEPS6_NSA_18transform_iteratorI7is_evenIxESF_NSA_11use_defaultESK_EENS0_5tupleIJSF_SF_EEENSM_IJSG_SG_EEES6_PlJS6_EEE10hipError_tPvRmT3_T4_T5_T6_T7_T9_mT8_P12ihipStream_tbDpT10_ENKUlT_T0_E_clISt17integral_constantIbLb0EES18_IbLb1EEEEDaS14_S15_EUlS14_E_NS1_11comp_targetILNS1_3genE5ELNS1_11target_archE942ELNS1_3gpuE9ELNS1_3repE0EEENS1_30default_config_static_selectorELNS0_4arch9wavefront6targetE1EEEvT1_,@function
_ZN7rocprim17ROCPRIM_400000_NS6detail17trampoline_kernelINS0_14default_configENS1_25partition_config_selectorILNS1_17partition_subalgoE1ExNS0_10empty_typeEbEEZZNS1_14partition_implILS5_1ELb0ES3_jN6thrust23THRUST_200600_302600_NS6detail15normal_iteratorINSA_10device_ptrIxEEEEPS6_NSA_18transform_iteratorI7is_evenIxESF_NSA_11use_defaultESK_EENS0_5tupleIJSF_SF_EEENSM_IJSG_SG_EEES6_PlJS6_EEE10hipError_tPvRmT3_T4_T5_T6_T7_T9_mT8_P12ihipStream_tbDpT10_ENKUlT_T0_E_clISt17integral_constantIbLb0EES18_IbLb1EEEEDaS14_S15_EUlS14_E_NS1_11comp_targetILNS1_3genE5ELNS1_11target_archE942ELNS1_3gpuE9ELNS1_3repE0EEENS1_30default_config_static_selectorELNS0_4arch9wavefront6targetE1EEEvT1_: ; @_ZN7rocprim17ROCPRIM_400000_NS6detail17trampoline_kernelINS0_14default_configENS1_25partition_config_selectorILNS1_17partition_subalgoE1ExNS0_10empty_typeEbEEZZNS1_14partition_implILS5_1ELb0ES3_jN6thrust23THRUST_200600_302600_NS6detail15normal_iteratorINSA_10device_ptrIxEEEEPS6_NSA_18transform_iteratorI7is_evenIxESF_NSA_11use_defaultESK_EENS0_5tupleIJSF_SF_EEENSM_IJSG_SG_EEES6_PlJS6_EEE10hipError_tPvRmT3_T4_T5_T6_T7_T9_mT8_P12ihipStream_tbDpT10_ENKUlT_T0_E_clISt17integral_constantIbLb0EES18_IbLb1EEEEDaS14_S15_EUlS14_E_NS1_11comp_targetILNS1_3genE5ELNS1_11target_archE942ELNS1_3gpuE9ELNS1_3repE0EEENS1_30default_config_static_selectorELNS0_4arch9wavefront6targetE1EEEvT1_
; %bb.0:
	s_load_dwordx2 s[2:3], s[0:1], 0x20
	s_load_dwordx4 s[20:23], s[0:1], 0x50
	s_load_dwordx2 s[6:7], s[0:1], 0x60
	s_load_dwordx2 s[34:35], s[0:1], 0x70
	v_cmp_eq_u32_e64 s[18:19], 0, v0
	s_and_saveexec_b64 s[4:5], s[18:19]
	s_cbranch_execz .LBB410_4
; %bb.1:
	s_mov_b64 s[10:11], exec
	v_mbcnt_lo_u32_b32 v1, s10, 0
	v_mbcnt_hi_u32_b32 v1, s11, v1
	v_cmp_eq_u32_e32 vcc, 0, v1
                                        ; implicit-def: $vgpr2
	s_and_saveexec_b64 s[8:9], vcc
	s_cbranch_execz .LBB410_3
; %bb.2:
	s_load_dwordx2 s[12:13], s[0:1], 0x80
	s_bcnt1_i32_b64 s10, s[10:11]
	v_mov_b32_e32 v2, 0
	v_mov_b32_e32 v3, s10
	s_waitcnt lgkmcnt(0)
	global_atomic_add v2, v2, v3, s[12:13] sc0
.LBB410_3:
	s_or_b64 exec, exec, s[8:9]
	s_waitcnt vmcnt(0)
	v_readfirstlane_b32 s8, v2
	v_mov_b32_e32 v2, 0
	s_nop 0
	v_add_u32_e32 v1, s8, v1
	ds_write_b32 v2, v1
.LBB410_4:
	s_or_b64 exec, exec, s[4:5]
	v_mov_b32_e32 v19, 0
	s_load_dwordx4 s[28:31], s[0:1], 0x8
	s_load_dwordx4 s[24:27], s[0:1], 0x30
	s_load_dword s8, s[0:1], 0x78
	s_waitcnt lgkmcnt(0)
	s_barrier
	ds_read_b32 v1, v19
	s_waitcnt lgkmcnt(0)
	s_barrier
	global_load_dwordx2 v[20:21], v19, s[22:23]
	v_mov_b32_e32 v3, s7
	s_lshl_b64 s[4:5], s[30:31], 3
	s_movk_i32 s7, 0xe00
	s_add_u32 s0, s28, s4
	v_mul_lo_u32 v18, v1, s7
	s_mul_i32 s7, s8, 0xe00
	s_addc_u32 s1, s29, s5
	s_add_i32 s9, s8, -1
	s_add_i32 s8, s7, s30
	s_sub_i32 s33, s6, s8
	s_addk_i32 s33, 0xe00
	v_mov_b32_e32 v2, s6
	s_add_u32 s6, s30, s7
	v_readfirstlane_b32 s40, v1
	s_addc_u32 s7, s31, 0
	s_cmp_eq_u32 s40, s9
	s_cselect_b64 s[22:23], -1, 0
	s_cmp_lg_u32 s40, s9
	v_cmp_lt_u64_e32 vcc, s[6:7], v[2:3]
	s_cselect_b64 s[6:7], -1, 0
	s_or_b64 s[28:29], vcc, s[6:7]
	v_lshlrev_b64 v[22:23], 3, v[18:19]
	v_lshl_add_u64 v[24:25], s[0:1], 0, v[22:23]
	s_mov_b64 s[0:1], -1
	s_and_b64 vcc, exec, s[28:29]
	v_lshlrev_b32_e32 v18, 3, v0
	s_cbranch_vccz .LBB410_6
; %bb.5:
	v_lshl_add_u64 v[2:3], v[24:25], 0, v[18:19]
	v_add_co_u32_e32 v4, vcc, 0x1000, v2
	s_mov_b64 s[0:1], 0
	s_nop 0
	v_addc_co_u32_e32 v5, vcc, 0, v3, vcc
	v_add_co_u32_e32 v6, vcc, 0x2000, v2
	s_nop 1
	v_addc_co_u32_e32 v7, vcc, 0, v3, vcc
	v_add_co_u32_e32 v8, vcc, 0x3000, v2
	s_nop 1
	v_addc_co_u32_e32 v9, vcc, 0, v3, vcc
	flat_load_dwordx2 v[10:11], v[2:3]
	flat_load_dwordx2 v[12:13], v[4:5]
	;; [unrolled: 1-line block ×4, first 2 shown]
	v_add_co_u32_e32 v4, vcc, 0x4000, v2
	s_nop 1
	v_addc_co_u32_e32 v5, vcc, 0, v3, vcc
	v_add_co_u32_e32 v6, vcc, 0x5000, v2
	s_nop 1
	v_addc_co_u32_e32 v7, vcc, 0, v3, vcc
	;; [unrolled: 3-line block ×3, first 2 shown]
	flat_load_dwordx2 v[8:9], v[4:5]
	flat_load_dwordx2 v[26:27], v[6:7]
	;; [unrolled: 1-line block ×3, first 2 shown]
	s_waitcnt vmcnt(0) lgkmcnt(0)
	ds_write2st64_b64 v18, v[10:11], v[12:13] offset1:8
	ds_write2st64_b64 v18, v[14:15], v[16:17] offset0:16 offset1:24
	ds_write2st64_b64 v18, v[8:9], v[26:27] offset0:32 offset1:40
	ds_write_b64 v18, v[28:29] offset:24576
	s_waitcnt lgkmcnt(0)
	s_barrier
.LBB410_6:
	s_andn2_b64 vcc, exec, s[0:1]
	v_cmp_gt_u32_e64 s[0:1], s33, v0
	s_cbranch_vccnz .LBB410_22
; %bb.7:
                                        ; implicit-def: $vgpr2_vgpr3_vgpr4_vgpr5_vgpr6_vgpr7_vgpr8_vgpr9_vgpr10_vgpr11_vgpr12_vgpr13_vgpr14_vgpr15_vgpr16_vgpr17
	s_and_saveexec_b64 s[6:7], s[0:1]
	s_cbranch_execz .LBB410_9
; %bb.8:
	v_mov_b32_e32 v19, 0
	v_lshl_add_u64 v[2:3], v[24:25], 0, v[18:19]
	flat_load_dwordx2 v[2:3], v[2:3]
.LBB410_9:
	s_or_b64 exec, exec, s[6:7]
	v_or_b32_e32 v1, 0x200, v0
	v_cmp_gt_u32_e32 vcc, s33, v1
	s_and_saveexec_b64 s[0:1], vcc
	s_cbranch_execz .LBB410_11
; %bb.10:
	v_lshlrev_b32_e32 v4, 3, v1
	v_mov_b32_e32 v5, 0
	v_lshl_add_u64 v[4:5], v[24:25], 0, v[4:5]
	flat_load_dwordx2 v[4:5], v[4:5]
.LBB410_11:
	s_or_b64 exec, exec, s[0:1]
	v_or_b32_e32 v1, 0x400, v0
	v_cmp_gt_u32_e32 vcc, s33, v1
	s_and_saveexec_b64 s[0:1], vcc
	s_cbranch_execz .LBB410_13
; %bb.12:
	v_lshlrev_b32_e32 v6, 3, v1
	v_mov_b32_e32 v7, 0
	v_lshl_add_u64 v[6:7], v[24:25], 0, v[6:7]
	flat_load_dwordx2 v[6:7], v[6:7]
.LBB410_13:
	;; [unrolled: 11-line block ×6, first 2 shown]
	s_or_b64 exec, exec, s[0:1]
	s_waitcnt vmcnt(0) lgkmcnt(0)
	ds_write2st64_b64 v18, v[2:3], v[4:5] offset1:8
	ds_write2st64_b64 v18, v[6:7], v[8:9] offset0:16 offset1:24
	ds_write2st64_b64 v18, v[10:11], v[12:13] offset0:32 offset1:40
	ds_write_b64 v18, v[14:15] offset:24576
	s_waitcnt lgkmcnt(0)
	s_barrier
.LBB410_22:
	v_mul_u32_u24_e32 v1, 7, v0
	v_lshlrev_b32_e32 v24, 3, v1
	ds_read2_b64 v[10:13], v24 offset1:1
	ds_read2_b64 v[6:9], v24 offset0:2 offset1:3
	ds_read2_b64 v[2:5], v24 offset0:4 offset1:5
	ds_read_b64 v[14:15], v24 offset:48
	s_add_u32 s0, s2, s4
	s_addc_u32 s1, s3, s5
	v_lshl_add_u64 v[16:17], s[0:1], 0, v[22:23]
	s_mov_b64 s[0:1], -1
	s_and_b64 vcc, exec, s[28:29]
	s_waitcnt lgkmcnt(0)
	s_barrier
	s_cbranch_vccz .LBB410_24
; %bb.23:
	v_mov_b32_e32 v19, 0
	v_lshl_add_u64 v[26:27], v[16:17], 0, v[18:19]
	v_add_co_u32_e32 v30, vcc, 0x1000, v26
	v_readfirstlane_b32 s0, v16
	s_nop 0
	v_addc_co_u32_e32 v31, vcc, 0, v27, vcc
	v_add_co_u32_e32 v32, vcc, 0x2000, v26
	v_readfirstlane_b32 s1, v17
	s_nop 0
	v_addc_co_u32_e32 v33, vcc, 0, v27, vcc
	v_add_co_u32_e32 v34, vcc, 0x3000, v26
	s_nop 1
	v_addc_co_u32_e32 v35, vcc, 0, v27, vcc
	global_load_dwordx2 v[28:29], v18, s[0:1]
	v_add_co_u32_e32 v36, vcc, 0x4000, v26
	s_mov_b64 s[0:1], 0
	s_nop 0
	v_addc_co_u32_e32 v37, vcc, 0, v27, vcc
	global_load_dwordx2 v[38:39], v[30:31], off
	global_load_dwordx2 v[40:41], v[32:33], off
	;; [unrolled: 1-line block ×4, first 2 shown]
	v_add_co_u32_e32 v30, vcc, 0x5000, v26
	s_waitcnt vmcnt(4)
	v_xor_b32_e32 v19, -1, v28
	v_addc_co_u32_e32 v31, vcc, 0, v27, vcc
	v_add_co_u32_e32 v26, vcc, 0x6000, v26
	global_load_dwordx2 v[30:31], v[30:31], off
	s_nop 0
	v_addc_co_u32_e32 v27, vcc, 0, v27, vcc
	global_load_dwordx2 v[26:27], v[26:27], off
	v_and_b32_e32 v19, 1, v19
	ds_write_b8 v0, v19
	s_waitcnt vmcnt(5)
	v_xor_b32_e32 v19, -1, v38
	v_and_b32_e32 v19, 1, v19
	s_waitcnt vmcnt(4)
	v_xor_b32_e32 v25, -1, v40
	s_waitcnt vmcnt(0)
	v_xor_b32_e32 v27, -1, v42
	v_and_b32_e32 v25, 1, v25
	ds_write_b8 v0, v19 offset:512
	v_and_b32_e32 v19, 1, v27
	v_xor_b32_e32 v27, -1, v44
	ds_write_b8 v0, v25 offset:1024
	v_and_b32_e32 v25, 1, v27
	ds_write_b8 v0, v19 offset:1536
	ds_write_b8 v0, v25 offset:2048
	v_xor_b32_e32 v27, -1, v30
	v_and_b32_e32 v19, 1, v27
	v_xor_b32_e32 v26, -1, v26
	v_and_b32_e32 v25, 1, v26
	ds_write_b8 v0, v19 offset:2560
	ds_write_b8 v0, v25 offset:3072
	s_waitcnt lgkmcnt(0)
	s_barrier
.LBB410_24:
	s_andn2_b64 vcc, exec, s[0:1]
	s_cbranch_vccnz .LBB410_40
; %bb.25:
	v_cmp_gt_u32_e32 vcc, s33, v0
	v_mov_b32_e32 v19, 0
	v_mov_b32_e32 v25, 0
	s_and_saveexec_b64 s[0:1], vcc
	s_cbranch_execz .LBB410_27
; %bb.26:
	v_readfirstlane_b32 s2, v16
	v_readfirstlane_b32 s3, v17
	s_nop 4
	global_load_dwordx2 v[26:27], v18, s[2:3]
	s_waitcnt vmcnt(0)
	v_xor_b32_e32 v25, -1, v26
	v_and_b32_e32 v25, 1, v25
.LBB410_27:
	s_or_b64 exec, exec, s[0:1]
	v_or_b32_e32 v26, 0x200, v0
	v_cmp_gt_u32_e32 vcc, s33, v26
	s_and_saveexec_b64 s[0:1], vcc
	s_cbranch_execz .LBB410_29
; %bb.28:
	v_lshlrev_b32_e32 v19, 3, v26
	v_readfirstlane_b32 s2, v16
	v_readfirstlane_b32 s3, v17
	s_nop 4
	global_load_dwordx2 v[26:27], v19, s[2:3]
	s_waitcnt vmcnt(0)
	v_xor_b32_e32 v19, -1, v26
	v_and_b32_e32 v19, 1, v19
.LBB410_29:
	s_or_b64 exec, exec, s[0:1]
	v_or_b32_e32 v28, 0x400, v0
	v_cmp_gt_u32_e32 vcc, s33, v28
	v_mov_b32_e32 v26, 0
	v_mov_b32_e32 v27, 0
	s_and_saveexec_b64 s[0:1], vcc
	s_cbranch_execz .LBB410_31
; %bb.30:
	v_lshlrev_b32_e32 v27, 3, v28
	v_readfirstlane_b32 s2, v16
	v_readfirstlane_b32 s3, v17
	s_nop 4
	global_load_dwordx2 v[28:29], v27, s[2:3]
	s_waitcnt vmcnt(0)
	v_xor_b32_e32 v27, -1, v28
	v_and_b32_e32 v27, 1, v27
.LBB410_31:
	s_or_b64 exec, exec, s[0:1]
	v_or_b32_e32 v28, 0x600, v0
	v_cmp_gt_u32_e32 vcc, s33, v28
	s_and_saveexec_b64 s[0:1], vcc
	s_cbranch_execz .LBB410_33
; %bb.32:
	v_lshlrev_b32_e32 v26, 3, v28
	v_readfirstlane_b32 s2, v16
	v_readfirstlane_b32 s3, v17
	s_nop 4
	global_load_dwordx2 v[28:29], v26, s[2:3]
	s_waitcnt vmcnt(0)
	v_xor_b32_e32 v26, -1, v28
	v_and_b32_e32 v26, 1, v26
.LBB410_33:
	s_or_b64 exec, exec, s[0:1]
	v_or_b32_e32 v30, 0x800, v0
	v_cmp_gt_u32_e32 vcc, s33, v30
	v_mov_b32_e32 v28, 0
	v_mov_b32_e32 v29, 0
	s_and_saveexec_b64 s[0:1], vcc
	s_cbranch_execz .LBB410_35
; %bb.34:
	v_lshlrev_b32_e32 v29, 3, v30
	v_readfirstlane_b32 s2, v16
	v_readfirstlane_b32 s3, v17
	s_nop 4
	global_load_dwordx2 v[30:31], v29, s[2:3]
	s_waitcnt vmcnt(0)
	v_xor_b32_e32 v29, -1, v30
	v_and_b32_e32 v29, 1, v29
.LBB410_35:
	s_or_b64 exec, exec, s[0:1]
	v_or_b32_e32 v30, 0xa00, v0
	v_cmp_gt_u32_e32 vcc, s33, v30
	s_and_saveexec_b64 s[0:1], vcc
	s_cbranch_execz .LBB410_37
; %bb.36:
	v_lshlrev_b32_e32 v28, 3, v30
	v_readfirstlane_b32 s2, v16
	v_readfirstlane_b32 s3, v17
	s_nop 4
	global_load_dwordx2 v[30:31], v28, s[2:3]
	s_waitcnt vmcnt(0)
	v_xor_b32_e32 v28, -1, v30
	v_and_b32_e32 v28, 1, v28
.LBB410_37:
	s_or_b64 exec, exec, s[0:1]
	v_or_b32_e32 v31, 0xc00, v0
	v_cmp_gt_u32_e32 vcc, s33, v31
	v_mov_b32_e32 v30, 0
	s_and_saveexec_b64 s[0:1], vcc
	s_cbranch_execz .LBB410_39
; %bb.38:
	v_lshlrev_b32_e32 v30, 3, v31
	v_readfirstlane_b32 s2, v16
	v_readfirstlane_b32 s3, v17
	s_nop 4
	global_load_dwordx2 v[16:17], v30, s[2:3]
	s_waitcnt vmcnt(0)
	v_xor_b32_e32 v16, -1, v16
	v_and_b32_e32 v30, 1, v16
.LBB410_39:
	s_or_b64 exec, exec, s[0:1]
	ds_write_b8 v0, v25
	ds_write_b8 v0, v19 offset:512
	ds_write_b8 v0, v27 offset:1024
	;; [unrolled: 1-line block ×6, first 2 shown]
	s_waitcnt lgkmcnt(0)
	s_barrier
.LBB410_40:
	s_movk_i32 s0, 0xffcf
	v_mad_i32_i24 v39, v0, s0, v24
	ds_read_u8 v16, v39
	ds_read_u8 v17, v39 offset:1
	ds_read_u8 v19, v39 offset:2
	;; [unrolled: 1-line block ×6, first 2 shown]
	s_waitcnt lgkmcnt(6)
	v_and_b32_e32 v37, 1, v16
	s_waitcnt lgkmcnt(5)
	v_and_b32_e32 v36, 1, v17
	;; [unrolled: 2-line block ×5, first 2 shown]
	v_add3_u32 v16, v36, v37, v35
	s_waitcnt lgkmcnt(1)
	v_and_b32_e32 v32, 1, v26
	s_waitcnt lgkmcnt(0)
	v_and_b32_e32 v19, 1, v27
	v_add3_u32 v16, v16, v34, v33
	v_add3_u32 v41, v16, v32, v19
	v_mbcnt_lo_u32_b32 v16, -1, 0
	v_mbcnt_hi_u32_b32 v38, -1, v16
	v_and_b32_e32 v16, 15, v38
	v_cmp_eq_u32_e64 s[14:15], 0, v16
	v_cmp_lt_u32_e64 s[12:13], 1, v16
	v_cmp_lt_u32_e64 s[10:11], 3, v16
	;; [unrolled: 1-line block ×3, first 2 shown]
	v_and_b32_e32 v16, 16, v38
	v_cmp_eq_u32_e64 s[6:7], 0, v16
	v_or_b32_e32 v16, 63, v0
	s_cmp_lg_u32 s40, 0
	v_cmp_lt_u32_e64 s[2:3], 31, v38
	v_lshrrev_b32_e32 v40, 6, v0
	v_cmp_eq_u32_e64 s[4:5], v16, v0
	s_barrier
	s_cbranch_scc0 .LBB410_67
; %bb.41:
	v_mov_b32_dpp v16, v41 row_shr:1 row_mask:0xf bank_mask:0xf
	v_cndmask_b32_e64 v16, v16, 0, s[14:15]
	v_add_u32_e32 v16, v16, v41
	s_nop 1
	v_mov_b32_dpp v17, v16 row_shr:2 row_mask:0xf bank_mask:0xf
	v_cndmask_b32_e64 v17, 0, v17, s[12:13]
	v_add_u32_e32 v16, v16, v17
	s_nop 1
	;; [unrolled: 4-line block ×4, first 2 shown]
	v_mov_b32_dpp v17, v16 row_bcast:15 row_mask:0xf bank_mask:0xf
	v_cndmask_b32_e64 v17, v17, 0, s[6:7]
	v_add_u32_e32 v16, v16, v17
	s_nop 1
	v_mov_b32_dpp v17, v16 row_bcast:31 row_mask:0xf bank_mask:0xf
	v_cndmask_b32_e64 v17, 0, v17, s[2:3]
	v_add_u32_e32 v16, v16, v17
	s_and_saveexec_b64 s[0:1], s[4:5]
	s_cbranch_execz .LBB410_43
; %bb.42:
	v_lshlrev_b32_e32 v17, 2, v40
	ds_write_b32 v17, v16
.LBB410_43:
	s_or_b64 exec, exec, s[0:1]
	v_cmp_gt_u32_e32 vcc, 8, v0
	s_waitcnt lgkmcnt(0)
	s_barrier
	s_and_saveexec_b64 s[0:1], vcc
	s_cbranch_execz .LBB410_45
; %bb.44:
	v_lshlrev_b32_e32 v17, 2, v0
	ds_read_b32 v24, v17
	v_and_b32_e32 v25, 7, v38
	v_cmp_ne_u32_e32 vcc, 0, v25
	s_waitcnt lgkmcnt(0)
	v_mov_b32_dpp v26, v24 row_shr:1 row_mask:0xf bank_mask:0xf
	v_cndmask_b32_e32 v26, 0, v26, vcc
	v_add_u32_e32 v24, v26, v24
	v_cmp_lt_u32_e32 vcc, 1, v25
	s_nop 0
	v_mov_b32_dpp v26, v24 row_shr:2 row_mask:0xf bank_mask:0xf
	v_cndmask_b32_e32 v26, 0, v26, vcc
	v_add_u32_e32 v24, v24, v26
	v_cmp_lt_u32_e32 vcc, 3, v25
	s_nop 0
	v_mov_b32_dpp v26, v24 row_shr:4 row_mask:0xf bank_mask:0xf
	v_cndmask_b32_e32 v25, 0, v26, vcc
	v_add_u32_e32 v24, v24, v25
	ds_write_b32 v17, v24
.LBB410_45:
	s_or_b64 exec, exec, s[0:1]
	v_cmp_gt_u32_e32 vcc, 64, v0
	v_cmp_lt_u32_e64 s[0:1], 63, v0
	s_waitcnt lgkmcnt(0)
	s_barrier
	s_waitcnt lgkmcnt(0)
                                        ; implicit-def: $vgpr42
	s_and_saveexec_b64 s[16:17], s[0:1]
	s_cbranch_execz .LBB410_47
; %bb.46:
	v_lshl_add_u32 v17, v40, 2, -4
	ds_read_b32 v42, v17
	s_waitcnt lgkmcnt(0)
	v_add_u32_e32 v16, v42, v16
.LBB410_47:
	s_or_b64 exec, exec, s[16:17]
	v_add_u32_e32 v17, -1, v38
	v_and_b32_e32 v24, 64, v38
	v_cmp_lt_i32_e64 s[0:1], v17, v24
	v_cmp_eq_u32_e64 s[16:17], 0, v38
	s_nop 0
	v_cndmask_b32_e64 v17, v17, v38, s[0:1]
	v_lshlrev_b32_e32 v17, 2, v17
	ds_bpermute_b32 v43, v17, v16
	s_and_saveexec_b64 s[0:1], vcc
	s_cbranch_execz .LBB410_66
; %bb.48:
	v_mov_b32_e32 v29, 0
	ds_read_b32 v16, v29 offset:28
	s_and_saveexec_b64 s[36:37], s[16:17]
	s_cbranch_execz .LBB410_50
; %bb.49:
	s_add_i32 s38, s40, 64
	s_mov_b32 s39, 0
	s_lshl_b64 s[38:39], s[38:39], 3
	s_add_u32 s38, s34, s38
	v_mov_b32_e32 v17, 1
	s_addc_u32 s39, s35, s39
	s_waitcnt lgkmcnt(0)
	global_store_dwordx2 v29, v[16:17], s[38:39] sc1
.LBB410_50:
	s_or_b64 exec, exec, s[36:37]
	v_xad_u32 v24, v38, -1, s40
	v_add_u32_e32 v28, 64, v24
	v_lshl_add_u64 v[30:31], v[28:29], 3, s[34:35]
	global_load_dwordx2 v[26:27], v[30:31], off sc1
	s_waitcnt vmcnt(0)
	v_cmp_eq_u16_sdwa s[38:39], v27, v29 src0_sel:BYTE_0 src1_sel:DWORD
	s_and_saveexec_b64 s[36:37], s[38:39]
	s_cbranch_execz .LBB410_54
; %bb.51:
	s_mov_b64 s[38:39], 0
	v_mov_b32_e32 v17, 0
.LBB410_52:                             ; =>This Inner Loop Header: Depth=1
	global_load_dwordx2 v[26:27], v[30:31], off sc1
	s_waitcnt vmcnt(0)
	v_cmp_ne_u16_sdwa s[42:43], v27, v17 src0_sel:BYTE_0 src1_sel:DWORD
	s_or_b64 s[38:39], s[42:43], s[38:39]
	s_andn2_b64 exec, exec, s[38:39]
	s_cbranch_execnz .LBB410_52
; %bb.53:
	s_or_b64 exec, exec, s[38:39]
.LBB410_54:
	s_or_b64 exec, exec, s[36:37]
	v_and_b32_e32 v45, 63, v38
	v_mov_b32_e32 v44, 2
	v_cmp_ne_u32_e32 vcc, 63, v45
	v_cmp_eq_u16_sdwa s[36:37], v27, v44 src0_sel:BYTE_0 src1_sel:DWORD
	v_lshlrev_b64 v[28:29], v38, -1
	v_addc_co_u32_e32 v30, vcc, 0, v38, vcc
	v_and_b32_e32 v17, s37, v29
	v_lshlrev_b32_e32 v46, 2, v30
	v_or_b32_e32 v17, 0x80000000, v17
	ds_bpermute_b32 v30, v46, v26
	v_and_b32_e32 v25, s36, v28
	v_ffbl_b32_e32 v17, v17
	v_add_u32_e32 v17, 32, v17
	v_ffbl_b32_e32 v25, v25
	v_min_u32_e32 v17, v25, v17
	v_cmp_lt_u32_e32 vcc, v45, v17
	v_add_u32_e32 v48, 2, v45
	v_add_u32_e32 v50, 4, v45
	s_waitcnt lgkmcnt(0)
	v_cndmask_b32_e32 v25, 0, v30, vcc
	v_cmp_gt_u32_e32 vcc, 62, v45
	v_add_u32_e32 v25, v25, v26
	v_add_u32_e32 v52, 8, v45
	v_cndmask_b32_e64 v26, 0, 1, vcc
	v_lshlrev_b32_e32 v26, 1, v26
	v_add_lshl_u32 v47, v26, v38, 2
	ds_bpermute_b32 v26, v47, v25
	v_cmp_le_u32_e32 vcc, v48, v17
	v_add_u32_e32 v54, 16, v45
	v_add_u32_e32 v56, 32, v45
	s_waitcnt lgkmcnt(0)
	v_cndmask_b32_e32 v26, 0, v26, vcc
	v_cmp_gt_u32_e32 vcc, 60, v45
	v_add_u32_e32 v25, v25, v26
	s_nop 0
	v_cndmask_b32_e64 v26, 0, 1, vcc
	v_lshlrev_b32_e32 v26, 2, v26
	v_add_lshl_u32 v49, v26, v38, 2
	ds_bpermute_b32 v26, v49, v25
	v_cmp_le_u32_e32 vcc, v50, v17
	s_waitcnt lgkmcnt(0)
	s_nop 0
	v_cndmask_b32_e32 v26, 0, v26, vcc
	v_cmp_gt_u32_e32 vcc, 56, v45
	v_add_u32_e32 v25, v25, v26
	s_nop 0
	v_cndmask_b32_e64 v26, 0, 1, vcc
	v_lshlrev_b32_e32 v26, 3, v26
	v_add_lshl_u32 v51, v26, v38, 2
	ds_bpermute_b32 v26, v51, v25
	v_cmp_le_u32_e32 vcc, v52, v17
	s_waitcnt lgkmcnt(0)
	s_nop 0
	;; [unrolled: 11-line block ×4, first 2 shown]
	v_cndmask_b32_e32 v17, 0, v26, vcc
	v_add_u32_e32 v26, v25, v17
	v_mov_b32_e32 v25, 0
	s_branch .LBB410_56
.LBB410_55:                             ;   in Loop: Header=BB410_56 Depth=1
	s_or_b64 exec, exec, s[36:37]
	v_cmp_eq_u16_sdwa s[36:37], v27, v44 src0_sel:BYTE_0 src1_sel:DWORD
	ds_bpermute_b32 v57, v46, v26
	v_subrev_u32_e32 v24, 64, v24
	v_and_b32_e32 v30, s37, v29
	v_or_b32_e32 v30, 0x80000000, v30
	v_and_b32_e32 v31, s36, v28
	v_ffbl_b32_e32 v30, v30
	v_add_u32_e32 v30, 32, v30
	v_ffbl_b32_e32 v31, v31
	v_min_u32_e32 v30, v31, v30
	v_cmp_lt_u32_e32 vcc, v45, v30
	s_waitcnt lgkmcnt(0)
	s_nop 0
	v_cndmask_b32_e32 v31, 0, v57, vcc
	v_add_u32_e32 v26, v31, v26
	ds_bpermute_b32 v31, v47, v26
	v_cmp_le_u32_e32 vcc, v48, v30
	s_waitcnt lgkmcnt(0)
	s_nop 0
	v_cndmask_b32_e32 v31, 0, v31, vcc
	v_add_u32_e32 v26, v26, v31
	ds_bpermute_b32 v31, v49, v26
	v_cmp_le_u32_e32 vcc, v50, v30
	;; [unrolled: 6-line block ×5, first 2 shown]
	s_waitcnt lgkmcnt(0)
	s_nop 0
	v_cndmask_b32_e32 v30, 0, v31, vcc
	v_add3_u32 v26, v30, v17, v26
.LBB410_56:                             ; =>This Loop Header: Depth=1
                                        ;     Child Loop BB410_59 Depth 2
	v_cmp_ne_u16_sdwa s[36:37], v27, v44 src0_sel:BYTE_0 src1_sel:DWORD
	s_nop 1
	v_cndmask_b32_e64 v17, 0, 1, s[36:37]
	;;#ASMSTART
	;;#ASMEND
	s_nop 0
	v_cmp_ne_u32_e32 vcc, 0, v17
	s_cmp_lg_u64 vcc, exec
	v_mov_b32_e32 v17, v26
	s_cbranch_scc1 .LBB410_61
; %bb.57:                               ;   in Loop: Header=BB410_56 Depth=1
	v_lshl_add_u64 v[30:31], v[24:25], 3, s[34:35]
	global_load_dwordx2 v[26:27], v[30:31], off sc1
	s_waitcnt vmcnt(0)
	v_cmp_eq_u16_sdwa s[38:39], v27, v25 src0_sel:BYTE_0 src1_sel:DWORD
	s_and_saveexec_b64 s[36:37], s[38:39]
	s_cbranch_execz .LBB410_55
; %bb.58:                               ;   in Loop: Header=BB410_56 Depth=1
	s_mov_b64 s[38:39], 0
.LBB410_59:                             ;   Parent Loop BB410_56 Depth=1
                                        ; =>  This Inner Loop Header: Depth=2
	global_load_dwordx2 v[26:27], v[30:31], off sc1
	s_waitcnt vmcnt(0)
	v_cmp_ne_u16_sdwa s[42:43], v27, v25 src0_sel:BYTE_0 src1_sel:DWORD
	s_or_b64 s[38:39], s[42:43], s[38:39]
	s_andn2_b64 exec, exec, s[38:39]
	s_cbranch_execnz .LBB410_59
; %bb.60:                               ;   in Loop: Header=BB410_56 Depth=1
	s_or_b64 exec, exec, s[38:39]
	s_branch .LBB410_55
.LBB410_61:                             ;   in Loop: Header=BB410_56 Depth=1
                                        ; implicit-def: $vgpr26
                                        ; implicit-def: $vgpr27
	s_cbranch_execz .LBB410_56
; %bb.62:
	s_and_saveexec_b64 s[36:37], s[16:17]
	s_cbranch_execz .LBB410_64
; %bb.63:
	s_add_i32 s38, s40, 64
	s_mov_b32 s39, 0
	s_lshl_b64 s[38:39], s[38:39], 3
	s_add_u32 s38, s34, s38
	v_add_u32_e32 v24, v17, v16
	v_mov_b32_e32 v25, 2
	s_addc_u32 s39, s35, s39
	v_mov_b32_e32 v26, 0
	global_store_dwordx2 v26, v[24:25], s[38:39] sc1
	ds_write_b64 v26, v[16:17] offset:28672
.LBB410_64:
	s_or_b64 exec, exec, s[36:37]
	s_and_b64 exec, exec, s[18:19]
	s_cbranch_execz .LBB410_66
; %bb.65:
	v_mov_b32_e32 v16, 0
	ds_write_b32 v16, v17 offset:28
.LBB410_66:
	s_or_b64 exec, exec, s[0:1]
	v_mov_b32_e32 v16, 0
	s_waitcnt lgkmcnt(0)
	s_barrier
	ds_read_b32 v17, v16 offset:28
	v_cndmask_b32_e64 v24, v43, v42, s[16:17]
	v_cndmask_b32_e64 v24, v24, 0, s[18:19]
	s_waitcnt lgkmcnt(0)
	s_barrier
	v_add_u32_e32 v31, v17, v24
	v_add_u32_e32 v30, v31, v37
	ds_read_b64 v[16:17], v16 offset:28672
	v_add_u32_e32 v29, v30, v36
	v_add_u32_e32 v27, v29, v35
	;; [unrolled: 1-line block ×5, first 2 shown]
	s_waitcnt lgkmcnt(0)
	v_mov_b32_e32 v24, v17
	s_branch .LBB410_77
.LBB410_67:
                                        ; implicit-def: $vgpr24
                                        ; implicit-def: $vgpr16
                                        ; implicit-def: $vgpr25
                                        ; implicit-def: $vgpr26
                                        ; implicit-def: $vgpr28
                                        ; implicit-def: $vgpr27
                                        ; implicit-def: $vgpr29
                                        ; implicit-def: $vgpr30
                                        ; implicit-def: $vgpr31
	s_cbranch_execz .LBB410_77
; %bb.68:
	s_nop 0
	v_mov_b32_dpp v16, v41 row_shr:1 row_mask:0xf bank_mask:0xf
	v_cndmask_b32_e64 v16, v16, 0, s[14:15]
	v_add_u32_e32 v16, v16, v41
	s_nop 1
	v_mov_b32_dpp v17, v16 row_shr:2 row_mask:0xf bank_mask:0xf
	v_cndmask_b32_e64 v17, 0, v17, s[12:13]
	v_add_u32_e32 v16, v16, v17
	;; [unrolled: 4-line block ×4, first 2 shown]
	s_nop 1
	v_mov_b32_dpp v17, v16 row_bcast:15 row_mask:0xf bank_mask:0xf
	v_cndmask_b32_e64 v17, v17, 0, s[6:7]
	v_add_u32_e32 v16, v16, v17
	s_nop 1
	v_mov_b32_dpp v17, v16 row_bcast:31 row_mask:0xf bank_mask:0xf
	v_cndmask_b32_e64 v17, 0, v17, s[2:3]
	v_add_u32_e32 v16, v16, v17
	s_and_saveexec_b64 s[0:1], s[4:5]
	s_cbranch_execz .LBB410_70
; %bb.69:
	v_lshlrev_b32_e32 v17, 2, v40
	ds_write_b32 v17, v16
.LBB410_70:
	s_or_b64 exec, exec, s[0:1]
	v_cmp_gt_u32_e32 vcc, 8, v0
	s_waitcnt lgkmcnt(0)
	s_barrier
	s_and_saveexec_b64 s[0:1], vcc
	s_cbranch_execz .LBB410_72
; %bb.71:
	v_mad_i32_i24 v17, v0, -3, v39
	ds_read_b32 v24, v17
	v_and_b32_e32 v25, 7, v38
	v_cmp_ne_u32_e32 vcc, 0, v25
	s_waitcnt lgkmcnt(0)
	v_mov_b32_dpp v26, v24 row_shr:1 row_mask:0xf bank_mask:0xf
	v_cndmask_b32_e32 v26, 0, v26, vcc
	v_add_u32_e32 v24, v26, v24
	v_cmp_lt_u32_e32 vcc, 1, v25
	s_nop 0
	v_mov_b32_dpp v26, v24 row_shr:2 row_mask:0xf bank_mask:0xf
	v_cndmask_b32_e32 v26, 0, v26, vcc
	v_add_u32_e32 v24, v24, v26
	v_cmp_lt_u32_e32 vcc, 3, v25
	s_nop 0
	v_mov_b32_dpp v26, v24 row_shr:4 row_mask:0xf bank_mask:0xf
	v_cndmask_b32_e32 v25, 0, v26, vcc
	v_add_u32_e32 v24, v24, v25
	ds_write_b32 v17, v24
.LBB410_72:
	s_or_b64 exec, exec, s[0:1]
	v_cmp_lt_u32_e32 vcc, 63, v0
	v_mov_b32_e32 v17, 0
	v_mov_b32_e32 v24, 0
	s_waitcnt lgkmcnt(0)
	s_barrier
	s_and_saveexec_b64 s[0:1], vcc
	s_cbranch_execz .LBB410_74
; %bb.73:
	v_lshl_add_u32 v24, v40, 2, -4
	ds_read_b32 v24, v24
.LBB410_74:
	s_or_b64 exec, exec, s[0:1]
	v_add_u32_e32 v25, -1, v38
	v_and_b32_e32 v26, 64, v38
	v_cmp_lt_i32_e32 vcc, v25, v26
	s_waitcnt lgkmcnt(0)
	v_add_u32_e32 v16, v24, v16
	v_cndmask_b32_e32 v25, v25, v38, vcc
	v_lshlrev_b32_e32 v25, 2, v25
	ds_bpermute_b32 v25, v25, v16
	ds_read_b32 v16, v17 offset:28
	s_and_saveexec_b64 s[0:1], s[18:19]
	s_cbranch_execz .LBB410_76
; %bb.75:
	v_mov_b32_e32 v26, 0
	v_mov_b32_e32 v17, 2
	s_waitcnt lgkmcnt(0)
	global_store_dwordx2 v26, v[16:17], s[34:35] offset:512 sc1
.LBB410_76:
	s_or_b64 exec, exec, s[0:1]
	v_cmp_eq_u32_e32 vcc, 0, v38
	s_waitcnt lgkmcnt(0)
	s_barrier
	v_cndmask_b32_e32 v17, v25, v24, vcc
	v_cndmask_b32_e64 v31, v17, 0, s[18:19]
	v_add_u32_e32 v30, v31, v37
	v_add_u32_e32 v29, v30, v36
	;; [unrolled: 1-line block ×5, first 2 shown]
	v_mov_b32_e32 v24, 0
	v_add_u32_e32 v25, v26, v32
.LBB410_77:
	v_add_u32_e32 v1, v16, v1
	v_sub_u32_e32 v17, v31, v24
	v_sub_u32_e32 v31, v1, v17
	v_cmp_eq_u32_e32 vcc, 1, v37
	s_nop 1
	v_cndmask_b32_e32 v17, v31, v17, vcc
	v_lshlrev_b32_e32 v17, 3, v17
	ds_write_b64 v17, v[10:11]
	v_sub_u32_e32 v10, v30, v24
	v_sub_u32_e32 v11, v1, v10
	v_add_u32_e32 v11, 1, v11
	v_cmp_eq_u32_e32 vcc, 1, v36
	v_or_b32_e32 v31, 0x400, v0
	v_or_b32_e32 v30, 0x600, v0
	v_cndmask_b32_e32 v10, v11, v10, vcc
	v_lshlrev_b32_e32 v10, 3, v10
	ds_write_b64 v10, v[12:13]
	v_sub_u32_e32 v10, v29, v24
	v_sub_u32_e32 v11, v1, v10
	v_add_u32_e32 v11, 2, v11
	v_cmp_eq_u32_e32 vcc, 1, v35
	v_or_b32_e32 v29, 0x800, v0
	s_nop 0
	v_cndmask_b32_e32 v10, v11, v10, vcc
	v_lshlrev_b32_e32 v10, 3, v10
	ds_write_b64 v10, v[6:7]
	v_sub_u32_e32 v6, v27, v24
	v_sub_u32_e32 v7, v1, v6
	v_add_u32_e32 v7, 3, v7
	v_cmp_eq_u32_e32 vcc, 1, v34
	s_nop 1
	v_cndmask_b32_e32 v6, v7, v6, vcc
	v_lshlrev_b32_e32 v6, 3, v6
	ds_write_b64 v6, v[8:9]
	v_sub_u32_e32 v6, v28, v24
	v_sub_u32_e32 v7, v1, v6
	v_add_u32_e32 v7, 4, v7
	v_cmp_eq_u32_e32 vcc, 1, v33
	v_or_b32_e32 v28, 0xa00, v0
	s_nop 0
	v_cndmask_b32_e32 v6, v7, v6, vcc
	v_lshlrev_b32_e32 v6, 3, v6
	ds_write_b64 v6, v[2:3]
	v_sub_u32_e32 v2, v26, v24
	v_sub_u32_e32 v3, v1, v2
	v_add_u32_e32 v3, 5, v3
	v_cmp_eq_u32_e32 vcc, 1, v32
	v_or_b32_e32 v32, 0x200, v0
	s_nop 0
	v_cndmask_b32_e32 v2, v3, v2, vcc
	v_lshlrev_b32_e32 v2, 3, v2
	ds_write_b64 v2, v[4:5]
	v_sub_u32_e32 v2, v25, v24
	v_sub_u32_e32 v1, v1, v2
	v_add_u32_e32 v1, 6, v1
	v_cmp_eq_u32_e32 vcc, 1, v19
	v_mov_b32_e32 v25, 0
	s_waitcnt vmcnt(0)
	v_lshl_add_u64 v[34:35], v[20:21], 0, v[24:25]
	v_cndmask_b32_e32 v1, v1, v2, vcc
	v_lshlrev_b32_e32 v1, 3, v1
	v_mov_b32_e32 v17, v25
	ds_write_b64 v1, v[14:15]
	v_lshl_add_u64 v[14:15], v[34:35], 0, v[16:17]
	v_mov_b32_e32 v17, s31
	v_sub_co_u32_e32 v20, vcc, s30, v14
	s_waitcnt lgkmcnt(0)
	s_barrier
	ds_read2st64_b64 v[10:13], v18 offset1:8
	ds_read2st64_b64 v[6:9], v18 offset0:16 offset1:24
	ds_read2st64_b64 v[2:5], v18 offset0:32 offset1:40
	ds_read_b64 v[26:27], v18 offset:24576
	v_subb_co_u32_e32 v21, vcc, v17, v15, vcc
	v_lshlrev_b64 v[20:21], 3, v[20:21]
	v_lshl_add_u64 v[20:21], s[26:27], 0, v[20:21]
	v_lshl_add_u64 v[20:21], v[20:21], 0, v[22:23]
	v_lshlrev_b64 v[22:23], 3, v[34:35]
	v_or_b32_e32 v1, 0xc00, v0
	s_andn2_b64 vcc, exec, s[28:29]
	v_lshl_add_u64 v[22:23], s[24:25], 0, v[22:23]
	s_cbranch_vccnz .LBB410_79
; %bb.78:
	v_cmp_lt_u32_e32 vcc, v0, v16
	v_mov_b32_e32 v19, v25
	v_lshlrev_b32_e32 v24, 3, v32
	v_cndmask_b32_e32 v35, v21, v23, vcc
	v_cndmask_b32_e32 v34, v20, v22, vcc
	v_lshl_add_u64 v[34:35], v[34:35], 0, v[18:19]
	v_cmp_lt_u32_e32 vcc, v32, v16
	s_waitcnt lgkmcnt(3)
	global_store_dwordx2 v[34:35], v[10:11], off
	v_cndmask_b32_e32 v35, v21, v23, vcc
	v_cndmask_b32_e32 v34, v20, v22, vcc
	v_lshl_add_u64 v[34:35], v[34:35], 0, v[24:25]
	v_cmp_lt_u32_e32 vcc, v31, v16
	global_store_dwordx2 v[34:35], v[12:13], off
	v_lshlrev_b32_e32 v24, 3, v31
	v_cndmask_b32_e32 v35, v21, v23, vcc
	v_cndmask_b32_e32 v34, v20, v22, vcc
	v_lshl_add_u64 v[34:35], v[34:35], 0, v[24:25]
	v_cmp_lt_u32_e32 vcc, v30, v16
	s_waitcnt lgkmcnt(2)
	global_store_dwordx2 v[34:35], v[6:7], off
	v_lshlrev_b32_e32 v24, 3, v30
	v_cndmask_b32_e32 v35, v21, v23, vcc
	v_cndmask_b32_e32 v34, v20, v22, vcc
	v_lshl_add_u64 v[34:35], v[34:35], 0, v[24:25]
	v_cmp_lt_u32_e32 vcc, v29, v16
	global_store_dwordx2 v[34:35], v[8:9], off
	v_lshlrev_b32_e32 v24, 3, v29
	v_cndmask_b32_e32 v35, v21, v23, vcc
	v_cndmask_b32_e32 v34, v20, v22, vcc
	v_lshl_add_u64 v[34:35], v[34:35], 0, v[24:25]
	v_cmp_lt_u32_e32 vcc, v28, v16
	s_waitcnt lgkmcnt(1)
	global_store_dwordx2 v[34:35], v[2:3], off
	v_lshlrev_b32_e32 v24, 3, v28
	v_cndmask_b32_e32 v35, v21, v23, vcc
	v_cndmask_b32_e32 v34, v20, v22, vcc
	v_lshl_add_u64 v[24:25], v[34:35], 0, v[24:25]
	s_mov_b64 s[0:1], -1
	global_store_dwordx2 v[24:25], v[4:5], off
	s_cbranch_execz .LBB410_80
	s_branch .LBB410_88
.LBB410_79:
	s_mov_b64 s[0:1], 0
.LBB410_80:
	v_cmp_gt_u32_e32 vcc, s33, v0
	s_and_saveexec_b64 s[0:1], vcc
	s_cbranch_execnz .LBB410_93
; %bb.81:
	s_or_b64 exec, exec, s[0:1]
	v_cmp_gt_u32_e32 vcc, s33, v32
	s_and_saveexec_b64 s[0:1], vcc
	s_cbranch_execnz .LBB410_94
.LBB410_82:
	s_or_b64 exec, exec, s[0:1]
	v_cmp_gt_u32_e32 vcc, s33, v31
	s_and_saveexec_b64 s[0:1], vcc
	s_cbranch_execnz .LBB410_95
.LBB410_83:
	s_or_b64 exec, exec, s[0:1]
	v_cmp_gt_u32_e32 vcc, s33, v30
	s_and_saveexec_b64 s[0:1], vcc
	s_cbranch_execnz .LBB410_96
.LBB410_84:
	s_or_b64 exec, exec, s[0:1]
	v_cmp_gt_u32_e32 vcc, s33, v29
	s_and_saveexec_b64 s[0:1], vcc
	s_cbranch_execnz .LBB410_97
.LBB410_85:
	s_or_b64 exec, exec, s[0:1]
	v_cmp_gt_u32_e32 vcc, s33, v28
	s_and_saveexec_b64 s[0:1], vcc
	s_cbranch_execz .LBB410_87
.LBB410_86:
	v_cmp_lt_u32_e32 vcc, v28, v16
	s_waitcnt lgkmcnt(2)
	v_lshlrev_b32_e32 v6, 3, v28
	v_mov_b32_e32 v7, 0
	s_waitcnt lgkmcnt(1)
	v_cndmask_b32_e32 v3, v21, v23, vcc
	v_cndmask_b32_e32 v2, v20, v22, vcc
	v_lshl_add_u64 v[2:3], v[2:3], 0, v[6:7]
	global_store_dwordx2 v[2:3], v[4:5], off
.LBB410_87:
	s_or_b64 exec, exec, s[0:1]
	v_cmp_gt_u32_e64 s[0:1], s33, v1
.LBB410_88:
	s_and_saveexec_b64 s[2:3], s[0:1]
	s_cbranch_execnz .LBB410_91
; %bb.89:
	s_or_b64 exec, exec, s[2:3]
	s_and_b64 s[0:1], s[18:19], s[22:23]
	s_and_saveexec_b64 s[2:3], s[0:1]
	s_cbranch_execnz .LBB410_92
.LBB410_90:
	s_endpgm
.LBB410_91:
	v_cmp_lt_u32_e32 vcc, v1, v16
	v_lshlrev_b32_e32 v0, 3, v1
	v_mov_b32_e32 v1, 0
	s_waitcnt lgkmcnt(1)
	v_cndmask_b32_e32 v3, v21, v23, vcc
	v_cndmask_b32_e32 v2, v20, v22, vcc
	v_lshl_add_u64 v[0:1], v[2:3], 0, v[0:1]
	s_waitcnt lgkmcnt(0)
	global_store_dwordx2 v[0:1], v[26:27], off
	s_or_b64 exec, exec, s[2:3]
	s_and_b64 s[0:1], s[18:19], s[22:23]
	s_and_saveexec_b64 s[2:3], s[0:1]
	s_cbranch_execz .LBB410_90
.LBB410_92:
	v_mov_b32_e32 v0, 0
	global_store_dwordx2 v0, v[14:15], s[20:21]
	s_endpgm
.LBB410_93:
	v_cmp_lt_u32_e32 vcc, v0, v16
	v_mov_b32_e32 v19, 0
	s_nop 0
	v_cndmask_b32_e32 v25, v21, v23, vcc
	v_cndmask_b32_e32 v24, v20, v22, vcc
	v_lshl_add_u64 v[18:19], v[24:25], 0, v[18:19]
	s_waitcnt lgkmcnt(3)
	global_store_dwordx2 v[18:19], v[10:11], off
	s_or_b64 exec, exec, s[0:1]
	v_cmp_gt_u32_e32 vcc, s33, v32
	s_and_saveexec_b64 s[0:1], vcc
	s_cbranch_execz .LBB410_82
.LBB410_94:
	v_cmp_lt_u32_e32 vcc, v32, v16
	v_lshlrev_b32_e32 v18, 3, v32
	v_mov_b32_e32 v19, 0
	s_waitcnt lgkmcnt(3)
	v_cndmask_b32_e32 v11, v21, v23, vcc
	v_cndmask_b32_e32 v10, v20, v22, vcc
	v_lshl_add_u64 v[10:11], v[10:11], 0, v[18:19]
	global_store_dwordx2 v[10:11], v[12:13], off
	s_or_b64 exec, exec, s[0:1]
	v_cmp_gt_u32_e32 vcc, s33, v31
	s_and_saveexec_b64 s[0:1], vcc
	s_cbranch_execz .LBB410_83
.LBB410_95:
	v_cmp_lt_u32_e32 vcc, v31, v16
	s_waitcnt lgkmcnt(3)
	v_lshlrev_b32_e32 v12, 3, v31
	v_mov_b32_e32 v13, 0
	v_cndmask_b32_e32 v11, v21, v23, vcc
	v_cndmask_b32_e32 v10, v20, v22, vcc
	v_lshl_add_u64 v[10:11], v[10:11], 0, v[12:13]
	s_waitcnt lgkmcnt(2)
	global_store_dwordx2 v[10:11], v[6:7], off
	s_or_b64 exec, exec, s[0:1]
	v_cmp_gt_u32_e32 vcc, s33, v30
	s_and_saveexec_b64 s[0:1], vcc
	s_cbranch_execz .LBB410_84
.LBB410_96:
	v_cmp_lt_u32_e32 vcc, v30, v16
	s_waitcnt lgkmcnt(3)
	v_lshlrev_b32_e32 v10, 3, v30
	v_mov_b32_e32 v11, 0
	s_waitcnt lgkmcnt(2)
	v_cndmask_b32_e32 v7, v21, v23, vcc
	v_cndmask_b32_e32 v6, v20, v22, vcc
	v_lshl_add_u64 v[6:7], v[6:7], 0, v[10:11]
	global_store_dwordx2 v[6:7], v[8:9], off
	s_or_b64 exec, exec, s[0:1]
	v_cmp_gt_u32_e32 vcc, s33, v29
	s_and_saveexec_b64 s[0:1], vcc
	s_cbranch_execz .LBB410_85
.LBB410_97:
	v_cmp_lt_u32_e32 vcc, v29, v16
	s_waitcnt lgkmcnt(2)
	v_lshlrev_b32_e32 v8, 3, v29
	v_mov_b32_e32 v9, 0
	v_cndmask_b32_e32 v7, v21, v23, vcc
	v_cndmask_b32_e32 v6, v20, v22, vcc
	v_lshl_add_u64 v[6:7], v[6:7], 0, v[8:9]
	s_waitcnt lgkmcnt(1)
	global_store_dwordx2 v[6:7], v[2:3], off
	s_or_b64 exec, exec, s[0:1]
	v_cmp_gt_u32_e32 vcc, s33, v28
	s_and_saveexec_b64 s[0:1], vcc
	s_cbranch_execnz .LBB410_86
	s_branch .LBB410_87
	.section	.rodata,"a",@progbits
	.p2align	6, 0x0
	.amdhsa_kernel _ZN7rocprim17ROCPRIM_400000_NS6detail17trampoline_kernelINS0_14default_configENS1_25partition_config_selectorILNS1_17partition_subalgoE1ExNS0_10empty_typeEbEEZZNS1_14partition_implILS5_1ELb0ES3_jN6thrust23THRUST_200600_302600_NS6detail15normal_iteratorINSA_10device_ptrIxEEEEPS6_NSA_18transform_iteratorI7is_evenIxESF_NSA_11use_defaultESK_EENS0_5tupleIJSF_SF_EEENSM_IJSG_SG_EEES6_PlJS6_EEE10hipError_tPvRmT3_T4_T5_T6_T7_T9_mT8_P12ihipStream_tbDpT10_ENKUlT_T0_E_clISt17integral_constantIbLb0EES18_IbLb1EEEEDaS14_S15_EUlS14_E_NS1_11comp_targetILNS1_3genE5ELNS1_11target_archE942ELNS1_3gpuE9ELNS1_3repE0EEENS1_30default_config_static_selectorELNS0_4arch9wavefront6targetE1EEEvT1_
		.amdhsa_group_segment_fixed_size 28680
		.amdhsa_private_segment_fixed_size 0
		.amdhsa_kernarg_size 144
		.amdhsa_user_sgpr_count 2
		.amdhsa_user_sgpr_dispatch_ptr 0
		.amdhsa_user_sgpr_queue_ptr 0
		.amdhsa_user_sgpr_kernarg_segment_ptr 1
		.amdhsa_user_sgpr_dispatch_id 0
		.amdhsa_user_sgpr_kernarg_preload_length 0
		.amdhsa_user_sgpr_kernarg_preload_offset 0
		.amdhsa_user_sgpr_private_segment_size 0
		.amdhsa_uses_dynamic_stack 0
		.amdhsa_enable_private_segment 0
		.amdhsa_system_sgpr_workgroup_id_x 1
		.amdhsa_system_sgpr_workgroup_id_y 0
		.amdhsa_system_sgpr_workgroup_id_z 0
		.amdhsa_system_sgpr_workgroup_info 0
		.amdhsa_system_vgpr_workitem_id 0
		.amdhsa_next_free_vgpr 58
		.amdhsa_next_free_sgpr 44
		.amdhsa_accum_offset 60
		.amdhsa_reserve_vcc 1
		.amdhsa_float_round_mode_32 0
		.amdhsa_float_round_mode_16_64 0
		.amdhsa_float_denorm_mode_32 3
		.amdhsa_float_denorm_mode_16_64 3
		.amdhsa_dx10_clamp 1
		.amdhsa_ieee_mode 1
		.amdhsa_fp16_overflow 0
		.amdhsa_tg_split 0
		.amdhsa_exception_fp_ieee_invalid_op 0
		.amdhsa_exception_fp_denorm_src 0
		.amdhsa_exception_fp_ieee_div_zero 0
		.amdhsa_exception_fp_ieee_overflow 0
		.amdhsa_exception_fp_ieee_underflow 0
		.amdhsa_exception_fp_ieee_inexact 0
		.amdhsa_exception_int_div_zero 0
	.end_amdhsa_kernel
	.section	.text._ZN7rocprim17ROCPRIM_400000_NS6detail17trampoline_kernelINS0_14default_configENS1_25partition_config_selectorILNS1_17partition_subalgoE1ExNS0_10empty_typeEbEEZZNS1_14partition_implILS5_1ELb0ES3_jN6thrust23THRUST_200600_302600_NS6detail15normal_iteratorINSA_10device_ptrIxEEEEPS6_NSA_18transform_iteratorI7is_evenIxESF_NSA_11use_defaultESK_EENS0_5tupleIJSF_SF_EEENSM_IJSG_SG_EEES6_PlJS6_EEE10hipError_tPvRmT3_T4_T5_T6_T7_T9_mT8_P12ihipStream_tbDpT10_ENKUlT_T0_E_clISt17integral_constantIbLb0EES18_IbLb1EEEEDaS14_S15_EUlS14_E_NS1_11comp_targetILNS1_3genE5ELNS1_11target_archE942ELNS1_3gpuE9ELNS1_3repE0EEENS1_30default_config_static_selectorELNS0_4arch9wavefront6targetE1EEEvT1_,"axG",@progbits,_ZN7rocprim17ROCPRIM_400000_NS6detail17trampoline_kernelINS0_14default_configENS1_25partition_config_selectorILNS1_17partition_subalgoE1ExNS0_10empty_typeEbEEZZNS1_14partition_implILS5_1ELb0ES3_jN6thrust23THRUST_200600_302600_NS6detail15normal_iteratorINSA_10device_ptrIxEEEEPS6_NSA_18transform_iteratorI7is_evenIxESF_NSA_11use_defaultESK_EENS0_5tupleIJSF_SF_EEENSM_IJSG_SG_EEES6_PlJS6_EEE10hipError_tPvRmT3_T4_T5_T6_T7_T9_mT8_P12ihipStream_tbDpT10_ENKUlT_T0_E_clISt17integral_constantIbLb0EES18_IbLb1EEEEDaS14_S15_EUlS14_E_NS1_11comp_targetILNS1_3genE5ELNS1_11target_archE942ELNS1_3gpuE9ELNS1_3repE0EEENS1_30default_config_static_selectorELNS0_4arch9wavefront6targetE1EEEvT1_,comdat
.Lfunc_end410:
	.size	_ZN7rocprim17ROCPRIM_400000_NS6detail17trampoline_kernelINS0_14default_configENS1_25partition_config_selectorILNS1_17partition_subalgoE1ExNS0_10empty_typeEbEEZZNS1_14partition_implILS5_1ELb0ES3_jN6thrust23THRUST_200600_302600_NS6detail15normal_iteratorINSA_10device_ptrIxEEEEPS6_NSA_18transform_iteratorI7is_evenIxESF_NSA_11use_defaultESK_EENS0_5tupleIJSF_SF_EEENSM_IJSG_SG_EEES6_PlJS6_EEE10hipError_tPvRmT3_T4_T5_T6_T7_T9_mT8_P12ihipStream_tbDpT10_ENKUlT_T0_E_clISt17integral_constantIbLb0EES18_IbLb1EEEEDaS14_S15_EUlS14_E_NS1_11comp_targetILNS1_3genE5ELNS1_11target_archE942ELNS1_3gpuE9ELNS1_3repE0EEENS1_30default_config_static_selectorELNS0_4arch9wavefront6targetE1EEEvT1_, .Lfunc_end410-_ZN7rocprim17ROCPRIM_400000_NS6detail17trampoline_kernelINS0_14default_configENS1_25partition_config_selectorILNS1_17partition_subalgoE1ExNS0_10empty_typeEbEEZZNS1_14partition_implILS5_1ELb0ES3_jN6thrust23THRUST_200600_302600_NS6detail15normal_iteratorINSA_10device_ptrIxEEEEPS6_NSA_18transform_iteratorI7is_evenIxESF_NSA_11use_defaultESK_EENS0_5tupleIJSF_SF_EEENSM_IJSG_SG_EEES6_PlJS6_EEE10hipError_tPvRmT3_T4_T5_T6_T7_T9_mT8_P12ihipStream_tbDpT10_ENKUlT_T0_E_clISt17integral_constantIbLb0EES18_IbLb1EEEEDaS14_S15_EUlS14_E_NS1_11comp_targetILNS1_3genE5ELNS1_11target_archE942ELNS1_3gpuE9ELNS1_3repE0EEENS1_30default_config_static_selectorELNS0_4arch9wavefront6targetE1EEEvT1_
                                        ; -- End function
	.section	.AMDGPU.csdata,"",@progbits
; Kernel info:
; codeLenInByte = 5188
; NumSgprs: 50
; NumVgprs: 58
; NumAgprs: 0
; TotalNumVgprs: 58
; ScratchSize: 0
; MemoryBound: 0
; FloatMode: 240
; IeeeMode: 1
; LDSByteSize: 28680 bytes/workgroup (compile time only)
; SGPRBlocks: 6
; VGPRBlocks: 7
; NumSGPRsForWavesPerEU: 50
; NumVGPRsForWavesPerEU: 58
; AccumOffset: 60
; Occupancy: 4
; WaveLimiterHint : 1
; COMPUTE_PGM_RSRC2:SCRATCH_EN: 0
; COMPUTE_PGM_RSRC2:USER_SGPR: 2
; COMPUTE_PGM_RSRC2:TRAP_HANDLER: 0
; COMPUTE_PGM_RSRC2:TGID_X_EN: 1
; COMPUTE_PGM_RSRC2:TGID_Y_EN: 0
; COMPUTE_PGM_RSRC2:TGID_Z_EN: 0
; COMPUTE_PGM_RSRC2:TIDIG_COMP_CNT: 0
; COMPUTE_PGM_RSRC3_GFX90A:ACCUM_OFFSET: 14
; COMPUTE_PGM_RSRC3_GFX90A:TG_SPLIT: 0
	.section	.text._ZN7rocprim17ROCPRIM_400000_NS6detail17trampoline_kernelINS0_14default_configENS1_25partition_config_selectorILNS1_17partition_subalgoE1ExNS0_10empty_typeEbEEZZNS1_14partition_implILS5_1ELb0ES3_jN6thrust23THRUST_200600_302600_NS6detail15normal_iteratorINSA_10device_ptrIxEEEEPS6_NSA_18transform_iteratorI7is_evenIxESF_NSA_11use_defaultESK_EENS0_5tupleIJSF_SF_EEENSM_IJSG_SG_EEES6_PlJS6_EEE10hipError_tPvRmT3_T4_T5_T6_T7_T9_mT8_P12ihipStream_tbDpT10_ENKUlT_T0_E_clISt17integral_constantIbLb0EES18_IbLb1EEEEDaS14_S15_EUlS14_E_NS1_11comp_targetILNS1_3genE4ELNS1_11target_archE910ELNS1_3gpuE8ELNS1_3repE0EEENS1_30default_config_static_selectorELNS0_4arch9wavefront6targetE1EEEvT1_,"axG",@progbits,_ZN7rocprim17ROCPRIM_400000_NS6detail17trampoline_kernelINS0_14default_configENS1_25partition_config_selectorILNS1_17partition_subalgoE1ExNS0_10empty_typeEbEEZZNS1_14partition_implILS5_1ELb0ES3_jN6thrust23THRUST_200600_302600_NS6detail15normal_iteratorINSA_10device_ptrIxEEEEPS6_NSA_18transform_iteratorI7is_evenIxESF_NSA_11use_defaultESK_EENS0_5tupleIJSF_SF_EEENSM_IJSG_SG_EEES6_PlJS6_EEE10hipError_tPvRmT3_T4_T5_T6_T7_T9_mT8_P12ihipStream_tbDpT10_ENKUlT_T0_E_clISt17integral_constantIbLb0EES18_IbLb1EEEEDaS14_S15_EUlS14_E_NS1_11comp_targetILNS1_3genE4ELNS1_11target_archE910ELNS1_3gpuE8ELNS1_3repE0EEENS1_30default_config_static_selectorELNS0_4arch9wavefront6targetE1EEEvT1_,comdat
	.protected	_ZN7rocprim17ROCPRIM_400000_NS6detail17trampoline_kernelINS0_14default_configENS1_25partition_config_selectorILNS1_17partition_subalgoE1ExNS0_10empty_typeEbEEZZNS1_14partition_implILS5_1ELb0ES3_jN6thrust23THRUST_200600_302600_NS6detail15normal_iteratorINSA_10device_ptrIxEEEEPS6_NSA_18transform_iteratorI7is_evenIxESF_NSA_11use_defaultESK_EENS0_5tupleIJSF_SF_EEENSM_IJSG_SG_EEES6_PlJS6_EEE10hipError_tPvRmT3_T4_T5_T6_T7_T9_mT8_P12ihipStream_tbDpT10_ENKUlT_T0_E_clISt17integral_constantIbLb0EES18_IbLb1EEEEDaS14_S15_EUlS14_E_NS1_11comp_targetILNS1_3genE4ELNS1_11target_archE910ELNS1_3gpuE8ELNS1_3repE0EEENS1_30default_config_static_selectorELNS0_4arch9wavefront6targetE1EEEvT1_ ; -- Begin function _ZN7rocprim17ROCPRIM_400000_NS6detail17trampoline_kernelINS0_14default_configENS1_25partition_config_selectorILNS1_17partition_subalgoE1ExNS0_10empty_typeEbEEZZNS1_14partition_implILS5_1ELb0ES3_jN6thrust23THRUST_200600_302600_NS6detail15normal_iteratorINSA_10device_ptrIxEEEEPS6_NSA_18transform_iteratorI7is_evenIxESF_NSA_11use_defaultESK_EENS0_5tupleIJSF_SF_EEENSM_IJSG_SG_EEES6_PlJS6_EEE10hipError_tPvRmT3_T4_T5_T6_T7_T9_mT8_P12ihipStream_tbDpT10_ENKUlT_T0_E_clISt17integral_constantIbLb0EES18_IbLb1EEEEDaS14_S15_EUlS14_E_NS1_11comp_targetILNS1_3genE4ELNS1_11target_archE910ELNS1_3gpuE8ELNS1_3repE0EEENS1_30default_config_static_selectorELNS0_4arch9wavefront6targetE1EEEvT1_
	.globl	_ZN7rocprim17ROCPRIM_400000_NS6detail17trampoline_kernelINS0_14default_configENS1_25partition_config_selectorILNS1_17partition_subalgoE1ExNS0_10empty_typeEbEEZZNS1_14partition_implILS5_1ELb0ES3_jN6thrust23THRUST_200600_302600_NS6detail15normal_iteratorINSA_10device_ptrIxEEEEPS6_NSA_18transform_iteratorI7is_evenIxESF_NSA_11use_defaultESK_EENS0_5tupleIJSF_SF_EEENSM_IJSG_SG_EEES6_PlJS6_EEE10hipError_tPvRmT3_T4_T5_T6_T7_T9_mT8_P12ihipStream_tbDpT10_ENKUlT_T0_E_clISt17integral_constantIbLb0EES18_IbLb1EEEEDaS14_S15_EUlS14_E_NS1_11comp_targetILNS1_3genE4ELNS1_11target_archE910ELNS1_3gpuE8ELNS1_3repE0EEENS1_30default_config_static_selectorELNS0_4arch9wavefront6targetE1EEEvT1_
	.p2align	8
	.type	_ZN7rocprim17ROCPRIM_400000_NS6detail17trampoline_kernelINS0_14default_configENS1_25partition_config_selectorILNS1_17partition_subalgoE1ExNS0_10empty_typeEbEEZZNS1_14partition_implILS5_1ELb0ES3_jN6thrust23THRUST_200600_302600_NS6detail15normal_iteratorINSA_10device_ptrIxEEEEPS6_NSA_18transform_iteratorI7is_evenIxESF_NSA_11use_defaultESK_EENS0_5tupleIJSF_SF_EEENSM_IJSG_SG_EEES6_PlJS6_EEE10hipError_tPvRmT3_T4_T5_T6_T7_T9_mT8_P12ihipStream_tbDpT10_ENKUlT_T0_E_clISt17integral_constantIbLb0EES18_IbLb1EEEEDaS14_S15_EUlS14_E_NS1_11comp_targetILNS1_3genE4ELNS1_11target_archE910ELNS1_3gpuE8ELNS1_3repE0EEENS1_30default_config_static_selectorELNS0_4arch9wavefront6targetE1EEEvT1_,@function
_ZN7rocprim17ROCPRIM_400000_NS6detail17trampoline_kernelINS0_14default_configENS1_25partition_config_selectorILNS1_17partition_subalgoE1ExNS0_10empty_typeEbEEZZNS1_14partition_implILS5_1ELb0ES3_jN6thrust23THRUST_200600_302600_NS6detail15normal_iteratorINSA_10device_ptrIxEEEEPS6_NSA_18transform_iteratorI7is_evenIxESF_NSA_11use_defaultESK_EENS0_5tupleIJSF_SF_EEENSM_IJSG_SG_EEES6_PlJS6_EEE10hipError_tPvRmT3_T4_T5_T6_T7_T9_mT8_P12ihipStream_tbDpT10_ENKUlT_T0_E_clISt17integral_constantIbLb0EES18_IbLb1EEEEDaS14_S15_EUlS14_E_NS1_11comp_targetILNS1_3genE4ELNS1_11target_archE910ELNS1_3gpuE8ELNS1_3repE0EEENS1_30default_config_static_selectorELNS0_4arch9wavefront6targetE1EEEvT1_: ; @_ZN7rocprim17ROCPRIM_400000_NS6detail17trampoline_kernelINS0_14default_configENS1_25partition_config_selectorILNS1_17partition_subalgoE1ExNS0_10empty_typeEbEEZZNS1_14partition_implILS5_1ELb0ES3_jN6thrust23THRUST_200600_302600_NS6detail15normal_iteratorINSA_10device_ptrIxEEEEPS6_NSA_18transform_iteratorI7is_evenIxESF_NSA_11use_defaultESK_EENS0_5tupleIJSF_SF_EEENSM_IJSG_SG_EEES6_PlJS6_EEE10hipError_tPvRmT3_T4_T5_T6_T7_T9_mT8_P12ihipStream_tbDpT10_ENKUlT_T0_E_clISt17integral_constantIbLb0EES18_IbLb1EEEEDaS14_S15_EUlS14_E_NS1_11comp_targetILNS1_3genE4ELNS1_11target_archE910ELNS1_3gpuE8ELNS1_3repE0EEENS1_30default_config_static_selectorELNS0_4arch9wavefront6targetE1EEEvT1_
; %bb.0:
	.section	.rodata,"a",@progbits
	.p2align	6, 0x0
	.amdhsa_kernel _ZN7rocprim17ROCPRIM_400000_NS6detail17trampoline_kernelINS0_14default_configENS1_25partition_config_selectorILNS1_17partition_subalgoE1ExNS0_10empty_typeEbEEZZNS1_14partition_implILS5_1ELb0ES3_jN6thrust23THRUST_200600_302600_NS6detail15normal_iteratorINSA_10device_ptrIxEEEEPS6_NSA_18transform_iteratorI7is_evenIxESF_NSA_11use_defaultESK_EENS0_5tupleIJSF_SF_EEENSM_IJSG_SG_EEES6_PlJS6_EEE10hipError_tPvRmT3_T4_T5_T6_T7_T9_mT8_P12ihipStream_tbDpT10_ENKUlT_T0_E_clISt17integral_constantIbLb0EES18_IbLb1EEEEDaS14_S15_EUlS14_E_NS1_11comp_targetILNS1_3genE4ELNS1_11target_archE910ELNS1_3gpuE8ELNS1_3repE0EEENS1_30default_config_static_selectorELNS0_4arch9wavefront6targetE1EEEvT1_
		.amdhsa_group_segment_fixed_size 0
		.amdhsa_private_segment_fixed_size 0
		.amdhsa_kernarg_size 144
		.amdhsa_user_sgpr_count 2
		.amdhsa_user_sgpr_dispatch_ptr 0
		.amdhsa_user_sgpr_queue_ptr 0
		.amdhsa_user_sgpr_kernarg_segment_ptr 1
		.amdhsa_user_sgpr_dispatch_id 0
		.amdhsa_user_sgpr_kernarg_preload_length 0
		.amdhsa_user_sgpr_kernarg_preload_offset 0
		.amdhsa_user_sgpr_private_segment_size 0
		.amdhsa_uses_dynamic_stack 0
		.amdhsa_enable_private_segment 0
		.amdhsa_system_sgpr_workgroup_id_x 1
		.amdhsa_system_sgpr_workgroup_id_y 0
		.amdhsa_system_sgpr_workgroup_id_z 0
		.amdhsa_system_sgpr_workgroup_info 0
		.amdhsa_system_vgpr_workitem_id 0
		.amdhsa_next_free_vgpr 1
		.amdhsa_next_free_sgpr 0
		.amdhsa_accum_offset 4
		.amdhsa_reserve_vcc 0
		.amdhsa_float_round_mode_32 0
		.amdhsa_float_round_mode_16_64 0
		.amdhsa_float_denorm_mode_32 3
		.amdhsa_float_denorm_mode_16_64 3
		.amdhsa_dx10_clamp 1
		.amdhsa_ieee_mode 1
		.amdhsa_fp16_overflow 0
		.amdhsa_tg_split 0
		.amdhsa_exception_fp_ieee_invalid_op 0
		.amdhsa_exception_fp_denorm_src 0
		.amdhsa_exception_fp_ieee_div_zero 0
		.amdhsa_exception_fp_ieee_overflow 0
		.amdhsa_exception_fp_ieee_underflow 0
		.amdhsa_exception_fp_ieee_inexact 0
		.amdhsa_exception_int_div_zero 0
	.end_amdhsa_kernel
	.section	.text._ZN7rocprim17ROCPRIM_400000_NS6detail17trampoline_kernelINS0_14default_configENS1_25partition_config_selectorILNS1_17partition_subalgoE1ExNS0_10empty_typeEbEEZZNS1_14partition_implILS5_1ELb0ES3_jN6thrust23THRUST_200600_302600_NS6detail15normal_iteratorINSA_10device_ptrIxEEEEPS6_NSA_18transform_iteratorI7is_evenIxESF_NSA_11use_defaultESK_EENS0_5tupleIJSF_SF_EEENSM_IJSG_SG_EEES6_PlJS6_EEE10hipError_tPvRmT3_T4_T5_T6_T7_T9_mT8_P12ihipStream_tbDpT10_ENKUlT_T0_E_clISt17integral_constantIbLb0EES18_IbLb1EEEEDaS14_S15_EUlS14_E_NS1_11comp_targetILNS1_3genE4ELNS1_11target_archE910ELNS1_3gpuE8ELNS1_3repE0EEENS1_30default_config_static_selectorELNS0_4arch9wavefront6targetE1EEEvT1_,"axG",@progbits,_ZN7rocprim17ROCPRIM_400000_NS6detail17trampoline_kernelINS0_14default_configENS1_25partition_config_selectorILNS1_17partition_subalgoE1ExNS0_10empty_typeEbEEZZNS1_14partition_implILS5_1ELb0ES3_jN6thrust23THRUST_200600_302600_NS6detail15normal_iteratorINSA_10device_ptrIxEEEEPS6_NSA_18transform_iteratorI7is_evenIxESF_NSA_11use_defaultESK_EENS0_5tupleIJSF_SF_EEENSM_IJSG_SG_EEES6_PlJS6_EEE10hipError_tPvRmT3_T4_T5_T6_T7_T9_mT8_P12ihipStream_tbDpT10_ENKUlT_T0_E_clISt17integral_constantIbLb0EES18_IbLb1EEEEDaS14_S15_EUlS14_E_NS1_11comp_targetILNS1_3genE4ELNS1_11target_archE910ELNS1_3gpuE8ELNS1_3repE0EEENS1_30default_config_static_selectorELNS0_4arch9wavefront6targetE1EEEvT1_,comdat
.Lfunc_end411:
	.size	_ZN7rocprim17ROCPRIM_400000_NS6detail17trampoline_kernelINS0_14default_configENS1_25partition_config_selectorILNS1_17partition_subalgoE1ExNS0_10empty_typeEbEEZZNS1_14partition_implILS5_1ELb0ES3_jN6thrust23THRUST_200600_302600_NS6detail15normal_iteratorINSA_10device_ptrIxEEEEPS6_NSA_18transform_iteratorI7is_evenIxESF_NSA_11use_defaultESK_EENS0_5tupleIJSF_SF_EEENSM_IJSG_SG_EEES6_PlJS6_EEE10hipError_tPvRmT3_T4_T5_T6_T7_T9_mT8_P12ihipStream_tbDpT10_ENKUlT_T0_E_clISt17integral_constantIbLb0EES18_IbLb1EEEEDaS14_S15_EUlS14_E_NS1_11comp_targetILNS1_3genE4ELNS1_11target_archE910ELNS1_3gpuE8ELNS1_3repE0EEENS1_30default_config_static_selectorELNS0_4arch9wavefront6targetE1EEEvT1_, .Lfunc_end411-_ZN7rocprim17ROCPRIM_400000_NS6detail17trampoline_kernelINS0_14default_configENS1_25partition_config_selectorILNS1_17partition_subalgoE1ExNS0_10empty_typeEbEEZZNS1_14partition_implILS5_1ELb0ES3_jN6thrust23THRUST_200600_302600_NS6detail15normal_iteratorINSA_10device_ptrIxEEEEPS6_NSA_18transform_iteratorI7is_evenIxESF_NSA_11use_defaultESK_EENS0_5tupleIJSF_SF_EEENSM_IJSG_SG_EEES6_PlJS6_EEE10hipError_tPvRmT3_T4_T5_T6_T7_T9_mT8_P12ihipStream_tbDpT10_ENKUlT_T0_E_clISt17integral_constantIbLb0EES18_IbLb1EEEEDaS14_S15_EUlS14_E_NS1_11comp_targetILNS1_3genE4ELNS1_11target_archE910ELNS1_3gpuE8ELNS1_3repE0EEENS1_30default_config_static_selectorELNS0_4arch9wavefront6targetE1EEEvT1_
                                        ; -- End function
	.section	.AMDGPU.csdata,"",@progbits
; Kernel info:
; codeLenInByte = 0
; NumSgprs: 6
; NumVgprs: 0
; NumAgprs: 0
; TotalNumVgprs: 0
; ScratchSize: 0
; MemoryBound: 0
; FloatMode: 240
; IeeeMode: 1
; LDSByteSize: 0 bytes/workgroup (compile time only)
; SGPRBlocks: 0
; VGPRBlocks: 0
; NumSGPRsForWavesPerEU: 6
; NumVGPRsForWavesPerEU: 1
; AccumOffset: 4
; Occupancy: 8
; WaveLimiterHint : 0
; COMPUTE_PGM_RSRC2:SCRATCH_EN: 0
; COMPUTE_PGM_RSRC2:USER_SGPR: 2
; COMPUTE_PGM_RSRC2:TRAP_HANDLER: 0
; COMPUTE_PGM_RSRC2:TGID_X_EN: 1
; COMPUTE_PGM_RSRC2:TGID_Y_EN: 0
; COMPUTE_PGM_RSRC2:TGID_Z_EN: 0
; COMPUTE_PGM_RSRC2:TIDIG_COMP_CNT: 0
; COMPUTE_PGM_RSRC3_GFX90A:ACCUM_OFFSET: 0
; COMPUTE_PGM_RSRC3_GFX90A:TG_SPLIT: 0
	.section	.text._ZN7rocprim17ROCPRIM_400000_NS6detail17trampoline_kernelINS0_14default_configENS1_25partition_config_selectorILNS1_17partition_subalgoE1ExNS0_10empty_typeEbEEZZNS1_14partition_implILS5_1ELb0ES3_jN6thrust23THRUST_200600_302600_NS6detail15normal_iteratorINSA_10device_ptrIxEEEEPS6_NSA_18transform_iteratorI7is_evenIxESF_NSA_11use_defaultESK_EENS0_5tupleIJSF_SF_EEENSM_IJSG_SG_EEES6_PlJS6_EEE10hipError_tPvRmT3_T4_T5_T6_T7_T9_mT8_P12ihipStream_tbDpT10_ENKUlT_T0_E_clISt17integral_constantIbLb0EES18_IbLb1EEEEDaS14_S15_EUlS14_E_NS1_11comp_targetILNS1_3genE3ELNS1_11target_archE908ELNS1_3gpuE7ELNS1_3repE0EEENS1_30default_config_static_selectorELNS0_4arch9wavefront6targetE1EEEvT1_,"axG",@progbits,_ZN7rocprim17ROCPRIM_400000_NS6detail17trampoline_kernelINS0_14default_configENS1_25partition_config_selectorILNS1_17partition_subalgoE1ExNS0_10empty_typeEbEEZZNS1_14partition_implILS5_1ELb0ES3_jN6thrust23THRUST_200600_302600_NS6detail15normal_iteratorINSA_10device_ptrIxEEEEPS6_NSA_18transform_iteratorI7is_evenIxESF_NSA_11use_defaultESK_EENS0_5tupleIJSF_SF_EEENSM_IJSG_SG_EEES6_PlJS6_EEE10hipError_tPvRmT3_T4_T5_T6_T7_T9_mT8_P12ihipStream_tbDpT10_ENKUlT_T0_E_clISt17integral_constantIbLb0EES18_IbLb1EEEEDaS14_S15_EUlS14_E_NS1_11comp_targetILNS1_3genE3ELNS1_11target_archE908ELNS1_3gpuE7ELNS1_3repE0EEENS1_30default_config_static_selectorELNS0_4arch9wavefront6targetE1EEEvT1_,comdat
	.protected	_ZN7rocprim17ROCPRIM_400000_NS6detail17trampoline_kernelINS0_14default_configENS1_25partition_config_selectorILNS1_17partition_subalgoE1ExNS0_10empty_typeEbEEZZNS1_14partition_implILS5_1ELb0ES3_jN6thrust23THRUST_200600_302600_NS6detail15normal_iteratorINSA_10device_ptrIxEEEEPS6_NSA_18transform_iteratorI7is_evenIxESF_NSA_11use_defaultESK_EENS0_5tupleIJSF_SF_EEENSM_IJSG_SG_EEES6_PlJS6_EEE10hipError_tPvRmT3_T4_T5_T6_T7_T9_mT8_P12ihipStream_tbDpT10_ENKUlT_T0_E_clISt17integral_constantIbLb0EES18_IbLb1EEEEDaS14_S15_EUlS14_E_NS1_11comp_targetILNS1_3genE3ELNS1_11target_archE908ELNS1_3gpuE7ELNS1_3repE0EEENS1_30default_config_static_selectorELNS0_4arch9wavefront6targetE1EEEvT1_ ; -- Begin function _ZN7rocprim17ROCPRIM_400000_NS6detail17trampoline_kernelINS0_14default_configENS1_25partition_config_selectorILNS1_17partition_subalgoE1ExNS0_10empty_typeEbEEZZNS1_14partition_implILS5_1ELb0ES3_jN6thrust23THRUST_200600_302600_NS6detail15normal_iteratorINSA_10device_ptrIxEEEEPS6_NSA_18transform_iteratorI7is_evenIxESF_NSA_11use_defaultESK_EENS0_5tupleIJSF_SF_EEENSM_IJSG_SG_EEES6_PlJS6_EEE10hipError_tPvRmT3_T4_T5_T6_T7_T9_mT8_P12ihipStream_tbDpT10_ENKUlT_T0_E_clISt17integral_constantIbLb0EES18_IbLb1EEEEDaS14_S15_EUlS14_E_NS1_11comp_targetILNS1_3genE3ELNS1_11target_archE908ELNS1_3gpuE7ELNS1_3repE0EEENS1_30default_config_static_selectorELNS0_4arch9wavefront6targetE1EEEvT1_
	.globl	_ZN7rocprim17ROCPRIM_400000_NS6detail17trampoline_kernelINS0_14default_configENS1_25partition_config_selectorILNS1_17partition_subalgoE1ExNS0_10empty_typeEbEEZZNS1_14partition_implILS5_1ELb0ES3_jN6thrust23THRUST_200600_302600_NS6detail15normal_iteratorINSA_10device_ptrIxEEEEPS6_NSA_18transform_iteratorI7is_evenIxESF_NSA_11use_defaultESK_EENS0_5tupleIJSF_SF_EEENSM_IJSG_SG_EEES6_PlJS6_EEE10hipError_tPvRmT3_T4_T5_T6_T7_T9_mT8_P12ihipStream_tbDpT10_ENKUlT_T0_E_clISt17integral_constantIbLb0EES18_IbLb1EEEEDaS14_S15_EUlS14_E_NS1_11comp_targetILNS1_3genE3ELNS1_11target_archE908ELNS1_3gpuE7ELNS1_3repE0EEENS1_30default_config_static_selectorELNS0_4arch9wavefront6targetE1EEEvT1_
	.p2align	8
	.type	_ZN7rocprim17ROCPRIM_400000_NS6detail17trampoline_kernelINS0_14default_configENS1_25partition_config_selectorILNS1_17partition_subalgoE1ExNS0_10empty_typeEbEEZZNS1_14partition_implILS5_1ELb0ES3_jN6thrust23THRUST_200600_302600_NS6detail15normal_iteratorINSA_10device_ptrIxEEEEPS6_NSA_18transform_iteratorI7is_evenIxESF_NSA_11use_defaultESK_EENS0_5tupleIJSF_SF_EEENSM_IJSG_SG_EEES6_PlJS6_EEE10hipError_tPvRmT3_T4_T5_T6_T7_T9_mT8_P12ihipStream_tbDpT10_ENKUlT_T0_E_clISt17integral_constantIbLb0EES18_IbLb1EEEEDaS14_S15_EUlS14_E_NS1_11comp_targetILNS1_3genE3ELNS1_11target_archE908ELNS1_3gpuE7ELNS1_3repE0EEENS1_30default_config_static_selectorELNS0_4arch9wavefront6targetE1EEEvT1_,@function
_ZN7rocprim17ROCPRIM_400000_NS6detail17trampoline_kernelINS0_14default_configENS1_25partition_config_selectorILNS1_17partition_subalgoE1ExNS0_10empty_typeEbEEZZNS1_14partition_implILS5_1ELb0ES3_jN6thrust23THRUST_200600_302600_NS6detail15normal_iteratorINSA_10device_ptrIxEEEEPS6_NSA_18transform_iteratorI7is_evenIxESF_NSA_11use_defaultESK_EENS0_5tupleIJSF_SF_EEENSM_IJSG_SG_EEES6_PlJS6_EEE10hipError_tPvRmT3_T4_T5_T6_T7_T9_mT8_P12ihipStream_tbDpT10_ENKUlT_T0_E_clISt17integral_constantIbLb0EES18_IbLb1EEEEDaS14_S15_EUlS14_E_NS1_11comp_targetILNS1_3genE3ELNS1_11target_archE908ELNS1_3gpuE7ELNS1_3repE0EEENS1_30default_config_static_selectorELNS0_4arch9wavefront6targetE1EEEvT1_: ; @_ZN7rocprim17ROCPRIM_400000_NS6detail17trampoline_kernelINS0_14default_configENS1_25partition_config_selectorILNS1_17partition_subalgoE1ExNS0_10empty_typeEbEEZZNS1_14partition_implILS5_1ELb0ES3_jN6thrust23THRUST_200600_302600_NS6detail15normal_iteratorINSA_10device_ptrIxEEEEPS6_NSA_18transform_iteratorI7is_evenIxESF_NSA_11use_defaultESK_EENS0_5tupleIJSF_SF_EEENSM_IJSG_SG_EEES6_PlJS6_EEE10hipError_tPvRmT3_T4_T5_T6_T7_T9_mT8_P12ihipStream_tbDpT10_ENKUlT_T0_E_clISt17integral_constantIbLb0EES18_IbLb1EEEEDaS14_S15_EUlS14_E_NS1_11comp_targetILNS1_3genE3ELNS1_11target_archE908ELNS1_3gpuE7ELNS1_3repE0EEENS1_30default_config_static_selectorELNS0_4arch9wavefront6targetE1EEEvT1_
; %bb.0:
	.section	.rodata,"a",@progbits
	.p2align	6, 0x0
	.amdhsa_kernel _ZN7rocprim17ROCPRIM_400000_NS6detail17trampoline_kernelINS0_14default_configENS1_25partition_config_selectorILNS1_17partition_subalgoE1ExNS0_10empty_typeEbEEZZNS1_14partition_implILS5_1ELb0ES3_jN6thrust23THRUST_200600_302600_NS6detail15normal_iteratorINSA_10device_ptrIxEEEEPS6_NSA_18transform_iteratorI7is_evenIxESF_NSA_11use_defaultESK_EENS0_5tupleIJSF_SF_EEENSM_IJSG_SG_EEES6_PlJS6_EEE10hipError_tPvRmT3_T4_T5_T6_T7_T9_mT8_P12ihipStream_tbDpT10_ENKUlT_T0_E_clISt17integral_constantIbLb0EES18_IbLb1EEEEDaS14_S15_EUlS14_E_NS1_11comp_targetILNS1_3genE3ELNS1_11target_archE908ELNS1_3gpuE7ELNS1_3repE0EEENS1_30default_config_static_selectorELNS0_4arch9wavefront6targetE1EEEvT1_
		.amdhsa_group_segment_fixed_size 0
		.amdhsa_private_segment_fixed_size 0
		.amdhsa_kernarg_size 144
		.amdhsa_user_sgpr_count 2
		.amdhsa_user_sgpr_dispatch_ptr 0
		.amdhsa_user_sgpr_queue_ptr 0
		.amdhsa_user_sgpr_kernarg_segment_ptr 1
		.amdhsa_user_sgpr_dispatch_id 0
		.amdhsa_user_sgpr_kernarg_preload_length 0
		.amdhsa_user_sgpr_kernarg_preload_offset 0
		.amdhsa_user_sgpr_private_segment_size 0
		.amdhsa_uses_dynamic_stack 0
		.amdhsa_enable_private_segment 0
		.amdhsa_system_sgpr_workgroup_id_x 1
		.amdhsa_system_sgpr_workgroup_id_y 0
		.amdhsa_system_sgpr_workgroup_id_z 0
		.amdhsa_system_sgpr_workgroup_info 0
		.amdhsa_system_vgpr_workitem_id 0
		.amdhsa_next_free_vgpr 1
		.amdhsa_next_free_sgpr 0
		.amdhsa_accum_offset 4
		.amdhsa_reserve_vcc 0
		.amdhsa_float_round_mode_32 0
		.amdhsa_float_round_mode_16_64 0
		.amdhsa_float_denorm_mode_32 3
		.amdhsa_float_denorm_mode_16_64 3
		.amdhsa_dx10_clamp 1
		.amdhsa_ieee_mode 1
		.amdhsa_fp16_overflow 0
		.amdhsa_tg_split 0
		.amdhsa_exception_fp_ieee_invalid_op 0
		.amdhsa_exception_fp_denorm_src 0
		.amdhsa_exception_fp_ieee_div_zero 0
		.amdhsa_exception_fp_ieee_overflow 0
		.amdhsa_exception_fp_ieee_underflow 0
		.amdhsa_exception_fp_ieee_inexact 0
		.amdhsa_exception_int_div_zero 0
	.end_amdhsa_kernel
	.section	.text._ZN7rocprim17ROCPRIM_400000_NS6detail17trampoline_kernelINS0_14default_configENS1_25partition_config_selectorILNS1_17partition_subalgoE1ExNS0_10empty_typeEbEEZZNS1_14partition_implILS5_1ELb0ES3_jN6thrust23THRUST_200600_302600_NS6detail15normal_iteratorINSA_10device_ptrIxEEEEPS6_NSA_18transform_iteratorI7is_evenIxESF_NSA_11use_defaultESK_EENS0_5tupleIJSF_SF_EEENSM_IJSG_SG_EEES6_PlJS6_EEE10hipError_tPvRmT3_T4_T5_T6_T7_T9_mT8_P12ihipStream_tbDpT10_ENKUlT_T0_E_clISt17integral_constantIbLb0EES18_IbLb1EEEEDaS14_S15_EUlS14_E_NS1_11comp_targetILNS1_3genE3ELNS1_11target_archE908ELNS1_3gpuE7ELNS1_3repE0EEENS1_30default_config_static_selectorELNS0_4arch9wavefront6targetE1EEEvT1_,"axG",@progbits,_ZN7rocprim17ROCPRIM_400000_NS6detail17trampoline_kernelINS0_14default_configENS1_25partition_config_selectorILNS1_17partition_subalgoE1ExNS0_10empty_typeEbEEZZNS1_14partition_implILS5_1ELb0ES3_jN6thrust23THRUST_200600_302600_NS6detail15normal_iteratorINSA_10device_ptrIxEEEEPS6_NSA_18transform_iteratorI7is_evenIxESF_NSA_11use_defaultESK_EENS0_5tupleIJSF_SF_EEENSM_IJSG_SG_EEES6_PlJS6_EEE10hipError_tPvRmT3_T4_T5_T6_T7_T9_mT8_P12ihipStream_tbDpT10_ENKUlT_T0_E_clISt17integral_constantIbLb0EES18_IbLb1EEEEDaS14_S15_EUlS14_E_NS1_11comp_targetILNS1_3genE3ELNS1_11target_archE908ELNS1_3gpuE7ELNS1_3repE0EEENS1_30default_config_static_selectorELNS0_4arch9wavefront6targetE1EEEvT1_,comdat
.Lfunc_end412:
	.size	_ZN7rocprim17ROCPRIM_400000_NS6detail17trampoline_kernelINS0_14default_configENS1_25partition_config_selectorILNS1_17partition_subalgoE1ExNS0_10empty_typeEbEEZZNS1_14partition_implILS5_1ELb0ES3_jN6thrust23THRUST_200600_302600_NS6detail15normal_iteratorINSA_10device_ptrIxEEEEPS6_NSA_18transform_iteratorI7is_evenIxESF_NSA_11use_defaultESK_EENS0_5tupleIJSF_SF_EEENSM_IJSG_SG_EEES6_PlJS6_EEE10hipError_tPvRmT3_T4_T5_T6_T7_T9_mT8_P12ihipStream_tbDpT10_ENKUlT_T0_E_clISt17integral_constantIbLb0EES18_IbLb1EEEEDaS14_S15_EUlS14_E_NS1_11comp_targetILNS1_3genE3ELNS1_11target_archE908ELNS1_3gpuE7ELNS1_3repE0EEENS1_30default_config_static_selectorELNS0_4arch9wavefront6targetE1EEEvT1_, .Lfunc_end412-_ZN7rocprim17ROCPRIM_400000_NS6detail17trampoline_kernelINS0_14default_configENS1_25partition_config_selectorILNS1_17partition_subalgoE1ExNS0_10empty_typeEbEEZZNS1_14partition_implILS5_1ELb0ES3_jN6thrust23THRUST_200600_302600_NS6detail15normal_iteratorINSA_10device_ptrIxEEEEPS6_NSA_18transform_iteratorI7is_evenIxESF_NSA_11use_defaultESK_EENS0_5tupleIJSF_SF_EEENSM_IJSG_SG_EEES6_PlJS6_EEE10hipError_tPvRmT3_T4_T5_T6_T7_T9_mT8_P12ihipStream_tbDpT10_ENKUlT_T0_E_clISt17integral_constantIbLb0EES18_IbLb1EEEEDaS14_S15_EUlS14_E_NS1_11comp_targetILNS1_3genE3ELNS1_11target_archE908ELNS1_3gpuE7ELNS1_3repE0EEENS1_30default_config_static_selectorELNS0_4arch9wavefront6targetE1EEEvT1_
                                        ; -- End function
	.section	.AMDGPU.csdata,"",@progbits
; Kernel info:
; codeLenInByte = 0
; NumSgprs: 6
; NumVgprs: 0
; NumAgprs: 0
; TotalNumVgprs: 0
; ScratchSize: 0
; MemoryBound: 0
; FloatMode: 240
; IeeeMode: 1
; LDSByteSize: 0 bytes/workgroup (compile time only)
; SGPRBlocks: 0
; VGPRBlocks: 0
; NumSGPRsForWavesPerEU: 6
; NumVGPRsForWavesPerEU: 1
; AccumOffset: 4
; Occupancy: 8
; WaveLimiterHint : 0
; COMPUTE_PGM_RSRC2:SCRATCH_EN: 0
; COMPUTE_PGM_RSRC2:USER_SGPR: 2
; COMPUTE_PGM_RSRC2:TRAP_HANDLER: 0
; COMPUTE_PGM_RSRC2:TGID_X_EN: 1
; COMPUTE_PGM_RSRC2:TGID_Y_EN: 0
; COMPUTE_PGM_RSRC2:TGID_Z_EN: 0
; COMPUTE_PGM_RSRC2:TIDIG_COMP_CNT: 0
; COMPUTE_PGM_RSRC3_GFX90A:ACCUM_OFFSET: 0
; COMPUTE_PGM_RSRC3_GFX90A:TG_SPLIT: 0
	.section	.text._ZN7rocprim17ROCPRIM_400000_NS6detail17trampoline_kernelINS0_14default_configENS1_25partition_config_selectorILNS1_17partition_subalgoE1ExNS0_10empty_typeEbEEZZNS1_14partition_implILS5_1ELb0ES3_jN6thrust23THRUST_200600_302600_NS6detail15normal_iteratorINSA_10device_ptrIxEEEEPS6_NSA_18transform_iteratorI7is_evenIxESF_NSA_11use_defaultESK_EENS0_5tupleIJSF_SF_EEENSM_IJSG_SG_EEES6_PlJS6_EEE10hipError_tPvRmT3_T4_T5_T6_T7_T9_mT8_P12ihipStream_tbDpT10_ENKUlT_T0_E_clISt17integral_constantIbLb0EES18_IbLb1EEEEDaS14_S15_EUlS14_E_NS1_11comp_targetILNS1_3genE2ELNS1_11target_archE906ELNS1_3gpuE6ELNS1_3repE0EEENS1_30default_config_static_selectorELNS0_4arch9wavefront6targetE1EEEvT1_,"axG",@progbits,_ZN7rocprim17ROCPRIM_400000_NS6detail17trampoline_kernelINS0_14default_configENS1_25partition_config_selectorILNS1_17partition_subalgoE1ExNS0_10empty_typeEbEEZZNS1_14partition_implILS5_1ELb0ES3_jN6thrust23THRUST_200600_302600_NS6detail15normal_iteratorINSA_10device_ptrIxEEEEPS6_NSA_18transform_iteratorI7is_evenIxESF_NSA_11use_defaultESK_EENS0_5tupleIJSF_SF_EEENSM_IJSG_SG_EEES6_PlJS6_EEE10hipError_tPvRmT3_T4_T5_T6_T7_T9_mT8_P12ihipStream_tbDpT10_ENKUlT_T0_E_clISt17integral_constantIbLb0EES18_IbLb1EEEEDaS14_S15_EUlS14_E_NS1_11comp_targetILNS1_3genE2ELNS1_11target_archE906ELNS1_3gpuE6ELNS1_3repE0EEENS1_30default_config_static_selectorELNS0_4arch9wavefront6targetE1EEEvT1_,comdat
	.protected	_ZN7rocprim17ROCPRIM_400000_NS6detail17trampoline_kernelINS0_14default_configENS1_25partition_config_selectorILNS1_17partition_subalgoE1ExNS0_10empty_typeEbEEZZNS1_14partition_implILS5_1ELb0ES3_jN6thrust23THRUST_200600_302600_NS6detail15normal_iteratorINSA_10device_ptrIxEEEEPS6_NSA_18transform_iteratorI7is_evenIxESF_NSA_11use_defaultESK_EENS0_5tupleIJSF_SF_EEENSM_IJSG_SG_EEES6_PlJS6_EEE10hipError_tPvRmT3_T4_T5_T6_T7_T9_mT8_P12ihipStream_tbDpT10_ENKUlT_T0_E_clISt17integral_constantIbLb0EES18_IbLb1EEEEDaS14_S15_EUlS14_E_NS1_11comp_targetILNS1_3genE2ELNS1_11target_archE906ELNS1_3gpuE6ELNS1_3repE0EEENS1_30default_config_static_selectorELNS0_4arch9wavefront6targetE1EEEvT1_ ; -- Begin function _ZN7rocprim17ROCPRIM_400000_NS6detail17trampoline_kernelINS0_14default_configENS1_25partition_config_selectorILNS1_17partition_subalgoE1ExNS0_10empty_typeEbEEZZNS1_14partition_implILS5_1ELb0ES3_jN6thrust23THRUST_200600_302600_NS6detail15normal_iteratorINSA_10device_ptrIxEEEEPS6_NSA_18transform_iteratorI7is_evenIxESF_NSA_11use_defaultESK_EENS0_5tupleIJSF_SF_EEENSM_IJSG_SG_EEES6_PlJS6_EEE10hipError_tPvRmT3_T4_T5_T6_T7_T9_mT8_P12ihipStream_tbDpT10_ENKUlT_T0_E_clISt17integral_constantIbLb0EES18_IbLb1EEEEDaS14_S15_EUlS14_E_NS1_11comp_targetILNS1_3genE2ELNS1_11target_archE906ELNS1_3gpuE6ELNS1_3repE0EEENS1_30default_config_static_selectorELNS0_4arch9wavefront6targetE1EEEvT1_
	.globl	_ZN7rocprim17ROCPRIM_400000_NS6detail17trampoline_kernelINS0_14default_configENS1_25partition_config_selectorILNS1_17partition_subalgoE1ExNS0_10empty_typeEbEEZZNS1_14partition_implILS5_1ELb0ES3_jN6thrust23THRUST_200600_302600_NS6detail15normal_iteratorINSA_10device_ptrIxEEEEPS6_NSA_18transform_iteratorI7is_evenIxESF_NSA_11use_defaultESK_EENS0_5tupleIJSF_SF_EEENSM_IJSG_SG_EEES6_PlJS6_EEE10hipError_tPvRmT3_T4_T5_T6_T7_T9_mT8_P12ihipStream_tbDpT10_ENKUlT_T0_E_clISt17integral_constantIbLb0EES18_IbLb1EEEEDaS14_S15_EUlS14_E_NS1_11comp_targetILNS1_3genE2ELNS1_11target_archE906ELNS1_3gpuE6ELNS1_3repE0EEENS1_30default_config_static_selectorELNS0_4arch9wavefront6targetE1EEEvT1_
	.p2align	8
	.type	_ZN7rocprim17ROCPRIM_400000_NS6detail17trampoline_kernelINS0_14default_configENS1_25partition_config_selectorILNS1_17partition_subalgoE1ExNS0_10empty_typeEbEEZZNS1_14partition_implILS5_1ELb0ES3_jN6thrust23THRUST_200600_302600_NS6detail15normal_iteratorINSA_10device_ptrIxEEEEPS6_NSA_18transform_iteratorI7is_evenIxESF_NSA_11use_defaultESK_EENS0_5tupleIJSF_SF_EEENSM_IJSG_SG_EEES6_PlJS6_EEE10hipError_tPvRmT3_T4_T5_T6_T7_T9_mT8_P12ihipStream_tbDpT10_ENKUlT_T0_E_clISt17integral_constantIbLb0EES18_IbLb1EEEEDaS14_S15_EUlS14_E_NS1_11comp_targetILNS1_3genE2ELNS1_11target_archE906ELNS1_3gpuE6ELNS1_3repE0EEENS1_30default_config_static_selectorELNS0_4arch9wavefront6targetE1EEEvT1_,@function
_ZN7rocprim17ROCPRIM_400000_NS6detail17trampoline_kernelINS0_14default_configENS1_25partition_config_selectorILNS1_17partition_subalgoE1ExNS0_10empty_typeEbEEZZNS1_14partition_implILS5_1ELb0ES3_jN6thrust23THRUST_200600_302600_NS6detail15normal_iteratorINSA_10device_ptrIxEEEEPS6_NSA_18transform_iteratorI7is_evenIxESF_NSA_11use_defaultESK_EENS0_5tupleIJSF_SF_EEENSM_IJSG_SG_EEES6_PlJS6_EEE10hipError_tPvRmT3_T4_T5_T6_T7_T9_mT8_P12ihipStream_tbDpT10_ENKUlT_T0_E_clISt17integral_constantIbLb0EES18_IbLb1EEEEDaS14_S15_EUlS14_E_NS1_11comp_targetILNS1_3genE2ELNS1_11target_archE906ELNS1_3gpuE6ELNS1_3repE0EEENS1_30default_config_static_selectorELNS0_4arch9wavefront6targetE1EEEvT1_: ; @_ZN7rocprim17ROCPRIM_400000_NS6detail17trampoline_kernelINS0_14default_configENS1_25partition_config_selectorILNS1_17partition_subalgoE1ExNS0_10empty_typeEbEEZZNS1_14partition_implILS5_1ELb0ES3_jN6thrust23THRUST_200600_302600_NS6detail15normal_iteratorINSA_10device_ptrIxEEEEPS6_NSA_18transform_iteratorI7is_evenIxESF_NSA_11use_defaultESK_EENS0_5tupleIJSF_SF_EEENSM_IJSG_SG_EEES6_PlJS6_EEE10hipError_tPvRmT3_T4_T5_T6_T7_T9_mT8_P12ihipStream_tbDpT10_ENKUlT_T0_E_clISt17integral_constantIbLb0EES18_IbLb1EEEEDaS14_S15_EUlS14_E_NS1_11comp_targetILNS1_3genE2ELNS1_11target_archE906ELNS1_3gpuE6ELNS1_3repE0EEENS1_30default_config_static_selectorELNS0_4arch9wavefront6targetE1EEEvT1_
; %bb.0:
	.section	.rodata,"a",@progbits
	.p2align	6, 0x0
	.amdhsa_kernel _ZN7rocprim17ROCPRIM_400000_NS6detail17trampoline_kernelINS0_14default_configENS1_25partition_config_selectorILNS1_17partition_subalgoE1ExNS0_10empty_typeEbEEZZNS1_14partition_implILS5_1ELb0ES3_jN6thrust23THRUST_200600_302600_NS6detail15normal_iteratorINSA_10device_ptrIxEEEEPS6_NSA_18transform_iteratorI7is_evenIxESF_NSA_11use_defaultESK_EENS0_5tupleIJSF_SF_EEENSM_IJSG_SG_EEES6_PlJS6_EEE10hipError_tPvRmT3_T4_T5_T6_T7_T9_mT8_P12ihipStream_tbDpT10_ENKUlT_T0_E_clISt17integral_constantIbLb0EES18_IbLb1EEEEDaS14_S15_EUlS14_E_NS1_11comp_targetILNS1_3genE2ELNS1_11target_archE906ELNS1_3gpuE6ELNS1_3repE0EEENS1_30default_config_static_selectorELNS0_4arch9wavefront6targetE1EEEvT1_
		.amdhsa_group_segment_fixed_size 0
		.amdhsa_private_segment_fixed_size 0
		.amdhsa_kernarg_size 144
		.amdhsa_user_sgpr_count 2
		.amdhsa_user_sgpr_dispatch_ptr 0
		.amdhsa_user_sgpr_queue_ptr 0
		.amdhsa_user_sgpr_kernarg_segment_ptr 1
		.amdhsa_user_sgpr_dispatch_id 0
		.amdhsa_user_sgpr_kernarg_preload_length 0
		.amdhsa_user_sgpr_kernarg_preload_offset 0
		.amdhsa_user_sgpr_private_segment_size 0
		.amdhsa_uses_dynamic_stack 0
		.amdhsa_enable_private_segment 0
		.amdhsa_system_sgpr_workgroup_id_x 1
		.amdhsa_system_sgpr_workgroup_id_y 0
		.amdhsa_system_sgpr_workgroup_id_z 0
		.amdhsa_system_sgpr_workgroup_info 0
		.amdhsa_system_vgpr_workitem_id 0
		.amdhsa_next_free_vgpr 1
		.amdhsa_next_free_sgpr 0
		.amdhsa_accum_offset 4
		.amdhsa_reserve_vcc 0
		.amdhsa_float_round_mode_32 0
		.amdhsa_float_round_mode_16_64 0
		.amdhsa_float_denorm_mode_32 3
		.amdhsa_float_denorm_mode_16_64 3
		.amdhsa_dx10_clamp 1
		.amdhsa_ieee_mode 1
		.amdhsa_fp16_overflow 0
		.amdhsa_tg_split 0
		.amdhsa_exception_fp_ieee_invalid_op 0
		.amdhsa_exception_fp_denorm_src 0
		.amdhsa_exception_fp_ieee_div_zero 0
		.amdhsa_exception_fp_ieee_overflow 0
		.amdhsa_exception_fp_ieee_underflow 0
		.amdhsa_exception_fp_ieee_inexact 0
		.amdhsa_exception_int_div_zero 0
	.end_amdhsa_kernel
	.section	.text._ZN7rocprim17ROCPRIM_400000_NS6detail17trampoline_kernelINS0_14default_configENS1_25partition_config_selectorILNS1_17partition_subalgoE1ExNS0_10empty_typeEbEEZZNS1_14partition_implILS5_1ELb0ES3_jN6thrust23THRUST_200600_302600_NS6detail15normal_iteratorINSA_10device_ptrIxEEEEPS6_NSA_18transform_iteratorI7is_evenIxESF_NSA_11use_defaultESK_EENS0_5tupleIJSF_SF_EEENSM_IJSG_SG_EEES6_PlJS6_EEE10hipError_tPvRmT3_T4_T5_T6_T7_T9_mT8_P12ihipStream_tbDpT10_ENKUlT_T0_E_clISt17integral_constantIbLb0EES18_IbLb1EEEEDaS14_S15_EUlS14_E_NS1_11comp_targetILNS1_3genE2ELNS1_11target_archE906ELNS1_3gpuE6ELNS1_3repE0EEENS1_30default_config_static_selectorELNS0_4arch9wavefront6targetE1EEEvT1_,"axG",@progbits,_ZN7rocprim17ROCPRIM_400000_NS6detail17trampoline_kernelINS0_14default_configENS1_25partition_config_selectorILNS1_17partition_subalgoE1ExNS0_10empty_typeEbEEZZNS1_14partition_implILS5_1ELb0ES3_jN6thrust23THRUST_200600_302600_NS6detail15normal_iteratorINSA_10device_ptrIxEEEEPS6_NSA_18transform_iteratorI7is_evenIxESF_NSA_11use_defaultESK_EENS0_5tupleIJSF_SF_EEENSM_IJSG_SG_EEES6_PlJS6_EEE10hipError_tPvRmT3_T4_T5_T6_T7_T9_mT8_P12ihipStream_tbDpT10_ENKUlT_T0_E_clISt17integral_constantIbLb0EES18_IbLb1EEEEDaS14_S15_EUlS14_E_NS1_11comp_targetILNS1_3genE2ELNS1_11target_archE906ELNS1_3gpuE6ELNS1_3repE0EEENS1_30default_config_static_selectorELNS0_4arch9wavefront6targetE1EEEvT1_,comdat
.Lfunc_end413:
	.size	_ZN7rocprim17ROCPRIM_400000_NS6detail17trampoline_kernelINS0_14default_configENS1_25partition_config_selectorILNS1_17partition_subalgoE1ExNS0_10empty_typeEbEEZZNS1_14partition_implILS5_1ELb0ES3_jN6thrust23THRUST_200600_302600_NS6detail15normal_iteratorINSA_10device_ptrIxEEEEPS6_NSA_18transform_iteratorI7is_evenIxESF_NSA_11use_defaultESK_EENS0_5tupleIJSF_SF_EEENSM_IJSG_SG_EEES6_PlJS6_EEE10hipError_tPvRmT3_T4_T5_T6_T7_T9_mT8_P12ihipStream_tbDpT10_ENKUlT_T0_E_clISt17integral_constantIbLb0EES18_IbLb1EEEEDaS14_S15_EUlS14_E_NS1_11comp_targetILNS1_3genE2ELNS1_11target_archE906ELNS1_3gpuE6ELNS1_3repE0EEENS1_30default_config_static_selectorELNS0_4arch9wavefront6targetE1EEEvT1_, .Lfunc_end413-_ZN7rocprim17ROCPRIM_400000_NS6detail17trampoline_kernelINS0_14default_configENS1_25partition_config_selectorILNS1_17partition_subalgoE1ExNS0_10empty_typeEbEEZZNS1_14partition_implILS5_1ELb0ES3_jN6thrust23THRUST_200600_302600_NS6detail15normal_iteratorINSA_10device_ptrIxEEEEPS6_NSA_18transform_iteratorI7is_evenIxESF_NSA_11use_defaultESK_EENS0_5tupleIJSF_SF_EEENSM_IJSG_SG_EEES6_PlJS6_EEE10hipError_tPvRmT3_T4_T5_T6_T7_T9_mT8_P12ihipStream_tbDpT10_ENKUlT_T0_E_clISt17integral_constantIbLb0EES18_IbLb1EEEEDaS14_S15_EUlS14_E_NS1_11comp_targetILNS1_3genE2ELNS1_11target_archE906ELNS1_3gpuE6ELNS1_3repE0EEENS1_30default_config_static_selectorELNS0_4arch9wavefront6targetE1EEEvT1_
                                        ; -- End function
	.section	.AMDGPU.csdata,"",@progbits
; Kernel info:
; codeLenInByte = 0
; NumSgprs: 6
; NumVgprs: 0
; NumAgprs: 0
; TotalNumVgprs: 0
; ScratchSize: 0
; MemoryBound: 0
; FloatMode: 240
; IeeeMode: 1
; LDSByteSize: 0 bytes/workgroup (compile time only)
; SGPRBlocks: 0
; VGPRBlocks: 0
; NumSGPRsForWavesPerEU: 6
; NumVGPRsForWavesPerEU: 1
; AccumOffset: 4
; Occupancy: 8
; WaveLimiterHint : 0
; COMPUTE_PGM_RSRC2:SCRATCH_EN: 0
; COMPUTE_PGM_RSRC2:USER_SGPR: 2
; COMPUTE_PGM_RSRC2:TRAP_HANDLER: 0
; COMPUTE_PGM_RSRC2:TGID_X_EN: 1
; COMPUTE_PGM_RSRC2:TGID_Y_EN: 0
; COMPUTE_PGM_RSRC2:TGID_Z_EN: 0
; COMPUTE_PGM_RSRC2:TIDIG_COMP_CNT: 0
; COMPUTE_PGM_RSRC3_GFX90A:ACCUM_OFFSET: 0
; COMPUTE_PGM_RSRC3_GFX90A:TG_SPLIT: 0
	.section	.text._ZN7rocprim17ROCPRIM_400000_NS6detail17trampoline_kernelINS0_14default_configENS1_25partition_config_selectorILNS1_17partition_subalgoE1ExNS0_10empty_typeEbEEZZNS1_14partition_implILS5_1ELb0ES3_jN6thrust23THRUST_200600_302600_NS6detail15normal_iteratorINSA_10device_ptrIxEEEEPS6_NSA_18transform_iteratorI7is_evenIxESF_NSA_11use_defaultESK_EENS0_5tupleIJSF_SF_EEENSM_IJSG_SG_EEES6_PlJS6_EEE10hipError_tPvRmT3_T4_T5_T6_T7_T9_mT8_P12ihipStream_tbDpT10_ENKUlT_T0_E_clISt17integral_constantIbLb0EES18_IbLb1EEEEDaS14_S15_EUlS14_E_NS1_11comp_targetILNS1_3genE10ELNS1_11target_archE1200ELNS1_3gpuE4ELNS1_3repE0EEENS1_30default_config_static_selectorELNS0_4arch9wavefront6targetE1EEEvT1_,"axG",@progbits,_ZN7rocprim17ROCPRIM_400000_NS6detail17trampoline_kernelINS0_14default_configENS1_25partition_config_selectorILNS1_17partition_subalgoE1ExNS0_10empty_typeEbEEZZNS1_14partition_implILS5_1ELb0ES3_jN6thrust23THRUST_200600_302600_NS6detail15normal_iteratorINSA_10device_ptrIxEEEEPS6_NSA_18transform_iteratorI7is_evenIxESF_NSA_11use_defaultESK_EENS0_5tupleIJSF_SF_EEENSM_IJSG_SG_EEES6_PlJS6_EEE10hipError_tPvRmT3_T4_T5_T6_T7_T9_mT8_P12ihipStream_tbDpT10_ENKUlT_T0_E_clISt17integral_constantIbLb0EES18_IbLb1EEEEDaS14_S15_EUlS14_E_NS1_11comp_targetILNS1_3genE10ELNS1_11target_archE1200ELNS1_3gpuE4ELNS1_3repE0EEENS1_30default_config_static_selectorELNS0_4arch9wavefront6targetE1EEEvT1_,comdat
	.protected	_ZN7rocprim17ROCPRIM_400000_NS6detail17trampoline_kernelINS0_14default_configENS1_25partition_config_selectorILNS1_17partition_subalgoE1ExNS0_10empty_typeEbEEZZNS1_14partition_implILS5_1ELb0ES3_jN6thrust23THRUST_200600_302600_NS6detail15normal_iteratorINSA_10device_ptrIxEEEEPS6_NSA_18transform_iteratorI7is_evenIxESF_NSA_11use_defaultESK_EENS0_5tupleIJSF_SF_EEENSM_IJSG_SG_EEES6_PlJS6_EEE10hipError_tPvRmT3_T4_T5_T6_T7_T9_mT8_P12ihipStream_tbDpT10_ENKUlT_T0_E_clISt17integral_constantIbLb0EES18_IbLb1EEEEDaS14_S15_EUlS14_E_NS1_11comp_targetILNS1_3genE10ELNS1_11target_archE1200ELNS1_3gpuE4ELNS1_3repE0EEENS1_30default_config_static_selectorELNS0_4arch9wavefront6targetE1EEEvT1_ ; -- Begin function _ZN7rocprim17ROCPRIM_400000_NS6detail17trampoline_kernelINS0_14default_configENS1_25partition_config_selectorILNS1_17partition_subalgoE1ExNS0_10empty_typeEbEEZZNS1_14partition_implILS5_1ELb0ES3_jN6thrust23THRUST_200600_302600_NS6detail15normal_iteratorINSA_10device_ptrIxEEEEPS6_NSA_18transform_iteratorI7is_evenIxESF_NSA_11use_defaultESK_EENS0_5tupleIJSF_SF_EEENSM_IJSG_SG_EEES6_PlJS6_EEE10hipError_tPvRmT3_T4_T5_T6_T7_T9_mT8_P12ihipStream_tbDpT10_ENKUlT_T0_E_clISt17integral_constantIbLb0EES18_IbLb1EEEEDaS14_S15_EUlS14_E_NS1_11comp_targetILNS1_3genE10ELNS1_11target_archE1200ELNS1_3gpuE4ELNS1_3repE0EEENS1_30default_config_static_selectorELNS0_4arch9wavefront6targetE1EEEvT1_
	.globl	_ZN7rocprim17ROCPRIM_400000_NS6detail17trampoline_kernelINS0_14default_configENS1_25partition_config_selectorILNS1_17partition_subalgoE1ExNS0_10empty_typeEbEEZZNS1_14partition_implILS5_1ELb0ES3_jN6thrust23THRUST_200600_302600_NS6detail15normal_iteratorINSA_10device_ptrIxEEEEPS6_NSA_18transform_iteratorI7is_evenIxESF_NSA_11use_defaultESK_EENS0_5tupleIJSF_SF_EEENSM_IJSG_SG_EEES6_PlJS6_EEE10hipError_tPvRmT3_T4_T5_T6_T7_T9_mT8_P12ihipStream_tbDpT10_ENKUlT_T0_E_clISt17integral_constantIbLb0EES18_IbLb1EEEEDaS14_S15_EUlS14_E_NS1_11comp_targetILNS1_3genE10ELNS1_11target_archE1200ELNS1_3gpuE4ELNS1_3repE0EEENS1_30default_config_static_selectorELNS0_4arch9wavefront6targetE1EEEvT1_
	.p2align	8
	.type	_ZN7rocprim17ROCPRIM_400000_NS6detail17trampoline_kernelINS0_14default_configENS1_25partition_config_selectorILNS1_17partition_subalgoE1ExNS0_10empty_typeEbEEZZNS1_14partition_implILS5_1ELb0ES3_jN6thrust23THRUST_200600_302600_NS6detail15normal_iteratorINSA_10device_ptrIxEEEEPS6_NSA_18transform_iteratorI7is_evenIxESF_NSA_11use_defaultESK_EENS0_5tupleIJSF_SF_EEENSM_IJSG_SG_EEES6_PlJS6_EEE10hipError_tPvRmT3_T4_T5_T6_T7_T9_mT8_P12ihipStream_tbDpT10_ENKUlT_T0_E_clISt17integral_constantIbLb0EES18_IbLb1EEEEDaS14_S15_EUlS14_E_NS1_11comp_targetILNS1_3genE10ELNS1_11target_archE1200ELNS1_3gpuE4ELNS1_3repE0EEENS1_30default_config_static_selectorELNS0_4arch9wavefront6targetE1EEEvT1_,@function
_ZN7rocprim17ROCPRIM_400000_NS6detail17trampoline_kernelINS0_14default_configENS1_25partition_config_selectorILNS1_17partition_subalgoE1ExNS0_10empty_typeEbEEZZNS1_14partition_implILS5_1ELb0ES3_jN6thrust23THRUST_200600_302600_NS6detail15normal_iteratorINSA_10device_ptrIxEEEEPS6_NSA_18transform_iteratorI7is_evenIxESF_NSA_11use_defaultESK_EENS0_5tupleIJSF_SF_EEENSM_IJSG_SG_EEES6_PlJS6_EEE10hipError_tPvRmT3_T4_T5_T6_T7_T9_mT8_P12ihipStream_tbDpT10_ENKUlT_T0_E_clISt17integral_constantIbLb0EES18_IbLb1EEEEDaS14_S15_EUlS14_E_NS1_11comp_targetILNS1_3genE10ELNS1_11target_archE1200ELNS1_3gpuE4ELNS1_3repE0EEENS1_30default_config_static_selectorELNS0_4arch9wavefront6targetE1EEEvT1_: ; @_ZN7rocprim17ROCPRIM_400000_NS6detail17trampoline_kernelINS0_14default_configENS1_25partition_config_selectorILNS1_17partition_subalgoE1ExNS0_10empty_typeEbEEZZNS1_14partition_implILS5_1ELb0ES3_jN6thrust23THRUST_200600_302600_NS6detail15normal_iteratorINSA_10device_ptrIxEEEEPS6_NSA_18transform_iteratorI7is_evenIxESF_NSA_11use_defaultESK_EENS0_5tupleIJSF_SF_EEENSM_IJSG_SG_EEES6_PlJS6_EEE10hipError_tPvRmT3_T4_T5_T6_T7_T9_mT8_P12ihipStream_tbDpT10_ENKUlT_T0_E_clISt17integral_constantIbLb0EES18_IbLb1EEEEDaS14_S15_EUlS14_E_NS1_11comp_targetILNS1_3genE10ELNS1_11target_archE1200ELNS1_3gpuE4ELNS1_3repE0EEENS1_30default_config_static_selectorELNS0_4arch9wavefront6targetE1EEEvT1_
; %bb.0:
	.section	.rodata,"a",@progbits
	.p2align	6, 0x0
	.amdhsa_kernel _ZN7rocprim17ROCPRIM_400000_NS6detail17trampoline_kernelINS0_14default_configENS1_25partition_config_selectorILNS1_17partition_subalgoE1ExNS0_10empty_typeEbEEZZNS1_14partition_implILS5_1ELb0ES3_jN6thrust23THRUST_200600_302600_NS6detail15normal_iteratorINSA_10device_ptrIxEEEEPS6_NSA_18transform_iteratorI7is_evenIxESF_NSA_11use_defaultESK_EENS0_5tupleIJSF_SF_EEENSM_IJSG_SG_EEES6_PlJS6_EEE10hipError_tPvRmT3_T4_T5_T6_T7_T9_mT8_P12ihipStream_tbDpT10_ENKUlT_T0_E_clISt17integral_constantIbLb0EES18_IbLb1EEEEDaS14_S15_EUlS14_E_NS1_11comp_targetILNS1_3genE10ELNS1_11target_archE1200ELNS1_3gpuE4ELNS1_3repE0EEENS1_30default_config_static_selectorELNS0_4arch9wavefront6targetE1EEEvT1_
		.amdhsa_group_segment_fixed_size 0
		.amdhsa_private_segment_fixed_size 0
		.amdhsa_kernarg_size 144
		.amdhsa_user_sgpr_count 2
		.amdhsa_user_sgpr_dispatch_ptr 0
		.amdhsa_user_sgpr_queue_ptr 0
		.amdhsa_user_sgpr_kernarg_segment_ptr 1
		.amdhsa_user_sgpr_dispatch_id 0
		.amdhsa_user_sgpr_kernarg_preload_length 0
		.amdhsa_user_sgpr_kernarg_preload_offset 0
		.amdhsa_user_sgpr_private_segment_size 0
		.amdhsa_uses_dynamic_stack 0
		.amdhsa_enable_private_segment 0
		.amdhsa_system_sgpr_workgroup_id_x 1
		.amdhsa_system_sgpr_workgroup_id_y 0
		.amdhsa_system_sgpr_workgroup_id_z 0
		.amdhsa_system_sgpr_workgroup_info 0
		.amdhsa_system_vgpr_workitem_id 0
		.amdhsa_next_free_vgpr 1
		.amdhsa_next_free_sgpr 0
		.amdhsa_accum_offset 4
		.amdhsa_reserve_vcc 0
		.amdhsa_float_round_mode_32 0
		.amdhsa_float_round_mode_16_64 0
		.amdhsa_float_denorm_mode_32 3
		.amdhsa_float_denorm_mode_16_64 3
		.amdhsa_dx10_clamp 1
		.amdhsa_ieee_mode 1
		.amdhsa_fp16_overflow 0
		.amdhsa_tg_split 0
		.amdhsa_exception_fp_ieee_invalid_op 0
		.amdhsa_exception_fp_denorm_src 0
		.amdhsa_exception_fp_ieee_div_zero 0
		.amdhsa_exception_fp_ieee_overflow 0
		.amdhsa_exception_fp_ieee_underflow 0
		.amdhsa_exception_fp_ieee_inexact 0
		.amdhsa_exception_int_div_zero 0
	.end_amdhsa_kernel
	.section	.text._ZN7rocprim17ROCPRIM_400000_NS6detail17trampoline_kernelINS0_14default_configENS1_25partition_config_selectorILNS1_17partition_subalgoE1ExNS0_10empty_typeEbEEZZNS1_14partition_implILS5_1ELb0ES3_jN6thrust23THRUST_200600_302600_NS6detail15normal_iteratorINSA_10device_ptrIxEEEEPS6_NSA_18transform_iteratorI7is_evenIxESF_NSA_11use_defaultESK_EENS0_5tupleIJSF_SF_EEENSM_IJSG_SG_EEES6_PlJS6_EEE10hipError_tPvRmT3_T4_T5_T6_T7_T9_mT8_P12ihipStream_tbDpT10_ENKUlT_T0_E_clISt17integral_constantIbLb0EES18_IbLb1EEEEDaS14_S15_EUlS14_E_NS1_11comp_targetILNS1_3genE10ELNS1_11target_archE1200ELNS1_3gpuE4ELNS1_3repE0EEENS1_30default_config_static_selectorELNS0_4arch9wavefront6targetE1EEEvT1_,"axG",@progbits,_ZN7rocprim17ROCPRIM_400000_NS6detail17trampoline_kernelINS0_14default_configENS1_25partition_config_selectorILNS1_17partition_subalgoE1ExNS0_10empty_typeEbEEZZNS1_14partition_implILS5_1ELb0ES3_jN6thrust23THRUST_200600_302600_NS6detail15normal_iteratorINSA_10device_ptrIxEEEEPS6_NSA_18transform_iteratorI7is_evenIxESF_NSA_11use_defaultESK_EENS0_5tupleIJSF_SF_EEENSM_IJSG_SG_EEES6_PlJS6_EEE10hipError_tPvRmT3_T4_T5_T6_T7_T9_mT8_P12ihipStream_tbDpT10_ENKUlT_T0_E_clISt17integral_constantIbLb0EES18_IbLb1EEEEDaS14_S15_EUlS14_E_NS1_11comp_targetILNS1_3genE10ELNS1_11target_archE1200ELNS1_3gpuE4ELNS1_3repE0EEENS1_30default_config_static_selectorELNS0_4arch9wavefront6targetE1EEEvT1_,comdat
.Lfunc_end414:
	.size	_ZN7rocprim17ROCPRIM_400000_NS6detail17trampoline_kernelINS0_14default_configENS1_25partition_config_selectorILNS1_17partition_subalgoE1ExNS0_10empty_typeEbEEZZNS1_14partition_implILS5_1ELb0ES3_jN6thrust23THRUST_200600_302600_NS6detail15normal_iteratorINSA_10device_ptrIxEEEEPS6_NSA_18transform_iteratorI7is_evenIxESF_NSA_11use_defaultESK_EENS0_5tupleIJSF_SF_EEENSM_IJSG_SG_EEES6_PlJS6_EEE10hipError_tPvRmT3_T4_T5_T6_T7_T9_mT8_P12ihipStream_tbDpT10_ENKUlT_T0_E_clISt17integral_constantIbLb0EES18_IbLb1EEEEDaS14_S15_EUlS14_E_NS1_11comp_targetILNS1_3genE10ELNS1_11target_archE1200ELNS1_3gpuE4ELNS1_3repE0EEENS1_30default_config_static_selectorELNS0_4arch9wavefront6targetE1EEEvT1_, .Lfunc_end414-_ZN7rocprim17ROCPRIM_400000_NS6detail17trampoline_kernelINS0_14default_configENS1_25partition_config_selectorILNS1_17partition_subalgoE1ExNS0_10empty_typeEbEEZZNS1_14partition_implILS5_1ELb0ES3_jN6thrust23THRUST_200600_302600_NS6detail15normal_iteratorINSA_10device_ptrIxEEEEPS6_NSA_18transform_iteratorI7is_evenIxESF_NSA_11use_defaultESK_EENS0_5tupleIJSF_SF_EEENSM_IJSG_SG_EEES6_PlJS6_EEE10hipError_tPvRmT3_T4_T5_T6_T7_T9_mT8_P12ihipStream_tbDpT10_ENKUlT_T0_E_clISt17integral_constantIbLb0EES18_IbLb1EEEEDaS14_S15_EUlS14_E_NS1_11comp_targetILNS1_3genE10ELNS1_11target_archE1200ELNS1_3gpuE4ELNS1_3repE0EEENS1_30default_config_static_selectorELNS0_4arch9wavefront6targetE1EEEvT1_
                                        ; -- End function
	.section	.AMDGPU.csdata,"",@progbits
; Kernel info:
; codeLenInByte = 0
; NumSgprs: 6
; NumVgprs: 0
; NumAgprs: 0
; TotalNumVgprs: 0
; ScratchSize: 0
; MemoryBound: 0
; FloatMode: 240
; IeeeMode: 1
; LDSByteSize: 0 bytes/workgroup (compile time only)
; SGPRBlocks: 0
; VGPRBlocks: 0
; NumSGPRsForWavesPerEU: 6
; NumVGPRsForWavesPerEU: 1
; AccumOffset: 4
; Occupancy: 8
; WaveLimiterHint : 0
; COMPUTE_PGM_RSRC2:SCRATCH_EN: 0
; COMPUTE_PGM_RSRC2:USER_SGPR: 2
; COMPUTE_PGM_RSRC2:TRAP_HANDLER: 0
; COMPUTE_PGM_RSRC2:TGID_X_EN: 1
; COMPUTE_PGM_RSRC2:TGID_Y_EN: 0
; COMPUTE_PGM_RSRC2:TGID_Z_EN: 0
; COMPUTE_PGM_RSRC2:TIDIG_COMP_CNT: 0
; COMPUTE_PGM_RSRC3_GFX90A:ACCUM_OFFSET: 0
; COMPUTE_PGM_RSRC3_GFX90A:TG_SPLIT: 0
	.section	.text._ZN7rocprim17ROCPRIM_400000_NS6detail17trampoline_kernelINS0_14default_configENS1_25partition_config_selectorILNS1_17partition_subalgoE1ExNS0_10empty_typeEbEEZZNS1_14partition_implILS5_1ELb0ES3_jN6thrust23THRUST_200600_302600_NS6detail15normal_iteratorINSA_10device_ptrIxEEEEPS6_NSA_18transform_iteratorI7is_evenIxESF_NSA_11use_defaultESK_EENS0_5tupleIJSF_SF_EEENSM_IJSG_SG_EEES6_PlJS6_EEE10hipError_tPvRmT3_T4_T5_T6_T7_T9_mT8_P12ihipStream_tbDpT10_ENKUlT_T0_E_clISt17integral_constantIbLb0EES18_IbLb1EEEEDaS14_S15_EUlS14_E_NS1_11comp_targetILNS1_3genE9ELNS1_11target_archE1100ELNS1_3gpuE3ELNS1_3repE0EEENS1_30default_config_static_selectorELNS0_4arch9wavefront6targetE1EEEvT1_,"axG",@progbits,_ZN7rocprim17ROCPRIM_400000_NS6detail17trampoline_kernelINS0_14default_configENS1_25partition_config_selectorILNS1_17partition_subalgoE1ExNS0_10empty_typeEbEEZZNS1_14partition_implILS5_1ELb0ES3_jN6thrust23THRUST_200600_302600_NS6detail15normal_iteratorINSA_10device_ptrIxEEEEPS6_NSA_18transform_iteratorI7is_evenIxESF_NSA_11use_defaultESK_EENS0_5tupleIJSF_SF_EEENSM_IJSG_SG_EEES6_PlJS6_EEE10hipError_tPvRmT3_T4_T5_T6_T7_T9_mT8_P12ihipStream_tbDpT10_ENKUlT_T0_E_clISt17integral_constantIbLb0EES18_IbLb1EEEEDaS14_S15_EUlS14_E_NS1_11comp_targetILNS1_3genE9ELNS1_11target_archE1100ELNS1_3gpuE3ELNS1_3repE0EEENS1_30default_config_static_selectorELNS0_4arch9wavefront6targetE1EEEvT1_,comdat
	.protected	_ZN7rocprim17ROCPRIM_400000_NS6detail17trampoline_kernelINS0_14default_configENS1_25partition_config_selectorILNS1_17partition_subalgoE1ExNS0_10empty_typeEbEEZZNS1_14partition_implILS5_1ELb0ES3_jN6thrust23THRUST_200600_302600_NS6detail15normal_iteratorINSA_10device_ptrIxEEEEPS6_NSA_18transform_iteratorI7is_evenIxESF_NSA_11use_defaultESK_EENS0_5tupleIJSF_SF_EEENSM_IJSG_SG_EEES6_PlJS6_EEE10hipError_tPvRmT3_T4_T5_T6_T7_T9_mT8_P12ihipStream_tbDpT10_ENKUlT_T0_E_clISt17integral_constantIbLb0EES18_IbLb1EEEEDaS14_S15_EUlS14_E_NS1_11comp_targetILNS1_3genE9ELNS1_11target_archE1100ELNS1_3gpuE3ELNS1_3repE0EEENS1_30default_config_static_selectorELNS0_4arch9wavefront6targetE1EEEvT1_ ; -- Begin function _ZN7rocprim17ROCPRIM_400000_NS6detail17trampoline_kernelINS0_14default_configENS1_25partition_config_selectorILNS1_17partition_subalgoE1ExNS0_10empty_typeEbEEZZNS1_14partition_implILS5_1ELb0ES3_jN6thrust23THRUST_200600_302600_NS6detail15normal_iteratorINSA_10device_ptrIxEEEEPS6_NSA_18transform_iteratorI7is_evenIxESF_NSA_11use_defaultESK_EENS0_5tupleIJSF_SF_EEENSM_IJSG_SG_EEES6_PlJS6_EEE10hipError_tPvRmT3_T4_T5_T6_T7_T9_mT8_P12ihipStream_tbDpT10_ENKUlT_T0_E_clISt17integral_constantIbLb0EES18_IbLb1EEEEDaS14_S15_EUlS14_E_NS1_11comp_targetILNS1_3genE9ELNS1_11target_archE1100ELNS1_3gpuE3ELNS1_3repE0EEENS1_30default_config_static_selectorELNS0_4arch9wavefront6targetE1EEEvT1_
	.globl	_ZN7rocprim17ROCPRIM_400000_NS6detail17trampoline_kernelINS0_14default_configENS1_25partition_config_selectorILNS1_17partition_subalgoE1ExNS0_10empty_typeEbEEZZNS1_14partition_implILS5_1ELb0ES3_jN6thrust23THRUST_200600_302600_NS6detail15normal_iteratorINSA_10device_ptrIxEEEEPS6_NSA_18transform_iteratorI7is_evenIxESF_NSA_11use_defaultESK_EENS0_5tupleIJSF_SF_EEENSM_IJSG_SG_EEES6_PlJS6_EEE10hipError_tPvRmT3_T4_T5_T6_T7_T9_mT8_P12ihipStream_tbDpT10_ENKUlT_T0_E_clISt17integral_constantIbLb0EES18_IbLb1EEEEDaS14_S15_EUlS14_E_NS1_11comp_targetILNS1_3genE9ELNS1_11target_archE1100ELNS1_3gpuE3ELNS1_3repE0EEENS1_30default_config_static_selectorELNS0_4arch9wavefront6targetE1EEEvT1_
	.p2align	8
	.type	_ZN7rocprim17ROCPRIM_400000_NS6detail17trampoline_kernelINS0_14default_configENS1_25partition_config_selectorILNS1_17partition_subalgoE1ExNS0_10empty_typeEbEEZZNS1_14partition_implILS5_1ELb0ES3_jN6thrust23THRUST_200600_302600_NS6detail15normal_iteratorINSA_10device_ptrIxEEEEPS6_NSA_18transform_iteratorI7is_evenIxESF_NSA_11use_defaultESK_EENS0_5tupleIJSF_SF_EEENSM_IJSG_SG_EEES6_PlJS6_EEE10hipError_tPvRmT3_T4_T5_T6_T7_T9_mT8_P12ihipStream_tbDpT10_ENKUlT_T0_E_clISt17integral_constantIbLb0EES18_IbLb1EEEEDaS14_S15_EUlS14_E_NS1_11comp_targetILNS1_3genE9ELNS1_11target_archE1100ELNS1_3gpuE3ELNS1_3repE0EEENS1_30default_config_static_selectorELNS0_4arch9wavefront6targetE1EEEvT1_,@function
_ZN7rocprim17ROCPRIM_400000_NS6detail17trampoline_kernelINS0_14default_configENS1_25partition_config_selectorILNS1_17partition_subalgoE1ExNS0_10empty_typeEbEEZZNS1_14partition_implILS5_1ELb0ES3_jN6thrust23THRUST_200600_302600_NS6detail15normal_iteratorINSA_10device_ptrIxEEEEPS6_NSA_18transform_iteratorI7is_evenIxESF_NSA_11use_defaultESK_EENS0_5tupleIJSF_SF_EEENSM_IJSG_SG_EEES6_PlJS6_EEE10hipError_tPvRmT3_T4_T5_T6_T7_T9_mT8_P12ihipStream_tbDpT10_ENKUlT_T0_E_clISt17integral_constantIbLb0EES18_IbLb1EEEEDaS14_S15_EUlS14_E_NS1_11comp_targetILNS1_3genE9ELNS1_11target_archE1100ELNS1_3gpuE3ELNS1_3repE0EEENS1_30default_config_static_selectorELNS0_4arch9wavefront6targetE1EEEvT1_: ; @_ZN7rocprim17ROCPRIM_400000_NS6detail17trampoline_kernelINS0_14default_configENS1_25partition_config_selectorILNS1_17partition_subalgoE1ExNS0_10empty_typeEbEEZZNS1_14partition_implILS5_1ELb0ES3_jN6thrust23THRUST_200600_302600_NS6detail15normal_iteratorINSA_10device_ptrIxEEEEPS6_NSA_18transform_iteratorI7is_evenIxESF_NSA_11use_defaultESK_EENS0_5tupleIJSF_SF_EEENSM_IJSG_SG_EEES6_PlJS6_EEE10hipError_tPvRmT3_T4_T5_T6_T7_T9_mT8_P12ihipStream_tbDpT10_ENKUlT_T0_E_clISt17integral_constantIbLb0EES18_IbLb1EEEEDaS14_S15_EUlS14_E_NS1_11comp_targetILNS1_3genE9ELNS1_11target_archE1100ELNS1_3gpuE3ELNS1_3repE0EEENS1_30default_config_static_selectorELNS0_4arch9wavefront6targetE1EEEvT1_
; %bb.0:
	.section	.rodata,"a",@progbits
	.p2align	6, 0x0
	.amdhsa_kernel _ZN7rocprim17ROCPRIM_400000_NS6detail17trampoline_kernelINS0_14default_configENS1_25partition_config_selectorILNS1_17partition_subalgoE1ExNS0_10empty_typeEbEEZZNS1_14partition_implILS5_1ELb0ES3_jN6thrust23THRUST_200600_302600_NS6detail15normal_iteratorINSA_10device_ptrIxEEEEPS6_NSA_18transform_iteratorI7is_evenIxESF_NSA_11use_defaultESK_EENS0_5tupleIJSF_SF_EEENSM_IJSG_SG_EEES6_PlJS6_EEE10hipError_tPvRmT3_T4_T5_T6_T7_T9_mT8_P12ihipStream_tbDpT10_ENKUlT_T0_E_clISt17integral_constantIbLb0EES18_IbLb1EEEEDaS14_S15_EUlS14_E_NS1_11comp_targetILNS1_3genE9ELNS1_11target_archE1100ELNS1_3gpuE3ELNS1_3repE0EEENS1_30default_config_static_selectorELNS0_4arch9wavefront6targetE1EEEvT1_
		.amdhsa_group_segment_fixed_size 0
		.amdhsa_private_segment_fixed_size 0
		.amdhsa_kernarg_size 144
		.amdhsa_user_sgpr_count 2
		.amdhsa_user_sgpr_dispatch_ptr 0
		.amdhsa_user_sgpr_queue_ptr 0
		.amdhsa_user_sgpr_kernarg_segment_ptr 1
		.amdhsa_user_sgpr_dispatch_id 0
		.amdhsa_user_sgpr_kernarg_preload_length 0
		.amdhsa_user_sgpr_kernarg_preload_offset 0
		.amdhsa_user_sgpr_private_segment_size 0
		.amdhsa_uses_dynamic_stack 0
		.amdhsa_enable_private_segment 0
		.amdhsa_system_sgpr_workgroup_id_x 1
		.amdhsa_system_sgpr_workgroup_id_y 0
		.amdhsa_system_sgpr_workgroup_id_z 0
		.amdhsa_system_sgpr_workgroup_info 0
		.amdhsa_system_vgpr_workitem_id 0
		.amdhsa_next_free_vgpr 1
		.amdhsa_next_free_sgpr 0
		.amdhsa_accum_offset 4
		.amdhsa_reserve_vcc 0
		.amdhsa_float_round_mode_32 0
		.amdhsa_float_round_mode_16_64 0
		.amdhsa_float_denorm_mode_32 3
		.amdhsa_float_denorm_mode_16_64 3
		.amdhsa_dx10_clamp 1
		.amdhsa_ieee_mode 1
		.amdhsa_fp16_overflow 0
		.amdhsa_tg_split 0
		.amdhsa_exception_fp_ieee_invalid_op 0
		.amdhsa_exception_fp_denorm_src 0
		.amdhsa_exception_fp_ieee_div_zero 0
		.amdhsa_exception_fp_ieee_overflow 0
		.amdhsa_exception_fp_ieee_underflow 0
		.amdhsa_exception_fp_ieee_inexact 0
		.amdhsa_exception_int_div_zero 0
	.end_amdhsa_kernel
	.section	.text._ZN7rocprim17ROCPRIM_400000_NS6detail17trampoline_kernelINS0_14default_configENS1_25partition_config_selectorILNS1_17partition_subalgoE1ExNS0_10empty_typeEbEEZZNS1_14partition_implILS5_1ELb0ES3_jN6thrust23THRUST_200600_302600_NS6detail15normal_iteratorINSA_10device_ptrIxEEEEPS6_NSA_18transform_iteratorI7is_evenIxESF_NSA_11use_defaultESK_EENS0_5tupleIJSF_SF_EEENSM_IJSG_SG_EEES6_PlJS6_EEE10hipError_tPvRmT3_T4_T5_T6_T7_T9_mT8_P12ihipStream_tbDpT10_ENKUlT_T0_E_clISt17integral_constantIbLb0EES18_IbLb1EEEEDaS14_S15_EUlS14_E_NS1_11comp_targetILNS1_3genE9ELNS1_11target_archE1100ELNS1_3gpuE3ELNS1_3repE0EEENS1_30default_config_static_selectorELNS0_4arch9wavefront6targetE1EEEvT1_,"axG",@progbits,_ZN7rocprim17ROCPRIM_400000_NS6detail17trampoline_kernelINS0_14default_configENS1_25partition_config_selectorILNS1_17partition_subalgoE1ExNS0_10empty_typeEbEEZZNS1_14partition_implILS5_1ELb0ES3_jN6thrust23THRUST_200600_302600_NS6detail15normal_iteratorINSA_10device_ptrIxEEEEPS6_NSA_18transform_iteratorI7is_evenIxESF_NSA_11use_defaultESK_EENS0_5tupleIJSF_SF_EEENSM_IJSG_SG_EEES6_PlJS6_EEE10hipError_tPvRmT3_T4_T5_T6_T7_T9_mT8_P12ihipStream_tbDpT10_ENKUlT_T0_E_clISt17integral_constantIbLb0EES18_IbLb1EEEEDaS14_S15_EUlS14_E_NS1_11comp_targetILNS1_3genE9ELNS1_11target_archE1100ELNS1_3gpuE3ELNS1_3repE0EEENS1_30default_config_static_selectorELNS0_4arch9wavefront6targetE1EEEvT1_,comdat
.Lfunc_end415:
	.size	_ZN7rocprim17ROCPRIM_400000_NS6detail17trampoline_kernelINS0_14default_configENS1_25partition_config_selectorILNS1_17partition_subalgoE1ExNS0_10empty_typeEbEEZZNS1_14partition_implILS5_1ELb0ES3_jN6thrust23THRUST_200600_302600_NS6detail15normal_iteratorINSA_10device_ptrIxEEEEPS6_NSA_18transform_iteratorI7is_evenIxESF_NSA_11use_defaultESK_EENS0_5tupleIJSF_SF_EEENSM_IJSG_SG_EEES6_PlJS6_EEE10hipError_tPvRmT3_T4_T5_T6_T7_T9_mT8_P12ihipStream_tbDpT10_ENKUlT_T0_E_clISt17integral_constantIbLb0EES18_IbLb1EEEEDaS14_S15_EUlS14_E_NS1_11comp_targetILNS1_3genE9ELNS1_11target_archE1100ELNS1_3gpuE3ELNS1_3repE0EEENS1_30default_config_static_selectorELNS0_4arch9wavefront6targetE1EEEvT1_, .Lfunc_end415-_ZN7rocprim17ROCPRIM_400000_NS6detail17trampoline_kernelINS0_14default_configENS1_25partition_config_selectorILNS1_17partition_subalgoE1ExNS0_10empty_typeEbEEZZNS1_14partition_implILS5_1ELb0ES3_jN6thrust23THRUST_200600_302600_NS6detail15normal_iteratorINSA_10device_ptrIxEEEEPS6_NSA_18transform_iteratorI7is_evenIxESF_NSA_11use_defaultESK_EENS0_5tupleIJSF_SF_EEENSM_IJSG_SG_EEES6_PlJS6_EEE10hipError_tPvRmT3_T4_T5_T6_T7_T9_mT8_P12ihipStream_tbDpT10_ENKUlT_T0_E_clISt17integral_constantIbLb0EES18_IbLb1EEEEDaS14_S15_EUlS14_E_NS1_11comp_targetILNS1_3genE9ELNS1_11target_archE1100ELNS1_3gpuE3ELNS1_3repE0EEENS1_30default_config_static_selectorELNS0_4arch9wavefront6targetE1EEEvT1_
                                        ; -- End function
	.section	.AMDGPU.csdata,"",@progbits
; Kernel info:
; codeLenInByte = 0
; NumSgprs: 6
; NumVgprs: 0
; NumAgprs: 0
; TotalNumVgprs: 0
; ScratchSize: 0
; MemoryBound: 0
; FloatMode: 240
; IeeeMode: 1
; LDSByteSize: 0 bytes/workgroup (compile time only)
; SGPRBlocks: 0
; VGPRBlocks: 0
; NumSGPRsForWavesPerEU: 6
; NumVGPRsForWavesPerEU: 1
; AccumOffset: 4
; Occupancy: 8
; WaveLimiterHint : 0
; COMPUTE_PGM_RSRC2:SCRATCH_EN: 0
; COMPUTE_PGM_RSRC2:USER_SGPR: 2
; COMPUTE_PGM_RSRC2:TRAP_HANDLER: 0
; COMPUTE_PGM_RSRC2:TGID_X_EN: 1
; COMPUTE_PGM_RSRC2:TGID_Y_EN: 0
; COMPUTE_PGM_RSRC2:TGID_Z_EN: 0
; COMPUTE_PGM_RSRC2:TIDIG_COMP_CNT: 0
; COMPUTE_PGM_RSRC3_GFX90A:ACCUM_OFFSET: 0
; COMPUTE_PGM_RSRC3_GFX90A:TG_SPLIT: 0
	.section	.text._ZN7rocprim17ROCPRIM_400000_NS6detail17trampoline_kernelINS0_14default_configENS1_25partition_config_selectorILNS1_17partition_subalgoE1ExNS0_10empty_typeEbEEZZNS1_14partition_implILS5_1ELb0ES3_jN6thrust23THRUST_200600_302600_NS6detail15normal_iteratorINSA_10device_ptrIxEEEEPS6_NSA_18transform_iteratorI7is_evenIxESF_NSA_11use_defaultESK_EENS0_5tupleIJSF_SF_EEENSM_IJSG_SG_EEES6_PlJS6_EEE10hipError_tPvRmT3_T4_T5_T6_T7_T9_mT8_P12ihipStream_tbDpT10_ENKUlT_T0_E_clISt17integral_constantIbLb0EES18_IbLb1EEEEDaS14_S15_EUlS14_E_NS1_11comp_targetILNS1_3genE8ELNS1_11target_archE1030ELNS1_3gpuE2ELNS1_3repE0EEENS1_30default_config_static_selectorELNS0_4arch9wavefront6targetE1EEEvT1_,"axG",@progbits,_ZN7rocprim17ROCPRIM_400000_NS6detail17trampoline_kernelINS0_14default_configENS1_25partition_config_selectorILNS1_17partition_subalgoE1ExNS0_10empty_typeEbEEZZNS1_14partition_implILS5_1ELb0ES3_jN6thrust23THRUST_200600_302600_NS6detail15normal_iteratorINSA_10device_ptrIxEEEEPS6_NSA_18transform_iteratorI7is_evenIxESF_NSA_11use_defaultESK_EENS0_5tupleIJSF_SF_EEENSM_IJSG_SG_EEES6_PlJS6_EEE10hipError_tPvRmT3_T4_T5_T6_T7_T9_mT8_P12ihipStream_tbDpT10_ENKUlT_T0_E_clISt17integral_constantIbLb0EES18_IbLb1EEEEDaS14_S15_EUlS14_E_NS1_11comp_targetILNS1_3genE8ELNS1_11target_archE1030ELNS1_3gpuE2ELNS1_3repE0EEENS1_30default_config_static_selectorELNS0_4arch9wavefront6targetE1EEEvT1_,comdat
	.protected	_ZN7rocprim17ROCPRIM_400000_NS6detail17trampoline_kernelINS0_14default_configENS1_25partition_config_selectorILNS1_17partition_subalgoE1ExNS0_10empty_typeEbEEZZNS1_14partition_implILS5_1ELb0ES3_jN6thrust23THRUST_200600_302600_NS6detail15normal_iteratorINSA_10device_ptrIxEEEEPS6_NSA_18transform_iteratorI7is_evenIxESF_NSA_11use_defaultESK_EENS0_5tupleIJSF_SF_EEENSM_IJSG_SG_EEES6_PlJS6_EEE10hipError_tPvRmT3_T4_T5_T6_T7_T9_mT8_P12ihipStream_tbDpT10_ENKUlT_T0_E_clISt17integral_constantIbLb0EES18_IbLb1EEEEDaS14_S15_EUlS14_E_NS1_11comp_targetILNS1_3genE8ELNS1_11target_archE1030ELNS1_3gpuE2ELNS1_3repE0EEENS1_30default_config_static_selectorELNS0_4arch9wavefront6targetE1EEEvT1_ ; -- Begin function _ZN7rocprim17ROCPRIM_400000_NS6detail17trampoline_kernelINS0_14default_configENS1_25partition_config_selectorILNS1_17partition_subalgoE1ExNS0_10empty_typeEbEEZZNS1_14partition_implILS5_1ELb0ES3_jN6thrust23THRUST_200600_302600_NS6detail15normal_iteratorINSA_10device_ptrIxEEEEPS6_NSA_18transform_iteratorI7is_evenIxESF_NSA_11use_defaultESK_EENS0_5tupleIJSF_SF_EEENSM_IJSG_SG_EEES6_PlJS6_EEE10hipError_tPvRmT3_T4_T5_T6_T7_T9_mT8_P12ihipStream_tbDpT10_ENKUlT_T0_E_clISt17integral_constantIbLb0EES18_IbLb1EEEEDaS14_S15_EUlS14_E_NS1_11comp_targetILNS1_3genE8ELNS1_11target_archE1030ELNS1_3gpuE2ELNS1_3repE0EEENS1_30default_config_static_selectorELNS0_4arch9wavefront6targetE1EEEvT1_
	.globl	_ZN7rocprim17ROCPRIM_400000_NS6detail17trampoline_kernelINS0_14default_configENS1_25partition_config_selectorILNS1_17partition_subalgoE1ExNS0_10empty_typeEbEEZZNS1_14partition_implILS5_1ELb0ES3_jN6thrust23THRUST_200600_302600_NS6detail15normal_iteratorINSA_10device_ptrIxEEEEPS6_NSA_18transform_iteratorI7is_evenIxESF_NSA_11use_defaultESK_EENS0_5tupleIJSF_SF_EEENSM_IJSG_SG_EEES6_PlJS6_EEE10hipError_tPvRmT3_T4_T5_T6_T7_T9_mT8_P12ihipStream_tbDpT10_ENKUlT_T0_E_clISt17integral_constantIbLb0EES18_IbLb1EEEEDaS14_S15_EUlS14_E_NS1_11comp_targetILNS1_3genE8ELNS1_11target_archE1030ELNS1_3gpuE2ELNS1_3repE0EEENS1_30default_config_static_selectorELNS0_4arch9wavefront6targetE1EEEvT1_
	.p2align	8
	.type	_ZN7rocprim17ROCPRIM_400000_NS6detail17trampoline_kernelINS0_14default_configENS1_25partition_config_selectorILNS1_17partition_subalgoE1ExNS0_10empty_typeEbEEZZNS1_14partition_implILS5_1ELb0ES3_jN6thrust23THRUST_200600_302600_NS6detail15normal_iteratorINSA_10device_ptrIxEEEEPS6_NSA_18transform_iteratorI7is_evenIxESF_NSA_11use_defaultESK_EENS0_5tupleIJSF_SF_EEENSM_IJSG_SG_EEES6_PlJS6_EEE10hipError_tPvRmT3_T4_T5_T6_T7_T9_mT8_P12ihipStream_tbDpT10_ENKUlT_T0_E_clISt17integral_constantIbLb0EES18_IbLb1EEEEDaS14_S15_EUlS14_E_NS1_11comp_targetILNS1_3genE8ELNS1_11target_archE1030ELNS1_3gpuE2ELNS1_3repE0EEENS1_30default_config_static_selectorELNS0_4arch9wavefront6targetE1EEEvT1_,@function
_ZN7rocprim17ROCPRIM_400000_NS6detail17trampoline_kernelINS0_14default_configENS1_25partition_config_selectorILNS1_17partition_subalgoE1ExNS0_10empty_typeEbEEZZNS1_14partition_implILS5_1ELb0ES3_jN6thrust23THRUST_200600_302600_NS6detail15normal_iteratorINSA_10device_ptrIxEEEEPS6_NSA_18transform_iteratorI7is_evenIxESF_NSA_11use_defaultESK_EENS0_5tupleIJSF_SF_EEENSM_IJSG_SG_EEES6_PlJS6_EEE10hipError_tPvRmT3_T4_T5_T6_T7_T9_mT8_P12ihipStream_tbDpT10_ENKUlT_T0_E_clISt17integral_constantIbLb0EES18_IbLb1EEEEDaS14_S15_EUlS14_E_NS1_11comp_targetILNS1_3genE8ELNS1_11target_archE1030ELNS1_3gpuE2ELNS1_3repE0EEENS1_30default_config_static_selectorELNS0_4arch9wavefront6targetE1EEEvT1_: ; @_ZN7rocprim17ROCPRIM_400000_NS6detail17trampoline_kernelINS0_14default_configENS1_25partition_config_selectorILNS1_17partition_subalgoE1ExNS0_10empty_typeEbEEZZNS1_14partition_implILS5_1ELb0ES3_jN6thrust23THRUST_200600_302600_NS6detail15normal_iteratorINSA_10device_ptrIxEEEEPS6_NSA_18transform_iteratorI7is_evenIxESF_NSA_11use_defaultESK_EENS0_5tupleIJSF_SF_EEENSM_IJSG_SG_EEES6_PlJS6_EEE10hipError_tPvRmT3_T4_T5_T6_T7_T9_mT8_P12ihipStream_tbDpT10_ENKUlT_T0_E_clISt17integral_constantIbLb0EES18_IbLb1EEEEDaS14_S15_EUlS14_E_NS1_11comp_targetILNS1_3genE8ELNS1_11target_archE1030ELNS1_3gpuE2ELNS1_3repE0EEENS1_30default_config_static_selectorELNS0_4arch9wavefront6targetE1EEEvT1_
; %bb.0:
	.section	.rodata,"a",@progbits
	.p2align	6, 0x0
	.amdhsa_kernel _ZN7rocprim17ROCPRIM_400000_NS6detail17trampoline_kernelINS0_14default_configENS1_25partition_config_selectorILNS1_17partition_subalgoE1ExNS0_10empty_typeEbEEZZNS1_14partition_implILS5_1ELb0ES3_jN6thrust23THRUST_200600_302600_NS6detail15normal_iteratorINSA_10device_ptrIxEEEEPS6_NSA_18transform_iteratorI7is_evenIxESF_NSA_11use_defaultESK_EENS0_5tupleIJSF_SF_EEENSM_IJSG_SG_EEES6_PlJS6_EEE10hipError_tPvRmT3_T4_T5_T6_T7_T9_mT8_P12ihipStream_tbDpT10_ENKUlT_T0_E_clISt17integral_constantIbLb0EES18_IbLb1EEEEDaS14_S15_EUlS14_E_NS1_11comp_targetILNS1_3genE8ELNS1_11target_archE1030ELNS1_3gpuE2ELNS1_3repE0EEENS1_30default_config_static_selectorELNS0_4arch9wavefront6targetE1EEEvT1_
		.amdhsa_group_segment_fixed_size 0
		.amdhsa_private_segment_fixed_size 0
		.amdhsa_kernarg_size 144
		.amdhsa_user_sgpr_count 2
		.amdhsa_user_sgpr_dispatch_ptr 0
		.amdhsa_user_sgpr_queue_ptr 0
		.amdhsa_user_sgpr_kernarg_segment_ptr 1
		.amdhsa_user_sgpr_dispatch_id 0
		.amdhsa_user_sgpr_kernarg_preload_length 0
		.amdhsa_user_sgpr_kernarg_preload_offset 0
		.amdhsa_user_sgpr_private_segment_size 0
		.amdhsa_uses_dynamic_stack 0
		.amdhsa_enable_private_segment 0
		.amdhsa_system_sgpr_workgroup_id_x 1
		.amdhsa_system_sgpr_workgroup_id_y 0
		.amdhsa_system_sgpr_workgroup_id_z 0
		.amdhsa_system_sgpr_workgroup_info 0
		.amdhsa_system_vgpr_workitem_id 0
		.amdhsa_next_free_vgpr 1
		.amdhsa_next_free_sgpr 0
		.amdhsa_accum_offset 4
		.amdhsa_reserve_vcc 0
		.amdhsa_float_round_mode_32 0
		.amdhsa_float_round_mode_16_64 0
		.amdhsa_float_denorm_mode_32 3
		.amdhsa_float_denorm_mode_16_64 3
		.amdhsa_dx10_clamp 1
		.amdhsa_ieee_mode 1
		.amdhsa_fp16_overflow 0
		.amdhsa_tg_split 0
		.amdhsa_exception_fp_ieee_invalid_op 0
		.amdhsa_exception_fp_denorm_src 0
		.amdhsa_exception_fp_ieee_div_zero 0
		.amdhsa_exception_fp_ieee_overflow 0
		.amdhsa_exception_fp_ieee_underflow 0
		.amdhsa_exception_fp_ieee_inexact 0
		.amdhsa_exception_int_div_zero 0
	.end_amdhsa_kernel
	.section	.text._ZN7rocprim17ROCPRIM_400000_NS6detail17trampoline_kernelINS0_14default_configENS1_25partition_config_selectorILNS1_17partition_subalgoE1ExNS0_10empty_typeEbEEZZNS1_14partition_implILS5_1ELb0ES3_jN6thrust23THRUST_200600_302600_NS6detail15normal_iteratorINSA_10device_ptrIxEEEEPS6_NSA_18transform_iteratorI7is_evenIxESF_NSA_11use_defaultESK_EENS0_5tupleIJSF_SF_EEENSM_IJSG_SG_EEES6_PlJS6_EEE10hipError_tPvRmT3_T4_T5_T6_T7_T9_mT8_P12ihipStream_tbDpT10_ENKUlT_T0_E_clISt17integral_constantIbLb0EES18_IbLb1EEEEDaS14_S15_EUlS14_E_NS1_11comp_targetILNS1_3genE8ELNS1_11target_archE1030ELNS1_3gpuE2ELNS1_3repE0EEENS1_30default_config_static_selectorELNS0_4arch9wavefront6targetE1EEEvT1_,"axG",@progbits,_ZN7rocprim17ROCPRIM_400000_NS6detail17trampoline_kernelINS0_14default_configENS1_25partition_config_selectorILNS1_17partition_subalgoE1ExNS0_10empty_typeEbEEZZNS1_14partition_implILS5_1ELb0ES3_jN6thrust23THRUST_200600_302600_NS6detail15normal_iteratorINSA_10device_ptrIxEEEEPS6_NSA_18transform_iteratorI7is_evenIxESF_NSA_11use_defaultESK_EENS0_5tupleIJSF_SF_EEENSM_IJSG_SG_EEES6_PlJS6_EEE10hipError_tPvRmT3_T4_T5_T6_T7_T9_mT8_P12ihipStream_tbDpT10_ENKUlT_T0_E_clISt17integral_constantIbLb0EES18_IbLb1EEEEDaS14_S15_EUlS14_E_NS1_11comp_targetILNS1_3genE8ELNS1_11target_archE1030ELNS1_3gpuE2ELNS1_3repE0EEENS1_30default_config_static_selectorELNS0_4arch9wavefront6targetE1EEEvT1_,comdat
.Lfunc_end416:
	.size	_ZN7rocprim17ROCPRIM_400000_NS6detail17trampoline_kernelINS0_14default_configENS1_25partition_config_selectorILNS1_17partition_subalgoE1ExNS0_10empty_typeEbEEZZNS1_14partition_implILS5_1ELb0ES3_jN6thrust23THRUST_200600_302600_NS6detail15normal_iteratorINSA_10device_ptrIxEEEEPS6_NSA_18transform_iteratorI7is_evenIxESF_NSA_11use_defaultESK_EENS0_5tupleIJSF_SF_EEENSM_IJSG_SG_EEES6_PlJS6_EEE10hipError_tPvRmT3_T4_T5_T6_T7_T9_mT8_P12ihipStream_tbDpT10_ENKUlT_T0_E_clISt17integral_constantIbLb0EES18_IbLb1EEEEDaS14_S15_EUlS14_E_NS1_11comp_targetILNS1_3genE8ELNS1_11target_archE1030ELNS1_3gpuE2ELNS1_3repE0EEENS1_30default_config_static_selectorELNS0_4arch9wavefront6targetE1EEEvT1_, .Lfunc_end416-_ZN7rocprim17ROCPRIM_400000_NS6detail17trampoline_kernelINS0_14default_configENS1_25partition_config_selectorILNS1_17partition_subalgoE1ExNS0_10empty_typeEbEEZZNS1_14partition_implILS5_1ELb0ES3_jN6thrust23THRUST_200600_302600_NS6detail15normal_iteratorINSA_10device_ptrIxEEEEPS6_NSA_18transform_iteratorI7is_evenIxESF_NSA_11use_defaultESK_EENS0_5tupleIJSF_SF_EEENSM_IJSG_SG_EEES6_PlJS6_EEE10hipError_tPvRmT3_T4_T5_T6_T7_T9_mT8_P12ihipStream_tbDpT10_ENKUlT_T0_E_clISt17integral_constantIbLb0EES18_IbLb1EEEEDaS14_S15_EUlS14_E_NS1_11comp_targetILNS1_3genE8ELNS1_11target_archE1030ELNS1_3gpuE2ELNS1_3repE0EEENS1_30default_config_static_selectorELNS0_4arch9wavefront6targetE1EEEvT1_
                                        ; -- End function
	.section	.AMDGPU.csdata,"",@progbits
; Kernel info:
; codeLenInByte = 0
; NumSgprs: 6
; NumVgprs: 0
; NumAgprs: 0
; TotalNumVgprs: 0
; ScratchSize: 0
; MemoryBound: 0
; FloatMode: 240
; IeeeMode: 1
; LDSByteSize: 0 bytes/workgroup (compile time only)
; SGPRBlocks: 0
; VGPRBlocks: 0
; NumSGPRsForWavesPerEU: 6
; NumVGPRsForWavesPerEU: 1
; AccumOffset: 4
; Occupancy: 8
; WaveLimiterHint : 0
; COMPUTE_PGM_RSRC2:SCRATCH_EN: 0
; COMPUTE_PGM_RSRC2:USER_SGPR: 2
; COMPUTE_PGM_RSRC2:TRAP_HANDLER: 0
; COMPUTE_PGM_RSRC2:TGID_X_EN: 1
; COMPUTE_PGM_RSRC2:TGID_Y_EN: 0
; COMPUTE_PGM_RSRC2:TGID_Z_EN: 0
; COMPUTE_PGM_RSRC2:TIDIG_COMP_CNT: 0
; COMPUTE_PGM_RSRC3_GFX90A:ACCUM_OFFSET: 0
; COMPUTE_PGM_RSRC3_GFX90A:TG_SPLIT: 0
	.section	.text._ZN7rocprim17ROCPRIM_400000_NS6detail17trampoline_kernelINS0_14default_configENS1_25partition_config_selectorILNS1_17partition_subalgoE1EiNS0_10empty_typeEbEEZZNS1_14partition_implILS5_1ELb0ES3_jN6thrust23THRUST_200600_302600_NS6detail15normal_iteratorINSA_10device_ptrIiEEEEPS6_NSA_18transform_iteratorI7is_evenIiESF_NSA_11use_defaultESK_EENS0_5tupleIJSF_SF_EEENSM_IJSG_SG_EEES6_PlJS6_EEE10hipError_tPvRmT3_T4_T5_T6_T7_T9_mT8_P12ihipStream_tbDpT10_ENKUlT_T0_E_clISt17integral_constantIbLb0EES19_EEDaS14_S15_EUlS14_E_NS1_11comp_targetILNS1_3genE0ELNS1_11target_archE4294967295ELNS1_3gpuE0ELNS1_3repE0EEENS1_30default_config_static_selectorELNS0_4arch9wavefront6targetE1EEEvT1_,"axG",@progbits,_ZN7rocprim17ROCPRIM_400000_NS6detail17trampoline_kernelINS0_14default_configENS1_25partition_config_selectorILNS1_17partition_subalgoE1EiNS0_10empty_typeEbEEZZNS1_14partition_implILS5_1ELb0ES3_jN6thrust23THRUST_200600_302600_NS6detail15normal_iteratorINSA_10device_ptrIiEEEEPS6_NSA_18transform_iteratorI7is_evenIiESF_NSA_11use_defaultESK_EENS0_5tupleIJSF_SF_EEENSM_IJSG_SG_EEES6_PlJS6_EEE10hipError_tPvRmT3_T4_T5_T6_T7_T9_mT8_P12ihipStream_tbDpT10_ENKUlT_T0_E_clISt17integral_constantIbLb0EES19_EEDaS14_S15_EUlS14_E_NS1_11comp_targetILNS1_3genE0ELNS1_11target_archE4294967295ELNS1_3gpuE0ELNS1_3repE0EEENS1_30default_config_static_selectorELNS0_4arch9wavefront6targetE1EEEvT1_,comdat
	.protected	_ZN7rocprim17ROCPRIM_400000_NS6detail17trampoline_kernelINS0_14default_configENS1_25partition_config_selectorILNS1_17partition_subalgoE1EiNS0_10empty_typeEbEEZZNS1_14partition_implILS5_1ELb0ES3_jN6thrust23THRUST_200600_302600_NS6detail15normal_iteratorINSA_10device_ptrIiEEEEPS6_NSA_18transform_iteratorI7is_evenIiESF_NSA_11use_defaultESK_EENS0_5tupleIJSF_SF_EEENSM_IJSG_SG_EEES6_PlJS6_EEE10hipError_tPvRmT3_T4_T5_T6_T7_T9_mT8_P12ihipStream_tbDpT10_ENKUlT_T0_E_clISt17integral_constantIbLb0EES19_EEDaS14_S15_EUlS14_E_NS1_11comp_targetILNS1_3genE0ELNS1_11target_archE4294967295ELNS1_3gpuE0ELNS1_3repE0EEENS1_30default_config_static_selectorELNS0_4arch9wavefront6targetE1EEEvT1_ ; -- Begin function _ZN7rocprim17ROCPRIM_400000_NS6detail17trampoline_kernelINS0_14default_configENS1_25partition_config_selectorILNS1_17partition_subalgoE1EiNS0_10empty_typeEbEEZZNS1_14partition_implILS5_1ELb0ES3_jN6thrust23THRUST_200600_302600_NS6detail15normal_iteratorINSA_10device_ptrIiEEEEPS6_NSA_18transform_iteratorI7is_evenIiESF_NSA_11use_defaultESK_EENS0_5tupleIJSF_SF_EEENSM_IJSG_SG_EEES6_PlJS6_EEE10hipError_tPvRmT3_T4_T5_T6_T7_T9_mT8_P12ihipStream_tbDpT10_ENKUlT_T0_E_clISt17integral_constantIbLb0EES19_EEDaS14_S15_EUlS14_E_NS1_11comp_targetILNS1_3genE0ELNS1_11target_archE4294967295ELNS1_3gpuE0ELNS1_3repE0EEENS1_30default_config_static_selectorELNS0_4arch9wavefront6targetE1EEEvT1_
	.globl	_ZN7rocprim17ROCPRIM_400000_NS6detail17trampoline_kernelINS0_14default_configENS1_25partition_config_selectorILNS1_17partition_subalgoE1EiNS0_10empty_typeEbEEZZNS1_14partition_implILS5_1ELb0ES3_jN6thrust23THRUST_200600_302600_NS6detail15normal_iteratorINSA_10device_ptrIiEEEEPS6_NSA_18transform_iteratorI7is_evenIiESF_NSA_11use_defaultESK_EENS0_5tupleIJSF_SF_EEENSM_IJSG_SG_EEES6_PlJS6_EEE10hipError_tPvRmT3_T4_T5_T6_T7_T9_mT8_P12ihipStream_tbDpT10_ENKUlT_T0_E_clISt17integral_constantIbLb0EES19_EEDaS14_S15_EUlS14_E_NS1_11comp_targetILNS1_3genE0ELNS1_11target_archE4294967295ELNS1_3gpuE0ELNS1_3repE0EEENS1_30default_config_static_selectorELNS0_4arch9wavefront6targetE1EEEvT1_
	.p2align	8
	.type	_ZN7rocprim17ROCPRIM_400000_NS6detail17trampoline_kernelINS0_14default_configENS1_25partition_config_selectorILNS1_17partition_subalgoE1EiNS0_10empty_typeEbEEZZNS1_14partition_implILS5_1ELb0ES3_jN6thrust23THRUST_200600_302600_NS6detail15normal_iteratorINSA_10device_ptrIiEEEEPS6_NSA_18transform_iteratorI7is_evenIiESF_NSA_11use_defaultESK_EENS0_5tupleIJSF_SF_EEENSM_IJSG_SG_EEES6_PlJS6_EEE10hipError_tPvRmT3_T4_T5_T6_T7_T9_mT8_P12ihipStream_tbDpT10_ENKUlT_T0_E_clISt17integral_constantIbLb0EES19_EEDaS14_S15_EUlS14_E_NS1_11comp_targetILNS1_3genE0ELNS1_11target_archE4294967295ELNS1_3gpuE0ELNS1_3repE0EEENS1_30default_config_static_selectorELNS0_4arch9wavefront6targetE1EEEvT1_,@function
_ZN7rocprim17ROCPRIM_400000_NS6detail17trampoline_kernelINS0_14default_configENS1_25partition_config_selectorILNS1_17partition_subalgoE1EiNS0_10empty_typeEbEEZZNS1_14partition_implILS5_1ELb0ES3_jN6thrust23THRUST_200600_302600_NS6detail15normal_iteratorINSA_10device_ptrIiEEEEPS6_NSA_18transform_iteratorI7is_evenIiESF_NSA_11use_defaultESK_EENS0_5tupleIJSF_SF_EEENSM_IJSG_SG_EEES6_PlJS6_EEE10hipError_tPvRmT3_T4_T5_T6_T7_T9_mT8_P12ihipStream_tbDpT10_ENKUlT_T0_E_clISt17integral_constantIbLb0EES19_EEDaS14_S15_EUlS14_E_NS1_11comp_targetILNS1_3genE0ELNS1_11target_archE4294967295ELNS1_3gpuE0ELNS1_3repE0EEENS1_30default_config_static_selectorELNS0_4arch9wavefront6targetE1EEEvT1_: ; @_ZN7rocprim17ROCPRIM_400000_NS6detail17trampoline_kernelINS0_14default_configENS1_25partition_config_selectorILNS1_17partition_subalgoE1EiNS0_10empty_typeEbEEZZNS1_14partition_implILS5_1ELb0ES3_jN6thrust23THRUST_200600_302600_NS6detail15normal_iteratorINSA_10device_ptrIiEEEEPS6_NSA_18transform_iteratorI7is_evenIiESF_NSA_11use_defaultESK_EENS0_5tupleIJSF_SF_EEENSM_IJSG_SG_EEES6_PlJS6_EEE10hipError_tPvRmT3_T4_T5_T6_T7_T9_mT8_P12ihipStream_tbDpT10_ENKUlT_T0_E_clISt17integral_constantIbLb0EES19_EEDaS14_S15_EUlS14_E_NS1_11comp_targetILNS1_3genE0ELNS1_11target_archE4294967295ELNS1_3gpuE0ELNS1_3repE0EEENS1_30default_config_static_selectorELNS0_4arch9wavefront6targetE1EEEvT1_
; %bb.0:
	.section	.rodata,"a",@progbits
	.p2align	6, 0x0
	.amdhsa_kernel _ZN7rocprim17ROCPRIM_400000_NS6detail17trampoline_kernelINS0_14default_configENS1_25partition_config_selectorILNS1_17partition_subalgoE1EiNS0_10empty_typeEbEEZZNS1_14partition_implILS5_1ELb0ES3_jN6thrust23THRUST_200600_302600_NS6detail15normal_iteratorINSA_10device_ptrIiEEEEPS6_NSA_18transform_iteratorI7is_evenIiESF_NSA_11use_defaultESK_EENS0_5tupleIJSF_SF_EEENSM_IJSG_SG_EEES6_PlJS6_EEE10hipError_tPvRmT3_T4_T5_T6_T7_T9_mT8_P12ihipStream_tbDpT10_ENKUlT_T0_E_clISt17integral_constantIbLb0EES19_EEDaS14_S15_EUlS14_E_NS1_11comp_targetILNS1_3genE0ELNS1_11target_archE4294967295ELNS1_3gpuE0ELNS1_3repE0EEENS1_30default_config_static_selectorELNS0_4arch9wavefront6targetE1EEEvT1_
		.amdhsa_group_segment_fixed_size 0
		.amdhsa_private_segment_fixed_size 0
		.amdhsa_kernarg_size 128
		.amdhsa_user_sgpr_count 2
		.amdhsa_user_sgpr_dispatch_ptr 0
		.amdhsa_user_sgpr_queue_ptr 0
		.amdhsa_user_sgpr_kernarg_segment_ptr 1
		.amdhsa_user_sgpr_dispatch_id 0
		.amdhsa_user_sgpr_kernarg_preload_length 0
		.amdhsa_user_sgpr_kernarg_preload_offset 0
		.amdhsa_user_sgpr_private_segment_size 0
		.amdhsa_uses_dynamic_stack 0
		.amdhsa_enable_private_segment 0
		.amdhsa_system_sgpr_workgroup_id_x 1
		.amdhsa_system_sgpr_workgroup_id_y 0
		.amdhsa_system_sgpr_workgroup_id_z 0
		.amdhsa_system_sgpr_workgroup_info 0
		.amdhsa_system_vgpr_workitem_id 0
		.amdhsa_next_free_vgpr 1
		.amdhsa_next_free_sgpr 0
		.amdhsa_accum_offset 4
		.amdhsa_reserve_vcc 0
		.amdhsa_float_round_mode_32 0
		.amdhsa_float_round_mode_16_64 0
		.amdhsa_float_denorm_mode_32 3
		.amdhsa_float_denorm_mode_16_64 3
		.amdhsa_dx10_clamp 1
		.amdhsa_ieee_mode 1
		.amdhsa_fp16_overflow 0
		.amdhsa_tg_split 0
		.amdhsa_exception_fp_ieee_invalid_op 0
		.amdhsa_exception_fp_denorm_src 0
		.amdhsa_exception_fp_ieee_div_zero 0
		.amdhsa_exception_fp_ieee_overflow 0
		.amdhsa_exception_fp_ieee_underflow 0
		.amdhsa_exception_fp_ieee_inexact 0
		.amdhsa_exception_int_div_zero 0
	.end_amdhsa_kernel
	.section	.text._ZN7rocprim17ROCPRIM_400000_NS6detail17trampoline_kernelINS0_14default_configENS1_25partition_config_selectorILNS1_17partition_subalgoE1EiNS0_10empty_typeEbEEZZNS1_14partition_implILS5_1ELb0ES3_jN6thrust23THRUST_200600_302600_NS6detail15normal_iteratorINSA_10device_ptrIiEEEEPS6_NSA_18transform_iteratorI7is_evenIiESF_NSA_11use_defaultESK_EENS0_5tupleIJSF_SF_EEENSM_IJSG_SG_EEES6_PlJS6_EEE10hipError_tPvRmT3_T4_T5_T6_T7_T9_mT8_P12ihipStream_tbDpT10_ENKUlT_T0_E_clISt17integral_constantIbLb0EES19_EEDaS14_S15_EUlS14_E_NS1_11comp_targetILNS1_3genE0ELNS1_11target_archE4294967295ELNS1_3gpuE0ELNS1_3repE0EEENS1_30default_config_static_selectorELNS0_4arch9wavefront6targetE1EEEvT1_,"axG",@progbits,_ZN7rocprim17ROCPRIM_400000_NS6detail17trampoline_kernelINS0_14default_configENS1_25partition_config_selectorILNS1_17partition_subalgoE1EiNS0_10empty_typeEbEEZZNS1_14partition_implILS5_1ELb0ES3_jN6thrust23THRUST_200600_302600_NS6detail15normal_iteratorINSA_10device_ptrIiEEEEPS6_NSA_18transform_iteratorI7is_evenIiESF_NSA_11use_defaultESK_EENS0_5tupleIJSF_SF_EEENSM_IJSG_SG_EEES6_PlJS6_EEE10hipError_tPvRmT3_T4_T5_T6_T7_T9_mT8_P12ihipStream_tbDpT10_ENKUlT_T0_E_clISt17integral_constantIbLb0EES19_EEDaS14_S15_EUlS14_E_NS1_11comp_targetILNS1_3genE0ELNS1_11target_archE4294967295ELNS1_3gpuE0ELNS1_3repE0EEENS1_30default_config_static_selectorELNS0_4arch9wavefront6targetE1EEEvT1_,comdat
.Lfunc_end417:
	.size	_ZN7rocprim17ROCPRIM_400000_NS6detail17trampoline_kernelINS0_14default_configENS1_25partition_config_selectorILNS1_17partition_subalgoE1EiNS0_10empty_typeEbEEZZNS1_14partition_implILS5_1ELb0ES3_jN6thrust23THRUST_200600_302600_NS6detail15normal_iteratorINSA_10device_ptrIiEEEEPS6_NSA_18transform_iteratorI7is_evenIiESF_NSA_11use_defaultESK_EENS0_5tupleIJSF_SF_EEENSM_IJSG_SG_EEES6_PlJS6_EEE10hipError_tPvRmT3_T4_T5_T6_T7_T9_mT8_P12ihipStream_tbDpT10_ENKUlT_T0_E_clISt17integral_constantIbLb0EES19_EEDaS14_S15_EUlS14_E_NS1_11comp_targetILNS1_3genE0ELNS1_11target_archE4294967295ELNS1_3gpuE0ELNS1_3repE0EEENS1_30default_config_static_selectorELNS0_4arch9wavefront6targetE1EEEvT1_, .Lfunc_end417-_ZN7rocprim17ROCPRIM_400000_NS6detail17trampoline_kernelINS0_14default_configENS1_25partition_config_selectorILNS1_17partition_subalgoE1EiNS0_10empty_typeEbEEZZNS1_14partition_implILS5_1ELb0ES3_jN6thrust23THRUST_200600_302600_NS6detail15normal_iteratorINSA_10device_ptrIiEEEEPS6_NSA_18transform_iteratorI7is_evenIiESF_NSA_11use_defaultESK_EENS0_5tupleIJSF_SF_EEENSM_IJSG_SG_EEES6_PlJS6_EEE10hipError_tPvRmT3_T4_T5_T6_T7_T9_mT8_P12ihipStream_tbDpT10_ENKUlT_T0_E_clISt17integral_constantIbLb0EES19_EEDaS14_S15_EUlS14_E_NS1_11comp_targetILNS1_3genE0ELNS1_11target_archE4294967295ELNS1_3gpuE0ELNS1_3repE0EEENS1_30default_config_static_selectorELNS0_4arch9wavefront6targetE1EEEvT1_
                                        ; -- End function
	.section	.AMDGPU.csdata,"",@progbits
; Kernel info:
; codeLenInByte = 0
; NumSgprs: 6
; NumVgprs: 0
; NumAgprs: 0
; TotalNumVgprs: 0
; ScratchSize: 0
; MemoryBound: 0
; FloatMode: 240
; IeeeMode: 1
; LDSByteSize: 0 bytes/workgroup (compile time only)
; SGPRBlocks: 0
; VGPRBlocks: 0
; NumSGPRsForWavesPerEU: 6
; NumVGPRsForWavesPerEU: 1
; AccumOffset: 4
; Occupancy: 8
; WaveLimiterHint : 0
; COMPUTE_PGM_RSRC2:SCRATCH_EN: 0
; COMPUTE_PGM_RSRC2:USER_SGPR: 2
; COMPUTE_PGM_RSRC2:TRAP_HANDLER: 0
; COMPUTE_PGM_RSRC2:TGID_X_EN: 1
; COMPUTE_PGM_RSRC2:TGID_Y_EN: 0
; COMPUTE_PGM_RSRC2:TGID_Z_EN: 0
; COMPUTE_PGM_RSRC2:TIDIG_COMP_CNT: 0
; COMPUTE_PGM_RSRC3_GFX90A:ACCUM_OFFSET: 0
; COMPUTE_PGM_RSRC3_GFX90A:TG_SPLIT: 0
	.section	.text._ZN7rocprim17ROCPRIM_400000_NS6detail17trampoline_kernelINS0_14default_configENS1_25partition_config_selectorILNS1_17partition_subalgoE1EiNS0_10empty_typeEbEEZZNS1_14partition_implILS5_1ELb0ES3_jN6thrust23THRUST_200600_302600_NS6detail15normal_iteratorINSA_10device_ptrIiEEEEPS6_NSA_18transform_iteratorI7is_evenIiESF_NSA_11use_defaultESK_EENS0_5tupleIJSF_SF_EEENSM_IJSG_SG_EEES6_PlJS6_EEE10hipError_tPvRmT3_T4_T5_T6_T7_T9_mT8_P12ihipStream_tbDpT10_ENKUlT_T0_E_clISt17integral_constantIbLb0EES19_EEDaS14_S15_EUlS14_E_NS1_11comp_targetILNS1_3genE5ELNS1_11target_archE942ELNS1_3gpuE9ELNS1_3repE0EEENS1_30default_config_static_selectorELNS0_4arch9wavefront6targetE1EEEvT1_,"axG",@progbits,_ZN7rocprim17ROCPRIM_400000_NS6detail17trampoline_kernelINS0_14default_configENS1_25partition_config_selectorILNS1_17partition_subalgoE1EiNS0_10empty_typeEbEEZZNS1_14partition_implILS5_1ELb0ES3_jN6thrust23THRUST_200600_302600_NS6detail15normal_iteratorINSA_10device_ptrIiEEEEPS6_NSA_18transform_iteratorI7is_evenIiESF_NSA_11use_defaultESK_EENS0_5tupleIJSF_SF_EEENSM_IJSG_SG_EEES6_PlJS6_EEE10hipError_tPvRmT3_T4_T5_T6_T7_T9_mT8_P12ihipStream_tbDpT10_ENKUlT_T0_E_clISt17integral_constantIbLb0EES19_EEDaS14_S15_EUlS14_E_NS1_11comp_targetILNS1_3genE5ELNS1_11target_archE942ELNS1_3gpuE9ELNS1_3repE0EEENS1_30default_config_static_selectorELNS0_4arch9wavefront6targetE1EEEvT1_,comdat
	.protected	_ZN7rocprim17ROCPRIM_400000_NS6detail17trampoline_kernelINS0_14default_configENS1_25partition_config_selectorILNS1_17partition_subalgoE1EiNS0_10empty_typeEbEEZZNS1_14partition_implILS5_1ELb0ES3_jN6thrust23THRUST_200600_302600_NS6detail15normal_iteratorINSA_10device_ptrIiEEEEPS6_NSA_18transform_iteratorI7is_evenIiESF_NSA_11use_defaultESK_EENS0_5tupleIJSF_SF_EEENSM_IJSG_SG_EEES6_PlJS6_EEE10hipError_tPvRmT3_T4_T5_T6_T7_T9_mT8_P12ihipStream_tbDpT10_ENKUlT_T0_E_clISt17integral_constantIbLb0EES19_EEDaS14_S15_EUlS14_E_NS1_11comp_targetILNS1_3genE5ELNS1_11target_archE942ELNS1_3gpuE9ELNS1_3repE0EEENS1_30default_config_static_selectorELNS0_4arch9wavefront6targetE1EEEvT1_ ; -- Begin function _ZN7rocprim17ROCPRIM_400000_NS6detail17trampoline_kernelINS0_14default_configENS1_25partition_config_selectorILNS1_17partition_subalgoE1EiNS0_10empty_typeEbEEZZNS1_14partition_implILS5_1ELb0ES3_jN6thrust23THRUST_200600_302600_NS6detail15normal_iteratorINSA_10device_ptrIiEEEEPS6_NSA_18transform_iteratorI7is_evenIiESF_NSA_11use_defaultESK_EENS0_5tupleIJSF_SF_EEENSM_IJSG_SG_EEES6_PlJS6_EEE10hipError_tPvRmT3_T4_T5_T6_T7_T9_mT8_P12ihipStream_tbDpT10_ENKUlT_T0_E_clISt17integral_constantIbLb0EES19_EEDaS14_S15_EUlS14_E_NS1_11comp_targetILNS1_3genE5ELNS1_11target_archE942ELNS1_3gpuE9ELNS1_3repE0EEENS1_30default_config_static_selectorELNS0_4arch9wavefront6targetE1EEEvT1_
	.globl	_ZN7rocprim17ROCPRIM_400000_NS6detail17trampoline_kernelINS0_14default_configENS1_25partition_config_selectorILNS1_17partition_subalgoE1EiNS0_10empty_typeEbEEZZNS1_14partition_implILS5_1ELb0ES3_jN6thrust23THRUST_200600_302600_NS6detail15normal_iteratorINSA_10device_ptrIiEEEEPS6_NSA_18transform_iteratorI7is_evenIiESF_NSA_11use_defaultESK_EENS0_5tupleIJSF_SF_EEENSM_IJSG_SG_EEES6_PlJS6_EEE10hipError_tPvRmT3_T4_T5_T6_T7_T9_mT8_P12ihipStream_tbDpT10_ENKUlT_T0_E_clISt17integral_constantIbLb0EES19_EEDaS14_S15_EUlS14_E_NS1_11comp_targetILNS1_3genE5ELNS1_11target_archE942ELNS1_3gpuE9ELNS1_3repE0EEENS1_30default_config_static_selectorELNS0_4arch9wavefront6targetE1EEEvT1_
	.p2align	8
	.type	_ZN7rocprim17ROCPRIM_400000_NS6detail17trampoline_kernelINS0_14default_configENS1_25partition_config_selectorILNS1_17partition_subalgoE1EiNS0_10empty_typeEbEEZZNS1_14partition_implILS5_1ELb0ES3_jN6thrust23THRUST_200600_302600_NS6detail15normal_iteratorINSA_10device_ptrIiEEEEPS6_NSA_18transform_iteratorI7is_evenIiESF_NSA_11use_defaultESK_EENS0_5tupleIJSF_SF_EEENSM_IJSG_SG_EEES6_PlJS6_EEE10hipError_tPvRmT3_T4_T5_T6_T7_T9_mT8_P12ihipStream_tbDpT10_ENKUlT_T0_E_clISt17integral_constantIbLb0EES19_EEDaS14_S15_EUlS14_E_NS1_11comp_targetILNS1_3genE5ELNS1_11target_archE942ELNS1_3gpuE9ELNS1_3repE0EEENS1_30default_config_static_selectorELNS0_4arch9wavefront6targetE1EEEvT1_,@function
_ZN7rocprim17ROCPRIM_400000_NS6detail17trampoline_kernelINS0_14default_configENS1_25partition_config_selectorILNS1_17partition_subalgoE1EiNS0_10empty_typeEbEEZZNS1_14partition_implILS5_1ELb0ES3_jN6thrust23THRUST_200600_302600_NS6detail15normal_iteratorINSA_10device_ptrIiEEEEPS6_NSA_18transform_iteratorI7is_evenIiESF_NSA_11use_defaultESK_EENS0_5tupleIJSF_SF_EEENSM_IJSG_SG_EEES6_PlJS6_EEE10hipError_tPvRmT3_T4_T5_T6_T7_T9_mT8_P12ihipStream_tbDpT10_ENKUlT_T0_E_clISt17integral_constantIbLb0EES19_EEDaS14_S15_EUlS14_E_NS1_11comp_targetILNS1_3genE5ELNS1_11target_archE942ELNS1_3gpuE9ELNS1_3repE0EEENS1_30default_config_static_selectorELNS0_4arch9wavefront6targetE1EEEvT1_: ; @_ZN7rocprim17ROCPRIM_400000_NS6detail17trampoline_kernelINS0_14default_configENS1_25partition_config_selectorILNS1_17partition_subalgoE1EiNS0_10empty_typeEbEEZZNS1_14partition_implILS5_1ELb0ES3_jN6thrust23THRUST_200600_302600_NS6detail15normal_iteratorINSA_10device_ptrIiEEEEPS6_NSA_18transform_iteratorI7is_evenIiESF_NSA_11use_defaultESK_EENS0_5tupleIJSF_SF_EEENSM_IJSG_SG_EEES6_PlJS6_EEE10hipError_tPvRmT3_T4_T5_T6_T7_T9_mT8_P12ihipStream_tbDpT10_ENKUlT_T0_E_clISt17integral_constantIbLb0EES19_EEDaS14_S15_EUlS14_E_NS1_11comp_targetILNS1_3genE5ELNS1_11target_archE942ELNS1_3gpuE9ELNS1_3repE0EEENS1_30default_config_static_selectorELNS0_4arch9wavefront6targetE1EEEvT1_
; %bb.0:
	s_load_dwordx2 s[4:5], s[0:1], 0x60
	s_load_dwordx4 s[24:27], s[0:1], 0x8
	s_load_dwordx2 s[6:7], s[0:1], 0x20
	s_load_dwordx4 s[20:23], s[0:1], 0x50
	s_load_dword s3, s[0:1], 0x78
	s_waitcnt lgkmcnt(0)
	v_mov_b32_e32 v3, s5
	s_lshl_b64 s[8:9], s[26:27], 2
	s_add_u32 s12, s24, s8
	s_addc_u32 s13, s25, s9
	s_add_i32 s14, s3, -1
	s_mulk_i32 s3, 0x1e00
	s_add_i32 s5, s3, s26
	s_sub_i32 s33, s4, s5
	s_addk_i32 s33, 0x1e00
	v_mov_b32_e32 v2, s4
	s_add_u32 s4, s26, s3
	s_addc_u32 s5, s27, 0
	s_cmp_eq_u32 s2, s14
	s_load_dwordx2 s[28:29], s[22:23], 0x0
	s_cselect_b64 s[22:23], -1, 0
	s_cmp_lg_u32 s2, s14
	s_mul_i32 s10, s2, 0x1e00
	s_mov_b32 s11, 0
	v_cmp_lt_u64_e32 vcc, s[4:5], v[2:3]
	s_cselect_b64 s[4:5], -1, 0
	s_or_b64 s[24:25], s[4:5], vcc
	s_lshl_b64 s[30:31], s[10:11], 2
	s_add_u32 s10, s12, s30
	s_addc_u32 s11, s13, s31
	s_mov_b64 s[4:5], -1
	s_and_b64 vcc, exec, s[24:25]
	v_lshlrev_b32_e32 v22, 2, v0
	s_cbranch_vccz .LBB418_2
; %bb.1:
	v_mov_b32_e32 v23, 0
	v_lshl_add_u64 v[2:3], s[10:11], 0, v[22:23]
	v_add_co_u32_e32 v4, vcc, 0x1000, v2
	s_mov_b64 s[4:5], 0
	s_nop 0
	v_addc_co_u32_e32 v5, vcc, 0, v3, vcc
	v_add_co_u32_e32 v6, vcc, 0x2000, v2
	s_nop 1
	v_addc_co_u32_e32 v7, vcc, 0, v3, vcc
	v_add_co_u32_e32 v8, vcc, 0x3000, v2
	s_nop 1
	v_addc_co_u32_e32 v9, vcc, 0, v3, vcc
	flat_load_dword v1, v[2:3]
	flat_load_dword v10, v[2:3] offset:2048
	flat_load_dword v11, v[4:5]
	flat_load_dword v12, v[4:5] offset:2048
	;; [unrolled: 2-line block ×4, first 2 shown]
	v_add_co_u32_e32 v4, vcc, 0x4000, v2
	s_nop 1
	v_addc_co_u32_e32 v5, vcc, 0, v3, vcc
	v_add_co_u32_e32 v6, vcc, 0x5000, v2
	s_nop 1
	v_addc_co_u32_e32 v7, vcc, 0, v3, vcc
	;; [unrolled: 3-line block ×4, first 2 shown]
	flat_load_dword v17, v[4:5]
	flat_load_dword v18, v[4:5] offset:2048
	flat_load_dword v19, v[6:7]
	flat_load_dword v20, v[6:7] offset:2048
	flat_load_dword v21, v[8:9]
	flat_load_dword v23, v[8:9] offset:2048
	flat_load_dword v24, v[2:3]
	s_waitcnt vmcnt(0) lgkmcnt(0)
	ds_write2st64_b32 v22, v1, v10 offset1:8
	ds_write2st64_b32 v22, v11, v12 offset0:16 offset1:24
	ds_write2st64_b32 v22, v13, v14 offset0:32 offset1:40
	ds_write2st64_b32 v22, v15, v16 offset0:48 offset1:56
	ds_write2st64_b32 v22, v17, v18 offset0:64 offset1:72
	ds_write2st64_b32 v22, v19, v20 offset0:80 offset1:88
	ds_write2st64_b32 v22, v21, v23 offset0:96 offset1:104
	ds_write_b32 v22, v24 offset:28672
	s_waitcnt lgkmcnt(0)
	s_barrier
.LBB418_2:
	s_andn2_b64 vcc, exec, s[4:5]
	v_cmp_gt_u32_e64 s[4:5], s33, v0
	s_cbranch_vccnz .LBB418_34
; %bb.3:
                                        ; implicit-def: $vgpr2_vgpr3_vgpr4_vgpr5_vgpr6_vgpr7_vgpr8_vgpr9_vgpr10_vgpr11_vgpr12_vgpr13_vgpr14_vgpr15_vgpr16_vgpr17
	s_and_saveexec_b64 s[12:13], s[4:5]
	s_cbranch_execz .LBB418_5
; %bb.4:
	v_mov_b32_e32 v23, 0
	v_lshl_add_u64 v[2:3], s[10:11], 0, v[22:23]
	flat_load_dword v2, v[2:3]
.LBB418_5:
	s_or_b64 exec, exec, s[12:13]
	v_or_b32_e32 v1, 0x200, v0
	v_cmp_gt_u32_e32 vcc, s33, v1
	s_and_saveexec_b64 s[4:5], vcc
	s_cbranch_execz .LBB418_7
; %bb.6:
	v_mov_b32_e32 v23, 0
	v_lshl_add_u64 v[18:19], s[10:11], 0, v[22:23]
	flat_load_dword v3, v[18:19] offset:2048
.LBB418_7:
	s_or_b64 exec, exec, s[4:5]
	v_or_b32_e32 v1, 0x400, v0
	v_cmp_gt_u32_e32 vcc, s33, v1
	s_and_saveexec_b64 s[4:5], vcc
	s_cbranch_execz .LBB418_9
; %bb.8:
	v_lshlrev_b32_e32 v18, 2, v1
	v_mov_b32_e32 v19, 0
	v_lshl_add_u64 v[18:19], s[10:11], 0, v[18:19]
	flat_load_dword v4, v[18:19]
.LBB418_9:
	s_or_b64 exec, exec, s[4:5]
	v_or_b32_e32 v1, 0x600, v0
	v_cmp_gt_u32_e32 vcc, s33, v1
	s_and_saveexec_b64 s[4:5], vcc
	s_cbranch_execz .LBB418_11
; %bb.10:
	v_lshlrev_b32_e32 v18, 2, v1
	v_mov_b32_e32 v19, 0
	v_lshl_add_u64 v[18:19], s[10:11], 0, v[18:19]
	flat_load_dword v5, v[18:19]
.LBB418_11:
	;; [unrolled: 11-line block ×13, first 2 shown]
	s_or_b64 exec, exec, s[4:5]
	s_waitcnt vmcnt(0) lgkmcnt(0)
	ds_write2st64_b32 v22, v2, v3 offset1:8
	ds_write2st64_b32 v22, v4, v5 offset0:16 offset1:24
	ds_write2st64_b32 v22, v6, v7 offset0:32 offset1:40
	;; [unrolled: 1-line block ×6, first 2 shown]
	ds_write_b32 v22, v16 offset:28672
	s_waitcnt lgkmcnt(0)
	s_barrier
.LBB418_34:
	v_mul_u32_u24_e32 v21, 15, v0
	v_lshlrev_b32_e32 v1, 2, v21
	s_waitcnt lgkmcnt(0)
	ds_read2_b32 v[36:37], v1 offset1:1
	ds_read2_b32 v[34:35], v1 offset0:2 offset1:3
	ds_read2_b32 v[32:33], v1 offset0:4 offset1:5
	;; [unrolled: 1-line block ×6, first 2 shown]
	ds_read_b32 v1, v1 offset:56
	s_add_u32 s3, s6, s8
	s_addc_u32 s5, s7, s9
	s_add_u32 s4, s3, s30
	s_addc_u32 s5, s5, s31
	s_mov_b64 s[6:7], -1
	s_and_b64 vcc, exec, s[24:25]
	s_waitcnt lgkmcnt(0)
	s_barrier
	s_cbranch_vccz .LBB418_36
; %bb.35:
	v_mov_b32_e32 v23, 0
	v_lshl_add_u64 v[2:3], s[4:5], 0, v[22:23]
	v_add_co_u32_e32 v4, vcc, 0x1000, v2
	global_load_dword v10, v22, s[4:5]
	global_load_dword v11, v22, s[4:5] offset:2048
	v_addc_co_u32_e32 v5, vcc, 0, v3, vcc
	v_add_co_u32_e32 v6, vcc, 0x2000, v2
	s_mov_b64 s[6:7], 0
	s_nop 0
	v_addc_co_u32_e32 v7, vcc, 0, v3, vcc
	v_add_co_u32_e32 v8, vcc, 0x3000, v2
	s_nop 1
	v_addc_co_u32_e32 v9, vcc, 0, v3, vcc
	global_load_dword v12, v[4:5], off
	global_load_dword v13, v[4:5], off offset:2048
	global_load_dword v14, v[6:7], off
	global_load_dword v15, v[6:7], off offset:2048
	;; [unrolled: 2-line block ×3, first 2 shown]
	v_add_co_u32_e32 v4, vcc, 0x4000, v2
	s_nop 1
	v_addc_co_u32_e32 v5, vcc, 0, v3, vcc
	global_load_dword v6, v[4:5], off
	global_load_dword v7, v[4:5], off offset:2048
	v_add_co_u32_e32 v4, vcc, 0x5000, v2
	s_waitcnt vmcnt(1)
	v_xor_b32_e32 v6, -1, v6
	v_addc_co_u32_e32 v5, vcc, 0, v3, vcc
	global_load_dword v8, v[4:5], off
	global_load_dword v9, v[4:5], off offset:2048
	v_add_co_u32_e32 v4, vcc, 0x6000, v2
	s_waitcnt vmcnt(2)
	v_xor_b32_e32 v7, -1, v7
	v_addc_co_u32_e32 v5, vcc, 0, v3, vcc
	v_add_co_u32_e32 v2, vcc, 0x7000, v2
	global_load_dword v18, v[4:5], off
	global_load_dword v19, v[4:5], off offset:2048
	v_addc_co_u32_e32 v3, vcc, 0, v3, vcc
	global_load_dword v2, v[2:3], off
	v_xor_b32_e32 v3, -1, v10
	v_xor_b32_e32 v4, -1, v11
	v_and_b32_e32 v3, 1, v3
	v_and_b32_e32 v4, 1, v4
	ds_write_b8 v0, v3
	ds_write_b8 v0, v4 offset:512
	v_xor_b32_e32 v3, -1, v12
	v_xor_b32_e32 v4, -1, v13
	;; [unrolled: 1-line block ×3, first 2 shown]
	v_and_b32_e32 v3, 1, v3
	v_and_b32_e32 v4, 1, v4
	v_xor_b32_e32 v10, -1, v15
	v_and_b32_e32 v5, 1, v5
	v_xor_b32_e32 v11, -1, v16
	v_xor_b32_e32 v12, -1, v17
	v_and_b32_e32 v10, 1, v10
	ds_write_b8 v0, v3 offset:1024
	ds_write_b8 v0, v4 offset:1536
	v_and_b32_e32 v3, 1, v11
	v_and_b32_e32 v4, 1, v12
	ds_write_b8 v0, v5 offset:2048
	ds_write_b8 v0, v10 offset:2560
	v_and_b32_e32 v5, 1, v6
	v_and_b32_e32 v6, 1, v7
	ds_write_b8 v0, v3 offset:3072
	ds_write_b8 v0, v4 offset:3584
	ds_write_b8 v0, v5 offset:4096
	ds_write_b8 v0, v6 offset:4608
	s_waitcnt vmcnt(4)
	v_xor_b32_e32 v7, -1, v8
	s_waitcnt vmcnt(3)
	v_xor_b32_e32 v8, -1, v9
	v_and_b32_e32 v3, 1, v7
	v_and_b32_e32 v4, 1, v8
	s_waitcnt vmcnt(2)
	v_xor_b32_e32 v7, -1, v18
	s_waitcnt vmcnt(1)
	v_xor_b32_e32 v8, -1, v19
	v_and_b32_e32 v5, 1, v7
	v_and_b32_e32 v6, 1, v8
	s_waitcnt vmcnt(0)
	v_xor_b32_e32 v2, -1, v2
	v_and_b32_e32 v2, 1, v2
	ds_write_b8 v0, v3 offset:5120
	ds_write_b8 v0, v4 offset:5632
	;; [unrolled: 1-line block ×5, first 2 shown]
	s_waitcnt lgkmcnt(0)
	s_barrier
.LBB418_36:
	s_load_dwordx2 s[34:35], s[0:1], 0x70
	s_andn2_b64 vcc, exec, s[6:7]
	s_cbranch_vccnz .LBB418_68
; %bb.37:
	v_cmp_gt_u32_e32 vcc, s33, v0
	v_mov_b32_e32 v2, 0
	v_mov_b32_e32 v3, 0
	s_and_saveexec_b64 s[6:7], vcc
	s_cbranch_execz .LBB418_39
; %bb.38:
	global_load_dword v3, v22, s[4:5]
	s_waitcnt vmcnt(0)
	v_xor_b32_e32 v3, -1, v3
	v_and_b32_e32 v3, 1, v3
.LBB418_39:
	s_or_b64 exec, exec, s[6:7]
	v_or_b32_e32 v4, 0x200, v0
	v_cmp_gt_u32_e32 vcc, s33, v4
	s_and_saveexec_b64 s[6:7], vcc
	s_cbranch_execz .LBB418_41
; %bb.40:
	global_load_dword v2, v22, s[4:5] offset:2048
	s_waitcnt vmcnt(0)
	v_xor_b32_e32 v2, -1, v2
	v_and_b32_e32 v2, 1, v2
.LBB418_41:
	s_or_b64 exec, exec, s[6:7]
	v_or_b32_e32 v6, 0x400, v0
	v_cmp_gt_u32_e32 vcc, s33, v6
	v_mov_b32_e32 v4, 0
	v_mov_b32_e32 v5, 0
	s_and_saveexec_b64 s[6:7], vcc
	s_cbranch_execz .LBB418_43
; %bb.42:
	v_lshlrev_b32_e32 v5, 2, v6
	global_load_dword v5, v5, s[4:5]
	s_waitcnt vmcnt(0)
	v_xor_b32_e32 v5, -1, v5
	v_and_b32_e32 v5, 1, v5
.LBB418_43:
	s_or_b64 exec, exec, s[6:7]
	v_or_b32_e32 v6, 0x600, v0
	v_cmp_gt_u32_e32 vcc, s33, v6
	s_and_saveexec_b64 s[6:7], vcc
	s_cbranch_execz .LBB418_45
; %bb.44:
	v_lshlrev_b32_e32 v4, 2, v6
	global_load_dword v4, v4, s[4:5]
	s_waitcnt vmcnt(0)
	v_xor_b32_e32 v4, -1, v4
	v_and_b32_e32 v4, 1, v4
.LBB418_45:
	s_or_b64 exec, exec, s[6:7]
	v_or_b32_e32 v8, 0x800, v0
	v_cmp_gt_u32_e32 vcc, s33, v8
	v_mov_b32_e32 v6, 0
	v_mov_b32_e32 v7, 0
	s_and_saveexec_b64 s[6:7], vcc
	s_cbranch_execz .LBB418_47
; %bb.46:
	v_lshlrev_b32_e32 v7, 2, v8
	global_load_dword v7, v7, s[4:5]
	s_waitcnt vmcnt(0)
	v_xor_b32_e32 v7, -1, v7
	v_and_b32_e32 v7, 1, v7
.LBB418_47:
	s_or_b64 exec, exec, s[6:7]
	v_or_b32_e32 v8, 0xa00, v0
	v_cmp_gt_u32_e32 vcc, s33, v8
	s_and_saveexec_b64 s[6:7], vcc
	s_cbranch_execz .LBB418_49
; %bb.48:
	v_lshlrev_b32_e32 v6, 2, v8
	global_load_dword v6, v6, s[4:5]
	s_waitcnt vmcnt(0)
	v_xor_b32_e32 v6, -1, v6
	v_and_b32_e32 v6, 1, v6
.LBB418_49:
	;; [unrolled: 26-line block ×6, first 2 shown]
	s_or_b64 exec, exec, s[6:7]
	v_or_b32_e32 v17, 0x1c00, v0
	v_cmp_gt_u32_e32 vcc, s33, v17
	v_mov_b32_e32 v16, 0
	s_and_saveexec_b64 s[6:7], vcc
	s_cbranch_execz .LBB418_67
; %bb.66:
	v_lshlrev_b32_e32 v16, 2, v17
	global_load_dword v16, v16, s[4:5]
	s_waitcnt vmcnt(0)
	v_xor_b32_e32 v16, -1, v16
	v_and_b32_e32 v16, 1, v16
.LBB418_67:
	s_or_b64 exec, exec, s[6:7]
	ds_write_b8 v0, v3
	ds_write_b8 v0, v2 offset:512
	ds_write_b8 v0, v5 offset:1024
	;; [unrolled: 1-line block ×14, first 2 shown]
	s_waitcnt lgkmcnt(0)
	s_barrier
.LBB418_68:
	s_waitcnt lgkmcnt(0)
	ds_read_b96 v[18:20], v21
	ds_read_u8 v2, v21 offset:12
	ds_read_u8 v3, v21 offset:13
	;; [unrolled: 1-line block ×3, first 2 shown]
	s_cmp_lg_u32 s2, 0
	v_lshrrev_b32_e32 v56, 6, v0
	s_waitcnt lgkmcnt(2)
	v_and_b32_e32 v43, 1, v2
	v_and_b32_e32 v52, 0xff, v18
	v_bfe_u32 v53, v18, 8, 8
	v_bfe_u32 v54, v18, 16, 8
	v_lshrrev_b32_e32 v45, 24, v18
	v_and_b32_e32 v49, 0xff, v19
	v_add3_u32 v2, v53, v52, v54
	v_bfe_u32 v50, v19, 8, 8
	v_bfe_u32 v51, v19, 16, 8
	v_add3_u32 v2, v2, v45, v49
	v_lshrrev_b32_e32 v44, 24, v19
	v_and_b32_e32 v46, 0xff, v20
	v_add3_u32 v2, v2, v50, v51
	v_bfe_u32 v47, v20, 8, 8
	v_bfe_u32 v48, v20, 16, 8
	v_add3_u32 v2, v2, v44, v46
	v_lshrrev_b32_e32 v42, 24, v20
	v_add3_u32 v2, v2, v47, v48
	s_waitcnt lgkmcnt(1)
	v_and_b32_e32 v41, 1, v3
	s_waitcnt lgkmcnt(0)
	v_and_b32_e32 v23, 1, v4
	v_add3_u32 v2, v2, v42, v43
	v_add3_u32 v57, v2, v41, v23
	v_mbcnt_lo_u32_b32 v2, -1, 0
	v_mbcnt_hi_u32_b32 v55, -1, v2
	v_and_b32_e32 v2, 15, v55
	v_cmp_eq_u32_e64 s[14:15], 0, v2
	v_cmp_lt_u32_e64 s[12:13], 1, v2
	v_cmp_lt_u32_e64 s[10:11], 3, v2
	;; [unrolled: 1-line block ×3, first 2 shown]
	v_and_b32_e32 v2, 16, v55
	v_cmp_eq_u32_e64 s[6:7], 0, v2
	v_or_b32_e32 v2, 63, v0
	v_cmp_lt_u32_e64 s[18:19], 31, v55
	v_cmp_eq_u32_e64 s[4:5], v2, v0
	s_barrier
	s_cbranch_scc0 .LBB418_95
; %bb.69:
	v_mov_b32_dpp v2, v57 row_shr:1 row_mask:0xf bank_mask:0xf
	v_cndmask_b32_e64 v2, v2, 0, s[14:15]
	v_add_u32_e32 v2, v2, v57
	s_nop 1
	v_mov_b32_dpp v3, v2 row_shr:2 row_mask:0xf bank_mask:0xf
	v_cndmask_b32_e64 v3, 0, v3, s[12:13]
	v_add_u32_e32 v2, v2, v3
	s_nop 1
	;; [unrolled: 4-line block ×4, first 2 shown]
	v_mov_b32_dpp v3, v2 row_bcast:15 row_mask:0xf bank_mask:0xf
	v_cndmask_b32_e64 v3, v3, 0, s[6:7]
	v_add_u32_e32 v2, v2, v3
	s_nop 1
	v_mov_b32_dpp v3, v2 row_bcast:31 row_mask:0xf bank_mask:0xf
	v_cndmask_b32_e64 v3, 0, v3, s[18:19]
	v_add_u32_e32 v2, v2, v3
	s_and_saveexec_b64 s[16:17], s[4:5]
	s_cbranch_execz .LBB418_71
; %bb.70:
	v_lshlrev_b32_e32 v3, 2, v56
	ds_write_b32 v3, v2
.LBB418_71:
	s_or_b64 exec, exec, s[16:17]
	v_cmp_gt_u32_e32 vcc, 8, v0
	s_waitcnt lgkmcnt(0)
	s_barrier
	s_and_saveexec_b64 s[16:17], vcc
	s_cbranch_execz .LBB418_73
; %bb.72:
	ds_read_b32 v3, v22
	v_and_b32_e32 v4, 7, v55
	v_cmp_ne_u32_e32 vcc, 0, v4
	s_waitcnt lgkmcnt(0)
	v_mov_b32_dpp v5, v3 row_shr:1 row_mask:0xf bank_mask:0xf
	v_cndmask_b32_e32 v5, 0, v5, vcc
	v_add_u32_e32 v3, v5, v3
	v_cmp_lt_u32_e32 vcc, 1, v4
	s_nop 0
	v_mov_b32_dpp v5, v3 row_shr:2 row_mask:0xf bank_mask:0xf
	v_cndmask_b32_e32 v5, 0, v5, vcc
	v_add_u32_e32 v3, v3, v5
	v_cmp_lt_u32_e32 vcc, 3, v4
	s_nop 0
	v_mov_b32_dpp v5, v3 row_shr:4 row_mask:0xf bank_mask:0xf
	v_cndmask_b32_e32 v4, 0, v5, vcc
	v_add_u32_e32 v3, v3, v4
	ds_write_b32 v22, v3
.LBB418_73:
	s_or_b64 exec, exec, s[16:17]
	v_cmp_gt_u32_e32 vcc, 64, v0
	v_cmp_lt_u32_e64 s[16:17], 63, v0
	s_waitcnt lgkmcnt(0)
	s_barrier
	s_waitcnt lgkmcnt(0)
                                        ; implicit-def: $vgpr12
	s_and_saveexec_b64 s[36:37], s[16:17]
	s_cbranch_execz .LBB418_75
; %bb.74:
	v_lshl_add_u32 v3, v56, 2, -4
	ds_read_b32 v12, v3
	s_waitcnt lgkmcnt(0)
	v_add_u32_e32 v2, v12, v2
.LBB418_75:
	s_or_b64 exec, exec, s[36:37]
	v_add_u32_e32 v3, -1, v55
	v_and_b32_e32 v4, 64, v55
	v_cmp_lt_i32_e64 s[16:17], v3, v4
	s_nop 1
	v_cndmask_b32_e64 v3, v3, v55, s[16:17]
	v_lshlrev_b32_e32 v3, 2, v3
	ds_bpermute_b32 v13, v3, v2
	v_cmp_eq_u32_e64 s[16:17], 0, v55
	s_and_saveexec_b64 s[36:37], vcc
	s_cbranch_execz .LBB418_94
; %bb.76:
	v_mov_b32_e32 v9, 0
	ds_read_b32 v2, v9 offset:28
	s_and_saveexec_b64 s[38:39], s[16:17]
	s_cbranch_execz .LBB418_78
; %bb.77:
	s_add_i32 s40, s2, 64
	s_mov_b32 s41, 0
	s_lshl_b64 s[40:41], s[40:41], 3
	s_add_u32 s40, s34, s40
	v_mov_b32_e32 v3, 1
	s_addc_u32 s41, s35, s41
	s_waitcnt lgkmcnt(0)
	global_store_dwordx2 v9, v[2:3], s[40:41] sc1
.LBB418_78:
	s_or_b64 exec, exec, s[38:39]
	v_xad_u32 v4, v55, -1, s2
	v_add_u32_e32 v8, 64, v4
	v_lshl_add_u64 v[10:11], v[8:9], 3, s[34:35]
	global_load_dwordx2 v[6:7], v[10:11], off sc1
	s_waitcnt vmcnt(0)
	v_cmp_eq_u16_sdwa s[40:41], v7, v9 src0_sel:BYTE_0 src1_sel:DWORD
	s_and_saveexec_b64 s[38:39], s[40:41]
	s_cbranch_execz .LBB418_82
; %bb.79:
	s_mov_b64 s[40:41], 0
	v_mov_b32_e32 v3, 0
.LBB418_80:                             ; =>This Inner Loop Header: Depth=1
	global_load_dwordx2 v[6:7], v[10:11], off sc1
	s_waitcnt vmcnt(0)
	v_cmp_ne_u16_sdwa s[42:43], v7, v3 src0_sel:BYTE_0 src1_sel:DWORD
	s_or_b64 s[40:41], s[42:43], s[40:41]
	s_andn2_b64 exec, exec, s[40:41]
	s_cbranch_execnz .LBB418_80
; %bb.81:
	s_or_b64 exec, exec, s[40:41]
.LBB418_82:
	s_or_b64 exec, exec, s[38:39]
	v_and_b32_e32 v15, 63, v55
	v_mov_b32_e32 v14, 2
	v_cmp_ne_u32_e32 vcc, 63, v15
	v_cmp_eq_u16_sdwa s[38:39], v7, v14 src0_sel:BYTE_0 src1_sel:DWORD
	v_lshlrev_b64 v[8:9], v55, -1
	v_addc_co_u32_e32 v10, vcc, 0, v55, vcc
	v_and_b32_e32 v3, s39, v9
	v_lshlrev_b32_e32 v16, 2, v10
	v_or_b32_e32 v3, 0x80000000, v3
	ds_bpermute_b32 v10, v16, v6
	v_and_b32_e32 v5, s38, v8
	v_ffbl_b32_e32 v3, v3
	v_add_u32_e32 v3, 32, v3
	v_ffbl_b32_e32 v5, v5
	v_min_u32_e32 v3, v5, v3
	v_cmp_lt_u32_e32 vcc, v15, v3
	v_add_u32_e32 v38, 2, v15
	v_add_u32_e32 v40, 4, v15
	s_waitcnt lgkmcnt(0)
	v_cndmask_b32_e32 v5, 0, v10, vcc
	v_cmp_gt_u32_e32 vcc, 62, v15
	v_add_u32_e32 v5, v5, v6
	v_add_u32_e32 v59, 8, v15
	v_cndmask_b32_e64 v6, 0, 1, vcc
	v_lshlrev_b32_e32 v6, 1, v6
	v_add_lshl_u32 v17, v6, v55, 2
	ds_bpermute_b32 v6, v17, v5
	v_cmp_le_u32_e32 vcc, v38, v3
	v_add_u32_e32 v61, 16, v15
	v_add_u32_e32 v63, 32, v15
	s_waitcnt lgkmcnt(0)
	v_cndmask_b32_e32 v6, 0, v6, vcc
	v_cmp_gt_u32_e32 vcc, 60, v15
	v_add_u32_e32 v5, v5, v6
	s_nop 0
	v_cndmask_b32_e64 v6, 0, 1, vcc
	v_lshlrev_b32_e32 v6, 2, v6
	v_add_lshl_u32 v39, v6, v55, 2
	ds_bpermute_b32 v6, v39, v5
	v_cmp_le_u32_e32 vcc, v40, v3
	s_waitcnt lgkmcnt(0)
	s_nop 0
	v_cndmask_b32_e32 v6, 0, v6, vcc
	v_cmp_gt_u32_e32 vcc, 56, v15
	v_add_u32_e32 v5, v5, v6
	s_nop 0
	v_cndmask_b32_e64 v6, 0, 1, vcc
	v_lshlrev_b32_e32 v6, 3, v6
	v_add_lshl_u32 v58, v6, v55, 2
	ds_bpermute_b32 v6, v58, v5
	v_cmp_le_u32_e32 vcc, v59, v3
	s_waitcnt lgkmcnt(0)
	s_nop 0
	;; [unrolled: 11-line block ×4, first 2 shown]
	v_cndmask_b32_e32 v3, 0, v6, vcc
	v_add_u32_e32 v6, v5, v3
	v_mov_b32_e32 v5, 0
	s_branch .LBB418_84
.LBB418_83:                             ;   in Loop: Header=BB418_84 Depth=1
	s_or_b64 exec, exec, s[38:39]
	v_cmp_eq_u16_sdwa s[38:39], v7, v14 src0_sel:BYTE_0 src1_sel:DWORD
	ds_bpermute_b32 v64, v16, v6
	v_subrev_u32_e32 v4, 64, v4
	v_and_b32_e32 v10, s39, v9
	v_or_b32_e32 v10, 0x80000000, v10
	v_and_b32_e32 v11, s38, v8
	v_ffbl_b32_e32 v10, v10
	v_add_u32_e32 v10, 32, v10
	v_ffbl_b32_e32 v11, v11
	v_min_u32_e32 v10, v11, v10
	v_cmp_lt_u32_e32 vcc, v15, v10
	s_waitcnt lgkmcnt(0)
	s_nop 0
	v_cndmask_b32_e32 v11, 0, v64, vcc
	v_add_u32_e32 v6, v11, v6
	ds_bpermute_b32 v11, v17, v6
	v_cmp_le_u32_e32 vcc, v38, v10
	s_waitcnt lgkmcnt(0)
	s_nop 0
	v_cndmask_b32_e32 v11, 0, v11, vcc
	v_add_u32_e32 v6, v6, v11
	ds_bpermute_b32 v11, v39, v6
	v_cmp_le_u32_e32 vcc, v40, v10
	;; [unrolled: 6-line block ×5, first 2 shown]
	s_waitcnt lgkmcnt(0)
	s_nop 0
	v_cndmask_b32_e32 v10, 0, v11, vcc
	v_add3_u32 v6, v10, v3, v6
.LBB418_84:                             ; =>This Loop Header: Depth=1
                                        ;     Child Loop BB418_87 Depth 2
	v_cmp_ne_u16_sdwa s[38:39], v7, v14 src0_sel:BYTE_0 src1_sel:DWORD
	s_nop 1
	v_cndmask_b32_e64 v3, 0, 1, s[38:39]
	;;#ASMSTART
	;;#ASMEND
	s_nop 0
	v_cmp_ne_u32_e32 vcc, 0, v3
	s_cmp_lg_u64 vcc, exec
	v_mov_b32_e32 v3, v6
	s_cbranch_scc1 .LBB418_89
; %bb.85:                               ;   in Loop: Header=BB418_84 Depth=1
	v_lshl_add_u64 v[10:11], v[4:5], 3, s[34:35]
	global_load_dwordx2 v[6:7], v[10:11], off sc1
	s_waitcnt vmcnt(0)
	v_cmp_eq_u16_sdwa s[40:41], v7, v5 src0_sel:BYTE_0 src1_sel:DWORD
	s_and_saveexec_b64 s[38:39], s[40:41]
	s_cbranch_execz .LBB418_83
; %bb.86:                               ;   in Loop: Header=BB418_84 Depth=1
	s_mov_b64 s[40:41], 0
.LBB418_87:                             ;   Parent Loop BB418_84 Depth=1
                                        ; =>  This Inner Loop Header: Depth=2
	global_load_dwordx2 v[6:7], v[10:11], off sc1
	s_waitcnt vmcnt(0)
	v_cmp_ne_u16_sdwa s[42:43], v7, v5 src0_sel:BYTE_0 src1_sel:DWORD
	s_or_b64 s[40:41], s[42:43], s[40:41]
	s_andn2_b64 exec, exec, s[40:41]
	s_cbranch_execnz .LBB418_87
; %bb.88:                               ;   in Loop: Header=BB418_84 Depth=1
	s_or_b64 exec, exec, s[40:41]
	s_branch .LBB418_83
.LBB418_89:                             ;   in Loop: Header=BB418_84 Depth=1
                                        ; implicit-def: $vgpr6
                                        ; implicit-def: $vgpr7
	s_cbranch_execz .LBB418_84
; %bb.90:
	s_and_saveexec_b64 s[38:39], s[16:17]
	s_cbranch_execz .LBB418_92
; %bb.91:
	s_add_i32 s2, s2, 64
	s_mov_b32 s3, 0
	s_lshl_b64 s[2:3], s[2:3], 3
	s_add_u32 s2, s34, s2
	v_add_u32_e32 v4, v3, v2
	v_mov_b32_e32 v5, 2
	s_addc_u32 s3, s35, s3
	v_mov_b32_e32 v6, 0
	global_store_dwordx2 v6, v[4:5], s[2:3] sc1
	ds_write_b64 v6, v[2:3] offset:30720
.LBB418_92:
	s_or_b64 exec, exec, s[38:39]
	v_cmp_eq_u32_e32 vcc, 0, v0
	s_and_b64 exec, exec, vcc
	s_cbranch_execz .LBB418_94
; %bb.93:
	v_mov_b32_e32 v2, 0
	ds_write_b32 v2, v3 offset:28
.LBB418_94:
	s_or_b64 exec, exec, s[36:37]
	v_mov_b32_e32 v14, 0
	s_waitcnt lgkmcnt(0)
	s_barrier
	ds_read_b32 v2, v14 offset:28
	v_cndmask_b32_e64 v3, v13, v12, s[16:17]
	v_cmp_ne_u32_e32 vcc, 0, v0
	s_waitcnt lgkmcnt(0)
	s_barrier
	v_cndmask_b32_e32 v3, 0, v3, vcc
	v_add_u32_e32 v2, v2, v3
	v_add_u32_e32 v3, v2, v52
	;; [unrolled: 1-line block ×10, first 2 shown]
	ds_read_b64 v[38:39], v14 offset:30720
	v_add_u32_e32 v12, v11, v47
	v_add_u32_e32 v13, v12, v48
	;; [unrolled: 1-line block ×5, first 2 shown]
	s_waitcnt lgkmcnt(0)
	v_mov_b32_e32 v40, v39
	s_branch .LBB418_105
.LBB418_95:
                                        ; implicit-def: $vgpr40
                                        ; implicit-def: $vgpr38
                                        ; implicit-def: $vgpr2_vgpr3_vgpr4_vgpr5_vgpr6_vgpr7_vgpr8_vgpr9_vgpr10_vgpr11_vgpr12_vgpr13_vgpr14_vgpr15_vgpr16_vgpr17
	s_cbranch_execz .LBB418_105
; %bb.96:
	s_nop 0
	v_mov_b32_dpp v2, v57 row_shr:1 row_mask:0xf bank_mask:0xf
	v_cndmask_b32_e64 v2, v2, 0, s[14:15]
	v_add_u32_e32 v2, v2, v57
	s_nop 1
	v_mov_b32_dpp v3, v2 row_shr:2 row_mask:0xf bank_mask:0xf
	v_cndmask_b32_e64 v3, 0, v3, s[12:13]
	v_add_u32_e32 v2, v2, v3
	;; [unrolled: 4-line block ×4, first 2 shown]
	s_nop 1
	v_mov_b32_dpp v3, v2 row_bcast:15 row_mask:0xf bank_mask:0xf
	v_cndmask_b32_e64 v3, v3, 0, s[6:7]
	v_add_u32_e32 v2, v2, v3
	s_nop 1
	v_mov_b32_dpp v3, v2 row_bcast:31 row_mask:0xf bank_mask:0xf
	v_cndmask_b32_e64 v3, 0, v3, s[18:19]
	v_add_u32_e32 v2, v2, v3
	s_and_saveexec_b64 s[2:3], s[4:5]
	s_cbranch_execz .LBB418_98
; %bb.97:
	v_lshlrev_b32_e32 v3, 2, v56
	ds_write_b32 v3, v2
.LBB418_98:
	s_or_b64 exec, exec, s[2:3]
	v_cmp_gt_u32_e32 vcc, 8, v0
	s_waitcnt lgkmcnt(0)
	s_barrier
	s_and_saveexec_b64 s[2:3], vcc
	s_cbranch_execz .LBB418_100
; %bb.99:
	v_mad_i32_i24 v3, v0, -11, v21
	ds_read_b32 v4, v3
	v_and_b32_e32 v5, 7, v55
	v_cmp_ne_u32_e32 vcc, 0, v5
	s_waitcnt lgkmcnt(0)
	v_mov_b32_dpp v6, v4 row_shr:1 row_mask:0xf bank_mask:0xf
	v_cndmask_b32_e32 v6, 0, v6, vcc
	v_add_u32_e32 v4, v6, v4
	v_cmp_lt_u32_e32 vcc, 1, v5
	s_nop 0
	v_mov_b32_dpp v6, v4 row_shr:2 row_mask:0xf bank_mask:0xf
	v_cndmask_b32_e32 v6, 0, v6, vcc
	v_add_u32_e32 v4, v4, v6
	v_cmp_lt_u32_e32 vcc, 3, v5
	s_nop 0
	v_mov_b32_dpp v6, v4 row_shr:4 row_mask:0xf bank_mask:0xf
	v_cndmask_b32_e32 v5, 0, v6, vcc
	v_add_u32_e32 v4, v4, v5
	ds_write_b32 v3, v4
.LBB418_100:
	s_or_b64 exec, exec, s[2:3]
	v_cmp_lt_u32_e32 vcc, 63, v0
	v_mov_b32_e32 v4, 0
	v_mov_b32_e32 v3, 0
	s_waitcnt lgkmcnt(0)
	s_barrier
	s_and_saveexec_b64 s[2:3], vcc
	s_cbranch_execz .LBB418_102
; %bb.101:
	v_lshl_add_u32 v3, v56, 2, -4
	ds_read_b32 v3, v3
.LBB418_102:
	s_or_b64 exec, exec, s[2:3]
	v_add_u32_e32 v5, -1, v55
	v_and_b32_e32 v6, 64, v55
	v_cmp_lt_i32_e32 vcc, v5, v6
	s_waitcnt lgkmcnt(0)
	v_add_u32_e32 v2, v3, v2
	ds_read_b32 v38, v4 offset:28
	v_cndmask_b32_e32 v5, v5, v55, vcc
	v_lshlrev_b32_e32 v5, 2, v5
	ds_bpermute_b32 v2, v5, v2
	v_cmp_eq_u32_e32 vcc, 0, v0
	s_and_saveexec_b64 s[2:3], vcc
	s_cbranch_execz .LBB418_104
; %bb.103:
	v_mov_b32_e32 v4, 0
	v_mov_b32_e32 v39, 2
	s_waitcnt lgkmcnt(1)
	global_store_dwordx2 v4, v[38:39], s[34:35] offset:512 sc1
.LBB418_104:
	s_or_b64 exec, exec, s[2:3]
	v_cmp_eq_u32_e64 s[2:3], 0, v55
	v_mov_b32_e32 v40, 0
	s_waitcnt lgkmcnt(0)
	v_cndmask_b32_e64 v2, v2, v3, s[2:3]
	v_cndmask_b32_e64 v2, v2, 0, vcc
	v_add_u32_e32 v3, v2, v52
	v_add_u32_e32 v4, v3, v53
	;; [unrolled: 1-line block ×14, first 2 shown]
	s_barrier
.LBB418_105:
	v_add_u32_e32 v21, v38, v21
	v_sub_u32_e32 v2, v2, v40
	v_and_b32_e32 v48, 1, v18
	v_sub_u32_e32 v47, v21, v2
	v_cmp_eq_u32_e32 vcc, 1, v48
	v_lshrrev_b32_e32 v46, 8, v18
	v_lshrrev_b32_e32 v39, 8, v19
	v_cndmask_b32_e32 v2, v47, v2, vcc
	v_lshlrev_b32_e32 v2, 2, v2
	ds_write_b32 v2, v36
	v_sub_u32_e32 v2, v3, v40
	v_sub_u32_e32 v3, v21, v2
	v_and_b32_e32 v36, 1, v46
	v_add_u32_e32 v3, 1, v3
	v_cmp_eq_u32_e32 vcc, 1, v36
	v_lshrrev_b32_e32 v17, 8, v20
	s_load_dwordx4 s[0:3], s[0:1], 0x30
	v_cndmask_b32_e32 v2, v3, v2, vcc
	v_lshlrev_b32_e32 v2, 2, v2
	ds_write_b32 v2, v37
	v_sub_u32_e32 v2, v4, v40
	v_mov_b32_e32 v4, 1
	v_sub_u32_e32 v3, v21, v2
	v_and_b32_sdwa v18, v4, v18 dst_sel:DWORD dst_unused:UNUSED_PAD src0_sel:DWORD src1_sel:WORD_1
	v_add_u32_e32 v3, 2, v3
	v_cmp_eq_u32_e32 vcc, 1, v18
	v_or_b32_e32 v37, 0x200, v0
	v_or_b32_e32 v36, 0x400, v0
	v_cndmask_b32_e32 v2, v3, v2, vcc
	v_lshlrev_b32_e32 v2, 2, v2
	ds_write_b32 v2, v34
	v_sub_u32_e32 v2, v5, v40
	v_sub_u32_e32 v3, v21, v2
	v_and_b32_e32 v5, 1, v45
	v_add_u32_e32 v3, 3, v3
	v_cmp_eq_u32_e32 vcc, 1, v5
	v_and_b32_e32 v5, 1, v19
	v_or_b32_e32 v34, 0x800, v0
	v_cndmask_b32_e32 v2, v3, v2, vcc
	v_lshlrev_b32_e32 v2, 2, v2
	ds_write_b32 v2, v35
	v_sub_u32_e32 v2, v6, v40
	v_sub_u32_e32 v3, v21, v2
	v_add_u32_e32 v3, 4, v3
	v_cmp_eq_u32_e32 vcc, 1, v5
	v_and_b32_e32 v5, 1, v39
	v_or_b32_e32 v35, 0x600, v0
	v_cndmask_b32_e32 v2, v3, v2, vcc
	v_lshlrev_b32_e32 v2, 2, v2
	ds_write_b32 v2, v32
	v_sub_u32_e32 v2, v7, v40
	v_sub_u32_e32 v3, v21, v2
	v_add_u32_e32 v3, 5, v3
	v_cmp_eq_u32_e32 vcc, 1, v5
	v_and_b32_sdwa v5, v4, v19 dst_sel:DWORD dst_unused:UNUSED_PAD src0_sel:DWORD src1_sel:WORD_1
	v_and_b32_sdwa v4, v4, v20 dst_sel:DWORD dst_unused:UNUSED_PAD src0_sel:DWORD src1_sel:WORD_1
	v_cndmask_b32_e32 v2, v3, v2, vcc
	v_lshlrev_b32_e32 v2, 2, v2
	ds_write_b32 v2, v33
	v_sub_u32_e32 v2, v8, v40
	v_sub_u32_e32 v3, v21, v2
	v_add_u32_e32 v3, 6, v3
	v_cmp_eq_u32_e32 vcc, 1, v5
	v_and_b32_e32 v5, 1, v44
	v_mov_b32_e32 v7, s27
	v_cndmask_b32_e32 v2, v3, v2, vcc
	v_lshlrev_b32_e32 v2, 2, v2
	ds_write_b32 v2, v30
	v_sub_u32_e32 v2, v9, v40
	v_sub_u32_e32 v3, v21, v2
	v_add_u32_e32 v3, 7, v3
	v_cmp_eq_u32_e32 vcc, 1, v5
	v_and_b32_e32 v5, 1, v20
	v_or_b32_e32 v33, 0xa00, v0
	v_cndmask_b32_e32 v2, v3, v2, vcc
	v_lshlrev_b32_e32 v2, 2, v2
	ds_write_b32 v2, v31
	v_sub_u32_e32 v2, v10, v40
	v_sub_u32_e32 v3, v21, v2
	v_add_u32_e32 v3, 8, v3
	v_cmp_eq_u32_e32 vcc, 1, v5
	v_and_b32_e32 v5, 1, v17
	v_or_b32_e32 v32, 0xc00, v0
	v_cndmask_b32_e32 v2, v3, v2, vcc
	v_lshlrev_b32_e32 v2, 2, v2
	ds_write_b32 v2, v28
	v_sub_u32_e32 v2, v11, v40
	v_sub_u32_e32 v3, v21, v2
	v_add_u32_e32 v3, 9, v3
	v_cmp_eq_u32_e32 vcc, 1, v5
	v_or_b32_e32 v31, 0xe00, v0
	v_or_b32_e32 v30, 0x1000, v0
	v_cndmask_b32_e32 v2, v3, v2, vcc
	v_lshlrev_b32_e32 v2, 2, v2
	ds_write_b32 v2, v29
	v_sub_u32_e32 v2, v12, v40
	v_sub_u32_e32 v3, v21, v2
	v_add_u32_e32 v3, 10, v3
	v_cmp_eq_u32_e32 vcc, 1, v4
	v_and_b32_e32 v4, 1, v42
	v_or_b32_e32 v29, 0x1200, v0
	v_cndmask_b32_e32 v2, v3, v2, vcc
	v_lshlrev_b32_e32 v2, 2, v2
	ds_write_b32 v2, v26
	v_sub_u32_e32 v2, v13, v40
	v_sub_u32_e32 v3, v21, v2
	v_add_u32_e32 v3, 11, v3
	v_cmp_eq_u32_e32 vcc, 1, v4
	v_or_b32_e32 v28, 0x1400, v0
	v_or_b32_e32 v26, 0x1800, v0
	v_cndmask_b32_e32 v2, v3, v2, vcc
	v_lshlrev_b32_e32 v2, 2, v2
	ds_write_b32 v2, v27
	v_sub_u32_e32 v2, v14, v40
	v_sub_u32_e32 v3, v21, v2
	v_add_u32_e32 v3, 12, v3
	v_cmp_eq_u32_e32 vcc, 1, v43
	v_or_b32_e32 v27, 0x1600, v0
	s_nop 0
	v_cndmask_b32_e32 v2, v3, v2, vcc
	v_lshlrev_b32_e32 v2, 2, v2
	ds_write_b32 v2, v24
	v_sub_u32_e32 v2, v15, v40
	v_sub_u32_e32 v3, v21, v2
	v_add_u32_e32 v3, 13, v3
	v_cmp_eq_u32_e32 vcc, 1, v41
	v_mov_b32_e32 v41, 0
	v_lshl_add_u64 v[8:9], s[28:29], 0, v[40:41]
	v_cndmask_b32_e32 v2, v3, v2, vcc
	v_lshlrev_b32_e32 v2, 2, v2
	ds_write_b32 v2, v25
	v_sub_u32_e32 v2, v16, v40
	v_sub_u32_e32 v3, v21, v2
	v_add_u32_e32 v3, 14, v3
	v_cmp_eq_u32_e32 vcc, 1, v23
	v_mov_b32_e32 v39, v41
	v_or_b32_e32 v25, 0x1a00, v0
	v_cndmask_b32_e32 v2, v3, v2, vcc
	v_lshlrev_b32_e32 v2, 2, v2
	ds_write_b32 v2, v1
	v_lshl_add_u64 v[2:3], v[8:9], 0, v[38:39]
	s_waitcnt lgkmcnt(0)
	s_barrier
	ds_read2st64_b32 v[20:21], v22 offset1:8
	ds_read2st64_b32 v[18:19], v22 offset0:16 offset1:24
	ds_read2st64_b32 v[16:17], v22 offset0:32 offset1:40
	;; [unrolled: 1-line block ×6, first 2 shown]
	ds_read_b32 v1, v22 offset:28672
	v_sub_co_u32_e32 v6, vcc, s26, v2
	v_lshlrev_b64 v[8:9], 2, v[8:9]
	s_nop 0
	v_subb_co_u32_e32 v7, vcc, v7, v3, vcc
	v_lshlrev_b64 v[6:7], 2, v[6:7]
	v_lshl_add_u64 v[6:7], s[2:3], 0, v[6:7]
	v_or_b32_e32 v24, 0x1c00, v0
	v_lshl_add_u64 v[6:7], v[6:7], 0, s[30:31]
	s_andn2_b64 vcc, exec, s[24:25]
	v_lshl_add_u64 v[8:9], s[0:1], 0, v[8:9]
	s_cbranch_vccnz .LBB418_107
; %bb.106:
	v_cmp_gt_u32_e32 vcc, v38, v0
	v_mov_b32_e32 v23, v41
	v_lshlrev_b32_e32 v40, 2, v36
	v_cndmask_b32_e32 v43, v7, v9, vcc
	v_cndmask_b32_e32 v42, v6, v8, vcc
	v_lshl_add_u64 v[42:43], v[42:43], 0, v[22:23]
	v_cmp_lt_u32_e32 vcc, v37, v38
	s_waitcnt lgkmcnt(7)
	global_store_dword v[42:43], v20, off
	v_cndmask_b32_e32 v43, v7, v9, vcc
	v_cndmask_b32_e32 v42, v6, v8, vcc
	v_lshl_add_u64 v[42:43], v[42:43], 0, v[22:23]
	v_cmp_lt_u32_e32 vcc, v36, v38
	global_store_dword v[42:43], v21, off offset:2048
	s_mov_b64 s[0:1], -1
	v_cndmask_b32_e32 v43, v7, v9, vcc
	v_cndmask_b32_e32 v42, v6, v8, vcc
	v_lshl_add_u64 v[42:43], v[42:43], 0, v[40:41]
	v_cmp_lt_u32_e32 vcc, v35, v38
	s_waitcnt lgkmcnt(6)
	global_store_dword v[42:43], v18, off
	v_lshlrev_b32_e32 v40, 2, v35
	v_cndmask_b32_e32 v43, v7, v9, vcc
	v_cndmask_b32_e32 v42, v6, v8, vcc
	v_lshl_add_u64 v[42:43], v[42:43], 0, v[40:41]
	v_cmp_lt_u32_e32 vcc, v34, v38
	global_store_dword v[42:43], v19, off
	v_lshlrev_b32_e32 v40, 2, v34
	v_cndmask_b32_e32 v43, v7, v9, vcc
	v_cndmask_b32_e32 v42, v6, v8, vcc
	v_lshl_add_u64 v[42:43], v[42:43], 0, v[40:41]
	v_cmp_lt_u32_e32 vcc, v33, v38
	s_waitcnt lgkmcnt(5)
	global_store_dword v[42:43], v16, off
	v_lshlrev_b32_e32 v40, 2, v33
	v_cndmask_b32_e32 v43, v7, v9, vcc
	v_cndmask_b32_e32 v42, v6, v8, vcc
	v_lshl_add_u64 v[42:43], v[42:43], 0, v[40:41]
	v_cmp_lt_u32_e32 vcc, v32, v38
	global_store_dword v[42:43], v17, off
	v_lshlrev_b32_e32 v40, 2, v32
	;; [unrolled: 13-line block ×5, first 2 shown]
	v_cndmask_b32_e32 v43, v7, v9, vcc
	v_cndmask_b32_e32 v42, v6, v8, vcc
	v_lshl_add_u64 v[42:43], v[42:43], 0, v[40:41]
	v_cmp_lt_u32_e32 vcc, v25, v38
	s_waitcnt lgkmcnt(1)
	global_store_dword v[42:43], v4, off
	v_lshlrev_b32_e32 v40, 2, v25
	v_cndmask_b32_e32 v43, v7, v9, vcc
	v_cndmask_b32_e32 v42, v6, v8, vcc
	v_lshl_add_u64 v[40:41], v[42:43], 0, v[40:41]
	global_store_dword v[40:41], v5, off
	s_cbranch_execz .LBB418_108
	s_branch .LBB418_124
.LBB418_107:
	s_mov_b64 s[0:1], 0
.LBB418_108:
	v_cmp_gt_u32_e32 vcc, s33, v0
	s_and_saveexec_b64 s[0:1], vcc
	s_cbranch_execnz .LBB418_129
; %bb.109:
	s_or_b64 exec, exec, s[0:1]
	v_cmp_gt_u32_e32 vcc, s33, v37
	s_and_saveexec_b64 s[0:1], vcc
	s_cbranch_execnz .LBB418_130
.LBB418_110:
	s_or_b64 exec, exec, s[0:1]
	v_cmp_gt_u32_e32 vcc, s33, v36
	s_and_saveexec_b64 s[0:1], vcc
	s_cbranch_execnz .LBB418_131
.LBB418_111:
	s_or_b64 exec, exec, s[0:1]
	v_cmp_gt_u32_e32 vcc, s33, v35
	s_and_saveexec_b64 s[0:1], vcc
	s_cbranch_execnz .LBB418_132
.LBB418_112:
	s_or_b64 exec, exec, s[0:1]
	v_cmp_gt_u32_e32 vcc, s33, v34
	s_and_saveexec_b64 s[0:1], vcc
	s_cbranch_execnz .LBB418_133
.LBB418_113:
	s_or_b64 exec, exec, s[0:1]
	v_cmp_gt_u32_e32 vcc, s33, v33
	s_and_saveexec_b64 s[0:1], vcc
	s_cbranch_execnz .LBB418_134
.LBB418_114:
	s_or_b64 exec, exec, s[0:1]
	v_cmp_gt_u32_e32 vcc, s33, v32
	s_and_saveexec_b64 s[0:1], vcc
	s_cbranch_execnz .LBB418_135
.LBB418_115:
	s_or_b64 exec, exec, s[0:1]
	v_cmp_gt_u32_e32 vcc, s33, v31
	s_and_saveexec_b64 s[0:1], vcc
	s_cbranch_execnz .LBB418_136
.LBB418_116:
	s_or_b64 exec, exec, s[0:1]
	v_cmp_gt_u32_e32 vcc, s33, v30
	s_and_saveexec_b64 s[0:1], vcc
	s_cbranch_execnz .LBB418_137
.LBB418_117:
	s_or_b64 exec, exec, s[0:1]
	v_cmp_gt_u32_e32 vcc, s33, v29
	s_and_saveexec_b64 s[0:1], vcc
	s_cbranch_execnz .LBB418_138
.LBB418_118:
	s_or_b64 exec, exec, s[0:1]
	v_cmp_gt_u32_e32 vcc, s33, v28
	s_and_saveexec_b64 s[0:1], vcc
	s_cbranch_execnz .LBB418_139
.LBB418_119:
	s_or_b64 exec, exec, s[0:1]
	v_cmp_gt_u32_e32 vcc, s33, v27
	s_and_saveexec_b64 s[0:1], vcc
	s_cbranch_execnz .LBB418_140
.LBB418_120:
	s_or_b64 exec, exec, s[0:1]
	v_cmp_gt_u32_e32 vcc, s33, v26
	s_and_saveexec_b64 s[0:1], vcc
	s_cbranch_execnz .LBB418_141
.LBB418_121:
	s_or_b64 exec, exec, s[0:1]
	v_cmp_gt_u32_e32 vcc, s33, v25
	s_and_saveexec_b64 s[0:1], vcc
	s_cbranch_execz .LBB418_123
.LBB418_122:
	v_cmp_lt_u32_e32 vcc, v25, v38
	s_waitcnt lgkmcnt(3)
	v_lshlrev_b32_e32 v12, 2, v25
	v_mov_b32_e32 v13, 0
	s_waitcnt lgkmcnt(2)
	v_cndmask_b32_e32 v11, v7, v9, vcc
	v_cndmask_b32_e32 v10, v6, v8, vcc
	v_lshl_add_u64 v[10:11], v[10:11], 0, v[12:13]
	s_waitcnt lgkmcnt(1)
	global_store_dword v[10:11], v5, off
.LBB418_123:
	s_or_b64 exec, exec, s[0:1]
	v_cmp_gt_u32_e64 s[0:1], s33, v24
.LBB418_124:
	s_and_saveexec_b64 s[2:3], s[0:1]
	s_cbranch_execz .LBB418_126
; %bb.125:
	v_cmp_lt_u32_e32 vcc, v24, v38
	s_waitcnt lgkmcnt(1)
	s_nop 0
	v_cndmask_b32_e32 v5, v7, v9, vcc
	v_cndmask_b32_e32 v4, v6, v8, vcc
	v_lshlrev_b32_e32 v6, 2, v24
	v_mov_b32_e32 v7, 0
	v_lshl_add_u64 v[4:5], v[4:5], 0, v[6:7]
	s_waitcnt lgkmcnt(0)
	global_store_dword v[4:5], v1, off
.LBB418_126:
	s_or_b64 exec, exec, s[2:3]
	v_cmp_eq_u32_e32 vcc, 0, v0
	s_and_b64 s[0:1], vcc, s[22:23]
	s_and_saveexec_b64 s[2:3], s[0:1]
	s_cbranch_execz .LBB418_128
; %bb.127:
	v_mov_b32_e32 v0, 0
	global_store_dwordx2 v0, v[2:3], s[20:21]
.LBB418_128:
	s_endpgm
.LBB418_129:
	v_cmp_gt_u32_e32 vcc, v38, v0
	v_mov_b32_e32 v23, 0
	s_nop 0
	v_cndmask_b32_e32 v41, v7, v9, vcc
	v_cndmask_b32_e32 v40, v6, v8, vcc
	v_lshl_add_u64 v[40:41], v[40:41], 0, v[22:23]
	s_waitcnt lgkmcnt(7)
	global_store_dword v[40:41], v20, off
	s_or_b64 exec, exec, s[0:1]
	v_cmp_gt_u32_e32 vcc, s33, v37
	s_and_saveexec_b64 s[0:1], vcc
	s_cbranch_execz .LBB418_110
.LBB418_130:
	v_cmp_lt_u32_e32 vcc, v37, v38
	v_mov_b32_e32 v23, 0
	s_nop 0
	v_cndmask_b32_e32 v41, v7, v9, vcc
	v_cndmask_b32_e32 v40, v6, v8, vcc
	v_lshl_add_u64 v[22:23], v[40:41], 0, v[22:23]
	s_waitcnt lgkmcnt(7)
	global_store_dword v[22:23], v21, off offset:2048
	s_or_b64 exec, exec, s[0:1]
	v_cmp_gt_u32_e32 vcc, s33, v36
	s_and_saveexec_b64 s[0:1], vcc
	s_cbranch_execz .LBB418_111
.LBB418_131:
	v_cmp_lt_u32_e32 vcc, v36, v38
	v_lshlrev_b32_e32 v22, 2, v36
	v_mov_b32_e32 v23, 0
	s_waitcnt lgkmcnt(7)
	v_cndmask_b32_e32 v21, v7, v9, vcc
	v_cndmask_b32_e32 v20, v6, v8, vcc
	v_lshl_add_u64 v[20:21], v[20:21], 0, v[22:23]
	s_waitcnt lgkmcnt(6)
	global_store_dword v[20:21], v18, off
	s_or_b64 exec, exec, s[0:1]
	v_cmp_gt_u32_e32 vcc, s33, v35
	s_and_saveexec_b64 s[0:1], vcc
	s_cbranch_execz .LBB418_112
.LBB418_132:
	v_cmp_lt_u32_e32 vcc, v35, v38
	v_lshlrev_b32_e32 v22, 2, v35
	v_mov_b32_e32 v23, 0
	s_waitcnt lgkmcnt(7)
	v_cndmask_b32_e32 v21, v7, v9, vcc
	v_cndmask_b32_e32 v20, v6, v8, vcc
	v_lshl_add_u64 v[20:21], v[20:21], 0, v[22:23]
	s_waitcnt lgkmcnt(6)
	global_store_dword v[20:21], v19, off
	s_or_b64 exec, exec, s[0:1]
	v_cmp_gt_u32_e32 vcc, s33, v34
	s_and_saveexec_b64 s[0:1], vcc
	s_cbranch_execz .LBB418_113
.LBB418_133:
	v_cmp_lt_u32_e32 vcc, v34, v38
	s_waitcnt lgkmcnt(7)
	v_lshlrev_b32_e32 v20, 2, v34
	v_mov_b32_e32 v21, 0
	s_waitcnt lgkmcnt(6)
	v_cndmask_b32_e32 v19, v7, v9, vcc
	v_cndmask_b32_e32 v18, v6, v8, vcc
	v_lshl_add_u64 v[18:19], v[18:19], 0, v[20:21]
	s_waitcnt lgkmcnt(5)
	global_store_dword v[18:19], v16, off
	s_or_b64 exec, exec, s[0:1]
	v_cmp_gt_u32_e32 vcc, s33, v33
	s_and_saveexec_b64 s[0:1], vcc
	s_cbranch_execz .LBB418_114
.LBB418_134:
	v_cmp_lt_u32_e32 vcc, v33, v38
	s_waitcnt lgkmcnt(7)
	v_lshlrev_b32_e32 v20, 2, v33
	v_mov_b32_e32 v21, 0
	s_waitcnt lgkmcnt(6)
	v_cndmask_b32_e32 v19, v7, v9, vcc
	v_cndmask_b32_e32 v18, v6, v8, vcc
	v_lshl_add_u64 v[18:19], v[18:19], 0, v[20:21]
	s_waitcnt lgkmcnt(5)
	global_store_dword v[18:19], v17, off
	s_or_b64 exec, exec, s[0:1]
	v_cmp_gt_u32_e32 vcc, s33, v32
	s_and_saveexec_b64 s[0:1], vcc
	s_cbranch_execz .LBB418_115
.LBB418_135:
	v_cmp_lt_u32_e32 vcc, v32, v38
	s_waitcnt lgkmcnt(6)
	v_lshlrev_b32_e32 v18, 2, v32
	v_mov_b32_e32 v19, 0
	s_waitcnt lgkmcnt(5)
	v_cndmask_b32_e32 v17, v7, v9, vcc
	v_cndmask_b32_e32 v16, v6, v8, vcc
	v_lshl_add_u64 v[16:17], v[16:17], 0, v[18:19]
	s_waitcnt lgkmcnt(4)
	global_store_dword v[16:17], v14, off
	s_or_b64 exec, exec, s[0:1]
	v_cmp_gt_u32_e32 vcc, s33, v31
	s_and_saveexec_b64 s[0:1], vcc
	s_cbranch_execz .LBB418_116
.LBB418_136:
	v_cmp_lt_u32_e32 vcc, v31, v38
	s_waitcnt lgkmcnt(6)
	v_lshlrev_b32_e32 v18, 2, v31
	v_mov_b32_e32 v19, 0
	s_waitcnt lgkmcnt(5)
	v_cndmask_b32_e32 v17, v7, v9, vcc
	v_cndmask_b32_e32 v16, v6, v8, vcc
	v_lshl_add_u64 v[16:17], v[16:17], 0, v[18:19]
	s_waitcnt lgkmcnt(4)
	global_store_dword v[16:17], v15, off
	s_or_b64 exec, exec, s[0:1]
	v_cmp_gt_u32_e32 vcc, s33, v30
	s_and_saveexec_b64 s[0:1], vcc
	s_cbranch_execz .LBB418_117
.LBB418_137:
	v_cmp_lt_u32_e32 vcc, v30, v38
	s_waitcnt lgkmcnt(5)
	v_lshlrev_b32_e32 v16, 2, v30
	v_mov_b32_e32 v17, 0
	s_waitcnt lgkmcnt(4)
	v_cndmask_b32_e32 v15, v7, v9, vcc
	v_cndmask_b32_e32 v14, v6, v8, vcc
	v_lshl_add_u64 v[14:15], v[14:15], 0, v[16:17]
	s_waitcnt lgkmcnt(3)
	global_store_dword v[14:15], v12, off
	s_or_b64 exec, exec, s[0:1]
	v_cmp_gt_u32_e32 vcc, s33, v29
	s_and_saveexec_b64 s[0:1], vcc
	s_cbranch_execz .LBB418_118
.LBB418_138:
	v_cmp_lt_u32_e32 vcc, v29, v38
	s_waitcnt lgkmcnt(5)
	v_lshlrev_b32_e32 v16, 2, v29
	v_mov_b32_e32 v17, 0
	s_waitcnt lgkmcnt(4)
	v_cndmask_b32_e32 v15, v7, v9, vcc
	v_cndmask_b32_e32 v14, v6, v8, vcc
	v_lshl_add_u64 v[14:15], v[14:15], 0, v[16:17]
	s_waitcnt lgkmcnt(3)
	global_store_dword v[14:15], v13, off
	s_or_b64 exec, exec, s[0:1]
	v_cmp_gt_u32_e32 vcc, s33, v28
	s_and_saveexec_b64 s[0:1], vcc
	s_cbranch_execz .LBB418_119
.LBB418_139:
	v_cmp_lt_u32_e32 vcc, v28, v38
	s_waitcnt lgkmcnt(4)
	v_lshlrev_b32_e32 v14, 2, v28
	v_mov_b32_e32 v15, 0
	s_waitcnt lgkmcnt(3)
	v_cndmask_b32_e32 v13, v7, v9, vcc
	v_cndmask_b32_e32 v12, v6, v8, vcc
	v_lshl_add_u64 v[12:13], v[12:13], 0, v[14:15]
	s_waitcnt lgkmcnt(2)
	global_store_dword v[12:13], v10, off
	s_or_b64 exec, exec, s[0:1]
	v_cmp_gt_u32_e32 vcc, s33, v27
	s_and_saveexec_b64 s[0:1], vcc
	s_cbranch_execz .LBB418_120
.LBB418_140:
	v_cmp_lt_u32_e32 vcc, v27, v38
	s_waitcnt lgkmcnt(4)
	v_lshlrev_b32_e32 v14, 2, v27
	v_mov_b32_e32 v15, 0
	s_waitcnt lgkmcnt(3)
	v_cndmask_b32_e32 v13, v7, v9, vcc
	v_cndmask_b32_e32 v12, v6, v8, vcc
	v_lshl_add_u64 v[12:13], v[12:13], 0, v[14:15]
	s_waitcnt lgkmcnt(2)
	global_store_dword v[12:13], v11, off
	s_or_b64 exec, exec, s[0:1]
	v_cmp_gt_u32_e32 vcc, s33, v26
	s_and_saveexec_b64 s[0:1], vcc
	s_cbranch_execz .LBB418_121
.LBB418_141:
	v_cmp_lt_u32_e32 vcc, v26, v38
	s_waitcnt lgkmcnt(3)
	v_lshlrev_b32_e32 v12, 2, v26
	v_mov_b32_e32 v13, 0
	s_waitcnt lgkmcnt(2)
	v_cndmask_b32_e32 v11, v7, v9, vcc
	v_cndmask_b32_e32 v10, v6, v8, vcc
	v_lshl_add_u64 v[10:11], v[10:11], 0, v[12:13]
	s_waitcnt lgkmcnt(1)
	global_store_dword v[10:11], v4, off
	s_or_b64 exec, exec, s[0:1]
	v_cmp_gt_u32_e32 vcc, s33, v25
	s_and_saveexec_b64 s[0:1], vcc
	s_cbranch_execnz .LBB418_122
	s_branch .LBB418_123
	.section	.rodata,"a",@progbits
	.p2align	6, 0x0
	.amdhsa_kernel _ZN7rocprim17ROCPRIM_400000_NS6detail17trampoline_kernelINS0_14default_configENS1_25partition_config_selectorILNS1_17partition_subalgoE1EiNS0_10empty_typeEbEEZZNS1_14partition_implILS5_1ELb0ES3_jN6thrust23THRUST_200600_302600_NS6detail15normal_iteratorINSA_10device_ptrIiEEEEPS6_NSA_18transform_iteratorI7is_evenIiESF_NSA_11use_defaultESK_EENS0_5tupleIJSF_SF_EEENSM_IJSG_SG_EEES6_PlJS6_EEE10hipError_tPvRmT3_T4_T5_T6_T7_T9_mT8_P12ihipStream_tbDpT10_ENKUlT_T0_E_clISt17integral_constantIbLb0EES19_EEDaS14_S15_EUlS14_E_NS1_11comp_targetILNS1_3genE5ELNS1_11target_archE942ELNS1_3gpuE9ELNS1_3repE0EEENS1_30default_config_static_selectorELNS0_4arch9wavefront6targetE1EEEvT1_
		.amdhsa_group_segment_fixed_size 30728
		.amdhsa_private_segment_fixed_size 0
		.amdhsa_kernarg_size 128
		.amdhsa_user_sgpr_count 2
		.amdhsa_user_sgpr_dispatch_ptr 0
		.amdhsa_user_sgpr_queue_ptr 0
		.amdhsa_user_sgpr_kernarg_segment_ptr 1
		.amdhsa_user_sgpr_dispatch_id 0
		.amdhsa_user_sgpr_kernarg_preload_length 0
		.amdhsa_user_sgpr_kernarg_preload_offset 0
		.amdhsa_user_sgpr_private_segment_size 0
		.amdhsa_uses_dynamic_stack 0
		.amdhsa_enable_private_segment 0
		.amdhsa_system_sgpr_workgroup_id_x 1
		.amdhsa_system_sgpr_workgroup_id_y 0
		.amdhsa_system_sgpr_workgroup_id_z 0
		.amdhsa_system_sgpr_workgroup_info 0
		.amdhsa_system_vgpr_workitem_id 0
		.amdhsa_next_free_vgpr 65
		.amdhsa_next_free_sgpr 44
		.amdhsa_accum_offset 68
		.amdhsa_reserve_vcc 1
		.amdhsa_float_round_mode_32 0
		.amdhsa_float_round_mode_16_64 0
		.amdhsa_float_denorm_mode_32 3
		.amdhsa_float_denorm_mode_16_64 3
		.amdhsa_dx10_clamp 1
		.amdhsa_ieee_mode 1
		.amdhsa_fp16_overflow 0
		.amdhsa_tg_split 0
		.amdhsa_exception_fp_ieee_invalid_op 0
		.amdhsa_exception_fp_denorm_src 0
		.amdhsa_exception_fp_ieee_div_zero 0
		.amdhsa_exception_fp_ieee_overflow 0
		.amdhsa_exception_fp_ieee_underflow 0
		.amdhsa_exception_fp_ieee_inexact 0
		.amdhsa_exception_int_div_zero 0
	.end_amdhsa_kernel
	.section	.text._ZN7rocprim17ROCPRIM_400000_NS6detail17trampoline_kernelINS0_14default_configENS1_25partition_config_selectorILNS1_17partition_subalgoE1EiNS0_10empty_typeEbEEZZNS1_14partition_implILS5_1ELb0ES3_jN6thrust23THRUST_200600_302600_NS6detail15normal_iteratorINSA_10device_ptrIiEEEEPS6_NSA_18transform_iteratorI7is_evenIiESF_NSA_11use_defaultESK_EENS0_5tupleIJSF_SF_EEENSM_IJSG_SG_EEES6_PlJS6_EEE10hipError_tPvRmT3_T4_T5_T6_T7_T9_mT8_P12ihipStream_tbDpT10_ENKUlT_T0_E_clISt17integral_constantIbLb0EES19_EEDaS14_S15_EUlS14_E_NS1_11comp_targetILNS1_3genE5ELNS1_11target_archE942ELNS1_3gpuE9ELNS1_3repE0EEENS1_30default_config_static_selectorELNS0_4arch9wavefront6targetE1EEEvT1_,"axG",@progbits,_ZN7rocprim17ROCPRIM_400000_NS6detail17trampoline_kernelINS0_14default_configENS1_25partition_config_selectorILNS1_17partition_subalgoE1EiNS0_10empty_typeEbEEZZNS1_14partition_implILS5_1ELb0ES3_jN6thrust23THRUST_200600_302600_NS6detail15normal_iteratorINSA_10device_ptrIiEEEEPS6_NSA_18transform_iteratorI7is_evenIiESF_NSA_11use_defaultESK_EENS0_5tupleIJSF_SF_EEENSM_IJSG_SG_EEES6_PlJS6_EEE10hipError_tPvRmT3_T4_T5_T6_T7_T9_mT8_P12ihipStream_tbDpT10_ENKUlT_T0_E_clISt17integral_constantIbLb0EES19_EEDaS14_S15_EUlS14_E_NS1_11comp_targetILNS1_3genE5ELNS1_11target_archE942ELNS1_3gpuE9ELNS1_3repE0EEENS1_30default_config_static_selectorELNS0_4arch9wavefront6targetE1EEEvT1_,comdat
.Lfunc_end418:
	.size	_ZN7rocprim17ROCPRIM_400000_NS6detail17trampoline_kernelINS0_14default_configENS1_25partition_config_selectorILNS1_17partition_subalgoE1EiNS0_10empty_typeEbEEZZNS1_14partition_implILS5_1ELb0ES3_jN6thrust23THRUST_200600_302600_NS6detail15normal_iteratorINSA_10device_ptrIiEEEEPS6_NSA_18transform_iteratorI7is_evenIiESF_NSA_11use_defaultESK_EENS0_5tupleIJSF_SF_EEENSM_IJSG_SG_EEES6_PlJS6_EEE10hipError_tPvRmT3_T4_T5_T6_T7_T9_mT8_P12ihipStream_tbDpT10_ENKUlT_T0_E_clISt17integral_constantIbLb0EES19_EEDaS14_S15_EUlS14_E_NS1_11comp_targetILNS1_3genE5ELNS1_11target_archE942ELNS1_3gpuE9ELNS1_3repE0EEENS1_30default_config_static_selectorELNS0_4arch9wavefront6targetE1EEEvT1_, .Lfunc_end418-_ZN7rocprim17ROCPRIM_400000_NS6detail17trampoline_kernelINS0_14default_configENS1_25partition_config_selectorILNS1_17partition_subalgoE1EiNS0_10empty_typeEbEEZZNS1_14partition_implILS5_1ELb0ES3_jN6thrust23THRUST_200600_302600_NS6detail15normal_iteratorINSA_10device_ptrIiEEEEPS6_NSA_18transform_iteratorI7is_evenIiESF_NSA_11use_defaultESK_EENS0_5tupleIJSF_SF_EEENSM_IJSG_SG_EEES6_PlJS6_EEE10hipError_tPvRmT3_T4_T5_T6_T7_T9_mT8_P12ihipStream_tbDpT10_ENKUlT_T0_E_clISt17integral_constantIbLb0EES19_EEDaS14_S15_EUlS14_E_NS1_11comp_targetILNS1_3genE5ELNS1_11target_archE942ELNS1_3gpuE9ELNS1_3repE0EEENS1_30default_config_static_selectorELNS0_4arch9wavefront6targetE1EEEvT1_
                                        ; -- End function
	.section	.AMDGPU.csdata,"",@progbits
; Kernel info:
; codeLenInByte = 7636
; NumSgprs: 50
; NumVgprs: 65
; NumAgprs: 0
; TotalNumVgprs: 65
; ScratchSize: 0
; MemoryBound: 0
; FloatMode: 240
; IeeeMode: 1
; LDSByteSize: 30728 bytes/workgroup (compile time only)
; SGPRBlocks: 6
; VGPRBlocks: 8
; NumSGPRsForWavesPerEU: 50
; NumVGPRsForWavesPerEU: 65
; AccumOffset: 68
; Occupancy: 4
; WaveLimiterHint : 1
; COMPUTE_PGM_RSRC2:SCRATCH_EN: 0
; COMPUTE_PGM_RSRC2:USER_SGPR: 2
; COMPUTE_PGM_RSRC2:TRAP_HANDLER: 0
; COMPUTE_PGM_RSRC2:TGID_X_EN: 1
; COMPUTE_PGM_RSRC2:TGID_Y_EN: 0
; COMPUTE_PGM_RSRC2:TGID_Z_EN: 0
; COMPUTE_PGM_RSRC2:TIDIG_COMP_CNT: 0
; COMPUTE_PGM_RSRC3_GFX90A:ACCUM_OFFSET: 16
; COMPUTE_PGM_RSRC3_GFX90A:TG_SPLIT: 0
	.section	.text._ZN7rocprim17ROCPRIM_400000_NS6detail17trampoline_kernelINS0_14default_configENS1_25partition_config_selectorILNS1_17partition_subalgoE1EiNS0_10empty_typeEbEEZZNS1_14partition_implILS5_1ELb0ES3_jN6thrust23THRUST_200600_302600_NS6detail15normal_iteratorINSA_10device_ptrIiEEEEPS6_NSA_18transform_iteratorI7is_evenIiESF_NSA_11use_defaultESK_EENS0_5tupleIJSF_SF_EEENSM_IJSG_SG_EEES6_PlJS6_EEE10hipError_tPvRmT3_T4_T5_T6_T7_T9_mT8_P12ihipStream_tbDpT10_ENKUlT_T0_E_clISt17integral_constantIbLb0EES19_EEDaS14_S15_EUlS14_E_NS1_11comp_targetILNS1_3genE4ELNS1_11target_archE910ELNS1_3gpuE8ELNS1_3repE0EEENS1_30default_config_static_selectorELNS0_4arch9wavefront6targetE1EEEvT1_,"axG",@progbits,_ZN7rocprim17ROCPRIM_400000_NS6detail17trampoline_kernelINS0_14default_configENS1_25partition_config_selectorILNS1_17partition_subalgoE1EiNS0_10empty_typeEbEEZZNS1_14partition_implILS5_1ELb0ES3_jN6thrust23THRUST_200600_302600_NS6detail15normal_iteratorINSA_10device_ptrIiEEEEPS6_NSA_18transform_iteratorI7is_evenIiESF_NSA_11use_defaultESK_EENS0_5tupleIJSF_SF_EEENSM_IJSG_SG_EEES6_PlJS6_EEE10hipError_tPvRmT3_T4_T5_T6_T7_T9_mT8_P12ihipStream_tbDpT10_ENKUlT_T0_E_clISt17integral_constantIbLb0EES19_EEDaS14_S15_EUlS14_E_NS1_11comp_targetILNS1_3genE4ELNS1_11target_archE910ELNS1_3gpuE8ELNS1_3repE0EEENS1_30default_config_static_selectorELNS0_4arch9wavefront6targetE1EEEvT1_,comdat
	.protected	_ZN7rocprim17ROCPRIM_400000_NS6detail17trampoline_kernelINS0_14default_configENS1_25partition_config_selectorILNS1_17partition_subalgoE1EiNS0_10empty_typeEbEEZZNS1_14partition_implILS5_1ELb0ES3_jN6thrust23THRUST_200600_302600_NS6detail15normal_iteratorINSA_10device_ptrIiEEEEPS6_NSA_18transform_iteratorI7is_evenIiESF_NSA_11use_defaultESK_EENS0_5tupleIJSF_SF_EEENSM_IJSG_SG_EEES6_PlJS6_EEE10hipError_tPvRmT3_T4_T5_T6_T7_T9_mT8_P12ihipStream_tbDpT10_ENKUlT_T0_E_clISt17integral_constantIbLb0EES19_EEDaS14_S15_EUlS14_E_NS1_11comp_targetILNS1_3genE4ELNS1_11target_archE910ELNS1_3gpuE8ELNS1_3repE0EEENS1_30default_config_static_selectorELNS0_4arch9wavefront6targetE1EEEvT1_ ; -- Begin function _ZN7rocprim17ROCPRIM_400000_NS6detail17trampoline_kernelINS0_14default_configENS1_25partition_config_selectorILNS1_17partition_subalgoE1EiNS0_10empty_typeEbEEZZNS1_14partition_implILS5_1ELb0ES3_jN6thrust23THRUST_200600_302600_NS6detail15normal_iteratorINSA_10device_ptrIiEEEEPS6_NSA_18transform_iteratorI7is_evenIiESF_NSA_11use_defaultESK_EENS0_5tupleIJSF_SF_EEENSM_IJSG_SG_EEES6_PlJS6_EEE10hipError_tPvRmT3_T4_T5_T6_T7_T9_mT8_P12ihipStream_tbDpT10_ENKUlT_T0_E_clISt17integral_constantIbLb0EES19_EEDaS14_S15_EUlS14_E_NS1_11comp_targetILNS1_3genE4ELNS1_11target_archE910ELNS1_3gpuE8ELNS1_3repE0EEENS1_30default_config_static_selectorELNS0_4arch9wavefront6targetE1EEEvT1_
	.globl	_ZN7rocprim17ROCPRIM_400000_NS6detail17trampoline_kernelINS0_14default_configENS1_25partition_config_selectorILNS1_17partition_subalgoE1EiNS0_10empty_typeEbEEZZNS1_14partition_implILS5_1ELb0ES3_jN6thrust23THRUST_200600_302600_NS6detail15normal_iteratorINSA_10device_ptrIiEEEEPS6_NSA_18transform_iteratorI7is_evenIiESF_NSA_11use_defaultESK_EENS0_5tupleIJSF_SF_EEENSM_IJSG_SG_EEES6_PlJS6_EEE10hipError_tPvRmT3_T4_T5_T6_T7_T9_mT8_P12ihipStream_tbDpT10_ENKUlT_T0_E_clISt17integral_constantIbLb0EES19_EEDaS14_S15_EUlS14_E_NS1_11comp_targetILNS1_3genE4ELNS1_11target_archE910ELNS1_3gpuE8ELNS1_3repE0EEENS1_30default_config_static_selectorELNS0_4arch9wavefront6targetE1EEEvT1_
	.p2align	8
	.type	_ZN7rocprim17ROCPRIM_400000_NS6detail17trampoline_kernelINS0_14default_configENS1_25partition_config_selectorILNS1_17partition_subalgoE1EiNS0_10empty_typeEbEEZZNS1_14partition_implILS5_1ELb0ES3_jN6thrust23THRUST_200600_302600_NS6detail15normal_iteratorINSA_10device_ptrIiEEEEPS6_NSA_18transform_iteratorI7is_evenIiESF_NSA_11use_defaultESK_EENS0_5tupleIJSF_SF_EEENSM_IJSG_SG_EEES6_PlJS6_EEE10hipError_tPvRmT3_T4_T5_T6_T7_T9_mT8_P12ihipStream_tbDpT10_ENKUlT_T0_E_clISt17integral_constantIbLb0EES19_EEDaS14_S15_EUlS14_E_NS1_11comp_targetILNS1_3genE4ELNS1_11target_archE910ELNS1_3gpuE8ELNS1_3repE0EEENS1_30default_config_static_selectorELNS0_4arch9wavefront6targetE1EEEvT1_,@function
_ZN7rocprim17ROCPRIM_400000_NS6detail17trampoline_kernelINS0_14default_configENS1_25partition_config_selectorILNS1_17partition_subalgoE1EiNS0_10empty_typeEbEEZZNS1_14partition_implILS5_1ELb0ES3_jN6thrust23THRUST_200600_302600_NS6detail15normal_iteratorINSA_10device_ptrIiEEEEPS6_NSA_18transform_iteratorI7is_evenIiESF_NSA_11use_defaultESK_EENS0_5tupleIJSF_SF_EEENSM_IJSG_SG_EEES6_PlJS6_EEE10hipError_tPvRmT3_T4_T5_T6_T7_T9_mT8_P12ihipStream_tbDpT10_ENKUlT_T0_E_clISt17integral_constantIbLb0EES19_EEDaS14_S15_EUlS14_E_NS1_11comp_targetILNS1_3genE4ELNS1_11target_archE910ELNS1_3gpuE8ELNS1_3repE0EEENS1_30default_config_static_selectorELNS0_4arch9wavefront6targetE1EEEvT1_: ; @_ZN7rocprim17ROCPRIM_400000_NS6detail17trampoline_kernelINS0_14default_configENS1_25partition_config_selectorILNS1_17partition_subalgoE1EiNS0_10empty_typeEbEEZZNS1_14partition_implILS5_1ELb0ES3_jN6thrust23THRUST_200600_302600_NS6detail15normal_iteratorINSA_10device_ptrIiEEEEPS6_NSA_18transform_iteratorI7is_evenIiESF_NSA_11use_defaultESK_EENS0_5tupleIJSF_SF_EEENSM_IJSG_SG_EEES6_PlJS6_EEE10hipError_tPvRmT3_T4_T5_T6_T7_T9_mT8_P12ihipStream_tbDpT10_ENKUlT_T0_E_clISt17integral_constantIbLb0EES19_EEDaS14_S15_EUlS14_E_NS1_11comp_targetILNS1_3genE4ELNS1_11target_archE910ELNS1_3gpuE8ELNS1_3repE0EEENS1_30default_config_static_selectorELNS0_4arch9wavefront6targetE1EEEvT1_
; %bb.0:
	.section	.rodata,"a",@progbits
	.p2align	6, 0x0
	.amdhsa_kernel _ZN7rocprim17ROCPRIM_400000_NS6detail17trampoline_kernelINS0_14default_configENS1_25partition_config_selectorILNS1_17partition_subalgoE1EiNS0_10empty_typeEbEEZZNS1_14partition_implILS5_1ELb0ES3_jN6thrust23THRUST_200600_302600_NS6detail15normal_iteratorINSA_10device_ptrIiEEEEPS6_NSA_18transform_iteratorI7is_evenIiESF_NSA_11use_defaultESK_EENS0_5tupleIJSF_SF_EEENSM_IJSG_SG_EEES6_PlJS6_EEE10hipError_tPvRmT3_T4_T5_T6_T7_T9_mT8_P12ihipStream_tbDpT10_ENKUlT_T0_E_clISt17integral_constantIbLb0EES19_EEDaS14_S15_EUlS14_E_NS1_11comp_targetILNS1_3genE4ELNS1_11target_archE910ELNS1_3gpuE8ELNS1_3repE0EEENS1_30default_config_static_selectorELNS0_4arch9wavefront6targetE1EEEvT1_
		.amdhsa_group_segment_fixed_size 0
		.amdhsa_private_segment_fixed_size 0
		.amdhsa_kernarg_size 128
		.amdhsa_user_sgpr_count 2
		.amdhsa_user_sgpr_dispatch_ptr 0
		.amdhsa_user_sgpr_queue_ptr 0
		.amdhsa_user_sgpr_kernarg_segment_ptr 1
		.amdhsa_user_sgpr_dispatch_id 0
		.amdhsa_user_sgpr_kernarg_preload_length 0
		.amdhsa_user_sgpr_kernarg_preload_offset 0
		.amdhsa_user_sgpr_private_segment_size 0
		.amdhsa_uses_dynamic_stack 0
		.amdhsa_enable_private_segment 0
		.amdhsa_system_sgpr_workgroup_id_x 1
		.amdhsa_system_sgpr_workgroup_id_y 0
		.amdhsa_system_sgpr_workgroup_id_z 0
		.amdhsa_system_sgpr_workgroup_info 0
		.amdhsa_system_vgpr_workitem_id 0
		.amdhsa_next_free_vgpr 1
		.amdhsa_next_free_sgpr 0
		.amdhsa_accum_offset 4
		.amdhsa_reserve_vcc 0
		.amdhsa_float_round_mode_32 0
		.amdhsa_float_round_mode_16_64 0
		.amdhsa_float_denorm_mode_32 3
		.amdhsa_float_denorm_mode_16_64 3
		.amdhsa_dx10_clamp 1
		.amdhsa_ieee_mode 1
		.amdhsa_fp16_overflow 0
		.amdhsa_tg_split 0
		.amdhsa_exception_fp_ieee_invalid_op 0
		.amdhsa_exception_fp_denorm_src 0
		.amdhsa_exception_fp_ieee_div_zero 0
		.amdhsa_exception_fp_ieee_overflow 0
		.amdhsa_exception_fp_ieee_underflow 0
		.amdhsa_exception_fp_ieee_inexact 0
		.amdhsa_exception_int_div_zero 0
	.end_amdhsa_kernel
	.section	.text._ZN7rocprim17ROCPRIM_400000_NS6detail17trampoline_kernelINS0_14default_configENS1_25partition_config_selectorILNS1_17partition_subalgoE1EiNS0_10empty_typeEbEEZZNS1_14partition_implILS5_1ELb0ES3_jN6thrust23THRUST_200600_302600_NS6detail15normal_iteratorINSA_10device_ptrIiEEEEPS6_NSA_18transform_iteratorI7is_evenIiESF_NSA_11use_defaultESK_EENS0_5tupleIJSF_SF_EEENSM_IJSG_SG_EEES6_PlJS6_EEE10hipError_tPvRmT3_T4_T5_T6_T7_T9_mT8_P12ihipStream_tbDpT10_ENKUlT_T0_E_clISt17integral_constantIbLb0EES19_EEDaS14_S15_EUlS14_E_NS1_11comp_targetILNS1_3genE4ELNS1_11target_archE910ELNS1_3gpuE8ELNS1_3repE0EEENS1_30default_config_static_selectorELNS0_4arch9wavefront6targetE1EEEvT1_,"axG",@progbits,_ZN7rocprim17ROCPRIM_400000_NS6detail17trampoline_kernelINS0_14default_configENS1_25partition_config_selectorILNS1_17partition_subalgoE1EiNS0_10empty_typeEbEEZZNS1_14partition_implILS5_1ELb0ES3_jN6thrust23THRUST_200600_302600_NS6detail15normal_iteratorINSA_10device_ptrIiEEEEPS6_NSA_18transform_iteratorI7is_evenIiESF_NSA_11use_defaultESK_EENS0_5tupleIJSF_SF_EEENSM_IJSG_SG_EEES6_PlJS6_EEE10hipError_tPvRmT3_T4_T5_T6_T7_T9_mT8_P12ihipStream_tbDpT10_ENKUlT_T0_E_clISt17integral_constantIbLb0EES19_EEDaS14_S15_EUlS14_E_NS1_11comp_targetILNS1_3genE4ELNS1_11target_archE910ELNS1_3gpuE8ELNS1_3repE0EEENS1_30default_config_static_selectorELNS0_4arch9wavefront6targetE1EEEvT1_,comdat
.Lfunc_end419:
	.size	_ZN7rocprim17ROCPRIM_400000_NS6detail17trampoline_kernelINS0_14default_configENS1_25partition_config_selectorILNS1_17partition_subalgoE1EiNS0_10empty_typeEbEEZZNS1_14partition_implILS5_1ELb0ES3_jN6thrust23THRUST_200600_302600_NS6detail15normal_iteratorINSA_10device_ptrIiEEEEPS6_NSA_18transform_iteratorI7is_evenIiESF_NSA_11use_defaultESK_EENS0_5tupleIJSF_SF_EEENSM_IJSG_SG_EEES6_PlJS6_EEE10hipError_tPvRmT3_T4_T5_T6_T7_T9_mT8_P12ihipStream_tbDpT10_ENKUlT_T0_E_clISt17integral_constantIbLb0EES19_EEDaS14_S15_EUlS14_E_NS1_11comp_targetILNS1_3genE4ELNS1_11target_archE910ELNS1_3gpuE8ELNS1_3repE0EEENS1_30default_config_static_selectorELNS0_4arch9wavefront6targetE1EEEvT1_, .Lfunc_end419-_ZN7rocprim17ROCPRIM_400000_NS6detail17trampoline_kernelINS0_14default_configENS1_25partition_config_selectorILNS1_17partition_subalgoE1EiNS0_10empty_typeEbEEZZNS1_14partition_implILS5_1ELb0ES3_jN6thrust23THRUST_200600_302600_NS6detail15normal_iteratorINSA_10device_ptrIiEEEEPS6_NSA_18transform_iteratorI7is_evenIiESF_NSA_11use_defaultESK_EENS0_5tupleIJSF_SF_EEENSM_IJSG_SG_EEES6_PlJS6_EEE10hipError_tPvRmT3_T4_T5_T6_T7_T9_mT8_P12ihipStream_tbDpT10_ENKUlT_T0_E_clISt17integral_constantIbLb0EES19_EEDaS14_S15_EUlS14_E_NS1_11comp_targetILNS1_3genE4ELNS1_11target_archE910ELNS1_3gpuE8ELNS1_3repE0EEENS1_30default_config_static_selectorELNS0_4arch9wavefront6targetE1EEEvT1_
                                        ; -- End function
	.section	.AMDGPU.csdata,"",@progbits
; Kernel info:
; codeLenInByte = 0
; NumSgprs: 6
; NumVgprs: 0
; NumAgprs: 0
; TotalNumVgprs: 0
; ScratchSize: 0
; MemoryBound: 0
; FloatMode: 240
; IeeeMode: 1
; LDSByteSize: 0 bytes/workgroup (compile time only)
; SGPRBlocks: 0
; VGPRBlocks: 0
; NumSGPRsForWavesPerEU: 6
; NumVGPRsForWavesPerEU: 1
; AccumOffset: 4
; Occupancy: 8
; WaveLimiterHint : 0
; COMPUTE_PGM_RSRC2:SCRATCH_EN: 0
; COMPUTE_PGM_RSRC2:USER_SGPR: 2
; COMPUTE_PGM_RSRC2:TRAP_HANDLER: 0
; COMPUTE_PGM_RSRC2:TGID_X_EN: 1
; COMPUTE_PGM_RSRC2:TGID_Y_EN: 0
; COMPUTE_PGM_RSRC2:TGID_Z_EN: 0
; COMPUTE_PGM_RSRC2:TIDIG_COMP_CNT: 0
; COMPUTE_PGM_RSRC3_GFX90A:ACCUM_OFFSET: 0
; COMPUTE_PGM_RSRC3_GFX90A:TG_SPLIT: 0
	.section	.text._ZN7rocprim17ROCPRIM_400000_NS6detail17trampoline_kernelINS0_14default_configENS1_25partition_config_selectorILNS1_17partition_subalgoE1EiNS0_10empty_typeEbEEZZNS1_14partition_implILS5_1ELb0ES3_jN6thrust23THRUST_200600_302600_NS6detail15normal_iteratorINSA_10device_ptrIiEEEEPS6_NSA_18transform_iteratorI7is_evenIiESF_NSA_11use_defaultESK_EENS0_5tupleIJSF_SF_EEENSM_IJSG_SG_EEES6_PlJS6_EEE10hipError_tPvRmT3_T4_T5_T6_T7_T9_mT8_P12ihipStream_tbDpT10_ENKUlT_T0_E_clISt17integral_constantIbLb0EES19_EEDaS14_S15_EUlS14_E_NS1_11comp_targetILNS1_3genE3ELNS1_11target_archE908ELNS1_3gpuE7ELNS1_3repE0EEENS1_30default_config_static_selectorELNS0_4arch9wavefront6targetE1EEEvT1_,"axG",@progbits,_ZN7rocprim17ROCPRIM_400000_NS6detail17trampoline_kernelINS0_14default_configENS1_25partition_config_selectorILNS1_17partition_subalgoE1EiNS0_10empty_typeEbEEZZNS1_14partition_implILS5_1ELb0ES3_jN6thrust23THRUST_200600_302600_NS6detail15normal_iteratorINSA_10device_ptrIiEEEEPS6_NSA_18transform_iteratorI7is_evenIiESF_NSA_11use_defaultESK_EENS0_5tupleIJSF_SF_EEENSM_IJSG_SG_EEES6_PlJS6_EEE10hipError_tPvRmT3_T4_T5_T6_T7_T9_mT8_P12ihipStream_tbDpT10_ENKUlT_T0_E_clISt17integral_constantIbLb0EES19_EEDaS14_S15_EUlS14_E_NS1_11comp_targetILNS1_3genE3ELNS1_11target_archE908ELNS1_3gpuE7ELNS1_3repE0EEENS1_30default_config_static_selectorELNS0_4arch9wavefront6targetE1EEEvT1_,comdat
	.protected	_ZN7rocprim17ROCPRIM_400000_NS6detail17trampoline_kernelINS0_14default_configENS1_25partition_config_selectorILNS1_17partition_subalgoE1EiNS0_10empty_typeEbEEZZNS1_14partition_implILS5_1ELb0ES3_jN6thrust23THRUST_200600_302600_NS6detail15normal_iteratorINSA_10device_ptrIiEEEEPS6_NSA_18transform_iteratorI7is_evenIiESF_NSA_11use_defaultESK_EENS0_5tupleIJSF_SF_EEENSM_IJSG_SG_EEES6_PlJS6_EEE10hipError_tPvRmT3_T4_T5_T6_T7_T9_mT8_P12ihipStream_tbDpT10_ENKUlT_T0_E_clISt17integral_constantIbLb0EES19_EEDaS14_S15_EUlS14_E_NS1_11comp_targetILNS1_3genE3ELNS1_11target_archE908ELNS1_3gpuE7ELNS1_3repE0EEENS1_30default_config_static_selectorELNS0_4arch9wavefront6targetE1EEEvT1_ ; -- Begin function _ZN7rocprim17ROCPRIM_400000_NS6detail17trampoline_kernelINS0_14default_configENS1_25partition_config_selectorILNS1_17partition_subalgoE1EiNS0_10empty_typeEbEEZZNS1_14partition_implILS5_1ELb0ES3_jN6thrust23THRUST_200600_302600_NS6detail15normal_iteratorINSA_10device_ptrIiEEEEPS6_NSA_18transform_iteratorI7is_evenIiESF_NSA_11use_defaultESK_EENS0_5tupleIJSF_SF_EEENSM_IJSG_SG_EEES6_PlJS6_EEE10hipError_tPvRmT3_T4_T5_T6_T7_T9_mT8_P12ihipStream_tbDpT10_ENKUlT_T0_E_clISt17integral_constantIbLb0EES19_EEDaS14_S15_EUlS14_E_NS1_11comp_targetILNS1_3genE3ELNS1_11target_archE908ELNS1_3gpuE7ELNS1_3repE0EEENS1_30default_config_static_selectorELNS0_4arch9wavefront6targetE1EEEvT1_
	.globl	_ZN7rocprim17ROCPRIM_400000_NS6detail17trampoline_kernelINS0_14default_configENS1_25partition_config_selectorILNS1_17partition_subalgoE1EiNS0_10empty_typeEbEEZZNS1_14partition_implILS5_1ELb0ES3_jN6thrust23THRUST_200600_302600_NS6detail15normal_iteratorINSA_10device_ptrIiEEEEPS6_NSA_18transform_iteratorI7is_evenIiESF_NSA_11use_defaultESK_EENS0_5tupleIJSF_SF_EEENSM_IJSG_SG_EEES6_PlJS6_EEE10hipError_tPvRmT3_T4_T5_T6_T7_T9_mT8_P12ihipStream_tbDpT10_ENKUlT_T0_E_clISt17integral_constantIbLb0EES19_EEDaS14_S15_EUlS14_E_NS1_11comp_targetILNS1_3genE3ELNS1_11target_archE908ELNS1_3gpuE7ELNS1_3repE0EEENS1_30default_config_static_selectorELNS0_4arch9wavefront6targetE1EEEvT1_
	.p2align	8
	.type	_ZN7rocprim17ROCPRIM_400000_NS6detail17trampoline_kernelINS0_14default_configENS1_25partition_config_selectorILNS1_17partition_subalgoE1EiNS0_10empty_typeEbEEZZNS1_14partition_implILS5_1ELb0ES3_jN6thrust23THRUST_200600_302600_NS6detail15normal_iteratorINSA_10device_ptrIiEEEEPS6_NSA_18transform_iteratorI7is_evenIiESF_NSA_11use_defaultESK_EENS0_5tupleIJSF_SF_EEENSM_IJSG_SG_EEES6_PlJS6_EEE10hipError_tPvRmT3_T4_T5_T6_T7_T9_mT8_P12ihipStream_tbDpT10_ENKUlT_T0_E_clISt17integral_constantIbLb0EES19_EEDaS14_S15_EUlS14_E_NS1_11comp_targetILNS1_3genE3ELNS1_11target_archE908ELNS1_3gpuE7ELNS1_3repE0EEENS1_30default_config_static_selectorELNS0_4arch9wavefront6targetE1EEEvT1_,@function
_ZN7rocprim17ROCPRIM_400000_NS6detail17trampoline_kernelINS0_14default_configENS1_25partition_config_selectorILNS1_17partition_subalgoE1EiNS0_10empty_typeEbEEZZNS1_14partition_implILS5_1ELb0ES3_jN6thrust23THRUST_200600_302600_NS6detail15normal_iteratorINSA_10device_ptrIiEEEEPS6_NSA_18transform_iteratorI7is_evenIiESF_NSA_11use_defaultESK_EENS0_5tupleIJSF_SF_EEENSM_IJSG_SG_EEES6_PlJS6_EEE10hipError_tPvRmT3_T4_T5_T6_T7_T9_mT8_P12ihipStream_tbDpT10_ENKUlT_T0_E_clISt17integral_constantIbLb0EES19_EEDaS14_S15_EUlS14_E_NS1_11comp_targetILNS1_3genE3ELNS1_11target_archE908ELNS1_3gpuE7ELNS1_3repE0EEENS1_30default_config_static_selectorELNS0_4arch9wavefront6targetE1EEEvT1_: ; @_ZN7rocprim17ROCPRIM_400000_NS6detail17trampoline_kernelINS0_14default_configENS1_25partition_config_selectorILNS1_17partition_subalgoE1EiNS0_10empty_typeEbEEZZNS1_14partition_implILS5_1ELb0ES3_jN6thrust23THRUST_200600_302600_NS6detail15normal_iteratorINSA_10device_ptrIiEEEEPS6_NSA_18transform_iteratorI7is_evenIiESF_NSA_11use_defaultESK_EENS0_5tupleIJSF_SF_EEENSM_IJSG_SG_EEES6_PlJS6_EEE10hipError_tPvRmT3_T4_T5_T6_T7_T9_mT8_P12ihipStream_tbDpT10_ENKUlT_T0_E_clISt17integral_constantIbLb0EES19_EEDaS14_S15_EUlS14_E_NS1_11comp_targetILNS1_3genE3ELNS1_11target_archE908ELNS1_3gpuE7ELNS1_3repE0EEENS1_30default_config_static_selectorELNS0_4arch9wavefront6targetE1EEEvT1_
; %bb.0:
	.section	.rodata,"a",@progbits
	.p2align	6, 0x0
	.amdhsa_kernel _ZN7rocprim17ROCPRIM_400000_NS6detail17trampoline_kernelINS0_14default_configENS1_25partition_config_selectorILNS1_17partition_subalgoE1EiNS0_10empty_typeEbEEZZNS1_14partition_implILS5_1ELb0ES3_jN6thrust23THRUST_200600_302600_NS6detail15normal_iteratorINSA_10device_ptrIiEEEEPS6_NSA_18transform_iteratorI7is_evenIiESF_NSA_11use_defaultESK_EENS0_5tupleIJSF_SF_EEENSM_IJSG_SG_EEES6_PlJS6_EEE10hipError_tPvRmT3_T4_T5_T6_T7_T9_mT8_P12ihipStream_tbDpT10_ENKUlT_T0_E_clISt17integral_constantIbLb0EES19_EEDaS14_S15_EUlS14_E_NS1_11comp_targetILNS1_3genE3ELNS1_11target_archE908ELNS1_3gpuE7ELNS1_3repE0EEENS1_30default_config_static_selectorELNS0_4arch9wavefront6targetE1EEEvT1_
		.amdhsa_group_segment_fixed_size 0
		.amdhsa_private_segment_fixed_size 0
		.amdhsa_kernarg_size 128
		.amdhsa_user_sgpr_count 2
		.amdhsa_user_sgpr_dispatch_ptr 0
		.amdhsa_user_sgpr_queue_ptr 0
		.amdhsa_user_sgpr_kernarg_segment_ptr 1
		.amdhsa_user_sgpr_dispatch_id 0
		.amdhsa_user_sgpr_kernarg_preload_length 0
		.amdhsa_user_sgpr_kernarg_preload_offset 0
		.amdhsa_user_sgpr_private_segment_size 0
		.amdhsa_uses_dynamic_stack 0
		.amdhsa_enable_private_segment 0
		.amdhsa_system_sgpr_workgroup_id_x 1
		.amdhsa_system_sgpr_workgroup_id_y 0
		.amdhsa_system_sgpr_workgroup_id_z 0
		.amdhsa_system_sgpr_workgroup_info 0
		.amdhsa_system_vgpr_workitem_id 0
		.amdhsa_next_free_vgpr 1
		.amdhsa_next_free_sgpr 0
		.amdhsa_accum_offset 4
		.amdhsa_reserve_vcc 0
		.amdhsa_float_round_mode_32 0
		.amdhsa_float_round_mode_16_64 0
		.amdhsa_float_denorm_mode_32 3
		.amdhsa_float_denorm_mode_16_64 3
		.amdhsa_dx10_clamp 1
		.amdhsa_ieee_mode 1
		.amdhsa_fp16_overflow 0
		.amdhsa_tg_split 0
		.amdhsa_exception_fp_ieee_invalid_op 0
		.amdhsa_exception_fp_denorm_src 0
		.amdhsa_exception_fp_ieee_div_zero 0
		.amdhsa_exception_fp_ieee_overflow 0
		.amdhsa_exception_fp_ieee_underflow 0
		.amdhsa_exception_fp_ieee_inexact 0
		.amdhsa_exception_int_div_zero 0
	.end_amdhsa_kernel
	.section	.text._ZN7rocprim17ROCPRIM_400000_NS6detail17trampoline_kernelINS0_14default_configENS1_25partition_config_selectorILNS1_17partition_subalgoE1EiNS0_10empty_typeEbEEZZNS1_14partition_implILS5_1ELb0ES3_jN6thrust23THRUST_200600_302600_NS6detail15normal_iteratorINSA_10device_ptrIiEEEEPS6_NSA_18transform_iteratorI7is_evenIiESF_NSA_11use_defaultESK_EENS0_5tupleIJSF_SF_EEENSM_IJSG_SG_EEES6_PlJS6_EEE10hipError_tPvRmT3_T4_T5_T6_T7_T9_mT8_P12ihipStream_tbDpT10_ENKUlT_T0_E_clISt17integral_constantIbLb0EES19_EEDaS14_S15_EUlS14_E_NS1_11comp_targetILNS1_3genE3ELNS1_11target_archE908ELNS1_3gpuE7ELNS1_3repE0EEENS1_30default_config_static_selectorELNS0_4arch9wavefront6targetE1EEEvT1_,"axG",@progbits,_ZN7rocprim17ROCPRIM_400000_NS6detail17trampoline_kernelINS0_14default_configENS1_25partition_config_selectorILNS1_17partition_subalgoE1EiNS0_10empty_typeEbEEZZNS1_14partition_implILS5_1ELb0ES3_jN6thrust23THRUST_200600_302600_NS6detail15normal_iteratorINSA_10device_ptrIiEEEEPS6_NSA_18transform_iteratorI7is_evenIiESF_NSA_11use_defaultESK_EENS0_5tupleIJSF_SF_EEENSM_IJSG_SG_EEES6_PlJS6_EEE10hipError_tPvRmT3_T4_T5_T6_T7_T9_mT8_P12ihipStream_tbDpT10_ENKUlT_T0_E_clISt17integral_constantIbLb0EES19_EEDaS14_S15_EUlS14_E_NS1_11comp_targetILNS1_3genE3ELNS1_11target_archE908ELNS1_3gpuE7ELNS1_3repE0EEENS1_30default_config_static_selectorELNS0_4arch9wavefront6targetE1EEEvT1_,comdat
.Lfunc_end420:
	.size	_ZN7rocprim17ROCPRIM_400000_NS6detail17trampoline_kernelINS0_14default_configENS1_25partition_config_selectorILNS1_17partition_subalgoE1EiNS0_10empty_typeEbEEZZNS1_14partition_implILS5_1ELb0ES3_jN6thrust23THRUST_200600_302600_NS6detail15normal_iteratorINSA_10device_ptrIiEEEEPS6_NSA_18transform_iteratorI7is_evenIiESF_NSA_11use_defaultESK_EENS0_5tupleIJSF_SF_EEENSM_IJSG_SG_EEES6_PlJS6_EEE10hipError_tPvRmT3_T4_T5_T6_T7_T9_mT8_P12ihipStream_tbDpT10_ENKUlT_T0_E_clISt17integral_constantIbLb0EES19_EEDaS14_S15_EUlS14_E_NS1_11comp_targetILNS1_3genE3ELNS1_11target_archE908ELNS1_3gpuE7ELNS1_3repE0EEENS1_30default_config_static_selectorELNS0_4arch9wavefront6targetE1EEEvT1_, .Lfunc_end420-_ZN7rocprim17ROCPRIM_400000_NS6detail17trampoline_kernelINS0_14default_configENS1_25partition_config_selectorILNS1_17partition_subalgoE1EiNS0_10empty_typeEbEEZZNS1_14partition_implILS5_1ELb0ES3_jN6thrust23THRUST_200600_302600_NS6detail15normal_iteratorINSA_10device_ptrIiEEEEPS6_NSA_18transform_iteratorI7is_evenIiESF_NSA_11use_defaultESK_EENS0_5tupleIJSF_SF_EEENSM_IJSG_SG_EEES6_PlJS6_EEE10hipError_tPvRmT3_T4_T5_T6_T7_T9_mT8_P12ihipStream_tbDpT10_ENKUlT_T0_E_clISt17integral_constantIbLb0EES19_EEDaS14_S15_EUlS14_E_NS1_11comp_targetILNS1_3genE3ELNS1_11target_archE908ELNS1_3gpuE7ELNS1_3repE0EEENS1_30default_config_static_selectorELNS0_4arch9wavefront6targetE1EEEvT1_
                                        ; -- End function
	.section	.AMDGPU.csdata,"",@progbits
; Kernel info:
; codeLenInByte = 0
; NumSgprs: 6
; NumVgprs: 0
; NumAgprs: 0
; TotalNumVgprs: 0
; ScratchSize: 0
; MemoryBound: 0
; FloatMode: 240
; IeeeMode: 1
; LDSByteSize: 0 bytes/workgroup (compile time only)
; SGPRBlocks: 0
; VGPRBlocks: 0
; NumSGPRsForWavesPerEU: 6
; NumVGPRsForWavesPerEU: 1
; AccumOffset: 4
; Occupancy: 8
; WaveLimiterHint : 0
; COMPUTE_PGM_RSRC2:SCRATCH_EN: 0
; COMPUTE_PGM_RSRC2:USER_SGPR: 2
; COMPUTE_PGM_RSRC2:TRAP_HANDLER: 0
; COMPUTE_PGM_RSRC2:TGID_X_EN: 1
; COMPUTE_PGM_RSRC2:TGID_Y_EN: 0
; COMPUTE_PGM_RSRC2:TGID_Z_EN: 0
; COMPUTE_PGM_RSRC2:TIDIG_COMP_CNT: 0
; COMPUTE_PGM_RSRC3_GFX90A:ACCUM_OFFSET: 0
; COMPUTE_PGM_RSRC3_GFX90A:TG_SPLIT: 0
	.section	.text._ZN7rocprim17ROCPRIM_400000_NS6detail17trampoline_kernelINS0_14default_configENS1_25partition_config_selectorILNS1_17partition_subalgoE1EiNS0_10empty_typeEbEEZZNS1_14partition_implILS5_1ELb0ES3_jN6thrust23THRUST_200600_302600_NS6detail15normal_iteratorINSA_10device_ptrIiEEEEPS6_NSA_18transform_iteratorI7is_evenIiESF_NSA_11use_defaultESK_EENS0_5tupleIJSF_SF_EEENSM_IJSG_SG_EEES6_PlJS6_EEE10hipError_tPvRmT3_T4_T5_T6_T7_T9_mT8_P12ihipStream_tbDpT10_ENKUlT_T0_E_clISt17integral_constantIbLb0EES19_EEDaS14_S15_EUlS14_E_NS1_11comp_targetILNS1_3genE2ELNS1_11target_archE906ELNS1_3gpuE6ELNS1_3repE0EEENS1_30default_config_static_selectorELNS0_4arch9wavefront6targetE1EEEvT1_,"axG",@progbits,_ZN7rocprim17ROCPRIM_400000_NS6detail17trampoline_kernelINS0_14default_configENS1_25partition_config_selectorILNS1_17partition_subalgoE1EiNS0_10empty_typeEbEEZZNS1_14partition_implILS5_1ELb0ES3_jN6thrust23THRUST_200600_302600_NS6detail15normal_iteratorINSA_10device_ptrIiEEEEPS6_NSA_18transform_iteratorI7is_evenIiESF_NSA_11use_defaultESK_EENS0_5tupleIJSF_SF_EEENSM_IJSG_SG_EEES6_PlJS6_EEE10hipError_tPvRmT3_T4_T5_T6_T7_T9_mT8_P12ihipStream_tbDpT10_ENKUlT_T0_E_clISt17integral_constantIbLb0EES19_EEDaS14_S15_EUlS14_E_NS1_11comp_targetILNS1_3genE2ELNS1_11target_archE906ELNS1_3gpuE6ELNS1_3repE0EEENS1_30default_config_static_selectorELNS0_4arch9wavefront6targetE1EEEvT1_,comdat
	.protected	_ZN7rocprim17ROCPRIM_400000_NS6detail17trampoline_kernelINS0_14default_configENS1_25partition_config_selectorILNS1_17partition_subalgoE1EiNS0_10empty_typeEbEEZZNS1_14partition_implILS5_1ELb0ES3_jN6thrust23THRUST_200600_302600_NS6detail15normal_iteratorINSA_10device_ptrIiEEEEPS6_NSA_18transform_iteratorI7is_evenIiESF_NSA_11use_defaultESK_EENS0_5tupleIJSF_SF_EEENSM_IJSG_SG_EEES6_PlJS6_EEE10hipError_tPvRmT3_T4_T5_T6_T7_T9_mT8_P12ihipStream_tbDpT10_ENKUlT_T0_E_clISt17integral_constantIbLb0EES19_EEDaS14_S15_EUlS14_E_NS1_11comp_targetILNS1_3genE2ELNS1_11target_archE906ELNS1_3gpuE6ELNS1_3repE0EEENS1_30default_config_static_selectorELNS0_4arch9wavefront6targetE1EEEvT1_ ; -- Begin function _ZN7rocprim17ROCPRIM_400000_NS6detail17trampoline_kernelINS0_14default_configENS1_25partition_config_selectorILNS1_17partition_subalgoE1EiNS0_10empty_typeEbEEZZNS1_14partition_implILS5_1ELb0ES3_jN6thrust23THRUST_200600_302600_NS6detail15normal_iteratorINSA_10device_ptrIiEEEEPS6_NSA_18transform_iteratorI7is_evenIiESF_NSA_11use_defaultESK_EENS0_5tupleIJSF_SF_EEENSM_IJSG_SG_EEES6_PlJS6_EEE10hipError_tPvRmT3_T4_T5_T6_T7_T9_mT8_P12ihipStream_tbDpT10_ENKUlT_T0_E_clISt17integral_constantIbLb0EES19_EEDaS14_S15_EUlS14_E_NS1_11comp_targetILNS1_3genE2ELNS1_11target_archE906ELNS1_3gpuE6ELNS1_3repE0EEENS1_30default_config_static_selectorELNS0_4arch9wavefront6targetE1EEEvT1_
	.globl	_ZN7rocprim17ROCPRIM_400000_NS6detail17trampoline_kernelINS0_14default_configENS1_25partition_config_selectorILNS1_17partition_subalgoE1EiNS0_10empty_typeEbEEZZNS1_14partition_implILS5_1ELb0ES3_jN6thrust23THRUST_200600_302600_NS6detail15normal_iteratorINSA_10device_ptrIiEEEEPS6_NSA_18transform_iteratorI7is_evenIiESF_NSA_11use_defaultESK_EENS0_5tupleIJSF_SF_EEENSM_IJSG_SG_EEES6_PlJS6_EEE10hipError_tPvRmT3_T4_T5_T6_T7_T9_mT8_P12ihipStream_tbDpT10_ENKUlT_T0_E_clISt17integral_constantIbLb0EES19_EEDaS14_S15_EUlS14_E_NS1_11comp_targetILNS1_3genE2ELNS1_11target_archE906ELNS1_3gpuE6ELNS1_3repE0EEENS1_30default_config_static_selectorELNS0_4arch9wavefront6targetE1EEEvT1_
	.p2align	8
	.type	_ZN7rocprim17ROCPRIM_400000_NS6detail17trampoline_kernelINS0_14default_configENS1_25partition_config_selectorILNS1_17partition_subalgoE1EiNS0_10empty_typeEbEEZZNS1_14partition_implILS5_1ELb0ES3_jN6thrust23THRUST_200600_302600_NS6detail15normal_iteratorINSA_10device_ptrIiEEEEPS6_NSA_18transform_iteratorI7is_evenIiESF_NSA_11use_defaultESK_EENS0_5tupleIJSF_SF_EEENSM_IJSG_SG_EEES6_PlJS6_EEE10hipError_tPvRmT3_T4_T5_T6_T7_T9_mT8_P12ihipStream_tbDpT10_ENKUlT_T0_E_clISt17integral_constantIbLb0EES19_EEDaS14_S15_EUlS14_E_NS1_11comp_targetILNS1_3genE2ELNS1_11target_archE906ELNS1_3gpuE6ELNS1_3repE0EEENS1_30default_config_static_selectorELNS0_4arch9wavefront6targetE1EEEvT1_,@function
_ZN7rocprim17ROCPRIM_400000_NS6detail17trampoline_kernelINS0_14default_configENS1_25partition_config_selectorILNS1_17partition_subalgoE1EiNS0_10empty_typeEbEEZZNS1_14partition_implILS5_1ELb0ES3_jN6thrust23THRUST_200600_302600_NS6detail15normal_iteratorINSA_10device_ptrIiEEEEPS6_NSA_18transform_iteratorI7is_evenIiESF_NSA_11use_defaultESK_EENS0_5tupleIJSF_SF_EEENSM_IJSG_SG_EEES6_PlJS6_EEE10hipError_tPvRmT3_T4_T5_T6_T7_T9_mT8_P12ihipStream_tbDpT10_ENKUlT_T0_E_clISt17integral_constantIbLb0EES19_EEDaS14_S15_EUlS14_E_NS1_11comp_targetILNS1_3genE2ELNS1_11target_archE906ELNS1_3gpuE6ELNS1_3repE0EEENS1_30default_config_static_selectorELNS0_4arch9wavefront6targetE1EEEvT1_: ; @_ZN7rocprim17ROCPRIM_400000_NS6detail17trampoline_kernelINS0_14default_configENS1_25partition_config_selectorILNS1_17partition_subalgoE1EiNS0_10empty_typeEbEEZZNS1_14partition_implILS5_1ELb0ES3_jN6thrust23THRUST_200600_302600_NS6detail15normal_iteratorINSA_10device_ptrIiEEEEPS6_NSA_18transform_iteratorI7is_evenIiESF_NSA_11use_defaultESK_EENS0_5tupleIJSF_SF_EEENSM_IJSG_SG_EEES6_PlJS6_EEE10hipError_tPvRmT3_T4_T5_T6_T7_T9_mT8_P12ihipStream_tbDpT10_ENKUlT_T0_E_clISt17integral_constantIbLb0EES19_EEDaS14_S15_EUlS14_E_NS1_11comp_targetILNS1_3genE2ELNS1_11target_archE906ELNS1_3gpuE6ELNS1_3repE0EEENS1_30default_config_static_selectorELNS0_4arch9wavefront6targetE1EEEvT1_
; %bb.0:
	.section	.rodata,"a",@progbits
	.p2align	6, 0x0
	.amdhsa_kernel _ZN7rocprim17ROCPRIM_400000_NS6detail17trampoline_kernelINS0_14default_configENS1_25partition_config_selectorILNS1_17partition_subalgoE1EiNS0_10empty_typeEbEEZZNS1_14partition_implILS5_1ELb0ES3_jN6thrust23THRUST_200600_302600_NS6detail15normal_iteratorINSA_10device_ptrIiEEEEPS6_NSA_18transform_iteratorI7is_evenIiESF_NSA_11use_defaultESK_EENS0_5tupleIJSF_SF_EEENSM_IJSG_SG_EEES6_PlJS6_EEE10hipError_tPvRmT3_T4_T5_T6_T7_T9_mT8_P12ihipStream_tbDpT10_ENKUlT_T0_E_clISt17integral_constantIbLb0EES19_EEDaS14_S15_EUlS14_E_NS1_11comp_targetILNS1_3genE2ELNS1_11target_archE906ELNS1_3gpuE6ELNS1_3repE0EEENS1_30default_config_static_selectorELNS0_4arch9wavefront6targetE1EEEvT1_
		.amdhsa_group_segment_fixed_size 0
		.amdhsa_private_segment_fixed_size 0
		.amdhsa_kernarg_size 128
		.amdhsa_user_sgpr_count 2
		.amdhsa_user_sgpr_dispatch_ptr 0
		.amdhsa_user_sgpr_queue_ptr 0
		.amdhsa_user_sgpr_kernarg_segment_ptr 1
		.amdhsa_user_sgpr_dispatch_id 0
		.amdhsa_user_sgpr_kernarg_preload_length 0
		.amdhsa_user_sgpr_kernarg_preload_offset 0
		.amdhsa_user_sgpr_private_segment_size 0
		.amdhsa_uses_dynamic_stack 0
		.amdhsa_enable_private_segment 0
		.amdhsa_system_sgpr_workgroup_id_x 1
		.amdhsa_system_sgpr_workgroup_id_y 0
		.amdhsa_system_sgpr_workgroup_id_z 0
		.amdhsa_system_sgpr_workgroup_info 0
		.amdhsa_system_vgpr_workitem_id 0
		.amdhsa_next_free_vgpr 1
		.amdhsa_next_free_sgpr 0
		.amdhsa_accum_offset 4
		.amdhsa_reserve_vcc 0
		.amdhsa_float_round_mode_32 0
		.amdhsa_float_round_mode_16_64 0
		.amdhsa_float_denorm_mode_32 3
		.amdhsa_float_denorm_mode_16_64 3
		.amdhsa_dx10_clamp 1
		.amdhsa_ieee_mode 1
		.amdhsa_fp16_overflow 0
		.amdhsa_tg_split 0
		.amdhsa_exception_fp_ieee_invalid_op 0
		.amdhsa_exception_fp_denorm_src 0
		.amdhsa_exception_fp_ieee_div_zero 0
		.amdhsa_exception_fp_ieee_overflow 0
		.amdhsa_exception_fp_ieee_underflow 0
		.amdhsa_exception_fp_ieee_inexact 0
		.amdhsa_exception_int_div_zero 0
	.end_amdhsa_kernel
	.section	.text._ZN7rocprim17ROCPRIM_400000_NS6detail17trampoline_kernelINS0_14default_configENS1_25partition_config_selectorILNS1_17partition_subalgoE1EiNS0_10empty_typeEbEEZZNS1_14partition_implILS5_1ELb0ES3_jN6thrust23THRUST_200600_302600_NS6detail15normal_iteratorINSA_10device_ptrIiEEEEPS6_NSA_18transform_iteratorI7is_evenIiESF_NSA_11use_defaultESK_EENS0_5tupleIJSF_SF_EEENSM_IJSG_SG_EEES6_PlJS6_EEE10hipError_tPvRmT3_T4_T5_T6_T7_T9_mT8_P12ihipStream_tbDpT10_ENKUlT_T0_E_clISt17integral_constantIbLb0EES19_EEDaS14_S15_EUlS14_E_NS1_11comp_targetILNS1_3genE2ELNS1_11target_archE906ELNS1_3gpuE6ELNS1_3repE0EEENS1_30default_config_static_selectorELNS0_4arch9wavefront6targetE1EEEvT1_,"axG",@progbits,_ZN7rocprim17ROCPRIM_400000_NS6detail17trampoline_kernelINS0_14default_configENS1_25partition_config_selectorILNS1_17partition_subalgoE1EiNS0_10empty_typeEbEEZZNS1_14partition_implILS5_1ELb0ES3_jN6thrust23THRUST_200600_302600_NS6detail15normal_iteratorINSA_10device_ptrIiEEEEPS6_NSA_18transform_iteratorI7is_evenIiESF_NSA_11use_defaultESK_EENS0_5tupleIJSF_SF_EEENSM_IJSG_SG_EEES6_PlJS6_EEE10hipError_tPvRmT3_T4_T5_T6_T7_T9_mT8_P12ihipStream_tbDpT10_ENKUlT_T0_E_clISt17integral_constantIbLb0EES19_EEDaS14_S15_EUlS14_E_NS1_11comp_targetILNS1_3genE2ELNS1_11target_archE906ELNS1_3gpuE6ELNS1_3repE0EEENS1_30default_config_static_selectorELNS0_4arch9wavefront6targetE1EEEvT1_,comdat
.Lfunc_end421:
	.size	_ZN7rocprim17ROCPRIM_400000_NS6detail17trampoline_kernelINS0_14default_configENS1_25partition_config_selectorILNS1_17partition_subalgoE1EiNS0_10empty_typeEbEEZZNS1_14partition_implILS5_1ELb0ES3_jN6thrust23THRUST_200600_302600_NS6detail15normal_iteratorINSA_10device_ptrIiEEEEPS6_NSA_18transform_iteratorI7is_evenIiESF_NSA_11use_defaultESK_EENS0_5tupleIJSF_SF_EEENSM_IJSG_SG_EEES6_PlJS6_EEE10hipError_tPvRmT3_T4_T5_T6_T7_T9_mT8_P12ihipStream_tbDpT10_ENKUlT_T0_E_clISt17integral_constantIbLb0EES19_EEDaS14_S15_EUlS14_E_NS1_11comp_targetILNS1_3genE2ELNS1_11target_archE906ELNS1_3gpuE6ELNS1_3repE0EEENS1_30default_config_static_selectorELNS0_4arch9wavefront6targetE1EEEvT1_, .Lfunc_end421-_ZN7rocprim17ROCPRIM_400000_NS6detail17trampoline_kernelINS0_14default_configENS1_25partition_config_selectorILNS1_17partition_subalgoE1EiNS0_10empty_typeEbEEZZNS1_14partition_implILS5_1ELb0ES3_jN6thrust23THRUST_200600_302600_NS6detail15normal_iteratorINSA_10device_ptrIiEEEEPS6_NSA_18transform_iteratorI7is_evenIiESF_NSA_11use_defaultESK_EENS0_5tupleIJSF_SF_EEENSM_IJSG_SG_EEES6_PlJS6_EEE10hipError_tPvRmT3_T4_T5_T6_T7_T9_mT8_P12ihipStream_tbDpT10_ENKUlT_T0_E_clISt17integral_constantIbLb0EES19_EEDaS14_S15_EUlS14_E_NS1_11comp_targetILNS1_3genE2ELNS1_11target_archE906ELNS1_3gpuE6ELNS1_3repE0EEENS1_30default_config_static_selectorELNS0_4arch9wavefront6targetE1EEEvT1_
                                        ; -- End function
	.section	.AMDGPU.csdata,"",@progbits
; Kernel info:
; codeLenInByte = 0
; NumSgprs: 6
; NumVgprs: 0
; NumAgprs: 0
; TotalNumVgprs: 0
; ScratchSize: 0
; MemoryBound: 0
; FloatMode: 240
; IeeeMode: 1
; LDSByteSize: 0 bytes/workgroup (compile time only)
; SGPRBlocks: 0
; VGPRBlocks: 0
; NumSGPRsForWavesPerEU: 6
; NumVGPRsForWavesPerEU: 1
; AccumOffset: 4
; Occupancy: 8
; WaveLimiterHint : 0
; COMPUTE_PGM_RSRC2:SCRATCH_EN: 0
; COMPUTE_PGM_RSRC2:USER_SGPR: 2
; COMPUTE_PGM_RSRC2:TRAP_HANDLER: 0
; COMPUTE_PGM_RSRC2:TGID_X_EN: 1
; COMPUTE_PGM_RSRC2:TGID_Y_EN: 0
; COMPUTE_PGM_RSRC2:TGID_Z_EN: 0
; COMPUTE_PGM_RSRC2:TIDIG_COMP_CNT: 0
; COMPUTE_PGM_RSRC3_GFX90A:ACCUM_OFFSET: 0
; COMPUTE_PGM_RSRC3_GFX90A:TG_SPLIT: 0
	.section	.text._ZN7rocprim17ROCPRIM_400000_NS6detail17trampoline_kernelINS0_14default_configENS1_25partition_config_selectorILNS1_17partition_subalgoE1EiNS0_10empty_typeEbEEZZNS1_14partition_implILS5_1ELb0ES3_jN6thrust23THRUST_200600_302600_NS6detail15normal_iteratorINSA_10device_ptrIiEEEEPS6_NSA_18transform_iteratorI7is_evenIiESF_NSA_11use_defaultESK_EENS0_5tupleIJSF_SF_EEENSM_IJSG_SG_EEES6_PlJS6_EEE10hipError_tPvRmT3_T4_T5_T6_T7_T9_mT8_P12ihipStream_tbDpT10_ENKUlT_T0_E_clISt17integral_constantIbLb0EES19_EEDaS14_S15_EUlS14_E_NS1_11comp_targetILNS1_3genE10ELNS1_11target_archE1200ELNS1_3gpuE4ELNS1_3repE0EEENS1_30default_config_static_selectorELNS0_4arch9wavefront6targetE1EEEvT1_,"axG",@progbits,_ZN7rocprim17ROCPRIM_400000_NS6detail17trampoline_kernelINS0_14default_configENS1_25partition_config_selectorILNS1_17partition_subalgoE1EiNS0_10empty_typeEbEEZZNS1_14partition_implILS5_1ELb0ES3_jN6thrust23THRUST_200600_302600_NS6detail15normal_iteratorINSA_10device_ptrIiEEEEPS6_NSA_18transform_iteratorI7is_evenIiESF_NSA_11use_defaultESK_EENS0_5tupleIJSF_SF_EEENSM_IJSG_SG_EEES6_PlJS6_EEE10hipError_tPvRmT3_T4_T5_T6_T7_T9_mT8_P12ihipStream_tbDpT10_ENKUlT_T0_E_clISt17integral_constantIbLb0EES19_EEDaS14_S15_EUlS14_E_NS1_11comp_targetILNS1_3genE10ELNS1_11target_archE1200ELNS1_3gpuE4ELNS1_3repE0EEENS1_30default_config_static_selectorELNS0_4arch9wavefront6targetE1EEEvT1_,comdat
	.protected	_ZN7rocprim17ROCPRIM_400000_NS6detail17trampoline_kernelINS0_14default_configENS1_25partition_config_selectorILNS1_17partition_subalgoE1EiNS0_10empty_typeEbEEZZNS1_14partition_implILS5_1ELb0ES3_jN6thrust23THRUST_200600_302600_NS6detail15normal_iteratorINSA_10device_ptrIiEEEEPS6_NSA_18transform_iteratorI7is_evenIiESF_NSA_11use_defaultESK_EENS0_5tupleIJSF_SF_EEENSM_IJSG_SG_EEES6_PlJS6_EEE10hipError_tPvRmT3_T4_T5_T6_T7_T9_mT8_P12ihipStream_tbDpT10_ENKUlT_T0_E_clISt17integral_constantIbLb0EES19_EEDaS14_S15_EUlS14_E_NS1_11comp_targetILNS1_3genE10ELNS1_11target_archE1200ELNS1_3gpuE4ELNS1_3repE0EEENS1_30default_config_static_selectorELNS0_4arch9wavefront6targetE1EEEvT1_ ; -- Begin function _ZN7rocprim17ROCPRIM_400000_NS6detail17trampoline_kernelINS0_14default_configENS1_25partition_config_selectorILNS1_17partition_subalgoE1EiNS0_10empty_typeEbEEZZNS1_14partition_implILS5_1ELb0ES3_jN6thrust23THRUST_200600_302600_NS6detail15normal_iteratorINSA_10device_ptrIiEEEEPS6_NSA_18transform_iteratorI7is_evenIiESF_NSA_11use_defaultESK_EENS0_5tupleIJSF_SF_EEENSM_IJSG_SG_EEES6_PlJS6_EEE10hipError_tPvRmT3_T4_T5_T6_T7_T9_mT8_P12ihipStream_tbDpT10_ENKUlT_T0_E_clISt17integral_constantIbLb0EES19_EEDaS14_S15_EUlS14_E_NS1_11comp_targetILNS1_3genE10ELNS1_11target_archE1200ELNS1_3gpuE4ELNS1_3repE0EEENS1_30default_config_static_selectorELNS0_4arch9wavefront6targetE1EEEvT1_
	.globl	_ZN7rocprim17ROCPRIM_400000_NS6detail17trampoline_kernelINS0_14default_configENS1_25partition_config_selectorILNS1_17partition_subalgoE1EiNS0_10empty_typeEbEEZZNS1_14partition_implILS5_1ELb0ES3_jN6thrust23THRUST_200600_302600_NS6detail15normal_iteratorINSA_10device_ptrIiEEEEPS6_NSA_18transform_iteratorI7is_evenIiESF_NSA_11use_defaultESK_EENS0_5tupleIJSF_SF_EEENSM_IJSG_SG_EEES6_PlJS6_EEE10hipError_tPvRmT3_T4_T5_T6_T7_T9_mT8_P12ihipStream_tbDpT10_ENKUlT_T0_E_clISt17integral_constantIbLb0EES19_EEDaS14_S15_EUlS14_E_NS1_11comp_targetILNS1_3genE10ELNS1_11target_archE1200ELNS1_3gpuE4ELNS1_3repE0EEENS1_30default_config_static_selectorELNS0_4arch9wavefront6targetE1EEEvT1_
	.p2align	8
	.type	_ZN7rocprim17ROCPRIM_400000_NS6detail17trampoline_kernelINS0_14default_configENS1_25partition_config_selectorILNS1_17partition_subalgoE1EiNS0_10empty_typeEbEEZZNS1_14partition_implILS5_1ELb0ES3_jN6thrust23THRUST_200600_302600_NS6detail15normal_iteratorINSA_10device_ptrIiEEEEPS6_NSA_18transform_iteratorI7is_evenIiESF_NSA_11use_defaultESK_EENS0_5tupleIJSF_SF_EEENSM_IJSG_SG_EEES6_PlJS6_EEE10hipError_tPvRmT3_T4_T5_T6_T7_T9_mT8_P12ihipStream_tbDpT10_ENKUlT_T0_E_clISt17integral_constantIbLb0EES19_EEDaS14_S15_EUlS14_E_NS1_11comp_targetILNS1_3genE10ELNS1_11target_archE1200ELNS1_3gpuE4ELNS1_3repE0EEENS1_30default_config_static_selectorELNS0_4arch9wavefront6targetE1EEEvT1_,@function
_ZN7rocprim17ROCPRIM_400000_NS6detail17trampoline_kernelINS0_14default_configENS1_25partition_config_selectorILNS1_17partition_subalgoE1EiNS0_10empty_typeEbEEZZNS1_14partition_implILS5_1ELb0ES3_jN6thrust23THRUST_200600_302600_NS6detail15normal_iteratorINSA_10device_ptrIiEEEEPS6_NSA_18transform_iteratorI7is_evenIiESF_NSA_11use_defaultESK_EENS0_5tupleIJSF_SF_EEENSM_IJSG_SG_EEES6_PlJS6_EEE10hipError_tPvRmT3_T4_T5_T6_T7_T9_mT8_P12ihipStream_tbDpT10_ENKUlT_T0_E_clISt17integral_constantIbLb0EES19_EEDaS14_S15_EUlS14_E_NS1_11comp_targetILNS1_3genE10ELNS1_11target_archE1200ELNS1_3gpuE4ELNS1_3repE0EEENS1_30default_config_static_selectorELNS0_4arch9wavefront6targetE1EEEvT1_: ; @_ZN7rocprim17ROCPRIM_400000_NS6detail17trampoline_kernelINS0_14default_configENS1_25partition_config_selectorILNS1_17partition_subalgoE1EiNS0_10empty_typeEbEEZZNS1_14partition_implILS5_1ELb0ES3_jN6thrust23THRUST_200600_302600_NS6detail15normal_iteratorINSA_10device_ptrIiEEEEPS6_NSA_18transform_iteratorI7is_evenIiESF_NSA_11use_defaultESK_EENS0_5tupleIJSF_SF_EEENSM_IJSG_SG_EEES6_PlJS6_EEE10hipError_tPvRmT3_T4_T5_T6_T7_T9_mT8_P12ihipStream_tbDpT10_ENKUlT_T0_E_clISt17integral_constantIbLb0EES19_EEDaS14_S15_EUlS14_E_NS1_11comp_targetILNS1_3genE10ELNS1_11target_archE1200ELNS1_3gpuE4ELNS1_3repE0EEENS1_30default_config_static_selectorELNS0_4arch9wavefront6targetE1EEEvT1_
; %bb.0:
	.section	.rodata,"a",@progbits
	.p2align	6, 0x0
	.amdhsa_kernel _ZN7rocprim17ROCPRIM_400000_NS6detail17trampoline_kernelINS0_14default_configENS1_25partition_config_selectorILNS1_17partition_subalgoE1EiNS0_10empty_typeEbEEZZNS1_14partition_implILS5_1ELb0ES3_jN6thrust23THRUST_200600_302600_NS6detail15normal_iteratorINSA_10device_ptrIiEEEEPS6_NSA_18transform_iteratorI7is_evenIiESF_NSA_11use_defaultESK_EENS0_5tupleIJSF_SF_EEENSM_IJSG_SG_EEES6_PlJS6_EEE10hipError_tPvRmT3_T4_T5_T6_T7_T9_mT8_P12ihipStream_tbDpT10_ENKUlT_T0_E_clISt17integral_constantIbLb0EES19_EEDaS14_S15_EUlS14_E_NS1_11comp_targetILNS1_3genE10ELNS1_11target_archE1200ELNS1_3gpuE4ELNS1_3repE0EEENS1_30default_config_static_selectorELNS0_4arch9wavefront6targetE1EEEvT1_
		.amdhsa_group_segment_fixed_size 0
		.amdhsa_private_segment_fixed_size 0
		.amdhsa_kernarg_size 128
		.amdhsa_user_sgpr_count 2
		.amdhsa_user_sgpr_dispatch_ptr 0
		.amdhsa_user_sgpr_queue_ptr 0
		.amdhsa_user_sgpr_kernarg_segment_ptr 1
		.amdhsa_user_sgpr_dispatch_id 0
		.amdhsa_user_sgpr_kernarg_preload_length 0
		.amdhsa_user_sgpr_kernarg_preload_offset 0
		.amdhsa_user_sgpr_private_segment_size 0
		.amdhsa_uses_dynamic_stack 0
		.amdhsa_enable_private_segment 0
		.amdhsa_system_sgpr_workgroup_id_x 1
		.amdhsa_system_sgpr_workgroup_id_y 0
		.amdhsa_system_sgpr_workgroup_id_z 0
		.amdhsa_system_sgpr_workgroup_info 0
		.amdhsa_system_vgpr_workitem_id 0
		.amdhsa_next_free_vgpr 1
		.amdhsa_next_free_sgpr 0
		.amdhsa_accum_offset 4
		.amdhsa_reserve_vcc 0
		.amdhsa_float_round_mode_32 0
		.amdhsa_float_round_mode_16_64 0
		.amdhsa_float_denorm_mode_32 3
		.amdhsa_float_denorm_mode_16_64 3
		.amdhsa_dx10_clamp 1
		.amdhsa_ieee_mode 1
		.amdhsa_fp16_overflow 0
		.amdhsa_tg_split 0
		.amdhsa_exception_fp_ieee_invalid_op 0
		.amdhsa_exception_fp_denorm_src 0
		.amdhsa_exception_fp_ieee_div_zero 0
		.amdhsa_exception_fp_ieee_overflow 0
		.amdhsa_exception_fp_ieee_underflow 0
		.amdhsa_exception_fp_ieee_inexact 0
		.amdhsa_exception_int_div_zero 0
	.end_amdhsa_kernel
	.section	.text._ZN7rocprim17ROCPRIM_400000_NS6detail17trampoline_kernelINS0_14default_configENS1_25partition_config_selectorILNS1_17partition_subalgoE1EiNS0_10empty_typeEbEEZZNS1_14partition_implILS5_1ELb0ES3_jN6thrust23THRUST_200600_302600_NS6detail15normal_iteratorINSA_10device_ptrIiEEEEPS6_NSA_18transform_iteratorI7is_evenIiESF_NSA_11use_defaultESK_EENS0_5tupleIJSF_SF_EEENSM_IJSG_SG_EEES6_PlJS6_EEE10hipError_tPvRmT3_T4_T5_T6_T7_T9_mT8_P12ihipStream_tbDpT10_ENKUlT_T0_E_clISt17integral_constantIbLb0EES19_EEDaS14_S15_EUlS14_E_NS1_11comp_targetILNS1_3genE10ELNS1_11target_archE1200ELNS1_3gpuE4ELNS1_3repE0EEENS1_30default_config_static_selectorELNS0_4arch9wavefront6targetE1EEEvT1_,"axG",@progbits,_ZN7rocprim17ROCPRIM_400000_NS6detail17trampoline_kernelINS0_14default_configENS1_25partition_config_selectorILNS1_17partition_subalgoE1EiNS0_10empty_typeEbEEZZNS1_14partition_implILS5_1ELb0ES3_jN6thrust23THRUST_200600_302600_NS6detail15normal_iteratorINSA_10device_ptrIiEEEEPS6_NSA_18transform_iteratorI7is_evenIiESF_NSA_11use_defaultESK_EENS0_5tupleIJSF_SF_EEENSM_IJSG_SG_EEES6_PlJS6_EEE10hipError_tPvRmT3_T4_T5_T6_T7_T9_mT8_P12ihipStream_tbDpT10_ENKUlT_T0_E_clISt17integral_constantIbLb0EES19_EEDaS14_S15_EUlS14_E_NS1_11comp_targetILNS1_3genE10ELNS1_11target_archE1200ELNS1_3gpuE4ELNS1_3repE0EEENS1_30default_config_static_selectorELNS0_4arch9wavefront6targetE1EEEvT1_,comdat
.Lfunc_end422:
	.size	_ZN7rocprim17ROCPRIM_400000_NS6detail17trampoline_kernelINS0_14default_configENS1_25partition_config_selectorILNS1_17partition_subalgoE1EiNS0_10empty_typeEbEEZZNS1_14partition_implILS5_1ELb0ES3_jN6thrust23THRUST_200600_302600_NS6detail15normal_iteratorINSA_10device_ptrIiEEEEPS6_NSA_18transform_iteratorI7is_evenIiESF_NSA_11use_defaultESK_EENS0_5tupleIJSF_SF_EEENSM_IJSG_SG_EEES6_PlJS6_EEE10hipError_tPvRmT3_T4_T5_T6_T7_T9_mT8_P12ihipStream_tbDpT10_ENKUlT_T0_E_clISt17integral_constantIbLb0EES19_EEDaS14_S15_EUlS14_E_NS1_11comp_targetILNS1_3genE10ELNS1_11target_archE1200ELNS1_3gpuE4ELNS1_3repE0EEENS1_30default_config_static_selectorELNS0_4arch9wavefront6targetE1EEEvT1_, .Lfunc_end422-_ZN7rocprim17ROCPRIM_400000_NS6detail17trampoline_kernelINS0_14default_configENS1_25partition_config_selectorILNS1_17partition_subalgoE1EiNS0_10empty_typeEbEEZZNS1_14partition_implILS5_1ELb0ES3_jN6thrust23THRUST_200600_302600_NS6detail15normal_iteratorINSA_10device_ptrIiEEEEPS6_NSA_18transform_iteratorI7is_evenIiESF_NSA_11use_defaultESK_EENS0_5tupleIJSF_SF_EEENSM_IJSG_SG_EEES6_PlJS6_EEE10hipError_tPvRmT3_T4_T5_T6_T7_T9_mT8_P12ihipStream_tbDpT10_ENKUlT_T0_E_clISt17integral_constantIbLb0EES19_EEDaS14_S15_EUlS14_E_NS1_11comp_targetILNS1_3genE10ELNS1_11target_archE1200ELNS1_3gpuE4ELNS1_3repE0EEENS1_30default_config_static_selectorELNS0_4arch9wavefront6targetE1EEEvT1_
                                        ; -- End function
	.section	.AMDGPU.csdata,"",@progbits
; Kernel info:
; codeLenInByte = 0
; NumSgprs: 6
; NumVgprs: 0
; NumAgprs: 0
; TotalNumVgprs: 0
; ScratchSize: 0
; MemoryBound: 0
; FloatMode: 240
; IeeeMode: 1
; LDSByteSize: 0 bytes/workgroup (compile time only)
; SGPRBlocks: 0
; VGPRBlocks: 0
; NumSGPRsForWavesPerEU: 6
; NumVGPRsForWavesPerEU: 1
; AccumOffset: 4
; Occupancy: 8
; WaveLimiterHint : 0
; COMPUTE_PGM_RSRC2:SCRATCH_EN: 0
; COMPUTE_PGM_RSRC2:USER_SGPR: 2
; COMPUTE_PGM_RSRC2:TRAP_HANDLER: 0
; COMPUTE_PGM_RSRC2:TGID_X_EN: 1
; COMPUTE_PGM_RSRC2:TGID_Y_EN: 0
; COMPUTE_PGM_RSRC2:TGID_Z_EN: 0
; COMPUTE_PGM_RSRC2:TIDIG_COMP_CNT: 0
; COMPUTE_PGM_RSRC3_GFX90A:ACCUM_OFFSET: 0
; COMPUTE_PGM_RSRC3_GFX90A:TG_SPLIT: 0
	.section	.text._ZN7rocprim17ROCPRIM_400000_NS6detail17trampoline_kernelINS0_14default_configENS1_25partition_config_selectorILNS1_17partition_subalgoE1EiNS0_10empty_typeEbEEZZNS1_14partition_implILS5_1ELb0ES3_jN6thrust23THRUST_200600_302600_NS6detail15normal_iteratorINSA_10device_ptrIiEEEEPS6_NSA_18transform_iteratorI7is_evenIiESF_NSA_11use_defaultESK_EENS0_5tupleIJSF_SF_EEENSM_IJSG_SG_EEES6_PlJS6_EEE10hipError_tPvRmT3_T4_T5_T6_T7_T9_mT8_P12ihipStream_tbDpT10_ENKUlT_T0_E_clISt17integral_constantIbLb0EES19_EEDaS14_S15_EUlS14_E_NS1_11comp_targetILNS1_3genE9ELNS1_11target_archE1100ELNS1_3gpuE3ELNS1_3repE0EEENS1_30default_config_static_selectorELNS0_4arch9wavefront6targetE1EEEvT1_,"axG",@progbits,_ZN7rocprim17ROCPRIM_400000_NS6detail17trampoline_kernelINS0_14default_configENS1_25partition_config_selectorILNS1_17partition_subalgoE1EiNS0_10empty_typeEbEEZZNS1_14partition_implILS5_1ELb0ES3_jN6thrust23THRUST_200600_302600_NS6detail15normal_iteratorINSA_10device_ptrIiEEEEPS6_NSA_18transform_iteratorI7is_evenIiESF_NSA_11use_defaultESK_EENS0_5tupleIJSF_SF_EEENSM_IJSG_SG_EEES6_PlJS6_EEE10hipError_tPvRmT3_T4_T5_T6_T7_T9_mT8_P12ihipStream_tbDpT10_ENKUlT_T0_E_clISt17integral_constantIbLb0EES19_EEDaS14_S15_EUlS14_E_NS1_11comp_targetILNS1_3genE9ELNS1_11target_archE1100ELNS1_3gpuE3ELNS1_3repE0EEENS1_30default_config_static_selectorELNS0_4arch9wavefront6targetE1EEEvT1_,comdat
	.protected	_ZN7rocprim17ROCPRIM_400000_NS6detail17trampoline_kernelINS0_14default_configENS1_25partition_config_selectorILNS1_17partition_subalgoE1EiNS0_10empty_typeEbEEZZNS1_14partition_implILS5_1ELb0ES3_jN6thrust23THRUST_200600_302600_NS6detail15normal_iteratorINSA_10device_ptrIiEEEEPS6_NSA_18transform_iteratorI7is_evenIiESF_NSA_11use_defaultESK_EENS0_5tupleIJSF_SF_EEENSM_IJSG_SG_EEES6_PlJS6_EEE10hipError_tPvRmT3_T4_T5_T6_T7_T9_mT8_P12ihipStream_tbDpT10_ENKUlT_T0_E_clISt17integral_constantIbLb0EES19_EEDaS14_S15_EUlS14_E_NS1_11comp_targetILNS1_3genE9ELNS1_11target_archE1100ELNS1_3gpuE3ELNS1_3repE0EEENS1_30default_config_static_selectorELNS0_4arch9wavefront6targetE1EEEvT1_ ; -- Begin function _ZN7rocprim17ROCPRIM_400000_NS6detail17trampoline_kernelINS0_14default_configENS1_25partition_config_selectorILNS1_17partition_subalgoE1EiNS0_10empty_typeEbEEZZNS1_14partition_implILS5_1ELb0ES3_jN6thrust23THRUST_200600_302600_NS6detail15normal_iteratorINSA_10device_ptrIiEEEEPS6_NSA_18transform_iteratorI7is_evenIiESF_NSA_11use_defaultESK_EENS0_5tupleIJSF_SF_EEENSM_IJSG_SG_EEES6_PlJS6_EEE10hipError_tPvRmT3_T4_T5_T6_T7_T9_mT8_P12ihipStream_tbDpT10_ENKUlT_T0_E_clISt17integral_constantIbLb0EES19_EEDaS14_S15_EUlS14_E_NS1_11comp_targetILNS1_3genE9ELNS1_11target_archE1100ELNS1_3gpuE3ELNS1_3repE0EEENS1_30default_config_static_selectorELNS0_4arch9wavefront6targetE1EEEvT1_
	.globl	_ZN7rocprim17ROCPRIM_400000_NS6detail17trampoline_kernelINS0_14default_configENS1_25partition_config_selectorILNS1_17partition_subalgoE1EiNS0_10empty_typeEbEEZZNS1_14partition_implILS5_1ELb0ES3_jN6thrust23THRUST_200600_302600_NS6detail15normal_iteratorINSA_10device_ptrIiEEEEPS6_NSA_18transform_iteratorI7is_evenIiESF_NSA_11use_defaultESK_EENS0_5tupleIJSF_SF_EEENSM_IJSG_SG_EEES6_PlJS6_EEE10hipError_tPvRmT3_T4_T5_T6_T7_T9_mT8_P12ihipStream_tbDpT10_ENKUlT_T0_E_clISt17integral_constantIbLb0EES19_EEDaS14_S15_EUlS14_E_NS1_11comp_targetILNS1_3genE9ELNS1_11target_archE1100ELNS1_3gpuE3ELNS1_3repE0EEENS1_30default_config_static_selectorELNS0_4arch9wavefront6targetE1EEEvT1_
	.p2align	8
	.type	_ZN7rocprim17ROCPRIM_400000_NS6detail17trampoline_kernelINS0_14default_configENS1_25partition_config_selectorILNS1_17partition_subalgoE1EiNS0_10empty_typeEbEEZZNS1_14partition_implILS5_1ELb0ES3_jN6thrust23THRUST_200600_302600_NS6detail15normal_iteratorINSA_10device_ptrIiEEEEPS6_NSA_18transform_iteratorI7is_evenIiESF_NSA_11use_defaultESK_EENS0_5tupleIJSF_SF_EEENSM_IJSG_SG_EEES6_PlJS6_EEE10hipError_tPvRmT3_T4_T5_T6_T7_T9_mT8_P12ihipStream_tbDpT10_ENKUlT_T0_E_clISt17integral_constantIbLb0EES19_EEDaS14_S15_EUlS14_E_NS1_11comp_targetILNS1_3genE9ELNS1_11target_archE1100ELNS1_3gpuE3ELNS1_3repE0EEENS1_30default_config_static_selectorELNS0_4arch9wavefront6targetE1EEEvT1_,@function
_ZN7rocprim17ROCPRIM_400000_NS6detail17trampoline_kernelINS0_14default_configENS1_25partition_config_selectorILNS1_17partition_subalgoE1EiNS0_10empty_typeEbEEZZNS1_14partition_implILS5_1ELb0ES3_jN6thrust23THRUST_200600_302600_NS6detail15normal_iteratorINSA_10device_ptrIiEEEEPS6_NSA_18transform_iteratorI7is_evenIiESF_NSA_11use_defaultESK_EENS0_5tupleIJSF_SF_EEENSM_IJSG_SG_EEES6_PlJS6_EEE10hipError_tPvRmT3_T4_T5_T6_T7_T9_mT8_P12ihipStream_tbDpT10_ENKUlT_T0_E_clISt17integral_constantIbLb0EES19_EEDaS14_S15_EUlS14_E_NS1_11comp_targetILNS1_3genE9ELNS1_11target_archE1100ELNS1_3gpuE3ELNS1_3repE0EEENS1_30default_config_static_selectorELNS0_4arch9wavefront6targetE1EEEvT1_: ; @_ZN7rocprim17ROCPRIM_400000_NS6detail17trampoline_kernelINS0_14default_configENS1_25partition_config_selectorILNS1_17partition_subalgoE1EiNS0_10empty_typeEbEEZZNS1_14partition_implILS5_1ELb0ES3_jN6thrust23THRUST_200600_302600_NS6detail15normal_iteratorINSA_10device_ptrIiEEEEPS6_NSA_18transform_iteratorI7is_evenIiESF_NSA_11use_defaultESK_EENS0_5tupleIJSF_SF_EEENSM_IJSG_SG_EEES6_PlJS6_EEE10hipError_tPvRmT3_T4_T5_T6_T7_T9_mT8_P12ihipStream_tbDpT10_ENKUlT_T0_E_clISt17integral_constantIbLb0EES19_EEDaS14_S15_EUlS14_E_NS1_11comp_targetILNS1_3genE9ELNS1_11target_archE1100ELNS1_3gpuE3ELNS1_3repE0EEENS1_30default_config_static_selectorELNS0_4arch9wavefront6targetE1EEEvT1_
; %bb.0:
	.section	.rodata,"a",@progbits
	.p2align	6, 0x0
	.amdhsa_kernel _ZN7rocprim17ROCPRIM_400000_NS6detail17trampoline_kernelINS0_14default_configENS1_25partition_config_selectorILNS1_17partition_subalgoE1EiNS0_10empty_typeEbEEZZNS1_14partition_implILS5_1ELb0ES3_jN6thrust23THRUST_200600_302600_NS6detail15normal_iteratorINSA_10device_ptrIiEEEEPS6_NSA_18transform_iteratorI7is_evenIiESF_NSA_11use_defaultESK_EENS0_5tupleIJSF_SF_EEENSM_IJSG_SG_EEES6_PlJS6_EEE10hipError_tPvRmT3_T4_T5_T6_T7_T9_mT8_P12ihipStream_tbDpT10_ENKUlT_T0_E_clISt17integral_constantIbLb0EES19_EEDaS14_S15_EUlS14_E_NS1_11comp_targetILNS1_3genE9ELNS1_11target_archE1100ELNS1_3gpuE3ELNS1_3repE0EEENS1_30default_config_static_selectorELNS0_4arch9wavefront6targetE1EEEvT1_
		.amdhsa_group_segment_fixed_size 0
		.amdhsa_private_segment_fixed_size 0
		.amdhsa_kernarg_size 128
		.amdhsa_user_sgpr_count 2
		.amdhsa_user_sgpr_dispatch_ptr 0
		.amdhsa_user_sgpr_queue_ptr 0
		.amdhsa_user_sgpr_kernarg_segment_ptr 1
		.amdhsa_user_sgpr_dispatch_id 0
		.amdhsa_user_sgpr_kernarg_preload_length 0
		.amdhsa_user_sgpr_kernarg_preload_offset 0
		.amdhsa_user_sgpr_private_segment_size 0
		.amdhsa_uses_dynamic_stack 0
		.amdhsa_enable_private_segment 0
		.amdhsa_system_sgpr_workgroup_id_x 1
		.amdhsa_system_sgpr_workgroup_id_y 0
		.amdhsa_system_sgpr_workgroup_id_z 0
		.amdhsa_system_sgpr_workgroup_info 0
		.amdhsa_system_vgpr_workitem_id 0
		.amdhsa_next_free_vgpr 1
		.amdhsa_next_free_sgpr 0
		.amdhsa_accum_offset 4
		.amdhsa_reserve_vcc 0
		.amdhsa_float_round_mode_32 0
		.amdhsa_float_round_mode_16_64 0
		.amdhsa_float_denorm_mode_32 3
		.amdhsa_float_denorm_mode_16_64 3
		.amdhsa_dx10_clamp 1
		.amdhsa_ieee_mode 1
		.amdhsa_fp16_overflow 0
		.amdhsa_tg_split 0
		.amdhsa_exception_fp_ieee_invalid_op 0
		.amdhsa_exception_fp_denorm_src 0
		.amdhsa_exception_fp_ieee_div_zero 0
		.amdhsa_exception_fp_ieee_overflow 0
		.amdhsa_exception_fp_ieee_underflow 0
		.amdhsa_exception_fp_ieee_inexact 0
		.amdhsa_exception_int_div_zero 0
	.end_amdhsa_kernel
	.section	.text._ZN7rocprim17ROCPRIM_400000_NS6detail17trampoline_kernelINS0_14default_configENS1_25partition_config_selectorILNS1_17partition_subalgoE1EiNS0_10empty_typeEbEEZZNS1_14partition_implILS5_1ELb0ES3_jN6thrust23THRUST_200600_302600_NS6detail15normal_iteratorINSA_10device_ptrIiEEEEPS6_NSA_18transform_iteratorI7is_evenIiESF_NSA_11use_defaultESK_EENS0_5tupleIJSF_SF_EEENSM_IJSG_SG_EEES6_PlJS6_EEE10hipError_tPvRmT3_T4_T5_T6_T7_T9_mT8_P12ihipStream_tbDpT10_ENKUlT_T0_E_clISt17integral_constantIbLb0EES19_EEDaS14_S15_EUlS14_E_NS1_11comp_targetILNS1_3genE9ELNS1_11target_archE1100ELNS1_3gpuE3ELNS1_3repE0EEENS1_30default_config_static_selectorELNS0_4arch9wavefront6targetE1EEEvT1_,"axG",@progbits,_ZN7rocprim17ROCPRIM_400000_NS6detail17trampoline_kernelINS0_14default_configENS1_25partition_config_selectorILNS1_17partition_subalgoE1EiNS0_10empty_typeEbEEZZNS1_14partition_implILS5_1ELb0ES3_jN6thrust23THRUST_200600_302600_NS6detail15normal_iteratorINSA_10device_ptrIiEEEEPS6_NSA_18transform_iteratorI7is_evenIiESF_NSA_11use_defaultESK_EENS0_5tupleIJSF_SF_EEENSM_IJSG_SG_EEES6_PlJS6_EEE10hipError_tPvRmT3_T4_T5_T6_T7_T9_mT8_P12ihipStream_tbDpT10_ENKUlT_T0_E_clISt17integral_constantIbLb0EES19_EEDaS14_S15_EUlS14_E_NS1_11comp_targetILNS1_3genE9ELNS1_11target_archE1100ELNS1_3gpuE3ELNS1_3repE0EEENS1_30default_config_static_selectorELNS0_4arch9wavefront6targetE1EEEvT1_,comdat
.Lfunc_end423:
	.size	_ZN7rocprim17ROCPRIM_400000_NS6detail17trampoline_kernelINS0_14default_configENS1_25partition_config_selectorILNS1_17partition_subalgoE1EiNS0_10empty_typeEbEEZZNS1_14partition_implILS5_1ELb0ES3_jN6thrust23THRUST_200600_302600_NS6detail15normal_iteratorINSA_10device_ptrIiEEEEPS6_NSA_18transform_iteratorI7is_evenIiESF_NSA_11use_defaultESK_EENS0_5tupleIJSF_SF_EEENSM_IJSG_SG_EEES6_PlJS6_EEE10hipError_tPvRmT3_T4_T5_T6_T7_T9_mT8_P12ihipStream_tbDpT10_ENKUlT_T0_E_clISt17integral_constantIbLb0EES19_EEDaS14_S15_EUlS14_E_NS1_11comp_targetILNS1_3genE9ELNS1_11target_archE1100ELNS1_3gpuE3ELNS1_3repE0EEENS1_30default_config_static_selectorELNS0_4arch9wavefront6targetE1EEEvT1_, .Lfunc_end423-_ZN7rocprim17ROCPRIM_400000_NS6detail17trampoline_kernelINS0_14default_configENS1_25partition_config_selectorILNS1_17partition_subalgoE1EiNS0_10empty_typeEbEEZZNS1_14partition_implILS5_1ELb0ES3_jN6thrust23THRUST_200600_302600_NS6detail15normal_iteratorINSA_10device_ptrIiEEEEPS6_NSA_18transform_iteratorI7is_evenIiESF_NSA_11use_defaultESK_EENS0_5tupleIJSF_SF_EEENSM_IJSG_SG_EEES6_PlJS6_EEE10hipError_tPvRmT3_T4_T5_T6_T7_T9_mT8_P12ihipStream_tbDpT10_ENKUlT_T0_E_clISt17integral_constantIbLb0EES19_EEDaS14_S15_EUlS14_E_NS1_11comp_targetILNS1_3genE9ELNS1_11target_archE1100ELNS1_3gpuE3ELNS1_3repE0EEENS1_30default_config_static_selectorELNS0_4arch9wavefront6targetE1EEEvT1_
                                        ; -- End function
	.section	.AMDGPU.csdata,"",@progbits
; Kernel info:
; codeLenInByte = 0
; NumSgprs: 6
; NumVgprs: 0
; NumAgprs: 0
; TotalNumVgprs: 0
; ScratchSize: 0
; MemoryBound: 0
; FloatMode: 240
; IeeeMode: 1
; LDSByteSize: 0 bytes/workgroup (compile time only)
; SGPRBlocks: 0
; VGPRBlocks: 0
; NumSGPRsForWavesPerEU: 6
; NumVGPRsForWavesPerEU: 1
; AccumOffset: 4
; Occupancy: 8
; WaveLimiterHint : 0
; COMPUTE_PGM_RSRC2:SCRATCH_EN: 0
; COMPUTE_PGM_RSRC2:USER_SGPR: 2
; COMPUTE_PGM_RSRC2:TRAP_HANDLER: 0
; COMPUTE_PGM_RSRC2:TGID_X_EN: 1
; COMPUTE_PGM_RSRC2:TGID_Y_EN: 0
; COMPUTE_PGM_RSRC2:TGID_Z_EN: 0
; COMPUTE_PGM_RSRC2:TIDIG_COMP_CNT: 0
; COMPUTE_PGM_RSRC3_GFX90A:ACCUM_OFFSET: 0
; COMPUTE_PGM_RSRC3_GFX90A:TG_SPLIT: 0
	.section	.text._ZN7rocprim17ROCPRIM_400000_NS6detail17trampoline_kernelINS0_14default_configENS1_25partition_config_selectorILNS1_17partition_subalgoE1EiNS0_10empty_typeEbEEZZNS1_14partition_implILS5_1ELb0ES3_jN6thrust23THRUST_200600_302600_NS6detail15normal_iteratorINSA_10device_ptrIiEEEEPS6_NSA_18transform_iteratorI7is_evenIiESF_NSA_11use_defaultESK_EENS0_5tupleIJSF_SF_EEENSM_IJSG_SG_EEES6_PlJS6_EEE10hipError_tPvRmT3_T4_T5_T6_T7_T9_mT8_P12ihipStream_tbDpT10_ENKUlT_T0_E_clISt17integral_constantIbLb0EES19_EEDaS14_S15_EUlS14_E_NS1_11comp_targetILNS1_3genE8ELNS1_11target_archE1030ELNS1_3gpuE2ELNS1_3repE0EEENS1_30default_config_static_selectorELNS0_4arch9wavefront6targetE1EEEvT1_,"axG",@progbits,_ZN7rocprim17ROCPRIM_400000_NS6detail17trampoline_kernelINS0_14default_configENS1_25partition_config_selectorILNS1_17partition_subalgoE1EiNS0_10empty_typeEbEEZZNS1_14partition_implILS5_1ELb0ES3_jN6thrust23THRUST_200600_302600_NS6detail15normal_iteratorINSA_10device_ptrIiEEEEPS6_NSA_18transform_iteratorI7is_evenIiESF_NSA_11use_defaultESK_EENS0_5tupleIJSF_SF_EEENSM_IJSG_SG_EEES6_PlJS6_EEE10hipError_tPvRmT3_T4_T5_T6_T7_T9_mT8_P12ihipStream_tbDpT10_ENKUlT_T0_E_clISt17integral_constantIbLb0EES19_EEDaS14_S15_EUlS14_E_NS1_11comp_targetILNS1_3genE8ELNS1_11target_archE1030ELNS1_3gpuE2ELNS1_3repE0EEENS1_30default_config_static_selectorELNS0_4arch9wavefront6targetE1EEEvT1_,comdat
	.protected	_ZN7rocprim17ROCPRIM_400000_NS6detail17trampoline_kernelINS0_14default_configENS1_25partition_config_selectorILNS1_17partition_subalgoE1EiNS0_10empty_typeEbEEZZNS1_14partition_implILS5_1ELb0ES3_jN6thrust23THRUST_200600_302600_NS6detail15normal_iteratorINSA_10device_ptrIiEEEEPS6_NSA_18transform_iteratorI7is_evenIiESF_NSA_11use_defaultESK_EENS0_5tupleIJSF_SF_EEENSM_IJSG_SG_EEES6_PlJS6_EEE10hipError_tPvRmT3_T4_T5_T6_T7_T9_mT8_P12ihipStream_tbDpT10_ENKUlT_T0_E_clISt17integral_constantIbLb0EES19_EEDaS14_S15_EUlS14_E_NS1_11comp_targetILNS1_3genE8ELNS1_11target_archE1030ELNS1_3gpuE2ELNS1_3repE0EEENS1_30default_config_static_selectorELNS0_4arch9wavefront6targetE1EEEvT1_ ; -- Begin function _ZN7rocprim17ROCPRIM_400000_NS6detail17trampoline_kernelINS0_14default_configENS1_25partition_config_selectorILNS1_17partition_subalgoE1EiNS0_10empty_typeEbEEZZNS1_14partition_implILS5_1ELb0ES3_jN6thrust23THRUST_200600_302600_NS6detail15normal_iteratorINSA_10device_ptrIiEEEEPS6_NSA_18transform_iteratorI7is_evenIiESF_NSA_11use_defaultESK_EENS0_5tupleIJSF_SF_EEENSM_IJSG_SG_EEES6_PlJS6_EEE10hipError_tPvRmT3_T4_T5_T6_T7_T9_mT8_P12ihipStream_tbDpT10_ENKUlT_T0_E_clISt17integral_constantIbLb0EES19_EEDaS14_S15_EUlS14_E_NS1_11comp_targetILNS1_3genE8ELNS1_11target_archE1030ELNS1_3gpuE2ELNS1_3repE0EEENS1_30default_config_static_selectorELNS0_4arch9wavefront6targetE1EEEvT1_
	.globl	_ZN7rocprim17ROCPRIM_400000_NS6detail17trampoline_kernelINS0_14default_configENS1_25partition_config_selectorILNS1_17partition_subalgoE1EiNS0_10empty_typeEbEEZZNS1_14partition_implILS5_1ELb0ES3_jN6thrust23THRUST_200600_302600_NS6detail15normal_iteratorINSA_10device_ptrIiEEEEPS6_NSA_18transform_iteratorI7is_evenIiESF_NSA_11use_defaultESK_EENS0_5tupleIJSF_SF_EEENSM_IJSG_SG_EEES6_PlJS6_EEE10hipError_tPvRmT3_T4_T5_T6_T7_T9_mT8_P12ihipStream_tbDpT10_ENKUlT_T0_E_clISt17integral_constantIbLb0EES19_EEDaS14_S15_EUlS14_E_NS1_11comp_targetILNS1_3genE8ELNS1_11target_archE1030ELNS1_3gpuE2ELNS1_3repE0EEENS1_30default_config_static_selectorELNS0_4arch9wavefront6targetE1EEEvT1_
	.p2align	8
	.type	_ZN7rocprim17ROCPRIM_400000_NS6detail17trampoline_kernelINS0_14default_configENS1_25partition_config_selectorILNS1_17partition_subalgoE1EiNS0_10empty_typeEbEEZZNS1_14partition_implILS5_1ELb0ES3_jN6thrust23THRUST_200600_302600_NS6detail15normal_iteratorINSA_10device_ptrIiEEEEPS6_NSA_18transform_iteratorI7is_evenIiESF_NSA_11use_defaultESK_EENS0_5tupleIJSF_SF_EEENSM_IJSG_SG_EEES6_PlJS6_EEE10hipError_tPvRmT3_T4_T5_T6_T7_T9_mT8_P12ihipStream_tbDpT10_ENKUlT_T0_E_clISt17integral_constantIbLb0EES19_EEDaS14_S15_EUlS14_E_NS1_11comp_targetILNS1_3genE8ELNS1_11target_archE1030ELNS1_3gpuE2ELNS1_3repE0EEENS1_30default_config_static_selectorELNS0_4arch9wavefront6targetE1EEEvT1_,@function
_ZN7rocprim17ROCPRIM_400000_NS6detail17trampoline_kernelINS0_14default_configENS1_25partition_config_selectorILNS1_17partition_subalgoE1EiNS0_10empty_typeEbEEZZNS1_14partition_implILS5_1ELb0ES3_jN6thrust23THRUST_200600_302600_NS6detail15normal_iteratorINSA_10device_ptrIiEEEEPS6_NSA_18transform_iteratorI7is_evenIiESF_NSA_11use_defaultESK_EENS0_5tupleIJSF_SF_EEENSM_IJSG_SG_EEES6_PlJS6_EEE10hipError_tPvRmT3_T4_T5_T6_T7_T9_mT8_P12ihipStream_tbDpT10_ENKUlT_T0_E_clISt17integral_constantIbLb0EES19_EEDaS14_S15_EUlS14_E_NS1_11comp_targetILNS1_3genE8ELNS1_11target_archE1030ELNS1_3gpuE2ELNS1_3repE0EEENS1_30default_config_static_selectorELNS0_4arch9wavefront6targetE1EEEvT1_: ; @_ZN7rocprim17ROCPRIM_400000_NS6detail17trampoline_kernelINS0_14default_configENS1_25partition_config_selectorILNS1_17partition_subalgoE1EiNS0_10empty_typeEbEEZZNS1_14partition_implILS5_1ELb0ES3_jN6thrust23THRUST_200600_302600_NS6detail15normal_iteratorINSA_10device_ptrIiEEEEPS6_NSA_18transform_iteratorI7is_evenIiESF_NSA_11use_defaultESK_EENS0_5tupleIJSF_SF_EEENSM_IJSG_SG_EEES6_PlJS6_EEE10hipError_tPvRmT3_T4_T5_T6_T7_T9_mT8_P12ihipStream_tbDpT10_ENKUlT_T0_E_clISt17integral_constantIbLb0EES19_EEDaS14_S15_EUlS14_E_NS1_11comp_targetILNS1_3genE8ELNS1_11target_archE1030ELNS1_3gpuE2ELNS1_3repE0EEENS1_30default_config_static_selectorELNS0_4arch9wavefront6targetE1EEEvT1_
; %bb.0:
	.section	.rodata,"a",@progbits
	.p2align	6, 0x0
	.amdhsa_kernel _ZN7rocprim17ROCPRIM_400000_NS6detail17trampoline_kernelINS0_14default_configENS1_25partition_config_selectorILNS1_17partition_subalgoE1EiNS0_10empty_typeEbEEZZNS1_14partition_implILS5_1ELb0ES3_jN6thrust23THRUST_200600_302600_NS6detail15normal_iteratorINSA_10device_ptrIiEEEEPS6_NSA_18transform_iteratorI7is_evenIiESF_NSA_11use_defaultESK_EENS0_5tupleIJSF_SF_EEENSM_IJSG_SG_EEES6_PlJS6_EEE10hipError_tPvRmT3_T4_T5_T6_T7_T9_mT8_P12ihipStream_tbDpT10_ENKUlT_T0_E_clISt17integral_constantIbLb0EES19_EEDaS14_S15_EUlS14_E_NS1_11comp_targetILNS1_3genE8ELNS1_11target_archE1030ELNS1_3gpuE2ELNS1_3repE0EEENS1_30default_config_static_selectorELNS0_4arch9wavefront6targetE1EEEvT1_
		.amdhsa_group_segment_fixed_size 0
		.amdhsa_private_segment_fixed_size 0
		.amdhsa_kernarg_size 128
		.amdhsa_user_sgpr_count 2
		.amdhsa_user_sgpr_dispatch_ptr 0
		.amdhsa_user_sgpr_queue_ptr 0
		.amdhsa_user_sgpr_kernarg_segment_ptr 1
		.amdhsa_user_sgpr_dispatch_id 0
		.amdhsa_user_sgpr_kernarg_preload_length 0
		.amdhsa_user_sgpr_kernarg_preload_offset 0
		.amdhsa_user_sgpr_private_segment_size 0
		.amdhsa_uses_dynamic_stack 0
		.amdhsa_enable_private_segment 0
		.amdhsa_system_sgpr_workgroup_id_x 1
		.amdhsa_system_sgpr_workgroup_id_y 0
		.amdhsa_system_sgpr_workgroup_id_z 0
		.amdhsa_system_sgpr_workgroup_info 0
		.amdhsa_system_vgpr_workitem_id 0
		.amdhsa_next_free_vgpr 1
		.amdhsa_next_free_sgpr 0
		.amdhsa_accum_offset 4
		.amdhsa_reserve_vcc 0
		.amdhsa_float_round_mode_32 0
		.amdhsa_float_round_mode_16_64 0
		.amdhsa_float_denorm_mode_32 3
		.amdhsa_float_denorm_mode_16_64 3
		.amdhsa_dx10_clamp 1
		.amdhsa_ieee_mode 1
		.amdhsa_fp16_overflow 0
		.amdhsa_tg_split 0
		.amdhsa_exception_fp_ieee_invalid_op 0
		.amdhsa_exception_fp_denorm_src 0
		.amdhsa_exception_fp_ieee_div_zero 0
		.amdhsa_exception_fp_ieee_overflow 0
		.amdhsa_exception_fp_ieee_underflow 0
		.amdhsa_exception_fp_ieee_inexact 0
		.amdhsa_exception_int_div_zero 0
	.end_amdhsa_kernel
	.section	.text._ZN7rocprim17ROCPRIM_400000_NS6detail17trampoline_kernelINS0_14default_configENS1_25partition_config_selectorILNS1_17partition_subalgoE1EiNS0_10empty_typeEbEEZZNS1_14partition_implILS5_1ELb0ES3_jN6thrust23THRUST_200600_302600_NS6detail15normal_iteratorINSA_10device_ptrIiEEEEPS6_NSA_18transform_iteratorI7is_evenIiESF_NSA_11use_defaultESK_EENS0_5tupleIJSF_SF_EEENSM_IJSG_SG_EEES6_PlJS6_EEE10hipError_tPvRmT3_T4_T5_T6_T7_T9_mT8_P12ihipStream_tbDpT10_ENKUlT_T0_E_clISt17integral_constantIbLb0EES19_EEDaS14_S15_EUlS14_E_NS1_11comp_targetILNS1_3genE8ELNS1_11target_archE1030ELNS1_3gpuE2ELNS1_3repE0EEENS1_30default_config_static_selectorELNS0_4arch9wavefront6targetE1EEEvT1_,"axG",@progbits,_ZN7rocprim17ROCPRIM_400000_NS6detail17trampoline_kernelINS0_14default_configENS1_25partition_config_selectorILNS1_17partition_subalgoE1EiNS0_10empty_typeEbEEZZNS1_14partition_implILS5_1ELb0ES3_jN6thrust23THRUST_200600_302600_NS6detail15normal_iteratorINSA_10device_ptrIiEEEEPS6_NSA_18transform_iteratorI7is_evenIiESF_NSA_11use_defaultESK_EENS0_5tupleIJSF_SF_EEENSM_IJSG_SG_EEES6_PlJS6_EEE10hipError_tPvRmT3_T4_T5_T6_T7_T9_mT8_P12ihipStream_tbDpT10_ENKUlT_T0_E_clISt17integral_constantIbLb0EES19_EEDaS14_S15_EUlS14_E_NS1_11comp_targetILNS1_3genE8ELNS1_11target_archE1030ELNS1_3gpuE2ELNS1_3repE0EEENS1_30default_config_static_selectorELNS0_4arch9wavefront6targetE1EEEvT1_,comdat
.Lfunc_end424:
	.size	_ZN7rocprim17ROCPRIM_400000_NS6detail17trampoline_kernelINS0_14default_configENS1_25partition_config_selectorILNS1_17partition_subalgoE1EiNS0_10empty_typeEbEEZZNS1_14partition_implILS5_1ELb0ES3_jN6thrust23THRUST_200600_302600_NS6detail15normal_iteratorINSA_10device_ptrIiEEEEPS6_NSA_18transform_iteratorI7is_evenIiESF_NSA_11use_defaultESK_EENS0_5tupleIJSF_SF_EEENSM_IJSG_SG_EEES6_PlJS6_EEE10hipError_tPvRmT3_T4_T5_T6_T7_T9_mT8_P12ihipStream_tbDpT10_ENKUlT_T0_E_clISt17integral_constantIbLb0EES19_EEDaS14_S15_EUlS14_E_NS1_11comp_targetILNS1_3genE8ELNS1_11target_archE1030ELNS1_3gpuE2ELNS1_3repE0EEENS1_30default_config_static_selectorELNS0_4arch9wavefront6targetE1EEEvT1_, .Lfunc_end424-_ZN7rocprim17ROCPRIM_400000_NS6detail17trampoline_kernelINS0_14default_configENS1_25partition_config_selectorILNS1_17partition_subalgoE1EiNS0_10empty_typeEbEEZZNS1_14partition_implILS5_1ELb0ES3_jN6thrust23THRUST_200600_302600_NS6detail15normal_iteratorINSA_10device_ptrIiEEEEPS6_NSA_18transform_iteratorI7is_evenIiESF_NSA_11use_defaultESK_EENS0_5tupleIJSF_SF_EEENSM_IJSG_SG_EEES6_PlJS6_EEE10hipError_tPvRmT3_T4_T5_T6_T7_T9_mT8_P12ihipStream_tbDpT10_ENKUlT_T0_E_clISt17integral_constantIbLb0EES19_EEDaS14_S15_EUlS14_E_NS1_11comp_targetILNS1_3genE8ELNS1_11target_archE1030ELNS1_3gpuE2ELNS1_3repE0EEENS1_30default_config_static_selectorELNS0_4arch9wavefront6targetE1EEEvT1_
                                        ; -- End function
	.section	.AMDGPU.csdata,"",@progbits
; Kernel info:
; codeLenInByte = 0
; NumSgprs: 6
; NumVgprs: 0
; NumAgprs: 0
; TotalNumVgprs: 0
; ScratchSize: 0
; MemoryBound: 0
; FloatMode: 240
; IeeeMode: 1
; LDSByteSize: 0 bytes/workgroup (compile time only)
; SGPRBlocks: 0
; VGPRBlocks: 0
; NumSGPRsForWavesPerEU: 6
; NumVGPRsForWavesPerEU: 1
; AccumOffset: 4
; Occupancy: 8
; WaveLimiterHint : 0
; COMPUTE_PGM_RSRC2:SCRATCH_EN: 0
; COMPUTE_PGM_RSRC2:USER_SGPR: 2
; COMPUTE_PGM_RSRC2:TRAP_HANDLER: 0
; COMPUTE_PGM_RSRC2:TGID_X_EN: 1
; COMPUTE_PGM_RSRC2:TGID_Y_EN: 0
; COMPUTE_PGM_RSRC2:TGID_Z_EN: 0
; COMPUTE_PGM_RSRC2:TIDIG_COMP_CNT: 0
; COMPUTE_PGM_RSRC3_GFX90A:ACCUM_OFFSET: 0
; COMPUTE_PGM_RSRC3_GFX90A:TG_SPLIT: 0
	.section	.text._ZN7rocprim17ROCPRIM_400000_NS6detail17trampoline_kernelINS0_14default_configENS1_25partition_config_selectorILNS1_17partition_subalgoE1EiNS0_10empty_typeEbEEZZNS1_14partition_implILS5_1ELb0ES3_jN6thrust23THRUST_200600_302600_NS6detail15normal_iteratorINSA_10device_ptrIiEEEEPS6_NSA_18transform_iteratorI7is_evenIiESF_NSA_11use_defaultESK_EENS0_5tupleIJSF_SF_EEENSM_IJSG_SG_EEES6_PlJS6_EEE10hipError_tPvRmT3_T4_T5_T6_T7_T9_mT8_P12ihipStream_tbDpT10_ENKUlT_T0_E_clISt17integral_constantIbLb1EES19_EEDaS14_S15_EUlS14_E_NS1_11comp_targetILNS1_3genE0ELNS1_11target_archE4294967295ELNS1_3gpuE0ELNS1_3repE0EEENS1_30default_config_static_selectorELNS0_4arch9wavefront6targetE1EEEvT1_,"axG",@progbits,_ZN7rocprim17ROCPRIM_400000_NS6detail17trampoline_kernelINS0_14default_configENS1_25partition_config_selectorILNS1_17partition_subalgoE1EiNS0_10empty_typeEbEEZZNS1_14partition_implILS5_1ELb0ES3_jN6thrust23THRUST_200600_302600_NS6detail15normal_iteratorINSA_10device_ptrIiEEEEPS6_NSA_18transform_iteratorI7is_evenIiESF_NSA_11use_defaultESK_EENS0_5tupleIJSF_SF_EEENSM_IJSG_SG_EEES6_PlJS6_EEE10hipError_tPvRmT3_T4_T5_T6_T7_T9_mT8_P12ihipStream_tbDpT10_ENKUlT_T0_E_clISt17integral_constantIbLb1EES19_EEDaS14_S15_EUlS14_E_NS1_11comp_targetILNS1_3genE0ELNS1_11target_archE4294967295ELNS1_3gpuE0ELNS1_3repE0EEENS1_30default_config_static_selectorELNS0_4arch9wavefront6targetE1EEEvT1_,comdat
	.protected	_ZN7rocprim17ROCPRIM_400000_NS6detail17trampoline_kernelINS0_14default_configENS1_25partition_config_selectorILNS1_17partition_subalgoE1EiNS0_10empty_typeEbEEZZNS1_14partition_implILS5_1ELb0ES3_jN6thrust23THRUST_200600_302600_NS6detail15normal_iteratorINSA_10device_ptrIiEEEEPS6_NSA_18transform_iteratorI7is_evenIiESF_NSA_11use_defaultESK_EENS0_5tupleIJSF_SF_EEENSM_IJSG_SG_EEES6_PlJS6_EEE10hipError_tPvRmT3_T4_T5_T6_T7_T9_mT8_P12ihipStream_tbDpT10_ENKUlT_T0_E_clISt17integral_constantIbLb1EES19_EEDaS14_S15_EUlS14_E_NS1_11comp_targetILNS1_3genE0ELNS1_11target_archE4294967295ELNS1_3gpuE0ELNS1_3repE0EEENS1_30default_config_static_selectorELNS0_4arch9wavefront6targetE1EEEvT1_ ; -- Begin function _ZN7rocprim17ROCPRIM_400000_NS6detail17trampoline_kernelINS0_14default_configENS1_25partition_config_selectorILNS1_17partition_subalgoE1EiNS0_10empty_typeEbEEZZNS1_14partition_implILS5_1ELb0ES3_jN6thrust23THRUST_200600_302600_NS6detail15normal_iteratorINSA_10device_ptrIiEEEEPS6_NSA_18transform_iteratorI7is_evenIiESF_NSA_11use_defaultESK_EENS0_5tupleIJSF_SF_EEENSM_IJSG_SG_EEES6_PlJS6_EEE10hipError_tPvRmT3_T4_T5_T6_T7_T9_mT8_P12ihipStream_tbDpT10_ENKUlT_T0_E_clISt17integral_constantIbLb1EES19_EEDaS14_S15_EUlS14_E_NS1_11comp_targetILNS1_3genE0ELNS1_11target_archE4294967295ELNS1_3gpuE0ELNS1_3repE0EEENS1_30default_config_static_selectorELNS0_4arch9wavefront6targetE1EEEvT1_
	.globl	_ZN7rocprim17ROCPRIM_400000_NS6detail17trampoline_kernelINS0_14default_configENS1_25partition_config_selectorILNS1_17partition_subalgoE1EiNS0_10empty_typeEbEEZZNS1_14partition_implILS5_1ELb0ES3_jN6thrust23THRUST_200600_302600_NS6detail15normal_iteratorINSA_10device_ptrIiEEEEPS6_NSA_18transform_iteratorI7is_evenIiESF_NSA_11use_defaultESK_EENS0_5tupleIJSF_SF_EEENSM_IJSG_SG_EEES6_PlJS6_EEE10hipError_tPvRmT3_T4_T5_T6_T7_T9_mT8_P12ihipStream_tbDpT10_ENKUlT_T0_E_clISt17integral_constantIbLb1EES19_EEDaS14_S15_EUlS14_E_NS1_11comp_targetILNS1_3genE0ELNS1_11target_archE4294967295ELNS1_3gpuE0ELNS1_3repE0EEENS1_30default_config_static_selectorELNS0_4arch9wavefront6targetE1EEEvT1_
	.p2align	8
	.type	_ZN7rocprim17ROCPRIM_400000_NS6detail17trampoline_kernelINS0_14default_configENS1_25partition_config_selectorILNS1_17partition_subalgoE1EiNS0_10empty_typeEbEEZZNS1_14partition_implILS5_1ELb0ES3_jN6thrust23THRUST_200600_302600_NS6detail15normal_iteratorINSA_10device_ptrIiEEEEPS6_NSA_18transform_iteratorI7is_evenIiESF_NSA_11use_defaultESK_EENS0_5tupleIJSF_SF_EEENSM_IJSG_SG_EEES6_PlJS6_EEE10hipError_tPvRmT3_T4_T5_T6_T7_T9_mT8_P12ihipStream_tbDpT10_ENKUlT_T0_E_clISt17integral_constantIbLb1EES19_EEDaS14_S15_EUlS14_E_NS1_11comp_targetILNS1_3genE0ELNS1_11target_archE4294967295ELNS1_3gpuE0ELNS1_3repE0EEENS1_30default_config_static_selectorELNS0_4arch9wavefront6targetE1EEEvT1_,@function
_ZN7rocprim17ROCPRIM_400000_NS6detail17trampoline_kernelINS0_14default_configENS1_25partition_config_selectorILNS1_17partition_subalgoE1EiNS0_10empty_typeEbEEZZNS1_14partition_implILS5_1ELb0ES3_jN6thrust23THRUST_200600_302600_NS6detail15normal_iteratorINSA_10device_ptrIiEEEEPS6_NSA_18transform_iteratorI7is_evenIiESF_NSA_11use_defaultESK_EENS0_5tupleIJSF_SF_EEENSM_IJSG_SG_EEES6_PlJS6_EEE10hipError_tPvRmT3_T4_T5_T6_T7_T9_mT8_P12ihipStream_tbDpT10_ENKUlT_T0_E_clISt17integral_constantIbLb1EES19_EEDaS14_S15_EUlS14_E_NS1_11comp_targetILNS1_3genE0ELNS1_11target_archE4294967295ELNS1_3gpuE0ELNS1_3repE0EEENS1_30default_config_static_selectorELNS0_4arch9wavefront6targetE1EEEvT1_: ; @_ZN7rocprim17ROCPRIM_400000_NS6detail17trampoline_kernelINS0_14default_configENS1_25partition_config_selectorILNS1_17partition_subalgoE1EiNS0_10empty_typeEbEEZZNS1_14partition_implILS5_1ELb0ES3_jN6thrust23THRUST_200600_302600_NS6detail15normal_iteratorINSA_10device_ptrIiEEEEPS6_NSA_18transform_iteratorI7is_evenIiESF_NSA_11use_defaultESK_EENS0_5tupleIJSF_SF_EEENSM_IJSG_SG_EEES6_PlJS6_EEE10hipError_tPvRmT3_T4_T5_T6_T7_T9_mT8_P12ihipStream_tbDpT10_ENKUlT_T0_E_clISt17integral_constantIbLb1EES19_EEDaS14_S15_EUlS14_E_NS1_11comp_targetILNS1_3genE0ELNS1_11target_archE4294967295ELNS1_3gpuE0ELNS1_3repE0EEENS1_30default_config_static_selectorELNS0_4arch9wavefront6targetE1EEEvT1_
; %bb.0:
	.section	.rodata,"a",@progbits
	.p2align	6, 0x0
	.amdhsa_kernel _ZN7rocprim17ROCPRIM_400000_NS6detail17trampoline_kernelINS0_14default_configENS1_25partition_config_selectorILNS1_17partition_subalgoE1EiNS0_10empty_typeEbEEZZNS1_14partition_implILS5_1ELb0ES3_jN6thrust23THRUST_200600_302600_NS6detail15normal_iteratorINSA_10device_ptrIiEEEEPS6_NSA_18transform_iteratorI7is_evenIiESF_NSA_11use_defaultESK_EENS0_5tupleIJSF_SF_EEENSM_IJSG_SG_EEES6_PlJS6_EEE10hipError_tPvRmT3_T4_T5_T6_T7_T9_mT8_P12ihipStream_tbDpT10_ENKUlT_T0_E_clISt17integral_constantIbLb1EES19_EEDaS14_S15_EUlS14_E_NS1_11comp_targetILNS1_3genE0ELNS1_11target_archE4294967295ELNS1_3gpuE0ELNS1_3repE0EEENS1_30default_config_static_selectorELNS0_4arch9wavefront6targetE1EEEvT1_
		.amdhsa_group_segment_fixed_size 0
		.amdhsa_private_segment_fixed_size 0
		.amdhsa_kernarg_size 144
		.amdhsa_user_sgpr_count 2
		.amdhsa_user_sgpr_dispatch_ptr 0
		.amdhsa_user_sgpr_queue_ptr 0
		.amdhsa_user_sgpr_kernarg_segment_ptr 1
		.amdhsa_user_sgpr_dispatch_id 0
		.amdhsa_user_sgpr_kernarg_preload_length 0
		.amdhsa_user_sgpr_kernarg_preload_offset 0
		.amdhsa_user_sgpr_private_segment_size 0
		.amdhsa_uses_dynamic_stack 0
		.amdhsa_enable_private_segment 0
		.amdhsa_system_sgpr_workgroup_id_x 1
		.amdhsa_system_sgpr_workgroup_id_y 0
		.amdhsa_system_sgpr_workgroup_id_z 0
		.amdhsa_system_sgpr_workgroup_info 0
		.amdhsa_system_vgpr_workitem_id 0
		.amdhsa_next_free_vgpr 1
		.amdhsa_next_free_sgpr 0
		.amdhsa_accum_offset 4
		.amdhsa_reserve_vcc 0
		.amdhsa_float_round_mode_32 0
		.amdhsa_float_round_mode_16_64 0
		.amdhsa_float_denorm_mode_32 3
		.amdhsa_float_denorm_mode_16_64 3
		.amdhsa_dx10_clamp 1
		.amdhsa_ieee_mode 1
		.amdhsa_fp16_overflow 0
		.amdhsa_tg_split 0
		.amdhsa_exception_fp_ieee_invalid_op 0
		.amdhsa_exception_fp_denorm_src 0
		.amdhsa_exception_fp_ieee_div_zero 0
		.amdhsa_exception_fp_ieee_overflow 0
		.amdhsa_exception_fp_ieee_underflow 0
		.amdhsa_exception_fp_ieee_inexact 0
		.amdhsa_exception_int_div_zero 0
	.end_amdhsa_kernel
	.section	.text._ZN7rocprim17ROCPRIM_400000_NS6detail17trampoline_kernelINS0_14default_configENS1_25partition_config_selectorILNS1_17partition_subalgoE1EiNS0_10empty_typeEbEEZZNS1_14partition_implILS5_1ELb0ES3_jN6thrust23THRUST_200600_302600_NS6detail15normal_iteratorINSA_10device_ptrIiEEEEPS6_NSA_18transform_iteratorI7is_evenIiESF_NSA_11use_defaultESK_EENS0_5tupleIJSF_SF_EEENSM_IJSG_SG_EEES6_PlJS6_EEE10hipError_tPvRmT3_T4_T5_T6_T7_T9_mT8_P12ihipStream_tbDpT10_ENKUlT_T0_E_clISt17integral_constantIbLb1EES19_EEDaS14_S15_EUlS14_E_NS1_11comp_targetILNS1_3genE0ELNS1_11target_archE4294967295ELNS1_3gpuE0ELNS1_3repE0EEENS1_30default_config_static_selectorELNS0_4arch9wavefront6targetE1EEEvT1_,"axG",@progbits,_ZN7rocprim17ROCPRIM_400000_NS6detail17trampoline_kernelINS0_14default_configENS1_25partition_config_selectorILNS1_17partition_subalgoE1EiNS0_10empty_typeEbEEZZNS1_14partition_implILS5_1ELb0ES3_jN6thrust23THRUST_200600_302600_NS6detail15normal_iteratorINSA_10device_ptrIiEEEEPS6_NSA_18transform_iteratorI7is_evenIiESF_NSA_11use_defaultESK_EENS0_5tupleIJSF_SF_EEENSM_IJSG_SG_EEES6_PlJS6_EEE10hipError_tPvRmT3_T4_T5_T6_T7_T9_mT8_P12ihipStream_tbDpT10_ENKUlT_T0_E_clISt17integral_constantIbLb1EES19_EEDaS14_S15_EUlS14_E_NS1_11comp_targetILNS1_3genE0ELNS1_11target_archE4294967295ELNS1_3gpuE0ELNS1_3repE0EEENS1_30default_config_static_selectorELNS0_4arch9wavefront6targetE1EEEvT1_,comdat
.Lfunc_end425:
	.size	_ZN7rocprim17ROCPRIM_400000_NS6detail17trampoline_kernelINS0_14default_configENS1_25partition_config_selectorILNS1_17partition_subalgoE1EiNS0_10empty_typeEbEEZZNS1_14partition_implILS5_1ELb0ES3_jN6thrust23THRUST_200600_302600_NS6detail15normal_iteratorINSA_10device_ptrIiEEEEPS6_NSA_18transform_iteratorI7is_evenIiESF_NSA_11use_defaultESK_EENS0_5tupleIJSF_SF_EEENSM_IJSG_SG_EEES6_PlJS6_EEE10hipError_tPvRmT3_T4_T5_T6_T7_T9_mT8_P12ihipStream_tbDpT10_ENKUlT_T0_E_clISt17integral_constantIbLb1EES19_EEDaS14_S15_EUlS14_E_NS1_11comp_targetILNS1_3genE0ELNS1_11target_archE4294967295ELNS1_3gpuE0ELNS1_3repE0EEENS1_30default_config_static_selectorELNS0_4arch9wavefront6targetE1EEEvT1_, .Lfunc_end425-_ZN7rocprim17ROCPRIM_400000_NS6detail17trampoline_kernelINS0_14default_configENS1_25partition_config_selectorILNS1_17partition_subalgoE1EiNS0_10empty_typeEbEEZZNS1_14partition_implILS5_1ELb0ES3_jN6thrust23THRUST_200600_302600_NS6detail15normal_iteratorINSA_10device_ptrIiEEEEPS6_NSA_18transform_iteratorI7is_evenIiESF_NSA_11use_defaultESK_EENS0_5tupleIJSF_SF_EEENSM_IJSG_SG_EEES6_PlJS6_EEE10hipError_tPvRmT3_T4_T5_T6_T7_T9_mT8_P12ihipStream_tbDpT10_ENKUlT_T0_E_clISt17integral_constantIbLb1EES19_EEDaS14_S15_EUlS14_E_NS1_11comp_targetILNS1_3genE0ELNS1_11target_archE4294967295ELNS1_3gpuE0ELNS1_3repE0EEENS1_30default_config_static_selectorELNS0_4arch9wavefront6targetE1EEEvT1_
                                        ; -- End function
	.section	.AMDGPU.csdata,"",@progbits
; Kernel info:
; codeLenInByte = 0
; NumSgprs: 6
; NumVgprs: 0
; NumAgprs: 0
; TotalNumVgprs: 0
; ScratchSize: 0
; MemoryBound: 0
; FloatMode: 240
; IeeeMode: 1
; LDSByteSize: 0 bytes/workgroup (compile time only)
; SGPRBlocks: 0
; VGPRBlocks: 0
; NumSGPRsForWavesPerEU: 6
; NumVGPRsForWavesPerEU: 1
; AccumOffset: 4
; Occupancy: 8
; WaveLimiterHint : 0
; COMPUTE_PGM_RSRC2:SCRATCH_EN: 0
; COMPUTE_PGM_RSRC2:USER_SGPR: 2
; COMPUTE_PGM_RSRC2:TRAP_HANDLER: 0
; COMPUTE_PGM_RSRC2:TGID_X_EN: 1
; COMPUTE_PGM_RSRC2:TGID_Y_EN: 0
; COMPUTE_PGM_RSRC2:TGID_Z_EN: 0
; COMPUTE_PGM_RSRC2:TIDIG_COMP_CNT: 0
; COMPUTE_PGM_RSRC3_GFX90A:ACCUM_OFFSET: 0
; COMPUTE_PGM_RSRC3_GFX90A:TG_SPLIT: 0
	.section	.text._ZN7rocprim17ROCPRIM_400000_NS6detail17trampoline_kernelINS0_14default_configENS1_25partition_config_selectorILNS1_17partition_subalgoE1EiNS0_10empty_typeEbEEZZNS1_14partition_implILS5_1ELb0ES3_jN6thrust23THRUST_200600_302600_NS6detail15normal_iteratorINSA_10device_ptrIiEEEEPS6_NSA_18transform_iteratorI7is_evenIiESF_NSA_11use_defaultESK_EENS0_5tupleIJSF_SF_EEENSM_IJSG_SG_EEES6_PlJS6_EEE10hipError_tPvRmT3_T4_T5_T6_T7_T9_mT8_P12ihipStream_tbDpT10_ENKUlT_T0_E_clISt17integral_constantIbLb1EES19_EEDaS14_S15_EUlS14_E_NS1_11comp_targetILNS1_3genE5ELNS1_11target_archE942ELNS1_3gpuE9ELNS1_3repE0EEENS1_30default_config_static_selectorELNS0_4arch9wavefront6targetE1EEEvT1_,"axG",@progbits,_ZN7rocprim17ROCPRIM_400000_NS6detail17trampoline_kernelINS0_14default_configENS1_25partition_config_selectorILNS1_17partition_subalgoE1EiNS0_10empty_typeEbEEZZNS1_14partition_implILS5_1ELb0ES3_jN6thrust23THRUST_200600_302600_NS6detail15normal_iteratorINSA_10device_ptrIiEEEEPS6_NSA_18transform_iteratorI7is_evenIiESF_NSA_11use_defaultESK_EENS0_5tupleIJSF_SF_EEENSM_IJSG_SG_EEES6_PlJS6_EEE10hipError_tPvRmT3_T4_T5_T6_T7_T9_mT8_P12ihipStream_tbDpT10_ENKUlT_T0_E_clISt17integral_constantIbLb1EES19_EEDaS14_S15_EUlS14_E_NS1_11comp_targetILNS1_3genE5ELNS1_11target_archE942ELNS1_3gpuE9ELNS1_3repE0EEENS1_30default_config_static_selectorELNS0_4arch9wavefront6targetE1EEEvT1_,comdat
	.protected	_ZN7rocprim17ROCPRIM_400000_NS6detail17trampoline_kernelINS0_14default_configENS1_25partition_config_selectorILNS1_17partition_subalgoE1EiNS0_10empty_typeEbEEZZNS1_14partition_implILS5_1ELb0ES3_jN6thrust23THRUST_200600_302600_NS6detail15normal_iteratorINSA_10device_ptrIiEEEEPS6_NSA_18transform_iteratorI7is_evenIiESF_NSA_11use_defaultESK_EENS0_5tupleIJSF_SF_EEENSM_IJSG_SG_EEES6_PlJS6_EEE10hipError_tPvRmT3_T4_T5_T6_T7_T9_mT8_P12ihipStream_tbDpT10_ENKUlT_T0_E_clISt17integral_constantIbLb1EES19_EEDaS14_S15_EUlS14_E_NS1_11comp_targetILNS1_3genE5ELNS1_11target_archE942ELNS1_3gpuE9ELNS1_3repE0EEENS1_30default_config_static_selectorELNS0_4arch9wavefront6targetE1EEEvT1_ ; -- Begin function _ZN7rocprim17ROCPRIM_400000_NS6detail17trampoline_kernelINS0_14default_configENS1_25partition_config_selectorILNS1_17partition_subalgoE1EiNS0_10empty_typeEbEEZZNS1_14partition_implILS5_1ELb0ES3_jN6thrust23THRUST_200600_302600_NS6detail15normal_iteratorINSA_10device_ptrIiEEEEPS6_NSA_18transform_iteratorI7is_evenIiESF_NSA_11use_defaultESK_EENS0_5tupleIJSF_SF_EEENSM_IJSG_SG_EEES6_PlJS6_EEE10hipError_tPvRmT3_T4_T5_T6_T7_T9_mT8_P12ihipStream_tbDpT10_ENKUlT_T0_E_clISt17integral_constantIbLb1EES19_EEDaS14_S15_EUlS14_E_NS1_11comp_targetILNS1_3genE5ELNS1_11target_archE942ELNS1_3gpuE9ELNS1_3repE0EEENS1_30default_config_static_selectorELNS0_4arch9wavefront6targetE1EEEvT1_
	.globl	_ZN7rocprim17ROCPRIM_400000_NS6detail17trampoline_kernelINS0_14default_configENS1_25partition_config_selectorILNS1_17partition_subalgoE1EiNS0_10empty_typeEbEEZZNS1_14partition_implILS5_1ELb0ES3_jN6thrust23THRUST_200600_302600_NS6detail15normal_iteratorINSA_10device_ptrIiEEEEPS6_NSA_18transform_iteratorI7is_evenIiESF_NSA_11use_defaultESK_EENS0_5tupleIJSF_SF_EEENSM_IJSG_SG_EEES6_PlJS6_EEE10hipError_tPvRmT3_T4_T5_T6_T7_T9_mT8_P12ihipStream_tbDpT10_ENKUlT_T0_E_clISt17integral_constantIbLb1EES19_EEDaS14_S15_EUlS14_E_NS1_11comp_targetILNS1_3genE5ELNS1_11target_archE942ELNS1_3gpuE9ELNS1_3repE0EEENS1_30default_config_static_selectorELNS0_4arch9wavefront6targetE1EEEvT1_
	.p2align	8
	.type	_ZN7rocprim17ROCPRIM_400000_NS6detail17trampoline_kernelINS0_14default_configENS1_25partition_config_selectorILNS1_17partition_subalgoE1EiNS0_10empty_typeEbEEZZNS1_14partition_implILS5_1ELb0ES3_jN6thrust23THRUST_200600_302600_NS6detail15normal_iteratorINSA_10device_ptrIiEEEEPS6_NSA_18transform_iteratorI7is_evenIiESF_NSA_11use_defaultESK_EENS0_5tupleIJSF_SF_EEENSM_IJSG_SG_EEES6_PlJS6_EEE10hipError_tPvRmT3_T4_T5_T6_T7_T9_mT8_P12ihipStream_tbDpT10_ENKUlT_T0_E_clISt17integral_constantIbLb1EES19_EEDaS14_S15_EUlS14_E_NS1_11comp_targetILNS1_3genE5ELNS1_11target_archE942ELNS1_3gpuE9ELNS1_3repE0EEENS1_30default_config_static_selectorELNS0_4arch9wavefront6targetE1EEEvT1_,@function
_ZN7rocprim17ROCPRIM_400000_NS6detail17trampoline_kernelINS0_14default_configENS1_25partition_config_selectorILNS1_17partition_subalgoE1EiNS0_10empty_typeEbEEZZNS1_14partition_implILS5_1ELb0ES3_jN6thrust23THRUST_200600_302600_NS6detail15normal_iteratorINSA_10device_ptrIiEEEEPS6_NSA_18transform_iteratorI7is_evenIiESF_NSA_11use_defaultESK_EENS0_5tupleIJSF_SF_EEENSM_IJSG_SG_EEES6_PlJS6_EEE10hipError_tPvRmT3_T4_T5_T6_T7_T9_mT8_P12ihipStream_tbDpT10_ENKUlT_T0_E_clISt17integral_constantIbLb1EES19_EEDaS14_S15_EUlS14_E_NS1_11comp_targetILNS1_3genE5ELNS1_11target_archE942ELNS1_3gpuE9ELNS1_3repE0EEENS1_30default_config_static_selectorELNS0_4arch9wavefront6targetE1EEEvT1_: ; @_ZN7rocprim17ROCPRIM_400000_NS6detail17trampoline_kernelINS0_14default_configENS1_25partition_config_selectorILNS1_17partition_subalgoE1EiNS0_10empty_typeEbEEZZNS1_14partition_implILS5_1ELb0ES3_jN6thrust23THRUST_200600_302600_NS6detail15normal_iteratorINSA_10device_ptrIiEEEEPS6_NSA_18transform_iteratorI7is_evenIiESF_NSA_11use_defaultESK_EENS0_5tupleIJSF_SF_EEENSM_IJSG_SG_EEES6_PlJS6_EEE10hipError_tPvRmT3_T4_T5_T6_T7_T9_mT8_P12ihipStream_tbDpT10_ENKUlT_T0_E_clISt17integral_constantIbLb1EES19_EEDaS14_S15_EUlS14_E_NS1_11comp_targetILNS1_3genE5ELNS1_11target_archE942ELNS1_3gpuE9ELNS1_3repE0EEENS1_30default_config_static_selectorELNS0_4arch9wavefront6targetE1EEEvT1_
; %bb.0:
	s_load_dwordx2 s[2:3], s[0:1], 0x20
	s_load_dwordx4 s[20:23], s[0:1], 0x50
	s_load_dwordx2 s[6:7], s[0:1], 0x60
	s_load_dwordx2 s[34:35], s[0:1], 0x70
	v_cmp_eq_u32_e64 s[18:19], 0, v0
	s_and_saveexec_b64 s[4:5], s[18:19]
	s_cbranch_execz .LBB426_4
; %bb.1:
	s_mov_b64 s[10:11], exec
	v_mbcnt_lo_u32_b32 v1, s10, 0
	v_mbcnt_hi_u32_b32 v1, s11, v1
	v_cmp_eq_u32_e32 vcc, 0, v1
                                        ; implicit-def: $vgpr2
	s_and_saveexec_b64 s[8:9], vcc
	s_cbranch_execz .LBB426_3
; %bb.2:
	s_load_dwordx2 s[12:13], s[0:1], 0x80
	s_bcnt1_i32_b64 s10, s[10:11]
	v_mov_b32_e32 v2, 0
	v_mov_b32_e32 v3, s10
	s_waitcnt lgkmcnt(0)
	global_atomic_add v2, v2, v3, s[12:13] sc0
.LBB426_3:
	s_or_b64 exec, exec, s[8:9]
	s_waitcnt vmcnt(0)
	v_readfirstlane_b32 s8, v2
	v_mov_b32_e32 v2, 0
	s_nop 0
	v_add_u32_e32 v1, s8, v1
	ds_write_b32 v2, v1
.LBB426_4:
	s_or_b64 exec, exec, s[4:5]
	v_mov_b32_e32 v23, 0
	s_load_dwordx4 s[28:31], s[0:1], 0x8
	s_load_dwordx4 s[24:27], s[0:1], 0x30
	s_load_dword s8, s[0:1], 0x78
	s_waitcnt lgkmcnt(0)
	s_barrier
	ds_read_b32 v1, v23
	s_waitcnt lgkmcnt(0)
	s_barrier
	global_load_dwordx2 v[24:25], v23, s[22:23]
	v_mov_b32_e32 v3, s7
	s_lshl_b64 s[4:5], s[30:31], 2
	s_movk_i32 s7, 0x1e00
	s_add_u32 s0, s28, s4
	v_mul_lo_u32 v22, v1, s7
	s_mul_i32 s7, s8, 0x1e00
	s_addc_u32 s1, s29, s5
	s_add_i32 s9, s8, -1
	s_add_i32 s8, s7, s30
	s_sub_i32 s33, s6, s8
	s_addk_i32 s33, 0x1e00
	v_mov_b32_e32 v2, s6
	s_add_u32 s6, s30, s7
	v_readfirstlane_b32 s40, v1
	s_addc_u32 s7, s31, 0
	s_cmp_eq_u32 s40, s9
	s_cselect_b64 s[22:23], -1, 0
	s_cmp_lg_u32 s40, s9
	v_cmp_lt_u64_e32 vcc, s[6:7], v[2:3]
	s_cselect_b64 s[6:7], -1, 0
	s_or_b64 s[28:29], vcc, s[6:7]
	v_lshlrev_b64 v[26:27], 2, v[22:23]
	v_lshl_add_u64 v[18:19], s[0:1], 0, v[26:27]
	s_mov_b64 s[0:1], -1
	s_and_b64 vcc, exec, s[28:29]
	v_lshlrev_b32_e32 v22, 2, v0
	s_cbranch_vccz .LBB426_6
; %bb.5:
	v_lshl_add_u64 v[2:3], v[18:19], 0, v[22:23]
	v_add_co_u32_e32 v4, vcc, 0x1000, v2
	s_mov_b64 s[0:1], 0
	s_nop 0
	v_addc_co_u32_e32 v5, vcc, 0, v3, vcc
	v_add_co_u32_e32 v6, vcc, 0x2000, v2
	s_nop 1
	v_addc_co_u32_e32 v7, vcc, 0, v3, vcc
	v_add_co_u32_e32 v8, vcc, 0x3000, v2
	s_nop 1
	v_addc_co_u32_e32 v9, vcc, 0, v3, vcc
	flat_load_dword v1, v[2:3]
	flat_load_dword v10, v[2:3] offset:2048
	flat_load_dword v11, v[4:5]
	flat_load_dword v12, v[4:5] offset:2048
	;; [unrolled: 2-line block ×4, first 2 shown]
	v_add_co_u32_e32 v4, vcc, 0x4000, v2
	s_nop 1
	v_addc_co_u32_e32 v5, vcc, 0, v3, vcc
	v_add_co_u32_e32 v6, vcc, 0x5000, v2
	s_nop 1
	v_addc_co_u32_e32 v7, vcc, 0, v3, vcc
	;; [unrolled: 3-line block ×4, first 2 shown]
	flat_load_dword v17, v[4:5]
	flat_load_dword v20, v[4:5] offset:2048
	flat_load_dword v21, v[6:7]
	flat_load_dword v23, v[6:7] offset:2048
	flat_load_dword v28, v[8:9]
	flat_load_dword v29, v[8:9] offset:2048
	flat_load_dword v30, v[2:3]
	s_waitcnt vmcnt(0) lgkmcnt(0)
	ds_write2st64_b32 v22, v1, v10 offset1:8
	ds_write2st64_b32 v22, v11, v12 offset0:16 offset1:24
	ds_write2st64_b32 v22, v13, v14 offset0:32 offset1:40
	;; [unrolled: 1-line block ×6, first 2 shown]
	ds_write_b32 v22, v30 offset:28672
	s_waitcnt lgkmcnt(0)
	s_barrier
.LBB426_6:
	s_andn2_b64 vcc, exec, s[0:1]
	v_cmp_gt_u32_e64 s[0:1], s33, v0
	s_cbranch_vccnz .LBB426_38
; %bb.7:
                                        ; implicit-def: $vgpr2_vgpr3_vgpr4_vgpr5_vgpr6_vgpr7_vgpr8_vgpr9_vgpr10_vgpr11_vgpr12_vgpr13_vgpr14_vgpr15_vgpr16_vgpr17
	s_and_saveexec_b64 s[6:7], s[0:1]
	s_cbranch_execz .LBB426_9
; %bb.8:
	v_mov_b32_e32 v23, 0
	v_lshl_add_u64 v[2:3], v[18:19], 0, v[22:23]
	flat_load_dword v2, v[2:3]
.LBB426_9:
	s_or_b64 exec, exec, s[6:7]
	v_or_b32_e32 v1, 0x200, v0
	v_cmp_gt_u32_e32 vcc, s33, v1
	s_and_saveexec_b64 s[0:1], vcc
	s_cbranch_execz .LBB426_11
; %bb.10:
	v_mov_b32_e32 v23, 0
	v_lshl_add_u64 v[20:21], v[18:19], 0, v[22:23]
	flat_load_dword v3, v[20:21] offset:2048
.LBB426_11:
	s_or_b64 exec, exec, s[0:1]
	v_or_b32_e32 v1, 0x400, v0
	v_cmp_gt_u32_e32 vcc, s33, v1
	s_and_saveexec_b64 s[0:1], vcc
	s_cbranch_execz .LBB426_13
; %bb.12:
	v_lshlrev_b32_e32 v20, 2, v1
	v_mov_b32_e32 v21, 0
	v_lshl_add_u64 v[20:21], v[18:19], 0, v[20:21]
	flat_load_dword v4, v[20:21]
.LBB426_13:
	s_or_b64 exec, exec, s[0:1]
	v_or_b32_e32 v1, 0x600, v0
	v_cmp_gt_u32_e32 vcc, s33, v1
	s_and_saveexec_b64 s[0:1], vcc
	s_cbranch_execz .LBB426_15
; %bb.14:
	v_lshlrev_b32_e32 v20, 2, v1
	v_mov_b32_e32 v21, 0
	v_lshl_add_u64 v[20:21], v[18:19], 0, v[20:21]
	flat_load_dword v5, v[20:21]
.LBB426_15:
	;; [unrolled: 11-line block ×13, first 2 shown]
	s_or_b64 exec, exec, s[0:1]
	s_waitcnt vmcnt(0) lgkmcnt(0)
	ds_write2st64_b32 v22, v2, v3 offset1:8
	ds_write2st64_b32 v22, v4, v5 offset0:16 offset1:24
	ds_write2st64_b32 v22, v6, v7 offset0:32 offset1:40
	;; [unrolled: 1-line block ×6, first 2 shown]
	ds_write_b32 v22, v16 offset:28672
	s_waitcnt lgkmcnt(0)
	s_barrier
.LBB426_38:
	v_mul_u32_u24_e32 v21, 15, v0
	v_lshlrev_b32_e32 v1, 2, v21
	ds_read2_b32 v[40:41], v1 offset1:1
	ds_read2_b32 v[38:39], v1 offset0:2 offset1:3
	ds_read2_b32 v[36:37], v1 offset0:4 offset1:5
	;; [unrolled: 1-line block ×6, first 2 shown]
	ds_read_b32 v1, v1 offset:56
	s_add_u32 s0, s2, s4
	s_addc_u32 s1, s3, s5
	v_lshl_add_u64 v[2:3], s[0:1], 0, v[26:27]
	s_mov_b64 s[0:1], -1
	s_and_b64 vcc, exec, s[28:29]
	s_waitcnt lgkmcnt(0)
	s_barrier
	s_cbranch_vccz .LBB426_40
; %bb.39:
	v_mov_b32_e32 v23, 0
	v_lshl_add_u64 v[4:5], v[2:3], 0, v[22:23]
	v_add_co_u32_e32 v6, vcc, 0x1000, v4
	v_readfirstlane_b32 s0, v2
	s_nop 0
	v_addc_co_u32_e32 v7, vcc, 0, v5, vcc
	v_add_co_u32_e32 v8, vcc, 0x2000, v4
	v_readfirstlane_b32 s1, v3
	s_nop 0
	v_addc_co_u32_e32 v9, vcc, 0, v5, vcc
	s_nop 2
	global_load_dword v10, v22, s[0:1]
	global_load_dword v11, v22, s[0:1] offset:2048
	global_load_dword v12, v[6:7], off
	global_load_dword v13, v[6:7], off offset:2048
	global_load_dword v14, v[8:9], off
	global_load_dword v15, v[8:9], off offset:2048
	v_add_co_u32_e32 v6, vcc, 0x3000, v4
	s_mov_b64 s[0:1], 0
	s_nop 0
	v_addc_co_u32_e32 v7, vcc, 0, v5, vcc
	v_add_co_u32_e32 v8, vcc, 0x4000, v4
	s_nop 1
	v_addc_co_u32_e32 v9, vcc, 0, v5, vcc
	global_load_dword v16, v[6:7], off
	global_load_dword v17, v[6:7], off offset:2048
	global_load_dword v18, v[8:9], off
	global_load_dword v19, v[8:9], off offset:2048
	v_add_co_u32_e32 v6, vcc, 0x5000, v4
	s_nop 1
	v_addc_co_u32_e32 v7, vcc, 0, v5, vcc
	global_load_dword v8, v[6:7], off
	global_load_dword v9, v[6:7], off offset:2048
	v_add_co_u32_e32 v6, vcc, 0x6000, v4
	s_waitcnt vmcnt(1)
	v_xor_b32_e32 v8, -1, v8
	v_addc_co_u32_e32 v7, vcc, 0, v5, vcc
	v_add_co_u32_e32 v4, vcc, 0x7000, v4
	global_load_dword v20, v[6:7], off
	global_load_dword v23, v[6:7], off offset:2048
	v_addc_co_u32_e32 v5, vcc, 0, v5, vcc
	global_load_dword v4, v[4:5], off
	v_xor_b32_e32 v5, -1, v10
	v_xor_b32_e32 v6, -1, v11
	v_and_b32_e32 v5, 1, v5
	v_and_b32_e32 v6, 1, v6
	ds_write_b8 v0, v5
	ds_write_b8 v0, v6 offset:512
	v_xor_b32_e32 v5, -1, v12
	v_xor_b32_e32 v6, -1, v13
	v_and_b32_e32 v5, 1, v5
	v_and_b32_e32 v6, 1, v6
	v_xor_b32_e32 v7, -1, v14
	v_xor_b32_e32 v11, -1, v16
	;; [unrolled: 1-line block ×4, first 2 shown]
	v_and_b32_e32 v7, 1, v7
	ds_write_b8 v0, v5 offset:1024
	ds_write_b8 v0, v6 offset:1536
	v_and_b32_e32 v5, 1, v11
	v_and_b32_e32 v6, 1, v12
	v_xor_b32_e32 v11, -1, v18
	s_waitcnt vmcnt(3)
	v_xor_b32_e32 v9, -1, v9
	v_and_b32_e32 v10, 1, v10
	v_xor_b32_e32 v12, -1, v19
	ds_write_b8 v0, v7 offset:2048
	ds_write_b8 v0, v10 offset:2560
	v_and_b32_e32 v7, 1, v11
	ds_write_b8 v0, v5 offset:3072
	ds_write_b8 v0, v6 offset:3584
	v_and_b32_e32 v5, 1, v8
	v_and_b32_e32 v6, 1, v9
	;; [unrolled: 1-line block ×3, first 2 shown]
	s_waitcnt vmcnt(2)
	v_xor_b32_e32 v8, -1, v20
	s_waitcnt vmcnt(1)
	v_xor_b32_e32 v9, -1, v23
	v_and_b32_e32 v8, 1, v8
	v_and_b32_e32 v9, 1, v9
	s_waitcnt vmcnt(0)
	v_xor_b32_e32 v4, -1, v4
	v_and_b32_e32 v4, 1, v4
	ds_write_b8 v0, v7 offset:4096
	ds_write_b8 v0, v10 offset:4608
	;; [unrolled: 1-line block ×7, first 2 shown]
	s_waitcnt lgkmcnt(0)
	s_barrier
.LBB426_40:
	s_andn2_b64 vcc, exec, s[0:1]
	s_cbranch_vccnz .LBB426_72
; %bb.41:
	v_cmp_gt_u32_e32 vcc, s33, v0
	v_mov_b32_e32 v4, 0
	v_mov_b32_e32 v5, 0
	s_and_saveexec_b64 s[0:1], vcc
	s_cbranch_execz .LBB426_43
; %bb.42:
	v_readfirstlane_b32 s2, v2
	v_readfirstlane_b32 s3, v3
	s_nop 4
	global_load_dword v5, v22, s[2:3]
	s_waitcnt vmcnt(0)
	v_xor_b32_e32 v5, -1, v5
	v_and_b32_e32 v5, 1, v5
.LBB426_43:
	s_or_b64 exec, exec, s[0:1]
	v_or_b32_e32 v6, 0x200, v0
	v_cmp_gt_u32_e32 vcc, s33, v6
	s_and_saveexec_b64 s[0:1], vcc
	s_cbranch_execz .LBB426_45
; %bb.44:
	v_readfirstlane_b32 s2, v2
	v_readfirstlane_b32 s3, v3
	s_nop 4
	global_load_dword v4, v22, s[2:3] offset:2048
	s_waitcnt vmcnt(0)
	v_xor_b32_e32 v4, -1, v4
	v_and_b32_e32 v4, 1, v4
.LBB426_45:
	s_or_b64 exec, exec, s[0:1]
	v_or_b32_e32 v8, 0x400, v0
	v_cmp_gt_u32_e32 vcc, s33, v8
	v_mov_b32_e32 v6, 0
	v_mov_b32_e32 v7, 0
	s_and_saveexec_b64 s[0:1], vcc
	s_cbranch_execz .LBB426_47
; %bb.46:
	v_lshlrev_b32_e32 v7, 2, v8
	v_readfirstlane_b32 s2, v2
	v_readfirstlane_b32 s3, v3
	s_nop 4
	global_load_dword v7, v7, s[2:3]
	s_waitcnt vmcnt(0)
	v_xor_b32_e32 v7, -1, v7
	v_and_b32_e32 v7, 1, v7
.LBB426_47:
	s_or_b64 exec, exec, s[0:1]
	v_or_b32_e32 v8, 0x600, v0
	v_cmp_gt_u32_e32 vcc, s33, v8
	s_and_saveexec_b64 s[0:1], vcc
	s_cbranch_execz .LBB426_49
; %bb.48:
	v_lshlrev_b32_e32 v6, 2, v8
	v_readfirstlane_b32 s2, v2
	v_readfirstlane_b32 s3, v3
	s_nop 4
	global_load_dword v6, v6, s[2:3]
	s_waitcnt vmcnt(0)
	v_xor_b32_e32 v6, -1, v6
	v_and_b32_e32 v6, 1, v6
.LBB426_49:
	s_or_b64 exec, exec, s[0:1]
	v_or_b32_e32 v10, 0x800, v0
	v_cmp_gt_u32_e32 vcc, s33, v10
	v_mov_b32_e32 v8, 0
	v_mov_b32_e32 v9, 0
	s_and_saveexec_b64 s[0:1], vcc
	s_cbranch_execz .LBB426_51
; %bb.50:
	v_lshlrev_b32_e32 v9, 2, v10
	v_readfirstlane_b32 s2, v2
	v_readfirstlane_b32 s3, v3
	s_nop 4
	global_load_dword v9, v9, s[2:3]
	s_waitcnt vmcnt(0)
	v_xor_b32_e32 v9, -1, v9
	v_and_b32_e32 v9, 1, v9
.LBB426_51:
	s_or_b64 exec, exec, s[0:1]
	v_or_b32_e32 v10, 0xa00, v0
	v_cmp_gt_u32_e32 vcc, s33, v10
	s_and_saveexec_b64 s[0:1], vcc
	s_cbranch_execz .LBB426_53
; %bb.52:
	v_lshlrev_b32_e32 v8, 2, v10
	v_readfirstlane_b32 s2, v2
	v_readfirstlane_b32 s3, v3
	s_nop 4
	global_load_dword v8, v8, s[2:3]
	s_waitcnt vmcnt(0)
	v_xor_b32_e32 v8, -1, v8
	v_and_b32_e32 v8, 1, v8
.LBB426_53:
	;; [unrolled: 32-line block ×6, first 2 shown]
	s_or_b64 exec, exec, s[0:1]
	v_or_b32_e32 v19, 0x1c00, v0
	v_cmp_gt_u32_e32 vcc, s33, v19
	v_mov_b32_e32 v18, 0
	s_and_saveexec_b64 s[0:1], vcc
	s_cbranch_execz .LBB426_71
; %bb.70:
	v_lshlrev_b32_e32 v18, 2, v19
	v_readfirstlane_b32 s2, v2
	v_readfirstlane_b32 s3, v3
	s_nop 4
	global_load_dword v2, v18, s[2:3]
	s_waitcnt vmcnt(0)
	v_xor_b32_e32 v2, -1, v2
	v_and_b32_e32 v18, 1, v2
.LBB426_71:
	s_or_b64 exec, exec, s[0:1]
	ds_write_b8 v0, v5
	ds_write_b8 v0, v4 offset:512
	ds_write_b8 v0, v7 offset:1024
	;; [unrolled: 1-line block ×14, first 2 shown]
	s_waitcnt lgkmcnt(0)
	s_barrier
.LBB426_72:
	ds_read_b96 v[18:20], v21
	ds_read_u8 v2, v21 offset:12
	ds_read_u8 v3, v21 offset:13
	;; [unrolled: 1-line block ×3, first 2 shown]
	s_cmp_lg_u32 s40, 0
	v_lshrrev_b32_e32 v60, 6, v0
	s_waitcnt lgkmcnt(2)
	v_and_b32_e32 v47, 1, v2
	v_and_b32_e32 v56, 0xff, v18
	v_bfe_u32 v57, v18, 8, 8
	v_bfe_u32 v58, v18, 16, 8
	v_lshrrev_b32_e32 v49, 24, v18
	v_and_b32_e32 v53, 0xff, v19
	v_add3_u32 v2, v57, v56, v58
	v_bfe_u32 v54, v19, 8, 8
	v_bfe_u32 v55, v19, 16, 8
	v_add3_u32 v2, v2, v49, v53
	v_lshrrev_b32_e32 v48, 24, v19
	v_and_b32_e32 v50, 0xff, v20
	v_add3_u32 v2, v2, v54, v55
	v_bfe_u32 v51, v20, 8, 8
	v_bfe_u32 v52, v20, 16, 8
	v_add3_u32 v2, v2, v48, v50
	v_lshrrev_b32_e32 v46, 24, v20
	v_add3_u32 v2, v2, v51, v52
	s_waitcnt lgkmcnt(1)
	v_and_b32_e32 v45, 1, v3
	s_waitcnt lgkmcnt(0)
	v_and_b32_e32 v23, 1, v4
	v_add3_u32 v2, v2, v46, v47
	v_add3_u32 v61, v2, v45, v23
	v_mbcnt_lo_u32_b32 v2, -1, 0
	v_mbcnt_hi_u32_b32 v59, -1, v2
	v_and_b32_e32 v2, 15, v59
	v_cmp_eq_u32_e64 s[14:15], 0, v2
	v_cmp_lt_u32_e64 s[12:13], 1, v2
	v_cmp_lt_u32_e64 s[10:11], 3, v2
	;; [unrolled: 1-line block ×3, first 2 shown]
	v_and_b32_e32 v2, 16, v59
	v_cmp_eq_u32_e64 s[6:7], 0, v2
	v_or_b32_e32 v2, 63, v0
	v_cmp_lt_u32_e64 s[2:3], 31, v59
	v_cmp_eq_u32_e64 s[4:5], v2, v0
	s_barrier
	s_cbranch_scc0 .LBB426_103
; %bb.73:
	v_mov_b32_dpp v2, v61 row_shr:1 row_mask:0xf bank_mask:0xf
	v_cndmask_b32_e64 v2, v2, 0, s[14:15]
	v_add_u32_e32 v2, v2, v61
	s_nop 1
	v_mov_b32_dpp v3, v2 row_shr:2 row_mask:0xf bank_mask:0xf
	v_cndmask_b32_e64 v3, 0, v3, s[12:13]
	v_add_u32_e32 v2, v2, v3
	s_nop 1
	;; [unrolled: 4-line block ×4, first 2 shown]
	v_mov_b32_dpp v3, v2 row_bcast:15 row_mask:0xf bank_mask:0xf
	v_cndmask_b32_e64 v3, v3, 0, s[6:7]
	v_add_u32_e32 v2, v2, v3
	s_nop 1
	v_mov_b32_dpp v3, v2 row_bcast:31 row_mask:0xf bank_mask:0xf
	v_cndmask_b32_e64 v3, 0, v3, s[2:3]
	v_add_u32_e32 v2, v2, v3
	s_and_saveexec_b64 s[0:1], s[4:5]
	s_cbranch_execz .LBB426_75
; %bb.74:
	v_lshlrev_b32_e32 v3, 2, v60
	ds_write_b32 v3, v2
.LBB426_75:
	s_or_b64 exec, exec, s[0:1]
	v_cmp_gt_u32_e32 vcc, 8, v0
	s_waitcnt lgkmcnt(0)
	s_barrier
	s_and_saveexec_b64 s[0:1], vcc
	s_cbranch_execz .LBB426_77
; %bb.76:
	ds_read_b32 v3, v22
	v_and_b32_e32 v4, 7, v59
	v_cmp_ne_u32_e32 vcc, 0, v4
	s_waitcnt lgkmcnt(0)
	v_mov_b32_dpp v5, v3 row_shr:1 row_mask:0xf bank_mask:0xf
	v_cndmask_b32_e32 v5, 0, v5, vcc
	v_add_u32_e32 v3, v5, v3
	v_cmp_lt_u32_e32 vcc, 1, v4
	s_nop 0
	v_mov_b32_dpp v5, v3 row_shr:2 row_mask:0xf bank_mask:0xf
	v_cndmask_b32_e32 v5, 0, v5, vcc
	v_add_u32_e32 v3, v3, v5
	v_cmp_lt_u32_e32 vcc, 3, v4
	s_nop 0
	v_mov_b32_dpp v5, v3 row_shr:4 row_mask:0xf bank_mask:0xf
	v_cndmask_b32_e32 v4, 0, v5, vcc
	v_add_u32_e32 v3, v3, v4
	ds_write_b32 v22, v3
.LBB426_77:
	s_or_b64 exec, exec, s[0:1]
	v_cmp_gt_u32_e32 vcc, 64, v0
	v_cmp_lt_u32_e64 s[0:1], 63, v0
	s_waitcnt lgkmcnt(0)
	s_barrier
	s_waitcnt lgkmcnt(0)
                                        ; implicit-def: $vgpr12
	s_and_saveexec_b64 s[16:17], s[0:1]
	s_cbranch_execz .LBB426_79
; %bb.78:
	v_lshl_add_u32 v3, v60, 2, -4
	ds_read_b32 v12, v3
	s_waitcnt lgkmcnt(0)
	v_add_u32_e32 v2, v12, v2
.LBB426_79:
	s_or_b64 exec, exec, s[16:17]
	v_add_u32_e32 v3, -1, v59
	v_and_b32_e32 v4, 64, v59
	v_cmp_lt_i32_e64 s[0:1], v3, v4
	v_cmp_eq_u32_e64 s[16:17], 0, v59
	s_nop 0
	v_cndmask_b32_e64 v3, v3, v59, s[0:1]
	v_lshlrev_b32_e32 v3, 2, v3
	ds_bpermute_b32 v13, v3, v2
	s_and_saveexec_b64 s[0:1], vcc
	s_cbranch_execz .LBB426_102
; %bb.80:
	v_mov_b32_e32 v11, 0
	ds_read_b32 v2, v11 offset:28
	s_and_saveexec_b64 s[36:37], s[16:17]
	s_cbranch_execz .LBB426_82
; %bb.81:
	s_add_i32 s38, s40, 64
	s_mov_b32 s39, 0
	s_lshl_b64 s[38:39], s[38:39], 3
	s_add_u32 s38, s34, s38
	v_mov_b32_e32 v3, 1
	s_addc_u32 s39, s35, s39
	s_waitcnt lgkmcnt(0)
	global_store_dwordx2 v11, v[2:3], s[38:39] sc1
.LBB426_82:
	s_or_b64 exec, exec, s[36:37]
	v_xad_u32 v4, v59, -1, s40
	v_add_u32_e32 v10, 64, v4
	v_lshl_add_u64 v[6:7], v[10:11], 3, s[34:35]
	global_load_dwordx2 v[8:9], v[6:7], off sc1
	s_waitcnt vmcnt(0)
	v_cmp_eq_u16_sdwa s[38:39], v9, v11 src0_sel:BYTE_0 src1_sel:DWORD
	s_and_saveexec_b64 s[36:37], s[38:39]
	s_cbranch_execz .LBB426_88
; %bb.83:
	s_mov_b32 s41, 1
	s_mov_b64 s[38:39], 0
	v_mov_b32_e32 v3, 0
.LBB426_84:                             ; =>This Loop Header: Depth=1
                                        ;     Child Loop BB426_85 Depth 2
	s_max_u32 s42, s41, 1
.LBB426_85:                             ;   Parent Loop BB426_84 Depth=1
                                        ; =>  This Inner Loop Header: Depth=2
	s_add_i32 s42, s42, -1
	s_cmp_eq_u32 s42, 0
	s_sleep 1
	s_cbranch_scc0 .LBB426_85
; %bb.86:                               ;   in Loop: Header=BB426_84 Depth=1
	global_load_dwordx2 v[8:9], v[6:7], off sc1
	s_cmp_lt_u32 s41, 32
	s_cselect_b64 s[42:43], -1, 0
	s_cmp_lg_u64 s[42:43], 0
	s_addc_u32 s41, s41, 0
	s_waitcnt vmcnt(0)
	v_cmp_ne_u16_sdwa s[42:43], v9, v3 src0_sel:BYTE_0 src1_sel:DWORD
	s_or_b64 s[38:39], s[42:43], s[38:39]
	s_andn2_b64 exec, exec, s[38:39]
	s_cbranch_execnz .LBB426_84
; %bb.87:
	s_or_b64 exec, exec, s[38:39]
.LBB426_88:
	s_or_b64 exec, exec, s[36:37]
	v_and_b32_e32 v15, 63, v59
	v_mov_b32_e32 v14, 2
	v_cmp_ne_u32_e32 vcc, 63, v15
	v_cmp_eq_u16_sdwa s[36:37], v9, v14 src0_sel:BYTE_0 src1_sel:DWORD
	v_lshlrev_b64 v[6:7], v59, -1
	v_addc_co_u32_e32 v10, vcc, 0, v59, vcc
	v_and_b32_e32 v3, s37, v7
	v_lshlrev_b32_e32 v16, 2, v10
	v_or_b32_e32 v3, 0x80000000, v3
	ds_bpermute_b32 v10, v16, v8
	v_and_b32_e32 v5, s36, v6
	v_ffbl_b32_e32 v3, v3
	v_add_u32_e32 v3, 32, v3
	v_ffbl_b32_e32 v5, v5
	v_min_u32_e32 v3, v5, v3
	v_cmp_lt_u32_e32 vcc, v15, v3
	v_add_u32_e32 v42, 2, v15
	v_add_u32_e32 v44, 4, v15
	s_waitcnt lgkmcnt(0)
	v_cndmask_b32_e32 v5, 0, v10, vcc
	v_cmp_gt_u32_e32 vcc, 62, v15
	v_add_u32_e32 v5, v5, v8
	v_add_u32_e32 v63, 8, v15
	v_cndmask_b32_e64 v8, 0, 1, vcc
	v_lshlrev_b32_e32 v8, 1, v8
	v_add_lshl_u32 v17, v8, v59, 2
	ds_bpermute_b32 v8, v17, v5
	v_cmp_le_u32_e32 vcc, v42, v3
	v_add_u32_e32 v65, 16, v15
	v_add_u32_e32 v67, 32, v15
	s_waitcnt lgkmcnt(0)
	v_cndmask_b32_e32 v8, 0, v8, vcc
	v_cmp_gt_u32_e32 vcc, 60, v15
	v_add_u32_e32 v5, v5, v8
	s_nop 0
	v_cndmask_b32_e64 v8, 0, 1, vcc
	v_lshlrev_b32_e32 v8, 2, v8
	v_add_lshl_u32 v43, v8, v59, 2
	ds_bpermute_b32 v8, v43, v5
	v_cmp_le_u32_e32 vcc, v44, v3
	s_waitcnt lgkmcnt(0)
	s_nop 0
	v_cndmask_b32_e32 v8, 0, v8, vcc
	v_cmp_gt_u32_e32 vcc, 56, v15
	v_add_u32_e32 v5, v5, v8
	s_nop 0
	v_cndmask_b32_e64 v8, 0, 1, vcc
	v_lshlrev_b32_e32 v8, 3, v8
	v_add_lshl_u32 v62, v8, v59, 2
	ds_bpermute_b32 v8, v62, v5
	v_cmp_le_u32_e32 vcc, v63, v3
	s_waitcnt lgkmcnt(0)
	s_nop 0
	v_cndmask_b32_e32 v8, 0, v8, vcc
	v_cmp_gt_u32_e32 vcc, 48, v15
	v_add_u32_e32 v5, v5, v8
	s_nop 0
	v_cndmask_b32_e64 v8, 0, 1, vcc
	v_lshlrev_b32_e32 v8, 4, v8
	v_add_lshl_u32 v64, v8, v59, 2
	ds_bpermute_b32 v8, v64, v5
	v_cmp_le_u32_e32 vcc, v65, v3
	s_waitcnt lgkmcnt(0)
	s_nop 0
	v_cndmask_b32_e32 v8, 0, v8, vcc
	v_cmp_gt_u32_e32 vcc, 32, v15
	v_add_u32_e32 v5, v5, v8
	s_nop 0
	v_cndmask_b32_e64 v8, 0, 1, vcc
	v_lshlrev_b32_e32 v8, 5, v8
	v_add_lshl_u32 v66, v8, v59, 2
	ds_bpermute_b32 v8, v66, v5
	v_cmp_le_u32_e32 vcc, v67, v3
	s_waitcnt lgkmcnt(0)
	s_nop 0
	v_cndmask_b32_e32 v3, 0, v8, vcc
	v_add_u32_e32 v8, v5, v3
	v_mov_b32_e32 v5, 0
	s_branch .LBB426_90
.LBB426_89:                             ;   in Loop: Header=BB426_90 Depth=1
	s_or_b64 exec, exec, s[36:37]
	v_cmp_eq_u16_sdwa s[36:37], v9, v14 src0_sel:BYTE_0 src1_sel:DWORD
	ds_bpermute_b32 v68, v16, v8
	v_subrev_u32_e32 v4, 64, v4
	v_and_b32_e32 v10, s37, v7
	v_or_b32_e32 v10, 0x80000000, v10
	v_and_b32_e32 v11, s36, v6
	v_ffbl_b32_e32 v10, v10
	v_add_u32_e32 v10, 32, v10
	v_ffbl_b32_e32 v11, v11
	v_min_u32_e32 v10, v11, v10
	v_cmp_lt_u32_e32 vcc, v15, v10
	s_waitcnt lgkmcnt(0)
	s_nop 0
	v_cndmask_b32_e32 v11, 0, v68, vcc
	v_add_u32_e32 v8, v11, v8
	ds_bpermute_b32 v11, v17, v8
	v_cmp_le_u32_e32 vcc, v42, v10
	s_waitcnt lgkmcnt(0)
	s_nop 0
	v_cndmask_b32_e32 v11, 0, v11, vcc
	v_add_u32_e32 v8, v8, v11
	ds_bpermute_b32 v11, v43, v8
	v_cmp_le_u32_e32 vcc, v44, v10
	;; [unrolled: 6-line block ×5, first 2 shown]
	s_waitcnt lgkmcnt(0)
	s_nop 0
	v_cndmask_b32_e32 v10, 0, v11, vcc
	v_add3_u32 v8, v10, v3, v8
.LBB426_90:                             ; =>This Loop Header: Depth=1
                                        ;     Child Loop BB426_93 Depth 2
                                        ;       Child Loop BB426_94 Depth 3
	v_cmp_ne_u16_sdwa s[36:37], v9, v14 src0_sel:BYTE_0 src1_sel:DWORD
	s_nop 1
	v_cndmask_b32_e64 v3, 0, 1, s[36:37]
	;;#ASMSTART
	;;#ASMEND
	s_nop 0
	v_cmp_ne_u32_e32 vcc, 0, v3
	s_cmp_lg_u64 vcc, exec
	v_mov_b32_e32 v3, v8
	s_cbranch_scc1 .LBB426_97
; %bb.91:                               ;   in Loop: Header=BB426_90 Depth=1
	v_lshl_add_u64 v[10:11], v[4:5], 3, s[34:35]
	global_load_dwordx2 v[8:9], v[10:11], off sc1
	s_waitcnt vmcnt(0)
	v_cmp_eq_u16_sdwa s[38:39], v9, v5 src0_sel:BYTE_0 src1_sel:DWORD
	s_and_saveexec_b64 s[36:37], s[38:39]
	s_cbranch_execz .LBB426_89
; %bb.92:                               ;   in Loop: Header=BB426_90 Depth=1
	s_mov_b32 s41, 1
	s_mov_b64 s[38:39], 0
.LBB426_93:                             ;   Parent Loop BB426_90 Depth=1
                                        ; =>  This Loop Header: Depth=2
                                        ;       Child Loop BB426_94 Depth 3
	s_max_u32 s42, s41, 1
.LBB426_94:                             ;   Parent Loop BB426_90 Depth=1
                                        ;     Parent Loop BB426_93 Depth=2
                                        ; =>    This Inner Loop Header: Depth=3
	s_add_i32 s42, s42, -1
	s_cmp_eq_u32 s42, 0
	s_sleep 1
	s_cbranch_scc0 .LBB426_94
; %bb.95:                               ;   in Loop: Header=BB426_93 Depth=2
	global_load_dwordx2 v[8:9], v[10:11], off sc1
	s_cmp_lt_u32 s41, 32
	s_cselect_b64 s[42:43], -1, 0
	s_cmp_lg_u64 s[42:43], 0
	s_addc_u32 s41, s41, 0
	s_waitcnt vmcnt(0)
	v_cmp_ne_u16_sdwa s[42:43], v9, v5 src0_sel:BYTE_0 src1_sel:DWORD
	s_or_b64 s[38:39], s[42:43], s[38:39]
	s_andn2_b64 exec, exec, s[38:39]
	s_cbranch_execnz .LBB426_93
; %bb.96:                               ;   in Loop: Header=BB426_90 Depth=1
	s_or_b64 exec, exec, s[38:39]
	s_branch .LBB426_89
.LBB426_97:                             ;   in Loop: Header=BB426_90 Depth=1
                                        ; implicit-def: $vgpr8
                                        ; implicit-def: $vgpr9
	s_cbranch_execz .LBB426_90
; %bb.98:
	s_and_saveexec_b64 s[36:37], s[16:17]
	s_cbranch_execz .LBB426_100
; %bb.99:
	s_add_i32 s38, s40, 64
	s_mov_b32 s39, 0
	s_lshl_b64 s[38:39], s[38:39], 3
	s_add_u32 s38, s34, s38
	v_add_u32_e32 v4, v3, v2
	v_mov_b32_e32 v5, 2
	s_addc_u32 s39, s35, s39
	v_mov_b32_e32 v6, 0
	global_store_dwordx2 v6, v[4:5], s[38:39] sc1
	ds_write_b64 v6, v[2:3] offset:30720
.LBB426_100:
	s_or_b64 exec, exec, s[36:37]
	s_and_b64 exec, exec, s[18:19]
	s_cbranch_execz .LBB426_102
; %bb.101:
	v_mov_b32_e32 v2, 0
	ds_write_b32 v2, v3 offset:28
.LBB426_102:
	s_or_b64 exec, exec, s[0:1]
	v_mov_b32_e32 v14, 0
	s_waitcnt lgkmcnt(0)
	s_barrier
	ds_read_b32 v2, v14 offset:28
	v_cndmask_b32_e64 v3, v13, v12, s[16:17]
	v_cndmask_b32_e64 v3, v3, 0, s[18:19]
	s_waitcnt lgkmcnt(0)
	s_barrier
	v_add_u32_e32 v2, v2, v3
	v_add_u32_e32 v3, v2, v56
	;; [unrolled: 1-line block ×10, first 2 shown]
	ds_read_b64 v[42:43], v14 offset:30720
	v_add_u32_e32 v12, v11, v51
	v_add_u32_e32 v13, v12, v52
	;; [unrolled: 1-line block ×5, first 2 shown]
	s_waitcnt lgkmcnt(0)
	v_mov_b32_e32 v44, v43
	s_branch .LBB426_113
.LBB426_103:
                                        ; implicit-def: $vgpr44
                                        ; implicit-def: $vgpr42
                                        ; implicit-def: $vgpr2_vgpr3_vgpr4_vgpr5_vgpr6_vgpr7_vgpr8_vgpr9_vgpr10_vgpr11_vgpr12_vgpr13_vgpr14_vgpr15_vgpr16_vgpr17
	s_cbranch_execz .LBB426_113
; %bb.104:
	s_nop 0
	v_mov_b32_dpp v2, v61 row_shr:1 row_mask:0xf bank_mask:0xf
	v_cndmask_b32_e64 v2, v2, 0, s[14:15]
	v_add_u32_e32 v2, v2, v61
	s_nop 1
	v_mov_b32_dpp v3, v2 row_shr:2 row_mask:0xf bank_mask:0xf
	v_cndmask_b32_e64 v3, 0, v3, s[12:13]
	v_add_u32_e32 v2, v2, v3
	;; [unrolled: 4-line block ×4, first 2 shown]
	s_nop 1
	v_mov_b32_dpp v3, v2 row_bcast:15 row_mask:0xf bank_mask:0xf
	v_cndmask_b32_e64 v3, v3, 0, s[6:7]
	v_add_u32_e32 v2, v2, v3
	s_nop 1
	v_mov_b32_dpp v3, v2 row_bcast:31 row_mask:0xf bank_mask:0xf
	v_cndmask_b32_e64 v3, 0, v3, s[2:3]
	v_add_u32_e32 v2, v2, v3
	s_and_saveexec_b64 s[0:1], s[4:5]
	s_cbranch_execz .LBB426_106
; %bb.105:
	v_lshlrev_b32_e32 v3, 2, v60
	ds_write_b32 v3, v2
.LBB426_106:
	s_or_b64 exec, exec, s[0:1]
	v_cmp_gt_u32_e32 vcc, 8, v0
	s_waitcnt lgkmcnt(0)
	s_barrier
	s_and_saveexec_b64 s[0:1], vcc
	s_cbranch_execz .LBB426_108
; %bb.107:
	v_mad_i32_i24 v3, v0, -11, v21
	ds_read_b32 v4, v3
	v_and_b32_e32 v5, 7, v59
	v_cmp_ne_u32_e32 vcc, 0, v5
	s_waitcnt lgkmcnt(0)
	v_mov_b32_dpp v6, v4 row_shr:1 row_mask:0xf bank_mask:0xf
	v_cndmask_b32_e32 v6, 0, v6, vcc
	v_add_u32_e32 v4, v6, v4
	v_cmp_lt_u32_e32 vcc, 1, v5
	s_nop 0
	v_mov_b32_dpp v6, v4 row_shr:2 row_mask:0xf bank_mask:0xf
	v_cndmask_b32_e32 v6, 0, v6, vcc
	v_add_u32_e32 v4, v4, v6
	v_cmp_lt_u32_e32 vcc, 3, v5
	s_nop 0
	v_mov_b32_dpp v6, v4 row_shr:4 row_mask:0xf bank_mask:0xf
	v_cndmask_b32_e32 v5, 0, v6, vcc
	v_add_u32_e32 v4, v4, v5
	ds_write_b32 v3, v4
.LBB426_108:
	s_or_b64 exec, exec, s[0:1]
	v_cmp_lt_u32_e32 vcc, 63, v0
	v_mov_b32_e32 v4, 0
	v_mov_b32_e32 v3, 0
	s_waitcnt lgkmcnt(0)
	s_barrier
	s_and_saveexec_b64 s[0:1], vcc
	s_cbranch_execz .LBB426_110
; %bb.109:
	v_lshl_add_u32 v3, v60, 2, -4
	ds_read_b32 v3, v3
.LBB426_110:
	s_or_b64 exec, exec, s[0:1]
	v_add_u32_e32 v5, -1, v59
	v_and_b32_e32 v6, 64, v59
	v_cmp_lt_i32_e32 vcc, v5, v6
	s_waitcnt lgkmcnt(0)
	v_add_u32_e32 v2, v3, v2
	ds_read_b32 v42, v4 offset:28
	v_cndmask_b32_e32 v5, v5, v59, vcc
	v_lshlrev_b32_e32 v5, 2, v5
	ds_bpermute_b32 v2, v5, v2
	s_and_saveexec_b64 s[0:1], s[18:19]
	s_cbranch_execz .LBB426_112
; %bb.111:
	v_mov_b32_e32 v4, 0
	v_mov_b32_e32 v43, 2
	s_waitcnt lgkmcnt(1)
	global_store_dwordx2 v4, v[42:43], s[34:35] offset:512 sc1
.LBB426_112:
	s_or_b64 exec, exec, s[0:1]
	v_cmp_eq_u32_e32 vcc, 0, v59
	v_mov_b32_e32 v44, 0
	s_waitcnt lgkmcnt(0)
	v_cndmask_b32_e32 v2, v2, v3, vcc
	v_cndmask_b32_e64 v2, v2, 0, s[18:19]
	v_add_u32_e32 v3, v2, v56
	v_add_u32_e32 v4, v3, v57
	;; [unrolled: 1-line block ×14, first 2 shown]
	s_barrier
.LBB426_113:
	v_add_u32_e32 v21, v42, v21
	v_sub_u32_e32 v2, v2, v44
	v_and_b32_e32 v52, 1, v18
	v_sub_u32_e32 v51, v21, v2
	v_cmp_eq_u32_e32 vcc, 1, v52
	v_lshrrev_b32_e32 v50, 8, v18
	v_lshrrev_b32_e32 v43, 8, v19
	v_cndmask_b32_e32 v2, v51, v2, vcc
	v_lshlrev_b32_e32 v2, 2, v2
	ds_write_b32 v2, v40
	v_sub_u32_e32 v2, v3, v44
	v_sub_u32_e32 v3, v21, v2
	v_and_b32_e32 v40, 1, v50
	v_add_u32_e32 v3, 1, v3
	v_cmp_eq_u32_e32 vcc, 1, v40
	v_lshrrev_b32_e32 v17, 8, v20
	v_or_b32_e32 v40, 0x400, v0
	v_cndmask_b32_e32 v2, v3, v2, vcc
	v_lshlrev_b32_e32 v2, 2, v2
	ds_write_b32 v2, v41
	v_sub_u32_e32 v2, v4, v44
	v_mov_b32_e32 v4, 1
	v_sub_u32_e32 v3, v21, v2
	v_and_b32_sdwa v18, v4, v18 dst_sel:DWORD dst_unused:UNUSED_PAD src0_sel:DWORD src1_sel:WORD_1
	v_add_u32_e32 v3, 2, v3
	v_cmp_eq_u32_e32 vcc, 1, v18
	v_or_b32_e32 v41, 0x200, v0
	s_nop 0
	v_cndmask_b32_e32 v2, v3, v2, vcc
	v_lshlrev_b32_e32 v2, 2, v2
	ds_write_b32 v2, v38
	v_sub_u32_e32 v2, v5, v44
	v_sub_u32_e32 v3, v21, v2
	v_and_b32_e32 v5, 1, v49
	v_add_u32_e32 v3, 3, v3
	v_cmp_eq_u32_e32 vcc, 1, v5
	v_and_b32_e32 v5, 1, v19
	v_or_b32_e32 v38, 0x800, v0
	v_cndmask_b32_e32 v2, v3, v2, vcc
	v_lshlrev_b32_e32 v2, 2, v2
	ds_write_b32 v2, v39
	v_sub_u32_e32 v2, v6, v44
	v_sub_u32_e32 v3, v21, v2
	v_add_u32_e32 v3, 4, v3
	v_cmp_eq_u32_e32 vcc, 1, v5
	v_and_b32_e32 v5, 1, v43
	v_or_b32_e32 v39, 0x600, v0
	v_cndmask_b32_e32 v2, v3, v2, vcc
	v_lshlrev_b32_e32 v2, 2, v2
	ds_write_b32 v2, v36
	v_sub_u32_e32 v2, v7, v44
	v_sub_u32_e32 v3, v21, v2
	v_add_u32_e32 v3, 5, v3
	v_cmp_eq_u32_e32 vcc, 1, v5
	v_and_b32_sdwa v5, v4, v19 dst_sel:DWORD dst_unused:UNUSED_PAD src0_sel:DWORD src1_sel:WORD_1
	v_and_b32_sdwa v4, v4, v20 dst_sel:DWORD dst_unused:UNUSED_PAD src0_sel:DWORD src1_sel:WORD_1
	v_cndmask_b32_e32 v2, v3, v2, vcc
	v_lshlrev_b32_e32 v2, 2, v2
	ds_write_b32 v2, v37
	v_sub_u32_e32 v2, v8, v44
	v_sub_u32_e32 v3, v21, v2
	v_add_u32_e32 v3, 6, v3
	v_cmp_eq_u32_e32 vcc, 1, v5
	v_and_b32_e32 v5, 1, v48
	v_mov_b32_e32 v7, s31
	v_cndmask_b32_e32 v2, v3, v2, vcc
	v_lshlrev_b32_e32 v2, 2, v2
	ds_write_b32 v2, v34
	v_sub_u32_e32 v2, v9, v44
	v_sub_u32_e32 v3, v21, v2
	v_add_u32_e32 v3, 7, v3
	v_cmp_eq_u32_e32 vcc, 1, v5
	v_and_b32_e32 v5, 1, v20
	v_or_b32_e32 v37, 0xa00, v0
	v_cndmask_b32_e32 v2, v3, v2, vcc
	v_lshlrev_b32_e32 v2, 2, v2
	ds_write_b32 v2, v35
	v_sub_u32_e32 v2, v10, v44
	v_sub_u32_e32 v3, v21, v2
	v_add_u32_e32 v3, 8, v3
	v_cmp_eq_u32_e32 vcc, 1, v5
	v_and_b32_e32 v5, 1, v17
	v_or_b32_e32 v36, 0xc00, v0
	v_cndmask_b32_e32 v2, v3, v2, vcc
	v_lshlrev_b32_e32 v2, 2, v2
	ds_write_b32 v2, v32
	v_sub_u32_e32 v2, v11, v44
	v_sub_u32_e32 v3, v21, v2
	v_add_u32_e32 v3, 9, v3
	v_cmp_eq_u32_e32 vcc, 1, v5
	v_or_b32_e32 v35, 0xe00, v0
	v_or_b32_e32 v34, 0x1000, v0
	v_cndmask_b32_e32 v2, v3, v2, vcc
	v_lshlrev_b32_e32 v2, 2, v2
	ds_write_b32 v2, v33
	v_sub_u32_e32 v2, v12, v44
	v_sub_u32_e32 v3, v21, v2
	v_add_u32_e32 v3, 10, v3
	v_cmp_eq_u32_e32 vcc, 1, v4
	v_and_b32_e32 v4, 1, v46
	v_or_b32_e32 v33, 0x1200, v0
	v_cndmask_b32_e32 v2, v3, v2, vcc
	v_lshlrev_b32_e32 v2, 2, v2
	ds_write_b32 v2, v30
	v_sub_u32_e32 v2, v13, v44
	v_sub_u32_e32 v3, v21, v2
	v_add_u32_e32 v3, 11, v3
	v_cmp_eq_u32_e32 vcc, 1, v4
	v_or_b32_e32 v32, 0x1400, v0
	v_or_b32_e32 v30, 0x1800, v0
	v_cndmask_b32_e32 v2, v3, v2, vcc
	v_lshlrev_b32_e32 v2, 2, v2
	ds_write_b32 v2, v31
	v_sub_u32_e32 v2, v14, v44
	v_sub_u32_e32 v3, v21, v2
	v_add_u32_e32 v3, 12, v3
	v_cmp_eq_u32_e32 vcc, 1, v47
	v_or_b32_e32 v31, 0x1600, v0
	s_nop 0
	v_cndmask_b32_e32 v2, v3, v2, vcc
	v_lshlrev_b32_e32 v2, 2, v2
	ds_write_b32 v2, v28
	v_sub_u32_e32 v2, v15, v44
	v_sub_u32_e32 v3, v21, v2
	v_add_u32_e32 v3, 13, v3
	v_cmp_eq_u32_e32 vcc, 1, v45
	v_mov_b32_e32 v45, 0
	s_waitcnt vmcnt(0)
	v_lshl_add_u64 v[8:9], v[24:25], 0, v[44:45]
	v_cndmask_b32_e32 v2, v3, v2, vcc
	v_lshlrev_b32_e32 v2, 2, v2
	ds_write_b32 v2, v29
	v_sub_u32_e32 v2, v16, v44
	v_sub_u32_e32 v3, v21, v2
	v_add_u32_e32 v3, 14, v3
	v_cmp_eq_u32_e32 vcc, 1, v23
	v_mov_b32_e32 v43, v45
	v_or_b32_e32 v29, 0x1a00, v0
	v_cndmask_b32_e32 v2, v3, v2, vcc
	v_lshlrev_b32_e32 v2, 2, v2
	ds_write_b32 v2, v1
	v_lshl_add_u64 v[2:3], v[8:9], 0, v[42:43]
	s_waitcnt lgkmcnt(0)
	s_barrier
	ds_read2st64_b32 v[20:21], v22 offset1:8
	ds_read2st64_b32 v[18:19], v22 offset0:16 offset1:24
	ds_read2st64_b32 v[16:17], v22 offset0:32 offset1:40
	;; [unrolled: 1-line block ×6, first 2 shown]
	ds_read_b32 v1, v22 offset:28672
	v_sub_co_u32_e32 v6, vcc, s30, v2
	v_lshlrev_b64 v[8:9], 2, v[8:9]
	s_nop 0
	v_subb_co_u32_e32 v7, vcc, v7, v3, vcc
	v_lshlrev_b64 v[6:7], 2, v[6:7]
	v_lshl_add_u64 v[6:7], s[26:27], 0, v[6:7]
	v_or_b32_e32 v28, 0x1c00, v0
	v_lshl_add_u64 v[6:7], v[6:7], 0, v[26:27]
	s_andn2_b64 vcc, exec, s[28:29]
	v_lshl_add_u64 v[8:9], s[24:25], 0, v[8:9]
	s_cbranch_vccnz .LBB426_115
; %bb.114:
	v_cmp_gt_u32_e32 vcc, v42, v0
	v_mov_b32_e32 v23, v45
	v_lshlrev_b32_e32 v44, 2, v40
	v_cndmask_b32_e32 v25, v7, v9, vcc
	v_cndmask_b32_e32 v24, v6, v8, vcc
	v_lshl_add_u64 v[24:25], v[24:25], 0, v[22:23]
	v_cmp_lt_u32_e32 vcc, v41, v42
	s_waitcnt lgkmcnt(7)
	global_store_dword v[24:25], v20, off
	v_cndmask_b32_e32 v25, v7, v9, vcc
	v_cndmask_b32_e32 v24, v6, v8, vcc
	v_lshl_add_u64 v[24:25], v[24:25], 0, v[22:23]
	v_cmp_lt_u32_e32 vcc, v40, v42
	global_store_dword v[24:25], v21, off offset:2048
	s_mov_b64 s[0:1], -1
	v_cndmask_b32_e32 v25, v7, v9, vcc
	v_cndmask_b32_e32 v24, v6, v8, vcc
	v_lshl_add_u64 v[24:25], v[24:25], 0, v[44:45]
	v_cmp_lt_u32_e32 vcc, v39, v42
	s_waitcnt lgkmcnt(6)
	global_store_dword v[24:25], v18, off
	v_lshlrev_b32_e32 v44, 2, v39
	v_cndmask_b32_e32 v25, v7, v9, vcc
	v_cndmask_b32_e32 v24, v6, v8, vcc
	v_lshl_add_u64 v[24:25], v[24:25], 0, v[44:45]
	v_cmp_lt_u32_e32 vcc, v38, v42
	global_store_dword v[24:25], v19, off
	v_lshlrev_b32_e32 v44, 2, v38
	v_cndmask_b32_e32 v25, v7, v9, vcc
	v_cndmask_b32_e32 v24, v6, v8, vcc
	v_lshl_add_u64 v[24:25], v[24:25], 0, v[44:45]
	v_cmp_lt_u32_e32 vcc, v37, v42
	s_waitcnt lgkmcnt(5)
	global_store_dword v[24:25], v16, off
	v_lshlrev_b32_e32 v44, 2, v37
	v_cndmask_b32_e32 v25, v7, v9, vcc
	v_cndmask_b32_e32 v24, v6, v8, vcc
	v_lshl_add_u64 v[24:25], v[24:25], 0, v[44:45]
	v_cmp_lt_u32_e32 vcc, v36, v42
	global_store_dword v[24:25], v17, off
	v_lshlrev_b32_e32 v44, 2, v36
	;; [unrolled: 13-line block ×5, first 2 shown]
	v_cndmask_b32_e32 v25, v7, v9, vcc
	v_cndmask_b32_e32 v24, v6, v8, vcc
	v_lshl_add_u64 v[24:25], v[24:25], 0, v[44:45]
	v_cmp_lt_u32_e32 vcc, v29, v42
	s_waitcnt lgkmcnt(1)
	global_store_dword v[24:25], v4, off
	v_lshlrev_b32_e32 v44, 2, v29
	v_cndmask_b32_e32 v25, v7, v9, vcc
	v_cndmask_b32_e32 v24, v6, v8, vcc
	v_lshl_add_u64 v[24:25], v[24:25], 0, v[44:45]
	global_store_dword v[24:25], v5, off
	s_cbranch_execz .LBB426_116
	s_branch .LBB426_132
.LBB426_115:
	s_mov_b64 s[0:1], 0
.LBB426_116:
	v_cmp_gt_u32_e32 vcc, s33, v0
	s_and_saveexec_b64 s[0:1], vcc
	s_cbranch_execnz .LBB426_137
; %bb.117:
	s_or_b64 exec, exec, s[0:1]
	v_cmp_gt_u32_e32 vcc, s33, v41
	s_and_saveexec_b64 s[0:1], vcc
	s_cbranch_execnz .LBB426_138
.LBB426_118:
	s_or_b64 exec, exec, s[0:1]
	v_cmp_gt_u32_e32 vcc, s33, v40
	s_and_saveexec_b64 s[0:1], vcc
	s_cbranch_execnz .LBB426_139
.LBB426_119:
	s_or_b64 exec, exec, s[0:1]
	v_cmp_gt_u32_e32 vcc, s33, v39
	s_and_saveexec_b64 s[0:1], vcc
	s_cbranch_execnz .LBB426_140
.LBB426_120:
	s_or_b64 exec, exec, s[0:1]
	v_cmp_gt_u32_e32 vcc, s33, v38
	s_and_saveexec_b64 s[0:1], vcc
	s_cbranch_execnz .LBB426_141
.LBB426_121:
	s_or_b64 exec, exec, s[0:1]
	v_cmp_gt_u32_e32 vcc, s33, v37
	s_and_saveexec_b64 s[0:1], vcc
	s_cbranch_execnz .LBB426_142
.LBB426_122:
	s_or_b64 exec, exec, s[0:1]
	v_cmp_gt_u32_e32 vcc, s33, v36
	s_and_saveexec_b64 s[0:1], vcc
	s_cbranch_execnz .LBB426_143
.LBB426_123:
	s_or_b64 exec, exec, s[0:1]
	v_cmp_gt_u32_e32 vcc, s33, v35
	s_and_saveexec_b64 s[0:1], vcc
	s_cbranch_execnz .LBB426_144
.LBB426_124:
	s_or_b64 exec, exec, s[0:1]
	v_cmp_gt_u32_e32 vcc, s33, v34
	s_and_saveexec_b64 s[0:1], vcc
	s_cbranch_execnz .LBB426_145
.LBB426_125:
	s_or_b64 exec, exec, s[0:1]
	v_cmp_gt_u32_e32 vcc, s33, v33
	s_and_saveexec_b64 s[0:1], vcc
	s_cbranch_execnz .LBB426_146
.LBB426_126:
	s_or_b64 exec, exec, s[0:1]
	v_cmp_gt_u32_e32 vcc, s33, v32
	s_and_saveexec_b64 s[0:1], vcc
	s_cbranch_execnz .LBB426_147
.LBB426_127:
	s_or_b64 exec, exec, s[0:1]
	v_cmp_gt_u32_e32 vcc, s33, v31
	s_and_saveexec_b64 s[0:1], vcc
	s_cbranch_execnz .LBB426_148
.LBB426_128:
	s_or_b64 exec, exec, s[0:1]
	v_cmp_gt_u32_e32 vcc, s33, v30
	s_and_saveexec_b64 s[0:1], vcc
	s_cbranch_execnz .LBB426_149
.LBB426_129:
	s_or_b64 exec, exec, s[0:1]
	v_cmp_gt_u32_e32 vcc, s33, v29
	s_and_saveexec_b64 s[0:1], vcc
	s_cbranch_execz .LBB426_131
.LBB426_130:
	v_cmp_lt_u32_e32 vcc, v29, v42
	s_waitcnt lgkmcnt(3)
	v_lshlrev_b32_e32 v12, 2, v29
	v_mov_b32_e32 v13, 0
	s_waitcnt lgkmcnt(2)
	v_cndmask_b32_e32 v11, v7, v9, vcc
	v_cndmask_b32_e32 v10, v6, v8, vcc
	v_lshl_add_u64 v[10:11], v[10:11], 0, v[12:13]
	s_waitcnt lgkmcnt(1)
	global_store_dword v[10:11], v5, off
.LBB426_131:
	s_or_b64 exec, exec, s[0:1]
	v_cmp_gt_u32_e64 s[0:1], s33, v28
.LBB426_132:
	s_and_saveexec_b64 s[2:3], s[0:1]
	s_cbranch_execnz .LBB426_135
; %bb.133:
	s_or_b64 exec, exec, s[2:3]
	s_and_b64 s[0:1], s[18:19], s[22:23]
	s_and_saveexec_b64 s[2:3], s[0:1]
	s_cbranch_execnz .LBB426_136
.LBB426_134:
	s_endpgm
.LBB426_135:
	v_cmp_lt_u32_e32 vcc, v28, v42
	s_waitcnt lgkmcnt(1)
	s_nop 0
	v_cndmask_b32_e32 v5, v7, v9, vcc
	v_cndmask_b32_e32 v4, v6, v8, vcc
	v_lshlrev_b32_e32 v6, 2, v28
	v_mov_b32_e32 v7, 0
	v_lshl_add_u64 v[4:5], v[4:5], 0, v[6:7]
	s_waitcnt lgkmcnt(0)
	global_store_dword v[4:5], v1, off
	s_or_b64 exec, exec, s[2:3]
	s_and_b64 s[0:1], s[18:19], s[22:23]
	s_and_saveexec_b64 s[2:3], s[0:1]
	s_cbranch_execz .LBB426_134
.LBB426_136:
	v_mov_b32_e32 v0, 0
	global_store_dwordx2 v0, v[2:3], s[20:21]
	s_endpgm
.LBB426_137:
	v_cmp_gt_u32_e32 vcc, v42, v0
	v_mov_b32_e32 v23, 0
	s_nop 0
	v_cndmask_b32_e32 v25, v7, v9, vcc
	v_cndmask_b32_e32 v24, v6, v8, vcc
	v_lshl_add_u64 v[24:25], v[24:25], 0, v[22:23]
	s_waitcnt lgkmcnt(7)
	global_store_dword v[24:25], v20, off
	s_or_b64 exec, exec, s[0:1]
	v_cmp_gt_u32_e32 vcc, s33, v41
	s_and_saveexec_b64 s[0:1], vcc
	s_cbranch_execz .LBB426_118
.LBB426_138:
	v_cmp_lt_u32_e32 vcc, v41, v42
	v_mov_b32_e32 v23, 0
	s_nop 0
	v_cndmask_b32_e32 v25, v7, v9, vcc
	v_cndmask_b32_e32 v24, v6, v8, vcc
	v_lshl_add_u64 v[22:23], v[24:25], 0, v[22:23]
	s_waitcnt lgkmcnt(7)
	global_store_dword v[22:23], v21, off offset:2048
	s_or_b64 exec, exec, s[0:1]
	v_cmp_gt_u32_e32 vcc, s33, v40
	s_and_saveexec_b64 s[0:1], vcc
	s_cbranch_execz .LBB426_119
.LBB426_139:
	v_cmp_lt_u32_e32 vcc, v40, v42
	v_lshlrev_b32_e32 v22, 2, v40
	v_mov_b32_e32 v23, 0
	s_waitcnt lgkmcnt(7)
	v_cndmask_b32_e32 v21, v7, v9, vcc
	v_cndmask_b32_e32 v20, v6, v8, vcc
	v_lshl_add_u64 v[20:21], v[20:21], 0, v[22:23]
	s_waitcnt lgkmcnt(6)
	global_store_dword v[20:21], v18, off
	s_or_b64 exec, exec, s[0:1]
	v_cmp_gt_u32_e32 vcc, s33, v39
	s_and_saveexec_b64 s[0:1], vcc
	s_cbranch_execz .LBB426_120
.LBB426_140:
	v_cmp_lt_u32_e32 vcc, v39, v42
	v_lshlrev_b32_e32 v22, 2, v39
	v_mov_b32_e32 v23, 0
	s_waitcnt lgkmcnt(7)
	v_cndmask_b32_e32 v21, v7, v9, vcc
	v_cndmask_b32_e32 v20, v6, v8, vcc
	v_lshl_add_u64 v[20:21], v[20:21], 0, v[22:23]
	s_waitcnt lgkmcnt(6)
	global_store_dword v[20:21], v19, off
	s_or_b64 exec, exec, s[0:1]
	v_cmp_gt_u32_e32 vcc, s33, v38
	s_and_saveexec_b64 s[0:1], vcc
	s_cbranch_execz .LBB426_121
.LBB426_141:
	v_cmp_lt_u32_e32 vcc, v38, v42
	s_waitcnt lgkmcnt(7)
	v_lshlrev_b32_e32 v20, 2, v38
	v_mov_b32_e32 v21, 0
	s_waitcnt lgkmcnt(6)
	v_cndmask_b32_e32 v19, v7, v9, vcc
	v_cndmask_b32_e32 v18, v6, v8, vcc
	v_lshl_add_u64 v[18:19], v[18:19], 0, v[20:21]
	s_waitcnt lgkmcnt(5)
	global_store_dword v[18:19], v16, off
	s_or_b64 exec, exec, s[0:1]
	v_cmp_gt_u32_e32 vcc, s33, v37
	s_and_saveexec_b64 s[0:1], vcc
	s_cbranch_execz .LBB426_122
.LBB426_142:
	v_cmp_lt_u32_e32 vcc, v37, v42
	s_waitcnt lgkmcnt(7)
	v_lshlrev_b32_e32 v20, 2, v37
	v_mov_b32_e32 v21, 0
	s_waitcnt lgkmcnt(6)
	v_cndmask_b32_e32 v19, v7, v9, vcc
	v_cndmask_b32_e32 v18, v6, v8, vcc
	v_lshl_add_u64 v[18:19], v[18:19], 0, v[20:21]
	s_waitcnt lgkmcnt(5)
	global_store_dword v[18:19], v17, off
	s_or_b64 exec, exec, s[0:1]
	v_cmp_gt_u32_e32 vcc, s33, v36
	s_and_saveexec_b64 s[0:1], vcc
	s_cbranch_execz .LBB426_123
.LBB426_143:
	v_cmp_lt_u32_e32 vcc, v36, v42
	s_waitcnt lgkmcnt(6)
	v_lshlrev_b32_e32 v18, 2, v36
	v_mov_b32_e32 v19, 0
	s_waitcnt lgkmcnt(5)
	v_cndmask_b32_e32 v17, v7, v9, vcc
	v_cndmask_b32_e32 v16, v6, v8, vcc
	v_lshl_add_u64 v[16:17], v[16:17], 0, v[18:19]
	s_waitcnt lgkmcnt(4)
	global_store_dword v[16:17], v14, off
	s_or_b64 exec, exec, s[0:1]
	v_cmp_gt_u32_e32 vcc, s33, v35
	s_and_saveexec_b64 s[0:1], vcc
	s_cbranch_execz .LBB426_124
.LBB426_144:
	v_cmp_lt_u32_e32 vcc, v35, v42
	s_waitcnt lgkmcnt(6)
	v_lshlrev_b32_e32 v18, 2, v35
	v_mov_b32_e32 v19, 0
	s_waitcnt lgkmcnt(5)
	v_cndmask_b32_e32 v17, v7, v9, vcc
	v_cndmask_b32_e32 v16, v6, v8, vcc
	v_lshl_add_u64 v[16:17], v[16:17], 0, v[18:19]
	s_waitcnt lgkmcnt(4)
	global_store_dword v[16:17], v15, off
	s_or_b64 exec, exec, s[0:1]
	v_cmp_gt_u32_e32 vcc, s33, v34
	s_and_saveexec_b64 s[0:1], vcc
	s_cbranch_execz .LBB426_125
.LBB426_145:
	v_cmp_lt_u32_e32 vcc, v34, v42
	s_waitcnt lgkmcnt(5)
	v_lshlrev_b32_e32 v16, 2, v34
	v_mov_b32_e32 v17, 0
	s_waitcnt lgkmcnt(4)
	v_cndmask_b32_e32 v15, v7, v9, vcc
	v_cndmask_b32_e32 v14, v6, v8, vcc
	v_lshl_add_u64 v[14:15], v[14:15], 0, v[16:17]
	s_waitcnt lgkmcnt(3)
	global_store_dword v[14:15], v12, off
	s_or_b64 exec, exec, s[0:1]
	v_cmp_gt_u32_e32 vcc, s33, v33
	s_and_saveexec_b64 s[0:1], vcc
	s_cbranch_execz .LBB426_126
.LBB426_146:
	v_cmp_lt_u32_e32 vcc, v33, v42
	s_waitcnt lgkmcnt(5)
	v_lshlrev_b32_e32 v16, 2, v33
	v_mov_b32_e32 v17, 0
	s_waitcnt lgkmcnt(4)
	v_cndmask_b32_e32 v15, v7, v9, vcc
	v_cndmask_b32_e32 v14, v6, v8, vcc
	v_lshl_add_u64 v[14:15], v[14:15], 0, v[16:17]
	s_waitcnt lgkmcnt(3)
	global_store_dword v[14:15], v13, off
	s_or_b64 exec, exec, s[0:1]
	v_cmp_gt_u32_e32 vcc, s33, v32
	s_and_saveexec_b64 s[0:1], vcc
	s_cbranch_execz .LBB426_127
.LBB426_147:
	v_cmp_lt_u32_e32 vcc, v32, v42
	s_waitcnt lgkmcnt(4)
	v_lshlrev_b32_e32 v14, 2, v32
	v_mov_b32_e32 v15, 0
	s_waitcnt lgkmcnt(3)
	v_cndmask_b32_e32 v13, v7, v9, vcc
	v_cndmask_b32_e32 v12, v6, v8, vcc
	v_lshl_add_u64 v[12:13], v[12:13], 0, v[14:15]
	s_waitcnt lgkmcnt(2)
	global_store_dword v[12:13], v10, off
	s_or_b64 exec, exec, s[0:1]
	v_cmp_gt_u32_e32 vcc, s33, v31
	s_and_saveexec_b64 s[0:1], vcc
	s_cbranch_execz .LBB426_128
.LBB426_148:
	v_cmp_lt_u32_e32 vcc, v31, v42
	s_waitcnt lgkmcnt(4)
	v_lshlrev_b32_e32 v14, 2, v31
	v_mov_b32_e32 v15, 0
	s_waitcnt lgkmcnt(3)
	v_cndmask_b32_e32 v13, v7, v9, vcc
	v_cndmask_b32_e32 v12, v6, v8, vcc
	v_lshl_add_u64 v[12:13], v[12:13], 0, v[14:15]
	s_waitcnt lgkmcnt(2)
	global_store_dword v[12:13], v11, off
	s_or_b64 exec, exec, s[0:1]
	v_cmp_gt_u32_e32 vcc, s33, v30
	s_and_saveexec_b64 s[0:1], vcc
	s_cbranch_execz .LBB426_129
.LBB426_149:
	v_cmp_lt_u32_e32 vcc, v30, v42
	s_waitcnt lgkmcnt(3)
	v_lshlrev_b32_e32 v12, 2, v30
	v_mov_b32_e32 v13, 0
	s_waitcnt lgkmcnt(2)
	v_cndmask_b32_e32 v11, v7, v9, vcc
	v_cndmask_b32_e32 v10, v6, v8, vcc
	v_lshl_add_u64 v[10:11], v[10:11], 0, v[12:13]
	s_waitcnt lgkmcnt(1)
	global_store_dword v[10:11], v4, off
	s_or_b64 exec, exec, s[0:1]
	v_cmp_gt_u32_e32 vcc, s33, v29
	s_and_saveexec_b64 s[0:1], vcc
	s_cbranch_execnz .LBB426_130
	s_branch .LBB426_131
	.section	.rodata,"a",@progbits
	.p2align	6, 0x0
	.amdhsa_kernel _ZN7rocprim17ROCPRIM_400000_NS6detail17trampoline_kernelINS0_14default_configENS1_25partition_config_selectorILNS1_17partition_subalgoE1EiNS0_10empty_typeEbEEZZNS1_14partition_implILS5_1ELb0ES3_jN6thrust23THRUST_200600_302600_NS6detail15normal_iteratorINSA_10device_ptrIiEEEEPS6_NSA_18transform_iteratorI7is_evenIiESF_NSA_11use_defaultESK_EENS0_5tupleIJSF_SF_EEENSM_IJSG_SG_EEES6_PlJS6_EEE10hipError_tPvRmT3_T4_T5_T6_T7_T9_mT8_P12ihipStream_tbDpT10_ENKUlT_T0_E_clISt17integral_constantIbLb1EES19_EEDaS14_S15_EUlS14_E_NS1_11comp_targetILNS1_3genE5ELNS1_11target_archE942ELNS1_3gpuE9ELNS1_3repE0EEENS1_30default_config_static_selectorELNS0_4arch9wavefront6targetE1EEEvT1_
		.amdhsa_group_segment_fixed_size 30728
		.amdhsa_private_segment_fixed_size 0
		.amdhsa_kernarg_size 144
		.amdhsa_user_sgpr_count 2
		.amdhsa_user_sgpr_dispatch_ptr 0
		.amdhsa_user_sgpr_queue_ptr 0
		.amdhsa_user_sgpr_kernarg_segment_ptr 1
		.amdhsa_user_sgpr_dispatch_id 0
		.amdhsa_user_sgpr_kernarg_preload_length 0
		.amdhsa_user_sgpr_kernarg_preload_offset 0
		.amdhsa_user_sgpr_private_segment_size 0
		.amdhsa_uses_dynamic_stack 0
		.amdhsa_enable_private_segment 0
		.amdhsa_system_sgpr_workgroup_id_x 1
		.amdhsa_system_sgpr_workgroup_id_y 0
		.amdhsa_system_sgpr_workgroup_id_z 0
		.amdhsa_system_sgpr_workgroup_info 0
		.amdhsa_system_vgpr_workitem_id 0
		.amdhsa_next_free_vgpr 69
		.amdhsa_next_free_sgpr 44
		.amdhsa_accum_offset 72
		.amdhsa_reserve_vcc 1
		.amdhsa_float_round_mode_32 0
		.amdhsa_float_round_mode_16_64 0
		.amdhsa_float_denorm_mode_32 3
		.amdhsa_float_denorm_mode_16_64 3
		.amdhsa_dx10_clamp 1
		.amdhsa_ieee_mode 1
		.amdhsa_fp16_overflow 0
		.amdhsa_tg_split 0
		.amdhsa_exception_fp_ieee_invalid_op 0
		.amdhsa_exception_fp_denorm_src 0
		.amdhsa_exception_fp_ieee_div_zero 0
		.amdhsa_exception_fp_ieee_overflow 0
		.amdhsa_exception_fp_ieee_underflow 0
		.amdhsa_exception_fp_ieee_inexact 0
		.amdhsa_exception_int_div_zero 0
	.end_amdhsa_kernel
	.section	.text._ZN7rocprim17ROCPRIM_400000_NS6detail17trampoline_kernelINS0_14default_configENS1_25partition_config_selectorILNS1_17partition_subalgoE1EiNS0_10empty_typeEbEEZZNS1_14partition_implILS5_1ELb0ES3_jN6thrust23THRUST_200600_302600_NS6detail15normal_iteratorINSA_10device_ptrIiEEEEPS6_NSA_18transform_iteratorI7is_evenIiESF_NSA_11use_defaultESK_EENS0_5tupleIJSF_SF_EEENSM_IJSG_SG_EEES6_PlJS6_EEE10hipError_tPvRmT3_T4_T5_T6_T7_T9_mT8_P12ihipStream_tbDpT10_ENKUlT_T0_E_clISt17integral_constantIbLb1EES19_EEDaS14_S15_EUlS14_E_NS1_11comp_targetILNS1_3genE5ELNS1_11target_archE942ELNS1_3gpuE9ELNS1_3repE0EEENS1_30default_config_static_selectorELNS0_4arch9wavefront6targetE1EEEvT1_,"axG",@progbits,_ZN7rocprim17ROCPRIM_400000_NS6detail17trampoline_kernelINS0_14default_configENS1_25partition_config_selectorILNS1_17partition_subalgoE1EiNS0_10empty_typeEbEEZZNS1_14partition_implILS5_1ELb0ES3_jN6thrust23THRUST_200600_302600_NS6detail15normal_iteratorINSA_10device_ptrIiEEEEPS6_NSA_18transform_iteratorI7is_evenIiESF_NSA_11use_defaultESK_EENS0_5tupleIJSF_SF_EEENSM_IJSG_SG_EEES6_PlJS6_EEE10hipError_tPvRmT3_T4_T5_T6_T7_T9_mT8_P12ihipStream_tbDpT10_ENKUlT_T0_E_clISt17integral_constantIbLb1EES19_EEDaS14_S15_EUlS14_E_NS1_11comp_targetILNS1_3genE5ELNS1_11target_archE942ELNS1_3gpuE9ELNS1_3repE0EEENS1_30default_config_static_selectorELNS0_4arch9wavefront6targetE1EEEvT1_,comdat
.Lfunc_end426:
	.size	_ZN7rocprim17ROCPRIM_400000_NS6detail17trampoline_kernelINS0_14default_configENS1_25partition_config_selectorILNS1_17partition_subalgoE1EiNS0_10empty_typeEbEEZZNS1_14partition_implILS5_1ELb0ES3_jN6thrust23THRUST_200600_302600_NS6detail15normal_iteratorINSA_10device_ptrIiEEEEPS6_NSA_18transform_iteratorI7is_evenIiESF_NSA_11use_defaultESK_EENS0_5tupleIJSF_SF_EEENSM_IJSG_SG_EEES6_PlJS6_EEE10hipError_tPvRmT3_T4_T5_T6_T7_T9_mT8_P12ihipStream_tbDpT10_ENKUlT_T0_E_clISt17integral_constantIbLb1EES19_EEDaS14_S15_EUlS14_E_NS1_11comp_targetILNS1_3genE5ELNS1_11target_archE942ELNS1_3gpuE9ELNS1_3repE0EEENS1_30default_config_static_selectorELNS0_4arch9wavefront6targetE1EEEvT1_, .Lfunc_end426-_ZN7rocprim17ROCPRIM_400000_NS6detail17trampoline_kernelINS0_14default_configENS1_25partition_config_selectorILNS1_17partition_subalgoE1EiNS0_10empty_typeEbEEZZNS1_14partition_implILS5_1ELb0ES3_jN6thrust23THRUST_200600_302600_NS6detail15normal_iteratorINSA_10device_ptrIiEEEEPS6_NSA_18transform_iteratorI7is_evenIiESF_NSA_11use_defaultESK_EENS0_5tupleIJSF_SF_EEENSM_IJSG_SG_EEES6_PlJS6_EEE10hipError_tPvRmT3_T4_T5_T6_T7_T9_mT8_P12ihipStream_tbDpT10_ENKUlT_T0_E_clISt17integral_constantIbLb1EES19_EEDaS14_S15_EUlS14_E_NS1_11comp_targetILNS1_3genE5ELNS1_11target_archE942ELNS1_3gpuE9ELNS1_3repE0EEENS1_30default_config_static_selectorELNS0_4arch9wavefront6targetE1EEEvT1_
                                        ; -- End function
	.section	.AMDGPU.csdata,"",@progbits
; Kernel info:
; codeLenInByte = 8056
; NumSgprs: 50
; NumVgprs: 69
; NumAgprs: 0
; TotalNumVgprs: 69
; ScratchSize: 0
; MemoryBound: 0
; FloatMode: 240
; IeeeMode: 1
; LDSByteSize: 30728 bytes/workgroup (compile time only)
; SGPRBlocks: 6
; VGPRBlocks: 8
; NumSGPRsForWavesPerEU: 50
; NumVGPRsForWavesPerEU: 69
; AccumOffset: 72
; Occupancy: 4
; WaveLimiterHint : 1
; COMPUTE_PGM_RSRC2:SCRATCH_EN: 0
; COMPUTE_PGM_RSRC2:USER_SGPR: 2
; COMPUTE_PGM_RSRC2:TRAP_HANDLER: 0
; COMPUTE_PGM_RSRC2:TGID_X_EN: 1
; COMPUTE_PGM_RSRC2:TGID_Y_EN: 0
; COMPUTE_PGM_RSRC2:TGID_Z_EN: 0
; COMPUTE_PGM_RSRC2:TIDIG_COMP_CNT: 0
; COMPUTE_PGM_RSRC3_GFX90A:ACCUM_OFFSET: 17
; COMPUTE_PGM_RSRC3_GFX90A:TG_SPLIT: 0
	.section	.text._ZN7rocprim17ROCPRIM_400000_NS6detail17trampoline_kernelINS0_14default_configENS1_25partition_config_selectorILNS1_17partition_subalgoE1EiNS0_10empty_typeEbEEZZNS1_14partition_implILS5_1ELb0ES3_jN6thrust23THRUST_200600_302600_NS6detail15normal_iteratorINSA_10device_ptrIiEEEEPS6_NSA_18transform_iteratorI7is_evenIiESF_NSA_11use_defaultESK_EENS0_5tupleIJSF_SF_EEENSM_IJSG_SG_EEES6_PlJS6_EEE10hipError_tPvRmT3_T4_T5_T6_T7_T9_mT8_P12ihipStream_tbDpT10_ENKUlT_T0_E_clISt17integral_constantIbLb1EES19_EEDaS14_S15_EUlS14_E_NS1_11comp_targetILNS1_3genE4ELNS1_11target_archE910ELNS1_3gpuE8ELNS1_3repE0EEENS1_30default_config_static_selectorELNS0_4arch9wavefront6targetE1EEEvT1_,"axG",@progbits,_ZN7rocprim17ROCPRIM_400000_NS6detail17trampoline_kernelINS0_14default_configENS1_25partition_config_selectorILNS1_17partition_subalgoE1EiNS0_10empty_typeEbEEZZNS1_14partition_implILS5_1ELb0ES3_jN6thrust23THRUST_200600_302600_NS6detail15normal_iteratorINSA_10device_ptrIiEEEEPS6_NSA_18transform_iteratorI7is_evenIiESF_NSA_11use_defaultESK_EENS0_5tupleIJSF_SF_EEENSM_IJSG_SG_EEES6_PlJS6_EEE10hipError_tPvRmT3_T4_T5_T6_T7_T9_mT8_P12ihipStream_tbDpT10_ENKUlT_T0_E_clISt17integral_constantIbLb1EES19_EEDaS14_S15_EUlS14_E_NS1_11comp_targetILNS1_3genE4ELNS1_11target_archE910ELNS1_3gpuE8ELNS1_3repE0EEENS1_30default_config_static_selectorELNS0_4arch9wavefront6targetE1EEEvT1_,comdat
	.protected	_ZN7rocprim17ROCPRIM_400000_NS6detail17trampoline_kernelINS0_14default_configENS1_25partition_config_selectorILNS1_17partition_subalgoE1EiNS0_10empty_typeEbEEZZNS1_14partition_implILS5_1ELb0ES3_jN6thrust23THRUST_200600_302600_NS6detail15normal_iteratorINSA_10device_ptrIiEEEEPS6_NSA_18transform_iteratorI7is_evenIiESF_NSA_11use_defaultESK_EENS0_5tupleIJSF_SF_EEENSM_IJSG_SG_EEES6_PlJS6_EEE10hipError_tPvRmT3_T4_T5_T6_T7_T9_mT8_P12ihipStream_tbDpT10_ENKUlT_T0_E_clISt17integral_constantIbLb1EES19_EEDaS14_S15_EUlS14_E_NS1_11comp_targetILNS1_3genE4ELNS1_11target_archE910ELNS1_3gpuE8ELNS1_3repE0EEENS1_30default_config_static_selectorELNS0_4arch9wavefront6targetE1EEEvT1_ ; -- Begin function _ZN7rocprim17ROCPRIM_400000_NS6detail17trampoline_kernelINS0_14default_configENS1_25partition_config_selectorILNS1_17partition_subalgoE1EiNS0_10empty_typeEbEEZZNS1_14partition_implILS5_1ELb0ES3_jN6thrust23THRUST_200600_302600_NS6detail15normal_iteratorINSA_10device_ptrIiEEEEPS6_NSA_18transform_iteratorI7is_evenIiESF_NSA_11use_defaultESK_EENS0_5tupleIJSF_SF_EEENSM_IJSG_SG_EEES6_PlJS6_EEE10hipError_tPvRmT3_T4_T5_T6_T7_T9_mT8_P12ihipStream_tbDpT10_ENKUlT_T0_E_clISt17integral_constantIbLb1EES19_EEDaS14_S15_EUlS14_E_NS1_11comp_targetILNS1_3genE4ELNS1_11target_archE910ELNS1_3gpuE8ELNS1_3repE0EEENS1_30default_config_static_selectorELNS0_4arch9wavefront6targetE1EEEvT1_
	.globl	_ZN7rocprim17ROCPRIM_400000_NS6detail17trampoline_kernelINS0_14default_configENS1_25partition_config_selectorILNS1_17partition_subalgoE1EiNS0_10empty_typeEbEEZZNS1_14partition_implILS5_1ELb0ES3_jN6thrust23THRUST_200600_302600_NS6detail15normal_iteratorINSA_10device_ptrIiEEEEPS6_NSA_18transform_iteratorI7is_evenIiESF_NSA_11use_defaultESK_EENS0_5tupleIJSF_SF_EEENSM_IJSG_SG_EEES6_PlJS6_EEE10hipError_tPvRmT3_T4_T5_T6_T7_T9_mT8_P12ihipStream_tbDpT10_ENKUlT_T0_E_clISt17integral_constantIbLb1EES19_EEDaS14_S15_EUlS14_E_NS1_11comp_targetILNS1_3genE4ELNS1_11target_archE910ELNS1_3gpuE8ELNS1_3repE0EEENS1_30default_config_static_selectorELNS0_4arch9wavefront6targetE1EEEvT1_
	.p2align	8
	.type	_ZN7rocprim17ROCPRIM_400000_NS6detail17trampoline_kernelINS0_14default_configENS1_25partition_config_selectorILNS1_17partition_subalgoE1EiNS0_10empty_typeEbEEZZNS1_14partition_implILS5_1ELb0ES3_jN6thrust23THRUST_200600_302600_NS6detail15normal_iteratorINSA_10device_ptrIiEEEEPS6_NSA_18transform_iteratorI7is_evenIiESF_NSA_11use_defaultESK_EENS0_5tupleIJSF_SF_EEENSM_IJSG_SG_EEES6_PlJS6_EEE10hipError_tPvRmT3_T4_T5_T6_T7_T9_mT8_P12ihipStream_tbDpT10_ENKUlT_T0_E_clISt17integral_constantIbLb1EES19_EEDaS14_S15_EUlS14_E_NS1_11comp_targetILNS1_3genE4ELNS1_11target_archE910ELNS1_3gpuE8ELNS1_3repE0EEENS1_30default_config_static_selectorELNS0_4arch9wavefront6targetE1EEEvT1_,@function
_ZN7rocprim17ROCPRIM_400000_NS6detail17trampoline_kernelINS0_14default_configENS1_25partition_config_selectorILNS1_17partition_subalgoE1EiNS0_10empty_typeEbEEZZNS1_14partition_implILS5_1ELb0ES3_jN6thrust23THRUST_200600_302600_NS6detail15normal_iteratorINSA_10device_ptrIiEEEEPS6_NSA_18transform_iteratorI7is_evenIiESF_NSA_11use_defaultESK_EENS0_5tupleIJSF_SF_EEENSM_IJSG_SG_EEES6_PlJS6_EEE10hipError_tPvRmT3_T4_T5_T6_T7_T9_mT8_P12ihipStream_tbDpT10_ENKUlT_T0_E_clISt17integral_constantIbLb1EES19_EEDaS14_S15_EUlS14_E_NS1_11comp_targetILNS1_3genE4ELNS1_11target_archE910ELNS1_3gpuE8ELNS1_3repE0EEENS1_30default_config_static_selectorELNS0_4arch9wavefront6targetE1EEEvT1_: ; @_ZN7rocprim17ROCPRIM_400000_NS6detail17trampoline_kernelINS0_14default_configENS1_25partition_config_selectorILNS1_17partition_subalgoE1EiNS0_10empty_typeEbEEZZNS1_14partition_implILS5_1ELb0ES3_jN6thrust23THRUST_200600_302600_NS6detail15normal_iteratorINSA_10device_ptrIiEEEEPS6_NSA_18transform_iteratorI7is_evenIiESF_NSA_11use_defaultESK_EENS0_5tupleIJSF_SF_EEENSM_IJSG_SG_EEES6_PlJS6_EEE10hipError_tPvRmT3_T4_T5_T6_T7_T9_mT8_P12ihipStream_tbDpT10_ENKUlT_T0_E_clISt17integral_constantIbLb1EES19_EEDaS14_S15_EUlS14_E_NS1_11comp_targetILNS1_3genE4ELNS1_11target_archE910ELNS1_3gpuE8ELNS1_3repE0EEENS1_30default_config_static_selectorELNS0_4arch9wavefront6targetE1EEEvT1_
; %bb.0:
	.section	.rodata,"a",@progbits
	.p2align	6, 0x0
	.amdhsa_kernel _ZN7rocprim17ROCPRIM_400000_NS6detail17trampoline_kernelINS0_14default_configENS1_25partition_config_selectorILNS1_17partition_subalgoE1EiNS0_10empty_typeEbEEZZNS1_14partition_implILS5_1ELb0ES3_jN6thrust23THRUST_200600_302600_NS6detail15normal_iteratorINSA_10device_ptrIiEEEEPS6_NSA_18transform_iteratorI7is_evenIiESF_NSA_11use_defaultESK_EENS0_5tupleIJSF_SF_EEENSM_IJSG_SG_EEES6_PlJS6_EEE10hipError_tPvRmT3_T4_T5_T6_T7_T9_mT8_P12ihipStream_tbDpT10_ENKUlT_T0_E_clISt17integral_constantIbLb1EES19_EEDaS14_S15_EUlS14_E_NS1_11comp_targetILNS1_3genE4ELNS1_11target_archE910ELNS1_3gpuE8ELNS1_3repE0EEENS1_30default_config_static_selectorELNS0_4arch9wavefront6targetE1EEEvT1_
		.amdhsa_group_segment_fixed_size 0
		.amdhsa_private_segment_fixed_size 0
		.amdhsa_kernarg_size 144
		.amdhsa_user_sgpr_count 2
		.amdhsa_user_sgpr_dispatch_ptr 0
		.amdhsa_user_sgpr_queue_ptr 0
		.amdhsa_user_sgpr_kernarg_segment_ptr 1
		.amdhsa_user_sgpr_dispatch_id 0
		.amdhsa_user_sgpr_kernarg_preload_length 0
		.amdhsa_user_sgpr_kernarg_preload_offset 0
		.amdhsa_user_sgpr_private_segment_size 0
		.amdhsa_uses_dynamic_stack 0
		.amdhsa_enable_private_segment 0
		.amdhsa_system_sgpr_workgroup_id_x 1
		.amdhsa_system_sgpr_workgroup_id_y 0
		.amdhsa_system_sgpr_workgroup_id_z 0
		.amdhsa_system_sgpr_workgroup_info 0
		.amdhsa_system_vgpr_workitem_id 0
		.amdhsa_next_free_vgpr 1
		.amdhsa_next_free_sgpr 0
		.amdhsa_accum_offset 4
		.amdhsa_reserve_vcc 0
		.amdhsa_float_round_mode_32 0
		.amdhsa_float_round_mode_16_64 0
		.amdhsa_float_denorm_mode_32 3
		.amdhsa_float_denorm_mode_16_64 3
		.amdhsa_dx10_clamp 1
		.amdhsa_ieee_mode 1
		.amdhsa_fp16_overflow 0
		.amdhsa_tg_split 0
		.amdhsa_exception_fp_ieee_invalid_op 0
		.amdhsa_exception_fp_denorm_src 0
		.amdhsa_exception_fp_ieee_div_zero 0
		.amdhsa_exception_fp_ieee_overflow 0
		.amdhsa_exception_fp_ieee_underflow 0
		.amdhsa_exception_fp_ieee_inexact 0
		.amdhsa_exception_int_div_zero 0
	.end_amdhsa_kernel
	.section	.text._ZN7rocprim17ROCPRIM_400000_NS6detail17trampoline_kernelINS0_14default_configENS1_25partition_config_selectorILNS1_17partition_subalgoE1EiNS0_10empty_typeEbEEZZNS1_14partition_implILS5_1ELb0ES3_jN6thrust23THRUST_200600_302600_NS6detail15normal_iteratorINSA_10device_ptrIiEEEEPS6_NSA_18transform_iteratorI7is_evenIiESF_NSA_11use_defaultESK_EENS0_5tupleIJSF_SF_EEENSM_IJSG_SG_EEES6_PlJS6_EEE10hipError_tPvRmT3_T4_T5_T6_T7_T9_mT8_P12ihipStream_tbDpT10_ENKUlT_T0_E_clISt17integral_constantIbLb1EES19_EEDaS14_S15_EUlS14_E_NS1_11comp_targetILNS1_3genE4ELNS1_11target_archE910ELNS1_3gpuE8ELNS1_3repE0EEENS1_30default_config_static_selectorELNS0_4arch9wavefront6targetE1EEEvT1_,"axG",@progbits,_ZN7rocprim17ROCPRIM_400000_NS6detail17trampoline_kernelINS0_14default_configENS1_25partition_config_selectorILNS1_17partition_subalgoE1EiNS0_10empty_typeEbEEZZNS1_14partition_implILS5_1ELb0ES3_jN6thrust23THRUST_200600_302600_NS6detail15normal_iteratorINSA_10device_ptrIiEEEEPS6_NSA_18transform_iteratorI7is_evenIiESF_NSA_11use_defaultESK_EENS0_5tupleIJSF_SF_EEENSM_IJSG_SG_EEES6_PlJS6_EEE10hipError_tPvRmT3_T4_T5_T6_T7_T9_mT8_P12ihipStream_tbDpT10_ENKUlT_T0_E_clISt17integral_constantIbLb1EES19_EEDaS14_S15_EUlS14_E_NS1_11comp_targetILNS1_3genE4ELNS1_11target_archE910ELNS1_3gpuE8ELNS1_3repE0EEENS1_30default_config_static_selectorELNS0_4arch9wavefront6targetE1EEEvT1_,comdat
.Lfunc_end427:
	.size	_ZN7rocprim17ROCPRIM_400000_NS6detail17trampoline_kernelINS0_14default_configENS1_25partition_config_selectorILNS1_17partition_subalgoE1EiNS0_10empty_typeEbEEZZNS1_14partition_implILS5_1ELb0ES3_jN6thrust23THRUST_200600_302600_NS6detail15normal_iteratorINSA_10device_ptrIiEEEEPS6_NSA_18transform_iteratorI7is_evenIiESF_NSA_11use_defaultESK_EENS0_5tupleIJSF_SF_EEENSM_IJSG_SG_EEES6_PlJS6_EEE10hipError_tPvRmT3_T4_T5_T6_T7_T9_mT8_P12ihipStream_tbDpT10_ENKUlT_T0_E_clISt17integral_constantIbLb1EES19_EEDaS14_S15_EUlS14_E_NS1_11comp_targetILNS1_3genE4ELNS1_11target_archE910ELNS1_3gpuE8ELNS1_3repE0EEENS1_30default_config_static_selectorELNS0_4arch9wavefront6targetE1EEEvT1_, .Lfunc_end427-_ZN7rocprim17ROCPRIM_400000_NS6detail17trampoline_kernelINS0_14default_configENS1_25partition_config_selectorILNS1_17partition_subalgoE1EiNS0_10empty_typeEbEEZZNS1_14partition_implILS5_1ELb0ES3_jN6thrust23THRUST_200600_302600_NS6detail15normal_iteratorINSA_10device_ptrIiEEEEPS6_NSA_18transform_iteratorI7is_evenIiESF_NSA_11use_defaultESK_EENS0_5tupleIJSF_SF_EEENSM_IJSG_SG_EEES6_PlJS6_EEE10hipError_tPvRmT3_T4_T5_T6_T7_T9_mT8_P12ihipStream_tbDpT10_ENKUlT_T0_E_clISt17integral_constantIbLb1EES19_EEDaS14_S15_EUlS14_E_NS1_11comp_targetILNS1_3genE4ELNS1_11target_archE910ELNS1_3gpuE8ELNS1_3repE0EEENS1_30default_config_static_selectorELNS0_4arch9wavefront6targetE1EEEvT1_
                                        ; -- End function
	.section	.AMDGPU.csdata,"",@progbits
; Kernel info:
; codeLenInByte = 0
; NumSgprs: 6
; NumVgprs: 0
; NumAgprs: 0
; TotalNumVgprs: 0
; ScratchSize: 0
; MemoryBound: 0
; FloatMode: 240
; IeeeMode: 1
; LDSByteSize: 0 bytes/workgroup (compile time only)
; SGPRBlocks: 0
; VGPRBlocks: 0
; NumSGPRsForWavesPerEU: 6
; NumVGPRsForWavesPerEU: 1
; AccumOffset: 4
; Occupancy: 8
; WaveLimiterHint : 0
; COMPUTE_PGM_RSRC2:SCRATCH_EN: 0
; COMPUTE_PGM_RSRC2:USER_SGPR: 2
; COMPUTE_PGM_RSRC2:TRAP_HANDLER: 0
; COMPUTE_PGM_RSRC2:TGID_X_EN: 1
; COMPUTE_PGM_RSRC2:TGID_Y_EN: 0
; COMPUTE_PGM_RSRC2:TGID_Z_EN: 0
; COMPUTE_PGM_RSRC2:TIDIG_COMP_CNT: 0
; COMPUTE_PGM_RSRC3_GFX90A:ACCUM_OFFSET: 0
; COMPUTE_PGM_RSRC3_GFX90A:TG_SPLIT: 0
	.section	.text._ZN7rocprim17ROCPRIM_400000_NS6detail17trampoline_kernelINS0_14default_configENS1_25partition_config_selectorILNS1_17partition_subalgoE1EiNS0_10empty_typeEbEEZZNS1_14partition_implILS5_1ELb0ES3_jN6thrust23THRUST_200600_302600_NS6detail15normal_iteratorINSA_10device_ptrIiEEEEPS6_NSA_18transform_iteratorI7is_evenIiESF_NSA_11use_defaultESK_EENS0_5tupleIJSF_SF_EEENSM_IJSG_SG_EEES6_PlJS6_EEE10hipError_tPvRmT3_T4_T5_T6_T7_T9_mT8_P12ihipStream_tbDpT10_ENKUlT_T0_E_clISt17integral_constantIbLb1EES19_EEDaS14_S15_EUlS14_E_NS1_11comp_targetILNS1_3genE3ELNS1_11target_archE908ELNS1_3gpuE7ELNS1_3repE0EEENS1_30default_config_static_selectorELNS0_4arch9wavefront6targetE1EEEvT1_,"axG",@progbits,_ZN7rocprim17ROCPRIM_400000_NS6detail17trampoline_kernelINS0_14default_configENS1_25partition_config_selectorILNS1_17partition_subalgoE1EiNS0_10empty_typeEbEEZZNS1_14partition_implILS5_1ELb0ES3_jN6thrust23THRUST_200600_302600_NS6detail15normal_iteratorINSA_10device_ptrIiEEEEPS6_NSA_18transform_iteratorI7is_evenIiESF_NSA_11use_defaultESK_EENS0_5tupleIJSF_SF_EEENSM_IJSG_SG_EEES6_PlJS6_EEE10hipError_tPvRmT3_T4_T5_T6_T7_T9_mT8_P12ihipStream_tbDpT10_ENKUlT_T0_E_clISt17integral_constantIbLb1EES19_EEDaS14_S15_EUlS14_E_NS1_11comp_targetILNS1_3genE3ELNS1_11target_archE908ELNS1_3gpuE7ELNS1_3repE0EEENS1_30default_config_static_selectorELNS0_4arch9wavefront6targetE1EEEvT1_,comdat
	.protected	_ZN7rocprim17ROCPRIM_400000_NS6detail17trampoline_kernelINS0_14default_configENS1_25partition_config_selectorILNS1_17partition_subalgoE1EiNS0_10empty_typeEbEEZZNS1_14partition_implILS5_1ELb0ES3_jN6thrust23THRUST_200600_302600_NS6detail15normal_iteratorINSA_10device_ptrIiEEEEPS6_NSA_18transform_iteratorI7is_evenIiESF_NSA_11use_defaultESK_EENS0_5tupleIJSF_SF_EEENSM_IJSG_SG_EEES6_PlJS6_EEE10hipError_tPvRmT3_T4_T5_T6_T7_T9_mT8_P12ihipStream_tbDpT10_ENKUlT_T0_E_clISt17integral_constantIbLb1EES19_EEDaS14_S15_EUlS14_E_NS1_11comp_targetILNS1_3genE3ELNS1_11target_archE908ELNS1_3gpuE7ELNS1_3repE0EEENS1_30default_config_static_selectorELNS0_4arch9wavefront6targetE1EEEvT1_ ; -- Begin function _ZN7rocprim17ROCPRIM_400000_NS6detail17trampoline_kernelINS0_14default_configENS1_25partition_config_selectorILNS1_17partition_subalgoE1EiNS0_10empty_typeEbEEZZNS1_14partition_implILS5_1ELb0ES3_jN6thrust23THRUST_200600_302600_NS6detail15normal_iteratorINSA_10device_ptrIiEEEEPS6_NSA_18transform_iteratorI7is_evenIiESF_NSA_11use_defaultESK_EENS0_5tupleIJSF_SF_EEENSM_IJSG_SG_EEES6_PlJS6_EEE10hipError_tPvRmT3_T4_T5_T6_T7_T9_mT8_P12ihipStream_tbDpT10_ENKUlT_T0_E_clISt17integral_constantIbLb1EES19_EEDaS14_S15_EUlS14_E_NS1_11comp_targetILNS1_3genE3ELNS1_11target_archE908ELNS1_3gpuE7ELNS1_3repE0EEENS1_30default_config_static_selectorELNS0_4arch9wavefront6targetE1EEEvT1_
	.globl	_ZN7rocprim17ROCPRIM_400000_NS6detail17trampoline_kernelINS0_14default_configENS1_25partition_config_selectorILNS1_17partition_subalgoE1EiNS0_10empty_typeEbEEZZNS1_14partition_implILS5_1ELb0ES3_jN6thrust23THRUST_200600_302600_NS6detail15normal_iteratorINSA_10device_ptrIiEEEEPS6_NSA_18transform_iteratorI7is_evenIiESF_NSA_11use_defaultESK_EENS0_5tupleIJSF_SF_EEENSM_IJSG_SG_EEES6_PlJS6_EEE10hipError_tPvRmT3_T4_T5_T6_T7_T9_mT8_P12ihipStream_tbDpT10_ENKUlT_T0_E_clISt17integral_constantIbLb1EES19_EEDaS14_S15_EUlS14_E_NS1_11comp_targetILNS1_3genE3ELNS1_11target_archE908ELNS1_3gpuE7ELNS1_3repE0EEENS1_30default_config_static_selectorELNS0_4arch9wavefront6targetE1EEEvT1_
	.p2align	8
	.type	_ZN7rocprim17ROCPRIM_400000_NS6detail17trampoline_kernelINS0_14default_configENS1_25partition_config_selectorILNS1_17partition_subalgoE1EiNS0_10empty_typeEbEEZZNS1_14partition_implILS5_1ELb0ES3_jN6thrust23THRUST_200600_302600_NS6detail15normal_iteratorINSA_10device_ptrIiEEEEPS6_NSA_18transform_iteratorI7is_evenIiESF_NSA_11use_defaultESK_EENS0_5tupleIJSF_SF_EEENSM_IJSG_SG_EEES6_PlJS6_EEE10hipError_tPvRmT3_T4_T5_T6_T7_T9_mT8_P12ihipStream_tbDpT10_ENKUlT_T0_E_clISt17integral_constantIbLb1EES19_EEDaS14_S15_EUlS14_E_NS1_11comp_targetILNS1_3genE3ELNS1_11target_archE908ELNS1_3gpuE7ELNS1_3repE0EEENS1_30default_config_static_selectorELNS0_4arch9wavefront6targetE1EEEvT1_,@function
_ZN7rocprim17ROCPRIM_400000_NS6detail17trampoline_kernelINS0_14default_configENS1_25partition_config_selectorILNS1_17partition_subalgoE1EiNS0_10empty_typeEbEEZZNS1_14partition_implILS5_1ELb0ES3_jN6thrust23THRUST_200600_302600_NS6detail15normal_iteratorINSA_10device_ptrIiEEEEPS6_NSA_18transform_iteratorI7is_evenIiESF_NSA_11use_defaultESK_EENS0_5tupleIJSF_SF_EEENSM_IJSG_SG_EEES6_PlJS6_EEE10hipError_tPvRmT3_T4_T5_T6_T7_T9_mT8_P12ihipStream_tbDpT10_ENKUlT_T0_E_clISt17integral_constantIbLb1EES19_EEDaS14_S15_EUlS14_E_NS1_11comp_targetILNS1_3genE3ELNS1_11target_archE908ELNS1_3gpuE7ELNS1_3repE0EEENS1_30default_config_static_selectorELNS0_4arch9wavefront6targetE1EEEvT1_: ; @_ZN7rocprim17ROCPRIM_400000_NS6detail17trampoline_kernelINS0_14default_configENS1_25partition_config_selectorILNS1_17partition_subalgoE1EiNS0_10empty_typeEbEEZZNS1_14partition_implILS5_1ELb0ES3_jN6thrust23THRUST_200600_302600_NS6detail15normal_iteratorINSA_10device_ptrIiEEEEPS6_NSA_18transform_iteratorI7is_evenIiESF_NSA_11use_defaultESK_EENS0_5tupleIJSF_SF_EEENSM_IJSG_SG_EEES6_PlJS6_EEE10hipError_tPvRmT3_T4_T5_T6_T7_T9_mT8_P12ihipStream_tbDpT10_ENKUlT_T0_E_clISt17integral_constantIbLb1EES19_EEDaS14_S15_EUlS14_E_NS1_11comp_targetILNS1_3genE3ELNS1_11target_archE908ELNS1_3gpuE7ELNS1_3repE0EEENS1_30default_config_static_selectorELNS0_4arch9wavefront6targetE1EEEvT1_
; %bb.0:
	.section	.rodata,"a",@progbits
	.p2align	6, 0x0
	.amdhsa_kernel _ZN7rocprim17ROCPRIM_400000_NS6detail17trampoline_kernelINS0_14default_configENS1_25partition_config_selectorILNS1_17partition_subalgoE1EiNS0_10empty_typeEbEEZZNS1_14partition_implILS5_1ELb0ES3_jN6thrust23THRUST_200600_302600_NS6detail15normal_iteratorINSA_10device_ptrIiEEEEPS6_NSA_18transform_iteratorI7is_evenIiESF_NSA_11use_defaultESK_EENS0_5tupleIJSF_SF_EEENSM_IJSG_SG_EEES6_PlJS6_EEE10hipError_tPvRmT3_T4_T5_T6_T7_T9_mT8_P12ihipStream_tbDpT10_ENKUlT_T0_E_clISt17integral_constantIbLb1EES19_EEDaS14_S15_EUlS14_E_NS1_11comp_targetILNS1_3genE3ELNS1_11target_archE908ELNS1_3gpuE7ELNS1_3repE0EEENS1_30default_config_static_selectorELNS0_4arch9wavefront6targetE1EEEvT1_
		.amdhsa_group_segment_fixed_size 0
		.amdhsa_private_segment_fixed_size 0
		.amdhsa_kernarg_size 144
		.amdhsa_user_sgpr_count 2
		.amdhsa_user_sgpr_dispatch_ptr 0
		.amdhsa_user_sgpr_queue_ptr 0
		.amdhsa_user_sgpr_kernarg_segment_ptr 1
		.amdhsa_user_sgpr_dispatch_id 0
		.amdhsa_user_sgpr_kernarg_preload_length 0
		.amdhsa_user_sgpr_kernarg_preload_offset 0
		.amdhsa_user_sgpr_private_segment_size 0
		.amdhsa_uses_dynamic_stack 0
		.amdhsa_enable_private_segment 0
		.amdhsa_system_sgpr_workgroup_id_x 1
		.amdhsa_system_sgpr_workgroup_id_y 0
		.amdhsa_system_sgpr_workgroup_id_z 0
		.amdhsa_system_sgpr_workgroup_info 0
		.amdhsa_system_vgpr_workitem_id 0
		.amdhsa_next_free_vgpr 1
		.amdhsa_next_free_sgpr 0
		.amdhsa_accum_offset 4
		.amdhsa_reserve_vcc 0
		.amdhsa_float_round_mode_32 0
		.amdhsa_float_round_mode_16_64 0
		.amdhsa_float_denorm_mode_32 3
		.amdhsa_float_denorm_mode_16_64 3
		.amdhsa_dx10_clamp 1
		.amdhsa_ieee_mode 1
		.amdhsa_fp16_overflow 0
		.amdhsa_tg_split 0
		.amdhsa_exception_fp_ieee_invalid_op 0
		.amdhsa_exception_fp_denorm_src 0
		.amdhsa_exception_fp_ieee_div_zero 0
		.amdhsa_exception_fp_ieee_overflow 0
		.amdhsa_exception_fp_ieee_underflow 0
		.amdhsa_exception_fp_ieee_inexact 0
		.amdhsa_exception_int_div_zero 0
	.end_amdhsa_kernel
	.section	.text._ZN7rocprim17ROCPRIM_400000_NS6detail17trampoline_kernelINS0_14default_configENS1_25partition_config_selectorILNS1_17partition_subalgoE1EiNS0_10empty_typeEbEEZZNS1_14partition_implILS5_1ELb0ES3_jN6thrust23THRUST_200600_302600_NS6detail15normal_iteratorINSA_10device_ptrIiEEEEPS6_NSA_18transform_iteratorI7is_evenIiESF_NSA_11use_defaultESK_EENS0_5tupleIJSF_SF_EEENSM_IJSG_SG_EEES6_PlJS6_EEE10hipError_tPvRmT3_T4_T5_T6_T7_T9_mT8_P12ihipStream_tbDpT10_ENKUlT_T0_E_clISt17integral_constantIbLb1EES19_EEDaS14_S15_EUlS14_E_NS1_11comp_targetILNS1_3genE3ELNS1_11target_archE908ELNS1_3gpuE7ELNS1_3repE0EEENS1_30default_config_static_selectorELNS0_4arch9wavefront6targetE1EEEvT1_,"axG",@progbits,_ZN7rocprim17ROCPRIM_400000_NS6detail17trampoline_kernelINS0_14default_configENS1_25partition_config_selectorILNS1_17partition_subalgoE1EiNS0_10empty_typeEbEEZZNS1_14partition_implILS5_1ELb0ES3_jN6thrust23THRUST_200600_302600_NS6detail15normal_iteratorINSA_10device_ptrIiEEEEPS6_NSA_18transform_iteratorI7is_evenIiESF_NSA_11use_defaultESK_EENS0_5tupleIJSF_SF_EEENSM_IJSG_SG_EEES6_PlJS6_EEE10hipError_tPvRmT3_T4_T5_T6_T7_T9_mT8_P12ihipStream_tbDpT10_ENKUlT_T0_E_clISt17integral_constantIbLb1EES19_EEDaS14_S15_EUlS14_E_NS1_11comp_targetILNS1_3genE3ELNS1_11target_archE908ELNS1_3gpuE7ELNS1_3repE0EEENS1_30default_config_static_selectorELNS0_4arch9wavefront6targetE1EEEvT1_,comdat
.Lfunc_end428:
	.size	_ZN7rocprim17ROCPRIM_400000_NS6detail17trampoline_kernelINS0_14default_configENS1_25partition_config_selectorILNS1_17partition_subalgoE1EiNS0_10empty_typeEbEEZZNS1_14partition_implILS5_1ELb0ES3_jN6thrust23THRUST_200600_302600_NS6detail15normal_iteratorINSA_10device_ptrIiEEEEPS6_NSA_18transform_iteratorI7is_evenIiESF_NSA_11use_defaultESK_EENS0_5tupleIJSF_SF_EEENSM_IJSG_SG_EEES6_PlJS6_EEE10hipError_tPvRmT3_T4_T5_T6_T7_T9_mT8_P12ihipStream_tbDpT10_ENKUlT_T0_E_clISt17integral_constantIbLb1EES19_EEDaS14_S15_EUlS14_E_NS1_11comp_targetILNS1_3genE3ELNS1_11target_archE908ELNS1_3gpuE7ELNS1_3repE0EEENS1_30default_config_static_selectorELNS0_4arch9wavefront6targetE1EEEvT1_, .Lfunc_end428-_ZN7rocprim17ROCPRIM_400000_NS6detail17trampoline_kernelINS0_14default_configENS1_25partition_config_selectorILNS1_17partition_subalgoE1EiNS0_10empty_typeEbEEZZNS1_14partition_implILS5_1ELb0ES3_jN6thrust23THRUST_200600_302600_NS6detail15normal_iteratorINSA_10device_ptrIiEEEEPS6_NSA_18transform_iteratorI7is_evenIiESF_NSA_11use_defaultESK_EENS0_5tupleIJSF_SF_EEENSM_IJSG_SG_EEES6_PlJS6_EEE10hipError_tPvRmT3_T4_T5_T6_T7_T9_mT8_P12ihipStream_tbDpT10_ENKUlT_T0_E_clISt17integral_constantIbLb1EES19_EEDaS14_S15_EUlS14_E_NS1_11comp_targetILNS1_3genE3ELNS1_11target_archE908ELNS1_3gpuE7ELNS1_3repE0EEENS1_30default_config_static_selectorELNS0_4arch9wavefront6targetE1EEEvT1_
                                        ; -- End function
	.section	.AMDGPU.csdata,"",@progbits
; Kernel info:
; codeLenInByte = 0
; NumSgprs: 6
; NumVgprs: 0
; NumAgprs: 0
; TotalNumVgprs: 0
; ScratchSize: 0
; MemoryBound: 0
; FloatMode: 240
; IeeeMode: 1
; LDSByteSize: 0 bytes/workgroup (compile time only)
; SGPRBlocks: 0
; VGPRBlocks: 0
; NumSGPRsForWavesPerEU: 6
; NumVGPRsForWavesPerEU: 1
; AccumOffset: 4
; Occupancy: 8
; WaveLimiterHint : 0
; COMPUTE_PGM_RSRC2:SCRATCH_EN: 0
; COMPUTE_PGM_RSRC2:USER_SGPR: 2
; COMPUTE_PGM_RSRC2:TRAP_HANDLER: 0
; COMPUTE_PGM_RSRC2:TGID_X_EN: 1
; COMPUTE_PGM_RSRC2:TGID_Y_EN: 0
; COMPUTE_PGM_RSRC2:TGID_Z_EN: 0
; COMPUTE_PGM_RSRC2:TIDIG_COMP_CNT: 0
; COMPUTE_PGM_RSRC3_GFX90A:ACCUM_OFFSET: 0
; COMPUTE_PGM_RSRC3_GFX90A:TG_SPLIT: 0
	.section	.text._ZN7rocprim17ROCPRIM_400000_NS6detail17trampoline_kernelINS0_14default_configENS1_25partition_config_selectorILNS1_17partition_subalgoE1EiNS0_10empty_typeEbEEZZNS1_14partition_implILS5_1ELb0ES3_jN6thrust23THRUST_200600_302600_NS6detail15normal_iteratorINSA_10device_ptrIiEEEEPS6_NSA_18transform_iteratorI7is_evenIiESF_NSA_11use_defaultESK_EENS0_5tupleIJSF_SF_EEENSM_IJSG_SG_EEES6_PlJS6_EEE10hipError_tPvRmT3_T4_T5_T6_T7_T9_mT8_P12ihipStream_tbDpT10_ENKUlT_T0_E_clISt17integral_constantIbLb1EES19_EEDaS14_S15_EUlS14_E_NS1_11comp_targetILNS1_3genE2ELNS1_11target_archE906ELNS1_3gpuE6ELNS1_3repE0EEENS1_30default_config_static_selectorELNS0_4arch9wavefront6targetE1EEEvT1_,"axG",@progbits,_ZN7rocprim17ROCPRIM_400000_NS6detail17trampoline_kernelINS0_14default_configENS1_25partition_config_selectorILNS1_17partition_subalgoE1EiNS0_10empty_typeEbEEZZNS1_14partition_implILS5_1ELb0ES3_jN6thrust23THRUST_200600_302600_NS6detail15normal_iteratorINSA_10device_ptrIiEEEEPS6_NSA_18transform_iteratorI7is_evenIiESF_NSA_11use_defaultESK_EENS0_5tupleIJSF_SF_EEENSM_IJSG_SG_EEES6_PlJS6_EEE10hipError_tPvRmT3_T4_T5_T6_T7_T9_mT8_P12ihipStream_tbDpT10_ENKUlT_T0_E_clISt17integral_constantIbLb1EES19_EEDaS14_S15_EUlS14_E_NS1_11comp_targetILNS1_3genE2ELNS1_11target_archE906ELNS1_3gpuE6ELNS1_3repE0EEENS1_30default_config_static_selectorELNS0_4arch9wavefront6targetE1EEEvT1_,comdat
	.protected	_ZN7rocprim17ROCPRIM_400000_NS6detail17trampoline_kernelINS0_14default_configENS1_25partition_config_selectorILNS1_17partition_subalgoE1EiNS0_10empty_typeEbEEZZNS1_14partition_implILS5_1ELb0ES3_jN6thrust23THRUST_200600_302600_NS6detail15normal_iteratorINSA_10device_ptrIiEEEEPS6_NSA_18transform_iteratorI7is_evenIiESF_NSA_11use_defaultESK_EENS0_5tupleIJSF_SF_EEENSM_IJSG_SG_EEES6_PlJS6_EEE10hipError_tPvRmT3_T4_T5_T6_T7_T9_mT8_P12ihipStream_tbDpT10_ENKUlT_T0_E_clISt17integral_constantIbLb1EES19_EEDaS14_S15_EUlS14_E_NS1_11comp_targetILNS1_3genE2ELNS1_11target_archE906ELNS1_3gpuE6ELNS1_3repE0EEENS1_30default_config_static_selectorELNS0_4arch9wavefront6targetE1EEEvT1_ ; -- Begin function _ZN7rocprim17ROCPRIM_400000_NS6detail17trampoline_kernelINS0_14default_configENS1_25partition_config_selectorILNS1_17partition_subalgoE1EiNS0_10empty_typeEbEEZZNS1_14partition_implILS5_1ELb0ES3_jN6thrust23THRUST_200600_302600_NS6detail15normal_iteratorINSA_10device_ptrIiEEEEPS6_NSA_18transform_iteratorI7is_evenIiESF_NSA_11use_defaultESK_EENS0_5tupleIJSF_SF_EEENSM_IJSG_SG_EEES6_PlJS6_EEE10hipError_tPvRmT3_T4_T5_T6_T7_T9_mT8_P12ihipStream_tbDpT10_ENKUlT_T0_E_clISt17integral_constantIbLb1EES19_EEDaS14_S15_EUlS14_E_NS1_11comp_targetILNS1_3genE2ELNS1_11target_archE906ELNS1_3gpuE6ELNS1_3repE0EEENS1_30default_config_static_selectorELNS0_4arch9wavefront6targetE1EEEvT1_
	.globl	_ZN7rocprim17ROCPRIM_400000_NS6detail17trampoline_kernelINS0_14default_configENS1_25partition_config_selectorILNS1_17partition_subalgoE1EiNS0_10empty_typeEbEEZZNS1_14partition_implILS5_1ELb0ES3_jN6thrust23THRUST_200600_302600_NS6detail15normal_iteratorINSA_10device_ptrIiEEEEPS6_NSA_18transform_iteratorI7is_evenIiESF_NSA_11use_defaultESK_EENS0_5tupleIJSF_SF_EEENSM_IJSG_SG_EEES6_PlJS6_EEE10hipError_tPvRmT3_T4_T5_T6_T7_T9_mT8_P12ihipStream_tbDpT10_ENKUlT_T0_E_clISt17integral_constantIbLb1EES19_EEDaS14_S15_EUlS14_E_NS1_11comp_targetILNS1_3genE2ELNS1_11target_archE906ELNS1_3gpuE6ELNS1_3repE0EEENS1_30default_config_static_selectorELNS0_4arch9wavefront6targetE1EEEvT1_
	.p2align	8
	.type	_ZN7rocprim17ROCPRIM_400000_NS6detail17trampoline_kernelINS0_14default_configENS1_25partition_config_selectorILNS1_17partition_subalgoE1EiNS0_10empty_typeEbEEZZNS1_14partition_implILS5_1ELb0ES3_jN6thrust23THRUST_200600_302600_NS6detail15normal_iteratorINSA_10device_ptrIiEEEEPS6_NSA_18transform_iteratorI7is_evenIiESF_NSA_11use_defaultESK_EENS0_5tupleIJSF_SF_EEENSM_IJSG_SG_EEES6_PlJS6_EEE10hipError_tPvRmT3_T4_T5_T6_T7_T9_mT8_P12ihipStream_tbDpT10_ENKUlT_T0_E_clISt17integral_constantIbLb1EES19_EEDaS14_S15_EUlS14_E_NS1_11comp_targetILNS1_3genE2ELNS1_11target_archE906ELNS1_3gpuE6ELNS1_3repE0EEENS1_30default_config_static_selectorELNS0_4arch9wavefront6targetE1EEEvT1_,@function
_ZN7rocprim17ROCPRIM_400000_NS6detail17trampoline_kernelINS0_14default_configENS1_25partition_config_selectorILNS1_17partition_subalgoE1EiNS0_10empty_typeEbEEZZNS1_14partition_implILS5_1ELb0ES3_jN6thrust23THRUST_200600_302600_NS6detail15normal_iteratorINSA_10device_ptrIiEEEEPS6_NSA_18transform_iteratorI7is_evenIiESF_NSA_11use_defaultESK_EENS0_5tupleIJSF_SF_EEENSM_IJSG_SG_EEES6_PlJS6_EEE10hipError_tPvRmT3_T4_T5_T6_T7_T9_mT8_P12ihipStream_tbDpT10_ENKUlT_T0_E_clISt17integral_constantIbLb1EES19_EEDaS14_S15_EUlS14_E_NS1_11comp_targetILNS1_3genE2ELNS1_11target_archE906ELNS1_3gpuE6ELNS1_3repE0EEENS1_30default_config_static_selectorELNS0_4arch9wavefront6targetE1EEEvT1_: ; @_ZN7rocprim17ROCPRIM_400000_NS6detail17trampoline_kernelINS0_14default_configENS1_25partition_config_selectorILNS1_17partition_subalgoE1EiNS0_10empty_typeEbEEZZNS1_14partition_implILS5_1ELb0ES3_jN6thrust23THRUST_200600_302600_NS6detail15normal_iteratorINSA_10device_ptrIiEEEEPS6_NSA_18transform_iteratorI7is_evenIiESF_NSA_11use_defaultESK_EENS0_5tupleIJSF_SF_EEENSM_IJSG_SG_EEES6_PlJS6_EEE10hipError_tPvRmT3_T4_T5_T6_T7_T9_mT8_P12ihipStream_tbDpT10_ENKUlT_T0_E_clISt17integral_constantIbLb1EES19_EEDaS14_S15_EUlS14_E_NS1_11comp_targetILNS1_3genE2ELNS1_11target_archE906ELNS1_3gpuE6ELNS1_3repE0EEENS1_30default_config_static_selectorELNS0_4arch9wavefront6targetE1EEEvT1_
; %bb.0:
	.section	.rodata,"a",@progbits
	.p2align	6, 0x0
	.amdhsa_kernel _ZN7rocprim17ROCPRIM_400000_NS6detail17trampoline_kernelINS0_14default_configENS1_25partition_config_selectorILNS1_17partition_subalgoE1EiNS0_10empty_typeEbEEZZNS1_14partition_implILS5_1ELb0ES3_jN6thrust23THRUST_200600_302600_NS6detail15normal_iteratorINSA_10device_ptrIiEEEEPS6_NSA_18transform_iteratorI7is_evenIiESF_NSA_11use_defaultESK_EENS0_5tupleIJSF_SF_EEENSM_IJSG_SG_EEES6_PlJS6_EEE10hipError_tPvRmT3_T4_T5_T6_T7_T9_mT8_P12ihipStream_tbDpT10_ENKUlT_T0_E_clISt17integral_constantIbLb1EES19_EEDaS14_S15_EUlS14_E_NS1_11comp_targetILNS1_3genE2ELNS1_11target_archE906ELNS1_3gpuE6ELNS1_3repE0EEENS1_30default_config_static_selectorELNS0_4arch9wavefront6targetE1EEEvT1_
		.amdhsa_group_segment_fixed_size 0
		.amdhsa_private_segment_fixed_size 0
		.amdhsa_kernarg_size 144
		.amdhsa_user_sgpr_count 2
		.amdhsa_user_sgpr_dispatch_ptr 0
		.amdhsa_user_sgpr_queue_ptr 0
		.amdhsa_user_sgpr_kernarg_segment_ptr 1
		.amdhsa_user_sgpr_dispatch_id 0
		.amdhsa_user_sgpr_kernarg_preload_length 0
		.amdhsa_user_sgpr_kernarg_preload_offset 0
		.amdhsa_user_sgpr_private_segment_size 0
		.amdhsa_uses_dynamic_stack 0
		.amdhsa_enable_private_segment 0
		.amdhsa_system_sgpr_workgroup_id_x 1
		.amdhsa_system_sgpr_workgroup_id_y 0
		.amdhsa_system_sgpr_workgroup_id_z 0
		.amdhsa_system_sgpr_workgroup_info 0
		.amdhsa_system_vgpr_workitem_id 0
		.amdhsa_next_free_vgpr 1
		.amdhsa_next_free_sgpr 0
		.amdhsa_accum_offset 4
		.amdhsa_reserve_vcc 0
		.amdhsa_float_round_mode_32 0
		.amdhsa_float_round_mode_16_64 0
		.amdhsa_float_denorm_mode_32 3
		.amdhsa_float_denorm_mode_16_64 3
		.amdhsa_dx10_clamp 1
		.amdhsa_ieee_mode 1
		.amdhsa_fp16_overflow 0
		.amdhsa_tg_split 0
		.amdhsa_exception_fp_ieee_invalid_op 0
		.amdhsa_exception_fp_denorm_src 0
		.amdhsa_exception_fp_ieee_div_zero 0
		.amdhsa_exception_fp_ieee_overflow 0
		.amdhsa_exception_fp_ieee_underflow 0
		.amdhsa_exception_fp_ieee_inexact 0
		.amdhsa_exception_int_div_zero 0
	.end_amdhsa_kernel
	.section	.text._ZN7rocprim17ROCPRIM_400000_NS6detail17trampoline_kernelINS0_14default_configENS1_25partition_config_selectorILNS1_17partition_subalgoE1EiNS0_10empty_typeEbEEZZNS1_14partition_implILS5_1ELb0ES3_jN6thrust23THRUST_200600_302600_NS6detail15normal_iteratorINSA_10device_ptrIiEEEEPS6_NSA_18transform_iteratorI7is_evenIiESF_NSA_11use_defaultESK_EENS0_5tupleIJSF_SF_EEENSM_IJSG_SG_EEES6_PlJS6_EEE10hipError_tPvRmT3_T4_T5_T6_T7_T9_mT8_P12ihipStream_tbDpT10_ENKUlT_T0_E_clISt17integral_constantIbLb1EES19_EEDaS14_S15_EUlS14_E_NS1_11comp_targetILNS1_3genE2ELNS1_11target_archE906ELNS1_3gpuE6ELNS1_3repE0EEENS1_30default_config_static_selectorELNS0_4arch9wavefront6targetE1EEEvT1_,"axG",@progbits,_ZN7rocprim17ROCPRIM_400000_NS6detail17trampoline_kernelINS0_14default_configENS1_25partition_config_selectorILNS1_17partition_subalgoE1EiNS0_10empty_typeEbEEZZNS1_14partition_implILS5_1ELb0ES3_jN6thrust23THRUST_200600_302600_NS6detail15normal_iteratorINSA_10device_ptrIiEEEEPS6_NSA_18transform_iteratorI7is_evenIiESF_NSA_11use_defaultESK_EENS0_5tupleIJSF_SF_EEENSM_IJSG_SG_EEES6_PlJS6_EEE10hipError_tPvRmT3_T4_T5_T6_T7_T9_mT8_P12ihipStream_tbDpT10_ENKUlT_T0_E_clISt17integral_constantIbLb1EES19_EEDaS14_S15_EUlS14_E_NS1_11comp_targetILNS1_3genE2ELNS1_11target_archE906ELNS1_3gpuE6ELNS1_3repE0EEENS1_30default_config_static_selectorELNS0_4arch9wavefront6targetE1EEEvT1_,comdat
.Lfunc_end429:
	.size	_ZN7rocprim17ROCPRIM_400000_NS6detail17trampoline_kernelINS0_14default_configENS1_25partition_config_selectorILNS1_17partition_subalgoE1EiNS0_10empty_typeEbEEZZNS1_14partition_implILS5_1ELb0ES3_jN6thrust23THRUST_200600_302600_NS6detail15normal_iteratorINSA_10device_ptrIiEEEEPS6_NSA_18transform_iteratorI7is_evenIiESF_NSA_11use_defaultESK_EENS0_5tupleIJSF_SF_EEENSM_IJSG_SG_EEES6_PlJS6_EEE10hipError_tPvRmT3_T4_T5_T6_T7_T9_mT8_P12ihipStream_tbDpT10_ENKUlT_T0_E_clISt17integral_constantIbLb1EES19_EEDaS14_S15_EUlS14_E_NS1_11comp_targetILNS1_3genE2ELNS1_11target_archE906ELNS1_3gpuE6ELNS1_3repE0EEENS1_30default_config_static_selectorELNS0_4arch9wavefront6targetE1EEEvT1_, .Lfunc_end429-_ZN7rocprim17ROCPRIM_400000_NS6detail17trampoline_kernelINS0_14default_configENS1_25partition_config_selectorILNS1_17partition_subalgoE1EiNS0_10empty_typeEbEEZZNS1_14partition_implILS5_1ELb0ES3_jN6thrust23THRUST_200600_302600_NS6detail15normal_iteratorINSA_10device_ptrIiEEEEPS6_NSA_18transform_iteratorI7is_evenIiESF_NSA_11use_defaultESK_EENS0_5tupleIJSF_SF_EEENSM_IJSG_SG_EEES6_PlJS6_EEE10hipError_tPvRmT3_T4_T5_T6_T7_T9_mT8_P12ihipStream_tbDpT10_ENKUlT_T0_E_clISt17integral_constantIbLb1EES19_EEDaS14_S15_EUlS14_E_NS1_11comp_targetILNS1_3genE2ELNS1_11target_archE906ELNS1_3gpuE6ELNS1_3repE0EEENS1_30default_config_static_selectorELNS0_4arch9wavefront6targetE1EEEvT1_
                                        ; -- End function
	.section	.AMDGPU.csdata,"",@progbits
; Kernel info:
; codeLenInByte = 0
; NumSgprs: 6
; NumVgprs: 0
; NumAgprs: 0
; TotalNumVgprs: 0
; ScratchSize: 0
; MemoryBound: 0
; FloatMode: 240
; IeeeMode: 1
; LDSByteSize: 0 bytes/workgroup (compile time only)
; SGPRBlocks: 0
; VGPRBlocks: 0
; NumSGPRsForWavesPerEU: 6
; NumVGPRsForWavesPerEU: 1
; AccumOffset: 4
; Occupancy: 8
; WaveLimiterHint : 0
; COMPUTE_PGM_RSRC2:SCRATCH_EN: 0
; COMPUTE_PGM_RSRC2:USER_SGPR: 2
; COMPUTE_PGM_RSRC2:TRAP_HANDLER: 0
; COMPUTE_PGM_RSRC2:TGID_X_EN: 1
; COMPUTE_PGM_RSRC2:TGID_Y_EN: 0
; COMPUTE_PGM_RSRC2:TGID_Z_EN: 0
; COMPUTE_PGM_RSRC2:TIDIG_COMP_CNT: 0
; COMPUTE_PGM_RSRC3_GFX90A:ACCUM_OFFSET: 0
; COMPUTE_PGM_RSRC3_GFX90A:TG_SPLIT: 0
	.section	.text._ZN7rocprim17ROCPRIM_400000_NS6detail17trampoline_kernelINS0_14default_configENS1_25partition_config_selectorILNS1_17partition_subalgoE1EiNS0_10empty_typeEbEEZZNS1_14partition_implILS5_1ELb0ES3_jN6thrust23THRUST_200600_302600_NS6detail15normal_iteratorINSA_10device_ptrIiEEEEPS6_NSA_18transform_iteratorI7is_evenIiESF_NSA_11use_defaultESK_EENS0_5tupleIJSF_SF_EEENSM_IJSG_SG_EEES6_PlJS6_EEE10hipError_tPvRmT3_T4_T5_T6_T7_T9_mT8_P12ihipStream_tbDpT10_ENKUlT_T0_E_clISt17integral_constantIbLb1EES19_EEDaS14_S15_EUlS14_E_NS1_11comp_targetILNS1_3genE10ELNS1_11target_archE1200ELNS1_3gpuE4ELNS1_3repE0EEENS1_30default_config_static_selectorELNS0_4arch9wavefront6targetE1EEEvT1_,"axG",@progbits,_ZN7rocprim17ROCPRIM_400000_NS6detail17trampoline_kernelINS0_14default_configENS1_25partition_config_selectorILNS1_17partition_subalgoE1EiNS0_10empty_typeEbEEZZNS1_14partition_implILS5_1ELb0ES3_jN6thrust23THRUST_200600_302600_NS6detail15normal_iteratorINSA_10device_ptrIiEEEEPS6_NSA_18transform_iteratorI7is_evenIiESF_NSA_11use_defaultESK_EENS0_5tupleIJSF_SF_EEENSM_IJSG_SG_EEES6_PlJS6_EEE10hipError_tPvRmT3_T4_T5_T6_T7_T9_mT8_P12ihipStream_tbDpT10_ENKUlT_T0_E_clISt17integral_constantIbLb1EES19_EEDaS14_S15_EUlS14_E_NS1_11comp_targetILNS1_3genE10ELNS1_11target_archE1200ELNS1_3gpuE4ELNS1_3repE0EEENS1_30default_config_static_selectorELNS0_4arch9wavefront6targetE1EEEvT1_,comdat
	.protected	_ZN7rocprim17ROCPRIM_400000_NS6detail17trampoline_kernelINS0_14default_configENS1_25partition_config_selectorILNS1_17partition_subalgoE1EiNS0_10empty_typeEbEEZZNS1_14partition_implILS5_1ELb0ES3_jN6thrust23THRUST_200600_302600_NS6detail15normal_iteratorINSA_10device_ptrIiEEEEPS6_NSA_18transform_iteratorI7is_evenIiESF_NSA_11use_defaultESK_EENS0_5tupleIJSF_SF_EEENSM_IJSG_SG_EEES6_PlJS6_EEE10hipError_tPvRmT3_T4_T5_T6_T7_T9_mT8_P12ihipStream_tbDpT10_ENKUlT_T0_E_clISt17integral_constantIbLb1EES19_EEDaS14_S15_EUlS14_E_NS1_11comp_targetILNS1_3genE10ELNS1_11target_archE1200ELNS1_3gpuE4ELNS1_3repE0EEENS1_30default_config_static_selectorELNS0_4arch9wavefront6targetE1EEEvT1_ ; -- Begin function _ZN7rocprim17ROCPRIM_400000_NS6detail17trampoline_kernelINS0_14default_configENS1_25partition_config_selectorILNS1_17partition_subalgoE1EiNS0_10empty_typeEbEEZZNS1_14partition_implILS5_1ELb0ES3_jN6thrust23THRUST_200600_302600_NS6detail15normal_iteratorINSA_10device_ptrIiEEEEPS6_NSA_18transform_iteratorI7is_evenIiESF_NSA_11use_defaultESK_EENS0_5tupleIJSF_SF_EEENSM_IJSG_SG_EEES6_PlJS6_EEE10hipError_tPvRmT3_T4_T5_T6_T7_T9_mT8_P12ihipStream_tbDpT10_ENKUlT_T0_E_clISt17integral_constantIbLb1EES19_EEDaS14_S15_EUlS14_E_NS1_11comp_targetILNS1_3genE10ELNS1_11target_archE1200ELNS1_3gpuE4ELNS1_3repE0EEENS1_30default_config_static_selectorELNS0_4arch9wavefront6targetE1EEEvT1_
	.globl	_ZN7rocprim17ROCPRIM_400000_NS6detail17trampoline_kernelINS0_14default_configENS1_25partition_config_selectorILNS1_17partition_subalgoE1EiNS0_10empty_typeEbEEZZNS1_14partition_implILS5_1ELb0ES3_jN6thrust23THRUST_200600_302600_NS6detail15normal_iteratorINSA_10device_ptrIiEEEEPS6_NSA_18transform_iteratorI7is_evenIiESF_NSA_11use_defaultESK_EENS0_5tupleIJSF_SF_EEENSM_IJSG_SG_EEES6_PlJS6_EEE10hipError_tPvRmT3_T4_T5_T6_T7_T9_mT8_P12ihipStream_tbDpT10_ENKUlT_T0_E_clISt17integral_constantIbLb1EES19_EEDaS14_S15_EUlS14_E_NS1_11comp_targetILNS1_3genE10ELNS1_11target_archE1200ELNS1_3gpuE4ELNS1_3repE0EEENS1_30default_config_static_selectorELNS0_4arch9wavefront6targetE1EEEvT1_
	.p2align	8
	.type	_ZN7rocprim17ROCPRIM_400000_NS6detail17trampoline_kernelINS0_14default_configENS1_25partition_config_selectorILNS1_17partition_subalgoE1EiNS0_10empty_typeEbEEZZNS1_14partition_implILS5_1ELb0ES3_jN6thrust23THRUST_200600_302600_NS6detail15normal_iteratorINSA_10device_ptrIiEEEEPS6_NSA_18transform_iteratorI7is_evenIiESF_NSA_11use_defaultESK_EENS0_5tupleIJSF_SF_EEENSM_IJSG_SG_EEES6_PlJS6_EEE10hipError_tPvRmT3_T4_T5_T6_T7_T9_mT8_P12ihipStream_tbDpT10_ENKUlT_T0_E_clISt17integral_constantIbLb1EES19_EEDaS14_S15_EUlS14_E_NS1_11comp_targetILNS1_3genE10ELNS1_11target_archE1200ELNS1_3gpuE4ELNS1_3repE0EEENS1_30default_config_static_selectorELNS0_4arch9wavefront6targetE1EEEvT1_,@function
_ZN7rocprim17ROCPRIM_400000_NS6detail17trampoline_kernelINS0_14default_configENS1_25partition_config_selectorILNS1_17partition_subalgoE1EiNS0_10empty_typeEbEEZZNS1_14partition_implILS5_1ELb0ES3_jN6thrust23THRUST_200600_302600_NS6detail15normal_iteratorINSA_10device_ptrIiEEEEPS6_NSA_18transform_iteratorI7is_evenIiESF_NSA_11use_defaultESK_EENS0_5tupleIJSF_SF_EEENSM_IJSG_SG_EEES6_PlJS6_EEE10hipError_tPvRmT3_T4_T5_T6_T7_T9_mT8_P12ihipStream_tbDpT10_ENKUlT_T0_E_clISt17integral_constantIbLb1EES19_EEDaS14_S15_EUlS14_E_NS1_11comp_targetILNS1_3genE10ELNS1_11target_archE1200ELNS1_3gpuE4ELNS1_3repE0EEENS1_30default_config_static_selectorELNS0_4arch9wavefront6targetE1EEEvT1_: ; @_ZN7rocprim17ROCPRIM_400000_NS6detail17trampoline_kernelINS0_14default_configENS1_25partition_config_selectorILNS1_17partition_subalgoE1EiNS0_10empty_typeEbEEZZNS1_14partition_implILS5_1ELb0ES3_jN6thrust23THRUST_200600_302600_NS6detail15normal_iteratorINSA_10device_ptrIiEEEEPS6_NSA_18transform_iteratorI7is_evenIiESF_NSA_11use_defaultESK_EENS0_5tupleIJSF_SF_EEENSM_IJSG_SG_EEES6_PlJS6_EEE10hipError_tPvRmT3_T4_T5_T6_T7_T9_mT8_P12ihipStream_tbDpT10_ENKUlT_T0_E_clISt17integral_constantIbLb1EES19_EEDaS14_S15_EUlS14_E_NS1_11comp_targetILNS1_3genE10ELNS1_11target_archE1200ELNS1_3gpuE4ELNS1_3repE0EEENS1_30default_config_static_selectorELNS0_4arch9wavefront6targetE1EEEvT1_
; %bb.0:
	.section	.rodata,"a",@progbits
	.p2align	6, 0x0
	.amdhsa_kernel _ZN7rocprim17ROCPRIM_400000_NS6detail17trampoline_kernelINS0_14default_configENS1_25partition_config_selectorILNS1_17partition_subalgoE1EiNS0_10empty_typeEbEEZZNS1_14partition_implILS5_1ELb0ES3_jN6thrust23THRUST_200600_302600_NS6detail15normal_iteratorINSA_10device_ptrIiEEEEPS6_NSA_18transform_iteratorI7is_evenIiESF_NSA_11use_defaultESK_EENS0_5tupleIJSF_SF_EEENSM_IJSG_SG_EEES6_PlJS6_EEE10hipError_tPvRmT3_T4_T5_T6_T7_T9_mT8_P12ihipStream_tbDpT10_ENKUlT_T0_E_clISt17integral_constantIbLb1EES19_EEDaS14_S15_EUlS14_E_NS1_11comp_targetILNS1_3genE10ELNS1_11target_archE1200ELNS1_3gpuE4ELNS1_3repE0EEENS1_30default_config_static_selectorELNS0_4arch9wavefront6targetE1EEEvT1_
		.amdhsa_group_segment_fixed_size 0
		.amdhsa_private_segment_fixed_size 0
		.amdhsa_kernarg_size 144
		.amdhsa_user_sgpr_count 2
		.amdhsa_user_sgpr_dispatch_ptr 0
		.amdhsa_user_sgpr_queue_ptr 0
		.amdhsa_user_sgpr_kernarg_segment_ptr 1
		.amdhsa_user_sgpr_dispatch_id 0
		.amdhsa_user_sgpr_kernarg_preload_length 0
		.amdhsa_user_sgpr_kernarg_preload_offset 0
		.amdhsa_user_sgpr_private_segment_size 0
		.amdhsa_uses_dynamic_stack 0
		.amdhsa_enable_private_segment 0
		.amdhsa_system_sgpr_workgroup_id_x 1
		.amdhsa_system_sgpr_workgroup_id_y 0
		.amdhsa_system_sgpr_workgroup_id_z 0
		.amdhsa_system_sgpr_workgroup_info 0
		.amdhsa_system_vgpr_workitem_id 0
		.amdhsa_next_free_vgpr 1
		.amdhsa_next_free_sgpr 0
		.amdhsa_accum_offset 4
		.amdhsa_reserve_vcc 0
		.amdhsa_float_round_mode_32 0
		.amdhsa_float_round_mode_16_64 0
		.amdhsa_float_denorm_mode_32 3
		.amdhsa_float_denorm_mode_16_64 3
		.amdhsa_dx10_clamp 1
		.amdhsa_ieee_mode 1
		.amdhsa_fp16_overflow 0
		.amdhsa_tg_split 0
		.amdhsa_exception_fp_ieee_invalid_op 0
		.amdhsa_exception_fp_denorm_src 0
		.amdhsa_exception_fp_ieee_div_zero 0
		.amdhsa_exception_fp_ieee_overflow 0
		.amdhsa_exception_fp_ieee_underflow 0
		.amdhsa_exception_fp_ieee_inexact 0
		.amdhsa_exception_int_div_zero 0
	.end_amdhsa_kernel
	.section	.text._ZN7rocprim17ROCPRIM_400000_NS6detail17trampoline_kernelINS0_14default_configENS1_25partition_config_selectorILNS1_17partition_subalgoE1EiNS0_10empty_typeEbEEZZNS1_14partition_implILS5_1ELb0ES3_jN6thrust23THRUST_200600_302600_NS6detail15normal_iteratorINSA_10device_ptrIiEEEEPS6_NSA_18transform_iteratorI7is_evenIiESF_NSA_11use_defaultESK_EENS0_5tupleIJSF_SF_EEENSM_IJSG_SG_EEES6_PlJS6_EEE10hipError_tPvRmT3_T4_T5_T6_T7_T9_mT8_P12ihipStream_tbDpT10_ENKUlT_T0_E_clISt17integral_constantIbLb1EES19_EEDaS14_S15_EUlS14_E_NS1_11comp_targetILNS1_3genE10ELNS1_11target_archE1200ELNS1_3gpuE4ELNS1_3repE0EEENS1_30default_config_static_selectorELNS0_4arch9wavefront6targetE1EEEvT1_,"axG",@progbits,_ZN7rocprim17ROCPRIM_400000_NS6detail17trampoline_kernelINS0_14default_configENS1_25partition_config_selectorILNS1_17partition_subalgoE1EiNS0_10empty_typeEbEEZZNS1_14partition_implILS5_1ELb0ES3_jN6thrust23THRUST_200600_302600_NS6detail15normal_iteratorINSA_10device_ptrIiEEEEPS6_NSA_18transform_iteratorI7is_evenIiESF_NSA_11use_defaultESK_EENS0_5tupleIJSF_SF_EEENSM_IJSG_SG_EEES6_PlJS6_EEE10hipError_tPvRmT3_T4_T5_T6_T7_T9_mT8_P12ihipStream_tbDpT10_ENKUlT_T0_E_clISt17integral_constantIbLb1EES19_EEDaS14_S15_EUlS14_E_NS1_11comp_targetILNS1_3genE10ELNS1_11target_archE1200ELNS1_3gpuE4ELNS1_3repE0EEENS1_30default_config_static_selectorELNS0_4arch9wavefront6targetE1EEEvT1_,comdat
.Lfunc_end430:
	.size	_ZN7rocprim17ROCPRIM_400000_NS6detail17trampoline_kernelINS0_14default_configENS1_25partition_config_selectorILNS1_17partition_subalgoE1EiNS0_10empty_typeEbEEZZNS1_14partition_implILS5_1ELb0ES3_jN6thrust23THRUST_200600_302600_NS6detail15normal_iteratorINSA_10device_ptrIiEEEEPS6_NSA_18transform_iteratorI7is_evenIiESF_NSA_11use_defaultESK_EENS0_5tupleIJSF_SF_EEENSM_IJSG_SG_EEES6_PlJS6_EEE10hipError_tPvRmT3_T4_T5_T6_T7_T9_mT8_P12ihipStream_tbDpT10_ENKUlT_T0_E_clISt17integral_constantIbLb1EES19_EEDaS14_S15_EUlS14_E_NS1_11comp_targetILNS1_3genE10ELNS1_11target_archE1200ELNS1_3gpuE4ELNS1_3repE0EEENS1_30default_config_static_selectorELNS0_4arch9wavefront6targetE1EEEvT1_, .Lfunc_end430-_ZN7rocprim17ROCPRIM_400000_NS6detail17trampoline_kernelINS0_14default_configENS1_25partition_config_selectorILNS1_17partition_subalgoE1EiNS0_10empty_typeEbEEZZNS1_14partition_implILS5_1ELb0ES3_jN6thrust23THRUST_200600_302600_NS6detail15normal_iteratorINSA_10device_ptrIiEEEEPS6_NSA_18transform_iteratorI7is_evenIiESF_NSA_11use_defaultESK_EENS0_5tupleIJSF_SF_EEENSM_IJSG_SG_EEES6_PlJS6_EEE10hipError_tPvRmT3_T4_T5_T6_T7_T9_mT8_P12ihipStream_tbDpT10_ENKUlT_T0_E_clISt17integral_constantIbLb1EES19_EEDaS14_S15_EUlS14_E_NS1_11comp_targetILNS1_3genE10ELNS1_11target_archE1200ELNS1_3gpuE4ELNS1_3repE0EEENS1_30default_config_static_selectorELNS0_4arch9wavefront6targetE1EEEvT1_
                                        ; -- End function
	.section	.AMDGPU.csdata,"",@progbits
; Kernel info:
; codeLenInByte = 0
; NumSgprs: 6
; NumVgprs: 0
; NumAgprs: 0
; TotalNumVgprs: 0
; ScratchSize: 0
; MemoryBound: 0
; FloatMode: 240
; IeeeMode: 1
; LDSByteSize: 0 bytes/workgroup (compile time only)
; SGPRBlocks: 0
; VGPRBlocks: 0
; NumSGPRsForWavesPerEU: 6
; NumVGPRsForWavesPerEU: 1
; AccumOffset: 4
; Occupancy: 8
; WaveLimiterHint : 0
; COMPUTE_PGM_RSRC2:SCRATCH_EN: 0
; COMPUTE_PGM_RSRC2:USER_SGPR: 2
; COMPUTE_PGM_RSRC2:TRAP_HANDLER: 0
; COMPUTE_PGM_RSRC2:TGID_X_EN: 1
; COMPUTE_PGM_RSRC2:TGID_Y_EN: 0
; COMPUTE_PGM_RSRC2:TGID_Z_EN: 0
; COMPUTE_PGM_RSRC2:TIDIG_COMP_CNT: 0
; COMPUTE_PGM_RSRC3_GFX90A:ACCUM_OFFSET: 0
; COMPUTE_PGM_RSRC3_GFX90A:TG_SPLIT: 0
	.section	.text._ZN7rocprim17ROCPRIM_400000_NS6detail17trampoline_kernelINS0_14default_configENS1_25partition_config_selectorILNS1_17partition_subalgoE1EiNS0_10empty_typeEbEEZZNS1_14partition_implILS5_1ELb0ES3_jN6thrust23THRUST_200600_302600_NS6detail15normal_iteratorINSA_10device_ptrIiEEEEPS6_NSA_18transform_iteratorI7is_evenIiESF_NSA_11use_defaultESK_EENS0_5tupleIJSF_SF_EEENSM_IJSG_SG_EEES6_PlJS6_EEE10hipError_tPvRmT3_T4_T5_T6_T7_T9_mT8_P12ihipStream_tbDpT10_ENKUlT_T0_E_clISt17integral_constantIbLb1EES19_EEDaS14_S15_EUlS14_E_NS1_11comp_targetILNS1_3genE9ELNS1_11target_archE1100ELNS1_3gpuE3ELNS1_3repE0EEENS1_30default_config_static_selectorELNS0_4arch9wavefront6targetE1EEEvT1_,"axG",@progbits,_ZN7rocprim17ROCPRIM_400000_NS6detail17trampoline_kernelINS0_14default_configENS1_25partition_config_selectorILNS1_17partition_subalgoE1EiNS0_10empty_typeEbEEZZNS1_14partition_implILS5_1ELb0ES3_jN6thrust23THRUST_200600_302600_NS6detail15normal_iteratorINSA_10device_ptrIiEEEEPS6_NSA_18transform_iteratorI7is_evenIiESF_NSA_11use_defaultESK_EENS0_5tupleIJSF_SF_EEENSM_IJSG_SG_EEES6_PlJS6_EEE10hipError_tPvRmT3_T4_T5_T6_T7_T9_mT8_P12ihipStream_tbDpT10_ENKUlT_T0_E_clISt17integral_constantIbLb1EES19_EEDaS14_S15_EUlS14_E_NS1_11comp_targetILNS1_3genE9ELNS1_11target_archE1100ELNS1_3gpuE3ELNS1_3repE0EEENS1_30default_config_static_selectorELNS0_4arch9wavefront6targetE1EEEvT1_,comdat
	.protected	_ZN7rocprim17ROCPRIM_400000_NS6detail17trampoline_kernelINS0_14default_configENS1_25partition_config_selectorILNS1_17partition_subalgoE1EiNS0_10empty_typeEbEEZZNS1_14partition_implILS5_1ELb0ES3_jN6thrust23THRUST_200600_302600_NS6detail15normal_iteratorINSA_10device_ptrIiEEEEPS6_NSA_18transform_iteratorI7is_evenIiESF_NSA_11use_defaultESK_EENS0_5tupleIJSF_SF_EEENSM_IJSG_SG_EEES6_PlJS6_EEE10hipError_tPvRmT3_T4_T5_T6_T7_T9_mT8_P12ihipStream_tbDpT10_ENKUlT_T0_E_clISt17integral_constantIbLb1EES19_EEDaS14_S15_EUlS14_E_NS1_11comp_targetILNS1_3genE9ELNS1_11target_archE1100ELNS1_3gpuE3ELNS1_3repE0EEENS1_30default_config_static_selectorELNS0_4arch9wavefront6targetE1EEEvT1_ ; -- Begin function _ZN7rocprim17ROCPRIM_400000_NS6detail17trampoline_kernelINS0_14default_configENS1_25partition_config_selectorILNS1_17partition_subalgoE1EiNS0_10empty_typeEbEEZZNS1_14partition_implILS5_1ELb0ES3_jN6thrust23THRUST_200600_302600_NS6detail15normal_iteratorINSA_10device_ptrIiEEEEPS6_NSA_18transform_iteratorI7is_evenIiESF_NSA_11use_defaultESK_EENS0_5tupleIJSF_SF_EEENSM_IJSG_SG_EEES6_PlJS6_EEE10hipError_tPvRmT3_T4_T5_T6_T7_T9_mT8_P12ihipStream_tbDpT10_ENKUlT_T0_E_clISt17integral_constantIbLb1EES19_EEDaS14_S15_EUlS14_E_NS1_11comp_targetILNS1_3genE9ELNS1_11target_archE1100ELNS1_3gpuE3ELNS1_3repE0EEENS1_30default_config_static_selectorELNS0_4arch9wavefront6targetE1EEEvT1_
	.globl	_ZN7rocprim17ROCPRIM_400000_NS6detail17trampoline_kernelINS0_14default_configENS1_25partition_config_selectorILNS1_17partition_subalgoE1EiNS0_10empty_typeEbEEZZNS1_14partition_implILS5_1ELb0ES3_jN6thrust23THRUST_200600_302600_NS6detail15normal_iteratorINSA_10device_ptrIiEEEEPS6_NSA_18transform_iteratorI7is_evenIiESF_NSA_11use_defaultESK_EENS0_5tupleIJSF_SF_EEENSM_IJSG_SG_EEES6_PlJS6_EEE10hipError_tPvRmT3_T4_T5_T6_T7_T9_mT8_P12ihipStream_tbDpT10_ENKUlT_T0_E_clISt17integral_constantIbLb1EES19_EEDaS14_S15_EUlS14_E_NS1_11comp_targetILNS1_3genE9ELNS1_11target_archE1100ELNS1_3gpuE3ELNS1_3repE0EEENS1_30default_config_static_selectorELNS0_4arch9wavefront6targetE1EEEvT1_
	.p2align	8
	.type	_ZN7rocprim17ROCPRIM_400000_NS6detail17trampoline_kernelINS0_14default_configENS1_25partition_config_selectorILNS1_17partition_subalgoE1EiNS0_10empty_typeEbEEZZNS1_14partition_implILS5_1ELb0ES3_jN6thrust23THRUST_200600_302600_NS6detail15normal_iteratorINSA_10device_ptrIiEEEEPS6_NSA_18transform_iteratorI7is_evenIiESF_NSA_11use_defaultESK_EENS0_5tupleIJSF_SF_EEENSM_IJSG_SG_EEES6_PlJS6_EEE10hipError_tPvRmT3_T4_T5_T6_T7_T9_mT8_P12ihipStream_tbDpT10_ENKUlT_T0_E_clISt17integral_constantIbLb1EES19_EEDaS14_S15_EUlS14_E_NS1_11comp_targetILNS1_3genE9ELNS1_11target_archE1100ELNS1_3gpuE3ELNS1_3repE0EEENS1_30default_config_static_selectorELNS0_4arch9wavefront6targetE1EEEvT1_,@function
_ZN7rocprim17ROCPRIM_400000_NS6detail17trampoline_kernelINS0_14default_configENS1_25partition_config_selectorILNS1_17partition_subalgoE1EiNS0_10empty_typeEbEEZZNS1_14partition_implILS5_1ELb0ES3_jN6thrust23THRUST_200600_302600_NS6detail15normal_iteratorINSA_10device_ptrIiEEEEPS6_NSA_18transform_iteratorI7is_evenIiESF_NSA_11use_defaultESK_EENS0_5tupleIJSF_SF_EEENSM_IJSG_SG_EEES6_PlJS6_EEE10hipError_tPvRmT3_T4_T5_T6_T7_T9_mT8_P12ihipStream_tbDpT10_ENKUlT_T0_E_clISt17integral_constantIbLb1EES19_EEDaS14_S15_EUlS14_E_NS1_11comp_targetILNS1_3genE9ELNS1_11target_archE1100ELNS1_3gpuE3ELNS1_3repE0EEENS1_30default_config_static_selectorELNS0_4arch9wavefront6targetE1EEEvT1_: ; @_ZN7rocprim17ROCPRIM_400000_NS6detail17trampoline_kernelINS0_14default_configENS1_25partition_config_selectorILNS1_17partition_subalgoE1EiNS0_10empty_typeEbEEZZNS1_14partition_implILS5_1ELb0ES3_jN6thrust23THRUST_200600_302600_NS6detail15normal_iteratorINSA_10device_ptrIiEEEEPS6_NSA_18transform_iteratorI7is_evenIiESF_NSA_11use_defaultESK_EENS0_5tupleIJSF_SF_EEENSM_IJSG_SG_EEES6_PlJS6_EEE10hipError_tPvRmT3_T4_T5_T6_T7_T9_mT8_P12ihipStream_tbDpT10_ENKUlT_T0_E_clISt17integral_constantIbLb1EES19_EEDaS14_S15_EUlS14_E_NS1_11comp_targetILNS1_3genE9ELNS1_11target_archE1100ELNS1_3gpuE3ELNS1_3repE0EEENS1_30default_config_static_selectorELNS0_4arch9wavefront6targetE1EEEvT1_
; %bb.0:
	.section	.rodata,"a",@progbits
	.p2align	6, 0x0
	.amdhsa_kernel _ZN7rocprim17ROCPRIM_400000_NS6detail17trampoline_kernelINS0_14default_configENS1_25partition_config_selectorILNS1_17partition_subalgoE1EiNS0_10empty_typeEbEEZZNS1_14partition_implILS5_1ELb0ES3_jN6thrust23THRUST_200600_302600_NS6detail15normal_iteratorINSA_10device_ptrIiEEEEPS6_NSA_18transform_iteratorI7is_evenIiESF_NSA_11use_defaultESK_EENS0_5tupleIJSF_SF_EEENSM_IJSG_SG_EEES6_PlJS6_EEE10hipError_tPvRmT3_T4_T5_T6_T7_T9_mT8_P12ihipStream_tbDpT10_ENKUlT_T0_E_clISt17integral_constantIbLb1EES19_EEDaS14_S15_EUlS14_E_NS1_11comp_targetILNS1_3genE9ELNS1_11target_archE1100ELNS1_3gpuE3ELNS1_3repE0EEENS1_30default_config_static_selectorELNS0_4arch9wavefront6targetE1EEEvT1_
		.amdhsa_group_segment_fixed_size 0
		.amdhsa_private_segment_fixed_size 0
		.amdhsa_kernarg_size 144
		.amdhsa_user_sgpr_count 2
		.amdhsa_user_sgpr_dispatch_ptr 0
		.amdhsa_user_sgpr_queue_ptr 0
		.amdhsa_user_sgpr_kernarg_segment_ptr 1
		.amdhsa_user_sgpr_dispatch_id 0
		.amdhsa_user_sgpr_kernarg_preload_length 0
		.amdhsa_user_sgpr_kernarg_preload_offset 0
		.amdhsa_user_sgpr_private_segment_size 0
		.amdhsa_uses_dynamic_stack 0
		.amdhsa_enable_private_segment 0
		.amdhsa_system_sgpr_workgroup_id_x 1
		.amdhsa_system_sgpr_workgroup_id_y 0
		.amdhsa_system_sgpr_workgroup_id_z 0
		.amdhsa_system_sgpr_workgroup_info 0
		.amdhsa_system_vgpr_workitem_id 0
		.amdhsa_next_free_vgpr 1
		.amdhsa_next_free_sgpr 0
		.amdhsa_accum_offset 4
		.amdhsa_reserve_vcc 0
		.amdhsa_float_round_mode_32 0
		.amdhsa_float_round_mode_16_64 0
		.amdhsa_float_denorm_mode_32 3
		.amdhsa_float_denorm_mode_16_64 3
		.amdhsa_dx10_clamp 1
		.amdhsa_ieee_mode 1
		.amdhsa_fp16_overflow 0
		.amdhsa_tg_split 0
		.amdhsa_exception_fp_ieee_invalid_op 0
		.amdhsa_exception_fp_denorm_src 0
		.amdhsa_exception_fp_ieee_div_zero 0
		.amdhsa_exception_fp_ieee_overflow 0
		.amdhsa_exception_fp_ieee_underflow 0
		.amdhsa_exception_fp_ieee_inexact 0
		.amdhsa_exception_int_div_zero 0
	.end_amdhsa_kernel
	.section	.text._ZN7rocprim17ROCPRIM_400000_NS6detail17trampoline_kernelINS0_14default_configENS1_25partition_config_selectorILNS1_17partition_subalgoE1EiNS0_10empty_typeEbEEZZNS1_14partition_implILS5_1ELb0ES3_jN6thrust23THRUST_200600_302600_NS6detail15normal_iteratorINSA_10device_ptrIiEEEEPS6_NSA_18transform_iteratorI7is_evenIiESF_NSA_11use_defaultESK_EENS0_5tupleIJSF_SF_EEENSM_IJSG_SG_EEES6_PlJS6_EEE10hipError_tPvRmT3_T4_T5_T6_T7_T9_mT8_P12ihipStream_tbDpT10_ENKUlT_T0_E_clISt17integral_constantIbLb1EES19_EEDaS14_S15_EUlS14_E_NS1_11comp_targetILNS1_3genE9ELNS1_11target_archE1100ELNS1_3gpuE3ELNS1_3repE0EEENS1_30default_config_static_selectorELNS0_4arch9wavefront6targetE1EEEvT1_,"axG",@progbits,_ZN7rocprim17ROCPRIM_400000_NS6detail17trampoline_kernelINS0_14default_configENS1_25partition_config_selectorILNS1_17partition_subalgoE1EiNS0_10empty_typeEbEEZZNS1_14partition_implILS5_1ELb0ES3_jN6thrust23THRUST_200600_302600_NS6detail15normal_iteratorINSA_10device_ptrIiEEEEPS6_NSA_18transform_iteratorI7is_evenIiESF_NSA_11use_defaultESK_EENS0_5tupleIJSF_SF_EEENSM_IJSG_SG_EEES6_PlJS6_EEE10hipError_tPvRmT3_T4_T5_T6_T7_T9_mT8_P12ihipStream_tbDpT10_ENKUlT_T0_E_clISt17integral_constantIbLb1EES19_EEDaS14_S15_EUlS14_E_NS1_11comp_targetILNS1_3genE9ELNS1_11target_archE1100ELNS1_3gpuE3ELNS1_3repE0EEENS1_30default_config_static_selectorELNS0_4arch9wavefront6targetE1EEEvT1_,comdat
.Lfunc_end431:
	.size	_ZN7rocprim17ROCPRIM_400000_NS6detail17trampoline_kernelINS0_14default_configENS1_25partition_config_selectorILNS1_17partition_subalgoE1EiNS0_10empty_typeEbEEZZNS1_14partition_implILS5_1ELb0ES3_jN6thrust23THRUST_200600_302600_NS6detail15normal_iteratorINSA_10device_ptrIiEEEEPS6_NSA_18transform_iteratorI7is_evenIiESF_NSA_11use_defaultESK_EENS0_5tupleIJSF_SF_EEENSM_IJSG_SG_EEES6_PlJS6_EEE10hipError_tPvRmT3_T4_T5_T6_T7_T9_mT8_P12ihipStream_tbDpT10_ENKUlT_T0_E_clISt17integral_constantIbLb1EES19_EEDaS14_S15_EUlS14_E_NS1_11comp_targetILNS1_3genE9ELNS1_11target_archE1100ELNS1_3gpuE3ELNS1_3repE0EEENS1_30default_config_static_selectorELNS0_4arch9wavefront6targetE1EEEvT1_, .Lfunc_end431-_ZN7rocprim17ROCPRIM_400000_NS6detail17trampoline_kernelINS0_14default_configENS1_25partition_config_selectorILNS1_17partition_subalgoE1EiNS0_10empty_typeEbEEZZNS1_14partition_implILS5_1ELb0ES3_jN6thrust23THRUST_200600_302600_NS6detail15normal_iteratorINSA_10device_ptrIiEEEEPS6_NSA_18transform_iteratorI7is_evenIiESF_NSA_11use_defaultESK_EENS0_5tupleIJSF_SF_EEENSM_IJSG_SG_EEES6_PlJS6_EEE10hipError_tPvRmT3_T4_T5_T6_T7_T9_mT8_P12ihipStream_tbDpT10_ENKUlT_T0_E_clISt17integral_constantIbLb1EES19_EEDaS14_S15_EUlS14_E_NS1_11comp_targetILNS1_3genE9ELNS1_11target_archE1100ELNS1_3gpuE3ELNS1_3repE0EEENS1_30default_config_static_selectorELNS0_4arch9wavefront6targetE1EEEvT1_
                                        ; -- End function
	.section	.AMDGPU.csdata,"",@progbits
; Kernel info:
; codeLenInByte = 0
; NumSgprs: 6
; NumVgprs: 0
; NumAgprs: 0
; TotalNumVgprs: 0
; ScratchSize: 0
; MemoryBound: 0
; FloatMode: 240
; IeeeMode: 1
; LDSByteSize: 0 bytes/workgroup (compile time only)
; SGPRBlocks: 0
; VGPRBlocks: 0
; NumSGPRsForWavesPerEU: 6
; NumVGPRsForWavesPerEU: 1
; AccumOffset: 4
; Occupancy: 8
; WaveLimiterHint : 0
; COMPUTE_PGM_RSRC2:SCRATCH_EN: 0
; COMPUTE_PGM_RSRC2:USER_SGPR: 2
; COMPUTE_PGM_RSRC2:TRAP_HANDLER: 0
; COMPUTE_PGM_RSRC2:TGID_X_EN: 1
; COMPUTE_PGM_RSRC2:TGID_Y_EN: 0
; COMPUTE_PGM_RSRC2:TGID_Z_EN: 0
; COMPUTE_PGM_RSRC2:TIDIG_COMP_CNT: 0
; COMPUTE_PGM_RSRC3_GFX90A:ACCUM_OFFSET: 0
; COMPUTE_PGM_RSRC3_GFX90A:TG_SPLIT: 0
	.section	.text._ZN7rocprim17ROCPRIM_400000_NS6detail17trampoline_kernelINS0_14default_configENS1_25partition_config_selectorILNS1_17partition_subalgoE1EiNS0_10empty_typeEbEEZZNS1_14partition_implILS5_1ELb0ES3_jN6thrust23THRUST_200600_302600_NS6detail15normal_iteratorINSA_10device_ptrIiEEEEPS6_NSA_18transform_iteratorI7is_evenIiESF_NSA_11use_defaultESK_EENS0_5tupleIJSF_SF_EEENSM_IJSG_SG_EEES6_PlJS6_EEE10hipError_tPvRmT3_T4_T5_T6_T7_T9_mT8_P12ihipStream_tbDpT10_ENKUlT_T0_E_clISt17integral_constantIbLb1EES19_EEDaS14_S15_EUlS14_E_NS1_11comp_targetILNS1_3genE8ELNS1_11target_archE1030ELNS1_3gpuE2ELNS1_3repE0EEENS1_30default_config_static_selectorELNS0_4arch9wavefront6targetE1EEEvT1_,"axG",@progbits,_ZN7rocprim17ROCPRIM_400000_NS6detail17trampoline_kernelINS0_14default_configENS1_25partition_config_selectorILNS1_17partition_subalgoE1EiNS0_10empty_typeEbEEZZNS1_14partition_implILS5_1ELb0ES3_jN6thrust23THRUST_200600_302600_NS6detail15normal_iteratorINSA_10device_ptrIiEEEEPS6_NSA_18transform_iteratorI7is_evenIiESF_NSA_11use_defaultESK_EENS0_5tupleIJSF_SF_EEENSM_IJSG_SG_EEES6_PlJS6_EEE10hipError_tPvRmT3_T4_T5_T6_T7_T9_mT8_P12ihipStream_tbDpT10_ENKUlT_T0_E_clISt17integral_constantIbLb1EES19_EEDaS14_S15_EUlS14_E_NS1_11comp_targetILNS1_3genE8ELNS1_11target_archE1030ELNS1_3gpuE2ELNS1_3repE0EEENS1_30default_config_static_selectorELNS0_4arch9wavefront6targetE1EEEvT1_,comdat
	.protected	_ZN7rocprim17ROCPRIM_400000_NS6detail17trampoline_kernelINS0_14default_configENS1_25partition_config_selectorILNS1_17partition_subalgoE1EiNS0_10empty_typeEbEEZZNS1_14partition_implILS5_1ELb0ES3_jN6thrust23THRUST_200600_302600_NS6detail15normal_iteratorINSA_10device_ptrIiEEEEPS6_NSA_18transform_iteratorI7is_evenIiESF_NSA_11use_defaultESK_EENS0_5tupleIJSF_SF_EEENSM_IJSG_SG_EEES6_PlJS6_EEE10hipError_tPvRmT3_T4_T5_T6_T7_T9_mT8_P12ihipStream_tbDpT10_ENKUlT_T0_E_clISt17integral_constantIbLb1EES19_EEDaS14_S15_EUlS14_E_NS1_11comp_targetILNS1_3genE8ELNS1_11target_archE1030ELNS1_3gpuE2ELNS1_3repE0EEENS1_30default_config_static_selectorELNS0_4arch9wavefront6targetE1EEEvT1_ ; -- Begin function _ZN7rocprim17ROCPRIM_400000_NS6detail17trampoline_kernelINS0_14default_configENS1_25partition_config_selectorILNS1_17partition_subalgoE1EiNS0_10empty_typeEbEEZZNS1_14partition_implILS5_1ELb0ES3_jN6thrust23THRUST_200600_302600_NS6detail15normal_iteratorINSA_10device_ptrIiEEEEPS6_NSA_18transform_iteratorI7is_evenIiESF_NSA_11use_defaultESK_EENS0_5tupleIJSF_SF_EEENSM_IJSG_SG_EEES6_PlJS6_EEE10hipError_tPvRmT3_T4_T5_T6_T7_T9_mT8_P12ihipStream_tbDpT10_ENKUlT_T0_E_clISt17integral_constantIbLb1EES19_EEDaS14_S15_EUlS14_E_NS1_11comp_targetILNS1_3genE8ELNS1_11target_archE1030ELNS1_3gpuE2ELNS1_3repE0EEENS1_30default_config_static_selectorELNS0_4arch9wavefront6targetE1EEEvT1_
	.globl	_ZN7rocprim17ROCPRIM_400000_NS6detail17trampoline_kernelINS0_14default_configENS1_25partition_config_selectorILNS1_17partition_subalgoE1EiNS0_10empty_typeEbEEZZNS1_14partition_implILS5_1ELb0ES3_jN6thrust23THRUST_200600_302600_NS6detail15normal_iteratorINSA_10device_ptrIiEEEEPS6_NSA_18transform_iteratorI7is_evenIiESF_NSA_11use_defaultESK_EENS0_5tupleIJSF_SF_EEENSM_IJSG_SG_EEES6_PlJS6_EEE10hipError_tPvRmT3_T4_T5_T6_T7_T9_mT8_P12ihipStream_tbDpT10_ENKUlT_T0_E_clISt17integral_constantIbLb1EES19_EEDaS14_S15_EUlS14_E_NS1_11comp_targetILNS1_3genE8ELNS1_11target_archE1030ELNS1_3gpuE2ELNS1_3repE0EEENS1_30default_config_static_selectorELNS0_4arch9wavefront6targetE1EEEvT1_
	.p2align	8
	.type	_ZN7rocprim17ROCPRIM_400000_NS6detail17trampoline_kernelINS0_14default_configENS1_25partition_config_selectorILNS1_17partition_subalgoE1EiNS0_10empty_typeEbEEZZNS1_14partition_implILS5_1ELb0ES3_jN6thrust23THRUST_200600_302600_NS6detail15normal_iteratorINSA_10device_ptrIiEEEEPS6_NSA_18transform_iteratorI7is_evenIiESF_NSA_11use_defaultESK_EENS0_5tupleIJSF_SF_EEENSM_IJSG_SG_EEES6_PlJS6_EEE10hipError_tPvRmT3_T4_T5_T6_T7_T9_mT8_P12ihipStream_tbDpT10_ENKUlT_T0_E_clISt17integral_constantIbLb1EES19_EEDaS14_S15_EUlS14_E_NS1_11comp_targetILNS1_3genE8ELNS1_11target_archE1030ELNS1_3gpuE2ELNS1_3repE0EEENS1_30default_config_static_selectorELNS0_4arch9wavefront6targetE1EEEvT1_,@function
_ZN7rocprim17ROCPRIM_400000_NS6detail17trampoline_kernelINS0_14default_configENS1_25partition_config_selectorILNS1_17partition_subalgoE1EiNS0_10empty_typeEbEEZZNS1_14partition_implILS5_1ELb0ES3_jN6thrust23THRUST_200600_302600_NS6detail15normal_iteratorINSA_10device_ptrIiEEEEPS6_NSA_18transform_iteratorI7is_evenIiESF_NSA_11use_defaultESK_EENS0_5tupleIJSF_SF_EEENSM_IJSG_SG_EEES6_PlJS6_EEE10hipError_tPvRmT3_T4_T5_T6_T7_T9_mT8_P12ihipStream_tbDpT10_ENKUlT_T0_E_clISt17integral_constantIbLb1EES19_EEDaS14_S15_EUlS14_E_NS1_11comp_targetILNS1_3genE8ELNS1_11target_archE1030ELNS1_3gpuE2ELNS1_3repE0EEENS1_30default_config_static_selectorELNS0_4arch9wavefront6targetE1EEEvT1_: ; @_ZN7rocprim17ROCPRIM_400000_NS6detail17trampoline_kernelINS0_14default_configENS1_25partition_config_selectorILNS1_17partition_subalgoE1EiNS0_10empty_typeEbEEZZNS1_14partition_implILS5_1ELb0ES3_jN6thrust23THRUST_200600_302600_NS6detail15normal_iteratorINSA_10device_ptrIiEEEEPS6_NSA_18transform_iteratorI7is_evenIiESF_NSA_11use_defaultESK_EENS0_5tupleIJSF_SF_EEENSM_IJSG_SG_EEES6_PlJS6_EEE10hipError_tPvRmT3_T4_T5_T6_T7_T9_mT8_P12ihipStream_tbDpT10_ENKUlT_T0_E_clISt17integral_constantIbLb1EES19_EEDaS14_S15_EUlS14_E_NS1_11comp_targetILNS1_3genE8ELNS1_11target_archE1030ELNS1_3gpuE2ELNS1_3repE0EEENS1_30default_config_static_selectorELNS0_4arch9wavefront6targetE1EEEvT1_
; %bb.0:
	.section	.rodata,"a",@progbits
	.p2align	6, 0x0
	.amdhsa_kernel _ZN7rocprim17ROCPRIM_400000_NS6detail17trampoline_kernelINS0_14default_configENS1_25partition_config_selectorILNS1_17partition_subalgoE1EiNS0_10empty_typeEbEEZZNS1_14partition_implILS5_1ELb0ES3_jN6thrust23THRUST_200600_302600_NS6detail15normal_iteratorINSA_10device_ptrIiEEEEPS6_NSA_18transform_iteratorI7is_evenIiESF_NSA_11use_defaultESK_EENS0_5tupleIJSF_SF_EEENSM_IJSG_SG_EEES6_PlJS6_EEE10hipError_tPvRmT3_T4_T5_T6_T7_T9_mT8_P12ihipStream_tbDpT10_ENKUlT_T0_E_clISt17integral_constantIbLb1EES19_EEDaS14_S15_EUlS14_E_NS1_11comp_targetILNS1_3genE8ELNS1_11target_archE1030ELNS1_3gpuE2ELNS1_3repE0EEENS1_30default_config_static_selectorELNS0_4arch9wavefront6targetE1EEEvT1_
		.amdhsa_group_segment_fixed_size 0
		.amdhsa_private_segment_fixed_size 0
		.amdhsa_kernarg_size 144
		.amdhsa_user_sgpr_count 2
		.amdhsa_user_sgpr_dispatch_ptr 0
		.amdhsa_user_sgpr_queue_ptr 0
		.amdhsa_user_sgpr_kernarg_segment_ptr 1
		.amdhsa_user_sgpr_dispatch_id 0
		.amdhsa_user_sgpr_kernarg_preload_length 0
		.amdhsa_user_sgpr_kernarg_preload_offset 0
		.amdhsa_user_sgpr_private_segment_size 0
		.amdhsa_uses_dynamic_stack 0
		.amdhsa_enable_private_segment 0
		.amdhsa_system_sgpr_workgroup_id_x 1
		.amdhsa_system_sgpr_workgroup_id_y 0
		.amdhsa_system_sgpr_workgroup_id_z 0
		.amdhsa_system_sgpr_workgroup_info 0
		.amdhsa_system_vgpr_workitem_id 0
		.amdhsa_next_free_vgpr 1
		.amdhsa_next_free_sgpr 0
		.amdhsa_accum_offset 4
		.amdhsa_reserve_vcc 0
		.amdhsa_float_round_mode_32 0
		.amdhsa_float_round_mode_16_64 0
		.amdhsa_float_denorm_mode_32 3
		.amdhsa_float_denorm_mode_16_64 3
		.amdhsa_dx10_clamp 1
		.amdhsa_ieee_mode 1
		.amdhsa_fp16_overflow 0
		.amdhsa_tg_split 0
		.amdhsa_exception_fp_ieee_invalid_op 0
		.amdhsa_exception_fp_denorm_src 0
		.amdhsa_exception_fp_ieee_div_zero 0
		.amdhsa_exception_fp_ieee_overflow 0
		.amdhsa_exception_fp_ieee_underflow 0
		.amdhsa_exception_fp_ieee_inexact 0
		.amdhsa_exception_int_div_zero 0
	.end_amdhsa_kernel
	.section	.text._ZN7rocprim17ROCPRIM_400000_NS6detail17trampoline_kernelINS0_14default_configENS1_25partition_config_selectorILNS1_17partition_subalgoE1EiNS0_10empty_typeEbEEZZNS1_14partition_implILS5_1ELb0ES3_jN6thrust23THRUST_200600_302600_NS6detail15normal_iteratorINSA_10device_ptrIiEEEEPS6_NSA_18transform_iteratorI7is_evenIiESF_NSA_11use_defaultESK_EENS0_5tupleIJSF_SF_EEENSM_IJSG_SG_EEES6_PlJS6_EEE10hipError_tPvRmT3_T4_T5_T6_T7_T9_mT8_P12ihipStream_tbDpT10_ENKUlT_T0_E_clISt17integral_constantIbLb1EES19_EEDaS14_S15_EUlS14_E_NS1_11comp_targetILNS1_3genE8ELNS1_11target_archE1030ELNS1_3gpuE2ELNS1_3repE0EEENS1_30default_config_static_selectorELNS0_4arch9wavefront6targetE1EEEvT1_,"axG",@progbits,_ZN7rocprim17ROCPRIM_400000_NS6detail17trampoline_kernelINS0_14default_configENS1_25partition_config_selectorILNS1_17partition_subalgoE1EiNS0_10empty_typeEbEEZZNS1_14partition_implILS5_1ELb0ES3_jN6thrust23THRUST_200600_302600_NS6detail15normal_iteratorINSA_10device_ptrIiEEEEPS6_NSA_18transform_iteratorI7is_evenIiESF_NSA_11use_defaultESK_EENS0_5tupleIJSF_SF_EEENSM_IJSG_SG_EEES6_PlJS6_EEE10hipError_tPvRmT3_T4_T5_T6_T7_T9_mT8_P12ihipStream_tbDpT10_ENKUlT_T0_E_clISt17integral_constantIbLb1EES19_EEDaS14_S15_EUlS14_E_NS1_11comp_targetILNS1_3genE8ELNS1_11target_archE1030ELNS1_3gpuE2ELNS1_3repE0EEENS1_30default_config_static_selectorELNS0_4arch9wavefront6targetE1EEEvT1_,comdat
.Lfunc_end432:
	.size	_ZN7rocprim17ROCPRIM_400000_NS6detail17trampoline_kernelINS0_14default_configENS1_25partition_config_selectorILNS1_17partition_subalgoE1EiNS0_10empty_typeEbEEZZNS1_14partition_implILS5_1ELb0ES3_jN6thrust23THRUST_200600_302600_NS6detail15normal_iteratorINSA_10device_ptrIiEEEEPS6_NSA_18transform_iteratorI7is_evenIiESF_NSA_11use_defaultESK_EENS0_5tupleIJSF_SF_EEENSM_IJSG_SG_EEES6_PlJS6_EEE10hipError_tPvRmT3_T4_T5_T6_T7_T9_mT8_P12ihipStream_tbDpT10_ENKUlT_T0_E_clISt17integral_constantIbLb1EES19_EEDaS14_S15_EUlS14_E_NS1_11comp_targetILNS1_3genE8ELNS1_11target_archE1030ELNS1_3gpuE2ELNS1_3repE0EEENS1_30default_config_static_selectorELNS0_4arch9wavefront6targetE1EEEvT1_, .Lfunc_end432-_ZN7rocprim17ROCPRIM_400000_NS6detail17trampoline_kernelINS0_14default_configENS1_25partition_config_selectorILNS1_17partition_subalgoE1EiNS0_10empty_typeEbEEZZNS1_14partition_implILS5_1ELb0ES3_jN6thrust23THRUST_200600_302600_NS6detail15normal_iteratorINSA_10device_ptrIiEEEEPS6_NSA_18transform_iteratorI7is_evenIiESF_NSA_11use_defaultESK_EENS0_5tupleIJSF_SF_EEENSM_IJSG_SG_EEES6_PlJS6_EEE10hipError_tPvRmT3_T4_T5_T6_T7_T9_mT8_P12ihipStream_tbDpT10_ENKUlT_T0_E_clISt17integral_constantIbLb1EES19_EEDaS14_S15_EUlS14_E_NS1_11comp_targetILNS1_3genE8ELNS1_11target_archE1030ELNS1_3gpuE2ELNS1_3repE0EEENS1_30default_config_static_selectorELNS0_4arch9wavefront6targetE1EEEvT1_
                                        ; -- End function
	.section	.AMDGPU.csdata,"",@progbits
; Kernel info:
; codeLenInByte = 0
; NumSgprs: 6
; NumVgprs: 0
; NumAgprs: 0
; TotalNumVgprs: 0
; ScratchSize: 0
; MemoryBound: 0
; FloatMode: 240
; IeeeMode: 1
; LDSByteSize: 0 bytes/workgroup (compile time only)
; SGPRBlocks: 0
; VGPRBlocks: 0
; NumSGPRsForWavesPerEU: 6
; NumVGPRsForWavesPerEU: 1
; AccumOffset: 4
; Occupancy: 8
; WaveLimiterHint : 0
; COMPUTE_PGM_RSRC2:SCRATCH_EN: 0
; COMPUTE_PGM_RSRC2:USER_SGPR: 2
; COMPUTE_PGM_RSRC2:TRAP_HANDLER: 0
; COMPUTE_PGM_RSRC2:TGID_X_EN: 1
; COMPUTE_PGM_RSRC2:TGID_Y_EN: 0
; COMPUTE_PGM_RSRC2:TGID_Z_EN: 0
; COMPUTE_PGM_RSRC2:TIDIG_COMP_CNT: 0
; COMPUTE_PGM_RSRC3_GFX90A:ACCUM_OFFSET: 0
; COMPUTE_PGM_RSRC3_GFX90A:TG_SPLIT: 0
	.section	.text._ZN7rocprim17ROCPRIM_400000_NS6detail17trampoline_kernelINS0_14default_configENS1_25partition_config_selectorILNS1_17partition_subalgoE1EiNS0_10empty_typeEbEEZZNS1_14partition_implILS5_1ELb0ES3_jN6thrust23THRUST_200600_302600_NS6detail15normal_iteratorINSA_10device_ptrIiEEEEPS6_NSA_18transform_iteratorI7is_evenIiESF_NSA_11use_defaultESK_EENS0_5tupleIJSF_SF_EEENSM_IJSG_SG_EEES6_PlJS6_EEE10hipError_tPvRmT3_T4_T5_T6_T7_T9_mT8_P12ihipStream_tbDpT10_ENKUlT_T0_E_clISt17integral_constantIbLb1EES18_IbLb0EEEEDaS14_S15_EUlS14_E_NS1_11comp_targetILNS1_3genE0ELNS1_11target_archE4294967295ELNS1_3gpuE0ELNS1_3repE0EEENS1_30default_config_static_selectorELNS0_4arch9wavefront6targetE1EEEvT1_,"axG",@progbits,_ZN7rocprim17ROCPRIM_400000_NS6detail17trampoline_kernelINS0_14default_configENS1_25partition_config_selectorILNS1_17partition_subalgoE1EiNS0_10empty_typeEbEEZZNS1_14partition_implILS5_1ELb0ES3_jN6thrust23THRUST_200600_302600_NS6detail15normal_iteratorINSA_10device_ptrIiEEEEPS6_NSA_18transform_iteratorI7is_evenIiESF_NSA_11use_defaultESK_EENS0_5tupleIJSF_SF_EEENSM_IJSG_SG_EEES6_PlJS6_EEE10hipError_tPvRmT3_T4_T5_T6_T7_T9_mT8_P12ihipStream_tbDpT10_ENKUlT_T0_E_clISt17integral_constantIbLb1EES18_IbLb0EEEEDaS14_S15_EUlS14_E_NS1_11comp_targetILNS1_3genE0ELNS1_11target_archE4294967295ELNS1_3gpuE0ELNS1_3repE0EEENS1_30default_config_static_selectorELNS0_4arch9wavefront6targetE1EEEvT1_,comdat
	.protected	_ZN7rocprim17ROCPRIM_400000_NS6detail17trampoline_kernelINS0_14default_configENS1_25partition_config_selectorILNS1_17partition_subalgoE1EiNS0_10empty_typeEbEEZZNS1_14partition_implILS5_1ELb0ES3_jN6thrust23THRUST_200600_302600_NS6detail15normal_iteratorINSA_10device_ptrIiEEEEPS6_NSA_18transform_iteratorI7is_evenIiESF_NSA_11use_defaultESK_EENS0_5tupleIJSF_SF_EEENSM_IJSG_SG_EEES6_PlJS6_EEE10hipError_tPvRmT3_T4_T5_T6_T7_T9_mT8_P12ihipStream_tbDpT10_ENKUlT_T0_E_clISt17integral_constantIbLb1EES18_IbLb0EEEEDaS14_S15_EUlS14_E_NS1_11comp_targetILNS1_3genE0ELNS1_11target_archE4294967295ELNS1_3gpuE0ELNS1_3repE0EEENS1_30default_config_static_selectorELNS0_4arch9wavefront6targetE1EEEvT1_ ; -- Begin function _ZN7rocprim17ROCPRIM_400000_NS6detail17trampoline_kernelINS0_14default_configENS1_25partition_config_selectorILNS1_17partition_subalgoE1EiNS0_10empty_typeEbEEZZNS1_14partition_implILS5_1ELb0ES3_jN6thrust23THRUST_200600_302600_NS6detail15normal_iteratorINSA_10device_ptrIiEEEEPS6_NSA_18transform_iteratorI7is_evenIiESF_NSA_11use_defaultESK_EENS0_5tupleIJSF_SF_EEENSM_IJSG_SG_EEES6_PlJS6_EEE10hipError_tPvRmT3_T4_T5_T6_T7_T9_mT8_P12ihipStream_tbDpT10_ENKUlT_T0_E_clISt17integral_constantIbLb1EES18_IbLb0EEEEDaS14_S15_EUlS14_E_NS1_11comp_targetILNS1_3genE0ELNS1_11target_archE4294967295ELNS1_3gpuE0ELNS1_3repE0EEENS1_30default_config_static_selectorELNS0_4arch9wavefront6targetE1EEEvT1_
	.globl	_ZN7rocprim17ROCPRIM_400000_NS6detail17trampoline_kernelINS0_14default_configENS1_25partition_config_selectorILNS1_17partition_subalgoE1EiNS0_10empty_typeEbEEZZNS1_14partition_implILS5_1ELb0ES3_jN6thrust23THRUST_200600_302600_NS6detail15normal_iteratorINSA_10device_ptrIiEEEEPS6_NSA_18transform_iteratorI7is_evenIiESF_NSA_11use_defaultESK_EENS0_5tupleIJSF_SF_EEENSM_IJSG_SG_EEES6_PlJS6_EEE10hipError_tPvRmT3_T4_T5_T6_T7_T9_mT8_P12ihipStream_tbDpT10_ENKUlT_T0_E_clISt17integral_constantIbLb1EES18_IbLb0EEEEDaS14_S15_EUlS14_E_NS1_11comp_targetILNS1_3genE0ELNS1_11target_archE4294967295ELNS1_3gpuE0ELNS1_3repE0EEENS1_30default_config_static_selectorELNS0_4arch9wavefront6targetE1EEEvT1_
	.p2align	8
	.type	_ZN7rocprim17ROCPRIM_400000_NS6detail17trampoline_kernelINS0_14default_configENS1_25partition_config_selectorILNS1_17partition_subalgoE1EiNS0_10empty_typeEbEEZZNS1_14partition_implILS5_1ELb0ES3_jN6thrust23THRUST_200600_302600_NS6detail15normal_iteratorINSA_10device_ptrIiEEEEPS6_NSA_18transform_iteratorI7is_evenIiESF_NSA_11use_defaultESK_EENS0_5tupleIJSF_SF_EEENSM_IJSG_SG_EEES6_PlJS6_EEE10hipError_tPvRmT3_T4_T5_T6_T7_T9_mT8_P12ihipStream_tbDpT10_ENKUlT_T0_E_clISt17integral_constantIbLb1EES18_IbLb0EEEEDaS14_S15_EUlS14_E_NS1_11comp_targetILNS1_3genE0ELNS1_11target_archE4294967295ELNS1_3gpuE0ELNS1_3repE0EEENS1_30default_config_static_selectorELNS0_4arch9wavefront6targetE1EEEvT1_,@function
_ZN7rocprim17ROCPRIM_400000_NS6detail17trampoline_kernelINS0_14default_configENS1_25partition_config_selectorILNS1_17partition_subalgoE1EiNS0_10empty_typeEbEEZZNS1_14partition_implILS5_1ELb0ES3_jN6thrust23THRUST_200600_302600_NS6detail15normal_iteratorINSA_10device_ptrIiEEEEPS6_NSA_18transform_iteratorI7is_evenIiESF_NSA_11use_defaultESK_EENS0_5tupleIJSF_SF_EEENSM_IJSG_SG_EEES6_PlJS6_EEE10hipError_tPvRmT3_T4_T5_T6_T7_T9_mT8_P12ihipStream_tbDpT10_ENKUlT_T0_E_clISt17integral_constantIbLb1EES18_IbLb0EEEEDaS14_S15_EUlS14_E_NS1_11comp_targetILNS1_3genE0ELNS1_11target_archE4294967295ELNS1_3gpuE0ELNS1_3repE0EEENS1_30default_config_static_selectorELNS0_4arch9wavefront6targetE1EEEvT1_: ; @_ZN7rocprim17ROCPRIM_400000_NS6detail17trampoline_kernelINS0_14default_configENS1_25partition_config_selectorILNS1_17partition_subalgoE1EiNS0_10empty_typeEbEEZZNS1_14partition_implILS5_1ELb0ES3_jN6thrust23THRUST_200600_302600_NS6detail15normal_iteratorINSA_10device_ptrIiEEEEPS6_NSA_18transform_iteratorI7is_evenIiESF_NSA_11use_defaultESK_EENS0_5tupleIJSF_SF_EEENSM_IJSG_SG_EEES6_PlJS6_EEE10hipError_tPvRmT3_T4_T5_T6_T7_T9_mT8_P12ihipStream_tbDpT10_ENKUlT_T0_E_clISt17integral_constantIbLb1EES18_IbLb0EEEEDaS14_S15_EUlS14_E_NS1_11comp_targetILNS1_3genE0ELNS1_11target_archE4294967295ELNS1_3gpuE0ELNS1_3repE0EEENS1_30default_config_static_selectorELNS0_4arch9wavefront6targetE1EEEvT1_
; %bb.0:
	.section	.rodata,"a",@progbits
	.p2align	6, 0x0
	.amdhsa_kernel _ZN7rocprim17ROCPRIM_400000_NS6detail17trampoline_kernelINS0_14default_configENS1_25partition_config_selectorILNS1_17partition_subalgoE1EiNS0_10empty_typeEbEEZZNS1_14partition_implILS5_1ELb0ES3_jN6thrust23THRUST_200600_302600_NS6detail15normal_iteratorINSA_10device_ptrIiEEEEPS6_NSA_18transform_iteratorI7is_evenIiESF_NSA_11use_defaultESK_EENS0_5tupleIJSF_SF_EEENSM_IJSG_SG_EEES6_PlJS6_EEE10hipError_tPvRmT3_T4_T5_T6_T7_T9_mT8_P12ihipStream_tbDpT10_ENKUlT_T0_E_clISt17integral_constantIbLb1EES18_IbLb0EEEEDaS14_S15_EUlS14_E_NS1_11comp_targetILNS1_3genE0ELNS1_11target_archE4294967295ELNS1_3gpuE0ELNS1_3repE0EEENS1_30default_config_static_selectorELNS0_4arch9wavefront6targetE1EEEvT1_
		.amdhsa_group_segment_fixed_size 0
		.amdhsa_private_segment_fixed_size 0
		.amdhsa_kernarg_size 128
		.amdhsa_user_sgpr_count 2
		.amdhsa_user_sgpr_dispatch_ptr 0
		.amdhsa_user_sgpr_queue_ptr 0
		.amdhsa_user_sgpr_kernarg_segment_ptr 1
		.amdhsa_user_sgpr_dispatch_id 0
		.amdhsa_user_sgpr_kernarg_preload_length 0
		.amdhsa_user_sgpr_kernarg_preload_offset 0
		.amdhsa_user_sgpr_private_segment_size 0
		.amdhsa_uses_dynamic_stack 0
		.amdhsa_enable_private_segment 0
		.amdhsa_system_sgpr_workgroup_id_x 1
		.amdhsa_system_sgpr_workgroup_id_y 0
		.amdhsa_system_sgpr_workgroup_id_z 0
		.amdhsa_system_sgpr_workgroup_info 0
		.amdhsa_system_vgpr_workitem_id 0
		.amdhsa_next_free_vgpr 1
		.amdhsa_next_free_sgpr 0
		.amdhsa_accum_offset 4
		.amdhsa_reserve_vcc 0
		.amdhsa_float_round_mode_32 0
		.amdhsa_float_round_mode_16_64 0
		.amdhsa_float_denorm_mode_32 3
		.amdhsa_float_denorm_mode_16_64 3
		.amdhsa_dx10_clamp 1
		.amdhsa_ieee_mode 1
		.amdhsa_fp16_overflow 0
		.amdhsa_tg_split 0
		.amdhsa_exception_fp_ieee_invalid_op 0
		.amdhsa_exception_fp_denorm_src 0
		.amdhsa_exception_fp_ieee_div_zero 0
		.amdhsa_exception_fp_ieee_overflow 0
		.amdhsa_exception_fp_ieee_underflow 0
		.amdhsa_exception_fp_ieee_inexact 0
		.amdhsa_exception_int_div_zero 0
	.end_amdhsa_kernel
	.section	.text._ZN7rocprim17ROCPRIM_400000_NS6detail17trampoline_kernelINS0_14default_configENS1_25partition_config_selectorILNS1_17partition_subalgoE1EiNS0_10empty_typeEbEEZZNS1_14partition_implILS5_1ELb0ES3_jN6thrust23THRUST_200600_302600_NS6detail15normal_iteratorINSA_10device_ptrIiEEEEPS6_NSA_18transform_iteratorI7is_evenIiESF_NSA_11use_defaultESK_EENS0_5tupleIJSF_SF_EEENSM_IJSG_SG_EEES6_PlJS6_EEE10hipError_tPvRmT3_T4_T5_T6_T7_T9_mT8_P12ihipStream_tbDpT10_ENKUlT_T0_E_clISt17integral_constantIbLb1EES18_IbLb0EEEEDaS14_S15_EUlS14_E_NS1_11comp_targetILNS1_3genE0ELNS1_11target_archE4294967295ELNS1_3gpuE0ELNS1_3repE0EEENS1_30default_config_static_selectorELNS0_4arch9wavefront6targetE1EEEvT1_,"axG",@progbits,_ZN7rocprim17ROCPRIM_400000_NS6detail17trampoline_kernelINS0_14default_configENS1_25partition_config_selectorILNS1_17partition_subalgoE1EiNS0_10empty_typeEbEEZZNS1_14partition_implILS5_1ELb0ES3_jN6thrust23THRUST_200600_302600_NS6detail15normal_iteratorINSA_10device_ptrIiEEEEPS6_NSA_18transform_iteratorI7is_evenIiESF_NSA_11use_defaultESK_EENS0_5tupleIJSF_SF_EEENSM_IJSG_SG_EEES6_PlJS6_EEE10hipError_tPvRmT3_T4_T5_T6_T7_T9_mT8_P12ihipStream_tbDpT10_ENKUlT_T0_E_clISt17integral_constantIbLb1EES18_IbLb0EEEEDaS14_S15_EUlS14_E_NS1_11comp_targetILNS1_3genE0ELNS1_11target_archE4294967295ELNS1_3gpuE0ELNS1_3repE0EEENS1_30default_config_static_selectorELNS0_4arch9wavefront6targetE1EEEvT1_,comdat
.Lfunc_end433:
	.size	_ZN7rocprim17ROCPRIM_400000_NS6detail17trampoline_kernelINS0_14default_configENS1_25partition_config_selectorILNS1_17partition_subalgoE1EiNS0_10empty_typeEbEEZZNS1_14partition_implILS5_1ELb0ES3_jN6thrust23THRUST_200600_302600_NS6detail15normal_iteratorINSA_10device_ptrIiEEEEPS6_NSA_18transform_iteratorI7is_evenIiESF_NSA_11use_defaultESK_EENS0_5tupleIJSF_SF_EEENSM_IJSG_SG_EEES6_PlJS6_EEE10hipError_tPvRmT3_T4_T5_T6_T7_T9_mT8_P12ihipStream_tbDpT10_ENKUlT_T0_E_clISt17integral_constantIbLb1EES18_IbLb0EEEEDaS14_S15_EUlS14_E_NS1_11comp_targetILNS1_3genE0ELNS1_11target_archE4294967295ELNS1_3gpuE0ELNS1_3repE0EEENS1_30default_config_static_selectorELNS0_4arch9wavefront6targetE1EEEvT1_, .Lfunc_end433-_ZN7rocprim17ROCPRIM_400000_NS6detail17trampoline_kernelINS0_14default_configENS1_25partition_config_selectorILNS1_17partition_subalgoE1EiNS0_10empty_typeEbEEZZNS1_14partition_implILS5_1ELb0ES3_jN6thrust23THRUST_200600_302600_NS6detail15normal_iteratorINSA_10device_ptrIiEEEEPS6_NSA_18transform_iteratorI7is_evenIiESF_NSA_11use_defaultESK_EENS0_5tupleIJSF_SF_EEENSM_IJSG_SG_EEES6_PlJS6_EEE10hipError_tPvRmT3_T4_T5_T6_T7_T9_mT8_P12ihipStream_tbDpT10_ENKUlT_T0_E_clISt17integral_constantIbLb1EES18_IbLb0EEEEDaS14_S15_EUlS14_E_NS1_11comp_targetILNS1_3genE0ELNS1_11target_archE4294967295ELNS1_3gpuE0ELNS1_3repE0EEENS1_30default_config_static_selectorELNS0_4arch9wavefront6targetE1EEEvT1_
                                        ; -- End function
	.section	.AMDGPU.csdata,"",@progbits
; Kernel info:
; codeLenInByte = 0
; NumSgprs: 6
; NumVgprs: 0
; NumAgprs: 0
; TotalNumVgprs: 0
; ScratchSize: 0
; MemoryBound: 0
; FloatMode: 240
; IeeeMode: 1
; LDSByteSize: 0 bytes/workgroup (compile time only)
; SGPRBlocks: 0
; VGPRBlocks: 0
; NumSGPRsForWavesPerEU: 6
; NumVGPRsForWavesPerEU: 1
; AccumOffset: 4
; Occupancy: 8
; WaveLimiterHint : 0
; COMPUTE_PGM_RSRC2:SCRATCH_EN: 0
; COMPUTE_PGM_RSRC2:USER_SGPR: 2
; COMPUTE_PGM_RSRC2:TRAP_HANDLER: 0
; COMPUTE_PGM_RSRC2:TGID_X_EN: 1
; COMPUTE_PGM_RSRC2:TGID_Y_EN: 0
; COMPUTE_PGM_RSRC2:TGID_Z_EN: 0
; COMPUTE_PGM_RSRC2:TIDIG_COMP_CNT: 0
; COMPUTE_PGM_RSRC3_GFX90A:ACCUM_OFFSET: 0
; COMPUTE_PGM_RSRC3_GFX90A:TG_SPLIT: 0
	.section	.text._ZN7rocprim17ROCPRIM_400000_NS6detail17trampoline_kernelINS0_14default_configENS1_25partition_config_selectorILNS1_17partition_subalgoE1EiNS0_10empty_typeEbEEZZNS1_14partition_implILS5_1ELb0ES3_jN6thrust23THRUST_200600_302600_NS6detail15normal_iteratorINSA_10device_ptrIiEEEEPS6_NSA_18transform_iteratorI7is_evenIiESF_NSA_11use_defaultESK_EENS0_5tupleIJSF_SF_EEENSM_IJSG_SG_EEES6_PlJS6_EEE10hipError_tPvRmT3_T4_T5_T6_T7_T9_mT8_P12ihipStream_tbDpT10_ENKUlT_T0_E_clISt17integral_constantIbLb1EES18_IbLb0EEEEDaS14_S15_EUlS14_E_NS1_11comp_targetILNS1_3genE5ELNS1_11target_archE942ELNS1_3gpuE9ELNS1_3repE0EEENS1_30default_config_static_selectorELNS0_4arch9wavefront6targetE1EEEvT1_,"axG",@progbits,_ZN7rocprim17ROCPRIM_400000_NS6detail17trampoline_kernelINS0_14default_configENS1_25partition_config_selectorILNS1_17partition_subalgoE1EiNS0_10empty_typeEbEEZZNS1_14partition_implILS5_1ELb0ES3_jN6thrust23THRUST_200600_302600_NS6detail15normal_iteratorINSA_10device_ptrIiEEEEPS6_NSA_18transform_iteratorI7is_evenIiESF_NSA_11use_defaultESK_EENS0_5tupleIJSF_SF_EEENSM_IJSG_SG_EEES6_PlJS6_EEE10hipError_tPvRmT3_T4_T5_T6_T7_T9_mT8_P12ihipStream_tbDpT10_ENKUlT_T0_E_clISt17integral_constantIbLb1EES18_IbLb0EEEEDaS14_S15_EUlS14_E_NS1_11comp_targetILNS1_3genE5ELNS1_11target_archE942ELNS1_3gpuE9ELNS1_3repE0EEENS1_30default_config_static_selectorELNS0_4arch9wavefront6targetE1EEEvT1_,comdat
	.protected	_ZN7rocprim17ROCPRIM_400000_NS6detail17trampoline_kernelINS0_14default_configENS1_25partition_config_selectorILNS1_17partition_subalgoE1EiNS0_10empty_typeEbEEZZNS1_14partition_implILS5_1ELb0ES3_jN6thrust23THRUST_200600_302600_NS6detail15normal_iteratorINSA_10device_ptrIiEEEEPS6_NSA_18transform_iteratorI7is_evenIiESF_NSA_11use_defaultESK_EENS0_5tupleIJSF_SF_EEENSM_IJSG_SG_EEES6_PlJS6_EEE10hipError_tPvRmT3_T4_T5_T6_T7_T9_mT8_P12ihipStream_tbDpT10_ENKUlT_T0_E_clISt17integral_constantIbLb1EES18_IbLb0EEEEDaS14_S15_EUlS14_E_NS1_11comp_targetILNS1_3genE5ELNS1_11target_archE942ELNS1_3gpuE9ELNS1_3repE0EEENS1_30default_config_static_selectorELNS0_4arch9wavefront6targetE1EEEvT1_ ; -- Begin function _ZN7rocprim17ROCPRIM_400000_NS6detail17trampoline_kernelINS0_14default_configENS1_25partition_config_selectorILNS1_17partition_subalgoE1EiNS0_10empty_typeEbEEZZNS1_14partition_implILS5_1ELb0ES3_jN6thrust23THRUST_200600_302600_NS6detail15normal_iteratorINSA_10device_ptrIiEEEEPS6_NSA_18transform_iteratorI7is_evenIiESF_NSA_11use_defaultESK_EENS0_5tupleIJSF_SF_EEENSM_IJSG_SG_EEES6_PlJS6_EEE10hipError_tPvRmT3_T4_T5_T6_T7_T9_mT8_P12ihipStream_tbDpT10_ENKUlT_T0_E_clISt17integral_constantIbLb1EES18_IbLb0EEEEDaS14_S15_EUlS14_E_NS1_11comp_targetILNS1_3genE5ELNS1_11target_archE942ELNS1_3gpuE9ELNS1_3repE0EEENS1_30default_config_static_selectorELNS0_4arch9wavefront6targetE1EEEvT1_
	.globl	_ZN7rocprim17ROCPRIM_400000_NS6detail17trampoline_kernelINS0_14default_configENS1_25partition_config_selectorILNS1_17partition_subalgoE1EiNS0_10empty_typeEbEEZZNS1_14partition_implILS5_1ELb0ES3_jN6thrust23THRUST_200600_302600_NS6detail15normal_iteratorINSA_10device_ptrIiEEEEPS6_NSA_18transform_iteratorI7is_evenIiESF_NSA_11use_defaultESK_EENS0_5tupleIJSF_SF_EEENSM_IJSG_SG_EEES6_PlJS6_EEE10hipError_tPvRmT3_T4_T5_T6_T7_T9_mT8_P12ihipStream_tbDpT10_ENKUlT_T0_E_clISt17integral_constantIbLb1EES18_IbLb0EEEEDaS14_S15_EUlS14_E_NS1_11comp_targetILNS1_3genE5ELNS1_11target_archE942ELNS1_3gpuE9ELNS1_3repE0EEENS1_30default_config_static_selectorELNS0_4arch9wavefront6targetE1EEEvT1_
	.p2align	8
	.type	_ZN7rocprim17ROCPRIM_400000_NS6detail17trampoline_kernelINS0_14default_configENS1_25partition_config_selectorILNS1_17partition_subalgoE1EiNS0_10empty_typeEbEEZZNS1_14partition_implILS5_1ELb0ES3_jN6thrust23THRUST_200600_302600_NS6detail15normal_iteratorINSA_10device_ptrIiEEEEPS6_NSA_18transform_iteratorI7is_evenIiESF_NSA_11use_defaultESK_EENS0_5tupleIJSF_SF_EEENSM_IJSG_SG_EEES6_PlJS6_EEE10hipError_tPvRmT3_T4_T5_T6_T7_T9_mT8_P12ihipStream_tbDpT10_ENKUlT_T0_E_clISt17integral_constantIbLb1EES18_IbLb0EEEEDaS14_S15_EUlS14_E_NS1_11comp_targetILNS1_3genE5ELNS1_11target_archE942ELNS1_3gpuE9ELNS1_3repE0EEENS1_30default_config_static_selectorELNS0_4arch9wavefront6targetE1EEEvT1_,@function
_ZN7rocprim17ROCPRIM_400000_NS6detail17trampoline_kernelINS0_14default_configENS1_25partition_config_selectorILNS1_17partition_subalgoE1EiNS0_10empty_typeEbEEZZNS1_14partition_implILS5_1ELb0ES3_jN6thrust23THRUST_200600_302600_NS6detail15normal_iteratorINSA_10device_ptrIiEEEEPS6_NSA_18transform_iteratorI7is_evenIiESF_NSA_11use_defaultESK_EENS0_5tupleIJSF_SF_EEENSM_IJSG_SG_EEES6_PlJS6_EEE10hipError_tPvRmT3_T4_T5_T6_T7_T9_mT8_P12ihipStream_tbDpT10_ENKUlT_T0_E_clISt17integral_constantIbLb1EES18_IbLb0EEEEDaS14_S15_EUlS14_E_NS1_11comp_targetILNS1_3genE5ELNS1_11target_archE942ELNS1_3gpuE9ELNS1_3repE0EEENS1_30default_config_static_selectorELNS0_4arch9wavefront6targetE1EEEvT1_: ; @_ZN7rocprim17ROCPRIM_400000_NS6detail17trampoline_kernelINS0_14default_configENS1_25partition_config_selectorILNS1_17partition_subalgoE1EiNS0_10empty_typeEbEEZZNS1_14partition_implILS5_1ELb0ES3_jN6thrust23THRUST_200600_302600_NS6detail15normal_iteratorINSA_10device_ptrIiEEEEPS6_NSA_18transform_iteratorI7is_evenIiESF_NSA_11use_defaultESK_EENS0_5tupleIJSF_SF_EEENSM_IJSG_SG_EEES6_PlJS6_EEE10hipError_tPvRmT3_T4_T5_T6_T7_T9_mT8_P12ihipStream_tbDpT10_ENKUlT_T0_E_clISt17integral_constantIbLb1EES18_IbLb0EEEEDaS14_S15_EUlS14_E_NS1_11comp_targetILNS1_3genE5ELNS1_11target_archE942ELNS1_3gpuE9ELNS1_3repE0EEENS1_30default_config_static_selectorELNS0_4arch9wavefront6targetE1EEEvT1_
; %bb.0:
	s_load_dwordx2 s[4:5], s[0:1], 0x60
	s_load_dwordx4 s[24:27], s[0:1], 0x8
	s_load_dwordx2 s[6:7], s[0:1], 0x20
	s_load_dwordx4 s[20:23], s[0:1], 0x50
	s_load_dword s3, s[0:1], 0x78
	s_waitcnt lgkmcnt(0)
	v_mov_b32_e32 v3, s5
	s_lshl_b64 s[8:9], s[26:27], 2
	s_add_u32 s12, s24, s8
	s_addc_u32 s13, s25, s9
	s_add_i32 s14, s3, -1
	s_mulk_i32 s3, 0x1e00
	s_add_i32 s5, s3, s26
	s_sub_i32 s33, s4, s5
	s_addk_i32 s33, 0x1e00
	v_mov_b32_e32 v2, s4
	s_add_u32 s4, s26, s3
	s_addc_u32 s5, s27, 0
	s_cmp_eq_u32 s2, s14
	s_load_dwordx2 s[28:29], s[22:23], 0x0
	s_cselect_b64 s[22:23], -1, 0
	s_cmp_lg_u32 s2, s14
	s_mul_i32 s10, s2, 0x1e00
	s_mov_b32 s11, 0
	v_cmp_lt_u64_e32 vcc, s[4:5], v[2:3]
	s_cselect_b64 s[4:5], -1, 0
	s_or_b64 s[24:25], s[4:5], vcc
	s_lshl_b64 s[30:31], s[10:11], 2
	s_add_u32 s10, s12, s30
	s_addc_u32 s11, s13, s31
	s_mov_b64 s[4:5], -1
	s_and_b64 vcc, exec, s[24:25]
	v_lshlrev_b32_e32 v22, 2, v0
	s_cbranch_vccz .LBB434_2
; %bb.1:
	v_mov_b32_e32 v23, 0
	v_lshl_add_u64 v[2:3], s[10:11], 0, v[22:23]
	v_add_co_u32_e32 v4, vcc, 0x1000, v2
	s_mov_b64 s[4:5], 0
	s_nop 0
	v_addc_co_u32_e32 v5, vcc, 0, v3, vcc
	v_add_co_u32_e32 v6, vcc, 0x2000, v2
	s_nop 1
	v_addc_co_u32_e32 v7, vcc, 0, v3, vcc
	v_add_co_u32_e32 v8, vcc, 0x3000, v2
	s_nop 1
	v_addc_co_u32_e32 v9, vcc, 0, v3, vcc
	flat_load_dword v1, v[2:3]
	flat_load_dword v10, v[2:3] offset:2048
	flat_load_dword v11, v[4:5]
	flat_load_dword v12, v[4:5] offset:2048
	;; [unrolled: 2-line block ×4, first 2 shown]
	v_add_co_u32_e32 v4, vcc, 0x4000, v2
	s_nop 1
	v_addc_co_u32_e32 v5, vcc, 0, v3, vcc
	v_add_co_u32_e32 v6, vcc, 0x5000, v2
	s_nop 1
	v_addc_co_u32_e32 v7, vcc, 0, v3, vcc
	;; [unrolled: 3-line block ×4, first 2 shown]
	flat_load_dword v17, v[4:5]
	flat_load_dword v18, v[4:5] offset:2048
	flat_load_dword v19, v[6:7]
	flat_load_dword v20, v[6:7] offset:2048
	;; [unrolled: 2-line block ×3, first 2 shown]
	flat_load_dword v24, v[2:3]
	s_waitcnt vmcnt(0) lgkmcnt(0)
	ds_write2st64_b32 v22, v1, v10 offset1:8
	ds_write2st64_b32 v22, v11, v12 offset0:16 offset1:24
	ds_write2st64_b32 v22, v13, v14 offset0:32 offset1:40
	;; [unrolled: 1-line block ×6, first 2 shown]
	ds_write_b32 v22, v24 offset:28672
	s_waitcnt lgkmcnt(0)
	s_barrier
.LBB434_2:
	s_andn2_b64 vcc, exec, s[4:5]
	v_cmp_gt_u32_e64 s[4:5], s33, v0
	s_cbranch_vccnz .LBB434_34
; %bb.3:
                                        ; implicit-def: $vgpr2_vgpr3_vgpr4_vgpr5_vgpr6_vgpr7_vgpr8_vgpr9_vgpr10_vgpr11_vgpr12_vgpr13_vgpr14_vgpr15_vgpr16_vgpr17
	s_and_saveexec_b64 s[12:13], s[4:5]
	s_cbranch_execz .LBB434_5
; %bb.4:
	v_mov_b32_e32 v23, 0
	v_lshl_add_u64 v[2:3], s[10:11], 0, v[22:23]
	flat_load_dword v2, v[2:3]
.LBB434_5:
	s_or_b64 exec, exec, s[12:13]
	v_or_b32_e32 v1, 0x200, v0
	v_cmp_gt_u32_e32 vcc, s33, v1
	s_and_saveexec_b64 s[4:5], vcc
	s_cbranch_execz .LBB434_7
; %bb.6:
	v_mov_b32_e32 v23, 0
	v_lshl_add_u64 v[18:19], s[10:11], 0, v[22:23]
	flat_load_dword v3, v[18:19] offset:2048
.LBB434_7:
	s_or_b64 exec, exec, s[4:5]
	v_or_b32_e32 v1, 0x400, v0
	v_cmp_gt_u32_e32 vcc, s33, v1
	s_and_saveexec_b64 s[4:5], vcc
	s_cbranch_execz .LBB434_9
; %bb.8:
	v_lshlrev_b32_e32 v18, 2, v1
	v_mov_b32_e32 v19, 0
	v_lshl_add_u64 v[18:19], s[10:11], 0, v[18:19]
	flat_load_dword v4, v[18:19]
.LBB434_9:
	s_or_b64 exec, exec, s[4:5]
	v_or_b32_e32 v1, 0x600, v0
	v_cmp_gt_u32_e32 vcc, s33, v1
	s_and_saveexec_b64 s[4:5], vcc
	s_cbranch_execz .LBB434_11
; %bb.10:
	v_lshlrev_b32_e32 v18, 2, v1
	v_mov_b32_e32 v19, 0
	v_lshl_add_u64 v[18:19], s[10:11], 0, v[18:19]
	flat_load_dword v5, v[18:19]
.LBB434_11:
	;; [unrolled: 11-line block ×13, first 2 shown]
	s_or_b64 exec, exec, s[4:5]
	s_waitcnt vmcnt(0) lgkmcnt(0)
	ds_write2st64_b32 v22, v2, v3 offset1:8
	ds_write2st64_b32 v22, v4, v5 offset0:16 offset1:24
	ds_write2st64_b32 v22, v6, v7 offset0:32 offset1:40
	;; [unrolled: 1-line block ×6, first 2 shown]
	ds_write_b32 v22, v16 offset:28672
	s_waitcnt lgkmcnt(0)
	s_barrier
.LBB434_34:
	v_mul_u32_u24_e32 v21, 15, v0
	v_lshlrev_b32_e32 v1, 2, v21
	s_waitcnt lgkmcnt(0)
	ds_read2_b32 v[36:37], v1 offset1:1
	ds_read2_b32 v[34:35], v1 offset0:2 offset1:3
	ds_read2_b32 v[32:33], v1 offset0:4 offset1:5
	;; [unrolled: 1-line block ×6, first 2 shown]
	ds_read_b32 v1, v1 offset:56
	s_add_u32 s3, s6, s8
	s_addc_u32 s5, s7, s9
	s_add_u32 s4, s3, s30
	s_addc_u32 s5, s5, s31
	s_mov_b64 s[6:7], -1
	s_and_b64 vcc, exec, s[24:25]
	s_waitcnt lgkmcnt(0)
	s_barrier
	s_cbranch_vccz .LBB434_36
; %bb.35:
	v_mov_b32_e32 v23, 0
	v_lshl_add_u64 v[2:3], s[4:5], 0, v[22:23]
	v_add_co_u32_e32 v4, vcc, 0x1000, v2
	global_load_dword v10, v22, s[4:5]
	global_load_dword v11, v22, s[4:5] offset:2048
	v_addc_co_u32_e32 v5, vcc, 0, v3, vcc
	v_add_co_u32_e32 v6, vcc, 0x2000, v2
	s_mov_b64 s[6:7], 0
	s_nop 0
	v_addc_co_u32_e32 v7, vcc, 0, v3, vcc
	v_add_co_u32_e32 v8, vcc, 0x3000, v2
	s_nop 1
	v_addc_co_u32_e32 v9, vcc, 0, v3, vcc
	global_load_dword v12, v[4:5], off
	global_load_dword v13, v[4:5], off offset:2048
	global_load_dword v14, v[6:7], off
	global_load_dword v15, v[6:7], off offset:2048
	;; [unrolled: 2-line block ×3, first 2 shown]
	v_add_co_u32_e32 v4, vcc, 0x4000, v2
	s_nop 1
	v_addc_co_u32_e32 v5, vcc, 0, v3, vcc
	global_load_dword v6, v[4:5], off
	global_load_dword v7, v[4:5], off offset:2048
	v_add_co_u32_e32 v4, vcc, 0x5000, v2
	s_waitcnt vmcnt(1)
	v_xor_b32_e32 v6, -1, v6
	v_addc_co_u32_e32 v5, vcc, 0, v3, vcc
	global_load_dword v8, v[4:5], off
	global_load_dword v9, v[4:5], off offset:2048
	v_add_co_u32_e32 v4, vcc, 0x6000, v2
	s_waitcnt vmcnt(2)
	v_xor_b32_e32 v7, -1, v7
	v_addc_co_u32_e32 v5, vcc, 0, v3, vcc
	v_add_co_u32_e32 v2, vcc, 0x7000, v2
	global_load_dword v18, v[4:5], off
	global_load_dword v19, v[4:5], off offset:2048
	v_addc_co_u32_e32 v3, vcc, 0, v3, vcc
	global_load_dword v2, v[2:3], off
	v_xor_b32_e32 v3, -1, v10
	v_xor_b32_e32 v4, -1, v11
	v_and_b32_e32 v3, 1, v3
	v_and_b32_e32 v4, 1, v4
	ds_write_b8 v0, v3
	ds_write_b8 v0, v4 offset:512
	v_xor_b32_e32 v3, -1, v12
	v_xor_b32_e32 v4, -1, v13
	;; [unrolled: 1-line block ×3, first 2 shown]
	v_and_b32_e32 v3, 1, v3
	v_and_b32_e32 v4, 1, v4
	v_xor_b32_e32 v10, -1, v15
	v_and_b32_e32 v5, 1, v5
	v_xor_b32_e32 v11, -1, v16
	v_xor_b32_e32 v12, -1, v17
	v_and_b32_e32 v10, 1, v10
	ds_write_b8 v0, v3 offset:1024
	ds_write_b8 v0, v4 offset:1536
	v_and_b32_e32 v3, 1, v11
	v_and_b32_e32 v4, 1, v12
	ds_write_b8 v0, v5 offset:2048
	ds_write_b8 v0, v10 offset:2560
	v_and_b32_e32 v5, 1, v6
	v_and_b32_e32 v6, 1, v7
	ds_write_b8 v0, v3 offset:3072
	ds_write_b8 v0, v4 offset:3584
	;; [unrolled: 1-line block ×4, first 2 shown]
	s_waitcnt vmcnt(4)
	v_xor_b32_e32 v7, -1, v8
	s_waitcnt vmcnt(3)
	v_xor_b32_e32 v8, -1, v9
	v_and_b32_e32 v3, 1, v7
	v_and_b32_e32 v4, 1, v8
	s_waitcnt vmcnt(2)
	v_xor_b32_e32 v7, -1, v18
	s_waitcnt vmcnt(1)
	v_xor_b32_e32 v8, -1, v19
	v_and_b32_e32 v5, 1, v7
	v_and_b32_e32 v6, 1, v8
	s_waitcnt vmcnt(0)
	v_xor_b32_e32 v2, -1, v2
	v_and_b32_e32 v2, 1, v2
	ds_write_b8 v0, v3 offset:5120
	ds_write_b8 v0, v4 offset:5632
	;; [unrolled: 1-line block ×5, first 2 shown]
	s_waitcnt lgkmcnt(0)
	s_barrier
.LBB434_36:
	s_load_dwordx2 s[34:35], s[0:1], 0x70
	s_andn2_b64 vcc, exec, s[6:7]
	s_cbranch_vccnz .LBB434_68
; %bb.37:
	v_cmp_gt_u32_e32 vcc, s33, v0
	v_mov_b32_e32 v2, 0
	v_mov_b32_e32 v3, 0
	s_and_saveexec_b64 s[6:7], vcc
	s_cbranch_execz .LBB434_39
; %bb.38:
	global_load_dword v3, v22, s[4:5]
	s_waitcnt vmcnt(0)
	v_xor_b32_e32 v3, -1, v3
	v_and_b32_e32 v3, 1, v3
.LBB434_39:
	s_or_b64 exec, exec, s[6:7]
	v_or_b32_e32 v4, 0x200, v0
	v_cmp_gt_u32_e32 vcc, s33, v4
	s_and_saveexec_b64 s[6:7], vcc
	s_cbranch_execz .LBB434_41
; %bb.40:
	global_load_dword v2, v22, s[4:5] offset:2048
	s_waitcnt vmcnt(0)
	v_xor_b32_e32 v2, -1, v2
	v_and_b32_e32 v2, 1, v2
.LBB434_41:
	s_or_b64 exec, exec, s[6:7]
	v_or_b32_e32 v6, 0x400, v0
	v_cmp_gt_u32_e32 vcc, s33, v6
	v_mov_b32_e32 v4, 0
	v_mov_b32_e32 v5, 0
	s_and_saveexec_b64 s[6:7], vcc
	s_cbranch_execz .LBB434_43
; %bb.42:
	v_lshlrev_b32_e32 v5, 2, v6
	global_load_dword v5, v5, s[4:5]
	s_waitcnt vmcnt(0)
	v_xor_b32_e32 v5, -1, v5
	v_and_b32_e32 v5, 1, v5
.LBB434_43:
	s_or_b64 exec, exec, s[6:7]
	v_or_b32_e32 v6, 0x600, v0
	v_cmp_gt_u32_e32 vcc, s33, v6
	s_and_saveexec_b64 s[6:7], vcc
	s_cbranch_execz .LBB434_45
; %bb.44:
	v_lshlrev_b32_e32 v4, 2, v6
	global_load_dword v4, v4, s[4:5]
	s_waitcnt vmcnt(0)
	v_xor_b32_e32 v4, -1, v4
	v_and_b32_e32 v4, 1, v4
.LBB434_45:
	s_or_b64 exec, exec, s[6:7]
	v_or_b32_e32 v8, 0x800, v0
	v_cmp_gt_u32_e32 vcc, s33, v8
	v_mov_b32_e32 v6, 0
	v_mov_b32_e32 v7, 0
	s_and_saveexec_b64 s[6:7], vcc
	s_cbranch_execz .LBB434_47
; %bb.46:
	v_lshlrev_b32_e32 v7, 2, v8
	global_load_dword v7, v7, s[4:5]
	s_waitcnt vmcnt(0)
	v_xor_b32_e32 v7, -1, v7
	v_and_b32_e32 v7, 1, v7
.LBB434_47:
	s_or_b64 exec, exec, s[6:7]
	v_or_b32_e32 v8, 0xa00, v0
	v_cmp_gt_u32_e32 vcc, s33, v8
	s_and_saveexec_b64 s[6:7], vcc
	s_cbranch_execz .LBB434_49
; %bb.48:
	v_lshlrev_b32_e32 v6, 2, v8
	global_load_dword v6, v6, s[4:5]
	s_waitcnt vmcnt(0)
	v_xor_b32_e32 v6, -1, v6
	v_and_b32_e32 v6, 1, v6
.LBB434_49:
	;; [unrolled: 26-line block ×6, first 2 shown]
	s_or_b64 exec, exec, s[6:7]
	v_or_b32_e32 v17, 0x1c00, v0
	v_cmp_gt_u32_e32 vcc, s33, v17
	v_mov_b32_e32 v16, 0
	s_and_saveexec_b64 s[6:7], vcc
	s_cbranch_execz .LBB434_67
; %bb.66:
	v_lshlrev_b32_e32 v16, 2, v17
	global_load_dword v16, v16, s[4:5]
	s_waitcnt vmcnt(0)
	v_xor_b32_e32 v16, -1, v16
	v_and_b32_e32 v16, 1, v16
.LBB434_67:
	s_or_b64 exec, exec, s[6:7]
	ds_write_b8 v0, v3
	ds_write_b8 v0, v2 offset:512
	ds_write_b8 v0, v5 offset:1024
	;; [unrolled: 1-line block ×14, first 2 shown]
	s_waitcnt lgkmcnt(0)
	s_barrier
.LBB434_68:
	s_waitcnt lgkmcnt(0)
	ds_read_b96 v[18:20], v21
	ds_read_u8 v2, v21 offset:12
	ds_read_u8 v3, v21 offset:13
	;; [unrolled: 1-line block ×3, first 2 shown]
	s_cmp_lg_u32 s2, 0
	v_lshrrev_b32_e32 v56, 6, v0
	s_waitcnt lgkmcnt(2)
	v_and_b32_e32 v43, 1, v2
	v_and_b32_e32 v52, 0xff, v18
	v_bfe_u32 v53, v18, 8, 8
	v_bfe_u32 v54, v18, 16, 8
	v_lshrrev_b32_e32 v45, 24, v18
	v_and_b32_e32 v49, 0xff, v19
	v_add3_u32 v2, v53, v52, v54
	v_bfe_u32 v50, v19, 8, 8
	v_bfe_u32 v51, v19, 16, 8
	v_add3_u32 v2, v2, v45, v49
	v_lshrrev_b32_e32 v44, 24, v19
	v_and_b32_e32 v46, 0xff, v20
	v_add3_u32 v2, v2, v50, v51
	v_bfe_u32 v47, v20, 8, 8
	v_bfe_u32 v48, v20, 16, 8
	v_add3_u32 v2, v2, v44, v46
	v_lshrrev_b32_e32 v42, 24, v20
	v_add3_u32 v2, v2, v47, v48
	s_waitcnt lgkmcnt(1)
	v_and_b32_e32 v41, 1, v3
	s_waitcnt lgkmcnt(0)
	v_and_b32_e32 v23, 1, v4
	v_add3_u32 v2, v2, v42, v43
	v_add3_u32 v57, v2, v41, v23
	v_mbcnt_lo_u32_b32 v2, -1, 0
	v_mbcnt_hi_u32_b32 v55, -1, v2
	v_and_b32_e32 v2, 15, v55
	v_cmp_eq_u32_e64 s[14:15], 0, v2
	v_cmp_lt_u32_e64 s[12:13], 1, v2
	v_cmp_lt_u32_e64 s[10:11], 3, v2
	v_cmp_lt_u32_e64 s[8:9], 7, v2
	v_and_b32_e32 v2, 16, v55
	v_cmp_eq_u32_e64 s[6:7], 0, v2
	v_or_b32_e32 v2, 63, v0
	v_cmp_lt_u32_e64 s[18:19], 31, v55
	v_cmp_eq_u32_e64 s[4:5], v2, v0
	s_barrier
	s_cbranch_scc0 .LBB434_99
; %bb.69:
	v_mov_b32_dpp v2, v57 row_shr:1 row_mask:0xf bank_mask:0xf
	v_cndmask_b32_e64 v2, v2, 0, s[14:15]
	v_add_u32_e32 v2, v2, v57
	s_nop 1
	v_mov_b32_dpp v3, v2 row_shr:2 row_mask:0xf bank_mask:0xf
	v_cndmask_b32_e64 v3, 0, v3, s[12:13]
	v_add_u32_e32 v2, v2, v3
	s_nop 1
	;; [unrolled: 4-line block ×4, first 2 shown]
	v_mov_b32_dpp v3, v2 row_bcast:15 row_mask:0xf bank_mask:0xf
	v_cndmask_b32_e64 v3, v3, 0, s[6:7]
	v_add_u32_e32 v2, v2, v3
	s_nop 1
	v_mov_b32_dpp v3, v2 row_bcast:31 row_mask:0xf bank_mask:0xf
	v_cndmask_b32_e64 v3, 0, v3, s[18:19]
	v_add_u32_e32 v2, v2, v3
	s_and_saveexec_b64 s[16:17], s[4:5]
	s_cbranch_execz .LBB434_71
; %bb.70:
	v_lshlrev_b32_e32 v3, 2, v56
	ds_write_b32 v3, v2
.LBB434_71:
	s_or_b64 exec, exec, s[16:17]
	v_cmp_gt_u32_e32 vcc, 8, v0
	s_waitcnt lgkmcnt(0)
	s_barrier
	s_and_saveexec_b64 s[16:17], vcc
	s_cbranch_execz .LBB434_73
; %bb.72:
	ds_read_b32 v3, v22
	v_and_b32_e32 v4, 7, v55
	v_cmp_ne_u32_e32 vcc, 0, v4
	s_waitcnt lgkmcnt(0)
	v_mov_b32_dpp v5, v3 row_shr:1 row_mask:0xf bank_mask:0xf
	v_cndmask_b32_e32 v5, 0, v5, vcc
	v_add_u32_e32 v3, v5, v3
	v_cmp_lt_u32_e32 vcc, 1, v4
	s_nop 0
	v_mov_b32_dpp v5, v3 row_shr:2 row_mask:0xf bank_mask:0xf
	v_cndmask_b32_e32 v5, 0, v5, vcc
	v_add_u32_e32 v3, v3, v5
	v_cmp_lt_u32_e32 vcc, 3, v4
	s_nop 0
	v_mov_b32_dpp v5, v3 row_shr:4 row_mask:0xf bank_mask:0xf
	v_cndmask_b32_e32 v4, 0, v5, vcc
	v_add_u32_e32 v3, v3, v4
	ds_write_b32 v22, v3
.LBB434_73:
	s_or_b64 exec, exec, s[16:17]
	v_cmp_gt_u32_e32 vcc, 64, v0
	v_cmp_lt_u32_e64 s[16:17], 63, v0
	s_waitcnt lgkmcnt(0)
	s_barrier
	s_waitcnt lgkmcnt(0)
                                        ; implicit-def: $vgpr12
	s_and_saveexec_b64 s[36:37], s[16:17]
	s_cbranch_execz .LBB434_75
; %bb.74:
	v_lshl_add_u32 v3, v56, 2, -4
	ds_read_b32 v12, v3
	s_waitcnt lgkmcnt(0)
	v_add_u32_e32 v2, v12, v2
.LBB434_75:
	s_or_b64 exec, exec, s[36:37]
	v_add_u32_e32 v3, -1, v55
	v_and_b32_e32 v4, 64, v55
	v_cmp_lt_i32_e64 s[16:17], v3, v4
	s_nop 1
	v_cndmask_b32_e64 v3, v3, v55, s[16:17]
	v_lshlrev_b32_e32 v3, 2, v3
	ds_bpermute_b32 v13, v3, v2
	v_cmp_eq_u32_e64 s[16:17], 0, v55
	s_and_saveexec_b64 s[36:37], vcc
	s_cbranch_execz .LBB434_98
; %bb.76:
	v_mov_b32_e32 v11, 0
	ds_read_b32 v2, v11 offset:28
	s_and_saveexec_b64 s[38:39], s[16:17]
	s_cbranch_execz .LBB434_78
; %bb.77:
	s_add_i32 s40, s2, 64
	s_mov_b32 s41, 0
	s_lshl_b64 s[40:41], s[40:41], 3
	s_add_u32 s40, s34, s40
	v_mov_b32_e32 v3, 1
	s_addc_u32 s41, s35, s41
	s_waitcnt lgkmcnt(0)
	global_store_dwordx2 v11, v[2:3], s[40:41] sc1
.LBB434_78:
	s_or_b64 exec, exec, s[38:39]
	v_xad_u32 v4, v55, -1, s2
	v_add_u32_e32 v10, 64, v4
	v_lshl_add_u64 v[6:7], v[10:11], 3, s[34:35]
	global_load_dwordx2 v[8:9], v[6:7], off sc1
	s_waitcnt vmcnt(0)
	v_cmp_eq_u16_sdwa s[40:41], v9, v11 src0_sel:BYTE_0 src1_sel:DWORD
	s_and_saveexec_b64 s[38:39], s[40:41]
	s_cbranch_execz .LBB434_84
; %bb.79:
	s_mov_b32 s3, 1
	s_mov_b64 s[40:41], 0
	v_mov_b32_e32 v3, 0
.LBB434_80:                             ; =>This Loop Header: Depth=1
                                        ;     Child Loop BB434_81 Depth 2
	s_max_u32 s42, s3, 1
.LBB434_81:                             ;   Parent Loop BB434_80 Depth=1
                                        ; =>  This Inner Loop Header: Depth=2
	s_add_i32 s42, s42, -1
	s_cmp_eq_u32 s42, 0
	s_sleep 1
	s_cbranch_scc0 .LBB434_81
; %bb.82:                               ;   in Loop: Header=BB434_80 Depth=1
	global_load_dwordx2 v[8:9], v[6:7], off sc1
	s_cmp_lt_u32 s3, 32
	s_cselect_b64 s[42:43], -1, 0
	s_cmp_lg_u64 s[42:43], 0
	s_addc_u32 s3, s3, 0
	s_waitcnt vmcnt(0)
	v_cmp_ne_u16_sdwa s[42:43], v9, v3 src0_sel:BYTE_0 src1_sel:DWORD
	s_or_b64 s[40:41], s[42:43], s[40:41]
	s_andn2_b64 exec, exec, s[40:41]
	s_cbranch_execnz .LBB434_80
; %bb.83:
	s_or_b64 exec, exec, s[40:41]
.LBB434_84:
	s_or_b64 exec, exec, s[38:39]
	v_and_b32_e32 v15, 63, v55
	v_mov_b32_e32 v14, 2
	v_cmp_ne_u32_e32 vcc, 63, v15
	v_cmp_eq_u16_sdwa s[38:39], v9, v14 src0_sel:BYTE_0 src1_sel:DWORD
	v_lshlrev_b64 v[6:7], v55, -1
	v_addc_co_u32_e32 v10, vcc, 0, v55, vcc
	v_and_b32_e32 v3, s39, v7
	v_lshlrev_b32_e32 v16, 2, v10
	v_or_b32_e32 v3, 0x80000000, v3
	ds_bpermute_b32 v10, v16, v8
	v_and_b32_e32 v5, s38, v6
	v_ffbl_b32_e32 v3, v3
	v_add_u32_e32 v3, 32, v3
	v_ffbl_b32_e32 v5, v5
	v_min_u32_e32 v3, v5, v3
	v_cmp_lt_u32_e32 vcc, v15, v3
	v_add_u32_e32 v38, 2, v15
	v_add_u32_e32 v40, 4, v15
	s_waitcnt lgkmcnt(0)
	v_cndmask_b32_e32 v5, 0, v10, vcc
	v_cmp_gt_u32_e32 vcc, 62, v15
	v_add_u32_e32 v5, v5, v8
	v_add_u32_e32 v59, 8, v15
	v_cndmask_b32_e64 v8, 0, 1, vcc
	v_lshlrev_b32_e32 v8, 1, v8
	v_add_lshl_u32 v17, v8, v55, 2
	ds_bpermute_b32 v8, v17, v5
	v_cmp_le_u32_e32 vcc, v38, v3
	v_add_u32_e32 v61, 16, v15
	v_add_u32_e32 v63, 32, v15
	s_waitcnt lgkmcnt(0)
	v_cndmask_b32_e32 v8, 0, v8, vcc
	v_cmp_gt_u32_e32 vcc, 60, v15
	v_add_u32_e32 v5, v5, v8
	s_nop 0
	v_cndmask_b32_e64 v8, 0, 1, vcc
	v_lshlrev_b32_e32 v8, 2, v8
	v_add_lshl_u32 v39, v8, v55, 2
	ds_bpermute_b32 v8, v39, v5
	v_cmp_le_u32_e32 vcc, v40, v3
	s_waitcnt lgkmcnt(0)
	s_nop 0
	v_cndmask_b32_e32 v8, 0, v8, vcc
	v_cmp_gt_u32_e32 vcc, 56, v15
	v_add_u32_e32 v5, v5, v8
	s_nop 0
	v_cndmask_b32_e64 v8, 0, 1, vcc
	v_lshlrev_b32_e32 v8, 3, v8
	v_add_lshl_u32 v58, v8, v55, 2
	ds_bpermute_b32 v8, v58, v5
	v_cmp_le_u32_e32 vcc, v59, v3
	s_waitcnt lgkmcnt(0)
	s_nop 0
	;; [unrolled: 11-line block ×4, first 2 shown]
	v_cndmask_b32_e32 v3, 0, v8, vcc
	v_add_u32_e32 v8, v5, v3
	v_mov_b32_e32 v5, 0
	s_branch .LBB434_86
.LBB434_85:                             ;   in Loop: Header=BB434_86 Depth=1
	s_or_b64 exec, exec, s[38:39]
	v_cmp_eq_u16_sdwa s[38:39], v9, v14 src0_sel:BYTE_0 src1_sel:DWORD
	ds_bpermute_b32 v64, v16, v8
	v_subrev_u32_e32 v4, 64, v4
	v_and_b32_e32 v10, s39, v7
	v_or_b32_e32 v10, 0x80000000, v10
	v_and_b32_e32 v11, s38, v6
	v_ffbl_b32_e32 v10, v10
	v_add_u32_e32 v10, 32, v10
	v_ffbl_b32_e32 v11, v11
	v_min_u32_e32 v10, v11, v10
	v_cmp_lt_u32_e32 vcc, v15, v10
	s_waitcnt lgkmcnt(0)
	s_nop 0
	v_cndmask_b32_e32 v11, 0, v64, vcc
	v_add_u32_e32 v8, v11, v8
	ds_bpermute_b32 v11, v17, v8
	v_cmp_le_u32_e32 vcc, v38, v10
	s_waitcnt lgkmcnt(0)
	s_nop 0
	v_cndmask_b32_e32 v11, 0, v11, vcc
	v_add_u32_e32 v8, v8, v11
	ds_bpermute_b32 v11, v39, v8
	v_cmp_le_u32_e32 vcc, v40, v10
	;; [unrolled: 6-line block ×5, first 2 shown]
	s_waitcnt lgkmcnt(0)
	s_nop 0
	v_cndmask_b32_e32 v10, 0, v11, vcc
	v_add3_u32 v8, v10, v3, v8
.LBB434_86:                             ; =>This Loop Header: Depth=1
                                        ;     Child Loop BB434_89 Depth 2
                                        ;       Child Loop BB434_90 Depth 3
	v_cmp_ne_u16_sdwa s[38:39], v9, v14 src0_sel:BYTE_0 src1_sel:DWORD
	s_nop 1
	v_cndmask_b32_e64 v3, 0, 1, s[38:39]
	;;#ASMSTART
	;;#ASMEND
	s_nop 0
	v_cmp_ne_u32_e32 vcc, 0, v3
	s_cmp_lg_u64 vcc, exec
	v_mov_b32_e32 v3, v8
	s_cbranch_scc1 .LBB434_93
; %bb.87:                               ;   in Loop: Header=BB434_86 Depth=1
	v_lshl_add_u64 v[10:11], v[4:5], 3, s[34:35]
	global_load_dwordx2 v[8:9], v[10:11], off sc1
	s_waitcnt vmcnt(0)
	v_cmp_eq_u16_sdwa s[40:41], v9, v5 src0_sel:BYTE_0 src1_sel:DWORD
	s_and_saveexec_b64 s[38:39], s[40:41]
	s_cbranch_execz .LBB434_85
; %bb.88:                               ;   in Loop: Header=BB434_86 Depth=1
	s_mov_b32 s3, 1
	s_mov_b64 s[40:41], 0
.LBB434_89:                             ;   Parent Loop BB434_86 Depth=1
                                        ; =>  This Loop Header: Depth=2
                                        ;       Child Loop BB434_90 Depth 3
	s_max_u32 s42, s3, 1
.LBB434_90:                             ;   Parent Loop BB434_86 Depth=1
                                        ;     Parent Loop BB434_89 Depth=2
                                        ; =>    This Inner Loop Header: Depth=3
	s_add_i32 s42, s42, -1
	s_cmp_eq_u32 s42, 0
	s_sleep 1
	s_cbranch_scc0 .LBB434_90
; %bb.91:                               ;   in Loop: Header=BB434_89 Depth=2
	global_load_dwordx2 v[8:9], v[10:11], off sc1
	s_cmp_lt_u32 s3, 32
	s_cselect_b64 s[42:43], -1, 0
	s_cmp_lg_u64 s[42:43], 0
	s_addc_u32 s3, s3, 0
	s_waitcnt vmcnt(0)
	v_cmp_ne_u16_sdwa s[42:43], v9, v5 src0_sel:BYTE_0 src1_sel:DWORD
	s_or_b64 s[40:41], s[42:43], s[40:41]
	s_andn2_b64 exec, exec, s[40:41]
	s_cbranch_execnz .LBB434_89
; %bb.92:                               ;   in Loop: Header=BB434_86 Depth=1
	s_or_b64 exec, exec, s[40:41]
	s_branch .LBB434_85
.LBB434_93:                             ;   in Loop: Header=BB434_86 Depth=1
                                        ; implicit-def: $vgpr8
                                        ; implicit-def: $vgpr9
	s_cbranch_execz .LBB434_86
; %bb.94:
	s_and_saveexec_b64 s[38:39], s[16:17]
	s_cbranch_execz .LBB434_96
; %bb.95:
	s_add_i32 s2, s2, 64
	s_mov_b32 s3, 0
	s_lshl_b64 s[2:3], s[2:3], 3
	s_add_u32 s2, s34, s2
	v_add_u32_e32 v4, v3, v2
	v_mov_b32_e32 v5, 2
	s_addc_u32 s3, s35, s3
	v_mov_b32_e32 v6, 0
	global_store_dwordx2 v6, v[4:5], s[2:3] sc1
	ds_write_b64 v6, v[2:3] offset:30720
.LBB434_96:
	s_or_b64 exec, exec, s[38:39]
	v_cmp_eq_u32_e32 vcc, 0, v0
	s_and_b64 exec, exec, vcc
	s_cbranch_execz .LBB434_98
; %bb.97:
	v_mov_b32_e32 v2, 0
	ds_write_b32 v2, v3 offset:28
.LBB434_98:
	s_or_b64 exec, exec, s[36:37]
	v_mov_b32_e32 v14, 0
	s_waitcnt lgkmcnt(0)
	s_barrier
	ds_read_b32 v2, v14 offset:28
	v_cndmask_b32_e64 v3, v13, v12, s[16:17]
	v_cmp_ne_u32_e32 vcc, 0, v0
	s_waitcnt lgkmcnt(0)
	s_barrier
	v_cndmask_b32_e32 v3, 0, v3, vcc
	v_add_u32_e32 v2, v2, v3
	v_add_u32_e32 v3, v2, v52
	;; [unrolled: 1-line block ×10, first 2 shown]
	ds_read_b64 v[38:39], v14 offset:30720
	v_add_u32_e32 v12, v11, v47
	v_add_u32_e32 v13, v12, v48
	;; [unrolled: 1-line block ×5, first 2 shown]
	s_waitcnt lgkmcnt(0)
	v_mov_b32_e32 v40, v39
	s_branch .LBB434_109
.LBB434_99:
                                        ; implicit-def: $vgpr40
                                        ; implicit-def: $vgpr38
                                        ; implicit-def: $vgpr2_vgpr3_vgpr4_vgpr5_vgpr6_vgpr7_vgpr8_vgpr9_vgpr10_vgpr11_vgpr12_vgpr13_vgpr14_vgpr15_vgpr16_vgpr17
	s_cbranch_execz .LBB434_109
; %bb.100:
	s_nop 0
	v_mov_b32_dpp v2, v57 row_shr:1 row_mask:0xf bank_mask:0xf
	v_cndmask_b32_e64 v2, v2, 0, s[14:15]
	v_add_u32_e32 v2, v2, v57
	s_nop 1
	v_mov_b32_dpp v3, v2 row_shr:2 row_mask:0xf bank_mask:0xf
	v_cndmask_b32_e64 v3, 0, v3, s[12:13]
	v_add_u32_e32 v2, v2, v3
	;; [unrolled: 4-line block ×4, first 2 shown]
	s_nop 1
	v_mov_b32_dpp v3, v2 row_bcast:15 row_mask:0xf bank_mask:0xf
	v_cndmask_b32_e64 v3, v3, 0, s[6:7]
	v_add_u32_e32 v2, v2, v3
	s_nop 1
	v_mov_b32_dpp v3, v2 row_bcast:31 row_mask:0xf bank_mask:0xf
	v_cndmask_b32_e64 v3, 0, v3, s[18:19]
	v_add_u32_e32 v2, v2, v3
	s_and_saveexec_b64 s[2:3], s[4:5]
	s_cbranch_execz .LBB434_102
; %bb.101:
	v_lshlrev_b32_e32 v3, 2, v56
	ds_write_b32 v3, v2
.LBB434_102:
	s_or_b64 exec, exec, s[2:3]
	v_cmp_gt_u32_e32 vcc, 8, v0
	s_waitcnt lgkmcnt(0)
	s_barrier
	s_and_saveexec_b64 s[2:3], vcc
	s_cbranch_execz .LBB434_104
; %bb.103:
	v_mad_i32_i24 v3, v0, -11, v21
	ds_read_b32 v4, v3
	v_and_b32_e32 v5, 7, v55
	v_cmp_ne_u32_e32 vcc, 0, v5
	s_waitcnt lgkmcnt(0)
	v_mov_b32_dpp v6, v4 row_shr:1 row_mask:0xf bank_mask:0xf
	v_cndmask_b32_e32 v6, 0, v6, vcc
	v_add_u32_e32 v4, v6, v4
	v_cmp_lt_u32_e32 vcc, 1, v5
	s_nop 0
	v_mov_b32_dpp v6, v4 row_shr:2 row_mask:0xf bank_mask:0xf
	v_cndmask_b32_e32 v6, 0, v6, vcc
	v_add_u32_e32 v4, v4, v6
	v_cmp_lt_u32_e32 vcc, 3, v5
	s_nop 0
	v_mov_b32_dpp v6, v4 row_shr:4 row_mask:0xf bank_mask:0xf
	v_cndmask_b32_e32 v5, 0, v6, vcc
	v_add_u32_e32 v4, v4, v5
	ds_write_b32 v3, v4
.LBB434_104:
	s_or_b64 exec, exec, s[2:3]
	v_cmp_lt_u32_e32 vcc, 63, v0
	v_mov_b32_e32 v4, 0
	v_mov_b32_e32 v3, 0
	s_waitcnt lgkmcnt(0)
	s_barrier
	s_and_saveexec_b64 s[2:3], vcc
	s_cbranch_execz .LBB434_106
; %bb.105:
	v_lshl_add_u32 v3, v56, 2, -4
	ds_read_b32 v3, v3
.LBB434_106:
	s_or_b64 exec, exec, s[2:3]
	v_add_u32_e32 v5, -1, v55
	v_and_b32_e32 v6, 64, v55
	v_cmp_lt_i32_e32 vcc, v5, v6
	s_waitcnt lgkmcnt(0)
	v_add_u32_e32 v2, v3, v2
	ds_read_b32 v38, v4 offset:28
	v_cndmask_b32_e32 v5, v5, v55, vcc
	v_lshlrev_b32_e32 v5, 2, v5
	ds_bpermute_b32 v2, v5, v2
	v_cmp_eq_u32_e32 vcc, 0, v0
	s_and_saveexec_b64 s[2:3], vcc
	s_cbranch_execz .LBB434_108
; %bb.107:
	v_mov_b32_e32 v4, 0
	v_mov_b32_e32 v39, 2
	s_waitcnt lgkmcnt(1)
	global_store_dwordx2 v4, v[38:39], s[34:35] offset:512 sc1
.LBB434_108:
	s_or_b64 exec, exec, s[2:3]
	v_cmp_eq_u32_e64 s[2:3], 0, v55
	v_mov_b32_e32 v40, 0
	s_waitcnt lgkmcnt(0)
	v_cndmask_b32_e64 v2, v2, v3, s[2:3]
	v_cndmask_b32_e64 v2, v2, 0, vcc
	v_add_u32_e32 v3, v2, v52
	v_add_u32_e32 v4, v3, v53
	;; [unrolled: 1-line block ×14, first 2 shown]
	s_barrier
.LBB434_109:
	v_add_u32_e32 v21, v38, v21
	v_sub_u32_e32 v2, v2, v40
	v_and_b32_e32 v48, 1, v18
	v_sub_u32_e32 v47, v21, v2
	v_cmp_eq_u32_e32 vcc, 1, v48
	v_lshrrev_b32_e32 v46, 8, v18
	v_lshrrev_b32_e32 v39, 8, v19
	v_cndmask_b32_e32 v2, v47, v2, vcc
	v_lshlrev_b32_e32 v2, 2, v2
	ds_write_b32 v2, v36
	v_sub_u32_e32 v2, v3, v40
	v_sub_u32_e32 v3, v21, v2
	v_and_b32_e32 v36, 1, v46
	v_add_u32_e32 v3, 1, v3
	v_cmp_eq_u32_e32 vcc, 1, v36
	v_lshrrev_b32_e32 v17, 8, v20
	s_load_dwordx4 s[0:3], s[0:1], 0x30
	v_cndmask_b32_e32 v2, v3, v2, vcc
	v_lshlrev_b32_e32 v2, 2, v2
	ds_write_b32 v2, v37
	v_sub_u32_e32 v2, v4, v40
	v_mov_b32_e32 v4, 1
	v_sub_u32_e32 v3, v21, v2
	v_and_b32_sdwa v18, v4, v18 dst_sel:DWORD dst_unused:UNUSED_PAD src0_sel:DWORD src1_sel:WORD_1
	v_add_u32_e32 v3, 2, v3
	v_cmp_eq_u32_e32 vcc, 1, v18
	v_or_b32_e32 v37, 0x200, v0
	v_or_b32_e32 v36, 0x400, v0
	v_cndmask_b32_e32 v2, v3, v2, vcc
	v_lshlrev_b32_e32 v2, 2, v2
	ds_write_b32 v2, v34
	v_sub_u32_e32 v2, v5, v40
	v_sub_u32_e32 v3, v21, v2
	v_and_b32_e32 v5, 1, v45
	v_add_u32_e32 v3, 3, v3
	v_cmp_eq_u32_e32 vcc, 1, v5
	v_and_b32_e32 v5, 1, v19
	v_or_b32_e32 v34, 0x800, v0
	v_cndmask_b32_e32 v2, v3, v2, vcc
	v_lshlrev_b32_e32 v2, 2, v2
	ds_write_b32 v2, v35
	v_sub_u32_e32 v2, v6, v40
	v_sub_u32_e32 v3, v21, v2
	v_add_u32_e32 v3, 4, v3
	v_cmp_eq_u32_e32 vcc, 1, v5
	v_and_b32_e32 v5, 1, v39
	v_or_b32_e32 v35, 0x600, v0
	v_cndmask_b32_e32 v2, v3, v2, vcc
	v_lshlrev_b32_e32 v2, 2, v2
	ds_write_b32 v2, v32
	v_sub_u32_e32 v2, v7, v40
	v_sub_u32_e32 v3, v21, v2
	v_add_u32_e32 v3, 5, v3
	v_cmp_eq_u32_e32 vcc, 1, v5
	v_and_b32_sdwa v5, v4, v19 dst_sel:DWORD dst_unused:UNUSED_PAD src0_sel:DWORD src1_sel:WORD_1
	v_and_b32_sdwa v4, v4, v20 dst_sel:DWORD dst_unused:UNUSED_PAD src0_sel:DWORD src1_sel:WORD_1
	v_cndmask_b32_e32 v2, v3, v2, vcc
	v_lshlrev_b32_e32 v2, 2, v2
	ds_write_b32 v2, v33
	v_sub_u32_e32 v2, v8, v40
	v_sub_u32_e32 v3, v21, v2
	v_add_u32_e32 v3, 6, v3
	v_cmp_eq_u32_e32 vcc, 1, v5
	v_and_b32_e32 v5, 1, v44
	v_mov_b32_e32 v7, s27
	v_cndmask_b32_e32 v2, v3, v2, vcc
	v_lshlrev_b32_e32 v2, 2, v2
	ds_write_b32 v2, v30
	v_sub_u32_e32 v2, v9, v40
	v_sub_u32_e32 v3, v21, v2
	v_add_u32_e32 v3, 7, v3
	v_cmp_eq_u32_e32 vcc, 1, v5
	v_and_b32_e32 v5, 1, v20
	v_or_b32_e32 v33, 0xa00, v0
	v_cndmask_b32_e32 v2, v3, v2, vcc
	v_lshlrev_b32_e32 v2, 2, v2
	ds_write_b32 v2, v31
	v_sub_u32_e32 v2, v10, v40
	v_sub_u32_e32 v3, v21, v2
	v_add_u32_e32 v3, 8, v3
	v_cmp_eq_u32_e32 vcc, 1, v5
	v_and_b32_e32 v5, 1, v17
	v_or_b32_e32 v32, 0xc00, v0
	v_cndmask_b32_e32 v2, v3, v2, vcc
	v_lshlrev_b32_e32 v2, 2, v2
	ds_write_b32 v2, v28
	v_sub_u32_e32 v2, v11, v40
	v_sub_u32_e32 v3, v21, v2
	v_add_u32_e32 v3, 9, v3
	v_cmp_eq_u32_e32 vcc, 1, v5
	v_or_b32_e32 v31, 0xe00, v0
	v_or_b32_e32 v30, 0x1000, v0
	v_cndmask_b32_e32 v2, v3, v2, vcc
	v_lshlrev_b32_e32 v2, 2, v2
	ds_write_b32 v2, v29
	v_sub_u32_e32 v2, v12, v40
	v_sub_u32_e32 v3, v21, v2
	v_add_u32_e32 v3, 10, v3
	v_cmp_eq_u32_e32 vcc, 1, v4
	v_and_b32_e32 v4, 1, v42
	v_or_b32_e32 v29, 0x1200, v0
	v_cndmask_b32_e32 v2, v3, v2, vcc
	v_lshlrev_b32_e32 v2, 2, v2
	ds_write_b32 v2, v26
	v_sub_u32_e32 v2, v13, v40
	v_sub_u32_e32 v3, v21, v2
	v_add_u32_e32 v3, 11, v3
	v_cmp_eq_u32_e32 vcc, 1, v4
	v_or_b32_e32 v28, 0x1400, v0
	v_or_b32_e32 v26, 0x1800, v0
	v_cndmask_b32_e32 v2, v3, v2, vcc
	v_lshlrev_b32_e32 v2, 2, v2
	ds_write_b32 v2, v27
	v_sub_u32_e32 v2, v14, v40
	v_sub_u32_e32 v3, v21, v2
	v_add_u32_e32 v3, 12, v3
	v_cmp_eq_u32_e32 vcc, 1, v43
	v_or_b32_e32 v27, 0x1600, v0
	s_nop 0
	v_cndmask_b32_e32 v2, v3, v2, vcc
	v_lshlrev_b32_e32 v2, 2, v2
	ds_write_b32 v2, v24
	v_sub_u32_e32 v2, v15, v40
	v_sub_u32_e32 v3, v21, v2
	v_add_u32_e32 v3, 13, v3
	v_cmp_eq_u32_e32 vcc, 1, v41
	v_mov_b32_e32 v41, 0
	v_lshl_add_u64 v[8:9], s[28:29], 0, v[40:41]
	v_cndmask_b32_e32 v2, v3, v2, vcc
	v_lshlrev_b32_e32 v2, 2, v2
	ds_write_b32 v2, v25
	v_sub_u32_e32 v2, v16, v40
	v_sub_u32_e32 v3, v21, v2
	v_add_u32_e32 v3, 14, v3
	v_cmp_eq_u32_e32 vcc, 1, v23
	v_mov_b32_e32 v39, v41
	v_or_b32_e32 v25, 0x1a00, v0
	v_cndmask_b32_e32 v2, v3, v2, vcc
	v_lshlrev_b32_e32 v2, 2, v2
	ds_write_b32 v2, v1
	v_lshl_add_u64 v[2:3], v[8:9], 0, v[38:39]
	s_waitcnt lgkmcnt(0)
	s_barrier
	ds_read2st64_b32 v[20:21], v22 offset1:8
	ds_read2st64_b32 v[18:19], v22 offset0:16 offset1:24
	ds_read2st64_b32 v[16:17], v22 offset0:32 offset1:40
	;; [unrolled: 1-line block ×6, first 2 shown]
	ds_read_b32 v1, v22 offset:28672
	v_sub_co_u32_e32 v6, vcc, s26, v2
	v_lshlrev_b64 v[8:9], 2, v[8:9]
	s_nop 0
	v_subb_co_u32_e32 v7, vcc, v7, v3, vcc
	v_lshlrev_b64 v[6:7], 2, v[6:7]
	v_lshl_add_u64 v[6:7], s[2:3], 0, v[6:7]
	v_or_b32_e32 v24, 0x1c00, v0
	v_lshl_add_u64 v[6:7], v[6:7], 0, s[30:31]
	s_andn2_b64 vcc, exec, s[24:25]
	v_lshl_add_u64 v[8:9], s[0:1], 0, v[8:9]
	s_cbranch_vccnz .LBB434_111
; %bb.110:
	v_cmp_gt_u32_e32 vcc, v38, v0
	v_mov_b32_e32 v23, v41
	v_lshlrev_b32_e32 v40, 2, v36
	v_cndmask_b32_e32 v43, v7, v9, vcc
	v_cndmask_b32_e32 v42, v6, v8, vcc
	v_lshl_add_u64 v[42:43], v[42:43], 0, v[22:23]
	v_cmp_lt_u32_e32 vcc, v37, v38
	s_waitcnt lgkmcnt(7)
	global_store_dword v[42:43], v20, off
	v_cndmask_b32_e32 v43, v7, v9, vcc
	v_cndmask_b32_e32 v42, v6, v8, vcc
	v_lshl_add_u64 v[42:43], v[42:43], 0, v[22:23]
	v_cmp_lt_u32_e32 vcc, v36, v38
	global_store_dword v[42:43], v21, off offset:2048
	s_mov_b64 s[0:1], -1
	v_cndmask_b32_e32 v43, v7, v9, vcc
	v_cndmask_b32_e32 v42, v6, v8, vcc
	v_lshl_add_u64 v[42:43], v[42:43], 0, v[40:41]
	v_cmp_lt_u32_e32 vcc, v35, v38
	s_waitcnt lgkmcnt(6)
	global_store_dword v[42:43], v18, off
	v_lshlrev_b32_e32 v40, 2, v35
	v_cndmask_b32_e32 v43, v7, v9, vcc
	v_cndmask_b32_e32 v42, v6, v8, vcc
	v_lshl_add_u64 v[42:43], v[42:43], 0, v[40:41]
	v_cmp_lt_u32_e32 vcc, v34, v38
	global_store_dword v[42:43], v19, off
	v_lshlrev_b32_e32 v40, 2, v34
	v_cndmask_b32_e32 v43, v7, v9, vcc
	v_cndmask_b32_e32 v42, v6, v8, vcc
	v_lshl_add_u64 v[42:43], v[42:43], 0, v[40:41]
	v_cmp_lt_u32_e32 vcc, v33, v38
	s_waitcnt lgkmcnt(5)
	global_store_dword v[42:43], v16, off
	v_lshlrev_b32_e32 v40, 2, v33
	v_cndmask_b32_e32 v43, v7, v9, vcc
	v_cndmask_b32_e32 v42, v6, v8, vcc
	v_lshl_add_u64 v[42:43], v[42:43], 0, v[40:41]
	v_cmp_lt_u32_e32 vcc, v32, v38
	global_store_dword v[42:43], v17, off
	v_lshlrev_b32_e32 v40, 2, v32
	v_cndmask_b32_e32 v43, v7, v9, vcc
	v_cndmask_b32_e32 v42, v6, v8, vcc
	v_lshl_add_u64 v[42:43], v[42:43], 0, v[40:41]
	v_cmp_lt_u32_e32 vcc, v31, v38
	s_waitcnt lgkmcnt(4)
	global_store_dword v[42:43], v14, off
	v_lshlrev_b32_e32 v40, 2, v31
	v_cndmask_b32_e32 v43, v7, v9, vcc
	v_cndmask_b32_e32 v42, v6, v8, vcc
	v_lshl_add_u64 v[42:43], v[42:43], 0, v[40:41]
	v_cmp_lt_u32_e32 vcc, v30, v38
	global_store_dword v[42:43], v15, off
	v_lshlrev_b32_e32 v40, 2, v30
	v_cndmask_b32_e32 v43, v7, v9, vcc
	v_cndmask_b32_e32 v42, v6, v8, vcc
	v_lshl_add_u64 v[42:43], v[42:43], 0, v[40:41]
	v_cmp_lt_u32_e32 vcc, v29, v38
	s_waitcnt lgkmcnt(3)
	global_store_dword v[42:43], v12, off
	v_lshlrev_b32_e32 v40, 2, v29
	v_cndmask_b32_e32 v43, v7, v9, vcc
	v_cndmask_b32_e32 v42, v6, v8, vcc
	v_lshl_add_u64 v[42:43], v[42:43], 0, v[40:41]
	v_cmp_lt_u32_e32 vcc, v28, v38
	global_store_dword v[42:43], v13, off
	v_lshlrev_b32_e32 v40, 2, v28
	v_cndmask_b32_e32 v43, v7, v9, vcc
	v_cndmask_b32_e32 v42, v6, v8, vcc
	v_lshl_add_u64 v[42:43], v[42:43], 0, v[40:41]
	v_cmp_lt_u32_e32 vcc, v27, v38
	s_waitcnt lgkmcnt(2)
	global_store_dword v[42:43], v10, off
	v_lshlrev_b32_e32 v40, 2, v27
	v_cndmask_b32_e32 v43, v7, v9, vcc
	v_cndmask_b32_e32 v42, v6, v8, vcc
	v_lshl_add_u64 v[42:43], v[42:43], 0, v[40:41]
	v_cmp_lt_u32_e32 vcc, v26, v38
	global_store_dword v[42:43], v11, off
	v_lshlrev_b32_e32 v40, 2, v26
	v_cndmask_b32_e32 v43, v7, v9, vcc
	v_cndmask_b32_e32 v42, v6, v8, vcc
	v_lshl_add_u64 v[42:43], v[42:43], 0, v[40:41]
	v_cmp_lt_u32_e32 vcc, v25, v38
	s_waitcnt lgkmcnt(1)
	global_store_dword v[42:43], v4, off
	v_lshlrev_b32_e32 v40, 2, v25
	v_cndmask_b32_e32 v43, v7, v9, vcc
	v_cndmask_b32_e32 v42, v6, v8, vcc
	v_lshl_add_u64 v[40:41], v[42:43], 0, v[40:41]
	global_store_dword v[40:41], v5, off
	s_cbranch_execz .LBB434_112
	s_branch .LBB434_128
.LBB434_111:
	s_mov_b64 s[0:1], 0
.LBB434_112:
	v_cmp_gt_u32_e32 vcc, s33, v0
	s_and_saveexec_b64 s[0:1], vcc
	s_cbranch_execnz .LBB434_133
; %bb.113:
	s_or_b64 exec, exec, s[0:1]
	v_cmp_gt_u32_e32 vcc, s33, v37
	s_and_saveexec_b64 s[0:1], vcc
	s_cbranch_execnz .LBB434_134
.LBB434_114:
	s_or_b64 exec, exec, s[0:1]
	v_cmp_gt_u32_e32 vcc, s33, v36
	s_and_saveexec_b64 s[0:1], vcc
	s_cbranch_execnz .LBB434_135
.LBB434_115:
	s_or_b64 exec, exec, s[0:1]
	v_cmp_gt_u32_e32 vcc, s33, v35
	s_and_saveexec_b64 s[0:1], vcc
	s_cbranch_execnz .LBB434_136
.LBB434_116:
	s_or_b64 exec, exec, s[0:1]
	v_cmp_gt_u32_e32 vcc, s33, v34
	s_and_saveexec_b64 s[0:1], vcc
	s_cbranch_execnz .LBB434_137
.LBB434_117:
	s_or_b64 exec, exec, s[0:1]
	v_cmp_gt_u32_e32 vcc, s33, v33
	s_and_saveexec_b64 s[0:1], vcc
	s_cbranch_execnz .LBB434_138
.LBB434_118:
	s_or_b64 exec, exec, s[0:1]
	v_cmp_gt_u32_e32 vcc, s33, v32
	s_and_saveexec_b64 s[0:1], vcc
	s_cbranch_execnz .LBB434_139
.LBB434_119:
	s_or_b64 exec, exec, s[0:1]
	v_cmp_gt_u32_e32 vcc, s33, v31
	s_and_saveexec_b64 s[0:1], vcc
	s_cbranch_execnz .LBB434_140
.LBB434_120:
	s_or_b64 exec, exec, s[0:1]
	v_cmp_gt_u32_e32 vcc, s33, v30
	s_and_saveexec_b64 s[0:1], vcc
	s_cbranch_execnz .LBB434_141
.LBB434_121:
	s_or_b64 exec, exec, s[0:1]
	v_cmp_gt_u32_e32 vcc, s33, v29
	s_and_saveexec_b64 s[0:1], vcc
	s_cbranch_execnz .LBB434_142
.LBB434_122:
	s_or_b64 exec, exec, s[0:1]
	v_cmp_gt_u32_e32 vcc, s33, v28
	s_and_saveexec_b64 s[0:1], vcc
	s_cbranch_execnz .LBB434_143
.LBB434_123:
	s_or_b64 exec, exec, s[0:1]
	v_cmp_gt_u32_e32 vcc, s33, v27
	s_and_saveexec_b64 s[0:1], vcc
	s_cbranch_execnz .LBB434_144
.LBB434_124:
	s_or_b64 exec, exec, s[0:1]
	v_cmp_gt_u32_e32 vcc, s33, v26
	s_and_saveexec_b64 s[0:1], vcc
	s_cbranch_execnz .LBB434_145
.LBB434_125:
	s_or_b64 exec, exec, s[0:1]
	v_cmp_gt_u32_e32 vcc, s33, v25
	s_and_saveexec_b64 s[0:1], vcc
	s_cbranch_execz .LBB434_127
.LBB434_126:
	v_cmp_lt_u32_e32 vcc, v25, v38
	s_waitcnt lgkmcnt(3)
	v_lshlrev_b32_e32 v12, 2, v25
	v_mov_b32_e32 v13, 0
	s_waitcnt lgkmcnt(2)
	v_cndmask_b32_e32 v11, v7, v9, vcc
	v_cndmask_b32_e32 v10, v6, v8, vcc
	v_lshl_add_u64 v[10:11], v[10:11], 0, v[12:13]
	s_waitcnt lgkmcnt(1)
	global_store_dword v[10:11], v5, off
.LBB434_127:
	s_or_b64 exec, exec, s[0:1]
	v_cmp_gt_u32_e64 s[0:1], s33, v24
.LBB434_128:
	s_and_saveexec_b64 s[2:3], s[0:1]
	s_cbranch_execz .LBB434_130
; %bb.129:
	v_cmp_lt_u32_e32 vcc, v24, v38
	s_waitcnt lgkmcnt(1)
	s_nop 0
	v_cndmask_b32_e32 v5, v7, v9, vcc
	v_cndmask_b32_e32 v4, v6, v8, vcc
	v_lshlrev_b32_e32 v6, 2, v24
	v_mov_b32_e32 v7, 0
	v_lshl_add_u64 v[4:5], v[4:5], 0, v[6:7]
	s_waitcnt lgkmcnt(0)
	global_store_dword v[4:5], v1, off
.LBB434_130:
	s_or_b64 exec, exec, s[2:3]
	v_cmp_eq_u32_e32 vcc, 0, v0
	s_and_b64 s[0:1], vcc, s[22:23]
	s_and_saveexec_b64 s[2:3], s[0:1]
	s_cbranch_execz .LBB434_132
; %bb.131:
	v_mov_b32_e32 v0, 0
	global_store_dwordx2 v0, v[2:3], s[20:21]
.LBB434_132:
	s_endpgm
.LBB434_133:
	v_cmp_gt_u32_e32 vcc, v38, v0
	v_mov_b32_e32 v23, 0
	s_nop 0
	v_cndmask_b32_e32 v41, v7, v9, vcc
	v_cndmask_b32_e32 v40, v6, v8, vcc
	v_lshl_add_u64 v[40:41], v[40:41], 0, v[22:23]
	s_waitcnt lgkmcnt(7)
	global_store_dword v[40:41], v20, off
	s_or_b64 exec, exec, s[0:1]
	v_cmp_gt_u32_e32 vcc, s33, v37
	s_and_saveexec_b64 s[0:1], vcc
	s_cbranch_execz .LBB434_114
.LBB434_134:
	v_cmp_lt_u32_e32 vcc, v37, v38
	v_mov_b32_e32 v23, 0
	s_nop 0
	v_cndmask_b32_e32 v41, v7, v9, vcc
	v_cndmask_b32_e32 v40, v6, v8, vcc
	v_lshl_add_u64 v[22:23], v[40:41], 0, v[22:23]
	s_waitcnt lgkmcnt(7)
	global_store_dword v[22:23], v21, off offset:2048
	s_or_b64 exec, exec, s[0:1]
	v_cmp_gt_u32_e32 vcc, s33, v36
	s_and_saveexec_b64 s[0:1], vcc
	s_cbranch_execz .LBB434_115
.LBB434_135:
	v_cmp_lt_u32_e32 vcc, v36, v38
	v_lshlrev_b32_e32 v22, 2, v36
	v_mov_b32_e32 v23, 0
	s_waitcnt lgkmcnt(7)
	v_cndmask_b32_e32 v21, v7, v9, vcc
	v_cndmask_b32_e32 v20, v6, v8, vcc
	v_lshl_add_u64 v[20:21], v[20:21], 0, v[22:23]
	s_waitcnt lgkmcnt(6)
	global_store_dword v[20:21], v18, off
	s_or_b64 exec, exec, s[0:1]
	v_cmp_gt_u32_e32 vcc, s33, v35
	s_and_saveexec_b64 s[0:1], vcc
	s_cbranch_execz .LBB434_116
.LBB434_136:
	v_cmp_lt_u32_e32 vcc, v35, v38
	v_lshlrev_b32_e32 v22, 2, v35
	v_mov_b32_e32 v23, 0
	s_waitcnt lgkmcnt(7)
	v_cndmask_b32_e32 v21, v7, v9, vcc
	v_cndmask_b32_e32 v20, v6, v8, vcc
	v_lshl_add_u64 v[20:21], v[20:21], 0, v[22:23]
	s_waitcnt lgkmcnt(6)
	global_store_dword v[20:21], v19, off
	s_or_b64 exec, exec, s[0:1]
	v_cmp_gt_u32_e32 vcc, s33, v34
	s_and_saveexec_b64 s[0:1], vcc
	s_cbranch_execz .LBB434_117
.LBB434_137:
	v_cmp_lt_u32_e32 vcc, v34, v38
	s_waitcnt lgkmcnt(7)
	v_lshlrev_b32_e32 v20, 2, v34
	v_mov_b32_e32 v21, 0
	s_waitcnt lgkmcnt(6)
	v_cndmask_b32_e32 v19, v7, v9, vcc
	v_cndmask_b32_e32 v18, v6, v8, vcc
	v_lshl_add_u64 v[18:19], v[18:19], 0, v[20:21]
	s_waitcnt lgkmcnt(5)
	global_store_dword v[18:19], v16, off
	s_or_b64 exec, exec, s[0:1]
	v_cmp_gt_u32_e32 vcc, s33, v33
	s_and_saveexec_b64 s[0:1], vcc
	s_cbranch_execz .LBB434_118
.LBB434_138:
	v_cmp_lt_u32_e32 vcc, v33, v38
	s_waitcnt lgkmcnt(7)
	v_lshlrev_b32_e32 v20, 2, v33
	v_mov_b32_e32 v21, 0
	s_waitcnt lgkmcnt(6)
	v_cndmask_b32_e32 v19, v7, v9, vcc
	v_cndmask_b32_e32 v18, v6, v8, vcc
	v_lshl_add_u64 v[18:19], v[18:19], 0, v[20:21]
	s_waitcnt lgkmcnt(5)
	global_store_dword v[18:19], v17, off
	s_or_b64 exec, exec, s[0:1]
	v_cmp_gt_u32_e32 vcc, s33, v32
	s_and_saveexec_b64 s[0:1], vcc
	s_cbranch_execz .LBB434_119
.LBB434_139:
	v_cmp_lt_u32_e32 vcc, v32, v38
	s_waitcnt lgkmcnt(6)
	v_lshlrev_b32_e32 v18, 2, v32
	v_mov_b32_e32 v19, 0
	s_waitcnt lgkmcnt(5)
	v_cndmask_b32_e32 v17, v7, v9, vcc
	v_cndmask_b32_e32 v16, v6, v8, vcc
	v_lshl_add_u64 v[16:17], v[16:17], 0, v[18:19]
	s_waitcnt lgkmcnt(4)
	global_store_dword v[16:17], v14, off
	s_or_b64 exec, exec, s[0:1]
	v_cmp_gt_u32_e32 vcc, s33, v31
	s_and_saveexec_b64 s[0:1], vcc
	s_cbranch_execz .LBB434_120
.LBB434_140:
	v_cmp_lt_u32_e32 vcc, v31, v38
	s_waitcnt lgkmcnt(6)
	v_lshlrev_b32_e32 v18, 2, v31
	v_mov_b32_e32 v19, 0
	s_waitcnt lgkmcnt(5)
	v_cndmask_b32_e32 v17, v7, v9, vcc
	v_cndmask_b32_e32 v16, v6, v8, vcc
	v_lshl_add_u64 v[16:17], v[16:17], 0, v[18:19]
	s_waitcnt lgkmcnt(4)
	global_store_dword v[16:17], v15, off
	s_or_b64 exec, exec, s[0:1]
	v_cmp_gt_u32_e32 vcc, s33, v30
	s_and_saveexec_b64 s[0:1], vcc
	s_cbranch_execz .LBB434_121
.LBB434_141:
	v_cmp_lt_u32_e32 vcc, v30, v38
	s_waitcnt lgkmcnt(5)
	v_lshlrev_b32_e32 v16, 2, v30
	v_mov_b32_e32 v17, 0
	s_waitcnt lgkmcnt(4)
	v_cndmask_b32_e32 v15, v7, v9, vcc
	v_cndmask_b32_e32 v14, v6, v8, vcc
	v_lshl_add_u64 v[14:15], v[14:15], 0, v[16:17]
	s_waitcnt lgkmcnt(3)
	global_store_dword v[14:15], v12, off
	s_or_b64 exec, exec, s[0:1]
	v_cmp_gt_u32_e32 vcc, s33, v29
	s_and_saveexec_b64 s[0:1], vcc
	s_cbranch_execz .LBB434_122
.LBB434_142:
	v_cmp_lt_u32_e32 vcc, v29, v38
	s_waitcnt lgkmcnt(5)
	v_lshlrev_b32_e32 v16, 2, v29
	v_mov_b32_e32 v17, 0
	s_waitcnt lgkmcnt(4)
	v_cndmask_b32_e32 v15, v7, v9, vcc
	v_cndmask_b32_e32 v14, v6, v8, vcc
	v_lshl_add_u64 v[14:15], v[14:15], 0, v[16:17]
	s_waitcnt lgkmcnt(3)
	global_store_dword v[14:15], v13, off
	s_or_b64 exec, exec, s[0:1]
	v_cmp_gt_u32_e32 vcc, s33, v28
	s_and_saveexec_b64 s[0:1], vcc
	s_cbranch_execz .LBB434_123
.LBB434_143:
	v_cmp_lt_u32_e32 vcc, v28, v38
	s_waitcnt lgkmcnt(4)
	v_lshlrev_b32_e32 v14, 2, v28
	v_mov_b32_e32 v15, 0
	s_waitcnt lgkmcnt(3)
	v_cndmask_b32_e32 v13, v7, v9, vcc
	v_cndmask_b32_e32 v12, v6, v8, vcc
	v_lshl_add_u64 v[12:13], v[12:13], 0, v[14:15]
	s_waitcnt lgkmcnt(2)
	global_store_dword v[12:13], v10, off
	s_or_b64 exec, exec, s[0:1]
	v_cmp_gt_u32_e32 vcc, s33, v27
	s_and_saveexec_b64 s[0:1], vcc
	s_cbranch_execz .LBB434_124
.LBB434_144:
	v_cmp_lt_u32_e32 vcc, v27, v38
	s_waitcnt lgkmcnt(4)
	v_lshlrev_b32_e32 v14, 2, v27
	v_mov_b32_e32 v15, 0
	s_waitcnt lgkmcnt(3)
	v_cndmask_b32_e32 v13, v7, v9, vcc
	v_cndmask_b32_e32 v12, v6, v8, vcc
	v_lshl_add_u64 v[12:13], v[12:13], 0, v[14:15]
	s_waitcnt lgkmcnt(2)
	global_store_dword v[12:13], v11, off
	s_or_b64 exec, exec, s[0:1]
	v_cmp_gt_u32_e32 vcc, s33, v26
	s_and_saveexec_b64 s[0:1], vcc
	s_cbranch_execz .LBB434_125
.LBB434_145:
	v_cmp_lt_u32_e32 vcc, v26, v38
	s_waitcnt lgkmcnt(3)
	v_lshlrev_b32_e32 v12, 2, v26
	v_mov_b32_e32 v13, 0
	s_waitcnt lgkmcnt(2)
	v_cndmask_b32_e32 v11, v7, v9, vcc
	v_cndmask_b32_e32 v10, v6, v8, vcc
	v_lshl_add_u64 v[10:11], v[10:11], 0, v[12:13]
	s_waitcnt lgkmcnt(1)
	global_store_dword v[10:11], v4, off
	s_or_b64 exec, exec, s[0:1]
	v_cmp_gt_u32_e32 vcc, s33, v25
	s_and_saveexec_b64 s[0:1], vcc
	s_cbranch_execnz .LBB434_126
	s_branch .LBB434_127
	.section	.rodata,"a",@progbits
	.p2align	6, 0x0
	.amdhsa_kernel _ZN7rocprim17ROCPRIM_400000_NS6detail17trampoline_kernelINS0_14default_configENS1_25partition_config_selectorILNS1_17partition_subalgoE1EiNS0_10empty_typeEbEEZZNS1_14partition_implILS5_1ELb0ES3_jN6thrust23THRUST_200600_302600_NS6detail15normal_iteratorINSA_10device_ptrIiEEEEPS6_NSA_18transform_iteratorI7is_evenIiESF_NSA_11use_defaultESK_EENS0_5tupleIJSF_SF_EEENSM_IJSG_SG_EEES6_PlJS6_EEE10hipError_tPvRmT3_T4_T5_T6_T7_T9_mT8_P12ihipStream_tbDpT10_ENKUlT_T0_E_clISt17integral_constantIbLb1EES18_IbLb0EEEEDaS14_S15_EUlS14_E_NS1_11comp_targetILNS1_3genE5ELNS1_11target_archE942ELNS1_3gpuE9ELNS1_3repE0EEENS1_30default_config_static_selectorELNS0_4arch9wavefront6targetE1EEEvT1_
		.amdhsa_group_segment_fixed_size 30728
		.amdhsa_private_segment_fixed_size 0
		.amdhsa_kernarg_size 128
		.amdhsa_user_sgpr_count 2
		.amdhsa_user_sgpr_dispatch_ptr 0
		.amdhsa_user_sgpr_queue_ptr 0
		.amdhsa_user_sgpr_kernarg_segment_ptr 1
		.amdhsa_user_sgpr_dispatch_id 0
		.amdhsa_user_sgpr_kernarg_preload_length 0
		.amdhsa_user_sgpr_kernarg_preload_offset 0
		.amdhsa_user_sgpr_private_segment_size 0
		.amdhsa_uses_dynamic_stack 0
		.amdhsa_enable_private_segment 0
		.amdhsa_system_sgpr_workgroup_id_x 1
		.amdhsa_system_sgpr_workgroup_id_y 0
		.amdhsa_system_sgpr_workgroup_id_z 0
		.amdhsa_system_sgpr_workgroup_info 0
		.amdhsa_system_vgpr_workitem_id 0
		.amdhsa_next_free_vgpr 65
		.amdhsa_next_free_sgpr 44
		.amdhsa_accum_offset 68
		.amdhsa_reserve_vcc 1
		.amdhsa_float_round_mode_32 0
		.amdhsa_float_round_mode_16_64 0
		.amdhsa_float_denorm_mode_32 3
		.amdhsa_float_denorm_mode_16_64 3
		.amdhsa_dx10_clamp 1
		.amdhsa_ieee_mode 1
		.amdhsa_fp16_overflow 0
		.amdhsa_tg_split 0
		.amdhsa_exception_fp_ieee_invalid_op 0
		.amdhsa_exception_fp_denorm_src 0
		.amdhsa_exception_fp_ieee_div_zero 0
		.amdhsa_exception_fp_ieee_overflow 0
		.amdhsa_exception_fp_ieee_underflow 0
		.amdhsa_exception_fp_ieee_inexact 0
		.amdhsa_exception_int_div_zero 0
	.end_amdhsa_kernel
	.section	.text._ZN7rocprim17ROCPRIM_400000_NS6detail17trampoline_kernelINS0_14default_configENS1_25partition_config_selectorILNS1_17partition_subalgoE1EiNS0_10empty_typeEbEEZZNS1_14partition_implILS5_1ELb0ES3_jN6thrust23THRUST_200600_302600_NS6detail15normal_iteratorINSA_10device_ptrIiEEEEPS6_NSA_18transform_iteratorI7is_evenIiESF_NSA_11use_defaultESK_EENS0_5tupleIJSF_SF_EEENSM_IJSG_SG_EEES6_PlJS6_EEE10hipError_tPvRmT3_T4_T5_T6_T7_T9_mT8_P12ihipStream_tbDpT10_ENKUlT_T0_E_clISt17integral_constantIbLb1EES18_IbLb0EEEEDaS14_S15_EUlS14_E_NS1_11comp_targetILNS1_3genE5ELNS1_11target_archE942ELNS1_3gpuE9ELNS1_3repE0EEENS1_30default_config_static_selectorELNS0_4arch9wavefront6targetE1EEEvT1_,"axG",@progbits,_ZN7rocprim17ROCPRIM_400000_NS6detail17trampoline_kernelINS0_14default_configENS1_25partition_config_selectorILNS1_17partition_subalgoE1EiNS0_10empty_typeEbEEZZNS1_14partition_implILS5_1ELb0ES3_jN6thrust23THRUST_200600_302600_NS6detail15normal_iteratorINSA_10device_ptrIiEEEEPS6_NSA_18transform_iteratorI7is_evenIiESF_NSA_11use_defaultESK_EENS0_5tupleIJSF_SF_EEENSM_IJSG_SG_EEES6_PlJS6_EEE10hipError_tPvRmT3_T4_T5_T6_T7_T9_mT8_P12ihipStream_tbDpT10_ENKUlT_T0_E_clISt17integral_constantIbLb1EES18_IbLb0EEEEDaS14_S15_EUlS14_E_NS1_11comp_targetILNS1_3genE5ELNS1_11target_archE942ELNS1_3gpuE9ELNS1_3repE0EEENS1_30default_config_static_selectorELNS0_4arch9wavefront6targetE1EEEvT1_,comdat
.Lfunc_end434:
	.size	_ZN7rocprim17ROCPRIM_400000_NS6detail17trampoline_kernelINS0_14default_configENS1_25partition_config_selectorILNS1_17partition_subalgoE1EiNS0_10empty_typeEbEEZZNS1_14partition_implILS5_1ELb0ES3_jN6thrust23THRUST_200600_302600_NS6detail15normal_iteratorINSA_10device_ptrIiEEEEPS6_NSA_18transform_iteratorI7is_evenIiESF_NSA_11use_defaultESK_EENS0_5tupleIJSF_SF_EEENSM_IJSG_SG_EEES6_PlJS6_EEE10hipError_tPvRmT3_T4_T5_T6_T7_T9_mT8_P12ihipStream_tbDpT10_ENKUlT_T0_E_clISt17integral_constantIbLb1EES18_IbLb0EEEEDaS14_S15_EUlS14_E_NS1_11comp_targetILNS1_3genE5ELNS1_11target_archE942ELNS1_3gpuE9ELNS1_3repE0EEENS1_30default_config_static_selectorELNS0_4arch9wavefront6targetE1EEEvT1_, .Lfunc_end434-_ZN7rocprim17ROCPRIM_400000_NS6detail17trampoline_kernelINS0_14default_configENS1_25partition_config_selectorILNS1_17partition_subalgoE1EiNS0_10empty_typeEbEEZZNS1_14partition_implILS5_1ELb0ES3_jN6thrust23THRUST_200600_302600_NS6detail15normal_iteratorINSA_10device_ptrIiEEEEPS6_NSA_18transform_iteratorI7is_evenIiESF_NSA_11use_defaultESK_EENS0_5tupleIJSF_SF_EEENSM_IJSG_SG_EEES6_PlJS6_EEE10hipError_tPvRmT3_T4_T5_T6_T7_T9_mT8_P12ihipStream_tbDpT10_ENKUlT_T0_E_clISt17integral_constantIbLb1EES18_IbLb0EEEEDaS14_S15_EUlS14_E_NS1_11comp_targetILNS1_3genE5ELNS1_11target_archE942ELNS1_3gpuE9ELNS1_3repE0EEENS1_30default_config_static_selectorELNS0_4arch9wavefront6targetE1EEEvT1_
                                        ; -- End function
	.section	.AMDGPU.csdata,"",@progbits
; Kernel info:
; codeLenInByte = 7716
; NumSgprs: 50
; NumVgprs: 65
; NumAgprs: 0
; TotalNumVgprs: 65
; ScratchSize: 0
; MemoryBound: 0
; FloatMode: 240
; IeeeMode: 1
; LDSByteSize: 30728 bytes/workgroup (compile time only)
; SGPRBlocks: 6
; VGPRBlocks: 8
; NumSGPRsForWavesPerEU: 50
; NumVGPRsForWavesPerEU: 65
; AccumOffset: 68
; Occupancy: 4
; WaveLimiterHint : 1
; COMPUTE_PGM_RSRC2:SCRATCH_EN: 0
; COMPUTE_PGM_RSRC2:USER_SGPR: 2
; COMPUTE_PGM_RSRC2:TRAP_HANDLER: 0
; COMPUTE_PGM_RSRC2:TGID_X_EN: 1
; COMPUTE_PGM_RSRC2:TGID_Y_EN: 0
; COMPUTE_PGM_RSRC2:TGID_Z_EN: 0
; COMPUTE_PGM_RSRC2:TIDIG_COMP_CNT: 0
; COMPUTE_PGM_RSRC3_GFX90A:ACCUM_OFFSET: 16
; COMPUTE_PGM_RSRC3_GFX90A:TG_SPLIT: 0
	.section	.text._ZN7rocprim17ROCPRIM_400000_NS6detail17trampoline_kernelINS0_14default_configENS1_25partition_config_selectorILNS1_17partition_subalgoE1EiNS0_10empty_typeEbEEZZNS1_14partition_implILS5_1ELb0ES3_jN6thrust23THRUST_200600_302600_NS6detail15normal_iteratorINSA_10device_ptrIiEEEEPS6_NSA_18transform_iteratorI7is_evenIiESF_NSA_11use_defaultESK_EENS0_5tupleIJSF_SF_EEENSM_IJSG_SG_EEES6_PlJS6_EEE10hipError_tPvRmT3_T4_T5_T6_T7_T9_mT8_P12ihipStream_tbDpT10_ENKUlT_T0_E_clISt17integral_constantIbLb1EES18_IbLb0EEEEDaS14_S15_EUlS14_E_NS1_11comp_targetILNS1_3genE4ELNS1_11target_archE910ELNS1_3gpuE8ELNS1_3repE0EEENS1_30default_config_static_selectorELNS0_4arch9wavefront6targetE1EEEvT1_,"axG",@progbits,_ZN7rocprim17ROCPRIM_400000_NS6detail17trampoline_kernelINS0_14default_configENS1_25partition_config_selectorILNS1_17partition_subalgoE1EiNS0_10empty_typeEbEEZZNS1_14partition_implILS5_1ELb0ES3_jN6thrust23THRUST_200600_302600_NS6detail15normal_iteratorINSA_10device_ptrIiEEEEPS6_NSA_18transform_iteratorI7is_evenIiESF_NSA_11use_defaultESK_EENS0_5tupleIJSF_SF_EEENSM_IJSG_SG_EEES6_PlJS6_EEE10hipError_tPvRmT3_T4_T5_T6_T7_T9_mT8_P12ihipStream_tbDpT10_ENKUlT_T0_E_clISt17integral_constantIbLb1EES18_IbLb0EEEEDaS14_S15_EUlS14_E_NS1_11comp_targetILNS1_3genE4ELNS1_11target_archE910ELNS1_3gpuE8ELNS1_3repE0EEENS1_30default_config_static_selectorELNS0_4arch9wavefront6targetE1EEEvT1_,comdat
	.protected	_ZN7rocprim17ROCPRIM_400000_NS6detail17trampoline_kernelINS0_14default_configENS1_25partition_config_selectorILNS1_17partition_subalgoE1EiNS0_10empty_typeEbEEZZNS1_14partition_implILS5_1ELb0ES3_jN6thrust23THRUST_200600_302600_NS6detail15normal_iteratorINSA_10device_ptrIiEEEEPS6_NSA_18transform_iteratorI7is_evenIiESF_NSA_11use_defaultESK_EENS0_5tupleIJSF_SF_EEENSM_IJSG_SG_EEES6_PlJS6_EEE10hipError_tPvRmT3_T4_T5_T6_T7_T9_mT8_P12ihipStream_tbDpT10_ENKUlT_T0_E_clISt17integral_constantIbLb1EES18_IbLb0EEEEDaS14_S15_EUlS14_E_NS1_11comp_targetILNS1_3genE4ELNS1_11target_archE910ELNS1_3gpuE8ELNS1_3repE0EEENS1_30default_config_static_selectorELNS0_4arch9wavefront6targetE1EEEvT1_ ; -- Begin function _ZN7rocprim17ROCPRIM_400000_NS6detail17trampoline_kernelINS0_14default_configENS1_25partition_config_selectorILNS1_17partition_subalgoE1EiNS0_10empty_typeEbEEZZNS1_14partition_implILS5_1ELb0ES3_jN6thrust23THRUST_200600_302600_NS6detail15normal_iteratorINSA_10device_ptrIiEEEEPS6_NSA_18transform_iteratorI7is_evenIiESF_NSA_11use_defaultESK_EENS0_5tupleIJSF_SF_EEENSM_IJSG_SG_EEES6_PlJS6_EEE10hipError_tPvRmT3_T4_T5_T6_T7_T9_mT8_P12ihipStream_tbDpT10_ENKUlT_T0_E_clISt17integral_constantIbLb1EES18_IbLb0EEEEDaS14_S15_EUlS14_E_NS1_11comp_targetILNS1_3genE4ELNS1_11target_archE910ELNS1_3gpuE8ELNS1_3repE0EEENS1_30default_config_static_selectorELNS0_4arch9wavefront6targetE1EEEvT1_
	.globl	_ZN7rocprim17ROCPRIM_400000_NS6detail17trampoline_kernelINS0_14default_configENS1_25partition_config_selectorILNS1_17partition_subalgoE1EiNS0_10empty_typeEbEEZZNS1_14partition_implILS5_1ELb0ES3_jN6thrust23THRUST_200600_302600_NS6detail15normal_iteratorINSA_10device_ptrIiEEEEPS6_NSA_18transform_iteratorI7is_evenIiESF_NSA_11use_defaultESK_EENS0_5tupleIJSF_SF_EEENSM_IJSG_SG_EEES6_PlJS6_EEE10hipError_tPvRmT3_T4_T5_T6_T7_T9_mT8_P12ihipStream_tbDpT10_ENKUlT_T0_E_clISt17integral_constantIbLb1EES18_IbLb0EEEEDaS14_S15_EUlS14_E_NS1_11comp_targetILNS1_3genE4ELNS1_11target_archE910ELNS1_3gpuE8ELNS1_3repE0EEENS1_30default_config_static_selectorELNS0_4arch9wavefront6targetE1EEEvT1_
	.p2align	8
	.type	_ZN7rocprim17ROCPRIM_400000_NS6detail17trampoline_kernelINS0_14default_configENS1_25partition_config_selectorILNS1_17partition_subalgoE1EiNS0_10empty_typeEbEEZZNS1_14partition_implILS5_1ELb0ES3_jN6thrust23THRUST_200600_302600_NS6detail15normal_iteratorINSA_10device_ptrIiEEEEPS6_NSA_18transform_iteratorI7is_evenIiESF_NSA_11use_defaultESK_EENS0_5tupleIJSF_SF_EEENSM_IJSG_SG_EEES6_PlJS6_EEE10hipError_tPvRmT3_T4_T5_T6_T7_T9_mT8_P12ihipStream_tbDpT10_ENKUlT_T0_E_clISt17integral_constantIbLb1EES18_IbLb0EEEEDaS14_S15_EUlS14_E_NS1_11comp_targetILNS1_3genE4ELNS1_11target_archE910ELNS1_3gpuE8ELNS1_3repE0EEENS1_30default_config_static_selectorELNS0_4arch9wavefront6targetE1EEEvT1_,@function
_ZN7rocprim17ROCPRIM_400000_NS6detail17trampoline_kernelINS0_14default_configENS1_25partition_config_selectorILNS1_17partition_subalgoE1EiNS0_10empty_typeEbEEZZNS1_14partition_implILS5_1ELb0ES3_jN6thrust23THRUST_200600_302600_NS6detail15normal_iteratorINSA_10device_ptrIiEEEEPS6_NSA_18transform_iteratorI7is_evenIiESF_NSA_11use_defaultESK_EENS0_5tupleIJSF_SF_EEENSM_IJSG_SG_EEES6_PlJS6_EEE10hipError_tPvRmT3_T4_T5_T6_T7_T9_mT8_P12ihipStream_tbDpT10_ENKUlT_T0_E_clISt17integral_constantIbLb1EES18_IbLb0EEEEDaS14_S15_EUlS14_E_NS1_11comp_targetILNS1_3genE4ELNS1_11target_archE910ELNS1_3gpuE8ELNS1_3repE0EEENS1_30default_config_static_selectorELNS0_4arch9wavefront6targetE1EEEvT1_: ; @_ZN7rocprim17ROCPRIM_400000_NS6detail17trampoline_kernelINS0_14default_configENS1_25partition_config_selectorILNS1_17partition_subalgoE1EiNS0_10empty_typeEbEEZZNS1_14partition_implILS5_1ELb0ES3_jN6thrust23THRUST_200600_302600_NS6detail15normal_iteratorINSA_10device_ptrIiEEEEPS6_NSA_18transform_iteratorI7is_evenIiESF_NSA_11use_defaultESK_EENS0_5tupleIJSF_SF_EEENSM_IJSG_SG_EEES6_PlJS6_EEE10hipError_tPvRmT3_T4_T5_T6_T7_T9_mT8_P12ihipStream_tbDpT10_ENKUlT_T0_E_clISt17integral_constantIbLb1EES18_IbLb0EEEEDaS14_S15_EUlS14_E_NS1_11comp_targetILNS1_3genE4ELNS1_11target_archE910ELNS1_3gpuE8ELNS1_3repE0EEENS1_30default_config_static_selectorELNS0_4arch9wavefront6targetE1EEEvT1_
; %bb.0:
	.section	.rodata,"a",@progbits
	.p2align	6, 0x0
	.amdhsa_kernel _ZN7rocprim17ROCPRIM_400000_NS6detail17trampoline_kernelINS0_14default_configENS1_25partition_config_selectorILNS1_17partition_subalgoE1EiNS0_10empty_typeEbEEZZNS1_14partition_implILS5_1ELb0ES3_jN6thrust23THRUST_200600_302600_NS6detail15normal_iteratorINSA_10device_ptrIiEEEEPS6_NSA_18transform_iteratorI7is_evenIiESF_NSA_11use_defaultESK_EENS0_5tupleIJSF_SF_EEENSM_IJSG_SG_EEES6_PlJS6_EEE10hipError_tPvRmT3_T4_T5_T6_T7_T9_mT8_P12ihipStream_tbDpT10_ENKUlT_T0_E_clISt17integral_constantIbLb1EES18_IbLb0EEEEDaS14_S15_EUlS14_E_NS1_11comp_targetILNS1_3genE4ELNS1_11target_archE910ELNS1_3gpuE8ELNS1_3repE0EEENS1_30default_config_static_selectorELNS0_4arch9wavefront6targetE1EEEvT1_
		.amdhsa_group_segment_fixed_size 0
		.amdhsa_private_segment_fixed_size 0
		.amdhsa_kernarg_size 128
		.amdhsa_user_sgpr_count 2
		.amdhsa_user_sgpr_dispatch_ptr 0
		.amdhsa_user_sgpr_queue_ptr 0
		.amdhsa_user_sgpr_kernarg_segment_ptr 1
		.amdhsa_user_sgpr_dispatch_id 0
		.amdhsa_user_sgpr_kernarg_preload_length 0
		.amdhsa_user_sgpr_kernarg_preload_offset 0
		.amdhsa_user_sgpr_private_segment_size 0
		.amdhsa_uses_dynamic_stack 0
		.amdhsa_enable_private_segment 0
		.amdhsa_system_sgpr_workgroup_id_x 1
		.amdhsa_system_sgpr_workgroup_id_y 0
		.amdhsa_system_sgpr_workgroup_id_z 0
		.amdhsa_system_sgpr_workgroup_info 0
		.amdhsa_system_vgpr_workitem_id 0
		.amdhsa_next_free_vgpr 1
		.amdhsa_next_free_sgpr 0
		.amdhsa_accum_offset 4
		.amdhsa_reserve_vcc 0
		.amdhsa_float_round_mode_32 0
		.amdhsa_float_round_mode_16_64 0
		.amdhsa_float_denorm_mode_32 3
		.amdhsa_float_denorm_mode_16_64 3
		.amdhsa_dx10_clamp 1
		.amdhsa_ieee_mode 1
		.amdhsa_fp16_overflow 0
		.amdhsa_tg_split 0
		.amdhsa_exception_fp_ieee_invalid_op 0
		.amdhsa_exception_fp_denorm_src 0
		.amdhsa_exception_fp_ieee_div_zero 0
		.amdhsa_exception_fp_ieee_overflow 0
		.amdhsa_exception_fp_ieee_underflow 0
		.amdhsa_exception_fp_ieee_inexact 0
		.amdhsa_exception_int_div_zero 0
	.end_amdhsa_kernel
	.section	.text._ZN7rocprim17ROCPRIM_400000_NS6detail17trampoline_kernelINS0_14default_configENS1_25partition_config_selectorILNS1_17partition_subalgoE1EiNS0_10empty_typeEbEEZZNS1_14partition_implILS5_1ELb0ES3_jN6thrust23THRUST_200600_302600_NS6detail15normal_iteratorINSA_10device_ptrIiEEEEPS6_NSA_18transform_iteratorI7is_evenIiESF_NSA_11use_defaultESK_EENS0_5tupleIJSF_SF_EEENSM_IJSG_SG_EEES6_PlJS6_EEE10hipError_tPvRmT3_T4_T5_T6_T7_T9_mT8_P12ihipStream_tbDpT10_ENKUlT_T0_E_clISt17integral_constantIbLb1EES18_IbLb0EEEEDaS14_S15_EUlS14_E_NS1_11comp_targetILNS1_3genE4ELNS1_11target_archE910ELNS1_3gpuE8ELNS1_3repE0EEENS1_30default_config_static_selectorELNS0_4arch9wavefront6targetE1EEEvT1_,"axG",@progbits,_ZN7rocprim17ROCPRIM_400000_NS6detail17trampoline_kernelINS0_14default_configENS1_25partition_config_selectorILNS1_17partition_subalgoE1EiNS0_10empty_typeEbEEZZNS1_14partition_implILS5_1ELb0ES3_jN6thrust23THRUST_200600_302600_NS6detail15normal_iteratorINSA_10device_ptrIiEEEEPS6_NSA_18transform_iteratorI7is_evenIiESF_NSA_11use_defaultESK_EENS0_5tupleIJSF_SF_EEENSM_IJSG_SG_EEES6_PlJS6_EEE10hipError_tPvRmT3_T4_T5_T6_T7_T9_mT8_P12ihipStream_tbDpT10_ENKUlT_T0_E_clISt17integral_constantIbLb1EES18_IbLb0EEEEDaS14_S15_EUlS14_E_NS1_11comp_targetILNS1_3genE4ELNS1_11target_archE910ELNS1_3gpuE8ELNS1_3repE0EEENS1_30default_config_static_selectorELNS0_4arch9wavefront6targetE1EEEvT1_,comdat
.Lfunc_end435:
	.size	_ZN7rocprim17ROCPRIM_400000_NS6detail17trampoline_kernelINS0_14default_configENS1_25partition_config_selectorILNS1_17partition_subalgoE1EiNS0_10empty_typeEbEEZZNS1_14partition_implILS5_1ELb0ES3_jN6thrust23THRUST_200600_302600_NS6detail15normal_iteratorINSA_10device_ptrIiEEEEPS6_NSA_18transform_iteratorI7is_evenIiESF_NSA_11use_defaultESK_EENS0_5tupleIJSF_SF_EEENSM_IJSG_SG_EEES6_PlJS6_EEE10hipError_tPvRmT3_T4_T5_T6_T7_T9_mT8_P12ihipStream_tbDpT10_ENKUlT_T0_E_clISt17integral_constantIbLb1EES18_IbLb0EEEEDaS14_S15_EUlS14_E_NS1_11comp_targetILNS1_3genE4ELNS1_11target_archE910ELNS1_3gpuE8ELNS1_3repE0EEENS1_30default_config_static_selectorELNS0_4arch9wavefront6targetE1EEEvT1_, .Lfunc_end435-_ZN7rocprim17ROCPRIM_400000_NS6detail17trampoline_kernelINS0_14default_configENS1_25partition_config_selectorILNS1_17partition_subalgoE1EiNS0_10empty_typeEbEEZZNS1_14partition_implILS5_1ELb0ES3_jN6thrust23THRUST_200600_302600_NS6detail15normal_iteratorINSA_10device_ptrIiEEEEPS6_NSA_18transform_iteratorI7is_evenIiESF_NSA_11use_defaultESK_EENS0_5tupleIJSF_SF_EEENSM_IJSG_SG_EEES6_PlJS6_EEE10hipError_tPvRmT3_T4_T5_T6_T7_T9_mT8_P12ihipStream_tbDpT10_ENKUlT_T0_E_clISt17integral_constantIbLb1EES18_IbLb0EEEEDaS14_S15_EUlS14_E_NS1_11comp_targetILNS1_3genE4ELNS1_11target_archE910ELNS1_3gpuE8ELNS1_3repE0EEENS1_30default_config_static_selectorELNS0_4arch9wavefront6targetE1EEEvT1_
                                        ; -- End function
	.section	.AMDGPU.csdata,"",@progbits
; Kernel info:
; codeLenInByte = 0
; NumSgprs: 6
; NumVgprs: 0
; NumAgprs: 0
; TotalNumVgprs: 0
; ScratchSize: 0
; MemoryBound: 0
; FloatMode: 240
; IeeeMode: 1
; LDSByteSize: 0 bytes/workgroup (compile time only)
; SGPRBlocks: 0
; VGPRBlocks: 0
; NumSGPRsForWavesPerEU: 6
; NumVGPRsForWavesPerEU: 1
; AccumOffset: 4
; Occupancy: 8
; WaveLimiterHint : 0
; COMPUTE_PGM_RSRC2:SCRATCH_EN: 0
; COMPUTE_PGM_RSRC2:USER_SGPR: 2
; COMPUTE_PGM_RSRC2:TRAP_HANDLER: 0
; COMPUTE_PGM_RSRC2:TGID_X_EN: 1
; COMPUTE_PGM_RSRC2:TGID_Y_EN: 0
; COMPUTE_PGM_RSRC2:TGID_Z_EN: 0
; COMPUTE_PGM_RSRC2:TIDIG_COMP_CNT: 0
; COMPUTE_PGM_RSRC3_GFX90A:ACCUM_OFFSET: 0
; COMPUTE_PGM_RSRC3_GFX90A:TG_SPLIT: 0
	.section	.text._ZN7rocprim17ROCPRIM_400000_NS6detail17trampoline_kernelINS0_14default_configENS1_25partition_config_selectorILNS1_17partition_subalgoE1EiNS0_10empty_typeEbEEZZNS1_14partition_implILS5_1ELb0ES3_jN6thrust23THRUST_200600_302600_NS6detail15normal_iteratorINSA_10device_ptrIiEEEEPS6_NSA_18transform_iteratorI7is_evenIiESF_NSA_11use_defaultESK_EENS0_5tupleIJSF_SF_EEENSM_IJSG_SG_EEES6_PlJS6_EEE10hipError_tPvRmT3_T4_T5_T6_T7_T9_mT8_P12ihipStream_tbDpT10_ENKUlT_T0_E_clISt17integral_constantIbLb1EES18_IbLb0EEEEDaS14_S15_EUlS14_E_NS1_11comp_targetILNS1_3genE3ELNS1_11target_archE908ELNS1_3gpuE7ELNS1_3repE0EEENS1_30default_config_static_selectorELNS0_4arch9wavefront6targetE1EEEvT1_,"axG",@progbits,_ZN7rocprim17ROCPRIM_400000_NS6detail17trampoline_kernelINS0_14default_configENS1_25partition_config_selectorILNS1_17partition_subalgoE1EiNS0_10empty_typeEbEEZZNS1_14partition_implILS5_1ELb0ES3_jN6thrust23THRUST_200600_302600_NS6detail15normal_iteratorINSA_10device_ptrIiEEEEPS6_NSA_18transform_iteratorI7is_evenIiESF_NSA_11use_defaultESK_EENS0_5tupleIJSF_SF_EEENSM_IJSG_SG_EEES6_PlJS6_EEE10hipError_tPvRmT3_T4_T5_T6_T7_T9_mT8_P12ihipStream_tbDpT10_ENKUlT_T0_E_clISt17integral_constantIbLb1EES18_IbLb0EEEEDaS14_S15_EUlS14_E_NS1_11comp_targetILNS1_3genE3ELNS1_11target_archE908ELNS1_3gpuE7ELNS1_3repE0EEENS1_30default_config_static_selectorELNS0_4arch9wavefront6targetE1EEEvT1_,comdat
	.protected	_ZN7rocprim17ROCPRIM_400000_NS6detail17trampoline_kernelINS0_14default_configENS1_25partition_config_selectorILNS1_17partition_subalgoE1EiNS0_10empty_typeEbEEZZNS1_14partition_implILS5_1ELb0ES3_jN6thrust23THRUST_200600_302600_NS6detail15normal_iteratorINSA_10device_ptrIiEEEEPS6_NSA_18transform_iteratorI7is_evenIiESF_NSA_11use_defaultESK_EENS0_5tupleIJSF_SF_EEENSM_IJSG_SG_EEES6_PlJS6_EEE10hipError_tPvRmT3_T4_T5_T6_T7_T9_mT8_P12ihipStream_tbDpT10_ENKUlT_T0_E_clISt17integral_constantIbLb1EES18_IbLb0EEEEDaS14_S15_EUlS14_E_NS1_11comp_targetILNS1_3genE3ELNS1_11target_archE908ELNS1_3gpuE7ELNS1_3repE0EEENS1_30default_config_static_selectorELNS0_4arch9wavefront6targetE1EEEvT1_ ; -- Begin function _ZN7rocprim17ROCPRIM_400000_NS6detail17trampoline_kernelINS0_14default_configENS1_25partition_config_selectorILNS1_17partition_subalgoE1EiNS0_10empty_typeEbEEZZNS1_14partition_implILS5_1ELb0ES3_jN6thrust23THRUST_200600_302600_NS6detail15normal_iteratorINSA_10device_ptrIiEEEEPS6_NSA_18transform_iteratorI7is_evenIiESF_NSA_11use_defaultESK_EENS0_5tupleIJSF_SF_EEENSM_IJSG_SG_EEES6_PlJS6_EEE10hipError_tPvRmT3_T4_T5_T6_T7_T9_mT8_P12ihipStream_tbDpT10_ENKUlT_T0_E_clISt17integral_constantIbLb1EES18_IbLb0EEEEDaS14_S15_EUlS14_E_NS1_11comp_targetILNS1_3genE3ELNS1_11target_archE908ELNS1_3gpuE7ELNS1_3repE0EEENS1_30default_config_static_selectorELNS0_4arch9wavefront6targetE1EEEvT1_
	.globl	_ZN7rocprim17ROCPRIM_400000_NS6detail17trampoline_kernelINS0_14default_configENS1_25partition_config_selectorILNS1_17partition_subalgoE1EiNS0_10empty_typeEbEEZZNS1_14partition_implILS5_1ELb0ES3_jN6thrust23THRUST_200600_302600_NS6detail15normal_iteratorINSA_10device_ptrIiEEEEPS6_NSA_18transform_iteratorI7is_evenIiESF_NSA_11use_defaultESK_EENS0_5tupleIJSF_SF_EEENSM_IJSG_SG_EEES6_PlJS6_EEE10hipError_tPvRmT3_T4_T5_T6_T7_T9_mT8_P12ihipStream_tbDpT10_ENKUlT_T0_E_clISt17integral_constantIbLb1EES18_IbLb0EEEEDaS14_S15_EUlS14_E_NS1_11comp_targetILNS1_3genE3ELNS1_11target_archE908ELNS1_3gpuE7ELNS1_3repE0EEENS1_30default_config_static_selectorELNS0_4arch9wavefront6targetE1EEEvT1_
	.p2align	8
	.type	_ZN7rocprim17ROCPRIM_400000_NS6detail17trampoline_kernelINS0_14default_configENS1_25partition_config_selectorILNS1_17partition_subalgoE1EiNS0_10empty_typeEbEEZZNS1_14partition_implILS5_1ELb0ES3_jN6thrust23THRUST_200600_302600_NS6detail15normal_iteratorINSA_10device_ptrIiEEEEPS6_NSA_18transform_iteratorI7is_evenIiESF_NSA_11use_defaultESK_EENS0_5tupleIJSF_SF_EEENSM_IJSG_SG_EEES6_PlJS6_EEE10hipError_tPvRmT3_T4_T5_T6_T7_T9_mT8_P12ihipStream_tbDpT10_ENKUlT_T0_E_clISt17integral_constantIbLb1EES18_IbLb0EEEEDaS14_S15_EUlS14_E_NS1_11comp_targetILNS1_3genE3ELNS1_11target_archE908ELNS1_3gpuE7ELNS1_3repE0EEENS1_30default_config_static_selectorELNS0_4arch9wavefront6targetE1EEEvT1_,@function
_ZN7rocprim17ROCPRIM_400000_NS6detail17trampoline_kernelINS0_14default_configENS1_25partition_config_selectorILNS1_17partition_subalgoE1EiNS0_10empty_typeEbEEZZNS1_14partition_implILS5_1ELb0ES3_jN6thrust23THRUST_200600_302600_NS6detail15normal_iteratorINSA_10device_ptrIiEEEEPS6_NSA_18transform_iteratorI7is_evenIiESF_NSA_11use_defaultESK_EENS0_5tupleIJSF_SF_EEENSM_IJSG_SG_EEES6_PlJS6_EEE10hipError_tPvRmT3_T4_T5_T6_T7_T9_mT8_P12ihipStream_tbDpT10_ENKUlT_T0_E_clISt17integral_constantIbLb1EES18_IbLb0EEEEDaS14_S15_EUlS14_E_NS1_11comp_targetILNS1_3genE3ELNS1_11target_archE908ELNS1_3gpuE7ELNS1_3repE0EEENS1_30default_config_static_selectorELNS0_4arch9wavefront6targetE1EEEvT1_: ; @_ZN7rocprim17ROCPRIM_400000_NS6detail17trampoline_kernelINS0_14default_configENS1_25partition_config_selectorILNS1_17partition_subalgoE1EiNS0_10empty_typeEbEEZZNS1_14partition_implILS5_1ELb0ES3_jN6thrust23THRUST_200600_302600_NS6detail15normal_iteratorINSA_10device_ptrIiEEEEPS6_NSA_18transform_iteratorI7is_evenIiESF_NSA_11use_defaultESK_EENS0_5tupleIJSF_SF_EEENSM_IJSG_SG_EEES6_PlJS6_EEE10hipError_tPvRmT3_T4_T5_T6_T7_T9_mT8_P12ihipStream_tbDpT10_ENKUlT_T0_E_clISt17integral_constantIbLb1EES18_IbLb0EEEEDaS14_S15_EUlS14_E_NS1_11comp_targetILNS1_3genE3ELNS1_11target_archE908ELNS1_3gpuE7ELNS1_3repE0EEENS1_30default_config_static_selectorELNS0_4arch9wavefront6targetE1EEEvT1_
; %bb.0:
	.section	.rodata,"a",@progbits
	.p2align	6, 0x0
	.amdhsa_kernel _ZN7rocprim17ROCPRIM_400000_NS6detail17trampoline_kernelINS0_14default_configENS1_25partition_config_selectorILNS1_17partition_subalgoE1EiNS0_10empty_typeEbEEZZNS1_14partition_implILS5_1ELb0ES3_jN6thrust23THRUST_200600_302600_NS6detail15normal_iteratorINSA_10device_ptrIiEEEEPS6_NSA_18transform_iteratorI7is_evenIiESF_NSA_11use_defaultESK_EENS0_5tupleIJSF_SF_EEENSM_IJSG_SG_EEES6_PlJS6_EEE10hipError_tPvRmT3_T4_T5_T6_T7_T9_mT8_P12ihipStream_tbDpT10_ENKUlT_T0_E_clISt17integral_constantIbLb1EES18_IbLb0EEEEDaS14_S15_EUlS14_E_NS1_11comp_targetILNS1_3genE3ELNS1_11target_archE908ELNS1_3gpuE7ELNS1_3repE0EEENS1_30default_config_static_selectorELNS0_4arch9wavefront6targetE1EEEvT1_
		.amdhsa_group_segment_fixed_size 0
		.amdhsa_private_segment_fixed_size 0
		.amdhsa_kernarg_size 128
		.amdhsa_user_sgpr_count 2
		.amdhsa_user_sgpr_dispatch_ptr 0
		.amdhsa_user_sgpr_queue_ptr 0
		.amdhsa_user_sgpr_kernarg_segment_ptr 1
		.amdhsa_user_sgpr_dispatch_id 0
		.amdhsa_user_sgpr_kernarg_preload_length 0
		.amdhsa_user_sgpr_kernarg_preload_offset 0
		.amdhsa_user_sgpr_private_segment_size 0
		.amdhsa_uses_dynamic_stack 0
		.amdhsa_enable_private_segment 0
		.amdhsa_system_sgpr_workgroup_id_x 1
		.amdhsa_system_sgpr_workgroup_id_y 0
		.amdhsa_system_sgpr_workgroup_id_z 0
		.amdhsa_system_sgpr_workgroup_info 0
		.amdhsa_system_vgpr_workitem_id 0
		.amdhsa_next_free_vgpr 1
		.amdhsa_next_free_sgpr 0
		.amdhsa_accum_offset 4
		.amdhsa_reserve_vcc 0
		.amdhsa_float_round_mode_32 0
		.amdhsa_float_round_mode_16_64 0
		.amdhsa_float_denorm_mode_32 3
		.amdhsa_float_denorm_mode_16_64 3
		.amdhsa_dx10_clamp 1
		.amdhsa_ieee_mode 1
		.amdhsa_fp16_overflow 0
		.amdhsa_tg_split 0
		.amdhsa_exception_fp_ieee_invalid_op 0
		.amdhsa_exception_fp_denorm_src 0
		.amdhsa_exception_fp_ieee_div_zero 0
		.amdhsa_exception_fp_ieee_overflow 0
		.amdhsa_exception_fp_ieee_underflow 0
		.amdhsa_exception_fp_ieee_inexact 0
		.amdhsa_exception_int_div_zero 0
	.end_amdhsa_kernel
	.section	.text._ZN7rocprim17ROCPRIM_400000_NS6detail17trampoline_kernelINS0_14default_configENS1_25partition_config_selectorILNS1_17partition_subalgoE1EiNS0_10empty_typeEbEEZZNS1_14partition_implILS5_1ELb0ES3_jN6thrust23THRUST_200600_302600_NS6detail15normal_iteratorINSA_10device_ptrIiEEEEPS6_NSA_18transform_iteratorI7is_evenIiESF_NSA_11use_defaultESK_EENS0_5tupleIJSF_SF_EEENSM_IJSG_SG_EEES6_PlJS6_EEE10hipError_tPvRmT3_T4_T5_T6_T7_T9_mT8_P12ihipStream_tbDpT10_ENKUlT_T0_E_clISt17integral_constantIbLb1EES18_IbLb0EEEEDaS14_S15_EUlS14_E_NS1_11comp_targetILNS1_3genE3ELNS1_11target_archE908ELNS1_3gpuE7ELNS1_3repE0EEENS1_30default_config_static_selectorELNS0_4arch9wavefront6targetE1EEEvT1_,"axG",@progbits,_ZN7rocprim17ROCPRIM_400000_NS6detail17trampoline_kernelINS0_14default_configENS1_25partition_config_selectorILNS1_17partition_subalgoE1EiNS0_10empty_typeEbEEZZNS1_14partition_implILS5_1ELb0ES3_jN6thrust23THRUST_200600_302600_NS6detail15normal_iteratorINSA_10device_ptrIiEEEEPS6_NSA_18transform_iteratorI7is_evenIiESF_NSA_11use_defaultESK_EENS0_5tupleIJSF_SF_EEENSM_IJSG_SG_EEES6_PlJS6_EEE10hipError_tPvRmT3_T4_T5_T6_T7_T9_mT8_P12ihipStream_tbDpT10_ENKUlT_T0_E_clISt17integral_constantIbLb1EES18_IbLb0EEEEDaS14_S15_EUlS14_E_NS1_11comp_targetILNS1_3genE3ELNS1_11target_archE908ELNS1_3gpuE7ELNS1_3repE0EEENS1_30default_config_static_selectorELNS0_4arch9wavefront6targetE1EEEvT1_,comdat
.Lfunc_end436:
	.size	_ZN7rocprim17ROCPRIM_400000_NS6detail17trampoline_kernelINS0_14default_configENS1_25partition_config_selectorILNS1_17partition_subalgoE1EiNS0_10empty_typeEbEEZZNS1_14partition_implILS5_1ELb0ES3_jN6thrust23THRUST_200600_302600_NS6detail15normal_iteratorINSA_10device_ptrIiEEEEPS6_NSA_18transform_iteratorI7is_evenIiESF_NSA_11use_defaultESK_EENS0_5tupleIJSF_SF_EEENSM_IJSG_SG_EEES6_PlJS6_EEE10hipError_tPvRmT3_T4_T5_T6_T7_T9_mT8_P12ihipStream_tbDpT10_ENKUlT_T0_E_clISt17integral_constantIbLb1EES18_IbLb0EEEEDaS14_S15_EUlS14_E_NS1_11comp_targetILNS1_3genE3ELNS1_11target_archE908ELNS1_3gpuE7ELNS1_3repE0EEENS1_30default_config_static_selectorELNS0_4arch9wavefront6targetE1EEEvT1_, .Lfunc_end436-_ZN7rocprim17ROCPRIM_400000_NS6detail17trampoline_kernelINS0_14default_configENS1_25partition_config_selectorILNS1_17partition_subalgoE1EiNS0_10empty_typeEbEEZZNS1_14partition_implILS5_1ELb0ES3_jN6thrust23THRUST_200600_302600_NS6detail15normal_iteratorINSA_10device_ptrIiEEEEPS6_NSA_18transform_iteratorI7is_evenIiESF_NSA_11use_defaultESK_EENS0_5tupleIJSF_SF_EEENSM_IJSG_SG_EEES6_PlJS6_EEE10hipError_tPvRmT3_T4_T5_T6_T7_T9_mT8_P12ihipStream_tbDpT10_ENKUlT_T0_E_clISt17integral_constantIbLb1EES18_IbLb0EEEEDaS14_S15_EUlS14_E_NS1_11comp_targetILNS1_3genE3ELNS1_11target_archE908ELNS1_3gpuE7ELNS1_3repE0EEENS1_30default_config_static_selectorELNS0_4arch9wavefront6targetE1EEEvT1_
                                        ; -- End function
	.section	.AMDGPU.csdata,"",@progbits
; Kernel info:
; codeLenInByte = 0
; NumSgprs: 6
; NumVgprs: 0
; NumAgprs: 0
; TotalNumVgprs: 0
; ScratchSize: 0
; MemoryBound: 0
; FloatMode: 240
; IeeeMode: 1
; LDSByteSize: 0 bytes/workgroup (compile time only)
; SGPRBlocks: 0
; VGPRBlocks: 0
; NumSGPRsForWavesPerEU: 6
; NumVGPRsForWavesPerEU: 1
; AccumOffset: 4
; Occupancy: 8
; WaveLimiterHint : 0
; COMPUTE_PGM_RSRC2:SCRATCH_EN: 0
; COMPUTE_PGM_RSRC2:USER_SGPR: 2
; COMPUTE_PGM_RSRC2:TRAP_HANDLER: 0
; COMPUTE_PGM_RSRC2:TGID_X_EN: 1
; COMPUTE_PGM_RSRC2:TGID_Y_EN: 0
; COMPUTE_PGM_RSRC2:TGID_Z_EN: 0
; COMPUTE_PGM_RSRC2:TIDIG_COMP_CNT: 0
; COMPUTE_PGM_RSRC3_GFX90A:ACCUM_OFFSET: 0
; COMPUTE_PGM_RSRC3_GFX90A:TG_SPLIT: 0
	.section	.text._ZN7rocprim17ROCPRIM_400000_NS6detail17trampoline_kernelINS0_14default_configENS1_25partition_config_selectorILNS1_17partition_subalgoE1EiNS0_10empty_typeEbEEZZNS1_14partition_implILS5_1ELb0ES3_jN6thrust23THRUST_200600_302600_NS6detail15normal_iteratorINSA_10device_ptrIiEEEEPS6_NSA_18transform_iteratorI7is_evenIiESF_NSA_11use_defaultESK_EENS0_5tupleIJSF_SF_EEENSM_IJSG_SG_EEES6_PlJS6_EEE10hipError_tPvRmT3_T4_T5_T6_T7_T9_mT8_P12ihipStream_tbDpT10_ENKUlT_T0_E_clISt17integral_constantIbLb1EES18_IbLb0EEEEDaS14_S15_EUlS14_E_NS1_11comp_targetILNS1_3genE2ELNS1_11target_archE906ELNS1_3gpuE6ELNS1_3repE0EEENS1_30default_config_static_selectorELNS0_4arch9wavefront6targetE1EEEvT1_,"axG",@progbits,_ZN7rocprim17ROCPRIM_400000_NS6detail17trampoline_kernelINS0_14default_configENS1_25partition_config_selectorILNS1_17partition_subalgoE1EiNS0_10empty_typeEbEEZZNS1_14partition_implILS5_1ELb0ES3_jN6thrust23THRUST_200600_302600_NS6detail15normal_iteratorINSA_10device_ptrIiEEEEPS6_NSA_18transform_iteratorI7is_evenIiESF_NSA_11use_defaultESK_EENS0_5tupleIJSF_SF_EEENSM_IJSG_SG_EEES6_PlJS6_EEE10hipError_tPvRmT3_T4_T5_T6_T7_T9_mT8_P12ihipStream_tbDpT10_ENKUlT_T0_E_clISt17integral_constantIbLb1EES18_IbLb0EEEEDaS14_S15_EUlS14_E_NS1_11comp_targetILNS1_3genE2ELNS1_11target_archE906ELNS1_3gpuE6ELNS1_3repE0EEENS1_30default_config_static_selectorELNS0_4arch9wavefront6targetE1EEEvT1_,comdat
	.protected	_ZN7rocprim17ROCPRIM_400000_NS6detail17trampoline_kernelINS0_14default_configENS1_25partition_config_selectorILNS1_17partition_subalgoE1EiNS0_10empty_typeEbEEZZNS1_14partition_implILS5_1ELb0ES3_jN6thrust23THRUST_200600_302600_NS6detail15normal_iteratorINSA_10device_ptrIiEEEEPS6_NSA_18transform_iteratorI7is_evenIiESF_NSA_11use_defaultESK_EENS0_5tupleIJSF_SF_EEENSM_IJSG_SG_EEES6_PlJS6_EEE10hipError_tPvRmT3_T4_T5_T6_T7_T9_mT8_P12ihipStream_tbDpT10_ENKUlT_T0_E_clISt17integral_constantIbLb1EES18_IbLb0EEEEDaS14_S15_EUlS14_E_NS1_11comp_targetILNS1_3genE2ELNS1_11target_archE906ELNS1_3gpuE6ELNS1_3repE0EEENS1_30default_config_static_selectorELNS0_4arch9wavefront6targetE1EEEvT1_ ; -- Begin function _ZN7rocprim17ROCPRIM_400000_NS6detail17trampoline_kernelINS0_14default_configENS1_25partition_config_selectorILNS1_17partition_subalgoE1EiNS0_10empty_typeEbEEZZNS1_14partition_implILS5_1ELb0ES3_jN6thrust23THRUST_200600_302600_NS6detail15normal_iteratorINSA_10device_ptrIiEEEEPS6_NSA_18transform_iteratorI7is_evenIiESF_NSA_11use_defaultESK_EENS0_5tupleIJSF_SF_EEENSM_IJSG_SG_EEES6_PlJS6_EEE10hipError_tPvRmT3_T4_T5_T6_T7_T9_mT8_P12ihipStream_tbDpT10_ENKUlT_T0_E_clISt17integral_constantIbLb1EES18_IbLb0EEEEDaS14_S15_EUlS14_E_NS1_11comp_targetILNS1_3genE2ELNS1_11target_archE906ELNS1_3gpuE6ELNS1_3repE0EEENS1_30default_config_static_selectorELNS0_4arch9wavefront6targetE1EEEvT1_
	.globl	_ZN7rocprim17ROCPRIM_400000_NS6detail17trampoline_kernelINS0_14default_configENS1_25partition_config_selectorILNS1_17partition_subalgoE1EiNS0_10empty_typeEbEEZZNS1_14partition_implILS5_1ELb0ES3_jN6thrust23THRUST_200600_302600_NS6detail15normal_iteratorINSA_10device_ptrIiEEEEPS6_NSA_18transform_iteratorI7is_evenIiESF_NSA_11use_defaultESK_EENS0_5tupleIJSF_SF_EEENSM_IJSG_SG_EEES6_PlJS6_EEE10hipError_tPvRmT3_T4_T5_T6_T7_T9_mT8_P12ihipStream_tbDpT10_ENKUlT_T0_E_clISt17integral_constantIbLb1EES18_IbLb0EEEEDaS14_S15_EUlS14_E_NS1_11comp_targetILNS1_3genE2ELNS1_11target_archE906ELNS1_3gpuE6ELNS1_3repE0EEENS1_30default_config_static_selectorELNS0_4arch9wavefront6targetE1EEEvT1_
	.p2align	8
	.type	_ZN7rocprim17ROCPRIM_400000_NS6detail17trampoline_kernelINS0_14default_configENS1_25partition_config_selectorILNS1_17partition_subalgoE1EiNS0_10empty_typeEbEEZZNS1_14partition_implILS5_1ELb0ES3_jN6thrust23THRUST_200600_302600_NS6detail15normal_iteratorINSA_10device_ptrIiEEEEPS6_NSA_18transform_iteratorI7is_evenIiESF_NSA_11use_defaultESK_EENS0_5tupleIJSF_SF_EEENSM_IJSG_SG_EEES6_PlJS6_EEE10hipError_tPvRmT3_T4_T5_T6_T7_T9_mT8_P12ihipStream_tbDpT10_ENKUlT_T0_E_clISt17integral_constantIbLb1EES18_IbLb0EEEEDaS14_S15_EUlS14_E_NS1_11comp_targetILNS1_3genE2ELNS1_11target_archE906ELNS1_3gpuE6ELNS1_3repE0EEENS1_30default_config_static_selectorELNS0_4arch9wavefront6targetE1EEEvT1_,@function
_ZN7rocprim17ROCPRIM_400000_NS6detail17trampoline_kernelINS0_14default_configENS1_25partition_config_selectorILNS1_17partition_subalgoE1EiNS0_10empty_typeEbEEZZNS1_14partition_implILS5_1ELb0ES3_jN6thrust23THRUST_200600_302600_NS6detail15normal_iteratorINSA_10device_ptrIiEEEEPS6_NSA_18transform_iteratorI7is_evenIiESF_NSA_11use_defaultESK_EENS0_5tupleIJSF_SF_EEENSM_IJSG_SG_EEES6_PlJS6_EEE10hipError_tPvRmT3_T4_T5_T6_T7_T9_mT8_P12ihipStream_tbDpT10_ENKUlT_T0_E_clISt17integral_constantIbLb1EES18_IbLb0EEEEDaS14_S15_EUlS14_E_NS1_11comp_targetILNS1_3genE2ELNS1_11target_archE906ELNS1_3gpuE6ELNS1_3repE0EEENS1_30default_config_static_selectorELNS0_4arch9wavefront6targetE1EEEvT1_: ; @_ZN7rocprim17ROCPRIM_400000_NS6detail17trampoline_kernelINS0_14default_configENS1_25partition_config_selectorILNS1_17partition_subalgoE1EiNS0_10empty_typeEbEEZZNS1_14partition_implILS5_1ELb0ES3_jN6thrust23THRUST_200600_302600_NS6detail15normal_iteratorINSA_10device_ptrIiEEEEPS6_NSA_18transform_iteratorI7is_evenIiESF_NSA_11use_defaultESK_EENS0_5tupleIJSF_SF_EEENSM_IJSG_SG_EEES6_PlJS6_EEE10hipError_tPvRmT3_T4_T5_T6_T7_T9_mT8_P12ihipStream_tbDpT10_ENKUlT_T0_E_clISt17integral_constantIbLb1EES18_IbLb0EEEEDaS14_S15_EUlS14_E_NS1_11comp_targetILNS1_3genE2ELNS1_11target_archE906ELNS1_3gpuE6ELNS1_3repE0EEENS1_30default_config_static_selectorELNS0_4arch9wavefront6targetE1EEEvT1_
; %bb.0:
	.section	.rodata,"a",@progbits
	.p2align	6, 0x0
	.amdhsa_kernel _ZN7rocprim17ROCPRIM_400000_NS6detail17trampoline_kernelINS0_14default_configENS1_25partition_config_selectorILNS1_17partition_subalgoE1EiNS0_10empty_typeEbEEZZNS1_14partition_implILS5_1ELb0ES3_jN6thrust23THRUST_200600_302600_NS6detail15normal_iteratorINSA_10device_ptrIiEEEEPS6_NSA_18transform_iteratorI7is_evenIiESF_NSA_11use_defaultESK_EENS0_5tupleIJSF_SF_EEENSM_IJSG_SG_EEES6_PlJS6_EEE10hipError_tPvRmT3_T4_T5_T6_T7_T9_mT8_P12ihipStream_tbDpT10_ENKUlT_T0_E_clISt17integral_constantIbLb1EES18_IbLb0EEEEDaS14_S15_EUlS14_E_NS1_11comp_targetILNS1_3genE2ELNS1_11target_archE906ELNS1_3gpuE6ELNS1_3repE0EEENS1_30default_config_static_selectorELNS0_4arch9wavefront6targetE1EEEvT1_
		.amdhsa_group_segment_fixed_size 0
		.amdhsa_private_segment_fixed_size 0
		.amdhsa_kernarg_size 128
		.amdhsa_user_sgpr_count 2
		.amdhsa_user_sgpr_dispatch_ptr 0
		.amdhsa_user_sgpr_queue_ptr 0
		.amdhsa_user_sgpr_kernarg_segment_ptr 1
		.amdhsa_user_sgpr_dispatch_id 0
		.amdhsa_user_sgpr_kernarg_preload_length 0
		.amdhsa_user_sgpr_kernarg_preload_offset 0
		.amdhsa_user_sgpr_private_segment_size 0
		.amdhsa_uses_dynamic_stack 0
		.amdhsa_enable_private_segment 0
		.amdhsa_system_sgpr_workgroup_id_x 1
		.amdhsa_system_sgpr_workgroup_id_y 0
		.amdhsa_system_sgpr_workgroup_id_z 0
		.amdhsa_system_sgpr_workgroup_info 0
		.amdhsa_system_vgpr_workitem_id 0
		.amdhsa_next_free_vgpr 1
		.amdhsa_next_free_sgpr 0
		.amdhsa_accum_offset 4
		.amdhsa_reserve_vcc 0
		.amdhsa_float_round_mode_32 0
		.amdhsa_float_round_mode_16_64 0
		.amdhsa_float_denorm_mode_32 3
		.amdhsa_float_denorm_mode_16_64 3
		.amdhsa_dx10_clamp 1
		.amdhsa_ieee_mode 1
		.amdhsa_fp16_overflow 0
		.amdhsa_tg_split 0
		.amdhsa_exception_fp_ieee_invalid_op 0
		.amdhsa_exception_fp_denorm_src 0
		.amdhsa_exception_fp_ieee_div_zero 0
		.amdhsa_exception_fp_ieee_overflow 0
		.amdhsa_exception_fp_ieee_underflow 0
		.amdhsa_exception_fp_ieee_inexact 0
		.amdhsa_exception_int_div_zero 0
	.end_amdhsa_kernel
	.section	.text._ZN7rocprim17ROCPRIM_400000_NS6detail17trampoline_kernelINS0_14default_configENS1_25partition_config_selectorILNS1_17partition_subalgoE1EiNS0_10empty_typeEbEEZZNS1_14partition_implILS5_1ELb0ES3_jN6thrust23THRUST_200600_302600_NS6detail15normal_iteratorINSA_10device_ptrIiEEEEPS6_NSA_18transform_iteratorI7is_evenIiESF_NSA_11use_defaultESK_EENS0_5tupleIJSF_SF_EEENSM_IJSG_SG_EEES6_PlJS6_EEE10hipError_tPvRmT3_T4_T5_T6_T7_T9_mT8_P12ihipStream_tbDpT10_ENKUlT_T0_E_clISt17integral_constantIbLb1EES18_IbLb0EEEEDaS14_S15_EUlS14_E_NS1_11comp_targetILNS1_3genE2ELNS1_11target_archE906ELNS1_3gpuE6ELNS1_3repE0EEENS1_30default_config_static_selectorELNS0_4arch9wavefront6targetE1EEEvT1_,"axG",@progbits,_ZN7rocprim17ROCPRIM_400000_NS6detail17trampoline_kernelINS0_14default_configENS1_25partition_config_selectorILNS1_17partition_subalgoE1EiNS0_10empty_typeEbEEZZNS1_14partition_implILS5_1ELb0ES3_jN6thrust23THRUST_200600_302600_NS6detail15normal_iteratorINSA_10device_ptrIiEEEEPS6_NSA_18transform_iteratorI7is_evenIiESF_NSA_11use_defaultESK_EENS0_5tupleIJSF_SF_EEENSM_IJSG_SG_EEES6_PlJS6_EEE10hipError_tPvRmT3_T4_T5_T6_T7_T9_mT8_P12ihipStream_tbDpT10_ENKUlT_T0_E_clISt17integral_constantIbLb1EES18_IbLb0EEEEDaS14_S15_EUlS14_E_NS1_11comp_targetILNS1_3genE2ELNS1_11target_archE906ELNS1_3gpuE6ELNS1_3repE0EEENS1_30default_config_static_selectorELNS0_4arch9wavefront6targetE1EEEvT1_,comdat
.Lfunc_end437:
	.size	_ZN7rocprim17ROCPRIM_400000_NS6detail17trampoline_kernelINS0_14default_configENS1_25partition_config_selectorILNS1_17partition_subalgoE1EiNS0_10empty_typeEbEEZZNS1_14partition_implILS5_1ELb0ES3_jN6thrust23THRUST_200600_302600_NS6detail15normal_iteratorINSA_10device_ptrIiEEEEPS6_NSA_18transform_iteratorI7is_evenIiESF_NSA_11use_defaultESK_EENS0_5tupleIJSF_SF_EEENSM_IJSG_SG_EEES6_PlJS6_EEE10hipError_tPvRmT3_T4_T5_T6_T7_T9_mT8_P12ihipStream_tbDpT10_ENKUlT_T0_E_clISt17integral_constantIbLb1EES18_IbLb0EEEEDaS14_S15_EUlS14_E_NS1_11comp_targetILNS1_3genE2ELNS1_11target_archE906ELNS1_3gpuE6ELNS1_3repE0EEENS1_30default_config_static_selectorELNS0_4arch9wavefront6targetE1EEEvT1_, .Lfunc_end437-_ZN7rocprim17ROCPRIM_400000_NS6detail17trampoline_kernelINS0_14default_configENS1_25partition_config_selectorILNS1_17partition_subalgoE1EiNS0_10empty_typeEbEEZZNS1_14partition_implILS5_1ELb0ES3_jN6thrust23THRUST_200600_302600_NS6detail15normal_iteratorINSA_10device_ptrIiEEEEPS6_NSA_18transform_iteratorI7is_evenIiESF_NSA_11use_defaultESK_EENS0_5tupleIJSF_SF_EEENSM_IJSG_SG_EEES6_PlJS6_EEE10hipError_tPvRmT3_T4_T5_T6_T7_T9_mT8_P12ihipStream_tbDpT10_ENKUlT_T0_E_clISt17integral_constantIbLb1EES18_IbLb0EEEEDaS14_S15_EUlS14_E_NS1_11comp_targetILNS1_3genE2ELNS1_11target_archE906ELNS1_3gpuE6ELNS1_3repE0EEENS1_30default_config_static_selectorELNS0_4arch9wavefront6targetE1EEEvT1_
                                        ; -- End function
	.section	.AMDGPU.csdata,"",@progbits
; Kernel info:
; codeLenInByte = 0
; NumSgprs: 6
; NumVgprs: 0
; NumAgprs: 0
; TotalNumVgprs: 0
; ScratchSize: 0
; MemoryBound: 0
; FloatMode: 240
; IeeeMode: 1
; LDSByteSize: 0 bytes/workgroup (compile time only)
; SGPRBlocks: 0
; VGPRBlocks: 0
; NumSGPRsForWavesPerEU: 6
; NumVGPRsForWavesPerEU: 1
; AccumOffset: 4
; Occupancy: 8
; WaveLimiterHint : 0
; COMPUTE_PGM_RSRC2:SCRATCH_EN: 0
; COMPUTE_PGM_RSRC2:USER_SGPR: 2
; COMPUTE_PGM_RSRC2:TRAP_HANDLER: 0
; COMPUTE_PGM_RSRC2:TGID_X_EN: 1
; COMPUTE_PGM_RSRC2:TGID_Y_EN: 0
; COMPUTE_PGM_RSRC2:TGID_Z_EN: 0
; COMPUTE_PGM_RSRC2:TIDIG_COMP_CNT: 0
; COMPUTE_PGM_RSRC3_GFX90A:ACCUM_OFFSET: 0
; COMPUTE_PGM_RSRC3_GFX90A:TG_SPLIT: 0
	.section	.text._ZN7rocprim17ROCPRIM_400000_NS6detail17trampoline_kernelINS0_14default_configENS1_25partition_config_selectorILNS1_17partition_subalgoE1EiNS0_10empty_typeEbEEZZNS1_14partition_implILS5_1ELb0ES3_jN6thrust23THRUST_200600_302600_NS6detail15normal_iteratorINSA_10device_ptrIiEEEEPS6_NSA_18transform_iteratorI7is_evenIiESF_NSA_11use_defaultESK_EENS0_5tupleIJSF_SF_EEENSM_IJSG_SG_EEES6_PlJS6_EEE10hipError_tPvRmT3_T4_T5_T6_T7_T9_mT8_P12ihipStream_tbDpT10_ENKUlT_T0_E_clISt17integral_constantIbLb1EES18_IbLb0EEEEDaS14_S15_EUlS14_E_NS1_11comp_targetILNS1_3genE10ELNS1_11target_archE1200ELNS1_3gpuE4ELNS1_3repE0EEENS1_30default_config_static_selectorELNS0_4arch9wavefront6targetE1EEEvT1_,"axG",@progbits,_ZN7rocprim17ROCPRIM_400000_NS6detail17trampoline_kernelINS0_14default_configENS1_25partition_config_selectorILNS1_17partition_subalgoE1EiNS0_10empty_typeEbEEZZNS1_14partition_implILS5_1ELb0ES3_jN6thrust23THRUST_200600_302600_NS6detail15normal_iteratorINSA_10device_ptrIiEEEEPS6_NSA_18transform_iteratorI7is_evenIiESF_NSA_11use_defaultESK_EENS0_5tupleIJSF_SF_EEENSM_IJSG_SG_EEES6_PlJS6_EEE10hipError_tPvRmT3_T4_T5_T6_T7_T9_mT8_P12ihipStream_tbDpT10_ENKUlT_T0_E_clISt17integral_constantIbLb1EES18_IbLb0EEEEDaS14_S15_EUlS14_E_NS1_11comp_targetILNS1_3genE10ELNS1_11target_archE1200ELNS1_3gpuE4ELNS1_3repE0EEENS1_30default_config_static_selectorELNS0_4arch9wavefront6targetE1EEEvT1_,comdat
	.protected	_ZN7rocprim17ROCPRIM_400000_NS6detail17trampoline_kernelINS0_14default_configENS1_25partition_config_selectorILNS1_17partition_subalgoE1EiNS0_10empty_typeEbEEZZNS1_14partition_implILS5_1ELb0ES3_jN6thrust23THRUST_200600_302600_NS6detail15normal_iteratorINSA_10device_ptrIiEEEEPS6_NSA_18transform_iteratorI7is_evenIiESF_NSA_11use_defaultESK_EENS0_5tupleIJSF_SF_EEENSM_IJSG_SG_EEES6_PlJS6_EEE10hipError_tPvRmT3_T4_T5_T6_T7_T9_mT8_P12ihipStream_tbDpT10_ENKUlT_T0_E_clISt17integral_constantIbLb1EES18_IbLb0EEEEDaS14_S15_EUlS14_E_NS1_11comp_targetILNS1_3genE10ELNS1_11target_archE1200ELNS1_3gpuE4ELNS1_3repE0EEENS1_30default_config_static_selectorELNS0_4arch9wavefront6targetE1EEEvT1_ ; -- Begin function _ZN7rocprim17ROCPRIM_400000_NS6detail17trampoline_kernelINS0_14default_configENS1_25partition_config_selectorILNS1_17partition_subalgoE1EiNS0_10empty_typeEbEEZZNS1_14partition_implILS5_1ELb0ES3_jN6thrust23THRUST_200600_302600_NS6detail15normal_iteratorINSA_10device_ptrIiEEEEPS6_NSA_18transform_iteratorI7is_evenIiESF_NSA_11use_defaultESK_EENS0_5tupleIJSF_SF_EEENSM_IJSG_SG_EEES6_PlJS6_EEE10hipError_tPvRmT3_T4_T5_T6_T7_T9_mT8_P12ihipStream_tbDpT10_ENKUlT_T0_E_clISt17integral_constantIbLb1EES18_IbLb0EEEEDaS14_S15_EUlS14_E_NS1_11comp_targetILNS1_3genE10ELNS1_11target_archE1200ELNS1_3gpuE4ELNS1_3repE0EEENS1_30default_config_static_selectorELNS0_4arch9wavefront6targetE1EEEvT1_
	.globl	_ZN7rocprim17ROCPRIM_400000_NS6detail17trampoline_kernelINS0_14default_configENS1_25partition_config_selectorILNS1_17partition_subalgoE1EiNS0_10empty_typeEbEEZZNS1_14partition_implILS5_1ELb0ES3_jN6thrust23THRUST_200600_302600_NS6detail15normal_iteratorINSA_10device_ptrIiEEEEPS6_NSA_18transform_iteratorI7is_evenIiESF_NSA_11use_defaultESK_EENS0_5tupleIJSF_SF_EEENSM_IJSG_SG_EEES6_PlJS6_EEE10hipError_tPvRmT3_T4_T5_T6_T7_T9_mT8_P12ihipStream_tbDpT10_ENKUlT_T0_E_clISt17integral_constantIbLb1EES18_IbLb0EEEEDaS14_S15_EUlS14_E_NS1_11comp_targetILNS1_3genE10ELNS1_11target_archE1200ELNS1_3gpuE4ELNS1_3repE0EEENS1_30default_config_static_selectorELNS0_4arch9wavefront6targetE1EEEvT1_
	.p2align	8
	.type	_ZN7rocprim17ROCPRIM_400000_NS6detail17trampoline_kernelINS0_14default_configENS1_25partition_config_selectorILNS1_17partition_subalgoE1EiNS0_10empty_typeEbEEZZNS1_14partition_implILS5_1ELb0ES3_jN6thrust23THRUST_200600_302600_NS6detail15normal_iteratorINSA_10device_ptrIiEEEEPS6_NSA_18transform_iteratorI7is_evenIiESF_NSA_11use_defaultESK_EENS0_5tupleIJSF_SF_EEENSM_IJSG_SG_EEES6_PlJS6_EEE10hipError_tPvRmT3_T4_T5_T6_T7_T9_mT8_P12ihipStream_tbDpT10_ENKUlT_T0_E_clISt17integral_constantIbLb1EES18_IbLb0EEEEDaS14_S15_EUlS14_E_NS1_11comp_targetILNS1_3genE10ELNS1_11target_archE1200ELNS1_3gpuE4ELNS1_3repE0EEENS1_30default_config_static_selectorELNS0_4arch9wavefront6targetE1EEEvT1_,@function
_ZN7rocprim17ROCPRIM_400000_NS6detail17trampoline_kernelINS0_14default_configENS1_25partition_config_selectorILNS1_17partition_subalgoE1EiNS0_10empty_typeEbEEZZNS1_14partition_implILS5_1ELb0ES3_jN6thrust23THRUST_200600_302600_NS6detail15normal_iteratorINSA_10device_ptrIiEEEEPS6_NSA_18transform_iteratorI7is_evenIiESF_NSA_11use_defaultESK_EENS0_5tupleIJSF_SF_EEENSM_IJSG_SG_EEES6_PlJS6_EEE10hipError_tPvRmT3_T4_T5_T6_T7_T9_mT8_P12ihipStream_tbDpT10_ENKUlT_T0_E_clISt17integral_constantIbLb1EES18_IbLb0EEEEDaS14_S15_EUlS14_E_NS1_11comp_targetILNS1_3genE10ELNS1_11target_archE1200ELNS1_3gpuE4ELNS1_3repE0EEENS1_30default_config_static_selectorELNS0_4arch9wavefront6targetE1EEEvT1_: ; @_ZN7rocprim17ROCPRIM_400000_NS6detail17trampoline_kernelINS0_14default_configENS1_25partition_config_selectorILNS1_17partition_subalgoE1EiNS0_10empty_typeEbEEZZNS1_14partition_implILS5_1ELb0ES3_jN6thrust23THRUST_200600_302600_NS6detail15normal_iteratorINSA_10device_ptrIiEEEEPS6_NSA_18transform_iteratorI7is_evenIiESF_NSA_11use_defaultESK_EENS0_5tupleIJSF_SF_EEENSM_IJSG_SG_EEES6_PlJS6_EEE10hipError_tPvRmT3_T4_T5_T6_T7_T9_mT8_P12ihipStream_tbDpT10_ENKUlT_T0_E_clISt17integral_constantIbLb1EES18_IbLb0EEEEDaS14_S15_EUlS14_E_NS1_11comp_targetILNS1_3genE10ELNS1_11target_archE1200ELNS1_3gpuE4ELNS1_3repE0EEENS1_30default_config_static_selectorELNS0_4arch9wavefront6targetE1EEEvT1_
; %bb.0:
	.section	.rodata,"a",@progbits
	.p2align	6, 0x0
	.amdhsa_kernel _ZN7rocprim17ROCPRIM_400000_NS6detail17trampoline_kernelINS0_14default_configENS1_25partition_config_selectorILNS1_17partition_subalgoE1EiNS0_10empty_typeEbEEZZNS1_14partition_implILS5_1ELb0ES3_jN6thrust23THRUST_200600_302600_NS6detail15normal_iteratorINSA_10device_ptrIiEEEEPS6_NSA_18transform_iteratorI7is_evenIiESF_NSA_11use_defaultESK_EENS0_5tupleIJSF_SF_EEENSM_IJSG_SG_EEES6_PlJS6_EEE10hipError_tPvRmT3_T4_T5_T6_T7_T9_mT8_P12ihipStream_tbDpT10_ENKUlT_T0_E_clISt17integral_constantIbLb1EES18_IbLb0EEEEDaS14_S15_EUlS14_E_NS1_11comp_targetILNS1_3genE10ELNS1_11target_archE1200ELNS1_3gpuE4ELNS1_3repE0EEENS1_30default_config_static_selectorELNS0_4arch9wavefront6targetE1EEEvT1_
		.amdhsa_group_segment_fixed_size 0
		.amdhsa_private_segment_fixed_size 0
		.amdhsa_kernarg_size 128
		.amdhsa_user_sgpr_count 2
		.amdhsa_user_sgpr_dispatch_ptr 0
		.amdhsa_user_sgpr_queue_ptr 0
		.amdhsa_user_sgpr_kernarg_segment_ptr 1
		.amdhsa_user_sgpr_dispatch_id 0
		.amdhsa_user_sgpr_kernarg_preload_length 0
		.amdhsa_user_sgpr_kernarg_preload_offset 0
		.amdhsa_user_sgpr_private_segment_size 0
		.amdhsa_uses_dynamic_stack 0
		.amdhsa_enable_private_segment 0
		.amdhsa_system_sgpr_workgroup_id_x 1
		.amdhsa_system_sgpr_workgroup_id_y 0
		.amdhsa_system_sgpr_workgroup_id_z 0
		.amdhsa_system_sgpr_workgroup_info 0
		.amdhsa_system_vgpr_workitem_id 0
		.amdhsa_next_free_vgpr 1
		.amdhsa_next_free_sgpr 0
		.amdhsa_accum_offset 4
		.amdhsa_reserve_vcc 0
		.amdhsa_float_round_mode_32 0
		.amdhsa_float_round_mode_16_64 0
		.amdhsa_float_denorm_mode_32 3
		.amdhsa_float_denorm_mode_16_64 3
		.amdhsa_dx10_clamp 1
		.amdhsa_ieee_mode 1
		.amdhsa_fp16_overflow 0
		.amdhsa_tg_split 0
		.amdhsa_exception_fp_ieee_invalid_op 0
		.amdhsa_exception_fp_denorm_src 0
		.amdhsa_exception_fp_ieee_div_zero 0
		.amdhsa_exception_fp_ieee_overflow 0
		.amdhsa_exception_fp_ieee_underflow 0
		.amdhsa_exception_fp_ieee_inexact 0
		.amdhsa_exception_int_div_zero 0
	.end_amdhsa_kernel
	.section	.text._ZN7rocprim17ROCPRIM_400000_NS6detail17trampoline_kernelINS0_14default_configENS1_25partition_config_selectorILNS1_17partition_subalgoE1EiNS0_10empty_typeEbEEZZNS1_14partition_implILS5_1ELb0ES3_jN6thrust23THRUST_200600_302600_NS6detail15normal_iteratorINSA_10device_ptrIiEEEEPS6_NSA_18transform_iteratorI7is_evenIiESF_NSA_11use_defaultESK_EENS0_5tupleIJSF_SF_EEENSM_IJSG_SG_EEES6_PlJS6_EEE10hipError_tPvRmT3_T4_T5_T6_T7_T9_mT8_P12ihipStream_tbDpT10_ENKUlT_T0_E_clISt17integral_constantIbLb1EES18_IbLb0EEEEDaS14_S15_EUlS14_E_NS1_11comp_targetILNS1_3genE10ELNS1_11target_archE1200ELNS1_3gpuE4ELNS1_3repE0EEENS1_30default_config_static_selectorELNS0_4arch9wavefront6targetE1EEEvT1_,"axG",@progbits,_ZN7rocprim17ROCPRIM_400000_NS6detail17trampoline_kernelINS0_14default_configENS1_25partition_config_selectorILNS1_17partition_subalgoE1EiNS0_10empty_typeEbEEZZNS1_14partition_implILS5_1ELb0ES3_jN6thrust23THRUST_200600_302600_NS6detail15normal_iteratorINSA_10device_ptrIiEEEEPS6_NSA_18transform_iteratorI7is_evenIiESF_NSA_11use_defaultESK_EENS0_5tupleIJSF_SF_EEENSM_IJSG_SG_EEES6_PlJS6_EEE10hipError_tPvRmT3_T4_T5_T6_T7_T9_mT8_P12ihipStream_tbDpT10_ENKUlT_T0_E_clISt17integral_constantIbLb1EES18_IbLb0EEEEDaS14_S15_EUlS14_E_NS1_11comp_targetILNS1_3genE10ELNS1_11target_archE1200ELNS1_3gpuE4ELNS1_3repE0EEENS1_30default_config_static_selectorELNS0_4arch9wavefront6targetE1EEEvT1_,comdat
.Lfunc_end438:
	.size	_ZN7rocprim17ROCPRIM_400000_NS6detail17trampoline_kernelINS0_14default_configENS1_25partition_config_selectorILNS1_17partition_subalgoE1EiNS0_10empty_typeEbEEZZNS1_14partition_implILS5_1ELb0ES3_jN6thrust23THRUST_200600_302600_NS6detail15normal_iteratorINSA_10device_ptrIiEEEEPS6_NSA_18transform_iteratorI7is_evenIiESF_NSA_11use_defaultESK_EENS0_5tupleIJSF_SF_EEENSM_IJSG_SG_EEES6_PlJS6_EEE10hipError_tPvRmT3_T4_T5_T6_T7_T9_mT8_P12ihipStream_tbDpT10_ENKUlT_T0_E_clISt17integral_constantIbLb1EES18_IbLb0EEEEDaS14_S15_EUlS14_E_NS1_11comp_targetILNS1_3genE10ELNS1_11target_archE1200ELNS1_3gpuE4ELNS1_3repE0EEENS1_30default_config_static_selectorELNS0_4arch9wavefront6targetE1EEEvT1_, .Lfunc_end438-_ZN7rocprim17ROCPRIM_400000_NS6detail17trampoline_kernelINS0_14default_configENS1_25partition_config_selectorILNS1_17partition_subalgoE1EiNS0_10empty_typeEbEEZZNS1_14partition_implILS5_1ELb0ES3_jN6thrust23THRUST_200600_302600_NS6detail15normal_iteratorINSA_10device_ptrIiEEEEPS6_NSA_18transform_iteratorI7is_evenIiESF_NSA_11use_defaultESK_EENS0_5tupleIJSF_SF_EEENSM_IJSG_SG_EEES6_PlJS6_EEE10hipError_tPvRmT3_T4_T5_T6_T7_T9_mT8_P12ihipStream_tbDpT10_ENKUlT_T0_E_clISt17integral_constantIbLb1EES18_IbLb0EEEEDaS14_S15_EUlS14_E_NS1_11comp_targetILNS1_3genE10ELNS1_11target_archE1200ELNS1_3gpuE4ELNS1_3repE0EEENS1_30default_config_static_selectorELNS0_4arch9wavefront6targetE1EEEvT1_
                                        ; -- End function
	.section	.AMDGPU.csdata,"",@progbits
; Kernel info:
; codeLenInByte = 0
; NumSgprs: 6
; NumVgprs: 0
; NumAgprs: 0
; TotalNumVgprs: 0
; ScratchSize: 0
; MemoryBound: 0
; FloatMode: 240
; IeeeMode: 1
; LDSByteSize: 0 bytes/workgroup (compile time only)
; SGPRBlocks: 0
; VGPRBlocks: 0
; NumSGPRsForWavesPerEU: 6
; NumVGPRsForWavesPerEU: 1
; AccumOffset: 4
; Occupancy: 8
; WaveLimiterHint : 0
; COMPUTE_PGM_RSRC2:SCRATCH_EN: 0
; COMPUTE_PGM_RSRC2:USER_SGPR: 2
; COMPUTE_PGM_RSRC2:TRAP_HANDLER: 0
; COMPUTE_PGM_RSRC2:TGID_X_EN: 1
; COMPUTE_PGM_RSRC2:TGID_Y_EN: 0
; COMPUTE_PGM_RSRC2:TGID_Z_EN: 0
; COMPUTE_PGM_RSRC2:TIDIG_COMP_CNT: 0
; COMPUTE_PGM_RSRC3_GFX90A:ACCUM_OFFSET: 0
; COMPUTE_PGM_RSRC3_GFX90A:TG_SPLIT: 0
	.section	.text._ZN7rocprim17ROCPRIM_400000_NS6detail17trampoline_kernelINS0_14default_configENS1_25partition_config_selectorILNS1_17partition_subalgoE1EiNS0_10empty_typeEbEEZZNS1_14partition_implILS5_1ELb0ES3_jN6thrust23THRUST_200600_302600_NS6detail15normal_iteratorINSA_10device_ptrIiEEEEPS6_NSA_18transform_iteratorI7is_evenIiESF_NSA_11use_defaultESK_EENS0_5tupleIJSF_SF_EEENSM_IJSG_SG_EEES6_PlJS6_EEE10hipError_tPvRmT3_T4_T5_T6_T7_T9_mT8_P12ihipStream_tbDpT10_ENKUlT_T0_E_clISt17integral_constantIbLb1EES18_IbLb0EEEEDaS14_S15_EUlS14_E_NS1_11comp_targetILNS1_3genE9ELNS1_11target_archE1100ELNS1_3gpuE3ELNS1_3repE0EEENS1_30default_config_static_selectorELNS0_4arch9wavefront6targetE1EEEvT1_,"axG",@progbits,_ZN7rocprim17ROCPRIM_400000_NS6detail17trampoline_kernelINS0_14default_configENS1_25partition_config_selectorILNS1_17partition_subalgoE1EiNS0_10empty_typeEbEEZZNS1_14partition_implILS5_1ELb0ES3_jN6thrust23THRUST_200600_302600_NS6detail15normal_iteratorINSA_10device_ptrIiEEEEPS6_NSA_18transform_iteratorI7is_evenIiESF_NSA_11use_defaultESK_EENS0_5tupleIJSF_SF_EEENSM_IJSG_SG_EEES6_PlJS6_EEE10hipError_tPvRmT3_T4_T5_T6_T7_T9_mT8_P12ihipStream_tbDpT10_ENKUlT_T0_E_clISt17integral_constantIbLb1EES18_IbLb0EEEEDaS14_S15_EUlS14_E_NS1_11comp_targetILNS1_3genE9ELNS1_11target_archE1100ELNS1_3gpuE3ELNS1_3repE0EEENS1_30default_config_static_selectorELNS0_4arch9wavefront6targetE1EEEvT1_,comdat
	.protected	_ZN7rocprim17ROCPRIM_400000_NS6detail17trampoline_kernelINS0_14default_configENS1_25partition_config_selectorILNS1_17partition_subalgoE1EiNS0_10empty_typeEbEEZZNS1_14partition_implILS5_1ELb0ES3_jN6thrust23THRUST_200600_302600_NS6detail15normal_iteratorINSA_10device_ptrIiEEEEPS6_NSA_18transform_iteratorI7is_evenIiESF_NSA_11use_defaultESK_EENS0_5tupleIJSF_SF_EEENSM_IJSG_SG_EEES6_PlJS6_EEE10hipError_tPvRmT3_T4_T5_T6_T7_T9_mT8_P12ihipStream_tbDpT10_ENKUlT_T0_E_clISt17integral_constantIbLb1EES18_IbLb0EEEEDaS14_S15_EUlS14_E_NS1_11comp_targetILNS1_3genE9ELNS1_11target_archE1100ELNS1_3gpuE3ELNS1_3repE0EEENS1_30default_config_static_selectorELNS0_4arch9wavefront6targetE1EEEvT1_ ; -- Begin function _ZN7rocprim17ROCPRIM_400000_NS6detail17trampoline_kernelINS0_14default_configENS1_25partition_config_selectorILNS1_17partition_subalgoE1EiNS0_10empty_typeEbEEZZNS1_14partition_implILS5_1ELb0ES3_jN6thrust23THRUST_200600_302600_NS6detail15normal_iteratorINSA_10device_ptrIiEEEEPS6_NSA_18transform_iteratorI7is_evenIiESF_NSA_11use_defaultESK_EENS0_5tupleIJSF_SF_EEENSM_IJSG_SG_EEES6_PlJS6_EEE10hipError_tPvRmT3_T4_T5_T6_T7_T9_mT8_P12ihipStream_tbDpT10_ENKUlT_T0_E_clISt17integral_constantIbLb1EES18_IbLb0EEEEDaS14_S15_EUlS14_E_NS1_11comp_targetILNS1_3genE9ELNS1_11target_archE1100ELNS1_3gpuE3ELNS1_3repE0EEENS1_30default_config_static_selectorELNS0_4arch9wavefront6targetE1EEEvT1_
	.globl	_ZN7rocprim17ROCPRIM_400000_NS6detail17trampoline_kernelINS0_14default_configENS1_25partition_config_selectorILNS1_17partition_subalgoE1EiNS0_10empty_typeEbEEZZNS1_14partition_implILS5_1ELb0ES3_jN6thrust23THRUST_200600_302600_NS6detail15normal_iteratorINSA_10device_ptrIiEEEEPS6_NSA_18transform_iteratorI7is_evenIiESF_NSA_11use_defaultESK_EENS0_5tupleIJSF_SF_EEENSM_IJSG_SG_EEES6_PlJS6_EEE10hipError_tPvRmT3_T4_T5_T6_T7_T9_mT8_P12ihipStream_tbDpT10_ENKUlT_T0_E_clISt17integral_constantIbLb1EES18_IbLb0EEEEDaS14_S15_EUlS14_E_NS1_11comp_targetILNS1_3genE9ELNS1_11target_archE1100ELNS1_3gpuE3ELNS1_3repE0EEENS1_30default_config_static_selectorELNS0_4arch9wavefront6targetE1EEEvT1_
	.p2align	8
	.type	_ZN7rocprim17ROCPRIM_400000_NS6detail17trampoline_kernelINS0_14default_configENS1_25partition_config_selectorILNS1_17partition_subalgoE1EiNS0_10empty_typeEbEEZZNS1_14partition_implILS5_1ELb0ES3_jN6thrust23THRUST_200600_302600_NS6detail15normal_iteratorINSA_10device_ptrIiEEEEPS6_NSA_18transform_iteratorI7is_evenIiESF_NSA_11use_defaultESK_EENS0_5tupleIJSF_SF_EEENSM_IJSG_SG_EEES6_PlJS6_EEE10hipError_tPvRmT3_T4_T5_T6_T7_T9_mT8_P12ihipStream_tbDpT10_ENKUlT_T0_E_clISt17integral_constantIbLb1EES18_IbLb0EEEEDaS14_S15_EUlS14_E_NS1_11comp_targetILNS1_3genE9ELNS1_11target_archE1100ELNS1_3gpuE3ELNS1_3repE0EEENS1_30default_config_static_selectorELNS0_4arch9wavefront6targetE1EEEvT1_,@function
_ZN7rocprim17ROCPRIM_400000_NS6detail17trampoline_kernelINS0_14default_configENS1_25partition_config_selectorILNS1_17partition_subalgoE1EiNS0_10empty_typeEbEEZZNS1_14partition_implILS5_1ELb0ES3_jN6thrust23THRUST_200600_302600_NS6detail15normal_iteratorINSA_10device_ptrIiEEEEPS6_NSA_18transform_iteratorI7is_evenIiESF_NSA_11use_defaultESK_EENS0_5tupleIJSF_SF_EEENSM_IJSG_SG_EEES6_PlJS6_EEE10hipError_tPvRmT3_T4_T5_T6_T7_T9_mT8_P12ihipStream_tbDpT10_ENKUlT_T0_E_clISt17integral_constantIbLb1EES18_IbLb0EEEEDaS14_S15_EUlS14_E_NS1_11comp_targetILNS1_3genE9ELNS1_11target_archE1100ELNS1_3gpuE3ELNS1_3repE0EEENS1_30default_config_static_selectorELNS0_4arch9wavefront6targetE1EEEvT1_: ; @_ZN7rocprim17ROCPRIM_400000_NS6detail17trampoline_kernelINS0_14default_configENS1_25partition_config_selectorILNS1_17partition_subalgoE1EiNS0_10empty_typeEbEEZZNS1_14partition_implILS5_1ELb0ES3_jN6thrust23THRUST_200600_302600_NS6detail15normal_iteratorINSA_10device_ptrIiEEEEPS6_NSA_18transform_iteratorI7is_evenIiESF_NSA_11use_defaultESK_EENS0_5tupleIJSF_SF_EEENSM_IJSG_SG_EEES6_PlJS6_EEE10hipError_tPvRmT3_T4_T5_T6_T7_T9_mT8_P12ihipStream_tbDpT10_ENKUlT_T0_E_clISt17integral_constantIbLb1EES18_IbLb0EEEEDaS14_S15_EUlS14_E_NS1_11comp_targetILNS1_3genE9ELNS1_11target_archE1100ELNS1_3gpuE3ELNS1_3repE0EEENS1_30default_config_static_selectorELNS0_4arch9wavefront6targetE1EEEvT1_
; %bb.0:
	.section	.rodata,"a",@progbits
	.p2align	6, 0x0
	.amdhsa_kernel _ZN7rocprim17ROCPRIM_400000_NS6detail17trampoline_kernelINS0_14default_configENS1_25partition_config_selectorILNS1_17partition_subalgoE1EiNS0_10empty_typeEbEEZZNS1_14partition_implILS5_1ELb0ES3_jN6thrust23THRUST_200600_302600_NS6detail15normal_iteratorINSA_10device_ptrIiEEEEPS6_NSA_18transform_iteratorI7is_evenIiESF_NSA_11use_defaultESK_EENS0_5tupleIJSF_SF_EEENSM_IJSG_SG_EEES6_PlJS6_EEE10hipError_tPvRmT3_T4_T5_T6_T7_T9_mT8_P12ihipStream_tbDpT10_ENKUlT_T0_E_clISt17integral_constantIbLb1EES18_IbLb0EEEEDaS14_S15_EUlS14_E_NS1_11comp_targetILNS1_3genE9ELNS1_11target_archE1100ELNS1_3gpuE3ELNS1_3repE0EEENS1_30default_config_static_selectorELNS0_4arch9wavefront6targetE1EEEvT1_
		.amdhsa_group_segment_fixed_size 0
		.amdhsa_private_segment_fixed_size 0
		.amdhsa_kernarg_size 128
		.amdhsa_user_sgpr_count 2
		.amdhsa_user_sgpr_dispatch_ptr 0
		.amdhsa_user_sgpr_queue_ptr 0
		.amdhsa_user_sgpr_kernarg_segment_ptr 1
		.amdhsa_user_sgpr_dispatch_id 0
		.amdhsa_user_sgpr_kernarg_preload_length 0
		.amdhsa_user_sgpr_kernarg_preload_offset 0
		.amdhsa_user_sgpr_private_segment_size 0
		.amdhsa_uses_dynamic_stack 0
		.amdhsa_enable_private_segment 0
		.amdhsa_system_sgpr_workgroup_id_x 1
		.amdhsa_system_sgpr_workgroup_id_y 0
		.amdhsa_system_sgpr_workgroup_id_z 0
		.amdhsa_system_sgpr_workgroup_info 0
		.amdhsa_system_vgpr_workitem_id 0
		.amdhsa_next_free_vgpr 1
		.amdhsa_next_free_sgpr 0
		.amdhsa_accum_offset 4
		.amdhsa_reserve_vcc 0
		.amdhsa_float_round_mode_32 0
		.amdhsa_float_round_mode_16_64 0
		.amdhsa_float_denorm_mode_32 3
		.amdhsa_float_denorm_mode_16_64 3
		.amdhsa_dx10_clamp 1
		.amdhsa_ieee_mode 1
		.amdhsa_fp16_overflow 0
		.amdhsa_tg_split 0
		.amdhsa_exception_fp_ieee_invalid_op 0
		.amdhsa_exception_fp_denorm_src 0
		.amdhsa_exception_fp_ieee_div_zero 0
		.amdhsa_exception_fp_ieee_overflow 0
		.amdhsa_exception_fp_ieee_underflow 0
		.amdhsa_exception_fp_ieee_inexact 0
		.amdhsa_exception_int_div_zero 0
	.end_amdhsa_kernel
	.section	.text._ZN7rocprim17ROCPRIM_400000_NS6detail17trampoline_kernelINS0_14default_configENS1_25partition_config_selectorILNS1_17partition_subalgoE1EiNS0_10empty_typeEbEEZZNS1_14partition_implILS5_1ELb0ES3_jN6thrust23THRUST_200600_302600_NS6detail15normal_iteratorINSA_10device_ptrIiEEEEPS6_NSA_18transform_iteratorI7is_evenIiESF_NSA_11use_defaultESK_EENS0_5tupleIJSF_SF_EEENSM_IJSG_SG_EEES6_PlJS6_EEE10hipError_tPvRmT3_T4_T5_T6_T7_T9_mT8_P12ihipStream_tbDpT10_ENKUlT_T0_E_clISt17integral_constantIbLb1EES18_IbLb0EEEEDaS14_S15_EUlS14_E_NS1_11comp_targetILNS1_3genE9ELNS1_11target_archE1100ELNS1_3gpuE3ELNS1_3repE0EEENS1_30default_config_static_selectorELNS0_4arch9wavefront6targetE1EEEvT1_,"axG",@progbits,_ZN7rocprim17ROCPRIM_400000_NS6detail17trampoline_kernelINS0_14default_configENS1_25partition_config_selectorILNS1_17partition_subalgoE1EiNS0_10empty_typeEbEEZZNS1_14partition_implILS5_1ELb0ES3_jN6thrust23THRUST_200600_302600_NS6detail15normal_iteratorINSA_10device_ptrIiEEEEPS6_NSA_18transform_iteratorI7is_evenIiESF_NSA_11use_defaultESK_EENS0_5tupleIJSF_SF_EEENSM_IJSG_SG_EEES6_PlJS6_EEE10hipError_tPvRmT3_T4_T5_T6_T7_T9_mT8_P12ihipStream_tbDpT10_ENKUlT_T0_E_clISt17integral_constantIbLb1EES18_IbLb0EEEEDaS14_S15_EUlS14_E_NS1_11comp_targetILNS1_3genE9ELNS1_11target_archE1100ELNS1_3gpuE3ELNS1_3repE0EEENS1_30default_config_static_selectorELNS0_4arch9wavefront6targetE1EEEvT1_,comdat
.Lfunc_end439:
	.size	_ZN7rocprim17ROCPRIM_400000_NS6detail17trampoline_kernelINS0_14default_configENS1_25partition_config_selectorILNS1_17partition_subalgoE1EiNS0_10empty_typeEbEEZZNS1_14partition_implILS5_1ELb0ES3_jN6thrust23THRUST_200600_302600_NS6detail15normal_iteratorINSA_10device_ptrIiEEEEPS6_NSA_18transform_iteratorI7is_evenIiESF_NSA_11use_defaultESK_EENS0_5tupleIJSF_SF_EEENSM_IJSG_SG_EEES6_PlJS6_EEE10hipError_tPvRmT3_T4_T5_T6_T7_T9_mT8_P12ihipStream_tbDpT10_ENKUlT_T0_E_clISt17integral_constantIbLb1EES18_IbLb0EEEEDaS14_S15_EUlS14_E_NS1_11comp_targetILNS1_3genE9ELNS1_11target_archE1100ELNS1_3gpuE3ELNS1_3repE0EEENS1_30default_config_static_selectorELNS0_4arch9wavefront6targetE1EEEvT1_, .Lfunc_end439-_ZN7rocprim17ROCPRIM_400000_NS6detail17trampoline_kernelINS0_14default_configENS1_25partition_config_selectorILNS1_17partition_subalgoE1EiNS0_10empty_typeEbEEZZNS1_14partition_implILS5_1ELb0ES3_jN6thrust23THRUST_200600_302600_NS6detail15normal_iteratorINSA_10device_ptrIiEEEEPS6_NSA_18transform_iteratorI7is_evenIiESF_NSA_11use_defaultESK_EENS0_5tupleIJSF_SF_EEENSM_IJSG_SG_EEES6_PlJS6_EEE10hipError_tPvRmT3_T4_T5_T6_T7_T9_mT8_P12ihipStream_tbDpT10_ENKUlT_T0_E_clISt17integral_constantIbLb1EES18_IbLb0EEEEDaS14_S15_EUlS14_E_NS1_11comp_targetILNS1_3genE9ELNS1_11target_archE1100ELNS1_3gpuE3ELNS1_3repE0EEENS1_30default_config_static_selectorELNS0_4arch9wavefront6targetE1EEEvT1_
                                        ; -- End function
	.section	.AMDGPU.csdata,"",@progbits
; Kernel info:
; codeLenInByte = 0
; NumSgprs: 6
; NumVgprs: 0
; NumAgprs: 0
; TotalNumVgprs: 0
; ScratchSize: 0
; MemoryBound: 0
; FloatMode: 240
; IeeeMode: 1
; LDSByteSize: 0 bytes/workgroup (compile time only)
; SGPRBlocks: 0
; VGPRBlocks: 0
; NumSGPRsForWavesPerEU: 6
; NumVGPRsForWavesPerEU: 1
; AccumOffset: 4
; Occupancy: 8
; WaveLimiterHint : 0
; COMPUTE_PGM_RSRC2:SCRATCH_EN: 0
; COMPUTE_PGM_RSRC2:USER_SGPR: 2
; COMPUTE_PGM_RSRC2:TRAP_HANDLER: 0
; COMPUTE_PGM_RSRC2:TGID_X_EN: 1
; COMPUTE_PGM_RSRC2:TGID_Y_EN: 0
; COMPUTE_PGM_RSRC2:TGID_Z_EN: 0
; COMPUTE_PGM_RSRC2:TIDIG_COMP_CNT: 0
; COMPUTE_PGM_RSRC3_GFX90A:ACCUM_OFFSET: 0
; COMPUTE_PGM_RSRC3_GFX90A:TG_SPLIT: 0
	.section	.text._ZN7rocprim17ROCPRIM_400000_NS6detail17trampoline_kernelINS0_14default_configENS1_25partition_config_selectorILNS1_17partition_subalgoE1EiNS0_10empty_typeEbEEZZNS1_14partition_implILS5_1ELb0ES3_jN6thrust23THRUST_200600_302600_NS6detail15normal_iteratorINSA_10device_ptrIiEEEEPS6_NSA_18transform_iteratorI7is_evenIiESF_NSA_11use_defaultESK_EENS0_5tupleIJSF_SF_EEENSM_IJSG_SG_EEES6_PlJS6_EEE10hipError_tPvRmT3_T4_T5_T6_T7_T9_mT8_P12ihipStream_tbDpT10_ENKUlT_T0_E_clISt17integral_constantIbLb1EES18_IbLb0EEEEDaS14_S15_EUlS14_E_NS1_11comp_targetILNS1_3genE8ELNS1_11target_archE1030ELNS1_3gpuE2ELNS1_3repE0EEENS1_30default_config_static_selectorELNS0_4arch9wavefront6targetE1EEEvT1_,"axG",@progbits,_ZN7rocprim17ROCPRIM_400000_NS6detail17trampoline_kernelINS0_14default_configENS1_25partition_config_selectorILNS1_17partition_subalgoE1EiNS0_10empty_typeEbEEZZNS1_14partition_implILS5_1ELb0ES3_jN6thrust23THRUST_200600_302600_NS6detail15normal_iteratorINSA_10device_ptrIiEEEEPS6_NSA_18transform_iteratorI7is_evenIiESF_NSA_11use_defaultESK_EENS0_5tupleIJSF_SF_EEENSM_IJSG_SG_EEES6_PlJS6_EEE10hipError_tPvRmT3_T4_T5_T6_T7_T9_mT8_P12ihipStream_tbDpT10_ENKUlT_T0_E_clISt17integral_constantIbLb1EES18_IbLb0EEEEDaS14_S15_EUlS14_E_NS1_11comp_targetILNS1_3genE8ELNS1_11target_archE1030ELNS1_3gpuE2ELNS1_3repE0EEENS1_30default_config_static_selectorELNS0_4arch9wavefront6targetE1EEEvT1_,comdat
	.protected	_ZN7rocprim17ROCPRIM_400000_NS6detail17trampoline_kernelINS0_14default_configENS1_25partition_config_selectorILNS1_17partition_subalgoE1EiNS0_10empty_typeEbEEZZNS1_14partition_implILS5_1ELb0ES3_jN6thrust23THRUST_200600_302600_NS6detail15normal_iteratorINSA_10device_ptrIiEEEEPS6_NSA_18transform_iteratorI7is_evenIiESF_NSA_11use_defaultESK_EENS0_5tupleIJSF_SF_EEENSM_IJSG_SG_EEES6_PlJS6_EEE10hipError_tPvRmT3_T4_T5_T6_T7_T9_mT8_P12ihipStream_tbDpT10_ENKUlT_T0_E_clISt17integral_constantIbLb1EES18_IbLb0EEEEDaS14_S15_EUlS14_E_NS1_11comp_targetILNS1_3genE8ELNS1_11target_archE1030ELNS1_3gpuE2ELNS1_3repE0EEENS1_30default_config_static_selectorELNS0_4arch9wavefront6targetE1EEEvT1_ ; -- Begin function _ZN7rocprim17ROCPRIM_400000_NS6detail17trampoline_kernelINS0_14default_configENS1_25partition_config_selectorILNS1_17partition_subalgoE1EiNS0_10empty_typeEbEEZZNS1_14partition_implILS5_1ELb0ES3_jN6thrust23THRUST_200600_302600_NS6detail15normal_iteratorINSA_10device_ptrIiEEEEPS6_NSA_18transform_iteratorI7is_evenIiESF_NSA_11use_defaultESK_EENS0_5tupleIJSF_SF_EEENSM_IJSG_SG_EEES6_PlJS6_EEE10hipError_tPvRmT3_T4_T5_T6_T7_T9_mT8_P12ihipStream_tbDpT10_ENKUlT_T0_E_clISt17integral_constantIbLb1EES18_IbLb0EEEEDaS14_S15_EUlS14_E_NS1_11comp_targetILNS1_3genE8ELNS1_11target_archE1030ELNS1_3gpuE2ELNS1_3repE0EEENS1_30default_config_static_selectorELNS0_4arch9wavefront6targetE1EEEvT1_
	.globl	_ZN7rocprim17ROCPRIM_400000_NS6detail17trampoline_kernelINS0_14default_configENS1_25partition_config_selectorILNS1_17partition_subalgoE1EiNS0_10empty_typeEbEEZZNS1_14partition_implILS5_1ELb0ES3_jN6thrust23THRUST_200600_302600_NS6detail15normal_iteratorINSA_10device_ptrIiEEEEPS6_NSA_18transform_iteratorI7is_evenIiESF_NSA_11use_defaultESK_EENS0_5tupleIJSF_SF_EEENSM_IJSG_SG_EEES6_PlJS6_EEE10hipError_tPvRmT3_T4_T5_T6_T7_T9_mT8_P12ihipStream_tbDpT10_ENKUlT_T0_E_clISt17integral_constantIbLb1EES18_IbLb0EEEEDaS14_S15_EUlS14_E_NS1_11comp_targetILNS1_3genE8ELNS1_11target_archE1030ELNS1_3gpuE2ELNS1_3repE0EEENS1_30default_config_static_selectorELNS0_4arch9wavefront6targetE1EEEvT1_
	.p2align	8
	.type	_ZN7rocprim17ROCPRIM_400000_NS6detail17trampoline_kernelINS0_14default_configENS1_25partition_config_selectorILNS1_17partition_subalgoE1EiNS0_10empty_typeEbEEZZNS1_14partition_implILS5_1ELb0ES3_jN6thrust23THRUST_200600_302600_NS6detail15normal_iteratorINSA_10device_ptrIiEEEEPS6_NSA_18transform_iteratorI7is_evenIiESF_NSA_11use_defaultESK_EENS0_5tupleIJSF_SF_EEENSM_IJSG_SG_EEES6_PlJS6_EEE10hipError_tPvRmT3_T4_T5_T6_T7_T9_mT8_P12ihipStream_tbDpT10_ENKUlT_T0_E_clISt17integral_constantIbLb1EES18_IbLb0EEEEDaS14_S15_EUlS14_E_NS1_11comp_targetILNS1_3genE8ELNS1_11target_archE1030ELNS1_3gpuE2ELNS1_3repE0EEENS1_30default_config_static_selectorELNS0_4arch9wavefront6targetE1EEEvT1_,@function
_ZN7rocprim17ROCPRIM_400000_NS6detail17trampoline_kernelINS0_14default_configENS1_25partition_config_selectorILNS1_17partition_subalgoE1EiNS0_10empty_typeEbEEZZNS1_14partition_implILS5_1ELb0ES3_jN6thrust23THRUST_200600_302600_NS6detail15normal_iteratorINSA_10device_ptrIiEEEEPS6_NSA_18transform_iteratorI7is_evenIiESF_NSA_11use_defaultESK_EENS0_5tupleIJSF_SF_EEENSM_IJSG_SG_EEES6_PlJS6_EEE10hipError_tPvRmT3_T4_T5_T6_T7_T9_mT8_P12ihipStream_tbDpT10_ENKUlT_T0_E_clISt17integral_constantIbLb1EES18_IbLb0EEEEDaS14_S15_EUlS14_E_NS1_11comp_targetILNS1_3genE8ELNS1_11target_archE1030ELNS1_3gpuE2ELNS1_3repE0EEENS1_30default_config_static_selectorELNS0_4arch9wavefront6targetE1EEEvT1_: ; @_ZN7rocprim17ROCPRIM_400000_NS6detail17trampoline_kernelINS0_14default_configENS1_25partition_config_selectorILNS1_17partition_subalgoE1EiNS0_10empty_typeEbEEZZNS1_14partition_implILS5_1ELb0ES3_jN6thrust23THRUST_200600_302600_NS6detail15normal_iteratorINSA_10device_ptrIiEEEEPS6_NSA_18transform_iteratorI7is_evenIiESF_NSA_11use_defaultESK_EENS0_5tupleIJSF_SF_EEENSM_IJSG_SG_EEES6_PlJS6_EEE10hipError_tPvRmT3_T4_T5_T6_T7_T9_mT8_P12ihipStream_tbDpT10_ENKUlT_T0_E_clISt17integral_constantIbLb1EES18_IbLb0EEEEDaS14_S15_EUlS14_E_NS1_11comp_targetILNS1_3genE8ELNS1_11target_archE1030ELNS1_3gpuE2ELNS1_3repE0EEENS1_30default_config_static_selectorELNS0_4arch9wavefront6targetE1EEEvT1_
; %bb.0:
	.section	.rodata,"a",@progbits
	.p2align	6, 0x0
	.amdhsa_kernel _ZN7rocprim17ROCPRIM_400000_NS6detail17trampoline_kernelINS0_14default_configENS1_25partition_config_selectorILNS1_17partition_subalgoE1EiNS0_10empty_typeEbEEZZNS1_14partition_implILS5_1ELb0ES3_jN6thrust23THRUST_200600_302600_NS6detail15normal_iteratorINSA_10device_ptrIiEEEEPS6_NSA_18transform_iteratorI7is_evenIiESF_NSA_11use_defaultESK_EENS0_5tupleIJSF_SF_EEENSM_IJSG_SG_EEES6_PlJS6_EEE10hipError_tPvRmT3_T4_T5_T6_T7_T9_mT8_P12ihipStream_tbDpT10_ENKUlT_T0_E_clISt17integral_constantIbLb1EES18_IbLb0EEEEDaS14_S15_EUlS14_E_NS1_11comp_targetILNS1_3genE8ELNS1_11target_archE1030ELNS1_3gpuE2ELNS1_3repE0EEENS1_30default_config_static_selectorELNS0_4arch9wavefront6targetE1EEEvT1_
		.amdhsa_group_segment_fixed_size 0
		.amdhsa_private_segment_fixed_size 0
		.amdhsa_kernarg_size 128
		.amdhsa_user_sgpr_count 2
		.amdhsa_user_sgpr_dispatch_ptr 0
		.amdhsa_user_sgpr_queue_ptr 0
		.amdhsa_user_sgpr_kernarg_segment_ptr 1
		.amdhsa_user_sgpr_dispatch_id 0
		.amdhsa_user_sgpr_kernarg_preload_length 0
		.amdhsa_user_sgpr_kernarg_preload_offset 0
		.amdhsa_user_sgpr_private_segment_size 0
		.amdhsa_uses_dynamic_stack 0
		.amdhsa_enable_private_segment 0
		.amdhsa_system_sgpr_workgroup_id_x 1
		.amdhsa_system_sgpr_workgroup_id_y 0
		.amdhsa_system_sgpr_workgroup_id_z 0
		.amdhsa_system_sgpr_workgroup_info 0
		.amdhsa_system_vgpr_workitem_id 0
		.amdhsa_next_free_vgpr 1
		.amdhsa_next_free_sgpr 0
		.amdhsa_accum_offset 4
		.amdhsa_reserve_vcc 0
		.amdhsa_float_round_mode_32 0
		.amdhsa_float_round_mode_16_64 0
		.amdhsa_float_denorm_mode_32 3
		.amdhsa_float_denorm_mode_16_64 3
		.amdhsa_dx10_clamp 1
		.amdhsa_ieee_mode 1
		.amdhsa_fp16_overflow 0
		.amdhsa_tg_split 0
		.amdhsa_exception_fp_ieee_invalid_op 0
		.amdhsa_exception_fp_denorm_src 0
		.amdhsa_exception_fp_ieee_div_zero 0
		.amdhsa_exception_fp_ieee_overflow 0
		.amdhsa_exception_fp_ieee_underflow 0
		.amdhsa_exception_fp_ieee_inexact 0
		.amdhsa_exception_int_div_zero 0
	.end_amdhsa_kernel
	.section	.text._ZN7rocprim17ROCPRIM_400000_NS6detail17trampoline_kernelINS0_14default_configENS1_25partition_config_selectorILNS1_17partition_subalgoE1EiNS0_10empty_typeEbEEZZNS1_14partition_implILS5_1ELb0ES3_jN6thrust23THRUST_200600_302600_NS6detail15normal_iteratorINSA_10device_ptrIiEEEEPS6_NSA_18transform_iteratorI7is_evenIiESF_NSA_11use_defaultESK_EENS0_5tupleIJSF_SF_EEENSM_IJSG_SG_EEES6_PlJS6_EEE10hipError_tPvRmT3_T4_T5_T6_T7_T9_mT8_P12ihipStream_tbDpT10_ENKUlT_T0_E_clISt17integral_constantIbLb1EES18_IbLb0EEEEDaS14_S15_EUlS14_E_NS1_11comp_targetILNS1_3genE8ELNS1_11target_archE1030ELNS1_3gpuE2ELNS1_3repE0EEENS1_30default_config_static_selectorELNS0_4arch9wavefront6targetE1EEEvT1_,"axG",@progbits,_ZN7rocprim17ROCPRIM_400000_NS6detail17trampoline_kernelINS0_14default_configENS1_25partition_config_selectorILNS1_17partition_subalgoE1EiNS0_10empty_typeEbEEZZNS1_14partition_implILS5_1ELb0ES3_jN6thrust23THRUST_200600_302600_NS6detail15normal_iteratorINSA_10device_ptrIiEEEEPS6_NSA_18transform_iteratorI7is_evenIiESF_NSA_11use_defaultESK_EENS0_5tupleIJSF_SF_EEENSM_IJSG_SG_EEES6_PlJS6_EEE10hipError_tPvRmT3_T4_T5_T6_T7_T9_mT8_P12ihipStream_tbDpT10_ENKUlT_T0_E_clISt17integral_constantIbLb1EES18_IbLb0EEEEDaS14_S15_EUlS14_E_NS1_11comp_targetILNS1_3genE8ELNS1_11target_archE1030ELNS1_3gpuE2ELNS1_3repE0EEENS1_30default_config_static_selectorELNS0_4arch9wavefront6targetE1EEEvT1_,comdat
.Lfunc_end440:
	.size	_ZN7rocprim17ROCPRIM_400000_NS6detail17trampoline_kernelINS0_14default_configENS1_25partition_config_selectorILNS1_17partition_subalgoE1EiNS0_10empty_typeEbEEZZNS1_14partition_implILS5_1ELb0ES3_jN6thrust23THRUST_200600_302600_NS6detail15normal_iteratorINSA_10device_ptrIiEEEEPS6_NSA_18transform_iteratorI7is_evenIiESF_NSA_11use_defaultESK_EENS0_5tupleIJSF_SF_EEENSM_IJSG_SG_EEES6_PlJS6_EEE10hipError_tPvRmT3_T4_T5_T6_T7_T9_mT8_P12ihipStream_tbDpT10_ENKUlT_T0_E_clISt17integral_constantIbLb1EES18_IbLb0EEEEDaS14_S15_EUlS14_E_NS1_11comp_targetILNS1_3genE8ELNS1_11target_archE1030ELNS1_3gpuE2ELNS1_3repE0EEENS1_30default_config_static_selectorELNS0_4arch9wavefront6targetE1EEEvT1_, .Lfunc_end440-_ZN7rocprim17ROCPRIM_400000_NS6detail17trampoline_kernelINS0_14default_configENS1_25partition_config_selectorILNS1_17partition_subalgoE1EiNS0_10empty_typeEbEEZZNS1_14partition_implILS5_1ELb0ES3_jN6thrust23THRUST_200600_302600_NS6detail15normal_iteratorINSA_10device_ptrIiEEEEPS6_NSA_18transform_iteratorI7is_evenIiESF_NSA_11use_defaultESK_EENS0_5tupleIJSF_SF_EEENSM_IJSG_SG_EEES6_PlJS6_EEE10hipError_tPvRmT3_T4_T5_T6_T7_T9_mT8_P12ihipStream_tbDpT10_ENKUlT_T0_E_clISt17integral_constantIbLb1EES18_IbLb0EEEEDaS14_S15_EUlS14_E_NS1_11comp_targetILNS1_3genE8ELNS1_11target_archE1030ELNS1_3gpuE2ELNS1_3repE0EEENS1_30default_config_static_selectorELNS0_4arch9wavefront6targetE1EEEvT1_
                                        ; -- End function
	.section	.AMDGPU.csdata,"",@progbits
; Kernel info:
; codeLenInByte = 0
; NumSgprs: 6
; NumVgprs: 0
; NumAgprs: 0
; TotalNumVgprs: 0
; ScratchSize: 0
; MemoryBound: 0
; FloatMode: 240
; IeeeMode: 1
; LDSByteSize: 0 bytes/workgroup (compile time only)
; SGPRBlocks: 0
; VGPRBlocks: 0
; NumSGPRsForWavesPerEU: 6
; NumVGPRsForWavesPerEU: 1
; AccumOffset: 4
; Occupancy: 8
; WaveLimiterHint : 0
; COMPUTE_PGM_RSRC2:SCRATCH_EN: 0
; COMPUTE_PGM_RSRC2:USER_SGPR: 2
; COMPUTE_PGM_RSRC2:TRAP_HANDLER: 0
; COMPUTE_PGM_RSRC2:TGID_X_EN: 1
; COMPUTE_PGM_RSRC2:TGID_Y_EN: 0
; COMPUTE_PGM_RSRC2:TGID_Z_EN: 0
; COMPUTE_PGM_RSRC2:TIDIG_COMP_CNT: 0
; COMPUTE_PGM_RSRC3_GFX90A:ACCUM_OFFSET: 0
; COMPUTE_PGM_RSRC3_GFX90A:TG_SPLIT: 0
	.section	.text._ZN7rocprim17ROCPRIM_400000_NS6detail17trampoline_kernelINS0_14default_configENS1_25partition_config_selectorILNS1_17partition_subalgoE1EiNS0_10empty_typeEbEEZZNS1_14partition_implILS5_1ELb0ES3_jN6thrust23THRUST_200600_302600_NS6detail15normal_iteratorINSA_10device_ptrIiEEEEPS6_NSA_18transform_iteratorI7is_evenIiESF_NSA_11use_defaultESK_EENS0_5tupleIJSF_SF_EEENSM_IJSG_SG_EEES6_PlJS6_EEE10hipError_tPvRmT3_T4_T5_T6_T7_T9_mT8_P12ihipStream_tbDpT10_ENKUlT_T0_E_clISt17integral_constantIbLb0EES18_IbLb1EEEEDaS14_S15_EUlS14_E_NS1_11comp_targetILNS1_3genE0ELNS1_11target_archE4294967295ELNS1_3gpuE0ELNS1_3repE0EEENS1_30default_config_static_selectorELNS0_4arch9wavefront6targetE1EEEvT1_,"axG",@progbits,_ZN7rocprim17ROCPRIM_400000_NS6detail17trampoline_kernelINS0_14default_configENS1_25partition_config_selectorILNS1_17partition_subalgoE1EiNS0_10empty_typeEbEEZZNS1_14partition_implILS5_1ELb0ES3_jN6thrust23THRUST_200600_302600_NS6detail15normal_iteratorINSA_10device_ptrIiEEEEPS6_NSA_18transform_iteratorI7is_evenIiESF_NSA_11use_defaultESK_EENS0_5tupleIJSF_SF_EEENSM_IJSG_SG_EEES6_PlJS6_EEE10hipError_tPvRmT3_T4_T5_T6_T7_T9_mT8_P12ihipStream_tbDpT10_ENKUlT_T0_E_clISt17integral_constantIbLb0EES18_IbLb1EEEEDaS14_S15_EUlS14_E_NS1_11comp_targetILNS1_3genE0ELNS1_11target_archE4294967295ELNS1_3gpuE0ELNS1_3repE0EEENS1_30default_config_static_selectorELNS0_4arch9wavefront6targetE1EEEvT1_,comdat
	.protected	_ZN7rocprim17ROCPRIM_400000_NS6detail17trampoline_kernelINS0_14default_configENS1_25partition_config_selectorILNS1_17partition_subalgoE1EiNS0_10empty_typeEbEEZZNS1_14partition_implILS5_1ELb0ES3_jN6thrust23THRUST_200600_302600_NS6detail15normal_iteratorINSA_10device_ptrIiEEEEPS6_NSA_18transform_iteratorI7is_evenIiESF_NSA_11use_defaultESK_EENS0_5tupleIJSF_SF_EEENSM_IJSG_SG_EEES6_PlJS6_EEE10hipError_tPvRmT3_T4_T5_T6_T7_T9_mT8_P12ihipStream_tbDpT10_ENKUlT_T0_E_clISt17integral_constantIbLb0EES18_IbLb1EEEEDaS14_S15_EUlS14_E_NS1_11comp_targetILNS1_3genE0ELNS1_11target_archE4294967295ELNS1_3gpuE0ELNS1_3repE0EEENS1_30default_config_static_selectorELNS0_4arch9wavefront6targetE1EEEvT1_ ; -- Begin function _ZN7rocprim17ROCPRIM_400000_NS6detail17trampoline_kernelINS0_14default_configENS1_25partition_config_selectorILNS1_17partition_subalgoE1EiNS0_10empty_typeEbEEZZNS1_14partition_implILS5_1ELb0ES3_jN6thrust23THRUST_200600_302600_NS6detail15normal_iteratorINSA_10device_ptrIiEEEEPS6_NSA_18transform_iteratorI7is_evenIiESF_NSA_11use_defaultESK_EENS0_5tupleIJSF_SF_EEENSM_IJSG_SG_EEES6_PlJS6_EEE10hipError_tPvRmT3_T4_T5_T6_T7_T9_mT8_P12ihipStream_tbDpT10_ENKUlT_T0_E_clISt17integral_constantIbLb0EES18_IbLb1EEEEDaS14_S15_EUlS14_E_NS1_11comp_targetILNS1_3genE0ELNS1_11target_archE4294967295ELNS1_3gpuE0ELNS1_3repE0EEENS1_30default_config_static_selectorELNS0_4arch9wavefront6targetE1EEEvT1_
	.globl	_ZN7rocprim17ROCPRIM_400000_NS6detail17trampoline_kernelINS0_14default_configENS1_25partition_config_selectorILNS1_17partition_subalgoE1EiNS0_10empty_typeEbEEZZNS1_14partition_implILS5_1ELb0ES3_jN6thrust23THRUST_200600_302600_NS6detail15normal_iteratorINSA_10device_ptrIiEEEEPS6_NSA_18transform_iteratorI7is_evenIiESF_NSA_11use_defaultESK_EENS0_5tupleIJSF_SF_EEENSM_IJSG_SG_EEES6_PlJS6_EEE10hipError_tPvRmT3_T4_T5_T6_T7_T9_mT8_P12ihipStream_tbDpT10_ENKUlT_T0_E_clISt17integral_constantIbLb0EES18_IbLb1EEEEDaS14_S15_EUlS14_E_NS1_11comp_targetILNS1_3genE0ELNS1_11target_archE4294967295ELNS1_3gpuE0ELNS1_3repE0EEENS1_30default_config_static_selectorELNS0_4arch9wavefront6targetE1EEEvT1_
	.p2align	8
	.type	_ZN7rocprim17ROCPRIM_400000_NS6detail17trampoline_kernelINS0_14default_configENS1_25partition_config_selectorILNS1_17partition_subalgoE1EiNS0_10empty_typeEbEEZZNS1_14partition_implILS5_1ELb0ES3_jN6thrust23THRUST_200600_302600_NS6detail15normal_iteratorINSA_10device_ptrIiEEEEPS6_NSA_18transform_iteratorI7is_evenIiESF_NSA_11use_defaultESK_EENS0_5tupleIJSF_SF_EEENSM_IJSG_SG_EEES6_PlJS6_EEE10hipError_tPvRmT3_T4_T5_T6_T7_T9_mT8_P12ihipStream_tbDpT10_ENKUlT_T0_E_clISt17integral_constantIbLb0EES18_IbLb1EEEEDaS14_S15_EUlS14_E_NS1_11comp_targetILNS1_3genE0ELNS1_11target_archE4294967295ELNS1_3gpuE0ELNS1_3repE0EEENS1_30default_config_static_selectorELNS0_4arch9wavefront6targetE1EEEvT1_,@function
_ZN7rocprim17ROCPRIM_400000_NS6detail17trampoline_kernelINS0_14default_configENS1_25partition_config_selectorILNS1_17partition_subalgoE1EiNS0_10empty_typeEbEEZZNS1_14partition_implILS5_1ELb0ES3_jN6thrust23THRUST_200600_302600_NS6detail15normal_iteratorINSA_10device_ptrIiEEEEPS6_NSA_18transform_iteratorI7is_evenIiESF_NSA_11use_defaultESK_EENS0_5tupleIJSF_SF_EEENSM_IJSG_SG_EEES6_PlJS6_EEE10hipError_tPvRmT3_T4_T5_T6_T7_T9_mT8_P12ihipStream_tbDpT10_ENKUlT_T0_E_clISt17integral_constantIbLb0EES18_IbLb1EEEEDaS14_S15_EUlS14_E_NS1_11comp_targetILNS1_3genE0ELNS1_11target_archE4294967295ELNS1_3gpuE0ELNS1_3repE0EEENS1_30default_config_static_selectorELNS0_4arch9wavefront6targetE1EEEvT1_: ; @_ZN7rocprim17ROCPRIM_400000_NS6detail17trampoline_kernelINS0_14default_configENS1_25partition_config_selectorILNS1_17partition_subalgoE1EiNS0_10empty_typeEbEEZZNS1_14partition_implILS5_1ELb0ES3_jN6thrust23THRUST_200600_302600_NS6detail15normal_iteratorINSA_10device_ptrIiEEEEPS6_NSA_18transform_iteratorI7is_evenIiESF_NSA_11use_defaultESK_EENS0_5tupleIJSF_SF_EEENSM_IJSG_SG_EEES6_PlJS6_EEE10hipError_tPvRmT3_T4_T5_T6_T7_T9_mT8_P12ihipStream_tbDpT10_ENKUlT_T0_E_clISt17integral_constantIbLb0EES18_IbLb1EEEEDaS14_S15_EUlS14_E_NS1_11comp_targetILNS1_3genE0ELNS1_11target_archE4294967295ELNS1_3gpuE0ELNS1_3repE0EEENS1_30default_config_static_selectorELNS0_4arch9wavefront6targetE1EEEvT1_
; %bb.0:
	.section	.rodata,"a",@progbits
	.p2align	6, 0x0
	.amdhsa_kernel _ZN7rocprim17ROCPRIM_400000_NS6detail17trampoline_kernelINS0_14default_configENS1_25partition_config_selectorILNS1_17partition_subalgoE1EiNS0_10empty_typeEbEEZZNS1_14partition_implILS5_1ELb0ES3_jN6thrust23THRUST_200600_302600_NS6detail15normal_iteratorINSA_10device_ptrIiEEEEPS6_NSA_18transform_iteratorI7is_evenIiESF_NSA_11use_defaultESK_EENS0_5tupleIJSF_SF_EEENSM_IJSG_SG_EEES6_PlJS6_EEE10hipError_tPvRmT3_T4_T5_T6_T7_T9_mT8_P12ihipStream_tbDpT10_ENKUlT_T0_E_clISt17integral_constantIbLb0EES18_IbLb1EEEEDaS14_S15_EUlS14_E_NS1_11comp_targetILNS1_3genE0ELNS1_11target_archE4294967295ELNS1_3gpuE0ELNS1_3repE0EEENS1_30default_config_static_selectorELNS0_4arch9wavefront6targetE1EEEvT1_
		.amdhsa_group_segment_fixed_size 0
		.amdhsa_private_segment_fixed_size 0
		.amdhsa_kernarg_size 144
		.amdhsa_user_sgpr_count 2
		.amdhsa_user_sgpr_dispatch_ptr 0
		.amdhsa_user_sgpr_queue_ptr 0
		.amdhsa_user_sgpr_kernarg_segment_ptr 1
		.amdhsa_user_sgpr_dispatch_id 0
		.amdhsa_user_sgpr_kernarg_preload_length 0
		.amdhsa_user_sgpr_kernarg_preload_offset 0
		.amdhsa_user_sgpr_private_segment_size 0
		.amdhsa_uses_dynamic_stack 0
		.amdhsa_enable_private_segment 0
		.amdhsa_system_sgpr_workgroup_id_x 1
		.amdhsa_system_sgpr_workgroup_id_y 0
		.amdhsa_system_sgpr_workgroup_id_z 0
		.amdhsa_system_sgpr_workgroup_info 0
		.amdhsa_system_vgpr_workitem_id 0
		.amdhsa_next_free_vgpr 1
		.amdhsa_next_free_sgpr 0
		.amdhsa_accum_offset 4
		.amdhsa_reserve_vcc 0
		.amdhsa_float_round_mode_32 0
		.amdhsa_float_round_mode_16_64 0
		.amdhsa_float_denorm_mode_32 3
		.amdhsa_float_denorm_mode_16_64 3
		.amdhsa_dx10_clamp 1
		.amdhsa_ieee_mode 1
		.amdhsa_fp16_overflow 0
		.amdhsa_tg_split 0
		.amdhsa_exception_fp_ieee_invalid_op 0
		.amdhsa_exception_fp_denorm_src 0
		.amdhsa_exception_fp_ieee_div_zero 0
		.amdhsa_exception_fp_ieee_overflow 0
		.amdhsa_exception_fp_ieee_underflow 0
		.amdhsa_exception_fp_ieee_inexact 0
		.amdhsa_exception_int_div_zero 0
	.end_amdhsa_kernel
	.section	.text._ZN7rocprim17ROCPRIM_400000_NS6detail17trampoline_kernelINS0_14default_configENS1_25partition_config_selectorILNS1_17partition_subalgoE1EiNS0_10empty_typeEbEEZZNS1_14partition_implILS5_1ELb0ES3_jN6thrust23THRUST_200600_302600_NS6detail15normal_iteratorINSA_10device_ptrIiEEEEPS6_NSA_18transform_iteratorI7is_evenIiESF_NSA_11use_defaultESK_EENS0_5tupleIJSF_SF_EEENSM_IJSG_SG_EEES6_PlJS6_EEE10hipError_tPvRmT3_T4_T5_T6_T7_T9_mT8_P12ihipStream_tbDpT10_ENKUlT_T0_E_clISt17integral_constantIbLb0EES18_IbLb1EEEEDaS14_S15_EUlS14_E_NS1_11comp_targetILNS1_3genE0ELNS1_11target_archE4294967295ELNS1_3gpuE0ELNS1_3repE0EEENS1_30default_config_static_selectorELNS0_4arch9wavefront6targetE1EEEvT1_,"axG",@progbits,_ZN7rocprim17ROCPRIM_400000_NS6detail17trampoline_kernelINS0_14default_configENS1_25partition_config_selectorILNS1_17partition_subalgoE1EiNS0_10empty_typeEbEEZZNS1_14partition_implILS5_1ELb0ES3_jN6thrust23THRUST_200600_302600_NS6detail15normal_iteratorINSA_10device_ptrIiEEEEPS6_NSA_18transform_iteratorI7is_evenIiESF_NSA_11use_defaultESK_EENS0_5tupleIJSF_SF_EEENSM_IJSG_SG_EEES6_PlJS6_EEE10hipError_tPvRmT3_T4_T5_T6_T7_T9_mT8_P12ihipStream_tbDpT10_ENKUlT_T0_E_clISt17integral_constantIbLb0EES18_IbLb1EEEEDaS14_S15_EUlS14_E_NS1_11comp_targetILNS1_3genE0ELNS1_11target_archE4294967295ELNS1_3gpuE0ELNS1_3repE0EEENS1_30default_config_static_selectorELNS0_4arch9wavefront6targetE1EEEvT1_,comdat
.Lfunc_end441:
	.size	_ZN7rocprim17ROCPRIM_400000_NS6detail17trampoline_kernelINS0_14default_configENS1_25partition_config_selectorILNS1_17partition_subalgoE1EiNS0_10empty_typeEbEEZZNS1_14partition_implILS5_1ELb0ES3_jN6thrust23THRUST_200600_302600_NS6detail15normal_iteratorINSA_10device_ptrIiEEEEPS6_NSA_18transform_iteratorI7is_evenIiESF_NSA_11use_defaultESK_EENS0_5tupleIJSF_SF_EEENSM_IJSG_SG_EEES6_PlJS6_EEE10hipError_tPvRmT3_T4_T5_T6_T7_T9_mT8_P12ihipStream_tbDpT10_ENKUlT_T0_E_clISt17integral_constantIbLb0EES18_IbLb1EEEEDaS14_S15_EUlS14_E_NS1_11comp_targetILNS1_3genE0ELNS1_11target_archE4294967295ELNS1_3gpuE0ELNS1_3repE0EEENS1_30default_config_static_selectorELNS0_4arch9wavefront6targetE1EEEvT1_, .Lfunc_end441-_ZN7rocprim17ROCPRIM_400000_NS6detail17trampoline_kernelINS0_14default_configENS1_25partition_config_selectorILNS1_17partition_subalgoE1EiNS0_10empty_typeEbEEZZNS1_14partition_implILS5_1ELb0ES3_jN6thrust23THRUST_200600_302600_NS6detail15normal_iteratorINSA_10device_ptrIiEEEEPS6_NSA_18transform_iteratorI7is_evenIiESF_NSA_11use_defaultESK_EENS0_5tupleIJSF_SF_EEENSM_IJSG_SG_EEES6_PlJS6_EEE10hipError_tPvRmT3_T4_T5_T6_T7_T9_mT8_P12ihipStream_tbDpT10_ENKUlT_T0_E_clISt17integral_constantIbLb0EES18_IbLb1EEEEDaS14_S15_EUlS14_E_NS1_11comp_targetILNS1_3genE0ELNS1_11target_archE4294967295ELNS1_3gpuE0ELNS1_3repE0EEENS1_30default_config_static_selectorELNS0_4arch9wavefront6targetE1EEEvT1_
                                        ; -- End function
	.section	.AMDGPU.csdata,"",@progbits
; Kernel info:
; codeLenInByte = 0
; NumSgprs: 6
; NumVgprs: 0
; NumAgprs: 0
; TotalNumVgprs: 0
; ScratchSize: 0
; MemoryBound: 0
; FloatMode: 240
; IeeeMode: 1
; LDSByteSize: 0 bytes/workgroup (compile time only)
; SGPRBlocks: 0
; VGPRBlocks: 0
; NumSGPRsForWavesPerEU: 6
; NumVGPRsForWavesPerEU: 1
; AccumOffset: 4
; Occupancy: 8
; WaveLimiterHint : 0
; COMPUTE_PGM_RSRC2:SCRATCH_EN: 0
; COMPUTE_PGM_RSRC2:USER_SGPR: 2
; COMPUTE_PGM_RSRC2:TRAP_HANDLER: 0
; COMPUTE_PGM_RSRC2:TGID_X_EN: 1
; COMPUTE_PGM_RSRC2:TGID_Y_EN: 0
; COMPUTE_PGM_RSRC2:TGID_Z_EN: 0
; COMPUTE_PGM_RSRC2:TIDIG_COMP_CNT: 0
; COMPUTE_PGM_RSRC3_GFX90A:ACCUM_OFFSET: 0
; COMPUTE_PGM_RSRC3_GFX90A:TG_SPLIT: 0
	.section	.text._ZN7rocprim17ROCPRIM_400000_NS6detail17trampoline_kernelINS0_14default_configENS1_25partition_config_selectorILNS1_17partition_subalgoE1EiNS0_10empty_typeEbEEZZNS1_14partition_implILS5_1ELb0ES3_jN6thrust23THRUST_200600_302600_NS6detail15normal_iteratorINSA_10device_ptrIiEEEEPS6_NSA_18transform_iteratorI7is_evenIiESF_NSA_11use_defaultESK_EENS0_5tupleIJSF_SF_EEENSM_IJSG_SG_EEES6_PlJS6_EEE10hipError_tPvRmT3_T4_T5_T6_T7_T9_mT8_P12ihipStream_tbDpT10_ENKUlT_T0_E_clISt17integral_constantIbLb0EES18_IbLb1EEEEDaS14_S15_EUlS14_E_NS1_11comp_targetILNS1_3genE5ELNS1_11target_archE942ELNS1_3gpuE9ELNS1_3repE0EEENS1_30default_config_static_selectorELNS0_4arch9wavefront6targetE1EEEvT1_,"axG",@progbits,_ZN7rocprim17ROCPRIM_400000_NS6detail17trampoline_kernelINS0_14default_configENS1_25partition_config_selectorILNS1_17partition_subalgoE1EiNS0_10empty_typeEbEEZZNS1_14partition_implILS5_1ELb0ES3_jN6thrust23THRUST_200600_302600_NS6detail15normal_iteratorINSA_10device_ptrIiEEEEPS6_NSA_18transform_iteratorI7is_evenIiESF_NSA_11use_defaultESK_EENS0_5tupleIJSF_SF_EEENSM_IJSG_SG_EEES6_PlJS6_EEE10hipError_tPvRmT3_T4_T5_T6_T7_T9_mT8_P12ihipStream_tbDpT10_ENKUlT_T0_E_clISt17integral_constantIbLb0EES18_IbLb1EEEEDaS14_S15_EUlS14_E_NS1_11comp_targetILNS1_3genE5ELNS1_11target_archE942ELNS1_3gpuE9ELNS1_3repE0EEENS1_30default_config_static_selectorELNS0_4arch9wavefront6targetE1EEEvT1_,comdat
	.protected	_ZN7rocprim17ROCPRIM_400000_NS6detail17trampoline_kernelINS0_14default_configENS1_25partition_config_selectorILNS1_17partition_subalgoE1EiNS0_10empty_typeEbEEZZNS1_14partition_implILS5_1ELb0ES3_jN6thrust23THRUST_200600_302600_NS6detail15normal_iteratorINSA_10device_ptrIiEEEEPS6_NSA_18transform_iteratorI7is_evenIiESF_NSA_11use_defaultESK_EENS0_5tupleIJSF_SF_EEENSM_IJSG_SG_EEES6_PlJS6_EEE10hipError_tPvRmT3_T4_T5_T6_T7_T9_mT8_P12ihipStream_tbDpT10_ENKUlT_T0_E_clISt17integral_constantIbLb0EES18_IbLb1EEEEDaS14_S15_EUlS14_E_NS1_11comp_targetILNS1_3genE5ELNS1_11target_archE942ELNS1_3gpuE9ELNS1_3repE0EEENS1_30default_config_static_selectorELNS0_4arch9wavefront6targetE1EEEvT1_ ; -- Begin function _ZN7rocprim17ROCPRIM_400000_NS6detail17trampoline_kernelINS0_14default_configENS1_25partition_config_selectorILNS1_17partition_subalgoE1EiNS0_10empty_typeEbEEZZNS1_14partition_implILS5_1ELb0ES3_jN6thrust23THRUST_200600_302600_NS6detail15normal_iteratorINSA_10device_ptrIiEEEEPS6_NSA_18transform_iteratorI7is_evenIiESF_NSA_11use_defaultESK_EENS0_5tupleIJSF_SF_EEENSM_IJSG_SG_EEES6_PlJS6_EEE10hipError_tPvRmT3_T4_T5_T6_T7_T9_mT8_P12ihipStream_tbDpT10_ENKUlT_T0_E_clISt17integral_constantIbLb0EES18_IbLb1EEEEDaS14_S15_EUlS14_E_NS1_11comp_targetILNS1_3genE5ELNS1_11target_archE942ELNS1_3gpuE9ELNS1_3repE0EEENS1_30default_config_static_selectorELNS0_4arch9wavefront6targetE1EEEvT1_
	.globl	_ZN7rocprim17ROCPRIM_400000_NS6detail17trampoline_kernelINS0_14default_configENS1_25partition_config_selectorILNS1_17partition_subalgoE1EiNS0_10empty_typeEbEEZZNS1_14partition_implILS5_1ELb0ES3_jN6thrust23THRUST_200600_302600_NS6detail15normal_iteratorINSA_10device_ptrIiEEEEPS6_NSA_18transform_iteratorI7is_evenIiESF_NSA_11use_defaultESK_EENS0_5tupleIJSF_SF_EEENSM_IJSG_SG_EEES6_PlJS6_EEE10hipError_tPvRmT3_T4_T5_T6_T7_T9_mT8_P12ihipStream_tbDpT10_ENKUlT_T0_E_clISt17integral_constantIbLb0EES18_IbLb1EEEEDaS14_S15_EUlS14_E_NS1_11comp_targetILNS1_3genE5ELNS1_11target_archE942ELNS1_3gpuE9ELNS1_3repE0EEENS1_30default_config_static_selectorELNS0_4arch9wavefront6targetE1EEEvT1_
	.p2align	8
	.type	_ZN7rocprim17ROCPRIM_400000_NS6detail17trampoline_kernelINS0_14default_configENS1_25partition_config_selectorILNS1_17partition_subalgoE1EiNS0_10empty_typeEbEEZZNS1_14partition_implILS5_1ELb0ES3_jN6thrust23THRUST_200600_302600_NS6detail15normal_iteratorINSA_10device_ptrIiEEEEPS6_NSA_18transform_iteratorI7is_evenIiESF_NSA_11use_defaultESK_EENS0_5tupleIJSF_SF_EEENSM_IJSG_SG_EEES6_PlJS6_EEE10hipError_tPvRmT3_T4_T5_T6_T7_T9_mT8_P12ihipStream_tbDpT10_ENKUlT_T0_E_clISt17integral_constantIbLb0EES18_IbLb1EEEEDaS14_S15_EUlS14_E_NS1_11comp_targetILNS1_3genE5ELNS1_11target_archE942ELNS1_3gpuE9ELNS1_3repE0EEENS1_30default_config_static_selectorELNS0_4arch9wavefront6targetE1EEEvT1_,@function
_ZN7rocprim17ROCPRIM_400000_NS6detail17trampoline_kernelINS0_14default_configENS1_25partition_config_selectorILNS1_17partition_subalgoE1EiNS0_10empty_typeEbEEZZNS1_14partition_implILS5_1ELb0ES3_jN6thrust23THRUST_200600_302600_NS6detail15normal_iteratorINSA_10device_ptrIiEEEEPS6_NSA_18transform_iteratorI7is_evenIiESF_NSA_11use_defaultESK_EENS0_5tupleIJSF_SF_EEENSM_IJSG_SG_EEES6_PlJS6_EEE10hipError_tPvRmT3_T4_T5_T6_T7_T9_mT8_P12ihipStream_tbDpT10_ENKUlT_T0_E_clISt17integral_constantIbLb0EES18_IbLb1EEEEDaS14_S15_EUlS14_E_NS1_11comp_targetILNS1_3genE5ELNS1_11target_archE942ELNS1_3gpuE9ELNS1_3repE0EEENS1_30default_config_static_selectorELNS0_4arch9wavefront6targetE1EEEvT1_: ; @_ZN7rocprim17ROCPRIM_400000_NS6detail17trampoline_kernelINS0_14default_configENS1_25partition_config_selectorILNS1_17partition_subalgoE1EiNS0_10empty_typeEbEEZZNS1_14partition_implILS5_1ELb0ES3_jN6thrust23THRUST_200600_302600_NS6detail15normal_iteratorINSA_10device_ptrIiEEEEPS6_NSA_18transform_iteratorI7is_evenIiESF_NSA_11use_defaultESK_EENS0_5tupleIJSF_SF_EEENSM_IJSG_SG_EEES6_PlJS6_EEE10hipError_tPvRmT3_T4_T5_T6_T7_T9_mT8_P12ihipStream_tbDpT10_ENKUlT_T0_E_clISt17integral_constantIbLb0EES18_IbLb1EEEEDaS14_S15_EUlS14_E_NS1_11comp_targetILNS1_3genE5ELNS1_11target_archE942ELNS1_3gpuE9ELNS1_3repE0EEENS1_30default_config_static_selectorELNS0_4arch9wavefront6targetE1EEEvT1_
; %bb.0:
	s_load_dwordx2 s[2:3], s[0:1], 0x20
	s_load_dwordx4 s[20:23], s[0:1], 0x50
	s_load_dwordx2 s[6:7], s[0:1], 0x60
	s_load_dwordx2 s[34:35], s[0:1], 0x70
	v_cmp_eq_u32_e64 s[18:19], 0, v0
	s_and_saveexec_b64 s[4:5], s[18:19]
	s_cbranch_execz .LBB442_4
; %bb.1:
	s_mov_b64 s[10:11], exec
	v_mbcnt_lo_u32_b32 v1, s10, 0
	v_mbcnt_hi_u32_b32 v1, s11, v1
	v_cmp_eq_u32_e32 vcc, 0, v1
                                        ; implicit-def: $vgpr2
	s_and_saveexec_b64 s[8:9], vcc
	s_cbranch_execz .LBB442_3
; %bb.2:
	s_load_dwordx2 s[12:13], s[0:1], 0x80
	s_bcnt1_i32_b64 s10, s[10:11]
	v_mov_b32_e32 v2, 0
	v_mov_b32_e32 v3, s10
	s_waitcnt lgkmcnt(0)
	global_atomic_add v2, v2, v3, s[12:13] sc0
.LBB442_3:
	s_or_b64 exec, exec, s[8:9]
	s_waitcnt vmcnt(0)
	v_readfirstlane_b32 s8, v2
	v_mov_b32_e32 v2, 0
	s_nop 0
	v_add_u32_e32 v1, s8, v1
	ds_write_b32 v2, v1
.LBB442_4:
	s_or_b64 exec, exec, s[4:5]
	v_mov_b32_e32 v23, 0
	s_load_dwordx4 s[28:31], s[0:1], 0x8
	s_load_dwordx4 s[24:27], s[0:1], 0x30
	s_load_dword s8, s[0:1], 0x78
	s_waitcnt lgkmcnt(0)
	s_barrier
	ds_read_b32 v1, v23
	s_waitcnt lgkmcnt(0)
	s_barrier
	global_load_dwordx2 v[24:25], v23, s[22:23]
	v_mov_b32_e32 v3, s7
	s_lshl_b64 s[4:5], s[30:31], 2
	s_movk_i32 s7, 0x1e00
	s_add_u32 s0, s28, s4
	v_mul_lo_u32 v22, v1, s7
	s_mul_i32 s7, s8, 0x1e00
	s_addc_u32 s1, s29, s5
	s_add_i32 s9, s8, -1
	s_add_i32 s8, s7, s30
	s_sub_i32 s33, s6, s8
	s_addk_i32 s33, 0x1e00
	v_mov_b32_e32 v2, s6
	s_add_u32 s6, s30, s7
	v_readfirstlane_b32 s40, v1
	s_addc_u32 s7, s31, 0
	s_cmp_eq_u32 s40, s9
	s_cselect_b64 s[22:23], -1, 0
	s_cmp_lg_u32 s40, s9
	v_cmp_lt_u64_e32 vcc, s[6:7], v[2:3]
	s_cselect_b64 s[6:7], -1, 0
	s_or_b64 s[28:29], vcc, s[6:7]
	v_lshlrev_b64 v[26:27], 2, v[22:23]
	v_lshl_add_u64 v[18:19], s[0:1], 0, v[26:27]
	s_mov_b64 s[0:1], -1
	s_and_b64 vcc, exec, s[28:29]
	v_lshlrev_b32_e32 v22, 2, v0
	s_cbranch_vccz .LBB442_6
; %bb.5:
	v_lshl_add_u64 v[2:3], v[18:19], 0, v[22:23]
	v_add_co_u32_e32 v4, vcc, 0x1000, v2
	s_mov_b64 s[0:1], 0
	s_nop 0
	v_addc_co_u32_e32 v5, vcc, 0, v3, vcc
	v_add_co_u32_e32 v6, vcc, 0x2000, v2
	s_nop 1
	v_addc_co_u32_e32 v7, vcc, 0, v3, vcc
	v_add_co_u32_e32 v8, vcc, 0x3000, v2
	s_nop 1
	v_addc_co_u32_e32 v9, vcc, 0, v3, vcc
	flat_load_dword v1, v[2:3]
	flat_load_dword v10, v[2:3] offset:2048
	flat_load_dword v11, v[4:5]
	flat_load_dword v12, v[4:5] offset:2048
	;; [unrolled: 2-line block ×4, first 2 shown]
	v_add_co_u32_e32 v4, vcc, 0x4000, v2
	s_nop 1
	v_addc_co_u32_e32 v5, vcc, 0, v3, vcc
	v_add_co_u32_e32 v6, vcc, 0x5000, v2
	s_nop 1
	v_addc_co_u32_e32 v7, vcc, 0, v3, vcc
	;; [unrolled: 3-line block ×4, first 2 shown]
	flat_load_dword v17, v[4:5]
	flat_load_dword v20, v[4:5] offset:2048
	flat_load_dword v21, v[6:7]
	flat_load_dword v23, v[6:7] offset:2048
	;; [unrolled: 2-line block ×3, first 2 shown]
	flat_load_dword v30, v[2:3]
	s_waitcnt vmcnt(0) lgkmcnt(0)
	ds_write2st64_b32 v22, v1, v10 offset1:8
	ds_write2st64_b32 v22, v11, v12 offset0:16 offset1:24
	ds_write2st64_b32 v22, v13, v14 offset0:32 offset1:40
	;; [unrolled: 1-line block ×6, first 2 shown]
	ds_write_b32 v22, v30 offset:28672
	s_waitcnt lgkmcnt(0)
	s_barrier
.LBB442_6:
	s_andn2_b64 vcc, exec, s[0:1]
	v_cmp_gt_u32_e64 s[0:1], s33, v0
	s_cbranch_vccnz .LBB442_38
; %bb.7:
                                        ; implicit-def: $vgpr2_vgpr3_vgpr4_vgpr5_vgpr6_vgpr7_vgpr8_vgpr9_vgpr10_vgpr11_vgpr12_vgpr13_vgpr14_vgpr15_vgpr16_vgpr17
	s_and_saveexec_b64 s[6:7], s[0:1]
	s_cbranch_execz .LBB442_9
; %bb.8:
	v_mov_b32_e32 v23, 0
	v_lshl_add_u64 v[2:3], v[18:19], 0, v[22:23]
	flat_load_dword v2, v[2:3]
.LBB442_9:
	s_or_b64 exec, exec, s[6:7]
	v_or_b32_e32 v1, 0x200, v0
	v_cmp_gt_u32_e32 vcc, s33, v1
	s_and_saveexec_b64 s[0:1], vcc
	s_cbranch_execz .LBB442_11
; %bb.10:
	v_mov_b32_e32 v23, 0
	v_lshl_add_u64 v[20:21], v[18:19], 0, v[22:23]
	flat_load_dword v3, v[20:21] offset:2048
.LBB442_11:
	s_or_b64 exec, exec, s[0:1]
	v_or_b32_e32 v1, 0x400, v0
	v_cmp_gt_u32_e32 vcc, s33, v1
	s_and_saveexec_b64 s[0:1], vcc
	s_cbranch_execz .LBB442_13
; %bb.12:
	v_lshlrev_b32_e32 v20, 2, v1
	v_mov_b32_e32 v21, 0
	v_lshl_add_u64 v[20:21], v[18:19], 0, v[20:21]
	flat_load_dword v4, v[20:21]
.LBB442_13:
	s_or_b64 exec, exec, s[0:1]
	v_or_b32_e32 v1, 0x600, v0
	v_cmp_gt_u32_e32 vcc, s33, v1
	s_and_saveexec_b64 s[0:1], vcc
	s_cbranch_execz .LBB442_15
; %bb.14:
	v_lshlrev_b32_e32 v20, 2, v1
	v_mov_b32_e32 v21, 0
	v_lshl_add_u64 v[20:21], v[18:19], 0, v[20:21]
	flat_load_dword v5, v[20:21]
.LBB442_15:
	;; [unrolled: 11-line block ×13, first 2 shown]
	s_or_b64 exec, exec, s[0:1]
	s_waitcnt vmcnt(0) lgkmcnt(0)
	ds_write2st64_b32 v22, v2, v3 offset1:8
	ds_write2st64_b32 v22, v4, v5 offset0:16 offset1:24
	ds_write2st64_b32 v22, v6, v7 offset0:32 offset1:40
	;; [unrolled: 1-line block ×6, first 2 shown]
	ds_write_b32 v22, v16 offset:28672
	s_waitcnt lgkmcnt(0)
	s_barrier
.LBB442_38:
	v_mul_u32_u24_e32 v21, 15, v0
	v_lshlrev_b32_e32 v1, 2, v21
	ds_read2_b32 v[40:41], v1 offset1:1
	ds_read2_b32 v[38:39], v1 offset0:2 offset1:3
	ds_read2_b32 v[36:37], v1 offset0:4 offset1:5
	;; [unrolled: 1-line block ×6, first 2 shown]
	ds_read_b32 v1, v1 offset:56
	s_add_u32 s0, s2, s4
	s_addc_u32 s1, s3, s5
	v_lshl_add_u64 v[2:3], s[0:1], 0, v[26:27]
	s_mov_b64 s[0:1], -1
	s_and_b64 vcc, exec, s[28:29]
	s_waitcnt lgkmcnt(0)
	s_barrier
	s_cbranch_vccz .LBB442_40
; %bb.39:
	v_mov_b32_e32 v23, 0
	v_lshl_add_u64 v[4:5], v[2:3], 0, v[22:23]
	v_add_co_u32_e32 v6, vcc, 0x1000, v4
	v_readfirstlane_b32 s0, v2
	s_nop 0
	v_addc_co_u32_e32 v7, vcc, 0, v5, vcc
	v_add_co_u32_e32 v8, vcc, 0x2000, v4
	v_readfirstlane_b32 s1, v3
	s_nop 0
	v_addc_co_u32_e32 v9, vcc, 0, v5, vcc
	s_nop 2
	global_load_dword v10, v22, s[0:1]
	global_load_dword v11, v22, s[0:1] offset:2048
	global_load_dword v12, v[6:7], off
	global_load_dword v13, v[6:7], off offset:2048
	global_load_dword v14, v[8:9], off
	global_load_dword v15, v[8:9], off offset:2048
	v_add_co_u32_e32 v6, vcc, 0x3000, v4
	s_mov_b64 s[0:1], 0
	s_nop 0
	v_addc_co_u32_e32 v7, vcc, 0, v5, vcc
	v_add_co_u32_e32 v8, vcc, 0x4000, v4
	s_nop 1
	v_addc_co_u32_e32 v9, vcc, 0, v5, vcc
	global_load_dword v16, v[6:7], off
	global_load_dword v17, v[6:7], off offset:2048
	global_load_dword v18, v[8:9], off
	global_load_dword v19, v[8:9], off offset:2048
	v_add_co_u32_e32 v6, vcc, 0x5000, v4
	s_nop 1
	v_addc_co_u32_e32 v7, vcc, 0, v5, vcc
	global_load_dword v8, v[6:7], off
	global_load_dword v9, v[6:7], off offset:2048
	v_add_co_u32_e32 v6, vcc, 0x6000, v4
	s_waitcnt vmcnt(1)
	v_xor_b32_e32 v8, -1, v8
	v_addc_co_u32_e32 v7, vcc, 0, v5, vcc
	v_add_co_u32_e32 v4, vcc, 0x7000, v4
	global_load_dword v20, v[6:7], off
	global_load_dword v23, v[6:7], off offset:2048
	v_addc_co_u32_e32 v5, vcc, 0, v5, vcc
	global_load_dword v4, v[4:5], off
	v_xor_b32_e32 v5, -1, v10
	v_xor_b32_e32 v6, -1, v11
	v_and_b32_e32 v5, 1, v5
	v_and_b32_e32 v6, 1, v6
	ds_write_b8 v0, v5
	ds_write_b8 v0, v6 offset:512
	v_xor_b32_e32 v5, -1, v12
	v_xor_b32_e32 v6, -1, v13
	v_and_b32_e32 v5, 1, v5
	v_and_b32_e32 v6, 1, v6
	v_xor_b32_e32 v7, -1, v14
	v_xor_b32_e32 v11, -1, v16
	v_xor_b32_e32 v12, -1, v17
	v_xor_b32_e32 v10, -1, v15
	v_and_b32_e32 v7, 1, v7
	ds_write_b8 v0, v5 offset:1024
	ds_write_b8 v0, v6 offset:1536
	v_and_b32_e32 v5, 1, v11
	v_and_b32_e32 v6, 1, v12
	v_xor_b32_e32 v11, -1, v18
	s_waitcnt vmcnt(3)
	v_xor_b32_e32 v9, -1, v9
	v_and_b32_e32 v10, 1, v10
	v_xor_b32_e32 v12, -1, v19
	ds_write_b8 v0, v7 offset:2048
	ds_write_b8 v0, v10 offset:2560
	v_and_b32_e32 v7, 1, v11
	ds_write_b8 v0, v5 offset:3072
	ds_write_b8 v0, v6 offset:3584
	v_and_b32_e32 v5, 1, v8
	v_and_b32_e32 v6, 1, v9
	;; [unrolled: 1-line block ×3, first 2 shown]
	s_waitcnt vmcnt(2)
	v_xor_b32_e32 v8, -1, v20
	s_waitcnt vmcnt(1)
	v_xor_b32_e32 v9, -1, v23
	v_and_b32_e32 v8, 1, v8
	v_and_b32_e32 v9, 1, v9
	s_waitcnt vmcnt(0)
	v_xor_b32_e32 v4, -1, v4
	v_and_b32_e32 v4, 1, v4
	ds_write_b8 v0, v7 offset:4096
	ds_write_b8 v0, v10 offset:4608
	ds_write_b8 v0, v5 offset:5120
	ds_write_b8 v0, v6 offset:5632
	ds_write_b8 v0, v8 offset:6144
	ds_write_b8 v0, v9 offset:6656
	ds_write_b8 v0, v4 offset:7168
	s_waitcnt lgkmcnt(0)
	s_barrier
.LBB442_40:
	s_andn2_b64 vcc, exec, s[0:1]
	s_cbranch_vccnz .LBB442_72
; %bb.41:
	v_cmp_gt_u32_e32 vcc, s33, v0
	v_mov_b32_e32 v4, 0
	v_mov_b32_e32 v5, 0
	s_and_saveexec_b64 s[0:1], vcc
	s_cbranch_execz .LBB442_43
; %bb.42:
	v_readfirstlane_b32 s2, v2
	v_readfirstlane_b32 s3, v3
	s_nop 4
	global_load_dword v5, v22, s[2:3]
	s_waitcnt vmcnt(0)
	v_xor_b32_e32 v5, -1, v5
	v_and_b32_e32 v5, 1, v5
.LBB442_43:
	s_or_b64 exec, exec, s[0:1]
	v_or_b32_e32 v6, 0x200, v0
	v_cmp_gt_u32_e32 vcc, s33, v6
	s_and_saveexec_b64 s[0:1], vcc
	s_cbranch_execz .LBB442_45
; %bb.44:
	v_readfirstlane_b32 s2, v2
	v_readfirstlane_b32 s3, v3
	s_nop 4
	global_load_dword v4, v22, s[2:3] offset:2048
	s_waitcnt vmcnt(0)
	v_xor_b32_e32 v4, -1, v4
	v_and_b32_e32 v4, 1, v4
.LBB442_45:
	s_or_b64 exec, exec, s[0:1]
	v_or_b32_e32 v8, 0x400, v0
	v_cmp_gt_u32_e32 vcc, s33, v8
	v_mov_b32_e32 v6, 0
	v_mov_b32_e32 v7, 0
	s_and_saveexec_b64 s[0:1], vcc
	s_cbranch_execz .LBB442_47
; %bb.46:
	v_lshlrev_b32_e32 v7, 2, v8
	v_readfirstlane_b32 s2, v2
	v_readfirstlane_b32 s3, v3
	s_nop 4
	global_load_dword v7, v7, s[2:3]
	s_waitcnt vmcnt(0)
	v_xor_b32_e32 v7, -1, v7
	v_and_b32_e32 v7, 1, v7
.LBB442_47:
	s_or_b64 exec, exec, s[0:1]
	v_or_b32_e32 v8, 0x600, v0
	v_cmp_gt_u32_e32 vcc, s33, v8
	s_and_saveexec_b64 s[0:1], vcc
	s_cbranch_execz .LBB442_49
; %bb.48:
	v_lshlrev_b32_e32 v6, 2, v8
	v_readfirstlane_b32 s2, v2
	v_readfirstlane_b32 s3, v3
	s_nop 4
	global_load_dword v6, v6, s[2:3]
	s_waitcnt vmcnt(0)
	v_xor_b32_e32 v6, -1, v6
	v_and_b32_e32 v6, 1, v6
.LBB442_49:
	s_or_b64 exec, exec, s[0:1]
	v_or_b32_e32 v10, 0x800, v0
	v_cmp_gt_u32_e32 vcc, s33, v10
	v_mov_b32_e32 v8, 0
	v_mov_b32_e32 v9, 0
	s_and_saveexec_b64 s[0:1], vcc
	s_cbranch_execz .LBB442_51
; %bb.50:
	v_lshlrev_b32_e32 v9, 2, v10
	v_readfirstlane_b32 s2, v2
	v_readfirstlane_b32 s3, v3
	s_nop 4
	global_load_dword v9, v9, s[2:3]
	s_waitcnt vmcnt(0)
	v_xor_b32_e32 v9, -1, v9
	v_and_b32_e32 v9, 1, v9
.LBB442_51:
	s_or_b64 exec, exec, s[0:1]
	v_or_b32_e32 v10, 0xa00, v0
	v_cmp_gt_u32_e32 vcc, s33, v10
	s_and_saveexec_b64 s[0:1], vcc
	s_cbranch_execz .LBB442_53
; %bb.52:
	v_lshlrev_b32_e32 v8, 2, v10
	v_readfirstlane_b32 s2, v2
	v_readfirstlane_b32 s3, v3
	s_nop 4
	global_load_dword v8, v8, s[2:3]
	s_waitcnt vmcnt(0)
	v_xor_b32_e32 v8, -1, v8
	v_and_b32_e32 v8, 1, v8
.LBB442_53:
	;; [unrolled: 32-line block ×6, first 2 shown]
	s_or_b64 exec, exec, s[0:1]
	v_or_b32_e32 v19, 0x1c00, v0
	v_cmp_gt_u32_e32 vcc, s33, v19
	v_mov_b32_e32 v18, 0
	s_and_saveexec_b64 s[0:1], vcc
	s_cbranch_execz .LBB442_71
; %bb.70:
	v_lshlrev_b32_e32 v18, 2, v19
	v_readfirstlane_b32 s2, v2
	v_readfirstlane_b32 s3, v3
	s_nop 4
	global_load_dword v2, v18, s[2:3]
	s_waitcnt vmcnt(0)
	v_xor_b32_e32 v2, -1, v2
	v_and_b32_e32 v18, 1, v2
.LBB442_71:
	s_or_b64 exec, exec, s[0:1]
	ds_write_b8 v0, v5
	ds_write_b8 v0, v4 offset:512
	ds_write_b8 v0, v7 offset:1024
	;; [unrolled: 1-line block ×14, first 2 shown]
	s_waitcnt lgkmcnt(0)
	s_barrier
.LBB442_72:
	ds_read_b96 v[18:20], v21
	ds_read_u8 v2, v21 offset:12
	ds_read_u8 v3, v21 offset:13
	;; [unrolled: 1-line block ×3, first 2 shown]
	s_cmp_lg_u32 s40, 0
	v_lshrrev_b32_e32 v60, 6, v0
	s_waitcnt lgkmcnt(2)
	v_and_b32_e32 v47, 1, v2
	v_and_b32_e32 v56, 0xff, v18
	v_bfe_u32 v57, v18, 8, 8
	v_bfe_u32 v58, v18, 16, 8
	v_lshrrev_b32_e32 v49, 24, v18
	v_and_b32_e32 v53, 0xff, v19
	v_add3_u32 v2, v57, v56, v58
	v_bfe_u32 v54, v19, 8, 8
	v_bfe_u32 v55, v19, 16, 8
	v_add3_u32 v2, v2, v49, v53
	v_lshrrev_b32_e32 v48, 24, v19
	v_and_b32_e32 v50, 0xff, v20
	v_add3_u32 v2, v2, v54, v55
	v_bfe_u32 v51, v20, 8, 8
	v_bfe_u32 v52, v20, 16, 8
	v_add3_u32 v2, v2, v48, v50
	v_lshrrev_b32_e32 v46, 24, v20
	v_add3_u32 v2, v2, v51, v52
	s_waitcnt lgkmcnt(1)
	v_and_b32_e32 v45, 1, v3
	s_waitcnt lgkmcnt(0)
	v_and_b32_e32 v23, 1, v4
	v_add3_u32 v2, v2, v46, v47
	v_add3_u32 v61, v2, v45, v23
	v_mbcnt_lo_u32_b32 v2, -1, 0
	v_mbcnt_hi_u32_b32 v59, -1, v2
	v_and_b32_e32 v2, 15, v59
	v_cmp_eq_u32_e64 s[14:15], 0, v2
	v_cmp_lt_u32_e64 s[12:13], 1, v2
	v_cmp_lt_u32_e64 s[10:11], 3, v2
	;; [unrolled: 1-line block ×3, first 2 shown]
	v_and_b32_e32 v2, 16, v59
	v_cmp_eq_u32_e64 s[6:7], 0, v2
	v_or_b32_e32 v2, 63, v0
	v_cmp_lt_u32_e64 s[2:3], 31, v59
	v_cmp_eq_u32_e64 s[4:5], v2, v0
	s_barrier
	s_cbranch_scc0 .LBB442_99
; %bb.73:
	v_mov_b32_dpp v2, v61 row_shr:1 row_mask:0xf bank_mask:0xf
	v_cndmask_b32_e64 v2, v2, 0, s[14:15]
	v_add_u32_e32 v2, v2, v61
	s_nop 1
	v_mov_b32_dpp v3, v2 row_shr:2 row_mask:0xf bank_mask:0xf
	v_cndmask_b32_e64 v3, 0, v3, s[12:13]
	v_add_u32_e32 v2, v2, v3
	s_nop 1
	;; [unrolled: 4-line block ×4, first 2 shown]
	v_mov_b32_dpp v3, v2 row_bcast:15 row_mask:0xf bank_mask:0xf
	v_cndmask_b32_e64 v3, v3, 0, s[6:7]
	v_add_u32_e32 v2, v2, v3
	s_nop 1
	v_mov_b32_dpp v3, v2 row_bcast:31 row_mask:0xf bank_mask:0xf
	v_cndmask_b32_e64 v3, 0, v3, s[2:3]
	v_add_u32_e32 v2, v2, v3
	s_and_saveexec_b64 s[0:1], s[4:5]
	s_cbranch_execz .LBB442_75
; %bb.74:
	v_lshlrev_b32_e32 v3, 2, v60
	ds_write_b32 v3, v2
.LBB442_75:
	s_or_b64 exec, exec, s[0:1]
	v_cmp_gt_u32_e32 vcc, 8, v0
	s_waitcnt lgkmcnt(0)
	s_barrier
	s_and_saveexec_b64 s[0:1], vcc
	s_cbranch_execz .LBB442_77
; %bb.76:
	ds_read_b32 v3, v22
	v_and_b32_e32 v4, 7, v59
	v_cmp_ne_u32_e32 vcc, 0, v4
	s_waitcnt lgkmcnt(0)
	v_mov_b32_dpp v5, v3 row_shr:1 row_mask:0xf bank_mask:0xf
	v_cndmask_b32_e32 v5, 0, v5, vcc
	v_add_u32_e32 v3, v5, v3
	v_cmp_lt_u32_e32 vcc, 1, v4
	s_nop 0
	v_mov_b32_dpp v5, v3 row_shr:2 row_mask:0xf bank_mask:0xf
	v_cndmask_b32_e32 v5, 0, v5, vcc
	v_add_u32_e32 v3, v3, v5
	v_cmp_lt_u32_e32 vcc, 3, v4
	s_nop 0
	v_mov_b32_dpp v5, v3 row_shr:4 row_mask:0xf bank_mask:0xf
	v_cndmask_b32_e32 v4, 0, v5, vcc
	v_add_u32_e32 v3, v3, v4
	ds_write_b32 v22, v3
.LBB442_77:
	s_or_b64 exec, exec, s[0:1]
	v_cmp_gt_u32_e32 vcc, 64, v0
	v_cmp_lt_u32_e64 s[0:1], 63, v0
	s_waitcnt lgkmcnt(0)
	s_barrier
	s_waitcnt lgkmcnt(0)
                                        ; implicit-def: $vgpr12
	s_and_saveexec_b64 s[16:17], s[0:1]
	s_cbranch_execz .LBB442_79
; %bb.78:
	v_lshl_add_u32 v3, v60, 2, -4
	ds_read_b32 v12, v3
	s_waitcnt lgkmcnt(0)
	v_add_u32_e32 v2, v12, v2
.LBB442_79:
	s_or_b64 exec, exec, s[16:17]
	v_add_u32_e32 v3, -1, v59
	v_and_b32_e32 v4, 64, v59
	v_cmp_lt_i32_e64 s[0:1], v3, v4
	v_cmp_eq_u32_e64 s[16:17], 0, v59
	s_nop 0
	v_cndmask_b32_e64 v3, v3, v59, s[0:1]
	v_lshlrev_b32_e32 v3, 2, v3
	ds_bpermute_b32 v13, v3, v2
	s_and_saveexec_b64 s[0:1], vcc
	s_cbranch_execz .LBB442_98
; %bb.80:
	v_mov_b32_e32 v9, 0
	ds_read_b32 v2, v9 offset:28
	s_and_saveexec_b64 s[36:37], s[16:17]
	s_cbranch_execz .LBB442_82
; %bb.81:
	s_add_i32 s38, s40, 64
	s_mov_b32 s39, 0
	s_lshl_b64 s[38:39], s[38:39], 3
	s_add_u32 s38, s34, s38
	v_mov_b32_e32 v3, 1
	s_addc_u32 s39, s35, s39
	s_waitcnt lgkmcnt(0)
	global_store_dwordx2 v9, v[2:3], s[38:39] sc1
.LBB442_82:
	s_or_b64 exec, exec, s[36:37]
	v_xad_u32 v4, v59, -1, s40
	v_add_u32_e32 v8, 64, v4
	v_lshl_add_u64 v[10:11], v[8:9], 3, s[34:35]
	global_load_dwordx2 v[6:7], v[10:11], off sc1
	s_waitcnt vmcnt(0)
	v_cmp_eq_u16_sdwa s[38:39], v7, v9 src0_sel:BYTE_0 src1_sel:DWORD
	s_and_saveexec_b64 s[36:37], s[38:39]
	s_cbranch_execz .LBB442_86
; %bb.83:
	s_mov_b64 s[38:39], 0
	v_mov_b32_e32 v3, 0
.LBB442_84:                             ; =>This Inner Loop Header: Depth=1
	global_load_dwordx2 v[6:7], v[10:11], off sc1
	s_waitcnt vmcnt(0)
	v_cmp_ne_u16_sdwa s[42:43], v7, v3 src0_sel:BYTE_0 src1_sel:DWORD
	s_or_b64 s[38:39], s[42:43], s[38:39]
	s_andn2_b64 exec, exec, s[38:39]
	s_cbranch_execnz .LBB442_84
; %bb.85:
	s_or_b64 exec, exec, s[38:39]
.LBB442_86:
	s_or_b64 exec, exec, s[36:37]
	v_and_b32_e32 v15, 63, v59
	v_mov_b32_e32 v14, 2
	v_cmp_ne_u32_e32 vcc, 63, v15
	v_cmp_eq_u16_sdwa s[36:37], v7, v14 src0_sel:BYTE_0 src1_sel:DWORD
	v_lshlrev_b64 v[8:9], v59, -1
	v_addc_co_u32_e32 v10, vcc, 0, v59, vcc
	v_and_b32_e32 v3, s37, v9
	v_lshlrev_b32_e32 v16, 2, v10
	v_or_b32_e32 v3, 0x80000000, v3
	ds_bpermute_b32 v10, v16, v6
	v_and_b32_e32 v5, s36, v8
	v_ffbl_b32_e32 v3, v3
	v_add_u32_e32 v3, 32, v3
	v_ffbl_b32_e32 v5, v5
	v_min_u32_e32 v3, v5, v3
	v_cmp_lt_u32_e32 vcc, v15, v3
	v_add_u32_e32 v42, 2, v15
	v_add_u32_e32 v44, 4, v15
	s_waitcnt lgkmcnt(0)
	v_cndmask_b32_e32 v5, 0, v10, vcc
	v_cmp_gt_u32_e32 vcc, 62, v15
	v_add_u32_e32 v5, v5, v6
	v_add_u32_e32 v63, 8, v15
	v_cndmask_b32_e64 v6, 0, 1, vcc
	v_lshlrev_b32_e32 v6, 1, v6
	v_add_lshl_u32 v17, v6, v59, 2
	ds_bpermute_b32 v6, v17, v5
	v_cmp_le_u32_e32 vcc, v42, v3
	v_add_u32_e32 v65, 16, v15
	v_add_u32_e32 v67, 32, v15
	s_waitcnt lgkmcnt(0)
	v_cndmask_b32_e32 v6, 0, v6, vcc
	v_cmp_gt_u32_e32 vcc, 60, v15
	v_add_u32_e32 v5, v5, v6
	s_nop 0
	v_cndmask_b32_e64 v6, 0, 1, vcc
	v_lshlrev_b32_e32 v6, 2, v6
	v_add_lshl_u32 v43, v6, v59, 2
	ds_bpermute_b32 v6, v43, v5
	v_cmp_le_u32_e32 vcc, v44, v3
	s_waitcnt lgkmcnt(0)
	s_nop 0
	v_cndmask_b32_e32 v6, 0, v6, vcc
	v_cmp_gt_u32_e32 vcc, 56, v15
	v_add_u32_e32 v5, v5, v6
	s_nop 0
	v_cndmask_b32_e64 v6, 0, 1, vcc
	v_lshlrev_b32_e32 v6, 3, v6
	v_add_lshl_u32 v62, v6, v59, 2
	ds_bpermute_b32 v6, v62, v5
	v_cmp_le_u32_e32 vcc, v63, v3
	s_waitcnt lgkmcnt(0)
	s_nop 0
	v_cndmask_b32_e32 v6, 0, v6, vcc
	v_cmp_gt_u32_e32 vcc, 48, v15
	v_add_u32_e32 v5, v5, v6
	s_nop 0
	v_cndmask_b32_e64 v6, 0, 1, vcc
	v_lshlrev_b32_e32 v6, 4, v6
	v_add_lshl_u32 v64, v6, v59, 2
	ds_bpermute_b32 v6, v64, v5
	v_cmp_le_u32_e32 vcc, v65, v3
	s_waitcnt lgkmcnt(0)
	s_nop 0
	v_cndmask_b32_e32 v6, 0, v6, vcc
	v_cmp_gt_u32_e32 vcc, 32, v15
	v_add_u32_e32 v5, v5, v6
	s_nop 0
	v_cndmask_b32_e64 v6, 0, 1, vcc
	v_lshlrev_b32_e32 v6, 5, v6
	v_add_lshl_u32 v66, v6, v59, 2
	ds_bpermute_b32 v6, v66, v5
	v_cmp_le_u32_e32 vcc, v67, v3
	s_waitcnt lgkmcnt(0)
	s_nop 0
	v_cndmask_b32_e32 v3, 0, v6, vcc
	v_add_u32_e32 v6, v5, v3
	v_mov_b32_e32 v5, 0
	s_branch .LBB442_88
.LBB442_87:                             ;   in Loop: Header=BB442_88 Depth=1
	s_or_b64 exec, exec, s[36:37]
	v_cmp_eq_u16_sdwa s[36:37], v7, v14 src0_sel:BYTE_0 src1_sel:DWORD
	ds_bpermute_b32 v68, v16, v6
	v_subrev_u32_e32 v4, 64, v4
	v_and_b32_e32 v10, s37, v9
	v_or_b32_e32 v10, 0x80000000, v10
	v_and_b32_e32 v11, s36, v8
	v_ffbl_b32_e32 v10, v10
	v_add_u32_e32 v10, 32, v10
	v_ffbl_b32_e32 v11, v11
	v_min_u32_e32 v10, v11, v10
	v_cmp_lt_u32_e32 vcc, v15, v10
	s_waitcnt lgkmcnt(0)
	s_nop 0
	v_cndmask_b32_e32 v11, 0, v68, vcc
	v_add_u32_e32 v6, v11, v6
	ds_bpermute_b32 v11, v17, v6
	v_cmp_le_u32_e32 vcc, v42, v10
	s_waitcnt lgkmcnt(0)
	s_nop 0
	v_cndmask_b32_e32 v11, 0, v11, vcc
	v_add_u32_e32 v6, v6, v11
	ds_bpermute_b32 v11, v43, v6
	v_cmp_le_u32_e32 vcc, v44, v10
	;; [unrolled: 6-line block ×5, first 2 shown]
	s_waitcnt lgkmcnt(0)
	s_nop 0
	v_cndmask_b32_e32 v10, 0, v11, vcc
	v_add3_u32 v6, v10, v3, v6
.LBB442_88:                             ; =>This Loop Header: Depth=1
                                        ;     Child Loop BB442_91 Depth 2
	v_cmp_ne_u16_sdwa s[36:37], v7, v14 src0_sel:BYTE_0 src1_sel:DWORD
	s_nop 1
	v_cndmask_b32_e64 v3, 0, 1, s[36:37]
	;;#ASMSTART
	;;#ASMEND
	s_nop 0
	v_cmp_ne_u32_e32 vcc, 0, v3
	s_cmp_lg_u64 vcc, exec
	v_mov_b32_e32 v3, v6
	s_cbranch_scc1 .LBB442_93
; %bb.89:                               ;   in Loop: Header=BB442_88 Depth=1
	v_lshl_add_u64 v[10:11], v[4:5], 3, s[34:35]
	global_load_dwordx2 v[6:7], v[10:11], off sc1
	s_waitcnt vmcnt(0)
	v_cmp_eq_u16_sdwa s[38:39], v7, v5 src0_sel:BYTE_0 src1_sel:DWORD
	s_and_saveexec_b64 s[36:37], s[38:39]
	s_cbranch_execz .LBB442_87
; %bb.90:                               ;   in Loop: Header=BB442_88 Depth=1
	s_mov_b64 s[38:39], 0
.LBB442_91:                             ;   Parent Loop BB442_88 Depth=1
                                        ; =>  This Inner Loop Header: Depth=2
	global_load_dwordx2 v[6:7], v[10:11], off sc1
	s_waitcnt vmcnt(0)
	v_cmp_ne_u16_sdwa s[42:43], v7, v5 src0_sel:BYTE_0 src1_sel:DWORD
	s_or_b64 s[38:39], s[42:43], s[38:39]
	s_andn2_b64 exec, exec, s[38:39]
	s_cbranch_execnz .LBB442_91
; %bb.92:                               ;   in Loop: Header=BB442_88 Depth=1
	s_or_b64 exec, exec, s[38:39]
	s_branch .LBB442_87
.LBB442_93:                             ;   in Loop: Header=BB442_88 Depth=1
                                        ; implicit-def: $vgpr6
                                        ; implicit-def: $vgpr7
	s_cbranch_execz .LBB442_88
; %bb.94:
	s_and_saveexec_b64 s[36:37], s[16:17]
	s_cbranch_execz .LBB442_96
; %bb.95:
	s_add_i32 s38, s40, 64
	s_mov_b32 s39, 0
	s_lshl_b64 s[38:39], s[38:39], 3
	s_add_u32 s38, s34, s38
	v_add_u32_e32 v4, v3, v2
	v_mov_b32_e32 v5, 2
	s_addc_u32 s39, s35, s39
	v_mov_b32_e32 v6, 0
	global_store_dwordx2 v6, v[4:5], s[38:39] sc1
	ds_write_b64 v6, v[2:3] offset:30720
.LBB442_96:
	s_or_b64 exec, exec, s[36:37]
	s_and_b64 exec, exec, s[18:19]
	s_cbranch_execz .LBB442_98
; %bb.97:
	v_mov_b32_e32 v2, 0
	ds_write_b32 v2, v3 offset:28
.LBB442_98:
	s_or_b64 exec, exec, s[0:1]
	v_mov_b32_e32 v14, 0
	s_waitcnt lgkmcnt(0)
	s_barrier
	ds_read_b32 v2, v14 offset:28
	v_cndmask_b32_e64 v3, v13, v12, s[16:17]
	v_cndmask_b32_e64 v3, v3, 0, s[18:19]
	s_waitcnt lgkmcnt(0)
	s_barrier
	v_add_u32_e32 v2, v2, v3
	v_add_u32_e32 v3, v2, v56
	;; [unrolled: 1-line block ×10, first 2 shown]
	ds_read_b64 v[42:43], v14 offset:30720
	v_add_u32_e32 v12, v11, v51
	v_add_u32_e32 v13, v12, v52
	;; [unrolled: 1-line block ×5, first 2 shown]
	s_waitcnt lgkmcnt(0)
	v_mov_b32_e32 v44, v43
	s_branch .LBB442_109
.LBB442_99:
                                        ; implicit-def: $vgpr44
                                        ; implicit-def: $vgpr42
                                        ; implicit-def: $vgpr2_vgpr3_vgpr4_vgpr5_vgpr6_vgpr7_vgpr8_vgpr9_vgpr10_vgpr11_vgpr12_vgpr13_vgpr14_vgpr15_vgpr16_vgpr17
	s_cbranch_execz .LBB442_109
; %bb.100:
	s_nop 0
	v_mov_b32_dpp v2, v61 row_shr:1 row_mask:0xf bank_mask:0xf
	v_cndmask_b32_e64 v2, v2, 0, s[14:15]
	v_add_u32_e32 v2, v2, v61
	s_nop 1
	v_mov_b32_dpp v3, v2 row_shr:2 row_mask:0xf bank_mask:0xf
	v_cndmask_b32_e64 v3, 0, v3, s[12:13]
	v_add_u32_e32 v2, v2, v3
	;; [unrolled: 4-line block ×4, first 2 shown]
	s_nop 1
	v_mov_b32_dpp v3, v2 row_bcast:15 row_mask:0xf bank_mask:0xf
	v_cndmask_b32_e64 v3, v3, 0, s[6:7]
	v_add_u32_e32 v2, v2, v3
	s_nop 1
	v_mov_b32_dpp v3, v2 row_bcast:31 row_mask:0xf bank_mask:0xf
	v_cndmask_b32_e64 v3, 0, v3, s[2:3]
	v_add_u32_e32 v2, v2, v3
	s_and_saveexec_b64 s[0:1], s[4:5]
	s_cbranch_execz .LBB442_102
; %bb.101:
	v_lshlrev_b32_e32 v3, 2, v60
	ds_write_b32 v3, v2
.LBB442_102:
	s_or_b64 exec, exec, s[0:1]
	v_cmp_gt_u32_e32 vcc, 8, v0
	s_waitcnt lgkmcnt(0)
	s_barrier
	s_and_saveexec_b64 s[0:1], vcc
	s_cbranch_execz .LBB442_104
; %bb.103:
	v_mad_i32_i24 v3, v0, -11, v21
	ds_read_b32 v4, v3
	v_and_b32_e32 v5, 7, v59
	v_cmp_ne_u32_e32 vcc, 0, v5
	s_waitcnt lgkmcnt(0)
	v_mov_b32_dpp v6, v4 row_shr:1 row_mask:0xf bank_mask:0xf
	v_cndmask_b32_e32 v6, 0, v6, vcc
	v_add_u32_e32 v4, v6, v4
	v_cmp_lt_u32_e32 vcc, 1, v5
	s_nop 0
	v_mov_b32_dpp v6, v4 row_shr:2 row_mask:0xf bank_mask:0xf
	v_cndmask_b32_e32 v6, 0, v6, vcc
	v_add_u32_e32 v4, v4, v6
	v_cmp_lt_u32_e32 vcc, 3, v5
	s_nop 0
	v_mov_b32_dpp v6, v4 row_shr:4 row_mask:0xf bank_mask:0xf
	v_cndmask_b32_e32 v5, 0, v6, vcc
	v_add_u32_e32 v4, v4, v5
	ds_write_b32 v3, v4
.LBB442_104:
	s_or_b64 exec, exec, s[0:1]
	v_cmp_lt_u32_e32 vcc, 63, v0
	v_mov_b32_e32 v4, 0
	v_mov_b32_e32 v3, 0
	s_waitcnt lgkmcnt(0)
	s_barrier
	s_and_saveexec_b64 s[0:1], vcc
	s_cbranch_execz .LBB442_106
; %bb.105:
	v_lshl_add_u32 v3, v60, 2, -4
	ds_read_b32 v3, v3
.LBB442_106:
	s_or_b64 exec, exec, s[0:1]
	v_add_u32_e32 v5, -1, v59
	v_and_b32_e32 v6, 64, v59
	v_cmp_lt_i32_e32 vcc, v5, v6
	s_waitcnt lgkmcnt(0)
	v_add_u32_e32 v2, v3, v2
	ds_read_b32 v42, v4 offset:28
	v_cndmask_b32_e32 v5, v5, v59, vcc
	v_lshlrev_b32_e32 v5, 2, v5
	ds_bpermute_b32 v2, v5, v2
	s_and_saveexec_b64 s[0:1], s[18:19]
	s_cbranch_execz .LBB442_108
; %bb.107:
	v_mov_b32_e32 v4, 0
	v_mov_b32_e32 v43, 2
	s_waitcnt lgkmcnt(1)
	global_store_dwordx2 v4, v[42:43], s[34:35] offset:512 sc1
.LBB442_108:
	s_or_b64 exec, exec, s[0:1]
	v_cmp_eq_u32_e32 vcc, 0, v59
	v_mov_b32_e32 v44, 0
	s_waitcnt lgkmcnt(0)
	v_cndmask_b32_e32 v2, v2, v3, vcc
	v_cndmask_b32_e64 v2, v2, 0, s[18:19]
	v_add_u32_e32 v3, v2, v56
	v_add_u32_e32 v4, v3, v57
	;; [unrolled: 1-line block ×14, first 2 shown]
	s_barrier
.LBB442_109:
	v_add_u32_e32 v21, v42, v21
	v_sub_u32_e32 v2, v2, v44
	v_and_b32_e32 v52, 1, v18
	v_sub_u32_e32 v51, v21, v2
	v_cmp_eq_u32_e32 vcc, 1, v52
	v_lshrrev_b32_e32 v50, 8, v18
	v_lshrrev_b32_e32 v43, 8, v19
	v_cndmask_b32_e32 v2, v51, v2, vcc
	v_lshlrev_b32_e32 v2, 2, v2
	ds_write_b32 v2, v40
	v_sub_u32_e32 v2, v3, v44
	v_sub_u32_e32 v3, v21, v2
	v_and_b32_e32 v40, 1, v50
	v_add_u32_e32 v3, 1, v3
	v_cmp_eq_u32_e32 vcc, 1, v40
	v_lshrrev_b32_e32 v17, 8, v20
	v_or_b32_e32 v40, 0x400, v0
	v_cndmask_b32_e32 v2, v3, v2, vcc
	v_lshlrev_b32_e32 v2, 2, v2
	ds_write_b32 v2, v41
	v_sub_u32_e32 v2, v4, v44
	v_mov_b32_e32 v4, 1
	v_sub_u32_e32 v3, v21, v2
	v_and_b32_sdwa v18, v4, v18 dst_sel:DWORD dst_unused:UNUSED_PAD src0_sel:DWORD src1_sel:WORD_1
	v_add_u32_e32 v3, 2, v3
	v_cmp_eq_u32_e32 vcc, 1, v18
	v_or_b32_e32 v41, 0x200, v0
	s_nop 0
	v_cndmask_b32_e32 v2, v3, v2, vcc
	v_lshlrev_b32_e32 v2, 2, v2
	ds_write_b32 v2, v38
	v_sub_u32_e32 v2, v5, v44
	v_sub_u32_e32 v3, v21, v2
	v_and_b32_e32 v5, 1, v49
	v_add_u32_e32 v3, 3, v3
	v_cmp_eq_u32_e32 vcc, 1, v5
	v_and_b32_e32 v5, 1, v19
	v_or_b32_e32 v38, 0x800, v0
	v_cndmask_b32_e32 v2, v3, v2, vcc
	v_lshlrev_b32_e32 v2, 2, v2
	ds_write_b32 v2, v39
	v_sub_u32_e32 v2, v6, v44
	v_sub_u32_e32 v3, v21, v2
	v_add_u32_e32 v3, 4, v3
	v_cmp_eq_u32_e32 vcc, 1, v5
	v_and_b32_e32 v5, 1, v43
	v_or_b32_e32 v39, 0x600, v0
	v_cndmask_b32_e32 v2, v3, v2, vcc
	v_lshlrev_b32_e32 v2, 2, v2
	ds_write_b32 v2, v36
	v_sub_u32_e32 v2, v7, v44
	v_sub_u32_e32 v3, v21, v2
	v_add_u32_e32 v3, 5, v3
	v_cmp_eq_u32_e32 vcc, 1, v5
	v_and_b32_sdwa v5, v4, v19 dst_sel:DWORD dst_unused:UNUSED_PAD src0_sel:DWORD src1_sel:WORD_1
	v_and_b32_sdwa v4, v4, v20 dst_sel:DWORD dst_unused:UNUSED_PAD src0_sel:DWORD src1_sel:WORD_1
	v_cndmask_b32_e32 v2, v3, v2, vcc
	v_lshlrev_b32_e32 v2, 2, v2
	ds_write_b32 v2, v37
	v_sub_u32_e32 v2, v8, v44
	v_sub_u32_e32 v3, v21, v2
	v_add_u32_e32 v3, 6, v3
	v_cmp_eq_u32_e32 vcc, 1, v5
	v_and_b32_e32 v5, 1, v48
	v_mov_b32_e32 v7, s31
	v_cndmask_b32_e32 v2, v3, v2, vcc
	v_lshlrev_b32_e32 v2, 2, v2
	ds_write_b32 v2, v34
	v_sub_u32_e32 v2, v9, v44
	v_sub_u32_e32 v3, v21, v2
	v_add_u32_e32 v3, 7, v3
	v_cmp_eq_u32_e32 vcc, 1, v5
	v_and_b32_e32 v5, 1, v20
	v_or_b32_e32 v37, 0xa00, v0
	v_cndmask_b32_e32 v2, v3, v2, vcc
	v_lshlrev_b32_e32 v2, 2, v2
	ds_write_b32 v2, v35
	v_sub_u32_e32 v2, v10, v44
	v_sub_u32_e32 v3, v21, v2
	v_add_u32_e32 v3, 8, v3
	v_cmp_eq_u32_e32 vcc, 1, v5
	v_and_b32_e32 v5, 1, v17
	v_or_b32_e32 v36, 0xc00, v0
	v_cndmask_b32_e32 v2, v3, v2, vcc
	v_lshlrev_b32_e32 v2, 2, v2
	ds_write_b32 v2, v32
	v_sub_u32_e32 v2, v11, v44
	v_sub_u32_e32 v3, v21, v2
	v_add_u32_e32 v3, 9, v3
	v_cmp_eq_u32_e32 vcc, 1, v5
	v_or_b32_e32 v35, 0xe00, v0
	v_or_b32_e32 v34, 0x1000, v0
	v_cndmask_b32_e32 v2, v3, v2, vcc
	v_lshlrev_b32_e32 v2, 2, v2
	ds_write_b32 v2, v33
	v_sub_u32_e32 v2, v12, v44
	v_sub_u32_e32 v3, v21, v2
	v_add_u32_e32 v3, 10, v3
	v_cmp_eq_u32_e32 vcc, 1, v4
	v_and_b32_e32 v4, 1, v46
	v_or_b32_e32 v33, 0x1200, v0
	v_cndmask_b32_e32 v2, v3, v2, vcc
	v_lshlrev_b32_e32 v2, 2, v2
	ds_write_b32 v2, v30
	v_sub_u32_e32 v2, v13, v44
	v_sub_u32_e32 v3, v21, v2
	v_add_u32_e32 v3, 11, v3
	v_cmp_eq_u32_e32 vcc, 1, v4
	v_or_b32_e32 v32, 0x1400, v0
	v_or_b32_e32 v30, 0x1800, v0
	v_cndmask_b32_e32 v2, v3, v2, vcc
	v_lshlrev_b32_e32 v2, 2, v2
	ds_write_b32 v2, v31
	v_sub_u32_e32 v2, v14, v44
	v_sub_u32_e32 v3, v21, v2
	v_add_u32_e32 v3, 12, v3
	v_cmp_eq_u32_e32 vcc, 1, v47
	v_or_b32_e32 v31, 0x1600, v0
	s_nop 0
	v_cndmask_b32_e32 v2, v3, v2, vcc
	v_lshlrev_b32_e32 v2, 2, v2
	ds_write_b32 v2, v28
	v_sub_u32_e32 v2, v15, v44
	v_sub_u32_e32 v3, v21, v2
	v_add_u32_e32 v3, 13, v3
	v_cmp_eq_u32_e32 vcc, 1, v45
	v_mov_b32_e32 v45, 0
	s_waitcnt vmcnt(0)
	v_lshl_add_u64 v[8:9], v[24:25], 0, v[44:45]
	v_cndmask_b32_e32 v2, v3, v2, vcc
	v_lshlrev_b32_e32 v2, 2, v2
	ds_write_b32 v2, v29
	v_sub_u32_e32 v2, v16, v44
	v_sub_u32_e32 v3, v21, v2
	v_add_u32_e32 v3, 14, v3
	v_cmp_eq_u32_e32 vcc, 1, v23
	v_mov_b32_e32 v43, v45
	v_or_b32_e32 v29, 0x1a00, v0
	v_cndmask_b32_e32 v2, v3, v2, vcc
	v_lshlrev_b32_e32 v2, 2, v2
	ds_write_b32 v2, v1
	v_lshl_add_u64 v[2:3], v[8:9], 0, v[42:43]
	s_waitcnt lgkmcnt(0)
	s_barrier
	ds_read2st64_b32 v[20:21], v22 offset1:8
	ds_read2st64_b32 v[18:19], v22 offset0:16 offset1:24
	ds_read2st64_b32 v[16:17], v22 offset0:32 offset1:40
	ds_read2st64_b32 v[14:15], v22 offset0:48 offset1:56
	ds_read2st64_b32 v[12:13], v22 offset0:64 offset1:72
	ds_read2st64_b32 v[10:11], v22 offset0:80 offset1:88
	ds_read2st64_b32 v[4:5], v22 offset0:96 offset1:104
	ds_read_b32 v1, v22 offset:28672
	v_sub_co_u32_e32 v6, vcc, s30, v2
	v_lshlrev_b64 v[8:9], 2, v[8:9]
	s_nop 0
	v_subb_co_u32_e32 v7, vcc, v7, v3, vcc
	v_lshlrev_b64 v[6:7], 2, v[6:7]
	v_lshl_add_u64 v[6:7], s[26:27], 0, v[6:7]
	v_or_b32_e32 v28, 0x1c00, v0
	v_lshl_add_u64 v[6:7], v[6:7], 0, v[26:27]
	s_andn2_b64 vcc, exec, s[28:29]
	v_lshl_add_u64 v[8:9], s[24:25], 0, v[8:9]
	s_cbranch_vccnz .LBB442_111
; %bb.110:
	v_cmp_gt_u32_e32 vcc, v42, v0
	v_mov_b32_e32 v23, v45
	v_lshlrev_b32_e32 v44, 2, v40
	v_cndmask_b32_e32 v25, v7, v9, vcc
	v_cndmask_b32_e32 v24, v6, v8, vcc
	v_lshl_add_u64 v[24:25], v[24:25], 0, v[22:23]
	v_cmp_lt_u32_e32 vcc, v41, v42
	s_waitcnt lgkmcnt(7)
	global_store_dword v[24:25], v20, off
	v_cndmask_b32_e32 v25, v7, v9, vcc
	v_cndmask_b32_e32 v24, v6, v8, vcc
	v_lshl_add_u64 v[24:25], v[24:25], 0, v[22:23]
	v_cmp_lt_u32_e32 vcc, v40, v42
	global_store_dword v[24:25], v21, off offset:2048
	s_mov_b64 s[0:1], -1
	v_cndmask_b32_e32 v25, v7, v9, vcc
	v_cndmask_b32_e32 v24, v6, v8, vcc
	v_lshl_add_u64 v[24:25], v[24:25], 0, v[44:45]
	v_cmp_lt_u32_e32 vcc, v39, v42
	s_waitcnt lgkmcnt(6)
	global_store_dword v[24:25], v18, off
	v_lshlrev_b32_e32 v44, 2, v39
	v_cndmask_b32_e32 v25, v7, v9, vcc
	v_cndmask_b32_e32 v24, v6, v8, vcc
	v_lshl_add_u64 v[24:25], v[24:25], 0, v[44:45]
	v_cmp_lt_u32_e32 vcc, v38, v42
	global_store_dword v[24:25], v19, off
	v_lshlrev_b32_e32 v44, 2, v38
	v_cndmask_b32_e32 v25, v7, v9, vcc
	v_cndmask_b32_e32 v24, v6, v8, vcc
	v_lshl_add_u64 v[24:25], v[24:25], 0, v[44:45]
	v_cmp_lt_u32_e32 vcc, v37, v42
	s_waitcnt lgkmcnt(5)
	global_store_dword v[24:25], v16, off
	v_lshlrev_b32_e32 v44, 2, v37
	v_cndmask_b32_e32 v25, v7, v9, vcc
	v_cndmask_b32_e32 v24, v6, v8, vcc
	v_lshl_add_u64 v[24:25], v[24:25], 0, v[44:45]
	v_cmp_lt_u32_e32 vcc, v36, v42
	global_store_dword v[24:25], v17, off
	v_lshlrev_b32_e32 v44, 2, v36
	;; [unrolled: 13-line block ×5, first 2 shown]
	v_cndmask_b32_e32 v25, v7, v9, vcc
	v_cndmask_b32_e32 v24, v6, v8, vcc
	v_lshl_add_u64 v[24:25], v[24:25], 0, v[44:45]
	v_cmp_lt_u32_e32 vcc, v29, v42
	s_waitcnt lgkmcnt(1)
	global_store_dword v[24:25], v4, off
	v_lshlrev_b32_e32 v44, 2, v29
	v_cndmask_b32_e32 v25, v7, v9, vcc
	v_cndmask_b32_e32 v24, v6, v8, vcc
	v_lshl_add_u64 v[24:25], v[24:25], 0, v[44:45]
	global_store_dword v[24:25], v5, off
	s_cbranch_execz .LBB442_112
	s_branch .LBB442_128
.LBB442_111:
	s_mov_b64 s[0:1], 0
.LBB442_112:
	v_cmp_gt_u32_e32 vcc, s33, v0
	s_and_saveexec_b64 s[0:1], vcc
	s_cbranch_execnz .LBB442_133
; %bb.113:
	s_or_b64 exec, exec, s[0:1]
	v_cmp_gt_u32_e32 vcc, s33, v41
	s_and_saveexec_b64 s[0:1], vcc
	s_cbranch_execnz .LBB442_134
.LBB442_114:
	s_or_b64 exec, exec, s[0:1]
	v_cmp_gt_u32_e32 vcc, s33, v40
	s_and_saveexec_b64 s[0:1], vcc
	s_cbranch_execnz .LBB442_135
.LBB442_115:
	s_or_b64 exec, exec, s[0:1]
	v_cmp_gt_u32_e32 vcc, s33, v39
	s_and_saveexec_b64 s[0:1], vcc
	s_cbranch_execnz .LBB442_136
.LBB442_116:
	s_or_b64 exec, exec, s[0:1]
	v_cmp_gt_u32_e32 vcc, s33, v38
	s_and_saveexec_b64 s[0:1], vcc
	s_cbranch_execnz .LBB442_137
.LBB442_117:
	s_or_b64 exec, exec, s[0:1]
	v_cmp_gt_u32_e32 vcc, s33, v37
	s_and_saveexec_b64 s[0:1], vcc
	s_cbranch_execnz .LBB442_138
.LBB442_118:
	s_or_b64 exec, exec, s[0:1]
	v_cmp_gt_u32_e32 vcc, s33, v36
	s_and_saveexec_b64 s[0:1], vcc
	s_cbranch_execnz .LBB442_139
.LBB442_119:
	s_or_b64 exec, exec, s[0:1]
	v_cmp_gt_u32_e32 vcc, s33, v35
	s_and_saveexec_b64 s[0:1], vcc
	s_cbranch_execnz .LBB442_140
.LBB442_120:
	s_or_b64 exec, exec, s[0:1]
	v_cmp_gt_u32_e32 vcc, s33, v34
	s_and_saveexec_b64 s[0:1], vcc
	s_cbranch_execnz .LBB442_141
.LBB442_121:
	s_or_b64 exec, exec, s[0:1]
	v_cmp_gt_u32_e32 vcc, s33, v33
	s_and_saveexec_b64 s[0:1], vcc
	s_cbranch_execnz .LBB442_142
.LBB442_122:
	s_or_b64 exec, exec, s[0:1]
	v_cmp_gt_u32_e32 vcc, s33, v32
	s_and_saveexec_b64 s[0:1], vcc
	s_cbranch_execnz .LBB442_143
.LBB442_123:
	s_or_b64 exec, exec, s[0:1]
	v_cmp_gt_u32_e32 vcc, s33, v31
	s_and_saveexec_b64 s[0:1], vcc
	s_cbranch_execnz .LBB442_144
.LBB442_124:
	s_or_b64 exec, exec, s[0:1]
	v_cmp_gt_u32_e32 vcc, s33, v30
	s_and_saveexec_b64 s[0:1], vcc
	s_cbranch_execnz .LBB442_145
.LBB442_125:
	s_or_b64 exec, exec, s[0:1]
	v_cmp_gt_u32_e32 vcc, s33, v29
	s_and_saveexec_b64 s[0:1], vcc
	s_cbranch_execz .LBB442_127
.LBB442_126:
	v_cmp_lt_u32_e32 vcc, v29, v42
	s_waitcnt lgkmcnt(3)
	v_lshlrev_b32_e32 v12, 2, v29
	v_mov_b32_e32 v13, 0
	s_waitcnt lgkmcnt(2)
	v_cndmask_b32_e32 v11, v7, v9, vcc
	v_cndmask_b32_e32 v10, v6, v8, vcc
	v_lshl_add_u64 v[10:11], v[10:11], 0, v[12:13]
	s_waitcnt lgkmcnt(1)
	global_store_dword v[10:11], v5, off
.LBB442_127:
	s_or_b64 exec, exec, s[0:1]
	v_cmp_gt_u32_e64 s[0:1], s33, v28
.LBB442_128:
	s_and_saveexec_b64 s[2:3], s[0:1]
	s_cbranch_execnz .LBB442_131
; %bb.129:
	s_or_b64 exec, exec, s[2:3]
	s_and_b64 s[0:1], s[18:19], s[22:23]
	s_and_saveexec_b64 s[2:3], s[0:1]
	s_cbranch_execnz .LBB442_132
.LBB442_130:
	s_endpgm
.LBB442_131:
	v_cmp_lt_u32_e32 vcc, v28, v42
	s_waitcnt lgkmcnt(1)
	s_nop 0
	v_cndmask_b32_e32 v5, v7, v9, vcc
	v_cndmask_b32_e32 v4, v6, v8, vcc
	v_lshlrev_b32_e32 v6, 2, v28
	v_mov_b32_e32 v7, 0
	v_lshl_add_u64 v[4:5], v[4:5], 0, v[6:7]
	s_waitcnt lgkmcnt(0)
	global_store_dword v[4:5], v1, off
	s_or_b64 exec, exec, s[2:3]
	s_and_b64 s[0:1], s[18:19], s[22:23]
	s_and_saveexec_b64 s[2:3], s[0:1]
	s_cbranch_execz .LBB442_130
.LBB442_132:
	v_mov_b32_e32 v0, 0
	global_store_dwordx2 v0, v[2:3], s[20:21]
	s_endpgm
.LBB442_133:
	v_cmp_gt_u32_e32 vcc, v42, v0
	v_mov_b32_e32 v23, 0
	s_nop 0
	v_cndmask_b32_e32 v25, v7, v9, vcc
	v_cndmask_b32_e32 v24, v6, v8, vcc
	v_lshl_add_u64 v[24:25], v[24:25], 0, v[22:23]
	s_waitcnt lgkmcnt(7)
	global_store_dword v[24:25], v20, off
	s_or_b64 exec, exec, s[0:1]
	v_cmp_gt_u32_e32 vcc, s33, v41
	s_and_saveexec_b64 s[0:1], vcc
	s_cbranch_execz .LBB442_114
.LBB442_134:
	v_cmp_lt_u32_e32 vcc, v41, v42
	v_mov_b32_e32 v23, 0
	s_nop 0
	v_cndmask_b32_e32 v25, v7, v9, vcc
	v_cndmask_b32_e32 v24, v6, v8, vcc
	v_lshl_add_u64 v[22:23], v[24:25], 0, v[22:23]
	s_waitcnt lgkmcnt(7)
	global_store_dword v[22:23], v21, off offset:2048
	s_or_b64 exec, exec, s[0:1]
	v_cmp_gt_u32_e32 vcc, s33, v40
	s_and_saveexec_b64 s[0:1], vcc
	s_cbranch_execz .LBB442_115
.LBB442_135:
	v_cmp_lt_u32_e32 vcc, v40, v42
	v_lshlrev_b32_e32 v22, 2, v40
	v_mov_b32_e32 v23, 0
	s_waitcnt lgkmcnt(7)
	v_cndmask_b32_e32 v21, v7, v9, vcc
	v_cndmask_b32_e32 v20, v6, v8, vcc
	v_lshl_add_u64 v[20:21], v[20:21], 0, v[22:23]
	s_waitcnt lgkmcnt(6)
	global_store_dword v[20:21], v18, off
	s_or_b64 exec, exec, s[0:1]
	v_cmp_gt_u32_e32 vcc, s33, v39
	s_and_saveexec_b64 s[0:1], vcc
	s_cbranch_execz .LBB442_116
.LBB442_136:
	v_cmp_lt_u32_e32 vcc, v39, v42
	v_lshlrev_b32_e32 v22, 2, v39
	v_mov_b32_e32 v23, 0
	s_waitcnt lgkmcnt(7)
	v_cndmask_b32_e32 v21, v7, v9, vcc
	v_cndmask_b32_e32 v20, v6, v8, vcc
	v_lshl_add_u64 v[20:21], v[20:21], 0, v[22:23]
	s_waitcnt lgkmcnt(6)
	global_store_dword v[20:21], v19, off
	s_or_b64 exec, exec, s[0:1]
	v_cmp_gt_u32_e32 vcc, s33, v38
	s_and_saveexec_b64 s[0:1], vcc
	s_cbranch_execz .LBB442_117
.LBB442_137:
	v_cmp_lt_u32_e32 vcc, v38, v42
	s_waitcnt lgkmcnt(7)
	v_lshlrev_b32_e32 v20, 2, v38
	v_mov_b32_e32 v21, 0
	s_waitcnt lgkmcnt(6)
	v_cndmask_b32_e32 v19, v7, v9, vcc
	v_cndmask_b32_e32 v18, v6, v8, vcc
	v_lshl_add_u64 v[18:19], v[18:19], 0, v[20:21]
	s_waitcnt lgkmcnt(5)
	global_store_dword v[18:19], v16, off
	s_or_b64 exec, exec, s[0:1]
	v_cmp_gt_u32_e32 vcc, s33, v37
	s_and_saveexec_b64 s[0:1], vcc
	s_cbranch_execz .LBB442_118
.LBB442_138:
	v_cmp_lt_u32_e32 vcc, v37, v42
	s_waitcnt lgkmcnt(7)
	v_lshlrev_b32_e32 v20, 2, v37
	v_mov_b32_e32 v21, 0
	s_waitcnt lgkmcnt(6)
	v_cndmask_b32_e32 v19, v7, v9, vcc
	v_cndmask_b32_e32 v18, v6, v8, vcc
	v_lshl_add_u64 v[18:19], v[18:19], 0, v[20:21]
	s_waitcnt lgkmcnt(5)
	global_store_dword v[18:19], v17, off
	s_or_b64 exec, exec, s[0:1]
	v_cmp_gt_u32_e32 vcc, s33, v36
	s_and_saveexec_b64 s[0:1], vcc
	s_cbranch_execz .LBB442_119
.LBB442_139:
	v_cmp_lt_u32_e32 vcc, v36, v42
	s_waitcnt lgkmcnt(6)
	v_lshlrev_b32_e32 v18, 2, v36
	v_mov_b32_e32 v19, 0
	s_waitcnt lgkmcnt(5)
	v_cndmask_b32_e32 v17, v7, v9, vcc
	v_cndmask_b32_e32 v16, v6, v8, vcc
	v_lshl_add_u64 v[16:17], v[16:17], 0, v[18:19]
	s_waitcnt lgkmcnt(4)
	global_store_dword v[16:17], v14, off
	s_or_b64 exec, exec, s[0:1]
	v_cmp_gt_u32_e32 vcc, s33, v35
	s_and_saveexec_b64 s[0:1], vcc
	s_cbranch_execz .LBB442_120
.LBB442_140:
	v_cmp_lt_u32_e32 vcc, v35, v42
	s_waitcnt lgkmcnt(6)
	v_lshlrev_b32_e32 v18, 2, v35
	v_mov_b32_e32 v19, 0
	s_waitcnt lgkmcnt(5)
	v_cndmask_b32_e32 v17, v7, v9, vcc
	v_cndmask_b32_e32 v16, v6, v8, vcc
	v_lshl_add_u64 v[16:17], v[16:17], 0, v[18:19]
	s_waitcnt lgkmcnt(4)
	global_store_dword v[16:17], v15, off
	s_or_b64 exec, exec, s[0:1]
	v_cmp_gt_u32_e32 vcc, s33, v34
	s_and_saveexec_b64 s[0:1], vcc
	s_cbranch_execz .LBB442_121
.LBB442_141:
	v_cmp_lt_u32_e32 vcc, v34, v42
	s_waitcnt lgkmcnt(5)
	v_lshlrev_b32_e32 v16, 2, v34
	v_mov_b32_e32 v17, 0
	s_waitcnt lgkmcnt(4)
	v_cndmask_b32_e32 v15, v7, v9, vcc
	v_cndmask_b32_e32 v14, v6, v8, vcc
	v_lshl_add_u64 v[14:15], v[14:15], 0, v[16:17]
	s_waitcnt lgkmcnt(3)
	global_store_dword v[14:15], v12, off
	s_or_b64 exec, exec, s[0:1]
	v_cmp_gt_u32_e32 vcc, s33, v33
	s_and_saveexec_b64 s[0:1], vcc
	s_cbranch_execz .LBB442_122
.LBB442_142:
	v_cmp_lt_u32_e32 vcc, v33, v42
	s_waitcnt lgkmcnt(5)
	v_lshlrev_b32_e32 v16, 2, v33
	v_mov_b32_e32 v17, 0
	s_waitcnt lgkmcnt(4)
	v_cndmask_b32_e32 v15, v7, v9, vcc
	v_cndmask_b32_e32 v14, v6, v8, vcc
	v_lshl_add_u64 v[14:15], v[14:15], 0, v[16:17]
	s_waitcnt lgkmcnt(3)
	global_store_dword v[14:15], v13, off
	s_or_b64 exec, exec, s[0:1]
	v_cmp_gt_u32_e32 vcc, s33, v32
	s_and_saveexec_b64 s[0:1], vcc
	s_cbranch_execz .LBB442_123
.LBB442_143:
	v_cmp_lt_u32_e32 vcc, v32, v42
	s_waitcnt lgkmcnt(4)
	v_lshlrev_b32_e32 v14, 2, v32
	v_mov_b32_e32 v15, 0
	s_waitcnt lgkmcnt(3)
	v_cndmask_b32_e32 v13, v7, v9, vcc
	v_cndmask_b32_e32 v12, v6, v8, vcc
	v_lshl_add_u64 v[12:13], v[12:13], 0, v[14:15]
	s_waitcnt lgkmcnt(2)
	global_store_dword v[12:13], v10, off
	s_or_b64 exec, exec, s[0:1]
	v_cmp_gt_u32_e32 vcc, s33, v31
	s_and_saveexec_b64 s[0:1], vcc
	s_cbranch_execz .LBB442_124
.LBB442_144:
	v_cmp_lt_u32_e32 vcc, v31, v42
	s_waitcnt lgkmcnt(4)
	v_lshlrev_b32_e32 v14, 2, v31
	v_mov_b32_e32 v15, 0
	s_waitcnt lgkmcnt(3)
	v_cndmask_b32_e32 v13, v7, v9, vcc
	v_cndmask_b32_e32 v12, v6, v8, vcc
	v_lshl_add_u64 v[12:13], v[12:13], 0, v[14:15]
	s_waitcnt lgkmcnt(2)
	global_store_dword v[12:13], v11, off
	s_or_b64 exec, exec, s[0:1]
	v_cmp_gt_u32_e32 vcc, s33, v30
	s_and_saveexec_b64 s[0:1], vcc
	s_cbranch_execz .LBB442_125
.LBB442_145:
	v_cmp_lt_u32_e32 vcc, v30, v42
	s_waitcnt lgkmcnt(3)
	v_lshlrev_b32_e32 v12, 2, v30
	v_mov_b32_e32 v13, 0
	s_waitcnt lgkmcnt(2)
	v_cndmask_b32_e32 v11, v7, v9, vcc
	v_cndmask_b32_e32 v10, v6, v8, vcc
	v_lshl_add_u64 v[10:11], v[10:11], 0, v[12:13]
	s_waitcnt lgkmcnt(1)
	global_store_dword v[10:11], v4, off
	s_or_b64 exec, exec, s[0:1]
	v_cmp_gt_u32_e32 vcc, s33, v29
	s_and_saveexec_b64 s[0:1], vcc
	s_cbranch_execnz .LBB442_126
	s_branch .LBB442_127
	.section	.rodata,"a",@progbits
	.p2align	6, 0x0
	.amdhsa_kernel _ZN7rocprim17ROCPRIM_400000_NS6detail17trampoline_kernelINS0_14default_configENS1_25partition_config_selectorILNS1_17partition_subalgoE1EiNS0_10empty_typeEbEEZZNS1_14partition_implILS5_1ELb0ES3_jN6thrust23THRUST_200600_302600_NS6detail15normal_iteratorINSA_10device_ptrIiEEEEPS6_NSA_18transform_iteratorI7is_evenIiESF_NSA_11use_defaultESK_EENS0_5tupleIJSF_SF_EEENSM_IJSG_SG_EEES6_PlJS6_EEE10hipError_tPvRmT3_T4_T5_T6_T7_T9_mT8_P12ihipStream_tbDpT10_ENKUlT_T0_E_clISt17integral_constantIbLb0EES18_IbLb1EEEEDaS14_S15_EUlS14_E_NS1_11comp_targetILNS1_3genE5ELNS1_11target_archE942ELNS1_3gpuE9ELNS1_3repE0EEENS1_30default_config_static_selectorELNS0_4arch9wavefront6targetE1EEEvT1_
		.amdhsa_group_segment_fixed_size 30728
		.amdhsa_private_segment_fixed_size 0
		.amdhsa_kernarg_size 144
		.amdhsa_user_sgpr_count 2
		.amdhsa_user_sgpr_dispatch_ptr 0
		.amdhsa_user_sgpr_queue_ptr 0
		.amdhsa_user_sgpr_kernarg_segment_ptr 1
		.amdhsa_user_sgpr_dispatch_id 0
		.amdhsa_user_sgpr_kernarg_preload_length 0
		.amdhsa_user_sgpr_kernarg_preload_offset 0
		.amdhsa_user_sgpr_private_segment_size 0
		.amdhsa_uses_dynamic_stack 0
		.amdhsa_enable_private_segment 0
		.amdhsa_system_sgpr_workgroup_id_x 1
		.amdhsa_system_sgpr_workgroup_id_y 0
		.amdhsa_system_sgpr_workgroup_id_z 0
		.amdhsa_system_sgpr_workgroup_info 0
		.amdhsa_system_vgpr_workitem_id 0
		.amdhsa_next_free_vgpr 69
		.amdhsa_next_free_sgpr 44
		.amdhsa_accum_offset 72
		.amdhsa_reserve_vcc 1
		.amdhsa_float_round_mode_32 0
		.amdhsa_float_round_mode_16_64 0
		.amdhsa_float_denorm_mode_32 3
		.amdhsa_float_denorm_mode_16_64 3
		.amdhsa_dx10_clamp 1
		.amdhsa_ieee_mode 1
		.amdhsa_fp16_overflow 0
		.amdhsa_tg_split 0
		.amdhsa_exception_fp_ieee_invalid_op 0
		.amdhsa_exception_fp_denorm_src 0
		.amdhsa_exception_fp_ieee_div_zero 0
		.amdhsa_exception_fp_ieee_overflow 0
		.amdhsa_exception_fp_ieee_underflow 0
		.amdhsa_exception_fp_ieee_inexact 0
		.amdhsa_exception_int_div_zero 0
	.end_amdhsa_kernel
	.section	.text._ZN7rocprim17ROCPRIM_400000_NS6detail17trampoline_kernelINS0_14default_configENS1_25partition_config_selectorILNS1_17partition_subalgoE1EiNS0_10empty_typeEbEEZZNS1_14partition_implILS5_1ELb0ES3_jN6thrust23THRUST_200600_302600_NS6detail15normal_iteratorINSA_10device_ptrIiEEEEPS6_NSA_18transform_iteratorI7is_evenIiESF_NSA_11use_defaultESK_EENS0_5tupleIJSF_SF_EEENSM_IJSG_SG_EEES6_PlJS6_EEE10hipError_tPvRmT3_T4_T5_T6_T7_T9_mT8_P12ihipStream_tbDpT10_ENKUlT_T0_E_clISt17integral_constantIbLb0EES18_IbLb1EEEEDaS14_S15_EUlS14_E_NS1_11comp_targetILNS1_3genE5ELNS1_11target_archE942ELNS1_3gpuE9ELNS1_3repE0EEENS1_30default_config_static_selectorELNS0_4arch9wavefront6targetE1EEEvT1_,"axG",@progbits,_ZN7rocprim17ROCPRIM_400000_NS6detail17trampoline_kernelINS0_14default_configENS1_25partition_config_selectorILNS1_17partition_subalgoE1EiNS0_10empty_typeEbEEZZNS1_14partition_implILS5_1ELb0ES3_jN6thrust23THRUST_200600_302600_NS6detail15normal_iteratorINSA_10device_ptrIiEEEEPS6_NSA_18transform_iteratorI7is_evenIiESF_NSA_11use_defaultESK_EENS0_5tupleIJSF_SF_EEENSM_IJSG_SG_EEES6_PlJS6_EEE10hipError_tPvRmT3_T4_T5_T6_T7_T9_mT8_P12ihipStream_tbDpT10_ENKUlT_T0_E_clISt17integral_constantIbLb0EES18_IbLb1EEEEDaS14_S15_EUlS14_E_NS1_11comp_targetILNS1_3genE5ELNS1_11target_archE942ELNS1_3gpuE9ELNS1_3repE0EEENS1_30default_config_static_selectorELNS0_4arch9wavefront6targetE1EEEvT1_,comdat
.Lfunc_end442:
	.size	_ZN7rocprim17ROCPRIM_400000_NS6detail17trampoline_kernelINS0_14default_configENS1_25partition_config_selectorILNS1_17partition_subalgoE1EiNS0_10empty_typeEbEEZZNS1_14partition_implILS5_1ELb0ES3_jN6thrust23THRUST_200600_302600_NS6detail15normal_iteratorINSA_10device_ptrIiEEEEPS6_NSA_18transform_iteratorI7is_evenIiESF_NSA_11use_defaultESK_EENS0_5tupleIJSF_SF_EEENSM_IJSG_SG_EEES6_PlJS6_EEE10hipError_tPvRmT3_T4_T5_T6_T7_T9_mT8_P12ihipStream_tbDpT10_ENKUlT_T0_E_clISt17integral_constantIbLb0EES18_IbLb1EEEEDaS14_S15_EUlS14_E_NS1_11comp_targetILNS1_3genE5ELNS1_11target_archE942ELNS1_3gpuE9ELNS1_3repE0EEENS1_30default_config_static_selectorELNS0_4arch9wavefront6targetE1EEEvT1_, .Lfunc_end442-_ZN7rocprim17ROCPRIM_400000_NS6detail17trampoline_kernelINS0_14default_configENS1_25partition_config_selectorILNS1_17partition_subalgoE1EiNS0_10empty_typeEbEEZZNS1_14partition_implILS5_1ELb0ES3_jN6thrust23THRUST_200600_302600_NS6detail15normal_iteratorINSA_10device_ptrIiEEEEPS6_NSA_18transform_iteratorI7is_evenIiESF_NSA_11use_defaultESK_EENS0_5tupleIJSF_SF_EEENSM_IJSG_SG_EEES6_PlJS6_EEE10hipError_tPvRmT3_T4_T5_T6_T7_T9_mT8_P12ihipStream_tbDpT10_ENKUlT_T0_E_clISt17integral_constantIbLb0EES18_IbLb1EEEEDaS14_S15_EUlS14_E_NS1_11comp_targetILNS1_3genE5ELNS1_11target_archE942ELNS1_3gpuE9ELNS1_3repE0EEENS1_30default_config_static_selectorELNS0_4arch9wavefront6targetE1EEEvT1_
                                        ; -- End function
	.section	.AMDGPU.csdata,"",@progbits
; Kernel info:
; codeLenInByte = 7976
; NumSgprs: 50
; NumVgprs: 69
; NumAgprs: 0
; TotalNumVgprs: 69
; ScratchSize: 0
; MemoryBound: 0
; FloatMode: 240
; IeeeMode: 1
; LDSByteSize: 30728 bytes/workgroup (compile time only)
; SGPRBlocks: 6
; VGPRBlocks: 8
; NumSGPRsForWavesPerEU: 50
; NumVGPRsForWavesPerEU: 69
; AccumOffset: 72
; Occupancy: 4
; WaveLimiterHint : 1
; COMPUTE_PGM_RSRC2:SCRATCH_EN: 0
; COMPUTE_PGM_RSRC2:USER_SGPR: 2
; COMPUTE_PGM_RSRC2:TRAP_HANDLER: 0
; COMPUTE_PGM_RSRC2:TGID_X_EN: 1
; COMPUTE_PGM_RSRC2:TGID_Y_EN: 0
; COMPUTE_PGM_RSRC2:TGID_Z_EN: 0
; COMPUTE_PGM_RSRC2:TIDIG_COMP_CNT: 0
; COMPUTE_PGM_RSRC3_GFX90A:ACCUM_OFFSET: 17
; COMPUTE_PGM_RSRC3_GFX90A:TG_SPLIT: 0
	.section	.text._ZN7rocprim17ROCPRIM_400000_NS6detail17trampoline_kernelINS0_14default_configENS1_25partition_config_selectorILNS1_17partition_subalgoE1EiNS0_10empty_typeEbEEZZNS1_14partition_implILS5_1ELb0ES3_jN6thrust23THRUST_200600_302600_NS6detail15normal_iteratorINSA_10device_ptrIiEEEEPS6_NSA_18transform_iteratorI7is_evenIiESF_NSA_11use_defaultESK_EENS0_5tupleIJSF_SF_EEENSM_IJSG_SG_EEES6_PlJS6_EEE10hipError_tPvRmT3_T4_T5_T6_T7_T9_mT8_P12ihipStream_tbDpT10_ENKUlT_T0_E_clISt17integral_constantIbLb0EES18_IbLb1EEEEDaS14_S15_EUlS14_E_NS1_11comp_targetILNS1_3genE4ELNS1_11target_archE910ELNS1_3gpuE8ELNS1_3repE0EEENS1_30default_config_static_selectorELNS0_4arch9wavefront6targetE1EEEvT1_,"axG",@progbits,_ZN7rocprim17ROCPRIM_400000_NS6detail17trampoline_kernelINS0_14default_configENS1_25partition_config_selectorILNS1_17partition_subalgoE1EiNS0_10empty_typeEbEEZZNS1_14partition_implILS5_1ELb0ES3_jN6thrust23THRUST_200600_302600_NS6detail15normal_iteratorINSA_10device_ptrIiEEEEPS6_NSA_18transform_iteratorI7is_evenIiESF_NSA_11use_defaultESK_EENS0_5tupleIJSF_SF_EEENSM_IJSG_SG_EEES6_PlJS6_EEE10hipError_tPvRmT3_T4_T5_T6_T7_T9_mT8_P12ihipStream_tbDpT10_ENKUlT_T0_E_clISt17integral_constantIbLb0EES18_IbLb1EEEEDaS14_S15_EUlS14_E_NS1_11comp_targetILNS1_3genE4ELNS1_11target_archE910ELNS1_3gpuE8ELNS1_3repE0EEENS1_30default_config_static_selectorELNS0_4arch9wavefront6targetE1EEEvT1_,comdat
	.protected	_ZN7rocprim17ROCPRIM_400000_NS6detail17trampoline_kernelINS0_14default_configENS1_25partition_config_selectorILNS1_17partition_subalgoE1EiNS0_10empty_typeEbEEZZNS1_14partition_implILS5_1ELb0ES3_jN6thrust23THRUST_200600_302600_NS6detail15normal_iteratorINSA_10device_ptrIiEEEEPS6_NSA_18transform_iteratorI7is_evenIiESF_NSA_11use_defaultESK_EENS0_5tupleIJSF_SF_EEENSM_IJSG_SG_EEES6_PlJS6_EEE10hipError_tPvRmT3_T4_T5_T6_T7_T9_mT8_P12ihipStream_tbDpT10_ENKUlT_T0_E_clISt17integral_constantIbLb0EES18_IbLb1EEEEDaS14_S15_EUlS14_E_NS1_11comp_targetILNS1_3genE4ELNS1_11target_archE910ELNS1_3gpuE8ELNS1_3repE0EEENS1_30default_config_static_selectorELNS0_4arch9wavefront6targetE1EEEvT1_ ; -- Begin function _ZN7rocprim17ROCPRIM_400000_NS6detail17trampoline_kernelINS0_14default_configENS1_25partition_config_selectorILNS1_17partition_subalgoE1EiNS0_10empty_typeEbEEZZNS1_14partition_implILS5_1ELb0ES3_jN6thrust23THRUST_200600_302600_NS6detail15normal_iteratorINSA_10device_ptrIiEEEEPS6_NSA_18transform_iteratorI7is_evenIiESF_NSA_11use_defaultESK_EENS0_5tupleIJSF_SF_EEENSM_IJSG_SG_EEES6_PlJS6_EEE10hipError_tPvRmT3_T4_T5_T6_T7_T9_mT8_P12ihipStream_tbDpT10_ENKUlT_T0_E_clISt17integral_constantIbLb0EES18_IbLb1EEEEDaS14_S15_EUlS14_E_NS1_11comp_targetILNS1_3genE4ELNS1_11target_archE910ELNS1_3gpuE8ELNS1_3repE0EEENS1_30default_config_static_selectorELNS0_4arch9wavefront6targetE1EEEvT1_
	.globl	_ZN7rocprim17ROCPRIM_400000_NS6detail17trampoline_kernelINS0_14default_configENS1_25partition_config_selectorILNS1_17partition_subalgoE1EiNS0_10empty_typeEbEEZZNS1_14partition_implILS5_1ELb0ES3_jN6thrust23THRUST_200600_302600_NS6detail15normal_iteratorINSA_10device_ptrIiEEEEPS6_NSA_18transform_iteratorI7is_evenIiESF_NSA_11use_defaultESK_EENS0_5tupleIJSF_SF_EEENSM_IJSG_SG_EEES6_PlJS6_EEE10hipError_tPvRmT3_T4_T5_T6_T7_T9_mT8_P12ihipStream_tbDpT10_ENKUlT_T0_E_clISt17integral_constantIbLb0EES18_IbLb1EEEEDaS14_S15_EUlS14_E_NS1_11comp_targetILNS1_3genE4ELNS1_11target_archE910ELNS1_3gpuE8ELNS1_3repE0EEENS1_30default_config_static_selectorELNS0_4arch9wavefront6targetE1EEEvT1_
	.p2align	8
	.type	_ZN7rocprim17ROCPRIM_400000_NS6detail17trampoline_kernelINS0_14default_configENS1_25partition_config_selectorILNS1_17partition_subalgoE1EiNS0_10empty_typeEbEEZZNS1_14partition_implILS5_1ELb0ES3_jN6thrust23THRUST_200600_302600_NS6detail15normal_iteratorINSA_10device_ptrIiEEEEPS6_NSA_18transform_iteratorI7is_evenIiESF_NSA_11use_defaultESK_EENS0_5tupleIJSF_SF_EEENSM_IJSG_SG_EEES6_PlJS6_EEE10hipError_tPvRmT3_T4_T5_T6_T7_T9_mT8_P12ihipStream_tbDpT10_ENKUlT_T0_E_clISt17integral_constantIbLb0EES18_IbLb1EEEEDaS14_S15_EUlS14_E_NS1_11comp_targetILNS1_3genE4ELNS1_11target_archE910ELNS1_3gpuE8ELNS1_3repE0EEENS1_30default_config_static_selectorELNS0_4arch9wavefront6targetE1EEEvT1_,@function
_ZN7rocprim17ROCPRIM_400000_NS6detail17trampoline_kernelINS0_14default_configENS1_25partition_config_selectorILNS1_17partition_subalgoE1EiNS0_10empty_typeEbEEZZNS1_14partition_implILS5_1ELb0ES3_jN6thrust23THRUST_200600_302600_NS6detail15normal_iteratorINSA_10device_ptrIiEEEEPS6_NSA_18transform_iteratorI7is_evenIiESF_NSA_11use_defaultESK_EENS0_5tupleIJSF_SF_EEENSM_IJSG_SG_EEES6_PlJS6_EEE10hipError_tPvRmT3_T4_T5_T6_T7_T9_mT8_P12ihipStream_tbDpT10_ENKUlT_T0_E_clISt17integral_constantIbLb0EES18_IbLb1EEEEDaS14_S15_EUlS14_E_NS1_11comp_targetILNS1_3genE4ELNS1_11target_archE910ELNS1_3gpuE8ELNS1_3repE0EEENS1_30default_config_static_selectorELNS0_4arch9wavefront6targetE1EEEvT1_: ; @_ZN7rocprim17ROCPRIM_400000_NS6detail17trampoline_kernelINS0_14default_configENS1_25partition_config_selectorILNS1_17partition_subalgoE1EiNS0_10empty_typeEbEEZZNS1_14partition_implILS5_1ELb0ES3_jN6thrust23THRUST_200600_302600_NS6detail15normal_iteratorINSA_10device_ptrIiEEEEPS6_NSA_18transform_iteratorI7is_evenIiESF_NSA_11use_defaultESK_EENS0_5tupleIJSF_SF_EEENSM_IJSG_SG_EEES6_PlJS6_EEE10hipError_tPvRmT3_T4_T5_T6_T7_T9_mT8_P12ihipStream_tbDpT10_ENKUlT_T0_E_clISt17integral_constantIbLb0EES18_IbLb1EEEEDaS14_S15_EUlS14_E_NS1_11comp_targetILNS1_3genE4ELNS1_11target_archE910ELNS1_3gpuE8ELNS1_3repE0EEENS1_30default_config_static_selectorELNS0_4arch9wavefront6targetE1EEEvT1_
; %bb.0:
	.section	.rodata,"a",@progbits
	.p2align	6, 0x0
	.amdhsa_kernel _ZN7rocprim17ROCPRIM_400000_NS6detail17trampoline_kernelINS0_14default_configENS1_25partition_config_selectorILNS1_17partition_subalgoE1EiNS0_10empty_typeEbEEZZNS1_14partition_implILS5_1ELb0ES3_jN6thrust23THRUST_200600_302600_NS6detail15normal_iteratorINSA_10device_ptrIiEEEEPS6_NSA_18transform_iteratorI7is_evenIiESF_NSA_11use_defaultESK_EENS0_5tupleIJSF_SF_EEENSM_IJSG_SG_EEES6_PlJS6_EEE10hipError_tPvRmT3_T4_T5_T6_T7_T9_mT8_P12ihipStream_tbDpT10_ENKUlT_T0_E_clISt17integral_constantIbLb0EES18_IbLb1EEEEDaS14_S15_EUlS14_E_NS1_11comp_targetILNS1_3genE4ELNS1_11target_archE910ELNS1_3gpuE8ELNS1_3repE0EEENS1_30default_config_static_selectorELNS0_4arch9wavefront6targetE1EEEvT1_
		.amdhsa_group_segment_fixed_size 0
		.amdhsa_private_segment_fixed_size 0
		.amdhsa_kernarg_size 144
		.amdhsa_user_sgpr_count 2
		.amdhsa_user_sgpr_dispatch_ptr 0
		.amdhsa_user_sgpr_queue_ptr 0
		.amdhsa_user_sgpr_kernarg_segment_ptr 1
		.amdhsa_user_sgpr_dispatch_id 0
		.amdhsa_user_sgpr_kernarg_preload_length 0
		.amdhsa_user_sgpr_kernarg_preload_offset 0
		.amdhsa_user_sgpr_private_segment_size 0
		.amdhsa_uses_dynamic_stack 0
		.amdhsa_enable_private_segment 0
		.amdhsa_system_sgpr_workgroup_id_x 1
		.amdhsa_system_sgpr_workgroup_id_y 0
		.amdhsa_system_sgpr_workgroup_id_z 0
		.amdhsa_system_sgpr_workgroup_info 0
		.amdhsa_system_vgpr_workitem_id 0
		.amdhsa_next_free_vgpr 1
		.amdhsa_next_free_sgpr 0
		.amdhsa_accum_offset 4
		.amdhsa_reserve_vcc 0
		.amdhsa_float_round_mode_32 0
		.amdhsa_float_round_mode_16_64 0
		.amdhsa_float_denorm_mode_32 3
		.amdhsa_float_denorm_mode_16_64 3
		.amdhsa_dx10_clamp 1
		.amdhsa_ieee_mode 1
		.amdhsa_fp16_overflow 0
		.amdhsa_tg_split 0
		.amdhsa_exception_fp_ieee_invalid_op 0
		.amdhsa_exception_fp_denorm_src 0
		.amdhsa_exception_fp_ieee_div_zero 0
		.amdhsa_exception_fp_ieee_overflow 0
		.amdhsa_exception_fp_ieee_underflow 0
		.amdhsa_exception_fp_ieee_inexact 0
		.amdhsa_exception_int_div_zero 0
	.end_amdhsa_kernel
	.section	.text._ZN7rocprim17ROCPRIM_400000_NS6detail17trampoline_kernelINS0_14default_configENS1_25partition_config_selectorILNS1_17partition_subalgoE1EiNS0_10empty_typeEbEEZZNS1_14partition_implILS5_1ELb0ES3_jN6thrust23THRUST_200600_302600_NS6detail15normal_iteratorINSA_10device_ptrIiEEEEPS6_NSA_18transform_iteratorI7is_evenIiESF_NSA_11use_defaultESK_EENS0_5tupleIJSF_SF_EEENSM_IJSG_SG_EEES6_PlJS6_EEE10hipError_tPvRmT3_T4_T5_T6_T7_T9_mT8_P12ihipStream_tbDpT10_ENKUlT_T0_E_clISt17integral_constantIbLb0EES18_IbLb1EEEEDaS14_S15_EUlS14_E_NS1_11comp_targetILNS1_3genE4ELNS1_11target_archE910ELNS1_3gpuE8ELNS1_3repE0EEENS1_30default_config_static_selectorELNS0_4arch9wavefront6targetE1EEEvT1_,"axG",@progbits,_ZN7rocprim17ROCPRIM_400000_NS6detail17trampoline_kernelINS0_14default_configENS1_25partition_config_selectorILNS1_17partition_subalgoE1EiNS0_10empty_typeEbEEZZNS1_14partition_implILS5_1ELb0ES3_jN6thrust23THRUST_200600_302600_NS6detail15normal_iteratorINSA_10device_ptrIiEEEEPS6_NSA_18transform_iteratorI7is_evenIiESF_NSA_11use_defaultESK_EENS0_5tupleIJSF_SF_EEENSM_IJSG_SG_EEES6_PlJS6_EEE10hipError_tPvRmT3_T4_T5_T6_T7_T9_mT8_P12ihipStream_tbDpT10_ENKUlT_T0_E_clISt17integral_constantIbLb0EES18_IbLb1EEEEDaS14_S15_EUlS14_E_NS1_11comp_targetILNS1_3genE4ELNS1_11target_archE910ELNS1_3gpuE8ELNS1_3repE0EEENS1_30default_config_static_selectorELNS0_4arch9wavefront6targetE1EEEvT1_,comdat
.Lfunc_end443:
	.size	_ZN7rocprim17ROCPRIM_400000_NS6detail17trampoline_kernelINS0_14default_configENS1_25partition_config_selectorILNS1_17partition_subalgoE1EiNS0_10empty_typeEbEEZZNS1_14partition_implILS5_1ELb0ES3_jN6thrust23THRUST_200600_302600_NS6detail15normal_iteratorINSA_10device_ptrIiEEEEPS6_NSA_18transform_iteratorI7is_evenIiESF_NSA_11use_defaultESK_EENS0_5tupleIJSF_SF_EEENSM_IJSG_SG_EEES6_PlJS6_EEE10hipError_tPvRmT3_T4_T5_T6_T7_T9_mT8_P12ihipStream_tbDpT10_ENKUlT_T0_E_clISt17integral_constantIbLb0EES18_IbLb1EEEEDaS14_S15_EUlS14_E_NS1_11comp_targetILNS1_3genE4ELNS1_11target_archE910ELNS1_3gpuE8ELNS1_3repE0EEENS1_30default_config_static_selectorELNS0_4arch9wavefront6targetE1EEEvT1_, .Lfunc_end443-_ZN7rocprim17ROCPRIM_400000_NS6detail17trampoline_kernelINS0_14default_configENS1_25partition_config_selectorILNS1_17partition_subalgoE1EiNS0_10empty_typeEbEEZZNS1_14partition_implILS5_1ELb0ES3_jN6thrust23THRUST_200600_302600_NS6detail15normal_iteratorINSA_10device_ptrIiEEEEPS6_NSA_18transform_iteratorI7is_evenIiESF_NSA_11use_defaultESK_EENS0_5tupleIJSF_SF_EEENSM_IJSG_SG_EEES6_PlJS6_EEE10hipError_tPvRmT3_T4_T5_T6_T7_T9_mT8_P12ihipStream_tbDpT10_ENKUlT_T0_E_clISt17integral_constantIbLb0EES18_IbLb1EEEEDaS14_S15_EUlS14_E_NS1_11comp_targetILNS1_3genE4ELNS1_11target_archE910ELNS1_3gpuE8ELNS1_3repE0EEENS1_30default_config_static_selectorELNS0_4arch9wavefront6targetE1EEEvT1_
                                        ; -- End function
	.section	.AMDGPU.csdata,"",@progbits
; Kernel info:
; codeLenInByte = 0
; NumSgprs: 6
; NumVgprs: 0
; NumAgprs: 0
; TotalNumVgprs: 0
; ScratchSize: 0
; MemoryBound: 0
; FloatMode: 240
; IeeeMode: 1
; LDSByteSize: 0 bytes/workgroup (compile time only)
; SGPRBlocks: 0
; VGPRBlocks: 0
; NumSGPRsForWavesPerEU: 6
; NumVGPRsForWavesPerEU: 1
; AccumOffset: 4
; Occupancy: 8
; WaveLimiterHint : 0
; COMPUTE_PGM_RSRC2:SCRATCH_EN: 0
; COMPUTE_PGM_RSRC2:USER_SGPR: 2
; COMPUTE_PGM_RSRC2:TRAP_HANDLER: 0
; COMPUTE_PGM_RSRC2:TGID_X_EN: 1
; COMPUTE_PGM_RSRC2:TGID_Y_EN: 0
; COMPUTE_PGM_RSRC2:TGID_Z_EN: 0
; COMPUTE_PGM_RSRC2:TIDIG_COMP_CNT: 0
; COMPUTE_PGM_RSRC3_GFX90A:ACCUM_OFFSET: 0
; COMPUTE_PGM_RSRC3_GFX90A:TG_SPLIT: 0
	.section	.text._ZN7rocprim17ROCPRIM_400000_NS6detail17trampoline_kernelINS0_14default_configENS1_25partition_config_selectorILNS1_17partition_subalgoE1EiNS0_10empty_typeEbEEZZNS1_14partition_implILS5_1ELb0ES3_jN6thrust23THRUST_200600_302600_NS6detail15normal_iteratorINSA_10device_ptrIiEEEEPS6_NSA_18transform_iteratorI7is_evenIiESF_NSA_11use_defaultESK_EENS0_5tupleIJSF_SF_EEENSM_IJSG_SG_EEES6_PlJS6_EEE10hipError_tPvRmT3_T4_T5_T6_T7_T9_mT8_P12ihipStream_tbDpT10_ENKUlT_T0_E_clISt17integral_constantIbLb0EES18_IbLb1EEEEDaS14_S15_EUlS14_E_NS1_11comp_targetILNS1_3genE3ELNS1_11target_archE908ELNS1_3gpuE7ELNS1_3repE0EEENS1_30default_config_static_selectorELNS0_4arch9wavefront6targetE1EEEvT1_,"axG",@progbits,_ZN7rocprim17ROCPRIM_400000_NS6detail17trampoline_kernelINS0_14default_configENS1_25partition_config_selectorILNS1_17partition_subalgoE1EiNS0_10empty_typeEbEEZZNS1_14partition_implILS5_1ELb0ES3_jN6thrust23THRUST_200600_302600_NS6detail15normal_iteratorINSA_10device_ptrIiEEEEPS6_NSA_18transform_iteratorI7is_evenIiESF_NSA_11use_defaultESK_EENS0_5tupleIJSF_SF_EEENSM_IJSG_SG_EEES6_PlJS6_EEE10hipError_tPvRmT3_T4_T5_T6_T7_T9_mT8_P12ihipStream_tbDpT10_ENKUlT_T0_E_clISt17integral_constantIbLb0EES18_IbLb1EEEEDaS14_S15_EUlS14_E_NS1_11comp_targetILNS1_3genE3ELNS1_11target_archE908ELNS1_3gpuE7ELNS1_3repE0EEENS1_30default_config_static_selectorELNS0_4arch9wavefront6targetE1EEEvT1_,comdat
	.protected	_ZN7rocprim17ROCPRIM_400000_NS6detail17trampoline_kernelINS0_14default_configENS1_25partition_config_selectorILNS1_17partition_subalgoE1EiNS0_10empty_typeEbEEZZNS1_14partition_implILS5_1ELb0ES3_jN6thrust23THRUST_200600_302600_NS6detail15normal_iteratorINSA_10device_ptrIiEEEEPS6_NSA_18transform_iteratorI7is_evenIiESF_NSA_11use_defaultESK_EENS0_5tupleIJSF_SF_EEENSM_IJSG_SG_EEES6_PlJS6_EEE10hipError_tPvRmT3_T4_T5_T6_T7_T9_mT8_P12ihipStream_tbDpT10_ENKUlT_T0_E_clISt17integral_constantIbLb0EES18_IbLb1EEEEDaS14_S15_EUlS14_E_NS1_11comp_targetILNS1_3genE3ELNS1_11target_archE908ELNS1_3gpuE7ELNS1_3repE0EEENS1_30default_config_static_selectorELNS0_4arch9wavefront6targetE1EEEvT1_ ; -- Begin function _ZN7rocprim17ROCPRIM_400000_NS6detail17trampoline_kernelINS0_14default_configENS1_25partition_config_selectorILNS1_17partition_subalgoE1EiNS0_10empty_typeEbEEZZNS1_14partition_implILS5_1ELb0ES3_jN6thrust23THRUST_200600_302600_NS6detail15normal_iteratorINSA_10device_ptrIiEEEEPS6_NSA_18transform_iteratorI7is_evenIiESF_NSA_11use_defaultESK_EENS0_5tupleIJSF_SF_EEENSM_IJSG_SG_EEES6_PlJS6_EEE10hipError_tPvRmT3_T4_T5_T6_T7_T9_mT8_P12ihipStream_tbDpT10_ENKUlT_T0_E_clISt17integral_constantIbLb0EES18_IbLb1EEEEDaS14_S15_EUlS14_E_NS1_11comp_targetILNS1_3genE3ELNS1_11target_archE908ELNS1_3gpuE7ELNS1_3repE0EEENS1_30default_config_static_selectorELNS0_4arch9wavefront6targetE1EEEvT1_
	.globl	_ZN7rocprim17ROCPRIM_400000_NS6detail17trampoline_kernelINS0_14default_configENS1_25partition_config_selectorILNS1_17partition_subalgoE1EiNS0_10empty_typeEbEEZZNS1_14partition_implILS5_1ELb0ES3_jN6thrust23THRUST_200600_302600_NS6detail15normal_iteratorINSA_10device_ptrIiEEEEPS6_NSA_18transform_iteratorI7is_evenIiESF_NSA_11use_defaultESK_EENS0_5tupleIJSF_SF_EEENSM_IJSG_SG_EEES6_PlJS6_EEE10hipError_tPvRmT3_T4_T5_T6_T7_T9_mT8_P12ihipStream_tbDpT10_ENKUlT_T0_E_clISt17integral_constantIbLb0EES18_IbLb1EEEEDaS14_S15_EUlS14_E_NS1_11comp_targetILNS1_3genE3ELNS1_11target_archE908ELNS1_3gpuE7ELNS1_3repE0EEENS1_30default_config_static_selectorELNS0_4arch9wavefront6targetE1EEEvT1_
	.p2align	8
	.type	_ZN7rocprim17ROCPRIM_400000_NS6detail17trampoline_kernelINS0_14default_configENS1_25partition_config_selectorILNS1_17partition_subalgoE1EiNS0_10empty_typeEbEEZZNS1_14partition_implILS5_1ELb0ES3_jN6thrust23THRUST_200600_302600_NS6detail15normal_iteratorINSA_10device_ptrIiEEEEPS6_NSA_18transform_iteratorI7is_evenIiESF_NSA_11use_defaultESK_EENS0_5tupleIJSF_SF_EEENSM_IJSG_SG_EEES6_PlJS6_EEE10hipError_tPvRmT3_T4_T5_T6_T7_T9_mT8_P12ihipStream_tbDpT10_ENKUlT_T0_E_clISt17integral_constantIbLb0EES18_IbLb1EEEEDaS14_S15_EUlS14_E_NS1_11comp_targetILNS1_3genE3ELNS1_11target_archE908ELNS1_3gpuE7ELNS1_3repE0EEENS1_30default_config_static_selectorELNS0_4arch9wavefront6targetE1EEEvT1_,@function
_ZN7rocprim17ROCPRIM_400000_NS6detail17trampoline_kernelINS0_14default_configENS1_25partition_config_selectorILNS1_17partition_subalgoE1EiNS0_10empty_typeEbEEZZNS1_14partition_implILS5_1ELb0ES3_jN6thrust23THRUST_200600_302600_NS6detail15normal_iteratorINSA_10device_ptrIiEEEEPS6_NSA_18transform_iteratorI7is_evenIiESF_NSA_11use_defaultESK_EENS0_5tupleIJSF_SF_EEENSM_IJSG_SG_EEES6_PlJS6_EEE10hipError_tPvRmT3_T4_T5_T6_T7_T9_mT8_P12ihipStream_tbDpT10_ENKUlT_T0_E_clISt17integral_constantIbLb0EES18_IbLb1EEEEDaS14_S15_EUlS14_E_NS1_11comp_targetILNS1_3genE3ELNS1_11target_archE908ELNS1_3gpuE7ELNS1_3repE0EEENS1_30default_config_static_selectorELNS0_4arch9wavefront6targetE1EEEvT1_: ; @_ZN7rocprim17ROCPRIM_400000_NS6detail17trampoline_kernelINS0_14default_configENS1_25partition_config_selectorILNS1_17partition_subalgoE1EiNS0_10empty_typeEbEEZZNS1_14partition_implILS5_1ELb0ES3_jN6thrust23THRUST_200600_302600_NS6detail15normal_iteratorINSA_10device_ptrIiEEEEPS6_NSA_18transform_iteratorI7is_evenIiESF_NSA_11use_defaultESK_EENS0_5tupleIJSF_SF_EEENSM_IJSG_SG_EEES6_PlJS6_EEE10hipError_tPvRmT3_T4_T5_T6_T7_T9_mT8_P12ihipStream_tbDpT10_ENKUlT_T0_E_clISt17integral_constantIbLb0EES18_IbLb1EEEEDaS14_S15_EUlS14_E_NS1_11comp_targetILNS1_3genE3ELNS1_11target_archE908ELNS1_3gpuE7ELNS1_3repE0EEENS1_30default_config_static_selectorELNS0_4arch9wavefront6targetE1EEEvT1_
; %bb.0:
	.section	.rodata,"a",@progbits
	.p2align	6, 0x0
	.amdhsa_kernel _ZN7rocprim17ROCPRIM_400000_NS6detail17trampoline_kernelINS0_14default_configENS1_25partition_config_selectorILNS1_17partition_subalgoE1EiNS0_10empty_typeEbEEZZNS1_14partition_implILS5_1ELb0ES3_jN6thrust23THRUST_200600_302600_NS6detail15normal_iteratorINSA_10device_ptrIiEEEEPS6_NSA_18transform_iteratorI7is_evenIiESF_NSA_11use_defaultESK_EENS0_5tupleIJSF_SF_EEENSM_IJSG_SG_EEES6_PlJS6_EEE10hipError_tPvRmT3_T4_T5_T6_T7_T9_mT8_P12ihipStream_tbDpT10_ENKUlT_T0_E_clISt17integral_constantIbLb0EES18_IbLb1EEEEDaS14_S15_EUlS14_E_NS1_11comp_targetILNS1_3genE3ELNS1_11target_archE908ELNS1_3gpuE7ELNS1_3repE0EEENS1_30default_config_static_selectorELNS0_4arch9wavefront6targetE1EEEvT1_
		.amdhsa_group_segment_fixed_size 0
		.amdhsa_private_segment_fixed_size 0
		.amdhsa_kernarg_size 144
		.amdhsa_user_sgpr_count 2
		.amdhsa_user_sgpr_dispatch_ptr 0
		.amdhsa_user_sgpr_queue_ptr 0
		.amdhsa_user_sgpr_kernarg_segment_ptr 1
		.amdhsa_user_sgpr_dispatch_id 0
		.amdhsa_user_sgpr_kernarg_preload_length 0
		.amdhsa_user_sgpr_kernarg_preload_offset 0
		.amdhsa_user_sgpr_private_segment_size 0
		.amdhsa_uses_dynamic_stack 0
		.amdhsa_enable_private_segment 0
		.amdhsa_system_sgpr_workgroup_id_x 1
		.amdhsa_system_sgpr_workgroup_id_y 0
		.amdhsa_system_sgpr_workgroup_id_z 0
		.amdhsa_system_sgpr_workgroup_info 0
		.amdhsa_system_vgpr_workitem_id 0
		.amdhsa_next_free_vgpr 1
		.amdhsa_next_free_sgpr 0
		.amdhsa_accum_offset 4
		.amdhsa_reserve_vcc 0
		.amdhsa_float_round_mode_32 0
		.amdhsa_float_round_mode_16_64 0
		.amdhsa_float_denorm_mode_32 3
		.amdhsa_float_denorm_mode_16_64 3
		.amdhsa_dx10_clamp 1
		.amdhsa_ieee_mode 1
		.amdhsa_fp16_overflow 0
		.amdhsa_tg_split 0
		.amdhsa_exception_fp_ieee_invalid_op 0
		.amdhsa_exception_fp_denorm_src 0
		.amdhsa_exception_fp_ieee_div_zero 0
		.amdhsa_exception_fp_ieee_overflow 0
		.amdhsa_exception_fp_ieee_underflow 0
		.amdhsa_exception_fp_ieee_inexact 0
		.amdhsa_exception_int_div_zero 0
	.end_amdhsa_kernel
	.section	.text._ZN7rocprim17ROCPRIM_400000_NS6detail17trampoline_kernelINS0_14default_configENS1_25partition_config_selectorILNS1_17partition_subalgoE1EiNS0_10empty_typeEbEEZZNS1_14partition_implILS5_1ELb0ES3_jN6thrust23THRUST_200600_302600_NS6detail15normal_iteratorINSA_10device_ptrIiEEEEPS6_NSA_18transform_iteratorI7is_evenIiESF_NSA_11use_defaultESK_EENS0_5tupleIJSF_SF_EEENSM_IJSG_SG_EEES6_PlJS6_EEE10hipError_tPvRmT3_T4_T5_T6_T7_T9_mT8_P12ihipStream_tbDpT10_ENKUlT_T0_E_clISt17integral_constantIbLb0EES18_IbLb1EEEEDaS14_S15_EUlS14_E_NS1_11comp_targetILNS1_3genE3ELNS1_11target_archE908ELNS1_3gpuE7ELNS1_3repE0EEENS1_30default_config_static_selectorELNS0_4arch9wavefront6targetE1EEEvT1_,"axG",@progbits,_ZN7rocprim17ROCPRIM_400000_NS6detail17trampoline_kernelINS0_14default_configENS1_25partition_config_selectorILNS1_17partition_subalgoE1EiNS0_10empty_typeEbEEZZNS1_14partition_implILS5_1ELb0ES3_jN6thrust23THRUST_200600_302600_NS6detail15normal_iteratorINSA_10device_ptrIiEEEEPS6_NSA_18transform_iteratorI7is_evenIiESF_NSA_11use_defaultESK_EENS0_5tupleIJSF_SF_EEENSM_IJSG_SG_EEES6_PlJS6_EEE10hipError_tPvRmT3_T4_T5_T6_T7_T9_mT8_P12ihipStream_tbDpT10_ENKUlT_T0_E_clISt17integral_constantIbLb0EES18_IbLb1EEEEDaS14_S15_EUlS14_E_NS1_11comp_targetILNS1_3genE3ELNS1_11target_archE908ELNS1_3gpuE7ELNS1_3repE0EEENS1_30default_config_static_selectorELNS0_4arch9wavefront6targetE1EEEvT1_,comdat
.Lfunc_end444:
	.size	_ZN7rocprim17ROCPRIM_400000_NS6detail17trampoline_kernelINS0_14default_configENS1_25partition_config_selectorILNS1_17partition_subalgoE1EiNS0_10empty_typeEbEEZZNS1_14partition_implILS5_1ELb0ES3_jN6thrust23THRUST_200600_302600_NS6detail15normal_iteratorINSA_10device_ptrIiEEEEPS6_NSA_18transform_iteratorI7is_evenIiESF_NSA_11use_defaultESK_EENS0_5tupleIJSF_SF_EEENSM_IJSG_SG_EEES6_PlJS6_EEE10hipError_tPvRmT3_T4_T5_T6_T7_T9_mT8_P12ihipStream_tbDpT10_ENKUlT_T0_E_clISt17integral_constantIbLb0EES18_IbLb1EEEEDaS14_S15_EUlS14_E_NS1_11comp_targetILNS1_3genE3ELNS1_11target_archE908ELNS1_3gpuE7ELNS1_3repE0EEENS1_30default_config_static_selectorELNS0_4arch9wavefront6targetE1EEEvT1_, .Lfunc_end444-_ZN7rocprim17ROCPRIM_400000_NS6detail17trampoline_kernelINS0_14default_configENS1_25partition_config_selectorILNS1_17partition_subalgoE1EiNS0_10empty_typeEbEEZZNS1_14partition_implILS5_1ELb0ES3_jN6thrust23THRUST_200600_302600_NS6detail15normal_iteratorINSA_10device_ptrIiEEEEPS6_NSA_18transform_iteratorI7is_evenIiESF_NSA_11use_defaultESK_EENS0_5tupleIJSF_SF_EEENSM_IJSG_SG_EEES6_PlJS6_EEE10hipError_tPvRmT3_T4_T5_T6_T7_T9_mT8_P12ihipStream_tbDpT10_ENKUlT_T0_E_clISt17integral_constantIbLb0EES18_IbLb1EEEEDaS14_S15_EUlS14_E_NS1_11comp_targetILNS1_3genE3ELNS1_11target_archE908ELNS1_3gpuE7ELNS1_3repE0EEENS1_30default_config_static_selectorELNS0_4arch9wavefront6targetE1EEEvT1_
                                        ; -- End function
	.section	.AMDGPU.csdata,"",@progbits
; Kernel info:
; codeLenInByte = 0
; NumSgprs: 6
; NumVgprs: 0
; NumAgprs: 0
; TotalNumVgprs: 0
; ScratchSize: 0
; MemoryBound: 0
; FloatMode: 240
; IeeeMode: 1
; LDSByteSize: 0 bytes/workgroup (compile time only)
; SGPRBlocks: 0
; VGPRBlocks: 0
; NumSGPRsForWavesPerEU: 6
; NumVGPRsForWavesPerEU: 1
; AccumOffset: 4
; Occupancy: 8
; WaveLimiterHint : 0
; COMPUTE_PGM_RSRC2:SCRATCH_EN: 0
; COMPUTE_PGM_RSRC2:USER_SGPR: 2
; COMPUTE_PGM_RSRC2:TRAP_HANDLER: 0
; COMPUTE_PGM_RSRC2:TGID_X_EN: 1
; COMPUTE_PGM_RSRC2:TGID_Y_EN: 0
; COMPUTE_PGM_RSRC2:TGID_Z_EN: 0
; COMPUTE_PGM_RSRC2:TIDIG_COMP_CNT: 0
; COMPUTE_PGM_RSRC3_GFX90A:ACCUM_OFFSET: 0
; COMPUTE_PGM_RSRC3_GFX90A:TG_SPLIT: 0
	.section	.text._ZN7rocprim17ROCPRIM_400000_NS6detail17trampoline_kernelINS0_14default_configENS1_25partition_config_selectorILNS1_17partition_subalgoE1EiNS0_10empty_typeEbEEZZNS1_14partition_implILS5_1ELb0ES3_jN6thrust23THRUST_200600_302600_NS6detail15normal_iteratorINSA_10device_ptrIiEEEEPS6_NSA_18transform_iteratorI7is_evenIiESF_NSA_11use_defaultESK_EENS0_5tupleIJSF_SF_EEENSM_IJSG_SG_EEES6_PlJS6_EEE10hipError_tPvRmT3_T4_T5_T6_T7_T9_mT8_P12ihipStream_tbDpT10_ENKUlT_T0_E_clISt17integral_constantIbLb0EES18_IbLb1EEEEDaS14_S15_EUlS14_E_NS1_11comp_targetILNS1_3genE2ELNS1_11target_archE906ELNS1_3gpuE6ELNS1_3repE0EEENS1_30default_config_static_selectorELNS0_4arch9wavefront6targetE1EEEvT1_,"axG",@progbits,_ZN7rocprim17ROCPRIM_400000_NS6detail17trampoline_kernelINS0_14default_configENS1_25partition_config_selectorILNS1_17partition_subalgoE1EiNS0_10empty_typeEbEEZZNS1_14partition_implILS5_1ELb0ES3_jN6thrust23THRUST_200600_302600_NS6detail15normal_iteratorINSA_10device_ptrIiEEEEPS6_NSA_18transform_iteratorI7is_evenIiESF_NSA_11use_defaultESK_EENS0_5tupleIJSF_SF_EEENSM_IJSG_SG_EEES6_PlJS6_EEE10hipError_tPvRmT3_T4_T5_T6_T7_T9_mT8_P12ihipStream_tbDpT10_ENKUlT_T0_E_clISt17integral_constantIbLb0EES18_IbLb1EEEEDaS14_S15_EUlS14_E_NS1_11comp_targetILNS1_3genE2ELNS1_11target_archE906ELNS1_3gpuE6ELNS1_3repE0EEENS1_30default_config_static_selectorELNS0_4arch9wavefront6targetE1EEEvT1_,comdat
	.protected	_ZN7rocprim17ROCPRIM_400000_NS6detail17trampoline_kernelINS0_14default_configENS1_25partition_config_selectorILNS1_17partition_subalgoE1EiNS0_10empty_typeEbEEZZNS1_14partition_implILS5_1ELb0ES3_jN6thrust23THRUST_200600_302600_NS6detail15normal_iteratorINSA_10device_ptrIiEEEEPS6_NSA_18transform_iteratorI7is_evenIiESF_NSA_11use_defaultESK_EENS0_5tupleIJSF_SF_EEENSM_IJSG_SG_EEES6_PlJS6_EEE10hipError_tPvRmT3_T4_T5_T6_T7_T9_mT8_P12ihipStream_tbDpT10_ENKUlT_T0_E_clISt17integral_constantIbLb0EES18_IbLb1EEEEDaS14_S15_EUlS14_E_NS1_11comp_targetILNS1_3genE2ELNS1_11target_archE906ELNS1_3gpuE6ELNS1_3repE0EEENS1_30default_config_static_selectorELNS0_4arch9wavefront6targetE1EEEvT1_ ; -- Begin function _ZN7rocprim17ROCPRIM_400000_NS6detail17trampoline_kernelINS0_14default_configENS1_25partition_config_selectorILNS1_17partition_subalgoE1EiNS0_10empty_typeEbEEZZNS1_14partition_implILS5_1ELb0ES3_jN6thrust23THRUST_200600_302600_NS6detail15normal_iteratorINSA_10device_ptrIiEEEEPS6_NSA_18transform_iteratorI7is_evenIiESF_NSA_11use_defaultESK_EENS0_5tupleIJSF_SF_EEENSM_IJSG_SG_EEES6_PlJS6_EEE10hipError_tPvRmT3_T4_T5_T6_T7_T9_mT8_P12ihipStream_tbDpT10_ENKUlT_T0_E_clISt17integral_constantIbLb0EES18_IbLb1EEEEDaS14_S15_EUlS14_E_NS1_11comp_targetILNS1_3genE2ELNS1_11target_archE906ELNS1_3gpuE6ELNS1_3repE0EEENS1_30default_config_static_selectorELNS0_4arch9wavefront6targetE1EEEvT1_
	.globl	_ZN7rocprim17ROCPRIM_400000_NS6detail17trampoline_kernelINS0_14default_configENS1_25partition_config_selectorILNS1_17partition_subalgoE1EiNS0_10empty_typeEbEEZZNS1_14partition_implILS5_1ELb0ES3_jN6thrust23THRUST_200600_302600_NS6detail15normal_iteratorINSA_10device_ptrIiEEEEPS6_NSA_18transform_iteratorI7is_evenIiESF_NSA_11use_defaultESK_EENS0_5tupleIJSF_SF_EEENSM_IJSG_SG_EEES6_PlJS6_EEE10hipError_tPvRmT3_T4_T5_T6_T7_T9_mT8_P12ihipStream_tbDpT10_ENKUlT_T0_E_clISt17integral_constantIbLb0EES18_IbLb1EEEEDaS14_S15_EUlS14_E_NS1_11comp_targetILNS1_3genE2ELNS1_11target_archE906ELNS1_3gpuE6ELNS1_3repE0EEENS1_30default_config_static_selectorELNS0_4arch9wavefront6targetE1EEEvT1_
	.p2align	8
	.type	_ZN7rocprim17ROCPRIM_400000_NS6detail17trampoline_kernelINS0_14default_configENS1_25partition_config_selectorILNS1_17partition_subalgoE1EiNS0_10empty_typeEbEEZZNS1_14partition_implILS5_1ELb0ES3_jN6thrust23THRUST_200600_302600_NS6detail15normal_iteratorINSA_10device_ptrIiEEEEPS6_NSA_18transform_iteratorI7is_evenIiESF_NSA_11use_defaultESK_EENS0_5tupleIJSF_SF_EEENSM_IJSG_SG_EEES6_PlJS6_EEE10hipError_tPvRmT3_T4_T5_T6_T7_T9_mT8_P12ihipStream_tbDpT10_ENKUlT_T0_E_clISt17integral_constantIbLb0EES18_IbLb1EEEEDaS14_S15_EUlS14_E_NS1_11comp_targetILNS1_3genE2ELNS1_11target_archE906ELNS1_3gpuE6ELNS1_3repE0EEENS1_30default_config_static_selectorELNS0_4arch9wavefront6targetE1EEEvT1_,@function
_ZN7rocprim17ROCPRIM_400000_NS6detail17trampoline_kernelINS0_14default_configENS1_25partition_config_selectorILNS1_17partition_subalgoE1EiNS0_10empty_typeEbEEZZNS1_14partition_implILS5_1ELb0ES3_jN6thrust23THRUST_200600_302600_NS6detail15normal_iteratorINSA_10device_ptrIiEEEEPS6_NSA_18transform_iteratorI7is_evenIiESF_NSA_11use_defaultESK_EENS0_5tupleIJSF_SF_EEENSM_IJSG_SG_EEES6_PlJS6_EEE10hipError_tPvRmT3_T4_T5_T6_T7_T9_mT8_P12ihipStream_tbDpT10_ENKUlT_T0_E_clISt17integral_constantIbLb0EES18_IbLb1EEEEDaS14_S15_EUlS14_E_NS1_11comp_targetILNS1_3genE2ELNS1_11target_archE906ELNS1_3gpuE6ELNS1_3repE0EEENS1_30default_config_static_selectorELNS0_4arch9wavefront6targetE1EEEvT1_: ; @_ZN7rocprim17ROCPRIM_400000_NS6detail17trampoline_kernelINS0_14default_configENS1_25partition_config_selectorILNS1_17partition_subalgoE1EiNS0_10empty_typeEbEEZZNS1_14partition_implILS5_1ELb0ES3_jN6thrust23THRUST_200600_302600_NS6detail15normal_iteratorINSA_10device_ptrIiEEEEPS6_NSA_18transform_iteratorI7is_evenIiESF_NSA_11use_defaultESK_EENS0_5tupleIJSF_SF_EEENSM_IJSG_SG_EEES6_PlJS6_EEE10hipError_tPvRmT3_T4_T5_T6_T7_T9_mT8_P12ihipStream_tbDpT10_ENKUlT_T0_E_clISt17integral_constantIbLb0EES18_IbLb1EEEEDaS14_S15_EUlS14_E_NS1_11comp_targetILNS1_3genE2ELNS1_11target_archE906ELNS1_3gpuE6ELNS1_3repE0EEENS1_30default_config_static_selectorELNS0_4arch9wavefront6targetE1EEEvT1_
; %bb.0:
	.section	.rodata,"a",@progbits
	.p2align	6, 0x0
	.amdhsa_kernel _ZN7rocprim17ROCPRIM_400000_NS6detail17trampoline_kernelINS0_14default_configENS1_25partition_config_selectorILNS1_17partition_subalgoE1EiNS0_10empty_typeEbEEZZNS1_14partition_implILS5_1ELb0ES3_jN6thrust23THRUST_200600_302600_NS6detail15normal_iteratorINSA_10device_ptrIiEEEEPS6_NSA_18transform_iteratorI7is_evenIiESF_NSA_11use_defaultESK_EENS0_5tupleIJSF_SF_EEENSM_IJSG_SG_EEES6_PlJS6_EEE10hipError_tPvRmT3_T4_T5_T6_T7_T9_mT8_P12ihipStream_tbDpT10_ENKUlT_T0_E_clISt17integral_constantIbLb0EES18_IbLb1EEEEDaS14_S15_EUlS14_E_NS1_11comp_targetILNS1_3genE2ELNS1_11target_archE906ELNS1_3gpuE6ELNS1_3repE0EEENS1_30default_config_static_selectorELNS0_4arch9wavefront6targetE1EEEvT1_
		.amdhsa_group_segment_fixed_size 0
		.amdhsa_private_segment_fixed_size 0
		.amdhsa_kernarg_size 144
		.amdhsa_user_sgpr_count 2
		.amdhsa_user_sgpr_dispatch_ptr 0
		.amdhsa_user_sgpr_queue_ptr 0
		.amdhsa_user_sgpr_kernarg_segment_ptr 1
		.amdhsa_user_sgpr_dispatch_id 0
		.amdhsa_user_sgpr_kernarg_preload_length 0
		.amdhsa_user_sgpr_kernarg_preload_offset 0
		.amdhsa_user_sgpr_private_segment_size 0
		.amdhsa_uses_dynamic_stack 0
		.amdhsa_enable_private_segment 0
		.amdhsa_system_sgpr_workgroup_id_x 1
		.amdhsa_system_sgpr_workgroup_id_y 0
		.amdhsa_system_sgpr_workgroup_id_z 0
		.amdhsa_system_sgpr_workgroup_info 0
		.amdhsa_system_vgpr_workitem_id 0
		.amdhsa_next_free_vgpr 1
		.amdhsa_next_free_sgpr 0
		.amdhsa_accum_offset 4
		.amdhsa_reserve_vcc 0
		.amdhsa_float_round_mode_32 0
		.amdhsa_float_round_mode_16_64 0
		.amdhsa_float_denorm_mode_32 3
		.amdhsa_float_denorm_mode_16_64 3
		.amdhsa_dx10_clamp 1
		.amdhsa_ieee_mode 1
		.amdhsa_fp16_overflow 0
		.amdhsa_tg_split 0
		.amdhsa_exception_fp_ieee_invalid_op 0
		.amdhsa_exception_fp_denorm_src 0
		.amdhsa_exception_fp_ieee_div_zero 0
		.amdhsa_exception_fp_ieee_overflow 0
		.amdhsa_exception_fp_ieee_underflow 0
		.amdhsa_exception_fp_ieee_inexact 0
		.amdhsa_exception_int_div_zero 0
	.end_amdhsa_kernel
	.section	.text._ZN7rocprim17ROCPRIM_400000_NS6detail17trampoline_kernelINS0_14default_configENS1_25partition_config_selectorILNS1_17partition_subalgoE1EiNS0_10empty_typeEbEEZZNS1_14partition_implILS5_1ELb0ES3_jN6thrust23THRUST_200600_302600_NS6detail15normal_iteratorINSA_10device_ptrIiEEEEPS6_NSA_18transform_iteratorI7is_evenIiESF_NSA_11use_defaultESK_EENS0_5tupleIJSF_SF_EEENSM_IJSG_SG_EEES6_PlJS6_EEE10hipError_tPvRmT3_T4_T5_T6_T7_T9_mT8_P12ihipStream_tbDpT10_ENKUlT_T0_E_clISt17integral_constantIbLb0EES18_IbLb1EEEEDaS14_S15_EUlS14_E_NS1_11comp_targetILNS1_3genE2ELNS1_11target_archE906ELNS1_3gpuE6ELNS1_3repE0EEENS1_30default_config_static_selectorELNS0_4arch9wavefront6targetE1EEEvT1_,"axG",@progbits,_ZN7rocprim17ROCPRIM_400000_NS6detail17trampoline_kernelINS0_14default_configENS1_25partition_config_selectorILNS1_17partition_subalgoE1EiNS0_10empty_typeEbEEZZNS1_14partition_implILS5_1ELb0ES3_jN6thrust23THRUST_200600_302600_NS6detail15normal_iteratorINSA_10device_ptrIiEEEEPS6_NSA_18transform_iteratorI7is_evenIiESF_NSA_11use_defaultESK_EENS0_5tupleIJSF_SF_EEENSM_IJSG_SG_EEES6_PlJS6_EEE10hipError_tPvRmT3_T4_T5_T6_T7_T9_mT8_P12ihipStream_tbDpT10_ENKUlT_T0_E_clISt17integral_constantIbLb0EES18_IbLb1EEEEDaS14_S15_EUlS14_E_NS1_11comp_targetILNS1_3genE2ELNS1_11target_archE906ELNS1_3gpuE6ELNS1_3repE0EEENS1_30default_config_static_selectorELNS0_4arch9wavefront6targetE1EEEvT1_,comdat
.Lfunc_end445:
	.size	_ZN7rocprim17ROCPRIM_400000_NS6detail17trampoline_kernelINS0_14default_configENS1_25partition_config_selectorILNS1_17partition_subalgoE1EiNS0_10empty_typeEbEEZZNS1_14partition_implILS5_1ELb0ES3_jN6thrust23THRUST_200600_302600_NS6detail15normal_iteratorINSA_10device_ptrIiEEEEPS6_NSA_18transform_iteratorI7is_evenIiESF_NSA_11use_defaultESK_EENS0_5tupleIJSF_SF_EEENSM_IJSG_SG_EEES6_PlJS6_EEE10hipError_tPvRmT3_T4_T5_T6_T7_T9_mT8_P12ihipStream_tbDpT10_ENKUlT_T0_E_clISt17integral_constantIbLb0EES18_IbLb1EEEEDaS14_S15_EUlS14_E_NS1_11comp_targetILNS1_3genE2ELNS1_11target_archE906ELNS1_3gpuE6ELNS1_3repE0EEENS1_30default_config_static_selectorELNS0_4arch9wavefront6targetE1EEEvT1_, .Lfunc_end445-_ZN7rocprim17ROCPRIM_400000_NS6detail17trampoline_kernelINS0_14default_configENS1_25partition_config_selectorILNS1_17partition_subalgoE1EiNS0_10empty_typeEbEEZZNS1_14partition_implILS5_1ELb0ES3_jN6thrust23THRUST_200600_302600_NS6detail15normal_iteratorINSA_10device_ptrIiEEEEPS6_NSA_18transform_iteratorI7is_evenIiESF_NSA_11use_defaultESK_EENS0_5tupleIJSF_SF_EEENSM_IJSG_SG_EEES6_PlJS6_EEE10hipError_tPvRmT3_T4_T5_T6_T7_T9_mT8_P12ihipStream_tbDpT10_ENKUlT_T0_E_clISt17integral_constantIbLb0EES18_IbLb1EEEEDaS14_S15_EUlS14_E_NS1_11comp_targetILNS1_3genE2ELNS1_11target_archE906ELNS1_3gpuE6ELNS1_3repE0EEENS1_30default_config_static_selectorELNS0_4arch9wavefront6targetE1EEEvT1_
                                        ; -- End function
	.section	.AMDGPU.csdata,"",@progbits
; Kernel info:
; codeLenInByte = 0
; NumSgprs: 6
; NumVgprs: 0
; NumAgprs: 0
; TotalNumVgprs: 0
; ScratchSize: 0
; MemoryBound: 0
; FloatMode: 240
; IeeeMode: 1
; LDSByteSize: 0 bytes/workgroup (compile time only)
; SGPRBlocks: 0
; VGPRBlocks: 0
; NumSGPRsForWavesPerEU: 6
; NumVGPRsForWavesPerEU: 1
; AccumOffset: 4
; Occupancy: 8
; WaveLimiterHint : 0
; COMPUTE_PGM_RSRC2:SCRATCH_EN: 0
; COMPUTE_PGM_RSRC2:USER_SGPR: 2
; COMPUTE_PGM_RSRC2:TRAP_HANDLER: 0
; COMPUTE_PGM_RSRC2:TGID_X_EN: 1
; COMPUTE_PGM_RSRC2:TGID_Y_EN: 0
; COMPUTE_PGM_RSRC2:TGID_Z_EN: 0
; COMPUTE_PGM_RSRC2:TIDIG_COMP_CNT: 0
; COMPUTE_PGM_RSRC3_GFX90A:ACCUM_OFFSET: 0
; COMPUTE_PGM_RSRC3_GFX90A:TG_SPLIT: 0
	.section	.text._ZN7rocprim17ROCPRIM_400000_NS6detail17trampoline_kernelINS0_14default_configENS1_25partition_config_selectorILNS1_17partition_subalgoE1EiNS0_10empty_typeEbEEZZNS1_14partition_implILS5_1ELb0ES3_jN6thrust23THRUST_200600_302600_NS6detail15normal_iteratorINSA_10device_ptrIiEEEEPS6_NSA_18transform_iteratorI7is_evenIiESF_NSA_11use_defaultESK_EENS0_5tupleIJSF_SF_EEENSM_IJSG_SG_EEES6_PlJS6_EEE10hipError_tPvRmT3_T4_T5_T6_T7_T9_mT8_P12ihipStream_tbDpT10_ENKUlT_T0_E_clISt17integral_constantIbLb0EES18_IbLb1EEEEDaS14_S15_EUlS14_E_NS1_11comp_targetILNS1_3genE10ELNS1_11target_archE1200ELNS1_3gpuE4ELNS1_3repE0EEENS1_30default_config_static_selectorELNS0_4arch9wavefront6targetE1EEEvT1_,"axG",@progbits,_ZN7rocprim17ROCPRIM_400000_NS6detail17trampoline_kernelINS0_14default_configENS1_25partition_config_selectorILNS1_17partition_subalgoE1EiNS0_10empty_typeEbEEZZNS1_14partition_implILS5_1ELb0ES3_jN6thrust23THRUST_200600_302600_NS6detail15normal_iteratorINSA_10device_ptrIiEEEEPS6_NSA_18transform_iteratorI7is_evenIiESF_NSA_11use_defaultESK_EENS0_5tupleIJSF_SF_EEENSM_IJSG_SG_EEES6_PlJS6_EEE10hipError_tPvRmT3_T4_T5_T6_T7_T9_mT8_P12ihipStream_tbDpT10_ENKUlT_T0_E_clISt17integral_constantIbLb0EES18_IbLb1EEEEDaS14_S15_EUlS14_E_NS1_11comp_targetILNS1_3genE10ELNS1_11target_archE1200ELNS1_3gpuE4ELNS1_3repE0EEENS1_30default_config_static_selectorELNS0_4arch9wavefront6targetE1EEEvT1_,comdat
	.protected	_ZN7rocprim17ROCPRIM_400000_NS6detail17trampoline_kernelINS0_14default_configENS1_25partition_config_selectorILNS1_17partition_subalgoE1EiNS0_10empty_typeEbEEZZNS1_14partition_implILS5_1ELb0ES3_jN6thrust23THRUST_200600_302600_NS6detail15normal_iteratorINSA_10device_ptrIiEEEEPS6_NSA_18transform_iteratorI7is_evenIiESF_NSA_11use_defaultESK_EENS0_5tupleIJSF_SF_EEENSM_IJSG_SG_EEES6_PlJS6_EEE10hipError_tPvRmT3_T4_T5_T6_T7_T9_mT8_P12ihipStream_tbDpT10_ENKUlT_T0_E_clISt17integral_constantIbLb0EES18_IbLb1EEEEDaS14_S15_EUlS14_E_NS1_11comp_targetILNS1_3genE10ELNS1_11target_archE1200ELNS1_3gpuE4ELNS1_3repE0EEENS1_30default_config_static_selectorELNS0_4arch9wavefront6targetE1EEEvT1_ ; -- Begin function _ZN7rocprim17ROCPRIM_400000_NS6detail17trampoline_kernelINS0_14default_configENS1_25partition_config_selectorILNS1_17partition_subalgoE1EiNS0_10empty_typeEbEEZZNS1_14partition_implILS5_1ELb0ES3_jN6thrust23THRUST_200600_302600_NS6detail15normal_iteratorINSA_10device_ptrIiEEEEPS6_NSA_18transform_iteratorI7is_evenIiESF_NSA_11use_defaultESK_EENS0_5tupleIJSF_SF_EEENSM_IJSG_SG_EEES6_PlJS6_EEE10hipError_tPvRmT3_T4_T5_T6_T7_T9_mT8_P12ihipStream_tbDpT10_ENKUlT_T0_E_clISt17integral_constantIbLb0EES18_IbLb1EEEEDaS14_S15_EUlS14_E_NS1_11comp_targetILNS1_3genE10ELNS1_11target_archE1200ELNS1_3gpuE4ELNS1_3repE0EEENS1_30default_config_static_selectorELNS0_4arch9wavefront6targetE1EEEvT1_
	.globl	_ZN7rocprim17ROCPRIM_400000_NS6detail17trampoline_kernelINS0_14default_configENS1_25partition_config_selectorILNS1_17partition_subalgoE1EiNS0_10empty_typeEbEEZZNS1_14partition_implILS5_1ELb0ES3_jN6thrust23THRUST_200600_302600_NS6detail15normal_iteratorINSA_10device_ptrIiEEEEPS6_NSA_18transform_iteratorI7is_evenIiESF_NSA_11use_defaultESK_EENS0_5tupleIJSF_SF_EEENSM_IJSG_SG_EEES6_PlJS6_EEE10hipError_tPvRmT3_T4_T5_T6_T7_T9_mT8_P12ihipStream_tbDpT10_ENKUlT_T0_E_clISt17integral_constantIbLb0EES18_IbLb1EEEEDaS14_S15_EUlS14_E_NS1_11comp_targetILNS1_3genE10ELNS1_11target_archE1200ELNS1_3gpuE4ELNS1_3repE0EEENS1_30default_config_static_selectorELNS0_4arch9wavefront6targetE1EEEvT1_
	.p2align	8
	.type	_ZN7rocprim17ROCPRIM_400000_NS6detail17trampoline_kernelINS0_14default_configENS1_25partition_config_selectorILNS1_17partition_subalgoE1EiNS0_10empty_typeEbEEZZNS1_14partition_implILS5_1ELb0ES3_jN6thrust23THRUST_200600_302600_NS6detail15normal_iteratorINSA_10device_ptrIiEEEEPS6_NSA_18transform_iteratorI7is_evenIiESF_NSA_11use_defaultESK_EENS0_5tupleIJSF_SF_EEENSM_IJSG_SG_EEES6_PlJS6_EEE10hipError_tPvRmT3_T4_T5_T6_T7_T9_mT8_P12ihipStream_tbDpT10_ENKUlT_T0_E_clISt17integral_constantIbLb0EES18_IbLb1EEEEDaS14_S15_EUlS14_E_NS1_11comp_targetILNS1_3genE10ELNS1_11target_archE1200ELNS1_3gpuE4ELNS1_3repE0EEENS1_30default_config_static_selectorELNS0_4arch9wavefront6targetE1EEEvT1_,@function
_ZN7rocprim17ROCPRIM_400000_NS6detail17trampoline_kernelINS0_14default_configENS1_25partition_config_selectorILNS1_17partition_subalgoE1EiNS0_10empty_typeEbEEZZNS1_14partition_implILS5_1ELb0ES3_jN6thrust23THRUST_200600_302600_NS6detail15normal_iteratorINSA_10device_ptrIiEEEEPS6_NSA_18transform_iteratorI7is_evenIiESF_NSA_11use_defaultESK_EENS0_5tupleIJSF_SF_EEENSM_IJSG_SG_EEES6_PlJS6_EEE10hipError_tPvRmT3_T4_T5_T6_T7_T9_mT8_P12ihipStream_tbDpT10_ENKUlT_T0_E_clISt17integral_constantIbLb0EES18_IbLb1EEEEDaS14_S15_EUlS14_E_NS1_11comp_targetILNS1_3genE10ELNS1_11target_archE1200ELNS1_3gpuE4ELNS1_3repE0EEENS1_30default_config_static_selectorELNS0_4arch9wavefront6targetE1EEEvT1_: ; @_ZN7rocprim17ROCPRIM_400000_NS6detail17trampoline_kernelINS0_14default_configENS1_25partition_config_selectorILNS1_17partition_subalgoE1EiNS0_10empty_typeEbEEZZNS1_14partition_implILS5_1ELb0ES3_jN6thrust23THRUST_200600_302600_NS6detail15normal_iteratorINSA_10device_ptrIiEEEEPS6_NSA_18transform_iteratorI7is_evenIiESF_NSA_11use_defaultESK_EENS0_5tupleIJSF_SF_EEENSM_IJSG_SG_EEES6_PlJS6_EEE10hipError_tPvRmT3_T4_T5_T6_T7_T9_mT8_P12ihipStream_tbDpT10_ENKUlT_T0_E_clISt17integral_constantIbLb0EES18_IbLb1EEEEDaS14_S15_EUlS14_E_NS1_11comp_targetILNS1_3genE10ELNS1_11target_archE1200ELNS1_3gpuE4ELNS1_3repE0EEENS1_30default_config_static_selectorELNS0_4arch9wavefront6targetE1EEEvT1_
; %bb.0:
	.section	.rodata,"a",@progbits
	.p2align	6, 0x0
	.amdhsa_kernel _ZN7rocprim17ROCPRIM_400000_NS6detail17trampoline_kernelINS0_14default_configENS1_25partition_config_selectorILNS1_17partition_subalgoE1EiNS0_10empty_typeEbEEZZNS1_14partition_implILS5_1ELb0ES3_jN6thrust23THRUST_200600_302600_NS6detail15normal_iteratorINSA_10device_ptrIiEEEEPS6_NSA_18transform_iteratorI7is_evenIiESF_NSA_11use_defaultESK_EENS0_5tupleIJSF_SF_EEENSM_IJSG_SG_EEES6_PlJS6_EEE10hipError_tPvRmT3_T4_T5_T6_T7_T9_mT8_P12ihipStream_tbDpT10_ENKUlT_T0_E_clISt17integral_constantIbLb0EES18_IbLb1EEEEDaS14_S15_EUlS14_E_NS1_11comp_targetILNS1_3genE10ELNS1_11target_archE1200ELNS1_3gpuE4ELNS1_3repE0EEENS1_30default_config_static_selectorELNS0_4arch9wavefront6targetE1EEEvT1_
		.amdhsa_group_segment_fixed_size 0
		.amdhsa_private_segment_fixed_size 0
		.amdhsa_kernarg_size 144
		.amdhsa_user_sgpr_count 2
		.amdhsa_user_sgpr_dispatch_ptr 0
		.amdhsa_user_sgpr_queue_ptr 0
		.amdhsa_user_sgpr_kernarg_segment_ptr 1
		.amdhsa_user_sgpr_dispatch_id 0
		.amdhsa_user_sgpr_kernarg_preload_length 0
		.amdhsa_user_sgpr_kernarg_preload_offset 0
		.amdhsa_user_sgpr_private_segment_size 0
		.amdhsa_uses_dynamic_stack 0
		.amdhsa_enable_private_segment 0
		.amdhsa_system_sgpr_workgroup_id_x 1
		.amdhsa_system_sgpr_workgroup_id_y 0
		.amdhsa_system_sgpr_workgroup_id_z 0
		.amdhsa_system_sgpr_workgroup_info 0
		.amdhsa_system_vgpr_workitem_id 0
		.amdhsa_next_free_vgpr 1
		.amdhsa_next_free_sgpr 0
		.amdhsa_accum_offset 4
		.amdhsa_reserve_vcc 0
		.amdhsa_float_round_mode_32 0
		.amdhsa_float_round_mode_16_64 0
		.amdhsa_float_denorm_mode_32 3
		.amdhsa_float_denorm_mode_16_64 3
		.amdhsa_dx10_clamp 1
		.amdhsa_ieee_mode 1
		.amdhsa_fp16_overflow 0
		.amdhsa_tg_split 0
		.amdhsa_exception_fp_ieee_invalid_op 0
		.amdhsa_exception_fp_denorm_src 0
		.amdhsa_exception_fp_ieee_div_zero 0
		.amdhsa_exception_fp_ieee_overflow 0
		.amdhsa_exception_fp_ieee_underflow 0
		.amdhsa_exception_fp_ieee_inexact 0
		.amdhsa_exception_int_div_zero 0
	.end_amdhsa_kernel
	.section	.text._ZN7rocprim17ROCPRIM_400000_NS6detail17trampoline_kernelINS0_14default_configENS1_25partition_config_selectorILNS1_17partition_subalgoE1EiNS0_10empty_typeEbEEZZNS1_14partition_implILS5_1ELb0ES3_jN6thrust23THRUST_200600_302600_NS6detail15normal_iteratorINSA_10device_ptrIiEEEEPS6_NSA_18transform_iteratorI7is_evenIiESF_NSA_11use_defaultESK_EENS0_5tupleIJSF_SF_EEENSM_IJSG_SG_EEES6_PlJS6_EEE10hipError_tPvRmT3_T4_T5_T6_T7_T9_mT8_P12ihipStream_tbDpT10_ENKUlT_T0_E_clISt17integral_constantIbLb0EES18_IbLb1EEEEDaS14_S15_EUlS14_E_NS1_11comp_targetILNS1_3genE10ELNS1_11target_archE1200ELNS1_3gpuE4ELNS1_3repE0EEENS1_30default_config_static_selectorELNS0_4arch9wavefront6targetE1EEEvT1_,"axG",@progbits,_ZN7rocprim17ROCPRIM_400000_NS6detail17trampoline_kernelINS0_14default_configENS1_25partition_config_selectorILNS1_17partition_subalgoE1EiNS0_10empty_typeEbEEZZNS1_14partition_implILS5_1ELb0ES3_jN6thrust23THRUST_200600_302600_NS6detail15normal_iteratorINSA_10device_ptrIiEEEEPS6_NSA_18transform_iteratorI7is_evenIiESF_NSA_11use_defaultESK_EENS0_5tupleIJSF_SF_EEENSM_IJSG_SG_EEES6_PlJS6_EEE10hipError_tPvRmT3_T4_T5_T6_T7_T9_mT8_P12ihipStream_tbDpT10_ENKUlT_T0_E_clISt17integral_constantIbLb0EES18_IbLb1EEEEDaS14_S15_EUlS14_E_NS1_11comp_targetILNS1_3genE10ELNS1_11target_archE1200ELNS1_3gpuE4ELNS1_3repE0EEENS1_30default_config_static_selectorELNS0_4arch9wavefront6targetE1EEEvT1_,comdat
.Lfunc_end446:
	.size	_ZN7rocprim17ROCPRIM_400000_NS6detail17trampoline_kernelINS0_14default_configENS1_25partition_config_selectorILNS1_17partition_subalgoE1EiNS0_10empty_typeEbEEZZNS1_14partition_implILS5_1ELb0ES3_jN6thrust23THRUST_200600_302600_NS6detail15normal_iteratorINSA_10device_ptrIiEEEEPS6_NSA_18transform_iteratorI7is_evenIiESF_NSA_11use_defaultESK_EENS0_5tupleIJSF_SF_EEENSM_IJSG_SG_EEES6_PlJS6_EEE10hipError_tPvRmT3_T4_T5_T6_T7_T9_mT8_P12ihipStream_tbDpT10_ENKUlT_T0_E_clISt17integral_constantIbLb0EES18_IbLb1EEEEDaS14_S15_EUlS14_E_NS1_11comp_targetILNS1_3genE10ELNS1_11target_archE1200ELNS1_3gpuE4ELNS1_3repE0EEENS1_30default_config_static_selectorELNS0_4arch9wavefront6targetE1EEEvT1_, .Lfunc_end446-_ZN7rocprim17ROCPRIM_400000_NS6detail17trampoline_kernelINS0_14default_configENS1_25partition_config_selectorILNS1_17partition_subalgoE1EiNS0_10empty_typeEbEEZZNS1_14partition_implILS5_1ELb0ES3_jN6thrust23THRUST_200600_302600_NS6detail15normal_iteratorINSA_10device_ptrIiEEEEPS6_NSA_18transform_iteratorI7is_evenIiESF_NSA_11use_defaultESK_EENS0_5tupleIJSF_SF_EEENSM_IJSG_SG_EEES6_PlJS6_EEE10hipError_tPvRmT3_T4_T5_T6_T7_T9_mT8_P12ihipStream_tbDpT10_ENKUlT_T0_E_clISt17integral_constantIbLb0EES18_IbLb1EEEEDaS14_S15_EUlS14_E_NS1_11comp_targetILNS1_3genE10ELNS1_11target_archE1200ELNS1_3gpuE4ELNS1_3repE0EEENS1_30default_config_static_selectorELNS0_4arch9wavefront6targetE1EEEvT1_
                                        ; -- End function
	.section	.AMDGPU.csdata,"",@progbits
; Kernel info:
; codeLenInByte = 0
; NumSgprs: 6
; NumVgprs: 0
; NumAgprs: 0
; TotalNumVgprs: 0
; ScratchSize: 0
; MemoryBound: 0
; FloatMode: 240
; IeeeMode: 1
; LDSByteSize: 0 bytes/workgroup (compile time only)
; SGPRBlocks: 0
; VGPRBlocks: 0
; NumSGPRsForWavesPerEU: 6
; NumVGPRsForWavesPerEU: 1
; AccumOffset: 4
; Occupancy: 8
; WaveLimiterHint : 0
; COMPUTE_PGM_RSRC2:SCRATCH_EN: 0
; COMPUTE_PGM_RSRC2:USER_SGPR: 2
; COMPUTE_PGM_RSRC2:TRAP_HANDLER: 0
; COMPUTE_PGM_RSRC2:TGID_X_EN: 1
; COMPUTE_PGM_RSRC2:TGID_Y_EN: 0
; COMPUTE_PGM_RSRC2:TGID_Z_EN: 0
; COMPUTE_PGM_RSRC2:TIDIG_COMP_CNT: 0
; COMPUTE_PGM_RSRC3_GFX90A:ACCUM_OFFSET: 0
; COMPUTE_PGM_RSRC3_GFX90A:TG_SPLIT: 0
	.section	.text._ZN7rocprim17ROCPRIM_400000_NS6detail17trampoline_kernelINS0_14default_configENS1_25partition_config_selectorILNS1_17partition_subalgoE1EiNS0_10empty_typeEbEEZZNS1_14partition_implILS5_1ELb0ES3_jN6thrust23THRUST_200600_302600_NS6detail15normal_iteratorINSA_10device_ptrIiEEEEPS6_NSA_18transform_iteratorI7is_evenIiESF_NSA_11use_defaultESK_EENS0_5tupleIJSF_SF_EEENSM_IJSG_SG_EEES6_PlJS6_EEE10hipError_tPvRmT3_T4_T5_T6_T7_T9_mT8_P12ihipStream_tbDpT10_ENKUlT_T0_E_clISt17integral_constantIbLb0EES18_IbLb1EEEEDaS14_S15_EUlS14_E_NS1_11comp_targetILNS1_3genE9ELNS1_11target_archE1100ELNS1_3gpuE3ELNS1_3repE0EEENS1_30default_config_static_selectorELNS0_4arch9wavefront6targetE1EEEvT1_,"axG",@progbits,_ZN7rocprim17ROCPRIM_400000_NS6detail17trampoline_kernelINS0_14default_configENS1_25partition_config_selectorILNS1_17partition_subalgoE1EiNS0_10empty_typeEbEEZZNS1_14partition_implILS5_1ELb0ES3_jN6thrust23THRUST_200600_302600_NS6detail15normal_iteratorINSA_10device_ptrIiEEEEPS6_NSA_18transform_iteratorI7is_evenIiESF_NSA_11use_defaultESK_EENS0_5tupleIJSF_SF_EEENSM_IJSG_SG_EEES6_PlJS6_EEE10hipError_tPvRmT3_T4_T5_T6_T7_T9_mT8_P12ihipStream_tbDpT10_ENKUlT_T0_E_clISt17integral_constantIbLb0EES18_IbLb1EEEEDaS14_S15_EUlS14_E_NS1_11comp_targetILNS1_3genE9ELNS1_11target_archE1100ELNS1_3gpuE3ELNS1_3repE0EEENS1_30default_config_static_selectorELNS0_4arch9wavefront6targetE1EEEvT1_,comdat
	.protected	_ZN7rocprim17ROCPRIM_400000_NS6detail17trampoline_kernelINS0_14default_configENS1_25partition_config_selectorILNS1_17partition_subalgoE1EiNS0_10empty_typeEbEEZZNS1_14partition_implILS5_1ELb0ES3_jN6thrust23THRUST_200600_302600_NS6detail15normal_iteratorINSA_10device_ptrIiEEEEPS6_NSA_18transform_iteratorI7is_evenIiESF_NSA_11use_defaultESK_EENS0_5tupleIJSF_SF_EEENSM_IJSG_SG_EEES6_PlJS6_EEE10hipError_tPvRmT3_T4_T5_T6_T7_T9_mT8_P12ihipStream_tbDpT10_ENKUlT_T0_E_clISt17integral_constantIbLb0EES18_IbLb1EEEEDaS14_S15_EUlS14_E_NS1_11comp_targetILNS1_3genE9ELNS1_11target_archE1100ELNS1_3gpuE3ELNS1_3repE0EEENS1_30default_config_static_selectorELNS0_4arch9wavefront6targetE1EEEvT1_ ; -- Begin function _ZN7rocprim17ROCPRIM_400000_NS6detail17trampoline_kernelINS0_14default_configENS1_25partition_config_selectorILNS1_17partition_subalgoE1EiNS0_10empty_typeEbEEZZNS1_14partition_implILS5_1ELb0ES3_jN6thrust23THRUST_200600_302600_NS6detail15normal_iteratorINSA_10device_ptrIiEEEEPS6_NSA_18transform_iteratorI7is_evenIiESF_NSA_11use_defaultESK_EENS0_5tupleIJSF_SF_EEENSM_IJSG_SG_EEES6_PlJS6_EEE10hipError_tPvRmT3_T4_T5_T6_T7_T9_mT8_P12ihipStream_tbDpT10_ENKUlT_T0_E_clISt17integral_constantIbLb0EES18_IbLb1EEEEDaS14_S15_EUlS14_E_NS1_11comp_targetILNS1_3genE9ELNS1_11target_archE1100ELNS1_3gpuE3ELNS1_3repE0EEENS1_30default_config_static_selectorELNS0_4arch9wavefront6targetE1EEEvT1_
	.globl	_ZN7rocprim17ROCPRIM_400000_NS6detail17trampoline_kernelINS0_14default_configENS1_25partition_config_selectorILNS1_17partition_subalgoE1EiNS0_10empty_typeEbEEZZNS1_14partition_implILS5_1ELb0ES3_jN6thrust23THRUST_200600_302600_NS6detail15normal_iteratorINSA_10device_ptrIiEEEEPS6_NSA_18transform_iteratorI7is_evenIiESF_NSA_11use_defaultESK_EENS0_5tupleIJSF_SF_EEENSM_IJSG_SG_EEES6_PlJS6_EEE10hipError_tPvRmT3_T4_T5_T6_T7_T9_mT8_P12ihipStream_tbDpT10_ENKUlT_T0_E_clISt17integral_constantIbLb0EES18_IbLb1EEEEDaS14_S15_EUlS14_E_NS1_11comp_targetILNS1_3genE9ELNS1_11target_archE1100ELNS1_3gpuE3ELNS1_3repE0EEENS1_30default_config_static_selectorELNS0_4arch9wavefront6targetE1EEEvT1_
	.p2align	8
	.type	_ZN7rocprim17ROCPRIM_400000_NS6detail17trampoline_kernelINS0_14default_configENS1_25partition_config_selectorILNS1_17partition_subalgoE1EiNS0_10empty_typeEbEEZZNS1_14partition_implILS5_1ELb0ES3_jN6thrust23THRUST_200600_302600_NS6detail15normal_iteratorINSA_10device_ptrIiEEEEPS6_NSA_18transform_iteratorI7is_evenIiESF_NSA_11use_defaultESK_EENS0_5tupleIJSF_SF_EEENSM_IJSG_SG_EEES6_PlJS6_EEE10hipError_tPvRmT3_T4_T5_T6_T7_T9_mT8_P12ihipStream_tbDpT10_ENKUlT_T0_E_clISt17integral_constantIbLb0EES18_IbLb1EEEEDaS14_S15_EUlS14_E_NS1_11comp_targetILNS1_3genE9ELNS1_11target_archE1100ELNS1_3gpuE3ELNS1_3repE0EEENS1_30default_config_static_selectorELNS0_4arch9wavefront6targetE1EEEvT1_,@function
_ZN7rocprim17ROCPRIM_400000_NS6detail17trampoline_kernelINS0_14default_configENS1_25partition_config_selectorILNS1_17partition_subalgoE1EiNS0_10empty_typeEbEEZZNS1_14partition_implILS5_1ELb0ES3_jN6thrust23THRUST_200600_302600_NS6detail15normal_iteratorINSA_10device_ptrIiEEEEPS6_NSA_18transform_iteratorI7is_evenIiESF_NSA_11use_defaultESK_EENS0_5tupleIJSF_SF_EEENSM_IJSG_SG_EEES6_PlJS6_EEE10hipError_tPvRmT3_T4_T5_T6_T7_T9_mT8_P12ihipStream_tbDpT10_ENKUlT_T0_E_clISt17integral_constantIbLb0EES18_IbLb1EEEEDaS14_S15_EUlS14_E_NS1_11comp_targetILNS1_3genE9ELNS1_11target_archE1100ELNS1_3gpuE3ELNS1_3repE0EEENS1_30default_config_static_selectorELNS0_4arch9wavefront6targetE1EEEvT1_: ; @_ZN7rocprim17ROCPRIM_400000_NS6detail17trampoline_kernelINS0_14default_configENS1_25partition_config_selectorILNS1_17partition_subalgoE1EiNS0_10empty_typeEbEEZZNS1_14partition_implILS5_1ELb0ES3_jN6thrust23THRUST_200600_302600_NS6detail15normal_iteratorINSA_10device_ptrIiEEEEPS6_NSA_18transform_iteratorI7is_evenIiESF_NSA_11use_defaultESK_EENS0_5tupleIJSF_SF_EEENSM_IJSG_SG_EEES6_PlJS6_EEE10hipError_tPvRmT3_T4_T5_T6_T7_T9_mT8_P12ihipStream_tbDpT10_ENKUlT_T0_E_clISt17integral_constantIbLb0EES18_IbLb1EEEEDaS14_S15_EUlS14_E_NS1_11comp_targetILNS1_3genE9ELNS1_11target_archE1100ELNS1_3gpuE3ELNS1_3repE0EEENS1_30default_config_static_selectorELNS0_4arch9wavefront6targetE1EEEvT1_
; %bb.0:
	.section	.rodata,"a",@progbits
	.p2align	6, 0x0
	.amdhsa_kernel _ZN7rocprim17ROCPRIM_400000_NS6detail17trampoline_kernelINS0_14default_configENS1_25partition_config_selectorILNS1_17partition_subalgoE1EiNS0_10empty_typeEbEEZZNS1_14partition_implILS5_1ELb0ES3_jN6thrust23THRUST_200600_302600_NS6detail15normal_iteratorINSA_10device_ptrIiEEEEPS6_NSA_18transform_iteratorI7is_evenIiESF_NSA_11use_defaultESK_EENS0_5tupleIJSF_SF_EEENSM_IJSG_SG_EEES6_PlJS6_EEE10hipError_tPvRmT3_T4_T5_T6_T7_T9_mT8_P12ihipStream_tbDpT10_ENKUlT_T0_E_clISt17integral_constantIbLb0EES18_IbLb1EEEEDaS14_S15_EUlS14_E_NS1_11comp_targetILNS1_3genE9ELNS1_11target_archE1100ELNS1_3gpuE3ELNS1_3repE0EEENS1_30default_config_static_selectorELNS0_4arch9wavefront6targetE1EEEvT1_
		.amdhsa_group_segment_fixed_size 0
		.amdhsa_private_segment_fixed_size 0
		.amdhsa_kernarg_size 144
		.amdhsa_user_sgpr_count 2
		.amdhsa_user_sgpr_dispatch_ptr 0
		.amdhsa_user_sgpr_queue_ptr 0
		.amdhsa_user_sgpr_kernarg_segment_ptr 1
		.amdhsa_user_sgpr_dispatch_id 0
		.amdhsa_user_sgpr_kernarg_preload_length 0
		.amdhsa_user_sgpr_kernarg_preload_offset 0
		.amdhsa_user_sgpr_private_segment_size 0
		.amdhsa_uses_dynamic_stack 0
		.amdhsa_enable_private_segment 0
		.amdhsa_system_sgpr_workgroup_id_x 1
		.amdhsa_system_sgpr_workgroup_id_y 0
		.amdhsa_system_sgpr_workgroup_id_z 0
		.amdhsa_system_sgpr_workgroup_info 0
		.amdhsa_system_vgpr_workitem_id 0
		.amdhsa_next_free_vgpr 1
		.amdhsa_next_free_sgpr 0
		.amdhsa_accum_offset 4
		.amdhsa_reserve_vcc 0
		.amdhsa_float_round_mode_32 0
		.amdhsa_float_round_mode_16_64 0
		.amdhsa_float_denorm_mode_32 3
		.amdhsa_float_denorm_mode_16_64 3
		.amdhsa_dx10_clamp 1
		.amdhsa_ieee_mode 1
		.amdhsa_fp16_overflow 0
		.amdhsa_tg_split 0
		.amdhsa_exception_fp_ieee_invalid_op 0
		.amdhsa_exception_fp_denorm_src 0
		.amdhsa_exception_fp_ieee_div_zero 0
		.amdhsa_exception_fp_ieee_overflow 0
		.amdhsa_exception_fp_ieee_underflow 0
		.amdhsa_exception_fp_ieee_inexact 0
		.amdhsa_exception_int_div_zero 0
	.end_amdhsa_kernel
	.section	.text._ZN7rocprim17ROCPRIM_400000_NS6detail17trampoline_kernelINS0_14default_configENS1_25partition_config_selectorILNS1_17partition_subalgoE1EiNS0_10empty_typeEbEEZZNS1_14partition_implILS5_1ELb0ES3_jN6thrust23THRUST_200600_302600_NS6detail15normal_iteratorINSA_10device_ptrIiEEEEPS6_NSA_18transform_iteratorI7is_evenIiESF_NSA_11use_defaultESK_EENS0_5tupleIJSF_SF_EEENSM_IJSG_SG_EEES6_PlJS6_EEE10hipError_tPvRmT3_T4_T5_T6_T7_T9_mT8_P12ihipStream_tbDpT10_ENKUlT_T0_E_clISt17integral_constantIbLb0EES18_IbLb1EEEEDaS14_S15_EUlS14_E_NS1_11comp_targetILNS1_3genE9ELNS1_11target_archE1100ELNS1_3gpuE3ELNS1_3repE0EEENS1_30default_config_static_selectorELNS0_4arch9wavefront6targetE1EEEvT1_,"axG",@progbits,_ZN7rocprim17ROCPRIM_400000_NS6detail17trampoline_kernelINS0_14default_configENS1_25partition_config_selectorILNS1_17partition_subalgoE1EiNS0_10empty_typeEbEEZZNS1_14partition_implILS5_1ELb0ES3_jN6thrust23THRUST_200600_302600_NS6detail15normal_iteratorINSA_10device_ptrIiEEEEPS6_NSA_18transform_iteratorI7is_evenIiESF_NSA_11use_defaultESK_EENS0_5tupleIJSF_SF_EEENSM_IJSG_SG_EEES6_PlJS6_EEE10hipError_tPvRmT3_T4_T5_T6_T7_T9_mT8_P12ihipStream_tbDpT10_ENKUlT_T0_E_clISt17integral_constantIbLb0EES18_IbLb1EEEEDaS14_S15_EUlS14_E_NS1_11comp_targetILNS1_3genE9ELNS1_11target_archE1100ELNS1_3gpuE3ELNS1_3repE0EEENS1_30default_config_static_selectorELNS0_4arch9wavefront6targetE1EEEvT1_,comdat
.Lfunc_end447:
	.size	_ZN7rocprim17ROCPRIM_400000_NS6detail17trampoline_kernelINS0_14default_configENS1_25partition_config_selectorILNS1_17partition_subalgoE1EiNS0_10empty_typeEbEEZZNS1_14partition_implILS5_1ELb0ES3_jN6thrust23THRUST_200600_302600_NS6detail15normal_iteratorINSA_10device_ptrIiEEEEPS6_NSA_18transform_iteratorI7is_evenIiESF_NSA_11use_defaultESK_EENS0_5tupleIJSF_SF_EEENSM_IJSG_SG_EEES6_PlJS6_EEE10hipError_tPvRmT3_T4_T5_T6_T7_T9_mT8_P12ihipStream_tbDpT10_ENKUlT_T0_E_clISt17integral_constantIbLb0EES18_IbLb1EEEEDaS14_S15_EUlS14_E_NS1_11comp_targetILNS1_3genE9ELNS1_11target_archE1100ELNS1_3gpuE3ELNS1_3repE0EEENS1_30default_config_static_selectorELNS0_4arch9wavefront6targetE1EEEvT1_, .Lfunc_end447-_ZN7rocprim17ROCPRIM_400000_NS6detail17trampoline_kernelINS0_14default_configENS1_25partition_config_selectorILNS1_17partition_subalgoE1EiNS0_10empty_typeEbEEZZNS1_14partition_implILS5_1ELb0ES3_jN6thrust23THRUST_200600_302600_NS6detail15normal_iteratorINSA_10device_ptrIiEEEEPS6_NSA_18transform_iteratorI7is_evenIiESF_NSA_11use_defaultESK_EENS0_5tupleIJSF_SF_EEENSM_IJSG_SG_EEES6_PlJS6_EEE10hipError_tPvRmT3_T4_T5_T6_T7_T9_mT8_P12ihipStream_tbDpT10_ENKUlT_T0_E_clISt17integral_constantIbLb0EES18_IbLb1EEEEDaS14_S15_EUlS14_E_NS1_11comp_targetILNS1_3genE9ELNS1_11target_archE1100ELNS1_3gpuE3ELNS1_3repE0EEENS1_30default_config_static_selectorELNS0_4arch9wavefront6targetE1EEEvT1_
                                        ; -- End function
	.section	.AMDGPU.csdata,"",@progbits
; Kernel info:
; codeLenInByte = 0
; NumSgprs: 6
; NumVgprs: 0
; NumAgprs: 0
; TotalNumVgprs: 0
; ScratchSize: 0
; MemoryBound: 0
; FloatMode: 240
; IeeeMode: 1
; LDSByteSize: 0 bytes/workgroup (compile time only)
; SGPRBlocks: 0
; VGPRBlocks: 0
; NumSGPRsForWavesPerEU: 6
; NumVGPRsForWavesPerEU: 1
; AccumOffset: 4
; Occupancy: 8
; WaveLimiterHint : 0
; COMPUTE_PGM_RSRC2:SCRATCH_EN: 0
; COMPUTE_PGM_RSRC2:USER_SGPR: 2
; COMPUTE_PGM_RSRC2:TRAP_HANDLER: 0
; COMPUTE_PGM_RSRC2:TGID_X_EN: 1
; COMPUTE_PGM_RSRC2:TGID_Y_EN: 0
; COMPUTE_PGM_RSRC2:TGID_Z_EN: 0
; COMPUTE_PGM_RSRC2:TIDIG_COMP_CNT: 0
; COMPUTE_PGM_RSRC3_GFX90A:ACCUM_OFFSET: 0
; COMPUTE_PGM_RSRC3_GFX90A:TG_SPLIT: 0
	.section	.text._ZN7rocprim17ROCPRIM_400000_NS6detail17trampoline_kernelINS0_14default_configENS1_25partition_config_selectorILNS1_17partition_subalgoE1EiNS0_10empty_typeEbEEZZNS1_14partition_implILS5_1ELb0ES3_jN6thrust23THRUST_200600_302600_NS6detail15normal_iteratorINSA_10device_ptrIiEEEEPS6_NSA_18transform_iteratorI7is_evenIiESF_NSA_11use_defaultESK_EENS0_5tupleIJSF_SF_EEENSM_IJSG_SG_EEES6_PlJS6_EEE10hipError_tPvRmT3_T4_T5_T6_T7_T9_mT8_P12ihipStream_tbDpT10_ENKUlT_T0_E_clISt17integral_constantIbLb0EES18_IbLb1EEEEDaS14_S15_EUlS14_E_NS1_11comp_targetILNS1_3genE8ELNS1_11target_archE1030ELNS1_3gpuE2ELNS1_3repE0EEENS1_30default_config_static_selectorELNS0_4arch9wavefront6targetE1EEEvT1_,"axG",@progbits,_ZN7rocprim17ROCPRIM_400000_NS6detail17trampoline_kernelINS0_14default_configENS1_25partition_config_selectorILNS1_17partition_subalgoE1EiNS0_10empty_typeEbEEZZNS1_14partition_implILS5_1ELb0ES3_jN6thrust23THRUST_200600_302600_NS6detail15normal_iteratorINSA_10device_ptrIiEEEEPS6_NSA_18transform_iteratorI7is_evenIiESF_NSA_11use_defaultESK_EENS0_5tupleIJSF_SF_EEENSM_IJSG_SG_EEES6_PlJS6_EEE10hipError_tPvRmT3_T4_T5_T6_T7_T9_mT8_P12ihipStream_tbDpT10_ENKUlT_T0_E_clISt17integral_constantIbLb0EES18_IbLb1EEEEDaS14_S15_EUlS14_E_NS1_11comp_targetILNS1_3genE8ELNS1_11target_archE1030ELNS1_3gpuE2ELNS1_3repE0EEENS1_30default_config_static_selectorELNS0_4arch9wavefront6targetE1EEEvT1_,comdat
	.protected	_ZN7rocprim17ROCPRIM_400000_NS6detail17trampoline_kernelINS0_14default_configENS1_25partition_config_selectorILNS1_17partition_subalgoE1EiNS0_10empty_typeEbEEZZNS1_14partition_implILS5_1ELb0ES3_jN6thrust23THRUST_200600_302600_NS6detail15normal_iteratorINSA_10device_ptrIiEEEEPS6_NSA_18transform_iteratorI7is_evenIiESF_NSA_11use_defaultESK_EENS0_5tupleIJSF_SF_EEENSM_IJSG_SG_EEES6_PlJS6_EEE10hipError_tPvRmT3_T4_T5_T6_T7_T9_mT8_P12ihipStream_tbDpT10_ENKUlT_T0_E_clISt17integral_constantIbLb0EES18_IbLb1EEEEDaS14_S15_EUlS14_E_NS1_11comp_targetILNS1_3genE8ELNS1_11target_archE1030ELNS1_3gpuE2ELNS1_3repE0EEENS1_30default_config_static_selectorELNS0_4arch9wavefront6targetE1EEEvT1_ ; -- Begin function _ZN7rocprim17ROCPRIM_400000_NS6detail17trampoline_kernelINS0_14default_configENS1_25partition_config_selectorILNS1_17partition_subalgoE1EiNS0_10empty_typeEbEEZZNS1_14partition_implILS5_1ELb0ES3_jN6thrust23THRUST_200600_302600_NS6detail15normal_iteratorINSA_10device_ptrIiEEEEPS6_NSA_18transform_iteratorI7is_evenIiESF_NSA_11use_defaultESK_EENS0_5tupleIJSF_SF_EEENSM_IJSG_SG_EEES6_PlJS6_EEE10hipError_tPvRmT3_T4_T5_T6_T7_T9_mT8_P12ihipStream_tbDpT10_ENKUlT_T0_E_clISt17integral_constantIbLb0EES18_IbLb1EEEEDaS14_S15_EUlS14_E_NS1_11comp_targetILNS1_3genE8ELNS1_11target_archE1030ELNS1_3gpuE2ELNS1_3repE0EEENS1_30default_config_static_selectorELNS0_4arch9wavefront6targetE1EEEvT1_
	.globl	_ZN7rocprim17ROCPRIM_400000_NS6detail17trampoline_kernelINS0_14default_configENS1_25partition_config_selectorILNS1_17partition_subalgoE1EiNS0_10empty_typeEbEEZZNS1_14partition_implILS5_1ELb0ES3_jN6thrust23THRUST_200600_302600_NS6detail15normal_iteratorINSA_10device_ptrIiEEEEPS6_NSA_18transform_iteratorI7is_evenIiESF_NSA_11use_defaultESK_EENS0_5tupleIJSF_SF_EEENSM_IJSG_SG_EEES6_PlJS6_EEE10hipError_tPvRmT3_T4_T5_T6_T7_T9_mT8_P12ihipStream_tbDpT10_ENKUlT_T0_E_clISt17integral_constantIbLb0EES18_IbLb1EEEEDaS14_S15_EUlS14_E_NS1_11comp_targetILNS1_3genE8ELNS1_11target_archE1030ELNS1_3gpuE2ELNS1_3repE0EEENS1_30default_config_static_selectorELNS0_4arch9wavefront6targetE1EEEvT1_
	.p2align	8
	.type	_ZN7rocprim17ROCPRIM_400000_NS6detail17trampoline_kernelINS0_14default_configENS1_25partition_config_selectorILNS1_17partition_subalgoE1EiNS0_10empty_typeEbEEZZNS1_14partition_implILS5_1ELb0ES3_jN6thrust23THRUST_200600_302600_NS6detail15normal_iteratorINSA_10device_ptrIiEEEEPS6_NSA_18transform_iteratorI7is_evenIiESF_NSA_11use_defaultESK_EENS0_5tupleIJSF_SF_EEENSM_IJSG_SG_EEES6_PlJS6_EEE10hipError_tPvRmT3_T4_T5_T6_T7_T9_mT8_P12ihipStream_tbDpT10_ENKUlT_T0_E_clISt17integral_constantIbLb0EES18_IbLb1EEEEDaS14_S15_EUlS14_E_NS1_11comp_targetILNS1_3genE8ELNS1_11target_archE1030ELNS1_3gpuE2ELNS1_3repE0EEENS1_30default_config_static_selectorELNS0_4arch9wavefront6targetE1EEEvT1_,@function
_ZN7rocprim17ROCPRIM_400000_NS6detail17trampoline_kernelINS0_14default_configENS1_25partition_config_selectorILNS1_17partition_subalgoE1EiNS0_10empty_typeEbEEZZNS1_14partition_implILS5_1ELb0ES3_jN6thrust23THRUST_200600_302600_NS6detail15normal_iteratorINSA_10device_ptrIiEEEEPS6_NSA_18transform_iteratorI7is_evenIiESF_NSA_11use_defaultESK_EENS0_5tupleIJSF_SF_EEENSM_IJSG_SG_EEES6_PlJS6_EEE10hipError_tPvRmT3_T4_T5_T6_T7_T9_mT8_P12ihipStream_tbDpT10_ENKUlT_T0_E_clISt17integral_constantIbLb0EES18_IbLb1EEEEDaS14_S15_EUlS14_E_NS1_11comp_targetILNS1_3genE8ELNS1_11target_archE1030ELNS1_3gpuE2ELNS1_3repE0EEENS1_30default_config_static_selectorELNS0_4arch9wavefront6targetE1EEEvT1_: ; @_ZN7rocprim17ROCPRIM_400000_NS6detail17trampoline_kernelINS0_14default_configENS1_25partition_config_selectorILNS1_17partition_subalgoE1EiNS0_10empty_typeEbEEZZNS1_14partition_implILS5_1ELb0ES3_jN6thrust23THRUST_200600_302600_NS6detail15normal_iteratorINSA_10device_ptrIiEEEEPS6_NSA_18transform_iteratorI7is_evenIiESF_NSA_11use_defaultESK_EENS0_5tupleIJSF_SF_EEENSM_IJSG_SG_EEES6_PlJS6_EEE10hipError_tPvRmT3_T4_T5_T6_T7_T9_mT8_P12ihipStream_tbDpT10_ENKUlT_T0_E_clISt17integral_constantIbLb0EES18_IbLb1EEEEDaS14_S15_EUlS14_E_NS1_11comp_targetILNS1_3genE8ELNS1_11target_archE1030ELNS1_3gpuE2ELNS1_3repE0EEENS1_30default_config_static_selectorELNS0_4arch9wavefront6targetE1EEEvT1_
; %bb.0:
	.section	.rodata,"a",@progbits
	.p2align	6, 0x0
	.amdhsa_kernel _ZN7rocprim17ROCPRIM_400000_NS6detail17trampoline_kernelINS0_14default_configENS1_25partition_config_selectorILNS1_17partition_subalgoE1EiNS0_10empty_typeEbEEZZNS1_14partition_implILS5_1ELb0ES3_jN6thrust23THRUST_200600_302600_NS6detail15normal_iteratorINSA_10device_ptrIiEEEEPS6_NSA_18transform_iteratorI7is_evenIiESF_NSA_11use_defaultESK_EENS0_5tupleIJSF_SF_EEENSM_IJSG_SG_EEES6_PlJS6_EEE10hipError_tPvRmT3_T4_T5_T6_T7_T9_mT8_P12ihipStream_tbDpT10_ENKUlT_T0_E_clISt17integral_constantIbLb0EES18_IbLb1EEEEDaS14_S15_EUlS14_E_NS1_11comp_targetILNS1_3genE8ELNS1_11target_archE1030ELNS1_3gpuE2ELNS1_3repE0EEENS1_30default_config_static_selectorELNS0_4arch9wavefront6targetE1EEEvT1_
		.amdhsa_group_segment_fixed_size 0
		.amdhsa_private_segment_fixed_size 0
		.amdhsa_kernarg_size 144
		.amdhsa_user_sgpr_count 2
		.amdhsa_user_sgpr_dispatch_ptr 0
		.amdhsa_user_sgpr_queue_ptr 0
		.amdhsa_user_sgpr_kernarg_segment_ptr 1
		.amdhsa_user_sgpr_dispatch_id 0
		.amdhsa_user_sgpr_kernarg_preload_length 0
		.amdhsa_user_sgpr_kernarg_preload_offset 0
		.amdhsa_user_sgpr_private_segment_size 0
		.amdhsa_uses_dynamic_stack 0
		.amdhsa_enable_private_segment 0
		.amdhsa_system_sgpr_workgroup_id_x 1
		.amdhsa_system_sgpr_workgroup_id_y 0
		.amdhsa_system_sgpr_workgroup_id_z 0
		.amdhsa_system_sgpr_workgroup_info 0
		.amdhsa_system_vgpr_workitem_id 0
		.amdhsa_next_free_vgpr 1
		.amdhsa_next_free_sgpr 0
		.amdhsa_accum_offset 4
		.amdhsa_reserve_vcc 0
		.amdhsa_float_round_mode_32 0
		.amdhsa_float_round_mode_16_64 0
		.amdhsa_float_denorm_mode_32 3
		.amdhsa_float_denorm_mode_16_64 3
		.amdhsa_dx10_clamp 1
		.amdhsa_ieee_mode 1
		.amdhsa_fp16_overflow 0
		.amdhsa_tg_split 0
		.amdhsa_exception_fp_ieee_invalid_op 0
		.amdhsa_exception_fp_denorm_src 0
		.amdhsa_exception_fp_ieee_div_zero 0
		.amdhsa_exception_fp_ieee_overflow 0
		.amdhsa_exception_fp_ieee_underflow 0
		.amdhsa_exception_fp_ieee_inexact 0
		.amdhsa_exception_int_div_zero 0
	.end_amdhsa_kernel
	.section	.text._ZN7rocprim17ROCPRIM_400000_NS6detail17trampoline_kernelINS0_14default_configENS1_25partition_config_selectorILNS1_17partition_subalgoE1EiNS0_10empty_typeEbEEZZNS1_14partition_implILS5_1ELb0ES3_jN6thrust23THRUST_200600_302600_NS6detail15normal_iteratorINSA_10device_ptrIiEEEEPS6_NSA_18transform_iteratorI7is_evenIiESF_NSA_11use_defaultESK_EENS0_5tupleIJSF_SF_EEENSM_IJSG_SG_EEES6_PlJS6_EEE10hipError_tPvRmT3_T4_T5_T6_T7_T9_mT8_P12ihipStream_tbDpT10_ENKUlT_T0_E_clISt17integral_constantIbLb0EES18_IbLb1EEEEDaS14_S15_EUlS14_E_NS1_11comp_targetILNS1_3genE8ELNS1_11target_archE1030ELNS1_3gpuE2ELNS1_3repE0EEENS1_30default_config_static_selectorELNS0_4arch9wavefront6targetE1EEEvT1_,"axG",@progbits,_ZN7rocprim17ROCPRIM_400000_NS6detail17trampoline_kernelINS0_14default_configENS1_25partition_config_selectorILNS1_17partition_subalgoE1EiNS0_10empty_typeEbEEZZNS1_14partition_implILS5_1ELb0ES3_jN6thrust23THRUST_200600_302600_NS6detail15normal_iteratorINSA_10device_ptrIiEEEEPS6_NSA_18transform_iteratorI7is_evenIiESF_NSA_11use_defaultESK_EENS0_5tupleIJSF_SF_EEENSM_IJSG_SG_EEES6_PlJS6_EEE10hipError_tPvRmT3_T4_T5_T6_T7_T9_mT8_P12ihipStream_tbDpT10_ENKUlT_T0_E_clISt17integral_constantIbLb0EES18_IbLb1EEEEDaS14_S15_EUlS14_E_NS1_11comp_targetILNS1_3genE8ELNS1_11target_archE1030ELNS1_3gpuE2ELNS1_3repE0EEENS1_30default_config_static_selectorELNS0_4arch9wavefront6targetE1EEEvT1_,comdat
.Lfunc_end448:
	.size	_ZN7rocprim17ROCPRIM_400000_NS6detail17trampoline_kernelINS0_14default_configENS1_25partition_config_selectorILNS1_17partition_subalgoE1EiNS0_10empty_typeEbEEZZNS1_14partition_implILS5_1ELb0ES3_jN6thrust23THRUST_200600_302600_NS6detail15normal_iteratorINSA_10device_ptrIiEEEEPS6_NSA_18transform_iteratorI7is_evenIiESF_NSA_11use_defaultESK_EENS0_5tupleIJSF_SF_EEENSM_IJSG_SG_EEES6_PlJS6_EEE10hipError_tPvRmT3_T4_T5_T6_T7_T9_mT8_P12ihipStream_tbDpT10_ENKUlT_T0_E_clISt17integral_constantIbLb0EES18_IbLb1EEEEDaS14_S15_EUlS14_E_NS1_11comp_targetILNS1_3genE8ELNS1_11target_archE1030ELNS1_3gpuE2ELNS1_3repE0EEENS1_30default_config_static_selectorELNS0_4arch9wavefront6targetE1EEEvT1_, .Lfunc_end448-_ZN7rocprim17ROCPRIM_400000_NS6detail17trampoline_kernelINS0_14default_configENS1_25partition_config_selectorILNS1_17partition_subalgoE1EiNS0_10empty_typeEbEEZZNS1_14partition_implILS5_1ELb0ES3_jN6thrust23THRUST_200600_302600_NS6detail15normal_iteratorINSA_10device_ptrIiEEEEPS6_NSA_18transform_iteratorI7is_evenIiESF_NSA_11use_defaultESK_EENS0_5tupleIJSF_SF_EEENSM_IJSG_SG_EEES6_PlJS6_EEE10hipError_tPvRmT3_T4_T5_T6_T7_T9_mT8_P12ihipStream_tbDpT10_ENKUlT_T0_E_clISt17integral_constantIbLb0EES18_IbLb1EEEEDaS14_S15_EUlS14_E_NS1_11comp_targetILNS1_3genE8ELNS1_11target_archE1030ELNS1_3gpuE2ELNS1_3repE0EEENS1_30default_config_static_selectorELNS0_4arch9wavefront6targetE1EEEvT1_
                                        ; -- End function
	.section	.AMDGPU.csdata,"",@progbits
; Kernel info:
; codeLenInByte = 0
; NumSgprs: 6
; NumVgprs: 0
; NumAgprs: 0
; TotalNumVgprs: 0
; ScratchSize: 0
; MemoryBound: 0
; FloatMode: 240
; IeeeMode: 1
; LDSByteSize: 0 bytes/workgroup (compile time only)
; SGPRBlocks: 0
; VGPRBlocks: 0
; NumSGPRsForWavesPerEU: 6
; NumVGPRsForWavesPerEU: 1
; AccumOffset: 4
; Occupancy: 8
; WaveLimiterHint : 0
; COMPUTE_PGM_RSRC2:SCRATCH_EN: 0
; COMPUTE_PGM_RSRC2:USER_SGPR: 2
; COMPUTE_PGM_RSRC2:TRAP_HANDLER: 0
; COMPUTE_PGM_RSRC2:TGID_X_EN: 1
; COMPUTE_PGM_RSRC2:TGID_Y_EN: 0
; COMPUTE_PGM_RSRC2:TGID_Z_EN: 0
; COMPUTE_PGM_RSRC2:TIDIG_COMP_CNT: 0
; COMPUTE_PGM_RSRC3_GFX90A:ACCUM_OFFSET: 0
; COMPUTE_PGM_RSRC3_GFX90A:TG_SPLIT: 0
	.section	.text._ZN7rocprim17ROCPRIM_400000_NS6detail17trampoline_kernelINS0_14default_configENS1_25partition_config_selectorILNS1_17partition_subalgoE1EsNS0_10empty_typeEbEEZZNS1_14partition_implILS5_1ELb0ES3_jN6thrust23THRUST_200600_302600_NS6detail15normal_iteratorINSA_10device_ptrIsEEEEPS6_NSA_18transform_iteratorI7is_evenIsESF_NSA_11use_defaultESK_EENS0_5tupleIJSF_SF_EEENSM_IJSG_SG_EEES6_PlJS6_EEE10hipError_tPvRmT3_T4_T5_T6_T7_T9_mT8_P12ihipStream_tbDpT10_ENKUlT_T0_E_clISt17integral_constantIbLb0EES19_EEDaS14_S15_EUlS14_E_NS1_11comp_targetILNS1_3genE0ELNS1_11target_archE4294967295ELNS1_3gpuE0ELNS1_3repE0EEENS1_30default_config_static_selectorELNS0_4arch9wavefront6targetE1EEEvT1_,"axG",@progbits,_ZN7rocprim17ROCPRIM_400000_NS6detail17trampoline_kernelINS0_14default_configENS1_25partition_config_selectorILNS1_17partition_subalgoE1EsNS0_10empty_typeEbEEZZNS1_14partition_implILS5_1ELb0ES3_jN6thrust23THRUST_200600_302600_NS6detail15normal_iteratorINSA_10device_ptrIsEEEEPS6_NSA_18transform_iteratorI7is_evenIsESF_NSA_11use_defaultESK_EENS0_5tupleIJSF_SF_EEENSM_IJSG_SG_EEES6_PlJS6_EEE10hipError_tPvRmT3_T4_T5_T6_T7_T9_mT8_P12ihipStream_tbDpT10_ENKUlT_T0_E_clISt17integral_constantIbLb0EES19_EEDaS14_S15_EUlS14_E_NS1_11comp_targetILNS1_3genE0ELNS1_11target_archE4294967295ELNS1_3gpuE0ELNS1_3repE0EEENS1_30default_config_static_selectorELNS0_4arch9wavefront6targetE1EEEvT1_,comdat
	.protected	_ZN7rocprim17ROCPRIM_400000_NS6detail17trampoline_kernelINS0_14default_configENS1_25partition_config_selectorILNS1_17partition_subalgoE1EsNS0_10empty_typeEbEEZZNS1_14partition_implILS5_1ELb0ES3_jN6thrust23THRUST_200600_302600_NS6detail15normal_iteratorINSA_10device_ptrIsEEEEPS6_NSA_18transform_iteratorI7is_evenIsESF_NSA_11use_defaultESK_EENS0_5tupleIJSF_SF_EEENSM_IJSG_SG_EEES6_PlJS6_EEE10hipError_tPvRmT3_T4_T5_T6_T7_T9_mT8_P12ihipStream_tbDpT10_ENKUlT_T0_E_clISt17integral_constantIbLb0EES19_EEDaS14_S15_EUlS14_E_NS1_11comp_targetILNS1_3genE0ELNS1_11target_archE4294967295ELNS1_3gpuE0ELNS1_3repE0EEENS1_30default_config_static_selectorELNS0_4arch9wavefront6targetE1EEEvT1_ ; -- Begin function _ZN7rocprim17ROCPRIM_400000_NS6detail17trampoline_kernelINS0_14default_configENS1_25partition_config_selectorILNS1_17partition_subalgoE1EsNS0_10empty_typeEbEEZZNS1_14partition_implILS5_1ELb0ES3_jN6thrust23THRUST_200600_302600_NS6detail15normal_iteratorINSA_10device_ptrIsEEEEPS6_NSA_18transform_iteratorI7is_evenIsESF_NSA_11use_defaultESK_EENS0_5tupleIJSF_SF_EEENSM_IJSG_SG_EEES6_PlJS6_EEE10hipError_tPvRmT3_T4_T5_T6_T7_T9_mT8_P12ihipStream_tbDpT10_ENKUlT_T0_E_clISt17integral_constantIbLb0EES19_EEDaS14_S15_EUlS14_E_NS1_11comp_targetILNS1_3genE0ELNS1_11target_archE4294967295ELNS1_3gpuE0ELNS1_3repE0EEENS1_30default_config_static_selectorELNS0_4arch9wavefront6targetE1EEEvT1_
	.globl	_ZN7rocprim17ROCPRIM_400000_NS6detail17trampoline_kernelINS0_14default_configENS1_25partition_config_selectorILNS1_17partition_subalgoE1EsNS0_10empty_typeEbEEZZNS1_14partition_implILS5_1ELb0ES3_jN6thrust23THRUST_200600_302600_NS6detail15normal_iteratorINSA_10device_ptrIsEEEEPS6_NSA_18transform_iteratorI7is_evenIsESF_NSA_11use_defaultESK_EENS0_5tupleIJSF_SF_EEENSM_IJSG_SG_EEES6_PlJS6_EEE10hipError_tPvRmT3_T4_T5_T6_T7_T9_mT8_P12ihipStream_tbDpT10_ENKUlT_T0_E_clISt17integral_constantIbLb0EES19_EEDaS14_S15_EUlS14_E_NS1_11comp_targetILNS1_3genE0ELNS1_11target_archE4294967295ELNS1_3gpuE0ELNS1_3repE0EEENS1_30default_config_static_selectorELNS0_4arch9wavefront6targetE1EEEvT1_
	.p2align	8
	.type	_ZN7rocprim17ROCPRIM_400000_NS6detail17trampoline_kernelINS0_14default_configENS1_25partition_config_selectorILNS1_17partition_subalgoE1EsNS0_10empty_typeEbEEZZNS1_14partition_implILS5_1ELb0ES3_jN6thrust23THRUST_200600_302600_NS6detail15normal_iteratorINSA_10device_ptrIsEEEEPS6_NSA_18transform_iteratorI7is_evenIsESF_NSA_11use_defaultESK_EENS0_5tupleIJSF_SF_EEENSM_IJSG_SG_EEES6_PlJS6_EEE10hipError_tPvRmT3_T4_T5_T6_T7_T9_mT8_P12ihipStream_tbDpT10_ENKUlT_T0_E_clISt17integral_constantIbLb0EES19_EEDaS14_S15_EUlS14_E_NS1_11comp_targetILNS1_3genE0ELNS1_11target_archE4294967295ELNS1_3gpuE0ELNS1_3repE0EEENS1_30default_config_static_selectorELNS0_4arch9wavefront6targetE1EEEvT1_,@function
_ZN7rocprim17ROCPRIM_400000_NS6detail17trampoline_kernelINS0_14default_configENS1_25partition_config_selectorILNS1_17partition_subalgoE1EsNS0_10empty_typeEbEEZZNS1_14partition_implILS5_1ELb0ES3_jN6thrust23THRUST_200600_302600_NS6detail15normal_iteratorINSA_10device_ptrIsEEEEPS6_NSA_18transform_iteratorI7is_evenIsESF_NSA_11use_defaultESK_EENS0_5tupleIJSF_SF_EEENSM_IJSG_SG_EEES6_PlJS6_EEE10hipError_tPvRmT3_T4_T5_T6_T7_T9_mT8_P12ihipStream_tbDpT10_ENKUlT_T0_E_clISt17integral_constantIbLb0EES19_EEDaS14_S15_EUlS14_E_NS1_11comp_targetILNS1_3genE0ELNS1_11target_archE4294967295ELNS1_3gpuE0ELNS1_3repE0EEENS1_30default_config_static_selectorELNS0_4arch9wavefront6targetE1EEEvT1_: ; @_ZN7rocprim17ROCPRIM_400000_NS6detail17trampoline_kernelINS0_14default_configENS1_25partition_config_selectorILNS1_17partition_subalgoE1EsNS0_10empty_typeEbEEZZNS1_14partition_implILS5_1ELb0ES3_jN6thrust23THRUST_200600_302600_NS6detail15normal_iteratorINSA_10device_ptrIsEEEEPS6_NSA_18transform_iteratorI7is_evenIsESF_NSA_11use_defaultESK_EENS0_5tupleIJSF_SF_EEENSM_IJSG_SG_EEES6_PlJS6_EEE10hipError_tPvRmT3_T4_T5_T6_T7_T9_mT8_P12ihipStream_tbDpT10_ENKUlT_T0_E_clISt17integral_constantIbLb0EES19_EEDaS14_S15_EUlS14_E_NS1_11comp_targetILNS1_3genE0ELNS1_11target_archE4294967295ELNS1_3gpuE0ELNS1_3repE0EEENS1_30default_config_static_selectorELNS0_4arch9wavefront6targetE1EEEvT1_
; %bb.0:
	.section	.rodata,"a",@progbits
	.p2align	6, 0x0
	.amdhsa_kernel _ZN7rocprim17ROCPRIM_400000_NS6detail17trampoline_kernelINS0_14default_configENS1_25partition_config_selectorILNS1_17partition_subalgoE1EsNS0_10empty_typeEbEEZZNS1_14partition_implILS5_1ELb0ES3_jN6thrust23THRUST_200600_302600_NS6detail15normal_iteratorINSA_10device_ptrIsEEEEPS6_NSA_18transform_iteratorI7is_evenIsESF_NSA_11use_defaultESK_EENS0_5tupleIJSF_SF_EEENSM_IJSG_SG_EEES6_PlJS6_EEE10hipError_tPvRmT3_T4_T5_T6_T7_T9_mT8_P12ihipStream_tbDpT10_ENKUlT_T0_E_clISt17integral_constantIbLb0EES19_EEDaS14_S15_EUlS14_E_NS1_11comp_targetILNS1_3genE0ELNS1_11target_archE4294967295ELNS1_3gpuE0ELNS1_3repE0EEENS1_30default_config_static_selectorELNS0_4arch9wavefront6targetE1EEEvT1_
		.amdhsa_group_segment_fixed_size 0
		.amdhsa_private_segment_fixed_size 0
		.amdhsa_kernarg_size 128
		.amdhsa_user_sgpr_count 2
		.amdhsa_user_sgpr_dispatch_ptr 0
		.amdhsa_user_sgpr_queue_ptr 0
		.amdhsa_user_sgpr_kernarg_segment_ptr 1
		.amdhsa_user_sgpr_dispatch_id 0
		.amdhsa_user_sgpr_kernarg_preload_length 0
		.amdhsa_user_sgpr_kernarg_preload_offset 0
		.amdhsa_user_sgpr_private_segment_size 0
		.amdhsa_uses_dynamic_stack 0
		.amdhsa_enable_private_segment 0
		.amdhsa_system_sgpr_workgroup_id_x 1
		.amdhsa_system_sgpr_workgroup_id_y 0
		.amdhsa_system_sgpr_workgroup_id_z 0
		.amdhsa_system_sgpr_workgroup_info 0
		.amdhsa_system_vgpr_workitem_id 0
		.amdhsa_next_free_vgpr 1
		.amdhsa_next_free_sgpr 0
		.amdhsa_accum_offset 4
		.amdhsa_reserve_vcc 0
		.amdhsa_float_round_mode_32 0
		.amdhsa_float_round_mode_16_64 0
		.amdhsa_float_denorm_mode_32 3
		.amdhsa_float_denorm_mode_16_64 3
		.amdhsa_dx10_clamp 1
		.amdhsa_ieee_mode 1
		.amdhsa_fp16_overflow 0
		.amdhsa_tg_split 0
		.amdhsa_exception_fp_ieee_invalid_op 0
		.amdhsa_exception_fp_denorm_src 0
		.amdhsa_exception_fp_ieee_div_zero 0
		.amdhsa_exception_fp_ieee_overflow 0
		.amdhsa_exception_fp_ieee_underflow 0
		.amdhsa_exception_fp_ieee_inexact 0
		.amdhsa_exception_int_div_zero 0
	.end_amdhsa_kernel
	.section	.text._ZN7rocprim17ROCPRIM_400000_NS6detail17trampoline_kernelINS0_14default_configENS1_25partition_config_selectorILNS1_17partition_subalgoE1EsNS0_10empty_typeEbEEZZNS1_14partition_implILS5_1ELb0ES3_jN6thrust23THRUST_200600_302600_NS6detail15normal_iteratorINSA_10device_ptrIsEEEEPS6_NSA_18transform_iteratorI7is_evenIsESF_NSA_11use_defaultESK_EENS0_5tupleIJSF_SF_EEENSM_IJSG_SG_EEES6_PlJS6_EEE10hipError_tPvRmT3_T4_T5_T6_T7_T9_mT8_P12ihipStream_tbDpT10_ENKUlT_T0_E_clISt17integral_constantIbLb0EES19_EEDaS14_S15_EUlS14_E_NS1_11comp_targetILNS1_3genE0ELNS1_11target_archE4294967295ELNS1_3gpuE0ELNS1_3repE0EEENS1_30default_config_static_selectorELNS0_4arch9wavefront6targetE1EEEvT1_,"axG",@progbits,_ZN7rocprim17ROCPRIM_400000_NS6detail17trampoline_kernelINS0_14default_configENS1_25partition_config_selectorILNS1_17partition_subalgoE1EsNS0_10empty_typeEbEEZZNS1_14partition_implILS5_1ELb0ES3_jN6thrust23THRUST_200600_302600_NS6detail15normal_iteratorINSA_10device_ptrIsEEEEPS6_NSA_18transform_iteratorI7is_evenIsESF_NSA_11use_defaultESK_EENS0_5tupleIJSF_SF_EEENSM_IJSG_SG_EEES6_PlJS6_EEE10hipError_tPvRmT3_T4_T5_T6_T7_T9_mT8_P12ihipStream_tbDpT10_ENKUlT_T0_E_clISt17integral_constantIbLb0EES19_EEDaS14_S15_EUlS14_E_NS1_11comp_targetILNS1_3genE0ELNS1_11target_archE4294967295ELNS1_3gpuE0ELNS1_3repE0EEENS1_30default_config_static_selectorELNS0_4arch9wavefront6targetE1EEEvT1_,comdat
.Lfunc_end449:
	.size	_ZN7rocprim17ROCPRIM_400000_NS6detail17trampoline_kernelINS0_14default_configENS1_25partition_config_selectorILNS1_17partition_subalgoE1EsNS0_10empty_typeEbEEZZNS1_14partition_implILS5_1ELb0ES3_jN6thrust23THRUST_200600_302600_NS6detail15normal_iteratorINSA_10device_ptrIsEEEEPS6_NSA_18transform_iteratorI7is_evenIsESF_NSA_11use_defaultESK_EENS0_5tupleIJSF_SF_EEENSM_IJSG_SG_EEES6_PlJS6_EEE10hipError_tPvRmT3_T4_T5_T6_T7_T9_mT8_P12ihipStream_tbDpT10_ENKUlT_T0_E_clISt17integral_constantIbLb0EES19_EEDaS14_S15_EUlS14_E_NS1_11comp_targetILNS1_3genE0ELNS1_11target_archE4294967295ELNS1_3gpuE0ELNS1_3repE0EEENS1_30default_config_static_selectorELNS0_4arch9wavefront6targetE1EEEvT1_, .Lfunc_end449-_ZN7rocprim17ROCPRIM_400000_NS6detail17trampoline_kernelINS0_14default_configENS1_25partition_config_selectorILNS1_17partition_subalgoE1EsNS0_10empty_typeEbEEZZNS1_14partition_implILS5_1ELb0ES3_jN6thrust23THRUST_200600_302600_NS6detail15normal_iteratorINSA_10device_ptrIsEEEEPS6_NSA_18transform_iteratorI7is_evenIsESF_NSA_11use_defaultESK_EENS0_5tupleIJSF_SF_EEENSM_IJSG_SG_EEES6_PlJS6_EEE10hipError_tPvRmT3_T4_T5_T6_T7_T9_mT8_P12ihipStream_tbDpT10_ENKUlT_T0_E_clISt17integral_constantIbLb0EES19_EEDaS14_S15_EUlS14_E_NS1_11comp_targetILNS1_3genE0ELNS1_11target_archE4294967295ELNS1_3gpuE0ELNS1_3repE0EEENS1_30default_config_static_selectorELNS0_4arch9wavefront6targetE1EEEvT1_
                                        ; -- End function
	.section	.AMDGPU.csdata,"",@progbits
; Kernel info:
; codeLenInByte = 0
; NumSgprs: 6
; NumVgprs: 0
; NumAgprs: 0
; TotalNumVgprs: 0
; ScratchSize: 0
; MemoryBound: 0
; FloatMode: 240
; IeeeMode: 1
; LDSByteSize: 0 bytes/workgroup (compile time only)
; SGPRBlocks: 0
; VGPRBlocks: 0
; NumSGPRsForWavesPerEU: 6
; NumVGPRsForWavesPerEU: 1
; AccumOffset: 4
; Occupancy: 8
; WaveLimiterHint : 0
; COMPUTE_PGM_RSRC2:SCRATCH_EN: 0
; COMPUTE_PGM_RSRC2:USER_SGPR: 2
; COMPUTE_PGM_RSRC2:TRAP_HANDLER: 0
; COMPUTE_PGM_RSRC2:TGID_X_EN: 1
; COMPUTE_PGM_RSRC2:TGID_Y_EN: 0
; COMPUTE_PGM_RSRC2:TGID_Z_EN: 0
; COMPUTE_PGM_RSRC2:TIDIG_COMP_CNT: 0
; COMPUTE_PGM_RSRC3_GFX90A:ACCUM_OFFSET: 0
; COMPUTE_PGM_RSRC3_GFX90A:TG_SPLIT: 0
	.section	.text._ZN7rocprim17ROCPRIM_400000_NS6detail17trampoline_kernelINS0_14default_configENS1_25partition_config_selectorILNS1_17partition_subalgoE1EsNS0_10empty_typeEbEEZZNS1_14partition_implILS5_1ELb0ES3_jN6thrust23THRUST_200600_302600_NS6detail15normal_iteratorINSA_10device_ptrIsEEEEPS6_NSA_18transform_iteratorI7is_evenIsESF_NSA_11use_defaultESK_EENS0_5tupleIJSF_SF_EEENSM_IJSG_SG_EEES6_PlJS6_EEE10hipError_tPvRmT3_T4_T5_T6_T7_T9_mT8_P12ihipStream_tbDpT10_ENKUlT_T0_E_clISt17integral_constantIbLb0EES19_EEDaS14_S15_EUlS14_E_NS1_11comp_targetILNS1_3genE5ELNS1_11target_archE942ELNS1_3gpuE9ELNS1_3repE0EEENS1_30default_config_static_selectorELNS0_4arch9wavefront6targetE1EEEvT1_,"axG",@progbits,_ZN7rocprim17ROCPRIM_400000_NS6detail17trampoline_kernelINS0_14default_configENS1_25partition_config_selectorILNS1_17partition_subalgoE1EsNS0_10empty_typeEbEEZZNS1_14partition_implILS5_1ELb0ES3_jN6thrust23THRUST_200600_302600_NS6detail15normal_iteratorINSA_10device_ptrIsEEEEPS6_NSA_18transform_iteratorI7is_evenIsESF_NSA_11use_defaultESK_EENS0_5tupleIJSF_SF_EEENSM_IJSG_SG_EEES6_PlJS6_EEE10hipError_tPvRmT3_T4_T5_T6_T7_T9_mT8_P12ihipStream_tbDpT10_ENKUlT_T0_E_clISt17integral_constantIbLb0EES19_EEDaS14_S15_EUlS14_E_NS1_11comp_targetILNS1_3genE5ELNS1_11target_archE942ELNS1_3gpuE9ELNS1_3repE0EEENS1_30default_config_static_selectorELNS0_4arch9wavefront6targetE1EEEvT1_,comdat
	.protected	_ZN7rocprim17ROCPRIM_400000_NS6detail17trampoline_kernelINS0_14default_configENS1_25partition_config_selectorILNS1_17partition_subalgoE1EsNS0_10empty_typeEbEEZZNS1_14partition_implILS5_1ELb0ES3_jN6thrust23THRUST_200600_302600_NS6detail15normal_iteratorINSA_10device_ptrIsEEEEPS6_NSA_18transform_iteratorI7is_evenIsESF_NSA_11use_defaultESK_EENS0_5tupleIJSF_SF_EEENSM_IJSG_SG_EEES6_PlJS6_EEE10hipError_tPvRmT3_T4_T5_T6_T7_T9_mT8_P12ihipStream_tbDpT10_ENKUlT_T0_E_clISt17integral_constantIbLb0EES19_EEDaS14_S15_EUlS14_E_NS1_11comp_targetILNS1_3genE5ELNS1_11target_archE942ELNS1_3gpuE9ELNS1_3repE0EEENS1_30default_config_static_selectorELNS0_4arch9wavefront6targetE1EEEvT1_ ; -- Begin function _ZN7rocprim17ROCPRIM_400000_NS6detail17trampoline_kernelINS0_14default_configENS1_25partition_config_selectorILNS1_17partition_subalgoE1EsNS0_10empty_typeEbEEZZNS1_14partition_implILS5_1ELb0ES3_jN6thrust23THRUST_200600_302600_NS6detail15normal_iteratorINSA_10device_ptrIsEEEEPS6_NSA_18transform_iteratorI7is_evenIsESF_NSA_11use_defaultESK_EENS0_5tupleIJSF_SF_EEENSM_IJSG_SG_EEES6_PlJS6_EEE10hipError_tPvRmT3_T4_T5_T6_T7_T9_mT8_P12ihipStream_tbDpT10_ENKUlT_T0_E_clISt17integral_constantIbLb0EES19_EEDaS14_S15_EUlS14_E_NS1_11comp_targetILNS1_3genE5ELNS1_11target_archE942ELNS1_3gpuE9ELNS1_3repE0EEENS1_30default_config_static_selectorELNS0_4arch9wavefront6targetE1EEEvT1_
	.globl	_ZN7rocprim17ROCPRIM_400000_NS6detail17trampoline_kernelINS0_14default_configENS1_25partition_config_selectorILNS1_17partition_subalgoE1EsNS0_10empty_typeEbEEZZNS1_14partition_implILS5_1ELb0ES3_jN6thrust23THRUST_200600_302600_NS6detail15normal_iteratorINSA_10device_ptrIsEEEEPS6_NSA_18transform_iteratorI7is_evenIsESF_NSA_11use_defaultESK_EENS0_5tupleIJSF_SF_EEENSM_IJSG_SG_EEES6_PlJS6_EEE10hipError_tPvRmT3_T4_T5_T6_T7_T9_mT8_P12ihipStream_tbDpT10_ENKUlT_T0_E_clISt17integral_constantIbLb0EES19_EEDaS14_S15_EUlS14_E_NS1_11comp_targetILNS1_3genE5ELNS1_11target_archE942ELNS1_3gpuE9ELNS1_3repE0EEENS1_30default_config_static_selectorELNS0_4arch9wavefront6targetE1EEEvT1_
	.p2align	8
	.type	_ZN7rocprim17ROCPRIM_400000_NS6detail17trampoline_kernelINS0_14default_configENS1_25partition_config_selectorILNS1_17partition_subalgoE1EsNS0_10empty_typeEbEEZZNS1_14partition_implILS5_1ELb0ES3_jN6thrust23THRUST_200600_302600_NS6detail15normal_iteratorINSA_10device_ptrIsEEEEPS6_NSA_18transform_iteratorI7is_evenIsESF_NSA_11use_defaultESK_EENS0_5tupleIJSF_SF_EEENSM_IJSG_SG_EEES6_PlJS6_EEE10hipError_tPvRmT3_T4_T5_T6_T7_T9_mT8_P12ihipStream_tbDpT10_ENKUlT_T0_E_clISt17integral_constantIbLb0EES19_EEDaS14_S15_EUlS14_E_NS1_11comp_targetILNS1_3genE5ELNS1_11target_archE942ELNS1_3gpuE9ELNS1_3repE0EEENS1_30default_config_static_selectorELNS0_4arch9wavefront6targetE1EEEvT1_,@function
_ZN7rocprim17ROCPRIM_400000_NS6detail17trampoline_kernelINS0_14default_configENS1_25partition_config_selectorILNS1_17partition_subalgoE1EsNS0_10empty_typeEbEEZZNS1_14partition_implILS5_1ELb0ES3_jN6thrust23THRUST_200600_302600_NS6detail15normal_iteratorINSA_10device_ptrIsEEEEPS6_NSA_18transform_iteratorI7is_evenIsESF_NSA_11use_defaultESK_EENS0_5tupleIJSF_SF_EEENSM_IJSG_SG_EEES6_PlJS6_EEE10hipError_tPvRmT3_T4_T5_T6_T7_T9_mT8_P12ihipStream_tbDpT10_ENKUlT_T0_E_clISt17integral_constantIbLb0EES19_EEDaS14_S15_EUlS14_E_NS1_11comp_targetILNS1_3genE5ELNS1_11target_archE942ELNS1_3gpuE9ELNS1_3repE0EEENS1_30default_config_static_selectorELNS0_4arch9wavefront6targetE1EEEvT1_: ; @_ZN7rocprim17ROCPRIM_400000_NS6detail17trampoline_kernelINS0_14default_configENS1_25partition_config_selectorILNS1_17partition_subalgoE1EsNS0_10empty_typeEbEEZZNS1_14partition_implILS5_1ELb0ES3_jN6thrust23THRUST_200600_302600_NS6detail15normal_iteratorINSA_10device_ptrIsEEEEPS6_NSA_18transform_iteratorI7is_evenIsESF_NSA_11use_defaultESK_EENS0_5tupleIJSF_SF_EEENSM_IJSG_SG_EEES6_PlJS6_EEE10hipError_tPvRmT3_T4_T5_T6_T7_T9_mT8_P12ihipStream_tbDpT10_ENKUlT_T0_E_clISt17integral_constantIbLb0EES19_EEDaS14_S15_EUlS14_E_NS1_11comp_targetILNS1_3genE5ELNS1_11target_archE942ELNS1_3gpuE9ELNS1_3repE0EEENS1_30default_config_static_selectorELNS0_4arch9wavefront6targetE1EEEvT1_
; %bb.0:
	s_load_dwordx2 s[4:5], s[0:1], 0x60
	s_load_dwordx4 s[24:27], s[0:1], 0x8
	s_load_dwordx2 s[6:7], s[0:1], 0x20
	s_load_dwordx4 s[20:23], s[0:1], 0x50
	s_load_dword s3, s[0:1], 0x78
	s_waitcnt lgkmcnt(0)
	v_mov_b32_e32 v3, s5
	s_lshl_b64 s[8:9], s[26:27], 1
	s_add_u32 s12, s24, s8
	s_addc_u32 s13, s25, s9
	s_add_i32 s14, s3, -1
	s_mulk_i32 s3, 0x3800
	s_add_i32 s5, s3, s26
	s_sub_i32 s33, s4, s5
	s_addk_i32 s33, 0x3800
	v_mov_b32_e32 v2, s4
	s_add_u32 s4, s26, s3
	s_addc_u32 s5, s27, 0
	s_cmp_eq_u32 s2, s14
	s_load_dwordx2 s[28:29], s[22:23], 0x0
	s_cselect_b64 s[22:23], -1, 0
	s_cmp_lg_u32 s2, s14
	s_mul_i32 s10, s2, 0x3800
	s_mov_b32 s11, 0
	v_cmp_lt_u64_e32 vcc, s[4:5], v[2:3]
	s_cselect_b64 s[4:5], -1, 0
	s_or_b64 s[24:25], s[4:5], vcc
	s_lshl_b64 s[30:31], s[10:11], 1
	s_add_u32 s10, s12, s30
	s_addc_u32 s11, s13, s31
	s_mov_b64 s[4:5], -1
	s_and_b64 vcc, exec, s[24:25]
	v_lshlrev_b32_e32 v14, 1, v0
	s_cbranch_vccz .LBB450_2
; %bb.1:
	v_mov_b32_e32 v15, 0
	v_lshl_add_u64 v[2:3], s[10:11], 0, v[14:15]
	v_add_co_u32_e32 v4, vcc, 0x1000, v2
	s_mov_b64 s[4:5], 0
	s_nop 0
	v_addc_co_u32_e32 v5, vcc, 0, v3, vcc
	flat_load_ushort v1, v[2:3]
	flat_load_ushort v8, v[2:3] offset:1024
	flat_load_ushort v9, v[2:3] offset:2048
	;; [unrolled: 1-line block ×3, first 2 shown]
	flat_load_ushort v11, v[4:5]
	flat_load_ushort v12, v[4:5] offset:1024
	flat_load_ushort v13, v[4:5] offset:2048
	;; [unrolled: 1-line block ×3, first 2 shown]
	v_add_co_u32_e32 v4, vcc, 0x2000, v2
	s_nop 1
	v_addc_co_u32_e32 v5, vcc, 0, v3, vcc
	v_add_co_u32_e32 v6, vcc, 0x3000, v2
	s_nop 1
	v_addc_co_u32_e32 v7, vcc, 0, v3, vcc
	flat_load_ushort v16, v[4:5]
	flat_load_ushort v17, v[4:5] offset:1024
	flat_load_ushort v18, v[4:5] offset:2048
	;; [unrolled: 1-line block ×3, first 2 shown]
	flat_load_ushort v20, v[6:7]
	flat_load_ushort v21, v[6:7] offset:1024
	flat_load_ushort v22, v[6:7] offset:2048
	;; [unrolled: 1-line block ×3, first 2 shown]
	v_add_co_u32_e32 v4, vcc, 0x4000, v2
	s_nop 1
	v_addc_co_u32_e32 v5, vcc, 0, v3, vcc
	v_add_co_u32_e32 v6, vcc, 0x5000, v2
	s_nop 1
	v_addc_co_u32_e32 v7, vcc, 0, v3, vcc
	v_add_co_u32_e32 v2, vcc, 0x6000, v2
	flat_load_ushort v24, v[4:5]
	flat_load_ushort v25, v[4:5] offset:1024
	flat_load_ushort v26, v[4:5] offset:2048
	;; [unrolled: 1-line block ×3, first 2 shown]
	flat_load_ushort v28, v[6:7]
	flat_load_ushort v29, v[6:7] offset:1024
	flat_load_ushort v30, v[6:7] offset:2048
	;; [unrolled: 1-line block ×3, first 2 shown]
	v_addc_co_u32_e32 v3, vcc, 0, v3, vcc
	flat_load_ushort v4, v[2:3]
	flat_load_ushort v5, v[2:3] offset:1024
	flat_load_ushort v6, v[2:3] offset:2048
	;; [unrolled: 1-line block ×3, first 2 shown]
	s_waitcnt vmcnt(0) lgkmcnt(0)
	ds_write_b16 v14, v1
	ds_write_b16 v14, v8 offset:1024
	ds_write_b16 v14, v9 offset:2048
	;; [unrolled: 1-line block ×27, first 2 shown]
	s_waitcnt lgkmcnt(0)
	s_barrier
.LBB450_2:
	s_andn2_b64 vcc, exec, s[4:5]
	v_cmp_gt_u32_e64 s[4:5], s33, v0
	s_cbranch_vccnz .LBB450_60
; %bb.3:
                                        ; implicit-def: $vgpr1
	s_and_saveexec_b64 s[12:13], s[4:5]
	s_cbranch_execz .LBB450_5
; %bb.4:
	v_mov_b32_e32 v15, 0
	v_lshl_add_u64 v[2:3], s[10:11], 0, v[14:15]
	flat_load_ushort v1, v[2:3]
.LBB450_5:
	s_or_b64 exec, exec, s[12:13]
	v_or_b32_e32 v2, 0x200, v0
	v_cmp_gt_u32_e32 vcc, s33, v2
                                        ; implicit-def: $vgpr2
	s_and_saveexec_b64 s[4:5], vcc
	s_cbranch_execz .LBB450_7
; %bb.6:
	v_mov_b32_e32 v15, 0
	v_lshl_add_u64 v[2:3], s[10:11], 0, v[14:15]
	flat_load_ushort v2, v[2:3] offset:1024
.LBB450_7:
	s_or_b64 exec, exec, s[4:5]
	v_or_b32_e32 v3, 0x400, v0
	v_cmp_gt_u32_e32 vcc, s33, v3
                                        ; implicit-def: $vgpr3
	s_and_saveexec_b64 s[4:5], vcc
	s_cbranch_execz .LBB450_9
; %bb.8:
	v_mov_b32_e32 v15, 0
	v_lshl_add_u64 v[4:5], s[10:11], 0, v[14:15]
	flat_load_ushort v3, v[4:5] offset:2048
.LBB450_9:
	s_or_b64 exec, exec, s[4:5]
	v_or_b32_e32 v4, 0x600, v0
	v_cmp_gt_u32_e32 vcc, s33, v4
                                        ; implicit-def: $vgpr4
	s_and_saveexec_b64 s[4:5], vcc
	s_cbranch_execz .LBB450_11
; %bb.10:
	v_mov_b32_e32 v15, 0
	v_lshl_add_u64 v[4:5], s[10:11], 0, v[14:15]
	flat_load_ushort v4, v[4:5] offset:3072
.LBB450_11:
	s_or_b64 exec, exec, s[4:5]
	v_or_b32_e32 v6, 0x800, v0
	v_cmp_gt_u32_e32 vcc, s33, v6
                                        ; implicit-def: $vgpr5
	s_and_saveexec_b64 s[4:5], vcc
	s_cbranch_execz .LBB450_13
; %bb.12:
	v_lshlrev_b32_e32 v6, 1, v6
	v_mov_b32_e32 v7, 0
	v_lshl_add_u64 v[6:7], s[10:11], 0, v[6:7]
	flat_load_ushort v5, v[6:7]
.LBB450_13:
	s_or_b64 exec, exec, s[4:5]
	v_or_b32_e32 v7, 0xa00, v0
	v_cmp_gt_u32_e32 vcc, s33, v7
                                        ; implicit-def: $vgpr6
	s_and_saveexec_b64 s[4:5], vcc
	s_cbranch_execz .LBB450_15
; %bb.14:
	v_lshlrev_b32_e32 v6, 1, v7
	v_mov_b32_e32 v7, 0
	v_lshl_add_u64 v[6:7], s[10:11], 0, v[6:7]
	flat_load_ushort v6, v[6:7]
.LBB450_15:
	s_or_b64 exec, exec, s[4:5]
	v_or_b32_e32 v8, 0xc00, v0
	v_cmp_gt_u32_e32 vcc, s33, v8
                                        ; implicit-def: $vgpr7
	s_and_saveexec_b64 s[4:5], vcc
	s_cbranch_execz .LBB450_17
; %bb.16:
	v_lshlrev_b32_e32 v8, 1, v8
	v_mov_b32_e32 v9, 0
	v_lshl_add_u64 v[8:9], s[10:11], 0, v[8:9]
	flat_load_ushort v7, v[8:9]
.LBB450_17:
	s_or_b64 exec, exec, s[4:5]
	v_or_b32_e32 v9, 0xe00, v0
	v_cmp_gt_u32_e32 vcc, s33, v9
                                        ; implicit-def: $vgpr8
	s_and_saveexec_b64 s[4:5], vcc
	s_cbranch_execz .LBB450_19
; %bb.18:
	v_lshlrev_b32_e32 v8, 1, v9
	v_mov_b32_e32 v9, 0
	v_lshl_add_u64 v[8:9], s[10:11], 0, v[8:9]
	flat_load_ushort v8, v[8:9]
.LBB450_19:
	s_or_b64 exec, exec, s[4:5]
	v_or_b32_e32 v10, 0x1000, v0
	v_cmp_gt_u32_e32 vcc, s33, v10
                                        ; implicit-def: $vgpr9
	s_and_saveexec_b64 s[4:5], vcc
	s_cbranch_execz .LBB450_21
; %bb.20:
	v_lshlrev_b32_e32 v10, 1, v10
	v_mov_b32_e32 v11, 0
	v_lshl_add_u64 v[10:11], s[10:11], 0, v[10:11]
	flat_load_ushort v9, v[10:11]
.LBB450_21:
	s_or_b64 exec, exec, s[4:5]
	v_or_b32_e32 v11, 0x1200, v0
	v_cmp_gt_u32_e32 vcc, s33, v11
                                        ; implicit-def: $vgpr10
	s_and_saveexec_b64 s[4:5], vcc
	s_cbranch_execz .LBB450_23
; %bb.22:
	v_lshlrev_b32_e32 v10, 1, v11
	v_mov_b32_e32 v11, 0
	v_lshl_add_u64 v[10:11], s[10:11], 0, v[10:11]
	flat_load_ushort v10, v[10:11]
.LBB450_23:
	s_or_b64 exec, exec, s[4:5]
	v_or_b32_e32 v12, 0x1400, v0
	v_cmp_gt_u32_e32 vcc, s33, v12
                                        ; implicit-def: $vgpr11
	s_and_saveexec_b64 s[4:5], vcc
	s_cbranch_execz .LBB450_25
; %bb.24:
	v_lshlrev_b32_e32 v12, 1, v12
	v_mov_b32_e32 v13, 0
	v_lshl_add_u64 v[12:13], s[10:11], 0, v[12:13]
	flat_load_ushort v11, v[12:13]
.LBB450_25:
	s_or_b64 exec, exec, s[4:5]
	v_or_b32_e32 v13, 0x1600, v0
	v_cmp_gt_u32_e32 vcc, s33, v13
                                        ; implicit-def: $vgpr12
	s_and_saveexec_b64 s[4:5], vcc
	s_cbranch_execz .LBB450_27
; %bb.26:
	v_lshlrev_b32_e32 v12, 1, v13
	v_mov_b32_e32 v13, 0
	v_lshl_add_u64 v[12:13], s[10:11], 0, v[12:13]
	flat_load_ushort v12, v[12:13]
.LBB450_27:
	s_or_b64 exec, exec, s[4:5]
	v_or_b32_e32 v15, 0x1800, v0
	v_cmp_gt_u32_e32 vcc, s33, v15
                                        ; implicit-def: $vgpr13
	s_and_saveexec_b64 s[4:5], vcc
	s_cbranch_execz .LBB450_29
; %bb.28:
	v_lshlrev_b32_e32 v16, 1, v15
	v_mov_b32_e32 v17, 0
	v_lshl_add_u64 v[16:17], s[10:11], 0, v[16:17]
	flat_load_ushort v13, v[16:17]
.LBB450_29:
	s_or_b64 exec, exec, s[4:5]
	v_or_b32_e32 v16, 0x1a00, v0
	v_cmp_gt_u32_e32 vcc, s33, v16
                                        ; implicit-def: $vgpr15
	s_and_saveexec_b64 s[4:5], vcc
	s_cbranch_execz .LBB450_31
; %bb.30:
	v_lshlrev_b32_e32 v16, 1, v16
	v_mov_b32_e32 v17, 0
	v_lshl_add_u64 v[16:17], s[10:11], 0, v[16:17]
	flat_load_ushort v15, v[16:17]
.LBB450_31:
	s_or_b64 exec, exec, s[4:5]
	v_or_b32_e32 v17, 0x1c00, v0
	v_cmp_gt_u32_e32 vcc, s33, v17
                                        ; implicit-def: $vgpr16
	s_and_saveexec_b64 s[4:5], vcc
	s_cbranch_execz .LBB450_33
; %bb.32:
	v_lshlrev_b32_e32 v16, 1, v17
	v_mov_b32_e32 v17, 0
	v_lshl_add_u64 v[16:17], s[10:11], 0, v[16:17]
	flat_load_ushort v16, v[16:17]
.LBB450_33:
	s_or_b64 exec, exec, s[4:5]
	v_or_b32_e32 v18, 0x1e00, v0
	v_cmp_gt_u32_e32 vcc, s33, v18
                                        ; implicit-def: $vgpr17
	s_and_saveexec_b64 s[4:5], vcc
	s_cbranch_execz .LBB450_35
; %bb.34:
	v_lshlrev_b32_e32 v18, 1, v18
	v_mov_b32_e32 v19, 0
	v_lshl_add_u64 v[18:19], s[10:11], 0, v[18:19]
	flat_load_ushort v17, v[18:19]
.LBB450_35:
	s_or_b64 exec, exec, s[4:5]
	v_or_b32_e32 v19, 0x2000, v0
	v_cmp_gt_u32_e32 vcc, s33, v19
                                        ; implicit-def: $vgpr18
	s_and_saveexec_b64 s[4:5], vcc
	s_cbranch_execz .LBB450_37
; %bb.36:
	v_lshlrev_b32_e32 v18, 1, v19
	v_mov_b32_e32 v19, 0
	v_lshl_add_u64 v[18:19], s[10:11], 0, v[18:19]
	flat_load_ushort v18, v[18:19]
.LBB450_37:
	s_or_b64 exec, exec, s[4:5]
	v_or_b32_e32 v20, 0x2200, v0
	v_cmp_gt_u32_e32 vcc, s33, v20
                                        ; implicit-def: $vgpr19
	s_and_saveexec_b64 s[4:5], vcc
	s_cbranch_execz .LBB450_39
; %bb.38:
	v_lshlrev_b32_e32 v20, 1, v20
	v_mov_b32_e32 v21, 0
	v_lshl_add_u64 v[20:21], s[10:11], 0, v[20:21]
	flat_load_ushort v19, v[20:21]
.LBB450_39:
	s_or_b64 exec, exec, s[4:5]
	v_or_b32_e32 v21, 0x2400, v0
	v_cmp_gt_u32_e32 vcc, s33, v21
                                        ; implicit-def: $vgpr20
	s_and_saveexec_b64 s[4:5], vcc
	s_cbranch_execz .LBB450_41
; %bb.40:
	v_lshlrev_b32_e32 v20, 1, v21
	v_mov_b32_e32 v21, 0
	v_lshl_add_u64 v[20:21], s[10:11], 0, v[20:21]
	flat_load_ushort v20, v[20:21]
.LBB450_41:
	s_or_b64 exec, exec, s[4:5]
	v_or_b32_e32 v22, 0x2600, v0
	v_cmp_gt_u32_e32 vcc, s33, v22
                                        ; implicit-def: $vgpr21
	s_and_saveexec_b64 s[4:5], vcc
	s_cbranch_execz .LBB450_43
; %bb.42:
	v_lshlrev_b32_e32 v22, 1, v22
	v_mov_b32_e32 v23, 0
	v_lshl_add_u64 v[22:23], s[10:11], 0, v[22:23]
	flat_load_ushort v21, v[22:23]
.LBB450_43:
	s_or_b64 exec, exec, s[4:5]
	v_or_b32_e32 v23, 0x2800, v0
	v_cmp_gt_u32_e32 vcc, s33, v23
                                        ; implicit-def: $vgpr22
	s_and_saveexec_b64 s[4:5], vcc
	s_cbranch_execz .LBB450_45
; %bb.44:
	v_lshlrev_b32_e32 v22, 1, v23
	v_mov_b32_e32 v23, 0
	v_lshl_add_u64 v[22:23], s[10:11], 0, v[22:23]
	flat_load_ushort v22, v[22:23]
.LBB450_45:
	s_or_b64 exec, exec, s[4:5]
	v_or_b32_e32 v24, 0x2a00, v0
	v_cmp_gt_u32_e32 vcc, s33, v24
                                        ; implicit-def: $vgpr23
	s_and_saveexec_b64 s[4:5], vcc
	s_cbranch_execz .LBB450_47
; %bb.46:
	v_lshlrev_b32_e32 v24, 1, v24
	v_mov_b32_e32 v25, 0
	v_lshl_add_u64 v[24:25], s[10:11], 0, v[24:25]
	flat_load_ushort v23, v[24:25]
.LBB450_47:
	s_or_b64 exec, exec, s[4:5]
	v_or_b32_e32 v25, 0x2c00, v0
	v_cmp_gt_u32_e32 vcc, s33, v25
                                        ; implicit-def: $vgpr24
	s_and_saveexec_b64 s[4:5], vcc
	s_cbranch_execz .LBB450_49
; %bb.48:
	v_lshlrev_b32_e32 v24, 1, v25
	v_mov_b32_e32 v25, 0
	v_lshl_add_u64 v[24:25], s[10:11], 0, v[24:25]
	flat_load_ushort v24, v[24:25]
.LBB450_49:
	s_or_b64 exec, exec, s[4:5]
	v_or_b32_e32 v26, 0x2e00, v0
	v_cmp_gt_u32_e32 vcc, s33, v26
                                        ; implicit-def: $vgpr25
	s_and_saveexec_b64 s[4:5], vcc
	s_cbranch_execz .LBB450_51
; %bb.50:
	v_lshlrev_b32_e32 v26, 1, v26
	v_mov_b32_e32 v27, 0
	v_lshl_add_u64 v[26:27], s[10:11], 0, v[26:27]
	flat_load_ushort v25, v[26:27]
.LBB450_51:
	s_or_b64 exec, exec, s[4:5]
	v_or_b32_e32 v27, 0x3000, v0
	v_cmp_gt_u32_e32 vcc, s33, v27
                                        ; implicit-def: $vgpr26
	s_and_saveexec_b64 s[4:5], vcc
	s_cbranch_execz .LBB450_53
; %bb.52:
	v_lshlrev_b32_e32 v26, 1, v27
	v_mov_b32_e32 v27, 0
	v_lshl_add_u64 v[26:27], s[10:11], 0, v[26:27]
	flat_load_ushort v26, v[26:27]
.LBB450_53:
	s_or_b64 exec, exec, s[4:5]
	v_or_b32_e32 v28, 0x3200, v0
	v_cmp_gt_u32_e32 vcc, s33, v28
                                        ; implicit-def: $vgpr27
	s_and_saveexec_b64 s[4:5], vcc
	s_cbranch_execz .LBB450_55
; %bb.54:
	v_lshlrev_b32_e32 v28, 1, v28
	v_mov_b32_e32 v29, 0
	v_lshl_add_u64 v[28:29], s[10:11], 0, v[28:29]
	flat_load_ushort v27, v[28:29]
.LBB450_55:
	s_or_b64 exec, exec, s[4:5]
	v_or_b32_e32 v29, 0x3400, v0
	v_cmp_gt_u32_e32 vcc, s33, v29
                                        ; implicit-def: $vgpr28
	s_and_saveexec_b64 s[4:5], vcc
	s_cbranch_execz .LBB450_57
; %bb.56:
	v_lshlrev_b32_e32 v28, 1, v29
	v_mov_b32_e32 v29, 0
	v_lshl_add_u64 v[28:29], s[10:11], 0, v[28:29]
	flat_load_ushort v28, v[28:29]
.LBB450_57:
	s_or_b64 exec, exec, s[4:5]
	v_or_b32_e32 v30, 0x3600, v0
	v_cmp_gt_u32_e32 vcc, s33, v30
                                        ; implicit-def: $vgpr29
	s_and_saveexec_b64 s[4:5], vcc
	s_cbranch_execz .LBB450_59
; %bb.58:
	v_lshlrev_b32_e32 v30, 1, v30
	v_mov_b32_e32 v31, 0
	v_lshl_add_u64 v[30:31], s[10:11], 0, v[30:31]
	flat_load_ushort v29, v[30:31]
.LBB450_59:
	s_or_b64 exec, exec, s[4:5]
	s_waitcnt vmcnt(0) lgkmcnt(0)
	ds_write_b16 v14, v1
	ds_write_b16 v14, v2 offset:1024
	ds_write_b16 v14, v3 offset:2048
	;; [unrolled: 1-line block ×27, first 2 shown]
	s_waitcnt lgkmcnt(0)
	s_barrier
.LBB450_60:
	v_mul_u32_u24_e32 v1, 28, v0
	v_lshlrev_b32_e32 v6, 1, v1
	s_waitcnt lgkmcnt(0)
	ds_read_b64 v[16:17], v6 offset:48
	ds_read2_b64 v[2:5], v6 offset0:4 offset1:5
	ds_read2_b64 v[10:13], v6 offset1:1
	ds_read2_b64 v[6:9], v6 offset0:2 offset1:3
	s_add_u32 s3, s6, s8
	s_addc_u32 s5, s7, s9
	s_add_u32 s4, s3, s30
	s_addc_u32 s5, s5, s31
	s_mov_b64 s[6:7], -1
	s_and_b64 vcc, exec, s[24:25]
	s_waitcnt lgkmcnt(0)
	s_barrier
	s_cbranch_vccz .LBB450_62
; %bb.61:
	v_mov_b32_e32 v15, 0
	v_lshl_add_u64 v[18:19], s[4:5], 0, v[14:15]
	s_movk_i32 s3, 0x1000
	v_add_co_u32_e32 v20, vcc, s3, v18
	s_movk_i32 s3, 0x2000
	s_nop 0
	v_addc_co_u32_e32 v21, vcc, 0, v19, vcc
	v_add_co_u32_e32 v22, vcc, s3, v18
	s_movk_i32 s6, 0x4000
	s_nop 0
	v_addc_co_u32_e32 v23, vcc, 0, v19, vcc
	global_load_ubyte v15, v14, s[4:5]
	global_load_ubyte v24, v14, s[4:5] offset:1024
	global_load_ubyte v25, v14, s[4:5] offset:2048
	;; [unrolled: 1-line block ×3, first 2 shown]
	global_load_ubyte v27, v[20:21], off offset:1024
	global_load_ubyte v28, v[20:21], off offset:2048
	;; [unrolled: 1-line block ×3, first 2 shown]
	global_load_ubyte v30, v[22:23], off offset:-4096
	global_load_ubyte v31, v[22:23], off
	global_load_ubyte v32, v[22:23], off offset:1024
	v_add_co_u32_e32 v20, vcc, s6, v18
	s_movk_i32 s3, 0x3000
	s_nop 0
	v_addc_co_u32_e32 v21, vcc, 0, v19, vcc
	global_load_ubyte v33, v[22:23], off offset:2048
	global_load_ubyte v34, v[22:23], off offset:3072
	global_load_ubyte v35, v[20:21], off offset:-4096
	v_add_co_u32_e32 v22, vcc, s3, v18
	s_movk_i32 s6, 0x6000
	s_nop 0
	v_addc_co_u32_e32 v23, vcc, 0, v19, vcc
	global_load_ubyte v36, v[22:23], off offset:1024
	global_load_ubyte v37, v[22:23], off offset:2048
	global_load_ubyte v38, v[22:23], off offset:3072
	global_load_ubyte v39, v[20:21], off
	v_add_co_u32_e32 v22, vcc, s6, v18
	s_movk_i32 s3, 0x5000
	s_nop 0
	v_addc_co_u32_e32 v23, vcc, 0, v19, vcc
	v_add_co_u32_e32 v18, vcc, s3, v18
	global_load_ubyte v40, v[20:21], off offset:1024
	global_load_ubyte v41, v[20:21], off offset:2048
	;; [unrolled: 1-line block ×3, first 2 shown]
	global_load_ubyte v43, v[22:23], off offset:-4096
	v_addc_co_u32_e32 v19, vcc, 0, v19, vcc
	global_load_ubyte v20, v[18:19], off offset:1024
	global_load_ubyte v21, v[18:19], off offset:2048
	;; [unrolled: 1-line block ×3, first 2 shown]
	global_load_ubyte v45, v[22:23], off
	global_load_ubyte v46, v[22:23], off offset:1024
	global_load_ubyte v47, v[22:23], off offset:2048
	;; [unrolled: 1-line block ×3, first 2 shown]
	s_mov_b64 s[6:7], 0
	s_waitcnt vmcnt(23)
	v_xor_b32_e32 v23, -1, v27
	v_xor_b32_e32 v15, -1, v15
	;; [unrolled: 1-line block ×5, first 2 shown]
	v_and_b32_e32 v15, 1, v15
	s_waitcnt vmcnt(22)
	v_xor_b32_e32 v24, -1, v28
	s_waitcnt vmcnt(21)
	v_xor_b32_e32 v25, -1, v29
	;; [unrolled: 2-line block ×12, first 2 shown]
	v_and_b32_e32 v18, 1, v18
	v_and_b32_e32 v19, 1, v19
	;; [unrolled: 1-line block ×4, first 2 shown]
	s_waitcnt vmcnt(10)
	v_xor_b32_e32 v36, -1, v40
	s_waitcnt vmcnt(9)
	v_xor_b32_e32 v37, -1, v41
	;; [unrolled: 2-line block ×11, first 2 shown]
	v_and_b32_e32 v24, 1, v24
	v_and_b32_e32 v25, 1, v25
	;; [unrolled: 1-line block ×23, first 2 shown]
	ds_write_b8 v0, v15
	ds_write_b8 v0, v18 offset:512
	ds_write_b8 v0, v19 offset:1024
	;; [unrolled: 1-line block ×27, first 2 shown]
	s_waitcnt lgkmcnt(0)
	s_barrier
.LBB450_62:
	s_load_dwordx2 s[34:35], s[0:1], 0x70
	s_andn2_b64 vcc, exec, s[6:7]
	s_cbranch_vccnz .LBB450_120
; %bb.63:
	v_cmp_gt_u32_e32 vcc, s33, v0
	v_mov_b32_e32 v15, 0
	v_mov_b32_e32 v18, 0
	s_and_saveexec_b64 s[6:7], vcc
	s_cbranch_execz .LBB450_65
; %bb.64:
	global_load_ubyte v18, v14, s[4:5]
	s_waitcnt vmcnt(0)
	v_xor_b32_e32 v18, -1, v18
	v_and_b32_e32 v18, 1, v18
.LBB450_65:
	s_or_b64 exec, exec, s[6:7]
	v_or_b32_e32 v19, 0x200, v0
	v_cmp_gt_u32_e32 vcc, s33, v19
	s_and_saveexec_b64 s[6:7], vcc
	s_cbranch_execz .LBB450_67
; %bb.66:
	global_load_ubyte v15, v14, s[4:5] offset:1024
	s_waitcnt vmcnt(0)
	v_xor_b32_e32 v15, -1, v15
	v_and_b32_e32 v15, 1, v15
.LBB450_67:
	s_or_b64 exec, exec, s[6:7]
	v_or_b32_e32 v19, 0x400, v0
	v_cmp_gt_u32_e32 vcc, s33, v19
	v_mov_b32_e32 v19, 0
	v_mov_b32_e32 v20, 0
	s_and_saveexec_b64 s[6:7], vcc
	s_cbranch_execz .LBB450_69
; %bb.68:
	global_load_ubyte v20, v14, s[4:5] offset:2048
	s_waitcnt vmcnt(0)
	v_xor_b32_e32 v20, -1, v20
	v_and_b32_e32 v20, 1, v20
.LBB450_69:
	s_or_b64 exec, exec, s[6:7]
	v_or_b32_e32 v21, 0x600, v0
	v_cmp_gt_u32_e32 vcc, s33, v21
	s_and_saveexec_b64 s[6:7], vcc
	s_cbranch_execz .LBB450_71
; %bb.70:
	global_load_ubyte v19, v14, s[4:5] offset:3072
	s_waitcnt vmcnt(0)
	v_xor_b32_e32 v19, -1, v19
	v_and_b32_e32 v19, 1, v19
.LBB450_71:
	s_or_b64 exec, exec, s[6:7]
	v_or_b32_e32 v23, 0x800, v0
	v_cmp_gt_u32_e32 vcc, s33, v23
	v_mov_b32_e32 v21, 0
	v_mov_b32_e32 v22, 0
	s_and_saveexec_b64 s[6:7], vcc
	s_cbranch_execz .LBB450_73
; %bb.72:
	v_lshlrev_b32_e32 v22, 1, v23
	global_load_ubyte v22, v22, s[4:5]
	s_waitcnt vmcnt(0)
	v_xor_b32_e32 v22, -1, v22
	v_and_b32_e32 v22, 1, v22
.LBB450_73:
	s_or_b64 exec, exec, s[6:7]
	v_or_b32_e32 v23, 0xa00, v0
	v_cmp_gt_u32_e32 vcc, s33, v23
	s_and_saveexec_b64 s[6:7], vcc
	s_cbranch_execz .LBB450_75
; %bb.74:
	v_lshlrev_b32_e32 v21, 1, v23
	global_load_ubyte v21, v21, s[4:5]
	s_waitcnt vmcnt(0)
	v_xor_b32_e32 v21, -1, v21
	v_and_b32_e32 v21, 1, v21
.LBB450_75:
	s_or_b64 exec, exec, s[6:7]
	v_or_b32_e32 v25, 0xc00, v0
	v_cmp_gt_u32_e32 vcc, s33, v25
	v_mov_b32_e32 v23, 0
	v_mov_b32_e32 v24, 0
	s_and_saveexec_b64 s[6:7], vcc
	s_cbranch_execz .LBB450_77
; %bb.76:
	v_lshlrev_b32_e32 v24, 1, v25
	global_load_ubyte v24, v24, s[4:5]
	s_waitcnt vmcnt(0)
	v_xor_b32_e32 v24, -1, v24
	v_and_b32_e32 v24, 1, v24
.LBB450_77:
	s_or_b64 exec, exec, s[6:7]
	v_or_b32_e32 v25, 0xe00, v0
	v_cmp_gt_u32_e32 vcc, s33, v25
	s_and_saveexec_b64 s[6:7], vcc
	s_cbranch_execz .LBB450_79
; %bb.78:
	v_lshlrev_b32_e32 v23, 1, v25
	global_load_ubyte v23, v23, s[4:5]
	s_waitcnt vmcnt(0)
	v_xor_b32_e32 v23, -1, v23
	v_and_b32_e32 v23, 1, v23
.LBB450_79:
	;; [unrolled: 26-line block ×12, first 2 shown]
	s_or_b64 exec, exec, s[6:7]
	ds_write_b8 v0, v18
	ds_write_b8 v0, v15 offset:512
	ds_write_b8 v0, v20 offset:1024
	;; [unrolled: 1-line block ×27, first 2 shown]
	s_waitcnt lgkmcnt(0)
	s_barrier
.LBB450_120:
	s_waitcnt lgkmcnt(0)
	ds_read2_b32 v[24:25], v1 offset1:1
	ds_read2_b32 v[22:23], v1 offset0:2 offset1:3
	ds_read2_b32 v[20:21], v1 offset0:4 offset1:5
	ds_read_b32 v34, v1 offset:24
	s_cmp_lg_u32 s2, 0
	v_lshrrev_b32_e32 v61, 6, v0
	s_waitcnt lgkmcnt(2)
	v_and_b32_e32 v53, 0xff, v22
	v_lshrrev_b32_e32 v41, 24, v24
	v_bfe_u32 v59, v24, 16, 8
	v_add_u32_sdwa v18, v24, v24 dst_sel:DWORD dst_unused:UNUSED_PAD src0_sel:BYTE_1 src1_sel:BYTE_0
	v_and_b32_e32 v56, 0xff, v25
	v_bfe_u32 v57, v25, 8, 8
	v_add3_u32 v18, v18, v59, v41
	v_lshrrev_b32_e32 v40, 24, v25
	v_bfe_u32 v58, v25, 16, 8
	v_add3_u32 v18, v18, v56, v57
	v_bfe_u32 v54, v22, 8, 8
	v_add3_u32 v18, v18, v58, v40
	v_lshrrev_b32_e32 v39, 24, v22
	v_bfe_u32 v55, v22, 16, 8
	v_add3_u32 v18, v18, v53, v54
	v_and_b32_e32 v50, 0xff, v23
	v_bfe_u32 v51, v23, 8, 8
	v_add3_u32 v18, v18, v55, v39
	v_lshrrev_b32_e32 v38, 24, v23
	v_bfe_u32 v52, v23, 16, 8
	v_add3_u32 v18, v18, v50, v51
	s_waitcnt lgkmcnt(1)
	v_and_b32_e32 v47, 0xff, v20
	v_bfe_u32 v48, v20, 8, 8
	v_add3_u32 v18, v18, v52, v38
	v_lshrrev_b32_e32 v37, 24, v20
	v_bfe_u32 v49, v20, 16, 8
	v_add3_u32 v18, v18, v47, v48
	v_and_b32_e32 v44, 0xff, v21
	v_bfe_u32 v45, v21, 8, 8
	v_add3_u32 v18, v18, v49, v37
	v_lshrrev_b32_e32 v36, 24, v21
	v_bfe_u32 v46, v21, 16, 8
	v_add3_u32 v18, v18, v44, v45
	s_waitcnt lgkmcnt(0)
	v_and_b32_e32 v42, 0xff, v34
	v_bfe_u32 v43, v34, 8, 8
	v_add3_u32 v18, v18, v46, v36
	v_lshrrev_b32_e32 v15, 24, v34
	v_bfe_u32 v35, v34, 16, 8
	v_add3_u32 v18, v18, v42, v43
	v_add3_u32 v62, v18, v35, v15
	v_mbcnt_lo_u32_b32 v18, -1, 0
	v_mbcnt_hi_u32_b32 v60, -1, v18
	v_and_b32_e32 v18, 15, v60
	v_cmp_eq_u32_e64 s[14:15], 0, v18
	v_cmp_lt_u32_e64 s[12:13], 1, v18
	v_cmp_lt_u32_e64 s[10:11], 3, v18
	;; [unrolled: 1-line block ×3, first 2 shown]
	v_and_b32_e32 v18, 16, v60
	v_cmp_eq_u32_e64 s[6:7], 0, v18
	v_or_b32_e32 v18, 63, v0
	v_cmp_lt_u32_e64 s[18:19], 31, v60
	v_cmp_eq_u32_e64 s[4:5], v18, v0
	s_barrier
	s_cbranch_scc0 .LBB450_147
; %bb.121:
	v_mov_b32_dpp v18, v62 row_shr:1 row_mask:0xf bank_mask:0xf
	v_cndmask_b32_e64 v18, v18, 0, s[14:15]
	v_add_u32_e32 v18, v18, v62
	s_nop 1
	v_mov_b32_dpp v19, v18 row_shr:2 row_mask:0xf bank_mask:0xf
	v_cndmask_b32_e64 v19, 0, v19, s[12:13]
	v_add_u32_e32 v18, v18, v19
	s_nop 1
	;; [unrolled: 4-line block ×4, first 2 shown]
	v_mov_b32_dpp v19, v18 row_bcast:15 row_mask:0xf bank_mask:0xf
	v_cndmask_b32_e64 v19, v19, 0, s[6:7]
	v_add_u32_e32 v18, v18, v19
	s_nop 1
	v_mov_b32_dpp v19, v18 row_bcast:31 row_mask:0xf bank_mask:0xf
	v_cndmask_b32_e64 v19, 0, v19, s[18:19]
	v_add_u32_e32 v18, v18, v19
	s_and_saveexec_b64 s[16:17], s[4:5]
	s_cbranch_execz .LBB450_123
; %bb.122:
	v_lshlrev_b32_e32 v19, 2, v61
	ds_write_b32 v19, v18
.LBB450_123:
	s_or_b64 exec, exec, s[16:17]
	v_cmp_gt_u32_e32 vcc, 8, v0
	s_waitcnt lgkmcnt(0)
	s_barrier
	s_and_saveexec_b64 s[16:17], vcc
	s_cbranch_execz .LBB450_125
; %bb.124:
	v_lshlrev_b32_e32 v19, 2, v0
	ds_read_b32 v26, v19
	v_and_b32_e32 v27, 7, v60
	v_cmp_ne_u32_e32 vcc, 0, v27
	s_waitcnt lgkmcnt(0)
	v_mov_b32_dpp v28, v26 row_shr:1 row_mask:0xf bank_mask:0xf
	v_cndmask_b32_e32 v28, 0, v28, vcc
	v_add_u32_e32 v26, v28, v26
	v_cmp_lt_u32_e32 vcc, 1, v27
	s_nop 0
	v_mov_b32_dpp v28, v26 row_shr:2 row_mask:0xf bank_mask:0xf
	v_cndmask_b32_e32 v28, 0, v28, vcc
	v_add_u32_e32 v26, v26, v28
	v_cmp_lt_u32_e32 vcc, 3, v27
	s_nop 0
	v_mov_b32_dpp v28, v26 row_shr:4 row_mask:0xf bank_mask:0xf
	v_cndmask_b32_e32 v27, 0, v28, vcc
	v_add_u32_e32 v26, v26, v27
	ds_write_b32 v19, v26
.LBB450_125:
	s_or_b64 exec, exec, s[16:17]
	v_cmp_gt_u32_e32 vcc, 64, v0
	v_cmp_lt_u32_e64 s[16:17], 63, v0
	s_waitcnt lgkmcnt(0)
	s_barrier
	s_waitcnt lgkmcnt(0)
                                        ; implicit-def: $vgpr63
	s_and_saveexec_b64 s[36:37], s[16:17]
	s_cbranch_execz .LBB450_127
; %bb.126:
	v_lshl_add_u32 v19, v61, 2, -4
	ds_read_b32 v63, v19
	s_waitcnt lgkmcnt(0)
	v_add_u32_e32 v18, v63, v18
.LBB450_127:
	s_or_b64 exec, exec, s[36:37]
	v_add_u32_e32 v19, -1, v60
	v_and_b32_e32 v26, 64, v60
	v_cmp_lt_i32_e64 s[16:17], v19, v26
	s_nop 1
	v_cndmask_b32_e64 v19, v19, v60, s[16:17]
	v_lshlrev_b32_e32 v19, 2, v19
	ds_bpermute_b32 v64, v19, v18
	v_cmp_eq_u32_e64 s[16:17], 0, v60
	s_and_saveexec_b64 s[36:37], vcc
	s_cbranch_execz .LBB450_146
; %bb.128:
	v_mov_b32_e32 v31, 0
	ds_read_b32 v18, v31 offset:28
	s_and_saveexec_b64 s[38:39], s[16:17]
	s_cbranch_execz .LBB450_130
; %bb.129:
	s_add_i32 s40, s2, 64
	s_mov_b32 s41, 0
	s_lshl_b64 s[40:41], s[40:41], 3
	s_add_u32 s40, s34, s40
	v_mov_b32_e32 v19, 1
	s_addc_u32 s41, s35, s41
	s_waitcnt lgkmcnt(0)
	global_store_dwordx2 v31, v[18:19], s[40:41] sc1
.LBB450_130:
	s_or_b64 exec, exec, s[38:39]
	v_xad_u32 v26, v60, -1, s2
	v_add_u32_e32 v30, 64, v26
	v_lshl_add_u64 v[32:33], v[30:31], 3, s[34:35]
	global_load_dwordx2 v[28:29], v[32:33], off sc1
	s_waitcnt vmcnt(0)
	v_cmp_eq_u16_sdwa s[40:41], v29, v31 src0_sel:BYTE_0 src1_sel:DWORD
	s_and_saveexec_b64 s[38:39], s[40:41]
	s_cbranch_execz .LBB450_134
; %bb.131:
	s_mov_b64 s[40:41], 0
	v_mov_b32_e32 v19, 0
.LBB450_132:                            ; =>This Inner Loop Header: Depth=1
	global_load_dwordx2 v[28:29], v[32:33], off sc1
	s_waitcnt vmcnt(0)
	v_cmp_ne_u16_sdwa s[42:43], v29, v19 src0_sel:BYTE_0 src1_sel:DWORD
	s_or_b64 s[40:41], s[42:43], s[40:41]
	s_andn2_b64 exec, exec, s[40:41]
	s_cbranch_execnz .LBB450_132
; %bb.133:
	s_or_b64 exec, exec, s[40:41]
.LBB450_134:
	s_or_b64 exec, exec, s[38:39]
	v_and_b32_e32 v66, 63, v60
	v_mov_b32_e32 v65, 2
	v_cmp_ne_u32_e32 vcc, 63, v66
	v_cmp_eq_u16_sdwa s[38:39], v29, v65 src0_sel:BYTE_0 src1_sel:DWORD
	v_lshlrev_b64 v[30:31], v60, -1
	v_addc_co_u32_e32 v32, vcc, 0, v60, vcc
	v_and_b32_e32 v19, s39, v31
	v_lshlrev_b32_e32 v67, 2, v32
	v_or_b32_e32 v19, 0x80000000, v19
	ds_bpermute_b32 v32, v67, v28
	v_and_b32_e32 v27, s38, v30
	v_ffbl_b32_e32 v19, v19
	v_add_u32_e32 v19, 32, v19
	v_ffbl_b32_e32 v27, v27
	v_min_u32_e32 v19, v27, v19
	v_cmp_lt_u32_e32 vcc, v66, v19
	v_add_u32_e32 v69, 2, v66
	v_add_u32_e32 v71, 4, v66
	s_waitcnt lgkmcnt(0)
	v_cndmask_b32_e32 v27, 0, v32, vcc
	v_cmp_gt_u32_e32 vcc, 62, v66
	v_add_u32_e32 v27, v27, v28
	v_add_u32_e32 v73, 8, v66
	v_cndmask_b32_e64 v28, 0, 1, vcc
	v_lshlrev_b32_e32 v28, 1, v28
	v_add_lshl_u32 v68, v28, v60, 2
	ds_bpermute_b32 v28, v68, v27
	v_cmp_le_u32_e32 vcc, v69, v19
	v_add_u32_e32 v75, 16, v66
	v_add_u32_e32 v77, 32, v66
	s_waitcnt lgkmcnt(0)
	v_cndmask_b32_e32 v28, 0, v28, vcc
	v_cmp_gt_u32_e32 vcc, 60, v66
	v_add_u32_e32 v27, v27, v28
	s_nop 0
	v_cndmask_b32_e64 v28, 0, 1, vcc
	v_lshlrev_b32_e32 v28, 2, v28
	v_add_lshl_u32 v70, v28, v60, 2
	ds_bpermute_b32 v28, v70, v27
	v_cmp_le_u32_e32 vcc, v71, v19
	s_waitcnt lgkmcnt(0)
	s_nop 0
	v_cndmask_b32_e32 v28, 0, v28, vcc
	v_cmp_gt_u32_e32 vcc, 56, v66
	v_add_u32_e32 v27, v27, v28
	s_nop 0
	v_cndmask_b32_e64 v28, 0, 1, vcc
	v_lshlrev_b32_e32 v28, 3, v28
	v_add_lshl_u32 v72, v28, v60, 2
	ds_bpermute_b32 v28, v72, v27
	v_cmp_le_u32_e32 vcc, v73, v19
	s_waitcnt lgkmcnt(0)
	s_nop 0
	;; [unrolled: 11-line block ×4, first 2 shown]
	v_cndmask_b32_e32 v19, 0, v28, vcc
	v_add_u32_e32 v28, v27, v19
	v_mov_b32_e32 v27, 0
	s_branch .LBB450_136
.LBB450_135:                            ;   in Loop: Header=BB450_136 Depth=1
	s_or_b64 exec, exec, s[38:39]
	v_cmp_eq_u16_sdwa s[38:39], v29, v65 src0_sel:BYTE_0 src1_sel:DWORD
	ds_bpermute_b32 v78, v67, v28
	v_subrev_u32_e32 v26, 64, v26
	v_and_b32_e32 v32, s39, v31
	v_or_b32_e32 v32, 0x80000000, v32
	v_and_b32_e32 v33, s38, v30
	v_ffbl_b32_e32 v32, v32
	v_add_u32_e32 v32, 32, v32
	v_ffbl_b32_e32 v33, v33
	v_min_u32_e32 v32, v33, v32
	v_cmp_lt_u32_e32 vcc, v66, v32
	s_waitcnt lgkmcnt(0)
	s_nop 0
	v_cndmask_b32_e32 v33, 0, v78, vcc
	v_add_u32_e32 v28, v33, v28
	ds_bpermute_b32 v33, v68, v28
	v_cmp_le_u32_e32 vcc, v69, v32
	s_waitcnt lgkmcnt(0)
	s_nop 0
	v_cndmask_b32_e32 v33, 0, v33, vcc
	v_add_u32_e32 v28, v28, v33
	ds_bpermute_b32 v33, v70, v28
	v_cmp_le_u32_e32 vcc, v71, v32
	;; [unrolled: 6-line block ×5, first 2 shown]
	s_waitcnt lgkmcnt(0)
	s_nop 0
	v_cndmask_b32_e32 v32, 0, v33, vcc
	v_add3_u32 v28, v32, v19, v28
.LBB450_136:                            ; =>This Loop Header: Depth=1
                                        ;     Child Loop BB450_139 Depth 2
	v_cmp_ne_u16_sdwa s[38:39], v29, v65 src0_sel:BYTE_0 src1_sel:DWORD
	s_nop 1
	v_cndmask_b32_e64 v19, 0, 1, s[38:39]
	;;#ASMSTART
	;;#ASMEND
	s_nop 0
	v_cmp_ne_u32_e32 vcc, 0, v19
	s_cmp_lg_u64 vcc, exec
	v_mov_b32_e32 v19, v28
	s_cbranch_scc1 .LBB450_141
; %bb.137:                              ;   in Loop: Header=BB450_136 Depth=1
	v_lshl_add_u64 v[32:33], v[26:27], 3, s[34:35]
	global_load_dwordx2 v[28:29], v[32:33], off sc1
	s_waitcnt vmcnt(0)
	v_cmp_eq_u16_sdwa s[40:41], v29, v27 src0_sel:BYTE_0 src1_sel:DWORD
	s_and_saveexec_b64 s[38:39], s[40:41]
	s_cbranch_execz .LBB450_135
; %bb.138:                              ;   in Loop: Header=BB450_136 Depth=1
	s_mov_b64 s[40:41], 0
.LBB450_139:                            ;   Parent Loop BB450_136 Depth=1
                                        ; =>  This Inner Loop Header: Depth=2
	global_load_dwordx2 v[28:29], v[32:33], off sc1
	s_waitcnt vmcnt(0)
	v_cmp_ne_u16_sdwa s[42:43], v29, v27 src0_sel:BYTE_0 src1_sel:DWORD
	s_or_b64 s[40:41], s[42:43], s[40:41]
	s_andn2_b64 exec, exec, s[40:41]
	s_cbranch_execnz .LBB450_139
; %bb.140:                              ;   in Loop: Header=BB450_136 Depth=1
	s_or_b64 exec, exec, s[40:41]
	s_branch .LBB450_135
.LBB450_141:                            ;   in Loop: Header=BB450_136 Depth=1
                                        ; implicit-def: $vgpr28
                                        ; implicit-def: $vgpr29
	s_cbranch_execz .LBB450_136
; %bb.142:
	s_and_saveexec_b64 s[38:39], s[16:17]
	s_cbranch_execz .LBB450_144
; %bb.143:
	s_add_i32 s2, s2, 64
	s_mov_b32 s3, 0
	s_lshl_b64 s[2:3], s[2:3], 3
	s_add_u32 s2, s34, s2
	v_add_u32_e32 v26, v19, v18
	v_mov_b32_e32 v27, 2
	s_addc_u32 s3, s35, s3
	v_mov_b32_e32 v28, 0
	global_store_dwordx2 v28, v[26:27], s[2:3] sc1
	ds_write_b64 v28, v[18:19] offset:28672
.LBB450_144:
	s_or_b64 exec, exec, s[38:39]
	v_cmp_eq_u32_e32 vcc, 0, v0
	s_and_b64 exec, exec, vcc
	s_cbranch_execz .LBB450_146
; %bb.145:
	v_mov_b32_e32 v18, 0
	ds_write_b32 v18, v19 offset:28
.LBB450_146:
	s_or_b64 exec, exec, s[36:37]
	v_mov_b32_e32 v18, 0
	s_waitcnt lgkmcnt(0)
	s_barrier
	ds_read_b32 v27, v18 offset:28
	s_waitcnt lgkmcnt(0)
	s_barrier
	ds_read_b64 v[18:19], v18 offset:28672
	v_cndmask_b32_e64 v26, v64, v63, s[16:17]
	v_cmp_ne_u32_e32 vcc, 0, v0
	s_nop 1
	v_cndmask_b32_e32 v26, 0, v26, vcc
	v_add_u32_e32 v32, v27, v26
	s_waitcnt lgkmcnt(0)
	v_mov_b32_e32 v26, v19
	s_branch .LBB450_157
.LBB450_147:
                                        ; implicit-def: $vgpr26
                                        ; implicit-def: $vgpr18
                                        ; implicit-def: $vgpr32
	s_cbranch_execz .LBB450_157
; %bb.148:
	s_nop 0
	v_mov_b32_dpp v18, v62 row_shr:1 row_mask:0xf bank_mask:0xf
	v_cndmask_b32_e64 v18, v18, 0, s[14:15]
	v_add_u32_e32 v18, v18, v62
	s_nop 1
	v_mov_b32_dpp v19, v18 row_shr:2 row_mask:0xf bank_mask:0xf
	v_cndmask_b32_e64 v19, 0, v19, s[12:13]
	v_add_u32_e32 v18, v18, v19
	;; [unrolled: 4-line block ×4, first 2 shown]
	s_nop 1
	v_mov_b32_dpp v19, v18 row_bcast:15 row_mask:0xf bank_mask:0xf
	v_cndmask_b32_e64 v19, v19, 0, s[6:7]
	v_add_u32_e32 v18, v18, v19
	s_nop 1
	v_mov_b32_dpp v19, v18 row_bcast:31 row_mask:0xf bank_mask:0xf
	v_cndmask_b32_e64 v19, 0, v19, s[18:19]
	v_add_u32_e32 v18, v18, v19
	s_and_saveexec_b64 s[2:3], s[4:5]
	s_cbranch_execz .LBB450_150
; %bb.149:
	v_lshlrev_b32_e32 v19, 2, v61
	ds_write_b32 v19, v18
.LBB450_150:
	s_or_b64 exec, exec, s[2:3]
	v_cmp_gt_u32_e32 vcc, 8, v0
	s_waitcnt lgkmcnt(0)
	s_barrier
	s_and_saveexec_b64 s[2:3], vcc
	s_cbranch_execz .LBB450_152
; %bb.151:
	v_lshlrev_b32_e32 v19, 2, v0
	ds_read_b32 v26, v19
	v_and_b32_e32 v27, 7, v60
	v_cmp_ne_u32_e32 vcc, 0, v27
	s_waitcnt lgkmcnt(0)
	v_mov_b32_dpp v28, v26 row_shr:1 row_mask:0xf bank_mask:0xf
	v_cndmask_b32_e32 v28, 0, v28, vcc
	v_add_u32_e32 v26, v28, v26
	v_cmp_lt_u32_e32 vcc, 1, v27
	s_nop 0
	v_mov_b32_dpp v28, v26 row_shr:2 row_mask:0xf bank_mask:0xf
	v_cndmask_b32_e32 v28, 0, v28, vcc
	v_add_u32_e32 v26, v26, v28
	v_cmp_lt_u32_e32 vcc, 3, v27
	s_nop 0
	v_mov_b32_dpp v28, v26 row_shr:4 row_mask:0xf bank_mask:0xf
	v_cndmask_b32_e32 v27, 0, v28, vcc
	v_add_u32_e32 v26, v26, v27
	ds_write_b32 v19, v26
.LBB450_152:
	s_or_b64 exec, exec, s[2:3]
	v_cmp_lt_u32_e32 vcc, 63, v0
	v_mov_b32_e32 v19, 0
	v_mov_b32_e32 v26, 0
	s_waitcnt lgkmcnt(0)
	s_barrier
	s_and_saveexec_b64 s[2:3], vcc
	s_cbranch_execz .LBB450_154
; %bb.153:
	v_lshl_add_u32 v26, v61, 2, -4
	ds_read_b32 v26, v26
.LBB450_154:
	s_or_b64 exec, exec, s[2:3]
	v_add_u32_e32 v27, -1, v60
	v_and_b32_e32 v28, 64, v60
	v_cmp_lt_i32_e32 vcc, v27, v28
	s_waitcnt lgkmcnt(0)
	v_add_u32_e32 v18, v26, v18
	v_cndmask_b32_e32 v27, v27, v60, vcc
	v_lshlrev_b32_e32 v27, 2, v27
	ds_bpermute_b32 v27, v27, v18
	ds_read_b32 v18, v19 offset:28
	v_cmp_eq_u32_e32 vcc, 0, v0
	s_and_saveexec_b64 s[2:3], vcc
	s_cbranch_execz .LBB450_156
; %bb.155:
	v_mov_b32_e32 v28, 0
	v_mov_b32_e32 v19, 2
	s_waitcnt lgkmcnt(0)
	global_store_dwordx2 v28, v[18:19], s[34:35] offset:512 sc1
.LBB450_156:
	s_or_b64 exec, exec, s[2:3]
	v_cmp_eq_u32_e64 s[2:3], 0, v60
	s_waitcnt lgkmcnt(0)
	s_barrier
	v_cndmask_b32_e64 v19, v27, v26, s[2:3]
	v_mov_b32_e32 v26, 0
	v_cndmask_b32_e64 v32, v19, 0, vcc
.LBB450_157:
	v_add_u32_sdwa v60, v32, v24 dst_sel:DWORD dst_unused:UNUSED_PAD src0_sel:DWORD src1_sel:BYTE_0
	v_add_u32_e32 v1, v18, v1
	v_sub_u32_e32 v32, v32, v26
	v_and_b32_e32 v69, 1, v24
	v_sub_u32_e32 v68, v1, v32
	v_cmp_eq_u32_e32 vcc, 1, v69
	v_lshrrev_b32_e32 v33, 8, v24
	v_add_u32_sdwa v61, v60, v24 dst_sel:DWORD dst_unused:UNUSED_PAD src0_sel:DWORD src1_sel:BYTE_1
	v_cndmask_b32_e32 v32, v68, v32, vcc
	v_lshlrev_b32_e32 v32, 1, v32
	ds_write_b16 v32, v10
	v_sub_u32_e32 v32, v60, v26
	v_sub_u32_e32 v60, v1, v32
	v_and_b32_e32 v33, 1, v33
	v_add_u32_e32 v60, 1, v60
	v_cmp_eq_u32_e32 vcc, 1, v33
	v_mov_b32_e32 v33, 1
	v_and_b32_sdwa v24, v33, v24 dst_sel:DWORD dst_unused:UNUSED_PAD src0_sel:DWORD src1_sel:WORD_1
	v_cndmask_b32_e32 v32, v60, v32, vcc
	v_lshlrev_b32_e32 v32, 1, v32
	ds_write_b16_d16_hi v32, v10
	v_sub_u32_e32 v10, v61, v26
	v_sub_u32_e32 v32, v1, v10
	v_add_u32_e32 v32, 2, v32
	v_cmp_eq_u32_e32 vcc, 1, v24
	v_add_u32_e32 v59, v61, v59
	v_add_u32_e32 v62, v59, v41
	v_cndmask_b32_e32 v10, v32, v10, vcc
	v_lshlrev_b32_e32 v10, 1, v10
	ds_write_b16 v10, v11
	v_sub_u32_e32 v10, v59, v26
	v_sub_u32_e32 v24, v1, v10
	v_and_b32_e32 v32, 1, v41
	v_add_u32_e32 v24, 3, v24
	v_cmp_eq_u32_e32 vcc, 1, v32
	v_add_u32_e32 v56, v62, v56
	v_lshrrev_b32_e32 v31, 8, v25
	v_cndmask_b32_e32 v10, v24, v10, vcc
	v_lshlrev_b32_e32 v10, 1, v10
	ds_write_b16_d16_hi v10, v11
	v_sub_u32_e32 v10, v62, v26
	v_sub_u32_e32 v11, v1, v10
	v_and_b32_e32 v24, 1, v25
	v_add_u32_e32 v11, 4, v11
	v_cmp_eq_u32_e32 vcc, 1, v24
	v_and_b32_e32 v24, 1, v31
	v_add_u32_e32 v57, v56, v57
	v_cndmask_b32_e32 v10, v11, v10, vcc
	v_lshlrev_b32_e32 v10, 1, v10
	ds_write_b16 v10, v12
	v_sub_u32_e32 v10, v56, v26
	v_sub_u32_e32 v11, v1, v10
	v_add_u32_e32 v11, 5, v11
	v_cmp_eq_u32_e32 vcc, 1, v24
	v_add_u32_e32 v58, v57, v58
	v_add_u32_e32 v63, v58, v40
	v_cndmask_b32_e32 v10, v11, v10, vcc
	v_lshlrev_b32_e32 v10, 1, v10
	ds_write_b16_d16_hi v10, v12
	v_sub_u32_e32 v10, v57, v26
	v_sub_u32_e32 v11, v1, v10
	v_and_b32_sdwa v12, v33, v25 dst_sel:DWORD dst_unused:UNUSED_PAD src0_sel:DWORD src1_sel:WORD_1
	v_add_u32_e32 v11, 6, v11
	v_cmp_eq_u32_e32 vcc, 1, v12
	v_and_b32_e32 v12, 1, v40
	v_add_u32_e32 v53, v63, v53
	v_cndmask_b32_e32 v10, v11, v10, vcc
	v_lshlrev_b32_e32 v10, 1, v10
	ds_write_b16 v10, v13
	v_sub_u32_e32 v10, v58, v26
	v_sub_u32_e32 v11, v1, v10
	v_add_u32_e32 v11, 7, v11
	v_cmp_eq_u32_e32 vcc, 1, v12
	v_and_b32_e32 v12, 1, v22
	v_lshrrev_b32_e32 v30, 8, v22
	v_cndmask_b32_e32 v10, v11, v10, vcc
	v_lshlrev_b32_e32 v10, 1, v10
	ds_write_b16_d16_hi v10, v13
	v_sub_u32_e32 v10, v63, v26
	v_sub_u32_e32 v11, v1, v10
	v_add_u32_e32 v11, 8, v11
	v_cmp_eq_u32_e32 vcc, 1, v12
	v_and_b32_e32 v12, 1, v30
	v_add_u32_e32 v54, v53, v54
	v_cndmask_b32_e32 v10, v11, v10, vcc
	v_lshlrev_b32_e32 v10, 1, v10
	ds_write_b16 v10, v6
	v_sub_u32_e32 v10, v53, v26
	v_sub_u32_e32 v11, v1, v10
	v_add_u32_e32 v11, 9, v11
	v_cmp_eq_u32_e32 vcc, 1, v12
	v_add_u32_e32 v55, v54, v55
	v_add_u32_e32 v64, v55, v39
	v_cndmask_b32_e32 v10, v11, v10, vcc
	v_lshlrev_b32_e32 v10, 1, v10
	ds_write_b16_d16_hi v10, v6
	v_sub_u32_e32 v6, v54, v26
	v_sub_u32_e32 v10, v1, v6
	v_and_b32_sdwa v11, v33, v22 dst_sel:DWORD dst_unused:UNUSED_PAD src0_sel:DWORD src1_sel:WORD_1
	v_add_u32_e32 v10, 10, v10
	v_cmp_eq_u32_e32 vcc, 1, v11
	v_and_b32_e32 v11, 1, v39
	v_add_u32_e32 v50, v64, v50
	v_cndmask_b32_e32 v6, v10, v6, vcc
	v_lshlrev_b32_e32 v6, 1, v6
	ds_write_b16 v6, v7
	v_sub_u32_e32 v6, v55, v26
	v_sub_u32_e32 v10, v1, v6
	v_add_u32_e32 v10, 11, v10
	v_cmp_eq_u32_e32 vcc, 1, v11
	v_lshrrev_b32_e32 v29, 8, v23
	v_add_u32_e32 v51, v50, v51
	v_cndmask_b32_e32 v6, v10, v6, vcc
	v_lshlrev_b32_e32 v6, 1, v6
	ds_write_b16_d16_hi v6, v7
	v_sub_u32_e32 v6, v64, v26
	v_sub_u32_e32 v7, v1, v6
	v_and_b32_e32 v10, 1, v23
	v_add_u32_e32 v7, 12, v7
	v_cmp_eq_u32_e32 vcc, 1, v10
	v_and_b32_e32 v10, 1, v29
	v_add_u32_e32 v52, v51, v52
	v_cndmask_b32_e32 v6, v7, v6, vcc
	v_lshlrev_b32_e32 v6, 1, v6
	ds_write_b16 v6, v8
	v_sub_u32_e32 v6, v50, v26
	v_sub_u32_e32 v7, v1, v6
	v_add_u32_e32 v7, 13, v7
	v_cmp_eq_u32_e32 vcc, 1, v10
	v_add_u32_e32 v65, v52, v38
	v_add_u32_e32 v47, v65, v47
	v_cndmask_b32_e32 v6, v7, v6, vcc
	v_lshlrev_b32_e32 v6, 1, v6
	ds_write_b16_d16_hi v6, v8
	v_sub_u32_e32 v6, v51, v26
	v_sub_u32_e32 v7, v1, v6
	v_and_b32_sdwa v8, v33, v23 dst_sel:DWORD dst_unused:UNUSED_PAD src0_sel:DWORD src1_sel:WORD_1
	v_add_u32_e32 v7, 14, v7
	v_cmp_eq_u32_e32 vcc, 1, v8
	v_and_b32_e32 v8, 1, v38
	v_lshrrev_b32_e32 v28, 8, v20
	v_cndmask_b32_e32 v6, v7, v6, vcc
	v_lshlrev_b32_e32 v6, 1, v6
	ds_write_b16 v6, v9
	v_sub_u32_e32 v6, v52, v26
	v_sub_u32_e32 v7, v1, v6
	v_add_u32_e32 v7, 15, v7
	v_cmp_eq_u32_e32 vcc, 1, v8
	v_and_b32_e32 v8, 1, v20
	v_add_u32_e32 v48, v47, v48
	v_cndmask_b32_e32 v6, v7, v6, vcc
	v_lshlrev_b32_e32 v6, 1, v6
	ds_write_b16_d16_hi v6, v9
	v_sub_u32_e32 v6, v65, v26
	v_sub_u32_e32 v7, v1, v6
	v_add_u32_e32 v7, 16, v7
	v_cmp_eq_u32_e32 vcc, 1, v8
	v_and_b32_e32 v8, 1, v28
	v_add_u32_e32 v49, v48, v49
	v_cndmask_b32_e32 v6, v7, v6, vcc
	v_lshlrev_b32_e32 v6, 1, v6
	ds_write_b16 v6, v2
	v_sub_u32_e32 v6, v47, v26
	v_sub_u32_e32 v7, v1, v6
	v_add_u32_e32 v7, 17, v7
	v_cmp_eq_u32_e32 vcc, 1, v8
	v_add_u32_e32 v66, v49, v37
	v_add_u32_e32 v44, v66, v44
	v_cndmask_b32_e32 v6, v7, v6, vcc
	v_lshlrev_b32_e32 v6, 1, v6
	ds_write_b16_d16_hi v6, v2
	v_sub_u32_e32 v2, v48, v26
	v_sub_u32_e32 v6, v1, v2
	v_and_b32_sdwa v7, v33, v20 dst_sel:DWORD dst_unused:UNUSED_PAD src0_sel:DWORD src1_sel:WORD_1
	v_add_u32_e32 v6, 18, v6
	v_cmp_eq_u32_e32 vcc, 1, v7
	v_and_b32_e32 v7, 1, v37
	v_lshrrev_b32_e32 v27, 8, v21
	v_cndmask_b32_e32 v2, v6, v2, vcc
	v_lshlrev_b32_e32 v2, 1, v2
	ds_write_b16 v2, v3
	v_sub_u32_e32 v2, v49, v26
	v_sub_u32_e32 v6, v1, v2
	v_add_u32_e32 v6, 19, v6
	v_cmp_eq_u32_e32 vcc, 1, v7
	v_add_u32_e32 v45, v44, v45
	v_add_u32_e32 v46, v45, v46
	v_cndmask_b32_e32 v2, v6, v2, vcc
	v_lshlrev_b32_e32 v2, 1, v2
	ds_write_b16_d16_hi v2, v3
	v_sub_u32_e32 v2, v66, v26
	v_sub_u32_e32 v3, v1, v2
	v_and_b32_e32 v6, 1, v21
	v_add_u32_e32 v3, 20, v3
	v_cmp_eq_u32_e32 vcc, 1, v6
	v_and_b32_e32 v6, 1, v27
	v_add_u32_e32 v67, v46, v36
	v_cndmask_b32_e32 v2, v3, v2, vcc
	v_lshlrev_b32_e32 v2, 1, v2
	ds_write_b16 v2, v4
	v_sub_u32_e32 v2, v44, v26
	v_sub_u32_e32 v3, v1, v2
	v_add_u32_e32 v3, 21, v3
	v_cmp_eq_u32_e32 vcc, 1, v6
	v_add_u32_e32 v42, v67, v42
	v_lshrrev_b32_e32 v19, 8, v34
	v_cndmask_b32_e32 v2, v3, v2, vcc
	v_lshlrev_b32_e32 v2, 1, v2
	ds_write_b16_d16_hi v2, v4
	v_sub_u32_e32 v2, v45, v26
	v_sub_u32_e32 v3, v1, v2
	v_and_b32_sdwa v4, v33, v21 dst_sel:DWORD dst_unused:UNUSED_PAD src0_sel:DWORD src1_sel:WORD_1
	v_add_u32_e32 v3, 22, v3
	v_cmp_eq_u32_e32 vcc, 1, v4
	v_and_b32_e32 v4, 1, v36
	v_add_u32_e32 v43, v42, v43
	v_cndmask_b32_e32 v2, v3, v2, vcc
	v_lshlrev_b32_e32 v2, 1, v2
	ds_write_b16 v2, v5
	v_sub_u32_e32 v2, v46, v26
	v_sub_u32_e32 v3, v1, v2
	v_add_u32_e32 v3, 23, v3
	v_cmp_eq_u32_e32 vcc, 1, v4
	v_and_b32_e32 v4, 1, v34
	v_mov_b32_e32 v27, 0
	v_cndmask_b32_e32 v2, v3, v2, vcc
	v_lshlrev_b32_e32 v2, 1, v2
	ds_write_b16_d16_hi v2, v5
	v_sub_u32_e32 v2, v67, v26
	v_sub_u32_e32 v3, v1, v2
	v_add_u32_e32 v3, 24, v3
	v_cmp_eq_u32_e32 vcc, 1, v4
	v_and_b32_e32 v4, 1, v19
	s_load_dwordx4 s[0:3], s[0:1], 0x30
	v_cndmask_b32_e32 v2, v3, v2, vcc
	v_lshlrev_b32_e32 v2, 1, v2
	ds_write_b16 v2, v16
	v_sub_u32_e32 v2, v42, v26
	v_sub_u32_e32 v3, v1, v2
	v_add_u32_e32 v3, 25, v3
	v_cmp_eq_u32_e32 vcc, 1, v4
	v_and_b32_sdwa v4, v33, v34 dst_sel:DWORD dst_unused:UNUSED_PAD src0_sel:DWORD src1_sel:WORD_1
	v_lshl_add_u64 v[6:7], s[28:29], 0, v[26:27]
	v_cndmask_b32_e32 v2, v3, v2, vcc
	v_lshlrev_b32_e32 v2, 1, v2
	ds_write_b16_d16_hi v2, v16
	v_sub_u32_e32 v2, v43, v26
	v_sub_u32_e32 v3, v1, v2
	v_add_u32_e32 v3, 26, v3
	v_cmp_eq_u32_e32 vcc, 1, v4
	v_mov_b32_e32 v19, v27
	v_mov_b32_e32 v5, s27
	v_cndmask_b32_e32 v2, v3, v2, vcc
	v_lshlrev_b32_e32 v2, 1, v2
	ds_write_b16 v2, v17
	v_sub_u32_e32 v2, v35, v26
	v_add_u32_e32 v2, v43, v2
	v_sub_u32_e32 v1, v1, v2
	v_and_b32_e32 v3, 1, v15
	v_add_u32_e32 v1, 27, v1
	v_cmp_eq_u32_e32 vcc, 1, v3
	v_or_b32_e32 v65, 0x200, v0
	v_or_b32_e32 v63, 0x400, v0
	v_cndmask_b32_e32 v1, v1, v2, vcc
	v_lshlrev_b32_e32 v1, 1, v1
	ds_write_b16_d16_hi v1, v17
	s_waitcnt lgkmcnt(0)
	s_barrier
	ds_read_u16 v67, v14
	ds_read_u16 v66, v14 offset:1024
	ds_read_u16 v64, v14 offset:2048
	;; [unrolled: 1-line block ×27, first 2 shown]
	v_lshl_add_u64 v[2:3], v[6:7], 0, v[18:19]
	v_sub_co_u32_e32 v4, vcc, s26, v2
	v_lshlrev_b64 v[6:7], 1, v[6:7]
	s_nop 0
	v_subb_co_u32_e32 v5, vcc, v5, v3, vcc
	v_lshlrev_b64 v[4:5], 1, v[4:5]
	v_lshl_add_u64 v[4:5], s[2:3], 0, v[4:5]
	v_or_b32_e32 v61, 0x600, v0
	v_or_b32_e32 v59, 0x800, v0
	;; [unrolled: 1-line block ×25, first 2 shown]
	v_lshl_add_u64 v[4:5], v[4:5], 0, s[30:31]
	s_andn2_b64 vcc, exec, s[24:25]
	v_lshl_add_u64 v[6:7], s[0:1], 0, v[6:7]
	s_cbranch_vccnz .LBB450_159
; %bb.158:
	v_cmp_lt_u32_e32 vcc, v0, v18
	v_mov_b32_e32 v15, v27
	v_lshlrev_b32_e32 v26, 1, v59
	v_cndmask_b32_e32 v69, v5, v7, vcc
	v_cndmask_b32_e32 v68, v4, v6, vcc
	v_lshl_add_u64 v[68:69], v[68:69], 0, v[14:15]
	v_cmp_lt_u32_e32 vcc, v65, v18
	s_waitcnt lgkmcnt(14)
	global_store_short v[68:69], v67, off
	v_cndmask_b32_e32 v69, v5, v7, vcc
	v_cndmask_b32_e32 v68, v4, v6, vcc
	v_lshl_add_u64 v[68:69], v[68:69], 0, v[14:15]
	v_cmp_lt_u32_e32 vcc, v63, v18
	global_store_short v[68:69], v66, off offset:1024
	s_mov_b64 s[0:1], -1
	v_cndmask_b32_e32 v69, v5, v7, vcc
	v_cndmask_b32_e32 v68, v4, v6, vcc
	v_lshl_add_u64 v[68:69], v[68:69], 0, v[14:15]
	v_cmp_lt_u32_e32 vcc, v61, v18
	global_store_short v[68:69], v64, off offset:2048
	s_nop 0
	v_cndmask_b32_e32 v69, v5, v7, vcc
	v_cndmask_b32_e32 v68, v4, v6, vcc
	v_lshl_add_u64 v[68:69], v[68:69], 0, v[14:15]
	v_cmp_lt_u32_e32 vcc, v59, v18
	global_store_short v[68:69], v62, off offset:3072
	s_nop 0
	v_cndmask_b32_e32 v69, v5, v7, vcc
	v_cndmask_b32_e32 v68, v4, v6, vcc
	v_lshl_add_u64 v[68:69], v[68:69], 0, v[26:27]
	v_cmp_lt_u32_e32 vcc, v57, v18
	global_store_short v[68:69], v60, off
	v_lshlrev_b32_e32 v26, 1, v57
	v_cndmask_b32_e32 v69, v5, v7, vcc
	v_cndmask_b32_e32 v68, v4, v6, vcc
	v_lshl_add_u64 v[68:69], v[68:69], 0, v[26:27]
	v_cmp_lt_u32_e32 vcc, v55, v18
	global_store_short v[68:69], v58, off
	v_lshlrev_b32_e32 v26, 1, v55
	;; [unrolled: 6-line block ×10, first 2 shown]
	v_cndmask_b32_e32 v69, v5, v7, vcc
	v_cndmask_b32_e32 v68, v4, v6, vcc
	v_lshl_add_u64 v[68:69], v[68:69], 0, v[26:27]
	v_cmp_lt_u32_e32 vcc, v37, v18
	s_waitcnt lgkmcnt(13)
	global_store_short v[68:69], v40, off
	v_lshlrev_b32_e32 v26, 1, v37
	v_cndmask_b32_e32 v69, v5, v7, vcc
	v_cndmask_b32_e32 v68, v4, v6, vcc
	v_lshl_add_u64 v[68:69], v[68:69], 0, v[26:27]
	v_cmp_lt_u32_e32 vcc, v35, v18
	s_waitcnt lgkmcnt(12)
	global_store_short v[68:69], v38, off
	v_lshlrev_b32_e32 v26, 1, v35
	;; [unrolled: 7-line block ×12, first 2 shown]
	v_cndmask_b32_e32 v69, v5, v7, vcc
	v_cndmask_b32_e32 v68, v4, v6, vcc
	v_lshl_add_u64 v[26:27], v[68:69], 0, v[26:27]
	s_waitcnt lgkmcnt(1)
	global_store_short v[26:27], v9, off
	s_cbranch_execz .LBB450_160
	s_branch .LBB450_189
.LBB450_159:
	s_mov_b64 s[0:1], 0
.LBB450_160:
	v_cmp_gt_u32_e32 vcc, s33, v0
	s_and_saveexec_b64 s[0:1], vcc
	s_cbranch_execnz .LBB450_194
; %bb.161:
	s_or_b64 exec, exec, s[0:1]
	v_cmp_gt_u32_e32 vcc, s33, v65
	s_and_saveexec_b64 s[0:1], vcc
	s_cbranch_execnz .LBB450_195
.LBB450_162:
	s_or_b64 exec, exec, s[0:1]
	v_cmp_gt_u32_e32 vcc, s33, v63
	s_and_saveexec_b64 s[0:1], vcc
	s_cbranch_execnz .LBB450_196
.LBB450_163:
	s_or_b64 exec, exec, s[0:1]
	v_cmp_gt_u32_e32 vcc, s33, v61
	s_and_saveexec_b64 s[0:1], vcc
	s_cbranch_execnz .LBB450_197
.LBB450_164:
	s_or_b64 exec, exec, s[0:1]
	v_cmp_gt_u32_e32 vcc, s33, v59
	s_and_saveexec_b64 s[0:1], vcc
	s_cbranch_execnz .LBB450_198
.LBB450_165:
	s_or_b64 exec, exec, s[0:1]
	v_cmp_gt_u32_e32 vcc, s33, v57
	s_and_saveexec_b64 s[0:1], vcc
	s_cbranch_execnz .LBB450_199
.LBB450_166:
	s_or_b64 exec, exec, s[0:1]
	v_cmp_gt_u32_e32 vcc, s33, v55
	s_and_saveexec_b64 s[0:1], vcc
	s_cbranch_execnz .LBB450_200
.LBB450_167:
	s_or_b64 exec, exec, s[0:1]
	v_cmp_gt_u32_e32 vcc, s33, v53
	s_and_saveexec_b64 s[0:1], vcc
	s_cbranch_execnz .LBB450_201
.LBB450_168:
	s_or_b64 exec, exec, s[0:1]
	v_cmp_gt_u32_e32 vcc, s33, v51
	s_and_saveexec_b64 s[0:1], vcc
	s_cbranch_execnz .LBB450_202
.LBB450_169:
	s_or_b64 exec, exec, s[0:1]
	v_cmp_gt_u32_e32 vcc, s33, v49
	s_and_saveexec_b64 s[0:1], vcc
	s_cbranch_execnz .LBB450_203
.LBB450_170:
	s_or_b64 exec, exec, s[0:1]
	v_cmp_gt_u32_e32 vcc, s33, v47
	s_and_saveexec_b64 s[0:1], vcc
	s_cbranch_execnz .LBB450_204
.LBB450_171:
	s_or_b64 exec, exec, s[0:1]
	v_cmp_gt_u32_e32 vcc, s33, v45
	s_and_saveexec_b64 s[0:1], vcc
	s_cbranch_execnz .LBB450_205
.LBB450_172:
	s_or_b64 exec, exec, s[0:1]
	v_cmp_gt_u32_e32 vcc, s33, v43
	s_and_saveexec_b64 s[0:1], vcc
	s_cbranch_execnz .LBB450_206
.LBB450_173:
	s_or_b64 exec, exec, s[0:1]
	v_cmp_gt_u32_e32 vcc, s33, v41
	s_and_saveexec_b64 s[0:1], vcc
	s_cbranch_execnz .LBB450_207
.LBB450_174:
	s_or_b64 exec, exec, s[0:1]
	v_cmp_gt_u32_e32 vcc, s33, v39
	s_and_saveexec_b64 s[0:1], vcc
	s_cbranch_execnz .LBB450_208
.LBB450_175:
	s_or_b64 exec, exec, s[0:1]
	v_cmp_gt_u32_e32 vcc, s33, v37
	s_and_saveexec_b64 s[0:1], vcc
	s_cbranch_execnz .LBB450_209
.LBB450_176:
	s_or_b64 exec, exec, s[0:1]
	v_cmp_gt_u32_e32 vcc, s33, v35
	s_and_saveexec_b64 s[0:1], vcc
	s_cbranch_execnz .LBB450_210
.LBB450_177:
	s_or_b64 exec, exec, s[0:1]
	v_cmp_gt_u32_e32 vcc, s33, v33
	s_and_saveexec_b64 s[0:1], vcc
	s_cbranch_execnz .LBB450_211
.LBB450_178:
	s_or_b64 exec, exec, s[0:1]
	v_cmp_gt_u32_e32 vcc, s33, v31
	s_and_saveexec_b64 s[0:1], vcc
	s_cbranch_execnz .LBB450_212
.LBB450_179:
	s_or_b64 exec, exec, s[0:1]
	v_cmp_gt_u32_e32 vcc, s33, v29
	s_and_saveexec_b64 s[0:1], vcc
	s_cbranch_execnz .LBB450_213
.LBB450_180:
	s_or_b64 exec, exec, s[0:1]
	v_cmp_gt_u32_e32 vcc, s33, v25
	s_and_saveexec_b64 s[0:1], vcc
	s_cbranch_execnz .LBB450_214
.LBB450_181:
	s_or_b64 exec, exec, s[0:1]
	v_cmp_gt_u32_e32 vcc, s33, v23
	s_and_saveexec_b64 s[0:1], vcc
	s_cbranch_execnz .LBB450_215
.LBB450_182:
	s_or_b64 exec, exec, s[0:1]
	v_cmp_gt_u32_e32 vcc, s33, v21
	s_and_saveexec_b64 s[0:1], vcc
	s_cbranch_execnz .LBB450_216
.LBB450_183:
	s_or_b64 exec, exec, s[0:1]
	v_cmp_gt_u32_e32 vcc, s33, v17
	s_and_saveexec_b64 s[0:1], vcc
	s_cbranch_execnz .LBB450_217
.LBB450_184:
	s_or_b64 exec, exec, s[0:1]
	v_cmp_gt_u32_e32 vcc, s33, v13
	s_and_saveexec_b64 s[0:1], vcc
	s_cbranch_execnz .LBB450_218
.LBB450_185:
	s_or_b64 exec, exec, s[0:1]
	v_cmp_gt_u32_e32 vcc, s33, v11
	s_and_saveexec_b64 s[0:1], vcc
	s_cbranch_execnz .LBB450_219
.LBB450_186:
	s_or_b64 exec, exec, s[0:1]
	v_cmp_gt_u32_e32 vcc, s33, v10
	s_and_saveexec_b64 s[0:1], vcc
	s_cbranch_execz .LBB450_188
.LBB450_187:
	v_cmp_lt_u32_e32 vcc, v10, v18
	v_lshlrev_b32_e32 v10, 1, v10
	v_mov_b32_e32 v11, 0
	v_cndmask_b32_e32 v13, v5, v7, vcc
	s_waitcnt lgkmcnt(2)
	v_cndmask_b32_e32 v12, v4, v6, vcc
	v_lshl_add_u64 v[10:11], v[12:13], 0, v[10:11]
	s_waitcnt lgkmcnt(1)
	global_store_short v[10:11], v9, off
.LBB450_188:
	s_or_b64 exec, exec, s[0:1]
	v_cmp_gt_u32_e64 s[0:1], s33, v8
.LBB450_189:
	s_and_saveexec_b64 s[2:3], s[0:1]
	s_cbranch_execz .LBB450_191
; %bb.190:
	v_cmp_lt_u32_e32 vcc, v8, v18
	s_nop 1
	v_cndmask_b32_e32 v5, v5, v7, vcc
	v_cndmask_b32_e32 v4, v4, v6, vcc
	v_lshlrev_b32_e32 v6, 1, v8
	v_mov_b32_e32 v7, 0
	v_lshl_add_u64 v[4:5], v[4:5], 0, v[6:7]
	s_waitcnt lgkmcnt(0)
	global_store_short v[4:5], v1, off
.LBB450_191:
	s_or_b64 exec, exec, s[2:3]
	v_cmp_eq_u32_e32 vcc, 0, v0
	s_and_b64 s[0:1], vcc, s[22:23]
	s_and_saveexec_b64 s[2:3], s[0:1]
	s_cbranch_execz .LBB450_193
; %bb.192:
	v_mov_b32_e32 v0, 0
	global_store_dwordx2 v0, v[2:3], s[20:21]
.LBB450_193:
	s_endpgm
.LBB450_194:
	v_cmp_lt_u32_e32 vcc, v0, v18
	v_mov_b32_e32 v15, 0
	s_nop 0
	v_cndmask_b32_e32 v27, v5, v7, vcc
	v_cndmask_b32_e32 v26, v4, v6, vcc
	v_lshl_add_u64 v[26:27], v[26:27], 0, v[14:15]
	s_waitcnt lgkmcnt(14)
	global_store_short v[26:27], v67, off
	s_or_b64 exec, exec, s[0:1]
	v_cmp_gt_u32_e32 vcc, s33, v65
	s_and_saveexec_b64 s[0:1], vcc
	s_cbranch_execz .LBB450_162
.LBB450_195:
	v_cmp_lt_u32_e32 vcc, v65, v18
	v_mov_b32_e32 v15, 0
	s_nop 0
	v_cndmask_b32_e32 v27, v5, v7, vcc
	v_cndmask_b32_e32 v26, v4, v6, vcc
	v_lshl_add_u64 v[26:27], v[26:27], 0, v[14:15]
	s_waitcnt lgkmcnt(14)
	global_store_short v[26:27], v66, off offset:1024
	s_or_b64 exec, exec, s[0:1]
	v_cmp_gt_u32_e32 vcc, s33, v63
	s_and_saveexec_b64 s[0:1], vcc
	s_cbranch_execz .LBB450_163
.LBB450_196:
	v_cmp_lt_u32_e32 vcc, v63, v18
	v_mov_b32_e32 v15, 0
	s_nop 0
	v_cndmask_b32_e32 v27, v5, v7, vcc
	v_cndmask_b32_e32 v26, v4, v6, vcc
	v_lshl_add_u64 v[26:27], v[26:27], 0, v[14:15]
	s_waitcnt lgkmcnt(14)
	global_store_short v[26:27], v64, off offset:2048
	s_or_b64 exec, exec, s[0:1]
	v_cmp_gt_u32_e32 vcc, s33, v61
	s_and_saveexec_b64 s[0:1], vcc
	s_cbranch_execz .LBB450_164
.LBB450_197:
	v_cmp_lt_u32_e32 vcc, v61, v18
	v_mov_b32_e32 v15, 0
	s_nop 0
	v_cndmask_b32_e32 v27, v5, v7, vcc
	v_cndmask_b32_e32 v26, v4, v6, vcc
	v_lshl_add_u64 v[14:15], v[26:27], 0, v[14:15]
	s_waitcnt lgkmcnt(14)
	global_store_short v[14:15], v62, off offset:3072
	s_or_b64 exec, exec, s[0:1]
	v_cmp_gt_u32_e32 vcc, s33, v59
	s_and_saveexec_b64 s[0:1], vcc
	s_cbranch_execz .LBB450_165
.LBB450_198:
	v_cmp_lt_u32_e32 vcc, v59, v18
	v_lshlrev_b32_e32 v26, 1, v59
	v_mov_b32_e32 v27, 0
	v_cndmask_b32_e32 v15, v5, v7, vcc
	v_cndmask_b32_e32 v14, v4, v6, vcc
	v_lshl_add_u64 v[14:15], v[14:15], 0, v[26:27]
	s_waitcnt lgkmcnt(14)
	global_store_short v[14:15], v60, off
	s_or_b64 exec, exec, s[0:1]
	v_cmp_gt_u32_e32 vcc, s33, v57
	s_and_saveexec_b64 s[0:1], vcc
	s_cbranch_execz .LBB450_166
.LBB450_199:
	v_cmp_lt_u32_e32 vcc, v57, v18
	v_lshlrev_b32_e32 v26, 1, v57
	v_mov_b32_e32 v27, 0
	v_cndmask_b32_e32 v15, v5, v7, vcc
	v_cndmask_b32_e32 v14, v4, v6, vcc
	v_lshl_add_u64 v[14:15], v[14:15], 0, v[26:27]
	s_waitcnt lgkmcnt(14)
	global_store_short v[14:15], v58, off
	s_or_b64 exec, exec, s[0:1]
	v_cmp_gt_u32_e32 vcc, s33, v55
	s_and_saveexec_b64 s[0:1], vcc
	s_cbranch_execz .LBB450_167
.LBB450_200:
	v_cmp_lt_u32_e32 vcc, v55, v18
	v_lshlrev_b32_e32 v26, 1, v55
	v_mov_b32_e32 v27, 0
	v_cndmask_b32_e32 v15, v5, v7, vcc
	v_cndmask_b32_e32 v14, v4, v6, vcc
	v_lshl_add_u64 v[14:15], v[14:15], 0, v[26:27]
	s_waitcnt lgkmcnt(14)
	global_store_short v[14:15], v56, off
	s_or_b64 exec, exec, s[0:1]
	v_cmp_gt_u32_e32 vcc, s33, v53
	s_and_saveexec_b64 s[0:1], vcc
	s_cbranch_execz .LBB450_168
.LBB450_201:
	v_cmp_lt_u32_e32 vcc, v53, v18
	v_lshlrev_b32_e32 v26, 1, v53
	v_mov_b32_e32 v27, 0
	v_cndmask_b32_e32 v15, v5, v7, vcc
	v_cndmask_b32_e32 v14, v4, v6, vcc
	v_lshl_add_u64 v[14:15], v[14:15], 0, v[26:27]
	s_waitcnt lgkmcnt(14)
	global_store_short v[14:15], v54, off
	s_or_b64 exec, exec, s[0:1]
	v_cmp_gt_u32_e32 vcc, s33, v51
	s_and_saveexec_b64 s[0:1], vcc
	s_cbranch_execz .LBB450_169
.LBB450_202:
	v_cmp_lt_u32_e32 vcc, v51, v18
	v_lshlrev_b32_e32 v26, 1, v51
	v_mov_b32_e32 v27, 0
	v_cndmask_b32_e32 v15, v5, v7, vcc
	v_cndmask_b32_e32 v14, v4, v6, vcc
	v_lshl_add_u64 v[14:15], v[14:15], 0, v[26:27]
	s_waitcnt lgkmcnt(14)
	global_store_short v[14:15], v52, off
	s_or_b64 exec, exec, s[0:1]
	v_cmp_gt_u32_e32 vcc, s33, v49
	s_and_saveexec_b64 s[0:1], vcc
	s_cbranch_execz .LBB450_170
.LBB450_203:
	v_cmp_lt_u32_e32 vcc, v49, v18
	v_lshlrev_b32_e32 v26, 1, v49
	v_mov_b32_e32 v27, 0
	v_cndmask_b32_e32 v15, v5, v7, vcc
	v_cndmask_b32_e32 v14, v4, v6, vcc
	v_lshl_add_u64 v[14:15], v[14:15], 0, v[26:27]
	s_waitcnt lgkmcnt(14)
	global_store_short v[14:15], v50, off
	s_or_b64 exec, exec, s[0:1]
	v_cmp_gt_u32_e32 vcc, s33, v47
	s_and_saveexec_b64 s[0:1], vcc
	s_cbranch_execz .LBB450_171
.LBB450_204:
	v_cmp_lt_u32_e32 vcc, v47, v18
	v_lshlrev_b32_e32 v26, 1, v47
	v_mov_b32_e32 v27, 0
	v_cndmask_b32_e32 v15, v5, v7, vcc
	v_cndmask_b32_e32 v14, v4, v6, vcc
	v_lshl_add_u64 v[14:15], v[14:15], 0, v[26:27]
	s_waitcnt lgkmcnt(14)
	global_store_short v[14:15], v48, off
	s_or_b64 exec, exec, s[0:1]
	v_cmp_gt_u32_e32 vcc, s33, v45
	s_and_saveexec_b64 s[0:1], vcc
	s_cbranch_execz .LBB450_172
.LBB450_205:
	v_cmp_lt_u32_e32 vcc, v45, v18
	v_lshlrev_b32_e32 v26, 1, v45
	v_mov_b32_e32 v27, 0
	v_cndmask_b32_e32 v15, v5, v7, vcc
	v_cndmask_b32_e32 v14, v4, v6, vcc
	v_lshl_add_u64 v[14:15], v[14:15], 0, v[26:27]
	s_waitcnt lgkmcnt(14)
	global_store_short v[14:15], v46, off
	s_or_b64 exec, exec, s[0:1]
	v_cmp_gt_u32_e32 vcc, s33, v43
	s_and_saveexec_b64 s[0:1], vcc
	s_cbranch_execz .LBB450_173
.LBB450_206:
	v_cmp_lt_u32_e32 vcc, v43, v18
	v_lshlrev_b32_e32 v26, 1, v43
	v_mov_b32_e32 v27, 0
	v_cndmask_b32_e32 v15, v5, v7, vcc
	v_cndmask_b32_e32 v14, v4, v6, vcc
	v_lshl_add_u64 v[14:15], v[14:15], 0, v[26:27]
	s_waitcnt lgkmcnt(14)
	global_store_short v[14:15], v44, off
	s_or_b64 exec, exec, s[0:1]
	v_cmp_gt_u32_e32 vcc, s33, v41
	s_and_saveexec_b64 s[0:1], vcc
	s_cbranch_execz .LBB450_174
.LBB450_207:
	v_cmp_lt_u32_e32 vcc, v41, v18
	v_lshlrev_b32_e32 v26, 1, v41
	v_mov_b32_e32 v27, 0
	v_cndmask_b32_e32 v15, v5, v7, vcc
	v_cndmask_b32_e32 v14, v4, v6, vcc
	v_lshl_add_u64 v[14:15], v[14:15], 0, v[26:27]
	s_waitcnt lgkmcnt(14)
	global_store_short v[14:15], v42, off
	s_or_b64 exec, exec, s[0:1]
	v_cmp_gt_u32_e32 vcc, s33, v39
	s_and_saveexec_b64 s[0:1], vcc
	s_cbranch_execz .LBB450_175
.LBB450_208:
	v_cmp_lt_u32_e32 vcc, v39, v18
	v_lshlrev_b32_e32 v26, 1, v39
	v_mov_b32_e32 v27, 0
	v_cndmask_b32_e32 v15, v5, v7, vcc
	v_cndmask_b32_e32 v14, v4, v6, vcc
	v_lshl_add_u64 v[14:15], v[14:15], 0, v[26:27]
	s_waitcnt lgkmcnt(13)
	global_store_short v[14:15], v40, off
	s_or_b64 exec, exec, s[0:1]
	v_cmp_gt_u32_e32 vcc, s33, v37
	s_and_saveexec_b64 s[0:1], vcc
	s_cbranch_execz .LBB450_176
.LBB450_209:
	v_cmp_lt_u32_e32 vcc, v37, v18
	v_lshlrev_b32_e32 v26, 1, v37
	v_mov_b32_e32 v27, 0
	v_cndmask_b32_e32 v15, v5, v7, vcc
	v_cndmask_b32_e32 v14, v4, v6, vcc
	v_lshl_add_u64 v[14:15], v[14:15], 0, v[26:27]
	s_waitcnt lgkmcnt(12)
	global_store_short v[14:15], v38, off
	s_or_b64 exec, exec, s[0:1]
	v_cmp_gt_u32_e32 vcc, s33, v35
	s_and_saveexec_b64 s[0:1], vcc
	s_cbranch_execz .LBB450_177
.LBB450_210:
	v_cmp_lt_u32_e32 vcc, v35, v18
	v_lshlrev_b32_e32 v26, 1, v35
	v_mov_b32_e32 v27, 0
	v_cndmask_b32_e32 v15, v5, v7, vcc
	v_cndmask_b32_e32 v14, v4, v6, vcc
	v_lshl_add_u64 v[14:15], v[14:15], 0, v[26:27]
	s_waitcnt lgkmcnt(11)
	global_store_short v[14:15], v36, off
	s_or_b64 exec, exec, s[0:1]
	v_cmp_gt_u32_e32 vcc, s33, v33
	s_and_saveexec_b64 s[0:1], vcc
	s_cbranch_execz .LBB450_178
.LBB450_211:
	v_cmp_lt_u32_e32 vcc, v33, v18
	v_lshlrev_b32_e32 v26, 1, v33
	v_mov_b32_e32 v27, 0
	v_cndmask_b32_e32 v15, v5, v7, vcc
	v_cndmask_b32_e32 v14, v4, v6, vcc
	v_lshl_add_u64 v[14:15], v[14:15], 0, v[26:27]
	s_waitcnt lgkmcnt(10)
	global_store_short v[14:15], v34, off
	s_or_b64 exec, exec, s[0:1]
	v_cmp_gt_u32_e32 vcc, s33, v31
	s_and_saveexec_b64 s[0:1], vcc
	s_cbranch_execz .LBB450_179
.LBB450_212:
	v_cmp_lt_u32_e32 vcc, v31, v18
	v_lshlrev_b32_e32 v26, 1, v31
	v_mov_b32_e32 v27, 0
	v_cndmask_b32_e32 v15, v5, v7, vcc
	v_cndmask_b32_e32 v14, v4, v6, vcc
	v_lshl_add_u64 v[14:15], v[14:15], 0, v[26:27]
	s_waitcnt lgkmcnt(9)
	global_store_short v[14:15], v32, off
	s_or_b64 exec, exec, s[0:1]
	v_cmp_gt_u32_e32 vcc, s33, v29
	s_and_saveexec_b64 s[0:1], vcc
	s_cbranch_execz .LBB450_180
.LBB450_213:
	v_cmp_lt_u32_e32 vcc, v29, v18
	v_lshlrev_b32_e32 v26, 1, v29
	v_mov_b32_e32 v27, 0
	v_cndmask_b32_e32 v15, v5, v7, vcc
	v_cndmask_b32_e32 v14, v4, v6, vcc
	v_lshl_add_u64 v[14:15], v[14:15], 0, v[26:27]
	s_waitcnt lgkmcnt(8)
	global_store_short v[14:15], v30, off
	s_or_b64 exec, exec, s[0:1]
	v_cmp_gt_u32_e32 vcc, s33, v25
	s_and_saveexec_b64 s[0:1], vcc
	s_cbranch_execz .LBB450_181
.LBB450_214:
	v_cmp_lt_u32_e32 vcc, v25, v18
	v_lshlrev_b32_e32 v26, 1, v25
	v_mov_b32_e32 v27, 0
	v_cndmask_b32_e32 v15, v5, v7, vcc
	v_cndmask_b32_e32 v14, v4, v6, vcc
	v_lshl_add_u64 v[14:15], v[14:15], 0, v[26:27]
	s_waitcnt lgkmcnt(7)
	global_store_short v[14:15], v28, off
	s_or_b64 exec, exec, s[0:1]
	v_cmp_gt_u32_e32 vcc, s33, v23
	s_and_saveexec_b64 s[0:1], vcc
	s_cbranch_execz .LBB450_182
.LBB450_215:
	v_cmp_lt_u32_e32 vcc, v23, v18
	v_lshlrev_b32_e32 v26, 1, v23
	v_mov_b32_e32 v27, 0
	v_cndmask_b32_e32 v15, v5, v7, vcc
	v_cndmask_b32_e32 v14, v4, v6, vcc
	v_lshl_add_u64 v[14:15], v[14:15], 0, v[26:27]
	s_waitcnt lgkmcnt(6)
	global_store_short v[14:15], v24, off
	s_or_b64 exec, exec, s[0:1]
	v_cmp_gt_u32_e32 vcc, s33, v21
	s_and_saveexec_b64 s[0:1], vcc
	s_cbranch_execz .LBB450_183
.LBB450_216:
	v_cmp_lt_u32_e32 vcc, v21, v18
	s_waitcnt lgkmcnt(6)
	v_lshlrev_b32_e32 v24, 1, v21
	v_mov_b32_e32 v25, 0
	v_cndmask_b32_e32 v15, v5, v7, vcc
	v_cndmask_b32_e32 v14, v4, v6, vcc
	v_lshl_add_u64 v[14:15], v[14:15], 0, v[24:25]
	s_waitcnt lgkmcnt(5)
	global_store_short v[14:15], v22, off
	s_or_b64 exec, exec, s[0:1]
	v_cmp_gt_u32_e32 vcc, s33, v17
	s_and_saveexec_b64 s[0:1], vcc
	s_cbranch_execz .LBB450_184
.LBB450_217:
	v_cmp_lt_u32_e32 vcc, v17, v18
	s_waitcnt lgkmcnt(5)
	v_lshlrev_b32_e32 v22, 1, v17
	v_mov_b32_e32 v23, 0
	v_cndmask_b32_e32 v15, v5, v7, vcc
	v_cndmask_b32_e32 v14, v4, v6, vcc
	v_lshl_add_u64 v[14:15], v[14:15], 0, v[22:23]
	s_waitcnt lgkmcnt(4)
	global_store_short v[14:15], v20, off
	s_or_b64 exec, exec, s[0:1]
	v_cmp_gt_u32_e32 vcc, s33, v13
	s_and_saveexec_b64 s[0:1], vcc
	s_cbranch_execz .LBB450_185
.LBB450_218:
	v_cmp_lt_u32_e32 vcc, v13, v18
	s_waitcnt lgkmcnt(4)
	v_lshlrev_b32_e32 v20, 1, v13
	v_mov_b32_e32 v21, 0
	v_cndmask_b32_e32 v15, v5, v7, vcc
	v_cndmask_b32_e32 v14, v4, v6, vcc
	v_lshl_add_u64 v[14:15], v[14:15], 0, v[20:21]
	s_waitcnt lgkmcnt(3)
	global_store_short v[14:15], v16, off
	s_or_b64 exec, exec, s[0:1]
	v_cmp_gt_u32_e32 vcc, s33, v11
	s_and_saveexec_b64 s[0:1], vcc
	s_cbranch_execz .LBB450_186
.LBB450_219:
	v_cmp_lt_u32_e32 vcc, v11, v18
	s_waitcnt lgkmcnt(3)
	v_lshlrev_b32_e32 v16, 1, v11
	v_mov_b32_e32 v17, 0
	v_cndmask_b32_e32 v15, v5, v7, vcc
	v_cndmask_b32_e32 v14, v4, v6, vcc
	v_lshl_add_u64 v[14:15], v[14:15], 0, v[16:17]
	s_waitcnt lgkmcnt(2)
	global_store_short v[14:15], v12, off
	s_or_b64 exec, exec, s[0:1]
	v_cmp_gt_u32_e32 vcc, s33, v10
	s_and_saveexec_b64 s[0:1], vcc
	s_cbranch_execnz .LBB450_187
	s_branch .LBB450_188
	.section	.rodata,"a",@progbits
	.p2align	6, 0x0
	.amdhsa_kernel _ZN7rocprim17ROCPRIM_400000_NS6detail17trampoline_kernelINS0_14default_configENS1_25partition_config_selectorILNS1_17partition_subalgoE1EsNS0_10empty_typeEbEEZZNS1_14partition_implILS5_1ELb0ES3_jN6thrust23THRUST_200600_302600_NS6detail15normal_iteratorINSA_10device_ptrIsEEEEPS6_NSA_18transform_iteratorI7is_evenIsESF_NSA_11use_defaultESK_EENS0_5tupleIJSF_SF_EEENSM_IJSG_SG_EEES6_PlJS6_EEE10hipError_tPvRmT3_T4_T5_T6_T7_T9_mT8_P12ihipStream_tbDpT10_ENKUlT_T0_E_clISt17integral_constantIbLb0EES19_EEDaS14_S15_EUlS14_E_NS1_11comp_targetILNS1_3genE5ELNS1_11target_archE942ELNS1_3gpuE9ELNS1_3repE0EEENS1_30default_config_static_selectorELNS0_4arch9wavefront6targetE1EEEvT1_
		.amdhsa_group_segment_fixed_size 28680
		.amdhsa_private_segment_fixed_size 0
		.amdhsa_kernarg_size 128
		.amdhsa_user_sgpr_count 2
		.amdhsa_user_sgpr_dispatch_ptr 0
		.amdhsa_user_sgpr_queue_ptr 0
		.amdhsa_user_sgpr_kernarg_segment_ptr 1
		.amdhsa_user_sgpr_dispatch_id 0
		.amdhsa_user_sgpr_kernarg_preload_length 0
		.amdhsa_user_sgpr_kernarg_preload_offset 0
		.amdhsa_user_sgpr_private_segment_size 0
		.amdhsa_uses_dynamic_stack 0
		.amdhsa_enable_private_segment 0
		.amdhsa_system_sgpr_workgroup_id_x 1
		.amdhsa_system_sgpr_workgroup_id_y 0
		.amdhsa_system_sgpr_workgroup_id_z 0
		.amdhsa_system_sgpr_workgroup_info 0
		.amdhsa_system_vgpr_workitem_id 0
		.amdhsa_next_free_vgpr 79
		.amdhsa_next_free_sgpr 44
		.amdhsa_accum_offset 80
		.amdhsa_reserve_vcc 1
		.amdhsa_float_round_mode_32 0
		.amdhsa_float_round_mode_16_64 0
		.amdhsa_float_denorm_mode_32 3
		.amdhsa_float_denorm_mode_16_64 3
		.amdhsa_dx10_clamp 1
		.amdhsa_ieee_mode 1
		.amdhsa_fp16_overflow 0
		.amdhsa_tg_split 0
		.amdhsa_exception_fp_ieee_invalid_op 0
		.amdhsa_exception_fp_denorm_src 0
		.amdhsa_exception_fp_ieee_div_zero 0
		.amdhsa_exception_fp_ieee_overflow 0
		.amdhsa_exception_fp_ieee_underflow 0
		.amdhsa_exception_fp_ieee_inexact 0
		.amdhsa_exception_int_div_zero 0
	.end_amdhsa_kernel
	.section	.text._ZN7rocprim17ROCPRIM_400000_NS6detail17trampoline_kernelINS0_14default_configENS1_25partition_config_selectorILNS1_17partition_subalgoE1EsNS0_10empty_typeEbEEZZNS1_14partition_implILS5_1ELb0ES3_jN6thrust23THRUST_200600_302600_NS6detail15normal_iteratorINSA_10device_ptrIsEEEEPS6_NSA_18transform_iteratorI7is_evenIsESF_NSA_11use_defaultESK_EENS0_5tupleIJSF_SF_EEENSM_IJSG_SG_EEES6_PlJS6_EEE10hipError_tPvRmT3_T4_T5_T6_T7_T9_mT8_P12ihipStream_tbDpT10_ENKUlT_T0_E_clISt17integral_constantIbLb0EES19_EEDaS14_S15_EUlS14_E_NS1_11comp_targetILNS1_3genE5ELNS1_11target_archE942ELNS1_3gpuE9ELNS1_3repE0EEENS1_30default_config_static_selectorELNS0_4arch9wavefront6targetE1EEEvT1_,"axG",@progbits,_ZN7rocprim17ROCPRIM_400000_NS6detail17trampoline_kernelINS0_14default_configENS1_25partition_config_selectorILNS1_17partition_subalgoE1EsNS0_10empty_typeEbEEZZNS1_14partition_implILS5_1ELb0ES3_jN6thrust23THRUST_200600_302600_NS6detail15normal_iteratorINSA_10device_ptrIsEEEEPS6_NSA_18transform_iteratorI7is_evenIsESF_NSA_11use_defaultESK_EENS0_5tupleIJSF_SF_EEENSM_IJSG_SG_EEES6_PlJS6_EEE10hipError_tPvRmT3_T4_T5_T6_T7_T9_mT8_P12ihipStream_tbDpT10_ENKUlT_T0_E_clISt17integral_constantIbLb0EES19_EEDaS14_S15_EUlS14_E_NS1_11comp_targetILNS1_3genE5ELNS1_11target_archE942ELNS1_3gpuE9ELNS1_3repE0EEENS1_30default_config_static_selectorELNS0_4arch9wavefront6targetE1EEEvT1_,comdat
.Lfunc_end450:
	.size	_ZN7rocprim17ROCPRIM_400000_NS6detail17trampoline_kernelINS0_14default_configENS1_25partition_config_selectorILNS1_17partition_subalgoE1EsNS0_10empty_typeEbEEZZNS1_14partition_implILS5_1ELb0ES3_jN6thrust23THRUST_200600_302600_NS6detail15normal_iteratorINSA_10device_ptrIsEEEEPS6_NSA_18transform_iteratorI7is_evenIsESF_NSA_11use_defaultESK_EENS0_5tupleIJSF_SF_EEENSM_IJSG_SG_EEES6_PlJS6_EEE10hipError_tPvRmT3_T4_T5_T6_T7_T9_mT8_P12ihipStream_tbDpT10_ENKUlT_T0_E_clISt17integral_constantIbLb0EES19_EEDaS14_S15_EUlS14_E_NS1_11comp_targetILNS1_3genE5ELNS1_11target_archE942ELNS1_3gpuE9ELNS1_3repE0EEENS1_30default_config_static_selectorELNS0_4arch9wavefront6targetE1EEEvT1_, .Lfunc_end450-_ZN7rocprim17ROCPRIM_400000_NS6detail17trampoline_kernelINS0_14default_configENS1_25partition_config_selectorILNS1_17partition_subalgoE1EsNS0_10empty_typeEbEEZZNS1_14partition_implILS5_1ELb0ES3_jN6thrust23THRUST_200600_302600_NS6detail15normal_iteratorINSA_10device_ptrIsEEEEPS6_NSA_18transform_iteratorI7is_evenIsESF_NSA_11use_defaultESK_EENS0_5tupleIJSF_SF_EEENSM_IJSG_SG_EEES6_PlJS6_EEE10hipError_tPvRmT3_T4_T5_T6_T7_T9_mT8_P12ihipStream_tbDpT10_ENKUlT_T0_E_clISt17integral_constantIbLb0EES19_EEDaS14_S15_EUlS14_E_NS1_11comp_targetILNS1_3genE5ELNS1_11target_archE942ELNS1_3gpuE9ELNS1_3repE0EEENS1_30default_config_static_selectorELNS0_4arch9wavefront6targetE1EEEvT1_
                                        ; -- End function
	.section	.AMDGPU.csdata,"",@progbits
; Kernel info:
; codeLenInByte = 12000
; NumSgprs: 50
; NumVgprs: 79
; NumAgprs: 0
; TotalNumVgprs: 79
; ScratchSize: 0
; MemoryBound: 0
; FloatMode: 240
; IeeeMode: 1
; LDSByteSize: 28680 bytes/workgroup (compile time only)
; SGPRBlocks: 6
; VGPRBlocks: 9
; NumSGPRsForWavesPerEU: 50
; NumVGPRsForWavesPerEU: 79
; AccumOffset: 80
; Occupancy: 4
; WaveLimiterHint : 1
; COMPUTE_PGM_RSRC2:SCRATCH_EN: 0
; COMPUTE_PGM_RSRC2:USER_SGPR: 2
; COMPUTE_PGM_RSRC2:TRAP_HANDLER: 0
; COMPUTE_PGM_RSRC2:TGID_X_EN: 1
; COMPUTE_PGM_RSRC2:TGID_Y_EN: 0
; COMPUTE_PGM_RSRC2:TGID_Z_EN: 0
; COMPUTE_PGM_RSRC2:TIDIG_COMP_CNT: 0
; COMPUTE_PGM_RSRC3_GFX90A:ACCUM_OFFSET: 19
; COMPUTE_PGM_RSRC3_GFX90A:TG_SPLIT: 0
	.section	.text._ZN7rocprim17ROCPRIM_400000_NS6detail17trampoline_kernelINS0_14default_configENS1_25partition_config_selectorILNS1_17partition_subalgoE1EsNS0_10empty_typeEbEEZZNS1_14partition_implILS5_1ELb0ES3_jN6thrust23THRUST_200600_302600_NS6detail15normal_iteratorINSA_10device_ptrIsEEEEPS6_NSA_18transform_iteratorI7is_evenIsESF_NSA_11use_defaultESK_EENS0_5tupleIJSF_SF_EEENSM_IJSG_SG_EEES6_PlJS6_EEE10hipError_tPvRmT3_T4_T5_T6_T7_T9_mT8_P12ihipStream_tbDpT10_ENKUlT_T0_E_clISt17integral_constantIbLb0EES19_EEDaS14_S15_EUlS14_E_NS1_11comp_targetILNS1_3genE4ELNS1_11target_archE910ELNS1_3gpuE8ELNS1_3repE0EEENS1_30default_config_static_selectorELNS0_4arch9wavefront6targetE1EEEvT1_,"axG",@progbits,_ZN7rocprim17ROCPRIM_400000_NS6detail17trampoline_kernelINS0_14default_configENS1_25partition_config_selectorILNS1_17partition_subalgoE1EsNS0_10empty_typeEbEEZZNS1_14partition_implILS5_1ELb0ES3_jN6thrust23THRUST_200600_302600_NS6detail15normal_iteratorINSA_10device_ptrIsEEEEPS6_NSA_18transform_iteratorI7is_evenIsESF_NSA_11use_defaultESK_EENS0_5tupleIJSF_SF_EEENSM_IJSG_SG_EEES6_PlJS6_EEE10hipError_tPvRmT3_T4_T5_T6_T7_T9_mT8_P12ihipStream_tbDpT10_ENKUlT_T0_E_clISt17integral_constantIbLb0EES19_EEDaS14_S15_EUlS14_E_NS1_11comp_targetILNS1_3genE4ELNS1_11target_archE910ELNS1_3gpuE8ELNS1_3repE0EEENS1_30default_config_static_selectorELNS0_4arch9wavefront6targetE1EEEvT1_,comdat
	.protected	_ZN7rocprim17ROCPRIM_400000_NS6detail17trampoline_kernelINS0_14default_configENS1_25partition_config_selectorILNS1_17partition_subalgoE1EsNS0_10empty_typeEbEEZZNS1_14partition_implILS5_1ELb0ES3_jN6thrust23THRUST_200600_302600_NS6detail15normal_iteratorINSA_10device_ptrIsEEEEPS6_NSA_18transform_iteratorI7is_evenIsESF_NSA_11use_defaultESK_EENS0_5tupleIJSF_SF_EEENSM_IJSG_SG_EEES6_PlJS6_EEE10hipError_tPvRmT3_T4_T5_T6_T7_T9_mT8_P12ihipStream_tbDpT10_ENKUlT_T0_E_clISt17integral_constantIbLb0EES19_EEDaS14_S15_EUlS14_E_NS1_11comp_targetILNS1_3genE4ELNS1_11target_archE910ELNS1_3gpuE8ELNS1_3repE0EEENS1_30default_config_static_selectorELNS0_4arch9wavefront6targetE1EEEvT1_ ; -- Begin function _ZN7rocprim17ROCPRIM_400000_NS6detail17trampoline_kernelINS0_14default_configENS1_25partition_config_selectorILNS1_17partition_subalgoE1EsNS0_10empty_typeEbEEZZNS1_14partition_implILS5_1ELb0ES3_jN6thrust23THRUST_200600_302600_NS6detail15normal_iteratorINSA_10device_ptrIsEEEEPS6_NSA_18transform_iteratorI7is_evenIsESF_NSA_11use_defaultESK_EENS0_5tupleIJSF_SF_EEENSM_IJSG_SG_EEES6_PlJS6_EEE10hipError_tPvRmT3_T4_T5_T6_T7_T9_mT8_P12ihipStream_tbDpT10_ENKUlT_T0_E_clISt17integral_constantIbLb0EES19_EEDaS14_S15_EUlS14_E_NS1_11comp_targetILNS1_3genE4ELNS1_11target_archE910ELNS1_3gpuE8ELNS1_3repE0EEENS1_30default_config_static_selectorELNS0_4arch9wavefront6targetE1EEEvT1_
	.globl	_ZN7rocprim17ROCPRIM_400000_NS6detail17trampoline_kernelINS0_14default_configENS1_25partition_config_selectorILNS1_17partition_subalgoE1EsNS0_10empty_typeEbEEZZNS1_14partition_implILS5_1ELb0ES3_jN6thrust23THRUST_200600_302600_NS6detail15normal_iteratorINSA_10device_ptrIsEEEEPS6_NSA_18transform_iteratorI7is_evenIsESF_NSA_11use_defaultESK_EENS0_5tupleIJSF_SF_EEENSM_IJSG_SG_EEES6_PlJS6_EEE10hipError_tPvRmT3_T4_T5_T6_T7_T9_mT8_P12ihipStream_tbDpT10_ENKUlT_T0_E_clISt17integral_constantIbLb0EES19_EEDaS14_S15_EUlS14_E_NS1_11comp_targetILNS1_3genE4ELNS1_11target_archE910ELNS1_3gpuE8ELNS1_3repE0EEENS1_30default_config_static_selectorELNS0_4arch9wavefront6targetE1EEEvT1_
	.p2align	8
	.type	_ZN7rocprim17ROCPRIM_400000_NS6detail17trampoline_kernelINS0_14default_configENS1_25partition_config_selectorILNS1_17partition_subalgoE1EsNS0_10empty_typeEbEEZZNS1_14partition_implILS5_1ELb0ES3_jN6thrust23THRUST_200600_302600_NS6detail15normal_iteratorINSA_10device_ptrIsEEEEPS6_NSA_18transform_iteratorI7is_evenIsESF_NSA_11use_defaultESK_EENS0_5tupleIJSF_SF_EEENSM_IJSG_SG_EEES6_PlJS6_EEE10hipError_tPvRmT3_T4_T5_T6_T7_T9_mT8_P12ihipStream_tbDpT10_ENKUlT_T0_E_clISt17integral_constantIbLb0EES19_EEDaS14_S15_EUlS14_E_NS1_11comp_targetILNS1_3genE4ELNS1_11target_archE910ELNS1_3gpuE8ELNS1_3repE0EEENS1_30default_config_static_selectorELNS0_4arch9wavefront6targetE1EEEvT1_,@function
_ZN7rocprim17ROCPRIM_400000_NS6detail17trampoline_kernelINS0_14default_configENS1_25partition_config_selectorILNS1_17partition_subalgoE1EsNS0_10empty_typeEbEEZZNS1_14partition_implILS5_1ELb0ES3_jN6thrust23THRUST_200600_302600_NS6detail15normal_iteratorINSA_10device_ptrIsEEEEPS6_NSA_18transform_iteratorI7is_evenIsESF_NSA_11use_defaultESK_EENS0_5tupleIJSF_SF_EEENSM_IJSG_SG_EEES6_PlJS6_EEE10hipError_tPvRmT3_T4_T5_T6_T7_T9_mT8_P12ihipStream_tbDpT10_ENKUlT_T0_E_clISt17integral_constantIbLb0EES19_EEDaS14_S15_EUlS14_E_NS1_11comp_targetILNS1_3genE4ELNS1_11target_archE910ELNS1_3gpuE8ELNS1_3repE0EEENS1_30default_config_static_selectorELNS0_4arch9wavefront6targetE1EEEvT1_: ; @_ZN7rocprim17ROCPRIM_400000_NS6detail17trampoline_kernelINS0_14default_configENS1_25partition_config_selectorILNS1_17partition_subalgoE1EsNS0_10empty_typeEbEEZZNS1_14partition_implILS5_1ELb0ES3_jN6thrust23THRUST_200600_302600_NS6detail15normal_iteratorINSA_10device_ptrIsEEEEPS6_NSA_18transform_iteratorI7is_evenIsESF_NSA_11use_defaultESK_EENS0_5tupleIJSF_SF_EEENSM_IJSG_SG_EEES6_PlJS6_EEE10hipError_tPvRmT3_T4_T5_T6_T7_T9_mT8_P12ihipStream_tbDpT10_ENKUlT_T0_E_clISt17integral_constantIbLb0EES19_EEDaS14_S15_EUlS14_E_NS1_11comp_targetILNS1_3genE4ELNS1_11target_archE910ELNS1_3gpuE8ELNS1_3repE0EEENS1_30default_config_static_selectorELNS0_4arch9wavefront6targetE1EEEvT1_
; %bb.0:
	.section	.rodata,"a",@progbits
	.p2align	6, 0x0
	.amdhsa_kernel _ZN7rocprim17ROCPRIM_400000_NS6detail17trampoline_kernelINS0_14default_configENS1_25partition_config_selectorILNS1_17partition_subalgoE1EsNS0_10empty_typeEbEEZZNS1_14partition_implILS5_1ELb0ES3_jN6thrust23THRUST_200600_302600_NS6detail15normal_iteratorINSA_10device_ptrIsEEEEPS6_NSA_18transform_iteratorI7is_evenIsESF_NSA_11use_defaultESK_EENS0_5tupleIJSF_SF_EEENSM_IJSG_SG_EEES6_PlJS6_EEE10hipError_tPvRmT3_T4_T5_T6_T7_T9_mT8_P12ihipStream_tbDpT10_ENKUlT_T0_E_clISt17integral_constantIbLb0EES19_EEDaS14_S15_EUlS14_E_NS1_11comp_targetILNS1_3genE4ELNS1_11target_archE910ELNS1_3gpuE8ELNS1_3repE0EEENS1_30default_config_static_selectorELNS0_4arch9wavefront6targetE1EEEvT1_
		.amdhsa_group_segment_fixed_size 0
		.amdhsa_private_segment_fixed_size 0
		.amdhsa_kernarg_size 128
		.amdhsa_user_sgpr_count 2
		.amdhsa_user_sgpr_dispatch_ptr 0
		.amdhsa_user_sgpr_queue_ptr 0
		.amdhsa_user_sgpr_kernarg_segment_ptr 1
		.amdhsa_user_sgpr_dispatch_id 0
		.amdhsa_user_sgpr_kernarg_preload_length 0
		.amdhsa_user_sgpr_kernarg_preload_offset 0
		.amdhsa_user_sgpr_private_segment_size 0
		.amdhsa_uses_dynamic_stack 0
		.amdhsa_enable_private_segment 0
		.amdhsa_system_sgpr_workgroup_id_x 1
		.amdhsa_system_sgpr_workgroup_id_y 0
		.amdhsa_system_sgpr_workgroup_id_z 0
		.amdhsa_system_sgpr_workgroup_info 0
		.amdhsa_system_vgpr_workitem_id 0
		.amdhsa_next_free_vgpr 1
		.amdhsa_next_free_sgpr 0
		.amdhsa_accum_offset 4
		.amdhsa_reserve_vcc 0
		.amdhsa_float_round_mode_32 0
		.amdhsa_float_round_mode_16_64 0
		.amdhsa_float_denorm_mode_32 3
		.amdhsa_float_denorm_mode_16_64 3
		.amdhsa_dx10_clamp 1
		.amdhsa_ieee_mode 1
		.amdhsa_fp16_overflow 0
		.amdhsa_tg_split 0
		.amdhsa_exception_fp_ieee_invalid_op 0
		.amdhsa_exception_fp_denorm_src 0
		.amdhsa_exception_fp_ieee_div_zero 0
		.amdhsa_exception_fp_ieee_overflow 0
		.amdhsa_exception_fp_ieee_underflow 0
		.amdhsa_exception_fp_ieee_inexact 0
		.amdhsa_exception_int_div_zero 0
	.end_amdhsa_kernel
	.section	.text._ZN7rocprim17ROCPRIM_400000_NS6detail17trampoline_kernelINS0_14default_configENS1_25partition_config_selectorILNS1_17partition_subalgoE1EsNS0_10empty_typeEbEEZZNS1_14partition_implILS5_1ELb0ES3_jN6thrust23THRUST_200600_302600_NS6detail15normal_iteratorINSA_10device_ptrIsEEEEPS6_NSA_18transform_iteratorI7is_evenIsESF_NSA_11use_defaultESK_EENS0_5tupleIJSF_SF_EEENSM_IJSG_SG_EEES6_PlJS6_EEE10hipError_tPvRmT3_T4_T5_T6_T7_T9_mT8_P12ihipStream_tbDpT10_ENKUlT_T0_E_clISt17integral_constantIbLb0EES19_EEDaS14_S15_EUlS14_E_NS1_11comp_targetILNS1_3genE4ELNS1_11target_archE910ELNS1_3gpuE8ELNS1_3repE0EEENS1_30default_config_static_selectorELNS0_4arch9wavefront6targetE1EEEvT1_,"axG",@progbits,_ZN7rocprim17ROCPRIM_400000_NS6detail17trampoline_kernelINS0_14default_configENS1_25partition_config_selectorILNS1_17partition_subalgoE1EsNS0_10empty_typeEbEEZZNS1_14partition_implILS5_1ELb0ES3_jN6thrust23THRUST_200600_302600_NS6detail15normal_iteratorINSA_10device_ptrIsEEEEPS6_NSA_18transform_iteratorI7is_evenIsESF_NSA_11use_defaultESK_EENS0_5tupleIJSF_SF_EEENSM_IJSG_SG_EEES6_PlJS6_EEE10hipError_tPvRmT3_T4_T5_T6_T7_T9_mT8_P12ihipStream_tbDpT10_ENKUlT_T0_E_clISt17integral_constantIbLb0EES19_EEDaS14_S15_EUlS14_E_NS1_11comp_targetILNS1_3genE4ELNS1_11target_archE910ELNS1_3gpuE8ELNS1_3repE0EEENS1_30default_config_static_selectorELNS0_4arch9wavefront6targetE1EEEvT1_,comdat
.Lfunc_end451:
	.size	_ZN7rocprim17ROCPRIM_400000_NS6detail17trampoline_kernelINS0_14default_configENS1_25partition_config_selectorILNS1_17partition_subalgoE1EsNS0_10empty_typeEbEEZZNS1_14partition_implILS5_1ELb0ES3_jN6thrust23THRUST_200600_302600_NS6detail15normal_iteratorINSA_10device_ptrIsEEEEPS6_NSA_18transform_iteratorI7is_evenIsESF_NSA_11use_defaultESK_EENS0_5tupleIJSF_SF_EEENSM_IJSG_SG_EEES6_PlJS6_EEE10hipError_tPvRmT3_T4_T5_T6_T7_T9_mT8_P12ihipStream_tbDpT10_ENKUlT_T0_E_clISt17integral_constantIbLb0EES19_EEDaS14_S15_EUlS14_E_NS1_11comp_targetILNS1_3genE4ELNS1_11target_archE910ELNS1_3gpuE8ELNS1_3repE0EEENS1_30default_config_static_selectorELNS0_4arch9wavefront6targetE1EEEvT1_, .Lfunc_end451-_ZN7rocprim17ROCPRIM_400000_NS6detail17trampoline_kernelINS0_14default_configENS1_25partition_config_selectorILNS1_17partition_subalgoE1EsNS0_10empty_typeEbEEZZNS1_14partition_implILS5_1ELb0ES3_jN6thrust23THRUST_200600_302600_NS6detail15normal_iteratorINSA_10device_ptrIsEEEEPS6_NSA_18transform_iteratorI7is_evenIsESF_NSA_11use_defaultESK_EENS0_5tupleIJSF_SF_EEENSM_IJSG_SG_EEES6_PlJS6_EEE10hipError_tPvRmT3_T4_T5_T6_T7_T9_mT8_P12ihipStream_tbDpT10_ENKUlT_T0_E_clISt17integral_constantIbLb0EES19_EEDaS14_S15_EUlS14_E_NS1_11comp_targetILNS1_3genE4ELNS1_11target_archE910ELNS1_3gpuE8ELNS1_3repE0EEENS1_30default_config_static_selectorELNS0_4arch9wavefront6targetE1EEEvT1_
                                        ; -- End function
	.section	.AMDGPU.csdata,"",@progbits
; Kernel info:
; codeLenInByte = 0
; NumSgprs: 6
; NumVgprs: 0
; NumAgprs: 0
; TotalNumVgprs: 0
; ScratchSize: 0
; MemoryBound: 0
; FloatMode: 240
; IeeeMode: 1
; LDSByteSize: 0 bytes/workgroup (compile time only)
; SGPRBlocks: 0
; VGPRBlocks: 0
; NumSGPRsForWavesPerEU: 6
; NumVGPRsForWavesPerEU: 1
; AccumOffset: 4
; Occupancy: 8
; WaveLimiterHint : 0
; COMPUTE_PGM_RSRC2:SCRATCH_EN: 0
; COMPUTE_PGM_RSRC2:USER_SGPR: 2
; COMPUTE_PGM_RSRC2:TRAP_HANDLER: 0
; COMPUTE_PGM_RSRC2:TGID_X_EN: 1
; COMPUTE_PGM_RSRC2:TGID_Y_EN: 0
; COMPUTE_PGM_RSRC2:TGID_Z_EN: 0
; COMPUTE_PGM_RSRC2:TIDIG_COMP_CNT: 0
; COMPUTE_PGM_RSRC3_GFX90A:ACCUM_OFFSET: 0
; COMPUTE_PGM_RSRC3_GFX90A:TG_SPLIT: 0
	.section	.text._ZN7rocprim17ROCPRIM_400000_NS6detail17trampoline_kernelINS0_14default_configENS1_25partition_config_selectorILNS1_17partition_subalgoE1EsNS0_10empty_typeEbEEZZNS1_14partition_implILS5_1ELb0ES3_jN6thrust23THRUST_200600_302600_NS6detail15normal_iteratorINSA_10device_ptrIsEEEEPS6_NSA_18transform_iteratorI7is_evenIsESF_NSA_11use_defaultESK_EENS0_5tupleIJSF_SF_EEENSM_IJSG_SG_EEES6_PlJS6_EEE10hipError_tPvRmT3_T4_T5_T6_T7_T9_mT8_P12ihipStream_tbDpT10_ENKUlT_T0_E_clISt17integral_constantIbLb0EES19_EEDaS14_S15_EUlS14_E_NS1_11comp_targetILNS1_3genE3ELNS1_11target_archE908ELNS1_3gpuE7ELNS1_3repE0EEENS1_30default_config_static_selectorELNS0_4arch9wavefront6targetE1EEEvT1_,"axG",@progbits,_ZN7rocprim17ROCPRIM_400000_NS6detail17trampoline_kernelINS0_14default_configENS1_25partition_config_selectorILNS1_17partition_subalgoE1EsNS0_10empty_typeEbEEZZNS1_14partition_implILS5_1ELb0ES3_jN6thrust23THRUST_200600_302600_NS6detail15normal_iteratorINSA_10device_ptrIsEEEEPS6_NSA_18transform_iteratorI7is_evenIsESF_NSA_11use_defaultESK_EENS0_5tupleIJSF_SF_EEENSM_IJSG_SG_EEES6_PlJS6_EEE10hipError_tPvRmT3_T4_T5_T6_T7_T9_mT8_P12ihipStream_tbDpT10_ENKUlT_T0_E_clISt17integral_constantIbLb0EES19_EEDaS14_S15_EUlS14_E_NS1_11comp_targetILNS1_3genE3ELNS1_11target_archE908ELNS1_3gpuE7ELNS1_3repE0EEENS1_30default_config_static_selectorELNS0_4arch9wavefront6targetE1EEEvT1_,comdat
	.protected	_ZN7rocprim17ROCPRIM_400000_NS6detail17trampoline_kernelINS0_14default_configENS1_25partition_config_selectorILNS1_17partition_subalgoE1EsNS0_10empty_typeEbEEZZNS1_14partition_implILS5_1ELb0ES3_jN6thrust23THRUST_200600_302600_NS6detail15normal_iteratorINSA_10device_ptrIsEEEEPS6_NSA_18transform_iteratorI7is_evenIsESF_NSA_11use_defaultESK_EENS0_5tupleIJSF_SF_EEENSM_IJSG_SG_EEES6_PlJS6_EEE10hipError_tPvRmT3_T4_T5_T6_T7_T9_mT8_P12ihipStream_tbDpT10_ENKUlT_T0_E_clISt17integral_constantIbLb0EES19_EEDaS14_S15_EUlS14_E_NS1_11comp_targetILNS1_3genE3ELNS1_11target_archE908ELNS1_3gpuE7ELNS1_3repE0EEENS1_30default_config_static_selectorELNS0_4arch9wavefront6targetE1EEEvT1_ ; -- Begin function _ZN7rocprim17ROCPRIM_400000_NS6detail17trampoline_kernelINS0_14default_configENS1_25partition_config_selectorILNS1_17partition_subalgoE1EsNS0_10empty_typeEbEEZZNS1_14partition_implILS5_1ELb0ES3_jN6thrust23THRUST_200600_302600_NS6detail15normal_iteratorINSA_10device_ptrIsEEEEPS6_NSA_18transform_iteratorI7is_evenIsESF_NSA_11use_defaultESK_EENS0_5tupleIJSF_SF_EEENSM_IJSG_SG_EEES6_PlJS6_EEE10hipError_tPvRmT3_T4_T5_T6_T7_T9_mT8_P12ihipStream_tbDpT10_ENKUlT_T0_E_clISt17integral_constantIbLb0EES19_EEDaS14_S15_EUlS14_E_NS1_11comp_targetILNS1_3genE3ELNS1_11target_archE908ELNS1_3gpuE7ELNS1_3repE0EEENS1_30default_config_static_selectorELNS0_4arch9wavefront6targetE1EEEvT1_
	.globl	_ZN7rocprim17ROCPRIM_400000_NS6detail17trampoline_kernelINS0_14default_configENS1_25partition_config_selectorILNS1_17partition_subalgoE1EsNS0_10empty_typeEbEEZZNS1_14partition_implILS5_1ELb0ES3_jN6thrust23THRUST_200600_302600_NS6detail15normal_iteratorINSA_10device_ptrIsEEEEPS6_NSA_18transform_iteratorI7is_evenIsESF_NSA_11use_defaultESK_EENS0_5tupleIJSF_SF_EEENSM_IJSG_SG_EEES6_PlJS6_EEE10hipError_tPvRmT3_T4_T5_T6_T7_T9_mT8_P12ihipStream_tbDpT10_ENKUlT_T0_E_clISt17integral_constantIbLb0EES19_EEDaS14_S15_EUlS14_E_NS1_11comp_targetILNS1_3genE3ELNS1_11target_archE908ELNS1_3gpuE7ELNS1_3repE0EEENS1_30default_config_static_selectorELNS0_4arch9wavefront6targetE1EEEvT1_
	.p2align	8
	.type	_ZN7rocprim17ROCPRIM_400000_NS6detail17trampoline_kernelINS0_14default_configENS1_25partition_config_selectorILNS1_17partition_subalgoE1EsNS0_10empty_typeEbEEZZNS1_14partition_implILS5_1ELb0ES3_jN6thrust23THRUST_200600_302600_NS6detail15normal_iteratorINSA_10device_ptrIsEEEEPS6_NSA_18transform_iteratorI7is_evenIsESF_NSA_11use_defaultESK_EENS0_5tupleIJSF_SF_EEENSM_IJSG_SG_EEES6_PlJS6_EEE10hipError_tPvRmT3_T4_T5_T6_T7_T9_mT8_P12ihipStream_tbDpT10_ENKUlT_T0_E_clISt17integral_constantIbLb0EES19_EEDaS14_S15_EUlS14_E_NS1_11comp_targetILNS1_3genE3ELNS1_11target_archE908ELNS1_3gpuE7ELNS1_3repE0EEENS1_30default_config_static_selectorELNS0_4arch9wavefront6targetE1EEEvT1_,@function
_ZN7rocprim17ROCPRIM_400000_NS6detail17trampoline_kernelINS0_14default_configENS1_25partition_config_selectorILNS1_17partition_subalgoE1EsNS0_10empty_typeEbEEZZNS1_14partition_implILS5_1ELb0ES3_jN6thrust23THRUST_200600_302600_NS6detail15normal_iteratorINSA_10device_ptrIsEEEEPS6_NSA_18transform_iteratorI7is_evenIsESF_NSA_11use_defaultESK_EENS0_5tupleIJSF_SF_EEENSM_IJSG_SG_EEES6_PlJS6_EEE10hipError_tPvRmT3_T4_T5_T6_T7_T9_mT8_P12ihipStream_tbDpT10_ENKUlT_T0_E_clISt17integral_constantIbLb0EES19_EEDaS14_S15_EUlS14_E_NS1_11comp_targetILNS1_3genE3ELNS1_11target_archE908ELNS1_3gpuE7ELNS1_3repE0EEENS1_30default_config_static_selectorELNS0_4arch9wavefront6targetE1EEEvT1_: ; @_ZN7rocprim17ROCPRIM_400000_NS6detail17trampoline_kernelINS0_14default_configENS1_25partition_config_selectorILNS1_17partition_subalgoE1EsNS0_10empty_typeEbEEZZNS1_14partition_implILS5_1ELb0ES3_jN6thrust23THRUST_200600_302600_NS6detail15normal_iteratorINSA_10device_ptrIsEEEEPS6_NSA_18transform_iteratorI7is_evenIsESF_NSA_11use_defaultESK_EENS0_5tupleIJSF_SF_EEENSM_IJSG_SG_EEES6_PlJS6_EEE10hipError_tPvRmT3_T4_T5_T6_T7_T9_mT8_P12ihipStream_tbDpT10_ENKUlT_T0_E_clISt17integral_constantIbLb0EES19_EEDaS14_S15_EUlS14_E_NS1_11comp_targetILNS1_3genE3ELNS1_11target_archE908ELNS1_3gpuE7ELNS1_3repE0EEENS1_30default_config_static_selectorELNS0_4arch9wavefront6targetE1EEEvT1_
; %bb.0:
	.section	.rodata,"a",@progbits
	.p2align	6, 0x0
	.amdhsa_kernel _ZN7rocprim17ROCPRIM_400000_NS6detail17trampoline_kernelINS0_14default_configENS1_25partition_config_selectorILNS1_17partition_subalgoE1EsNS0_10empty_typeEbEEZZNS1_14partition_implILS5_1ELb0ES3_jN6thrust23THRUST_200600_302600_NS6detail15normal_iteratorINSA_10device_ptrIsEEEEPS6_NSA_18transform_iteratorI7is_evenIsESF_NSA_11use_defaultESK_EENS0_5tupleIJSF_SF_EEENSM_IJSG_SG_EEES6_PlJS6_EEE10hipError_tPvRmT3_T4_T5_T6_T7_T9_mT8_P12ihipStream_tbDpT10_ENKUlT_T0_E_clISt17integral_constantIbLb0EES19_EEDaS14_S15_EUlS14_E_NS1_11comp_targetILNS1_3genE3ELNS1_11target_archE908ELNS1_3gpuE7ELNS1_3repE0EEENS1_30default_config_static_selectorELNS0_4arch9wavefront6targetE1EEEvT1_
		.amdhsa_group_segment_fixed_size 0
		.amdhsa_private_segment_fixed_size 0
		.amdhsa_kernarg_size 128
		.amdhsa_user_sgpr_count 2
		.amdhsa_user_sgpr_dispatch_ptr 0
		.amdhsa_user_sgpr_queue_ptr 0
		.amdhsa_user_sgpr_kernarg_segment_ptr 1
		.amdhsa_user_sgpr_dispatch_id 0
		.amdhsa_user_sgpr_kernarg_preload_length 0
		.amdhsa_user_sgpr_kernarg_preload_offset 0
		.amdhsa_user_sgpr_private_segment_size 0
		.amdhsa_uses_dynamic_stack 0
		.amdhsa_enable_private_segment 0
		.amdhsa_system_sgpr_workgroup_id_x 1
		.amdhsa_system_sgpr_workgroup_id_y 0
		.amdhsa_system_sgpr_workgroup_id_z 0
		.amdhsa_system_sgpr_workgroup_info 0
		.amdhsa_system_vgpr_workitem_id 0
		.amdhsa_next_free_vgpr 1
		.amdhsa_next_free_sgpr 0
		.amdhsa_accum_offset 4
		.amdhsa_reserve_vcc 0
		.amdhsa_float_round_mode_32 0
		.amdhsa_float_round_mode_16_64 0
		.amdhsa_float_denorm_mode_32 3
		.amdhsa_float_denorm_mode_16_64 3
		.amdhsa_dx10_clamp 1
		.amdhsa_ieee_mode 1
		.amdhsa_fp16_overflow 0
		.amdhsa_tg_split 0
		.amdhsa_exception_fp_ieee_invalid_op 0
		.amdhsa_exception_fp_denorm_src 0
		.amdhsa_exception_fp_ieee_div_zero 0
		.amdhsa_exception_fp_ieee_overflow 0
		.amdhsa_exception_fp_ieee_underflow 0
		.amdhsa_exception_fp_ieee_inexact 0
		.amdhsa_exception_int_div_zero 0
	.end_amdhsa_kernel
	.section	.text._ZN7rocprim17ROCPRIM_400000_NS6detail17trampoline_kernelINS0_14default_configENS1_25partition_config_selectorILNS1_17partition_subalgoE1EsNS0_10empty_typeEbEEZZNS1_14partition_implILS5_1ELb0ES3_jN6thrust23THRUST_200600_302600_NS6detail15normal_iteratorINSA_10device_ptrIsEEEEPS6_NSA_18transform_iteratorI7is_evenIsESF_NSA_11use_defaultESK_EENS0_5tupleIJSF_SF_EEENSM_IJSG_SG_EEES6_PlJS6_EEE10hipError_tPvRmT3_T4_T5_T6_T7_T9_mT8_P12ihipStream_tbDpT10_ENKUlT_T0_E_clISt17integral_constantIbLb0EES19_EEDaS14_S15_EUlS14_E_NS1_11comp_targetILNS1_3genE3ELNS1_11target_archE908ELNS1_3gpuE7ELNS1_3repE0EEENS1_30default_config_static_selectorELNS0_4arch9wavefront6targetE1EEEvT1_,"axG",@progbits,_ZN7rocprim17ROCPRIM_400000_NS6detail17trampoline_kernelINS0_14default_configENS1_25partition_config_selectorILNS1_17partition_subalgoE1EsNS0_10empty_typeEbEEZZNS1_14partition_implILS5_1ELb0ES3_jN6thrust23THRUST_200600_302600_NS6detail15normal_iteratorINSA_10device_ptrIsEEEEPS6_NSA_18transform_iteratorI7is_evenIsESF_NSA_11use_defaultESK_EENS0_5tupleIJSF_SF_EEENSM_IJSG_SG_EEES6_PlJS6_EEE10hipError_tPvRmT3_T4_T5_T6_T7_T9_mT8_P12ihipStream_tbDpT10_ENKUlT_T0_E_clISt17integral_constantIbLb0EES19_EEDaS14_S15_EUlS14_E_NS1_11comp_targetILNS1_3genE3ELNS1_11target_archE908ELNS1_3gpuE7ELNS1_3repE0EEENS1_30default_config_static_selectorELNS0_4arch9wavefront6targetE1EEEvT1_,comdat
.Lfunc_end452:
	.size	_ZN7rocprim17ROCPRIM_400000_NS6detail17trampoline_kernelINS0_14default_configENS1_25partition_config_selectorILNS1_17partition_subalgoE1EsNS0_10empty_typeEbEEZZNS1_14partition_implILS5_1ELb0ES3_jN6thrust23THRUST_200600_302600_NS6detail15normal_iteratorINSA_10device_ptrIsEEEEPS6_NSA_18transform_iteratorI7is_evenIsESF_NSA_11use_defaultESK_EENS0_5tupleIJSF_SF_EEENSM_IJSG_SG_EEES6_PlJS6_EEE10hipError_tPvRmT3_T4_T5_T6_T7_T9_mT8_P12ihipStream_tbDpT10_ENKUlT_T0_E_clISt17integral_constantIbLb0EES19_EEDaS14_S15_EUlS14_E_NS1_11comp_targetILNS1_3genE3ELNS1_11target_archE908ELNS1_3gpuE7ELNS1_3repE0EEENS1_30default_config_static_selectorELNS0_4arch9wavefront6targetE1EEEvT1_, .Lfunc_end452-_ZN7rocprim17ROCPRIM_400000_NS6detail17trampoline_kernelINS0_14default_configENS1_25partition_config_selectorILNS1_17partition_subalgoE1EsNS0_10empty_typeEbEEZZNS1_14partition_implILS5_1ELb0ES3_jN6thrust23THRUST_200600_302600_NS6detail15normal_iteratorINSA_10device_ptrIsEEEEPS6_NSA_18transform_iteratorI7is_evenIsESF_NSA_11use_defaultESK_EENS0_5tupleIJSF_SF_EEENSM_IJSG_SG_EEES6_PlJS6_EEE10hipError_tPvRmT3_T4_T5_T6_T7_T9_mT8_P12ihipStream_tbDpT10_ENKUlT_T0_E_clISt17integral_constantIbLb0EES19_EEDaS14_S15_EUlS14_E_NS1_11comp_targetILNS1_3genE3ELNS1_11target_archE908ELNS1_3gpuE7ELNS1_3repE0EEENS1_30default_config_static_selectorELNS0_4arch9wavefront6targetE1EEEvT1_
                                        ; -- End function
	.section	.AMDGPU.csdata,"",@progbits
; Kernel info:
; codeLenInByte = 0
; NumSgprs: 6
; NumVgprs: 0
; NumAgprs: 0
; TotalNumVgprs: 0
; ScratchSize: 0
; MemoryBound: 0
; FloatMode: 240
; IeeeMode: 1
; LDSByteSize: 0 bytes/workgroup (compile time only)
; SGPRBlocks: 0
; VGPRBlocks: 0
; NumSGPRsForWavesPerEU: 6
; NumVGPRsForWavesPerEU: 1
; AccumOffset: 4
; Occupancy: 8
; WaveLimiterHint : 0
; COMPUTE_PGM_RSRC2:SCRATCH_EN: 0
; COMPUTE_PGM_RSRC2:USER_SGPR: 2
; COMPUTE_PGM_RSRC2:TRAP_HANDLER: 0
; COMPUTE_PGM_RSRC2:TGID_X_EN: 1
; COMPUTE_PGM_RSRC2:TGID_Y_EN: 0
; COMPUTE_PGM_RSRC2:TGID_Z_EN: 0
; COMPUTE_PGM_RSRC2:TIDIG_COMP_CNT: 0
; COMPUTE_PGM_RSRC3_GFX90A:ACCUM_OFFSET: 0
; COMPUTE_PGM_RSRC3_GFX90A:TG_SPLIT: 0
	.section	.text._ZN7rocprim17ROCPRIM_400000_NS6detail17trampoline_kernelINS0_14default_configENS1_25partition_config_selectorILNS1_17partition_subalgoE1EsNS0_10empty_typeEbEEZZNS1_14partition_implILS5_1ELb0ES3_jN6thrust23THRUST_200600_302600_NS6detail15normal_iteratorINSA_10device_ptrIsEEEEPS6_NSA_18transform_iteratorI7is_evenIsESF_NSA_11use_defaultESK_EENS0_5tupleIJSF_SF_EEENSM_IJSG_SG_EEES6_PlJS6_EEE10hipError_tPvRmT3_T4_T5_T6_T7_T9_mT8_P12ihipStream_tbDpT10_ENKUlT_T0_E_clISt17integral_constantIbLb0EES19_EEDaS14_S15_EUlS14_E_NS1_11comp_targetILNS1_3genE2ELNS1_11target_archE906ELNS1_3gpuE6ELNS1_3repE0EEENS1_30default_config_static_selectorELNS0_4arch9wavefront6targetE1EEEvT1_,"axG",@progbits,_ZN7rocprim17ROCPRIM_400000_NS6detail17trampoline_kernelINS0_14default_configENS1_25partition_config_selectorILNS1_17partition_subalgoE1EsNS0_10empty_typeEbEEZZNS1_14partition_implILS5_1ELb0ES3_jN6thrust23THRUST_200600_302600_NS6detail15normal_iteratorINSA_10device_ptrIsEEEEPS6_NSA_18transform_iteratorI7is_evenIsESF_NSA_11use_defaultESK_EENS0_5tupleIJSF_SF_EEENSM_IJSG_SG_EEES6_PlJS6_EEE10hipError_tPvRmT3_T4_T5_T6_T7_T9_mT8_P12ihipStream_tbDpT10_ENKUlT_T0_E_clISt17integral_constantIbLb0EES19_EEDaS14_S15_EUlS14_E_NS1_11comp_targetILNS1_3genE2ELNS1_11target_archE906ELNS1_3gpuE6ELNS1_3repE0EEENS1_30default_config_static_selectorELNS0_4arch9wavefront6targetE1EEEvT1_,comdat
	.protected	_ZN7rocprim17ROCPRIM_400000_NS6detail17trampoline_kernelINS0_14default_configENS1_25partition_config_selectorILNS1_17partition_subalgoE1EsNS0_10empty_typeEbEEZZNS1_14partition_implILS5_1ELb0ES3_jN6thrust23THRUST_200600_302600_NS6detail15normal_iteratorINSA_10device_ptrIsEEEEPS6_NSA_18transform_iteratorI7is_evenIsESF_NSA_11use_defaultESK_EENS0_5tupleIJSF_SF_EEENSM_IJSG_SG_EEES6_PlJS6_EEE10hipError_tPvRmT3_T4_T5_T6_T7_T9_mT8_P12ihipStream_tbDpT10_ENKUlT_T0_E_clISt17integral_constantIbLb0EES19_EEDaS14_S15_EUlS14_E_NS1_11comp_targetILNS1_3genE2ELNS1_11target_archE906ELNS1_3gpuE6ELNS1_3repE0EEENS1_30default_config_static_selectorELNS0_4arch9wavefront6targetE1EEEvT1_ ; -- Begin function _ZN7rocprim17ROCPRIM_400000_NS6detail17trampoline_kernelINS0_14default_configENS1_25partition_config_selectorILNS1_17partition_subalgoE1EsNS0_10empty_typeEbEEZZNS1_14partition_implILS5_1ELb0ES3_jN6thrust23THRUST_200600_302600_NS6detail15normal_iteratorINSA_10device_ptrIsEEEEPS6_NSA_18transform_iteratorI7is_evenIsESF_NSA_11use_defaultESK_EENS0_5tupleIJSF_SF_EEENSM_IJSG_SG_EEES6_PlJS6_EEE10hipError_tPvRmT3_T4_T5_T6_T7_T9_mT8_P12ihipStream_tbDpT10_ENKUlT_T0_E_clISt17integral_constantIbLb0EES19_EEDaS14_S15_EUlS14_E_NS1_11comp_targetILNS1_3genE2ELNS1_11target_archE906ELNS1_3gpuE6ELNS1_3repE0EEENS1_30default_config_static_selectorELNS0_4arch9wavefront6targetE1EEEvT1_
	.globl	_ZN7rocprim17ROCPRIM_400000_NS6detail17trampoline_kernelINS0_14default_configENS1_25partition_config_selectorILNS1_17partition_subalgoE1EsNS0_10empty_typeEbEEZZNS1_14partition_implILS5_1ELb0ES3_jN6thrust23THRUST_200600_302600_NS6detail15normal_iteratorINSA_10device_ptrIsEEEEPS6_NSA_18transform_iteratorI7is_evenIsESF_NSA_11use_defaultESK_EENS0_5tupleIJSF_SF_EEENSM_IJSG_SG_EEES6_PlJS6_EEE10hipError_tPvRmT3_T4_T5_T6_T7_T9_mT8_P12ihipStream_tbDpT10_ENKUlT_T0_E_clISt17integral_constantIbLb0EES19_EEDaS14_S15_EUlS14_E_NS1_11comp_targetILNS1_3genE2ELNS1_11target_archE906ELNS1_3gpuE6ELNS1_3repE0EEENS1_30default_config_static_selectorELNS0_4arch9wavefront6targetE1EEEvT1_
	.p2align	8
	.type	_ZN7rocprim17ROCPRIM_400000_NS6detail17trampoline_kernelINS0_14default_configENS1_25partition_config_selectorILNS1_17partition_subalgoE1EsNS0_10empty_typeEbEEZZNS1_14partition_implILS5_1ELb0ES3_jN6thrust23THRUST_200600_302600_NS6detail15normal_iteratorINSA_10device_ptrIsEEEEPS6_NSA_18transform_iteratorI7is_evenIsESF_NSA_11use_defaultESK_EENS0_5tupleIJSF_SF_EEENSM_IJSG_SG_EEES6_PlJS6_EEE10hipError_tPvRmT3_T4_T5_T6_T7_T9_mT8_P12ihipStream_tbDpT10_ENKUlT_T0_E_clISt17integral_constantIbLb0EES19_EEDaS14_S15_EUlS14_E_NS1_11comp_targetILNS1_3genE2ELNS1_11target_archE906ELNS1_3gpuE6ELNS1_3repE0EEENS1_30default_config_static_selectorELNS0_4arch9wavefront6targetE1EEEvT1_,@function
_ZN7rocprim17ROCPRIM_400000_NS6detail17trampoline_kernelINS0_14default_configENS1_25partition_config_selectorILNS1_17partition_subalgoE1EsNS0_10empty_typeEbEEZZNS1_14partition_implILS5_1ELb0ES3_jN6thrust23THRUST_200600_302600_NS6detail15normal_iteratorINSA_10device_ptrIsEEEEPS6_NSA_18transform_iteratorI7is_evenIsESF_NSA_11use_defaultESK_EENS0_5tupleIJSF_SF_EEENSM_IJSG_SG_EEES6_PlJS6_EEE10hipError_tPvRmT3_T4_T5_T6_T7_T9_mT8_P12ihipStream_tbDpT10_ENKUlT_T0_E_clISt17integral_constantIbLb0EES19_EEDaS14_S15_EUlS14_E_NS1_11comp_targetILNS1_3genE2ELNS1_11target_archE906ELNS1_3gpuE6ELNS1_3repE0EEENS1_30default_config_static_selectorELNS0_4arch9wavefront6targetE1EEEvT1_: ; @_ZN7rocprim17ROCPRIM_400000_NS6detail17trampoline_kernelINS0_14default_configENS1_25partition_config_selectorILNS1_17partition_subalgoE1EsNS0_10empty_typeEbEEZZNS1_14partition_implILS5_1ELb0ES3_jN6thrust23THRUST_200600_302600_NS6detail15normal_iteratorINSA_10device_ptrIsEEEEPS6_NSA_18transform_iteratorI7is_evenIsESF_NSA_11use_defaultESK_EENS0_5tupleIJSF_SF_EEENSM_IJSG_SG_EEES6_PlJS6_EEE10hipError_tPvRmT3_T4_T5_T6_T7_T9_mT8_P12ihipStream_tbDpT10_ENKUlT_T0_E_clISt17integral_constantIbLb0EES19_EEDaS14_S15_EUlS14_E_NS1_11comp_targetILNS1_3genE2ELNS1_11target_archE906ELNS1_3gpuE6ELNS1_3repE0EEENS1_30default_config_static_selectorELNS0_4arch9wavefront6targetE1EEEvT1_
; %bb.0:
	.section	.rodata,"a",@progbits
	.p2align	6, 0x0
	.amdhsa_kernel _ZN7rocprim17ROCPRIM_400000_NS6detail17trampoline_kernelINS0_14default_configENS1_25partition_config_selectorILNS1_17partition_subalgoE1EsNS0_10empty_typeEbEEZZNS1_14partition_implILS5_1ELb0ES3_jN6thrust23THRUST_200600_302600_NS6detail15normal_iteratorINSA_10device_ptrIsEEEEPS6_NSA_18transform_iteratorI7is_evenIsESF_NSA_11use_defaultESK_EENS0_5tupleIJSF_SF_EEENSM_IJSG_SG_EEES6_PlJS6_EEE10hipError_tPvRmT3_T4_T5_T6_T7_T9_mT8_P12ihipStream_tbDpT10_ENKUlT_T0_E_clISt17integral_constantIbLb0EES19_EEDaS14_S15_EUlS14_E_NS1_11comp_targetILNS1_3genE2ELNS1_11target_archE906ELNS1_3gpuE6ELNS1_3repE0EEENS1_30default_config_static_selectorELNS0_4arch9wavefront6targetE1EEEvT1_
		.amdhsa_group_segment_fixed_size 0
		.amdhsa_private_segment_fixed_size 0
		.amdhsa_kernarg_size 128
		.amdhsa_user_sgpr_count 2
		.amdhsa_user_sgpr_dispatch_ptr 0
		.amdhsa_user_sgpr_queue_ptr 0
		.amdhsa_user_sgpr_kernarg_segment_ptr 1
		.amdhsa_user_sgpr_dispatch_id 0
		.amdhsa_user_sgpr_kernarg_preload_length 0
		.amdhsa_user_sgpr_kernarg_preload_offset 0
		.amdhsa_user_sgpr_private_segment_size 0
		.amdhsa_uses_dynamic_stack 0
		.amdhsa_enable_private_segment 0
		.amdhsa_system_sgpr_workgroup_id_x 1
		.amdhsa_system_sgpr_workgroup_id_y 0
		.amdhsa_system_sgpr_workgroup_id_z 0
		.amdhsa_system_sgpr_workgroup_info 0
		.amdhsa_system_vgpr_workitem_id 0
		.amdhsa_next_free_vgpr 1
		.amdhsa_next_free_sgpr 0
		.amdhsa_accum_offset 4
		.amdhsa_reserve_vcc 0
		.amdhsa_float_round_mode_32 0
		.amdhsa_float_round_mode_16_64 0
		.amdhsa_float_denorm_mode_32 3
		.amdhsa_float_denorm_mode_16_64 3
		.amdhsa_dx10_clamp 1
		.amdhsa_ieee_mode 1
		.amdhsa_fp16_overflow 0
		.amdhsa_tg_split 0
		.amdhsa_exception_fp_ieee_invalid_op 0
		.amdhsa_exception_fp_denorm_src 0
		.amdhsa_exception_fp_ieee_div_zero 0
		.amdhsa_exception_fp_ieee_overflow 0
		.amdhsa_exception_fp_ieee_underflow 0
		.amdhsa_exception_fp_ieee_inexact 0
		.amdhsa_exception_int_div_zero 0
	.end_amdhsa_kernel
	.section	.text._ZN7rocprim17ROCPRIM_400000_NS6detail17trampoline_kernelINS0_14default_configENS1_25partition_config_selectorILNS1_17partition_subalgoE1EsNS0_10empty_typeEbEEZZNS1_14partition_implILS5_1ELb0ES3_jN6thrust23THRUST_200600_302600_NS6detail15normal_iteratorINSA_10device_ptrIsEEEEPS6_NSA_18transform_iteratorI7is_evenIsESF_NSA_11use_defaultESK_EENS0_5tupleIJSF_SF_EEENSM_IJSG_SG_EEES6_PlJS6_EEE10hipError_tPvRmT3_T4_T5_T6_T7_T9_mT8_P12ihipStream_tbDpT10_ENKUlT_T0_E_clISt17integral_constantIbLb0EES19_EEDaS14_S15_EUlS14_E_NS1_11comp_targetILNS1_3genE2ELNS1_11target_archE906ELNS1_3gpuE6ELNS1_3repE0EEENS1_30default_config_static_selectorELNS0_4arch9wavefront6targetE1EEEvT1_,"axG",@progbits,_ZN7rocprim17ROCPRIM_400000_NS6detail17trampoline_kernelINS0_14default_configENS1_25partition_config_selectorILNS1_17partition_subalgoE1EsNS0_10empty_typeEbEEZZNS1_14partition_implILS5_1ELb0ES3_jN6thrust23THRUST_200600_302600_NS6detail15normal_iteratorINSA_10device_ptrIsEEEEPS6_NSA_18transform_iteratorI7is_evenIsESF_NSA_11use_defaultESK_EENS0_5tupleIJSF_SF_EEENSM_IJSG_SG_EEES6_PlJS6_EEE10hipError_tPvRmT3_T4_T5_T6_T7_T9_mT8_P12ihipStream_tbDpT10_ENKUlT_T0_E_clISt17integral_constantIbLb0EES19_EEDaS14_S15_EUlS14_E_NS1_11comp_targetILNS1_3genE2ELNS1_11target_archE906ELNS1_3gpuE6ELNS1_3repE0EEENS1_30default_config_static_selectorELNS0_4arch9wavefront6targetE1EEEvT1_,comdat
.Lfunc_end453:
	.size	_ZN7rocprim17ROCPRIM_400000_NS6detail17trampoline_kernelINS0_14default_configENS1_25partition_config_selectorILNS1_17partition_subalgoE1EsNS0_10empty_typeEbEEZZNS1_14partition_implILS5_1ELb0ES3_jN6thrust23THRUST_200600_302600_NS6detail15normal_iteratorINSA_10device_ptrIsEEEEPS6_NSA_18transform_iteratorI7is_evenIsESF_NSA_11use_defaultESK_EENS0_5tupleIJSF_SF_EEENSM_IJSG_SG_EEES6_PlJS6_EEE10hipError_tPvRmT3_T4_T5_T6_T7_T9_mT8_P12ihipStream_tbDpT10_ENKUlT_T0_E_clISt17integral_constantIbLb0EES19_EEDaS14_S15_EUlS14_E_NS1_11comp_targetILNS1_3genE2ELNS1_11target_archE906ELNS1_3gpuE6ELNS1_3repE0EEENS1_30default_config_static_selectorELNS0_4arch9wavefront6targetE1EEEvT1_, .Lfunc_end453-_ZN7rocprim17ROCPRIM_400000_NS6detail17trampoline_kernelINS0_14default_configENS1_25partition_config_selectorILNS1_17partition_subalgoE1EsNS0_10empty_typeEbEEZZNS1_14partition_implILS5_1ELb0ES3_jN6thrust23THRUST_200600_302600_NS6detail15normal_iteratorINSA_10device_ptrIsEEEEPS6_NSA_18transform_iteratorI7is_evenIsESF_NSA_11use_defaultESK_EENS0_5tupleIJSF_SF_EEENSM_IJSG_SG_EEES6_PlJS6_EEE10hipError_tPvRmT3_T4_T5_T6_T7_T9_mT8_P12ihipStream_tbDpT10_ENKUlT_T0_E_clISt17integral_constantIbLb0EES19_EEDaS14_S15_EUlS14_E_NS1_11comp_targetILNS1_3genE2ELNS1_11target_archE906ELNS1_3gpuE6ELNS1_3repE0EEENS1_30default_config_static_selectorELNS0_4arch9wavefront6targetE1EEEvT1_
                                        ; -- End function
	.section	.AMDGPU.csdata,"",@progbits
; Kernel info:
; codeLenInByte = 0
; NumSgprs: 6
; NumVgprs: 0
; NumAgprs: 0
; TotalNumVgprs: 0
; ScratchSize: 0
; MemoryBound: 0
; FloatMode: 240
; IeeeMode: 1
; LDSByteSize: 0 bytes/workgroup (compile time only)
; SGPRBlocks: 0
; VGPRBlocks: 0
; NumSGPRsForWavesPerEU: 6
; NumVGPRsForWavesPerEU: 1
; AccumOffset: 4
; Occupancy: 8
; WaveLimiterHint : 0
; COMPUTE_PGM_RSRC2:SCRATCH_EN: 0
; COMPUTE_PGM_RSRC2:USER_SGPR: 2
; COMPUTE_PGM_RSRC2:TRAP_HANDLER: 0
; COMPUTE_PGM_RSRC2:TGID_X_EN: 1
; COMPUTE_PGM_RSRC2:TGID_Y_EN: 0
; COMPUTE_PGM_RSRC2:TGID_Z_EN: 0
; COMPUTE_PGM_RSRC2:TIDIG_COMP_CNT: 0
; COMPUTE_PGM_RSRC3_GFX90A:ACCUM_OFFSET: 0
; COMPUTE_PGM_RSRC3_GFX90A:TG_SPLIT: 0
	.section	.text._ZN7rocprim17ROCPRIM_400000_NS6detail17trampoline_kernelINS0_14default_configENS1_25partition_config_selectorILNS1_17partition_subalgoE1EsNS0_10empty_typeEbEEZZNS1_14partition_implILS5_1ELb0ES3_jN6thrust23THRUST_200600_302600_NS6detail15normal_iteratorINSA_10device_ptrIsEEEEPS6_NSA_18transform_iteratorI7is_evenIsESF_NSA_11use_defaultESK_EENS0_5tupleIJSF_SF_EEENSM_IJSG_SG_EEES6_PlJS6_EEE10hipError_tPvRmT3_T4_T5_T6_T7_T9_mT8_P12ihipStream_tbDpT10_ENKUlT_T0_E_clISt17integral_constantIbLb0EES19_EEDaS14_S15_EUlS14_E_NS1_11comp_targetILNS1_3genE10ELNS1_11target_archE1200ELNS1_3gpuE4ELNS1_3repE0EEENS1_30default_config_static_selectorELNS0_4arch9wavefront6targetE1EEEvT1_,"axG",@progbits,_ZN7rocprim17ROCPRIM_400000_NS6detail17trampoline_kernelINS0_14default_configENS1_25partition_config_selectorILNS1_17partition_subalgoE1EsNS0_10empty_typeEbEEZZNS1_14partition_implILS5_1ELb0ES3_jN6thrust23THRUST_200600_302600_NS6detail15normal_iteratorINSA_10device_ptrIsEEEEPS6_NSA_18transform_iteratorI7is_evenIsESF_NSA_11use_defaultESK_EENS0_5tupleIJSF_SF_EEENSM_IJSG_SG_EEES6_PlJS6_EEE10hipError_tPvRmT3_T4_T5_T6_T7_T9_mT8_P12ihipStream_tbDpT10_ENKUlT_T0_E_clISt17integral_constantIbLb0EES19_EEDaS14_S15_EUlS14_E_NS1_11comp_targetILNS1_3genE10ELNS1_11target_archE1200ELNS1_3gpuE4ELNS1_3repE0EEENS1_30default_config_static_selectorELNS0_4arch9wavefront6targetE1EEEvT1_,comdat
	.protected	_ZN7rocprim17ROCPRIM_400000_NS6detail17trampoline_kernelINS0_14default_configENS1_25partition_config_selectorILNS1_17partition_subalgoE1EsNS0_10empty_typeEbEEZZNS1_14partition_implILS5_1ELb0ES3_jN6thrust23THRUST_200600_302600_NS6detail15normal_iteratorINSA_10device_ptrIsEEEEPS6_NSA_18transform_iteratorI7is_evenIsESF_NSA_11use_defaultESK_EENS0_5tupleIJSF_SF_EEENSM_IJSG_SG_EEES6_PlJS6_EEE10hipError_tPvRmT3_T4_T5_T6_T7_T9_mT8_P12ihipStream_tbDpT10_ENKUlT_T0_E_clISt17integral_constantIbLb0EES19_EEDaS14_S15_EUlS14_E_NS1_11comp_targetILNS1_3genE10ELNS1_11target_archE1200ELNS1_3gpuE4ELNS1_3repE0EEENS1_30default_config_static_selectorELNS0_4arch9wavefront6targetE1EEEvT1_ ; -- Begin function _ZN7rocprim17ROCPRIM_400000_NS6detail17trampoline_kernelINS0_14default_configENS1_25partition_config_selectorILNS1_17partition_subalgoE1EsNS0_10empty_typeEbEEZZNS1_14partition_implILS5_1ELb0ES3_jN6thrust23THRUST_200600_302600_NS6detail15normal_iteratorINSA_10device_ptrIsEEEEPS6_NSA_18transform_iteratorI7is_evenIsESF_NSA_11use_defaultESK_EENS0_5tupleIJSF_SF_EEENSM_IJSG_SG_EEES6_PlJS6_EEE10hipError_tPvRmT3_T4_T5_T6_T7_T9_mT8_P12ihipStream_tbDpT10_ENKUlT_T0_E_clISt17integral_constantIbLb0EES19_EEDaS14_S15_EUlS14_E_NS1_11comp_targetILNS1_3genE10ELNS1_11target_archE1200ELNS1_3gpuE4ELNS1_3repE0EEENS1_30default_config_static_selectorELNS0_4arch9wavefront6targetE1EEEvT1_
	.globl	_ZN7rocprim17ROCPRIM_400000_NS6detail17trampoline_kernelINS0_14default_configENS1_25partition_config_selectorILNS1_17partition_subalgoE1EsNS0_10empty_typeEbEEZZNS1_14partition_implILS5_1ELb0ES3_jN6thrust23THRUST_200600_302600_NS6detail15normal_iteratorINSA_10device_ptrIsEEEEPS6_NSA_18transform_iteratorI7is_evenIsESF_NSA_11use_defaultESK_EENS0_5tupleIJSF_SF_EEENSM_IJSG_SG_EEES6_PlJS6_EEE10hipError_tPvRmT3_T4_T5_T6_T7_T9_mT8_P12ihipStream_tbDpT10_ENKUlT_T0_E_clISt17integral_constantIbLb0EES19_EEDaS14_S15_EUlS14_E_NS1_11comp_targetILNS1_3genE10ELNS1_11target_archE1200ELNS1_3gpuE4ELNS1_3repE0EEENS1_30default_config_static_selectorELNS0_4arch9wavefront6targetE1EEEvT1_
	.p2align	8
	.type	_ZN7rocprim17ROCPRIM_400000_NS6detail17trampoline_kernelINS0_14default_configENS1_25partition_config_selectorILNS1_17partition_subalgoE1EsNS0_10empty_typeEbEEZZNS1_14partition_implILS5_1ELb0ES3_jN6thrust23THRUST_200600_302600_NS6detail15normal_iteratorINSA_10device_ptrIsEEEEPS6_NSA_18transform_iteratorI7is_evenIsESF_NSA_11use_defaultESK_EENS0_5tupleIJSF_SF_EEENSM_IJSG_SG_EEES6_PlJS6_EEE10hipError_tPvRmT3_T4_T5_T6_T7_T9_mT8_P12ihipStream_tbDpT10_ENKUlT_T0_E_clISt17integral_constantIbLb0EES19_EEDaS14_S15_EUlS14_E_NS1_11comp_targetILNS1_3genE10ELNS1_11target_archE1200ELNS1_3gpuE4ELNS1_3repE0EEENS1_30default_config_static_selectorELNS0_4arch9wavefront6targetE1EEEvT1_,@function
_ZN7rocprim17ROCPRIM_400000_NS6detail17trampoline_kernelINS0_14default_configENS1_25partition_config_selectorILNS1_17partition_subalgoE1EsNS0_10empty_typeEbEEZZNS1_14partition_implILS5_1ELb0ES3_jN6thrust23THRUST_200600_302600_NS6detail15normal_iteratorINSA_10device_ptrIsEEEEPS6_NSA_18transform_iteratorI7is_evenIsESF_NSA_11use_defaultESK_EENS0_5tupleIJSF_SF_EEENSM_IJSG_SG_EEES6_PlJS6_EEE10hipError_tPvRmT3_T4_T5_T6_T7_T9_mT8_P12ihipStream_tbDpT10_ENKUlT_T0_E_clISt17integral_constantIbLb0EES19_EEDaS14_S15_EUlS14_E_NS1_11comp_targetILNS1_3genE10ELNS1_11target_archE1200ELNS1_3gpuE4ELNS1_3repE0EEENS1_30default_config_static_selectorELNS0_4arch9wavefront6targetE1EEEvT1_: ; @_ZN7rocprim17ROCPRIM_400000_NS6detail17trampoline_kernelINS0_14default_configENS1_25partition_config_selectorILNS1_17partition_subalgoE1EsNS0_10empty_typeEbEEZZNS1_14partition_implILS5_1ELb0ES3_jN6thrust23THRUST_200600_302600_NS6detail15normal_iteratorINSA_10device_ptrIsEEEEPS6_NSA_18transform_iteratorI7is_evenIsESF_NSA_11use_defaultESK_EENS0_5tupleIJSF_SF_EEENSM_IJSG_SG_EEES6_PlJS6_EEE10hipError_tPvRmT3_T4_T5_T6_T7_T9_mT8_P12ihipStream_tbDpT10_ENKUlT_T0_E_clISt17integral_constantIbLb0EES19_EEDaS14_S15_EUlS14_E_NS1_11comp_targetILNS1_3genE10ELNS1_11target_archE1200ELNS1_3gpuE4ELNS1_3repE0EEENS1_30default_config_static_selectorELNS0_4arch9wavefront6targetE1EEEvT1_
; %bb.0:
	.section	.rodata,"a",@progbits
	.p2align	6, 0x0
	.amdhsa_kernel _ZN7rocprim17ROCPRIM_400000_NS6detail17trampoline_kernelINS0_14default_configENS1_25partition_config_selectorILNS1_17partition_subalgoE1EsNS0_10empty_typeEbEEZZNS1_14partition_implILS5_1ELb0ES3_jN6thrust23THRUST_200600_302600_NS6detail15normal_iteratorINSA_10device_ptrIsEEEEPS6_NSA_18transform_iteratorI7is_evenIsESF_NSA_11use_defaultESK_EENS0_5tupleIJSF_SF_EEENSM_IJSG_SG_EEES6_PlJS6_EEE10hipError_tPvRmT3_T4_T5_T6_T7_T9_mT8_P12ihipStream_tbDpT10_ENKUlT_T0_E_clISt17integral_constantIbLb0EES19_EEDaS14_S15_EUlS14_E_NS1_11comp_targetILNS1_3genE10ELNS1_11target_archE1200ELNS1_3gpuE4ELNS1_3repE0EEENS1_30default_config_static_selectorELNS0_4arch9wavefront6targetE1EEEvT1_
		.amdhsa_group_segment_fixed_size 0
		.amdhsa_private_segment_fixed_size 0
		.amdhsa_kernarg_size 128
		.amdhsa_user_sgpr_count 2
		.amdhsa_user_sgpr_dispatch_ptr 0
		.amdhsa_user_sgpr_queue_ptr 0
		.amdhsa_user_sgpr_kernarg_segment_ptr 1
		.amdhsa_user_sgpr_dispatch_id 0
		.amdhsa_user_sgpr_kernarg_preload_length 0
		.amdhsa_user_sgpr_kernarg_preload_offset 0
		.amdhsa_user_sgpr_private_segment_size 0
		.amdhsa_uses_dynamic_stack 0
		.amdhsa_enable_private_segment 0
		.amdhsa_system_sgpr_workgroup_id_x 1
		.amdhsa_system_sgpr_workgroup_id_y 0
		.amdhsa_system_sgpr_workgroup_id_z 0
		.amdhsa_system_sgpr_workgroup_info 0
		.amdhsa_system_vgpr_workitem_id 0
		.amdhsa_next_free_vgpr 1
		.amdhsa_next_free_sgpr 0
		.amdhsa_accum_offset 4
		.amdhsa_reserve_vcc 0
		.amdhsa_float_round_mode_32 0
		.amdhsa_float_round_mode_16_64 0
		.amdhsa_float_denorm_mode_32 3
		.amdhsa_float_denorm_mode_16_64 3
		.amdhsa_dx10_clamp 1
		.amdhsa_ieee_mode 1
		.amdhsa_fp16_overflow 0
		.amdhsa_tg_split 0
		.amdhsa_exception_fp_ieee_invalid_op 0
		.amdhsa_exception_fp_denorm_src 0
		.amdhsa_exception_fp_ieee_div_zero 0
		.amdhsa_exception_fp_ieee_overflow 0
		.amdhsa_exception_fp_ieee_underflow 0
		.amdhsa_exception_fp_ieee_inexact 0
		.amdhsa_exception_int_div_zero 0
	.end_amdhsa_kernel
	.section	.text._ZN7rocprim17ROCPRIM_400000_NS6detail17trampoline_kernelINS0_14default_configENS1_25partition_config_selectorILNS1_17partition_subalgoE1EsNS0_10empty_typeEbEEZZNS1_14partition_implILS5_1ELb0ES3_jN6thrust23THRUST_200600_302600_NS6detail15normal_iteratorINSA_10device_ptrIsEEEEPS6_NSA_18transform_iteratorI7is_evenIsESF_NSA_11use_defaultESK_EENS0_5tupleIJSF_SF_EEENSM_IJSG_SG_EEES6_PlJS6_EEE10hipError_tPvRmT3_T4_T5_T6_T7_T9_mT8_P12ihipStream_tbDpT10_ENKUlT_T0_E_clISt17integral_constantIbLb0EES19_EEDaS14_S15_EUlS14_E_NS1_11comp_targetILNS1_3genE10ELNS1_11target_archE1200ELNS1_3gpuE4ELNS1_3repE0EEENS1_30default_config_static_selectorELNS0_4arch9wavefront6targetE1EEEvT1_,"axG",@progbits,_ZN7rocprim17ROCPRIM_400000_NS6detail17trampoline_kernelINS0_14default_configENS1_25partition_config_selectorILNS1_17partition_subalgoE1EsNS0_10empty_typeEbEEZZNS1_14partition_implILS5_1ELb0ES3_jN6thrust23THRUST_200600_302600_NS6detail15normal_iteratorINSA_10device_ptrIsEEEEPS6_NSA_18transform_iteratorI7is_evenIsESF_NSA_11use_defaultESK_EENS0_5tupleIJSF_SF_EEENSM_IJSG_SG_EEES6_PlJS6_EEE10hipError_tPvRmT3_T4_T5_T6_T7_T9_mT8_P12ihipStream_tbDpT10_ENKUlT_T0_E_clISt17integral_constantIbLb0EES19_EEDaS14_S15_EUlS14_E_NS1_11comp_targetILNS1_3genE10ELNS1_11target_archE1200ELNS1_3gpuE4ELNS1_3repE0EEENS1_30default_config_static_selectorELNS0_4arch9wavefront6targetE1EEEvT1_,comdat
.Lfunc_end454:
	.size	_ZN7rocprim17ROCPRIM_400000_NS6detail17trampoline_kernelINS0_14default_configENS1_25partition_config_selectorILNS1_17partition_subalgoE1EsNS0_10empty_typeEbEEZZNS1_14partition_implILS5_1ELb0ES3_jN6thrust23THRUST_200600_302600_NS6detail15normal_iteratorINSA_10device_ptrIsEEEEPS6_NSA_18transform_iteratorI7is_evenIsESF_NSA_11use_defaultESK_EENS0_5tupleIJSF_SF_EEENSM_IJSG_SG_EEES6_PlJS6_EEE10hipError_tPvRmT3_T4_T5_T6_T7_T9_mT8_P12ihipStream_tbDpT10_ENKUlT_T0_E_clISt17integral_constantIbLb0EES19_EEDaS14_S15_EUlS14_E_NS1_11comp_targetILNS1_3genE10ELNS1_11target_archE1200ELNS1_3gpuE4ELNS1_3repE0EEENS1_30default_config_static_selectorELNS0_4arch9wavefront6targetE1EEEvT1_, .Lfunc_end454-_ZN7rocprim17ROCPRIM_400000_NS6detail17trampoline_kernelINS0_14default_configENS1_25partition_config_selectorILNS1_17partition_subalgoE1EsNS0_10empty_typeEbEEZZNS1_14partition_implILS5_1ELb0ES3_jN6thrust23THRUST_200600_302600_NS6detail15normal_iteratorINSA_10device_ptrIsEEEEPS6_NSA_18transform_iteratorI7is_evenIsESF_NSA_11use_defaultESK_EENS0_5tupleIJSF_SF_EEENSM_IJSG_SG_EEES6_PlJS6_EEE10hipError_tPvRmT3_T4_T5_T6_T7_T9_mT8_P12ihipStream_tbDpT10_ENKUlT_T0_E_clISt17integral_constantIbLb0EES19_EEDaS14_S15_EUlS14_E_NS1_11comp_targetILNS1_3genE10ELNS1_11target_archE1200ELNS1_3gpuE4ELNS1_3repE0EEENS1_30default_config_static_selectorELNS0_4arch9wavefront6targetE1EEEvT1_
                                        ; -- End function
	.section	.AMDGPU.csdata,"",@progbits
; Kernel info:
; codeLenInByte = 0
; NumSgprs: 6
; NumVgprs: 0
; NumAgprs: 0
; TotalNumVgprs: 0
; ScratchSize: 0
; MemoryBound: 0
; FloatMode: 240
; IeeeMode: 1
; LDSByteSize: 0 bytes/workgroup (compile time only)
; SGPRBlocks: 0
; VGPRBlocks: 0
; NumSGPRsForWavesPerEU: 6
; NumVGPRsForWavesPerEU: 1
; AccumOffset: 4
; Occupancy: 8
; WaveLimiterHint : 0
; COMPUTE_PGM_RSRC2:SCRATCH_EN: 0
; COMPUTE_PGM_RSRC2:USER_SGPR: 2
; COMPUTE_PGM_RSRC2:TRAP_HANDLER: 0
; COMPUTE_PGM_RSRC2:TGID_X_EN: 1
; COMPUTE_PGM_RSRC2:TGID_Y_EN: 0
; COMPUTE_PGM_RSRC2:TGID_Z_EN: 0
; COMPUTE_PGM_RSRC2:TIDIG_COMP_CNT: 0
; COMPUTE_PGM_RSRC3_GFX90A:ACCUM_OFFSET: 0
; COMPUTE_PGM_RSRC3_GFX90A:TG_SPLIT: 0
	.section	.text._ZN7rocprim17ROCPRIM_400000_NS6detail17trampoline_kernelINS0_14default_configENS1_25partition_config_selectorILNS1_17partition_subalgoE1EsNS0_10empty_typeEbEEZZNS1_14partition_implILS5_1ELb0ES3_jN6thrust23THRUST_200600_302600_NS6detail15normal_iteratorINSA_10device_ptrIsEEEEPS6_NSA_18transform_iteratorI7is_evenIsESF_NSA_11use_defaultESK_EENS0_5tupleIJSF_SF_EEENSM_IJSG_SG_EEES6_PlJS6_EEE10hipError_tPvRmT3_T4_T5_T6_T7_T9_mT8_P12ihipStream_tbDpT10_ENKUlT_T0_E_clISt17integral_constantIbLb0EES19_EEDaS14_S15_EUlS14_E_NS1_11comp_targetILNS1_3genE9ELNS1_11target_archE1100ELNS1_3gpuE3ELNS1_3repE0EEENS1_30default_config_static_selectorELNS0_4arch9wavefront6targetE1EEEvT1_,"axG",@progbits,_ZN7rocprim17ROCPRIM_400000_NS6detail17trampoline_kernelINS0_14default_configENS1_25partition_config_selectorILNS1_17partition_subalgoE1EsNS0_10empty_typeEbEEZZNS1_14partition_implILS5_1ELb0ES3_jN6thrust23THRUST_200600_302600_NS6detail15normal_iteratorINSA_10device_ptrIsEEEEPS6_NSA_18transform_iteratorI7is_evenIsESF_NSA_11use_defaultESK_EENS0_5tupleIJSF_SF_EEENSM_IJSG_SG_EEES6_PlJS6_EEE10hipError_tPvRmT3_T4_T5_T6_T7_T9_mT8_P12ihipStream_tbDpT10_ENKUlT_T0_E_clISt17integral_constantIbLb0EES19_EEDaS14_S15_EUlS14_E_NS1_11comp_targetILNS1_3genE9ELNS1_11target_archE1100ELNS1_3gpuE3ELNS1_3repE0EEENS1_30default_config_static_selectorELNS0_4arch9wavefront6targetE1EEEvT1_,comdat
	.protected	_ZN7rocprim17ROCPRIM_400000_NS6detail17trampoline_kernelINS0_14default_configENS1_25partition_config_selectorILNS1_17partition_subalgoE1EsNS0_10empty_typeEbEEZZNS1_14partition_implILS5_1ELb0ES3_jN6thrust23THRUST_200600_302600_NS6detail15normal_iteratorINSA_10device_ptrIsEEEEPS6_NSA_18transform_iteratorI7is_evenIsESF_NSA_11use_defaultESK_EENS0_5tupleIJSF_SF_EEENSM_IJSG_SG_EEES6_PlJS6_EEE10hipError_tPvRmT3_T4_T5_T6_T7_T9_mT8_P12ihipStream_tbDpT10_ENKUlT_T0_E_clISt17integral_constantIbLb0EES19_EEDaS14_S15_EUlS14_E_NS1_11comp_targetILNS1_3genE9ELNS1_11target_archE1100ELNS1_3gpuE3ELNS1_3repE0EEENS1_30default_config_static_selectorELNS0_4arch9wavefront6targetE1EEEvT1_ ; -- Begin function _ZN7rocprim17ROCPRIM_400000_NS6detail17trampoline_kernelINS0_14default_configENS1_25partition_config_selectorILNS1_17partition_subalgoE1EsNS0_10empty_typeEbEEZZNS1_14partition_implILS5_1ELb0ES3_jN6thrust23THRUST_200600_302600_NS6detail15normal_iteratorINSA_10device_ptrIsEEEEPS6_NSA_18transform_iteratorI7is_evenIsESF_NSA_11use_defaultESK_EENS0_5tupleIJSF_SF_EEENSM_IJSG_SG_EEES6_PlJS6_EEE10hipError_tPvRmT3_T4_T5_T6_T7_T9_mT8_P12ihipStream_tbDpT10_ENKUlT_T0_E_clISt17integral_constantIbLb0EES19_EEDaS14_S15_EUlS14_E_NS1_11comp_targetILNS1_3genE9ELNS1_11target_archE1100ELNS1_3gpuE3ELNS1_3repE0EEENS1_30default_config_static_selectorELNS0_4arch9wavefront6targetE1EEEvT1_
	.globl	_ZN7rocprim17ROCPRIM_400000_NS6detail17trampoline_kernelINS0_14default_configENS1_25partition_config_selectorILNS1_17partition_subalgoE1EsNS0_10empty_typeEbEEZZNS1_14partition_implILS5_1ELb0ES3_jN6thrust23THRUST_200600_302600_NS6detail15normal_iteratorINSA_10device_ptrIsEEEEPS6_NSA_18transform_iteratorI7is_evenIsESF_NSA_11use_defaultESK_EENS0_5tupleIJSF_SF_EEENSM_IJSG_SG_EEES6_PlJS6_EEE10hipError_tPvRmT3_T4_T5_T6_T7_T9_mT8_P12ihipStream_tbDpT10_ENKUlT_T0_E_clISt17integral_constantIbLb0EES19_EEDaS14_S15_EUlS14_E_NS1_11comp_targetILNS1_3genE9ELNS1_11target_archE1100ELNS1_3gpuE3ELNS1_3repE0EEENS1_30default_config_static_selectorELNS0_4arch9wavefront6targetE1EEEvT1_
	.p2align	8
	.type	_ZN7rocprim17ROCPRIM_400000_NS6detail17trampoline_kernelINS0_14default_configENS1_25partition_config_selectorILNS1_17partition_subalgoE1EsNS0_10empty_typeEbEEZZNS1_14partition_implILS5_1ELb0ES3_jN6thrust23THRUST_200600_302600_NS6detail15normal_iteratorINSA_10device_ptrIsEEEEPS6_NSA_18transform_iteratorI7is_evenIsESF_NSA_11use_defaultESK_EENS0_5tupleIJSF_SF_EEENSM_IJSG_SG_EEES6_PlJS6_EEE10hipError_tPvRmT3_T4_T5_T6_T7_T9_mT8_P12ihipStream_tbDpT10_ENKUlT_T0_E_clISt17integral_constantIbLb0EES19_EEDaS14_S15_EUlS14_E_NS1_11comp_targetILNS1_3genE9ELNS1_11target_archE1100ELNS1_3gpuE3ELNS1_3repE0EEENS1_30default_config_static_selectorELNS0_4arch9wavefront6targetE1EEEvT1_,@function
_ZN7rocprim17ROCPRIM_400000_NS6detail17trampoline_kernelINS0_14default_configENS1_25partition_config_selectorILNS1_17partition_subalgoE1EsNS0_10empty_typeEbEEZZNS1_14partition_implILS5_1ELb0ES3_jN6thrust23THRUST_200600_302600_NS6detail15normal_iteratorINSA_10device_ptrIsEEEEPS6_NSA_18transform_iteratorI7is_evenIsESF_NSA_11use_defaultESK_EENS0_5tupleIJSF_SF_EEENSM_IJSG_SG_EEES6_PlJS6_EEE10hipError_tPvRmT3_T4_T5_T6_T7_T9_mT8_P12ihipStream_tbDpT10_ENKUlT_T0_E_clISt17integral_constantIbLb0EES19_EEDaS14_S15_EUlS14_E_NS1_11comp_targetILNS1_3genE9ELNS1_11target_archE1100ELNS1_3gpuE3ELNS1_3repE0EEENS1_30default_config_static_selectorELNS0_4arch9wavefront6targetE1EEEvT1_: ; @_ZN7rocprim17ROCPRIM_400000_NS6detail17trampoline_kernelINS0_14default_configENS1_25partition_config_selectorILNS1_17partition_subalgoE1EsNS0_10empty_typeEbEEZZNS1_14partition_implILS5_1ELb0ES3_jN6thrust23THRUST_200600_302600_NS6detail15normal_iteratorINSA_10device_ptrIsEEEEPS6_NSA_18transform_iteratorI7is_evenIsESF_NSA_11use_defaultESK_EENS0_5tupleIJSF_SF_EEENSM_IJSG_SG_EEES6_PlJS6_EEE10hipError_tPvRmT3_T4_T5_T6_T7_T9_mT8_P12ihipStream_tbDpT10_ENKUlT_T0_E_clISt17integral_constantIbLb0EES19_EEDaS14_S15_EUlS14_E_NS1_11comp_targetILNS1_3genE9ELNS1_11target_archE1100ELNS1_3gpuE3ELNS1_3repE0EEENS1_30default_config_static_selectorELNS0_4arch9wavefront6targetE1EEEvT1_
; %bb.0:
	.section	.rodata,"a",@progbits
	.p2align	6, 0x0
	.amdhsa_kernel _ZN7rocprim17ROCPRIM_400000_NS6detail17trampoline_kernelINS0_14default_configENS1_25partition_config_selectorILNS1_17partition_subalgoE1EsNS0_10empty_typeEbEEZZNS1_14partition_implILS5_1ELb0ES3_jN6thrust23THRUST_200600_302600_NS6detail15normal_iteratorINSA_10device_ptrIsEEEEPS6_NSA_18transform_iteratorI7is_evenIsESF_NSA_11use_defaultESK_EENS0_5tupleIJSF_SF_EEENSM_IJSG_SG_EEES6_PlJS6_EEE10hipError_tPvRmT3_T4_T5_T6_T7_T9_mT8_P12ihipStream_tbDpT10_ENKUlT_T0_E_clISt17integral_constantIbLb0EES19_EEDaS14_S15_EUlS14_E_NS1_11comp_targetILNS1_3genE9ELNS1_11target_archE1100ELNS1_3gpuE3ELNS1_3repE0EEENS1_30default_config_static_selectorELNS0_4arch9wavefront6targetE1EEEvT1_
		.amdhsa_group_segment_fixed_size 0
		.amdhsa_private_segment_fixed_size 0
		.amdhsa_kernarg_size 128
		.amdhsa_user_sgpr_count 2
		.amdhsa_user_sgpr_dispatch_ptr 0
		.amdhsa_user_sgpr_queue_ptr 0
		.amdhsa_user_sgpr_kernarg_segment_ptr 1
		.amdhsa_user_sgpr_dispatch_id 0
		.amdhsa_user_sgpr_kernarg_preload_length 0
		.amdhsa_user_sgpr_kernarg_preload_offset 0
		.amdhsa_user_sgpr_private_segment_size 0
		.amdhsa_uses_dynamic_stack 0
		.amdhsa_enable_private_segment 0
		.amdhsa_system_sgpr_workgroup_id_x 1
		.amdhsa_system_sgpr_workgroup_id_y 0
		.amdhsa_system_sgpr_workgroup_id_z 0
		.amdhsa_system_sgpr_workgroup_info 0
		.amdhsa_system_vgpr_workitem_id 0
		.amdhsa_next_free_vgpr 1
		.amdhsa_next_free_sgpr 0
		.amdhsa_accum_offset 4
		.amdhsa_reserve_vcc 0
		.amdhsa_float_round_mode_32 0
		.amdhsa_float_round_mode_16_64 0
		.amdhsa_float_denorm_mode_32 3
		.amdhsa_float_denorm_mode_16_64 3
		.amdhsa_dx10_clamp 1
		.amdhsa_ieee_mode 1
		.amdhsa_fp16_overflow 0
		.amdhsa_tg_split 0
		.amdhsa_exception_fp_ieee_invalid_op 0
		.amdhsa_exception_fp_denorm_src 0
		.amdhsa_exception_fp_ieee_div_zero 0
		.amdhsa_exception_fp_ieee_overflow 0
		.amdhsa_exception_fp_ieee_underflow 0
		.amdhsa_exception_fp_ieee_inexact 0
		.amdhsa_exception_int_div_zero 0
	.end_amdhsa_kernel
	.section	.text._ZN7rocprim17ROCPRIM_400000_NS6detail17trampoline_kernelINS0_14default_configENS1_25partition_config_selectorILNS1_17partition_subalgoE1EsNS0_10empty_typeEbEEZZNS1_14partition_implILS5_1ELb0ES3_jN6thrust23THRUST_200600_302600_NS6detail15normal_iteratorINSA_10device_ptrIsEEEEPS6_NSA_18transform_iteratorI7is_evenIsESF_NSA_11use_defaultESK_EENS0_5tupleIJSF_SF_EEENSM_IJSG_SG_EEES6_PlJS6_EEE10hipError_tPvRmT3_T4_T5_T6_T7_T9_mT8_P12ihipStream_tbDpT10_ENKUlT_T0_E_clISt17integral_constantIbLb0EES19_EEDaS14_S15_EUlS14_E_NS1_11comp_targetILNS1_3genE9ELNS1_11target_archE1100ELNS1_3gpuE3ELNS1_3repE0EEENS1_30default_config_static_selectorELNS0_4arch9wavefront6targetE1EEEvT1_,"axG",@progbits,_ZN7rocprim17ROCPRIM_400000_NS6detail17trampoline_kernelINS0_14default_configENS1_25partition_config_selectorILNS1_17partition_subalgoE1EsNS0_10empty_typeEbEEZZNS1_14partition_implILS5_1ELb0ES3_jN6thrust23THRUST_200600_302600_NS6detail15normal_iteratorINSA_10device_ptrIsEEEEPS6_NSA_18transform_iteratorI7is_evenIsESF_NSA_11use_defaultESK_EENS0_5tupleIJSF_SF_EEENSM_IJSG_SG_EEES6_PlJS6_EEE10hipError_tPvRmT3_T4_T5_T6_T7_T9_mT8_P12ihipStream_tbDpT10_ENKUlT_T0_E_clISt17integral_constantIbLb0EES19_EEDaS14_S15_EUlS14_E_NS1_11comp_targetILNS1_3genE9ELNS1_11target_archE1100ELNS1_3gpuE3ELNS1_3repE0EEENS1_30default_config_static_selectorELNS0_4arch9wavefront6targetE1EEEvT1_,comdat
.Lfunc_end455:
	.size	_ZN7rocprim17ROCPRIM_400000_NS6detail17trampoline_kernelINS0_14default_configENS1_25partition_config_selectorILNS1_17partition_subalgoE1EsNS0_10empty_typeEbEEZZNS1_14partition_implILS5_1ELb0ES3_jN6thrust23THRUST_200600_302600_NS6detail15normal_iteratorINSA_10device_ptrIsEEEEPS6_NSA_18transform_iteratorI7is_evenIsESF_NSA_11use_defaultESK_EENS0_5tupleIJSF_SF_EEENSM_IJSG_SG_EEES6_PlJS6_EEE10hipError_tPvRmT3_T4_T5_T6_T7_T9_mT8_P12ihipStream_tbDpT10_ENKUlT_T0_E_clISt17integral_constantIbLb0EES19_EEDaS14_S15_EUlS14_E_NS1_11comp_targetILNS1_3genE9ELNS1_11target_archE1100ELNS1_3gpuE3ELNS1_3repE0EEENS1_30default_config_static_selectorELNS0_4arch9wavefront6targetE1EEEvT1_, .Lfunc_end455-_ZN7rocprim17ROCPRIM_400000_NS6detail17trampoline_kernelINS0_14default_configENS1_25partition_config_selectorILNS1_17partition_subalgoE1EsNS0_10empty_typeEbEEZZNS1_14partition_implILS5_1ELb0ES3_jN6thrust23THRUST_200600_302600_NS6detail15normal_iteratorINSA_10device_ptrIsEEEEPS6_NSA_18transform_iteratorI7is_evenIsESF_NSA_11use_defaultESK_EENS0_5tupleIJSF_SF_EEENSM_IJSG_SG_EEES6_PlJS6_EEE10hipError_tPvRmT3_T4_T5_T6_T7_T9_mT8_P12ihipStream_tbDpT10_ENKUlT_T0_E_clISt17integral_constantIbLb0EES19_EEDaS14_S15_EUlS14_E_NS1_11comp_targetILNS1_3genE9ELNS1_11target_archE1100ELNS1_3gpuE3ELNS1_3repE0EEENS1_30default_config_static_selectorELNS0_4arch9wavefront6targetE1EEEvT1_
                                        ; -- End function
	.section	.AMDGPU.csdata,"",@progbits
; Kernel info:
; codeLenInByte = 0
; NumSgprs: 6
; NumVgprs: 0
; NumAgprs: 0
; TotalNumVgprs: 0
; ScratchSize: 0
; MemoryBound: 0
; FloatMode: 240
; IeeeMode: 1
; LDSByteSize: 0 bytes/workgroup (compile time only)
; SGPRBlocks: 0
; VGPRBlocks: 0
; NumSGPRsForWavesPerEU: 6
; NumVGPRsForWavesPerEU: 1
; AccumOffset: 4
; Occupancy: 8
; WaveLimiterHint : 0
; COMPUTE_PGM_RSRC2:SCRATCH_EN: 0
; COMPUTE_PGM_RSRC2:USER_SGPR: 2
; COMPUTE_PGM_RSRC2:TRAP_HANDLER: 0
; COMPUTE_PGM_RSRC2:TGID_X_EN: 1
; COMPUTE_PGM_RSRC2:TGID_Y_EN: 0
; COMPUTE_PGM_RSRC2:TGID_Z_EN: 0
; COMPUTE_PGM_RSRC2:TIDIG_COMP_CNT: 0
; COMPUTE_PGM_RSRC3_GFX90A:ACCUM_OFFSET: 0
; COMPUTE_PGM_RSRC3_GFX90A:TG_SPLIT: 0
	.section	.text._ZN7rocprim17ROCPRIM_400000_NS6detail17trampoline_kernelINS0_14default_configENS1_25partition_config_selectorILNS1_17partition_subalgoE1EsNS0_10empty_typeEbEEZZNS1_14partition_implILS5_1ELb0ES3_jN6thrust23THRUST_200600_302600_NS6detail15normal_iteratorINSA_10device_ptrIsEEEEPS6_NSA_18transform_iteratorI7is_evenIsESF_NSA_11use_defaultESK_EENS0_5tupleIJSF_SF_EEENSM_IJSG_SG_EEES6_PlJS6_EEE10hipError_tPvRmT3_T4_T5_T6_T7_T9_mT8_P12ihipStream_tbDpT10_ENKUlT_T0_E_clISt17integral_constantIbLb0EES19_EEDaS14_S15_EUlS14_E_NS1_11comp_targetILNS1_3genE8ELNS1_11target_archE1030ELNS1_3gpuE2ELNS1_3repE0EEENS1_30default_config_static_selectorELNS0_4arch9wavefront6targetE1EEEvT1_,"axG",@progbits,_ZN7rocprim17ROCPRIM_400000_NS6detail17trampoline_kernelINS0_14default_configENS1_25partition_config_selectorILNS1_17partition_subalgoE1EsNS0_10empty_typeEbEEZZNS1_14partition_implILS5_1ELb0ES3_jN6thrust23THRUST_200600_302600_NS6detail15normal_iteratorINSA_10device_ptrIsEEEEPS6_NSA_18transform_iteratorI7is_evenIsESF_NSA_11use_defaultESK_EENS0_5tupleIJSF_SF_EEENSM_IJSG_SG_EEES6_PlJS6_EEE10hipError_tPvRmT3_T4_T5_T6_T7_T9_mT8_P12ihipStream_tbDpT10_ENKUlT_T0_E_clISt17integral_constantIbLb0EES19_EEDaS14_S15_EUlS14_E_NS1_11comp_targetILNS1_3genE8ELNS1_11target_archE1030ELNS1_3gpuE2ELNS1_3repE0EEENS1_30default_config_static_selectorELNS0_4arch9wavefront6targetE1EEEvT1_,comdat
	.protected	_ZN7rocprim17ROCPRIM_400000_NS6detail17trampoline_kernelINS0_14default_configENS1_25partition_config_selectorILNS1_17partition_subalgoE1EsNS0_10empty_typeEbEEZZNS1_14partition_implILS5_1ELb0ES3_jN6thrust23THRUST_200600_302600_NS6detail15normal_iteratorINSA_10device_ptrIsEEEEPS6_NSA_18transform_iteratorI7is_evenIsESF_NSA_11use_defaultESK_EENS0_5tupleIJSF_SF_EEENSM_IJSG_SG_EEES6_PlJS6_EEE10hipError_tPvRmT3_T4_T5_T6_T7_T9_mT8_P12ihipStream_tbDpT10_ENKUlT_T0_E_clISt17integral_constantIbLb0EES19_EEDaS14_S15_EUlS14_E_NS1_11comp_targetILNS1_3genE8ELNS1_11target_archE1030ELNS1_3gpuE2ELNS1_3repE0EEENS1_30default_config_static_selectorELNS0_4arch9wavefront6targetE1EEEvT1_ ; -- Begin function _ZN7rocprim17ROCPRIM_400000_NS6detail17trampoline_kernelINS0_14default_configENS1_25partition_config_selectorILNS1_17partition_subalgoE1EsNS0_10empty_typeEbEEZZNS1_14partition_implILS5_1ELb0ES3_jN6thrust23THRUST_200600_302600_NS6detail15normal_iteratorINSA_10device_ptrIsEEEEPS6_NSA_18transform_iteratorI7is_evenIsESF_NSA_11use_defaultESK_EENS0_5tupleIJSF_SF_EEENSM_IJSG_SG_EEES6_PlJS6_EEE10hipError_tPvRmT3_T4_T5_T6_T7_T9_mT8_P12ihipStream_tbDpT10_ENKUlT_T0_E_clISt17integral_constantIbLb0EES19_EEDaS14_S15_EUlS14_E_NS1_11comp_targetILNS1_3genE8ELNS1_11target_archE1030ELNS1_3gpuE2ELNS1_3repE0EEENS1_30default_config_static_selectorELNS0_4arch9wavefront6targetE1EEEvT1_
	.globl	_ZN7rocprim17ROCPRIM_400000_NS6detail17trampoline_kernelINS0_14default_configENS1_25partition_config_selectorILNS1_17partition_subalgoE1EsNS0_10empty_typeEbEEZZNS1_14partition_implILS5_1ELb0ES3_jN6thrust23THRUST_200600_302600_NS6detail15normal_iteratorINSA_10device_ptrIsEEEEPS6_NSA_18transform_iteratorI7is_evenIsESF_NSA_11use_defaultESK_EENS0_5tupleIJSF_SF_EEENSM_IJSG_SG_EEES6_PlJS6_EEE10hipError_tPvRmT3_T4_T5_T6_T7_T9_mT8_P12ihipStream_tbDpT10_ENKUlT_T0_E_clISt17integral_constantIbLb0EES19_EEDaS14_S15_EUlS14_E_NS1_11comp_targetILNS1_3genE8ELNS1_11target_archE1030ELNS1_3gpuE2ELNS1_3repE0EEENS1_30default_config_static_selectorELNS0_4arch9wavefront6targetE1EEEvT1_
	.p2align	8
	.type	_ZN7rocprim17ROCPRIM_400000_NS6detail17trampoline_kernelINS0_14default_configENS1_25partition_config_selectorILNS1_17partition_subalgoE1EsNS0_10empty_typeEbEEZZNS1_14partition_implILS5_1ELb0ES3_jN6thrust23THRUST_200600_302600_NS6detail15normal_iteratorINSA_10device_ptrIsEEEEPS6_NSA_18transform_iteratorI7is_evenIsESF_NSA_11use_defaultESK_EENS0_5tupleIJSF_SF_EEENSM_IJSG_SG_EEES6_PlJS6_EEE10hipError_tPvRmT3_T4_T5_T6_T7_T9_mT8_P12ihipStream_tbDpT10_ENKUlT_T0_E_clISt17integral_constantIbLb0EES19_EEDaS14_S15_EUlS14_E_NS1_11comp_targetILNS1_3genE8ELNS1_11target_archE1030ELNS1_3gpuE2ELNS1_3repE0EEENS1_30default_config_static_selectorELNS0_4arch9wavefront6targetE1EEEvT1_,@function
_ZN7rocprim17ROCPRIM_400000_NS6detail17trampoline_kernelINS0_14default_configENS1_25partition_config_selectorILNS1_17partition_subalgoE1EsNS0_10empty_typeEbEEZZNS1_14partition_implILS5_1ELb0ES3_jN6thrust23THRUST_200600_302600_NS6detail15normal_iteratorINSA_10device_ptrIsEEEEPS6_NSA_18transform_iteratorI7is_evenIsESF_NSA_11use_defaultESK_EENS0_5tupleIJSF_SF_EEENSM_IJSG_SG_EEES6_PlJS6_EEE10hipError_tPvRmT3_T4_T5_T6_T7_T9_mT8_P12ihipStream_tbDpT10_ENKUlT_T0_E_clISt17integral_constantIbLb0EES19_EEDaS14_S15_EUlS14_E_NS1_11comp_targetILNS1_3genE8ELNS1_11target_archE1030ELNS1_3gpuE2ELNS1_3repE0EEENS1_30default_config_static_selectorELNS0_4arch9wavefront6targetE1EEEvT1_: ; @_ZN7rocprim17ROCPRIM_400000_NS6detail17trampoline_kernelINS0_14default_configENS1_25partition_config_selectorILNS1_17partition_subalgoE1EsNS0_10empty_typeEbEEZZNS1_14partition_implILS5_1ELb0ES3_jN6thrust23THRUST_200600_302600_NS6detail15normal_iteratorINSA_10device_ptrIsEEEEPS6_NSA_18transform_iteratorI7is_evenIsESF_NSA_11use_defaultESK_EENS0_5tupleIJSF_SF_EEENSM_IJSG_SG_EEES6_PlJS6_EEE10hipError_tPvRmT3_T4_T5_T6_T7_T9_mT8_P12ihipStream_tbDpT10_ENKUlT_T0_E_clISt17integral_constantIbLb0EES19_EEDaS14_S15_EUlS14_E_NS1_11comp_targetILNS1_3genE8ELNS1_11target_archE1030ELNS1_3gpuE2ELNS1_3repE0EEENS1_30default_config_static_selectorELNS0_4arch9wavefront6targetE1EEEvT1_
; %bb.0:
	.section	.rodata,"a",@progbits
	.p2align	6, 0x0
	.amdhsa_kernel _ZN7rocprim17ROCPRIM_400000_NS6detail17trampoline_kernelINS0_14default_configENS1_25partition_config_selectorILNS1_17partition_subalgoE1EsNS0_10empty_typeEbEEZZNS1_14partition_implILS5_1ELb0ES3_jN6thrust23THRUST_200600_302600_NS6detail15normal_iteratorINSA_10device_ptrIsEEEEPS6_NSA_18transform_iteratorI7is_evenIsESF_NSA_11use_defaultESK_EENS0_5tupleIJSF_SF_EEENSM_IJSG_SG_EEES6_PlJS6_EEE10hipError_tPvRmT3_T4_T5_T6_T7_T9_mT8_P12ihipStream_tbDpT10_ENKUlT_T0_E_clISt17integral_constantIbLb0EES19_EEDaS14_S15_EUlS14_E_NS1_11comp_targetILNS1_3genE8ELNS1_11target_archE1030ELNS1_3gpuE2ELNS1_3repE0EEENS1_30default_config_static_selectorELNS0_4arch9wavefront6targetE1EEEvT1_
		.amdhsa_group_segment_fixed_size 0
		.amdhsa_private_segment_fixed_size 0
		.amdhsa_kernarg_size 128
		.amdhsa_user_sgpr_count 2
		.amdhsa_user_sgpr_dispatch_ptr 0
		.amdhsa_user_sgpr_queue_ptr 0
		.amdhsa_user_sgpr_kernarg_segment_ptr 1
		.amdhsa_user_sgpr_dispatch_id 0
		.amdhsa_user_sgpr_kernarg_preload_length 0
		.amdhsa_user_sgpr_kernarg_preload_offset 0
		.amdhsa_user_sgpr_private_segment_size 0
		.amdhsa_uses_dynamic_stack 0
		.amdhsa_enable_private_segment 0
		.amdhsa_system_sgpr_workgroup_id_x 1
		.amdhsa_system_sgpr_workgroup_id_y 0
		.amdhsa_system_sgpr_workgroup_id_z 0
		.amdhsa_system_sgpr_workgroup_info 0
		.amdhsa_system_vgpr_workitem_id 0
		.amdhsa_next_free_vgpr 1
		.amdhsa_next_free_sgpr 0
		.amdhsa_accum_offset 4
		.amdhsa_reserve_vcc 0
		.amdhsa_float_round_mode_32 0
		.amdhsa_float_round_mode_16_64 0
		.amdhsa_float_denorm_mode_32 3
		.amdhsa_float_denorm_mode_16_64 3
		.amdhsa_dx10_clamp 1
		.amdhsa_ieee_mode 1
		.amdhsa_fp16_overflow 0
		.amdhsa_tg_split 0
		.amdhsa_exception_fp_ieee_invalid_op 0
		.amdhsa_exception_fp_denorm_src 0
		.amdhsa_exception_fp_ieee_div_zero 0
		.amdhsa_exception_fp_ieee_overflow 0
		.amdhsa_exception_fp_ieee_underflow 0
		.amdhsa_exception_fp_ieee_inexact 0
		.amdhsa_exception_int_div_zero 0
	.end_amdhsa_kernel
	.section	.text._ZN7rocprim17ROCPRIM_400000_NS6detail17trampoline_kernelINS0_14default_configENS1_25partition_config_selectorILNS1_17partition_subalgoE1EsNS0_10empty_typeEbEEZZNS1_14partition_implILS5_1ELb0ES3_jN6thrust23THRUST_200600_302600_NS6detail15normal_iteratorINSA_10device_ptrIsEEEEPS6_NSA_18transform_iteratorI7is_evenIsESF_NSA_11use_defaultESK_EENS0_5tupleIJSF_SF_EEENSM_IJSG_SG_EEES6_PlJS6_EEE10hipError_tPvRmT3_T4_T5_T6_T7_T9_mT8_P12ihipStream_tbDpT10_ENKUlT_T0_E_clISt17integral_constantIbLb0EES19_EEDaS14_S15_EUlS14_E_NS1_11comp_targetILNS1_3genE8ELNS1_11target_archE1030ELNS1_3gpuE2ELNS1_3repE0EEENS1_30default_config_static_selectorELNS0_4arch9wavefront6targetE1EEEvT1_,"axG",@progbits,_ZN7rocprim17ROCPRIM_400000_NS6detail17trampoline_kernelINS0_14default_configENS1_25partition_config_selectorILNS1_17partition_subalgoE1EsNS0_10empty_typeEbEEZZNS1_14partition_implILS5_1ELb0ES3_jN6thrust23THRUST_200600_302600_NS6detail15normal_iteratorINSA_10device_ptrIsEEEEPS6_NSA_18transform_iteratorI7is_evenIsESF_NSA_11use_defaultESK_EENS0_5tupleIJSF_SF_EEENSM_IJSG_SG_EEES6_PlJS6_EEE10hipError_tPvRmT3_T4_T5_T6_T7_T9_mT8_P12ihipStream_tbDpT10_ENKUlT_T0_E_clISt17integral_constantIbLb0EES19_EEDaS14_S15_EUlS14_E_NS1_11comp_targetILNS1_3genE8ELNS1_11target_archE1030ELNS1_3gpuE2ELNS1_3repE0EEENS1_30default_config_static_selectorELNS0_4arch9wavefront6targetE1EEEvT1_,comdat
.Lfunc_end456:
	.size	_ZN7rocprim17ROCPRIM_400000_NS6detail17trampoline_kernelINS0_14default_configENS1_25partition_config_selectorILNS1_17partition_subalgoE1EsNS0_10empty_typeEbEEZZNS1_14partition_implILS5_1ELb0ES3_jN6thrust23THRUST_200600_302600_NS6detail15normal_iteratorINSA_10device_ptrIsEEEEPS6_NSA_18transform_iteratorI7is_evenIsESF_NSA_11use_defaultESK_EENS0_5tupleIJSF_SF_EEENSM_IJSG_SG_EEES6_PlJS6_EEE10hipError_tPvRmT3_T4_T5_T6_T7_T9_mT8_P12ihipStream_tbDpT10_ENKUlT_T0_E_clISt17integral_constantIbLb0EES19_EEDaS14_S15_EUlS14_E_NS1_11comp_targetILNS1_3genE8ELNS1_11target_archE1030ELNS1_3gpuE2ELNS1_3repE0EEENS1_30default_config_static_selectorELNS0_4arch9wavefront6targetE1EEEvT1_, .Lfunc_end456-_ZN7rocprim17ROCPRIM_400000_NS6detail17trampoline_kernelINS0_14default_configENS1_25partition_config_selectorILNS1_17partition_subalgoE1EsNS0_10empty_typeEbEEZZNS1_14partition_implILS5_1ELb0ES3_jN6thrust23THRUST_200600_302600_NS6detail15normal_iteratorINSA_10device_ptrIsEEEEPS6_NSA_18transform_iteratorI7is_evenIsESF_NSA_11use_defaultESK_EENS0_5tupleIJSF_SF_EEENSM_IJSG_SG_EEES6_PlJS6_EEE10hipError_tPvRmT3_T4_T5_T6_T7_T9_mT8_P12ihipStream_tbDpT10_ENKUlT_T0_E_clISt17integral_constantIbLb0EES19_EEDaS14_S15_EUlS14_E_NS1_11comp_targetILNS1_3genE8ELNS1_11target_archE1030ELNS1_3gpuE2ELNS1_3repE0EEENS1_30default_config_static_selectorELNS0_4arch9wavefront6targetE1EEEvT1_
                                        ; -- End function
	.section	.AMDGPU.csdata,"",@progbits
; Kernel info:
; codeLenInByte = 0
; NumSgprs: 6
; NumVgprs: 0
; NumAgprs: 0
; TotalNumVgprs: 0
; ScratchSize: 0
; MemoryBound: 0
; FloatMode: 240
; IeeeMode: 1
; LDSByteSize: 0 bytes/workgroup (compile time only)
; SGPRBlocks: 0
; VGPRBlocks: 0
; NumSGPRsForWavesPerEU: 6
; NumVGPRsForWavesPerEU: 1
; AccumOffset: 4
; Occupancy: 8
; WaveLimiterHint : 0
; COMPUTE_PGM_RSRC2:SCRATCH_EN: 0
; COMPUTE_PGM_RSRC2:USER_SGPR: 2
; COMPUTE_PGM_RSRC2:TRAP_HANDLER: 0
; COMPUTE_PGM_RSRC2:TGID_X_EN: 1
; COMPUTE_PGM_RSRC2:TGID_Y_EN: 0
; COMPUTE_PGM_RSRC2:TGID_Z_EN: 0
; COMPUTE_PGM_RSRC2:TIDIG_COMP_CNT: 0
; COMPUTE_PGM_RSRC3_GFX90A:ACCUM_OFFSET: 0
; COMPUTE_PGM_RSRC3_GFX90A:TG_SPLIT: 0
	.section	.text._ZN7rocprim17ROCPRIM_400000_NS6detail17trampoline_kernelINS0_14default_configENS1_25partition_config_selectorILNS1_17partition_subalgoE1EsNS0_10empty_typeEbEEZZNS1_14partition_implILS5_1ELb0ES3_jN6thrust23THRUST_200600_302600_NS6detail15normal_iteratorINSA_10device_ptrIsEEEEPS6_NSA_18transform_iteratorI7is_evenIsESF_NSA_11use_defaultESK_EENS0_5tupleIJSF_SF_EEENSM_IJSG_SG_EEES6_PlJS6_EEE10hipError_tPvRmT3_T4_T5_T6_T7_T9_mT8_P12ihipStream_tbDpT10_ENKUlT_T0_E_clISt17integral_constantIbLb1EES19_EEDaS14_S15_EUlS14_E_NS1_11comp_targetILNS1_3genE0ELNS1_11target_archE4294967295ELNS1_3gpuE0ELNS1_3repE0EEENS1_30default_config_static_selectorELNS0_4arch9wavefront6targetE1EEEvT1_,"axG",@progbits,_ZN7rocprim17ROCPRIM_400000_NS6detail17trampoline_kernelINS0_14default_configENS1_25partition_config_selectorILNS1_17partition_subalgoE1EsNS0_10empty_typeEbEEZZNS1_14partition_implILS5_1ELb0ES3_jN6thrust23THRUST_200600_302600_NS6detail15normal_iteratorINSA_10device_ptrIsEEEEPS6_NSA_18transform_iteratorI7is_evenIsESF_NSA_11use_defaultESK_EENS0_5tupleIJSF_SF_EEENSM_IJSG_SG_EEES6_PlJS6_EEE10hipError_tPvRmT3_T4_T5_T6_T7_T9_mT8_P12ihipStream_tbDpT10_ENKUlT_T0_E_clISt17integral_constantIbLb1EES19_EEDaS14_S15_EUlS14_E_NS1_11comp_targetILNS1_3genE0ELNS1_11target_archE4294967295ELNS1_3gpuE0ELNS1_3repE0EEENS1_30default_config_static_selectorELNS0_4arch9wavefront6targetE1EEEvT1_,comdat
	.protected	_ZN7rocprim17ROCPRIM_400000_NS6detail17trampoline_kernelINS0_14default_configENS1_25partition_config_selectorILNS1_17partition_subalgoE1EsNS0_10empty_typeEbEEZZNS1_14partition_implILS5_1ELb0ES3_jN6thrust23THRUST_200600_302600_NS6detail15normal_iteratorINSA_10device_ptrIsEEEEPS6_NSA_18transform_iteratorI7is_evenIsESF_NSA_11use_defaultESK_EENS0_5tupleIJSF_SF_EEENSM_IJSG_SG_EEES6_PlJS6_EEE10hipError_tPvRmT3_T4_T5_T6_T7_T9_mT8_P12ihipStream_tbDpT10_ENKUlT_T0_E_clISt17integral_constantIbLb1EES19_EEDaS14_S15_EUlS14_E_NS1_11comp_targetILNS1_3genE0ELNS1_11target_archE4294967295ELNS1_3gpuE0ELNS1_3repE0EEENS1_30default_config_static_selectorELNS0_4arch9wavefront6targetE1EEEvT1_ ; -- Begin function _ZN7rocprim17ROCPRIM_400000_NS6detail17trampoline_kernelINS0_14default_configENS1_25partition_config_selectorILNS1_17partition_subalgoE1EsNS0_10empty_typeEbEEZZNS1_14partition_implILS5_1ELb0ES3_jN6thrust23THRUST_200600_302600_NS6detail15normal_iteratorINSA_10device_ptrIsEEEEPS6_NSA_18transform_iteratorI7is_evenIsESF_NSA_11use_defaultESK_EENS0_5tupleIJSF_SF_EEENSM_IJSG_SG_EEES6_PlJS6_EEE10hipError_tPvRmT3_T4_T5_T6_T7_T9_mT8_P12ihipStream_tbDpT10_ENKUlT_T0_E_clISt17integral_constantIbLb1EES19_EEDaS14_S15_EUlS14_E_NS1_11comp_targetILNS1_3genE0ELNS1_11target_archE4294967295ELNS1_3gpuE0ELNS1_3repE0EEENS1_30default_config_static_selectorELNS0_4arch9wavefront6targetE1EEEvT1_
	.globl	_ZN7rocprim17ROCPRIM_400000_NS6detail17trampoline_kernelINS0_14default_configENS1_25partition_config_selectorILNS1_17partition_subalgoE1EsNS0_10empty_typeEbEEZZNS1_14partition_implILS5_1ELb0ES3_jN6thrust23THRUST_200600_302600_NS6detail15normal_iteratorINSA_10device_ptrIsEEEEPS6_NSA_18transform_iteratorI7is_evenIsESF_NSA_11use_defaultESK_EENS0_5tupleIJSF_SF_EEENSM_IJSG_SG_EEES6_PlJS6_EEE10hipError_tPvRmT3_T4_T5_T6_T7_T9_mT8_P12ihipStream_tbDpT10_ENKUlT_T0_E_clISt17integral_constantIbLb1EES19_EEDaS14_S15_EUlS14_E_NS1_11comp_targetILNS1_3genE0ELNS1_11target_archE4294967295ELNS1_3gpuE0ELNS1_3repE0EEENS1_30default_config_static_selectorELNS0_4arch9wavefront6targetE1EEEvT1_
	.p2align	8
	.type	_ZN7rocprim17ROCPRIM_400000_NS6detail17trampoline_kernelINS0_14default_configENS1_25partition_config_selectorILNS1_17partition_subalgoE1EsNS0_10empty_typeEbEEZZNS1_14partition_implILS5_1ELb0ES3_jN6thrust23THRUST_200600_302600_NS6detail15normal_iteratorINSA_10device_ptrIsEEEEPS6_NSA_18transform_iteratorI7is_evenIsESF_NSA_11use_defaultESK_EENS0_5tupleIJSF_SF_EEENSM_IJSG_SG_EEES6_PlJS6_EEE10hipError_tPvRmT3_T4_T5_T6_T7_T9_mT8_P12ihipStream_tbDpT10_ENKUlT_T0_E_clISt17integral_constantIbLb1EES19_EEDaS14_S15_EUlS14_E_NS1_11comp_targetILNS1_3genE0ELNS1_11target_archE4294967295ELNS1_3gpuE0ELNS1_3repE0EEENS1_30default_config_static_selectorELNS0_4arch9wavefront6targetE1EEEvT1_,@function
_ZN7rocprim17ROCPRIM_400000_NS6detail17trampoline_kernelINS0_14default_configENS1_25partition_config_selectorILNS1_17partition_subalgoE1EsNS0_10empty_typeEbEEZZNS1_14partition_implILS5_1ELb0ES3_jN6thrust23THRUST_200600_302600_NS6detail15normal_iteratorINSA_10device_ptrIsEEEEPS6_NSA_18transform_iteratorI7is_evenIsESF_NSA_11use_defaultESK_EENS0_5tupleIJSF_SF_EEENSM_IJSG_SG_EEES6_PlJS6_EEE10hipError_tPvRmT3_T4_T5_T6_T7_T9_mT8_P12ihipStream_tbDpT10_ENKUlT_T0_E_clISt17integral_constantIbLb1EES19_EEDaS14_S15_EUlS14_E_NS1_11comp_targetILNS1_3genE0ELNS1_11target_archE4294967295ELNS1_3gpuE0ELNS1_3repE0EEENS1_30default_config_static_selectorELNS0_4arch9wavefront6targetE1EEEvT1_: ; @_ZN7rocprim17ROCPRIM_400000_NS6detail17trampoline_kernelINS0_14default_configENS1_25partition_config_selectorILNS1_17partition_subalgoE1EsNS0_10empty_typeEbEEZZNS1_14partition_implILS5_1ELb0ES3_jN6thrust23THRUST_200600_302600_NS6detail15normal_iteratorINSA_10device_ptrIsEEEEPS6_NSA_18transform_iteratorI7is_evenIsESF_NSA_11use_defaultESK_EENS0_5tupleIJSF_SF_EEENSM_IJSG_SG_EEES6_PlJS6_EEE10hipError_tPvRmT3_T4_T5_T6_T7_T9_mT8_P12ihipStream_tbDpT10_ENKUlT_T0_E_clISt17integral_constantIbLb1EES19_EEDaS14_S15_EUlS14_E_NS1_11comp_targetILNS1_3genE0ELNS1_11target_archE4294967295ELNS1_3gpuE0ELNS1_3repE0EEENS1_30default_config_static_selectorELNS0_4arch9wavefront6targetE1EEEvT1_
; %bb.0:
	.section	.rodata,"a",@progbits
	.p2align	6, 0x0
	.amdhsa_kernel _ZN7rocprim17ROCPRIM_400000_NS6detail17trampoline_kernelINS0_14default_configENS1_25partition_config_selectorILNS1_17partition_subalgoE1EsNS0_10empty_typeEbEEZZNS1_14partition_implILS5_1ELb0ES3_jN6thrust23THRUST_200600_302600_NS6detail15normal_iteratorINSA_10device_ptrIsEEEEPS6_NSA_18transform_iteratorI7is_evenIsESF_NSA_11use_defaultESK_EENS0_5tupleIJSF_SF_EEENSM_IJSG_SG_EEES6_PlJS6_EEE10hipError_tPvRmT3_T4_T5_T6_T7_T9_mT8_P12ihipStream_tbDpT10_ENKUlT_T0_E_clISt17integral_constantIbLb1EES19_EEDaS14_S15_EUlS14_E_NS1_11comp_targetILNS1_3genE0ELNS1_11target_archE4294967295ELNS1_3gpuE0ELNS1_3repE0EEENS1_30default_config_static_selectorELNS0_4arch9wavefront6targetE1EEEvT1_
		.amdhsa_group_segment_fixed_size 0
		.amdhsa_private_segment_fixed_size 0
		.amdhsa_kernarg_size 144
		.amdhsa_user_sgpr_count 2
		.amdhsa_user_sgpr_dispatch_ptr 0
		.amdhsa_user_sgpr_queue_ptr 0
		.amdhsa_user_sgpr_kernarg_segment_ptr 1
		.amdhsa_user_sgpr_dispatch_id 0
		.amdhsa_user_sgpr_kernarg_preload_length 0
		.amdhsa_user_sgpr_kernarg_preload_offset 0
		.amdhsa_user_sgpr_private_segment_size 0
		.amdhsa_uses_dynamic_stack 0
		.amdhsa_enable_private_segment 0
		.amdhsa_system_sgpr_workgroup_id_x 1
		.amdhsa_system_sgpr_workgroup_id_y 0
		.amdhsa_system_sgpr_workgroup_id_z 0
		.amdhsa_system_sgpr_workgroup_info 0
		.amdhsa_system_vgpr_workitem_id 0
		.amdhsa_next_free_vgpr 1
		.amdhsa_next_free_sgpr 0
		.amdhsa_accum_offset 4
		.amdhsa_reserve_vcc 0
		.amdhsa_float_round_mode_32 0
		.amdhsa_float_round_mode_16_64 0
		.amdhsa_float_denorm_mode_32 3
		.amdhsa_float_denorm_mode_16_64 3
		.amdhsa_dx10_clamp 1
		.amdhsa_ieee_mode 1
		.amdhsa_fp16_overflow 0
		.amdhsa_tg_split 0
		.amdhsa_exception_fp_ieee_invalid_op 0
		.amdhsa_exception_fp_denorm_src 0
		.amdhsa_exception_fp_ieee_div_zero 0
		.amdhsa_exception_fp_ieee_overflow 0
		.amdhsa_exception_fp_ieee_underflow 0
		.amdhsa_exception_fp_ieee_inexact 0
		.amdhsa_exception_int_div_zero 0
	.end_amdhsa_kernel
	.section	.text._ZN7rocprim17ROCPRIM_400000_NS6detail17trampoline_kernelINS0_14default_configENS1_25partition_config_selectorILNS1_17partition_subalgoE1EsNS0_10empty_typeEbEEZZNS1_14partition_implILS5_1ELb0ES3_jN6thrust23THRUST_200600_302600_NS6detail15normal_iteratorINSA_10device_ptrIsEEEEPS6_NSA_18transform_iteratorI7is_evenIsESF_NSA_11use_defaultESK_EENS0_5tupleIJSF_SF_EEENSM_IJSG_SG_EEES6_PlJS6_EEE10hipError_tPvRmT3_T4_T5_T6_T7_T9_mT8_P12ihipStream_tbDpT10_ENKUlT_T0_E_clISt17integral_constantIbLb1EES19_EEDaS14_S15_EUlS14_E_NS1_11comp_targetILNS1_3genE0ELNS1_11target_archE4294967295ELNS1_3gpuE0ELNS1_3repE0EEENS1_30default_config_static_selectorELNS0_4arch9wavefront6targetE1EEEvT1_,"axG",@progbits,_ZN7rocprim17ROCPRIM_400000_NS6detail17trampoline_kernelINS0_14default_configENS1_25partition_config_selectorILNS1_17partition_subalgoE1EsNS0_10empty_typeEbEEZZNS1_14partition_implILS5_1ELb0ES3_jN6thrust23THRUST_200600_302600_NS6detail15normal_iteratorINSA_10device_ptrIsEEEEPS6_NSA_18transform_iteratorI7is_evenIsESF_NSA_11use_defaultESK_EENS0_5tupleIJSF_SF_EEENSM_IJSG_SG_EEES6_PlJS6_EEE10hipError_tPvRmT3_T4_T5_T6_T7_T9_mT8_P12ihipStream_tbDpT10_ENKUlT_T0_E_clISt17integral_constantIbLb1EES19_EEDaS14_S15_EUlS14_E_NS1_11comp_targetILNS1_3genE0ELNS1_11target_archE4294967295ELNS1_3gpuE0ELNS1_3repE0EEENS1_30default_config_static_selectorELNS0_4arch9wavefront6targetE1EEEvT1_,comdat
.Lfunc_end457:
	.size	_ZN7rocprim17ROCPRIM_400000_NS6detail17trampoline_kernelINS0_14default_configENS1_25partition_config_selectorILNS1_17partition_subalgoE1EsNS0_10empty_typeEbEEZZNS1_14partition_implILS5_1ELb0ES3_jN6thrust23THRUST_200600_302600_NS6detail15normal_iteratorINSA_10device_ptrIsEEEEPS6_NSA_18transform_iteratorI7is_evenIsESF_NSA_11use_defaultESK_EENS0_5tupleIJSF_SF_EEENSM_IJSG_SG_EEES6_PlJS6_EEE10hipError_tPvRmT3_T4_T5_T6_T7_T9_mT8_P12ihipStream_tbDpT10_ENKUlT_T0_E_clISt17integral_constantIbLb1EES19_EEDaS14_S15_EUlS14_E_NS1_11comp_targetILNS1_3genE0ELNS1_11target_archE4294967295ELNS1_3gpuE0ELNS1_3repE0EEENS1_30default_config_static_selectorELNS0_4arch9wavefront6targetE1EEEvT1_, .Lfunc_end457-_ZN7rocprim17ROCPRIM_400000_NS6detail17trampoline_kernelINS0_14default_configENS1_25partition_config_selectorILNS1_17partition_subalgoE1EsNS0_10empty_typeEbEEZZNS1_14partition_implILS5_1ELb0ES3_jN6thrust23THRUST_200600_302600_NS6detail15normal_iteratorINSA_10device_ptrIsEEEEPS6_NSA_18transform_iteratorI7is_evenIsESF_NSA_11use_defaultESK_EENS0_5tupleIJSF_SF_EEENSM_IJSG_SG_EEES6_PlJS6_EEE10hipError_tPvRmT3_T4_T5_T6_T7_T9_mT8_P12ihipStream_tbDpT10_ENKUlT_T0_E_clISt17integral_constantIbLb1EES19_EEDaS14_S15_EUlS14_E_NS1_11comp_targetILNS1_3genE0ELNS1_11target_archE4294967295ELNS1_3gpuE0ELNS1_3repE0EEENS1_30default_config_static_selectorELNS0_4arch9wavefront6targetE1EEEvT1_
                                        ; -- End function
	.section	.AMDGPU.csdata,"",@progbits
; Kernel info:
; codeLenInByte = 0
; NumSgprs: 6
; NumVgprs: 0
; NumAgprs: 0
; TotalNumVgprs: 0
; ScratchSize: 0
; MemoryBound: 0
; FloatMode: 240
; IeeeMode: 1
; LDSByteSize: 0 bytes/workgroup (compile time only)
; SGPRBlocks: 0
; VGPRBlocks: 0
; NumSGPRsForWavesPerEU: 6
; NumVGPRsForWavesPerEU: 1
; AccumOffset: 4
; Occupancy: 8
; WaveLimiterHint : 0
; COMPUTE_PGM_RSRC2:SCRATCH_EN: 0
; COMPUTE_PGM_RSRC2:USER_SGPR: 2
; COMPUTE_PGM_RSRC2:TRAP_HANDLER: 0
; COMPUTE_PGM_RSRC2:TGID_X_EN: 1
; COMPUTE_PGM_RSRC2:TGID_Y_EN: 0
; COMPUTE_PGM_RSRC2:TGID_Z_EN: 0
; COMPUTE_PGM_RSRC2:TIDIG_COMP_CNT: 0
; COMPUTE_PGM_RSRC3_GFX90A:ACCUM_OFFSET: 0
; COMPUTE_PGM_RSRC3_GFX90A:TG_SPLIT: 0
	.section	.text._ZN7rocprim17ROCPRIM_400000_NS6detail17trampoline_kernelINS0_14default_configENS1_25partition_config_selectorILNS1_17partition_subalgoE1EsNS0_10empty_typeEbEEZZNS1_14partition_implILS5_1ELb0ES3_jN6thrust23THRUST_200600_302600_NS6detail15normal_iteratorINSA_10device_ptrIsEEEEPS6_NSA_18transform_iteratorI7is_evenIsESF_NSA_11use_defaultESK_EENS0_5tupleIJSF_SF_EEENSM_IJSG_SG_EEES6_PlJS6_EEE10hipError_tPvRmT3_T4_T5_T6_T7_T9_mT8_P12ihipStream_tbDpT10_ENKUlT_T0_E_clISt17integral_constantIbLb1EES19_EEDaS14_S15_EUlS14_E_NS1_11comp_targetILNS1_3genE5ELNS1_11target_archE942ELNS1_3gpuE9ELNS1_3repE0EEENS1_30default_config_static_selectorELNS0_4arch9wavefront6targetE1EEEvT1_,"axG",@progbits,_ZN7rocprim17ROCPRIM_400000_NS6detail17trampoline_kernelINS0_14default_configENS1_25partition_config_selectorILNS1_17partition_subalgoE1EsNS0_10empty_typeEbEEZZNS1_14partition_implILS5_1ELb0ES3_jN6thrust23THRUST_200600_302600_NS6detail15normal_iteratorINSA_10device_ptrIsEEEEPS6_NSA_18transform_iteratorI7is_evenIsESF_NSA_11use_defaultESK_EENS0_5tupleIJSF_SF_EEENSM_IJSG_SG_EEES6_PlJS6_EEE10hipError_tPvRmT3_T4_T5_T6_T7_T9_mT8_P12ihipStream_tbDpT10_ENKUlT_T0_E_clISt17integral_constantIbLb1EES19_EEDaS14_S15_EUlS14_E_NS1_11comp_targetILNS1_3genE5ELNS1_11target_archE942ELNS1_3gpuE9ELNS1_3repE0EEENS1_30default_config_static_selectorELNS0_4arch9wavefront6targetE1EEEvT1_,comdat
	.protected	_ZN7rocprim17ROCPRIM_400000_NS6detail17trampoline_kernelINS0_14default_configENS1_25partition_config_selectorILNS1_17partition_subalgoE1EsNS0_10empty_typeEbEEZZNS1_14partition_implILS5_1ELb0ES3_jN6thrust23THRUST_200600_302600_NS6detail15normal_iteratorINSA_10device_ptrIsEEEEPS6_NSA_18transform_iteratorI7is_evenIsESF_NSA_11use_defaultESK_EENS0_5tupleIJSF_SF_EEENSM_IJSG_SG_EEES6_PlJS6_EEE10hipError_tPvRmT3_T4_T5_T6_T7_T9_mT8_P12ihipStream_tbDpT10_ENKUlT_T0_E_clISt17integral_constantIbLb1EES19_EEDaS14_S15_EUlS14_E_NS1_11comp_targetILNS1_3genE5ELNS1_11target_archE942ELNS1_3gpuE9ELNS1_3repE0EEENS1_30default_config_static_selectorELNS0_4arch9wavefront6targetE1EEEvT1_ ; -- Begin function _ZN7rocprim17ROCPRIM_400000_NS6detail17trampoline_kernelINS0_14default_configENS1_25partition_config_selectorILNS1_17partition_subalgoE1EsNS0_10empty_typeEbEEZZNS1_14partition_implILS5_1ELb0ES3_jN6thrust23THRUST_200600_302600_NS6detail15normal_iteratorINSA_10device_ptrIsEEEEPS6_NSA_18transform_iteratorI7is_evenIsESF_NSA_11use_defaultESK_EENS0_5tupleIJSF_SF_EEENSM_IJSG_SG_EEES6_PlJS6_EEE10hipError_tPvRmT3_T4_T5_T6_T7_T9_mT8_P12ihipStream_tbDpT10_ENKUlT_T0_E_clISt17integral_constantIbLb1EES19_EEDaS14_S15_EUlS14_E_NS1_11comp_targetILNS1_3genE5ELNS1_11target_archE942ELNS1_3gpuE9ELNS1_3repE0EEENS1_30default_config_static_selectorELNS0_4arch9wavefront6targetE1EEEvT1_
	.globl	_ZN7rocprim17ROCPRIM_400000_NS6detail17trampoline_kernelINS0_14default_configENS1_25partition_config_selectorILNS1_17partition_subalgoE1EsNS0_10empty_typeEbEEZZNS1_14partition_implILS5_1ELb0ES3_jN6thrust23THRUST_200600_302600_NS6detail15normal_iteratorINSA_10device_ptrIsEEEEPS6_NSA_18transform_iteratorI7is_evenIsESF_NSA_11use_defaultESK_EENS0_5tupleIJSF_SF_EEENSM_IJSG_SG_EEES6_PlJS6_EEE10hipError_tPvRmT3_T4_T5_T6_T7_T9_mT8_P12ihipStream_tbDpT10_ENKUlT_T0_E_clISt17integral_constantIbLb1EES19_EEDaS14_S15_EUlS14_E_NS1_11comp_targetILNS1_3genE5ELNS1_11target_archE942ELNS1_3gpuE9ELNS1_3repE0EEENS1_30default_config_static_selectorELNS0_4arch9wavefront6targetE1EEEvT1_
	.p2align	8
	.type	_ZN7rocprim17ROCPRIM_400000_NS6detail17trampoline_kernelINS0_14default_configENS1_25partition_config_selectorILNS1_17partition_subalgoE1EsNS0_10empty_typeEbEEZZNS1_14partition_implILS5_1ELb0ES3_jN6thrust23THRUST_200600_302600_NS6detail15normal_iteratorINSA_10device_ptrIsEEEEPS6_NSA_18transform_iteratorI7is_evenIsESF_NSA_11use_defaultESK_EENS0_5tupleIJSF_SF_EEENSM_IJSG_SG_EEES6_PlJS6_EEE10hipError_tPvRmT3_T4_T5_T6_T7_T9_mT8_P12ihipStream_tbDpT10_ENKUlT_T0_E_clISt17integral_constantIbLb1EES19_EEDaS14_S15_EUlS14_E_NS1_11comp_targetILNS1_3genE5ELNS1_11target_archE942ELNS1_3gpuE9ELNS1_3repE0EEENS1_30default_config_static_selectorELNS0_4arch9wavefront6targetE1EEEvT1_,@function
_ZN7rocprim17ROCPRIM_400000_NS6detail17trampoline_kernelINS0_14default_configENS1_25partition_config_selectorILNS1_17partition_subalgoE1EsNS0_10empty_typeEbEEZZNS1_14partition_implILS5_1ELb0ES3_jN6thrust23THRUST_200600_302600_NS6detail15normal_iteratorINSA_10device_ptrIsEEEEPS6_NSA_18transform_iteratorI7is_evenIsESF_NSA_11use_defaultESK_EENS0_5tupleIJSF_SF_EEENSM_IJSG_SG_EEES6_PlJS6_EEE10hipError_tPvRmT3_T4_T5_T6_T7_T9_mT8_P12ihipStream_tbDpT10_ENKUlT_T0_E_clISt17integral_constantIbLb1EES19_EEDaS14_S15_EUlS14_E_NS1_11comp_targetILNS1_3genE5ELNS1_11target_archE942ELNS1_3gpuE9ELNS1_3repE0EEENS1_30default_config_static_selectorELNS0_4arch9wavefront6targetE1EEEvT1_: ; @_ZN7rocprim17ROCPRIM_400000_NS6detail17trampoline_kernelINS0_14default_configENS1_25partition_config_selectorILNS1_17partition_subalgoE1EsNS0_10empty_typeEbEEZZNS1_14partition_implILS5_1ELb0ES3_jN6thrust23THRUST_200600_302600_NS6detail15normal_iteratorINSA_10device_ptrIsEEEEPS6_NSA_18transform_iteratorI7is_evenIsESF_NSA_11use_defaultESK_EENS0_5tupleIJSF_SF_EEENSM_IJSG_SG_EEES6_PlJS6_EEE10hipError_tPvRmT3_T4_T5_T6_T7_T9_mT8_P12ihipStream_tbDpT10_ENKUlT_T0_E_clISt17integral_constantIbLb1EES19_EEDaS14_S15_EUlS14_E_NS1_11comp_targetILNS1_3genE5ELNS1_11target_archE942ELNS1_3gpuE9ELNS1_3repE0EEENS1_30default_config_static_selectorELNS0_4arch9wavefront6targetE1EEEvT1_
; %bb.0:
	s_load_dwordx2 s[2:3], s[0:1], 0x20
	s_load_dwordx4 s[20:23], s[0:1], 0x50
	s_load_dwordx2 s[6:7], s[0:1], 0x60
	s_load_dwordx2 s[34:35], s[0:1], 0x70
	v_cmp_eq_u32_e64 s[18:19], 0, v0
	s_and_saveexec_b64 s[4:5], s[18:19]
	s_cbranch_execz .LBB458_4
; %bb.1:
	s_mov_b64 s[10:11], exec
	v_mbcnt_lo_u32_b32 v1, s10, 0
	v_mbcnt_hi_u32_b32 v1, s11, v1
	v_cmp_eq_u32_e32 vcc, 0, v1
                                        ; implicit-def: $vgpr2
	s_and_saveexec_b64 s[8:9], vcc
	s_cbranch_execz .LBB458_3
; %bb.2:
	s_load_dwordx2 s[12:13], s[0:1], 0x80
	s_bcnt1_i32_b64 s10, s[10:11]
	v_mov_b32_e32 v2, 0
	v_mov_b32_e32 v3, s10
	s_waitcnt lgkmcnt(0)
	global_atomic_add v2, v2, v3, s[12:13] sc0
.LBB458_3:
	s_or_b64 exec, exec, s[8:9]
	s_waitcnt vmcnt(0)
	v_readfirstlane_b32 s8, v2
	v_mov_b32_e32 v2, 0
	s_nop 0
	v_add_u32_e32 v1, s8, v1
	ds_write_b32 v2, v1
.LBB458_4:
	s_or_b64 exec, exec, s[4:5]
	v_mov_b32_e32 v15, 0
	s_load_dwordx4 s[28:31], s[0:1], 0x8
	s_load_dwordx4 s[24:27], s[0:1], 0x30
	s_load_dword s8, s[0:1], 0x78
	s_waitcnt lgkmcnt(0)
	s_barrier
	ds_read_b32 v1, v15
	s_waitcnt lgkmcnt(0)
	s_barrier
	global_load_dwordx2 v[16:17], v15, s[22:23]
	v_mov_b32_e32 v3, s7
	s_lshl_b64 s[4:5], s[30:31], 1
	s_movk_i32 s7, 0x3800
	s_add_u32 s0, s28, s4
	v_mul_lo_u32 v14, v1, s7
	s_mul_i32 s7, s8, 0x3800
	s_addc_u32 s1, s29, s5
	s_add_i32 s9, s8, -1
	s_add_i32 s8, s7, s30
	s_sub_i32 s33, s6, s8
	s_addk_i32 s33, 0x3800
	v_mov_b32_e32 v2, s6
	s_add_u32 s6, s30, s7
	v_readfirstlane_b32 s40, v1
	s_addc_u32 s7, s31, 0
	s_cmp_eq_u32 s40, s9
	s_cselect_b64 s[22:23], -1, 0
	s_cmp_lg_u32 s40, s9
	v_cmp_lt_u64_e32 vcc, s[6:7], v[2:3]
	s_cselect_b64 s[6:7], -1, 0
	s_or_b64 s[28:29], vcc, s[6:7]
	v_lshlrev_b64 v[18:19], 1, v[14:15]
	v_lshl_add_u64 v[2:3], s[0:1], 0, v[18:19]
	s_mov_b64 s[0:1], -1
	s_and_b64 vcc, exec, s[28:29]
	v_lshlrev_b32_e32 v14, 1, v0
	s_cbranch_vccz .LBB458_6
; %bb.5:
	v_lshl_add_u64 v[4:5], v[2:3], 0, v[14:15]
	v_add_co_u32_e32 v6, vcc, 0x1000, v4
	s_mov_b64 s[0:1], 0
	s_nop 0
	v_addc_co_u32_e32 v7, vcc, 0, v5, vcc
	flat_load_ushort v1, v[4:5]
	flat_load_ushort v10, v[4:5] offset:1024
	flat_load_ushort v11, v[4:5] offset:2048
	;; [unrolled: 1-line block ×3, first 2 shown]
	flat_load_ushort v13, v[6:7]
	flat_load_ushort v15, v[6:7] offset:1024
	flat_load_ushort v20, v[6:7] offset:2048
	;; [unrolled: 1-line block ×3, first 2 shown]
	v_add_co_u32_e32 v6, vcc, 0x2000, v4
	s_nop 1
	v_addc_co_u32_e32 v7, vcc, 0, v5, vcc
	v_add_co_u32_e32 v8, vcc, 0x3000, v4
	s_nop 1
	v_addc_co_u32_e32 v9, vcc, 0, v5, vcc
	flat_load_ushort v22, v[6:7]
	flat_load_ushort v23, v[6:7] offset:1024
	flat_load_ushort v24, v[6:7] offset:2048
	;; [unrolled: 1-line block ×3, first 2 shown]
	flat_load_ushort v26, v[8:9]
	flat_load_ushort v27, v[8:9] offset:1024
	flat_load_ushort v28, v[8:9] offset:2048
	;; [unrolled: 1-line block ×3, first 2 shown]
	v_add_co_u32_e32 v6, vcc, 0x4000, v4
	s_nop 1
	v_addc_co_u32_e32 v7, vcc, 0, v5, vcc
	v_add_co_u32_e32 v8, vcc, 0x5000, v4
	s_nop 1
	v_addc_co_u32_e32 v9, vcc, 0, v5, vcc
	v_add_co_u32_e32 v4, vcc, 0x6000, v4
	flat_load_ushort v30, v[6:7]
	flat_load_ushort v31, v[6:7] offset:1024
	flat_load_ushort v32, v[6:7] offset:2048
	;; [unrolled: 1-line block ×3, first 2 shown]
	flat_load_ushort v34, v[8:9]
	flat_load_ushort v35, v[8:9] offset:1024
	flat_load_ushort v36, v[8:9] offset:2048
	;; [unrolled: 1-line block ×3, first 2 shown]
	v_addc_co_u32_e32 v5, vcc, 0, v5, vcc
	flat_load_ushort v6, v[4:5]
	flat_load_ushort v7, v[4:5] offset:1024
	flat_load_ushort v8, v[4:5] offset:2048
	;; [unrolled: 1-line block ×3, first 2 shown]
	s_waitcnt vmcnt(0) lgkmcnt(0)
	ds_write_b16 v14, v1
	ds_write_b16 v14, v10 offset:1024
	ds_write_b16 v14, v11 offset:2048
	ds_write_b16 v14, v12 offset:3072
	ds_write_b16 v14, v13 offset:4096
	ds_write_b16 v14, v15 offset:5120
	ds_write_b16 v14, v20 offset:6144
	ds_write_b16 v14, v21 offset:7168
	ds_write_b16 v14, v22 offset:8192
	ds_write_b16 v14, v23 offset:9216
	ds_write_b16 v14, v24 offset:10240
	ds_write_b16 v14, v25 offset:11264
	ds_write_b16 v14, v26 offset:12288
	ds_write_b16 v14, v27 offset:13312
	ds_write_b16 v14, v28 offset:14336
	ds_write_b16 v14, v29 offset:15360
	ds_write_b16 v14, v30 offset:16384
	ds_write_b16 v14, v31 offset:17408
	ds_write_b16 v14, v32 offset:18432
	ds_write_b16 v14, v33 offset:19456
	ds_write_b16 v14, v34 offset:20480
	ds_write_b16 v14, v35 offset:21504
	ds_write_b16 v14, v36 offset:22528
	ds_write_b16 v14, v37 offset:23552
	ds_write_b16 v14, v6 offset:24576
	ds_write_b16 v14, v7 offset:25600
	ds_write_b16 v14, v8 offset:26624
	ds_write_b16 v14, v9 offset:27648
	s_waitcnt lgkmcnt(0)
	s_barrier
.LBB458_6:
	s_andn2_b64 vcc, exec, s[0:1]
	v_cmp_gt_u32_e64 s[0:1], s33, v0
	s_cbranch_vccnz .LBB458_64
; %bb.7:
                                        ; implicit-def: $vgpr1
	s_and_saveexec_b64 s[6:7], s[0:1]
	s_cbranch_execz .LBB458_9
; %bb.8:
	v_mov_b32_e32 v15, 0
	v_lshl_add_u64 v[4:5], v[2:3], 0, v[14:15]
	flat_load_ushort v1, v[4:5]
.LBB458_9:
	s_or_b64 exec, exec, s[6:7]
	v_or_b32_e32 v4, 0x200, v0
	v_cmp_gt_u32_e32 vcc, s33, v4
                                        ; implicit-def: $vgpr4
	s_and_saveexec_b64 s[0:1], vcc
	s_cbranch_execz .LBB458_11
; %bb.10:
	v_mov_b32_e32 v15, 0
	v_lshl_add_u64 v[4:5], v[2:3], 0, v[14:15]
	flat_load_ushort v4, v[4:5] offset:1024
.LBB458_11:
	s_or_b64 exec, exec, s[0:1]
	v_or_b32_e32 v5, 0x400, v0
	v_cmp_gt_u32_e32 vcc, s33, v5
                                        ; implicit-def: $vgpr5
	s_and_saveexec_b64 s[0:1], vcc
	s_cbranch_execz .LBB458_13
; %bb.12:
	v_mov_b32_e32 v15, 0
	v_lshl_add_u64 v[6:7], v[2:3], 0, v[14:15]
	flat_load_ushort v5, v[6:7] offset:2048
.LBB458_13:
	s_or_b64 exec, exec, s[0:1]
	v_or_b32_e32 v6, 0x600, v0
	v_cmp_gt_u32_e32 vcc, s33, v6
                                        ; implicit-def: $vgpr6
	s_and_saveexec_b64 s[0:1], vcc
	s_cbranch_execz .LBB458_15
; %bb.14:
	v_mov_b32_e32 v15, 0
	v_lshl_add_u64 v[6:7], v[2:3], 0, v[14:15]
	flat_load_ushort v6, v[6:7] offset:3072
.LBB458_15:
	s_or_b64 exec, exec, s[0:1]
	v_or_b32_e32 v8, 0x800, v0
	v_cmp_gt_u32_e32 vcc, s33, v8
                                        ; implicit-def: $vgpr7
	s_and_saveexec_b64 s[0:1], vcc
	s_cbranch_execz .LBB458_17
; %bb.16:
	v_lshlrev_b32_e32 v8, 1, v8
	v_mov_b32_e32 v9, 0
	v_lshl_add_u64 v[8:9], v[2:3], 0, v[8:9]
	flat_load_ushort v7, v[8:9]
.LBB458_17:
	s_or_b64 exec, exec, s[0:1]
	v_or_b32_e32 v9, 0xa00, v0
	v_cmp_gt_u32_e32 vcc, s33, v9
                                        ; implicit-def: $vgpr8
	s_and_saveexec_b64 s[0:1], vcc
	s_cbranch_execz .LBB458_19
; %bb.18:
	v_lshlrev_b32_e32 v8, 1, v9
	v_mov_b32_e32 v9, 0
	v_lshl_add_u64 v[8:9], v[2:3], 0, v[8:9]
	flat_load_ushort v8, v[8:9]
.LBB458_19:
	s_or_b64 exec, exec, s[0:1]
	v_or_b32_e32 v10, 0xc00, v0
	v_cmp_gt_u32_e32 vcc, s33, v10
                                        ; implicit-def: $vgpr9
	s_and_saveexec_b64 s[0:1], vcc
	s_cbranch_execz .LBB458_21
; %bb.20:
	v_lshlrev_b32_e32 v10, 1, v10
	v_mov_b32_e32 v11, 0
	v_lshl_add_u64 v[10:11], v[2:3], 0, v[10:11]
	flat_load_ushort v9, v[10:11]
.LBB458_21:
	s_or_b64 exec, exec, s[0:1]
	v_or_b32_e32 v11, 0xe00, v0
	v_cmp_gt_u32_e32 vcc, s33, v11
                                        ; implicit-def: $vgpr10
	s_and_saveexec_b64 s[0:1], vcc
	s_cbranch_execz .LBB458_23
; %bb.22:
	v_lshlrev_b32_e32 v10, 1, v11
	v_mov_b32_e32 v11, 0
	v_lshl_add_u64 v[10:11], v[2:3], 0, v[10:11]
	flat_load_ushort v10, v[10:11]
.LBB458_23:
	s_or_b64 exec, exec, s[0:1]
	v_or_b32_e32 v12, 0x1000, v0
	v_cmp_gt_u32_e32 vcc, s33, v12
                                        ; implicit-def: $vgpr11
	s_and_saveexec_b64 s[0:1], vcc
	s_cbranch_execz .LBB458_25
; %bb.24:
	v_lshlrev_b32_e32 v12, 1, v12
	v_mov_b32_e32 v13, 0
	v_lshl_add_u64 v[12:13], v[2:3], 0, v[12:13]
	flat_load_ushort v11, v[12:13]
.LBB458_25:
	s_or_b64 exec, exec, s[0:1]
	v_or_b32_e32 v13, 0x1200, v0
	v_cmp_gt_u32_e32 vcc, s33, v13
                                        ; implicit-def: $vgpr12
	s_and_saveexec_b64 s[0:1], vcc
	s_cbranch_execz .LBB458_27
; %bb.26:
	v_lshlrev_b32_e32 v12, 1, v13
	v_mov_b32_e32 v13, 0
	v_lshl_add_u64 v[12:13], v[2:3], 0, v[12:13]
	flat_load_ushort v12, v[12:13]
.LBB458_27:
	s_or_b64 exec, exec, s[0:1]
	v_or_b32_e32 v15, 0x1400, v0
	v_cmp_gt_u32_e32 vcc, s33, v15
                                        ; implicit-def: $vgpr13
	s_and_saveexec_b64 s[0:1], vcc
	s_cbranch_execz .LBB458_29
; %bb.28:
	v_lshlrev_b32_e32 v20, 1, v15
	v_mov_b32_e32 v21, 0
	v_lshl_add_u64 v[20:21], v[2:3], 0, v[20:21]
	flat_load_ushort v13, v[20:21]
.LBB458_29:
	s_or_b64 exec, exec, s[0:1]
	v_or_b32_e32 v20, 0x1600, v0
	v_cmp_gt_u32_e32 vcc, s33, v20
                                        ; implicit-def: $vgpr15
	s_and_saveexec_b64 s[0:1], vcc
	s_cbranch_execz .LBB458_31
; %bb.30:
	v_lshlrev_b32_e32 v20, 1, v20
	v_mov_b32_e32 v21, 0
	v_lshl_add_u64 v[20:21], v[2:3], 0, v[20:21]
	flat_load_ushort v15, v[20:21]
.LBB458_31:
	s_or_b64 exec, exec, s[0:1]
	v_or_b32_e32 v21, 0x1800, v0
	v_cmp_gt_u32_e32 vcc, s33, v21
                                        ; implicit-def: $vgpr20
	s_and_saveexec_b64 s[0:1], vcc
	s_cbranch_execz .LBB458_33
; %bb.32:
	v_lshlrev_b32_e32 v20, 1, v21
	v_mov_b32_e32 v21, 0
	v_lshl_add_u64 v[20:21], v[2:3], 0, v[20:21]
	flat_load_ushort v20, v[20:21]
.LBB458_33:
	s_or_b64 exec, exec, s[0:1]
	v_or_b32_e32 v22, 0x1a00, v0
	v_cmp_gt_u32_e32 vcc, s33, v22
                                        ; implicit-def: $vgpr21
	s_and_saveexec_b64 s[0:1], vcc
	s_cbranch_execz .LBB458_35
; %bb.34:
	v_lshlrev_b32_e32 v22, 1, v22
	v_mov_b32_e32 v23, 0
	v_lshl_add_u64 v[22:23], v[2:3], 0, v[22:23]
	flat_load_ushort v21, v[22:23]
.LBB458_35:
	s_or_b64 exec, exec, s[0:1]
	v_or_b32_e32 v23, 0x1c00, v0
	v_cmp_gt_u32_e32 vcc, s33, v23
                                        ; implicit-def: $vgpr22
	s_and_saveexec_b64 s[0:1], vcc
	s_cbranch_execz .LBB458_37
; %bb.36:
	v_lshlrev_b32_e32 v22, 1, v23
	v_mov_b32_e32 v23, 0
	v_lshl_add_u64 v[22:23], v[2:3], 0, v[22:23]
	flat_load_ushort v22, v[22:23]
.LBB458_37:
	s_or_b64 exec, exec, s[0:1]
	v_or_b32_e32 v24, 0x1e00, v0
	v_cmp_gt_u32_e32 vcc, s33, v24
                                        ; implicit-def: $vgpr23
	s_and_saveexec_b64 s[0:1], vcc
	s_cbranch_execz .LBB458_39
; %bb.38:
	v_lshlrev_b32_e32 v24, 1, v24
	v_mov_b32_e32 v25, 0
	v_lshl_add_u64 v[24:25], v[2:3], 0, v[24:25]
	flat_load_ushort v23, v[24:25]
.LBB458_39:
	s_or_b64 exec, exec, s[0:1]
	v_or_b32_e32 v25, 0x2000, v0
	v_cmp_gt_u32_e32 vcc, s33, v25
                                        ; implicit-def: $vgpr24
	s_and_saveexec_b64 s[0:1], vcc
	s_cbranch_execz .LBB458_41
; %bb.40:
	v_lshlrev_b32_e32 v24, 1, v25
	v_mov_b32_e32 v25, 0
	v_lshl_add_u64 v[24:25], v[2:3], 0, v[24:25]
	flat_load_ushort v24, v[24:25]
.LBB458_41:
	s_or_b64 exec, exec, s[0:1]
	v_or_b32_e32 v26, 0x2200, v0
	v_cmp_gt_u32_e32 vcc, s33, v26
                                        ; implicit-def: $vgpr25
	s_and_saveexec_b64 s[0:1], vcc
	s_cbranch_execz .LBB458_43
; %bb.42:
	v_lshlrev_b32_e32 v26, 1, v26
	v_mov_b32_e32 v27, 0
	v_lshl_add_u64 v[26:27], v[2:3], 0, v[26:27]
	flat_load_ushort v25, v[26:27]
.LBB458_43:
	s_or_b64 exec, exec, s[0:1]
	v_or_b32_e32 v27, 0x2400, v0
	v_cmp_gt_u32_e32 vcc, s33, v27
                                        ; implicit-def: $vgpr26
	s_and_saveexec_b64 s[0:1], vcc
	s_cbranch_execz .LBB458_45
; %bb.44:
	v_lshlrev_b32_e32 v26, 1, v27
	v_mov_b32_e32 v27, 0
	v_lshl_add_u64 v[26:27], v[2:3], 0, v[26:27]
	flat_load_ushort v26, v[26:27]
.LBB458_45:
	s_or_b64 exec, exec, s[0:1]
	v_or_b32_e32 v28, 0x2600, v0
	v_cmp_gt_u32_e32 vcc, s33, v28
                                        ; implicit-def: $vgpr27
	s_and_saveexec_b64 s[0:1], vcc
	s_cbranch_execz .LBB458_47
; %bb.46:
	v_lshlrev_b32_e32 v28, 1, v28
	v_mov_b32_e32 v29, 0
	v_lshl_add_u64 v[28:29], v[2:3], 0, v[28:29]
	flat_load_ushort v27, v[28:29]
.LBB458_47:
	s_or_b64 exec, exec, s[0:1]
	v_or_b32_e32 v29, 0x2800, v0
	v_cmp_gt_u32_e32 vcc, s33, v29
                                        ; implicit-def: $vgpr28
	s_and_saveexec_b64 s[0:1], vcc
	s_cbranch_execz .LBB458_49
; %bb.48:
	v_lshlrev_b32_e32 v28, 1, v29
	v_mov_b32_e32 v29, 0
	v_lshl_add_u64 v[28:29], v[2:3], 0, v[28:29]
	flat_load_ushort v28, v[28:29]
.LBB458_49:
	s_or_b64 exec, exec, s[0:1]
	v_or_b32_e32 v30, 0x2a00, v0
	v_cmp_gt_u32_e32 vcc, s33, v30
                                        ; implicit-def: $vgpr29
	s_and_saveexec_b64 s[0:1], vcc
	s_cbranch_execz .LBB458_51
; %bb.50:
	v_lshlrev_b32_e32 v30, 1, v30
	v_mov_b32_e32 v31, 0
	v_lshl_add_u64 v[30:31], v[2:3], 0, v[30:31]
	flat_load_ushort v29, v[30:31]
.LBB458_51:
	s_or_b64 exec, exec, s[0:1]
	v_or_b32_e32 v31, 0x2c00, v0
	v_cmp_gt_u32_e32 vcc, s33, v31
                                        ; implicit-def: $vgpr30
	s_and_saveexec_b64 s[0:1], vcc
	s_cbranch_execz .LBB458_53
; %bb.52:
	v_lshlrev_b32_e32 v30, 1, v31
	v_mov_b32_e32 v31, 0
	v_lshl_add_u64 v[30:31], v[2:3], 0, v[30:31]
	flat_load_ushort v30, v[30:31]
.LBB458_53:
	s_or_b64 exec, exec, s[0:1]
	v_or_b32_e32 v32, 0x2e00, v0
	v_cmp_gt_u32_e32 vcc, s33, v32
                                        ; implicit-def: $vgpr31
	s_and_saveexec_b64 s[0:1], vcc
	s_cbranch_execz .LBB458_55
; %bb.54:
	v_lshlrev_b32_e32 v32, 1, v32
	v_mov_b32_e32 v33, 0
	v_lshl_add_u64 v[32:33], v[2:3], 0, v[32:33]
	flat_load_ushort v31, v[32:33]
.LBB458_55:
	s_or_b64 exec, exec, s[0:1]
	v_or_b32_e32 v33, 0x3000, v0
	v_cmp_gt_u32_e32 vcc, s33, v33
                                        ; implicit-def: $vgpr32
	s_and_saveexec_b64 s[0:1], vcc
	s_cbranch_execz .LBB458_57
; %bb.56:
	v_lshlrev_b32_e32 v32, 1, v33
	v_mov_b32_e32 v33, 0
	v_lshl_add_u64 v[32:33], v[2:3], 0, v[32:33]
	flat_load_ushort v32, v[32:33]
.LBB458_57:
	s_or_b64 exec, exec, s[0:1]
	v_or_b32_e32 v34, 0x3200, v0
	v_cmp_gt_u32_e32 vcc, s33, v34
                                        ; implicit-def: $vgpr33
	s_and_saveexec_b64 s[0:1], vcc
	s_cbranch_execz .LBB458_59
; %bb.58:
	v_lshlrev_b32_e32 v34, 1, v34
	v_mov_b32_e32 v35, 0
	v_lshl_add_u64 v[34:35], v[2:3], 0, v[34:35]
	flat_load_ushort v33, v[34:35]
.LBB458_59:
	s_or_b64 exec, exec, s[0:1]
	v_or_b32_e32 v35, 0x3400, v0
	v_cmp_gt_u32_e32 vcc, s33, v35
                                        ; implicit-def: $vgpr34
	s_and_saveexec_b64 s[0:1], vcc
	s_cbranch_execz .LBB458_61
; %bb.60:
	v_lshlrev_b32_e32 v34, 1, v35
	v_mov_b32_e32 v35, 0
	v_lshl_add_u64 v[34:35], v[2:3], 0, v[34:35]
	flat_load_ushort v34, v[34:35]
.LBB458_61:
	s_or_b64 exec, exec, s[0:1]
	v_or_b32_e32 v36, 0x3600, v0
	v_cmp_gt_u32_e32 vcc, s33, v36
                                        ; implicit-def: $vgpr35
	s_and_saveexec_b64 s[0:1], vcc
	s_cbranch_execz .LBB458_63
; %bb.62:
	v_lshlrev_b32_e32 v36, 1, v36
	v_mov_b32_e32 v37, 0
	v_lshl_add_u64 v[2:3], v[2:3], 0, v[36:37]
	flat_load_ushort v35, v[2:3]
.LBB458_63:
	s_or_b64 exec, exec, s[0:1]
	s_waitcnt vmcnt(0) lgkmcnt(0)
	ds_write_b16 v14, v1
	ds_write_b16 v14, v4 offset:1024
	ds_write_b16 v14, v5 offset:2048
	;; [unrolled: 1-line block ×27, first 2 shown]
	s_waitcnt lgkmcnt(0)
	s_barrier
.LBB458_64:
	v_mul_u32_u24_e32 v1, 28, v0
	v_lshlrev_b32_e32 v6, 1, v1
	ds_read_b64 v[20:21], v6 offset:48
	ds_read2_b64 v[2:5], v6 offset0:4 offset1:5
	ds_read2_b64 v[10:13], v6 offset1:1
	ds_read2_b64 v[6:9], v6 offset0:2 offset1:3
	s_add_u32 s0, s2, s4
	s_addc_u32 s1, s3, s5
	v_lshl_add_u64 v[22:23], s[0:1], 0, v[18:19]
	s_mov_b64 s[0:1], -1
	s_and_b64 vcc, exec, s[28:29]
	s_waitcnt lgkmcnt(0)
	s_barrier
	s_cbranch_vccz .LBB458_66
; %bb.65:
	v_mov_b32_e32 v15, 0
	v_readfirstlane_b32 s0, v22
	v_readfirstlane_b32 s1, v23
	v_lshl_add_u64 v[24:25], v[22:23], 0, v[14:15]
	s_nop 3
	global_load_ubyte v15, v14, s[0:1]
	global_load_ubyte v30, v14, s[0:1] offset:1024
	global_load_ubyte v31, v14, s[0:1] offset:2048
	;; [unrolled: 1-line block ×3, first 2 shown]
	s_movk_i32 s0, 0x1000
	v_add_co_u32_e32 v26, vcc, s0, v24
	s_movk_i32 s0, 0x2000
	s_nop 0
	v_addc_co_u32_e32 v27, vcc, 0, v25, vcc
	v_add_co_u32_e32 v28, vcc, s0, v24
	s_movk_i32 s0, 0x3000
	s_nop 0
	v_addc_co_u32_e32 v29, vcc, 0, v25, vcc
	global_load_ubyte v33, v[26:27], off offset:1024
	global_load_ubyte v34, v[26:27], off offset:2048
	;; [unrolled: 1-line block ×3, first 2 shown]
	global_load_ubyte v36, v[28:29], off offset:-4096
	global_load_ubyte v37, v[28:29], off
	global_load_ubyte v38, v[28:29], off offset:1024
	global_load_ubyte v39, v[28:29], off offset:2048
	global_load_ubyte v40, v[28:29], off offset:3072
	v_add_co_u32_e32 v26, vcc, s0, v24
	s_movk_i32 s0, 0x4000
	s_nop 0
	v_addc_co_u32_e32 v27, vcc, 0, v25, vcc
	v_add_co_u32_e32 v28, vcc, s0, v24
	s_movk_i32 s1, 0x6000
	s_nop 0
	v_addc_co_u32_e32 v29, vcc, 0, v25, vcc
	global_load_ubyte v41, v[28:29], off offset:-4096
	global_load_ubyte v42, v[26:27], off offset:1024
	global_load_ubyte v43, v[26:27], off offset:2048
	;; [unrolled: 1-line block ×3, first 2 shown]
	global_load_ubyte v45, v[28:29], off
	v_add_co_u32_e32 v26, vcc, s1, v24
	s_movk_i32 s0, 0x5000
	s_nop 0
	v_addc_co_u32_e32 v27, vcc, 0, v25, vcc
	v_add_co_u32_e32 v24, vcc, s0, v24
	global_load_ubyte v46, v[28:29], off offset:1024
	global_load_ubyte v47, v[28:29], off offset:2048
	;; [unrolled: 1-line block ×3, first 2 shown]
	global_load_ubyte v49, v[26:27], off offset:-4096
	v_addc_co_u32_e32 v25, vcc, 0, v25, vcc
	global_load_ubyte v28, v[24:25], off offset:1024
	global_load_ubyte v29, v[24:25], off offset:2048
	;; [unrolled: 1-line block ×3, first 2 shown]
	global_load_ubyte v51, v[26:27], off
	global_load_ubyte v52, v[26:27], off offset:1024
	global_load_ubyte v53, v[26:27], off offset:2048
	;; [unrolled: 1-line block ×3, first 2 shown]
	s_mov_b64 s[0:1], 0
	s_waitcnt vmcnt(27)
	v_xor_b32_e32 v15, -1, v15
	s_waitcnt vmcnt(26)
	v_xor_b32_e32 v24, -1, v30
	;; [unrolled: 2-line block ×4, first 2 shown]
	v_and_b32_e32 v15, 1, v15
	v_and_b32_e32 v24, 1, v24
	;; [unrolled: 1-line block ×4, first 2 shown]
	s_waitcnt vmcnt(23)
	v_xor_b32_e32 v30, -1, v33
	s_waitcnt vmcnt(22)
	v_xor_b32_e32 v31, -1, v34
	;; [unrolled: 2-line block ×8, first 2 shown]
	v_and_b32_e32 v27, 1, v27
	v_and_b32_e32 v30, 1, v30
	;; [unrolled: 1-line block ×6, first 2 shown]
	s_waitcnt vmcnt(15)
	v_xor_b32_e32 v37, -1, v41
	s_waitcnt vmcnt(14)
	v_xor_b32_e32 v38, -1, v42
	;; [unrolled: 2-line block ×5, first 2 shown]
	v_and_b32_e32 v35, 1, v35
	v_and_b32_e32 v36, 1, v36
	;; [unrolled: 1-line block ×4, first 2 shown]
	s_waitcnt vmcnt(10)
	v_xor_b32_e32 v42, -1, v46
	s_waitcnt vmcnt(9)
	v_xor_b32_e32 v43, -1, v47
	;; [unrolled: 2-line block ×11, first 2 shown]
	v_and_b32_e32 v39, 1, v39
	v_and_b32_e32 v40, 1, v40
	;; [unrolled: 1-line block ×14, first 2 shown]
	ds_write_b8 v0, v15
	ds_write_b8 v0, v24 offset:512
	ds_write_b8 v0, v25 offset:1024
	;; [unrolled: 1-line block ×27, first 2 shown]
	s_waitcnt lgkmcnt(0)
	s_barrier
.LBB458_66:
	s_andn2_b64 vcc, exec, s[0:1]
	s_cbranch_vccnz .LBB458_124
; %bb.67:
	v_cmp_gt_u32_e32 vcc, s33, v0
	v_mov_b32_e32 v15, 0
	v_mov_b32_e32 v24, 0
	s_and_saveexec_b64 s[0:1], vcc
	s_cbranch_execz .LBB458_69
; %bb.68:
	v_readfirstlane_b32 s2, v22
	v_readfirstlane_b32 s3, v23
	s_nop 4
	global_load_ubyte v24, v14, s[2:3]
	s_waitcnt vmcnt(0)
	v_xor_b32_e32 v24, -1, v24
	v_and_b32_e32 v24, 1, v24
.LBB458_69:
	s_or_b64 exec, exec, s[0:1]
	v_or_b32_e32 v25, 0x200, v0
	v_cmp_gt_u32_e32 vcc, s33, v25
	s_and_saveexec_b64 s[0:1], vcc
	s_cbranch_execz .LBB458_71
; %bb.70:
	v_readfirstlane_b32 s2, v22
	v_readfirstlane_b32 s3, v23
	s_nop 4
	global_load_ubyte v15, v14, s[2:3] offset:1024
	s_waitcnt vmcnt(0)
	v_xor_b32_e32 v15, -1, v15
	v_and_b32_e32 v15, 1, v15
.LBB458_71:
	s_or_b64 exec, exec, s[0:1]
	v_or_b32_e32 v25, 0x400, v0
	v_cmp_gt_u32_e32 vcc, s33, v25
	v_mov_b32_e32 v25, 0
	v_mov_b32_e32 v26, 0
	s_and_saveexec_b64 s[0:1], vcc
	s_cbranch_execz .LBB458_73
; %bb.72:
	v_readfirstlane_b32 s2, v22
	v_readfirstlane_b32 s3, v23
	s_nop 4
	global_load_ubyte v26, v14, s[2:3] offset:2048
	s_waitcnt vmcnt(0)
	v_xor_b32_e32 v26, -1, v26
	v_and_b32_e32 v26, 1, v26
.LBB458_73:
	s_or_b64 exec, exec, s[0:1]
	v_or_b32_e32 v27, 0x600, v0
	v_cmp_gt_u32_e32 vcc, s33, v27
	s_and_saveexec_b64 s[0:1], vcc
	s_cbranch_execz .LBB458_75
; %bb.74:
	v_readfirstlane_b32 s2, v22
	v_readfirstlane_b32 s3, v23
	s_nop 4
	global_load_ubyte v25, v14, s[2:3] offset:3072
	s_waitcnt vmcnt(0)
	v_xor_b32_e32 v25, -1, v25
	v_and_b32_e32 v25, 1, v25
.LBB458_75:
	s_or_b64 exec, exec, s[0:1]
	v_or_b32_e32 v29, 0x800, v0
	v_cmp_gt_u32_e32 vcc, s33, v29
	v_mov_b32_e32 v27, 0
	v_mov_b32_e32 v28, 0
	s_and_saveexec_b64 s[0:1], vcc
	s_cbranch_execz .LBB458_77
; %bb.76:
	v_lshlrev_b32_e32 v28, 1, v29
	v_readfirstlane_b32 s2, v22
	v_readfirstlane_b32 s3, v23
	s_nop 4
	global_load_ubyte v28, v28, s[2:3]
	s_waitcnt vmcnt(0)
	v_xor_b32_e32 v28, -1, v28
	v_and_b32_e32 v28, 1, v28
.LBB458_77:
	s_or_b64 exec, exec, s[0:1]
	v_or_b32_e32 v29, 0xa00, v0
	v_cmp_gt_u32_e32 vcc, s33, v29
	s_and_saveexec_b64 s[0:1], vcc
	s_cbranch_execz .LBB458_79
; %bb.78:
	v_lshlrev_b32_e32 v27, 1, v29
	v_readfirstlane_b32 s2, v22
	v_readfirstlane_b32 s3, v23
	s_nop 4
	global_load_ubyte v27, v27, s[2:3]
	s_waitcnt vmcnt(0)
	v_xor_b32_e32 v27, -1, v27
	v_and_b32_e32 v27, 1, v27
.LBB458_79:
	s_or_b64 exec, exec, s[0:1]
	v_or_b32_e32 v31, 0xc00, v0
	v_cmp_gt_u32_e32 vcc, s33, v31
	v_mov_b32_e32 v29, 0
	v_mov_b32_e32 v30, 0
	s_and_saveexec_b64 s[0:1], vcc
	s_cbranch_execz .LBB458_81
; %bb.80:
	v_lshlrev_b32_e32 v30, 1, v31
	v_readfirstlane_b32 s2, v22
	v_readfirstlane_b32 s3, v23
	s_nop 4
	global_load_ubyte v30, v30, s[2:3]
	s_waitcnt vmcnt(0)
	v_xor_b32_e32 v30, -1, v30
	v_and_b32_e32 v30, 1, v30
.LBB458_81:
	s_or_b64 exec, exec, s[0:1]
	v_or_b32_e32 v31, 0xe00, v0
	v_cmp_gt_u32_e32 vcc, s33, v31
	s_and_saveexec_b64 s[0:1], vcc
	s_cbranch_execz .LBB458_83
; %bb.82:
	v_lshlrev_b32_e32 v29, 1, v31
	v_readfirstlane_b32 s2, v22
	v_readfirstlane_b32 s3, v23
	s_nop 4
	global_load_ubyte v29, v29, s[2:3]
	s_waitcnt vmcnt(0)
	v_xor_b32_e32 v29, -1, v29
	v_and_b32_e32 v29, 1, v29
.LBB458_83:
	;; [unrolled: 32-line block ×12, first 2 shown]
	s_or_b64 exec, exec, s[0:1]
	ds_write_b8 v0, v24
	ds_write_b8 v0, v15 offset:512
	ds_write_b8 v0, v26 offset:1024
	;; [unrolled: 1-line block ×27, first 2 shown]
	s_waitcnt lgkmcnt(0)
	s_barrier
.LBB458_124:
	ds_read2_b32 v[28:29], v1 offset1:1
	ds_read2_b32 v[26:27], v1 offset0:2 offset1:3
	ds_read2_b32 v[24:25], v1 offset0:4 offset1:5
	ds_read_b32 v38, v1 offset:24
	s_cmp_lg_u32 s40, 0
	v_lshrrev_b32_e32 v65, 6, v0
	s_waitcnt lgkmcnt(2)
	v_and_b32_e32 v57, 0xff, v26
	v_lshrrev_b32_e32 v45, 24, v28
	v_bfe_u32 v63, v28, 16, 8
	v_add_u32_sdwa v22, v28, v28 dst_sel:DWORD dst_unused:UNUSED_PAD src0_sel:BYTE_1 src1_sel:BYTE_0
	v_and_b32_e32 v60, 0xff, v29
	v_bfe_u32 v61, v29, 8, 8
	v_add3_u32 v22, v22, v63, v45
	v_lshrrev_b32_e32 v44, 24, v29
	v_bfe_u32 v62, v29, 16, 8
	v_add3_u32 v22, v22, v60, v61
	v_bfe_u32 v58, v26, 8, 8
	v_add3_u32 v22, v22, v62, v44
	v_lshrrev_b32_e32 v43, 24, v26
	v_bfe_u32 v59, v26, 16, 8
	v_add3_u32 v22, v22, v57, v58
	v_and_b32_e32 v54, 0xff, v27
	v_bfe_u32 v55, v27, 8, 8
	v_add3_u32 v22, v22, v59, v43
	v_lshrrev_b32_e32 v42, 24, v27
	v_bfe_u32 v56, v27, 16, 8
	v_add3_u32 v22, v22, v54, v55
	s_waitcnt lgkmcnt(1)
	v_and_b32_e32 v51, 0xff, v24
	v_bfe_u32 v52, v24, 8, 8
	v_add3_u32 v22, v22, v56, v42
	v_lshrrev_b32_e32 v41, 24, v24
	v_bfe_u32 v53, v24, 16, 8
	v_add3_u32 v22, v22, v51, v52
	v_and_b32_e32 v48, 0xff, v25
	v_bfe_u32 v49, v25, 8, 8
	v_add3_u32 v22, v22, v53, v41
	v_lshrrev_b32_e32 v40, 24, v25
	v_bfe_u32 v50, v25, 16, 8
	v_add3_u32 v22, v22, v48, v49
	s_waitcnt lgkmcnt(0)
	v_and_b32_e32 v46, 0xff, v38
	v_bfe_u32 v47, v38, 8, 8
	v_add3_u32 v22, v22, v50, v40
	v_lshrrev_b32_e32 v15, 24, v38
	v_bfe_u32 v39, v38, 16, 8
	v_add3_u32 v22, v22, v46, v47
	v_add3_u32 v66, v22, v39, v15
	v_mbcnt_lo_u32_b32 v22, -1, 0
	v_mbcnt_hi_u32_b32 v64, -1, v22
	v_and_b32_e32 v22, 15, v64
	v_cmp_eq_u32_e64 s[14:15], 0, v22
	v_cmp_lt_u32_e64 s[12:13], 1, v22
	v_cmp_lt_u32_e64 s[10:11], 3, v22
	v_cmp_lt_u32_e64 s[8:9], 7, v22
	v_and_b32_e32 v22, 16, v64
	v_cmp_eq_u32_e64 s[6:7], 0, v22
	v_or_b32_e32 v22, 63, v0
	v_cmp_lt_u32_e64 s[2:3], 31, v64
	v_cmp_eq_u32_e64 s[4:5], v22, v0
	s_barrier
	s_cbranch_scc0 .LBB458_155
; %bb.125:
	v_mov_b32_dpp v22, v66 row_shr:1 row_mask:0xf bank_mask:0xf
	v_cndmask_b32_e64 v22, v22, 0, s[14:15]
	v_add_u32_e32 v22, v22, v66
	s_nop 1
	v_mov_b32_dpp v23, v22 row_shr:2 row_mask:0xf bank_mask:0xf
	v_cndmask_b32_e64 v23, 0, v23, s[12:13]
	v_add_u32_e32 v22, v22, v23
	s_nop 1
	;; [unrolled: 4-line block ×4, first 2 shown]
	v_mov_b32_dpp v23, v22 row_bcast:15 row_mask:0xf bank_mask:0xf
	v_cndmask_b32_e64 v23, v23, 0, s[6:7]
	v_add_u32_e32 v22, v22, v23
	s_nop 1
	v_mov_b32_dpp v23, v22 row_bcast:31 row_mask:0xf bank_mask:0xf
	v_cndmask_b32_e64 v23, 0, v23, s[2:3]
	v_add_u32_e32 v22, v22, v23
	s_and_saveexec_b64 s[0:1], s[4:5]
	s_cbranch_execz .LBB458_127
; %bb.126:
	v_lshlrev_b32_e32 v23, 2, v65
	ds_write_b32 v23, v22
.LBB458_127:
	s_or_b64 exec, exec, s[0:1]
	v_cmp_gt_u32_e32 vcc, 8, v0
	s_waitcnt lgkmcnt(0)
	s_barrier
	s_and_saveexec_b64 s[0:1], vcc
	s_cbranch_execz .LBB458_129
; %bb.128:
	v_lshlrev_b32_e32 v23, 2, v0
	ds_read_b32 v30, v23
	v_and_b32_e32 v31, 7, v64
	v_cmp_ne_u32_e32 vcc, 0, v31
	s_waitcnt lgkmcnt(0)
	v_mov_b32_dpp v32, v30 row_shr:1 row_mask:0xf bank_mask:0xf
	v_cndmask_b32_e32 v32, 0, v32, vcc
	v_add_u32_e32 v30, v32, v30
	v_cmp_lt_u32_e32 vcc, 1, v31
	s_nop 0
	v_mov_b32_dpp v32, v30 row_shr:2 row_mask:0xf bank_mask:0xf
	v_cndmask_b32_e32 v32, 0, v32, vcc
	v_add_u32_e32 v30, v30, v32
	v_cmp_lt_u32_e32 vcc, 3, v31
	s_nop 0
	v_mov_b32_dpp v32, v30 row_shr:4 row_mask:0xf bank_mask:0xf
	v_cndmask_b32_e32 v31, 0, v32, vcc
	v_add_u32_e32 v30, v30, v31
	ds_write_b32 v23, v30
.LBB458_129:
	s_or_b64 exec, exec, s[0:1]
	v_cmp_gt_u32_e32 vcc, 64, v0
	v_cmp_lt_u32_e64 s[0:1], 63, v0
	s_waitcnt lgkmcnt(0)
	s_barrier
	s_waitcnt lgkmcnt(0)
                                        ; implicit-def: $vgpr67
	s_and_saveexec_b64 s[16:17], s[0:1]
	s_cbranch_execz .LBB458_131
; %bb.130:
	v_lshl_add_u32 v23, v65, 2, -4
	ds_read_b32 v67, v23
	s_waitcnt lgkmcnt(0)
	v_add_u32_e32 v22, v67, v22
.LBB458_131:
	s_or_b64 exec, exec, s[16:17]
	v_add_u32_e32 v23, -1, v64
	v_and_b32_e32 v30, 64, v64
	v_cmp_lt_i32_e64 s[0:1], v23, v30
	v_cmp_eq_u32_e64 s[16:17], 0, v64
	s_nop 0
	v_cndmask_b32_e64 v23, v23, v64, s[0:1]
	v_lshlrev_b32_e32 v23, 2, v23
	ds_bpermute_b32 v68, v23, v22
	s_and_saveexec_b64 s[0:1], vcc
	s_cbranch_execz .LBB458_154
; %bb.132:
	v_mov_b32_e32 v37, 0
	ds_read_b32 v22, v37 offset:28
	s_and_saveexec_b64 s[36:37], s[16:17]
	s_cbranch_execz .LBB458_134
; %bb.133:
	s_add_i32 s38, s40, 64
	s_mov_b32 s39, 0
	s_lshl_b64 s[38:39], s[38:39], 3
	s_add_u32 s38, s34, s38
	v_mov_b32_e32 v23, 1
	s_addc_u32 s39, s35, s39
	s_waitcnt lgkmcnt(0)
	global_store_dwordx2 v37, v[22:23], s[38:39] sc1
.LBB458_134:
	s_or_b64 exec, exec, s[36:37]
	v_xad_u32 v30, v64, -1, s40
	v_add_u32_e32 v36, 64, v30
	v_lshl_add_u64 v[32:33], v[36:37], 3, s[34:35]
	global_load_dwordx2 v[34:35], v[32:33], off sc1
	s_waitcnt vmcnt(0)
	v_cmp_eq_u16_sdwa s[38:39], v35, v37 src0_sel:BYTE_0 src1_sel:DWORD
	s_and_saveexec_b64 s[36:37], s[38:39]
	s_cbranch_execz .LBB458_140
; %bb.135:
	s_mov_b32 s41, 1
	s_mov_b64 s[38:39], 0
	v_mov_b32_e32 v23, 0
.LBB458_136:                            ; =>This Loop Header: Depth=1
                                        ;     Child Loop BB458_137 Depth 2
	s_max_u32 s42, s41, 1
.LBB458_137:                            ;   Parent Loop BB458_136 Depth=1
                                        ; =>  This Inner Loop Header: Depth=2
	s_add_i32 s42, s42, -1
	s_cmp_eq_u32 s42, 0
	s_sleep 1
	s_cbranch_scc0 .LBB458_137
; %bb.138:                              ;   in Loop: Header=BB458_136 Depth=1
	global_load_dwordx2 v[34:35], v[32:33], off sc1
	s_cmp_lt_u32 s41, 32
	s_cselect_b64 s[42:43], -1, 0
	s_cmp_lg_u64 s[42:43], 0
	s_addc_u32 s41, s41, 0
	s_waitcnt vmcnt(0)
	v_cmp_ne_u16_sdwa s[42:43], v35, v23 src0_sel:BYTE_0 src1_sel:DWORD
	s_or_b64 s[38:39], s[42:43], s[38:39]
	s_andn2_b64 exec, exec, s[38:39]
	s_cbranch_execnz .LBB458_136
; %bb.139:
	s_or_b64 exec, exec, s[38:39]
.LBB458_140:
	s_or_b64 exec, exec, s[36:37]
	v_and_b32_e32 v70, 63, v64
	v_mov_b32_e32 v69, 2
	v_cmp_ne_u32_e32 vcc, 63, v70
	v_cmp_eq_u16_sdwa s[36:37], v35, v69 src0_sel:BYTE_0 src1_sel:DWORD
	v_lshlrev_b64 v[32:33], v64, -1
	v_addc_co_u32_e32 v36, vcc, 0, v64, vcc
	v_and_b32_e32 v23, s37, v33
	v_lshlrev_b32_e32 v71, 2, v36
	v_or_b32_e32 v23, 0x80000000, v23
	ds_bpermute_b32 v36, v71, v34
	v_and_b32_e32 v31, s36, v32
	v_ffbl_b32_e32 v23, v23
	v_add_u32_e32 v23, 32, v23
	v_ffbl_b32_e32 v31, v31
	v_min_u32_e32 v23, v31, v23
	v_cmp_lt_u32_e32 vcc, v70, v23
	v_add_u32_e32 v73, 2, v70
	v_add_u32_e32 v75, 4, v70
	s_waitcnt lgkmcnt(0)
	v_cndmask_b32_e32 v31, 0, v36, vcc
	v_cmp_gt_u32_e32 vcc, 62, v70
	v_add_u32_e32 v31, v31, v34
	v_add_u32_e32 v77, 8, v70
	v_cndmask_b32_e64 v34, 0, 1, vcc
	v_lshlrev_b32_e32 v34, 1, v34
	v_add_lshl_u32 v72, v34, v64, 2
	ds_bpermute_b32 v34, v72, v31
	v_cmp_le_u32_e32 vcc, v73, v23
	v_add_u32_e32 v79, 16, v70
	v_add_u32_e32 v81, 32, v70
	s_waitcnt lgkmcnt(0)
	v_cndmask_b32_e32 v34, 0, v34, vcc
	v_cmp_gt_u32_e32 vcc, 60, v70
	v_add_u32_e32 v31, v31, v34
	s_nop 0
	v_cndmask_b32_e64 v34, 0, 1, vcc
	v_lshlrev_b32_e32 v34, 2, v34
	v_add_lshl_u32 v74, v34, v64, 2
	ds_bpermute_b32 v34, v74, v31
	v_cmp_le_u32_e32 vcc, v75, v23
	s_waitcnt lgkmcnt(0)
	s_nop 0
	v_cndmask_b32_e32 v34, 0, v34, vcc
	v_cmp_gt_u32_e32 vcc, 56, v70
	v_add_u32_e32 v31, v31, v34
	s_nop 0
	v_cndmask_b32_e64 v34, 0, 1, vcc
	v_lshlrev_b32_e32 v34, 3, v34
	v_add_lshl_u32 v76, v34, v64, 2
	ds_bpermute_b32 v34, v76, v31
	v_cmp_le_u32_e32 vcc, v77, v23
	s_waitcnt lgkmcnt(0)
	s_nop 0
	;; [unrolled: 11-line block ×4, first 2 shown]
	v_cndmask_b32_e32 v23, 0, v34, vcc
	v_add_u32_e32 v34, v31, v23
	v_mov_b32_e32 v31, 0
	s_branch .LBB458_142
.LBB458_141:                            ;   in Loop: Header=BB458_142 Depth=1
	s_or_b64 exec, exec, s[36:37]
	v_cmp_eq_u16_sdwa s[36:37], v35, v69 src0_sel:BYTE_0 src1_sel:DWORD
	ds_bpermute_b32 v82, v71, v34
	v_subrev_u32_e32 v30, 64, v30
	v_and_b32_e32 v36, s37, v33
	v_or_b32_e32 v36, 0x80000000, v36
	v_and_b32_e32 v37, s36, v32
	v_ffbl_b32_e32 v36, v36
	v_add_u32_e32 v36, 32, v36
	v_ffbl_b32_e32 v37, v37
	v_min_u32_e32 v36, v37, v36
	v_cmp_lt_u32_e32 vcc, v70, v36
	s_waitcnt lgkmcnt(0)
	s_nop 0
	v_cndmask_b32_e32 v37, 0, v82, vcc
	v_add_u32_e32 v34, v37, v34
	ds_bpermute_b32 v37, v72, v34
	v_cmp_le_u32_e32 vcc, v73, v36
	s_waitcnt lgkmcnt(0)
	s_nop 0
	v_cndmask_b32_e32 v37, 0, v37, vcc
	v_add_u32_e32 v34, v34, v37
	ds_bpermute_b32 v37, v74, v34
	v_cmp_le_u32_e32 vcc, v75, v36
	;; [unrolled: 6-line block ×5, first 2 shown]
	s_waitcnt lgkmcnt(0)
	s_nop 0
	v_cndmask_b32_e32 v36, 0, v37, vcc
	v_add3_u32 v34, v36, v23, v34
.LBB458_142:                            ; =>This Loop Header: Depth=1
                                        ;     Child Loop BB458_145 Depth 2
                                        ;       Child Loop BB458_146 Depth 3
	v_cmp_ne_u16_sdwa s[36:37], v35, v69 src0_sel:BYTE_0 src1_sel:DWORD
	s_nop 1
	v_cndmask_b32_e64 v23, 0, 1, s[36:37]
	;;#ASMSTART
	;;#ASMEND
	s_nop 0
	v_cmp_ne_u32_e32 vcc, 0, v23
	s_cmp_lg_u64 vcc, exec
	v_mov_b32_e32 v23, v34
	s_cbranch_scc1 .LBB458_149
; %bb.143:                              ;   in Loop: Header=BB458_142 Depth=1
	v_lshl_add_u64 v[36:37], v[30:31], 3, s[34:35]
	global_load_dwordx2 v[34:35], v[36:37], off sc1
	s_waitcnt vmcnt(0)
	v_cmp_eq_u16_sdwa s[38:39], v35, v31 src0_sel:BYTE_0 src1_sel:DWORD
	s_and_saveexec_b64 s[36:37], s[38:39]
	s_cbranch_execz .LBB458_141
; %bb.144:                              ;   in Loop: Header=BB458_142 Depth=1
	s_mov_b32 s41, 1
	s_mov_b64 s[38:39], 0
.LBB458_145:                            ;   Parent Loop BB458_142 Depth=1
                                        ; =>  This Loop Header: Depth=2
                                        ;       Child Loop BB458_146 Depth 3
	s_max_u32 s42, s41, 1
.LBB458_146:                            ;   Parent Loop BB458_142 Depth=1
                                        ;     Parent Loop BB458_145 Depth=2
                                        ; =>    This Inner Loop Header: Depth=3
	s_add_i32 s42, s42, -1
	s_cmp_eq_u32 s42, 0
	s_sleep 1
	s_cbranch_scc0 .LBB458_146
; %bb.147:                              ;   in Loop: Header=BB458_145 Depth=2
	global_load_dwordx2 v[34:35], v[36:37], off sc1
	s_cmp_lt_u32 s41, 32
	s_cselect_b64 s[42:43], -1, 0
	s_cmp_lg_u64 s[42:43], 0
	s_addc_u32 s41, s41, 0
	s_waitcnt vmcnt(0)
	v_cmp_ne_u16_sdwa s[42:43], v35, v31 src0_sel:BYTE_0 src1_sel:DWORD
	s_or_b64 s[38:39], s[42:43], s[38:39]
	s_andn2_b64 exec, exec, s[38:39]
	s_cbranch_execnz .LBB458_145
; %bb.148:                              ;   in Loop: Header=BB458_142 Depth=1
	s_or_b64 exec, exec, s[38:39]
	s_branch .LBB458_141
.LBB458_149:                            ;   in Loop: Header=BB458_142 Depth=1
                                        ; implicit-def: $vgpr34
                                        ; implicit-def: $vgpr35
	s_cbranch_execz .LBB458_142
; %bb.150:
	s_and_saveexec_b64 s[36:37], s[16:17]
	s_cbranch_execz .LBB458_152
; %bb.151:
	s_add_i32 s38, s40, 64
	s_mov_b32 s39, 0
	s_lshl_b64 s[38:39], s[38:39], 3
	s_add_u32 s38, s34, s38
	v_add_u32_e32 v30, v23, v22
	v_mov_b32_e32 v31, 2
	s_addc_u32 s39, s35, s39
	v_mov_b32_e32 v32, 0
	global_store_dwordx2 v32, v[30:31], s[38:39] sc1
	ds_write_b64 v32, v[22:23] offset:28672
.LBB458_152:
	s_or_b64 exec, exec, s[36:37]
	s_and_b64 exec, exec, s[18:19]
	s_cbranch_execz .LBB458_154
; %bb.153:
	v_mov_b32_e32 v22, 0
	ds_write_b32 v22, v23 offset:28
.LBB458_154:
	s_or_b64 exec, exec, s[0:1]
	v_mov_b32_e32 v22, 0
	s_waitcnt lgkmcnt(0)
	s_barrier
	ds_read_b32 v30, v22 offset:28
	s_waitcnt lgkmcnt(0)
	s_barrier
	ds_read_b64 v[22:23], v22 offset:28672
	v_cndmask_b32_e64 v31, v68, v67, s[16:17]
	v_cndmask_b32_e64 v31, v31, 0, s[18:19]
	v_add_u32_e32 v36, v30, v31
	s_waitcnt lgkmcnt(0)
	v_mov_b32_e32 v30, v23
	s_branch .LBB458_165
.LBB458_155:
                                        ; implicit-def: $vgpr30
                                        ; implicit-def: $vgpr22
                                        ; implicit-def: $vgpr36
	s_cbranch_execz .LBB458_165
; %bb.156:
	s_nop 0
	v_mov_b32_dpp v22, v66 row_shr:1 row_mask:0xf bank_mask:0xf
	v_cndmask_b32_e64 v22, v22, 0, s[14:15]
	v_add_u32_e32 v22, v22, v66
	s_nop 1
	v_mov_b32_dpp v23, v22 row_shr:2 row_mask:0xf bank_mask:0xf
	v_cndmask_b32_e64 v23, 0, v23, s[12:13]
	v_add_u32_e32 v22, v22, v23
	;; [unrolled: 4-line block ×4, first 2 shown]
	s_nop 1
	v_mov_b32_dpp v23, v22 row_bcast:15 row_mask:0xf bank_mask:0xf
	v_cndmask_b32_e64 v23, v23, 0, s[6:7]
	v_add_u32_e32 v22, v22, v23
	s_nop 1
	v_mov_b32_dpp v23, v22 row_bcast:31 row_mask:0xf bank_mask:0xf
	v_cndmask_b32_e64 v23, 0, v23, s[2:3]
	v_add_u32_e32 v22, v22, v23
	s_and_saveexec_b64 s[0:1], s[4:5]
	s_cbranch_execz .LBB458_158
; %bb.157:
	v_lshlrev_b32_e32 v23, 2, v65
	ds_write_b32 v23, v22
.LBB458_158:
	s_or_b64 exec, exec, s[0:1]
	v_cmp_gt_u32_e32 vcc, 8, v0
	s_waitcnt lgkmcnt(0)
	s_barrier
	s_and_saveexec_b64 s[0:1], vcc
	s_cbranch_execz .LBB458_160
; %bb.159:
	v_lshlrev_b32_e32 v23, 2, v0
	ds_read_b32 v30, v23
	v_and_b32_e32 v31, 7, v64
	v_cmp_ne_u32_e32 vcc, 0, v31
	s_waitcnt lgkmcnt(0)
	v_mov_b32_dpp v32, v30 row_shr:1 row_mask:0xf bank_mask:0xf
	v_cndmask_b32_e32 v32, 0, v32, vcc
	v_add_u32_e32 v30, v32, v30
	v_cmp_lt_u32_e32 vcc, 1, v31
	s_nop 0
	v_mov_b32_dpp v32, v30 row_shr:2 row_mask:0xf bank_mask:0xf
	v_cndmask_b32_e32 v32, 0, v32, vcc
	v_add_u32_e32 v30, v30, v32
	v_cmp_lt_u32_e32 vcc, 3, v31
	s_nop 0
	v_mov_b32_dpp v32, v30 row_shr:4 row_mask:0xf bank_mask:0xf
	v_cndmask_b32_e32 v31, 0, v32, vcc
	v_add_u32_e32 v30, v30, v31
	ds_write_b32 v23, v30
.LBB458_160:
	s_or_b64 exec, exec, s[0:1]
	v_cmp_lt_u32_e32 vcc, 63, v0
	v_mov_b32_e32 v23, 0
	v_mov_b32_e32 v30, 0
	s_waitcnt lgkmcnt(0)
	s_barrier
	s_and_saveexec_b64 s[0:1], vcc
	s_cbranch_execz .LBB458_162
; %bb.161:
	v_lshl_add_u32 v30, v65, 2, -4
	ds_read_b32 v30, v30
.LBB458_162:
	s_or_b64 exec, exec, s[0:1]
	v_add_u32_e32 v31, -1, v64
	v_and_b32_e32 v32, 64, v64
	v_cmp_lt_i32_e32 vcc, v31, v32
	s_waitcnt lgkmcnt(0)
	v_add_u32_e32 v22, v30, v22
	v_cndmask_b32_e32 v31, v31, v64, vcc
	v_lshlrev_b32_e32 v31, 2, v31
	ds_bpermute_b32 v31, v31, v22
	ds_read_b32 v22, v23 offset:28
	s_and_saveexec_b64 s[0:1], s[18:19]
	s_cbranch_execz .LBB458_164
; %bb.163:
	v_mov_b32_e32 v32, 0
	v_mov_b32_e32 v23, 2
	s_waitcnt lgkmcnt(0)
	global_store_dwordx2 v32, v[22:23], s[34:35] offset:512 sc1
.LBB458_164:
	s_or_b64 exec, exec, s[0:1]
	v_cmp_eq_u32_e32 vcc, 0, v64
	s_waitcnt lgkmcnt(0)
	s_barrier
	v_cndmask_b32_e32 v23, v31, v30, vcc
	v_mov_b32_e32 v30, 0
	v_cndmask_b32_e64 v36, v23, 0, s[18:19]
.LBB458_165:
	v_add_u32_sdwa v64, v36, v28 dst_sel:DWORD dst_unused:UNUSED_PAD src0_sel:DWORD src1_sel:BYTE_0
	v_add_u32_e32 v1, v22, v1
	v_sub_u32_e32 v36, v36, v30
	v_and_b32_e32 v73, 1, v28
	v_sub_u32_e32 v72, v1, v36
	v_cmp_eq_u32_e32 vcc, 1, v73
	v_lshrrev_b32_e32 v37, 8, v28
	v_add_u32_sdwa v65, v64, v28 dst_sel:DWORD dst_unused:UNUSED_PAD src0_sel:DWORD src1_sel:BYTE_1
	v_cndmask_b32_e32 v36, v72, v36, vcc
	v_lshlrev_b32_e32 v36, 1, v36
	ds_write_b16 v36, v10
	v_sub_u32_e32 v36, v64, v30
	v_sub_u32_e32 v64, v1, v36
	v_and_b32_e32 v37, 1, v37
	v_add_u32_e32 v64, 1, v64
	v_cmp_eq_u32_e32 vcc, 1, v37
	v_mov_b32_e32 v37, 1
	v_and_b32_sdwa v28, v37, v28 dst_sel:DWORD dst_unused:UNUSED_PAD src0_sel:DWORD src1_sel:WORD_1
	v_cndmask_b32_e32 v36, v64, v36, vcc
	v_lshlrev_b32_e32 v36, 1, v36
	ds_write_b16_d16_hi v36, v10
	v_sub_u32_e32 v10, v65, v30
	v_sub_u32_e32 v36, v1, v10
	v_add_u32_e32 v36, 2, v36
	v_cmp_eq_u32_e32 vcc, 1, v28
	v_add_u32_e32 v63, v65, v63
	v_add_u32_e32 v66, v63, v45
	v_cndmask_b32_e32 v10, v36, v10, vcc
	v_lshlrev_b32_e32 v10, 1, v10
	ds_write_b16 v10, v11
	v_sub_u32_e32 v10, v63, v30
	v_sub_u32_e32 v28, v1, v10
	v_and_b32_e32 v36, 1, v45
	v_add_u32_e32 v28, 3, v28
	v_cmp_eq_u32_e32 vcc, 1, v36
	v_add_u32_e32 v60, v66, v60
	v_lshrrev_b32_e32 v35, 8, v29
	v_cndmask_b32_e32 v10, v28, v10, vcc
	v_lshlrev_b32_e32 v10, 1, v10
	ds_write_b16_d16_hi v10, v11
	v_sub_u32_e32 v10, v66, v30
	v_sub_u32_e32 v11, v1, v10
	v_and_b32_e32 v28, 1, v29
	v_add_u32_e32 v11, 4, v11
	v_cmp_eq_u32_e32 vcc, 1, v28
	v_and_b32_e32 v28, 1, v35
	v_add_u32_e32 v61, v60, v61
	v_cndmask_b32_e32 v10, v11, v10, vcc
	v_lshlrev_b32_e32 v10, 1, v10
	ds_write_b16 v10, v12
	v_sub_u32_e32 v10, v60, v30
	v_sub_u32_e32 v11, v1, v10
	v_add_u32_e32 v11, 5, v11
	v_cmp_eq_u32_e32 vcc, 1, v28
	v_add_u32_e32 v62, v61, v62
	v_add_u32_e32 v67, v62, v44
	v_cndmask_b32_e32 v10, v11, v10, vcc
	v_lshlrev_b32_e32 v10, 1, v10
	ds_write_b16_d16_hi v10, v12
	v_sub_u32_e32 v10, v61, v30
	v_sub_u32_e32 v11, v1, v10
	v_and_b32_sdwa v12, v37, v29 dst_sel:DWORD dst_unused:UNUSED_PAD src0_sel:DWORD src1_sel:WORD_1
	v_add_u32_e32 v11, 6, v11
	v_cmp_eq_u32_e32 vcc, 1, v12
	v_and_b32_e32 v12, 1, v44
	v_add_u32_e32 v57, v67, v57
	v_cndmask_b32_e32 v10, v11, v10, vcc
	v_lshlrev_b32_e32 v10, 1, v10
	ds_write_b16 v10, v13
	v_sub_u32_e32 v10, v62, v30
	v_sub_u32_e32 v11, v1, v10
	v_add_u32_e32 v11, 7, v11
	v_cmp_eq_u32_e32 vcc, 1, v12
	v_and_b32_e32 v12, 1, v26
	v_lshrrev_b32_e32 v34, 8, v26
	v_cndmask_b32_e32 v10, v11, v10, vcc
	v_lshlrev_b32_e32 v10, 1, v10
	ds_write_b16_d16_hi v10, v13
	v_sub_u32_e32 v10, v67, v30
	v_sub_u32_e32 v11, v1, v10
	v_add_u32_e32 v11, 8, v11
	v_cmp_eq_u32_e32 vcc, 1, v12
	v_and_b32_e32 v12, 1, v34
	v_add_u32_e32 v58, v57, v58
	v_cndmask_b32_e32 v10, v11, v10, vcc
	v_lshlrev_b32_e32 v10, 1, v10
	ds_write_b16 v10, v6
	v_sub_u32_e32 v10, v57, v30
	v_sub_u32_e32 v11, v1, v10
	v_add_u32_e32 v11, 9, v11
	v_cmp_eq_u32_e32 vcc, 1, v12
	v_add_u32_e32 v59, v58, v59
	v_add_u32_e32 v68, v59, v43
	v_cndmask_b32_e32 v10, v11, v10, vcc
	v_lshlrev_b32_e32 v10, 1, v10
	ds_write_b16_d16_hi v10, v6
	v_sub_u32_e32 v6, v58, v30
	v_sub_u32_e32 v10, v1, v6
	v_and_b32_sdwa v11, v37, v26 dst_sel:DWORD dst_unused:UNUSED_PAD src0_sel:DWORD src1_sel:WORD_1
	v_add_u32_e32 v10, 10, v10
	v_cmp_eq_u32_e32 vcc, 1, v11
	v_and_b32_e32 v11, 1, v43
	v_add_u32_e32 v54, v68, v54
	v_cndmask_b32_e32 v6, v10, v6, vcc
	v_lshlrev_b32_e32 v6, 1, v6
	ds_write_b16 v6, v7
	v_sub_u32_e32 v6, v59, v30
	v_sub_u32_e32 v10, v1, v6
	v_add_u32_e32 v10, 11, v10
	v_cmp_eq_u32_e32 vcc, 1, v11
	v_lshrrev_b32_e32 v33, 8, v27
	v_add_u32_e32 v55, v54, v55
	v_cndmask_b32_e32 v6, v10, v6, vcc
	v_lshlrev_b32_e32 v6, 1, v6
	ds_write_b16_d16_hi v6, v7
	v_sub_u32_e32 v6, v68, v30
	v_sub_u32_e32 v7, v1, v6
	v_and_b32_e32 v10, 1, v27
	v_add_u32_e32 v7, 12, v7
	v_cmp_eq_u32_e32 vcc, 1, v10
	v_and_b32_e32 v10, 1, v33
	v_add_u32_e32 v56, v55, v56
	v_cndmask_b32_e32 v6, v7, v6, vcc
	v_lshlrev_b32_e32 v6, 1, v6
	ds_write_b16 v6, v8
	v_sub_u32_e32 v6, v54, v30
	v_sub_u32_e32 v7, v1, v6
	v_add_u32_e32 v7, 13, v7
	v_cmp_eq_u32_e32 vcc, 1, v10
	v_add_u32_e32 v69, v56, v42
	v_add_u32_e32 v51, v69, v51
	v_cndmask_b32_e32 v6, v7, v6, vcc
	v_lshlrev_b32_e32 v6, 1, v6
	ds_write_b16_d16_hi v6, v8
	v_sub_u32_e32 v6, v55, v30
	v_sub_u32_e32 v7, v1, v6
	v_and_b32_sdwa v8, v37, v27 dst_sel:DWORD dst_unused:UNUSED_PAD src0_sel:DWORD src1_sel:WORD_1
	v_add_u32_e32 v7, 14, v7
	v_cmp_eq_u32_e32 vcc, 1, v8
	v_and_b32_e32 v8, 1, v42
	v_lshrrev_b32_e32 v32, 8, v24
	v_cndmask_b32_e32 v6, v7, v6, vcc
	v_lshlrev_b32_e32 v6, 1, v6
	ds_write_b16 v6, v9
	v_sub_u32_e32 v6, v56, v30
	v_sub_u32_e32 v7, v1, v6
	v_add_u32_e32 v7, 15, v7
	v_cmp_eq_u32_e32 vcc, 1, v8
	v_and_b32_e32 v8, 1, v24
	v_add_u32_e32 v52, v51, v52
	v_cndmask_b32_e32 v6, v7, v6, vcc
	v_lshlrev_b32_e32 v6, 1, v6
	ds_write_b16_d16_hi v6, v9
	v_sub_u32_e32 v6, v69, v30
	v_sub_u32_e32 v7, v1, v6
	v_add_u32_e32 v7, 16, v7
	v_cmp_eq_u32_e32 vcc, 1, v8
	v_and_b32_e32 v8, 1, v32
	v_add_u32_e32 v53, v52, v53
	v_cndmask_b32_e32 v6, v7, v6, vcc
	v_lshlrev_b32_e32 v6, 1, v6
	ds_write_b16 v6, v2
	v_sub_u32_e32 v6, v51, v30
	v_sub_u32_e32 v7, v1, v6
	v_add_u32_e32 v7, 17, v7
	v_cmp_eq_u32_e32 vcc, 1, v8
	v_add_u32_e32 v70, v53, v41
	v_add_u32_e32 v48, v70, v48
	v_cndmask_b32_e32 v6, v7, v6, vcc
	v_lshlrev_b32_e32 v6, 1, v6
	ds_write_b16_d16_hi v6, v2
	v_sub_u32_e32 v2, v52, v30
	v_sub_u32_e32 v6, v1, v2
	v_and_b32_sdwa v7, v37, v24 dst_sel:DWORD dst_unused:UNUSED_PAD src0_sel:DWORD src1_sel:WORD_1
	v_add_u32_e32 v6, 18, v6
	v_cmp_eq_u32_e32 vcc, 1, v7
	v_and_b32_e32 v7, 1, v41
	v_lshrrev_b32_e32 v31, 8, v25
	v_cndmask_b32_e32 v2, v6, v2, vcc
	v_lshlrev_b32_e32 v2, 1, v2
	ds_write_b16 v2, v3
	v_sub_u32_e32 v2, v53, v30
	v_sub_u32_e32 v6, v1, v2
	v_add_u32_e32 v6, 19, v6
	v_cmp_eq_u32_e32 vcc, 1, v7
	v_add_u32_e32 v49, v48, v49
	v_add_u32_e32 v50, v49, v50
	v_cndmask_b32_e32 v2, v6, v2, vcc
	v_lshlrev_b32_e32 v2, 1, v2
	ds_write_b16_d16_hi v2, v3
	v_sub_u32_e32 v2, v70, v30
	v_sub_u32_e32 v3, v1, v2
	v_and_b32_e32 v6, 1, v25
	v_add_u32_e32 v3, 20, v3
	v_cmp_eq_u32_e32 vcc, 1, v6
	v_and_b32_e32 v6, 1, v31
	v_add_u32_e32 v71, v50, v40
	v_cndmask_b32_e32 v2, v3, v2, vcc
	v_lshlrev_b32_e32 v2, 1, v2
	ds_write_b16 v2, v4
	v_sub_u32_e32 v2, v48, v30
	v_sub_u32_e32 v3, v1, v2
	v_add_u32_e32 v3, 21, v3
	v_cmp_eq_u32_e32 vcc, 1, v6
	v_add_u32_e32 v46, v71, v46
	v_lshrrev_b32_e32 v23, 8, v38
	v_cndmask_b32_e32 v2, v3, v2, vcc
	v_lshlrev_b32_e32 v2, 1, v2
	ds_write_b16_d16_hi v2, v4
	v_sub_u32_e32 v2, v49, v30
	v_sub_u32_e32 v3, v1, v2
	v_and_b32_sdwa v4, v37, v25 dst_sel:DWORD dst_unused:UNUSED_PAD src0_sel:DWORD src1_sel:WORD_1
	v_add_u32_e32 v3, 22, v3
	v_cmp_eq_u32_e32 vcc, 1, v4
	v_and_b32_e32 v4, 1, v40
	v_add_u32_e32 v47, v46, v47
	v_cndmask_b32_e32 v2, v3, v2, vcc
	v_lshlrev_b32_e32 v2, 1, v2
	ds_write_b16 v2, v5
	v_sub_u32_e32 v2, v50, v30
	v_sub_u32_e32 v3, v1, v2
	v_add_u32_e32 v3, 23, v3
	v_cmp_eq_u32_e32 vcc, 1, v4
	v_and_b32_e32 v4, 1, v38
	v_mov_b32_e32 v31, 0
	v_cndmask_b32_e32 v2, v3, v2, vcc
	v_lshlrev_b32_e32 v2, 1, v2
	ds_write_b16_d16_hi v2, v5
	v_sub_u32_e32 v2, v71, v30
	v_sub_u32_e32 v3, v1, v2
	v_add_u32_e32 v3, 24, v3
	v_cmp_eq_u32_e32 vcc, 1, v4
	v_and_b32_e32 v4, 1, v23
	s_waitcnt vmcnt(0)
	v_lshl_add_u64 v[6:7], v[16:17], 0, v[30:31]
	v_cndmask_b32_e32 v2, v3, v2, vcc
	v_lshlrev_b32_e32 v2, 1, v2
	ds_write_b16 v2, v20
	v_sub_u32_e32 v2, v46, v30
	v_sub_u32_e32 v3, v1, v2
	v_add_u32_e32 v3, 25, v3
	v_cmp_eq_u32_e32 vcc, 1, v4
	v_and_b32_sdwa v4, v37, v38 dst_sel:DWORD dst_unused:UNUSED_PAD src0_sel:DWORD src1_sel:WORD_1
	v_mov_b32_e32 v23, v31
	v_cndmask_b32_e32 v2, v3, v2, vcc
	v_lshlrev_b32_e32 v2, 1, v2
	ds_write_b16_d16_hi v2, v20
	v_sub_u32_e32 v2, v47, v30
	v_sub_u32_e32 v3, v1, v2
	v_add_u32_e32 v3, 26, v3
	v_cmp_eq_u32_e32 vcc, 1, v4
	v_mov_b32_e32 v5, s31
	v_or_b32_e32 v69, 0x200, v0
	v_cndmask_b32_e32 v2, v3, v2, vcc
	v_lshlrev_b32_e32 v2, 1, v2
	ds_write_b16 v2, v21
	v_sub_u32_e32 v2, v39, v30
	v_add_u32_e32 v2, v47, v2
	v_sub_u32_e32 v1, v1, v2
	v_and_b32_e32 v3, 1, v15
	v_add_u32_e32 v1, 27, v1
	v_cmp_eq_u32_e32 vcc, 1, v3
	v_or_b32_e32 v67, 0x400, v0
	v_or_b32_e32 v65, 0x600, v0
	v_cndmask_b32_e32 v1, v1, v2, vcc
	v_lshlrev_b32_e32 v1, 1, v1
	ds_write_b16_d16_hi v1, v21
	s_waitcnt lgkmcnt(0)
	s_barrier
	ds_read_u16 v71, v14
	ds_read_u16 v70, v14 offset:1024
	ds_read_u16 v68, v14 offset:2048
	ds_read_u16 v66, v14 offset:3072
	ds_read_u16 v64, v14 offset:4096
	ds_read_u16 v62, v14 offset:5120
	ds_read_u16 v60, v14 offset:6144
	ds_read_u16 v58, v14 offset:7168
	ds_read_u16 v56, v14 offset:8192
	ds_read_u16 v54, v14 offset:9216
	ds_read_u16 v52, v14 offset:10240
	ds_read_u16 v50, v14 offset:11264
	ds_read_u16 v48, v14 offset:12288
	ds_read_u16 v46, v14 offset:13312
	ds_read_u16 v44, v14 offset:14336
	ds_read_u16 v42, v14 offset:15360
	ds_read_u16 v40, v14 offset:16384
	ds_read_u16 v38, v14 offset:17408
	ds_read_u16 v36, v14 offset:18432
	ds_read_u16 v34, v14 offset:19456
	ds_read_u16 v32, v14 offset:20480
	ds_read_u16 v28, v14 offset:21504
	ds_read_u16 v26, v14 offset:22528
	ds_read_u16 v24, v14 offset:23552
	ds_read_u16 v20, v14 offset:24576
	ds_read_u16 v12, v14 offset:25600
	ds_read_u16 v9, v14 offset:26624
	ds_read_u16 v1, v14 offset:27648
	v_lshl_add_u64 v[2:3], v[6:7], 0, v[22:23]
	v_sub_co_u32_e32 v4, vcc, s30, v2
	v_lshlrev_b64 v[6:7], 1, v[6:7]
	s_nop 0
	v_subb_co_u32_e32 v5, vcc, v5, v3, vcc
	v_lshlrev_b64 v[4:5], 1, v[4:5]
	v_lshl_add_u64 v[4:5], s[26:27], 0, v[4:5]
	v_or_b32_e32 v63, 0x800, v0
	v_or_b32_e32 v61, 0xa00, v0
	;; [unrolled: 1-line block ×24, first 2 shown]
	v_lshl_add_u64 v[4:5], v[4:5], 0, v[18:19]
	s_andn2_b64 vcc, exec, s[28:29]
	v_lshl_add_u64 v[6:7], s[24:25], 0, v[6:7]
	s_cbranch_vccnz .LBB458_167
; %bb.166:
	v_cmp_lt_u32_e32 vcc, v0, v22
	v_mov_b32_e32 v15, v31
	v_lshlrev_b32_e32 v30, 1, v63
	v_cndmask_b32_e32 v17, v5, v7, vcc
	v_cndmask_b32_e32 v16, v4, v6, vcc
	v_lshl_add_u64 v[16:17], v[16:17], 0, v[14:15]
	v_cmp_lt_u32_e32 vcc, v69, v22
	s_waitcnt lgkmcnt(14)
	global_store_short v[16:17], v71, off
	v_cndmask_b32_e32 v17, v5, v7, vcc
	v_cndmask_b32_e32 v16, v4, v6, vcc
	v_lshl_add_u64 v[16:17], v[16:17], 0, v[14:15]
	v_cmp_lt_u32_e32 vcc, v67, v22
	global_store_short v[16:17], v70, off offset:1024
	s_mov_b64 s[0:1], -1
	v_cndmask_b32_e32 v17, v5, v7, vcc
	v_cndmask_b32_e32 v16, v4, v6, vcc
	v_lshl_add_u64 v[16:17], v[16:17], 0, v[14:15]
	v_cmp_lt_u32_e32 vcc, v65, v22
	global_store_short v[16:17], v68, off offset:2048
	s_nop 0
	v_cndmask_b32_e32 v17, v5, v7, vcc
	v_cndmask_b32_e32 v16, v4, v6, vcc
	v_lshl_add_u64 v[16:17], v[16:17], 0, v[14:15]
	v_cmp_lt_u32_e32 vcc, v63, v22
	global_store_short v[16:17], v66, off offset:3072
	s_nop 0
	v_cndmask_b32_e32 v17, v5, v7, vcc
	v_cndmask_b32_e32 v16, v4, v6, vcc
	v_lshl_add_u64 v[16:17], v[16:17], 0, v[30:31]
	v_cmp_lt_u32_e32 vcc, v61, v22
	global_store_short v[16:17], v64, off
	v_lshlrev_b32_e32 v30, 1, v61
	v_cndmask_b32_e32 v17, v5, v7, vcc
	v_cndmask_b32_e32 v16, v4, v6, vcc
	v_lshl_add_u64 v[16:17], v[16:17], 0, v[30:31]
	v_cmp_lt_u32_e32 vcc, v59, v22
	global_store_short v[16:17], v62, off
	v_lshlrev_b32_e32 v30, 1, v59
	;; [unrolled: 6-line block ×10, first 2 shown]
	v_cndmask_b32_e32 v17, v5, v7, vcc
	v_cndmask_b32_e32 v16, v4, v6, vcc
	v_lshl_add_u64 v[16:17], v[16:17], 0, v[30:31]
	v_cmp_lt_u32_e32 vcc, v41, v22
	s_waitcnt lgkmcnt(13)
	global_store_short v[16:17], v44, off
	v_lshlrev_b32_e32 v30, 1, v41
	v_cndmask_b32_e32 v17, v5, v7, vcc
	v_cndmask_b32_e32 v16, v4, v6, vcc
	v_lshl_add_u64 v[16:17], v[16:17], 0, v[30:31]
	v_cmp_lt_u32_e32 vcc, v39, v22
	s_waitcnt lgkmcnt(12)
	global_store_short v[16:17], v42, off
	v_lshlrev_b32_e32 v30, 1, v39
	;; [unrolled: 7-line block ×12, first 2 shown]
	v_cndmask_b32_e32 v17, v5, v7, vcc
	v_cndmask_b32_e32 v16, v4, v6, vcc
	v_lshl_add_u64 v[16:17], v[16:17], 0, v[30:31]
	s_waitcnt lgkmcnt(1)
	global_store_short v[16:17], v9, off
	s_cbranch_execz .LBB458_168
	s_branch .LBB458_197
.LBB458_167:
	s_mov_b64 s[0:1], 0
.LBB458_168:
	v_cmp_gt_u32_e32 vcc, s33, v0
	s_and_saveexec_b64 s[0:1], vcc
	s_cbranch_execnz .LBB458_202
; %bb.169:
	s_or_b64 exec, exec, s[0:1]
	v_cmp_gt_u32_e32 vcc, s33, v69
	s_and_saveexec_b64 s[0:1], vcc
	s_cbranch_execnz .LBB458_203
.LBB458_170:
	s_or_b64 exec, exec, s[0:1]
	v_cmp_gt_u32_e32 vcc, s33, v67
	s_and_saveexec_b64 s[0:1], vcc
	s_cbranch_execnz .LBB458_204
.LBB458_171:
	s_or_b64 exec, exec, s[0:1]
	v_cmp_gt_u32_e32 vcc, s33, v65
	s_and_saveexec_b64 s[0:1], vcc
	s_cbranch_execnz .LBB458_205
.LBB458_172:
	s_or_b64 exec, exec, s[0:1]
	v_cmp_gt_u32_e32 vcc, s33, v63
	s_and_saveexec_b64 s[0:1], vcc
	s_cbranch_execnz .LBB458_206
.LBB458_173:
	s_or_b64 exec, exec, s[0:1]
	v_cmp_gt_u32_e32 vcc, s33, v61
	s_and_saveexec_b64 s[0:1], vcc
	s_cbranch_execnz .LBB458_207
.LBB458_174:
	s_or_b64 exec, exec, s[0:1]
	v_cmp_gt_u32_e32 vcc, s33, v59
	s_and_saveexec_b64 s[0:1], vcc
	s_cbranch_execnz .LBB458_208
.LBB458_175:
	s_or_b64 exec, exec, s[0:1]
	v_cmp_gt_u32_e32 vcc, s33, v57
	s_and_saveexec_b64 s[0:1], vcc
	s_cbranch_execnz .LBB458_209
.LBB458_176:
	s_or_b64 exec, exec, s[0:1]
	v_cmp_gt_u32_e32 vcc, s33, v55
	s_and_saveexec_b64 s[0:1], vcc
	s_cbranch_execnz .LBB458_210
.LBB458_177:
	s_or_b64 exec, exec, s[0:1]
	v_cmp_gt_u32_e32 vcc, s33, v53
	s_and_saveexec_b64 s[0:1], vcc
	s_cbranch_execnz .LBB458_211
.LBB458_178:
	s_or_b64 exec, exec, s[0:1]
	v_cmp_gt_u32_e32 vcc, s33, v51
	s_and_saveexec_b64 s[0:1], vcc
	s_cbranch_execnz .LBB458_212
.LBB458_179:
	s_or_b64 exec, exec, s[0:1]
	v_cmp_gt_u32_e32 vcc, s33, v49
	s_and_saveexec_b64 s[0:1], vcc
	s_cbranch_execnz .LBB458_213
.LBB458_180:
	s_or_b64 exec, exec, s[0:1]
	v_cmp_gt_u32_e32 vcc, s33, v47
	s_and_saveexec_b64 s[0:1], vcc
	s_cbranch_execnz .LBB458_214
.LBB458_181:
	s_or_b64 exec, exec, s[0:1]
	v_cmp_gt_u32_e32 vcc, s33, v45
	s_and_saveexec_b64 s[0:1], vcc
	s_cbranch_execnz .LBB458_215
.LBB458_182:
	s_or_b64 exec, exec, s[0:1]
	v_cmp_gt_u32_e32 vcc, s33, v43
	s_and_saveexec_b64 s[0:1], vcc
	s_cbranch_execnz .LBB458_216
.LBB458_183:
	s_or_b64 exec, exec, s[0:1]
	v_cmp_gt_u32_e32 vcc, s33, v41
	s_and_saveexec_b64 s[0:1], vcc
	s_cbranch_execnz .LBB458_217
.LBB458_184:
	s_or_b64 exec, exec, s[0:1]
	v_cmp_gt_u32_e32 vcc, s33, v39
	s_and_saveexec_b64 s[0:1], vcc
	s_cbranch_execnz .LBB458_218
.LBB458_185:
	s_or_b64 exec, exec, s[0:1]
	v_cmp_gt_u32_e32 vcc, s33, v37
	s_and_saveexec_b64 s[0:1], vcc
	s_cbranch_execnz .LBB458_219
.LBB458_186:
	s_or_b64 exec, exec, s[0:1]
	v_cmp_gt_u32_e32 vcc, s33, v35
	s_and_saveexec_b64 s[0:1], vcc
	s_cbranch_execnz .LBB458_220
.LBB458_187:
	s_or_b64 exec, exec, s[0:1]
	v_cmp_gt_u32_e32 vcc, s33, v33
	s_and_saveexec_b64 s[0:1], vcc
	s_cbranch_execnz .LBB458_221
.LBB458_188:
	s_or_b64 exec, exec, s[0:1]
	v_cmp_gt_u32_e32 vcc, s33, v29
	s_and_saveexec_b64 s[0:1], vcc
	s_cbranch_execnz .LBB458_222
.LBB458_189:
	s_or_b64 exec, exec, s[0:1]
	v_cmp_gt_u32_e32 vcc, s33, v27
	s_and_saveexec_b64 s[0:1], vcc
	s_cbranch_execnz .LBB458_223
.LBB458_190:
	s_or_b64 exec, exec, s[0:1]
	v_cmp_gt_u32_e32 vcc, s33, v25
	s_and_saveexec_b64 s[0:1], vcc
	s_cbranch_execnz .LBB458_224
.LBB458_191:
	s_or_b64 exec, exec, s[0:1]
	v_cmp_gt_u32_e32 vcc, s33, v21
	s_and_saveexec_b64 s[0:1], vcc
	s_cbranch_execnz .LBB458_225
.LBB458_192:
	s_or_b64 exec, exec, s[0:1]
	v_cmp_gt_u32_e32 vcc, s33, v13
	s_and_saveexec_b64 s[0:1], vcc
	s_cbranch_execnz .LBB458_226
.LBB458_193:
	s_or_b64 exec, exec, s[0:1]
	v_cmp_gt_u32_e32 vcc, s33, v11
	s_and_saveexec_b64 s[0:1], vcc
	s_cbranch_execnz .LBB458_227
.LBB458_194:
	s_or_b64 exec, exec, s[0:1]
	v_cmp_gt_u32_e32 vcc, s33, v10
	s_and_saveexec_b64 s[0:1], vcc
	s_cbranch_execz .LBB458_196
.LBB458_195:
	v_cmp_lt_u32_e32 vcc, v10, v22
	v_lshlrev_b32_e32 v10, 1, v10
	v_mov_b32_e32 v11, 0
	v_cndmask_b32_e32 v13, v5, v7, vcc
	s_waitcnt lgkmcnt(2)
	v_cndmask_b32_e32 v12, v4, v6, vcc
	v_lshl_add_u64 v[10:11], v[12:13], 0, v[10:11]
	s_waitcnt lgkmcnt(1)
	global_store_short v[10:11], v9, off
.LBB458_196:
	s_or_b64 exec, exec, s[0:1]
	v_cmp_gt_u32_e64 s[0:1], s33, v8
.LBB458_197:
	s_and_saveexec_b64 s[2:3], s[0:1]
	s_cbranch_execnz .LBB458_200
; %bb.198:
	s_or_b64 exec, exec, s[2:3]
	s_and_b64 s[0:1], s[18:19], s[22:23]
	s_and_saveexec_b64 s[2:3], s[0:1]
	s_cbranch_execnz .LBB458_201
.LBB458_199:
	s_endpgm
.LBB458_200:
	v_cmp_lt_u32_e32 vcc, v8, v22
	s_nop 1
	v_cndmask_b32_e32 v5, v5, v7, vcc
	v_cndmask_b32_e32 v4, v4, v6, vcc
	v_lshlrev_b32_e32 v6, 1, v8
	v_mov_b32_e32 v7, 0
	v_lshl_add_u64 v[4:5], v[4:5], 0, v[6:7]
	s_waitcnt lgkmcnt(0)
	global_store_short v[4:5], v1, off
	s_or_b64 exec, exec, s[2:3]
	s_and_b64 s[0:1], s[18:19], s[22:23]
	s_and_saveexec_b64 s[2:3], s[0:1]
	s_cbranch_execz .LBB458_199
.LBB458_201:
	v_mov_b32_e32 v0, 0
	global_store_dwordx2 v0, v[2:3], s[20:21]
	s_endpgm
.LBB458_202:
	v_cmp_lt_u32_e32 vcc, v0, v22
	v_mov_b32_e32 v15, 0
	s_nop 0
	v_cndmask_b32_e32 v17, v5, v7, vcc
	v_cndmask_b32_e32 v16, v4, v6, vcc
	v_lshl_add_u64 v[16:17], v[16:17], 0, v[14:15]
	s_waitcnt lgkmcnt(14)
	global_store_short v[16:17], v71, off
	s_or_b64 exec, exec, s[0:1]
	v_cmp_gt_u32_e32 vcc, s33, v69
	s_and_saveexec_b64 s[0:1], vcc
	s_cbranch_execz .LBB458_170
.LBB458_203:
	v_cmp_lt_u32_e32 vcc, v69, v22
	v_mov_b32_e32 v15, 0
	s_nop 0
	v_cndmask_b32_e32 v17, v5, v7, vcc
	v_cndmask_b32_e32 v16, v4, v6, vcc
	v_lshl_add_u64 v[16:17], v[16:17], 0, v[14:15]
	s_waitcnt lgkmcnt(14)
	global_store_short v[16:17], v70, off offset:1024
	s_or_b64 exec, exec, s[0:1]
	v_cmp_gt_u32_e32 vcc, s33, v67
	s_and_saveexec_b64 s[0:1], vcc
	s_cbranch_execz .LBB458_171
.LBB458_204:
	v_cmp_lt_u32_e32 vcc, v67, v22
	v_mov_b32_e32 v15, 0
	s_nop 0
	v_cndmask_b32_e32 v17, v5, v7, vcc
	v_cndmask_b32_e32 v16, v4, v6, vcc
	v_lshl_add_u64 v[16:17], v[16:17], 0, v[14:15]
	s_waitcnt lgkmcnt(14)
	global_store_short v[16:17], v68, off offset:2048
	s_or_b64 exec, exec, s[0:1]
	v_cmp_gt_u32_e32 vcc, s33, v65
	s_and_saveexec_b64 s[0:1], vcc
	s_cbranch_execz .LBB458_172
.LBB458_205:
	v_cmp_lt_u32_e32 vcc, v65, v22
	v_mov_b32_e32 v15, 0
	s_nop 0
	v_cndmask_b32_e32 v17, v5, v7, vcc
	v_cndmask_b32_e32 v16, v4, v6, vcc
	v_lshl_add_u64 v[14:15], v[16:17], 0, v[14:15]
	s_waitcnt lgkmcnt(14)
	global_store_short v[14:15], v66, off offset:3072
	s_or_b64 exec, exec, s[0:1]
	v_cmp_gt_u32_e32 vcc, s33, v63
	s_and_saveexec_b64 s[0:1], vcc
	s_cbranch_execz .LBB458_173
.LBB458_206:
	v_cmp_lt_u32_e32 vcc, v63, v22
	v_lshlrev_b32_e32 v16, 1, v63
	v_mov_b32_e32 v17, 0
	v_cndmask_b32_e32 v15, v5, v7, vcc
	v_cndmask_b32_e32 v14, v4, v6, vcc
	v_lshl_add_u64 v[14:15], v[14:15], 0, v[16:17]
	s_waitcnt lgkmcnt(14)
	global_store_short v[14:15], v64, off
	s_or_b64 exec, exec, s[0:1]
	v_cmp_gt_u32_e32 vcc, s33, v61
	s_and_saveexec_b64 s[0:1], vcc
	s_cbranch_execz .LBB458_174
.LBB458_207:
	v_cmp_lt_u32_e32 vcc, v61, v22
	v_lshlrev_b32_e32 v16, 1, v61
	v_mov_b32_e32 v17, 0
	v_cndmask_b32_e32 v15, v5, v7, vcc
	v_cndmask_b32_e32 v14, v4, v6, vcc
	v_lshl_add_u64 v[14:15], v[14:15], 0, v[16:17]
	s_waitcnt lgkmcnt(14)
	global_store_short v[14:15], v62, off
	s_or_b64 exec, exec, s[0:1]
	v_cmp_gt_u32_e32 vcc, s33, v59
	s_and_saveexec_b64 s[0:1], vcc
	s_cbranch_execz .LBB458_175
.LBB458_208:
	v_cmp_lt_u32_e32 vcc, v59, v22
	v_lshlrev_b32_e32 v16, 1, v59
	v_mov_b32_e32 v17, 0
	v_cndmask_b32_e32 v15, v5, v7, vcc
	v_cndmask_b32_e32 v14, v4, v6, vcc
	v_lshl_add_u64 v[14:15], v[14:15], 0, v[16:17]
	s_waitcnt lgkmcnt(14)
	global_store_short v[14:15], v60, off
	s_or_b64 exec, exec, s[0:1]
	v_cmp_gt_u32_e32 vcc, s33, v57
	s_and_saveexec_b64 s[0:1], vcc
	s_cbranch_execz .LBB458_176
.LBB458_209:
	v_cmp_lt_u32_e32 vcc, v57, v22
	v_lshlrev_b32_e32 v16, 1, v57
	v_mov_b32_e32 v17, 0
	v_cndmask_b32_e32 v15, v5, v7, vcc
	v_cndmask_b32_e32 v14, v4, v6, vcc
	v_lshl_add_u64 v[14:15], v[14:15], 0, v[16:17]
	s_waitcnt lgkmcnt(14)
	global_store_short v[14:15], v58, off
	s_or_b64 exec, exec, s[0:1]
	v_cmp_gt_u32_e32 vcc, s33, v55
	s_and_saveexec_b64 s[0:1], vcc
	s_cbranch_execz .LBB458_177
.LBB458_210:
	v_cmp_lt_u32_e32 vcc, v55, v22
	v_lshlrev_b32_e32 v16, 1, v55
	v_mov_b32_e32 v17, 0
	v_cndmask_b32_e32 v15, v5, v7, vcc
	v_cndmask_b32_e32 v14, v4, v6, vcc
	v_lshl_add_u64 v[14:15], v[14:15], 0, v[16:17]
	s_waitcnt lgkmcnt(14)
	global_store_short v[14:15], v56, off
	s_or_b64 exec, exec, s[0:1]
	v_cmp_gt_u32_e32 vcc, s33, v53
	s_and_saveexec_b64 s[0:1], vcc
	s_cbranch_execz .LBB458_178
.LBB458_211:
	v_cmp_lt_u32_e32 vcc, v53, v22
	v_lshlrev_b32_e32 v16, 1, v53
	v_mov_b32_e32 v17, 0
	v_cndmask_b32_e32 v15, v5, v7, vcc
	v_cndmask_b32_e32 v14, v4, v6, vcc
	v_lshl_add_u64 v[14:15], v[14:15], 0, v[16:17]
	s_waitcnt lgkmcnt(14)
	global_store_short v[14:15], v54, off
	s_or_b64 exec, exec, s[0:1]
	v_cmp_gt_u32_e32 vcc, s33, v51
	s_and_saveexec_b64 s[0:1], vcc
	s_cbranch_execz .LBB458_179
.LBB458_212:
	v_cmp_lt_u32_e32 vcc, v51, v22
	v_lshlrev_b32_e32 v16, 1, v51
	v_mov_b32_e32 v17, 0
	v_cndmask_b32_e32 v15, v5, v7, vcc
	v_cndmask_b32_e32 v14, v4, v6, vcc
	v_lshl_add_u64 v[14:15], v[14:15], 0, v[16:17]
	s_waitcnt lgkmcnt(14)
	global_store_short v[14:15], v52, off
	s_or_b64 exec, exec, s[0:1]
	v_cmp_gt_u32_e32 vcc, s33, v49
	s_and_saveexec_b64 s[0:1], vcc
	s_cbranch_execz .LBB458_180
.LBB458_213:
	v_cmp_lt_u32_e32 vcc, v49, v22
	v_lshlrev_b32_e32 v16, 1, v49
	v_mov_b32_e32 v17, 0
	v_cndmask_b32_e32 v15, v5, v7, vcc
	v_cndmask_b32_e32 v14, v4, v6, vcc
	v_lshl_add_u64 v[14:15], v[14:15], 0, v[16:17]
	s_waitcnt lgkmcnt(14)
	global_store_short v[14:15], v50, off
	s_or_b64 exec, exec, s[0:1]
	v_cmp_gt_u32_e32 vcc, s33, v47
	s_and_saveexec_b64 s[0:1], vcc
	s_cbranch_execz .LBB458_181
.LBB458_214:
	v_cmp_lt_u32_e32 vcc, v47, v22
	v_lshlrev_b32_e32 v16, 1, v47
	v_mov_b32_e32 v17, 0
	v_cndmask_b32_e32 v15, v5, v7, vcc
	v_cndmask_b32_e32 v14, v4, v6, vcc
	v_lshl_add_u64 v[14:15], v[14:15], 0, v[16:17]
	s_waitcnt lgkmcnt(14)
	global_store_short v[14:15], v48, off
	s_or_b64 exec, exec, s[0:1]
	v_cmp_gt_u32_e32 vcc, s33, v45
	s_and_saveexec_b64 s[0:1], vcc
	s_cbranch_execz .LBB458_182
.LBB458_215:
	v_cmp_lt_u32_e32 vcc, v45, v22
	v_lshlrev_b32_e32 v16, 1, v45
	v_mov_b32_e32 v17, 0
	v_cndmask_b32_e32 v15, v5, v7, vcc
	v_cndmask_b32_e32 v14, v4, v6, vcc
	v_lshl_add_u64 v[14:15], v[14:15], 0, v[16:17]
	s_waitcnt lgkmcnt(14)
	global_store_short v[14:15], v46, off
	s_or_b64 exec, exec, s[0:1]
	v_cmp_gt_u32_e32 vcc, s33, v43
	s_and_saveexec_b64 s[0:1], vcc
	s_cbranch_execz .LBB458_183
.LBB458_216:
	v_cmp_lt_u32_e32 vcc, v43, v22
	v_lshlrev_b32_e32 v16, 1, v43
	v_mov_b32_e32 v17, 0
	v_cndmask_b32_e32 v15, v5, v7, vcc
	v_cndmask_b32_e32 v14, v4, v6, vcc
	v_lshl_add_u64 v[14:15], v[14:15], 0, v[16:17]
	s_waitcnt lgkmcnt(13)
	global_store_short v[14:15], v44, off
	s_or_b64 exec, exec, s[0:1]
	v_cmp_gt_u32_e32 vcc, s33, v41
	s_and_saveexec_b64 s[0:1], vcc
	s_cbranch_execz .LBB458_184
.LBB458_217:
	v_cmp_lt_u32_e32 vcc, v41, v22
	v_lshlrev_b32_e32 v16, 1, v41
	v_mov_b32_e32 v17, 0
	v_cndmask_b32_e32 v15, v5, v7, vcc
	v_cndmask_b32_e32 v14, v4, v6, vcc
	v_lshl_add_u64 v[14:15], v[14:15], 0, v[16:17]
	s_waitcnt lgkmcnt(12)
	global_store_short v[14:15], v42, off
	s_or_b64 exec, exec, s[0:1]
	v_cmp_gt_u32_e32 vcc, s33, v39
	s_and_saveexec_b64 s[0:1], vcc
	s_cbranch_execz .LBB458_185
.LBB458_218:
	v_cmp_lt_u32_e32 vcc, v39, v22
	v_lshlrev_b32_e32 v16, 1, v39
	v_mov_b32_e32 v17, 0
	v_cndmask_b32_e32 v15, v5, v7, vcc
	v_cndmask_b32_e32 v14, v4, v6, vcc
	v_lshl_add_u64 v[14:15], v[14:15], 0, v[16:17]
	s_waitcnt lgkmcnt(11)
	global_store_short v[14:15], v40, off
	s_or_b64 exec, exec, s[0:1]
	v_cmp_gt_u32_e32 vcc, s33, v37
	s_and_saveexec_b64 s[0:1], vcc
	s_cbranch_execz .LBB458_186
.LBB458_219:
	v_cmp_lt_u32_e32 vcc, v37, v22
	v_lshlrev_b32_e32 v16, 1, v37
	v_mov_b32_e32 v17, 0
	v_cndmask_b32_e32 v15, v5, v7, vcc
	v_cndmask_b32_e32 v14, v4, v6, vcc
	v_lshl_add_u64 v[14:15], v[14:15], 0, v[16:17]
	s_waitcnt lgkmcnt(10)
	global_store_short v[14:15], v38, off
	s_or_b64 exec, exec, s[0:1]
	v_cmp_gt_u32_e32 vcc, s33, v35
	s_and_saveexec_b64 s[0:1], vcc
	s_cbranch_execz .LBB458_187
.LBB458_220:
	v_cmp_lt_u32_e32 vcc, v35, v22
	v_lshlrev_b32_e32 v16, 1, v35
	v_mov_b32_e32 v17, 0
	v_cndmask_b32_e32 v15, v5, v7, vcc
	v_cndmask_b32_e32 v14, v4, v6, vcc
	v_lshl_add_u64 v[14:15], v[14:15], 0, v[16:17]
	s_waitcnt lgkmcnt(9)
	global_store_short v[14:15], v36, off
	s_or_b64 exec, exec, s[0:1]
	v_cmp_gt_u32_e32 vcc, s33, v33
	s_and_saveexec_b64 s[0:1], vcc
	s_cbranch_execz .LBB458_188
.LBB458_221:
	v_cmp_lt_u32_e32 vcc, v33, v22
	v_lshlrev_b32_e32 v16, 1, v33
	v_mov_b32_e32 v17, 0
	v_cndmask_b32_e32 v15, v5, v7, vcc
	v_cndmask_b32_e32 v14, v4, v6, vcc
	v_lshl_add_u64 v[14:15], v[14:15], 0, v[16:17]
	s_waitcnt lgkmcnt(8)
	global_store_short v[14:15], v34, off
	s_or_b64 exec, exec, s[0:1]
	v_cmp_gt_u32_e32 vcc, s33, v29
	s_and_saveexec_b64 s[0:1], vcc
	s_cbranch_execz .LBB458_189
.LBB458_222:
	v_cmp_lt_u32_e32 vcc, v29, v22
	v_lshlrev_b32_e32 v16, 1, v29
	v_mov_b32_e32 v17, 0
	v_cndmask_b32_e32 v15, v5, v7, vcc
	v_cndmask_b32_e32 v14, v4, v6, vcc
	v_lshl_add_u64 v[14:15], v[14:15], 0, v[16:17]
	s_waitcnt lgkmcnt(7)
	global_store_short v[14:15], v32, off
	s_or_b64 exec, exec, s[0:1]
	v_cmp_gt_u32_e32 vcc, s33, v27
	s_and_saveexec_b64 s[0:1], vcc
	s_cbranch_execz .LBB458_190
.LBB458_223:
	v_cmp_lt_u32_e32 vcc, v27, v22
	v_lshlrev_b32_e32 v16, 1, v27
	v_mov_b32_e32 v17, 0
	v_cndmask_b32_e32 v15, v5, v7, vcc
	v_cndmask_b32_e32 v14, v4, v6, vcc
	v_lshl_add_u64 v[14:15], v[14:15], 0, v[16:17]
	s_waitcnt lgkmcnt(6)
	global_store_short v[14:15], v28, off
	s_or_b64 exec, exec, s[0:1]
	v_cmp_gt_u32_e32 vcc, s33, v25
	s_and_saveexec_b64 s[0:1], vcc
	s_cbranch_execz .LBB458_191
.LBB458_224:
	v_cmp_lt_u32_e32 vcc, v25, v22
	v_lshlrev_b32_e32 v16, 1, v25
	v_mov_b32_e32 v17, 0
	v_cndmask_b32_e32 v15, v5, v7, vcc
	v_cndmask_b32_e32 v14, v4, v6, vcc
	v_lshl_add_u64 v[14:15], v[14:15], 0, v[16:17]
	s_waitcnt lgkmcnt(5)
	global_store_short v[14:15], v26, off
	s_or_b64 exec, exec, s[0:1]
	v_cmp_gt_u32_e32 vcc, s33, v21
	s_and_saveexec_b64 s[0:1], vcc
	s_cbranch_execz .LBB458_192
.LBB458_225:
	v_cmp_lt_u32_e32 vcc, v21, v22
	v_lshlrev_b32_e32 v16, 1, v21
	v_mov_b32_e32 v17, 0
	v_cndmask_b32_e32 v15, v5, v7, vcc
	v_cndmask_b32_e32 v14, v4, v6, vcc
	v_lshl_add_u64 v[14:15], v[14:15], 0, v[16:17]
	s_waitcnt lgkmcnt(4)
	global_store_short v[14:15], v24, off
	s_or_b64 exec, exec, s[0:1]
	v_cmp_gt_u32_e32 vcc, s33, v13
	s_and_saveexec_b64 s[0:1], vcc
	s_cbranch_execz .LBB458_193
.LBB458_226:
	v_cmp_lt_u32_e32 vcc, v13, v22
	v_lshlrev_b32_e32 v16, 1, v13
	v_mov_b32_e32 v17, 0
	v_cndmask_b32_e32 v15, v5, v7, vcc
	v_cndmask_b32_e32 v14, v4, v6, vcc
	v_lshl_add_u64 v[14:15], v[14:15], 0, v[16:17]
	s_waitcnt lgkmcnt(3)
	global_store_short v[14:15], v20, off
	s_or_b64 exec, exec, s[0:1]
	v_cmp_gt_u32_e32 vcc, s33, v11
	s_and_saveexec_b64 s[0:1], vcc
	s_cbranch_execz .LBB458_194
.LBB458_227:
	v_cmp_lt_u32_e32 vcc, v11, v22
	v_lshlrev_b32_e32 v16, 1, v11
	v_mov_b32_e32 v17, 0
	v_cndmask_b32_e32 v15, v5, v7, vcc
	v_cndmask_b32_e32 v14, v4, v6, vcc
	v_lshl_add_u64 v[14:15], v[14:15], 0, v[16:17]
	s_waitcnt lgkmcnt(2)
	global_store_short v[14:15], v12, off
	s_or_b64 exec, exec, s[0:1]
	v_cmp_gt_u32_e32 vcc, s33, v10
	s_and_saveexec_b64 s[0:1], vcc
	s_cbranch_execnz .LBB458_195
	s_branch .LBB458_196
	.section	.rodata,"a",@progbits
	.p2align	6, 0x0
	.amdhsa_kernel _ZN7rocprim17ROCPRIM_400000_NS6detail17trampoline_kernelINS0_14default_configENS1_25partition_config_selectorILNS1_17partition_subalgoE1EsNS0_10empty_typeEbEEZZNS1_14partition_implILS5_1ELb0ES3_jN6thrust23THRUST_200600_302600_NS6detail15normal_iteratorINSA_10device_ptrIsEEEEPS6_NSA_18transform_iteratorI7is_evenIsESF_NSA_11use_defaultESK_EENS0_5tupleIJSF_SF_EEENSM_IJSG_SG_EEES6_PlJS6_EEE10hipError_tPvRmT3_T4_T5_T6_T7_T9_mT8_P12ihipStream_tbDpT10_ENKUlT_T0_E_clISt17integral_constantIbLb1EES19_EEDaS14_S15_EUlS14_E_NS1_11comp_targetILNS1_3genE5ELNS1_11target_archE942ELNS1_3gpuE9ELNS1_3repE0EEENS1_30default_config_static_selectorELNS0_4arch9wavefront6targetE1EEEvT1_
		.amdhsa_group_segment_fixed_size 28680
		.amdhsa_private_segment_fixed_size 0
		.amdhsa_kernarg_size 144
		.amdhsa_user_sgpr_count 2
		.amdhsa_user_sgpr_dispatch_ptr 0
		.amdhsa_user_sgpr_queue_ptr 0
		.amdhsa_user_sgpr_kernarg_segment_ptr 1
		.amdhsa_user_sgpr_dispatch_id 0
		.amdhsa_user_sgpr_kernarg_preload_length 0
		.amdhsa_user_sgpr_kernarg_preload_offset 0
		.amdhsa_user_sgpr_private_segment_size 0
		.amdhsa_uses_dynamic_stack 0
		.amdhsa_enable_private_segment 0
		.amdhsa_system_sgpr_workgroup_id_x 1
		.amdhsa_system_sgpr_workgroup_id_y 0
		.amdhsa_system_sgpr_workgroup_id_z 0
		.amdhsa_system_sgpr_workgroup_info 0
		.amdhsa_system_vgpr_workitem_id 0
		.amdhsa_next_free_vgpr 83
		.amdhsa_next_free_sgpr 44
		.amdhsa_accum_offset 84
		.amdhsa_reserve_vcc 1
		.amdhsa_float_round_mode_32 0
		.amdhsa_float_round_mode_16_64 0
		.amdhsa_float_denorm_mode_32 3
		.amdhsa_float_denorm_mode_16_64 3
		.amdhsa_dx10_clamp 1
		.amdhsa_ieee_mode 1
		.amdhsa_fp16_overflow 0
		.amdhsa_tg_split 0
		.amdhsa_exception_fp_ieee_invalid_op 0
		.amdhsa_exception_fp_denorm_src 0
		.amdhsa_exception_fp_ieee_div_zero 0
		.amdhsa_exception_fp_ieee_overflow 0
		.amdhsa_exception_fp_ieee_underflow 0
		.amdhsa_exception_fp_ieee_inexact 0
		.amdhsa_exception_int_div_zero 0
	.end_amdhsa_kernel
	.section	.text._ZN7rocprim17ROCPRIM_400000_NS6detail17trampoline_kernelINS0_14default_configENS1_25partition_config_selectorILNS1_17partition_subalgoE1EsNS0_10empty_typeEbEEZZNS1_14partition_implILS5_1ELb0ES3_jN6thrust23THRUST_200600_302600_NS6detail15normal_iteratorINSA_10device_ptrIsEEEEPS6_NSA_18transform_iteratorI7is_evenIsESF_NSA_11use_defaultESK_EENS0_5tupleIJSF_SF_EEENSM_IJSG_SG_EEES6_PlJS6_EEE10hipError_tPvRmT3_T4_T5_T6_T7_T9_mT8_P12ihipStream_tbDpT10_ENKUlT_T0_E_clISt17integral_constantIbLb1EES19_EEDaS14_S15_EUlS14_E_NS1_11comp_targetILNS1_3genE5ELNS1_11target_archE942ELNS1_3gpuE9ELNS1_3repE0EEENS1_30default_config_static_selectorELNS0_4arch9wavefront6targetE1EEEvT1_,"axG",@progbits,_ZN7rocprim17ROCPRIM_400000_NS6detail17trampoline_kernelINS0_14default_configENS1_25partition_config_selectorILNS1_17partition_subalgoE1EsNS0_10empty_typeEbEEZZNS1_14partition_implILS5_1ELb0ES3_jN6thrust23THRUST_200600_302600_NS6detail15normal_iteratorINSA_10device_ptrIsEEEEPS6_NSA_18transform_iteratorI7is_evenIsESF_NSA_11use_defaultESK_EENS0_5tupleIJSF_SF_EEENSM_IJSG_SG_EEES6_PlJS6_EEE10hipError_tPvRmT3_T4_T5_T6_T7_T9_mT8_P12ihipStream_tbDpT10_ENKUlT_T0_E_clISt17integral_constantIbLb1EES19_EEDaS14_S15_EUlS14_E_NS1_11comp_targetILNS1_3genE5ELNS1_11target_archE942ELNS1_3gpuE9ELNS1_3repE0EEENS1_30default_config_static_selectorELNS0_4arch9wavefront6targetE1EEEvT1_,comdat
.Lfunc_end458:
	.size	_ZN7rocprim17ROCPRIM_400000_NS6detail17trampoline_kernelINS0_14default_configENS1_25partition_config_selectorILNS1_17partition_subalgoE1EsNS0_10empty_typeEbEEZZNS1_14partition_implILS5_1ELb0ES3_jN6thrust23THRUST_200600_302600_NS6detail15normal_iteratorINSA_10device_ptrIsEEEEPS6_NSA_18transform_iteratorI7is_evenIsESF_NSA_11use_defaultESK_EENS0_5tupleIJSF_SF_EEENSM_IJSG_SG_EEES6_PlJS6_EEE10hipError_tPvRmT3_T4_T5_T6_T7_T9_mT8_P12ihipStream_tbDpT10_ENKUlT_T0_E_clISt17integral_constantIbLb1EES19_EEDaS14_S15_EUlS14_E_NS1_11comp_targetILNS1_3genE5ELNS1_11target_archE942ELNS1_3gpuE9ELNS1_3repE0EEENS1_30default_config_static_selectorELNS0_4arch9wavefront6targetE1EEEvT1_, .Lfunc_end458-_ZN7rocprim17ROCPRIM_400000_NS6detail17trampoline_kernelINS0_14default_configENS1_25partition_config_selectorILNS1_17partition_subalgoE1EsNS0_10empty_typeEbEEZZNS1_14partition_implILS5_1ELb0ES3_jN6thrust23THRUST_200600_302600_NS6detail15normal_iteratorINSA_10device_ptrIsEEEEPS6_NSA_18transform_iteratorI7is_evenIsESF_NSA_11use_defaultESK_EENS0_5tupleIJSF_SF_EEENSM_IJSG_SG_EEES6_PlJS6_EEE10hipError_tPvRmT3_T4_T5_T6_T7_T9_mT8_P12ihipStream_tbDpT10_ENKUlT_T0_E_clISt17integral_constantIbLb1EES19_EEDaS14_S15_EUlS14_E_NS1_11comp_targetILNS1_3genE5ELNS1_11target_archE942ELNS1_3gpuE9ELNS1_3repE0EEENS1_30default_config_static_selectorELNS0_4arch9wavefront6targetE1EEEvT1_
                                        ; -- End function
	.section	.AMDGPU.csdata,"",@progbits
; Kernel info:
; codeLenInByte = 12568
; NumSgprs: 50
; NumVgprs: 83
; NumAgprs: 0
; TotalNumVgprs: 83
; ScratchSize: 0
; MemoryBound: 0
; FloatMode: 240
; IeeeMode: 1
; LDSByteSize: 28680 bytes/workgroup (compile time only)
; SGPRBlocks: 6
; VGPRBlocks: 10
; NumSGPRsForWavesPerEU: 50
; NumVGPRsForWavesPerEU: 83
; AccumOffset: 84
; Occupancy: 4
; WaveLimiterHint : 1
; COMPUTE_PGM_RSRC2:SCRATCH_EN: 0
; COMPUTE_PGM_RSRC2:USER_SGPR: 2
; COMPUTE_PGM_RSRC2:TRAP_HANDLER: 0
; COMPUTE_PGM_RSRC2:TGID_X_EN: 1
; COMPUTE_PGM_RSRC2:TGID_Y_EN: 0
; COMPUTE_PGM_RSRC2:TGID_Z_EN: 0
; COMPUTE_PGM_RSRC2:TIDIG_COMP_CNT: 0
; COMPUTE_PGM_RSRC3_GFX90A:ACCUM_OFFSET: 20
; COMPUTE_PGM_RSRC3_GFX90A:TG_SPLIT: 0
	.section	.text._ZN7rocprim17ROCPRIM_400000_NS6detail17trampoline_kernelINS0_14default_configENS1_25partition_config_selectorILNS1_17partition_subalgoE1EsNS0_10empty_typeEbEEZZNS1_14partition_implILS5_1ELb0ES3_jN6thrust23THRUST_200600_302600_NS6detail15normal_iteratorINSA_10device_ptrIsEEEEPS6_NSA_18transform_iteratorI7is_evenIsESF_NSA_11use_defaultESK_EENS0_5tupleIJSF_SF_EEENSM_IJSG_SG_EEES6_PlJS6_EEE10hipError_tPvRmT3_T4_T5_T6_T7_T9_mT8_P12ihipStream_tbDpT10_ENKUlT_T0_E_clISt17integral_constantIbLb1EES19_EEDaS14_S15_EUlS14_E_NS1_11comp_targetILNS1_3genE4ELNS1_11target_archE910ELNS1_3gpuE8ELNS1_3repE0EEENS1_30default_config_static_selectorELNS0_4arch9wavefront6targetE1EEEvT1_,"axG",@progbits,_ZN7rocprim17ROCPRIM_400000_NS6detail17trampoline_kernelINS0_14default_configENS1_25partition_config_selectorILNS1_17partition_subalgoE1EsNS0_10empty_typeEbEEZZNS1_14partition_implILS5_1ELb0ES3_jN6thrust23THRUST_200600_302600_NS6detail15normal_iteratorINSA_10device_ptrIsEEEEPS6_NSA_18transform_iteratorI7is_evenIsESF_NSA_11use_defaultESK_EENS0_5tupleIJSF_SF_EEENSM_IJSG_SG_EEES6_PlJS6_EEE10hipError_tPvRmT3_T4_T5_T6_T7_T9_mT8_P12ihipStream_tbDpT10_ENKUlT_T0_E_clISt17integral_constantIbLb1EES19_EEDaS14_S15_EUlS14_E_NS1_11comp_targetILNS1_3genE4ELNS1_11target_archE910ELNS1_3gpuE8ELNS1_3repE0EEENS1_30default_config_static_selectorELNS0_4arch9wavefront6targetE1EEEvT1_,comdat
	.protected	_ZN7rocprim17ROCPRIM_400000_NS6detail17trampoline_kernelINS0_14default_configENS1_25partition_config_selectorILNS1_17partition_subalgoE1EsNS0_10empty_typeEbEEZZNS1_14partition_implILS5_1ELb0ES3_jN6thrust23THRUST_200600_302600_NS6detail15normal_iteratorINSA_10device_ptrIsEEEEPS6_NSA_18transform_iteratorI7is_evenIsESF_NSA_11use_defaultESK_EENS0_5tupleIJSF_SF_EEENSM_IJSG_SG_EEES6_PlJS6_EEE10hipError_tPvRmT3_T4_T5_T6_T7_T9_mT8_P12ihipStream_tbDpT10_ENKUlT_T0_E_clISt17integral_constantIbLb1EES19_EEDaS14_S15_EUlS14_E_NS1_11comp_targetILNS1_3genE4ELNS1_11target_archE910ELNS1_3gpuE8ELNS1_3repE0EEENS1_30default_config_static_selectorELNS0_4arch9wavefront6targetE1EEEvT1_ ; -- Begin function _ZN7rocprim17ROCPRIM_400000_NS6detail17trampoline_kernelINS0_14default_configENS1_25partition_config_selectorILNS1_17partition_subalgoE1EsNS0_10empty_typeEbEEZZNS1_14partition_implILS5_1ELb0ES3_jN6thrust23THRUST_200600_302600_NS6detail15normal_iteratorINSA_10device_ptrIsEEEEPS6_NSA_18transform_iteratorI7is_evenIsESF_NSA_11use_defaultESK_EENS0_5tupleIJSF_SF_EEENSM_IJSG_SG_EEES6_PlJS6_EEE10hipError_tPvRmT3_T4_T5_T6_T7_T9_mT8_P12ihipStream_tbDpT10_ENKUlT_T0_E_clISt17integral_constantIbLb1EES19_EEDaS14_S15_EUlS14_E_NS1_11comp_targetILNS1_3genE4ELNS1_11target_archE910ELNS1_3gpuE8ELNS1_3repE0EEENS1_30default_config_static_selectorELNS0_4arch9wavefront6targetE1EEEvT1_
	.globl	_ZN7rocprim17ROCPRIM_400000_NS6detail17trampoline_kernelINS0_14default_configENS1_25partition_config_selectorILNS1_17partition_subalgoE1EsNS0_10empty_typeEbEEZZNS1_14partition_implILS5_1ELb0ES3_jN6thrust23THRUST_200600_302600_NS6detail15normal_iteratorINSA_10device_ptrIsEEEEPS6_NSA_18transform_iteratorI7is_evenIsESF_NSA_11use_defaultESK_EENS0_5tupleIJSF_SF_EEENSM_IJSG_SG_EEES6_PlJS6_EEE10hipError_tPvRmT3_T4_T5_T6_T7_T9_mT8_P12ihipStream_tbDpT10_ENKUlT_T0_E_clISt17integral_constantIbLb1EES19_EEDaS14_S15_EUlS14_E_NS1_11comp_targetILNS1_3genE4ELNS1_11target_archE910ELNS1_3gpuE8ELNS1_3repE0EEENS1_30default_config_static_selectorELNS0_4arch9wavefront6targetE1EEEvT1_
	.p2align	8
	.type	_ZN7rocprim17ROCPRIM_400000_NS6detail17trampoline_kernelINS0_14default_configENS1_25partition_config_selectorILNS1_17partition_subalgoE1EsNS0_10empty_typeEbEEZZNS1_14partition_implILS5_1ELb0ES3_jN6thrust23THRUST_200600_302600_NS6detail15normal_iteratorINSA_10device_ptrIsEEEEPS6_NSA_18transform_iteratorI7is_evenIsESF_NSA_11use_defaultESK_EENS0_5tupleIJSF_SF_EEENSM_IJSG_SG_EEES6_PlJS6_EEE10hipError_tPvRmT3_T4_T5_T6_T7_T9_mT8_P12ihipStream_tbDpT10_ENKUlT_T0_E_clISt17integral_constantIbLb1EES19_EEDaS14_S15_EUlS14_E_NS1_11comp_targetILNS1_3genE4ELNS1_11target_archE910ELNS1_3gpuE8ELNS1_3repE0EEENS1_30default_config_static_selectorELNS0_4arch9wavefront6targetE1EEEvT1_,@function
_ZN7rocprim17ROCPRIM_400000_NS6detail17trampoline_kernelINS0_14default_configENS1_25partition_config_selectorILNS1_17partition_subalgoE1EsNS0_10empty_typeEbEEZZNS1_14partition_implILS5_1ELb0ES3_jN6thrust23THRUST_200600_302600_NS6detail15normal_iteratorINSA_10device_ptrIsEEEEPS6_NSA_18transform_iteratorI7is_evenIsESF_NSA_11use_defaultESK_EENS0_5tupleIJSF_SF_EEENSM_IJSG_SG_EEES6_PlJS6_EEE10hipError_tPvRmT3_T4_T5_T6_T7_T9_mT8_P12ihipStream_tbDpT10_ENKUlT_T0_E_clISt17integral_constantIbLb1EES19_EEDaS14_S15_EUlS14_E_NS1_11comp_targetILNS1_3genE4ELNS1_11target_archE910ELNS1_3gpuE8ELNS1_3repE0EEENS1_30default_config_static_selectorELNS0_4arch9wavefront6targetE1EEEvT1_: ; @_ZN7rocprim17ROCPRIM_400000_NS6detail17trampoline_kernelINS0_14default_configENS1_25partition_config_selectorILNS1_17partition_subalgoE1EsNS0_10empty_typeEbEEZZNS1_14partition_implILS5_1ELb0ES3_jN6thrust23THRUST_200600_302600_NS6detail15normal_iteratorINSA_10device_ptrIsEEEEPS6_NSA_18transform_iteratorI7is_evenIsESF_NSA_11use_defaultESK_EENS0_5tupleIJSF_SF_EEENSM_IJSG_SG_EEES6_PlJS6_EEE10hipError_tPvRmT3_T4_T5_T6_T7_T9_mT8_P12ihipStream_tbDpT10_ENKUlT_T0_E_clISt17integral_constantIbLb1EES19_EEDaS14_S15_EUlS14_E_NS1_11comp_targetILNS1_3genE4ELNS1_11target_archE910ELNS1_3gpuE8ELNS1_3repE0EEENS1_30default_config_static_selectorELNS0_4arch9wavefront6targetE1EEEvT1_
; %bb.0:
	.section	.rodata,"a",@progbits
	.p2align	6, 0x0
	.amdhsa_kernel _ZN7rocprim17ROCPRIM_400000_NS6detail17trampoline_kernelINS0_14default_configENS1_25partition_config_selectorILNS1_17partition_subalgoE1EsNS0_10empty_typeEbEEZZNS1_14partition_implILS5_1ELb0ES3_jN6thrust23THRUST_200600_302600_NS6detail15normal_iteratorINSA_10device_ptrIsEEEEPS6_NSA_18transform_iteratorI7is_evenIsESF_NSA_11use_defaultESK_EENS0_5tupleIJSF_SF_EEENSM_IJSG_SG_EEES6_PlJS6_EEE10hipError_tPvRmT3_T4_T5_T6_T7_T9_mT8_P12ihipStream_tbDpT10_ENKUlT_T0_E_clISt17integral_constantIbLb1EES19_EEDaS14_S15_EUlS14_E_NS1_11comp_targetILNS1_3genE4ELNS1_11target_archE910ELNS1_3gpuE8ELNS1_3repE0EEENS1_30default_config_static_selectorELNS0_4arch9wavefront6targetE1EEEvT1_
		.amdhsa_group_segment_fixed_size 0
		.amdhsa_private_segment_fixed_size 0
		.amdhsa_kernarg_size 144
		.amdhsa_user_sgpr_count 2
		.amdhsa_user_sgpr_dispatch_ptr 0
		.amdhsa_user_sgpr_queue_ptr 0
		.amdhsa_user_sgpr_kernarg_segment_ptr 1
		.amdhsa_user_sgpr_dispatch_id 0
		.amdhsa_user_sgpr_kernarg_preload_length 0
		.amdhsa_user_sgpr_kernarg_preload_offset 0
		.amdhsa_user_sgpr_private_segment_size 0
		.amdhsa_uses_dynamic_stack 0
		.amdhsa_enable_private_segment 0
		.amdhsa_system_sgpr_workgroup_id_x 1
		.amdhsa_system_sgpr_workgroup_id_y 0
		.amdhsa_system_sgpr_workgroup_id_z 0
		.amdhsa_system_sgpr_workgroup_info 0
		.amdhsa_system_vgpr_workitem_id 0
		.amdhsa_next_free_vgpr 1
		.amdhsa_next_free_sgpr 0
		.amdhsa_accum_offset 4
		.amdhsa_reserve_vcc 0
		.amdhsa_float_round_mode_32 0
		.amdhsa_float_round_mode_16_64 0
		.amdhsa_float_denorm_mode_32 3
		.amdhsa_float_denorm_mode_16_64 3
		.amdhsa_dx10_clamp 1
		.amdhsa_ieee_mode 1
		.amdhsa_fp16_overflow 0
		.amdhsa_tg_split 0
		.amdhsa_exception_fp_ieee_invalid_op 0
		.amdhsa_exception_fp_denorm_src 0
		.amdhsa_exception_fp_ieee_div_zero 0
		.amdhsa_exception_fp_ieee_overflow 0
		.amdhsa_exception_fp_ieee_underflow 0
		.amdhsa_exception_fp_ieee_inexact 0
		.amdhsa_exception_int_div_zero 0
	.end_amdhsa_kernel
	.section	.text._ZN7rocprim17ROCPRIM_400000_NS6detail17trampoline_kernelINS0_14default_configENS1_25partition_config_selectorILNS1_17partition_subalgoE1EsNS0_10empty_typeEbEEZZNS1_14partition_implILS5_1ELb0ES3_jN6thrust23THRUST_200600_302600_NS6detail15normal_iteratorINSA_10device_ptrIsEEEEPS6_NSA_18transform_iteratorI7is_evenIsESF_NSA_11use_defaultESK_EENS0_5tupleIJSF_SF_EEENSM_IJSG_SG_EEES6_PlJS6_EEE10hipError_tPvRmT3_T4_T5_T6_T7_T9_mT8_P12ihipStream_tbDpT10_ENKUlT_T0_E_clISt17integral_constantIbLb1EES19_EEDaS14_S15_EUlS14_E_NS1_11comp_targetILNS1_3genE4ELNS1_11target_archE910ELNS1_3gpuE8ELNS1_3repE0EEENS1_30default_config_static_selectorELNS0_4arch9wavefront6targetE1EEEvT1_,"axG",@progbits,_ZN7rocprim17ROCPRIM_400000_NS6detail17trampoline_kernelINS0_14default_configENS1_25partition_config_selectorILNS1_17partition_subalgoE1EsNS0_10empty_typeEbEEZZNS1_14partition_implILS5_1ELb0ES3_jN6thrust23THRUST_200600_302600_NS6detail15normal_iteratorINSA_10device_ptrIsEEEEPS6_NSA_18transform_iteratorI7is_evenIsESF_NSA_11use_defaultESK_EENS0_5tupleIJSF_SF_EEENSM_IJSG_SG_EEES6_PlJS6_EEE10hipError_tPvRmT3_T4_T5_T6_T7_T9_mT8_P12ihipStream_tbDpT10_ENKUlT_T0_E_clISt17integral_constantIbLb1EES19_EEDaS14_S15_EUlS14_E_NS1_11comp_targetILNS1_3genE4ELNS1_11target_archE910ELNS1_3gpuE8ELNS1_3repE0EEENS1_30default_config_static_selectorELNS0_4arch9wavefront6targetE1EEEvT1_,comdat
.Lfunc_end459:
	.size	_ZN7rocprim17ROCPRIM_400000_NS6detail17trampoline_kernelINS0_14default_configENS1_25partition_config_selectorILNS1_17partition_subalgoE1EsNS0_10empty_typeEbEEZZNS1_14partition_implILS5_1ELb0ES3_jN6thrust23THRUST_200600_302600_NS6detail15normal_iteratorINSA_10device_ptrIsEEEEPS6_NSA_18transform_iteratorI7is_evenIsESF_NSA_11use_defaultESK_EENS0_5tupleIJSF_SF_EEENSM_IJSG_SG_EEES6_PlJS6_EEE10hipError_tPvRmT3_T4_T5_T6_T7_T9_mT8_P12ihipStream_tbDpT10_ENKUlT_T0_E_clISt17integral_constantIbLb1EES19_EEDaS14_S15_EUlS14_E_NS1_11comp_targetILNS1_3genE4ELNS1_11target_archE910ELNS1_3gpuE8ELNS1_3repE0EEENS1_30default_config_static_selectorELNS0_4arch9wavefront6targetE1EEEvT1_, .Lfunc_end459-_ZN7rocprim17ROCPRIM_400000_NS6detail17trampoline_kernelINS0_14default_configENS1_25partition_config_selectorILNS1_17partition_subalgoE1EsNS0_10empty_typeEbEEZZNS1_14partition_implILS5_1ELb0ES3_jN6thrust23THRUST_200600_302600_NS6detail15normal_iteratorINSA_10device_ptrIsEEEEPS6_NSA_18transform_iteratorI7is_evenIsESF_NSA_11use_defaultESK_EENS0_5tupleIJSF_SF_EEENSM_IJSG_SG_EEES6_PlJS6_EEE10hipError_tPvRmT3_T4_T5_T6_T7_T9_mT8_P12ihipStream_tbDpT10_ENKUlT_T0_E_clISt17integral_constantIbLb1EES19_EEDaS14_S15_EUlS14_E_NS1_11comp_targetILNS1_3genE4ELNS1_11target_archE910ELNS1_3gpuE8ELNS1_3repE0EEENS1_30default_config_static_selectorELNS0_4arch9wavefront6targetE1EEEvT1_
                                        ; -- End function
	.section	.AMDGPU.csdata,"",@progbits
; Kernel info:
; codeLenInByte = 0
; NumSgprs: 6
; NumVgprs: 0
; NumAgprs: 0
; TotalNumVgprs: 0
; ScratchSize: 0
; MemoryBound: 0
; FloatMode: 240
; IeeeMode: 1
; LDSByteSize: 0 bytes/workgroup (compile time only)
; SGPRBlocks: 0
; VGPRBlocks: 0
; NumSGPRsForWavesPerEU: 6
; NumVGPRsForWavesPerEU: 1
; AccumOffset: 4
; Occupancy: 8
; WaveLimiterHint : 0
; COMPUTE_PGM_RSRC2:SCRATCH_EN: 0
; COMPUTE_PGM_RSRC2:USER_SGPR: 2
; COMPUTE_PGM_RSRC2:TRAP_HANDLER: 0
; COMPUTE_PGM_RSRC2:TGID_X_EN: 1
; COMPUTE_PGM_RSRC2:TGID_Y_EN: 0
; COMPUTE_PGM_RSRC2:TGID_Z_EN: 0
; COMPUTE_PGM_RSRC2:TIDIG_COMP_CNT: 0
; COMPUTE_PGM_RSRC3_GFX90A:ACCUM_OFFSET: 0
; COMPUTE_PGM_RSRC3_GFX90A:TG_SPLIT: 0
	.section	.text._ZN7rocprim17ROCPRIM_400000_NS6detail17trampoline_kernelINS0_14default_configENS1_25partition_config_selectorILNS1_17partition_subalgoE1EsNS0_10empty_typeEbEEZZNS1_14partition_implILS5_1ELb0ES3_jN6thrust23THRUST_200600_302600_NS6detail15normal_iteratorINSA_10device_ptrIsEEEEPS6_NSA_18transform_iteratorI7is_evenIsESF_NSA_11use_defaultESK_EENS0_5tupleIJSF_SF_EEENSM_IJSG_SG_EEES6_PlJS6_EEE10hipError_tPvRmT3_T4_T5_T6_T7_T9_mT8_P12ihipStream_tbDpT10_ENKUlT_T0_E_clISt17integral_constantIbLb1EES19_EEDaS14_S15_EUlS14_E_NS1_11comp_targetILNS1_3genE3ELNS1_11target_archE908ELNS1_3gpuE7ELNS1_3repE0EEENS1_30default_config_static_selectorELNS0_4arch9wavefront6targetE1EEEvT1_,"axG",@progbits,_ZN7rocprim17ROCPRIM_400000_NS6detail17trampoline_kernelINS0_14default_configENS1_25partition_config_selectorILNS1_17partition_subalgoE1EsNS0_10empty_typeEbEEZZNS1_14partition_implILS5_1ELb0ES3_jN6thrust23THRUST_200600_302600_NS6detail15normal_iteratorINSA_10device_ptrIsEEEEPS6_NSA_18transform_iteratorI7is_evenIsESF_NSA_11use_defaultESK_EENS0_5tupleIJSF_SF_EEENSM_IJSG_SG_EEES6_PlJS6_EEE10hipError_tPvRmT3_T4_T5_T6_T7_T9_mT8_P12ihipStream_tbDpT10_ENKUlT_T0_E_clISt17integral_constantIbLb1EES19_EEDaS14_S15_EUlS14_E_NS1_11comp_targetILNS1_3genE3ELNS1_11target_archE908ELNS1_3gpuE7ELNS1_3repE0EEENS1_30default_config_static_selectorELNS0_4arch9wavefront6targetE1EEEvT1_,comdat
	.protected	_ZN7rocprim17ROCPRIM_400000_NS6detail17trampoline_kernelINS0_14default_configENS1_25partition_config_selectorILNS1_17partition_subalgoE1EsNS0_10empty_typeEbEEZZNS1_14partition_implILS5_1ELb0ES3_jN6thrust23THRUST_200600_302600_NS6detail15normal_iteratorINSA_10device_ptrIsEEEEPS6_NSA_18transform_iteratorI7is_evenIsESF_NSA_11use_defaultESK_EENS0_5tupleIJSF_SF_EEENSM_IJSG_SG_EEES6_PlJS6_EEE10hipError_tPvRmT3_T4_T5_T6_T7_T9_mT8_P12ihipStream_tbDpT10_ENKUlT_T0_E_clISt17integral_constantIbLb1EES19_EEDaS14_S15_EUlS14_E_NS1_11comp_targetILNS1_3genE3ELNS1_11target_archE908ELNS1_3gpuE7ELNS1_3repE0EEENS1_30default_config_static_selectorELNS0_4arch9wavefront6targetE1EEEvT1_ ; -- Begin function _ZN7rocprim17ROCPRIM_400000_NS6detail17trampoline_kernelINS0_14default_configENS1_25partition_config_selectorILNS1_17partition_subalgoE1EsNS0_10empty_typeEbEEZZNS1_14partition_implILS5_1ELb0ES3_jN6thrust23THRUST_200600_302600_NS6detail15normal_iteratorINSA_10device_ptrIsEEEEPS6_NSA_18transform_iteratorI7is_evenIsESF_NSA_11use_defaultESK_EENS0_5tupleIJSF_SF_EEENSM_IJSG_SG_EEES6_PlJS6_EEE10hipError_tPvRmT3_T4_T5_T6_T7_T9_mT8_P12ihipStream_tbDpT10_ENKUlT_T0_E_clISt17integral_constantIbLb1EES19_EEDaS14_S15_EUlS14_E_NS1_11comp_targetILNS1_3genE3ELNS1_11target_archE908ELNS1_3gpuE7ELNS1_3repE0EEENS1_30default_config_static_selectorELNS0_4arch9wavefront6targetE1EEEvT1_
	.globl	_ZN7rocprim17ROCPRIM_400000_NS6detail17trampoline_kernelINS0_14default_configENS1_25partition_config_selectorILNS1_17partition_subalgoE1EsNS0_10empty_typeEbEEZZNS1_14partition_implILS5_1ELb0ES3_jN6thrust23THRUST_200600_302600_NS6detail15normal_iteratorINSA_10device_ptrIsEEEEPS6_NSA_18transform_iteratorI7is_evenIsESF_NSA_11use_defaultESK_EENS0_5tupleIJSF_SF_EEENSM_IJSG_SG_EEES6_PlJS6_EEE10hipError_tPvRmT3_T4_T5_T6_T7_T9_mT8_P12ihipStream_tbDpT10_ENKUlT_T0_E_clISt17integral_constantIbLb1EES19_EEDaS14_S15_EUlS14_E_NS1_11comp_targetILNS1_3genE3ELNS1_11target_archE908ELNS1_3gpuE7ELNS1_3repE0EEENS1_30default_config_static_selectorELNS0_4arch9wavefront6targetE1EEEvT1_
	.p2align	8
	.type	_ZN7rocprim17ROCPRIM_400000_NS6detail17trampoline_kernelINS0_14default_configENS1_25partition_config_selectorILNS1_17partition_subalgoE1EsNS0_10empty_typeEbEEZZNS1_14partition_implILS5_1ELb0ES3_jN6thrust23THRUST_200600_302600_NS6detail15normal_iteratorINSA_10device_ptrIsEEEEPS6_NSA_18transform_iteratorI7is_evenIsESF_NSA_11use_defaultESK_EENS0_5tupleIJSF_SF_EEENSM_IJSG_SG_EEES6_PlJS6_EEE10hipError_tPvRmT3_T4_T5_T6_T7_T9_mT8_P12ihipStream_tbDpT10_ENKUlT_T0_E_clISt17integral_constantIbLb1EES19_EEDaS14_S15_EUlS14_E_NS1_11comp_targetILNS1_3genE3ELNS1_11target_archE908ELNS1_3gpuE7ELNS1_3repE0EEENS1_30default_config_static_selectorELNS0_4arch9wavefront6targetE1EEEvT1_,@function
_ZN7rocprim17ROCPRIM_400000_NS6detail17trampoline_kernelINS0_14default_configENS1_25partition_config_selectorILNS1_17partition_subalgoE1EsNS0_10empty_typeEbEEZZNS1_14partition_implILS5_1ELb0ES3_jN6thrust23THRUST_200600_302600_NS6detail15normal_iteratorINSA_10device_ptrIsEEEEPS6_NSA_18transform_iteratorI7is_evenIsESF_NSA_11use_defaultESK_EENS0_5tupleIJSF_SF_EEENSM_IJSG_SG_EEES6_PlJS6_EEE10hipError_tPvRmT3_T4_T5_T6_T7_T9_mT8_P12ihipStream_tbDpT10_ENKUlT_T0_E_clISt17integral_constantIbLb1EES19_EEDaS14_S15_EUlS14_E_NS1_11comp_targetILNS1_3genE3ELNS1_11target_archE908ELNS1_3gpuE7ELNS1_3repE0EEENS1_30default_config_static_selectorELNS0_4arch9wavefront6targetE1EEEvT1_: ; @_ZN7rocprim17ROCPRIM_400000_NS6detail17trampoline_kernelINS0_14default_configENS1_25partition_config_selectorILNS1_17partition_subalgoE1EsNS0_10empty_typeEbEEZZNS1_14partition_implILS5_1ELb0ES3_jN6thrust23THRUST_200600_302600_NS6detail15normal_iteratorINSA_10device_ptrIsEEEEPS6_NSA_18transform_iteratorI7is_evenIsESF_NSA_11use_defaultESK_EENS0_5tupleIJSF_SF_EEENSM_IJSG_SG_EEES6_PlJS6_EEE10hipError_tPvRmT3_T4_T5_T6_T7_T9_mT8_P12ihipStream_tbDpT10_ENKUlT_T0_E_clISt17integral_constantIbLb1EES19_EEDaS14_S15_EUlS14_E_NS1_11comp_targetILNS1_3genE3ELNS1_11target_archE908ELNS1_3gpuE7ELNS1_3repE0EEENS1_30default_config_static_selectorELNS0_4arch9wavefront6targetE1EEEvT1_
; %bb.0:
	.section	.rodata,"a",@progbits
	.p2align	6, 0x0
	.amdhsa_kernel _ZN7rocprim17ROCPRIM_400000_NS6detail17trampoline_kernelINS0_14default_configENS1_25partition_config_selectorILNS1_17partition_subalgoE1EsNS0_10empty_typeEbEEZZNS1_14partition_implILS5_1ELb0ES3_jN6thrust23THRUST_200600_302600_NS6detail15normal_iteratorINSA_10device_ptrIsEEEEPS6_NSA_18transform_iteratorI7is_evenIsESF_NSA_11use_defaultESK_EENS0_5tupleIJSF_SF_EEENSM_IJSG_SG_EEES6_PlJS6_EEE10hipError_tPvRmT3_T4_T5_T6_T7_T9_mT8_P12ihipStream_tbDpT10_ENKUlT_T0_E_clISt17integral_constantIbLb1EES19_EEDaS14_S15_EUlS14_E_NS1_11comp_targetILNS1_3genE3ELNS1_11target_archE908ELNS1_3gpuE7ELNS1_3repE0EEENS1_30default_config_static_selectorELNS0_4arch9wavefront6targetE1EEEvT1_
		.amdhsa_group_segment_fixed_size 0
		.amdhsa_private_segment_fixed_size 0
		.amdhsa_kernarg_size 144
		.amdhsa_user_sgpr_count 2
		.amdhsa_user_sgpr_dispatch_ptr 0
		.amdhsa_user_sgpr_queue_ptr 0
		.amdhsa_user_sgpr_kernarg_segment_ptr 1
		.amdhsa_user_sgpr_dispatch_id 0
		.amdhsa_user_sgpr_kernarg_preload_length 0
		.amdhsa_user_sgpr_kernarg_preload_offset 0
		.amdhsa_user_sgpr_private_segment_size 0
		.amdhsa_uses_dynamic_stack 0
		.amdhsa_enable_private_segment 0
		.amdhsa_system_sgpr_workgroup_id_x 1
		.amdhsa_system_sgpr_workgroup_id_y 0
		.amdhsa_system_sgpr_workgroup_id_z 0
		.amdhsa_system_sgpr_workgroup_info 0
		.amdhsa_system_vgpr_workitem_id 0
		.amdhsa_next_free_vgpr 1
		.amdhsa_next_free_sgpr 0
		.amdhsa_accum_offset 4
		.amdhsa_reserve_vcc 0
		.amdhsa_float_round_mode_32 0
		.amdhsa_float_round_mode_16_64 0
		.amdhsa_float_denorm_mode_32 3
		.amdhsa_float_denorm_mode_16_64 3
		.amdhsa_dx10_clamp 1
		.amdhsa_ieee_mode 1
		.amdhsa_fp16_overflow 0
		.amdhsa_tg_split 0
		.amdhsa_exception_fp_ieee_invalid_op 0
		.amdhsa_exception_fp_denorm_src 0
		.amdhsa_exception_fp_ieee_div_zero 0
		.amdhsa_exception_fp_ieee_overflow 0
		.amdhsa_exception_fp_ieee_underflow 0
		.amdhsa_exception_fp_ieee_inexact 0
		.amdhsa_exception_int_div_zero 0
	.end_amdhsa_kernel
	.section	.text._ZN7rocprim17ROCPRIM_400000_NS6detail17trampoline_kernelINS0_14default_configENS1_25partition_config_selectorILNS1_17partition_subalgoE1EsNS0_10empty_typeEbEEZZNS1_14partition_implILS5_1ELb0ES3_jN6thrust23THRUST_200600_302600_NS6detail15normal_iteratorINSA_10device_ptrIsEEEEPS6_NSA_18transform_iteratorI7is_evenIsESF_NSA_11use_defaultESK_EENS0_5tupleIJSF_SF_EEENSM_IJSG_SG_EEES6_PlJS6_EEE10hipError_tPvRmT3_T4_T5_T6_T7_T9_mT8_P12ihipStream_tbDpT10_ENKUlT_T0_E_clISt17integral_constantIbLb1EES19_EEDaS14_S15_EUlS14_E_NS1_11comp_targetILNS1_3genE3ELNS1_11target_archE908ELNS1_3gpuE7ELNS1_3repE0EEENS1_30default_config_static_selectorELNS0_4arch9wavefront6targetE1EEEvT1_,"axG",@progbits,_ZN7rocprim17ROCPRIM_400000_NS6detail17trampoline_kernelINS0_14default_configENS1_25partition_config_selectorILNS1_17partition_subalgoE1EsNS0_10empty_typeEbEEZZNS1_14partition_implILS5_1ELb0ES3_jN6thrust23THRUST_200600_302600_NS6detail15normal_iteratorINSA_10device_ptrIsEEEEPS6_NSA_18transform_iteratorI7is_evenIsESF_NSA_11use_defaultESK_EENS0_5tupleIJSF_SF_EEENSM_IJSG_SG_EEES6_PlJS6_EEE10hipError_tPvRmT3_T4_T5_T6_T7_T9_mT8_P12ihipStream_tbDpT10_ENKUlT_T0_E_clISt17integral_constantIbLb1EES19_EEDaS14_S15_EUlS14_E_NS1_11comp_targetILNS1_3genE3ELNS1_11target_archE908ELNS1_3gpuE7ELNS1_3repE0EEENS1_30default_config_static_selectorELNS0_4arch9wavefront6targetE1EEEvT1_,comdat
.Lfunc_end460:
	.size	_ZN7rocprim17ROCPRIM_400000_NS6detail17trampoline_kernelINS0_14default_configENS1_25partition_config_selectorILNS1_17partition_subalgoE1EsNS0_10empty_typeEbEEZZNS1_14partition_implILS5_1ELb0ES3_jN6thrust23THRUST_200600_302600_NS6detail15normal_iteratorINSA_10device_ptrIsEEEEPS6_NSA_18transform_iteratorI7is_evenIsESF_NSA_11use_defaultESK_EENS0_5tupleIJSF_SF_EEENSM_IJSG_SG_EEES6_PlJS6_EEE10hipError_tPvRmT3_T4_T5_T6_T7_T9_mT8_P12ihipStream_tbDpT10_ENKUlT_T0_E_clISt17integral_constantIbLb1EES19_EEDaS14_S15_EUlS14_E_NS1_11comp_targetILNS1_3genE3ELNS1_11target_archE908ELNS1_3gpuE7ELNS1_3repE0EEENS1_30default_config_static_selectorELNS0_4arch9wavefront6targetE1EEEvT1_, .Lfunc_end460-_ZN7rocprim17ROCPRIM_400000_NS6detail17trampoline_kernelINS0_14default_configENS1_25partition_config_selectorILNS1_17partition_subalgoE1EsNS0_10empty_typeEbEEZZNS1_14partition_implILS5_1ELb0ES3_jN6thrust23THRUST_200600_302600_NS6detail15normal_iteratorINSA_10device_ptrIsEEEEPS6_NSA_18transform_iteratorI7is_evenIsESF_NSA_11use_defaultESK_EENS0_5tupleIJSF_SF_EEENSM_IJSG_SG_EEES6_PlJS6_EEE10hipError_tPvRmT3_T4_T5_T6_T7_T9_mT8_P12ihipStream_tbDpT10_ENKUlT_T0_E_clISt17integral_constantIbLb1EES19_EEDaS14_S15_EUlS14_E_NS1_11comp_targetILNS1_3genE3ELNS1_11target_archE908ELNS1_3gpuE7ELNS1_3repE0EEENS1_30default_config_static_selectorELNS0_4arch9wavefront6targetE1EEEvT1_
                                        ; -- End function
	.section	.AMDGPU.csdata,"",@progbits
; Kernel info:
; codeLenInByte = 0
; NumSgprs: 6
; NumVgprs: 0
; NumAgprs: 0
; TotalNumVgprs: 0
; ScratchSize: 0
; MemoryBound: 0
; FloatMode: 240
; IeeeMode: 1
; LDSByteSize: 0 bytes/workgroup (compile time only)
; SGPRBlocks: 0
; VGPRBlocks: 0
; NumSGPRsForWavesPerEU: 6
; NumVGPRsForWavesPerEU: 1
; AccumOffset: 4
; Occupancy: 8
; WaveLimiterHint : 0
; COMPUTE_PGM_RSRC2:SCRATCH_EN: 0
; COMPUTE_PGM_RSRC2:USER_SGPR: 2
; COMPUTE_PGM_RSRC2:TRAP_HANDLER: 0
; COMPUTE_PGM_RSRC2:TGID_X_EN: 1
; COMPUTE_PGM_RSRC2:TGID_Y_EN: 0
; COMPUTE_PGM_RSRC2:TGID_Z_EN: 0
; COMPUTE_PGM_RSRC2:TIDIG_COMP_CNT: 0
; COMPUTE_PGM_RSRC3_GFX90A:ACCUM_OFFSET: 0
; COMPUTE_PGM_RSRC3_GFX90A:TG_SPLIT: 0
	.section	.text._ZN7rocprim17ROCPRIM_400000_NS6detail17trampoline_kernelINS0_14default_configENS1_25partition_config_selectorILNS1_17partition_subalgoE1EsNS0_10empty_typeEbEEZZNS1_14partition_implILS5_1ELb0ES3_jN6thrust23THRUST_200600_302600_NS6detail15normal_iteratorINSA_10device_ptrIsEEEEPS6_NSA_18transform_iteratorI7is_evenIsESF_NSA_11use_defaultESK_EENS0_5tupleIJSF_SF_EEENSM_IJSG_SG_EEES6_PlJS6_EEE10hipError_tPvRmT3_T4_T5_T6_T7_T9_mT8_P12ihipStream_tbDpT10_ENKUlT_T0_E_clISt17integral_constantIbLb1EES19_EEDaS14_S15_EUlS14_E_NS1_11comp_targetILNS1_3genE2ELNS1_11target_archE906ELNS1_3gpuE6ELNS1_3repE0EEENS1_30default_config_static_selectorELNS0_4arch9wavefront6targetE1EEEvT1_,"axG",@progbits,_ZN7rocprim17ROCPRIM_400000_NS6detail17trampoline_kernelINS0_14default_configENS1_25partition_config_selectorILNS1_17partition_subalgoE1EsNS0_10empty_typeEbEEZZNS1_14partition_implILS5_1ELb0ES3_jN6thrust23THRUST_200600_302600_NS6detail15normal_iteratorINSA_10device_ptrIsEEEEPS6_NSA_18transform_iteratorI7is_evenIsESF_NSA_11use_defaultESK_EENS0_5tupleIJSF_SF_EEENSM_IJSG_SG_EEES6_PlJS6_EEE10hipError_tPvRmT3_T4_T5_T6_T7_T9_mT8_P12ihipStream_tbDpT10_ENKUlT_T0_E_clISt17integral_constantIbLb1EES19_EEDaS14_S15_EUlS14_E_NS1_11comp_targetILNS1_3genE2ELNS1_11target_archE906ELNS1_3gpuE6ELNS1_3repE0EEENS1_30default_config_static_selectorELNS0_4arch9wavefront6targetE1EEEvT1_,comdat
	.protected	_ZN7rocprim17ROCPRIM_400000_NS6detail17trampoline_kernelINS0_14default_configENS1_25partition_config_selectorILNS1_17partition_subalgoE1EsNS0_10empty_typeEbEEZZNS1_14partition_implILS5_1ELb0ES3_jN6thrust23THRUST_200600_302600_NS6detail15normal_iteratorINSA_10device_ptrIsEEEEPS6_NSA_18transform_iteratorI7is_evenIsESF_NSA_11use_defaultESK_EENS0_5tupleIJSF_SF_EEENSM_IJSG_SG_EEES6_PlJS6_EEE10hipError_tPvRmT3_T4_T5_T6_T7_T9_mT8_P12ihipStream_tbDpT10_ENKUlT_T0_E_clISt17integral_constantIbLb1EES19_EEDaS14_S15_EUlS14_E_NS1_11comp_targetILNS1_3genE2ELNS1_11target_archE906ELNS1_3gpuE6ELNS1_3repE0EEENS1_30default_config_static_selectorELNS0_4arch9wavefront6targetE1EEEvT1_ ; -- Begin function _ZN7rocprim17ROCPRIM_400000_NS6detail17trampoline_kernelINS0_14default_configENS1_25partition_config_selectorILNS1_17partition_subalgoE1EsNS0_10empty_typeEbEEZZNS1_14partition_implILS5_1ELb0ES3_jN6thrust23THRUST_200600_302600_NS6detail15normal_iteratorINSA_10device_ptrIsEEEEPS6_NSA_18transform_iteratorI7is_evenIsESF_NSA_11use_defaultESK_EENS0_5tupleIJSF_SF_EEENSM_IJSG_SG_EEES6_PlJS6_EEE10hipError_tPvRmT3_T4_T5_T6_T7_T9_mT8_P12ihipStream_tbDpT10_ENKUlT_T0_E_clISt17integral_constantIbLb1EES19_EEDaS14_S15_EUlS14_E_NS1_11comp_targetILNS1_3genE2ELNS1_11target_archE906ELNS1_3gpuE6ELNS1_3repE0EEENS1_30default_config_static_selectorELNS0_4arch9wavefront6targetE1EEEvT1_
	.globl	_ZN7rocprim17ROCPRIM_400000_NS6detail17trampoline_kernelINS0_14default_configENS1_25partition_config_selectorILNS1_17partition_subalgoE1EsNS0_10empty_typeEbEEZZNS1_14partition_implILS5_1ELb0ES3_jN6thrust23THRUST_200600_302600_NS6detail15normal_iteratorINSA_10device_ptrIsEEEEPS6_NSA_18transform_iteratorI7is_evenIsESF_NSA_11use_defaultESK_EENS0_5tupleIJSF_SF_EEENSM_IJSG_SG_EEES6_PlJS6_EEE10hipError_tPvRmT3_T4_T5_T6_T7_T9_mT8_P12ihipStream_tbDpT10_ENKUlT_T0_E_clISt17integral_constantIbLb1EES19_EEDaS14_S15_EUlS14_E_NS1_11comp_targetILNS1_3genE2ELNS1_11target_archE906ELNS1_3gpuE6ELNS1_3repE0EEENS1_30default_config_static_selectorELNS0_4arch9wavefront6targetE1EEEvT1_
	.p2align	8
	.type	_ZN7rocprim17ROCPRIM_400000_NS6detail17trampoline_kernelINS0_14default_configENS1_25partition_config_selectorILNS1_17partition_subalgoE1EsNS0_10empty_typeEbEEZZNS1_14partition_implILS5_1ELb0ES3_jN6thrust23THRUST_200600_302600_NS6detail15normal_iteratorINSA_10device_ptrIsEEEEPS6_NSA_18transform_iteratorI7is_evenIsESF_NSA_11use_defaultESK_EENS0_5tupleIJSF_SF_EEENSM_IJSG_SG_EEES6_PlJS6_EEE10hipError_tPvRmT3_T4_T5_T6_T7_T9_mT8_P12ihipStream_tbDpT10_ENKUlT_T0_E_clISt17integral_constantIbLb1EES19_EEDaS14_S15_EUlS14_E_NS1_11comp_targetILNS1_3genE2ELNS1_11target_archE906ELNS1_3gpuE6ELNS1_3repE0EEENS1_30default_config_static_selectorELNS0_4arch9wavefront6targetE1EEEvT1_,@function
_ZN7rocprim17ROCPRIM_400000_NS6detail17trampoline_kernelINS0_14default_configENS1_25partition_config_selectorILNS1_17partition_subalgoE1EsNS0_10empty_typeEbEEZZNS1_14partition_implILS5_1ELb0ES3_jN6thrust23THRUST_200600_302600_NS6detail15normal_iteratorINSA_10device_ptrIsEEEEPS6_NSA_18transform_iteratorI7is_evenIsESF_NSA_11use_defaultESK_EENS0_5tupleIJSF_SF_EEENSM_IJSG_SG_EEES6_PlJS6_EEE10hipError_tPvRmT3_T4_T5_T6_T7_T9_mT8_P12ihipStream_tbDpT10_ENKUlT_T0_E_clISt17integral_constantIbLb1EES19_EEDaS14_S15_EUlS14_E_NS1_11comp_targetILNS1_3genE2ELNS1_11target_archE906ELNS1_3gpuE6ELNS1_3repE0EEENS1_30default_config_static_selectorELNS0_4arch9wavefront6targetE1EEEvT1_: ; @_ZN7rocprim17ROCPRIM_400000_NS6detail17trampoline_kernelINS0_14default_configENS1_25partition_config_selectorILNS1_17partition_subalgoE1EsNS0_10empty_typeEbEEZZNS1_14partition_implILS5_1ELb0ES3_jN6thrust23THRUST_200600_302600_NS6detail15normal_iteratorINSA_10device_ptrIsEEEEPS6_NSA_18transform_iteratorI7is_evenIsESF_NSA_11use_defaultESK_EENS0_5tupleIJSF_SF_EEENSM_IJSG_SG_EEES6_PlJS6_EEE10hipError_tPvRmT3_T4_T5_T6_T7_T9_mT8_P12ihipStream_tbDpT10_ENKUlT_T0_E_clISt17integral_constantIbLb1EES19_EEDaS14_S15_EUlS14_E_NS1_11comp_targetILNS1_3genE2ELNS1_11target_archE906ELNS1_3gpuE6ELNS1_3repE0EEENS1_30default_config_static_selectorELNS0_4arch9wavefront6targetE1EEEvT1_
; %bb.0:
	.section	.rodata,"a",@progbits
	.p2align	6, 0x0
	.amdhsa_kernel _ZN7rocprim17ROCPRIM_400000_NS6detail17trampoline_kernelINS0_14default_configENS1_25partition_config_selectorILNS1_17partition_subalgoE1EsNS0_10empty_typeEbEEZZNS1_14partition_implILS5_1ELb0ES3_jN6thrust23THRUST_200600_302600_NS6detail15normal_iteratorINSA_10device_ptrIsEEEEPS6_NSA_18transform_iteratorI7is_evenIsESF_NSA_11use_defaultESK_EENS0_5tupleIJSF_SF_EEENSM_IJSG_SG_EEES6_PlJS6_EEE10hipError_tPvRmT3_T4_T5_T6_T7_T9_mT8_P12ihipStream_tbDpT10_ENKUlT_T0_E_clISt17integral_constantIbLb1EES19_EEDaS14_S15_EUlS14_E_NS1_11comp_targetILNS1_3genE2ELNS1_11target_archE906ELNS1_3gpuE6ELNS1_3repE0EEENS1_30default_config_static_selectorELNS0_4arch9wavefront6targetE1EEEvT1_
		.amdhsa_group_segment_fixed_size 0
		.amdhsa_private_segment_fixed_size 0
		.amdhsa_kernarg_size 144
		.amdhsa_user_sgpr_count 2
		.amdhsa_user_sgpr_dispatch_ptr 0
		.amdhsa_user_sgpr_queue_ptr 0
		.amdhsa_user_sgpr_kernarg_segment_ptr 1
		.amdhsa_user_sgpr_dispatch_id 0
		.amdhsa_user_sgpr_kernarg_preload_length 0
		.amdhsa_user_sgpr_kernarg_preload_offset 0
		.amdhsa_user_sgpr_private_segment_size 0
		.amdhsa_uses_dynamic_stack 0
		.amdhsa_enable_private_segment 0
		.amdhsa_system_sgpr_workgroup_id_x 1
		.amdhsa_system_sgpr_workgroup_id_y 0
		.amdhsa_system_sgpr_workgroup_id_z 0
		.amdhsa_system_sgpr_workgroup_info 0
		.amdhsa_system_vgpr_workitem_id 0
		.amdhsa_next_free_vgpr 1
		.amdhsa_next_free_sgpr 0
		.amdhsa_accum_offset 4
		.amdhsa_reserve_vcc 0
		.amdhsa_float_round_mode_32 0
		.amdhsa_float_round_mode_16_64 0
		.amdhsa_float_denorm_mode_32 3
		.amdhsa_float_denorm_mode_16_64 3
		.amdhsa_dx10_clamp 1
		.amdhsa_ieee_mode 1
		.amdhsa_fp16_overflow 0
		.amdhsa_tg_split 0
		.amdhsa_exception_fp_ieee_invalid_op 0
		.amdhsa_exception_fp_denorm_src 0
		.amdhsa_exception_fp_ieee_div_zero 0
		.amdhsa_exception_fp_ieee_overflow 0
		.amdhsa_exception_fp_ieee_underflow 0
		.amdhsa_exception_fp_ieee_inexact 0
		.amdhsa_exception_int_div_zero 0
	.end_amdhsa_kernel
	.section	.text._ZN7rocprim17ROCPRIM_400000_NS6detail17trampoline_kernelINS0_14default_configENS1_25partition_config_selectorILNS1_17partition_subalgoE1EsNS0_10empty_typeEbEEZZNS1_14partition_implILS5_1ELb0ES3_jN6thrust23THRUST_200600_302600_NS6detail15normal_iteratorINSA_10device_ptrIsEEEEPS6_NSA_18transform_iteratorI7is_evenIsESF_NSA_11use_defaultESK_EENS0_5tupleIJSF_SF_EEENSM_IJSG_SG_EEES6_PlJS6_EEE10hipError_tPvRmT3_T4_T5_T6_T7_T9_mT8_P12ihipStream_tbDpT10_ENKUlT_T0_E_clISt17integral_constantIbLb1EES19_EEDaS14_S15_EUlS14_E_NS1_11comp_targetILNS1_3genE2ELNS1_11target_archE906ELNS1_3gpuE6ELNS1_3repE0EEENS1_30default_config_static_selectorELNS0_4arch9wavefront6targetE1EEEvT1_,"axG",@progbits,_ZN7rocprim17ROCPRIM_400000_NS6detail17trampoline_kernelINS0_14default_configENS1_25partition_config_selectorILNS1_17partition_subalgoE1EsNS0_10empty_typeEbEEZZNS1_14partition_implILS5_1ELb0ES3_jN6thrust23THRUST_200600_302600_NS6detail15normal_iteratorINSA_10device_ptrIsEEEEPS6_NSA_18transform_iteratorI7is_evenIsESF_NSA_11use_defaultESK_EENS0_5tupleIJSF_SF_EEENSM_IJSG_SG_EEES6_PlJS6_EEE10hipError_tPvRmT3_T4_T5_T6_T7_T9_mT8_P12ihipStream_tbDpT10_ENKUlT_T0_E_clISt17integral_constantIbLb1EES19_EEDaS14_S15_EUlS14_E_NS1_11comp_targetILNS1_3genE2ELNS1_11target_archE906ELNS1_3gpuE6ELNS1_3repE0EEENS1_30default_config_static_selectorELNS0_4arch9wavefront6targetE1EEEvT1_,comdat
.Lfunc_end461:
	.size	_ZN7rocprim17ROCPRIM_400000_NS6detail17trampoline_kernelINS0_14default_configENS1_25partition_config_selectorILNS1_17partition_subalgoE1EsNS0_10empty_typeEbEEZZNS1_14partition_implILS5_1ELb0ES3_jN6thrust23THRUST_200600_302600_NS6detail15normal_iteratorINSA_10device_ptrIsEEEEPS6_NSA_18transform_iteratorI7is_evenIsESF_NSA_11use_defaultESK_EENS0_5tupleIJSF_SF_EEENSM_IJSG_SG_EEES6_PlJS6_EEE10hipError_tPvRmT3_T4_T5_T6_T7_T9_mT8_P12ihipStream_tbDpT10_ENKUlT_T0_E_clISt17integral_constantIbLb1EES19_EEDaS14_S15_EUlS14_E_NS1_11comp_targetILNS1_3genE2ELNS1_11target_archE906ELNS1_3gpuE6ELNS1_3repE0EEENS1_30default_config_static_selectorELNS0_4arch9wavefront6targetE1EEEvT1_, .Lfunc_end461-_ZN7rocprim17ROCPRIM_400000_NS6detail17trampoline_kernelINS0_14default_configENS1_25partition_config_selectorILNS1_17partition_subalgoE1EsNS0_10empty_typeEbEEZZNS1_14partition_implILS5_1ELb0ES3_jN6thrust23THRUST_200600_302600_NS6detail15normal_iteratorINSA_10device_ptrIsEEEEPS6_NSA_18transform_iteratorI7is_evenIsESF_NSA_11use_defaultESK_EENS0_5tupleIJSF_SF_EEENSM_IJSG_SG_EEES6_PlJS6_EEE10hipError_tPvRmT3_T4_T5_T6_T7_T9_mT8_P12ihipStream_tbDpT10_ENKUlT_T0_E_clISt17integral_constantIbLb1EES19_EEDaS14_S15_EUlS14_E_NS1_11comp_targetILNS1_3genE2ELNS1_11target_archE906ELNS1_3gpuE6ELNS1_3repE0EEENS1_30default_config_static_selectorELNS0_4arch9wavefront6targetE1EEEvT1_
                                        ; -- End function
	.section	.AMDGPU.csdata,"",@progbits
; Kernel info:
; codeLenInByte = 0
; NumSgprs: 6
; NumVgprs: 0
; NumAgprs: 0
; TotalNumVgprs: 0
; ScratchSize: 0
; MemoryBound: 0
; FloatMode: 240
; IeeeMode: 1
; LDSByteSize: 0 bytes/workgroup (compile time only)
; SGPRBlocks: 0
; VGPRBlocks: 0
; NumSGPRsForWavesPerEU: 6
; NumVGPRsForWavesPerEU: 1
; AccumOffset: 4
; Occupancy: 8
; WaveLimiterHint : 0
; COMPUTE_PGM_RSRC2:SCRATCH_EN: 0
; COMPUTE_PGM_RSRC2:USER_SGPR: 2
; COMPUTE_PGM_RSRC2:TRAP_HANDLER: 0
; COMPUTE_PGM_RSRC2:TGID_X_EN: 1
; COMPUTE_PGM_RSRC2:TGID_Y_EN: 0
; COMPUTE_PGM_RSRC2:TGID_Z_EN: 0
; COMPUTE_PGM_RSRC2:TIDIG_COMP_CNT: 0
; COMPUTE_PGM_RSRC3_GFX90A:ACCUM_OFFSET: 0
; COMPUTE_PGM_RSRC3_GFX90A:TG_SPLIT: 0
	.section	.text._ZN7rocprim17ROCPRIM_400000_NS6detail17trampoline_kernelINS0_14default_configENS1_25partition_config_selectorILNS1_17partition_subalgoE1EsNS0_10empty_typeEbEEZZNS1_14partition_implILS5_1ELb0ES3_jN6thrust23THRUST_200600_302600_NS6detail15normal_iteratorINSA_10device_ptrIsEEEEPS6_NSA_18transform_iteratorI7is_evenIsESF_NSA_11use_defaultESK_EENS0_5tupleIJSF_SF_EEENSM_IJSG_SG_EEES6_PlJS6_EEE10hipError_tPvRmT3_T4_T5_T6_T7_T9_mT8_P12ihipStream_tbDpT10_ENKUlT_T0_E_clISt17integral_constantIbLb1EES19_EEDaS14_S15_EUlS14_E_NS1_11comp_targetILNS1_3genE10ELNS1_11target_archE1200ELNS1_3gpuE4ELNS1_3repE0EEENS1_30default_config_static_selectorELNS0_4arch9wavefront6targetE1EEEvT1_,"axG",@progbits,_ZN7rocprim17ROCPRIM_400000_NS6detail17trampoline_kernelINS0_14default_configENS1_25partition_config_selectorILNS1_17partition_subalgoE1EsNS0_10empty_typeEbEEZZNS1_14partition_implILS5_1ELb0ES3_jN6thrust23THRUST_200600_302600_NS6detail15normal_iteratorINSA_10device_ptrIsEEEEPS6_NSA_18transform_iteratorI7is_evenIsESF_NSA_11use_defaultESK_EENS0_5tupleIJSF_SF_EEENSM_IJSG_SG_EEES6_PlJS6_EEE10hipError_tPvRmT3_T4_T5_T6_T7_T9_mT8_P12ihipStream_tbDpT10_ENKUlT_T0_E_clISt17integral_constantIbLb1EES19_EEDaS14_S15_EUlS14_E_NS1_11comp_targetILNS1_3genE10ELNS1_11target_archE1200ELNS1_3gpuE4ELNS1_3repE0EEENS1_30default_config_static_selectorELNS0_4arch9wavefront6targetE1EEEvT1_,comdat
	.protected	_ZN7rocprim17ROCPRIM_400000_NS6detail17trampoline_kernelINS0_14default_configENS1_25partition_config_selectorILNS1_17partition_subalgoE1EsNS0_10empty_typeEbEEZZNS1_14partition_implILS5_1ELb0ES3_jN6thrust23THRUST_200600_302600_NS6detail15normal_iteratorINSA_10device_ptrIsEEEEPS6_NSA_18transform_iteratorI7is_evenIsESF_NSA_11use_defaultESK_EENS0_5tupleIJSF_SF_EEENSM_IJSG_SG_EEES6_PlJS6_EEE10hipError_tPvRmT3_T4_T5_T6_T7_T9_mT8_P12ihipStream_tbDpT10_ENKUlT_T0_E_clISt17integral_constantIbLb1EES19_EEDaS14_S15_EUlS14_E_NS1_11comp_targetILNS1_3genE10ELNS1_11target_archE1200ELNS1_3gpuE4ELNS1_3repE0EEENS1_30default_config_static_selectorELNS0_4arch9wavefront6targetE1EEEvT1_ ; -- Begin function _ZN7rocprim17ROCPRIM_400000_NS6detail17trampoline_kernelINS0_14default_configENS1_25partition_config_selectorILNS1_17partition_subalgoE1EsNS0_10empty_typeEbEEZZNS1_14partition_implILS5_1ELb0ES3_jN6thrust23THRUST_200600_302600_NS6detail15normal_iteratorINSA_10device_ptrIsEEEEPS6_NSA_18transform_iteratorI7is_evenIsESF_NSA_11use_defaultESK_EENS0_5tupleIJSF_SF_EEENSM_IJSG_SG_EEES6_PlJS6_EEE10hipError_tPvRmT3_T4_T5_T6_T7_T9_mT8_P12ihipStream_tbDpT10_ENKUlT_T0_E_clISt17integral_constantIbLb1EES19_EEDaS14_S15_EUlS14_E_NS1_11comp_targetILNS1_3genE10ELNS1_11target_archE1200ELNS1_3gpuE4ELNS1_3repE0EEENS1_30default_config_static_selectorELNS0_4arch9wavefront6targetE1EEEvT1_
	.globl	_ZN7rocprim17ROCPRIM_400000_NS6detail17trampoline_kernelINS0_14default_configENS1_25partition_config_selectorILNS1_17partition_subalgoE1EsNS0_10empty_typeEbEEZZNS1_14partition_implILS5_1ELb0ES3_jN6thrust23THRUST_200600_302600_NS6detail15normal_iteratorINSA_10device_ptrIsEEEEPS6_NSA_18transform_iteratorI7is_evenIsESF_NSA_11use_defaultESK_EENS0_5tupleIJSF_SF_EEENSM_IJSG_SG_EEES6_PlJS6_EEE10hipError_tPvRmT3_T4_T5_T6_T7_T9_mT8_P12ihipStream_tbDpT10_ENKUlT_T0_E_clISt17integral_constantIbLb1EES19_EEDaS14_S15_EUlS14_E_NS1_11comp_targetILNS1_3genE10ELNS1_11target_archE1200ELNS1_3gpuE4ELNS1_3repE0EEENS1_30default_config_static_selectorELNS0_4arch9wavefront6targetE1EEEvT1_
	.p2align	8
	.type	_ZN7rocprim17ROCPRIM_400000_NS6detail17trampoline_kernelINS0_14default_configENS1_25partition_config_selectorILNS1_17partition_subalgoE1EsNS0_10empty_typeEbEEZZNS1_14partition_implILS5_1ELb0ES3_jN6thrust23THRUST_200600_302600_NS6detail15normal_iteratorINSA_10device_ptrIsEEEEPS6_NSA_18transform_iteratorI7is_evenIsESF_NSA_11use_defaultESK_EENS0_5tupleIJSF_SF_EEENSM_IJSG_SG_EEES6_PlJS6_EEE10hipError_tPvRmT3_T4_T5_T6_T7_T9_mT8_P12ihipStream_tbDpT10_ENKUlT_T0_E_clISt17integral_constantIbLb1EES19_EEDaS14_S15_EUlS14_E_NS1_11comp_targetILNS1_3genE10ELNS1_11target_archE1200ELNS1_3gpuE4ELNS1_3repE0EEENS1_30default_config_static_selectorELNS0_4arch9wavefront6targetE1EEEvT1_,@function
_ZN7rocprim17ROCPRIM_400000_NS6detail17trampoline_kernelINS0_14default_configENS1_25partition_config_selectorILNS1_17partition_subalgoE1EsNS0_10empty_typeEbEEZZNS1_14partition_implILS5_1ELb0ES3_jN6thrust23THRUST_200600_302600_NS6detail15normal_iteratorINSA_10device_ptrIsEEEEPS6_NSA_18transform_iteratorI7is_evenIsESF_NSA_11use_defaultESK_EENS0_5tupleIJSF_SF_EEENSM_IJSG_SG_EEES6_PlJS6_EEE10hipError_tPvRmT3_T4_T5_T6_T7_T9_mT8_P12ihipStream_tbDpT10_ENKUlT_T0_E_clISt17integral_constantIbLb1EES19_EEDaS14_S15_EUlS14_E_NS1_11comp_targetILNS1_3genE10ELNS1_11target_archE1200ELNS1_3gpuE4ELNS1_3repE0EEENS1_30default_config_static_selectorELNS0_4arch9wavefront6targetE1EEEvT1_: ; @_ZN7rocprim17ROCPRIM_400000_NS6detail17trampoline_kernelINS0_14default_configENS1_25partition_config_selectorILNS1_17partition_subalgoE1EsNS0_10empty_typeEbEEZZNS1_14partition_implILS5_1ELb0ES3_jN6thrust23THRUST_200600_302600_NS6detail15normal_iteratorINSA_10device_ptrIsEEEEPS6_NSA_18transform_iteratorI7is_evenIsESF_NSA_11use_defaultESK_EENS0_5tupleIJSF_SF_EEENSM_IJSG_SG_EEES6_PlJS6_EEE10hipError_tPvRmT3_T4_T5_T6_T7_T9_mT8_P12ihipStream_tbDpT10_ENKUlT_T0_E_clISt17integral_constantIbLb1EES19_EEDaS14_S15_EUlS14_E_NS1_11comp_targetILNS1_3genE10ELNS1_11target_archE1200ELNS1_3gpuE4ELNS1_3repE0EEENS1_30default_config_static_selectorELNS0_4arch9wavefront6targetE1EEEvT1_
; %bb.0:
	.section	.rodata,"a",@progbits
	.p2align	6, 0x0
	.amdhsa_kernel _ZN7rocprim17ROCPRIM_400000_NS6detail17trampoline_kernelINS0_14default_configENS1_25partition_config_selectorILNS1_17partition_subalgoE1EsNS0_10empty_typeEbEEZZNS1_14partition_implILS5_1ELb0ES3_jN6thrust23THRUST_200600_302600_NS6detail15normal_iteratorINSA_10device_ptrIsEEEEPS6_NSA_18transform_iteratorI7is_evenIsESF_NSA_11use_defaultESK_EENS0_5tupleIJSF_SF_EEENSM_IJSG_SG_EEES6_PlJS6_EEE10hipError_tPvRmT3_T4_T5_T6_T7_T9_mT8_P12ihipStream_tbDpT10_ENKUlT_T0_E_clISt17integral_constantIbLb1EES19_EEDaS14_S15_EUlS14_E_NS1_11comp_targetILNS1_3genE10ELNS1_11target_archE1200ELNS1_3gpuE4ELNS1_3repE0EEENS1_30default_config_static_selectorELNS0_4arch9wavefront6targetE1EEEvT1_
		.amdhsa_group_segment_fixed_size 0
		.amdhsa_private_segment_fixed_size 0
		.amdhsa_kernarg_size 144
		.amdhsa_user_sgpr_count 2
		.amdhsa_user_sgpr_dispatch_ptr 0
		.amdhsa_user_sgpr_queue_ptr 0
		.amdhsa_user_sgpr_kernarg_segment_ptr 1
		.amdhsa_user_sgpr_dispatch_id 0
		.amdhsa_user_sgpr_kernarg_preload_length 0
		.amdhsa_user_sgpr_kernarg_preload_offset 0
		.amdhsa_user_sgpr_private_segment_size 0
		.amdhsa_uses_dynamic_stack 0
		.amdhsa_enable_private_segment 0
		.amdhsa_system_sgpr_workgroup_id_x 1
		.amdhsa_system_sgpr_workgroup_id_y 0
		.amdhsa_system_sgpr_workgroup_id_z 0
		.amdhsa_system_sgpr_workgroup_info 0
		.amdhsa_system_vgpr_workitem_id 0
		.amdhsa_next_free_vgpr 1
		.amdhsa_next_free_sgpr 0
		.amdhsa_accum_offset 4
		.amdhsa_reserve_vcc 0
		.amdhsa_float_round_mode_32 0
		.amdhsa_float_round_mode_16_64 0
		.amdhsa_float_denorm_mode_32 3
		.amdhsa_float_denorm_mode_16_64 3
		.amdhsa_dx10_clamp 1
		.amdhsa_ieee_mode 1
		.amdhsa_fp16_overflow 0
		.amdhsa_tg_split 0
		.amdhsa_exception_fp_ieee_invalid_op 0
		.amdhsa_exception_fp_denorm_src 0
		.amdhsa_exception_fp_ieee_div_zero 0
		.amdhsa_exception_fp_ieee_overflow 0
		.amdhsa_exception_fp_ieee_underflow 0
		.amdhsa_exception_fp_ieee_inexact 0
		.amdhsa_exception_int_div_zero 0
	.end_amdhsa_kernel
	.section	.text._ZN7rocprim17ROCPRIM_400000_NS6detail17trampoline_kernelINS0_14default_configENS1_25partition_config_selectorILNS1_17partition_subalgoE1EsNS0_10empty_typeEbEEZZNS1_14partition_implILS5_1ELb0ES3_jN6thrust23THRUST_200600_302600_NS6detail15normal_iteratorINSA_10device_ptrIsEEEEPS6_NSA_18transform_iteratorI7is_evenIsESF_NSA_11use_defaultESK_EENS0_5tupleIJSF_SF_EEENSM_IJSG_SG_EEES6_PlJS6_EEE10hipError_tPvRmT3_T4_T5_T6_T7_T9_mT8_P12ihipStream_tbDpT10_ENKUlT_T0_E_clISt17integral_constantIbLb1EES19_EEDaS14_S15_EUlS14_E_NS1_11comp_targetILNS1_3genE10ELNS1_11target_archE1200ELNS1_3gpuE4ELNS1_3repE0EEENS1_30default_config_static_selectorELNS0_4arch9wavefront6targetE1EEEvT1_,"axG",@progbits,_ZN7rocprim17ROCPRIM_400000_NS6detail17trampoline_kernelINS0_14default_configENS1_25partition_config_selectorILNS1_17partition_subalgoE1EsNS0_10empty_typeEbEEZZNS1_14partition_implILS5_1ELb0ES3_jN6thrust23THRUST_200600_302600_NS6detail15normal_iteratorINSA_10device_ptrIsEEEEPS6_NSA_18transform_iteratorI7is_evenIsESF_NSA_11use_defaultESK_EENS0_5tupleIJSF_SF_EEENSM_IJSG_SG_EEES6_PlJS6_EEE10hipError_tPvRmT3_T4_T5_T6_T7_T9_mT8_P12ihipStream_tbDpT10_ENKUlT_T0_E_clISt17integral_constantIbLb1EES19_EEDaS14_S15_EUlS14_E_NS1_11comp_targetILNS1_3genE10ELNS1_11target_archE1200ELNS1_3gpuE4ELNS1_3repE0EEENS1_30default_config_static_selectorELNS0_4arch9wavefront6targetE1EEEvT1_,comdat
.Lfunc_end462:
	.size	_ZN7rocprim17ROCPRIM_400000_NS6detail17trampoline_kernelINS0_14default_configENS1_25partition_config_selectorILNS1_17partition_subalgoE1EsNS0_10empty_typeEbEEZZNS1_14partition_implILS5_1ELb0ES3_jN6thrust23THRUST_200600_302600_NS6detail15normal_iteratorINSA_10device_ptrIsEEEEPS6_NSA_18transform_iteratorI7is_evenIsESF_NSA_11use_defaultESK_EENS0_5tupleIJSF_SF_EEENSM_IJSG_SG_EEES6_PlJS6_EEE10hipError_tPvRmT3_T4_T5_T6_T7_T9_mT8_P12ihipStream_tbDpT10_ENKUlT_T0_E_clISt17integral_constantIbLb1EES19_EEDaS14_S15_EUlS14_E_NS1_11comp_targetILNS1_3genE10ELNS1_11target_archE1200ELNS1_3gpuE4ELNS1_3repE0EEENS1_30default_config_static_selectorELNS0_4arch9wavefront6targetE1EEEvT1_, .Lfunc_end462-_ZN7rocprim17ROCPRIM_400000_NS6detail17trampoline_kernelINS0_14default_configENS1_25partition_config_selectorILNS1_17partition_subalgoE1EsNS0_10empty_typeEbEEZZNS1_14partition_implILS5_1ELb0ES3_jN6thrust23THRUST_200600_302600_NS6detail15normal_iteratorINSA_10device_ptrIsEEEEPS6_NSA_18transform_iteratorI7is_evenIsESF_NSA_11use_defaultESK_EENS0_5tupleIJSF_SF_EEENSM_IJSG_SG_EEES6_PlJS6_EEE10hipError_tPvRmT3_T4_T5_T6_T7_T9_mT8_P12ihipStream_tbDpT10_ENKUlT_T0_E_clISt17integral_constantIbLb1EES19_EEDaS14_S15_EUlS14_E_NS1_11comp_targetILNS1_3genE10ELNS1_11target_archE1200ELNS1_3gpuE4ELNS1_3repE0EEENS1_30default_config_static_selectorELNS0_4arch9wavefront6targetE1EEEvT1_
                                        ; -- End function
	.section	.AMDGPU.csdata,"",@progbits
; Kernel info:
; codeLenInByte = 0
; NumSgprs: 6
; NumVgprs: 0
; NumAgprs: 0
; TotalNumVgprs: 0
; ScratchSize: 0
; MemoryBound: 0
; FloatMode: 240
; IeeeMode: 1
; LDSByteSize: 0 bytes/workgroup (compile time only)
; SGPRBlocks: 0
; VGPRBlocks: 0
; NumSGPRsForWavesPerEU: 6
; NumVGPRsForWavesPerEU: 1
; AccumOffset: 4
; Occupancy: 8
; WaveLimiterHint : 0
; COMPUTE_PGM_RSRC2:SCRATCH_EN: 0
; COMPUTE_PGM_RSRC2:USER_SGPR: 2
; COMPUTE_PGM_RSRC2:TRAP_HANDLER: 0
; COMPUTE_PGM_RSRC2:TGID_X_EN: 1
; COMPUTE_PGM_RSRC2:TGID_Y_EN: 0
; COMPUTE_PGM_RSRC2:TGID_Z_EN: 0
; COMPUTE_PGM_RSRC2:TIDIG_COMP_CNT: 0
; COMPUTE_PGM_RSRC3_GFX90A:ACCUM_OFFSET: 0
; COMPUTE_PGM_RSRC3_GFX90A:TG_SPLIT: 0
	.section	.text._ZN7rocprim17ROCPRIM_400000_NS6detail17trampoline_kernelINS0_14default_configENS1_25partition_config_selectorILNS1_17partition_subalgoE1EsNS0_10empty_typeEbEEZZNS1_14partition_implILS5_1ELb0ES3_jN6thrust23THRUST_200600_302600_NS6detail15normal_iteratorINSA_10device_ptrIsEEEEPS6_NSA_18transform_iteratorI7is_evenIsESF_NSA_11use_defaultESK_EENS0_5tupleIJSF_SF_EEENSM_IJSG_SG_EEES6_PlJS6_EEE10hipError_tPvRmT3_T4_T5_T6_T7_T9_mT8_P12ihipStream_tbDpT10_ENKUlT_T0_E_clISt17integral_constantIbLb1EES19_EEDaS14_S15_EUlS14_E_NS1_11comp_targetILNS1_3genE9ELNS1_11target_archE1100ELNS1_3gpuE3ELNS1_3repE0EEENS1_30default_config_static_selectorELNS0_4arch9wavefront6targetE1EEEvT1_,"axG",@progbits,_ZN7rocprim17ROCPRIM_400000_NS6detail17trampoline_kernelINS0_14default_configENS1_25partition_config_selectorILNS1_17partition_subalgoE1EsNS0_10empty_typeEbEEZZNS1_14partition_implILS5_1ELb0ES3_jN6thrust23THRUST_200600_302600_NS6detail15normal_iteratorINSA_10device_ptrIsEEEEPS6_NSA_18transform_iteratorI7is_evenIsESF_NSA_11use_defaultESK_EENS0_5tupleIJSF_SF_EEENSM_IJSG_SG_EEES6_PlJS6_EEE10hipError_tPvRmT3_T4_T5_T6_T7_T9_mT8_P12ihipStream_tbDpT10_ENKUlT_T0_E_clISt17integral_constantIbLb1EES19_EEDaS14_S15_EUlS14_E_NS1_11comp_targetILNS1_3genE9ELNS1_11target_archE1100ELNS1_3gpuE3ELNS1_3repE0EEENS1_30default_config_static_selectorELNS0_4arch9wavefront6targetE1EEEvT1_,comdat
	.protected	_ZN7rocprim17ROCPRIM_400000_NS6detail17trampoline_kernelINS0_14default_configENS1_25partition_config_selectorILNS1_17partition_subalgoE1EsNS0_10empty_typeEbEEZZNS1_14partition_implILS5_1ELb0ES3_jN6thrust23THRUST_200600_302600_NS6detail15normal_iteratorINSA_10device_ptrIsEEEEPS6_NSA_18transform_iteratorI7is_evenIsESF_NSA_11use_defaultESK_EENS0_5tupleIJSF_SF_EEENSM_IJSG_SG_EEES6_PlJS6_EEE10hipError_tPvRmT3_T4_T5_T6_T7_T9_mT8_P12ihipStream_tbDpT10_ENKUlT_T0_E_clISt17integral_constantIbLb1EES19_EEDaS14_S15_EUlS14_E_NS1_11comp_targetILNS1_3genE9ELNS1_11target_archE1100ELNS1_3gpuE3ELNS1_3repE0EEENS1_30default_config_static_selectorELNS0_4arch9wavefront6targetE1EEEvT1_ ; -- Begin function _ZN7rocprim17ROCPRIM_400000_NS6detail17trampoline_kernelINS0_14default_configENS1_25partition_config_selectorILNS1_17partition_subalgoE1EsNS0_10empty_typeEbEEZZNS1_14partition_implILS5_1ELb0ES3_jN6thrust23THRUST_200600_302600_NS6detail15normal_iteratorINSA_10device_ptrIsEEEEPS6_NSA_18transform_iteratorI7is_evenIsESF_NSA_11use_defaultESK_EENS0_5tupleIJSF_SF_EEENSM_IJSG_SG_EEES6_PlJS6_EEE10hipError_tPvRmT3_T4_T5_T6_T7_T9_mT8_P12ihipStream_tbDpT10_ENKUlT_T0_E_clISt17integral_constantIbLb1EES19_EEDaS14_S15_EUlS14_E_NS1_11comp_targetILNS1_3genE9ELNS1_11target_archE1100ELNS1_3gpuE3ELNS1_3repE0EEENS1_30default_config_static_selectorELNS0_4arch9wavefront6targetE1EEEvT1_
	.globl	_ZN7rocprim17ROCPRIM_400000_NS6detail17trampoline_kernelINS0_14default_configENS1_25partition_config_selectorILNS1_17partition_subalgoE1EsNS0_10empty_typeEbEEZZNS1_14partition_implILS5_1ELb0ES3_jN6thrust23THRUST_200600_302600_NS6detail15normal_iteratorINSA_10device_ptrIsEEEEPS6_NSA_18transform_iteratorI7is_evenIsESF_NSA_11use_defaultESK_EENS0_5tupleIJSF_SF_EEENSM_IJSG_SG_EEES6_PlJS6_EEE10hipError_tPvRmT3_T4_T5_T6_T7_T9_mT8_P12ihipStream_tbDpT10_ENKUlT_T0_E_clISt17integral_constantIbLb1EES19_EEDaS14_S15_EUlS14_E_NS1_11comp_targetILNS1_3genE9ELNS1_11target_archE1100ELNS1_3gpuE3ELNS1_3repE0EEENS1_30default_config_static_selectorELNS0_4arch9wavefront6targetE1EEEvT1_
	.p2align	8
	.type	_ZN7rocprim17ROCPRIM_400000_NS6detail17trampoline_kernelINS0_14default_configENS1_25partition_config_selectorILNS1_17partition_subalgoE1EsNS0_10empty_typeEbEEZZNS1_14partition_implILS5_1ELb0ES3_jN6thrust23THRUST_200600_302600_NS6detail15normal_iteratorINSA_10device_ptrIsEEEEPS6_NSA_18transform_iteratorI7is_evenIsESF_NSA_11use_defaultESK_EENS0_5tupleIJSF_SF_EEENSM_IJSG_SG_EEES6_PlJS6_EEE10hipError_tPvRmT3_T4_T5_T6_T7_T9_mT8_P12ihipStream_tbDpT10_ENKUlT_T0_E_clISt17integral_constantIbLb1EES19_EEDaS14_S15_EUlS14_E_NS1_11comp_targetILNS1_3genE9ELNS1_11target_archE1100ELNS1_3gpuE3ELNS1_3repE0EEENS1_30default_config_static_selectorELNS0_4arch9wavefront6targetE1EEEvT1_,@function
_ZN7rocprim17ROCPRIM_400000_NS6detail17trampoline_kernelINS0_14default_configENS1_25partition_config_selectorILNS1_17partition_subalgoE1EsNS0_10empty_typeEbEEZZNS1_14partition_implILS5_1ELb0ES3_jN6thrust23THRUST_200600_302600_NS6detail15normal_iteratorINSA_10device_ptrIsEEEEPS6_NSA_18transform_iteratorI7is_evenIsESF_NSA_11use_defaultESK_EENS0_5tupleIJSF_SF_EEENSM_IJSG_SG_EEES6_PlJS6_EEE10hipError_tPvRmT3_T4_T5_T6_T7_T9_mT8_P12ihipStream_tbDpT10_ENKUlT_T0_E_clISt17integral_constantIbLb1EES19_EEDaS14_S15_EUlS14_E_NS1_11comp_targetILNS1_3genE9ELNS1_11target_archE1100ELNS1_3gpuE3ELNS1_3repE0EEENS1_30default_config_static_selectorELNS0_4arch9wavefront6targetE1EEEvT1_: ; @_ZN7rocprim17ROCPRIM_400000_NS6detail17trampoline_kernelINS0_14default_configENS1_25partition_config_selectorILNS1_17partition_subalgoE1EsNS0_10empty_typeEbEEZZNS1_14partition_implILS5_1ELb0ES3_jN6thrust23THRUST_200600_302600_NS6detail15normal_iteratorINSA_10device_ptrIsEEEEPS6_NSA_18transform_iteratorI7is_evenIsESF_NSA_11use_defaultESK_EENS0_5tupleIJSF_SF_EEENSM_IJSG_SG_EEES6_PlJS6_EEE10hipError_tPvRmT3_T4_T5_T6_T7_T9_mT8_P12ihipStream_tbDpT10_ENKUlT_T0_E_clISt17integral_constantIbLb1EES19_EEDaS14_S15_EUlS14_E_NS1_11comp_targetILNS1_3genE9ELNS1_11target_archE1100ELNS1_3gpuE3ELNS1_3repE0EEENS1_30default_config_static_selectorELNS0_4arch9wavefront6targetE1EEEvT1_
; %bb.0:
	.section	.rodata,"a",@progbits
	.p2align	6, 0x0
	.amdhsa_kernel _ZN7rocprim17ROCPRIM_400000_NS6detail17trampoline_kernelINS0_14default_configENS1_25partition_config_selectorILNS1_17partition_subalgoE1EsNS0_10empty_typeEbEEZZNS1_14partition_implILS5_1ELb0ES3_jN6thrust23THRUST_200600_302600_NS6detail15normal_iteratorINSA_10device_ptrIsEEEEPS6_NSA_18transform_iteratorI7is_evenIsESF_NSA_11use_defaultESK_EENS0_5tupleIJSF_SF_EEENSM_IJSG_SG_EEES6_PlJS6_EEE10hipError_tPvRmT3_T4_T5_T6_T7_T9_mT8_P12ihipStream_tbDpT10_ENKUlT_T0_E_clISt17integral_constantIbLb1EES19_EEDaS14_S15_EUlS14_E_NS1_11comp_targetILNS1_3genE9ELNS1_11target_archE1100ELNS1_3gpuE3ELNS1_3repE0EEENS1_30default_config_static_selectorELNS0_4arch9wavefront6targetE1EEEvT1_
		.amdhsa_group_segment_fixed_size 0
		.amdhsa_private_segment_fixed_size 0
		.amdhsa_kernarg_size 144
		.amdhsa_user_sgpr_count 2
		.amdhsa_user_sgpr_dispatch_ptr 0
		.amdhsa_user_sgpr_queue_ptr 0
		.amdhsa_user_sgpr_kernarg_segment_ptr 1
		.amdhsa_user_sgpr_dispatch_id 0
		.amdhsa_user_sgpr_kernarg_preload_length 0
		.amdhsa_user_sgpr_kernarg_preload_offset 0
		.amdhsa_user_sgpr_private_segment_size 0
		.amdhsa_uses_dynamic_stack 0
		.amdhsa_enable_private_segment 0
		.amdhsa_system_sgpr_workgroup_id_x 1
		.amdhsa_system_sgpr_workgroup_id_y 0
		.amdhsa_system_sgpr_workgroup_id_z 0
		.amdhsa_system_sgpr_workgroup_info 0
		.amdhsa_system_vgpr_workitem_id 0
		.amdhsa_next_free_vgpr 1
		.amdhsa_next_free_sgpr 0
		.amdhsa_accum_offset 4
		.amdhsa_reserve_vcc 0
		.amdhsa_float_round_mode_32 0
		.amdhsa_float_round_mode_16_64 0
		.amdhsa_float_denorm_mode_32 3
		.amdhsa_float_denorm_mode_16_64 3
		.amdhsa_dx10_clamp 1
		.amdhsa_ieee_mode 1
		.amdhsa_fp16_overflow 0
		.amdhsa_tg_split 0
		.amdhsa_exception_fp_ieee_invalid_op 0
		.amdhsa_exception_fp_denorm_src 0
		.amdhsa_exception_fp_ieee_div_zero 0
		.amdhsa_exception_fp_ieee_overflow 0
		.amdhsa_exception_fp_ieee_underflow 0
		.amdhsa_exception_fp_ieee_inexact 0
		.amdhsa_exception_int_div_zero 0
	.end_amdhsa_kernel
	.section	.text._ZN7rocprim17ROCPRIM_400000_NS6detail17trampoline_kernelINS0_14default_configENS1_25partition_config_selectorILNS1_17partition_subalgoE1EsNS0_10empty_typeEbEEZZNS1_14partition_implILS5_1ELb0ES3_jN6thrust23THRUST_200600_302600_NS6detail15normal_iteratorINSA_10device_ptrIsEEEEPS6_NSA_18transform_iteratorI7is_evenIsESF_NSA_11use_defaultESK_EENS0_5tupleIJSF_SF_EEENSM_IJSG_SG_EEES6_PlJS6_EEE10hipError_tPvRmT3_T4_T5_T6_T7_T9_mT8_P12ihipStream_tbDpT10_ENKUlT_T0_E_clISt17integral_constantIbLb1EES19_EEDaS14_S15_EUlS14_E_NS1_11comp_targetILNS1_3genE9ELNS1_11target_archE1100ELNS1_3gpuE3ELNS1_3repE0EEENS1_30default_config_static_selectorELNS0_4arch9wavefront6targetE1EEEvT1_,"axG",@progbits,_ZN7rocprim17ROCPRIM_400000_NS6detail17trampoline_kernelINS0_14default_configENS1_25partition_config_selectorILNS1_17partition_subalgoE1EsNS0_10empty_typeEbEEZZNS1_14partition_implILS5_1ELb0ES3_jN6thrust23THRUST_200600_302600_NS6detail15normal_iteratorINSA_10device_ptrIsEEEEPS6_NSA_18transform_iteratorI7is_evenIsESF_NSA_11use_defaultESK_EENS0_5tupleIJSF_SF_EEENSM_IJSG_SG_EEES6_PlJS6_EEE10hipError_tPvRmT3_T4_T5_T6_T7_T9_mT8_P12ihipStream_tbDpT10_ENKUlT_T0_E_clISt17integral_constantIbLb1EES19_EEDaS14_S15_EUlS14_E_NS1_11comp_targetILNS1_3genE9ELNS1_11target_archE1100ELNS1_3gpuE3ELNS1_3repE0EEENS1_30default_config_static_selectorELNS0_4arch9wavefront6targetE1EEEvT1_,comdat
.Lfunc_end463:
	.size	_ZN7rocprim17ROCPRIM_400000_NS6detail17trampoline_kernelINS0_14default_configENS1_25partition_config_selectorILNS1_17partition_subalgoE1EsNS0_10empty_typeEbEEZZNS1_14partition_implILS5_1ELb0ES3_jN6thrust23THRUST_200600_302600_NS6detail15normal_iteratorINSA_10device_ptrIsEEEEPS6_NSA_18transform_iteratorI7is_evenIsESF_NSA_11use_defaultESK_EENS0_5tupleIJSF_SF_EEENSM_IJSG_SG_EEES6_PlJS6_EEE10hipError_tPvRmT3_T4_T5_T6_T7_T9_mT8_P12ihipStream_tbDpT10_ENKUlT_T0_E_clISt17integral_constantIbLb1EES19_EEDaS14_S15_EUlS14_E_NS1_11comp_targetILNS1_3genE9ELNS1_11target_archE1100ELNS1_3gpuE3ELNS1_3repE0EEENS1_30default_config_static_selectorELNS0_4arch9wavefront6targetE1EEEvT1_, .Lfunc_end463-_ZN7rocprim17ROCPRIM_400000_NS6detail17trampoline_kernelINS0_14default_configENS1_25partition_config_selectorILNS1_17partition_subalgoE1EsNS0_10empty_typeEbEEZZNS1_14partition_implILS5_1ELb0ES3_jN6thrust23THRUST_200600_302600_NS6detail15normal_iteratorINSA_10device_ptrIsEEEEPS6_NSA_18transform_iteratorI7is_evenIsESF_NSA_11use_defaultESK_EENS0_5tupleIJSF_SF_EEENSM_IJSG_SG_EEES6_PlJS6_EEE10hipError_tPvRmT3_T4_T5_T6_T7_T9_mT8_P12ihipStream_tbDpT10_ENKUlT_T0_E_clISt17integral_constantIbLb1EES19_EEDaS14_S15_EUlS14_E_NS1_11comp_targetILNS1_3genE9ELNS1_11target_archE1100ELNS1_3gpuE3ELNS1_3repE0EEENS1_30default_config_static_selectorELNS0_4arch9wavefront6targetE1EEEvT1_
                                        ; -- End function
	.section	.AMDGPU.csdata,"",@progbits
; Kernel info:
; codeLenInByte = 0
; NumSgprs: 6
; NumVgprs: 0
; NumAgprs: 0
; TotalNumVgprs: 0
; ScratchSize: 0
; MemoryBound: 0
; FloatMode: 240
; IeeeMode: 1
; LDSByteSize: 0 bytes/workgroup (compile time only)
; SGPRBlocks: 0
; VGPRBlocks: 0
; NumSGPRsForWavesPerEU: 6
; NumVGPRsForWavesPerEU: 1
; AccumOffset: 4
; Occupancy: 8
; WaveLimiterHint : 0
; COMPUTE_PGM_RSRC2:SCRATCH_EN: 0
; COMPUTE_PGM_RSRC2:USER_SGPR: 2
; COMPUTE_PGM_RSRC2:TRAP_HANDLER: 0
; COMPUTE_PGM_RSRC2:TGID_X_EN: 1
; COMPUTE_PGM_RSRC2:TGID_Y_EN: 0
; COMPUTE_PGM_RSRC2:TGID_Z_EN: 0
; COMPUTE_PGM_RSRC2:TIDIG_COMP_CNT: 0
; COMPUTE_PGM_RSRC3_GFX90A:ACCUM_OFFSET: 0
; COMPUTE_PGM_RSRC3_GFX90A:TG_SPLIT: 0
	.section	.text._ZN7rocprim17ROCPRIM_400000_NS6detail17trampoline_kernelINS0_14default_configENS1_25partition_config_selectorILNS1_17partition_subalgoE1EsNS0_10empty_typeEbEEZZNS1_14partition_implILS5_1ELb0ES3_jN6thrust23THRUST_200600_302600_NS6detail15normal_iteratorINSA_10device_ptrIsEEEEPS6_NSA_18transform_iteratorI7is_evenIsESF_NSA_11use_defaultESK_EENS0_5tupleIJSF_SF_EEENSM_IJSG_SG_EEES6_PlJS6_EEE10hipError_tPvRmT3_T4_T5_T6_T7_T9_mT8_P12ihipStream_tbDpT10_ENKUlT_T0_E_clISt17integral_constantIbLb1EES19_EEDaS14_S15_EUlS14_E_NS1_11comp_targetILNS1_3genE8ELNS1_11target_archE1030ELNS1_3gpuE2ELNS1_3repE0EEENS1_30default_config_static_selectorELNS0_4arch9wavefront6targetE1EEEvT1_,"axG",@progbits,_ZN7rocprim17ROCPRIM_400000_NS6detail17trampoline_kernelINS0_14default_configENS1_25partition_config_selectorILNS1_17partition_subalgoE1EsNS0_10empty_typeEbEEZZNS1_14partition_implILS5_1ELb0ES3_jN6thrust23THRUST_200600_302600_NS6detail15normal_iteratorINSA_10device_ptrIsEEEEPS6_NSA_18transform_iteratorI7is_evenIsESF_NSA_11use_defaultESK_EENS0_5tupleIJSF_SF_EEENSM_IJSG_SG_EEES6_PlJS6_EEE10hipError_tPvRmT3_T4_T5_T6_T7_T9_mT8_P12ihipStream_tbDpT10_ENKUlT_T0_E_clISt17integral_constantIbLb1EES19_EEDaS14_S15_EUlS14_E_NS1_11comp_targetILNS1_3genE8ELNS1_11target_archE1030ELNS1_3gpuE2ELNS1_3repE0EEENS1_30default_config_static_selectorELNS0_4arch9wavefront6targetE1EEEvT1_,comdat
	.protected	_ZN7rocprim17ROCPRIM_400000_NS6detail17trampoline_kernelINS0_14default_configENS1_25partition_config_selectorILNS1_17partition_subalgoE1EsNS0_10empty_typeEbEEZZNS1_14partition_implILS5_1ELb0ES3_jN6thrust23THRUST_200600_302600_NS6detail15normal_iteratorINSA_10device_ptrIsEEEEPS6_NSA_18transform_iteratorI7is_evenIsESF_NSA_11use_defaultESK_EENS0_5tupleIJSF_SF_EEENSM_IJSG_SG_EEES6_PlJS6_EEE10hipError_tPvRmT3_T4_T5_T6_T7_T9_mT8_P12ihipStream_tbDpT10_ENKUlT_T0_E_clISt17integral_constantIbLb1EES19_EEDaS14_S15_EUlS14_E_NS1_11comp_targetILNS1_3genE8ELNS1_11target_archE1030ELNS1_3gpuE2ELNS1_3repE0EEENS1_30default_config_static_selectorELNS0_4arch9wavefront6targetE1EEEvT1_ ; -- Begin function _ZN7rocprim17ROCPRIM_400000_NS6detail17trampoline_kernelINS0_14default_configENS1_25partition_config_selectorILNS1_17partition_subalgoE1EsNS0_10empty_typeEbEEZZNS1_14partition_implILS5_1ELb0ES3_jN6thrust23THRUST_200600_302600_NS6detail15normal_iteratorINSA_10device_ptrIsEEEEPS6_NSA_18transform_iteratorI7is_evenIsESF_NSA_11use_defaultESK_EENS0_5tupleIJSF_SF_EEENSM_IJSG_SG_EEES6_PlJS6_EEE10hipError_tPvRmT3_T4_T5_T6_T7_T9_mT8_P12ihipStream_tbDpT10_ENKUlT_T0_E_clISt17integral_constantIbLb1EES19_EEDaS14_S15_EUlS14_E_NS1_11comp_targetILNS1_3genE8ELNS1_11target_archE1030ELNS1_3gpuE2ELNS1_3repE0EEENS1_30default_config_static_selectorELNS0_4arch9wavefront6targetE1EEEvT1_
	.globl	_ZN7rocprim17ROCPRIM_400000_NS6detail17trampoline_kernelINS0_14default_configENS1_25partition_config_selectorILNS1_17partition_subalgoE1EsNS0_10empty_typeEbEEZZNS1_14partition_implILS5_1ELb0ES3_jN6thrust23THRUST_200600_302600_NS6detail15normal_iteratorINSA_10device_ptrIsEEEEPS6_NSA_18transform_iteratorI7is_evenIsESF_NSA_11use_defaultESK_EENS0_5tupleIJSF_SF_EEENSM_IJSG_SG_EEES6_PlJS6_EEE10hipError_tPvRmT3_T4_T5_T6_T7_T9_mT8_P12ihipStream_tbDpT10_ENKUlT_T0_E_clISt17integral_constantIbLb1EES19_EEDaS14_S15_EUlS14_E_NS1_11comp_targetILNS1_3genE8ELNS1_11target_archE1030ELNS1_3gpuE2ELNS1_3repE0EEENS1_30default_config_static_selectorELNS0_4arch9wavefront6targetE1EEEvT1_
	.p2align	8
	.type	_ZN7rocprim17ROCPRIM_400000_NS6detail17trampoline_kernelINS0_14default_configENS1_25partition_config_selectorILNS1_17partition_subalgoE1EsNS0_10empty_typeEbEEZZNS1_14partition_implILS5_1ELb0ES3_jN6thrust23THRUST_200600_302600_NS6detail15normal_iteratorINSA_10device_ptrIsEEEEPS6_NSA_18transform_iteratorI7is_evenIsESF_NSA_11use_defaultESK_EENS0_5tupleIJSF_SF_EEENSM_IJSG_SG_EEES6_PlJS6_EEE10hipError_tPvRmT3_T4_T5_T6_T7_T9_mT8_P12ihipStream_tbDpT10_ENKUlT_T0_E_clISt17integral_constantIbLb1EES19_EEDaS14_S15_EUlS14_E_NS1_11comp_targetILNS1_3genE8ELNS1_11target_archE1030ELNS1_3gpuE2ELNS1_3repE0EEENS1_30default_config_static_selectorELNS0_4arch9wavefront6targetE1EEEvT1_,@function
_ZN7rocprim17ROCPRIM_400000_NS6detail17trampoline_kernelINS0_14default_configENS1_25partition_config_selectorILNS1_17partition_subalgoE1EsNS0_10empty_typeEbEEZZNS1_14partition_implILS5_1ELb0ES3_jN6thrust23THRUST_200600_302600_NS6detail15normal_iteratorINSA_10device_ptrIsEEEEPS6_NSA_18transform_iteratorI7is_evenIsESF_NSA_11use_defaultESK_EENS0_5tupleIJSF_SF_EEENSM_IJSG_SG_EEES6_PlJS6_EEE10hipError_tPvRmT3_T4_T5_T6_T7_T9_mT8_P12ihipStream_tbDpT10_ENKUlT_T0_E_clISt17integral_constantIbLb1EES19_EEDaS14_S15_EUlS14_E_NS1_11comp_targetILNS1_3genE8ELNS1_11target_archE1030ELNS1_3gpuE2ELNS1_3repE0EEENS1_30default_config_static_selectorELNS0_4arch9wavefront6targetE1EEEvT1_: ; @_ZN7rocprim17ROCPRIM_400000_NS6detail17trampoline_kernelINS0_14default_configENS1_25partition_config_selectorILNS1_17partition_subalgoE1EsNS0_10empty_typeEbEEZZNS1_14partition_implILS5_1ELb0ES3_jN6thrust23THRUST_200600_302600_NS6detail15normal_iteratorINSA_10device_ptrIsEEEEPS6_NSA_18transform_iteratorI7is_evenIsESF_NSA_11use_defaultESK_EENS0_5tupleIJSF_SF_EEENSM_IJSG_SG_EEES6_PlJS6_EEE10hipError_tPvRmT3_T4_T5_T6_T7_T9_mT8_P12ihipStream_tbDpT10_ENKUlT_T0_E_clISt17integral_constantIbLb1EES19_EEDaS14_S15_EUlS14_E_NS1_11comp_targetILNS1_3genE8ELNS1_11target_archE1030ELNS1_3gpuE2ELNS1_3repE0EEENS1_30default_config_static_selectorELNS0_4arch9wavefront6targetE1EEEvT1_
; %bb.0:
	.section	.rodata,"a",@progbits
	.p2align	6, 0x0
	.amdhsa_kernel _ZN7rocprim17ROCPRIM_400000_NS6detail17trampoline_kernelINS0_14default_configENS1_25partition_config_selectorILNS1_17partition_subalgoE1EsNS0_10empty_typeEbEEZZNS1_14partition_implILS5_1ELb0ES3_jN6thrust23THRUST_200600_302600_NS6detail15normal_iteratorINSA_10device_ptrIsEEEEPS6_NSA_18transform_iteratorI7is_evenIsESF_NSA_11use_defaultESK_EENS0_5tupleIJSF_SF_EEENSM_IJSG_SG_EEES6_PlJS6_EEE10hipError_tPvRmT3_T4_T5_T6_T7_T9_mT8_P12ihipStream_tbDpT10_ENKUlT_T0_E_clISt17integral_constantIbLb1EES19_EEDaS14_S15_EUlS14_E_NS1_11comp_targetILNS1_3genE8ELNS1_11target_archE1030ELNS1_3gpuE2ELNS1_3repE0EEENS1_30default_config_static_selectorELNS0_4arch9wavefront6targetE1EEEvT1_
		.amdhsa_group_segment_fixed_size 0
		.amdhsa_private_segment_fixed_size 0
		.amdhsa_kernarg_size 144
		.amdhsa_user_sgpr_count 2
		.amdhsa_user_sgpr_dispatch_ptr 0
		.amdhsa_user_sgpr_queue_ptr 0
		.amdhsa_user_sgpr_kernarg_segment_ptr 1
		.amdhsa_user_sgpr_dispatch_id 0
		.amdhsa_user_sgpr_kernarg_preload_length 0
		.amdhsa_user_sgpr_kernarg_preload_offset 0
		.amdhsa_user_sgpr_private_segment_size 0
		.amdhsa_uses_dynamic_stack 0
		.amdhsa_enable_private_segment 0
		.amdhsa_system_sgpr_workgroup_id_x 1
		.amdhsa_system_sgpr_workgroup_id_y 0
		.amdhsa_system_sgpr_workgroup_id_z 0
		.amdhsa_system_sgpr_workgroup_info 0
		.amdhsa_system_vgpr_workitem_id 0
		.amdhsa_next_free_vgpr 1
		.amdhsa_next_free_sgpr 0
		.amdhsa_accum_offset 4
		.amdhsa_reserve_vcc 0
		.amdhsa_float_round_mode_32 0
		.amdhsa_float_round_mode_16_64 0
		.amdhsa_float_denorm_mode_32 3
		.amdhsa_float_denorm_mode_16_64 3
		.amdhsa_dx10_clamp 1
		.amdhsa_ieee_mode 1
		.amdhsa_fp16_overflow 0
		.amdhsa_tg_split 0
		.amdhsa_exception_fp_ieee_invalid_op 0
		.amdhsa_exception_fp_denorm_src 0
		.amdhsa_exception_fp_ieee_div_zero 0
		.amdhsa_exception_fp_ieee_overflow 0
		.amdhsa_exception_fp_ieee_underflow 0
		.amdhsa_exception_fp_ieee_inexact 0
		.amdhsa_exception_int_div_zero 0
	.end_amdhsa_kernel
	.section	.text._ZN7rocprim17ROCPRIM_400000_NS6detail17trampoline_kernelINS0_14default_configENS1_25partition_config_selectorILNS1_17partition_subalgoE1EsNS0_10empty_typeEbEEZZNS1_14partition_implILS5_1ELb0ES3_jN6thrust23THRUST_200600_302600_NS6detail15normal_iteratorINSA_10device_ptrIsEEEEPS6_NSA_18transform_iteratorI7is_evenIsESF_NSA_11use_defaultESK_EENS0_5tupleIJSF_SF_EEENSM_IJSG_SG_EEES6_PlJS6_EEE10hipError_tPvRmT3_T4_T5_T6_T7_T9_mT8_P12ihipStream_tbDpT10_ENKUlT_T0_E_clISt17integral_constantIbLb1EES19_EEDaS14_S15_EUlS14_E_NS1_11comp_targetILNS1_3genE8ELNS1_11target_archE1030ELNS1_3gpuE2ELNS1_3repE0EEENS1_30default_config_static_selectorELNS0_4arch9wavefront6targetE1EEEvT1_,"axG",@progbits,_ZN7rocprim17ROCPRIM_400000_NS6detail17trampoline_kernelINS0_14default_configENS1_25partition_config_selectorILNS1_17partition_subalgoE1EsNS0_10empty_typeEbEEZZNS1_14partition_implILS5_1ELb0ES3_jN6thrust23THRUST_200600_302600_NS6detail15normal_iteratorINSA_10device_ptrIsEEEEPS6_NSA_18transform_iteratorI7is_evenIsESF_NSA_11use_defaultESK_EENS0_5tupleIJSF_SF_EEENSM_IJSG_SG_EEES6_PlJS6_EEE10hipError_tPvRmT3_T4_T5_T6_T7_T9_mT8_P12ihipStream_tbDpT10_ENKUlT_T0_E_clISt17integral_constantIbLb1EES19_EEDaS14_S15_EUlS14_E_NS1_11comp_targetILNS1_3genE8ELNS1_11target_archE1030ELNS1_3gpuE2ELNS1_3repE0EEENS1_30default_config_static_selectorELNS0_4arch9wavefront6targetE1EEEvT1_,comdat
.Lfunc_end464:
	.size	_ZN7rocprim17ROCPRIM_400000_NS6detail17trampoline_kernelINS0_14default_configENS1_25partition_config_selectorILNS1_17partition_subalgoE1EsNS0_10empty_typeEbEEZZNS1_14partition_implILS5_1ELb0ES3_jN6thrust23THRUST_200600_302600_NS6detail15normal_iteratorINSA_10device_ptrIsEEEEPS6_NSA_18transform_iteratorI7is_evenIsESF_NSA_11use_defaultESK_EENS0_5tupleIJSF_SF_EEENSM_IJSG_SG_EEES6_PlJS6_EEE10hipError_tPvRmT3_T4_T5_T6_T7_T9_mT8_P12ihipStream_tbDpT10_ENKUlT_T0_E_clISt17integral_constantIbLb1EES19_EEDaS14_S15_EUlS14_E_NS1_11comp_targetILNS1_3genE8ELNS1_11target_archE1030ELNS1_3gpuE2ELNS1_3repE0EEENS1_30default_config_static_selectorELNS0_4arch9wavefront6targetE1EEEvT1_, .Lfunc_end464-_ZN7rocprim17ROCPRIM_400000_NS6detail17trampoline_kernelINS0_14default_configENS1_25partition_config_selectorILNS1_17partition_subalgoE1EsNS0_10empty_typeEbEEZZNS1_14partition_implILS5_1ELb0ES3_jN6thrust23THRUST_200600_302600_NS6detail15normal_iteratorINSA_10device_ptrIsEEEEPS6_NSA_18transform_iteratorI7is_evenIsESF_NSA_11use_defaultESK_EENS0_5tupleIJSF_SF_EEENSM_IJSG_SG_EEES6_PlJS6_EEE10hipError_tPvRmT3_T4_T5_T6_T7_T9_mT8_P12ihipStream_tbDpT10_ENKUlT_T0_E_clISt17integral_constantIbLb1EES19_EEDaS14_S15_EUlS14_E_NS1_11comp_targetILNS1_3genE8ELNS1_11target_archE1030ELNS1_3gpuE2ELNS1_3repE0EEENS1_30default_config_static_selectorELNS0_4arch9wavefront6targetE1EEEvT1_
                                        ; -- End function
	.section	.AMDGPU.csdata,"",@progbits
; Kernel info:
; codeLenInByte = 0
; NumSgprs: 6
; NumVgprs: 0
; NumAgprs: 0
; TotalNumVgprs: 0
; ScratchSize: 0
; MemoryBound: 0
; FloatMode: 240
; IeeeMode: 1
; LDSByteSize: 0 bytes/workgroup (compile time only)
; SGPRBlocks: 0
; VGPRBlocks: 0
; NumSGPRsForWavesPerEU: 6
; NumVGPRsForWavesPerEU: 1
; AccumOffset: 4
; Occupancy: 8
; WaveLimiterHint : 0
; COMPUTE_PGM_RSRC2:SCRATCH_EN: 0
; COMPUTE_PGM_RSRC2:USER_SGPR: 2
; COMPUTE_PGM_RSRC2:TRAP_HANDLER: 0
; COMPUTE_PGM_RSRC2:TGID_X_EN: 1
; COMPUTE_PGM_RSRC2:TGID_Y_EN: 0
; COMPUTE_PGM_RSRC2:TGID_Z_EN: 0
; COMPUTE_PGM_RSRC2:TIDIG_COMP_CNT: 0
; COMPUTE_PGM_RSRC3_GFX90A:ACCUM_OFFSET: 0
; COMPUTE_PGM_RSRC3_GFX90A:TG_SPLIT: 0
	.section	.text._ZN7rocprim17ROCPRIM_400000_NS6detail17trampoline_kernelINS0_14default_configENS1_25partition_config_selectorILNS1_17partition_subalgoE1EsNS0_10empty_typeEbEEZZNS1_14partition_implILS5_1ELb0ES3_jN6thrust23THRUST_200600_302600_NS6detail15normal_iteratorINSA_10device_ptrIsEEEEPS6_NSA_18transform_iteratorI7is_evenIsESF_NSA_11use_defaultESK_EENS0_5tupleIJSF_SF_EEENSM_IJSG_SG_EEES6_PlJS6_EEE10hipError_tPvRmT3_T4_T5_T6_T7_T9_mT8_P12ihipStream_tbDpT10_ENKUlT_T0_E_clISt17integral_constantIbLb1EES18_IbLb0EEEEDaS14_S15_EUlS14_E_NS1_11comp_targetILNS1_3genE0ELNS1_11target_archE4294967295ELNS1_3gpuE0ELNS1_3repE0EEENS1_30default_config_static_selectorELNS0_4arch9wavefront6targetE1EEEvT1_,"axG",@progbits,_ZN7rocprim17ROCPRIM_400000_NS6detail17trampoline_kernelINS0_14default_configENS1_25partition_config_selectorILNS1_17partition_subalgoE1EsNS0_10empty_typeEbEEZZNS1_14partition_implILS5_1ELb0ES3_jN6thrust23THRUST_200600_302600_NS6detail15normal_iteratorINSA_10device_ptrIsEEEEPS6_NSA_18transform_iteratorI7is_evenIsESF_NSA_11use_defaultESK_EENS0_5tupleIJSF_SF_EEENSM_IJSG_SG_EEES6_PlJS6_EEE10hipError_tPvRmT3_T4_T5_T6_T7_T9_mT8_P12ihipStream_tbDpT10_ENKUlT_T0_E_clISt17integral_constantIbLb1EES18_IbLb0EEEEDaS14_S15_EUlS14_E_NS1_11comp_targetILNS1_3genE0ELNS1_11target_archE4294967295ELNS1_3gpuE0ELNS1_3repE0EEENS1_30default_config_static_selectorELNS0_4arch9wavefront6targetE1EEEvT1_,comdat
	.protected	_ZN7rocprim17ROCPRIM_400000_NS6detail17trampoline_kernelINS0_14default_configENS1_25partition_config_selectorILNS1_17partition_subalgoE1EsNS0_10empty_typeEbEEZZNS1_14partition_implILS5_1ELb0ES3_jN6thrust23THRUST_200600_302600_NS6detail15normal_iteratorINSA_10device_ptrIsEEEEPS6_NSA_18transform_iteratorI7is_evenIsESF_NSA_11use_defaultESK_EENS0_5tupleIJSF_SF_EEENSM_IJSG_SG_EEES6_PlJS6_EEE10hipError_tPvRmT3_T4_T5_T6_T7_T9_mT8_P12ihipStream_tbDpT10_ENKUlT_T0_E_clISt17integral_constantIbLb1EES18_IbLb0EEEEDaS14_S15_EUlS14_E_NS1_11comp_targetILNS1_3genE0ELNS1_11target_archE4294967295ELNS1_3gpuE0ELNS1_3repE0EEENS1_30default_config_static_selectorELNS0_4arch9wavefront6targetE1EEEvT1_ ; -- Begin function _ZN7rocprim17ROCPRIM_400000_NS6detail17trampoline_kernelINS0_14default_configENS1_25partition_config_selectorILNS1_17partition_subalgoE1EsNS0_10empty_typeEbEEZZNS1_14partition_implILS5_1ELb0ES3_jN6thrust23THRUST_200600_302600_NS6detail15normal_iteratorINSA_10device_ptrIsEEEEPS6_NSA_18transform_iteratorI7is_evenIsESF_NSA_11use_defaultESK_EENS0_5tupleIJSF_SF_EEENSM_IJSG_SG_EEES6_PlJS6_EEE10hipError_tPvRmT3_T4_T5_T6_T7_T9_mT8_P12ihipStream_tbDpT10_ENKUlT_T0_E_clISt17integral_constantIbLb1EES18_IbLb0EEEEDaS14_S15_EUlS14_E_NS1_11comp_targetILNS1_3genE0ELNS1_11target_archE4294967295ELNS1_3gpuE0ELNS1_3repE0EEENS1_30default_config_static_selectorELNS0_4arch9wavefront6targetE1EEEvT1_
	.globl	_ZN7rocprim17ROCPRIM_400000_NS6detail17trampoline_kernelINS0_14default_configENS1_25partition_config_selectorILNS1_17partition_subalgoE1EsNS0_10empty_typeEbEEZZNS1_14partition_implILS5_1ELb0ES3_jN6thrust23THRUST_200600_302600_NS6detail15normal_iteratorINSA_10device_ptrIsEEEEPS6_NSA_18transform_iteratorI7is_evenIsESF_NSA_11use_defaultESK_EENS0_5tupleIJSF_SF_EEENSM_IJSG_SG_EEES6_PlJS6_EEE10hipError_tPvRmT3_T4_T5_T6_T7_T9_mT8_P12ihipStream_tbDpT10_ENKUlT_T0_E_clISt17integral_constantIbLb1EES18_IbLb0EEEEDaS14_S15_EUlS14_E_NS1_11comp_targetILNS1_3genE0ELNS1_11target_archE4294967295ELNS1_3gpuE0ELNS1_3repE0EEENS1_30default_config_static_selectorELNS0_4arch9wavefront6targetE1EEEvT1_
	.p2align	8
	.type	_ZN7rocprim17ROCPRIM_400000_NS6detail17trampoline_kernelINS0_14default_configENS1_25partition_config_selectorILNS1_17partition_subalgoE1EsNS0_10empty_typeEbEEZZNS1_14partition_implILS5_1ELb0ES3_jN6thrust23THRUST_200600_302600_NS6detail15normal_iteratorINSA_10device_ptrIsEEEEPS6_NSA_18transform_iteratorI7is_evenIsESF_NSA_11use_defaultESK_EENS0_5tupleIJSF_SF_EEENSM_IJSG_SG_EEES6_PlJS6_EEE10hipError_tPvRmT3_T4_T5_T6_T7_T9_mT8_P12ihipStream_tbDpT10_ENKUlT_T0_E_clISt17integral_constantIbLb1EES18_IbLb0EEEEDaS14_S15_EUlS14_E_NS1_11comp_targetILNS1_3genE0ELNS1_11target_archE4294967295ELNS1_3gpuE0ELNS1_3repE0EEENS1_30default_config_static_selectorELNS0_4arch9wavefront6targetE1EEEvT1_,@function
_ZN7rocprim17ROCPRIM_400000_NS6detail17trampoline_kernelINS0_14default_configENS1_25partition_config_selectorILNS1_17partition_subalgoE1EsNS0_10empty_typeEbEEZZNS1_14partition_implILS5_1ELb0ES3_jN6thrust23THRUST_200600_302600_NS6detail15normal_iteratorINSA_10device_ptrIsEEEEPS6_NSA_18transform_iteratorI7is_evenIsESF_NSA_11use_defaultESK_EENS0_5tupleIJSF_SF_EEENSM_IJSG_SG_EEES6_PlJS6_EEE10hipError_tPvRmT3_T4_T5_T6_T7_T9_mT8_P12ihipStream_tbDpT10_ENKUlT_T0_E_clISt17integral_constantIbLb1EES18_IbLb0EEEEDaS14_S15_EUlS14_E_NS1_11comp_targetILNS1_3genE0ELNS1_11target_archE4294967295ELNS1_3gpuE0ELNS1_3repE0EEENS1_30default_config_static_selectorELNS0_4arch9wavefront6targetE1EEEvT1_: ; @_ZN7rocprim17ROCPRIM_400000_NS6detail17trampoline_kernelINS0_14default_configENS1_25partition_config_selectorILNS1_17partition_subalgoE1EsNS0_10empty_typeEbEEZZNS1_14partition_implILS5_1ELb0ES3_jN6thrust23THRUST_200600_302600_NS6detail15normal_iteratorINSA_10device_ptrIsEEEEPS6_NSA_18transform_iteratorI7is_evenIsESF_NSA_11use_defaultESK_EENS0_5tupleIJSF_SF_EEENSM_IJSG_SG_EEES6_PlJS6_EEE10hipError_tPvRmT3_T4_T5_T6_T7_T9_mT8_P12ihipStream_tbDpT10_ENKUlT_T0_E_clISt17integral_constantIbLb1EES18_IbLb0EEEEDaS14_S15_EUlS14_E_NS1_11comp_targetILNS1_3genE0ELNS1_11target_archE4294967295ELNS1_3gpuE0ELNS1_3repE0EEENS1_30default_config_static_selectorELNS0_4arch9wavefront6targetE1EEEvT1_
; %bb.0:
	.section	.rodata,"a",@progbits
	.p2align	6, 0x0
	.amdhsa_kernel _ZN7rocprim17ROCPRIM_400000_NS6detail17trampoline_kernelINS0_14default_configENS1_25partition_config_selectorILNS1_17partition_subalgoE1EsNS0_10empty_typeEbEEZZNS1_14partition_implILS5_1ELb0ES3_jN6thrust23THRUST_200600_302600_NS6detail15normal_iteratorINSA_10device_ptrIsEEEEPS6_NSA_18transform_iteratorI7is_evenIsESF_NSA_11use_defaultESK_EENS0_5tupleIJSF_SF_EEENSM_IJSG_SG_EEES6_PlJS6_EEE10hipError_tPvRmT3_T4_T5_T6_T7_T9_mT8_P12ihipStream_tbDpT10_ENKUlT_T0_E_clISt17integral_constantIbLb1EES18_IbLb0EEEEDaS14_S15_EUlS14_E_NS1_11comp_targetILNS1_3genE0ELNS1_11target_archE4294967295ELNS1_3gpuE0ELNS1_3repE0EEENS1_30default_config_static_selectorELNS0_4arch9wavefront6targetE1EEEvT1_
		.amdhsa_group_segment_fixed_size 0
		.amdhsa_private_segment_fixed_size 0
		.amdhsa_kernarg_size 128
		.amdhsa_user_sgpr_count 2
		.amdhsa_user_sgpr_dispatch_ptr 0
		.amdhsa_user_sgpr_queue_ptr 0
		.amdhsa_user_sgpr_kernarg_segment_ptr 1
		.amdhsa_user_sgpr_dispatch_id 0
		.amdhsa_user_sgpr_kernarg_preload_length 0
		.amdhsa_user_sgpr_kernarg_preload_offset 0
		.amdhsa_user_sgpr_private_segment_size 0
		.amdhsa_uses_dynamic_stack 0
		.amdhsa_enable_private_segment 0
		.amdhsa_system_sgpr_workgroup_id_x 1
		.amdhsa_system_sgpr_workgroup_id_y 0
		.amdhsa_system_sgpr_workgroup_id_z 0
		.amdhsa_system_sgpr_workgroup_info 0
		.amdhsa_system_vgpr_workitem_id 0
		.amdhsa_next_free_vgpr 1
		.amdhsa_next_free_sgpr 0
		.amdhsa_accum_offset 4
		.amdhsa_reserve_vcc 0
		.amdhsa_float_round_mode_32 0
		.amdhsa_float_round_mode_16_64 0
		.amdhsa_float_denorm_mode_32 3
		.amdhsa_float_denorm_mode_16_64 3
		.amdhsa_dx10_clamp 1
		.amdhsa_ieee_mode 1
		.amdhsa_fp16_overflow 0
		.amdhsa_tg_split 0
		.amdhsa_exception_fp_ieee_invalid_op 0
		.amdhsa_exception_fp_denorm_src 0
		.amdhsa_exception_fp_ieee_div_zero 0
		.amdhsa_exception_fp_ieee_overflow 0
		.amdhsa_exception_fp_ieee_underflow 0
		.amdhsa_exception_fp_ieee_inexact 0
		.amdhsa_exception_int_div_zero 0
	.end_amdhsa_kernel
	.section	.text._ZN7rocprim17ROCPRIM_400000_NS6detail17trampoline_kernelINS0_14default_configENS1_25partition_config_selectorILNS1_17partition_subalgoE1EsNS0_10empty_typeEbEEZZNS1_14partition_implILS5_1ELb0ES3_jN6thrust23THRUST_200600_302600_NS6detail15normal_iteratorINSA_10device_ptrIsEEEEPS6_NSA_18transform_iteratorI7is_evenIsESF_NSA_11use_defaultESK_EENS0_5tupleIJSF_SF_EEENSM_IJSG_SG_EEES6_PlJS6_EEE10hipError_tPvRmT3_T4_T5_T6_T7_T9_mT8_P12ihipStream_tbDpT10_ENKUlT_T0_E_clISt17integral_constantIbLb1EES18_IbLb0EEEEDaS14_S15_EUlS14_E_NS1_11comp_targetILNS1_3genE0ELNS1_11target_archE4294967295ELNS1_3gpuE0ELNS1_3repE0EEENS1_30default_config_static_selectorELNS0_4arch9wavefront6targetE1EEEvT1_,"axG",@progbits,_ZN7rocprim17ROCPRIM_400000_NS6detail17trampoline_kernelINS0_14default_configENS1_25partition_config_selectorILNS1_17partition_subalgoE1EsNS0_10empty_typeEbEEZZNS1_14partition_implILS5_1ELb0ES3_jN6thrust23THRUST_200600_302600_NS6detail15normal_iteratorINSA_10device_ptrIsEEEEPS6_NSA_18transform_iteratorI7is_evenIsESF_NSA_11use_defaultESK_EENS0_5tupleIJSF_SF_EEENSM_IJSG_SG_EEES6_PlJS6_EEE10hipError_tPvRmT3_T4_T5_T6_T7_T9_mT8_P12ihipStream_tbDpT10_ENKUlT_T0_E_clISt17integral_constantIbLb1EES18_IbLb0EEEEDaS14_S15_EUlS14_E_NS1_11comp_targetILNS1_3genE0ELNS1_11target_archE4294967295ELNS1_3gpuE0ELNS1_3repE0EEENS1_30default_config_static_selectorELNS0_4arch9wavefront6targetE1EEEvT1_,comdat
.Lfunc_end465:
	.size	_ZN7rocprim17ROCPRIM_400000_NS6detail17trampoline_kernelINS0_14default_configENS1_25partition_config_selectorILNS1_17partition_subalgoE1EsNS0_10empty_typeEbEEZZNS1_14partition_implILS5_1ELb0ES3_jN6thrust23THRUST_200600_302600_NS6detail15normal_iteratorINSA_10device_ptrIsEEEEPS6_NSA_18transform_iteratorI7is_evenIsESF_NSA_11use_defaultESK_EENS0_5tupleIJSF_SF_EEENSM_IJSG_SG_EEES6_PlJS6_EEE10hipError_tPvRmT3_T4_T5_T6_T7_T9_mT8_P12ihipStream_tbDpT10_ENKUlT_T0_E_clISt17integral_constantIbLb1EES18_IbLb0EEEEDaS14_S15_EUlS14_E_NS1_11comp_targetILNS1_3genE0ELNS1_11target_archE4294967295ELNS1_3gpuE0ELNS1_3repE0EEENS1_30default_config_static_selectorELNS0_4arch9wavefront6targetE1EEEvT1_, .Lfunc_end465-_ZN7rocprim17ROCPRIM_400000_NS6detail17trampoline_kernelINS0_14default_configENS1_25partition_config_selectorILNS1_17partition_subalgoE1EsNS0_10empty_typeEbEEZZNS1_14partition_implILS5_1ELb0ES3_jN6thrust23THRUST_200600_302600_NS6detail15normal_iteratorINSA_10device_ptrIsEEEEPS6_NSA_18transform_iteratorI7is_evenIsESF_NSA_11use_defaultESK_EENS0_5tupleIJSF_SF_EEENSM_IJSG_SG_EEES6_PlJS6_EEE10hipError_tPvRmT3_T4_T5_T6_T7_T9_mT8_P12ihipStream_tbDpT10_ENKUlT_T0_E_clISt17integral_constantIbLb1EES18_IbLb0EEEEDaS14_S15_EUlS14_E_NS1_11comp_targetILNS1_3genE0ELNS1_11target_archE4294967295ELNS1_3gpuE0ELNS1_3repE0EEENS1_30default_config_static_selectorELNS0_4arch9wavefront6targetE1EEEvT1_
                                        ; -- End function
	.section	.AMDGPU.csdata,"",@progbits
; Kernel info:
; codeLenInByte = 0
; NumSgprs: 6
; NumVgprs: 0
; NumAgprs: 0
; TotalNumVgprs: 0
; ScratchSize: 0
; MemoryBound: 0
; FloatMode: 240
; IeeeMode: 1
; LDSByteSize: 0 bytes/workgroup (compile time only)
; SGPRBlocks: 0
; VGPRBlocks: 0
; NumSGPRsForWavesPerEU: 6
; NumVGPRsForWavesPerEU: 1
; AccumOffset: 4
; Occupancy: 8
; WaveLimiterHint : 0
; COMPUTE_PGM_RSRC2:SCRATCH_EN: 0
; COMPUTE_PGM_RSRC2:USER_SGPR: 2
; COMPUTE_PGM_RSRC2:TRAP_HANDLER: 0
; COMPUTE_PGM_RSRC2:TGID_X_EN: 1
; COMPUTE_PGM_RSRC2:TGID_Y_EN: 0
; COMPUTE_PGM_RSRC2:TGID_Z_EN: 0
; COMPUTE_PGM_RSRC2:TIDIG_COMP_CNT: 0
; COMPUTE_PGM_RSRC3_GFX90A:ACCUM_OFFSET: 0
; COMPUTE_PGM_RSRC3_GFX90A:TG_SPLIT: 0
	.section	.text._ZN7rocprim17ROCPRIM_400000_NS6detail17trampoline_kernelINS0_14default_configENS1_25partition_config_selectorILNS1_17partition_subalgoE1EsNS0_10empty_typeEbEEZZNS1_14partition_implILS5_1ELb0ES3_jN6thrust23THRUST_200600_302600_NS6detail15normal_iteratorINSA_10device_ptrIsEEEEPS6_NSA_18transform_iteratorI7is_evenIsESF_NSA_11use_defaultESK_EENS0_5tupleIJSF_SF_EEENSM_IJSG_SG_EEES6_PlJS6_EEE10hipError_tPvRmT3_T4_T5_T6_T7_T9_mT8_P12ihipStream_tbDpT10_ENKUlT_T0_E_clISt17integral_constantIbLb1EES18_IbLb0EEEEDaS14_S15_EUlS14_E_NS1_11comp_targetILNS1_3genE5ELNS1_11target_archE942ELNS1_3gpuE9ELNS1_3repE0EEENS1_30default_config_static_selectorELNS0_4arch9wavefront6targetE1EEEvT1_,"axG",@progbits,_ZN7rocprim17ROCPRIM_400000_NS6detail17trampoline_kernelINS0_14default_configENS1_25partition_config_selectorILNS1_17partition_subalgoE1EsNS0_10empty_typeEbEEZZNS1_14partition_implILS5_1ELb0ES3_jN6thrust23THRUST_200600_302600_NS6detail15normal_iteratorINSA_10device_ptrIsEEEEPS6_NSA_18transform_iteratorI7is_evenIsESF_NSA_11use_defaultESK_EENS0_5tupleIJSF_SF_EEENSM_IJSG_SG_EEES6_PlJS6_EEE10hipError_tPvRmT3_T4_T5_T6_T7_T9_mT8_P12ihipStream_tbDpT10_ENKUlT_T0_E_clISt17integral_constantIbLb1EES18_IbLb0EEEEDaS14_S15_EUlS14_E_NS1_11comp_targetILNS1_3genE5ELNS1_11target_archE942ELNS1_3gpuE9ELNS1_3repE0EEENS1_30default_config_static_selectorELNS0_4arch9wavefront6targetE1EEEvT1_,comdat
	.protected	_ZN7rocprim17ROCPRIM_400000_NS6detail17trampoline_kernelINS0_14default_configENS1_25partition_config_selectorILNS1_17partition_subalgoE1EsNS0_10empty_typeEbEEZZNS1_14partition_implILS5_1ELb0ES3_jN6thrust23THRUST_200600_302600_NS6detail15normal_iteratorINSA_10device_ptrIsEEEEPS6_NSA_18transform_iteratorI7is_evenIsESF_NSA_11use_defaultESK_EENS0_5tupleIJSF_SF_EEENSM_IJSG_SG_EEES6_PlJS6_EEE10hipError_tPvRmT3_T4_T5_T6_T7_T9_mT8_P12ihipStream_tbDpT10_ENKUlT_T0_E_clISt17integral_constantIbLb1EES18_IbLb0EEEEDaS14_S15_EUlS14_E_NS1_11comp_targetILNS1_3genE5ELNS1_11target_archE942ELNS1_3gpuE9ELNS1_3repE0EEENS1_30default_config_static_selectorELNS0_4arch9wavefront6targetE1EEEvT1_ ; -- Begin function _ZN7rocprim17ROCPRIM_400000_NS6detail17trampoline_kernelINS0_14default_configENS1_25partition_config_selectorILNS1_17partition_subalgoE1EsNS0_10empty_typeEbEEZZNS1_14partition_implILS5_1ELb0ES3_jN6thrust23THRUST_200600_302600_NS6detail15normal_iteratorINSA_10device_ptrIsEEEEPS6_NSA_18transform_iteratorI7is_evenIsESF_NSA_11use_defaultESK_EENS0_5tupleIJSF_SF_EEENSM_IJSG_SG_EEES6_PlJS6_EEE10hipError_tPvRmT3_T4_T5_T6_T7_T9_mT8_P12ihipStream_tbDpT10_ENKUlT_T0_E_clISt17integral_constantIbLb1EES18_IbLb0EEEEDaS14_S15_EUlS14_E_NS1_11comp_targetILNS1_3genE5ELNS1_11target_archE942ELNS1_3gpuE9ELNS1_3repE0EEENS1_30default_config_static_selectorELNS0_4arch9wavefront6targetE1EEEvT1_
	.globl	_ZN7rocprim17ROCPRIM_400000_NS6detail17trampoline_kernelINS0_14default_configENS1_25partition_config_selectorILNS1_17partition_subalgoE1EsNS0_10empty_typeEbEEZZNS1_14partition_implILS5_1ELb0ES3_jN6thrust23THRUST_200600_302600_NS6detail15normal_iteratorINSA_10device_ptrIsEEEEPS6_NSA_18transform_iteratorI7is_evenIsESF_NSA_11use_defaultESK_EENS0_5tupleIJSF_SF_EEENSM_IJSG_SG_EEES6_PlJS6_EEE10hipError_tPvRmT3_T4_T5_T6_T7_T9_mT8_P12ihipStream_tbDpT10_ENKUlT_T0_E_clISt17integral_constantIbLb1EES18_IbLb0EEEEDaS14_S15_EUlS14_E_NS1_11comp_targetILNS1_3genE5ELNS1_11target_archE942ELNS1_3gpuE9ELNS1_3repE0EEENS1_30default_config_static_selectorELNS0_4arch9wavefront6targetE1EEEvT1_
	.p2align	8
	.type	_ZN7rocprim17ROCPRIM_400000_NS6detail17trampoline_kernelINS0_14default_configENS1_25partition_config_selectorILNS1_17partition_subalgoE1EsNS0_10empty_typeEbEEZZNS1_14partition_implILS5_1ELb0ES3_jN6thrust23THRUST_200600_302600_NS6detail15normal_iteratorINSA_10device_ptrIsEEEEPS6_NSA_18transform_iteratorI7is_evenIsESF_NSA_11use_defaultESK_EENS0_5tupleIJSF_SF_EEENSM_IJSG_SG_EEES6_PlJS6_EEE10hipError_tPvRmT3_T4_T5_T6_T7_T9_mT8_P12ihipStream_tbDpT10_ENKUlT_T0_E_clISt17integral_constantIbLb1EES18_IbLb0EEEEDaS14_S15_EUlS14_E_NS1_11comp_targetILNS1_3genE5ELNS1_11target_archE942ELNS1_3gpuE9ELNS1_3repE0EEENS1_30default_config_static_selectorELNS0_4arch9wavefront6targetE1EEEvT1_,@function
_ZN7rocprim17ROCPRIM_400000_NS6detail17trampoline_kernelINS0_14default_configENS1_25partition_config_selectorILNS1_17partition_subalgoE1EsNS0_10empty_typeEbEEZZNS1_14partition_implILS5_1ELb0ES3_jN6thrust23THRUST_200600_302600_NS6detail15normal_iteratorINSA_10device_ptrIsEEEEPS6_NSA_18transform_iteratorI7is_evenIsESF_NSA_11use_defaultESK_EENS0_5tupleIJSF_SF_EEENSM_IJSG_SG_EEES6_PlJS6_EEE10hipError_tPvRmT3_T4_T5_T6_T7_T9_mT8_P12ihipStream_tbDpT10_ENKUlT_T0_E_clISt17integral_constantIbLb1EES18_IbLb0EEEEDaS14_S15_EUlS14_E_NS1_11comp_targetILNS1_3genE5ELNS1_11target_archE942ELNS1_3gpuE9ELNS1_3repE0EEENS1_30default_config_static_selectorELNS0_4arch9wavefront6targetE1EEEvT1_: ; @_ZN7rocprim17ROCPRIM_400000_NS6detail17trampoline_kernelINS0_14default_configENS1_25partition_config_selectorILNS1_17partition_subalgoE1EsNS0_10empty_typeEbEEZZNS1_14partition_implILS5_1ELb0ES3_jN6thrust23THRUST_200600_302600_NS6detail15normal_iteratorINSA_10device_ptrIsEEEEPS6_NSA_18transform_iteratorI7is_evenIsESF_NSA_11use_defaultESK_EENS0_5tupleIJSF_SF_EEENSM_IJSG_SG_EEES6_PlJS6_EEE10hipError_tPvRmT3_T4_T5_T6_T7_T9_mT8_P12ihipStream_tbDpT10_ENKUlT_T0_E_clISt17integral_constantIbLb1EES18_IbLb0EEEEDaS14_S15_EUlS14_E_NS1_11comp_targetILNS1_3genE5ELNS1_11target_archE942ELNS1_3gpuE9ELNS1_3repE0EEENS1_30default_config_static_selectorELNS0_4arch9wavefront6targetE1EEEvT1_
; %bb.0:
	s_load_dwordx2 s[4:5], s[0:1], 0x60
	s_load_dwordx4 s[24:27], s[0:1], 0x8
	s_load_dwordx2 s[6:7], s[0:1], 0x20
	s_load_dwordx4 s[20:23], s[0:1], 0x50
	s_load_dword s3, s[0:1], 0x78
	s_waitcnt lgkmcnt(0)
	v_mov_b32_e32 v3, s5
	s_lshl_b64 s[8:9], s[26:27], 1
	s_add_u32 s12, s24, s8
	s_addc_u32 s13, s25, s9
	s_add_i32 s14, s3, -1
	s_mulk_i32 s3, 0x3800
	s_add_i32 s5, s3, s26
	s_sub_i32 s33, s4, s5
	s_addk_i32 s33, 0x3800
	v_mov_b32_e32 v2, s4
	s_add_u32 s4, s26, s3
	s_addc_u32 s5, s27, 0
	s_cmp_eq_u32 s2, s14
	s_load_dwordx2 s[28:29], s[22:23], 0x0
	s_cselect_b64 s[22:23], -1, 0
	s_cmp_lg_u32 s2, s14
	s_mul_i32 s10, s2, 0x3800
	s_mov_b32 s11, 0
	v_cmp_lt_u64_e32 vcc, s[4:5], v[2:3]
	s_cselect_b64 s[4:5], -1, 0
	s_or_b64 s[24:25], s[4:5], vcc
	s_lshl_b64 s[30:31], s[10:11], 1
	s_add_u32 s10, s12, s30
	s_addc_u32 s11, s13, s31
	s_mov_b64 s[4:5], -1
	s_and_b64 vcc, exec, s[24:25]
	v_lshlrev_b32_e32 v14, 1, v0
	s_cbranch_vccz .LBB466_2
; %bb.1:
	v_mov_b32_e32 v15, 0
	v_lshl_add_u64 v[2:3], s[10:11], 0, v[14:15]
	v_add_co_u32_e32 v4, vcc, 0x1000, v2
	s_mov_b64 s[4:5], 0
	s_nop 0
	v_addc_co_u32_e32 v5, vcc, 0, v3, vcc
	flat_load_ushort v1, v[2:3]
	flat_load_ushort v8, v[2:3] offset:1024
	flat_load_ushort v9, v[2:3] offset:2048
	;; [unrolled: 1-line block ×3, first 2 shown]
	flat_load_ushort v11, v[4:5]
	flat_load_ushort v12, v[4:5] offset:1024
	flat_load_ushort v13, v[4:5] offset:2048
	;; [unrolled: 1-line block ×3, first 2 shown]
	v_add_co_u32_e32 v4, vcc, 0x2000, v2
	s_nop 1
	v_addc_co_u32_e32 v5, vcc, 0, v3, vcc
	v_add_co_u32_e32 v6, vcc, 0x3000, v2
	s_nop 1
	v_addc_co_u32_e32 v7, vcc, 0, v3, vcc
	flat_load_ushort v16, v[4:5]
	flat_load_ushort v17, v[4:5] offset:1024
	flat_load_ushort v18, v[4:5] offset:2048
	;; [unrolled: 1-line block ×3, first 2 shown]
	flat_load_ushort v20, v[6:7]
	flat_load_ushort v21, v[6:7] offset:1024
	flat_load_ushort v22, v[6:7] offset:2048
	;; [unrolled: 1-line block ×3, first 2 shown]
	v_add_co_u32_e32 v4, vcc, 0x4000, v2
	s_nop 1
	v_addc_co_u32_e32 v5, vcc, 0, v3, vcc
	v_add_co_u32_e32 v6, vcc, 0x5000, v2
	s_nop 1
	v_addc_co_u32_e32 v7, vcc, 0, v3, vcc
	v_add_co_u32_e32 v2, vcc, 0x6000, v2
	flat_load_ushort v24, v[4:5]
	flat_load_ushort v25, v[4:5] offset:1024
	flat_load_ushort v26, v[4:5] offset:2048
	;; [unrolled: 1-line block ×3, first 2 shown]
	flat_load_ushort v28, v[6:7]
	flat_load_ushort v29, v[6:7] offset:1024
	flat_load_ushort v30, v[6:7] offset:2048
	;; [unrolled: 1-line block ×3, first 2 shown]
	v_addc_co_u32_e32 v3, vcc, 0, v3, vcc
	flat_load_ushort v4, v[2:3]
	flat_load_ushort v5, v[2:3] offset:1024
	flat_load_ushort v6, v[2:3] offset:2048
	;; [unrolled: 1-line block ×3, first 2 shown]
	s_waitcnt vmcnt(0) lgkmcnt(0)
	ds_write_b16 v14, v1
	ds_write_b16 v14, v8 offset:1024
	ds_write_b16 v14, v9 offset:2048
	;; [unrolled: 1-line block ×27, first 2 shown]
	s_waitcnt lgkmcnt(0)
	s_barrier
.LBB466_2:
	s_andn2_b64 vcc, exec, s[4:5]
	v_cmp_gt_u32_e64 s[4:5], s33, v0
	s_cbranch_vccnz .LBB466_60
; %bb.3:
                                        ; implicit-def: $vgpr1
	s_and_saveexec_b64 s[12:13], s[4:5]
	s_cbranch_execz .LBB466_5
; %bb.4:
	v_mov_b32_e32 v15, 0
	v_lshl_add_u64 v[2:3], s[10:11], 0, v[14:15]
	flat_load_ushort v1, v[2:3]
.LBB466_5:
	s_or_b64 exec, exec, s[12:13]
	v_or_b32_e32 v2, 0x200, v0
	v_cmp_gt_u32_e32 vcc, s33, v2
                                        ; implicit-def: $vgpr2
	s_and_saveexec_b64 s[4:5], vcc
	s_cbranch_execz .LBB466_7
; %bb.6:
	v_mov_b32_e32 v15, 0
	v_lshl_add_u64 v[2:3], s[10:11], 0, v[14:15]
	flat_load_ushort v2, v[2:3] offset:1024
.LBB466_7:
	s_or_b64 exec, exec, s[4:5]
	v_or_b32_e32 v3, 0x400, v0
	v_cmp_gt_u32_e32 vcc, s33, v3
                                        ; implicit-def: $vgpr3
	s_and_saveexec_b64 s[4:5], vcc
	s_cbranch_execz .LBB466_9
; %bb.8:
	v_mov_b32_e32 v15, 0
	v_lshl_add_u64 v[4:5], s[10:11], 0, v[14:15]
	flat_load_ushort v3, v[4:5] offset:2048
.LBB466_9:
	s_or_b64 exec, exec, s[4:5]
	v_or_b32_e32 v4, 0x600, v0
	v_cmp_gt_u32_e32 vcc, s33, v4
                                        ; implicit-def: $vgpr4
	s_and_saveexec_b64 s[4:5], vcc
	s_cbranch_execz .LBB466_11
; %bb.10:
	v_mov_b32_e32 v15, 0
	v_lshl_add_u64 v[4:5], s[10:11], 0, v[14:15]
	flat_load_ushort v4, v[4:5] offset:3072
.LBB466_11:
	s_or_b64 exec, exec, s[4:5]
	v_or_b32_e32 v6, 0x800, v0
	v_cmp_gt_u32_e32 vcc, s33, v6
                                        ; implicit-def: $vgpr5
	s_and_saveexec_b64 s[4:5], vcc
	s_cbranch_execz .LBB466_13
; %bb.12:
	v_lshlrev_b32_e32 v6, 1, v6
	v_mov_b32_e32 v7, 0
	v_lshl_add_u64 v[6:7], s[10:11], 0, v[6:7]
	flat_load_ushort v5, v[6:7]
.LBB466_13:
	s_or_b64 exec, exec, s[4:5]
	v_or_b32_e32 v7, 0xa00, v0
	v_cmp_gt_u32_e32 vcc, s33, v7
                                        ; implicit-def: $vgpr6
	s_and_saveexec_b64 s[4:5], vcc
	s_cbranch_execz .LBB466_15
; %bb.14:
	v_lshlrev_b32_e32 v6, 1, v7
	v_mov_b32_e32 v7, 0
	v_lshl_add_u64 v[6:7], s[10:11], 0, v[6:7]
	flat_load_ushort v6, v[6:7]
.LBB466_15:
	s_or_b64 exec, exec, s[4:5]
	v_or_b32_e32 v8, 0xc00, v0
	v_cmp_gt_u32_e32 vcc, s33, v8
                                        ; implicit-def: $vgpr7
	s_and_saveexec_b64 s[4:5], vcc
	s_cbranch_execz .LBB466_17
; %bb.16:
	v_lshlrev_b32_e32 v8, 1, v8
	v_mov_b32_e32 v9, 0
	v_lshl_add_u64 v[8:9], s[10:11], 0, v[8:9]
	flat_load_ushort v7, v[8:9]
.LBB466_17:
	s_or_b64 exec, exec, s[4:5]
	v_or_b32_e32 v9, 0xe00, v0
	v_cmp_gt_u32_e32 vcc, s33, v9
                                        ; implicit-def: $vgpr8
	s_and_saveexec_b64 s[4:5], vcc
	s_cbranch_execz .LBB466_19
; %bb.18:
	v_lshlrev_b32_e32 v8, 1, v9
	v_mov_b32_e32 v9, 0
	v_lshl_add_u64 v[8:9], s[10:11], 0, v[8:9]
	flat_load_ushort v8, v[8:9]
.LBB466_19:
	s_or_b64 exec, exec, s[4:5]
	v_or_b32_e32 v10, 0x1000, v0
	v_cmp_gt_u32_e32 vcc, s33, v10
                                        ; implicit-def: $vgpr9
	s_and_saveexec_b64 s[4:5], vcc
	s_cbranch_execz .LBB466_21
; %bb.20:
	v_lshlrev_b32_e32 v10, 1, v10
	v_mov_b32_e32 v11, 0
	v_lshl_add_u64 v[10:11], s[10:11], 0, v[10:11]
	flat_load_ushort v9, v[10:11]
.LBB466_21:
	s_or_b64 exec, exec, s[4:5]
	v_or_b32_e32 v11, 0x1200, v0
	v_cmp_gt_u32_e32 vcc, s33, v11
                                        ; implicit-def: $vgpr10
	s_and_saveexec_b64 s[4:5], vcc
	s_cbranch_execz .LBB466_23
; %bb.22:
	v_lshlrev_b32_e32 v10, 1, v11
	v_mov_b32_e32 v11, 0
	v_lshl_add_u64 v[10:11], s[10:11], 0, v[10:11]
	flat_load_ushort v10, v[10:11]
.LBB466_23:
	s_or_b64 exec, exec, s[4:5]
	v_or_b32_e32 v12, 0x1400, v0
	v_cmp_gt_u32_e32 vcc, s33, v12
                                        ; implicit-def: $vgpr11
	s_and_saveexec_b64 s[4:5], vcc
	s_cbranch_execz .LBB466_25
; %bb.24:
	v_lshlrev_b32_e32 v12, 1, v12
	v_mov_b32_e32 v13, 0
	v_lshl_add_u64 v[12:13], s[10:11], 0, v[12:13]
	flat_load_ushort v11, v[12:13]
.LBB466_25:
	s_or_b64 exec, exec, s[4:5]
	v_or_b32_e32 v13, 0x1600, v0
	v_cmp_gt_u32_e32 vcc, s33, v13
                                        ; implicit-def: $vgpr12
	s_and_saveexec_b64 s[4:5], vcc
	s_cbranch_execz .LBB466_27
; %bb.26:
	v_lshlrev_b32_e32 v12, 1, v13
	v_mov_b32_e32 v13, 0
	v_lshl_add_u64 v[12:13], s[10:11], 0, v[12:13]
	flat_load_ushort v12, v[12:13]
.LBB466_27:
	s_or_b64 exec, exec, s[4:5]
	v_or_b32_e32 v15, 0x1800, v0
	v_cmp_gt_u32_e32 vcc, s33, v15
                                        ; implicit-def: $vgpr13
	s_and_saveexec_b64 s[4:5], vcc
	s_cbranch_execz .LBB466_29
; %bb.28:
	v_lshlrev_b32_e32 v16, 1, v15
	v_mov_b32_e32 v17, 0
	v_lshl_add_u64 v[16:17], s[10:11], 0, v[16:17]
	flat_load_ushort v13, v[16:17]
.LBB466_29:
	s_or_b64 exec, exec, s[4:5]
	v_or_b32_e32 v16, 0x1a00, v0
	v_cmp_gt_u32_e32 vcc, s33, v16
                                        ; implicit-def: $vgpr15
	s_and_saveexec_b64 s[4:5], vcc
	s_cbranch_execz .LBB466_31
; %bb.30:
	v_lshlrev_b32_e32 v16, 1, v16
	v_mov_b32_e32 v17, 0
	v_lshl_add_u64 v[16:17], s[10:11], 0, v[16:17]
	flat_load_ushort v15, v[16:17]
.LBB466_31:
	s_or_b64 exec, exec, s[4:5]
	v_or_b32_e32 v17, 0x1c00, v0
	v_cmp_gt_u32_e32 vcc, s33, v17
                                        ; implicit-def: $vgpr16
	s_and_saveexec_b64 s[4:5], vcc
	s_cbranch_execz .LBB466_33
; %bb.32:
	v_lshlrev_b32_e32 v16, 1, v17
	v_mov_b32_e32 v17, 0
	v_lshl_add_u64 v[16:17], s[10:11], 0, v[16:17]
	flat_load_ushort v16, v[16:17]
.LBB466_33:
	s_or_b64 exec, exec, s[4:5]
	v_or_b32_e32 v18, 0x1e00, v0
	v_cmp_gt_u32_e32 vcc, s33, v18
                                        ; implicit-def: $vgpr17
	s_and_saveexec_b64 s[4:5], vcc
	s_cbranch_execz .LBB466_35
; %bb.34:
	v_lshlrev_b32_e32 v18, 1, v18
	v_mov_b32_e32 v19, 0
	v_lshl_add_u64 v[18:19], s[10:11], 0, v[18:19]
	flat_load_ushort v17, v[18:19]
.LBB466_35:
	s_or_b64 exec, exec, s[4:5]
	v_or_b32_e32 v19, 0x2000, v0
	v_cmp_gt_u32_e32 vcc, s33, v19
                                        ; implicit-def: $vgpr18
	s_and_saveexec_b64 s[4:5], vcc
	s_cbranch_execz .LBB466_37
; %bb.36:
	v_lshlrev_b32_e32 v18, 1, v19
	v_mov_b32_e32 v19, 0
	v_lshl_add_u64 v[18:19], s[10:11], 0, v[18:19]
	flat_load_ushort v18, v[18:19]
.LBB466_37:
	s_or_b64 exec, exec, s[4:5]
	v_or_b32_e32 v20, 0x2200, v0
	v_cmp_gt_u32_e32 vcc, s33, v20
                                        ; implicit-def: $vgpr19
	s_and_saveexec_b64 s[4:5], vcc
	s_cbranch_execz .LBB466_39
; %bb.38:
	v_lshlrev_b32_e32 v20, 1, v20
	v_mov_b32_e32 v21, 0
	v_lshl_add_u64 v[20:21], s[10:11], 0, v[20:21]
	flat_load_ushort v19, v[20:21]
.LBB466_39:
	s_or_b64 exec, exec, s[4:5]
	v_or_b32_e32 v21, 0x2400, v0
	v_cmp_gt_u32_e32 vcc, s33, v21
                                        ; implicit-def: $vgpr20
	s_and_saveexec_b64 s[4:5], vcc
	s_cbranch_execz .LBB466_41
; %bb.40:
	v_lshlrev_b32_e32 v20, 1, v21
	v_mov_b32_e32 v21, 0
	v_lshl_add_u64 v[20:21], s[10:11], 0, v[20:21]
	flat_load_ushort v20, v[20:21]
.LBB466_41:
	s_or_b64 exec, exec, s[4:5]
	v_or_b32_e32 v22, 0x2600, v0
	v_cmp_gt_u32_e32 vcc, s33, v22
                                        ; implicit-def: $vgpr21
	s_and_saveexec_b64 s[4:5], vcc
	s_cbranch_execz .LBB466_43
; %bb.42:
	v_lshlrev_b32_e32 v22, 1, v22
	v_mov_b32_e32 v23, 0
	v_lshl_add_u64 v[22:23], s[10:11], 0, v[22:23]
	flat_load_ushort v21, v[22:23]
.LBB466_43:
	s_or_b64 exec, exec, s[4:5]
	v_or_b32_e32 v23, 0x2800, v0
	v_cmp_gt_u32_e32 vcc, s33, v23
                                        ; implicit-def: $vgpr22
	s_and_saveexec_b64 s[4:5], vcc
	s_cbranch_execz .LBB466_45
; %bb.44:
	v_lshlrev_b32_e32 v22, 1, v23
	v_mov_b32_e32 v23, 0
	v_lshl_add_u64 v[22:23], s[10:11], 0, v[22:23]
	flat_load_ushort v22, v[22:23]
.LBB466_45:
	s_or_b64 exec, exec, s[4:5]
	v_or_b32_e32 v24, 0x2a00, v0
	v_cmp_gt_u32_e32 vcc, s33, v24
                                        ; implicit-def: $vgpr23
	s_and_saveexec_b64 s[4:5], vcc
	s_cbranch_execz .LBB466_47
; %bb.46:
	v_lshlrev_b32_e32 v24, 1, v24
	v_mov_b32_e32 v25, 0
	v_lshl_add_u64 v[24:25], s[10:11], 0, v[24:25]
	flat_load_ushort v23, v[24:25]
.LBB466_47:
	s_or_b64 exec, exec, s[4:5]
	v_or_b32_e32 v25, 0x2c00, v0
	v_cmp_gt_u32_e32 vcc, s33, v25
                                        ; implicit-def: $vgpr24
	s_and_saveexec_b64 s[4:5], vcc
	s_cbranch_execz .LBB466_49
; %bb.48:
	v_lshlrev_b32_e32 v24, 1, v25
	v_mov_b32_e32 v25, 0
	v_lshl_add_u64 v[24:25], s[10:11], 0, v[24:25]
	flat_load_ushort v24, v[24:25]
.LBB466_49:
	s_or_b64 exec, exec, s[4:5]
	v_or_b32_e32 v26, 0x2e00, v0
	v_cmp_gt_u32_e32 vcc, s33, v26
                                        ; implicit-def: $vgpr25
	s_and_saveexec_b64 s[4:5], vcc
	s_cbranch_execz .LBB466_51
; %bb.50:
	v_lshlrev_b32_e32 v26, 1, v26
	v_mov_b32_e32 v27, 0
	v_lshl_add_u64 v[26:27], s[10:11], 0, v[26:27]
	flat_load_ushort v25, v[26:27]
.LBB466_51:
	s_or_b64 exec, exec, s[4:5]
	v_or_b32_e32 v27, 0x3000, v0
	v_cmp_gt_u32_e32 vcc, s33, v27
                                        ; implicit-def: $vgpr26
	s_and_saveexec_b64 s[4:5], vcc
	s_cbranch_execz .LBB466_53
; %bb.52:
	v_lshlrev_b32_e32 v26, 1, v27
	v_mov_b32_e32 v27, 0
	v_lshl_add_u64 v[26:27], s[10:11], 0, v[26:27]
	flat_load_ushort v26, v[26:27]
.LBB466_53:
	s_or_b64 exec, exec, s[4:5]
	v_or_b32_e32 v28, 0x3200, v0
	v_cmp_gt_u32_e32 vcc, s33, v28
                                        ; implicit-def: $vgpr27
	s_and_saveexec_b64 s[4:5], vcc
	s_cbranch_execz .LBB466_55
; %bb.54:
	v_lshlrev_b32_e32 v28, 1, v28
	v_mov_b32_e32 v29, 0
	v_lshl_add_u64 v[28:29], s[10:11], 0, v[28:29]
	flat_load_ushort v27, v[28:29]
.LBB466_55:
	s_or_b64 exec, exec, s[4:5]
	v_or_b32_e32 v29, 0x3400, v0
	v_cmp_gt_u32_e32 vcc, s33, v29
                                        ; implicit-def: $vgpr28
	s_and_saveexec_b64 s[4:5], vcc
	s_cbranch_execz .LBB466_57
; %bb.56:
	v_lshlrev_b32_e32 v28, 1, v29
	v_mov_b32_e32 v29, 0
	v_lshl_add_u64 v[28:29], s[10:11], 0, v[28:29]
	flat_load_ushort v28, v[28:29]
.LBB466_57:
	s_or_b64 exec, exec, s[4:5]
	v_or_b32_e32 v30, 0x3600, v0
	v_cmp_gt_u32_e32 vcc, s33, v30
                                        ; implicit-def: $vgpr29
	s_and_saveexec_b64 s[4:5], vcc
	s_cbranch_execz .LBB466_59
; %bb.58:
	v_lshlrev_b32_e32 v30, 1, v30
	v_mov_b32_e32 v31, 0
	v_lshl_add_u64 v[30:31], s[10:11], 0, v[30:31]
	flat_load_ushort v29, v[30:31]
.LBB466_59:
	s_or_b64 exec, exec, s[4:5]
	s_waitcnt vmcnt(0) lgkmcnt(0)
	ds_write_b16 v14, v1
	ds_write_b16 v14, v2 offset:1024
	ds_write_b16 v14, v3 offset:2048
	;; [unrolled: 1-line block ×27, first 2 shown]
	s_waitcnt lgkmcnt(0)
	s_barrier
.LBB466_60:
	v_mul_u32_u24_e32 v1, 28, v0
	v_lshlrev_b32_e32 v6, 1, v1
	s_waitcnt lgkmcnt(0)
	ds_read_b64 v[16:17], v6 offset:48
	ds_read2_b64 v[2:5], v6 offset0:4 offset1:5
	ds_read2_b64 v[10:13], v6 offset1:1
	ds_read2_b64 v[6:9], v6 offset0:2 offset1:3
	s_add_u32 s3, s6, s8
	s_addc_u32 s5, s7, s9
	s_add_u32 s4, s3, s30
	s_addc_u32 s5, s5, s31
	s_mov_b64 s[6:7], -1
	s_and_b64 vcc, exec, s[24:25]
	s_waitcnt lgkmcnt(0)
	s_barrier
	s_cbranch_vccz .LBB466_62
; %bb.61:
	v_mov_b32_e32 v15, 0
	v_lshl_add_u64 v[18:19], s[4:5], 0, v[14:15]
	s_movk_i32 s3, 0x1000
	v_add_co_u32_e32 v20, vcc, s3, v18
	s_movk_i32 s3, 0x2000
	s_nop 0
	v_addc_co_u32_e32 v21, vcc, 0, v19, vcc
	v_add_co_u32_e32 v22, vcc, s3, v18
	s_movk_i32 s6, 0x4000
	s_nop 0
	v_addc_co_u32_e32 v23, vcc, 0, v19, vcc
	global_load_ubyte v15, v14, s[4:5]
	global_load_ubyte v24, v14, s[4:5] offset:1024
	global_load_ubyte v25, v14, s[4:5] offset:2048
	;; [unrolled: 1-line block ×3, first 2 shown]
	global_load_ubyte v27, v[20:21], off offset:1024
	global_load_ubyte v28, v[20:21], off offset:2048
	;; [unrolled: 1-line block ×3, first 2 shown]
	global_load_ubyte v30, v[22:23], off offset:-4096
	global_load_ubyte v31, v[22:23], off
	global_load_ubyte v32, v[22:23], off offset:1024
	v_add_co_u32_e32 v20, vcc, s6, v18
	s_movk_i32 s3, 0x3000
	s_nop 0
	v_addc_co_u32_e32 v21, vcc, 0, v19, vcc
	global_load_ubyte v33, v[22:23], off offset:2048
	global_load_ubyte v34, v[22:23], off offset:3072
	global_load_ubyte v35, v[20:21], off offset:-4096
	v_add_co_u32_e32 v22, vcc, s3, v18
	s_movk_i32 s6, 0x6000
	s_nop 0
	v_addc_co_u32_e32 v23, vcc, 0, v19, vcc
	global_load_ubyte v36, v[22:23], off offset:1024
	global_load_ubyte v37, v[22:23], off offset:2048
	;; [unrolled: 1-line block ×3, first 2 shown]
	global_load_ubyte v39, v[20:21], off
	v_add_co_u32_e32 v22, vcc, s6, v18
	s_movk_i32 s3, 0x5000
	s_nop 0
	v_addc_co_u32_e32 v23, vcc, 0, v19, vcc
	v_add_co_u32_e32 v18, vcc, s3, v18
	global_load_ubyte v40, v[20:21], off offset:1024
	global_load_ubyte v41, v[20:21], off offset:2048
	global_load_ubyte v42, v[20:21], off offset:3072
	global_load_ubyte v43, v[22:23], off offset:-4096
	v_addc_co_u32_e32 v19, vcc, 0, v19, vcc
	global_load_ubyte v20, v[18:19], off offset:1024
	global_load_ubyte v21, v[18:19], off offset:2048
	;; [unrolled: 1-line block ×3, first 2 shown]
	global_load_ubyte v45, v[22:23], off
	global_load_ubyte v46, v[22:23], off offset:1024
	global_load_ubyte v47, v[22:23], off offset:2048
	;; [unrolled: 1-line block ×3, first 2 shown]
	s_mov_b64 s[6:7], 0
	s_waitcnt vmcnt(23)
	v_xor_b32_e32 v23, -1, v27
	v_xor_b32_e32 v15, -1, v15
	;; [unrolled: 1-line block ×5, first 2 shown]
	v_and_b32_e32 v15, 1, v15
	s_waitcnt vmcnt(22)
	v_xor_b32_e32 v24, -1, v28
	s_waitcnt vmcnt(21)
	v_xor_b32_e32 v25, -1, v29
	;; [unrolled: 2-line block ×12, first 2 shown]
	v_and_b32_e32 v18, 1, v18
	v_and_b32_e32 v19, 1, v19
	;; [unrolled: 1-line block ×4, first 2 shown]
	s_waitcnt vmcnt(10)
	v_xor_b32_e32 v36, -1, v40
	s_waitcnt vmcnt(9)
	v_xor_b32_e32 v37, -1, v41
	;; [unrolled: 2-line block ×11, first 2 shown]
	v_and_b32_e32 v24, 1, v24
	v_and_b32_e32 v25, 1, v25
	;; [unrolled: 1-line block ×23, first 2 shown]
	ds_write_b8 v0, v15
	ds_write_b8 v0, v18 offset:512
	ds_write_b8 v0, v19 offset:1024
	;; [unrolled: 1-line block ×27, first 2 shown]
	s_waitcnt lgkmcnt(0)
	s_barrier
.LBB466_62:
	s_load_dwordx2 s[34:35], s[0:1], 0x70
	s_andn2_b64 vcc, exec, s[6:7]
	s_cbranch_vccnz .LBB466_120
; %bb.63:
	v_cmp_gt_u32_e32 vcc, s33, v0
	v_mov_b32_e32 v15, 0
	v_mov_b32_e32 v18, 0
	s_and_saveexec_b64 s[6:7], vcc
	s_cbranch_execz .LBB466_65
; %bb.64:
	global_load_ubyte v18, v14, s[4:5]
	s_waitcnt vmcnt(0)
	v_xor_b32_e32 v18, -1, v18
	v_and_b32_e32 v18, 1, v18
.LBB466_65:
	s_or_b64 exec, exec, s[6:7]
	v_or_b32_e32 v19, 0x200, v0
	v_cmp_gt_u32_e32 vcc, s33, v19
	s_and_saveexec_b64 s[6:7], vcc
	s_cbranch_execz .LBB466_67
; %bb.66:
	global_load_ubyte v15, v14, s[4:5] offset:1024
	s_waitcnt vmcnt(0)
	v_xor_b32_e32 v15, -1, v15
	v_and_b32_e32 v15, 1, v15
.LBB466_67:
	s_or_b64 exec, exec, s[6:7]
	v_or_b32_e32 v19, 0x400, v0
	v_cmp_gt_u32_e32 vcc, s33, v19
	v_mov_b32_e32 v19, 0
	v_mov_b32_e32 v20, 0
	s_and_saveexec_b64 s[6:7], vcc
	s_cbranch_execz .LBB466_69
; %bb.68:
	global_load_ubyte v20, v14, s[4:5] offset:2048
	s_waitcnt vmcnt(0)
	v_xor_b32_e32 v20, -1, v20
	v_and_b32_e32 v20, 1, v20
.LBB466_69:
	s_or_b64 exec, exec, s[6:7]
	v_or_b32_e32 v21, 0x600, v0
	v_cmp_gt_u32_e32 vcc, s33, v21
	s_and_saveexec_b64 s[6:7], vcc
	s_cbranch_execz .LBB466_71
; %bb.70:
	global_load_ubyte v19, v14, s[4:5] offset:3072
	s_waitcnt vmcnt(0)
	v_xor_b32_e32 v19, -1, v19
	v_and_b32_e32 v19, 1, v19
.LBB466_71:
	s_or_b64 exec, exec, s[6:7]
	v_or_b32_e32 v23, 0x800, v0
	v_cmp_gt_u32_e32 vcc, s33, v23
	v_mov_b32_e32 v21, 0
	v_mov_b32_e32 v22, 0
	s_and_saveexec_b64 s[6:7], vcc
	s_cbranch_execz .LBB466_73
; %bb.72:
	v_lshlrev_b32_e32 v22, 1, v23
	global_load_ubyte v22, v22, s[4:5]
	s_waitcnt vmcnt(0)
	v_xor_b32_e32 v22, -1, v22
	v_and_b32_e32 v22, 1, v22
.LBB466_73:
	s_or_b64 exec, exec, s[6:7]
	v_or_b32_e32 v23, 0xa00, v0
	v_cmp_gt_u32_e32 vcc, s33, v23
	s_and_saveexec_b64 s[6:7], vcc
	s_cbranch_execz .LBB466_75
; %bb.74:
	v_lshlrev_b32_e32 v21, 1, v23
	global_load_ubyte v21, v21, s[4:5]
	s_waitcnt vmcnt(0)
	v_xor_b32_e32 v21, -1, v21
	v_and_b32_e32 v21, 1, v21
.LBB466_75:
	s_or_b64 exec, exec, s[6:7]
	v_or_b32_e32 v25, 0xc00, v0
	v_cmp_gt_u32_e32 vcc, s33, v25
	v_mov_b32_e32 v23, 0
	v_mov_b32_e32 v24, 0
	s_and_saveexec_b64 s[6:7], vcc
	s_cbranch_execz .LBB466_77
; %bb.76:
	v_lshlrev_b32_e32 v24, 1, v25
	global_load_ubyte v24, v24, s[4:5]
	s_waitcnt vmcnt(0)
	v_xor_b32_e32 v24, -1, v24
	v_and_b32_e32 v24, 1, v24
.LBB466_77:
	s_or_b64 exec, exec, s[6:7]
	v_or_b32_e32 v25, 0xe00, v0
	v_cmp_gt_u32_e32 vcc, s33, v25
	s_and_saveexec_b64 s[6:7], vcc
	s_cbranch_execz .LBB466_79
; %bb.78:
	v_lshlrev_b32_e32 v23, 1, v25
	global_load_ubyte v23, v23, s[4:5]
	s_waitcnt vmcnt(0)
	v_xor_b32_e32 v23, -1, v23
	v_and_b32_e32 v23, 1, v23
.LBB466_79:
	;; [unrolled: 26-line block ×12, first 2 shown]
	s_or_b64 exec, exec, s[6:7]
	ds_write_b8 v0, v18
	ds_write_b8 v0, v15 offset:512
	ds_write_b8 v0, v20 offset:1024
	;; [unrolled: 1-line block ×27, first 2 shown]
	s_waitcnt lgkmcnt(0)
	s_barrier
.LBB466_120:
	s_waitcnt lgkmcnt(0)
	ds_read2_b32 v[24:25], v1 offset1:1
	ds_read2_b32 v[22:23], v1 offset0:2 offset1:3
	ds_read2_b32 v[20:21], v1 offset0:4 offset1:5
	ds_read_b32 v34, v1 offset:24
	s_cmp_lg_u32 s2, 0
	v_lshrrev_b32_e32 v61, 6, v0
	s_waitcnt lgkmcnt(2)
	v_and_b32_e32 v53, 0xff, v22
	v_lshrrev_b32_e32 v41, 24, v24
	v_bfe_u32 v59, v24, 16, 8
	v_add_u32_sdwa v18, v24, v24 dst_sel:DWORD dst_unused:UNUSED_PAD src0_sel:BYTE_1 src1_sel:BYTE_0
	v_and_b32_e32 v56, 0xff, v25
	v_bfe_u32 v57, v25, 8, 8
	v_add3_u32 v18, v18, v59, v41
	v_lshrrev_b32_e32 v40, 24, v25
	v_bfe_u32 v58, v25, 16, 8
	v_add3_u32 v18, v18, v56, v57
	v_bfe_u32 v54, v22, 8, 8
	v_add3_u32 v18, v18, v58, v40
	v_lshrrev_b32_e32 v39, 24, v22
	v_bfe_u32 v55, v22, 16, 8
	v_add3_u32 v18, v18, v53, v54
	v_and_b32_e32 v50, 0xff, v23
	v_bfe_u32 v51, v23, 8, 8
	v_add3_u32 v18, v18, v55, v39
	v_lshrrev_b32_e32 v38, 24, v23
	v_bfe_u32 v52, v23, 16, 8
	v_add3_u32 v18, v18, v50, v51
	s_waitcnt lgkmcnt(1)
	v_and_b32_e32 v47, 0xff, v20
	v_bfe_u32 v48, v20, 8, 8
	v_add3_u32 v18, v18, v52, v38
	v_lshrrev_b32_e32 v37, 24, v20
	v_bfe_u32 v49, v20, 16, 8
	v_add3_u32 v18, v18, v47, v48
	v_and_b32_e32 v44, 0xff, v21
	v_bfe_u32 v45, v21, 8, 8
	v_add3_u32 v18, v18, v49, v37
	v_lshrrev_b32_e32 v36, 24, v21
	v_bfe_u32 v46, v21, 16, 8
	v_add3_u32 v18, v18, v44, v45
	s_waitcnt lgkmcnt(0)
	v_and_b32_e32 v42, 0xff, v34
	v_bfe_u32 v43, v34, 8, 8
	v_add3_u32 v18, v18, v46, v36
	v_lshrrev_b32_e32 v15, 24, v34
	v_bfe_u32 v35, v34, 16, 8
	v_add3_u32 v18, v18, v42, v43
	v_add3_u32 v62, v18, v35, v15
	v_mbcnt_lo_u32_b32 v18, -1, 0
	v_mbcnt_hi_u32_b32 v60, -1, v18
	v_and_b32_e32 v18, 15, v60
	v_cmp_eq_u32_e64 s[14:15], 0, v18
	v_cmp_lt_u32_e64 s[12:13], 1, v18
	v_cmp_lt_u32_e64 s[10:11], 3, v18
	;; [unrolled: 1-line block ×3, first 2 shown]
	v_and_b32_e32 v18, 16, v60
	v_cmp_eq_u32_e64 s[6:7], 0, v18
	v_or_b32_e32 v18, 63, v0
	v_cmp_lt_u32_e64 s[18:19], 31, v60
	v_cmp_eq_u32_e64 s[4:5], v18, v0
	s_barrier
	s_cbranch_scc0 .LBB466_151
; %bb.121:
	v_mov_b32_dpp v18, v62 row_shr:1 row_mask:0xf bank_mask:0xf
	v_cndmask_b32_e64 v18, v18, 0, s[14:15]
	v_add_u32_e32 v18, v18, v62
	s_nop 1
	v_mov_b32_dpp v19, v18 row_shr:2 row_mask:0xf bank_mask:0xf
	v_cndmask_b32_e64 v19, 0, v19, s[12:13]
	v_add_u32_e32 v18, v18, v19
	s_nop 1
	;; [unrolled: 4-line block ×4, first 2 shown]
	v_mov_b32_dpp v19, v18 row_bcast:15 row_mask:0xf bank_mask:0xf
	v_cndmask_b32_e64 v19, v19, 0, s[6:7]
	v_add_u32_e32 v18, v18, v19
	s_nop 1
	v_mov_b32_dpp v19, v18 row_bcast:31 row_mask:0xf bank_mask:0xf
	v_cndmask_b32_e64 v19, 0, v19, s[18:19]
	v_add_u32_e32 v18, v18, v19
	s_and_saveexec_b64 s[16:17], s[4:5]
	s_cbranch_execz .LBB466_123
; %bb.122:
	v_lshlrev_b32_e32 v19, 2, v61
	ds_write_b32 v19, v18
.LBB466_123:
	s_or_b64 exec, exec, s[16:17]
	v_cmp_gt_u32_e32 vcc, 8, v0
	s_waitcnt lgkmcnt(0)
	s_barrier
	s_and_saveexec_b64 s[16:17], vcc
	s_cbranch_execz .LBB466_125
; %bb.124:
	v_lshlrev_b32_e32 v19, 2, v0
	ds_read_b32 v26, v19
	v_and_b32_e32 v27, 7, v60
	v_cmp_ne_u32_e32 vcc, 0, v27
	s_waitcnt lgkmcnt(0)
	v_mov_b32_dpp v28, v26 row_shr:1 row_mask:0xf bank_mask:0xf
	v_cndmask_b32_e32 v28, 0, v28, vcc
	v_add_u32_e32 v26, v28, v26
	v_cmp_lt_u32_e32 vcc, 1, v27
	s_nop 0
	v_mov_b32_dpp v28, v26 row_shr:2 row_mask:0xf bank_mask:0xf
	v_cndmask_b32_e32 v28, 0, v28, vcc
	v_add_u32_e32 v26, v26, v28
	v_cmp_lt_u32_e32 vcc, 3, v27
	s_nop 0
	v_mov_b32_dpp v28, v26 row_shr:4 row_mask:0xf bank_mask:0xf
	v_cndmask_b32_e32 v27, 0, v28, vcc
	v_add_u32_e32 v26, v26, v27
	ds_write_b32 v19, v26
.LBB466_125:
	s_or_b64 exec, exec, s[16:17]
	v_cmp_gt_u32_e32 vcc, 64, v0
	v_cmp_lt_u32_e64 s[16:17], 63, v0
	s_waitcnt lgkmcnt(0)
	s_barrier
	s_waitcnt lgkmcnt(0)
                                        ; implicit-def: $vgpr63
	s_and_saveexec_b64 s[36:37], s[16:17]
	s_cbranch_execz .LBB466_127
; %bb.126:
	v_lshl_add_u32 v19, v61, 2, -4
	ds_read_b32 v63, v19
	s_waitcnt lgkmcnt(0)
	v_add_u32_e32 v18, v63, v18
.LBB466_127:
	s_or_b64 exec, exec, s[36:37]
	v_add_u32_e32 v19, -1, v60
	v_and_b32_e32 v26, 64, v60
	v_cmp_lt_i32_e64 s[16:17], v19, v26
	s_nop 1
	v_cndmask_b32_e64 v19, v19, v60, s[16:17]
	v_lshlrev_b32_e32 v19, 2, v19
	ds_bpermute_b32 v64, v19, v18
	v_cmp_eq_u32_e64 s[16:17], 0, v60
	s_and_saveexec_b64 s[36:37], vcc
	s_cbranch_execz .LBB466_150
; %bb.128:
	v_mov_b32_e32 v33, 0
	ds_read_b32 v18, v33 offset:28
	s_and_saveexec_b64 s[38:39], s[16:17]
	s_cbranch_execz .LBB466_130
; %bb.129:
	s_add_i32 s40, s2, 64
	s_mov_b32 s41, 0
	s_lshl_b64 s[40:41], s[40:41], 3
	s_add_u32 s40, s34, s40
	v_mov_b32_e32 v19, 1
	s_addc_u32 s41, s35, s41
	s_waitcnt lgkmcnt(0)
	global_store_dwordx2 v33, v[18:19], s[40:41] sc1
.LBB466_130:
	s_or_b64 exec, exec, s[38:39]
	v_xad_u32 v26, v60, -1, s2
	v_add_u32_e32 v32, 64, v26
	v_lshl_add_u64 v[28:29], v[32:33], 3, s[34:35]
	global_load_dwordx2 v[30:31], v[28:29], off sc1
	s_waitcnt vmcnt(0)
	v_cmp_eq_u16_sdwa s[40:41], v31, v33 src0_sel:BYTE_0 src1_sel:DWORD
	s_and_saveexec_b64 s[38:39], s[40:41]
	s_cbranch_execz .LBB466_136
; %bb.131:
	s_mov_b32 s3, 1
	s_mov_b64 s[40:41], 0
	v_mov_b32_e32 v19, 0
.LBB466_132:                            ; =>This Loop Header: Depth=1
                                        ;     Child Loop BB466_133 Depth 2
	s_max_u32 s42, s3, 1
.LBB466_133:                            ;   Parent Loop BB466_132 Depth=1
                                        ; =>  This Inner Loop Header: Depth=2
	s_add_i32 s42, s42, -1
	s_cmp_eq_u32 s42, 0
	s_sleep 1
	s_cbranch_scc0 .LBB466_133
; %bb.134:                              ;   in Loop: Header=BB466_132 Depth=1
	global_load_dwordx2 v[30:31], v[28:29], off sc1
	s_cmp_lt_u32 s3, 32
	s_cselect_b64 s[42:43], -1, 0
	s_cmp_lg_u64 s[42:43], 0
	s_addc_u32 s3, s3, 0
	s_waitcnt vmcnt(0)
	v_cmp_ne_u16_sdwa s[42:43], v31, v19 src0_sel:BYTE_0 src1_sel:DWORD
	s_or_b64 s[40:41], s[42:43], s[40:41]
	s_andn2_b64 exec, exec, s[40:41]
	s_cbranch_execnz .LBB466_132
; %bb.135:
	s_or_b64 exec, exec, s[40:41]
.LBB466_136:
	s_or_b64 exec, exec, s[38:39]
	v_and_b32_e32 v66, 63, v60
	v_mov_b32_e32 v65, 2
	v_cmp_ne_u32_e32 vcc, 63, v66
	v_cmp_eq_u16_sdwa s[38:39], v31, v65 src0_sel:BYTE_0 src1_sel:DWORD
	v_lshlrev_b64 v[28:29], v60, -1
	v_addc_co_u32_e32 v32, vcc, 0, v60, vcc
	v_and_b32_e32 v19, s39, v29
	v_lshlrev_b32_e32 v67, 2, v32
	v_or_b32_e32 v19, 0x80000000, v19
	ds_bpermute_b32 v32, v67, v30
	v_and_b32_e32 v27, s38, v28
	v_ffbl_b32_e32 v19, v19
	v_add_u32_e32 v19, 32, v19
	v_ffbl_b32_e32 v27, v27
	v_min_u32_e32 v19, v27, v19
	v_cmp_lt_u32_e32 vcc, v66, v19
	v_add_u32_e32 v69, 2, v66
	v_add_u32_e32 v71, 4, v66
	s_waitcnt lgkmcnt(0)
	v_cndmask_b32_e32 v27, 0, v32, vcc
	v_cmp_gt_u32_e32 vcc, 62, v66
	v_add_u32_e32 v27, v27, v30
	v_add_u32_e32 v73, 8, v66
	v_cndmask_b32_e64 v30, 0, 1, vcc
	v_lshlrev_b32_e32 v30, 1, v30
	v_add_lshl_u32 v68, v30, v60, 2
	ds_bpermute_b32 v30, v68, v27
	v_cmp_le_u32_e32 vcc, v69, v19
	v_add_u32_e32 v75, 16, v66
	v_add_u32_e32 v77, 32, v66
	s_waitcnt lgkmcnt(0)
	v_cndmask_b32_e32 v30, 0, v30, vcc
	v_cmp_gt_u32_e32 vcc, 60, v66
	v_add_u32_e32 v27, v27, v30
	s_nop 0
	v_cndmask_b32_e64 v30, 0, 1, vcc
	v_lshlrev_b32_e32 v30, 2, v30
	v_add_lshl_u32 v70, v30, v60, 2
	ds_bpermute_b32 v30, v70, v27
	v_cmp_le_u32_e32 vcc, v71, v19
	s_waitcnt lgkmcnt(0)
	s_nop 0
	v_cndmask_b32_e32 v30, 0, v30, vcc
	v_cmp_gt_u32_e32 vcc, 56, v66
	v_add_u32_e32 v27, v27, v30
	s_nop 0
	v_cndmask_b32_e64 v30, 0, 1, vcc
	v_lshlrev_b32_e32 v30, 3, v30
	v_add_lshl_u32 v72, v30, v60, 2
	ds_bpermute_b32 v30, v72, v27
	v_cmp_le_u32_e32 vcc, v73, v19
	s_waitcnt lgkmcnt(0)
	s_nop 0
	;; [unrolled: 11-line block ×4, first 2 shown]
	v_cndmask_b32_e32 v19, 0, v30, vcc
	v_add_u32_e32 v30, v27, v19
	v_mov_b32_e32 v27, 0
	s_branch .LBB466_138
.LBB466_137:                            ;   in Loop: Header=BB466_138 Depth=1
	s_or_b64 exec, exec, s[38:39]
	v_cmp_eq_u16_sdwa s[38:39], v31, v65 src0_sel:BYTE_0 src1_sel:DWORD
	ds_bpermute_b32 v78, v67, v30
	v_subrev_u32_e32 v26, 64, v26
	v_and_b32_e32 v32, s39, v29
	v_or_b32_e32 v32, 0x80000000, v32
	v_and_b32_e32 v33, s38, v28
	v_ffbl_b32_e32 v32, v32
	v_add_u32_e32 v32, 32, v32
	v_ffbl_b32_e32 v33, v33
	v_min_u32_e32 v32, v33, v32
	v_cmp_lt_u32_e32 vcc, v66, v32
	s_waitcnt lgkmcnt(0)
	s_nop 0
	v_cndmask_b32_e32 v33, 0, v78, vcc
	v_add_u32_e32 v30, v33, v30
	ds_bpermute_b32 v33, v68, v30
	v_cmp_le_u32_e32 vcc, v69, v32
	s_waitcnt lgkmcnt(0)
	s_nop 0
	v_cndmask_b32_e32 v33, 0, v33, vcc
	v_add_u32_e32 v30, v30, v33
	ds_bpermute_b32 v33, v70, v30
	v_cmp_le_u32_e32 vcc, v71, v32
	;; [unrolled: 6-line block ×5, first 2 shown]
	s_waitcnt lgkmcnt(0)
	s_nop 0
	v_cndmask_b32_e32 v32, 0, v33, vcc
	v_add3_u32 v30, v32, v19, v30
.LBB466_138:                            ; =>This Loop Header: Depth=1
                                        ;     Child Loop BB466_141 Depth 2
                                        ;       Child Loop BB466_142 Depth 3
	v_cmp_ne_u16_sdwa s[38:39], v31, v65 src0_sel:BYTE_0 src1_sel:DWORD
	s_nop 1
	v_cndmask_b32_e64 v19, 0, 1, s[38:39]
	;;#ASMSTART
	;;#ASMEND
	s_nop 0
	v_cmp_ne_u32_e32 vcc, 0, v19
	s_cmp_lg_u64 vcc, exec
	v_mov_b32_e32 v19, v30
	s_cbranch_scc1 .LBB466_145
; %bb.139:                              ;   in Loop: Header=BB466_138 Depth=1
	v_lshl_add_u64 v[32:33], v[26:27], 3, s[34:35]
	global_load_dwordx2 v[30:31], v[32:33], off sc1
	s_waitcnt vmcnt(0)
	v_cmp_eq_u16_sdwa s[40:41], v31, v27 src0_sel:BYTE_0 src1_sel:DWORD
	s_and_saveexec_b64 s[38:39], s[40:41]
	s_cbranch_execz .LBB466_137
; %bb.140:                              ;   in Loop: Header=BB466_138 Depth=1
	s_mov_b32 s3, 1
	s_mov_b64 s[40:41], 0
.LBB466_141:                            ;   Parent Loop BB466_138 Depth=1
                                        ; =>  This Loop Header: Depth=2
                                        ;       Child Loop BB466_142 Depth 3
	s_max_u32 s42, s3, 1
.LBB466_142:                            ;   Parent Loop BB466_138 Depth=1
                                        ;     Parent Loop BB466_141 Depth=2
                                        ; =>    This Inner Loop Header: Depth=3
	s_add_i32 s42, s42, -1
	s_cmp_eq_u32 s42, 0
	s_sleep 1
	s_cbranch_scc0 .LBB466_142
; %bb.143:                              ;   in Loop: Header=BB466_141 Depth=2
	global_load_dwordx2 v[30:31], v[32:33], off sc1
	s_cmp_lt_u32 s3, 32
	s_cselect_b64 s[42:43], -1, 0
	s_cmp_lg_u64 s[42:43], 0
	s_addc_u32 s3, s3, 0
	s_waitcnt vmcnt(0)
	v_cmp_ne_u16_sdwa s[42:43], v31, v27 src0_sel:BYTE_0 src1_sel:DWORD
	s_or_b64 s[40:41], s[42:43], s[40:41]
	s_andn2_b64 exec, exec, s[40:41]
	s_cbranch_execnz .LBB466_141
; %bb.144:                              ;   in Loop: Header=BB466_138 Depth=1
	s_or_b64 exec, exec, s[40:41]
	s_branch .LBB466_137
.LBB466_145:                            ;   in Loop: Header=BB466_138 Depth=1
                                        ; implicit-def: $vgpr30
                                        ; implicit-def: $vgpr31
	s_cbranch_execz .LBB466_138
; %bb.146:
	s_and_saveexec_b64 s[38:39], s[16:17]
	s_cbranch_execz .LBB466_148
; %bb.147:
	s_add_i32 s2, s2, 64
	s_mov_b32 s3, 0
	s_lshl_b64 s[2:3], s[2:3], 3
	s_add_u32 s2, s34, s2
	v_add_u32_e32 v26, v19, v18
	v_mov_b32_e32 v27, 2
	s_addc_u32 s3, s35, s3
	v_mov_b32_e32 v28, 0
	global_store_dwordx2 v28, v[26:27], s[2:3] sc1
	ds_write_b64 v28, v[18:19] offset:28672
.LBB466_148:
	s_or_b64 exec, exec, s[38:39]
	v_cmp_eq_u32_e32 vcc, 0, v0
	s_and_b64 exec, exec, vcc
	s_cbranch_execz .LBB466_150
; %bb.149:
	v_mov_b32_e32 v18, 0
	ds_write_b32 v18, v19 offset:28
.LBB466_150:
	s_or_b64 exec, exec, s[36:37]
	v_mov_b32_e32 v18, 0
	s_waitcnt lgkmcnt(0)
	s_barrier
	ds_read_b32 v27, v18 offset:28
	s_waitcnt lgkmcnt(0)
	s_barrier
	ds_read_b64 v[18:19], v18 offset:28672
	v_cndmask_b32_e64 v26, v64, v63, s[16:17]
	v_cmp_ne_u32_e32 vcc, 0, v0
	s_nop 1
	v_cndmask_b32_e32 v26, 0, v26, vcc
	v_add_u32_e32 v32, v27, v26
	s_waitcnt lgkmcnt(0)
	v_mov_b32_e32 v26, v19
	s_branch .LBB466_161
.LBB466_151:
                                        ; implicit-def: $vgpr26
                                        ; implicit-def: $vgpr18
                                        ; implicit-def: $vgpr32
	s_cbranch_execz .LBB466_161
; %bb.152:
	s_nop 0
	v_mov_b32_dpp v18, v62 row_shr:1 row_mask:0xf bank_mask:0xf
	v_cndmask_b32_e64 v18, v18, 0, s[14:15]
	v_add_u32_e32 v18, v18, v62
	s_nop 1
	v_mov_b32_dpp v19, v18 row_shr:2 row_mask:0xf bank_mask:0xf
	v_cndmask_b32_e64 v19, 0, v19, s[12:13]
	v_add_u32_e32 v18, v18, v19
	;; [unrolled: 4-line block ×4, first 2 shown]
	s_nop 1
	v_mov_b32_dpp v19, v18 row_bcast:15 row_mask:0xf bank_mask:0xf
	v_cndmask_b32_e64 v19, v19, 0, s[6:7]
	v_add_u32_e32 v18, v18, v19
	s_nop 1
	v_mov_b32_dpp v19, v18 row_bcast:31 row_mask:0xf bank_mask:0xf
	v_cndmask_b32_e64 v19, 0, v19, s[18:19]
	v_add_u32_e32 v18, v18, v19
	s_and_saveexec_b64 s[2:3], s[4:5]
	s_cbranch_execz .LBB466_154
; %bb.153:
	v_lshlrev_b32_e32 v19, 2, v61
	ds_write_b32 v19, v18
.LBB466_154:
	s_or_b64 exec, exec, s[2:3]
	v_cmp_gt_u32_e32 vcc, 8, v0
	s_waitcnt lgkmcnt(0)
	s_barrier
	s_and_saveexec_b64 s[2:3], vcc
	s_cbranch_execz .LBB466_156
; %bb.155:
	v_lshlrev_b32_e32 v19, 2, v0
	ds_read_b32 v26, v19
	v_and_b32_e32 v27, 7, v60
	v_cmp_ne_u32_e32 vcc, 0, v27
	s_waitcnt lgkmcnt(0)
	v_mov_b32_dpp v28, v26 row_shr:1 row_mask:0xf bank_mask:0xf
	v_cndmask_b32_e32 v28, 0, v28, vcc
	v_add_u32_e32 v26, v28, v26
	v_cmp_lt_u32_e32 vcc, 1, v27
	s_nop 0
	v_mov_b32_dpp v28, v26 row_shr:2 row_mask:0xf bank_mask:0xf
	v_cndmask_b32_e32 v28, 0, v28, vcc
	v_add_u32_e32 v26, v26, v28
	v_cmp_lt_u32_e32 vcc, 3, v27
	s_nop 0
	v_mov_b32_dpp v28, v26 row_shr:4 row_mask:0xf bank_mask:0xf
	v_cndmask_b32_e32 v27, 0, v28, vcc
	v_add_u32_e32 v26, v26, v27
	ds_write_b32 v19, v26
.LBB466_156:
	s_or_b64 exec, exec, s[2:3]
	v_cmp_lt_u32_e32 vcc, 63, v0
	v_mov_b32_e32 v19, 0
	v_mov_b32_e32 v26, 0
	s_waitcnt lgkmcnt(0)
	s_barrier
	s_and_saveexec_b64 s[2:3], vcc
	s_cbranch_execz .LBB466_158
; %bb.157:
	v_lshl_add_u32 v26, v61, 2, -4
	ds_read_b32 v26, v26
.LBB466_158:
	s_or_b64 exec, exec, s[2:3]
	v_add_u32_e32 v27, -1, v60
	v_and_b32_e32 v28, 64, v60
	v_cmp_lt_i32_e32 vcc, v27, v28
	s_waitcnt lgkmcnt(0)
	v_add_u32_e32 v18, v26, v18
	v_cndmask_b32_e32 v27, v27, v60, vcc
	v_lshlrev_b32_e32 v27, 2, v27
	ds_bpermute_b32 v27, v27, v18
	ds_read_b32 v18, v19 offset:28
	v_cmp_eq_u32_e32 vcc, 0, v0
	s_and_saveexec_b64 s[2:3], vcc
	s_cbranch_execz .LBB466_160
; %bb.159:
	v_mov_b32_e32 v28, 0
	v_mov_b32_e32 v19, 2
	s_waitcnt lgkmcnt(0)
	global_store_dwordx2 v28, v[18:19], s[34:35] offset:512 sc1
.LBB466_160:
	s_or_b64 exec, exec, s[2:3]
	v_cmp_eq_u32_e64 s[2:3], 0, v60
	s_waitcnt lgkmcnt(0)
	s_barrier
	v_cndmask_b32_e64 v19, v27, v26, s[2:3]
	v_mov_b32_e32 v26, 0
	v_cndmask_b32_e64 v32, v19, 0, vcc
.LBB466_161:
	v_add_u32_sdwa v60, v32, v24 dst_sel:DWORD dst_unused:UNUSED_PAD src0_sel:DWORD src1_sel:BYTE_0
	v_add_u32_e32 v1, v18, v1
	v_sub_u32_e32 v32, v32, v26
	v_and_b32_e32 v69, 1, v24
	v_sub_u32_e32 v68, v1, v32
	v_cmp_eq_u32_e32 vcc, 1, v69
	v_lshrrev_b32_e32 v33, 8, v24
	v_add_u32_sdwa v61, v60, v24 dst_sel:DWORD dst_unused:UNUSED_PAD src0_sel:DWORD src1_sel:BYTE_1
	v_cndmask_b32_e32 v32, v68, v32, vcc
	v_lshlrev_b32_e32 v32, 1, v32
	ds_write_b16 v32, v10
	v_sub_u32_e32 v32, v60, v26
	v_sub_u32_e32 v60, v1, v32
	v_and_b32_e32 v33, 1, v33
	v_add_u32_e32 v60, 1, v60
	v_cmp_eq_u32_e32 vcc, 1, v33
	v_mov_b32_e32 v33, 1
	v_and_b32_sdwa v24, v33, v24 dst_sel:DWORD dst_unused:UNUSED_PAD src0_sel:DWORD src1_sel:WORD_1
	v_cndmask_b32_e32 v32, v60, v32, vcc
	v_lshlrev_b32_e32 v32, 1, v32
	ds_write_b16_d16_hi v32, v10
	v_sub_u32_e32 v10, v61, v26
	v_sub_u32_e32 v32, v1, v10
	v_add_u32_e32 v32, 2, v32
	v_cmp_eq_u32_e32 vcc, 1, v24
	v_add_u32_e32 v59, v61, v59
	v_add_u32_e32 v62, v59, v41
	v_cndmask_b32_e32 v10, v32, v10, vcc
	v_lshlrev_b32_e32 v10, 1, v10
	ds_write_b16 v10, v11
	v_sub_u32_e32 v10, v59, v26
	v_sub_u32_e32 v24, v1, v10
	v_and_b32_e32 v32, 1, v41
	v_add_u32_e32 v24, 3, v24
	v_cmp_eq_u32_e32 vcc, 1, v32
	v_add_u32_e32 v56, v62, v56
	v_lshrrev_b32_e32 v31, 8, v25
	v_cndmask_b32_e32 v10, v24, v10, vcc
	v_lshlrev_b32_e32 v10, 1, v10
	ds_write_b16_d16_hi v10, v11
	v_sub_u32_e32 v10, v62, v26
	v_sub_u32_e32 v11, v1, v10
	v_and_b32_e32 v24, 1, v25
	v_add_u32_e32 v11, 4, v11
	v_cmp_eq_u32_e32 vcc, 1, v24
	v_and_b32_e32 v24, 1, v31
	v_add_u32_e32 v57, v56, v57
	v_cndmask_b32_e32 v10, v11, v10, vcc
	v_lshlrev_b32_e32 v10, 1, v10
	ds_write_b16 v10, v12
	v_sub_u32_e32 v10, v56, v26
	v_sub_u32_e32 v11, v1, v10
	v_add_u32_e32 v11, 5, v11
	v_cmp_eq_u32_e32 vcc, 1, v24
	v_add_u32_e32 v58, v57, v58
	v_add_u32_e32 v63, v58, v40
	v_cndmask_b32_e32 v10, v11, v10, vcc
	v_lshlrev_b32_e32 v10, 1, v10
	ds_write_b16_d16_hi v10, v12
	v_sub_u32_e32 v10, v57, v26
	v_sub_u32_e32 v11, v1, v10
	v_and_b32_sdwa v12, v33, v25 dst_sel:DWORD dst_unused:UNUSED_PAD src0_sel:DWORD src1_sel:WORD_1
	v_add_u32_e32 v11, 6, v11
	v_cmp_eq_u32_e32 vcc, 1, v12
	v_and_b32_e32 v12, 1, v40
	v_add_u32_e32 v53, v63, v53
	v_cndmask_b32_e32 v10, v11, v10, vcc
	v_lshlrev_b32_e32 v10, 1, v10
	ds_write_b16 v10, v13
	v_sub_u32_e32 v10, v58, v26
	v_sub_u32_e32 v11, v1, v10
	v_add_u32_e32 v11, 7, v11
	v_cmp_eq_u32_e32 vcc, 1, v12
	v_and_b32_e32 v12, 1, v22
	v_lshrrev_b32_e32 v30, 8, v22
	v_cndmask_b32_e32 v10, v11, v10, vcc
	v_lshlrev_b32_e32 v10, 1, v10
	ds_write_b16_d16_hi v10, v13
	v_sub_u32_e32 v10, v63, v26
	v_sub_u32_e32 v11, v1, v10
	v_add_u32_e32 v11, 8, v11
	v_cmp_eq_u32_e32 vcc, 1, v12
	v_and_b32_e32 v12, 1, v30
	v_add_u32_e32 v54, v53, v54
	v_cndmask_b32_e32 v10, v11, v10, vcc
	v_lshlrev_b32_e32 v10, 1, v10
	ds_write_b16 v10, v6
	v_sub_u32_e32 v10, v53, v26
	v_sub_u32_e32 v11, v1, v10
	v_add_u32_e32 v11, 9, v11
	v_cmp_eq_u32_e32 vcc, 1, v12
	v_add_u32_e32 v55, v54, v55
	v_add_u32_e32 v64, v55, v39
	v_cndmask_b32_e32 v10, v11, v10, vcc
	v_lshlrev_b32_e32 v10, 1, v10
	ds_write_b16_d16_hi v10, v6
	v_sub_u32_e32 v6, v54, v26
	v_sub_u32_e32 v10, v1, v6
	v_and_b32_sdwa v11, v33, v22 dst_sel:DWORD dst_unused:UNUSED_PAD src0_sel:DWORD src1_sel:WORD_1
	v_add_u32_e32 v10, 10, v10
	v_cmp_eq_u32_e32 vcc, 1, v11
	v_and_b32_e32 v11, 1, v39
	v_add_u32_e32 v50, v64, v50
	v_cndmask_b32_e32 v6, v10, v6, vcc
	v_lshlrev_b32_e32 v6, 1, v6
	ds_write_b16 v6, v7
	v_sub_u32_e32 v6, v55, v26
	v_sub_u32_e32 v10, v1, v6
	v_add_u32_e32 v10, 11, v10
	v_cmp_eq_u32_e32 vcc, 1, v11
	v_lshrrev_b32_e32 v29, 8, v23
	v_add_u32_e32 v51, v50, v51
	v_cndmask_b32_e32 v6, v10, v6, vcc
	v_lshlrev_b32_e32 v6, 1, v6
	ds_write_b16_d16_hi v6, v7
	v_sub_u32_e32 v6, v64, v26
	v_sub_u32_e32 v7, v1, v6
	v_and_b32_e32 v10, 1, v23
	v_add_u32_e32 v7, 12, v7
	v_cmp_eq_u32_e32 vcc, 1, v10
	v_and_b32_e32 v10, 1, v29
	v_add_u32_e32 v52, v51, v52
	v_cndmask_b32_e32 v6, v7, v6, vcc
	v_lshlrev_b32_e32 v6, 1, v6
	ds_write_b16 v6, v8
	v_sub_u32_e32 v6, v50, v26
	v_sub_u32_e32 v7, v1, v6
	v_add_u32_e32 v7, 13, v7
	v_cmp_eq_u32_e32 vcc, 1, v10
	v_add_u32_e32 v65, v52, v38
	v_add_u32_e32 v47, v65, v47
	v_cndmask_b32_e32 v6, v7, v6, vcc
	v_lshlrev_b32_e32 v6, 1, v6
	ds_write_b16_d16_hi v6, v8
	v_sub_u32_e32 v6, v51, v26
	v_sub_u32_e32 v7, v1, v6
	v_and_b32_sdwa v8, v33, v23 dst_sel:DWORD dst_unused:UNUSED_PAD src0_sel:DWORD src1_sel:WORD_1
	v_add_u32_e32 v7, 14, v7
	v_cmp_eq_u32_e32 vcc, 1, v8
	v_and_b32_e32 v8, 1, v38
	v_lshrrev_b32_e32 v28, 8, v20
	v_cndmask_b32_e32 v6, v7, v6, vcc
	v_lshlrev_b32_e32 v6, 1, v6
	ds_write_b16 v6, v9
	v_sub_u32_e32 v6, v52, v26
	v_sub_u32_e32 v7, v1, v6
	v_add_u32_e32 v7, 15, v7
	v_cmp_eq_u32_e32 vcc, 1, v8
	v_and_b32_e32 v8, 1, v20
	v_add_u32_e32 v48, v47, v48
	v_cndmask_b32_e32 v6, v7, v6, vcc
	v_lshlrev_b32_e32 v6, 1, v6
	ds_write_b16_d16_hi v6, v9
	v_sub_u32_e32 v6, v65, v26
	v_sub_u32_e32 v7, v1, v6
	v_add_u32_e32 v7, 16, v7
	v_cmp_eq_u32_e32 vcc, 1, v8
	v_and_b32_e32 v8, 1, v28
	v_add_u32_e32 v49, v48, v49
	v_cndmask_b32_e32 v6, v7, v6, vcc
	v_lshlrev_b32_e32 v6, 1, v6
	ds_write_b16 v6, v2
	v_sub_u32_e32 v6, v47, v26
	v_sub_u32_e32 v7, v1, v6
	v_add_u32_e32 v7, 17, v7
	v_cmp_eq_u32_e32 vcc, 1, v8
	v_add_u32_e32 v66, v49, v37
	v_add_u32_e32 v44, v66, v44
	v_cndmask_b32_e32 v6, v7, v6, vcc
	v_lshlrev_b32_e32 v6, 1, v6
	ds_write_b16_d16_hi v6, v2
	v_sub_u32_e32 v2, v48, v26
	v_sub_u32_e32 v6, v1, v2
	v_and_b32_sdwa v7, v33, v20 dst_sel:DWORD dst_unused:UNUSED_PAD src0_sel:DWORD src1_sel:WORD_1
	v_add_u32_e32 v6, 18, v6
	v_cmp_eq_u32_e32 vcc, 1, v7
	v_and_b32_e32 v7, 1, v37
	v_lshrrev_b32_e32 v27, 8, v21
	v_cndmask_b32_e32 v2, v6, v2, vcc
	v_lshlrev_b32_e32 v2, 1, v2
	ds_write_b16 v2, v3
	v_sub_u32_e32 v2, v49, v26
	v_sub_u32_e32 v6, v1, v2
	v_add_u32_e32 v6, 19, v6
	v_cmp_eq_u32_e32 vcc, 1, v7
	v_add_u32_e32 v45, v44, v45
	v_add_u32_e32 v46, v45, v46
	v_cndmask_b32_e32 v2, v6, v2, vcc
	v_lshlrev_b32_e32 v2, 1, v2
	ds_write_b16_d16_hi v2, v3
	v_sub_u32_e32 v2, v66, v26
	v_sub_u32_e32 v3, v1, v2
	v_and_b32_e32 v6, 1, v21
	v_add_u32_e32 v3, 20, v3
	v_cmp_eq_u32_e32 vcc, 1, v6
	v_and_b32_e32 v6, 1, v27
	v_add_u32_e32 v67, v46, v36
	v_cndmask_b32_e32 v2, v3, v2, vcc
	v_lshlrev_b32_e32 v2, 1, v2
	ds_write_b16 v2, v4
	v_sub_u32_e32 v2, v44, v26
	v_sub_u32_e32 v3, v1, v2
	v_add_u32_e32 v3, 21, v3
	v_cmp_eq_u32_e32 vcc, 1, v6
	v_add_u32_e32 v42, v67, v42
	v_lshrrev_b32_e32 v19, 8, v34
	v_cndmask_b32_e32 v2, v3, v2, vcc
	v_lshlrev_b32_e32 v2, 1, v2
	ds_write_b16_d16_hi v2, v4
	v_sub_u32_e32 v2, v45, v26
	v_sub_u32_e32 v3, v1, v2
	v_and_b32_sdwa v4, v33, v21 dst_sel:DWORD dst_unused:UNUSED_PAD src0_sel:DWORD src1_sel:WORD_1
	v_add_u32_e32 v3, 22, v3
	v_cmp_eq_u32_e32 vcc, 1, v4
	v_and_b32_e32 v4, 1, v36
	v_add_u32_e32 v43, v42, v43
	v_cndmask_b32_e32 v2, v3, v2, vcc
	v_lshlrev_b32_e32 v2, 1, v2
	ds_write_b16 v2, v5
	v_sub_u32_e32 v2, v46, v26
	v_sub_u32_e32 v3, v1, v2
	v_add_u32_e32 v3, 23, v3
	v_cmp_eq_u32_e32 vcc, 1, v4
	v_and_b32_e32 v4, 1, v34
	v_mov_b32_e32 v27, 0
	v_cndmask_b32_e32 v2, v3, v2, vcc
	v_lshlrev_b32_e32 v2, 1, v2
	ds_write_b16_d16_hi v2, v5
	v_sub_u32_e32 v2, v67, v26
	v_sub_u32_e32 v3, v1, v2
	v_add_u32_e32 v3, 24, v3
	v_cmp_eq_u32_e32 vcc, 1, v4
	v_and_b32_e32 v4, 1, v19
	s_load_dwordx4 s[0:3], s[0:1], 0x30
	v_cndmask_b32_e32 v2, v3, v2, vcc
	v_lshlrev_b32_e32 v2, 1, v2
	ds_write_b16 v2, v16
	v_sub_u32_e32 v2, v42, v26
	v_sub_u32_e32 v3, v1, v2
	v_add_u32_e32 v3, 25, v3
	v_cmp_eq_u32_e32 vcc, 1, v4
	v_and_b32_sdwa v4, v33, v34 dst_sel:DWORD dst_unused:UNUSED_PAD src0_sel:DWORD src1_sel:WORD_1
	v_lshl_add_u64 v[6:7], s[28:29], 0, v[26:27]
	v_cndmask_b32_e32 v2, v3, v2, vcc
	v_lshlrev_b32_e32 v2, 1, v2
	ds_write_b16_d16_hi v2, v16
	v_sub_u32_e32 v2, v43, v26
	v_sub_u32_e32 v3, v1, v2
	v_add_u32_e32 v3, 26, v3
	v_cmp_eq_u32_e32 vcc, 1, v4
	v_mov_b32_e32 v19, v27
	v_mov_b32_e32 v5, s27
	v_cndmask_b32_e32 v2, v3, v2, vcc
	v_lshlrev_b32_e32 v2, 1, v2
	ds_write_b16 v2, v17
	v_sub_u32_e32 v2, v35, v26
	v_add_u32_e32 v2, v43, v2
	v_sub_u32_e32 v1, v1, v2
	v_and_b32_e32 v3, 1, v15
	v_add_u32_e32 v1, 27, v1
	v_cmp_eq_u32_e32 vcc, 1, v3
	v_or_b32_e32 v65, 0x200, v0
	v_or_b32_e32 v63, 0x400, v0
	v_cndmask_b32_e32 v1, v1, v2, vcc
	v_lshlrev_b32_e32 v1, 1, v1
	ds_write_b16_d16_hi v1, v17
	s_waitcnt lgkmcnt(0)
	s_barrier
	ds_read_u16 v67, v14
	ds_read_u16 v66, v14 offset:1024
	ds_read_u16 v64, v14 offset:2048
	;; [unrolled: 1-line block ×27, first 2 shown]
	v_lshl_add_u64 v[2:3], v[6:7], 0, v[18:19]
	v_sub_co_u32_e32 v4, vcc, s26, v2
	v_lshlrev_b64 v[6:7], 1, v[6:7]
	s_nop 0
	v_subb_co_u32_e32 v5, vcc, v5, v3, vcc
	v_lshlrev_b64 v[4:5], 1, v[4:5]
	v_lshl_add_u64 v[4:5], s[2:3], 0, v[4:5]
	v_or_b32_e32 v61, 0x600, v0
	v_or_b32_e32 v59, 0x800, v0
	;; [unrolled: 1-line block ×25, first 2 shown]
	v_lshl_add_u64 v[4:5], v[4:5], 0, s[30:31]
	s_andn2_b64 vcc, exec, s[24:25]
	v_lshl_add_u64 v[6:7], s[0:1], 0, v[6:7]
	s_cbranch_vccnz .LBB466_163
; %bb.162:
	v_cmp_lt_u32_e32 vcc, v0, v18
	v_mov_b32_e32 v15, v27
	v_lshlrev_b32_e32 v26, 1, v59
	v_cndmask_b32_e32 v69, v5, v7, vcc
	v_cndmask_b32_e32 v68, v4, v6, vcc
	v_lshl_add_u64 v[68:69], v[68:69], 0, v[14:15]
	v_cmp_lt_u32_e32 vcc, v65, v18
	s_waitcnt lgkmcnt(14)
	global_store_short v[68:69], v67, off
	v_cndmask_b32_e32 v69, v5, v7, vcc
	v_cndmask_b32_e32 v68, v4, v6, vcc
	v_lshl_add_u64 v[68:69], v[68:69], 0, v[14:15]
	v_cmp_lt_u32_e32 vcc, v63, v18
	global_store_short v[68:69], v66, off offset:1024
	s_mov_b64 s[0:1], -1
	v_cndmask_b32_e32 v69, v5, v7, vcc
	v_cndmask_b32_e32 v68, v4, v6, vcc
	v_lshl_add_u64 v[68:69], v[68:69], 0, v[14:15]
	v_cmp_lt_u32_e32 vcc, v61, v18
	global_store_short v[68:69], v64, off offset:2048
	s_nop 0
	v_cndmask_b32_e32 v69, v5, v7, vcc
	v_cndmask_b32_e32 v68, v4, v6, vcc
	v_lshl_add_u64 v[68:69], v[68:69], 0, v[14:15]
	v_cmp_lt_u32_e32 vcc, v59, v18
	global_store_short v[68:69], v62, off offset:3072
	s_nop 0
	v_cndmask_b32_e32 v69, v5, v7, vcc
	v_cndmask_b32_e32 v68, v4, v6, vcc
	v_lshl_add_u64 v[68:69], v[68:69], 0, v[26:27]
	v_cmp_lt_u32_e32 vcc, v57, v18
	global_store_short v[68:69], v60, off
	v_lshlrev_b32_e32 v26, 1, v57
	v_cndmask_b32_e32 v69, v5, v7, vcc
	v_cndmask_b32_e32 v68, v4, v6, vcc
	v_lshl_add_u64 v[68:69], v[68:69], 0, v[26:27]
	v_cmp_lt_u32_e32 vcc, v55, v18
	global_store_short v[68:69], v58, off
	v_lshlrev_b32_e32 v26, 1, v55
	;; [unrolled: 6-line block ×10, first 2 shown]
	v_cndmask_b32_e32 v69, v5, v7, vcc
	v_cndmask_b32_e32 v68, v4, v6, vcc
	v_lshl_add_u64 v[68:69], v[68:69], 0, v[26:27]
	v_cmp_lt_u32_e32 vcc, v37, v18
	s_waitcnt lgkmcnt(13)
	global_store_short v[68:69], v40, off
	v_lshlrev_b32_e32 v26, 1, v37
	v_cndmask_b32_e32 v69, v5, v7, vcc
	v_cndmask_b32_e32 v68, v4, v6, vcc
	v_lshl_add_u64 v[68:69], v[68:69], 0, v[26:27]
	v_cmp_lt_u32_e32 vcc, v35, v18
	s_waitcnt lgkmcnt(12)
	global_store_short v[68:69], v38, off
	v_lshlrev_b32_e32 v26, 1, v35
	;; [unrolled: 7-line block ×12, first 2 shown]
	v_cndmask_b32_e32 v69, v5, v7, vcc
	v_cndmask_b32_e32 v68, v4, v6, vcc
	v_lshl_add_u64 v[26:27], v[68:69], 0, v[26:27]
	s_waitcnt lgkmcnt(1)
	global_store_short v[26:27], v9, off
	s_cbranch_execz .LBB466_164
	s_branch .LBB466_193
.LBB466_163:
	s_mov_b64 s[0:1], 0
.LBB466_164:
	v_cmp_gt_u32_e32 vcc, s33, v0
	s_and_saveexec_b64 s[0:1], vcc
	s_cbranch_execnz .LBB466_198
; %bb.165:
	s_or_b64 exec, exec, s[0:1]
	v_cmp_gt_u32_e32 vcc, s33, v65
	s_and_saveexec_b64 s[0:1], vcc
	s_cbranch_execnz .LBB466_199
.LBB466_166:
	s_or_b64 exec, exec, s[0:1]
	v_cmp_gt_u32_e32 vcc, s33, v63
	s_and_saveexec_b64 s[0:1], vcc
	s_cbranch_execnz .LBB466_200
.LBB466_167:
	s_or_b64 exec, exec, s[0:1]
	v_cmp_gt_u32_e32 vcc, s33, v61
	s_and_saveexec_b64 s[0:1], vcc
	s_cbranch_execnz .LBB466_201
.LBB466_168:
	s_or_b64 exec, exec, s[0:1]
	v_cmp_gt_u32_e32 vcc, s33, v59
	s_and_saveexec_b64 s[0:1], vcc
	s_cbranch_execnz .LBB466_202
.LBB466_169:
	s_or_b64 exec, exec, s[0:1]
	v_cmp_gt_u32_e32 vcc, s33, v57
	s_and_saveexec_b64 s[0:1], vcc
	s_cbranch_execnz .LBB466_203
.LBB466_170:
	s_or_b64 exec, exec, s[0:1]
	v_cmp_gt_u32_e32 vcc, s33, v55
	s_and_saveexec_b64 s[0:1], vcc
	s_cbranch_execnz .LBB466_204
.LBB466_171:
	s_or_b64 exec, exec, s[0:1]
	v_cmp_gt_u32_e32 vcc, s33, v53
	s_and_saveexec_b64 s[0:1], vcc
	s_cbranch_execnz .LBB466_205
.LBB466_172:
	s_or_b64 exec, exec, s[0:1]
	v_cmp_gt_u32_e32 vcc, s33, v51
	s_and_saveexec_b64 s[0:1], vcc
	s_cbranch_execnz .LBB466_206
.LBB466_173:
	s_or_b64 exec, exec, s[0:1]
	v_cmp_gt_u32_e32 vcc, s33, v49
	s_and_saveexec_b64 s[0:1], vcc
	s_cbranch_execnz .LBB466_207
.LBB466_174:
	s_or_b64 exec, exec, s[0:1]
	v_cmp_gt_u32_e32 vcc, s33, v47
	s_and_saveexec_b64 s[0:1], vcc
	s_cbranch_execnz .LBB466_208
.LBB466_175:
	s_or_b64 exec, exec, s[0:1]
	v_cmp_gt_u32_e32 vcc, s33, v45
	s_and_saveexec_b64 s[0:1], vcc
	s_cbranch_execnz .LBB466_209
.LBB466_176:
	s_or_b64 exec, exec, s[0:1]
	v_cmp_gt_u32_e32 vcc, s33, v43
	s_and_saveexec_b64 s[0:1], vcc
	s_cbranch_execnz .LBB466_210
.LBB466_177:
	s_or_b64 exec, exec, s[0:1]
	v_cmp_gt_u32_e32 vcc, s33, v41
	s_and_saveexec_b64 s[0:1], vcc
	s_cbranch_execnz .LBB466_211
.LBB466_178:
	s_or_b64 exec, exec, s[0:1]
	v_cmp_gt_u32_e32 vcc, s33, v39
	s_and_saveexec_b64 s[0:1], vcc
	s_cbranch_execnz .LBB466_212
.LBB466_179:
	s_or_b64 exec, exec, s[0:1]
	v_cmp_gt_u32_e32 vcc, s33, v37
	s_and_saveexec_b64 s[0:1], vcc
	s_cbranch_execnz .LBB466_213
.LBB466_180:
	s_or_b64 exec, exec, s[0:1]
	v_cmp_gt_u32_e32 vcc, s33, v35
	s_and_saveexec_b64 s[0:1], vcc
	s_cbranch_execnz .LBB466_214
.LBB466_181:
	s_or_b64 exec, exec, s[0:1]
	v_cmp_gt_u32_e32 vcc, s33, v33
	s_and_saveexec_b64 s[0:1], vcc
	s_cbranch_execnz .LBB466_215
.LBB466_182:
	s_or_b64 exec, exec, s[0:1]
	v_cmp_gt_u32_e32 vcc, s33, v31
	s_and_saveexec_b64 s[0:1], vcc
	s_cbranch_execnz .LBB466_216
.LBB466_183:
	s_or_b64 exec, exec, s[0:1]
	v_cmp_gt_u32_e32 vcc, s33, v29
	s_and_saveexec_b64 s[0:1], vcc
	s_cbranch_execnz .LBB466_217
.LBB466_184:
	s_or_b64 exec, exec, s[0:1]
	v_cmp_gt_u32_e32 vcc, s33, v25
	s_and_saveexec_b64 s[0:1], vcc
	s_cbranch_execnz .LBB466_218
.LBB466_185:
	s_or_b64 exec, exec, s[0:1]
	v_cmp_gt_u32_e32 vcc, s33, v23
	s_and_saveexec_b64 s[0:1], vcc
	s_cbranch_execnz .LBB466_219
.LBB466_186:
	s_or_b64 exec, exec, s[0:1]
	v_cmp_gt_u32_e32 vcc, s33, v21
	s_and_saveexec_b64 s[0:1], vcc
	s_cbranch_execnz .LBB466_220
.LBB466_187:
	s_or_b64 exec, exec, s[0:1]
	v_cmp_gt_u32_e32 vcc, s33, v17
	s_and_saveexec_b64 s[0:1], vcc
	s_cbranch_execnz .LBB466_221
.LBB466_188:
	s_or_b64 exec, exec, s[0:1]
	v_cmp_gt_u32_e32 vcc, s33, v13
	s_and_saveexec_b64 s[0:1], vcc
	s_cbranch_execnz .LBB466_222
.LBB466_189:
	s_or_b64 exec, exec, s[0:1]
	v_cmp_gt_u32_e32 vcc, s33, v11
	s_and_saveexec_b64 s[0:1], vcc
	s_cbranch_execnz .LBB466_223
.LBB466_190:
	s_or_b64 exec, exec, s[0:1]
	v_cmp_gt_u32_e32 vcc, s33, v10
	s_and_saveexec_b64 s[0:1], vcc
	s_cbranch_execz .LBB466_192
.LBB466_191:
	v_cmp_lt_u32_e32 vcc, v10, v18
	v_lshlrev_b32_e32 v10, 1, v10
	v_mov_b32_e32 v11, 0
	v_cndmask_b32_e32 v13, v5, v7, vcc
	s_waitcnt lgkmcnt(2)
	v_cndmask_b32_e32 v12, v4, v6, vcc
	v_lshl_add_u64 v[10:11], v[12:13], 0, v[10:11]
	s_waitcnt lgkmcnt(1)
	global_store_short v[10:11], v9, off
.LBB466_192:
	s_or_b64 exec, exec, s[0:1]
	v_cmp_gt_u32_e64 s[0:1], s33, v8
.LBB466_193:
	s_and_saveexec_b64 s[2:3], s[0:1]
	s_cbranch_execz .LBB466_195
; %bb.194:
	v_cmp_lt_u32_e32 vcc, v8, v18
	s_nop 1
	v_cndmask_b32_e32 v5, v5, v7, vcc
	v_cndmask_b32_e32 v4, v4, v6, vcc
	v_lshlrev_b32_e32 v6, 1, v8
	v_mov_b32_e32 v7, 0
	v_lshl_add_u64 v[4:5], v[4:5], 0, v[6:7]
	s_waitcnt lgkmcnt(0)
	global_store_short v[4:5], v1, off
.LBB466_195:
	s_or_b64 exec, exec, s[2:3]
	v_cmp_eq_u32_e32 vcc, 0, v0
	s_and_b64 s[0:1], vcc, s[22:23]
	s_and_saveexec_b64 s[2:3], s[0:1]
	s_cbranch_execz .LBB466_197
; %bb.196:
	v_mov_b32_e32 v0, 0
	global_store_dwordx2 v0, v[2:3], s[20:21]
.LBB466_197:
	s_endpgm
.LBB466_198:
	v_cmp_lt_u32_e32 vcc, v0, v18
	v_mov_b32_e32 v15, 0
	s_nop 0
	v_cndmask_b32_e32 v27, v5, v7, vcc
	v_cndmask_b32_e32 v26, v4, v6, vcc
	v_lshl_add_u64 v[26:27], v[26:27], 0, v[14:15]
	s_waitcnt lgkmcnt(14)
	global_store_short v[26:27], v67, off
	s_or_b64 exec, exec, s[0:1]
	v_cmp_gt_u32_e32 vcc, s33, v65
	s_and_saveexec_b64 s[0:1], vcc
	s_cbranch_execz .LBB466_166
.LBB466_199:
	v_cmp_lt_u32_e32 vcc, v65, v18
	v_mov_b32_e32 v15, 0
	s_nop 0
	v_cndmask_b32_e32 v27, v5, v7, vcc
	v_cndmask_b32_e32 v26, v4, v6, vcc
	v_lshl_add_u64 v[26:27], v[26:27], 0, v[14:15]
	s_waitcnt lgkmcnt(14)
	global_store_short v[26:27], v66, off offset:1024
	s_or_b64 exec, exec, s[0:1]
	v_cmp_gt_u32_e32 vcc, s33, v63
	s_and_saveexec_b64 s[0:1], vcc
	s_cbranch_execz .LBB466_167
.LBB466_200:
	v_cmp_lt_u32_e32 vcc, v63, v18
	v_mov_b32_e32 v15, 0
	s_nop 0
	v_cndmask_b32_e32 v27, v5, v7, vcc
	v_cndmask_b32_e32 v26, v4, v6, vcc
	v_lshl_add_u64 v[26:27], v[26:27], 0, v[14:15]
	s_waitcnt lgkmcnt(14)
	global_store_short v[26:27], v64, off offset:2048
	s_or_b64 exec, exec, s[0:1]
	v_cmp_gt_u32_e32 vcc, s33, v61
	s_and_saveexec_b64 s[0:1], vcc
	s_cbranch_execz .LBB466_168
.LBB466_201:
	v_cmp_lt_u32_e32 vcc, v61, v18
	v_mov_b32_e32 v15, 0
	s_nop 0
	v_cndmask_b32_e32 v27, v5, v7, vcc
	v_cndmask_b32_e32 v26, v4, v6, vcc
	v_lshl_add_u64 v[14:15], v[26:27], 0, v[14:15]
	s_waitcnt lgkmcnt(14)
	global_store_short v[14:15], v62, off offset:3072
	s_or_b64 exec, exec, s[0:1]
	v_cmp_gt_u32_e32 vcc, s33, v59
	s_and_saveexec_b64 s[0:1], vcc
	s_cbranch_execz .LBB466_169
.LBB466_202:
	v_cmp_lt_u32_e32 vcc, v59, v18
	v_lshlrev_b32_e32 v26, 1, v59
	v_mov_b32_e32 v27, 0
	v_cndmask_b32_e32 v15, v5, v7, vcc
	v_cndmask_b32_e32 v14, v4, v6, vcc
	v_lshl_add_u64 v[14:15], v[14:15], 0, v[26:27]
	s_waitcnt lgkmcnt(14)
	global_store_short v[14:15], v60, off
	s_or_b64 exec, exec, s[0:1]
	v_cmp_gt_u32_e32 vcc, s33, v57
	s_and_saveexec_b64 s[0:1], vcc
	s_cbranch_execz .LBB466_170
.LBB466_203:
	v_cmp_lt_u32_e32 vcc, v57, v18
	v_lshlrev_b32_e32 v26, 1, v57
	v_mov_b32_e32 v27, 0
	v_cndmask_b32_e32 v15, v5, v7, vcc
	v_cndmask_b32_e32 v14, v4, v6, vcc
	v_lshl_add_u64 v[14:15], v[14:15], 0, v[26:27]
	s_waitcnt lgkmcnt(14)
	global_store_short v[14:15], v58, off
	s_or_b64 exec, exec, s[0:1]
	v_cmp_gt_u32_e32 vcc, s33, v55
	s_and_saveexec_b64 s[0:1], vcc
	s_cbranch_execz .LBB466_171
.LBB466_204:
	v_cmp_lt_u32_e32 vcc, v55, v18
	v_lshlrev_b32_e32 v26, 1, v55
	v_mov_b32_e32 v27, 0
	v_cndmask_b32_e32 v15, v5, v7, vcc
	v_cndmask_b32_e32 v14, v4, v6, vcc
	v_lshl_add_u64 v[14:15], v[14:15], 0, v[26:27]
	s_waitcnt lgkmcnt(14)
	global_store_short v[14:15], v56, off
	s_or_b64 exec, exec, s[0:1]
	v_cmp_gt_u32_e32 vcc, s33, v53
	s_and_saveexec_b64 s[0:1], vcc
	s_cbranch_execz .LBB466_172
.LBB466_205:
	v_cmp_lt_u32_e32 vcc, v53, v18
	v_lshlrev_b32_e32 v26, 1, v53
	v_mov_b32_e32 v27, 0
	v_cndmask_b32_e32 v15, v5, v7, vcc
	v_cndmask_b32_e32 v14, v4, v6, vcc
	v_lshl_add_u64 v[14:15], v[14:15], 0, v[26:27]
	s_waitcnt lgkmcnt(14)
	global_store_short v[14:15], v54, off
	s_or_b64 exec, exec, s[0:1]
	v_cmp_gt_u32_e32 vcc, s33, v51
	s_and_saveexec_b64 s[0:1], vcc
	s_cbranch_execz .LBB466_173
.LBB466_206:
	v_cmp_lt_u32_e32 vcc, v51, v18
	v_lshlrev_b32_e32 v26, 1, v51
	v_mov_b32_e32 v27, 0
	v_cndmask_b32_e32 v15, v5, v7, vcc
	v_cndmask_b32_e32 v14, v4, v6, vcc
	v_lshl_add_u64 v[14:15], v[14:15], 0, v[26:27]
	s_waitcnt lgkmcnt(14)
	global_store_short v[14:15], v52, off
	s_or_b64 exec, exec, s[0:1]
	v_cmp_gt_u32_e32 vcc, s33, v49
	s_and_saveexec_b64 s[0:1], vcc
	s_cbranch_execz .LBB466_174
.LBB466_207:
	v_cmp_lt_u32_e32 vcc, v49, v18
	v_lshlrev_b32_e32 v26, 1, v49
	v_mov_b32_e32 v27, 0
	v_cndmask_b32_e32 v15, v5, v7, vcc
	v_cndmask_b32_e32 v14, v4, v6, vcc
	v_lshl_add_u64 v[14:15], v[14:15], 0, v[26:27]
	s_waitcnt lgkmcnt(14)
	global_store_short v[14:15], v50, off
	s_or_b64 exec, exec, s[0:1]
	v_cmp_gt_u32_e32 vcc, s33, v47
	s_and_saveexec_b64 s[0:1], vcc
	s_cbranch_execz .LBB466_175
.LBB466_208:
	v_cmp_lt_u32_e32 vcc, v47, v18
	v_lshlrev_b32_e32 v26, 1, v47
	v_mov_b32_e32 v27, 0
	v_cndmask_b32_e32 v15, v5, v7, vcc
	v_cndmask_b32_e32 v14, v4, v6, vcc
	v_lshl_add_u64 v[14:15], v[14:15], 0, v[26:27]
	s_waitcnt lgkmcnt(14)
	global_store_short v[14:15], v48, off
	s_or_b64 exec, exec, s[0:1]
	v_cmp_gt_u32_e32 vcc, s33, v45
	s_and_saveexec_b64 s[0:1], vcc
	s_cbranch_execz .LBB466_176
.LBB466_209:
	v_cmp_lt_u32_e32 vcc, v45, v18
	v_lshlrev_b32_e32 v26, 1, v45
	v_mov_b32_e32 v27, 0
	v_cndmask_b32_e32 v15, v5, v7, vcc
	v_cndmask_b32_e32 v14, v4, v6, vcc
	v_lshl_add_u64 v[14:15], v[14:15], 0, v[26:27]
	s_waitcnt lgkmcnt(14)
	global_store_short v[14:15], v46, off
	s_or_b64 exec, exec, s[0:1]
	v_cmp_gt_u32_e32 vcc, s33, v43
	s_and_saveexec_b64 s[0:1], vcc
	s_cbranch_execz .LBB466_177
.LBB466_210:
	v_cmp_lt_u32_e32 vcc, v43, v18
	v_lshlrev_b32_e32 v26, 1, v43
	v_mov_b32_e32 v27, 0
	v_cndmask_b32_e32 v15, v5, v7, vcc
	v_cndmask_b32_e32 v14, v4, v6, vcc
	v_lshl_add_u64 v[14:15], v[14:15], 0, v[26:27]
	s_waitcnt lgkmcnt(14)
	global_store_short v[14:15], v44, off
	s_or_b64 exec, exec, s[0:1]
	v_cmp_gt_u32_e32 vcc, s33, v41
	s_and_saveexec_b64 s[0:1], vcc
	s_cbranch_execz .LBB466_178
.LBB466_211:
	v_cmp_lt_u32_e32 vcc, v41, v18
	v_lshlrev_b32_e32 v26, 1, v41
	v_mov_b32_e32 v27, 0
	v_cndmask_b32_e32 v15, v5, v7, vcc
	v_cndmask_b32_e32 v14, v4, v6, vcc
	v_lshl_add_u64 v[14:15], v[14:15], 0, v[26:27]
	s_waitcnt lgkmcnt(14)
	global_store_short v[14:15], v42, off
	s_or_b64 exec, exec, s[0:1]
	v_cmp_gt_u32_e32 vcc, s33, v39
	s_and_saveexec_b64 s[0:1], vcc
	s_cbranch_execz .LBB466_179
.LBB466_212:
	v_cmp_lt_u32_e32 vcc, v39, v18
	v_lshlrev_b32_e32 v26, 1, v39
	v_mov_b32_e32 v27, 0
	v_cndmask_b32_e32 v15, v5, v7, vcc
	v_cndmask_b32_e32 v14, v4, v6, vcc
	v_lshl_add_u64 v[14:15], v[14:15], 0, v[26:27]
	s_waitcnt lgkmcnt(13)
	global_store_short v[14:15], v40, off
	s_or_b64 exec, exec, s[0:1]
	v_cmp_gt_u32_e32 vcc, s33, v37
	s_and_saveexec_b64 s[0:1], vcc
	s_cbranch_execz .LBB466_180
.LBB466_213:
	v_cmp_lt_u32_e32 vcc, v37, v18
	v_lshlrev_b32_e32 v26, 1, v37
	v_mov_b32_e32 v27, 0
	v_cndmask_b32_e32 v15, v5, v7, vcc
	v_cndmask_b32_e32 v14, v4, v6, vcc
	v_lshl_add_u64 v[14:15], v[14:15], 0, v[26:27]
	s_waitcnt lgkmcnt(12)
	global_store_short v[14:15], v38, off
	s_or_b64 exec, exec, s[0:1]
	v_cmp_gt_u32_e32 vcc, s33, v35
	s_and_saveexec_b64 s[0:1], vcc
	s_cbranch_execz .LBB466_181
.LBB466_214:
	v_cmp_lt_u32_e32 vcc, v35, v18
	v_lshlrev_b32_e32 v26, 1, v35
	v_mov_b32_e32 v27, 0
	v_cndmask_b32_e32 v15, v5, v7, vcc
	v_cndmask_b32_e32 v14, v4, v6, vcc
	v_lshl_add_u64 v[14:15], v[14:15], 0, v[26:27]
	s_waitcnt lgkmcnt(11)
	global_store_short v[14:15], v36, off
	s_or_b64 exec, exec, s[0:1]
	v_cmp_gt_u32_e32 vcc, s33, v33
	s_and_saveexec_b64 s[0:1], vcc
	s_cbranch_execz .LBB466_182
.LBB466_215:
	v_cmp_lt_u32_e32 vcc, v33, v18
	v_lshlrev_b32_e32 v26, 1, v33
	v_mov_b32_e32 v27, 0
	v_cndmask_b32_e32 v15, v5, v7, vcc
	v_cndmask_b32_e32 v14, v4, v6, vcc
	v_lshl_add_u64 v[14:15], v[14:15], 0, v[26:27]
	s_waitcnt lgkmcnt(10)
	global_store_short v[14:15], v34, off
	s_or_b64 exec, exec, s[0:1]
	v_cmp_gt_u32_e32 vcc, s33, v31
	s_and_saveexec_b64 s[0:1], vcc
	s_cbranch_execz .LBB466_183
.LBB466_216:
	v_cmp_lt_u32_e32 vcc, v31, v18
	v_lshlrev_b32_e32 v26, 1, v31
	v_mov_b32_e32 v27, 0
	v_cndmask_b32_e32 v15, v5, v7, vcc
	v_cndmask_b32_e32 v14, v4, v6, vcc
	v_lshl_add_u64 v[14:15], v[14:15], 0, v[26:27]
	s_waitcnt lgkmcnt(9)
	global_store_short v[14:15], v32, off
	s_or_b64 exec, exec, s[0:1]
	v_cmp_gt_u32_e32 vcc, s33, v29
	s_and_saveexec_b64 s[0:1], vcc
	s_cbranch_execz .LBB466_184
.LBB466_217:
	v_cmp_lt_u32_e32 vcc, v29, v18
	v_lshlrev_b32_e32 v26, 1, v29
	v_mov_b32_e32 v27, 0
	v_cndmask_b32_e32 v15, v5, v7, vcc
	v_cndmask_b32_e32 v14, v4, v6, vcc
	v_lshl_add_u64 v[14:15], v[14:15], 0, v[26:27]
	s_waitcnt lgkmcnt(8)
	global_store_short v[14:15], v30, off
	s_or_b64 exec, exec, s[0:1]
	v_cmp_gt_u32_e32 vcc, s33, v25
	s_and_saveexec_b64 s[0:1], vcc
	s_cbranch_execz .LBB466_185
.LBB466_218:
	v_cmp_lt_u32_e32 vcc, v25, v18
	v_lshlrev_b32_e32 v26, 1, v25
	v_mov_b32_e32 v27, 0
	v_cndmask_b32_e32 v15, v5, v7, vcc
	v_cndmask_b32_e32 v14, v4, v6, vcc
	v_lshl_add_u64 v[14:15], v[14:15], 0, v[26:27]
	s_waitcnt lgkmcnt(7)
	global_store_short v[14:15], v28, off
	s_or_b64 exec, exec, s[0:1]
	v_cmp_gt_u32_e32 vcc, s33, v23
	s_and_saveexec_b64 s[0:1], vcc
	s_cbranch_execz .LBB466_186
.LBB466_219:
	v_cmp_lt_u32_e32 vcc, v23, v18
	v_lshlrev_b32_e32 v26, 1, v23
	v_mov_b32_e32 v27, 0
	v_cndmask_b32_e32 v15, v5, v7, vcc
	v_cndmask_b32_e32 v14, v4, v6, vcc
	v_lshl_add_u64 v[14:15], v[14:15], 0, v[26:27]
	s_waitcnt lgkmcnt(6)
	global_store_short v[14:15], v24, off
	s_or_b64 exec, exec, s[0:1]
	v_cmp_gt_u32_e32 vcc, s33, v21
	s_and_saveexec_b64 s[0:1], vcc
	s_cbranch_execz .LBB466_187
.LBB466_220:
	v_cmp_lt_u32_e32 vcc, v21, v18
	s_waitcnt lgkmcnt(6)
	v_lshlrev_b32_e32 v24, 1, v21
	v_mov_b32_e32 v25, 0
	v_cndmask_b32_e32 v15, v5, v7, vcc
	v_cndmask_b32_e32 v14, v4, v6, vcc
	v_lshl_add_u64 v[14:15], v[14:15], 0, v[24:25]
	s_waitcnt lgkmcnt(5)
	global_store_short v[14:15], v22, off
	s_or_b64 exec, exec, s[0:1]
	v_cmp_gt_u32_e32 vcc, s33, v17
	s_and_saveexec_b64 s[0:1], vcc
	s_cbranch_execz .LBB466_188
.LBB466_221:
	v_cmp_lt_u32_e32 vcc, v17, v18
	s_waitcnt lgkmcnt(5)
	v_lshlrev_b32_e32 v22, 1, v17
	v_mov_b32_e32 v23, 0
	v_cndmask_b32_e32 v15, v5, v7, vcc
	v_cndmask_b32_e32 v14, v4, v6, vcc
	v_lshl_add_u64 v[14:15], v[14:15], 0, v[22:23]
	s_waitcnt lgkmcnt(4)
	global_store_short v[14:15], v20, off
	s_or_b64 exec, exec, s[0:1]
	v_cmp_gt_u32_e32 vcc, s33, v13
	s_and_saveexec_b64 s[0:1], vcc
	s_cbranch_execz .LBB466_189
.LBB466_222:
	v_cmp_lt_u32_e32 vcc, v13, v18
	s_waitcnt lgkmcnt(4)
	v_lshlrev_b32_e32 v20, 1, v13
	v_mov_b32_e32 v21, 0
	v_cndmask_b32_e32 v15, v5, v7, vcc
	v_cndmask_b32_e32 v14, v4, v6, vcc
	v_lshl_add_u64 v[14:15], v[14:15], 0, v[20:21]
	s_waitcnt lgkmcnt(3)
	global_store_short v[14:15], v16, off
	s_or_b64 exec, exec, s[0:1]
	v_cmp_gt_u32_e32 vcc, s33, v11
	s_and_saveexec_b64 s[0:1], vcc
	s_cbranch_execz .LBB466_190
.LBB466_223:
	v_cmp_lt_u32_e32 vcc, v11, v18
	s_waitcnt lgkmcnt(3)
	v_lshlrev_b32_e32 v16, 1, v11
	v_mov_b32_e32 v17, 0
	v_cndmask_b32_e32 v15, v5, v7, vcc
	v_cndmask_b32_e32 v14, v4, v6, vcc
	v_lshl_add_u64 v[14:15], v[14:15], 0, v[16:17]
	s_waitcnt lgkmcnt(2)
	global_store_short v[14:15], v12, off
	s_or_b64 exec, exec, s[0:1]
	v_cmp_gt_u32_e32 vcc, s33, v10
	s_and_saveexec_b64 s[0:1], vcc
	s_cbranch_execnz .LBB466_191
	s_branch .LBB466_192
	.section	.rodata,"a",@progbits
	.p2align	6, 0x0
	.amdhsa_kernel _ZN7rocprim17ROCPRIM_400000_NS6detail17trampoline_kernelINS0_14default_configENS1_25partition_config_selectorILNS1_17partition_subalgoE1EsNS0_10empty_typeEbEEZZNS1_14partition_implILS5_1ELb0ES3_jN6thrust23THRUST_200600_302600_NS6detail15normal_iteratorINSA_10device_ptrIsEEEEPS6_NSA_18transform_iteratorI7is_evenIsESF_NSA_11use_defaultESK_EENS0_5tupleIJSF_SF_EEENSM_IJSG_SG_EEES6_PlJS6_EEE10hipError_tPvRmT3_T4_T5_T6_T7_T9_mT8_P12ihipStream_tbDpT10_ENKUlT_T0_E_clISt17integral_constantIbLb1EES18_IbLb0EEEEDaS14_S15_EUlS14_E_NS1_11comp_targetILNS1_3genE5ELNS1_11target_archE942ELNS1_3gpuE9ELNS1_3repE0EEENS1_30default_config_static_selectorELNS0_4arch9wavefront6targetE1EEEvT1_
		.amdhsa_group_segment_fixed_size 28680
		.amdhsa_private_segment_fixed_size 0
		.amdhsa_kernarg_size 128
		.amdhsa_user_sgpr_count 2
		.amdhsa_user_sgpr_dispatch_ptr 0
		.amdhsa_user_sgpr_queue_ptr 0
		.amdhsa_user_sgpr_kernarg_segment_ptr 1
		.amdhsa_user_sgpr_dispatch_id 0
		.amdhsa_user_sgpr_kernarg_preload_length 0
		.amdhsa_user_sgpr_kernarg_preload_offset 0
		.amdhsa_user_sgpr_private_segment_size 0
		.amdhsa_uses_dynamic_stack 0
		.amdhsa_enable_private_segment 0
		.amdhsa_system_sgpr_workgroup_id_x 1
		.amdhsa_system_sgpr_workgroup_id_y 0
		.amdhsa_system_sgpr_workgroup_id_z 0
		.amdhsa_system_sgpr_workgroup_info 0
		.amdhsa_system_vgpr_workitem_id 0
		.amdhsa_next_free_vgpr 79
		.amdhsa_next_free_sgpr 44
		.amdhsa_accum_offset 80
		.amdhsa_reserve_vcc 1
		.amdhsa_float_round_mode_32 0
		.amdhsa_float_round_mode_16_64 0
		.amdhsa_float_denorm_mode_32 3
		.amdhsa_float_denorm_mode_16_64 3
		.amdhsa_dx10_clamp 1
		.amdhsa_ieee_mode 1
		.amdhsa_fp16_overflow 0
		.amdhsa_tg_split 0
		.amdhsa_exception_fp_ieee_invalid_op 0
		.amdhsa_exception_fp_denorm_src 0
		.amdhsa_exception_fp_ieee_div_zero 0
		.amdhsa_exception_fp_ieee_overflow 0
		.amdhsa_exception_fp_ieee_underflow 0
		.amdhsa_exception_fp_ieee_inexact 0
		.amdhsa_exception_int_div_zero 0
	.end_amdhsa_kernel
	.section	.text._ZN7rocprim17ROCPRIM_400000_NS6detail17trampoline_kernelINS0_14default_configENS1_25partition_config_selectorILNS1_17partition_subalgoE1EsNS0_10empty_typeEbEEZZNS1_14partition_implILS5_1ELb0ES3_jN6thrust23THRUST_200600_302600_NS6detail15normal_iteratorINSA_10device_ptrIsEEEEPS6_NSA_18transform_iteratorI7is_evenIsESF_NSA_11use_defaultESK_EENS0_5tupleIJSF_SF_EEENSM_IJSG_SG_EEES6_PlJS6_EEE10hipError_tPvRmT3_T4_T5_T6_T7_T9_mT8_P12ihipStream_tbDpT10_ENKUlT_T0_E_clISt17integral_constantIbLb1EES18_IbLb0EEEEDaS14_S15_EUlS14_E_NS1_11comp_targetILNS1_3genE5ELNS1_11target_archE942ELNS1_3gpuE9ELNS1_3repE0EEENS1_30default_config_static_selectorELNS0_4arch9wavefront6targetE1EEEvT1_,"axG",@progbits,_ZN7rocprim17ROCPRIM_400000_NS6detail17trampoline_kernelINS0_14default_configENS1_25partition_config_selectorILNS1_17partition_subalgoE1EsNS0_10empty_typeEbEEZZNS1_14partition_implILS5_1ELb0ES3_jN6thrust23THRUST_200600_302600_NS6detail15normal_iteratorINSA_10device_ptrIsEEEEPS6_NSA_18transform_iteratorI7is_evenIsESF_NSA_11use_defaultESK_EENS0_5tupleIJSF_SF_EEENSM_IJSG_SG_EEES6_PlJS6_EEE10hipError_tPvRmT3_T4_T5_T6_T7_T9_mT8_P12ihipStream_tbDpT10_ENKUlT_T0_E_clISt17integral_constantIbLb1EES18_IbLb0EEEEDaS14_S15_EUlS14_E_NS1_11comp_targetILNS1_3genE5ELNS1_11target_archE942ELNS1_3gpuE9ELNS1_3repE0EEENS1_30default_config_static_selectorELNS0_4arch9wavefront6targetE1EEEvT1_,comdat
.Lfunc_end466:
	.size	_ZN7rocprim17ROCPRIM_400000_NS6detail17trampoline_kernelINS0_14default_configENS1_25partition_config_selectorILNS1_17partition_subalgoE1EsNS0_10empty_typeEbEEZZNS1_14partition_implILS5_1ELb0ES3_jN6thrust23THRUST_200600_302600_NS6detail15normal_iteratorINSA_10device_ptrIsEEEEPS6_NSA_18transform_iteratorI7is_evenIsESF_NSA_11use_defaultESK_EENS0_5tupleIJSF_SF_EEENSM_IJSG_SG_EEES6_PlJS6_EEE10hipError_tPvRmT3_T4_T5_T6_T7_T9_mT8_P12ihipStream_tbDpT10_ENKUlT_T0_E_clISt17integral_constantIbLb1EES18_IbLb0EEEEDaS14_S15_EUlS14_E_NS1_11comp_targetILNS1_3genE5ELNS1_11target_archE942ELNS1_3gpuE9ELNS1_3repE0EEENS1_30default_config_static_selectorELNS0_4arch9wavefront6targetE1EEEvT1_, .Lfunc_end466-_ZN7rocprim17ROCPRIM_400000_NS6detail17trampoline_kernelINS0_14default_configENS1_25partition_config_selectorILNS1_17partition_subalgoE1EsNS0_10empty_typeEbEEZZNS1_14partition_implILS5_1ELb0ES3_jN6thrust23THRUST_200600_302600_NS6detail15normal_iteratorINSA_10device_ptrIsEEEEPS6_NSA_18transform_iteratorI7is_evenIsESF_NSA_11use_defaultESK_EENS0_5tupleIJSF_SF_EEENSM_IJSG_SG_EEES6_PlJS6_EEE10hipError_tPvRmT3_T4_T5_T6_T7_T9_mT8_P12ihipStream_tbDpT10_ENKUlT_T0_E_clISt17integral_constantIbLb1EES18_IbLb0EEEEDaS14_S15_EUlS14_E_NS1_11comp_targetILNS1_3genE5ELNS1_11target_archE942ELNS1_3gpuE9ELNS1_3repE0EEENS1_30default_config_static_selectorELNS0_4arch9wavefront6targetE1EEEvT1_
                                        ; -- End function
	.section	.AMDGPU.csdata,"",@progbits
; Kernel info:
; codeLenInByte = 12080
; NumSgprs: 50
; NumVgprs: 79
; NumAgprs: 0
; TotalNumVgprs: 79
; ScratchSize: 0
; MemoryBound: 0
; FloatMode: 240
; IeeeMode: 1
; LDSByteSize: 28680 bytes/workgroup (compile time only)
; SGPRBlocks: 6
; VGPRBlocks: 9
; NumSGPRsForWavesPerEU: 50
; NumVGPRsForWavesPerEU: 79
; AccumOffset: 80
; Occupancy: 4
; WaveLimiterHint : 1
; COMPUTE_PGM_RSRC2:SCRATCH_EN: 0
; COMPUTE_PGM_RSRC2:USER_SGPR: 2
; COMPUTE_PGM_RSRC2:TRAP_HANDLER: 0
; COMPUTE_PGM_RSRC2:TGID_X_EN: 1
; COMPUTE_PGM_RSRC2:TGID_Y_EN: 0
; COMPUTE_PGM_RSRC2:TGID_Z_EN: 0
; COMPUTE_PGM_RSRC2:TIDIG_COMP_CNT: 0
; COMPUTE_PGM_RSRC3_GFX90A:ACCUM_OFFSET: 19
; COMPUTE_PGM_RSRC3_GFX90A:TG_SPLIT: 0
	.section	.text._ZN7rocprim17ROCPRIM_400000_NS6detail17trampoline_kernelINS0_14default_configENS1_25partition_config_selectorILNS1_17partition_subalgoE1EsNS0_10empty_typeEbEEZZNS1_14partition_implILS5_1ELb0ES3_jN6thrust23THRUST_200600_302600_NS6detail15normal_iteratorINSA_10device_ptrIsEEEEPS6_NSA_18transform_iteratorI7is_evenIsESF_NSA_11use_defaultESK_EENS0_5tupleIJSF_SF_EEENSM_IJSG_SG_EEES6_PlJS6_EEE10hipError_tPvRmT3_T4_T5_T6_T7_T9_mT8_P12ihipStream_tbDpT10_ENKUlT_T0_E_clISt17integral_constantIbLb1EES18_IbLb0EEEEDaS14_S15_EUlS14_E_NS1_11comp_targetILNS1_3genE4ELNS1_11target_archE910ELNS1_3gpuE8ELNS1_3repE0EEENS1_30default_config_static_selectorELNS0_4arch9wavefront6targetE1EEEvT1_,"axG",@progbits,_ZN7rocprim17ROCPRIM_400000_NS6detail17trampoline_kernelINS0_14default_configENS1_25partition_config_selectorILNS1_17partition_subalgoE1EsNS0_10empty_typeEbEEZZNS1_14partition_implILS5_1ELb0ES3_jN6thrust23THRUST_200600_302600_NS6detail15normal_iteratorINSA_10device_ptrIsEEEEPS6_NSA_18transform_iteratorI7is_evenIsESF_NSA_11use_defaultESK_EENS0_5tupleIJSF_SF_EEENSM_IJSG_SG_EEES6_PlJS6_EEE10hipError_tPvRmT3_T4_T5_T6_T7_T9_mT8_P12ihipStream_tbDpT10_ENKUlT_T0_E_clISt17integral_constantIbLb1EES18_IbLb0EEEEDaS14_S15_EUlS14_E_NS1_11comp_targetILNS1_3genE4ELNS1_11target_archE910ELNS1_3gpuE8ELNS1_3repE0EEENS1_30default_config_static_selectorELNS0_4arch9wavefront6targetE1EEEvT1_,comdat
	.protected	_ZN7rocprim17ROCPRIM_400000_NS6detail17trampoline_kernelINS0_14default_configENS1_25partition_config_selectorILNS1_17partition_subalgoE1EsNS0_10empty_typeEbEEZZNS1_14partition_implILS5_1ELb0ES3_jN6thrust23THRUST_200600_302600_NS6detail15normal_iteratorINSA_10device_ptrIsEEEEPS6_NSA_18transform_iteratorI7is_evenIsESF_NSA_11use_defaultESK_EENS0_5tupleIJSF_SF_EEENSM_IJSG_SG_EEES6_PlJS6_EEE10hipError_tPvRmT3_T4_T5_T6_T7_T9_mT8_P12ihipStream_tbDpT10_ENKUlT_T0_E_clISt17integral_constantIbLb1EES18_IbLb0EEEEDaS14_S15_EUlS14_E_NS1_11comp_targetILNS1_3genE4ELNS1_11target_archE910ELNS1_3gpuE8ELNS1_3repE0EEENS1_30default_config_static_selectorELNS0_4arch9wavefront6targetE1EEEvT1_ ; -- Begin function _ZN7rocprim17ROCPRIM_400000_NS6detail17trampoline_kernelINS0_14default_configENS1_25partition_config_selectorILNS1_17partition_subalgoE1EsNS0_10empty_typeEbEEZZNS1_14partition_implILS5_1ELb0ES3_jN6thrust23THRUST_200600_302600_NS6detail15normal_iteratorINSA_10device_ptrIsEEEEPS6_NSA_18transform_iteratorI7is_evenIsESF_NSA_11use_defaultESK_EENS0_5tupleIJSF_SF_EEENSM_IJSG_SG_EEES6_PlJS6_EEE10hipError_tPvRmT3_T4_T5_T6_T7_T9_mT8_P12ihipStream_tbDpT10_ENKUlT_T0_E_clISt17integral_constantIbLb1EES18_IbLb0EEEEDaS14_S15_EUlS14_E_NS1_11comp_targetILNS1_3genE4ELNS1_11target_archE910ELNS1_3gpuE8ELNS1_3repE0EEENS1_30default_config_static_selectorELNS0_4arch9wavefront6targetE1EEEvT1_
	.globl	_ZN7rocprim17ROCPRIM_400000_NS6detail17trampoline_kernelINS0_14default_configENS1_25partition_config_selectorILNS1_17partition_subalgoE1EsNS0_10empty_typeEbEEZZNS1_14partition_implILS5_1ELb0ES3_jN6thrust23THRUST_200600_302600_NS6detail15normal_iteratorINSA_10device_ptrIsEEEEPS6_NSA_18transform_iteratorI7is_evenIsESF_NSA_11use_defaultESK_EENS0_5tupleIJSF_SF_EEENSM_IJSG_SG_EEES6_PlJS6_EEE10hipError_tPvRmT3_T4_T5_T6_T7_T9_mT8_P12ihipStream_tbDpT10_ENKUlT_T0_E_clISt17integral_constantIbLb1EES18_IbLb0EEEEDaS14_S15_EUlS14_E_NS1_11comp_targetILNS1_3genE4ELNS1_11target_archE910ELNS1_3gpuE8ELNS1_3repE0EEENS1_30default_config_static_selectorELNS0_4arch9wavefront6targetE1EEEvT1_
	.p2align	8
	.type	_ZN7rocprim17ROCPRIM_400000_NS6detail17trampoline_kernelINS0_14default_configENS1_25partition_config_selectorILNS1_17partition_subalgoE1EsNS0_10empty_typeEbEEZZNS1_14partition_implILS5_1ELb0ES3_jN6thrust23THRUST_200600_302600_NS6detail15normal_iteratorINSA_10device_ptrIsEEEEPS6_NSA_18transform_iteratorI7is_evenIsESF_NSA_11use_defaultESK_EENS0_5tupleIJSF_SF_EEENSM_IJSG_SG_EEES6_PlJS6_EEE10hipError_tPvRmT3_T4_T5_T6_T7_T9_mT8_P12ihipStream_tbDpT10_ENKUlT_T0_E_clISt17integral_constantIbLb1EES18_IbLb0EEEEDaS14_S15_EUlS14_E_NS1_11comp_targetILNS1_3genE4ELNS1_11target_archE910ELNS1_3gpuE8ELNS1_3repE0EEENS1_30default_config_static_selectorELNS0_4arch9wavefront6targetE1EEEvT1_,@function
_ZN7rocprim17ROCPRIM_400000_NS6detail17trampoline_kernelINS0_14default_configENS1_25partition_config_selectorILNS1_17partition_subalgoE1EsNS0_10empty_typeEbEEZZNS1_14partition_implILS5_1ELb0ES3_jN6thrust23THRUST_200600_302600_NS6detail15normal_iteratorINSA_10device_ptrIsEEEEPS6_NSA_18transform_iteratorI7is_evenIsESF_NSA_11use_defaultESK_EENS0_5tupleIJSF_SF_EEENSM_IJSG_SG_EEES6_PlJS6_EEE10hipError_tPvRmT3_T4_T5_T6_T7_T9_mT8_P12ihipStream_tbDpT10_ENKUlT_T0_E_clISt17integral_constantIbLb1EES18_IbLb0EEEEDaS14_S15_EUlS14_E_NS1_11comp_targetILNS1_3genE4ELNS1_11target_archE910ELNS1_3gpuE8ELNS1_3repE0EEENS1_30default_config_static_selectorELNS0_4arch9wavefront6targetE1EEEvT1_: ; @_ZN7rocprim17ROCPRIM_400000_NS6detail17trampoline_kernelINS0_14default_configENS1_25partition_config_selectorILNS1_17partition_subalgoE1EsNS0_10empty_typeEbEEZZNS1_14partition_implILS5_1ELb0ES3_jN6thrust23THRUST_200600_302600_NS6detail15normal_iteratorINSA_10device_ptrIsEEEEPS6_NSA_18transform_iteratorI7is_evenIsESF_NSA_11use_defaultESK_EENS0_5tupleIJSF_SF_EEENSM_IJSG_SG_EEES6_PlJS6_EEE10hipError_tPvRmT3_T4_T5_T6_T7_T9_mT8_P12ihipStream_tbDpT10_ENKUlT_T0_E_clISt17integral_constantIbLb1EES18_IbLb0EEEEDaS14_S15_EUlS14_E_NS1_11comp_targetILNS1_3genE4ELNS1_11target_archE910ELNS1_3gpuE8ELNS1_3repE0EEENS1_30default_config_static_selectorELNS0_4arch9wavefront6targetE1EEEvT1_
; %bb.0:
	.section	.rodata,"a",@progbits
	.p2align	6, 0x0
	.amdhsa_kernel _ZN7rocprim17ROCPRIM_400000_NS6detail17trampoline_kernelINS0_14default_configENS1_25partition_config_selectorILNS1_17partition_subalgoE1EsNS0_10empty_typeEbEEZZNS1_14partition_implILS5_1ELb0ES3_jN6thrust23THRUST_200600_302600_NS6detail15normal_iteratorINSA_10device_ptrIsEEEEPS6_NSA_18transform_iteratorI7is_evenIsESF_NSA_11use_defaultESK_EENS0_5tupleIJSF_SF_EEENSM_IJSG_SG_EEES6_PlJS6_EEE10hipError_tPvRmT3_T4_T5_T6_T7_T9_mT8_P12ihipStream_tbDpT10_ENKUlT_T0_E_clISt17integral_constantIbLb1EES18_IbLb0EEEEDaS14_S15_EUlS14_E_NS1_11comp_targetILNS1_3genE4ELNS1_11target_archE910ELNS1_3gpuE8ELNS1_3repE0EEENS1_30default_config_static_selectorELNS0_4arch9wavefront6targetE1EEEvT1_
		.amdhsa_group_segment_fixed_size 0
		.amdhsa_private_segment_fixed_size 0
		.amdhsa_kernarg_size 128
		.amdhsa_user_sgpr_count 2
		.amdhsa_user_sgpr_dispatch_ptr 0
		.amdhsa_user_sgpr_queue_ptr 0
		.amdhsa_user_sgpr_kernarg_segment_ptr 1
		.amdhsa_user_sgpr_dispatch_id 0
		.amdhsa_user_sgpr_kernarg_preload_length 0
		.amdhsa_user_sgpr_kernarg_preload_offset 0
		.amdhsa_user_sgpr_private_segment_size 0
		.amdhsa_uses_dynamic_stack 0
		.amdhsa_enable_private_segment 0
		.amdhsa_system_sgpr_workgroup_id_x 1
		.amdhsa_system_sgpr_workgroup_id_y 0
		.amdhsa_system_sgpr_workgroup_id_z 0
		.amdhsa_system_sgpr_workgroup_info 0
		.amdhsa_system_vgpr_workitem_id 0
		.amdhsa_next_free_vgpr 1
		.amdhsa_next_free_sgpr 0
		.amdhsa_accum_offset 4
		.amdhsa_reserve_vcc 0
		.amdhsa_float_round_mode_32 0
		.amdhsa_float_round_mode_16_64 0
		.amdhsa_float_denorm_mode_32 3
		.amdhsa_float_denorm_mode_16_64 3
		.amdhsa_dx10_clamp 1
		.amdhsa_ieee_mode 1
		.amdhsa_fp16_overflow 0
		.amdhsa_tg_split 0
		.amdhsa_exception_fp_ieee_invalid_op 0
		.amdhsa_exception_fp_denorm_src 0
		.amdhsa_exception_fp_ieee_div_zero 0
		.amdhsa_exception_fp_ieee_overflow 0
		.amdhsa_exception_fp_ieee_underflow 0
		.amdhsa_exception_fp_ieee_inexact 0
		.amdhsa_exception_int_div_zero 0
	.end_amdhsa_kernel
	.section	.text._ZN7rocprim17ROCPRIM_400000_NS6detail17trampoline_kernelINS0_14default_configENS1_25partition_config_selectorILNS1_17partition_subalgoE1EsNS0_10empty_typeEbEEZZNS1_14partition_implILS5_1ELb0ES3_jN6thrust23THRUST_200600_302600_NS6detail15normal_iteratorINSA_10device_ptrIsEEEEPS6_NSA_18transform_iteratorI7is_evenIsESF_NSA_11use_defaultESK_EENS0_5tupleIJSF_SF_EEENSM_IJSG_SG_EEES6_PlJS6_EEE10hipError_tPvRmT3_T4_T5_T6_T7_T9_mT8_P12ihipStream_tbDpT10_ENKUlT_T0_E_clISt17integral_constantIbLb1EES18_IbLb0EEEEDaS14_S15_EUlS14_E_NS1_11comp_targetILNS1_3genE4ELNS1_11target_archE910ELNS1_3gpuE8ELNS1_3repE0EEENS1_30default_config_static_selectorELNS0_4arch9wavefront6targetE1EEEvT1_,"axG",@progbits,_ZN7rocprim17ROCPRIM_400000_NS6detail17trampoline_kernelINS0_14default_configENS1_25partition_config_selectorILNS1_17partition_subalgoE1EsNS0_10empty_typeEbEEZZNS1_14partition_implILS5_1ELb0ES3_jN6thrust23THRUST_200600_302600_NS6detail15normal_iteratorINSA_10device_ptrIsEEEEPS6_NSA_18transform_iteratorI7is_evenIsESF_NSA_11use_defaultESK_EENS0_5tupleIJSF_SF_EEENSM_IJSG_SG_EEES6_PlJS6_EEE10hipError_tPvRmT3_T4_T5_T6_T7_T9_mT8_P12ihipStream_tbDpT10_ENKUlT_T0_E_clISt17integral_constantIbLb1EES18_IbLb0EEEEDaS14_S15_EUlS14_E_NS1_11comp_targetILNS1_3genE4ELNS1_11target_archE910ELNS1_3gpuE8ELNS1_3repE0EEENS1_30default_config_static_selectorELNS0_4arch9wavefront6targetE1EEEvT1_,comdat
.Lfunc_end467:
	.size	_ZN7rocprim17ROCPRIM_400000_NS6detail17trampoline_kernelINS0_14default_configENS1_25partition_config_selectorILNS1_17partition_subalgoE1EsNS0_10empty_typeEbEEZZNS1_14partition_implILS5_1ELb0ES3_jN6thrust23THRUST_200600_302600_NS6detail15normal_iteratorINSA_10device_ptrIsEEEEPS6_NSA_18transform_iteratorI7is_evenIsESF_NSA_11use_defaultESK_EENS0_5tupleIJSF_SF_EEENSM_IJSG_SG_EEES6_PlJS6_EEE10hipError_tPvRmT3_T4_T5_T6_T7_T9_mT8_P12ihipStream_tbDpT10_ENKUlT_T0_E_clISt17integral_constantIbLb1EES18_IbLb0EEEEDaS14_S15_EUlS14_E_NS1_11comp_targetILNS1_3genE4ELNS1_11target_archE910ELNS1_3gpuE8ELNS1_3repE0EEENS1_30default_config_static_selectorELNS0_4arch9wavefront6targetE1EEEvT1_, .Lfunc_end467-_ZN7rocprim17ROCPRIM_400000_NS6detail17trampoline_kernelINS0_14default_configENS1_25partition_config_selectorILNS1_17partition_subalgoE1EsNS0_10empty_typeEbEEZZNS1_14partition_implILS5_1ELb0ES3_jN6thrust23THRUST_200600_302600_NS6detail15normal_iteratorINSA_10device_ptrIsEEEEPS6_NSA_18transform_iteratorI7is_evenIsESF_NSA_11use_defaultESK_EENS0_5tupleIJSF_SF_EEENSM_IJSG_SG_EEES6_PlJS6_EEE10hipError_tPvRmT3_T4_T5_T6_T7_T9_mT8_P12ihipStream_tbDpT10_ENKUlT_T0_E_clISt17integral_constantIbLb1EES18_IbLb0EEEEDaS14_S15_EUlS14_E_NS1_11comp_targetILNS1_3genE4ELNS1_11target_archE910ELNS1_3gpuE8ELNS1_3repE0EEENS1_30default_config_static_selectorELNS0_4arch9wavefront6targetE1EEEvT1_
                                        ; -- End function
	.section	.AMDGPU.csdata,"",@progbits
; Kernel info:
; codeLenInByte = 0
; NumSgprs: 6
; NumVgprs: 0
; NumAgprs: 0
; TotalNumVgprs: 0
; ScratchSize: 0
; MemoryBound: 0
; FloatMode: 240
; IeeeMode: 1
; LDSByteSize: 0 bytes/workgroup (compile time only)
; SGPRBlocks: 0
; VGPRBlocks: 0
; NumSGPRsForWavesPerEU: 6
; NumVGPRsForWavesPerEU: 1
; AccumOffset: 4
; Occupancy: 8
; WaveLimiterHint : 0
; COMPUTE_PGM_RSRC2:SCRATCH_EN: 0
; COMPUTE_PGM_RSRC2:USER_SGPR: 2
; COMPUTE_PGM_RSRC2:TRAP_HANDLER: 0
; COMPUTE_PGM_RSRC2:TGID_X_EN: 1
; COMPUTE_PGM_RSRC2:TGID_Y_EN: 0
; COMPUTE_PGM_RSRC2:TGID_Z_EN: 0
; COMPUTE_PGM_RSRC2:TIDIG_COMP_CNT: 0
; COMPUTE_PGM_RSRC3_GFX90A:ACCUM_OFFSET: 0
; COMPUTE_PGM_RSRC3_GFX90A:TG_SPLIT: 0
	.section	.text._ZN7rocprim17ROCPRIM_400000_NS6detail17trampoline_kernelINS0_14default_configENS1_25partition_config_selectorILNS1_17partition_subalgoE1EsNS0_10empty_typeEbEEZZNS1_14partition_implILS5_1ELb0ES3_jN6thrust23THRUST_200600_302600_NS6detail15normal_iteratorINSA_10device_ptrIsEEEEPS6_NSA_18transform_iteratorI7is_evenIsESF_NSA_11use_defaultESK_EENS0_5tupleIJSF_SF_EEENSM_IJSG_SG_EEES6_PlJS6_EEE10hipError_tPvRmT3_T4_T5_T6_T7_T9_mT8_P12ihipStream_tbDpT10_ENKUlT_T0_E_clISt17integral_constantIbLb1EES18_IbLb0EEEEDaS14_S15_EUlS14_E_NS1_11comp_targetILNS1_3genE3ELNS1_11target_archE908ELNS1_3gpuE7ELNS1_3repE0EEENS1_30default_config_static_selectorELNS0_4arch9wavefront6targetE1EEEvT1_,"axG",@progbits,_ZN7rocprim17ROCPRIM_400000_NS6detail17trampoline_kernelINS0_14default_configENS1_25partition_config_selectorILNS1_17partition_subalgoE1EsNS0_10empty_typeEbEEZZNS1_14partition_implILS5_1ELb0ES3_jN6thrust23THRUST_200600_302600_NS6detail15normal_iteratorINSA_10device_ptrIsEEEEPS6_NSA_18transform_iteratorI7is_evenIsESF_NSA_11use_defaultESK_EENS0_5tupleIJSF_SF_EEENSM_IJSG_SG_EEES6_PlJS6_EEE10hipError_tPvRmT3_T4_T5_T6_T7_T9_mT8_P12ihipStream_tbDpT10_ENKUlT_T0_E_clISt17integral_constantIbLb1EES18_IbLb0EEEEDaS14_S15_EUlS14_E_NS1_11comp_targetILNS1_3genE3ELNS1_11target_archE908ELNS1_3gpuE7ELNS1_3repE0EEENS1_30default_config_static_selectorELNS0_4arch9wavefront6targetE1EEEvT1_,comdat
	.protected	_ZN7rocprim17ROCPRIM_400000_NS6detail17trampoline_kernelINS0_14default_configENS1_25partition_config_selectorILNS1_17partition_subalgoE1EsNS0_10empty_typeEbEEZZNS1_14partition_implILS5_1ELb0ES3_jN6thrust23THRUST_200600_302600_NS6detail15normal_iteratorINSA_10device_ptrIsEEEEPS6_NSA_18transform_iteratorI7is_evenIsESF_NSA_11use_defaultESK_EENS0_5tupleIJSF_SF_EEENSM_IJSG_SG_EEES6_PlJS6_EEE10hipError_tPvRmT3_T4_T5_T6_T7_T9_mT8_P12ihipStream_tbDpT10_ENKUlT_T0_E_clISt17integral_constantIbLb1EES18_IbLb0EEEEDaS14_S15_EUlS14_E_NS1_11comp_targetILNS1_3genE3ELNS1_11target_archE908ELNS1_3gpuE7ELNS1_3repE0EEENS1_30default_config_static_selectorELNS0_4arch9wavefront6targetE1EEEvT1_ ; -- Begin function _ZN7rocprim17ROCPRIM_400000_NS6detail17trampoline_kernelINS0_14default_configENS1_25partition_config_selectorILNS1_17partition_subalgoE1EsNS0_10empty_typeEbEEZZNS1_14partition_implILS5_1ELb0ES3_jN6thrust23THRUST_200600_302600_NS6detail15normal_iteratorINSA_10device_ptrIsEEEEPS6_NSA_18transform_iteratorI7is_evenIsESF_NSA_11use_defaultESK_EENS0_5tupleIJSF_SF_EEENSM_IJSG_SG_EEES6_PlJS6_EEE10hipError_tPvRmT3_T4_T5_T6_T7_T9_mT8_P12ihipStream_tbDpT10_ENKUlT_T0_E_clISt17integral_constantIbLb1EES18_IbLb0EEEEDaS14_S15_EUlS14_E_NS1_11comp_targetILNS1_3genE3ELNS1_11target_archE908ELNS1_3gpuE7ELNS1_3repE0EEENS1_30default_config_static_selectorELNS0_4arch9wavefront6targetE1EEEvT1_
	.globl	_ZN7rocprim17ROCPRIM_400000_NS6detail17trampoline_kernelINS0_14default_configENS1_25partition_config_selectorILNS1_17partition_subalgoE1EsNS0_10empty_typeEbEEZZNS1_14partition_implILS5_1ELb0ES3_jN6thrust23THRUST_200600_302600_NS6detail15normal_iteratorINSA_10device_ptrIsEEEEPS6_NSA_18transform_iteratorI7is_evenIsESF_NSA_11use_defaultESK_EENS0_5tupleIJSF_SF_EEENSM_IJSG_SG_EEES6_PlJS6_EEE10hipError_tPvRmT3_T4_T5_T6_T7_T9_mT8_P12ihipStream_tbDpT10_ENKUlT_T0_E_clISt17integral_constantIbLb1EES18_IbLb0EEEEDaS14_S15_EUlS14_E_NS1_11comp_targetILNS1_3genE3ELNS1_11target_archE908ELNS1_3gpuE7ELNS1_3repE0EEENS1_30default_config_static_selectorELNS0_4arch9wavefront6targetE1EEEvT1_
	.p2align	8
	.type	_ZN7rocprim17ROCPRIM_400000_NS6detail17trampoline_kernelINS0_14default_configENS1_25partition_config_selectorILNS1_17partition_subalgoE1EsNS0_10empty_typeEbEEZZNS1_14partition_implILS5_1ELb0ES3_jN6thrust23THRUST_200600_302600_NS6detail15normal_iteratorINSA_10device_ptrIsEEEEPS6_NSA_18transform_iteratorI7is_evenIsESF_NSA_11use_defaultESK_EENS0_5tupleIJSF_SF_EEENSM_IJSG_SG_EEES6_PlJS6_EEE10hipError_tPvRmT3_T4_T5_T6_T7_T9_mT8_P12ihipStream_tbDpT10_ENKUlT_T0_E_clISt17integral_constantIbLb1EES18_IbLb0EEEEDaS14_S15_EUlS14_E_NS1_11comp_targetILNS1_3genE3ELNS1_11target_archE908ELNS1_3gpuE7ELNS1_3repE0EEENS1_30default_config_static_selectorELNS0_4arch9wavefront6targetE1EEEvT1_,@function
_ZN7rocprim17ROCPRIM_400000_NS6detail17trampoline_kernelINS0_14default_configENS1_25partition_config_selectorILNS1_17partition_subalgoE1EsNS0_10empty_typeEbEEZZNS1_14partition_implILS5_1ELb0ES3_jN6thrust23THRUST_200600_302600_NS6detail15normal_iteratorINSA_10device_ptrIsEEEEPS6_NSA_18transform_iteratorI7is_evenIsESF_NSA_11use_defaultESK_EENS0_5tupleIJSF_SF_EEENSM_IJSG_SG_EEES6_PlJS6_EEE10hipError_tPvRmT3_T4_T5_T6_T7_T9_mT8_P12ihipStream_tbDpT10_ENKUlT_T0_E_clISt17integral_constantIbLb1EES18_IbLb0EEEEDaS14_S15_EUlS14_E_NS1_11comp_targetILNS1_3genE3ELNS1_11target_archE908ELNS1_3gpuE7ELNS1_3repE0EEENS1_30default_config_static_selectorELNS0_4arch9wavefront6targetE1EEEvT1_: ; @_ZN7rocprim17ROCPRIM_400000_NS6detail17trampoline_kernelINS0_14default_configENS1_25partition_config_selectorILNS1_17partition_subalgoE1EsNS0_10empty_typeEbEEZZNS1_14partition_implILS5_1ELb0ES3_jN6thrust23THRUST_200600_302600_NS6detail15normal_iteratorINSA_10device_ptrIsEEEEPS6_NSA_18transform_iteratorI7is_evenIsESF_NSA_11use_defaultESK_EENS0_5tupleIJSF_SF_EEENSM_IJSG_SG_EEES6_PlJS6_EEE10hipError_tPvRmT3_T4_T5_T6_T7_T9_mT8_P12ihipStream_tbDpT10_ENKUlT_T0_E_clISt17integral_constantIbLb1EES18_IbLb0EEEEDaS14_S15_EUlS14_E_NS1_11comp_targetILNS1_3genE3ELNS1_11target_archE908ELNS1_3gpuE7ELNS1_3repE0EEENS1_30default_config_static_selectorELNS0_4arch9wavefront6targetE1EEEvT1_
; %bb.0:
	.section	.rodata,"a",@progbits
	.p2align	6, 0x0
	.amdhsa_kernel _ZN7rocprim17ROCPRIM_400000_NS6detail17trampoline_kernelINS0_14default_configENS1_25partition_config_selectorILNS1_17partition_subalgoE1EsNS0_10empty_typeEbEEZZNS1_14partition_implILS5_1ELb0ES3_jN6thrust23THRUST_200600_302600_NS6detail15normal_iteratorINSA_10device_ptrIsEEEEPS6_NSA_18transform_iteratorI7is_evenIsESF_NSA_11use_defaultESK_EENS0_5tupleIJSF_SF_EEENSM_IJSG_SG_EEES6_PlJS6_EEE10hipError_tPvRmT3_T4_T5_T6_T7_T9_mT8_P12ihipStream_tbDpT10_ENKUlT_T0_E_clISt17integral_constantIbLb1EES18_IbLb0EEEEDaS14_S15_EUlS14_E_NS1_11comp_targetILNS1_3genE3ELNS1_11target_archE908ELNS1_3gpuE7ELNS1_3repE0EEENS1_30default_config_static_selectorELNS0_4arch9wavefront6targetE1EEEvT1_
		.amdhsa_group_segment_fixed_size 0
		.amdhsa_private_segment_fixed_size 0
		.amdhsa_kernarg_size 128
		.amdhsa_user_sgpr_count 2
		.amdhsa_user_sgpr_dispatch_ptr 0
		.amdhsa_user_sgpr_queue_ptr 0
		.amdhsa_user_sgpr_kernarg_segment_ptr 1
		.amdhsa_user_sgpr_dispatch_id 0
		.amdhsa_user_sgpr_kernarg_preload_length 0
		.amdhsa_user_sgpr_kernarg_preload_offset 0
		.amdhsa_user_sgpr_private_segment_size 0
		.amdhsa_uses_dynamic_stack 0
		.amdhsa_enable_private_segment 0
		.amdhsa_system_sgpr_workgroup_id_x 1
		.amdhsa_system_sgpr_workgroup_id_y 0
		.amdhsa_system_sgpr_workgroup_id_z 0
		.amdhsa_system_sgpr_workgroup_info 0
		.amdhsa_system_vgpr_workitem_id 0
		.amdhsa_next_free_vgpr 1
		.amdhsa_next_free_sgpr 0
		.amdhsa_accum_offset 4
		.amdhsa_reserve_vcc 0
		.amdhsa_float_round_mode_32 0
		.amdhsa_float_round_mode_16_64 0
		.amdhsa_float_denorm_mode_32 3
		.amdhsa_float_denorm_mode_16_64 3
		.amdhsa_dx10_clamp 1
		.amdhsa_ieee_mode 1
		.amdhsa_fp16_overflow 0
		.amdhsa_tg_split 0
		.amdhsa_exception_fp_ieee_invalid_op 0
		.amdhsa_exception_fp_denorm_src 0
		.amdhsa_exception_fp_ieee_div_zero 0
		.amdhsa_exception_fp_ieee_overflow 0
		.amdhsa_exception_fp_ieee_underflow 0
		.amdhsa_exception_fp_ieee_inexact 0
		.amdhsa_exception_int_div_zero 0
	.end_amdhsa_kernel
	.section	.text._ZN7rocprim17ROCPRIM_400000_NS6detail17trampoline_kernelINS0_14default_configENS1_25partition_config_selectorILNS1_17partition_subalgoE1EsNS0_10empty_typeEbEEZZNS1_14partition_implILS5_1ELb0ES3_jN6thrust23THRUST_200600_302600_NS6detail15normal_iteratorINSA_10device_ptrIsEEEEPS6_NSA_18transform_iteratorI7is_evenIsESF_NSA_11use_defaultESK_EENS0_5tupleIJSF_SF_EEENSM_IJSG_SG_EEES6_PlJS6_EEE10hipError_tPvRmT3_T4_T5_T6_T7_T9_mT8_P12ihipStream_tbDpT10_ENKUlT_T0_E_clISt17integral_constantIbLb1EES18_IbLb0EEEEDaS14_S15_EUlS14_E_NS1_11comp_targetILNS1_3genE3ELNS1_11target_archE908ELNS1_3gpuE7ELNS1_3repE0EEENS1_30default_config_static_selectorELNS0_4arch9wavefront6targetE1EEEvT1_,"axG",@progbits,_ZN7rocprim17ROCPRIM_400000_NS6detail17trampoline_kernelINS0_14default_configENS1_25partition_config_selectorILNS1_17partition_subalgoE1EsNS0_10empty_typeEbEEZZNS1_14partition_implILS5_1ELb0ES3_jN6thrust23THRUST_200600_302600_NS6detail15normal_iteratorINSA_10device_ptrIsEEEEPS6_NSA_18transform_iteratorI7is_evenIsESF_NSA_11use_defaultESK_EENS0_5tupleIJSF_SF_EEENSM_IJSG_SG_EEES6_PlJS6_EEE10hipError_tPvRmT3_T4_T5_T6_T7_T9_mT8_P12ihipStream_tbDpT10_ENKUlT_T0_E_clISt17integral_constantIbLb1EES18_IbLb0EEEEDaS14_S15_EUlS14_E_NS1_11comp_targetILNS1_3genE3ELNS1_11target_archE908ELNS1_3gpuE7ELNS1_3repE0EEENS1_30default_config_static_selectorELNS0_4arch9wavefront6targetE1EEEvT1_,comdat
.Lfunc_end468:
	.size	_ZN7rocprim17ROCPRIM_400000_NS6detail17trampoline_kernelINS0_14default_configENS1_25partition_config_selectorILNS1_17partition_subalgoE1EsNS0_10empty_typeEbEEZZNS1_14partition_implILS5_1ELb0ES3_jN6thrust23THRUST_200600_302600_NS6detail15normal_iteratorINSA_10device_ptrIsEEEEPS6_NSA_18transform_iteratorI7is_evenIsESF_NSA_11use_defaultESK_EENS0_5tupleIJSF_SF_EEENSM_IJSG_SG_EEES6_PlJS6_EEE10hipError_tPvRmT3_T4_T5_T6_T7_T9_mT8_P12ihipStream_tbDpT10_ENKUlT_T0_E_clISt17integral_constantIbLb1EES18_IbLb0EEEEDaS14_S15_EUlS14_E_NS1_11comp_targetILNS1_3genE3ELNS1_11target_archE908ELNS1_3gpuE7ELNS1_3repE0EEENS1_30default_config_static_selectorELNS0_4arch9wavefront6targetE1EEEvT1_, .Lfunc_end468-_ZN7rocprim17ROCPRIM_400000_NS6detail17trampoline_kernelINS0_14default_configENS1_25partition_config_selectorILNS1_17partition_subalgoE1EsNS0_10empty_typeEbEEZZNS1_14partition_implILS5_1ELb0ES3_jN6thrust23THRUST_200600_302600_NS6detail15normal_iteratorINSA_10device_ptrIsEEEEPS6_NSA_18transform_iteratorI7is_evenIsESF_NSA_11use_defaultESK_EENS0_5tupleIJSF_SF_EEENSM_IJSG_SG_EEES6_PlJS6_EEE10hipError_tPvRmT3_T4_T5_T6_T7_T9_mT8_P12ihipStream_tbDpT10_ENKUlT_T0_E_clISt17integral_constantIbLb1EES18_IbLb0EEEEDaS14_S15_EUlS14_E_NS1_11comp_targetILNS1_3genE3ELNS1_11target_archE908ELNS1_3gpuE7ELNS1_3repE0EEENS1_30default_config_static_selectorELNS0_4arch9wavefront6targetE1EEEvT1_
                                        ; -- End function
	.section	.AMDGPU.csdata,"",@progbits
; Kernel info:
; codeLenInByte = 0
; NumSgprs: 6
; NumVgprs: 0
; NumAgprs: 0
; TotalNumVgprs: 0
; ScratchSize: 0
; MemoryBound: 0
; FloatMode: 240
; IeeeMode: 1
; LDSByteSize: 0 bytes/workgroup (compile time only)
; SGPRBlocks: 0
; VGPRBlocks: 0
; NumSGPRsForWavesPerEU: 6
; NumVGPRsForWavesPerEU: 1
; AccumOffset: 4
; Occupancy: 8
; WaveLimiterHint : 0
; COMPUTE_PGM_RSRC2:SCRATCH_EN: 0
; COMPUTE_PGM_RSRC2:USER_SGPR: 2
; COMPUTE_PGM_RSRC2:TRAP_HANDLER: 0
; COMPUTE_PGM_RSRC2:TGID_X_EN: 1
; COMPUTE_PGM_RSRC2:TGID_Y_EN: 0
; COMPUTE_PGM_RSRC2:TGID_Z_EN: 0
; COMPUTE_PGM_RSRC2:TIDIG_COMP_CNT: 0
; COMPUTE_PGM_RSRC3_GFX90A:ACCUM_OFFSET: 0
; COMPUTE_PGM_RSRC3_GFX90A:TG_SPLIT: 0
	.section	.text._ZN7rocprim17ROCPRIM_400000_NS6detail17trampoline_kernelINS0_14default_configENS1_25partition_config_selectorILNS1_17partition_subalgoE1EsNS0_10empty_typeEbEEZZNS1_14partition_implILS5_1ELb0ES3_jN6thrust23THRUST_200600_302600_NS6detail15normal_iteratorINSA_10device_ptrIsEEEEPS6_NSA_18transform_iteratorI7is_evenIsESF_NSA_11use_defaultESK_EENS0_5tupleIJSF_SF_EEENSM_IJSG_SG_EEES6_PlJS6_EEE10hipError_tPvRmT3_T4_T5_T6_T7_T9_mT8_P12ihipStream_tbDpT10_ENKUlT_T0_E_clISt17integral_constantIbLb1EES18_IbLb0EEEEDaS14_S15_EUlS14_E_NS1_11comp_targetILNS1_3genE2ELNS1_11target_archE906ELNS1_3gpuE6ELNS1_3repE0EEENS1_30default_config_static_selectorELNS0_4arch9wavefront6targetE1EEEvT1_,"axG",@progbits,_ZN7rocprim17ROCPRIM_400000_NS6detail17trampoline_kernelINS0_14default_configENS1_25partition_config_selectorILNS1_17partition_subalgoE1EsNS0_10empty_typeEbEEZZNS1_14partition_implILS5_1ELb0ES3_jN6thrust23THRUST_200600_302600_NS6detail15normal_iteratorINSA_10device_ptrIsEEEEPS6_NSA_18transform_iteratorI7is_evenIsESF_NSA_11use_defaultESK_EENS0_5tupleIJSF_SF_EEENSM_IJSG_SG_EEES6_PlJS6_EEE10hipError_tPvRmT3_T4_T5_T6_T7_T9_mT8_P12ihipStream_tbDpT10_ENKUlT_T0_E_clISt17integral_constantIbLb1EES18_IbLb0EEEEDaS14_S15_EUlS14_E_NS1_11comp_targetILNS1_3genE2ELNS1_11target_archE906ELNS1_3gpuE6ELNS1_3repE0EEENS1_30default_config_static_selectorELNS0_4arch9wavefront6targetE1EEEvT1_,comdat
	.protected	_ZN7rocprim17ROCPRIM_400000_NS6detail17trampoline_kernelINS0_14default_configENS1_25partition_config_selectorILNS1_17partition_subalgoE1EsNS0_10empty_typeEbEEZZNS1_14partition_implILS5_1ELb0ES3_jN6thrust23THRUST_200600_302600_NS6detail15normal_iteratorINSA_10device_ptrIsEEEEPS6_NSA_18transform_iteratorI7is_evenIsESF_NSA_11use_defaultESK_EENS0_5tupleIJSF_SF_EEENSM_IJSG_SG_EEES6_PlJS6_EEE10hipError_tPvRmT3_T4_T5_T6_T7_T9_mT8_P12ihipStream_tbDpT10_ENKUlT_T0_E_clISt17integral_constantIbLb1EES18_IbLb0EEEEDaS14_S15_EUlS14_E_NS1_11comp_targetILNS1_3genE2ELNS1_11target_archE906ELNS1_3gpuE6ELNS1_3repE0EEENS1_30default_config_static_selectorELNS0_4arch9wavefront6targetE1EEEvT1_ ; -- Begin function _ZN7rocprim17ROCPRIM_400000_NS6detail17trampoline_kernelINS0_14default_configENS1_25partition_config_selectorILNS1_17partition_subalgoE1EsNS0_10empty_typeEbEEZZNS1_14partition_implILS5_1ELb0ES3_jN6thrust23THRUST_200600_302600_NS6detail15normal_iteratorINSA_10device_ptrIsEEEEPS6_NSA_18transform_iteratorI7is_evenIsESF_NSA_11use_defaultESK_EENS0_5tupleIJSF_SF_EEENSM_IJSG_SG_EEES6_PlJS6_EEE10hipError_tPvRmT3_T4_T5_T6_T7_T9_mT8_P12ihipStream_tbDpT10_ENKUlT_T0_E_clISt17integral_constantIbLb1EES18_IbLb0EEEEDaS14_S15_EUlS14_E_NS1_11comp_targetILNS1_3genE2ELNS1_11target_archE906ELNS1_3gpuE6ELNS1_3repE0EEENS1_30default_config_static_selectorELNS0_4arch9wavefront6targetE1EEEvT1_
	.globl	_ZN7rocprim17ROCPRIM_400000_NS6detail17trampoline_kernelINS0_14default_configENS1_25partition_config_selectorILNS1_17partition_subalgoE1EsNS0_10empty_typeEbEEZZNS1_14partition_implILS5_1ELb0ES3_jN6thrust23THRUST_200600_302600_NS6detail15normal_iteratorINSA_10device_ptrIsEEEEPS6_NSA_18transform_iteratorI7is_evenIsESF_NSA_11use_defaultESK_EENS0_5tupleIJSF_SF_EEENSM_IJSG_SG_EEES6_PlJS6_EEE10hipError_tPvRmT3_T4_T5_T6_T7_T9_mT8_P12ihipStream_tbDpT10_ENKUlT_T0_E_clISt17integral_constantIbLb1EES18_IbLb0EEEEDaS14_S15_EUlS14_E_NS1_11comp_targetILNS1_3genE2ELNS1_11target_archE906ELNS1_3gpuE6ELNS1_3repE0EEENS1_30default_config_static_selectorELNS0_4arch9wavefront6targetE1EEEvT1_
	.p2align	8
	.type	_ZN7rocprim17ROCPRIM_400000_NS6detail17trampoline_kernelINS0_14default_configENS1_25partition_config_selectorILNS1_17partition_subalgoE1EsNS0_10empty_typeEbEEZZNS1_14partition_implILS5_1ELb0ES3_jN6thrust23THRUST_200600_302600_NS6detail15normal_iteratorINSA_10device_ptrIsEEEEPS6_NSA_18transform_iteratorI7is_evenIsESF_NSA_11use_defaultESK_EENS0_5tupleIJSF_SF_EEENSM_IJSG_SG_EEES6_PlJS6_EEE10hipError_tPvRmT3_T4_T5_T6_T7_T9_mT8_P12ihipStream_tbDpT10_ENKUlT_T0_E_clISt17integral_constantIbLb1EES18_IbLb0EEEEDaS14_S15_EUlS14_E_NS1_11comp_targetILNS1_3genE2ELNS1_11target_archE906ELNS1_3gpuE6ELNS1_3repE0EEENS1_30default_config_static_selectorELNS0_4arch9wavefront6targetE1EEEvT1_,@function
_ZN7rocprim17ROCPRIM_400000_NS6detail17trampoline_kernelINS0_14default_configENS1_25partition_config_selectorILNS1_17partition_subalgoE1EsNS0_10empty_typeEbEEZZNS1_14partition_implILS5_1ELb0ES3_jN6thrust23THRUST_200600_302600_NS6detail15normal_iteratorINSA_10device_ptrIsEEEEPS6_NSA_18transform_iteratorI7is_evenIsESF_NSA_11use_defaultESK_EENS0_5tupleIJSF_SF_EEENSM_IJSG_SG_EEES6_PlJS6_EEE10hipError_tPvRmT3_T4_T5_T6_T7_T9_mT8_P12ihipStream_tbDpT10_ENKUlT_T0_E_clISt17integral_constantIbLb1EES18_IbLb0EEEEDaS14_S15_EUlS14_E_NS1_11comp_targetILNS1_3genE2ELNS1_11target_archE906ELNS1_3gpuE6ELNS1_3repE0EEENS1_30default_config_static_selectorELNS0_4arch9wavefront6targetE1EEEvT1_: ; @_ZN7rocprim17ROCPRIM_400000_NS6detail17trampoline_kernelINS0_14default_configENS1_25partition_config_selectorILNS1_17partition_subalgoE1EsNS0_10empty_typeEbEEZZNS1_14partition_implILS5_1ELb0ES3_jN6thrust23THRUST_200600_302600_NS6detail15normal_iteratorINSA_10device_ptrIsEEEEPS6_NSA_18transform_iteratorI7is_evenIsESF_NSA_11use_defaultESK_EENS0_5tupleIJSF_SF_EEENSM_IJSG_SG_EEES6_PlJS6_EEE10hipError_tPvRmT3_T4_T5_T6_T7_T9_mT8_P12ihipStream_tbDpT10_ENKUlT_T0_E_clISt17integral_constantIbLb1EES18_IbLb0EEEEDaS14_S15_EUlS14_E_NS1_11comp_targetILNS1_3genE2ELNS1_11target_archE906ELNS1_3gpuE6ELNS1_3repE0EEENS1_30default_config_static_selectorELNS0_4arch9wavefront6targetE1EEEvT1_
; %bb.0:
	.section	.rodata,"a",@progbits
	.p2align	6, 0x0
	.amdhsa_kernel _ZN7rocprim17ROCPRIM_400000_NS6detail17trampoline_kernelINS0_14default_configENS1_25partition_config_selectorILNS1_17partition_subalgoE1EsNS0_10empty_typeEbEEZZNS1_14partition_implILS5_1ELb0ES3_jN6thrust23THRUST_200600_302600_NS6detail15normal_iteratorINSA_10device_ptrIsEEEEPS6_NSA_18transform_iteratorI7is_evenIsESF_NSA_11use_defaultESK_EENS0_5tupleIJSF_SF_EEENSM_IJSG_SG_EEES6_PlJS6_EEE10hipError_tPvRmT3_T4_T5_T6_T7_T9_mT8_P12ihipStream_tbDpT10_ENKUlT_T0_E_clISt17integral_constantIbLb1EES18_IbLb0EEEEDaS14_S15_EUlS14_E_NS1_11comp_targetILNS1_3genE2ELNS1_11target_archE906ELNS1_3gpuE6ELNS1_3repE0EEENS1_30default_config_static_selectorELNS0_4arch9wavefront6targetE1EEEvT1_
		.amdhsa_group_segment_fixed_size 0
		.amdhsa_private_segment_fixed_size 0
		.amdhsa_kernarg_size 128
		.amdhsa_user_sgpr_count 2
		.amdhsa_user_sgpr_dispatch_ptr 0
		.amdhsa_user_sgpr_queue_ptr 0
		.amdhsa_user_sgpr_kernarg_segment_ptr 1
		.amdhsa_user_sgpr_dispatch_id 0
		.amdhsa_user_sgpr_kernarg_preload_length 0
		.amdhsa_user_sgpr_kernarg_preload_offset 0
		.amdhsa_user_sgpr_private_segment_size 0
		.amdhsa_uses_dynamic_stack 0
		.amdhsa_enable_private_segment 0
		.amdhsa_system_sgpr_workgroup_id_x 1
		.amdhsa_system_sgpr_workgroup_id_y 0
		.amdhsa_system_sgpr_workgroup_id_z 0
		.amdhsa_system_sgpr_workgroup_info 0
		.amdhsa_system_vgpr_workitem_id 0
		.amdhsa_next_free_vgpr 1
		.amdhsa_next_free_sgpr 0
		.amdhsa_accum_offset 4
		.amdhsa_reserve_vcc 0
		.amdhsa_float_round_mode_32 0
		.amdhsa_float_round_mode_16_64 0
		.amdhsa_float_denorm_mode_32 3
		.amdhsa_float_denorm_mode_16_64 3
		.amdhsa_dx10_clamp 1
		.amdhsa_ieee_mode 1
		.amdhsa_fp16_overflow 0
		.amdhsa_tg_split 0
		.amdhsa_exception_fp_ieee_invalid_op 0
		.amdhsa_exception_fp_denorm_src 0
		.amdhsa_exception_fp_ieee_div_zero 0
		.amdhsa_exception_fp_ieee_overflow 0
		.amdhsa_exception_fp_ieee_underflow 0
		.amdhsa_exception_fp_ieee_inexact 0
		.amdhsa_exception_int_div_zero 0
	.end_amdhsa_kernel
	.section	.text._ZN7rocprim17ROCPRIM_400000_NS6detail17trampoline_kernelINS0_14default_configENS1_25partition_config_selectorILNS1_17partition_subalgoE1EsNS0_10empty_typeEbEEZZNS1_14partition_implILS5_1ELb0ES3_jN6thrust23THRUST_200600_302600_NS6detail15normal_iteratorINSA_10device_ptrIsEEEEPS6_NSA_18transform_iteratorI7is_evenIsESF_NSA_11use_defaultESK_EENS0_5tupleIJSF_SF_EEENSM_IJSG_SG_EEES6_PlJS6_EEE10hipError_tPvRmT3_T4_T5_T6_T7_T9_mT8_P12ihipStream_tbDpT10_ENKUlT_T0_E_clISt17integral_constantIbLb1EES18_IbLb0EEEEDaS14_S15_EUlS14_E_NS1_11comp_targetILNS1_3genE2ELNS1_11target_archE906ELNS1_3gpuE6ELNS1_3repE0EEENS1_30default_config_static_selectorELNS0_4arch9wavefront6targetE1EEEvT1_,"axG",@progbits,_ZN7rocprim17ROCPRIM_400000_NS6detail17trampoline_kernelINS0_14default_configENS1_25partition_config_selectorILNS1_17partition_subalgoE1EsNS0_10empty_typeEbEEZZNS1_14partition_implILS5_1ELb0ES3_jN6thrust23THRUST_200600_302600_NS6detail15normal_iteratorINSA_10device_ptrIsEEEEPS6_NSA_18transform_iteratorI7is_evenIsESF_NSA_11use_defaultESK_EENS0_5tupleIJSF_SF_EEENSM_IJSG_SG_EEES6_PlJS6_EEE10hipError_tPvRmT3_T4_T5_T6_T7_T9_mT8_P12ihipStream_tbDpT10_ENKUlT_T0_E_clISt17integral_constantIbLb1EES18_IbLb0EEEEDaS14_S15_EUlS14_E_NS1_11comp_targetILNS1_3genE2ELNS1_11target_archE906ELNS1_3gpuE6ELNS1_3repE0EEENS1_30default_config_static_selectorELNS0_4arch9wavefront6targetE1EEEvT1_,comdat
.Lfunc_end469:
	.size	_ZN7rocprim17ROCPRIM_400000_NS6detail17trampoline_kernelINS0_14default_configENS1_25partition_config_selectorILNS1_17partition_subalgoE1EsNS0_10empty_typeEbEEZZNS1_14partition_implILS5_1ELb0ES3_jN6thrust23THRUST_200600_302600_NS6detail15normal_iteratorINSA_10device_ptrIsEEEEPS6_NSA_18transform_iteratorI7is_evenIsESF_NSA_11use_defaultESK_EENS0_5tupleIJSF_SF_EEENSM_IJSG_SG_EEES6_PlJS6_EEE10hipError_tPvRmT3_T4_T5_T6_T7_T9_mT8_P12ihipStream_tbDpT10_ENKUlT_T0_E_clISt17integral_constantIbLb1EES18_IbLb0EEEEDaS14_S15_EUlS14_E_NS1_11comp_targetILNS1_3genE2ELNS1_11target_archE906ELNS1_3gpuE6ELNS1_3repE0EEENS1_30default_config_static_selectorELNS0_4arch9wavefront6targetE1EEEvT1_, .Lfunc_end469-_ZN7rocprim17ROCPRIM_400000_NS6detail17trampoline_kernelINS0_14default_configENS1_25partition_config_selectorILNS1_17partition_subalgoE1EsNS0_10empty_typeEbEEZZNS1_14partition_implILS5_1ELb0ES3_jN6thrust23THRUST_200600_302600_NS6detail15normal_iteratorINSA_10device_ptrIsEEEEPS6_NSA_18transform_iteratorI7is_evenIsESF_NSA_11use_defaultESK_EENS0_5tupleIJSF_SF_EEENSM_IJSG_SG_EEES6_PlJS6_EEE10hipError_tPvRmT3_T4_T5_T6_T7_T9_mT8_P12ihipStream_tbDpT10_ENKUlT_T0_E_clISt17integral_constantIbLb1EES18_IbLb0EEEEDaS14_S15_EUlS14_E_NS1_11comp_targetILNS1_3genE2ELNS1_11target_archE906ELNS1_3gpuE6ELNS1_3repE0EEENS1_30default_config_static_selectorELNS0_4arch9wavefront6targetE1EEEvT1_
                                        ; -- End function
	.section	.AMDGPU.csdata,"",@progbits
; Kernel info:
; codeLenInByte = 0
; NumSgprs: 6
; NumVgprs: 0
; NumAgprs: 0
; TotalNumVgprs: 0
; ScratchSize: 0
; MemoryBound: 0
; FloatMode: 240
; IeeeMode: 1
; LDSByteSize: 0 bytes/workgroup (compile time only)
; SGPRBlocks: 0
; VGPRBlocks: 0
; NumSGPRsForWavesPerEU: 6
; NumVGPRsForWavesPerEU: 1
; AccumOffset: 4
; Occupancy: 8
; WaveLimiterHint : 0
; COMPUTE_PGM_RSRC2:SCRATCH_EN: 0
; COMPUTE_PGM_RSRC2:USER_SGPR: 2
; COMPUTE_PGM_RSRC2:TRAP_HANDLER: 0
; COMPUTE_PGM_RSRC2:TGID_X_EN: 1
; COMPUTE_PGM_RSRC2:TGID_Y_EN: 0
; COMPUTE_PGM_RSRC2:TGID_Z_EN: 0
; COMPUTE_PGM_RSRC2:TIDIG_COMP_CNT: 0
; COMPUTE_PGM_RSRC3_GFX90A:ACCUM_OFFSET: 0
; COMPUTE_PGM_RSRC3_GFX90A:TG_SPLIT: 0
	.section	.text._ZN7rocprim17ROCPRIM_400000_NS6detail17trampoline_kernelINS0_14default_configENS1_25partition_config_selectorILNS1_17partition_subalgoE1EsNS0_10empty_typeEbEEZZNS1_14partition_implILS5_1ELb0ES3_jN6thrust23THRUST_200600_302600_NS6detail15normal_iteratorINSA_10device_ptrIsEEEEPS6_NSA_18transform_iteratorI7is_evenIsESF_NSA_11use_defaultESK_EENS0_5tupleIJSF_SF_EEENSM_IJSG_SG_EEES6_PlJS6_EEE10hipError_tPvRmT3_T4_T5_T6_T7_T9_mT8_P12ihipStream_tbDpT10_ENKUlT_T0_E_clISt17integral_constantIbLb1EES18_IbLb0EEEEDaS14_S15_EUlS14_E_NS1_11comp_targetILNS1_3genE10ELNS1_11target_archE1200ELNS1_3gpuE4ELNS1_3repE0EEENS1_30default_config_static_selectorELNS0_4arch9wavefront6targetE1EEEvT1_,"axG",@progbits,_ZN7rocprim17ROCPRIM_400000_NS6detail17trampoline_kernelINS0_14default_configENS1_25partition_config_selectorILNS1_17partition_subalgoE1EsNS0_10empty_typeEbEEZZNS1_14partition_implILS5_1ELb0ES3_jN6thrust23THRUST_200600_302600_NS6detail15normal_iteratorINSA_10device_ptrIsEEEEPS6_NSA_18transform_iteratorI7is_evenIsESF_NSA_11use_defaultESK_EENS0_5tupleIJSF_SF_EEENSM_IJSG_SG_EEES6_PlJS6_EEE10hipError_tPvRmT3_T4_T5_T6_T7_T9_mT8_P12ihipStream_tbDpT10_ENKUlT_T0_E_clISt17integral_constantIbLb1EES18_IbLb0EEEEDaS14_S15_EUlS14_E_NS1_11comp_targetILNS1_3genE10ELNS1_11target_archE1200ELNS1_3gpuE4ELNS1_3repE0EEENS1_30default_config_static_selectorELNS0_4arch9wavefront6targetE1EEEvT1_,comdat
	.protected	_ZN7rocprim17ROCPRIM_400000_NS6detail17trampoline_kernelINS0_14default_configENS1_25partition_config_selectorILNS1_17partition_subalgoE1EsNS0_10empty_typeEbEEZZNS1_14partition_implILS5_1ELb0ES3_jN6thrust23THRUST_200600_302600_NS6detail15normal_iteratorINSA_10device_ptrIsEEEEPS6_NSA_18transform_iteratorI7is_evenIsESF_NSA_11use_defaultESK_EENS0_5tupleIJSF_SF_EEENSM_IJSG_SG_EEES6_PlJS6_EEE10hipError_tPvRmT3_T4_T5_T6_T7_T9_mT8_P12ihipStream_tbDpT10_ENKUlT_T0_E_clISt17integral_constantIbLb1EES18_IbLb0EEEEDaS14_S15_EUlS14_E_NS1_11comp_targetILNS1_3genE10ELNS1_11target_archE1200ELNS1_3gpuE4ELNS1_3repE0EEENS1_30default_config_static_selectorELNS0_4arch9wavefront6targetE1EEEvT1_ ; -- Begin function _ZN7rocprim17ROCPRIM_400000_NS6detail17trampoline_kernelINS0_14default_configENS1_25partition_config_selectorILNS1_17partition_subalgoE1EsNS0_10empty_typeEbEEZZNS1_14partition_implILS5_1ELb0ES3_jN6thrust23THRUST_200600_302600_NS6detail15normal_iteratorINSA_10device_ptrIsEEEEPS6_NSA_18transform_iteratorI7is_evenIsESF_NSA_11use_defaultESK_EENS0_5tupleIJSF_SF_EEENSM_IJSG_SG_EEES6_PlJS6_EEE10hipError_tPvRmT3_T4_T5_T6_T7_T9_mT8_P12ihipStream_tbDpT10_ENKUlT_T0_E_clISt17integral_constantIbLb1EES18_IbLb0EEEEDaS14_S15_EUlS14_E_NS1_11comp_targetILNS1_3genE10ELNS1_11target_archE1200ELNS1_3gpuE4ELNS1_3repE0EEENS1_30default_config_static_selectorELNS0_4arch9wavefront6targetE1EEEvT1_
	.globl	_ZN7rocprim17ROCPRIM_400000_NS6detail17trampoline_kernelINS0_14default_configENS1_25partition_config_selectorILNS1_17partition_subalgoE1EsNS0_10empty_typeEbEEZZNS1_14partition_implILS5_1ELb0ES3_jN6thrust23THRUST_200600_302600_NS6detail15normal_iteratorINSA_10device_ptrIsEEEEPS6_NSA_18transform_iteratorI7is_evenIsESF_NSA_11use_defaultESK_EENS0_5tupleIJSF_SF_EEENSM_IJSG_SG_EEES6_PlJS6_EEE10hipError_tPvRmT3_T4_T5_T6_T7_T9_mT8_P12ihipStream_tbDpT10_ENKUlT_T0_E_clISt17integral_constantIbLb1EES18_IbLb0EEEEDaS14_S15_EUlS14_E_NS1_11comp_targetILNS1_3genE10ELNS1_11target_archE1200ELNS1_3gpuE4ELNS1_3repE0EEENS1_30default_config_static_selectorELNS0_4arch9wavefront6targetE1EEEvT1_
	.p2align	8
	.type	_ZN7rocprim17ROCPRIM_400000_NS6detail17trampoline_kernelINS0_14default_configENS1_25partition_config_selectorILNS1_17partition_subalgoE1EsNS0_10empty_typeEbEEZZNS1_14partition_implILS5_1ELb0ES3_jN6thrust23THRUST_200600_302600_NS6detail15normal_iteratorINSA_10device_ptrIsEEEEPS6_NSA_18transform_iteratorI7is_evenIsESF_NSA_11use_defaultESK_EENS0_5tupleIJSF_SF_EEENSM_IJSG_SG_EEES6_PlJS6_EEE10hipError_tPvRmT3_T4_T5_T6_T7_T9_mT8_P12ihipStream_tbDpT10_ENKUlT_T0_E_clISt17integral_constantIbLb1EES18_IbLb0EEEEDaS14_S15_EUlS14_E_NS1_11comp_targetILNS1_3genE10ELNS1_11target_archE1200ELNS1_3gpuE4ELNS1_3repE0EEENS1_30default_config_static_selectorELNS0_4arch9wavefront6targetE1EEEvT1_,@function
_ZN7rocprim17ROCPRIM_400000_NS6detail17trampoline_kernelINS0_14default_configENS1_25partition_config_selectorILNS1_17partition_subalgoE1EsNS0_10empty_typeEbEEZZNS1_14partition_implILS5_1ELb0ES3_jN6thrust23THRUST_200600_302600_NS6detail15normal_iteratorINSA_10device_ptrIsEEEEPS6_NSA_18transform_iteratorI7is_evenIsESF_NSA_11use_defaultESK_EENS0_5tupleIJSF_SF_EEENSM_IJSG_SG_EEES6_PlJS6_EEE10hipError_tPvRmT3_T4_T5_T6_T7_T9_mT8_P12ihipStream_tbDpT10_ENKUlT_T0_E_clISt17integral_constantIbLb1EES18_IbLb0EEEEDaS14_S15_EUlS14_E_NS1_11comp_targetILNS1_3genE10ELNS1_11target_archE1200ELNS1_3gpuE4ELNS1_3repE0EEENS1_30default_config_static_selectorELNS0_4arch9wavefront6targetE1EEEvT1_: ; @_ZN7rocprim17ROCPRIM_400000_NS6detail17trampoline_kernelINS0_14default_configENS1_25partition_config_selectorILNS1_17partition_subalgoE1EsNS0_10empty_typeEbEEZZNS1_14partition_implILS5_1ELb0ES3_jN6thrust23THRUST_200600_302600_NS6detail15normal_iteratorINSA_10device_ptrIsEEEEPS6_NSA_18transform_iteratorI7is_evenIsESF_NSA_11use_defaultESK_EENS0_5tupleIJSF_SF_EEENSM_IJSG_SG_EEES6_PlJS6_EEE10hipError_tPvRmT3_T4_T5_T6_T7_T9_mT8_P12ihipStream_tbDpT10_ENKUlT_T0_E_clISt17integral_constantIbLb1EES18_IbLb0EEEEDaS14_S15_EUlS14_E_NS1_11comp_targetILNS1_3genE10ELNS1_11target_archE1200ELNS1_3gpuE4ELNS1_3repE0EEENS1_30default_config_static_selectorELNS0_4arch9wavefront6targetE1EEEvT1_
; %bb.0:
	.section	.rodata,"a",@progbits
	.p2align	6, 0x0
	.amdhsa_kernel _ZN7rocprim17ROCPRIM_400000_NS6detail17trampoline_kernelINS0_14default_configENS1_25partition_config_selectorILNS1_17partition_subalgoE1EsNS0_10empty_typeEbEEZZNS1_14partition_implILS5_1ELb0ES3_jN6thrust23THRUST_200600_302600_NS6detail15normal_iteratorINSA_10device_ptrIsEEEEPS6_NSA_18transform_iteratorI7is_evenIsESF_NSA_11use_defaultESK_EENS0_5tupleIJSF_SF_EEENSM_IJSG_SG_EEES6_PlJS6_EEE10hipError_tPvRmT3_T4_T5_T6_T7_T9_mT8_P12ihipStream_tbDpT10_ENKUlT_T0_E_clISt17integral_constantIbLb1EES18_IbLb0EEEEDaS14_S15_EUlS14_E_NS1_11comp_targetILNS1_3genE10ELNS1_11target_archE1200ELNS1_3gpuE4ELNS1_3repE0EEENS1_30default_config_static_selectorELNS0_4arch9wavefront6targetE1EEEvT1_
		.amdhsa_group_segment_fixed_size 0
		.amdhsa_private_segment_fixed_size 0
		.amdhsa_kernarg_size 128
		.amdhsa_user_sgpr_count 2
		.amdhsa_user_sgpr_dispatch_ptr 0
		.amdhsa_user_sgpr_queue_ptr 0
		.amdhsa_user_sgpr_kernarg_segment_ptr 1
		.amdhsa_user_sgpr_dispatch_id 0
		.amdhsa_user_sgpr_kernarg_preload_length 0
		.amdhsa_user_sgpr_kernarg_preload_offset 0
		.amdhsa_user_sgpr_private_segment_size 0
		.amdhsa_uses_dynamic_stack 0
		.amdhsa_enable_private_segment 0
		.amdhsa_system_sgpr_workgroup_id_x 1
		.amdhsa_system_sgpr_workgroup_id_y 0
		.amdhsa_system_sgpr_workgroup_id_z 0
		.amdhsa_system_sgpr_workgroup_info 0
		.amdhsa_system_vgpr_workitem_id 0
		.amdhsa_next_free_vgpr 1
		.amdhsa_next_free_sgpr 0
		.amdhsa_accum_offset 4
		.amdhsa_reserve_vcc 0
		.amdhsa_float_round_mode_32 0
		.amdhsa_float_round_mode_16_64 0
		.amdhsa_float_denorm_mode_32 3
		.amdhsa_float_denorm_mode_16_64 3
		.amdhsa_dx10_clamp 1
		.amdhsa_ieee_mode 1
		.amdhsa_fp16_overflow 0
		.amdhsa_tg_split 0
		.amdhsa_exception_fp_ieee_invalid_op 0
		.amdhsa_exception_fp_denorm_src 0
		.amdhsa_exception_fp_ieee_div_zero 0
		.amdhsa_exception_fp_ieee_overflow 0
		.amdhsa_exception_fp_ieee_underflow 0
		.amdhsa_exception_fp_ieee_inexact 0
		.amdhsa_exception_int_div_zero 0
	.end_amdhsa_kernel
	.section	.text._ZN7rocprim17ROCPRIM_400000_NS6detail17trampoline_kernelINS0_14default_configENS1_25partition_config_selectorILNS1_17partition_subalgoE1EsNS0_10empty_typeEbEEZZNS1_14partition_implILS5_1ELb0ES3_jN6thrust23THRUST_200600_302600_NS6detail15normal_iteratorINSA_10device_ptrIsEEEEPS6_NSA_18transform_iteratorI7is_evenIsESF_NSA_11use_defaultESK_EENS0_5tupleIJSF_SF_EEENSM_IJSG_SG_EEES6_PlJS6_EEE10hipError_tPvRmT3_T4_T5_T6_T7_T9_mT8_P12ihipStream_tbDpT10_ENKUlT_T0_E_clISt17integral_constantIbLb1EES18_IbLb0EEEEDaS14_S15_EUlS14_E_NS1_11comp_targetILNS1_3genE10ELNS1_11target_archE1200ELNS1_3gpuE4ELNS1_3repE0EEENS1_30default_config_static_selectorELNS0_4arch9wavefront6targetE1EEEvT1_,"axG",@progbits,_ZN7rocprim17ROCPRIM_400000_NS6detail17trampoline_kernelINS0_14default_configENS1_25partition_config_selectorILNS1_17partition_subalgoE1EsNS0_10empty_typeEbEEZZNS1_14partition_implILS5_1ELb0ES3_jN6thrust23THRUST_200600_302600_NS6detail15normal_iteratorINSA_10device_ptrIsEEEEPS6_NSA_18transform_iteratorI7is_evenIsESF_NSA_11use_defaultESK_EENS0_5tupleIJSF_SF_EEENSM_IJSG_SG_EEES6_PlJS6_EEE10hipError_tPvRmT3_T4_T5_T6_T7_T9_mT8_P12ihipStream_tbDpT10_ENKUlT_T0_E_clISt17integral_constantIbLb1EES18_IbLb0EEEEDaS14_S15_EUlS14_E_NS1_11comp_targetILNS1_3genE10ELNS1_11target_archE1200ELNS1_3gpuE4ELNS1_3repE0EEENS1_30default_config_static_selectorELNS0_4arch9wavefront6targetE1EEEvT1_,comdat
.Lfunc_end470:
	.size	_ZN7rocprim17ROCPRIM_400000_NS6detail17trampoline_kernelINS0_14default_configENS1_25partition_config_selectorILNS1_17partition_subalgoE1EsNS0_10empty_typeEbEEZZNS1_14partition_implILS5_1ELb0ES3_jN6thrust23THRUST_200600_302600_NS6detail15normal_iteratorINSA_10device_ptrIsEEEEPS6_NSA_18transform_iteratorI7is_evenIsESF_NSA_11use_defaultESK_EENS0_5tupleIJSF_SF_EEENSM_IJSG_SG_EEES6_PlJS6_EEE10hipError_tPvRmT3_T4_T5_T6_T7_T9_mT8_P12ihipStream_tbDpT10_ENKUlT_T0_E_clISt17integral_constantIbLb1EES18_IbLb0EEEEDaS14_S15_EUlS14_E_NS1_11comp_targetILNS1_3genE10ELNS1_11target_archE1200ELNS1_3gpuE4ELNS1_3repE0EEENS1_30default_config_static_selectorELNS0_4arch9wavefront6targetE1EEEvT1_, .Lfunc_end470-_ZN7rocprim17ROCPRIM_400000_NS6detail17trampoline_kernelINS0_14default_configENS1_25partition_config_selectorILNS1_17partition_subalgoE1EsNS0_10empty_typeEbEEZZNS1_14partition_implILS5_1ELb0ES3_jN6thrust23THRUST_200600_302600_NS6detail15normal_iteratorINSA_10device_ptrIsEEEEPS6_NSA_18transform_iteratorI7is_evenIsESF_NSA_11use_defaultESK_EENS0_5tupleIJSF_SF_EEENSM_IJSG_SG_EEES6_PlJS6_EEE10hipError_tPvRmT3_T4_T5_T6_T7_T9_mT8_P12ihipStream_tbDpT10_ENKUlT_T0_E_clISt17integral_constantIbLb1EES18_IbLb0EEEEDaS14_S15_EUlS14_E_NS1_11comp_targetILNS1_3genE10ELNS1_11target_archE1200ELNS1_3gpuE4ELNS1_3repE0EEENS1_30default_config_static_selectorELNS0_4arch9wavefront6targetE1EEEvT1_
                                        ; -- End function
	.section	.AMDGPU.csdata,"",@progbits
; Kernel info:
; codeLenInByte = 0
; NumSgprs: 6
; NumVgprs: 0
; NumAgprs: 0
; TotalNumVgprs: 0
; ScratchSize: 0
; MemoryBound: 0
; FloatMode: 240
; IeeeMode: 1
; LDSByteSize: 0 bytes/workgroup (compile time only)
; SGPRBlocks: 0
; VGPRBlocks: 0
; NumSGPRsForWavesPerEU: 6
; NumVGPRsForWavesPerEU: 1
; AccumOffset: 4
; Occupancy: 8
; WaveLimiterHint : 0
; COMPUTE_PGM_RSRC2:SCRATCH_EN: 0
; COMPUTE_PGM_RSRC2:USER_SGPR: 2
; COMPUTE_PGM_RSRC2:TRAP_HANDLER: 0
; COMPUTE_PGM_RSRC2:TGID_X_EN: 1
; COMPUTE_PGM_RSRC2:TGID_Y_EN: 0
; COMPUTE_PGM_RSRC2:TGID_Z_EN: 0
; COMPUTE_PGM_RSRC2:TIDIG_COMP_CNT: 0
; COMPUTE_PGM_RSRC3_GFX90A:ACCUM_OFFSET: 0
; COMPUTE_PGM_RSRC3_GFX90A:TG_SPLIT: 0
	.section	.text._ZN7rocprim17ROCPRIM_400000_NS6detail17trampoline_kernelINS0_14default_configENS1_25partition_config_selectorILNS1_17partition_subalgoE1EsNS0_10empty_typeEbEEZZNS1_14partition_implILS5_1ELb0ES3_jN6thrust23THRUST_200600_302600_NS6detail15normal_iteratorINSA_10device_ptrIsEEEEPS6_NSA_18transform_iteratorI7is_evenIsESF_NSA_11use_defaultESK_EENS0_5tupleIJSF_SF_EEENSM_IJSG_SG_EEES6_PlJS6_EEE10hipError_tPvRmT3_T4_T5_T6_T7_T9_mT8_P12ihipStream_tbDpT10_ENKUlT_T0_E_clISt17integral_constantIbLb1EES18_IbLb0EEEEDaS14_S15_EUlS14_E_NS1_11comp_targetILNS1_3genE9ELNS1_11target_archE1100ELNS1_3gpuE3ELNS1_3repE0EEENS1_30default_config_static_selectorELNS0_4arch9wavefront6targetE1EEEvT1_,"axG",@progbits,_ZN7rocprim17ROCPRIM_400000_NS6detail17trampoline_kernelINS0_14default_configENS1_25partition_config_selectorILNS1_17partition_subalgoE1EsNS0_10empty_typeEbEEZZNS1_14partition_implILS5_1ELb0ES3_jN6thrust23THRUST_200600_302600_NS6detail15normal_iteratorINSA_10device_ptrIsEEEEPS6_NSA_18transform_iteratorI7is_evenIsESF_NSA_11use_defaultESK_EENS0_5tupleIJSF_SF_EEENSM_IJSG_SG_EEES6_PlJS6_EEE10hipError_tPvRmT3_T4_T5_T6_T7_T9_mT8_P12ihipStream_tbDpT10_ENKUlT_T0_E_clISt17integral_constantIbLb1EES18_IbLb0EEEEDaS14_S15_EUlS14_E_NS1_11comp_targetILNS1_3genE9ELNS1_11target_archE1100ELNS1_3gpuE3ELNS1_3repE0EEENS1_30default_config_static_selectorELNS0_4arch9wavefront6targetE1EEEvT1_,comdat
	.protected	_ZN7rocprim17ROCPRIM_400000_NS6detail17trampoline_kernelINS0_14default_configENS1_25partition_config_selectorILNS1_17partition_subalgoE1EsNS0_10empty_typeEbEEZZNS1_14partition_implILS5_1ELb0ES3_jN6thrust23THRUST_200600_302600_NS6detail15normal_iteratorINSA_10device_ptrIsEEEEPS6_NSA_18transform_iteratorI7is_evenIsESF_NSA_11use_defaultESK_EENS0_5tupleIJSF_SF_EEENSM_IJSG_SG_EEES6_PlJS6_EEE10hipError_tPvRmT3_T4_T5_T6_T7_T9_mT8_P12ihipStream_tbDpT10_ENKUlT_T0_E_clISt17integral_constantIbLb1EES18_IbLb0EEEEDaS14_S15_EUlS14_E_NS1_11comp_targetILNS1_3genE9ELNS1_11target_archE1100ELNS1_3gpuE3ELNS1_3repE0EEENS1_30default_config_static_selectorELNS0_4arch9wavefront6targetE1EEEvT1_ ; -- Begin function _ZN7rocprim17ROCPRIM_400000_NS6detail17trampoline_kernelINS0_14default_configENS1_25partition_config_selectorILNS1_17partition_subalgoE1EsNS0_10empty_typeEbEEZZNS1_14partition_implILS5_1ELb0ES3_jN6thrust23THRUST_200600_302600_NS6detail15normal_iteratorINSA_10device_ptrIsEEEEPS6_NSA_18transform_iteratorI7is_evenIsESF_NSA_11use_defaultESK_EENS0_5tupleIJSF_SF_EEENSM_IJSG_SG_EEES6_PlJS6_EEE10hipError_tPvRmT3_T4_T5_T6_T7_T9_mT8_P12ihipStream_tbDpT10_ENKUlT_T0_E_clISt17integral_constantIbLb1EES18_IbLb0EEEEDaS14_S15_EUlS14_E_NS1_11comp_targetILNS1_3genE9ELNS1_11target_archE1100ELNS1_3gpuE3ELNS1_3repE0EEENS1_30default_config_static_selectorELNS0_4arch9wavefront6targetE1EEEvT1_
	.globl	_ZN7rocprim17ROCPRIM_400000_NS6detail17trampoline_kernelINS0_14default_configENS1_25partition_config_selectorILNS1_17partition_subalgoE1EsNS0_10empty_typeEbEEZZNS1_14partition_implILS5_1ELb0ES3_jN6thrust23THRUST_200600_302600_NS6detail15normal_iteratorINSA_10device_ptrIsEEEEPS6_NSA_18transform_iteratorI7is_evenIsESF_NSA_11use_defaultESK_EENS0_5tupleIJSF_SF_EEENSM_IJSG_SG_EEES6_PlJS6_EEE10hipError_tPvRmT3_T4_T5_T6_T7_T9_mT8_P12ihipStream_tbDpT10_ENKUlT_T0_E_clISt17integral_constantIbLb1EES18_IbLb0EEEEDaS14_S15_EUlS14_E_NS1_11comp_targetILNS1_3genE9ELNS1_11target_archE1100ELNS1_3gpuE3ELNS1_3repE0EEENS1_30default_config_static_selectorELNS0_4arch9wavefront6targetE1EEEvT1_
	.p2align	8
	.type	_ZN7rocprim17ROCPRIM_400000_NS6detail17trampoline_kernelINS0_14default_configENS1_25partition_config_selectorILNS1_17partition_subalgoE1EsNS0_10empty_typeEbEEZZNS1_14partition_implILS5_1ELb0ES3_jN6thrust23THRUST_200600_302600_NS6detail15normal_iteratorINSA_10device_ptrIsEEEEPS6_NSA_18transform_iteratorI7is_evenIsESF_NSA_11use_defaultESK_EENS0_5tupleIJSF_SF_EEENSM_IJSG_SG_EEES6_PlJS6_EEE10hipError_tPvRmT3_T4_T5_T6_T7_T9_mT8_P12ihipStream_tbDpT10_ENKUlT_T0_E_clISt17integral_constantIbLb1EES18_IbLb0EEEEDaS14_S15_EUlS14_E_NS1_11comp_targetILNS1_3genE9ELNS1_11target_archE1100ELNS1_3gpuE3ELNS1_3repE0EEENS1_30default_config_static_selectorELNS0_4arch9wavefront6targetE1EEEvT1_,@function
_ZN7rocprim17ROCPRIM_400000_NS6detail17trampoline_kernelINS0_14default_configENS1_25partition_config_selectorILNS1_17partition_subalgoE1EsNS0_10empty_typeEbEEZZNS1_14partition_implILS5_1ELb0ES3_jN6thrust23THRUST_200600_302600_NS6detail15normal_iteratorINSA_10device_ptrIsEEEEPS6_NSA_18transform_iteratorI7is_evenIsESF_NSA_11use_defaultESK_EENS0_5tupleIJSF_SF_EEENSM_IJSG_SG_EEES6_PlJS6_EEE10hipError_tPvRmT3_T4_T5_T6_T7_T9_mT8_P12ihipStream_tbDpT10_ENKUlT_T0_E_clISt17integral_constantIbLb1EES18_IbLb0EEEEDaS14_S15_EUlS14_E_NS1_11comp_targetILNS1_3genE9ELNS1_11target_archE1100ELNS1_3gpuE3ELNS1_3repE0EEENS1_30default_config_static_selectorELNS0_4arch9wavefront6targetE1EEEvT1_: ; @_ZN7rocprim17ROCPRIM_400000_NS6detail17trampoline_kernelINS0_14default_configENS1_25partition_config_selectorILNS1_17partition_subalgoE1EsNS0_10empty_typeEbEEZZNS1_14partition_implILS5_1ELb0ES3_jN6thrust23THRUST_200600_302600_NS6detail15normal_iteratorINSA_10device_ptrIsEEEEPS6_NSA_18transform_iteratorI7is_evenIsESF_NSA_11use_defaultESK_EENS0_5tupleIJSF_SF_EEENSM_IJSG_SG_EEES6_PlJS6_EEE10hipError_tPvRmT3_T4_T5_T6_T7_T9_mT8_P12ihipStream_tbDpT10_ENKUlT_T0_E_clISt17integral_constantIbLb1EES18_IbLb0EEEEDaS14_S15_EUlS14_E_NS1_11comp_targetILNS1_3genE9ELNS1_11target_archE1100ELNS1_3gpuE3ELNS1_3repE0EEENS1_30default_config_static_selectorELNS0_4arch9wavefront6targetE1EEEvT1_
; %bb.0:
	.section	.rodata,"a",@progbits
	.p2align	6, 0x0
	.amdhsa_kernel _ZN7rocprim17ROCPRIM_400000_NS6detail17trampoline_kernelINS0_14default_configENS1_25partition_config_selectorILNS1_17partition_subalgoE1EsNS0_10empty_typeEbEEZZNS1_14partition_implILS5_1ELb0ES3_jN6thrust23THRUST_200600_302600_NS6detail15normal_iteratorINSA_10device_ptrIsEEEEPS6_NSA_18transform_iteratorI7is_evenIsESF_NSA_11use_defaultESK_EENS0_5tupleIJSF_SF_EEENSM_IJSG_SG_EEES6_PlJS6_EEE10hipError_tPvRmT3_T4_T5_T6_T7_T9_mT8_P12ihipStream_tbDpT10_ENKUlT_T0_E_clISt17integral_constantIbLb1EES18_IbLb0EEEEDaS14_S15_EUlS14_E_NS1_11comp_targetILNS1_3genE9ELNS1_11target_archE1100ELNS1_3gpuE3ELNS1_3repE0EEENS1_30default_config_static_selectorELNS0_4arch9wavefront6targetE1EEEvT1_
		.amdhsa_group_segment_fixed_size 0
		.amdhsa_private_segment_fixed_size 0
		.amdhsa_kernarg_size 128
		.amdhsa_user_sgpr_count 2
		.amdhsa_user_sgpr_dispatch_ptr 0
		.amdhsa_user_sgpr_queue_ptr 0
		.amdhsa_user_sgpr_kernarg_segment_ptr 1
		.amdhsa_user_sgpr_dispatch_id 0
		.amdhsa_user_sgpr_kernarg_preload_length 0
		.amdhsa_user_sgpr_kernarg_preload_offset 0
		.amdhsa_user_sgpr_private_segment_size 0
		.amdhsa_uses_dynamic_stack 0
		.amdhsa_enable_private_segment 0
		.amdhsa_system_sgpr_workgroup_id_x 1
		.amdhsa_system_sgpr_workgroup_id_y 0
		.amdhsa_system_sgpr_workgroup_id_z 0
		.amdhsa_system_sgpr_workgroup_info 0
		.amdhsa_system_vgpr_workitem_id 0
		.amdhsa_next_free_vgpr 1
		.amdhsa_next_free_sgpr 0
		.amdhsa_accum_offset 4
		.amdhsa_reserve_vcc 0
		.amdhsa_float_round_mode_32 0
		.amdhsa_float_round_mode_16_64 0
		.amdhsa_float_denorm_mode_32 3
		.amdhsa_float_denorm_mode_16_64 3
		.amdhsa_dx10_clamp 1
		.amdhsa_ieee_mode 1
		.amdhsa_fp16_overflow 0
		.amdhsa_tg_split 0
		.amdhsa_exception_fp_ieee_invalid_op 0
		.amdhsa_exception_fp_denorm_src 0
		.amdhsa_exception_fp_ieee_div_zero 0
		.amdhsa_exception_fp_ieee_overflow 0
		.amdhsa_exception_fp_ieee_underflow 0
		.amdhsa_exception_fp_ieee_inexact 0
		.amdhsa_exception_int_div_zero 0
	.end_amdhsa_kernel
	.section	.text._ZN7rocprim17ROCPRIM_400000_NS6detail17trampoline_kernelINS0_14default_configENS1_25partition_config_selectorILNS1_17partition_subalgoE1EsNS0_10empty_typeEbEEZZNS1_14partition_implILS5_1ELb0ES3_jN6thrust23THRUST_200600_302600_NS6detail15normal_iteratorINSA_10device_ptrIsEEEEPS6_NSA_18transform_iteratorI7is_evenIsESF_NSA_11use_defaultESK_EENS0_5tupleIJSF_SF_EEENSM_IJSG_SG_EEES6_PlJS6_EEE10hipError_tPvRmT3_T4_T5_T6_T7_T9_mT8_P12ihipStream_tbDpT10_ENKUlT_T0_E_clISt17integral_constantIbLb1EES18_IbLb0EEEEDaS14_S15_EUlS14_E_NS1_11comp_targetILNS1_3genE9ELNS1_11target_archE1100ELNS1_3gpuE3ELNS1_3repE0EEENS1_30default_config_static_selectorELNS0_4arch9wavefront6targetE1EEEvT1_,"axG",@progbits,_ZN7rocprim17ROCPRIM_400000_NS6detail17trampoline_kernelINS0_14default_configENS1_25partition_config_selectorILNS1_17partition_subalgoE1EsNS0_10empty_typeEbEEZZNS1_14partition_implILS5_1ELb0ES3_jN6thrust23THRUST_200600_302600_NS6detail15normal_iteratorINSA_10device_ptrIsEEEEPS6_NSA_18transform_iteratorI7is_evenIsESF_NSA_11use_defaultESK_EENS0_5tupleIJSF_SF_EEENSM_IJSG_SG_EEES6_PlJS6_EEE10hipError_tPvRmT3_T4_T5_T6_T7_T9_mT8_P12ihipStream_tbDpT10_ENKUlT_T0_E_clISt17integral_constantIbLb1EES18_IbLb0EEEEDaS14_S15_EUlS14_E_NS1_11comp_targetILNS1_3genE9ELNS1_11target_archE1100ELNS1_3gpuE3ELNS1_3repE0EEENS1_30default_config_static_selectorELNS0_4arch9wavefront6targetE1EEEvT1_,comdat
.Lfunc_end471:
	.size	_ZN7rocprim17ROCPRIM_400000_NS6detail17trampoline_kernelINS0_14default_configENS1_25partition_config_selectorILNS1_17partition_subalgoE1EsNS0_10empty_typeEbEEZZNS1_14partition_implILS5_1ELb0ES3_jN6thrust23THRUST_200600_302600_NS6detail15normal_iteratorINSA_10device_ptrIsEEEEPS6_NSA_18transform_iteratorI7is_evenIsESF_NSA_11use_defaultESK_EENS0_5tupleIJSF_SF_EEENSM_IJSG_SG_EEES6_PlJS6_EEE10hipError_tPvRmT3_T4_T5_T6_T7_T9_mT8_P12ihipStream_tbDpT10_ENKUlT_T0_E_clISt17integral_constantIbLb1EES18_IbLb0EEEEDaS14_S15_EUlS14_E_NS1_11comp_targetILNS1_3genE9ELNS1_11target_archE1100ELNS1_3gpuE3ELNS1_3repE0EEENS1_30default_config_static_selectorELNS0_4arch9wavefront6targetE1EEEvT1_, .Lfunc_end471-_ZN7rocprim17ROCPRIM_400000_NS6detail17trampoline_kernelINS0_14default_configENS1_25partition_config_selectorILNS1_17partition_subalgoE1EsNS0_10empty_typeEbEEZZNS1_14partition_implILS5_1ELb0ES3_jN6thrust23THRUST_200600_302600_NS6detail15normal_iteratorINSA_10device_ptrIsEEEEPS6_NSA_18transform_iteratorI7is_evenIsESF_NSA_11use_defaultESK_EENS0_5tupleIJSF_SF_EEENSM_IJSG_SG_EEES6_PlJS6_EEE10hipError_tPvRmT3_T4_T5_T6_T7_T9_mT8_P12ihipStream_tbDpT10_ENKUlT_T0_E_clISt17integral_constantIbLb1EES18_IbLb0EEEEDaS14_S15_EUlS14_E_NS1_11comp_targetILNS1_3genE9ELNS1_11target_archE1100ELNS1_3gpuE3ELNS1_3repE0EEENS1_30default_config_static_selectorELNS0_4arch9wavefront6targetE1EEEvT1_
                                        ; -- End function
	.section	.AMDGPU.csdata,"",@progbits
; Kernel info:
; codeLenInByte = 0
; NumSgprs: 6
; NumVgprs: 0
; NumAgprs: 0
; TotalNumVgprs: 0
; ScratchSize: 0
; MemoryBound: 0
; FloatMode: 240
; IeeeMode: 1
; LDSByteSize: 0 bytes/workgroup (compile time only)
; SGPRBlocks: 0
; VGPRBlocks: 0
; NumSGPRsForWavesPerEU: 6
; NumVGPRsForWavesPerEU: 1
; AccumOffset: 4
; Occupancy: 8
; WaveLimiterHint : 0
; COMPUTE_PGM_RSRC2:SCRATCH_EN: 0
; COMPUTE_PGM_RSRC2:USER_SGPR: 2
; COMPUTE_PGM_RSRC2:TRAP_HANDLER: 0
; COMPUTE_PGM_RSRC2:TGID_X_EN: 1
; COMPUTE_PGM_RSRC2:TGID_Y_EN: 0
; COMPUTE_PGM_RSRC2:TGID_Z_EN: 0
; COMPUTE_PGM_RSRC2:TIDIG_COMP_CNT: 0
; COMPUTE_PGM_RSRC3_GFX90A:ACCUM_OFFSET: 0
; COMPUTE_PGM_RSRC3_GFX90A:TG_SPLIT: 0
	.section	.text._ZN7rocprim17ROCPRIM_400000_NS6detail17trampoline_kernelINS0_14default_configENS1_25partition_config_selectorILNS1_17partition_subalgoE1EsNS0_10empty_typeEbEEZZNS1_14partition_implILS5_1ELb0ES3_jN6thrust23THRUST_200600_302600_NS6detail15normal_iteratorINSA_10device_ptrIsEEEEPS6_NSA_18transform_iteratorI7is_evenIsESF_NSA_11use_defaultESK_EENS0_5tupleIJSF_SF_EEENSM_IJSG_SG_EEES6_PlJS6_EEE10hipError_tPvRmT3_T4_T5_T6_T7_T9_mT8_P12ihipStream_tbDpT10_ENKUlT_T0_E_clISt17integral_constantIbLb1EES18_IbLb0EEEEDaS14_S15_EUlS14_E_NS1_11comp_targetILNS1_3genE8ELNS1_11target_archE1030ELNS1_3gpuE2ELNS1_3repE0EEENS1_30default_config_static_selectorELNS0_4arch9wavefront6targetE1EEEvT1_,"axG",@progbits,_ZN7rocprim17ROCPRIM_400000_NS6detail17trampoline_kernelINS0_14default_configENS1_25partition_config_selectorILNS1_17partition_subalgoE1EsNS0_10empty_typeEbEEZZNS1_14partition_implILS5_1ELb0ES3_jN6thrust23THRUST_200600_302600_NS6detail15normal_iteratorINSA_10device_ptrIsEEEEPS6_NSA_18transform_iteratorI7is_evenIsESF_NSA_11use_defaultESK_EENS0_5tupleIJSF_SF_EEENSM_IJSG_SG_EEES6_PlJS6_EEE10hipError_tPvRmT3_T4_T5_T6_T7_T9_mT8_P12ihipStream_tbDpT10_ENKUlT_T0_E_clISt17integral_constantIbLb1EES18_IbLb0EEEEDaS14_S15_EUlS14_E_NS1_11comp_targetILNS1_3genE8ELNS1_11target_archE1030ELNS1_3gpuE2ELNS1_3repE0EEENS1_30default_config_static_selectorELNS0_4arch9wavefront6targetE1EEEvT1_,comdat
	.protected	_ZN7rocprim17ROCPRIM_400000_NS6detail17trampoline_kernelINS0_14default_configENS1_25partition_config_selectorILNS1_17partition_subalgoE1EsNS0_10empty_typeEbEEZZNS1_14partition_implILS5_1ELb0ES3_jN6thrust23THRUST_200600_302600_NS6detail15normal_iteratorINSA_10device_ptrIsEEEEPS6_NSA_18transform_iteratorI7is_evenIsESF_NSA_11use_defaultESK_EENS0_5tupleIJSF_SF_EEENSM_IJSG_SG_EEES6_PlJS6_EEE10hipError_tPvRmT3_T4_T5_T6_T7_T9_mT8_P12ihipStream_tbDpT10_ENKUlT_T0_E_clISt17integral_constantIbLb1EES18_IbLb0EEEEDaS14_S15_EUlS14_E_NS1_11comp_targetILNS1_3genE8ELNS1_11target_archE1030ELNS1_3gpuE2ELNS1_3repE0EEENS1_30default_config_static_selectorELNS0_4arch9wavefront6targetE1EEEvT1_ ; -- Begin function _ZN7rocprim17ROCPRIM_400000_NS6detail17trampoline_kernelINS0_14default_configENS1_25partition_config_selectorILNS1_17partition_subalgoE1EsNS0_10empty_typeEbEEZZNS1_14partition_implILS5_1ELb0ES3_jN6thrust23THRUST_200600_302600_NS6detail15normal_iteratorINSA_10device_ptrIsEEEEPS6_NSA_18transform_iteratorI7is_evenIsESF_NSA_11use_defaultESK_EENS0_5tupleIJSF_SF_EEENSM_IJSG_SG_EEES6_PlJS6_EEE10hipError_tPvRmT3_T4_T5_T6_T7_T9_mT8_P12ihipStream_tbDpT10_ENKUlT_T0_E_clISt17integral_constantIbLb1EES18_IbLb0EEEEDaS14_S15_EUlS14_E_NS1_11comp_targetILNS1_3genE8ELNS1_11target_archE1030ELNS1_3gpuE2ELNS1_3repE0EEENS1_30default_config_static_selectorELNS0_4arch9wavefront6targetE1EEEvT1_
	.globl	_ZN7rocprim17ROCPRIM_400000_NS6detail17trampoline_kernelINS0_14default_configENS1_25partition_config_selectorILNS1_17partition_subalgoE1EsNS0_10empty_typeEbEEZZNS1_14partition_implILS5_1ELb0ES3_jN6thrust23THRUST_200600_302600_NS6detail15normal_iteratorINSA_10device_ptrIsEEEEPS6_NSA_18transform_iteratorI7is_evenIsESF_NSA_11use_defaultESK_EENS0_5tupleIJSF_SF_EEENSM_IJSG_SG_EEES6_PlJS6_EEE10hipError_tPvRmT3_T4_T5_T6_T7_T9_mT8_P12ihipStream_tbDpT10_ENKUlT_T0_E_clISt17integral_constantIbLb1EES18_IbLb0EEEEDaS14_S15_EUlS14_E_NS1_11comp_targetILNS1_3genE8ELNS1_11target_archE1030ELNS1_3gpuE2ELNS1_3repE0EEENS1_30default_config_static_selectorELNS0_4arch9wavefront6targetE1EEEvT1_
	.p2align	8
	.type	_ZN7rocprim17ROCPRIM_400000_NS6detail17trampoline_kernelINS0_14default_configENS1_25partition_config_selectorILNS1_17partition_subalgoE1EsNS0_10empty_typeEbEEZZNS1_14partition_implILS5_1ELb0ES3_jN6thrust23THRUST_200600_302600_NS6detail15normal_iteratorINSA_10device_ptrIsEEEEPS6_NSA_18transform_iteratorI7is_evenIsESF_NSA_11use_defaultESK_EENS0_5tupleIJSF_SF_EEENSM_IJSG_SG_EEES6_PlJS6_EEE10hipError_tPvRmT3_T4_T5_T6_T7_T9_mT8_P12ihipStream_tbDpT10_ENKUlT_T0_E_clISt17integral_constantIbLb1EES18_IbLb0EEEEDaS14_S15_EUlS14_E_NS1_11comp_targetILNS1_3genE8ELNS1_11target_archE1030ELNS1_3gpuE2ELNS1_3repE0EEENS1_30default_config_static_selectorELNS0_4arch9wavefront6targetE1EEEvT1_,@function
_ZN7rocprim17ROCPRIM_400000_NS6detail17trampoline_kernelINS0_14default_configENS1_25partition_config_selectorILNS1_17partition_subalgoE1EsNS0_10empty_typeEbEEZZNS1_14partition_implILS5_1ELb0ES3_jN6thrust23THRUST_200600_302600_NS6detail15normal_iteratorINSA_10device_ptrIsEEEEPS6_NSA_18transform_iteratorI7is_evenIsESF_NSA_11use_defaultESK_EENS0_5tupleIJSF_SF_EEENSM_IJSG_SG_EEES6_PlJS6_EEE10hipError_tPvRmT3_T4_T5_T6_T7_T9_mT8_P12ihipStream_tbDpT10_ENKUlT_T0_E_clISt17integral_constantIbLb1EES18_IbLb0EEEEDaS14_S15_EUlS14_E_NS1_11comp_targetILNS1_3genE8ELNS1_11target_archE1030ELNS1_3gpuE2ELNS1_3repE0EEENS1_30default_config_static_selectorELNS0_4arch9wavefront6targetE1EEEvT1_: ; @_ZN7rocprim17ROCPRIM_400000_NS6detail17trampoline_kernelINS0_14default_configENS1_25partition_config_selectorILNS1_17partition_subalgoE1EsNS0_10empty_typeEbEEZZNS1_14partition_implILS5_1ELb0ES3_jN6thrust23THRUST_200600_302600_NS6detail15normal_iteratorINSA_10device_ptrIsEEEEPS6_NSA_18transform_iteratorI7is_evenIsESF_NSA_11use_defaultESK_EENS0_5tupleIJSF_SF_EEENSM_IJSG_SG_EEES6_PlJS6_EEE10hipError_tPvRmT3_T4_T5_T6_T7_T9_mT8_P12ihipStream_tbDpT10_ENKUlT_T0_E_clISt17integral_constantIbLb1EES18_IbLb0EEEEDaS14_S15_EUlS14_E_NS1_11comp_targetILNS1_3genE8ELNS1_11target_archE1030ELNS1_3gpuE2ELNS1_3repE0EEENS1_30default_config_static_selectorELNS0_4arch9wavefront6targetE1EEEvT1_
; %bb.0:
	.section	.rodata,"a",@progbits
	.p2align	6, 0x0
	.amdhsa_kernel _ZN7rocprim17ROCPRIM_400000_NS6detail17trampoline_kernelINS0_14default_configENS1_25partition_config_selectorILNS1_17partition_subalgoE1EsNS0_10empty_typeEbEEZZNS1_14partition_implILS5_1ELb0ES3_jN6thrust23THRUST_200600_302600_NS6detail15normal_iteratorINSA_10device_ptrIsEEEEPS6_NSA_18transform_iteratorI7is_evenIsESF_NSA_11use_defaultESK_EENS0_5tupleIJSF_SF_EEENSM_IJSG_SG_EEES6_PlJS6_EEE10hipError_tPvRmT3_T4_T5_T6_T7_T9_mT8_P12ihipStream_tbDpT10_ENKUlT_T0_E_clISt17integral_constantIbLb1EES18_IbLb0EEEEDaS14_S15_EUlS14_E_NS1_11comp_targetILNS1_3genE8ELNS1_11target_archE1030ELNS1_3gpuE2ELNS1_3repE0EEENS1_30default_config_static_selectorELNS0_4arch9wavefront6targetE1EEEvT1_
		.amdhsa_group_segment_fixed_size 0
		.amdhsa_private_segment_fixed_size 0
		.amdhsa_kernarg_size 128
		.amdhsa_user_sgpr_count 2
		.amdhsa_user_sgpr_dispatch_ptr 0
		.amdhsa_user_sgpr_queue_ptr 0
		.amdhsa_user_sgpr_kernarg_segment_ptr 1
		.amdhsa_user_sgpr_dispatch_id 0
		.amdhsa_user_sgpr_kernarg_preload_length 0
		.amdhsa_user_sgpr_kernarg_preload_offset 0
		.amdhsa_user_sgpr_private_segment_size 0
		.amdhsa_uses_dynamic_stack 0
		.amdhsa_enable_private_segment 0
		.amdhsa_system_sgpr_workgroup_id_x 1
		.amdhsa_system_sgpr_workgroup_id_y 0
		.amdhsa_system_sgpr_workgroup_id_z 0
		.amdhsa_system_sgpr_workgroup_info 0
		.amdhsa_system_vgpr_workitem_id 0
		.amdhsa_next_free_vgpr 1
		.amdhsa_next_free_sgpr 0
		.amdhsa_accum_offset 4
		.amdhsa_reserve_vcc 0
		.amdhsa_float_round_mode_32 0
		.amdhsa_float_round_mode_16_64 0
		.amdhsa_float_denorm_mode_32 3
		.amdhsa_float_denorm_mode_16_64 3
		.amdhsa_dx10_clamp 1
		.amdhsa_ieee_mode 1
		.amdhsa_fp16_overflow 0
		.amdhsa_tg_split 0
		.amdhsa_exception_fp_ieee_invalid_op 0
		.amdhsa_exception_fp_denorm_src 0
		.amdhsa_exception_fp_ieee_div_zero 0
		.amdhsa_exception_fp_ieee_overflow 0
		.amdhsa_exception_fp_ieee_underflow 0
		.amdhsa_exception_fp_ieee_inexact 0
		.amdhsa_exception_int_div_zero 0
	.end_amdhsa_kernel
	.section	.text._ZN7rocprim17ROCPRIM_400000_NS6detail17trampoline_kernelINS0_14default_configENS1_25partition_config_selectorILNS1_17partition_subalgoE1EsNS0_10empty_typeEbEEZZNS1_14partition_implILS5_1ELb0ES3_jN6thrust23THRUST_200600_302600_NS6detail15normal_iteratorINSA_10device_ptrIsEEEEPS6_NSA_18transform_iteratorI7is_evenIsESF_NSA_11use_defaultESK_EENS0_5tupleIJSF_SF_EEENSM_IJSG_SG_EEES6_PlJS6_EEE10hipError_tPvRmT3_T4_T5_T6_T7_T9_mT8_P12ihipStream_tbDpT10_ENKUlT_T0_E_clISt17integral_constantIbLb1EES18_IbLb0EEEEDaS14_S15_EUlS14_E_NS1_11comp_targetILNS1_3genE8ELNS1_11target_archE1030ELNS1_3gpuE2ELNS1_3repE0EEENS1_30default_config_static_selectorELNS0_4arch9wavefront6targetE1EEEvT1_,"axG",@progbits,_ZN7rocprim17ROCPRIM_400000_NS6detail17trampoline_kernelINS0_14default_configENS1_25partition_config_selectorILNS1_17partition_subalgoE1EsNS0_10empty_typeEbEEZZNS1_14partition_implILS5_1ELb0ES3_jN6thrust23THRUST_200600_302600_NS6detail15normal_iteratorINSA_10device_ptrIsEEEEPS6_NSA_18transform_iteratorI7is_evenIsESF_NSA_11use_defaultESK_EENS0_5tupleIJSF_SF_EEENSM_IJSG_SG_EEES6_PlJS6_EEE10hipError_tPvRmT3_T4_T5_T6_T7_T9_mT8_P12ihipStream_tbDpT10_ENKUlT_T0_E_clISt17integral_constantIbLb1EES18_IbLb0EEEEDaS14_S15_EUlS14_E_NS1_11comp_targetILNS1_3genE8ELNS1_11target_archE1030ELNS1_3gpuE2ELNS1_3repE0EEENS1_30default_config_static_selectorELNS0_4arch9wavefront6targetE1EEEvT1_,comdat
.Lfunc_end472:
	.size	_ZN7rocprim17ROCPRIM_400000_NS6detail17trampoline_kernelINS0_14default_configENS1_25partition_config_selectorILNS1_17partition_subalgoE1EsNS0_10empty_typeEbEEZZNS1_14partition_implILS5_1ELb0ES3_jN6thrust23THRUST_200600_302600_NS6detail15normal_iteratorINSA_10device_ptrIsEEEEPS6_NSA_18transform_iteratorI7is_evenIsESF_NSA_11use_defaultESK_EENS0_5tupleIJSF_SF_EEENSM_IJSG_SG_EEES6_PlJS6_EEE10hipError_tPvRmT3_T4_T5_T6_T7_T9_mT8_P12ihipStream_tbDpT10_ENKUlT_T0_E_clISt17integral_constantIbLb1EES18_IbLb0EEEEDaS14_S15_EUlS14_E_NS1_11comp_targetILNS1_3genE8ELNS1_11target_archE1030ELNS1_3gpuE2ELNS1_3repE0EEENS1_30default_config_static_selectorELNS0_4arch9wavefront6targetE1EEEvT1_, .Lfunc_end472-_ZN7rocprim17ROCPRIM_400000_NS6detail17trampoline_kernelINS0_14default_configENS1_25partition_config_selectorILNS1_17partition_subalgoE1EsNS0_10empty_typeEbEEZZNS1_14partition_implILS5_1ELb0ES3_jN6thrust23THRUST_200600_302600_NS6detail15normal_iteratorINSA_10device_ptrIsEEEEPS6_NSA_18transform_iteratorI7is_evenIsESF_NSA_11use_defaultESK_EENS0_5tupleIJSF_SF_EEENSM_IJSG_SG_EEES6_PlJS6_EEE10hipError_tPvRmT3_T4_T5_T6_T7_T9_mT8_P12ihipStream_tbDpT10_ENKUlT_T0_E_clISt17integral_constantIbLb1EES18_IbLb0EEEEDaS14_S15_EUlS14_E_NS1_11comp_targetILNS1_3genE8ELNS1_11target_archE1030ELNS1_3gpuE2ELNS1_3repE0EEENS1_30default_config_static_selectorELNS0_4arch9wavefront6targetE1EEEvT1_
                                        ; -- End function
	.section	.AMDGPU.csdata,"",@progbits
; Kernel info:
; codeLenInByte = 0
; NumSgprs: 6
; NumVgprs: 0
; NumAgprs: 0
; TotalNumVgprs: 0
; ScratchSize: 0
; MemoryBound: 0
; FloatMode: 240
; IeeeMode: 1
; LDSByteSize: 0 bytes/workgroup (compile time only)
; SGPRBlocks: 0
; VGPRBlocks: 0
; NumSGPRsForWavesPerEU: 6
; NumVGPRsForWavesPerEU: 1
; AccumOffset: 4
; Occupancy: 8
; WaveLimiterHint : 0
; COMPUTE_PGM_RSRC2:SCRATCH_EN: 0
; COMPUTE_PGM_RSRC2:USER_SGPR: 2
; COMPUTE_PGM_RSRC2:TRAP_HANDLER: 0
; COMPUTE_PGM_RSRC2:TGID_X_EN: 1
; COMPUTE_PGM_RSRC2:TGID_Y_EN: 0
; COMPUTE_PGM_RSRC2:TGID_Z_EN: 0
; COMPUTE_PGM_RSRC2:TIDIG_COMP_CNT: 0
; COMPUTE_PGM_RSRC3_GFX90A:ACCUM_OFFSET: 0
; COMPUTE_PGM_RSRC3_GFX90A:TG_SPLIT: 0
	.section	.text._ZN7rocprim17ROCPRIM_400000_NS6detail17trampoline_kernelINS0_14default_configENS1_25partition_config_selectorILNS1_17partition_subalgoE1EsNS0_10empty_typeEbEEZZNS1_14partition_implILS5_1ELb0ES3_jN6thrust23THRUST_200600_302600_NS6detail15normal_iteratorINSA_10device_ptrIsEEEEPS6_NSA_18transform_iteratorI7is_evenIsESF_NSA_11use_defaultESK_EENS0_5tupleIJSF_SF_EEENSM_IJSG_SG_EEES6_PlJS6_EEE10hipError_tPvRmT3_T4_T5_T6_T7_T9_mT8_P12ihipStream_tbDpT10_ENKUlT_T0_E_clISt17integral_constantIbLb0EES18_IbLb1EEEEDaS14_S15_EUlS14_E_NS1_11comp_targetILNS1_3genE0ELNS1_11target_archE4294967295ELNS1_3gpuE0ELNS1_3repE0EEENS1_30default_config_static_selectorELNS0_4arch9wavefront6targetE1EEEvT1_,"axG",@progbits,_ZN7rocprim17ROCPRIM_400000_NS6detail17trampoline_kernelINS0_14default_configENS1_25partition_config_selectorILNS1_17partition_subalgoE1EsNS0_10empty_typeEbEEZZNS1_14partition_implILS5_1ELb0ES3_jN6thrust23THRUST_200600_302600_NS6detail15normal_iteratorINSA_10device_ptrIsEEEEPS6_NSA_18transform_iteratorI7is_evenIsESF_NSA_11use_defaultESK_EENS0_5tupleIJSF_SF_EEENSM_IJSG_SG_EEES6_PlJS6_EEE10hipError_tPvRmT3_T4_T5_T6_T7_T9_mT8_P12ihipStream_tbDpT10_ENKUlT_T0_E_clISt17integral_constantIbLb0EES18_IbLb1EEEEDaS14_S15_EUlS14_E_NS1_11comp_targetILNS1_3genE0ELNS1_11target_archE4294967295ELNS1_3gpuE0ELNS1_3repE0EEENS1_30default_config_static_selectorELNS0_4arch9wavefront6targetE1EEEvT1_,comdat
	.protected	_ZN7rocprim17ROCPRIM_400000_NS6detail17trampoline_kernelINS0_14default_configENS1_25partition_config_selectorILNS1_17partition_subalgoE1EsNS0_10empty_typeEbEEZZNS1_14partition_implILS5_1ELb0ES3_jN6thrust23THRUST_200600_302600_NS6detail15normal_iteratorINSA_10device_ptrIsEEEEPS6_NSA_18transform_iteratorI7is_evenIsESF_NSA_11use_defaultESK_EENS0_5tupleIJSF_SF_EEENSM_IJSG_SG_EEES6_PlJS6_EEE10hipError_tPvRmT3_T4_T5_T6_T7_T9_mT8_P12ihipStream_tbDpT10_ENKUlT_T0_E_clISt17integral_constantIbLb0EES18_IbLb1EEEEDaS14_S15_EUlS14_E_NS1_11comp_targetILNS1_3genE0ELNS1_11target_archE4294967295ELNS1_3gpuE0ELNS1_3repE0EEENS1_30default_config_static_selectorELNS0_4arch9wavefront6targetE1EEEvT1_ ; -- Begin function _ZN7rocprim17ROCPRIM_400000_NS6detail17trampoline_kernelINS0_14default_configENS1_25partition_config_selectorILNS1_17partition_subalgoE1EsNS0_10empty_typeEbEEZZNS1_14partition_implILS5_1ELb0ES3_jN6thrust23THRUST_200600_302600_NS6detail15normal_iteratorINSA_10device_ptrIsEEEEPS6_NSA_18transform_iteratorI7is_evenIsESF_NSA_11use_defaultESK_EENS0_5tupleIJSF_SF_EEENSM_IJSG_SG_EEES6_PlJS6_EEE10hipError_tPvRmT3_T4_T5_T6_T7_T9_mT8_P12ihipStream_tbDpT10_ENKUlT_T0_E_clISt17integral_constantIbLb0EES18_IbLb1EEEEDaS14_S15_EUlS14_E_NS1_11comp_targetILNS1_3genE0ELNS1_11target_archE4294967295ELNS1_3gpuE0ELNS1_3repE0EEENS1_30default_config_static_selectorELNS0_4arch9wavefront6targetE1EEEvT1_
	.globl	_ZN7rocprim17ROCPRIM_400000_NS6detail17trampoline_kernelINS0_14default_configENS1_25partition_config_selectorILNS1_17partition_subalgoE1EsNS0_10empty_typeEbEEZZNS1_14partition_implILS5_1ELb0ES3_jN6thrust23THRUST_200600_302600_NS6detail15normal_iteratorINSA_10device_ptrIsEEEEPS6_NSA_18transform_iteratorI7is_evenIsESF_NSA_11use_defaultESK_EENS0_5tupleIJSF_SF_EEENSM_IJSG_SG_EEES6_PlJS6_EEE10hipError_tPvRmT3_T4_T5_T6_T7_T9_mT8_P12ihipStream_tbDpT10_ENKUlT_T0_E_clISt17integral_constantIbLb0EES18_IbLb1EEEEDaS14_S15_EUlS14_E_NS1_11comp_targetILNS1_3genE0ELNS1_11target_archE4294967295ELNS1_3gpuE0ELNS1_3repE0EEENS1_30default_config_static_selectorELNS0_4arch9wavefront6targetE1EEEvT1_
	.p2align	8
	.type	_ZN7rocprim17ROCPRIM_400000_NS6detail17trampoline_kernelINS0_14default_configENS1_25partition_config_selectorILNS1_17partition_subalgoE1EsNS0_10empty_typeEbEEZZNS1_14partition_implILS5_1ELb0ES3_jN6thrust23THRUST_200600_302600_NS6detail15normal_iteratorINSA_10device_ptrIsEEEEPS6_NSA_18transform_iteratorI7is_evenIsESF_NSA_11use_defaultESK_EENS0_5tupleIJSF_SF_EEENSM_IJSG_SG_EEES6_PlJS6_EEE10hipError_tPvRmT3_T4_T5_T6_T7_T9_mT8_P12ihipStream_tbDpT10_ENKUlT_T0_E_clISt17integral_constantIbLb0EES18_IbLb1EEEEDaS14_S15_EUlS14_E_NS1_11comp_targetILNS1_3genE0ELNS1_11target_archE4294967295ELNS1_3gpuE0ELNS1_3repE0EEENS1_30default_config_static_selectorELNS0_4arch9wavefront6targetE1EEEvT1_,@function
_ZN7rocprim17ROCPRIM_400000_NS6detail17trampoline_kernelINS0_14default_configENS1_25partition_config_selectorILNS1_17partition_subalgoE1EsNS0_10empty_typeEbEEZZNS1_14partition_implILS5_1ELb0ES3_jN6thrust23THRUST_200600_302600_NS6detail15normal_iteratorINSA_10device_ptrIsEEEEPS6_NSA_18transform_iteratorI7is_evenIsESF_NSA_11use_defaultESK_EENS0_5tupleIJSF_SF_EEENSM_IJSG_SG_EEES6_PlJS6_EEE10hipError_tPvRmT3_T4_T5_T6_T7_T9_mT8_P12ihipStream_tbDpT10_ENKUlT_T0_E_clISt17integral_constantIbLb0EES18_IbLb1EEEEDaS14_S15_EUlS14_E_NS1_11comp_targetILNS1_3genE0ELNS1_11target_archE4294967295ELNS1_3gpuE0ELNS1_3repE0EEENS1_30default_config_static_selectorELNS0_4arch9wavefront6targetE1EEEvT1_: ; @_ZN7rocprim17ROCPRIM_400000_NS6detail17trampoline_kernelINS0_14default_configENS1_25partition_config_selectorILNS1_17partition_subalgoE1EsNS0_10empty_typeEbEEZZNS1_14partition_implILS5_1ELb0ES3_jN6thrust23THRUST_200600_302600_NS6detail15normal_iteratorINSA_10device_ptrIsEEEEPS6_NSA_18transform_iteratorI7is_evenIsESF_NSA_11use_defaultESK_EENS0_5tupleIJSF_SF_EEENSM_IJSG_SG_EEES6_PlJS6_EEE10hipError_tPvRmT3_T4_T5_T6_T7_T9_mT8_P12ihipStream_tbDpT10_ENKUlT_T0_E_clISt17integral_constantIbLb0EES18_IbLb1EEEEDaS14_S15_EUlS14_E_NS1_11comp_targetILNS1_3genE0ELNS1_11target_archE4294967295ELNS1_3gpuE0ELNS1_3repE0EEENS1_30default_config_static_selectorELNS0_4arch9wavefront6targetE1EEEvT1_
; %bb.0:
	.section	.rodata,"a",@progbits
	.p2align	6, 0x0
	.amdhsa_kernel _ZN7rocprim17ROCPRIM_400000_NS6detail17trampoline_kernelINS0_14default_configENS1_25partition_config_selectorILNS1_17partition_subalgoE1EsNS0_10empty_typeEbEEZZNS1_14partition_implILS5_1ELb0ES3_jN6thrust23THRUST_200600_302600_NS6detail15normal_iteratorINSA_10device_ptrIsEEEEPS6_NSA_18transform_iteratorI7is_evenIsESF_NSA_11use_defaultESK_EENS0_5tupleIJSF_SF_EEENSM_IJSG_SG_EEES6_PlJS6_EEE10hipError_tPvRmT3_T4_T5_T6_T7_T9_mT8_P12ihipStream_tbDpT10_ENKUlT_T0_E_clISt17integral_constantIbLb0EES18_IbLb1EEEEDaS14_S15_EUlS14_E_NS1_11comp_targetILNS1_3genE0ELNS1_11target_archE4294967295ELNS1_3gpuE0ELNS1_3repE0EEENS1_30default_config_static_selectorELNS0_4arch9wavefront6targetE1EEEvT1_
		.amdhsa_group_segment_fixed_size 0
		.amdhsa_private_segment_fixed_size 0
		.amdhsa_kernarg_size 144
		.amdhsa_user_sgpr_count 2
		.amdhsa_user_sgpr_dispatch_ptr 0
		.amdhsa_user_sgpr_queue_ptr 0
		.amdhsa_user_sgpr_kernarg_segment_ptr 1
		.amdhsa_user_sgpr_dispatch_id 0
		.amdhsa_user_sgpr_kernarg_preload_length 0
		.amdhsa_user_sgpr_kernarg_preload_offset 0
		.amdhsa_user_sgpr_private_segment_size 0
		.amdhsa_uses_dynamic_stack 0
		.amdhsa_enable_private_segment 0
		.amdhsa_system_sgpr_workgroup_id_x 1
		.amdhsa_system_sgpr_workgroup_id_y 0
		.amdhsa_system_sgpr_workgroup_id_z 0
		.amdhsa_system_sgpr_workgroup_info 0
		.amdhsa_system_vgpr_workitem_id 0
		.amdhsa_next_free_vgpr 1
		.amdhsa_next_free_sgpr 0
		.amdhsa_accum_offset 4
		.amdhsa_reserve_vcc 0
		.amdhsa_float_round_mode_32 0
		.amdhsa_float_round_mode_16_64 0
		.amdhsa_float_denorm_mode_32 3
		.amdhsa_float_denorm_mode_16_64 3
		.amdhsa_dx10_clamp 1
		.amdhsa_ieee_mode 1
		.amdhsa_fp16_overflow 0
		.amdhsa_tg_split 0
		.amdhsa_exception_fp_ieee_invalid_op 0
		.amdhsa_exception_fp_denorm_src 0
		.amdhsa_exception_fp_ieee_div_zero 0
		.amdhsa_exception_fp_ieee_overflow 0
		.amdhsa_exception_fp_ieee_underflow 0
		.amdhsa_exception_fp_ieee_inexact 0
		.amdhsa_exception_int_div_zero 0
	.end_amdhsa_kernel
	.section	.text._ZN7rocprim17ROCPRIM_400000_NS6detail17trampoline_kernelINS0_14default_configENS1_25partition_config_selectorILNS1_17partition_subalgoE1EsNS0_10empty_typeEbEEZZNS1_14partition_implILS5_1ELb0ES3_jN6thrust23THRUST_200600_302600_NS6detail15normal_iteratorINSA_10device_ptrIsEEEEPS6_NSA_18transform_iteratorI7is_evenIsESF_NSA_11use_defaultESK_EENS0_5tupleIJSF_SF_EEENSM_IJSG_SG_EEES6_PlJS6_EEE10hipError_tPvRmT3_T4_T5_T6_T7_T9_mT8_P12ihipStream_tbDpT10_ENKUlT_T0_E_clISt17integral_constantIbLb0EES18_IbLb1EEEEDaS14_S15_EUlS14_E_NS1_11comp_targetILNS1_3genE0ELNS1_11target_archE4294967295ELNS1_3gpuE0ELNS1_3repE0EEENS1_30default_config_static_selectorELNS0_4arch9wavefront6targetE1EEEvT1_,"axG",@progbits,_ZN7rocprim17ROCPRIM_400000_NS6detail17trampoline_kernelINS0_14default_configENS1_25partition_config_selectorILNS1_17partition_subalgoE1EsNS0_10empty_typeEbEEZZNS1_14partition_implILS5_1ELb0ES3_jN6thrust23THRUST_200600_302600_NS6detail15normal_iteratorINSA_10device_ptrIsEEEEPS6_NSA_18transform_iteratorI7is_evenIsESF_NSA_11use_defaultESK_EENS0_5tupleIJSF_SF_EEENSM_IJSG_SG_EEES6_PlJS6_EEE10hipError_tPvRmT3_T4_T5_T6_T7_T9_mT8_P12ihipStream_tbDpT10_ENKUlT_T0_E_clISt17integral_constantIbLb0EES18_IbLb1EEEEDaS14_S15_EUlS14_E_NS1_11comp_targetILNS1_3genE0ELNS1_11target_archE4294967295ELNS1_3gpuE0ELNS1_3repE0EEENS1_30default_config_static_selectorELNS0_4arch9wavefront6targetE1EEEvT1_,comdat
.Lfunc_end473:
	.size	_ZN7rocprim17ROCPRIM_400000_NS6detail17trampoline_kernelINS0_14default_configENS1_25partition_config_selectorILNS1_17partition_subalgoE1EsNS0_10empty_typeEbEEZZNS1_14partition_implILS5_1ELb0ES3_jN6thrust23THRUST_200600_302600_NS6detail15normal_iteratorINSA_10device_ptrIsEEEEPS6_NSA_18transform_iteratorI7is_evenIsESF_NSA_11use_defaultESK_EENS0_5tupleIJSF_SF_EEENSM_IJSG_SG_EEES6_PlJS6_EEE10hipError_tPvRmT3_T4_T5_T6_T7_T9_mT8_P12ihipStream_tbDpT10_ENKUlT_T0_E_clISt17integral_constantIbLb0EES18_IbLb1EEEEDaS14_S15_EUlS14_E_NS1_11comp_targetILNS1_3genE0ELNS1_11target_archE4294967295ELNS1_3gpuE0ELNS1_3repE0EEENS1_30default_config_static_selectorELNS0_4arch9wavefront6targetE1EEEvT1_, .Lfunc_end473-_ZN7rocprim17ROCPRIM_400000_NS6detail17trampoline_kernelINS0_14default_configENS1_25partition_config_selectorILNS1_17partition_subalgoE1EsNS0_10empty_typeEbEEZZNS1_14partition_implILS5_1ELb0ES3_jN6thrust23THRUST_200600_302600_NS6detail15normal_iteratorINSA_10device_ptrIsEEEEPS6_NSA_18transform_iteratorI7is_evenIsESF_NSA_11use_defaultESK_EENS0_5tupleIJSF_SF_EEENSM_IJSG_SG_EEES6_PlJS6_EEE10hipError_tPvRmT3_T4_T5_T6_T7_T9_mT8_P12ihipStream_tbDpT10_ENKUlT_T0_E_clISt17integral_constantIbLb0EES18_IbLb1EEEEDaS14_S15_EUlS14_E_NS1_11comp_targetILNS1_3genE0ELNS1_11target_archE4294967295ELNS1_3gpuE0ELNS1_3repE0EEENS1_30default_config_static_selectorELNS0_4arch9wavefront6targetE1EEEvT1_
                                        ; -- End function
	.section	.AMDGPU.csdata,"",@progbits
; Kernel info:
; codeLenInByte = 0
; NumSgprs: 6
; NumVgprs: 0
; NumAgprs: 0
; TotalNumVgprs: 0
; ScratchSize: 0
; MemoryBound: 0
; FloatMode: 240
; IeeeMode: 1
; LDSByteSize: 0 bytes/workgroup (compile time only)
; SGPRBlocks: 0
; VGPRBlocks: 0
; NumSGPRsForWavesPerEU: 6
; NumVGPRsForWavesPerEU: 1
; AccumOffset: 4
; Occupancy: 8
; WaveLimiterHint : 0
; COMPUTE_PGM_RSRC2:SCRATCH_EN: 0
; COMPUTE_PGM_RSRC2:USER_SGPR: 2
; COMPUTE_PGM_RSRC2:TRAP_HANDLER: 0
; COMPUTE_PGM_RSRC2:TGID_X_EN: 1
; COMPUTE_PGM_RSRC2:TGID_Y_EN: 0
; COMPUTE_PGM_RSRC2:TGID_Z_EN: 0
; COMPUTE_PGM_RSRC2:TIDIG_COMP_CNT: 0
; COMPUTE_PGM_RSRC3_GFX90A:ACCUM_OFFSET: 0
; COMPUTE_PGM_RSRC3_GFX90A:TG_SPLIT: 0
	.section	.text._ZN7rocprim17ROCPRIM_400000_NS6detail17trampoline_kernelINS0_14default_configENS1_25partition_config_selectorILNS1_17partition_subalgoE1EsNS0_10empty_typeEbEEZZNS1_14partition_implILS5_1ELb0ES3_jN6thrust23THRUST_200600_302600_NS6detail15normal_iteratorINSA_10device_ptrIsEEEEPS6_NSA_18transform_iteratorI7is_evenIsESF_NSA_11use_defaultESK_EENS0_5tupleIJSF_SF_EEENSM_IJSG_SG_EEES6_PlJS6_EEE10hipError_tPvRmT3_T4_T5_T6_T7_T9_mT8_P12ihipStream_tbDpT10_ENKUlT_T0_E_clISt17integral_constantIbLb0EES18_IbLb1EEEEDaS14_S15_EUlS14_E_NS1_11comp_targetILNS1_3genE5ELNS1_11target_archE942ELNS1_3gpuE9ELNS1_3repE0EEENS1_30default_config_static_selectorELNS0_4arch9wavefront6targetE1EEEvT1_,"axG",@progbits,_ZN7rocprim17ROCPRIM_400000_NS6detail17trampoline_kernelINS0_14default_configENS1_25partition_config_selectorILNS1_17partition_subalgoE1EsNS0_10empty_typeEbEEZZNS1_14partition_implILS5_1ELb0ES3_jN6thrust23THRUST_200600_302600_NS6detail15normal_iteratorINSA_10device_ptrIsEEEEPS6_NSA_18transform_iteratorI7is_evenIsESF_NSA_11use_defaultESK_EENS0_5tupleIJSF_SF_EEENSM_IJSG_SG_EEES6_PlJS6_EEE10hipError_tPvRmT3_T4_T5_T6_T7_T9_mT8_P12ihipStream_tbDpT10_ENKUlT_T0_E_clISt17integral_constantIbLb0EES18_IbLb1EEEEDaS14_S15_EUlS14_E_NS1_11comp_targetILNS1_3genE5ELNS1_11target_archE942ELNS1_3gpuE9ELNS1_3repE0EEENS1_30default_config_static_selectorELNS0_4arch9wavefront6targetE1EEEvT1_,comdat
	.protected	_ZN7rocprim17ROCPRIM_400000_NS6detail17trampoline_kernelINS0_14default_configENS1_25partition_config_selectorILNS1_17partition_subalgoE1EsNS0_10empty_typeEbEEZZNS1_14partition_implILS5_1ELb0ES3_jN6thrust23THRUST_200600_302600_NS6detail15normal_iteratorINSA_10device_ptrIsEEEEPS6_NSA_18transform_iteratorI7is_evenIsESF_NSA_11use_defaultESK_EENS0_5tupleIJSF_SF_EEENSM_IJSG_SG_EEES6_PlJS6_EEE10hipError_tPvRmT3_T4_T5_T6_T7_T9_mT8_P12ihipStream_tbDpT10_ENKUlT_T0_E_clISt17integral_constantIbLb0EES18_IbLb1EEEEDaS14_S15_EUlS14_E_NS1_11comp_targetILNS1_3genE5ELNS1_11target_archE942ELNS1_3gpuE9ELNS1_3repE0EEENS1_30default_config_static_selectorELNS0_4arch9wavefront6targetE1EEEvT1_ ; -- Begin function _ZN7rocprim17ROCPRIM_400000_NS6detail17trampoline_kernelINS0_14default_configENS1_25partition_config_selectorILNS1_17partition_subalgoE1EsNS0_10empty_typeEbEEZZNS1_14partition_implILS5_1ELb0ES3_jN6thrust23THRUST_200600_302600_NS6detail15normal_iteratorINSA_10device_ptrIsEEEEPS6_NSA_18transform_iteratorI7is_evenIsESF_NSA_11use_defaultESK_EENS0_5tupleIJSF_SF_EEENSM_IJSG_SG_EEES6_PlJS6_EEE10hipError_tPvRmT3_T4_T5_T6_T7_T9_mT8_P12ihipStream_tbDpT10_ENKUlT_T0_E_clISt17integral_constantIbLb0EES18_IbLb1EEEEDaS14_S15_EUlS14_E_NS1_11comp_targetILNS1_3genE5ELNS1_11target_archE942ELNS1_3gpuE9ELNS1_3repE0EEENS1_30default_config_static_selectorELNS0_4arch9wavefront6targetE1EEEvT1_
	.globl	_ZN7rocprim17ROCPRIM_400000_NS6detail17trampoline_kernelINS0_14default_configENS1_25partition_config_selectorILNS1_17partition_subalgoE1EsNS0_10empty_typeEbEEZZNS1_14partition_implILS5_1ELb0ES3_jN6thrust23THRUST_200600_302600_NS6detail15normal_iteratorINSA_10device_ptrIsEEEEPS6_NSA_18transform_iteratorI7is_evenIsESF_NSA_11use_defaultESK_EENS0_5tupleIJSF_SF_EEENSM_IJSG_SG_EEES6_PlJS6_EEE10hipError_tPvRmT3_T4_T5_T6_T7_T9_mT8_P12ihipStream_tbDpT10_ENKUlT_T0_E_clISt17integral_constantIbLb0EES18_IbLb1EEEEDaS14_S15_EUlS14_E_NS1_11comp_targetILNS1_3genE5ELNS1_11target_archE942ELNS1_3gpuE9ELNS1_3repE0EEENS1_30default_config_static_selectorELNS0_4arch9wavefront6targetE1EEEvT1_
	.p2align	8
	.type	_ZN7rocprim17ROCPRIM_400000_NS6detail17trampoline_kernelINS0_14default_configENS1_25partition_config_selectorILNS1_17partition_subalgoE1EsNS0_10empty_typeEbEEZZNS1_14partition_implILS5_1ELb0ES3_jN6thrust23THRUST_200600_302600_NS6detail15normal_iteratorINSA_10device_ptrIsEEEEPS6_NSA_18transform_iteratorI7is_evenIsESF_NSA_11use_defaultESK_EENS0_5tupleIJSF_SF_EEENSM_IJSG_SG_EEES6_PlJS6_EEE10hipError_tPvRmT3_T4_T5_T6_T7_T9_mT8_P12ihipStream_tbDpT10_ENKUlT_T0_E_clISt17integral_constantIbLb0EES18_IbLb1EEEEDaS14_S15_EUlS14_E_NS1_11comp_targetILNS1_3genE5ELNS1_11target_archE942ELNS1_3gpuE9ELNS1_3repE0EEENS1_30default_config_static_selectorELNS0_4arch9wavefront6targetE1EEEvT1_,@function
_ZN7rocprim17ROCPRIM_400000_NS6detail17trampoline_kernelINS0_14default_configENS1_25partition_config_selectorILNS1_17partition_subalgoE1EsNS0_10empty_typeEbEEZZNS1_14partition_implILS5_1ELb0ES3_jN6thrust23THRUST_200600_302600_NS6detail15normal_iteratorINSA_10device_ptrIsEEEEPS6_NSA_18transform_iteratorI7is_evenIsESF_NSA_11use_defaultESK_EENS0_5tupleIJSF_SF_EEENSM_IJSG_SG_EEES6_PlJS6_EEE10hipError_tPvRmT3_T4_T5_T6_T7_T9_mT8_P12ihipStream_tbDpT10_ENKUlT_T0_E_clISt17integral_constantIbLb0EES18_IbLb1EEEEDaS14_S15_EUlS14_E_NS1_11comp_targetILNS1_3genE5ELNS1_11target_archE942ELNS1_3gpuE9ELNS1_3repE0EEENS1_30default_config_static_selectorELNS0_4arch9wavefront6targetE1EEEvT1_: ; @_ZN7rocprim17ROCPRIM_400000_NS6detail17trampoline_kernelINS0_14default_configENS1_25partition_config_selectorILNS1_17partition_subalgoE1EsNS0_10empty_typeEbEEZZNS1_14partition_implILS5_1ELb0ES3_jN6thrust23THRUST_200600_302600_NS6detail15normal_iteratorINSA_10device_ptrIsEEEEPS6_NSA_18transform_iteratorI7is_evenIsESF_NSA_11use_defaultESK_EENS0_5tupleIJSF_SF_EEENSM_IJSG_SG_EEES6_PlJS6_EEE10hipError_tPvRmT3_T4_T5_T6_T7_T9_mT8_P12ihipStream_tbDpT10_ENKUlT_T0_E_clISt17integral_constantIbLb0EES18_IbLb1EEEEDaS14_S15_EUlS14_E_NS1_11comp_targetILNS1_3genE5ELNS1_11target_archE942ELNS1_3gpuE9ELNS1_3repE0EEENS1_30default_config_static_selectorELNS0_4arch9wavefront6targetE1EEEvT1_
; %bb.0:
	s_load_dwordx2 s[2:3], s[0:1], 0x20
	s_load_dwordx4 s[20:23], s[0:1], 0x50
	s_load_dwordx2 s[6:7], s[0:1], 0x60
	s_load_dwordx2 s[34:35], s[0:1], 0x70
	v_cmp_eq_u32_e64 s[18:19], 0, v0
	s_and_saveexec_b64 s[4:5], s[18:19]
	s_cbranch_execz .LBB474_4
; %bb.1:
	s_mov_b64 s[10:11], exec
	v_mbcnt_lo_u32_b32 v1, s10, 0
	v_mbcnt_hi_u32_b32 v1, s11, v1
	v_cmp_eq_u32_e32 vcc, 0, v1
                                        ; implicit-def: $vgpr2
	s_and_saveexec_b64 s[8:9], vcc
	s_cbranch_execz .LBB474_3
; %bb.2:
	s_load_dwordx2 s[12:13], s[0:1], 0x80
	s_bcnt1_i32_b64 s10, s[10:11]
	v_mov_b32_e32 v2, 0
	v_mov_b32_e32 v3, s10
	s_waitcnt lgkmcnt(0)
	global_atomic_add v2, v2, v3, s[12:13] sc0
.LBB474_3:
	s_or_b64 exec, exec, s[8:9]
	s_waitcnt vmcnt(0)
	v_readfirstlane_b32 s8, v2
	v_mov_b32_e32 v2, 0
	s_nop 0
	v_add_u32_e32 v1, s8, v1
	ds_write_b32 v2, v1
.LBB474_4:
	s_or_b64 exec, exec, s[4:5]
	v_mov_b32_e32 v15, 0
	s_load_dwordx4 s[28:31], s[0:1], 0x8
	s_load_dwordx4 s[24:27], s[0:1], 0x30
	s_load_dword s8, s[0:1], 0x78
	s_waitcnt lgkmcnt(0)
	s_barrier
	ds_read_b32 v1, v15
	s_waitcnt lgkmcnt(0)
	s_barrier
	global_load_dwordx2 v[16:17], v15, s[22:23]
	v_mov_b32_e32 v3, s7
	s_lshl_b64 s[4:5], s[30:31], 1
	s_movk_i32 s7, 0x3800
	s_add_u32 s0, s28, s4
	v_mul_lo_u32 v14, v1, s7
	s_mul_i32 s7, s8, 0x3800
	s_addc_u32 s1, s29, s5
	s_add_i32 s9, s8, -1
	s_add_i32 s8, s7, s30
	s_sub_i32 s33, s6, s8
	s_addk_i32 s33, 0x3800
	v_mov_b32_e32 v2, s6
	s_add_u32 s6, s30, s7
	v_readfirstlane_b32 s40, v1
	s_addc_u32 s7, s31, 0
	s_cmp_eq_u32 s40, s9
	s_cselect_b64 s[22:23], -1, 0
	s_cmp_lg_u32 s40, s9
	v_cmp_lt_u64_e32 vcc, s[6:7], v[2:3]
	s_cselect_b64 s[6:7], -1, 0
	s_or_b64 s[28:29], vcc, s[6:7]
	v_lshlrev_b64 v[18:19], 1, v[14:15]
	v_lshl_add_u64 v[2:3], s[0:1], 0, v[18:19]
	s_mov_b64 s[0:1], -1
	s_and_b64 vcc, exec, s[28:29]
	v_lshlrev_b32_e32 v14, 1, v0
	s_cbranch_vccz .LBB474_6
; %bb.5:
	v_lshl_add_u64 v[4:5], v[2:3], 0, v[14:15]
	v_add_co_u32_e32 v6, vcc, 0x1000, v4
	s_mov_b64 s[0:1], 0
	s_nop 0
	v_addc_co_u32_e32 v7, vcc, 0, v5, vcc
	flat_load_ushort v1, v[4:5]
	flat_load_ushort v10, v[4:5] offset:1024
	flat_load_ushort v11, v[4:5] offset:2048
	;; [unrolled: 1-line block ×3, first 2 shown]
	flat_load_ushort v13, v[6:7]
	flat_load_ushort v15, v[6:7] offset:1024
	flat_load_ushort v20, v[6:7] offset:2048
	;; [unrolled: 1-line block ×3, first 2 shown]
	v_add_co_u32_e32 v6, vcc, 0x2000, v4
	s_nop 1
	v_addc_co_u32_e32 v7, vcc, 0, v5, vcc
	v_add_co_u32_e32 v8, vcc, 0x3000, v4
	s_nop 1
	v_addc_co_u32_e32 v9, vcc, 0, v5, vcc
	flat_load_ushort v22, v[6:7]
	flat_load_ushort v23, v[6:7] offset:1024
	flat_load_ushort v24, v[6:7] offset:2048
	;; [unrolled: 1-line block ×3, first 2 shown]
	flat_load_ushort v26, v[8:9]
	flat_load_ushort v27, v[8:9] offset:1024
	flat_load_ushort v28, v[8:9] offset:2048
	;; [unrolled: 1-line block ×3, first 2 shown]
	v_add_co_u32_e32 v6, vcc, 0x4000, v4
	s_nop 1
	v_addc_co_u32_e32 v7, vcc, 0, v5, vcc
	v_add_co_u32_e32 v8, vcc, 0x5000, v4
	s_nop 1
	v_addc_co_u32_e32 v9, vcc, 0, v5, vcc
	v_add_co_u32_e32 v4, vcc, 0x6000, v4
	flat_load_ushort v30, v[6:7]
	flat_load_ushort v31, v[6:7] offset:1024
	flat_load_ushort v32, v[6:7] offset:2048
	;; [unrolled: 1-line block ×3, first 2 shown]
	flat_load_ushort v34, v[8:9]
	flat_load_ushort v35, v[8:9] offset:1024
	flat_load_ushort v36, v[8:9] offset:2048
	;; [unrolled: 1-line block ×3, first 2 shown]
	v_addc_co_u32_e32 v5, vcc, 0, v5, vcc
	flat_load_ushort v6, v[4:5]
	flat_load_ushort v7, v[4:5] offset:1024
	flat_load_ushort v8, v[4:5] offset:2048
	;; [unrolled: 1-line block ×3, first 2 shown]
	s_waitcnt vmcnt(0) lgkmcnt(0)
	ds_write_b16 v14, v1
	ds_write_b16 v14, v10 offset:1024
	ds_write_b16 v14, v11 offset:2048
	;; [unrolled: 1-line block ×27, first 2 shown]
	s_waitcnt lgkmcnt(0)
	s_barrier
.LBB474_6:
	s_andn2_b64 vcc, exec, s[0:1]
	v_cmp_gt_u32_e64 s[0:1], s33, v0
	s_cbranch_vccnz .LBB474_64
; %bb.7:
                                        ; implicit-def: $vgpr1
	s_and_saveexec_b64 s[6:7], s[0:1]
	s_cbranch_execz .LBB474_9
; %bb.8:
	v_mov_b32_e32 v15, 0
	v_lshl_add_u64 v[4:5], v[2:3], 0, v[14:15]
	flat_load_ushort v1, v[4:5]
.LBB474_9:
	s_or_b64 exec, exec, s[6:7]
	v_or_b32_e32 v4, 0x200, v0
	v_cmp_gt_u32_e32 vcc, s33, v4
                                        ; implicit-def: $vgpr4
	s_and_saveexec_b64 s[0:1], vcc
	s_cbranch_execz .LBB474_11
; %bb.10:
	v_mov_b32_e32 v15, 0
	v_lshl_add_u64 v[4:5], v[2:3], 0, v[14:15]
	flat_load_ushort v4, v[4:5] offset:1024
.LBB474_11:
	s_or_b64 exec, exec, s[0:1]
	v_or_b32_e32 v5, 0x400, v0
	v_cmp_gt_u32_e32 vcc, s33, v5
                                        ; implicit-def: $vgpr5
	s_and_saveexec_b64 s[0:1], vcc
	s_cbranch_execz .LBB474_13
; %bb.12:
	v_mov_b32_e32 v15, 0
	v_lshl_add_u64 v[6:7], v[2:3], 0, v[14:15]
	flat_load_ushort v5, v[6:7] offset:2048
.LBB474_13:
	s_or_b64 exec, exec, s[0:1]
	v_or_b32_e32 v6, 0x600, v0
	v_cmp_gt_u32_e32 vcc, s33, v6
                                        ; implicit-def: $vgpr6
	s_and_saveexec_b64 s[0:1], vcc
	s_cbranch_execz .LBB474_15
; %bb.14:
	v_mov_b32_e32 v15, 0
	v_lshl_add_u64 v[6:7], v[2:3], 0, v[14:15]
	flat_load_ushort v6, v[6:7] offset:3072
.LBB474_15:
	s_or_b64 exec, exec, s[0:1]
	v_or_b32_e32 v8, 0x800, v0
	v_cmp_gt_u32_e32 vcc, s33, v8
                                        ; implicit-def: $vgpr7
	s_and_saveexec_b64 s[0:1], vcc
	s_cbranch_execz .LBB474_17
; %bb.16:
	v_lshlrev_b32_e32 v8, 1, v8
	v_mov_b32_e32 v9, 0
	v_lshl_add_u64 v[8:9], v[2:3], 0, v[8:9]
	flat_load_ushort v7, v[8:9]
.LBB474_17:
	s_or_b64 exec, exec, s[0:1]
	v_or_b32_e32 v9, 0xa00, v0
	v_cmp_gt_u32_e32 vcc, s33, v9
                                        ; implicit-def: $vgpr8
	s_and_saveexec_b64 s[0:1], vcc
	s_cbranch_execz .LBB474_19
; %bb.18:
	v_lshlrev_b32_e32 v8, 1, v9
	v_mov_b32_e32 v9, 0
	v_lshl_add_u64 v[8:9], v[2:3], 0, v[8:9]
	flat_load_ushort v8, v[8:9]
.LBB474_19:
	s_or_b64 exec, exec, s[0:1]
	v_or_b32_e32 v10, 0xc00, v0
	v_cmp_gt_u32_e32 vcc, s33, v10
                                        ; implicit-def: $vgpr9
	s_and_saveexec_b64 s[0:1], vcc
	s_cbranch_execz .LBB474_21
; %bb.20:
	v_lshlrev_b32_e32 v10, 1, v10
	v_mov_b32_e32 v11, 0
	v_lshl_add_u64 v[10:11], v[2:3], 0, v[10:11]
	flat_load_ushort v9, v[10:11]
.LBB474_21:
	s_or_b64 exec, exec, s[0:1]
	v_or_b32_e32 v11, 0xe00, v0
	v_cmp_gt_u32_e32 vcc, s33, v11
                                        ; implicit-def: $vgpr10
	s_and_saveexec_b64 s[0:1], vcc
	s_cbranch_execz .LBB474_23
; %bb.22:
	v_lshlrev_b32_e32 v10, 1, v11
	v_mov_b32_e32 v11, 0
	v_lshl_add_u64 v[10:11], v[2:3], 0, v[10:11]
	flat_load_ushort v10, v[10:11]
.LBB474_23:
	s_or_b64 exec, exec, s[0:1]
	v_or_b32_e32 v12, 0x1000, v0
	v_cmp_gt_u32_e32 vcc, s33, v12
                                        ; implicit-def: $vgpr11
	s_and_saveexec_b64 s[0:1], vcc
	s_cbranch_execz .LBB474_25
; %bb.24:
	v_lshlrev_b32_e32 v12, 1, v12
	v_mov_b32_e32 v13, 0
	v_lshl_add_u64 v[12:13], v[2:3], 0, v[12:13]
	flat_load_ushort v11, v[12:13]
.LBB474_25:
	s_or_b64 exec, exec, s[0:1]
	v_or_b32_e32 v13, 0x1200, v0
	v_cmp_gt_u32_e32 vcc, s33, v13
                                        ; implicit-def: $vgpr12
	s_and_saveexec_b64 s[0:1], vcc
	s_cbranch_execz .LBB474_27
; %bb.26:
	v_lshlrev_b32_e32 v12, 1, v13
	v_mov_b32_e32 v13, 0
	v_lshl_add_u64 v[12:13], v[2:3], 0, v[12:13]
	flat_load_ushort v12, v[12:13]
.LBB474_27:
	s_or_b64 exec, exec, s[0:1]
	v_or_b32_e32 v15, 0x1400, v0
	v_cmp_gt_u32_e32 vcc, s33, v15
                                        ; implicit-def: $vgpr13
	s_and_saveexec_b64 s[0:1], vcc
	s_cbranch_execz .LBB474_29
; %bb.28:
	v_lshlrev_b32_e32 v20, 1, v15
	v_mov_b32_e32 v21, 0
	v_lshl_add_u64 v[20:21], v[2:3], 0, v[20:21]
	flat_load_ushort v13, v[20:21]
.LBB474_29:
	s_or_b64 exec, exec, s[0:1]
	v_or_b32_e32 v20, 0x1600, v0
	v_cmp_gt_u32_e32 vcc, s33, v20
                                        ; implicit-def: $vgpr15
	s_and_saveexec_b64 s[0:1], vcc
	s_cbranch_execz .LBB474_31
; %bb.30:
	v_lshlrev_b32_e32 v20, 1, v20
	v_mov_b32_e32 v21, 0
	v_lshl_add_u64 v[20:21], v[2:3], 0, v[20:21]
	flat_load_ushort v15, v[20:21]
.LBB474_31:
	s_or_b64 exec, exec, s[0:1]
	v_or_b32_e32 v21, 0x1800, v0
	v_cmp_gt_u32_e32 vcc, s33, v21
                                        ; implicit-def: $vgpr20
	s_and_saveexec_b64 s[0:1], vcc
	s_cbranch_execz .LBB474_33
; %bb.32:
	v_lshlrev_b32_e32 v20, 1, v21
	v_mov_b32_e32 v21, 0
	v_lshl_add_u64 v[20:21], v[2:3], 0, v[20:21]
	flat_load_ushort v20, v[20:21]
.LBB474_33:
	s_or_b64 exec, exec, s[0:1]
	v_or_b32_e32 v22, 0x1a00, v0
	v_cmp_gt_u32_e32 vcc, s33, v22
                                        ; implicit-def: $vgpr21
	s_and_saveexec_b64 s[0:1], vcc
	s_cbranch_execz .LBB474_35
; %bb.34:
	v_lshlrev_b32_e32 v22, 1, v22
	v_mov_b32_e32 v23, 0
	v_lshl_add_u64 v[22:23], v[2:3], 0, v[22:23]
	flat_load_ushort v21, v[22:23]
.LBB474_35:
	s_or_b64 exec, exec, s[0:1]
	v_or_b32_e32 v23, 0x1c00, v0
	v_cmp_gt_u32_e32 vcc, s33, v23
                                        ; implicit-def: $vgpr22
	s_and_saveexec_b64 s[0:1], vcc
	s_cbranch_execz .LBB474_37
; %bb.36:
	v_lshlrev_b32_e32 v22, 1, v23
	v_mov_b32_e32 v23, 0
	v_lshl_add_u64 v[22:23], v[2:3], 0, v[22:23]
	flat_load_ushort v22, v[22:23]
.LBB474_37:
	s_or_b64 exec, exec, s[0:1]
	v_or_b32_e32 v24, 0x1e00, v0
	v_cmp_gt_u32_e32 vcc, s33, v24
                                        ; implicit-def: $vgpr23
	s_and_saveexec_b64 s[0:1], vcc
	s_cbranch_execz .LBB474_39
; %bb.38:
	v_lshlrev_b32_e32 v24, 1, v24
	v_mov_b32_e32 v25, 0
	v_lshl_add_u64 v[24:25], v[2:3], 0, v[24:25]
	flat_load_ushort v23, v[24:25]
.LBB474_39:
	s_or_b64 exec, exec, s[0:1]
	v_or_b32_e32 v25, 0x2000, v0
	v_cmp_gt_u32_e32 vcc, s33, v25
                                        ; implicit-def: $vgpr24
	s_and_saveexec_b64 s[0:1], vcc
	s_cbranch_execz .LBB474_41
; %bb.40:
	v_lshlrev_b32_e32 v24, 1, v25
	v_mov_b32_e32 v25, 0
	v_lshl_add_u64 v[24:25], v[2:3], 0, v[24:25]
	flat_load_ushort v24, v[24:25]
.LBB474_41:
	s_or_b64 exec, exec, s[0:1]
	v_or_b32_e32 v26, 0x2200, v0
	v_cmp_gt_u32_e32 vcc, s33, v26
                                        ; implicit-def: $vgpr25
	s_and_saveexec_b64 s[0:1], vcc
	s_cbranch_execz .LBB474_43
; %bb.42:
	v_lshlrev_b32_e32 v26, 1, v26
	v_mov_b32_e32 v27, 0
	v_lshl_add_u64 v[26:27], v[2:3], 0, v[26:27]
	flat_load_ushort v25, v[26:27]
.LBB474_43:
	s_or_b64 exec, exec, s[0:1]
	v_or_b32_e32 v27, 0x2400, v0
	v_cmp_gt_u32_e32 vcc, s33, v27
                                        ; implicit-def: $vgpr26
	s_and_saveexec_b64 s[0:1], vcc
	s_cbranch_execz .LBB474_45
; %bb.44:
	v_lshlrev_b32_e32 v26, 1, v27
	v_mov_b32_e32 v27, 0
	v_lshl_add_u64 v[26:27], v[2:3], 0, v[26:27]
	flat_load_ushort v26, v[26:27]
.LBB474_45:
	s_or_b64 exec, exec, s[0:1]
	v_or_b32_e32 v28, 0x2600, v0
	v_cmp_gt_u32_e32 vcc, s33, v28
                                        ; implicit-def: $vgpr27
	s_and_saveexec_b64 s[0:1], vcc
	s_cbranch_execz .LBB474_47
; %bb.46:
	v_lshlrev_b32_e32 v28, 1, v28
	v_mov_b32_e32 v29, 0
	v_lshl_add_u64 v[28:29], v[2:3], 0, v[28:29]
	flat_load_ushort v27, v[28:29]
.LBB474_47:
	s_or_b64 exec, exec, s[0:1]
	v_or_b32_e32 v29, 0x2800, v0
	v_cmp_gt_u32_e32 vcc, s33, v29
                                        ; implicit-def: $vgpr28
	s_and_saveexec_b64 s[0:1], vcc
	s_cbranch_execz .LBB474_49
; %bb.48:
	v_lshlrev_b32_e32 v28, 1, v29
	v_mov_b32_e32 v29, 0
	v_lshl_add_u64 v[28:29], v[2:3], 0, v[28:29]
	flat_load_ushort v28, v[28:29]
.LBB474_49:
	s_or_b64 exec, exec, s[0:1]
	v_or_b32_e32 v30, 0x2a00, v0
	v_cmp_gt_u32_e32 vcc, s33, v30
                                        ; implicit-def: $vgpr29
	s_and_saveexec_b64 s[0:1], vcc
	s_cbranch_execz .LBB474_51
; %bb.50:
	v_lshlrev_b32_e32 v30, 1, v30
	v_mov_b32_e32 v31, 0
	v_lshl_add_u64 v[30:31], v[2:3], 0, v[30:31]
	flat_load_ushort v29, v[30:31]
.LBB474_51:
	s_or_b64 exec, exec, s[0:1]
	v_or_b32_e32 v31, 0x2c00, v0
	v_cmp_gt_u32_e32 vcc, s33, v31
                                        ; implicit-def: $vgpr30
	s_and_saveexec_b64 s[0:1], vcc
	s_cbranch_execz .LBB474_53
; %bb.52:
	v_lshlrev_b32_e32 v30, 1, v31
	v_mov_b32_e32 v31, 0
	v_lshl_add_u64 v[30:31], v[2:3], 0, v[30:31]
	flat_load_ushort v30, v[30:31]
.LBB474_53:
	s_or_b64 exec, exec, s[0:1]
	v_or_b32_e32 v32, 0x2e00, v0
	v_cmp_gt_u32_e32 vcc, s33, v32
                                        ; implicit-def: $vgpr31
	s_and_saveexec_b64 s[0:1], vcc
	s_cbranch_execz .LBB474_55
; %bb.54:
	v_lshlrev_b32_e32 v32, 1, v32
	v_mov_b32_e32 v33, 0
	v_lshl_add_u64 v[32:33], v[2:3], 0, v[32:33]
	flat_load_ushort v31, v[32:33]
.LBB474_55:
	s_or_b64 exec, exec, s[0:1]
	v_or_b32_e32 v33, 0x3000, v0
	v_cmp_gt_u32_e32 vcc, s33, v33
                                        ; implicit-def: $vgpr32
	s_and_saveexec_b64 s[0:1], vcc
	s_cbranch_execz .LBB474_57
; %bb.56:
	v_lshlrev_b32_e32 v32, 1, v33
	v_mov_b32_e32 v33, 0
	v_lshl_add_u64 v[32:33], v[2:3], 0, v[32:33]
	flat_load_ushort v32, v[32:33]
.LBB474_57:
	s_or_b64 exec, exec, s[0:1]
	v_or_b32_e32 v34, 0x3200, v0
	v_cmp_gt_u32_e32 vcc, s33, v34
                                        ; implicit-def: $vgpr33
	s_and_saveexec_b64 s[0:1], vcc
	s_cbranch_execz .LBB474_59
; %bb.58:
	v_lshlrev_b32_e32 v34, 1, v34
	v_mov_b32_e32 v35, 0
	v_lshl_add_u64 v[34:35], v[2:3], 0, v[34:35]
	flat_load_ushort v33, v[34:35]
.LBB474_59:
	s_or_b64 exec, exec, s[0:1]
	v_or_b32_e32 v35, 0x3400, v0
	v_cmp_gt_u32_e32 vcc, s33, v35
                                        ; implicit-def: $vgpr34
	s_and_saveexec_b64 s[0:1], vcc
	s_cbranch_execz .LBB474_61
; %bb.60:
	v_lshlrev_b32_e32 v34, 1, v35
	v_mov_b32_e32 v35, 0
	v_lshl_add_u64 v[34:35], v[2:3], 0, v[34:35]
	flat_load_ushort v34, v[34:35]
.LBB474_61:
	s_or_b64 exec, exec, s[0:1]
	v_or_b32_e32 v36, 0x3600, v0
	v_cmp_gt_u32_e32 vcc, s33, v36
                                        ; implicit-def: $vgpr35
	s_and_saveexec_b64 s[0:1], vcc
	s_cbranch_execz .LBB474_63
; %bb.62:
	v_lshlrev_b32_e32 v36, 1, v36
	v_mov_b32_e32 v37, 0
	v_lshl_add_u64 v[2:3], v[2:3], 0, v[36:37]
	flat_load_ushort v35, v[2:3]
.LBB474_63:
	s_or_b64 exec, exec, s[0:1]
	s_waitcnt vmcnt(0) lgkmcnt(0)
	ds_write_b16 v14, v1
	ds_write_b16 v14, v4 offset:1024
	ds_write_b16 v14, v5 offset:2048
	;; [unrolled: 1-line block ×27, first 2 shown]
	s_waitcnt lgkmcnt(0)
	s_barrier
.LBB474_64:
	v_mul_u32_u24_e32 v1, 28, v0
	v_lshlrev_b32_e32 v6, 1, v1
	ds_read_b64 v[20:21], v6 offset:48
	ds_read2_b64 v[2:5], v6 offset0:4 offset1:5
	ds_read2_b64 v[10:13], v6 offset1:1
	ds_read2_b64 v[6:9], v6 offset0:2 offset1:3
	s_add_u32 s0, s2, s4
	s_addc_u32 s1, s3, s5
	v_lshl_add_u64 v[22:23], s[0:1], 0, v[18:19]
	s_mov_b64 s[0:1], -1
	s_and_b64 vcc, exec, s[28:29]
	s_waitcnt lgkmcnt(0)
	s_barrier
	s_cbranch_vccz .LBB474_66
; %bb.65:
	v_mov_b32_e32 v15, 0
	v_readfirstlane_b32 s0, v22
	v_readfirstlane_b32 s1, v23
	v_lshl_add_u64 v[24:25], v[22:23], 0, v[14:15]
	s_nop 3
	global_load_ubyte v15, v14, s[0:1]
	global_load_ubyte v30, v14, s[0:1] offset:1024
	global_load_ubyte v31, v14, s[0:1] offset:2048
	;; [unrolled: 1-line block ×3, first 2 shown]
	s_movk_i32 s0, 0x1000
	v_add_co_u32_e32 v26, vcc, s0, v24
	s_movk_i32 s0, 0x2000
	s_nop 0
	v_addc_co_u32_e32 v27, vcc, 0, v25, vcc
	v_add_co_u32_e32 v28, vcc, s0, v24
	s_movk_i32 s0, 0x3000
	s_nop 0
	v_addc_co_u32_e32 v29, vcc, 0, v25, vcc
	global_load_ubyte v33, v[26:27], off offset:1024
	global_load_ubyte v34, v[26:27], off offset:2048
	;; [unrolled: 1-line block ×3, first 2 shown]
	global_load_ubyte v36, v[28:29], off offset:-4096
	global_load_ubyte v37, v[28:29], off
	global_load_ubyte v38, v[28:29], off offset:1024
	global_load_ubyte v39, v[28:29], off offset:2048
	;; [unrolled: 1-line block ×3, first 2 shown]
	v_add_co_u32_e32 v26, vcc, s0, v24
	s_movk_i32 s0, 0x4000
	s_nop 0
	v_addc_co_u32_e32 v27, vcc, 0, v25, vcc
	v_add_co_u32_e32 v28, vcc, s0, v24
	s_movk_i32 s1, 0x6000
	s_nop 0
	v_addc_co_u32_e32 v29, vcc, 0, v25, vcc
	global_load_ubyte v41, v[28:29], off offset:-4096
	global_load_ubyte v42, v[26:27], off offset:1024
	global_load_ubyte v43, v[26:27], off offset:2048
	;; [unrolled: 1-line block ×3, first 2 shown]
	global_load_ubyte v45, v[28:29], off
	v_add_co_u32_e32 v26, vcc, s1, v24
	s_movk_i32 s0, 0x5000
	s_nop 0
	v_addc_co_u32_e32 v27, vcc, 0, v25, vcc
	v_add_co_u32_e32 v24, vcc, s0, v24
	global_load_ubyte v46, v[28:29], off offset:1024
	global_load_ubyte v47, v[28:29], off offset:2048
	;; [unrolled: 1-line block ×3, first 2 shown]
	global_load_ubyte v49, v[26:27], off offset:-4096
	v_addc_co_u32_e32 v25, vcc, 0, v25, vcc
	global_load_ubyte v28, v[24:25], off offset:1024
	global_load_ubyte v29, v[24:25], off offset:2048
	;; [unrolled: 1-line block ×3, first 2 shown]
	global_load_ubyte v51, v[26:27], off
	global_load_ubyte v52, v[26:27], off offset:1024
	global_load_ubyte v53, v[26:27], off offset:2048
	;; [unrolled: 1-line block ×3, first 2 shown]
	s_mov_b64 s[0:1], 0
	s_waitcnt vmcnt(27)
	v_xor_b32_e32 v15, -1, v15
	s_waitcnt vmcnt(26)
	v_xor_b32_e32 v24, -1, v30
	;; [unrolled: 2-line block ×4, first 2 shown]
	v_and_b32_e32 v15, 1, v15
	v_and_b32_e32 v24, 1, v24
	;; [unrolled: 1-line block ×4, first 2 shown]
	s_waitcnt vmcnt(23)
	v_xor_b32_e32 v30, -1, v33
	s_waitcnt vmcnt(22)
	v_xor_b32_e32 v31, -1, v34
	;; [unrolled: 2-line block ×8, first 2 shown]
	v_and_b32_e32 v27, 1, v27
	v_and_b32_e32 v30, 1, v30
	;; [unrolled: 1-line block ×6, first 2 shown]
	s_waitcnt vmcnt(15)
	v_xor_b32_e32 v37, -1, v41
	s_waitcnt vmcnt(14)
	v_xor_b32_e32 v38, -1, v42
	;; [unrolled: 2-line block ×5, first 2 shown]
	v_and_b32_e32 v35, 1, v35
	v_and_b32_e32 v36, 1, v36
	;; [unrolled: 1-line block ×4, first 2 shown]
	s_waitcnt vmcnt(10)
	v_xor_b32_e32 v42, -1, v46
	s_waitcnt vmcnt(9)
	v_xor_b32_e32 v43, -1, v47
	;; [unrolled: 2-line block ×11, first 2 shown]
	v_and_b32_e32 v39, 1, v39
	v_and_b32_e32 v40, 1, v40
	;; [unrolled: 1-line block ×14, first 2 shown]
	ds_write_b8 v0, v15
	ds_write_b8 v0, v24 offset:512
	ds_write_b8 v0, v25 offset:1024
	;; [unrolled: 1-line block ×27, first 2 shown]
	s_waitcnt lgkmcnt(0)
	s_barrier
.LBB474_66:
	s_andn2_b64 vcc, exec, s[0:1]
	s_cbranch_vccnz .LBB474_124
; %bb.67:
	v_cmp_gt_u32_e32 vcc, s33, v0
	v_mov_b32_e32 v15, 0
	v_mov_b32_e32 v24, 0
	s_and_saveexec_b64 s[0:1], vcc
	s_cbranch_execz .LBB474_69
; %bb.68:
	v_readfirstlane_b32 s2, v22
	v_readfirstlane_b32 s3, v23
	s_nop 4
	global_load_ubyte v24, v14, s[2:3]
	s_waitcnt vmcnt(0)
	v_xor_b32_e32 v24, -1, v24
	v_and_b32_e32 v24, 1, v24
.LBB474_69:
	s_or_b64 exec, exec, s[0:1]
	v_or_b32_e32 v25, 0x200, v0
	v_cmp_gt_u32_e32 vcc, s33, v25
	s_and_saveexec_b64 s[0:1], vcc
	s_cbranch_execz .LBB474_71
; %bb.70:
	v_readfirstlane_b32 s2, v22
	v_readfirstlane_b32 s3, v23
	s_nop 4
	global_load_ubyte v15, v14, s[2:3] offset:1024
	s_waitcnt vmcnt(0)
	v_xor_b32_e32 v15, -1, v15
	v_and_b32_e32 v15, 1, v15
.LBB474_71:
	s_or_b64 exec, exec, s[0:1]
	v_or_b32_e32 v25, 0x400, v0
	v_cmp_gt_u32_e32 vcc, s33, v25
	v_mov_b32_e32 v25, 0
	v_mov_b32_e32 v26, 0
	s_and_saveexec_b64 s[0:1], vcc
	s_cbranch_execz .LBB474_73
; %bb.72:
	v_readfirstlane_b32 s2, v22
	v_readfirstlane_b32 s3, v23
	s_nop 4
	global_load_ubyte v26, v14, s[2:3] offset:2048
	s_waitcnt vmcnt(0)
	v_xor_b32_e32 v26, -1, v26
	v_and_b32_e32 v26, 1, v26
.LBB474_73:
	s_or_b64 exec, exec, s[0:1]
	v_or_b32_e32 v27, 0x600, v0
	v_cmp_gt_u32_e32 vcc, s33, v27
	s_and_saveexec_b64 s[0:1], vcc
	s_cbranch_execz .LBB474_75
; %bb.74:
	v_readfirstlane_b32 s2, v22
	v_readfirstlane_b32 s3, v23
	s_nop 4
	global_load_ubyte v25, v14, s[2:3] offset:3072
	s_waitcnt vmcnt(0)
	v_xor_b32_e32 v25, -1, v25
	v_and_b32_e32 v25, 1, v25
.LBB474_75:
	s_or_b64 exec, exec, s[0:1]
	v_or_b32_e32 v29, 0x800, v0
	v_cmp_gt_u32_e32 vcc, s33, v29
	v_mov_b32_e32 v27, 0
	v_mov_b32_e32 v28, 0
	s_and_saveexec_b64 s[0:1], vcc
	s_cbranch_execz .LBB474_77
; %bb.76:
	v_lshlrev_b32_e32 v28, 1, v29
	v_readfirstlane_b32 s2, v22
	v_readfirstlane_b32 s3, v23
	s_nop 4
	global_load_ubyte v28, v28, s[2:3]
	s_waitcnt vmcnt(0)
	v_xor_b32_e32 v28, -1, v28
	v_and_b32_e32 v28, 1, v28
.LBB474_77:
	s_or_b64 exec, exec, s[0:1]
	v_or_b32_e32 v29, 0xa00, v0
	v_cmp_gt_u32_e32 vcc, s33, v29
	s_and_saveexec_b64 s[0:1], vcc
	s_cbranch_execz .LBB474_79
; %bb.78:
	v_lshlrev_b32_e32 v27, 1, v29
	v_readfirstlane_b32 s2, v22
	v_readfirstlane_b32 s3, v23
	s_nop 4
	global_load_ubyte v27, v27, s[2:3]
	s_waitcnt vmcnt(0)
	v_xor_b32_e32 v27, -1, v27
	v_and_b32_e32 v27, 1, v27
.LBB474_79:
	s_or_b64 exec, exec, s[0:1]
	v_or_b32_e32 v31, 0xc00, v0
	v_cmp_gt_u32_e32 vcc, s33, v31
	v_mov_b32_e32 v29, 0
	v_mov_b32_e32 v30, 0
	s_and_saveexec_b64 s[0:1], vcc
	s_cbranch_execz .LBB474_81
; %bb.80:
	v_lshlrev_b32_e32 v30, 1, v31
	v_readfirstlane_b32 s2, v22
	v_readfirstlane_b32 s3, v23
	s_nop 4
	global_load_ubyte v30, v30, s[2:3]
	s_waitcnt vmcnt(0)
	v_xor_b32_e32 v30, -1, v30
	v_and_b32_e32 v30, 1, v30
.LBB474_81:
	s_or_b64 exec, exec, s[0:1]
	v_or_b32_e32 v31, 0xe00, v0
	v_cmp_gt_u32_e32 vcc, s33, v31
	s_and_saveexec_b64 s[0:1], vcc
	s_cbranch_execz .LBB474_83
; %bb.82:
	v_lshlrev_b32_e32 v29, 1, v31
	v_readfirstlane_b32 s2, v22
	v_readfirstlane_b32 s3, v23
	s_nop 4
	global_load_ubyte v29, v29, s[2:3]
	s_waitcnt vmcnt(0)
	v_xor_b32_e32 v29, -1, v29
	v_and_b32_e32 v29, 1, v29
.LBB474_83:
	;; [unrolled: 32-line block ×12, first 2 shown]
	s_or_b64 exec, exec, s[0:1]
	ds_write_b8 v0, v24
	ds_write_b8 v0, v15 offset:512
	ds_write_b8 v0, v26 offset:1024
	;; [unrolled: 1-line block ×27, first 2 shown]
	s_waitcnt lgkmcnt(0)
	s_barrier
.LBB474_124:
	ds_read2_b32 v[28:29], v1 offset1:1
	ds_read2_b32 v[26:27], v1 offset0:2 offset1:3
	ds_read2_b32 v[24:25], v1 offset0:4 offset1:5
	ds_read_b32 v38, v1 offset:24
	s_cmp_lg_u32 s40, 0
	v_lshrrev_b32_e32 v65, 6, v0
	s_waitcnt lgkmcnt(2)
	v_and_b32_e32 v57, 0xff, v26
	v_lshrrev_b32_e32 v45, 24, v28
	v_bfe_u32 v63, v28, 16, 8
	v_add_u32_sdwa v22, v28, v28 dst_sel:DWORD dst_unused:UNUSED_PAD src0_sel:BYTE_1 src1_sel:BYTE_0
	v_and_b32_e32 v60, 0xff, v29
	v_bfe_u32 v61, v29, 8, 8
	v_add3_u32 v22, v22, v63, v45
	v_lshrrev_b32_e32 v44, 24, v29
	v_bfe_u32 v62, v29, 16, 8
	v_add3_u32 v22, v22, v60, v61
	v_bfe_u32 v58, v26, 8, 8
	v_add3_u32 v22, v22, v62, v44
	v_lshrrev_b32_e32 v43, 24, v26
	v_bfe_u32 v59, v26, 16, 8
	v_add3_u32 v22, v22, v57, v58
	v_and_b32_e32 v54, 0xff, v27
	v_bfe_u32 v55, v27, 8, 8
	v_add3_u32 v22, v22, v59, v43
	v_lshrrev_b32_e32 v42, 24, v27
	v_bfe_u32 v56, v27, 16, 8
	v_add3_u32 v22, v22, v54, v55
	s_waitcnt lgkmcnt(1)
	v_and_b32_e32 v51, 0xff, v24
	v_bfe_u32 v52, v24, 8, 8
	v_add3_u32 v22, v22, v56, v42
	v_lshrrev_b32_e32 v41, 24, v24
	v_bfe_u32 v53, v24, 16, 8
	v_add3_u32 v22, v22, v51, v52
	v_and_b32_e32 v48, 0xff, v25
	v_bfe_u32 v49, v25, 8, 8
	v_add3_u32 v22, v22, v53, v41
	v_lshrrev_b32_e32 v40, 24, v25
	v_bfe_u32 v50, v25, 16, 8
	v_add3_u32 v22, v22, v48, v49
	s_waitcnt lgkmcnt(0)
	v_and_b32_e32 v46, 0xff, v38
	v_bfe_u32 v47, v38, 8, 8
	v_add3_u32 v22, v22, v50, v40
	v_lshrrev_b32_e32 v15, 24, v38
	v_bfe_u32 v39, v38, 16, 8
	v_add3_u32 v22, v22, v46, v47
	v_add3_u32 v66, v22, v39, v15
	v_mbcnt_lo_u32_b32 v22, -1, 0
	v_mbcnt_hi_u32_b32 v64, -1, v22
	v_and_b32_e32 v22, 15, v64
	v_cmp_eq_u32_e64 s[14:15], 0, v22
	v_cmp_lt_u32_e64 s[12:13], 1, v22
	v_cmp_lt_u32_e64 s[10:11], 3, v22
	;; [unrolled: 1-line block ×3, first 2 shown]
	v_and_b32_e32 v22, 16, v64
	v_cmp_eq_u32_e64 s[6:7], 0, v22
	v_or_b32_e32 v22, 63, v0
	v_cmp_lt_u32_e64 s[2:3], 31, v64
	v_cmp_eq_u32_e64 s[4:5], v22, v0
	s_barrier
	s_cbranch_scc0 .LBB474_151
; %bb.125:
	v_mov_b32_dpp v22, v66 row_shr:1 row_mask:0xf bank_mask:0xf
	v_cndmask_b32_e64 v22, v22, 0, s[14:15]
	v_add_u32_e32 v22, v22, v66
	s_nop 1
	v_mov_b32_dpp v23, v22 row_shr:2 row_mask:0xf bank_mask:0xf
	v_cndmask_b32_e64 v23, 0, v23, s[12:13]
	v_add_u32_e32 v22, v22, v23
	s_nop 1
	;; [unrolled: 4-line block ×4, first 2 shown]
	v_mov_b32_dpp v23, v22 row_bcast:15 row_mask:0xf bank_mask:0xf
	v_cndmask_b32_e64 v23, v23, 0, s[6:7]
	v_add_u32_e32 v22, v22, v23
	s_nop 1
	v_mov_b32_dpp v23, v22 row_bcast:31 row_mask:0xf bank_mask:0xf
	v_cndmask_b32_e64 v23, 0, v23, s[2:3]
	v_add_u32_e32 v22, v22, v23
	s_and_saveexec_b64 s[0:1], s[4:5]
	s_cbranch_execz .LBB474_127
; %bb.126:
	v_lshlrev_b32_e32 v23, 2, v65
	ds_write_b32 v23, v22
.LBB474_127:
	s_or_b64 exec, exec, s[0:1]
	v_cmp_gt_u32_e32 vcc, 8, v0
	s_waitcnt lgkmcnt(0)
	s_barrier
	s_and_saveexec_b64 s[0:1], vcc
	s_cbranch_execz .LBB474_129
; %bb.128:
	v_lshlrev_b32_e32 v23, 2, v0
	ds_read_b32 v30, v23
	v_and_b32_e32 v31, 7, v64
	v_cmp_ne_u32_e32 vcc, 0, v31
	s_waitcnt lgkmcnt(0)
	v_mov_b32_dpp v32, v30 row_shr:1 row_mask:0xf bank_mask:0xf
	v_cndmask_b32_e32 v32, 0, v32, vcc
	v_add_u32_e32 v30, v32, v30
	v_cmp_lt_u32_e32 vcc, 1, v31
	s_nop 0
	v_mov_b32_dpp v32, v30 row_shr:2 row_mask:0xf bank_mask:0xf
	v_cndmask_b32_e32 v32, 0, v32, vcc
	v_add_u32_e32 v30, v30, v32
	v_cmp_lt_u32_e32 vcc, 3, v31
	s_nop 0
	v_mov_b32_dpp v32, v30 row_shr:4 row_mask:0xf bank_mask:0xf
	v_cndmask_b32_e32 v31, 0, v32, vcc
	v_add_u32_e32 v30, v30, v31
	ds_write_b32 v23, v30
.LBB474_129:
	s_or_b64 exec, exec, s[0:1]
	v_cmp_gt_u32_e32 vcc, 64, v0
	v_cmp_lt_u32_e64 s[0:1], 63, v0
	s_waitcnt lgkmcnt(0)
	s_barrier
	s_waitcnt lgkmcnt(0)
                                        ; implicit-def: $vgpr67
	s_and_saveexec_b64 s[16:17], s[0:1]
	s_cbranch_execz .LBB474_131
; %bb.130:
	v_lshl_add_u32 v23, v65, 2, -4
	ds_read_b32 v67, v23
	s_waitcnt lgkmcnt(0)
	v_add_u32_e32 v22, v67, v22
.LBB474_131:
	s_or_b64 exec, exec, s[16:17]
	v_add_u32_e32 v23, -1, v64
	v_and_b32_e32 v30, 64, v64
	v_cmp_lt_i32_e64 s[0:1], v23, v30
	v_cmp_eq_u32_e64 s[16:17], 0, v64
	s_nop 0
	v_cndmask_b32_e64 v23, v23, v64, s[0:1]
	v_lshlrev_b32_e32 v23, 2, v23
	ds_bpermute_b32 v68, v23, v22
	s_and_saveexec_b64 s[0:1], vcc
	s_cbranch_execz .LBB474_150
; %bb.132:
	v_mov_b32_e32 v35, 0
	ds_read_b32 v22, v35 offset:28
	s_and_saveexec_b64 s[36:37], s[16:17]
	s_cbranch_execz .LBB474_134
; %bb.133:
	s_add_i32 s38, s40, 64
	s_mov_b32 s39, 0
	s_lshl_b64 s[38:39], s[38:39], 3
	s_add_u32 s38, s34, s38
	v_mov_b32_e32 v23, 1
	s_addc_u32 s39, s35, s39
	s_waitcnt lgkmcnt(0)
	global_store_dwordx2 v35, v[22:23], s[38:39] sc1
.LBB474_134:
	s_or_b64 exec, exec, s[36:37]
	v_xad_u32 v30, v64, -1, s40
	v_add_u32_e32 v34, 64, v30
	v_lshl_add_u64 v[36:37], v[34:35], 3, s[34:35]
	global_load_dwordx2 v[32:33], v[36:37], off sc1
	s_waitcnt vmcnt(0)
	v_cmp_eq_u16_sdwa s[38:39], v33, v35 src0_sel:BYTE_0 src1_sel:DWORD
	s_and_saveexec_b64 s[36:37], s[38:39]
	s_cbranch_execz .LBB474_138
; %bb.135:
	s_mov_b64 s[38:39], 0
	v_mov_b32_e32 v23, 0
.LBB474_136:                            ; =>This Inner Loop Header: Depth=1
	global_load_dwordx2 v[32:33], v[36:37], off sc1
	s_waitcnt vmcnt(0)
	v_cmp_ne_u16_sdwa s[42:43], v33, v23 src0_sel:BYTE_0 src1_sel:DWORD
	s_or_b64 s[38:39], s[42:43], s[38:39]
	s_andn2_b64 exec, exec, s[38:39]
	s_cbranch_execnz .LBB474_136
; %bb.137:
	s_or_b64 exec, exec, s[38:39]
.LBB474_138:
	s_or_b64 exec, exec, s[36:37]
	v_and_b32_e32 v70, 63, v64
	v_mov_b32_e32 v69, 2
	v_cmp_ne_u32_e32 vcc, 63, v70
	v_cmp_eq_u16_sdwa s[36:37], v33, v69 src0_sel:BYTE_0 src1_sel:DWORD
	v_lshlrev_b64 v[34:35], v64, -1
	v_addc_co_u32_e32 v36, vcc, 0, v64, vcc
	v_and_b32_e32 v23, s37, v35
	v_lshlrev_b32_e32 v71, 2, v36
	v_or_b32_e32 v23, 0x80000000, v23
	ds_bpermute_b32 v36, v71, v32
	v_and_b32_e32 v31, s36, v34
	v_ffbl_b32_e32 v23, v23
	v_add_u32_e32 v23, 32, v23
	v_ffbl_b32_e32 v31, v31
	v_min_u32_e32 v23, v31, v23
	v_cmp_lt_u32_e32 vcc, v70, v23
	v_add_u32_e32 v73, 2, v70
	v_add_u32_e32 v75, 4, v70
	s_waitcnt lgkmcnt(0)
	v_cndmask_b32_e32 v31, 0, v36, vcc
	v_cmp_gt_u32_e32 vcc, 62, v70
	v_add_u32_e32 v31, v31, v32
	v_add_u32_e32 v77, 8, v70
	v_cndmask_b32_e64 v32, 0, 1, vcc
	v_lshlrev_b32_e32 v32, 1, v32
	v_add_lshl_u32 v72, v32, v64, 2
	ds_bpermute_b32 v32, v72, v31
	v_cmp_le_u32_e32 vcc, v73, v23
	v_add_u32_e32 v79, 16, v70
	v_add_u32_e32 v81, 32, v70
	s_waitcnt lgkmcnt(0)
	v_cndmask_b32_e32 v32, 0, v32, vcc
	v_cmp_gt_u32_e32 vcc, 60, v70
	v_add_u32_e32 v31, v31, v32
	s_nop 0
	v_cndmask_b32_e64 v32, 0, 1, vcc
	v_lshlrev_b32_e32 v32, 2, v32
	v_add_lshl_u32 v74, v32, v64, 2
	ds_bpermute_b32 v32, v74, v31
	v_cmp_le_u32_e32 vcc, v75, v23
	s_waitcnt lgkmcnt(0)
	s_nop 0
	v_cndmask_b32_e32 v32, 0, v32, vcc
	v_cmp_gt_u32_e32 vcc, 56, v70
	v_add_u32_e32 v31, v31, v32
	s_nop 0
	v_cndmask_b32_e64 v32, 0, 1, vcc
	v_lshlrev_b32_e32 v32, 3, v32
	v_add_lshl_u32 v76, v32, v64, 2
	ds_bpermute_b32 v32, v76, v31
	v_cmp_le_u32_e32 vcc, v77, v23
	s_waitcnt lgkmcnt(0)
	s_nop 0
	;; [unrolled: 11-line block ×4, first 2 shown]
	v_cndmask_b32_e32 v23, 0, v32, vcc
	v_add_u32_e32 v32, v31, v23
	v_mov_b32_e32 v31, 0
	s_branch .LBB474_140
.LBB474_139:                            ;   in Loop: Header=BB474_140 Depth=1
	s_or_b64 exec, exec, s[36:37]
	v_cmp_eq_u16_sdwa s[36:37], v33, v69 src0_sel:BYTE_0 src1_sel:DWORD
	ds_bpermute_b32 v82, v71, v32
	v_subrev_u32_e32 v30, 64, v30
	v_and_b32_e32 v36, s37, v35
	v_or_b32_e32 v36, 0x80000000, v36
	v_and_b32_e32 v37, s36, v34
	v_ffbl_b32_e32 v36, v36
	v_add_u32_e32 v36, 32, v36
	v_ffbl_b32_e32 v37, v37
	v_min_u32_e32 v36, v37, v36
	v_cmp_lt_u32_e32 vcc, v70, v36
	s_waitcnt lgkmcnt(0)
	s_nop 0
	v_cndmask_b32_e32 v37, 0, v82, vcc
	v_add_u32_e32 v32, v37, v32
	ds_bpermute_b32 v37, v72, v32
	v_cmp_le_u32_e32 vcc, v73, v36
	s_waitcnt lgkmcnt(0)
	s_nop 0
	v_cndmask_b32_e32 v37, 0, v37, vcc
	v_add_u32_e32 v32, v32, v37
	ds_bpermute_b32 v37, v74, v32
	v_cmp_le_u32_e32 vcc, v75, v36
	;; [unrolled: 6-line block ×5, first 2 shown]
	s_waitcnt lgkmcnt(0)
	s_nop 0
	v_cndmask_b32_e32 v36, 0, v37, vcc
	v_add3_u32 v32, v36, v23, v32
.LBB474_140:                            ; =>This Loop Header: Depth=1
                                        ;     Child Loop BB474_143 Depth 2
	v_cmp_ne_u16_sdwa s[36:37], v33, v69 src0_sel:BYTE_0 src1_sel:DWORD
	s_nop 1
	v_cndmask_b32_e64 v23, 0, 1, s[36:37]
	;;#ASMSTART
	;;#ASMEND
	s_nop 0
	v_cmp_ne_u32_e32 vcc, 0, v23
	s_cmp_lg_u64 vcc, exec
	v_mov_b32_e32 v23, v32
	s_cbranch_scc1 .LBB474_145
; %bb.141:                              ;   in Loop: Header=BB474_140 Depth=1
	v_lshl_add_u64 v[36:37], v[30:31], 3, s[34:35]
	global_load_dwordx2 v[32:33], v[36:37], off sc1
	s_waitcnt vmcnt(0)
	v_cmp_eq_u16_sdwa s[38:39], v33, v31 src0_sel:BYTE_0 src1_sel:DWORD
	s_and_saveexec_b64 s[36:37], s[38:39]
	s_cbranch_execz .LBB474_139
; %bb.142:                              ;   in Loop: Header=BB474_140 Depth=1
	s_mov_b64 s[38:39], 0
.LBB474_143:                            ;   Parent Loop BB474_140 Depth=1
                                        ; =>  This Inner Loop Header: Depth=2
	global_load_dwordx2 v[32:33], v[36:37], off sc1
	s_waitcnt vmcnt(0)
	v_cmp_ne_u16_sdwa s[42:43], v33, v31 src0_sel:BYTE_0 src1_sel:DWORD
	s_or_b64 s[38:39], s[42:43], s[38:39]
	s_andn2_b64 exec, exec, s[38:39]
	s_cbranch_execnz .LBB474_143
; %bb.144:                              ;   in Loop: Header=BB474_140 Depth=1
	s_or_b64 exec, exec, s[38:39]
	s_branch .LBB474_139
.LBB474_145:                            ;   in Loop: Header=BB474_140 Depth=1
                                        ; implicit-def: $vgpr32
                                        ; implicit-def: $vgpr33
	s_cbranch_execz .LBB474_140
; %bb.146:
	s_and_saveexec_b64 s[36:37], s[16:17]
	s_cbranch_execz .LBB474_148
; %bb.147:
	s_add_i32 s38, s40, 64
	s_mov_b32 s39, 0
	s_lshl_b64 s[38:39], s[38:39], 3
	s_add_u32 s38, s34, s38
	v_add_u32_e32 v30, v23, v22
	v_mov_b32_e32 v31, 2
	s_addc_u32 s39, s35, s39
	v_mov_b32_e32 v32, 0
	global_store_dwordx2 v32, v[30:31], s[38:39] sc1
	ds_write_b64 v32, v[22:23] offset:28672
.LBB474_148:
	s_or_b64 exec, exec, s[36:37]
	s_and_b64 exec, exec, s[18:19]
	s_cbranch_execz .LBB474_150
; %bb.149:
	v_mov_b32_e32 v22, 0
	ds_write_b32 v22, v23 offset:28
.LBB474_150:
	s_or_b64 exec, exec, s[0:1]
	v_mov_b32_e32 v22, 0
	s_waitcnt lgkmcnt(0)
	s_barrier
	ds_read_b32 v30, v22 offset:28
	s_waitcnt lgkmcnt(0)
	s_barrier
	ds_read_b64 v[22:23], v22 offset:28672
	v_cndmask_b32_e64 v31, v68, v67, s[16:17]
	v_cndmask_b32_e64 v31, v31, 0, s[18:19]
	v_add_u32_e32 v36, v30, v31
	s_waitcnt lgkmcnt(0)
	v_mov_b32_e32 v30, v23
	s_branch .LBB474_161
.LBB474_151:
                                        ; implicit-def: $vgpr30
                                        ; implicit-def: $vgpr22
                                        ; implicit-def: $vgpr36
	s_cbranch_execz .LBB474_161
; %bb.152:
	s_nop 0
	v_mov_b32_dpp v22, v66 row_shr:1 row_mask:0xf bank_mask:0xf
	v_cndmask_b32_e64 v22, v22, 0, s[14:15]
	v_add_u32_e32 v22, v22, v66
	s_nop 1
	v_mov_b32_dpp v23, v22 row_shr:2 row_mask:0xf bank_mask:0xf
	v_cndmask_b32_e64 v23, 0, v23, s[12:13]
	v_add_u32_e32 v22, v22, v23
	;; [unrolled: 4-line block ×4, first 2 shown]
	s_nop 1
	v_mov_b32_dpp v23, v22 row_bcast:15 row_mask:0xf bank_mask:0xf
	v_cndmask_b32_e64 v23, v23, 0, s[6:7]
	v_add_u32_e32 v22, v22, v23
	s_nop 1
	v_mov_b32_dpp v23, v22 row_bcast:31 row_mask:0xf bank_mask:0xf
	v_cndmask_b32_e64 v23, 0, v23, s[2:3]
	v_add_u32_e32 v22, v22, v23
	s_and_saveexec_b64 s[0:1], s[4:5]
	s_cbranch_execz .LBB474_154
; %bb.153:
	v_lshlrev_b32_e32 v23, 2, v65
	ds_write_b32 v23, v22
.LBB474_154:
	s_or_b64 exec, exec, s[0:1]
	v_cmp_gt_u32_e32 vcc, 8, v0
	s_waitcnt lgkmcnt(0)
	s_barrier
	s_and_saveexec_b64 s[0:1], vcc
	s_cbranch_execz .LBB474_156
; %bb.155:
	v_lshlrev_b32_e32 v23, 2, v0
	ds_read_b32 v30, v23
	v_and_b32_e32 v31, 7, v64
	v_cmp_ne_u32_e32 vcc, 0, v31
	s_waitcnt lgkmcnt(0)
	v_mov_b32_dpp v32, v30 row_shr:1 row_mask:0xf bank_mask:0xf
	v_cndmask_b32_e32 v32, 0, v32, vcc
	v_add_u32_e32 v30, v32, v30
	v_cmp_lt_u32_e32 vcc, 1, v31
	s_nop 0
	v_mov_b32_dpp v32, v30 row_shr:2 row_mask:0xf bank_mask:0xf
	v_cndmask_b32_e32 v32, 0, v32, vcc
	v_add_u32_e32 v30, v30, v32
	v_cmp_lt_u32_e32 vcc, 3, v31
	s_nop 0
	v_mov_b32_dpp v32, v30 row_shr:4 row_mask:0xf bank_mask:0xf
	v_cndmask_b32_e32 v31, 0, v32, vcc
	v_add_u32_e32 v30, v30, v31
	ds_write_b32 v23, v30
.LBB474_156:
	s_or_b64 exec, exec, s[0:1]
	v_cmp_lt_u32_e32 vcc, 63, v0
	v_mov_b32_e32 v23, 0
	v_mov_b32_e32 v30, 0
	s_waitcnt lgkmcnt(0)
	s_barrier
	s_and_saveexec_b64 s[0:1], vcc
	s_cbranch_execz .LBB474_158
; %bb.157:
	v_lshl_add_u32 v30, v65, 2, -4
	ds_read_b32 v30, v30
.LBB474_158:
	s_or_b64 exec, exec, s[0:1]
	v_add_u32_e32 v31, -1, v64
	v_and_b32_e32 v32, 64, v64
	v_cmp_lt_i32_e32 vcc, v31, v32
	s_waitcnt lgkmcnt(0)
	v_add_u32_e32 v22, v30, v22
	v_cndmask_b32_e32 v31, v31, v64, vcc
	v_lshlrev_b32_e32 v31, 2, v31
	ds_bpermute_b32 v31, v31, v22
	ds_read_b32 v22, v23 offset:28
	s_and_saveexec_b64 s[0:1], s[18:19]
	s_cbranch_execz .LBB474_160
; %bb.159:
	v_mov_b32_e32 v32, 0
	v_mov_b32_e32 v23, 2
	s_waitcnt lgkmcnt(0)
	global_store_dwordx2 v32, v[22:23], s[34:35] offset:512 sc1
.LBB474_160:
	s_or_b64 exec, exec, s[0:1]
	v_cmp_eq_u32_e32 vcc, 0, v64
	s_waitcnt lgkmcnt(0)
	s_barrier
	v_cndmask_b32_e32 v23, v31, v30, vcc
	v_mov_b32_e32 v30, 0
	v_cndmask_b32_e64 v36, v23, 0, s[18:19]
.LBB474_161:
	v_add_u32_sdwa v64, v36, v28 dst_sel:DWORD dst_unused:UNUSED_PAD src0_sel:DWORD src1_sel:BYTE_0
	v_add_u32_e32 v1, v22, v1
	v_sub_u32_e32 v36, v36, v30
	v_and_b32_e32 v73, 1, v28
	v_sub_u32_e32 v72, v1, v36
	v_cmp_eq_u32_e32 vcc, 1, v73
	v_lshrrev_b32_e32 v37, 8, v28
	v_add_u32_sdwa v65, v64, v28 dst_sel:DWORD dst_unused:UNUSED_PAD src0_sel:DWORD src1_sel:BYTE_1
	v_cndmask_b32_e32 v36, v72, v36, vcc
	v_lshlrev_b32_e32 v36, 1, v36
	ds_write_b16 v36, v10
	v_sub_u32_e32 v36, v64, v30
	v_sub_u32_e32 v64, v1, v36
	v_and_b32_e32 v37, 1, v37
	v_add_u32_e32 v64, 1, v64
	v_cmp_eq_u32_e32 vcc, 1, v37
	v_mov_b32_e32 v37, 1
	v_and_b32_sdwa v28, v37, v28 dst_sel:DWORD dst_unused:UNUSED_PAD src0_sel:DWORD src1_sel:WORD_1
	v_cndmask_b32_e32 v36, v64, v36, vcc
	v_lshlrev_b32_e32 v36, 1, v36
	ds_write_b16_d16_hi v36, v10
	v_sub_u32_e32 v10, v65, v30
	v_sub_u32_e32 v36, v1, v10
	v_add_u32_e32 v36, 2, v36
	v_cmp_eq_u32_e32 vcc, 1, v28
	v_add_u32_e32 v63, v65, v63
	v_add_u32_e32 v66, v63, v45
	v_cndmask_b32_e32 v10, v36, v10, vcc
	v_lshlrev_b32_e32 v10, 1, v10
	ds_write_b16 v10, v11
	v_sub_u32_e32 v10, v63, v30
	v_sub_u32_e32 v28, v1, v10
	v_and_b32_e32 v36, 1, v45
	v_add_u32_e32 v28, 3, v28
	v_cmp_eq_u32_e32 vcc, 1, v36
	v_add_u32_e32 v60, v66, v60
	v_lshrrev_b32_e32 v35, 8, v29
	v_cndmask_b32_e32 v10, v28, v10, vcc
	v_lshlrev_b32_e32 v10, 1, v10
	ds_write_b16_d16_hi v10, v11
	v_sub_u32_e32 v10, v66, v30
	v_sub_u32_e32 v11, v1, v10
	v_and_b32_e32 v28, 1, v29
	v_add_u32_e32 v11, 4, v11
	v_cmp_eq_u32_e32 vcc, 1, v28
	v_and_b32_e32 v28, 1, v35
	v_add_u32_e32 v61, v60, v61
	v_cndmask_b32_e32 v10, v11, v10, vcc
	v_lshlrev_b32_e32 v10, 1, v10
	ds_write_b16 v10, v12
	v_sub_u32_e32 v10, v60, v30
	v_sub_u32_e32 v11, v1, v10
	v_add_u32_e32 v11, 5, v11
	v_cmp_eq_u32_e32 vcc, 1, v28
	v_add_u32_e32 v62, v61, v62
	v_add_u32_e32 v67, v62, v44
	v_cndmask_b32_e32 v10, v11, v10, vcc
	v_lshlrev_b32_e32 v10, 1, v10
	ds_write_b16_d16_hi v10, v12
	v_sub_u32_e32 v10, v61, v30
	v_sub_u32_e32 v11, v1, v10
	v_and_b32_sdwa v12, v37, v29 dst_sel:DWORD dst_unused:UNUSED_PAD src0_sel:DWORD src1_sel:WORD_1
	v_add_u32_e32 v11, 6, v11
	v_cmp_eq_u32_e32 vcc, 1, v12
	v_and_b32_e32 v12, 1, v44
	v_add_u32_e32 v57, v67, v57
	v_cndmask_b32_e32 v10, v11, v10, vcc
	v_lshlrev_b32_e32 v10, 1, v10
	ds_write_b16 v10, v13
	v_sub_u32_e32 v10, v62, v30
	v_sub_u32_e32 v11, v1, v10
	v_add_u32_e32 v11, 7, v11
	v_cmp_eq_u32_e32 vcc, 1, v12
	v_and_b32_e32 v12, 1, v26
	v_lshrrev_b32_e32 v34, 8, v26
	v_cndmask_b32_e32 v10, v11, v10, vcc
	v_lshlrev_b32_e32 v10, 1, v10
	ds_write_b16_d16_hi v10, v13
	v_sub_u32_e32 v10, v67, v30
	v_sub_u32_e32 v11, v1, v10
	v_add_u32_e32 v11, 8, v11
	v_cmp_eq_u32_e32 vcc, 1, v12
	v_and_b32_e32 v12, 1, v34
	v_add_u32_e32 v58, v57, v58
	v_cndmask_b32_e32 v10, v11, v10, vcc
	v_lshlrev_b32_e32 v10, 1, v10
	ds_write_b16 v10, v6
	v_sub_u32_e32 v10, v57, v30
	v_sub_u32_e32 v11, v1, v10
	v_add_u32_e32 v11, 9, v11
	v_cmp_eq_u32_e32 vcc, 1, v12
	v_add_u32_e32 v59, v58, v59
	v_add_u32_e32 v68, v59, v43
	v_cndmask_b32_e32 v10, v11, v10, vcc
	v_lshlrev_b32_e32 v10, 1, v10
	ds_write_b16_d16_hi v10, v6
	v_sub_u32_e32 v6, v58, v30
	v_sub_u32_e32 v10, v1, v6
	v_and_b32_sdwa v11, v37, v26 dst_sel:DWORD dst_unused:UNUSED_PAD src0_sel:DWORD src1_sel:WORD_1
	v_add_u32_e32 v10, 10, v10
	v_cmp_eq_u32_e32 vcc, 1, v11
	v_and_b32_e32 v11, 1, v43
	v_add_u32_e32 v54, v68, v54
	v_cndmask_b32_e32 v6, v10, v6, vcc
	v_lshlrev_b32_e32 v6, 1, v6
	ds_write_b16 v6, v7
	v_sub_u32_e32 v6, v59, v30
	v_sub_u32_e32 v10, v1, v6
	v_add_u32_e32 v10, 11, v10
	v_cmp_eq_u32_e32 vcc, 1, v11
	v_lshrrev_b32_e32 v33, 8, v27
	v_add_u32_e32 v55, v54, v55
	v_cndmask_b32_e32 v6, v10, v6, vcc
	v_lshlrev_b32_e32 v6, 1, v6
	ds_write_b16_d16_hi v6, v7
	v_sub_u32_e32 v6, v68, v30
	v_sub_u32_e32 v7, v1, v6
	v_and_b32_e32 v10, 1, v27
	v_add_u32_e32 v7, 12, v7
	v_cmp_eq_u32_e32 vcc, 1, v10
	v_and_b32_e32 v10, 1, v33
	v_add_u32_e32 v56, v55, v56
	v_cndmask_b32_e32 v6, v7, v6, vcc
	v_lshlrev_b32_e32 v6, 1, v6
	ds_write_b16 v6, v8
	v_sub_u32_e32 v6, v54, v30
	v_sub_u32_e32 v7, v1, v6
	v_add_u32_e32 v7, 13, v7
	v_cmp_eq_u32_e32 vcc, 1, v10
	v_add_u32_e32 v69, v56, v42
	v_add_u32_e32 v51, v69, v51
	v_cndmask_b32_e32 v6, v7, v6, vcc
	v_lshlrev_b32_e32 v6, 1, v6
	ds_write_b16_d16_hi v6, v8
	v_sub_u32_e32 v6, v55, v30
	v_sub_u32_e32 v7, v1, v6
	v_and_b32_sdwa v8, v37, v27 dst_sel:DWORD dst_unused:UNUSED_PAD src0_sel:DWORD src1_sel:WORD_1
	v_add_u32_e32 v7, 14, v7
	v_cmp_eq_u32_e32 vcc, 1, v8
	v_and_b32_e32 v8, 1, v42
	v_lshrrev_b32_e32 v32, 8, v24
	v_cndmask_b32_e32 v6, v7, v6, vcc
	v_lshlrev_b32_e32 v6, 1, v6
	ds_write_b16 v6, v9
	v_sub_u32_e32 v6, v56, v30
	v_sub_u32_e32 v7, v1, v6
	v_add_u32_e32 v7, 15, v7
	v_cmp_eq_u32_e32 vcc, 1, v8
	v_and_b32_e32 v8, 1, v24
	v_add_u32_e32 v52, v51, v52
	v_cndmask_b32_e32 v6, v7, v6, vcc
	v_lshlrev_b32_e32 v6, 1, v6
	ds_write_b16_d16_hi v6, v9
	v_sub_u32_e32 v6, v69, v30
	v_sub_u32_e32 v7, v1, v6
	v_add_u32_e32 v7, 16, v7
	v_cmp_eq_u32_e32 vcc, 1, v8
	v_and_b32_e32 v8, 1, v32
	v_add_u32_e32 v53, v52, v53
	v_cndmask_b32_e32 v6, v7, v6, vcc
	v_lshlrev_b32_e32 v6, 1, v6
	ds_write_b16 v6, v2
	v_sub_u32_e32 v6, v51, v30
	v_sub_u32_e32 v7, v1, v6
	v_add_u32_e32 v7, 17, v7
	v_cmp_eq_u32_e32 vcc, 1, v8
	v_add_u32_e32 v70, v53, v41
	v_add_u32_e32 v48, v70, v48
	v_cndmask_b32_e32 v6, v7, v6, vcc
	v_lshlrev_b32_e32 v6, 1, v6
	ds_write_b16_d16_hi v6, v2
	v_sub_u32_e32 v2, v52, v30
	v_sub_u32_e32 v6, v1, v2
	v_and_b32_sdwa v7, v37, v24 dst_sel:DWORD dst_unused:UNUSED_PAD src0_sel:DWORD src1_sel:WORD_1
	v_add_u32_e32 v6, 18, v6
	v_cmp_eq_u32_e32 vcc, 1, v7
	v_and_b32_e32 v7, 1, v41
	v_lshrrev_b32_e32 v31, 8, v25
	v_cndmask_b32_e32 v2, v6, v2, vcc
	v_lshlrev_b32_e32 v2, 1, v2
	ds_write_b16 v2, v3
	v_sub_u32_e32 v2, v53, v30
	v_sub_u32_e32 v6, v1, v2
	v_add_u32_e32 v6, 19, v6
	v_cmp_eq_u32_e32 vcc, 1, v7
	v_add_u32_e32 v49, v48, v49
	v_add_u32_e32 v50, v49, v50
	v_cndmask_b32_e32 v2, v6, v2, vcc
	v_lshlrev_b32_e32 v2, 1, v2
	ds_write_b16_d16_hi v2, v3
	v_sub_u32_e32 v2, v70, v30
	v_sub_u32_e32 v3, v1, v2
	v_and_b32_e32 v6, 1, v25
	v_add_u32_e32 v3, 20, v3
	v_cmp_eq_u32_e32 vcc, 1, v6
	v_and_b32_e32 v6, 1, v31
	v_add_u32_e32 v71, v50, v40
	v_cndmask_b32_e32 v2, v3, v2, vcc
	v_lshlrev_b32_e32 v2, 1, v2
	ds_write_b16 v2, v4
	v_sub_u32_e32 v2, v48, v30
	v_sub_u32_e32 v3, v1, v2
	v_add_u32_e32 v3, 21, v3
	v_cmp_eq_u32_e32 vcc, 1, v6
	v_add_u32_e32 v46, v71, v46
	v_lshrrev_b32_e32 v23, 8, v38
	v_cndmask_b32_e32 v2, v3, v2, vcc
	v_lshlrev_b32_e32 v2, 1, v2
	ds_write_b16_d16_hi v2, v4
	v_sub_u32_e32 v2, v49, v30
	v_sub_u32_e32 v3, v1, v2
	v_and_b32_sdwa v4, v37, v25 dst_sel:DWORD dst_unused:UNUSED_PAD src0_sel:DWORD src1_sel:WORD_1
	v_add_u32_e32 v3, 22, v3
	v_cmp_eq_u32_e32 vcc, 1, v4
	v_and_b32_e32 v4, 1, v40
	v_add_u32_e32 v47, v46, v47
	v_cndmask_b32_e32 v2, v3, v2, vcc
	v_lshlrev_b32_e32 v2, 1, v2
	ds_write_b16 v2, v5
	v_sub_u32_e32 v2, v50, v30
	v_sub_u32_e32 v3, v1, v2
	v_add_u32_e32 v3, 23, v3
	v_cmp_eq_u32_e32 vcc, 1, v4
	v_and_b32_e32 v4, 1, v38
	v_mov_b32_e32 v31, 0
	v_cndmask_b32_e32 v2, v3, v2, vcc
	v_lshlrev_b32_e32 v2, 1, v2
	ds_write_b16_d16_hi v2, v5
	v_sub_u32_e32 v2, v71, v30
	v_sub_u32_e32 v3, v1, v2
	v_add_u32_e32 v3, 24, v3
	v_cmp_eq_u32_e32 vcc, 1, v4
	v_and_b32_e32 v4, 1, v23
	s_waitcnt vmcnt(0)
	v_lshl_add_u64 v[6:7], v[16:17], 0, v[30:31]
	v_cndmask_b32_e32 v2, v3, v2, vcc
	v_lshlrev_b32_e32 v2, 1, v2
	ds_write_b16 v2, v20
	v_sub_u32_e32 v2, v46, v30
	v_sub_u32_e32 v3, v1, v2
	v_add_u32_e32 v3, 25, v3
	v_cmp_eq_u32_e32 vcc, 1, v4
	v_and_b32_sdwa v4, v37, v38 dst_sel:DWORD dst_unused:UNUSED_PAD src0_sel:DWORD src1_sel:WORD_1
	v_mov_b32_e32 v23, v31
	v_cndmask_b32_e32 v2, v3, v2, vcc
	v_lshlrev_b32_e32 v2, 1, v2
	ds_write_b16_d16_hi v2, v20
	v_sub_u32_e32 v2, v47, v30
	v_sub_u32_e32 v3, v1, v2
	v_add_u32_e32 v3, 26, v3
	v_cmp_eq_u32_e32 vcc, 1, v4
	v_mov_b32_e32 v5, s31
	v_or_b32_e32 v69, 0x200, v0
	v_cndmask_b32_e32 v2, v3, v2, vcc
	v_lshlrev_b32_e32 v2, 1, v2
	ds_write_b16 v2, v21
	v_sub_u32_e32 v2, v39, v30
	v_add_u32_e32 v2, v47, v2
	v_sub_u32_e32 v1, v1, v2
	v_and_b32_e32 v3, 1, v15
	v_add_u32_e32 v1, 27, v1
	v_cmp_eq_u32_e32 vcc, 1, v3
	v_or_b32_e32 v67, 0x400, v0
	v_or_b32_e32 v65, 0x600, v0
	v_cndmask_b32_e32 v1, v1, v2, vcc
	v_lshlrev_b32_e32 v1, 1, v1
	ds_write_b16_d16_hi v1, v21
	s_waitcnt lgkmcnt(0)
	s_barrier
	ds_read_u16 v71, v14
	ds_read_u16 v70, v14 offset:1024
	ds_read_u16 v68, v14 offset:2048
	ds_read_u16 v66, v14 offset:3072
	ds_read_u16 v64, v14 offset:4096
	ds_read_u16 v62, v14 offset:5120
	ds_read_u16 v60, v14 offset:6144
	ds_read_u16 v58, v14 offset:7168
	ds_read_u16 v56, v14 offset:8192
	ds_read_u16 v54, v14 offset:9216
	ds_read_u16 v52, v14 offset:10240
	ds_read_u16 v50, v14 offset:11264
	ds_read_u16 v48, v14 offset:12288
	ds_read_u16 v46, v14 offset:13312
	ds_read_u16 v44, v14 offset:14336
	ds_read_u16 v42, v14 offset:15360
	ds_read_u16 v40, v14 offset:16384
	ds_read_u16 v38, v14 offset:17408
	ds_read_u16 v36, v14 offset:18432
	ds_read_u16 v34, v14 offset:19456
	ds_read_u16 v32, v14 offset:20480
	ds_read_u16 v28, v14 offset:21504
	ds_read_u16 v26, v14 offset:22528
	ds_read_u16 v24, v14 offset:23552
	ds_read_u16 v20, v14 offset:24576
	ds_read_u16 v12, v14 offset:25600
	ds_read_u16 v9, v14 offset:26624
	ds_read_u16 v1, v14 offset:27648
	v_lshl_add_u64 v[2:3], v[6:7], 0, v[22:23]
	v_sub_co_u32_e32 v4, vcc, s30, v2
	v_lshlrev_b64 v[6:7], 1, v[6:7]
	s_nop 0
	v_subb_co_u32_e32 v5, vcc, v5, v3, vcc
	v_lshlrev_b64 v[4:5], 1, v[4:5]
	v_lshl_add_u64 v[4:5], s[26:27], 0, v[4:5]
	v_or_b32_e32 v63, 0x800, v0
	v_or_b32_e32 v61, 0xa00, v0
	;; [unrolled: 1-line block ×24, first 2 shown]
	v_lshl_add_u64 v[4:5], v[4:5], 0, v[18:19]
	s_andn2_b64 vcc, exec, s[28:29]
	v_lshl_add_u64 v[6:7], s[24:25], 0, v[6:7]
	s_cbranch_vccnz .LBB474_163
; %bb.162:
	v_cmp_lt_u32_e32 vcc, v0, v22
	v_mov_b32_e32 v15, v31
	v_lshlrev_b32_e32 v30, 1, v63
	v_cndmask_b32_e32 v17, v5, v7, vcc
	v_cndmask_b32_e32 v16, v4, v6, vcc
	v_lshl_add_u64 v[16:17], v[16:17], 0, v[14:15]
	v_cmp_lt_u32_e32 vcc, v69, v22
	s_waitcnt lgkmcnt(14)
	global_store_short v[16:17], v71, off
	v_cndmask_b32_e32 v17, v5, v7, vcc
	v_cndmask_b32_e32 v16, v4, v6, vcc
	v_lshl_add_u64 v[16:17], v[16:17], 0, v[14:15]
	v_cmp_lt_u32_e32 vcc, v67, v22
	global_store_short v[16:17], v70, off offset:1024
	s_mov_b64 s[0:1], -1
	v_cndmask_b32_e32 v17, v5, v7, vcc
	v_cndmask_b32_e32 v16, v4, v6, vcc
	v_lshl_add_u64 v[16:17], v[16:17], 0, v[14:15]
	v_cmp_lt_u32_e32 vcc, v65, v22
	global_store_short v[16:17], v68, off offset:2048
	s_nop 0
	v_cndmask_b32_e32 v17, v5, v7, vcc
	v_cndmask_b32_e32 v16, v4, v6, vcc
	v_lshl_add_u64 v[16:17], v[16:17], 0, v[14:15]
	v_cmp_lt_u32_e32 vcc, v63, v22
	global_store_short v[16:17], v66, off offset:3072
	s_nop 0
	v_cndmask_b32_e32 v17, v5, v7, vcc
	v_cndmask_b32_e32 v16, v4, v6, vcc
	v_lshl_add_u64 v[16:17], v[16:17], 0, v[30:31]
	v_cmp_lt_u32_e32 vcc, v61, v22
	global_store_short v[16:17], v64, off
	v_lshlrev_b32_e32 v30, 1, v61
	v_cndmask_b32_e32 v17, v5, v7, vcc
	v_cndmask_b32_e32 v16, v4, v6, vcc
	v_lshl_add_u64 v[16:17], v[16:17], 0, v[30:31]
	v_cmp_lt_u32_e32 vcc, v59, v22
	global_store_short v[16:17], v62, off
	v_lshlrev_b32_e32 v30, 1, v59
	;; [unrolled: 6-line block ×10, first 2 shown]
	v_cndmask_b32_e32 v17, v5, v7, vcc
	v_cndmask_b32_e32 v16, v4, v6, vcc
	v_lshl_add_u64 v[16:17], v[16:17], 0, v[30:31]
	v_cmp_lt_u32_e32 vcc, v41, v22
	s_waitcnt lgkmcnt(13)
	global_store_short v[16:17], v44, off
	v_lshlrev_b32_e32 v30, 1, v41
	v_cndmask_b32_e32 v17, v5, v7, vcc
	v_cndmask_b32_e32 v16, v4, v6, vcc
	v_lshl_add_u64 v[16:17], v[16:17], 0, v[30:31]
	v_cmp_lt_u32_e32 vcc, v39, v22
	s_waitcnt lgkmcnt(12)
	global_store_short v[16:17], v42, off
	v_lshlrev_b32_e32 v30, 1, v39
	;; [unrolled: 7-line block ×12, first 2 shown]
	v_cndmask_b32_e32 v17, v5, v7, vcc
	v_cndmask_b32_e32 v16, v4, v6, vcc
	v_lshl_add_u64 v[16:17], v[16:17], 0, v[30:31]
	s_waitcnt lgkmcnt(1)
	global_store_short v[16:17], v9, off
	s_cbranch_execz .LBB474_164
	s_branch .LBB474_193
.LBB474_163:
	s_mov_b64 s[0:1], 0
.LBB474_164:
	v_cmp_gt_u32_e32 vcc, s33, v0
	s_and_saveexec_b64 s[0:1], vcc
	s_cbranch_execnz .LBB474_198
; %bb.165:
	s_or_b64 exec, exec, s[0:1]
	v_cmp_gt_u32_e32 vcc, s33, v69
	s_and_saveexec_b64 s[0:1], vcc
	s_cbranch_execnz .LBB474_199
.LBB474_166:
	s_or_b64 exec, exec, s[0:1]
	v_cmp_gt_u32_e32 vcc, s33, v67
	s_and_saveexec_b64 s[0:1], vcc
	s_cbranch_execnz .LBB474_200
.LBB474_167:
	s_or_b64 exec, exec, s[0:1]
	v_cmp_gt_u32_e32 vcc, s33, v65
	s_and_saveexec_b64 s[0:1], vcc
	s_cbranch_execnz .LBB474_201
.LBB474_168:
	s_or_b64 exec, exec, s[0:1]
	v_cmp_gt_u32_e32 vcc, s33, v63
	s_and_saveexec_b64 s[0:1], vcc
	s_cbranch_execnz .LBB474_202
.LBB474_169:
	s_or_b64 exec, exec, s[0:1]
	v_cmp_gt_u32_e32 vcc, s33, v61
	s_and_saveexec_b64 s[0:1], vcc
	s_cbranch_execnz .LBB474_203
.LBB474_170:
	s_or_b64 exec, exec, s[0:1]
	v_cmp_gt_u32_e32 vcc, s33, v59
	s_and_saveexec_b64 s[0:1], vcc
	s_cbranch_execnz .LBB474_204
.LBB474_171:
	s_or_b64 exec, exec, s[0:1]
	v_cmp_gt_u32_e32 vcc, s33, v57
	s_and_saveexec_b64 s[0:1], vcc
	s_cbranch_execnz .LBB474_205
.LBB474_172:
	s_or_b64 exec, exec, s[0:1]
	v_cmp_gt_u32_e32 vcc, s33, v55
	s_and_saveexec_b64 s[0:1], vcc
	s_cbranch_execnz .LBB474_206
.LBB474_173:
	s_or_b64 exec, exec, s[0:1]
	v_cmp_gt_u32_e32 vcc, s33, v53
	s_and_saveexec_b64 s[0:1], vcc
	s_cbranch_execnz .LBB474_207
.LBB474_174:
	s_or_b64 exec, exec, s[0:1]
	v_cmp_gt_u32_e32 vcc, s33, v51
	s_and_saveexec_b64 s[0:1], vcc
	s_cbranch_execnz .LBB474_208
.LBB474_175:
	s_or_b64 exec, exec, s[0:1]
	v_cmp_gt_u32_e32 vcc, s33, v49
	s_and_saveexec_b64 s[0:1], vcc
	s_cbranch_execnz .LBB474_209
.LBB474_176:
	s_or_b64 exec, exec, s[0:1]
	v_cmp_gt_u32_e32 vcc, s33, v47
	s_and_saveexec_b64 s[0:1], vcc
	s_cbranch_execnz .LBB474_210
.LBB474_177:
	s_or_b64 exec, exec, s[0:1]
	v_cmp_gt_u32_e32 vcc, s33, v45
	s_and_saveexec_b64 s[0:1], vcc
	s_cbranch_execnz .LBB474_211
.LBB474_178:
	s_or_b64 exec, exec, s[0:1]
	v_cmp_gt_u32_e32 vcc, s33, v43
	s_and_saveexec_b64 s[0:1], vcc
	s_cbranch_execnz .LBB474_212
.LBB474_179:
	s_or_b64 exec, exec, s[0:1]
	v_cmp_gt_u32_e32 vcc, s33, v41
	s_and_saveexec_b64 s[0:1], vcc
	s_cbranch_execnz .LBB474_213
.LBB474_180:
	s_or_b64 exec, exec, s[0:1]
	v_cmp_gt_u32_e32 vcc, s33, v39
	s_and_saveexec_b64 s[0:1], vcc
	s_cbranch_execnz .LBB474_214
.LBB474_181:
	s_or_b64 exec, exec, s[0:1]
	v_cmp_gt_u32_e32 vcc, s33, v37
	s_and_saveexec_b64 s[0:1], vcc
	s_cbranch_execnz .LBB474_215
.LBB474_182:
	s_or_b64 exec, exec, s[0:1]
	v_cmp_gt_u32_e32 vcc, s33, v35
	s_and_saveexec_b64 s[0:1], vcc
	s_cbranch_execnz .LBB474_216
.LBB474_183:
	s_or_b64 exec, exec, s[0:1]
	v_cmp_gt_u32_e32 vcc, s33, v33
	s_and_saveexec_b64 s[0:1], vcc
	s_cbranch_execnz .LBB474_217
.LBB474_184:
	s_or_b64 exec, exec, s[0:1]
	v_cmp_gt_u32_e32 vcc, s33, v29
	s_and_saveexec_b64 s[0:1], vcc
	s_cbranch_execnz .LBB474_218
.LBB474_185:
	s_or_b64 exec, exec, s[0:1]
	v_cmp_gt_u32_e32 vcc, s33, v27
	s_and_saveexec_b64 s[0:1], vcc
	s_cbranch_execnz .LBB474_219
.LBB474_186:
	s_or_b64 exec, exec, s[0:1]
	v_cmp_gt_u32_e32 vcc, s33, v25
	s_and_saveexec_b64 s[0:1], vcc
	s_cbranch_execnz .LBB474_220
.LBB474_187:
	s_or_b64 exec, exec, s[0:1]
	v_cmp_gt_u32_e32 vcc, s33, v21
	s_and_saveexec_b64 s[0:1], vcc
	s_cbranch_execnz .LBB474_221
.LBB474_188:
	s_or_b64 exec, exec, s[0:1]
	v_cmp_gt_u32_e32 vcc, s33, v13
	s_and_saveexec_b64 s[0:1], vcc
	s_cbranch_execnz .LBB474_222
.LBB474_189:
	s_or_b64 exec, exec, s[0:1]
	v_cmp_gt_u32_e32 vcc, s33, v11
	s_and_saveexec_b64 s[0:1], vcc
	s_cbranch_execnz .LBB474_223
.LBB474_190:
	s_or_b64 exec, exec, s[0:1]
	v_cmp_gt_u32_e32 vcc, s33, v10
	s_and_saveexec_b64 s[0:1], vcc
	s_cbranch_execz .LBB474_192
.LBB474_191:
	v_cmp_lt_u32_e32 vcc, v10, v22
	v_lshlrev_b32_e32 v10, 1, v10
	v_mov_b32_e32 v11, 0
	v_cndmask_b32_e32 v13, v5, v7, vcc
	s_waitcnt lgkmcnt(2)
	v_cndmask_b32_e32 v12, v4, v6, vcc
	v_lshl_add_u64 v[10:11], v[12:13], 0, v[10:11]
	s_waitcnt lgkmcnt(1)
	global_store_short v[10:11], v9, off
.LBB474_192:
	s_or_b64 exec, exec, s[0:1]
	v_cmp_gt_u32_e64 s[0:1], s33, v8
.LBB474_193:
	s_and_saveexec_b64 s[2:3], s[0:1]
	s_cbranch_execnz .LBB474_196
; %bb.194:
	s_or_b64 exec, exec, s[2:3]
	s_and_b64 s[0:1], s[18:19], s[22:23]
	s_and_saveexec_b64 s[2:3], s[0:1]
	s_cbranch_execnz .LBB474_197
.LBB474_195:
	s_endpgm
.LBB474_196:
	v_cmp_lt_u32_e32 vcc, v8, v22
	s_nop 1
	v_cndmask_b32_e32 v5, v5, v7, vcc
	v_cndmask_b32_e32 v4, v4, v6, vcc
	v_lshlrev_b32_e32 v6, 1, v8
	v_mov_b32_e32 v7, 0
	v_lshl_add_u64 v[4:5], v[4:5], 0, v[6:7]
	s_waitcnt lgkmcnt(0)
	global_store_short v[4:5], v1, off
	s_or_b64 exec, exec, s[2:3]
	s_and_b64 s[0:1], s[18:19], s[22:23]
	s_and_saveexec_b64 s[2:3], s[0:1]
	s_cbranch_execz .LBB474_195
.LBB474_197:
	v_mov_b32_e32 v0, 0
	global_store_dwordx2 v0, v[2:3], s[20:21]
	s_endpgm
.LBB474_198:
	v_cmp_lt_u32_e32 vcc, v0, v22
	v_mov_b32_e32 v15, 0
	s_nop 0
	v_cndmask_b32_e32 v17, v5, v7, vcc
	v_cndmask_b32_e32 v16, v4, v6, vcc
	v_lshl_add_u64 v[16:17], v[16:17], 0, v[14:15]
	s_waitcnt lgkmcnt(14)
	global_store_short v[16:17], v71, off
	s_or_b64 exec, exec, s[0:1]
	v_cmp_gt_u32_e32 vcc, s33, v69
	s_and_saveexec_b64 s[0:1], vcc
	s_cbranch_execz .LBB474_166
.LBB474_199:
	v_cmp_lt_u32_e32 vcc, v69, v22
	v_mov_b32_e32 v15, 0
	s_nop 0
	v_cndmask_b32_e32 v17, v5, v7, vcc
	v_cndmask_b32_e32 v16, v4, v6, vcc
	v_lshl_add_u64 v[16:17], v[16:17], 0, v[14:15]
	s_waitcnt lgkmcnt(14)
	global_store_short v[16:17], v70, off offset:1024
	s_or_b64 exec, exec, s[0:1]
	v_cmp_gt_u32_e32 vcc, s33, v67
	s_and_saveexec_b64 s[0:1], vcc
	s_cbranch_execz .LBB474_167
.LBB474_200:
	v_cmp_lt_u32_e32 vcc, v67, v22
	v_mov_b32_e32 v15, 0
	s_nop 0
	v_cndmask_b32_e32 v17, v5, v7, vcc
	v_cndmask_b32_e32 v16, v4, v6, vcc
	v_lshl_add_u64 v[16:17], v[16:17], 0, v[14:15]
	s_waitcnt lgkmcnt(14)
	global_store_short v[16:17], v68, off offset:2048
	s_or_b64 exec, exec, s[0:1]
	v_cmp_gt_u32_e32 vcc, s33, v65
	s_and_saveexec_b64 s[0:1], vcc
	s_cbranch_execz .LBB474_168
.LBB474_201:
	v_cmp_lt_u32_e32 vcc, v65, v22
	v_mov_b32_e32 v15, 0
	s_nop 0
	v_cndmask_b32_e32 v17, v5, v7, vcc
	v_cndmask_b32_e32 v16, v4, v6, vcc
	v_lshl_add_u64 v[14:15], v[16:17], 0, v[14:15]
	s_waitcnt lgkmcnt(14)
	global_store_short v[14:15], v66, off offset:3072
	s_or_b64 exec, exec, s[0:1]
	v_cmp_gt_u32_e32 vcc, s33, v63
	s_and_saveexec_b64 s[0:1], vcc
	s_cbranch_execz .LBB474_169
.LBB474_202:
	v_cmp_lt_u32_e32 vcc, v63, v22
	v_lshlrev_b32_e32 v16, 1, v63
	v_mov_b32_e32 v17, 0
	v_cndmask_b32_e32 v15, v5, v7, vcc
	v_cndmask_b32_e32 v14, v4, v6, vcc
	v_lshl_add_u64 v[14:15], v[14:15], 0, v[16:17]
	s_waitcnt lgkmcnt(14)
	global_store_short v[14:15], v64, off
	s_or_b64 exec, exec, s[0:1]
	v_cmp_gt_u32_e32 vcc, s33, v61
	s_and_saveexec_b64 s[0:1], vcc
	s_cbranch_execz .LBB474_170
.LBB474_203:
	v_cmp_lt_u32_e32 vcc, v61, v22
	v_lshlrev_b32_e32 v16, 1, v61
	v_mov_b32_e32 v17, 0
	v_cndmask_b32_e32 v15, v5, v7, vcc
	v_cndmask_b32_e32 v14, v4, v6, vcc
	v_lshl_add_u64 v[14:15], v[14:15], 0, v[16:17]
	s_waitcnt lgkmcnt(14)
	global_store_short v[14:15], v62, off
	s_or_b64 exec, exec, s[0:1]
	v_cmp_gt_u32_e32 vcc, s33, v59
	s_and_saveexec_b64 s[0:1], vcc
	s_cbranch_execz .LBB474_171
.LBB474_204:
	v_cmp_lt_u32_e32 vcc, v59, v22
	v_lshlrev_b32_e32 v16, 1, v59
	v_mov_b32_e32 v17, 0
	v_cndmask_b32_e32 v15, v5, v7, vcc
	v_cndmask_b32_e32 v14, v4, v6, vcc
	v_lshl_add_u64 v[14:15], v[14:15], 0, v[16:17]
	s_waitcnt lgkmcnt(14)
	global_store_short v[14:15], v60, off
	s_or_b64 exec, exec, s[0:1]
	v_cmp_gt_u32_e32 vcc, s33, v57
	s_and_saveexec_b64 s[0:1], vcc
	s_cbranch_execz .LBB474_172
.LBB474_205:
	v_cmp_lt_u32_e32 vcc, v57, v22
	v_lshlrev_b32_e32 v16, 1, v57
	v_mov_b32_e32 v17, 0
	v_cndmask_b32_e32 v15, v5, v7, vcc
	v_cndmask_b32_e32 v14, v4, v6, vcc
	v_lshl_add_u64 v[14:15], v[14:15], 0, v[16:17]
	s_waitcnt lgkmcnt(14)
	global_store_short v[14:15], v58, off
	s_or_b64 exec, exec, s[0:1]
	v_cmp_gt_u32_e32 vcc, s33, v55
	s_and_saveexec_b64 s[0:1], vcc
	s_cbranch_execz .LBB474_173
.LBB474_206:
	v_cmp_lt_u32_e32 vcc, v55, v22
	v_lshlrev_b32_e32 v16, 1, v55
	v_mov_b32_e32 v17, 0
	v_cndmask_b32_e32 v15, v5, v7, vcc
	v_cndmask_b32_e32 v14, v4, v6, vcc
	v_lshl_add_u64 v[14:15], v[14:15], 0, v[16:17]
	s_waitcnt lgkmcnt(14)
	global_store_short v[14:15], v56, off
	s_or_b64 exec, exec, s[0:1]
	v_cmp_gt_u32_e32 vcc, s33, v53
	s_and_saveexec_b64 s[0:1], vcc
	s_cbranch_execz .LBB474_174
.LBB474_207:
	v_cmp_lt_u32_e32 vcc, v53, v22
	v_lshlrev_b32_e32 v16, 1, v53
	v_mov_b32_e32 v17, 0
	v_cndmask_b32_e32 v15, v5, v7, vcc
	v_cndmask_b32_e32 v14, v4, v6, vcc
	v_lshl_add_u64 v[14:15], v[14:15], 0, v[16:17]
	s_waitcnt lgkmcnt(14)
	global_store_short v[14:15], v54, off
	s_or_b64 exec, exec, s[0:1]
	v_cmp_gt_u32_e32 vcc, s33, v51
	s_and_saveexec_b64 s[0:1], vcc
	s_cbranch_execz .LBB474_175
.LBB474_208:
	v_cmp_lt_u32_e32 vcc, v51, v22
	v_lshlrev_b32_e32 v16, 1, v51
	v_mov_b32_e32 v17, 0
	v_cndmask_b32_e32 v15, v5, v7, vcc
	v_cndmask_b32_e32 v14, v4, v6, vcc
	v_lshl_add_u64 v[14:15], v[14:15], 0, v[16:17]
	s_waitcnt lgkmcnt(14)
	global_store_short v[14:15], v52, off
	s_or_b64 exec, exec, s[0:1]
	v_cmp_gt_u32_e32 vcc, s33, v49
	s_and_saveexec_b64 s[0:1], vcc
	s_cbranch_execz .LBB474_176
.LBB474_209:
	v_cmp_lt_u32_e32 vcc, v49, v22
	v_lshlrev_b32_e32 v16, 1, v49
	v_mov_b32_e32 v17, 0
	v_cndmask_b32_e32 v15, v5, v7, vcc
	v_cndmask_b32_e32 v14, v4, v6, vcc
	v_lshl_add_u64 v[14:15], v[14:15], 0, v[16:17]
	s_waitcnt lgkmcnt(14)
	global_store_short v[14:15], v50, off
	s_or_b64 exec, exec, s[0:1]
	v_cmp_gt_u32_e32 vcc, s33, v47
	s_and_saveexec_b64 s[0:1], vcc
	s_cbranch_execz .LBB474_177
.LBB474_210:
	v_cmp_lt_u32_e32 vcc, v47, v22
	v_lshlrev_b32_e32 v16, 1, v47
	v_mov_b32_e32 v17, 0
	v_cndmask_b32_e32 v15, v5, v7, vcc
	v_cndmask_b32_e32 v14, v4, v6, vcc
	v_lshl_add_u64 v[14:15], v[14:15], 0, v[16:17]
	s_waitcnt lgkmcnt(14)
	global_store_short v[14:15], v48, off
	s_or_b64 exec, exec, s[0:1]
	v_cmp_gt_u32_e32 vcc, s33, v45
	s_and_saveexec_b64 s[0:1], vcc
	s_cbranch_execz .LBB474_178
.LBB474_211:
	v_cmp_lt_u32_e32 vcc, v45, v22
	v_lshlrev_b32_e32 v16, 1, v45
	v_mov_b32_e32 v17, 0
	v_cndmask_b32_e32 v15, v5, v7, vcc
	v_cndmask_b32_e32 v14, v4, v6, vcc
	v_lshl_add_u64 v[14:15], v[14:15], 0, v[16:17]
	s_waitcnt lgkmcnt(14)
	global_store_short v[14:15], v46, off
	s_or_b64 exec, exec, s[0:1]
	v_cmp_gt_u32_e32 vcc, s33, v43
	s_and_saveexec_b64 s[0:1], vcc
	s_cbranch_execz .LBB474_179
.LBB474_212:
	v_cmp_lt_u32_e32 vcc, v43, v22
	v_lshlrev_b32_e32 v16, 1, v43
	v_mov_b32_e32 v17, 0
	v_cndmask_b32_e32 v15, v5, v7, vcc
	v_cndmask_b32_e32 v14, v4, v6, vcc
	v_lshl_add_u64 v[14:15], v[14:15], 0, v[16:17]
	s_waitcnt lgkmcnt(13)
	global_store_short v[14:15], v44, off
	s_or_b64 exec, exec, s[0:1]
	v_cmp_gt_u32_e32 vcc, s33, v41
	s_and_saveexec_b64 s[0:1], vcc
	s_cbranch_execz .LBB474_180
.LBB474_213:
	v_cmp_lt_u32_e32 vcc, v41, v22
	v_lshlrev_b32_e32 v16, 1, v41
	v_mov_b32_e32 v17, 0
	v_cndmask_b32_e32 v15, v5, v7, vcc
	v_cndmask_b32_e32 v14, v4, v6, vcc
	v_lshl_add_u64 v[14:15], v[14:15], 0, v[16:17]
	s_waitcnt lgkmcnt(12)
	global_store_short v[14:15], v42, off
	s_or_b64 exec, exec, s[0:1]
	v_cmp_gt_u32_e32 vcc, s33, v39
	s_and_saveexec_b64 s[0:1], vcc
	s_cbranch_execz .LBB474_181
.LBB474_214:
	v_cmp_lt_u32_e32 vcc, v39, v22
	v_lshlrev_b32_e32 v16, 1, v39
	v_mov_b32_e32 v17, 0
	v_cndmask_b32_e32 v15, v5, v7, vcc
	v_cndmask_b32_e32 v14, v4, v6, vcc
	v_lshl_add_u64 v[14:15], v[14:15], 0, v[16:17]
	s_waitcnt lgkmcnt(11)
	global_store_short v[14:15], v40, off
	s_or_b64 exec, exec, s[0:1]
	v_cmp_gt_u32_e32 vcc, s33, v37
	s_and_saveexec_b64 s[0:1], vcc
	s_cbranch_execz .LBB474_182
.LBB474_215:
	v_cmp_lt_u32_e32 vcc, v37, v22
	v_lshlrev_b32_e32 v16, 1, v37
	v_mov_b32_e32 v17, 0
	v_cndmask_b32_e32 v15, v5, v7, vcc
	v_cndmask_b32_e32 v14, v4, v6, vcc
	v_lshl_add_u64 v[14:15], v[14:15], 0, v[16:17]
	s_waitcnt lgkmcnt(10)
	global_store_short v[14:15], v38, off
	s_or_b64 exec, exec, s[0:1]
	v_cmp_gt_u32_e32 vcc, s33, v35
	s_and_saveexec_b64 s[0:1], vcc
	s_cbranch_execz .LBB474_183
.LBB474_216:
	v_cmp_lt_u32_e32 vcc, v35, v22
	v_lshlrev_b32_e32 v16, 1, v35
	v_mov_b32_e32 v17, 0
	v_cndmask_b32_e32 v15, v5, v7, vcc
	v_cndmask_b32_e32 v14, v4, v6, vcc
	v_lshl_add_u64 v[14:15], v[14:15], 0, v[16:17]
	s_waitcnt lgkmcnt(9)
	global_store_short v[14:15], v36, off
	s_or_b64 exec, exec, s[0:1]
	v_cmp_gt_u32_e32 vcc, s33, v33
	s_and_saveexec_b64 s[0:1], vcc
	s_cbranch_execz .LBB474_184
.LBB474_217:
	v_cmp_lt_u32_e32 vcc, v33, v22
	v_lshlrev_b32_e32 v16, 1, v33
	v_mov_b32_e32 v17, 0
	v_cndmask_b32_e32 v15, v5, v7, vcc
	v_cndmask_b32_e32 v14, v4, v6, vcc
	v_lshl_add_u64 v[14:15], v[14:15], 0, v[16:17]
	s_waitcnt lgkmcnt(8)
	global_store_short v[14:15], v34, off
	s_or_b64 exec, exec, s[0:1]
	v_cmp_gt_u32_e32 vcc, s33, v29
	s_and_saveexec_b64 s[0:1], vcc
	s_cbranch_execz .LBB474_185
.LBB474_218:
	v_cmp_lt_u32_e32 vcc, v29, v22
	v_lshlrev_b32_e32 v16, 1, v29
	v_mov_b32_e32 v17, 0
	v_cndmask_b32_e32 v15, v5, v7, vcc
	v_cndmask_b32_e32 v14, v4, v6, vcc
	v_lshl_add_u64 v[14:15], v[14:15], 0, v[16:17]
	s_waitcnt lgkmcnt(7)
	global_store_short v[14:15], v32, off
	s_or_b64 exec, exec, s[0:1]
	v_cmp_gt_u32_e32 vcc, s33, v27
	s_and_saveexec_b64 s[0:1], vcc
	s_cbranch_execz .LBB474_186
.LBB474_219:
	v_cmp_lt_u32_e32 vcc, v27, v22
	v_lshlrev_b32_e32 v16, 1, v27
	v_mov_b32_e32 v17, 0
	v_cndmask_b32_e32 v15, v5, v7, vcc
	v_cndmask_b32_e32 v14, v4, v6, vcc
	v_lshl_add_u64 v[14:15], v[14:15], 0, v[16:17]
	s_waitcnt lgkmcnt(6)
	global_store_short v[14:15], v28, off
	s_or_b64 exec, exec, s[0:1]
	v_cmp_gt_u32_e32 vcc, s33, v25
	s_and_saveexec_b64 s[0:1], vcc
	s_cbranch_execz .LBB474_187
.LBB474_220:
	v_cmp_lt_u32_e32 vcc, v25, v22
	v_lshlrev_b32_e32 v16, 1, v25
	v_mov_b32_e32 v17, 0
	v_cndmask_b32_e32 v15, v5, v7, vcc
	v_cndmask_b32_e32 v14, v4, v6, vcc
	v_lshl_add_u64 v[14:15], v[14:15], 0, v[16:17]
	s_waitcnt lgkmcnt(5)
	global_store_short v[14:15], v26, off
	s_or_b64 exec, exec, s[0:1]
	v_cmp_gt_u32_e32 vcc, s33, v21
	s_and_saveexec_b64 s[0:1], vcc
	s_cbranch_execz .LBB474_188
.LBB474_221:
	v_cmp_lt_u32_e32 vcc, v21, v22
	v_lshlrev_b32_e32 v16, 1, v21
	v_mov_b32_e32 v17, 0
	v_cndmask_b32_e32 v15, v5, v7, vcc
	v_cndmask_b32_e32 v14, v4, v6, vcc
	v_lshl_add_u64 v[14:15], v[14:15], 0, v[16:17]
	s_waitcnt lgkmcnt(4)
	global_store_short v[14:15], v24, off
	s_or_b64 exec, exec, s[0:1]
	v_cmp_gt_u32_e32 vcc, s33, v13
	s_and_saveexec_b64 s[0:1], vcc
	s_cbranch_execz .LBB474_189
.LBB474_222:
	v_cmp_lt_u32_e32 vcc, v13, v22
	v_lshlrev_b32_e32 v16, 1, v13
	v_mov_b32_e32 v17, 0
	v_cndmask_b32_e32 v15, v5, v7, vcc
	v_cndmask_b32_e32 v14, v4, v6, vcc
	v_lshl_add_u64 v[14:15], v[14:15], 0, v[16:17]
	s_waitcnt lgkmcnt(3)
	global_store_short v[14:15], v20, off
	s_or_b64 exec, exec, s[0:1]
	v_cmp_gt_u32_e32 vcc, s33, v11
	s_and_saveexec_b64 s[0:1], vcc
	s_cbranch_execz .LBB474_190
.LBB474_223:
	v_cmp_lt_u32_e32 vcc, v11, v22
	v_lshlrev_b32_e32 v16, 1, v11
	v_mov_b32_e32 v17, 0
	v_cndmask_b32_e32 v15, v5, v7, vcc
	v_cndmask_b32_e32 v14, v4, v6, vcc
	v_lshl_add_u64 v[14:15], v[14:15], 0, v[16:17]
	s_waitcnt lgkmcnt(2)
	global_store_short v[14:15], v12, off
	s_or_b64 exec, exec, s[0:1]
	v_cmp_gt_u32_e32 vcc, s33, v10
	s_and_saveexec_b64 s[0:1], vcc
	s_cbranch_execnz .LBB474_191
	s_branch .LBB474_192
	.section	.rodata,"a",@progbits
	.p2align	6, 0x0
	.amdhsa_kernel _ZN7rocprim17ROCPRIM_400000_NS6detail17trampoline_kernelINS0_14default_configENS1_25partition_config_selectorILNS1_17partition_subalgoE1EsNS0_10empty_typeEbEEZZNS1_14partition_implILS5_1ELb0ES3_jN6thrust23THRUST_200600_302600_NS6detail15normal_iteratorINSA_10device_ptrIsEEEEPS6_NSA_18transform_iteratorI7is_evenIsESF_NSA_11use_defaultESK_EENS0_5tupleIJSF_SF_EEENSM_IJSG_SG_EEES6_PlJS6_EEE10hipError_tPvRmT3_T4_T5_T6_T7_T9_mT8_P12ihipStream_tbDpT10_ENKUlT_T0_E_clISt17integral_constantIbLb0EES18_IbLb1EEEEDaS14_S15_EUlS14_E_NS1_11comp_targetILNS1_3genE5ELNS1_11target_archE942ELNS1_3gpuE9ELNS1_3repE0EEENS1_30default_config_static_selectorELNS0_4arch9wavefront6targetE1EEEvT1_
		.amdhsa_group_segment_fixed_size 28680
		.amdhsa_private_segment_fixed_size 0
		.amdhsa_kernarg_size 144
		.amdhsa_user_sgpr_count 2
		.amdhsa_user_sgpr_dispatch_ptr 0
		.amdhsa_user_sgpr_queue_ptr 0
		.amdhsa_user_sgpr_kernarg_segment_ptr 1
		.amdhsa_user_sgpr_dispatch_id 0
		.amdhsa_user_sgpr_kernarg_preload_length 0
		.amdhsa_user_sgpr_kernarg_preload_offset 0
		.amdhsa_user_sgpr_private_segment_size 0
		.amdhsa_uses_dynamic_stack 0
		.amdhsa_enable_private_segment 0
		.amdhsa_system_sgpr_workgroup_id_x 1
		.amdhsa_system_sgpr_workgroup_id_y 0
		.amdhsa_system_sgpr_workgroup_id_z 0
		.amdhsa_system_sgpr_workgroup_info 0
		.amdhsa_system_vgpr_workitem_id 0
		.amdhsa_next_free_vgpr 83
		.amdhsa_next_free_sgpr 44
		.amdhsa_accum_offset 84
		.amdhsa_reserve_vcc 1
		.amdhsa_float_round_mode_32 0
		.amdhsa_float_round_mode_16_64 0
		.amdhsa_float_denorm_mode_32 3
		.amdhsa_float_denorm_mode_16_64 3
		.amdhsa_dx10_clamp 1
		.amdhsa_ieee_mode 1
		.amdhsa_fp16_overflow 0
		.amdhsa_tg_split 0
		.amdhsa_exception_fp_ieee_invalid_op 0
		.amdhsa_exception_fp_denorm_src 0
		.amdhsa_exception_fp_ieee_div_zero 0
		.amdhsa_exception_fp_ieee_overflow 0
		.amdhsa_exception_fp_ieee_underflow 0
		.amdhsa_exception_fp_ieee_inexact 0
		.amdhsa_exception_int_div_zero 0
	.end_amdhsa_kernel
	.section	.text._ZN7rocprim17ROCPRIM_400000_NS6detail17trampoline_kernelINS0_14default_configENS1_25partition_config_selectorILNS1_17partition_subalgoE1EsNS0_10empty_typeEbEEZZNS1_14partition_implILS5_1ELb0ES3_jN6thrust23THRUST_200600_302600_NS6detail15normal_iteratorINSA_10device_ptrIsEEEEPS6_NSA_18transform_iteratorI7is_evenIsESF_NSA_11use_defaultESK_EENS0_5tupleIJSF_SF_EEENSM_IJSG_SG_EEES6_PlJS6_EEE10hipError_tPvRmT3_T4_T5_T6_T7_T9_mT8_P12ihipStream_tbDpT10_ENKUlT_T0_E_clISt17integral_constantIbLb0EES18_IbLb1EEEEDaS14_S15_EUlS14_E_NS1_11comp_targetILNS1_3genE5ELNS1_11target_archE942ELNS1_3gpuE9ELNS1_3repE0EEENS1_30default_config_static_selectorELNS0_4arch9wavefront6targetE1EEEvT1_,"axG",@progbits,_ZN7rocprim17ROCPRIM_400000_NS6detail17trampoline_kernelINS0_14default_configENS1_25partition_config_selectorILNS1_17partition_subalgoE1EsNS0_10empty_typeEbEEZZNS1_14partition_implILS5_1ELb0ES3_jN6thrust23THRUST_200600_302600_NS6detail15normal_iteratorINSA_10device_ptrIsEEEEPS6_NSA_18transform_iteratorI7is_evenIsESF_NSA_11use_defaultESK_EENS0_5tupleIJSF_SF_EEENSM_IJSG_SG_EEES6_PlJS6_EEE10hipError_tPvRmT3_T4_T5_T6_T7_T9_mT8_P12ihipStream_tbDpT10_ENKUlT_T0_E_clISt17integral_constantIbLb0EES18_IbLb1EEEEDaS14_S15_EUlS14_E_NS1_11comp_targetILNS1_3genE5ELNS1_11target_archE942ELNS1_3gpuE9ELNS1_3repE0EEENS1_30default_config_static_selectorELNS0_4arch9wavefront6targetE1EEEvT1_,comdat
.Lfunc_end474:
	.size	_ZN7rocprim17ROCPRIM_400000_NS6detail17trampoline_kernelINS0_14default_configENS1_25partition_config_selectorILNS1_17partition_subalgoE1EsNS0_10empty_typeEbEEZZNS1_14partition_implILS5_1ELb0ES3_jN6thrust23THRUST_200600_302600_NS6detail15normal_iteratorINSA_10device_ptrIsEEEEPS6_NSA_18transform_iteratorI7is_evenIsESF_NSA_11use_defaultESK_EENS0_5tupleIJSF_SF_EEENSM_IJSG_SG_EEES6_PlJS6_EEE10hipError_tPvRmT3_T4_T5_T6_T7_T9_mT8_P12ihipStream_tbDpT10_ENKUlT_T0_E_clISt17integral_constantIbLb0EES18_IbLb1EEEEDaS14_S15_EUlS14_E_NS1_11comp_targetILNS1_3genE5ELNS1_11target_archE942ELNS1_3gpuE9ELNS1_3repE0EEENS1_30default_config_static_selectorELNS0_4arch9wavefront6targetE1EEEvT1_, .Lfunc_end474-_ZN7rocprim17ROCPRIM_400000_NS6detail17trampoline_kernelINS0_14default_configENS1_25partition_config_selectorILNS1_17partition_subalgoE1EsNS0_10empty_typeEbEEZZNS1_14partition_implILS5_1ELb0ES3_jN6thrust23THRUST_200600_302600_NS6detail15normal_iteratorINSA_10device_ptrIsEEEEPS6_NSA_18transform_iteratorI7is_evenIsESF_NSA_11use_defaultESK_EENS0_5tupleIJSF_SF_EEENSM_IJSG_SG_EEES6_PlJS6_EEE10hipError_tPvRmT3_T4_T5_T6_T7_T9_mT8_P12ihipStream_tbDpT10_ENKUlT_T0_E_clISt17integral_constantIbLb0EES18_IbLb1EEEEDaS14_S15_EUlS14_E_NS1_11comp_targetILNS1_3genE5ELNS1_11target_archE942ELNS1_3gpuE9ELNS1_3repE0EEENS1_30default_config_static_selectorELNS0_4arch9wavefront6targetE1EEEvT1_
                                        ; -- End function
	.section	.AMDGPU.csdata,"",@progbits
; Kernel info:
; codeLenInByte = 12488
; NumSgprs: 50
; NumVgprs: 83
; NumAgprs: 0
; TotalNumVgprs: 83
; ScratchSize: 0
; MemoryBound: 0
; FloatMode: 240
; IeeeMode: 1
; LDSByteSize: 28680 bytes/workgroup (compile time only)
; SGPRBlocks: 6
; VGPRBlocks: 10
; NumSGPRsForWavesPerEU: 50
; NumVGPRsForWavesPerEU: 83
; AccumOffset: 84
; Occupancy: 4
; WaveLimiterHint : 1
; COMPUTE_PGM_RSRC2:SCRATCH_EN: 0
; COMPUTE_PGM_RSRC2:USER_SGPR: 2
; COMPUTE_PGM_RSRC2:TRAP_HANDLER: 0
; COMPUTE_PGM_RSRC2:TGID_X_EN: 1
; COMPUTE_PGM_RSRC2:TGID_Y_EN: 0
; COMPUTE_PGM_RSRC2:TGID_Z_EN: 0
; COMPUTE_PGM_RSRC2:TIDIG_COMP_CNT: 0
; COMPUTE_PGM_RSRC3_GFX90A:ACCUM_OFFSET: 20
; COMPUTE_PGM_RSRC3_GFX90A:TG_SPLIT: 0
	.section	.text._ZN7rocprim17ROCPRIM_400000_NS6detail17trampoline_kernelINS0_14default_configENS1_25partition_config_selectorILNS1_17partition_subalgoE1EsNS0_10empty_typeEbEEZZNS1_14partition_implILS5_1ELb0ES3_jN6thrust23THRUST_200600_302600_NS6detail15normal_iteratorINSA_10device_ptrIsEEEEPS6_NSA_18transform_iteratorI7is_evenIsESF_NSA_11use_defaultESK_EENS0_5tupleIJSF_SF_EEENSM_IJSG_SG_EEES6_PlJS6_EEE10hipError_tPvRmT3_T4_T5_T6_T7_T9_mT8_P12ihipStream_tbDpT10_ENKUlT_T0_E_clISt17integral_constantIbLb0EES18_IbLb1EEEEDaS14_S15_EUlS14_E_NS1_11comp_targetILNS1_3genE4ELNS1_11target_archE910ELNS1_3gpuE8ELNS1_3repE0EEENS1_30default_config_static_selectorELNS0_4arch9wavefront6targetE1EEEvT1_,"axG",@progbits,_ZN7rocprim17ROCPRIM_400000_NS6detail17trampoline_kernelINS0_14default_configENS1_25partition_config_selectorILNS1_17partition_subalgoE1EsNS0_10empty_typeEbEEZZNS1_14partition_implILS5_1ELb0ES3_jN6thrust23THRUST_200600_302600_NS6detail15normal_iteratorINSA_10device_ptrIsEEEEPS6_NSA_18transform_iteratorI7is_evenIsESF_NSA_11use_defaultESK_EENS0_5tupleIJSF_SF_EEENSM_IJSG_SG_EEES6_PlJS6_EEE10hipError_tPvRmT3_T4_T5_T6_T7_T9_mT8_P12ihipStream_tbDpT10_ENKUlT_T0_E_clISt17integral_constantIbLb0EES18_IbLb1EEEEDaS14_S15_EUlS14_E_NS1_11comp_targetILNS1_3genE4ELNS1_11target_archE910ELNS1_3gpuE8ELNS1_3repE0EEENS1_30default_config_static_selectorELNS0_4arch9wavefront6targetE1EEEvT1_,comdat
	.protected	_ZN7rocprim17ROCPRIM_400000_NS6detail17trampoline_kernelINS0_14default_configENS1_25partition_config_selectorILNS1_17partition_subalgoE1EsNS0_10empty_typeEbEEZZNS1_14partition_implILS5_1ELb0ES3_jN6thrust23THRUST_200600_302600_NS6detail15normal_iteratorINSA_10device_ptrIsEEEEPS6_NSA_18transform_iteratorI7is_evenIsESF_NSA_11use_defaultESK_EENS0_5tupleIJSF_SF_EEENSM_IJSG_SG_EEES6_PlJS6_EEE10hipError_tPvRmT3_T4_T5_T6_T7_T9_mT8_P12ihipStream_tbDpT10_ENKUlT_T0_E_clISt17integral_constantIbLb0EES18_IbLb1EEEEDaS14_S15_EUlS14_E_NS1_11comp_targetILNS1_3genE4ELNS1_11target_archE910ELNS1_3gpuE8ELNS1_3repE0EEENS1_30default_config_static_selectorELNS0_4arch9wavefront6targetE1EEEvT1_ ; -- Begin function _ZN7rocprim17ROCPRIM_400000_NS6detail17trampoline_kernelINS0_14default_configENS1_25partition_config_selectorILNS1_17partition_subalgoE1EsNS0_10empty_typeEbEEZZNS1_14partition_implILS5_1ELb0ES3_jN6thrust23THRUST_200600_302600_NS6detail15normal_iteratorINSA_10device_ptrIsEEEEPS6_NSA_18transform_iteratorI7is_evenIsESF_NSA_11use_defaultESK_EENS0_5tupleIJSF_SF_EEENSM_IJSG_SG_EEES6_PlJS6_EEE10hipError_tPvRmT3_T4_T5_T6_T7_T9_mT8_P12ihipStream_tbDpT10_ENKUlT_T0_E_clISt17integral_constantIbLb0EES18_IbLb1EEEEDaS14_S15_EUlS14_E_NS1_11comp_targetILNS1_3genE4ELNS1_11target_archE910ELNS1_3gpuE8ELNS1_3repE0EEENS1_30default_config_static_selectorELNS0_4arch9wavefront6targetE1EEEvT1_
	.globl	_ZN7rocprim17ROCPRIM_400000_NS6detail17trampoline_kernelINS0_14default_configENS1_25partition_config_selectorILNS1_17partition_subalgoE1EsNS0_10empty_typeEbEEZZNS1_14partition_implILS5_1ELb0ES3_jN6thrust23THRUST_200600_302600_NS6detail15normal_iteratorINSA_10device_ptrIsEEEEPS6_NSA_18transform_iteratorI7is_evenIsESF_NSA_11use_defaultESK_EENS0_5tupleIJSF_SF_EEENSM_IJSG_SG_EEES6_PlJS6_EEE10hipError_tPvRmT3_T4_T5_T6_T7_T9_mT8_P12ihipStream_tbDpT10_ENKUlT_T0_E_clISt17integral_constantIbLb0EES18_IbLb1EEEEDaS14_S15_EUlS14_E_NS1_11comp_targetILNS1_3genE4ELNS1_11target_archE910ELNS1_3gpuE8ELNS1_3repE0EEENS1_30default_config_static_selectorELNS0_4arch9wavefront6targetE1EEEvT1_
	.p2align	8
	.type	_ZN7rocprim17ROCPRIM_400000_NS6detail17trampoline_kernelINS0_14default_configENS1_25partition_config_selectorILNS1_17partition_subalgoE1EsNS0_10empty_typeEbEEZZNS1_14partition_implILS5_1ELb0ES3_jN6thrust23THRUST_200600_302600_NS6detail15normal_iteratorINSA_10device_ptrIsEEEEPS6_NSA_18transform_iteratorI7is_evenIsESF_NSA_11use_defaultESK_EENS0_5tupleIJSF_SF_EEENSM_IJSG_SG_EEES6_PlJS6_EEE10hipError_tPvRmT3_T4_T5_T6_T7_T9_mT8_P12ihipStream_tbDpT10_ENKUlT_T0_E_clISt17integral_constantIbLb0EES18_IbLb1EEEEDaS14_S15_EUlS14_E_NS1_11comp_targetILNS1_3genE4ELNS1_11target_archE910ELNS1_3gpuE8ELNS1_3repE0EEENS1_30default_config_static_selectorELNS0_4arch9wavefront6targetE1EEEvT1_,@function
_ZN7rocprim17ROCPRIM_400000_NS6detail17trampoline_kernelINS0_14default_configENS1_25partition_config_selectorILNS1_17partition_subalgoE1EsNS0_10empty_typeEbEEZZNS1_14partition_implILS5_1ELb0ES3_jN6thrust23THRUST_200600_302600_NS6detail15normal_iteratorINSA_10device_ptrIsEEEEPS6_NSA_18transform_iteratorI7is_evenIsESF_NSA_11use_defaultESK_EENS0_5tupleIJSF_SF_EEENSM_IJSG_SG_EEES6_PlJS6_EEE10hipError_tPvRmT3_T4_T5_T6_T7_T9_mT8_P12ihipStream_tbDpT10_ENKUlT_T0_E_clISt17integral_constantIbLb0EES18_IbLb1EEEEDaS14_S15_EUlS14_E_NS1_11comp_targetILNS1_3genE4ELNS1_11target_archE910ELNS1_3gpuE8ELNS1_3repE0EEENS1_30default_config_static_selectorELNS0_4arch9wavefront6targetE1EEEvT1_: ; @_ZN7rocprim17ROCPRIM_400000_NS6detail17trampoline_kernelINS0_14default_configENS1_25partition_config_selectorILNS1_17partition_subalgoE1EsNS0_10empty_typeEbEEZZNS1_14partition_implILS5_1ELb0ES3_jN6thrust23THRUST_200600_302600_NS6detail15normal_iteratorINSA_10device_ptrIsEEEEPS6_NSA_18transform_iteratorI7is_evenIsESF_NSA_11use_defaultESK_EENS0_5tupleIJSF_SF_EEENSM_IJSG_SG_EEES6_PlJS6_EEE10hipError_tPvRmT3_T4_T5_T6_T7_T9_mT8_P12ihipStream_tbDpT10_ENKUlT_T0_E_clISt17integral_constantIbLb0EES18_IbLb1EEEEDaS14_S15_EUlS14_E_NS1_11comp_targetILNS1_3genE4ELNS1_11target_archE910ELNS1_3gpuE8ELNS1_3repE0EEENS1_30default_config_static_selectorELNS0_4arch9wavefront6targetE1EEEvT1_
; %bb.0:
	.section	.rodata,"a",@progbits
	.p2align	6, 0x0
	.amdhsa_kernel _ZN7rocprim17ROCPRIM_400000_NS6detail17trampoline_kernelINS0_14default_configENS1_25partition_config_selectorILNS1_17partition_subalgoE1EsNS0_10empty_typeEbEEZZNS1_14partition_implILS5_1ELb0ES3_jN6thrust23THRUST_200600_302600_NS6detail15normal_iteratorINSA_10device_ptrIsEEEEPS6_NSA_18transform_iteratorI7is_evenIsESF_NSA_11use_defaultESK_EENS0_5tupleIJSF_SF_EEENSM_IJSG_SG_EEES6_PlJS6_EEE10hipError_tPvRmT3_T4_T5_T6_T7_T9_mT8_P12ihipStream_tbDpT10_ENKUlT_T0_E_clISt17integral_constantIbLb0EES18_IbLb1EEEEDaS14_S15_EUlS14_E_NS1_11comp_targetILNS1_3genE4ELNS1_11target_archE910ELNS1_3gpuE8ELNS1_3repE0EEENS1_30default_config_static_selectorELNS0_4arch9wavefront6targetE1EEEvT1_
		.amdhsa_group_segment_fixed_size 0
		.amdhsa_private_segment_fixed_size 0
		.amdhsa_kernarg_size 144
		.amdhsa_user_sgpr_count 2
		.amdhsa_user_sgpr_dispatch_ptr 0
		.amdhsa_user_sgpr_queue_ptr 0
		.amdhsa_user_sgpr_kernarg_segment_ptr 1
		.amdhsa_user_sgpr_dispatch_id 0
		.amdhsa_user_sgpr_kernarg_preload_length 0
		.amdhsa_user_sgpr_kernarg_preload_offset 0
		.amdhsa_user_sgpr_private_segment_size 0
		.amdhsa_uses_dynamic_stack 0
		.amdhsa_enable_private_segment 0
		.amdhsa_system_sgpr_workgroup_id_x 1
		.amdhsa_system_sgpr_workgroup_id_y 0
		.amdhsa_system_sgpr_workgroup_id_z 0
		.amdhsa_system_sgpr_workgroup_info 0
		.amdhsa_system_vgpr_workitem_id 0
		.amdhsa_next_free_vgpr 1
		.amdhsa_next_free_sgpr 0
		.amdhsa_accum_offset 4
		.amdhsa_reserve_vcc 0
		.amdhsa_float_round_mode_32 0
		.amdhsa_float_round_mode_16_64 0
		.amdhsa_float_denorm_mode_32 3
		.amdhsa_float_denorm_mode_16_64 3
		.amdhsa_dx10_clamp 1
		.amdhsa_ieee_mode 1
		.amdhsa_fp16_overflow 0
		.amdhsa_tg_split 0
		.amdhsa_exception_fp_ieee_invalid_op 0
		.amdhsa_exception_fp_denorm_src 0
		.amdhsa_exception_fp_ieee_div_zero 0
		.amdhsa_exception_fp_ieee_overflow 0
		.amdhsa_exception_fp_ieee_underflow 0
		.amdhsa_exception_fp_ieee_inexact 0
		.amdhsa_exception_int_div_zero 0
	.end_amdhsa_kernel
	.section	.text._ZN7rocprim17ROCPRIM_400000_NS6detail17trampoline_kernelINS0_14default_configENS1_25partition_config_selectorILNS1_17partition_subalgoE1EsNS0_10empty_typeEbEEZZNS1_14partition_implILS5_1ELb0ES3_jN6thrust23THRUST_200600_302600_NS6detail15normal_iteratorINSA_10device_ptrIsEEEEPS6_NSA_18transform_iteratorI7is_evenIsESF_NSA_11use_defaultESK_EENS0_5tupleIJSF_SF_EEENSM_IJSG_SG_EEES6_PlJS6_EEE10hipError_tPvRmT3_T4_T5_T6_T7_T9_mT8_P12ihipStream_tbDpT10_ENKUlT_T0_E_clISt17integral_constantIbLb0EES18_IbLb1EEEEDaS14_S15_EUlS14_E_NS1_11comp_targetILNS1_3genE4ELNS1_11target_archE910ELNS1_3gpuE8ELNS1_3repE0EEENS1_30default_config_static_selectorELNS0_4arch9wavefront6targetE1EEEvT1_,"axG",@progbits,_ZN7rocprim17ROCPRIM_400000_NS6detail17trampoline_kernelINS0_14default_configENS1_25partition_config_selectorILNS1_17partition_subalgoE1EsNS0_10empty_typeEbEEZZNS1_14partition_implILS5_1ELb0ES3_jN6thrust23THRUST_200600_302600_NS6detail15normal_iteratorINSA_10device_ptrIsEEEEPS6_NSA_18transform_iteratorI7is_evenIsESF_NSA_11use_defaultESK_EENS0_5tupleIJSF_SF_EEENSM_IJSG_SG_EEES6_PlJS6_EEE10hipError_tPvRmT3_T4_T5_T6_T7_T9_mT8_P12ihipStream_tbDpT10_ENKUlT_T0_E_clISt17integral_constantIbLb0EES18_IbLb1EEEEDaS14_S15_EUlS14_E_NS1_11comp_targetILNS1_3genE4ELNS1_11target_archE910ELNS1_3gpuE8ELNS1_3repE0EEENS1_30default_config_static_selectorELNS0_4arch9wavefront6targetE1EEEvT1_,comdat
.Lfunc_end475:
	.size	_ZN7rocprim17ROCPRIM_400000_NS6detail17trampoline_kernelINS0_14default_configENS1_25partition_config_selectorILNS1_17partition_subalgoE1EsNS0_10empty_typeEbEEZZNS1_14partition_implILS5_1ELb0ES3_jN6thrust23THRUST_200600_302600_NS6detail15normal_iteratorINSA_10device_ptrIsEEEEPS6_NSA_18transform_iteratorI7is_evenIsESF_NSA_11use_defaultESK_EENS0_5tupleIJSF_SF_EEENSM_IJSG_SG_EEES6_PlJS6_EEE10hipError_tPvRmT3_T4_T5_T6_T7_T9_mT8_P12ihipStream_tbDpT10_ENKUlT_T0_E_clISt17integral_constantIbLb0EES18_IbLb1EEEEDaS14_S15_EUlS14_E_NS1_11comp_targetILNS1_3genE4ELNS1_11target_archE910ELNS1_3gpuE8ELNS1_3repE0EEENS1_30default_config_static_selectorELNS0_4arch9wavefront6targetE1EEEvT1_, .Lfunc_end475-_ZN7rocprim17ROCPRIM_400000_NS6detail17trampoline_kernelINS0_14default_configENS1_25partition_config_selectorILNS1_17partition_subalgoE1EsNS0_10empty_typeEbEEZZNS1_14partition_implILS5_1ELb0ES3_jN6thrust23THRUST_200600_302600_NS6detail15normal_iteratorINSA_10device_ptrIsEEEEPS6_NSA_18transform_iteratorI7is_evenIsESF_NSA_11use_defaultESK_EENS0_5tupleIJSF_SF_EEENSM_IJSG_SG_EEES6_PlJS6_EEE10hipError_tPvRmT3_T4_T5_T6_T7_T9_mT8_P12ihipStream_tbDpT10_ENKUlT_T0_E_clISt17integral_constantIbLb0EES18_IbLb1EEEEDaS14_S15_EUlS14_E_NS1_11comp_targetILNS1_3genE4ELNS1_11target_archE910ELNS1_3gpuE8ELNS1_3repE0EEENS1_30default_config_static_selectorELNS0_4arch9wavefront6targetE1EEEvT1_
                                        ; -- End function
	.section	.AMDGPU.csdata,"",@progbits
; Kernel info:
; codeLenInByte = 0
; NumSgprs: 6
; NumVgprs: 0
; NumAgprs: 0
; TotalNumVgprs: 0
; ScratchSize: 0
; MemoryBound: 0
; FloatMode: 240
; IeeeMode: 1
; LDSByteSize: 0 bytes/workgroup (compile time only)
; SGPRBlocks: 0
; VGPRBlocks: 0
; NumSGPRsForWavesPerEU: 6
; NumVGPRsForWavesPerEU: 1
; AccumOffset: 4
; Occupancy: 8
; WaveLimiterHint : 0
; COMPUTE_PGM_RSRC2:SCRATCH_EN: 0
; COMPUTE_PGM_RSRC2:USER_SGPR: 2
; COMPUTE_PGM_RSRC2:TRAP_HANDLER: 0
; COMPUTE_PGM_RSRC2:TGID_X_EN: 1
; COMPUTE_PGM_RSRC2:TGID_Y_EN: 0
; COMPUTE_PGM_RSRC2:TGID_Z_EN: 0
; COMPUTE_PGM_RSRC2:TIDIG_COMP_CNT: 0
; COMPUTE_PGM_RSRC3_GFX90A:ACCUM_OFFSET: 0
; COMPUTE_PGM_RSRC3_GFX90A:TG_SPLIT: 0
	.section	.text._ZN7rocprim17ROCPRIM_400000_NS6detail17trampoline_kernelINS0_14default_configENS1_25partition_config_selectorILNS1_17partition_subalgoE1EsNS0_10empty_typeEbEEZZNS1_14partition_implILS5_1ELb0ES3_jN6thrust23THRUST_200600_302600_NS6detail15normal_iteratorINSA_10device_ptrIsEEEEPS6_NSA_18transform_iteratorI7is_evenIsESF_NSA_11use_defaultESK_EENS0_5tupleIJSF_SF_EEENSM_IJSG_SG_EEES6_PlJS6_EEE10hipError_tPvRmT3_T4_T5_T6_T7_T9_mT8_P12ihipStream_tbDpT10_ENKUlT_T0_E_clISt17integral_constantIbLb0EES18_IbLb1EEEEDaS14_S15_EUlS14_E_NS1_11comp_targetILNS1_3genE3ELNS1_11target_archE908ELNS1_3gpuE7ELNS1_3repE0EEENS1_30default_config_static_selectorELNS0_4arch9wavefront6targetE1EEEvT1_,"axG",@progbits,_ZN7rocprim17ROCPRIM_400000_NS6detail17trampoline_kernelINS0_14default_configENS1_25partition_config_selectorILNS1_17partition_subalgoE1EsNS0_10empty_typeEbEEZZNS1_14partition_implILS5_1ELb0ES3_jN6thrust23THRUST_200600_302600_NS6detail15normal_iteratorINSA_10device_ptrIsEEEEPS6_NSA_18transform_iteratorI7is_evenIsESF_NSA_11use_defaultESK_EENS0_5tupleIJSF_SF_EEENSM_IJSG_SG_EEES6_PlJS6_EEE10hipError_tPvRmT3_T4_T5_T6_T7_T9_mT8_P12ihipStream_tbDpT10_ENKUlT_T0_E_clISt17integral_constantIbLb0EES18_IbLb1EEEEDaS14_S15_EUlS14_E_NS1_11comp_targetILNS1_3genE3ELNS1_11target_archE908ELNS1_3gpuE7ELNS1_3repE0EEENS1_30default_config_static_selectorELNS0_4arch9wavefront6targetE1EEEvT1_,comdat
	.protected	_ZN7rocprim17ROCPRIM_400000_NS6detail17trampoline_kernelINS0_14default_configENS1_25partition_config_selectorILNS1_17partition_subalgoE1EsNS0_10empty_typeEbEEZZNS1_14partition_implILS5_1ELb0ES3_jN6thrust23THRUST_200600_302600_NS6detail15normal_iteratorINSA_10device_ptrIsEEEEPS6_NSA_18transform_iteratorI7is_evenIsESF_NSA_11use_defaultESK_EENS0_5tupleIJSF_SF_EEENSM_IJSG_SG_EEES6_PlJS6_EEE10hipError_tPvRmT3_T4_T5_T6_T7_T9_mT8_P12ihipStream_tbDpT10_ENKUlT_T0_E_clISt17integral_constantIbLb0EES18_IbLb1EEEEDaS14_S15_EUlS14_E_NS1_11comp_targetILNS1_3genE3ELNS1_11target_archE908ELNS1_3gpuE7ELNS1_3repE0EEENS1_30default_config_static_selectorELNS0_4arch9wavefront6targetE1EEEvT1_ ; -- Begin function _ZN7rocprim17ROCPRIM_400000_NS6detail17trampoline_kernelINS0_14default_configENS1_25partition_config_selectorILNS1_17partition_subalgoE1EsNS0_10empty_typeEbEEZZNS1_14partition_implILS5_1ELb0ES3_jN6thrust23THRUST_200600_302600_NS6detail15normal_iteratorINSA_10device_ptrIsEEEEPS6_NSA_18transform_iteratorI7is_evenIsESF_NSA_11use_defaultESK_EENS0_5tupleIJSF_SF_EEENSM_IJSG_SG_EEES6_PlJS6_EEE10hipError_tPvRmT3_T4_T5_T6_T7_T9_mT8_P12ihipStream_tbDpT10_ENKUlT_T0_E_clISt17integral_constantIbLb0EES18_IbLb1EEEEDaS14_S15_EUlS14_E_NS1_11comp_targetILNS1_3genE3ELNS1_11target_archE908ELNS1_3gpuE7ELNS1_3repE0EEENS1_30default_config_static_selectorELNS0_4arch9wavefront6targetE1EEEvT1_
	.globl	_ZN7rocprim17ROCPRIM_400000_NS6detail17trampoline_kernelINS0_14default_configENS1_25partition_config_selectorILNS1_17partition_subalgoE1EsNS0_10empty_typeEbEEZZNS1_14partition_implILS5_1ELb0ES3_jN6thrust23THRUST_200600_302600_NS6detail15normal_iteratorINSA_10device_ptrIsEEEEPS6_NSA_18transform_iteratorI7is_evenIsESF_NSA_11use_defaultESK_EENS0_5tupleIJSF_SF_EEENSM_IJSG_SG_EEES6_PlJS6_EEE10hipError_tPvRmT3_T4_T5_T6_T7_T9_mT8_P12ihipStream_tbDpT10_ENKUlT_T0_E_clISt17integral_constantIbLb0EES18_IbLb1EEEEDaS14_S15_EUlS14_E_NS1_11comp_targetILNS1_3genE3ELNS1_11target_archE908ELNS1_3gpuE7ELNS1_3repE0EEENS1_30default_config_static_selectorELNS0_4arch9wavefront6targetE1EEEvT1_
	.p2align	8
	.type	_ZN7rocprim17ROCPRIM_400000_NS6detail17trampoline_kernelINS0_14default_configENS1_25partition_config_selectorILNS1_17partition_subalgoE1EsNS0_10empty_typeEbEEZZNS1_14partition_implILS5_1ELb0ES3_jN6thrust23THRUST_200600_302600_NS6detail15normal_iteratorINSA_10device_ptrIsEEEEPS6_NSA_18transform_iteratorI7is_evenIsESF_NSA_11use_defaultESK_EENS0_5tupleIJSF_SF_EEENSM_IJSG_SG_EEES6_PlJS6_EEE10hipError_tPvRmT3_T4_T5_T6_T7_T9_mT8_P12ihipStream_tbDpT10_ENKUlT_T0_E_clISt17integral_constantIbLb0EES18_IbLb1EEEEDaS14_S15_EUlS14_E_NS1_11comp_targetILNS1_3genE3ELNS1_11target_archE908ELNS1_3gpuE7ELNS1_3repE0EEENS1_30default_config_static_selectorELNS0_4arch9wavefront6targetE1EEEvT1_,@function
_ZN7rocprim17ROCPRIM_400000_NS6detail17trampoline_kernelINS0_14default_configENS1_25partition_config_selectorILNS1_17partition_subalgoE1EsNS0_10empty_typeEbEEZZNS1_14partition_implILS5_1ELb0ES3_jN6thrust23THRUST_200600_302600_NS6detail15normal_iteratorINSA_10device_ptrIsEEEEPS6_NSA_18transform_iteratorI7is_evenIsESF_NSA_11use_defaultESK_EENS0_5tupleIJSF_SF_EEENSM_IJSG_SG_EEES6_PlJS6_EEE10hipError_tPvRmT3_T4_T5_T6_T7_T9_mT8_P12ihipStream_tbDpT10_ENKUlT_T0_E_clISt17integral_constantIbLb0EES18_IbLb1EEEEDaS14_S15_EUlS14_E_NS1_11comp_targetILNS1_3genE3ELNS1_11target_archE908ELNS1_3gpuE7ELNS1_3repE0EEENS1_30default_config_static_selectorELNS0_4arch9wavefront6targetE1EEEvT1_: ; @_ZN7rocprim17ROCPRIM_400000_NS6detail17trampoline_kernelINS0_14default_configENS1_25partition_config_selectorILNS1_17partition_subalgoE1EsNS0_10empty_typeEbEEZZNS1_14partition_implILS5_1ELb0ES3_jN6thrust23THRUST_200600_302600_NS6detail15normal_iteratorINSA_10device_ptrIsEEEEPS6_NSA_18transform_iteratorI7is_evenIsESF_NSA_11use_defaultESK_EENS0_5tupleIJSF_SF_EEENSM_IJSG_SG_EEES6_PlJS6_EEE10hipError_tPvRmT3_T4_T5_T6_T7_T9_mT8_P12ihipStream_tbDpT10_ENKUlT_T0_E_clISt17integral_constantIbLb0EES18_IbLb1EEEEDaS14_S15_EUlS14_E_NS1_11comp_targetILNS1_3genE3ELNS1_11target_archE908ELNS1_3gpuE7ELNS1_3repE0EEENS1_30default_config_static_selectorELNS0_4arch9wavefront6targetE1EEEvT1_
; %bb.0:
	.section	.rodata,"a",@progbits
	.p2align	6, 0x0
	.amdhsa_kernel _ZN7rocprim17ROCPRIM_400000_NS6detail17trampoline_kernelINS0_14default_configENS1_25partition_config_selectorILNS1_17partition_subalgoE1EsNS0_10empty_typeEbEEZZNS1_14partition_implILS5_1ELb0ES3_jN6thrust23THRUST_200600_302600_NS6detail15normal_iteratorINSA_10device_ptrIsEEEEPS6_NSA_18transform_iteratorI7is_evenIsESF_NSA_11use_defaultESK_EENS0_5tupleIJSF_SF_EEENSM_IJSG_SG_EEES6_PlJS6_EEE10hipError_tPvRmT3_T4_T5_T6_T7_T9_mT8_P12ihipStream_tbDpT10_ENKUlT_T0_E_clISt17integral_constantIbLb0EES18_IbLb1EEEEDaS14_S15_EUlS14_E_NS1_11comp_targetILNS1_3genE3ELNS1_11target_archE908ELNS1_3gpuE7ELNS1_3repE0EEENS1_30default_config_static_selectorELNS0_4arch9wavefront6targetE1EEEvT1_
		.amdhsa_group_segment_fixed_size 0
		.amdhsa_private_segment_fixed_size 0
		.amdhsa_kernarg_size 144
		.amdhsa_user_sgpr_count 2
		.amdhsa_user_sgpr_dispatch_ptr 0
		.amdhsa_user_sgpr_queue_ptr 0
		.amdhsa_user_sgpr_kernarg_segment_ptr 1
		.amdhsa_user_sgpr_dispatch_id 0
		.amdhsa_user_sgpr_kernarg_preload_length 0
		.amdhsa_user_sgpr_kernarg_preload_offset 0
		.amdhsa_user_sgpr_private_segment_size 0
		.amdhsa_uses_dynamic_stack 0
		.amdhsa_enable_private_segment 0
		.amdhsa_system_sgpr_workgroup_id_x 1
		.amdhsa_system_sgpr_workgroup_id_y 0
		.amdhsa_system_sgpr_workgroup_id_z 0
		.amdhsa_system_sgpr_workgroup_info 0
		.amdhsa_system_vgpr_workitem_id 0
		.amdhsa_next_free_vgpr 1
		.amdhsa_next_free_sgpr 0
		.amdhsa_accum_offset 4
		.amdhsa_reserve_vcc 0
		.amdhsa_float_round_mode_32 0
		.amdhsa_float_round_mode_16_64 0
		.amdhsa_float_denorm_mode_32 3
		.amdhsa_float_denorm_mode_16_64 3
		.amdhsa_dx10_clamp 1
		.amdhsa_ieee_mode 1
		.amdhsa_fp16_overflow 0
		.amdhsa_tg_split 0
		.amdhsa_exception_fp_ieee_invalid_op 0
		.amdhsa_exception_fp_denorm_src 0
		.amdhsa_exception_fp_ieee_div_zero 0
		.amdhsa_exception_fp_ieee_overflow 0
		.amdhsa_exception_fp_ieee_underflow 0
		.amdhsa_exception_fp_ieee_inexact 0
		.amdhsa_exception_int_div_zero 0
	.end_amdhsa_kernel
	.section	.text._ZN7rocprim17ROCPRIM_400000_NS6detail17trampoline_kernelINS0_14default_configENS1_25partition_config_selectorILNS1_17partition_subalgoE1EsNS0_10empty_typeEbEEZZNS1_14partition_implILS5_1ELb0ES3_jN6thrust23THRUST_200600_302600_NS6detail15normal_iteratorINSA_10device_ptrIsEEEEPS6_NSA_18transform_iteratorI7is_evenIsESF_NSA_11use_defaultESK_EENS0_5tupleIJSF_SF_EEENSM_IJSG_SG_EEES6_PlJS6_EEE10hipError_tPvRmT3_T4_T5_T6_T7_T9_mT8_P12ihipStream_tbDpT10_ENKUlT_T0_E_clISt17integral_constantIbLb0EES18_IbLb1EEEEDaS14_S15_EUlS14_E_NS1_11comp_targetILNS1_3genE3ELNS1_11target_archE908ELNS1_3gpuE7ELNS1_3repE0EEENS1_30default_config_static_selectorELNS0_4arch9wavefront6targetE1EEEvT1_,"axG",@progbits,_ZN7rocprim17ROCPRIM_400000_NS6detail17trampoline_kernelINS0_14default_configENS1_25partition_config_selectorILNS1_17partition_subalgoE1EsNS0_10empty_typeEbEEZZNS1_14partition_implILS5_1ELb0ES3_jN6thrust23THRUST_200600_302600_NS6detail15normal_iteratorINSA_10device_ptrIsEEEEPS6_NSA_18transform_iteratorI7is_evenIsESF_NSA_11use_defaultESK_EENS0_5tupleIJSF_SF_EEENSM_IJSG_SG_EEES6_PlJS6_EEE10hipError_tPvRmT3_T4_T5_T6_T7_T9_mT8_P12ihipStream_tbDpT10_ENKUlT_T0_E_clISt17integral_constantIbLb0EES18_IbLb1EEEEDaS14_S15_EUlS14_E_NS1_11comp_targetILNS1_3genE3ELNS1_11target_archE908ELNS1_3gpuE7ELNS1_3repE0EEENS1_30default_config_static_selectorELNS0_4arch9wavefront6targetE1EEEvT1_,comdat
.Lfunc_end476:
	.size	_ZN7rocprim17ROCPRIM_400000_NS6detail17trampoline_kernelINS0_14default_configENS1_25partition_config_selectorILNS1_17partition_subalgoE1EsNS0_10empty_typeEbEEZZNS1_14partition_implILS5_1ELb0ES3_jN6thrust23THRUST_200600_302600_NS6detail15normal_iteratorINSA_10device_ptrIsEEEEPS6_NSA_18transform_iteratorI7is_evenIsESF_NSA_11use_defaultESK_EENS0_5tupleIJSF_SF_EEENSM_IJSG_SG_EEES6_PlJS6_EEE10hipError_tPvRmT3_T4_T5_T6_T7_T9_mT8_P12ihipStream_tbDpT10_ENKUlT_T0_E_clISt17integral_constantIbLb0EES18_IbLb1EEEEDaS14_S15_EUlS14_E_NS1_11comp_targetILNS1_3genE3ELNS1_11target_archE908ELNS1_3gpuE7ELNS1_3repE0EEENS1_30default_config_static_selectorELNS0_4arch9wavefront6targetE1EEEvT1_, .Lfunc_end476-_ZN7rocprim17ROCPRIM_400000_NS6detail17trampoline_kernelINS0_14default_configENS1_25partition_config_selectorILNS1_17partition_subalgoE1EsNS0_10empty_typeEbEEZZNS1_14partition_implILS5_1ELb0ES3_jN6thrust23THRUST_200600_302600_NS6detail15normal_iteratorINSA_10device_ptrIsEEEEPS6_NSA_18transform_iteratorI7is_evenIsESF_NSA_11use_defaultESK_EENS0_5tupleIJSF_SF_EEENSM_IJSG_SG_EEES6_PlJS6_EEE10hipError_tPvRmT3_T4_T5_T6_T7_T9_mT8_P12ihipStream_tbDpT10_ENKUlT_T0_E_clISt17integral_constantIbLb0EES18_IbLb1EEEEDaS14_S15_EUlS14_E_NS1_11comp_targetILNS1_3genE3ELNS1_11target_archE908ELNS1_3gpuE7ELNS1_3repE0EEENS1_30default_config_static_selectorELNS0_4arch9wavefront6targetE1EEEvT1_
                                        ; -- End function
	.section	.AMDGPU.csdata,"",@progbits
; Kernel info:
; codeLenInByte = 0
; NumSgprs: 6
; NumVgprs: 0
; NumAgprs: 0
; TotalNumVgprs: 0
; ScratchSize: 0
; MemoryBound: 0
; FloatMode: 240
; IeeeMode: 1
; LDSByteSize: 0 bytes/workgroup (compile time only)
; SGPRBlocks: 0
; VGPRBlocks: 0
; NumSGPRsForWavesPerEU: 6
; NumVGPRsForWavesPerEU: 1
; AccumOffset: 4
; Occupancy: 8
; WaveLimiterHint : 0
; COMPUTE_PGM_RSRC2:SCRATCH_EN: 0
; COMPUTE_PGM_RSRC2:USER_SGPR: 2
; COMPUTE_PGM_RSRC2:TRAP_HANDLER: 0
; COMPUTE_PGM_RSRC2:TGID_X_EN: 1
; COMPUTE_PGM_RSRC2:TGID_Y_EN: 0
; COMPUTE_PGM_RSRC2:TGID_Z_EN: 0
; COMPUTE_PGM_RSRC2:TIDIG_COMP_CNT: 0
; COMPUTE_PGM_RSRC3_GFX90A:ACCUM_OFFSET: 0
; COMPUTE_PGM_RSRC3_GFX90A:TG_SPLIT: 0
	.section	.text._ZN7rocprim17ROCPRIM_400000_NS6detail17trampoline_kernelINS0_14default_configENS1_25partition_config_selectorILNS1_17partition_subalgoE1EsNS0_10empty_typeEbEEZZNS1_14partition_implILS5_1ELb0ES3_jN6thrust23THRUST_200600_302600_NS6detail15normal_iteratorINSA_10device_ptrIsEEEEPS6_NSA_18transform_iteratorI7is_evenIsESF_NSA_11use_defaultESK_EENS0_5tupleIJSF_SF_EEENSM_IJSG_SG_EEES6_PlJS6_EEE10hipError_tPvRmT3_T4_T5_T6_T7_T9_mT8_P12ihipStream_tbDpT10_ENKUlT_T0_E_clISt17integral_constantIbLb0EES18_IbLb1EEEEDaS14_S15_EUlS14_E_NS1_11comp_targetILNS1_3genE2ELNS1_11target_archE906ELNS1_3gpuE6ELNS1_3repE0EEENS1_30default_config_static_selectorELNS0_4arch9wavefront6targetE1EEEvT1_,"axG",@progbits,_ZN7rocprim17ROCPRIM_400000_NS6detail17trampoline_kernelINS0_14default_configENS1_25partition_config_selectorILNS1_17partition_subalgoE1EsNS0_10empty_typeEbEEZZNS1_14partition_implILS5_1ELb0ES3_jN6thrust23THRUST_200600_302600_NS6detail15normal_iteratorINSA_10device_ptrIsEEEEPS6_NSA_18transform_iteratorI7is_evenIsESF_NSA_11use_defaultESK_EENS0_5tupleIJSF_SF_EEENSM_IJSG_SG_EEES6_PlJS6_EEE10hipError_tPvRmT3_T4_T5_T6_T7_T9_mT8_P12ihipStream_tbDpT10_ENKUlT_T0_E_clISt17integral_constantIbLb0EES18_IbLb1EEEEDaS14_S15_EUlS14_E_NS1_11comp_targetILNS1_3genE2ELNS1_11target_archE906ELNS1_3gpuE6ELNS1_3repE0EEENS1_30default_config_static_selectorELNS0_4arch9wavefront6targetE1EEEvT1_,comdat
	.protected	_ZN7rocprim17ROCPRIM_400000_NS6detail17trampoline_kernelINS0_14default_configENS1_25partition_config_selectorILNS1_17partition_subalgoE1EsNS0_10empty_typeEbEEZZNS1_14partition_implILS5_1ELb0ES3_jN6thrust23THRUST_200600_302600_NS6detail15normal_iteratorINSA_10device_ptrIsEEEEPS6_NSA_18transform_iteratorI7is_evenIsESF_NSA_11use_defaultESK_EENS0_5tupleIJSF_SF_EEENSM_IJSG_SG_EEES6_PlJS6_EEE10hipError_tPvRmT3_T4_T5_T6_T7_T9_mT8_P12ihipStream_tbDpT10_ENKUlT_T0_E_clISt17integral_constantIbLb0EES18_IbLb1EEEEDaS14_S15_EUlS14_E_NS1_11comp_targetILNS1_3genE2ELNS1_11target_archE906ELNS1_3gpuE6ELNS1_3repE0EEENS1_30default_config_static_selectorELNS0_4arch9wavefront6targetE1EEEvT1_ ; -- Begin function _ZN7rocprim17ROCPRIM_400000_NS6detail17trampoline_kernelINS0_14default_configENS1_25partition_config_selectorILNS1_17partition_subalgoE1EsNS0_10empty_typeEbEEZZNS1_14partition_implILS5_1ELb0ES3_jN6thrust23THRUST_200600_302600_NS6detail15normal_iteratorINSA_10device_ptrIsEEEEPS6_NSA_18transform_iteratorI7is_evenIsESF_NSA_11use_defaultESK_EENS0_5tupleIJSF_SF_EEENSM_IJSG_SG_EEES6_PlJS6_EEE10hipError_tPvRmT3_T4_T5_T6_T7_T9_mT8_P12ihipStream_tbDpT10_ENKUlT_T0_E_clISt17integral_constantIbLb0EES18_IbLb1EEEEDaS14_S15_EUlS14_E_NS1_11comp_targetILNS1_3genE2ELNS1_11target_archE906ELNS1_3gpuE6ELNS1_3repE0EEENS1_30default_config_static_selectorELNS0_4arch9wavefront6targetE1EEEvT1_
	.globl	_ZN7rocprim17ROCPRIM_400000_NS6detail17trampoline_kernelINS0_14default_configENS1_25partition_config_selectorILNS1_17partition_subalgoE1EsNS0_10empty_typeEbEEZZNS1_14partition_implILS5_1ELb0ES3_jN6thrust23THRUST_200600_302600_NS6detail15normal_iteratorINSA_10device_ptrIsEEEEPS6_NSA_18transform_iteratorI7is_evenIsESF_NSA_11use_defaultESK_EENS0_5tupleIJSF_SF_EEENSM_IJSG_SG_EEES6_PlJS6_EEE10hipError_tPvRmT3_T4_T5_T6_T7_T9_mT8_P12ihipStream_tbDpT10_ENKUlT_T0_E_clISt17integral_constantIbLb0EES18_IbLb1EEEEDaS14_S15_EUlS14_E_NS1_11comp_targetILNS1_3genE2ELNS1_11target_archE906ELNS1_3gpuE6ELNS1_3repE0EEENS1_30default_config_static_selectorELNS0_4arch9wavefront6targetE1EEEvT1_
	.p2align	8
	.type	_ZN7rocprim17ROCPRIM_400000_NS6detail17trampoline_kernelINS0_14default_configENS1_25partition_config_selectorILNS1_17partition_subalgoE1EsNS0_10empty_typeEbEEZZNS1_14partition_implILS5_1ELb0ES3_jN6thrust23THRUST_200600_302600_NS6detail15normal_iteratorINSA_10device_ptrIsEEEEPS6_NSA_18transform_iteratorI7is_evenIsESF_NSA_11use_defaultESK_EENS0_5tupleIJSF_SF_EEENSM_IJSG_SG_EEES6_PlJS6_EEE10hipError_tPvRmT3_T4_T5_T6_T7_T9_mT8_P12ihipStream_tbDpT10_ENKUlT_T0_E_clISt17integral_constantIbLb0EES18_IbLb1EEEEDaS14_S15_EUlS14_E_NS1_11comp_targetILNS1_3genE2ELNS1_11target_archE906ELNS1_3gpuE6ELNS1_3repE0EEENS1_30default_config_static_selectorELNS0_4arch9wavefront6targetE1EEEvT1_,@function
_ZN7rocprim17ROCPRIM_400000_NS6detail17trampoline_kernelINS0_14default_configENS1_25partition_config_selectorILNS1_17partition_subalgoE1EsNS0_10empty_typeEbEEZZNS1_14partition_implILS5_1ELb0ES3_jN6thrust23THRUST_200600_302600_NS6detail15normal_iteratorINSA_10device_ptrIsEEEEPS6_NSA_18transform_iteratorI7is_evenIsESF_NSA_11use_defaultESK_EENS0_5tupleIJSF_SF_EEENSM_IJSG_SG_EEES6_PlJS6_EEE10hipError_tPvRmT3_T4_T5_T6_T7_T9_mT8_P12ihipStream_tbDpT10_ENKUlT_T0_E_clISt17integral_constantIbLb0EES18_IbLb1EEEEDaS14_S15_EUlS14_E_NS1_11comp_targetILNS1_3genE2ELNS1_11target_archE906ELNS1_3gpuE6ELNS1_3repE0EEENS1_30default_config_static_selectorELNS0_4arch9wavefront6targetE1EEEvT1_: ; @_ZN7rocprim17ROCPRIM_400000_NS6detail17trampoline_kernelINS0_14default_configENS1_25partition_config_selectorILNS1_17partition_subalgoE1EsNS0_10empty_typeEbEEZZNS1_14partition_implILS5_1ELb0ES3_jN6thrust23THRUST_200600_302600_NS6detail15normal_iteratorINSA_10device_ptrIsEEEEPS6_NSA_18transform_iteratorI7is_evenIsESF_NSA_11use_defaultESK_EENS0_5tupleIJSF_SF_EEENSM_IJSG_SG_EEES6_PlJS6_EEE10hipError_tPvRmT3_T4_T5_T6_T7_T9_mT8_P12ihipStream_tbDpT10_ENKUlT_T0_E_clISt17integral_constantIbLb0EES18_IbLb1EEEEDaS14_S15_EUlS14_E_NS1_11comp_targetILNS1_3genE2ELNS1_11target_archE906ELNS1_3gpuE6ELNS1_3repE0EEENS1_30default_config_static_selectorELNS0_4arch9wavefront6targetE1EEEvT1_
; %bb.0:
	.section	.rodata,"a",@progbits
	.p2align	6, 0x0
	.amdhsa_kernel _ZN7rocprim17ROCPRIM_400000_NS6detail17trampoline_kernelINS0_14default_configENS1_25partition_config_selectorILNS1_17partition_subalgoE1EsNS0_10empty_typeEbEEZZNS1_14partition_implILS5_1ELb0ES3_jN6thrust23THRUST_200600_302600_NS6detail15normal_iteratorINSA_10device_ptrIsEEEEPS6_NSA_18transform_iteratorI7is_evenIsESF_NSA_11use_defaultESK_EENS0_5tupleIJSF_SF_EEENSM_IJSG_SG_EEES6_PlJS6_EEE10hipError_tPvRmT3_T4_T5_T6_T7_T9_mT8_P12ihipStream_tbDpT10_ENKUlT_T0_E_clISt17integral_constantIbLb0EES18_IbLb1EEEEDaS14_S15_EUlS14_E_NS1_11comp_targetILNS1_3genE2ELNS1_11target_archE906ELNS1_3gpuE6ELNS1_3repE0EEENS1_30default_config_static_selectorELNS0_4arch9wavefront6targetE1EEEvT1_
		.amdhsa_group_segment_fixed_size 0
		.amdhsa_private_segment_fixed_size 0
		.amdhsa_kernarg_size 144
		.amdhsa_user_sgpr_count 2
		.amdhsa_user_sgpr_dispatch_ptr 0
		.amdhsa_user_sgpr_queue_ptr 0
		.amdhsa_user_sgpr_kernarg_segment_ptr 1
		.amdhsa_user_sgpr_dispatch_id 0
		.amdhsa_user_sgpr_kernarg_preload_length 0
		.amdhsa_user_sgpr_kernarg_preload_offset 0
		.amdhsa_user_sgpr_private_segment_size 0
		.amdhsa_uses_dynamic_stack 0
		.amdhsa_enable_private_segment 0
		.amdhsa_system_sgpr_workgroup_id_x 1
		.amdhsa_system_sgpr_workgroup_id_y 0
		.amdhsa_system_sgpr_workgroup_id_z 0
		.amdhsa_system_sgpr_workgroup_info 0
		.amdhsa_system_vgpr_workitem_id 0
		.amdhsa_next_free_vgpr 1
		.amdhsa_next_free_sgpr 0
		.amdhsa_accum_offset 4
		.amdhsa_reserve_vcc 0
		.amdhsa_float_round_mode_32 0
		.amdhsa_float_round_mode_16_64 0
		.amdhsa_float_denorm_mode_32 3
		.amdhsa_float_denorm_mode_16_64 3
		.amdhsa_dx10_clamp 1
		.amdhsa_ieee_mode 1
		.amdhsa_fp16_overflow 0
		.amdhsa_tg_split 0
		.amdhsa_exception_fp_ieee_invalid_op 0
		.amdhsa_exception_fp_denorm_src 0
		.amdhsa_exception_fp_ieee_div_zero 0
		.amdhsa_exception_fp_ieee_overflow 0
		.amdhsa_exception_fp_ieee_underflow 0
		.amdhsa_exception_fp_ieee_inexact 0
		.amdhsa_exception_int_div_zero 0
	.end_amdhsa_kernel
	.section	.text._ZN7rocprim17ROCPRIM_400000_NS6detail17trampoline_kernelINS0_14default_configENS1_25partition_config_selectorILNS1_17partition_subalgoE1EsNS0_10empty_typeEbEEZZNS1_14partition_implILS5_1ELb0ES3_jN6thrust23THRUST_200600_302600_NS6detail15normal_iteratorINSA_10device_ptrIsEEEEPS6_NSA_18transform_iteratorI7is_evenIsESF_NSA_11use_defaultESK_EENS0_5tupleIJSF_SF_EEENSM_IJSG_SG_EEES6_PlJS6_EEE10hipError_tPvRmT3_T4_T5_T6_T7_T9_mT8_P12ihipStream_tbDpT10_ENKUlT_T0_E_clISt17integral_constantIbLb0EES18_IbLb1EEEEDaS14_S15_EUlS14_E_NS1_11comp_targetILNS1_3genE2ELNS1_11target_archE906ELNS1_3gpuE6ELNS1_3repE0EEENS1_30default_config_static_selectorELNS0_4arch9wavefront6targetE1EEEvT1_,"axG",@progbits,_ZN7rocprim17ROCPRIM_400000_NS6detail17trampoline_kernelINS0_14default_configENS1_25partition_config_selectorILNS1_17partition_subalgoE1EsNS0_10empty_typeEbEEZZNS1_14partition_implILS5_1ELb0ES3_jN6thrust23THRUST_200600_302600_NS6detail15normal_iteratorINSA_10device_ptrIsEEEEPS6_NSA_18transform_iteratorI7is_evenIsESF_NSA_11use_defaultESK_EENS0_5tupleIJSF_SF_EEENSM_IJSG_SG_EEES6_PlJS6_EEE10hipError_tPvRmT3_T4_T5_T6_T7_T9_mT8_P12ihipStream_tbDpT10_ENKUlT_T0_E_clISt17integral_constantIbLb0EES18_IbLb1EEEEDaS14_S15_EUlS14_E_NS1_11comp_targetILNS1_3genE2ELNS1_11target_archE906ELNS1_3gpuE6ELNS1_3repE0EEENS1_30default_config_static_selectorELNS0_4arch9wavefront6targetE1EEEvT1_,comdat
.Lfunc_end477:
	.size	_ZN7rocprim17ROCPRIM_400000_NS6detail17trampoline_kernelINS0_14default_configENS1_25partition_config_selectorILNS1_17partition_subalgoE1EsNS0_10empty_typeEbEEZZNS1_14partition_implILS5_1ELb0ES3_jN6thrust23THRUST_200600_302600_NS6detail15normal_iteratorINSA_10device_ptrIsEEEEPS6_NSA_18transform_iteratorI7is_evenIsESF_NSA_11use_defaultESK_EENS0_5tupleIJSF_SF_EEENSM_IJSG_SG_EEES6_PlJS6_EEE10hipError_tPvRmT3_T4_T5_T6_T7_T9_mT8_P12ihipStream_tbDpT10_ENKUlT_T0_E_clISt17integral_constantIbLb0EES18_IbLb1EEEEDaS14_S15_EUlS14_E_NS1_11comp_targetILNS1_3genE2ELNS1_11target_archE906ELNS1_3gpuE6ELNS1_3repE0EEENS1_30default_config_static_selectorELNS0_4arch9wavefront6targetE1EEEvT1_, .Lfunc_end477-_ZN7rocprim17ROCPRIM_400000_NS6detail17trampoline_kernelINS0_14default_configENS1_25partition_config_selectorILNS1_17partition_subalgoE1EsNS0_10empty_typeEbEEZZNS1_14partition_implILS5_1ELb0ES3_jN6thrust23THRUST_200600_302600_NS6detail15normal_iteratorINSA_10device_ptrIsEEEEPS6_NSA_18transform_iteratorI7is_evenIsESF_NSA_11use_defaultESK_EENS0_5tupleIJSF_SF_EEENSM_IJSG_SG_EEES6_PlJS6_EEE10hipError_tPvRmT3_T4_T5_T6_T7_T9_mT8_P12ihipStream_tbDpT10_ENKUlT_T0_E_clISt17integral_constantIbLb0EES18_IbLb1EEEEDaS14_S15_EUlS14_E_NS1_11comp_targetILNS1_3genE2ELNS1_11target_archE906ELNS1_3gpuE6ELNS1_3repE0EEENS1_30default_config_static_selectorELNS0_4arch9wavefront6targetE1EEEvT1_
                                        ; -- End function
	.section	.AMDGPU.csdata,"",@progbits
; Kernel info:
; codeLenInByte = 0
; NumSgprs: 6
; NumVgprs: 0
; NumAgprs: 0
; TotalNumVgprs: 0
; ScratchSize: 0
; MemoryBound: 0
; FloatMode: 240
; IeeeMode: 1
; LDSByteSize: 0 bytes/workgroup (compile time only)
; SGPRBlocks: 0
; VGPRBlocks: 0
; NumSGPRsForWavesPerEU: 6
; NumVGPRsForWavesPerEU: 1
; AccumOffset: 4
; Occupancy: 8
; WaveLimiterHint : 0
; COMPUTE_PGM_RSRC2:SCRATCH_EN: 0
; COMPUTE_PGM_RSRC2:USER_SGPR: 2
; COMPUTE_PGM_RSRC2:TRAP_HANDLER: 0
; COMPUTE_PGM_RSRC2:TGID_X_EN: 1
; COMPUTE_PGM_RSRC2:TGID_Y_EN: 0
; COMPUTE_PGM_RSRC2:TGID_Z_EN: 0
; COMPUTE_PGM_RSRC2:TIDIG_COMP_CNT: 0
; COMPUTE_PGM_RSRC3_GFX90A:ACCUM_OFFSET: 0
; COMPUTE_PGM_RSRC3_GFX90A:TG_SPLIT: 0
	.section	.text._ZN7rocprim17ROCPRIM_400000_NS6detail17trampoline_kernelINS0_14default_configENS1_25partition_config_selectorILNS1_17partition_subalgoE1EsNS0_10empty_typeEbEEZZNS1_14partition_implILS5_1ELb0ES3_jN6thrust23THRUST_200600_302600_NS6detail15normal_iteratorINSA_10device_ptrIsEEEEPS6_NSA_18transform_iteratorI7is_evenIsESF_NSA_11use_defaultESK_EENS0_5tupleIJSF_SF_EEENSM_IJSG_SG_EEES6_PlJS6_EEE10hipError_tPvRmT3_T4_T5_T6_T7_T9_mT8_P12ihipStream_tbDpT10_ENKUlT_T0_E_clISt17integral_constantIbLb0EES18_IbLb1EEEEDaS14_S15_EUlS14_E_NS1_11comp_targetILNS1_3genE10ELNS1_11target_archE1200ELNS1_3gpuE4ELNS1_3repE0EEENS1_30default_config_static_selectorELNS0_4arch9wavefront6targetE1EEEvT1_,"axG",@progbits,_ZN7rocprim17ROCPRIM_400000_NS6detail17trampoline_kernelINS0_14default_configENS1_25partition_config_selectorILNS1_17partition_subalgoE1EsNS0_10empty_typeEbEEZZNS1_14partition_implILS5_1ELb0ES3_jN6thrust23THRUST_200600_302600_NS6detail15normal_iteratorINSA_10device_ptrIsEEEEPS6_NSA_18transform_iteratorI7is_evenIsESF_NSA_11use_defaultESK_EENS0_5tupleIJSF_SF_EEENSM_IJSG_SG_EEES6_PlJS6_EEE10hipError_tPvRmT3_T4_T5_T6_T7_T9_mT8_P12ihipStream_tbDpT10_ENKUlT_T0_E_clISt17integral_constantIbLb0EES18_IbLb1EEEEDaS14_S15_EUlS14_E_NS1_11comp_targetILNS1_3genE10ELNS1_11target_archE1200ELNS1_3gpuE4ELNS1_3repE0EEENS1_30default_config_static_selectorELNS0_4arch9wavefront6targetE1EEEvT1_,comdat
	.protected	_ZN7rocprim17ROCPRIM_400000_NS6detail17trampoline_kernelINS0_14default_configENS1_25partition_config_selectorILNS1_17partition_subalgoE1EsNS0_10empty_typeEbEEZZNS1_14partition_implILS5_1ELb0ES3_jN6thrust23THRUST_200600_302600_NS6detail15normal_iteratorINSA_10device_ptrIsEEEEPS6_NSA_18transform_iteratorI7is_evenIsESF_NSA_11use_defaultESK_EENS0_5tupleIJSF_SF_EEENSM_IJSG_SG_EEES6_PlJS6_EEE10hipError_tPvRmT3_T4_T5_T6_T7_T9_mT8_P12ihipStream_tbDpT10_ENKUlT_T0_E_clISt17integral_constantIbLb0EES18_IbLb1EEEEDaS14_S15_EUlS14_E_NS1_11comp_targetILNS1_3genE10ELNS1_11target_archE1200ELNS1_3gpuE4ELNS1_3repE0EEENS1_30default_config_static_selectorELNS0_4arch9wavefront6targetE1EEEvT1_ ; -- Begin function _ZN7rocprim17ROCPRIM_400000_NS6detail17trampoline_kernelINS0_14default_configENS1_25partition_config_selectorILNS1_17partition_subalgoE1EsNS0_10empty_typeEbEEZZNS1_14partition_implILS5_1ELb0ES3_jN6thrust23THRUST_200600_302600_NS6detail15normal_iteratorINSA_10device_ptrIsEEEEPS6_NSA_18transform_iteratorI7is_evenIsESF_NSA_11use_defaultESK_EENS0_5tupleIJSF_SF_EEENSM_IJSG_SG_EEES6_PlJS6_EEE10hipError_tPvRmT3_T4_T5_T6_T7_T9_mT8_P12ihipStream_tbDpT10_ENKUlT_T0_E_clISt17integral_constantIbLb0EES18_IbLb1EEEEDaS14_S15_EUlS14_E_NS1_11comp_targetILNS1_3genE10ELNS1_11target_archE1200ELNS1_3gpuE4ELNS1_3repE0EEENS1_30default_config_static_selectorELNS0_4arch9wavefront6targetE1EEEvT1_
	.globl	_ZN7rocprim17ROCPRIM_400000_NS6detail17trampoline_kernelINS0_14default_configENS1_25partition_config_selectorILNS1_17partition_subalgoE1EsNS0_10empty_typeEbEEZZNS1_14partition_implILS5_1ELb0ES3_jN6thrust23THRUST_200600_302600_NS6detail15normal_iteratorINSA_10device_ptrIsEEEEPS6_NSA_18transform_iteratorI7is_evenIsESF_NSA_11use_defaultESK_EENS0_5tupleIJSF_SF_EEENSM_IJSG_SG_EEES6_PlJS6_EEE10hipError_tPvRmT3_T4_T5_T6_T7_T9_mT8_P12ihipStream_tbDpT10_ENKUlT_T0_E_clISt17integral_constantIbLb0EES18_IbLb1EEEEDaS14_S15_EUlS14_E_NS1_11comp_targetILNS1_3genE10ELNS1_11target_archE1200ELNS1_3gpuE4ELNS1_3repE0EEENS1_30default_config_static_selectorELNS0_4arch9wavefront6targetE1EEEvT1_
	.p2align	8
	.type	_ZN7rocprim17ROCPRIM_400000_NS6detail17trampoline_kernelINS0_14default_configENS1_25partition_config_selectorILNS1_17partition_subalgoE1EsNS0_10empty_typeEbEEZZNS1_14partition_implILS5_1ELb0ES3_jN6thrust23THRUST_200600_302600_NS6detail15normal_iteratorINSA_10device_ptrIsEEEEPS6_NSA_18transform_iteratorI7is_evenIsESF_NSA_11use_defaultESK_EENS0_5tupleIJSF_SF_EEENSM_IJSG_SG_EEES6_PlJS6_EEE10hipError_tPvRmT3_T4_T5_T6_T7_T9_mT8_P12ihipStream_tbDpT10_ENKUlT_T0_E_clISt17integral_constantIbLb0EES18_IbLb1EEEEDaS14_S15_EUlS14_E_NS1_11comp_targetILNS1_3genE10ELNS1_11target_archE1200ELNS1_3gpuE4ELNS1_3repE0EEENS1_30default_config_static_selectorELNS0_4arch9wavefront6targetE1EEEvT1_,@function
_ZN7rocprim17ROCPRIM_400000_NS6detail17trampoline_kernelINS0_14default_configENS1_25partition_config_selectorILNS1_17partition_subalgoE1EsNS0_10empty_typeEbEEZZNS1_14partition_implILS5_1ELb0ES3_jN6thrust23THRUST_200600_302600_NS6detail15normal_iteratorINSA_10device_ptrIsEEEEPS6_NSA_18transform_iteratorI7is_evenIsESF_NSA_11use_defaultESK_EENS0_5tupleIJSF_SF_EEENSM_IJSG_SG_EEES6_PlJS6_EEE10hipError_tPvRmT3_T4_T5_T6_T7_T9_mT8_P12ihipStream_tbDpT10_ENKUlT_T0_E_clISt17integral_constantIbLb0EES18_IbLb1EEEEDaS14_S15_EUlS14_E_NS1_11comp_targetILNS1_3genE10ELNS1_11target_archE1200ELNS1_3gpuE4ELNS1_3repE0EEENS1_30default_config_static_selectorELNS0_4arch9wavefront6targetE1EEEvT1_: ; @_ZN7rocprim17ROCPRIM_400000_NS6detail17trampoline_kernelINS0_14default_configENS1_25partition_config_selectorILNS1_17partition_subalgoE1EsNS0_10empty_typeEbEEZZNS1_14partition_implILS5_1ELb0ES3_jN6thrust23THRUST_200600_302600_NS6detail15normal_iteratorINSA_10device_ptrIsEEEEPS6_NSA_18transform_iteratorI7is_evenIsESF_NSA_11use_defaultESK_EENS0_5tupleIJSF_SF_EEENSM_IJSG_SG_EEES6_PlJS6_EEE10hipError_tPvRmT3_T4_T5_T6_T7_T9_mT8_P12ihipStream_tbDpT10_ENKUlT_T0_E_clISt17integral_constantIbLb0EES18_IbLb1EEEEDaS14_S15_EUlS14_E_NS1_11comp_targetILNS1_3genE10ELNS1_11target_archE1200ELNS1_3gpuE4ELNS1_3repE0EEENS1_30default_config_static_selectorELNS0_4arch9wavefront6targetE1EEEvT1_
; %bb.0:
	.section	.rodata,"a",@progbits
	.p2align	6, 0x0
	.amdhsa_kernel _ZN7rocprim17ROCPRIM_400000_NS6detail17trampoline_kernelINS0_14default_configENS1_25partition_config_selectorILNS1_17partition_subalgoE1EsNS0_10empty_typeEbEEZZNS1_14partition_implILS5_1ELb0ES3_jN6thrust23THRUST_200600_302600_NS6detail15normal_iteratorINSA_10device_ptrIsEEEEPS6_NSA_18transform_iteratorI7is_evenIsESF_NSA_11use_defaultESK_EENS0_5tupleIJSF_SF_EEENSM_IJSG_SG_EEES6_PlJS6_EEE10hipError_tPvRmT3_T4_T5_T6_T7_T9_mT8_P12ihipStream_tbDpT10_ENKUlT_T0_E_clISt17integral_constantIbLb0EES18_IbLb1EEEEDaS14_S15_EUlS14_E_NS1_11comp_targetILNS1_3genE10ELNS1_11target_archE1200ELNS1_3gpuE4ELNS1_3repE0EEENS1_30default_config_static_selectorELNS0_4arch9wavefront6targetE1EEEvT1_
		.amdhsa_group_segment_fixed_size 0
		.amdhsa_private_segment_fixed_size 0
		.amdhsa_kernarg_size 144
		.amdhsa_user_sgpr_count 2
		.amdhsa_user_sgpr_dispatch_ptr 0
		.amdhsa_user_sgpr_queue_ptr 0
		.amdhsa_user_sgpr_kernarg_segment_ptr 1
		.amdhsa_user_sgpr_dispatch_id 0
		.amdhsa_user_sgpr_kernarg_preload_length 0
		.amdhsa_user_sgpr_kernarg_preload_offset 0
		.amdhsa_user_sgpr_private_segment_size 0
		.amdhsa_uses_dynamic_stack 0
		.amdhsa_enable_private_segment 0
		.amdhsa_system_sgpr_workgroup_id_x 1
		.amdhsa_system_sgpr_workgroup_id_y 0
		.amdhsa_system_sgpr_workgroup_id_z 0
		.amdhsa_system_sgpr_workgroup_info 0
		.amdhsa_system_vgpr_workitem_id 0
		.amdhsa_next_free_vgpr 1
		.amdhsa_next_free_sgpr 0
		.amdhsa_accum_offset 4
		.amdhsa_reserve_vcc 0
		.amdhsa_float_round_mode_32 0
		.amdhsa_float_round_mode_16_64 0
		.amdhsa_float_denorm_mode_32 3
		.amdhsa_float_denorm_mode_16_64 3
		.amdhsa_dx10_clamp 1
		.amdhsa_ieee_mode 1
		.amdhsa_fp16_overflow 0
		.amdhsa_tg_split 0
		.amdhsa_exception_fp_ieee_invalid_op 0
		.amdhsa_exception_fp_denorm_src 0
		.amdhsa_exception_fp_ieee_div_zero 0
		.amdhsa_exception_fp_ieee_overflow 0
		.amdhsa_exception_fp_ieee_underflow 0
		.amdhsa_exception_fp_ieee_inexact 0
		.amdhsa_exception_int_div_zero 0
	.end_amdhsa_kernel
	.section	.text._ZN7rocprim17ROCPRIM_400000_NS6detail17trampoline_kernelINS0_14default_configENS1_25partition_config_selectorILNS1_17partition_subalgoE1EsNS0_10empty_typeEbEEZZNS1_14partition_implILS5_1ELb0ES3_jN6thrust23THRUST_200600_302600_NS6detail15normal_iteratorINSA_10device_ptrIsEEEEPS6_NSA_18transform_iteratorI7is_evenIsESF_NSA_11use_defaultESK_EENS0_5tupleIJSF_SF_EEENSM_IJSG_SG_EEES6_PlJS6_EEE10hipError_tPvRmT3_T4_T5_T6_T7_T9_mT8_P12ihipStream_tbDpT10_ENKUlT_T0_E_clISt17integral_constantIbLb0EES18_IbLb1EEEEDaS14_S15_EUlS14_E_NS1_11comp_targetILNS1_3genE10ELNS1_11target_archE1200ELNS1_3gpuE4ELNS1_3repE0EEENS1_30default_config_static_selectorELNS0_4arch9wavefront6targetE1EEEvT1_,"axG",@progbits,_ZN7rocprim17ROCPRIM_400000_NS6detail17trampoline_kernelINS0_14default_configENS1_25partition_config_selectorILNS1_17partition_subalgoE1EsNS0_10empty_typeEbEEZZNS1_14partition_implILS5_1ELb0ES3_jN6thrust23THRUST_200600_302600_NS6detail15normal_iteratorINSA_10device_ptrIsEEEEPS6_NSA_18transform_iteratorI7is_evenIsESF_NSA_11use_defaultESK_EENS0_5tupleIJSF_SF_EEENSM_IJSG_SG_EEES6_PlJS6_EEE10hipError_tPvRmT3_T4_T5_T6_T7_T9_mT8_P12ihipStream_tbDpT10_ENKUlT_T0_E_clISt17integral_constantIbLb0EES18_IbLb1EEEEDaS14_S15_EUlS14_E_NS1_11comp_targetILNS1_3genE10ELNS1_11target_archE1200ELNS1_3gpuE4ELNS1_3repE0EEENS1_30default_config_static_selectorELNS0_4arch9wavefront6targetE1EEEvT1_,comdat
.Lfunc_end478:
	.size	_ZN7rocprim17ROCPRIM_400000_NS6detail17trampoline_kernelINS0_14default_configENS1_25partition_config_selectorILNS1_17partition_subalgoE1EsNS0_10empty_typeEbEEZZNS1_14partition_implILS5_1ELb0ES3_jN6thrust23THRUST_200600_302600_NS6detail15normal_iteratorINSA_10device_ptrIsEEEEPS6_NSA_18transform_iteratorI7is_evenIsESF_NSA_11use_defaultESK_EENS0_5tupleIJSF_SF_EEENSM_IJSG_SG_EEES6_PlJS6_EEE10hipError_tPvRmT3_T4_T5_T6_T7_T9_mT8_P12ihipStream_tbDpT10_ENKUlT_T0_E_clISt17integral_constantIbLb0EES18_IbLb1EEEEDaS14_S15_EUlS14_E_NS1_11comp_targetILNS1_3genE10ELNS1_11target_archE1200ELNS1_3gpuE4ELNS1_3repE0EEENS1_30default_config_static_selectorELNS0_4arch9wavefront6targetE1EEEvT1_, .Lfunc_end478-_ZN7rocprim17ROCPRIM_400000_NS6detail17trampoline_kernelINS0_14default_configENS1_25partition_config_selectorILNS1_17partition_subalgoE1EsNS0_10empty_typeEbEEZZNS1_14partition_implILS5_1ELb0ES3_jN6thrust23THRUST_200600_302600_NS6detail15normal_iteratorINSA_10device_ptrIsEEEEPS6_NSA_18transform_iteratorI7is_evenIsESF_NSA_11use_defaultESK_EENS0_5tupleIJSF_SF_EEENSM_IJSG_SG_EEES6_PlJS6_EEE10hipError_tPvRmT3_T4_T5_T6_T7_T9_mT8_P12ihipStream_tbDpT10_ENKUlT_T0_E_clISt17integral_constantIbLb0EES18_IbLb1EEEEDaS14_S15_EUlS14_E_NS1_11comp_targetILNS1_3genE10ELNS1_11target_archE1200ELNS1_3gpuE4ELNS1_3repE0EEENS1_30default_config_static_selectorELNS0_4arch9wavefront6targetE1EEEvT1_
                                        ; -- End function
	.section	.AMDGPU.csdata,"",@progbits
; Kernel info:
; codeLenInByte = 0
; NumSgprs: 6
; NumVgprs: 0
; NumAgprs: 0
; TotalNumVgprs: 0
; ScratchSize: 0
; MemoryBound: 0
; FloatMode: 240
; IeeeMode: 1
; LDSByteSize: 0 bytes/workgroup (compile time only)
; SGPRBlocks: 0
; VGPRBlocks: 0
; NumSGPRsForWavesPerEU: 6
; NumVGPRsForWavesPerEU: 1
; AccumOffset: 4
; Occupancy: 8
; WaveLimiterHint : 0
; COMPUTE_PGM_RSRC2:SCRATCH_EN: 0
; COMPUTE_PGM_RSRC2:USER_SGPR: 2
; COMPUTE_PGM_RSRC2:TRAP_HANDLER: 0
; COMPUTE_PGM_RSRC2:TGID_X_EN: 1
; COMPUTE_PGM_RSRC2:TGID_Y_EN: 0
; COMPUTE_PGM_RSRC2:TGID_Z_EN: 0
; COMPUTE_PGM_RSRC2:TIDIG_COMP_CNT: 0
; COMPUTE_PGM_RSRC3_GFX90A:ACCUM_OFFSET: 0
; COMPUTE_PGM_RSRC3_GFX90A:TG_SPLIT: 0
	.section	.text._ZN7rocprim17ROCPRIM_400000_NS6detail17trampoline_kernelINS0_14default_configENS1_25partition_config_selectorILNS1_17partition_subalgoE1EsNS0_10empty_typeEbEEZZNS1_14partition_implILS5_1ELb0ES3_jN6thrust23THRUST_200600_302600_NS6detail15normal_iteratorINSA_10device_ptrIsEEEEPS6_NSA_18transform_iteratorI7is_evenIsESF_NSA_11use_defaultESK_EENS0_5tupleIJSF_SF_EEENSM_IJSG_SG_EEES6_PlJS6_EEE10hipError_tPvRmT3_T4_T5_T6_T7_T9_mT8_P12ihipStream_tbDpT10_ENKUlT_T0_E_clISt17integral_constantIbLb0EES18_IbLb1EEEEDaS14_S15_EUlS14_E_NS1_11comp_targetILNS1_3genE9ELNS1_11target_archE1100ELNS1_3gpuE3ELNS1_3repE0EEENS1_30default_config_static_selectorELNS0_4arch9wavefront6targetE1EEEvT1_,"axG",@progbits,_ZN7rocprim17ROCPRIM_400000_NS6detail17trampoline_kernelINS0_14default_configENS1_25partition_config_selectorILNS1_17partition_subalgoE1EsNS0_10empty_typeEbEEZZNS1_14partition_implILS5_1ELb0ES3_jN6thrust23THRUST_200600_302600_NS6detail15normal_iteratorINSA_10device_ptrIsEEEEPS6_NSA_18transform_iteratorI7is_evenIsESF_NSA_11use_defaultESK_EENS0_5tupleIJSF_SF_EEENSM_IJSG_SG_EEES6_PlJS6_EEE10hipError_tPvRmT3_T4_T5_T6_T7_T9_mT8_P12ihipStream_tbDpT10_ENKUlT_T0_E_clISt17integral_constantIbLb0EES18_IbLb1EEEEDaS14_S15_EUlS14_E_NS1_11comp_targetILNS1_3genE9ELNS1_11target_archE1100ELNS1_3gpuE3ELNS1_3repE0EEENS1_30default_config_static_selectorELNS0_4arch9wavefront6targetE1EEEvT1_,comdat
	.protected	_ZN7rocprim17ROCPRIM_400000_NS6detail17trampoline_kernelINS0_14default_configENS1_25partition_config_selectorILNS1_17partition_subalgoE1EsNS0_10empty_typeEbEEZZNS1_14partition_implILS5_1ELb0ES3_jN6thrust23THRUST_200600_302600_NS6detail15normal_iteratorINSA_10device_ptrIsEEEEPS6_NSA_18transform_iteratorI7is_evenIsESF_NSA_11use_defaultESK_EENS0_5tupleIJSF_SF_EEENSM_IJSG_SG_EEES6_PlJS6_EEE10hipError_tPvRmT3_T4_T5_T6_T7_T9_mT8_P12ihipStream_tbDpT10_ENKUlT_T0_E_clISt17integral_constantIbLb0EES18_IbLb1EEEEDaS14_S15_EUlS14_E_NS1_11comp_targetILNS1_3genE9ELNS1_11target_archE1100ELNS1_3gpuE3ELNS1_3repE0EEENS1_30default_config_static_selectorELNS0_4arch9wavefront6targetE1EEEvT1_ ; -- Begin function _ZN7rocprim17ROCPRIM_400000_NS6detail17trampoline_kernelINS0_14default_configENS1_25partition_config_selectorILNS1_17partition_subalgoE1EsNS0_10empty_typeEbEEZZNS1_14partition_implILS5_1ELb0ES3_jN6thrust23THRUST_200600_302600_NS6detail15normal_iteratorINSA_10device_ptrIsEEEEPS6_NSA_18transform_iteratorI7is_evenIsESF_NSA_11use_defaultESK_EENS0_5tupleIJSF_SF_EEENSM_IJSG_SG_EEES6_PlJS6_EEE10hipError_tPvRmT3_T4_T5_T6_T7_T9_mT8_P12ihipStream_tbDpT10_ENKUlT_T0_E_clISt17integral_constantIbLb0EES18_IbLb1EEEEDaS14_S15_EUlS14_E_NS1_11comp_targetILNS1_3genE9ELNS1_11target_archE1100ELNS1_3gpuE3ELNS1_3repE0EEENS1_30default_config_static_selectorELNS0_4arch9wavefront6targetE1EEEvT1_
	.globl	_ZN7rocprim17ROCPRIM_400000_NS6detail17trampoline_kernelINS0_14default_configENS1_25partition_config_selectorILNS1_17partition_subalgoE1EsNS0_10empty_typeEbEEZZNS1_14partition_implILS5_1ELb0ES3_jN6thrust23THRUST_200600_302600_NS6detail15normal_iteratorINSA_10device_ptrIsEEEEPS6_NSA_18transform_iteratorI7is_evenIsESF_NSA_11use_defaultESK_EENS0_5tupleIJSF_SF_EEENSM_IJSG_SG_EEES6_PlJS6_EEE10hipError_tPvRmT3_T4_T5_T6_T7_T9_mT8_P12ihipStream_tbDpT10_ENKUlT_T0_E_clISt17integral_constantIbLb0EES18_IbLb1EEEEDaS14_S15_EUlS14_E_NS1_11comp_targetILNS1_3genE9ELNS1_11target_archE1100ELNS1_3gpuE3ELNS1_3repE0EEENS1_30default_config_static_selectorELNS0_4arch9wavefront6targetE1EEEvT1_
	.p2align	8
	.type	_ZN7rocprim17ROCPRIM_400000_NS6detail17trampoline_kernelINS0_14default_configENS1_25partition_config_selectorILNS1_17partition_subalgoE1EsNS0_10empty_typeEbEEZZNS1_14partition_implILS5_1ELb0ES3_jN6thrust23THRUST_200600_302600_NS6detail15normal_iteratorINSA_10device_ptrIsEEEEPS6_NSA_18transform_iteratorI7is_evenIsESF_NSA_11use_defaultESK_EENS0_5tupleIJSF_SF_EEENSM_IJSG_SG_EEES6_PlJS6_EEE10hipError_tPvRmT3_T4_T5_T6_T7_T9_mT8_P12ihipStream_tbDpT10_ENKUlT_T0_E_clISt17integral_constantIbLb0EES18_IbLb1EEEEDaS14_S15_EUlS14_E_NS1_11comp_targetILNS1_3genE9ELNS1_11target_archE1100ELNS1_3gpuE3ELNS1_3repE0EEENS1_30default_config_static_selectorELNS0_4arch9wavefront6targetE1EEEvT1_,@function
_ZN7rocprim17ROCPRIM_400000_NS6detail17trampoline_kernelINS0_14default_configENS1_25partition_config_selectorILNS1_17partition_subalgoE1EsNS0_10empty_typeEbEEZZNS1_14partition_implILS5_1ELb0ES3_jN6thrust23THRUST_200600_302600_NS6detail15normal_iteratorINSA_10device_ptrIsEEEEPS6_NSA_18transform_iteratorI7is_evenIsESF_NSA_11use_defaultESK_EENS0_5tupleIJSF_SF_EEENSM_IJSG_SG_EEES6_PlJS6_EEE10hipError_tPvRmT3_T4_T5_T6_T7_T9_mT8_P12ihipStream_tbDpT10_ENKUlT_T0_E_clISt17integral_constantIbLb0EES18_IbLb1EEEEDaS14_S15_EUlS14_E_NS1_11comp_targetILNS1_3genE9ELNS1_11target_archE1100ELNS1_3gpuE3ELNS1_3repE0EEENS1_30default_config_static_selectorELNS0_4arch9wavefront6targetE1EEEvT1_: ; @_ZN7rocprim17ROCPRIM_400000_NS6detail17trampoline_kernelINS0_14default_configENS1_25partition_config_selectorILNS1_17partition_subalgoE1EsNS0_10empty_typeEbEEZZNS1_14partition_implILS5_1ELb0ES3_jN6thrust23THRUST_200600_302600_NS6detail15normal_iteratorINSA_10device_ptrIsEEEEPS6_NSA_18transform_iteratorI7is_evenIsESF_NSA_11use_defaultESK_EENS0_5tupleIJSF_SF_EEENSM_IJSG_SG_EEES6_PlJS6_EEE10hipError_tPvRmT3_T4_T5_T6_T7_T9_mT8_P12ihipStream_tbDpT10_ENKUlT_T0_E_clISt17integral_constantIbLb0EES18_IbLb1EEEEDaS14_S15_EUlS14_E_NS1_11comp_targetILNS1_3genE9ELNS1_11target_archE1100ELNS1_3gpuE3ELNS1_3repE0EEENS1_30default_config_static_selectorELNS0_4arch9wavefront6targetE1EEEvT1_
; %bb.0:
	.section	.rodata,"a",@progbits
	.p2align	6, 0x0
	.amdhsa_kernel _ZN7rocprim17ROCPRIM_400000_NS6detail17trampoline_kernelINS0_14default_configENS1_25partition_config_selectorILNS1_17partition_subalgoE1EsNS0_10empty_typeEbEEZZNS1_14partition_implILS5_1ELb0ES3_jN6thrust23THRUST_200600_302600_NS6detail15normal_iteratorINSA_10device_ptrIsEEEEPS6_NSA_18transform_iteratorI7is_evenIsESF_NSA_11use_defaultESK_EENS0_5tupleIJSF_SF_EEENSM_IJSG_SG_EEES6_PlJS6_EEE10hipError_tPvRmT3_T4_T5_T6_T7_T9_mT8_P12ihipStream_tbDpT10_ENKUlT_T0_E_clISt17integral_constantIbLb0EES18_IbLb1EEEEDaS14_S15_EUlS14_E_NS1_11comp_targetILNS1_3genE9ELNS1_11target_archE1100ELNS1_3gpuE3ELNS1_3repE0EEENS1_30default_config_static_selectorELNS0_4arch9wavefront6targetE1EEEvT1_
		.amdhsa_group_segment_fixed_size 0
		.amdhsa_private_segment_fixed_size 0
		.amdhsa_kernarg_size 144
		.amdhsa_user_sgpr_count 2
		.amdhsa_user_sgpr_dispatch_ptr 0
		.amdhsa_user_sgpr_queue_ptr 0
		.amdhsa_user_sgpr_kernarg_segment_ptr 1
		.amdhsa_user_sgpr_dispatch_id 0
		.amdhsa_user_sgpr_kernarg_preload_length 0
		.amdhsa_user_sgpr_kernarg_preload_offset 0
		.amdhsa_user_sgpr_private_segment_size 0
		.amdhsa_uses_dynamic_stack 0
		.amdhsa_enable_private_segment 0
		.amdhsa_system_sgpr_workgroup_id_x 1
		.amdhsa_system_sgpr_workgroup_id_y 0
		.amdhsa_system_sgpr_workgroup_id_z 0
		.amdhsa_system_sgpr_workgroup_info 0
		.amdhsa_system_vgpr_workitem_id 0
		.amdhsa_next_free_vgpr 1
		.amdhsa_next_free_sgpr 0
		.amdhsa_accum_offset 4
		.amdhsa_reserve_vcc 0
		.amdhsa_float_round_mode_32 0
		.amdhsa_float_round_mode_16_64 0
		.amdhsa_float_denorm_mode_32 3
		.amdhsa_float_denorm_mode_16_64 3
		.amdhsa_dx10_clamp 1
		.amdhsa_ieee_mode 1
		.amdhsa_fp16_overflow 0
		.amdhsa_tg_split 0
		.amdhsa_exception_fp_ieee_invalid_op 0
		.amdhsa_exception_fp_denorm_src 0
		.amdhsa_exception_fp_ieee_div_zero 0
		.amdhsa_exception_fp_ieee_overflow 0
		.amdhsa_exception_fp_ieee_underflow 0
		.amdhsa_exception_fp_ieee_inexact 0
		.amdhsa_exception_int_div_zero 0
	.end_amdhsa_kernel
	.section	.text._ZN7rocprim17ROCPRIM_400000_NS6detail17trampoline_kernelINS0_14default_configENS1_25partition_config_selectorILNS1_17partition_subalgoE1EsNS0_10empty_typeEbEEZZNS1_14partition_implILS5_1ELb0ES3_jN6thrust23THRUST_200600_302600_NS6detail15normal_iteratorINSA_10device_ptrIsEEEEPS6_NSA_18transform_iteratorI7is_evenIsESF_NSA_11use_defaultESK_EENS0_5tupleIJSF_SF_EEENSM_IJSG_SG_EEES6_PlJS6_EEE10hipError_tPvRmT3_T4_T5_T6_T7_T9_mT8_P12ihipStream_tbDpT10_ENKUlT_T0_E_clISt17integral_constantIbLb0EES18_IbLb1EEEEDaS14_S15_EUlS14_E_NS1_11comp_targetILNS1_3genE9ELNS1_11target_archE1100ELNS1_3gpuE3ELNS1_3repE0EEENS1_30default_config_static_selectorELNS0_4arch9wavefront6targetE1EEEvT1_,"axG",@progbits,_ZN7rocprim17ROCPRIM_400000_NS6detail17trampoline_kernelINS0_14default_configENS1_25partition_config_selectorILNS1_17partition_subalgoE1EsNS0_10empty_typeEbEEZZNS1_14partition_implILS5_1ELb0ES3_jN6thrust23THRUST_200600_302600_NS6detail15normal_iteratorINSA_10device_ptrIsEEEEPS6_NSA_18transform_iteratorI7is_evenIsESF_NSA_11use_defaultESK_EENS0_5tupleIJSF_SF_EEENSM_IJSG_SG_EEES6_PlJS6_EEE10hipError_tPvRmT3_T4_T5_T6_T7_T9_mT8_P12ihipStream_tbDpT10_ENKUlT_T0_E_clISt17integral_constantIbLb0EES18_IbLb1EEEEDaS14_S15_EUlS14_E_NS1_11comp_targetILNS1_3genE9ELNS1_11target_archE1100ELNS1_3gpuE3ELNS1_3repE0EEENS1_30default_config_static_selectorELNS0_4arch9wavefront6targetE1EEEvT1_,comdat
.Lfunc_end479:
	.size	_ZN7rocprim17ROCPRIM_400000_NS6detail17trampoline_kernelINS0_14default_configENS1_25partition_config_selectorILNS1_17partition_subalgoE1EsNS0_10empty_typeEbEEZZNS1_14partition_implILS5_1ELb0ES3_jN6thrust23THRUST_200600_302600_NS6detail15normal_iteratorINSA_10device_ptrIsEEEEPS6_NSA_18transform_iteratorI7is_evenIsESF_NSA_11use_defaultESK_EENS0_5tupleIJSF_SF_EEENSM_IJSG_SG_EEES6_PlJS6_EEE10hipError_tPvRmT3_T4_T5_T6_T7_T9_mT8_P12ihipStream_tbDpT10_ENKUlT_T0_E_clISt17integral_constantIbLb0EES18_IbLb1EEEEDaS14_S15_EUlS14_E_NS1_11comp_targetILNS1_3genE9ELNS1_11target_archE1100ELNS1_3gpuE3ELNS1_3repE0EEENS1_30default_config_static_selectorELNS0_4arch9wavefront6targetE1EEEvT1_, .Lfunc_end479-_ZN7rocprim17ROCPRIM_400000_NS6detail17trampoline_kernelINS0_14default_configENS1_25partition_config_selectorILNS1_17partition_subalgoE1EsNS0_10empty_typeEbEEZZNS1_14partition_implILS5_1ELb0ES3_jN6thrust23THRUST_200600_302600_NS6detail15normal_iteratorINSA_10device_ptrIsEEEEPS6_NSA_18transform_iteratorI7is_evenIsESF_NSA_11use_defaultESK_EENS0_5tupleIJSF_SF_EEENSM_IJSG_SG_EEES6_PlJS6_EEE10hipError_tPvRmT3_T4_T5_T6_T7_T9_mT8_P12ihipStream_tbDpT10_ENKUlT_T0_E_clISt17integral_constantIbLb0EES18_IbLb1EEEEDaS14_S15_EUlS14_E_NS1_11comp_targetILNS1_3genE9ELNS1_11target_archE1100ELNS1_3gpuE3ELNS1_3repE0EEENS1_30default_config_static_selectorELNS0_4arch9wavefront6targetE1EEEvT1_
                                        ; -- End function
	.section	.AMDGPU.csdata,"",@progbits
; Kernel info:
; codeLenInByte = 0
; NumSgprs: 6
; NumVgprs: 0
; NumAgprs: 0
; TotalNumVgprs: 0
; ScratchSize: 0
; MemoryBound: 0
; FloatMode: 240
; IeeeMode: 1
; LDSByteSize: 0 bytes/workgroup (compile time only)
; SGPRBlocks: 0
; VGPRBlocks: 0
; NumSGPRsForWavesPerEU: 6
; NumVGPRsForWavesPerEU: 1
; AccumOffset: 4
; Occupancy: 8
; WaveLimiterHint : 0
; COMPUTE_PGM_RSRC2:SCRATCH_EN: 0
; COMPUTE_PGM_RSRC2:USER_SGPR: 2
; COMPUTE_PGM_RSRC2:TRAP_HANDLER: 0
; COMPUTE_PGM_RSRC2:TGID_X_EN: 1
; COMPUTE_PGM_RSRC2:TGID_Y_EN: 0
; COMPUTE_PGM_RSRC2:TGID_Z_EN: 0
; COMPUTE_PGM_RSRC2:TIDIG_COMP_CNT: 0
; COMPUTE_PGM_RSRC3_GFX90A:ACCUM_OFFSET: 0
; COMPUTE_PGM_RSRC3_GFX90A:TG_SPLIT: 0
	.section	.text._ZN7rocprim17ROCPRIM_400000_NS6detail17trampoline_kernelINS0_14default_configENS1_25partition_config_selectorILNS1_17partition_subalgoE1EsNS0_10empty_typeEbEEZZNS1_14partition_implILS5_1ELb0ES3_jN6thrust23THRUST_200600_302600_NS6detail15normal_iteratorINSA_10device_ptrIsEEEEPS6_NSA_18transform_iteratorI7is_evenIsESF_NSA_11use_defaultESK_EENS0_5tupleIJSF_SF_EEENSM_IJSG_SG_EEES6_PlJS6_EEE10hipError_tPvRmT3_T4_T5_T6_T7_T9_mT8_P12ihipStream_tbDpT10_ENKUlT_T0_E_clISt17integral_constantIbLb0EES18_IbLb1EEEEDaS14_S15_EUlS14_E_NS1_11comp_targetILNS1_3genE8ELNS1_11target_archE1030ELNS1_3gpuE2ELNS1_3repE0EEENS1_30default_config_static_selectorELNS0_4arch9wavefront6targetE1EEEvT1_,"axG",@progbits,_ZN7rocprim17ROCPRIM_400000_NS6detail17trampoline_kernelINS0_14default_configENS1_25partition_config_selectorILNS1_17partition_subalgoE1EsNS0_10empty_typeEbEEZZNS1_14partition_implILS5_1ELb0ES3_jN6thrust23THRUST_200600_302600_NS6detail15normal_iteratorINSA_10device_ptrIsEEEEPS6_NSA_18transform_iteratorI7is_evenIsESF_NSA_11use_defaultESK_EENS0_5tupleIJSF_SF_EEENSM_IJSG_SG_EEES6_PlJS6_EEE10hipError_tPvRmT3_T4_T5_T6_T7_T9_mT8_P12ihipStream_tbDpT10_ENKUlT_T0_E_clISt17integral_constantIbLb0EES18_IbLb1EEEEDaS14_S15_EUlS14_E_NS1_11comp_targetILNS1_3genE8ELNS1_11target_archE1030ELNS1_3gpuE2ELNS1_3repE0EEENS1_30default_config_static_selectorELNS0_4arch9wavefront6targetE1EEEvT1_,comdat
	.protected	_ZN7rocprim17ROCPRIM_400000_NS6detail17trampoline_kernelINS0_14default_configENS1_25partition_config_selectorILNS1_17partition_subalgoE1EsNS0_10empty_typeEbEEZZNS1_14partition_implILS5_1ELb0ES3_jN6thrust23THRUST_200600_302600_NS6detail15normal_iteratorINSA_10device_ptrIsEEEEPS6_NSA_18transform_iteratorI7is_evenIsESF_NSA_11use_defaultESK_EENS0_5tupleIJSF_SF_EEENSM_IJSG_SG_EEES6_PlJS6_EEE10hipError_tPvRmT3_T4_T5_T6_T7_T9_mT8_P12ihipStream_tbDpT10_ENKUlT_T0_E_clISt17integral_constantIbLb0EES18_IbLb1EEEEDaS14_S15_EUlS14_E_NS1_11comp_targetILNS1_3genE8ELNS1_11target_archE1030ELNS1_3gpuE2ELNS1_3repE0EEENS1_30default_config_static_selectorELNS0_4arch9wavefront6targetE1EEEvT1_ ; -- Begin function _ZN7rocprim17ROCPRIM_400000_NS6detail17trampoline_kernelINS0_14default_configENS1_25partition_config_selectorILNS1_17partition_subalgoE1EsNS0_10empty_typeEbEEZZNS1_14partition_implILS5_1ELb0ES3_jN6thrust23THRUST_200600_302600_NS6detail15normal_iteratorINSA_10device_ptrIsEEEEPS6_NSA_18transform_iteratorI7is_evenIsESF_NSA_11use_defaultESK_EENS0_5tupleIJSF_SF_EEENSM_IJSG_SG_EEES6_PlJS6_EEE10hipError_tPvRmT3_T4_T5_T6_T7_T9_mT8_P12ihipStream_tbDpT10_ENKUlT_T0_E_clISt17integral_constantIbLb0EES18_IbLb1EEEEDaS14_S15_EUlS14_E_NS1_11comp_targetILNS1_3genE8ELNS1_11target_archE1030ELNS1_3gpuE2ELNS1_3repE0EEENS1_30default_config_static_selectorELNS0_4arch9wavefront6targetE1EEEvT1_
	.globl	_ZN7rocprim17ROCPRIM_400000_NS6detail17trampoline_kernelINS0_14default_configENS1_25partition_config_selectorILNS1_17partition_subalgoE1EsNS0_10empty_typeEbEEZZNS1_14partition_implILS5_1ELb0ES3_jN6thrust23THRUST_200600_302600_NS6detail15normal_iteratorINSA_10device_ptrIsEEEEPS6_NSA_18transform_iteratorI7is_evenIsESF_NSA_11use_defaultESK_EENS0_5tupleIJSF_SF_EEENSM_IJSG_SG_EEES6_PlJS6_EEE10hipError_tPvRmT3_T4_T5_T6_T7_T9_mT8_P12ihipStream_tbDpT10_ENKUlT_T0_E_clISt17integral_constantIbLb0EES18_IbLb1EEEEDaS14_S15_EUlS14_E_NS1_11comp_targetILNS1_3genE8ELNS1_11target_archE1030ELNS1_3gpuE2ELNS1_3repE0EEENS1_30default_config_static_selectorELNS0_4arch9wavefront6targetE1EEEvT1_
	.p2align	8
	.type	_ZN7rocprim17ROCPRIM_400000_NS6detail17trampoline_kernelINS0_14default_configENS1_25partition_config_selectorILNS1_17partition_subalgoE1EsNS0_10empty_typeEbEEZZNS1_14partition_implILS5_1ELb0ES3_jN6thrust23THRUST_200600_302600_NS6detail15normal_iteratorINSA_10device_ptrIsEEEEPS6_NSA_18transform_iteratorI7is_evenIsESF_NSA_11use_defaultESK_EENS0_5tupleIJSF_SF_EEENSM_IJSG_SG_EEES6_PlJS6_EEE10hipError_tPvRmT3_T4_T5_T6_T7_T9_mT8_P12ihipStream_tbDpT10_ENKUlT_T0_E_clISt17integral_constantIbLb0EES18_IbLb1EEEEDaS14_S15_EUlS14_E_NS1_11comp_targetILNS1_3genE8ELNS1_11target_archE1030ELNS1_3gpuE2ELNS1_3repE0EEENS1_30default_config_static_selectorELNS0_4arch9wavefront6targetE1EEEvT1_,@function
_ZN7rocprim17ROCPRIM_400000_NS6detail17trampoline_kernelINS0_14default_configENS1_25partition_config_selectorILNS1_17partition_subalgoE1EsNS0_10empty_typeEbEEZZNS1_14partition_implILS5_1ELb0ES3_jN6thrust23THRUST_200600_302600_NS6detail15normal_iteratorINSA_10device_ptrIsEEEEPS6_NSA_18transform_iteratorI7is_evenIsESF_NSA_11use_defaultESK_EENS0_5tupleIJSF_SF_EEENSM_IJSG_SG_EEES6_PlJS6_EEE10hipError_tPvRmT3_T4_T5_T6_T7_T9_mT8_P12ihipStream_tbDpT10_ENKUlT_T0_E_clISt17integral_constantIbLb0EES18_IbLb1EEEEDaS14_S15_EUlS14_E_NS1_11comp_targetILNS1_3genE8ELNS1_11target_archE1030ELNS1_3gpuE2ELNS1_3repE0EEENS1_30default_config_static_selectorELNS0_4arch9wavefront6targetE1EEEvT1_: ; @_ZN7rocprim17ROCPRIM_400000_NS6detail17trampoline_kernelINS0_14default_configENS1_25partition_config_selectorILNS1_17partition_subalgoE1EsNS0_10empty_typeEbEEZZNS1_14partition_implILS5_1ELb0ES3_jN6thrust23THRUST_200600_302600_NS6detail15normal_iteratorINSA_10device_ptrIsEEEEPS6_NSA_18transform_iteratorI7is_evenIsESF_NSA_11use_defaultESK_EENS0_5tupleIJSF_SF_EEENSM_IJSG_SG_EEES6_PlJS6_EEE10hipError_tPvRmT3_T4_T5_T6_T7_T9_mT8_P12ihipStream_tbDpT10_ENKUlT_T0_E_clISt17integral_constantIbLb0EES18_IbLb1EEEEDaS14_S15_EUlS14_E_NS1_11comp_targetILNS1_3genE8ELNS1_11target_archE1030ELNS1_3gpuE2ELNS1_3repE0EEENS1_30default_config_static_selectorELNS0_4arch9wavefront6targetE1EEEvT1_
; %bb.0:
	.section	.rodata,"a",@progbits
	.p2align	6, 0x0
	.amdhsa_kernel _ZN7rocprim17ROCPRIM_400000_NS6detail17trampoline_kernelINS0_14default_configENS1_25partition_config_selectorILNS1_17partition_subalgoE1EsNS0_10empty_typeEbEEZZNS1_14partition_implILS5_1ELb0ES3_jN6thrust23THRUST_200600_302600_NS6detail15normal_iteratorINSA_10device_ptrIsEEEEPS6_NSA_18transform_iteratorI7is_evenIsESF_NSA_11use_defaultESK_EENS0_5tupleIJSF_SF_EEENSM_IJSG_SG_EEES6_PlJS6_EEE10hipError_tPvRmT3_T4_T5_T6_T7_T9_mT8_P12ihipStream_tbDpT10_ENKUlT_T0_E_clISt17integral_constantIbLb0EES18_IbLb1EEEEDaS14_S15_EUlS14_E_NS1_11comp_targetILNS1_3genE8ELNS1_11target_archE1030ELNS1_3gpuE2ELNS1_3repE0EEENS1_30default_config_static_selectorELNS0_4arch9wavefront6targetE1EEEvT1_
		.amdhsa_group_segment_fixed_size 0
		.amdhsa_private_segment_fixed_size 0
		.amdhsa_kernarg_size 144
		.amdhsa_user_sgpr_count 2
		.amdhsa_user_sgpr_dispatch_ptr 0
		.amdhsa_user_sgpr_queue_ptr 0
		.amdhsa_user_sgpr_kernarg_segment_ptr 1
		.amdhsa_user_sgpr_dispatch_id 0
		.amdhsa_user_sgpr_kernarg_preload_length 0
		.amdhsa_user_sgpr_kernarg_preload_offset 0
		.amdhsa_user_sgpr_private_segment_size 0
		.amdhsa_uses_dynamic_stack 0
		.amdhsa_enable_private_segment 0
		.amdhsa_system_sgpr_workgroup_id_x 1
		.amdhsa_system_sgpr_workgroup_id_y 0
		.amdhsa_system_sgpr_workgroup_id_z 0
		.amdhsa_system_sgpr_workgroup_info 0
		.amdhsa_system_vgpr_workitem_id 0
		.amdhsa_next_free_vgpr 1
		.amdhsa_next_free_sgpr 0
		.amdhsa_accum_offset 4
		.amdhsa_reserve_vcc 0
		.amdhsa_float_round_mode_32 0
		.amdhsa_float_round_mode_16_64 0
		.amdhsa_float_denorm_mode_32 3
		.amdhsa_float_denorm_mode_16_64 3
		.amdhsa_dx10_clamp 1
		.amdhsa_ieee_mode 1
		.amdhsa_fp16_overflow 0
		.amdhsa_tg_split 0
		.amdhsa_exception_fp_ieee_invalid_op 0
		.amdhsa_exception_fp_denorm_src 0
		.amdhsa_exception_fp_ieee_div_zero 0
		.amdhsa_exception_fp_ieee_overflow 0
		.amdhsa_exception_fp_ieee_underflow 0
		.amdhsa_exception_fp_ieee_inexact 0
		.amdhsa_exception_int_div_zero 0
	.end_amdhsa_kernel
	.section	.text._ZN7rocprim17ROCPRIM_400000_NS6detail17trampoline_kernelINS0_14default_configENS1_25partition_config_selectorILNS1_17partition_subalgoE1EsNS0_10empty_typeEbEEZZNS1_14partition_implILS5_1ELb0ES3_jN6thrust23THRUST_200600_302600_NS6detail15normal_iteratorINSA_10device_ptrIsEEEEPS6_NSA_18transform_iteratorI7is_evenIsESF_NSA_11use_defaultESK_EENS0_5tupleIJSF_SF_EEENSM_IJSG_SG_EEES6_PlJS6_EEE10hipError_tPvRmT3_T4_T5_T6_T7_T9_mT8_P12ihipStream_tbDpT10_ENKUlT_T0_E_clISt17integral_constantIbLb0EES18_IbLb1EEEEDaS14_S15_EUlS14_E_NS1_11comp_targetILNS1_3genE8ELNS1_11target_archE1030ELNS1_3gpuE2ELNS1_3repE0EEENS1_30default_config_static_selectorELNS0_4arch9wavefront6targetE1EEEvT1_,"axG",@progbits,_ZN7rocprim17ROCPRIM_400000_NS6detail17trampoline_kernelINS0_14default_configENS1_25partition_config_selectorILNS1_17partition_subalgoE1EsNS0_10empty_typeEbEEZZNS1_14partition_implILS5_1ELb0ES3_jN6thrust23THRUST_200600_302600_NS6detail15normal_iteratorINSA_10device_ptrIsEEEEPS6_NSA_18transform_iteratorI7is_evenIsESF_NSA_11use_defaultESK_EENS0_5tupleIJSF_SF_EEENSM_IJSG_SG_EEES6_PlJS6_EEE10hipError_tPvRmT3_T4_T5_T6_T7_T9_mT8_P12ihipStream_tbDpT10_ENKUlT_T0_E_clISt17integral_constantIbLb0EES18_IbLb1EEEEDaS14_S15_EUlS14_E_NS1_11comp_targetILNS1_3genE8ELNS1_11target_archE1030ELNS1_3gpuE2ELNS1_3repE0EEENS1_30default_config_static_selectorELNS0_4arch9wavefront6targetE1EEEvT1_,comdat
.Lfunc_end480:
	.size	_ZN7rocprim17ROCPRIM_400000_NS6detail17trampoline_kernelINS0_14default_configENS1_25partition_config_selectorILNS1_17partition_subalgoE1EsNS0_10empty_typeEbEEZZNS1_14partition_implILS5_1ELb0ES3_jN6thrust23THRUST_200600_302600_NS6detail15normal_iteratorINSA_10device_ptrIsEEEEPS6_NSA_18transform_iteratorI7is_evenIsESF_NSA_11use_defaultESK_EENS0_5tupleIJSF_SF_EEENSM_IJSG_SG_EEES6_PlJS6_EEE10hipError_tPvRmT3_T4_T5_T6_T7_T9_mT8_P12ihipStream_tbDpT10_ENKUlT_T0_E_clISt17integral_constantIbLb0EES18_IbLb1EEEEDaS14_S15_EUlS14_E_NS1_11comp_targetILNS1_3genE8ELNS1_11target_archE1030ELNS1_3gpuE2ELNS1_3repE0EEENS1_30default_config_static_selectorELNS0_4arch9wavefront6targetE1EEEvT1_, .Lfunc_end480-_ZN7rocprim17ROCPRIM_400000_NS6detail17trampoline_kernelINS0_14default_configENS1_25partition_config_selectorILNS1_17partition_subalgoE1EsNS0_10empty_typeEbEEZZNS1_14partition_implILS5_1ELb0ES3_jN6thrust23THRUST_200600_302600_NS6detail15normal_iteratorINSA_10device_ptrIsEEEEPS6_NSA_18transform_iteratorI7is_evenIsESF_NSA_11use_defaultESK_EENS0_5tupleIJSF_SF_EEENSM_IJSG_SG_EEES6_PlJS6_EEE10hipError_tPvRmT3_T4_T5_T6_T7_T9_mT8_P12ihipStream_tbDpT10_ENKUlT_T0_E_clISt17integral_constantIbLb0EES18_IbLb1EEEEDaS14_S15_EUlS14_E_NS1_11comp_targetILNS1_3genE8ELNS1_11target_archE1030ELNS1_3gpuE2ELNS1_3repE0EEENS1_30default_config_static_selectorELNS0_4arch9wavefront6targetE1EEEvT1_
                                        ; -- End function
	.section	.AMDGPU.csdata,"",@progbits
; Kernel info:
; codeLenInByte = 0
; NumSgprs: 6
; NumVgprs: 0
; NumAgprs: 0
; TotalNumVgprs: 0
; ScratchSize: 0
; MemoryBound: 0
; FloatMode: 240
; IeeeMode: 1
; LDSByteSize: 0 bytes/workgroup (compile time only)
; SGPRBlocks: 0
; VGPRBlocks: 0
; NumSGPRsForWavesPerEU: 6
; NumVGPRsForWavesPerEU: 1
; AccumOffset: 4
; Occupancy: 8
; WaveLimiterHint : 0
; COMPUTE_PGM_RSRC2:SCRATCH_EN: 0
; COMPUTE_PGM_RSRC2:USER_SGPR: 2
; COMPUTE_PGM_RSRC2:TRAP_HANDLER: 0
; COMPUTE_PGM_RSRC2:TGID_X_EN: 1
; COMPUTE_PGM_RSRC2:TGID_Y_EN: 0
; COMPUTE_PGM_RSRC2:TGID_Z_EN: 0
; COMPUTE_PGM_RSRC2:TIDIG_COMP_CNT: 0
; COMPUTE_PGM_RSRC3_GFX90A:ACCUM_OFFSET: 0
; COMPUTE_PGM_RSRC3_GFX90A:TG_SPLIT: 0
	.section	.text._ZN7rocprim17ROCPRIM_400000_NS6detail17trampoline_kernelINS0_14default_configENS1_25partition_config_selectorILNS1_17partition_subalgoE2ExNS0_10empty_typeEbEEZZNS1_14partition_implILS5_2ELb0ES3_jN6thrust23THRUST_200600_302600_NS6detail15normal_iteratorINSA_7pointerIxNSA_11hip_rocprim3tagENSA_11use_defaultESG_EEEEPS6_NSA_18transform_iteratorINSA_8identityIxEENSC_INSA_10device_ptrIxEEEESG_SG_EENS0_5tupleIJPxSJ_EEENSR_IJSJ_SJ_EEES6_PlJS6_EEE10hipError_tPvRmT3_T4_T5_T6_T7_T9_mT8_P12ihipStream_tbDpT10_ENKUlT_T0_E_clISt17integral_constantIbLb0EES1F_EEDaS1A_S1B_EUlS1A_E_NS1_11comp_targetILNS1_3genE0ELNS1_11target_archE4294967295ELNS1_3gpuE0ELNS1_3repE0EEENS1_30default_config_static_selectorELNS0_4arch9wavefront6targetE1EEEvT1_,"axG",@progbits,_ZN7rocprim17ROCPRIM_400000_NS6detail17trampoline_kernelINS0_14default_configENS1_25partition_config_selectorILNS1_17partition_subalgoE2ExNS0_10empty_typeEbEEZZNS1_14partition_implILS5_2ELb0ES3_jN6thrust23THRUST_200600_302600_NS6detail15normal_iteratorINSA_7pointerIxNSA_11hip_rocprim3tagENSA_11use_defaultESG_EEEEPS6_NSA_18transform_iteratorINSA_8identityIxEENSC_INSA_10device_ptrIxEEEESG_SG_EENS0_5tupleIJPxSJ_EEENSR_IJSJ_SJ_EEES6_PlJS6_EEE10hipError_tPvRmT3_T4_T5_T6_T7_T9_mT8_P12ihipStream_tbDpT10_ENKUlT_T0_E_clISt17integral_constantIbLb0EES1F_EEDaS1A_S1B_EUlS1A_E_NS1_11comp_targetILNS1_3genE0ELNS1_11target_archE4294967295ELNS1_3gpuE0ELNS1_3repE0EEENS1_30default_config_static_selectorELNS0_4arch9wavefront6targetE1EEEvT1_,comdat
	.protected	_ZN7rocprim17ROCPRIM_400000_NS6detail17trampoline_kernelINS0_14default_configENS1_25partition_config_selectorILNS1_17partition_subalgoE2ExNS0_10empty_typeEbEEZZNS1_14partition_implILS5_2ELb0ES3_jN6thrust23THRUST_200600_302600_NS6detail15normal_iteratorINSA_7pointerIxNSA_11hip_rocprim3tagENSA_11use_defaultESG_EEEEPS6_NSA_18transform_iteratorINSA_8identityIxEENSC_INSA_10device_ptrIxEEEESG_SG_EENS0_5tupleIJPxSJ_EEENSR_IJSJ_SJ_EEES6_PlJS6_EEE10hipError_tPvRmT3_T4_T5_T6_T7_T9_mT8_P12ihipStream_tbDpT10_ENKUlT_T0_E_clISt17integral_constantIbLb0EES1F_EEDaS1A_S1B_EUlS1A_E_NS1_11comp_targetILNS1_3genE0ELNS1_11target_archE4294967295ELNS1_3gpuE0ELNS1_3repE0EEENS1_30default_config_static_selectorELNS0_4arch9wavefront6targetE1EEEvT1_ ; -- Begin function _ZN7rocprim17ROCPRIM_400000_NS6detail17trampoline_kernelINS0_14default_configENS1_25partition_config_selectorILNS1_17partition_subalgoE2ExNS0_10empty_typeEbEEZZNS1_14partition_implILS5_2ELb0ES3_jN6thrust23THRUST_200600_302600_NS6detail15normal_iteratorINSA_7pointerIxNSA_11hip_rocprim3tagENSA_11use_defaultESG_EEEEPS6_NSA_18transform_iteratorINSA_8identityIxEENSC_INSA_10device_ptrIxEEEESG_SG_EENS0_5tupleIJPxSJ_EEENSR_IJSJ_SJ_EEES6_PlJS6_EEE10hipError_tPvRmT3_T4_T5_T6_T7_T9_mT8_P12ihipStream_tbDpT10_ENKUlT_T0_E_clISt17integral_constantIbLb0EES1F_EEDaS1A_S1B_EUlS1A_E_NS1_11comp_targetILNS1_3genE0ELNS1_11target_archE4294967295ELNS1_3gpuE0ELNS1_3repE0EEENS1_30default_config_static_selectorELNS0_4arch9wavefront6targetE1EEEvT1_
	.globl	_ZN7rocprim17ROCPRIM_400000_NS6detail17trampoline_kernelINS0_14default_configENS1_25partition_config_selectorILNS1_17partition_subalgoE2ExNS0_10empty_typeEbEEZZNS1_14partition_implILS5_2ELb0ES3_jN6thrust23THRUST_200600_302600_NS6detail15normal_iteratorINSA_7pointerIxNSA_11hip_rocprim3tagENSA_11use_defaultESG_EEEEPS6_NSA_18transform_iteratorINSA_8identityIxEENSC_INSA_10device_ptrIxEEEESG_SG_EENS0_5tupleIJPxSJ_EEENSR_IJSJ_SJ_EEES6_PlJS6_EEE10hipError_tPvRmT3_T4_T5_T6_T7_T9_mT8_P12ihipStream_tbDpT10_ENKUlT_T0_E_clISt17integral_constantIbLb0EES1F_EEDaS1A_S1B_EUlS1A_E_NS1_11comp_targetILNS1_3genE0ELNS1_11target_archE4294967295ELNS1_3gpuE0ELNS1_3repE0EEENS1_30default_config_static_selectorELNS0_4arch9wavefront6targetE1EEEvT1_
	.p2align	8
	.type	_ZN7rocprim17ROCPRIM_400000_NS6detail17trampoline_kernelINS0_14default_configENS1_25partition_config_selectorILNS1_17partition_subalgoE2ExNS0_10empty_typeEbEEZZNS1_14partition_implILS5_2ELb0ES3_jN6thrust23THRUST_200600_302600_NS6detail15normal_iteratorINSA_7pointerIxNSA_11hip_rocprim3tagENSA_11use_defaultESG_EEEEPS6_NSA_18transform_iteratorINSA_8identityIxEENSC_INSA_10device_ptrIxEEEESG_SG_EENS0_5tupleIJPxSJ_EEENSR_IJSJ_SJ_EEES6_PlJS6_EEE10hipError_tPvRmT3_T4_T5_T6_T7_T9_mT8_P12ihipStream_tbDpT10_ENKUlT_T0_E_clISt17integral_constantIbLb0EES1F_EEDaS1A_S1B_EUlS1A_E_NS1_11comp_targetILNS1_3genE0ELNS1_11target_archE4294967295ELNS1_3gpuE0ELNS1_3repE0EEENS1_30default_config_static_selectorELNS0_4arch9wavefront6targetE1EEEvT1_,@function
_ZN7rocprim17ROCPRIM_400000_NS6detail17trampoline_kernelINS0_14default_configENS1_25partition_config_selectorILNS1_17partition_subalgoE2ExNS0_10empty_typeEbEEZZNS1_14partition_implILS5_2ELb0ES3_jN6thrust23THRUST_200600_302600_NS6detail15normal_iteratorINSA_7pointerIxNSA_11hip_rocprim3tagENSA_11use_defaultESG_EEEEPS6_NSA_18transform_iteratorINSA_8identityIxEENSC_INSA_10device_ptrIxEEEESG_SG_EENS0_5tupleIJPxSJ_EEENSR_IJSJ_SJ_EEES6_PlJS6_EEE10hipError_tPvRmT3_T4_T5_T6_T7_T9_mT8_P12ihipStream_tbDpT10_ENKUlT_T0_E_clISt17integral_constantIbLb0EES1F_EEDaS1A_S1B_EUlS1A_E_NS1_11comp_targetILNS1_3genE0ELNS1_11target_archE4294967295ELNS1_3gpuE0ELNS1_3repE0EEENS1_30default_config_static_selectorELNS0_4arch9wavefront6targetE1EEEvT1_: ; @_ZN7rocprim17ROCPRIM_400000_NS6detail17trampoline_kernelINS0_14default_configENS1_25partition_config_selectorILNS1_17partition_subalgoE2ExNS0_10empty_typeEbEEZZNS1_14partition_implILS5_2ELb0ES3_jN6thrust23THRUST_200600_302600_NS6detail15normal_iteratorINSA_7pointerIxNSA_11hip_rocprim3tagENSA_11use_defaultESG_EEEEPS6_NSA_18transform_iteratorINSA_8identityIxEENSC_INSA_10device_ptrIxEEEESG_SG_EENS0_5tupleIJPxSJ_EEENSR_IJSJ_SJ_EEES6_PlJS6_EEE10hipError_tPvRmT3_T4_T5_T6_T7_T9_mT8_P12ihipStream_tbDpT10_ENKUlT_T0_E_clISt17integral_constantIbLb0EES1F_EEDaS1A_S1B_EUlS1A_E_NS1_11comp_targetILNS1_3genE0ELNS1_11target_archE4294967295ELNS1_3gpuE0ELNS1_3repE0EEENS1_30default_config_static_selectorELNS0_4arch9wavefront6targetE1EEEvT1_
; %bb.0:
	.section	.rodata,"a",@progbits
	.p2align	6, 0x0
	.amdhsa_kernel _ZN7rocprim17ROCPRIM_400000_NS6detail17trampoline_kernelINS0_14default_configENS1_25partition_config_selectorILNS1_17partition_subalgoE2ExNS0_10empty_typeEbEEZZNS1_14partition_implILS5_2ELb0ES3_jN6thrust23THRUST_200600_302600_NS6detail15normal_iteratorINSA_7pointerIxNSA_11hip_rocprim3tagENSA_11use_defaultESG_EEEEPS6_NSA_18transform_iteratorINSA_8identityIxEENSC_INSA_10device_ptrIxEEEESG_SG_EENS0_5tupleIJPxSJ_EEENSR_IJSJ_SJ_EEES6_PlJS6_EEE10hipError_tPvRmT3_T4_T5_T6_T7_T9_mT8_P12ihipStream_tbDpT10_ENKUlT_T0_E_clISt17integral_constantIbLb0EES1F_EEDaS1A_S1B_EUlS1A_E_NS1_11comp_targetILNS1_3genE0ELNS1_11target_archE4294967295ELNS1_3gpuE0ELNS1_3repE0EEENS1_30default_config_static_selectorELNS0_4arch9wavefront6targetE1EEEvT1_
		.amdhsa_group_segment_fixed_size 0
		.amdhsa_private_segment_fixed_size 0
		.amdhsa_kernarg_size 128
		.amdhsa_user_sgpr_count 2
		.amdhsa_user_sgpr_dispatch_ptr 0
		.amdhsa_user_sgpr_queue_ptr 0
		.amdhsa_user_sgpr_kernarg_segment_ptr 1
		.amdhsa_user_sgpr_dispatch_id 0
		.amdhsa_user_sgpr_kernarg_preload_length 0
		.amdhsa_user_sgpr_kernarg_preload_offset 0
		.amdhsa_user_sgpr_private_segment_size 0
		.amdhsa_uses_dynamic_stack 0
		.amdhsa_enable_private_segment 0
		.amdhsa_system_sgpr_workgroup_id_x 1
		.amdhsa_system_sgpr_workgroup_id_y 0
		.amdhsa_system_sgpr_workgroup_id_z 0
		.amdhsa_system_sgpr_workgroup_info 0
		.amdhsa_system_vgpr_workitem_id 0
		.amdhsa_next_free_vgpr 1
		.amdhsa_next_free_sgpr 0
		.amdhsa_accum_offset 4
		.amdhsa_reserve_vcc 0
		.amdhsa_float_round_mode_32 0
		.amdhsa_float_round_mode_16_64 0
		.amdhsa_float_denorm_mode_32 3
		.amdhsa_float_denorm_mode_16_64 3
		.amdhsa_dx10_clamp 1
		.amdhsa_ieee_mode 1
		.amdhsa_fp16_overflow 0
		.amdhsa_tg_split 0
		.amdhsa_exception_fp_ieee_invalid_op 0
		.amdhsa_exception_fp_denorm_src 0
		.amdhsa_exception_fp_ieee_div_zero 0
		.amdhsa_exception_fp_ieee_overflow 0
		.amdhsa_exception_fp_ieee_underflow 0
		.amdhsa_exception_fp_ieee_inexact 0
		.amdhsa_exception_int_div_zero 0
	.end_amdhsa_kernel
	.section	.text._ZN7rocprim17ROCPRIM_400000_NS6detail17trampoline_kernelINS0_14default_configENS1_25partition_config_selectorILNS1_17partition_subalgoE2ExNS0_10empty_typeEbEEZZNS1_14partition_implILS5_2ELb0ES3_jN6thrust23THRUST_200600_302600_NS6detail15normal_iteratorINSA_7pointerIxNSA_11hip_rocprim3tagENSA_11use_defaultESG_EEEEPS6_NSA_18transform_iteratorINSA_8identityIxEENSC_INSA_10device_ptrIxEEEESG_SG_EENS0_5tupleIJPxSJ_EEENSR_IJSJ_SJ_EEES6_PlJS6_EEE10hipError_tPvRmT3_T4_T5_T6_T7_T9_mT8_P12ihipStream_tbDpT10_ENKUlT_T0_E_clISt17integral_constantIbLb0EES1F_EEDaS1A_S1B_EUlS1A_E_NS1_11comp_targetILNS1_3genE0ELNS1_11target_archE4294967295ELNS1_3gpuE0ELNS1_3repE0EEENS1_30default_config_static_selectorELNS0_4arch9wavefront6targetE1EEEvT1_,"axG",@progbits,_ZN7rocprim17ROCPRIM_400000_NS6detail17trampoline_kernelINS0_14default_configENS1_25partition_config_selectorILNS1_17partition_subalgoE2ExNS0_10empty_typeEbEEZZNS1_14partition_implILS5_2ELb0ES3_jN6thrust23THRUST_200600_302600_NS6detail15normal_iteratorINSA_7pointerIxNSA_11hip_rocprim3tagENSA_11use_defaultESG_EEEEPS6_NSA_18transform_iteratorINSA_8identityIxEENSC_INSA_10device_ptrIxEEEESG_SG_EENS0_5tupleIJPxSJ_EEENSR_IJSJ_SJ_EEES6_PlJS6_EEE10hipError_tPvRmT3_T4_T5_T6_T7_T9_mT8_P12ihipStream_tbDpT10_ENKUlT_T0_E_clISt17integral_constantIbLb0EES1F_EEDaS1A_S1B_EUlS1A_E_NS1_11comp_targetILNS1_3genE0ELNS1_11target_archE4294967295ELNS1_3gpuE0ELNS1_3repE0EEENS1_30default_config_static_selectorELNS0_4arch9wavefront6targetE1EEEvT1_,comdat
.Lfunc_end481:
	.size	_ZN7rocprim17ROCPRIM_400000_NS6detail17trampoline_kernelINS0_14default_configENS1_25partition_config_selectorILNS1_17partition_subalgoE2ExNS0_10empty_typeEbEEZZNS1_14partition_implILS5_2ELb0ES3_jN6thrust23THRUST_200600_302600_NS6detail15normal_iteratorINSA_7pointerIxNSA_11hip_rocprim3tagENSA_11use_defaultESG_EEEEPS6_NSA_18transform_iteratorINSA_8identityIxEENSC_INSA_10device_ptrIxEEEESG_SG_EENS0_5tupleIJPxSJ_EEENSR_IJSJ_SJ_EEES6_PlJS6_EEE10hipError_tPvRmT3_T4_T5_T6_T7_T9_mT8_P12ihipStream_tbDpT10_ENKUlT_T0_E_clISt17integral_constantIbLb0EES1F_EEDaS1A_S1B_EUlS1A_E_NS1_11comp_targetILNS1_3genE0ELNS1_11target_archE4294967295ELNS1_3gpuE0ELNS1_3repE0EEENS1_30default_config_static_selectorELNS0_4arch9wavefront6targetE1EEEvT1_, .Lfunc_end481-_ZN7rocprim17ROCPRIM_400000_NS6detail17trampoline_kernelINS0_14default_configENS1_25partition_config_selectorILNS1_17partition_subalgoE2ExNS0_10empty_typeEbEEZZNS1_14partition_implILS5_2ELb0ES3_jN6thrust23THRUST_200600_302600_NS6detail15normal_iteratorINSA_7pointerIxNSA_11hip_rocprim3tagENSA_11use_defaultESG_EEEEPS6_NSA_18transform_iteratorINSA_8identityIxEENSC_INSA_10device_ptrIxEEEESG_SG_EENS0_5tupleIJPxSJ_EEENSR_IJSJ_SJ_EEES6_PlJS6_EEE10hipError_tPvRmT3_T4_T5_T6_T7_T9_mT8_P12ihipStream_tbDpT10_ENKUlT_T0_E_clISt17integral_constantIbLb0EES1F_EEDaS1A_S1B_EUlS1A_E_NS1_11comp_targetILNS1_3genE0ELNS1_11target_archE4294967295ELNS1_3gpuE0ELNS1_3repE0EEENS1_30default_config_static_selectorELNS0_4arch9wavefront6targetE1EEEvT1_
                                        ; -- End function
	.section	.AMDGPU.csdata,"",@progbits
; Kernel info:
; codeLenInByte = 0
; NumSgprs: 6
; NumVgprs: 0
; NumAgprs: 0
; TotalNumVgprs: 0
; ScratchSize: 0
; MemoryBound: 0
; FloatMode: 240
; IeeeMode: 1
; LDSByteSize: 0 bytes/workgroup (compile time only)
; SGPRBlocks: 0
; VGPRBlocks: 0
; NumSGPRsForWavesPerEU: 6
; NumVGPRsForWavesPerEU: 1
; AccumOffset: 4
; Occupancy: 8
; WaveLimiterHint : 0
; COMPUTE_PGM_RSRC2:SCRATCH_EN: 0
; COMPUTE_PGM_RSRC2:USER_SGPR: 2
; COMPUTE_PGM_RSRC2:TRAP_HANDLER: 0
; COMPUTE_PGM_RSRC2:TGID_X_EN: 1
; COMPUTE_PGM_RSRC2:TGID_Y_EN: 0
; COMPUTE_PGM_RSRC2:TGID_Z_EN: 0
; COMPUTE_PGM_RSRC2:TIDIG_COMP_CNT: 0
; COMPUTE_PGM_RSRC3_GFX90A:ACCUM_OFFSET: 0
; COMPUTE_PGM_RSRC3_GFX90A:TG_SPLIT: 0
	.section	.text._ZN7rocprim17ROCPRIM_400000_NS6detail17trampoline_kernelINS0_14default_configENS1_25partition_config_selectorILNS1_17partition_subalgoE2ExNS0_10empty_typeEbEEZZNS1_14partition_implILS5_2ELb0ES3_jN6thrust23THRUST_200600_302600_NS6detail15normal_iteratorINSA_7pointerIxNSA_11hip_rocprim3tagENSA_11use_defaultESG_EEEEPS6_NSA_18transform_iteratorINSA_8identityIxEENSC_INSA_10device_ptrIxEEEESG_SG_EENS0_5tupleIJPxSJ_EEENSR_IJSJ_SJ_EEES6_PlJS6_EEE10hipError_tPvRmT3_T4_T5_T6_T7_T9_mT8_P12ihipStream_tbDpT10_ENKUlT_T0_E_clISt17integral_constantIbLb0EES1F_EEDaS1A_S1B_EUlS1A_E_NS1_11comp_targetILNS1_3genE5ELNS1_11target_archE942ELNS1_3gpuE9ELNS1_3repE0EEENS1_30default_config_static_selectorELNS0_4arch9wavefront6targetE1EEEvT1_,"axG",@progbits,_ZN7rocprim17ROCPRIM_400000_NS6detail17trampoline_kernelINS0_14default_configENS1_25partition_config_selectorILNS1_17partition_subalgoE2ExNS0_10empty_typeEbEEZZNS1_14partition_implILS5_2ELb0ES3_jN6thrust23THRUST_200600_302600_NS6detail15normal_iteratorINSA_7pointerIxNSA_11hip_rocprim3tagENSA_11use_defaultESG_EEEEPS6_NSA_18transform_iteratorINSA_8identityIxEENSC_INSA_10device_ptrIxEEEESG_SG_EENS0_5tupleIJPxSJ_EEENSR_IJSJ_SJ_EEES6_PlJS6_EEE10hipError_tPvRmT3_T4_T5_T6_T7_T9_mT8_P12ihipStream_tbDpT10_ENKUlT_T0_E_clISt17integral_constantIbLb0EES1F_EEDaS1A_S1B_EUlS1A_E_NS1_11comp_targetILNS1_3genE5ELNS1_11target_archE942ELNS1_3gpuE9ELNS1_3repE0EEENS1_30default_config_static_selectorELNS0_4arch9wavefront6targetE1EEEvT1_,comdat
	.protected	_ZN7rocprim17ROCPRIM_400000_NS6detail17trampoline_kernelINS0_14default_configENS1_25partition_config_selectorILNS1_17partition_subalgoE2ExNS0_10empty_typeEbEEZZNS1_14partition_implILS5_2ELb0ES3_jN6thrust23THRUST_200600_302600_NS6detail15normal_iteratorINSA_7pointerIxNSA_11hip_rocprim3tagENSA_11use_defaultESG_EEEEPS6_NSA_18transform_iteratorINSA_8identityIxEENSC_INSA_10device_ptrIxEEEESG_SG_EENS0_5tupleIJPxSJ_EEENSR_IJSJ_SJ_EEES6_PlJS6_EEE10hipError_tPvRmT3_T4_T5_T6_T7_T9_mT8_P12ihipStream_tbDpT10_ENKUlT_T0_E_clISt17integral_constantIbLb0EES1F_EEDaS1A_S1B_EUlS1A_E_NS1_11comp_targetILNS1_3genE5ELNS1_11target_archE942ELNS1_3gpuE9ELNS1_3repE0EEENS1_30default_config_static_selectorELNS0_4arch9wavefront6targetE1EEEvT1_ ; -- Begin function _ZN7rocprim17ROCPRIM_400000_NS6detail17trampoline_kernelINS0_14default_configENS1_25partition_config_selectorILNS1_17partition_subalgoE2ExNS0_10empty_typeEbEEZZNS1_14partition_implILS5_2ELb0ES3_jN6thrust23THRUST_200600_302600_NS6detail15normal_iteratorINSA_7pointerIxNSA_11hip_rocprim3tagENSA_11use_defaultESG_EEEEPS6_NSA_18transform_iteratorINSA_8identityIxEENSC_INSA_10device_ptrIxEEEESG_SG_EENS0_5tupleIJPxSJ_EEENSR_IJSJ_SJ_EEES6_PlJS6_EEE10hipError_tPvRmT3_T4_T5_T6_T7_T9_mT8_P12ihipStream_tbDpT10_ENKUlT_T0_E_clISt17integral_constantIbLb0EES1F_EEDaS1A_S1B_EUlS1A_E_NS1_11comp_targetILNS1_3genE5ELNS1_11target_archE942ELNS1_3gpuE9ELNS1_3repE0EEENS1_30default_config_static_selectorELNS0_4arch9wavefront6targetE1EEEvT1_
	.globl	_ZN7rocprim17ROCPRIM_400000_NS6detail17trampoline_kernelINS0_14default_configENS1_25partition_config_selectorILNS1_17partition_subalgoE2ExNS0_10empty_typeEbEEZZNS1_14partition_implILS5_2ELb0ES3_jN6thrust23THRUST_200600_302600_NS6detail15normal_iteratorINSA_7pointerIxNSA_11hip_rocprim3tagENSA_11use_defaultESG_EEEEPS6_NSA_18transform_iteratorINSA_8identityIxEENSC_INSA_10device_ptrIxEEEESG_SG_EENS0_5tupleIJPxSJ_EEENSR_IJSJ_SJ_EEES6_PlJS6_EEE10hipError_tPvRmT3_T4_T5_T6_T7_T9_mT8_P12ihipStream_tbDpT10_ENKUlT_T0_E_clISt17integral_constantIbLb0EES1F_EEDaS1A_S1B_EUlS1A_E_NS1_11comp_targetILNS1_3genE5ELNS1_11target_archE942ELNS1_3gpuE9ELNS1_3repE0EEENS1_30default_config_static_selectorELNS0_4arch9wavefront6targetE1EEEvT1_
	.p2align	8
	.type	_ZN7rocprim17ROCPRIM_400000_NS6detail17trampoline_kernelINS0_14default_configENS1_25partition_config_selectorILNS1_17partition_subalgoE2ExNS0_10empty_typeEbEEZZNS1_14partition_implILS5_2ELb0ES3_jN6thrust23THRUST_200600_302600_NS6detail15normal_iteratorINSA_7pointerIxNSA_11hip_rocprim3tagENSA_11use_defaultESG_EEEEPS6_NSA_18transform_iteratorINSA_8identityIxEENSC_INSA_10device_ptrIxEEEESG_SG_EENS0_5tupleIJPxSJ_EEENSR_IJSJ_SJ_EEES6_PlJS6_EEE10hipError_tPvRmT3_T4_T5_T6_T7_T9_mT8_P12ihipStream_tbDpT10_ENKUlT_T0_E_clISt17integral_constantIbLb0EES1F_EEDaS1A_S1B_EUlS1A_E_NS1_11comp_targetILNS1_3genE5ELNS1_11target_archE942ELNS1_3gpuE9ELNS1_3repE0EEENS1_30default_config_static_selectorELNS0_4arch9wavefront6targetE1EEEvT1_,@function
_ZN7rocprim17ROCPRIM_400000_NS6detail17trampoline_kernelINS0_14default_configENS1_25partition_config_selectorILNS1_17partition_subalgoE2ExNS0_10empty_typeEbEEZZNS1_14partition_implILS5_2ELb0ES3_jN6thrust23THRUST_200600_302600_NS6detail15normal_iteratorINSA_7pointerIxNSA_11hip_rocprim3tagENSA_11use_defaultESG_EEEEPS6_NSA_18transform_iteratorINSA_8identityIxEENSC_INSA_10device_ptrIxEEEESG_SG_EENS0_5tupleIJPxSJ_EEENSR_IJSJ_SJ_EEES6_PlJS6_EEE10hipError_tPvRmT3_T4_T5_T6_T7_T9_mT8_P12ihipStream_tbDpT10_ENKUlT_T0_E_clISt17integral_constantIbLb0EES1F_EEDaS1A_S1B_EUlS1A_E_NS1_11comp_targetILNS1_3genE5ELNS1_11target_archE942ELNS1_3gpuE9ELNS1_3repE0EEENS1_30default_config_static_selectorELNS0_4arch9wavefront6targetE1EEEvT1_: ; @_ZN7rocprim17ROCPRIM_400000_NS6detail17trampoline_kernelINS0_14default_configENS1_25partition_config_selectorILNS1_17partition_subalgoE2ExNS0_10empty_typeEbEEZZNS1_14partition_implILS5_2ELb0ES3_jN6thrust23THRUST_200600_302600_NS6detail15normal_iteratorINSA_7pointerIxNSA_11hip_rocprim3tagENSA_11use_defaultESG_EEEEPS6_NSA_18transform_iteratorINSA_8identityIxEENSC_INSA_10device_ptrIxEEEESG_SG_EENS0_5tupleIJPxSJ_EEENSR_IJSJ_SJ_EEES6_PlJS6_EEE10hipError_tPvRmT3_T4_T5_T6_T7_T9_mT8_P12ihipStream_tbDpT10_ENKUlT_T0_E_clISt17integral_constantIbLb0EES1F_EEDaS1A_S1B_EUlS1A_E_NS1_11comp_targetILNS1_3genE5ELNS1_11target_archE942ELNS1_3gpuE9ELNS1_3repE0EEENS1_30default_config_static_selectorELNS0_4arch9wavefront6targetE1EEEvT1_
; %bb.0:
	s_load_dwordx4 s[24:27], s[0:1], 0x8
	s_load_dwordx2 s[6:7], s[0:1], 0x20
	s_load_dwordx2 s[28:29], s[0:1], 0x60
	s_load_dwordx4 s[20:23], s[0:1], 0x50
	s_load_dword s3, s[0:1], 0x78
	s_waitcnt lgkmcnt(0)
	s_lshl_b64 s[8:9], s[26:27], 3
	s_add_u32 s12, s24, s8
	s_addc_u32 s13, s25, s9
	s_load_dwordx2 s[30:31], s[22:23], 0x0
	s_add_i32 s10, s3, -1
	s_mulk_i32 s3, 0xe00
	s_add_i32 s4, s3, s26
	s_sub_i32 s33, s28, s4
	s_addk_i32 s33, 0xe00
	s_add_u32 s4, s26, s3
	s_addc_u32 s5, s27, 0
	s_cmp_eq_u32 s2, s10
	v_mov_b64_e32 v[2:3], s[28:29]
	s_cselect_b64 s[22:23], -1, 0
	s_cmp_lg_u32 s2, s10
	s_mul_i32 s24, s2, 0xe00
	s_mov_b32 s25, 0
	v_cmp_lt_u64_e32 vcc, s[4:5], v[2:3]
	s_cselect_b64 s[4:5], -1, 0
	s_or_b64 s[34:35], s[4:5], vcc
	s_lshl_b64 s[10:11], s[24:25], 3
	s_add_u32 s12, s12, s10
	s_addc_u32 s13, s13, s11
	s_mov_b64 s[4:5], -1
	s_and_b64 vcc, exec, s[34:35]
	v_lshlrev_b32_e32 v18, 3, v0
	s_cbranch_vccz .LBB482_2
; %bb.1:
	v_mov_b32_e32 v19, 0
	v_lshl_add_u64 v[2:3], s[12:13], 0, v[18:19]
	v_add_co_u32_e32 v4, vcc, 0x1000, v2
	s_mov_b64 s[4:5], 0
	s_nop 0
	v_addc_co_u32_e32 v5, vcc, 0, v3, vcc
	v_add_co_u32_e32 v6, vcc, 0x2000, v2
	s_nop 1
	v_addc_co_u32_e32 v7, vcc, 0, v3, vcc
	v_add_co_u32_e32 v8, vcc, 0x3000, v2
	s_nop 1
	v_addc_co_u32_e32 v9, vcc, 0, v3, vcc
	flat_load_dwordx2 v[10:11], v[2:3]
	flat_load_dwordx2 v[12:13], v[4:5]
	;; [unrolled: 1-line block ×4, first 2 shown]
	v_add_co_u32_e32 v4, vcc, 0x4000, v2
	s_nop 1
	v_addc_co_u32_e32 v5, vcc, 0, v3, vcc
	v_add_co_u32_e32 v6, vcc, 0x5000, v2
	s_nop 1
	v_addc_co_u32_e32 v7, vcc, 0, v3, vcc
	;; [unrolled: 3-line block ×3, first 2 shown]
	flat_load_dwordx2 v[8:9], v[4:5]
	flat_load_dwordx2 v[20:21], v[6:7]
	;; [unrolled: 1-line block ×3, first 2 shown]
	s_waitcnt vmcnt(0) lgkmcnt(0)
	ds_write2st64_b64 v18, v[10:11], v[12:13] offset1:8
	ds_write2st64_b64 v18, v[14:15], v[16:17] offset0:16 offset1:24
	ds_write2st64_b64 v18, v[8:9], v[20:21] offset0:32 offset1:40
	ds_write_b64 v18, v[22:23] offset:24576
	s_waitcnt lgkmcnt(0)
	s_barrier
.LBB482_2:
	s_andn2_b64 vcc, exec, s[4:5]
	v_cmp_gt_u32_e64 s[4:5], s33, v0
	s_cbranch_vccnz .LBB482_18
; %bb.3:
                                        ; implicit-def: $vgpr2_vgpr3_vgpr4_vgpr5_vgpr6_vgpr7_vgpr8_vgpr9_vgpr10_vgpr11_vgpr12_vgpr13_vgpr14_vgpr15_vgpr16_vgpr17
	s_and_saveexec_b64 s[14:15], s[4:5]
	s_cbranch_execz .LBB482_5
; %bb.4:
	v_mov_b32_e32 v19, 0
	v_lshl_add_u64 v[2:3], s[12:13], 0, v[18:19]
	flat_load_dwordx2 v[2:3], v[2:3]
.LBB482_5:
	s_or_b64 exec, exec, s[14:15]
	v_or_b32_e32 v1, 0x200, v0
	v_cmp_gt_u32_e32 vcc, s33, v1
	s_and_saveexec_b64 s[4:5], vcc
	s_cbranch_execz .LBB482_7
; %bb.6:
	v_lshlrev_b32_e32 v4, 3, v1
	v_mov_b32_e32 v5, 0
	v_lshl_add_u64 v[4:5], s[12:13], 0, v[4:5]
	flat_load_dwordx2 v[4:5], v[4:5]
.LBB482_7:
	s_or_b64 exec, exec, s[4:5]
	v_or_b32_e32 v1, 0x400, v0
	v_cmp_gt_u32_e32 vcc, s33, v1
	s_and_saveexec_b64 s[4:5], vcc
	s_cbranch_execz .LBB482_9
; %bb.8:
	v_lshlrev_b32_e32 v6, 3, v1
	v_mov_b32_e32 v7, 0
	v_lshl_add_u64 v[6:7], s[12:13], 0, v[6:7]
	flat_load_dwordx2 v[6:7], v[6:7]
.LBB482_9:
	;; [unrolled: 11-line block ×6, first 2 shown]
	s_or_b64 exec, exec, s[4:5]
	s_waitcnt vmcnt(0) lgkmcnt(0)
	ds_write2st64_b64 v18, v[2:3], v[4:5] offset1:8
	ds_write2st64_b64 v18, v[6:7], v[8:9] offset0:16 offset1:24
	ds_write2st64_b64 v18, v[10:11], v[12:13] offset0:32 offset1:40
	ds_write_b64 v18, v[14:15] offset:24576
	s_waitcnt lgkmcnt(0)
	s_barrier
.LBB482_18:
	v_mul_u32_u24_e32 v1, 7, v0
	v_lshlrev_b32_e32 v16, 3, v1
	s_waitcnt lgkmcnt(0)
	ds_read2_b64 v[10:13], v16 offset1:1
	ds_read2_b64 v[6:9], v16 offset0:2 offset1:3
	ds_read2_b64 v[2:5], v16 offset0:4 offset1:5
	ds_read_b64 v[14:15], v16 offset:48
	s_add_u32 s3, s6, s8
	s_addc_u32 s5, s7, s9
	s_add_u32 s4, s3, s10
	s_addc_u32 s5, s5, s11
	s_mov_b64 s[6:7], -1
	s_and_b64 vcc, exec, s[34:35]
	s_waitcnt lgkmcnt(0)
	s_barrier
	s_cbranch_vccz .LBB482_20
; %bb.19:
	v_mov_b32_e32 v19, 0
	v_lshl_add_u64 v[20:21], s[4:5], 0, v[18:19]
	v_add_co_u32_e32 v24, vcc, 0x1000, v20
	global_load_dwordx2 v[22:23], v18, s[4:5]
	s_nop 0
	v_addc_co_u32_e32 v25, vcc, 0, v21, vcc
	v_add_co_u32_e32 v26, vcc, 0x2000, v20
	s_mov_b64 s[6:7], 0
	s_nop 0
	v_addc_co_u32_e32 v27, vcc, 0, v21, vcc
	v_add_co_u32_e32 v28, vcc, 0x3000, v20
	s_nop 1
	v_addc_co_u32_e32 v29, vcc, 0, v21, vcc
	v_add_co_u32_e32 v30, vcc, 0x4000, v20
	s_nop 1
	v_addc_co_u32_e32 v31, vcc, 0, v21, vcc
	global_load_dwordx2 v[32:33], v[24:25], off
	global_load_dwordx2 v[34:35], v[26:27], off
	;; [unrolled: 1-line block ×4, first 2 shown]
	v_add_co_u32_e32 v24, vcc, 0x5000, v20
	s_nop 1
	v_addc_co_u32_e32 v25, vcc, 0, v21, vcc
	v_add_co_u32_e32 v20, vcc, 0x6000, v20
	global_load_dwordx2 v[24:25], v[24:25], off
	s_nop 0
	v_addc_co_u32_e32 v21, vcc, 0, v21, vcc
	global_load_dwordx2 v[20:21], v[20:21], off
	s_waitcnt vmcnt(6)
	v_cmp_ne_u64_e32 vcc, 0, v[22:23]
	s_nop 1
	v_cndmask_b32_e64 v17, 0, 1, vcc
	ds_write_b8 v0, v17
	s_waitcnt vmcnt(5)
	v_cmp_ne_u64_e32 vcc, 0, v[32:33]
	s_nop 1
	v_cndmask_b32_e64 v17, 0, 1, vcc
	s_waitcnt vmcnt(4)
	v_cmp_ne_u64_e32 vcc, 0, v[34:35]
	ds_write_b8 v0, v17 offset:512
	s_nop 0
	v_cndmask_b32_e64 v19, 0, 1, vcc
	s_waitcnt vmcnt(3)
	v_cmp_ne_u64_e32 vcc, 0, v[36:37]
	ds_write_b8 v0, v19 offset:1024
	;; [unrolled: 5-line block ×4, first 2 shown]
	s_nop 0
	v_cndmask_b32_e64 v17, 0, 1, vcc
	s_waitcnt vmcnt(0)
	v_cmp_ne_u64_e32 vcc, 0, v[20:21]
	s_nop 1
	v_cndmask_b32_e64 v19, 0, 1, vcc
	ds_write_b8 v0, v17 offset:2560
	ds_write_b8 v0, v19 offset:3072
	s_waitcnt lgkmcnt(0)
	s_barrier
.LBB482_20:
	s_load_dwordx2 s[36:37], s[0:1], 0x70
	s_andn2_b64 vcc, exec, s[6:7]
	s_cbranch_vccnz .LBB482_36
; %bb.21:
	v_cmp_gt_u32_e32 vcc, s33, v0
	v_mov_b32_e32 v17, 0
	v_mov_b32_e32 v19, 0
	s_and_saveexec_b64 s[6:7], vcc
	s_cbranch_execz .LBB482_23
; %bb.22:
	global_load_dwordx2 v[20:21], v18, s[4:5]
	s_waitcnt vmcnt(0)
	v_cmp_ne_u64_e32 vcc, 0, v[20:21]
	s_nop 1
	v_cndmask_b32_e64 v19, 0, 1, vcc
.LBB482_23:
	s_or_b64 exec, exec, s[6:7]
	v_or_b32_e32 v20, 0x200, v0
	v_cmp_gt_u32_e32 vcc, s33, v20
	s_and_saveexec_b64 s[6:7], vcc
	s_cbranch_execz .LBB482_25
; %bb.24:
	v_lshlrev_b32_e32 v17, 3, v20
	global_load_dwordx2 v[20:21], v17, s[4:5]
	s_waitcnt vmcnt(0)
	v_cmp_ne_u64_e32 vcc, 0, v[20:21]
	s_nop 1
	v_cndmask_b32_e64 v17, 0, 1, vcc
.LBB482_25:
	s_or_b64 exec, exec, s[6:7]
	v_or_b32_e32 v22, 0x400, v0
	v_cmp_gt_u32_e32 vcc, s33, v22
	v_mov_b32_e32 v20, 0
	v_mov_b32_e32 v21, 0
	s_and_saveexec_b64 s[6:7], vcc
	s_cbranch_execz .LBB482_27
; %bb.26:
	v_lshlrev_b32_e32 v21, 3, v22
	global_load_dwordx2 v[22:23], v21, s[4:5]
	s_waitcnt vmcnt(0)
	v_cmp_ne_u64_e32 vcc, 0, v[22:23]
	s_nop 1
	v_cndmask_b32_e64 v21, 0, 1, vcc
.LBB482_27:
	s_or_b64 exec, exec, s[6:7]
	v_or_b32_e32 v22, 0x600, v0
	v_cmp_gt_u32_e32 vcc, s33, v22
	s_and_saveexec_b64 s[6:7], vcc
	s_cbranch_execz .LBB482_29
; %bb.28:
	v_lshlrev_b32_e32 v20, 3, v22
	global_load_dwordx2 v[22:23], v20, s[4:5]
	s_waitcnt vmcnt(0)
	v_cmp_ne_u64_e32 vcc, 0, v[22:23]
	s_nop 1
	v_cndmask_b32_e64 v20, 0, 1, vcc
.LBB482_29:
	s_or_b64 exec, exec, s[6:7]
	v_or_b32_e32 v24, 0x800, v0
	v_cmp_gt_u32_e32 vcc, s33, v24
	v_mov_b32_e32 v22, 0
	v_mov_b32_e32 v23, 0
	s_and_saveexec_b64 s[6:7], vcc
	s_cbranch_execz .LBB482_31
; %bb.30:
	v_lshlrev_b32_e32 v23, 3, v24
	global_load_dwordx2 v[24:25], v23, s[4:5]
	s_waitcnt vmcnt(0)
	v_cmp_ne_u64_e32 vcc, 0, v[24:25]
	s_nop 1
	v_cndmask_b32_e64 v23, 0, 1, vcc
.LBB482_31:
	s_or_b64 exec, exec, s[6:7]
	v_or_b32_e32 v24, 0xa00, v0
	v_cmp_gt_u32_e32 vcc, s33, v24
	s_and_saveexec_b64 s[6:7], vcc
	s_cbranch_execz .LBB482_33
; %bb.32:
	v_lshlrev_b32_e32 v22, 3, v24
	global_load_dwordx2 v[24:25], v22, s[4:5]
	s_waitcnt vmcnt(0)
	v_cmp_ne_u64_e32 vcc, 0, v[24:25]
	s_nop 1
	v_cndmask_b32_e64 v22, 0, 1, vcc
.LBB482_33:
	s_or_b64 exec, exec, s[6:7]
	v_or_b32_e32 v25, 0xc00, v0
	v_cmp_gt_u32_e32 vcc, s33, v25
	v_mov_b32_e32 v24, 0
	s_and_saveexec_b64 s[6:7], vcc
	s_cbranch_execz .LBB482_35
; %bb.34:
	v_lshlrev_b32_e32 v24, 3, v25
	global_load_dwordx2 v[24:25], v24, s[4:5]
	s_waitcnt vmcnt(0)
	v_cmp_ne_u64_e32 vcc, 0, v[24:25]
	s_nop 1
	v_cndmask_b32_e64 v24, 0, 1, vcc
.LBB482_35:
	s_or_b64 exec, exec, s[6:7]
	ds_write_b8 v0, v19
	ds_write_b8 v0, v17 offset:512
	ds_write_b8 v0, v21 offset:1024
	;; [unrolled: 1-line block ×6, first 2 shown]
	s_waitcnt lgkmcnt(0)
	s_barrier
.LBB482_36:
	s_movk_i32 s3, 0xffcf
	v_mad_i32_i24 v35, v0, s3, v16
	s_waitcnt lgkmcnt(0)
	ds_read_u8 v16, v35
	ds_read_u8 v17, v35 offset:1
	ds_read_u8 v19, v35 offset:2
	;; [unrolled: 1-line block ×6, first 2 shown]
	s_waitcnt lgkmcnt(6)
	v_and_b32_e32 v33, 1, v16
	s_waitcnt lgkmcnt(5)
	v_and_b32_e32 v32, 1, v17
	;; [unrolled: 2-line block ×5, first 2 shown]
	v_add3_u32 v16, v32, v33, v31
	s_waitcnt lgkmcnt(1)
	v_and_b32_e32 v28, 1, v22
	s_waitcnt lgkmcnt(0)
	v_and_b32_e32 v19, 1, v23
	v_add3_u32 v16, v16, v30, v29
	v_add3_u32 v37, v16, v28, v19
	v_mbcnt_lo_u32_b32 v16, -1, 0
	v_mbcnt_hi_u32_b32 v34, -1, v16
	v_and_b32_e32 v16, 15, v34
	v_cmp_eq_u32_e64 s[14:15], 0, v16
	v_cmp_lt_u32_e64 s[12:13], 1, v16
	v_cmp_lt_u32_e64 s[10:11], 3, v16
	;; [unrolled: 1-line block ×3, first 2 shown]
	v_and_b32_e32 v16, 16, v34
	v_cmp_eq_u32_e64 s[6:7], 0, v16
	v_or_b32_e32 v16, 63, v0
	s_cmp_lg_u32 s2, 0
	v_cmp_lt_u32_e64 s[18:19], 31, v34
	v_lshrrev_b32_e32 v36, 6, v0
	v_cmp_eq_u32_e64 s[4:5], v16, v0
	s_barrier
	s_cbranch_scc0 .LBB482_63
; %bb.37:
	v_mov_b32_dpp v16, v37 row_shr:1 row_mask:0xf bank_mask:0xf
	v_cndmask_b32_e64 v16, v16, 0, s[14:15]
	v_add_u32_e32 v16, v16, v37
	s_nop 1
	v_mov_b32_dpp v17, v16 row_shr:2 row_mask:0xf bank_mask:0xf
	v_cndmask_b32_e64 v17, 0, v17, s[12:13]
	v_add_u32_e32 v16, v16, v17
	s_nop 1
	;; [unrolled: 4-line block ×4, first 2 shown]
	v_mov_b32_dpp v17, v16 row_bcast:15 row_mask:0xf bank_mask:0xf
	v_cndmask_b32_e64 v17, v17, 0, s[6:7]
	v_add_u32_e32 v16, v16, v17
	s_nop 1
	v_mov_b32_dpp v17, v16 row_bcast:31 row_mask:0xf bank_mask:0xf
	v_cndmask_b32_e64 v17, 0, v17, s[18:19]
	v_add_u32_e32 v16, v16, v17
	s_and_saveexec_b64 s[16:17], s[4:5]
	s_cbranch_execz .LBB482_39
; %bb.38:
	v_lshlrev_b32_e32 v17, 2, v36
	ds_write_b32 v17, v16
.LBB482_39:
	s_or_b64 exec, exec, s[16:17]
	v_cmp_gt_u32_e32 vcc, 8, v0
	s_waitcnt lgkmcnt(0)
	s_barrier
	s_and_saveexec_b64 s[16:17], vcc
	s_cbranch_execz .LBB482_41
; %bb.40:
	v_lshlrev_b32_e32 v17, 2, v0
	ds_read_b32 v20, v17
	v_and_b32_e32 v21, 7, v34
	v_cmp_ne_u32_e32 vcc, 0, v21
	s_waitcnt lgkmcnt(0)
	v_mov_b32_dpp v22, v20 row_shr:1 row_mask:0xf bank_mask:0xf
	v_cndmask_b32_e32 v22, 0, v22, vcc
	v_add_u32_e32 v20, v22, v20
	v_cmp_lt_u32_e32 vcc, 1, v21
	s_nop 0
	v_mov_b32_dpp v22, v20 row_shr:2 row_mask:0xf bank_mask:0xf
	v_cndmask_b32_e32 v22, 0, v22, vcc
	v_add_u32_e32 v20, v20, v22
	v_cmp_lt_u32_e32 vcc, 3, v21
	s_nop 0
	v_mov_b32_dpp v22, v20 row_shr:4 row_mask:0xf bank_mask:0xf
	v_cndmask_b32_e32 v21, 0, v22, vcc
	v_add_u32_e32 v20, v20, v21
	ds_write_b32 v17, v20
.LBB482_41:
	s_or_b64 exec, exec, s[16:17]
	v_cmp_gt_u32_e32 vcc, 64, v0
	v_cmp_lt_u32_e64 s[16:17], 63, v0
	s_waitcnt lgkmcnt(0)
	s_barrier
	s_waitcnt lgkmcnt(0)
                                        ; implicit-def: $vgpr38
	s_and_saveexec_b64 s[38:39], s[16:17]
	s_cbranch_execz .LBB482_43
; %bb.42:
	v_lshl_add_u32 v17, v36, 2, -4
	ds_read_b32 v38, v17
	s_waitcnt lgkmcnt(0)
	v_add_u32_e32 v16, v38, v16
.LBB482_43:
	s_or_b64 exec, exec, s[38:39]
	v_add_u32_e32 v17, -1, v34
	v_and_b32_e32 v20, 64, v34
	v_cmp_lt_i32_e64 s[16:17], v17, v20
	s_nop 1
	v_cndmask_b32_e64 v17, v17, v34, s[16:17]
	v_lshlrev_b32_e32 v17, 2, v17
	ds_bpermute_b32 v39, v17, v16
	v_cmp_eq_u32_e64 s[16:17], 0, v34
	s_and_saveexec_b64 s[38:39], vcc
	s_cbranch_execz .LBB482_62
; %bb.44:
	v_mov_b32_e32 v25, 0
	ds_read_b32 v16, v25 offset:28
	s_and_saveexec_b64 s[40:41], s[16:17]
	s_cbranch_execz .LBB482_46
; %bb.45:
	s_add_i32 s42, s2, 64
	s_mov_b32 s43, 0
	s_lshl_b64 s[42:43], s[42:43], 3
	s_add_u32 s42, s36, s42
	v_mov_b32_e32 v17, 1
	s_addc_u32 s43, s37, s43
	s_waitcnt lgkmcnt(0)
	global_store_dwordx2 v25, v[16:17], s[42:43] sc1
.LBB482_46:
	s_or_b64 exec, exec, s[40:41]
	v_xad_u32 v20, v34, -1, s2
	v_add_u32_e32 v24, 64, v20
	v_lshl_add_u64 v[26:27], v[24:25], 3, s[36:37]
	global_load_dwordx2 v[22:23], v[26:27], off sc1
	s_waitcnt vmcnt(0)
	v_cmp_eq_u16_sdwa s[42:43], v23, v25 src0_sel:BYTE_0 src1_sel:DWORD
	s_and_saveexec_b64 s[40:41], s[42:43]
	s_cbranch_execz .LBB482_50
; %bb.47:
	s_mov_b64 s[42:43], 0
	v_mov_b32_e32 v17, 0
.LBB482_48:                             ; =>This Inner Loop Header: Depth=1
	global_load_dwordx2 v[22:23], v[26:27], off sc1
	s_waitcnt vmcnt(0)
	v_cmp_ne_u16_sdwa s[44:45], v23, v17 src0_sel:BYTE_0 src1_sel:DWORD
	s_or_b64 s[42:43], s[44:45], s[42:43]
	s_andn2_b64 exec, exec, s[42:43]
	s_cbranch_execnz .LBB482_48
; %bb.49:
	s_or_b64 exec, exec, s[42:43]
.LBB482_50:
	s_or_b64 exec, exec, s[40:41]
	v_and_b32_e32 v41, 63, v34
	v_mov_b32_e32 v40, 2
	v_cmp_ne_u32_e32 vcc, 63, v41
	v_cmp_eq_u16_sdwa s[40:41], v23, v40 src0_sel:BYTE_0 src1_sel:DWORD
	v_lshlrev_b64 v[24:25], v34, -1
	v_addc_co_u32_e32 v26, vcc, 0, v34, vcc
	v_and_b32_e32 v17, s41, v25
	v_lshlrev_b32_e32 v42, 2, v26
	v_or_b32_e32 v17, 0x80000000, v17
	ds_bpermute_b32 v26, v42, v22
	v_and_b32_e32 v21, s40, v24
	v_ffbl_b32_e32 v17, v17
	v_add_u32_e32 v17, 32, v17
	v_ffbl_b32_e32 v21, v21
	v_min_u32_e32 v17, v21, v17
	v_cmp_lt_u32_e32 vcc, v41, v17
	v_add_u32_e32 v44, 2, v41
	v_add_u32_e32 v46, 4, v41
	s_waitcnt lgkmcnt(0)
	v_cndmask_b32_e32 v21, 0, v26, vcc
	v_cmp_gt_u32_e32 vcc, 62, v41
	v_add_u32_e32 v21, v21, v22
	v_add_u32_e32 v48, 8, v41
	v_cndmask_b32_e64 v22, 0, 1, vcc
	v_lshlrev_b32_e32 v22, 1, v22
	v_add_lshl_u32 v43, v22, v34, 2
	ds_bpermute_b32 v22, v43, v21
	v_cmp_le_u32_e32 vcc, v44, v17
	v_add_u32_e32 v50, 16, v41
	v_add_u32_e32 v52, 32, v41
	s_waitcnt lgkmcnt(0)
	v_cndmask_b32_e32 v22, 0, v22, vcc
	v_cmp_gt_u32_e32 vcc, 60, v41
	v_add_u32_e32 v21, v21, v22
	s_nop 0
	v_cndmask_b32_e64 v22, 0, 1, vcc
	v_lshlrev_b32_e32 v22, 2, v22
	v_add_lshl_u32 v45, v22, v34, 2
	ds_bpermute_b32 v22, v45, v21
	v_cmp_le_u32_e32 vcc, v46, v17
	s_waitcnt lgkmcnt(0)
	s_nop 0
	v_cndmask_b32_e32 v22, 0, v22, vcc
	v_cmp_gt_u32_e32 vcc, 56, v41
	v_add_u32_e32 v21, v21, v22
	s_nop 0
	v_cndmask_b32_e64 v22, 0, 1, vcc
	v_lshlrev_b32_e32 v22, 3, v22
	v_add_lshl_u32 v47, v22, v34, 2
	ds_bpermute_b32 v22, v47, v21
	v_cmp_le_u32_e32 vcc, v48, v17
	s_waitcnt lgkmcnt(0)
	s_nop 0
	;; [unrolled: 11-line block ×4, first 2 shown]
	v_cndmask_b32_e32 v17, 0, v22, vcc
	v_add_u32_e32 v22, v21, v17
	v_mov_b32_e32 v21, 0
	s_branch .LBB482_52
.LBB482_51:                             ;   in Loop: Header=BB482_52 Depth=1
	s_or_b64 exec, exec, s[40:41]
	v_cmp_eq_u16_sdwa s[40:41], v23, v40 src0_sel:BYTE_0 src1_sel:DWORD
	ds_bpermute_b32 v53, v42, v22
	v_subrev_u32_e32 v20, 64, v20
	v_and_b32_e32 v26, s41, v25
	v_or_b32_e32 v26, 0x80000000, v26
	v_and_b32_e32 v27, s40, v24
	v_ffbl_b32_e32 v26, v26
	v_add_u32_e32 v26, 32, v26
	v_ffbl_b32_e32 v27, v27
	v_min_u32_e32 v26, v27, v26
	v_cmp_lt_u32_e32 vcc, v41, v26
	s_waitcnt lgkmcnt(0)
	s_nop 0
	v_cndmask_b32_e32 v27, 0, v53, vcc
	v_add_u32_e32 v22, v27, v22
	ds_bpermute_b32 v27, v43, v22
	v_cmp_le_u32_e32 vcc, v44, v26
	s_waitcnt lgkmcnt(0)
	s_nop 0
	v_cndmask_b32_e32 v27, 0, v27, vcc
	v_add_u32_e32 v22, v22, v27
	ds_bpermute_b32 v27, v45, v22
	v_cmp_le_u32_e32 vcc, v46, v26
	;; [unrolled: 6-line block ×5, first 2 shown]
	s_waitcnt lgkmcnt(0)
	s_nop 0
	v_cndmask_b32_e32 v26, 0, v27, vcc
	v_add3_u32 v22, v26, v17, v22
.LBB482_52:                             ; =>This Loop Header: Depth=1
                                        ;     Child Loop BB482_55 Depth 2
	v_cmp_ne_u16_sdwa s[40:41], v23, v40 src0_sel:BYTE_0 src1_sel:DWORD
	s_nop 1
	v_cndmask_b32_e64 v17, 0, 1, s[40:41]
	;;#ASMSTART
	;;#ASMEND
	s_nop 0
	v_cmp_ne_u32_e32 vcc, 0, v17
	s_cmp_lg_u64 vcc, exec
	v_mov_b32_e32 v17, v22
	s_cbranch_scc1 .LBB482_57
; %bb.53:                               ;   in Loop: Header=BB482_52 Depth=1
	v_lshl_add_u64 v[26:27], v[20:21], 3, s[36:37]
	global_load_dwordx2 v[22:23], v[26:27], off sc1
	s_waitcnt vmcnt(0)
	v_cmp_eq_u16_sdwa s[42:43], v23, v21 src0_sel:BYTE_0 src1_sel:DWORD
	s_and_saveexec_b64 s[40:41], s[42:43]
	s_cbranch_execz .LBB482_51
; %bb.54:                               ;   in Loop: Header=BB482_52 Depth=1
	s_mov_b64 s[42:43], 0
.LBB482_55:                             ;   Parent Loop BB482_52 Depth=1
                                        ; =>  This Inner Loop Header: Depth=2
	global_load_dwordx2 v[22:23], v[26:27], off sc1
	s_waitcnt vmcnt(0)
	v_cmp_ne_u16_sdwa s[44:45], v23, v21 src0_sel:BYTE_0 src1_sel:DWORD
	s_or_b64 s[42:43], s[44:45], s[42:43]
	s_andn2_b64 exec, exec, s[42:43]
	s_cbranch_execnz .LBB482_55
; %bb.56:                               ;   in Loop: Header=BB482_52 Depth=1
	s_or_b64 exec, exec, s[42:43]
	s_branch .LBB482_51
.LBB482_57:                             ;   in Loop: Header=BB482_52 Depth=1
                                        ; implicit-def: $vgpr22
                                        ; implicit-def: $vgpr23
	s_cbranch_execz .LBB482_52
; %bb.58:
	s_and_saveexec_b64 s[40:41], s[16:17]
	s_cbranch_execz .LBB482_60
; %bb.59:
	s_add_i32 s2, s2, 64
	s_mov_b32 s3, 0
	s_lshl_b64 s[2:3], s[2:3], 3
	s_add_u32 s2, s36, s2
	v_add_u32_e32 v20, v17, v16
	v_mov_b32_e32 v21, 2
	s_addc_u32 s3, s37, s3
	v_mov_b32_e32 v22, 0
	global_store_dwordx2 v22, v[20:21], s[2:3] sc1
	ds_write_b64 v22, v[16:17] offset:28672
.LBB482_60:
	s_or_b64 exec, exec, s[40:41]
	v_cmp_eq_u32_e32 vcc, 0, v0
	s_and_b64 exec, exec, vcc
	s_cbranch_execz .LBB482_62
; %bb.61:
	v_mov_b32_e32 v16, 0
	ds_write_b32 v16, v17 offset:28
.LBB482_62:
	s_or_b64 exec, exec, s[38:39]
	v_mov_b32_e32 v16, 0
	s_waitcnt lgkmcnt(0)
	s_barrier
	ds_read_b32 v17, v16 offset:28
	v_cndmask_b32_e64 v20, v39, v38, s[16:17]
	v_cmp_ne_u32_e32 vcc, 0, v0
	s_waitcnt lgkmcnt(0)
	s_barrier
	v_cndmask_b32_e32 v20, 0, v20, vcc
	v_add_u32_e32 v27, v17, v20
	v_add_u32_e32 v26, v27, v33
	ds_read_b64 v[16:17], v16 offset:28672
	v_add_u32_e32 v25, v26, v32
	v_add_u32_e32 v23, v25, v31
	;; [unrolled: 1-line block ×5, first 2 shown]
	s_waitcnt lgkmcnt(0)
	v_mov_b32_e32 v22, v17
	s_load_dwordx2 s[2:3], s[0:1], 0x30
	s_branch .LBB482_73
.LBB482_63:
                                        ; implicit-def: $vgpr22
                                        ; implicit-def: $vgpr16
                                        ; implicit-def: $vgpr20
                                        ; implicit-def: $vgpr21
                                        ; implicit-def: $vgpr24
                                        ; implicit-def: $vgpr23
                                        ; implicit-def: $vgpr25
                                        ; implicit-def: $vgpr26
                                        ; implicit-def: $vgpr27
	s_load_dwordx2 s[2:3], s[0:1], 0x30
	s_cbranch_execz .LBB482_73
; %bb.64:
	v_mov_b32_dpp v16, v37 row_shr:1 row_mask:0xf bank_mask:0xf
	v_cndmask_b32_e64 v16, v16, 0, s[14:15]
	v_add_u32_e32 v16, v16, v37
	s_nop 1
	v_mov_b32_dpp v17, v16 row_shr:2 row_mask:0xf bank_mask:0xf
	v_cndmask_b32_e64 v17, 0, v17, s[12:13]
	v_add_u32_e32 v16, v16, v17
	s_nop 1
	;; [unrolled: 4-line block ×4, first 2 shown]
	v_mov_b32_dpp v17, v16 row_bcast:15 row_mask:0xf bank_mask:0xf
	v_cndmask_b32_e64 v17, v17, 0, s[6:7]
	v_add_u32_e32 v16, v16, v17
	s_nop 1
	v_mov_b32_dpp v17, v16 row_bcast:31 row_mask:0xf bank_mask:0xf
	v_cndmask_b32_e64 v17, 0, v17, s[18:19]
	v_add_u32_e32 v16, v16, v17
	s_and_saveexec_b64 s[0:1], s[4:5]
	s_cbranch_execz .LBB482_66
; %bb.65:
	v_lshlrev_b32_e32 v17, 2, v36
	ds_write_b32 v17, v16
.LBB482_66:
	s_or_b64 exec, exec, s[0:1]
	v_cmp_gt_u32_e32 vcc, 8, v0
	s_waitcnt lgkmcnt(0)
	s_barrier
	s_and_saveexec_b64 s[0:1], vcc
	s_cbranch_execz .LBB482_68
; %bb.67:
	v_mad_i32_i24 v17, v0, -3, v35
	ds_read_b32 v20, v17
	v_and_b32_e32 v21, 7, v34
	v_cmp_ne_u32_e32 vcc, 0, v21
	s_waitcnt lgkmcnt(0)
	v_mov_b32_dpp v22, v20 row_shr:1 row_mask:0xf bank_mask:0xf
	v_cndmask_b32_e32 v22, 0, v22, vcc
	v_add_u32_e32 v20, v22, v20
	v_cmp_lt_u32_e32 vcc, 1, v21
	s_nop 0
	v_mov_b32_dpp v22, v20 row_shr:2 row_mask:0xf bank_mask:0xf
	v_cndmask_b32_e32 v22, 0, v22, vcc
	v_add_u32_e32 v20, v20, v22
	v_cmp_lt_u32_e32 vcc, 3, v21
	s_nop 0
	v_mov_b32_dpp v22, v20 row_shr:4 row_mask:0xf bank_mask:0xf
	v_cndmask_b32_e32 v21, 0, v22, vcc
	v_add_u32_e32 v20, v20, v21
	ds_write_b32 v17, v20
.LBB482_68:
	s_or_b64 exec, exec, s[0:1]
	v_cmp_lt_u32_e32 vcc, 63, v0
	v_mov_b32_e32 v17, 0
	v_mov_b32_e32 v20, 0
	s_waitcnt lgkmcnt(0)
	s_barrier
	s_and_saveexec_b64 s[0:1], vcc
	s_cbranch_execz .LBB482_70
; %bb.69:
	v_lshl_add_u32 v20, v36, 2, -4
	ds_read_b32 v20, v20
.LBB482_70:
	s_or_b64 exec, exec, s[0:1]
	v_add_u32_e32 v21, -1, v34
	v_and_b32_e32 v22, 64, v34
	v_cmp_lt_i32_e32 vcc, v21, v22
	s_waitcnt lgkmcnt(0)
	v_add_u32_e32 v16, v20, v16
	v_cndmask_b32_e32 v21, v21, v34, vcc
	v_lshlrev_b32_e32 v21, 2, v21
	ds_bpermute_b32 v21, v21, v16
	ds_read_b32 v16, v17 offset:28
	v_cmp_eq_u32_e32 vcc, 0, v0
	s_and_saveexec_b64 s[0:1], vcc
	s_cbranch_execz .LBB482_72
; %bb.71:
	v_mov_b32_e32 v22, 0
	v_mov_b32_e32 v17, 2
	s_waitcnt lgkmcnt(0)
	global_store_dwordx2 v22, v[16:17], s[36:37] offset:512 sc1
.LBB482_72:
	s_or_b64 exec, exec, s[0:1]
	v_cmp_eq_u32_e64 s[0:1], 0, v34
	v_mov_b32_e32 v22, 0
	s_waitcnt lgkmcnt(0)
	v_cndmask_b32_e64 v17, v21, v20, s[0:1]
	v_cndmask_b32_e64 v27, v17, 0, vcc
	v_add_u32_e32 v26, v27, v33
	v_add_u32_e32 v25, v26, v32
	v_add_u32_e32 v23, v25, v31
	v_add_u32_e32 v24, v23, v30
	v_add_u32_e32 v21, v24, v29
	v_add_u32_e32 v20, v21, v28
	s_barrier
.LBB482_73:
	v_add_u32_e32 v1, v16, v1
	v_sub_u32_e32 v17, v27, v22
	v_sub_u32_e32 v27, v1, v17
	v_cmp_eq_u32_e32 vcc, 1, v33
	s_add_u32 s0, s26, s24
	s_addc_u32 s1, s27, 0
	v_cndmask_b32_e32 v17, v27, v17, vcc
	v_lshlrev_b32_e32 v17, 3, v17
	ds_write_b64 v17, v[10:11]
	v_sub_u32_e32 v10, v26, v22
	v_sub_u32_e32 v11, v1, v10
	v_add_u32_e32 v11, 1, v11
	v_cmp_eq_u32_e32 vcc, 1, v32
	s_sub_u32 s0, s28, s0
	s_subb_u32 s1, s29, s1
	v_cndmask_b32_e32 v10, v11, v10, vcc
	v_lshlrev_b32_e32 v10, 3, v10
	ds_write_b64 v10, v[12:13]
	v_sub_u32_e32 v10, v25, v22
	v_sub_u32_e32 v11, v1, v10
	v_add_u32_e32 v11, 2, v11
	v_cmp_eq_u32_e32 vcc, 1, v31
	v_or_b32_e32 v32, 0x200, v0
	v_or_b32_e32 v26, 0x800, v0
	v_cndmask_b32_e32 v10, v11, v10, vcc
	v_lshlrev_b32_e32 v10, 3, v10
	ds_write_b64 v10, v[6:7]
	v_sub_u32_e32 v6, v23, v22
	v_sub_u32_e32 v7, v1, v6
	v_add_u32_e32 v7, 3, v7
	v_cmp_eq_u32_e32 vcc, 1, v30
	v_or_b32_e32 v30, 0x400, v0
	s_nop 0
	v_cndmask_b32_e32 v6, v7, v6, vcc
	v_lshlrev_b32_e32 v6, 3, v6
	ds_write_b64 v6, v[8:9]
	v_sub_u32_e32 v6, v24, v22
	v_sub_u32_e32 v7, v1, v6
	v_add_u32_e32 v7, 4, v7
	v_cmp_eq_u32_e32 vcc, 1, v29
	v_or_b32_e32 v24, 0xa00, v0
	s_nop 0
	;; [unrolled: 9-line block ×4, first 2 shown]
	v_cndmask_b32_e32 v1, v1, v2, vcc
	v_lshlrev_b32_e32 v1, 3, v1
	ds_write_b64 v1, v[14:15]
	s_waitcnt lgkmcnt(0)
	s_barrier
	ds_read2st64_b64 v[10:13], v18 offset1:8
	ds_read2st64_b64 v[6:9], v18 offset0:16 offset1:24
	ds_read2st64_b64 v[2:5], v18 offset0:32 offset1:40
	ds_read_b64 v[18:19], v18 offset:24576
	v_mov_b32_e32 v1, 0
	v_mov_b32_e32 v23, v1
	;; [unrolled: 1-line block ×3, first 2 shown]
	v_lshl_add_u64 v[14:15], s[30:31], 0, v[22:23]
	v_lshl_add_u64 v[22:23], s[0:1], 0, v[16:17]
	v_mov_b32_e32 v33, v1
	v_mov_b32_e32 v31, v1
	;; [unrolled: 1-line block ×6, first 2 shown]
	s_andn2_b64 vcc, exec, s[34:35]
	v_lshl_add_u64 v[22:23], v[22:23], 0, v[14:15]
	s_cbranch_vccnz .LBB482_103
; %bb.74:
	v_cmp_ge_u32_e32 vcc, v0, v16
                                        ; implicit-def: $vgpr34_vgpr35
	s_and_saveexec_b64 s[0:1], vcc
	s_xor_b64 s[0:1], exec, s[0:1]
; %bb.75:
	v_not_b32_e32 v34, v0
	v_ashrrev_i32_e32 v35, 31, v34
	v_lshl_add_u64 v[34:35], v[22:23], 0, v[34:35]
; %bb.76:
	s_andn2_saveexec_b64 s[0:1], s[0:1]
; %bb.77:
	v_lshl_add_u64 v[34:35], v[14:15], 0, v[0:1]
; %bb.78:
	s_or_b64 exec, exec, s[0:1]
	v_lshl_add_u64 v[34:35], v[34:35], 3, s[2:3]
	v_cmp_ge_u32_e32 vcc, v32, v16
	s_waitcnt lgkmcnt(3)
	global_store_dwordx2 v[34:35], v[10:11], off
                                        ; implicit-def: $vgpr34_vgpr35
	s_and_saveexec_b64 s[0:1], vcc
	s_xor_b64 s[0:1], exec, s[0:1]
; %bb.79:
	v_xor_b32_e32 v34, 0xfffffdff, v0
	v_ashrrev_i32_e32 v35, 31, v34
	v_lshl_add_u64 v[34:35], v[22:23], 0, v[34:35]
; %bb.80:
	s_andn2_saveexec_b64 s[0:1], s[0:1]
; %bb.81:
	v_lshl_add_u64 v[34:35], v[14:15], 0, v[32:33]
; %bb.82:
	s_or_b64 exec, exec, s[0:1]
	v_lshl_add_u64 v[34:35], v[34:35], 3, s[2:3]
	v_cmp_ge_u32_e32 vcc, v30, v16
	global_store_dwordx2 v[34:35], v[12:13], off
                                        ; implicit-def: $vgpr34_vgpr35
	s_and_saveexec_b64 s[0:1], vcc
	s_xor_b64 s[0:1], exec, s[0:1]
; %bb.83:
	v_xor_b32_e32 v34, 0xfffffbff, v0
	v_ashrrev_i32_e32 v35, 31, v34
	v_lshl_add_u64 v[34:35], v[22:23], 0, v[34:35]
; %bb.84:
	s_andn2_saveexec_b64 s[0:1], s[0:1]
; %bb.85:
	v_lshl_add_u64 v[34:35], v[14:15], 0, v[30:31]
; %bb.86:
	s_or_b64 exec, exec, s[0:1]
	v_lshl_add_u64 v[34:35], v[34:35], 3, s[2:3]
	v_cmp_ge_u32_e32 vcc, v28, v16
	s_waitcnt lgkmcnt(2)
	global_store_dwordx2 v[34:35], v[6:7], off
                                        ; implicit-def: $vgpr34_vgpr35
	s_and_saveexec_b64 s[0:1], vcc
	s_xor_b64 s[0:1], exec, s[0:1]
; %bb.87:
	v_xor_b32_e32 v34, 0xfffff9ff, v0
	v_ashrrev_i32_e32 v35, 31, v34
	v_lshl_add_u64 v[34:35], v[22:23], 0, v[34:35]
; %bb.88:
	s_andn2_saveexec_b64 s[0:1], s[0:1]
; %bb.89:
	v_lshl_add_u64 v[34:35], v[14:15], 0, v[28:29]
; %bb.90:
	s_or_b64 exec, exec, s[0:1]
	v_lshl_add_u64 v[34:35], v[34:35], 3, s[2:3]
	v_cmp_ge_u32_e32 vcc, v26, v16
	global_store_dwordx2 v[34:35], v[8:9], off
                                        ; implicit-def: $vgpr34_vgpr35
	s_and_saveexec_b64 s[0:1], vcc
	s_xor_b64 s[0:1], exec, s[0:1]
; %bb.91:
	v_xor_b32_e32 v34, 0xfffff7ff, v0
	;; [unrolled: 33-line block ×3, first 2 shown]
	v_ashrrev_i32_e32 v35, 31, v34
	v_lshl_add_u64 v[34:35], v[22:23], 0, v[34:35]
; %bb.100:
	s_andn2_saveexec_b64 s[0:1], s[0:1]
; %bb.101:
	v_lshl_add_u64 v[34:35], v[14:15], 0, v[20:21]
; %bb.102:
	s_or_b64 exec, exec, s[0:1]
	s_mov_b64 s[0:1], -1
	s_branch .LBB482_147
.LBB482_103:
	s_mov_b64 s[0:1], 0
                                        ; implicit-def: $vgpr34_vgpr35
	s_cbranch_execz .LBB482_147
; %bb.104:
	v_cmp_gt_u32_e32 vcc, s33, v0
	s_and_saveexec_b64 s[4:5], vcc
	s_cbranch_execz .LBB482_122
; %bb.105:
	v_cmp_ge_u32_e32 vcc, v0, v16
                                        ; implicit-def: $vgpr34_vgpr35
	s_and_saveexec_b64 s[6:7], vcc
	s_xor_b64 s[6:7], exec, s[6:7]
; %bb.106:
	v_not_b32_e32 v34, v0
	v_ashrrev_i32_e32 v35, 31, v34
	v_lshl_add_u64 v[34:35], v[22:23], 0, v[34:35]
; %bb.107:
	s_andn2_saveexec_b64 s[6:7], s[6:7]
; %bb.108:
	v_lshl_add_u64 v[34:35], v[14:15], 0, v[0:1]
; %bb.109:
	s_or_b64 exec, exec, s[6:7]
	v_lshl_add_u64 v[34:35], v[34:35], 3, s[2:3]
	s_waitcnt lgkmcnt(3)
	global_store_dwordx2 v[34:35], v[10:11], off
	s_or_b64 exec, exec, s[4:5]
	v_cmp_gt_u32_e32 vcc, s33, v32
	s_and_saveexec_b64 s[4:5], vcc
	s_cbranch_execnz .LBB482_123
.LBB482_110:
	s_or_b64 exec, exec, s[4:5]
	v_cmp_gt_u32_e32 vcc, s33, v30
	s_and_saveexec_b64 s[4:5], vcc
	s_cbranch_execz .LBB482_128
.LBB482_111:
	v_cmp_ge_u32_e32 vcc, v30, v16
                                        ; implicit-def: $vgpr10_vgpr11
	s_and_saveexec_b64 s[6:7], vcc
	s_xor_b64 s[6:7], exec, s[6:7]
	s_cbranch_execz .LBB482_113
; %bb.112:
	s_waitcnt lgkmcnt(3)
	v_xor_b32_e32 v10, 0xfffffbff, v0
	v_ashrrev_i32_e32 v11, 31, v10
	v_lshl_add_u64 v[10:11], v[22:23], 0, v[10:11]
                                        ; implicit-def: $vgpr30_vgpr31
.LBB482_113:
	s_andn2_saveexec_b64 s[6:7], s[6:7]
	s_cbranch_execz .LBB482_115
; %bb.114:
	s_waitcnt lgkmcnt(3)
	v_lshl_add_u64 v[10:11], v[14:15], 0, v[30:31]
.LBB482_115:
	s_or_b64 exec, exec, s[6:7]
	s_waitcnt lgkmcnt(3)
	v_lshl_add_u64 v[10:11], v[10:11], 3, s[2:3]
	s_waitcnt lgkmcnt(2)
	global_store_dwordx2 v[10:11], v[6:7], off
	s_or_b64 exec, exec, s[4:5]
	v_cmp_gt_u32_e32 vcc, s33, v28
	s_and_saveexec_b64 s[4:5], vcc
	s_cbranch_execnz .LBB482_129
.LBB482_116:
	s_or_b64 exec, exec, s[4:5]
	v_cmp_gt_u32_e32 vcc, s33, v26
	s_and_saveexec_b64 s[4:5], vcc
	s_cbranch_execz .LBB482_134
.LBB482_117:
	v_cmp_ge_u32_e32 vcc, v26, v16
                                        ; implicit-def: $vgpr6_vgpr7
	s_and_saveexec_b64 s[6:7], vcc
	s_xor_b64 s[6:7], exec, s[6:7]
	s_cbranch_execz .LBB482_119
; %bb.118:
	s_waitcnt lgkmcnt(2)
	v_xor_b32_e32 v6, 0xfffff7ff, v0
	v_ashrrev_i32_e32 v7, 31, v6
	v_lshl_add_u64 v[6:7], v[22:23], 0, v[6:7]
                                        ; implicit-def: $vgpr26_vgpr27
.LBB482_119:
	s_andn2_saveexec_b64 s[6:7], s[6:7]
	s_cbranch_execz .LBB482_121
; %bb.120:
	s_waitcnt lgkmcnt(2)
	v_lshl_add_u64 v[6:7], v[14:15], 0, v[26:27]
.LBB482_121:
	s_or_b64 exec, exec, s[6:7]
	s_waitcnt lgkmcnt(2)
	v_lshl_add_u64 v[6:7], v[6:7], 3, s[2:3]
	s_waitcnt lgkmcnt(1)
	global_store_dwordx2 v[6:7], v[2:3], off
	s_or_b64 exec, exec, s[4:5]
	v_cmp_gt_u32_e32 vcc, s33, v24
	s_and_saveexec_b64 s[4:5], vcc
	s_cbranch_execz .LBB482_140
	s_branch .LBB482_135
.LBB482_122:
	s_or_b64 exec, exec, s[4:5]
	v_cmp_gt_u32_e32 vcc, s33, v32
	s_and_saveexec_b64 s[4:5], vcc
	s_cbranch_execz .LBB482_110
.LBB482_123:
	v_cmp_ge_u32_e32 vcc, v32, v16
                                        ; implicit-def: $vgpr10_vgpr11
	s_and_saveexec_b64 s[6:7], vcc
	s_xor_b64 s[6:7], exec, s[6:7]
	s_cbranch_execz .LBB482_125
; %bb.124:
	s_waitcnt lgkmcnt(3)
	v_xor_b32_e32 v10, 0xfffffdff, v0
	v_ashrrev_i32_e32 v11, 31, v10
	v_lshl_add_u64 v[10:11], v[22:23], 0, v[10:11]
                                        ; implicit-def: $vgpr32_vgpr33
.LBB482_125:
	s_andn2_saveexec_b64 s[6:7], s[6:7]
	s_cbranch_execz .LBB482_127
; %bb.126:
	s_waitcnt lgkmcnt(3)
	v_lshl_add_u64 v[10:11], v[14:15], 0, v[32:33]
.LBB482_127:
	s_or_b64 exec, exec, s[6:7]
	s_waitcnt lgkmcnt(3)
	v_lshl_add_u64 v[10:11], v[10:11], 3, s[2:3]
	global_store_dwordx2 v[10:11], v[12:13], off
	s_or_b64 exec, exec, s[4:5]
	v_cmp_gt_u32_e32 vcc, s33, v30
	s_and_saveexec_b64 s[4:5], vcc
	s_cbranch_execnz .LBB482_111
.LBB482_128:
	s_or_b64 exec, exec, s[4:5]
	v_cmp_gt_u32_e32 vcc, s33, v28
	s_and_saveexec_b64 s[4:5], vcc
	s_cbranch_execz .LBB482_116
.LBB482_129:
	v_cmp_ge_u32_e32 vcc, v28, v16
                                        ; implicit-def: $vgpr6_vgpr7
	s_and_saveexec_b64 s[6:7], vcc
	s_xor_b64 s[6:7], exec, s[6:7]
	s_cbranch_execz .LBB482_131
; %bb.130:
	s_waitcnt lgkmcnt(2)
	v_xor_b32_e32 v6, 0xfffff9ff, v0
	v_ashrrev_i32_e32 v7, 31, v6
	v_lshl_add_u64 v[6:7], v[22:23], 0, v[6:7]
                                        ; implicit-def: $vgpr28_vgpr29
.LBB482_131:
	s_andn2_saveexec_b64 s[6:7], s[6:7]
	s_cbranch_execz .LBB482_133
; %bb.132:
	s_waitcnt lgkmcnt(2)
	v_lshl_add_u64 v[6:7], v[14:15], 0, v[28:29]
.LBB482_133:
	s_or_b64 exec, exec, s[6:7]
	s_waitcnt lgkmcnt(2)
	v_lshl_add_u64 v[6:7], v[6:7], 3, s[2:3]
	global_store_dwordx2 v[6:7], v[8:9], off
	s_or_b64 exec, exec, s[4:5]
	v_cmp_gt_u32_e32 vcc, s33, v26
	s_and_saveexec_b64 s[4:5], vcc
	s_cbranch_execnz .LBB482_117
.LBB482_134:
	s_or_b64 exec, exec, s[4:5]
	v_cmp_gt_u32_e32 vcc, s33, v24
	s_and_saveexec_b64 s[4:5], vcc
	s_cbranch_execz .LBB482_140
.LBB482_135:
	v_cmp_ge_u32_e32 vcc, v24, v16
                                        ; implicit-def: $vgpr2_vgpr3
	s_and_saveexec_b64 s[6:7], vcc
	s_xor_b64 s[6:7], exec, s[6:7]
	s_cbranch_execz .LBB482_137
; %bb.136:
	s_waitcnt lgkmcnt(1)
	v_xor_b32_e32 v2, 0xfffff5ff, v0
	v_ashrrev_i32_e32 v3, 31, v2
	v_lshl_add_u64 v[2:3], v[22:23], 0, v[2:3]
                                        ; implicit-def: $vgpr24_vgpr25
.LBB482_137:
	s_andn2_saveexec_b64 s[6:7], s[6:7]
	s_cbranch_execz .LBB482_139
; %bb.138:
	s_waitcnt lgkmcnt(1)
	v_lshl_add_u64 v[2:3], v[14:15], 0, v[24:25]
.LBB482_139:
	s_or_b64 exec, exec, s[6:7]
	s_waitcnt lgkmcnt(1)
	v_lshl_add_u64 v[2:3], v[2:3], 3, s[2:3]
	global_store_dwordx2 v[2:3], v[4:5], off
.LBB482_140:
	s_or_b64 exec, exec, s[4:5]
	v_cmp_gt_u32_e32 vcc, s33, v20
                                        ; implicit-def: $vgpr34_vgpr35
	s_and_saveexec_b64 s[4:5], vcc
	s_cbranch_execz .LBB482_146
; %bb.141:
	v_cmp_ge_u32_e32 vcc, v20, v16
                                        ; implicit-def: $vgpr34_vgpr35
	s_and_saveexec_b64 s[6:7], vcc
	s_xor_b64 s[6:7], exec, s[6:7]
	s_cbranch_execz .LBB482_143
; %bb.142:
	s_waitcnt lgkmcnt(1)
	v_xor_b32_e32 v2, 0xfffff3ff, v0
	v_ashrrev_i32_e32 v3, 31, v2
	v_lshl_add_u64 v[34:35], v[22:23], 0, v[2:3]
                                        ; implicit-def: $vgpr20_vgpr21
.LBB482_143:
	s_andn2_saveexec_b64 s[6:7], s[6:7]
; %bb.144:
	v_lshl_add_u64 v[34:35], v[14:15], 0, v[20:21]
; %bb.145:
	s_or_b64 exec, exec, s[6:7]
	s_or_b64 s[0:1], s[0:1], exec
.LBB482_146:
	s_or_b64 exec, exec, s[4:5]
.LBB482_147:
	s_and_saveexec_b64 s[4:5], s[0:1]
	s_cbranch_execz .LBB482_149
; %bb.148:
	s_waitcnt lgkmcnt(1)
	v_lshl_add_u64 v[2:3], v[34:35], 3, s[2:3]
	s_waitcnt lgkmcnt(0)
	global_store_dwordx2 v[2:3], v[18:19], off
.LBB482_149:
	s_or_b64 exec, exec, s[4:5]
	v_cmp_eq_u32_e32 vcc, 0, v0
	s_and_b64 s[0:1], vcc, s[22:23]
	s_and_saveexec_b64 s[2:3], s[0:1]
	s_cbranch_execz .LBB482_151
; %bb.150:
	s_waitcnt lgkmcnt(1)
	v_mov_b32_e32 v2, 0
	v_lshl_add_u64 v[0:1], v[14:15], 0, v[16:17]
	global_store_dwordx2 v2, v[0:1], s[20:21]
.LBB482_151:
	s_endpgm
	.section	.rodata,"a",@progbits
	.p2align	6, 0x0
	.amdhsa_kernel _ZN7rocprim17ROCPRIM_400000_NS6detail17trampoline_kernelINS0_14default_configENS1_25partition_config_selectorILNS1_17partition_subalgoE2ExNS0_10empty_typeEbEEZZNS1_14partition_implILS5_2ELb0ES3_jN6thrust23THRUST_200600_302600_NS6detail15normal_iteratorINSA_7pointerIxNSA_11hip_rocprim3tagENSA_11use_defaultESG_EEEEPS6_NSA_18transform_iteratorINSA_8identityIxEENSC_INSA_10device_ptrIxEEEESG_SG_EENS0_5tupleIJPxSJ_EEENSR_IJSJ_SJ_EEES6_PlJS6_EEE10hipError_tPvRmT3_T4_T5_T6_T7_T9_mT8_P12ihipStream_tbDpT10_ENKUlT_T0_E_clISt17integral_constantIbLb0EES1F_EEDaS1A_S1B_EUlS1A_E_NS1_11comp_targetILNS1_3genE5ELNS1_11target_archE942ELNS1_3gpuE9ELNS1_3repE0EEENS1_30default_config_static_selectorELNS0_4arch9wavefront6targetE1EEEvT1_
		.amdhsa_group_segment_fixed_size 28680
		.amdhsa_private_segment_fixed_size 0
		.amdhsa_kernarg_size 128
		.amdhsa_user_sgpr_count 2
		.amdhsa_user_sgpr_dispatch_ptr 0
		.amdhsa_user_sgpr_queue_ptr 0
		.amdhsa_user_sgpr_kernarg_segment_ptr 1
		.amdhsa_user_sgpr_dispatch_id 0
		.amdhsa_user_sgpr_kernarg_preload_length 0
		.amdhsa_user_sgpr_kernarg_preload_offset 0
		.amdhsa_user_sgpr_private_segment_size 0
		.amdhsa_uses_dynamic_stack 0
		.amdhsa_enable_private_segment 0
		.amdhsa_system_sgpr_workgroup_id_x 1
		.amdhsa_system_sgpr_workgroup_id_y 0
		.amdhsa_system_sgpr_workgroup_id_z 0
		.amdhsa_system_sgpr_workgroup_info 0
		.amdhsa_system_vgpr_workitem_id 0
		.amdhsa_next_free_vgpr 54
		.amdhsa_next_free_sgpr 46
		.amdhsa_accum_offset 56
		.amdhsa_reserve_vcc 1
		.amdhsa_float_round_mode_32 0
		.amdhsa_float_round_mode_16_64 0
		.amdhsa_float_denorm_mode_32 3
		.amdhsa_float_denorm_mode_16_64 3
		.amdhsa_dx10_clamp 1
		.amdhsa_ieee_mode 1
		.amdhsa_fp16_overflow 0
		.amdhsa_tg_split 0
		.amdhsa_exception_fp_ieee_invalid_op 0
		.amdhsa_exception_fp_denorm_src 0
		.amdhsa_exception_fp_ieee_div_zero 0
		.amdhsa_exception_fp_ieee_overflow 0
		.amdhsa_exception_fp_ieee_underflow 0
		.amdhsa_exception_fp_ieee_inexact 0
		.amdhsa_exception_int_div_zero 0
	.end_amdhsa_kernel
	.section	.text._ZN7rocprim17ROCPRIM_400000_NS6detail17trampoline_kernelINS0_14default_configENS1_25partition_config_selectorILNS1_17partition_subalgoE2ExNS0_10empty_typeEbEEZZNS1_14partition_implILS5_2ELb0ES3_jN6thrust23THRUST_200600_302600_NS6detail15normal_iteratorINSA_7pointerIxNSA_11hip_rocprim3tagENSA_11use_defaultESG_EEEEPS6_NSA_18transform_iteratorINSA_8identityIxEENSC_INSA_10device_ptrIxEEEESG_SG_EENS0_5tupleIJPxSJ_EEENSR_IJSJ_SJ_EEES6_PlJS6_EEE10hipError_tPvRmT3_T4_T5_T6_T7_T9_mT8_P12ihipStream_tbDpT10_ENKUlT_T0_E_clISt17integral_constantIbLb0EES1F_EEDaS1A_S1B_EUlS1A_E_NS1_11comp_targetILNS1_3genE5ELNS1_11target_archE942ELNS1_3gpuE9ELNS1_3repE0EEENS1_30default_config_static_selectorELNS0_4arch9wavefront6targetE1EEEvT1_,"axG",@progbits,_ZN7rocprim17ROCPRIM_400000_NS6detail17trampoline_kernelINS0_14default_configENS1_25partition_config_selectorILNS1_17partition_subalgoE2ExNS0_10empty_typeEbEEZZNS1_14partition_implILS5_2ELb0ES3_jN6thrust23THRUST_200600_302600_NS6detail15normal_iteratorINSA_7pointerIxNSA_11hip_rocprim3tagENSA_11use_defaultESG_EEEEPS6_NSA_18transform_iteratorINSA_8identityIxEENSC_INSA_10device_ptrIxEEEESG_SG_EENS0_5tupleIJPxSJ_EEENSR_IJSJ_SJ_EEES6_PlJS6_EEE10hipError_tPvRmT3_T4_T5_T6_T7_T9_mT8_P12ihipStream_tbDpT10_ENKUlT_T0_E_clISt17integral_constantIbLb0EES1F_EEDaS1A_S1B_EUlS1A_E_NS1_11comp_targetILNS1_3genE5ELNS1_11target_archE942ELNS1_3gpuE9ELNS1_3repE0EEENS1_30default_config_static_selectorELNS0_4arch9wavefront6targetE1EEEvT1_,comdat
.Lfunc_end482:
	.size	_ZN7rocprim17ROCPRIM_400000_NS6detail17trampoline_kernelINS0_14default_configENS1_25partition_config_selectorILNS1_17partition_subalgoE2ExNS0_10empty_typeEbEEZZNS1_14partition_implILS5_2ELb0ES3_jN6thrust23THRUST_200600_302600_NS6detail15normal_iteratorINSA_7pointerIxNSA_11hip_rocprim3tagENSA_11use_defaultESG_EEEEPS6_NSA_18transform_iteratorINSA_8identityIxEENSC_INSA_10device_ptrIxEEEESG_SG_EENS0_5tupleIJPxSJ_EEENSR_IJSJ_SJ_EEES6_PlJS6_EEE10hipError_tPvRmT3_T4_T5_T6_T7_T9_mT8_P12ihipStream_tbDpT10_ENKUlT_T0_E_clISt17integral_constantIbLb0EES1F_EEDaS1A_S1B_EUlS1A_E_NS1_11comp_targetILNS1_3genE5ELNS1_11target_archE942ELNS1_3gpuE9ELNS1_3repE0EEENS1_30default_config_static_selectorELNS0_4arch9wavefront6targetE1EEEvT1_, .Lfunc_end482-_ZN7rocprim17ROCPRIM_400000_NS6detail17trampoline_kernelINS0_14default_configENS1_25partition_config_selectorILNS1_17partition_subalgoE2ExNS0_10empty_typeEbEEZZNS1_14partition_implILS5_2ELb0ES3_jN6thrust23THRUST_200600_302600_NS6detail15normal_iteratorINSA_7pointerIxNSA_11hip_rocprim3tagENSA_11use_defaultESG_EEEEPS6_NSA_18transform_iteratorINSA_8identityIxEENSC_INSA_10device_ptrIxEEEESG_SG_EENS0_5tupleIJPxSJ_EEENSR_IJSJ_SJ_EEES6_PlJS6_EEE10hipError_tPvRmT3_T4_T5_T6_T7_T9_mT8_P12ihipStream_tbDpT10_ENKUlT_T0_E_clISt17integral_constantIbLb0EES1F_EEDaS1A_S1B_EUlS1A_E_NS1_11comp_targetILNS1_3genE5ELNS1_11target_archE942ELNS1_3gpuE9ELNS1_3repE0EEENS1_30default_config_static_selectorELNS0_4arch9wavefront6targetE1EEEvT1_
                                        ; -- End function
	.section	.AMDGPU.csdata,"",@progbits
; Kernel info:
; codeLenInByte = 5608
; NumSgprs: 52
; NumVgprs: 54
; NumAgprs: 0
; TotalNumVgprs: 54
; ScratchSize: 0
; MemoryBound: 0
; FloatMode: 240
; IeeeMode: 1
; LDSByteSize: 28680 bytes/workgroup (compile time only)
; SGPRBlocks: 6
; VGPRBlocks: 6
; NumSGPRsForWavesPerEU: 52
; NumVGPRsForWavesPerEU: 54
; AccumOffset: 56
; Occupancy: 4
; WaveLimiterHint : 1
; COMPUTE_PGM_RSRC2:SCRATCH_EN: 0
; COMPUTE_PGM_RSRC2:USER_SGPR: 2
; COMPUTE_PGM_RSRC2:TRAP_HANDLER: 0
; COMPUTE_PGM_RSRC2:TGID_X_EN: 1
; COMPUTE_PGM_RSRC2:TGID_Y_EN: 0
; COMPUTE_PGM_RSRC2:TGID_Z_EN: 0
; COMPUTE_PGM_RSRC2:TIDIG_COMP_CNT: 0
; COMPUTE_PGM_RSRC3_GFX90A:ACCUM_OFFSET: 13
; COMPUTE_PGM_RSRC3_GFX90A:TG_SPLIT: 0
	.section	.text._ZN7rocprim17ROCPRIM_400000_NS6detail17trampoline_kernelINS0_14default_configENS1_25partition_config_selectorILNS1_17partition_subalgoE2ExNS0_10empty_typeEbEEZZNS1_14partition_implILS5_2ELb0ES3_jN6thrust23THRUST_200600_302600_NS6detail15normal_iteratorINSA_7pointerIxNSA_11hip_rocprim3tagENSA_11use_defaultESG_EEEEPS6_NSA_18transform_iteratorINSA_8identityIxEENSC_INSA_10device_ptrIxEEEESG_SG_EENS0_5tupleIJPxSJ_EEENSR_IJSJ_SJ_EEES6_PlJS6_EEE10hipError_tPvRmT3_T4_T5_T6_T7_T9_mT8_P12ihipStream_tbDpT10_ENKUlT_T0_E_clISt17integral_constantIbLb0EES1F_EEDaS1A_S1B_EUlS1A_E_NS1_11comp_targetILNS1_3genE4ELNS1_11target_archE910ELNS1_3gpuE8ELNS1_3repE0EEENS1_30default_config_static_selectorELNS0_4arch9wavefront6targetE1EEEvT1_,"axG",@progbits,_ZN7rocprim17ROCPRIM_400000_NS6detail17trampoline_kernelINS0_14default_configENS1_25partition_config_selectorILNS1_17partition_subalgoE2ExNS0_10empty_typeEbEEZZNS1_14partition_implILS5_2ELb0ES3_jN6thrust23THRUST_200600_302600_NS6detail15normal_iteratorINSA_7pointerIxNSA_11hip_rocprim3tagENSA_11use_defaultESG_EEEEPS6_NSA_18transform_iteratorINSA_8identityIxEENSC_INSA_10device_ptrIxEEEESG_SG_EENS0_5tupleIJPxSJ_EEENSR_IJSJ_SJ_EEES6_PlJS6_EEE10hipError_tPvRmT3_T4_T5_T6_T7_T9_mT8_P12ihipStream_tbDpT10_ENKUlT_T0_E_clISt17integral_constantIbLb0EES1F_EEDaS1A_S1B_EUlS1A_E_NS1_11comp_targetILNS1_3genE4ELNS1_11target_archE910ELNS1_3gpuE8ELNS1_3repE0EEENS1_30default_config_static_selectorELNS0_4arch9wavefront6targetE1EEEvT1_,comdat
	.protected	_ZN7rocprim17ROCPRIM_400000_NS6detail17trampoline_kernelINS0_14default_configENS1_25partition_config_selectorILNS1_17partition_subalgoE2ExNS0_10empty_typeEbEEZZNS1_14partition_implILS5_2ELb0ES3_jN6thrust23THRUST_200600_302600_NS6detail15normal_iteratorINSA_7pointerIxNSA_11hip_rocprim3tagENSA_11use_defaultESG_EEEEPS6_NSA_18transform_iteratorINSA_8identityIxEENSC_INSA_10device_ptrIxEEEESG_SG_EENS0_5tupleIJPxSJ_EEENSR_IJSJ_SJ_EEES6_PlJS6_EEE10hipError_tPvRmT3_T4_T5_T6_T7_T9_mT8_P12ihipStream_tbDpT10_ENKUlT_T0_E_clISt17integral_constantIbLb0EES1F_EEDaS1A_S1B_EUlS1A_E_NS1_11comp_targetILNS1_3genE4ELNS1_11target_archE910ELNS1_3gpuE8ELNS1_3repE0EEENS1_30default_config_static_selectorELNS0_4arch9wavefront6targetE1EEEvT1_ ; -- Begin function _ZN7rocprim17ROCPRIM_400000_NS6detail17trampoline_kernelINS0_14default_configENS1_25partition_config_selectorILNS1_17partition_subalgoE2ExNS0_10empty_typeEbEEZZNS1_14partition_implILS5_2ELb0ES3_jN6thrust23THRUST_200600_302600_NS6detail15normal_iteratorINSA_7pointerIxNSA_11hip_rocprim3tagENSA_11use_defaultESG_EEEEPS6_NSA_18transform_iteratorINSA_8identityIxEENSC_INSA_10device_ptrIxEEEESG_SG_EENS0_5tupleIJPxSJ_EEENSR_IJSJ_SJ_EEES6_PlJS6_EEE10hipError_tPvRmT3_T4_T5_T6_T7_T9_mT8_P12ihipStream_tbDpT10_ENKUlT_T0_E_clISt17integral_constantIbLb0EES1F_EEDaS1A_S1B_EUlS1A_E_NS1_11comp_targetILNS1_3genE4ELNS1_11target_archE910ELNS1_3gpuE8ELNS1_3repE0EEENS1_30default_config_static_selectorELNS0_4arch9wavefront6targetE1EEEvT1_
	.globl	_ZN7rocprim17ROCPRIM_400000_NS6detail17trampoline_kernelINS0_14default_configENS1_25partition_config_selectorILNS1_17partition_subalgoE2ExNS0_10empty_typeEbEEZZNS1_14partition_implILS5_2ELb0ES3_jN6thrust23THRUST_200600_302600_NS6detail15normal_iteratorINSA_7pointerIxNSA_11hip_rocprim3tagENSA_11use_defaultESG_EEEEPS6_NSA_18transform_iteratorINSA_8identityIxEENSC_INSA_10device_ptrIxEEEESG_SG_EENS0_5tupleIJPxSJ_EEENSR_IJSJ_SJ_EEES6_PlJS6_EEE10hipError_tPvRmT3_T4_T5_T6_T7_T9_mT8_P12ihipStream_tbDpT10_ENKUlT_T0_E_clISt17integral_constantIbLb0EES1F_EEDaS1A_S1B_EUlS1A_E_NS1_11comp_targetILNS1_3genE4ELNS1_11target_archE910ELNS1_3gpuE8ELNS1_3repE0EEENS1_30default_config_static_selectorELNS0_4arch9wavefront6targetE1EEEvT1_
	.p2align	8
	.type	_ZN7rocprim17ROCPRIM_400000_NS6detail17trampoline_kernelINS0_14default_configENS1_25partition_config_selectorILNS1_17partition_subalgoE2ExNS0_10empty_typeEbEEZZNS1_14partition_implILS5_2ELb0ES3_jN6thrust23THRUST_200600_302600_NS6detail15normal_iteratorINSA_7pointerIxNSA_11hip_rocprim3tagENSA_11use_defaultESG_EEEEPS6_NSA_18transform_iteratorINSA_8identityIxEENSC_INSA_10device_ptrIxEEEESG_SG_EENS0_5tupleIJPxSJ_EEENSR_IJSJ_SJ_EEES6_PlJS6_EEE10hipError_tPvRmT3_T4_T5_T6_T7_T9_mT8_P12ihipStream_tbDpT10_ENKUlT_T0_E_clISt17integral_constantIbLb0EES1F_EEDaS1A_S1B_EUlS1A_E_NS1_11comp_targetILNS1_3genE4ELNS1_11target_archE910ELNS1_3gpuE8ELNS1_3repE0EEENS1_30default_config_static_selectorELNS0_4arch9wavefront6targetE1EEEvT1_,@function
_ZN7rocprim17ROCPRIM_400000_NS6detail17trampoline_kernelINS0_14default_configENS1_25partition_config_selectorILNS1_17partition_subalgoE2ExNS0_10empty_typeEbEEZZNS1_14partition_implILS5_2ELb0ES3_jN6thrust23THRUST_200600_302600_NS6detail15normal_iteratorINSA_7pointerIxNSA_11hip_rocprim3tagENSA_11use_defaultESG_EEEEPS6_NSA_18transform_iteratorINSA_8identityIxEENSC_INSA_10device_ptrIxEEEESG_SG_EENS0_5tupleIJPxSJ_EEENSR_IJSJ_SJ_EEES6_PlJS6_EEE10hipError_tPvRmT3_T4_T5_T6_T7_T9_mT8_P12ihipStream_tbDpT10_ENKUlT_T0_E_clISt17integral_constantIbLb0EES1F_EEDaS1A_S1B_EUlS1A_E_NS1_11comp_targetILNS1_3genE4ELNS1_11target_archE910ELNS1_3gpuE8ELNS1_3repE0EEENS1_30default_config_static_selectorELNS0_4arch9wavefront6targetE1EEEvT1_: ; @_ZN7rocprim17ROCPRIM_400000_NS6detail17trampoline_kernelINS0_14default_configENS1_25partition_config_selectorILNS1_17partition_subalgoE2ExNS0_10empty_typeEbEEZZNS1_14partition_implILS5_2ELb0ES3_jN6thrust23THRUST_200600_302600_NS6detail15normal_iteratorINSA_7pointerIxNSA_11hip_rocprim3tagENSA_11use_defaultESG_EEEEPS6_NSA_18transform_iteratorINSA_8identityIxEENSC_INSA_10device_ptrIxEEEESG_SG_EENS0_5tupleIJPxSJ_EEENSR_IJSJ_SJ_EEES6_PlJS6_EEE10hipError_tPvRmT3_T4_T5_T6_T7_T9_mT8_P12ihipStream_tbDpT10_ENKUlT_T0_E_clISt17integral_constantIbLb0EES1F_EEDaS1A_S1B_EUlS1A_E_NS1_11comp_targetILNS1_3genE4ELNS1_11target_archE910ELNS1_3gpuE8ELNS1_3repE0EEENS1_30default_config_static_selectorELNS0_4arch9wavefront6targetE1EEEvT1_
; %bb.0:
	.section	.rodata,"a",@progbits
	.p2align	6, 0x0
	.amdhsa_kernel _ZN7rocprim17ROCPRIM_400000_NS6detail17trampoline_kernelINS0_14default_configENS1_25partition_config_selectorILNS1_17partition_subalgoE2ExNS0_10empty_typeEbEEZZNS1_14partition_implILS5_2ELb0ES3_jN6thrust23THRUST_200600_302600_NS6detail15normal_iteratorINSA_7pointerIxNSA_11hip_rocprim3tagENSA_11use_defaultESG_EEEEPS6_NSA_18transform_iteratorINSA_8identityIxEENSC_INSA_10device_ptrIxEEEESG_SG_EENS0_5tupleIJPxSJ_EEENSR_IJSJ_SJ_EEES6_PlJS6_EEE10hipError_tPvRmT3_T4_T5_T6_T7_T9_mT8_P12ihipStream_tbDpT10_ENKUlT_T0_E_clISt17integral_constantIbLb0EES1F_EEDaS1A_S1B_EUlS1A_E_NS1_11comp_targetILNS1_3genE4ELNS1_11target_archE910ELNS1_3gpuE8ELNS1_3repE0EEENS1_30default_config_static_selectorELNS0_4arch9wavefront6targetE1EEEvT1_
		.amdhsa_group_segment_fixed_size 0
		.amdhsa_private_segment_fixed_size 0
		.amdhsa_kernarg_size 128
		.amdhsa_user_sgpr_count 2
		.amdhsa_user_sgpr_dispatch_ptr 0
		.amdhsa_user_sgpr_queue_ptr 0
		.amdhsa_user_sgpr_kernarg_segment_ptr 1
		.amdhsa_user_sgpr_dispatch_id 0
		.amdhsa_user_sgpr_kernarg_preload_length 0
		.amdhsa_user_sgpr_kernarg_preload_offset 0
		.amdhsa_user_sgpr_private_segment_size 0
		.amdhsa_uses_dynamic_stack 0
		.amdhsa_enable_private_segment 0
		.amdhsa_system_sgpr_workgroup_id_x 1
		.amdhsa_system_sgpr_workgroup_id_y 0
		.amdhsa_system_sgpr_workgroup_id_z 0
		.amdhsa_system_sgpr_workgroup_info 0
		.amdhsa_system_vgpr_workitem_id 0
		.amdhsa_next_free_vgpr 1
		.amdhsa_next_free_sgpr 0
		.amdhsa_accum_offset 4
		.amdhsa_reserve_vcc 0
		.amdhsa_float_round_mode_32 0
		.amdhsa_float_round_mode_16_64 0
		.amdhsa_float_denorm_mode_32 3
		.amdhsa_float_denorm_mode_16_64 3
		.amdhsa_dx10_clamp 1
		.amdhsa_ieee_mode 1
		.amdhsa_fp16_overflow 0
		.amdhsa_tg_split 0
		.amdhsa_exception_fp_ieee_invalid_op 0
		.amdhsa_exception_fp_denorm_src 0
		.amdhsa_exception_fp_ieee_div_zero 0
		.amdhsa_exception_fp_ieee_overflow 0
		.amdhsa_exception_fp_ieee_underflow 0
		.amdhsa_exception_fp_ieee_inexact 0
		.amdhsa_exception_int_div_zero 0
	.end_amdhsa_kernel
	.section	.text._ZN7rocprim17ROCPRIM_400000_NS6detail17trampoline_kernelINS0_14default_configENS1_25partition_config_selectorILNS1_17partition_subalgoE2ExNS0_10empty_typeEbEEZZNS1_14partition_implILS5_2ELb0ES3_jN6thrust23THRUST_200600_302600_NS6detail15normal_iteratorINSA_7pointerIxNSA_11hip_rocprim3tagENSA_11use_defaultESG_EEEEPS6_NSA_18transform_iteratorINSA_8identityIxEENSC_INSA_10device_ptrIxEEEESG_SG_EENS0_5tupleIJPxSJ_EEENSR_IJSJ_SJ_EEES6_PlJS6_EEE10hipError_tPvRmT3_T4_T5_T6_T7_T9_mT8_P12ihipStream_tbDpT10_ENKUlT_T0_E_clISt17integral_constantIbLb0EES1F_EEDaS1A_S1B_EUlS1A_E_NS1_11comp_targetILNS1_3genE4ELNS1_11target_archE910ELNS1_3gpuE8ELNS1_3repE0EEENS1_30default_config_static_selectorELNS0_4arch9wavefront6targetE1EEEvT1_,"axG",@progbits,_ZN7rocprim17ROCPRIM_400000_NS6detail17trampoline_kernelINS0_14default_configENS1_25partition_config_selectorILNS1_17partition_subalgoE2ExNS0_10empty_typeEbEEZZNS1_14partition_implILS5_2ELb0ES3_jN6thrust23THRUST_200600_302600_NS6detail15normal_iteratorINSA_7pointerIxNSA_11hip_rocprim3tagENSA_11use_defaultESG_EEEEPS6_NSA_18transform_iteratorINSA_8identityIxEENSC_INSA_10device_ptrIxEEEESG_SG_EENS0_5tupleIJPxSJ_EEENSR_IJSJ_SJ_EEES6_PlJS6_EEE10hipError_tPvRmT3_T4_T5_T6_T7_T9_mT8_P12ihipStream_tbDpT10_ENKUlT_T0_E_clISt17integral_constantIbLb0EES1F_EEDaS1A_S1B_EUlS1A_E_NS1_11comp_targetILNS1_3genE4ELNS1_11target_archE910ELNS1_3gpuE8ELNS1_3repE0EEENS1_30default_config_static_selectorELNS0_4arch9wavefront6targetE1EEEvT1_,comdat
.Lfunc_end483:
	.size	_ZN7rocprim17ROCPRIM_400000_NS6detail17trampoline_kernelINS0_14default_configENS1_25partition_config_selectorILNS1_17partition_subalgoE2ExNS0_10empty_typeEbEEZZNS1_14partition_implILS5_2ELb0ES3_jN6thrust23THRUST_200600_302600_NS6detail15normal_iteratorINSA_7pointerIxNSA_11hip_rocprim3tagENSA_11use_defaultESG_EEEEPS6_NSA_18transform_iteratorINSA_8identityIxEENSC_INSA_10device_ptrIxEEEESG_SG_EENS0_5tupleIJPxSJ_EEENSR_IJSJ_SJ_EEES6_PlJS6_EEE10hipError_tPvRmT3_T4_T5_T6_T7_T9_mT8_P12ihipStream_tbDpT10_ENKUlT_T0_E_clISt17integral_constantIbLb0EES1F_EEDaS1A_S1B_EUlS1A_E_NS1_11comp_targetILNS1_3genE4ELNS1_11target_archE910ELNS1_3gpuE8ELNS1_3repE0EEENS1_30default_config_static_selectorELNS0_4arch9wavefront6targetE1EEEvT1_, .Lfunc_end483-_ZN7rocprim17ROCPRIM_400000_NS6detail17trampoline_kernelINS0_14default_configENS1_25partition_config_selectorILNS1_17partition_subalgoE2ExNS0_10empty_typeEbEEZZNS1_14partition_implILS5_2ELb0ES3_jN6thrust23THRUST_200600_302600_NS6detail15normal_iteratorINSA_7pointerIxNSA_11hip_rocprim3tagENSA_11use_defaultESG_EEEEPS6_NSA_18transform_iteratorINSA_8identityIxEENSC_INSA_10device_ptrIxEEEESG_SG_EENS0_5tupleIJPxSJ_EEENSR_IJSJ_SJ_EEES6_PlJS6_EEE10hipError_tPvRmT3_T4_T5_T6_T7_T9_mT8_P12ihipStream_tbDpT10_ENKUlT_T0_E_clISt17integral_constantIbLb0EES1F_EEDaS1A_S1B_EUlS1A_E_NS1_11comp_targetILNS1_3genE4ELNS1_11target_archE910ELNS1_3gpuE8ELNS1_3repE0EEENS1_30default_config_static_selectorELNS0_4arch9wavefront6targetE1EEEvT1_
                                        ; -- End function
	.section	.AMDGPU.csdata,"",@progbits
; Kernel info:
; codeLenInByte = 0
; NumSgprs: 6
; NumVgprs: 0
; NumAgprs: 0
; TotalNumVgprs: 0
; ScratchSize: 0
; MemoryBound: 0
; FloatMode: 240
; IeeeMode: 1
; LDSByteSize: 0 bytes/workgroup (compile time only)
; SGPRBlocks: 0
; VGPRBlocks: 0
; NumSGPRsForWavesPerEU: 6
; NumVGPRsForWavesPerEU: 1
; AccumOffset: 4
; Occupancy: 8
; WaveLimiterHint : 0
; COMPUTE_PGM_RSRC2:SCRATCH_EN: 0
; COMPUTE_PGM_RSRC2:USER_SGPR: 2
; COMPUTE_PGM_RSRC2:TRAP_HANDLER: 0
; COMPUTE_PGM_RSRC2:TGID_X_EN: 1
; COMPUTE_PGM_RSRC2:TGID_Y_EN: 0
; COMPUTE_PGM_RSRC2:TGID_Z_EN: 0
; COMPUTE_PGM_RSRC2:TIDIG_COMP_CNT: 0
; COMPUTE_PGM_RSRC3_GFX90A:ACCUM_OFFSET: 0
; COMPUTE_PGM_RSRC3_GFX90A:TG_SPLIT: 0
	.section	.text._ZN7rocprim17ROCPRIM_400000_NS6detail17trampoline_kernelINS0_14default_configENS1_25partition_config_selectorILNS1_17partition_subalgoE2ExNS0_10empty_typeEbEEZZNS1_14partition_implILS5_2ELb0ES3_jN6thrust23THRUST_200600_302600_NS6detail15normal_iteratorINSA_7pointerIxNSA_11hip_rocprim3tagENSA_11use_defaultESG_EEEEPS6_NSA_18transform_iteratorINSA_8identityIxEENSC_INSA_10device_ptrIxEEEESG_SG_EENS0_5tupleIJPxSJ_EEENSR_IJSJ_SJ_EEES6_PlJS6_EEE10hipError_tPvRmT3_T4_T5_T6_T7_T9_mT8_P12ihipStream_tbDpT10_ENKUlT_T0_E_clISt17integral_constantIbLb0EES1F_EEDaS1A_S1B_EUlS1A_E_NS1_11comp_targetILNS1_3genE3ELNS1_11target_archE908ELNS1_3gpuE7ELNS1_3repE0EEENS1_30default_config_static_selectorELNS0_4arch9wavefront6targetE1EEEvT1_,"axG",@progbits,_ZN7rocprim17ROCPRIM_400000_NS6detail17trampoline_kernelINS0_14default_configENS1_25partition_config_selectorILNS1_17partition_subalgoE2ExNS0_10empty_typeEbEEZZNS1_14partition_implILS5_2ELb0ES3_jN6thrust23THRUST_200600_302600_NS6detail15normal_iteratorINSA_7pointerIxNSA_11hip_rocprim3tagENSA_11use_defaultESG_EEEEPS6_NSA_18transform_iteratorINSA_8identityIxEENSC_INSA_10device_ptrIxEEEESG_SG_EENS0_5tupleIJPxSJ_EEENSR_IJSJ_SJ_EEES6_PlJS6_EEE10hipError_tPvRmT3_T4_T5_T6_T7_T9_mT8_P12ihipStream_tbDpT10_ENKUlT_T0_E_clISt17integral_constantIbLb0EES1F_EEDaS1A_S1B_EUlS1A_E_NS1_11comp_targetILNS1_3genE3ELNS1_11target_archE908ELNS1_3gpuE7ELNS1_3repE0EEENS1_30default_config_static_selectorELNS0_4arch9wavefront6targetE1EEEvT1_,comdat
	.protected	_ZN7rocprim17ROCPRIM_400000_NS6detail17trampoline_kernelINS0_14default_configENS1_25partition_config_selectorILNS1_17partition_subalgoE2ExNS0_10empty_typeEbEEZZNS1_14partition_implILS5_2ELb0ES3_jN6thrust23THRUST_200600_302600_NS6detail15normal_iteratorINSA_7pointerIxNSA_11hip_rocprim3tagENSA_11use_defaultESG_EEEEPS6_NSA_18transform_iteratorINSA_8identityIxEENSC_INSA_10device_ptrIxEEEESG_SG_EENS0_5tupleIJPxSJ_EEENSR_IJSJ_SJ_EEES6_PlJS6_EEE10hipError_tPvRmT3_T4_T5_T6_T7_T9_mT8_P12ihipStream_tbDpT10_ENKUlT_T0_E_clISt17integral_constantIbLb0EES1F_EEDaS1A_S1B_EUlS1A_E_NS1_11comp_targetILNS1_3genE3ELNS1_11target_archE908ELNS1_3gpuE7ELNS1_3repE0EEENS1_30default_config_static_selectorELNS0_4arch9wavefront6targetE1EEEvT1_ ; -- Begin function _ZN7rocprim17ROCPRIM_400000_NS6detail17trampoline_kernelINS0_14default_configENS1_25partition_config_selectorILNS1_17partition_subalgoE2ExNS0_10empty_typeEbEEZZNS1_14partition_implILS5_2ELb0ES3_jN6thrust23THRUST_200600_302600_NS6detail15normal_iteratorINSA_7pointerIxNSA_11hip_rocprim3tagENSA_11use_defaultESG_EEEEPS6_NSA_18transform_iteratorINSA_8identityIxEENSC_INSA_10device_ptrIxEEEESG_SG_EENS0_5tupleIJPxSJ_EEENSR_IJSJ_SJ_EEES6_PlJS6_EEE10hipError_tPvRmT3_T4_T5_T6_T7_T9_mT8_P12ihipStream_tbDpT10_ENKUlT_T0_E_clISt17integral_constantIbLb0EES1F_EEDaS1A_S1B_EUlS1A_E_NS1_11comp_targetILNS1_3genE3ELNS1_11target_archE908ELNS1_3gpuE7ELNS1_3repE0EEENS1_30default_config_static_selectorELNS0_4arch9wavefront6targetE1EEEvT1_
	.globl	_ZN7rocprim17ROCPRIM_400000_NS6detail17trampoline_kernelINS0_14default_configENS1_25partition_config_selectorILNS1_17partition_subalgoE2ExNS0_10empty_typeEbEEZZNS1_14partition_implILS5_2ELb0ES3_jN6thrust23THRUST_200600_302600_NS6detail15normal_iteratorINSA_7pointerIxNSA_11hip_rocprim3tagENSA_11use_defaultESG_EEEEPS6_NSA_18transform_iteratorINSA_8identityIxEENSC_INSA_10device_ptrIxEEEESG_SG_EENS0_5tupleIJPxSJ_EEENSR_IJSJ_SJ_EEES6_PlJS6_EEE10hipError_tPvRmT3_T4_T5_T6_T7_T9_mT8_P12ihipStream_tbDpT10_ENKUlT_T0_E_clISt17integral_constantIbLb0EES1F_EEDaS1A_S1B_EUlS1A_E_NS1_11comp_targetILNS1_3genE3ELNS1_11target_archE908ELNS1_3gpuE7ELNS1_3repE0EEENS1_30default_config_static_selectorELNS0_4arch9wavefront6targetE1EEEvT1_
	.p2align	8
	.type	_ZN7rocprim17ROCPRIM_400000_NS6detail17trampoline_kernelINS0_14default_configENS1_25partition_config_selectorILNS1_17partition_subalgoE2ExNS0_10empty_typeEbEEZZNS1_14partition_implILS5_2ELb0ES3_jN6thrust23THRUST_200600_302600_NS6detail15normal_iteratorINSA_7pointerIxNSA_11hip_rocprim3tagENSA_11use_defaultESG_EEEEPS6_NSA_18transform_iteratorINSA_8identityIxEENSC_INSA_10device_ptrIxEEEESG_SG_EENS0_5tupleIJPxSJ_EEENSR_IJSJ_SJ_EEES6_PlJS6_EEE10hipError_tPvRmT3_T4_T5_T6_T7_T9_mT8_P12ihipStream_tbDpT10_ENKUlT_T0_E_clISt17integral_constantIbLb0EES1F_EEDaS1A_S1B_EUlS1A_E_NS1_11comp_targetILNS1_3genE3ELNS1_11target_archE908ELNS1_3gpuE7ELNS1_3repE0EEENS1_30default_config_static_selectorELNS0_4arch9wavefront6targetE1EEEvT1_,@function
_ZN7rocprim17ROCPRIM_400000_NS6detail17trampoline_kernelINS0_14default_configENS1_25partition_config_selectorILNS1_17partition_subalgoE2ExNS0_10empty_typeEbEEZZNS1_14partition_implILS5_2ELb0ES3_jN6thrust23THRUST_200600_302600_NS6detail15normal_iteratorINSA_7pointerIxNSA_11hip_rocprim3tagENSA_11use_defaultESG_EEEEPS6_NSA_18transform_iteratorINSA_8identityIxEENSC_INSA_10device_ptrIxEEEESG_SG_EENS0_5tupleIJPxSJ_EEENSR_IJSJ_SJ_EEES6_PlJS6_EEE10hipError_tPvRmT3_T4_T5_T6_T7_T9_mT8_P12ihipStream_tbDpT10_ENKUlT_T0_E_clISt17integral_constantIbLb0EES1F_EEDaS1A_S1B_EUlS1A_E_NS1_11comp_targetILNS1_3genE3ELNS1_11target_archE908ELNS1_3gpuE7ELNS1_3repE0EEENS1_30default_config_static_selectorELNS0_4arch9wavefront6targetE1EEEvT1_: ; @_ZN7rocprim17ROCPRIM_400000_NS6detail17trampoline_kernelINS0_14default_configENS1_25partition_config_selectorILNS1_17partition_subalgoE2ExNS0_10empty_typeEbEEZZNS1_14partition_implILS5_2ELb0ES3_jN6thrust23THRUST_200600_302600_NS6detail15normal_iteratorINSA_7pointerIxNSA_11hip_rocprim3tagENSA_11use_defaultESG_EEEEPS6_NSA_18transform_iteratorINSA_8identityIxEENSC_INSA_10device_ptrIxEEEESG_SG_EENS0_5tupleIJPxSJ_EEENSR_IJSJ_SJ_EEES6_PlJS6_EEE10hipError_tPvRmT3_T4_T5_T6_T7_T9_mT8_P12ihipStream_tbDpT10_ENKUlT_T0_E_clISt17integral_constantIbLb0EES1F_EEDaS1A_S1B_EUlS1A_E_NS1_11comp_targetILNS1_3genE3ELNS1_11target_archE908ELNS1_3gpuE7ELNS1_3repE0EEENS1_30default_config_static_selectorELNS0_4arch9wavefront6targetE1EEEvT1_
; %bb.0:
	.section	.rodata,"a",@progbits
	.p2align	6, 0x0
	.amdhsa_kernel _ZN7rocprim17ROCPRIM_400000_NS6detail17trampoline_kernelINS0_14default_configENS1_25partition_config_selectorILNS1_17partition_subalgoE2ExNS0_10empty_typeEbEEZZNS1_14partition_implILS5_2ELb0ES3_jN6thrust23THRUST_200600_302600_NS6detail15normal_iteratorINSA_7pointerIxNSA_11hip_rocprim3tagENSA_11use_defaultESG_EEEEPS6_NSA_18transform_iteratorINSA_8identityIxEENSC_INSA_10device_ptrIxEEEESG_SG_EENS0_5tupleIJPxSJ_EEENSR_IJSJ_SJ_EEES6_PlJS6_EEE10hipError_tPvRmT3_T4_T5_T6_T7_T9_mT8_P12ihipStream_tbDpT10_ENKUlT_T0_E_clISt17integral_constantIbLb0EES1F_EEDaS1A_S1B_EUlS1A_E_NS1_11comp_targetILNS1_3genE3ELNS1_11target_archE908ELNS1_3gpuE7ELNS1_3repE0EEENS1_30default_config_static_selectorELNS0_4arch9wavefront6targetE1EEEvT1_
		.amdhsa_group_segment_fixed_size 0
		.amdhsa_private_segment_fixed_size 0
		.amdhsa_kernarg_size 128
		.amdhsa_user_sgpr_count 2
		.amdhsa_user_sgpr_dispatch_ptr 0
		.amdhsa_user_sgpr_queue_ptr 0
		.amdhsa_user_sgpr_kernarg_segment_ptr 1
		.amdhsa_user_sgpr_dispatch_id 0
		.amdhsa_user_sgpr_kernarg_preload_length 0
		.amdhsa_user_sgpr_kernarg_preload_offset 0
		.amdhsa_user_sgpr_private_segment_size 0
		.amdhsa_uses_dynamic_stack 0
		.amdhsa_enable_private_segment 0
		.amdhsa_system_sgpr_workgroup_id_x 1
		.amdhsa_system_sgpr_workgroup_id_y 0
		.amdhsa_system_sgpr_workgroup_id_z 0
		.amdhsa_system_sgpr_workgroup_info 0
		.amdhsa_system_vgpr_workitem_id 0
		.amdhsa_next_free_vgpr 1
		.amdhsa_next_free_sgpr 0
		.amdhsa_accum_offset 4
		.amdhsa_reserve_vcc 0
		.amdhsa_float_round_mode_32 0
		.amdhsa_float_round_mode_16_64 0
		.amdhsa_float_denorm_mode_32 3
		.amdhsa_float_denorm_mode_16_64 3
		.amdhsa_dx10_clamp 1
		.amdhsa_ieee_mode 1
		.amdhsa_fp16_overflow 0
		.amdhsa_tg_split 0
		.amdhsa_exception_fp_ieee_invalid_op 0
		.amdhsa_exception_fp_denorm_src 0
		.amdhsa_exception_fp_ieee_div_zero 0
		.amdhsa_exception_fp_ieee_overflow 0
		.amdhsa_exception_fp_ieee_underflow 0
		.amdhsa_exception_fp_ieee_inexact 0
		.amdhsa_exception_int_div_zero 0
	.end_amdhsa_kernel
	.section	.text._ZN7rocprim17ROCPRIM_400000_NS6detail17trampoline_kernelINS0_14default_configENS1_25partition_config_selectorILNS1_17partition_subalgoE2ExNS0_10empty_typeEbEEZZNS1_14partition_implILS5_2ELb0ES3_jN6thrust23THRUST_200600_302600_NS6detail15normal_iteratorINSA_7pointerIxNSA_11hip_rocprim3tagENSA_11use_defaultESG_EEEEPS6_NSA_18transform_iteratorINSA_8identityIxEENSC_INSA_10device_ptrIxEEEESG_SG_EENS0_5tupleIJPxSJ_EEENSR_IJSJ_SJ_EEES6_PlJS6_EEE10hipError_tPvRmT3_T4_T5_T6_T7_T9_mT8_P12ihipStream_tbDpT10_ENKUlT_T0_E_clISt17integral_constantIbLb0EES1F_EEDaS1A_S1B_EUlS1A_E_NS1_11comp_targetILNS1_3genE3ELNS1_11target_archE908ELNS1_3gpuE7ELNS1_3repE0EEENS1_30default_config_static_selectorELNS0_4arch9wavefront6targetE1EEEvT1_,"axG",@progbits,_ZN7rocprim17ROCPRIM_400000_NS6detail17trampoline_kernelINS0_14default_configENS1_25partition_config_selectorILNS1_17partition_subalgoE2ExNS0_10empty_typeEbEEZZNS1_14partition_implILS5_2ELb0ES3_jN6thrust23THRUST_200600_302600_NS6detail15normal_iteratorINSA_7pointerIxNSA_11hip_rocprim3tagENSA_11use_defaultESG_EEEEPS6_NSA_18transform_iteratorINSA_8identityIxEENSC_INSA_10device_ptrIxEEEESG_SG_EENS0_5tupleIJPxSJ_EEENSR_IJSJ_SJ_EEES6_PlJS6_EEE10hipError_tPvRmT3_T4_T5_T6_T7_T9_mT8_P12ihipStream_tbDpT10_ENKUlT_T0_E_clISt17integral_constantIbLb0EES1F_EEDaS1A_S1B_EUlS1A_E_NS1_11comp_targetILNS1_3genE3ELNS1_11target_archE908ELNS1_3gpuE7ELNS1_3repE0EEENS1_30default_config_static_selectorELNS0_4arch9wavefront6targetE1EEEvT1_,comdat
.Lfunc_end484:
	.size	_ZN7rocprim17ROCPRIM_400000_NS6detail17trampoline_kernelINS0_14default_configENS1_25partition_config_selectorILNS1_17partition_subalgoE2ExNS0_10empty_typeEbEEZZNS1_14partition_implILS5_2ELb0ES3_jN6thrust23THRUST_200600_302600_NS6detail15normal_iteratorINSA_7pointerIxNSA_11hip_rocprim3tagENSA_11use_defaultESG_EEEEPS6_NSA_18transform_iteratorINSA_8identityIxEENSC_INSA_10device_ptrIxEEEESG_SG_EENS0_5tupleIJPxSJ_EEENSR_IJSJ_SJ_EEES6_PlJS6_EEE10hipError_tPvRmT3_T4_T5_T6_T7_T9_mT8_P12ihipStream_tbDpT10_ENKUlT_T0_E_clISt17integral_constantIbLb0EES1F_EEDaS1A_S1B_EUlS1A_E_NS1_11comp_targetILNS1_3genE3ELNS1_11target_archE908ELNS1_3gpuE7ELNS1_3repE0EEENS1_30default_config_static_selectorELNS0_4arch9wavefront6targetE1EEEvT1_, .Lfunc_end484-_ZN7rocprim17ROCPRIM_400000_NS6detail17trampoline_kernelINS0_14default_configENS1_25partition_config_selectorILNS1_17partition_subalgoE2ExNS0_10empty_typeEbEEZZNS1_14partition_implILS5_2ELb0ES3_jN6thrust23THRUST_200600_302600_NS6detail15normal_iteratorINSA_7pointerIxNSA_11hip_rocprim3tagENSA_11use_defaultESG_EEEEPS6_NSA_18transform_iteratorINSA_8identityIxEENSC_INSA_10device_ptrIxEEEESG_SG_EENS0_5tupleIJPxSJ_EEENSR_IJSJ_SJ_EEES6_PlJS6_EEE10hipError_tPvRmT3_T4_T5_T6_T7_T9_mT8_P12ihipStream_tbDpT10_ENKUlT_T0_E_clISt17integral_constantIbLb0EES1F_EEDaS1A_S1B_EUlS1A_E_NS1_11comp_targetILNS1_3genE3ELNS1_11target_archE908ELNS1_3gpuE7ELNS1_3repE0EEENS1_30default_config_static_selectorELNS0_4arch9wavefront6targetE1EEEvT1_
                                        ; -- End function
	.section	.AMDGPU.csdata,"",@progbits
; Kernel info:
; codeLenInByte = 0
; NumSgprs: 6
; NumVgprs: 0
; NumAgprs: 0
; TotalNumVgprs: 0
; ScratchSize: 0
; MemoryBound: 0
; FloatMode: 240
; IeeeMode: 1
; LDSByteSize: 0 bytes/workgroup (compile time only)
; SGPRBlocks: 0
; VGPRBlocks: 0
; NumSGPRsForWavesPerEU: 6
; NumVGPRsForWavesPerEU: 1
; AccumOffset: 4
; Occupancy: 8
; WaveLimiterHint : 0
; COMPUTE_PGM_RSRC2:SCRATCH_EN: 0
; COMPUTE_PGM_RSRC2:USER_SGPR: 2
; COMPUTE_PGM_RSRC2:TRAP_HANDLER: 0
; COMPUTE_PGM_RSRC2:TGID_X_EN: 1
; COMPUTE_PGM_RSRC2:TGID_Y_EN: 0
; COMPUTE_PGM_RSRC2:TGID_Z_EN: 0
; COMPUTE_PGM_RSRC2:TIDIG_COMP_CNT: 0
; COMPUTE_PGM_RSRC3_GFX90A:ACCUM_OFFSET: 0
; COMPUTE_PGM_RSRC3_GFX90A:TG_SPLIT: 0
	.section	.text._ZN7rocprim17ROCPRIM_400000_NS6detail17trampoline_kernelINS0_14default_configENS1_25partition_config_selectorILNS1_17partition_subalgoE2ExNS0_10empty_typeEbEEZZNS1_14partition_implILS5_2ELb0ES3_jN6thrust23THRUST_200600_302600_NS6detail15normal_iteratorINSA_7pointerIxNSA_11hip_rocprim3tagENSA_11use_defaultESG_EEEEPS6_NSA_18transform_iteratorINSA_8identityIxEENSC_INSA_10device_ptrIxEEEESG_SG_EENS0_5tupleIJPxSJ_EEENSR_IJSJ_SJ_EEES6_PlJS6_EEE10hipError_tPvRmT3_T4_T5_T6_T7_T9_mT8_P12ihipStream_tbDpT10_ENKUlT_T0_E_clISt17integral_constantIbLb0EES1F_EEDaS1A_S1B_EUlS1A_E_NS1_11comp_targetILNS1_3genE2ELNS1_11target_archE906ELNS1_3gpuE6ELNS1_3repE0EEENS1_30default_config_static_selectorELNS0_4arch9wavefront6targetE1EEEvT1_,"axG",@progbits,_ZN7rocprim17ROCPRIM_400000_NS6detail17trampoline_kernelINS0_14default_configENS1_25partition_config_selectorILNS1_17partition_subalgoE2ExNS0_10empty_typeEbEEZZNS1_14partition_implILS5_2ELb0ES3_jN6thrust23THRUST_200600_302600_NS6detail15normal_iteratorINSA_7pointerIxNSA_11hip_rocprim3tagENSA_11use_defaultESG_EEEEPS6_NSA_18transform_iteratorINSA_8identityIxEENSC_INSA_10device_ptrIxEEEESG_SG_EENS0_5tupleIJPxSJ_EEENSR_IJSJ_SJ_EEES6_PlJS6_EEE10hipError_tPvRmT3_T4_T5_T6_T7_T9_mT8_P12ihipStream_tbDpT10_ENKUlT_T0_E_clISt17integral_constantIbLb0EES1F_EEDaS1A_S1B_EUlS1A_E_NS1_11comp_targetILNS1_3genE2ELNS1_11target_archE906ELNS1_3gpuE6ELNS1_3repE0EEENS1_30default_config_static_selectorELNS0_4arch9wavefront6targetE1EEEvT1_,comdat
	.protected	_ZN7rocprim17ROCPRIM_400000_NS6detail17trampoline_kernelINS0_14default_configENS1_25partition_config_selectorILNS1_17partition_subalgoE2ExNS0_10empty_typeEbEEZZNS1_14partition_implILS5_2ELb0ES3_jN6thrust23THRUST_200600_302600_NS6detail15normal_iteratorINSA_7pointerIxNSA_11hip_rocprim3tagENSA_11use_defaultESG_EEEEPS6_NSA_18transform_iteratorINSA_8identityIxEENSC_INSA_10device_ptrIxEEEESG_SG_EENS0_5tupleIJPxSJ_EEENSR_IJSJ_SJ_EEES6_PlJS6_EEE10hipError_tPvRmT3_T4_T5_T6_T7_T9_mT8_P12ihipStream_tbDpT10_ENKUlT_T0_E_clISt17integral_constantIbLb0EES1F_EEDaS1A_S1B_EUlS1A_E_NS1_11comp_targetILNS1_3genE2ELNS1_11target_archE906ELNS1_3gpuE6ELNS1_3repE0EEENS1_30default_config_static_selectorELNS0_4arch9wavefront6targetE1EEEvT1_ ; -- Begin function _ZN7rocprim17ROCPRIM_400000_NS6detail17trampoline_kernelINS0_14default_configENS1_25partition_config_selectorILNS1_17partition_subalgoE2ExNS0_10empty_typeEbEEZZNS1_14partition_implILS5_2ELb0ES3_jN6thrust23THRUST_200600_302600_NS6detail15normal_iteratorINSA_7pointerIxNSA_11hip_rocprim3tagENSA_11use_defaultESG_EEEEPS6_NSA_18transform_iteratorINSA_8identityIxEENSC_INSA_10device_ptrIxEEEESG_SG_EENS0_5tupleIJPxSJ_EEENSR_IJSJ_SJ_EEES6_PlJS6_EEE10hipError_tPvRmT3_T4_T5_T6_T7_T9_mT8_P12ihipStream_tbDpT10_ENKUlT_T0_E_clISt17integral_constantIbLb0EES1F_EEDaS1A_S1B_EUlS1A_E_NS1_11comp_targetILNS1_3genE2ELNS1_11target_archE906ELNS1_3gpuE6ELNS1_3repE0EEENS1_30default_config_static_selectorELNS0_4arch9wavefront6targetE1EEEvT1_
	.globl	_ZN7rocprim17ROCPRIM_400000_NS6detail17trampoline_kernelINS0_14default_configENS1_25partition_config_selectorILNS1_17partition_subalgoE2ExNS0_10empty_typeEbEEZZNS1_14partition_implILS5_2ELb0ES3_jN6thrust23THRUST_200600_302600_NS6detail15normal_iteratorINSA_7pointerIxNSA_11hip_rocprim3tagENSA_11use_defaultESG_EEEEPS6_NSA_18transform_iteratorINSA_8identityIxEENSC_INSA_10device_ptrIxEEEESG_SG_EENS0_5tupleIJPxSJ_EEENSR_IJSJ_SJ_EEES6_PlJS6_EEE10hipError_tPvRmT3_T4_T5_T6_T7_T9_mT8_P12ihipStream_tbDpT10_ENKUlT_T0_E_clISt17integral_constantIbLb0EES1F_EEDaS1A_S1B_EUlS1A_E_NS1_11comp_targetILNS1_3genE2ELNS1_11target_archE906ELNS1_3gpuE6ELNS1_3repE0EEENS1_30default_config_static_selectorELNS0_4arch9wavefront6targetE1EEEvT1_
	.p2align	8
	.type	_ZN7rocprim17ROCPRIM_400000_NS6detail17trampoline_kernelINS0_14default_configENS1_25partition_config_selectorILNS1_17partition_subalgoE2ExNS0_10empty_typeEbEEZZNS1_14partition_implILS5_2ELb0ES3_jN6thrust23THRUST_200600_302600_NS6detail15normal_iteratorINSA_7pointerIxNSA_11hip_rocprim3tagENSA_11use_defaultESG_EEEEPS6_NSA_18transform_iteratorINSA_8identityIxEENSC_INSA_10device_ptrIxEEEESG_SG_EENS0_5tupleIJPxSJ_EEENSR_IJSJ_SJ_EEES6_PlJS6_EEE10hipError_tPvRmT3_T4_T5_T6_T7_T9_mT8_P12ihipStream_tbDpT10_ENKUlT_T0_E_clISt17integral_constantIbLb0EES1F_EEDaS1A_S1B_EUlS1A_E_NS1_11comp_targetILNS1_3genE2ELNS1_11target_archE906ELNS1_3gpuE6ELNS1_3repE0EEENS1_30default_config_static_selectorELNS0_4arch9wavefront6targetE1EEEvT1_,@function
_ZN7rocprim17ROCPRIM_400000_NS6detail17trampoline_kernelINS0_14default_configENS1_25partition_config_selectorILNS1_17partition_subalgoE2ExNS0_10empty_typeEbEEZZNS1_14partition_implILS5_2ELb0ES3_jN6thrust23THRUST_200600_302600_NS6detail15normal_iteratorINSA_7pointerIxNSA_11hip_rocprim3tagENSA_11use_defaultESG_EEEEPS6_NSA_18transform_iteratorINSA_8identityIxEENSC_INSA_10device_ptrIxEEEESG_SG_EENS0_5tupleIJPxSJ_EEENSR_IJSJ_SJ_EEES6_PlJS6_EEE10hipError_tPvRmT3_T4_T5_T6_T7_T9_mT8_P12ihipStream_tbDpT10_ENKUlT_T0_E_clISt17integral_constantIbLb0EES1F_EEDaS1A_S1B_EUlS1A_E_NS1_11comp_targetILNS1_3genE2ELNS1_11target_archE906ELNS1_3gpuE6ELNS1_3repE0EEENS1_30default_config_static_selectorELNS0_4arch9wavefront6targetE1EEEvT1_: ; @_ZN7rocprim17ROCPRIM_400000_NS6detail17trampoline_kernelINS0_14default_configENS1_25partition_config_selectorILNS1_17partition_subalgoE2ExNS0_10empty_typeEbEEZZNS1_14partition_implILS5_2ELb0ES3_jN6thrust23THRUST_200600_302600_NS6detail15normal_iteratorINSA_7pointerIxNSA_11hip_rocprim3tagENSA_11use_defaultESG_EEEEPS6_NSA_18transform_iteratorINSA_8identityIxEENSC_INSA_10device_ptrIxEEEESG_SG_EENS0_5tupleIJPxSJ_EEENSR_IJSJ_SJ_EEES6_PlJS6_EEE10hipError_tPvRmT3_T4_T5_T6_T7_T9_mT8_P12ihipStream_tbDpT10_ENKUlT_T0_E_clISt17integral_constantIbLb0EES1F_EEDaS1A_S1B_EUlS1A_E_NS1_11comp_targetILNS1_3genE2ELNS1_11target_archE906ELNS1_3gpuE6ELNS1_3repE0EEENS1_30default_config_static_selectorELNS0_4arch9wavefront6targetE1EEEvT1_
; %bb.0:
	.section	.rodata,"a",@progbits
	.p2align	6, 0x0
	.amdhsa_kernel _ZN7rocprim17ROCPRIM_400000_NS6detail17trampoline_kernelINS0_14default_configENS1_25partition_config_selectorILNS1_17partition_subalgoE2ExNS0_10empty_typeEbEEZZNS1_14partition_implILS5_2ELb0ES3_jN6thrust23THRUST_200600_302600_NS6detail15normal_iteratorINSA_7pointerIxNSA_11hip_rocprim3tagENSA_11use_defaultESG_EEEEPS6_NSA_18transform_iteratorINSA_8identityIxEENSC_INSA_10device_ptrIxEEEESG_SG_EENS0_5tupleIJPxSJ_EEENSR_IJSJ_SJ_EEES6_PlJS6_EEE10hipError_tPvRmT3_T4_T5_T6_T7_T9_mT8_P12ihipStream_tbDpT10_ENKUlT_T0_E_clISt17integral_constantIbLb0EES1F_EEDaS1A_S1B_EUlS1A_E_NS1_11comp_targetILNS1_3genE2ELNS1_11target_archE906ELNS1_3gpuE6ELNS1_3repE0EEENS1_30default_config_static_selectorELNS0_4arch9wavefront6targetE1EEEvT1_
		.amdhsa_group_segment_fixed_size 0
		.amdhsa_private_segment_fixed_size 0
		.amdhsa_kernarg_size 128
		.amdhsa_user_sgpr_count 2
		.amdhsa_user_sgpr_dispatch_ptr 0
		.amdhsa_user_sgpr_queue_ptr 0
		.amdhsa_user_sgpr_kernarg_segment_ptr 1
		.amdhsa_user_sgpr_dispatch_id 0
		.amdhsa_user_sgpr_kernarg_preload_length 0
		.amdhsa_user_sgpr_kernarg_preload_offset 0
		.amdhsa_user_sgpr_private_segment_size 0
		.amdhsa_uses_dynamic_stack 0
		.amdhsa_enable_private_segment 0
		.amdhsa_system_sgpr_workgroup_id_x 1
		.amdhsa_system_sgpr_workgroup_id_y 0
		.amdhsa_system_sgpr_workgroup_id_z 0
		.amdhsa_system_sgpr_workgroup_info 0
		.amdhsa_system_vgpr_workitem_id 0
		.amdhsa_next_free_vgpr 1
		.amdhsa_next_free_sgpr 0
		.amdhsa_accum_offset 4
		.amdhsa_reserve_vcc 0
		.amdhsa_float_round_mode_32 0
		.amdhsa_float_round_mode_16_64 0
		.amdhsa_float_denorm_mode_32 3
		.amdhsa_float_denorm_mode_16_64 3
		.amdhsa_dx10_clamp 1
		.amdhsa_ieee_mode 1
		.amdhsa_fp16_overflow 0
		.amdhsa_tg_split 0
		.amdhsa_exception_fp_ieee_invalid_op 0
		.amdhsa_exception_fp_denorm_src 0
		.amdhsa_exception_fp_ieee_div_zero 0
		.amdhsa_exception_fp_ieee_overflow 0
		.amdhsa_exception_fp_ieee_underflow 0
		.amdhsa_exception_fp_ieee_inexact 0
		.amdhsa_exception_int_div_zero 0
	.end_amdhsa_kernel
	.section	.text._ZN7rocprim17ROCPRIM_400000_NS6detail17trampoline_kernelINS0_14default_configENS1_25partition_config_selectorILNS1_17partition_subalgoE2ExNS0_10empty_typeEbEEZZNS1_14partition_implILS5_2ELb0ES3_jN6thrust23THRUST_200600_302600_NS6detail15normal_iteratorINSA_7pointerIxNSA_11hip_rocprim3tagENSA_11use_defaultESG_EEEEPS6_NSA_18transform_iteratorINSA_8identityIxEENSC_INSA_10device_ptrIxEEEESG_SG_EENS0_5tupleIJPxSJ_EEENSR_IJSJ_SJ_EEES6_PlJS6_EEE10hipError_tPvRmT3_T4_T5_T6_T7_T9_mT8_P12ihipStream_tbDpT10_ENKUlT_T0_E_clISt17integral_constantIbLb0EES1F_EEDaS1A_S1B_EUlS1A_E_NS1_11comp_targetILNS1_3genE2ELNS1_11target_archE906ELNS1_3gpuE6ELNS1_3repE0EEENS1_30default_config_static_selectorELNS0_4arch9wavefront6targetE1EEEvT1_,"axG",@progbits,_ZN7rocprim17ROCPRIM_400000_NS6detail17trampoline_kernelINS0_14default_configENS1_25partition_config_selectorILNS1_17partition_subalgoE2ExNS0_10empty_typeEbEEZZNS1_14partition_implILS5_2ELb0ES3_jN6thrust23THRUST_200600_302600_NS6detail15normal_iteratorINSA_7pointerIxNSA_11hip_rocprim3tagENSA_11use_defaultESG_EEEEPS6_NSA_18transform_iteratorINSA_8identityIxEENSC_INSA_10device_ptrIxEEEESG_SG_EENS0_5tupleIJPxSJ_EEENSR_IJSJ_SJ_EEES6_PlJS6_EEE10hipError_tPvRmT3_T4_T5_T6_T7_T9_mT8_P12ihipStream_tbDpT10_ENKUlT_T0_E_clISt17integral_constantIbLb0EES1F_EEDaS1A_S1B_EUlS1A_E_NS1_11comp_targetILNS1_3genE2ELNS1_11target_archE906ELNS1_3gpuE6ELNS1_3repE0EEENS1_30default_config_static_selectorELNS0_4arch9wavefront6targetE1EEEvT1_,comdat
.Lfunc_end485:
	.size	_ZN7rocprim17ROCPRIM_400000_NS6detail17trampoline_kernelINS0_14default_configENS1_25partition_config_selectorILNS1_17partition_subalgoE2ExNS0_10empty_typeEbEEZZNS1_14partition_implILS5_2ELb0ES3_jN6thrust23THRUST_200600_302600_NS6detail15normal_iteratorINSA_7pointerIxNSA_11hip_rocprim3tagENSA_11use_defaultESG_EEEEPS6_NSA_18transform_iteratorINSA_8identityIxEENSC_INSA_10device_ptrIxEEEESG_SG_EENS0_5tupleIJPxSJ_EEENSR_IJSJ_SJ_EEES6_PlJS6_EEE10hipError_tPvRmT3_T4_T5_T6_T7_T9_mT8_P12ihipStream_tbDpT10_ENKUlT_T0_E_clISt17integral_constantIbLb0EES1F_EEDaS1A_S1B_EUlS1A_E_NS1_11comp_targetILNS1_3genE2ELNS1_11target_archE906ELNS1_3gpuE6ELNS1_3repE0EEENS1_30default_config_static_selectorELNS0_4arch9wavefront6targetE1EEEvT1_, .Lfunc_end485-_ZN7rocprim17ROCPRIM_400000_NS6detail17trampoline_kernelINS0_14default_configENS1_25partition_config_selectorILNS1_17partition_subalgoE2ExNS0_10empty_typeEbEEZZNS1_14partition_implILS5_2ELb0ES3_jN6thrust23THRUST_200600_302600_NS6detail15normal_iteratorINSA_7pointerIxNSA_11hip_rocprim3tagENSA_11use_defaultESG_EEEEPS6_NSA_18transform_iteratorINSA_8identityIxEENSC_INSA_10device_ptrIxEEEESG_SG_EENS0_5tupleIJPxSJ_EEENSR_IJSJ_SJ_EEES6_PlJS6_EEE10hipError_tPvRmT3_T4_T5_T6_T7_T9_mT8_P12ihipStream_tbDpT10_ENKUlT_T0_E_clISt17integral_constantIbLb0EES1F_EEDaS1A_S1B_EUlS1A_E_NS1_11comp_targetILNS1_3genE2ELNS1_11target_archE906ELNS1_3gpuE6ELNS1_3repE0EEENS1_30default_config_static_selectorELNS0_4arch9wavefront6targetE1EEEvT1_
                                        ; -- End function
	.section	.AMDGPU.csdata,"",@progbits
; Kernel info:
; codeLenInByte = 0
; NumSgprs: 6
; NumVgprs: 0
; NumAgprs: 0
; TotalNumVgprs: 0
; ScratchSize: 0
; MemoryBound: 0
; FloatMode: 240
; IeeeMode: 1
; LDSByteSize: 0 bytes/workgroup (compile time only)
; SGPRBlocks: 0
; VGPRBlocks: 0
; NumSGPRsForWavesPerEU: 6
; NumVGPRsForWavesPerEU: 1
; AccumOffset: 4
; Occupancy: 8
; WaveLimiterHint : 0
; COMPUTE_PGM_RSRC2:SCRATCH_EN: 0
; COMPUTE_PGM_RSRC2:USER_SGPR: 2
; COMPUTE_PGM_RSRC2:TRAP_HANDLER: 0
; COMPUTE_PGM_RSRC2:TGID_X_EN: 1
; COMPUTE_PGM_RSRC2:TGID_Y_EN: 0
; COMPUTE_PGM_RSRC2:TGID_Z_EN: 0
; COMPUTE_PGM_RSRC2:TIDIG_COMP_CNT: 0
; COMPUTE_PGM_RSRC3_GFX90A:ACCUM_OFFSET: 0
; COMPUTE_PGM_RSRC3_GFX90A:TG_SPLIT: 0
	.section	.text._ZN7rocprim17ROCPRIM_400000_NS6detail17trampoline_kernelINS0_14default_configENS1_25partition_config_selectorILNS1_17partition_subalgoE2ExNS0_10empty_typeEbEEZZNS1_14partition_implILS5_2ELb0ES3_jN6thrust23THRUST_200600_302600_NS6detail15normal_iteratorINSA_7pointerIxNSA_11hip_rocprim3tagENSA_11use_defaultESG_EEEEPS6_NSA_18transform_iteratorINSA_8identityIxEENSC_INSA_10device_ptrIxEEEESG_SG_EENS0_5tupleIJPxSJ_EEENSR_IJSJ_SJ_EEES6_PlJS6_EEE10hipError_tPvRmT3_T4_T5_T6_T7_T9_mT8_P12ihipStream_tbDpT10_ENKUlT_T0_E_clISt17integral_constantIbLb0EES1F_EEDaS1A_S1B_EUlS1A_E_NS1_11comp_targetILNS1_3genE10ELNS1_11target_archE1200ELNS1_3gpuE4ELNS1_3repE0EEENS1_30default_config_static_selectorELNS0_4arch9wavefront6targetE1EEEvT1_,"axG",@progbits,_ZN7rocprim17ROCPRIM_400000_NS6detail17trampoline_kernelINS0_14default_configENS1_25partition_config_selectorILNS1_17partition_subalgoE2ExNS0_10empty_typeEbEEZZNS1_14partition_implILS5_2ELb0ES3_jN6thrust23THRUST_200600_302600_NS6detail15normal_iteratorINSA_7pointerIxNSA_11hip_rocprim3tagENSA_11use_defaultESG_EEEEPS6_NSA_18transform_iteratorINSA_8identityIxEENSC_INSA_10device_ptrIxEEEESG_SG_EENS0_5tupleIJPxSJ_EEENSR_IJSJ_SJ_EEES6_PlJS6_EEE10hipError_tPvRmT3_T4_T5_T6_T7_T9_mT8_P12ihipStream_tbDpT10_ENKUlT_T0_E_clISt17integral_constantIbLb0EES1F_EEDaS1A_S1B_EUlS1A_E_NS1_11comp_targetILNS1_3genE10ELNS1_11target_archE1200ELNS1_3gpuE4ELNS1_3repE0EEENS1_30default_config_static_selectorELNS0_4arch9wavefront6targetE1EEEvT1_,comdat
	.protected	_ZN7rocprim17ROCPRIM_400000_NS6detail17trampoline_kernelINS0_14default_configENS1_25partition_config_selectorILNS1_17partition_subalgoE2ExNS0_10empty_typeEbEEZZNS1_14partition_implILS5_2ELb0ES3_jN6thrust23THRUST_200600_302600_NS6detail15normal_iteratorINSA_7pointerIxNSA_11hip_rocprim3tagENSA_11use_defaultESG_EEEEPS6_NSA_18transform_iteratorINSA_8identityIxEENSC_INSA_10device_ptrIxEEEESG_SG_EENS0_5tupleIJPxSJ_EEENSR_IJSJ_SJ_EEES6_PlJS6_EEE10hipError_tPvRmT3_T4_T5_T6_T7_T9_mT8_P12ihipStream_tbDpT10_ENKUlT_T0_E_clISt17integral_constantIbLb0EES1F_EEDaS1A_S1B_EUlS1A_E_NS1_11comp_targetILNS1_3genE10ELNS1_11target_archE1200ELNS1_3gpuE4ELNS1_3repE0EEENS1_30default_config_static_selectorELNS0_4arch9wavefront6targetE1EEEvT1_ ; -- Begin function _ZN7rocprim17ROCPRIM_400000_NS6detail17trampoline_kernelINS0_14default_configENS1_25partition_config_selectorILNS1_17partition_subalgoE2ExNS0_10empty_typeEbEEZZNS1_14partition_implILS5_2ELb0ES3_jN6thrust23THRUST_200600_302600_NS6detail15normal_iteratorINSA_7pointerIxNSA_11hip_rocprim3tagENSA_11use_defaultESG_EEEEPS6_NSA_18transform_iteratorINSA_8identityIxEENSC_INSA_10device_ptrIxEEEESG_SG_EENS0_5tupleIJPxSJ_EEENSR_IJSJ_SJ_EEES6_PlJS6_EEE10hipError_tPvRmT3_T4_T5_T6_T7_T9_mT8_P12ihipStream_tbDpT10_ENKUlT_T0_E_clISt17integral_constantIbLb0EES1F_EEDaS1A_S1B_EUlS1A_E_NS1_11comp_targetILNS1_3genE10ELNS1_11target_archE1200ELNS1_3gpuE4ELNS1_3repE0EEENS1_30default_config_static_selectorELNS0_4arch9wavefront6targetE1EEEvT1_
	.globl	_ZN7rocprim17ROCPRIM_400000_NS6detail17trampoline_kernelINS0_14default_configENS1_25partition_config_selectorILNS1_17partition_subalgoE2ExNS0_10empty_typeEbEEZZNS1_14partition_implILS5_2ELb0ES3_jN6thrust23THRUST_200600_302600_NS6detail15normal_iteratorINSA_7pointerIxNSA_11hip_rocprim3tagENSA_11use_defaultESG_EEEEPS6_NSA_18transform_iteratorINSA_8identityIxEENSC_INSA_10device_ptrIxEEEESG_SG_EENS0_5tupleIJPxSJ_EEENSR_IJSJ_SJ_EEES6_PlJS6_EEE10hipError_tPvRmT3_T4_T5_T6_T7_T9_mT8_P12ihipStream_tbDpT10_ENKUlT_T0_E_clISt17integral_constantIbLb0EES1F_EEDaS1A_S1B_EUlS1A_E_NS1_11comp_targetILNS1_3genE10ELNS1_11target_archE1200ELNS1_3gpuE4ELNS1_3repE0EEENS1_30default_config_static_selectorELNS0_4arch9wavefront6targetE1EEEvT1_
	.p2align	8
	.type	_ZN7rocprim17ROCPRIM_400000_NS6detail17trampoline_kernelINS0_14default_configENS1_25partition_config_selectorILNS1_17partition_subalgoE2ExNS0_10empty_typeEbEEZZNS1_14partition_implILS5_2ELb0ES3_jN6thrust23THRUST_200600_302600_NS6detail15normal_iteratorINSA_7pointerIxNSA_11hip_rocprim3tagENSA_11use_defaultESG_EEEEPS6_NSA_18transform_iteratorINSA_8identityIxEENSC_INSA_10device_ptrIxEEEESG_SG_EENS0_5tupleIJPxSJ_EEENSR_IJSJ_SJ_EEES6_PlJS6_EEE10hipError_tPvRmT3_T4_T5_T6_T7_T9_mT8_P12ihipStream_tbDpT10_ENKUlT_T0_E_clISt17integral_constantIbLb0EES1F_EEDaS1A_S1B_EUlS1A_E_NS1_11comp_targetILNS1_3genE10ELNS1_11target_archE1200ELNS1_3gpuE4ELNS1_3repE0EEENS1_30default_config_static_selectorELNS0_4arch9wavefront6targetE1EEEvT1_,@function
_ZN7rocprim17ROCPRIM_400000_NS6detail17trampoline_kernelINS0_14default_configENS1_25partition_config_selectorILNS1_17partition_subalgoE2ExNS0_10empty_typeEbEEZZNS1_14partition_implILS5_2ELb0ES3_jN6thrust23THRUST_200600_302600_NS6detail15normal_iteratorINSA_7pointerIxNSA_11hip_rocprim3tagENSA_11use_defaultESG_EEEEPS6_NSA_18transform_iteratorINSA_8identityIxEENSC_INSA_10device_ptrIxEEEESG_SG_EENS0_5tupleIJPxSJ_EEENSR_IJSJ_SJ_EEES6_PlJS6_EEE10hipError_tPvRmT3_T4_T5_T6_T7_T9_mT8_P12ihipStream_tbDpT10_ENKUlT_T0_E_clISt17integral_constantIbLb0EES1F_EEDaS1A_S1B_EUlS1A_E_NS1_11comp_targetILNS1_3genE10ELNS1_11target_archE1200ELNS1_3gpuE4ELNS1_3repE0EEENS1_30default_config_static_selectorELNS0_4arch9wavefront6targetE1EEEvT1_: ; @_ZN7rocprim17ROCPRIM_400000_NS6detail17trampoline_kernelINS0_14default_configENS1_25partition_config_selectorILNS1_17partition_subalgoE2ExNS0_10empty_typeEbEEZZNS1_14partition_implILS5_2ELb0ES3_jN6thrust23THRUST_200600_302600_NS6detail15normal_iteratorINSA_7pointerIxNSA_11hip_rocprim3tagENSA_11use_defaultESG_EEEEPS6_NSA_18transform_iteratorINSA_8identityIxEENSC_INSA_10device_ptrIxEEEESG_SG_EENS0_5tupleIJPxSJ_EEENSR_IJSJ_SJ_EEES6_PlJS6_EEE10hipError_tPvRmT3_T4_T5_T6_T7_T9_mT8_P12ihipStream_tbDpT10_ENKUlT_T0_E_clISt17integral_constantIbLb0EES1F_EEDaS1A_S1B_EUlS1A_E_NS1_11comp_targetILNS1_3genE10ELNS1_11target_archE1200ELNS1_3gpuE4ELNS1_3repE0EEENS1_30default_config_static_selectorELNS0_4arch9wavefront6targetE1EEEvT1_
; %bb.0:
	.section	.rodata,"a",@progbits
	.p2align	6, 0x0
	.amdhsa_kernel _ZN7rocprim17ROCPRIM_400000_NS6detail17trampoline_kernelINS0_14default_configENS1_25partition_config_selectorILNS1_17partition_subalgoE2ExNS0_10empty_typeEbEEZZNS1_14partition_implILS5_2ELb0ES3_jN6thrust23THRUST_200600_302600_NS6detail15normal_iteratorINSA_7pointerIxNSA_11hip_rocprim3tagENSA_11use_defaultESG_EEEEPS6_NSA_18transform_iteratorINSA_8identityIxEENSC_INSA_10device_ptrIxEEEESG_SG_EENS0_5tupleIJPxSJ_EEENSR_IJSJ_SJ_EEES6_PlJS6_EEE10hipError_tPvRmT3_T4_T5_T6_T7_T9_mT8_P12ihipStream_tbDpT10_ENKUlT_T0_E_clISt17integral_constantIbLb0EES1F_EEDaS1A_S1B_EUlS1A_E_NS1_11comp_targetILNS1_3genE10ELNS1_11target_archE1200ELNS1_3gpuE4ELNS1_3repE0EEENS1_30default_config_static_selectorELNS0_4arch9wavefront6targetE1EEEvT1_
		.amdhsa_group_segment_fixed_size 0
		.amdhsa_private_segment_fixed_size 0
		.amdhsa_kernarg_size 128
		.amdhsa_user_sgpr_count 2
		.amdhsa_user_sgpr_dispatch_ptr 0
		.amdhsa_user_sgpr_queue_ptr 0
		.amdhsa_user_sgpr_kernarg_segment_ptr 1
		.amdhsa_user_sgpr_dispatch_id 0
		.amdhsa_user_sgpr_kernarg_preload_length 0
		.amdhsa_user_sgpr_kernarg_preload_offset 0
		.amdhsa_user_sgpr_private_segment_size 0
		.amdhsa_uses_dynamic_stack 0
		.amdhsa_enable_private_segment 0
		.amdhsa_system_sgpr_workgroup_id_x 1
		.amdhsa_system_sgpr_workgroup_id_y 0
		.amdhsa_system_sgpr_workgroup_id_z 0
		.amdhsa_system_sgpr_workgroup_info 0
		.amdhsa_system_vgpr_workitem_id 0
		.amdhsa_next_free_vgpr 1
		.amdhsa_next_free_sgpr 0
		.amdhsa_accum_offset 4
		.amdhsa_reserve_vcc 0
		.amdhsa_float_round_mode_32 0
		.amdhsa_float_round_mode_16_64 0
		.amdhsa_float_denorm_mode_32 3
		.amdhsa_float_denorm_mode_16_64 3
		.amdhsa_dx10_clamp 1
		.amdhsa_ieee_mode 1
		.amdhsa_fp16_overflow 0
		.amdhsa_tg_split 0
		.amdhsa_exception_fp_ieee_invalid_op 0
		.amdhsa_exception_fp_denorm_src 0
		.amdhsa_exception_fp_ieee_div_zero 0
		.amdhsa_exception_fp_ieee_overflow 0
		.amdhsa_exception_fp_ieee_underflow 0
		.amdhsa_exception_fp_ieee_inexact 0
		.amdhsa_exception_int_div_zero 0
	.end_amdhsa_kernel
	.section	.text._ZN7rocprim17ROCPRIM_400000_NS6detail17trampoline_kernelINS0_14default_configENS1_25partition_config_selectorILNS1_17partition_subalgoE2ExNS0_10empty_typeEbEEZZNS1_14partition_implILS5_2ELb0ES3_jN6thrust23THRUST_200600_302600_NS6detail15normal_iteratorINSA_7pointerIxNSA_11hip_rocprim3tagENSA_11use_defaultESG_EEEEPS6_NSA_18transform_iteratorINSA_8identityIxEENSC_INSA_10device_ptrIxEEEESG_SG_EENS0_5tupleIJPxSJ_EEENSR_IJSJ_SJ_EEES6_PlJS6_EEE10hipError_tPvRmT3_T4_T5_T6_T7_T9_mT8_P12ihipStream_tbDpT10_ENKUlT_T0_E_clISt17integral_constantIbLb0EES1F_EEDaS1A_S1B_EUlS1A_E_NS1_11comp_targetILNS1_3genE10ELNS1_11target_archE1200ELNS1_3gpuE4ELNS1_3repE0EEENS1_30default_config_static_selectorELNS0_4arch9wavefront6targetE1EEEvT1_,"axG",@progbits,_ZN7rocprim17ROCPRIM_400000_NS6detail17trampoline_kernelINS0_14default_configENS1_25partition_config_selectorILNS1_17partition_subalgoE2ExNS0_10empty_typeEbEEZZNS1_14partition_implILS5_2ELb0ES3_jN6thrust23THRUST_200600_302600_NS6detail15normal_iteratorINSA_7pointerIxNSA_11hip_rocprim3tagENSA_11use_defaultESG_EEEEPS6_NSA_18transform_iteratorINSA_8identityIxEENSC_INSA_10device_ptrIxEEEESG_SG_EENS0_5tupleIJPxSJ_EEENSR_IJSJ_SJ_EEES6_PlJS6_EEE10hipError_tPvRmT3_T4_T5_T6_T7_T9_mT8_P12ihipStream_tbDpT10_ENKUlT_T0_E_clISt17integral_constantIbLb0EES1F_EEDaS1A_S1B_EUlS1A_E_NS1_11comp_targetILNS1_3genE10ELNS1_11target_archE1200ELNS1_3gpuE4ELNS1_3repE0EEENS1_30default_config_static_selectorELNS0_4arch9wavefront6targetE1EEEvT1_,comdat
.Lfunc_end486:
	.size	_ZN7rocprim17ROCPRIM_400000_NS6detail17trampoline_kernelINS0_14default_configENS1_25partition_config_selectorILNS1_17partition_subalgoE2ExNS0_10empty_typeEbEEZZNS1_14partition_implILS5_2ELb0ES3_jN6thrust23THRUST_200600_302600_NS6detail15normal_iteratorINSA_7pointerIxNSA_11hip_rocprim3tagENSA_11use_defaultESG_EEEEPS6_NSA_18transform_iteratorINSA_8identityIxEENSC_INSA_10device_ptrIxEEEESG_SG_EENS0_5tupleIJPxSJ_EEENSR_IJSJ_SJ_EEES6_PlJS6_EEE10hipError_tPvRmT3_T4_T5_T6_T7_T9_mT8_P12ihipStream_tbDpT10_ENKUlT_T0_E_clISt17integral_constantIbLb0EES1F_EEDaS1A_S1B_EUlS1A_E_NS1_11comp_targetILNS1_3genE10ELNS1_11target_archE1200ELNS1_3gpuE4ELNS1_3repE0EEENS1_30default_config_static_selectorELNS0_4arch9wavefront6targetE1EEEvT1_, .Lfunc_end486-_ZN7rocprim17ROCPRIM_400000_NS6detail17trampoline_kernelINS0_14default_configENS1_25partition_config_selectorILNS1_17partition_subalgoE2ExNS0_10empty_typeEbEEZZNS1_14partition_implILS5_2ELb0ES3_jN6thrust23THRUST_200600_302600_NS6detail15normal_iteratorINSA_7pointerIxNSA_11hip_rocprim3tagENSA_11use_defaultESG_EEEEPS6_NSA_18transform_iteratorINSA_8identityIxEENSC_INSA_10device_ptrIxEEEESG_SG_EENS0_5tupleIJPxSJ_EEENSR_IJSJ_SJ_EEES6_PlJS6_EEE10hipError_tPvRmT3_T4_T5_T6_T7_T9_mT8_P12ihipStream_tbDpT10_ENKUlT_T0_E_clISt17integral_constantIbLb0EES1F_EEDaS1A_S1B_EUlS1A_E_NS1_11comp_targetILNS1_3genE10ELNS1_11target_archE1200ELNS1_3gpuE4ELNS1_3repE0EEENS1_30default_config_static_selectorELNS0_4arch9wavefront6targetE1EEEvT1_
                                        ; -- End function
	.section	.AMDGPU.csdata,"",@progbits
; Kernel info:
; codeLenInByte = 0
; NumSgprs: 6
; NumVgprs: 0
; NumAgprs: 0
; TotalNumVgprs: 0
; ScratchSize: 0
; MemoryBound: 0
; FloatMode: 240
; IeeeMode: 1
; LDSByteSize: 0 bytes/workgroup (compile time only)
; SGPRBlocks: 0
; VGPRBlocks: 0
; NumSGPRsForWavesPerEU: 6
; NumVGPRsForWavesPerEU: 1
; AccumOffset: 4
; Occupancy: 8
; WaveLimiterHint : 0
; COMPUTE_PGM_RSRC2:SCRATCH_EN: 0
; COMPUTE_PGM_RSRC2:USER_SGPR: 2
; COMPUTE_PGM_RSRC2:TRAP_HANDLER: 0
; COMPUTE_PGM_RSRC2:TGID_X_EN: 1
; COMPUTE_PGM_RSRC2:TGID_Y_EN: 0
; COMPUTE_PGM_RSRC2:TGID_Z_EN: 0
; COMPUTE_PGM_RSRC2:TIDIG_COMP_CNT: 0
; COMPUTE_PGM_RSRC3_GFX90A:ACCUM_OFFSET: 0
; COMPUTE_PGM_RSRC3_GFX90A:TG_SPLIT: 0
	.section	.text._ZN7rocprim17ROCPRIM_400000_NS6detail17trampoline_kernelINS0_14default_configENS1_25partition_config_selectorILNS1_17partition_subalgoE2ExNS0_10empty_typeEbEEZZNS1_14partition_implILS5_2ELb0ES3_jN6thrust23THRUST_200600_302600_NS6detail15normal_iteratorINSA_7pointerIxNSA_11hip_rocprim3tagENSA_11use_defaultESG_EEEEPS6_NSA_18transform_iteratorINSA_8identityIxEENSC_INSA_10device_ptrIxEEEESG_SG_EENS0_5tupleIJPxSJ_EEENSR_IJSJ_SJ_EEES6_PlJS6_EEE10hipError_tPvRmT3_T4_T5_T6_T7_T9_mT8_P12ihipStream_tbDpT10_ENKUlT_T0_E_clISt17integral_constantIbLb0EES1F_EEDaS1A_S1B_EUlS1A_E_NS1_11comp_targetILNS1_3genE9ELNS1_11target_archE1100ELNS1_3gpuE3ELNS1_3repE0EEENS1_30default_config_static_selectorELNS0_4arch9wavefront6targetE1EEEvT1_,"axG",@progbits,_ZN7rocprim17ROCPRIM_400000_NS6detail17trampoline_kernelINS0_14default_configENS1_25partition_config_selectorILNS1_17partition_subalgoE2ExNS0_10empty_typeEbEEZZNS1_14partition_implILS5_2ELb0ES3_jN6thrust23THRUST_200600_302600_NS6detail15normal_iteratorINSA_7pointerIxNSA_11hip_rocprim3tagENSA_11use_defaultESG_EEEEPS6_NSA_18transform_iteratorINSA_8identityIxEENSC_INSA_10device_ptrIxEEEESG_SG_EENS0_5tupleIJPxSJ_EEENSR_IJSJ_SJ_EEES6_PlJS6_EEE10hipError_tPvRmT3_T4_T5_T6_T7_T9_mT8_P12ihipStream_tbDpT10_ENKUlT_T0_E_clISt17integral_constantIbLb0EES1F_EEDaS1A_S1B_EUlS1A_E_NS1_11comp_targetILNS1_3genE9ELNS1_11target_archE1100ELNS1_3gpuE3ELNS1_3repE0EEENS1_30default_config_static_selectorELNS0_4arch9wavefront6targetE1EEEvT1_,comdat
	.protected	_ZN7rocprim17ROCPRIM_400000_NS6detail17trampoline_kernelINS0_14default_configENS1_25partition_config_selectorILNS1_17partition_subalgoE2ExNS0_10empty_typeEbEEZZNS1_14partition_implILS5_2ELb0ES3_jN6thrust23THRUST_200600_302600_NS6detail15normal_iteratorINSA_7pointerIxNSA_11hip_rocprim3tagENSA_11use_defaultESG_EEEEPS6_NSA_18transform_iteratorINSA_8identityIxEENSC_INSA_10device_ptrIxEEEESG_SG_EENS0_5tupleIJPxSJ_EEENSR_IJSJ_SJ_EEES6_PlJS6_EEE10hipError_tPvRmT3_T4_T5_T6_T7_T9_mT8_P12ihipStream_tbDpT10_ENKUlT_T0_E_clISt17integral_constantIbLb0EES1F_EEDaS1A_S1B_EUlS1A_E_NS1_11comp_targetILNS1_3genE9ELNS1_11target_archE1100ELNS1_3gpuE3ELNS1_3repE0EEENS1_30default_config_static_selectorELNS0_4arch9wavefront6targetE1EEEvT1_ ; -- Begin function _ZN7rocprim17ROCPRIM_400000_NS6detail17trampoline_kernelINS0_14default_configENS1_25partition_config_selectorILNS1_17partition_subalgoE2ExNS0_10empty_typeEbEEZZNS1_14partition_implILS5_2ELb0ES3_jN6thrust23THRUST_200600_302600_NS6detail15normal_iteratorINSA_7pointerIxNSA_11hip_rocprim3tagENSA_11use_defaultESG_EEEEPS6_NSA_18transform_iteratorINSA_8identityIxEENSC_INSA_10device_ptrIxEEEESG_SG_EENS0_5tupleIJPxSJ_EEENSR_IJSJ_SJ_EEES6_PlJS6_EEE10hipError_tPvRmT3_T4_T5_T6_T7_T9_mT8_P12ihipStream_tbDpT10_ENKUlT_T0_E_clISt17integral_constantIbLb0EES1F_EEDaS1A_S1B_EUlS1A_E_NS1_11comp_targetILNS1_3genE9ELNS1_11target_archE1100ELNS1_3gpuE3ELNS1_3repE0EEENS1_30default_config_static_selectorELNS0_4arch9wavefront6targetE1EEEvT1_
	.globl	_ZN7rocprim17ROCPRIM_400000_NS6detail17trampoline_kernelINS0_14default_configENS1_25partition_config_selectorILNS1_17partition_subalgoE2ExNS0_10empty_typeEbEEZZNS1_14partition_implILS5_2ELb0ES3_jN6thrust23THRUST_200600_302600_NS6detail15normal_iteratorINSA_7pointerIxNSA_11hip_rocprim3tagENSA_11use_defaultESG_EEEEPS6_NSA_18transform_iteratorINSA_8identityIxEENSC_INSA_10device_ptrIxEEEESG_SG_EENS0_5tupleIJPxSJ_EEENSR_IJSJ_SJ_EEES6_PlJS6_EEE10hipError_tPvRmT3_T4_T5_T6_T7_T9_mT8_P12ihipStream_tbDpT10_ENKUlT_T0_E_clISt17integral_constantIbLb0EES1F_EEDaS1A_S1B_EUlS1A_E_NS1_11comp_targetILNS1_3genE9ELNS1_11target_archE1100ELNS1_3gpuE3ELNS1_3repE0EEENS1_30default_config_static_selectorELNS0_4arch9wavefront6targetE1EEEvT1_
	.p2align	8
	.type	_ZN7rocprim17ROCPRIM_400000_NS6detail17trampoline_kernelINS0_14default_configENS1_25partition_config_selectorILNS1_17partition_subalgoE2ExNS0_10empty_typeEbEEZZNS1_14partition_implILS5_2ELb0ES3_jN6thrust23THRUST_200600_302600_NS6detail15normal_iteratorINSA_7pointerIxNSA_11hip_rocprim3tagENSA_11use_defaultESG_EEEEPS6_NSA_18transform_iteratorINSA_8identityIxEENSC_INSA_10device_ptrIxEEEESG_SG_EENS0_5tupleIJPxSJ_EEENSR_IJSJ_SJ_EEES6_PlJS6_EEE10hipError_tPvRmT3_T4_T5_T6_T7_T9_mT8_P12ihipStream_tbDpT10_ENKUlT_T0_E_clISt17integral_constantIbLb0EES1F_EEDaS1A_S1B_EUlS1A_E_NS1_11comp_targetILNS1_3genE9ELNS1_11target_archE1100ELNS1_3gpuE3ELNS1_3repE0EEENS1_30default_config_static_selectorELNS0_4arch9wavefront6targetE1EEEvT1_,@function
_ZN7rocprim17ROCPRIM_400000_NS6detail17trampoline_kernelINS0_14default_configENS1_25partition_config_selectorILNS1_17partition_subalgoE2ExNS0_10empty_typeEbEEZZNS1_14partition_implILS5_2ELb0ES3_jN6thrust23THRUST_200600_302600_NS6detail15normal_iteratorINSA_7pointerIxNSA_11hip_rocprim3tagENSA_11use_defaultESG_EEEEPS6_NSA_18transform_iteratorINSA_8identityIxEENSC_INSA_10device_ptrIxEEEESG_SG_EENS0_5tupleIJPxSJ_EEENSR_IJSJ_SJ_EEES6_PlJS6_EEE10hipError_tPvRmT3_T4_T5_T6_T7_T9_mT8_P12ihipStream_tbDpT10_ENKUlT_T0_E_clISt17integral_constantIbLb0EES1F_EEDaS1A_S1B_EUlS1A_E_NS1_11comp_targetILNS1_3genE9ELNS1_11target_archE1100ELNS1_3gpuE3ELNS1_3repE0EEENS1_30default_config_static_selectorELNS0_4arch9wavefront6targetE1EEEvT1_: ; @_ZN7rocprim17ROCPRIM_400000_NS6detail17trampoline_kernelINS0_14default_configENS1_25partition_config_selectorILNS1_17partition_subalgoE2ExNS0_10empty_typeEbEEZZNS1_14partition_implILS5_2ELb0ES3_jN6thrust23THRUST_200600_302600_NS6detail15normal_iteratorINSA_7pointerIxNSA_11hip_rocprim3tagENSA_11use_defaultESG_EEEEPS6_NSA_18transform_iteratorINSA_8identityIxEENSC_INSA_10device_ptrIxEEEESG_SG_EENS0_5tupleIJPxSJ_EEENSR_IJSJ_SJ_EEES6_PlJS6_EEE10hipError_tPvRmT3_T4_T5_T6_T7_T9_mT8_P12ihipStream_tbDpT10_ENKUlT_T0_E_clISt17integral_constantIbLb0EES1F_EEDaS1A_S1B_EUlS1A_E_NS1_11comp_targetILNS1_3genE9ELNS1_11target_archE1100ELNS1_3gpuE3ELNS1_3repE0EEENS1_30default_config_static_selectorELNS0_4arch9wavefront6targetE1EEEvT1_
; %bb.0:
	.section	.rodata,"a",@progbits
	.p2align	6, 0x0
	.amdhsa_kernel _ZN7rocprim17ROCPRIM_400000_NS6detail17trampoline_kernelINS0_14default_configENS1_25partition_config_selectorILNS1_17partition_subalgoE2ExNS0_10empty_typeEbEEZZNS1_14partition_implILS5_2ELb0ES3_jN6thrust23THRUST_200600_302600_NS6detail15normal_iteratorINSA_7pointerIxNSA_11hip_rocprim3tagENSA_11use_defaultESG_EEEEPS6_NSA_18transform_iteratorINSA_8identityIxEENSC_INSA_10device_ptrIxEEEESG_SG_EENS0_5tupleIJPxSJ_EEENSR_IJSJ_SJ_EEES6_PlJS6_EEE10hipError_tPvRmT3_T4_T5_T6_T7_T9_mT8_P12ihipStream_tbDpT10_ENKUlT_T0_E_clISt17integral_constantIbLb0EES1F_EEDaS1A_S1B_EUlS1A_E_NS1_11comp_targetILNS1_3genE9ELNS1_11target_archE1100ELNS1_3gpuE3ELNS1_3repE0EEENS1_30default_config_static_selectorELNS0_4arch9wavefront6targetE1EEEvT1_
		.amdhsa_group_segment_fixed_size 0
		.amdhsa_private_segment_fixed_size 0
		.amdhsa_kernarg_size 128
		.amdhsa_user_sgpr_count 2
		.amdhsa_user_sgpr_dispatch_ptr 0
		.amdhsa_user_sgpr_queue_ptr 0
		.amdhsa_user_sgpr_kernarg_segment_ptr 1
		.amdhsa_user_sgpr_dispatch_id 0
		.amdhsa_user_sgpr_kernarg_preload_length 0
		.amdhsa_user_sgpr_kernarg_preload_offset 0
		.amdhsa_user_sgpr_private_segment_size 0
		.amdhsa_uses_dynamic_stack 0
		.amdhsa_enable_private_segment 0
		.amdhsa_system_sgpr_workgroup_id_x 1
		.amdhsa_system_sgpr_workgroup_id_y 0
		.amdhsa_system_sgpr_workgroup_id_z 0
		.amdhsa_system_sgpr_workgroup_info 0
		.amdhsa_system_vgpr_workitem_id 0
		.amdhsa_next_free_vgpr 1
		.amdhsa_next_free_sgpr 0
		.amdhsa_accum_offset 4
		.amdhsa_reserve_vcc 0
		.amdhsa_float_round_mode_32 0
		.amdhsa_float_round_mode_16_64 0
		.amdhsa_float_denorm_mode_32 3
		.amdhsa_float_denorm_mode_16_64 3
		.amdhsa_dx10_clamp 1
		.amdhsa_ieee_mode 1
		.amdhsa_fp16_overflow 0
		.amdhsa_tg_split 0
		.amdhsa_exception_fp_ieee_invalid_op 0
		.amdhsa_exception_fp_denorm_src 0
		.amdhsa_exception_fp_ieee_div_zero 0
		.amdhsa_exception_fp_ieee_overflow 0
		.amdhsa_exception_fp_ieee_underflow 0
		.amdhsa_exception_fp_ieee_inexact 0
		.amdhsa_exception_int_div_zero 0
	.end_amdhsa_kernel
	.section	.text._ZN7rocprim17ROCPRIM_400000_NS6detail17trampoline_kernelINS0_14default_configENS1_25partition_config_selectorILNS1_17partition_subalgoE2ExNS0_10empty_typeEbEEZZNS1_14partition_implILS5_2ELb0ES3_jN6thrust23THRUST_200600_302600_NS6detail15normal_iteratorINSA_7pointerIxNSA_11hip_rocprim3tagENSA_11use_defaultESG_EEEEPS6_NSA_18transform_iteratorINSA_8identityIxEENSC_INSA_10device_ptrIxEEEESG_SG_EENS0_5tupleIJPxSJ_EEENSR_IJSJ_SJ_EEES6_PlJS6_EEE10hipError_tPvRmT3_T4_T5_T6_T7_T9_mT8_P12ihipStream_tbDpT10_ENKUlT_T0_E_clISt17integral_constantIbLb0EES1F_EEDaS1A_S1B_EUlS1A_E_NS1_11comp_targetILNS1_3genE9ELNS1_11target_archE1100ELNS1_3gpuE3ELNS1_3repE0EEENS1_30default_config_static_selectorELNS0_4arch9wavefront6targetE1EEEvT1_,"axG",@progbits,_ZN7rocprim17ROCPRIM_400000_NS6detail17trampoline_kernelINS0_14default_configENS1_25partition_config_selectorILNS1_17partition_subalgoE2ExNS0_10empty_typeEbEEZZNS1_14partition_implILS5_2ELb0ES3_jN6thrust23THRUST_200600_302600_NS6detail15normal_iteratorINSA_7pointerIxNSA_11hip_rocprim3tagENSA_11use_defaultESG_EEEEPS6_NSA_18transform_iteratorINSA_8identityIxEENSC_INSA_10device_ptrIxEEEESG_SG_EENS0_5tupleIJPxSJ_EEENSR_IJSJ_SJ_EEES6_PlJS6_EEE10hipError_tPvRmT3_T4_T5_T6_T7_T9_mT8_P12ihipStream_tbDpT10_ENKUlT_T0_E_clISt17integral_constantIbLb0EES1F_EEDaS1A_S1B_EUlS1A_E_NS1_11comp_targetILNS1_3genE9ELNS1_11target_archE1100ELNS1_3gpuE3ELNS1_3repE0EEENS1_30default_config_static_selectorELNS0_4arch9wavefront6targetE1EEEvT1_,comdat
.Lfunc_end487:
	.size	_ZN7rocprim17ROCPRIM_400000_NS6detail17trampoline_kernelINS0_14default_configENS1_25partition_config_selectorILNS1_17partition_subalgoE2ExNS0_10empty_typeEbEEZZNS1_14partition_implILS5_2ELb0ES3_jN6thrust23THRUST_200600_302600_NS6detail15normal_iteratorINSA_7pointerIxNSA_11hip_rocprim3tagENSA_11use_defaultESG_EEEEPS6_NSA_18transform_iteratorINSA_8identityIxEENSC_INSA_10device_ptrIxEEEESG_SG_EENS0_5tupleIJPxSJ_EEENSR_IJSJ_SJ_EEES6_PlJS6_EEE10hipError_tPvRmT3_T4_T5_T6_T7_T9_mT8_P12ihipStream_tbDpT10_ENKUlT_T0_E_clISt17integral_constantIbLb0EES1F_EEDaS1A_S1B_EUlS1A_E_NS1_11comp_targetILNS1_3genE9ELNS1_11target_archE1100ELNS1_3gpuE3ELNS1_3repE0EEENS1_30default_config_static_selectorELNS0_4arch9wavefront6targetE1EEEvT1_, .Lfunc_end487-_ZN7rocprim17ROCPRIM_400000_NS6detail17trampoline_kernelINS0_14default_configENS1_25partition_config_selectorILNS1_17partition_subalgoE2ExNS0_10empty_typeEbEEZZNS1_14partition_implILS5_2ELb0ES3_jN6thrust23THRUST_200600_302600_NS6detail15normal_iteratorINSA_7pointerIxNSA_11hip_rocprim3tagENSA_11use_defaultESG_EEEEPS6_NSA_18transform_iteratorINSA_8identityIxEENSC_INSA_10device_ptrIxEEEESG_SG_EENS0_5tupleIJPxSJ_EEENSR_IJSJ_SJ_EEES6_PlJS6_EEE10hipError_tPvRmT3_T4_T5_T6_T7_T9_mT8_P12ihipStream_tbDpT10_ENKUlT_T0_E_clISt17integral_constantIbLb0EES1F_EEDaS1A_S1B_EUlS1A_E_NS1_11comp_targetILNS1_3genE9ELNS1_11target_archE1100ELNS1_3gpuE3ELNS1_3repE0EEENS1_30default_config_static_selectorELNS0_4arch9wavefront6targetE1EEEvT1_
                                        ; -- End function
	.section	.AMDGPU.csdata,"",@progbits
; Kernel info:
; codeLenInByte = 0
; NumSgprs: 6
; NumVgprs: 0
; NumAgprs: 0
; TotalNumVgprs: 0
; ScratchSize: 0
; MemoryBound: 0
; FloatMode: 240
; IeeeMode: 1
; LDSByteSize: 0 bytes/workgroup (compile time only)
; SGPRBlocks: 0
; VGPRBlocks: 0
; NumSGPRsForWavesPerEU: 6
; NumVGPRsForWavesPerEU: 1
; AccumOffset: 4
; Occupancy: 8
; WaveLimiterHint : 0
; COMPUTE_PGM_RSRC2:SCRATCH_EN: 0
; COMPUTE_PGM_RSRC2:USER_SGPR: 2
; COMPUTE_PGM_RSRC2:TRAP_HANDLER: 0
; COMPUTE_PGM_RSRC2:TGID_X_EN: 1
; COMPUTE_PGM_RSRC2:TGID_Y_EN: 0
; COMPUTE_PGM_RSRC2:TGID_Z_EN: 0
; COMPUTE_PGM_RSRC2:TIDIG_COMP_CNT: 0
; COMPUTE_PGM_RSRC3_GFX90A:ACCUM_OFFSET: 0
; COMPUTE_PGM_RSRC3_GFX90A:TG_SPLIT: 0
	.section	.text._ZN7rocprim17ROCPRIM_400000_NS6detail17trampoline_kernelINS0_14default_configENS1_25partition_config_selectorILNS1_17partition_subalgoE2ExNS0_10empty_typeEbEEZZNS1_14partition_implILS5_2ELb0ES3_jN6thrust23THRUST_200600_302600_NS6detail15normal_iteratorINSA_7pointerIxNSA_11hip_rocprim3tagENSA_11use_defaultESG_EEEEPS6_NSA_18transform_iteratorINSA_8identityIxEENSC_INSA_10device_ptrIxEEEESG_SG_EENS0_5tupleIJPxSJ_EEENSR_IJSJ_SJ_EEES6_PlJS6_EEE10hipError_tPvRmT3_T4_T5_T6_T7_T9_mT8_P12ihipStream_tbDpT10_ENKUlT_T0_E_clISt17integral_constantIbLb0EES1F_EEDaS1A_S1B_EUlS1A_E_NS1_11comp_targetILNS1_3genE8ELNS1_11target_archE1030ELNS1_3gpuE2ELNS1_3repE0EEENS1_30default_config_static_selectorELNS0_4arch9wavefront6targetE1EEEvT1_,"axG",@progbits,_ZN7rocprim17ROCPRIM_400000_NS6detail17trampoline_kernelINS0_14default_configENS1_25partition_config_selectorILNS1_17partition_subalgoE2ExNS0_10empty_typeEbEEZZNS1_14partition_implILS5_2ELb0ES3_jN6thrust23THRUST_200600_302600_NS6detail15normal_iteratorINSA_7pointerIxNSA_11hip_rocprim3tagENSA_11use_defaultESG_EEEEPS6_NSA_18transform_iteratorINSA_8identityIxEENSC_INSA_10device_ptrIxEEEESG_SG_EENS0_5tupleIJPxSJ_EEENSR_IJSJ_SJ_EEES6_PlJS6_EEE10hipError_tPvRmT3_T4_T5_T6_T7_T9_mT8_P12ihipStream_tbDpT10_ENKUlT_T0_E_clISt17integral_constantIbLb0EES1F_EEDaS1A_S1B_EUlS1A_E_NS1_11comp_targetILNS1_3genE8ELNS1_11target_archE1030ELNS1_3gpuE2ELNS1_3repE0EEENS1_30default_config_static_selectorELNS0_4arch9wavefront6targetE1EEEvT1_,comdat
	.protected	_ZN7rocprim17ROCPRIM_400000_NS6detail17trampoline_kernelINS0_14default_configENS1_25partition_config_selectorILNS1_17partition_subalgoE2ExNS0_10empty_typeEbEEZZNS1_14partition_implILS5_2ELb0ES3_jN6thrust23THRUST_200600_302600_NS6detail15normal_iteratorINSA_7pointerIxNSA_11hip_rocprim3tagENSA_11use_defaultESG_EEEEPS6_NSA_18transform_iteratorINSA_8identityIxEENSC_INSA_10device_ptrIxEEEESG_SG_EENS0_5tupleIJPxSJ_EEENSR_IJSJ_SJ_EEES6_PlJS6_EEE10hipError_tPvRmT3_T4_T5_T6_T7_T9_mT8_P12ihipStream_tbDpT10_ENKUlT_T0_E_clISt17integral_constantIbLb0EES1F_EEDaS1A_S1B_EUlS1A_E_NS1_11comp_targetILNS1_3genE8ELNS1_11target_archE1030ELNS1_3gpuE2ELNS1_3repE0EEENS1_30default_config_static_selectorELNS0_4arch9wavefront6targetE1EEEvT1_ ; -- Begin function _ZN7rocprim17ROCPRIM_400000_NS6detail17trampoline_kernelINS0_14default_configENS1_25partition_config_selectorILNS1_17partition_subalgoE2ExNS0_10empty_typeEbEEZZNS1_14partition_implILS5_2ELb0ES3_jN6thrust23THRUST_200600_302600_NS6detail15normal_iteratorINSA_7pointerIxNSA_11hip_rocprim3tagENSA_11use_defaultESG_EEEEPS6_NSA_18transform_iteratorINSA_8identityIxEENSC_INSA_10device_ptrIxEEEESG_SG_EENS0_5tupleIJPxSJ_EEENSR_IJSJ_SJ_EEES6_PlJS6_EEE10hipError_tPvRmT3_T4_T5_T6_T7_T9_mT8_P12ihipStream_tbDpT10_ENKUlT_T0_E_clISt17integral_constantIbLb0EES1F_EEDaS1A_S1B_EUlS1A_E_NS1_11comp_targetILNS1_3genE8ELNS1_11target_archE1030ELNS1_3gpuE2ELNS1_3repE0EEENS1_30default_config_static_selectorELNS0_4arch9wavefront6targetE1EEEvT1_
	.globl	_ZN7rocprim17ROCPRIM_400000_NS6detail17trampoline_kernelINS0_14default_configENS1_25partition_config_selectorILNS1_17partition_subalgoE2ExNS0_10empty_typeEbEEZZNS1_14partition_implILS5_2ELb0ES3_jN6thrust23THRUST_200600_302600_NS6detail15normal_iteratorINSA_7pointerIxNSA_11hip_rocprim3tagENSA_11use_defaultESG_EEEEPS6_NSA_18transform_iteratorINSA_8identityIxEENSC_INSA_10device_ptrIxEEEESG_SG_EENS0_5tupleIJPxSJ_EEENSR_IJSJ_SJ_EEES6_PlJS6_EEE10hipError_tPvRmT3_T4_T5_T6_T7_T9_mT8_P12ihipStream_tbDpT10_ENKUlT_T0_E_clISt17integral_constantIbLb0EES1F_EEDaS1A_S1B_EUlS1A_E_NS1_11comp_targetILNS1_3genE8ELNS1_11target_archE1030ELNS1_3gpuE2ELNS1_3repE0EEENS1_30default_config_static_selectorELNS0_4arch9wavefront6targetE1EEEvT1_
	.p2align	8
	.type	_ZN7rocprim17ROCPRIM_400000_NS6detail17trampoline_kernelINS0_14default_configENS1_25partition_config_selectorILNS1_17partition_subalgoE2ExNS0_10empty_typeEbEEZZNS1_14partition_implILS5_2ELb0ES3_jN6thrust23THRUST_200600_302600_NS6detail15normal_iteratorINSA_7pointerIxNSA_11hip_rocprim3tagENSA_11use_defaultESG_EEEEPS6_NSA_18transform_iteratorINSA_8identityIxEENSC_INSA_10device_ptrIxEEEESG_SG_EENS0_5tupleIJPxSJ_EEENSR_IJSJ_SJ_EEES6_PlJS6_EEE10hipError_tPvRmT3_T4_T5_T6_T7_T9_mT8_P12ihipStream_tbDpT10_ENKUlT_T0_E_clISt17integral_constantIbLb0EES1F_EEDaS1A_S1B_EUlS1A_E_NS1_11comp_targetILNS1_3genE8ELNS1_11target_archE1030ELNS1_3gpuE2ELNS1_3repE0EEENS1_30default_config_static_selectorELNS0_4arch9wavefront6targetE1EEEvT1_,@function
_ZN7rocprim17ROCPRIM_400000_NS6detail17trampoline_kernelINS0_14default_configENS1_25partition_config_selectorILNS1_17partition_subalgoE2ExNS0_10empty_typeEbEEZZNS1_14partition_implILS5_2ELb0ES3_jN6thrust23THRUST_200600_302600_NS6detail15normal_iteratorINSA_7pointerIxNSA_11hip_rocprim3tagENSA_11use_defaultESG_EEEEPS6_NSA_18transform_iteratorINSA_8identityIxEENSC_INSA_10device_ptrIxEEEESG_SG_EENS0_5tupleIJPxSJ_EEENSR_IJSJ_SJ_EEES6_PlJS6_EEE10hipError_tPvRmT3_T4_T5_T6_T7_T9_mT8_P12ihipStream_tbDpT10_ENKUlT_T0_E_clISt17integral_constantIbLb0EES1F_EEDaS1A_S1B_EUlS1A_E_NS1_11comp_targetILNS1_3genE8ELNS1_11target_archE1030ELNS1_3gpuE2ELNS1_3repE0EEENS1_30default_config_static_selectorELNS0_4arch9wavefront6targetE1EEEvT1_: ; @_ZN7rocprim17ROCPRIM_400000_NS6detail17trampoline_kernelINS0_14default_configENS1_25partition_config_selectorILNS1_17partition_subalgoE2ExNS0_10empty_typeEbEEZZNS1_14partition_implILS5_2ELb0ES3_jN6thrust23THRUST_200600_302600_NS6detail15normal_iteratorINSA_7pointerIxNSA_11hip_rocprim3tagENSA_11use_defaultESG_EEEEPS6_NSA_18transform_iteratorINSA_8identityIxEENSC_INSA_10device_ptrIxEEEESG_SG_EENS0_5tupleIJPxSJ_EEENSR_IJSJ_SJ_EEES6_PlJS6_EEE10hipError_tPvRmT3_T4_T5_T6_T7_T9_mT8_P12ihipStream_tbDpT10_ENKUlT_T0_E_clISt17integral_constantIbLb0EES1F_EEDaS1A_S1B_EUlS1A_E_NS1_11comp_targetILNS1_3genE8ELNS1_11target_archE1030ELNS1_3gpuE2ELNS1_3repE0EEENS1_30default_config_static_selectorELNS0_4arch9wavefront6targetE1EEEvT1_
; %bb.0:
	.section	.rodata,"a",@progbits
	.p2align	6, 0x0
	.amdhsa_kernel _ZN7rocprim17ROCPRIM_400000_NS6detail17trampoline_kernelINS0_14default_configENS1_25partition_config_selectorILNS1_17partition_subalgoE2ExNS0_10empty_typeEbEEZZNS1_14partition_implILS5_2ELb0ES3_jN6thrust23THRUST_200600_302600_NS6detail15normal_iteratorINSA_7pointerIxNSA_11hip_rocprim3tagENSA_11use_defaultESG_EEEEPS6_NSA_18transform_iteratorINSA_8identityIxEENSC_INSA_10device_ptrIxEEEESG_SG_EENS0_5tupleIJPxSJ_EEENSR_IJSJ_SJ_EEES6_PlJS6_EEE10hipError_tPvRmT3_T4_T5_T6_T7_T9_mT8_P12ihipStream_tbDpT10_ENKUlT_T0_E_clISt17integral_constantIbLb0EES1F_EEDaS1A_S1B_EUlS1A_E_NS1_11comp_targetILNS1_3genE8ELNS1_11target_archE1030ELNS1_3gpuE2ELNS1_3repE0EEENS1_30default_config_static_selectorELNS0_4arch9wavefront6targetE1EEEvT1_
		.amdhsa_group_segment_fixed_size 0
		.amdhsa_private_segment_fixed_size 0
		.amdhsa_kernarg_size 128
		.amdhsa_user_sgpr_count 2
		.amdhsa_user_sgpr_dispatch_ptr 0
		.amdhsa_user_sgpr_queue_ptr 0
		.amdhsa_user_sgpr_kernarg_segment_ptr 1
		.amdhsa_user_sgpr_dispatch_id 0
		.amdhsa_user_sgpr_kernarg_preload_length 0
		.amdhsa_user_sgpr_kernarg_preload_offset 0
		.amdhsa_user_sgpr_private_segment_size 0
		.amdhsa_uses_dynamic_stack 0
		.amdhsa_enable_private_segment 0
		.amdhsa_system_sgpr_workgroup_id_x 1
		.amdhsa_system_sgpr_workgroup_id_y 0
		.amdhsa_system_sgpr_workgroup_id_z 0
		.amdhsa_system_sgpr_workgroup_info 0
		.amdhsa_system_vgpr_workitem_id 0
		.amdhsa_next_free_vgpr 1
		.amdhsa_next_free_sgpr 0
		.amdhsa_accum_offset 4
		.amdhsa_reserve_vcc 0
		.amdhsa_float_round_mode_32 0
		.amdhsa_float_round_mode_16_64 0
		.amdhsa_float_denorm_mode_32 3
		.amdhsa_float_denorm_mode_16_64 3
		.amdhsa_dx10_clamp 1
		.amdhsa_ieee_mode 1
		.amdhsa_fp16_overflow 0
		.amdhsa_tg_split 0
		.amdhsa_exception_fp_ieee_invalid_op 0
		.amdhsa_exception_fp_denorm_src 0
		.amdhsa_exception_fp_ieee_div_zero 0
		.amdhsa_exception_fp_ieee_overflow 0
		.amdhsa_exception_fp_ieee_underflow 0
		.amdhsa_exception_fp_ieee_inexact 0
		.amdhsa_exception_int_div_zero 0
	.end_amdhsa_kernel
	.section	.text._ZN7rocprim17ROCPRIM_400000_NS6detail17trampoline_kernelINS0_14default_configENS1_25partition_config_selectorILNS1_17partition_subalgoE2ExNS0_10empty_typeEbEEZZNS1_14partition_implILS5_2ELb0ES3_jN6thrust23THRUST_200600_302600_NS6detail15normal_iteratorINSA_7pointerIxNSA_11hip_rocprim3tagENSA_11use_defaultESG_EEEEPS6_NSA_18transform_iteratorINSA_8identityIxEENSC_INSA_10device_ptrIxEEEESG_SG_EENS0_5tupleIJPxSJ_EEENSR_IJSJ_SJ_EEES6_PlJS6_EEE10hipError_tPvRmT3_T4_T5_T6_T7_T9_mT8_P12ihipStream_tbDpT10_ENKUlT_T0_E_clISt17integral_constantIbLb0EES1F_EEDaS1A_S1B_EUlS1A_E_NS1_11comp_targetILNS1_3genE8ELNS1_11target_archE1030ELNS1_3gpuE2ELNS1_3repE0EEENS1_30default_config_static_selectorELNS0_4arch9wavefront6targetE1EEEvT1_,"axG",@progbits,_ZN7rocprim17ROCPRIM_400000_NS6detail17trampoline_kernelINS0_14default_configENS1_25partition_config_selectorILNS1_17partition_subalgoE2ExNS0_10empty_typeEbEEZZNS1_14partition_implILS5_2ELb0ES3_jN6thrust23THRUST_200600_302600_NS6detail15normal_iteratorINSA_7pointerIxNSA_11hip_rocprim3tagENSA_11use_defaultESG_EEEEPS6_NSA_18transform_iteratorINSA_8identityIxEENSC_INSA_10device_ptrIxEEEESG_SG_EENS0_5tupleIJPxSJ_EEENSR_IJSJ_SJ_EEES6_PlJS6_EEE10hipError_tPvRmT3_T4_T5_T6_T7_T9_mT8_P12ihipStream_tbDpT10_ENKUlT_T0_E_clISt17integral_constantIbLb0EES1F_EEDaS1A_S1B_EUlS1A_E_NS1_11comp_targetILNS1_3genE8ELNS1_11target_archE1030ELNS1_3gpuE2ELNS1_3repE0EEENS1_30default_config_static_selectorELNS0_4arch9wavefront6targetE1EEEvT1_,comdat
.Lfunc_end488:
	.size	_ZN7rocprim17ROCPRIM_400000_NS6detail17trampoline_kernelINS0_14default_configENS1_25partition_config_selectorILNS1_17partition_subalgoE2ExNS0_10empty_typeEbEEZZNS1_14partition_implILS5_2ELb0ES3_jN6thrust23THRUST_200600_302600_NS6detail15normal_iteratorINSA_7pointerIxNSA_11hip_rocprim3tagENSA_11use_defaultESG_EEEEPS6_NSA_18transform_iteratorINSA_8identityIxEENSC_INSA_10device_ptrIxEEEESG_SG_EENS0_5tupleIJPxSJ_EEENSR_IJSJ_SJ_EEES6_PlJS6_EEE10hipError_tPvRmT3_T4_T5_T6_T7_T9_mT8_P12ihipStream_tbDpT10_ENKUlT_T0_E_clISt17integral_constantIbLb0EES1F_EEDaS1A_S1B_EUlS1A_E_NS1_11comp_targetILNS1_3genE8ELNS1_11target_archE1030ELNS1_3gpuE2ELNS1_3repE0EEENS1_30default_config_static_selectorELNS0_4arch9wavefront6targetE1EEEvT1_, .Lfunc_end488-_ZN7rocprim17ROCPRIM_400000_NS6detail17trampoline_kernelINS0_14default_configENS1_25partition_config_selectorILNS1_17partition_subalgoE2ExNS0_10empty_typeEbEEZZNS1_14partition_implILS5_2ELb0ES3_jN6thrust23THRUST_200600_302600_NS6detail15normal_iteratorINSA_7pointerIxNSA_11hip_rocprim3tagENSA_11use_defaultESG_EEEEPS6_NSA_18transform_iteratorINSA_8identityIxEENSC_INSA_10device_ptrIxEEEESG_SG_EENS0_5tupleIJPxSJ_EEENSR_IJSJ_SJ_EEES6_PlJS6_EEE10hipError_tPvRmT3_T4_T5_T6_T7_T9_mT8_P12ihipStream_tbDpT10_ENKUlT_T0_E_clISt17integral_constantIbLb0EES1F_EEDaS1A_S1B_EUlS1A_E_NS1_11comp_targetILNS1_3genE8ELNS1_11target_archE1030ELNS1_3gpuE2ELNS1_3repE0EEENS1_30default_config_static_selectorELNS0_4arch9wavefront6targetE1EEEvT1_
                                        ; -- End function
	.section	.AMDGPU.csdata,"",@progbits
; Kernel info:
; codeLenInByte = 0
; NumSgprs: 6
; NumVgprs: 0
; NumAgprs: 0
; TotalNumVgprs: 0
; ScratchSize: 0
; MemoryBound: 0
; FloatMode: 240
; IeeeMode: 1
; LDSByteSize: 0 bytes/workgroup (compile time only)
; SGPRBlocks: 0
; VGPRBlocks: 0
; NumSGPRsForWavesPerEU: 6
; NumVGPRsForWavesPerEU: 1
; AccumOffset: 4
; Occupancy: 8
; WaveLimiterHint : 0
; COMPUTE_PGM_RSRC2:SCRATCH_EN: 0
; COMPUTE_PGM_RSRC2:USER_SGPR: 2
; COMPUTE_PGM_RSRC2:TRAP_HANDLER: 0
; COMPUTE_PGM_RSRC2:TGID_X_EN: 1
; COMPUTE_PGM_RSRC2:TGID_Y_EN: 0
; COMPUTE_PGM_RSRC2:TGID_Z_EN: 0
; COMPUTE_PGM_RSRC2:TIDIG_COMP_CNT: 0
; COMPUTE_PGM_RSRC3_GFX90A:ACCUM_OFFSET: 0
; COMPUTE_PGM_RSRC3_GFX90A:TG_SPLIT: 0
	.section	.text._ZN7rocprim17ROCPRIM_400000_NS6detail17trampoline_kernelINS0_14default_configENS1_25partition_config_selectorILNS1_17partition_subalgoE2ExNS0_10empty_typeEbEEZZNS1_14partition_implILS5_2ELb0ES3_jN6thrust23THRUST_200600_302600_NS6detail15normal_iteratorINSA_7pointerIxNSA_11hip_rocprim3tagENSA_11use_defaultESG_EEEEPS6_NSA_18transform_iteratorINSA_8identityIxEENSC_INSA_10device_ptrIxEEEESG_SG_EENS0_5tupleIJPxSJ_EEENSR_IJSJ_SJ_EEES6_PlJS6_EEE10hipError_tPvRmT3_T4_T5_T6_T7_T9_mT8_P12ihipStream_tbDpT10_ENKUlT_T0_E_clISt17integral_constantIbLb1EES1F_EEDaS1A_S1B_EUlS1A_E_NS1_11comp_targetILNS1_3genE0ELNS1_11target_archE4294967295ELNS1_3gpuE0ELNS1_3repE0EEENS1_30default_config_static_selectorELNS0_4arch9wavefront6targetE1EEEvT1_,"axG",@progbits,_ZN7rocprim17ROCPRIM_400000_NS6detail17trampoline_kernelINS0_14default_configENS1_25partition_config_selectorILNS1_17partition_subalgoE2ExNS0_10empty_typeEbEEZZNS1_14partition_implILS5_2ELb0ES3_jN6thrust23THRUST_200600_302600_NS6detail15normal_iteratorINSA_7pointerIxNSA_11hip_rocprim3tagENSA_11use_defaultESG_EEEEPS6_NSA_18transform_iteratorINSA_8identityIxEENSC_INSA_10device_ptrIxEEEESG_SG_EENS0_5tupleIJPxSJ_EEENSR_IJSJ_SJ_EEES6_PlJS6_EEE10hipError_tPvRmT3_T4_T5_T6_T7_T9_mT8_P12ihipStream_tbDpT10_ENKUlT_T0_E_clISt17integral_constantIbLb1EES1F_EEDaS1A_S1B_EUlS1A_E_NS1_11comp_targetILNS1_3genE0ELNS1_11target_archE4294967295ELNS1_3gpuE0ELNS1_3repE0EEENS1_30default_config_static_selectorELNS0_4arch9wavefront6targetE1EEEvT1_,comdat
	.protected	_ZN7rocprim17ROCPRIM_400000_NS6detail17trampoline_kernelINS0_14default_configENS1_25partition_config_selectorILNS1_17partition_subalgoE2ExNS0_10empty_typeEbEEZZNS1_14partition_implILS5_2ELb0ES3_jN6thrust23THRUST_200600_302600_NS6detail15normal_iteratorINSA_7pointerIxNSA_11hip_rocprim3tagENSA_11use_defaultESG_EEEEPS6_NSA_18transform_iteratorINSA_8identityIxEENSC_INSA_10device_ptrIxEEEESG_SG_EENS0_5tupleIJPxSJ_EEENSR_IJSJ_SJ_EEES6_PlJS6_EEE10hipError_tPvRmT3_T4_T5_T6_T7_T9_mT8_P12ihipStream_tbDpT10_ENKUlT_T0_E_clISt17integral_constantIbLb1EES1F_EEDaS1A_S1B_EUlS1A_E_NS1_11comp_targetILNS1_3genE0ELNS1_11target_archE4294967295ELNS1_3gpuE0ELNS1_3repE0EEENS1_30default_config_static_selectorELNS0_4arch9wavefront6targetE1EEEvT1_ ; -- Begin function _ZN7rocprim17ROCPRIM_400000_NS6detail17trampoline_kernelINS0_14default_configENS1_25partition_config_selectorILNS1_17partition_subalgoE2ExNS0_10empty_typeEbEEZZNS1_14partition_implILS5_2ELb0ES3_jN6thrust23THRUST_200600_302600_NS6detail15normal_iteratorINSA_7pointerIxNSA_11hip_rocprim3tagENSA_11use_defaultESG_EEEEPS6_NSA_18transform_iteratorINSA_8identityIxEENSC_INSA_10device_ptrIxEEEESG_SG_EENS0_5tupleIJPxSJ_EEENSR_IJSJ_SJ_EEES6_PlJS6_EEE10hipError_tPvRmT3_T4_T5_T6_T7_T9_mT8_P12ihipStream_tbDpT10_ENKUlT_T0_E_clISt17integral_constantIbLb1EES1F_EEDaS1A_S1B_EUlS1A_E_NS1_11comp_targetILNS1_3genE0ELNS1_11target_archE4294967295ELNS1_3gpuE0ELNS1_3repE0EEENS1_30default_config_static_selectorELNS0_4arch9wavefront6targetE1EEEvT1_
	.globl	_ZN7rocprim17ROCPRIM_400000_NS6detail17trampoline_kernelINS0_14default_configENS1_25partition_config_selectorILNS1_17partition_subalgoE2ExNS0_10empty_typeEbEEZZNS1_14partition_implILS5_2ELb0ES3_jN6thrust23THRUST_200600_302600_NS6detail15normal_iteratorINSA_7pointerIxNSA_11hip_rocprim3tagENSA_11use_defaultESG_EEEEPS6_NSA_18transform_iteratorINSA_8identityIxEENSC_INSA_10device_ptrIxEEEESG_SG_EENS0_5tupleIJPxSJ_EEENSR_IJSJ_SJ_EEES6_PlJS6_EEE10hipError_tPvRmT3_T4_T5_T6_T7_T9_mT8_P12ihipStream_tbDpT10_ENKUlT_T0_E_clISt17integral_constantIbLb1EES1F_EEDaS1A_S1B_EUlS1A_E_NS1_11comp_targetILNS1_3genE0ELNS1_11target_archE4294967295ELNS1_3gpuE0ELNS1_3repE0EEENS1_30default_config_static_selectorELNS0_4arch9wavefront6targetE1EEEvT1_
	.p2align	8
	.type	_ZN7rocprim17ROCPRIM_400000_NS6detail17trampoline_kernelINS0_14default_configENS1_25partition_config_selectorILNS1_17partition_subalgoE2ExNS0_10empty_typeEbEEZZNS1_14partition_implILS5_2ELb0ES3_jN6thrust23THRUST_200600_302600_NS6detail15normal_iteratorINSA_7pointerIxNSA_11hip_rocprim3tagENSA_11use_defaultESG_EEEEPS6_NSA_18transform_iteratorINSA_8identityIxEENSC_INSA_10device_ptrIxEEEESG_SG_EENS0_5tupleIJPxSJ_EEENSR_IJSJ_SJ_EEES6_PlJS6_EEE10hipError_tPvRmT3_T4_T5_T6_T7_T9_mT8_P12ihipStream_tbDpT10_ENKUlT_T0_E_clISt17integral_constantIbLb1EES1F_EEDaS1A_S1B_EUlS1A_E_NS1_11comp_targetILNS1_3genE0ELNS1_11target_archE4294967295ELNS1_3gpuE0ELNS1_3repE0EEENS1_30default_config_static_selectorELNS0_4arch9wavefront6targetE1EEEvT1_,@function
_ZN7rocprim17ROCPRIM_400000_NS6detail17trampoline_kernelINS0_14default_configENS1_25partition_config_selectorILNS1_17partition_subalgoE2ExNS0_10empty_typeEbEEZZNS1_14partition_implILS5_2ELb0ES3_jN6thrust23THRUST_200600_302600_NS6detail15normal_iteratorINSA_7pointerIxNSA_11hip_rocprim3tagENSA_11use_defaultESG_EEEEPS6_NSA_18transform_iteratorINSA_8identityIxEENSC_INSA_10device_ptrIxEEEESG_SG_EENS0_5tupleIJPxSJ_EEENSR_IJSJ_SJ_EEES6_PlJS6_EEE10hipError_tPvRmT3_T4_T5_T6_T7_T9_mT8_P12ihipStream_tbDpT10_ENKUlT_T0_E_clISt17integral_constantIbLb1EES1F_EEDaS1A_S1B_EUlS1A_E_NS1_11comp_targetILNS1_3genE0ELNS1_11target_archE4294967295ELNS1_3gpuE0ELNS1_3repE0EEENS1_30default_config_static_selectorELNS0_4arch9wavefront6targetE1EEEvT1_: ; @_ZN7rocprim17ROCPRIM_400000_NS6detail17trampoline_kernelINS0_14default_configENS1_25partition_config_selectorILNS1_17partition_subalgoE2ExNS0_10empty_typeEbEEZZNS1_14partition_implILS5_2ELb0ES3_jN6thrust23THRUST_200600_302600_NS6detail15normal_iteratorINSA_7pointerIxNSA_11hip_rocprim3tagENSA_11use_defaultESG_EEEEPS6_NSA_18transform_iteratorINSA_8identityIxEENSC_INSA_10device_ptrIxEEEESG_SG_EENS0_5tupleIJPxSJ_EEENSR_IJSJ_SJ_EEES6_PlJS6_EEE10hipError_tPvRmT3_T4_T5_T6_T7_T9_mT8_P12ihipStream_tbDpT10_ENKUlT_T0_E_clISt17integral_constantIbLb1EES1F_EEDaS1A_S1B_EUlS1A_E_NS1_11comp_targetILNS1_3genE0ELNS1_11target_archE4294967295ELNS1_3gpuE0ELNS1_3repE0EEENS1_30default_config_static_selectorELNS0_4arch9wavefront6targetE1EEEvT1_
; %bb.0:
	.section	.rodata,"a",@progbits
	.p2align	6, 0x0
	.amdhsa_kernel _ZN7rocprim17ROCPRIM_400000_NS6detail17trampoline_kernelINS0_14default_configENS1_25partition_config_selectorILNS1_17partition_subalgoE2ExNS0_10empty_typeEbEEZZNS1_14partition_implILS5_2ELb0ES3_jN6thrust23THRUST_200600_302600_NS6detail15normal_iteratorINSA_7pointerIxNSA_11hip_rocprim3tagENSA_11use_defaultESG_EEEEPS6_NSA_18transform_iteratorINSA_8identityIxEENSC_INSA_10device_ptrIxEEEESG_SG_EENS0_5tupleIJPxSJ_EEENSR_IJSJ_SJ_EEES6_PlJS6_EEE10hipError_tPvRmT3_T4_T5_T6_T7_T9_mT8_P12ihipStream_tbDpT10_ENKUlT_T0_E_clISt17integral_constantIbLb1EES1F_EEDaS1A_S1B_EUlS1A_E_NS1_11comp_targetILNS1_3genE0ELNS1_11target_archE4294967295ELNS1_3gpuE0ELNS1_3repE0EEENS1_30default_config_static_selectorELNS0_4arch9wavefront6targetE1EEEvT1_
		.amdhsa_group_segment_fixed_size 0
		.amdhsa_private_segment_fixed_size 0
		.amdhsa_kernarg_size 144
		.amdhsa_user_sgpr_count 2
		.amdhsa_user_sgpr_dispatch_ptr 0
		.amdhsa_user_sgpr_queue_ptr 0
		.amdhsa_user_sgpr_kernarg_segment_ptr 1
		.amdhsa_user_sgpr_dispatch_id 0
		.amdhsa_user_sgpr_kernarg_preload_length 0
		.amdhsa_user_sgpr_kernarg_preload_offset 0
		.amdhsa_user_sgpr_private_segment_size 0
		.amdhsa_uses_dynamic_stack 0
		.amdhsa_enable_private_segment 0
		.amdhsa_system_sgpr_workgroup_id_x 1
		.amdhsa_system_sgpr_workgroup_id_y 0
		.amdhsa_system_sgpr_workgroup_id_z 0
		.amdhsa_system_sgpr_workgroup_info 0
		.amdhsa_system_vgpr_workitem_id 0
		.amdhsa_next_free_vgpr 1
		.amdhsa_next_free_sgpr 0
		.amdhsa_accum_offset 4
		.amdhsa_reserve_vcc 0
		.amdhsa_float_round_mode_32 0
		.amdhsa_float_round_mode_16_64 0
		.amdhsa_float_denorm_mode_32 3
		.amdhsa_float_denorm_mode_16_64 3
		.amdhsa_dx10_clamp 1
		.amdhsa_ieee_mode 1
		.amdhsa_fp16_overflow 0
		.amdhsa_tg_split 0
		.amdhsa_exception_fp_ieee_invalid_op 0
		.amdhsa_exception_fp_denorm_src 0
		.amdhsa_exception_fp_ieee_div_zero 0
		.amdhsa_exception_fp_ieee_overflow 0
		.amdhsa_exception_fp_ieee_underflow 0
		.amdhsa_exception_fp_ieee_inexact 0
		.amdhsa_exception_int_div_zero 0
	.end_amdhsa_kernel
	.section	.text._ZN7rocprim17ROCPRIM_400000_NS6detail17trampoline_kernelINS0_14default_configENS1_25partition_config_selectorILNS1_17partition_subalgoE2ExNS0_10empty_typeEbEEZZNS1_14partition_implILS5_2ELb0ES3_jN6thrust23THRUST_200600_302600_NS6detail15normal_iteratorINSA_7pointerIxNSA_11hip_rocprim3tagENSA_11use_defaultESG_EEEEPS6_NSA_18transform_iteratorINSA_8identityIxEENSC_INSA_10device_ptrIxEEEESG_SG_EENS0_5tupleIJPxSJ_EEENSR_IJSJ_SJ_EEES6_PlJS6_EEE10hipError_tPvRmT3_T4_T5_T6_T7_T9_mT8_P12ihipStream_tbDpT10_ENKUlT_T0_E_clISt17integral_constantIbLb1EES1F_EEDaS1A_S1B_EUlS1A_E_NS1_11comp_targetILNS1_3genE0ELNS1_11target_archE4294967295ELNS1_3gpuE0ELNS1_3repE0EEENS1_30default_config_static_selectorELNS0_4arch9wavefront6targetE1EEEvT1_,"axG",@progbits,_ZN7rocprim17ROCPRIM_400000_NS6detail17trampoline_kernelINS0_14default_configENS1_25partition_config_selectorILNS1_17partition_subalgoE2ExNS0_10empty_typeEbEEZZNS1_14partition_implILS5_2ELb0ES3_jN6thrust23THRUST_200600_302600_NS6detail15normal_iteratorINSA_7pointerIxNSA_11hip_rocprim3tagENSA_11use_defaultESG_EEEEPS6_NSA_18transform_iteratorINSA_8identityIxEENSC_INSA_10device_ptrIxEEEESG_SG_EENS0_5tupleIJPxSJ_EEENSR_IJSJ_SJ_EEES6_PlJS6_EEE10hipError_tPvRmT3_T4_T5_T6_T7_T9_mT8_P12ihipStream_tbDpT10_ENKUlT_T0_E_clISt17integral_constantIbLb1EES1F_EEDaS1A_S1B_EUlS1A_E_NS1_11comp_targetILNS1_3genE0ELNS1_11target_archE4294967295ELNS1_3gpuE0ELNS1_3repE0EEENS1_30default_config_static_selectorELNS0_4arch9wavefront6targetE1EEEvT1_,comdat
.Lfunc_end489:
	.size	_ZN7rocprim17ROCPRIM_400000_NS6detail17trampoline_kernelINS0_14default_configENS1_25partition_config_selectorILNS1_17partition_subalgoE2ExNS0_10empty_typeEbEEZZNS1_14partition_implILS5_2ELb0ES3_jN6thrust23THRUST_200600_302600_NS6detail15normal_iteratorINSA_7pointerIxNSA_11hip_rocprim3tagENSA_11use_defaultESG_EEEEPS6_NSA_18transform_iteratorINSA_8identityIxEENSC_INSA_10device_ptrIxEEEESG_SG_EENS0_5tupleIJPxSJ_EEENSR_IJSJ_SJ_EEES6_PlJS6_EEE10hipError_tPvRmT3_T4_T5_T6_T7_T9_mT8_P12ihipStream_tbDpT10_ENKUlT_T0_E_clISt17integral_constantIbLb1EES1F_EEDaS1A_S1B_EUlS1A_E_NS1_11comp_targetILNS1_3genE0ELNS1_11target_archE4294967295ELNS1_3gpuE0ELNS1_3repE0EEENS1_30default_config_static_selectorELNS0_4arch9wavefront6targetE1EEEvT1_, .Lfunc_end489-_ZN7rocprim17ROCPRIM_400000_NS6detail17trampoline_kernelINS0_14default_configENS1_25partition_config_selectorILNS1_17partition_subalgoE2ExNS0_10empty_typeEbEEZZNS1_14partition_implILS5_2ELb0ES3_jN6thrust23THRUST_200600_302600_NS6detail15normal_iteratorINSA_7pointerIxNSA_11hip_rocprim3tagENSA_11use_defaultESG_EEEEPS6_NSA_18transform_iteratorINSA_8identityIxEENSC_INSA_10device_ptrIxEEEESG_SG_EENS0_5tupleIJPxSJ_EEENSR_IJSJ_SJ_EEES6_PlJS6_EEE10hipError_tPvRmT3_T4_T5_T6_T7_T9_mT8_P12ihipStream_tbDpT10_ENKUlT_T0_E_clISt17integral_constantIbLb1EES1F_EEDaS1A_S1B_EUlS1A_E_NS1_11comp_targetILNS1_3genE0ELNS1_11target_archE4294967295ELNS1_3gpuE0ELNS1_3repE0EEENS1_30default_config_static_selectorELNS0_4arch9wavefront6targetE1EEEvT1_
                                        ; -- End function
	.section	.AMDGPU.csdata,"",@progbits
; Kernel info:
; codeLenInByte = 0
; NumSgprs: 6
; NumVgprs: 0
; NumAgprs: 0
; TotalNumVgprs: 0
; ScratchSize: 0
; MemoryBound: 0
; FloatMode: 240
; IeeeMode: 1
; LDSByteSize: 0 bytes/workgroup (compile time only)
; SGPRBlocks: 0
; VGPRBlocks: 0
; NumSGPRsForWavesPerEU: 6
; NumVGPRsForWavesPerEU: 1
; AccumOffset: 4
; Occupancy: 8
; WaveLimiterHint : 0
; COMPUTE_PGM_RSRC2:SCRATCH_EN: 0
; COMPUTE_PGM_RSRC2:USER_SGPR: 2
; COMPUTE_PGM_RSRC2:TRAP_HANDLER: 0
; COMPUTE_PGM_RSRC2:TGID_X_EN: 1
; COMPUTE_PGM_RSRC2:TGID_Y_EN: 0
; COMPUTE_PGM_RSRC2:TGID_Z_EN: 0
; COMPUTE_PGM_RSRC2:TIDIG_COMP_CNT: 0
; COMPUTE_PGM_RSRC3_GFX90A:ACCUM_OFFSET: 0
; COMPUTE_PGM_RSRC3_GFX90A:TG_SPLIT: 0
	.section	.text._ZN7rocprim17ROCPRIM_400000_NS6detail17trampoline_kernelINS0_14default_configENS1_25partition_config_selectorILNS1_17partition_subalgoE2ExNS0_10empty_typeEbEEZZNS1_14partition_implILS5_2ELb0ES3_jN6thrust23THRUST_200600_302600_NS6detail15normal_iteratorINSA_7pointerIxNSA_11hip_rocprim3tagENSA_11use_defaultESG_EEEEPS6_NSA_18transform_iteratorINSA_8identityIxEENSC_INSA_10device_ptrIxEEEESG_SG_EENS0_5tupleIJPxSJ_EEENSR_IJSJ_SJ_EEES6_PlJS6_EEE10hipError_tPvRmT3_T4_T5_T6_T7_T9_mT8_P12ihipStream_tbDpT10_ENKUlT_T0_E_clISt17integral_constantIbLb1EES1F_EEDaS1A_S1B_EUlS1A_E_NS1_11comp_targetILNS1_3genE5ELNS1_11target_archE942ELNS1_3gpuE9ELNS1_3repE0EEENS1_30default_config_static_selectorELNS0_4arch9wavefront6targetE1EEEvT1_,"axG",@progbits,_ZN7rocprim17ROCPRIM_400000_NS6detail17trampoline_kernelINS0_14default_configENS1_25partition_config_selectorILNS1_17partition_subalgoE2ExNS0_10empty_typeEbEEZZNS1_14partition_implILS5_2ELb0ES3_jN6thrust23THRUST_200600_302600_NS6detail15normal_iteratorINSA_7pointerIxNSA_11hip_rocprim3tagENSA_11use_defaultESG_EEEEPS6_NSA_18transform_iteratorINSA_8identityIxEENSC_INSA_10device_ptrIxEEEESG_SG_EENS0_5tupleIJPxSJ_EEENSR_IJSJ_SJ_EEES6_PlJS6_EEE10hipError_tPvRmT3_T4_T5_T6_T7_T9_mT8_P12ihipStream_tbDpT10_ENKUlT_T0_E_clISt17integral_constantIbLb1EES1F_EEDaS1A_S1B_EUlS1A_E_NS1_11comp_targetILNS1_3genE5ELNS1_11target_archE942ELNS1_3gpuE9ELNS1_3repE0EEENS1_30default_config_static_selectorELNS0_4arch9wavefront6targetE1EEEvT1_,comdat
	.protected	_ZN7rocprim17ROCPRIM_400000_NS6detail17trampoline_kernelINS0_14default_configENS1_25partition_config_selectorILNS1_17partition_subalgoE2ExNS0_10empty_typeEbEEZZNS1_14partition_implILS5_2ELb0ES3_jN6thrust23THRUST_200600_302600_NS6detail15normal_iteratorINSA_7pointerIxNSA_11hip_rocprim3tagENSA_11use_defaultESG_EEEEPS6_NSA_18transform_iteratorINSA_8identityIxEENSC_INSA_10device_ptrIxEEEESG_SG_EENS0_5tupleIJPxSJ_EEENSR_IJSJ_SJ_EEES6_PlJS6_EEE10hipError_tPvRmT3_T4_T5_T6_T7_T9_mT8_P12ihipStream_tbDpT10_ENKUlT_T0_E_clISt17integral_constantIbLb1EES1F_EEDaS1A_S1B_EUlS1A_E_NS1_11comp_targetILNS1_3genE5ELNS1_11target_archE942ELNS1_3gpuE9ELNS1_3repE0EEENS1_30default_config_static_selectorELNS0_4arch9wavefront6targetE1EEEvT1_ ; -- Begin function _ZN7rocprim17ROCPRIM_400000_NS6detail17trampoline_kernelINS0_14default_configENS1_25partition_config_selectorILNS1_17partition_subalgoE2ExNS0_10empty_typeEbEEZZNS1_14partition_implILS5_2ELb0ES3_jN6thrust23THRUST_200600_302600_NS6detail15normal_iteratorINSA_7pointerIxNSA_11hip_rocprim3tagENSA_11use_defaultESG_EEEEPS6_NSA_18transform_iteratorINSA_8identityIxEENSC_INSA_10device_ptrIxEEEESG_SG_EENS0_5tupleIJPxSJ_EEENSR_IJSJ_SJ_EEES6_PlJS6_EEE10hipError_tPvRmT3_T4_T5_T6_T7_T9_mT8_P12ihipStream_tbDpT10_ENKUlT_T0_E_clISt17integral_constantIbLb1EES1F_EEDaS1A_S1B_EUlS1A_E_NS1_11comp_targetILNS1_3genE5ELNS1_11target_archE942ELNS1_3gpuE9ELNS1_3repE0EEENS1_30default_config_static_selectorELNS0_4arch9wavefront6targetE1EEEvT1_
	.globl	_ZN7rocprim17ROCPRIM_400000_NS6detail17trampoline_kernelINS0_14default_configENS1_25partition_config_selectorILNS1_17partition_subalgoE2ExNS0_10empty_typeEbEEZZNS1_14partition_implILS5_2ELb0ES3_jN6thrust23THRUST_200600_302600_NS6detail15normal_iteratorINSA_7pointerIxNSA_11hip_rocprim3tagENSA_11use_defaultESG_EEEEPS6_NSA_18transform_iteratorINSA_8identityIxEENSC_INSA_10device_ptrIxEEEESG_SG_EENS0_5tupleIJPxSJ_EEENSR_IJSJ_SJ_EEES6_PlJS6_EEE10hipError_tPvRmT3_T4_T5_T6_T7_T9_mT8_P12ihipStream_tbDpT10_ENKUlT_T0_E_clISt17integral_constantIbLb1EES1F_EEDaS1A_S1B_EUlS1A_E_NS1_11comp_targetILNS1_3genE5ELNS1_11target_archE942ELNS1_3gpuE9ELNS1_3repE0EEENS1_30default_config_static_selectorELNS0_4arch9wavefront6targetE1EEEvT1_
	.p2align	8
	.type	_ZN7rocprim17ROCPRIM_400000_NS6detail17trampoline_kernelINS0_14default_configENS1_25partition_config_selectorILNS1_17partition_subalgoE2ExNS0_10empty_typeEbEEZZNS1_14partition_implILS5_2ELb0ES3_jN6thrust23THRUST_200600_302600_NS6detail15normal_iteratorINSA_7pointerIxNSA_11hip_rocprim3tagENSA_11use_defaultESG_EEEEPS6_NSA_18transform_iteratorINSA_8identityIxEENSC_INSA_10device_ptrIxEEEESG_SG_EENS0_5tupleIJPxSJ_EEENSR_IJSJ_SJ_EEES6_PlJS6_EEE10hipError_tPvRmT3_T4_T5_T6_T7_T9_mT8_P12ihipStream_tbDpT10_ENKUlT_T0_E_clISt17integral_constantIbLb1EES1F_EEDaS1A_S1B_EUlS1A_E_NS1_11comp_targetILNS1_3genE5ELNS1_11target_archE942ELNS1_3gpuE9ELNS1_3repE0EEENS1_30default_config_static_selectorELNS0_4arch9wavefront6targetE1EEEvT1_,@function
_ZN7rocprim17ROCPRIM_400000_NS6detail17trampoline_kernelINS0_14default_configENS1_25partition_config_selectorILNS1_17partition_subalgoE2ExNS0_10empty_typeEbEEZZNS1_14partition_implILS5_2ELb0ES3_jN6thrust23THRUST_200600_302600_NS6detail15normal_iteratorINSA_7pointerIxNSA_11hip_rocprim3tagENSA_11use_defaultESG_EEEEPS6_NSA_18transform_iteratorINSA_8identityIxEENSC_INSA_10device_ptrIxEEEESG_SG_EENS0_5tupleIJPxSJ_EEENSR_IJSJ_SJ_EEES6_PlJS6_EEE10hipError_tPvRmT3_T4_T5_T6_T7_T9_mT8_P12ihipStream_tbDpT10_ENKUlT_T0_E_clISt17integral_constantIbLb1EES1F_EEDaS1A_S1B_EUlS1A_E_NS1_11comp_targetILNS1_3genE5ELNS1_11target_archE942ELNS1_3gpuE9ELNS1_3repE0EEENS1_30default_config_static_selectorELNS0_4arch9wavefront6targetE1EEEvT1_: ; @_ZN7rocprim17ROCPRIM_400000_NS6detail17trampoline_kernelINS0_14default_configENS1_25partition_config_selectorILNS1_17partition_subalgoE2ExNS0_10empty_typeEbEEZZNS1_14partition_implILS5_2ELb0ES3_jN6thrust23THRUST_200600_302600_NS6detail15normal_iteratorINSA_7pointerIxNSA_11hip_rocprim3tagENSA_11use_defaultESG_EEEEPS6_NSA_18transform_iteratorINSA_8identityIxEENSC_INSA_10device_ptrIxEEEESG_SG_EENS0_5tupleIJPxSJ_EEENSR_IJSJ_SJ_EEES6_PlJS6_EEE10hipError_tPvRmT3_T4_T5_T6_T7_T9_mT8_P12ihipStream_tbDpT10_ENKUlT_T0_E_clISt17integral_constantIbLb1EES1F_EEDaS1A_S1B_EUlS1A_E_NS1_11comp_targetILNS1_3genE5ELNS1_11target_archE942ELNS1_3gpuE9ELNS1_3repE0EEENS1_30default_config_static_selectorELNS0_4arch9wavefront6targetE1EEEvT1_
; %bb.0:
	s_load_dwordx2 s[2:3], s[0:1], 0x20
	s_load_dwordx2 s[28:29], s[0:1], 0x30
	;; [unrolled: 1-line block ×3, first 2 shown]
	s_load_dwordx4 s[20:23], s[0:1], 0x50
	s_load_dwordx2 s[36:37], s[0:1], 0x70
	v_cmp_eq_u32_e64 s[18:19], 0, v0
	s_and_saveexec_b64 s[4:5], s[18:19]
	s_cbranch_execz .LBB490_4
; %bb.1:
	s_mov_b64 s[8:9], exec
	v_mbcnt_lo_u32_b32 v1, s8, 0
	v_mbcnt_hi_u32_b32 v1, s9, v1
	v_cmp_eq_u32_e32 vcc, 0, v1
                                        ; implicit-def: $vgpr2
	s_and_saveexec_b64 s[6:7], vcc
	s_cbranch_execz .LBB490_3
; %bb.2:
	s_load_dwordx2 s[10:11], s[0:1], 0x80
	s_bcnt1_i32_b64 s8, s[8:9]
	v_mov_b32_e32 v2, 0
	v_mov_b32_e32 v3, s8
	s_waitcnt lgkmcnt(0)
	global_atomic_add v2, v2, v3, s[10:11] sc0
.LBB490_3:
	s_or_b64 exec, exec, s[6:7]
	s_waitcnt vmcnt(0)
	v_readfirstlane_b32 s6, v2
	v_mov_b32_e32 v2, 0
	s_nop 0
	v_add_u32_e32 v1, s6, v1
	ds_write_b32 v2, v1
.LBB490_4:
	s_or_b64 exec, exec, s[4:5]
	v_mov_b32_e32 v19, 0
	s_load_dwordx4 s[24:27], s[0:1], 0x8
	s_load_dword s6, s[0:1], 0x78
	s_waitcnt lgkmcnt(0)
	s_barrier
	ds_read_b32 v1, v19
	s_waitcnt lgkmcnt(0)
	s_barrier
	global_load_dwordx2 v[20:21], v19, s[22:23]
	s_lshl_b64 s[4:5], s[26:27], 3
	s_add_u32 s8, s24, s4
	s_mul_i32 s0, s6, 0xe00
	s_addc_u32 s9, s25, s5
	s_add_i32 s1, s0, s26
	s_sub_i32 s33, s30, s1
	s_add_i32 s7, s6, -1
	s_addk_i32 s33, 0xe00
	s_add_u32 s0, s26, s0
	v_readfirstlane_b32 s42, v1
	s_addc_u32 s1, s27, 0
	s_cmp_eq_u32 s42, s7
	v_mov_b64_e32 v[2:3], s[30:31]
	s_cselect_b64 s[22:23], -1, 0
	s_cmp_lg_u32 s42, s7
	s_mul_i32 s24, s42, 0xe00
	s_mov_b32 s25, 0
	v_cmp_lt_u64_e32 vcc, s[0:1], v[2:3]
	s_cselect_b64 s[0:1], -1, 0
	s_or_b64 s[34:35], vcc, s[0:1]
	s_lshl_b64 s[6:7], s[24:25], 3
	s_add_u32 s8, s8, s6
	s_addc_u32 s9, s9, s7
	s_mov_b64 s[0:1], -1
	s_and_b64 vcc, exec, s[34:35]
	v_lshlrev_b32_e32 v18, 3, v0
	s_cbranch_vccz .LBB490_6
; %bb.5:
	v_lshl_add_u64 v[2:3], s[8:9], 0, v[18:19]
	v_add_co_u32_e32 v4, vcc, 0x1000, v2
	s_mov_b64 s[0:1], 0
	s_nop 0
	v_addc_co_u32_e32 v5, vcc, 0, v3, vcc
	v_add_co_u32_e32 v6, vcc, 0x2000, v2
	s_nop 1
	v_addc_co_u32_e32 v7, vcc, 0, v3, vcc
	v_add_co_u32_e32 v8, vcc, 0x3000, v2
	s_nop 1
	v_addc_co_u32_e32 v9, vcc, 0, v3, vcc
	flat_load_dwordx2 v[10:11], v[2:3]
	flat_load_dwordx2 v[12:13], v[4:5]
	;; [unrolled: 1-line block ×4, first 2 shown]
	v_add_co_u32_e32 v4, vcc, 0x4000, v2
	s_nop 1
	v_addc_co_u32_e32 v5, vcc, 0, v3, vcc
	v_add_co_u32_e32 v6, vcc, 0x5000, v2
	s_nop 1
	v_addc_co_u32_e32 v7, vcc, 0, v3, vcc
	;; [unrolled: 3-line block ×3, first 2 shown]
	flat_load_dwordx2 v[8:9], v[4:5]
	flat_load_dwordx2 v[22:23], v[6:7]
	;; [unrolled: 1-line block ×3, first 2 shown]
	s_waitcnt vmcnt(0) lgkmcnt(0)
	ds_write2st64_b64 v18, v[10:11], v[12:13] offset1:8
	ds_write2st64_b64 v18, v[14:15], v[16:17] offset0:16 offset1:24
	ds_write2st64_b64 v18, v[8:9], v[22:23] offset0:32 offset1:40
	ds_write_b64 v18, v[24:25] offset:24576
	s_waitcnt lgkmcnt(0)
	s_barrier
.LBB490_6:
	s_andn2_b64 vcc, exec, s[0:1]
	v_cmp_gt_u32_e64 s[0:1], s33, v0
	s_cbranch_vccnz .LBB490_22
; %bb.7:
                                        ; implicit-def: $vgpr2_vgpr3_vgpr4_vgpr5_vgpr6_vgpr7_vgpr8_vgpr9_vgpr10_vgpr11_vgpr12_vgpr13_vgpr14_vgpr15_vgpr16_vgpr17
	s_and_saveexec_b64 s[10:11], s[0:1]
	s_cbranch_execz .LBB490_9
; %bb.8:
	v_mov_b32_e32 v19, 0
	v_lshl_add_u64 v[2:3], s[8:9], 0, v[18:19]
	flat_load_dwordx2 v[2:3], v[2:3]
.LBB490_9:
	s_or_b64 exec, exec, s[10:11]
	v_or_b32_e32 v1, 0x200, v0
	v_cmp_gt_u32_e32 vcc, s33, v1
	s_and_saveexec_b64 s[0:1], vcc
	s_cbranch_execz .LBB490_11
; %bb.10:
	v_lshlrev_b32_e32 v4, 3, v1
	v_mov_b32_e32 v5, 0
	v_lshl_add_u64 v[4:5], s[8:9], 0, v[4:5]
	flat_load_dwordx2 v[4:5], v[4:5]
.LBB490_11:
	s_or_b64 exec, exec, s[0:1]
	v_or_b32_e32 v1, 0x400, v0
	v_cmp_gt_u32_e32 vcc, s33, v1
	s_and_saveexec_b64 s[0:1], vcc
	s_cbranch_execz .LBB490_13
; %bb.12:
	v_lshlrev_b32_e32 v6, 3, v1
	v_mov_b32_e32 v7, 0
	v_lshl_add_u64 v[6:7], s[8:9], 0, v[6:7]
	flat_load_dwordx2 v[6:7], v[6:7]
.LBB490_13:
	;; [unrolled: 11-line block ×6, first 2 shown]
	s_or_b64 exec, exec, s[0:1]
	s_waitcnt vmcnt(0) lgkmcnt(0)
	ds_write2st64_b64 v18, v[2:3], v[4:5] offset1:8
	ds_write2st64_b64 v18, v[6:7], v[8:9] offset0:16 offset1:24
	ds_write2st64_b64 v18, v[10:11], v[12:13] offset0:32 offset1:40
	ds_write_b64 v18, v[14:15] offset:24576
	s_waitcnt lgkmcnt(0)
	s_barrier
.LBB490_22:
	v_mul_u32_u24_e32 v1, 7, v0
	v_lshlrev_b32_e32 v16, 3, v1
	ds_read2_b64 v[10:13], v16 offset1:1
	ds_read2_b64 v[6:9], v16 offset0:2 offset1:3
	ds_read2_b64 v[2:5], v16 offset0:4 offset1:5
	ds_read_b64 v[14:15], v16 offset:48
	s_add_u32 s0, s2, s4
	s_addc_u32 s1, s3, s5
	s_add_u32 s0, s0, s6
	s_addc_u32 s1, s1, s7
	s_mov_b64 s[2:3], -1
	s_and_b64 vcc, exec, s[34:35]
	s_waitcnt lgkmcnt(0)
	s_barrier
	s_cbranch_vccz .LBB490_24
; %bb.23:
	v_mov_b32_e32 v19, 0
	v_lshl_add_u64 v[22:23], s[0:1], 0, v[18:19]
	v_add_co_u32_e32 v26, vcc, 0x1000, v22
	global_load_dwordx2 v[24:25], v18, s[0:1]
	s_nop 0
	v_addc_co_u32_e32 v27, vcc, 0, v23, vcc
	v_add_co_u32_e32 v28, vcc, 0x2000, v22
	s_mov_b64 s[2:3], 0
	s_nop 0
	v_addc_co_u32_e32 v29, vcc, 0, v23, vcc
	v_add_co_u32_e32 v30, vcc, 0x3000, v22
	s_nop 1
	v_addc_co_u32_e32 v31, vcc, 0, v23, vcc
	v_add_co_u32_e32 v32, vcc, 0x4000, v22
	s_nop 1
	v_addc_co_u32_e32 v33, vcc, 0, v23, vcc
	global_load_dwordx2 v[34:35], v[26:27], off
	global_load_dwordx2 v[36:37], v[28:29], off
	;; [unrolled: 1-line block ×4, first 2 shown]
	v_add_co_u32_e32 v26, vcc, 0x5000, v22
	s_nop 1
	v_addc_co_u32_e32 v27, vcc, 0, v23, vcc
	v_add_co_u32_e32 v22, vcc, 0x6000, v22
	global_load_dwordx2 v[26:27], v[26:27], off
	s_nop 0
	v_addc_co_u32_e32 v23, vcc, 0, v23, vcc
	global_load_dwordx2 v[22:23], v[22:23], off
	s_waitcnt vmcnt(6)
	v_cmp_ne_u64_e32 vcc, 0, v[24:25]
	s_nop 1
	v_cndmask_b32_e64 v17, 0, 1, vcc
	ds_write_b8 v0, v17
	s_waitcnt vmcnt(5)
	v_cmp_ne_u64_e32 vcc, 0, v[34:35]
	s_nop 1
	v_cndmask_b32_e64 v17, 0, 1, vcc
	s_waitcnt vmcnt(4)
	v_cmp_ne_u64_e32 vcc, 0, v[36:37]
	ds_write_b8 v0, v17 offset:512
	s_nop 0
	v_cndmask_b32_e64 v19, 0, 1, vcc
	s_waitcnt vmcnt(3)
	v_cmp_ne_u64_e32 vcc, 0, v[38:39]
	ds_write_b8 v0, v19 offset:1024
	;; [unrolled: 5-line block ×4, first 2 shown]
	s_nop 0
	v_cndmask_b32_e64 v17, 0, 1, vcc
	s_waitcnt vmcnt(0)
	v_cmp_ne_u64_e32 vcc, 0, v[22:23]
	s_nop 1
	v_cndmask_b32_e64 v19, 0, 1, vcc
	ds_write_b8 v0, v17 offset:2560
	ds_write_b8 v0, v19 offset:3072
	s_waitcnt lgkmcnt(0)
	s_barrier
.LBB490_24:
	s_andn2_b64 vcc, exec, s[2:3]
	s_cbranch_vccnz .LBB490_40
; %bb.25:
	v_cmp_gt_u32_e32 vcc, s33, v0
	v_mov_b32_e32 v17, 0
	v_mov_b32_e32 v19, 0
	s_and_saveexec_b64 s[2:3], vcc
	s_cbranch_execz .LBB490_27
; %bb.26:
	global_load_dwordx2 v[22:23], v18, s[0:1]
	s_waitcnt vmcnt(0)
	v_cmp_ne_u64_e32 vcc, 0, v[22:23]
	s_nop 1
	v_cndmask_b32_e64 v19, 0, 1, vcc
.LBB490_27:
	s_or_b64 exec, exec, s[2:3]
	v_or_b32_e32 v22, 0x200, v0
	v_cmp_gt_u32_e32 vcc, s33, v22
	s_and_saveexec_b64 s[2:3], vcc
	s_cbranch_execz .LBB490_29
; %bb.28:
	v_lshlrev_b32_e32 v17, 3, v22
	global_load_dwordx2 v[22:23], v17, s[0:1]
	s_waitcnt vmcnt(0)
	v_cmp_ne_u64_e32 vcc, 0, v[22:23]
	s_nop 1
	v_cndmask_b32_e64 v17, 0, 1, vcc
.LBB490_29:
	s_or_b64 exec, exec, s[2:3]
	v_or_b32_e32 v24, 0x400, v0
	v_cmp_gt_u32_e32 vcc, s33, v24
	v_mov_b32_e32 v22, 0
	v_mov_b32_e32 v23, 0
	s_and_saveexec_b64 s[2:3], vcc
	s_cbranch_execz .LBB490_31
; %bb.30:
	v_lshlrev_b32_e32 v23, 3, v24
	global_load_dwordx2 v[24:25], v23, s[0:1]
	s_waitcnt vmcnt(0)
	v_cmp_ne_u64_e32 vcc, 0, v[24:25]
	s_nop 1
	v_cndmask_b32_e64 v23, 0, 1, vcc
.LBB490_31:
	s_or_b64 exec, exec, s[2:3]
	v_or_b32_e32 v24, 0x600, v0
	v_cmp_gt_u32_e32 vcc, s33, v24
	s_and_saveexec_b64 s[2:3], vcc
	s_cbranch_execz .LBB490_33
; %bb.32:
	v_lshlrev_b32_e32 v22, 3, v24
	global_load_dwordx2 v[24:25], v22, s[0:1]
	s_waitcnt vmcnt(0)
	v_cmp_ne_u64_e32 vcc, 0, v[24:25]
	s_nop 1
	v_cndmask_b32_e64 v22, 0, 1, vcc
.LBB490_33:
	s_or_b64 exec, exec, s[2:3]
	v_or_b32_e32 v26, 0x800, v0
	v_cmp_gt_u32_e32 vcc, s33, v26
	v_mov_b32_e32 v24, 0
	v_mov_b32_e32 v25, 0
	s_and_saveexec_b64 s[2:3], vcc
	s_cbranch_execz .LBB490_35
; %bb.34:
	v_lshlrev_b32_e32 v25, 3, v26
	global_load_dwordx2 v[26:27], v25, s[0:1]
	s_waitcnt vmcnt(0)
	v_cmp_ne_u64_e32 vcc, 0, v[26:27]
	s_nop 1
	v_cndmask_b32_e64 v25, 0, 1, vcc
.LBB490_35:
	s_or_b64 exec, exec, s[2:3]
	v_or_b32_e32 v26, 0xa00, v0
	v_cmp_gt_u32_e32 vcc, s33, v26
	s_and_saveexec_b64 s[2:3], vcc
	s_cbranch_execz .LBB490_37
; %bb.36:
	v_lshlrev_b32_e32 v24, 3, v26
	global_load_dwordx2 v[26:27], v24, s[0:1]
	s_waitcnt vmcnt(0)
	v_cmp_ne_u64_e32 vcc, 0, v[26:27]
	s_nop 1
	v_cndmask_b32_e64 v24, 0, 1, vcc
.LBB490_37:
	s_or_b64 exec, exec, s[2:3]
	v_or_b32_e32 v27, 0xc00, v0
	v_cmp_gt_u32_e32 vcc, s33, v27
	v_mov_b32_e32 v26, 0
	s_and_saveexec_b64 s[2:3], vcc
	s_cbranch_execz .LBB490_39
; %bb.38:
	v_lshlrev_b32_e32 v26, 3, v27
	global_load_dwordx2 v[26:27], v26, s[0:1]
	s_waitcnt vmcnt(0)
	v_cmp_ne_u64_e32 vcc, 0, v[26:27]
	s_nop 1
	v_cndmask_b32_e64 v26, 0, 1, vcc
.LBB490_39:
	s_or_b64 exec, exec, s[2:3]
	ds_write_b8 v0, v19
	ds_write_b8 v0, v17 offset:512
	ds_write_b8 v0, v23 offset:1024
	;; [unrolled: 1-line block ×6, first 2 shown]
	s_waitcnt lgkmcnt(0)
	s_barrier
.LBB490_40:
	s_movk_i32 s0, 0xffcf
	v_mad_i32_i24 v38, v0, s0, v16
	ds_read_u8 v16, v38
	ds_read_u8 v17, v38 offset:1
	ds_read_u8 v19, v38 offset:2
	;; [unrolled: 1-line block ×6, first 2 shown]
	s_waitcnt lgkmcnt(6)
	v_and_b32_e32 v36, 1, v16
	s_waitcnt lgkmcnt(5)
	v_and_b32_e32 v35, 1, v17
	;; [unrolled: 2-line block ×5, first 2 shown]
	v_add3_u32 v16, v35, v36, v33
	s_waitcnt lgkmcnt(1)
	v_and_b32_e32 v30, 1, v24
	s_waitcnt lgkmcnt(0)
	v_and_b32_e32 v19, 1, v25
	v_add3_u32 v16, v16, v32, v31
	v_add3_u32 v40, v16, v30, v19
	v_mbcnt_lo_u32_b32 v16, -1, 0
	v_mbcnt_hi_u32_b32 v37, -1, v16
	v_and_b32_e32 v16, 15, v37
	v_cmp_eq_u32_e64 s[14:15], 0, v16
	v_cmp_lt_u32_e64 s[12:13], 1, v16
	v_cmp_lt_u32_e64 s[10:11], 3, v16
	;; [unrolled: 1-line block ×3, first 2 shown]
	v_and_b32_e32 v16, 16, v37
	v_cmp_eq_u32_e64 s[6:7], 0, v16
	v_or_b32_e32 v16, 63, v0
	s_cmp_lg_u32 s42, 0
	v_cmp_lt_u32_e64 s[2:3], 31, v37
	v_lshrrev_b32_e32 v39, 6, v0
	v_cmp_eq_u32_e64 s[4:5], v16, v0
	s_barrier
	s_cbranch_scc0 .LBB490_71
; %bb.41:
	v_mov_b32_dpp v16, v40 row_shr:1 row_mask:0xf bank_mask:0xf
	v_cndmask_b32_e64 v16, v16, 0, s[14:15]
	v_add_u32_e32 v16, v16, v40
	s_nop 1
	v_mov_b32_dpp v17, v16 row_shr:2 row_mask:0xf bank_mask:0xf
	v_cndmask_b32_e64 v17, 0, v17, s[12:13]
	v_add_u32_e32 v16, v16, v17
	s_nop 1
	;; [unrolled: 4-line block ×4, first 2 shown]
	v_mov_b32_dpp v17, v16 row_bcast:15 row_mask:0xf bank_mask:0xf
	v_cndmask_b32_e64 v17, v17, 0, s[6:7]
	v_add_u32_e32 v16, v16, v17
	s_nop 1
	v_mov_b32_dpp v17, v16 row_bcast:31 row_mask:0xf bank_mask:0xf
	v_cndmask_b32_e64 v17, 0, v17, s[2:3]
	v_add_u32_e32 v16, v16, v17
	s_and_saveexec_b64 s[0:1], s[4:5]
	s_cbranch_execz .LBB490_43
; %bb.42:
	v_lshlrev_b32_e32 v17, 2, v39
	ds_write_b32 v17, v16
.LBB490_43:
	s_or_b64 exec, exec, s[0:1]
	v_cmp_gt_u32_e32 vcc, 8, v0
	s_waitcnt lgkmcnt(0)
	s_barrier
	s_and_saveexec_b64 s[0:1], vcc
	s_cbranch_execz .LBB490_45
; %bb.44:
	v_lshlrev_b32_e32 v17, 2, v0
	ds_read_b32 v22, v17
	v_and_b32_e32 v23, 7, v37
	v_cmp_ne_u32_e32 vcc, 0, v23
	s_waitcnt lgkmcnt(0)
	v_mov_b32_dpp v24, v22 row_shr:1 row_mask:0xf bank_mask:0xf
	v_cndmask_b32_e32 v24, 0, v24, vcc
	v_add_u32_e32 v22, v24, v22
	v_cmp_lt_u32_e32 vcc, 1, v23
	s_nop 0
	v_mov_b32_dpp v24, v22 row_shr:2 row_mask:0xf bank_mask:0xf
	v_cndmask_b32_e32 v24, 0, v24, vcc
	v_add_u32_e32 v22, v22, v24
	v_cmp_lt_u32_e32 vcc, 3, v23
	s_nop 0
	v_mov_b32_dpp v24, v22 row_shr:4 row_mask:0xf bank_mask:0xf
	v_cndmask_b32_e32 v23, 0, v24, vcc
	v_add_u32_e32 v22, v22, v23
	ds_write_b32 v17, v22
.LBB490_45:
	s_or_b64 exec, exec, s[0:1]
	v_cmp_gt_u32_e32 vcc, 64, v0
	v_cmp_lt_u32_e64 s[0:1], 63, v0
	s_waitcnt lgkmcnt(0)
	s_barrier
	s_waitcnt lgkmcnt(0)
                                        ; implicit-def: $vgpr34
	s_and_saveexec_b64 s[16:17], s[0:1]
	s_cbranch_execz .LBB490_47
; %bb.46:
	v_lshl_add_u32 v17, v39, 2, -4
	ds_read_b32 v34, v17
	s_waitcnt lgkmcnt(0)
	v_add_u32_e32 v16, v34, v16
.LBB490_47:
	s_or_b64 exec, exec, s[16:17]
	v_add_u32_e32 v17, -1, v37
	v_and_b32_e32 v22, 64, v37
	v_cmp_lt_i32_e64 s[0:1], v17, v22
	v_cmp_eq_u32_e64 s[16:17], 0, v37
	s_nop 0
	v_cndmask_b32_e64 v17, v17, v37, s[0:1]
	v_lshlrev_b32_e32 v17, 2, v17
	ds_bpermute_b32 v41, v17, v16
	s_and_saveexec_b64 s[0:1], vcc
	s_cbranch_execz .LBB490_70
; %bb.48:
	v_mov_b32_e32 v29, 0
	ds_read_b32 v16, v29 offset:28
	s_and_saveexec_b64 s[38:39], s[16:17]
	s_cbranch_execz .LBB490_50
; %bb.49:
	s_add_i32 s40, s42, 64
	s_mov_b32 s41, 0
	s_lshl_b64 s[40:41], s[40:41], 3
	s_add_u32 s40, s36, s40
	v_mov_b32_e32 v17, 1
	s_addc_u32 s41, s37, s41
	s_waitcnt lgkmcnt(0)
	global_store_dwordx2 v29, v[16:17], s[40:41] sc1
.LBB490_50:
	s_or_b64 exec, exec, s[38:39]
	v_xad_u32 v22, v37, -1, s42
	v_add_u32_e32 v28, 64, v22
	v_lshl_add_u64 v[24:25], v[28:29], 3, s[36:37]
	global_load_dwordx2 v[26:27], v[24:25], off sc1
	s_waitcnt vmcnt(0)
	v_cmp_eq_u16_sdwa s[40:41], v27, v29 src0_sel:BYTE_0 src1_sel:DWORD
	s_and_saveexec_b64 s[38:39], s[40:41]
	s_cbranch_execz .LBB490_56
; %bb.51:
	s_mov_b32 s25, 1
	s_mov_b64 s[40:41], 0
	v_mov_b32_e32 v17, 0
.LBB490_52:                             ; =>This Loop Header: Depth=1
                                        ;     Child Loop BB490_53 Depth 2
	s_max_u32 s43, s25, 1
.LBB490_53:                             ;   Parent Loop BB490_52 Depth=1
                                        ; =>  This Inner Loop Header: Depth=2
	s_add_i32 s43, s43, -1
	s_cmp_eq_u32 s43, 0
	s_sleep 1
	s_cbranch_scc0 .LBB490_53
; %bb.54:                               ;   in Loop: Header=BB490_52 Depth=1
	global_load_dwordx2 v[26:27], v[24:25], off sc1
	s_cmp_lt_u32 s25, 32
	s_cselect_b64 s[44:45], -1, 0
	s_cmp_lg_u64 s[44:45], 0
	s_addc_u32 s25, s25, 0
	s_waitcnt vmcnt(0)
	v_cmp_ne_u16_sdwa s[44:45], v27, v17 src0_sel:BYTE_0 src1_sel:DWORD
	s_or_b64 s[40:41], s[44:45], s[40:41]
	s_andn2_b64 exec, exec, s[40:41]
	s_cbranch_execnz .LBB490_52
; %bb.55:
	s_or_b64 exec, exec, s[40:41]
.LBB490_56:
	s_or_b64 exec, exec, s[38:39]
	v_and_b32_e32 v43, 63, v37
	v_mov_b32_e32 v42, 2
	v_cmp_ne_u32_e32 vcc, 63, v43
	v_cmp_eq_u16_sdwa s[38:39], v27, v42 src0_sel:BYTE_0 src1_sel:DWORD
	v_lshlrev_b64 v[24:25], v37, -1
	v_addc_co_u32_e32 v28, vcc, 0, v37, vcc
	v_and_b32_e32 v17, s39, v25
	v_lshlrev_b32_e32 v44, 2, v28
	v_or_b32_e32 v17, 0x80000000, v17
	ds_bpermute_b32 v28, v44, v26
	v_and_b32_e32 v23, s38, v24
	v_ffbl_b32_e32 v17, v17
	v_add_u32_e32 v17, 32, v17
	v_ffbl_b32_e32 v23, v23
	v_min_u32_e32 v17, v23, v17
	v_cmp_lt_u32_e32 vcc, v43, v17
	v_add_u32_e32 v46, 2, v43
	v_add_u32_e32 v48, 4, v43
	s_waitcnt lgkmcnt(0)
	v_cndmask_b32_e32 v23, 0, v28, vcc
	v_cmp_gt_u32_e32 vcc, 62, v43
	v_add_u32_e32 v23, v23, v26
	v_add_u32_e32 v50, 8, v43
	v_cndmask_b32_e64 v26, 0, 1, vcc
	v_lshlrev_b32_e32 v26, 1, v26
	v_add_lshl_u32 v45, v26, v37, 2
	ds_bpermute_b32 v26, v45, v23
	v_cmp_le_u32_e32 vcc, v46, v17
	v_add_u32_e32 v52, 16, v43
	v_add_u32_e32 v54, 32, v43
	s_waitcnt lgkmcnt(0)
	v_cndmask_b32_e32 v26, 0, v26, vcc
	v_cmp_gt_u32_e32 vcc, 60, v43
	v_add_u32_e32 v23, v23, v26
	s_nop 0
	v_cndmask_b32_e64 v26, 0, 1, vcc
	v_lshlrev_b32_e32 v26, 2, v26
	v_add_lshl_u32 v47, v26, v37, 2
	ds_bpermute_b32 v26, v47, v23
	v_cmp_le_u32_e32 vcc, v48, v17
	s_waitcnt lgkmcnt(0)
	s_nop 0
	v_cndmask_b32_e32 v26, 0, v26, vcc
	v_cmp_gt_u32_e32 vcc, 56, v43
	v_add_u32_e32 v23, v23, v26
	s_nop 0
	v_cndmask_b32_e64 v26, 0, 1, vcc
	v_lshlrev_b32_e32 v26, 3, v26
	v_add_lshl_u32 v49, v26, v37, 2
	ds_bpermute_b32 v26, v49, v23
	v_cmp_le_u32_e32 vcc, v50, v17
	s_waitcnt lgkmcnt(0)
	s_nop 0
	;; [unrolled: 11-line block ×4, first 2 shown]
	v_cndmask_b32_e32 v17, 0, v26, vcc
	v_add_u32_e32 v26, v23, v17
	v_mov_b32_e32 v23, 0
	s_branch .LBB490_58
.LBB490_57:                             ;   in Loop: Header=BB490_58 Depth=1
	s_or_b64 exec, exec, s[38:39]
	v_cmp_eq_u16_sdwa s[38:39], v27, v42 src0_sel:BYTE_0 src1_sel:DWORD
	ds_bpermute_b32 v55, v44, v26
	v_subrev_u32_e32 v22, 64, v22
	v_and_b32_e32 v28, s39, v25
	v_or_b32_e32 v28, 0x80000000, v28
	v_and_b32_e32 v29, s38, v24
	v_ffbl_b32_e32 v28, v28
	v_add_u32_e32 v28, 32, v28
	v_ffbl_b32_e32 v29, v29
	v_min_u32_e32 v28, v29, v28
	v_cmp_lt_u32_e32 vcc, v43, v28
	s_waitcnt lgkmcnt(0)
	s_nop 0
	v_cndmask_b32_e32 v29, 0, v55, vcc
	v_add_u32_e32 v26, v29, v26
	ds_bpermute_b32 v29, v45, v26
	v_cmp_le_u32_e32 vcc, v46, v28
	s_waitcnt lgkmcnt(0)
	s_nop 0
	v_cndmask_b32_e32 v29, 0, v29, vcc
	v_add_u32_e32 v26, v26, v29
	ds_bpermute_b32 v29, v47, v26
	v_cmp_le_u32_e32 vcc, v48, v28
	;; [unrolled: 6-line block ×5, first 2 shown]
	s_waitcnt lgkmcnt(0)
	s_nop 0
	v_cndmask_b32_e32 v28, 0, v29, vcc
	v_add3_u32 v26, v28, v17, v26
.LBB490_58:                             ; =>This Loop Header: Depth=1
                                        ;     Child Loop BB490_61 Depth 2
                                        ;       Child Loop BB490_62 Depth 3
	v_cmp_ne_u16_sdwa s[38:39], v27, v42 src0_sel:BYTE_0 src1_sel:DWORD
	s_nop 1
	v_cndmask_b32_e64 v17, 0, 1, s[38:39]
	;;#ASMSTART
	;;#ASMEND
	s_nop 0
	v_cmp_ne_u32_e32 vcc, 0, v17
	s_cmp_lg_u64 vcc, exec
	v_mov_b32_e32 v17, v26
	s_cbranch_scc1 .LBB490_65
; %bb.59:                               ;   in Loop: Header=BB490_58 Depth=1
	v_lshl_add_u64 v[28:29], v[22:23], 3, s[36:37]
	global_load_dwordx2 v[26:27], v[28:29], off sc1
	s_waitcnt vmcnt(0)
	v_cmp_eq_u16_sdwa s[40:41], v27, v23 src0_sel:BYTE_0 src1_sel:DWORD
	s_and_saveexec_b64 s[38:39], s[40:41]
	s_cbranch_execz .LBB490_57
; %bb.60:                               ;   in Loop: Header=BB490_58 Depth=1
	s_mov_b32 s25, 1
	s_mov_b64 s[40:41], 0
.LBB490_61:                             ;   Parent Loop BB490_58 Depth=1
                                        ; =>  This Loop Header: Depth=2
                                        ;       Child Loop BB490_62 Depth 3
	s_max_u32 s43, s25, 1
.LBB490_62:                             ;   Parent Loop BB490_58 Depth=1
                                        ;     Parent Loop BB490_61 Depth=2
                                        ; =>    This Inner Loop Header: Depth=3
	s_add_i32 s43, s43, -1
	s_cmp_eq_u32 s43, 0
	s_sleep 1
	s_cbranch_scc0 .LBB490_62
; %bb.63:                               ;   in Loop: Header=BB490_61 Depth=2
	global_load_dwordx2 v[26:27], v[28:29], off sc1
	s_cmp_lt_u32 s25, 32
	s_cselect_b64 s[44:45], -1, 0
	s_cmp_lg_u64 s[44:45], 0
	s_addc_u32 s25, s25, 0
	s_waitcnt vmcnt(0)
	v_cmp_ne_u16_sdwa s[44:45], v27, v23 src0_sel:BYTE_0 src1_sel:DWORD
	s_or_b64 s[40:41], s[44:45], s[40:41]
	s_andn2_b64 exec, exec, s[40:41]
	s_cbranch_execnz .LBB490_61
; %bb.64:                               ;   in Loop: Header=BB490_58 Depth=1
	s_or_b64 exec, exec, s[40:41]
	s_branch .LBB490_57
.LBB490_65:                             ;   in Loop: Header=BB490_58 Depth=1
                                        ; implicit-def: $vgpr26
                                        ; implicit-def: $vgpr27
	s_cbranch_execz .LBB490_58
; %bb.66:
	s_and_saveexec_b64 s[38:39], s[16:17]
	s_cbranch_execz .LBB490_68
; %bb.67:
	s_add_i32 s40, s42, 64
	s_mov_b32 s41, 0
	s_lshl_b64 s[40:41], s[40:41], 3
	s_add_u32 s40, s36, s40
	v_add_u32_e32 v22, v17, v16
	v_mov_b32_e32 v23, 2
	s_addc_u32 s41, s37, s41
	v_mov_b32_e32 v24, 0
	global_store_dwordx2 v24, v[22:23], s[40:41] sc1
	ds_write_b64 v24, v[16:17] offset:28672
.LBB490_68:
	s_or_b64 exec, exec, s[38:39]
	s_and_b64 exec, exec, s[18:19]
	s_cbranch_execz .LBB490_70
; %bb.69:
	v_mov_b32_e32 v16, 0
	ds_write_b32 v16, v17 offset:28
.LBB490_70:
	s_or_b64 exec, exec, s[0:1]
	v_mov_b32_e32 v16, 0
	s_waitcnt lgkmcnt(0)
	s_barrier
	ds_read_b32 v17, v16 offset:28
	v_cndmask_b32_e64 v22, v41, v34, s[16:17]
	v_cndmask_b32_e64 v22, v22, 0, s[18:19]
	s_waitcnt lgkmcnt(0)
	s_barrier
	v_add_u32_e32 v28, v17, v22
	v_add_u32_e32 v27, v28, v36
	ds_read_b64 v[16:17], v16 offset:28672
	v_add_u32_e32 v26, v27, v35
	v_add_u32_e32 v24, v26, v33
	;; [unrolled: 1-line block ×5, first 2 shown]
	s_waitcnt lgkmcnt(0)
	v_mov_b32_e32 v34, v17
	s_branch .LBB490_81
.LBB490_71:
                                        ; implicit-def: $vgpr34
                                        ; implicit-def: $vgpr16
                                        ; implicit-def: $vgpr22
                                        ; implicit-def: $vgpr23
                                        ; implicit-def: $vgpr25
                                        ; implicit-def: $vgpr24
                                        ; implicit-def: $vgpr26
                                        ; implicit-def: $vgpr27
                                        ; implicit-def: $vgpr28
	s_cbranch_execz .LBB490_81
; %bb.72:
	s_nop 0
	v_mov_b32_dpp v16, v40 row_shr:1 row_mask:0xf bank_mask:0xf
	v_cndmask_b32_e64 v16, v16, 0, s[14:15]
	v_add_u32_e32 v16, v16, v40
	s_nop 1
	v_mov_b32_dpp v17, v16 row_shr:2 row_mask:0xf bank_mask:0xf
	v_cndmask_b32_e64 v17, 0, v17, s[12:13]
	v_add_u32_e32 v16, v16, v17
	;; [unrolled: 4-line block ×4, first 2 shown]
	s_nop 1
	v_mov_b32_dpp v17, v16 row_bcast:15 row_mask:0xf bank_mask:0xf
	v_cndmask_b32_e64 v17, v17, 0, s[6:7]
	v_add_u32_e32 v16, v16, v17
	s_nop 1
	v_mov_b32_dpp v17, v16 row_bcast:31 row_mask:0xf bank_mask:0xf
	v_cndmask_b32_e64 v17, 0, v17, s[2:3]
	v_add_u32_e32 v16, v16, v17
	s_and_saveexec_b64 s[0:1], s[4:5]
	s_cbranch_execz .LBB490_74
; %bb.73:
	v_lshlrev_b32_e32 v17, 2, v39
	ds_write_b32 v17, v16
.LBB490_74:
	s_or_b64 exec, exec, s[0:1]
	v_cmp_gt_u32_e32 vcc, 8, v0
	s_waitcnt lgkmcnt(0)
	s_barrier
	s_and_saveexec_b64 s[0:1], vcc
	s_cbranch_execz .LBB490_76
; %bb.75:
	v_mad_i32_i24 v17, v0, -3, v38
	ds_read_b32 v22, v17
	v_and_b32_e32 v23, 7, v37
	v_cmp_ne_u32_e32 vcc, 0, v23
	s_waitcnt lgkmcnt(0)
	v_mov_b32_dpp v24, v22 row_shr:1 row_mask:0xf bank_mask:0xf
	v_cndmask_b32_e32 v24, 0, v24, vcc
	v_add_u32_e32 v22, v24, v22
	v_cmp_lt_u32_e32 vcc, 1, v23
	s_nop 0
	v_mov_b32_dpp v24, v22 row_shr:2 row_mask:0xf bank_mask:0xf
	v_cndmask_b32_e32 v24, 0, v24, vcc
	v_add_u32_e32 v22, v22, v24
	v_cmp_lt_u32_e32 vcc, 3, v23
	s_nop 0
	v_mov_b32_dpp v24, v22 row_shr:4 row_mask:0xf bank_mask:0xf
	v_cndmask_b32_e32 v23, 0, v24, vcc
	v_add_u32_e32 v22, v22, v23
	ds_write_b32 v17, v22
.LBB490_76:
	s_or_b64 exec, exec, s[0:1]
	v_cmp_lt_u32_e32 vcc, 63, v0
	v_mov_b32_e32 v17, 0
	v_mov_b32_e32 v22, 0
	s_waitcnt lgkmcnt(0)
	s_barrier
	s_and_saveexec_b64 s[0:1], vcc
	s_cbranch_execz .LBB490_78
; %bb.77:
	v_lshl_add_u32 v22, v39, 2, -4
	ds_read_b32 v22, v22
.LBB490_78:
	s_or_b64 exec, exec, s[0:1]
	v_add_u32_e32 v23, -1, v37
	v_and_b32_e32 v24, 64, v37
	v_cmp_lt_i32_e32 vcc, v23, v24
	s_waitcnt lgkmcnt(0)
	v_add_u32_e32 v16, v22, v16
	v_cndmask_b32_e32 v23, v23, v37, vcc
	v_lshlrev_b32_e32 v23, 2, v23
	ds_bpermute_b32 v23, v23, v16
	ds_read_b32 v16, v17 offset:28
	s_and_saveexec_b64 s[0:1], s[18:19]
	s_cbranch_execz .LBB490_80
; %bb.79:
	v_mov_b32_e32 v24, 0
	v_mov_b32_e32 v17, 2
	s_waitcnt lgkmcnt(0)
	global_store_dwordx2 v24, v[16:17], s[36:37] offset:512 sc1
.LBB490_80:
	s_or_b64 exec, exec, s[0:1]
	v_cmp_eq_u32_e32 vcc, 0, v37
	v_mov_b32_e32 v34, 0
	s_waitcnt lgkmcnt(0)
	v_cndmask_b32_e32 v17, v23, v22, vcc
	v_cndmask_b32_e64 v28, v17, 0, s[18:19]
	v_add_u32_e32 v27, v28, v36
	v_add_u32_e32 v26, v27, v35
	;; [unrolled: 1-line block ×6, first 2 shown]
	s_barrier
.LBB490_81:
	v_add_u32_e32 v1, v16, v1
	v_sub_u32_e32 v17, v28, v34
	v_sub_u32_e32 v28, v1, v17
	v_cmp_eq_u32_e32 vcc, 1, v36
	s_add_u32 s0, s26, s24
	s_addc_u32 s1, s27, 0
	v_cndmask_b32_e32 v17, v28, v17, vcc
	v_lshlrev_b32_e32 v17, 3, v17
	ds_write_b64 v17, v[10:11]
	v_sub_u32_e32 v10, v27, v34
	v_sub_u32_e32 v11, v1, v10
	v_add_u32_e32 v11, 1, v11
	v_cmp_eq_u32_e32 vcc, 1, v35
	s_sub_u32 s0, s30, s0
	s_subb_u32 s1, s31, s1
	v_cndmask_b32_e32 v10, v11, v10, vcc
	v_lshlrev_b32_e32 v10, 3, v10
	ds_write_b64 v10, v[12:13]
	v_sub_u32_e32 v10, v26, v34
	v_sub_u32_e32 v11, v1, v10
	v_add_u32_e32 v11, 2, v11
	v_cmp_eq_u32_e32 vcc, 1, v33
	v_or_b32_e32 v28, 0x600, v0
	v_or_b32_e32 v26, 0x800, v0
	v_cndmask_b32_e32 v10, v11, v10, vcc
	v_lshlrev_b32_e32 v10, 3, v10
	ds_write_b64 v10, v[6:7]
	v_sub_u32_e32 v6, v24, v34
	v_sub_u32_e32 v7, v1, v6
	v_add_u32_e32 v7, 3, v7
	v_cmp_eq_u32_e32 vcc, 1, v32
	v_or_b32_e32 v32, 0x200, v0
	v_or_b32_e32 v24, 0xa00, v0
	v_cndmask_b32_e32 v6, v7, v6, vcc
	v_lshlrev_b32_e32 v6, 3, v6
	ds_write_b64 v6, v[8:9]
	v_sub_u32_e32 v6, v25, v34
	v_sub_u32_e32 v7, v1, v6
	v_add_u32_e32 v7, 4, v7
	v_cmp_eq_u32_e32 vcc, 1, v31
	s_nop 1
	v_cndmask_b32_e32 v6, v7, v6, vcc
	v_lshlrev_b32_e32 v6, 3, v6
	ds_write_b64 v6, v[2:3]
	v_sub_u32_e32 v2, v23, v34
	v_sub_u32_e32 v3, v1, v2
	v_add_u32_e32 v3, 5, v3
	v_cmp_eq_u32_e32 vcc, 1, v30
	v_or_b32_e32 v30, 0x400, v0
	s_nop 0
	v_cndmask_b32_e32 v2, v3, v2, vcc
	v_lshlrev_b32_e32 v2, 3, v2
	ds_write_b64 v2, v[4:5]
	v_sub_u32_e32 v2, v22, v34
	v_sub_u32_e32 v1, v1, v2
	v_add_u32_e32 v1, 6, v1
	v_cmp_eq_u32_e32 vcc, 1, v19
	v_or_b32_e32 v22, 0xc00, v0
	s_nop 0
	v_cndmask_b32_e32 v1, v1, v2, vcc
	v_lshlrev_b32_e32 v1, 3, v1
	ds_write_b64 v1, v[14:15]
	s_waitcnt lgkmcnt(0)
	s_barrier
	ds_read2st64_b64 v[10:13], v18 offset1:8
	ds_read2st64_b64 v[6:9], v18 offset0:16 offset1:24
	ds_read2st64_b64 v[2:5], v18 offset0:32 offset1:40
	ds_read_b64 v[18:19], v18 offset:24576
	v_mov_b32_e32 v1, 0
	v_mov_b32_e32 v35, v1
	;; [unrolled: 1-line block ×3, first 2 shown]
	s_waitcnt vmcnt(0)
	v_lshl_add_u64 v[14:15], v[20:21], 0, v[34:35]
	v_lshl_add_u64 v[20:21], s[0:1], 0, v[16:17]
	v_mov_b32_e32 v33, v1
	v_mov_b32_e32 v31, v1
	;; [unrolled: 1-line block ×6, first 2 shown]
	s_andn2_b64 vcc, exec, s[34:35]
	v_lshl_add_u64 v[20:21], v[20:21], 0, v[14:15]
	s_cbranch_vccnz .LBB490_114
; %bb.82:
	v_cmp_ge_u32_e32 vcc, v0, v16
                                        ; implicit-def: $vgpr34_vgpr35
	s_and_saveexec_b64 s[0:1], vcc
	s_xor_b64 s[0:1], exec, s[0:1]
; %bb.83:
	v_not_b32_e32 v34, v0
	v_ashrrev_i32_e32 v35, 31, v34
	v_lshl_add_u64 v[34:35], v[20:21], 0, v[34:35]
; %bb.84:
	s_andn2_saveexec_b64 s[0:1], s[0:1]
; %bb.85:
	v_lshl_add_u64 v[34:35], v[14:15], 0, v[0:1]
; %bb.86:
	s_or_b64 exec, exec, s[0:1]
	v_lshl_add_u64 v[34:35], v[34:35], 3, s[28:29]
	v_cmp_ge_u32_e32 vcc, v32, v16
	s_waitcnt lgkmcnt(3)
	global_store_dwordx2 v[34:35], v[10:11], off
                                        ; implicit-def: $vgpr34_vgpr35
	s_and_saveexec_b64 s[0:1], vcc
	s_xor_b64 s[0:1], exec, s[0:1]
; %bb.87:
	v_xor_b32_e32 v34, 0xfffffdff, v0
	v_ashrrev_i32_e32 v35, 31, v34
	v_lshl_add_u64 v[34:35], v[20:21], 0, v[34:35]
; %bb.88:
	s_andn2_saveexec_b64 s[0:1], s[0:1]
; %bb.89:
	v_lshl_add_u64 v[34:35], v[14:15], 0, v[32:33]
; %bb.90:
	s_or_b64 exec, exec, s[0:1]
	v_lshl_add_u64 v[34:35], v[34:35], 3, s[28:29]
	v_cmp_ge_u32_e32 vcc, v30, v16
	global_store_dwordx2 v[34:35], v[12:13], off
                                        ; implicit-def: $vgpr34_vgpr35
	s_and_saveexec_b64 s[0:1], vcc
	s_xor_b64 s[0:1], exec, s[0:1]
; %bb.91:
	v_xor_b32_e32 v34, 0xfffffbff, v0
	v_ashrrev_i32_e32 v35, 31, v34
	v_lshl_add_u64 v[34:35], v[20:21], 0, v[34:35]
; %bb.92:
	s_andn2_saveexec_b64 s[0:1], s[0:1]
; %bb.93:
	v_lshl_add_u64 v[34:35], v[14:15], 0, v[30:31]
; %bb.94:
	s_or_b64 exec, exec, s[0:1]
	v_lshl_add_u64 v[34:35], v[34:35], 3, s[28:29]
	v_cmp_ge_u32_e32 vcc, v28, v16
	s_waitcnt lgkmcnt(2)
	global_store_dwordx2 v[34:35], v[6:7], off
                                        ; implicit-def: $vgpr34_vgpr35
	s_and_saveexec_b64 s[0:1], vcc
	s_xor_b64 s[0:1], exec, s[0:1]
; %bb.95:
	v_xor_b32_e32 v34, 0xfffff9ff, v0
	v_ashrrev_i32_e32 v35, 31, v34
	v_lshl_add_u64 v[34:35], v[20:21], 0, v[34:35]
; %bb.96:
	s_andn2_saveexec_b64 s[0:1], s[0:1]
; %bb.97:
	v_lshl_add_u64 v[34:35], v[14:15], 0, v[28:29]
; %bb.98:
	s_or_b64 exec, exec, s[0:1]
	v_lshl_add_u64 v[34:35], v[34:35], 3, s[28:29]
	v_cmp_ge_u32_e32 vcc, v26, v16
	global_store_dwordx2 v[34:35], v[8:9], off
                                        ; implicit-def: $vgpr34_vgpr35
	s_and_saveexec_b64 s[0:1], vcc
	s_xor_b64 s[0:1], exec, s[0:1]
; %bb.99:
	v_xor_b32_e32 v34, 0xfffff7ff, v0
	;; [unrolled: 33-line block ×3, first 2 shown]
	v_ashrrev_i32_e32 v35, 31, v34
	v_lshl_add_u64 v[34:35], v[20:21], 0, v[34:35]
; %bb.108:
	s_andn2_saveexec_b64 s[0:1], s[0:1]
; %bb.109:
	v_lshl_add_u64 v[34:35], v[14:15], 0, v[22:23]
; %bb.110:
	s_or_b64 exec, exec, s[0:1]
	s_mov_b64 s[0:1], -1
.LBB490_111:
	s_and_saveexec_b64 s[2:3], s[0:1]
	s_cbranch_execz .LBB490_158
.LBB490_112:
	v_lshl_add_u64 v[0:1], v[34:35], 3, s[28:29]
	s_waitcnt lgkmcnt(0)
	global_store_dwordx2 v[0:1], v[18:19], off
	s_or_b64 exec, exec, s[2:3]
	s_and_b64 s[0:1], s[18:19], s[22:23]
	s_and_saveexec_b64 s[2:3], s[0:1]
	s_cbranch_execnz .LBB490_159
.LBB490_113:
	s_endpgm
.LBB490_114:
	s_mov_b64 s[0:1], 0
                                        ; implicit-def: $vgpr34_vgpr35
	s_cbranch_execz .LBB490_111
; %bb.115:
	v_cmp_gt_u32_e32 vcc, s33, v0
	s_and_saveexec_b64 s[2:3], vcc
	s_cbranch_execz .LBB490_133
; %bb.116:
	v_cmp_ge_u32_e32 vcc, v0, v16
                                        ; implicit-def: $vgpr34_vgpr35
	s_and_saveexec_b64 s[4:5], vcc
	s_xor_b64 s[4:5], exec, s[4:5]
; %bb.117:
	v_not_b32_e32 v34, v0
	v_ashrrev_i32_e32 v35, 31, v34
	v_lshl_add_u64 v[34:35], v[20:21], 0, v[34:35]
; %bb.118:
	s_andn2_saveexec_b64 s[4:5], s[4:5]
; %bb.119:
	v_lshl_add_u64 v[34:35], v[14:15], 0, v[0:1]
; %bb.120:
	s_or_b64 exec, exec, s[4:5]
	v_lshl_add_u64 v[34:35], v[34:35], 3, s[28:29]
	s_waitcnt lgkmcnt(3)
	global_store_dwordx2 v[34:35], v[10:11], off
	s_or_b64 exec, exec, s[2:3]
	v_cmp_gt_u32_e32 vcc, s33, v32
	s_and_saveexec_b64 s[2:3], vcc
	s_cbranch_execnz .LBB490_134
.LBB490_121:
	s_or_b64 exec, exec, s[2:3]
	v_cmp_gt_u32_e32 vcc, s33, v30
	s_and_saveexec_b64 s[2:3], vcc
	s_cbranch_execz .LBB490_139
.LBB490_122:
	v_cmp_ge_u32_e32 vcc, v30, v16
                                        ; implicit-def: $vgpr10_vgpr11
	s_and_saveexec_b64 s[4:5], vcc
	s_xor_b64 s[4:5], exec, s[4:5]
	s_cbranch_execz .LBB490_124
; %bb.123:
	s_waitcnt lgkmcnt(3)
	v_xor_b32_e32 v10, 0xfffffbff, v0
	v_ashrrev_i32_e32 v11, 31, v10
	v_lshl_add_u64 v[10:11], v[20:21], 0, v[10:11]
                                        ; implicit-def: $vgpr30_vgpr31
.LBB490_124:
	s_andn2_saveexec_b64 s[4:5], s[4:5]
	s_cbranch_execz .LBB490_126
; %bb.125:
	s_waitcnt lgkmcnt(3)
	v_lshl_add_u64 v[10:11], v[14:15], 0, v[30:31]
.LBB490_126:
	s_or_b64 exec, exec, s[4:5]
	s_waitcnt lgkmcnt(3)
	v_lshl_add_u64 v[10:11], v[10:11], 3, s[28:29]
	s_waitcnt lgkmcnt(2)
	global_store_dwordx2 v[10:11], v[6:7], off
	s_or_b64 exec, exec, s[2:3]
	v_cmp_gt_u32_e32 vcc, s33, v28
	s_and_saveexec_b64 s[2:3], vcc
	s_cbranch_execnz .LBB490_140
.LBB490_127:
	s_or_b64 exec, exec, s[2:3]
	v_cmp_gt_u32_e32 vcc, s33, v26
	s_and_saveexec_b64 s[2:3], vcc
	s_cbranch_execz .LBB490_145
.LBB490_128:
	v_cmp_ge_u32_e32 vcc, v26, v16
                                        ; implicit-def: $vgpr6_vgpr7
	s_and_saveexec_b64 s[4:5], vcc
	s_xor_b64 s[4:5], exec, s[4:5]
	s_cbranch_execz .LBB490_130
; %bb.129:
	s_waitcnt lgkmcnt(2)
	v_xor_b32_e32 v6, 0xfffff7ff, v0
	v_ashrrev_i32_e32 v7, 31, v6
	v_lshl_add_u64 v[6:7], v[20:21], 0, v[6:7]
                                        ; implicit-def: $vgpr26_vgpr27
.LBB490_130:
	s_andn2_saveexec_b64 s[4:5], s[4:5]
	s_cbranch_execz .LBB490_132
; %bb.131:
	s_waitcnt lgkmcnt(2)
	v_lshl_add_u64 v[6:7], v[14:15], 0, v[26:27]
.LBB490_132:
	s_or_b64 exec, exec, s[4:5]
	s_waitcnt lgkmcnt(2)
	v_lshl_add_u64 v[6:7], v[6:7], 3, s[28:29]
	s_waitcnt lgkmcnt(1)
	global_store_dwordx2 v[6:7], v[2:3], off
	s_or_b64 exec, exec, s[2:3]
	v_cmp_gt_u32_e32 vcc, s33, v24
	s_and_saveexec_b64 s[2:3], vcc
	s_cbranch_execz .LBB490_151
	s_branch .LBB490_146
.LBB490_133:
	s_or_b64 exec, exec, s[2:3]
	v_cmp_gt_u32_e32 vcc, s33, v32
	s_and_saveexec_b64 s[2:3], vcc
	s_cbranch_execz .LBB490_121
.LBB490_134:
	v_cmp_ge_u32_e32 vcc, v32, v16
                                        ; implicit-def: $vgpr10_vgpr11
	s_and_saveexec_b64 s[4:5], vcc
	s_xor_b64 s[4:5], exec, s[4:5]
	s_cbranch_execz .LBB490_136
; %bb.135:
	s_waitcnt lgkmcnt(3)
	v_xor_b32_e32 v10, 0xfffffdff, v0
	v_ashrrev_i32_e32 v11, 31, v10
	v_lshl_add_u64 v[10:11], v[20:21], 0, v[10:11]
                                        ; implicit-def: $vgpr32_vgpr33
.LBB490_136:
	s_andn2_saveexec_b64 s[4:5], s[4:5]
	s_cbranch_execz .LBB490_138
; %bb.137:
	s_waitcnt lgkmcnt(3)
	v_lshl_add_u64 v[10:11], v[14:15], 0, v[32:33]
.LBB490_138:
	s_or_b64 exec, exec, s[4:5]
	s_waitcnt lgkmcnt(3)
	v_lshl_add_u64 v[10:11], v[10:11], 3, s[28:29]
	global_store_dwordx2 v[10:11], v[12:13], off
	s_or_b64 exec, exec, s[2:3]
	v_cmp_gt_u32_e32 vcc, s33, v30
	s_and_saveexec_b64 s[2:3], vcc
	s_cbranch_execnz .LBB490_122
.LBB490_139:
	s_or_b64 exec, exec, s[2:3]
	v_cmp_gt_u32_e32 vcc, s33, v28
	s_and_saveexec_b64 s[2:3], vcc
	s_cbranch_execz .LBB490_127
.LBB490_140:
	v_cmp_ge_u32_e32 vcc, v28, v16
                                        ; implicit-def: $vgpr6_vgpr7
	s_and_saveexec_b64 s[4:5], vcc
	s_xor_b64 s[4:5], exec, s[4:5]
	s_cbranch_execz .LBB490_142
; %bb.141:
	s_waitcnt lgkmcnt(2)
	v_xor_b32_e32 v6, 0xfffff9ff, v0
	v_ashrrev_i32_e32 v7, 31, v6
	v_lshl_add_u64 v[6:7], v[20:21], 0, v[6:7]
                                        ; implicit-def: $vgpr28_vgpr29
.LBB490_142:
	s_andn2_saveexec_b64 s[4:5], s[4:5]
	s_cbranch_execz .LBB490_144
; %bb.143:
	s_waitcnt lgkmcnt(2)
	v_lshl_add_u64 v[6:7], v[14:15], 0, v[28:29]
.LBB490_144:
	s_or_b64 exec, exec, s[4:5]
	s_waitcnt lgkmcnt(2)
	v_lshl_add_u64 v[6:7], v[6:7], 3, s[28:29]
	global_store_dwordx2 v[6:7], v[8:9], off
	s_or_b64 exec, exec, s[2:3]
	v_cmp_gt_u32_e32 vcc, s33, v26
	s_and_saveexec_b64 s[2:3], vcc
	s_cbranch_execnz .LBB490_128
.LBB490_145:
	s_or_b64 exec, exec, s[2:3]
	v_cmp_gt_u32_e32 vcc, s33, v24
	s_and_saveexec_b64 s[2:3], vcc
	s_cbranch_execz .LBB490_151
.LBB490_146:
	v_cmp_ge_u32_e32 vcc, v24, v16
                                        ; implicit-def: $vgpr2_vgpr3
	s_and_saveexec_b64 s[4:5], vcc
	s_xor_b64 s[4:5], exec, s[4:5]
	s_cbranch_execz .LBB490_148
; %bb.147:
	s_waitcnt lgkmcnt(1)
	v_xor_b32_e32 v2, 0xfffff5ff, v0
	v_ashrrev_i32_e32 v3, 31, v2
	v_lshl_add_u64 v[2:3], v[20:21], 0, v[2:3]
                                        ; implicit-def: $vgpr24_vgpr25
.LBB490_148:
	s_andn2_saveexec_b64 s[4:5], s[4:5]
	s_cbranch_execz .LBB490_150
; %bb.149:
	s_waitcnt lgkmcnt(1)
	v_lshl_add_u64 v[2:3], v[14:15], 0, v[24:25]
.LBB490_150:
	s_or_b64 exec, exec, s[4:5]
	s_waitcnt lgkmcnt(1)
	v_lshl_add_u64 v[2:3], v[2:3], 3, s[28:29]
	global_store_dwordx2 v[2:3], v[4:5], off
.LBB490_151:
	s_or_b64 exec, exec, s[2:3]
	v_cmp_gt_u32_e32 vcc, s33, v22
                                        ; implicit-def: $vgpr34_vgpr35
	s_and_saveexec_b64 s[2:3], vcc
	s_cbranch_execz .LBB490_157
; %bb.152:
	v_cmp_ge_u32_e32 vcc, v22, v16
                                        ; implicit-def: $vgpr34_vgpr35
	s_and_saveexec_b64 s[4:5], vcc
	s_xor_b64 s[4:5], exec, s[4:5]
; %bb.153:
	v_xor_b32_e32 v0, 0xfffff3ff, v0
	v_ashrrev_i32_e32 v1, 31, v0
	v_lshl_add_u64 v[34:35], v[20:21], 0, v[0:1]
                                        ; implicit-def: $vgpr22_vgpr23
; %bb.154:
	s_andn2_saveexec_b64 s[4:5], s[4:5]
; %bb.155:
	v_lshl_add_u64 v[34:35], v[14:15], 0, v[22:23]
; %bb.156:
	s_or_b64 exec, exec, s[4:5]
	s_or_b64 s[0:1], s[0:1], exec
.LBB490_157:
	s_or_b64 exec, exec, s[2:3]
	s_and_saveexec_b64 s[2:3], s[0:1]
	s_cbranch_execnz .LBB490_112
.LBB490_158:
	s_or_b64 exec, exec, s[2:3]
	s_and_b64 s[0:1], s[18:19], s[22:23]
	s_and_saveexec_b64 s[2:3], s[0:1]
	s_cbranch_execz .LBB490_113
.LBB490_159:
	s_waitcnt lgkmcnt(1)
	v_mov_b32_e32 v2, 0
	v_lshl_add_u64 v[0:1], v[14:15], 0, v[16:17]
	global_store_dwordx2 v2, v[0:1], s[20:21]
	s_endpgm
	.section	.rodata,"a",@progbits
	.p2align	6, 0x0
	.amdhsa_kernel _ZN7rocprim17ROCPRIM_400000_NS6detail17trampoline_kernelINS0_14default_configENS1_25partition_config_selectorILNS1_17partition_subalgoE2ExNS0_10empty_typeEbEEZZNS1_14partition_implILS5_2ELb0ES3_jN6thrust23THRUST_200600_302600_NS6detail15normal_iteratorINSA_7pointerIxNSA_11hip_rocprim3tagENSA_11use_defaultESG_EEEEPS6_NSA_18transform_iteratorINSA_8identityIxEENSC_INSA_10device_ptrIxEEEESG_SG_EENS0_5tupleIJPxSJ_EEENSR_IJSJ_SJ_EEES6_PlJS6_EEE10hipError_tPvRmT3_T4_T5_T6_T7_T9_mT8_P12ihipStream_tbDpT10_ENKUlT_T0_E_clISt17integral_constantIbLb1EES1F_EEDaS1A_S1B_EUlS1A_E_NS1_11comp_targetILNS1_3genE5ELNS1_11target_archE942ELNS1_3gpuE9ELNS1_3repE0EEENS1_30default_config_static_selectorELNS0_4arch9wavefront6targetE1EEEvT1_
		.amdhsa_group_segment_fixed_size 28680
		.amdhsa_private_segment_fixed_size 0
		.amdhsa_kernarg_size 144
		.amdhsa_user_sgpr_count 2
		.amdhsa_user_sgpr_dispatch_ptr 0
		.amdhsa_user_sgpr_queue_ptr 0
		.amdhsa_user_sgpr_kernarg_segment_ptr 1
		.amdhsa_user_sgpr_dispatch_id 0
		.amdhsa_user_sgpr_kernarg_preload_length 0
		.amdhsa_user_sgpr_kernarg_preload_offset 0
		.amdhsa_user_sgpr_private_segment_size 0
		.amdhsa_uses_dynamic_stack 0
		.amdhsa_enable_private_segment 0
		.amdhsa_system_sgpr_workgroup_id_x 1
		.amdhsa_system_sgpr_workgroup_id_y 0
		.amdhsa_system_sgpr_workgroup_id_z 0
		.amdhsa_system_sgpr_workgroup_info 0
		.amdhsa_system_vgpr_workitem_id 0
		.amdhsa_next_free_vgpr 56
		.amdhsa_next_free_sgpr 46
		.amdhsa_accum_offset 56
		.amdhsa_reserve_vcc 1
		.amdhsa_float_round_mode_32 0
		.amdhsa_float_round_mode_16_64 0
		.amdhsa_float_denorm_mode_32 3
		.amdhsa_float_denorm_mode_16_64 3
		.amdhsa_dx10_clamp 1
		.amdhsa_ieee_mode 1
		.amdhsa_fp16_overflow 0
		.amdhsa_tg_split 0
		.amdhsa_exception_fp_ieee_invalid_op 0
		.amdhsa_exception_fp_denorm_src 0
		.amdhsa_exception_fp_ieee_div_zero 0
		.amdhsa_exception_fp_ieee_overflow 0
		.amdhsa_exception_fp_ieee_underflow 0
		.amdhsa_exception_fp_ieee_inexact 0
		.amdhsa_exception_int_div_zero 0
	.end_amdhsa_kernel
	.section	.text._ZN7rocprim17ROCPRIM_400000_NS6detail17trampoline_kernelINS0_14default_configENS1_25partition_config_selectorILNS1_17partition_subalgoE2ExNS0_10empty_typeEbEEZZNS1_14partition_implILS5_2ELb0ES3_jN6thrust23THRUST_200600_302600_NS6detail15normal_iteratorINSA_7pointerIxNSA_11hip_rocprim3tagENSA_11use_defaultESG_EEEEPS6_NSA_18transform_iteratorINSA_8identityIxEENSC_INSA_10device_ptrIxEEEESG_SG_EENS0_5tupleIJPxSJ_EEENSR_IJSJ_SJ_EEES6_PlJS6_EEE10hipError_tPvRmT3_T4_T5_T6_T7_T9_mT8_P12ihipStream_tbDpT10_ENKUlT_T0_E_clISt17integral_constantIbLb1EES1F_EEDaS1A_S1B_EUlS1A_E_NS1_11comp_targetILNS1_3genE5ELNS1_11target_archE942ELNS1_3gpuE9ELNS1_3repE0EEENS1_30default_config_static_selectorELNS0_4arch9wavefront6targetE1EEEvT1_,"axG",@progbits,_ZN7rocprim17ROCPRIM_400000_NS6detail17trampoline_kernelINS0_14default_configENS1_25partition_config_selectorILNS1_17partition_subalgoE2ExNS0_10empty_typeEbEEZZNS1_14partition_implILS5_2ELb0ES3_jN6thrust23THRUST_200600_302600_NS6detail15normal_iteratorINSA_7pointerIxNSA_11hip_rocprim3tagENSA_11use_defaultESG_EEEEPS6_NSA_18transform_iteratorINSA_8identityIxEENSC_INSA_10device_ptrIxEEEESG_SG_EENS0_5tupleIJPxSJ_EEENSR_IJSJ_SJ_EEES6_PlJS6_EEE10hipError_tPvRmT3_T4_T5_T6_T7_T9_mT8_P12ihipStream_tbDpT10_ENKUlT_T0_E_clISt17integral_constantIbLb1EES1F_EEDaS1A_S1B_EUlS1A_E_NS1_11comp_targetILNS1_3genE5ELNS1_11target_archE942ELNS1_3gpuE9ELNS1_3repE0EEENS1_30default_config_static_selectorELNS0_4arch9wavefront6targetE1EEEvT1_,comdat
.Lfunc_end490:
	.size	_ZN7rocprim17ROCPRIM_400000_NS6detail17trampoline_kernelINS0_14default_configENS1_25partition_config_selectorILNS1_17partition_subalgoE2ExNS0_10empty_typeEbEEZZNS1_14partition_implILS5_2ELb0ES3_jN6thrust23THRUST_200600_302600_NS6detail15normal_iteratorINSA_7pointerIxNSA_11hip_rocprim3tagENSA_11use_defaultESG_EEEEPS6_NSA_18transform_iteratorINSA_8identityIxEENSC_INSA_10device_ptrIxEEEESG_SG_EENS0_5tupleIJPxSJ_EEENSR_IJSJ_SJ_EEES6_PlJS6_EEE10hipError_tPvRmT3_T4_T5_T6_T7_T9_mT8_P12ihipStream_tbDpT10_ENKUlT_T0_E_clISt17integral_constantIbLb1EES1F_EEDaS1A_S1B_EUlS1A_E_NS1_11comp_targetILNS1_3genE5ELNS1_11target_archE942ELNS1_3gpuE9ELNS1_3repE0EEENS1_30default_config_static_selectorELNS0_4arch9wavefront6targetE1EEEvT1_, .Lfunc_end490-_ZN7rocprim17ROCPRIM_400000_NS6detail17trampoline_kernelINS0_14default_configENS1_25partition_config_selectorILNS1_17partition_subalgoE2ExNS0_10empty_typeEbEEZZNS1_14partition_implILS5_2ELb0ES3_jN6thrust23THRUST_200600_302600_NS6detail15normal_iteratorINSA_7pointerIxNSA_11hip_rocprim3tagENSA_11use_defaultESG_EEEEPS6_NSA_18transform_iteratorINSA_8identityIxEENSC_INSA_10device_ptrIxEEEESG_SG_EENS0_5tupleIJPxSJ_EEENSR_IJSJ_SJ_EEES6_PlJS6_EEE10hipError_tPvRmT3_T4_T5_T6_T7_T9_mT8_P12ihipStream_tbDpT10_ENKUlT_T0_E_clISt17integral_constantIbLb1EES1F_EEDaS1A_S1B_EUlS1A_E_NS1_11comp_targetILNS1_3genE5ELNS1_11target_archE942ELNS1_3gpuE9ELNS1_3repE0EEENS1_30default_config_static_selectorELNS0_4arch9wavefront6targetE1EEEvT1_
                                        ; -- End function
	.section	.AMDGPU.csdata,"",@progbits
; Kernel info:
; codeLenInByte = 5812
; NumSgprs: 52
; NumVgprs: 56
; NumAgprs: 0
; TotalNumVgprs: 56
; ScratchSize: 0
; MemoryBound: 0
; FloatMode: 240
; IeeeMode: 1
; LDSByteSize: 28680 bytes/workgroup (compile time only)
; SGPRBlocks: 6
; VGPRBlocks: 6
; NumSGPRsForWavesPerEU: 52
; NumVGPRsForWavesPerEU: 56
; AccumOffset: 56
; Occupancy: 4
; WaveLimiterHint : 1
; COMPUTE_PGM_RSRC2:SCRATCH_EN: 0
; COMPUTE_PGM_RSRC2:USER_SGPR: 2
; COMPUTE_PGM_RSRC2:TRAP_HANDLER: 0
; COMPUTE_PGM_RSRC2:TGID_X_EN: 1
; COMPUTE_PGM_RSRC2:TGID_Y_EN: 0
; COMPUTE_PGM_RSRC2:TGID_Z_EN: 0
; COMPUTE_PGM_RSRC2:TIDIG_COMP_CNT: 0
; COMPUTE_PGM_RSRC3_GFX90A:ACCUM_OFFSET: 13
; COMPUTE_PGM_RSRC3_GFX90A:TG_SPLIT: 0
	.section	.text._ZN7rocprim17ROCPRIM_400000_NS6detail17trampoline_kernelINS0_14default_configENS1_25partition_config_selectorILNS1_17partition_subalgoE2ExNS0_10empty_typeEbEEZZNS1_14partition_implILS5_2ELb0ES3_jN6thrust23THRUST_200600_302600_NS6detail15normal_iteratorINSA_7pointerIxNSA_11hip_rocprim3tagENSA_11use_defaultESG_EEEEPS6_NSA_18transform_iteratorINSA_8identityIxEENSC_INSA_10device_ptrIxEEEESG_SG_EENS0_5tupleIJPxSJ_EEENSR_IJSJ_SJ_EEES6_PlJS6_EEE10hipError_tPvRmT3_T4_T5_T6_T7_T9_mT8_P12ihipStream_tbDpT10_ENKUlT_T0_E_clISt17integral_constantIbLb1EES1F_EEDaS1A_S1B_EUlS1A_E_NS1_11comp_targetILNS1_3genE4ELNS1_11target_archE910ELNS1_3gpuE8ELNS1_3repE0EEENS1_30default_config_static_selectorELNS0_4arch9wavefront6targetE1EEEvT1_,"axG",@progbits,_ZN7rocprim17ROCPRIM_400000_NS6detail17trampoline_kernelINS0_14default_configENS1_25partition_config_selectorILNS1_17partition_subalgoE2ExNS0_10empty_typeEbEEZZNS1_14partition_implILS5_2ELb0ES3_jN6thrust23THRUST_200600_302600_NS6detail15normal_iteratorINSA_7pointerIxNSA_11hip_rocprim3tagENSA_11use_defaultESG_EEEEPS6_NSA_18transform_iteratorINSA_8identityIxEENSC_INSA_10device_ptrIxEEEESG_SG_EENS0_5tupleIJPxSJ_EEENSR_IJSJ_SJ_EEES6_PlJS6_EEE10hipError_tPvRmT3_T4_T5_T6_T7_T9_mT8_P12ihipStream_tbDpT10_ENKUlT_T0_E_clISt17integral_constantIbLb1EES1F_EEDaS1A_S1B_EUlS1A_E_NS1_11comp_targetILNS1_3genE4ELNS1_11target_archE910ELNS1_3gpuE8ELNS1_3repE0EEENS1_30default_config_static_selectorELNS0_4arch9wavefront6targetE1EEEvT1_,comdat
	.protected	_ZN7rocprim17ROCPRIM_400000_NS6detail17trampoline_kernelINS0_14default_configENS1_25partition_config_selectorILNS1_17partition_subalgoE2ExNS0_10empty_typeEbEEZZNS1_14partition_implILS5_2ELb0ES3_jN6thrust23THRUST_200600_302600_NS6detail15normal_iteratorINSA_7pointerIxNSA_11hip_rocprim3tagENSA_11use_defaultESG_EEEEPS6_NSA_18transform_iteratorINSA_8identityIxEENSC_INSA_10device_ptrIxEEEESG_SG_EENS0_5tupleIJPxSJ_EEENSR_IJSJ_SJ_EEES6_PlJS6_EEE10hipError_tPvRmT3_T4_T5_T6_T7_T9_mT8_P12ihipStream_tbDpT10_ENKUlT_T0_E_clISt17integral_constantIbLb1EES1F_EEDaS1A_S1B_EUlS1A_E_NS1_11comp_targetILNS1_3genE4ELNS1_11target_archE910ELNS1_3gpuE8ELNS1_3repE0EEENS1_30default_config_static_selectorELNS0_4arch9wavefront6targetE1EEEvT1_ ; -- Begin function _ZN7rocprim17ROCPRIM_400000_NS6detail17trampoline_kernelINS0_14default_configENS1_25partition_config_selectorILNS1_17partition_subalgoE2ExNS0_10empty_typeEbEEZZNS1_14partition_implILS5_2ELb0ES3_jN6thrust23THRUST_200600_302600_NS6detail15normal_iteratorINSA_7pointerIxNSA_11hip_rocprim3tagENSA_11use_defaultESG_EEEEPS6_NSA_18transform_iteratorINSA_8identityIxEENSC_INSA_10device_ptrIxEEEESG_SG_EENS0_5tupleIJPxSJ_EEENSR_IJSJ_SJ_EEES6_PlJS6_EEE10hipError_tPvRmT3_T4_T5_T6_T7_T9_mT8_P12ihipStream_tbDpT10_ENKUlT_T0_E_clISt17integral_constantIbLb1EES1F_EEDaS1A_S1B_EUlS1A_E_NS1_11comp_targetILNS1_3genE4ELNS1_11target_archE910ELNS1_3gpuE8ELNS1_3repE0EEENS1_30default_config_static_selectorELNS0_4arch9wavefront6targetE1EEEvT1_
	.globl	_ZN7rocprim17ROCPRIM_400000_NS6detail17trampoline_kernelINS0_14default_configENS1_25partition_config_selectorILNS1_17partition_subalgoE2ExNS0_10empty_typeEbEEZZNS1_14partition_implILS5_2ELb0ES3_jN6thrust23THRUST_200600_302600_NS6detail15normal_iteratorINSA_7pointerIxNSA_11hip_rocprim3tagENSA_11use_defaultESG_EEEEPS6_NSA_18transform_iteratorINSA_8identityIxEENSC_INSA_10device_ptrIxEEEESG_SG_EENS0_5tupleIJPxSJ_EEENSR_IJSJ_SJ_EEES6_PlJS6_EEE10hipError_tPvRmT3_T4_T5_T6_T7_T9_mT8_P12ihipStream_tbDpT10_ENKUlT_T0_E_clISt17integral_constantIbLb1EES1F_EEDaS1A_S1B_EUlS1A_E_NS1_11comp_targetILNS1_3genE4ELNS1_11target_archE910ELNS1_3gpuE8ELNS1_3repE0EEENS1_30default_config_static_selectorELNS0_4arch9wavefront6targetE1EEEvT1_
	.p2align	8
	.type	_ZN7rocprim17ROCPRIM_400000_NS6detail17trampoline_kernelINS0_14default_configENS1_25partition_config_selectorILNS1_17partition_subalgoE2ExNS0_10empty_typeEbEEZZNS1_14partition_implILS5_2ELb0ES3_jN6thrust23THRUST_200600_302600_NS6detail15normal_iteratorINSA_7pointerIxNSA_11hip_rocprim3tagENSA_11use_defaultESG_EEEEPS6_NSA_18transform_iteratorINSA_8identityIxEENSC_INSA_10device_ptrIxEEEESG_SG_EENS0_5tupleIJPxSJ_EEENSR_IJSJ_SJ_EEES6_PlJS6_EEE10hipError_tPvRmT3_T4_T5_T6_T7_T9_mT8_P12ihipStream_tbDpT10_ENKUlT_T0_E_clISt17integral_constantIbLb1EES1F_EEDaS1A_S1B_EUlS1A_E_NS1_11comp_targetILNS1_3genE4ELNS1_11target_archE910ELNS1_3gpuE8ELNS1_3repE0EEENS1_30default_config_static_selectorELNS0_4arch9wavefront6targetE1EEEvT1_,@function
_ZN7rocprim17ROCPRIM_400000_NS6detail17trampoline_kernelINS0_14default_configENS1_25partition_config_selectorILNS1_17partition_subalgoE2ExNS0_10empty_typeEbEEZZNS1_14partition_implILS5_2ELb0ES3_jN6thrust23THRUST_200600_302600_NS6detail15normal_iteratorINSA_7pointerIxNSA_11hip_rocprim3tagENSA_11use_defaultESG_EEEEPS6_NSA_18transform_iteratorINSA_8identityIxEENSC_INSA_10device_ptrIxEEEESG_SG_EENS0_5tupleIJPxSJ_EEENSR_IJSJ_SJ_EEES6_PlJS6_EEE10hipError_tPvRmT3_T4_T5_T6_T7_T9_mT8_P12ihipStream_tbDpT10_ENKUlT_T0_E_clISt17integral_constantIbLb1EES1F_EEDaS1A_S1B_EUlS1A_E_NS1_11comp_targetILNS1_3genE4ELNS1_11target_archE910ELNS1_3gpuE8ELNS1_3repE0EEENS1_30default_config_static_selectorELNS0_4arch9wavefront6targetE1EEEvT1_: ; @_ZN7rocprim17ROCPRIM_400000_NS6detail17trampoline_kernelINS0_14default_configENS1_25partition_config_selectorILNS1_17partition_subalgoE2ExNS0_10empty_typeEbEEZZNS1_14partition_implILS5_2ELb0ES3_jN6thrust23THRUST_200600_302600_NS6detail15normal_iteratorINSA_7pointerIxNSA_11hip_rocprim3tagENSA_11use_defaultESG_EEEEPS6_NSA_18transform_iteratorINSA_8identityIxEENSC_INSA_10device_ptrIxEEEESG_SG_EENS0_5tupleIJPxSJ_EEENSR_IJSJ_SJ_EEES6_PlJS6_EEE10hipError_tPvRmT3_T4_T5_T6_T7_T9_mT8_P12ihipStream_tbDpT10_ENKUlT_T0_E_clISt17integral_constantIbLb1EES1F_EEDaS1A_S1B_EUlS1A_E_NS1_11comp_targetILNS1_3genE4ELNS1_11target_archE910ELNS1_3gpuE8ELNS1_3repE0EEENS1_30default_config_static_selectorELNS0_4arch9wavefront6targetE1EEEvT1_
; %bb.0:
	.section	.rodata,"a",@progbits
	.p2align	6, 0x0
	.amdhsa_kernel _ZN7rocprim17ROCPRIM_400000_NS6detail17trampoline_kernelINS0_14default_configENS1_25partition_config_selectorILNS1_17partition_subalgoE2ExNS0_10empty_typeEbEEZZNS1_14partition_implILS5_2ELb0ES3_jN6thrust23THRUST_200600_302600_NS6detail15normal_iteratorINSA_7pointerIxNSA_11hip_rocprim3tagENSA_11use_defaultESG_EEEEPS6_NSA_18transform_iteratorINSA_8identityIxEENSC_INSA_10device_ptrIxEEEESG_SG_EENS0_5tupleIJPxSJ_EEENSR_IJSJ_SJ_EEES6_PlJS6_EEE10hipError_tPvRmT3_T4_T5_T6_T7_T9_mT8_P12ihipStream_tbDpT10_ENKUlT_T0_E_clISt17integral_constantIbLb1EES1F_EEDaS1A_S1B_EUlS1A_E_NS1_11comp_targetILNS1_3genE4ELNS1_11target_archE910ELNS1_3gpuE8ELNS1_3repE0EEENS1_30default_config_static_selectorELNS0_4arch9wavefront6targetE1EEEvT1_
		.amdhsa_group_segment_fixed_size 0
		.amdhsa_private_segment_fixed_size 0
		.amdhsa_kernarg_size 144
		.amdhsa_user_sgpr_count 2
		.amdhsa_user_sgpr_dispatch_ptr 0
		.amdhsa_user_sgpr_queue_ptr 0
		.amdhsa_user_sgpr_kernarg_segment_ptr 1
		.amdhsa_user_sgpr_dispatch_id 0
		.amdhsa_user_sgpr_kernarg_preload_length 0
		.amdhsa_user_sgpr_kernarg_preload_offset 0
		.amdhsa_user_sgpr_private_segment_size 0
		.amdhsa_uses_dynamic_stack 0
		.amdhsa_enable_private_segment 0
		.amdhsa_system_sgpr_workgroup_id_x 1
		.amdhsa_system_sgpr_workgroup_id_y 0
		.amdhsa_system_sgpr_workgroup_id_z 0
		.amdhsa_system_sgpr_workgroup_info 0
		.amdhsa_system_vgpr_workitem_id 0
		.amdhsa_next_free_vgpr 1
		.amdhsa_next_free_sgpr 0
		.amdhsa_accum_offset 4
		.amdhsa_reserve_vcc 0
		.amdhsa_float_round_mode_32 0
		.amdhsa_float_round_mode_16_64 0
		.amdhsa_float_denorm_mode_32 3
		.amdhsa_float_denorm_mode_16_64 3
		.amdhsa_dx10_clamp 1
		.amdhsa_ieee_mode 1
		.amdhsa_fp16_overflow 0
		.amdhsa_tg_split 0
		.amdhsa_exception_fp_ieee_invalid_op 0
		.amdhsa_exception_fp_denorm_src 0
		.amdhsa_exception_fp_ieee_div_zero 0
		.amdhsa_exception_fp_ieee_overflow 0
		.amdhsa_exception_fp_ieee_underflow 0
		.amdhsa_exception_fp_ieee_inexact 0
		.amdhsa_exception_int_div_zero 0
	.end_amdhsa_kernel
	.section	.text._ZN7rocprim17ROCPRIM_400000_NS6detail17trampoline_kernelINS0_14default_configENS1_25partition_config_selectorILNS1_17partition_subalgoE2ExNS0_10empty_typeEbEEZZNS1_14partition_implILS5_2ELb0ES3_jN6thrust23THRUST_200600_302600_NS6detail15normal_iteratorINSA_7pointerIxNSA_11hip_rocprim3tagENSA_11use_defaultESG_EEEEPS6_NSA_18transform_iteratorINSA_8identityIxEENSC_INSA_10device_ptrIxEEEESG_SG_EENS0_5tupleIJPxSJ_EEENSR_IJSJ_SJ_EEES6_PlJS6_EEE10hipError_tPvRmT3_T4_T5_T6_T7_T9_mT8_P12ihipStream_tbDpT10_ENKUlT_T0_E_clISt17integral_constantIbLb1EES1F_EEDaS1A_S1B_EUlS1A_E_NS1_11comp_targetILNS1_3genE4ELNS1_11target_archE910ELNS1_3gpuE8ELNS1_3repE0EEENS1_30default_config_static_selectorELNS0_4arch9wavefront6targetE1EEEvT1_,"axG",@progbits,_ZN7rocprim17ROCPRIM_400000_NS6detail17trampoline_kernelINS0_14default_configENS1_25partition_config_selectorILNS1_17partition_subalgoE2ExNS0_10empty_typeEbEEZZNS1_14partition_implILS5_2ELb0ES3_jN6thrust23THRUST_200600_302600_NS6detail15normal_iteratorINSA_7pointerIxNSA_11hip_rocprim3tagENSA_11use_defaultESG_EEEEPS6_NSA_18transform_iteratorINSA_8identityIxEENSC_INSA_10device_ptrIxEEEESG_SG_EENS0_5tupleIJPxSJ_EEENSR_IJSJ_SJ_EEES6_PlJS6_EEE10hipError_tPvRmT3_T4_T5_T6_T7_T9_mT8_P12ihipStream_tbDpT10_ENKUlT_T0_E_clISt17integral_constantIbLb1EES1F_EEDaS1A_S1B_EUlS1A_E_NS1_11comp_targetILNS1_3genE4ELNS1_11target_archE910ELNS1_3gpuE8ELNS1_3repE0EEENS1_30default_config_static_selectorELNS0_4arch9wavefront6targetE1EEEvT1_,comdat
.Lfunc_end491:
	.size	_ZN7rocprim17ROCPRIM_400000_NS6detail17trampoline_kernelINS0_14default_configENS1_25partition_config_selectorILNS1_17partition_subalgoE2ExNS0_10empty_typeEbEEZZNS1_14partition_implILS5_2ELb0ES3_jN6thrust23THRUST_200600_302600_NS6detail15normal_iteratorINSA_7pointerIxNSA_11hip_rocprim3tagENSA_11use_defaultESG_EEEEPS6_NSA_18transform_iteratorINSA_8identityIxEENSC_INSA_10device_ptrIxEEEESG_SG_EENS0_5tupleIJPxSJ_EEENSR_IJSJ_SJ_EEES6_PlJS6_EEE10hipError_tPvRmT3_T4_T5_T6_T7_T9_mT8_P12ihipStream_tbDpT10_ENKUlT_T0_E_clISt17integral_constantIbLb1EES1F_EEDaS1A_S1B_EUlS1A_E_NS1_11comp_targetILNS1_3genE4ELNS1_11target_archE910ELNS1_3gpuE8ELNS1_3repE0EEENS1_30default_config_static_selectorELNS0_4arch9wavefront6targetE1EEEvT1_, .Lfunc_end491-_ZN7rocprim17ROCPRIM_400000_NS6detail17trampoline_kernelINS0_14default_configENS1_25partition_config_selectorILNS1_17partition_subalgoE2ExNS0_10empty_typeEbEEZZNS1_14partition_implILS5_2ELb0ES3_jN6thrust23THRUST_200600_302600_NS6detail15normal_iteratorINSA_7pointerIxNSA_11hip_rocprim3tagENSA_11use_defaultESG_EEEEPS6_NSA_18transform_iteratorINSA_8identityIxEENSC_INSA_10device_ptrIxEEEESG_SG_EENS0_5tupleIJPxSJ_EEENSR_IJSJ_SJ_EEES6_PlJS6_EEE10hipError_tPvRmT3_T4_T5_T6_T7_T9_mT8_P12ihipStream_tbDpT10_ENKUlT_T0_E_clISt17integral_constantIbLb1EES1F_EEDaS1A_S1B_EUlS1A_E_NS1_11comp_targetILNS1_3genE4ELNS1_11target_archE910ELNS1_3gpuE8ELNS1_3repE0EEENS1_30default_config_static_selectorELNS0_4arch9wavefront6targetE1EEEvT1_
                                        ; -- End function
	.section	.AMDGPU.csdata,"",@progbits
; Kernel info:
; codeLenInByte = 0
; NumSgprs: 6
; NumVgprs: 0
; NumAgprs: 0
; TotalNumVgprs: 0
; ScratchSize: 0
; MemoryBound: 0
; FloatMode: 240
; IeeeMode: 1
; LDSByteSize: 0 bytes/workgroup (compile time only)
; SGPRBlocks: 0
; VGPRBlocks: 0
; NumSGPRsForWavesPerEU: 6
; NumVGPRsForWavesPerEU: 1
; AccumOffset: 4
; Occupancy: 8
; WaveLimiterHint : 0
; COMPUTE_PGM_RSRC2:SCRATCH_EN: 0
; COMPUTE_PGM_RSRC2:USER_SGPR: 2
; COMPUTE_PGM_RSRC2:TRAP_HANDLER: 0
; COMPUTE_PGM_RSRC2:TGID_X_EN: 1
; COMPUTE_PGM_RSRC2:TGID_Y_EN: 0
; COMPUTE_PGM_RSRC2:TGID_Z_EN: 0
; COMPUTE_PGM_RSRC2:TIDIG_COMP_CNT: 0
; COMPUTE_PGM_RSRC3_GFX90A:ACCUM_OFFSET: 0
; COMPUTE_PGM_RSRC3_GFX90A:TG_SPLIT: 0
	.section	.text._ZN7rocprim17ROCPRIM_400000_NS6detail17trampoline_kernelINS0_14default_configENS1_25partition_config_selectorILNS1_17partition_subalgoE2ExNS0_10empty_typeEbEEZZNS1_14partition_implILS5_2ELb0ES3_jN6thrust23THRUST_200600_302600_NS6detail15normal_iteratorINSA_7pointerIxNSA_11hip_rocprim3tagENSA_11use_defaultESG_EEEEPS6_NSA_18transform_iteratorINSA_8identityIxEENSC_INSA_10device_ptrIxEEEESG_SG_EENS0_5tupleIJPxSJ_EEENSR_IJSJ_SJ_EEES6_PlJS6_EEE10hipError_tPvRmT3_T4_T5_T6_T7_T9_mT8_P12ihipStream_tbDpT10_ENKUlT_T0_E_clISt17integral_constantIbLb1EES1F_EEDaS1A_S1B_EUlS1A_E_NS1_11comp_targetILNS1_3genE3ELNS1_11target_archE908ELNS1_3gpuE7ELNS1_3repE0EEENS1_30default_config_static_selectorELNS0_4arch9wavefront6targetE1EEEvT1_,"axG",@progbits,_ZN7rocprim17ROCPRIM_400000_NS6detail17trampoline_kernelINS0_14default_configENS1_25partition_config_selectorILNS1_17partition_subalgoE2ExNS0_10empty_typeEbEEZZNS1_14partition_implILS5_2ELb0ES3_jN6thrust23THRUST_200600_302600_NS6detail15normal_iteratorINSA_7pointerIxNSA_11hip_rocprim3tagENSA_11use_defaultESG_EEEEPS6_NSA_18transform_iteratorINSA_8identityIxEENSC_INSA_10device_ptrIxEEEESG_SG_EENS0_5tupleIJPxSJ_EEENSR_IJSJ_SJ_EEES6_PlJS6_EEE10hipError_tPvRmT3_T4_T5_T6_T7_T9_mT8_P12ihipStream_tbDpT10_ENKUlT_T0_E_clISt17integral_constantIbLb1EES1F_EEDaS1A_S1B_EUlS1A_E_NS1_11comp_targetILNS1_3genE3ELNS1_11target_archE908ELNS1_3gpuE7ELNS1_3repE0EEENS1_30default_config_static_selectorELNS0_4arch9wavefront6targetE1EEEvT1_,comdat
	.protected	_ZN7rocprim17ROCPRIM_400000_NS6detail17trampoline_kernelINS0_14default_configENS1_25partition_config_selectorILNS1_17partition_subalgoE2ExNS0_10empty_typeEbEEZZNS1_14partition_implILS5_2ELb0ES3_jN6thrust23THRUST_200600_302600_NS6detail15normal_iteratorINSA_7pointerIxNSA_11hip_rocprim3tagENSA_11use_defaultESG_EEEEPS6_NSA_18transform_iteratorINSA_8identityIxEENSC_INSA_10device_ptrIxEEEESG_SG_EENS0_5tupleIJPxSJ_EEENSR_IJSJ_SJ_EEES6_PlJS6_EEE10hipError_tPvRmT3_T4_T5_T6_T7_T9_mT8_P12ihipStream_tbDpT10_ENKUlT_T0_E_clISt17integral_constantIbLb1EES1F_EEDaS1A_S1B_EUlS1A_E_NS1_11comp_targetILNS1_3genE3ELNS1_11target_archE908ELNS1_3gpuE7ELNS1_3repE0EEENS1_30default_config_static_selectorELNS0_4arch9wavefront6targetE1EEEvT1_ ; -- Begin function _ZN7rocprim17ROCPRIM_400000_NS6detail17trampoline_kernelINS0_14default_configENS1_25partition_config_selectorILNS1_17partition_subalgoE2ExNS0_10empty_typeEbEEZZNS1_14partition_implILS5_2ELb0ES3_jN6thrust23THRUST_200600_302600_NS6detail15normal_iteratorINSA_7pointerIxNSA_11hip_rocprim3tagENSA_11use_defaultESG_EEEEPS6_NSA_18transform_iteratorINSA_8identityIxEENSC_INSA_10device_ptrIxEEEESG_SG_EENS0_5tupleIJPxSJ_EEENSR_IJSJ_SJ_EEES6_PlJS6_EEE10hipError_tPvRmT3_T4_T5_T6_T7_T9_mT8_P12ihipStream_tbDpT10_ENKUlT_T0_E_clISt17integral_constantIbLb1EES1F_EEDaS1A_S1B_EUlS1A_E_NS1_11comp_targetILNS1_3genE3ELNS1_11target_archE908ELNS1_3gpuE7ELNS1_3repE0EEENS1_30default_config_static_selectorELNS0_4arch9wavefront6targetE1EEEvT1_
	.globl	_ZN7rocprim17ROCPRIM_400000_NS6detail17trampoline_kernelINS0_14default_configENS1_25partition_config_selectorILNS1_17partition_subalgoE2ExNS0_10empty_typeEbEEZZNS1_14partition_implILS5_2ELb0ES3_jN6thrust23THRUST_200600_302600_NS6detail15normal_iteratorINSA_7pointerIxNSA_11hip_rocprim3tagENSA_11use_defaultESG_EEEEPS6_NSA_18transform_iteratorINSA_8identityIxEENSC_INSA_10device_ptrIxEEEESG_SG_EENS0_5tupleIJPxSJ_EEENSR_IJSJ_SJ_EEES6_PlJS6_EEE10hipError_tPvRmT3_T4_T5_T6_T7_T9_mT8_P12ihipStream_tbDpT10_ENKUlT_T0_E_clISt17integral_constantIbLb1EES1F_EEDaS1A_S1B_EUlS1A_E_NS1_11comp_targetILNS1_3genE3ELNS1_11target_archE908ELNS1_3gpuE7ELNS1_3repE0EEENS1_30default_config_static_selectorELNS0_4arch9wavefront6targetE1EEEvT1_
	.p2align	8
	.type	_ZN7rocprim17ROCPRIM_400000_NS6detail17trampoline_kernelINS0_14default_configENS1_25partition_config_selectorILNS1_17partition_subalgoE2ExNS0_10empty_typeEbEEZZNS1_14partition_implILS5_2ELb0ES3_jN6thrust23THRUST_200600_302600_NS6detail15normal_iteratorINSA_7pointerIxNSA_11hip_rocprim3tagENSA_11use_defaultESG_EEEEPS6_NSA_18transform_iteratorINSA_8identityIxEENSC_INSA_10device_ptrIxEEEESG_SG_EENS0_5tupleIJPxSJ_EEENSR_IJSJ_SJ_EEES6_PlJS6_EEE10hipError_tPvRmT3_T4_T5_T6_T7_T9_mT8_P12ihipStream_tbDpT10_ENKUlT_T0_E_clISt17integral_constantIbLb1EES1F_EEDaS1A_S1B_EUlS1A_E_NS1_11comp_targetILNS1_3genE3ELNS1_11target_archE908ELNS1_3gpuE7ELNS1_3repE0EEENS1_30default_config_static_selectorELNS0_4arch9wavefront6targetE1EEEvT1_,@function
_ZN7rocprim17ROCPRIM_400000_NS6detail17trampoline_kernelINS0_14default_configENS1_25partition_config_selectorILNS1_17partition_subalgoE2ExNS0_10empty_typeEbEEZZNS1_14partition_implILS5_2ELb0ES3_jN6thrust23THRUST_200600_302600_NS6detail15normal_iteratorINSA_7pointerIxNSA_11hip_rocprim3tagENSA_11use_defaultESG_EEEEPS6_NSA_18transform_iteratorINSA_8identityIxEENSC_INSA_10device_ptrIxEEEESG_SG_EENS0_5tupleIJPxSJ_EEENSR_IJSJ_SJ_EEES6_PlJS6_EEE10hipError_tPvRmT3_T4_T5_T6_T7_T9_mT8_P12ihipStream_tbDpT10_ENKUlT_T0_E_clISt17integral_constantIbLb1EES1F_EEDaS1A_S1B_EUlS1A_E_NS1_11comp_targetILNS1_3genE3ELNS1_11target_archE908ELNS1_3gpuE7ELNS1_3repE0EEENS1_30default_config_static_selectorELNS0_4arch9wavefront6targetE1EEEvT1_: ; @_ZN7rocprim17ROCPRIM_400000_NS6detail17trampoline_kernelINS0_14default_configENS1_25partition_config_selectorILNS1_17partition_subalgoE2ExNS0_10empty_typeEbEEZZNS1_14partition_implILS5_2ELb0ES3_jN6thrust23THRUST_200600_302600_NS6detail15normal_iteratorINSA_7pointerIxNSA_11hip_rocprim3tagENSA_11use_defaultESG_EEEEPS6_NSA_18transform_iteratorINSA_8identityIxEENSC_INSA_10device_ptrIxEEEESG_SG_EENS0_5tupleIJPxSJ_EEENSR_IJSJ_SJ_EEES6_PlJS6_EEE10hipError_tPvRmT3_T4_T5_T6_T7_T9_mT8_P12ihipStream_tbDpT10_ENKUlT_T0_E_clISt17integral_constantIbLb1EES1F_EEDaS1A_S1B_EUlS1A_E_NS1_11comp_targetILNS1_3genE3ELNS1_11target_archE908ELNS1_3gpuE7ELNS1_3repE0EEENS1_30default_config_static_selectorELNS0_4arch9wavefront6targetE1EEEvT1_
; %bb.0:
	.section	.rodata,"a",@progbits
	.p2align	6, 0x0
	.amdhsa_kernel _ZN7rocprim17ROCPRIM_400000_NS6detail17trampoline_kernelINS0_14default_configENS1_25partition_config_selectorILNS1_17partition_subalgoE2ExNS0_10empty_typeEbEEZZNS1_14partition_implILS5_2ELb0ES3_jN6thrust23THRUST_200600_302600_NS6detail15normal_iteratorINSA_7pointerIxNSA_11hip_rocprim3tagENSA_11use_defaultESG_EEEEPS6_NSA_18transform_iteratorINSA_8identityIxEENSC_INSA_10device_ptrIxEEEESG_SG_EENS0_5tupleIJPxSJ_EEENSR_IJSJ_SJ_EEES6_PlJS6_EEE10hipError_tPvRmT3_T4_T5_T6_T7_T9_mT8_P12ihipStream_tbDpT10_ENKUlT_T0_E_clISt17integral_constantIbLb1EES1F_EEDaS1A_S1B_EUlS1A_E_NS1_11comp_targetILNS1_3genE3ELNS1_11target_archE908ELNS1_3gpuE7ELNS1_3repE0EEENS1_30default_config_static_selectorELNS0_4arch9wavefront6targetE1EEEvT1_
		.amdhsa_group_segment_fixed_size 0
		.amdhsa_private_segment_fixed_size 0
		.amdhsa_kernarg_size 144
		.amdhsa_user_sgpr_count 2
		.amdhsa_user_sgpr_dispatch_ptr 0
		.amdhsa_user_sgpr_queue_ptr 0
		.amdhsa_user_sgpr_kernarg_segment_ptr 1
		.amdhsa_user_sgpr_dispatch_id 0
		.amdhsa_user_sgpr_kernarg_preload_length 0
		.amdhsa_user_sgpr_kernarg_preload_offset 0
		.amdhsa_user_sgpr_private_segment_size 0
		.amdhsa_uses_dynamic_stack 0
		.amdhsa_enable_private_segment 0
		.amdhsa_system_sgpr_workgroup_id_x 1
		.amdhsa_system_sgpr_workgroup_id_y 0
		.amdhsa_system_sgpr_workgroup_id_z 0
		.amdhsa_system_sgpr_workgroup_info 0
		.amdhsa_system_vgpr_workitem_id 0
		.amdhsa_next_free_vgpr 1
		.amdhsa_next_free_sgpr 0
		.amdhsa_accum_offset 4
		.amdhsa_reserve_vcc 0
		.amdhsa_float_round_mode_32 0
		.amdhsa_float_round_mode_16_64 0
		.amdhsa_float_denorm_mode_32 3
		.amdhsa_float_denorm_mode_16_64 3
		.amdhsa_dx10_clamp 1
		.amdhsa_ieee_mode 1
		.amdhsa_fp16_overflow 0
		.amdhsa_tg_split 0
		.amdhsa_exception_fp_ieee_invalid_op 0
		.amdhsa_exception_fp_denorm_src 0
		.amdhsa_exception_fp_ieee_div_zero 0
		.amdhsa_exception_fp_ieee_overflow 0
		.amdhsa_exception_fp_ieee_underflow 0
		.amdhsa_exception_fp_ieee_inexact 0
		.amdhsa_exception_int_div_zero 0
	.end_amdhsa_kernel
	.section	.text._ZN7rocprim17ROCPRIM_400000_NS6detail17trampoline_kernelINS0_14default_configENS1_25partition_config_selectorILNS1_17partition_subalgoE2ExNS0_10empty_typeEbEEZZNS1_14partition_implILS5_2ELb0ES3_jN6thrust23THRUST_200600_302600_NS6detail15normal_iteratorINSA_7pointerIxNSA_11hip_rocprim3tagENSA_11use_defaultESG_EEEEPS6_NSA_18transform_iteratorINSA_8identityIxEENSC_INSA_10device_ptrIxEEEESG_SG_EENS0_5tupleIJPxSJ_EEENSR_IJSJ_SJ_EEES6_PlJS6_EEE10hipError_tPvRmT3_T4_T5_T6_T7_T9_mT8_P12ihipStream_tbDpT10_ENKUlT_T0_E_clISt17integral_constantIbLb1EES1F_EEDaS1A_S1B_EUlS1A_E_NS1_11comp_targetILNS1_3genE3ELNS1_11target_archE908ELNS1_3gpuE7ELNS1_3repE0EEENS1_30default_config_static_selectorELNS0_4arch9wavefront6targetE1EEEvT1_,"axG",@progbits,_ZN7rocprim17ROCPRIM_400000_NS6detail17trampoline_kernelINS0_14default_configENS1_25partition_config_selectorILNS1_17partition_subalgoE2ExNS0_10empty_typeEbEEZZNS1_14partition_implILS5_2ELb0ES3_jN6thrust23THRUST_200600_302600_NS6detail15normal_iteratorINSA_7pointerIxNSA_11hip_rocprim3tagENSA_11use_defaultESG_EEEEPS6_NSA_18transform_iteratorINSA_8identityIxEENSC_INSA_10device_ptrIxEEEESG_SG_EENS0_5tupleIJPxSJ_EEENSR_IJSJ_SJ_EEES6_PlJS6_EEE10hipError_tPvRmT3_T4_T5_T6_T7_T9_mT8_P12ihipStream_tbDpT10_ENKUlT_T0_E_clISt17integral_constantIbLb1EES1F_EEDaS1A_S1B_EUlS1A_E_NS1_11comp_targetILNS1_3genE3ELNS1_11target_archE908ELNS1_3gpuE7ELNS1_3repE0EEENS1_30default_config_static_selectorELNS0_4arch9wavefront6targetE1EEEvT1_,comdat
.Lfunc_end492:
	.size	_ZN7rocprim17ROCPRIM_400000_NS6detail17trampoline_kernelINS0_14default_configENS1_25partition_config_selectorILNS1_17partition_subalgoE2ExNS0_10empty_typeEbEEZZNS1_14partition_implILS5_2ELb0ES3_jN6thrust23THRUST_200600_302600_NS6detail15normal_iteratorINSA_7pointerIxNSA_11hip_rocprim3tagENSA_11use_defaultESG_EEEEPS6_NSA_18transform_iteratorINSA_8identityIxEENSC_INSA_10device_ptrIxEEEESG_SG_EENS0_5tupleIJPxSJ_EEENSR_IJSJ_SJ_EEES6_PlJS6_EEE10hipError_tPvRmT3_T4_T5_T6_T7_T9_mT8_P12ihipStream_tbDpT10_ENKUlT_T0_E_clISt17integral_constantIbLb1EES1F_EEDaS1A_S1B_EUlS1A_E_NS1_11comp_targetILNS1_3genE3ELNS1_11target_archE908ELNS1_3gpuE7ELNS1_3repE0EEENS1_30default_config_static_selectorELNS0_4arch9wavefront6targetE1EEEvT1_, .Lfunc_end492-_ZN7rocprim17ROCPRIM_400000_NS6detail17trampoline_kernelINS0_14default_configENS1_25partition_config_selectorILNS1_17partition_subalgoE2ExNS0_10empty_typeEbEEZZNS1_14partition_implILS5_2ELb0ES3_jN6thrust23THRUST_200600_302600_NS6detail15normal_iteratorINSA_7pointerIxNSA_11hip_rocprim3tagENSA_11use_defaultESG_EEEEPS6_NSA_18transform_iteratorINSA_8identityIxEENSC_INSA_10device_ptrIxEEEESG_SG_EENS0_5tupleIJPxSJ_EEENSR_IJSJ_SJ_EEES6_PlJS6_EEE10hipError_tPvRmT3_T4_T5_T6_T7_T9_mT8_P12ihipStream_tbDpT10_ENKUlT_T0_E_clISt17integral_constantIbLb1EES1F_EEDaS1A_S1B_EUlS1A_E_NS1_11comp_targetILNS1_3genE3ELNS1_11target_archE908ELNS1_3gpuE7ELNS1_3repE0EEENS1_30default_config_static_selectorELNS0_4arch9wavefront6targetE1EEEvT1_
                                        ; -- End function
	.section	.AMDGPU.csdata,"",@progbits
; Kernel info:
; codeLenInByte = 0
; NumSgprs: 6
; NumVgprs: 0
; NumAgprs: 0
; TotalNumVgprs: 0
; ScratchSize: 0
; MemoryBound: 0
; FloatMode: 240
; IeeeMode: 1
; LDSByteSize: 0 bytes/workgroup (compile time only)
; SGPRBlocks: 0
; VGPRBlocks: 0
; NumSGPRsForWavesPerEU: 6
; NumVGPRsForWavesPerEU: 1
; AccumOffset: 4
; Occupancy: 8
; WaveLimiterHint : 0
; COMPUTE_PGM_RSRC2:SCRATCH_EN: 0
; COMPUTE_PGM_RSRC2:USER_SGPR: 2
; COMPUTE_PGM_RSRC2:TRAP_HANDLER: 0
; COMPUTE_PGM_RSRC2:TGID_X_EN: 1
; COMPUTE_PGM_RSRC2:TGID_Y_EN: 0
; COMPUTE_PGM_RSRC2:TGID_Z_EN: 0
; COMPUTE_PGM_RSRC2:TIDIG_COMP_CNT: 0
; COMPUTE_PGM_RSRC3_GFX90A:ACCUM_OFFSET: 0
; COMPUTE_PGM_RSRC3_GFX90A:TG_SPLIT: 0
	.section	.text._ZN7rocprim17ROCPRIM_400000_NS6detail17trampoline_kernelINS0_14default_configENS1_25partition_config_selectorILNS1_17partition_subalgoE2ExNS0_10empty_typeEbEEZZNS1_14partition_implILS5_2ELb0ES3_jN6thrust23THRUST_200600_302600_NS6detail15normal_iteratorINSA_7pointerIxNSA_11hip_rocprim3tagENSA_11use_defaultESG_EEEEPS6_NSA_18transform_iteratorINSA_8identityIxEENSC_INSA_10device_ptrIxEEEESG_SG_EENS0_5tupleIJPxSJ_EEENSR_IJSJ_SJ_EEES6_PlJS6_EEE10hipError_tPvRmT3_T4_T5_T6_T7_T9_mT8_P12ihipStream_tbDpT10_ENKUlT_T0_E_clISt17integral_constantIbLb1EES1F_EEDaS1A_S1B_EUlS1A_E_NS1_11comp_targetILNS1_3genE2ELNS1_11target_archE906ELNS1_3gpuE6ELNS1_3repE0EEENS1_30default_config_static_selectorELNS0_4arch9wavefront6targetE1EEEvT1_,"axG",@progbits,_ZN7rocprim17ROCPRIM_400000_NS6detail17trampoline_kernelINS0_14default_configENS1_25partition_config_selectorILNS1_17partition_subalgoE2ExNS0_10empty_typeEbEEZZNS1_14partition_implILS5_2ELb0ES3_jN6thrust23THRUST_200600_302600_NS6detail15normal_iteratorINSA_7pointerIxNSA_11hip_rocprim3tagENSA_11use_defaultESG_EEEEPS6_NSA_18transform_iteratorINSA_8identityIxEENSC_INSA_10device_ptrIxEEEESG_SG_EENS0_5tupleIJPxSJ_EEENSR_IJSJ_SJ_EEES6_PlJS6_EEE10hipError_tPvRmT3_T4_T5_T6_T7_T9_mT8_P12ihipStream_tbDpT10_ENKUlT_T0_E_clISt17integral_constantIbLb1EES1F_EEDaS1A_S1B_EUlS1A_E_NS1_11comp_targetILNS1_3genE2ELNS1_11target_archE906ELNS1_3gpuE6ELNS1_3repE0EEENS1_30default_config_static_selectorELNS0_4arch9wavefront6targetE1EEEvT1_,comdat
	.protected	_ZN7rocprim17ROCPRIM_400000_NS6detail17trampoline_kernelINS0_14default_configENS1_25partition_config_selectorILNS1_17partition_subalgoE2ExNS0_10empty_typeEbEEZZNS1_14partition_implILS5_2ELb0ES3_jN6thrust23THRUST_200600_302600_NS6detail15normal_iteratorINSA_7pointerIxNSA_11hip_rocprim3tagENSA_11use_defaultESG_EEEEPS6_NSA_18transform_iteratorINSA_8identityIxEENSC_INSA_10device_ptrIxEEEESG_SG_EENS0_5tupleIJPxSJ_EEENSR_IJSJ_SJ_EEES6_PlJS6_EEE10hipError_tPvRmT3_T4_T5_T6_T7_T9_mT8_P12ihipStream_tbDpT10_ENKUlT_T0_E_clISt17integral_constantIbLb1EES1F_EEDaS1A_S1B_EUlS1A_E_NS1_11comp_targetILNS1_3genE2ELNS1_11target_archE906ELNS1_3gpuE6ELNS1_3repE0EEENS1_30default_config_static_selectorELNS0_4arch9wavefront6targetE1EEEvT1_ ; -- Begin function _ZN7rocprim17ROCPRIM_400000_NS6detail17trampoline_kernelINS0_14default_configENS1_25partition_config_selectorILNS1_17partition_subalgoE2ExNS0_10empty_typeEbEEZZNS1_14partition_implILS5_2ELb0ES3_jN6thrust23THRUST_200600_302600_NS6detail15normal_iteratorINSA_7pointerIxNSA_11hip_rocprim3tagENSA_11use_defaultESG_EEEEPS6_NSA_18transform_iteratorINSA_8identityIxEENSC_INSA_10device_ptrIxEEEESG_SG_EENS0_5tupleIJPxSJ_EEENSR_IJSJ_SJ_EEES6_PlJS6_EEE10hipError_tPvRmT3_T4_T5_T6_T7_T9_mT8_P12ihipStream_tbDpT10_ENKUlT_T0_E_clISt17integral_constantIbLb1EES1F_EEDaS1A_S1B_EUlS1A_E_NS1_11comp_targetILNS1_3genE2ELNS1_11target_archE906ELNS1_3gpuE6ELNS1_3repE0EEENS1_30default_config_static_selectorELNS0_4arch9wavefront6targetE1EEEvT1_
	.globl	_ZN7rocprim17ROCPRIM_400000_NS6detail17trampoline_kernelINS0_14default_configENS1_25partition_config_selectorILNS1_17partition_subalgoE2ExNS0_10empty_typeEbEEZZNS1_14partition_implILS5_2ELb0ES3_jN6thrust23THRUST_200600_302600_NS6detail15normal_iteratorINSA_7pointerIxNSA_11hip_rocprim3tagENSA_11use_defaultESG_EEEEPS6_NSA_18transform_iteratorINSA_8identityIxEENSC_INSA_10device_ptrIxEEEESG_SG_EENS0_5tupleIJPxSJ_EEENSR_IJSJ_SJ_EEES6_PlJS6_EEE10hipError_tPvRmT3_T4_T5_T6_T7_T9_mT8_P12ihipStream_tbDpT10_ENKUlT_T0_E_clISt17integral_constantIbLb1EES1F_EEDaS1A_S1B_EUlS1A_E_NS1_11comp_targetILNS1_3genE2ELNS1_11target_archE906ELNS1_3gpuE6ELNS1_3repE0EEENS1_30default_config_static_selectorELNS0_4arch9wavefront6targetE1EEEvT1_
	.p2align	8
	.type	_ZN7rocprim17ROCPRIM_400000_NS6detail17trampoline_kernelINS0_14default_configENS1_25partition_config_selectorILNS1_17partition_subalgoE2ExNS0_10empty_typeEbEEZZNS1_14partition_implILS5_2ELb0ES3_jN6thrust23THRUST_200600_302600_NS6detail15normal_iteratorINSA_7pointerIxNSA_11hip_rocprim3tagENSA_11use_defaultESG_EEEEPS6_NSA_18transform_iteratorINSA_8identityIxEENSC_INSA_10device_ptrIxEEEESG_SG_EENS0_5tupleIJPxSJ_EEENSR_IJSJ_SJ_EEES6_PlJS6_EEE10hipError_tPvRmT3_T4_T5_T6_T7_T9_mT8_P12ihipStream_tbDpT10_ENKUlT_T0_E_clISt17integral_constantIbLb1EES1F_EEDaS1A_S1B_EUlS1A_E_NS1_11comp_targetILNS1_3genE2ELNS1_11target_archE906ELNS1_3gpuE6ELNS1_3repE0EEENS1_30default_config_static_selectorELNS0_4arch9wavefront6targetE1EEEvT1_,@function
_ZN7rocprim17ROCPRIM_400000_NS6detail17trampoline_kernelINS0_14default_configENS1_25partition_config_selectorILNS1_17partition_subalgoE2ExNS0_10empty_typeEbEEZZNS1_14partition_implILS5_2ELb0ES3_jN6thrust23THRUST_200600_302600_NS6detail15normal_iteratorINSA_7pointerIxNSA_11hip_rocprim3tagENSA_11use_defaultESG_EEEEPS6_NSA_18transform_iteratorINSA_8identityIxEENSC_INSA_10device_ptrIxEEEESG_SG_EENS0_5tupleIJPxSJ_EEENSR_IJSJ_SJ_EEES6_PlJS6_EEE10hipError_tPvRmT3_T4_T5_T6_T7_T9_mT8_P12ihipStream_tbDpT10_ENKUlT_T0_E_clISt17integral_constantIbLb1EES1F_EEDaS1A_S1B_EUlS1A_E_NS1_11comp_targetILNS1_3genE2ELNS1_11target_archE906ELNS1_3gpuE6ELNS1_3repE0EEENS1_30default_config_static_selectorELNS0_4arch9wavefront6targetE1EEEvT1_: ; @_ZN7rocprim17ROCPRIM_400000_NS6detail17trampoline_kernelINS0_14default_configENS1_25partition_config_selectorILNS1_17partition_subalgoE2ExNS0_10empty_typeEbEEZZNS1_14partition_implILS5_2ELb0ES3_jN6thrust23THRUST_200600_302600_NS6detail15normal_iteratorINSA_7pointerIxNSA_11hip_rocprim3tagENSA_11use_defaultESG_EEEEPS6_NSA_18transform_iteratorINSA_8identityIxEENSC_INSA_10device_ptrIxEEEESG_SG_EENS0_5tupleIJPxSJ_EEENSR_IJSJ_SJ_EEES6_PlJS6_EEE10hipError_tPvRmT3_T4_T5_T6_T7_T9_mT8_P12ihipStream_tbDpT10_ENKUlT_T0_E_clISt17integral_constantIbLb1EES1F_EEDaS1A_S1B_EUlS1A_E_NS1_11comp_targetILNS1_3genE2ELNS1_11target_archE906ELNS1_3gpuE6ELNS1_3repE0EEENS1_30default_config_static_selectorELNS0_4arch9wavefront6targetE1EEEvT1_
; %bb.0:
	.section	.rodata,"a",@progbits
	.p2align	6, 0x0
	.amdhsa_kernel _ZN7rocprim17ROCPRIM_400000_NS6detail17trampoline_kernelINS0_14default_configENS1_25partition_config_selectorILNS1_17partition_subalgoE2ExNS0_10empty_typeEbEEZZNS1_14partition_implILS5_2ELb0ES3_jN6thrust23THRUST_200600_302600_NS6detail15normal_iteratorINSA_7pointerIxNSA_11hip_rocprim3tagENSA_11use_defaultESG_EEEEPS6_NSA_18transform_iteratorINSA_8identityIxEENSC_INSA_10device_ptrIxEEEESG_SG_EENS0_5tupleIJPxSJ_EEENSR_IJSJ_SJ_EEES6_PlJS6_EEE10hipError_tPvRmT3_T4_T5_T6_T7_T9_mT8_P12ihipStream_tbDpT10_ENKUlT_T0_E_clISt17integral_constantIbLb1EES1F_EEDaS1A_S1B_EUlS1A_E_NS1_11comp_targetILNS1_3genE2ELNS1_11target_archE906ELNS1_3gpuE6ELNS1_3repE0EEENS1_30default_config_static_selectorELNS0_4arch9wavefront6targetE1EEEvT1_
		.amdhsa_group_segment_fixed_size 0
		.amdhsa_private_segment_fixed_size 0
		.amdhsa_kernarg_size 144
		.amdhsa_user_sgpr_count 2
		.amdhsa_user_sgpr_dispatch_ptr 0
		.amdhsa_user_sgpr_queue_ptr 0
		.amdhsa_user_sgpr_kernarg_segment_ptr 1
		.amdhsa_user_sgpr_dispatch_id 0
		.amdhsa_user_sgpr_kernarg_preload_length 0
		.amdhsa_user_sgpr_kernarg_preload_offset 0
		.amdhsa_user_sgpr_private_segment_size 0
		.amdhsa_uses_dynamic_stack 0
		.amdhsa_enable_private_segment 0
		.amdhsa_system_sgpr_workgroup_id_x 1
		.amdhsa_system_sgpr_workgroup_id_y 0
		.amdhsa_system_sgpr_workgroup_id_z 0
		.amdhsa_system_sgpr_workgroup_info 0
		.amdhsa_system_vgpr_workitem_id 0
		.amdhsa_next_free_vgpr 1
		.amdhsa_next_free_sgpr 0
		.amdhsa_accum_offset 4
		.amdhsa_reserve_vcc 0
		.amdhsa_float_round_mode_32 0
		.amdhsa_float_round_mode_16_64 0
		.amdhsa_float_denorm_mode_32 3
		.amdhsa_float_denorm_mode_16_64 3
		.amdhsa_dx10_clamp 1
		.amdhsa_ieee_mode 1
		.amdhsa_fp16_overflow 0
		.amdhsa_tg_split 0
		.amdhsa_exception_fp_ieee_invalid_op 0
		.amdhsa_exception_fp_denorm_src 0
		.amdhsa_exception_fp_ieee_div_zero 0
		.amdhsa_exception_fp_ieee_overflow 0
		.amdhsa_exception_fp_ieee_underflow 0
		.amdhsa_exception_fp_ieee_inexact 0
		.amdhsa_exception_int_div_zero 0
	.end_amdhsa_kernel
	.section	.text._ZN7rocprim17ROCPRIM_400000_NS6detail17trampoline_kernelINS0_14default_configENS1_25partition_config_selectorILNS1_17partition_subalgoE2ExNS0_10empty_typeEbEEZZNS1_14partition_implILS5_2ELb0ES3_jN6thrust23THRUST_200600_302600_NS6detail15normal_iteratorINSA_7pointerIxNSA_11hip_rocprim3tagENSA_11use_defaultESG_EEEEPS6_NSA_18transform_iteratorINSA_8identityIxEENSC_INSA_10device_ptrIxEEEESG_SG_EENS0_5tupleIJPxSJ_EEENSR_IJSJ_SJ_EEES6_PlJS6_EEE10hipError_tPvRmT3_T4_T5_T6_T7_T9_mT8_P12ihipStream_tbDpT10_ENKUlT_T0_E_clISt17integral_constantIbLb1EES1F_EEDaS1A_S1B_EUlS1A_E_NS1_11comp_targetILNS1_3genE2ELNS1_11target_archE906ELNS1_3gpuE6ELNS1_3repE0EEENS1_30default_config_static_selectorELNS0_4arch9wavefront6targetE1EEEvT1_,"axG",@progbits,_ZN7rocprim17ROCPRIM_400000_NS6detail17trampoline_kernelINS0_14default_configENS1_25partition_config_selectorILNS1_17partition_subalgoE2ExNS0_10empty_typeEbEEZZNS1_14partition_implILS5_2ELb0ES3_jN6thrust23THRUST_200600_302600_NS6detail15normal_iteratorINSA_7pointerIxNSA_11hip_rocprim3tagENSA_11use_defaultESG_EEEEPS6_NSA_18transform_iteratorINSA_8identityIxEENSC_INSA_10device_ptrIxEEEESG_SG_EENS0_5tupleIJPxSJ_EEENSR_IJSJ_SJ_EEES6_PlJS6_EEE10hipError_tPvRmT3_T4_T5_T6_T7_T9_mT8_P12ihipStream_tbDpT10_ENKUlT_T0_E_clISt17integral_constantIbLb1EES1F_EEDaS1A_S1B_EUlS1A_E_NS1_11comp_targetILNS1_3genE2ELNS1_11target_archE906ELNS1_3gpuE6ELNS1_3repE0EEENS1_30default_config_static_selectorELNS0_4arch9wavefront6targetE1EEEvT1_,comdat
.Lfunc_end493:
	.size	_ZN7rocprim17ROCPRIM_400000_NS6detail17trampoline_kernelINS0_14default_configENS1_25partition_config_selectorILNS1_17partition_subalgoE2ExNS0_10empty_typeEbEEZZNS1_14partition_implILS5_2ELb0ES3_jN6thrust23THRUST_200600_302600_NS6detail15normal_iteratorINSA_7pointerIxNSA_11hip_rocprim3tagENSA_11use_defaultESG_EEEEPS6_NSA_18transform_iteratorINSA_8identityIxEENSC_INSA_10device_ptrIxEEEESG_SG_EENS0_5tupleIJPxSJ_EEENSR_IJSJ_SJ_EEES6_PlJS6_EEE10hipError_tPvRmT3_T4_T5_T6_T7_T9_mT8_P12ihipStream_tbDpT10_ENKUlT_T0_E_clISt17integral_constantIbLb1EES1F_EEDaS1A_S1B_EUlS1A_E_NS1_11comp_targetILNS1_3genE2ELNS1_11target_archE906ELNS1_3gpuE6ELNS1_3repE0EEENS1_30default_config_static_selectorELNS0_4arch9wavefront6targetE1EEEvT1_, .Lfunc_end493-_ZN7rocprim17ROCPRIM_400000_NS6detail17trampoline_kernelINS0_14default_configENS1_25partition_config_selectorILNS1_17partition_subalgoE2ExNS0_10empty_typeEbEEZZNS1_14partition_implILS5_2ELb0ES3_jN6thrust23THRUST_200600_302600_NS6detail15normal_iteratorINSA_7pointerIxNSA_11hip_rocprim3tagENSA_11use_defaultESG_EEEEPS6_NSA_18transform_iteratorINSA_8identityIxEENSC_INSA_10device_ptrIxEEEESG_SG_EENS0_5tupleIJPxSJ_EEENSR_IJSJ_SJ_EEES6_PlJS6_EEE10hipError_tPvRmT3_T4_T5_T6_T7_T9_mT8_P12ihipStream_tbDpT10_ENKUlT_T0_E_clISt17integral_constantIbLb1EES1F_EEDaS1A_S1B_EUlS1A_E_NS1_11comp_targetILNS1_3genE2ELNS1_11target_archE906ELNS1_3gpuE6ELNS1_3repE0EEENS1_30default_config_static_selectorELNS0_4arch9wavefront6targetE1EEEvT1_
                                        ; -- End function
	.section	.AMDGPU.csdata,"",@progbits
; Kernel info:
; codeLenInByte = 0
; NumSgprs: 6
; NumVgprs: 0
; NumAgprs: 0
; TotalNumVgprs: 0
; ScratchSize: 0
; MemoryBound: 0
; FloatMode: 240
; IeeeMode: 1
; LDSByteSize: 0 bytes/workgroup (compile time only)
; SGPRBlocks: 0
; VGPRBlocks: 0
; NumSGPRsForWavesPerEU: 6
; NumVGPRsForWavesPerEU: 1
; AccumOffset: 4
; Occupancy: 8
; WaveLimiterHint : 0
; COMPUTE_PGM_RSRC2:SCRATCH_EN: 0
; COMPUTE_PGM_RSRC2:USER_SGPR: 2
; COMPUTE_PGM_RSRC2:TRAP_HANDLER: 0
; COMPUTE_PGM_RSRC2:TGID_X_EN: 1
; COMPUTE_PGM_RSRC2:TGID_Y_EN: 0
; COMPUTE_PGM_RSRC2:TGID_Z_EN: 0
; COMPUTE_PGM_RSRC2:TIDIG_COMP_CNT: 0
; COMPUTE_PGM_RSRC3_GFX90A:ACCUM_OFFSET: 0
; COMPUTE_PGM_RSRC3_GFX90A:TG_SPLIT: 0
	.section	.text._ZN7rocprim17ROCPRIM_400000_NS6detail17trampoline_kernelINS0_14default_configENS1_25partition_config_selectorILNS1_17partition_subalgoE2ExNS0_10empty_typeEbEEZZNS1_14partition_implILS5_2ELb0ES3_jN6thrust23THRUST_200600_302600_NS6detail15normal_iteratorINSA_7pointerIxNSA_11hip_rocprim3tagENSA_11use_defaultESG_EEEEPS6_NSA_18transform_iteratorINSA_8identityIxEENSC_INSA_10device_ptrIxEEEESG_SG_EENS0_5tupleIJPxSJ_EEENSR_IJSJ_SJ_EEES6_PlJS6_EEE10hipError_tPvRmT3_T4_T5_T6_T7_T9_mT8_P12ihipStream_tbDpT10_ENKUlT_T0_E_clISt17integral_constantIbLb1EES1F_EEDaS1A_S1B_EUlS1A_E_NS1_11comp_targetILNS1_3genE10ELNS1_11target_archE1200ELNS1_3gpuE4ELNS1_3repE0EEENS1_30default_config_static_selectorELNS0_4arch9wavefront6targetE1EEEvT1_,"axG",@progbits,_ZN7rocprim17ROCPRIM_400000_NS6detail17trampoline_kernelINS0_14default_configENS1_25partition_config_selectorILNS1_17partition_subalgoE2ExNS0_10empty_typeEbEEZZNS1_14partition_implILS5_2ELb0ES3_jN6thrust23THRUST_200600_302600_NS6detail15normal_iteratorINSA_7pointerIxNSA_11hip_rocprim3tagENSA_11use_defaultESG_EEEEPS6_NSA_18transform_iteratorINSA_8identityIxEENSC_INSA_10device_ptrIxEEEESG_SG_EENS0_5tupleIJPxSJ_EEENSR_IJSJ_SJ_EEES6_PlJS6_EEE10hipError_tPvRmT3_T4_T5_T6_T7_T9_mT8_P12ihipStream_tbDpT10_ENKUlT_T0_E_clISt17integral_constantIbLb1EES1F_EEDaS1A_S1B_EUlS1A_E_NS1_11comp_targetILNS1_3genE10ELNS1_11target_archE1200ELNS1_3gpuE4ELNS1_3repE0EEENS1_30default_config_static_selectorELNS0_4arch9wavefront6targetE1EEEvT1_,comdat
	.protected	_ZN7rocprim17ROCPRIM_400000_NS6detail17trampoline_kernelINS0_14default_configENS1_25partition_config_selectorILNS1_17partition_subalgoE2ExNS0_10empty_typeEbEEZZNS1_14partition_implILS5_2ELb0ES3_jN6thrust23THRUST_200600_302600_NS6detail15normal_iteratorINSA_7pointerIxNSA_11hip_rocprim3tagENSA_11use_defaultESG_EEEEPS6_NSA_18transform_iteratorINSA_8identityIxEENSC_INSA_10device_ptrIxEEEESG_SG_EENS0_5tupleIJPxSJ_EEENSR_IJSJ_SJ_EEES6_PlJS6_EEE10hipError_tPvRmT3_T4_T5_T6_T7_T9_mT8_P12ihipStream_tbDpT10_ENKUlT_T0_E_clISt17integral_constantIbLb1EES1F_EEDaS1A_S1B_EUlS1A_E_NS1_11comp_targetILNS1_3genE10ELNS1_11target_archE1200ELNS1_3gpuE4ELNS1_3repE0EEENS1_30default_config_static_selectorELNS0_4arch9wavefront6targetE1EEEvT1_ ; -- Begin function _ZN7rocprim17ROCPRIM_400000_NS6detail17trampoline_kernelINS0_14default_configENS1_25partition_config_selectorILNS1_17partition_subalgoE2ExNS0_10empty_typeEbEEZZNS1_14partition_implILS5_2ELb0ES3_jN6thrust23THRUST_200600_302600_NS6detail15normal_iteratorINSA_7pointerIxNSA_11hip_rocprim3tagENSA_11use_defaultESG_EEEEPS6_NSA_18transform_iteratorINSA_8identityIxEENSC_INSA_10device_ptrIxEEEESG_SG_EENS0_5tupleIJPxSJ_EEENSR_IJSJ_SJ_EEES6_PlJS6_EEE10hipError_tPvRmT3_T4_T5_T6_T7_T9_mT8_P12ihipStream_tbDpT10_ENKUlT_T0_E_clISt17integral_constantIbLb1EES1F_EEDaS1A_S1B_EUlS1A_E_NS1_11comp_targetILNS1_3genE10ELNS1_11target_archE1200ELNS1_3gpuE4ELNS1_3repE0EEENS1_30default_config_static_selectorELNS0_4arch9wavefront6targetE1EEEvT1_
	.globl	_ZN7rocprim17ROCPRIM_400000_NS6detail17trampoline_kernelINS0_14default_configENS1_25partition_config_selectorILNS1_17partition_subalgoE2ExNS0_10empty_typeEbEEZZNS1_14partition_implILS5_2ELb0ES3_jN6thrust23THRUST_200600_302600_NS6detail15normal_iteratorINSA_7pointerIxNSA_11hip_rocprim3tagENSA_11use_defaultESG_EEEEPS6_NSA_18transform_iteratorINSA_8identityIxEENSC_INSA_10device_ptrIxEEEESG_SG_EENS0_5tupleIJPxSJ_EEENSR_IJSJ_SJ_EEES6_PlJS6_EEE10hipError_tPvRmT3_T4_T5_T6_T7_T9_mT8_P12ihipStream_tbDpT10_ENKUlT_T0_E_clISt17integral_constantIbLb1EES1F_EEDaS1A_S1B_EUlS1A_E_NS1_11comp_targetILNS1_3genE10ELNS1_11target_archE1200ELNS1_3gpuE4ELNS1_3repE0EEENS1_30default_config_static_selectorELNS0_4arch9wavefront6targetE1EEEvT1_
	.p2align	8
	.type	_ZN7rocprim17ROCPRIM_400000_NS6detail17trampoline_kernelINS0_14default_configENS1_25partition_config_selectorILNS1_17partition_subalgoE2ExNS0_10empty_typeEbEEZZNS1_14partition_implILS5_2ELb0ES3_jN6thrust23THRUST_200600_302600_NS6detail15normal_iteratorINSA_7pointerIxNSA_11hip_rocprim3tagENSA_11use_defaultESG_EEEEPS6_NSA_18transform_iteratorINSA_8identityIxEENSC_INSA_10device_ptrIxEEEESG_SG_EENS0_5tupleIJPxSJ_EEENSR_IJSJ_SJ_EEES6_PlJS6_EEE10hipError_tPvRmT3_T4_T5_T6_T7_T9_mT8_P12ihipStream_tbDpT10_ENKUlT_T0_E_clISt17integral_constantIbLb1EES1F_EEDaS1A_S1B_EUlS1A_E_NS1_11comp_targetILNS1_3genE10ELNS1_11target_archE1200ELNS1_3gpuE4ELNS1_3repE0EEENS1_30default_config_static_selectorELNS0_4arch9wavefront6targetE1EEEvT1_,@function
_ZN7rocprim17ROCPRIM_400000_NS6detail17trampoline_kernelINS0_14default_configENS1_25partition_config_selectorILNS1_17partition_subalgoE2ExNS0_10empty_typeEbEEZZNS1_14partition_implILS5_2ELb0ES3_jN6thrust23THRUST_200600_302600_NS6detail15normal_iteratorINSA_7pointerIxNSA_11hip_rocprim3tagENSA_11use_defaultESG_EEEEPS6_NSA_18transform_iteratorINSA_8identityIxEENSC_INSA_10device_ptrIxEEEESG_SG_EENS0_5tupleIJPxSJ_EEENSR_IJSJ_SJ_EEES6_PlJS6_EEE10hipError_tPvRmT3_T4_T5_T6_T7_T9_mT8_P12ihipStream_tbDpT10_ENKUlT_T0_E_clISt17integral_constantIbLb1EES1F_EEDaS1A_S1B_EUlS1A_E_NS1_11comp_targetILNS1_3genE10ELNS1_11target_archE1200ELNS1_3gpuE4ELNS1_3repE0EEENS1_30default_config_static_selectorELNS0_4arch9wavefront6targetE1EEEvT1_: ; @_ZN7rocprim17ROCPRIM_400000_NS6detail17trampoline_kernelINS0_14default_configENS1_25partition_config_selectorILNS1_17partition_subalgoE2ExNS0_10empty_typeEbEEZZNS1_14partition_implILS5_2ELb0ES3_jN6thrust23THRUST_200600_302600_NS6detail15normal_iteratorINSA_7pointerIxNSA_11hip_rocprim3tagENSA_11use_defaultESG_EEEEPS6_NSA_18transform_iteratorINSA_8identityIxEENSC_INSA_10device_ptrIxEEEESG_SG_EENS0_5tupleIJPxSJ_EEENSR_IJSJ_SJ_EEES6_PlJS6_EEE10hipError_tPvRmT3_T4_T5_T6_T7_T9_mT8_P12ihipStream_tbDpT10_ENKUlT_T0_E_clISt17integral_constantIbLb1EES1F_EEDaS1A_S1B_EUlS1A_E_NS1_11comp_targetILNS1_3genE10ELNS1_11target_archE1200ELNS1_3gpuE4ELNS1_3repE0EEENS1_30default_config_static_selectorELNS0_4arch9wavefront6targetE1EEEvT1_
; %bb.0:
	.section	.rodata,"a",@progbits
	.p2align	6, 0x0
	.amdhsa_kernel _ZN7rocprim17ROCPRIM_400000_NS6detail17trampoline_kernelINS0_14default_configENS1_25partition_config_selectorILNS1_17partition_subalgoE2ExNS0_10empty_typeEbEEZZNS1_14partition_implILS5_2ELb0ES3_jN6thrust23THRUST_200600_302600_NS6detail15normal_iteratorINSA_7pointerIxNSA_11hip_rocprim3tagENSA_11use_defaultESG_EEEEPS6_NSA_18transform_iteratorINSA_8identityIxEENSC_INSA_10device_ptrIxEEEESG_SG_EENS0_5tupleIJPxSJ_EEENSR_IJSJ_SJ_EEES6_PlJS6_EEE10hipError_tPvRmT3_T4_T5_T6_T7_T9_mT8_P12ihipStream_tbDpT10_ENKUlT_T0_E_clISt17integral_constantIbLb1EES1F_EEDaS1A_S1B_EUlS1A_E_NS1_11comp_targetILNS1_3genE10ELNS1_11target_archE1200ELNS1_3gpuE4ELNS1_3repE0EEENS1_30default_config_static_selectorELNS0_4arch9wavefront6targetE1EEEvT1_
		.amdhsa_group_segment_fixed_size 0
		.amdhsa_private_segment_fixed_size 0
		.amdhsa_kernarg_size 144
		.amdhsa_user_sgpr_count 2
		.amdhsa_user_sgpr_dispatch_ptr 0
		.amdhsa_user_sgpr_queue_ptr 0
		.amdhsa_user_sgpr_kernarg_segment_ptr 1
		.amdhsa_user_sgpr_dispatch_id 0
		.amdhsa_user_sgpr_kernarg_preload_length 0
		.amdhsa_user_sgpr_kernarg_preload_offset 0
		.amdhsa_user_sgpr_private_segment_size 0
		.amdhsa_uses_dynamic_stack 0
		.amdhsa_enable_private_segment 0
		.amdhsa_system_sgpr_workgroup_id_x 1
		.amdhsa_system_sgpr_workgroup_id_y 0
		.amdhsa_system_sgpr_workgroup_id_z 0
		.amdhsa_system_sgpr_workgroup_info 0
		.amdhsa_system_vgpr_workitem_id 0
		.amdhsa_next_free_vgpr 1
		.amdhsa_next_free_sgpr 0
		.amdhsa_accum_offset 4
		.amdhsa_reserve_vcc 0
		.amdhsa_float_round_mode_32 0
		.amdhsa_float_round_mode_16_64 0
		.amdhsa_float_denorm_mode_32 3
		.amdhsa_float_denorm_mode_16_64 3
		.amdhsa_dx10_clamp 1
		.amdhsa_ieee_mode 1
		.amdhsa_fp16_overflow 0
		.amdhsa_tg_split 0
		.amdhsa_exception_fp_ieee_invalid_op 0
		.amdhsa_exception_fp_denorm_src 0
		.amdhsa_exception_fp_ieee_div_zero 0
		.amdhsa_exception_fp_ieee_overflow 0
		.amdhsa_exception_fp_ieee_underflow 0
		.amdhsa_exception_fp_ieee_inexact 0
		.amdhsa_exception_int_div_zero 0
	.end_amdhsa_kernel
	.section	.text._ZN7rocprim17ROCPRIM_400000_NS6detail17trampoline_kernelINS0_14default_configENS1_25partition_config_selectorILNS1_17partition_subalgoE2ExNS0_10empty_typeEbEEZZNS1_14partition_implILS5_2ELb0ES3_jN6thrust23THRUST_200600_302600_NS6detail15normal_iteratorINSA_7pointerIxNSA_11hip_rocprim3tagENSA_11use_defaultESG_EEEEPS6_NSA_18transform_iteratorINSA_8identityIxEENSC_INSA_10device_ptrIxEEEESG_SG_EENS0_5tupleIJPxSJ_EEENSR_IJSJ_SJ_EEES6_PlJS6_EEE10hipError_tPvRmT3_T4_T5_T6_T7_T9_mT8_P12ihipStream_tbDpT10_ENKUlT_T0_E_clISt17integral_constantIbLb1EES1F_EEDaS1A_S1B_EUlS1A_E_NS1_11comp_targetILNS1_3genE10ELNS1_11target_archE1200ELNS1_3gpuE4ELNS1_3repE0EEENS1_30default_config_static_selectorELNS0_4arch9wavefront6targetE1EEEvT1_,"axG",@progbits,_ZN7rocprim17ROCPRIM_400000_NS6detail17trampoline_kernelINS0_14default_configENS1_25partition_config_selectorILNS1_17partition_subalgoE2ExNS0_10empty_typeEbEEZZNS1_14partition_implILS5_2ELb0ES3_jN6thrust23THRUST_200600_302600_NS6detail15normal_iteratorINSA_7pointerIxNSA_11hip_rocprim3tagENSA_11use_defaultESG_EEEEPS6_NSA_18transform_iteratorINSA_8identityIxEENSC_INSA_10device_ptrIxEEEESG_SG_EENS0_5tupleIJPxSJ_EEENSR_IJSJ_SJ_EEES6_PlJS6_EEE10hipError_tPvRmT3_T4_T5_T6_T7_T9_mT8_P12ihipStream_tbDpT10_ENKUlT_T0_E_clISt17integral_constantIbLb1EES1F_EEDaS1A_S1B_EUlS1A_E_NS1_11comp_targetILNS1_3genE10ELNS1_11target_archE1200ELNS1_3gpuE4ELNS1_3repE0EEENS1_30default_config_static_selectorELNS0_4arch9wavefront6targetE1EEEvT1_,comdat
.Lfunc_end494:
	.size	_ZN7rocprim17ROCPRIM_400000_NS6detail17trampoline_kernelINS0_14default_configENS1_25partition_config_selectorILNS1_17partition_subalgoE2ExNS0_10empty_typeEbEEZZNS1_14partition_implILS5_2ELb0ES3_jN6thrust23THRUST_200600_302600_NS6detail15normal_iteratorINSA_7pointerIxNSA_11hip_rocprim3tagENSA_11use_defaultESG_EEEEPS6_NSA_18transform_iteratorINSA_8identityIxEENSC_INSA_10device_ptrIxEEEESG_SG_EENS0_5tupleIJPxSJ_EEENSR_IJSJ_SJ_EEES6_PlJS6_EEE10hipError_tPvRmT3_T4_T5_T6_T7_T9_mT8_P12ihipStream_tbDpT10_ENKUlT_T0_E_clISt17integral_constantIbLb1EES1F_EEDaS1A_S1B_EUlS1A_E_NS1_11comp_targetILNS1_3genE10ELNS1_11target_archE1200ELNS1_3gpuE4ELNS1_3repE0EEENS1_30default_config_static_selectorELNS0_4arch9wavefront6targetE1EEEvT1_, .Lfunc_end494-_ZN7rocprim17ROCPRIM_400000_NS6detail17trampoline_kernelINS0_14default_configENS1_25partition_config_selectorILNS1_17partition_subalgoE2ExNS0_10empty_typeEbEEZZNS1_14partition_implILS5_2ELb0ES3_jN6thrust23THRUST_200600_302600_NS6detail15normal_iteratorINSA_7pointerIxNSA_11hip_rocprim3tagENSA_11use_defaultESG_EEEEPS6_NSA_18transform_iteratorINSA_8identityIxEENSC_INSA_10device_ptrIxEEEESG_SG_EENS0_5tupleIJPxSJ_EEENSR_IJSJ_SJ_EEES6_PlJS6_EEE10hipError_tPvRmT3_T4_T5_T6_T7_T9_mT8_P12ihipStream_tbDpT10_ENKUlT_T0_E_clISt17integral_constantIbLb1EES1F_EEDaS1A_S1B_EUlS1A_E_NS1_11comp_targetILNS1_3genE10ELNS1_11target_archE1200ELNS1_3gpuE4ELNS1_3repE0EEENS1_30default_config_static_selectorELNS0_4arch9wavefront6targetE1EEEvT1_
                                        ; -- End function
	.section	.AMDGPU.csdata,"",@progbits
; Kernel info:
; codeLenInByte = 0
; NumSgprs: 6
; NumVgprs: 0
; NumAgprs: 0
; TotalNumVgprs: 0
; ScratchSize: 0
; MemoryBound: 0
; FloatMode: 240
; IeeeMode: 1
; LDSByteSize: 0 bytes/workgroup (compile time only)
; SGPRBlocks: 0
; VGPRBlocks: 0
; NumSGPRsForWavesPerEU: 6
; NumVGPRsForWavesPerEU: 1
; AccumOffset: 4
; Occupancy: 8
; WaveLimiterHint : 0
; COMPUTE_PGM_RSRC2:SCRATCH_EN: 0
; COMPUTE_PGM_RSRC2:USER_SGPR: 2
; COMPUTE_PGM_RSRC2:TRAP_HANDLER: 0
; COMPUTE_PGM_RSRC2:TGID_X_EN: 1
; COMPUTE_PGM_RSRC2:TGID_Y_EN: 0
; COMPUTE_PGM_RSRC2:TGID_Z_EN: 0
; COMPUTE_PGM_RSRC2:TIDIG_COMP_CNT: 0
; COMPUTE_PGM_RSRC3_GFX90A:ACCUM_OFFSET: 0
; COMPUTE_PGM_RSRC3_GFX90A:TG_SPLIT: 0
	.section	.text._ZN7rocprim17ROCPRIM_400000_NS6detail17trampoline_kernelINS0_14default_configENS1_25partition_config_selectorILNS1_17partition_subalgoE2ExNS0_10empty_typeEbEEZZNS1_14partition_implILS5_2ELb0ES3_jN6thrust23THRUST_200600_302600_NS6detail15normal_iteratorINSA_7pointerIxNSA_11hip_rocprim3tagENSA_11use_defaultESG_EEEEPS6_NSA_18transform_iteratorINSA_8identityIxEENSC_INSA_10device_ptrIxEEEESG_SG_EENS0_5tupleIJPxSJ_EEENSR_IJSJ_SJ_EEES6_PlJS6_EEE10hipError_tPvRmT3_T4_T5_T6_T7_T9_mT8_P12ihipStream_tbDpT10_ENKUlT_T0_E_clISt17integral_constantIbLb1EES1F_EEDaS1A_S1B_EUlS1A_E_NS1_11comp_targetILNS1_3genE9ELNS1_11target_archE1100ELNS1_3gpuE3ELNS1_3repE0EEENS1_30default_config_static_selectorELNS0_4arch9wavefront6targetE1EEEvT1_,"axG",@progbits,_ZN7rocprim17ROCPRIM_400000_NS6detail17trampoline_kernelINS0_14default_configENS1_25partition_config_selectorILNS1_17partition_subalgoE2ExNS0_10empty_typeEbEEZZNS1_14partition_implILS5_2ELb0ES3_jN6thrust23THRUST_200600_302600_NS6detail15normal_iteratorINSA_7pointerIxNSA_11hip_rocprim3tagENSA_11use_defaultESG_EEEEPS6_NSA_18transform_iteratorINSA_8identityIxEENSC_INSA_10device_ptrIxEEEESG_SG_EENS0_5tupleIJPxSJ_EEENSR_IJSJ_SJ_EEES6_PlJS6_EEE10hipError_tPvRmT3_T4_T5_T6_T7_T9_mT8_P12ihipStream_tbDpT10_ENKUlT_T0_E_clISt17integral_constantIbLb1EES1F_EEDaS1A_S1B_EUlS1A_E_NS1_11comp_targetILNS1_3genE9ELNS1_11target_archE1100ELNS1_3gpuE3ELNS1_3repE0EEENS1_30default_config_static_selectorELNS0_4arch9wavefront6targetE1EEEvT1_,comdat
	.protected	_ZN7rocprim17ROCPRIM_400000_NS6detail17trampoline_kernelINS0_14default_configENS1_25partition_config_selectorILNS1_17partition_subalgoE2ExNS0_10empty_typeEbEEZZNS1_14partition_implILS5_2ELb0ES3_jN6thrust23THRUST_200600_302600_NS6detail15normal_iteratorINSA_7pointerIxNSA_11hip_rocprim3tagENSA_11use_defaultESG_EEEEPS6_NSA_18transform_iteratorINSA_8identityIxEENSC_INSA_10device_ptrIxEEEESG_SG_EENS0_5tupleIJPxSJ_EEENSR_IJSJ_SJ_EEES6_PlJS6_EEE10hipError_tPvRmT3_T4_T5_T6_T7_T9_mT8_P12ihipStream_tbDpT10_ENKUlT_T0_E_clISt17integral_constantIbLb1EES1F_EEDaS1A_S1B_EUlS1A_E_NS1_11comp_targetILNS1_3genE9ELNS1_11target_archE1100ELNS1_3gpuE3ELNS1_3repE0EEENS1_30default_config_static_selectorELNS0_4arch9wavefront6targetE1EEEvT1_ ; -- Begin function _ZN7rocprim17ROCPRIM_400000_NS6detail17trampoline_kernelINS0_14default_configENS1_25partition_config_selectorILNS1_17partition_subalgoE2ExNS0_10empty_typeEbEEZZNS1_14partition_implILS5_2ELb0ES3_jN6thrust23THRUST_200600_302600_NS6detail15normal_iteratorINSA_7pointerIxNSA_11hip_rocprim3tagENSA_11use_defaultESG_EEEEPS6_NSA_18transform_iteratorINSA_8identityIxEENSC_INSA_10device_ptrIxEEEESG_SG_EENS0_5tupleIJPxSJ_EEENSR_IJSJ_SJ_EEES6_PlJS6_EEE10hipError_tPvRmT3_T4_T5_T6_T7_T9_mT8_P12ihipStream_tbDpT10_ENKUlT_T0_E_clISt17integral_constantIbLb1EES1F_EEDaS1A_S1B_EUlS1A_E_NS1_11comp_targetILNS1_3genE9ELNS1_11target_archE1100ELNS1_3gpuE3ELNS1_3repE0EEENS1_30default_config_static_selectorELNS0_4arch9wavefront6targetE1EEEvT1_
	.globl	_ZN7rocprim17ROCPRIM_400000_NS6detail17trampoline_kernelINS0_14default_configENS1_25partition_config_selectorILNS1_17partition_subalgoE2ExNS0_10empty_typeEbEEZZNS1_14partition_implILS5_2ELb0ES3_jN6thrust23THRUST_200600_302600_NS6detail15normal_iteratorINSA_7pointerIxNSA_11hip_rocprim3tagENSA_11use_defaultESG_EEEEPS6_NSA_18transform_iteratorINSA_8identityIxEENSC_INSA_10device_ptrIxEEEESG_SG_EENS0_5tupleIJPxSJ_EEENSR_IJSJ_SJ_EEES6_PlJS6_EEE10hipError_tPvRmT3_T4_T5_T6_T7_T9_mT8_P12ihipStream_tbDpT10_ENKUlT_T0_E_clISt17integral_constantIbLb1EES1F_EEDaS1A_S1B_EUlS1A_E_NS1_11comp_targetILNS1_3genE9ELNS1_11target_archE1100ELNS1_3gpuE3ELNS1_3repE0EEENS1_30default_config_static_selectorELNS0_4arch9wavefront6targetE1EEEvT1_
	.p2align	8
	.type	_ZN7rocprim17ROCPRIM_400000_NS6detail17trampoline_kernelINS0_14default_configENS1_25partition_config_selectorILNS1_17partition_subalgoE2ExNS0_10empty_typeEbEEZZNS1_14partition_implILS5_2ELb0ES3_jN6thrust23THRUST_200600_302600_NS6detail15normal_iteratorINSA_7pointerIxNSA_11hip_rocprim3tagENSA_11use_defaultESG_EEEEPS6_NSA_18transform_iteratorINSA_8identityIxEENSC_INSA_10device_ptrIxEEEESG_SG_EENS0_5tupleIJPxSJ_EEENSR_IJSJ_SJ_EEES6_PlJS6_EEE10hipError_tPvRmT3_T4_T5_T6_T7_T9_mT8_P12ihipStream_tbDpT10_ENKUlT_T0_E_clISt17integral_constantIbLb1EES1F_EEDaS1A_S1B_EUlS1A_E_NS1_11comp_targetILNS1_3genE9ELNS1_11target_archE1100ELNS1_3gpuE3ELNS1_3repE0EEENS1_30default_config_static_selectorELNS0_4arch9wavefront6targetE1EEEvT1_,@function
_ZN7rocprim17ROCPRIM_400000_NS6detail17trampoline_kernelINS0_14default_configENS1_25partition_config_selectorILNS1_17partition_subalgoE2ExNS0_10empty_typeEbEEZZNS1_14partition_implILS5_2ELb0ES3_jN6thrust23THRUST_200600_302600_NS6detail15normal_iteratorINSA_7pointerIxNSA_11hip_rocprim3tagENSA_11use_defaultESG_EEEEPS6_NSA_18transform_iteratorINSA_8identityIxEENSC_INSA_10device_ptrIxEEEESG_SG_EENS0_5tupleIJPxSJ_EEENSR_IJSJ_SJ_EEES6_PlJS6_EEE10hipError_tPvRmT3_T4_T5_T6_T7_T9_mT8_P12ihipStream_tbDpT10_ENKUlT_T0_E_clISt17integral_constantIbLb1EES1F_EEDaS1A_S1B_EUlS1A_E_NS1_11comp_targetILNS1_3genE9ELNS1_11target_archE1100ELNS1_3gpuE3ELNS1_3repE0EEENS1_30default_config_static_selectorELNS0_4arch9wavefront6targetE1EEEvT1_: ; @_ZN7rocprim17ROCPRIM_400000_NS6detail17trampoline_kernelINS0_14default_configENS1_25partition_config_selectorILNS1_17partition_subalgoE2ExNS0_10empty_typeEbEEZZNS1_14partition_implILS5_2ELb0ES3_jN6thrust23THRUST_200600_302600_NS6detail15normal_iteratorINSA_7pointerIxNSA_11hip_rocprim3tagENSA_11use_defaultESG_EEEEPS6_NSA_18transform_iteratorINSA_8identityIxEENSC_INSA_10device_ptrIxEEEESG_SG_EENS0_5tupleIJPxSJ_EEENSR_IJSJ_SJ_EEES6_PlJS6_EEE10hipError_tPvRmT3_T4_T5_T6_T7_T9_mT8_P12ihipStream_tbDpT10_ENKUlT_T0_E_clISt17integral_constantIbLb1EES1F_EEDaS1A_S1B_EUlS1A_E_NS1_11comp_targetILNS1_3genE9ELNS1_11target_archE1100ELNS1_3gpuE3ELNS1_3repE0EEENS1_30default_config_static_selectorELNS0_4arch9wavefront6targetE1EEEvT1_
; %bb.0:
	.section	.rodata,"a",@progbits
	.p2align	6, 0x0
	.amdhsa_kernel _ZN7rocprim17ROCPRIM_400000_NS6detail17trampoline_kernelINS0_14default_configENS1_25partition_config_selectorILNS1_17partition_subalgoE2ExNS0_10empty_typeEbEEZZNS1_14partition_implILS5_2ELb0ES3_jN6thrust23THRUST_200600_302600_NS6detail15normal_iteratorINSA_7pointerIxNSA_11hip_rocprim3tagENSA_11use_defaultESG_EEEEPS6_NSA_18transform_iteratorINSA_8identityIxEENSC_INSA_10device_ptrIxEEEESG_SG_EENS0_5tupleIJPxSJ_EEENSR_IJSJ_SJ_EEES6_PlJS6_EEE10hipError_tPvRmT3_T4_T5_T6_T7_T9_mT8_P12ihipStream_tbDpT10_ENKUlT_T0_E_clISt17integral_constantIbLb1EES1F_EEDaS1A_S1B_EUlS1A_E_NS1_11comp_targetILNS1_3genE9ELNS1_11target_archE1100ELNS1_3gpuE3ELNS1_3repE0EEENS1_30default_config_static_selectorELNS0_4arch9wavefront6targetE1EEEvT1_
		.amdhsa_group_segment_fixed_size 0
		.amdhsa_private_segment_fixed_size 0
		.amdhsa_kernarg_size 144
		.amdhsa_user_sgpr_count 2
		.amdhsa_user_sgpr_dispatch_ptr 0
		.amdhsa_user_sgpr_queue_ptr 0
		.amdhsa_user_sgpr_kernarg_segment_ptr 1
		.amdhsa_user_sgpr_dispatch_id 0
		.amdhsa_user_sgpr_kernarg_preload_length 0
		.amdhsa_user_sgpr_kernarg_preload_offset 0
		.amdhsa_user_sgpr_private_segment_size 0
		.amdhsa_uses_dynamic_stack 0
		.amdhsa_enable_private_segment 0
		.amdhsa_system_sgpr_workgroup_id_x 1
		.amdhsa_system_sgpr_workgroup_id_y 0
		.amdhsa_system_sgpr_workgroup_id_z 0
		.amdhsa_system_sgpr_workgroup_info 0
		.amdhsa_system_vgpr_workitem_id 0
		.amdhsa_next_free_vgpr 1
		.amdhsa_next_free_sgpr 0
		.amdhsa_accum_offset 4
		.amdhsa_reserve_vcc 0
		.amdhsa_float_round_mode_32 0
		.amdhsa_float_round_mode_16_64 0
		.amdhsa_float_denorm_mode_32 3
		.amdhsa_float_denorm_mode_16_64 3
		.amdhsa_dx10_clamp 1
		.amdhsa_ieee_mode 1
		.amdhsa_fp16_overflow 0
		.amdhsa_tg_split 0
		.amdhsa_exception_fp_ieee_invalid_op 0
		.amdhsa_exception_fp_denorm_src 0
		.amdhsa_exception_fp_ieee_div_zero 0
		.amdhsa_exception_fp_ieee_overflow 0
		.amdhsa_exception_fp_ieee_underflow 0
		.amdhsa_exception_fp_ieee_inexact 0
		.amdhsa_exception_int_div_zero 0
	.end_amdhsa_kernel
	.section	.text._ZN7rocprim17ROCPRIM_400000_NS6detail17trampoline_kernelINS0_14default_configENS1_25partition_config_selectorILNS1_17partition_subalgoE2ExNS0_10empty_typeEbEEZZNS1_14partition_implILS5_2ELb0ES3_jN6thrust23THRUST_200600_302600_NS6detail15normal_iteratorINSA_7pointerIxNSA_11hip_rocprim3tagENSA_11use_defaultESG_EEEEPS6_NSA_18transform_iteratorINSA_8identityIxEENSC_INSA_10device_ptrIxEEEESG_SG_EENS0_5tupleIJPxSJ_EEENSR_IJSJ_SJ_EEES6_PlJS6_EEE10hipError_tPvRmT3_T4_T5_T6_T7_T9_mT8_P12ihipStream_tbDpT10_ENKUlT_T0_E_clISt17integral_constantIbLb1EES1F_EEDaS1A_S1B_EUlS1A_E_NS1_11comp_targetILNS1_3genE9ELNS1_11target_archE1100ELNS1_3gpuE3ELNS1_3repE0EEENS1_30default_config_static_selectorELNS0_4arch9wavefront6targetE1EEEvT1_,"axG",@progbits,_ZN7rocprim17ROCPRIM_400000_NS6detail17trampoline_kernelINS0_14default_configENS1_25partition_config_selectorILNS1_17partition_subalgoE2ExNS0_10empty_typeEbEEZZNS1_14partition_implILS5_2ELb0ES3_jN6thrust23THRUST_200600_302600_NS6detail15normal_iteratorINSA_7pointerIxNSA_11hip_rocprim3tagENSA_11use_defaultESG_EEEEPS6_NSA_18transform_iteratorINSA_8identityIxEENSC_INSA_10device_ptrIxEEEESG_SG_EENS0_5tupleIJPxSJ_EEENSR_IJSJ_SJ_EEES6_PlJS6_EEE10hipError_tPvRmT3_T4_T5_T6_T7_T9_mT8_P12ihipStream_tbDpT10_ENKUlT_T0_E_clISt17integral_constantIbLb1EES1F_EEDaS1A_S1B_EUlS1A_E_NS1_11comp_targetILNS1_3genE9ELNS1_11target_archE1100ELNS1_3gpuE3ELNS1_3repE0EEENS1_30default_config_static_selectorELNS0_4arch9wavefront6targetE1EEEvT1_,comdat
.Lfunc_end495:
	.size	_ZN7rocprim17ROCPRIM_400000_NS6detail17trampoline_kernelINS0_14default_configENS1_25partition_config_selectorILNS1_17partition_subalgoE2ExNS0_10empty_typeEbEEZZNS1_14partition_implILS5_2ELb0ES3_jN6thrust23THRUST_200600_302600_NS6detail15normal_iteratorINSA_7pointerIxNSA_11hip_rocprim3tagENSA_11use_defaultESG_EEEEPS6_NSA_18transform_iteratorINSA_8identityIxEENSC_INSA_10device_ptrIxEEEESG_SG_EENS0_5tupleIJPxSJ_EEENSR_IJSJ_SJ_EEES6_PlJS6_EEE10hipError_tPvRmT3_T4_T5_T6_T7_T9_mT8_P12ihipStream_tbDpT10_ENKUlT_T0_E_clISt17integral_constantIbLb1EES1F_EEDaS1A_S1B_EUlS1A_E_NS1_11comp_targetILNS1_3genE9ELNS1_11target_archE1100ELNS1_3gpuE3ELNS1_3repE0EEENS1_30default_config_static_selectorELNS0_4arch9wavefront6targetE1EEEvT1_, .Lfunc_end495-_ZN7rocprim17ROCPRIM_400000_NS6detail17trampoline_kernelINS0_14default_configENS1_25partition_config_selectorILNS1_17partition_subalgoE2ExNS0_10empty_typeEbEEZZNS1_14partition_implILS5_2ELb0ES3_jN6thrust23THRUST_200600_302600_NS6detail15normal_iteratorINSA_7pointerIxNSA_11hip_rocprim3tagENSA_11use_defaultESG_EEEEPS6_NSA_18transform_iteratorINSA_8identityIxEENSC_INSA_10device_ptrIxEEEESG_SG_EENS0_5tupleIJPxSJ_EEENSR_IJSJ_SJ_EEES6_PlJS6_EEE10hipError_tPvRmT3_T4_T5_T6_T7_T9_mT8_P12ihipStream_tbDpT10_ENKUlT_T0_E_clISt17integral_constantIbLb1EES1F_EEDaS1A_S1B_EUlS1A_E_NS1_11comp_targetILNS1_3genE9ELNS1_11target_archE1100ELNS1_3gpuE3ELNS1_3repE0EEENS1_30default_config_static_selectorELNS0_4arch9wavefront6targetE1EEEvT1_
                                        ; -- End function
	.section	.AMDGPU.csdata,"",@progbits
; Kernel info:
; codeLenInByte = 0
; NumSgprs: 6
; NumVgprs: 0
; NumAgprs: 0
; TotalNumVgprs: 0
; ScratchSize: 0
; MemoryBound: 0
; FloatMode: 240
; IeeeMode: 1
; LDSByteSize: 0 bytes/workgroup (compile time only)
; SGPRBlocks: 0
; VGPRBlocks: 0
; NumSGPRsForWavesPerEU: 6
; NumVGPRsForWavesPerEU: 1
; AccumOffset: 4
; Occupancy: 8
; WaveLimiterHint : 0
; COMPUTE_PGM_RSRC2:SCRATCH_EN: 0
; COMPUTE_PGM_RSRC2:USER_SGPR: 2
; COMPUTE_PGM_RSRC2:TRAP_HANDLER: 0
; COMPUTE_PGM_RSRC2:TGID_X_EN: 1
; COMPUTE_PGM_RSRC2:TGID_Y_EN: 0
; COMPUTE_PGM_RSRC2:TGID_Z_EN: 0
; COMPUTE_PGM_RSRC2:TIDIG_COMP_CNT: 0
; COMPUTE_PGM_RSRC3_GFX90A:ACCUM_OFFSET: 0
; COMPUTE_PGM_RSRC3_GFX90A:TG_SPLIT: 0
	.section	.text._ZN7rocprim17ROCPRIM_400000_NS6detail17trampoline_kernelINS0_14default_configENS1_25partition_config_selectorILNS1_17partition_subalgoE2ExNS0_10empty_typeEbEEZZNS1_14partition_implILS5_2ELb0ES3_jN6thrust23THRUST_200600_302600_NS6detail15normal_iteratorINSA_7pointerIxNSA_11hip_rocprim3tagENSA_11use_defaultESG_EEEEPS6_NSA_18transform_iteratorINSA_8identityIxEENSC_INSA_10device_ptrIxEEEESG_SG_EENS0_5tupleIJPxSJ_EEENSR_IJSJ_SJ_EEES6_PlJS6_EEE10hipError_tPvRmT3_T4_T5_T6_T7_T9_mT8_P12ihipStream_tbDpT10_ENKUlT_T0_E_clISt17integral_constantIbLb1EES1F_EEDaS1A_S1B_EUlS1A_E_NS1_11comp_targetILNS1_3genE8ELNS1_11target_archE1030ELNS1_3gpuE2ELNS1_3repE0EEENS1_30default_config_static_selectorELNS0_4arch9wavefront6targetE1EEEvT1_,"axG",@progbits,_ZN7rocprim17ROCPRIM_400000_NS6detail17trampoline_kernelINS0_14default_configENS1_25partition_config_selectorILNS1_17partition_subalgoE2ExNS0_10empty_typeEbEEZZNS1_14partition_implILS5_2ELb0ES3_jN6thrust23THRUST_200600_302600_NS6detail15normal_iteratorINSA_7pointerIxNSA_11hip_rocprim3tagENSA_11use_defaultESG_EEEEPS6_NSA_18transform_iteratorINSA_8identityIxEENSC_INSA_10device_ptrIxEEEESG_SG_EENS0_5tupleIJPxSJ_EEENSR_IJSJ_SJ_EEES6_PlJS6_EEE10hipError_tPvRmT3_T4_T5_T6_T7_T9_mT8_P12ihipStream_tbDpT10_ENKUlT_T0_E_clISt17integral_constantIbLb1EES1F_EEDaS1A_S1B_EUlS1A_E_NS1_11comp_targetILNS1_3genE8ELNS1_11target_archE1030ELNS1_3gpuE2ELNS1_3repE0EEENS1_30default_config_static_selectorELNS0_4arch9wavefront6targetE1EEEvT1_,comdat
	.protected	_ZN7rocprim17ROCPRIM_400000_NS6detail17trampoline_kernelINS0_14default_configENS1_25partition_config_selectorILNS1_17partition_subalgoE2ExNS0_10empty_typeEbEEZZNS1_14partition_implILS5_2ELb0ES3_jN6thrust23THRUST_200600_302600_NS6detail15normal_iteratorINSA_7pointerIxNSA_11hip_rocprim3tagENSA_11use_defaultESG_EEEEPS6_NSA_18transform_iteratorINSA_8identityIxEENSC_INSA_10device_ptrIxEEEESG_SG_EENS0_5tupleIJPxSJ_EEENSR_IJSJ_SJ_EEES6_PlJS6_EEE10hipError_tPvRmT3_T4_T5_T6_T7_T9_mT8_P12ihipStream_tbDpT10_ENKUlT_T0_E_clISt17integral_constantIbLb1EES1F_EEDaS1A_S1B_EUlS1A_E_NS1_11comp_targetILNS1_3genE8ELNS1_11target_archE1030ELNS1_3gpuE2ELNS1_3repE0EEENS1_30default_config_static_selectorELNS0_4arch9wavefront6targetE1EEEvT1_ ; -- Begin function _ZN7rocprim17ROCPRIM_400000_NS6detail17trampoline_kernelINS0_14default_configENS1_25partition_config_selectorILNS1_17partition_subalgoE2ExNS0_10empty_typeEbEEZZNS1_14partition_implILS5_2ELb0ES3_jN6thrust23THRUST_200600_302600_NS6detail15normal_iteratorINSA_7pointerIxNSA_11hip_rocprim3tagENSA_11use_defaultESG_EEEEPS6_NSA_18transform_iteratorINSA_8identityIxEENSC_INSA_10device_ptrIxEEEESG_SG_EENS0_5tupleIJPxSJ_EEENSR_IJSJ_SJ_EEES6_PlJS6_EEE10hipError_tPvRmT3_T4_T5_T6_T7_T9_mT8_P12ihipStream_tbDpT10_ENKUlT_T0_E_clISt17integral_constantIbLb1EES1F_EEDaS1A_S1B_EUlS1A_E_NS1_11comp_targetILNS1_3genE8ELNS1_11target_archE1030ELNS1_3gpuE2ELNS1_3repE0EEENS1_30default_config_static_selectorELNS0_4arch9wavefront6targetE1EEEvT1_
	.globl	_ZN7rocprim17ROCPRIM_400000_NS6detail17trampoline_kernelINS0_14default_configENS1_25partition_config_selectorILNS1_17partition_subalgoE2ExNS0_10empty_typeEbEEZZNS1_14partition_implILS5_2ELb0ES3_jN6thrust23THRUST_200600_302600_NS6detail15normal_iteratorINSA_7pointerIxNSA_11hip_rocprim3tagENSA_11use_defaultESG_EEEEPS6_NSA_18transform_iteratorINSA_8identityIxEENSC_INSA_10device_ptrIxEEEESG_SG_EENS0_5tupleIJPxSJ_EEENSR_IJSJ_SJ_EEES6_PlJS6_EEE10hipError_tPvRmT3_T4_T5_T6_T7_T9_mT8_P12ihipStream_tbDpT10_ENKUlT_T0_E_clISt17integral_constantIbLb1EES1F_EEDaS1A_S1B_EUlS1A_E_NS1_11comp_targetILNS1_3genE8ELNS1_11target_archE1030ELNS1_3gpuE2ELNS1_3repE0EEENS1_30default_config_static_selectorELNS0_4arch9wavefront6targetE1EEEvT1_
	.p2align	8
	.type	_ZN7rocprim17ROCPRIM_400000_NS6detail17trampoline_kernelINS0_14default_configENS1_25partition_config_selectorILNS1_17partition_subalgoE2ExNS0_10empty_typeEbEEZZNS1_14partition_implILS5_2ELb0ES3_jN6thrust23THRUST_200600_302600_NS6detail15normal_iteratorINSA_7pointerIxNSA_11hip_rocprim3tagENSA_11use_defaultESG_EEEEPS6_NSA_18transform_iteratorINSA_8identityIxEENSC_INSA_10device_ptrIxEEEESG_SG_EENS0_5tupleIJPxSJ_EEENSR_IJSJ_SJ_EEES6_PlJS6_EEE10hipError_tPvRmT3_T4_T5_T6_T7_T9_mT8_P12ihipStream_tbDpT10_ENKUlT_T0_E_clISt17integral_constantIbLb1EES1F_EEDaS1A_S1B_EUlS1A_E_NS1_11comp_targetILNS1_3genE8ELNS1_11target_archE1030ELNS1_3gpuE2ELNS1_3repE0EEENS1_30default_config_static_selectorELNS0_4arch9wavefront6targetE1EEEvT1_,@function
_ZN7rocprim17ROCPRIM_400000_NS6detail17trampoline_kernelINS0_14default_configENS1_25partition_config_selectorILNS1_17partition_subalgoE2ExNS0_10empty_typeEbEEZZNS1_14partition_implILS5_2ELb0ES3_jN6thrust23THRUST_200600_302600_NS6detail15normal_iteratorINSA_7pointerIxNSA_11hip_rocprim3tagENSA_11use_defaultESG_EEEEPS6_NSA_18transform_iteratorINSA_8identityIxEENSC_INSA_10device_ptrIxEEEESG_SG_EENS0_5tupleIJPxSJ_EEENSR_IJSJ_SJ_EEES6_PlJS6_EEE10hipError_tPvRmT3_T4_T5_T6_T7_T9_mT8_P12ihipStream_tbDpT10_ENKUlT_T0_E_clISt17integral_constantIbLb1EES1F_EEDaS1A_S1B_EUlS1A_E_NS1_11comp_targetILNS1_3genE8ELNS1_11target_archE1030ELNS1_3gpuE2ELNS1_3repE0EEENS1_30default_config_static_selectorELNS0_4arch9wavefront6targetE1EEEvT1_: ; @_ZN7rocprim17ROCPRIM_400000_NS6detail17trampoline_kernelINS0_14default_configENS1_25partition_config_selectorILNS1_17partition_subalgoE2ExNS0_10empty_typeEbEEZZNS1_14partition_implILS5_2ELb0ES3_jN6thrust23THRUST_200600_302600_NS6detail15normal_iteratorINSA_7pointerIxNSA_11hip_rocprim3tagENSA_11use_defaultESG_EEEEPS6_NSA_18transform_iteratorINSA_8identityIxEENSC_INSA_10device_ptrIxEEEESG_SG_EENS0_5tupleIJPxSJ_EEENSR_IJSJ_SJ_EEES6_PlJS6_EEE10hipError_tPvRmT3_T4_T5_T6_T7_T9_mT8_P12ihipStream_tbDpT10_ENKUlT_T0_E_clISt17integral_constantIbLb1EES1F_EEDaS1A_S1B_EUlS1A_E_NS1_11comp_targetILNS1_3genE8ELNS1_11target_archE1030ELNS1_3gpuE2ELNS1_3repE0EEENS1_30default_config_static_selectorELNS0_4arch9wavefront6targetE1EEEvT1_
; %bb.0:
	.section	.rodata,"a",@progbits
	.p2align	6, 0x0
	.amdhsa_kernel _ZN7rocprim17ROCPRIM_400000_NS6detail17trampoline_kernelINS0_14default_configENS1_25partition_config_selectorILNS1_17partition_subalgoE2ExNS0_10empty_typeEbEEZZNS1_14partition_implILS5_2ELb0ES3_jN6thrust23THRUST_200600_302600_NS6detail15normal_iteratorINSA_7pointerIxNSA_11hip_rocprim3tagENSA_11use_defaultESG_EEEEPS6_NSA_18transform_iteratorINSA_8identityIxEENSC_INSA_10device_ptrIxEEEESG_SG_EENS0_5tupleIJPxSJ_EEENSR_IJSJ_SJ_EEES6_PlJS6_EEE10hipError_tPvRmT3_T4_T5_T6_T7_T9_mT8_P12ihipStream_tbDpT10_ENKUlT_T0_E_clISt17integral_constantIbLb1EES1F_EEDaS1A_S1B_EUlS1A_E_NS1_11comp_targetILNS1_3genE8ELNS1_11target_archE1030ELNS1_3gpuE2ELNS1_3repE0EEENS1_30default_config_static_selectorELNS0_4arch9wavefront6targetE1EEEvT1_
		.amdhsa_group_segment_fixed_size 0
		.amdhsa_private_segment_fixed_size 0
		.amdhsa_kernarg_size 144
		.amdhsa_user_sgpr_count 2
		.amdhsa_user_sgpr_dispatch_ptr 0
		.amdhsa_user_sgpr_queue_ptr 0
		.amdhsa_user_sgpr_kernarg_segment_ptr 1
		.amdhsa_user_sgpr_dispatch_id 0
		.amdhsa_user_sgpr_kernarg_preload_length 0
		.amdhsa_user_sgpr_kernarg_preload_offset 0
		.amdhsa_user_sgpr_private_segment_size 0
		.amdhsa_uses_dynamic_stack 0
		.amdhsa_enable_private_segment 0
		.amdhsa_system_sgpr_workgroup_id_x 1
		.amdhsa_system_sgpr_workgroup_id_y 0
		.amdhsa_system_sgpr_workgroup_id_z 0
		.amdhsa_system_sgpr_workgroup_info 0
		.amdhsa_system_vgpr_workitem_id 0
		.amdhsa_next_free_vgpr 1
		.amdhsa_next_free_sgpr 0
		.amdhsa_accum_offset 4
		.amdhsa_reserve_vcc 0
		.amdhsa_float_round_mode_32 0
		.amdhsa_float_round_mode_16_64 0
		.amdhsa_float_denorm_mode_32 3
		.amdhsa_float_denorm_mode_16_64 3
		.amdhsa_dx10_clamp 1
		.amdhsa_ieee_mode 1
		.amdhsa_fp16_overflow 0
		.amdhsa_tg_split 0
		.amdhsa_exception_fp_ieee_invalid_op 0
		.amdhsa_exception_fp_denorm_src 0
		.amdhsa_exception_fp_ieee_div_zero 0
		.amdhsa_exception_fp_ieee_overflow 0
		.amdhsa_exception_fp_ieee_underflow 0
		.amdhsa_exception_fp_ieee_inexact 0
		.amdhsa_exception_int_div_zero 0
	.end_amdhsa_kernel
	.section	.text._ZN7rocprim17ROCPRIM_400000_NS6detail17trampoline_kernelINS0_14default_configENS1_25partition_config_selectorILNS1_17partition_subalgoE2ExNS0_10empty_typeEbEEZZNS1_14partition_implILS5_2ELb0ES3_jN6thrust23THRUST_200600_302600_NS6detail15normal_iteratorINSA_7pointerIxNSA_11hip_rocprim3tagENSA_11use_defaultESG_EEEEPS6_NSA_18transform_iteratorINSA_8identityIxEENSC_INSA_10device_ptrIxEEEESG_SG_EENS0_5tupleIJPxSJ_EEENSR_IJSJ_SJ_EEES6_PlJS6_EEE10hipError_tPvRmT3_T4_T5_T6_T7_T9_mT8_P12ihipStream_tbDpT10_ENKUlT_T0_E_clISt17integral_constantIbLb1EES1F_EEDaS1A_S1B_EUlS1A_E_NS1_11comp_targetILNS1_3genE8ELNS1_11target_archE1030ELNS1_3gpuE2ELNS1_3repE0EEENS1_30default_config_static_selectorELNS0_4arch9wavefront6targetE1EEEvT1_,"axG",@progbits,_ZN7rocprim17ROCPRIM_400000_NS6detail17trampoline_kernelINS0_14default_configENS1_25partition_config_selectorILNS1_17partition_subalgoE2ExNS0_10empty_typeEbEEZZNS1_14partition_implILS5_2ELb0ES3_jN6thrust23THRUST_200600_302600_NS6detail15normal_iteratorINSA_7pointerIxNSA_11hip_rocprim3tagENSA_11use_defaultESG_EEEEPS6_NSA_18transform_iteratorINSA_8identityIxEENSC_INSA_10device_ptrIxEEEESG_SG_EENS0_5tupleIJPxSJ_EEENSR_IJSJ_SJ_EEES6_PlJS6_EEE10hipError_tPvRmT3_T4_T5_T6_T7_T9_mT8_P12ihipStream_tbDpT10_ENKUlT_T0_E_clISt17integral_constantIbLb1EES1F_EEDaS1A_S1B_EUlS1A_E_NS1_11comp_targetILNS1_3genE8ELNS1_11target_archE1030ELNS1_3gpuE2ELNS1_3repE0EEENS1_30default_config_static_selectorELNS0_4arch9wavefront6targetE1EEEvT1_,comdat
.Lfunc_end496:
	.size	_ZN7rocprim17ROCPRIM_400000_NS6detail17trampoline_kernelINS0_14default_configENS1_25partition_config_selectorILNS1_17partition_subalgoE2ExNS0_10empty_typeEbEEZZNS1_14partition_implILS5_2ELb0ES3_jN6thrust23THRUST_200600_302600_NS6detail15normal_iteratorINSA_7pointerIxNSA_11hip_rocprim3tagENSA_11use_defaultESG_EEEEPS6_NSA_18transform_iteratorINSA_8identityIxEENSC_INSA_10device_ptrIxEEEESG_SG_EENS0_5tupleIJPxSJ_EEENSR_IJSJ_SJ_EEES6_PlJS6_EEE10hipError_tPvRmT3_T4_T5_T6_T7_T9_mT8_P12ihipStream_tbDpT10_ENKUlT_T0_E_clISt17integral_constantIbLb1EES1F_EEDaS1A_S1B_EUlS1A_E_NS1_11comp_targetILNS1_3genE8ELNS1_11target_archE1030ELNS1_3gpuE2ELNS1_3repE0EEENS1_30default_config_static_selectorELNS0_4arch9wavefront6targetE1EEEvT1_, .Lfunc_end496-_ZN7rocprim17ROCPRIM_400000_NS6detail17trampoline_kernelINS0_14default_configENS1_25partition_config_selectorILNS1_17partition_subalgoE2ExNS0_10empty_typeEbEEZZNS1_14partition_implILS5_2ELb0ES3_jN6thrust23THRUST_200600_302600_NS6detail15normal_iteratorINSA_7pointerIxNSA_11hip_rocprim3tagENSA_11use_defaultESG_EEEEPS6_NSA_18transform_iteratorINSA_8identityIxEENSC_INSA_10device_ptrIxEEEESG_SG_EENS0_5tupleIJPxSJ_EEENSR_IJSJ_SJ_EEES6_PlJS6_EEE10hipError_tPvRmT3_T4_T5_T6_T7_T9_mT8_P12ihipStream_tbDpT10_ENKUlT_T0_E_clISt17integral_constantIbLb1EES1F_EEDaS1A_S1B_EUlS1A_E_NS1_11comp_targetILNS1_3genE8ELNS1_11target_archE1030ELNS1_3gpuE2ELNS1_3repE0EEENS1_30default_config_static_selectorELNS0_4arch9wavefront6targetE1EEEvT1_
                                        ; -- End function
	.section	.AMDGPU.csdata,"",@progbits
; Kernel info:
; codeLenInByte = 0
; NumSgprs: 6
; NumVgprs: 0
; NumAgprs: 0
; TotalNumVgprs: 0
; ScratchSize: 0
; MemoryBound: 0
; FloatMode: 240
; IeeeMode: 1
; LDSByteSize: 0 bytes/workgroup (compile time only)
; SGPRBlocks: 0
; VGPRBlocks: 0
; NumSGPRsForWavesPerEU: 6
; NumVGPRsForWavesPerEU: 1
; AccumOffset: 4
; Occupancy: 8
; WaveLimiterHint : 0
; COMPUTE_PGM_RSRC2:SCRATCH_EN: 0
; COMPUTE_PGM_RSRC2:USER_SGPR: 2
; COMPUTE_PGM_RSRC2:TRAP_HANDLER: 0
; COMPUTE_PGM_RSRC2:TGID_X_EN: 1
; COMPUTE_PGM_RSRC2:TGID_Y_EN: 0
; COMPUTE_PGM_RSRC2:TGID_Z_EN: 0
; COMPUTE_PGM_RSRC2:TIDIG_COMP_CNT: 0
; COMPUTE_PGM_RSRC3_GFX90A:ACCUM_OFFSET: 0
; COMPUTE_PGM_RSRC3_GFX90A:TG_SPLIT: 0
	.section	.text._ZN7rocprim17ROCPRIM_400000_NS6detail17trampoline_kernelINS0_14default_configENS1_25partition_config_selectorILNS1_17partition_subalgoE2ExNS0_10empty_typeEbEEZZNS1_14partition_implILS5_2ELb0ES3_jN6thrust23THRUST_200600_302600_NS6detail15normal_iteratorINSA_7pointerIxNSA_11hip_rocprim3tagENSA_11use_defaultESG_EEEEPS6_NSA_18transform_iteratorINSA_8identityIxEENSC_INSA_10device_ptrIxEEEESG_SG_EENS0_5tupleIJPxSJ_EEENSR_IJSJ_SJ_EEES6_PlJS6_EEE10hipError_tPvRmT3_T4_T5_T6_T7_T9_mT8_P12ihipStream_tbDpT10_ENKUlT_T0_E_clISt17integral_constantIbLb1EES1E_IbLb0EEEEDaS1A_S1B_EUlS1A_E_NS1_11comp_targetILNS1_3genE0ELNS1_11target_archE4294967295ELNS1_3gpuE0ELNS1_3repE0EEENS1_30default_config_static_selectorELNS0_4arch9wavefront6targetE1EEEvT1_,"axG",@progbits,_ZN7rocprim17ROCPRIM_400000_NS6detail17trampoline_kernelINS0_14default_configENS1_25partition_config_selectorILNS1_17partition_subalgoE2ExNS0_10empty_typeEbEEZZNS1_14partition_implILS5_2ELb0ES3_jN6thrust23THRUST_200600_302600_NS6detail15normal_iteratorINSA_7pointerIxNSA_11hip_rocprim3tagENSA_11use_defaultESG_EEEEPS6_NSA_18transform_iteratorINSA_8identityIxEENSC_INSA_10device_ptrIxEEEESG_SG_EENS0_5tupleIJPxSJ_EEENSR_IJSJ_SJ_EEES6_PlJS6_EEE10hipError_tPvRmT3_T4_T5_T6_T7_T9_mT8_P12ihipStream_tbDpT10_ENKUlT_T0_E_clISt17integral_constantIbLb1EES1E_IbLb0EEEEDaS1A_S1B_EUlS1A_E_NS1_11comp_targetILNS1_3genE0ELNS1_11target_archE4294967295ELNS1_3gpuE0ELNS1_3repE0EEENS1_30default_config_static_selectorELNS0_4arch9wavefront6targetE1EEEvT1_,comdat
	.protected	_ZN7rocprim17ROCPRIM_400000_NS6detail17trampoline_kernelINS0_14default_configENS1_25partition_config_selectorILNS1_17partition_subalgoE2ExNS0_10empty_typeEbEEZZNS1_14partition_implILS5_2ELb0ES3_jN6thrust23THRUST_200600_302600_NS6detail15normal_iteratorINSA_7pointerIxNSA_11hip_rocprim3tagENSA_11use_defaultESG_EEEEPS6_NSA_18transform_iteratorINSA_8identityIxEENSC_INSA_10device_ptrIxEEEESG_SG_EENS0_5tupleIJPxSJ_EEENSR_IJSJ_SJ_EEES6_PlJS6_EEE10hipError_tPvRmT3_T4_T5_T6_T7_T9_mT8_P12ihipStream_tbDpT10_ENKUlT_T0_E_clISt17integral_constantIbLb1EES1E_IbLb0EEEEDaS1A_S1B_EUlS1A_E_NS1_11comp_targetILNS1_3genE0ELNS1_11target_archE4294967295ELNS1_3gpuE0ELNS1_3repE0EEENS1_30default_config_static_selectorELNS0_4arch9wavefront6targetE1EEEvT1_ ; -- Begin function _ZN7rocprim17ROCPRIM_400000_NS6detail17trampoline_kernelINS0_14default_configENS1_25partition_config_selectorILNS1_17partition_subalgoE2ExNS0_10empty_typeEbEEZZNS1_14partition_implILS5_2ELb0ES3_jN6thrust23THRUST_200600_302600_NS6detail15normal_iteratorINSA_7pointerIxNSA_11hip_rocprim3tagENSA_11use_defaultESG_EEEEPS6_NSA_18transform_iteratorINSA_8identityIxEENSC_INSA_10device_ptrIxEEEESG_SG_EENS0_5tupleIJPxSJ_EEENSR_IJSJ_SJ_EEES6_PlJS6_EEE10hipError_tPvRmT3_T4_T5_T6_T7_T9_mT8_P12ihipStream_tbDpT10_ENKUlT_T0_E_clISt17integral_constantIbLb1EES1E_IbLb0EEEEDaS1A_S1B_EUlS1A_E_NS1_11comp_targetILNS1_3genE0ELNS1_11target_archE4294967295ELNS1_3gpuE0ELNS1_3repE0EEENS1_30default_config_static_selectorELNS0_4arch9wavefront6targetE1EEEvT1_
	.globl	_ZN7rocprim17ROCPRIM_400000_NS6detail17trampoline_kernelINS0_14default_configENS1_25partition_config_selectorILNS1_17partition_subalgoE2ExNS0_10empty_typeEbEEZZNS1_14partition_implILS5_2ELb0ES3_jN6thrust23THRUST_200600_302600_NS6detail15normal_iteratorINSA_7pointerIxNSA_11hip_rocprim3tagENSA_11use_defaultESG_EEEEPS6_NSA_18transform_iteratorINSA_8identityIxEENSC_INSA_10device_ptrIxEEEESG_SG_EENS0_5tupleIJPxSJ_EEENSR_IJSJ_SJ_EEES6_PlJS6_EEE10hipError_tPvRmT3_T4_T5_T6_T7_T9_mT8_P12ihipStream_tbDpT10_ENKUlT_T0_E_clISt17integral_constantIbLb1EES1E_IbLb0EEEEDaS1A_S1B_EUlS1A_E_NS1_11comp_targetILNS1_3genE0ELNS1_11target_archE4294967295ELNS1_3gpuE0ELNS1_3repE0EEENS1_30default_config_static_selectorELNS0_4arch9wavefront6targetE1EEEvT1_
	.p2align	8
	.type	_ZN7rocprim17ROCPRIM_400000_NS6detail17trampoline_kernelINS0_14default_configENS1_25partition_config_selectorILNS1_17partition_subalgoE2ExNS0_10empty_typeEbEEZZNS1_14partition_implILS5_2ELb0ES3_jN6thrust23THRUST_200600_302600_NS6detail15normal_iteratorINSA_7pointerIxNSA_11hip_rocprim3tagENSA_11use_defaultESG_EEEEPS6_NSA_18transform_iteratorINSA_8identityIxEENSC_INSA_10device_ptrIxEEEESG_SG_EENS0_5tupleIJPxSJ_EEENSR_IJSJ_SJ_EEES6_PlJS6_EEE10hipError_tPvRmT3_T4_T5_T6_T7_T9_mT8_P12ihipStream_tbDpT10_ENKUlT_T0_E_clISt17integral_constantIbLb1EES1E_IbLb0EEEEDaS1A_S1B_EUlS1A_E_NS1_11comp_targetILNS1_3genE0ELNS1_11target_archE4294967295ELNS1_3gpuE0ELNS1_3repE0EEENS1_30default_config_static_selectorELNS0_4arch9wavefront6targetE1EEEvT1_,@function
_ZN7rocprim17ROCPRIM_400000_NS6detail17trampoline_kernelINS0_14default_configENS1_25partition_config_selectorILNS1_17partition_subalgoE2ExNS0_10empty_typeEbEEZZNS1_14partition_implILS5_2ELb0ES3_jN6thrust23THRUST_200600_302600_NS6detail15normal_iteratorINSA_7pointerIxNSA_11hip_rocprim3tagENSA_11use_defaultESG_EEEEPS6_NSA_18transform_iteratorINSA_8identityIxEENSC_INSA_10device_ptrIxEEEESG_SG_EENS0_5tupleIJPxSJ_EEENSR_IJSJ_SJ_EEES6_PlJS6_EEE10hipError_tPvRmT3_T4_T5_T6_T7_T9_mT8_P12ihipStream_tbDpT10_ENKUlT_T0_E_clISt17integral_constantIbLb1EES1E_IbLb0EEEEDaS1A_S1B_EUlS1A_E_NS1_11comp_targetILNS1_3genE0ELNS1_11target_archE4294967295ELNS1_3gpuE0ELNS1_3repE0EEENS1_30default_config_static_selectorELNS0_4arch9wavefront6targetE1EEEvT1_: ; @_ZN7rocprim17ROCPRIM_400000_NS6detail17trampoline_kernelINS0_14default_configENS1_25partition_config_selectorILNS1_17partition_subalgoE2ExNS0_10empty_typeEbEEZZNS1_14partition_implILS5_2ELb0ES3_jN6thrust23THRUST_200600_302600_NS6detail15normal_iteratorINSA_7pointerIxNSA_11hip_rocprim3tagENSA_11use_defaultESG_EEEEPS6_NSA_18transform_iteratorINSA_8identityIxEENSC_INSA_10device_ptrIxEEEESG_SG_EENS0_5tupleIJPxSJ_EEENSR_IJSJ_SJ_EEES6_PlJS6_EEE10hipError_tPvRmT3_T4_T5_T6_T7_T9_mT8_P12ihipStream_tbDpT10_ENKUlT_T0_E_clISt17integral_constantIbLb1EES1E_IbLb0EEEEDaS1A_S1B_EUlS1A_E_NS1_11comp_targetILNS1_3genE0ELNS1_11target_archE4294967295ELNS1_3gpuE0ELNS1_3repE0EEENS1_30default_config_static_selectorELNS0_4arch9wavefront6targetE1EEEvT1_
; %bb.0:
	.section	.rodata,"a",@progbits
	.p2align	6, 0x0
	.amdhsa_kernel _ZN7rocprim17ROCPRIM_400000_NS6detail17trampoline_kernelINS0_14default_configENS1_25partition_config_selectorILNS1_17partition_subalgoE2ExNS0_10empty_typeEbEEZZNS1_14partition_implILS5_2ELb0ES3_jN6thrust23THRUST_200600_302600_NS6detail15normal_iteratorINSA_7pointerIxNSA_11hip_rocprim3tagENSA_11use_defaultESG_EEEEPS6_NSA_18transform_iteratorINSA_8identityIxEENSC_INSA_10device_ptrIxEEEESG_SG_EENS0_5tupleIJPxSJ_EEENSR_IJSJ_SJ_EEES6_PlJS6_EEE10hipError_tPvRmT3_T4_T5_T6_T7_T9_mT8_P12ihipStream_tbDpT10_ENKUlT_T0_E_clISt17integral_constantIbLb1EES1E_IbLb0EEEEDaS1A_S1B_EUlS1A_E_NS1_11comp_targetILNS1_3genE0ELNS1_11target_archE4294967295ELNS1_3gpuE0ELNS1_3repE0EEENS1_30default_config_static_selectorELNS0_4arch9wavefront6targetE1EEEvT1_
		.amdhsa_group_segment_fixed_size 0
		.amdhsa_private_segment_fixed_size 0
		.amdhsa_kernarg_size 128
		.amdhsa_user_sgpr_count 2
		.amdhsa_user_sgpr_dispatch_ptr 0
		.amdhsa_user_sgpr_queue_ptr 0
		.amdhsa_user_sgpr_kernarg_segment_ptr 1
		.amdhsa_user_sgpr_dispatch_id 0
		.amdhsa_user_sgpr_kernarg_preload_length 0
		.amdhsa_user_sgpr_kernarg_preload_offset 0
		.amdhsa_user_sgpr_private_segment_size 0
		.amdhsa_uses_dynamic_stack 0
		.amdhsa_enable_private_segment 0
		.amdhsa_system_sgpr_workgroup_id_x 1
		.amdhsa_system_sgpr_workgroup_id_y 0
		.amdhsa_system_sgpr_workgroup_id_z 0
		.amdhsa_system_sgpr_workgroup_info 0
		.amdhsa_system_vgpr_workitem_id 0
		.amdhsa_next_free_vgpr 1
		.amdhsa_next_free_sgpr 0
		.amdhsa_accum_offset 4
		.amdhsa_reserve_vcc 0
		.amdhsa_float_round_mode_32 0
		.amdhsa_float_round_mode_16_64 0
		.amdhsa_float_denorm_mode_32 3
		.amdhsa_float_denorm_mode_16_64 3
		.amdhsa_dx10_clamp 1
		.amdhsa_ieee_mode 1
		.amdhsa_fp16_overflow 0
		.amdhsa_tg_split 0
		.amdhsa_exception_fp_ieee_invalid_op 0
		.amdhsa_exception_fp_denorm_src 0
		.amdhsa_exception_fp_ieee_div_zero 0
		.amdhsa_exception_fp_ieee_overflow 0
		.amdhsa_exception_fp_ieee_underflow 0
		.amdhsa_exception_fp_ieee_inexact 0
		.amdhsa_exception_int_div_zero 0
	.end_amdhsa_kernel
	.section	.text._ZN7rocprim17ROCPRIM_400000_NS6detail17trampoline_kernelINS0_14default_configENS1_25partition_config_selectorILNS1_17partition_subalgoE2ExNS0_10empty_typeEbEEZZNS1_14partition_implILS5_2ELb0ES3_jN6thrust23THRUST_200600_302600_NS6detail15normal_iteratorINSA_7pointerIxNSA_11hip_rocprim3tagENSA_11use_defaultESG_EEEEPS6_NSA_18transform_iteratorINSA_8identityIxEENSC_INSA_10device_ptrIxEEEESG_SG_EENS0_5tupleIJPxSJ_EEENSR_IJSJ_SJ_EEES6_PlJS6_EEE10hipError_tPvRmT3_T4_T5_T6_T7_T9_mT8_P12ihipStream_tbDpT10_ENKUlT_T0_E_clISt17integral_constantIbLb1EES1E_IbLb0EEEEDaS1A_S1B_EUlS1A_E_NS1_11comp_targetILNS1_3genE0ELNS1_11target_archE4294967295ELNS1_3gpuE0ELNS1_3repE0EEENS1_30default_config_static_selectorELNS0_4arch9wavefront6targetE1EEEvT1_,"axG",@progbits,_ZN7rocprim17ROCPRIM_400000_NS6detail17trampoline_kernelINS0_14default_configENS1_25partition_config_selectorILNS1_17partition_subalgoE2ExNS0_10empty_typeEbEEZZNS1_14partition_implILS5_2ELb0ES3_jN6thrust23THRUST_200600_302600_NS6detail15normal_iteratorINSA_7pointerIxNSA_11hip_rocprim3tagENSA_11use_defaultESG_EEEEPS6_NSA_18transform_iteratorINSA_8identityIxEENSC_INSA_10device_ptrIxEEEESG_SG_EENS0_5tupleIJPxSJ_EEENSR_IJSJ_SJ_EEES6_PlJS6_EEE10hipError_tPvRmT3_T4_T5_T6_T7_T9_mT8_P12ihipStream_tbDpT10_ENKUlT_T0_E_clISt17integral_constantIbLb1EES1E_IbLb0EEEEDaS1A_S1B_EUlS1A_E_NS1_11comp_targetILNS1_3genE0ELNS1_11target_archE4294967295ELNS1_3gpuE0ELNS1_3repE0EEENS1_30default_config_static_selectorELNS0_4arch9wavefront6targetE1EEEvT1_,comdat
.Lfunc_end497:
	.size	_ZN7rocprim17ROCPRIM_400000_NS6detail17trampoline_kernelINS0_14default_configENS1_25partition_config_selectorILNS1_17partition_subalgoE2ExNS0_10empty_typeEbEEZZNS1_14partition_implILS5_2ELb0ES3_jN6thrust23THRUST_200600_302600_NS6detail15normal_iteratorINSA_7pointerIxNSA_11hip_rocprim3tagENSA_11use_defaultESG_EEEEPS6_NSA_18transform_iteratorINSA_8identityIxEENSC_INSA_10device_ptrIxEEEESG_SG_EENS0_5tupleIJPxSJ_EEENSR_IJSJ_SJ_EEES6_PlJS6_EEE10hipError_tPvRmT3_T4_T5_T6_T7_T9_mT8_P12ihipStream_tbDpT10_ENKUlT_T0_E_clISt17integral_constantIbLb1EES1E_IbLb0EEEEDaS1A_S1B_EUlS1A_E_NS1_11comp_targetILNS1_3genE0ELNS1_11target_archE4294967295ELNS1_3gpuE0ELNS1_3repE0EEENS1_30default_config_static_selectorELNS0_4arch9wavefront6targetE1EEEvT1_, .Lfunc_end497-_ZN7rocprim17ROCPRIM_400000_NS6detail17trampoline_kernelINS0_14default_configENS1_25partition_config_selectorILNS1_17partition_subalgoE2ExNS0_10empty_typeEbEEZZNS1_14partition_implILS5_2ELb0ES3_jN6thrust23THRUST_200600_302600_NS6detail15normal_iteratorINSA_7pointerIxNSA_11hip_rocprim3tagENSA_11use_defaultESG_EEEEPS6_NSA_18transform_iteratorINSA_8identityIxEENSC_INSA_10device_ptrIxEEEESG_SG_EENS0_5tupleIJPxSJ_EEENSR_IJSJ_SJ_EEES6_PlJS6_EEE10hipError_tPvRmT3_T4_T5_T6_T7_T9_mT8_P12ihipStream_tbDpT10_ENKUlT_T0_E_clISt17integral_constantIbLb1EES1E_IbLb0EEEEDaS1A_S1B_EUlS1A_E_NS1_11comp_targetILNS1_3genE0ELNS1_11target_archE4294967295ELNS1_3gpuE0ELNS1_3repE0EEENS1_30default_config_static_selectorELNS0_4arch9wavefront6targetE1EEEvT1_
                                        ; -- End function
	.section	.AMDGPU.csdata,"",@progbits
; Kernel info:
; codeLenInByte = 0
; NumSgprs: 6
; NumVgprs: 0
; NumAgprs: 0
; TotalNumVgprs: 0
; ScratchSize: 0
; MemoryBound: 0
; FloatMode: 240
; IeeeMode: 1
; LDSByteSize: 0 bytes/workgroup (compile time only)
; SGPRBlocks: 0
; VGPRBlocks: 0
; NumSGPRsForWavesPerEU: 6
; NumVGPRsForWavesPerEU: 1
; AccumOffset: 4
; Occupancy: 8
; WaveLimiterHint : 0
; COMPUTE_PGM_RSRC2:SCRATCH_EN: 0
; COMPUTE_PGM_RSRC2:USER_SGPR: 2
; COMPUTE_PGM_RSRC2:TRAP_HANDLER: 0
; COMPUTE_PGM_RSRC2:TGID_X_EN: 1
; COMPUTE_PGM_RSRC2:TGID_Y_EN: 0
; COMPUTE_PGM_RSRC2:TGID_Z_EN: 0
; COMPUTE_PGM_RSRC2:TIDIG_COMP_CNT: 0
; COMPUTE_PGM_RSRC3_GFX90A:ACCUM_OFFSET: 0
; COMPUTE_PGM_RSRC3_GFX90A:TG_SPLIT: 0
	.section	.text._ZN7rocprim17ROCPRIM_400000_NS6detail17trampoline_kernelINS0_14default_configENS1_25partition_config_selectorILNS1_17partition_subalgoE2ExNS0_10empty_typeEbEEZZNS1_14partition_implILS5_2ELb0ES3_jN6thrust23THRUST_200600_302600_NS6detail15normal_iteratorINSA_7pointerIxNSA_11hip_rocprim3tagENSA_11use_defaultESG_EEEEPS6_NSA_18transform_iteratorINSA_8identityIxEENSC_INSA_10device_ptrIxEEEESG_SG_EENS0_5tupleIJPxSJ_EEENSR_IJSJ_SJ_EEES6_PlJS6_EEE10hipError_tPvRmT3_T4_T5_T6_T7_T9_mT8_P12ihipStream_tbDpT10_ENKUlT_T0_E_clISt17integral_constantIbLb1EES1E_IbLb0EEEEDaS1A_S1B_EUlS1A_E_NS1_11comp_targetILNS1_3genE5ELNS1_11target_archE942ELNS1_3gpuE9ELNS1_3repE0EEENS1_30default_config_static_selectorELNS0_4arch9wavefront6targetE1EEEvT1_,"axG",@progbits,_ZN7rocprim17ROCPRIM_400000_NS6detail17trampoline_kernelINS0_14default_configENS1_25partition_config_selectorILNS1_17partition_subalgoE2ExNS0_10empty_typeEbEEZZNS1_14partition_implILS5_2ELb0ES3_jN6thrust23THRUST_200600_302600_NS6detail15normal_iteratorINSA_7pointerIxNSA_11hip_rocprim3tagENSA_11use_defaultESG_EEEEPS6_NSA_18transform_iteratorINSA_8identityIxEENSC_INSA_10device_ptrIxEEEESG_SG_EENS0_5tupleIJPxSJ_EEENSR_IJSJ_SJ_EEES6_PlJS6_EEE10hipError_tPvRmT3_T4_T5_T6_T7_T9_mT8_P12ihipStream_tbDpT10_ENKUlT_T0_E_clISt17integral_constantIbLb1EES1E_IbLb0EEEEDaS1A_S1B_EUlS1A_E_NS1_11comp_targetILNS1_3genE5ELNS1_11target_archE942ELNS1_3gpuE9ELNS1_3repE0EEENS1_30default_config_static_selectorELNS0_4arch9wavefront6targetE1EEEvT1_,comdat
	.protected	_ZN7rocprim17ROCPRIM_400000_NS6detail17trampoline_kernelINS0_14default_configENS1_25partition_config_selectorILNS1_17partition_subalgoE2ExNS0_10empty_typeEbEEZZNS1_14partition_implILS5_2ELb0ES3_jN6thrust23THRUST_200600_302600_NS6detail15normal_iteratorINSA_7pointerIxNSA_11hip_rocprim3tagENSA_11use_defaultESG_EEEEPS6_NSA_18transform_iteratorINSA_8identityIxEENSC_INSA_10device_ptrIxEEEESG_SG_EENS0_5tupleIJPxSJ_EEENSR_IJSJ_SJ_EEES6_PlJS6_EEE10hipError_tPvRmT3_T4_T5_T6_T7_T9_mT8_P12ihipStream_tbDpT10_ENKUlT_T0_E_clISt17integral_constantIbLb1EES1E_IbLb0EEEEDaS1A_S1B_EUlS1A_E_NS1_11comp_targetILNS1_3genE5ELNS1_11target_archE942ELNS1_3gpuE9ELNS1_3repE0EEENS1_30default_config_static_selectorELNS0_4arch9wavefront6targetE1EEEvT1_ ; -- Begin function _ZN7rocprim17ROCPRIM_400000_NS6detail17trampoline_kernelINS0_14default_configENS1_25partition_config_selectorILNS1_17partition_subalgoE2ExNS0_10empty_typeEbEEZZNS1_14partition_implILS5_2ELb0ES3_jN6thrust23THRUST_200600_302600_NS6detail15normal_iteratorINSA_7pointerIxNSA_11hip_rocprim3tagENSA_11use_defaultESG_EEEEPS6_NSA_18transform_iteratorINSA_8identityIxEENSC_INSA_10device_ptrIxEEEESG_SG_EENS0_5tupleIJPxSJ_EEENSR_IJSJ_SJ_EEES6_PlJS6_EEE10hipError_tPvRmT3_T4_T5_T6_T7_T9_mT8_P12ihipStream_tbDpT10_ENKUlT_T0_E_clISt17integral_constantIbLb1EES1E_IbLb0EEEEDaS1A_S1B_EUlS1A_E_NS1_11comp_targetILNS1_3genE5ELNS1_11target_archE942ELNS1_3gpuE9ELNS1_3repE0EEENS1_30default_config_static_selectorELNS0_4arch9wavefront6targetE1EEEvT1_
	.globl	_ZN7rocprim17ROCPRIM_400000_NS6detail17trampoline_kernelINS0_14default_configENS1_25partition_config_selectorILNS1_17partition_subalgoE2ExNS0_10empty_typeEbEEZZNS1_14partition_implILS5_2ELb0ES3_jN6thrust23THRUST_200600_302600_NS6detail15normal_iteratorINSA_7pointerIxNSA_11hip_rocprim3tagENSA_11use_defaultESG_EEEEPS6_NSA_18transform_iteratorINSA_8identityIxEENSC_INSA_10device_ptrIxEEEESG_SG_EENS0_5tupleIJPxSJ_EEENSR_IJSJ_SJ_EEES6_PlJS6_EEE10hipError_tPvRmT3_T4_T5_T6_T7_T9_mT8_P12ihipStream_tbDpT10_ENKUlT_T0_E_clISt17integral_constantIbLb1EES1E_IbLb0EEEEDaS1A_S1B_EUlS1A_E_NS1_11comp_targetILNS1_3genE5ELNS1_11target_archE942ELNS1_3gpuE9ELNS1_3repE0EEENS1_30default_config_static_selectorELNS0_4arch9wavefront6targetE1EEEvT1_
	.p2align	8
	.type	_ZN7rocprim17ROCPRIM_400000_NS6detail17trampoline_kernelINS0_14default_configENS1_25partition_config_selectorILNS1_17partition_subalgoE2ExNS0_10empty_typeEbEEZZNS1_14partition_implILS5_2ELb0ES3_jN6thrust23THRUST_200600_302600_NS6detail15normal_iteratorINSA_7pointerIxNSA_11hip_rocprim3tagENSA_11use_defaultESG_EEEEPS6_NSA_18transform_iteratorINSA_8identityIxEENSC_INSA_10device_ptrIxEEEESG_SG_EENS0_5tupleIJPxSJ_EEENSR_IJSJ_SJ_EEES6_PlJS6_EEE10hipError_tPvRmT3_T4_T5_T6_T7_T9_mT8_P12ihipStream_tbDpT10_ENKUlT_T0_E_clISt17integral_constantIbLb1EES1E_IbLb0EEEEDaS1A_S1B_EUlS1A_E_NS1_11comp_targetILNS1_3genE5ELNS1_11target_archE942ELNS1_3gpuE9ELNS1_3repE0EEENS1_30default_config_static_selectorELNS0_4arch9wavefront6targetE1EEEvT1_,@function
_ZN7rocprim17ROCPRIM_400000_NS6detail17trampoline_kernelINS0_14default_configENS1_25partition_config_selectorILNS1_17partition_subalgoE2ExNS0_10empty_typeEbEEZZNS1_14partition_implILS5_2ELb0ES3_jN6thrust23THRUST_200600_302600_NS6detail15normal_iteratorINSA_7pointerIxNSA_11hip_rocprim3tagENSA_11use_defaultESG_EEEEPS6_NSA_18transform_iteratorINSA_8identityIxEENSC_INSA_10device_ptrIxEEEESG_SG_EENS0_5tupleIJPxSJ_EEENSR_IJSJ_SJ_EEES6_PlJS6_EEE10hipError_tPvRmT3_T4_T5_T6_T7_T9_mT8_P12ihipStream_tbDpT10_ENKUlT_T0_E_clISt17integral_constantIbLb1EES1E_IbLb0EEEEDaS1A_S1B_EUlS1A_E_NS1_11comp_targetILNS1_3genE5ELNS1_11target_archE942ELNS1_3gpuE9ELNS1_3repE0EEENS1_30default_config_static_selectorELNS0_4arch9wavefront6targetE1EEEvT1_: ; @_ZN7rocprim17ROCPRIM_400000_NS6detail17trampoline_kernelINS0_14default_configENS1_25partition_config_selectorILNS1_17partition_subalgoE2ExNS0_10empty_typeEbEEZZNS1_14partition_implILS5_2ELb0ES3_jN6thrust23THRUST_200600_302600_NS6detail15normal_iteratorINSA_7pointerIxNSA_11hip_rocprim3tagENSA_11use_defaultESG_EEEEPS6_NSA_18transform_iteratorINSA_8identityIxEENSC_INSA_10device_ptrIxEEEESG_SG_EENS0_5tupleIJPxSJ_EEENSR_IJSJ_SJ_EEES6_PlJS6_EEE10hipError_tPvRmT3_T4_T5_T6_T7_T9_mT8_P12ihipStream_tbDpT10_ENKUlT_T0_E_clISt17integral_constantIbLb1EES1E_IbLb0EEEEDaS1A_S1B_EUlS1A_E_NS1_11comp_targetILNS1_3genE5ELNS1_11target_archE942ELNS1_3gpuE9ELNS1_3repE0EEENS1_30default_config_static_selectorELNS0_4arch9wavefront6targetE1EEEvT1_
; %bb.0:
	s_load_dwordx4 s[24:27], s[0:1], 0x8
	s_load_dwordx2 s[6:7], s[0:1], 0x20
	s_load_dwordx2 s[28:29], s[0:1], 0x60
	s_load_dwordx4 s[20:23], s[0:1], 0x50
	s_load_dword s3, s[0:1], 0x78
	s_waitcnt lgkmcnt(0)
	s_lshl_b64 s[8:9], s[26:27], 3
	s_add_u32 s12, s24, s8
	s_addc_u32 s13, s25, s9
	s_load_dwordx2 s[30:31], s[22:23], 0x0
	s_add_i32 s10, s3, -1
	s_mulk_i32 s3, 0xe00
	s_add_i32 s4, s3, s26
	s_sub_i32 s33, s28, s4
	s_addk_i32 s33, 0xe00
	s_add_u32 s4, s26, s3
	s_addc_u32 s5, s27, 0
	s_cmp_eq_u32 s2, s10
	v_mov_b64_e32 v[2:3], s[28:29]
	s_cselect_b64 s[22:23], -1, 0
	s_cmp_lg_u32 s2, s10
	s_mul_i32 s24, s2, 0xe00
	s_mov_b32 s25, 0
	v_cmp_lt_u64_e32 vcc, s[4:5], v[2:3]
	s_cselect_b64 s[4:5], -1, 0
	s_or_b64 s[34:35], s[4:5], vcc
	s_lshl_b64 s[10:11], s[24:25], 3
	s_add_u32 s12, s12, s10
	s_addc_u32 s13, s13, s11
	s_mov_b64 s[4:5], -1
	s_and_b64 vcc, exec, s[34:35]
	v_lshlrev_b32_e32 v18, 3, v0
	s_cbranch_vccz .LBB498_2
; %bb.1:
	v_mov_b32_e32 v19, 0
	v_lshl_add_u64 v[2:3], s[12:13], 0, v[18:19]
	v_add_co_u32_e32 v4, vcc, 0x1000, v2
	s_mov_b64 s[4:5], 0
	s_nop 0
	v_addc_co_u32_e32 v5, vcc, 0, v3, vcc
	v_add_co_u32_e32 v6, vcc, 0x2000, v2
	s_nop 1
	v_addc_co_u32_e32 v7, vcc, 0, v3, vcc
	v_add_co_u32_e32 v8, vcc, 0x3000, v2
	s_nop 1
	v_addc_co_u32_e32 v9, vcc, 0, v3, vcc
	flat_load_dwordx2 v[10:11], v[2:3]
	flat_load_dwordx2 v[12:13], v[4:5]
	;; [unrolled: 1-line block ×4, first 2 shown]
	v_add_co_u32_e32 v4, vcc, 0x4000, v2
	s_nop 1
	v_addc_co_u32_e32 v5, vcc, 0, v3, vcc
	v_add_co_u32_e32 v6, vcc, 0x5000, v2
	s_nop 1
	v_addc_co_u32_e32 v7, vcc, 0, v3, vcc
	;; [unrolled: 3-line block ×3, first 2 shown]
	flat_load_dwordx2 v[8:9], v[4:5]
	flat_load_dwordx2 v[20:21], v[6:7]
	;; [unrolled: 1-line block ×3, first 2 shown]
	s_waitcnt vmcnt(0) lgkmcnt(0)
	ds_write2st64_b64 v18, v[10:11], v[12:13] offset1:8
	ds_write2st64_b64 v18, v[14:15], v[16:17] offset0:16 offset1:24
	ds_write2st64_b64 v18, v[8:9], v[20:21] offset0:32 offset1:40
	ds_write_b64 v18, v[22:23] offset:24576
	s_waitcnt lgkmcnt(0)
	s_barrier
.LBB498_2:
	s_andn2_b64 vcc, exec, s[4:5]
	v_cmp_gt_u32_e64 s[4:5], s33, v0
	s_cbranch_vccnz .LBB498_18
; %bb.3:
                                        ; implicit-def: $vgpr2_vgpr3_vgpr4_vgpr5_vgpr6_vgpr7_vgpr8_vgpr9_vgpr10_vgpr11_vgpr12_vgpr13_vgpr14_vgpr15_vgpr16_vgpr17
	s_and_saveexec_b64 s[14:15], s[4:5]
	s_cbranch_execz .LBB498_5
; %bb.4:
	v_mov_b32_e32 v19, 0
	v_lshl_add_u64 v[2:3], s[12:13], 0, v[18:19]
	flat_load_dwordx2 v[2:3], v[2:3]
.LBB498_5:
	s_or_b64 exec, exec, s[14:15]
	v_or_b32_e32 v1, 0x200, v0
	v_cmp_gt_u32_e32 vcc, s33, v1
	s_and_saveexec_b64 s[4:5], vcc
	s_cbranch_execz .LBB498_7
; %bb.6:
	v_lshlrev_b32_e32 v4, 3, v1
	v_mov_b32_e32 v5, 0
	v_lshl_add_u64 v[4:5], s[12:13], 0, v[4:5]
	flat_load_dwordx2 v[4:5], v[4:5]
.LBB498_7:
	s_or_b64 exec, exec, s[4:5]
	v_or_b32_e32 v1, 0x400, v0
	v_cmp_gt_u32_e32 vcc, s33, v1
	s_and_saveexec_b64 s[4:5], vcc
	s_cbranch_execz .LBB498_9
; %bb.8:
	v_lshlrev_b32_e32 v6, 3, v1
	v_mov_b32_e32 v7, 0
	v_lshl_add_u64 v[6:7], s[12:13], 0, v[6:7]
	flat_load_dwordx2 v[6:7], v[6:7]
.LBB498_9:
	;; [unrolled: 11-line block ×6, first 2 shown]
	s_or_b64 exec, exec, s[4:5]
	s_waitcnt vmcnt(0) lgkmcnt(0)
	ds_write2st64_b64 v18, v[2:3], v[4:5] offset1:8
	ds_write2st64_b64 v18, v[6:7], v[8:9] offset0:16 offset1:24
	ds_write2st64_b64 v18, v[10:11], v[12:13] offset0:32 offset1:40
	ds_write_b64 v18, v[14:15] offset:24576
	s_waitcnt lgkmcnt(0)
	s_barrier
.LBB498_18:
	v_mul_u32_u24_e32 v1, 7, v0
	v_lshlrev_b32_e32 v16, 3, v1
	s_waitcnt lgkmcnt(0)
	ds_read2_b64 v[10:13], v16 offset1:1
	ds_read2_b64 v[6:9], v16 offset0:2 offset1:3
	ds_read2_b64 v[2:5], v16 offset0:4 offset1:5
	ds_read_b64 v[14:15], v16 offset:48
	s_add_u32 s3, s6, s8
	s_addc_u32 s5, s7, s9
	s_add_u32 s4, s3, s10
	s_addc_u32 s5, s5, s11
	s_mov_b64 s[6:7], -1
	s_and_b64 vcc, exec, s[34:35]
	s_waitcnt lgkmcnt(0)
	s_barrier
	s_cbranch_vccz .LBB498_20
; %bb.19:
	v_mov_b32_e32 v19, 0
	v_lshl_add_u64 v[20:21], s[4:5], 0, v[18:19]
	v_add_co_u32_e32 v24, vcc, 0x1000, v20
	global_load_dwordx2 v[22:23], v18, s[4:5]
	s_nop 0
	v_addc_co_u32_e32 v25, vcc, 0, v21, vcc
	v_add_co_u32_e32 v26, vcc, 0x2000, v20
	s_mov_b64 s[6:7], 0
	s_nop 0
	v_addc_co_u32_e32 v27, vcc, 0, v21, vcc
	v_add_co_u32_e32 v28, vcc, 0x3000, v20
	s_nop 1
	v_addc_co_u32_e32 v29, vcc, 0, v21, vcc
	v_add_co_u32_e32 v30, vcc, 0x4000, v20
	s_nop 1
	v_addc_co_u32_e32 v31, vcc, 0, v21, vcc
	global_load_dwordx2 v[32:33], v[24:25], off
	global_load_dwordx2 v[34:35], v[26:27], off
	;; [unrolled: 1-line block ×4, first 2 shown]
	v_add_co_u32_e32 v24, vcc, 0x5000, v20
	s_nop 1
	v_addc_co_u32_e32 v25, vcc, 0, v21, vcc
	v_add_co_u32_e32 v20, vcc, 0x6000, v20
	global_load_dwordx2 v[24:25], v[24:25], off
	s_nop 0
	v_addc_co_u32_e32 v21, vcc, 0, v21, vcc
	global_load_dwordx2 v[20:21], v[20:21], off
	s_waitcnt vmcnt(6)
	v_cmp_ne_u64_e32 vcc, 0, v[22:23]
	s_nop 1
	v_cndmask_b32_e64 v17, 0, 1, vcc
	ds_write_b8 v0, v17
	s_waitcnt vmcnt(5)
	v_cmp_ne_u64_e32 vcc, 0, v[32:33]
	s_nop 1
	v_cndmask_b32_e64 v17, 0, 1, vcc
	s_waitcnt vmcnt(4)
	v_cmp_ne_u64_e32 vcc, 0, v[34:35]
	ds_write_b8 v0, v17 offset:512
	s_nop 0
	v_cndmask_b32_e64 v19, 0, 1, vcc
	s_waitcnt vmcnt(3)
	v_cmp_ne_u64_e32 vcc, 0, v[36:37]
	ds_write_b8 v0, v19 offset:1024
	;; [unrolled: 5-line block ×4, first 2 shown]
	s_nop 0
	v_cndmask_b32_e64 v17, 0, 1, vcc
	s_waitcnt vmcnt(0)
	v_cmp_ne_u64_e32 vcc, 0, v[20:21]
	s_nop 1
	v_cndmask_b32_e64 v19, 0, 1, vcc
	ds_write_b8 v0, v17 offset:2560
	ds_write_b8 v0, v19 offset:3072
	s_waitcnt lgkmcnt(0)
	s_barrier
.LBB498_20:
	s_load_dwordx2 s[36:37], s[0:1], 0x70
	s_andn2_b64 vcc, exec, s[6:7]
	s_cbranch_vccnz .LBB498_36
; %bb.21:
	v_cmp_gt_u32_e32 vcc, s33, v0
	v_mov_b32_e32 v17, 0
	v_mov_b32_e32 v19, 0
	s_and_saveexec_b64 s[6:7], vcc
	s_cbranch_execz .LBB498_23
; %bb.22:
	global_load_dwordx2 v[20:21], v18, s[4:5]
	s_waitcnt vmcnt(0)
	v_cmp_ne_u64_e32 vcc, 0, v[20:21]
	s_nop 1
	v_cndmask_b32_e64 v19, 0, 1, vcc
.LBB498_23:
	s_or_b64 exec, exec, s[6:7]
	v_or_b32_e32 v20, 0x200, v0
	v_cmp_gt_u32_e32 vcc, s33, v20
	s_and_saveexec_b64 s[6:7], vcc
	s_cbranch_execz .LBB498_25
; %bb.24:
	v_lshlrev_b32_e32 v17, 3, v20
	global_load_dwordx2 v[20:21], v17, s[4:5]
	s_waitcnt vmcnt(0)
	v_cmp_ne_u64_e32 vcc, 0, v[20:21]
	s_nop 1
	v_cndmask_b32_e64 v17, 0, 1, vcc
.LBB498_25:
	s_or_b64 exec, exec, s[6:7]
	v_or_b32_e32 v22, 0x400, v0
	v_cmp_gt_u32_e32 vcc, s33, v22
	v_mov_b32_e32 v20, 0
	v_mov_b32_e32 v21, 0
	s_and_saveexec_b64 s[6:7], vcc
	s_cbranch_execz .LBB498_27
; %bb.26:
	v_lshlrev_b32_e32 v21, 3, v22
	global_load_dwordx2 v[22:23], v21, s[4:5]
	s_waitcnt vmcnt(0)
	v_cmp_ne_u64_e32 vcc, 0, v[22:23]
	s_nop 1
	v_cndmask_b32_e64 v21, 0, 1, vcc
.LBB498_27:
	s_or_b64 exec, exec, s[6:7]
	v_or_b32_e32 v22, 0x600, v0
	v_cmp_gt_u32_e32 vcc, s33, v22
	s_and_saveexec_b64 s[6:7], vcc
	s_cbranch_execz .LBB498_29
; %bb.28:
	v_lshlrev_b32_e32 v20, 3, v22
	global_load_dwordx2 v[22:23], v20, s[4:5]
	s_waitcnt vmcnt(0)
	v_cmp_ne_u64_e32 vcc, 0, v[22:23]
	s_nop 1
	v_cndmask_b32_e64 v20, 0, 1, vcc
.LBB498_29:
	s_or_b64 exec, exec, s[6:7]
	v_or_b32_e32 v24, 0x800, v0
	v_cmp_gt_u32_e32 vcc, s33, v24
	v_mov_b32_e32 v22, 0
	v_mov_b32_e32 v23, 0
	s_and_saveexec_b64 s[6:7], vcc
	s_cbranch_execz .LBB498_31
; %bb.30:
	v_lshlrev_b32_e32 v23, 3, v24
	global_load_dwordx2 v[24:25], v23, s[4:5]
	s_waitcnt vmcnt(0)
	v_cmp_ne_u64_e32 vcc, 0, v[24:25]
	s_nop 1
	v_cndmask_b32_e64 v23, 0, 1, vcc
.LBB498_31:
	s_or_b64 exec, exec, s[6:7]
	v_or_b32_e32 v24, 0xa00, v0
	v_cmp_gt_u32_e32 vcc, s33, v24
	s_and_saveexec_b64 s[6:7], vcc
	s_cbranch_execz .LBB498_33
; %bb.32:
	v_lshlrev_b32_e32 v22, 3, v24
	global_load_dwordx2 v[24:25], v22, s[4:5]
	s_waitcnt vmcnt(0)
	v_cmp_ne_u64_e32 vcc, 0, v[24:25]
	s_nop 1
	v_cndmask_b32_e64 v22, 0, 1, vcc
.LBB498_33:
	s_or_b64 exec, exec, s[6:7]
	v_or_b32_e32 v25, 0xc00, v0
	v_cmp_gt_u32_e32 vcc, s33, v25
	v_mov_b32_e32 v24, 0
	s_and_saveexec_b64 s[6:7], vcc
	s_cbranch_execz .LBB498_35
; %bb.34:
	v_lshlrev_b32_e32 v24, 3, v25
	global_load_dwordx2 v[24:25], v24, s[4:5]
	s_waitcnt vmcnt(0)
	v_cmp_ne_u64_e32 vcc, 0, v[24:25]
	s_nop 1
	v_cndmask_b32_e64 v24, 0, 1, vcc
.LBB498_35:
	s_or_b64 exec, exec, s[6:7]
	ds_write_b8 v0, v19
	ds_write_b8 v0, v17 offset:512
	ds_write_b8 v0, v21 offset:1024
	;; [unrolled: 1-line block ×6, first 2 shown]
	s_waitcnt lgkmcnt(0)
	s_barrier
.LBB498_36:
	s_movk_i32 s3, 0xffcf
	v_mad_i32_i24 v35, v0, s3, v16
	s_waitcnt lgkmcnt(0)
	ds_read_u8 v16, v35
	ds_read_u8 v17, v35 offset:1
	ds_read_u8 v19, v35 offset:2
	;; [unrolled: 1-line block ×6, first 2 shown]
	s_waitcnt lgkmcnt(6)
	v_and_b32_e32 v33, 1, v16
	s_waitcnt lgkmcnt(5)
	v_and_b32_e32 v32, 1, v17
	;; [unrolled: 2-line block ×5, first 2 shown]
	v_add3_u32 v16, v32, v33, v31
	s_waitcnt lgkmcnt(1)
	v_and_b32_e32 v28, 1, v22
	s_waitcnt lgkmcnt(0)
	v_and_b32_e32 v19, 1, v23
	v_add3_u32 v16, v16, v30, v29
	v_add3_u32 v37, v16, v28, v19
	v_mbcnt_lo_u32_b32 v16, -1, 0
	v_mbcnt_hi_u32_b32 v34, -1, v16
	v_and_b32_e32 v16, 15, v34
	v_cmp_eq_u32_e64 s[14:15], 0, v16
	v_cmp_lt_u32_e64 s[12:13], 1, v16
	v_cmp_lt_u32_e64 s[10:11], 3, v16
	;; [unrolled: 1-line block ×3, first 2 shown]
	v_and_b32_e32 v16, 16, v34
	v_cmp_eq_u32_e64 s[6:7], 0, v16
	v_or_b32_e32 v16, 63, v0
	s_cmp_lg_u32 s2, 0
	v_cmp_lt_u32_e64 s[18:19], 31, v34
	v_lshrrev_b32_e32 v36, 6, v0
	v_cmp_eq_u32_e64 s[4:5], v16, v0
	s_barrier
	s_cbranch_scc0 .LBB498_67
; %bb.37:
	v_mov_b32_dpp v16, v37 row_shr:1 row_mask:0xf bank_mask:0xf
	v_cndmask_b32_e64 v16, v16, 0, s[14:15]
	v_add_u32_e32 v16, v16, v37
	s_nop 1
	v_mov_b32_dpp v17, v16 row_shr:2 row_mask:0xf bank_mask:0xf
	v_cndmask_b32_e64 v17, 0, v17, s[12:13]
	v_add_u32_e32 v16, v16, v17
	s_nop 1
	;; [unrolled: 4-line block ×4, first 2 shown]
	v_mov_b32_dpp v17, v16 row_bcast:15 row_mask:0xf bank_mask:0xf
	v_cndmask_b32_e64 v17, v17, 0, s[6:7]
	v_add_u32_e32 v16, v16, v17
	s_nop 1
	v_mov_b32_dpp v17, v16 row_bcast:31 row_mask:0xf bank_mask:0xf
	v_cndmask_b32_e64 v17, 0, v17, s[18:19]
	v_add_u32_e32 v16, v16, v17
	s_and_saveexec_b64 s[16:17], s[4:5]
	s_cbranch_execz .LBB498_39
; %bb.38:
	v_lshlrev_b32_e32 v17, 2, v36
	ds_write_b32 v17, v16
.LBB498_39:
	s_or_b64 exec, exec, s[16:17]
	v_cmp_gt_u32_e32 vcc, 8, v0
	s_waitcnt lgkmcnt(0)
	s_barrier
	s_and_saveexec_b64 s[16:17], vcc
	s_cbranch_execz .LBB498_41
; %bb.40:
	v_lshlrev_b32_e32 v17, 2, v0
	ds_read_b32 v20, v17
	v_and_b32_e32 v21, 7, v34
	v_cmp_ne_u32_e32 vcc, 0, v21
	s_waitcnt lgkmcnt(0)
	v_mov_b32_dpp v22, v20 row_shr:1 row_mask:0xf bank_mask:0xf
	v_cndmask_b32_e32 v22, 0, v22, vcc
	v_add_u32_e32 v20, v22, v20
	v_cmp_lt_u32_e32 vcc, 1, v21
	s_nop 0
	v_mov_b32_dpp v22, v20 row_shr:2 row_mask:0xf bank_mask:0xf
	v_cndmask_b32_e32 v22, 0, v22, vcc
	v_add_u32_e32 v20, v20, v22
	v_cmp_lt_u32_e32 vcc, 3, v21
	s_nop 0
	v_mov_b32_dpp v22, v20 row_shr:4 row_mask:0xf bank_mask:0xf
	v_cndmask_b32_e32 v21, 0, v22, vcc
	v_add_u32_e32 v20, v20, v21
	ds_write_b32 v17, v20
.LBB498_41:
	s_or_b64 exec, exec, s[16:17]
	v_cmp_gt_u32_e32 vcc, 64, v0
	v_cmp_lt_u32_e64 s[16:17], 63, v0
	s_waitcnt lgkmcnt(0)
	s_barrier
	s_waitcnt lgkmcnt(0)
                                        ; implicit-def: $vgpr38
	s_and_saveexec_b64 s[38:39], s[16:17]
	s_cbranch_execz .LBB498_43
; %bb.42:
	v_lshl_add_u32 v17, v36, 2, -4
	ds_read_b32 v38, v17
	s_waitcnt lgkmcnt(0)
	v_add_u32_e32 v16, v38, v16
.LBB498_43:
	s_or_b64 exec, exec, s[38:39]
	v_add_u32_e32 v17, -1, v34
	v_and_b32_e32 v20, 64, v34
	v_cmp_lt_i32_e64 s[16:17], v17, v20
	s_nop 1
	v_cndmask_b32_e64 v17, v17, v34, s[16:17]
	v_lshlrev_b32_e32 v17, 2, v17
	ds_bpermute_b32 v39, v17, v16
	v_cmp_eq_u32_e64 s[16:17], 0, v34
	s_and_saveexec_b64 s[38:39], vcc
	s_cbranch_execz .LBB498_66
; %bb.44:
	v_mov_b32_e32 v27, 0
	ds_read_b32 v16, v27 offset:28
	s_and_saveexec_b64 s[40:41], s[16:17]
	s_cbranch_execz .LBB498_46
; %bb.45:
	s_add_i32 s42, s2, 64
	s_mov_b32 s43, 0
	s_lshl_b64 s[42:43], s[42:43], 3
	s_add_u32 s42, s36, s42
	v_mov_b32_e32 v17, 1
	s_addc_u32 s43, s37, s43
	s_waitcnt lgkmcnt(0)
	global_store_dwordx2 v27, v[16:17], s[42:43] sc1
.LBB498_46:
	s_or_b64 exec, exec, s[40:41]
	v_xad_u32 v20, v34, -1, s2
	v_add_u32_e32 v26, 64, v20
	v_lshl_add_u64 v[22:23], v[26:27], 3, s[36:37]
	global_load_dwordx2 v[24:25], v[22:23], off sc1
	s_waitcnt vmcnt(0)
	v_cmp_eq_u16_sdwa s[42:43], v25, v27 src0_sel:BYTE_0 src1_sel:DWORD
	s_and_saveexec_b64 s[40:41], s[42:43]
	s_cbranch_execz .LBB498_52
; %bb.47:
	s_mov_b32 s3, 1
	s_mov_b64 s[42:43], 0
	v_mov_b32_e32 v17, 0
.LBB498_48:                             ; =>This Loop Header: Depth=1
                                        ;     Child Loop BB498_49 Depth 2
	s_max_u32 s25, s3, 1
.LBB498_49:                             ;   Parent Loop BB498_48 Depth=1
                                        ; =>  This Inner Loop Header: Depth=2
	s_add_i32 s25, s25, -1
	s_cmp_eq_u32 s25, 0
	s_sleep 1
	s_cbranch_scc0 .LBB498_49
; %bb.50:                               ;   in Loop: Header=BB498_48 Depth=1
	global_load_dwordx2 v[24:25], v[22:23], off sc1
	s_cmp_lt_u32 s3, 32
	s_cselect_b64 s[44:45], -1, 0
	s_cmp_lg_u64 s[44:45], 0
	s_addc_u32 s3, s3, 0
	s_waitcnt vmcnt(0)
	v_cmp_ne_u16_sdwa s[44:45], v25, v17 src0_sel:BYTE_0 src1_sel:DWORD
	s_or_b64 s[42:43], s[44:45], s[42:43]
	s_andn2_b64 exec, exec, s[42:43]
	s_cbranch_execnz .LBB498_48
; %bb.51:
	s_or_b64 exec, exec, s[42:43]
.LBB498_52:
	s_or_b64 exec, exec, s[40:41]
	v_and_b32_e32 v41, 63, v34
	v_mov_b32_e32 v40, 2
	v_cmp_ne_u32_e32 vcc, 63, v41
	v_cmp_eq_u16_sdwa s[40:41], v25, v40 src0_sel:BYTE_0 src1_sel:DWORD
	v_lshlrev_b64 v[22:23], v34, -1
	v_addc_co_u32_e32 v26, vcc, 0, v34, vcc
	v_and_b32_e32 v17, s41, v23
	v_lshlrev_b32_e32 v42, 2, v26
	v_or_b32_e32 v17, 0x80000000, v17
	ds_bpermute_b32 v26, v42, v24
	v_and_b32_e32 v21, s40, v22
	v_ffbl_b32_e32 v17, v17
	v_add_u32_e32 v17, 32, v17
	v_ffbl_b32_e32 v21, v21
	v_min_u32_e32 v17, v21, v17
	v_cmp_lt_u32_e32 vcc, v41, v17
	v_add_u32_e32 v44, 2, v41
	v_add_u32_e32 v46, 4, v41
	s_waitcnt lgkmcnt(0)
	v_cndmask_b32_e32 v21, 0, v26, vcc
	v_cmp_gt_u32_e32 vcc, 62, v41
	v_add_u32_e32 v21, v21, v24
	v_add_u32_e32 v48, 8, v41
	v_cndmask_b32_e64 v24, 0, 1, vcc
	v_lshlrev_b32_e32 v24, 1, v24
	v_add_lshl_u32 v43, v24, v34, 2
	ds_bpermute_b32 v24, v43, v21
	v_cmp_le_u32_e32 vcc, v44, v17
	v_add_u32_e32 v50, 16, v41
	v_add_u32_e32 v52, 32, v41
	s_waitcnt lgkmcnt(0)
	v_cndmask_b32_e32 v24, 0, v24, vcc
	v_cmp_gt_u32_e32 vcc, 60, v41
	v_add_u32_e32 v21, v21, v24
	s_nop 0
	v_cndmask_b32_e64 v24, 0, 1, vcc
	v_lshlrev_b32_e32 v24, 2, v24
	v_add_lshl_u32 v45, v24, v34, 2
	ds_bpermute_b32 v24, v45, v21
	v_cmp_le_u32_e32 vcc, v46, v17
	s_waitcnt lgkmcnt(0)
	s_nop 0
	v_cndmask_b32_e32 v24, 0, v24, vcc
	v_cmp_gt_u32_e32 vcc, 56, v41
	v_add_u32_e32 v21, v21, v24
	s_nop 0
	v_cndmask_b32_e64 v24, 0, 1, vcc
	v_lshlrev_b32_e32 v24, 3, v24
	v_add_lshl_u32 v47, v24, v34, 2
	ds_bpermute_b32 v24, v47, v21
	v_cmp_le_u32_e32 vcc, v48, v17
	s_waitcnt lgkmcnt(0)
	s_nop 0
	v_cndmask_b32_e32 v24, 0, v24, vcc
	v_cmp_gt_u32_e32 vcc, 48, v41
	v_add_u32_e32 v21, v21, v24
	s_nop 0
	v_cndmask_b32_e64 v24, 0, 1, vcc
	v_lshlrev_b32_e32 v24, 4, v24
	v_add_lshl_u32 v49, v24, v34, 2
	ds_bpermute_b32 v24, v49, v21
	v_cmp_le_u32_e32 vcc, v50, v17
	s_waitcnt lgkmcnt(0)
	s_nop 0
	v_cndmask_b32_e32 v24, 0, v24, vcc
	v_cmp_gt_u32_e32 vcc, 32, v41
	v_add_u32_e32 v21, v21, v24
	s_nop 0
	v_cndmask_b32_e64 v24, 0, 1, vcc
	v_lshlrev_b32_e32 v24, 5, v24
	v_add_lshl_u32 v51, v24, v34, 2
	ds_bpermute_b32 v24, v51, v21
	v_cmp_le_u32_e32 vcc, v52, v17
	s_waitcnt lgkmcnt(0)
	s_nop 0
	v_cndmask_b32_e32 v17, 0, v24, vcc
	v_add_u32_e32 v24, v21, v17
	v_mov_b32_e32 v21, 0
	s_branch .LBB498_54
.LBB498_53:                             ;   in Loop: Header=BB498_54 Depth=1
	s_or_b64 exec, exec, s[40:41]
	v_cmp_eq_u16_sdwa s[40:41], v25, v40 src0_sel:BYTE_0 src1_sel:DWORD
	ds_bpermute_b32 v53, v42, v24
	v_subrev_u32_e32 v20, 64, v20
	v_and_b32_e32 v26, s41, v23
	v_or_b32_e32 v26, 0x80000000, v26
	v_and_b32_e32 v27, s40, v22
	v_ffbl_b32_e32 v26, v26
	v_add_u32_e32 v26, 32, v26
	v_ffbl_b32_e32 v27, v27
	v_min_u32_e32 v26, v27, v26
	v_cmp_lt_u32_e32 vcc, v41, v26
	s_waitcnt lgkmcnt(0)
	s_nop 0
	v_cndmask_b32_e32 v27, 0, v53, vcc
	v_add_u32_e32 v24, v27, v24
	ds_bpermute_b32 v27, v43, v24
	v_cmp_le_u32_e32 vcc, v44, v26
	s_waitcnt lgkmcnt(0)
	s_nop 0
	v_cndmask_b32_e32 v27, 0, v27, vcc
	v_add_u32_e32 v24, v24, v27
	ds_bpermute_b32 v27, v45, v24
	v_cmp_le_u32_e32 vcc, v46, v26
	;; [unrolled: 6-line block ×5, first 2 shown]
	s_waitcnt lgkmcnt(0)
	s_nop 0
	v_cndmask_b32_e32 v26, 0, v27, vcc
	v_add3_u32 v24, v26, v17, v24
.LBB498_54:                             ; =>This Loop Header: Depth=1
                                        ;     Child Loop BB498_57 Depth 2
                                        ;       Child Loop BB498_58 Depth 3
	v_cmp_ne_u16_sdwa s[40:41], v25, v40 src0_sel:BYTE_0 src1_sel:DWORD
	s_nop 1
	v_cndmask_b32_e64 v17, 0, 1, s[40:41]
	;;#ASMSTART
	;;#ASMEND
	s_nop 0
	v_cmp_ne_u32_e32 vcc, 0, v17
	s_cmp_lg_u64 vcc, exec
	v_mov_b32_e32 v17, v24
	s_cbranch_scc1 .LBB498_61
; %bb.55:                               ;   in Loop: Header=BB498_54 Depth=1
	v_lshl_add_u64 v[26:27], v[20:21], 3, s[36:37]
	global_load_dwordx2 v[24:25], v[26:27], off sc1
	s_waitcnt vmcnt(0)
	v_cmp_eq_u16_sdwa s[42:43], v25, v21 src0_sel:BYTE_0 src1_sel:DWORD
	s_and_saveexec_b64 s[40:41], s[42:43]
	s_cbranch_execz .LBB498_53
; %bb.56:                               ;   in Loop: Header=BB498_54 Depth=1
	s_mov_b32 s3, 1
	s_mov_b64 s[42:43], 0
.LBB498_57:                             ;   Parent Loop BB498_54 Depth=1
                                        ; =>  This Loop Header: Depth=2
                                        ;       Child Loop BB498_58 Depth 3
	s_max_u32 s25, s3, 1
.LBB498_58:                             ;   Parent Loop BB498_54 Depth=1
                                        ;     Parent Loop BB498_57 Depth=2
                                        ; =>    This Inner Loop Header: Depth=3
	s_add_i32 s25, s25, -1
	s_cmp_eq_u32 s25, 0
	s_sleep 1
	s_cbranch_scc0 .LBB498_58
; %bb.59:                               ;   in Loop: Header=BB498_57 Depth=2
	global_load_dwordx2 v[24:25], v[26:27], off sc1
	s_cmp_lt_u32 s3, 32
	s_cselect_b64 s[44:45], -1, 0
	s_cmp_lg_u64 s[44:45], 0
	s_addc_u32 s3, s3, 0
	s_waitcnt vmcnt(0)
	v_cmp_ne_u16_sdwa s[44:45], v25, v21 src0_sel:BYTE_0 src1_sel:DWORD
	s_or_b64 s[42:43], s[44:45], s[42:43]
	s_andn2_b64 exec, exec, s[42:43]
	s_cbranch_execnz .LBB498_57
; %bb.60:                               ;   in Loop: Header=BB498_54 Depth=1
	s_or_b64 exec, exec, s[42:43]
	s_branch .LBB498_53
.LBB498_61:                             ;   in Loop: Header=BB498_54 Depth=1
                                        ; implicit-def: $vgpr24
                                        ; implicit-def: $vgpr25
	s_cbranch_execz .LBB498_54
; %bb.62:
	s_and_saveexec_b64 s[40:41], s[16:17]
	s_cbranch_execz .LBB498_64
; %bb.63:
	s_add_i32 s2, s2, 64
	s_mov_b32 s3, 0
	s_lshl_b64 s[2:3], s[2:3], 3
	s_add_u32 s2, s36, s2
	v_add_u32_e32 v20, v17, v16
	v_mov_b32_e32 v21, 2
	s_addc_u32 s3, s37, s3
	v_mov_b32_e32 v22, 0
	global_store_dwordx2 v22, v[20:21], s[2:3] sc1
	ds_write_b64 v22, v[16:17] offset:28672
.LBB498_64:
	s_or_b64 exec, exec, s[40:41]
	v_cmp_eq_u32_e32 vcc, 0, v0
	s_and_b64 exec, exec, vcc
	s_cbranch_execz .LBB498_66
; %bb.65:
	v_mov_b32_e32 v16, 0
	ds_write_b32 v16, v17 offset:28
.LBB498_66:
	s_or_b64 exec, exec, s[38:39]
	v_mov_b32_e32 v16, 0
	s_waitcnt lgkmcnt(0)
	s_barrier
	ds_read_b32 v17, v16 offset:28
	v_cndmask_b32_e64 v20, v39, v38, s[16:17]
	v_cmp_ne_u32_e32 vcc, 0, v0
	s_waitcnt lgkmcnt(0)
	s_barrier
	v_cndmask_b32_e32 v20, 0, v20, vcc
	v_add_u32_e32 v27, v17, v20
	v_add_u32_e32 v26, v27, v33
	ds_read_b64 v[16:17], v16 offset:28672
	v_add_u32_e32 v25, v26, v32
	v_add_u32_e32 v23, v25, v31
	;; [unrolled: 1-line block ×5, first 2 shown]
	s_waitcnt lgkmcnt(0)
	v_mov_b32_e32 v22, v17
	s_load_dwordx2 s[2:3], s[0:1], 0x30
	s_branch .LBB498_77
.LBB498_67:
                                        ; implicit-def: $vgpr22
                                        ; implicit-def: $vgpr16
                                        ; implicit-def: $vgpr20
                                        ; implicit-def: $vgpr21
                                        ; implicit-def: $vgpr24
                                        ; implicit-def: $vgpr23
                                        ; implicit-def: $vgpr25
                                        ; implicit-def: $vgpr26
                                        ; implicit-def: $vgpr27
	s_load_dwordx2 s[2:3], s[0:1], 0x30
	s_cbranch_execz .LBB498_77
; %bb.68:
	v_mov_b32_dpp v16, v37 row_shr:1 row_mask:0xf bank_mask:0xf
	v_cndmask_b32_e64 v16, v16, 0, s[14:15]
	v_add_u32_e32 v16, v16, v37
	s_nop 1
	v_mov_b32_dpp v17, v16 row_shr:2 row_mask:0xf bank_mask:0xf
	v_cndmask_b32_e64 v17, 0, v17, s[12:13]
	v_add_u32_e32 v16, v16, v17
	s_nop 1
	;; [unrolled: 4-line block ×4, first 2 shown]
	v_mov_b32_dpp v17, v16 row_bcast:15 row_mask:0xf bank_mask:0xf
	v_cndmask_b32_e64 v17, v17, 0, s[6:7]
	v_add_u32_e32 v16, v16, v17
	s_nop 1
	v_mov_b32_dpp v17, v16 row_bcast:31 row_mask:0xf bank_mask:0xf
	v_cndmask_b32_e64 v17, 0, v17, s[18:19]
	v_add_u32_e32 v16, v16, v17
	s_and_saveexec_b64 s[0:1], s[4:5]
	s_cbranch_execz .LBB498_70
; %bb.69:
	v_lshlrev_b32_e32 v17, 2, v36
	ds_write_b32 v17, v16
.LBB498_70:
	s_or_b64 exec, exec, s[0:1]
	v_cmp_gt_u32_e32 vcc, 8, v0
	s_waitcnt lgkmcnt(0)
	s_barrier
	s_and_saveexec_b64 s[0:1], vcc
	s_cbranch_execz .LBB498_72
; %bb.71:
	v_mad_i32_i24 v17, v0, -3, v35
	ds_read_b32 v20, v17
	v_and_b32_e32 v21, 7, v34
	v_cmp_ne_u32_e32 vcc, 0, v21
	s_waitcnt lgkmcnt(0)
	v_mov_b32_dpp v22, v20 row_shr:1 row_mask:0xf bank_mask:0xf
	v_cndmask_b32_e32 v22, 0, v22, vcc
	v_add_u32_e32 v20, v22, v20
	v_cmp_lt_u32_e32 vcc, 1, v21
	s_nop 0
	v_mov_b32_dpp v22, v20 row_shr:2 row_mask:0xf bank_mask:0xf
	v_cndmask_b32_e32 v22, 0, v22, vcc
	v_add_u32_e32 v20, v20, v22
	v_cmp_lt_u32_e32 vcc, 3, v21
	s_nop 0
	v_mov_b32_dpp v22, v20 row_shr:4 row_mask:0xf bank_mask:0xf
	v_cndmask_b32_e32 v21, 0, v22, vcc
	v_add_u32_e32 v20, v20, v21
	ds_write_b32 v17, v20
.LBB498_72:
	s_or_b64 exec, exec, s[0:1]
	v_cmp_lt_u32_e32 vcc, 63, v0
	v_mov_b32_e32 v17, 0
	v_mov_b32_e32 v20, 0
	s_waitcnt lgkmcnt(0)
	s_barrier
	s_and_saveexec_b64 s[0:1], vcc
	s_cbranch_execz .LBB498_74
; %bb.73:
	v_lshl_add_u32 v20, v36, 2, -4
	ds_read_b32 v20, v20
.LBB498_74:
	s_or_b64 exec, exec, s[0:1]
	v_add_u32_e32 v21, -1, v34
	v_and_b32_e32 v22, 64, v34
	v_cmp_lt_i32_e32 vcc, v21, v22
	s_waitcnt lgkmcnt(0)
	v_add_u32_e32 v16, v20, v16
	v_cndmask_b32_e32 v21, v21, v34, vcc
	v_lshlrev_b32_e32 v21, 2, v21
	ds_bpermute_b32 v21, v21, v16
	ds_read_b32 v16, v17 offset:28
	v_cmp_eq_u32_e32 vcc, 0, v0
	s_and_saveexec_b64 s[0:1], vcc
	s_cbranch_execz .LBB498_76
; %bb.75:
	v_mov_b32_e32 v22, 0
	v_mov_b32_e32 v17, 2
	s_waitcnt lgkmcnt(0)
	global_store_dwordx2 v22, v[16:17], s[36:37] offset:512 sc1
.LBB498_76:
	s_or_b64 exec, exec, s[0:1]
	v_cmp_eq_u32_e64 s[0:1], 0, v34
	v_mov_b32_e32 v22, 0
	s_waitcnt lgkmcnt(0)
	v_cndmask_b32_e64 v17, v21, v20, s[0:1]
	v_cndmask_b32_e64 v27, v17, 0, vcc
	v_add_u32_e32 v26, v27, v33
	v_add_u32_e32 v25, v26, v32
	;; [unrolled: 1-line block ×6, first 2 shown]
	s_barrier
.LBB498_77:
	v_add_u32_e32 v1, v16, v1
	v_sub_u32_e32 v17, v27, v22
	v_sub_u32_e32 v27, v1, v17
	v_cmp_eq_u32_e32 vcc, 1, v33
	s_add_u32 s0, s26, s24
	s_addc_u32 s1, s27, 0
	v_cndmask_b32_e32 v17, v27, v17, vcc
	v_lshlrev_b32_e32 v17, 3, v17
	ds_write_b64 v17, v[10:11]
	v_sub_u32_e32 v10, v26, v22
	v_sub_u32_e32 v11, v1, v10
	v_add_u32_e32 v11, 1, v11
	v_cmp_eq_u32_e32 vcc, 1, v32
	s_sub_u32 s0, s28, s0
	s_subb_u32 s1, s29, s1
	v_cndmask_b32_e32 v10, v11, v10, vcc
	v_lshlrev_b32_e32 v10, 3, v10
	ds_write_b64 v10, v[12:13]
	v_sub_u32_e32 v10, v25, v22
	v_sub_u32_e32 v11, v1, v10
	v_add_u32_e32 v11, 2, v11
	v_cmp_eq_u32_e32 vcc, 1, v31
	v_or_b32_e32 v32, 0x200, v0
	v_or_b32_e32 v26, 0x800, v0
	v_cndmask_b32_e32 v10, v11, v10, vcc
	v_lshlrev_b32_e32 v10, 3, v10
	ds_write_b64 v10, v[6:7]
	v_sub_u32_e32 v6, v23, v22
	v_sub_u32_e32 v7, v1, v6
	v_add_u32_e32 v7, 3, v7
	v_cmp_eq_u32_e32 vcc, 1, v30
	v_or_b32_e32 v30, 0x400, v0
	s_nop 0
	v_cndmask_b32_e32 v6, v7, v6, vcc
	v_lshlrev_b32_e32 v6, 3, v6
	ds_write_b64 v6, v[8:9]
	v_sub_u32_e32 v6, v24, v22
	v_sub_u32_e32 v7, v1, v6
	v_add_u32_e32 v7, 4, v7
	v_cmp_eq_u32_e32 vcc, 1, v29
	v_or_b32_e32 v24, 0xa00, v0
	s_nop 0
	;; [unrolled: 9-line block ×4, first 2 shown]
	v_cndmask_b32_e32 v1, v1, v2, vcc
	v_lshlrev_b32_e32 v1, 3, v1
	ds_write_b64 v1, v[14:15]
	s_waitcnt lgkmcnt(0)
	s_barrier
	ds_read2st64_b64 v[10:13], v18 offset1:8
	ds_read2st64_b64 v[6:9], v18 offset0:16 offset1:24
	ds_read2st64_b64 v[2:5], v18 offset0:32 offset1:40
	ds_read_b64 v[18:19], v18 offset:24576
	v_mov_b32_e32 v1, 0
	v_mov_b32_e32 v23, v1
	;; [unrolled: 1-line block ×3, first 2 shown]
	v_lshl_add_u64 v[14:15], s[30:31], 0, v[22:23]
	v_lshl_add_u64 v[22:23], s[0:1], 0, v[16:17]
	v_mov_b32_e32 v33, v1
	v_mov_b32_e32 v31, v1
	;; [unrolled: 1-line block ×6, first 2 shown]
	s_andn2_b64 vcc, exec, s[34:35]
	v_lshl_add_u64 v[22:23], v[22:23], 0, v[14:15]
	s_cbranch_vccnz .LBB498_107
; %bb.78:
	v_cmp_ge_u32_e32 vcc, v0, v16
                                        ; implicit-def: $vgpr34_vgpr35
	s_and_saveexec_b64 s[0:1], vcc
	s_xor_b64 s[0:1], exec, s[0:1]
; %bb.79:
	v_not_b32_e32 v34, v0
	v_ashrrev_i32_e32 v35, 31, v34
	v_lshl_add_u64 v[34:35], v[22:23], 0, v[34:35]
; %bb.80:
	s_andn2_saveexec_b64 s[0:1], s[0:1]
; %bb.81:
	v_lshl_add_u64 v[34:35], v[14:15], 0, v[0:1]
; %bb.82:
	s_or_b64 exec, exec, s[0:1]
	v_lshl_add_u64 v[34:35], v[34:35], 3, s[2:3]
	v_cmp_ge_u32_e32 vcc, v32, v16
	s_waitcnt lgkmcnt(3)
	global_store_dwordx2 v[34:35], v[10:11], off
                                        ; implicit-def: $vgpr34_vgpr35
	s_and_saveexec_b64 s[0:1], vcc
	s_xor_b64 s[0:1], exec, s[0:1]
; %bb.83:
	v_xor_b32_e32 v34, 0xfffffdff, v0
	v_ashrrev_i32_e32 v35, 31, v34
	v_lshl_add_u64 v[34:35], v[22:23], 0, v[34:35]
; %bb.84:
	s_andn2_saveexec_b64 s[0:1], s[0:1]
; %bb.85:
	v_lshl_add_u64 v[34:35], v[14:15], 0, v[32:33]
; %bb.86:
	s_or_b64 exec, exec, s[0:1]
	v_lshl_add_u64 v[34:35], v[34:35], 3, s[2:3]
	v_cmp_ge_u32_e32 vcc, v30, v16
	global_store_dwordx2 v[34:35], v[12:13], off
                                        ; implicit-def: $vgpr34_vgpr35
	s_and_saveexec_b64 s[0:1], vcc
	s_xor_b64 s[0:1], exec, s[0:1]
; %bb.87:
	v_xor_b32_e32 v34, 0xfffffbff, v0
	v_ashrrev_i32_e32 v35, 31, v34
	v_lshl_add_u64 v[34:35], v[22:23], 0, v[34:35]
; %bb.88:
	s_andn2_saveexec_b64 s[0:1], s[0:1]
; %bb.89:
	v_lshl_add_u64 v[34:35], v[14:15], 0, v[30:31]
; %bb.90:
	s_or_b64 exec, exec, s[0:1]
	v_lshl_add_u64 v[34:35], v[34:35], 3, s[2:3]
	v_cmp_ge_u32_e32 vcc, v28, v16
	s_waitcnt lgkmcnt(2)
	global_store_dwordx2 v[34:35], v[6:7], off
                                        ; implicit-def: $vgpr34_vgpr35
	s_and_saveexec_b64 s[0:1], vcc
	s_xor_b64 s[0:1], exec, s[0:1]
; %bb.91:
	v_xor_b32_e32 v34, 0xfffff9ff, v0
	v_ashrrev_i32_e32 v35, 31, v34
	v_lshl_add_u64 v[34:35], v[22:23], 0, v[34:35]
; %bb.92:
	s_andn2_saveexec_b64 s[0:1], s[0:1]
; %bb.93:
	v_lshl_add_u64 v[34:35], v[14:15], 0, v[28:29]
; %bb.94:
	s_or_b64 exec, exec, s[0:1]
	v_lshl_add_u64 v[34:35], v[34:35], 3, s[2:3]
	v_cmp_ge_u32_e32 vcc, v26, v16
	global_store_dwordx2 v[34:35], v[8:9], off
                                        ; implicit-def: $vgpr34_vgpr35
	s_and_saveexec_b64 s[0:1], vcc
	s_xor_b64 s[0:1], exec, s[0:1]
; %bb.95:
	v_xor_b32_e32 v34, 0xfffff7ff, v0
	;; [unrolled: 33-line block ×3, first 2 shown]
	v_ashrrev_i32_e32 v35, 31, v34
	v_lshl_add_u64 v[34:35], v[22:23], 0, v[34:35]
; %bb.104:
	s_andn2_saveexec_b64 s[0:1], s[0:1]
; %bb.105:
	v_lshl_add_u64 v[34:35], v[14:15], 0, v[20:21]
; %bb.106:
	s_or_b64 exec, exec, s[0:1]
	s_mov_b64 s[0:1], -1
	s_branch .LBB498_151
.LBB498_107:
	s_mov_b64 s[0:1], 0
                                        ; implicit-def: $vgpr34_vgpr35
	s_cbranch_execz .LBB498_151
; %bb.108:
	v_cmp_gt_u32_e32 vcc, s33, v0
	s_and_saveexec_b64 s[4:5], vcc
	s_cbranch_execz .LBB498_126
; %bb.109:
	v_cmp_ge_u32_e32 vcc, v0, v16
                                        ; implicit-def: $vgpr34_vgpr35
	s_and_saveexec_b64 s[6:7], vcc
	s_xor_b64 s[6:7], exec, s[6:7]
; %bb.110:
	v_not_b32_e32 v34, v0
	v_ashrrev_i32_e32 v35, 31, v34
	v_lshl_add_u64 v[34:35], v[22:23], 0, v[34:35]
; %bb.111:
	s_andn2_saveexec_b64 s[6:7], s[6:7]
; %bb.112:
	v_lshl_add_u64 v[34:35], v[14:15], 0, v[0:1]
; %bb.113:
	s_or_b64 exec, exec, s[6:7]
	v_lshl_add_u64 v[34:35], v[34:35], 3, s[2:3]
	s_waitcnt lgkmcnt(3)
	global_store_dwordx2 v[34:35], v[10:11], off
	s_or_b64 exec, exec, s[4:5]
	v_cmp_gt_u32_e32 vcc, s33, v32
	s_and_saveexec_b64 s[4:5], vcc
	s_cbranch_execnz .LBB498_127
.LBB498_114:
	s_or_b64 exec, exec, s[4:5]
	v_cmp_gt_u32_e32 vcc, s33, v30
	s_and_saveexec_b64 s[4:5], vcc
	s_cbranch_execz .LBB498_132
.LBB498_115:
	v_cmp_ge_u32_e32 vcc, v30, v16
                                        ; implicit-def: $vgpr10_vgpr11
	s_and_saveexec_b64 s[6:7], vcc
	s_xor_b64 s[6:7], exec, s[6:7]
	s_cbranch_execz .LBB498_117
; %bb.116:
	s_waitcnt lgkmcnt(3)
	v_xor_b32_e32 v10, 0xfffffbff, v0
	v_ashrrev_i32_e32 v11, 31, v10
	v_lshl_add_u64 v[10:11], v[22:23], 0, v[10:11]
                                        ; implicit-def: $vgpr30_vgpr31
.LBB498_117:
	s_andn2_saveexec_b64 s[6:7], s[6:7]
	s_cbranch_execz .LBB498_119
; %bb.118:
	s_waitcnt lgkmcnt(3)
	v_lshl_add_u64 v[10:11], v[14:15], 0, v[30:31]
.LBB498_119:
	s_or_b64 exec, exec, s[6:7]
	s_waitcnt lgkmcnt(3)
	v_lshl_add_u64 v[10:11], v[10:11], 3, s[2:3]
	s_waitcnt lgkmcnt(2)
	global_store_dwordx2 v[10:11], v[6:7], off
	s_or_b64 exec, exec, s[4:5]
	v_cmp_gt_u32_e32 vcc, s33, v28
	s_and_saveexec_b64 s[4:5], vcc
	s_cbranch_execnz .LBB498_133
.LBB498_120:
	s_or_b64 exec, exec, s[4:5]
	v_cmp_gt_u32_e32 vcc, s33, v26
	s_and_saveexec_b64 s[4:5], vcc
	s_cbranch_execz .LBB498_138
.LBB498_121:
	v_cmp_ge_u32_e32 vcc, v26, v16
                                        ; implicit-def: $vgpr6_vgpr7
	s_and_saveexec_b64 s[6:7], vcc
	s_xor_b64 s[6:7], exec, s[6:7]
	s_cbranch_execz .LBB498_123
; %bb.122:
	s_waitcnt lgkmcnt(2)
	v_xor_b32_e32 v6, 0xfffff7ff, v0
	v_ashrrev_i32_e32 v7, 31, v6
	v_lshl_add_u64 v[6:7], v[22:23], 0, v[6:7]
                                        ; implicit-def: $vgpr26_vgpr27
.LBB498_123:
	s_andn2_saveexec_b64 s[6:7], s[6:7]
	s_cbranch_execz .LBB498_125
; %bb.124:
	s_waitcnt lgkmcnt(2)
	v_lshl_add_u64 v[6:7], v[14:15], 0, v[26:27]
.LBB498_125:
	s_or_b64 exec, exec, s[6:7]
	s_waitcnt lgkmcnt(2)
	v_lshl_add_u64 v[6:7], v[6:7], 3, s[2:3]
	s_waitcnt lgkmcnt(1)
	global_store_dwordx2 v[6:7], v[2:3], off
	s_or_b64 exec, exec, s[4:5]
	v_cmp_gt_u32_e32 vcc, s33, v24
	s_and_saveexec_b64 s[4:5], vcc
	s_cbranch_execz .LBB498_144
	s_branch .LBB498_139
.LBB498_126:
	s_or_b64 exec, exec, s[4:5]
	v_cmp_gt_u32_e32 vcc, s33, v32
	s_and_saveexec_b64 s[4:5], vcc
	s_cbranch_execz .LBB498_114
.LBB498_127:
	v_cmp_ge_u32_e32 vcc, v32, v16
                                        ; implicit-def: $vgpr10_vgpr11
	s_and_saveexec_b64 s[6:7], vcc
	s_xor_b64 s[6:7], exec, s[6:7]
	s_cbranch_execz .LBB498_129
; %bb.128:
	s_waitcnt lgkmcnt(3)
	v_xor_b32_e32 v10, 0xfffffdff, v0
	v_ashrrev_i32_e32 v11, 31, v10
	v_lshl_add_u64 v[10:11], v[22:23], 0, v[10:11]
                                        ; implicit-def: $vgpr32_vgpr33
.LBB498_129:
	s_andn2_saveexec_b64 s[6:7], s[6:7]
	s_cbranch_execz .LBB498_131
; %bb.130:
	s_waitcnt lgkmcnt(3)
	v_lshl_add_u64 v[10:11], v[14:15], 0, v[32:33]
.LBB498_131:
	s_or_b64 exec, exec, s[6:7]
	s_waitcnt lgkmcnt(3)
	v_lshl_add_u64 v[10:11], v[10:11], 3, s[2:3]
	global_store_dwordx2 v[10:11], v[12:13], off
	s_or_b64 exec, exec, s[4:5]
	v_cmp_gt_u32_e32 vcc, s33, v30
	s_and_saveexec_b64 s[4:5], vcc
	s_cbranch_execnz .LBB498_115
.LBB498_132:
	s_or_b64 exec, exec, s[4:5]
	v_cmp_gt_u32_e32 vcc, s33, v28
	s_and_saveexec_b64 s[4:5], vcc
	s_cbranch_execz .LBB498_120
.LBB498_133:
	v_cmp_ge_u32_e32 vcc, v28, v16
                                        ; implicit-def: $vgpr6_vgpr7
	s_and_saveexec_b64 s[6:7], vcc
	s_xor_b64 s[6:7], exec, s[6:7]
	s_cbranch_execz .LBB498_135
; %bb.134:
	s_waitcnt lgkmcnt(2)
	v_xor_b32_e32 v6, 0xfffff9ff, v0
	v_ashrrev_i32_e32 v7, 31, v6
	v_lshl_add_u64 v[6:7], v[22:23], 0, v[6:7]
                                        ; implicit-def: $vgpr28_vgpr29
.LBB498_135:
	s_andn2_saveexec_b64 s[6:7], s[6:7]
	s_cbranch_execz .LBB498_137
; %bb.136:
	s_waitcnt lgkmcnt(2)
	v_lshl_add_u64 v[6:7], v[14:15], 0, v[28:29]
.LBB498_137:
	s_or_b64 exec, exec, s[6:7]
	s_waitcnt lgkmcnt(2)
	v_lshl_add_u64 v[6:7], v[6:7], 3, s[2:3]
	global_store_dwordx2 v[6:7], v[8:9], off
	s_or_b64 exec, exec, s[4:5]
	v_cmp_gt_u32_e32 vcc, s33, v26
	s_and_saveexec_b64 s[4:5], vcc
	s_cbranch_execnz .LBB498_121
.LBB498_138:
	s_or_b64 exec, exec, s[4:5]
	v_cmp_gt_u32_e32 vcc, s33, v24
	s_and_saveexec_b64 s[4:5], vcc
	s_cbranch_execz .LBB498_144
.LBB498_139:
	v_cmp_ge_u32_e32 vcc, v24, v16
                                        ; implicit-def: $vgpr2_vgpr3
	s_and_saveexec_b64 s[6:7], vcc
	s_xor_b64 s[6:7], exec, s[6:7]
	s_cbranch_execz .LBB498_141
; %bb.140:
	s_waitcnt lgkmcnt(1)
	v_xor_b32_e32 v2, 0xfffff5ff, v0
	v_ashrrev_i32_e32 v3, 31, v2
	v_lshl_add_u64 v[2:3], v[22:23], 0, v[2:3]
                                        ; implicit-def: $vgpr24_vgpr25
.LBB498_141:
	s_andn2_saveexec_b64 s[6:7], s[6:7]
	s_cbranch_execz .LBB498_143
; %bb.142:
	s_waitcnt lgkmcnt(1)
	v_lshl_add_u64 v[2:3], v[14:15], 0, v[24:25]
.LBB498_143:
	s_or_b64 exec, exec, s[6:7]
	s_waitcnt lgkmcnt(1)
	v_lshl_add_u64 v[2:3], v[2:3], 3, s[2:3]
	global_store_dwordx2 v[2:3], v[4:5], off
.LBB498_144:
	s_or_b64 exec, exec, s[4:5]
	v_cmp_gt_u32_e32 vcc, s33, v20
                                        ; implicit-def: $vgpr34_vgpr35
	s_and_saveexec_b64 s[4:5], vcc
	s_cbranch_execz .LBB498_150
; %bb.145:
	v_cmp_ge_u32_e32 vcc, v20, v16
                                        ; implicit-def: $vgpr34_vgpr35
	s_and_saveexec_b64 s[6:7], vcc
	s_xor_b64 s[6:7], exec, s[6:7]
	s_cbranch_execz .LBB498_147
; %bb.146:
	s_waitcnt lgkmcnt(1)
	v_xor_b32_e32 v2, 0xfffff3ff, v0
	v_ashrrev_i32_e32 v3, 31, v2
	v_lshl_add_u64 v[34:35], v[22:23], 0, v[2:3]
                                        ; implicit-def: $vgpr20_vgpr21
.LBB498_147:
	s_andn2_saveexec_b64 s[6:7], s[6:7]
; %bb.148:
	v_lshl_add_u64 v[34:35], v[14:15], 0, v[20:21]
; %bb.149:
	s_or_b64 exec, exec, s[6:7]
	s_or_b64 s[0:1], s[0:1], exec
.LBB498_150:
	s_or_b64 exec, exec, s[4:5]
.LBB498_151:
	s_and_saveexec_b64 s[4:5], s[0:1]
	s_cbranch_execz .LBB498_153
; %bb.152:
	s_waitcnt lgkmcnt(1)
	v_lshl_add_u64 v[2:3], v[34:35], 3, s[2:3]
	s_waitcnt lgkmcnt(0)
	global_store_dwordx2 v[2:3], v[18:19], off
.LBB498_153:
	s_or_b64 exec, exec, s[4:5]
	v_cmp_eq_u32_e32 vcc, 0, v0
	s_and_b64 s[0:1], vcc, s[22:23]
	s_and_saveexec_b64 s[2:3], s[0:1]
	s_cbranch_execz .LBB498_155
; %bb.154:
	s_waitcnt lgkmcnt(1)
	v_mov_b32_e32 v2, 0
	v_lshl_add_u64 v[0:1], v[14:15], 0, v[16:17]
	global_store_dwordx2 v2, v[0:1], s[20:21]
.LBB498_155:
	s_endpgm
	.section	.rodata,"a",@progbits
	.p2align	6, 0x0
	.amdhsa_kernel _ZN7rocprim17ROCPRIM_400000_NS6detail17trampoline_kernelINS0_14default_configENS1_25partition_config_selectorILNS1_17partition_subalgoE2ExNS0_10empty_typeEbEEZZNS1_14partition_implILS5_2ELb0ES3_jN6thrust23THRUST_200600_302600_NS6detail15normal_iteratorINSA_7pointerIxNSA_11hip_rocprim3tagENSA_11use_defaultESG_EEEEPS6_NSA_18transform_iteratorINSA_8identityIxEENSC_INSA_10device_ptrIxEEEESG_SG_EENS0_5tupleIJPxSJ_EEENSR_IJSJ_SJ_EEES6_PlJS6_EEE10hipError_tPvRmT3_T4_T5_T6_T7_T9_mT8_P12ihipStream_tbDpT10_ENKUlT_T0_E_clISt17integral_constantIbLb1EES1E_IbLb0EEEEDaS1A_S1B_EUlS1A_E_NS1_11comp_targetILNS1_3genE5ELNS1_11target_archE942ELNS1_3gpuE9ELNS1_3repE0EEENS1_30default_config_static_selectorELNS0_4arch9wavefront6targetE1EEEvT1_
		.amdhsa_group_segment_fixed_size 28680
		.amdhsa_private_segment_fixed_size 0
		.amdhsa_kernarg_size 128
		.amdhsa_user_sgpr_count 2
		.amdhsa_user_sgpr_dispatch_ptr 0
		.amdhsa_user_sgpr_queue_ptr 0
		.amdhsa_user_sgpr_kernarg_segment_ptr 1
		.amdhsa_user_sgpr_dispatch_id 0
		.amdhsa_user_sgpr_kernarg_preload_length 0
		.amdhsa_user_sgpr_kernarg_preload_offset 0
		.amdhsa_user_sgpr_private_segment_size 0
		.amdhsa_uses_dynamic_stack 0
		.amdhsa_enable_private_segment 0
		.amdhsa_system_sgpr_workgroup_id_x 1
		.amdhsa_system_sgpr_workgroup_id_y 0
		.amdhsa_system_sgpr_workgroup_id_z 0
		.amdhsa_system_sgpr_workgroup_info 0
		.amdhsa_system_vgpr_workitem_id 0
		.amdhsa_next_free_vgpr 54
		.amdhsa_next_free_sgpr 46
		.amdhsa_accum_offset 56
		.amdhsa_reserve_vcc 1
		.amdhsa_float_round_mode_32 0
		.amdhsa_float_round_mode_16_64 0
		.amdhsa_float_denorm_mode_32 3
		.amdhsa_float_denorm_mode_16_64 3
		.amdhsa_dx10_clamp 1
		.amdhsa_ieee_mode 1
		.amdhsa_fp16_overflow 0
		.amdhsa_tg_split 0
		.amdhsa_exception_fp_ieee_invalid_op 0
		.amdhsa_exception_fp_denorm_src 0
		.amdhsa_exception_fp_ieee_div_zero 0
		.amdhsa_exception_fp_ieee_overflow 0
		.amdhsa_exception_fp_ieee_underflow 0
		.amdhsa_exception_fp_ieee_inexact 0
		.amdhsa_exception_int_div_zero 0
	.end_amdhsa_kernel
	.section	.text._ZN7rocprim17ROCPRIM_400000_NS6detail17trampoline_kernelINS0_14default_configENS1_25partition_config_selectorILNS1_17partition_subalgoE2ExNS0_10empty_typeEbEEZZNS1_14partition_implILS5_2ELb0ES3_jN6thrust23THRUST_200600_302600_NS6detail15normal_iteratorINSA_7pointerIxNSA_11hip_rocprim3tagENSA_11use_defaultESG_EEEEPS6_NSA_18transform_iteratorINSA_8identityIxEENSC_INSA_10device_ptrIxEEEESG_SG_EENS0_5tupleIJPxSJ_EEENSR_IJSJ_SJ_EEES6_PlJS6_EEE10hipError_tPvRmT3_T4_T5_T6_T7_T9_mT8_P12ihipStream_tbDpT10_ENKUlT_T0_E_clISt17integral_constantIbLb1EES1E_IbLb0EEEEDaS1A_S1B_EUlS1A_E_NS1_11comp_targetILNS1_3genE5ELNS1_11target_archE942ELNS1_3gpuE9ELNS1_3repE0EEENS1_30default_config_static_selectorELNS0_4arch9wavefront6targetE1EEEvT1_,"axG",@progbits,_ZN7rocprim17ROCPRIM_400000_NS6detail17trampoline_kernelINS0_14default_configENS1_25partition_config_selectorILNS1_17partition_subalgoE2ExNS0_10empty_typeEbEEZZNS1_14partition_implILS5_2ELb0ES3_jN6thrust23THRUST_200600_302600_NS6detail15normal_iteratorINSA_7pointerIxNSA_11hip_rocprim3tagENSA_11use_defaultESG_EEEEPS6_NSA_18transform_iteratorINSA_8identityIxEENSC_INSA_10device_ptrIxEEEESG_SG_EENS0_5tupleIJPxSJ_EEENSR_IJSJ_SJ_EEES6_PlJS6_EEE10hipError_tPvRmT3_T4_T5_T6_T7_T9_mT8_P12ihipStream_tbDpT10_ENKUlT_T0_E_clISt17integral_constantIbLb1EES1E_IbLb0EEEEDaS1A_S1B_EUlS1A_E_NS1_11comp_targetILNS1_3genE5ELNS1_11target_archE942ELNS1_3gpuE9ELNS1_3repE0EEENS1_30default_config_static_selectorELNS0_4arch9wavefront6targetE1EEEvT1_,comdat
.Lfunc_end498:
	.size	_ZN7rocprim17ROCPRIM_400000_NS6detail17trampoline_kernelINS0_14default_configENS1_25partition_config_selectorILNS1_17partition_subalgoE2ExNS0_10empty_typeEbEEZZNS1_14partition_implILS5_2ELb0ES3_jN6thrust23THRUST_200600_302600_NS6detail15normal_iteratorINSA_7pointerIxNSA_11hip_rocprim3tagENSA_11use_defaultESG_EEEEPS6_NSA_18transform_iteratorINSA_8identityIxEENSC_INSA_10device_ptrIxEEEESG_SG_EENS0_5tupleIJPxSJ_EEENSR_IJSJ_SJ_EEES6_PlJS6_EEE10hipError_tPvRmT3_T4_T5_T6_T7_T9_mT8_P12ihipStream_tbDpT10_ENKUlT_T0_E_clISt17integral_constantIbLb1EES1E_IbLb0EEEEDaS1A_S1B_EUlS1A_E_NS1_11comp_targetILNS1_3genE5ELNS1_11target_archE942ELNS1_3gpuE9ELNS1_3repE0EEENS1_30default_config_static_selectorELNS0_4arch9wavefront6targetE1EEEvT1_, .Lfunc_end498-_ZN7rocprim17ROCPRIM_400000_NS6detail17trampoline_kernelINS0_14default_configENS1_25partition_config_selectorILNS1_17partition_subalgoE2ExNS0_10empty_typeEbEEZZNS1_14partition_implILS5_2ELb0ES3_jN6thrust23THRUST_200600_302600_NS6detail15normal_iteratorINSA_7pointerIxNSA_11hip_rocprim3tagENSA_11use_defaultESG_EEEEPS6_NSA_18transform_iteratorINSA_8identityIxEENSC_INSA_10device_ptrIxEEEESG_SG_EENS0_5tupleIJPxSJ_EEENSR_IJSJ_SJ_EEES6_PlJS6_EEE10hipError_tPvRmT3_T4_T5_T6_T7_T9_mT8_P12ihipStream_tbDpT10_ENKUlT_T0_E_clISt17integral_constantIbLb1EES1E_IbLb0EEEEDaS1A_S1B_EUlS1A_E_NS1_11comp_targetILNS1_3genE5ELNS1_11target_archE942ELNS1_3gpuE9ELNS1_3repE0EEENS1_30default_config_static_selectorELNS0_4arch9wavefront6targetE1EEEvT1_
                                        ; -- End function
	.section	.AMDGPU.csdata,"",@progbits
; Kernel info:
; codeLenInByte = 5688
; NumSgprs: 52
; NumVgprs: 54
; NumAgprs: 0
; TotalNumVgprs: 54
; ScratchSize: 0
; MemoryBound: 0
; FloatMode: 240
; IeeeMode: 1
; LDSByteSize: 28680 bytes/workgroup (compile time only)
; SGPRBlocks: 6
; VGPRBlocks: 6
; NumSGPRsForWavesPerEU: 52
; NumVGPRsForWavesPerEU: 54
; AccumOffset: 56
; Occupancy: 4
; WaveLimiterHint : 1
; COMPUTE_PGM_RSRC2:SCRATCH_EN: 0
; COMPUTE_PGM_RSRC2:USER_SGPR: 2
; COMPUTE_PGM_RSRC2:TRAP_HANDLER: 0
; COMPUTE_PGM_RSRC2:TGID_X_EN: 1
; COMPUTE_PGM_RSRC2:TGID_Y_EN: 0
; COMPUTE_PGM_RSRC2:TGID_Z_EN: 0
; COMPUTE_PGM_RSRC2:TIDIG_COMP_CNT: 0
; COMPUTE_PGM_RSRC3_GFX90A:ACCUM_OFFSET: 13
; COMPUTE_PGM_RSRC3_GFX90A:TG_SPLIT: 0
	.section	.text._ZN7rocprim17ROCPRIM_400000_NS6detail17trampoline_kernelINS0_14default_configENS1_25partition_config_selectorILNS1_17partition_subalgoE2ExNS0_10empty_typeEbEEZZNS1_14partition_implILS5_2ELb0ES3_jN6thrust23THRUST_200600_302600_NS6detail15normal_iteratorINSA_7pointerIxNSA_11hip_rocprim3tagENSA_11use_defaultESG_EEEEPS6_NSA_18transform_iteratorINSA_8identityIxEENSC_INSA_10device_ptrIxEEEESG_SG_EENS0_5tupleIJPxSJ_EEENSR_IJSJ_SJ_EEES6_PlJS6_EEE10hipError_tPvRmT3_T4_T5_T6_T7_T9_mT8_P12ihipStream_tbDpT10_ENKUlT_T0_E_clISt17integral_constantIbLb1EES1E_IbLb0EEEEDaS1A_S1B_EUlS1A_E_NS1_11comp_targetILNS1_3genE4ELNS1_11target_archE910ELNS1_3gpuE8ELNS1_3repE0EEENS1_30default_config_static_selectorELNS0_4arch9wavefront6targetE1EEEvT1_,"axG",@progbits,_ZN7rocprim17ROCPRIM_400000_NS6detail17trampoline_kernelINS0_14default_configENS1_25partition_config_selectorILNS1_17partition_subalgoE2ExNS0_10empty_typeEbEEZZNS1_14partition_implILS5_2ELb0ES3_jN6thrust23THRUST_200600_302600_NS6detail15normal_iteratorINSA_7pointerIxNSA_11hip_rocprim3tagENSA_11use_defaultESG_EEEEPS6_NSA_18transform_iteratorINSA_8identityIxEENSC_INSA_10device_ptrIxEEEESG_SG_EENS0_5tupleIJPxSJ_EEENSR_IJSJ_SJ_EEES6_PlJS6_EEE10hipError_tPvRmT3_T4_T5_T6_T7_T9_mT8_P12ihipStream_tbDpT10_ENKUlT_T0_E_clISt17integral_constantIbLb1EES1E_IbLb0EEEEDaS1A_S1B_EUlS1A_E_NS1_11comp_targetILNS1_3genE4ELNS1_11target_archE910ELNS1_3gpuE8ELNS1_3repE0EEENS1_30default_config_static_selectorELNS0_4arch9wavefront6targetE1EEEvT1_,comdat
	.protected	_ZN7rocprim17ROCPRIM_400000_NS6detail17trampoline_kernelINS0_14default_configENS1_25partition_config_selectorILNS1_17partition_subalgoE2ExNS0_10empty_typeEbEEZZNS1_14partition_implILS5_2ELb0ES3_jN6thrust23THRUST_200600_302600_NS6detail15normal_iteratorINSA_7pointerIxNSA_11hip_rocprim3tagENSA_11use_defaultESG_EEEEPS6_NSA_18transform_iteratorINSA_8identityIxEENSC_INSA_10device_ptrIxEEEESG_SG_EENS0_5tupleIJPxSJ_EEENSR_IJSJ_SJ_EEES6_PlJS6_EEE10hipError_tPvRmT3_T4_T5_T6_T7_T9_mT8_P12ihipStream_tbDpT10_ENKUlT_T0_E_clISt17integral_constantIbLb1EES1E_IbLb0EEEEDaS1A_S1B_EUlS1A_E_NS1_11comp_targetILNS1_3genE4ELNS1_11target_archE910ELNS1_3gpuE8ELNS1_3repE0EEENS1_30default_config_static_selectorELNS0_4arch9wavefront6targetE1EEEvT1_ ; -- Begin function _ZN7rocprim17ROCPRIM_400000_NS6detail17trampoline_kernelINS0_14default_configENS1_25partition_config_selectorILNS1_17partition_subalgoE2ExNS0_10empty_typeEbEEZZNS1_14partition_implILS5_2ELb0ES3_jN6thrust23THRUST_200600_302600_NS6detail15normal_iteratorINSA_7pointerIxNSA_11hip_rocprim3tagENSA_11use_defaultESG_EEEEPS6_NSA_18transform_iteratorINSA_8identityIxEENSC_INSA_10device_ptrIxEEEESG_SG_EENS0_5tupleIJPxSJ_EEENSR_IJSJ_SJ_EEES6_PlJS6_EEE10hipError_tPvRmT3_T4_T5_T6_T7_T9_mT8_P12ihipStream_tbDpT10_ENKUlT_T0_E_clISt17integral_constantIbLb1EES1E_IbLb0EEEEDaS1A_S1B_EUlS1A_E_NS1_11comp_targetILNS1_3genE4ELNS1_11target_archE910ELNS1_3gpuE8ELNS1_3repE0EEENS1_30default_config_static_selectorELNS0_4arch9wavefront6targetE1EEEvT1_
	.globl	_ZN7rocprim17ROCPRIM_400000_NS6detail17trampoline_kernelINS0_14default_configENS1_25partition_config_selectorILNS1_17partition_subalgoE2ExNS0_10empty_typeEbEEZZNS1_14partition_implILS5_2ELb0ES3_jN6thrust23THRUST_200600_302600_NS6detail15normal_iteratorINSA_7pointerIxNSA_11hip_rocprim3tagENSA_11use_defaultESG_EEEEPS6_NSA_18transform_iteratorINSA_8identityIxEENSC_INSA_10device_ptrIxEEEESG_SG_EENS0_5tupleIJPxSJ_EEENSR_IJSJ_SJ_EEES6_PlJS6_EEE10hipError_tPvRmT3_T4_T5_T6_T7_T9_mT8_P12ihipStream_tbDpT10_ENKUlT_T0_E_clISt17integral_constantIbLb1EES1E_IbLb0EEEEDaS1A_S1B_EUlS1A_E_NS1_11comp_targetILNS1_3genE4ELNS1_11target_archE910ELNS1_3gpuE8ELNS1_3repE0EEENS1_30default_config_static_selectorELNS0_4arch9wavefront6targetE1EEEvT1_
	.p2align	8
	.type	_ZN7rocprim17ROCPRIM_400000_NS6detail17trampoline_kernelINS0_14default_configENS1_25partition_config_selectorILNS1_17partition_subalgoE2ExNS0_10empty_typeEbEEZZNS1_14partition_implILS5_2ELb0ES3_jN6thrust23THRUST_200600_302600_NS6detail15normal_iteratorINSA_7pointerIxNSA_11hip_rocprim3tagENSA_11use_defaultESG_EEEEPS6_NSA_18transform_iteratorINSA_8identityIxEENSC_INSA_10device_ptrIxEEEESG_SG_EENS0_5tupleIJPxSJ_EEENSR_IJSJ_SJ_EEES6_PlJS6_EEE10hipError_tPvRmT3_T4_T5_T6_T7_T9_mT8_P12ihipStream_tbDpT10_ENKUlT_T0_E_clISt17integral_constantIbLb1EES1E_IbLb0EEEEDaS1A_S1B_EUlS1A_E_NS1_11comp_targetILNS1_3genE4ELNS1_11target_archE910ELNS1_3gpuE8ELNS1_3repE0EEENS1_30default_config_static_selectorELNS0_4arch9wavefront6targetE1EEEvT1_,@function
_ZN7rocprim17ROCPRIM_400000_NS6detail17trampoline_kernelINS0_14default_configENS1_25partition_config_selectorILNS1_17partition_subalgoE2ExNS0_10empty_typeEbEEZZNS1_14partition_implILS5_2ELb0ES3_jN6thrust23THRUST_200600_302600_NS6detail15normal_iteratorINSA_7pointerIxNSA_11hip_rocprim3tagENSA_11use_defaultESG_EEEEPS6_NSA_18transform_iteratorINSA_8identityIxEENSC_INSA_10device_ptrIxEEEESG_SG_EENS0_5tupleIJPxSJ_EEENSR_IJSJ_SJ_EEES6_PlJS6_EEE10hipError_tPvRmT3_T4_T5_T6_T7_T9_mT8_P12ihipStream_tbDpT10_ENKUlT_T0_E_clISt17integral_constantIbLb1EES1E_IbLb0EEEEDaS1A_S1B_EUlS1A_E_NS1_11comp_targetILNS1_3genE4ELNS1_11target_archE910ELNS1_3gpuE8ELNS1_3repE0EEENS1_30default_config_static_selectorELNS0_4arch9wavefront6targetE1EEEvT1_: ; @_ZN7rocprim17ROCPRIM_400000_NS6detail17trampoline_kernelINS0_14default_configENS1_25partition_config_selectorILNS1_17partition_subalgoE2ExNS0_10empty_typeEbEEZZNS1_14partition_implILS5_2ELb0ES3_jN6thrust23THRUST_200600_302600_NS6detail15normal_iteratorINSA_7pointerIxNSA_11hip_rocprim3tagENSA_11use_defaultESG_EEEEPS6_NSA_18transform_iteratorINSA_8identityIxEENSC_INSA_10device_ptrIxEEEESG_SG_EENS0_5tupleIJPxSJ_EEENSR_IJSJ_SJ_EEES6_PlJS6_EEE10hipError_tPvRmT3_T4_T5_T6_T7_T9_mT8_P12ihipStream_tbDpT10_ENKUlT_T0_E_clISt17integral_constantIbLb1EES1E_IbLb0EEEEDaS1A_S1B_EUlS1A_E_NS1_11comp_targetILNS1_3genE4ELNS1_11target_archE910ELNS1_3gpuE8ELNS1_3repE0EEENS1_30default_config_static_selectorELNS0_4arch9wavefront6targetE1EEEvT1_
; %bb.0:
	.section	.rodata,"a",@progbits
	.p2align	6, 0x0
	.amdhsa_kernel _ZN7rocprim17ROCPRIM_400000_NS6detail17trampoline_kernelINS0_14default_configENS1_25partition_config_selectorILNS1_17partition_subalgoE2ExNS0_10empty_typeEbEEZZNS1_14partition_implILS5_2ELb0ES3_jN6thrust23THRUST_200600_302600_NS6detail15normal_iteratorINSA_7pointerIxNSA_11hip_rocprim3tagENSA_11use_defaultESG_EEEEPS6_NSA_18transform_iteratorINSA_8identityIxEENSC_INSA_10device_ptrIxEEEESG_SG_EENS0_5tupleIJPxSJ_EEENSR_IJSJ_SJ_EEES6_PlJS6_EEE10hipError_tPvRmT3_T4_T5_T6_T7_T9_mT8_P12ihipStream_tbDpT10_ENKUlT_T0_E_clISt17integral_constantIbLb1EES1E_IbLb0EEEEDaS1A_S1B_EUlS1A_E_NS1_11comp_targetILNS1_3genE4ELNS1_11target_archE910ELNS1_3gpuE8ELNS1_3repE0EEENS1_30default_config_static_selectorELNS0_4arch9wavefront6targetE1EEEvT1_
		.amdhsa_group_segment_fixed_size 0
		.amdhsa_private_segment_fixed_size 0
		.amdhsa_kernarg_size 128
		.amdhsa_user_sgpr_count 2
		.amdhsa_user_sgpr_dispatch_ptr 0
		.amdhsa_user_sgpr_queue_ptr 0
		.amdhsa_user_sgpr_kernarg_segment_ptr 1
		.amdhsa_user_sgpr_dispatch_id 0
		.amdhsa_user_sgpr_kernarg_preload_length 0
		.amdhsa_user_sgpr_kernarg_preload_offset 0
		.amdhsa_user_sgpr_private_segment_size 0
		.amdhsa_uses_dynamic_stack 0
		.amdhsa_enable_private_segment 0
		.amdhsa_system_sgpr_workgroup_id_x 1
		.amdhsa_system_sgpr_workgroup_id_y 0
		.amdhsa_system_sgpr_workgroup_id_z 0
		.amdhsa_system_sgpr_workgroup_info 0
		.amdhsa_system_vgpr_workitem_id 0
		.amdhsa_next_free_vgpr 1
		.amdhsa_next_free_sgpr 0
		.amdhsa_accum_offset 4
		.amdhsa_reserve_vcc 0
		.amdhsa_float_round_mode_32 0
		.amdhsa_float_round_mode_16_64 0
		.amdhsa_float_denorm_mode_32 3
		.amdhsa_float_denorm_mode_16_64 3
		.amdhsa_dx10_clamp 1
		.amdhsa_ieee_mode 1
		.amdhsa_fp16_overflow 0
		.amdhsa_tg_split 0
		.amdhsa_exception_fp_ieee_invalid_op 0
		.amdhsa_exception_fp_denorm_src 0
		.amdhsa_exception_fp_ieee_div_zero 0
		.amdhsa_exception_fp_ieee_overflow 0
		.amdhsa_exception_fp_ieee_underflow 0
		.amdhsa_exception_fp_ieee_inexact 0
		.amdhsa_exception_int_div_zero 0
	.end_amdhsa_kernel
	.section	.text._ZN7rocprim17ROCPRIM_400000_NS6detail17trampoline_kernelINS0_14default_configENS1_25partition_config_selectorILNS1_17partition_subalgoE2ExNS0_10empty_typeEbEEZZNS1_14partition_implILS5_2ELb0ES3_jN6thrust23THRUST_200600_302600_NS6detail15normal_iteratorINSA_7pointerIxNSA_11hip_rocprim3tagENSA_11use_defaultESG_EEEEPS6_NSA_18transform_iteratorINSA_8identityIxEENSC_INSA_10device_ptrIxEEEESG_SG_EENS0_5tupleIJPxSJ_EEENSR_IJSJ_SJ_EEES6_PlJS6_EEE10hipError_tPvRmT3_T4_T5_T6_T7_T9_mT8_P12ihipStream_tbDpT10_ENKUlT_T0_E_clISt17integral_constantIbLb1EES1E_IbLb0EEEEDaS1A_S1B_EUlS1A_E_NS1_11comp_targetILNS1_3genE4ELNS1_11target_archE910ELNS1_3gpuE8ELNS1_3repE0EEENS1_30default_config_static_selectorELNS0_4arch9wavefront6targetE1EEEvT1_,"axG",@progbits,_ZN7rocprim17ROCPRIM_400000_NS6detail17trampoline_kernelINS0_14default_configENS1_25partition_config_selectorILNS1_17partition_subalgoE2ExNS0_10empty_typeEbEEZZNS1_14partition_implILS5_2ELb0ES3_jN6thrust23THRUST_200600_302600_NS6detail15normal_iteratorINSA_7pointerIxNSA_11hip_rocprim3tagENSA_11use_defaultESG_EEEEPS6_NSA_18transform_iteratorINSA_8identityIxEENSC_INSA_10device_ptrIxEEEESG_SG_EENS0_5tupleIJPxSJ_EEENSR_IJSJ_SJ_EEES6_PlJS6_EEE10hipError_tPvRmT3_T4_T5_T6_T7_T9_mT8_P12ihipStream_tbDpT10_ENKUlT_T0_E_clISt17integral_constantIbLb1EES1E_IbLb0EEEEDaS1A_S1B_EUlS1A_E_NS1_11comp_targetILNS1_3genE4ELNS1_11target_archE910ELNS1_3gpuE8ELNS1_3repE0EEENS1_30default_config_static_selectorELNS0_4arch9wavefront6targetE1EEEvT1_,comdat
.Lfunc_end499:
	.size	_ZN7rocprim17ROCPRIM_400000_NS6detail17trampoline_kernelINS0_14default_configENS1_25partition_config_selectorILNS1_17partition_subalgoE2ExNS0_10empty_typeEbEEZZNS1_14partition_implILS5_2ELb0ES3_jN6thrust23THRUST_200600_302600_NS6detail15normal_iteratorINSA_7pointerIxNSA_11hip_rocprim3tagENSA_11use_defaultESG_EEEEPS6_NSA_18transform_iteratorINSA_8identityIxEENSC_INSA_10device_ptrIxEEEESG_SG_EENS0_5tupleIJPxSJ_EEENSR_IJSJ_SJ_EEES6_PlJS6_EEE10hipError_tPvRmT3_T4_T5_T6_T7_T9_mT8_P12ihipStream_tbDpT10_ENKUlT_T0_E_clISt17integral_constantIbLb1EES1E_IbLb0EEEEDaS1A_S1B_EUlS1A_E_NS1_11comp_targetILNS1_3genE4ELNS1_11target_archE910ELNS1_3gpuE8ELNS1_3repE0EEENS1_30default_config_static_selectorELNS0_4arch9wavefront6targetE1EEEvT1_, .Lfunc_end499-_ZN7rocprim17ROCPRIM_400000_NS6detail17trampoline_kernelINS0_14default_configENS1_25partition_config_selectorILNS1_17partition_subalgoE2ExNS0_10empty_typeEbEEZZNS1_14partition_implILS5_2ELb0ES3_jN6thrust23THRUST_200600_302600_NS6detail15normal_iteratorINSA_7pointerIxNSA_11hip_rocprim3tagENSA_11use_defaultESG_EEEEPS6_NSA_18transform_iteratorINSA_8identityIxEENSC_INSA_10device_ptrIxEEEESG_SG_EENS0_5tupleIJPxSJ_EEENSR_IJSJ_SJ_EEES6_PlJS6_EEE10hipError_tPvRmT3_T4_T5_T6_T7_T9_mT8_P12ihipStream_tbDpT10_ENKUlT_T0_E_clISt17integral_constantIbLb1EES1E_IbLb0EEEEDaS1A_S1B_EUlS1A_E_NS1_11comp_targetILNS1_3genE4ELNS1_11target_archE910ELNS1_3gpuE8ELNS1_3repE0EEENS1_30default_config_static_selectorELNS0_4arch9wavefront6targetE1EEEvT1_
                                        ; -- End function
	.section	.AMDGPU.csdata,"",@progbits
; Kernel info:
; codeLenInByte = 0
; NumSgprs: 6
; NumVgprs: 0
; NumAgprs: 0
; TotalNumVgprs: 0
; ScratchSize: 0
; MemoryBound: 0
; FloatMode: 240
; IeeeMode: 1
; LDSByteSize: 0 bytes/workgroup (compile time only)
; SGPRBlocks: 0
; VGPRBlocks: 0
; NumSGPRsForWavesPerEU: 6
; NumVGPRsForWavesPerEU: 1
; AccumOffset: 4
; Occupancy: 8
; WaveLimiterHint : 0
; COMPUTE_PGM_RSRC2:SCRATCH_EN: 0
; COMPUTE_PGM_RSRC2:USER_SGPR: 2
; COMPUTE_PGM_RSRC2:TRAP_HANDLER: 0
; COMPUTE_PGM_RSRC2:TGID_X_EN: 1
; COMPUTE_PGM_RSRC2:TGID_Y_EN: 0
; COMPUTE_PGM_RSRC2:TGID_Z_EN: 0
; COMPUTE_PGM_RSRC2:TIDIG_COMP_CNT: 0
; COMPUTE_PGM_RSRC3_GFX90A:ACCUM_OFFSET: 0
; COMPUTE_PGM_RSRC3_GFX90A:TG_SPLIT: 0
	.section	.text._ZN7rocprim17ROCPRIM_400000_NS6detail17trampoline_kernelINS0_14default_configENS1_25partition_config_selectorILNS1_17partition_subalgoE2ExNS0_10empty_typeEbEEZZNS1_14partition_implILS5_2ELb0ES3_jN6thrust23THRUST_200600_302600_NS6detail15normal_iteratorINSA_7pointerIxNSA_11hip_rocprim3tagENSA_11use_defaultESG_EEEEPS6_NSA_18transform_iteratorINSA_8identityIxEENSC_INSA_10device_ptrIxEEEESG_SG_EENS0_5tupleIJPxSJ_EEENSR_IJSJ_SJ_EEES6_PlJS6_EEE10hipError_tPvRmT3_T4_T5_T6_T7_T9_mT8_P12ihipStream_tbDpT10_ENKUlT_T0_E_clISt17integral_constantIbLb1EES1E_IbLb0EEEEDaS1A_S1B_EUlS1A_E_NS1_11comp_targetILNS1_3genE3ELNS1_11target_archE908ELNS1_3gpuE7ELNS1_3repE0EEENS1_30default_config_static_selectorELNS0_4arch9wavefront6targetE1EEEvT1_,"axG",@progbits,_ZN7rocprim17ROCPRIM_400000_NS6detail17trampoline_kernelINS0_14default_configENS1_25partition_config_selectorILNS1_17partition_subalgoE2ExNS0_10empty_typeEbEEZZNS1_14partition_implILS5_2ELb0ES3_jN6thrust23THRUST_200600_302600_NS6detail15normal_iteratorINSA_7pointerIxNSA_11hip_rocprim3tagENSA_11use_defaultESG_EEEEPS6_NSA_18transform_iteratorINSA_8identityIxEENSC_INSA_10device_ptrIxEEEESG_SG_EENS0_5tupleIJPxSJ_EEENSR_IJSJ_SJ_EEES6_PlJS6_EEE10hipError_tPvRmT3_T4_T5_T6_T7_T9_mT8_P12ihipStream_tbDpT10_ENKUlT_T0_E_clISt17integral_constantIbLb1EES1E_IbLb0EEEEDaS1A_S1B_EUlS1A_E_NS1_11comp_targetILNS1_3genE3ELNS1_11target_archE908ELNS1_3gpuE7ELNS1_3repE0EEENS1_30default_config_static_selectorELNS0_4arch9wavefront6targetE1EEEvT1_,comdat
	.protected	_ZN7rocprim17ROCPRIM_400000_NS6detail17trampoline_kernelINS0_14default_configENS1_25partition_config_selectorILNS1_17partition_subalgoE2ExNS0_10empty_typeEbEEZZNS1_14partition_implILS5_2ELb0ES3_jN6thrust23THRUST_200600_302600_NS6detail15normal_iteratorINSA_7pointerIxNSA_11hip_rocprim3tagENSA_11use_defaultESG_EEEEPS6_NSA_18transform_iteratorINSA_8identityIxEENSC_INSA_10device_ptrIxEEEESG_SG_EENS0_5tupleIJPxSJ_EEENSR_IJSJ_SJ_EEES6_PlJS6_EEE10hipError_tPvRmT3_T4_T5_T6_T7_T9_mT8_P12ihipStream_tbDpT10_ENKUlT_T0_E_clISt17integral_constantIbLb1EES1E_IbLb0EEEEDaS1A_S1B_EUlS1A_E_NS1_11comp_targetILNS1_3genE3ELNS1_11target_archE908ELNS1_3gpuE7ELNS1_3repE0EEENS1_30default_config_static_selectorELNS0_4arch9wavefront6targetE1EEEvT1_ ; -- Begin function _ZN7rocprim17ROCPRIM_400000_NS6detail17trampoline_kernelINS0_14default_configENS1_25partition_config_selectorILNS1_17partition_subalgoE2ExNS0_10empty_typeEbEEZZNS1_14partition_implILS5_2ELb0ES3_jN6thrust23THRUST_200600_302600_NS6detail15normal_iteratorINSA_7pointerIxNSA_11hip_rocprim3tagENSA_11use_defaultESG_EEEEPS6_NSA_18transform_iteratorINSA_8identityIxEENSC_INSA_10device_ptrIxEEEESG_SG_EENS0_5tupleIJPxSJ_EEENSR_IJSJ_SJ_EEES6_PlJS6_EEE10hipError_tPvRmT3_T4_T5_T6_T7_T9_mT8_P12ihipStream_tbDpT10_ENKUlT_T0_E_clISt17integral_constantIbLb1EES1E_IbLb0EEEEDaS1A_S1B_EUlS1A_E_NS1_11comp_targetILNS1_3genE3ELNS1_11target_archE908ELNS1_3gpuE7ELNS1_3repE0EEENS1_30default_config_static_selectorELNS0_4arch9wavefront6targetE1EEEvT1_
	.globl	_ZN7rocprim17ROCPRIM_400000_NS6detail17trampoline_kernelINS0_14default_configENS1_25partition_config_selectorILNS1_17partition_subalgoE2ExNS0_10empty_typeEbEEZZNS1_14partition_implILS5_2ELb0ES3_jN6thrust23THRUST_200600_302600_NS6detail15normal_iteratorINSA_7pointerIxNSA_11hip_rocprim3tagENSA_11use_defaultESG_EEEEPS6_NSA_18transform_iteratorINSA_8identityIxEENSC_INSA_10device_ptrIxEEEESG_SG_EENS0_5tupleIJPxSJ_EEENSR_IJSJ_SJ_EEES6_PlJS6_EEE10hipError_tPvRmT3_T4_T5_T6_T7_T9_mT8_P12ihipStream_tbDpT10_ENKUlT_T0_E_clISt17integral_constantIbLb1EES1E_IbLb0EEEEDaS1A_S1B_EUlS1A_E_NS1_11comp_targetILNS1_3genE3ELNS1_11target_archE908ELNS1_3gpuE7ELNS1_3repE0EEENS1_30default_config_static_selectorELNS0_4arch9wavefront6targetE1EEEvT1_
	.p2align	8
	.type	_ZN7rocprim17ROCPRIM_400000_NS6detail17trampoline_kernelINS0_14default_configENS1_25partition_config_selectorILNS1_17partition_subalgoE2ExNS0_10empty_typeEbEEZZNS1_14partition_implILS5_2ELb0ES3_jN6thrust23THRUST_200600_302600_NS6detail15normal_iteratorINSA_7pointerIxNSA_11hip_rocprim3tagENSA_11use_defaultESG_EEEEPS6_NSA_18transform_iteratorINSA_8identityIxEENSC_INSA_10device_ptrIxEEEESG_SG_EENS0_5tupleIJPxSJ_EEENSR_IJSJ_SJ_EEES6_PlJS6_EEE10hipError_tPvRmT3_T4_T5_T6_T7_T9_mT8_P12ihipStream_tbDpT10_ENKUlT_T0_E_clISt17integral_constantIbLb1EES1E_IbLb0EEEEDaS1A_S1B_EUlS1A_E_NS1_11comp_targetILNS1_3genE3ELNS1_11target_archE908ELNS1_3gpuE7ELNS1_3repE0EEENS1_30default_config_static_selectorELNS0_4arch9wavefront6targetE1EEEvT1_,@function
_ZN7rocprim17ROCPRIM_400000_NS6detail17trampoline_kernelINS0_14default_configENS1_25partition_config_selectorILNS1_17partition_subalgoE2ExNS0_10empty_typeEbEEZZNS1_14partition_implILS5_2ELb0ES3_jN6thrust23THRUST_200600_302600_NS6detail15normal_iteratorINSA_7pointerIxNSA_11hip_rocprim3tagENSA_11use_defaultESG_EEEEPS6_NSA_18transform_iteratorINSA_8identityIxEENSC_INSA_10device_ptrIxEEEESG_SG_EENS0_5tupleIJPxSJ_EEENSR_IJSJ_SJ_EEES6_PlJS6_EEE10hipError_tPvRmT3_T4_T5_T6_T7_T9_mT8_P12ihipStream_tbDpT10_ENKUlT_T0_E_clISt17integral_constantIbLb1EES1E_IbLb0EEEEDaS1A_S1B_EUlS1A_E_NS1_11comp_targetILNS1_3genE3ELNS1_11target_archE908ELNS1_3gpuE7ELNS1_3repE0EEENS1_30default_config_static_selectorELNS0_4arch9wavefront6targetE1EEEvT1_: ; @_ZN7rocprim17ROCPRIM_400000_NS6detail17trampoline_kernelINS0_14default_configENS1_25partition_config_selectorILNS1_17partition_subalgoE2ExNS0_10empty_typeEbEEZZNS1_14partition_implILS5_2ELb0ES3_jN6thrust23THRUST_200600_302600_NS6detail15normal_iteratorINSA_7pointerIxNSA_11hip_rocprim3tagENSA_11use_defaultESG_EEEEPS6_NSA_18transform_iteratorINSA_8identityIxEENSC_INSA_10device_ptrIxEEEESG_SG_EENS0_5tupleIJPxSJ_EEENSR_IJSJ_SJ_EEES6_PlJS6_EEE10hipError_tPvRmT3_T4_T5_T6_T7_T9_mT8_P12ihipStream_tbDpT10_ENKUlT_T0_E_clISt17integral_constantIbLb1EES1E_IbLb0EEEEDaS1A_S1B_EUlS1A_E_NS1_11comp_targetILNS1_3genE3ELNS1_11target_archE908ELNS1_3gpuE7ELNS1_3repE0EEENS1_30default_config_static_selectorELNS0_4arch9wavefront6targetE1EEEvT1_
; %bb.0:
	.section	.rodata,"a",@progbits
	.p2align	6, 0x0
	.amdhsa_kernel _ZN7rocprim17ROCPRIM_400000_NS6detail17trampoline_kernelINS0_14default_configENS1_25partition_config_selectorILNS1_17partition_subalgoE2ExNS0_10empty_typeEbEEZZNS1_14partition_implILS5_2ELb0ES3_jN6thrust23THRUST_200600_302600_NS6detail15normal_iteratorINSA_7pointerIxNSA_11hip_rocprim3tagENSA_11use_defaultESG_EEEEPS6_NSA_18transform_iteratorINSA_8identityIxEENSC_INSA_10device_ptrIxEEEESG_SG_EENS0_5tupleIJPxSJ_EEENSR_IJSJ_SJ_EEES6_PlJS6_EEE10hipError_tPvRmT3_T4_T5_T6_T7_T9_mT8_P12ihipStream_tbDpT10_ENKUlT_T0_E_clISt17integral_constantIbLb1EES1E_IbLb0EEEEDaS1A_S1B_EUlS1A_E_NS1_11comp_targetILNS1_3genE3ELNS1_11target_archE908ELNS1_3gpuE7ELNS1_3repE0EEENS1_30default_config_static_selectorELNS0_4arch9wavefront6targetE1EEEvT1_
		.amdhsa_group_segment_fixed_size 0
		.amdhsa_private_segment_fixed_size 0
		.amdhsa_kernarg_size 128
		.amdhsa_user_sgpr_count 2
		.amdhsa_user_sgpr_dispatch_ptr 0
		.amdhsa_user_sgpr_queue_ptr 0
		.amdhsa_user_sgpr_kernarg_segment_ptr 1
		.amdhsa_user_sgpr_dispatch_id 0
		.amdhsa_user_sgpr_kernarg_preload_length 0
		.amdhsa_user_sgpr_kernarg_preload_offset 0
		.amdhsa_user_sgpr_private_segment_size 0
		.amdhsa_uses_dynamic_stack 0
		.amdhsa_enable_private_segment 0
		.amdhsa_system_sgpr_workgroup_id_x 1
		.amdhsa_system_sgpr_workgroup_id_y 0
		.amdhsa_system_sgpr_workgroup_id_z 0
		.amdhsa_system_sgpr_workgroup_info 0
		.amdhsa_system_vgpr_workitem_id 0
		.amdhsa_next_free_vgpr 1
		.amdhsa_next_free_sgpr 0
		.amdhsa_accum_offset 4
		.amdhsa_reserve_vcc 0
		.amdhsa_float_round_mode_32 0
		.amdhsa_float_round_mode_16_64 0
		.amdhsa_float_denorm_mode_32 3
		.amdhsa_float_denorm_mode_16_64 3
		.amdhsa_dx10_clamp 1
		.amdhsa_ieee_mode 1
		.amdhsa_fp16_overflow 0
		.amdhsa_tg_split 0
		.amdhsa_exception_fp_ieee_invalid_op 0
		.amdhsa_exception_fp_denorm_src 0
		.amdhsa_exception_fp_ieee_div_zero 0
		.amdhsa_exception_fp_ieee_overflow 0
		.amdhsa_exception_fp_ieee_underflow 0
		.amdhsa_exception_fp_ieee_inexact 0
		.amdhsa_exception_int_div_zero 0
	.end_amdhsa_kernel
	.section	.text._ZN7rocprim17ROCPRIM_400000_NS6detail17trampoline_kernelINS0_14default_configENS1_25partition_config_selectorILNS1_17partition_subalgoE2ExNS0_10empty_typeEbEEZZNS1_14partition_implILS5_2ELb0ES3_jN6thrust23THRUST_200600_302600_NS6detail15normal_iteratorINSA_7pointerIxNSA_11hip_rocprim3tagENSA_11use_defaultESG_EEEEPS6_NSA_18transform_iteratorINSA_8identityIxEENSC_INSA_10device_ptrIxEEEESG_SG_EENS0_5tupleIJPxSJ_EEENSR_IJSJ_SJ_EEES6_PlJS6_EEE10hipError_tPvRmT3_T4_T5_T6_T7_T9_mT8_P12ihipStream_tbDpT10_ENKUlT_T0_E_clISt17integral_constantIbLb1EES1E_IbLb0EEEEDaS1A_S1B_EUlS1A_E_NS1_11comp_targetILNS1_3genE3ELNS1_11target_archE908ELNS1_3gpuE7ELNS1_3repE0EEENS1_30default_config_static_selectorELNS0_4arch9wavefront6targetE1EEEvT1_,"axG",@progbits,_ZN7rocprim17ROCPRIM_400000_NS6detail17trampoline_kernelINS0_14default_configENS1_25partition_config_selectorILNS1_17partition_subalgoE2ExNS0_10empty_typeEbEEZZNS1_14partition_implILS5_2ELb0ES3_jN6thrust23THRUST_200600_302600_NS6detail15normal_iteratorINSA_7pointerIxNSA_11hip_rocprim3tagENSA_11use_defaultESG_EEEEPS6_NSA_18transform_iteratorINSA_8identityIxEENSC_INSA_10device_ptrIxEEEESG_SG_EENS0_5tupleIJPxSJ_EEENSR_IJSJ_SJ_EEES6_PlJS6_EEE10hipError_tPvRmT3_T4_T5_T6_T7_T9_mT8_P12ihipStream_tbDpT10_ENKUlT_T0_E_clISt17integral_constantIbLb1EES1E_IbLb0EEEEDaS1A_S1B_EUlS1A_E_NS1_11comp_targetILNS1_3genE3ELNS1_11target_archE908ELNS1_3gpuE7ELNS1_3repE0EEENS1_30default_config_static_selectorELNS0_4arch9wavefront6targetE1EEEvT1_,comdat
.Lfunc_end500:
	.size	_ZN7rocprim17ROCPRIM_400000_NS6detail17trampoline_kernelINS0_14default_configENS1_25partition_config_selectorILNS1_17partition_subalgoE2ExNS0_10empty_typeEbEEZZNS1_14partition_implILS5_2ELb0ES3_jN6thrust23THRUST_200600_302600_NS6detail15normal_iteratorINSA_7pointerIxNSA_11hip_rocprim3tagENSA_11use_defaultESG_EEEEPS6_NSA_18transform_iteratorINSA_8identityIxEENSC_INSA_10device_ptrIxEEEESG_SG_EENS0_5tupleIJPxSJ_EEENSR_IJSJ_SJ_EEES6_PlJS6_EEE10hipError_tPvRmT3_T4_T5_T6_T7_T9_mT8_P12ihipStream_tbDpT10_ENKUlT_T0_E_clISt17integral_constantIbLb1EES1E_IbLb0EEEEDaS1A_S1B_EUlS1A_E_NS1_11comp_targetILNS1_3genE3ELNS1_11target_archE908ELNS1_3gpuE7ELNS1_3repE0EEENS1_30default_config_static_selectorELNS0_4arch9wavefront6targetE1EEEvT1_, .Lfunc_end500-_ZN7rocprim17ROCPRIM_400000_NS6detail17trampoline_kernelINS0_14default_configENS1_25partition_config_selectorILNS1_17partition_subalgoE2ExNS0_10empty_typeEbEEZZNS1_14partition_implILS5_2ELb0ES3_jN6thrust23THRUST_200600_302600_NS6detail15normal_iteratorINSA_7pointerIxNSA_11hip_rocprim3tagENSA_11use_defaultESG_EEEEPS6_NSA_18transform_iteratorINSA_8identityIxEENSC_INSA_10device_ptrIxEEEESG_SG_EENS0_5tupleIJPxSJ_EEENSR_IJSJ_SJ_EEES6_PlJS6_EEE10hipError_tPvRmT3_T4_T5_T6_T7_T9_mT8_P12ihipStream_tbDpT10_ENKUlT_T0_E_clISt17integral_constantIbLb1EES1E_IbLb0EEEEDaS1A_S1B_EUlS1A_E_NS1_11comp_targetILNS1_3genE3ELNS1_11target_archE908ELNS1_3gpuE7ELNS1_3repE0EEENS1_30default_config_static_selectorELNS0_4arch9wavefront6targetE1EEEvT1_
                                        ; -- End function
	.section	.AMDGPU.csdata,"",@progbits
; Kernel info:
; codeLenInByte = 0
; NumSgprs: 6
; NumVgprs: 0
; NumAgprs: 0
; TotalNumVgprs: 0
; ScratchSize: 0
; MemoryBound: 0
; FloatMode: 240
; IeeeMode: 1
; LDSByteSize: 0 bytes/workgroup (compile time only)
; SGPRBlocks: 0
; VGPRBlocks: 0
; NumSGPRsForWavesPerEU: 6
; NumVGPRsForWavesPerEU: 1
; AccumOffset: 4
; Occupancy: 8
; WaveLimiterHint : 0
; COMPUTE_PGM_RSRC2:SCRATCH_EN: 0
; COMPUTE_PGM_RSRC2:USER_SGPR: 2
; COMPUTE_PGM_RSRC2:TRAP_HANDLER: 0
; COMPUTE_PGM_RSRC2:TGID_X_EN: 1
; COMPUTE_PGM_RSRC2:TGID_Y_EN: 0
; COMPUTE_PGM_RSRC2:TGID_Z_EN: 0
; COMPUTE_PGM_RSRC2:TIDIG_COMP_CNT: 0
; COMPUTE_PGM_RSRC3_GFX90A:ACCUM_OFFSET: 0
; COMPUTE_PGM_RSRC3_GFX90A:TG_SPLIT: 0
	.section	.text._ZN7rocprim17ROCPRIM_400000_NS6detail17trampoline_kernelINS0_14default_configENS1_25partition_config_selectorILNS1_17partition_subalgoE2ExNS0_10empty_typeEbEEZZNS1_14partition_implILS5_2ELb0ES3_jN6thrust23THRUST_200600_302600_NS6detail15normal_iteratorINSA_7pointerIxNSA_11hip_rocprim3tagENSA_11use_defaultESG_EEEEPS6_NSA_18transform_iteratorINSA_8identityIxEENSC_INSA_10device_ptrIxEEEESG_SG_EENS0_5tupleIJPxSJ_EEENSR_IJSJ_SJ_EEES6_PlJS6_EEE10hipError_tPvRmT3_T4_T5_T6_T7_T9_mT8_P12ihipStream_tbDpT10_ENKUlT_T0_E_clISt17integral_constantIbLb1EES1E_IbLb0EEEEDaS1A_S1B_EUlS1A_E_NS1_11comp_targetILNS1_3genE2ELNS1_11target_archE906ELNS1_3gpuE6ELNS1_3repE0EEENS1_30default_config_static_selectorELNS0_4arch9wavefront6targetE1EEEvT1_,"axG",@progbits,_ZN7rocprim17ROCPRIM_400000_NS6detail17trampoline_kernelINS0_14default_configENS1_25partition_config_selectorILNS1_17partition_subalgoE2ExNS0_10empty_typeEbEEZZNS1_14partition_implILS5_2ELb0ES3_jN6thrust23THRUST_200600_302600_NS6detail15normal_iteratorINSA_7pointerIxNSA_11hip_rocprim3tagENSA_11use_defaultESG_EEEEPS6_NSA_18transform_iteratorINSA_8identityIxEENSC_INSA_10device_ptrIxEEEESG_SG_EENS0_5tupleIJPxSJ_EEENSR_IJSJ_SJ_EEES6_PlJS6_EEE10hipError_tPvRmT3_T4_T5_T6_T7_T9_mT8_P12ihipStream_tbDpT10_ENKUlT_T0_E_clISt17integral_constantIbLb1EES1E_IbLb0EEEEDaS1A_S1B_EUlS1A_E_NS1_11comp_targetILNS1_3genE2ELNS1_11target_archE906ELNS1_3gpuE6ELNS1_3repE0EEENS1_30default_config_static_selectorELNS0_4arch9wavefront6targetE1EEEvT1_,comdat
	.protected	_ZN7rocprim17ROCPRIM_400000_NS6detail17trampoline_kernelINS0_14default_configENS1_25partition_config_selectorILNS1_17partition_subalgoE2ExNS0_10empty_typeEbEEZZNS1_14partition_implILS5_2ELb0ES3_jN6thrust23THRUST_200600_302600_NS6detail15normal_iteratorINSA_7pointerIxNSA_11hip_rocprim3tagENSA_11use_defaultESG_EEEEPS6_NSA_18transform_iteratorINSA_8identityIxEENSC_INSA_10device_ptrIxEEEESG_SG_EENS0_5tupleIJPxSJ_EEENSR_IJSJ_SJ_EEES6_PlJS6_EEE10hipError_tPvRmT3_T4_T5_T6_T7_T9_mT8_P12ihipStream_tbDpT10_ENKUlT_T0_E_clISt17integral_constantIbLb1EES1E_IbLb0EEEEDaS1A_S1B_EUlS1A_E_NS1_11comp_targetILNS1_3genE2ELNS1_11target_archE906ELNS1_3gpuE6ELNS1_3repE0EEENS1_30default_config_static_selectorELNS0_4arch9wavefront6targetE1EEEvT1_ ; -- Begin function _ZN7rocprim17ROCPRIM_400000_NS6detail17trampoline_kernelINS0_14default_configENS1_25partition_config_selectorILNS1_17partition_subalgoE2ExNS0_10empty_typeEbEEZZNS1_14partition_implILS5_2ELb0ES3_jN6thrust23THRUST_200600_302600_NS6detail15normal_iteratorINSA_7pointerIxNSA_11hip_rocprim3tagENSA_11use_defaultESG_EEEEPS6_NSA_18transform_iteratorINSA_8identityIxEENSC_INSA_10device_ptrIxEEEESG_SG_EENS0_5tupleIJPxSJ_EEENSR_IJSJ_SJ_EEES6_PlJS6_EEE10hipError_tPvRmT3_T4_T5_T6_T7_T9_mT8_P12ihipStream_tbDpT10_ENKUlT_T0_E_clISt17integral_constantIbLb1EES1E_IbLb0EEEEDaS1A_S1B_EUlS1A_E_NS1_11comp_targetILNS1_3genE2ELNS1_11target_archE906ELNS1_3gpuE6ELNS1_3repE0EEENS1_30default_config_static_selectorELNS0_4arch9wavefront6targetE1EEEvT1_
	.globl	_ZN7rocprim17ROCPRIM_400000_NS6detail17trampoline_kernelINS0_14default_configENS1_25partition_config_selectorILNS1_17partition_subalgoE2ExNS0_10empty_typeEbEEZZNS1_14partition_implILS5_2ELb0ES3_jN6thrust23THRUST_200600_302600_NS6detail15normal_iteratorINSA_7pointerIxNSA_11hip_rocprim3tagENSA_11use_defaultESG_EEEEPS6_NSA_18transform_iteratorINSA_8identityIxEENSC_INSA_10device_ptrIxEEEESG_SG_EENS0_5tupleIJPxSJ_EEENSR_IJSJ_SJ_EEES6_PlJS6_EEE10hipError_tPvRmT3_T4_T5_T6_T7_T9_mT8_P12ihipStream_tbDpT10_ENKUlT_T0_E_clISt17integral_constantIbLb1EES1E_IbLb0EEEEDaS1A_S1B_EUlS1A_E_NS1_11comp_targetILNS1_3genE2ELNS1_11target_archE906ELNS1_3gpuE6ELNS1_3repE0EEENS1_30default_config_static_selectorELNS0_4arch9wavefront6targetE1EEEvT1_
	.p2align	8
	.type	_ZN7rocprim17ROCPRIM_400000_NS6detail17trampoline_kernelINS0_14default_configENS1_25partition_config_selectorILNS1_17partition_subalgoE2ExNS0_10empty_typeEbEEZZNS1_14partition_implILS5_2ELb0ES3_jN6thrust23THRUST_200600_302600_NS6detail15normal_iteratorINSA_7pointerIxNSA_11hip_rocprim3tagENSA_11use_defaultESG_EEEEPS6_NSA_18transform_iteratorINSA_8identityIxEENSC_INSA_10device_ptrIxEEEESG_SG_EENS0_5tupleIJPxSJ_EEENSR_IJSJ_SJ_EEES6_PlJS6_EEE10hipError_tPvRmT3_T4_T5_T6_T7_T9_mT8_P12ihipStream_tbDpT10_ENKUlT_T0_E_clISt17integral_constantIbLb1EES1E_IbLb0EEEEDaS1A_S1B_EUlS1A_E_NS1_11comp_targetILNS1_3genE2ELNS1_11target_archE906ELNS1_3gpuE6ELNS1_3repE0EEENS1_30default_config_static_selectorELNS0_4arch9wavefront6targetE1EEEvT1_,@function
_ZN7rocprim17ROCPRIM_400000_NS6detail17trampoline_kernelINS0_14default_configENS1_25partition_config_selectorILNS1_17partition_subalgoE2ExNS0_10empty_typeEbEEZZNS1_14partition_implILS5_2ELb0ES3_jN6thrust23THRUST_200600_302600_NS6detail15normal_iteratorINSA_7pointerIxNSA_11hip_rocprim3tagENSA_11use_defaultESG_EEEEPS6_NSA_18transform_iteratorINSA_8identityIxEENSC_INSA_10device_ptrIxEEEESG_SG_EENS0_5tupleIJPxSJ_EEENSR_IJSJ_SJ_EEES6_PlJS6_EEE10hipError_tPvRmT3_T4_T5_T6_T7_T9_mT8_P12ihipStream_tbDpT10_ENKUlT_T0_E_clISt17integral_constantIbLb1EES1E_IbLb0EEEEDaS1A_S1B_EUlS1A_E_NS1_11comp_targetILNS1_3genE2ELNS1_11target_archE906ELNS1_3gpuE6ELNS1_3repE0EEENS1_30default_config_static_selectorELNS0_4arch9wavefront6targetE1EEEvT1_: ; @_ZN7rocprim17ROCPRIM_400000_NS6detail17trampoline_kernelINS0_14default_configENS1_25partition_config_selectorILNS1_17partition_subalgoE2ExNS0_10empty_typeEbEEZZNS1_14partition_implILS5_2ELb0ES3_jN6thrust23THRUST_200600_302600_NS6detail15normal_iteratorINSA_7pointerIxNSA_11hip_rocprim3tagENSA_11use_defaultESG_EEEEPS6_NSA_18transform_iteratorINSA_8identityIxEENSC_INSA_10device_ptrIxEEEESG_SG_EENS0_5tupleIJPxSJ_EEENSR_IJSJ_SJ_EEES6_PlJS6_EEE10hipError_tPvRmT3_T4_T5_T6_T7_T9_mT8_P12ihipStream_tbDpT10_ENKUlT_T0_E_clISt17integral_constantIbLb1EES1E_IbLb0EEEEDaS1A_S1B_EUlS1A_E_NS1_11comp_targetILNS1_3genE2ELNS1_11target_archE906ELNS1_3gpuE6ELNS1_3repE0EEENS1_30default_config_static_selectorELNS0_4arch9wavefront6targetE1EEEvT1_
; %bb.0:
	.section	.rodata,"a",@progbits
	.p2align	6, 0x0
	.amdhsa_kernel _ZN7rocprim17ROCPRIM_400000_NS6detail17trampoline_kernelINS0_14default_configENS1_25partition_config_selectorILNS1_17partition_subalgoE2ExNS0_10empty_typeEbEEZZNS1_14partition_implILS5_2ELb0ES3_jN6thrust23THRUST_200600_302600_NS6detail15normal_iteratorINSA_7pointerIxNSA_11hip_rocprim3tagENSA_11use_defaultESG_EEEEPS6_NSA_18transform_iteratorINSA_8identityIxEENSC_INSA_10device_ptrIxEEEESG_SG_EENS0_5tupleIJPxSJ_EEENSR_IJSJ_SJ_EEES6_PlJS6_EEE10hipError_tPvRmT3_T4_T5_T6_T7_T9_mT8_P12ihipStream_tbDpT10_ENKUlT_T0_E_clISt17integral_constantIbLb1EES1E_IbLb0EEEEDaS1A_S1B_EUlS1A_E_NS1_11comp_targetILNS1_3genE2ELNS1_11target_archE906ELNS1_3gpuE6ELNS1_3repE0EEENS1_30default_config_static_selectorELNS0_4arch9wavefront6targetE1EEEvT1_
		.amdhsa_group_segment_fixed_size 0
		.amdhsa_private_segment_fixed_size 0
		.amdhsa_kernarg_size 128
		.amdhsa_user_sgpr_count 2
		.amdhsa_user_sgpr_dispatch_ptr 0
		.amdhsa_user_sgpr_queue_ptr 0
		.amdhsa_user_sgpr_kernarg_segment_ptr 1
		.amdhsa_user_sgpr_dispatch_id 0
		.amdhsa_user_sgpr_kernarg_preload_length 0
		.amdhsa_user_sgpr_kernarg_preload_offset 0
		.amdhsa_user_sgpr_private_segment_size 0
		.amdhsa_uses_dynamic_stack 0
		.amdhsa_enable_private_segment 0
		.amdhsa_system_sgpr_workgroup_id_x 1
		.amdhsa_system_sgpr_workgroup_id_y 0
		.amdhsa_system_sgpr_workgroup_id_z 0
		.amdhsa_system_sgpr_workgroup_info 0
		.amdhsa_system_vgpr_workitem_id 0
		.amdhsa_next_free_vgpr 1
		.amdhsa_next_free_sgpr 0
		.amdhsa_accum_offset 4
		.amdhsa_reserve_vcc 0
		.amdhsa_float_round_mode_32 0
		.amdhsa_float_round_mode_16_64 0
		.amdhsa_float_denorm_mode_32 3
		.amdhsa_float_denorm_mode_16_64 3
		.amdhsa_dx10_clamp 1
		.amdhsa_ieee_mode 1
		.amdhsa_fp16_overflow 0
		.amdhsa_tg_split 0
		.amdhsa_exception_fp_ieee_invalid_op 0
		.amdhsa_exception_fp_denorm_src 0
		.amdhsa_exception_fp_ieee_div_zero 0
		.amdhsa_exception_fp_ieee_overflow 0
		.amdhsa_exception_fp_ieee_underflow 0
		.amdhsa_exception_fp_ieee_inexact 0
		.amdhsa_exception_int_div_zero 0
	.end_amdhsa_kernel
	.section	.text._ZN7rocprim17ROCPRIM_400000_NS6detail17trampoline_kernelINS0_14default_configENS1_25partition_config_selectorILNS1_17partition_subalgoE2ExNS0_10empty_typeEbEEZZNS1_14partition_implILS5_2ELb0ES3_jN6thrust23THRUST_200600_302600_NS6detail15normal_iteratorINSA_7pointerIxNSA_11hip_rocprim3tagENSA_11use_defaultESG_EEEEPS6_NSA_18transform_iteratorINSA_8identityIxEENSC_INSA_10device_ptrIxEEEESG_SG_EENS0_5tupleIJPxSJ_EEENSR_IJSJ_SJ_EEES6_PlJS6_EEE10hipError_tPvRmT3_T4_T5_T6_T7_T9_mT8_P12ihipStream_tbDpT10_ENKUlT_T0_E_clISt17integral_constantIbLb1EES1E_IbLb0EEEEDaS1A_S1B_EUlS1A_E_NS1_11comp_targetILNS1_3genE2ELNS1_11target_archE906ELNS1_3gpuE6ELNS1_3repE0EEENS1_30default_config_static_selectorELNS0_4arch9wavefront6targetE1EEEvT1_,"axG",@progbits,_ZN7rocprim17ROCPRIM_400000_NS6detail17trampoline_kernelINS0_14default_configENS1_25partition_config_selectorILNS1_17partition_subalgoE2ExNS0_10empty_typeEbEEZZNS1_14partition_implILS5_2ELb0ES3_jN6thrust23THRUST_200600_302600_NS6detail15normal_iteratorINSA_7pointerIxNSA_11hip_rocprim3tagENSA_11use_defaultESG_EEEEPS6_NSA_18transform_iteratorINSA_8identityIxEENSC_INSA_10device_ptrIxEEEESG_SG_EENS0_5tupleIJPxSJ_EEENSR_IJSJ_SJ_EEES6_PlJS6_EEE10hipError_tPvRmT3_T4_T5_T6_T7_T9_mT8_P12ihipStream_tbDpT10_ENKUlT_T0_E_clISt17integral_constantIbLb1EES1E_IbLb0EEEEDaS1A_S1B_EUlS1A_E_NS1_11comp_targetILNS1_3genE2ELNS1_11target_archE906ELNS1_3gpuE6ELNS1_3repE0EEENS1_30default_config_static_selectorELNS0_4arch9wavefront6targetE1EEEvT1_,comdat
.Lfunc_end501:
	.size	_ZN7rocprim17ROCPRIM_400000_NS6detail17trampoline_kernelINS0_14default_configENS1_25partition_config_selectorILNS1_17partition_subalgoE2ExNS0_10empty_typeEbEEZZNS1_14partition_implILS5_2ELb0ES3_jN6thrust23THRUST_200600_302600_NS6detail15normal_iteratorINSA_7pointerIxNSA_11hip_rocprim3tagENSA_11use_defaultESG_EEEEPS6_NSA_18transform_iteratorINSA_8identityIxEENSC_INSA_10device_ptrIxEEEESG_SG_EENS0_5tupleIJPxSJ_EEENSR_IJSJ_SJ_EEES6_PlJS6_EEE10hipError_tPvRmT3_T4_T5_T6_T7_T9_mT8_P12ihipStream_tbDpT10_ENKUlT_T0_E_clISt17integral_constantIbLb1EES1E_IbLb0EEEEDaS1A_S1B_EUlS1A_E_NS1_11comp_targetILNS1_3genE2ELNS1_11target_archE906ELNS1_3gpuE6ELNS1_3repE0EEENS1_30default_config_static_selectorELNS0_4arch9wavefront6targetE1EEEvT1_, .Lfunc_end501-_ZN7rocprim17ROCPRIM_400000_NS6detail17trampoline_kernelINS0_14default_configENS1_25partition_config_selectorILNS1_17partition_subalgoE2ExNS0_10empty_typeEbEEZZNS1_14partition_implILS5_2ELb0ES3_jN6thrust23THRUST_200600_302600_NS6detail15normal_iteratorINSA_7pointerIxNSA_11hip_rocprim3tagENSA_11use_defaultESG_EEEEPS6_NSA_18transform_iteratorINSA_8identityIxEENSC_INSA_10device_ptrIxEEEESG_SG_EENS0_5tupleIJPxSJ_EEENSR_IJSJ_SJ_EEES6_PlJS6_EEE10hipError_tPvRmT3_T4_T5_T6_T7_T9_mT8_P12ihipStream_tbDpT10_ENKUlT_T0_E_clISt17integral_constantIbLb1EES1E_IbLb0EEEEDaS1A_S1B_EUlS1A_E_NS1_11comp_targetILNS1_3genE2ELNS1_11target_archE906ELNS1_3gpuE6ELNS1_3repE0EEENS1_30default_config_static_selectorELNS0_4arch9wavefront6targetE1EEEvT1_
                                        ; -- End function
	.section	.AMDGPU.csdata,"",@progbits
; Kernel info:
; codeLenInByte = 0
; NumSgprs: 6
; NumVgprs: 0
; NumAgprs: 0
; TotalNumVgprs: 0
; ScratchSize: 0
; MemoryBound: 0
; FloatMode: 240
; IeeeMode: 1
; LDSByteSize: 0 bytes/workgroup (compile time only)
; SGPRBlocks: 0
; VGPRBlocks: 0
; NumSGPRsForWavesPerEU: 6
; NumVGPRsForWavesPerEU: 1
; AccumOffset: 4
; Occupancy: 8
; WaveLimiterHint : 0
; COMPUTE_PGM_RSRC2:SCRATCH_EN: 0
; COMPUTE_PGM_RSRC2:USER_SGPR: 2
; COMPUTE_PGM_RSRC2:TRAP_HANDLER: 0
; COMPUTE_PGM_RSRC2:TGID_X_EN: 1
; COMPUTE_PGM_RSRC2:TGID_Y_EN: 0
; COMPUTE_PGM_RSRC2:TGID_Z_EN: 0
; COMPUTE_PGM_RSRC2:TIDIG_COMP_CNT: 0
; COMPUTE_PGM_RSRC3_GFX90A:ACCUM_OFFSET: 0
; COMPUTE_PGM_RSRC3_GFX90A:TG_SPLIT: 0
	.section	.text._ZN7rocprim17ROCPRIM_400000_NS6detail17trampoline_kernelINS0_14default_configENS1_25partition_config_selectorILNS1_17partition_subalgoE2ExNS0_10empty_typeEbEEZZNS1_14partition_implILS5_2ELb0ES3_jN6thrust23THRUST_200600_302600_NS6detail15normal_iteratorINSA_7pointerIxNSA_11hip_rocprim3tagENSA_11use_defaultESG_EEEEPS6_NSA_18transform_iteratorINSA_8identityIxEENSC_INSA_10device_ptrIxEEEESG_SG_EENS0_5tupleIJPxSJ_EEENSR_IJSJ_SJ_EEES6_PlJS6_EEE10hipError_tPvRmT3_T4_T5_T6_T7_T9_mT8_P12ihipStream_tbDpT10_ENKUlT_T0_E_clISt17integral_constantIbLb1EES1E_IbLb0EEEEDaS1A_S1B_EUlS1A_E_NS1_11comp_targetILNS1_3genE10ELNS1_11target_archE1200ELNS1_3gpuE4ELNS1_3repE0EEENS1_30default_config_static_selectorELNS0_4arch9wavefront6targetE1EEEvT1_,"axG",@progbits,_ZN7rocprim17ROCPRIM_400000_NS6detail17trampoline_kernelINS0_14default_configENS1_25partition_config_selectorILNS1_17partition_subalgoE2ExNS0_10empty_typeEbEEZZNS1_14partition_implILS5_2ELb0ES3_jN6thrust23THRUST_200600_302600_NS6detail15normal_iteratorINSA_7pointerIxNSA_11hip_rocprim3tagENSA_11use_defaultESG_EEEEPS6_NSA_18transform_iteratorINSA_8identityIxEENSC_INSA_10device_ptrIxEEEESG_SG_EENS0_5tupleIJPxSJ_EEENSR_IJSJ_SJ_EEES6_PlJS6_EEE10hipError_tPvRmT3_T4_T5_T6_T7_T9_mT8_P12ihipStream_tbDpT10_ENKUlT_T0_E_clISt17integral_constantIbLb1EES1E_IbLb0EEEEDaS1A_S1B_EUlS1A_E_NS1_11comp_targetILNS1_3genE10ELNS1_11target_archE1200ELNS1_3gpuE4ELNS1_3repE0EEENS1_30default_config_static_selectorELNS0_4arch9wavefront6targetE1EEEvT1_,comdat
	.protected	_ZN7rocprim17ROCPRIM_400000_NS6detail17trampoline_kernelINS0_14default_configENS1_25partition_config_selectorILNS1_17partition_subalgoE2ExNS0_10empty_typeEbEEZZNS1_14partition_implILS5_2ELb0ES3_jN6thrust23THRUST_200600_302600_NS6detail15normal_iteratorINSA_7pointerIxNSA_11hip_rocprim3tagENSA_11use_defaultESG_EEEEPS6_NSA_18transform_iteratorINSA_8identityIxEENSC_INSA_10device_ptrIxEEEESG_SG_EENS0_5tupleIJPxSJ_EEENSR_IJSJ_SJ_EEES6_PlJS6_EEE10hipError_tPvRmT3_T4_T5_T6_T7_T9_mT8_P12ihipStream_tbDpT10_ENKUlT_T0_E_clISt17integral_constantIbLb1EES1E_IbLb0EEEEDaS1A_S1B_EUlS1A_E_NS1_11comp_targetILNS1_3genE10ELNS1_11target_archE1200ELNS1_3gpuE4ELNS1_3repE0EEENS1_30default_config_static_selectorELNS0_4arch9wavefront6targetE1EEEvT1_ ; -- Begin function _ZN7rocprim17ROCPRIM_400000_NS6detail17trampoline_kernelINS0_14default_configENS1_25partition_config_selectorILNS1_17partition_subalgoE2ExNS0_10empty_typeEbEEZZNS1_14partition_implILS5_2ELb0ES3_jN6thrust23THRUST_200600_302600_NS6detail15normal_iteratorINSA_7pointerIxNSA_11hip_rocprim3tagENSA_11use_defaultESG_EEEEPS6_NSA_18transform_iteratorINSA_8identityIxEENSC_INSA_10device_ptrIxEEEESG_SG_EENS0_5tupleIJPxSJ_EEENSR_IJSJ_SJ_EEES6_PlJS6_EEE10hipError_tPvRmT3_T4_T5_T6_T7_T9_mT8_P12ihipStream_tbDpT10_ENKUlT_T0_E_clISt17integral_constantIbLb1EES1E_IbLb0EEEEDaS1A_S1B_EUlS1A_E_NS1_11comp_targetILNS1_3genE10ELNS1_11target_archE1200ELNS1_3gpuE4ELNS1_3repE0EEENS1_30default_config_static_selectorELNS0_4arch9wavefront6targetE1EEEvT1_
	.globl	_ZN7rocprim17ROCPRIM_400000_NS6detail17trampoline_kernelINS0_14default_configENS1_25partition_config_selectorILNS1_17partition_subalgoE2ExNS0_10empty_typeEbEEZZNS1_14partition_implILS5_2ELb0ES3_jN6thrust23THRUST_200600_302600_NS6detail15normal_iteratorINSA_7pointerIxNSA_11hip_rocprim3tagENSA_11use_defaultESG_EEEEPS6_NSA_18transform_iteratorINSA_8identityIxEENSC_INSA_10device_ptrIxEEEESG_SG_EENS0_5tupleIJPxSJ_EEENSR_IJSJ_SJ_EEES6_PlJS6_EEE10hipError_tPvRmT3_T4_T5_T6_T7_T9_mT8_P12ihipStream_tbDpT10_ENKUlT_T0_E_clISt17integral_constantIbLb1EES1E_IbLb0EEEEDaS1A_S1B_EUlS1A_E_NS1_11comp_targetILNS1_3genE10ELNS1_11target_archE1200ELNS1_3gpuE4ELNS1_3repE0EEENS1_30default_config_static_selectorELNS0_4arch9wavefront6targetE1EEEvT1_
	.p2align	8
	.type	_ZN7rocprim17ROCPRIM_400000_NS6detail17trampoline_kernelINS0_14default_configENS1_25partition_config_selectorILNS1_17partition_subalgoE2ExNS0_10empty_typeEbEEZZNS1_14partition_implILS5_2ELb0ES3_jN6thrust23THRUST_200600_302600_NS6detail15normal_iteratorINSA_7pointerIxNSA_11hip_rocprim3tagENSA_11use_defaultESG_EEEEPS6_NSA_18transform_iteratorINSA_8identityIxEENSC_INSA_10device_ptrIxEEEESG_SG_EENS0_5tupleIJPxSJ_EEENSR_IJSJ_SJ_EEES6_PlJS6_EEE10hipError_tPvRmT3_T4_T5_T6_T7_T9_mT8_P12ihipStream_tbDpT10_ENKUlT_T0_E_clISt17integral_constantIbLb1EES1E_IbLb0EEEEDaS1A_S1B_EUlS1A_E_NS1_11comp_targetILNS1_3genE10ELNS1_11target_archE1200ELNS1_3gpuE4ELNS1_3repE0EEENS1_30default_config_static_selectorELNS0_4arch9wavefront6targetE1EEEvT1_,@function
_ZN7rocprim17ROCPRIM_400000_NS6detail17trampoline_kernelINS0_14default_configENS1_25partition_config_selectorILNS1_17partition_subalgoE2ExNS0_10empty_typeEbEEZZNS1_14partition_implILS5_2ELb0ES3_jN6thrust23THRUST_200600_302600_NS6detail15normal_iteratorINSA_7pointerIxNSA_11hip_rocprim3tagENSA_11use_defaultESG_EEEEPS6_NSA_18transform_iteratorINSA_8identityIxEENSC_INSA_10device_ptrIxEEEESG_SG_EENS0_5tupleIJPxSJ_EEENSR_IJSJ_SJ_EEES6_PlJS6_EEE10hipError_tPvRmT3_T4_T5_T6_T7_T9_mT8_P12ihipStream_tbDpT10_ENKUlT_T0_E_clISt17integral_constantIbLb1EES1E_IbLb0EEEEDaS1A_S1B_EUlS1A_E_NS1_11comp_targetILNS1_3genE10ELNS1_11target_archE1200ELNS1_3gpuE4ELNS1_3repE0EEENS1_30default_config_static_selectorELNS0_4arch9wavefront6targetE1EEEvT1_: ; @_ZN7rocprim17ROCPRIM_400000_NS6detail17trampoline_kernelINS0_14default_configENS1_25partition_config_selectorILNS1_17partition_subalgoE2ExNS0_10empty_typeEbEEZZNS1_14partition_implILS5_2ELb0ES3_jN6thrust23THRUST_200600_302600_NS6detail15normal_iteratorINSA_7pointerIxNSA_11hip_rocprim3tagENSA_11use_defaultESG_EEEEPS6_NSA_18transform_iteratorINSA_8identityIxEENSC_INSA_10device_ptrIxEEEESG_SG_EENS0_5tupleIJPxSJ_EEENSR_IJSJ_SJ_EEES6_PlJS6_EEE10hipError_tPvRmT3_T4_T5_T6_T7_T9_mT8_P12ihipStream_tbDpT10_ENKUlT_T0_E_clISt17integral_constantIbLb1EES1E_IbLb0EEEEDaS1A_S1B_EUlS1A_E_NS1_11comp_targetILNS1_3genE10ELNS1_11target_archE1200ELNS1_3gpuE4ELNS1_3repE0EEENS1_30default_config_static_selectorELNS0_4arch9wavefront6targetE1EEEvT1_
; %bb.0:
	.section	.rodata,"a",@progbits
	.p2align	6, 0x0
	.amdhsa_kernel _ZN7rocprim17ROCPRIM_400000_NS6detail17trampoline_kernelINS0_14default_configENS1_25partition_config_selectorILNS1_17partition_subalgoE2ExNS0_10empty_typeEbEEZZNS1_14partition_implILS5_2ELb0ES3_jN6thrust23THRUST_200600_302600_NS6detail15normal_iteratorINSA_7pointerIxNSA_11hip_rocprim3tagENSA_11use_defaultESG_EEEEPS6_NSA_18transform_iteratorINSA_8identityIxEENSC_INSA_10device_ptrIxEEEESG_SG_EENS0_5tupleIJPxSJ_EEENSR_IJSJ_SJ_EEES6_PlJS6_EEE10hipError_tPvRmT3_T4_T5_T6_T7_T9_mT8_P12ihipStream_tbDpT10_ENKUlT_T0_E_clISt17integral_constantIbLb1EES1E_IbLb0EEEEDaS1A_S1B_EUlS1A_E_NS1_11comp_targetILNS1_3genE10ELNS1_11target_archE1200ELNS1_3gpuE4ELNS1_3repE0EEENS1_30default_config_static_selectorELNS0_4arch9wavefront6targetE1EEEvT1_
		.amdhsa_group_segment_fixed_size 0
		.amdhsa_private_segment_fixed_size 0
		.amdhsa_kernarg_size 128
		.amdhsa_user_sgpr_count 2
		.amdhsa_user_sgpr_dispatch_ptr 0
		.amdhsa_user_sgpr_queue_ptr 0
		.amdhsa_user_sgpr_kernarg_segment_ptr 1
		.amdhsa_user_sgpr_dispatch_id 0
		.amdhsa_user_sgpr_kernarg_preload_length 0
		.amdhsa_user_sgpr_kernarg_preload_offset 0
		.amdhsa_user_sgpr_private_segment_size 0
		.amdhsa_uses_dynamic_stack 0
		.amdhsa_enable_private_segment 0
		.amdhsa_system_sgpr_workgroup_id_x 1
		.amdhsa_system_sgpr_workgroup_id_y 0
		.amdhsa_system_sgpr_workgroup_id_z 0
		.amdhsa_system_sgpr_workgroup_info 0
		.amdhsa_system_vgpr_workitem_id 0
		.amdhsa_next_free_vgpr 1
		.amdhsa_next_free_sgpr 0
		.amdhsa_accum_offset 4
		.amdhsa_reserve_vcc 0
		.amdhsa_float_round_mode_32 0
		.amdhsa_float_round_mode_16_64 0
		.amdhsa_float_denorm_mode_32 3
		.amdhsa_float_denorm_mode_16_64 3
		.amdhsa_dx10_clamp 1
		.amdhsa_ieee_mode 1
		.amdhsa_fp16_overflow 0
		.amdhsa_tg_split 0
		.amdhsa_exception_fp_ieee_invalid_op 0
		.amdhsa_exception_fp_denorm_src 0
		.amdhsa_exception_fp_ieee_div_zero 0
		.amdhsa_exception_fp_ieee_overflow 0
		.amdhsa_exception_fp_ieee_underflow 0
		.amdhsa_exception_fp_ieee_inexact 0
		.amdhsa_exception_int_div_zero 0
	.end_amdhsa_kernel
	.section	.text._ZN7rocprim17ROCPRIM_400000_NS6detail17trampoline_kernelINS0_14default_configENS1_25partition_config_selectorILNS1_17partition_subalgoE2ExNS0_10empty_typeEbEEZZNS1_14partition_implILS5_2ELb0ES3_jN6thrust23THRUST_200600_302600_NS6detail15normal_iteratorINSA_7pointerIxNSA_11hip_rocprim3tagENSA_11use_defaultESG_EEEEPS6_NSA_18transform_iteratorINSA_8identityIxEENSC_INSA_10device_ptrIxEEEESG_SG_EENS0_5tupleIJPxSJ_EEENSR_IJSJ_SJ_EEES6_PlJS6_EEE10hipError_tPvRmT3_T4_T5_T6_T7_T9_mT8_P12ihipStream_tbDpT10_ENKUlT_T0_E_clISt17integral_constantIbLb1EES1E_IbLb0EEEEDaS1A_S1B_EUlS1A_E_NS1_11comp_targetILNS1_3genE10ELNS1_11target_archE1200ELNS1_3gpuE4ELNS1_3repE0EEENS1_30default_config_static_selectorELNS0_4arch9wavefront6targetE1EEEvT1_,"axG",@progbits,_ZN7rocprim17ROCPRIM_400000_NS6detail17trampoline_kernelINS0_14default_configENS1_25partition_config_selectorILNS1_17partition_subalgoE2ExNS0_10empty_typeEbEEZZNS1_14partition_implILS5_2ELb0ES3_jN6thrust23THRUST_200600_302600_NS6detail15normal_iteratorINSA_7pointerIxNSA_11hip_rocprim3tagENSA_11use_defaultESG_EEEEPS6_NSA_18transform_iteratorINSA_8identityIxEENSC_INSA_10device_ptrIxEEEESG_SG_EENS0_5tupleIJPxSJ_EEENSR_IJSJ_SJ_EEES6_PlJS6_EEE10hipError_tPvRmT3_T4_T5_T6_T7_T9_mT8_P12ihipStream_tbDpT10_ENKUlT_T0_E_clISt17integral_constantIbLb1EES1E_IbLb0EEEEDaS1A_S1B_EUlS1A_E_NS1_11comp_targetILNS1_3genE10ELNS1_11target_archE1200ELNS1_3gpuE4ELNS1_3repE0EEENS1_30default_config_static_selectorELNS0_4arch9wavefront6targetE1EEEvT1_,comdat
.Lfunc_end502:
	.size	_ZN7rocprim17ROCPRIM_400000_NS6detail17trampoline_kernelINS0_14default_configENS1_25partition_config_selectorILNS1_17partition_subalgoE2ExNS0_10empty_typeEbEEZZNS1_14partition_implILS5_2ELb0ES3_jN6thrust23THRUST_200600_302600_NS6detail15normal_iteratorINSA_7pointerIxNSA_11hip_rocprim3tagENSA_11use_defaultESG_EEEEPS6_NSA_18transform_iteratorINSA_8identityIxEENSC_INSA_10device_ptrIxEEEESG_SG_EENS0_5tupleIJPxSJ_EEENSR_IJSJ_SJ_EEES6_PlJS6_EEE10hipError_tPvRmT3_T4_T5_T6_T7_T9_mT8_P12ihipStream_tbDpT10_ENKUlT_T0_E_clISt17integral_constantIbLb1EES1E_IbLb0EEEEDaS1A_S1B_EUlS1A_E_NS1_11comp_targetILNS1_3genE10ELNS1_11target_archE1200ELNS1_3gpuE4ELNS1_3repE0EEENS1_30default_config_static_selectorELNS0_4arch9wavefront6targetE1EEEvT1_, .Lfunc_end502-_ZN7rocprim17ROCPRIM_400000_NS6detail17trampoline_kernelINS0_14default_configENS1_25partition_config_selectorILNS1_17partition_subalgoE2ExNS0_10empty_typeEbEEZZNS1_14partition_implILS5_2ELb0ES3_jN6thrust23THRUST_200600_302600_NS6detail15normal_iteratorINSA_7pointerIxNSA_11hip_rocprim3tagENSA_11use_defaultESG_EEEEPS6_NSA_18transform_iteratorINSA_8identityIxEENSC_INSA_10device_ptrIxEEEESG_SG_EENS0_5tupleIJPxSJ_EEENSR_IJSJ_SJ_EEES6_PlJS6_EEE10hipError_tPvRmT3_T4_T5_T6_T7_T9_mT8_P12ihipStream_tbDpT10_ENKUlT_T0_E_clISt17integral_constantIbLb1EES1E_IbLb0EEEEDaS1A_S1B_EUlS1A_E_NS1_11comp_targetILNS1_3genE10ELNS1_11target_archE1200ELNS1_3gpuE4ELNS1_3repE0EEENS1_30default_config_static_selectorELNS0_4arch9wavefront6targetE1EEEvT1_
                                        ; -- End function
	.section	.AMDGPU.csdata,"",@progbits
; Kernel info:
; codeLenInByte = 0
; NumSgprs: 6
; NumVgprs: 0
; NumAgprs: 0
; TotalNumVgprs: 0
; ScratchSize: 0
; MemoryBound: 0
; FloatMode: 240
; IeeeMode: 1
; LDSByteSize: 0 bytes/workgroup (compile time only)
; SGPRBlocks: 0
; VGPRBlocks: 0
; NumSGPRsForWavesPerEU: 6
; NumVGPRsForWavesPerEU: 1
; AccumOffset: 4
; Occupancy: 8
; WaveLimiterHint : 0
; COMPUTE_PGM_RSRC2:SCRATCH_EN: 0
; COMPUTE_PGM_RSRC2:USER_SGPR: 2
; COMPUTE_PGM_RSRC2:TRAP_HANDLER: 0
; COMPUTE_PGM_RSRC2:TGID_X_EN: 1
; COMPUTE_PGM_RSRC2:TGID_Y_EN: 0
; COMPUTE_PGM_RSRC2:TGID_Z_EN: 0
; COMPUTE_PGM_RSRC2:TIDIG_COMP_CNT: 0
; COMPUTE_PGM_RSRC3_GFX90A:ACCUM_OFFSET: 0
; COMPUTE_PGM_RSRC3_GFX90A:TG_SPLIT: 0
	.section	.text._ZN7rocprim17ROCPRIM_400000_NS6detail17trampoline_kernelINS0_14default_configENS1_25partition_config_selectorILNS1_17partition_subalgoE2ExNS0_10empty_typeEbEEZZNS1_14partition_implILS5_2ELb0ES3_jN6thrust23THRUST_200600_302600_NS6detail15normal_iteratorINSA_7pointerIxNSA_11hip_rocprim3tagENSA_11use_defaultESG_EEEEPS6_NSA_18transform_iteratorINSA_8identityIxEENSC_INSA_10device_ptrIxEEEESG_SG_EENS0_5tupleIJPxSJ_EEENSR_IJSJ_SJ_EEES6_PlJS6_EEE10hipError_tPvRmT3_T4_T5_T6_T7_T9_mT8_P12ihipStream_tbDpT10_ENKUlT_T0_E_clISt17integral_constantIbLb1EES1E_IbLb0EEEEDaS1A_S1B_EUlS1A_E_NS1_11comp_targetILNS1_3genE9ELNS1_11target_archE1100ELNS1_3gpuE3ELNS1_3repE0EEENS1_30default_config_static_selectorELNS0_4arch9wavefront6targetE1EEEvT1_,"axG",@progbits,_ZN7rocprim17ROCPRIM_400000_NS6detail17trampoline_kernelINS0_14default_configENS1_25partition_config_selectorILNS1_17partition_subalgoE2ExNS0_10empty_typeEbEEZZNS1_14partition_implILS5_2ELb0ES3_jN6thrust23THRUST_200600_302600_NS6detail15normal_iteratorINSA_7pointerIxNSA_11hip_rocprim3tagENSA_11use_defaultESG_EEEEPS6_NSA_18transform_iteratorINSA_8identityIxEENSC_INSA_10device_ptrIxEEEESG_SG_EENS0_5tupleIJPxSJ_EEENSR_IJSJ_SJ_EEES6_PlJS6_EEE10hipError_tPvRmT3_T4_T5_T6_T7_T9_mT8_P12ihipStream_tbDpT10_ENKUlT_T0_E_clISt17integral_constantIbLb1EES1E_IbLb0EEEEDaS1A_S1B_EUlS1A_E_NS1_11comp_targetILNS1_3genE9ELNS1_11target_archE1100ELNS1_3gpuE3ELNS1_3repE0EEENS1_30default_config_static_selectorELNS0_4arch9wavefront6targetE1EEEvT1_,comdat
	.protected	_ZN7rocprim17ROCPRIM_400000_NS6detail17trampoline_kernelINS0_14default_configENS1_25partition_config_selectorILNS1_17partition_subalgoE2ExNS0_10empty_typeEbEEZZNS1_14partition_implILS5_2ELb0ES3_jN6thrust23THRUST_200600_302600_NS6detail15normal_iteratorINSA_7pointerIxNSA_11hip_rocprim3tagENSA_11use_defaultESG_EEEEPS6_NSA_18transform_iteratorINSA_8identityIxEENSC_INSA_10device_ptrIxEEEESG_SG_EENS0_5tupleIJPxSJ_EEENSR_IJSJ_SJ_EEES6_PlJS6_EEE10hipError_tPvRmT3_T4_T5_T6_T7_T9_mT8_P12ihipStream_tbDpT10_ENKUlT_T0_E_clISt17integral_constantIbLb1EES1E_IbLb0EEEEDaS1A_S1B_EUlS1A_E_NS1_11comp_targetILNS1_3genE9ELNS1_11target_archE1100ELNS1_3gpuE3ELNS1_3repE0EEENS1_30default_config_static_selectorELNS0_4arch9wavefront6targetE1EEEvT1_ ; -- Begin function _ZN7rocprim17ROCPRIM_400000_NS6detail17trampoline_kernelINS0_14default_configENS1_25partition_config_selectorILNS1_17partition_subalgoE2ExNS0_10empty_typeEbEEZZNS1_14partition_implILS5_2ELb0ES3_jN6thrust23THRUST_200600_302600_NS6detail15normal_iteratorINSA_7pointerIxNSA_11hip_rocprim3tagENSA_11use_defaultESG_EEEEPS6_NSA_18transform_iteratorINSA_8identityIxEENSC_INSA_10device_ptrIxEEEESG_SG_EENS0_5tupleIJPxSJ_EEENSR_IJSJ_SJ_EEES6_PlJS6_EEE10hipError_tPvRmT3_T4_T5_T6_T7_T9_mT8_P12ihipStream_tbDpT10_ENKUlT_T0_E_clISt17integral_constantIbLb1EES1E_IbLb0EEEEDaS1A_S1B_EUlS1A_E_NS1_11comp_targetILNS1_3genE9ELNS1_11target_archE1100ELNS1_3gpuE3ELNS1_3repE0EEENS1_30default_config_static_selectorELNS0_4arch9wavefront6targetE1EEEvT1_
	.globl	_ZN7rocprim17ROCPRIM_400000_NS6detail17trampoline_kernelINS0_14default_configENS1_25partition_config_selectorILNS1_17partition_subalgoE2ExNS0_10empty_typeEbEEZZNS1_14partition_implILS5_2ELb0ES3_jN6thrust23THRUST_200600_302600_NS6detail15normal_iteratorINSA_7pointerIxNSA_11hip_rocprim3tagENSA_11use_defaultESG_EEEEPS6_NSA_18transform_iteratorINSA_8identityIxEENSC_INSA_10device_ptrIxEEEESG_SG_EENS0_5tupleIJPxSJ_EEENSR_IJSJ_SJ_EEES6_PlJS6_EEE10hipError_tPvRmT3_T4_T5_T6_T7_T9_mT8_P12ihipStream_tbDpT10_ENKUlT_T0_E_clISt17integral_constantIbLb1EES1E_IbLb0EEEEDaS1A_S1B_EUlS1A_E_NS1_11comp_targetILNS1_3genE9ELNS1_11target_archE1100ELNS1_3gpuE3ELNS1_3repE0EEENS1_30default_config_static_selectorELNS0_4arch9wavefront6targetE1EEEvT1_
	.p2align	8
	.type	_ZN7rocprim17ROCPRIM_400000_NS6detail17trampoline_kernelINS0_14default_configENS1_25partition_config_selectorILNS1_17partition_subalgoE2ExNS0_10empty_typeEbEEZZNS1_14partition_implILS5_2ELb0ES3_jN6thrust23THRUST_200600_302600_NS6detail15normal_iteratorINSA_7pointerIxNSA_11hip_rocprim3tagENSA_11use_defaultESG_EEEEPS6_NSA_18transform_iteratorINSA_8identityIxEENSC_INSA_10device_ptrIxEEEESG_SG_EENS0_5tupleIJPxSJ_EEENSR_IJSJ_SJ_EEES6_PlJS6_EEE10hipError_tPvRmT3_T4_T5_T6_T7_T9_mT8_P12ihipStream_tbDpT10_ENKUlT_T0_E_clISt17integral_constantIbLb1EES1E_IbLb0EEEEDaS1A_S1B_EUlS1A_E_NS1_11comp_targetILNS1_3genE9ELNS1_11target_archE1100ELNS1_3gpuE3ELNS1_3repE0EEENS1_30default_config_static_selectorELNS0_4arch9wavefront6targetE1EEEvT1_,@function
_ZN7rocprim17ROCPRIM_400000_NS6detail17trampoline_kernelINS0_14default_configENS1_25partition_config_selectorILNS1_17partition_subalgoE2ExNS0_10empty_typeEbEEZZNS1_14partition_implILS5_2ELb0ES3_jN6thrust23THRUST_200600_302600_NS6detail15normal_iteratorINSA_7pointerIxNSA_11hip_rocprim3tagENSA_11use_defaultESG_EEEEPS6_NSA_18transform_iteratorINSA_8identityIxEENSC_INSA_10device_ptrIxEEEESG_SG_EENS0_5tupleIJPxSJ_EEENSR_IJSJ_SJ_EEES6_PlJS6_EEE10hipError_tPvRmT3_T4_T5_T6_T7_T9_mT8_P12ihipStream_tbDpT10_ENKUlT_T0_E_clISt17integral_constantIbLb1EES1E_IbLb0EEEEDaS1A_S1B_EUlS1A_E_NS1_11comp_targetILNS1_3genE9ELNS1_11target_archE1100ELNS1_3gpuE3ELNS1_3repE0EEENS1_30default_config_static_selectorELNS0_4arch9wavefront6targetE1EEEvT1_: ; @_ZN7rocprim17ROCPRIM_400000_NS6detail17trampoline_kernelINS0_14default_configENS1_25partition_config_selectorILNS1_17partition_subalgoE2ExNS0_10empty_typeEbEEZZNS1_14partition_implILS5_2ELb0ES3_jN6thrust23THRUST_200600_302600_NS6detail15normal_iteratorINSA_7pointerIxNSA_11hip_rocprim3tagENSA_11use_defaultESG_EEEEPS6_NSA_18transform_iteratorINSA_8identityIxEENSC_INSA_10device_ptrIxEEEESG_SG_EENS0_5tupleIJPxSJ_EEENSR_IJSJ_SJ_EEES6_PlJS6_EEE10hipError_tPvRmT3_T4_T5_T6_T7_T9_mT8_P12ihipStream_tbDpT10_ENKUlT_T0_E_clISt17integral_constantIbLb1EES1E_IbLb0EEEEDaS1A_S1B_EUlS1A_E_NS1_11comp_targetILNS1_3genE9ELNS1_11target_archE1100ELNS1_3gpuE3ELNS1_3repE0EEENS1_30default_config_static_selectorELNS0_4arch9wavefront6targetE1EEEvT1_
; %bb.0:
	.section	.rodata,"a",@progbits
	.p2align	6, 0x0
	.amdhsa_kernel _ZN7rocprim17ROCPRIM_400000_NS6detail17trampoline_kernelINS0_14default_configENS1_25partition_config_selectorILNS1_17partition_subalgoE2ExNS0_10empty_typeEbEEZZNS1_14partition_implILS5_2ELb0ES3_jN6thrust23THRUST_200600_302600_NS6detail15normal_iteratorINSA_7pointerIxNSA_11hip_rocprim3tagENSA_11use_defaultESG_EEEEPS6_NSA_18transform_iteratorINSA_8identityIxEENSC_INSA_10device_ptrIxEEEESG_SG_EENS0_5tupleIJPxSJ_EEENSR_IJSJ_SJ_EEES6_PlJS6_EEE10hipError_tPvRmT3_T4_T5_T6_T7_T9_mT8_P12ihipStream_tbDpT10_ENKUlT_T0_E_clISt17integral_constantIbLb1EES1E_IbLb0EEEEDaS1A_S1B_EUlS1A_E_NS1_11comp_targetILNS1_3genE9ELNS1_11target_archE1100ELNS1_3gpuE3ELNS1_3repE0EEENS1_30default_config_static_selectorELNS0_4arch9wavefront6targetE1EEEvT1_
		.amdhsa_group_segment_fixed_size 0
		.amdhsa_private_segment_fixed_size 0
		.amdhsa_kernarg_size 128
		.amdhsa_user_sgpr_count 2
		.amdhsa_user_sgpr_dispatch_ptr 0
		.amdhsa_user_sgpr_queue_ptr 0
		.amdhsa_user_sgpr_kernarg_segment_ptr 1
		.amdhsa_user_sgpr_dispatch_id 0
		.amdhsa_user_sgpr_kernarg_preload_length 0
		.amdhsa_user_sgpr_kernarg_preload_offset 0
		.amdhsa_user_sgpr_private_segment_size 0
		.amdhsa_uses_dynamic_stack 0
		.amdhsa_enable_private_segment 0
		.amdhsa_system_sgpr_workgroup_id_x 1
		.amdhsa_system_sgpr_workgroup_id_y 0
		.amdhsa_system_sgpr_workgroup_id_z 0
		.amdhsa_system_sgpr_workgroup_info 0
		.amdhsa_system_vgpr_workitem_id 0
		.amdhsa_next_free_vgpr 1
		.amdhsa_next_free_sgpr 0
		.amdhsa_accum_offset 4
		.amdhsa_reserve_vcc 0
		.amdhsa_float_round_mode_32 0
		.amdhsa_float_round_mode_16_64 0
		.amdhsa_float_denorm_mode_32 3
		.amdhsa_float_denorm_mode_16_64 3
		.amdhsa_dx10_clamp 1
		.amdhsa_ieee_mode 1
		.amdhsa_fp16_overflow 0
		.amdhsa_tg_split 0
		.amdhsa_exception_fp_ieee_invalid_op 0
		.amdhsa_exception_fp_denorm_src 0
		.amdhsa_exception_fp_ieee_div_zero 0
		.amdhsa_exception_fp_ieee_overflow 0
		.amdhsa_exception_fp_ieee_underflow 0
		.amdhsa_exception_fp_ieee_inexact 0
		.amdhsa_exception_int_div_zero 0
	.end_amdhsa_kernel
	.section	.text._ZN7rocprim17ROCPRIM_400000_NS6detail17trampoline_kernelINS0_14default_configENS1_25partition_config_selectorILNS1_17partition_subalgoE2ExNS0_10empty_typeEbEEZZNS1_14partition_implILS5_2ELb0ES3_jN6thrust23THRUST_200600_302600_NS6detail15normal_iteratorINSA_7pointerIxNSA_11hip_rocprim3tagENSA_11use_defaultESG_EEEEPS6_NSA_18transform_iteratorINSA_8identityIxEENSC_INSA_10device_ptrIxEEEESG_SG_EENS0_5tupleIJPxSJ_EEENSR_IJSJ_SJ_EEES6_PlJS6_EEE10hipError_tPvRmT3_T4_T5_T6_T7_T9_mT8_P12ihipStream_tbDpT10_ENKUlT_T0_E_clISt17integral_constantIbLb1EES1E_IbLb0EEEEDaS1A_S1B_EUlS1A_E_NS1_11comp_targetILNS1_3genE9ELNS1_11target_archE1100ELNS1_3gpuE3ELNS1_3repE0EEENS1_30default_config_static_selectorELNS0_4arch9wavefront6targetE1EEEvT1_,"axG",@progbits,_ZN7rocprim17ROCPRIM_400000_NS6detail17trampoline_kernelINS0_14default_configENS1_25partition_config_selectorILNS1_17partition_subalgoE2ExNS0_10empty_typeEbEEZZNS1_14partition_implILS5_2ELb0ES3_jN6thrust23THRUST_200600_302600_NS6detail15normal_iteratorINSA_7pointerIxNSA_11hip_rocprim3tagENSA_11use_defaultESG_EEEEPS6_NSA_18transform_iteratorINSA_8identityIxEENSC_INSA_10device_ptrIxEEEESG_SG_EENS0_5tupleIJPxSJ_EEENSR_IJSJ_SJ_EEES6_PlJS6_EEE10hipError_tPvRmT3_T4_T5_T6_T7_T9_mT8_P12ihipStream_tbDpT10_ENKUlT_T0_E_clISt17integral_constantIbLb1EES1E_IbLb0EEEEDaS1A_S1B_EUlS1A_E_NS1_11comp_targetILNS1_3genE9ELNS1_11target_archE1100ELNS1_3gpuE3ELNS1_3repE0EEENS1_30default_config_static_selectorELNS0_4arch9wavefront6targetE1EEEvT1_,comdat
.Lfunc_end503:
	.size	_ZN7rocprim17ROCPRIM_400000_NS6detail17trampoline_kernelINS0_14default_configENS1_25partition_config_selectorILNS1_17partition_subalgoE2ExNS0_10empty_typeEbEEZZNS1_14partition_implILS5_2ELb0ES3_jN6thrust23THRUST_200600_302600_NS6detail15normal_iteratorINSA_7pointerIxNSA_11hip_rocprim3tagENSA_11use_defaultESG_EEEEPS6_NSA_18transform_iteratorINSA_8identityIxEENSC_INSA_10device_ptrIxEEEESG_SG_EENS0_5tupleIJPxSJ_EEENSR_IJSJ_SJ_EEES6_PlJS6_EEE10hipError_tPvRmT3_T4_T5_T6_T7_T9_mT8_P12ihipStream_tbDpT10_ENKUlT_T0_E_clISt17integral_constantIbLb1EES1E_IbLb0EEEEDaS1A_S1B_EUlS1A_E_NS1_11comp_targetILNS1_3genE9ELNS1_11target_archE1100ELNS1_3gpuE3ELNS1_3repE0EEENS1_30default_config_static_selectorELNS0_4arch9wavefront6targetE1EEEvT1_, .Lfunc_end503-_ZN7rocprim17ROCPRIM_400000_NS6detail17trampoline_kernelINS0_14default_configENS1_25partition_config_selectorILNS1_17partition_subalgoE2ExNS0_10empty_typeEbEEZZNS1_14partition_implILS5_2ELb0ES3_jN6thrust23THRUST_200600_302600_NS6detail15normal_iteratorINSA_7pointerIxNSA_11hip_rocprim3tagENSA_11use_defaultESG_EEEEPS6_NSA_18transform_iteratorINSA_8identityIxEENSC_INSA_10device_ptrIxEEEESG_SG_EENS0_5tupleIJPxSJ_EEENSR_IJSJ_SJ_EEES6_PlJS6_EEE10hipError_tPvRmT3_T4_T5_T6_T7_T9_mT8_P12ihipStream_tbDpT10_ENKUlT_T0_E_clISt17integral_constantIbLb1EES1E_IbLb0EEEEDaS1A_S1B_EUlS1A_E_NS1_11comp_targetILNS1_3genE9ELNS1_11target_archE1100ELNS1_3gpuE3ELNS1_3repE0EEENS1_30default_config_static_selectorELNS0_4arch9wavefront6targetE1EEEvT1_
                                        ; -- End function
	.section	.AMDGPU.csdata,"",@progbits
; Kernel info:
; codeLenInByte = 0
; NumSgprs: 6
; NumVgprs: 0
; NumAgprs: 0
; TotalNumVgprs: 0
; ScratchSize: 0
; MemoryBound: 0
; FloatMode: 240
; IeeeMode: 1
; LDSByteSize: 0 bytes/workgroup (compile time only)
; SGPRBlocks: 0
; VGPRBlocks: 0
; NumSGPRsForWavesPerEU: 6
; NumVGPRsForWavesPerEU: 1
; AccumOffset: 4
; Occupancy: 8
; WaveLimiterHint : 0
; COMPUTE_PGM_RSRC2:SCRATCH_EN: 0
; COMPUTE_PGM_RSRC2:USER_SGPR: 2
; COMPUTE_PGM_RSRC2:TRAP_HANDLER: 0
; COMPUTE_PGM_RSRC2:TGID_X_EN: 1
; COMPUTE_PGM_RSRC2:TGID_Y_EN: 0
; COMPUTE_PGM_RSRC2:TGID_Z_EN: 0
; COMPUTE_PGM_RSRC2:TIDIG_COMP_CNT: 0
; COMPUTE_PGM_RSRC3_GFX90A:ACCUM_OFFSET: 0
; COMPUTE_PGM_RSRC3_GFX90A:TG_SPLIT: 0
	.section	.text._ZN7rocprim17ROCPRIM_400000_NS6detail17trampoline_kernelINS0_14default_configENS1_25partition_config_selectorILNS1_17partition_subalgoE2ExNS0_10empty_typeEbEEZZNS1_14partition_implILS5_2ELb0ES3_jN6thrust23THRUST_200600_302600_NS6detail15normal_iteratorINSA_7pointerIxNSA_11hip_rocprim3tagENSA_11use_defaultESG_EEEEPS6_NSA_18transform_iteratorINSA_8identityIxEENSC_INSA_10device_ptrIxEEEESG_SG_EENS0_5tupleIJPxSJ_EEENSR_IJSJ_SJ_EEES6_PlJS6_EEE10hipError_tPvRmT3_T4_T5_T6_T7_T9_mT8_P12ihipStream_tbDpT10_ENKUlT_T0_E_clISt17integral_constantIbLb1EES1E_IbLb0EEEEDaS1A_S1B_EUlS1A_E_NS1_11comp_targetILNS1_3genE8ELNS1_11target_archE1030ELNS1_3gpuE2ELNS1_3repE0EEENS1_30default_config_static_selectorELNS0_4arch9wavefront6targetE1EEEvT1_,"axG",@progbits,_ZN7rocprim17ROCPRIM_400000_NS6detail17trampoline_kernelINS0_14default_configENS1_25partition_config_selectorILNS1_17partition_subalgoE2ExNS0_10empty_typeEbEEZZNS1_14partition_implILS5_2ELb0ES3_jN6thrust23THRUST_200600_302600_NS6detail15normal_iteratorINSA_7pointerIxNSA_11hip_rocprim3tagENSA_11use_defaultESG_EEEEPS6_NSA_18transform_iteratorINSA_8identityIxEENSC_INSA_10device_ptrIxEEEESG_SG_EENS0_5tupleIJPxSJ_EEENSR_IJSJ_SJ_EEES6_PlJS6_EEE10hipError_tPvRmT3_T4_T5_T6_T7_T9_mT8_P12ihipStream_tbDpT10_ENKUlT_T0_E_clISt17integral_constantIbLb1EES1E_IbLb0EEEEDaS1A_S1B_EUlS1A_E_NS1_11comp_targetILNS1_3genE8ELNS1_11target_archE1030ELNS1_3gpuE2ELNS1_3repE0EEENS1_30default_config_static_selectorELNS0_4arch9wavefront6targetE1EEEvT1_,comdat
	.protected	_ZN7rocprim17ROCPRIM_400000_NS6detail17trampoline_kernelINS0_14default_configENS1_25partition_config_selectorILNS1_17partition_subalgoE2ExNS0_10empty_typeEbEEZZNS1_14partition_implILS5_2ELb0ES3_jN6thrust23THRUST_200600_302600_NS6detail15normal_iteratorINSA_7pointerIxNSA_11hip_rocprim3tagENSA_11use_defaultESG_EEEEPS6_NSA_18transform_iteratorINSA_8identityIxEENSC_INSA_10device_ptrIxEEEESG_SG_EENS0_5tupleIJPxSJ_EEENSR_IJSJ_SJ_EEES6_PlJS6_EEE10hipError_tPvRmT3_T4_T5_T6_T7_T9_mT8_P12ihipStream_tbDpT10_ENKUlT_T0_E_clISt17integral_constantIbLb1EES1E_IbLb0EEEEDaS1A_S1B_EUlS1A_E_NS1_11comp_targetILNS1_3genE8ELNS1_11target_archE1030ELNS1_3gpuE2ELNS1_3repE0EEENS1_30default_config_static_selectorELNS0_4arch9wavefront6targetE1EEEvT1_ ; -- Begin function _ZN7rocprim17ROCPRIM_400000_NS6detail17trampoline_kernelINS0_14default_configENS1_25partition_config_selectorILNS1_17partition_subalgoE2ExNS0_10empty_typeEbEEZZNS1_14partition_implILS5_2ELb0ES3_jN6thrust23THRUST_200600_302600_NS6detail15normal_iteratorINSA_7pointerIxNSA_11hip_rocprim3tagENSA_11use_defaultESG_EEEEPS6_NSA_18transform_iteratorINSA_8identityIxEENSC_INSA_10device_ptrIxEEEESG_SG_EENS0_5tupleIJPxSJ_EEENSR_IJSJ_SJ_EEES6_PlJS6_EEE10hipError_tPvRmT3_T4_T5_T6_T7_T9_mT8_P12ihipStream_tbDpT10_ENKUlT_T0_E_clISt17integral_constantIbLb1EES1E_IbLb0EEEEDaS1A_S1B_EUlS1A_E_NS1_11comp_targetILNS1_3genE8ELNS1_11target_archE1030ELNS1_3gpuE2ELNS1_3repE0EEENS1_30default_config_static_selectorELNS0_4arch9wavefront6targetE1EEEvT1_
	.globl	_ZN7rocprim17ROCPRIM_400000_NS6detail17trampoline_kernelINS0_14default_configENS1_25partition_config_selectorILNS1_17partition_subalgoE2ExNS0_10empty_typeEbEEZZNS1_14partition_implILS5_2ELb0ES3_jN6thrust23THRUST_200600_302600_NS6detail15normal_iteratorINSA_7pointerIxNSA_11hip_rocprim3tagENSA_11use_defaultESG_EEEEPS6_NSA_18transform_iteratorINSA_8identityIxEENSC_INSA_10device_ptrIxEEEESG_SG_EENS0_5tupleIJPxSJ_EEENSR_IJSJ_SJ_EEES6_PlJS6_EEE10hipError_tPvRmT3_T4_T5_T6_T7_T9_mT8_P12ihipStream_tbDpT10_ENKUlT_T0_E_clISt17integral_constantIbLb1EES1E_IbLb0EEEEDaS1A_S1B_EUlS1A_E_NS1_11comp_targetILNS1_3genE8ELNS1_11target_archE1030ELNS1_3gpuE2ELNS1_3repE0EEENS1_30default_config_static_selectorELNS0_4arch9wavefront6targetE1EEEvT1_
	.p2align	8
	.type	_ZN7rocprim17ROCPRIM_400000_NS6detail17trampoline_kernelINS0_14default_configENS1_25partition_config_selectorILNS1_17partition_subalgoE2ExNS0_10empty_typeEbEEZZNS1_14partition_implILS5_2ELb0ES3_jN6thrust23THRUST_200600_302600_NS6detail15normal_iteratorINSA_7pointerIxNSA_11hip_rocprim3tagENSA_11use_defaultESG_EEEEPS6_NSA_18transform_iteratorINSA_8identityIxEENSC_INSA_10device_ptrIxEEEESG_SG_EENS0_5tupleIJPxSJ_EEENSR_IJSJ_SJ_EEES6_PlJS6_EEE10hipError_tPvRmT3_T4_T5_T6_T7_T9_mT8_P12ihipStream_tbDpT10_ENKUlT_T0_E_clISt17integral_constantIbLb1EES1E_IbLb0EEEEDaS1A_S1B_EUlS1A_E_NS1_11comp_targetILNS1_3genE8ELNS1_11target_archE1030ELNS1_3gpuE2ELNS1_3repE0EEENS1_30default_config_static_selectorELNS0_4arch9wavefront6targetE1EEEvT1_,@function
_ZN7rocprim17ROCPRIM_400000_NS6detail17trampoline_kernelINS0_14default_configENS1_25partition_config_selectorILNS1_17partition_subalgoE2ExNS0_10empty_typeEbEEZZNS1_14partition_implILS5_2ELb0ES3_jN6thrust23THRUST_200600_302600_NS6detail15normal_iteratorINSA_7pointerIxNSA_11hip_rocprim3tagENSA_11use_defaultESG_EEEEPS6_NSA_18transform_iteratorINSA_8identityIxEENSC_INSA_10device_ptrIxEEEESG_SG_EENS0_5tupleIJPxSJ_EEENSR_IJSJ_SJ_EEES6_PlJS6_EEE10hipError_tPvRmT3_T4_T5_T6_T7_T9_mT8_P12ihipStream_tbDpT10_ENKUlT_T0_E_clISt17integral_constantIbLb1EES1E_IbLb0EEEEDaS1A_S1B_EUlS1A_E_NS1_11comp_targetILNS1_3genE8ELNS1_11target_archE1030ELNS1_3gpuE2ELNS1_3repE0EEENS1_30default_config_static_selectorELNS0_4arch9wavefront6targetE1EEEvT1_: ; @_ZN7rocprim17ROCPRIM_400000_NS6detail17trampoline_kernelINS0_14default_configENS1_25partition_config_selectorILNS1_17partition_subalgoE2ExNS0_10empty_typeEbEEZZNS1_14partition_implILS5_2ELb0ES3_jN6thrust23THRUST_200600_302600_NS6detail15normal_iteratorINSA_7pointerIxNSA_11hip_rocprim3tagENSA_11use_defaultESG_EEEEPS6_NSA_18transform_iteratorINSA_8identityIxEENSC_INSA_10device_ptrIxEEEESG_SG_EENS0_5tupleIJPxSJ_EEENSR_IJSJ_SJ_EEES6_PlJS6_EEE10hipError_tPvRmT3_T4_T5_T6_T7_T9_mT8_P12ihipStream_tbDpT10_ENKUlT_T0_E_clISt17integral_constantIbLb1EES1E_IbLb0EEEEDaS1A_S1B_EUlS1A_E_NS1_11comp_targetILNS1_3genE8ELNS1_11target_archE1030ELNS1_3gpuE2ELNS1_3repE0EEENS1_30default_config_static_selectorELNS0_4arch9wavefront6targetE1EEEvT1_
; %bb.0:
	.section	.rodata,"a",@progbits
	.p2align	6, 0x0
	.amdhsa_kernel _ZN7rocprim17ROCPRIM_400000_NS6detail17trampoline_kernelINS0_14default_configENS1_25partition_config_selectorILNS1_17partition_subalgoE2ExNS0_10empty_typeEbEEZZNS1_14partition_implILS5_2ELb0ES3_jN6thrust23THRUST_200600_302600_NS6detail15normal_iteratorINSA_7pointerIxNSA_11hip_rocprim3tagENSA_11use_defaultESG_EEEEPS6_NSA_18transform_iteratorINSA_8identityIxEENSC_INSA_10device_ptrIxEEEESG_SG_EENS0_5tupleIJPxSJ_EEENSR_IJSJ_SJ_EEES6_PlJS6_EEE10hipError_tPvRmT3_T4_T5_T6_T7_T9_mT8_P12ihipStream_tbDpT10_ENKUlT_T0_E_clISt17integral_constantIbLb1EES1E_IbLb0EEEEDaS1A_S1B_EUlS1A_E_NS1_11comp_targetILNS1_3genE8ELNS1_11target_archE1030ELNS1_3gpuE2ELNS1_3repE0EEENS1_30default_config_static_selectorELNS0_4arch9wavefront6targetE1EEEvT1_
		.amdhsa_group_segment_fixed_size 0
		.amdhsa_private_segment_fixed_size 0
		.amdhsa_kernarg_size 128
		.amdhsa_user_sgpr_count 2
		.amdhsa_user_sgpr_dispatch_ptr 0
		.amdhsa_user_sgpr_queue_ptr 0
		.amdhsa_user_sgpr_kernarg_segment_ptr 1
		.amdhsa_user_sgpr_dispatch_id 0
		.amdhsa_user_sgpr_kernarg_preload_length 0
		.amdhsa_user_sgpr_kernarg_preload_offset 0
		.amdhsa_user_sgpr_private_segment_size 0
		.amdhsa_uses_dynamic_stack 0
		.amdhsa_enable_private_segment 0
		.amdhsa_system_sgpr_workgroup_id_x 1
		.amdhsa_system_sgpr_workgroup_id_y 0
		.amdhsa_system_sgpr_workgroup_id_z 0
		.amdhsa_system_sgpr_workgroup_info 0
		.amdhsa_system_vgpr_workitem_id 0
		.amdhsa_next_free_vgpr 1
		.amdhsa_next_free_sgpr 0
		.amdhsa_accum_offset 4
		.amdhsa_reserve_vcc 0
		.amdhsa_float_round_mode_32 0
		.amdhsa_float_round_mode_16_64 0
		.amdhsa_float_denorm_mode_32 3
		.amdhsa_float_denorm_mode_16_64 3
		.amdhsa_dx10_clamp 1
		.amdhsa_ieee_mode 1
		.amdhsa_fp16_overflow 0
		.amdhsa_tg_split 0
		.amdhsa_exception_fp_ieee_invalid_op 0
		.amdhsa_exception_fp_denorm_src 0
		.amdhsa_exception_fp_ieee_div_zero 0
		.amdhsa_exception_fp_ieee_overflow 0
		.amdhsa_exception_fp_ieee_underflow 0
		.amdhsa_exception_fp_ieee_inexact 0
		.amdhsa_exception_int_div_zero 0
	.end_amdhsa_kernel
	.section	.text._ZN7rocprim17ROCPRIM_400000_NS6detail17trampoline_kernelINS0_14default_configENS1_25partition_config_selectorILNS1_17partition_subalgoE2ExNS0_10empty_typeEbEEZZNS1_14partition_implILS5_2ELb0ES3_jN6thrust23THRUST_200600_302600_NS6detail15normal_iteratorINSA_7pointerIxNSA_11hip_rocprim3tagENSA_11use_defaultESG_EEEEPS6_NSA_18transform_iteratorINSA_8identityIxEENSC_INSA_10device_ptrIxEEEESG_SG_EENS0_5tupleIJPxSJ_EEENSR_IJSJ_SJ_EEES6_PlJS6_EEE10hipError_tPvRmT3_T4_T5_T6_T7_T9_mT8_P12ihipStream_tbDpT10_ENKUlT_T0_E_clISt17integral_constantIbLb1EES1E_IbLb0EEEEDaS1A_S1B_EUlS1A_E_NS1_11comp_targetILNS1_3genE8ELNS1_11target_archE1030ELNS1_3gpuE2ELNS1_3repE0EEENS1_30default_config_static_selectorELNS0_4arch9wavefront6targetE1EEEvT1_,"axG",@progbits,_ZN7rocprim17ROCPRIM_400000_NS6detail17trampoline_kernelINS0_14default_configENS1_25partition_config_selectorILNS1_17partition_subalgoE2ExNS0_10empty_typeEbEEZZNS1_14partition_implILS5_2ELb0ES3_jN6thrust23THRUST_200600_302600_NS6detail15normal_iteratorINSA_7pointerIxNSA_11hip_rocprim3tagENSA_11use_defaultESG_EEEEPS6_NSA_18transform_iteratorINSA_8identityIxEENSC_INSA_10device_ptrIxEEEESG_SG_EENS0_5tupleIJPxSJ_EEENSR_IJSJ_SJ_EEES6_PlJS6_EEE10hipError_tPvRmT3_T4_T5_T6_T7_T9_mT8_P12ihipStream_tbDpT10_ENKUlT_T0_E_clISt17integral_constantIbLb1EES1E_IbLb0EEEEDaS1A_S1B_EUlS1A_E_NS1_11comp_targetILNS1_3genE8ELNS1_11target_archE1030ELNS1_3gpuE2ELNS1_3repE0EEENS1_30default_config_static_selectorELNS0_4arch9wavefront6targetE1EEEvT1_,comdat
.Lfunc_end504:
	.size	_ZN7rocprim17ROCPRIM_400000_NS6detail17trampoline_kernelINS0_14default_configENS1_25partition_config_selectorILNS1_17partition_subalgoE2ExNS0_10empty_typeEbEEZZNS1_14partition_implILS5_2ELb0ES3_jN6thrust23THRUST_200600_302600_NS6detail15normal_iteratorINSA_7pointerIxNSA_11hip_rocprim3tagENSA_11use_defaultESG_EEEEPS6_NSA_18transform_iteratorINSA_8identityIxEENSC_INSA_10device_ptrIxEEEESG_SG_EENS0_5tupleIJPxSJ_EEENSR_IJSJ_SJ_EEES6_PlJS6_EEE10hipError_tPvRmT3_T4_T5_T6_T7_T9_mT8_P12ihipStream_tbDpT10_ENKUlT_T0_E_clISt17integral_constantIbLb1EES1E_IbLb0EEEEDaS1A_S1B_EUlS1A_E_NS1_11comp_targetILNS1_3genE8ELNS1_11target_archE1030ELNS1_3gpuE2ELNS1_3repE0EEENS1_30default_config_static_selectorELNS0_4arch9wavefront6targetE1EEEvT1_, .Lfunc_end504-_ZN7rocprim17ROCPRIM_400000_NS6detail17trampoline_kernelINS0_14default_configENS1_25partition_config_selectorILNS1_17partition_subalgoE2ExNS0_10empty_typeEbEEZZNS1_14partition_implILS5_2ELb0ES3_jN6thrust23THRUST_200600_302600_NS6detail15normal_iteratorINSA_7pointerIxNSA_11hip_rocprim3tagENSA_11use_defaultESG_EEEEPS6_NSA_18transform_iteratorINSA_8identityIxEENSC_INSA_10device_ptrIxEEEESG_SG_EENS0_5tupleIJPxSJ_EEENSR_IJSJ_SJ_EEES6_PlJS6_EEE10hipError_tPvRmT3_T4_T5_T6_T7_T9_mT8_P12ihipStream_tbDpT10_ENKUlT_T0_E_clISt17integral_constantIbLb1EES1E_IbLb0EEEEDaS1A_S1B_EUlS1A_E_NS1_11comp_targetILNS1_3genE8ELNS1_11target_archE1030ELNS1_3gpuE2ELNS1_3repE0EEENS1_30default_config_static_selectorELNS0_4arch9wavefront6targetE1EEEvT1_
                                        ; -- End function
	.section	.AMDGPU.csdata,"",@progbits
; Kernel info:
; codeLenInByte = 0
; NumSgprs: 6
; NumVgprs: 0
; NumAgprs: 0
; TotalNumVgprs: 0
; ScratchSize: 0
; MemoryBound: 0
; FloatMode: 240
; IeeeMode: 1
; LDSByteSize: 0 bytes/workgroup (compile time only)
; SGPRBlocks: 0
; VGPRBlocks: 0
; NumSGPRsForWavesPerEU: 6
; NumVGPRsForWavesPerEU: 1
; AccumOffset: 4
; Occupancy: 8
; WaveLimiterHint : 0
; COMPUTE_PGM_RSRC2:SCRATCH_EN: 0
; COMPUTE_PGM_RSRC2:USER_SGPR: 2
; COMPUTE_PGM_RSRC2:TRAP_HANDLER: 0
; COMPUTE_PGM_RSRC2:TGID_X_EN: 1
; COMPUTE_PGM_RSRC2:TGID_Y_EN: 0
; COMPUTE_PGM_RSRC2:TGID_Z_EN: 0
; COMPUTE_PGM_RSRC2:TIDIG_COMP_CNT: 0
; COMPUTE_PGM_RSRC3_GFX90A:ACCUM_OFFSET: 0
; COMPUTE_PGM_RSRC3_GFX90A:TG_SPLIT: 0
	.section	.text._ZN7rocprim17ROCPRIM_400000_NS6detail17trampoline_kernelINS0_14default_configENS1_25partition_config_selectorILNS1_17partition_subalgoE2ExNS0_10empty_typeEbEEZZNS1_14partition_implILS5_2ELb0ES3_jN6thrust23THRUST_200600_302600_NS6detail15normal_iteratorINSA_7pointerIxNSA_11hip_rocprim3tagENSA_11use_defaultESG_EEEEPS6_NSA_18transform_iteratorINSA_8identityIxEENSC_INSA_10device_ptrIxEEEESG_SG_EENS0_5tupleIJPxSJ_EEENSR_IJSJ_SJ_EEES6_PlJS6_EEE10hipError_tPvRmT3_T4_T5_T6_T7_T9_mT8_P12ihipStream_tbDpT10_ENKUlT_T0_E_clISt17integral_constantIbLb0EES1E_IbLb1EEEEDaS1A_S1B_EUlS1A_E_NS1_11comp_targetILNS1_3genE0ELNS1_11target_archE4294967295ELNS1_3gpuE0ELNS1_3repE0EEENS1_30default_config_static_selectorELNS0_4arch9wavefront6targetE1EEEvT1_,"axG",@progbits,_ZN7rocprim17ROCPRIM_400000_NS6detail17trampoline_kernelINS0_14default_configENS1_25partition_config_selectorILNS1_17partition_subalgoE2ExNS0_10empty_typeEbEEZZNS1_14partition_implILS5_2ELb0ES3_jN6thrust23THRUST_200600_302600_NS6detail15normal_iteratorINSA_7pointerIxNSA_11hip_rocprim3tagENSA_11use_defaultESG_EEEEPS6_NSA_18transform_iteratorINSA_8identityIxEENSC_INSA_10device_ptrIxEEEESG_SG_EENS0_5tupleIJPxSJ_EEENSR_IJSJ_SJ_EEES6_PlJS6_EEE10hipError_tPvRmT3_T4_T5_T6_T7_T9_mT8_P12ihipStream_tbDpT10_ENKUlT_T0_E_clISt17integral_constantIbLb0EES1E_IbLb1EEEEDaS1A_S1B_EUlS1A_E_NS1_11comp_targetILNS1_3genE0ELNS1_11target_archE4294967295ELNS1_3gpuE0ELNS1_3repE0EEENS1_30default_config_static_selectorELNS0_4arch9wavefront6targetE1EEEvT1_,comdat
	.protected	_ZN7rocprim17ROCPRIM_400000_NS6detail17trampoline_kernelINS0_14default_configENS1_25partition_config_selectorILNS1_17partition_subalgoE2ExNS0_10empty_typeEbEEZZNS1_14partition_implILS5_2ELb0ES3_jN6thrust23THRUST_200600_302600_NS6detail15normal_iteratorINSA_7pointerIxNSA_11hip_rocprim3tagENSA_11use_defaultESG_EEEEPS6_NSA_18transform_iteratorINSA_8identityIxEENSC_INSA_10device_ptrIxEEEESG_SG_EENS0_5tupleIJPxSJ_EEENSR_IJSJ_SJ_EEES6_PlJS6_EEE10hipError_tPvRmT3_T4_T5_T6_T7_T9_mT8_P12ihipStream_tbDpT10_ENKUlT_T0_E_clISt17integral_constantIbLb0EES1E_IbLb1EEEEDaS1A_S1B_EUlS1A_E_NS1_11comp_targetILNS1_3genE0ELNS1_11target_archE4294967295ELNS1_3gpuE0ELNS1_3repE0EEENS1_30default_config_static_selectorELNS0_4arch9wavefront6targetE1EEEvT1_ ; -- Begin function _ZN7rocprim17ROCPRIM_400000_NS6detail17trampoline_kernelINS0_14default_configENS1_25partition_config_selectorILNS1_17partition_subalgoE2ExNS0_10empty_typeEbEEZZNS1_14partition_implILS5_2ELb0ES3_jN6thrust23THRUST_200600_302600_NS6detail15normal_iteratorINSA_7pointerIxNSA_11hip_rocprim3tagENSA_11use_defaultESG_EEEEPS6_NSA_18transform_iteratorINSA_8identityIxEENSC_INSA_10device_ptrIxEEEESG_SG_EENS0_5tupleIJPxSJ_EEENSR_IJSJ_SJ_EEES6_PlJS6_EEE10hipError_tPvRmT3_T4_T5_T6_T7_T9_mT8_P12ihipStream_tbDpT10_ENKUlT_T0_E_clISt17integral_constantIbLb0EES1E_IbLb1EEEEDaS1A_S1B_EUlS1A_E_NS1_11comp_targetILNS1_3genE0ELNS1_11target_archE4294967295ELNS1_3gpuE0ELNS1_3repE0EEENS1_30default_config_static_selectorELNS0_4arch9wavefront6targetE1EEEvT1_
	.globl	_ZN7rocprim17ROCPRIM_400000_NS6detail17trampoline_kernelINS0_14default_configENS1_25partition_config_selectorILNS1_17partition_subalgoE2ExNS0_10empty_typeEbEEZZNS1_14partition_implILS5_2ELb0ES3_jN6thrust23THRUST_200600_302600_NS6detail15normal_iteratorINSA_7pointerIxNSA_11hip_rocprim3tagENSA_11use_defaultESG_EEEEPS6_NSA_18transform_iteratorINSA_8identityIxEENSC_INSA_10device_ptrIxEEEESG_SG_EENS0_5tupleIJPxSJ_EEENSR_IJSJ_SJ_EEES6_PlJS6_EEE10hipError_tPvRmT3_T4_T5_T6_T7_T9_mT8_P12ihipStream_tbDpT10_ENKUlT_T0_E_clISt17integral_constantIbLb0EES1E_IbLb1EEEEDaS1A_S1B_EUlS1A_E_NS1_11comp_targetILNS1_3genE0ELNS1_11target_archE4294967295ELNS1_3gpuE0ELNS1_3repE0EEENS1_30default_config_static_selectorELNS0_4arch9wavefront6targetE1EEEvT1_
	.p2align	8
	.type	_ZN7rocprim17ROCPRIM_400000_NS6detail17trampoline_kernelINS0_14default_configENS1_25partition_config_selectorILNS1_17partition_subalgoE2ExNS0_10empty_typeEbEEZZNS1_14partition_implILS5_2ELb0ES3_jN6thrust23THRUST_200600_302600_NS6detail15normal_iteratorINSA_7pointerIxNSA_11hip_rocprim3tagENSA_11use_defaultESG_EEEEPS6_NSA_18transform_iteratorINSA_8identityIxEENSC_INSA_10device_ptrIxEEEESG_SG_EENS0_5tupleIJPxSJ_EEENSR_IJSJ_SJ_EEES6_PlJS6_EEE10hipError_tPvRmT3_T4_T5_T6_T7_T9_mT8_P12ihipStream_tbDpT10_ENKUlT_T0_E_clISt17integral_constantIbLb0EES1E_IbLb1EEEEDaS1A_S1B_EUlS1A_E_NS1_11comp_targetILNS1_3genE0ELNS1_11target_archE4294967295ELNS1_3gpuE0ELNS1_3repE0EEENS1_30default_config_static_selectorELNS0_4arch9wavefront6targetE1EEEvT1_,@function
_ZN7rocprim17ROCPRIM_400000_NS6detail17trampoline_kernelINS0_14default_configENS1_25partition_config_selectorILNS1_17partition_subalgoE2ExNS0_10empty_typeEbEEZZNS1_14partition_implILS5_2ELb0ES3_jN6thrust23THRUST_200600_302600_NS6detail15normal_iteratorINSA_7pointerIxNSA_11hip_rocprim3tagENSA_11use_defaultESG_EEEEPS6_NSA_18transform_iteratorINSA_8identityIxEENSC_INSA_10device_ptrIxEEEESG_SG_EENS0_5tupleIJPxSJ_EEENSR_IJSJ_SJ_EEES6_PlJS6_EEE10hipError_tPvRmT3_T4_T5_T6_T7_T9_mT8_P12ihipStream_tbDpT10_ENKUlT_T0_E_clISt17integral_constantIbLb0EES1E_IbLb1EEEEDaS1A_S1B_EUlS1A_E_NS1_11comp_targetILNS1_3genE0ELNS1_11target_archE4294967295ELNS1_3gpuE0ELNS1_3repE0EEENS1_30default_config_static_selectorELNS0_4arch9wavefront6targetE1EEEvT1_: ; @_ZN7rocprim17ROCPRIM_400000_NS6detail17trampoline_kernelINS0_14default_configENS1_25partition_config_selectorILNS1_17partition_subalgoE2ExNS0_10empty_typeEbEEZZNS1_14partition_implILS5_2ELb0ES3_jN6thrust23THRUST_200600_302600_NS6detail15normal_iteratorINSA_7pointerIxNSA_11hip_rocprim3tagENSA_11use_defaultESG_EEEEPS6_NSA_18transform_iteratorINSA_8identityIxEENSC_INSA_10device_ptrIxEEEESG_SG_EENS0_5tupleIJPxSJ_EEENSR_IJSJ_SJ_EEES6_PlJS6_EEE10hipError_tPvRmT3_T4_T5_T6_T7_T9_mT8_P12ihipStream_tbDpT10_ENKUlT_T0_E_clISt17integral_constantIbLb0EES1E_IbLb1EEEEDaS1A_S1B_EUlS1A_E_NS1_11comp_targetILNS1_3genE0ELNS1_11target_archE4294967295ELNS1_3gpuE0ELNS1_3repE0EEENS1_30default_config_static_selectorELNS0_4arch9wavefront6targetE1EEEvT1_
; %bb.0:
	.section	.rodata,"a",@progbits
	.p2align	6, 0x0
	.amdhsa_kernel _ZN7rocprim17ROCPRIM_400000_NS6detail17trampoline_kernelINS0_14default_configENS1_25partition_config_selectorILNS1_17partition_subalgoE2ExNS0_10empty_typeEbEEZZNS1_14partition_implILS5_2ELb0ES3_jN6thrust23THRUST_200600_302600_NS6detail15normal_iteratorINSA_7pointerIxNSA_11hip_rocprim3tagENSA_11use_defaultESG_EEEEPS6_NSA_18transform_iteratorINSA_8identityIxEENSC_INSA_10device_ptrIxEEEESG_SG_EENS0_5tupleIJPxSJ_EEENSR_IJSJ_SJ_EEES6_PlJS6_EEE10hipError_tPvRmT3_T4_T5_T6_T7_T9_mT8_P12ihipStream_tbDpT10_ENKUlT_T0_E_clISt17integral_constantIbLb0EES1E_IbLb1EEEEDaS1A_S1B_EUlS1A_E_NS1_11comp_targetILNS1_3genE0ELNS1_11target_archE4294967295ELNS1_3gpuE0ELNS1_3repE0EEENS1_30default_config_static_selectorELNS0_4arch9wavefront6targetE1EEEvT1_
		.amdhsa_group_segment_fixed_size 0
		.amdhsa_private_segment_fixed_size 0
		.amdhsa_kernarg_size 144
		.amdhsa_user_sgpr_count 2
		.amdhsa_user_sgpr_dispatch_ptr 0
		.amdhsa_user_sgpr_queue_ptr 0
		.amdhsa_user_sgpr_kernarg_segment_ptr 1
		.amdhsa_user_sgpr_dispatch_id 0
		.amdhsa_user_sgpr_kernarg_preload_length 0
		.amdhsa_user_sgpr_kernarg_preload_offset 0
		.amdhsa_user_sgpr_private_segment_size 0
		.amdhsa_uses_dynamic_stack 0
		.amdhsa_enable_private_segment 0
		.amdhsa_system_sgpr_workgroup_id_x 1
		.amdhsa_system_sgpr_workgroup_id_y 0
		.amdhsa_system_sgpr_workgroup_id_z 0
		.amdhsa_system_sgpr_workgroup_info 0
		.amdhsa_system_vgpr_workitem_id 0
		.amdhsa_next_free_vgpr 1
		.amdhsa_next_free_sgpr 0
		.amdhsa_accum_offset 4
		.amdhsa_reserve_vcc 0
		.amdhsa_float_round_mode_32 0
		.amdhsa_float_round_mode_16_64 0
		.amdhsa_float_denorm_mode_32 3
		.amdhsa_float_denorm_mode_16_64 3
		.amdhsa_dx10_clamp 1
		.amdhsa_ieee_mode 1
		.amdhsa_fp16_overflow 0
		.amdhsa_tg_split 0
		.amdhsa_exception_fp_ieee_invalid_op 0
		.amdhsa_exception_fp_denorm_src 0
		.amdhsa_exception_fp_ieee_div_zero 0
		.amdhsa_exception_fp_ieee_overflow 0
		.amdhsa_exception_fp_ieee_underflow 0
		.amdhsa_exception_fp_ieee_inexact 0
		.amdhsa_exception_int_div_zero 0
	.end_amdhsa_kernel
	.section	.text._ZN7rocprim17ROCPRIM_400000_NS6detail17trampoline_kernelINS0_14default_configENS1_25partition_config_selectorILNS1_17partition_subalgoE2ExNS0_10empty_typeEbEEZZNS1_14partition_implILS5_2ELb0ES3_jN6thrust23THRUST_200600_302600_NS6detail15normal_iteratorINSA_7pointerIxNSA_11hip_rocprim3tagENSA_11use_defaultESG_EEEEPS6_NSA_18transform_iteratorINSA_8identityIxEENSC_INSA_10device_ptrIxEEEESG_SG_EENS0_5tupleIJPxSJ_EEENSR_IJSJ_SJ_EEES6_PlJS6_EEE10hipError_tPvRmT3_T4_T5_T6_T7_T9_mT8_P12ihipStream_tbDpT10_ENKUlT_T0_E_clISt17integral_constantIbLb0EES1E_IbLb1EEEEDaS1A_S1B_EUlS1A_E_NS1_11comp_targetILNS1_3genE0ELNS1_11target_archE4294967295ELNS1_3gpuE0ELNS1_3repE0EEENS1_30default_config_static_selectorELNS0_4arch9wavefront6targetE1EEEvT1_,"axG",@progbits,_ZN7rocprim17ROCPRIM_400000_NS6detail17trampoline_kernelINS0_14default_configENS1_25partition_config_selectorILNS1_17partition_subalgoE2ExNS0_10empty_typeEbEEZZNS1_14partition_implILS5_2ELb0ES3_jN6thrust23THRUST_200600_302600_NS6detail15normal_iteratorINSA_7pointerIxNSA_11hip_rocprim3tagENSA_11use_defaultESG_EEEEPS6_NSA_18transform_iteratorINSA_8identityIxEENSC_INSA_10device_ptrIxEEEESG_SG_EENS0_5tupleIJPxSJ_EEENSR_IJSJ_SJ_EEES6_PlJS6_EEE10hipError_tPvRmT3_T4_T5_T6_T7_T9_mT8_P12ihipStream_tbDpT10_ENKUlT_T0_E_clISt17integral_constantIbLb0EES1E_IbLb1EEEEDaS1A_S1B_EUlS1A_E_NS1_11comp_targetILNS1_3genE0ELNS1_11target_archE4294967295ELNS1_3gpuE0ELNS1_3repE0EEENS1_30default_config_static_selectorELNS0_4arch9wavefront6targetE1EEEvT1_,comdat
.Lfunc_end505:
	.size	_ZN7rocprim17ROCPRIM_400000_NS6detail17trampoline_kernelINS0_14default_configENS1_25partition_config_selectorILNS1_17partition_subalgoE2ExNS0_10empty_typeEbEEZZNS1_14partition_implILS5_2ELb0ES3_jN6thrust23THRUST_200600_302600_NS6detail15normal_iteratorINSA_7pointerIxNSA_11hip_rocprim3tagENSA_11use_defaultESG_EEEEPS6_NSA_18transform_iteratorINSA_8identityIxEENSC_INSA_10device_ptrIxEEEESG_SG_EENS0_5tupleIJPxSJ_EEENSR_IJSJ_SJ_EEES6_PlJS6_EEE10hipError_tPvRmT3_T4_T5_T6_T7_T9_mT8_P12ihipStream_tbDpT10_ENKUlT_T0_E_clISt17integral_constantIbLb0EES1E_IbLb1EEEEDaS1A_S1B_EUlS1A_E_NS1_11comp_targetILNS1_3genE0ELNS1_11target_archE4294967295ELNS1_3gpuE0ELNS1_3repE0EEENS1_30default_config_static_selectorELNS0_4arch9wavefront6targetE1EEEvT1_, .Lfunc_end505-_ZN7rocprim17ROCPRIM_400000_NS6detail17trampoline_kernelINS0_14default_configENS1_25partition_config_selectorILNS1_17partition_subalgoE2ExNS0_10empty_typeEbEEZZNS1_14partition_implILS5_2ELb0ES3_jN6thrust23THRUST_200600_302600_NS6detail15normal_iteratorINSA_7pointerIxNSA_11hip_rocprim3tagENSA_11use_defaultESG_EEEEPS6_NSA_18transform_iteratorINSA_8identityIxEENSC_INSA_10device_ptrIxEEEESG_SG_EENS0_5tupleIJPxSJ_EEENSR_IJSJ_SJ_EEES6_PlJS6_EEE10hipError_tPvRmT3_T4_T5_T6_T7_T9_mT8_P12ihipStream_tbDpT10_ENKUlT_T0_E_clISt17integral_constantIbLb0EES1E_IbLb1EEEEDaS1A_S1B_EUlS1A_E_NS1_11comp_targetILNS1_3genE0ELNS1_11target_archE4294967295ELNS1_3gpuE0ELNS1_3repE0EEENS1_30default_config_static_selectorELNS0_4arch9wavefront6targetE1EEEvT1_
                                        ; -- End function
	.section	.AMDGPU.csdata,"",@progbits
; Kernel info:
; codeLenInByte = 0
; NumSgprs: 6
; NumVgprs: 0
; NumAgprs: 0
; TotalNumVgprs: 0
; ScratchSize: 0
; MemoryBound: 0
; FloatMode: 240
; IeeeMode: 1
; LDSByteSize: 0 bytes/workgroup (compile time only)
; SGPRBlocks: 0
; VGPRBlocks: 0
; NumSGPRsForWavesPerEU: 6
; NumVGPRsForWavesPerEU: 1
; AccumOffset: 4
; Occupancy: 8
; WaveLimiterHint : 0
; COMPUTE_PGM_RSRC2:SCRATCH_EN: 0
; COMPUTE_PGM_RSRC2:USER_SGPR: 2
; COMPUTE_PGM_RSRC2:TRAP_HANDLER: 0
; COMPUTE_PGM_RSRC2:TGID_X_EN: 1
; COMPUTE_PGM_RSRC2:TGID_Y_EN: 0
; COMPUTE_PGM_RSRC2:TGID_Z_EN: 0
; COMPUTE_PGM_RSRC2:TIDIG_COMP_CNT: 0
; COMPUTE_PGM_RSRC3_GFX90A:ACCUM_OFFSET: 0
; COMPUTE_PGM_RSRC3_GFX90A:TG_SPLIT: 0
	.section	.text._ZN7rocprim17ROCPRIM_400000_NS6detail17trampoline_kernelINS0_14default_configENS1_25partition_config_selectorILNS1_17partition_subalgoE2ExNS0_10empty_typeEbEEZZNS1_14partition_implILS5_2ELb0ES3_jN6thrust23THRUST_200600_302600_NS6detail15normal_iteratorINSA_7pointerIxNSA_11hip_rocprim3tagENSA_11use_defaultESG_EEEEPS6_NSA_18transform_iteratorINSA_8identityIxEENSC_INSA_10device_ptrIxEEEESG_SG_EENS0_5tupleIJPxSJ_EEENSR_IJSJ_SJ_EEES6_PlJS6_EEE10hipError_tPvRmT3_T4_T5_T6_T7_T9_mT8_P12ihipStream_tbDpT10_ENKUlT_T0_E_clISt17integral_constantIbLb0EES1E_IbLb1EEEEDaS1A_S1B_EUlS1A_E_NS1_11comp_targetILNS1_3genE5ELNS1_11target_archE942ELNS1_3gpuE9ELNS1_3repE0EEENS1_30default_config_static_selectorELNS0_4arch9wavefront6targetE1EEEvT1_,"axG",@progbits,_ZN7rocprim17ROCPRIM_400000_NS6detail17trampoline_kernelINS0_14default_configENS1_25partition_config_selectorILNS1_17partition_subalgoE2ExNS0_10empty_typeEbEEZZNS1_14partition_implILS5_2ELb0ES3_jN6thrust23THRUST_200600_302600_NS6detail15normal_iteratorINSA_7pointerIxNSA_11hip_rocprim3tagENSA_11use_defaultESG_EEEEPS6_NSA_18transform_iteratorINSA_8identityIxEENSC_INSA_10device_ptrIxEEEESG_SG_EENS0_5tupleIJPxSJ_EEENSR_IJSJ_SJ_EEES6_PlJS6_EEE10hipError_tPvRmT3_T4_T5_T6_T7_T9_mT8_P12ihipStream_tbDpT10_ENKUlT_T0_E_clISt17integral_constantIbLb0EES1E_IbLb1EEEEDaS1A_S1B_EUlS1A_E_NS1_11comp_targetILNS1_3genE5ELNS1_11target_archE942ELNS1_3gpuE9ELNS1_3repE0EEENS1_30default_config_static_selectorELNS0_4arch9wavefront6targetE1EEEvT1_,comdat
	.protected	_ZN7rocprim17ROCPRIM_400000_NS6detail17trampoline_kernelINS0_14default_configENS1_25partition_config_selectorILNS1_17partition_subalgoE2ExNS0_10empty_typeEbEEZZNS1_14partition_implILS5_2ELb0ES3_jN6thrust23THRUST_200600_302600_NS6detail15normal_iteratorINSA_7pointerIxNSA_11hip_rocprim3tagENSA_11use_defaultESG_EEEEPS6_NSA_18transform_iteratorINSA_8identityIxEENSC_INSA_10device_ptrIxEEEESG_SG_EENS0_5tupleIJPxSJ_EEENSR_IJSJ_SJ_EEES6_PlJS6_EEE10hipError_tPvRmT3_T4_T5_T6_T7_T9_mT8_P12ihipStream_tbDpT10_ENKUlT_T0_E_clISt17integral_constantIbLb0EES1E_IbLb1EEEEDaS1A_S1B_EUlS1A_E_NS1_11comp_targetILNS1_3genE5ELNS1_11target_archE942ELNS1_3gpuE9ELNS1_3repE0EEENS1_30default_config_static_selectorELNS0_4arch9wavefront6targetE1EEEvT1_ ; -- Begin function _ZN7rocprim17ROCPRIM_400000_NS6detail17trampoline_kernelINS0_14default_configENS1_25partition_config_selectorILNS1_17partition_subalgoE2ExNS0_10empty_typeEbEEZZNS1_14partition_implILS5_2ELb0ES3_jN6thrust23THRUST_200600_302600_NS6detail15normal_iteratorINSA_7pointerIxNSA_11hip_rocprim3tagENSA_11use_defaultESG_EEEEPS6_NSA_18transform_iteratorINSA_8identityIxEENSC_INSA_10device_ptrIxEEEESG_SG_EENS0_5tupleIJPxSJ_EEENSR_IJSJ_SJ_EEES6_PlJS6_EEE10hipError_tPvRmT3_T4_T5_T6_T7_T9_mT8_P12ihipStream_tbDpT10_ENKUlT_T0_E_clISt17integral_constantIbLb0EES1E_IbLb1EEEEDaS1A_S1B_EUlS1A_E_NS1_11comp_targetILNS1_3genE5ELNS1_11target_archE942ELNS1_3gpuE9ELNS1_3repE0EEENS1_30default_config_static_selectorELNS0_4arch9wavefront6targetE1EEEvT1_
	.globl	_ZN7rocprim17ROCPRIM_400000_NS6detail17trampoline_kernelINS0_14default_configENS1_25partition_config_selectorILNS1_17partition_subalgoE2ExNS0_10empty_typeEbEEZZNS1_14partition_implILS5_2ELb0ES3_jN6thrust23THRUST_200600_302600_NS6detail15normal_iteratorINSA_7pointerIxNSA_11hip_rocprim3tagENSA_11use_defaultESG_EEEEPS6_NSA_18transform_iteratorINSA_8identityIxEENSC_INSA_10device_ptrIxEEEESG_SG_EENS0_5tupleIJPxSJ_EEENSR_IJSJ_SJ_EEES6_PlJS6_EEE10hipError_tPvRmT3_T4_T5_T6_T7_T9_mT8_P12ihipStream_tbDpT10_ENKUlT_T0_E_clISt17integral_constantIbLb0EES1E_IbLb1EEEEDaS1A_S1B_EUlS1A_E_NS1_11comp_targetILNS1_3genE5ELNS1_11target_archE942ELNS1_3gpuE9ELNS1_3repE0EEENS1_30default_config_static_selectorELNS0_4arch9wavefront6targetE1EEEvT1_
	.p2align	8
	.type	_ZN7rocprim17ROCPRIM_400000_NS6detail17trampoline_kernelINS0_14default_configENS1_25partition_config_selectorILNS1_17partition_subalgoE2ExNS0_10empty_typeEbEEZZNS1_14partition_implILS5_2ELb0ES3_jN6thrust23THRUST_200600_302600_NS6detail15normal_iteratorINSA_7pointerIxNSA_11hip_rocprim3tagENSA_11use_defaultESG_EEEEPS6_NSA_18transform_iteratorINSA_8identityIxEENSC_INSA_10device_ptrIxEEEESG_SG_EENS0_5tupleIJPxSJ_EEENSR_IJSJ_SJ_EEES6_PlJS6_EEE10hipError_tPvRmT3_T4_T5_T6_T7_T9_mT8_P12ihipStream_tbDpT10_ENKUlT_T0_E_clISt17integral_constantIbLb0EES1E_IbLb1EEEEDaS1A_S1B_EUlS1A_E_NS1_11comp_targetILNS1_3genE5ELNS1_11target_archE942ELNS1_3gpuE9ELNS1_3repE0EEENS1_30default_config_static_selectorELNS0_4arch9wavefront6targetE1EEEvT1_,@function
_ZN7rocprim17ROCPRIM_400000_NS6detail17trampoline_kernelINS0_14default_configENS1_25partition_config_selectorILNS1_17partition_subalgoE2ExNS0_10empty_typeEbEEZZNS1_14partition_implILS5_2ELb0ES3_jN6thrust23THRUST_200600_302600_NS6detail15normal_iteratorINSA_7pointerIxNSA_11hip_rocprim3tagENSA_11use_defaultESG_EEEEPS6_NSA_18transform_iteratorINSA_8identityIxEENSC_INSA_10device_ptrIxEEEESG_SG_EENS0_5tupleIJPxSJ_EEENSR_IJSJ_SJ_EEES6_PlJS6_EEE10hipError_tPvRmT3_T4_T5_T6_T7_T9_mT8_P12ihipStream_tbDpT10_ENKUlT_T0_E_clISt17integral_constantIbLb0EES1E_IbLb1EEEEDaS1A_S1B_EUlS1A_E_NS1_11comp_targetILNS1_3genE5ELNS1_11target_archE942ELNS1_3gpuE9ELNS1_3repE0EEENS1_30default_config_static_selectorELNS0_4arch9wavefront6targetE1EEEvT1_: ; @_ZN7rocprim17ROCPRIM_400000_NS6detail17trampoline_kernelINS0_14default_configENS1_25partition_config_selectorILNS1_17partition_subalgoE2ExNS0_10empty_typeEbEEZZNS1_14partition_implILS5_2ELb0ES3_jN6thrust23THRUST_200600_302600_NS6detail15normal_iteratorINSA_7pointerIxNSA_11hip_rocprim3tagENSA_11use_defaultESG_EEEEPS6_NSA_18transform_iteratorINSA_8identityIxEENSC_INSA_10device_ptrIxEEEESG_SG_EENS0_5tupleIJPxSJ_EEENSR_IJSJ_SJ_EEES6_PlJS6_EEE10hipError_tPvRmT3_T4_T5_T6_T7_T9_mT8_P12ihipStream_tbDpT10_ENKUlT_T0_E_clISt17integral_constantIbLb0EES1E_IbLb1EEEEDaS1A_S1B_EUlS1A_E_NS1_11comp_targetILNS1_3genE5ELNS1_11target_archE942ELNS1_3gpuE9ELNS1_3repE0EEENS1_30default_config_static_selectorELNS0_4arch9wavefront6targetE1EEEvT1_
; %bb.0:
	s_load_dwordx2 s[2:3], s[0:1], 0x20
	s_load_dwordx2 s[28:29], s[0:1], 0x30
	s_load_dwordx2 s[30:31], s[0:1], 0x60
	s_load_dwordx4 s[20:23], s[0:1], 0x50
	s_load_dwordx2 s[36:37], s[0:1], 0x70
	v_cmp_eq_u32_e64 s[18:19], 0, v0
	s_and_saveexec_b64 s[4:5], s[18:19]
	s_cbranch_execz .LBB506_4
; %bb.1:
	s_mov_b64 s[8:9], exec
	v_mbcnt_lo_u32_b32 v1, s8, 0
	v_mbcnt_hi_u32_b32 v1, s9, v1
	v_cmp_eq_u32_e32 vcc, 0, v1
                                        ; implicit-def: $vgpr2
	s_and_saveexec_b64 s[6:7], vcc
	s_cbranch_execz .LBB506_3
; %bb.2:
	s_load_dwordx2 s[10:11], s[0:1], 0x80
	s_bcnt1_i32_b64 s8, s[8:9]
	v_mov_b32_e32 v2, 0
	v_mov_b32_e32 v3, s8
	s_waitcnt lgkmcnt(0)
	global_atomic_add v2, v2, v3, s[10:11] sc0
.LBB506_3:
	s_or_b64 exec, exec, s[6:7]
	s_waitcnt vmcnt(0)
	v_readfirstlane_b32 s6, v2
	v_mov_b32_e32 v2, 0
	s_nop 0
	v_add_u32_e32 v1, s6, v1
	ds_write_b32 v2, v1
.LBB506_4:
	s_or_b64 exec, exec, s[4:5]
	v_mov_b32_e32 v19, 0
	s_load_dwordx4 s[24:27], s[0:1], 0x8
	s_load_dword s6, s[0:1], 0x78
	s_waitcnt lgkmcnt(0)
	s_barrier
	ds_read_b32 v1, v19
	s_waitcnt lgkmcnt(0)
	s_barrier
	global_load_dwordx2 v[20:21], v19, s[22:23]
	s_lshl_b64 s[4:5], s[26:27], 3
	s_add_u32 s8, s24, s4
	s_mul_i32 s0, s6, 0xe00
	s_addc_u32 s9, s25, s5
	s_add_i32 s1, s0, s26
	s_sub_i32 s33, s30, s1
	s_add_i32 s7, s6, -1
	s_addk_i32 s33, 0xe00
	s_add_u32 s0, s26, s0
	v_readfirstlane_b32 s42, v1
	s_addc_u32 s1, s27, 0
	s_cmp_eq_u32 s42, s7
	v_mov_b64_e32 v[2:3], s[30:31]
	s_cselect_b64 s[22:23], -1, 0
	s_cmp_lg_u32 s42, s7
	s_mul_i32 s24, s42, 0xe00
	s_mov_b32 s25, 0
	v_cmp_lt_u64_e32 vcc, s[0:1], v[2:3]
	s_cselect_b64 s[0:1], -1, 0
	s_or_b64 s[34:35], vcc, s[0:1]
	s_lshl_b64 s[6:7], s[24:25], 3
	s_add_u32 s8, s8, s6
	s_addc_u32 s9, s9, s7
	s_mov_b64 s[0:1], -1
	s_and_b64 vcc, exec, s[34:35]
	v_lshlrev_b32_e32 v18, 3, v0
	s_cbranch_vccz .LBB506_6
; %bb.5:
	v_lshl_add_u64 v[2:3], s[8:9], 0, v[18:19]
	v_add_co_u32_e32 v4, vcc, 0x1000, v2
	s_mov_b64 s[0:1], 0
	s_nop 0
	v_addc_co_u32_e32 v5, vcc, 0, v3, vcc
	v_add_co_u32_e32 v6, vcc, 0x2000, v2
	s_nop 1
	v_addc_co_u32_e32 v7, vcc, 0, v3, vcc
	v_add_co_u32_e32 v8, vcc, 0x3000, v2
	s_nop 1
	v_addc_co_u32_e32 v9, vcc, 0, v3, vcc
	flat_load_dwordx2 v[10:11], v[2:3]
	flat_load_dwordx2 v[12:13], v[4:5]
	;; [unrolled: 1-line block ×4, first 2 shown]
	v_add_co_u32_e32 v4, vcc, 0x4000, v2
	s_nop 1
	v_addc_co_u32_e32 v5, vcc, 0, v3, vcc
	v_add_co_u32_e32 v6, vcc, 0x5000, v2
	s_nop 1
	v_addc_co_u32_e32 v7, vcc, 0, v3, vcc
	;; [unrolled: 3-line block ×3, first 2 shown]
	flat_load_dwordx2 v[8:9], v[4:5]
	flat_load_dwordx2 v[22:23], v[6:7]
	;; [unrolled: 1-line block ×3, first 2 shown]
	s_waitcnt vmcnt(0) lgkmcnt(0)
	ds_write2st64_b64 v18, v[10:11], v[12:13] offset1:8
	ds_write2st64_b64 v18, v[14:15], v[16:17] offset0:16 offset1:24
	ds_write2st64_b64 v18, v[8:9], v[22:23] offset0:32 offset1:40
	ds_write_b64 v18, v[24:25] offset:24576
	s_waitcnt lgkmcnt(0)
	s_barrier
.LBB506_6:
	s_andn2_b64 vcc, exec, s[0:1]
	v_cmp_gt_u32_e64 s[0:1], s33, v0
	s_cbranch_vccnz .LBB506_22
; %bb.7:
                                        ; implicit-def: $vgpr2_vgpr3_vgpr4_vgpr5_vgpr6_vgpr7_vgpr8_vgpr9_vgpr10_vgpr11_vgpr12_vgpr13_vgpr14_vgpr15_vgpr16_vgpr17
	s_and_saveexec_b64 s[10:11], s[0:1]
	s_cbranch_execz .LBB506_9
; %bb.8:
	v_mov_b32_e32 v19, 0
	v_lshl_add_u64 v[2:3], s[8:9], 0, v[18:19]
	flat_load_dwordx2 v[2:3], v[2:3]
.LBB506_9:
	s_or_b64 exec, exec, s[10:11]
	v_or_b32_e32 v1, 0x200, v0
	v_cmp_gt_u32_e32 vcc, s33, v1
	s_and_saveexec_b64 s[0:1], vcc
	s_cbranch_execz .LBB506_11
; %bb.10:
	v_lshlrev_b32_e32 v4, 3, v1
	v_mov_b32_e32 v5, 0
	v_lshl_add_u64 v[4:5], s[8:9], 0, v[4:5]
	flat_load_dwordx2 v[4:5], v[4:5]
.LBB506_11:
	s_or_b64 exec, exec, s[0:1]
	v_or_b32_e32 v1, 0x400, v0
	v_cmp_gt_u32_e32 vcc, s33, v1
	s_and_saveexec_b64 s[0:1], vcc
	s_cbranch_execz .LBB506_13
; %bb.12:
	v_lshlrev_b32_e32 v6, 3, v1
	v_mov_b32_e32 v7, 0
	v_lshl_add_u64 v[6:7], s[8:9], 0, v[6:7]
	flat_load_dwordx2 v[6:7], v[6:7]
.LBB506_13:
	;; [unrolled: 11-line block ×6, first 2 shown]
	s_or_b64 exec, exec, s[0:1]
	s_waitcnt vmcnt(0) lgkmcnt(0)
	ds_write2st64_b64 v18, v[2:3], v[4:5] offset1:8
	ds_write2st64_b64 v18, v[6:7], v[8:9] offset0:16 offset1:24
	ds_write2st64_b64 v18, v[10:11], v[12:13] offset0:32 offset1:40
	ds_write_b64 v18, v[14:15] offset:24576
	s_waitcnt lgkmcnt(0)
	s_barrier
.LBB506_22:
	v_mul_u32_u24_e32 v1, 7, v0
	v_lshlrev_b32_e32 v16, 3, v1
	ds_read2_b64 v[10:13], v16 offset1:1
	ds_read2_b64 v[6:9], v16 offset0:2 offset1:3
	ds_read2_b64 v[2:5], v16 offset0:4 offset1:5
	ds_read_b64 v[14:15], v16 offset:48
	s_add_u32 s0, s2, s4
	s_addc_u32 s1, s3, s5
	s_add_u32 s0, s0, s6
	s_addc_u32 s1, s1, s7
	s_mov_b64 s[2:3], -1
	s_and_b64 vcc, exec, s[34:35]
	s_waitcnt lgkmcnt(0)
	s_barrier
	s_cbranch_vccz .LBB506_24
; %bb.23:
	v_mov_b32_e32 v19, 0
	v_lshl_add_u64 v[22:23], s[0:1], 0, v[18:19]
	v_add_co_u32_e32 v26, vcc, 0x1000, v22
	global_load_dwordx2 v[24:25], v18, s[0:1]
	s_nop 0
	v_addc_co_u32_e32 v27, vcc, 0, v23, vcc
	v_add_co_u32_e32 v28, vcc, 0x2000, v22
	s_mov_b64 s[2:3], 0
	s_nop 0
	v_addc_co_u32_e32 v29, vcc, 0, v23, vcc
	v_add_co_u32_e32 v30, vcc, 0x3000, v22
	s_nop 1
	v_addc_co_u32_e32 v31, vcc, 0, v23, vcc
	v_add_co_u32_e32 v32, vcc, 0x4000, v22
	s_nop 1
	v_addc_co_u32_e32 v33, vcc, 0, v23, vcc
	global_load_dwordx2 v[34:35], v[26:27], off
	global_load_dwordx2 v[36:37], v[28:29], off
	;; [unrolled: 1-line block ×4, first 2 shown]
	v_add_co_u32_e32 v26, vcc, 0x5000, v22
	s_nop 1
	v_addc_co_u32_e32 v27, vcc, 0, v23, vcc
	v_add_co_u32_e32 v22, vcc, 0x6000, v22
	global_load_dwordx2 v[26:27], v[26:27], off
	s_nop 0
	v_addc_co_u32_e32 v23, vcc, 0, v23, vcc
	global_load_dwordx2 v[22:23], v[22:23], off
	s_waitcnt vmcnt(6)
	v_cmp_ne_u64_e32 vcc, 0, v[24:25]
	s_nop 1
	v_cndmask_b32_e64 v17, 0, 1, vcc
	ds_write_b8 v0, v17
	s_waitcnt vmcnt(5)
	v_cmp_ne_u64_e32 vcc, 0, v[34:35]
	s_nop 1
	v_cndmask_b32_e64 v17, 0, 1, vcc
	s_waitcnt vmcnt(4)
	v_cmp_ne_u64_e32 vcc, 0, v[36:37]
	ds_write_b8 v0, v17 offset:512
	s_nop 0
	v_cndmask_b32_e64 v19, 0, 1, vcc
	s_waitcnt vmcnt(3)
	v_cmp_ne_u64_e32 vcc, 0, v[38:39]
	ds_write_b8 v0, v19 offset:1024
	;; [unrolled: 5-line block ×4, first 2 shown]
	s_nop 0
	v_cndmask_b32_e64 v17, 0, 1, vcc
	s_waitcnt vmcnt(0)
	v_cmp_ne_u64_e32 vcc, 0, v[22:23]
	s_nop 1
	v_cndmask_b32_e64 v19, 0, 1, vcc
	ds_write_b8 v0, v17 offset:2560
	ds_write_b8 v0, v19 offset:3072
	s_waitcnt lgkmcnt(0)
	s_barrier
.LBB506_24:
	s_andn2_b64 vcc, exec, s[2:3]
	s_cbranch_vccnz .LBB506_40
; %bb.25:
	v_cmp_gt_u32_e32 vcc, s33, v0
	v_mov_b32_e32 v17, 0
	v_mov_b32_e32 v19, 0
	s_and_saveexec_b64 s[2:3], vcc
	s_cbranch_execz .LBB506_27
; %bb.26:
	global_load_dwordx2 v[22:23], v18, s[0:1]
	s_waitcnt vmcnt(0)
	v_cmp_ne_u64_e32 vcc, 0, v[22:23]
	s_nop 1
	v_cndmask_b32_e64 v19, 0, 1, vcc
.LBB506_27:
	s_or_b64 exec, exec, s[2:3]
	v_or_b32_e32 v22, 0x200, v0
	v_cmp_gt_u32_e32 vcc, s33, v22
	s_and_saveexec_b64 s[2:3], vcc
	s_cbranch_execz .LBB506_29
; %bb.28:
	v_lshlrev_b32_e32 v17, 3, v22
	global_load_dwordx2 v[22:23], v17, s[0:1]
	s_waitcnt vmcnt(0)
	v_cmp_ne_u64_e32 vcc, 0, v[22:23]
	s_nop 1
	v_cndmask_b32_e64 v17, 0, 1, vcc
.LBB506_29:
	s_or_b64 exec, exec, s[2:3]
	v_or_b32_e32 v24, 0x400, v0
	v_cmp_gt_u32_e32 vcc, s33, v24
	v_mov_b32_e32 v22, 0
	v_mov_b32_e32 v23, 0
	s_and_saveexec_b64 s[2:3], vcc
	s_cbranch_execz .LBB506_31
; %bb.30:
	v_lshlrev_b32_e32 v23, 3, v24
	global_load_dwordx2 v[24:25], v23, s[0:1]
	s_waitcnt vmcnt(0)
	v_cmp_ne_u64_e32 vcc, 0, v[24:25]
	s_nop 1
	v_cndmask_b32_e64 v23, 0, 1, vcc
.LBB506_31:
	s_or_b64 exec, exec, s[2:3]
	v_or_b32_e32 v24, 0x600, v0
	v_cmp_gt_u32_e32 vcc, s33, v24
	s_and_saveexec_b64 s[2:3], vcc
	s_cbranch_execz .LBB506_33
; %bb.32:
	v_lshlrev_b32_e32 v22, 3, v24
	global_load_dwordx2 v[24:25], v22, s[0:1]
	s_waitcnt vmcnt(0)
	v_cmp_ne_u64_e32 vcc, 0, v[24:25]
	s_nop 1
	v_cndmask_b32_e64 v22, 0, 1, vcc
.LBB506_33:
	s_or_b64 exec, exec, s[2:3]
	v_or_b32_e32 v26, 0x800, v0
	v_cmp_gt_u32_e32 vcc, s33, v26
	v_mov_b32_e32 v24, 0
	v_mov_b32_e32 v25, 0
	s_and_saveexec_b64 s[2:3], vcc
	s_cbranch_execz .LBB506_35
; %bb.34:
	v_lshlrev_b32_e32 v25, 3, v26
	global_load_dwordx2 v[26:27], v25, s[0:1]
	s_waitcnt vmcnt(0)
	v_cmp_ne_u64_e32 vcc, 0, v[26:27]
	s_nop 1
	v_cndmask_b32_e64 v25, 0, 1, vcc
.LBB506_35:
	s_or_b64 exec, exec, s[2:3]
	v_or_b32_e32 v26, 0xa00, v0
	v_cmp_gt_u32_e32 vcc, s33, v26
	s_and_saveexec_b64 s[2:3], vcc
	s_cbranch_execz .LBB506_37
; %bb.36:
	v_lshlrev_b32_e32 v24, 3, v26
	global_load_dwordx2 v[26:27], v24, s[0:1]
	s_waitcnt vmcnt(0)
	v_cmp_ne_u64_e32 vcc, 0, v[26:27]
	s_nop 1
	v_cndmask_b32_e64 v24, 0, 1, vcc
.LBB506_37:
	s_or_b64 exec, exec, s[2:3]
	v_or_b32_e32 v27, 0xc00, v0
	v_cmp_gt_u32_e32 vcc, s33, v27
	v_mov_b32_e32 v26, 0
	s_and_saveexec_b64 s[2:3], vcc
	s_cbranch_execz .LBB506_39
; %bb.38:
	v_lshlrev_b32_e32 v26, 3, v27
	global_load_dwordx2 v[26:27], v26, s[0:1]
	s_waitcnt vmcnt(0)
	v_cmp_ne_u64_e32 vcc, 0, v[26:27]
	s_nop 1
	v_cndmask_b32_e64 v26, 0, 1, vcc
.LBB506_39:
	s_or_b64 exec, exec, s[2:3]
	ds_write_b8 v0, v19
	ds_write_b8 v0, v17 offset:512
	ds_write_b8 v0, v23 offset:1024
	;; [unrolled: 1-line block ×6, first 2 shown]
	s_waitcnt lgkmcnt(0)
	s_barrier
.LBB506_40:
	s_movk_i32 s0, 0xffcf
	v_mad_i32_i24 v38, v0, s0, v16
	ds_read_u8 v16, v38
	ds_read_u8 v17, v38 offset:1
	ds_read_u8 v19, v38 offset:2
	;; [unrolled: 1-line block ×6, first 2 shown]
	s_waitcnt lgkmcnt(6)
	v_and_b32_e32 v36, 1, v16
	s_waitcnt lgkmcnt(5)
	v_and_b32_e32 v35, 1, v17
	;; [unrolled: 2-line block ×5, first 2 shown]
	v_add3_u32 v16, v35, v36, v33
	s_waitcnt lgkmcnt(1)
	v_and_b32_e32 v30, 1, v24
	s_waitcnt lgkmcnt(0)
	v_and_b32_e32 v19, 1, v25
	v_add3_u32 v16, v16, v32, v31
	v_add3_u32 v40, v16, v30, v19
	v_mbcnt_lo_u32_b32 v16, -1, 0
	v_mbcnt_hi_u32_b32 v37, -1, v16
	v_and_b32_e32 v16, 15, v37
	v_cmp_eq_u32_e64 s[14:15], 0, v16
	v_cmp_lt_u32_e64 s[12:13], 1, v16
	v_cmp_lt_u32_e64 s[10:11], 3, v16
	v_cmp_lt_u32_e64 s[8:9], 7, v16
	v_and_b32_e32 v16, 16, v37
	v_cmp_eq_u32_e64 s[6:7], 0, v16
	v_or_b32_e32 v16, 63, v0
	s_cmp_lg_u32 s42, 0
	v_cmp_lt_u32_e64 s[2:3], 31, v37
	v_lshrrev_b32_e32 v39, 6, v0
	v_cmp_eq_u32_e64 s[4:5], v16, v0
	s_barrier
	s_cbranch_scc0 .LBB506_67
; %bb.41:
	v_mov_b32_dpp v16, v40 row_shr:1 row_mask:0xf bank_mask:0xf
	v_cndmask_b32_e64 v16, v16, 0, s[14:15]
	v_add_u32_e32 v16, v16, v40
	s_nop 1
	v_mov_b32_dpp v17, v16 row_shr:2 row_mask:0xf bank_mask:0xf
	v_cndmask_b32_e64 v17, 0, v17, s[12:13]
	v_add_u32_e32 v16, v16, v17
	s_nop 1
	;; [unrolled: 4-line block ×4, first 2 shown]
	v_mov_b32_dpp v17, v16 row_bcast:15 row_mask:0xf bank_mask:0xf
	v_cndmask_b32_e64 v17, v17, 0, s[6:7]
	v_add_u32_e32 v16, v16, v17
	s_nop 1
	v_mov_b32_dpp v17, v16 row_bcast:31 row_mask:0xf bank_mask:0xf
	v_cndmask_b32_e64 v17, 0, v17, s[2:3]
	v_add_u32_e32 v16, v16, v17
	s_and_saveexec_b64 s[0:1], s[4:5]
	s_cbranch_execz .LBB506_43
; %bb.42:
	v_lshlrev_b32_e32 v17, 2, v39
	ds_write_b32 v17, v16
.LBB506_43:
	s_or_b64 exec, exec, s[0:1]
	v_cmp_gt_u32_e32 vcc, 8, v0
	s_waitcnt lgkmcnt(0)
	s_barrier
	s_and_saveexec_b64 s[0:1], vcc
	s_cbranch_execz .LBB506_45
; %bb.44:
	v_lshlrev_b32_e32 v17, 2, v0
	ds_read_b32 v22, v17
	v_and_b32_e32 v23, 7, v37
	v_cmp_ne_u32_e32 vcc, 0, v23
	s_waitcnt lgkmcnt(0)
	v_mov_b32_dpp v24, v22 row_shr:1 row_mask:0xf bank_mask:0xf
	v_cndmask_b32_e32 v24, 0, v24, vcc
	v_add_u32_e32 v22, v24, v22
	v_cmp_lt_u32_e32 vcc, 1, v23
	s_nop 0
	v_mov_b32_dpp v24, v22 row_shr:2 row_mask:0xf bank_mask:0xf
	v_cndmask_b32_e32 v24, 0, v24, vcc
	v_add_u32_e32 v22, v22, v24
	v_cmp_lt_u32_e32 vcc, 3, v23
	s_nop 0
	v_mov_b32_dpp v24, v22 row_shr:4 row_mask:0xf bank_mask:0xf
	v_cndmask_b32_e32 v23, 0, v24, vcc
	v_add_u32_e32 v22, v22, v23
	ds_write_b32 v17, v22
.LBB506_45:
	s_or_b64 exec, exec, s[0:1]
	v_cmp_gt_u32_e32 vcc, 64, v0
	v_cmp_lt_u32_e64 s[0:1], 63, v0
	s_waitcnt lgkmcnt(0)
	s_barrier
	s_waitcnt lgkmcnt(0)
                                        ; implicit-def: $vgpr34
	s_and_saveexec_b64 s[16:17], s[0:1]
	s_cbranch_execz .LBB506_47
; %bb.46:
	v_lshl_add_u32 v17, v39, 2, -4
	ds_read_b32 v34, v17
	s_waitcnt lgkmcnt(0)
	v_add_u32_e32 v16, v34, v16
.LBB506_47:
	s_or_b64 exec, exec, s[16:17]
	v_add_u32_e32 v17, -1, v37
	v_and_b32_e32 v22, 64, v37
	v_cmp_lt_i32_e64 s[0:1], v17, v22
	v_cmp_eq_u32_e64 s[16:17], 0, v37
	s_nop 0
	v_cndmask_b32_e64 v17, v17, v37, s[0:1]
	v_lshlrev_b32_e32 v17, 2, v17
	ds_bpermute_b32 v41, v17, v16
	s_and_saveexec_b64 s[0:1], vcc
	s_cbranch_execz .LBB506_66
; %bb.48:
	v_mov_b32_e32 v27, 0
	ds_read_b32 v16, v27 offset:28
	s_and_saveexec_b64 s[38:39], s[16:17]
	s_cbranch_execz .LBB506_50
; %bb.49:
	s_add_i32 s40, s42, 64
	s_mov_b32 s41, 0
	s_lshl_b64 s[40:41], s[40:41], 3
	s_add_u32 s40, s36, s40
	v_mov_b32_e32 v17, 1
	s_addc_u32 s41, s37, s41
	s_waitcnt lgkmcnt(0)
	global_store_dwordx2 v27, v[16:17], s[40:41] sc1
.LBB506_50:
	s_or_b64 exec, exec, s[38:39]
	v_xad_u32 v22, v37, -1, s42
	v_add_u32_e32 v26, 64, v22
	v_lshl_add_u64 v[28:29], v[26:27], 3, s[36:37]
	global_load_dwordx2 v[24:25], v[28:29], off sc1
	s_waitcnt vmcnt(0)
	v_cmp_eq_u16_sdwa s[40:41], v25, v27 src0_sel:BYTE_0 src1_sel:DWORD
	s_and_saveexec_b64 s[38:39], s[40:41]
	s_cbranch_execz .LBB506_54
; %bb.51:
	s_mov_b64 s[40:41], 0
	v_mov_b32_e32 v17, 0
.LBB506_52:                             ; =>This Inner Loop Header: Depth=1
	global_load_dwordx2 v[24:25], v[28:29], off sc1
	s_waitcnt vmcnt(0)
	v_cmp_ne_u16_sdwa s[44:45], v25, v17 src0_sel:BYTE_0 src1_sel:DWORD
	s_or_b64 s[40:41], s[44:45], s[40:41]
	s_andn2_b64 exec, exec, s[40:41]
	s_cbranch_execnz .LBB506_52
; %bb.53:
	s_or_b64 exec, exec, s[40:41]
.LBB506_54:
	s_or_b64 exec, exec, s[38:39]
	v_and_b32_e32 v43, 63, v37
	v_mov_b32_e32 v42, 2
	v_cmp_ne_u32_e32 vcc, 63, v43
	v_cmp_eq_u16_sdwa s[38:39], v25, v42 src0_sel:BYTE_0 src1_sel:DWORD
	v_lshlrev_b64 v[26:27], v37, -1
	v_addc_co_u32_e32 v28, vcc, 0, v37, vcc
	v_and_b32_e32 v17, s39, v27
	v_lshlrev_b32_e32 v44, 2, v28
	v_or_b32_e32 v17, 0x80000000, v17
	ds_bpermute_b32 v28, v44, v24
	v_and_b32_e32 v23, s38, v26
	v_ffbl_b32_e32 v17, v17
	v_add_u32_e32 v17, 32, v17
	v_ffbl_b32_e32 v23, v23
	v_min_u32_e32 v17, v23, v17
	v_cmp_lt_u32_e32 vcc, v43, v17
	v_add_u32_e32 v46, 2, v43
	v_add_u32_e32 v48, 4, v43
	s_waitcnt lgkmcnt(0)
	v_cndmask_b32_e32 v23, 0, v28, vcc
	v_cmp_gt_u32_e32 vcc, 62, v43
	v_add_u32_e32 v23, v23, v24
	v_add_u32_e32 v50, 8, v43
	v_cndmask_b32_e64 v24, 0, 1, vcc
	v_lshlrev_b32_e32 v24, 1, v24
	v_add_lshl_u32 v45, v24, v37, 2
	ds_bpermute_b32 v24, v45, v23
	v_cmp_le_u32_e32 vcc, v46, v17
	v_add_u32_e32 v52, 16, v43
	v_add_u32_e32 v54, 32, v43
	s_waitcnt lgkmcnt(0)
	v_cndmask_b32_e32 v24, 0, v24, vcc
	v_cmp_gt_u32_e32 vcc, 60, v43
	v_add_u32_e32 v23, v23, v24
	s_nop 0
	v_cndmask_b32_e64 v24, 0, 1, vcc
	v_lshlrev_b32_e32 v24, 2, v24
	v_add_lshl_u32 v47, v24, v37, 2
	ds_bpermute_b32 v24, v47, v23
	v_cmp_le_u32_e32 vcc, v48, v17
	s_waitcnt lgkmcnt(0)
	s_nop 0
	v_cndmask_b32_e32 v24, 0, v24, vcc
	v_cmp_gt_u32_e32 vcc, 56, v43
	v_add_u32_e32 v23, v23, v24
	s_nop 0
	v_cndmask_b32_e64 v24, 0, 1, vcc
	v_lshlrev_b32_e32 v24, 3, v24
	v_add_lshl_u32 v49, v24, v37, 2
	ds_bpermute_b32 v24, v49, v23
	v_cmp_le_u32_e32 vcc, v50, v17
	s_waitcnt lgkmcnt(0)
	s_nop 0
	;; [unrolled: 11-line block ×4, first 2 shown]
	v_cndmask_b32_e32 v17, 0, v24, vcc
	v_add_u32_e32 v24, v23, v17
	v_mov_b32_e32 v23, 0
	s_branch .LBB506_56
.LBB506_55:                             ;   in Loop: Header=BB506_56 Depth=1
	s_or_b64 exec, exec, s[38:39]
	v_cmp_eq_u16_sdwa s[38:39], v25, v42 src0_sel:BYTE_0 src1_sel:DWORD
	ds_bpermute_b32 v55, v44, v24
	v_subrev_u32_e32 v22, 64, v22
	v_and_b32_e32 v28, s39, v27
	v_or_b32_e32 v28, 0x80000000, v28
	v_and_b32_e32 v29, s38, v26
	v_ffbl_b32_e32 v28, v28
	v_add_u32_e32 v28, 32, v28
	v_ffbl_b32_e32 v29, v29
	v_min_u32_e32 v28, v29, v28
	v_cmp_lt_u32_e32 vcc, v43, v28
	s_waitcnt lgkmcnt(0)
	s_nop 0
	v_cndmask_b32_e32 v29, 0, v55, vcc
	v_add_u32_e32 v24, v29, v24
	ds_bpermute_b32 v29, v45, v24
	v_cmp_le_u32_e32 vcc, v46, v28
	s_waitcnt lgkmcnt(0)
	s_nop 0
	v_cndmask_b32_e32 v29, 0, v29, vcc
	v_add_u32_e32 v24, v24, v29
	ds_bpermute_b32 v29, v47, v24
	v_cmp_le_u32_e32 vcc, v48, v28
	;; [unrolled: 6-line block ×5, first 2 shown]
	s_waitcnt lgkmcnt(0)
	s_nop 0
	v_cndmask_b32_e32 v28, 0, v29, vcc
	v_add3_u32 v24, v28, v17, v24
.LBB506_56:                             ; =>This Loop Header: Depth=1
                                        ;     Child Loop BB506_59 Depth 2
	v_cmp_ne_u16_sdwa s[38:39], v25, v42 src0_sel:BYTE_0 src1_sel:DWORD
	s_nop 1
	v_cndmask_b32_e64 v17, 0, 1, s[38:39]
	;;#ASMSTART
	;;#ASMEND
	s_nop 0
	v_cmp_ne_u32_e32 vcc, 0, v17
	s_cmp_lg_u64 vcc, exec
	v_mov_b32_e32 v17, v24
	s_cbranch_scc1 .LBB506_61
; %bb.57:                               ;   in Loop: Header=BB506_56 Depth=1
	v_lshl_add_u64 v[28:29], v[22:23], 3, s[36:37]
	global_load_dwordx2 v[24:25], v[28:29], off sc1
	s_waitcnt vmcnt(0)
	v_cmp_eq_u16_sdwa s[40:41], v25, v23 src0_sel:BYTE_0 src1_sel:DWORD
	s_and_saveexec_b64 s[38:39], s[40:41]
	s_cbranch_execz .LBB506_55
; %bb.58:                               ;   in Loop: Header=BB506_56 Depth=1
	s_mov_b64 s[40:41], 0
.LBB506_59:                             ;   Parent Loop BB506_56 Depth=1
                                        ; =>  This Inner Loop Header: Depth=2
	global_load_dwordx2 v[24:25], v[28:29], off sc1
	s_waitcnt vmcnt(0)
	v_cmp_ne_u16_sdwa s[44:45], v25, v23 src0_sel:BYTE_0 src1_sel:DWORD
	s_or_b64 s[40:41], s[44:45], s[40:41]
	s_andn2_b64 exec, exec, s[40:41]
	s_cbranch_execnz .LBB506_59
; %bb.60:                               ;   in Loop: Header=BB506_56 Depth=1
	s_or_b64 exec, exec, s[40:41]
	s_branch .LBB506_55
.LBB506_61:                             ;   in Loop: Header=BB506_56 Depth=1
                                        ; implicit-def: $vgpr24
                                        ; implicit-def: $vgpr25
	s_cbranch_execz .LBB506_56
; %bb.62:
	s_and_saveexec_b64 s[38:39], s[16:17]
	s_cbranch_execz .LBB506_64
; %bb.63:
	s_add_i32 s40, s42, 64
	s_mov_b32 s41, 0
	s_lshl_b64 s[40:41], s[40:41], 3
	s_add_u32 s40, s36, s40
	v_add_u32_e32 v22, v17, v16
	v_mov_b32_e32 v23, 2
	s_addc_u32 s41, s37, s41
	v_mov_b32_e32 v24, 0
	global_store_dwordx2 v24, v[22:23], s[40:41] sc1
	ds_write_b64 v24, v[16:17] offset:28672
.LBB506_64:
	s_or_b64 exec, exec, s[38:39]
	s_and_b64 exec, exec, s[18:19]
	s_cbranch_execz .LBB506_66
; %bb.65:
	v_mov_b32_e32 v16, 0
	ds_write_b32 v16, v17 offset:28
.LBB506_66:
	s_or_b64 exec, exec, s[0:1]
	v_mov_b32_e32 v16, 0
	s_waitcnt lgkmcnt(0)
	s_barrier
	ds_read_b32 v17, v16 offset:28
	v_cndmask_b32_e64 v22, v41, v34, s[16:17]
	v_cndmask_b32_e64 v22, v22, 0, s[18:19]
	s_waitcnt lgkmcnt(0)
	s_barrier
	v_add_u32_e32 v28, v17, v22
	v_add_u32_e32 v27, v28, v36
	ds_read_b64 v[16:17], v16 offset:28672
	v_add_u32_e32 v26, v27, v35
	v_add_u32_e32 v24, v26, v33
	;; [unrolled: 1-line block ×5, first 2 shown]
	s_waitcnt lgkmcnt(0)
	v_mov_b32_e32 v34, v17
	s_branch .LBB506_77
.LBB506_67:
                                        ; implicit-def: $vgpr34
                                        ; implicit-def: $vgpr16
                                        ; implicit-def: $vgpr22
                                        ; implicit-def: $vgpr23
                                        ; implicit-def: $vgpr25
                                        ; implicit-def: $vgpr24
                                        ; implicit-def: $vgpr26
                                        ; implicit-def: $vgpr27
                                        ; implicit-def: $vgpr28
	s_cbranch_execz .LBB506_77
; %bb.68:
	s_nop 0
	v_mov_b32_dpp v16, v40 row_shr:1 row_mask:0xf bank_mask:0xf
	v_cndmask_b32_e64 v16, v16, 0, s[14:15]
	v_add_u32_e32 v16, v16, v40
	s_nop 1
	v_mov_b32_dpp v17, v16 row_shr:2 row_mask:0xf bank_mask:0xf
	v_cndmask_b32_e64 v17, 0, v17, s[12:13]
	v_add_u32_e32 v16, v16, v17
	;; [unrolled: 4-line block ×4, first 2 shown]
	s_nop 1
	v_mov_b32_dpp v17, v16 row_bcast:15 row_mask:0xf bank_mask:0xf
	v_cndmask_b32_e64 v17, v17, 0, s[6:7]
	v_add_u32_e32 v16, v16, v17
	s_nop 1
	v_mov_b32_dpp v17, v16 row_bcast:31 row_mask:0xf bank_mask:0xf
	v_cndmask_b32_e64 v17, 0, v17, s[2:3]
	v_add_u32_e32 v16, v16, v17
	s_and_saveexec_b64 s[0:1], s[4:5]
	s_cbranch_execz .LBB506_70
; %bb.69:
	v_lshlrev_b32_e32 v17, 2, v39
	ds_write_b32 v17, v16
.LBB506_70:
	s_or_b64 exec, exec, s[0:1]
	v_cmp_gt_u32_e32 vcc, 8, v0
	s_waitcnt lgkmcnt(0)
	s_barrier
	s_and_saveexec_b64 s[0:1], vcc
	s_cbranch_execz .LBB506_72
; %bb.71:
	v_mad_i32_i24 v17, v0, -3, v38
	ds_read_b32 v22, v17
	v_and_b32_e32 v23, 7, v37
	v_cmp_ne_u32_e32 vcc, 0, v23
	s_waitcnt lgkmcnt(0)
	v_mov_b32_dpp v24, v22 row_shr:1 row_mask:0xf bank_mask:0xf
	v_cndmask_b32_e32 v24, 0, v24, vcc
	v_add_u32_e32 v22, v24, v22
	v_cmp_lt_u32_e32 vcc, 1, v23
	s_nop 0
	v_mov_b32_dpp v24, v22 row_shr:2 row_mask:0xf bank_mask:0xf
	v_cndmask_b32_e32 v24, 0, v24, vcc
	v_add_u32_e32 v22, v22, v24
	v_cmp_lt_u32_e32 vcc, 3, v23
	s_nop 0
	v_mov_b32_dpp v24, v22 row_shr:4 row_mask:0xf bank_mask:0xf
	v_cndmask_b32_e32 v23, 0, v24, vcc
	v_add_u32_e32 v22, v22, v23
	ds_write_b32 v17, v22
.LBB506_72:
	s_or_b64 exec, exec, s[0:1]
	v_cmp_lt_u32_e32 vcc, 63, v0
	v_mov_b32_e32 v17, 0
	v_mov_b32_e32 v22, 0
	s_waitcnt lgkmcnt(0)
	s_barrier
	s_and_saveexec_b64 s[0:1], vcc
	s_cbranch_execz .LBB506_74
; %bb.73:
	v_lshl_add_u32 v22, v39, 2, -4
	ds_read_b32 v22, v22
.LBB506_74:
	s_or_b64 exec, exec, s[0:1]
	v_add_u32_e32 v23, -1, v37
	v_and_b32_e32 v24, 64, v37
	v_cmp_lt_i32_e32 vcc, v23, v24
	s_waitcnt lgkmcnt(0)
	v_add_u32_e32 v16, v22, v16
	v_cndmask_b32_e32 v23, v23, v37, vcc
	v_lshlrev_b32_e32 v23, 2, v23
	ds_bpermute_b32 v23, v23, v16
	ds_read_b32 v16, v17 offset:28
	s_and_saveexec_b64 s[0:1], s[18:19]
	s_cbranch_execz .LBB506_76
; %bb.75:
	v_mov_b32_e32 v24, 0
	v_mov_b32_e32 v17, 2
	s_waitcnt lgkmcnt(0)
	global_store_dwordx2 v24, v[16:17], s[36:37] offset:512 sc1
.LBB506_76:
	s_or_b64 exec, exec, s[0:1]
	v_cmp_eq_u32_e32 vcc, 0, v37
	v_mov_b32_e32 v34, 0
	s_waitcnt lgkmcnt(0)
	v_cndmask_b32_e32 v17, v23, v22, vcc
	v_cndmask_b32_e64 v28, v17, 0, s[18:19]
	v_add_u32_e32 v27, v28, v36
	v_add_u32_e32 v26, v27, v35
	;; [unrolled: 1-line block ×6, first 2 shown]
	s_barrier
.LBB506_77:
	v_add_u32_e32 v1, v16, v1
	v_sub_u32_e32 v17, v28, v34
	v_sub_u32_e32 v28, v1, v17
	v_cmp_eq_u32_e32 vcc, 1, v36
	s_add_u32 s0, s26, s24
	s_addc_u32 s1, s27, 0
	v_cndmask_b32_e32 v17, v28, v17, vcc
	v_lshlrev_b32_e32 v17, 3, v17
	ds_write_b64 v17, v[10:11]
	v_sub_u32_e32 v10, v27, v34
	v_sub_u32_e32 v11, v1, v10
	v_add_u32_e32 v11, 1, v11
	v_cmp_eq_u32_e32 vcc, 1, v35
	s_sub_u32 s0, s30, s0
	s_subb_u32 s1, s31, s1
	v_cndmask_b32_e32 v10, v11, v10, vcc
	v_lshlrev_b32_e32 v10, 3, v10
	ds_write_b64 v10, v[12:13]
	v_sub_u32_e32 v10, v26, v34
	v_sub_u32_e32 v11, v1, v10
	v_add_u32_e32 v11, 2, v11
	v_cmp_eq_u32_e32 vcc, 1, v33
	v_or_b32_e32 v28, 0x600, v0
	v_or_b32_e32 v26, 0x800, v0
	v_cndmask_b32_e32 v10, v11, v10, vcc
	v_lshlrev_b32_e32 v10, 3, v10
	ds_write_b64 v10, v[6:7]
	v_sub_u32_e32 v6, v24, v34
	v_sub_u32_e32 v7, v1, v6
	v_add_u32_e32 v7, 3, v7
	v_cmp_eq_u32_e32 vcc, 1, v32
	v_or_b32_e32 v32, 0x200, v0
	v_or_b32_e32 v24, 0xa00, v0
	v_cndmask_b32_e32 v6, v7, v6, vcc
	v_lshlrev_b32_e32 v6, 3, v6
	ds_write_b64 v6, v[8:9]
	v_sub_u32_e32 v6, v25, v34
	v_sub_u32_e32 v7, v1, v6
	v_add_u32_e32 v7, 4, v7
	v_cmp_eq_u32_e32 vcc, 1, v31
	s_nop 1
	v_cndmask_b32_e32 v6, v7, v6, vcc
	v_lshlrev_b32_e32 v6, 3, v6
	ds_write_b64 v6, v[2:3]
	v_sub_u32_e32 v2, v23, v34
	v_sub_u32_e32 v3, v1, v2
	v_add_u32_e32 v3, 5, v3
	v_cmp_eq_u32_e32 vcc, 1, v30
	v_or_b32_e32 v30, 0x400, v0
	s_nop 0
	v_cndmask_b32_e32 v2, v3, v2, vcc
	v_lshlrev_b32_e32 v2, 3, v2
	ds_write_b64 v2, v[4:5]
	v_sub_u32_e32 v2, v22, v34
	v_sub_u32_e32 v1, v1, v2
	v_add_u32_e32 v1, 6, v1
	v_cmp_eq_u32_e32 vcc, 1, v19
	v_or_b32_e32 v22, 0xc00, v0
	s_nop 0
	v_cndmask_b32_e32 v1, v1, v2, vcc
	v_lshlrev_b32_e32 v1, 3, v1
	ds_write_b64 v1, v[14:15]
	s_waitcnt lgkmcnt(0)
	s_barrier
	ds_read2st64_b64 v[10:13], v18 offset1:8
	ds_read2st64_b64 v[6:9], v18 offset0:16 offset1:24
	ds_read2st64_b64 v[2:5], v18 offset0:32 offset1:40
	ds_read_b64 v[18:19], v18 offset:24576
	v_mov_b32_e32 v1, 0
	v_mov_b32_e32 v35, v1
	;; [unrolled: 1-line block ×3, first 2 shown]
	s_waitcnt vmcnt(0)
	v_lshl_add_u64 v[14:15], v[20:21], 0, v[34:35]
	v_lshl_add_u64 v[20:21], s[0:1], 0, v[16:17]
	v_mov_b32_e32 v33, v1
	v_mov_b32_e32 v31, v1
	v_mov_b32_e32 v29, v1
	v_mov_b32_e32 v27, v1
	v_mov_b32_e32 v25, v1
	v_mov_b32_e32 v23, v1
	s_andn2_b64 vcc, exec, s[34:35]
	v_lshl_add_u64 v[20:21], v[20:21], 0, v[14:15]
	s_cbranch_vccnz .LBB506_110
; %bb.78:
	v_cmp_ge_u32_e32 vcc, v0, v16
                                        ; implicit-def: $vgpr34_vgpr35
	s_and_saveexec_b64 s[0:1], vcc
	s_xor_b64 s[0:1], exec, s[0:1]
; %bb.79:
	v_not_b32_e32 v34, v0
	v_ashrrev_i32_e32 v35, 31, v34
	v_lshl_add_u64 v[34:35], v[20:21], 0, v[34:35]
; %bb.80:
	s_andn2_saveexec_b64 s[0:1], s[0:1]
; %bb.81:
	v_lshl_add_u64 v[34:35], v[14:15], 0, v[0:1]
; %bb.82:
	s_or_b64 exec, exec, s[0:1]
	v_lshl_add_u64 v[34:35], v[34:35], 3, s[28:29]
	v_cmp_ge_u32_e32 vcc, v32, v16
	s_waitcnt lgkmcnt(3)
	global_store_dwordx2 v[34:35], v[10:11], off
                                        ; implicit-def: $vgpr34_vgpr35
	s_and_saveexec_b64 s[0:1], vcc
	s_xor_b64 s[0:1], exec, s[0:1]
; %bb.83:
	v_xor_b32_e32 v34, 0xfffffdff, v0
	v_ashrrev_i32_e32 v35, 31, v34
	v_lshl_add_u64 v[34:35], v[20:21], 0, v[34:35]
; %bb.84:
	s_andn2_saveexec_b64 s[0:1], s[0:1]
; %bb.85:
	v_lshl_add_u64 v[34:35], v[14:15], 0, v[32:33]
; %bb.86:
	s_or_b64 exec, exec, s[0:1]
	v_lshl_add_u64 v[34:35], v[34:35], 3, s[28:29]
	v_cmp_ge_u32_e32 vcc, v30, v16
	global_store_dwordx2 v[34:35], v[12:13], off
                                        ; implicit-def: $vgpr34_vgpr35
	s_and_saveexec_b64 s[0:1], vcc
	s_xor_b64 s[0:1], exec, s[0:1]
; %bb.87:
	v_xor_b32_e32 v34, 0xfffffbff, v0
	v_ashrrev_i32_e32 v35, 31, v34
	v_lshl_add_u64 v[34:35], v[20:21], 0, v[34:35]
; %bb.88:
	s_andn2_saveexec_b64 s[0:1], s[0:1]
; %bb.89:
	v_lshl_add_u64 v[34:35], v[14:15], 0, v[30:31]
; %bb.90:
	s_or_b64 exec, exec, s[0:1]
	v_lshl_add_u64 v[34:35], v[34:35], 3, s[28:29]
	v_cmp_ge_u32_e32 vcc, v28, v16
	s_waitcnt lgkmcnt(2)
	global_store_dwordx2 v[34:35], v[6:7], off
                                        ; implicit-def: $vgpr34_vgpr35
	s_and_saveexec_b64 s[0:1], vcc
	s_xor_b64 s[0:1], exec, s[0:1]
; %bb.91:
	v_xor_b32_e32 v34, 0xfffff9ff, v0
	v_ashrrev_i32_e32 v35, 31, v34
	v_lshl_add_u64 v[34:35], v[20:21], 0, v[34:35]
; %bb.92:
	s_andn2_saveexec_b64 s[0:1], s[0:1]
; %bb.93:
	v_lshl_add_u64 v[34:35], v[14:15], 0, v[28:29]
; %bb.94:
	s_or_b64 exec, exec, s[0:1]
	v_lshl_add_u64 v[34:35], v[34:35], 3, s[28:29]
	v_cmp_ge_u32_e32 vcc, v26, v16
	global_store_dwordx2 v[34:35], v[8:9], off
                                        ; implicit-def: $vgpr34_vgpr35
	s_and_saveexec_b64 s[0:1], vcc
	s_xor_b64 s[0:1], exec, s[0:1]
; %bb.95:
	v_xor_b32_e32 v34, 0xfffff7ff, v0
	;; [unrolled: 33-line block ×3, first 2 shown]
	v_ashrrev_i32_e32 v35, 31, v34
	v_lshl_add_u64 v[34:35], v[20:21], 0, v[34:35]
; %bb.104:
	s_andn2_saveexec_b64 s[0:1], s[0:1]
; %bb.105:
	v_lshl_add_u64 v[34:35], v[14:15], 0, v[22:23]
; %bb.106:
	s_or_b64 exec, exec, s[0:1]
	s_mov_b64 s[0:1], -1
.LBB506_107:
	s_and_saveexec_b64 s[2:3], s[0:1]
	s_cbranch_execz .LBB506_154
.LBB506_108:
	v_lshl_add_u64 v[0:1], v[34:35], 3, s[28:29]
	s_waitcnt lgkmcnt(0)
	global_store_dwordx2 v[0:1], v[18:19], off
	s_or_b64 exec, exec, s[2:3]
	s_and_b64 s[0:1], s[18:19], s[22:23]
	s_and_saveexec_b64 s[2:3], s[0:1]
	s_cbranch_execnz .LBB506_155
.LBB506_109:
	s_endpgm
.LBB506_110:
	s_mov_b64 s[0:1], 0
                                        ; implicit-def: $vgpr34_vgpr35
	s_cbranch_execz .LBB506_107
; %bb.111:
	v_cmp_gt_u32_e32 vcc, s33, v0
	s_and_saveexec_b64 s[2:3], vcc
	s_cbranch_execz .LBB506_129
; %bb.112:
	v_cmp_ge_u32_e32 vcc, v0, v16
                                        ; implicit-def: $vgpr34_vgpr35
	s_and_saveexec_b64 s[4:5], vcc
	s_xor_b64 s[4:5], exec, s[4:5]
; %bb.113:
	v_not_b32_e32 v34, v0
	v_ashrrev_i32_e32 v35, 31, v34
	v_lshl_add_u64 v[34:35], v[20:21], 0, v[34:35]
; %bb.114:
	s_andn2_saveexec_b64 s[4:5], s[4:5]
; %bb.115:
	v_lshl_add_u64 v[34:35], v[14:15], 0, v[0:1]
; %bb.116:
	s_or_b64 exec, exec, s[4:5]
	v_lshl_add_u64 v[34:35], v[34:35], 3, s[28:29]
	s_waitcnt lgkmcnt(3)
	global_store_dwordx2 v[34:35], v[10:11], off
	s_or_b64 exec, exec, s[2:3]
	v_cmp_gt_u32_e32 vcc, s33, v32
	s_and_saveexec_b64 s[2:3], vcc
	s_cbranch_execnz .LBB506_130
.LBB506_117:
	s_or_b64 exec, exec, s[2:3]
	v_cmp_gt_u32_e32 vcc, s33, v30
	s_and_saveexec_b64 s[2:3], vcc
	s_cbranch_execz .LBB506_135
.LBB506_118:
	v_cmp_ge_u32_e32 vcc, v30, v16
                                        ; implicit-def: $vgpr10_vgpr11
	s_and_saveexec_b64 s[4:5], vcc
	s_xor_b64 s[4:5], exec, s[4:5]
	s_cbranch_execz .LBB506_120
; %bb.119:
	s_waitcnt lgkmcnt(3)
	v_xor_b32_e32 v10, 0xfffffbff, v0
	v_ashrrev_i32_e32 v11, 31, v10
	v_lshl_add_u64 v[10:11], v[20:21], 0, v[10:11]
                                        ; implicit-def: $vgpr30_vgpr31
.LBB506_120:
	s_andn2_saveexec_b64 s[4:5], s[4:5]
	s_cbranch_execz .LBB506_122
; %bb.121:
	s_waitcnt lgkmcnt(3)
	v_lshl_add_u64 v[10:11], v[14:15], 0, v[30:31]
.LBB506_122:
	s_or_b64 exec, exec, s[4:5]
	s_waitcnt lgkmcnt(3)
	v_lshl_add_u64 v[10:11], v[10:11], 3, s[28:29]
	s_waitcnt lgkmcnt(2)
	global_store_dwordx2 v[10:11], v[6:7], off
	s_or_b64 exec, exec, s[2:3]
	v_cmp_gt_u32_e32 vcc, s33, v28
	s_and_saveexec_b64 s[2:3], vcc
	s_cbranch_execnz .LBB506_136
.LBB506_123:
	s_or_b64 exec, exec, s[2:3]
	v_cmp_gt_u32_e32 vcc, s33, v26
	s_and_saveexec_b64 s[2:3], vcc
	s_cbranch_execz .LBB506_141
.LBB506_124:
	v_cmp_ge_u32_e32 vcc, v26, v16
                                        ; implicit-def: $vgpr6_vgpr7
	s_and_saveexec_b64 s[4:5], vcc
	s_xor_b64 s[4:5], exec, s[4:5]
	s_cbranch_execz .LBB506_126
; %bb.125:
	s_waitcnt lgkmcnt(2)
	v_xor_b32_e32 v6, 0xfffff7ff, v0
	v_ashrrev_i32_e32 v7, 31, v6
	v_lshl_add_u64 v[6:7], v[20:21], 0, v[6:7]
                                        ; implicit-def: $vgpr26_vgpr27
.LBB506_126:
	s_andn2_saveexec_b64 s[4:5], s[4:5]
	s_cbranch_execz .LBB506_128
; %bb.127:
	s_waitcnt lgkmcnt(2)
	v_lshl_add_u64 v[6:7], v[14:15], 0, v[26:27]
.LBB506_128:
	s_or_b64 exec, exec, s[4:5]
	s_waitcnt lgkmcnt(2)
	v_lshl_add_u64 v[6:7], v[6:7], 3, s[28:29]
	s_waitcnt lgkmcnt(1)
	global_store_dwordx2 v[6:7], v[2:3], off
	s_or_b64 exec, exec, s[2:3]
	v_cmp_gt_u32_e32 vcc, s33, v24
	s_and_saveexec_b64 s[2:3], vcc
	s_cbranch_execz .LBB506_147
	s_branch .LBB506_142
.LBB506_129:
	s_or_b64 exec, exec, s[2:3]
	v_cmp_gt_u32_e32 vcc, s33, v32
	s_and_saveexec_b64 s[2:3], vcc
	s_cbranch_execz .LBB506_117
.LBB506_130:
	v_cmp_ge_u32_e32 vcc, v32, v16
                                        ; implicit-def: $vgpr10_vgpr11
	s_and_saveexec_b64 s[4:5], vcc
	s_xor_b64 s[4:5], exec, s[4:5]
	s_cbranch_execz .LBB506_132
; %bb.131:
	s_waitcnt lgkmcnt(3)
	v_xor_b32_e32 v10, 0xfffffdff, v0
	v_ashrrev_i32_e32 v11, 31, v10
	v_lshl_add_u64 v[10:11], v[20:21], 0, v[10:11]
                                        ; implicit-def: $vgpr32_vgpr33
.LBB506_132:
	s_andn2_saveexec_b64 s[4:5], s[4:5]
	s_cbranch_execz .LBB506_134
; %bb.133:
	s_waitcnt lgkmcnt(3)
	v_lshl_add_u64 v[10:11], v[14:15], 0, v[32:33]
.LBB506_134:
	s_or_b64 exec, exec, s[4:5]
	s_waitcnt lgkmcnt(3)
	v_lshl_add_u64 v[10:11], v[10:11], 3, s[28:29]
	global_store_dwordx2 v[10:11], v[12:13], off
	s_or_b64 exec, exec, s[2:3]
	v_cmp_gt_u32_e32 vcc, s33, v30
	s_and_saveexec_b64 s[2:3], vcc
	s_cbranch_execnz .LBB506_118
.LBB506_135:
	s_or_b64 exec, exec, s[2:3]
	v_cmp_gt_u32_e32 vcc, s33, v28
	s_and_saveexec_b64 s[2:3], vcc
	s_cbranch_execz .LBB506_123
.LBB506_136:
	v_cmp_ge_u32_e32 vcc, v28, v16
                                        ; implicit-def: $vgpr6_vgpr7
	s_and_saveexec_b64 s[4:5], vcc
	s_xor_b64 s[4:5], exec, s[4:5]
	s_cbranch_execz .LBB506_138
; %bb.137:
	s_waitcnt lgkmcnt(2)
	v_xor_b32_e32 v6, 0xfffff9ff, v0
	v_ashrrev_i32_e32 v7, 31, v6
	v_lshl_add_u64 v[6:7], v[20:21], 0, v[6:7]
                                        ; implicit-def: $vgpr28_vgpr29
.LBB506_138:
	s_andn2_saveexec_b64 s[4:5], s[4:5]
	s_cbranch_execz .LBB506_140
; %bb.139:
	s_waitcnt lgkmcnt(2)
	v_lshl_add_u64 v[6:7], v[14:15], 0, v[28:29]
.LBB506_140:
	s_or_b64 exec, exec, s[4:5]
	s_waitcnt lgkmcnt(2)
	v_lshl_add_u64 v[6:7], v[6:7], 3, s[28:29]
	global_store_dwordx2 v[6:7], v[8:9], off
	s_or_b64 exec, exec, s[2:3]
	v_cmp_gt_u32_e32 vcc, s33, v26
	s_and_saveexec_b64 s[2:3], vcc
	s_cbranch_execnz .LBB506_124
.LBB506_141:
	s_or_b64 exec, exec, s[2:3]
	v_cmp_gt_u32_e32 vcc, s33, v24
	s_and_saveexec_b64 s[2:3], vcc
	s_cbranch_execz .LBB506_147
.LBB506_142:
	v_cmp_ge_u32_e32 vcc, v24, v16
                                        ; implicit-def: $vgpr2_vgpr3
	s_and_saveexec_b64 s[4:5], vcc
	s_xor_b64 s[4:5], exec, s[4:5]
	s_cbranch_execz .LBB506_144
; %bb.143:
	s_waitcnt lgkmcnt(1)
	v_xor_b32_e32 v2, 0xfffff5ff, v0
	v_ashrrev_i32_e32 v3, 31, v2
	v_lshl_add_u64 v[2:3], v[20:21], 0, v[2:3]
                                        ; implicit-def: $vgpr24_vgpr25
.LBB506_144:
	s_andn2_saveexec_b64 s[4:5], s[4:5]
	s_cbranch_execz .LBB506_146
; %bb.145:
	s_waitcnt lgkmcnt(1)
	v_lshl_add_u64 v[2:3], v[14:15], 0, v[24:25]
.LBB506_146:
	s_or_b64 exec, exec, s[4:5]
	s_waitcnt lgkmcnt(1)
	v_lshl_add_u64 v[2:3], v[2:3], 3, s[28:29]
	global_store_dwordx2 v[2:3], v[4:5], off
.LBB506_147:
	s_or_b64 exec, exec, s[2:3]
	v_cmp_gt_u32_e32 vcc, s33, v22
                                        ; implicit-def: $vgpr34_vgpr35
	s_and_saveexec_b64 s[2:3], vcc
	s_cbranch_execz .LBB506_153
; %bb.148:
	v_cmp_ge_u32_e32 vcc, v22, v16
                                        ; implicit-def: $vgpr34_vgpr35
	s_and_saveexec_b64 s[4:5], vcc
	s_xor_b64 s[4:5], exec, s[4:5]
; %bb.149:
	v_xor_b32_e32 v0, 0xfffff3ff, v0
	v_ashrrev_i32_e32 v1, 31, v0
	v_lshl_add_u64 v[34:35], v[20:21], 0, v[0:1]
                                        ; implicit-def: $vgpr22_vgpr23
; %bb.150:
	s_andn2_saveexec_b64 s[4:5], s[4:5]
; %bb.151:
	v_lshl_add_u64 v[34:35], v[14:15], 0, v[22:23]
; %bb.152:
	s_or_b64 exec, exec, s[4:5]
	s_or_b64 s[0:1], s[0:1], exec
.LBB506_153:
	s_or_b64 exec, exec, s[2:3]
	s_and_saveexec_b64 s[2:3], s[0:1]
	s_cbranch_execnz .LBB506_108
.LBB506_154:
	s_or_b64 exec, exec, s[2:3]
	s_and_b64 s[0:1], s[18:19], s[22:23]
	s_and_saveexec_b64 s[2:3], s[0:1]
	s_cbranch_execz .LBB506_109
.LBB506_155:
	s_waitcnt lgkmcnt(1)
	v_mov_b32_e32 v2, 0
	v_lshl_add_u64 v[0:1], v[14:15], 0, v[16:17]
	global_store_dwordx2 v2, v[0:1], s[20:21]
	s_endpgm
	.section	.rodata,"a",@progbits
	.p2align	6, 0x0
	.amdhsa_kernel _ZN7rocprim17ROCPRIM_400000_NS6detail17trampoline_kernelINS0_14default_configENS1_25partition_config_selectorILNS1_17partition_subalgoE2ExNS0_10empty_typeEbEEZZNS1_14partition_implILS5_2ELb0ES3_jN6thrust23THRUST_200600_302600_NS6detail15normal_iteratorINSA_7pointerIxNSA_11hip_rocprim3tagENSA_11use_defaultESG_EEEEPS6_NSA_18transform_iteratorINSA_8identityIxEENSC_INSA_10device_ptrIxEEEESG_SG_EENS0_5tupleIJPxSJ_EEENSR_IJSJ_SJ_EEES6_PlJS6_EEE10hipError_tPvRmT3_T4_T5_T6_T7_T9_mT8_P12ihipStream_tbDpT10_ENKUlT_T0_E_clISt17integral_constantIbLb0EES1E_IbLb1EEEEDaS1A_S1B_EUlS1A_E_NS1_11comp_targetILNS1_3genE5ELNS1_11target_archE942ELNS1_3gpuE9ELNS1_3repE0EEENS1_30default_config_static_selectorELNS0_4arch9wavefront6targetE1EEEvT1_
		.amdhsa_group_segment_fixed_size 28680
		.amdhsa_private_segment_fixed_size 0
		.amdhsa_kernarg_size 144
		.amdhsa_user_sgpr_count 2
		.amdhsa_user_sgpr_dispatch_ptr 0
		.amdhsa_user_sgpr_queue_ptr 0
		.amdhsa_user_sgpr_kernarg_segment_ptr 1
		.amdhsa_user_sgpr_dispatch_id 0
		.amdhsa_user_sgpr_kernarg_preload_length 0
		.amdhsa_user_sgpr_kernarg_preload_offset 0
		.amdhsa_user_sgpr_private_segment_size 0
		.amdhsa_uses_dynamic_stack 0
		.amdhsa_enable_private_segment 0
		.amdhsa_system_sgpr_workgroup_id_x 1
		.amdhsa_system_sgpr_workgroup_id_y 0
		.amdhsa_system_sgpr_workgroup_id_z 0
		.amdhsa_system_sgpr_workgroup_info 0
		.amdhsa_system_vgpr_workitem_id 0
		.amdhsa_next_free_vgpr 56
		.amdhsa_next_free_sgpr 46
		.amdhsa_accum_offset 56
		.amdhsa_reserve_vcc 1
		.amdhsa_float_round_mode_32 0
		.amdhsa_float_round_mode_16_64 0
		.amdhsa_float_denorm_mode_32 3
		.amdhsa_float_denorm_mode_16_64 3
		.amdhsa_dx10_clamp 1
		.amdhsa_ieee_mode 1
		.amdhsa_fp16_overflow 0
		.amdhsa_tg_split 0
		.amdhsa_exception_fp_ieee_invalid_op 0
		.amdhsa_exception_fp_denorm_src 0
		.amdhsa_exception_fp_ieee_div_zero 0
		.amdhsa_exception_fp_ieee_overflow 0
		.amdhsa_exception_fp_ieee_underflow 0
		.amdhsa_exception_fp_ieee_inexact 0
		.amdhsa_exception_int_div_zero 0
	.end_amdhsa_kernel
	.section	.text._ZN7rocprim17ROCPRIM_400000_NS6detail17trampoline_kernelINS0_14default_configENS1_25partition_config_selectorILNS1_17partition_subalgoE2ExNS0_10empty_typeEbEEZZNS1_14partition_implILS5_2ELb0ES3_jN6thrust23THRUST_200600_302600_NS6detail15normal_iteratorINSA_7pointerIxNSA_11hip_rocprim3tagENSA_11use_defaultESG_EEEEPS6_NSA_18transform_iteratorINSA_8identityIxEENSC_INSA_10device_ptrIxEEEESG_SG_EENS0_5tupleIJPxSJ_EEENSR_IJSJ_SJ_EEES6_PlJS6_EEE10hipError_tPvRmT3_T4_T5_T6_T7_T9_mT8_P12ihipStream_tbDpT10_ENKUlT_T0_E_clISt17integral_constantIbLb0EES1E_IbLb1EEEEDaS1A_S1B_EUlS1A_E_NS1_11comp_targetILNS1_3genE5ELNS1_11target_archE942ELNS1_3gpuE9ELNS1_3repE0EEENS1_30default_config_static_selectorELNS0_4arch9wavefront6targetE1EEEvT1_,"axG",@progbits,_ZN7rocprim17ROCPRIM_400000_NS6detail17trampoline_kernelINS0_14default_configENS1_25partition_config_selectorILNS1_17partition_subalgoE2ExNS0_10empty_typeEbEEZZNS1_14partition_implILS5_2ELb0ES3_jN6thrust23THRUST_200600_302600_NS6detail15normal_iteratorINSA_7pointerIxNSA_11hip_rocprim3tagENSA_11use_defaultESG_EEEEPS6_NSA_18transform_iteratorINSA_8identityIxEENSC_INSA_10device_ptrIxEEEESG_SG_EENS0_5tupleIJPxSJ_EEENSR_IJSJ_SJ_EEES6_PlJS6_EEE10hipError_tPvRmT3_T4_T5_T6_T7_T9_mT8_P12ihipStream_tbDpT10_ENKUlT_T0_E_clISt17integral_constantIbLb0EES1E_IbLb1EEEEDaS1A_S1B_EUlS1A_E_NS1_11comp_targetILNS1_3genE5ELNS1_11target_archE942ELNS1_3gpuE9ELNS1_3repE0EEENS1_30default_config_static_selectorELNS0_4arch9wavefront6targetE1EEEvT1_,comdat
.Lfunc_end506:
	.size	_ZN7rocprim17ROCPRIM_400000_NS6detail17trampoline_kernelINS0_14default_configENS1_25partition_config_selectorILNS1_17partition_subalgoE2ExNS0_10empty_typeEbEEZZNS1_14partition_implILS5_2ELb0ES3_jN6thrust23THRUST_200600_302600_NS6detail15normal_iteratorINSA_7pointerIxNSA_11hip_rocprim3tagENSA_11use_defaultESG_EEEEPS6_NSA_18transform_iteratorINSA_8identityIxEENSC_INSA_10device_ptrIxEEEESG_SG_EENS0_5tupleIJPxSJ_EEENSR_IJSJ_SJ_EEES6_PlJS6_EEE10hipError_tPvRmT3_T4_T5_T6_T7_T9_mT8_P12ihipStream_tbDpT10_ENKUlT_T0_E_clISt17integral_constantIbLb0EES1E_IbLb1EEEEDaS1A_S1B_EUlS1A_E_NS1_11comp_targetILNS1_3genE5ELNS1_11target_archE942ELNS1_3gpuE9ELNS1_3repE0EEENS1_30default_config_static_selectorELNS0_4arch9wavefront6targetE1EEEvT1_, .Lfunc_end506-_ZN7rocprim17ROCPRIM_400000_NS6detail17trampoline_kernelINS0_14default_configENS1_25partition_config_selectorILNS1_17partition_subalgoE2ExNS0_10empty_typeEbEEZZNS1_14partition_implILS5_2ELb0ES3_jN6thrust23THRUST_200600_302600_NS6detail15normal_iteratorINSA_7pointerIxNSA_11hip_rocprim3tagENSA_11use_defaultESG_EEEEPS6_NSA_18transform_iteratorINSA_8identityIxEENSC_INSA_10device_ptrIxEEEESG_SG_EENS0_5tupleIJPxSJ_EEENSR_IJSJ_SJ_EEES6_PlJS6_EEE10hipError_tPvRmT3_T4_T5_T6_T7_T9_mT8_P12ihipStream_tbDpT10_ENKUlT_T0_E_clISt17integral_constantIbLb0EES1E_IbLb1EEEEDaS1A_S1B_EUlS1A_E_NS1_11comp_targetILNS1_3genE5ELNS1_11target_archE942ELNS1_3gpuE9ELNS1_3repE0EEENS1_30default_config_static_selectorELNS0_4arch9wavefront6targetE1EEEvT1_
                                        ; -- End function
	.section	.AMDGPU.csdata,"",@progbits
; Kernel info:
; codeLenInByte = 5732
; NumSgprs: 52
; NumVgprs: 56
; NumAgprs: 0
; TotalNumVgprs: 56
; ScratchSize: 0
; MemoryBound: 0
; FloatMode: 240
; IeeeMode: 1
; LDSByteSize: 28680 bytes/workgroup (compile time only)
; SGPRBlocks: 6
; VGPRBlocks: 6
; NumSGPRsForWavesPerEU: 52
; NumVGPRsForWavesPerEU: 56
; AccumOffset: 56
; Occupancy: 4
; WaveLimiterHint : 1
; COMPUTE_PGM_RSRC2:SCRATCH_EN: 0
; COMPUTE_PGM_RSRC2:USER_SGPR: 2
; COMPUTE_PGM_RSRC2:TRAP_HANDLER: 0
; COMPUTE_PGM_RSRC2:TGID_X_EN: 1
; COMPUTE_PGM_RSRC2:TGID_Y_EN: 0
; COMPUTE_PGM_RSRC2:TGID_Z_EN: 0
; COMPUTE_PGM_RSRC2:TIDIG_COMP_CNT: 0
; COMPUTE_PGM_RSRC3_GFX90A:ACCUM_OFFSET: 13
; COMPUTE_PGM_RSRC3_GFX90A:TG_SPLIT: 0
	.section	.text._ZN7rocprim17ROCPRIM_400000_NS6detail17trampoline_kernelINS0_14default_configENS1_25partition_config_selectorILNS1_17partition_subalgoE2ExNS0_10empty_typeEbEEZZNS1_14partition_implILS5_2ELb0ES3_jN6thrust23THRUST_200600_302600_NS6detail15normal_iteratorINSA_7pointerIxNSA_11hip_rocprim3tagENSA_11use_defaultESG_EEEEPS6_NSA_18transform_iteratorINSA_8identityIxEENSC_INSA_10device_ptrIxEEEESG_SG_EENS0_5tupleIJPxSJ_EEENSR_IJSJ_SJ_EEES6_PlJS6_EEE10hipError_tPvRmT3_T4_T5_T6_T7_T9_mT8_P12ihipStream_tbDpT10_ENKUlT_T0_E_clISt17integral_constantIbLb0EES1E_IbLb1EEEEDaS1A_S1B_EUlS1A_E_NS1_11comp_targetILNS1_3genE4ELNS1_11target_archE910ELNS1_3gpuE8ELNS1_3repE0EEENS1_30default_config_static_selectorELNS0_4arch9wavefront6targetE1EEEvT1_,"axG",@progbits,_ZN7rocprim17ROCPRIM_400000_NS6detail17trampoline_kernelINS0_14default_configENS1_25partition_config_selectorILNS1_17partition_subalgoE2ExNS0_10empty_typeEbEEZZNS1_14partition_implILS5_2ELb0ES3_jN6thrust23THRUST_200600_302600_NS6detail15normal_iteratorINSA_7pointerIxNSA_11hip_rocprim3tagENSA_11use_defaultESG_EEEEPS6_NSA_18transform_iteratorINSA_8identityIxEENSC_INSA_10device_ptrIxEEEESG_SG_EENS0_5tupleIJPxSJ_EEENSR_IJSJ_SJ_EEES6_PlJS6_EEE10hipError_tPvRmT3_T4_T5_T6_T7_T9_mT8_P12ihipStream_tbDpT10_ENKUlT_T0_E_clISt17integral_constantIbLb0EES1E_IbLb1EEEEDaS1A_S1B_EUlS1A_E_NS1_11comp_targetILNS1_3genE4ELNS1_11target_archE910ELNS1_3gpuE8ELNS1_3repE0EEENS1_30default_config_static_selectorELNS0_4arch9wavefront6targetE1EEEvT1_,comdat
	.protected	_ZN7rocprim17ROCPRIM_400000_NS6detail17trampoline_kernelINS0_14default_configENS1_25partition_config_selectorILNS1_17partition_subalgoE2ExNS0_10empty_typeEbEEZZNS1_14partition_implILS5_2ELb0ES3_jN6thrust23THRUST_200600_302600_NS6detail15normal_iteratorINSA_7pointerIxNSA_11hip_rocprim3tagENSA_11use_defaultESG_EEEEPS6_NSA_18transform_iteratorINSA_8identityIxEENSC_INSA_10device_ptrIxEEEESG_SG_EENS0_5tupleIJPxSJ_EEENSR_IJSJ_SJ_EEES6_PlJS6_EEE10hipError_tPvRmT3_T4_T5_T6_T7_T9_mT8_P12ihipStream_tbDpT10_ENKUlT_T0_E_clISt17integral_constantIbLb0EES1E_IbLb1EEEEDaS1A_S1B_EUlS1A_E_NS1_11comp_targetILNS1_3genE4ELNS1_11target_archE910ELNS1_3gpuE8ELNS1_3repE0EEENS1_30default_config_static_selectorELNS0_4arch9wavefront6targetE1EEEvT1_ ; -- Begin function _ZN7rocprim17ROCPRIM_400000_NS6detail17trampoline_kernelINS0_14default_configENS1_25partition_config_selectorILNS1_17partition_subalgoE2ExNS0_10empty_typeEbEEZZNS1_14partition_implILS5_2ELb0ES3_jN6thrust23THRUST_200600_302600_NS6detail15normal_iteratorINSA_7pointerIxNSA_11hip_rocprim3tagENSA_11use_defaultESG_EEEEPS6_NSA_18transform_iteratorINSA_8identityIxEENSC_INSA_10device_ptrIxEEEESG_SG_EENS0_5tupleIJPxSJ_EEENSR_IJSJ_SJ_EEES6_PlJS6_EEE10hipError_tPvRmT3_T4_T5_T6_T7_T9_mT8_P12ihipStream_tbDpT10_ENKUlT_T0_E_clISt17integral_constantIbLb0EES1E_IbLb1EEEEDaS1A_S1B_EUlS1A_E_NS1_11comp_targetILNS1_3genE4ELNS1_11target_archE910ELNS1_3gpuE8ELNS1_3repE0EEENS1_30default_config_static_selectorELNS0_4arch9wavefront6targetE1EEEvT1_
	.globl	_ZN7rocprim17ROCPRIM_400000_NS6detail17trampoline_kernelINS0_14default_configENS1_25partition_config_selectorILNS1_17partition_subalgoE2ExNS0_10empty_typeEbEEZZNS1_14partition_implILS5_2ELb0ES3_jN6thrust23THRUST_200600_302600_NS6detail15normal_iteratorINSA_7pointerIxNSA_11hip_rocprim3tagENSA_11use_defaultESG_EEEEPS6_NSA_18transform_iteratorINSA_8identityIxEENSC_INSA_10device_ptrIxEEEESG_SG_EENS0_5tupleIJPxSJ_EEENSR_IJSJ_SJ_EEES6_PlJS6_EEE10hipError_tPvRmT3_T4_T5_T6_T7_T9_mT8_P12ihipStream_tbDpT10_ENKUlT_T0_E_clISt17integral_constantIbLb0EES1E_IbLb1EEEEDaS1A_S1B_EUlS1A_E_NS1_11comp_targetILNS1_3genE4ELNS1_11target_archE910ELNS1_3gpuE8ELNS1_3repE0EEENS1_30default_config_static_selectorELNS0_4arch9wavefront6targetE1EEEvT1_
	.p2align	8
	.type	_ZN7rocprim17ROCPRIM_400000_NS6detail17trampoline_kernelINS0_14default_configENS1_25partition_config_selectorILNS1_17partition_subalgoE2ExNS0_10empty_typeEbEEZZNS1_14partition_implILS5_2ELb0ES3_jN6thrust23THRUST_200600_302600_NS6detail15normal_iteratorINSA_7pointerIxNSA_11hip_rocprim3tagENSA_11use_defaultESG_EEEEPS6_NSA_18transform_iteratorINSA_8identityIxEENSC_INSA_10device_ptrIxEEEESG_SG_EENS0_5tupleIJPxSJ_EEENSR_IJSJ_SJ_EEES6_PlJS6_EEE10hipError_tPvRmT3_T4_T5_T6_T7_T9_mT8_P12ihipStream_tbDpT10_ENKUlT_T0_E_clISt17integral_constantIbLb0EES1E_IbLb1EEEEDaS1A_S1B_EUlS1A_E_NS1_11comp_targetILNS1_3genE4ELNS1_11target_archE910ELNS1_3gpuE8ELNS1_3repE0EEENS1_30default_config_static_selectorELNS0_4arch9wavefront6targetE1EEEvT1_,@function
_ZN7rocprim17ROCPRIM_400000_NS6detail17trampoline_kernelINS0_14default_configENS1_25partition_config_selectorILNS1_17partition_subalgoE2ExNS0_10empty_typeEbEEZZNS1_14partition_implILS5_2ELb0ES3_jN6thrust23THRUST_200600_302600_NS6detail15normal_iteratorINSA_7pointerIxNSA_11hip_rocprim3tagENSA_11use_defaultESG_EEEEPS6_NSA_18transform_iteratorINSA_8identityIxEENSC_INSA_10device_ptrIxEEEESG_SG_EENS0_5tupleIJPxSJ_EEENSR_IJSJ_SJ_EEES6_PlJS6_EEE10hipError_tPvRmT3_T4_T5_T6_T7_T9_mT8_P12ihipStream_tbDpT10_ENKUlT_T0_E_clISt17integral_constantIbLb0EES1E_IbLb1EEEEDaS1A_S1B_EUlS1A_E_NS1_11comp_targetILNS1_3genE4ELNS1_11target_archE910ELNS1_3gpuE8ELNS1_3repE0EEENS1_30default_config_static_selectorELNS0_4arch9wavefront6targetE1EEEvT1_: ; @_ZN7rocprim17ROCPRIM_400000_NS6detail17trampoline_kernelINS0_14default_configENS1_25partition_config_selectorILNS1_17partition_subalgoE2ExNS0_10empty_typeEbEEZZNS1_14partition_implILS5_2ELb0ES3_jN6thrust23THRUST_200600_302600_NS6detail15normal_iteratorINSA_7pointerIxNSA_11hip_rocprim3tagENSA_11use_defaultESG_EEEEPS6_NSA_18transform_iteratorINSA_8identityIxEENSC_INSA_10device_ptrIxEEEESG_SG_EENS0_5tupleIJPxSJ_EEENSR_IJSJ_SJ_EEES6_PlJS6_EEE10hipError_tPvRmT3_T4_T5_T6_T7_T9_mT8_P12ihipStream_tbDpT10_ENKUlT_T0_E_clISt17integral_constantIbLb0EES1E_IbLb1EEEEDaS1A_S1B_EUlS1A_E_NS1_11comp_targetILNS1_3genE4ELNS1_11target_archE910ELNS1_3gpuE8ELNS1_3repE0EEENS1_30default_config_static_selectorELNS0_4arch9wavefront6targetE1EEEvT1_
; %bb.0:
	.section	.rodata,"a",@progbits
	.p2align	6, 0x0
	.amdhsa_kernel _ZN7rocprim17ROCPRIM_400000_NS6detail17trampoline_kernelINS0_14default_configENS1_25partition_config_selectorILNS1_17partition_subalgoE2ExNS0_10empty_typeEbEEZZNS1_14partition_implILS5_2ELb0ES3_jN6thrust23THRUST_200600_302600_NS6detail15normal_iteratorINSA_7pointerIxNSA_11hip_rocprim3tagENSA_11use_defaultESG_EEEEPS6_NSA_18transform_iteratorINSA_8identityIxEENSC_INSA_10device_ptrIxEEEESG_SG_EENS0_5tupleIJPxSJ_EEENSR_IJSJ_SJ_EEES6_PlJS6_EEE10hipError_tPvRmT3_T4_T5_T6_T7_T9_mT8_P12ihipStream_tbDpT10_ENKUlT_T0_E_clISt17integral_constantIbLb0EES1E_IbLb1EEEEDaS1A_S1B_EUlS1A_E_NS1_11comp_targetILNS1_3genE4ELNS1_11target_archE910ELNS1_3gpuE8ELNS1_3repE0EEENS1_30default_config_static_selectorELNS0_4arch9wavefront6targetE1EEEvT1_
		.amdhsa_group_segment_fixed_size 0
		.amdhsa_private_segment_fixed_size 0
		.amdhsa_kernarg_size 144
		.amdhsa_user_sgpr_count 2
		.amdhsa_user_sgpr_dispatch_ptr 0
		.amdhsa_user_sgpr_queue_ptr 0
		.amdhsa_user_sgpr_kernarg_segment_ptr 1
		.amdhsa_user_sgpr_dispatch_id 0
		.amdhsa_user_sgpr_kernarg_preload_length 0
		.amdhsa_user_sgpr_kernarg_preload_offset 0
		.amdhsa_user_sgpr_private_segment_size 0
		.amdhsa_uses_dynamic_stack 0
		.amdhsa_enable_private_segment 0
		.amdhsa_system_sgpr_workgroup_id_x 1
		.amdhsa_system_sgpr_workgroup_id_y 0
		.amdhsa_system_sgpr_workgroup_id_z 0
		.amdhsa_system_sgpr_workgroup_info 0
		.amdhsa_system_vgpr_workitem_id 0
		.amdhsa_next_free_vgpr 1
		.amdhsa_next_free_sgpr 0
		.amdhsa_accum_offset 4
		.amdhsa_reserve_vcc 0
		.amdhsa_float_round_mode_32 0
		.amdhsa_float_round_mode_16_64 0
		.amdhsa_float_denorm_mode_32 3
		.amdhsa_float_denorm_mode_16_64 3
		.amdhsa_dx10_clamp 1
		.amdhsa_ieee_mode 1
		.amdhsa_fp16_overflow 0
		.amdhsa_tg_split 0
		.amdhsa_exception_fp_ieee_invalid_op 0
		.amdhsa_exception_fp_denorm_src 0
		.amdhsa_exception_fp_ieee_div_zero 0
		.amdhsa_exception_fp_ieee_overflow 0
		.amdhsa_exception_fp_ieee_underflow 0
		.amdhsa_exception_fp_ieee_inexact 0
		.amdhsa_exception_int_div_zero 0
	.end_amdhsa_kernel
	.section	.text._ZN7rocprim17ROCPRIM_400000_NS6detail17trampoline_kernelINS0_14default_configENS1_25partition_config_selectorILNS1_17partition_subalgoE2ExNS0_10empty_typeEbEEZZNS1_14partition_implILS5_2ELb0ES3_jN6thrust23THRUST_200600_302600_NS6detail15normal_iteratorINSA_7pointerIxNSA_11hip_rocprim3tagENSA_11use_defaultESG_EEEEPS6_NSA_18transform_iteratorINSA_8identityIxEENSC_INSA_10device_ptrIxEEEESG_SG_EENS0_5tupleIJPxSJ_EEENSR_IJSJ_SJ_EEES6_PlJS6_EEE10hipError_tPvRmT3_T4_T5_T6_T7_T9_mT8_P12ihipStream_tbDpT10_ENKUlT_T0_E_clISt17integral_constantIbLb0EES1E_IbLb1EEEEDaS1A_S1B_EUlS1A_E_NS1_11comp_targetILNS1_3genE4ELNS1_11target_archE910ELNS1_3gpuE8ELNS1_3repE0EEENS1_30default_config_static_selectorELNS0_4arch9wavefront6targetE1EEEvT1_,"axG",@progbits,_ZN7rocprim17ROCPRIM_400000_NS6detail17trampoline_kernelINS0_14default_configENS1_25partition_config_selectorILNS1_17partition_subalgoE2ExNS0_10empty_typeEbEEZZNS1_14partition_implILS5_2ELb0ES3_jN6thrust23THRUST_200600_302600_NS6detail15normal_iteratorINSA_7pointerIxNSA_11hip_rocprim3tagENSA_11use_defaultESG_EEEEPS6_NSA_18transform_iteratorINSA_8identityIxEENSC_INSA_10device_ptrIxEEEESG_SG_EENS0_5tupleIJPxSJ_EEENSR_IJSJ_SJ_EEES6_PlJS6_EEE10hipError_tPvRmT3_T4_T5_T6_T7_T9_mT8_P12ihipStream_tbDpT10_ENKUlT_T0_E_clISt17integral_constantIbLb0EES1E_IbLb1EEEEDaS1A_S1B_EUlS1A_E_NS1_11comp_targetILNS1_3genE4ELNS1_11target_archE910ELNS1_3gpuE8ELNS1_3repE0EEENS1_30default_config_static_selectorELNS0_4arch9wavefront6targetE1EEEvT1_,comdat
.Lfunc_end507:
	.size	_ZN7rocprim17ROCPRIM_400000_NS6detail17trampoline_kernelINS0_14default_configENS1_25partition_config_selectorILNS1_17partition_subalgoE2ExNS0_10empty_typeEbEEZZNS1_14partition_implILS5_2ELb0ES3_jN6thrust23THRUST_200600_302600_NS6detail15normal_iteratorINSA_7pointerIxNSA_11hip_rocprim3tagENSA_11use_defaultESG_EEEEPS6_NSA_18transform_iteratorINSA_8identityIxEENSC_INSA_10device_ptrIxEEEESG_SG_EENS0_5tupleIJPxSJ_EEENSR_IJSJ_SJ_EEES6_PlJS6_EEE10hipError_tPvRmT3_T4_T5_T6_T7_T9_mT8_P12ihipStream_tbDpT10_ENKUlT_T0_E_clISt17integral_constantIbLb0EES1E_IbLb1EEEEDaS1A_S1B_EUlS1A_E_NS1_11comp_targetILNS1_3genE4ELNS1_11target_archE910ELNS1_3gpuE8ELNS1_3repE0EEENS1_30default_config_static_selectorELNS0_4arch9wavefront6targetE1EEEvT1_, .Lfunc_end507-_ZN7rocprim17ROCPRIM_400000_NS6detail17trampoline_kernelINS0_14default_configENS1_25partition_config_selectorILNS1_17partition_subalgoE2ExNS0_10empty_typeEbEEZZNS1_14partition_implILS5_2ELb0ES3_jN6thrust23THRUST_200600_302600_NS6detail15normal_iteratorINSA_7pointerIxNSA_11hip_rocprim3tagENSA_11use_defaultESG_EEEEPS6_NSA_18transform_iteratorINSA_8identityIxEENSC_INSA_10device_ptrIxEEEESG_SG_EENS0_5tupleIJPxSJ_EEENSR_IJSJ_SJ_EEES6_PlJS6_EEE10hipError_tPvRmT3_T4_T5_T6_T7_T9_mT8_P12ihipStream_tbDpT10_ENKUlT_T0_E_clISt17integral_constantIbLb0EES1E_IbLb1EEEEDaS1A_S1B_EUlS1A_E_NS1_11comp_targetILNS1_3genE4ELNS1_11target_archE910ELNS1_3gpuE8ELNS1_3repE0EEENS1_30default_config_static_selectorELNS0_4arch9wavefront6targetE1EEEvT1_
                                        ; -- End function
	.section	.AMDGPU.csdata,"",@progbits
; Kernel info:
; codeLenInByte = 0
; NumSgprs: 6
; NumVgprs: 0
; NumAgprs: 0
; TotalNumVgprs: 0
; ScratchSize: 0
; MemoryBound: 0
; FloatMode: 240
; IeeeMode: 1
; LDSByteSize: 0 bytes/workgroup (compile time only)
; SGPRBlocks: 0
; VGPRBlocks: 0
; NumSGPRsForWavesPerEU: 6
; NumVGPRsForWavesPerEU: 1
; AccumOffset: 4
; Occupancy: 8
; WaveLimiterHint : 0
; COMPUTE_PGM_RSRC2:SCRATCH_EN: 0
; COMPUTE_PGM_RSRC2:USER_SGPR: 2
; COMPUTE_PGM_RSRC2:TRAP_HANDLER: 0
; COMPUTE_PGM_RSRC2:TGID_X_EN: 1
; COMPUTE_PGM_RSRC2:TGID_Y_EN: 0
; COMPUTE_PGM_RSRC2:TGID_Z_EN: 0
; COMPUTE_PGM_RSRC2:TIDIG_COMP_CNT: 0
; COMPUTE_PGM_RSRC3_GFX90A:ACCUM_OFFSET: 0
; COMPUTE_PGM_RSRC3_GFX90A:TG_SPLIT: 0
	.section	.text._ZN7rocprim17ROCPRIM_400000_NS6detail17trampoline_kernelINS0_14default_configENS1_25partition_config_selectorILNS1_17partition_subalgoE2ExNS0_10empty_typeEbEEZZNS1_14partition_implILS5_2ELb0ES3_jN6thrust23THRUST_200600_302600_NS6detail15normal_iteratorINSA_7pointerIxNSA_11hip_rocprim3tagENSA_11use_defaultESG_EEEEPS6_NSA_18transform_iteratorINSA_8identityIxEENSC_INSA_10device_ptrIxEEEESG_SG_EENS0_5tupleIJPxSJ_EEENSR_IJSJ_SJ_EEES6_PlJS6_EEE10hipError_tPvRmT3_T4_T5_T6_T7_T9_mT8_P12ihipStream_tbDpT10_ENKUlT_T0_E_clISt17integral_constantIbLb0EES1E_IbLb1EEEEDaS1A_S1B_EUlS1A_E_NS1_11comp_targetILNS1_3genE3ELNS1_11target_archE908ELNS1_3gpuE7ELNS1_3repE0EEENS1_30default_config_static_selectorELNS0_4arch9wavefront6targetE1EEEvT1_,"axG",@progbits,_ZN7rocprim17ROCPRIM_400000_NS6detail17trampoline_kernelINS0_14default_configENS1_25partition_config_selectorILNS1_17partition_subalgoE2ExNS0_10empty_typeEbEEZZNS1_14partition_implILS5_2ELb0ES3_jN6thrust23THRUST_200600_302600_NS6detail15normal_iteratorINSA_7pointerIxNSA_11hip_rocprim3tagENSA_11use_defaultESG_EEEEPS6_NSA_18transform_iteratorINSA_8identityIxEENSC_INSA_10device_ptrIxEEEESG_SG_EENS0_5tupleIJPxSJ_EEENSR_IJSJ_SJ_EEES6_PlJS6_EEE10hipError_tPvRmT3_T4_T5_T6_T7_T9_mT8_P12ihipStream_tbDpT10_ENKUlT_T0_E_clISt17integral_constantIbLb0EES1E_IbLb1EEEEDaS1A_S1B_EUlS1A_E_NS1_11comp_targetILNS1_3genE3ELNS1_11target_archE908ELNS1_3gpuE7ELNS1_3repE0EEENS1_30default_config_static_selectorELNS0_4arch9wavefront6targetE1EEEvT1_,comdat
	.protected	_ZN7rocprim17ROCPRIM_400000_NS6detail17trampoline_kernelINS0_14default_configENS1_25partition_config_selectorILNS1_17partition_subalgoE2ExNS0_10empty_typeEbEEZZNS1_14partition_implILS5_2ELb0ES3_jN6thrust23THRUST_200600_302600_NS6detail15normal_iteratorINSA_7pointerIxNSA_11hip_rocprim3tagENSA_11use_defaultESG_EEEEPS6_NSA_18transform_iteratorINSA_8identityIxEENSC_INSA_10device_ptrIxEEEESG_SG_EENS0_5tupleIJPxSJ_EEENSR_IJSJ_SJ_EEES6_PlJS6_EEE10hipError_tPvRmT3_T4_T5_T6_T7_T9_mT8_P12ihipStream_tbDpT10_ENKUlT_T0_E_clISt17integral_constantIbLb0EES1E_IbLb1EEEEDaS1A_S1B_EUlS1A_E_NS1_11comp_targetILNS1_3genE3ELNS1_11target_archE908ELNS1_3gpuE7ELNS1_3repE0EEENS1_30default_config_static_selectorELNS0_4arch9wavefront6targetE1EEEvT1_ ; -- Begin function _ZN7rocprim17ROCPRIM_400000_NS6detail17trampoline_kernelINS0_14default_configENS1_25partition_config_selectorILNS1_17partition_subalgoE2ExNS0_10empty_typeEbEEZZNS1_14partition_implILS5_2ELb0ES3_jN6thrust23THRUST_200600_302600_NS6detail15normal_iteratorINSA_7pointerIxNSA_11hip_rocprim3tagENSA_11use_defaultESG_EEEEPS6_NSA_18transform_iteratorINSA_8identityIxEENSC_INSA_10device_ptrIxEEEESG_SG_EENS0_5tupleIJPxSJ_EEENSR_IJSJ_SJ_EEES6_PlJS6_EEE10hipError_tPvRmT3_T4_T5_T6_T7_T9_mT8_P12ihipStream_tbDpT10_ENKUlT_T0_E_clISt17integral_constantIbLb0EES1E_IbLb1EEEEDaS1A_S1B_EUlS1A_E_NS1_11comp_targetILNS1_3genE3ELNS1_11target_archE908ELNS1_3gpuE7ELNS1_3repE0EEENS1_30default_config_static_selectorELNS0_4arch9wavefront6targetE1EEEvT1_
	.globl	_ZN7rocprim17ROCPRIM_400000_NS6detail17trampoline_kernelINS0_14default_configENS1_25partition_config_selectorILNS1_17partition_subalgoE2ExNS0_10empty_typeEbEEZZNS1_14partition_implILS5_2ELb0ES3_jN6thrust23THRUST_200600_302600_NS6detail15normal_iteratorINSA_7pointerIxNSA_11hip_rocprim3tagENSA_11use_defaultESG_EEEEPS6_NSA_18transform_iteratorINSA_8identityIxEENSC_INSA_10device_ptrIxEEEESG_SG_EENS0_5tupleIJPxSJ_EEENSR_IJSJ_SJ_EEES6_PlJS6_EEE10hipError_tPvRmT3_T4_T5_T6_T7_T9_mT8_P12ihipStream_tbDpT10_ENKUlT_T0_E_clISt17integral_constantIbLb0EES1E_IbLb1EEEEDaS1A_S1B_EUlS1A_E_NS1_11comp_targetILNS1_3genE3ELNS1_11target_archE908ELNS1_3gpuE7ELNS1_3repE0EEENS1_30default_config_static_selectorELNS0_4arch9wavefront6targetE1EEEvT1_
	.p2align	8
	.type	_ZN7rocprim17ROCPRIM_400000_NS6detail17trampoline_kernelINS0_14default_configENS1_25partition_config_selectorILNS1_17partition_subalgoE2ExNS0_10empty_typeEbEEZZNS1_14partition_implILS5_2ELb0ES3_jN6thrust23THRUST_200600_302600_NS6detail15normal_iteratorINSA_7pointerIxNSA_11hip_rocprim3tagENSA_11use_defaultESG_EEEEPS6_NSA_18transform_iteratorINSA_8identityIxEENSC_INSA_10device_ptrIxEEEESG_SG_EENS0_5tupleIJPxSJ_EEENSR_IJSJ_SJ_EEES6_PlJS6_EEE10hipError_tPvRmT3_T4_T5_T6_T7_T9_mT8_P12ihipStream_tbDpT10_ENKUlT_T0_E_clISt17integral_constantIbLb0EES1E_IbLb1EEEEDaS1A_S1B_EUlS1A_E_NS1_11comp_targetILNS1_3genE3ELNS1_11target_archE908ELNS1_3gpuE7ELNS1_3repE0EEENS1_30default_config_static_selectorELNS0_4arch9wavefront6targetE1EEEvT1_,@function
_ZN7rocprim17ROCPRIM_400000_NS6detail17trampoline_kernelINS0_14default_configENS1_25partition_config_selectorILNS1_17partition_subalgoE2ExNS0_10empty_typeEbEEZZNS1_14partition_implILS5_2ELb0ES3_jN6thrust23THRUST_200600_302600_NS6detail15normal_iteratorINSA_7pointerIxNSA_11hip_rocprim3tagENSA_11use_defaultESG_EEEEPS6_NSA_18transform_iteratorINSA_8identityIxEENSC_INSA_10device_ptrIxEEEESG_SG_EENS0_5tupleIJPxSJ_EEENSR_IJSJ_SJ_EEES6_PlJS6_EEE10hipError_tPvRmT3_T4_T5_T6_T7_T9_mT8_P12ihipStream_tbDpT10_ENKUlT_T0_E_clISt17integral_constantIbLb0EES1E_IbLb1EEEEDaS1A_S1B_EUlS1A_E_NS1_11comp_targetILNS1_3genE3ELNS1_11target_archE908ELNS1_3gpuE7ELNS1_3repE0EEENS1_30default_config_static_selectorELNS0_4arch9wavefront6targetE1EEEvT1_: ; @_ZN7rocprim17ROCPRIM_400000_NS6detail17trampoline_kernelINS0_14default_configENS1_25partition_config_selectorILNS1_17partition_subalgoE2ExNS0_10empty_typeEbEEZZNS1_14partition_implILS5_2ELb0ES3_jN6thrust23THRUST_200600_302600_NS6detail15normal_iteratorINSA_7pointerIxNSA_11hip_rocprim3tagENSA_11use_defaultESG_EEEEPS6_NSA_18transform_iteratorINSA_8identityIxEENSC_INSA_10device_ptrIxEEEESG_SG_EENS0_5tupleIJPxSJ_EEENSR_IJSJ_SJ_EEES6_PlJS6_EEE10hipError_tPvRmT3_T4_T5_T6_T7_T9_mT8_P12ihipStream_tbDpT10_ENKUlT_T0_E_clISt17integral_constantIbLb0EES1E_IbLb1EEEEDaS1A_S1B_EUlS1A_E_NS1_11comp_targetILNS1_3genE3ELNS1_11target_archE908ELNS1_3gpuE7ELNS1_3repE0EEENS1_30default_config_static_selectorELNS0_4arch9wavefront6targetE1EEEvT1_
; %bb.0:
	.section	.rodata,"a",@progbits
	.p2align	6, 0x0
	.amdhsa_kernel _ZN7rocprim17ROCPRIM_400000_NS6detail17trampoline_kernelINS0_14default_configENS1_25partition_config_selectorILNS1_17partition_subalgoE2ExNS0_10empty_typeEbEEZZNS1_14partition_implILS5_2ELb0ES3_jN6thrust23THRUST_200600_302600_NS6detail15normal_iteratorINSA_7pointerIxNSA_11hip_rocprim3tagENSA_11use_defaultESG_EEEEPS6_NSA_18transform_iteratorINSA_8identityIxEENSC_INSA_10device_ptrIxEEEESG_SG_EENS0_5tupleIJPxSJ_EEENSR_IJSJ_SJ_EEES6_PlJS6_EEE10hipError_tPvRmT3_T4_T5_T6_T7_T9_mT8_P12ihipStream_tbDpT10_ENKUlT_T0_E_clISt17integral_constantIbLb0EES1E_IbLb1EEEEDaS1A_S1B_EUlS1A_E_NS1_11comp_targetILNS1_3genE3ELNS1_11target_archE908ELNS1_3gpuE7ELNS1_3repE0EEENS1_30default_config_static_selectorELNS0_4arch9wavefront6targetE1EEEvT1_
		.amdhsa_group_segment_fixed_size 0
		.amdhsa_private_segment_fixed_size 0
		.amdhsa_kernarg_size 144
		.amdhsa_user_sgpr_count 2
		.amdhsa_user_sgpr_dispatch_ptr 0
		.amdhsa_user_sgpr_queue_ptr 0
		.amdhsa_user_sgpr_kernarg_segment_ptr 1
		.amdhsa_user_sgpr_dispatch_id 0
		.amdhsa_user_sgpr_kernarg_preload_length 0
		.amdhsa_user_sgpr_kernarg_preload_offset 0
		.amdhsa_user_sgpr_private_segment_size 0
		.amdhsa_uses_dynamic_stack 0
		.amdhsa_enable_private_segment 0
		.amdhsa_system_sgpr_workgroup_id_x 1
		.amdhsa_system_sgpr_workgroup_id_y 0
		.amdhsa_system_sgpr_workgroup_id_z 0
		.amdhsa_system_sgpr_workgroup_info 0
		.amdhsa_system_vgpr_workitem_id 0
		.amdhsa_next_free_vgpr 1
		.amdhsa_next_free_sgpr 0
		.amdhsa_accum_offset 4
		.amdhsa_reserve_vcc 0
		.amdhsa_float_round_mode_32 0
		.amdhsa_float_round_mode_16_64 0
		.amdhsa_float_denorm_mode_32 3
		.amdhsa_float_denorm_mode_16_64 3
		.amdhsa_dx10_clamp 1
		.amdhsa_ieee_mode 1
		.amdhsa_fp16_overflow 0
		.amdhsa_tg_split 0
		.amdhsa_exception_fp_ieee_invalid_op 0
		.amdhsa_exception_fp_denorm_src 0
		.amdhsa_exception_fp_ieee_div_zero 0
		.amdhsa_exception_fp_ieee_overflow 0
		.amdhsa_exception_fp_ieee_underflow 0
		.amdhsa_exception_fp_ieee_inexact 0
		.amdhsa_exception_int_div_zero 0
	.end_amdhsa_kernel
	.section	.text._ZN7rocprim17ROCPRIM_400000_NS6detail17trampoline_kernelINS0_14default_configENS1_25partition_config_selectorILNS1_17partition_subalgoE2ExNS0_10empty_typeEbEEZZNS1_14partition_implILS5_2ELb0ES3_jN6thrust23THRUST_200600_302600_NS6detail15normal_iteratorINSA_7pointerIxNSA_11hip_rocprim3tagENSA_11use_defaultESG_EEEEPS6_NSA_18transform_iteratorINSA_8identityIxEENSC_INSA_10device_ptrIxEEEESG_SG_EENS0_5tupleIJPxSJ_EEENSR_IJSJ_SJ_EEES6_PlJS6_EEE10hipError_tPvRmT3_T4_T5_T6_T7_T9_mT8_P12ihipStream_tbDpT10_ENKUlT_T0_E_clISt17integral_constantIbLb0EES1E_IbLb1EEEEDaS1A_S1B_EUlS1A_E_NS1_11comp_targetILNS1_3genE3ELNS1_11target_archE908ELNS1_3gpuE7ELNS1_3repE0EEENS1_30default_config_static_selectorELNS0_4arch9wavefront6targetE1EEEvT1_,"axG",@progbits,_ZN7rocprim17ROCPRIM_400000_NS6detail17trampoline_kernelINS0_14default_configENS1_25partition_config_selectorILNS1_17partition_subalgoE2ExNS0_10empty_typeEbEEZZNS1_14partition_implILS5_2ELb0ES3_jN6thrust23THRUST_200600_302600_NS6detail15normal_iteratorINSA_7pointerIxNSA_11hip_rocprim3tagENSA_11use_defaultESG_EEEEPS6_NSA_18transform_iteratorINSA_8identityIxEENSC_INSA_10device_ptrIxEEEESG_SG_EENS0_5tupleIJPxSJ_EEENSR_IJSJ_SJ_EEES6_PlJS6_EEE10hipError_tPvRmT3_T4_T5_T6_T7_T9_mT8_P12ihipStream_tbDpT10_ENKUlT_T0_E_clISt17integral_constantIbLb0EES1E_IbLb1EEEEDaS1A_S1B_EUlS1A_E_NS1_11comp_targetILNS1_3genE3ELNS1_11target_archE908ELNS1_3gpuE7ELNS1_3repE0EEENS1_30default_config_static_selectorELNS0_4arch9wavefront6targetE1EEEvT1_,comdat
.Lfunc_end508:
	.size	_ZN7rocprim17ROCPRIM_400000_NS6detail17trampoline_kernelINS0_14default_configENS1_25partition_config_selectorILNS1_17partition_subalgoE2ExNS0_10empty_typeEbEEZZNS1_14partition_implILS5_2ELb0ES3_jN6thrust23THRUST_200600_302600_NS6detail15normal_iteratorINSA_7pointerIxNSA_11hip_rocprim3tagENSA_11use_defaultESG_EEEEPS6_NSA_18transform_iteratorINSA_8identityIxEENSC_INSA_10device_ptrIxEEEESG_SG_EENS0_5tupleIJPxSJ_EEENSR_IJSJ_SJ_EEES6_PlJS6_EEE10hipError_tPvRmT3_T4_T5_T6_T7_T9_mT8_P12ihipStream_tbDpT10_ENKUlT_T0_E_clISt17integral_constantIbLb0EES1E_IbLb1EEEEDaS1A_S1B_EUlS1A_E_NS1_11comp_targetILNS1_3genE3ELNS1_11target_archE908ELNS1_3gpuE7ELNS1_3repE0EEENS1_30default_config_static_selectorELNS0_4arch9wavefront6targetE1EEEvT1_, .Lfunc_end508-_ZN7rocprim17ROCPRIM_400000_NS6detail17trampoline_kernelINS0_14default_configENS1_25partition_config_selectorILNS1_17partition_subalgoE2ExNS0_10empty_typeEbEEZZNS1_14partition_implILS5_2ELb0ES3_jN6thrust23THRUST_200600_302600_NS6detail15normal_iteratorINSA_7pointerIxNSA_11hip_rocprim3tagENSA_11use_defaultESG_EEEEPS6_NSA_18transform_iteratorINSA_8identityIxEENSC_INSA_10device_ptrIxEEEESG_SG_EENS0_5tupleIJPxSJ_EEENSR_IJSJ_SJ_EEES6_PlJS6_EEE10hipError_tPvRmT3_T4_T5_T6_T7_T9_mT8_P12ihipStream_tbDpT10_ENKUlT_T0_E_clISt17integral_constantIbLb0EES1E_IbLb1EEEEDaS1A_S1B_EUlS1A_E_NS1_11comp_targetILNS1_3genE3ELNS1_11target_archE908ELNS1_3gpuE7ELNS1_3repE0EEENS1_30default_config_static_selectorELNS0_4arch9wavefront6targetE1EEEvT1_
                                        ; -- End function
	.section	.AMDGPU.csdata,"",@progbits
; Kernel info:
; codeLenInByte = 0
; NumSgprs: 6
; NumVgprs: 0
; NumAgprs: 0
; TotalNumVgprs: 0
; ScratchSize: 0
; MemoryBound: 0
; FloatMode: 240
; IeeeMode: 1
; LDSByteSize: 0 bytes/workgroup (compile time only)
; SGPRBlocks: 0
; VGPRBlocks: 0
; NumSGPRsForWavesPerEU: 6
; NumVGPRsForWavesPerEU: 1
; AccumOffset: 4
; Occupancy: 8
; WaveLimiterHint : 0
; COMPUTE_PGM_RSRC2:SCRATCH_EN: 0
; COMPUTE_PGM_RSRC2:USER_SGPR: 2
; COMPUTE_PGM_RSRC2:TRAP_HANDLER: 0
; COMPUTE_PGM_RSRC2:TGID_X_EN: 1
; COMPUTE_PGM_RSRC2:TGID_Y_EN: 0
; COMPUTE_PGM_RSRC2:TGID_Z_EN: 0
; COMPUTE_PGM_RSRC2:TIDIG_COMP_CNT: 0
; COMPUTE_PGM_RSRC3_GFX90A:ACCUM_OFFSET: 0
; COMPUTE_PGM_RSRC3_GFX90A:TG_SPLIT: 0
	.section	.text._ZN7rocprim17ROCPRIM_400000_NS6detail17trampoline_kernelINS0_14default_configENS1_25partition_config_selectorILNS1_17partition_subalgoE2ExNS0_10empty_typeEbEEZZNS1_14partition_implILS5_2ELb0ES3_jN6thrust23THRUST_200600_302600_NS6detail15normal_iteratorINSA_7pointerIxNSA_11hip_rocprim3tagENSA_11use_defaultESG_EEEEPS6_NSA_18transform_iteratorINSA_8identityIxEENSC_INSA_10device_ptrIxEEEESG_SG_EENS0_5tupleIJPxSJ_EEENSR_IJSJ_SJ_EEES6_PlJS6_EEE10hipError_tPvRmT3_T4_T5_T6_T7_T9_mT8_P12ihipStream_tbDpT10_ENKUlT_T0_E_clISt17integral_constantIbLb0EES1E_IbLb1EEEEDaS1A_S1B_EUlS1A_E_NS1_11comp_targetILNS1_3genE2ELNS1_11target_archE906ELNS1_3gpuE6ELNS1_3repE0EEENS1_30default_config_static_selectorELNS0_4arch9wavefront6targetE1EEEvT1_,"axG",@progbits,_ZN7rocprim17ROCPRIM_400000_NS6detail17trampoline_kernelINS0_14default_configENS1_25partition_config_selectorILNS1_17partition_subalgoE2ExNS0_10empty_typeEbEEZZNS1_14partition_implILS5_2ELb0ES3_jN6thrust23THRUST_200600_302600_NS6detail15normal_iteratorINSA_7pointerIxNSA_11hip_rocprim3tagENSA_11use_defaultESG_EEEEPS6_NSA_18transform_iteratorINSA_8identityIxEENSC_INSA_10device_ptrIxEEEESG_SG_EENS0_5tupleIJPxSJ_EEENSR_IJSJ_SJ_EEES6_PlJS6_EEE10hipError_tPvRmT3_T4_T5_T6_T7_T9_mT8_P12ihipStream_tbDpT10_ENKUlT_T0_E_clISt17integral_constantIbLb0EES1E_IbLb1EEEEDaS1A_S1B_EUlS1A_E_NS1_11comp_targetILNS1_3genE2ELNS1_11target_archE906ELNS1_3gpuE6ELNS1_3repE0EEENS1_30default_config_static_selectorELNS0_4arch9wavefront6targetE1EEEvT1_,comdat
	.protected	_ZN7rocprim17ROCPRIM_400000_NS6detail17trampoline_kernelINS0_14default_configENS1_25partition_config_selectorILNS1_17partition_subalgoE2ExNS0_10empty_typeEbEEZZNS1_14partition_implILS5_2ELb0ES3_jN6thrust23THRUST_200600_302600_NS6detail15normal_iteratorINSA_7pointerIxNSA_11hip_rocprim3tagENSA_11use_defaultESG_EEEEPS6_NSA_18transform_iteratorINSA_8identityIxEENSC_INSA_10device_ptrIxEEEESG_SG_EENS0_5tupleIJPxSJ_EEENSR_IJSJ_SJ_EEES6_PlJS6_EEE10hipError_tPvRmT3_T4_T5_T6_T7_T9_mT8_P12ihipStream_tbDpT10_ENKUlT_T0_E_clISt17integral_constantIbLb0EES1E_IbLb1EEEEDaS1A_S1B_EUlS1A_E_NS1_11comp_targetILNS1_3genE2ELNS1_11target_archE906ELNS1_3gpuE6ELNS1_3repE0EEENS1_30default_config_static_selectorELNS0_4arch9wavefront6targetE1EEEvT1_ ; -- Begin function _ZN7rocprim17ROCPRIM_400000_NS6detail17trampoline_kernelINS0_14default_configENS1_25partition_config_selectorILNS1_17partition_subalgoE2ExNS0_10empty_typeEbEEZZNS1_14partition_implILS5_2ELb0ES3_jN6thrust23THRUST_200600_302600_NS6detail15normal_iteratorINSA_7pointerIxNSA_11hip_rocprim3tagENSA_11use_defaultESG_EEEEPS6_NSA_18transform_iteratorINSA_8identityIxEENSC_INSA_10device_ptrIxEEEESG_SG_EENS0_5tupleIJPxSJ_EEENSR_IJSJ_SJ_EEES6_PlJS6_EEE10hipError_tPvRmT3_T4_T5_T6_T7_T9_mT8_P12ihipStream_tbDpT10_ENKUlT_T0_E_clISt17integral_constantIbLb0EES1E_IbLb1EEEEDaS1A_S1B_EUlS1A_E_NS1_11comp_targetILNS1_3genE2ELNS1_11target_archE906ELNS1_3gpuE6ELNS1_3repE0EEENS1_30default_config_static_selectorELNS0_4arch9wavefront6targetE1EEEvT1_
	.globl	_ZN7rocprim17ROCPRIM_400000_NS6detail17trampoline_kernelINS0_14default_configENS1_25partition_config_selectorILNS1_17partition_subalgoE2ExNS0_10empty_typeEbEEZZNS1_14partition_implILS5_2ELb0ES3_jN6thrust23THRUST_200600_302600_NS6detail15normal_iteratorINSA_7pointerIxNSA_11hip_rocprim3tagENSA_11use_defaultESG_EEEEPS6_NSA_18transform_iteratorINSA_8identityIxEENSC_INSA_10device_ptrIxEEEESG_SG_EENS0_5tupleIJPxSJ_EEENSR_IJSJ_SJ_EEES6_PlJS6_EEE10hipError_tPvRmT3_T4_T5_T6_T7_T9_mT8_P12ihipStream_tbDpT10_ENKUlT_T0_E_clISt17integral_constantIbLb0EES1E_IbLb1EEEEDaS1A_S1B_EUlS1A_E_NS1_11comp_targetILNS1_3genE2ELNS1_11target_archE906ELNS1_3gpuE6ELNS1_3repE0EEENS1_30default_config_static_selectorELNS0_4arch9wavefront6targetE1EEEvT1_
	.p2align	8
	.type	_ZN7rocprim17ROCPRIM_400000_NS6detail17trampoline_kernelINS0_14default_configENS1_25partition_config_selectorILNS1_17partition_subalgoE2ExNS0_10empty_typeEbEEZZNS1_14partition_implILS5_2ELb0ES3_jN6thrust23THRUST_200600_302600_NS6detail15normal_iteratorINSA_7pointerIxNSA_11hip_rocprim3tagENSA_11use_defaultESG_EEEEPS6_NSA_18transform_iteratorINSA_8identityIxEENSC_INSA_10device_ptrIxEEEESG_SG_EENS0_5tupleIJPxSJ_EEENSR_IJSJ_SJ_EEES6_PlJS6_EEE10hipError_tPvRmT3_T4_T5_T6_T7_T9_mT8_P12ihipStream_tbDpT10_ENKUlT_T0_E_clISt17integral_constantIbLb0EES1E_IbLb1EEEEDaS1A_S1B_EUlS1A_E_NS1_11comp_targetILNS1_3genE2ELNS1_11target_archE906ELNS1_3gpuE6ELNS1_3repE0EEENS1_30default_config_static_selectorELNS0_4arch9wavefront6targetE1EEEvT1_,@function
_ZN7rocprim17ROCPRIM_400000_NS6detail17trampoline_kernelINS0_14default_configENS1_25partition_config_selectorILNS1_17partition_subalgoE2ExNS0_10empty_typeEbEEZZNS1_14partition_implILS5_2ELb0ES3_jN6thrust23THRUST_200600_302600_NS6detail15normal_iteratorINSA_7pointerIxNSA_11hip_rocprim3tagENSA_11use_defaultESG_EEEEPS6_NSA_18transform_iteratorINSA_8identityIxEENSC_INSA_10device_ptrIxEEEESG_SG_EENS0_5tupleIJPxSJ_EEENSR_IJSJ_SJ_EEES6_PlJS6_EEE10hipError_tPvRmT3_T4_T5_T6_T7_T9_mT8_P12ihipStream_tbDpT10_ENKUlT_T0_E_clISt17integral_constantIbLb0EES1E_IbLb1EEEEDaS1A_S1B_EUlS1A_E_NS1_11comp_targetILNS1_3genE2ELNS1_11target_archE906ELNS1_3gpuE6ELNS1_3repE0EEENS1_30default_config_static_selectorELNS0_4arch9wavefront6targetE1EEEvT1_: ; @_ZN7rocprim17ROCPRIM_400000_NS6detail17trampoline_kernelINS0_14default_configENS1_25partition_config_selectorILNS1_17partition_subalgoE2ExNS0_10empty_typeEbEEZZNS1_14partition_implILS5_2ELb0ES3_jN6thrust23THRUST_200600_302600_NS6detail15normal_iteratorINSA_7pointerIxNSA_11hip_rocprim3tagENSA_11use_defaultESG_EEEEPS6_NSA_18transform_iteratorINSA_8identityIxEENSC_INSA_10device_ptrIxEEEESG_SG_EENS0_5tupleIJPxSJ_EEENSR_IJSJ_SJ_EEES6_PlJS6_EEE10hipError_tPvRmT3_T4_T5_T6_T7_T9_mT8_P12ihipStream_tbDpT10_ENKUlT_T0_E_clISt17integral_constantIbLb0EES1E_IbLb1EEEEDaS1A_S1B_EUlS1A_E_NS1_11comp_targetILNS1_3genE2ELNS1_11target_archE906ELNS1_3gpuE6ELNS1_3repE0EEENS1_30default_config_static_selectorELNS0_4arch9wavefront6targetE1EEEvT1_
; %bb.0:
	.section	.rodata,"a",@progbits
	.p2align	6, 0x0
	.amdhsa_kernel _ZN7rocprim17ROCPRIM_400000_NS6detail17trampoline_kernelINS0_14default_configENS1_25partition_config_selectorILNS1_17partition_subalgoE2ExNS0_10empty_typeEbEEZZNS1_14partition_implILS5_2ELb0ES3_jN6thrust23THRUST_200600_302600_NS6detail15normal_iteratorINSA_7pointerIxNSA_11hip_rocprim3tagENSA_11use_defaultESG_EEEEPS6_NSA_18transform_iteratorINSA_8identityIxEENSC_INSA_10device_ptrIxEEEESG_SG_EENS0_5tupleIJPxSJ_EEENSR_IJSJ_SJ_EEES6_PlJS6_EEE10hipError_tPvRmT3_T4_T5_T6_T7_T9_mT8_P12ihipStream_tbDpT10_ENKUlT_T0_E_clISt17integral_constantIbLb0EES1E_IbLb1EEEEDaS1A_S1B_EUlS1A_E_NS1_11comp_targetILNS1_3genE2ELNS1_11target_archE906ELNS1_3gpuE6ELNS1_3repE0EEENS1_30default_config_static_selectorELNS0_4arch9wavefront6targetE1EEEvT1_
		.amdhsa_group_segment_fixed_size 0
		.amdhsa_private_segment_fixed_size 0
		.amdhsa_kernarg_size 144
		.amdhsa_user_sgpr_count 2
		.amdhsa_user_sgpr_dispatch_ptr 0
		.amdhsa_user_sgpr_queue_ptr 0
		.amdhsa_user_sgpr_kernarg_segment_ptr 1
		.amdhsa_user_sgpr_dispatch_id 0
		.amdhsa_user_sgpr_kernarg_preload_length 0
		.amdhsa_user_sgpr_kernarg_preload_offset 0
		.amdhsa_user_sgpr_private_segment_size 0
		.amdhsa_uses_dynamic_stack 0
		.amdhsa_enable_private_segment 0
		.amdhsa_system_sgpr_workgroup_id_x 1
		.amdhsa_system_sgpr_workgroup_id_y 0
		.amdhsa_system_sgpr_workgroup_id_z 0
		.amdhsa_system_sgpr_workgroup_info 0
		.amdhsa_system_vgpr_workitem_id 0
		.amdhsa_next_free_vgpr 1
		.amdhsa_next_free_sgpr 0
		.amdhsa_accum_offset 4
		.amdhsa_reserve_vcc 0
		.amdhsa_float_round_mode_32 0
		.amdhsa_float_round_mode_16_64 0
		.amdhsa_float_denorm_mode_32 3
		.amdhsa_float_denorm_mode_16_64 3
		.amdhsa_dx10_clamp 1
		.amdhsa_ieee_mode 1
		.amdhsa_fp16_overflow 0
		.amdhsa_tg_split 0
		.amdhsa_exception_fp_ieee_invalid_op 0
		.amdhsa_exception_fp_denorm_src 0
		.amdhsa_exception_fp_ieee_div_zero 0
		.amdhsa_exception_fp_ieee_overflow 0
		.amdhsa_exception_fp_ieee_underflow 0
		.amdhsa_exception_fp_ieee_inexact 0
		.amdhsa_exception_int_div_zero 0
	.end_amdhsa_kernel
	.section	.text._ZN7rocprim17ROCPRIM_400000_NS6detail17trampoline_kernelINS0_14default_configENS1_25partition_config_selectorILNS1_17partition_subalgoE2ExNS0_10empty_typeEbEEZZNS1_14partition_implILS5_2ELb0ES3_jN6thrust23THRUST_200600_302600_NS6detail15normal_iteratorINSA_7pointerIxNSA_11hip_rocprim3tagENSA_11use_defaultESG_EEEEPS6_NSA_18transform_iteratorINSA_8identityIxEENSC_INSA_10device_ptrIxEEEESG_SG_EENS0_5tupleIJPxSJ_EEENSR_IJSJ_SJ_EEES6_PlJS6_EEE10hipError_tPvRmT3_T4_T5_T6_T7_T9_mT8_P12ihipStream_tbDpT10_ENKUlT_T0_E_clISt17integral_constantIbLb0EES1E_IbLb1EEEEDaS1A_S1B_EUlS1A_E_NS1_11comp_targetILNS1_3genE2ELNS1_11target_archE906ELNS1_3gpuE6ELNS1_3repE0EEENS1_30default_config_static_selectorELNS0_4arch9wavefront6targetE1EEEvT1_,"axG",@progbits,_ZN7rocprim17ROCPRIM_400000_NS6detail17trampoline_kernelINS0_14default_configENS1_25partition_config_selectorILNS1_17partition_subalgoE2ExNS0_10empty_typeEbEEZZNS1_14partition_implILS5_2ELb0ES3_jN6thrust23THRUST_200600_302600_NS6detail15normal_iteratorINSA_7pointerIxNSA_11hip_rocprim3tagENSA_11use_defaultESG_EEEEPS6_NSA_18transform_iteratorINSA_8identityIxEENSC_INSA_10device_ptrIxEEEESG_SG_EENS0_5tupleIJPxSJ_EEENSR_IJSJ_SJ_EEES6_PlJS6_EEE10hipError_tPvRmT3_T4_T5_T6_T7_T9_mT8_P12ihipStream_tbDpT10_ENKUlT_T0_E_clISt17integral_constantIbLb0EES1E_IbLb1EEEEDaS1A_S1B_EUlS1A_E_NS1_11comp_targetILNS1_3genE2ELNS1_11target_archE906ELNS1_3gpuE6ELNS1_3repE0EEENS1_30default_config_static_selectorELNS0_4arch9wavefront6targetE1EEEvT1_,comdat
.Lfunc_end509:
	.size	_ZN7rocprim17ROCPRIM_400000_NS6detail17trampoline_kernelINS0_14default_configENS1_25partition_config_selectorILNS1_17partition_subalgoE2ExNS0_10empty_typeEbEEZZNS1_14partition_implILS5_2ELb0ES3_jN6thrust23THRUST_200600_302600_NS6detail15normal_iteratorINSA_7pointerIxNSA_11hip_rocprim3tagENSA_11use_defaultESG_EEEEPS6_NSA_18transform_iteratorINSA_8identityIxEENSC_INSA_10device_ptrIxEEEESG_SG_EENS0_5tupleIJPxSJ_EEENSR_IJSJ_SJ_EEES6_PlJS6_EEE10hipError_tPvRmT3_T4_T5_T6_T7_T9_mT8_P12ihipStream_tbDpT10_ENKUlT_T0_E_clISt17integral_constantIbLb0EES1E_IbLb1EEEEDaS1A_S1B_EUlS1A_E_NS1_11comp_targetILNS1_3genE2ELNS1_11target_archE906ELNS1_3gpuE6ELNS1_3repE0EEENS1_30default_config_static_selectorELNS0_4arch9wavefront6targetE1EEEvT1_, .Lfunc_end509-_ZN7rocprim17ROCPRIM_400000_NS6detail17trampoline_kernelINS0_14default_configENS1_25partition_config_selectorILNS1_17partition_subalgoE2ExNS0_10empty_typeEbEEZZNS1_14partition_implILS5_2ELb0ES3_jN6thrust23THRUST_200600_302600_NS6detail15normal_iteratorINSA_7pointerIxNSA_11hip_rocprim3tagENSA_11use_defaultESG_EEEEPS6_NSA_18transform_iteratorINSA_8identityIxEENSC_INSA_10device_ptrIxEEEESG_SG_EENS0_5tupleIJPxSJ_EEENSR_IJSJ_SJ_EEES6_PlJS6_EEE10hipError_tPvRmT3_T4_T5_T6_T7_T9_mT8_P12ihipStream_tbDpT10_ENKUlT_T0_E_clISt17integral_constantIbLb0EES1E_IbLb1EEEEDaS1A_S1B_EUlS1A_E_NS1_11comp_targetILNS1_3genE2ELNS1_11target_archE906ELNS1_3gpuE6ELNS1_3repE0EEENS1_30default_config_static_selectorELNS0_4arch9wavefront6targetE1EEEvT1_
                                        ; -- End function
	.section	.AMDGPU.csdata,"",@progbits
; Kernel info:
; codeLenInByte = 0
; NumSgprs: 6
; NumVgprs: 0
; NumAgprs: 0
; TotalNumVgprs: 0
; ScratchSize: 0
; MemoryBound: 0
; FloatMode: 240
; IeeeMode: 1
; LDSByteSize: 0 bytes/workgroup (compile time only)
; SGPRBlocks: 0
; VGPRBlocks: 0
; NumSGPRsForWavesPerEU: 6
; NumVGPRsForWavesPerEU: 1
; AccumOffset: 4
; Occupancy: 8
; WaveLimiterHint : 0
; COMPUTE_PGM_RSRC2:SCRATCH_EN: 0
; COMPUTE_PGM_RSRC2:USER_SGPR: 2
; COMPUTE_PGM_RSRC2:TRAP_HANDLER: 0
; COMPUTE_PGM_RSRC2:TGID_X_EN: 1
; COMPUTE_PGM_RSRC2:TGID_Y_EN: 0
; COMPUTE_PGM_RSRC2:TGID_Z_EN: 0
; COMPUTE_PGM_RSRC2:TIDIG_COMP_CNT: 0
; COMPUTE_PGM_RSRC3_GFX90A:ACCUM_OFFSET: 0
; COMPUTE_PGM_RSRC3_GFX90A:TG_SPLIT: 0
	.section	.text._ZN7rocprim17ROCPRIM_400000_NS6detail17trampoline_kernelINS0_14default_configENS1_25partition_config_selectorILNS1_17partition_subalgoE2ExNS0_10empty_typeEbEEZZNS1_14partition_implILS5_2ELb0ES3_jN6thrust23THRUST_200600_302600_NS6detail15normal_iteratorINSA_7pointerIxNSA_11hip_rocprim3tagENSA_11use_defaultESG_EEEEPS6_NSA_18transform_iteratorINSA_8identityIxEENSC_INSA_10device_ptrIxEEEESG_SG_EENS0_5tupleIJPxSJ_EEENSR_IJSJ_SJ_EEES6_PlJS6_EEE10hipError_tPvRmT3_T4_T5_T6_T7_T9_mT8_P12ihipStream_tbDpT10_ENKUlT_T0_E_clISt17integral_constantIbLb0EES1E_IbLb1EEEEDaS1A_S1B_EUlS1A_E_NS1_11comp_targetILNS1_3genE10ELNS1_11target_archE1200ELNS1_3gpuE4ELNS1_3repE0EEENS1_30default_config_static_selectorELNS0_4arch9wavefront6targetE1EEEvT1_,"axG",@progbits,_ZN7rocprim17ROCPRIM_400000_NS6detail17trampoline_kernelINS0_14default_configENS1_25partition_config_selectorILNS1_17partition_subalgoE2ExNS0_10empty_typeEbEEZZNS1_14partition_implILS5_2ELb0ES3_jN6thrust23THRUST_200600_302600_NS6detail15normal_iteratorINSA_7pointerIxNSA_11hip_rocprim3tagENSA_11use_defaultESG_EEEEPS6_NSA_18transform_iteratorINSA_8identityIxEENSC_INSA_10device_ptrIxEEEESG_SG_EENS0_5tupleIJPxSJ_EEENSR_IJSJ_SJ_EEES6_PlJS6_EEE10hipError_tPvRmT3_T4_T5_T6_T7_T9_mT8_P12ihipStream_tbDpT10_ENKUlT_T0_E_clISt17integral_constantIbLb0EES1E_IbLb1EEEEDaS1A_S1B_EUlS1A_E_NS1_11comp_targetILNS1_3genE10ELNS1_11target_archE1200ELNS1_3gpuE4ELNS1_3repE0EEENS1_30default_config_static_selectorELNS0_4arch9wavefront6targetE1EEEvT1_,comdat
	.protected	_ZN7rocprim17ROCPRIM_400000_NS6detail17trampoline_kernelINS0_14default_configENS1_25partition_config_selectorILNS1_17partition_subalgoE2ExNS0_10empty_typeEbEEZZNS1_14partition_implILS5_2ELb0ES3_jN6thrust23THRUST_200600_302600_NS6detail15normal_iteratorINSA_7pointerIxNSA_11hip_rocprim3tagENSA_11use_defaultESG_EEEEPS6_NSA_18transform_iteratorINSA_8identityIxEENSC_INSA_10device_ptrIxEEEESG_SG_EENS0_5tupleIJPxSJ_EEENSR_IJSJ_SJ_EEES6_PlJS6_EEE10hipError_tPvRmT3_T4_T5_T6_T7_T9_mT8_P12ihipStream_tbDpT10_ENKUlT_T0_E_clISt17integral_constantIbLb0EES1E_IbLb1EEEEDaS1A_S1B_EUlS1A_E_NS1_11comp_targetILNS1_3genE10ELNS1_11target_archE1200ELNS1_3gpuE4ELNS1_3repE0EEENS1_30default_config_static_selectorELNS0_4arch9wavefront6targetE1EEEvT1_ ; -- Begin function _ZN7rocprim17ROCPRIM_400000_NS6detail17trampoline_kernelINS0_14default_configENS1_25partition_config_selectorILNS1_17partition_subalgoE2ExNS0_10empty_typeEbEEZZNS1_14partition_implILS5_2ELb0ES3_jN6thrust23THRUST_200600_302600_NS6detail15normal_iteratorINSA_7pointerIxNSA_11hip_rocprim3tagENSA_11use_defaultESG_EEEEPS6_NSA_18transform_iteratorINSA_8identityIxEENSC_INSA_10device_ptrIxEEEESG_SG_EENS0_5tupleIJPxSJ_EEENSR_IJSJ_SJ_EEES6_PlJS6_EEE10hipError_tPvRmT3_T4_T5_T6_T7_T9_mT8_P12ihipStream_tbDpT10_ENKUlT_T0_E_clISt17integral_constantIbLb0EES1E_IbLb1EEEEDaS1A_S1B_EUlS1A_E_NS1_11comp_targetILNS1_3genE10ELNS1_11target_archE1200ELNS1_3gpuE4ELNS1_3repE0EEENS1_30default_config_static_selectorELNS0_4arch9wavefront6targetE1EEEvT1_
	.globl	_ZN7rocprim17ROCPRIM_400000_NS6detail17trampoline_kernelINS0_14default_configENS1_25partition_config_selectorILNS1_17partition_subalgoE2ExNS0_10empty_typeEbEEZZNS1_14partition_implILS5_2ELb0ES3_jN6thrust23THRUST_200600_302600_NS6detail15normal_iteratorINSA_7pointerIxNSA_11hip_rocprim3tagENSA_11use_defaultESG_EEEEPS6_NSA_18transform_iteratorINSA_8identityIxEENSC_INSA_10device_ptrIxEEEESG_SG_EENS0_5tupleIJPxSJ_EEENSR_IJSJ_SJ_EEES6_PlJS6_EEE10hipError_tPvRmT3_T4_T5_T6_T7_T9_mT8_P12ihipStream_tbDpT10_ENKUlT_T0_E_clISt17integral_constantIbLb0EES1E_IbLb1EEEEDaS1A_S1B_EUlS1A_E_NS1_11comp_targetILNS1_3genE10ELNS1_11target_archE1200ELNS1_3gpuE4ELNS1_3repE0EEENS1_30default_config_static_selectorELNS0_4arch9wavefront6targetE1EEEvT1_
	.p2align	8
	.type	_ZN7rocprim17ROCPRIM_400000_NS6detail17trampoline_kernelINS0_14default_configENS1_25partition_config_selectorILNS1_17partition_subalgoE2ExNS0_10empty_typeEbEEZZNS1_14partition_implILS5_2ELb0ES3_jN6thrust23THRUST_200600_302600_NS6detail15normal_iteratorINSA_7pointerIxNSA_11hip_rocprim3tagENSA_11use_defaultESG_EEEEPS6_NSA_18transform_iteratorINSA_8identityIxEENSC_INSA_10device_ptrIxEEEESG_SG_EENS0_5tupleIJPxSJ_EEENSR_IJSJ_SJ_EEES6_PlJS6_EEE10hipError_tPvRmT3_T4_T5_T6_T7_T9_mT8_P12ihipStream_tbDpT10_ENKUlT_T0_E_clISt17integral_constantIbLb0EES1E_IbLb1EEEEDaS1A_S1B_EUlS1A_E_NS1_11comp_targetILNS1_3genE10ELNS1_11target_archE1200ELNS1_3gpuE4ELNS1_3repE0EEENS1_30default_config_static_selectorELNS0_4arch9wavefront6targetE1EEEvT1_,@function
_ZN7rocprim17ROCPRIM_400000_NS6detail17trampoline_kernelINS0_14default_configENS1_25partition_config_selectorILNS1_17partition_subalgoE2ExNS0_10empty_typeEbEEZZNS1_14partition_implILS5_2ELb0ES3_jN6thrust23THRUST_200600_302600_NS6detail15normal_iteratorINSA_7pointerIxNSA_11hip_rocprim3tagENSA_11use_defaultESG_EEEEPS6_NSA_18transform_iteratorINSA_8identityIxEENSC_INSA_10device_ptrIxEEEESG_SG_EENS0_5tupleIJPxSJ_EEENSR_IJSJ_SJ_EEES6_PlJS6_EEE10hipError_tPvRmT3_T4_T5_T6_T7_T9_mT8_P12ihipStream_tbDpT10_ENKUlT_T0_E_clISt17integral_constantIbLb0EES1E_IbLb1EEEEDaS1A_S1B_EUlS1A_E_NS1_11comp_targetILNS1_3genE10ELNS1_11target_archE1200ELNS1_3gpuE4ELNS1_3repE0EEENS1_30default_config_static_selectorELNS0_4arch9wavefront6targetE1EEEvT1_: ; @_ZN7rocprim17ROCPRIM_400000_NS6detail17trampoline_kernelINS0_14default_configENS1_25partition_config_selectorILNS1_17partition_subalgoE2ExNS0_10empty_typeEbEEZZNS1_14partition_implILS5_2ELb0ES3_jN6thrust23THRUST_200600_302600_NS6detail15normal_iteratorINSA_7pointerIxNSA_11hip_rocprim3tagENSA_11use_defaultESG_EEEEPS6_NSA_18transform_iteratorINSA_8identityIxEENSC_INSA_10device_ptrIxEEEESG_SG_EENS0_5tupleIJPxSJ_EEENSR_IJSJ_SJ_EEES6_PlJS6_EEE10hipError_tPvRmT3_T4_T5_T6_T7_T9_mT8_P12ihipStream_tbDpT10_ENKUlT_T0_E_clISt17integral_constantIbLb0EES1E_IbLb1EEEEDaS1A_S1B_EUlS1A_E_NS1_11comp_targetILNS1_3genE10ELNS1_11target_archE1200ELNS1_3gpuE4ELNS1_3repE0EEENS1_30default_config_static_selectorELNS0_4arch9wavefront6targetE1EEEvT1_
; %bb.0:
	.section	.rodata,"a",@progbits
	.p2align	6, 0x0
	.amdhsa_kernel _ZN7rocprim17ROCPRIM_400000_NS6detail17trampoline_kernelINS0_14default_configENS1_25partition_config_selectorILNS1_17partition_subalgoE2ExNS0_10empty_typeEbEEZZNS1_14partition_implILS5_2ELb0ES3_jN6thrust23THRUST_200600_302600_NS6detail15normal_iteratorINSA_7pointerIxNSA_11hip_rocprim3tagENSA_11use_defaultESG_EEEEPS6_NSA_18transform_iteratorINSA_8identityIxEENSC_INSA_10device_ptrIxEEEESG_SG_EENS0_5tupleIJPxSJ_EEENSR_IJSJ_SJ_EEES6_PlJS6_EEE10hipError_tPvRmT3_T4_T5_T6_T7_T9_mT8_P12ihipStream_tbDpT10_ENKUlT_T0_E_clISt17integral_constantIbLb0EES1E_IbLb1EEEEDaS1A_S1B_EUlS1A_E_NS1_11comp_targetILNS1_3genE10ELNS1_11target_archE1200ELNS1_3gpuE4ELNS1_3repE0EEENS1_30default_config_static_selectorELNS0_4arch9wavefront6targetE1EEEvT1_
		.amdhsa_group_segment_fixed_size 0
		.amdhsa_private_segment_fixed_size 0
		.amdhsa_kernarg_size 144
		.amdhsa_user_sgpr_count 2
		.amdhsa_user_sgpr_dispatch_ptr 0
		.amdhsa_user_sgpr_queue_ptr 0
		.amdhsa_user_sgpr_kernarg_segment_ptr 1
		.amdhsa_user_sgpr_dispatch_id 0
		.amdhsa_user_sgpr_kernarg_preload_length 0
		.amdhsa_user_sgpr_kernarg_preload_offset 0
		.amdhsa_user_sgpr_private_segment_size 0
		.amdhsa_uses_dynamic_stack 0
		.amdhsa_enable_private_segment 0
		.amdhsa_system_sgpr_workgroup_id_x 1
		.amdhsa_system_sgpr_workgroup_id_y 0
		.amdhsa_system_sgpr_workgroup_id_z 0
		.amdhsa_system_sgpr_workgroup_info 0
		.amdhsa_system_vgpr_workitem_id 0
		.amdhsa_next_free_vgpr 1
		.amdhsa_next_free_sgpr 0
		.amdhsa_accum_offset 4
		.amdhsa_reserve_vcc 0
		.amdhsa_float_round_mode_32 0
		.amdhsa_float_round_mode_16_64 0
		.amdhsa_float_denorm_mode_32 3
		.amdhsa_float_denorm_mode_16_64 3
		.amdhsa_dx10_clamp 1
		.amdhsa_ieee_mode 1
		.amdhsa_fp16_overflow 0
		.amdhsa_tg_split 0
		.amdhsa_exception_fp_ieee_invalid_op 0
		.amdhsa_exception_fp_denorm_src 0
		.amdhsa_exception_fp_ieee_div_zero 0
		.amdhsa_exception_fp_ieee_overflow 0
		.amdhsa_exception_fp_ieee_underflow 0
		.amdhsa_exception_fp_ieee_inexact 0
		.amdhsa_exception_int_div_zero 0
	.end_amdhsa_kernel
	.section	.text._ZN7rocprim17ROCPRIM_400000_NS6detail17trampoline_kernelINS0_14default_configENS1_25partition_config_selectorILNS1_17partition_subalgoE2ExNS0_10empty_typeEbEEZZNS1_14partition_implILS5_2ELb0ES3_jN6thrust23THRUST_200600_302600_NS6detail15normal_iteratorINSA_7pointerIxNSA_11hip_rocprim3tagENSA_11use_defaultESG_EEEEPS6_NSA_18transform_iteratorINSA_8identityIxEENSC_INSA_10device_ptrIxEEEESG_SG_EENS0_5tupleIJPxSJ_EEENSR_IJSJ_SJ_EEES6_PlJS6_EEE10hipError_tPvRmT3_T4_T5_T6_T7_T9_mT8_P12ihipStream_tbDpT10_ENKUlT_T0_E_clISt17integral_constantIbLb0EES1E_IbLb1EEEEDaS1A_S1B_EUlS1A_E_NS1_11comp_targetILNS1_3genE10ELNS1_11target_archE1200ELNS1_3gpuE4ELNS1_3repE0EEENS1_30default_config_static_selectorELNS0_4arch9wavefront6targetE1EEEvT1_,"axG",@progbits,_ZN7rocprim17ROCPRIM_400000_NS6detail17trampoline_kernelINS0_14default_configENS1_25partition_config_selectorILNS1_17partition_subalgoE2ExNS0_10empty_typeEbEEZZNS1_14partition_implILS5_2ELb0ES3_jN6thrust23THRUST_200600_302600_NS6detail15normal_iteratorINSA_7pointerIxNSA_11hip_rocprim3tagENSA_11use_defaultESG_EEEEPS6_NSA_18transform_iteratorINSA_8identityIxEENSC_INSA_10device_ptrIxEEEESG_SG_EENS0_5tupleIJPxSJ_EEENSR_IJSJ_SJ_EEES6_PlJS6_EEE10hipError_tPvRmT3_T4_T5_T6_T7_T9_mT8_P12ihipStream_tbDpT10_ENKUlT_T0_E_clISt17integral_constantIbLb0EES1E_IbLb1EEEEDaS1A_S1B_EUlS1A_E_NS1_11comp_targetILNS1_3genE10ELNS1_11target_archE1200ELNS1_3gpuE4ELNS1_3repE0EEENS1_30default_config_static_selectorELNS0_4arch9wavefront6targetE1EEEvT1_,comdat
.Lfunc_end510:
	.size	_ZN7rocprim17ROCPRIM_400000_NS6detail17trampoline_kernelINS0_14default_configENS1_25partition_config_selectorILNS1_17partition_subalgoE2ExNS0_10empty_typeEbEEZZNS1_14partition_implILS5_2ELb0ES3_jN6thrust23THRUST_200600_302600_NS6detail15normal_iteratorINSA_7pointerIxNSA_11hip_rocprim3tagENSA_11use_defaultESG_EEEEPS6_NSA_18transform_iteratorINSA_8identityIxEENSC_INSA_10device_ptrIxEEEESG_SG_EENS0_5tupleIJPxSJ_EEENSR_IJSJ_SJ_EEES6_PlJS6_EEE10hipError_tPvRmT3_T4_T5_T6_T7_T9_mT8_P12ihipStream_tbDpT10_ENKUlT_T0_E_clISt17integral_constantIbLb0EES1E_IbLb1EEEEDaS1A_S1B_EUlS1A_E_NS1_11comp_targetILNS1_3genE10ELNS1_11target_archE1200ELNS1_3gpuE4ELNS1_3repE0EEENS1_30default_config_static_selectorELNS0_4arch9wavefront6targetE1EEEvT1_, .Lfunc_end510-_ZN7rocprim17ROCPRIM_400000_NS6detail17trampoline_kernelINS0_14default_configENS1_25partition_config_selectorILNS1_17partition_subalgoE2ExNS0_10empty_typeEbEEZZNS1_14partition_implILS5_2ELb0ES3_jN6thrust23THRUST_200600_302600_NS6detail15normal_iteratorINSA_7pointerIxNSA_11hip_rocprim3tagENSA_11use_defaultESG_EEEEPS6_NSA_18transform_iteratorINSA_8identityIxEENSC_INSA_10device_ptrIxEEEESG_SG_EENS0_5tupleIJPxSJ_EEENSR_IJSJ_SJ_EEES6_PlJS6_EEE10hipError_tPvRmT3_T4_T5_T6_T7_T9_mT8_P12ihipStream_tbDpT10_ENKUlT_T0_E_clISt17integral_constantIbLb0EES1E_IbLb1EEEEDaS1A_S1B_EUlS1A_E_NS1_11comp_targetILNS1_3genE10ELNS1_11target_archE1200ELNS1_3gpuE4ELNS1_3repE0EEENS1_30default_config_static_selectorELNS0_4arch9wavefront6targetE1EEEvT1_
                                        ; -- End function
	.section	.AMDGPU.csdata,"",@progbits
; Kernel info:
; codeLenInByte = 0
; NumSgprs: 6
; NumVgprs: 0
; NumAgprs: 0
; TotalNumVgprs: 0
; ScratchSize: 0
; MemoryBound: 0
; FloatMode: 240
; IeeeMode: 1
; LDSByteSize: 0 bytes/workgroup (compile time only)
; SGPRBlocks: 0
; VGPRBlocks: 0
; NumSGPRsForWavesPerEU: 6
; NumVGPRsForWavesPerEU: 1
; AccumOffset: 4
; Occupancy: 8
; WaveLimiterHint : 0
; COMPUTE_PGM_RSRC2:SCRATCH_EN: 0
; COMPUTE_PGM_RSRC2:USER_SGPR: 2
; COMPUTE_PGM_RSRC2:TRAP_HANDLER: 0
; COMPUTE_PGM_RSRC2:TGID_X_EN: 1
; COMPUTE_PGM_RSRC2:TGID_Y_EN: 0
; COMPUTE_PGM_RSRC2:TGID_Z_EN: 0
; COMPUTE_PGM_RSRC2:TIDIG_COMP_CNT: 0
; COMPUTE_PGM_RSRC3_GFX90A:ACCUM_OFFSET: 0
; COMPUTE_PGM_RSRC3_GFX90A:TG_SPLIT: 0
	.section	.text._ZN7rocprim17ROCPRIM_400000_NS6detail17trampoline_kernelINS0_14default_configENS1_25partition_config_selectorILNS1_17partition_subalgoE2ExNS0_10empty_typeEbEEZZNS1_14partition_implILS5_2ELb0ES3_jN6thrust23THRUST_200600_302600_NS6detail15normal_iteratorINSA_7pointerIxNSA_11hip_rocprim3tagENSA_11use_defaultESG_EEEEPS6_NSA_18transform_iteratorINSA_8identityIxEENSC_INSA_10device_ptrIxEEEESG_SG_EENS0_5tupleIJPxSJ_EEENSR_IJSJ_SJ_EEES6_PlJS6_EEE10hipError_tPvRmT3_T4_T5_T6_T7_T9_mT8_P12ihipStream_tbDpT10_ENKUlT_T0_E_clISt17integral_constantIbLb0EES1E_IbLb1EEEEDaS1A_S1B_EUlS1A_E_NS1_11comp_targetILNS1_3genE9ELNS1_11target_archE1100ELNS1_3gpuE3ELNS1_3repE0EEENS1_30default_config_static_selectorELNS0_4arch9wavefront6targetE1EEEvT1_,"axG",@progbits,_ZN7rocprim17ROCPRIM_400000_NS6detail17trampoline_kernelINS0_14default_configENS1_25partition_config_selectorILNS1_17partition_subalgoE2ExNS0_10empty_typeEbEEZZNS1_14partition_implILS5_2ELb0ES3_jN6thrust23THRUST_200600_302600_NS6detail15normal_iteratorINSA_7pointerIxNSA_11hip_rocprim3tagENSA_11use_defaultESG_EEEEPS6_NSA_18transform_iteratorINSA_8identityIxEENSC_INSA_10device_ptrIxEEEESG_SG_EENS0_5tupleIJPxSJ_EEENSR_IJSJ_SJ_EEES6_PlJS6_EEE10hipError_tPvRmT3_T4_T5_T6_T7_T9_mT8_P12ihipStream_tbDpT10_ENKUlT_T0_E_clISt17integral_constantIbLb0EES1E_IbLb1EEEEDaS1A_S1B_EUlS1A_E_NS1_11comp_targetILNS1_3genE9ELNS1_11target_archE1100ELNS1_3gpuE3ELNS1_3repE0EEENS1_30default_config_static_selectorELNS0_4arch9wavefront6targetE1EEEvT1_,comdat
	.protected	_ZN7rocprim17ROCPRIM_400000_NS6detail17trampoline_kernelINS0_14default_configENS1_25partition_config_selectorILNS1_17partition_subalgoE2ExNS0_10empty_typeEbEEZZNS1_14partition_implILS5_2ELb0ES3_jN6thrust23THRUST_200600_302600_NS6detail15normal_iteratorINSA_7pointerIxNSA_11hip_rocprim3tagENSA_11use_defaultESG_EEEEPS6_NSA_18transform_iteratorINSA_8identityIxEENSC_INSA_10device_ptrIxEEEESG_SG_EENS0_5tupleIJPxSJ_EEENSR_IJSJ_SJ_EEES6_PlJS6_EEE10hipError_tPvRmT3_T4_T5_T6_T7_T9_mT8_P12ihipStream_tbDpT10_ENKUlT_T0_E_clISt17integral_constantIbLb0EES1E_IbLb1EEEEDaS1A_S1B_EUlS1A_E_NS1_11comp_targetILNS1_3genE9ELNS1_11target_archE1100ELNS1_3gpuE3ELNS1_3repE0EEENS1_30default_config_static_selectorELNS0_4arch9wavefront6targetE1EEEvT1_ ; -- Begin function _ZN7rocprim17ROCPRIM_400000_NS6detail17trampoline_kernelINS0_14default_configENS1_25partition_config_selectorILNS1_17partition_subalgoE2ExNS0_10empty_typeEbEEZZNS1_14partition_implILS5_2ELb0ES3_jN6thrust23THRUST_200600_302600_NS6detail15normal_iteratorINSA_7pointerIxNSA_11hip_rocprim3tagENSA_11use_defaultESG_EEEEPS6_NSA_18transform_iteratorINSA_8identityIxEENSC_INSA_10device_ptrIxEEEESG_SG_EENS0_5tupleIJPxSJ_EEENSR_IJSJ_SJ_EEES6_PlJS6_EEE10hipError_tPvRmT3_T4_T5_T6_T7_T9_mT8_P12ihipStream_tbDpT10_ENKUlT_T0_E_clISt17integral_constantIbLb0EES1E_IbLb1EEEEDaS1A_S1B_EUlS1A_E_NS1_11comp_targetILNS1_3genE9ELNS1_11target_archE1100ELNS1_3gpuE3ELNS1_3repE0EEENS1_30default_config_static_selectorELNS0_4arch9wavefront6targetE1EEEvT1_
	.globl	_ZN7rocprim17ROCPRIM_400000_NS6detail17trampoline_kernelINS0_14default_configENS1_25partition_config_selectorILNS1_17partition_subalgoE2ExNS0_10empty_typeEbEEZZNS1_14partition_implILS5_2ELb0ES3_jN6thrust23THRUST_200600_302600_NS6detail15normal_iteratorINSA_7pointerIxNSA_11hip_rocprim3tagENSA_11use_defaultESG_EEEEPS6_NSA_18transform_iteratorINSA_8identityIxEENSC_INSA_10device_ptrIxEEEESG_SG_EENS0_5tupleIJPxSJ_EEENSR_IJSJ_SJ_EEES6_PlJS6_EEE10hipError_tPvRmT3_T4_T5_T6_T7_T9_mT8_P12ihipStream_tbDpT10_ENKUlT_T0_E_clISt17integral_constantIbLb0EES1E_IbLb1EEEEDaS1A_S1B_EUlS1A_E_NS1_11comp_targetILNS1_3genE9ELNS1_11target_archE1100ELNS1_3gpuE3ELNS1_3repE0EEENS1_30default_config_static_selectorELNS0_4arch9wavefront6targetE1EEEvT1_
	.p2align	8
	.type	_ZN7rocprim17ROCPRIM_400000_NS6detail17trampoline_kernelINS0_14default_configENS1_25partition_config_selectorILNS1_17partition_subalgoE2ExNS0_10empty_typeEbEEZZNS1_14partition_implILS5_2ELb0ES3_jN6thrust23THRUST_200600_302600_NS6detail15normal_iteratorINSA_7pointerIxNSA_11hip_rocprim3tagENSA_11use_defaultESG_EEEEPS6_NSA_18transform_iteratorINSA_8identityIxEENSC_INSA_10device_ptrIxEEEESG_SG_EENS0_5tupleIJPxSJ_EEENSR_IJSJ_SJ_EEES6_PlJS6_EEE10hipError_tPvRmT3_T4_T5_T6_T7_T9_mT8_P12ihipStream_tbDpT10_ENKUlT_T0_E_clISt17integral_constantIbLb0EES1E_IbLb1EEEEDaS1A_S1B_EUlS1A_E_NS1_11comp_targetILNS1_3genE9ELNS1_11target_archE1100ELNS1_3gpuE3ELNS1_3repE0EEENS1_30default_config_static_selectorELNS0_4arch9wavefront6targetE1EEEvT1_,@function
_ZN7rocprim17ROCPRIM_400000_NS6detail17trampoline_kernelINS0_14default_configENS1_25partition_config_selectorILNS1_17partition_subalgoE2ExNS0_10empty_typeEbEEZZNS1_14partition_implILS5_2ELb0ES3_jN6thrust23THRUST_200600_302600_NS6detail15normal_iteratorINSA_7pointerIxNSA_11hip_rocprim3tagENSA_11use_defaultESG_EEEEPS6_NSA_18transform_iteratorINSA_8identityIxEENSC_INSA_10device_ptrIxEEEESG_SG_EENS0_5tupleIJPxSJ_EEENSR_IJSJ_SJ_EEES6_PlJS6_EEE10hipError_tPvRmT3_T4_T5_T6_T7_T9_mT8_P12ihipStream_tbDpT10_ENKUlT_T0_E_clISt17integral_constantIbLb0EES1E_IbLb1EEEEDaS1A_S1B_EUlS1A_E_NS1_11comp_targetILNS1_3genE9ELNS1_11target_archE1100ELNS1_3gpuE3ELNS1_3repE0EEENS1_30default_config_static_selectorELNS0_4arch9wavefront6targetE1EEEvT1_: ; @_ZN7rocprim17ROCPRIM_400000_NS6detail17trampoline_kernelINS0_14default_configENS1_25partition_config_selectorILNS1_17partition_subalgoE2ExNS0_10empty_typeEbEEZZNS1_14partition_implILS5_2ELb0ES3_jN6thrust23THRUST_200600_302600_NS6detail15normal_iteratorINSA_7pointerIxNSA_11hip_rocprim3tagENSA_11use_defaultESG_EEEEPS6_NSA_18transform_iteratorINSA_8identityIxEENSC_INSA_10device_ptrIxEEEESG_SG_EENS0_5tupleIJPxSJ_EEENSR_IJSJ_SJ_EEES6_PlJS6_EEE10hipError_tPvRmT3_T4_T5_T6_T7_T9_mT8_P12ihipStream_tbDpT10_ENKUlT_T0_E_clISt17integral_constantIbLb0EES1E_IbLb1EEEEDaS1A_S1B_EUlS1A_E_NS1_11comp_targetILNS1_3genE9ELNS1_11target_archE1100ELNS1_3gpuE3ELNS1_3repE0EEENS1_30default_config_static_selectorELNS0_4arch9wavefront6targetE1EEEvT1_
; %bb.0:
	.section	.rodata,"a",@progbits
	.p2align	6, 0x0
	.amdhsa_kernel _ZN7rocprim17ROCPRIM_400000_NS6detail17trampoline_kernelINS0_14default_configENS1_25partition_config_selectorILNS1_17partition_subalgoE2ExNS0_10empty_typeEbEEZZNS1_14partition_implILS5_2ELb0ES3_jN6thrust23THRUST_200600_302600_NS6detail15normal_iteratorINSA_7pointerIxNSA_11hip_rocprim3tagENSA_11use_defaultESG_EEEEPS6_NSA_18transform_iteratorINSA_8identityIxEENSC_INSA_10device_ptrIxEEEESG_SG_EENS0_5tupleIJPxSJ_EEENSR_IJSJ_SJ_EEES6_PlJS6_EEE10hipError_tPvRmT3_T4_T5_T6_T7_T9_mT8_P12ihipStream_tbDpT10_ENKUlT_T0_E_clISt17integral_constantIbLb0EES1E_IbLb1EEEEDaS1A_S1B_EUlS1A_E_NS1_11comp_targetILNS1_3genE9ELNS1_11target_archE1100ELNS1_3gpuE3ELNS1_3repE0EEENS1_30default_config_static_selectorELNS0_4arch9wavefront6targetE1EEEvT1_
		.amdhsa_group_segment_fixed_size 0
		.amdhsa_private_segment_fixed_size 0
		.amdhsa_kernarg_size 144
		.amdhsa_user_sgpr_count 2
		.amdhsa_user_sgpr_dispatch_ptr 0
		.amdhsa_user_sgpr_queue_ptr 0
		.amdhsa_user_sgpr_kernarg_segment_ptr 1
		.amdhsa_user_sgpr_dispatch_id 0
		.amdhsa_user_sgpr_kernarg_preload_length 0
		.amdhsa_user_sgpr_kernarg_preload_offset 0
		.amdhsa_user_sgpr_private_segment_size 0
		.amdhsa_uses_dynamic_stack 0
		.amdhsa_enable_private_segment 0
		.amdhsa_system_sgpr_workgroup_id_x 1
		.amdhsa_system_sgpr_workgroup_id_y 0
		.amdhsa_system_sgpr_workgroup_id_z 0
		.amdhsa_system_sgpr_workgroup_info 0
		.amdhsa_system_vgpr_workitem_id 0
		.amdhsa_next_free_vgpr 1
		.amdhsa_next_free_sgpr 0
		.amdhsa_accum_offset 4
		.amdhsa_reserve_vcc 0
		.amdhsa_float_round_mode_32 0
		.amdhsa_float_round_mode_16_64 0
		.amdhsa_float_denorm_mode_32 3
		.amdhsa_float_denorm_mode_16_64 3
		.amdhsa_dx10_clamp 1
		.amdhsa_ieee_mode 1
		.amdhsa_fp16_overflow 0
		.amdhsa_tg_split 0
		.amdhsa_exception_fp_ieee_invalid_op 0
		.amdhsa_exception_fp_denorm_src 0
		.amdhsa_exception_fp_ieee_div_zero 0
		.amdhsa_exception_fp_ieee_overflow 0
		.amdhsa_exception_fp_ieee_underflow 0
		.amdhsa_exception_fp_ieee_inexact 0
		.amdhsa_exception_int_div_zero 0
	.end_amdhsa_kernel
	.section	.text._ZN7rocprim17ROCPRIM_400000_NS6detail17trampoline_kernelINS0_14default_configENS1_25partition_config_selectorILNS1_17partition_subalgoE2ExNS0_10empty_typeEbEEZZNS1_14partition_implILS5_2ELb0ES3_jN6thrust23THRUST_200600_302600_NS6detail15normal_iteratorINSA_7pointerIxNSA_11hip_rocprim3tagENSA_11use_defaultESG_EEEEPS6_NSA_18transform_iteratorINSA_8identityIxEENSC_INSA_10device_ptrIxEEEESG_SG_EENS0_5tupleIJPxSJ_EEENSR_IJSJ_SJ_EEES6_PlJS6_EEE10hipError_tPvRmT3_T4_T5_T6_T7_T9_mT8_P12ihipStream_tbDpT10_ENKUlT_T0_E_clISt17integral_constantIbLb0EES1E_IbLb1EEEEDaS1A_S1B_EUlS1A_E_NS1_11comp_targetILNS1_3genE9ELNS1_11target_archE1100ELNS1_3gpuE3ELNS1_3repE0EEENS1_30default_config_static_selectorELNS0_4arch9wavefront6targetE1EEEvT1_,"axG",@progbits,_ZN7rocprim17ROCPRIM_400000_NS6detail17trampoline_kernelINS0_14default_configENS1_25partition_config_selectorILNS1_17partition_subalgoE2ExNS0_10empty_typeEbEEZZNS1_14partition_implILS5_2ELb0ES3_jN6thrust23THRUST_200600_302600_NS6detail15normal_iteratorINSA_7pointerIxNSA_11hip_rocprim3tagENSA_11use_defaultESG_EEEEPS6_NSA_18transform_iteratorINSA_8identityIxEENSC_INSA_10device_ptrIxEEEESG_SG_EENS0_5tupleIJPxSJ_EEENSR_IJSJ_SJ_EEES6_PlJS6_EEE10hipError_tPvRmT3_T4_T5_T6_T7_T9_mT8_P12ihipStream_tbDpT10_ENKUlT_T0_E_clISt17integral_constantIbLb0EES1E_IbLb1EEEEDaS1A_S1B_EUlS1A_E_NS1_11comp_targetILNS1_3genE9ELNS1_11target_archE1100ELNS1_3gpuE3ELNS1_3repE0EEENS1_30default_config_static_selectorELNS0_4arch9wavefront6targetE1EEEvT1_,comdat
.Lfunc_end511:
	.size	_ZN7rocprim17ROCPRIM_400000_NS6detail17trampoline_kernelINS0_14default_configENS1_25partition_config_selectorILNS1_17partition_subalgoE2ExNS0_10empty_typeEbEEZZNS1_14partition_implILS5_2ELb0ES3_jN6thrust23THRUST_200600_302600_NS6detail15normal_iteratorINSA_7pointerIxNSA_11hip_rocprim3tagENSA_11use_defaultESG_EEEEPS6_NSA_18transform_iteratorINSA_8identityIxEENSC_INSA_10device_ptrIxEEEESG_SG_EENS0_5tupleIJPxSJ_EEENSR_IJSJ_SJ_EEES6_PlJS6_EEE10hipError_tPvRmT3_T4_T5_T6_T7_T9_mT8_P12ihipStream_tbDpT10_ENKUlT_T0_E_clISt17integral_constantIbLb0EES1E_IbLb1EEEEDaS1A_S1B_EUlS1A_E_NS1_11comp_targetILNS1_3genE9ELNS1_11target_archE1100ELNS1_3gpuE3ELNS1_3repE0EEENS1_30default_config_static_selectorELNS0_4arch9wavefront6targetE1EEEvT1_, .Lfunc_end511-_ZN7rocprim17ROCPRIM_400000_NS6detail17trampoline_kernelINS0_14default_configENS1_25partition_config_selectorILNS1_17partition_subalgoE2ExNS0_10empty_typeEbEEZZNS1_14partition_implILS5_2ELb0ES3_jN6thrust23THRUST_200600_302600_NS6detail15normal_iteratorINSA_7pointerIxNSA_11hip_rocprim3tagENSA_11use_defaultESG_EEEEPS6_NSA_18transform_iteratorINSA_8identityIxEENSC_INSA_10device_ptrIxEEEESG_SG_EENS0_5tupleIJPxSJ_EEENSR_IJSJ_SJ_EEES6_PlJS6_EEE10hipError_tPvRmT3_T4_T5_T6_T7_T9_mT8_P12ihipStream_tbDpT10_ENKUlT_T0_E_clISt17integral_constantIbLb0EES1E_IbLb1EEEEDaS1A_S1B_EUlS1A_E_NS1_11comp_targetILNS1_3genE9ELNS1_11target_archE1100ELNS1_3gpuE3ELNS1_3repE0EEENS1_30default_config_static_selectorELNS0_4arch9wavefront6targetE1EEEvT1_
                                        ; -- End function
	.section	.AMDGPU.csdata,"",@progbits
; Kernel info:
; codeLenInByte = 0
; NumSgprs: 6
; NumVgprs: 0
; NumAgprs: 0
; TotalNumVgprs: 0
; ScratchSize: 0
; MemoryBound: 0
; FloatMode: 240
; IeeeMode: 1
; LDSByteSize: 0 bytes/workgroup (compile time only)
; SGPRBlocks: 0
; VGPRBlocks: 0
; NumSGPRsForWavesPerEU: 6
; NumVGPRsForWavesPerEU: 1
; AccumOffset: 4
; Occupancy: 8
; WaveLimiterHint : 0
; COMPUTE_PGM_RSRC2:SCRATCH_EN: 0
; COMPUTE_PGM_RSRC2:USER_SGPR: 2
; COMPUTE_PGM_RSRC2:TRAP_HANDLER: 0
; COMPUTE_PGM_RSRC2:TGID_X_EN: 1
; COMPUTE_PGM_RSRC2:TGID_Y_EN: 0
; COMPUTE_PGM_RSRC2:TGID_Z_EN: 0
; COMPUTE_PGM_RSRC2:TIDIG_COMP_CNT: 0
; COMPUTE_PGM_RSRC3_GFX90A:ACCUM_OFFSET: 0
; COMPUTE_PGM_RSRC3_GFX90A:TG_SPLIT: 0
	.section	.text._ZN7rocprim17ROCPRIM_400000_NS6detail17trampoline_kernelINS0_14default_configENS1_25partition_config_selectorILNS1_17partition_subalgoE2ExNS0_10empty_typeEbEEZZNS1_14partition_implILS5_2ELb0ES3_jN6thrust23THRUST_200600_302600_NS6detail15normal_iteratorINSA_7pointerIxNSA_11hip_rocprim3tagENSA_11use_defaultESG_EEEEPS6_NSA_18transform_iteratorINSA_8identityIxEENSC_INSA_10device_ptrIxEEEESG_SG_EENS0_5tupleIJPxSJ_EEENSR_IJSJ_SJ_EEES6_PlJS6_EEE10hipError_tPvRmT3_T4_T5_T6_T7_T9_mT8_P12ihipStream_tbDpT10_ENKUlT_T0_E_clISt17integral_constantIbLb0EES1E_IbLb1EEEEDaS1A_S1B_EUlS1A_E_NS1_11comp_targetILNS1_3genE8ELNS1_11target_archE1030ELNS1_3gpuE2ELNS1_3repE0EEENS1_30default_config_static_selectorELNS0_4arch9wavefront6targetE1EEEvT1_,"axG",@progbits,_ZN7rocprim17ROCPRIM_400000_NS6detail17trampoline_kernelINS0_14default_configENS1_25partition_config_selectorILNS1_17partition_subalgoE2ExNS0_10empty_typeEbEEZZNS1_14partition_implILS5_2ELb0ES3_jN6thrust23THRUST_200600_302600_NS6detail15normal_iteratorINSA_7pointerIxNSA_11hip_rocprim3tagENSA_11use_defaultESG_EEEEPS6_NSA_18transform_iteratorINSA_8identityIxEENSC_INSA_10device_ptrIxEEEESG_SG_EENS0_5tupleIJPxSJ_EEENSR_IJSJ_SJ_EEES6_PlJS6_EEE10hipError_tPvRmT3_T4_T5_T6_T7_T9_mT8_P12ihipStream_tbDpT10_ENKUlT_T0_E_clISt17integral_constantIbLb0EES1E_IbLb1EEEEDaS1A_S1B_EUlS1A_E_NS1_11comp_targetILNS1_3genE8ELNS1_11target_archE1030ELNS1_3gpuE2ELNS1_3repE0EEENS1_30default_config_static_selectorELNS0_4arch9wavefront6targetE1EEEvT1_,comdat
	.protected	_ZN7rocprim17ROCPRIM_400000_NS6detail17trampoline_kernelINS0_14default_configENS1_25partition_config_selectorILNS1_17partition_subalgoE2ExNS0_10empty_typeEbEEZZNS1_14partition_implILS5_2ELb0ES3_jN6thrust23THRUST_200600_302600_NS6detail15normal_iteratorINSA_7pointerIxNSA_11hip_rocprim3tagENSA_11use_defaultESG_EEEEPS6_NSA_18transform_iteratorINSA_8identityIxEENSC_INSA_10device_ptrIxEEEESG_SG_EENS0_5tupleIJPxSJ_EEENSR_IJSJ_SJ_EEES6_PlJS6_EEE10hipError_tPvRmT3_T4_T5_T6_T7_T9_mT8_P12ihipStream_tbDpT10_ENKUlT_T0_E_clISt17integral_constantIbLb0EES1E_IbLb1EEEEDaS1A_S1B_EUlS1A_E_NS1_11comp_targetILNS1_3genE8ELNS1_11target_archE1030ELNS1_3gpuE2ELNS1_3repE0EEENS1_30default_config_static_selectorELNS0_4arch9wavefront6targetE1EEEvT1_ ; -- Begin function _ZN7rocprim17ROCPRIM_400000_NS6detail17trampoline_kernelINS0_14default_configENS1_25partition_config_selectorILNS1_17partition_subalgoE2ExNS0_10empty_typeEbEEZZNS1_14partition_implILS5_2ELb0ES3_jN6thrust23THRUST_200600_302600_NS6detail15normal_iteratorINSA_7pointerIxNSA_11hip_rocprim3tagENSA_11use_defaultESG_EEEEPS6_NSA_18transform_iteratorINSA_8identityIxEENSC_INSA_10device_ptrIxEEEESG_SG_EENS0_5tupleIJPxSJ_EEENSR_IJSJ_SJ_EEES6_PlJS6_EEE10hipError_tPvRmT3_T4_T5_T6_T7_T9_mT8_P12ihipStream_tbDpT10_ENKUlT_T0_E_clISt17integral_constantIbLb0EES1E_IbLb1EEEEDaS1A_S1B_EUlS1A_E_NS1_11comp_targetILNS1_3genE8ELNS1_11target_archE1030ELNS1_3gpuE2ELNS1_3repE0EEENS1_30default_config_static_selectorELNS0_4arch9wavefront6targetE1EEEvT1_
	.globl	_ZN7rocprim17ROCPRIM_400000_NS6detail17trampoline_kernelINS0_14default_configENS1_25partition_config_selectorILNS1_17partition_subalgoE2ExNS0_10empty_typeEbEEZZNS1_14partition_implILS5_2ELb0ES3_jN6thrust23THRUST_200600_302600_NS6detail15normal_iteratorINSA_7pointerIxNSA_11hip_rocprim3tagENSA_11use_defaultESG_EEEEPS6_NSA_18transform_iteratorINSA_8identityIxEENSC_INSA_10device_ptrIxEEEESG_SG_EENS0_5tupleIJPxSJ_EEENSR_IJSJ_SJ_EEES6_PlJS6_EEE10hipError_tPvRmT3_T4_T5_T6_T7_T9_mT8_P12ihipStream_tbDpT10_ENKUlT_T0_E_clISt17integral_constantIbLb0EES1E_IbLb1EEEEDaS1A_S1B_EUlS1A_E_NS1_11comp_targetILNS1_3genE8ELNS1_11target_archE1030ELNS1_3gpuE2ELNS1_3repE0EEENS1_30default_config_static_selectorELNS0_4arch9wavefront6targetE1EEEvT1_
	.p2align	8
	.type	_ZN7rocprim17ROCPRIM_400000_NS6detail17trampoline_kernelINS0_14default_configENS1_25partition_config_selectorILNS1_17partition_subalgoE2ExNS0_10empty_typeEbEEZZNS1_14partition_implILS5_2ELb0ES3_jN6thrust23THRUST_200600_302600_NS6detail15normal_iteratorINSA_7pointerIxNSA_11hip_rocprim3tagENSA_11use_defaultESG_EEEEPS6_NSA_18transform_iteratorINSA_8identityIxEENSC_INSA_10device_ptrIxEEEESG_SG_EENS0_5tupleIJPxSJ_EEENSR_IJSJ_SJ_EEES6_PlJS6_EEE10hipError_tPvRmT3_T4_T5_T6_T7_T9_mT8_P12ihipStream_tbDpT10_ENKUlT_T0_E_clISt17integral_constantIbLb0EES1E_IbLb1EEEEDaS1A_S1B_EUlS1A_E_NS1_11comp_targetILNS1_3genE8ELNS1_11target_archE1030ELNS1_3gpuE2ELNS1_3repE0EEENS1_30default_config_static_selectorELNS0_4arch9wavefront6targetE1EEEvT1_,@function
_ZN7rocprim17ROCPRIM_400000_NS6detail17trampoline_kernelINS0_14default_configENS1_25partition_config_selectorILNS1_17partition_subalgoE2ExNS0_10empty_typeEbEEZZNS1_14partition_implILS5_2ELb0ES3_jN6thrust23THRUST_200600_302600_NS6detail15normal_iteratorINSA_7pointerIxNSA_11hip_rocprim3tagENSA_11use_defaultESG_EEEEPS6_NSA_18transform_iteratorINSA_8identityIxEENSC_INSA_10device_ptrIxEEEESG_SG_EENS0_5tupleIJPxSJ_EEENSR_IJSJ_SJ_EEES6_PlJS6_EEE10hipError_tPvRmT3_T4_T5_T6_T7_T9_mT8_P12ihipStream_tbDpT10_ENKUlT_T0_E_clISt17integral_constantIbLb0EES1E_IbLb1EEEEDaS1A_S1B_EUlS1A_E_NS1_11comp_targetILNS1_3genE8ELNS1_11target_archE1030ELNS1_3gpuE2ELNS1_3repE0EEENS1_30default_config_static_selectorELNS0_4arch9wavefront6targetE1EEEvT1_: ; @_ZN7rocprim17ROCPRIM_400000_NS6detail17trampoline_kernelINS0_14default_configENS1_25partition_config_selectorILNS1_17partition_subalgoE2ExNS0_10empty_typeEbEEZZNS1_14partition_implILS5_2ELb0ES3_jN6thrust23THRUST_200600_302600_NS6detail15normal_iteratorINSA_7pointerIxNSA_11hip_rocprim3tagENSA_11use_defaultESG_EEEEPS6_NSA_18transform_iteratorINSA_8identityIxEENSC_INSA_10device_ptrIxEEEESG_SG_EENS0_5tupleIJPxSJ_EEENSR_IJSJ_SJ_EEES6_PlJS6_EEE10hipError_tPvRmT3_T4_T5_T6_T7_T9_mT8_P12ihipStream_tbDpT10_ENKUlT_T0_E_clISt17integral_constantIbLb0EES1E_IbLb1EEEEDaS1A_S1B_EUlS1A_E_NS1_11comp_targetILNS1_3genE8ELNS1_11target_archE1030ELNS1_3gpuE2ELNS1_3repE0EEENS1_30default_config_static_selectorELNS0_4arch9wavefront6targetE1EEEvT1_
; %bb.0:
	.section	.rodata,"a",@progbits
	.p2align	6, 0x0
	.amdhsa_kernel _ZN7rocprim17ROCPRIM_400000_NS6detail17trampoline_kernelINS0_14default_configENS1_25partition_config_selectorILNS1_17partition_subalgoE2ExNS0_10empty_typeEbEEZZNS1_14partition_implILS5_2ELb0ES3_jN6thrust23THRUST_200600_302600_NS6detail15normal_iteratorINSA_7pointerIxNSA_11hip_rocprim3tagENSA_11use_defaultESG_EEEEPS6_NSA_18transform_iteratorINSA_8identityIxEENSC_INSA_10device_ptrIxEEEESG_SG_EENS0_5tupleIJPxSJ_EEENSR_IJSJ_SJ_EEES6_PlJS6_EEE10hipError_tPvRmT3_T4_T5_T6_T7_T9_mT8_P12ihipStream_tbDpT10_ENKUlT_T0_E_clISt17integral_constantIbLb0EES1E_IbLb1EEEEDaS1A_S1B_EUlS1A_E_NS1_11comp_targetILNS1_3genE8ELNS1_11target_archE1030ELNS1_3gpuE2ELNS1_3repE0EEENS1_30default_config_static_selectorELNS0_4arch9wavefront6targetE1EEEvT1_
		.amdhsa_group_segment_fixed_size 0
		.amdhsa_private_segment_fixed_size 0
		.amdhsa_kernarg_size 144
		.amdhsa_user_sgpr_count 2
		.amdhsa_user_sgpr_dispatch_ptr 0
		.amdhsa_user_sgpr_queue_ptr 0
		.amdhsa_user_sgpr_kernarg_segment_ptr 1
		.amdhsa_user_sgpr_dispatch_id 0
		.amdhsa_user_sgpr_kernarg_preload_length 0
		.amdhsa_user_sgpr_kernarg_preload_offset 0
		.amdhsa_user_sgpr_private_segment_size 0
		.amdhsa_uses_dynamic_stack 0
		.amdhsa_enable_private_segment 0
		.amdhsa_system_sgpr_workgroup_id_x 1
		.amdhsa_system_sgpr_workgroup_id_y 0
		.amdhsa_system_sgpr_workgroup_id_z 0
		.amdhsa_system_sgpr_workgroup_info 0
		.amdhsa_system_vgpr_workitem_id 0
		.amdhsa_next_free_vgpr 1
		.amdhsa_next_free_sgpr 0
		.amdhsa_accum_offset 4
		.amdhsa_reserve_vcc 0
		.amdhsa_float_round_mode_32 0
		.amdhsa_float_round_mode_16_64 0
		.amdhsa_float_denorm_mode_32 3
		.amdhsa_float_denorm_mode_16_64 3
		.amdhsa_dx10_clamp 1
		.amdhsa_ieee_mode 1
		.amdhsa_fp16_overflow 0
		.amdhsa_tg_split 0
		.amdhsa_exception_fp_ieee_invalid_op 0
		.amdhsa_exception_fp_denorm_src 0
		.amdhsa_exception_fp_ieee_div_zero 0
		.amdhsa_exception_fp_ieee_overflow 0
		.amdhsa_exception_fp_ieee_underflow 0
		.amdhsa_exception_fp_ieee_inexact 0
		.amdhsa_exception_int_div_zero 0
	.end_amdhsa_kernel
	.section	.text._ZN7rocprim17ROCPRIM_400000_NS6detail17trampoline_kernelINS0_14default_configENS1_25partition_config_selectorILNS1_17partition_subalgoE2ExNS0_10empty_typeEbEEZZNS1_14partition_implILS5_2ELb0ES3_jN6thrust23THRUST_200600_302600_NS6detail15normal_iteratorINSA_7pointerIxNSA_11hip_rocprim3tagENSA_11use_defaultESG_EEEEPS6_NSA_18transform_iteratorINSA_8identityIxEENSC_INSA_10device_ptrIxEEEESG_SG_EENS0_5tupleIJPxSJ_EEENSR_IJSJ_SJ_EEES6_PlJS6_EEE10hipError_tPvRmT3_T4_T5_T6_T7_T9_mT8_P12ihipStream_tbDpT10_ENKUlT_T0_E_clISt17integral_constantIbLb0EES1E_IbLb1EEEEDaS1A_S1B_EUlS1A_E_NS1_11comp_targetILNS1_3genE8ELNS1_11target_archE1030ELNS1_3gpuE2ELNS1_3repE0EEENS1_30default_config_static_selectorELNS0_4arch9wavefront6targetE1EEEvT1_,"axG",@progbits,_ZN7rocprim17ROCPRIM_400000_NS6detail17trampoline_kernelINS0_14default_configENS1_25partition_config_selectorILNS1_17partition_subalgoE2ExNS0_10empty_typeEbEEZZNS1_14partition_implILS5_2ELb0ES3_jN6thrust23THRUST_200600_302600_NS6detail15normal_iteratorINSA_7pointerIxNSA_11hip_rocprim3tagENSA_11use_defaultESG_EEEEPS6_NSA_18transform_iteratorINSA_8identityIxEENSC_INSA_10device_ptrIxEEEESG_SG_EENS0_5tupleIJPxSJ_EEENSR_IJSJ_SJ_EEES6_PlJS6_EEE10hipError_tPvRmT3_T4_T5_T6_T7_T9_mT8_P12ihipStream_tbDpT10_ENKUlT_T0_E_clISt17integral_constantIbLb0EES1E_IbLb1EEEEDaS1A_S1B_EUlS1A_E_NS1_11comp_targetILNS1_3genE8ELNS1_11target_archE1030ELNS1_3gpuE2ELNS1_3repE0EEENS1_30default_config_static_selectorELNS0_4arch9wavefront6targetE1EEEvT1_,comdat
.Lfunc_end512:
	.size	_ZN7rocprim17ROCPRIM_400000_NS6detail17trampoline_kernelINS0_14default_configENS1_25partition_config_selectorILNS1_17partition_subalgoE2ExNS0_10empty_typeEbEEZZNS1_14partition_implILS5_2ELb0ES3_jN6thrust23THRUST_200600_302600_NS6detail15normal_iteratorINSA_7pointerIxNSA_11hip_rocprim3tagENSA_11use_defaultESG_EEEEPS6_NSA_18transform_iteratorINSA_8identityIxEENSC_INSA_10device_ptrIxEEEESG_SG_EENS0_5tupleIJPxSJ_EEENSR_IJSJ_SJ_EEES6_PlJS6_EEE10hipError_tPvRmT3_T4_T5_T6_T7_T9_mT8_P12ihipStream_tbDpT10_ENKUlT_T0_E_clISt17integral_constantIbLb0EES1E_IbLb1EEEEDaS1A_S1B_EUlS1A_E_NS1_11comp_targetILNS1_3genE8ELNS1_11target_archE1030ELNS1_3gpuE2ELNS1_3repE0EEENS1_30default_config_static_selectorELNS0_4arch9wavefront6targetE1EEEvT1_, .Lfunc_end512-_ZN7rocprim17ROCPRIM_400000_NS6detail17trampoline_kernelINS0_14default_configENS1_25partition_config_selectorILNS1_17partition_subalgoE2ExNS0_10empty_typeEbEEZZNS1_14partition_implILS5_2ELb0ES3_jN6thrust23THRUST_200600_302600_NS6detail15normal_iteratorINSA_7pointerIxNSA_11hip_rocprim3tagENSA_11use_defaultESG_EEEEPS6_NSA_18transform_iteratorINSA_8identityIxEENSC_INSA_10device_ptrIxEEEESG_SG_EENS0_5tupleIJPxSJ_EEENSR_IJSJ_SJ_EEES6_PlJS6_EEE10hipError_tPvRmT3_T4_T5_T6_T7_T9_mT8_P12ihipStream_tbDpT10_ENKUlT_T0_E_clISt17integral_constantIbLb0EES1E_IbLb1EEEEDaS1A_S1B_EUlS1A_E_NS1_11comp_targetILNS1_3genE8ELNS1_11target_archE1030ELNS1_3gpuE2ELNS1_3repE0EEENS1_30default_config_static_selectorELNS0_4arch9wavefront6targetE1EEEvT1_
                                        ; -- End function
	.section	.AMDGPU.csdata,"",@progbits
; Kernel info:
; codeLenInByte = 0
; NumSgprs: 6
; NumVgprs: 0
; NumAgprs: 0
; TotalNumVgprs: 0
; ScratchSize: 0
; MemoryBound: 0
; FloatMode: 240
; IeeeMode: 1
; LDSByteSize: 0 bytes/workgroup (compile time only)
; SGPRBlocks: 0
; VGPRBlocks: 0
; NumSGPRsForWavesPerEU: 6
; NumVGPRsForWavesPerEU: 1
; AccumOffset: 4
; Occupancy: 8
; WaveLimiterHint : 0
; COMPUTE_PGM_RSRC2:SCRATCH_EN: 0
; COMPUTE_PGM_RSRC2:USER_SGPR: 2
; COMPUTE_PGM_RSRC2:TRAP_HANDLER: 0
; COMPUTE_PGM_RSRC2:TGID_X_EN: 1
; COMPUTE_PGM_RSRC2:TGID_Y_EN: 0
; COMPUTE_PGM_RSRC2:TGID_Z_EN: 0
; COMPUTE_PGM_RSRC2:TIDIG_COMP_CNT: 0
; COMPUTE_PGM_RSRC3_GFX90A:ACCUM_OFFSET: 0
; COMPUTE_PGM_RSRC3_GFX90A:TG_SPLIT: 0
	.section	.text._ZN7rocprim17ROCPRIM_400000_NS6detail17trampoline_kernelINS0_14default_configENS1_25partition_config_selectorILNS1_17partition_subalgoE2EiNS0_10empty_typeEbEEZZNS1_14partition_implILS5_2ELb0ES3_jN6thrust23THRUST_200600_302600_NS6detail15normal_iteratorINSA_7pointerIiNSA_11hip_rocprim3tagENSA_11use_defaultESG_EEEEPS6_NSA_18transform_iteratorINSA_8identityIiEENSC_INSA_10device_ptrIiEEEESG_SG_EENS0_5tupleIJPiSJ_EEENSR_IJSJ_SJ_EEES6_PlJS6_EEE10hipError_tPvRmT3_T4_T5_T6_T7_T9_mT8_P12ihipStream_tbDpT10_ENKUlT_T0_E_clISt17integral_constantIbLb0EES1F_EEDaS1A_S1B_EUlS1A_E_NS1_11comp_targetILNS1_3genE0ELNS1_11target_archE4294967295ELNS1_3gpuE0ELNS1_3repE0EEENS1_30default_config_static_selectorELNS0_4arch9wavefront6targetE1EEEvT1_,"axG",@progbits,_ZN7rocprim17ROCPRIM_400000_NS6detail17trampoline_kernelINS0_14default_configENS1_25partition_config_selectorILNS1_17partition_subalgoE2EiNS0_10empty_typeEbEEZZNS1_14partition_implILS5_2ELb0ES3_jN6thrust23THRUST_200600_302600_NS6detail15normal_iteratorINSA_7pointerIiNSA_11hip_rocprim3tagENSA_11use_defaultESG_EEEEPS6_NSA_18transform_iteratorINSA_8identityIiEENSC_INSA_10device_ptrIiEEEESG_SG_EENS0_5tupleIJPiSJ_EEENSR_IJSJ_SJ_EEES6_PlJS6_EEE10hipError_tPvRmT3_T4_T5_T6_T7_T9_mT8_P12ihipStream_tbDpT10_ENKUlT_T0_E_clISt17integral_constantIbLb0EES1F_EEDaS1A_S1B_EUlS1A_E_NS1_11comp_targetILNS1_3genE0ELNS1_11target_archE4294967295ELNS1_3gpuE0ELNS1_3repE0EEENS1_30default_config_static_selectorELNS0_4arch9wavefront6targetE1EEEvT1_,comdat
	.protected	_ZN7rocprim17ROCPRIM_400000_NS6detail17trampoline_kernelINS0_14default_configENS1_25partition_config_selectorILNS1_17partition_subalgoE2EiNS0_10empty_typeEbEEZZNS1_14partition_implILS5_2ELb0ES3_jN6thrust23THRUST_200600_302600_NS6detail15normal_iteratorINSA_7pointerIiNSA_11hip_rocprim3tagENSA_11use_defaultESG_EEEEPS6_NSA_18transform_iteratorINSA_8identityIiEENSC_INSA_10device_ptrIiEEEESG_SG_EENS0_5tupleIJPiSJ_EEENSR_IJSJ_SJ_EEES6_PlJS6_EEE10hipError_tPvRmT3_T4_T5_T6_T7_T9_mT8_P12ihipStream_tbDpT10_ENKUlT_T0_E_clISt17integral_constantIbLb0EES1F_EEDaS1A_S1B_EUlS1A_E_NS1_11comp_targetILNS1_3genE0ELNS1_11target_archE4294967295ELNS1_3gpuE0ELNS1_3repE0EEENS1_30default_config_static_selectorELNS0_4arch9wavefront6targetE1EEEvT1_ ; -- Begin function _ZN7rocprim17ROCPRIM_400000_NS6detail17trampoline_kernelINS0_14default_configENS1_25partition_config_selectorILNS1_17partition_subalgoE2EiNS0_10empty_typeEbEEZZNS1_14partition_implILS5_2ELb0ES3_jN6thrust23THRUST_200600_302600_NS6detail15normal_iteratorINSA_7pointerIiNSA_11hip_rocprim3tagENSA_11use_defaultESG_EEEEPS6_NSA_18transform_iteratorINSA_8identityIiEENSC_INSA_10device_ptrIiEEEESG_SG_EENS0_5tupleIJPiSJ_EEENSR_IJSJ_SJ_EEES6_PlJS6_EEE10hipError_tPvRmT3_T4_T5_T6_T7_T9_mT8_P12ihipStream_tbDpT10_ENKUlT_T0_E_clISt17integral_constantIbLb0EES1F_EEDaS1A_S1B_EUlS1A_E_NS1_11comp_targetILNS1_3genE0ELNS1_11target_archE4294967295ELNS1_3gpuE0ELNS1_3repE0EEENS1_30default_config_static_selectorELNS0_4arch9wavefront6targetE1EEEvT1_
	.globl	_ZN7rocprim17ROCPRIM_400000_NS6detail17trampoline_kernelINS0_14default_configENS1_25partition_config_selectorILNS1_17partition_subalgoE2EiNS0_10empty_typeEbEEZZNS1_14partition_implILS5_2ELb0ES3_jN6thrust23THRUST_200600_302600_NS6detail15normal_iteratorINSA_7pointerIiNSA_11hip_rocprim3tagENSA_11use_defaultESG_EEEEPS6_NSA_18transform_iteratorINSA_8identityIiEENSC_INSA_10device_ptrIiEEEESG_SG_EENS0_5tupleIJPiSJ_EEENSR_IJSJ_SJ_EEES6_PlJS6_EEE10hipError_tPvRmT3_T4_T5_T6_T7_T9_mT8_P12ihipStream_tbDpT10_ENKUlT_T0_E_clISt17integral_constantIbLb0EES1F_EEDaS1A_S1B_EUlS1A_E_NS1_11comp_targetILNS1_3genE0ELNS1_11target_archE4294967295ELNS1_3gpuE0ELNS1_3repE0EEENS1_30default_config_static_selectorELNS0_4arch9wavefront6targetE1EEEvT1_
	.p2align	8
	.type	_ZN7rocprim17ROCPRIM_400000_NS6detail17trampoline_kernelINS0_14default_configENS1_25partition_config_selectorILNS1_17partition_subalgoE2EiNS0_10empty_typeEbEEZZNS1_14partition_implILS5_2ELb0ES3_jN6thrust23THRUST_200600_302600_NS6detail15normal_iteratorINSA_7pointerIiNSA_11hip_rocprim3tagENSA_11use_defaultESG_EEEEPS6_NSA_18transform_iteratorINSA_8identityIiEENSC_INSA_10device_ptrIiEEEESG_SG_EENS0_5tupleIJPiSJ_EEENSR_IJSJ_SJ_EEES6_PlJS6_EEE10hipError_tPvRmT3_T4_T5_T6_T7_T9_mT8_P12ihipStream_tbDpT10_ENKUlT_T0_E_clISt17integral_constantIbLb0EES1F_EEDaS1A_S1B_EUlS1A_E_NS1_11comp_targetILNS1_3genE0ELNS1_11target_archE4294967295ELNS1_3gpuE0ELNS1_3repE0EEENS1_30default_config_static_selectorELNS0_4arch9wavefront6targetE1EEEvT1_,@function
_ZN7rocprim17ROCPRIM_400000_NS6detail17trampoline_kernelINS0_14default_configENS1_25partition_config_selectorILNS1_17partition_subalgoE2EiNS0_10empty_typeEbEEZZNS1_14partition_implILS5_2ELb0ES3_jN6thrust23THRUST_200600_302600_NS6detail15normal_iteratorINSA_7pointerIiNSA_11hip_rocprim3tagENSA_11use_defaultESG_EEEEPS6_NSA_18transform_iteratorINSA_8identityIiEENSC_INSA_10device_ptrIiEEEESG_SG_EENS0_5tupleIJPiSJ_EEENSR_IJSJ_SJ_EEES6_PlJS6_EEE10hipError_tPvRmT3_T4_T5_T6_T7_T9_mT8_P12ihipStream_tbDpT10_ENKUlT_T0_E_clISt17integral_constantIbLb0EES1F_EEDaS1A_S1B_EUlS1A_E_NS1_11comp_targetILNS1_3genE0ELNS1_11target_archE4294967295ELNS1_3gpuE0ELNS1_3repE0EEENS1_30default_config_static_selectorELNS0_4arch9wavefront6targetE1EEEvT1_: ; @_ZN7rocprim17ROCPRIM_400000_NS6detail17trampoline_kernelINS0_14default_configENS1_25partition_config_selectorILNS1_17partition_subalgoE2EiNS0_10empty_typeEbEEZZNS1_14partition_implILS5_2ELb0ES3_jN6thrust23THRUST_200600_302600_NS6detail15normal_iteratorINSA_7pointerIiNSA_11hip_rocprim3tagENSA_11use_defaultESG_EEEEPS6_NSA_18transform_iteratorINSA_8identityIiEENSC_INSA_10device_ptrIiEEEESG_SG_EENS0_5tupleIJPiSJ_EEENSR_IJSJ_SJ_EEES6_PlJS6_EEE10hipError_tPvRmT3_T4_T5_T6_T7_T9_mT8_P12ihipStream_tbDpT10_ENKUlT_T0_E_clISt17integral_constantIbLb0EES1F_EEDaS1A_S1B_EUlS1A_E_NS1_11comp_targetILNS1_3genE0ELNS1_11target_archE4294967295ELNS1_3gpuE0ELNS1_3repE0EEENS1_30default_config_static_selectorELNS0_4arch9wavefront6targetE1EEEvT1_
; %bb.0:
	.section	.rodata,"a",@progbits
	.p2align	6, 0x0
	.amdhsa_kernel _ZN7rocprim17ROCPRIM_400000_NS6detail17trampoline_kernelINS0_14default_configENS1_25partition_config_selectorILNS1_17partition_subalgoE2EiNS0_10empty_typeEbEEZZNS1_14partition_implILS5_2ELb0ES3_jN6thrust23THRUST_200600_302600_NS6detail15normal_iteratorINSA_7pointerIiNSA_11hip_rocprim3tagENSA_11use_defaultESG_EEEEPS6_NSA_18transform_iteratorINSA_8identityIiEENSC_INSA_10device_ptrIiEEEESG_SG_EENS0_5tupleIJPiSJ_EEENSR_IJSJ_SJ_EEES6_PlJS6_EEE10hipError_tPvRmT3_T4_T5_T6_T7_T9_mT8_P12ihipStream_tbDpT10_ENKUlT_T0_E_clISt17integral_constantIbLb0EES1F_EEDaS1A_S1B_EUlS1A_E_NS1_11comp_targetILNS1_3genE0ELNS1_11target_archE4294967295ELNS1_3gpuE0ELNS1_3repE0EEENS1_30default_config_static_selectorELNS0_4arch9wavefront6targetE1EEEvT1_
		.amdhsa_group_segment_fixed_size 0
		.amdhsa_private_segment_fixed_size 0
		.amdhsa_kernarg_size 128
		.amdhsa_user_sgpr_count 2
		.amdhsa_user_sgpr_dispatch_ptr 0
		.amdhsa_user_sgpr_queue_ptr 0
		.amdhsa_user_sgpr_kernarg_segment_ptr 1
		.amdhsa_user_sgpr_dispatch_id 0
		.amdhsa_user_sgpr_kernarg_preload_length 0
		.amdhsa_user_sgpr_kernarg_preload_offset 0
		.amdhsa_user_sgpr_private_segment_size 0
		.amdhsa_uses_dynamic_stack 0
		.amdhsa_enable_private_segment 0
		.amdhsa_system_sgpr_workgroup_id_x 1
		.amdhsa_system_sgpr_workgroup_id_y 0
		.amdhsa_system_sgpr_workgroup_id_z 0
		.amdhsa_system_sgpr_workgroup_info 0
		.amdhsa_system_vgpr_workitem_id 0
		.amdhsa_next_free_vgpr 1
		.amdhsa_next_free_sgpr 0
		.amdhsa_accum_offset 4
		.amdhsa_reserve_vcc 0
		.amdhsa_float_round_mode_32 0
		.amdhsa_float_round_mode_16_64 0
		.amdhsa_float_denorm_mode_32 3
		.amdhsa_float_denorm_mode_16_64 3
		.amdhsa_dx10_clamp 1
		.amdhsa_ieee_mode 1
		.amdhsa_fp16_overflow 0
		.amdhsa_tg_split 0
		.amdhsa_exception_fp_ieee_invalid_op 0
		.amdhsa_exception_fp_denorm_src 0
		.amdhsa_exception_fp_ieee_div_zero 0
		.amdhsa_exception_fp_ieee_overflow 0
		.amdhsa_exception_fp_ieee_underflow 0
		.amdhsa_exception_fp_ieee_inexact 0
		.amdhsa_exception_int_div_zero 0
	.end_amdhsa_kernel
	.section	.text._ZN7rocprim17ROCPRIM_400000_NS6detail17trampoline_kernelINS0_14default_configENS1_25partition_config_selectorILNS1_17partition_subalgoE2EiNS0_10empty_typeEbEEZZNS1_14partition_implILS5_2ELb0ES3_jN6thrust23THRUST_200600_302600_NS6detail15normal_iteratorINSA_7pointerIiNSA_11hip_rocprim3tagENSA_11use_defaultESG_EEEEPS6_NSA_18transform_iteratorINSA_8identityIiEENSC_INSA_10device_ptrIiEEEESG_SG_EENS0_5tupleIJPiSJ_EEENSR_IJSJ_SJ_EEES6_PlJS6_EEE10hipError_tPvRmT3_T4_T5_T6_T7_T9_mT8_P12ihipStream_tbDpT10_ENKUlT_T0_E_clISt17integral_constantIbLb0EES1F_EEDaS1A_S1B_EUlS1A_E_NS1_11comp_targetILNS1_3genE0ELNS1_11target_archE4294967295ELNS1_3gpuE0ELNS1_3repE0EEENS1_30default_config_static_selectorELNS0_4arch9wavefront6targetE1EEEvT1_,"axG",@progbits,_ZN7rocprim17ROCPRIM_400000_NS6detail17trampoline_kernelINS0_14default_configENS1_25partition_config_selectorILNS1_17partition_subalgoE2EiNS0_10empty_typeEbEEZZNS1_14partition_implILS5_2ELb0ES3_jN6thrust23THRUST_200600_302600_NS6detail15normal_iteratorINSA_7pointerIiNSA_11hip_rocprim3tagENSA_11use_defaultESG_EEEEPS6_NSA_18transform_iteratorINSA_8identityIiEENSC_INSA_10device_ptrIiEEEESG_SG_EENS0_5tupleIJPiSJ_EEENSR_IJSJ_SJ_EEES6_PlJS6_EEE10hipError_tPvRmT3_T4_T5_T6_T7_T9_mT8_P12ihipStream_tbDpT10_ENKUlT_T0_E_clISt17integral_constantIbLb0EES1F_EEDaS1A_S1B_EUlS1A_E_NS1_11comp_targetILNS1_3genE0ELNS1_11target_archE4294967295ELNS1_3gpuE0ELNS1_3repE0EEENS1_30default_config_static_selectorELNS0_4arch9wavefront6targetE1EEEvT1_,comdat
.Lfunc_end513:
	.size	_ZN7rocprim17ROCPRIM_400000_NS6detail17trampoline_kernelINS0_14default_configENS1_25partition_config_selectorILNS1_17partition_subalgoE2EiNS0_10empty_typeEbEEZZNS1_14partition_implILS5_2ELb0ES3_jN6thrust23THRUST_200600_302600_NS6detail15normal_iteratorINSA_7pointerIiNSA_11hip_rocprim3tagENSA_11use_defaultESG_EEEEPS6_NSA_18transform_iteratorINSA_8identityIiEENSC_INSA_10device_ptrIiEEEESG_SG_EENS0_5tupleIJPiSJ_EEENSR_IJSJ_SJ_EEES6_PlJS6_EEE10hipError_tPvRmT3_T4_T5_T6_T7_T9_mT8_P12ihipStream_tbDpT10_ENKUlT_T0_E_clISt17integral_constantIbLb0EES1F_EEDaS1A_S1B_EUlS1A_E_NS1_11comp_targetILNS1_3genE0ELNS1_11target_archE4294967295ELNS1_3gpuE0ELNS1_3repE0EEENS1_30default_config_static_selectorELNS0_4arch9wavefront6targetE1EEEvT1_, .Lfunc_end513-_ZN7rocprim17ROCPRIM_400000_NS6detail17trampoline_kernelINS0_14default_configENS1_25partition_config_selectorILNS1_17partition_subalgoE2EiNS0_10empty_typeEbEEZZNS1_14partition_implILS5_2ELb0ES3_jN6thrust23THRUST_200600_302600_NS6detail15normal_iteratorINSA_7pointerIiNSA_11hip_rocprim3tagENSA_11use_defaultESG_EEEEPS6_NSA_18transform_iteratorINSA_8identityIiEENSC_INSA_10device_ptrIiEEEESG_SG_EENS0_5tupleIJPiSJ_EEENSR_IJSJ_SJ_EEES6_PlJS6_EEE10hipError_tPvRmT3_T4_T5_T6_T7_T9_mT8_P12ihipStream_tbDpT10_ENKUlT_T0_E_clISt17integral_constantIbLb0EES1F_EEDaS1A_S1B_EUlS1A_E_NS1_11comp_targetILNS1_3genE0ELNS1_11target_archE4294967295ELNS1_3gpuE0ELNS1_3repE0EEENS1_30default_config_static_selectorELNS0_4arch9wavefront6targetE1EEEvT1_
                                        ; -- End function
	.section	.AMDGPU.csdata,"",@progbits
; Kernel info:
; codeLenInByte = 0
; NumSgprs: 6
; NumVgprs: 0
; NumAgprs: 0
; TotalNumVgprs: 0
; ScratchSize: 0
; MemoryBound: 0
; FloatMode: 240
; IeeeMode: 1
; LDSByteSize: 0 bytes/workgroup (compile time only)
; SGPRBlocks: 0
; VGPRBlocks: 0
; NumSGPRsForWavesPerEU: 6
; NumVGPRsForWavesPerEU: 1
; AccumOffset: 4
; Occupancy: 8
; WaveLimiterHint : 0
; COMPUTE_PGM_RSRC2:SCRATCH_EN: 0
; COMPUTE_PGM_RSRC2:USER_SGPR: 2
; COMPUTE_PGM_RSRC2:TRAP_HANDLER: 0
; COMPUTE_PGM_RSRC2:TGID_X_EN: 1
; COMPUTE_PGM_RSRC2:TGID_Y_EN: 0
; COMPUTE_PGM_RSRC2:TGID_Z_EN: 0
; COMPUTE_PGM_RSRC2:TIDIG_COMP_CNT: 0
; COMPUTE_PGM_RSRC3_GFX90A:ACCUM_OFFSET: 0
; COMPUTE_PGM_RSRC3_GFX90A:TG_SPLIT: 0
	.section	.text._ZN7rocprim17ROCPRIM_400000_NS6detail17trampoline_kernelINS0_14default_configENS1_25partition_config_selectorILNS1_17partition_subalgoE2EiNS0_10empty_typeEbEEZZNS1_14partition_implILS5_2ELb0ES3_jN6thrust23THRUST_200600_302600_NS6detail15normal_iteratorINSA_7pointerIiNSA_11hip_rocprim3tagENSA_11use_defaultESG_EEEEPS6_NSA_18transform_iteratorINSA_8identityIiEENSC_INSA_10device_ptrIiEEEESG_SG_EENS0_5tupleIJPiSJ_EEENSR_IJSJ_SJ_EEES6_PlJS6_EEE10hipError_tPvRmT3_T4_T5_T6_T7_T9_mT8_P12ihipStream_tbDpT10_ENKUlT_T0_E_clISt17integral_constantIbLb0EES1F_EEDaS1A_S1B_EUlS1A_E_NS1_11comp_targetILNS1_3genE5ELNS1_11target_archE942ELNS1_3gpuE9ELNS1_3repE0EEENS1_30default_config_static_selectorELNS0_4arch9wavefront6targetE1EEEvT1_,"axG",@progbits,_ZN7rocprim17ROCPRIM_400000_NS6detail17trampoline_kernelINS0_14default_configENS1_25partition_config_selectorILNS1_17partition_subalgoE2EiNS0_10empty_typeEbEEZZNS1_14partition_implILS5_2ELb0ES3_jN6thrust23THRUST_200600_302600_NS6detail15normal_iteratorINSA_7pointerIiNSA_11hip_rocprim3tagENSA_11use_defaultESG_EEEEPS6_NSA_18transform_iteratorINSA_8identityIiEENSC_INSA_10device_ptrIiEEEESG_SG_EENS0_5tupleIJPiSJ_EEENSR_IJSJ_SJ_EEES6_PlJS6_EEE10hipError_tPvRmT3_T4_T5_T6_T7_T9_mT8_P12ihipStream_tbDpT10_ENKUlT_T0_E_clISt17integral_constantIbLb0EES1F_EEDaS1A_S1B_EUlS1A_E_NS1_11comp_targetILNS1_3genE5ELNS1_11target_archE942ELNS1_3gpuE9ELNS1_3repE0EEENS1_30default_config_static_selectorELNS0_4arch9wavefront6targetE1EEEvT1_,comdat
	.protected	_ZN7rocprim17ROCPRIM_400000_NS6detail17trampoline_kernelINS0_14default_configENS1_25partition_config_selectorILNS1_17partition_subalgoE2EiNS0_10empty_typeEbEEZZNS1_14partition_implILS5_2ELb0ES3_jN6thrust23THRUST_200600_302600_NS6detail15normal_iteratorINSA_7pointerIiNSA_11hip_rocprim3tagENSA_11use_defaultESG_EEEEPS6_NSA_18transform_iteratorINSA_8identityIiEENSC_INSA_10device_ptrIiEEEESG_SG_EENS0_5tupleIJPiSJ_EEENSR_IJSJ_SJ_EEES6_PlJS6_EEE10hipError_tPvRmT3_T4_T5_T6_T7_T9_mT8_P12ihipStream_tbDpT10_ENKUlT_T0_E_clISt17integral_constantIbLb0EES1F_EEDaS1A_S1B_EUlS1A_E_NS1_11comp_targetILNS1_3genE5ELNS1_11target_archE942ELNS1_3gpuE9ELNS1_3repE0EEENS1_30default_config_static_selectorELNS0_4arch9wavefront6targetE1EEEvT1_ ; -- Begin function _ZN7rocprim17ROCPRIM_400000_NS6detail17trampoline_kernelINS0_14default_configENS1_25partition_config_selectorILNS1_17partition_subalgoE2EiNS0_10empty_typeEbEEZZNS1_14partition_implILS5_2ELb0ES3_jN6thrust23THRUST_200600_302600_NS6detail15normal_iteratorINSA_7pointerIiNSA_11hip_rocprim3tagENSA_11use_defaultESG_EEEEPS6_NSA_18transform_iteratorINSA_8identityIiEENSC_INSA_10device_ptrIiEEEESG_SG_EENS0_5tupleIJPiSJ_EEENSR_IJSJ_SJ_EEES6_PlJS6_EEE10hipError_tPvRmT3_T4_T5_T6_T7_T9_mT8_P12ihipStream_tbDpT10_ENKUlT_T0_E_clISt17integral_constantIbLb0EES1F_EEDaS1A_S1B_EUlS1A_E_NS1_11comp_targetILNS1_3genE5ELNS1_11target_archE942ELNS1_3gpuE9ELNS1_3repE0EEENS1_30default_config_static_selectorELNS0_4arch9wavefront6targetE1EEEvT1_
	.globl	_ZN7rocprim17ROCPRIM_400000_NS6detail17trampoline_kernelINS0_14default_configENS1_25partition_config_selectorILNS1_17partition_subalgoE2EiNS0_10empty_typeEbEEZZNS1_14partition_implILS5_2ELb0ES3_jN6thrust23THRUST_200600_302600_NS6detail15normal_iteratorINSA_7pointerIiNSA_11hip_rocprim3tagENSA_11use_defaultESG_EEEEPS6_NSA_18transform_iteratorINSA_8identityIiEENSC_INSA_10device_ptrIiEEEESG_SG_EENS0_5tupleIJPiSJ_EEENSR_IJSJ_SJ_EEES6_PlJS6_EEE10hipError_tPvRmT3_T4_T5_T6_T7_T9_mT8_P12ihipStream_tbDpT10_ENKUlT_T0_E_clISt17integral_constantIbLb0EES1F_EEDaS1A_S1B_EUlS1A_E_NS1_11comp_targetILNS1_3genE5ELNS1_11target_archE942ELNS1_3gpuE9ELNS1_3repE0EEENS1_30default_config_static_selectorELNS0_4arch9wavefront6targetE1EEEvT1_
	.p2align	8
	.type	_ZN7rocprim17ROCPRIM_400000_NS6detail17trampoline_kernelINS0_14default_configENS1_25partition_config_selectorILNS1_17partition_subalgoE2EiNS0_10empty_typeEbEEZZNS1_14partition_implILS5_2ELb0ES3_jN6thrust23THRUST_200600_302600_NS6detail15normal_iteratorINSA_7pointerIiNSA_11hip_rocprim3tagENSA_11use_defaultESG_EEEEPS6_NSA_18transform_iteratorINSA_8identityIiEENSC_INSA_10device_ptrIiEEEESG_SG_EENS0_5tupleIJPiSJ_EEENSR_IJSJ_SJ_EEES6_PlJS6_EEE10hipError_tPvRmT3_T4_T5_T6_T7_T9_mT8_P12ihipStream_tbDpT10_ENKUlT_T0_E_clISt17integral_constantIbLb0EES1F_EEDaS1A_S1B_EUlS1A_E_NS1_11comp_targetILNS1_3genE5ELNS1_11target_archE942ELNS1_3gpuE9ELNS1_3repE0EEENS1_30default_config_static_selectorELNS0_4arch9wavefront6targetE1EEEvT1_,@function
_ZN7rocprim17ROCPRIM_400000_NS6detail17trampoline_kernelINS0_14default_configENS1_25partition_config_selectorILNS1_17partition_subalgoE2EiNS0_10empty_typeEbEEZZNS1_14partition_implILS5_2ELb0ES3_jN6thrust23THRUST_200600_302600_NS6detail15normal_iteratorINSA_7pointerIiNSA_11hip_rocprim3tagENSA_11use_defaultESG_EEEEPS6_NSA_18transform_iteratorINSA_8identityIiEENSC_INSA_10device_ptrIiEEEESG_SG_EENS0_5tupleIJPiSJ_EEENSR_IJSJ_SJ_EEES6_PlJS6_EEE10hipError_tPvRmT3_T4_T5_T6_T7_T9_mT8_P12ihipStream_tbDpT10_ENKUlT_T0_E_clISt17integral_constantIbLb0EES1F_EEDaS1A_S1B_EUlS1A_E_NS1_11comp_targetILNS1_3genE5ELNS1_11target_archE942ELNS1_3gpuE9ELNS1_3repE0EEENS1_30default_config_static_selectorELNS0_4arch9wavefront6targetE1EEEvT1_: ; @_ZN7rocprim17ROCPRIM_400000_NS6detail17trampoline_kernelINS0_14default_configENS1_25partition_config_selectorILNS1_17partition_subalgoE2EiNS0_10empty_typeEbEEZZNS1_14partition_implILS5_2ELb0ES3_jN6thrust23THRUST_200600_302600_NS6detail15normal_iteratorINSA_7pointerIiNSA_11hip_rocprim3tagENSA_11use_defaultESG_EEEEPS6_NSA_18transform_iteratorINSA_8identityIiEENSC_INSA_10device_ptrIiEEEESG_SG_EENS0_5tupleIJPiSJ_EEENSR_IJSJ_SJ_EEES6_PlJS6_EEE10hipError_tPvRmT3_T4_T5_T6_T7_T9_mT8_P12ihipStream_tbDpT10_ENKUlT_T0_E_clISt17integral_constantIbLb0EES1F_EEDaS1A_S1B_EUlS1A_E_NS1_11comp_targetILNS1_3genE5ELNS1_11target_archE942ELNS1_3gpuE9ELNS1_3repE0EEENS1_30default_config_static_selectorELNS0_4arch9wavefront6targetE1EEEvT1_
; %bb.0:
	s_load_dwordx4 s[24:27], s[0:1], 0x8
	s_load_dwordx2 s[6:7], s[0:1], 0x20
	s_load_dwordx2 s[28:29], s[0:1], 0x60
	s_load_dwordx4 s[20:23], s[0:1], 0x50
	s_load_dword s3, s[0:1], 0x78
	s_waitcnt lgkmcnt(0)
	s_lshl_b64 s[8:9], s[26:27], 2
	s_add_u32 s12, s24, s8
	s_addc_u32 s13, s25, s9
	s_load_dwordx2 s[30:31], s[22:23], 0x0
	s_add_i32 s10, s3, -1
	s_mulk_i32 s3, 0x1e00
	s_add_i32 s4, s3, s26
	s_sub_i32 s33, s28, s4
	s_addk_i32 s33, 0x1e00
	s_add_u32 s4, s26, s3
	s_addc_u32 s5, s27, 0
	s_cmp_eq_u32 s2, s10
	v_mov_b64_e32 v[2:3], s[28:29]
	s_cselect_b64 s[22:23], -1, 0
	s_cmp_lg_u32 s2, s10
	s_mul_i32 s24, s2, 0x1e00
	s_mov_b32 s25, 0
	v_cmp_lt_u64_e32 vcc, s[4:5], v[2:3]
	s_cselect_b64 s[4:5], -1, 0
	s_or_b64 s[34:35], s[4:5], vcc
	s_lshl_b64 s[10:11], s[24:25], 2
	s_add_u32 s12, s12, s10
	s_addc_u32 s13, s13, s11
	s_mov_b64 s[4:5], -1
	s_and_b64 vcc, exec, s[34:35]
	v_lshlrev_b32_e32 v22, 2, v0
	s_cbranch_vccz .LBB514_2
; %bb.1:
	v_mov_b32_e32 v23, 0
	v_lshl_add_u64 v[2:3], s[12:13], 0, v[22:23]
	v_add_co_u32_e32 v4, vcc, 0x1000, v2
	s_mov_b64 s[4:5], 0
	s_nop 0
	v_addc_co_u32_e32 v5, vcc, 0, v3, vcc
	v_add_co_u32_e32 v6, vcc, 0x2000, v2
	s_nop 1
	v_addc_co_u32_e32 v7, vcc, 0, v3, vcc
	v_add_co_u32_e32 v8, vcc, 0x3000, v2
	s_nop 1
	v_addc_co_u32_e32 v9, vcc, 0, v3, vcc
	flat_load_dword v1, v[2:3]
	flat_load_dword v10, v[2:3] offset:2048
	flat_load_dword v11, v[4:5]
	flat_load_dword v12, v[4:5] offset:2048
	;; [unrolled: 2-line block ×4, first 2 shown]
	v_add_co_u32_e32 v4, vcc, 0x4000, v2
	s_nop 1
	v_addc_co_u32_e32 v5, vcc, 0, v3, vcc
	v_add_co_u32_e32 v6, vcc, 0x5000, v2
	s_nop 1
	v_addc_co_u32_e32 v7, vcc, 0, v3, vcc
	;; [unrolled: 3-line block ×4, first 2 shown]
	flat_load_dword v17, v[4:5]
	flat_load_dword v18, v[4:5] offset:2048
	flat_load_dword v19, v[6:7]
	flat_load_dword v20, v[6:7] offset:2048
	;; [unrolled: 2-line block ×3, first 2 shown]
	flat_load_dword v24, v[2:3]
	s_waitcnt vmcnt(0) lgkmcnt(0)
	ds_write2st64_b32 v22, v1, v10 offset1:8
	ds_write2st64_b32 v22, v11, v12 offset0:16 offset1:24
	ds_write2st64_b32 v22, v13, v14 offset0:32 offset1:40
	;; [unrolled: 1-line block ×6, first 2 shown]
	ds_write_b32 v22, v24 offset:28672
	s_waitcnt lgkmcnt(0)
	s_barrier
.LBB514_2:
	s_andn2_b64 vcc, exec, s[4:5]
	v_cmp_gt_u32_e64 s[4:5], s33, v0
	s_cbranch_vccnz .LBB514_34
; %bb.3:
                                        ; implicit-def: $vgpr2_vgpr3_vgpr4_vgpr5_vgpr6_vgpr7_vgpr8_vgpr9_vgpr10_vgpr11_vgpr12_vgpr13_vgpr14_vgpr15_vgpr16_vgpr17
	s_and_saveexec_b64 s[14:15], s[4:5]
	s_cbranch_execz .LBB514_5
; %bb.4:
	v_mov_b32_e32 v23, 0
	v_lshl_add_u64 v[2:3], s[12:13], 0, v[22:23]
	flat_load_dword v2, v[2:3]
.LBB514_5:
	s_or_b64 exec, exec, s[14:15]
	v_or_b32_e32 v1, 0x200, v0
	v_cmp_gt_u32_e32 vcc, s33, v1
	s_and_saveexec_b64 s[4:5], vcc
	s_cbranch_execz .LBB514_7
; %bb.6:
	v_mov_b32_e32 v23, 0
	v_lshl_add_u64 v[18:19], s[12:13], 0, v[22:23]
	flat_load_dword v3, v[18:19] offset:2048
.LBB514_7:
	s_or_b64 exec, exec, s[4:5]
	v_or_b32_e32 v1, 0x400, v0
	v_cmp_gt_u32_e32 vcc, s33, v1
	s_and_saveexec_b64 s[4:5], vcc
	s_cbranch_execz .LBB514_9
; %bb.8:
	v_lshlrev_b32_e32 v18, 2, v1
	v_mov_b32_e32 v19, 0
	v_lshl_add_u64 v[18:19], s[12:13], 0, v[18:19]
	flat_load_dword v4, v[18:19]
.LBB514_9:
	s_or_b64 exec, exec, s[4:5]
	v_or_b32_e32 v1, 0x600, v0
	v_cmp_gt_u32_e32 vcc, s33, v1
	s_and_saveexec_b64 s[4:5], vcc
	s_cbranch_execz .LBB514_11
; %bb.10:
	v_lshlrev_b32_e32 v18, 2, v1
	v_mov_b32_e32 v19, 0
	v_lshl_add_u64 v[18:19], s[12:13], 0, v[18:19]
	flat_load_dword v5, v[18:19]
.LBB514_11:
	;; [unrolled: 11-line block ×13, first 2 shown]
	s_or_b64 exec, exec, s[4:5]
	s_waitcnt vmcnt(0) lgkmcnt(0)
	ds_write2st64_b32 v22, v2, v3 offset1:8
	ds_write2st64_b32 v22, v4, v5 offset0:16 offset1:24
	ds_write2st64_b32 v22, v6, v7 offset0:32 offset1:40
	;; [unrolled: 1-line block ×6, first 2 shown]
	ds_write_b32 v22, v16 offset:28672
	s_waitcnt lgkmcnt(0)
	s_barrier
.LBB514_34:
	v_mul_u32_u24_e32 v21, 15, v0
	v_lshlrev_b32_e32 v1, 2, v21
	s_waitcnt lgkmcnt(0)
	ds_read2_b32 v[38:39], v1 offset1:1
	ds_read2_b32 v[36:37], v1 offset0:2 offset1:3
	ds_read2_b32 v[34:35], v1 offset0:4 offset1:5
	;; [unrolled: 1-line block ×6, first 2 shown]
	ds_read_b32 v1, v1 offset:56
	s_add_u32 s3, s6, s8
	s_addc_u32 s5, s7, s9
	s_add_u32 s4, s3, s10
	s_addc_u32 s5, s5, s11
	s_mov_b64 s[6:7], -1
	s_and_b64 vcc, exec, s[34:35]
	s_waitcnt lgkmcnt(0)
	s_barrier
	s_cbranch_vccz .LBB514_36
; %bb.35:
	v_mov_b32_e32 v23, 0
	v_lshl_add_u64 v[2:3], s[4:5], 0, v[22:23]
	v_add_co_u32_e32 v4, vcc, 0x1000, v2
	global_load_dword v8, v22, s[4:5]
	global_load_dword v9, v22, s[4:5] offset:2048
	v_addc_co_u32_e32 v5, vcc, 0, v3, vcc
	v_add_co_u32_e32 v6, vcc, 0x2000, v2
	s_mov_b64 s[6:7], 0
	s_nop 0
	v_addc_co_u32_e32 v7, vcc, 0, v3, vcc
	global_load_dword v10, v[4:5], off
	global_load_dword v11, v[4:5], off offset:2048
	global_load_dword v12, v[6:7], off
	global_load_dword v13, v[6:7], off offset:2048
	v_add_co_u32_e32 v4, vcc, 0x3000, v2
	s_nop 1
	v_addc_co_u32_e32 v5, vcc, 0, v3, vcc
	v_add_co_u32_e32 v6, vcc, 0x4000, v2
	s_nop 1
	v_addc_co_u32_e32 v7, vcc, 0, v3, vcc
	global_load_dword v14, v[4:5], off
	global_load_dword v15, v[4:5], off offset:2048
	global_load_dword v16, v[6:7], off
	global_load_dword v17, v[6:7], off offset:2048
	v_add_co_u32_e32 v4, vcc, 0x5000, v2
	s_nop 1
	v_addc_co_u32_e32 v5, vcc, 0, v3, vcc
	v_add_co_u32_e32 v6, vcc, 0x6000, v2
	s_nop 1
	v_addc_co_u32_e32 v7, vcc, 0, v3, vcc
	v_add_co_u32_e32 v2, vcc, 0x7000, v2
	global_load_dword v18, v[4:5], off
	global_load_dword v19, v[4:5], off offset:2048
	global_load_dword v20, v[6:7], off
	global_load_dword v23, v[6:7], off offset:2048
	v_addc_co_u32_e32 v3, vcc, 0, v3, vcc
	global_load_dword v2, v[2:3], off
	s_waitcnt vmcnt(14)
	v_cmp_ne_u32_e32 vcc, 0, v8
	s_nop 1
	v_cndmask_b32_e64 v3, 0, 1, vcc
	s_waitcnt vmcnt(13)
	v_cmp_ne_u32_e32 vcc, 0, v9
	s_nop 1
	v_cndmask_b32_e64 v4, 0, 1, vcc
	s_waitcnt vmcnt(12)
	v_cmp_ne_u32_e32 vcc, 0, v10
	ds_write_b8 v0, v3
	ds_write_b8 v0, v4 offset:512
	v_cndmask_b32_e64 v3, 0, 1, vcc
	s_waitcnt vmcnt(11)
	v_cmp_ne_u32_e32 vcc, 0, v11
	s_nop 1
	v_cndmask_b32_e64 v4, 0, 1, vcc
	s_waitcnt vmcnt(10)
	v_cmp_ne_u32_e32 vcc, 0, v12
	ds_write_b8 v0, v3 offset:1024
	ds_write_b8 v0, v4 offset:1536
	v_cndmask_b32_e64 v5, 0, 1, vcc
	s_waitcnt vmcnt(9)
	v_cmp_ne_u32_e32 vcc, 0, v13
	s_nop 1
	v_cndmask_b32_e64 v6, 0, 1, vcc
	s_waitcnt vmcnt(8)
	v_cmp_ne_u32_e32 vcc, 0, v14
	ds_write_b8 v0, v5 offset:2048
	;; [unrolled: 9-line block ×3, first 2 shown]
	ds_write_b8 v0, v4 offset:3584
	v_cndmask_b32_e64 v5, 0, 1, vcc
	s_waitcnt vmcnt(5)
	v_cmp_ne_u32_e32 vcc, 0, v17
	ds_write_b8 v0, v5 offset:4096
	s_nop 0
	v_cndmask_b32_e64 v6, 0, 1, vcc
	s_waitcnt vmcnt(4)
	v_cmp_ne_u32_e32 vcc, 0, v18
	s_nop 1
	v_cndmask_b32_e64 v3, 0, 1, vcc
	s_waitcnt vmcnt(3)
	v_cmp_ne_u32_e32 vcc, 0, v19
	;; [unrolled: 4-line block ×5, first 2 shown]
	s_nop 1
	v_cndmask_b32_e64 v2, 0, 1, vcc
	ds_write_b8 v0, v6 offset:4608
	ds_write_b8 v0, v3 offset:5120
	;; [unrolled: 1-line block ×6, first 2 shown]
	s_waitcnt lgkmcnt(0)
	s_barrier
.LBB514_36:
	s_load_dwordx2 s[36:37], s[0:1], 0x70
	s_andn2_b64 vcc, exec, s[6:7]
	s_cbranch_vccnz .LBB514_68
; %bb.37:
	v_cmp_gt_u32_e32 vcc, s33, v0
	v_mov_b32_e32 v2, 0
	v_mov_b32_e32 v3, 0
	s_and_saveexec_b64 s[6:7], vcc
	s_cbranch_execz .LBB514_39
; %bb.38:
	global_load_dword v3, v22, s[4:5]
	s_waitcnt vmcnt(0)
	v_cmp_ne_u32_e32 vcc, 0, v3
	s_nop 1
	v_cndmask_b32_e64 v3, 0, 1, vcc
.LBB514_39:
	s_or_b64 exec, exec, s[6:7]
	v_or_b32_e32 v4, 0x200, v0
	v_cmp_gt_u32_e32 vcc, s33, v4
	s_and_saveexec_b64 s[6:7], vcc
	s_cbranch_execz .LBB514_41
; %bb.40:
	global_load_dword v2, v22, s[4:5] offset:2048
	s_waitcnt vmcnt(0)
	v_cmp_ne_u32_e32 vcc, 0, v2
	s_nop 1
	v_cndmask_b32_e64 v2, 0, 1, vcc
.LBB514_41:
	s_or_b64 exec, exec, s[6:7]
	v_or_b32_e32 v6, 0x400, v0
	v_cmp_gt_u32_e32 vcc, s33, v6
	v_mov_b32_e32 v4, 0
	v_mov_b32_e32 v5, 0
	s_and_saveexec_b64 s[6:7], vcc
	s_cbranch_execz .LBB514_43
; %bb.42:
	v_lshlrev_b32_e32 v5, 2, v6
	global_load_dword v5, v5, s[4:5]
	s_waitcnt vmcnt(0)
	v_cmp_ne_u32_e32 vcc, 0, v5
	s_nop 1
	v_cndmask_b32_e64 v5, 0, 1, vcc
.LBB514_43:
	s_or_b64 exec, exec, s[6:7]
	v_or_b32_e32 v6, 0x600, v0
	v_cmp_gt_u32_e32 vcc, s33, v6
	s_and_saveexec_b64 s[6:7], vcc
	s_cbranch_execz .LBB514_45
; %bb.44:
	v_lshlrev_b32_e32 v4, 2, v6
	global_load_dword v4, v4, s[4:5]
	s_waitcnt vmcnt(0)
	v_cmp_ne_u32_e32 vcc, 0, v4
	s_nop 1
	v_cndmask_b32_e64 v4, 0, 1, vcc
.LBB514_45:
	s_or_b64 exec, exec, s[6:7]
	v_or_b32_e32 v8, 0x800, v0
	v_cmp_gt_u32_e32 vcc, s33, v8
	v_mov_b32_e32 v6, 0
	v_mov_b32_e32 v7, 0
	s_and_saveexec_b64 s[6:7], vcc
	s_cbranch_execz .LBB514_47
; %bb.46:
	v_lshlrev_b32_e32 v7, 2, v8
	global_load_dword v7, v7, s[4:5]
	s_waitcnt vmcnt(0)
	v_cmp_ne_u32_e32 vcc, 0, v7
	s_nop 1
	v_cndmask_b32_e64 v7, 0, 1, vcc
.LBB514_47:
	s_or_b64 exec, exec, s[6:7]
	v_or_b32_e32 v8, 0xa00, v0
	v_cmp_gt_u32_e32 vcc, s33, v8
	s_and_saveexec_b64 s[6:7], vcc
	s_cbranch_execz .LBB514_49
; %bb.48:
	v_lshlrev_b32_e32 v6, 2, v8
	global_load_dword v6, v6, s[4:5]
	s_waitcnt vmcnt(0)
	v_cmp_ne_u32_e32 vcc, 0, v6
	s_nop 1
	v_cndmask_b32_e64 v6, 0, 1, vcc
.LBB514_49:
	;; [unrolled: 28-line block ×6, first 2 shown]
	s_or_b64 exec, exec, s[6:7]
	v_or_b32_e32 v17, 0x1c00, v0
	v_cmp_gt_u32_e32 vcc, s33, v17
	v_mov_b32_e32 v16, 0
	s_and_saveexec_b64 s[6:7], vcc
	s_cbranch_execz .LBB514_67
; %bb.66:
	v_lshlrev_b32_e32 v16, 2, v17
	global_load_dword v16, v16, s[4:5]
	s_waitcnt vmcnt(0)
	v_cmp_ne_u32_e32 vcc, 0, v16
	s_nop 1
	v_cndmask_b32_e64 v16, 0, 1, vcc
.LBB514_67:
	s_or_b64 exec, exec, s[6:7]
	ds_write_b8 v0, v3
	ds_write_b8 v0, v2 offset:512
	ds_write_b8 v0, v5 offset:1024
	;; [unrolled: 1-line block ×14, first 2 shown]
	s_waitcnt lgkmcnt(0)
	s_barrier
.LBB514_68:
	s_waitcnt lgkmcnt(0)
	ds_read_b96 v[18:20], v21
	ds_read_u8 v2, v21 offset:12
	ds_read_u8 v3, v21 offset:13
	;; [unrolled: 1-line block ×3, first 2 shown]
	s_cmp_lg_u32 s2, 0
	v_lshrrev_b32_e32 v56, 6, v0
	s_waitcnt lgkmcnt(2)
	v_and_b32_e32 v42, 1, v2
	v_and_b32_e32 v51, 0xff, v18
	v_bfe_u32 v53, v18, 8, 8
	v_bfe_u32 v54, v18, 16, 8
	v_lshrrev_b32_e32 v44, 24, v18
	v_and_b32_e32 v48, 0xff, v19
	v_add3_u32 v2, v53, v51, v54
	v_bfe_u32 v49, v19, 8, 8
	v_bfe_u32 v50, v19, 16, 8
	v_add3_u32 v2, v2, v44, v48
	v_lshrrev_b32_e32 v43, 24, v19
	v_and_b32_e32 v45, 0xff, v20
	v_add3_u32 v2, v2, v49, v50
	v_bfe_u32 v46, v20, 8, 8
	v_bfe_u32 v47, v20, 16, 8
	v_add3_u32 v2, v2, v43, v45
	v_lshrrev_b32_e32 v41, 24, v20
	v_add3_u32 v2, v2, v46, v47
	s_waitcnt lgkmcnt(1)
	v_and_b32_e32 v40, 1, v3
	s_waitcnt lgkmcnt(0)
	v_and_b32_e32 v23, 1, v4
	v_add3_u32 v2, v2, v41, v42
	v_add3_u32 v57, v2, v40, v23
	v_mbcnt_lo_u32_b32 v2, -1, 0
	v_mbcnt_hi_u32_b32 v55, -1, v2
	v_and_b32_e32 v2, 15, v55
	v_cmp_eq_u32_e64 s[14:15], 0, v2
	v_cmp_lt_u32_e64 s[12:13], 1, v2
	v_cmp_lt_u32_e64 s[10:11], 3, v2
	v_cmp_lt_u32_e64 s[8:9], 7, v2
	v_and_b32_e32 v2, 16, v55
	v_cmp_eq_u32_e64 s[6:7], 0, v2
	v_or_b32_e32 v2, 63, v0
	v_cmp_lt_u32_e64 s[18:19], 31, v55
	v_cmp_eq_u32_e64 s[4:5], v2, v0
	s_barrier
	s_cbranch_scc0 .LBB514_95
; %bb.69:
	v_mov_b32_dpp v2, v57 row_shr:1 row_mask:0xf bank_mask:0xf
	v_cndmask_b32_e64 v2, v2, 0, s[14:15]
	v_add_u32_e32 v2, v2, v57
	s_nop 1
	v_mov_b32_dpp v3, v2 row_shr:2 row_mask:0xf bank_mask:0xf
	v_cndmask_b32_e64 v3, 0, v3, s[12:13]
	v_add_u32_e32 v2, v2, v3
	s_nop 1
	;; [unrolled: 4-line block ×4, first 2 shown]
	v_mov_b32_dpp v3, v2 row_bcast:15 row_mask:0xf bank_mask:0xf
	v_cndmask_b32_e64 v3, v3, 0, s[6:7]
	v_add_u32_e32 v2, v2, v3
	s_nop 1
	v_mov_b32_dpp v3, v2 row_bcast:31 row_mask:0xf bank_mask:0xf
	v_cndmask_b32_e64 v3, 0, v3, s[18:19]
	v_add_u32_e32 v2, v2, v3
	s_and_saveexec_b64 s[16:17], s[4:5]
	s_cbranch_execz .LBB514_71
; %bb.70:
	v_lshlrev_b32_e32 v3, 2, v56
	ds_write_b32 v3, v2
.LBB514_71:
	s_or_b64 exec, exec, s[16:17]
	v_cmp_gt_u32_e32 vcc, 8, v0
	s_waitcnt lgkmcnt(0)
	s_barrier
	s_and_saveexec_b64 s[16:17], vcc
	s_cbranch_execz .LBB514_73
; %bb.72:
	ds_read_b32 v3, v22
	v_and_b32_e32 v4, 7, v55
	v_cmp_ne_u32_e32 vcc, 0, v4
	s_waitcnt lgkmcnt(0)
	v_mov_b32_dpp v5, v3 row_shr:1 row_mask:0xf bank_mask:0xf
	v_cndmask_b32_e32 v5, 0, v5, vcc
	v_add_u32_e32 v3, v5, v3
	v_cmp_lt_u32_e32 vcc, 1, v4
	s_nop 0
	v_mov_b32_dpp v5, v3 row_shr:2 row_mask:0xf bank_mask:0xf
	v_cndmask_b32_e32 v5, 0, v5, vcc
	v_add_u32_e32 v3, v3, v5
	v_cmp_lt_u32_e32 vcc, 3, v4
	s_nop 0
	v_mov_b32_dpp v5, v3 row_shr:4 row_mask:0xf bank_mask:0xf
	v_cndmask_b32_e32 v4, 0, v5, vcc
	v_add_u32_e32 v3, v3, v4
	ds_write_b32 v22, v3
.LBB514_73:
	s_or_b64 exec, exec, s[16:17]
	v_cmp_gt_u32_e32 vcc, 64, v0
	v_cmp_lt_u32_e64 s[16:17], 63, v0
	s_waitcnt lgkmcnt(0)
	s_barrier
	s_waitcnt lgkmcnt(0)
                                        ; implicit-def: $vgpr12
	s_and_saveexec_b64 s[38:39], s[16:17]
	s_cbranch_execz .LBB514_75
; %bb.74:
	v_lshl_add_u32 v3, v56, 2, -4
	ds_read_b32 v12, v3
	s_waitcnt lgkmcnt(0)
	v_add_u32_e32 v2, v12, v2
.LBB514_75:
	s_or_b64 exec, exec, s[38:39]
	v_add_u32_e32 v3, -1, v55
	v_and_b32_e32 v4, 64, v55
	v_cmp_lt_i32_e64 s[16:17], v3, v4
	s_nop 1
	v_cndmask_b32_e64 v3, v3, v55, s[16:17]
	v_lshlrev_b32_e32 v3, 2, v3
	ds_bpermute_b32 v13, v3, v2
	v_cmp_eq_u32_e64 s[16:17], 0, v55
	s_and_saveexec_b64 s[38:39], vcc
	s_cbranch_execz .LBB514_94
; %bb.76:
	v_mov_b32_e32 v9, 0
	ds_read_b32 v2, v9 offset:28
	s_and_saveexec_b64 s[40:41], s[16:17]
	s_cbranch_execz .LBB514_78
; %bb.77:
	s_add_i32 s42, s2, 64
	s_mov_b32 s43, 0
	s_lshl_b64 s[42:43], s[42:43], 3
	s_add_u32 s42, s36, s42
	v_mov_b32_e32 v3, 1
	s_addc_u32 s43, s37, s43
	s_waitcnt lgkmcnt(0)
	global_store_dwordx2 v9, v[2:3], s[42:43] sc1
.LBB514_78:
	s_or_b64 exec, exec, s[40:41]
	v_xad_u32 v4, v55, -1, s2
	v_add_u32_e32 v8, 64, v4
	v_lshl_add_u64 v[10:11], v[8:9], 3, s[36:37]
	global_load_dwordx2 v[6:7], v[10:11], off sc1
	s_waitcnt vmcnt(0)
	v_cmp_eq_u16_sdwa s[42:43], v7, v9 src0_sel:BYTE_0 src1_sel:DWORD
	s_and_saveexec_b64 s[40:41], s[42:43]
	s_cbranch_execz .LBB514_82
; %bb.79:
	s_mov_b64 s[42:43], 0
	v_mov_b32_e32 v3, 0
.LBB514_80:                             ; =>This Inner Loop Header: Depth=1
	global_load_dwordx2 v[6:7], v[10:11], off sc1
	s_waitcnt vmcnt(0)
	v_cmp_ne_u16_sdwa s[44:45], v7, v3 src0_sel:BYTE_0 src1_sel:DWORD
	s_or_b64 s[42:43], s[44:45], s[42:43]
	s_andn2_b64 exec, exec, s[42:43]
	s_cbranch_execnz .LBB514_80
; %bb.81:
	s_or_b64 exec, exec, s[42:43]
.LBB514_82:
	s_or_b64 exec, exec, s[40:41]
	v_and_b32_e32 v15, 63, v55
	v_mov_b32_e32 v14, 2
	v_cmp_ne_u32_e32 vcc, 63, v15
	v_cmp_eq_u16_sdwa s[40:41], v7, v14 src0_sel:BYTE_0 src1_sel:DWORD
	v_lshlrev_b64 v[8:9], v55, -1
	v_addc_co_u32_e32 v10, vcc, 0, v55, vcc
	v_and_b32_e32 v3, s41, v9
	v_lshlrev_b32_e32 v16, 2, v10
	v_or_b32_e32 v3, 0x80000000, v3
	ds_bpermute_b32 v10, v16, v6
	v_and_b32_e32 v5, s40, v8
	v_ffbl_b32_e32 v3, v3
	v_add_u32_e32 v3, 32, v3
	v_ffbl_b32_e32 v5, v5
	v_min_u32_e32 v3, v5, v3
	v_cmp_lt_u32_e32 vcc, v15, v3
	v_add_u32_e32 v24, 2, v15
	v_add_u32_e32 v52, 4, v15
	s_waitcnt lgkmcnt(0)
	v_cndmask_b32_e32 v5, 0, v10, vcc
	v_cmp_gt_u32_e32 vcc, 62, v15
	v_add_u32_e32 v5, v5, v6
	v_add_u32_e32 v59, 8, v15
	v_cndmask_b32_e64 v6, 0, 1, vcc
	v_lshlrev_b32_e32 v6, 1, v6
	v_add_lshl_u32 v17, v6, v55, 2
	ds_bpermute_b32 v6, v17, v5
	v_cmp_le_u32_e32 vcc, v24, v3
	v_add_u32_e32 v61, 16, v15
	v_add_u32_e32 v63, 32, v15
	s_waitcnt lgkmcnt(0)
	v_cndmask_b32_e32 v6, 0, v6, vcc
	v_cmp_gt_u32_e32 vcc, 60, v15
	v_add_u32_e32 v5, v5, v6
	s_nop 0
	v_cndmask_b32_e64 v6, 0, 1, vcc
	v_lshlrev_b32_e32 v6, 2, v6
	v_add_lshl_u32 v25, v6, v55, 2
	ds_bpermute_b32 v6, v25, v5
	v_cmp_le_u32_e32 vcc, v52, v3
	s_waitcnt lgkmcnt(0)
	s_nop 0
	v_cndmask_b32_e32 v6, 0, v6, vcc
	v_cmp_gt_u32_e32 vcc, 56, v15
	v_add_u32_e32 v5, v5, v6
	s_nop 0
	v_cndmask_b32_e64 v6, 0, 1, vcc
	v_lshlrev_b32_e32 v6, 3, v6
	v_add_lshl_u32 v58, v6, v55, 2
	ds_bpermute_b32 v6, v58, v5
	v_cmp_le_u32_e32 vcc, v59, v3
	s_waitcnt lgkmcnt(0)
	s_nop 0
	;; [unrolled: 11-line block ×4, first 2 shown]
	v_cndmask_b32_e32 v3, 0, v6, vcc
	v_add_u32_e32 v6, v5, v3
	v_mov_b32_e32 v5, 0
	s_branch .LBB514_84
.LBB514_83:                             ;   in Loop: Header=BB514_84 Depth=1
	s_or_b64 exec, exec, s[40:41]
	v_cmp_eq_u16_sdwa s[40:41], v7, v14 src0_sel:BYTE_0 src1_sel:DWORD
	ds_bpermute_b32 v64, v16, v6
	v_subrev_u32_e32 v4, 64, v4
	v_and_b32_e32 v10, s41, v9
	v_or_b32_e32 v10, 0x80000000, v10
	v_and_b32_e32 v11, s40, v8
	v_ffbl_b32_e32 v10, v10
	v_add_u32_e32 v10, 32, v10
	v_ffbl_b32_e32 v11, v11
	v_min_u32_e32 v10, v11, v10
	v_cmp_lt_u32_e32 vcc, v15, v10
	s_waitcnt lgkmcnt(0)
	s_nop 0
	v_cndmask_b32_e32 v11, 0, v64, vcc
	v_add_u32_e32 v6, v11, v6
	ds_bpermute_b32 v11, v17, v6
	v_cmp_le_u32_e32 vcc, v24, v10
	s_waitcnt lgkmcnt(0)
	s_nop 0
	v_cndmask_b32_e32 v11, 0, v11, vcc
	v_add_u32_e32 v6, v6, v11
	ds_bpermute_b32 v11, v25, v6
	v_cmp_le_u32_e32 vcc, v52, v10
	;; [unrolled: 6-line block ×5, first 2 shown]
	s_waitcnt lgkmcnt(0)
	s_nop 0
	v_cndmask_b32_e32 v10, 0, v11, vcc
	v_add3_u32 v6, v10, v3, v6
.LBB514_84:                             ; =>This Loop Header: Depth=1
                                        ;     Child Loop BB514_87 Depth 2
	v_cmp_ne_u16_sdwa s[40:41], v7, v14 src0_sel:BYTE_0 src1_sel:DWORD
	s_nop 1
	v_cndmask_b32_e64 v3, 0, 1, s[40:41]
	;;#ASMSTART
	;;#ASMEND
	s_nop 0
	v_cmp_ne_u32_e32 vcc, 0, v3
	s_cmp_lg_u64 vcc, exec
	v_mov_b32_e32 v3, v6
	s_cbranch_scc1 .LBB514_89
; %bb.85:                               ;   in Loop: Header=BB514_84 Depth=1
	v_lshl_add_u64 v[10:11], v[4:5], 3, s[36:37]
	global_load_dwordx2 v[6:7], v[10:11], off sc1
	s_waitcnt vmcnt(0)
	v_cmp_eq_u16_sdwa s[42:43], v7, v5 src0_sel:BYTE_0 src1_sel:DWORD
	s_and_saveexec_b64 s[40:41], s[42:43]
	s_cbranch_execz .LBB514_83
; %bb.86:                               ;   in Loop: Header=BB514_84 Depth=1
	s_mov_b64 s[42:43], 0
.LBB514_87:                             ;   Parent Loop BB514_84 Depth=1
                                        ; =>  This Inner Loop Header: Depth=2
	global_load_dwordx2 v[6:7], v[10:11], off sc1
	s_waitcnt vmcnt(0)
	v_cmp_ne_u16_sdwa s[44:45], v7, v5 src0_sel:BYTE_0 src1_sel:DWORD
	s_or_b64 s[42:43], s[44:45], s[42:43]
	s_andn2_b64 exec, exec, s[42:43]
	s_cbranch_execnz .LBB514_87
; %bb.88:                               ;   in Loop: Header=BB514_84 Depth=1
	s_or_b64 exec, exec, s[42:43]
	s_branch .LBB514_83
.LBB514_89:                             ;   in Loop: Header=BB514_84 Depth=1
                                        ; implicit-def: $vgpr6
                                        ; implicit-def: $vgpr7
	s_cbranch_execz .LBB514_84
; %bb.90:
	s_and_saveexec_b64 s[40:41], s[16:17]
	s_cbranch_execz .LBB514_92
; %bb.91:
	s_add_i32 s2, s2, 64
	s_mov_b32 s3, 0
	s_lshl_b64 s[2:3], s[2:3], 3
	s_add_u32 s2, s36, s2
	v_add_u32_e32 v4, v3, v2
	v_mov_b32_e32 v5, 2
	s_addc_u32 s3, s37, s3
	v_mov_b32_e32 v6, 0
	global_store_dwordx2 v6, v[4:5], s[2:3] sc1
	ds_write_b64 v6, v[2:3] offset:30720
.LBB514_92:
	s_or_b64 exec, exec, s[40:41]
	v_cmp_eq_u32_e32 vcc, 0, v0
	s_and_b64 exec, exec, vcc
	s_cbranch_execz .LBB514_94
; %bb.93:
	v_mov_b32_e32 v2, 0
	ds_write_b32 v2, v3 offset:28
.LBB514_94:
	s_or_b64 exec, exec, s[38:39]
	v_mov_b32_e32 v14, 0
	s_waitcnt lgkmcnt(0)
	s_barrier
	ds_read_b32 v2, v14 offset:28
	v_cndmask_b32_e64 v3, v13, v12, s[16:17]
	v_cmp_ne_u32_e32 vcc, 0, v0
	s_waitcnt lgkmcnt(0)
	s_barrier
	v_cndmask_b32_e32 v3, 0, v3, vcc
	v_add_u32_e32 v2, v2, v3
	v_add_u32_e32 v3, v2, v51
	;; [unrolled: 1-line block ×10, first 2 shown]
	ds_read_b64 v[24:25], v14 offset:30720
	v_add_u32_e32 v12, v11, v46
	v_add_u32_e32 v13, v12, v47
	;; [unrolled: 1-line block ×5, first 2 shown]
	s_waitcnt lgkmcnt(0)
	v_mov_b32_e32 v52, v25
	s_load_dwordx2 s[2:3], s[0:1], 0x30
	s_branch .LBB514_105
.LBB514_95:
                                        ; implicit-def: $vgpr52
                                        ; implicit-def: $vgpr24
                                        ; implicit-def: $vgpr2_vgpr3_vgpr4_vgpr5_vgpr6_vgpr7_vgpr8_vgpr9_vgpr10_vgpr11_vgpr12_vgpr13_vgpr14_vgpr15_vgpr16_vgpr17
	s_load_dwordx2 s[2:3], s[0:1], 0x30
	s_cbranch_execz .LBB514_105
; %bb.96:
	v_mov_b32_dpp v2, v57 row_shr:1 row_mask:0xf bank_mask:0xf
	v_cndmask_b32_e64 v2, v2, 0, s[14:15]
	v_add_u32_e32 v2, v2, v57
	s_nop 1
	v_mov_b32_dpp v3, v2 row_shr:2 row_mask:0xf bank_mask:0xf
	v_cndmask_b32_e64 v3, 0, v3, s[12:13]
	v_add_u32_e32 v2, v2, v3
	s_nop 1
	;; [unrolled: 4-line block ×4, first 2 shown]
	v_mov_b32_dpp v3, v2 row_bcast:15 row_mask:0xf bank_mask:0xf
	v_cndmask_b32_e64 v3, v3, 0, s[6:7]
	v_add_u32_e32 v2, v2, v3
	s_nop 1
	v_mov_b32_dpp v3, v2 row_bcast:31 row_mask:0xf bank_mask:0xf
	v_cndmask_b32_e64 v3, 0, v3, s[18:19]
	v_add_u32_e32 v2, v2, v3
	s_and_saveexec_b64 s[0:1], s[4:5]
	s_cbranch_execz .LBB514_98
; %bb.97:
	v_lshlrev_b32_e32 v3, 2, v56
	ds_write_b32 v3, v2
.LBB514_98:
	s_or_b64 exec, exec, s[0:1]
	v_cmp_gt_u32_e32 vcc, 8, v0
	s_waitcnt lgkmcnt(0)
	s_barrier
	s_and_saveexec_b64 s[0:1], vcc
	s_cbranch_execz .LBB514_100
; %bb.99:
	v_mad_i32_i24 v3, v0, -11, v21
	ds_read_b32 v4, v3
	v_and_b32_e32 v5, 7, v55
	v_cmp_ne_u32_e32 vcc, 0, v5
	s_waitcnt lgkmcnt(0)
	v_mov_b32_dpp v6, v4 row_shr:1 row_mask:0xf bank_mask:0xf
	v_cndmask_b32_e32 v6, 0, v6, vcc
	v_add_u32_e32 v4, v6, v4
	v_cmp_lt_u32_e32 vcc, 1, v5
	s_nop 0
	v_mov_b32_dpp v6, v4 row_shr:2 row_mask:0xf bank_mask:0xf
	v_cndmask_b32_e32 v6, 0, v6, vcc
	v_add_u32_e32 v4, v4, v6
	v_cmp_lt_u32_e32 vcc, 3, v5
	s_nop 0
	v_mov_b32_dpp v6, v4 row_shr:4 row_mask:0xf bank_mask:0xf
	v_cndmask_b32_e32 v5, 0, v6, vcc
	v_add_u32_e32 v4, v4, v5
	ds_write_b32 v3, v4
.LBB514_100:
	s_or_b64 exec, exec, s[0:1]
	v_cmp_lt_u32_e32 vcc, 63, v0
	v_mov_b32_e32 v4, 0
	v_mov_b32_e32 v3, 0
	s_waitcnt lgkmcnt(0)
	s_barrier
	s_and_saveexec_b64 s[0:1], vcc
	s_cbranch_execz .LBB514_102
; %bb.101:
	v_lshl_add_u32 v3, v56, 2, -4
	ds_read_b32 v3, v3
.LBB514_102:
	s_or_b64 exec, exec, s[0:1]
	v_add_u32_e32 v5, -1, v55
	v_and_b32_e32 v6, 64, v55
	v_cmp_lt_i32_e32 vcc, v5, v6
	s_waitcnt lgkmcnt(0)
	v_add_u32_e32 v2, v3, v2
	ds_read_b32 v24, v4 offset:28
	v_cndmask_b32_e32 v5, v5, v55, vcc
	v_lshlrev_b32_e32 v5, 2, v5
	ds_bpermute_b32 v2, v5, v2
	v_cmp_eq_u32_e32 vcc, 0, v0
	s_and_saveexec_b64 s[0:1], vcc
	s_cbranch_execz .LBB514_104
; %bb.103:
	v_mov_b32_e32 v4, 0
	v_mov_b32_e32 v25, 2
	s_waitcnt lgkmcnt(1)
	global_store_dwordx2 v4, v[24:25], s[36:37] offset:512 sc1
.LBB514_104:
	s_or_b64 exec, exec, s[0:1]
	v_cmp_eq_u32_e64 s[0:1], 0, v55
	v_mov_b32_e32 v52, 0
	s_waitcnt lgkmcnt(0)
	v_cndmask_b32_e64 v2, v2, v3, s[0:1]
	v_cndmask_b32_e64 v2, v2, 0, vcc
	v_add_u32_e32 v3, v2, v51
	v_add_u32_e32 v4, v3, v53
	;; [unrolled: 1-line block ×14, first 2 shown]
	s_barrier
.LBB514_105:
	v_add_u32_e32 v21, v24, v21
	v_sub_u32_e32 v2, v2, v52
	v_and_b32_e32 v47, 1, v18
	v_sub_u32_e32 v46, v21, v2
	v_cmp_eq_u32_e32 vcc, 1, v47
	v_lshrrev_b32_e32 v45, 8, v18
	v_lshrrev_b32_e32 v25, 8, v19
	v_cndmask_b32_e32 v2, v46, v2, vcc
	v_lshlrev_b32_e32 v2, 2, v2
	ds_write_b32 v2, v38
	v_sub_u32_e32 v2, v3, v52
	v_sub_u32_e32 v3, v21, v2
	v_and_b32_e32 v38, 1, v45
	v_add_u32_e32 v3, 1, v3
	v_cmp_eq_u32_e32 vcc, 1, v38
	v_lshrrev_b32_e32 v17, 8, v20
	s_add_u32 s0, s26, s24
	v_cndmask_b32_e32 v2, v3, v2, vcc
	v_lshlrev_b32_e32 v2, 2, v2
	ds_write_b32 v2, v39
	v_sub_u32_e32 v2, v4, v52
	v_mov_b32_e32 v4, 1
	v_sub_u32_e32 v3, v21, v2
	v_and_b32_sdwa v18, v4, v18 dst_sel:DWORD dst_unused:UNUSED_PAD src0_sel:DWORD src1_sel:WORD_1
	v_add_u32_e32 v3, 2, v3
	v_cmp_eq_u32_e32 vcc, 1, v18
	s_addc_u32 s1, s27, 0
	s_sub_u32 s0, s28, s0
	v_cndmask_b32_e32 v2, v3, v2, vcc
	v_lshlrev_b32_e32 v2, 2, v2
	ds_write_b32 v2, v36
	v_sub_u32_e32 v2, v5, v52
	v_sub_u32_e32 v3, v21, v2
	v_and_b32_e32 v5, 1, v44
	v_add_u32_e32 v3, 3, v3
	v_cmp_eq_u32_e32 vcc, 1, v5
	v_and_b32_e32 v5, 1, v19
	s_subb_u32 s1, s29, s1
	v_cndmask_b32_e32 v2, v3, v2, vcc
	v_lshlrev_b32_e32 v2, 2, v2
	ds_write_b32 v2, v37
	v_sub_u32_e32 v2, v6, v52
	v_sub_u32_e32 v3, v21, v2
	v_add_u32_e32 v3, 4, v3
	v_cmp_eq_u32_e32 vcc, 1, v5
	v_and_b32_e32 v5, 1, v25
	v_or_b32_e32 v50, 0x200, v0
	v_cndmask_b32_e32 v2, v3, v2, vcc
	v_lshlrev_b32_e32 v2, 2, v2
	ds_write_b32 v2, v34
	v_sub_u32_e32 v2, v7, v52
	v_sub_u32_e32 v3, v21, v2
	v_add_u32_e32 v3, 5, v3
	v_cmp_eq_u32_e32 vcc, 1, v5
	v_and_b32_sdwa v5, v4, v19 dst_sel:DWORD dst_unused:UNUSED_PAD src0_sel:DWORD src1_sel:WORD_1
	v_and_b32_sdwa v4, v4, v20 dst_sel:DWORD dst_unused:UNUSED_PAD src0_sel:DWORD src1_sel:WORD_1
	v_cndmask_b32_e32 v2, v3, v2, vcc
	v_lshlrev_b32_e32 v2, 2, v2
	ds_write_b32 v2, v35
	v_sub_u32_e32 v2, v8, v52
	v_sub_u32_e32 v3, v21, v2
	v_add_u32_e32 v3, 6, v3
	v_cmp_eq_u32_e32 vcc, 1, v5
	v_and_b32_e32 v5, 1, v43
	v_or_b32_e32 v46, 0x400, v0
	v_cndmask_b32_e32 v2, v3, v2, vcc
	v_lshlrev_b32_e32 v2, 2, v2
	ds_write_b32 v2, v32
	v_sub_u32_e32 v2, v9, v52
	v_sub_u32_e32 v3, v21, v2
	v_add_u32_e32 v3, 7, v3
	v_cmp_eq_u32_e32 vcc, 1, v5
	v_and_b32_e32 v5, 1, v20
	v_or_b32_e32 v44, 0x600, v0
	;; [unrolled: 9-line block ×3, first 2 shown]
	v_cndmask_b32_e32 v2, v3, v2, vcc
	v_lshlrev_b32_e32 v2, 2, v2
	ds_write_b32 v2, v30
	v_sub_u32_e32 v2, v11, v52
	v_sub_u32_e32 v3, v21, v2
	v_add_u32_e32 v3, 9, v3
	v_cmp_eq_u32_e32 vcc, 1, v5
	v_or_b32_e32 v34, 0xc00, v0
	v_or_b32_e32 v32, 0xe00, v0
	v_cndmask_b32_e32 v2, v3, v2, vcc
	v_lshlrev_b32_e32 v2, 2, v2
	ds_write_b32 v2, v31
	v_sub_u32_e32 v2, v12, v52
	v_sub_u32_e32 v3, v21, v2
	v_add_u32_e32 v3, 10, v3
	v_cmp_eq_u32_e32 vcc, 1, v4
	v_and_b32_e32 v4, 1, v41
	v_or_b32_e32 v18, 0x1400, v0
	v_cndmask_b32_e32 v2, v3, v2, vcc
	v_lshlrev_b32_e32 v2, 2, v2
	ds_write_b32 v2, v28
	v_sub_u32_e32 v2, v13, v52
	v_sub_u32_e32 v3, v21, v2
	v_add_u32_e32 v3, 11, v3
	v_cmp_eq_u32_e32 vcc, 1, v4
	v_or_b32_e32 v28, 0x1000, v0
	v_or_b32_e32 v12, 0x1800, v0
	v_cndmask_b32_e32 v2, v3, v2, vcc
	v_lshlrev_b32_e32 v2, 2, v2
	ds_write_b32 v2, v29
	v_sub_u32_e32 v2, v14, v52
	v_sub_u32_e32 v3, v21, v2
	v_add_u32_e32 v3, 12, v3
	v_cmp_eq_u32_e32 vcc, 1, v42
	v_or_b32_e32 v10, 0x1a00, v0
	;; [unrolled: 9-line block ×4, first 2 shown]
	s_nop 0
	v_cndmask_b32_e32 v2, v3, v2, vcc
	v_lshlrev_b32_e32 v2, 2, v2
	ds_write_b32 v2, v1
	s_waitcnt lgkmcnt(0)
	s_barrier
	ds_read2st64_b32 v[48:49], v22 offset1:8
	ds_read2st64_b32 v[42:43], v22 offset0:16 offset1:24
	ds_read2st64_b32 v[36:37], v22 offset0:32 offset1:40
	;; [unrolled: 1-line block ×6, first 2 shown]
	ds_read_b32 v54, v22 offset:28672
	v_mov_b32_e32 v1, 0
	v_mov_b32_e32 v53, v1
	;; [unrolled: 1-line block ×3, first 2 shown]
	v_lshl_add_u64 v[2:3], s[30:31], 0, v[52:53]
	v_lshl_add_u64 v[6:7], s[0:1], 0, v[24:25]
	v_mov_b32_e32 v51, v1
	v_mov_b32_e32 v47, v1
	v_mov_b32_e32 v45, v1
	v_mov_b32_e32 v41, v1
	v_mov_b32_e32 v39, v1
	v_mov_b32_e32 v35, v1
	v_mov_b32_e32 v33, v1
	v_mov_b32_e32 v29, v1
	v_mov_b32_e32 v27, v1
	v_mov_b32_e32 v19, v1
	v_mov_b32_e32 v17, v1
	v_mov_b32_e32 v13, v1
	v_mov_b32_e32 v11, v1
	v_mov_b32_e32 v5, v1
	s_andn2_b64 vcc, exec, s[34:35]
	v_lshl_add_u64 v[6:7], v[6:7], 0, v[2:3]
	s_cbranch_vccnz .LBB514_167
; %bb.106:
	v_cmp_ge_u32_e32 vcc, v0, v24
                                        ; implicit-def: $vgpr22_vgpr23
	s_and_saveexec_b64 s[0:1], vcc
	s_xor_b64 s[0:1], exec, s[0:1]
; %bb.107:
	v_not_b32_e32 v22, v0
	v_ashrrev_i32_e32 v23, 31, v22
	v_lshl_add_u64 v[22:23], v[6:7], 0, v[22:23]
; %bb.108:
	s_andn2_saveexec_b64 s[0:1], s[0:1]
; %bb.109:
	v_lshl_add_u64 v[22:23], v[2:3], 0, v[0:1]
; %bb.110:
	s_or_b64 exec, exec, s[0:1]
	v_lshl_add_u64 v[22:23], v[22:23], 2, s[2:3]
	v_cmp_ge_u32_e32 vcc, v50, v24
	s_waitcnt lgkmcnt(7)
	global_store_dword v[22:23], v48, off
                                        ; implicit-def: $vgpr22_vgpr23
	s_and_saveexec_b64 s[0:1], vcc
	s_xor_b64 s[0:1], exec, s[0:1]
; %bb.111:
	v_xor_b32_e32 v22, 0xfffffdff, v0
	v_ashrrev_i32_e32 v23, 31, v22
	v_lshl_add_u64 v[22:23], v[6:7], 0, v[22:23]
; %bb.112:
	s_andn2_saveexec_b64 s[0:1], s[0:1]
; %bb.113:
	v_lshl_add_u64 v[22:23], v[2:3], 0, v[50:51]
; %bb.114:
	s_or_b64 exec, exec, s[0:1]
	v_lshl_add_u64 v[22:23], v[22:23], 2, s[2:3]
	v_cmp_ge_u32_e32 vcc, v46, v24
	global_store_dword v[22:23], v49, off
                                        ; implicit-def: $vgpr22_vgpr23
	s_and_saveexec_b64 s[0:1], vcc
	s_xor_b64 s[0:1], exec, s[0:1]
; %bb.115:
	v_xor_b32_e32 v22, 0xfffffbff, v0
	v_ashrrev_i32_e32 v23, 31, v22
	v_lshl_add_u64 v[22:23], v[6:7], 0, v[22:23]
; %bb.116:
	s_andn2_saveexec_b64 s[0:1], s[0:1]
; %bb.117:
	v_lshl_add_u64 v[22:23], v[2:3], 0, v[46:47]
; %bb.118:
	s_or_b64 exec, exec, s[0:1]
	v_lshl_add_u64 v[22:23], v[22:23], 2, s[2:3]
	v_cmp_ge_u32_e32 vcc, v44, v24
	s_waitcnt lgkmcnt(6)
	global_store_dword v[22:23], v42, off
                                        ; implicit-def: $vgpr22_vgpr23
	s_and_saveexec_b64 s[0:1], vcc
	s_xor_b64 s[0:1], exec, s[0:1]
; %bb.119:
	v_xor_b32_e32 v22, 0xfffff9ff, v0
	v_ashrrev_i32_e32 v23, 31, v22
	v_lshl_add_u64 v[22:23], v[6:7], 0, v[22:23]
; %bb.120:
	s_andn2_saveexec_b64 s[0:1], s[0:1]
; %bb.121:
	v_lshl_add_u64 v[22:23], v[2:3], 0, v[44:45]
; %bb.122:
	s_or_b64 exec, exec, s[0:1]
	v_lshl_add_u64 v[22:23], v[22:23], 2, s[2:3]
	v_cmp_ge_u32_e32 vcc, v40, v24
	global_store_dword v[22:23], v43, off
                                        ; implicit-def: $vgpr22_vgpr23
	s_and_saveexec_b64 s[0:1], vcc
	s_xor_b64 s[0:1], exec, s[0:1]
; %bb.123:
	v_xor_b32_e32 v22, 0xfffff7ff, v0
	;; [unrolled: 33-line block ×7, first 2 shown]
	v_ashrrev_i32_e32 v23, 31, v22
	v_lshl_add_u64 v[22:23], v[6:7], 0, v[22:23]
; %bb.164:
	s_andn2_saveexec_b64 s[0:1], s[0:1]
; %bb.165:
	v_lshl_add_u64 v[22:23], v[2:3], 0, v[4:5]
; %bb.166:
	s_or_b64 exec, exec, s[0:1]
	s_mov_b64 s[0:1], -1
	s_branch .LBB514_259
.LBB514_167:
	s_mov_b64 s[0:1], 0
                                        ; implicit-def: $vgpr22_vgpr23
	s_cbranch_execz .LBB514_259
; %bb.168:
	v_cmp_gt_u32_e32 vcc, s33, v0
	s_and_saveexec_b64 s[4:5], vcc
	s_cbranch_execz .LBB514_210
; %bb.169:
	v_cmp_ge_u32_e32 vcc, v0, v24
                                        ; implicit-def: $vgpr22_vgpr23
	s_and_saveexec_b64 s[6:7], vcc
	s_xor_b64 s[6:7], exec, s[6:7]
; %bb.170:
	v_not_b32_e32 v22, v0
	v_ashrrev_i32_e32 v23, 31, v22
	v_lshl_add_u64 v[22:23], v[6:7], 0, v[22:23]
; %bb.171:
	s_andn2_saveexec_b64 s[6:7], s[6:7]
; %bb.172:
	v_lshl_add_u64 v[22:23], v[2:3], 0, v[0:1]
; %bb.173:
	s_or_b64 exec, exec, s[6:7]
	v_lshl_add_u64 v[22:23], v[22:23], 2, s[2:3]
	s_waitcnt lgkmcnt(7)
	global_store_dword v[22:23], v48, off
	s_or_b64 exec, exec, s[4:5]
	v_cmp_gt_u32_e32 vcc, s33, v50
	s_and_saveexec_b64 s[4:5], vcc
	s_cbranch_execnz .LBB514_211
.LBB514_174:
	s_or_b64 exec, exec, s[4:5]
	v_cmp_gt_u32_e32 vcc, s33, v46
	s_and_saveexec_b64 s[4:5], vcc
	s_cbranch_execz .LBB514_216
.LBB514_175:
	v_cmp_ge_u32_e32 vcc, v46, v24
                                        ; implicit-def: $vgpr22_vgpr23
	s_and_saveexec_b64 s[6:7], vcc
	s_xor_b64 s[6:7], exec, s[6:7]
; %bb.176:
	v_xor_b32_e32 v22, 0xfffffbff, v0
	v_ashrrev_i32_e32 v23, 31, v22
	v_lshl_add_u64 v[22:23], v[6:7], 0, v[22:23]
                                        ; implicit-def: $vgpr46_vgpr47
; %bb.177:
	s_andn2_saveexec_b64 s[6:7], s[6:7]
; %bb.178:
	v_lshl_add_u64 v[22:23], v[2:3], 0, v[46:47]
; %bb.179:
	s_or_b64 exec, exec, s[6:7]
	v_lshl_add_u64 v[22:23], v[22:23], 2, s[2:3]
	s_waitcnt lgkmcnt(6)
	global_store_dword v[22:23], v42, off
	s_or_b64 exec, exec, s[4:5]
	v_cmp_gt_u32_e32 vcc, s33, v44
	s_and_saveexec_b64 s[4:5], vcc
	s_cbranch_execnz .LBB514_217
.LBB514_180:
	s_or_b64 exec, exec, s[4:5]
	v_cmp_gt_u32_e32 vcc, s33, v40
	s_and_saveexec_b64 s[4:5], vcc
	s_cbranch_execz .LBB514_222
.LBB514_181:
	v_cmp_ge_u32_e32 vcc, v40, v24
                                        ; implicit-def: $vgpr22_vgpr23
	s_and_saveexec_b64 s[6:7], vcc
	s_xor_b64 s[6:7], exec, s[6:7]
; %bb.182:
	v_xor_b32_e32 v22, 0xfffff7ff, v0
	v_ashrrev_i32_e32 v23, 31, v22
	v_lshl_add_u64 v[22:23], v[6:7], 0, v[22:23]
                                        ; implicit-def: $vgpr40_vgpr41
; %bb.183:
	s_andn2_saveexec_b64 s[6:7], s[6:7]
; %bb.184:
	v_lshl_add_u64 v[22:23], v[2:3], 0, v[40:41]
; %bb.185:
	s_or_b64 exec, exec, s[6:7]
	v_lshl_add_u64 v[22:23], v[22:23], 2, s[2:3]
	s_waitcnt lgkmcnt(5)
	global_store_dword v[22:23], v36, off
	s_or_b64 exec, exec, s[4:5]
	v_cmp_gt_u32_e32 vcc, s33, v38
	s_and_saveexec_b64 s[4:5], vcc
	s_cbranch_execnz .LBB514_223
.LBB514_186:
	s_or_b64 exec, exec, s[4:5]
	v_cmp_gt_u32_e32 vcc, s33, v34
	s_and_saveexec_b64 s[4:5], vcc
	s_cbranch_execz .LBB514_228
.LBB514_187:
	v_cmp_ge_u32_e32 vcc, v34, v24
                                        ; implicit-def: $vgpr22_vgpr23
	s_and_saveexec_b64 s[6:7], vcc
	s_xor_b64 s[6:7], exec, s[6:7]
; %bb.188:
	v_xor_b32_e32 v22, 0xfffff3ff, v0
	v_ashrrev_i32_e32 v23, 31, v22
	v_lshl_add_u64 v[22:23], v[6:7], 0, v[22:23]
                                        ; implicit-def: $vgpr34_vgpr35
; %bb.189:
	s_andn2_saveexec_b64 s[6:7], s[6:7]
; %bb.190:
	v_lshl_add_u64 v[22:23], v[2:3], 0, v[34:35]
; %bb.191:
	s_or_b64 exec, exec, s[6:7]
	v_lshl_add_u64 v[22:23], v[22:23], 2, s[2:3]
	s_waitcnt lgkmcnt(4)
	global_store_dword v[22:23], v30, off
	s_or_b64 exec, exec, s[4:5]
	v_cmp_gt_u32_e32 vcc, s33, v32
	s_and_saveexec_b64 s[4:5], vcc
	s_cbranch_execnz .LBB514_229
.LBB514_192:
	s_or_b64 exec, exec, s[4:5]
	v_cmp_gt_u32_e32 vcc, s33, v28
	s_and_saveexec_b64 s[4:5], vcc
	s_cbranch_execz .LBB514_234
.LBB514_193:
	v_cmp_ge_u32_e32 vcc, v28, v24
                                        ; implicit-def: $vgpr22_vgpr23
	s_and_saveexec_b64 s[6:7], vcc
	s_xor_b64 s[6:7], exec, s[6:7]
; %bb.194:
	v_xor_b32_e32 v22, 0xffffefff, v0
	v_ashrrev_i32_e32 v23, 31, v22
	v_lshl_add_u64 v[22:23], v[6:7], 0, v[22:23]
                                        ; implicit-def: $vgpr28_vgpr29
; %bb.195:
	s_andn2_saveexec_b64 s[6:7], s[6:7]
; %bb.196:
	v_lshl_add_u64 v[22:23], v[2:3], 0, v[28:29]
; %bb.197:
	s_or_b64 exec, exec, s[6:7]
	v_lshl_add_u64 v[22:23], v[22:23], 2, s[2:3]
	s_waitcnt lgkmcnt(3)
	global_store_dword v[22:23], v20, off
	s_or_b64 exec, exec, s[4:5]
	v_cmp_gt_u32_e32 vcc, s33, v26
	s_and_saveexec_b64 s[4:5], vcc
	s_cbranch_execnz .LBB514_235
.LBB514_198:
	s_or_b64 exec, exec, s[4:5]
	v_cmp_gt_u32_e32 vcc, s33, v18
	s_and_saveexec_b64 s[4:5], vcc
	s_cbranch_execz .LBB514_240
.LBB514_199:
	v_cmp_ge_u32_e32 vcc, v18, v24
                                        ; implicit-def: $vgpr20_vgpr21
	s_and_saveexec_b64 s[6:7], vcc
	s_xor_b64 s[6:7], exec, s[6:7]
	s_cbranch_execz .LBB514_201
; %bb.200:
	v_xor_b32_e32 v18, 0xffffebff, v0
	v_ashrrev_i32_e32 v19, 31, v18
	s_waitcnt lgkmcnt(3)
	v_lshl_add_u64 v[20:21], v[6:7], 0, v[18:19]
                                        ; implicit-def: $vgpr18_vgpr19
.LBB514_201:
	s_andn2_saveexec_b64 s[6:7], s[6:7]
	s_cbranch_execz .LBB514_203
; %bb.202:
	s_waitcnt lgkmcnt(3)
	v_lshl_add_u64 v[20:21], v[2:3], 0, v[18:19]
.LBB514_203:
	s_or_b64 exec, exec, s[6:7]
	s_waitcnt lgkmcnt(3)
	v_lshl_add_u64 v[18:19], v[20:21], 2, s[2:3]
	s_waitcnt lgkmcnt(2)
	global_store_dword v[18:19], v14, off
	s_or_b64 exec, exec, s[4:5]
	v_cmp_gt_u32_e32 vcc, s33, v16
	s_and_saveexec_b64 s[4:5], vcc
	s_cbranch_execnz .LBB514_241
.LBB514_204:
	s_or_b64 exec, exec, s[4:5]
	v_cmp_gt_u32_e32 vcc, s33, v12
	s_and_saveexec_b64 s[4:5], vcc
	s_cbranch_execz .LBB514_246
.LBB514_205:
	v_cmp_ge_u32_e32 vcc, v12, v24
                                        ; implicit-def: $vgpr14_vgpr15
	s_and_saveexec_b64 s[6:7], vcc
	s_xor_b64 s[6:7], exec, s[6:7]
	s_cbranch_execz .LBB514_207
; %bb.206:
	v_xor_b32_e32 v12, 0xffffe7ff, v0
	v_ashrrev_i32_e32 v13, 31, v12
	s_waitcnt lgkmcnt(2)
	v_lshl_add_u64 v[14:15], v[6:7], 0, v[12:13]
                                        ; implicit-def: $vgpr12_vgpr13
.LBB514_207:
	s_andn2_saveexec_b64 s[6:7], s[6:7]
	s_cbranch_execz .LBB514_209
; %bb.208:
	s_waitcnt lgkmcnt(2)
	v_lshl_add_u64 v[14:15], v[2:3], 0, v[12:13]
.LBB514_209:
	s_or_b64 exec, exec, s[6:7]
	s_waitcnt lgkmcnt(2)
	v_lshl_add_u64 v[12:13], v[14:15], 2, s[2:3]
	s_waitcnt lgkmcnt(1)
	global_store_dword v[12:13], v8, off
	s_or_b64 exec, exec, s[4:5]
	v_cmp_gt_u32_e32 vcc, s33, v10
	s_and_saveexec_b64 s[4:5], vcc
	s_cbranch_execz .LBB514_252
	s_branch .LBB514_247
.LBB514_210:
	s_or_b64 exec, exec, s[4:5]
	v_cmp_gt_u32_e32 vcc, s33, v50
	s_and_saveexec_b64 s[4:5], vcc
	s_cbranch_execz .LBB514_174
.LBB514_211:
	v_cmp_ge_u32_e32 vcc, v50, v24
                                        ; implicit-def: $vgpr22_vgpr23
	s_and_saveexec_b64 s[6:7], vcc
	s_xor_b64 s[6:7], exec, s[6:7]
; %bb.212:
	v_xor_b32_e32 v22, 0xfffffdff, v0
	v_ashrrev_i32_e32 v23, 31, v22
	v_lshl_add_u64 v[22:23], v[6:7], 0, v[22:23]
                                        ; implicit-def: $vgpr50_vgpr51
; %bb.213:
	s_andn2_saveexec_b64 s[6:7], s[6:7]
; %bb.214:
	v_lshl_add_u64 v[22:23], v[2:3], 0, v[50:51]
; %bb.215:
	s_or_b64 exec, exec, s[6:7]
	v_lshl_add_u64 v[22:23], v[22:23], 2, s[2:3]
	s_waitcnt lgkmcnt(7)
	global_store_dword v[22:23], v49, off
	s_or_b64 exec, exec, s[4:5]
	v_cmp_gt_u32_e32 vcc, s33, v46
	s_and_saveexec_b64 s[4:5], vcc
	s_cbranch_execnz .LBB514_175
.LBB514_216:
	s_or_b64 exec, exec, s[4:5]
	v_cmp_gt_u32_e32 vcc, s33, v44
	s_and_saveexec_b64 s[4:5], vcc
	s_cbranch_execz .LBB514_180
.LBB514_217:
	v_cmp_ge_u32_e32 vcc, v44, v24
                                        ; implicit-def: $vgpr22_vgpr23
	s_and_saveexec_b64 s[6:7], vcc
	s_xor_b64 s[6:7], exec, s[6:7]
; %bb.218:
	v_xor_b32_e32 v22, 0xfffff9ff, v0
	v_ashrrev_i32_e32 v23, 31, v22
	v_lshl_add_u64 v[22:23], v[6:7], 0, v[22:23]
                                        ; implicit-def: $vgpr44_vgpr45
; %bb.219:
	s_andn2_saveexec_b64 s[6:7], s[6:7]
; %bb.220:
	v_lshl_add_u64 v[22:23], v[2:3], 0, v[44:45]
; %bb.221:
	s_or_b64 exec, exec, s[6:7]
	v_lshl_add_u64 v[22:23], v[22:23], 2, s[2:3]
	s_waitcnt lgkmcnt(6)
	global_store_dword v[22:23], v43, off
	s_or_b64 exec, exec, s[4:5]
	v_cmp_gt_u32_e32 vcc, s33, v40
	s_and_saveexec_b64 s[4:5], vcc
	s_cbranch_execnz .LBB514_181
.LBB514_222:
	s_or_b64 exec, exec, s[4:5]
	v_cmp_gt_u32_e32 vcc, s33, v38
	s_and_saveexec_b64 s[4:5], vcc
	s_cbranch_execz .LBB514_186
.LBB514_223:
	v_cmp_ge_u32_e32 vcc, v38, v24
                                        ; implicit-def: $vgpr22_vgpr23
	s_and_saveexec_b64 s[6:7], vcc
	s_xor_b64 s[6:7], exec, s[6:7]
; %bb.224:
	v_xor_b32_e32 v22, 0xfffff5ff, v0
	v_ashrrev_i32_e32 v23, 31, v22
	v_lshl_add_u64 v[22:23], v[6:7], 0, v[22:23]
                                        ; implicit-def: $vgpr38_vgpr39
; %bb.225:
	s_andn2_saveexec_b64 s[6:7], s[6:7]
; %bb.226:
	v_lshl_add_u64 v[22:23], v[2:3], 0, v[38:39]
; %bb.227:
	s_or_b64 exec, exec, s[6:7]
	v_lshl_add_u64 v[22:23], v[22:23], 2, s[2:3]
	s_waitcnt lgkmcnt(5)
	global_store_dword v[22:23], v37, off
	s_or_b64 exec, exec, s[4:5]
	v_cmp_gt_u32_e32 vcc, s33, v34
	s_and_saveexec_b64 s[4:5], vcc
	s_cbranch_execnz .LBB514_187
.LBB514_228:
	s_or_b64 exec, exec, s[4:5]
	v_cmp_gt_u32_e32 vcc, s33, v32
	s_and_saveexec_b64 s[4:5], vcc
	s_cbranch_execz .LBB514_192
.LBB514_229:
	v_cmp_ge_u32_e32 vcc, v32, v24
                                        ; implicit-def: $vgpr22_vgpr23
	s_and_saveexec_b64 s[6:7], vcc
	s_xor_b64 s[6:7], exec, s[6:7]
; %bb.230:
	v_xor_b32_e32 v22, 0xfffff1ff, v0
	v_ashrrev_i32_e32 v23, 31, v22
	v_lshl_add_u64 v[22:23], v[6:7], 0, v[22:23]
                                        ; implicit-def: $vgpr32_vgpr33
; %bb.231:
	s_andn2_saveexec_b64 s[6:7], s[6:7]
; %bb.232:
	v_lshl_add_u64 v[22:23], v[2:3], 0, v[32:33]
; %bb.233:
	s_or_b64 exec, exec, s[6:7]
	v_lshl_add_u64 v[22:23], v[22:23], 2, s[2:3]
	s_waitcnt lgkmcnt(4)
	global_store_dword v[22:23], v31, off
	s_or_b64 exec, exec, s[4:5]
	v_cmp_gt_u32_e32 vcc, s33, v28
	s_and_saveexec_b64 s[4:5], vcc
	s_cbranch_execnz .LBB514_193
.LBB514_234:
	s_or_b64 exec, exec, s[4:5]
	v_cmp_gt_u32_e32 vcc, s33, v26
	s_and_saveexec_b64 s[4:5], vcc
	s_cbranch_execz .LBB514_198
.LBB514_235:
	v_cmp_ge_u32_e32 vcc, v26, v24
                                        ; implicit-def: $vgpr22_vgpr23
	s_and_saveexec_b64 s[6:7], vcc
	s_xor_b64 s[6:7], exec, s[6:7]
; %bb.236:
	v_xor_b32_e32 v22, 0xffffedff, v0
	v_ashrrev_i32_e32 v23, 31, v22
	v_lshl_add_u64 v[22:23], v[6:7], 0, v[22:23]
                                        ; implicit-def: $vgpr26_vgpr27
; %bb.237:
	s_andn2_saveexec_b64 s[6:7], s[6:7]
; %bb.238:
	v_lshl_add_u64 v[22:23], v[2:3], 0, v[26:27]
; %bb.239:
	s_or_b64 exec, exec, s[6:7]
	v_lshl_add_u64 v[22:23], v[22:23], 2, s[2:3]
	s_waitcnt lgkmcnt(3)
	global_store_dword v[22:23], v21, off
	s_or_b64 exec, exec, s[4:5]
	v_cmp_gt_u32_e32 vcc, s33, v18
	s_and_saveexec_b64 s[4:5], vcc
	s_cbranch_execnz .LBB514_199
.LBB514_240:
	s_or_b64 exec, exec, s[4:5]
	v_cmp_gt_u32_e32 vcc, s33, v16
	s_and_saveexec_b64 s[4:5], vcc
	s_cbranch_execz .LBB514_204
.LBB514_241:
	v_cmp_ge_u32_e32 vcc, v16, v24
                                        ; implicit-def: $vgpr18_vgpr19
	s_and_saveexec_b64 s[6:7], vcc
	s_xor_b64 s[6:7], exec, s[6:7]
; %bb.242:
	v_xor_b32_e32 v16, 0xffffe9ff, v0
	v_ashrrev_i32_e32 v17, 31, v16
	v_lshl_add_u64 v[18:19], v[6:7], 0, v[16:17]
                                        ; implicit-def: $vgpr16_vgpr17
; %bb.243:
	s_andn2_saveexec_b64 s[6:7], s[6:7]
; %bb.244:
	v_lshl_add_u64 v[18:19], v[2:3], 0, v[16:17]
; %bb.245:
	s_or_b64 exec, exec, s[6:7]
	v_lshl_add_u64 v[16:17], v[18:19], 2, s[2:3]
	s_waitcnt lgkmcnt(2)
	global_store_dword v[16:17], v15, off
	s_or_b64 exec, exec, s[4:5]
	v_cmp_gt_u32_e32 vcc, s33, v12
	s_and_saveexec_b64 s[4:5], vcc
	s_cbranch_execnz .LBB514_205
.LBB514_246:
	s_or_b64 exec, exec, s[4:5]
	v_cmp_gt_u32_e32 vcc, s33, v10
	s_and_saveexec_b64 s[4:5], vcc
	s_cbranch_execz .LBB514_252
.LBB514_247:
	v_cmp_ge_u32_e32 vcc, v10, v24
                                        ; implicit-def: $vgpr12_vgpr13
	s_and_saveexec_b64 s[6:7], vcc
	s_xor_b64 s[6:7], exec, s[6:7]
; %bb.248:
	v_xor_b32_e32 v10, 0xffffe5ff, v0
	v_ashrrev_i32_e32 v11, 31, v10
	v_lshl_add_u64 v[12:13], v[6:7], 0, v[10:11]
                                        ; implicit-def: $vgpr10_vgpr11
; %bb.249:
	s_andn2_saveexec_b64 s[6:7], s[6:7]
; %bb.250:
	v_lshl_add_u64 v[12:13], v[2:3], 0, v[10:11]
; %bb.251:
	s_or_b64 exec, exec, s[6:7]
	v_lshl_add_u64 v[10:11], v[12:13], 2, s[2:3]
	s_waitcnt lgkmcnt(1)
	global_store_dword v[10:11], v9, off
.LBB514_252:
	s_or_b64 exec, exec, s[4:5]
	v_cmp_gt_u32_e32 vcc, s33, v4
                                        ; implicit-def: $vgpr22_vgpr23
	s_and_saveexec_b64 s[4:5], vcc
	s_cbranch_execz .LBB514_258
; %bb.253:
	v_cmp_ge_u32_e32 vcc, v4, v24
                                        ; implicit-def: $vgpr22_vgpr23
	s_and_saveexec_b64 s[6:7], vcc
	s_xor_b64 s[6:7], exec, s[6:7]
; %bb.254:
	v_xor_b32_e32 v4, 0xffffe3ff, v0
	v_ashrrev_i32_e32 v5, 31, v4
	v_lshl_add_u64 v[22:23], v[6:7], 0, v[4:5]
                                        ; implicit-def: $vgpr4_vgpr5
; %bb.255:
	s_andn2_saveexec_b64 s[6:7], s[6:7]
; %bb.256:
	v_lshl_add_u64 v[22:23], v[2:3], 0, v[4:5]
; %bb.257:
	s_or_b64 exec, exec, s[6:7]
	s_or_b64 s[0:1], s[0:1], exec
.LBB514_258:
	s_or_b64 exec, exec, s[4:5]
.LBB514_259:
	s_and_saveexec_b64 s[4:5], s[0:1]
	s_cbranch_execz .LBB514_261
; %bb.260:
	v_lshl_add_u64 v[4:5], v[22:23], 2, s[2:3]
	s_waitcnt lgkmcnt(0)
	global_store_dword v[4:5], v54, off
.LBB514_261:
	s_or_b64 exec, exec, s[4:5]
	v_cmp_eq_u32_e32 vcc, 0, v0
	s_and_b64 s[0:1], vcc, s[22:23]
	s_and_saveexec_b64 s[2:3], s[0:1]
	s_cbranch_execz .LBB514_263
; %bb.262:
	v_mov_b32_e32 v4, 0
	v_lshl_add_u64 v[0:1], v[2:3], 0, v[24:25]
	global_store_dwordx2 v4, v[0:1], s[20:21]
.LBB514_263:
	s_endpgm
	.section	.rodata,"a",@progbits
	.p2align	6, 0x0
	.amdhsa_kernel _ZN7rocprim17ROCPRIM_400000_NS6detail17trampoline_kernelINS0_14default_configENS1_25partition_config_selectorILNS1_17partition_subalgoE2EiNS0_10empty_typeEbEEZZNS1_14partition_implILS5_2ELb0ES3_jN6thrust23THRUST_200600_302600_NS6detail15normal_iteratorINSA_7pointerIiNSA_11hip_rocprim3tagENSA_11use_defaultESG_EEEEPS6_NSA_18transform_iteratorINSA_8identityIiEENSC_INSA_10device_ptrIiEEEESG_SG_EENS0_5tupleIJPiSJ_EEENSR_IJSJ_SJ_EEES6_PlJS6_EEE10hipError_tPvRmT3_T4_T5_T6_T7_T9_mT8_P12ihipStream_tbDpT10_ENKUlT_T0_E_clISt17integral_constantIbLb0EES1F_EEDaS1A_S1B_EUlS1A_E_NS1_11comp_targetILNS1_3genE5ELNS1_11target_archE942ELNS1_3gpuE9ELNS1_3repE0EEENS1_30default_config_static_selectorELNS0_4arch9wavefront6targetE1EEEvT1_
		.amdhsa_group_segment_fixed_size 30728
		.amdhsa_private_segment_fixed_size 0
		.amdhsa_kernarg_size 128
		.amdhsa_user_sgpr_count 2
		.amdhsa_user_sgpr_dispatch_ptr 0
		.amdhsa_user_sgpr_queue_ptr 0
		.amdhsa_user_sgpr_kernarg_segment_ptr 1
		.amdhsa_user_sgpr_dispatch_id 0
		.amdhsa_user_sgpr_kernarg_preload_length 0
		.amdhsa_user_sgpr_kernarg_preload_offset 0
		.amdhsa_user_sgpr_private_segment_size 0
		.amdhsa_uses_dynamic_stack 0
		.amdhsa_enable_private_segment 0
		.amdhsa_system_sgpr_workgroup_id_x 1
		.amdhsa_system_sgpr_workgroup_id_y 0
		.amdhsa_system_sgpr_workgroup_id_z 0
		.amdhsa_system_sgpr_workgroup_info 0
		.amdhsa_system_vgpr_workitem_id 0
		.amdhsa_next_free_vgpr 65
		.amdhsa_next_free_sgpr 46
		.amdhsa_accum_offset 68
		.amdhsa_reserve_vcc 1
		.amdhsa_float_round_mode_32 0
		.amdhsa_float_round_mode_16_64 0
		.amdhsa_float_denorm_mode_32 3
		.amdhsa_float_denorm_mode_16_64 3
		.amdhsa_dx10_clamp 1
		.amdhsa_ieee_mode 1
		.amdhsa_fp16_overflow 0
		.amdhsa_tg_split 0
		.amdhsa_exception_fp_ieee_invalid_op 0
		.amdhsa_exception_fp_denorm_src 0
		.amdhsa_exception_fp_ieee_div_zero 0
		.amdhsa_exception_fp_ieee_overflow 0
		.amdhsa_exception_fp_ieee_underflow 0
		.amdhsa_exception_fp_ieee_inexact 0
		.amdhsa_exception_int_div_zero 0
	.end_amdhsa_kernel
	.section	.text._ZN7rocprim17ROCPRIM_400000_NS6detail17trampoline_kernelINS0_14default_configENS1_25partition_config_selectorILNS1_17partition_subalgoE2EiNS0_10empty_typeEbEEZZNS1_14partition_implILS5_2ELb0ES3_jN6thrust23THRUST_200600_302600_NS6detail15normal_iteratorINSA_7pointerIiNSA_11hip_rocprim3tagENSA_11use_defaultESG_EEEEPS6_NSA_18transform_iteratorINSA_8identityIiEENSC_INSA_10device_ptrIiEEEESG_SG_EENS0_5tupleIJPiSJ_EEENSR_IJSJ_SJ_EEES6_PlJS6_EEE10hipError_tPvRmT3_T4_T5_T6_T7_T9_mT8_P12ihipStream_tbDpT10_ENKUlT_T0_E_clISt17integral_constantIbLb0EES1F_EEDaS1A_S1B_EUlS1A_E_NS1_11comp_targetILNS1_3genE5ELNS1_11target_archE942ELNS1_3gpuE9ELNS1_3repE0EEENS1_30default_config_static_selectorELNS0_4arch9wavefront6targetE1EEEvT1_,"axG",@progbits,_ZN7rocprim17ROCPRIM_400000_NS6detail17trampoline_kernelINS0_14default_configENS1_25partition_config_selectorILNS1_17partition_subalgoE2EiNS0_10empty_typeEbEEZZNS1_14partition_implILS5_2ELb0ES3_jN6thrust23THRUST_200600_302600_NS6detail15normal_iteratorINSA_7pointerIiNSA_11hip_rocprim3tagENSA_11use_defaultESG_EEEEPS6_NSA_18transform_iteratorINSA_8identityIiEENSC_INSA_10device_ptrIiEEEESG_SG_EENS0_5tupleIJPiSJ_EEENSR_IJSJ_SJ_EEES6_PlJS6_EEE10hipError_tPvRmT3_T4_T5_T6_T7_T9_mT8_P12ihipStream_tbDpT10_ENKUlT_T0_E_clISt17integral_constantIbLb0EES1F_EEDaS1A_S1B_EUlS1A_E_NS1_11comp_targetILNS1_3genE5ELNS1_11target_archE942ELNS1_3gpuE9ELNS1_3repE0EEENS1_30default_config_static_selectorELNS0_4arch9wavefront6targetE1EEEvT1_,comdat
.Lfunc_end514:
	.size	_ZN7rocprim17ROCPRIM_400000_NS6detail17trampoline_kernelINS0_14default_configENS1_25partition_config_selectorILNS1_17partition_subalgoE2EiNS0_10empty_typeEbEEZZNS1_14partition_implILS5_2ELb0ES3_jN6thrust23THRUST_200600_302600_NS6detail15normal_iteratorINSA_7pointerIiNSA_11hip_rocprim3tagENSA_11use_defaultESG_EEEEPS6_NSA_18transform_iteratorINSA_8identityIiEENSC_INSA_10device_ptrIiEEEESG_SG_EENS0_5tupleIJPiSJ_EEENSR_IJSJ_SJ_EEES6_PlJS6_EEE10hipError_tPvRmT3_T4_T5_T6_T7_T9_mT8_P12ihipStream_tbDpT10_ENKUlT_T0_E_clISt17integral_constantIbLb0EES1F_EEDaS1A_S1B_EUlS1A_E_NS1_11comp_targetILNS1_3genE5ELNS1_11target_archE942ELNS1_3gpuE9ELNS1_3repE0EEENS1_30default_config_static_selectorELNS0_4arch9wavefront6targetE1EEEvT1_, .Lfunc_end514-_ZN7rocprim17ROCPRIM_400000_NS6detail17trampoline_kernelINS0_14default_configENS1_25partition_config_selectorILNS1_17partition_subalgoE2EiNS0_10empty_typeEbEEZZNS1_14partition_implILS5_2ELb0ES3_jN6thrust23THRUST_200600_302600_NS6detail15normal_iteratorINSA_7pointerIiNSA_11hip_rocprim3tagENSA_11use_defaultESG_EEEEPS6_NSA_18transform_iteratorINSA_8identityIiEENSC_INSA_10device_ptrIiEEEESG_SG_EENS0_5tupleIJPiSJ_EEENSR_IJSJ_SJ_EEES6_PlJS6_EEE10hipError_tPvRmT3_T4_T5_T6_T7_T9_mT8_P12ihipStream_tbDpT10_ENKUlT_T0_E_clISt17integral_constantIbLb0EES1F_EEDaS1A_S1B_EUlS1A_E_NS1_11comp_targetILNS1_3genE5ELNS1_11target_archE942ELNS1_3gpuE9ELNS1_3repE0EEENS1_30default_config_static_selectorELNS0_4arch9wavefront6targetE1EEEvT1_
                                        ; -- End function
	.section	.AMDGPU.csdata,"",@progbits
; Kernel info:
; codeLenInByte = 8804
; NumSgprs: 52
; NumVgprs: 65
; NumAgprs: 0
; TotalNumVgprs: 65
; ScratchSize: 0
; MemoryBound: 0
; FloatMode: 240
; IeeeMode: 1
; LDSByteSize: 30728 bytes/workgroup (compile time only)
; SGPRBlocks: 6
; VGPRBlocks: 8
; NumSGPRsForWavesPerEU: 52
; NumVGPRsForWavesPerEU: 65
; AccumOffset: 68
; Occupancy: 4
; WaveLimiterHint : 1
; COMPUTE_PGM_RSRC2:SCRATCH_EN: 0
; COMPUTE_PGM_RSRC2:USER_SGPR: 2
; COMPUTE_PGM_RSRC2:TRAP_HANDLER: 0
; COMPUTE_PGM_RSRC2:TGID_X_EN: 1
; COMPUTE_PGM_RSRC2:TGID_Y_EN: 0
; COMPUTE_PGM_RSRC2:TGID_Z_EN: 0
; COMPUTE_PGM_RSRC2:TIDIG_COMP_CNT: 0
; COMPUTE_PGM_RSRC3_GFX90A:ACCUM_OFFSET: 16
; COMPUTE_PGM_RSRC3_GFX90A:TG_SPLIT: 0
	.section	.text._ZN7rocprim17ROCPRIM_400000_NS6detail17trampoline_kernelINS0_14default_configENS1_25partition_config_selectorILNS1_17partition_subalgoE2EiNS0_10empty_typeEbEEZZNS1_14partition_implILS5_2ELb0ES3_jN6thrust23THRUST_200600_302600_NS6detail15normal_iteratorINSA_7pointerIiNSA_11hip_rocprim3tagENSA_11use_defaultESG_EEEEPS6_NSA_18transform_iteratorINSA_8identityIiEENSC_INSA_10device_ptrIiEEEESG_SG_EENS0_5tupleIJPiSJ_EEENSR_IJSJ_SJ_EEES6_PlJS6_EEE10hipError_tPvRmT3_T4_T5_T6_T7_T9_mT8_P12ihipStream_tbDpT10_ENKUlT_T0_E_clISt17integral_constantIbLb0EES1F_EEDaS1A_S1B_EUlS1A_E_NS1_11comp_targetILNS1_3genE4ELNS1_11target_archE910ELNS1_3gpuE8ELNS1_3repE0EEENS1_30default_config_static_selectorELNS0_4arch9wavefront6targetE1EEEvT1_,"axG",@progbits,_ZN7rocprim17ROCPRIM_400000_NS6detail17trampoline_kernelINS0_14default_configENS1_25partition_config_selectorILNS1_17partition_subalgoE2EiNS0_10empty_typeEbEEZZNS1_14partition_implILS5_2ELb0ES3_jN6thrust23THRUST_200600_302600_NS6detail15normal_iteratorINSA_7pointerIiNSA_11hip_rocprim3tagENSA_11use_defaultESG_EEEEPS6_NSA_18transform_iteratorINSA_8identityIiEENSC_INSA_10device_ptrIiEEEESG_SG_EENS0_5tupleIJPiSJ_EEENSR_IJSJ_SJ_EEES6_PlJS6_EEE10hipError_tPvRmT3_T4_T5_T6_T7_T9_mT8_P12ihipStream_tbDpT10_ENKUlT_T0_E_clISt17integral_constantIbLb0EES1F_EEDaS1A_S1B_EUlS1A_E_NS1_11comp_targetILNS1_3genE4ELNS1_11target_archE910ELNS1_3gpuE8ELNS1_3repE0EEENS1_30default_config_static_selectorELNS0_4arch9wavefront6targetE1EEEvT1_,comdat
	.protected	_ZN7rocprim17ROCPRIM_400000_NS6detail17trampoline_kernelINS0_14default_configENS1_25partition_config_selectorILNS1_17partition_subalgoE2EiNS0_10empty_typeEbEEZZNS1_14partition_implILS5_2ELb0ES3_jN6thrust23THRUST_200600_302600_NS6detail15normal_iteratorINSA_7pointerIiNSA_11hip_rocprim3tagENSA_11use_defaultESG_EEEEPS6_NSA_18transform_iteratorINSA_8identityIiEENSC_INSA_10device_ptrIiEEEESG_SG_EENS0_5tupleIJPiSJ_EEENSR_IJSJ_SJ_EEES6_PlJS6_EEE10hipError_tPvRmT3_T4_T5_T6_T7_T9_mT8_P12ihipStream_tbDpT10_ENKUlT_T0_E_clISt17integral_constantIbLb0EES1F_EEDaS1A_S1B_EUlS1A_E_NS1_11comp_targetILNS1_3genE4ELNS1_11target_archE910ELNS1_3gpuE8ELNS1_3repE0EEENS1_30default_config_static_selectorELNS0_4arch9wavefront6targetE1EEEvT1_ ; -- Begin function _ZN7rocprim17ROCPRIM_400000_NS6detail17trampoline_kernelINS0_14default_configENS1_25partition_config_selectorILNS1_17partition_subalgoE2EiNS0_10empty_typeEbEEZZNS1_14partition_implILS5_2ELb0ES3_jN6thrust23THRUST_200600_302600_NS6detail15normal_iteratorINSA_7pointerIiNSA_11hip_rocprim3tagENSA_11use_defaultESG_EEEEPS6_NSA_18transform_iteratorINSA_8identityIiEENSC_INSA_10device_ptrIiEEEESG_SG_EENS0_5tupleIJPiSJ_EEENSR_IJSJ_SJ_EEES6_PlJS6_EEE10hipError_tPvRmT3_T4_T5_T6_T7_T9_mT8_P12ihipStream_tbDpT10_ENKUlT_T0_E_clISt17integral_constantIbLb0EES1F_EEDaS1A_S1B_EUlS1A_E_NS1_11comp_targetILNS1_3genE4ELNS1_11target_archE910ELNS1_3gpuE8ELNS1_3repE0EEENS1_30default_config_static_selectorELNS0_4arch9wavefront6targetE1EEEvT1_
	.globl	_ZN7rocprim17ROCPRIM_400000_NS6detail17trampoline_kernelINS0_14default_configENS1_25partition_config_selectorILNS1_17partition_subalgoE2EiNS0_10empty_typeEbEEZZNS1_14partition_implILS5_2ELb0ES3_jN6thrust23THRUST_200600_302600_NS6detail15normal_iteratorINSA_7pointerIiNSA_11hip_rocprim3tagENSA_11use_defaultESG_EEEEPS6_NSA_18transform_iteratorINSA_8identityIiEENSC_INSA_10device_ptrIiEEEESG_SG_EENS0_5tupleIJPiSJ_EEENSR_IJSJ_SJ_EEES6_PlJS6_EEE10hipError_tPvRmT3_T4_T5_T6_T7_T9_mT8_P12ihipStream_tbDpT10_ENKUlT_T0_E_clISt17integral_constantIbLb0EES1F_EEDaS1A_S1B_EUlS1A_E_NS1_11comp_targetILNS1_3genE4ELNS1_11target_archE910ELNS1_3gpuE8ELNS1_3repE0EEENS1_30default_config_static_selectorELNS0_4arch9wavefront6targetE1EEEvT1_
	.p2align	8
	.type	_ZN7rocprim17ROCPRIM_400000_NS6detail17trampoline_kernelINS0_14default_configENS1_25partition_config_selectorILNS1_17partition_subalgoE2EiNS0_10empty_typeEbEEZZNS1_14partition_implILS5_2ELb0ES3_jN6thrust23THRUST_200600_302600_NS6detail15normal_iteratorINSA_7pointerIiNSA_11hip_rocprim3tagENSA_11use_defaultESG_EEEEPS6_NSA_18transform_iteratorINSA_8identityIiEENSC_INSA_10device_ptrIiEEEESG_SG_EENS0_5tupleIJPiSJ_EEENSR_IJSJ_SJ_EEES6_PlJS6_EEE10hipError_tPvRmT3_T4_T5_T6_T7_T9_mT8_P12ihipStream_tbDpT10_ENKUlT_T0_E_clISt17integral_constantIbLb0EES1F_EEDaS1A_S1B_EUlS1A_E_NS1_11comp_targetILNS1_3genE4ELNS1_11target_archE910ELNS1_3gpuE8ELNS1_3repE0EEENS1_30default_config_static_selectorELNS0_4arch9wavefront6targetE1EEEvT1_,@function
_ZN7rocprim17ROCPRIM_400000_NS6detail17trampoline_kernelINS0_14default_configENS1_25partition_config_selectorILNS1_17partition_subalgoE2EiNS0_10empty_typeEbEEZZNS1_14partition_implILS5_2ELb0ES3_jN6thrust23THRUST_200600_302600_NS6detail15normal_iteratorINSA_7pointerIiNSA_11hip_rocprim3tagENSA_11use_defaultESG_EEEEPS6_NSA_18transform_iteratorINSA_8identityIiEENSC_INSA_10device_ptrIiEEEESG_SG_EENS0_5tupleIJPiSJ_EEENSR_IJSJ_SJ_EEES6_PlJS6_EEE10hipError_tPvRmT3_T4_T5_T6_T7_T9_mT8_P12ihipStream_tbDpT10_ENKUlT_T0_E_clISt17integral_constantIbLb0EES1F_EEDaS1A_S1B_EUlS1A_E_NS1_11comp_targetILNS1_3genE4ELNS1_11target_archE910ELNS1_3gpuE8ELNS1_3repE0EEENS1_30default_config_static_selectorELNS0_4arch9wavefront6targetE1EEEvT1_: ; @_ZN7rocprim17ROCPRIM_400000_NS6detail17trampoline_kernelINS0_14default_configENS1_25partition_config_selectorILNS1_17partition_subalgoE2EiNS0_10empty_typeEbEEZZNS1_14partition_implILS5_2ELb0ES3_jN6thrust23THRUST_200600_302600_NS6detail15normal_iteratorINSA_7pointerIiNSA_11hip_rocprim3tagENSA_11use_defaultESG_EEEEPS6_NSA_18transform_iteratorINSA_8identityIiEENSC_INSA_10device_ptrIiEEEESG_SG_EENS0_5tupleIJPiSJ_EEENSR_IJSJ_SJ_EEES6_PlJS6_EEE10hipError_tPvRmT3_T4_T5_T6_T7_T9_mT8_P12ihipStream_tbDpT10_ENKUlT_T0_E_clISt17integral_constantIbLb0EES1F_EEDaS1A_S1B_EUlS1A_E_NS1_11comp_targetILNS1_3genE4ELNS1_11target_archE910ELNS1_3gpuE8ELNS1_3repE0EEENS1_30default_config_static_selectorELNS0_4arch9wavefront6targetE1EEEvT1_
; %bb.0:
	.section	.rodata,"a",@progbits
	.p2align	6, 0x0
	.amdhsa_kernel _ZN7rocprim17ROCPRIM_400000_NS6detail17trampoline_kernelINS0_14default_configENS1_25partition_config_selectorILNS1_17partition_subalgoE2EiNS0_10empty_typeEbEEZZNS1_14partition_implILS5_2ELb0ES3_jN6thrust23THRUST_200600_302600_NS6detail15normal_iteratorINSA_7pointerIiNSA_11hip_rocprim3tagENSA_11use_defaultESG_EEEEPS6_NSA_18transform_iteratorINSA_8identityIiEENSC_INSA_10device_ptrIiEEEESG_SG_EENS0_5tupleIJPiSJ_EEENSR_IJSJ_SJ_EEES6_PlJS6_EEE10hipError_tPvRmT3_T4_T5_T6_T7_T9_mT8_P12ihipStream_tbDpT10_ENKUlT_T0_E_clISt17integral_constantIbLb0EES1F_EEDaS1A_S1B_EUlS1A_E_NS1_11comp_targetILNS1_3genE4ELNS1_11target_archE910ELNS1_3gpuE8ELNS1_3repE0EEENS1_30default_config_static_selectorELNS0_4arch9wavefront6targetE1EEEvT1_
		.amdhsa_group_segment_fixed_size 0
		.amdhsa_private_segment_fixed_size 0
		.amdhsa_kernarg_size 128
		.amdhsa_user_sgpr_count 2
		.amdhsa_user_sgpr_dispatch_ptr 0
		.amdhsa_user_sgpr_queue_ptr 0
		.amdhsa_user_sgpr_kernarg_segment_ptr 1
		.amdhsa_user_sgpr_dispatch_id 0
		.amdhsa_user_sgpr_kernarg_preload_length 0
		.amdhsa_user_sgpr_kernarg_preload_offset 0
		.amdhsa_user_sgpr_private_segment_size 0
		.amdhsa_uses_dynamic_stack 0
		.amdhsa_enable_private_segment 0
		.amdhsa_system_sgpr_workgroup_id_x 1
		.amdhsa_system_sgpr_workgroup_id_y 0
		.amdhsa_system_sgpr_workgroup_id_z 0
		.amdhsa_system_sgpr_workgroup_info 0
		.amdhsa_system_vgpr_workitem_id 0
		.amdhsa_next_free_vgpr 1
		.amdhsa_next_free_sgpr 0
		.amdhsa_accum_offset 4
		.amdhsa_reserve_vcc 0
		.amdhsa_float_round_mode_32 0
		.amdhsa_float_round_mode_16_64 0
		.amdhsa_float_denorm_mode_32 3
		.amdhsa_float_denorm_mode_16_64 3
		.amdhsa_dx10_clamp 1
		.amdhsa_ieee_mode 1
		.amdhsa_fp16_overflow 0
		.amdhsa_tg_split 0
		.amdhsa_exception_fp_ieee_invalid_op 0
		.amdhsa_exception_fp_denorm_src 0
		.amdhsa_exception_fp_ieee_div_zero 0
		.amdhsa_exception_fp_ieee_overflow 0
		.amdhsa_exception_fp_ieee_underflow 0
		.amdhsa_exception_fp_ieee_inexact 0
		.amdhsa_exception_int_div_zero 0
	.end_amdhsa_kernel
	.section	.text._ZN7rocprim17ROCPRIM_400000_NS6detail17trampoline_kernelINS0_14default_configENS1_25partition_config_selectorILNS1_17partition_subalgoE2EiNS0_10empty_typeEbEEZZNS1_14partition_implILS5_2ELb0ES3_jN6thrust23THRUST_200600_302600_NS6detail15normal_iteratorINSA_7pointerIiNSA_11hip_rocprim3tagENSA_11use_defaultESG_EEEEPS6_NSA_18transform_iteratorINSA_8identityIiEENSC_INSA_10device_ptrIiEEEESG_SG_EENS0_5tupleIJPiSJ_EEENSR_IJSJ_SJ_EEES6_PlJS6_EEE10hipError_tPvRmT3_T4_T5_T6_T7_T9_mT8_P12ihipStream_tbDpT10_ENKUlT_T0_E_clISt17integral_constantIbLb0EES1F_EEDaS1A_S1B_EUlS1A_E_NS1_11comp_targetILNS1_3genE4ELNS1_11target_archE910ELNS1_3gpuE8ELNS1_3repE0EEENS1_30default_config_static_selectorELNS0_4arch9wavefront6targetE1EEEvT1_,"axG",@progbits,_ZN7rocprim17ROCPRIM_400000_NS6detail17trampoline_kernelINS0_14default_configENS1_25partition_config_selectorILNS1_17partition_subalgoE2EiNS0_10empty_typeEbEEZZNS1_14partition_implILS5_2ELb0ES3_jN6thrust23THRUST_200600_302600_NS6detail15normal_iteratorINSA_7pointerIiNSA_11hip_rocprim3tagENSA_11use_defaultESG_EEEEPS6_NSA_18transform_iteratorINSA_8identityIiEENSC_INSA_10device_ptrIiEEEESG_SG_EENS0_5tupleIJPiSJ_EEENSR_IJSJ_SJ_EEES6_PlJS6_EEE10hipError_tPvRmT3_T4_T5_T6_T7_T9_mT8_P12ihipStream_tbDpT10_ENKUlT_T0_E_clISt17integral_constantIbLb0EES1F_EEDaS1A_S1B_EUlS1A_E_NS1_11comp_targetILNS1_3genE4ELNS1_11target_archE910ELNS1_3gpuE8ELNS1_3repE0EEENS1_30default_config_static_selectorELNS0_4arch9wavefront6targetE1EEEvT1_,comdat
.Lfunc_end515:
	.size	_ZN7rocprim17ROCPRIM_400000_NS6detail17trampoline_kernelINS0_14default_configENS1_25partition_config_selectorILNS1_17partition_subalgoE2EiNS0_10empty_typeEbEEZZNS1_14partition_implILS5_2ELb0ES3_jN6thrust23THRUST_200600_302600_NS6detail15normal_iteratorINSA_7pointerIiNSA_11hip_rocprim3tagENSA_11use_defaultESG_EEEEPS6_NSA_18transform_iteratorINSA_8identityIiEENSC_INSA_10device_ptrIiEEEESG_SG_EENS0_5tupleIJPiSJ_EEENSR_IJSJ_SJ_EEES6_PlJS6_EEE10hipError_tPvRmT3_T4_T5_T6_T7_T9_mT8_P12ihipStream_tbDpT10_ENKUlT_T0_E_clISt17integral_constantIbLb0EES1F_EEDaS1A_S1B_EUlS1A_E_NS1_11comp_targetILNS1_3genE4ELNS1_11target_archE910ELNS1_3gpuE8ELNS1_3repE0EEENS1_30default_config_static_selectorELNS0_4arch9wavefront6targetE1EEEvT1_, .Lfunc_end515-_ZN7rocprim17ROCPRIM_400000_NS6detail17trampoline_kernelINS0_14default_configENS1_25partition_config_selectorILNS1_17partition_subalgoE2EiNS0_10empty_typeEbEEZZNS1_14partition_implILS5_2ELb0ES3_jN6thrust23THRUST_200600_302600_NS6detail15normal_iteratorINSA_7pointerIiNSA_11hip_rocprim3tagENSA_11use_defaultESG_EEEEPS6_NSA_18transform_iteratorINSA_8identityIiEENSC_INSA_10device_ptrIiEEEESG_SG_EENS0_5tupleIJPiSJ_EEENSR_IJSJ_SJ_EEES6_PlJS6_EEE10hipError_tPvRmT3_T4_T5_T6_T7_T9_mT8_P12ihipStream_tbDpT10_ENKUlT_T0_E_clISt17integral_constantIbLb0EES1F_EEDaS1A_S1B_EUlS1A_E_NS1_11comp_targetILNS1_3genE4ELNS1_11target_archE910ELNS1_3gpuE8ELNS1_3repE0EEENS1_30default_config_static_selectorELNS0_4arch9wavefront6targetE1EEEvT1_
                                        ; -- End function
	.section	.AMDGPU.csdata,"",@progbits
; Kernel info:
; codeLenInByte = 0
; NumSgprs: 6
; NumVgprs: 0
; NumAgprs: 0
; TotalNumVgprs: 0
; ScratchSize: 0
; MemoryBound: 0
; FloatMode: 240
; IeeeMode: 1
; LDSByteSize: 0 bytes/workgroup (compile time only)
; SGPRBlocks: 0
; VGPRBlocks: 0
; NumSGPRsForWavesPerEU: 6
; NumVGPRsForWavesPerEU: 1
; AccumOffset: 4
; Occupancy: 8
; WaveLimiterHint : 0
; COMPUTE_PGM_RSRC2:SCRATCH_EN: 0
; COMPUTE_PGM_RSRC2:USER_SGPR: 2
; COMPUTE_PGM_RSRC2:TRAP_HANDLER: 0
; COMPUTE_PGM_RSRC2:TGID_X_EN: 1
; COMPUTE_PGM_RSRC2:TGID_Y_EN: 0
; COMPUTE_PGM_RSRC2:TGID_Z_EN: 0
; COMPUTE_PGM_RSRC2:TIDIG_COMP_CNT: 0
; COMPUTE_PGM_RSRC3_GFX90A:ACCUM_OFFSET: 0
; COMPUTE_PGM_RSRC3_GFX90A:TG_SPLIT: 0
	.section	.text._ZN7rocprim17ROCPRIM_400000_NS6detail17trampoline_kernelINS0_14default_configENS1_25partition_config_selectorILNS1_17partition_subalgoE2EiNS0_10empty_typeEbEEZZNS1_14partition_implILS5_2ELb0ES3_jN6thrust23THRUST_200600_302600_NS6detail15normal_iteratorINSA_7pointerIiNSA_11hip_rocprim3tagENSA_11use_defaultESG_EEEEPS6_NSA_18transform_iteratorINSA_8identityIiEENSC_INSA_10device_ptrIiEEEESG_SG_EENS0_5tupleIJPiSJ_EEENSR_IJSJ_SJ_EEES6_PlJS6_EEE10hipError_tPvRmT3_T4_T5_T6_T7_T9_mT8_P12ihipStream_tbDpT10_ENKUlT_T0_E_clISt17integral_constantIbLb0EES1F_EEDaS1A_S1B_EUlS1A_E_NS1_11comp_targetILNS1_3genE3ELNS1_11target_archE908ELNS1_3gpuE7ELNS1_3repE0EEENS1_30default_config_static_selectorELNS0_4arch9wavefront6targetE1EEEvT1_,"axG",@progbits,_ZN7rocprim17ROCPRIM_400000_NS6detail17trampoline_kernelINS0_14default_configENS1_25partition_config_selectorILNS1_17partition_subalgoE2EiNS0_10empty_typeEbEEZZNS1_14partition_implILS5_2ELb0ES3_jN6thrust23THRUST_200600_302600_NS6detail15normal_iteratorINSA_7pointerIiNSA_11hip_rocprim3tagENSA_11use_defaultESG_EEEEPS6_NSA_18transform_iteratorINSA_8identityIiEENSC_INSA_10device_ptrIiEEEESG_SG_EENS0_5tupleIJPiSJ_EEENSR_IJSJ_SJ_EEES6_PlJS6_EEE10hipError_tPvRmT3_T4_T5_T6_T7_T9_mT8_P12ihipStream_tbDpT10_ENKUlT_T0_E_clISt17integral_constantIbLb0EES1F_EEDaS1A_S1B_EUlS1A_E_NS1_11comp_targetILNS1_3genE3ELNS1_11target_archE908ELNS1_3gpuE7ELNS1_3repE0EEENS1_30default_config_static_selectorELNS0_4arch9wavefront6targetE1EEEvT1_,comdat
	.protected	_ZN7rocprim17ROCPRIM_400000_NS6detail17trampoline_kernelINS0_14default_configENS1_25partition_config_selectorILNS1_17partition_subalgoE2EiNS0_10empty_typeEbEEZZNS1_14partition_implILS5_2ELb0ES3_jN6thrust23THRUST_200600_302600_NS6detail15normal_iteratorINSA_7pointerIiNSA_11hip_rocprim3tagENSA_11use_defaultESG_EEEEPS6_NSA_18transform_iteratorINSA_8identityIiEENSC_INSA_10device_ptrIiEEEESG_SG_EENS0_5tupleIJPiSJ_EEENSR_IJSJ_SJ_EEES6_PlJS6_EEE10hipError_tPvRmT3_T4_T5_T6_T7_T9_mT8_P12ihipStream_tbDpT10_ENKUlT_T0_E_clISt17integral_constantIbLb0EES1F_EEDaS1A_S1B_EUlS1A_E_NS1_11comp_targetILNS1_3genE3ELNS1_11target_archE908ELNS1_3gpuE7ELNS1_3repE0EEENS1_30default_config_static_selectorELNS0_4arch9wavefront6targetE1EEEvT1_ ; -- Begin function _ZN7rocprim17ROCPRIM_400000_NS6detail17trampoline_kernelINS0_14default_configENS1_25partition_config_selectorILNS1_17partition_subalgoE2EiNS0_10empty_typeEbEEZZNS1_14partition_implILS5_2ELb0ES3_jN6thrust23THRUST_200600_302600_NS6detail15normal_iteratorINSA_7pointerIiNSA_11hip_rocprim3tagENSA_11use_defaultESG_EEEEPS6_NSA_18transform_iteratorINSA_8identityIiEENSC_INSA_10device_ptrIiEEEESG_SG_EENS0_5tupleIJPiSJ_EEENSR_IJSJ_SJ_EEES6_PlJS6_EEE10hipError_tPvRmT3_T4_T5_T6_T7_T9_mT8_P12ihipStream_tbDpT10_ENKUlT_T0_E_clISt17integral_constantIbLb0EES1F_EEDaS1A_S1B_EUlS1A_E_NS1_11comp_targetILNS1_3genE3ELNS1_11target_archE908ELNS1_3gpuE7ELNS1_3repE0EEENS1_30default_config_static_selectorELNS0_4arch9wavefront6targetE1EEEvT1_
	.globl	_ZN7rocprim17ROCPRIM_400000_NS6detail17trampoline_kernelINS0_14default_configENS1_25partition_config_selectorILNS1_17partition_subalgoE2EiNS0_10empty_typeEbEEZZNS1_14partition_implILS5_2ELb0ES3_jN6thrust23THRUST_200600_302600_NS6detail15normal_iteratorINSA_7pointerIiNSA_11hip_rocprim3tagENSA_11use_defaultESG_EEEEPS6_NSA_18transform_iteratorINSA_8identityIiEENSC_INSA_10device_ptrIiEEEESG_SG_EENS0_5tupleIJPiSJ_EEENSR_IJSJ_SJ_EEES6_PlJS6_EEE10hipError_tPvRmT3_T4_T5_T6_T7_T9_mT8_P12ihipStream_tbDpT10_ENKUlT_T0_E_clISt17integral_constantIbLb0EES1F_EEDaS1A_S1B_EUlS1A_E_NS1_11comp_targetILNS1_3genE3ELNS1_11target_archE908ELNS1_3gpuE7ELNS1_3repE0EEENS1_30default_config_static_selectorELNS0_4arch9wavefront6targetE1EEEvT1_
	.p2align	8
	.type	_ZN7rocprim17ROCPRIM_400000_NS6detail17trampoline_kernelINS0_14default_configENS1_25partition_config_selectorILNS1_17partition_subalgoE2EiNS0_10empty_typeEbEEZZNS1_14partition_implILS5_2ELb0ES3_jN6thrust23THRUST_200600_302600_NS6detail15normal_iteratorINSA_7pointerIiNSA_11hip_rocprim3tagENSA_11use_defaultESG_EEEEPS6_NSA_18transform_iteratorINSA_8identityIiEENSC_INSA_10device_ptrIiEEEESG_SG_EENS0_5tupleIJPiSJ_EEENSR_IJSJ_SJ_EEES6_PlJS6_EEE10hipError_tPvRmT3_T4_T5_T6_T7_T9_mT8_P12ihipStream_tbDpT10_ENKUlT_T0_E_clISt17integral_constantIbLb0EES1F_EEDaS1A_S1B_EUlS1A_E_NS1_11comp_targetILNS1_3genE3ELNS1_11target_archE908ELNS1_3gpuE7ELNS1_3repE0EEENS1_30default_config_static_selectorELNS0_4arch9wavefront6targetE1EEEvT1_,@function
_ZN7rocprim17ROCPRIM_400000_NS6detail17trampoline_kernelINS0_14default_configENS1_25partition_config_selectorILNS1_17partition_subalgoE2EiNS0_10empty_typeEbEEZZNS1_14partition_implILS5_2ELb0ES3_jN6thrust23THRUST_200600_302600_NS6detail15normal_iteratorINSA_7pointerIiNSA_11hip_rocprim3tagENSA_11use_defaultESG_EEEEPS6_NSA_18transform_iteratorINSA_8identityIiEENSC_INSA_10device_ptrIiEEEESG_SG_EENS0_5tupleIJPiSJ_EEENSR_IJSJ_SJ_EEES6_PlJS6_EEE10hipError_tPvRmT3_T4_T5_T6_T7_T9_mT8_P12ihipStream_tbDpT10_ENKUlT_T0_E_clISt17integral_constantIbLb0EES1F_EEDaS1A_S1B_EUlS1A_E_NS1_11comp_targetILNS1_3genE3ELNS1_11target_archE908ELNS1_3gpuE7ELNS1_3repE0EEENS1_30default_config_static_selectorELNS0_4arch9wavefront6targetE1EEEvT1_: ; @_ZN7rocprim17ROCPRIM_400000_NS6detail17trampoline_kernelINS0_14default_configENS1_25partition_config_selectorILNS1_17partition_subalgoE2EiNS0_10empty_typeEbEEZZNS1_14partition_implILS5_2ELb0ES3_jN6thrust23THRUST_200600_302600_NS6detail15normal_iteratorINSA_7pointerIiNSA_11hip_rocprim3tagENSA_11use_defaultESG_EEEEPS6_NSA_18transform_iteratorINSA_8identityIiEENSC_INSA_10device_ptrIiEEEESG_SG_EENS0_5tupleIJPiSJ_EEENSR_IJSJ_SJ_EEES6_PlJS6_EEE10hipError_tPvRmT3_T4_T5_T6_T7_T9_mT8_P12ihipStream_tbDpT10_ENKUlT_T0_E_clISt17integral_constantIbLb0EES1F_EEDaS1A_S1B_EUlS1A_E_NS1_11comp_targetILNS1_3genE3ELNS1_11target_archE908ELNS1_3gpuE7ELNS1_3repE0EEENS1_30default_config_static_selectorELNS0_4arch9wavefront6targetE1EEEvT1_
; %bb.0:
	.section	.rodata,"a",@progbits
	.p2align	6, 0x0
	.amdhsa_kernel _ZN7rocprim17ROCPRIM_400000_NS6detail17trampoline_kernelINS0_14default_configENS1_25partition_config_selectorILNS1_17partition_subalgoE2EiNS0_10empty_typeEbEEZZNS1_14partition_implILS5_2ELb0ES3_jN6thrust23THRUST_200600_302600_NS6detail15normal_iteratorINSA_7pointerIiNSA_11hip_rocprim3tagENSA_11use_defaultESG_EEEEPS6_NSA_18transform_iteratorINSA_8identityIiEENSC_INSA_10device_ptrIiEEEESG_SG_EENS0_5tupleIJPiSJ_EEENSR_IJSJ_SJ_EEES6_PlJS6_EEE10hipError_tPvRmT3_T4_T5_T6_T7_T9_mT8_P12ihipStream_tbDpT10_ENKUlT_T0_E_clISt17integral_constantIbLb0EES1F_EEDaS1A_S1B_EUlS1A_E_NS1_11comp_targetILNS1_3genE3ELNS1_11target_archE908ELNS1_3gpuE7ELNS1_3repE0EEENS1_30default_config_static_selectorELNS0_4arch9wavefront6targetE1EEEvT1_
		.amdhsa_group_segment_fixed_size 0
		.amdhsa_private_segment_fixed_size 0
		.amdhsa_kernarg_size 128
		.amdhsa_user_sgpr_count 2
		.amdhsa_user_sgpr_dispatch_ptr 0
		.amdhsa_user_sgpr_queue_ptr 0
		.amdhsa_user_sgpr_kernarg_segment_ptr 1
		.amdhsa_user_sgpr_dispatch_id 0
		.amdhsa_user_sgpr_kernarg_preload_length 0
		.amdhsa_user_sgpr_kernarg_preload_offset 0
		.amdhsa_user_sgpr_private_segment_size 0
		.amdhsa_uses_dynamic_stack 0
		.amdhsa_enable_private_segment 0
		.amdhsa_system_sgpr_workgroup_id_x 1
		.amdhsa_system_sgpr_workgroup_id_y 0
		.amdhsa_system_sgpr_workgroup_id_z 0
		.amdhsa_system_sgpr_workgroup_info 0
		.amdhsa_system_vgpr_workitem_id 0
		.amdhsa_next_free_vgpr 1
		.amdhsa_next_free_sgpr 0
		.amdhsa_accum_offset 4
		.amdhsa_reserve_vcc 0
		.amdhsa_float_round_mode_32 0
		.amdhsa_float_round_mode_16_64 0
		.amdhsa_float_denorm_mode_32 3
		.amdhsa_float_denorm_mode_16_64 3
		.amdhsa_dx10_clamp 1
		.amdhsa_ieee_mode 1
		.amdhsa_fp16_overflow 0
		.amdhsa_tg_split 0
		.amdhsa_exception_fp_ieee_invalid_op 0
		.amdhsa_exception_fp_denorm_src 0
		.amdhsa_exception_fp_ieee_div_zero 0
		.amdhsa_exception_fp_ieee_overflow 0
		.amdhsa_exception_fp_ieee_underflow 0
		.amdhsa_exception_fp_ieee_inexact 0
		.amdhsa_exception_int_div_zero 0
	.end_amdhsa_kernel
	.section	.text._ZN7rocprim17ROCPRIM_400000_NS6detail17trampoline_kernelINS0_14default_configENS1_25partition_config_selectorILNS1_17partition_subalgoE2EiNS0_10empty_typeEbEEZZNS1_14partition_implILS5_2ELb0ES3_jN6thrust23THRUST_200600_302600_NS6detail15normal_iteratorINSA_7pointerIiNSA_11hip_rocprim3tagENSA_11use_defaultESG_EEEEPS6_NSA_18transform_iteratorINSA_8identityIiEENSC_INSA_10device_ptrIiEEEESG_SG_EENS0_5tupleIJPiSJ_EEENSR_IJSJ_SJ_EEES6_PlJS6_EEE10hipError_tPvRmT3_T4_T5_T6_T7_T9_mT8_P12ihipStream_tbDpT10_ENKUlT_T0_E_clISt17integral_constantIbLb0EES1F_EEDaS1A_S1B_EUlS1A_E_NS1_11comp_targetILNS1_3genE3ELNS1_11target_archE908ELNS1_3gpuE7ELNS1_3repE0EEENS1_30default_config_static_selectorELNS0_4arch9wavefront6targetE1EEEvT1_,"axG",@progbits,_ZN7rocprim17ROCPRIM_400000_NS6detail17trampoline_kernelINS0_14default_configENS1_25partition_config_selectorILNS1_17partition_subalgoE2EiNS0_10empty_typeEbEEZZNS1_14partition_implILS5_2ELb0ES3_jN6thrust23THRUST_200600_302600_NS6detail15normal_iteratorINSA_7pointerIiNSA_11hip_rocprim3tagENSA_11use_defaultESG_EEEEPS6_NSA_18transform_iteratorINSA_8identityIiEENSC_INSA_10device_ptrIiEEEESG_SG_EENS0_5tupleIJPiSJ_EEENSR_IJSJ_SJ_EEES6_PlJS6_EEE10hipError_tPvRmT3_T4_T5_T6_T7_T9_mT8_P12ihipStream_tbDpT10_ENKUlT_T0_E_clISt17integral_constantIbLb0EES1F_EEDaS1A_S1B_EUlS1A_E_NS1_11comp_targetILNS1_3genE3ELNS1_11target_archE908ELNS1_3gpuE7ELNS1_3repE0EEENS1_30default_config_static_selectorELNS0_4arch9wavefront6targetE1EEEvT1_,comdat
.Lfunc_end516:
	.size	_ZN7rocprim17ROCPRIM_400000_NS6detail17trampoline_kernelINS0_14default_configENS1_25partition_config_selectorILNS1_17partition_subalgoE2EiNS0_10empty_typeEbEEZZNS1_14partition_implILS5_2ELb0ES3_jN6thrust23THRUST_200600_302600_NS6detail15normal_iteratorINSA_7pointerIiNSA_11hip_rocprim3tagENSA_11use_defaultESG_EEEEPS6_NSA_18transform_iteratorINSA_8identityIiEENSC_INSA_10device_ptrIiEEEESG_SG_EENS0_5tupleIJPiSJ_EEENSR_IJSJ_SJ_EEES6_PlJS6_EEE10hipError_tPvRmT3_T4_T5_T6_T7_T9_mT8_P12ihipStream_tbDpT10_ENKUlT_T0_E_clISt17integral_constantIbLb0EES1F_EEDaS1A_S1B_EUlS1A_E_NS1_11comp_targetILNS1_3genE3ELNS1_11target_archE908ELNS1_3gpuE7ELNS1_3repE0EEENS1_30default_config_static_selectorELNS0_4arch9wavefront6targetE1EEEvT1_, .Lfunc_end516-_ZN7rocprim17ROCPRIM_400000_NS6detail17trampoline_kernelINS0_14default_configENS1_25partition_config_selectorILNS1_17partition_subalgoE2EiNS0_10empty_typeEbEEZZNS1_14partition_implILS5_2ELb0ES3_jN6thrust23THRUST_200600_302600_NS6detail15normal_iteratorINSA_7pointerIiNSA_11hip_rocprim3tagENSA_11use_defaultESG_EEEEPS6_NSA_18transform_iteratorINSA_8identityIiEENSC_INSA_10device_ptrIiEEEESG_SG_EENS0_5tupleIJPiSJ_EEENSR_IJSJ_SJ_EEES6_PlJS6_EEE10hipError_tPvRmT3_T4_T5_T6_T7_T9_mT8_P12ihipStream_tbDpT10_ENKUlT_T0_E_clISt17integral_constantIbLb0EES1F_EEDaS1A_S1B_EUlS1A_E_NS1_11comp_targetILNS1_3genE3ELNS1_11target_archE908ELNS1_3gpuE7ELNS1_3repE0EEENS1_30default_config_static_selectorELNS0_4arch9wavefront6targetE1EEEvT1_
                                        ; -- End function
	.section	.AMDGPU.csdata,"",@progbits
; Kernel info:
; codeLenInByte = 0
; NumSgprs: 6
; NumVgprs: 0
; NumAgprs: 0
; TotalNumVgprs: 0
; ScratchSize: 0
; MemoryBound: 0
; FloatMode: 240
; IeeeMode: 1
; LDSByteSize: 0 bytes/workgroup (compile time only)
; SGPRBlocks: 0
; VGPRBlocks: 0
; NumSGPRsForWavesPerEU: 6
; NumVGPRsForWavesPerEU: 1
; AccumOffset: 4
; Occupancy: 8
; WaveLimiterHint : 0
; COMPUTE_PGM_RSRC2:SCRATCH_EN: 0
; COMPUTE_PGM_RSRC2:USER_SGPR: 2
; COMPUTE_PGM_RSRC2:TRAP_HANDLER: 0
; COMPUTE_PGM_RSRC2:TGID_X_EN: 1
; COMPUTE_PGM_RSRC2:TGID_Y_EN: 0
; COMPUTE_PGM_RSRC2:TGID_Z_EN: 0
; COMPUTE_PGM_RSRC2:TIDIG_COMP_CNT: 0
; COMPUTE_PGM_RSRC3_GFX90A:ACCUM_OFFSET: 0
; COMPUTE_PGM_RSRC3_GFX90A:TG_SPLIT: 0
	.section	.text._ZN7rocprim17ROCPRIM_400000_NS6detail17trampoline_kernelINS0_14default_configENS1_25partition_config_selectorILNS1_17partition_subalgoE2EiNS0_10empty_typeEbEEZZNS1_14partition_implILS5_2ELb0ES3_jN6thrust23THRUST_200600_302600_NS6detail15normal_iteratorINSA_7pointerIiNSA_11hip_rocprim3tagENSA_11use_defaultESG_EEEEPS6_NSA_18transform_iteratorINSA_8identityIiEENSC_INSA_10device_ptrIiEEEESG_SG_EENS0_5tupleIJPiSJ_EEENSR_IJSJ_SJ_EEES6_PlJS6_EEE10hipError_tPvRmT3_T4_T5_T6_T7_T9_mT8_P12ihipStream_tbDpT10_ENKUlT_T0_E_clISt17integral_constantIbLb0EES1F_EEDaS1A_S1B_EUlS1A_E_NS1_11comp_targetILNS1_3genE2ELNS1_11target_archE906ELNS1_3gpuE6ELNS1_3repE0EEENS1_30default_config_static_selectorELNS0_4arch9wavefront6targetE1EEEvT1_,"axG",@progbits,_ZN7rocprim17ROCPRIM_400000_NS6detail17trampoline_kernelINS0_14default_configENS1_25partition_config_selectorILNS1_17partition_subalgoE2EiNS0_10empty_typeEbEEZZNS1_14partition_implILS5_2ELb0ES3_jN6thrust23THRUST_200600_302600_NS6detail15normal_iteratorINSA_7pointerIiNSA_11hip_rocprim3tagENSA_11use_defaultESG_EEEEPS6_NSA_18transform_iteratorINSA_8identityIiEENSC_INSA_10device_ptrIiEEEESG_SG_EENS0_5tupleIJPiSJ_EEENSR_IJSJ_SJ_EEES6_PlJS6_EEE10hipError_tPvRmT3_T4_T5_T6_T7_T9_mT8_P12ihipStream_tbDpT10_ENKUlT_T0_E_clISt17integral_constantIbLb0EES1F_EEDaS1A_S1B_EUlS1A_E_NS1_11comp_targetILNS1_3genE2ELNS1_11target_archE906ELNS1_3gpuE6ELNS1_3repE0EEENS1_30default_config_static_selectorELNS0_4arch9wavefront6targetE1EEEvT1_,comdat
	.protected	_ZN7rocprim17ROCPRIM_400000_NS6detail17trampoline_kernelINS0_14default_configENS1_25partition_config_selectorILNS1_17partition_subalgoE2EiNS0_10empty_typeEbEEZZNS1_14partition_implILS5_2ELb0ES3_jN6thrust23THRUST_200600_302600_NS6detail15normal_iteratorINSA_7pointerIiNSA_11hip_rocprim3tagENSA_11use_defaultESG_EEEEPS6_NSA_18transform_iteratorINSA_8identityIiEENSC_INSA_10device_ptrIiEEEESG_SG_EENS0_5tupleIJPiSJ_EEENSR_IJSJ_SJ_EEES6_PlJS6_EEE10hipError_tPvRmT3_T4_T5_T6_T7_T9_mT8_P12ihipStream_tbDpT10_ENKUlT_T0_E_clISt17integral_constantIbLb0EES1F_EEDaS1A_S1B_EUlS1A_E_NS1_11comp_targetILNS1_3genE2ELNS1_11target_archE906ELNS1_3gpuE6ELNS1_3repE0EEENS1_30default_config_static_selectorELNS0_4arch9wavefront6targetE1EEEvT1_ ; -- Begin function _ZN7rocprim17ROCPRIM_400000_NS6detail17trampoline_kernelINS0_14default_configENS1_25partition_config_selectorILNS1_17partition_subalgoE2EiNS0_10empty_typeEbEEZZNS1_14partition_implILS5_2ELb0ES3_jN6thrust23THRUST_200600_302600_NS6detail15normal_iteratorINSA_7pointerIiNSA_11hip_rocprim3tagENSA_11use_defaultESG_EEEEPS6_NSA_18transform_iteratorINSA_8identityIiEENSC_INSA_10device_ptrIiEEEESG_SG_EENS0_5tupleIJPiSJ_EEENSR_IJSJ_SJ_EEES6_PlJS6_EEE10hipError_tPvRmT3_T4_T5_T6_T7_T9_mT8_P12ihipStream_tbDpT10_ENKUlT_T0_E_clISt17integral_constantIbLb0EES1F_EEDaS1A_S1B_EUlS1A_E_NS1_11comp_targetILNS1_3genE2ELNS1_11target_archE906ELNS1_3gpuE6ELNS1_3repE0EEENS1_30default_config_static_selectorELNS0_4arch9wavefront6targetE1EEEvT1_
	.globl	_ZN7rocprim17ROCPRIM_400000_NS6detail17trampoline_kernelINS0_14default_configENS1_25partition_config_selectorILNS1_17partition_subalgoE2EiNS0_10empty_typeEbEEZZNS1_14partition_implILS5_2ELb0ES3_jN6thrust23THRUST_200600_302600_NS6detail15normal_iteratorINSA_7pointerIiNSA_11hip_rocprim3tagENSA_11use_defaultESG_EEEEPS6_NSA_18transform_iteratorINSA_8identityIiEENSC_INSA_10device_ptrIiEEEESG_SG_EENS0_5tupleIJPiSJ_EEENSR_IJSJ_SJ_EEES6_PlJS6_EEE10hipError_tPvRmT3_T4_T5_T6_T7_T9_mT8_P12ihipStream_tbDpT10_ENKUlT_T0_E_clISt17integral_constantIbLb0EES1F_EEDaS1A_S1B_EUlS1A_E_NS1_11comp_targetILNS1_3genE2ELNS1_11target_archE906ELNS1_3gpuE6ELNS1_3repE0EEENS1_30default_config_static_selectorELNS0_4arch9wavefront6targetE1EEEvT1_
	.p2align	8
	.type	_ZN7rocprim17ROCPRIM_400000_NS6detail17trampoline_kernelINS0_14default_configENS1_25partition_config_selectorILNS1_17partition_subalgoE2EiNS0_10empty_typeEbEEZZNS1_14partition_implILS5_2ELb0ES3_jN6thrust23THRUST_200600_302600_NS6detail15normal_iteratorINSA_7pointerIiNSA_11hip_rocprim3tagENSA_11use_defaultESG_EEEEPS6_NSA_18transform_iteratorINSA_8identityIiEENSC_INSA_10device_ptrIiEEEESG_SG_EENS0_5tupleIJPiSJ_EEENSR_IJSJ_SJ_EEES6_PlJS6_EEE10hipError_tPvRmT3_T4_T5_T6_T7_T9_mT8_P12ihipStream_tbDpT10_ENKUlT_T0_E_clISt17integral_constantIbLb0EES1F_EEDaS1A_S1B_EUlS1A_E_NS1_11comp_targetILNS1_3genE2ELNS1_11target_archE906ELNS1_3gpuE6ELNS1_3repE0EEENS1_30default_config_static_selectorELNS0_4arch9wavefront6targetE1EEEvT1_,@function
_ZN7rocprim17ROCPRIM_400000_NS6detail17trampoline_kernelINS0_14default_configENS1_25partition_config_selectorILNS1_17partition_subalgoE2EiNS0_10empty_typeEbEEZZNS1_14partition_implILS5_2ELb0ES3_jN6thrust23THRUST_200600_302600_NS6detail15normal_iteratorINSA_7pointerIiNSA_11hip_rocprim3tagENSA_11use_defaultESG_EEEEPS6_NSA_18transform_iteratorINSA_8identityIiEENSC_INSA_10device_ptrIiEEEESG_SG_EENS0_5tupleIJPiSJ_EEENSR_IJSJ_SJ_EEES6_PlJS6_EEE10hipError_tPvRmT3_T4_T5_T6_T7_T9_mT8_P12ihipStream_tbDpT10_ENKUlT_T0_E_clISt17integral_constantIbLb0EES1F_EEDaS1A_S1B_EUlS1A_E_NS1_11comp_targetILNS1_3genE2ELNS1_11target_archE906ELNS1_3gpuE6ELNS1_3repE0EEENS1_30default_config_static_selectorELNS0_4arch9wavefront6targetE1EEEvT1_: ; @_ZN7rocprim17ROCPRIM_400000_NS6detail17trampoline_kernelINS0_14default_configENS1_25partition_config_selectorILNS1_17partition_subalgoE2EiNS0_10empty_typeEbEEZZNS1_14partition_implILS5_2ELb0ES3_jN6thrust23THRUST_200600_302600_NS6detail15normal_iteratorINSA_7pointerIiNSA_11hip_rocprim3tagENSA_11use_defaultESG_EEEEPS6_NSA_18transform_iteratorINSA_8identityIiEENSC_INSA_10device_ptrIiEEEESG_SG_EENS0_5tupleIJPiSJ_EEENSR_IJSJ_SJ_EEES6_PlJS6_EEE10hipError_tPvRmT3_T4_T5_T6_T7_T9_mT8_P12ihipStream_tbDpT10_ENKUlT_T0_E_clISt17integral_constantIbLb0EES1F_EEDaS1A_S1B_EUlS1A_E_NS1_11comp_targetILNS1_3genE2ELNS1_11target_archE906ELNS1_3gpuE6ELNS1_3repE0EEENS1_30default_config_static_selectorELNS0_4arch9wavefront6targetE1EEEvT1_
; %bb.0:
	.section	.rodata,"a",@progbits
	.p2align	6, 0x0
	.amdhsa_kernel _ZN7rocprim17ROCPRIM_400000_NS6detail17trampoline_kernelINS0_14default_configENS1_25partition_config_selectorILNS1_17partition_subalgoE2EiNS0_10empty_typeEbEEZZNS1_14partition_implILS5_2ELb0ES3_jN6thrust23THRUST_200600_302600_NS6detail15normal_iteratorINSA_7pointerIiNSA_11hip_rocprim3tagENSA_11use_defaultESG_EEEEPS6_NSA_18transform_iteratorINSA_8identityIiEENSC_INSA_10device_ptrIiEEEESG_SG_EENS0_5tupleIJPiSJ_EEENSR_IJSJ_SJ_EEES6_PlJS6_EEE10hipError_tPvRmT3_T4_T5_T6_T7_T9_mT8_P12ihipStream_tbDpT10_ENKUlT_T0_E_clISt17integral_constantIbLb0EES1F_EEDaS1A_S1B_EUlS1A_E_NS1_11comp_targetILNS1_3genE2ELNS1_11target_archE906ELNS1_3gpuE6ELNS1_3repE0EEENS1_30default_config_static_selectorELNS0_4arch9wavefront6targetE1EEEvT1_
		.amdhsa_group_segment_fixed_size 0
		.amdhsa_private_segment_fixed_size 0
		.amdhsa_kernarg_size 128
		.amdhsa_user_sgpr_count 2
		.amdhsa_user_sgpr_dispatch_ptr 0
		.amdhsa_user_sgpr_queue_ptr 0
		.amdhsa_user_sgpr_kernarg_segment_ptr 1
		.amdhsa_user_sgpr_dispatch_id 0
		.amdhsa_user_sgpr_kernarg_preload_length 0
		.amdhsa_user_sgpr_kernarg_preload_offset 0
		.amdhsa_user_sgpr_private_segment_size 0
		.amdhsa_uses_dynamic_stack 0
		.amdhsa_enable_private_segment 0
		.amdhsa_system_sgpr_workgroup_id_x 1
		.amdhsa_system_sgpr_workgroup_id_y 0
		.amdhsa_system_sgpr_workgroup_id_z 0
		.amdhsa_system_sgpr_workgroup_info 0
		.amdhsa_system_vgpr_workitem_id 0
		.amdhsa_next_free_vgpr 1
		.amdhsa_next_free_sgpr 0
		.amdhsa_accum_offset 4
		.amdhsa_reserve_vcc 0
		.amdhsa_float_round_mode_32 0
		.amdhsa_float_round_mode_16_64 0
		.amdhsa_float_denorm_mode_32 3
		.amdhsa_float_denorm_mode_16_64 3
		.amdhsa_dx10_clamp 1
		.amdhsa_ieee_mode 1
		.amdhsa_fp16_overflow 0
		.amdhsa_tg_split 0
		.amdhsa_exception_fp_ieee_invalid_op 0
		.amdhsa_exception_fp_denorm_src 0
		.amdhsa_exception_fp_ieee_div_zero 0
		.amdhsa_exception_fp_ieee_overflow 0
		.amdhsa_exception_fp_ieee_underflow 0
		.amdhsa_exception_fp_ieee_inexact 0
		.amdhsa_exception_int_div_zero 0
	.end_amdhsa_kernel
	.section	.text._ZN7rocprim17ROCPRIM_400000_NS6detail17trampoline_kernelINS0_14default_configENS1_25partition_config_selectorILNS1_17partition_subalgoE2EiNS0_10empty_typeEbEEZZNS1_14partition_implILS5_2ELb0ES3_jN6thrust23THRUST_200600_302600_NS6detail15normal_iteratorINSA_7pointerIiNSA_11hip_rocprim3tagENSA_11use_defaultESG_EEEEPS6_NSA_18transform_iteratorINSA_8identityIiEENSC_INSA_10device_ptrIiEEEESG_SG_EENS0_5tupleIJPiSJ_EEENSR_IJSJ_SJ_EEES6_PlJS6_EEE10hipError_tPvRmT3_T4_T5_T6_T7_T9_mT8_P12ihipStream_tbDpT10_ENKUlT_T0_E_clISt17integral_constantIbLb0EES1F_EEDaS1A_S1B_EUlS1A_E_NS1_11comp_targetILNS1_3genE2ELNS1_11target_archE906ELNS1_3gpuE6ELNS1_3repE0EEENS1_30default_config_static_selectorELNS0_4arch9wavefront6targetE1EEEvT1_,"axG",@progbits,_ZN7rocprim17ROCPRIM_400000_NS6detail17trampoline_kernelINS0_14default_configENS1_25partition_config_selectorILNS1_17partition_subalgoE2EiNS0_10empty_typeEbEEZZNS1_14partition_implILS5_2ELb0ES3_jN6thrust23THRUST_200600_302600_NS6detail15normal_iteratorINSA_7pointerIiNSA_11hip_rocprim3tagENSA_11use_defaultESG_EEEEPS6_NSA_18transform_iteratorINSA_8identityIiEENSC_INSA_10device_ptrIiEEEESG_SG_EENS0_5tupleIJPiSJ_EEENSR_IJSJ_SJ_EEES6_PlJS6_EEE10hipError_tPvRmT3_T4_T5_T6_T7_T9_mT8_P12ihipStream_tbDpT10_ENKUlT_T0_E_clISt17integral_constantIbLb0EES1F_EEDaS1A_S1B_EUlS1A_E_NS1_11comp_targetILNS1_3genE2ELNS1_11target_archE906ELNS1_3gpuE6ELNS1_3repE0EEENS1_30default_config_static_selectorELNS0_4arch9wavefront6targetE1EEEvT1_,comdat
.Lfunc_end517:
	.size	_ZN7rocprim17ROCPRIM_400000_NS6detail17trampoline_kernelINS0_14default_configENS1_25partition_config_selectorILNS1_17partition_subalgoE2EiNS0_10empty_typeEbEEZZNS1_14partition_implILS5_2ELb0ES3_jN6thrust23THRUST_200600_302600_NS6detail15normal_iteratorINSA_7pointerIiNSA_11hip_rocprim3tagENSA_11use_defaultESG_EEEEPS6_NSA_18transform_iteratorINSA_8identityIiEENSC_INSA_10device_ptrIiEEEESG_SG_EENS0_5tupleIJPiSJ_EEENSR_IJSJ_SJ_EEES6_PlJS6_EEE10hipError_tPvRmT3_T4_T5_T6_T7_T9_mT8_P12ihipStream_tbDpT10_ENKUlT_T0_E_clISt17integral_constantIbLb0EES1F_EEDaS1A_S1B_EUlS1A_E_NS1_11comp_targetILNS1_3genE2ELNS1_11target_archE906ELNS1_3gpuE6ELNS1_3repE0EEENS1_30default_config_static_selectorELNS0_4arch9wavefront6targetE1EEEvT1_, .Lfunc_end517-_ZN7rocprim17ROCPRIM_400000_NS6detail17trampoline_kernelINS0_14default_configENS1_25partition_config_selectorILNS1_17partition_subalgoE2EiNS0_10empty_typeEbEEZZNS1_14partition_implILS5_2ELb0ES3_jN6thrust23THRUST_200600_302600_NS6detail15normal_iteratorINSA_7pointerIiNSA_11hip_rocprim3tagENSA_11use_defaultESG_EEEEPS6_NSA_18transform_iteratorINSA_8identityIiEENSC_INSA_10device_ptrIiEEEESG_SG_EENS0_5tupleIJPiSJ_EEENSR_IJSJ_SJ_EEES6_PlJS6_EEE10hipError_tPvRmT3_T4_T5_T6_T7_T9_mT8_P12ihipStream_tbDpT10_ENKUlT_T0_E_clISt17integral_constantIbLb0EES1F_EEDaS1A_S1B_EUlS1A_E_NS1_11comp_targetILNS1_3genE2ELNS1_11target_archE906ELNS1_3gpuE6ELNS1_3repE0EEENS1_30default_config_static_selectorELNS0_4arch9wavefront6targetE1EEEvT1_
                                        ; -- End function
	.section	.AMDGPU.csdata,"",@progbits
; Kernel info:
; codeLenInByte = 0
; NumSgprs: 6
; NumVgprs: 0
; NumAgprs: 0
; TotalNumVgprs: 0
; ScratchSize: 0
; MemoryBound: 0
; FloatMode: 240
; IeeeMode: 1
; LDSByteSize: 0 bytes/workgroup (compile time only)
; SGPRBlocks: 0
; VGPRBlocks: 0
; NumSGPRsForWavesPerEU: 6
; NumVGPRsForWavesPerEU: 1
; AccumOffset: 4
; Occupancy: 8
; WaveLimiterHint : 0
; COMPUTE_PGM_RSRC2:SCRATCH_EN: 0
; COMPUTE_PGM_RSRC2:USER_SGPR: 2
; COMPUTE_PGM_RSRC2:TRAP_HANDLER: 0
; COMPUTE_PGM_RSRC2:TGID_X_EN: 1
; COMPUTE_PGM_RSRC2:TGID_Y_EN: 0
; COMPUTE_PGM_RSRC2:TGID_Z_EN: 0
; COMPUTE_PGM_RSRC2:TIDIG_COMP_CNT: 0
; COMPUTE_PGM_RSRC3_GFX90A:ACCUM_OFFSET: 0
; COMPUTE_PGM_RSRC3_GFX90A:TG_SPLIT: 0
	.section	.text._ZN7rocprim17ROCPRIM_400000_NS6detail17trampoline_kernelINS0_14default_configENS1_25partition_config_selectorILNS1_17partition_subalgoE2EiNS0_10empty_typeEbEEZZNS1_14partition_implILS5_2ELb0ES3_jN6thrust23THRUST_200600_302600_NS6detail15normal_iteratorINSA_7pointerIiNSA_11hip_rocprim3tagENSA_11use_defaultESG_EEEEPS6_NSA_18transform_iteratorINSA_8identityIiEENSC_INSA_10device_ptrIiEEEESG_SG_EENS0_5tupleIJPiSJ_EEENSR_IJSJ_SJ_EEES6_PlJS6_EEE10hipError_tPvRmT3_T4_T5_T6_T7_T9_mT8_P12ihipStream_tbDpT10_ENKUlT_T0_E_clISt17integral_constantIbLb0EES1F_EEDaS1A_S1B_EUlS1A_E_NS1_11comp_targetILNS1_3genE10ELNS1_11target_archE1200ELNS1_3gpuE4ELNS1_3repE0EEENS1_30default_config_static_selectorELNS0_4arch9wavefront6targetE1EEEvT1_,"axG",@progbits,_ZN7rocprim17ROCPRIM_400000_NS6detail17trampoline_kernelINS0_14default_configENS1_25partition_config_selectorILNS1_17partition_subalgoE2EiNS0_10empty_typeEbEEZZNS1_14partition_implILS5_2ELb0ES3_jN6thrust23THRUST_200600_302600_NS6detail15normal_iteratorINSA_7pointerIiNSA_11hip_rocprim3tagENSA_11use_defaultESG_EEEEPS6_NSA_18transform_iteratorINSA_8identityIiEENSC_INSA_10device_ptrIiEEEESG_SG_EENS0_5tupleIJPiSJ_EEENSR_IJSJ_SJ_EEES6_PlJS6_EEE10hipError_tPvRmT3_T4_T5_T6_T7_T9_mT8_P12ihipStream_tbDpT10_ENKUlT_T0_E_clISt17integral_constantIbLb0EES1F_EEDaS1A_S1B_EUlS1A_E_NS1_11comp_targetILNS1_3genE10ELNS1_11target_archE1200ELNS1_3gpuE4ELNS1_3repE0EEENS1_30default_config_static_selectorELNS0_4arch9wavefront6targetE1EEEvT1_,comdat
	.protected	_ZN7rocprim17ROCPRIM_400000_NS6detail17trampoline_kernelINS0_14default_configENS1_25partition_config_selectorILNS1_17partition_subalgoE2EiNS0_10empty_typeEbEEZZNS1_14partition_implILS5_2ELb0ES3_jN6thrust23THRUST_200600_302600_NS6detail15normal_iteratorINSA_7pointerIiNSA_11hip_rocprim3tagENSA_11use_defaultESG_EEEEPS6_NSA_18transform_iteratorINSA_8identityIiEENSC_INSA_10device_ptrIiEEEESG_SG_EENS0_5tupleIJPiSJ_EEENSR_IJSJ_SJ_EEES6_PlJS6_EEE10hipError_tPvRmT3_T4_T5_T6_T7_T9_mT8_P12ihipStream_tbDpT10_ENKUlT_T0_E_clISt17integral_constantIbLb0EES1F_EEDaS1A_S1B_EUlS1A_E_NS1_11comp_targetILNS1_3genE10ELNS1_11target_archE1200ELNS1_3gpuE4ELNS1_3repE0EEENS1_30default_config_static_selectorELNS0_4arch9wavefront6targetE1EEEvT1_ ; -- Begin function _ZN7rocprim17ROCPRIM_400000_NS6detail17trampoline_kernelINS0_14default_configENS1_25partition_config_selectorILNS1_17partition_subalgoE2EiNS0_10empty_typeEbEEZZNS1_14partition_implILS5_2ELb0ES3_jN6thrust23THRUST_200600_302600_NS6detail15normal_iteratorINSA_7pointerIiNSA_11hip_rocprim3tagENSA_11use_defaultESG_EEEEPS6_NSA_18transform_iteratorINSA_8identityIiEENSC_INSA_10device_ptrIiEEEESG_SG_EENS0_5tupleIJPiSJ_EEENSR_IJSJ_SJ_EEES6_PlJS6_EEE10hipError_tPvRmT3_T4_T5_T6_T7_T9_mT8_P12ihipStream_tbDpT10_ENKUlT_T0_E_clISt17integral_constantIbLb0EES1F_EEDaS1A_S1B_EUlS1A_E_NS1_11comp_targetILNS1_3genE10ELNS1_11target_archE1200ELNS1_3gpuE4ELNS1_3repE0EEENS1_30default_config_static_selectorELNS0_4arch9wavefront6targetE1EEEvT1_
	.globl	_ZN7rocprim17ROCPRIM_400000_NS6detail17trampoline_kernelINS0_14default_configENS1_25partition_config_selectorILNS1_17partition_subalgoE2EiNS0_10empty_typeEbEEZZNS1_14partition_implILS5_2ELb0ES3_jN6thrust23THRUST_200600_302600_NS6detail15normal_iteratorINSA_7pointerIiNSA_11hip_rocprim3tagENSA_11use_defaultESG_EEEEPS6_NSA_18transform_iteratorINSA_8identityIiEENSC_INSA_10device_ptrIiEEEESG_SG_EENS0_5tupleIJPiSJ_EEENSR_IJSJ_SJ_EEES6_PlJS6_EEE10hipError_tPvRmT3_T4_T5_T6_T7_T9_mT8_P12ihipStream_tbDpT10_ENKUlT_T0_E_clISt17integral_constantIbLb0EES1F_EEDaS1A_S1B_EUlS1A_E_NS1_11comp_targetILNS1_3genE10ELNS1_11target_archE1200ELNS1_3gpuE4ELNS1_3repE0EEENS1_30default_config_static_selectorELNS0_4arch9wavefront6targetE1EEEvT1_
	.p2align	8
	.type	_ZN7rocprim17ROCPRIM_400000_NS6detail17trampoline_kernelINS0_14default_configENS1_25partition_config_selectorILNS1_17partition_subalgoE2EiNS0_10empty_typeEbEEZZNS1_14partition_implILS5_2ELb0ES3_jN6thrust23THRUST_200600_302600_NS6detail15normal_iteratorINSA_7pointerIiNSA_11hip_rocprim3tagENSA_11use_defaultESG_EEEEPS6_NSA_18transform_iteratorINSA_8identityIiEENSC_INSA_10device_ptrIiEEEESG_SG_EENS0_5tupleIJPiSJ_EEENSR_IJSJ_SJ_EEES6_PlJS6_EEE10hipError_tPvRmT3_T4_T5_T6_T7_T9_mT8_P12ihipStream_tbDpT10_ENKUlT_T0_E_clISt17integral_constantIbLb0EES1F_EEDaS1A_S1B_EUlS1A_E_NS1_11comp_targetILNS1_3genE10ELNS1_11target_archE1200ELNS1_3gpuE4ELNS1_3repE0EEENS1_30default_config_static_selectorELNS0_4arch9wavefront6targetE1EEEvT1_,@function
_ZN7rocprim17ROCPRIM_400000_NS6detail17trampoline_kernelINS0_14default_configENS1_25partition_config_selectorILNS1_17partition_subalgoE2EiNS0_10empty_typeEbEEZZNS1_14partition_implILS5_2ELb0ES3_jN6thrust23THRUST_200600_302600_NS6detail15normal_iteratorINSA_7pointerIiNSA_11hip_rocprim3tagENSA_11use_defaultESG_EEEEPS6_NSA_18transform_iteratorINSA_8identityIiEENSC_INSA_10device_ptrIiEEEESG_SG_EENS0_5tupleIJPiSJ_EEENSR_IJSJ_SJ_EEES6_PlJS6_EEE10hipError_tPvRmT3_T4_T5_T6_T7_T9_mT8_P12ihipStream_tbDpT10_ENKUlT_T0_E_clISt17integral_constantIbLb0EES1F_EEDaS1A_S1B_EUlS1A_E_NS1_11comp_targetILNS1_3genE10ELNS1_11target_archE1200ELNS1_3gpuE4ELNS1_3repE0EEENS1_30default_config_static_selectorELNS0_4arch9wavefront6targetE1EEEvT1_: ; @_ZN7rocprim17ROCPRIM_400000_NS6detail17trampoline_kernelINS0_14default_configENS1_25partition_config_selectorILNS1_17partition_subalgoE2EiNS0_10empty_typeEbEEZZNS1_14partition_implILS5_2ELb0ES3_jN6thrust23THRUST_200600_302600_NS6detail15normal_iteratorINSA_7pointerIiNSA_11hip_rocprim3tagENSA_11use_defaultESG_EEEEPS6_NSA_18transform_iteratorINSA_8identityIiEENSC_INSA_10device_ptrIiEEEESG_SG_EENS0_5tupleIJPiSJ_EEENSR_IJSJ_SJ_EEES6_PlJS6_EEE10hipError_tPvRmT3_T4_T5_T6_T7_T9_mT8_P12ihipStream_tbDpT10_ENKUlT_T0_E_clISt17integral_constantIbLb0EES1F_EEDaS1A_S1B_EUlS1A_E_NS1_11comp_targetILNS1_3genE10ELNS1_11target_archE1200ELNS1_3gpuE4ELNS1_3repE0EEENS1_30default_config_static_selectorELNS0_4arch9wavefront6targetE1EEEvT1_
; %bb.0:
	.section	.rodata,"a",@progbits
	.p2align	6, 0x0
	.amdhsa_kernel _ZN7rocprim17ROCPRIM_400000_NS6detail17trampoline_kernelINS0_14default_configENS1_25partition_config_selectorILNS1_17partition_subalgoE2EiNS0_10empty_typeEbEEZZNS1_14partition_implILS5_2ELb0ES3_jN6thrust23THRUST_200600_302600_NS6detail15normal_iteratorINSA_7pointerIiNSA_11hip_rocprim3tagENSA_11use_defaultESG_EEEEPS6_NSA_18transform_iteratorINSA_8identityIiEENSC_INSA_10device_ptrIiEEEESG_SG_EENS0_5tupleIJPiSJ_EEENSR_IJSJ_SJ_EEES6_PlJS6_EEE10hipError_tPvRmT3_T4_T5_T6_T7_T9_mT8_P12ihipStream_tbDpT10_ENKUlT_T0_E_clISt17integral_constantIbLb0EES1F_EEDaS1A_S1B_EUlS1A_E_NS1_11comp_targetILNS1_3genE10ELNS1_11target_archE1200ELNS1_3gpuE4ELNS1_3repE0EEENS1_30default_config_static_selectorELNS0_4arch9wavefront6targetE1EEEvT1_
		.amdhsa_group_segment_fixed_size 0
		.amdhsa_private_segment_fixed_size 0
		.amdhsa_kernarg_size 128
		.amdhsa_user_sgpr_count 2
		.amdhsa_user_sgpr_dispatch_ptr 0
		.amdhsa_user_sgpr_queue_ptr 0
		.amdhsa_user_sgpr_kernarg_segment_ptr 1
		.amdhsa_user_sgpr_dispatch_id 0
		.amdhsa_user_sgpr_kernarg_preload_length 0
		.amdhsa_user_sgpr_kernarg_preload_offset 0
		.amdhsa_user_sgpr_private_segment_size 0
		.amdhsa_uses_dynamic_stack 0
		.amdhsa_enable_private_segment 0
		.amdhsa_system_sgpr_workgroup_id_x 1
		.amdhsa_system_sgpr_workgroup_id_y 0
		.amdhsa_system_sgpr_workgroup_id_z 0
		.amdhsa_system_sgpr_workgroup_info 0
		.amdhsa_system_vgpr_workitem_id 0
		.amdhsa_next_free_vgpr 1
		.amdhsa_next_free_sgpr 0
		.amdhsa_accum_offset 4
		.amdhsa_reserve_vcc 0
		.amdhsa_float_round_mode_32 0
		.amdhsa_float_round_mode_16_64 0
		.amdhsa_float_denorm_mode_32 3
		.amdhsa_float_denorm_mode_16_64 3
		.amdhsa_dx10_clamp 1
		.amdhsa_ieee_mode 1
		.amdhsa_fp16_overflow 0
		.amdhsa_tg_split 0
		.amdhsa_exception_fp_ieee_invalid_op 0
		.amdhsa_exception_fp_denorm_src 0
		.amdhsa_exception_fp_ieee_div_zero 0
		.amdhsa_exception_fp_ieee_overflow 0
		.amdhsa_exception_fp_ieee_underflow 0
		.amdhsa_exception_fp_ieee_inexact 0
		.amdhsa_exception_int_div_zero 0
	.end_amdhsa_kernel
	.section	.text._ZN7rocprim17ROCPRIM_400000_NS6detail17trampoline_kernelINS0_14default_configENS1_25partition_config_selectorILNS1_17partition_subalgoE2EiNS0_10empty_typeEbEEZZNS1_14partition_implILS5_2ELb0ES3_jN6thrust23THRUST_200600_302600_NS6detail15normal_iteratorINSA_7pointerIiNSA_11hip_rocprim3tagENSA_11use_defaultESG_EEEEPS6_NSA_18transform_iteratorINSA_8identityIiEENSC_INSA_10device_ptrIiEEEESG_SG_EENS0_5tupleIJPiSJ_EEENSR_IJSJ_SJ_EEES6_PlJS6_EEE10hipError_tPvRmT3_T4_T5_T6_T7_T9_mT8_P12ihipStream_tbDpT10_ENKUlT_T0_E_clISt17integral_constantIbLb0EES1F_EEDaS1A_S1B_EUlS1A_E_NS1_11comp_targetILNS1_3genE10ELNS1_11target_archE1200ELNS1_3gpuE4ELNS1_3repE0EEENS1_30default_config_static_selectorELNS0_4arch9wavefront6targetE1EEEvT1_,"axG",@progbits,_ZN7rocprim17ROCPRIM_400000_NS6detail17trampoline_kernelINS0_14default_configENS1_25partition_config_selectorILNS1_17partition_subalgoE2EiNS0_10empty_typeEbEEZZNS1_14partition_implILS5_2ELb0ES3_jN6thrust23THRUST_200600_302600_NS6detail15normal_iteratorINSA_7pointerIiNSA_11hip_rocprim3tagENSA_11use_defaultESG_EEEEPS6_NSA_18transform_iteratorINSA_8identityIiEENSC_INSA_10device_ptrIiEEEESG_SG_EENS0_5tupleIJPiSJ_EEENSR_IJSJ_SJ_EEES6_PlJS6_EEE10hipError_tPvRmT3_T4_T5_T6_T7_T9_mT8_P12ihipStream_tbDpT10_ENKUlT_T0_E_clISt17integral_constantIbLb0EES1F_EEDaS1A_S1B_EUlS1A_E_NS1_11comp_targetILNS1_3genE10ELNS1_11target_archE1200ELNS1_3gpuE4ELNS1_3repE0EEENS1_30default_config_static_selectorELNS0_4arch9wavefront6targetE1EEEvT1_,comdat
.Lfunc_end518:
	.size	_ZN7rocprim17ROCPRIM_400000_NS6detail17trampoline_kernelINS0_14default_configENS1_25partition_config_selectorILNS1_17partition_subalgoE2EiNS0_10empty_typeEbEEZZNS1_14partition_implILS5_2ELb0ES3_jN6thrust23THRUST_200600_302600_NS6detail15normal_iteratorINSA_7pointerIiNSA_11hip_rocprim3tagENSA_11use_defaultESG_EEEEPS6_NSA_18transform_iteratorINSA_8identityIiEENSC_INSA_10device_ptrIiEEEESG_SG_EENS0_5tupleIJPiSJ_EEENSR_IJSJ_SJ_EEES6_PlJS6_EEE10hipError_tPvRmT3_T4_T5_T6_T7_T9_mT8_P12ihipStream_tbDpT10_ENKUlT_T0_E_clISt17integral_constantIbLb0EES1F_EEDaS1A_S1B_EUlS1A_E_NS1_11comp_targetILNS1_3genE10ELNS1_11target_archE1200ELNS1_3gpuE4ELNS1_3repE0EEENS1_30default_config_static_selectorELNS0_4arch9wavefront6targetE1EEEvT1_, .Lfunc_end518-_ZN7rocprim17ROCPRIM_400000_NS6detail17trampoline_kernelINS0_14default_configENS1_25partition_config_selectorILNS1_17partition_subalgoE2EiNS0_10empty_typeEbEEZZNS1_14partition_implILS5_2ELb0ES3_jN6thrust23THRUST_200600_302600_NS6detail15normal_iteratorINSA_7pointerIiNSA_11hip_rocprim3tagENSA_11use_defaultESG_EEEEPS6_NSA_18transform_iteratorINSA_8identityIiEENSC_INSA_10device_ptrIiEEEESG_SG_EENS0_5tupleIJPiSJ_EEENSR_IJSJ_SJ_EEES6_PlJS6_EEE10hipError_tPvRmT3_T4_T5_T6_T7_T9_mT8_P12ihipStream_tbDpT10_ENKUlT_T0_E_clISt17integral_constantIbLb0EES1F_EEDaS1A_S1B_EUlS1A_E_NS1_11comp_targetILNS1_3genE10ELNS1_11target_archE1200ELNS1_3gpuE4ELNS1_3repE0EEENS1_30default_config_static_selectorELNS0_4arch9wavefront6targetE1EEEvT1_
                                        ; -- End function
	.section	.AMDGPU.csdata,"",@progbits
; Kernel info:
; codeLenInByte = 0
; NumSgprs: 6
; NumVgprs: 0
; NumAgprs: 0
; TotalNumVgprs: 0
; ScratchSize: 0
; MemoryBound: 0
; FloatMode: 240
; IeeeMode: 1
; LDSByteSize: 0 bytes/workgroup (compile time only)
; SGPRBlocks: 0
; VGPRBlocks: 0
; NumSGPRsForWavesPerEU: 6
; NumVGPRsForWavesPerEU: 1
; AccumOffset: 4
; Occupancy: 8
; WaveLimiterHint : 0
; COMPUTE_PGM_RSRC2:SCRATCH_EN: 0
; COMPUTE_PGM_RSRC2:USER_SGPR: 2
; COMPUTE_PGM_RSRC2:TRAP_HANDLER: 0
; COMPUTE_PGM_RSRC2:TGID_X_EN: 1
; COMPUTE_PGM_RSRC2:TGID_Y_EN: 0
; COMPUTE_PGM_RSRC2:TGID_Z_EN: 0
; COMPUTE_PGM_RSRC2:TIDIG_COMP_CNT: 0
; COMPUTE_PGM_RSRC3_GFX90A:ACCUM_OFFSET: 0
; COMPUTE_PGM_RSRC3_GFX90A:TG_SPLIT: 0
	.section	.text._ZN7rocprim17ROCPRIM_400000_NS6detail17trampoline_kernelINS0_14default_configENS1_25partition_config_selectorILNS1_17partition_subalgoE2EiNS0_10empty_typeEbEEZZNS1_14partition_implILS5_2ELb0ES3_jN6thrust23THRUST_200600_302600_NS6detail15normal_iteratorINSA_7pointerIiNSA_11hip_rocprim3tagENSA_11use_defaultESG_EEEEPS6_NSA_18transform_iteratorINSA_8identityIiEENSC_INSA_10device_ptrIiEEEESG_SG_EENS0_5tupleIJPiSJ_EEENSR_IJSJ_SJ_EEES6_PlJS6_EEE10hipError_tPvRmT3_T4_T5_T6_T7_T9_mT8_P12ihipStream_tbDpT10_ENKUlT_T0_E_clISt17integral_constantIbLb0EES1F_EEDaS1A_S1B_EUlS1A_E_NS1_11comp_targetILNS1_3genE9ELNS1_11target_archE1100ELNS1_3gpuE3ELNS1_3repE0EEENS1_30default_config_static_selectorELNS0_4arch9wavefront6targetE1EEEvT1_,"axG",@progbits,_ZN7rocprim17ROCPRIM_400000_NS6detail17trampoline_kernelINS0_14default_configENS1_25partition_config_selectorILNS1_17partition_subalgoE2EiNS0_10empty_typeEbEEZZNS1_14partition_implILS5_2ELb0ES3_jN6thrust23THRUST_200600_302600_NS6detail15normal_iteratorINSA_7pointerIiNSA_11hip_rocprim3tagENSA_11use_defaultESG_EEEEPS6_NSA_18transform_iteratorINSA_8identityIiEENSC_INSA_10device_ptrIiEEEESG_SG_EENS0_5tupleIJPiSJ_EEENSR_IJSJ_SJ_EEES6_PlJS6_EEE10hipError_tPvRmT3_T4_T5_T6_T7_T9_mT8_P12ihipStream_tbDpT10_ENKUlT_T0_E_clISt17integral_constantIbLb0EES1F_EEDaS1A_S1B_EUlS1A_E_NS1_11comp_targetILNS1_3genE9ELNS1_11target_archE1100ELNS1_3gpuE3ELNS1_3repE0EEENS1_30default_config_static_selectorELNS0_4arch9wavefront6targetE1EEEvT1_,comdat
	.protected	_ZN7rocprim17ROCPRIM_400000_NS6detail17trampoline_kernelINS0_14default_configENS1_25partition_config_selectorILNS1_17partition_subalgoE2EiNS0_10empty_typeEbEEZZNS1_14partition_implILS5_2ELb0ES3_jN6thrust23THRUST_200600_302600_NS6detail15normal_iteratorINSA_7pointerIiNSA_11hip_rocprim3tagENSA_11use_defaultESG_EEEEPS6_NSA_18transform_iteratorINSA_8identityIiEENSC_INSA_10device_ptrIiEEEESG_SG_EENS0_5tupleIJPiSJ_EEENSR_IJSJ_SJ_EEES6_PlJS6_EEE10hipError_tPvRmT3_T4_T5_T6_T7_T9_mT8_P12ihipStream_tbDpT10_ENKUlT_T0_E_clISt17integral_constantIbLb0EES1F_EEDaS1A_S1B_EUlS1A_E_NS1_11comp_targetILNS1_3genE9ELNS1_11target_archE1100ELNS1_3gpuE3ELNS1_3repE0EEENS1_30default_config_static_selectorELNS0_4arch9wavefront6targetE1EEEvT1_ ; -- Begin function _ZN7rocprim17ROCPRIM_400000_NS6detail17trampoline_kernelINS0_14default_configENS1_25partition_config_selectorILNS1_17partition_subalgoE2EiNS0_10empty_typeEbEEZZNS1_14partition_implILS5_2ELb0ES3_jN6thrust23THRUST_200600_302600_NS6detail15normal_iteratorINSA_7pointerIiNSA_11hip_rocprim3tagENSA_11use_defaultESG_EEEEPS6_NSA_18transform_iteratorINSA_8identityIiEENSC_INSA_10device_ptrIiEEEESG_SG_EENS0_5tupleIJPiSJ_EEENSR_IJSJ_SJ_EEES6_PlJS6_EEE10hipError_tPvRmT3_T4_T5_T6_T7_T9_mT8_P12ihipStream_tbDpT10_ENKUlT_T0_E_clISt17integral_constantIbLb0EES1F_EEDaS1A_S1B_EUlS1A_E_NS1_11comp_targetILNS1_3genE9ELNS1_11target_archE1100ELNS1_3gpuE3ELNS1_3repE0EEENS1_30default_config_static_selectorELNS0_4arch9wavefront6targetE1EEEvT1_
	.globl	_ZN7rocprim17ROCPRIM_400000_NS6detail17trampoline_kernelINS0_14default_configENS1_25partition_config_selectorILNS1_17partition_subalgoE2EiNS0_10empty_typeEbEEZZNS1_14partition_implILS5_2ELb0ES3_jN6thrust23THRUST_200600_302600_NS6detail15normal_iteratorINSA_7pointerIiNSA_11hip_rocprim3tagENSA_11use_defaultESG_EEEEPS6_NSA_18transform_iteratorINSA_8identityIiEENSC_INSA_10device_ptrIiEEEESG_SG_EENS0_5tupleIJPiSJ_EEENSR_IJSJ_SJ_EEES6_PlJS6_EEE10hipError_tPvRmT3_T4_T5_T6_T7_T9_mT8_P12ihipStream_tbDpT10_ENKUlT_T0_E_clISt17integral_constantIbLb0EES1F_EEDaS1A_S1B_EUlS1A_E_NS1_11comp_targetILNS1_3genE9ELNS1_11target_archE1100ELNS1_3gpuE3ELNS1_3repE0EEENS1_30default_config_static_selectorELNS0_4arch9wavefront6targetE1EEEvT1_
	.p2align	8
	.type	_ZN7rocprim17ROCPRIM_400000_NS6detail17trampoline_kernelINS0_14default_configENS1_25partition_config_selectorILNS1_17partition_subalgoE2EiNS0_10empty_typeEbEEZZNS1_14partition_implILS5_2ELb0ES3_jN6thrust23THRUST_200600_302600_NS6detail15normal_iteratorINSA_7pointerIiNSA_11hip_rocprim3tagENSA_11use_defaultESG_EEEEPS6_NSA_18transform_iteratorINSA_8identityIiEENSC_INSA_10device_ptrIiEEEESG_SG_EENS0_5tupleIJPiSJ_EEENSR_IJSJ_SJ_EEES6_PlJS6_EEE10hipError_tPvRmT3_T4_T5_T6_T7_T9_mT8_P12ihipStream_tbDpT10_ENKUlT_T0_E_clISt17integral_constantIbLb0EES1F_EEDaS1A_S1B_EUlS1A_E_NS1_11comp_targetILNS1_3genE9ELNS1_11target_archE1100ELNS1_3gpuE3ELNS1_3repE0EEENS1_30default_config_static_selectorELNS0_4arch9wavefront6targetE1EEEvT1_,@function
_ZN7rocprim17ROCPRIM_400000_NS6detail17trampoline_kernelINS0_14default_configENS1_25partition_config_selectorILNS1_17partition_subalgoE2EiNS0_10empty_typeEbEEZZNS1_14partition_implILS5_2ELb0ES3_jN6thrust23THRUST_200600_302600_NS6detail15normal_iteratorINSA_7pointerIiNSA_11hip_rocprim3tagENSA_11use_defaultESG_EEEEPS6_NSA_18transform_iteratorINSA_8identityIiEENSC_INSA_10device_ptrIiEEEESG_SG_EENS0_5tupleIJPiSJ_EEENSR_IJSJ_SJ_EEES6_PlJS6_EEE10hipError_tPvRmT3_T4_T5_T6_T7_T9_mT8_P12ihipStream_tbDpT10_ENKUlT_T0_E_clISt17integral_constantIbLb0EES1F_EEDaS1A_S1B_EUlS1A_E_NS1_11comp_targetILNS1_3genE9ELNS1_11target_archE1100ELNS1_3gpuE3ELNS1_3repE0EEENS1_30default_config_static_selectorELNS0_4arch9wavefront6targetE1EEEvT1_: ; @_ZN7rocprim17ROCPRIM_400000_NS6detail17trampoline_kernelINS0_14default_configENS1_25partition_config_selectorILNS1_17partition_subalgoE2EiNS0_10empty_typeEbEEZZNS1_14partition_implILS5_2ELb0ES3_jN6thrust23THRUST_200600_302600_NS6detail15normal_iteratorINSA_7pointerIiNSA_11hip_rocprim3tagENSA_11use_defaultESG_EEEEPS6_NSA_18transform_iteratorINSA_8identityIiEENSC_INSA_10device_ptrIiEEEESG_SG_EENS0_5tupleIJPiSJ_EEENSR_IJSJ_SJ_EEES6_PlJS6_EEE10hipError_tPvRmT3_T4_T5_T6_T7_T9_mT8_P12ihipStream_tbDpT10_ENKUlT_T0_E_clISt17integral_constantIbLb0EES1F_EEDaS1A_S1B_EUlS1A_E_NS1_11comp_targetILNS1_3genE9ELNS1_11target_archE1100ELNS1_3gpuE3ELNS1_3repE0EEENS1_30default_config_static_selectorELNS0_4arch9wavefront6targetE1EEEvT1_
; %bb.0:
	.section	.rodata,"a",@progbits
	.p2align	6, 0x0
	.amdhsa_kernel _ZN7rocprim17ROCPRIM_400000_NS6detail17trampoline_kernelINS0_14default_configENS1_25partition_config_selectorILNS1_17partition_subalgoE2EiNS0_10empty_typeEbEEZZNS1_14partition_implILS5_2ELb0ES3_jN6thrust23THRUST_200600_302600_NS6detail15normal_iteratorINSA_7pointerIiNSA_11hip_rocprim3tagENSA_11use_defaultESG_EEEEPS6_NSA_18transform_iteratorINSA_8identityIiEENSC_INSA_10device_ptrIiEEEESG_SG_EENS0_5tupleIJPiSJ_EEENSR_IJSJ_SJ_EEES6_PlJS6_EEE10hipError_tPvRmT3_T4_T5_T6_T7_T9_mT8_P12ihipStream_tbDpT10_ENKUlT_T0_E_clISt17integral_constantIbLb0EES1F_EEDaS1A_S1B_EUlS1A_E_NS1_11comp_targetILNS1_3genE9ELNS1_11target_archE1100ELNS1_3gpuE3ELNS1_3repE0EEENS1_30default_config_static_selectorELNS0_4arch9wavefront6targetE1EEEvT1_
		.amdhsa_group_segment_fixed_size 0
		.amdhsa_private_segment_fixed_size 0
		.amdhsa_kernarg_size 128
		.amdhsa_user_sgpr_count 2
		.amdhsa_user_sgpr_dispatch_ptr 0
		.amdhsa_user_sgpr_queue_ptr 0
		.amdhsa_user_sgpr_kernarg_segment_ptr 1
		.amdhsa_user_sgpr_dispatch_id 0
		.amdhsa_user_sgpr_kernarg_preload_length 0
		.amdhsa_user_sgpr_kernarg_preload_offset 0
		.amdhsa_user_sgpr_private_segment_size 0
		.amdhsa_uses_dynamic_stack 0
		.amdhsa_enable_private_segment 0
		.amdhsa_system_sgpr_workgroup_id_x 1
		.amdhsa_system_sgpr_workgroup_id_y 0
		.amdhsa_system_sgpr_workgroup_id_z 0
		.amdhsa_system_sgpr_workgroup_info 0
		.amdhsa_system_vgpr_workitem_id 0
		.amdhsa_next_free_vgpr 1
		.amdhsa_next_free_sgpr 0
		.amdhsa_accum_offset 4
		.amdhsa_reserve_vcc 0
		.amdhsa_float_round_mode_32 0
		.amdhsa_float_round_mode_16_64 0
		.amdhsa_float_denorm_mode_32 3
		.amdhsa_float_denorm_mode_16_64 3
		.amdhsa_dx10_clamp 1
		.amdhsa_ieee_mode 1
		.amdhsa_fp16_overflow 0
		.amdhsa_tg_split 0
		.amdhsa_exception_fp_ieee_invalid_op 0
		.amdhsa_exception_fp_denorm_src 0
		.amdhsa_exception_fp_ieee_div_zero 0
		.amdhsa_exception_fp_ieee_overflow 0
		.amdhsa_exception_fp_ieee_underflow 0
		.amdhsa_exception_fp_ieee_inexact 0
		.amdhsa_exception_int_div_zero 0
	.end_amdhsa_kernel
	.section	.text._ZN7rocprim17ROCPRIM_400000_NS6detail17trampoline_kernelINS0_14default_configENS1_25partition_config_selectorILNS1_17partition_subalgoE2EiNS0_10empty_typeEbEEZZNS1_14partition_implILS5_2ELb0ES3_jN6thrust23THRUST_200600_302600_NS6detail15normal_iteratorINSA_7pointerIiNSA_11hip_rocprim3tagENSA_11use_defaultESG_EEEEPS6_NSA_18transform_iteratorINSA_8identityIiEENSC_INSA_10device_ptrIiEEEESG_SG_EENS0_5tupleIJPiSJ_EEENSR_IJSJ_SJ_EEES6_PlJS6_EEE10hipError_tPvRmT3_T4_T5_T6_T7_T9_mT8_P12ihipStream_tbDpT10_ENKUlT_T0_E_clISt17integral_constantIbLb0EES1F_EEDaS1A_S1B_EUlS1A_E_NS1_11comp_targetILNS1_3genE9ELNS1_11target_archE1100ELNS1_3gpuE3ELNS1_3repE0EEENS1_30default_config_static_selectorELNS0_4arch9wavefront6targetE1EEEvT1_,"axG",@progbits,_ZN7rocprim17ROCPRIM_400000_NS6detail17trampoline_kernelINS0_14default_configENS1_25partition_config_selectorILNS1_17partition_subalgoE2EiNS0_10empty_typeEbEEZZNS1_14partition_implILS5_2ELb0ES3_jN6thrust23THRUST_200600_302600_NS6detail15normal_iteratorINSA_7pointerIiNSA_11hip_rocprim3tagENSA_11use_defaultESG_EEEEPS6_NSA_18transform_iteratorINSA_8identityIiEENSC_INSA_10device_ptrIiEEEESG_SG_EENS0_5tupleIJPiSJ_EEENSR_IJSJ_SJ_EEES6_PlJS6_EEE10hipError_tPvRmT3_T4_T5_T6_T7_T9_mT8_P12ihipStream_tbDpT10_ENKUlT_T0_E_clISt17integral_constantIbLb0EES1F_EEDaS1A_S1B_EUlS1A_E_NS1_11comp_targetILNS1_3genE9ELNS1_11target_archE1100ELNS1_3gpuE3ELNS1_3repE0EEENS1_30default_config_static_selectorELNS0_4arch9wavefront6targetE1EEEvT1_,comdat
.Lfunc_end519:
	.size	_ZN7rocprim17ROCPRIM_400000_NS6detail17trampoline_kernelINS0_14default_configENS1_25partition_config_selectorILNS1_17partition_subalgoE2EiNS0_10empty_typeEbEEZZNS1_14partition_implILS5_2ELb0ES3_jN6thrust23THRUST_200600_302600_NS6detail15normal_iteratorINSA_7pointerIiNSA_11hip_rocprim3tagENSA_11use_defaultESG_EEEEPS6_NSA_18transform_iteratorINSA_8identityIiEENSC_INSA_10device_ptrIiEEEESG_SG_EENS0_5tupleIJPiSJ_EEENSR_IJSJ_SJ_EEES6_PlJS6_EEE10hipError_tPvRmT3_T4_T5_T6_T7_T9_mT8_P12ihipStream_tbDpT10_ENKUlT_T0_E_clISt17integral_constantIbLb0EES1F_EEDaS1A_S1B_EUlS1A_E_NS1_11comp_targetILNS1_3genE9ELNS1_11target_archE1100ELNS1_3gpuE3ELNS1_3repE0EEENS1_30default_config_static_selectorELNS0_4arch9wavefront6targetE1EEEvT1_, .Lfunc_end519-_ZN7rocprim17ROCPRIM_400000_NS6detail17trampoline_kernelINS0_14default_configENS1_25partition_config_selectorILNS1_17partition_subalgoE2EiNS0_10empty_typeEbEEZZNS1_14partition_implILS5_2ELb0ES3_jN6thrust23THRUST_200600_302600_NS6detail15normal_iteratorINSA_7pointerIiNSA_11hip_rocprim3tagENSA_11use_defaultESG_EEEEPS6_NSA_18transform_iteratorINSA_8identityIiEENSC_INSA_10device_ptrIiEEEESG_SG_EENS0_5tupleIJPiSJ_EEENSR_IJSJ_SJ_EEES6_PlJS6_EEE10hipError_tPvRmT3_T4_T5_T6_T7_T9_mT8_P12ihipStream_tbDpT10_ENKUlT_T0_E_clISt17integral_constantIbLb0EES1F_EEDaS1A_S1B_EUlS1A_E_NS1_11comp_targetILNS1_3genE9ELNS1_11target_archE1100ELNS1_3gpuE3ELNS1_3repE0EEENS1_30default_config_static_selectorELNS0_4arch9wavefront6targetE1EEEvT1_
                                        ; -- End function
	.section	.AMDGPU.csdata,"",@progbits
; Kernel info:
; codeLenInByte = 0
; NumSgprs: 6
; NumVgprs: 0
; NumAgprs: 0
; TotalNumVgprs: 0
; ScratchSize: 0
; MemoryBound: 0
; FloatMode: 240
; IeeeMode: 1
; LDSByteSize: 0 bytes/workgroup (compile time only)
; SGPRBlocks: 0
; VGPRBlocks: 0
; NumSGPRsForWavesPerEU: 6
; NumVGPRsForWavesPerEU: 1
; AccumOffset: 4
; Occupancy: 8
; WaveLimiterHint : 0
; COMPUTE_PGM_RSRC2:SCRATCH_EN: 0
; COMPUTE_PGM_RSRC2:USER_SGPR: 2
; COMPUTE_PGM_RSRC2:TRAP_HANDLER: 0
; COMPUTE_PGM_RSRC2:TGID_X_EN: 1
; COMPUTE_PGM_RSRC2:TGID_Y_EN: 0
; COMPUTE_PGM_RSRC2:TGID_Z_EN: 0
; COMPUTE_PGM_RSRC2:TIDIG_COMP_CNT: 0
; COMPUTE_PGM_RSRC3_GFX90A:ACCUM_OFFSET: 0
; COMPUTE_PGM_RSRC3_GFX90A:TG_SPLIT: 0
	.section	.text._ZN7rocprim17ROCPRIM_400000_NS6detail17trampoline_kernelINS0_14default_configENS1_25partition_config_selectorILNS1_17partition_subalgoE2EiNS0_10empty_typeEbEEZZNS1_14partition_implILS5_2ELb0ES3_jN6thrust23THRUST_200600_302600_NS6detail15normal_iteratorINSA_7pointerIiNSA_11hip_rocprim3tagENSA_11use_defaultESG_EEEEPS6_NSA_18transform_iteratorINSA_8identityIiEENSC_INSA_10device_ptrIiEEEESG_SG_EENS0_5tupleIJPiSJ_EEENSR_IJSJ_SJ_EEES6_PlJS6_EEE10hipError_tPvRmT3_T4_T5_T6_T7_T9_mT8_P12ihipStream_tbDpT10_ENKUlT_T0_E_clISt17integral_constantIbLb0EES1F_EEDaS1A_S1B_EUlS1A_E_NS1_11comp_targetILNS1_3genE8ELNS1_11target_archE1030ELNS1_3gpuE2ELNS1_3repE0EEENS1_30default_config_static_selectorELNS0_4arch9wavefront6targetE1EEEvT1_,"axG",@progbits,_ZN7rocprim17ROCPRIM_400000_NS6detail17trampoline_kernelINS0_14default_configENS1_25partition_config_selectorILNS1_17partition_subalgoE2EiNS0_10empty_typeEbEEZZNS1_14partition_implILS5_2ELb0ES3_jN6thrust23THRUST_200600_302600_NS6detail15normal_iteratorINSA_7pointerIiNSA_11hip_rocprim3tagENSA_11use_defaultESG_EEEEPS6_NSA_18transform_iteratorINSA_8identityIiEENSC_INSA_10device_ptrIiEEEESG_SG_EENS0_5tupleIJPiSJ_EEENSR_IJSJ_SJ_EEES6_PlJS6_EEE10hipError_tPvRmT3_T4_T5_T6_T7_T9_mT8_P12ihipStream_tbDpT10_ENKUlT_T0_E_clISt17integral_constantIbLb0EES1F_EEDaS1A_S1B_EUlS1A_E_NS1_11comp_targetILNS1_3genE8ELNS1_11target_archE1030ELNS1_3gpuE2ELNS1_3repE0EEENS1_30default_config_static_selectorELNS0_4arch9wavefront6targetE1EEEvT1_,comdat
	.protected	_ZN7rocprim17ROCPRIM_400000_NS6detail17trampoline_kernelINS0_14default_configENS1_25partition_config_selectorILNS1_17partition_subalgoE2EiNS0_10empty_typeEbEEZZNS1_14partition_implILS5_2ELb0ES3_jN6thrust23THRUST_200600_302600_NS6detail15normal_iteratorINSA_7pointerIiNSA_11hip_rocprim3tagENSA_11use_defaultESG_EEEEPS6_NSA_18transform_iteratorINSA_8identityIiEENSC_INSA_10device_ptrIiEEEESG_SG_EENS0_5tupleIJPiSJ_EEENSR_IJSJ_SJ_EEES6_PlJS6_EEE10hipError_tPvRmT3_T4_T5_T6_T7_T9_mT8_P12ihipStream_tbDpT10_ENKUlT_T0_E_clISt17integral_constantIbLb0EES1F_EEDaS1A_S1B_EUlS1A_E_NS1_11comp_targetILNS1_3genE8ELNS1_11target_archE1030ELNS1_3gpuE2ELNS1_3repE0EEENS1_30default_config_static_selectorELNS0_4arch9wavefront6targetE1EEEvT1_ ; -- Begin function _ZN7rocprim17ROCPRIM_400000_NS6detail17trampoline_kernelINS0_14default_configENS1_25partition_config_selectorILNS1_17partition_subalgoE2EiNS0_10empty_typeEbEEZZNS1_14partition_implILS5_2ELb0ES3_jN6thrust23THRUST_200600_302600_NS6detail15normal_iteratorINSA_7pointerIiNSA_11hip_rocprim3tagENSA_11use_defaultESG_EEEEPS6_NSA_18transform_iteratorINSA_8identityIiEENSC_INSA_10device_ptrIiEEEESG_SG_EENS0_5tupleIJPiSJ_EEENSR_IJSJ_SJ_EEES6_PlJS6_EEE10hipError_tPvRmT3_T4_T5_T6_T7_T9_mT8_P12ihipStream_tbDpT10_ENKUlT_T0_E_clISt17integral_constantIbLb0EES1F_EEDaS1A_S1B_EUlS1A_E_NS1_11comp_targetILNS1_3genE8ELNS1_11target_archE1030ELNS1_3gpuE2ELNS1_3repE0EEENS1_30default_config_static_selectorELNS0_4arch9wavefront6targetE1EEEvT1_
	.globl	_ZN7rocprim17ROCPRIM_400000_NS6detail17trampoline_kernelINS0_14default_configENS1_25partition_config_selectorILNS1_17partition_subalgoE2EiNS0_10empty_typeEbEEZZNS1_14partition_implILS5_2ELb0ES3_jN6thrust23THRUST_200600_302600_NS6detail15normal_iteratorINSA_7pointerIiNSA_11hip_rocprim3tagENSA_11use_defaultESG_EEEEPS6_NSA_18transform_iteratorINSA_8identityIiEENSC_INSA_10device_ptrIiEEEESG_SG_EENS0_5tupleIJPiSJ_EEENSR_IJSJ_SJ_EEES6_PlJS6_EEE10hipError_tPvRmT3_T4_T5_T6_T7_T9_mT8_P12ihipStream_tbDpT10_ENKUlT_T0_E_clISt17integral_constantIbLb0EES1F_EEDaS1A_S1B_EUlS1A_E_NS1_11comp_targetILNS1_3genE8ELNS1_11target_archE1030ELNS1_3gpuE2ELNS1_3repE0EEENS1_30default_config_static_selectorELNS0_4arch9wavefront6targetE1EEEvT1_
	.p2align	8
	.type	_ZN7rocprim17ROCPRIM_400000_NS6detail17trampoline_kernelINS0_14default_configENS1_25partition_config_selectorILNS1_17partition_subalgoE2EiNS0_10empty_typeEbEEZZNS1_14partition_implILS5_2ELb0ES3_jN6thrust23THRUST_200600_302600_NS6detail15normal_iteratorINSA_7pointerIiNSA_11hip_rocprim3tagENSA_11use_defaultESG_EEEEPS6_NSA_18transform_iteratorINSA_8identityIiEENSC_INSA_10device_ptrIiEEEESG_SG_EENS0_5tupleIJPiSJ_EEENSR_IJSJ_SJ_EEES6_PlJS6_EEE10hipError_tPvRmT3_T4_T5_T6_T7_T9_mT8_P12ihipStream_tbDpT10_ENKUlT_T0_E_clISt17integral_constantIbLb0EES1F_EEDaS1A_S1B_EUlS1A_E_NS1_11comp_targetILNS1_3genE8ELNS1_11target_archE1030ELNS1_3gpuE2ELNS1_3repE0EEENS1_30default_config_static_selectorELNS0_4arch9wavefront6targetE1EEEvT1_,@function
_ZN7rocprim17ROCPRIM_400000_NS6detail17trampoline_kernelINS0_14default_configENS1_25partition_config_selectorILNS1_17partition_subalgoE2EiNS0_10empty_typeEbEEZZNS1_14partition_implILS5_2ELb0ES3_jN6thrust23THRUST_200600_302600_NS6detail15normal_iteratorINSA_7pointerIiNSA_11hip_rocprim3tagENSA_11use_defaultESG_EEEEPS6_NSA_18transform_iteratorINSA_8identityIiEENSC_INSA_10device_ptrIiEEEESG_SG_EENS0_5tupleIJPiSJ_EEENSR_IJSJ_SJ_EEES6_PlJS6_EEE10hipError_tPvRmT3_T4_T5_T6_T7_T9_mT8_P12ihipStream_tbDpT10_ENKUlT_T0_E_clISt17integral_constantIbLb0EES1F_EEDaS1A_S1B_EUlS1A_E_NS1_11comp_targetILNS1_3genE8ELNS1_11target_archE1030ELNS1_3gpuE2ELNS1_3repE0EEENS1_30default_config_static_selectorELNS0_4arch9wavefront6targetE1EEEvT1_: ; @_ZN7rocprim17ROCPRIM_400000_NS6detail17trampoline_kernelINS0_14default_configENS1_25partition_config_selectorILNS1_17partition_subalgoE2EiNS0_10empty_typeEbEEZZNS1_14partition_implILS5_2ELb0ES3_jN6thrust23THRUST_200600_302600_NS6detail15normal_iteratorINSA_7pointerIiNSA_11hip_rocprim3tagENSA_11use_defaultESG_EEEEPS6_NSA_18transform_iteratorINSA_8identityIiEENSC_INSA_10device_ptrIiEEEESG_SG_EENS0_5tupleIJPiSJ_EEENSR_IJSJ_SJ_EEES6_PlJS6_EEE10hipError_tPvRmT3_T4_T5_T6_T7_T9_mT8_P12ihipStream_tbDpT10_ENKUlT_T0_E_clISt17integral_constantIbLb0EES1F_EEDaS1A_S1B_EUlS1A_E_NS1_11comp_targetILNS1_3genE8ELNS1_11target_archE1030ELNS1_3gpuE2ELNS1_3repE0EEENS1_30default_config_static_selectorELNS0_4arch9wavefront6targetE1EEEvT1_
; %bb.0:
	.section	.rodata,"a",@progbits
	.p2align	6, 0x0
	.amdhsa_kernel _ZN7rocprim17ROCPRIM_400000_NS6detail17trampoline_kernelINS0_14default_configENS1_25partition_config_selectorILNS1_17partition_subalgoE2EiNS0_10empty_typeEbEEZZNS1_14partition_implILS5_2ELb0ES3_jN6thrust23THRUST_200600_302600_NS6detail15normal_iteratorINSA_7pointerIiNSA_11hip_rocprim3tagENSA_11use_defaultESG_EEEEPS6_NSA_18transform_iteratorINSA_8identityIiEENSC_INSA_10device_ptrIiEEEESG_SG_EENS0_5tupleIJPiSJ_EEENSR_IJSJ_SJ_EEES6_PlJS6_EEE10hipError_tPvRmT3_T4_T5_T6_T7_T9_mT8_P12ihipStream_tbDpT10_ENKUlT_T0_E_clISt17integral_constantIbLb0EES1F_EEDaS1A_S1B_EUlS1A_E_NS1_11comp_targetILNS1_3genE8ELNS1_11target_archE1030ELNS1_3gpuE2ELNS1_3repE0EEENS1_30default_config_static_selectorELNS0_4arch9wavefront6targetE1EEEvT1_
		.amdhsa_group_segment_fixed_size 0
		.amdhsa_private_segment_fixed_size 0
		.amdhsa_kernarg_size 128
		.amdhsa_user_sgpr_count 2
		.amdhsa_user_sgpr_dispatch_ptr 0
		.amdhsa_user_sgpr_queue_ptr 0
		.amdhsa_user_sgpr_kernarg_segment_ptr 1
		.amdhsa_user_sgpr_dispatch_id 0
		.amdhsa_user_sgpr_kernarg_preload_length 0
		.amdhsa_user_sgpr_kernarg_preload_offset 0
		.amdhsa_user_sgpr_private_segment_size 0
		.amdhsa_uses_dynamic_stack 0
		.amdhsa_enable_private_segment 0
		.amdhsa_system_sgpr_workgroup_id_x 1
		.amdhsa_system_sgpr_workgroup_id_y 0
		.amdhsa_system_sgpr_workgroup_id_z 0
		.amdhsa_system_sgpr_workgroup_info 0
		.amdhsa_system_vgpr_workitem_id 0
		.amdhsa_next_free_vgpr 1
		.amdhsa_next_free_sgpr 0
		.amdhsa_accum_offset 4
		.amdhsa_reserve_vcc 0
		.amdhsa_float_round_mode_32 0
		.amdhsa_float_round_mode_16_64 0
		.amdhsa_float_denorm_mode_32 3
		.amdhsa_float_denorm_mode_16_64 3
		.amdhsa_dx10_clamp 1
		.amdhsa_ieee_mode 1
		.amdhsa_fp16_overflow 0
		.amdhsa_tg_split 0
		.amdhsa_exception_fp_ieee_invalid_op 0
		.amdhsa_exception_fp_denorm_src 0
		.amdhsa_exception_fp_ieee_div_zero 0
		.amdhsa_exception_fp_ieee_overflow 0
		.amdhsa_exception_fp_ieee_underflow 0
		.amdhsa_exception_fp_ieee_inexact 0
		.amdhsa_exception_int_div_zero 0
	.end_amdhsa_kernel
	.section	.text._ZN7rocprim17ROCPRIM_400000_NS6detail17trampoline_kernelINS0_14default_configENS1_25partition_config_selectorILNS1_17partition_subalgoE2EiNS0_10empty_typeEbEEZZNS1_14partition_implILS5_2ELb0ES3_jN6thrust23THRUST_200600_302600_NS6detail15normal_iteratorINSA_7pointerIiNSA_11hip_rocprim3tagENSA_11use_defaultESG_EEEEPS6_NSA_18transform_iteratorINSA_8identityIiEENSC_INSA_10device_ptrIiEEEESG_SG_EENS0_5tupleIJPiSJ_EEENSR_IJSJ_SJ_EEES6_PlJS6_EEE10hipError_tPvRmT3_T4_T5_T6_T7_T9_mT8_P12ihipStream_tbDpT10_ENKUlT_T0_E_clISt17integral_constantIbLb0EES1F_EEDaS1A_S1B_EUlS1A_E_NS1_11comp_targetILNS1_3genE8ELNS1_11target_archE1030ELNS1_3gpuE2ELNS1_3repE0EEENS1_30default_config_static_selectorELNS0_4arch9wavefront6targetE1EEEvT1_,"axG",@progbits,_ZN7rocprim17ROCPRIM_400000_NS6detail17trampoline_kernelINS0_14default_configENS1_25partition_config_selectorILNS1_17partition_subalgoE2EiNS0_10empty_typeEbEEZZNS1_14partition_implILS5_2ELb0ES3_jN6thrust23THRUST_200600_302600_NS6detail15normal_iteratorINSA_7pointerIiNSA_11hip_rocprim3tagENSA_11use_defaultESG_EEEEPS6_NSA_18transform_iteratorINSA_8identityIiEENSC_INSA_10device_ptrIiEEEESG_SG_EENS0_5tupleIJPiSJ_EEENSR_IJSJ_SJ_EEES6_PlJS6_EEE10hipError_tPvRmT3_T4_T5_T6_T7_T9_mT8_P12ihipStream_tbDpT10_ENKUlT_T0_E_clISt17integral_constantIbLb0EES1F_EEDaS1A_S1B_EUlS1A_E_NS1_11comp_targetILNS1_3genE8ELNS1_11target_archE1030ELNS1_3gpuE2ELNS1_3repE0EEENS1_30default_config_static_selectorELNS0_4arch9wavefront6targetE1EEEvT1_,comdat
.Lfunc_end520:
	.size	_ZN7rocprim17ROCPRIM_400000_NS6detail17trampoline_kernelINS0_14default_configENS1_25partition_config_selectorILNS1_17partition_subalgoE2EiNS0_10empty_typeEbEEZZNS1_14partition_implILS5_2ELb0ES3_jN6thrust23THRUST_200600_302600_NS6detail15normal_iteratorINSA_7pointerIiNSA_11hip_rocprim3tagENSA_11use_defaultESG_EEEEPS6_NSA_18transform_iteratorINSA_8identityIiEENSC_INSA_10device_ptrIiEEEESG_SG_EENS0_5tupleIJPiSJ_EEENSR_IJSJ_SJ_EEES6_PlJS6_EEE10hipError_tPvRmT3_T4_T5_T6_T7_T9_mT8_P12ihipStream_tbDpT10_ENKUlT_T0_E_clISt17integral_constantIbLb0EES1F_EEDaS1A_S1B_EUlS1A_E_NS1_11comp_targetILNS1_3genE8ELNS1_11target_archE1030ELNS1_3gpuE2ELNS1_3repE0EEENS1_30default_config_static_selectorELNS0_4arch9wavefront6targetE1EEEvT1_, .Lfunc_end520-_ZN7rocprim17ROCPRIM_400000_NS6detail17trampoline_kernelINS0_14default_configENS1_25partition_config_selectorILNS1_17partition_subalgoE2EiNS0_10empty_typeEbEEZZNS1_14partition_implILS5_2ELb0ES3_jN6thrust23THRUST_200600_302600_NS6detail15normal_iteratorINSA_7pointerIiNSA_11hip_rocprim3tagENSA_11use_defaultESG_EEEEPS6_NSA_18transform_iteratorINSA_8identityIiEENSC_INSA_10device_ptrIiEEEESG_SG_EENS0_5tupleIJPiSJ_EEENSR_IJSJ_SJ_EEES6_PlJS6_EEE10hipError_tPvRmT3_T4_T5_T6_T7_T9_mT8_P12ihipStream_tbDpT10_ENKUlT_T0_E_clISt17integral_constantIbLb0EES1F_EEDaS1A_S1B_EUlS1A_E_NS1_11comp_targetILNS1_3genE8ELNS1_11target_archE1030ELNS1_3gpuE2ELNS1_3repE0EEENS1_30default_config_static_selectorELNS0_4arch9wavefront6targetE1EEEvT1_
                                        ; -- End function
	.section	.AMDGPU.csdata,"",@progbits
; Kernel info:
; codeLenInByte = 0
; NumSgprs: 6
; NumVgprs: 0
; NumAgprs: 0
; TotalNumVgprs: 0
; ScratchSize: 0
; MemoryBound: 0
; FloatMode: 240
; IeeeMode: 1
; LDSByteSize: 0 bytes/workgroup (compile time only)
; SGPRBlocks: 0
; VGPRBlocks: 0
; NumSGPRsForWavesPerEU: 6
; NumVGPRsForWavesPerEU: 1
; AccumOffset: 4
; Occupancy: 8
; WaveLimiterHint : 0
; COMPUTE_PGM_RSRC2:SCRATCH_EN: 0
; COMPUTE_PGM_RSRC2:USER_SGPR: 2
; COMPUTE_PGM_RSRC2:TRAP_HANDLER: 0
; COMPUTE_PGM_RSRC2:TGID_X_EN: 1
; COMPUTE_PGM_RSRC2:TGID_Y_EN: 0
; COMPUTE_PGM_RSRC2:TGID_Z_EN: 0
; COMPUTE_PGM_RSRC2:TIDIG_COMP_CNT: 0
; COMPUTE_PGM_RSRC3_GFX90A:ACCUM_OFFSET: 0
; COMPUTE_PGM_RSRC3_GFX90A:TG_SPLIT: 0
	.section	.text._ZN7rocprim17ROCPRIM_400000_NS6detail17trampoline_kernelINS0_14default_configENS1_25partition_config_selectorILNS1_17partition_subalgoE2EiNS0_10empty_typeEbEEZZNS1_14partition_implILS5_2ELb0ES3_jN6thrust23THRUST_200600_302600_NS6detail15normal_iteratorINSA_7pointerIiNSA_11hip_rocprim3tagENSA_11use_defaultESG_EEEEPS6_NSA_18transform_iteratorINSA_8identityIiEENSC_INSA_10device_ptrIiEEEESG_SG_EENS0_5tupleIJPiSJ_EEENSR_IJSJ_SJ_EEES6_PlJS6_EEE10hipError_tPvRmT3_T4_T5_T6_T7_T9_mT8_P12ihipStream_tbDpT10_ENKUlT_T0_E_clISt17integral_constantIbLb1EES1F_EEDaS1A_S1B_EUlS1A_E_NS1_11comp_targetILNS1_3genE0ELNS1_11target_archE4294967295ELNS1_3gpuE0ELNS1_3repE0EEENS1_30default_config_static_selectorELNS0_4arch9wavefront6targetE1EEEvT1_,"axG",@progbits,_ZN7rocprim17ROCPRIM_400000_NS6detail17trampoline_kernelINS0_14default_configENS1_25partition_config_selectorILNS1_17partition_subalgoE2EiNS0_10empty_typeEbEEZZNS1_14partition_implILS5_2ELb0ES3_jN6thrust23THRUST_200600_302600_NS6detail15normal_iteratorINSA_7pointerIiNSA_11hip_rocprim3tagENSA_11use_defaultESG_EEEEPS6_NSA_18transform_iteratorINSA_8identityIiEENSC_INSA_10device_ptrIiEEEESG_SG_EENS0_5tupleIJPiSJ_EEENSR_IJSJ_SJ_EEES6_PlJS6_EEE10hipError_tPvRmT3_T4_T5_T6_T7_T9_mT8_P12ihipStream_tbDpT10_ENKUlT_T0_E_clISt17integral_constantIbLb1EES1F_EEDaS1A_S1B_EUlS1A_E_NS1_11comp_targetILNS1_3genE0ELNS1_11target_archE4294967295ELNS1_3gpuE0ELNS1_3repE0EEENS1_30default_config_static_selectorELNS0_4arch9wavefront6targetE1EEEvT1_,comdat
	.protected	_ZN7rocprim17ROCPRIM_400000_NS6detail17trampoline_kernelINS0_14default_configENS1_25partition_config_selectorILNS1_17partition_subalgoE2EiNS0_10empty_typeEbEEZZNS1_14partition_implILS5_2ELb0ES3_jN6thrust23THRUST_200600_302600_NS6detail15normal_iteratorINSA_7pointerIiNSA_11hip_rocprim3tagENSA_11use_defaultESG_EEEEPS6_NSA_18transform_iteratorINSA_8identityIiEENSC_INSA_10device_ptrIiEEEESG_SG_EENS0_5tupleIJPiSJ_EEENSR_IJSJ_SJ_EEES6_PlJS6_EEE10hipError_tPvRmT3_T4_T5_T6_T7_T9_mT8_P12ihipStream_tbDpT10_ENKUlT_T0_E_clISt17integral_constantIbLb1EES1F_EEDaS1A_S1B_EUlS1A_E_NS1_11comp_targetILNS1_3genE0ELNS1_11target_archE4294967295ELNS1_3gpuE0ELNS1_3repE0EEENS1_30default_config_static_selectorELNS0_4arch9wavefront6targetE1EEEvT1_ ; -- Begin function _ZN7rocprim17ROCPRIM_400000_NS6detail17trampoline_kernelINS0_14default_configENS1_25partition_config_selectorILNS1_17partition_subalgoE2EiNS0_10empty_typeEbEEZZNS1_14partition_implILS5_2ELb0ES3_jN6thrust23THRUST_200600_302600_NS6detail15normal_iteratorINSA_7pointerIiNSA_11hip_rocprim3tagENSA_11use_defaultESG_EEEEPS6_NSA_18transform_iteratorINSA_8identityIiEENSC_INSA_10device_ptrIiEEEESG_SG_EENS0_5tupleIJPiSJ_EEENSR_IJSJ_SJ_EEES6_PlJS6_EEE10hipError_tPvRmT3_T4_T5_T6_T7_T9_mT8_P12ihipStream_tbDpT10_ENKUlT_T0_E_clISt17integral_constantIbLb1EES1F_EEDaS1A_S1B_EUlS1A_E_NS1_11comp_targetILNS1_3genE0ELNS1_11target_archE4294967295ELNS1_3gpuE0ELNS1_3repE0EEENS1_30default_config_static_selectorELNS0_4arch9wavefront6targetE1EEEvT1_
	.globl	_ZN7rocprim17ROCPRIM_400000_NS6detail17trampoline_kernelINS0_14default_configENS1_25partition_config_selectorILNS1_17partition_subalgoE2EiNS0_10empty_typeEbEEZZNS1_14partition_implILS5_2ELb0ES3_jN6thrust23THRUST_200600_302600_NS6detail15normal_iteratorINSA_7pointerIiNSA_11hip_rocprim3tagENSA_11use_defaultESG_EEEEPS6_NSA_18transform_iteratorINSA_8identityIiEENSC_INSA_10device_ptrIiEEEESG_SG_EENS0_5tupleIJPiSJ_EEENSR_IJSJ_SJ_EEES6_PlJS6_EEE10hipError_tPvRmT3_T4_T5_T6_T7_T9_mT8_P12ihipStream_tbDpT10_ENKUlT_T0_E_clISt17integral_constantIbLb1EES1F_EEDaS1A_S1B_EUlS1A_E_NS1_11comp_targetILNS1_3genE0ELNS1_11target_archE4294967295ELNS1_3gpuE0ELNS1_3repE0EEENS1_30default_config_static_selectorELNS0_4arch9wavefront6targetE1EEEvT1_
	.p2align	8
	.type	_ZN7rocprim17ROCPRIM_400000_NS6detail17trampoline_kernelINS0_14default_configENS1_25partition_config_selectorILNS1_17partition_subalgoE2EiNS0_10empty_typeEbEEZZNS1_14partition_implILS5_2ELb0ES3_jN6thrust23THRUST_200600_302600_NS6detail15normal_iteratorINSA_7pointerIiNSA_11hip_rocprim3tagENSA_11use_defaultESG_EEEEPS6_NSA_18transform_iteratorINSA_8identityIiEENSC_INSA_10device_ptrIiEEEESG_SG_EENS0_5tupleIJPiSJ_EEENSR_IJSJ_SJ_EEES6_PlJS6_EEE10hipError_tPvRmT3_T4_T5_T6_T7_T9_mT8_P12ihipStream_tbDpT10_ENKUlT_T0_E_clISt17integral_constantIbLb1EES1F_EEDaS1A_S1B_EUlS1A_E_NS1_11comp_targetILNS1_3genE0ELNS1_11target_archE4294967295ELNS1_3gpuE0ELNS1_3repE0EEENS1_30default_config_static_selectorELNS0_4arch9wavefront6targetE1EEEvT1_,@function
_ZN7rocprim17ROCPRIM_400000_NS6detail17trampoline_kernelINS0_14default_configENS1_25partition_config_selectorILNS1_17partition_subalgoE2EiNS0_10empty_typeEbEEZZNS1_14partition_implILS5_2ELb0ES3_jN6thrust23THRUST_200600_302600_NS6detail15normal_iteratorINSA_7pointerIiNSA_11hip_rocprim3tagENSA_11use_defaultESG_EEEEPS6_NSA_18transform_iteratorINSA_8identityIiEENSC_INSA_10device_ptrIiEEEESG_SG_EENS0_5tupleIJPiSJ_EEENSR_IJSJ_SJ_EEES6_PlJS6_EEE10hipError_tPvRmT3_T4_T5_T6_T7_T9_mT8_P12ihipStream_tbDpT10_ENKUlT_T0_E_clISt17integral_constantIbLb1EES1F_EEDaS1A_S1B_EUlS1A_E_NS1_11comp_targetILNS1_3genE0ELNS1_11target_archE4294967295ELNS1_3gpuE0ELNS1_3repE0EEENS1_30default_config_static_selectorELNS0_4arch9wavefront6targetE1EEEvT1_: ; @_ZN7rocprim17ROCPRIM_400000_NS6detail17trampoline_kernelINS0_14default_configENS1_25partition_config_selectorILNS1_17partition_subalgoE2EiNS0_10empty_typeEbEEZZNS1_14partition_implILS5_2ELb0ES3_jN6thrust23THRUST_200600_302600_NS6detail15normal_iteratorINSA_7pointerIiNSA_11hip_rocprim3tagENSA_11use_defaultESG_EEEEPS6_NSA_18transform_iteratorINSA_8identityIiEENSC_INSA_10device_ptrIiEEEESG_SG_EENS0_5tupleIJPiSJ_EEENSR_IJSJ_SJ_EEES6_PlJS6_EEE10hipError_tPvRmT3_T4_T5_T6_T7_T9_mT8_P12ihipStream_tbDpT10_ENKUlT_T0_E_clISt17integral_constantIbLb1EES1F_EEDaS1A_S1B_EUlS1A_E_NS1_11comp_targetILNS1_3genE0ELNS1_11target_archE4294967295ELNS1_3gpuE0ELNS1_3repE0EEENS1_30default_config_static_selectorELNS0_4arch9wavefront6targetE1EEEvT1_
; %bb.0:
	.section	.rodata,"a",@progbits
	.p2align	6, 0x0
	.amdhsa_kernel _ZN7rocprim17ROCPRIM_400000_NS6detail17trampoline_kernelINS0_14default_configENS1_25partition_config_selectorILNS1_17partition_subalgoE2EiNS0_10empty_typeEbEEZZNS1_14partition_implILS5_2ELb0ES3_jN6thrust23THRUST_200600_302600_NS6detail15normal_iteratorINSA_7pointerIiNSA_11hip_rocprim3tagENSA_11use_defaultESG_EEEEPS6_NSA_18transform_iteratorINSA_8identityIiEENSC_INSA_10device_ptrIiEEEESG_SG_EENS0_5tupleIJPiSJ_EEENSR_IJSJ_SJ_EEES6_PlJS6_EEE10hipError_tPvRmT3_T4_T5_T6_T7_T9_mT8_P12ihipStream_tbDpT10_ENKUlT_T0_E_clISt17integral_constantIbLb1EES1F_EEDaS1A_S1B_EUlS1A_E_NS1_11comp_targetILNS1_3genE0ELNS1_11target_archE4294967295ELNS1_3gpuE0ELNS1_3repE0EEENS1_30default_config_static_selectorELNS0_4arch9wavefront6targetE1EEEvT1_
		.amdhsa_group_segment_fixed_size 0
		.amdhsa_private_segment_fixed_size 0
		.amdhsa_kernarg_size 144
		.amdhsa_user_sgpr_count 2
		.amdhsa_user_sgpr_dispatch_ptr 0
		.amdhsa_user_sgpr_queue_ptr 0
		.amdhsa_user_sgpr_kernarg_segment_ptr 1
		.amdhsa_user_sgpr_dispatch_id 0
		.amdhsa_user_sgpr_kernarg_preload_length 0
		.amdhsa_user_sgpr_kernarg_preload_offset 0
		.amdhsa_user_sgpr_private_segment_size 0
		.amdhsa_uses_dynamic_stack 0
		.amdhsa_enable_private_segment 0
		.amdhsa_system_sgpr_workgroup_id_x 1
		.amdhsa_system_sgpr_workgroup_id_y 0
		.amdhsa_system_sgpr_workgroup_id_z 0
		.amdhsa_system_sgpr_workgroup_info 0
		.amdhsa_system_vgpr_workitem_id 0
		.amdhsa_next_free_vgpr 1
		.amdhsa_next_free_sgpr 0
		.amdhsa_accum_offset 4
		.amdhsa_reserve_vcc 0
		.amdhsa_float_round_mode_32 0
		.amdhsa_float_round_mode_16_64 0
		.amdhsa_float_denorm_mode_32 3
		.amdhsa_float_denorm_mode_16_64 3
		.amdhsa_dx10_clamp 1
		.amdhsa_ieee_mode 1
		.amdhsa_fp16_overflow 0
		.amdhsa_tg_split 0
		.amdhsa_exception_fp_ieee_invalid_op 0
		.amdhsa_exception_fp_denorm_src 0
		.amdhsa_exception_fp_ieee_div_zero 0
		.amdhsa_exception_fp_ieee_overflow 0
		.amdhsa_exception_fp_ieee_underflow 0
		.amdhsa_exception_fp_ieee_inexact 0
		.amdhsa_exception_int_div_zero 0
	.end_amdhsa_kernel
	.section	.text._ZN7rocprim17ROCPRIM_400000_NS6detail17trampoline_kernelINS0_14default_configENS1_25partition_config_selectorILNS1_17partition_subalgoE2EiNS0_10empty_typeEbEEZZNS1_14partition_implILS5_2ELb0ES3_jN6thrust23THRUST_200600_302600_NS6detail15normal_iteratorINSA_7pointerIiNSA_11hip_rocprim3tagENSA_11use_defaultESG_EEEEPS6_NSA_18transform_iteratorINSA_8identityIiEENSC_INSA_10device_ptrIiEEEESG_SG_EENS0_5tupleIJPiSJ_EEENSR_IJSJ_SJ_EEES6_PlJS6_EEE10hipError_tPvRmT3_T4_T5_T6_T7_T9_mT8_P12ihipStream_tbDpT10_ENKUlT_T0_E_clISt17integral_constantIbLb1EES1F_EEDaS1A_S1B_EUlS1A_E_NS1_11comp_targetILNS1_3genE0ELNS1_11target_archE4294967295ELNS1_3gpuE0ELNS1_3repE0EEENS1_30default_config_static_selectorELNS0_4arch9wavefront6targetE1EEEvT1_,"axG",@progbits,_ZN7rocprim17ROCPRIM_400000_NS6detail17trampoline_kernelINS0_14default_configENS1_25partition_config_selectorILNS1_17partition_subalgoE2EiNS0_10empty_typeEbEEZZNS1_14partition_implILS5_2ELb0ES3_jN6thrust23THRUST_200600_302600_NS6detail15normal_iteratorINSA_7pointerIiNSA_11hip_rocprim3tagENSA_11use_defaultESG_EEEEPS6_NSA_18transform_iteratorINSA_8identityIiEENSC_INSA_10device_ptrIiEEEESG_SG_EENS0_5tupleIJPiSJ_EEENSR_IJSJ_SJ_EEES6_PlJS6_EEE10hipError_tPvRmT3_T4_T5_T6_T7_T9_mT8_P12ihipStream_tbDpT10_ENKUlT_T0_E_clISt17integral_constantIbLb1EES1F_EEDaS1A_S1B_EUlS1A_E_NS1_11comp_targetILNS1_3genE0ELNS1_11target_archE4294967295ELNS1_3gpuE0ELNS1_3repE0EEENS1_30default_config_static_selectorELNS0_4arch9wavefront6targetE1EEEvT1_,comdat
.Lfunc_end521:
	.size	_ZN7rocprim17ROCPRIM_400000_NS6detail17trampoline_kernelINS0_14default_configENS1_25partition_config_selectorILNS1_17partition_subalgoE2EiNS0_10empty_typeEbEEZZNS1_14partition_implILS5_2ELb0ES3_jN6thrust23THRUST_200600_302600_NS6detail15normal_iteratorINSA_7pointerIiNSA_11hip_rocprim3tagENSA_11use_defaultESG_EEEEPS6_NSA_18transform_iteratorINSA_8identityIiEENSC_INSA_10device_ptrIiEEEESG_SG_EENS0_5tupleIJPiSJ_EEENSR_IJSJ_SJ_EEES6_PlJS6_EEE10hipError_tPvRmT3_T4_T5_T6_T7_T9_mT8_P12ihipStream_tbDpT10_ENKUlT_T0_E_clISt17integral_constantIbLb1EES1F_EEDaS1A_S1B_EUlS1A_E_NS1_11comp_targetILNS1_3genE0ELNS1_11target_archE4294967295ELNS1_3gpuE0ELNS1_3repE0EEENS1_30default_config_static_selectorELNS0_4arch9wavefront6targetE1EEEvT1_, .Lfunc_end521-_ZN7rocprim17ROCPRIM_400000_NS6detail17trampoline_kernelINS0_14default_configENS1_25partition_config_selectorILNS1_17partition_subalgoE2EiNS0_10empty_typeEbEEZZNS1_14partition_implILS5_2ELb0ES3_jN6thrust23THRUST_200600_302600_NS6detail15normal_iteratorINSA_7pointerIiNSA_11hip_rocprim3tagENSA_11use_defaultESG_EEEEPS6_NSA_18transform_iteratorINSA_8identityIiEENSC_INSA_10device_ptrIiEEEESG_SG_EENS0_5tupleIJPiSJ_EEENSR_IJSJ_SJ_EEES6_PlJS6_EEE10hipError_tPvRmT3_T4_T5_T6_T7_T9_mT8_P12ihipStream_tbDpT10_ENKUlT_T0_E_clISt17integral_constantIbLb1EES1F_EEDaS1A_S1B_EUlS1A_E_NS1_11comp_targetILNS1_3genE0ELNS1_11target_archE4294967295ELNS1_3gpuE0ELNS1_3repE0EEENS1_30default_config_static_selectorELNS0_4arch9wavefront6targetE1EEEvT1_
                                        ; -- End function
	.section	.AMDGPU.csdata,"",@progbits
; Kernel info:
; codeLenInByte = 0
; NumSgprs: 6
; NumVgprs: 0
; NumAgprs: 0
; TotalNumVgprs: 0
; ScratchSize: 0
; MemoryBound: 0
; FloatMode: 240
; IeeeMode: 1
; LDSByteSize: 0 bytes/workgroup (compile time only)
; SGPRBlocks: 0
; VGPRBlocks: 0
; NumSGPRsForWavesPerEU: 6
; NumVGPRsForWavesPerEU: 1
; AccumOffset: 4
; Occupancy: 8
; WaveLimiterHint : 0
; COMPUTE_PGM_RSRC2:SCRATCH_EN: 0
; COMPUTE_PGM_RSRC2:USER_SGPR: 2
; COMPUTE_PGM_RSRC2:TRAP_HANDLER: 0
; COMPUTE_PGM_RSRC2:TGID_X_EN: 1
; COMPUTE_PGM_RSRC2:TGID_Y_EN: 0
; COMPUTE_PGM_RSRC2:TGID_Z_EN: 0
; COMPUTE_PGM_RSRC2:TIDIG_COMP_CNT: 0
; COMPUTE_PGM_RSRC3_GFX90A:ACCUM_OFFSET: 0
; COMPUTE_PGM_RSRC3_GFX90A:TG_SPLIT: 0
	.section	.text._ZN7rocprim17ROCPRIM_400000_NS6detail17trampoline_kernelINS0_14default_configENS1_25partition_config_selectorILNS1_17partition_subalgoE2EiNS0_10empty_typeEbEEZZNS1_14partition_implILS5_2ELb0ES3_jN6thrust23THRUST_200600_302600_NS6detail15normal_iteratorINSA_7pointerIiNSA_11hip_rocprim3tagENSA_11use_defaultESG_EEEEPS6_NSA_18transform_iteratorINSA_8identityIiEENSC_INSA_10device_ptrIiEEEESG_SG_EENS0_5tupleIJPiSJ_EEENSR_IJSJ_SJ_EEES6_PlJS6_EEE10hipError_tPvRmT3_T4_T5_T6_T7_T9_mT8_P12ihipStream_tbDpT10_ENKUlT_T0_E_clISt17integral_constantIbLb1EES1F_EEDaS1A_S1B_EUlS1A_E_NS1_11comp_targetILNS1_3genE5ELNS1_11target_archE942ELNS1_3gpuE9ELNS1_3repE0EEENS1_30default_config_static_selectorELNS0_4arch9wavefront6targetE1EEEvT1_,"axG",@progbits,_ZN7rocprim17ROCPRIM_400000_NS6detail17trampoline_kernelINS0_14default_configENS1_25partition_config_selectorILNS1_17partition_subalgoE2EiNS0_10empty_typeEbEEZZNS1_14partition_implILS5_2ELb0ES3_jN6thrust23THRUST_200600_302600_NS6detail15normal_iteratorINSA_7pointerIiNSA_11hip_rocprim3tagENSA_11use_defaultESG_EEEEPS6_NSA_18transform_iteratorINSA_8identityIiEENSC_INSA_10device_ptrIiEEEESG_SG_EENS0_5tupleIJPiSJ_EEENSR_IJSJ_SJ_EEES6_PlJS6_EEE10hipError_tPvRmT3_T4_T5_T6_T7_T9_mT8_P12ihipStream_tbDpT10_ENKUlT_T0_E_clISt17integral_constantIbLb1EES1F_EEDaS1A_S1B_EUlS1A_E_NS1_11comp_targetILNS1_3genE5ELNS1_11target_archE942ELNS1_3gpuE9ELNS1_3repE0EEENS1_30default_config_static_selectorELNS0_4arch9wavefront6targetE1EEEvT1_,comdat
	.protected	_ZN7rocprim17ROCPRIM_400000_NS6detail17trampoline_kernelINS0_14default_configENS1_25partition_config_selectorILNS1_17partition_subalgoE2EiNS0_10empty_typeEbEEZZNS1_14partition_implILS5_2ELb0ES3_jN6thrust23THRUST_200600_302600_NS6detail15normal_iteratorINSA_7pointerIiNSA_11hip_rocprim3tagENSA_11use_defaultESG_EEEEPS6_NSA_18transform_iteratorINSA_8identityIiEENSC_INSA_10device_ptrIiEEEESG_SG_EENS0_5tupleIJPiSJ_EEENSR_IJSJ_SJ_EEES6_PlJS6_EEE10hipError_tPvRmT3_T4_T5_T6_T7_T9_mT8_P12ihipStream_tbDpT10_ENKUlT_T0_E_clISt17integral_constantIbLb1EES1F_EEDaS1A_S1B_EUlS1A_E_NS1_11comp_targetILNS1_3genE5ELNS1_11target_archE942ELNS1_3gpuE9ELNS1_3repE0EEENS1_30default_config_static_selectorELNS0_4arch9wavefront6targetE1EEEvT1_ ; -- Begin function _ZN7rocprim17ROCPRIM_400000_NS6detail17trampoline_kernelINS0_14default_configENS1_25partition_config_selectorILNS1_17partition_subalgoE2EiNS0_10empty_typeEbEEZZNS1_14partition_implILS5_2ELb0ES3_jN6thrust23THRUST_200600_302600_NS6detail15normal_iteratorINSA_7pointerIiNSA_11hip_rocprim3tagENSA_11use_defaultESG_EEEEPS6_NSA_18transform_iteratorINSA_8identityIiEENSC_INSA_10device_ptrIiEEEESG_SG_EENS0_5tupleIJPiSJ_EEENSR_IJSJ_SJ_EEES6_PlJS6_EEE10hipError_tPvRmT3_T4_T5_T6_T7_T9_mT8_P12ihipStream_tbDpT10_ENKUlT_T0_E_clISt17integral_constantIbLb1EES1F_EEDaS1A_S1B_EUlS1A_E_NS1_11comp_targetILNS1_3genE5ELNS1_11target_archE942ELNS1_3gpuE9ELNS1_3repE0EEENS1_30default_config_static_selectorELNS0_4arch9wavefront6targetE1EEEvT1_
	.globl	_ZN7rocprim17ROCPRIM_400000_NS6detail17trampoline_kernelINS0_14default_configENS1_25partition_config_selectorILNS1_17partition_subalgoE2EiNS0_10empty_typeEbEEZZNS1_14partition_implILS5_2ELb0ES3_jN6thrust23THRUST_200600_302600_NS6detail15normal_iteratorINSA_7pointerIiNSA_11hip_rocprim3tagENSA_11use_defaultESG_EEEEPS6_NSA_18transform_iteratorINSA_8identityIiEENSC_INSA_10device_ptrIiEEEESG_SG_EENS0_5tupleIJPiSJ_EEENSR_IJSJ_SJ_EEES6_PlJS6_EEE10hipError_tPvRmT3_T4_T5_T6_T7_T9_mT8_P12ihipStream_tbDpT10_ENKUlT_T0_E_clISt17integral_constantIbLb1EES1F_EEDaS1A_S1B_EUlS1A_E_NS1_11comp_targetILNS1_3genE5ELNS1_11target_archE942ELNS1_3gpuE9ELNS1_3repE0EEENS1_30default_config_static_selectorELNS0_4arch9wavefront6targetE1EEEvT1_
	.p2align	8
	.type	_ZN7rocprim17ROCPRIM_400000_NS6detail17trampoline_kernelINS0_14default_configENS1_25partition_config_selectorILNS1_17partition_subalgoE2EiNS0_10empty_typeEbEEZZNS1_14partition_implILS5_2ELb0ES3_jN6thrust23THRUST_200600_302600_NS6detail15normal_iteratorINSA_7pointerIiNSA_11hip_rocprim3tagENSA_11use_defaultESG_EEEEPS6_NSA_18transform_iteratorINSA_8identityIiEENSC_INSA_10device_ptrIiEEEESG_SG_EENS0_5tupleIJPiSJ_EEENSR_IJSJ_SJ_EEES6_PlJS6_EEE10hipError_tPvRmT3_T4_T5_T6_T7_T9_mT8_P12ihipStream_tbDpT10_ENKUlT_T0_E_clISt17integral_constantIbLb1EES1F_EEDaS1A_S1B_EUlS1A_E_NS1_11comp_targetILNS1_3genE5ELNS1_11target_archE942ELNS1_3gpuE9ELNS1_3repE0EEENS1_30default_config_static_selectorELNS0_4arch9wavefront6targetE1EEEvT1_,@function
_ZN7rocprim17ROCPRIM_400000_NS6detail17trampoline_kernelINS0_14default_configENS1_25partition_config_selectorILNS1_17partition_subalgoE2EiNS0_10empty_typeEbEEZZNS1_14partition_implILS5_2ELb0ES3_jN6thrust23THRUST_200600_302600_NS6detail15normal_iteratorINSA_7pointerIiNSA_11hip_rocprim3tagENSA_11use_defaultESG_EEEEPS6_NSA_18transform_iteratorINSA_8identityIiEENSC_INSA_10device_ptrIiEEEESG_SG_EENS0_5tupleIJPiSJ_EEENSR_IJSJ_SJ_EEES6_PlJS6_EEE10hipError_tPvRmT3_T4_T5_T6_T7_T9_mT8_P12ihipStream_tbDpT10_ENKUlT_T0_E_clISt17integral_constantIbLb1EES1F_EEDaS1A_S1B_EUlS1A_E_NS1_11comp_targetILNS1_3genE5ELNS1_11target_archE942ELNS1_3gpuE9ELNS1_3repE0EEENS1_30default_config_static_selectorELNS0_4arch9wavefront6targetE1EEEvT1_: ; @_ZN7rocprim17ROCPRIM_400000_NS6detail17trampoline_kernelINS0_14default_configENS1_25partition_config_selectorILNS1_17partition_subalgoE2EiNS0_10empty_typeEbEEZZNS1_14partition_implILS5_2ELb0ES3_jN6thrust23THRUST_200600_302600_NS6detail15normal_iteratorINSA_7pointerIiNSA_11hip_rocprim3tagENSA_11use_defaultESG_EEEEPS6_NSA_18transform_iteratorINSA_8identityIiEENSC_INSA_10device_ptrIiEEEESG_SG_EENS0_5tupleIJPiSJ_EEENSR_IJSJ_SJ_EEES6_PlJS6_EEE10hipError_tPvRmT3_T4_T5_T6_T7_T9_mT8_P12ihipStream_tbDpT10_ENKUlT_T0_E_clISt17integral_constantIbLb1EES1F_EEDaS1A_S1B_EUlS1A_E_NS1_11comp_targetILNS1_3genE5ELNS1_11target_archE942ELNS1_3gpuE9ELNS1_3repE0EEENS1_30default_config_static_selectorELNS0_4arch9wavefront6targetE1EEEvT1_
; %bb.0:
	s_load_dwordx2 s[2:3], s[0:1], 0x20
	s_load_dwordx2 s[28:29], s[0:1], 0x30
	;; [unrolled: 1-line block ×3, first 2 shown]
	s_load_dwordx4 s[20:23], s[0:1], 0x50
	s_load_dwordx2 s[36:37], s[0:1], 0x70
	v_cmp_eq_u32_e64 s[18:19], 0, v0
	s_and_saveexec_b64 s[4:5], s[18:19]
	s_cbranch_execz .LBB522_4
; %bb.1:
	s_mov_b64 s[8:9], exec
	v_mbcnt_lo_u32_b32 v1, s8, 0
	v_mbcnt_hi_u32_b32 v1, s9, v1
	v_cmp_eq_u32_e32 vcc, 0, v1
                                        ; implicit-def: $vgpr2
	s_and_saveexec_b64 s[6:7], vcc
	s_cbranch_execz .LBB522_3
; %bb.2:
	s_load_dwordx2 s[10:11], s[0:1], 0x80
	s_bcnt1_i32_b64 s8, s[8:9]
	v_mov_b32_e32 v2, 0
	v_mov_b32_e32 v3, s8
	s_waitcnt lgkmcnt(0)
	global_atomic_add v2, v2, v3, s[10:11] sc0
.LBB522_3:
	s_or_b64 exec, exec, s[6:7]
	s_waitcnt vmcnt(0)
	v_readfirstlane_b32 s6, v2
	v_mov_b32_e32 v2, 0
	s_nop 0
	v_add_u32_e32 v1, s6, v1
	ds_write_b32 v2, v1
.LBB522_4:
	s_or_b64 exec, exec, s[4:5]
	v_mov_b32_e32 v23, 0
	s_load_dwordx4 s[24:27], s[0:1], 0x8
	s_load_dword s6, s[0:1], 0x78
	s_waitcnt lgkmcnt(0)
	s_barrier
	ds_read_b32 v1, v23
	s_waitcnt lgkmcnt(0)
	s_barrier
	global_load_dwordx2 v[24:25], v23, s[22:23]
	s_lshl_b64 s[4:5], s[26:27], 2
	s_add_u32 s8, s24, s4
	s_mul_i32 s0, s6, 0x1e00
	s_addc_u32 s9, s25, s5
	s_add_i32 s1, s0, s26
	s_sub_i32 s33, s30, s1
	s_add_i32 s7, s6, -1
	s_addk_i32 s33, 0x1e00
	s_add_u32 s0, s26, s0
	v_readfirstlane_b32 s42, v1
	s_addc_u32 s1, s27, 0
	s_cmp_eq_u32 s42, s7
	v_mov_b64_e32 v[2:3], s[30:31]
	s_cselect_b64 s[22:23], -1, 0
	s_cmp_lg_u32 s42, s7
	s_mul_i32 s24, s42, 0x1e00
	s_mov_b32 s25, 0
	v_cmp_lt_u64_e32 vcc, s[0:1], v[2:3]
	s_cselect_b64 s[0:1], -1, 0
	s_or_b64 s[34:35], vcc, s[0:1]
	s_lshl_b64 s[6:7], s[24:25], 2
	s_add_u32 s8, s8, s6
	s_addc_u32 s9, s9, s7
	s_mov_b64 s[0:1], -1
	s_and_b64 vcc, exec, s[34:35]
	v_lshlrev_b32_e32 v22, 2, v0
	s_cbranch_vccz .LBB522_6
; %bb.5:
	v_lshl_add_u64 v[2:3], s[8:9], 0, v[22:23]
	v_add_co_u32_e32 v4, vcc, 0x1000, v2
	s_mov_b64 s[0:1], 0
	s_nop 0
	v_addc_co_u32_e32 v5, vcc, 0, v3, vcc
	v_add_co_u32_e32 v6, vcc, 0x2000, v2
	s_nop 1
	v_addc_co_u32_e32 v7, vcc, 0, v3, vcc
	v_add_co_u32_e32 v8, vcc, 0x3000, v2
	s_nop 1
	v_addc_co_u32_e32 v9, vcc, 0, v3, vcc
	flat_load_dword v1, v[2:3]
	flat_load_dword v10, v[2:3] offset:2048
	flat_load_dword v11, v[4:5]
	flat_load_dword v12, v[4:5] offset:2048
	;; [unrolled: 2-line block ×4, first 2 shown]
	v_add_co_u32_e32 v4, vcc, 0x4000, v2
	s_nop 1
	v_addc_co_u32_e32 v5, vcc, 0, v3, vcc
	v_add_co_u32_e32 v6, vcc, 0x5000, v2
	s_nop 1
	v_addc_co_u32_e32 v7, vcc, 0, v3, vcc
	v_add_co_u32_e32 v8, vcc, 0x6000, v2
	s_nop 1
	v_addc_co_u32_e32 v9, vcc, 0, v3, vcc
	v_add_co_u32_e32 v2, vcc, 0x7000, v2
	s_nop 1
	v_addc_co_u32_e32 v3, vcc, 0, v3, vcc
	flat_load_dword v17, v[4:5]
	flat_load_dword v18, v[4:5] offset:2048
	flat_load_dword v19, v[6:7]
	flat_load_dword v20, v[6:7] offset:2048
	;; [unrolled: 2-line block ×3, first 2 shown]
	flat_load_dword v26, v[2:3]
	s_waitcnt vmcnt(0) lgkmcnt(0)
	ds_write2st64_b32 v22, v1, v10 offset1:8
	ds_write2st64_b32 v22, v11, v12 offset0:16 offset1:24
	ds_write2st64_b32 v22, v13, v14 offset0:32 offset1:40
	;; [unrolled: 1-line block ×6, first 2 shown]
	ds_write_b32 v22, v26 offset:28672
	s_waitcnt lgkmcnt(0)
	s_barrier
.LBB522_6:
	s_andn2_b64 vcc, exec, s[0:1]
	v_cmp_gt_u32_e64 s[0:1], s33, v0
	s_cbranch_vccnz .LBB522_38
; %bb.7:
                                        ; implicit-def: $vgpr2_vgpr3_vgpr4_vgpr5_vgpr6_vgpr7_vgpr8_vgpr9_vgpr10_vgpr11_vgpr12_vgpr13_vgpr14_vgpr15_vgpr16_vgpr17
	s_and_saveexec_b64 s[10:11], s[0:1]
	s_cbranch_execz .LBB522_9
; %bb.8:
	v_mov_b32_e32 v23, 0
	v_lshl_add_u64 v[2:3], s[8:9], 0, v[22:23]
	flat_load_dword v2, v[2:3]
.LBB522_9:
	s_or_b64 exec, exec, s[10:11]
	v_or_b32_e32 v1, 0x200, v0
	v_cmp_gt_u32_e32 vcc, s33, v1
	s_and_saveexec_b64 s[0:1], vcc
	s_cbranch_execz .LBB522_11
; %bb.10:
	v_mov_b32_e32 v23, 0
	v_lshl_add_u64 v[18:19], s[8:9], 0, v[22:23]
	flat_load_dword v3, v[18:19] offset:2048
.LBB522_11:
	s_or_b64 exec, exec, s[0:1]
	v_or_b32_e32 v1, 0x400, v0
	v_cmp_gt_u32_e32 vcc, s33, v1
	s_and_saveexec_b64 s[0:1], vcc
	s_cbranch_execz .LBB522_13
; %bb.12:
	v_lshlrev_b32_e32 v18, 2, v1
	v_mov_b32_e32 v19, 0
	v_lshl_add_u64 v[18:19], s[8:9], 0, v[18:19]
	flat_load_dword v4, v[18:19]
.LBB522_13:
	s_or_b64 exec, exec, s[0:1]
	v_or_b32_e32 v1, 0x600, v0
	v_cmp_gt_u32_e32 vcc, s33, v1
	s_and_saveexec_b64 s[0:1], vcc
	s_cbranch_execz .LBB522_15
; %bb.14:
	v_lshlrev_b32_e32 v18, 2, v1
	v_mov_b32_e32 v19, 0
	v_lshl_add_u64 v[18:19], s[8:9], 0, v[18:19]
	flat_load_dword v5, v[18:19]
.LBB522_15:
	;; [unrolled: 11-line block ×13, first 2 shown]
	s_or_b64 exec, exec, s[0:1]
	s_waitcnt vmcnt(0) lgkmcnt(0)
	ds_write2st64_b32 v22, v2, v3 offset1:8
	ds_write2st64_b32 v22, v4, v5 offset0:16 offset1:24
	ds_write2st64_b32 v22, v6, v7 offset0:32 offset1:40
	;; [unrolled: 1-line block ×6, first 2 shown]
	ds_write_b32 v22, v16 offset:28672
	s_waitcnt lgkmcnt(0)
	s_barrier
.LBB522_38:
	v_mul_u32_u24_e32 v21, 15, v0
	v_lshlrev_b32_e32 v1, 2, v21
	ds_read2_b32 v[40:41], v1 offset1:1
	ds_read2_b32 v[38:39], v1 offset0:2 offset1:3
	ds_read2_b32 v[36:37], v1 offset0:4 offset1:5
	;; [unrolled: 1-line block ×6, first 2 shown]
	ds_read_b32 v1, v1 offset:56
	s_add_u32 s0, s2, s4
	s_addc_u32 s1, s3, s5
	s_add_u32 s0, s0, s6
	s_addc_u32 s1, s1, s7
	s_mov_b64 s[2:3], -1
	s_and_b64 vcc, exec, s[34:35]
	s_waitcnt lgkmcnt(0)
	s_barrier
	s_cbranch_vccz .LBB522_40
; %bb.39:
	v_mov_b32_e32 v23, 0
	v_lshl_add_u64 v[2:3], s[0:1], 0, v[22:23]
	v_add_co_u32_e32 v4, vcc, 0x1000, v2
	global_load_dword v8, v22, s[0:1]
	global_load_dword v9, v22, s[0:1] offset:2048
	v_addc_co_u32_e32 v5, vcc, 0, v3, vcc
	v_add_co_u32_e32 v6, vcc, 0x2000, v2
	s_mov_b64 s[2:3], 0
	s_nop 0
	v_addc_co_u32_e32 v7, vcc, 0, v3, vcc
	global_load_dword v10, v[4:5], off
	global_load_dword v11, v[4:5], off offset:2048
	global_load_dword v12, v[6:7], off
	global_load_dword v13, v[6:7], off offset:2048
	v_add_co_u32_e32 v4, vcc, 0x3000, v2
	s_nop 1
	v_addc_co_u32_e32 v5, vcc, 0, v3, vcc
	v_add_co_u32_e32 v6, vcc, 0x4000, v2
	s_nop 1
	v_addc_co_u32_e32 v7, vcc, 0, v3, vcc
	global_load_dword v14, v[4:5], off
	global_load_dword v15, v[4:5], off offset:2048
	global_load_dword v16, v[6:7], off
	global_load_dword v17, v[6:7], off offset:2048
	v_add_co_u32_e32 v4, vcc, 0x5000, v2
	s_nop 1
	v_addc_co_u32_e32 v5, vcc, 0, v3, vcc
	v_add_co_u32_e32 v6, vcc, 0x6000, v2
	s_nop 1
	v_addc_co_u32_e32 v7, vcc, 0, v3, vcc
	v_add_co_u32_e32 v2, vcc, 0x7000, v2
	global_load_dword v18, v[4:5], off
	global_load_dword v19, v[4:5], off offset:2048
	global_load_dword v20, v[6:7], off
	global_load_dword v23, v[6:7], off offset:2048
	v_addc_co_u32_e32 v3, vcc, 0, v3, vcc
	global_load_dword v2, v[2:3], off
	s_waitcnt vmcnt(14)
	v_cmp_ne_u32_e32 vcc, 0, v8
	s_nop 1
	v_cndmask_b32_e64 v3, 0, 1, vcc
	s_waitcnt vmcnt(13)
	v_cmp_ne_u32_e32 vcc, 0, v9
	s_nop 1
	v_cndmask_b32_e64 v4, 0, 1, vcc
	s_waitcnt vmcnt(12)
	v_cmp_ne_u32_e32 vcc, 0, v10
	ds_write_b8 v0, v3
	ds_write_b8 v0, v4 offset:512
	v_cndmask_b32_e64 v3, 0, 1, vcc
	s_waitcnt vmcnt(11)
	v_cmp_ne_u32_e32 vcc, 0, v11
	s_nop 1
	v_cndmask_b32_e64 v4, 0, 1, vcc
	s_waitcnt vmcnt(10)
	v_cmp_ne_u32_e32 vcc, 0, v12
	ds_write_b8 v0, v3 offset:1024
	ds_write_b8 v0, v4 offset:1536
	v_cndmask_b32_e64 v5, 0, 1, vcc
	s_waitcnt vmcnt(9)
	v_cmp_ne_u32_e32 vcc, 0, v13
	s_nop 1
	v_cndmask_b32_e64 v6, 0, 1, vcc
	s_waitcnt vmcnt(8)
	v_cmp_ne_u32_e32 vcc, 0, v14
	ds_write_b8 v0, v5 offset:2048
	;; [unrolled: 9-line block ×3, first 2 shown]
	ds_write_b8 v0, v4 offset:3584
	v_cndmask_b32_e64 v5, 0, 1, vcc
	s_waitcnt vmcnt(5)
	v_cmp_ne_u32_e32 vcc, 0, v17
	ds_write_b8 v0, v5 offset:4096
	s_nop 0
	v_cndmask_b32_e64 v6, 0, 1, vcc
	s_waitcnt vmcnt(4)
	v_cmp_ne_u32_e32 vcc, 0, v18
	s_nop 1
	v_cndmask_b32_e64 v3, 0, 1, vcc
	s_waitcnt vmcnt(3)
	v_cmp_ne_u32_e32 vcc, 0, v19
	;; [unrolled: 4-line block ×5, first 2 shown]
	s_nop 1
	v_cndmask_b32_e64 v2, 0, 1, vcc
	ds_write_b8 v0, v6 offset:4608
	ds_write_b8 v0, v3 offset:5120
	;; [unrolled: 1-line block ×6, first 2 shown]
	s_waitcnt lgkmcnt(0)
	s_barrier
.LBB522_40:
	s_andn2_b64 vcc, exec, s[2:3]
	s_cbranch_vccnz .LBB522_72
; %bb.41:
	v_cmp_gt_u32_e32 vcc, s33, v0
	v_mov_b32_e32 v2, 0
	v_mov_b32_e32 v3, 0
	s_and_saveexec_b64 s[2:3], vcc
	s_cbranch_execz .LBB522_43
; %bb.42:
	global_load_dword v3, v22, s[0:1]
	s_waitcnt vmcnt(0)
	v_cmp_ne_u32_e32 vcc, 0, v3
	s_nop 1
	v_cndmask_b32_e64 v3, 0, 1, vcc
.LBB522_43:
	s_or_b64 exec, exec, s[2:3]
	v_or_b32_e32 v4, 0x200, v0
	v_cmp_gt_u32_e32 vcc, s33, v4
	s_and_saveexec_b64 s[2:3], vcc
	s_cbranch_execz .LBB522_45
; %bb.44:
	global_load_dword v2, v22, s[0:1] offset:2048
	s_waitcnt vmcnt(0)
	v_cmp_ne_u32_e32 vcc, 0, v2
	s_nop 1
	v_cndmask_b32_e64 v2, 0, 1, vcc
.LBB522_45:
	s_or_b64 exec, exec, s[2:3]
	v_or_b32_e32 v6, 0x400, v0
	v_cmp_gt_u32_e32 vcc, s33, v6
	v_mov_b32_e32 v4, 0
	v_mov_b32_e32 v5, 0
	s_and_saveexec_b64 s[2:3], vcc
	s_cbranch_execz .LBB522_47
; %bb.46:
	v_lshlrev_b32_e32 v5, 2, v6
	global_load_dword v5, v5, s[0:1]
	s_waitcnt vmcnt(0)
	v_cmp_ne_u32_e32 vcc, 0, v5
	s_nop 1
	v_cndmask_b32_e64 v5, 0, 1, vcc
.LBB522_47:
	s_or_b64 exec, exec, s[2:3]
	v_or_b32_e32 v6, 0x600, v0
	v_cmp_gt_u32_e32 vcc, s33, v6
	s_and_saveexec_b64 s[2:3], vcc
	s_cbranch_execz .LBB522_49
; %bb.48:
	v_lshlrev_b32_e32 v4, 2, v6
	global_load_dword v4, v4, s[0:1]
	s_waitcnt vmcnt(0)
	v_cmp_ne_u32_e32 vcc, 0, v4
	s_nop 1
	v_cndmask_b32_e64 v4, 0, 1, vcc
.LBB522_49:
	s_or_b64 exec, exec, s[2:3]
	v_or_b32_e32 v8, 0x800, v0
	v_cmp_gt_u32_e32 vcc, s33, v8
	v_mov_b32_e32 v6, 0
	v_mov_b32_e32 v7, 0
	s_and_saveexec_b64 s[2:3], vcc
	s_cbranch_execz .LBB522_51
; %bb.50:
	v_lshlrev_b32_e32 v7, 2, v8
	global_load_dword v7, v7, s[0:1]
	s_waitcnt vmcnt(0)
	v_cmp_ne_u32_e32 vcc, 0, v7
	s_nop 1
	v_cndmask_b32_e64 v7, 0, 1, vcc
.LBB522_51:
	s_or_b64 exec, exec, s[2:3]
	v_or_b32_e32 v8, 0xa00, v0
	v_cmp_gt_u32_e32 vcc, s33, v8
	s_and_saveexec_b64 s[2:3], vcc
	s_cbranch_execz .LBB522_53
; %bb.52:
	v_lshlrev_b32_e32 v6, 2, v8
	global_load_dword v6, v6, s[0:1]
	s_waitcnt vmcnt(0)
	v_cmp_ne_u32_e32 vcc, 0, v6
	s_nop 1
	v_cndmask_b32_e64 v6, 0, 1, vcc
.LBB522_53:
	;; [unrolled: 28-line block ×6, first 2 shown]
	s_or_b64 exec, exec, s[2:3]
	v_or_b32_e32 v17, 0x1c00, v0
	v_cmp_gt_u32_e32 vcc, s33, v17
	v_mov_b32_e32 v16, 0
	s_and_saveexec_b64 s[2:3], vcc
	s_cbranch_execz .LBB522_71
; %bb.70:
	v_lshlrev_b32_e32 v16, 2, v17
	global_load_dword v16, v16, s[0:1]
	s_waitcnt vmcnt(0)
	v_cmp_ne_u32_e32 vcc, 0, v16
	s_nop 1
	v_cndmask_b32_e64 v16, 0, 1, vcc
.LBB522_71:
	s_or_b64 exec, exec, s[2:3]
	ds_write_b8 v0, v3
	ds_write_b8 v0, v2 offset:512
	ds_write_b8 v0, v5 offset:1024
	;; [unrolled: 1-line block ×14, first 2 shown]
	s_waitcnt lgkmcnt(0)
	s_barrier
.LBB522_72:
	ds_read_b96 v[18:20], v21
	ds_read_u8 v2, v21 offset:12
	ds_read_u8 v3, v21 offset:13
	;; [unrolled: 1-line block ×3, first 2 shown]
	s_cmp_lg_u32 s42, 0
	v_lshrrev_b32_e32 v58, 6, v0
	s_waitcnt lgkmcnt(2)
	v_and_b32_e32 v44, 1, v2
	v_and_b32_e32 v53, 0xff, v18
	v_bfe_u32 v55, v18, 8, 8
	v_bfe_u32 v56, v18, 16, 8
	v_lshrrev_b32_e32 v46, 24, v18
	v_and_b32_e32 v50, 0xff, v19
	v_add3_u32 v2, v55, v53, v56
	v_bfe_u32 v51, v19, 8, 8
	v_bfe_u32 v52, v19, 16, 8
	v_add3_u32 v2, v2, v46, v50
	v_lshrrev_b32_e32 v45, 24, v19
	v_and_b32_e32 v47, 0xff, v20
	v_add3_u32 v2, v2, v51, v52
	v_bfe_u32 v48, v20, 8, 8
	v_bfe_u32 v49, v20, 16, 8
	v_add3_u32 v2, v2, v45, v47
	v_lshrrev_b32_e32 v43, 24, v20
	v_add3_u32 v2, v2, v48, v49
	s_waitcnt lgkmcnt(1)
	v_and_b32_e32 v42, 1, v3
	s_waitcnt lgkmcnt(0)
	v_and_b32_e32 v23, 1, v4
	v_add3_u32 v2, v2, v43, v44
	v_add3_u32 v59, v2, v42, v23
	v_mbcnt_lo_u32_b32 v2, -1, 0
	v_mbcnt_hi_u32_b32 v57, -1, v2
	v_and_b32_e32 v2, 15, v57
	v_cmp_eq_u32_e64 s[14:15], 0, v2
	v_cmp_lt_u32_e64 s[12:13], 1, v2
	v_cmp_lt_u32_e64 s[10:11], 3, v2
	;; [unrolled: 1-line block ×3, first 2 shown]
	v_and_b32_e32 v2, 16, v57
	v_cmp_eq_u32_e64 s[6:7], 0, v2
	v_or_b32_e32 v2, 63, v0
	v_cmp_lt_u32_e64 s[2:3], 31, v57
	v_cmp_eq_u32_e64 s[4:5], v2, v0
	s_barrier
	s_cbranch_scc0 .LBB522_103
; %bb.73:
	v_mov_b32_dpp v2, v59 row_shr:1 row_mask:0xf bank_mask:0xf
	v_cndmask_b32_e64 v2, v2, 0, s[14:15]
	v_add_u32_e32 v2, v2, v59
	s_nop 1
	v_mov_b32_dpp v3, v2 row_shr:2 row_mask:0xf bank_mask:0xf
	v_cndmask_b32_e64 v3, 0, v3, s[12:13]
	v_add_u32_e32 v2, v2, v3
	s_nop 1
	;; [unrolled: 4-line block ×4, first 2 shown]
	v_mov_b32_dpp v3, v2 row_bcast:15 row_mask:0xf bank_mask:0xf
	v_cndmask_b32_e64 v3, v3, 0, s[6:7]
	v_add_u32_e32 v2, v2, v3
	s_nop 1
	v_mov_b32_dpp v3, v2 row_bcast:31 row_mask:0xf bank_mask:0xf
	v_cndmask_b32_e64 v3, 0, v3, s[2:3]
	v_add_u32_e32 v2, v2, v3
	s_and_saveexec_b64 s[0:1], s[4:5]
	s_cbranch_execz .LBB522_75
; %bb.74:
	v_lshlrev_b32_e32 v3, 2, v58
	ds_write_b32 v3, v2
.LBB522_75:
	s_or_b64 exec, exec, s[0:1]
	v_cmp_gt_u32_e32 vcc, 8, v0
	s_waitcnt lgkmcnt(0)
	s_barrier
	s_and_saveexec_b64 s[0:1], vcc
	s_cbranch_execz .LBB522_77
; %bb.76:
	ds_read_b32 v3, v22
	v_and_b32_e32 v4, 7, v57
	v_cmp_ne_u32_e32 vcc, 0, v4
	s_waitcnt lgkmcnt(0)
	v_mov_b32_dpp v5, v3 row_shr:1 row_mask:0xf bank_mask:0xf
	v_cndmask_b32_e32 v5, 0, v5, vcc
	v_add_u32_e32 v3, v5, v3
	v_cmp_lt_u32_e32 vcc, 1, v4
	s_nop 0
	v_mov_b32_dpp v5, v3 row_shr:2 row_mask:0xf bank_mask:0xf
	v_cndmask_b32_e32 v5, 0, v5, vcc
	v_add_u32_e32 v3, v3, v5
	v_cmp_lt_u32_e32 vcc, 3, v4
	s_nop 0
	v_mov_b32_dpp v5, v3 row_shr:4 row_mask:0xf bank_mask:0xf
	v_cndmask_b32_e32 v4, 0, v5, vcc
	v_add_u32_e32 v3, v3, v4
	ds_write_b32 v22, v3
.LBB522_77:
	s_or_b64 exec, exec, s[0:1]
	v_cmp_gt_u32_e32 vcc, 64, v0
	v_cmp_lt_u32_e64 s[0:1], 63, v0
	s_waitcnt lgkmcnt(0)
	s_barrier
	s_waitcnt lgkmcnt(0)
                                        ; implicit-def: $vgpr12
	s_and_saveexec_b64 s[16:17], s[0:1]
	s_cbranch_execz .LBB522_79
; %bb.78:
	v_lshl_add_u32 v3, v58, 2, -4
	ds_read_b32 v12, v3
	s_waitcnt lgkmcnt(0)
	v_add_u32_e32 v2, v12, v2
.LBB522_79:
	s_or_b64 exec, exec, s[16:17]
	v_add_u32_e32 v3, -1, v57
	v_and_b32_e32 v4, 64, v57
	v_cmp_lt_i32_e64 s[0:1], v3, v4
	v_cmp_eq_u32_e64 s[16:17], 0, v57
	s_nop 0
	v_cndmask_b32_e64 v3, v3, v57, s[0:1]
	v_lshlrev_b32_e32 v3, 2, v3
	ds_bpermute_b32 v13, v3, v2
	s_and_saveexec_b64 s[0:1], vcc
	s_cbranch_execz .LBB522_102
; %bb.80:
	v_mov_b32_e32 v11, 0
	ds_read_b32 v2, v11 offset:28
	s_and_saveexec_b64 s[38:39], s[16:17]
	s_cbranch_execz .LBB522_82
; %bb.81:
	s_add_i32 s40, s42, 64
	s_mov_b32 s41, 0
	s_lshl_b64 s[40:41], s[40:41], 3
	s_add_u32 s40, s36, s40
	v_mov_b32_e32 v3, 1
	s_addc_u32 s41, s37, s41
	s_waitcnt lgkmcnt(0)
	global_store_dwordx2 v11, v[2:3], s[40:41] sc1
.LBB522_82:
	s_or_b64 exec, exec, s[38:39]
	v_xad_u32 v4, v57, -1, s42
	v_add_u32_e32 v10, 64, v4
	v_lshl_add_u64 v[6:7], v[10:11], 3, s[36:37]
	global_load_dwordx2 v[8:9], v[6:7], off sc1
	s_waitcnt vmcnt(0)
	v_cmp_eq_u16_sdwa s[40:41], v9, v11 src0_sel:BYTE_0 src1_sel:DWORD
	s_and_saveexec_b64 s[38:39], s[40:41]
	s_cbranch_execz .LBB522_88
; %bb.83:
	s_mov_b32 s25, 1
	s_mov_b64 s[40:41], 0
	v_mov_b32_e32 v3, 0
.LBB522_84:                             ; =>This Loop Header: Depth=1
                                        ;     Child Loop BB522_85 Depth 2
	s_max_u32 s43, s25, 1
.LBB522_85:                             ;   Parent Loop BB522_84 Depth=1
                                        ; =>  This Inner Loop Header: Depth=2
	s_add_i32 s43, s43, -1
	s_cmp_eq_u32 s43, 0
	s_sleep 1
	s_cbranch_scc0 .LBB522_85
; %bb.86:                               ;   in Loop: Header=BB522_84 Depth=1
	global_load_dwordx2 v[8:9], v[6:7], off sc1
	s_cmp_lt_u32 s25, 32
	s_cselect_b64 s[44:45], -1, 0
	s_cmp_lg_u64 s[44:45], 0
	s_addc_u32 s25, s25, 0
	s_waitcnt vmcnt(0)
	v_cmp_ne_u16_sdwa s[44:45], v9, v3 src0_sel:BYTE_0 src1_sel:DWORD
	s_or_b64 s[40:41], s[44:45], s[40:41]
	s_andn2_b64 exec, exec, s[40:41]
	s_cbranch_execnz .LBB522_84
; %bb.87:
	s_or_b64 exec, exec, s[40:41]
.LBB522_88:
	s_or_b64 exec, exec, s[38:39]
	v_and_b32_e32 v15, 63, v57
	v_mov_b32_e32 v14, 2
	v_cmp_ne_u32_e32 vcc, 63, v15
	v_cmp_eq_u16_sdwa s[38:39], v9, v14 src0_sel:BYTE_0 src1_sel:DWORD
	v_lshlrev_b64 v[6:7], v57, -1
	v_addc_co_u32_e32 v10, vcc, 0, v57, vcc
	v_and_b32_e32 v3, s39, v7
	v_lshlrev_b32_e32 v16, 2, v10
	v_or_b32_e32 v3, 0x80000000, v3
	ds_bpermute_b32 v10, v16, v8
	v_and_b32_e32 v5, s38, v6
	v_ffbl_b32_e32 v3, v3
	v_add_u32_e32 v3, 32, v3
	v_ffbl_b32_e32 v5, v5
	v_min_u32_e32 v3, v5, v3
	v_cmp_lt_u32_e32 vcc, v15, v3
	v_add_u32_e32 v26, 2, v15
	v_add_u32_e32 v54, 4, v15
	s_waitcnt lgkmcnt(0)
	v_cndmask_b32_e32 v5, 0, v10, vcc
	v_cmp_gt_u32_e32 vcc, 62, v15
	v_add_u32_e32 v5, v5, v8
	v_add_u32_e32 v61, 8, v15
	v_cndmask_b32_e64 v8, 0, 1, vcc
	v_lshlrev_b32_e32 v8, 1, v8
	v_add_lshl_u32 v17, v8, v57, 2
	ds_bpermute_b32 v8, v17, v5
	v_cmp_le_u32_e32 vcc, v26, v3
	v_add_u32_e32 v63, 16, v15
	v_add_u32_e32 v65, 32, v15
	s_waitcnt lgkmcnt(0)
	v_cndmask_b32_e32 v8, 0, v8, vcc
	v_cmp_gt_u32_e32 vcc, 60, v15
	v_add_u32_e32 v5, v5, v8
	s_nop 0
	v_cndmask_b32_e64 v8, 0, 1, vcc
	v_lshlrev_b32_e32 v8, 2, v8
	v_add_lshl_u32 v27, v8, v57, 2
	ds_bpermute_b32 v8, v27, v5
	v_cmp_le_u32_e32 vcc, v54, v3
	s_waitcnt lgkmcnt(0)
	s_nop 0
	v_cndmask_b32_e32 v8, 0, v8, vcc
	v_cmp_gt_u32_e32 vcc, 56, v15
	v_add_u32_e32 v5, v5, v8
	s_nop 0
	v_cndmask_b32_e64 v8, 0, 1, vcc
	v_lshlrev_b32_e32 v8, 3, v8
	v_add_lshl_u32 v60, v8, v57, 2
	ds_bpermute_b32 v8, v60, v5
	v_cmp_le_u32_e32 vcc, v61, v3
	s_waitcnt lgkmcnt(0)
	s_nop 0
	;; [unrolled: 11-line block ×4, first 2 shown]
	v_cndmask_b32_e32 v3, 0, v8, vcc
	v_add_u32_e32 v8, v5, v3
	v_mov_b32_e32 v5, 0
	s_branch .LBB522_90
.LBB522_89:                             ;   in Loop: Header=BB522_90 Depth=1
	s_or_b64 exec, exec, s[38:39]
	v_cmp_eq_u16_sdwa s[38:39], v9, v14 src0_sel:BYTE_0 src1_sel:DWORD
	ds_bpermute_b32 v66, v16, v8
	v_subrev_u32_e32 v4, 64, v4
	v_and_b32_e32 v10, s39, v7
	v_or_b32_e32 v10, 0x80000000, v10
	v_and_b32_e32 v11, s38, v6
	v_ffbl_b32_e32 v10, v10
	v_add_u32_e32 v10, 32, v10
	v_ffbl_b32_e32 v11, v11
	v_min_u32_e32 v10, v11, v10
	v_cmp_lt_u32_e32 vcc, v15, v10
	s_waitcnt lgkmcnt(0)
	s_nop 0
	v_cndmask_b32_e32 v11, 0, v66, vcc
	v_add_u32_e32 v8, v11, v8
	ds_bpermute_b32 v11, v17, v8
	v_cmp_le_u32_e32 vcc, v26, v10
	s_waitcnt lgkmcnt(0)
	s_nop 0
	v_cndmask_b32_e32 v11, 0, v11, vcc
	v_add_u32_e32 v8, v8, v11
	ds_bpermute_b32 v11, v27, v8
	v_cmp_le_u32_e32 vcc, v54, v10
	;; [unrolled: 6-line block ×5, first 2 shown]
	s_waitcnt lgkmcnt(0)
	s_nop 0
	v_cndmask_b32_e32 v10, 0, v11, vcc
	v_add3_u32 v8, v10, v3, v8
.LBB522_90:                             ; =>This Loop Header: Depth=1
                                        ;     Child Loop BB522_93 Depth 2
                                        ;       Child Loop BB522_94 Depth 3
	v_cmp_ne_u16_sdwa s[38:39], v9, v14 src0_sel:BYTE_0 src1_sel:DWORD
	s_nop 1
	v_cndmask_b32_e64 v3, 0, 1, s[38:39]
	;;#ASMSTART
	;;#ASMEND
	s_nop 0
	v_cmp_ne_u32_e32 vcc, 0, v3
	s_cmp_lg_u64 vcc, exec
	v_mov_b32_e32 v3, v8
	s_cbranch_scc1 .LBB522_97
; %bb.91:                               ;   in Loop: Header=BB522_90 Depth=1
	v_lshl_add_u64 v[10:11], v[4:5], 3, s[36:37]
	global_load_dwordx2 v[8:9], v[10:11], off sc1
	s_waitcnt vmcnt(0)
	v_cmp_eq_u16_sdwa s[40:41], v9, v5 src0_sel:BYTE_0 src1_sel:DWORD
	s_and_saveexec_b64 s[38:39], s[40:41]
	s_cbranch_execz .LBB522_89
; %bb.92:                               ;   in Loop: Header=BB522_90 Depth=1
	s_mov_b32 s25, 1
	s_mov_b64 s[40:41], 0
.LBB522_93:                             ;   Parent Loop BB522_90 Depth=1
                                        ; =>  This Loop Header: Depth=2
                                        ;       Child Loop BB522_94 Depth 3
	s_max_u32 s43, s25, 1
.LBB522_94:                             ;   Parent Loop BB522_90 Depth=1
                                        ;     Parent Loop BB522_93 Depth=2
                                        ; =>    This Inner Loop Header: Depth=3
	s_add_i32 s43, s43, -1
	s_cmp_eq_u32 s43, 0
	s_sleep 1
	s_cbranch_scc0 .LBB522_94
; %bb.95:                               ;   in Loop: Header=BB522_93 Depth=2
	global_load_dwordx2 v[8:9], v[10:11], off sc1
	s_cmp_lt_u32 s25, 32
	s_cselect_b64 s[44:45], -1, 0
	s_cmp_lg_u64 s[44:45], 0
	s_addc_u32 s25, s25, 0
	s_waitcnt vmcnt(0)
	v_cmp_ne_u16_sdwa s[44:45], v9, v5 src0_sel:BYTE_0 src1_sel:DWORD
	s_or_b64 s[40:41], s[44:45], s[40:41]
	s_andn2_b64 exec, exec, s[40:41]
	s_cbranch_execnz .LBB522_93
; %bb.96:                               ;   in Loop: Header=BB522_90 Depth=1
	s_or_b64 exec, exec, s[40:41]
	s_branch .LBB522_89
.LBB522_97:                             ;   in Loop: Header=BB522_90 Depth=1
                                        ; implicit-def: $vgpr8
                                        ; implicit-def: $vgpr9
	s_cbranch_execz .LBB522_90
; %bb.98:
	s_and_saveexec_b64 s[38:39], s[16:17]
	s_cbranch_execz .LBB522_100
; %bb.99:
	s_add_i32 s40, s42, 64
	s_mov_b32 s41, 0
	s_lshl_b64 s[40:41], s[40:41], 3
	s_add_u32 s40, s36, s40
	v_add_u32_e32 v4, v3, v2
	v_mov_b32_e32 v5, 2
	s_addc_u32 s41, s37, s41
	v_mov_b32_e32 v6, 0
	global_store_dwordx2 v6, v[4:5], s[40:41] sc1
	ds_write_b64 v6, v[2:3] offset:30720
.LBB522_100:
	s_or_b64 exec, exec, s[38:39]
	s_and_b64 exec, exec, s[18:19]
	s_cbranch_execz .LBB522_102
; %bb.101:
	v_mov_b32_e32 v2, 0
	ds_write_b32 v2, v3 offset:28
.LBB522_102:
	s_or_b64 exec, exec, s[0:1]
	v_mov_b32_e32 v14, 0
	s_waitcnt lgkmcnt(0)
	s_barrier
	ds_read_b32 v2, v14 offset:28
	v_cndmask_b32_e64 v3, v13, v12, s[16:17]
	v_cndmask_b32_e64 v3, v3, 0, s[18:19]
	s_waitcnt lgkmcnt(0)
	s_barrier
	v_add_u32_e32 v2, v2, v3
	v_add_u32_e32 v3, v2, v53
	;; [unrolled: 1-line block ×10, first 2 shown]
	ds_read_b64 v[26:27], v14 offset:30720
	v_add_u32_e32 v12, v11, v48
	v_add_u32_e32 v13, v12, v49
	;; [unrolled: 1-line block ×5, first 2 shown]
	s_waitcnt lgkmcnt(0)
	v_mov_b32_e32 v54, v27
	s_branch .LBB522_113
.LBB522_103:
                                        ; implicit-def: $vgpr54
                                        ; implicit-def: $vgpr26
                                        ; implicit-def: $vgpr2_vgpr3_vgpr4_vgpr5_vgpr6_vgpr7_vgpr8_vgpr9_vgpr10_vgpr11_vgpr12_vgpr13_vgpr14_vgpr15_vgpr16_vgpr17
	s_cbranch_execz .LBB522_113
; %bb.104:
	s_nop 0
	v_mov_b32_dpp v2, v59 row_shr:1 row_mask:0xf bank_mask:0xf
	v_cndmask_b32_e64 v2, v2, 0, s[14:15]
	v_add_u32_e32 v2, v2, v59
	s_nop 1
	v_mov_b32_dpp v3, v2 row_shr:2 row_mask:0xf bank_mask:0xf
	v_cndmask_b32_e64 v3, 0, v3, s[12:13]
	v_add_u32_e32 v2, v2, v3
	;; [unrolled: 4-line block ×4, first 2 shown]
	s_nop 1
	v_mov_b32_dpp v3, v2 row_bcast:15 row_mask:0xf bank_mask:0xf
	v_cndmask_b32_e64 v3, v3, 0, s[6:7]
	v_add_u32_e32 v2, v2, v3
	s_nop 1
	v_mov_b32_dpp v3, v2 row_bcast:31 row_mask:0xf bank_mask:0xf
	v_cndmask_b32_e64 v3, 0, v3, s[2:3]
	v_add_u32_e32 v2, v2, v3
	s_and_saveexec_b64 s[0:1], s[4:5]
	s_cbranch_execz .LBB522_106
; %bb.105:
	v_lshlrev_b32_e32 v3, 2, v58
	ds_write_b32 v3, v2
.LBB522_106:
	s_or_b64 exec, exec, s[0:1]
	v_cmp_gt_u32_e32 vcc, 8, v0
	s_waitcnt lgkmcnt(0)
	s_barrier
	s_and_saveexec_b64 s[0:1], vcc
	s_cbranch_execz .LBB522_108
; %bb.107:
	v_mad_i32_i24 v3, v0, -11, v21
	ds_read_b32 v4, v3
	v_and_b32_e32 v5, 7, v57
	v_cmp_ne_u32_e32 vcc, 0, v5
	s_waitcnt lgkmcnt(0)
	v_mov_b32_dpp v6, v4 row_shr:1 row_mask:0xf bank_mask:0xf
	v_cndmask_b32_e32 v6, 0, v6, vcc
	v_add_u32_e32 v4, v6, v4
	v_cmp_lt_u32_e32 vcc, 1, v5
	s_nop 0
	v_mov_b32_dpp v6, v4 row_shr:2 row_mask:0xf bank_mask:0xf
	v_cndmask_b32_e32 v6, 0, v6, vcc
	v_add_u32_e32 v4, v4, v6
	v_cmp_lt_u32_e32 vcc, 3, v5
	s_nop 0
	v_mov_b32_dpp v6, v4 row_shr:4 row_mask:0xf bank_mask:0xf
	v_cndmask_b32_e32 v5, 0, v6, vcc
	v_add_u32_e32 v4, v4, v5
	ds_write_b32 v3, v4
.LBB522_108:
	s_or_b64 exec, exec, s[0:1]
	v_cmp_lt_u32_e32 vcc, 63, v0
	v_mov_b32_e32 v4, 0
	v_mov_b32_e32 v3, 0
	s_waitcnt lgkmcnt(0)
	s_barrier
	s_and_saveexec_b64 s[0:1], vcc
	s_cbranch_execz .LBB522_110
; %bb.109:
	v_lshl_add_u32 v3, v58, 2, -4
	ds_read_b32 v3, v3
.LBB522_110:
	s_or_b64 exec, exec, s[0:1]
	v_add_u32_e32 v5, -1, v57
	v_and_b32_e32 v6, 64, v57
	v_cmp_lt_i32_e32 vcc, v5, v6
	s_waitcnt lgkmcnt(0)
	v_add_u32_e32 v2, v3, v2
	ds_read_b32 v26, v4 offset:28
	v_cndmask_b32_e32 v5, v5, v57, vcc
	v_lshlrev_b32_e32 v5, 2, v5
	ds_bpermute_b32 v2, v5, v2
	s_and_saveexec_b64 s[0:1], s[18:19]
	s_cbranch_execz .LBB522_112
; %bb.111:
	v_mov_b32_e32 v4, 0
	v_mov_b32_e32 v27, 2
	s_waitcnt lgkmcnt(1)
	global_store_dwordx2 v4, v[26:27], s[36:37] offset:512 sc1
.LBB522_112:
	s_or_b64 exec, exec, s[0:1]
	v_cmp_eq_u32_e32 vcc, 0, v57
	v_mov_b32_e32 v54, 0
	s_waitcnt lgkmcnt(0)
	v_cndmask_b32_e32 v2, v2, v3, vcc
	v_cndmask_b32_e64 v2, v2, 0, s[18:19]
	v_add_u32_e32 v3, v2, v53
	v_add_u32_e32 v4, v3, v55
	;; [unrolled: 1-line block ×14, first 2 shown]
	s_barrier
.LBB522_113:
	v_add_u32_e32 v21, v26, v21
	v_sub_u32_e32 v2, v2, v54
	v_and_b32_e32 v49, 1, v18
	v_sub_u32_e32 v48, v21, v2
	v_cmp_eq_u32_e32 vcc, 1, v49
	v_lshrrev_b32_e32 v47, 8, v18
	v_lshrrev_b32_e32 v27, 8, v19
	v_cndmask_b32_e32 v2, v48, v2, vcc
	v_lshlrev_b32_e32 v2, 2, v2
	ds_write_b32 v2, v40
	v_sub_u32_e32 v2, v3, v54
	v_sub_u32_e32 v3, v21, v2
	v_and_b32_e32 v40, 1, v47
	v_add_u32_e32 v3, 1, v3
	v_cmp_eq_u32_e32 vcc, 1, v40
	v_lshrrev_b32_e32 v17, 8, v20
	s_add_u32 s0, s26, s24
	v_cndmask_b32_e32 v2, v3, v2, vcc
	v_lshlrev_b32_e32 v2, 2, v2
	ds_write_b32 v2, v41
	v_sub_u32_e32 v2, v4, v54
	v_mov_b32_e32 v4, 1
	v_sub_u32_e32 v3, v21, v2
	v_and_b32_sdwa v18, v4, v18 dst_sel:DWORD dst_unused:UNUSED_PAD src0_sel:DWORD src1_sel:WORD_1
	v_add_u32_e32 v3, 2, v3
	v_cmp_eq_u32_e32 vcc, 1, v18
	s_addc_u32 s1, s27, 0
	s_sub_u32 s0, s30, s0
	v_cndmask_b32_e32 v2, v3, v2, vcc
	v_lshlrev_b32_e32 v2, 2, v2
	ds_write_b32 v2, v38
	v_sub_u32_e32 v2, v5, v54
	v_sub_u32_e32 v3, v21, v2
	v_and_b32_e32 v5, 1, v46
	v_add_u32_e32 v3, 3, v3
	v_cmp_eq_u32_e32 vcc, 1, v5
	v_and_b32_e32 v5, 1, v19
	s_subb_u32 s1, s31, s1
	v_cndmask_b32_e32 v2, v3, v2, vcc
	v_lshlrev_b32_e32 v2, 2, v2
	ds_write_b32 v2, v39
	v_sub_u32_e32 v2, v6, v54
	v_sub_u32_e32 v3, v21, v2
	v_add_u32_e32 v3, 4, v3
	v_cmp_eq_u32_e32 vcc, 1, v5
	v_and_b32_e32 v5, 1, v27
	v_or_b32_e32 v52, 0x200, v0
	v_cndmask_b32_e32 v2, v3, v2, vcc
	v_lshlrev_b32_e32 v2, 2, v2
	ds_write_b32 v2, v36
	v_sub_u32_e32 v2, v7, v54
	v_sub_u32_e32 v3, v21, v2
	v_add_u32_e32 v3, 5, v3
	v_cmp_eq_u32_e32 vcc, 1, v5
	v_and_b32_sdwa v5, v4, v19 dst_sel:DWORD dst_unused:UNUSED_PAD src0_sel:DWORD src1_sel:WORD_1
	v_and_b32_sdwa v4, v4, v20 dst_sel:DWORD dst_unused:UNUSED_PAD src0_sel:DWORD src1_sel:WORD_1
	v_cndmask_b32_e32 v2, v3, v2, vcc
	v_lshlrev_b32_e32 v2, 2, v2
	ds_write_b32 v2, v37
	v_sub_u32_e32 v2, v8, v54
	v_sub_u32_e32 v3, v21, v2
	v_add_u32_e32 v3, 6, v3
	v_cmp_eq_u32_e32 vcc, 1, v5
	v_and_b32_e32 v5, 1, v45
	v_or_b32_e32 v48, 0x400, v0
	v_cndmask_b32_e32 v2, v3, v2, vcc
	v_lshlrev_b32_e32 v2, 2, v2
	ds_write_b32 v2, v34
	v_sub_u32_e32 v2, v9, v54
	v_sub_u32_e32 v3, v21, v2
	v_add_u32_e32 v3, 7, v3
	v_cmp_eq_u32_e32 vcc, 1, v5
	v_and_b32_e32 v5, 1, v20
	v_or_b32_e32 v46, 0x600, v0
	;; [unrolled: 9-line block ×3, first 2 shown]
	v_cndmask_b32_e32 v2, v3, v2, vcc
	v_lshlrev_b32_e32 v2, 2, v2
	ds_write_b32 v2, v32
	v_sub_u32_e32 v2, v11, v54
	v_sub_u32_e32 v3, v21, v2
	v_add_u32_e32 v3, 9, v3
	v_cmp_eq_u32_e32 vcc, 1, v5
	v_or_b32_e32 v36, 0xc00, v0
	v_or_b32_e32 v34, 0xe00, v0
	v_cndmask_b32_e32 v2, v3, v2, vcc
	v_lshlrev_b32_e32 v2, 2, v2
	ds_write_b32 v2, v33
	v_sub_u32_e32 v2, v12, v54
	v_sub_u32_e32 v3, v21, v2
	v_add_u32_e32 v3, 10, v3
	v_cmp_eq_u32_e32 vcc, 1, v4
	v_and_b32_e32 v4, 1, v43
	v_or_b32_e32 v18, 0x1400, v0
	v_cndmask_b32_e32 v2, v3, v2, vcc
	v_lshlrev_b32_e32 v2, 2, v2
	ds_write_b32 v2, v30
	v_sub_u32_e32 v2, v13, v54
	v_sub_u32_e32 v3, v21, v2
	v_add_u32_e32 v3, 11, v3
	v_cmp_eq_u32_e32 vcc, 1, v4
	v_or_b32_e32 v30, 0x1000, v0
	v_or_b32_e32 v12, 0x1800, v0
	v_cndmask_b32_e32 v2, v3, v2, vcc
	v_lshlrev_b32_e32 v2, 2, v2
	ds_write_b32 v2, v31
	v_sub_u32_e32 v2, v14, v54
	v_sub_u32_e32 v3, v21, v2
	v_add_u32_e32 v3, 12, v3
	v_cmp_eq_u32_e32 vcc, 1, v44
	v_or_b32_e32 v10, 0x1a00, v0
	;; [unrolled: 9-line block ×4, first 2 shown]
	s_nop 0
	v_cndmask_b32_e32 v2, v3, v2, vcc
	v_lshlrev_b32_e32 v2, 2, v2
	ds_write_b32 v2, v1
	s_waitcnt lgkmcnt(0)
	s_barrier
	ds_read2st64_b32 v[50:51], v22 offset1:8
	ds_read2st64_b32 v[44:45], v22 offset0:16 offset1:24
	ds_read2st64_b32 v[38:39], v22 offset0:32 offset1:40
	;; [unrolled: 1-line block ×6, first 2 shown]
	ds_read_b32 v56, v22 offset:28672
	v_mov_b32_e32 v1, 0
	v_mov_b32_e32 v55, v1
	;; [unrolled: 1-line block ×3, first 2 shown]
	s_waitcnt vmcnt(0)
	v_lshl_add_u64 v[2:3], v[24:25], 0, v[54:55]
	v_lshl_add_u64 v[6:7], s[0:1], 0, v[26:27]
	v_mov_b32_e32 v53, v1
	v_mov_b32_e32 v49, v1
	;; [unrolled: 1-line block ×14, first 2 shown]
	s_andn2_b64 vcc, exec, s[34:35]
	v_lshl_add_u64 v[6:7], v[6:7], 0, v[2:3]
	s_cbranch_vccnz .LBB522_178
; %bb.114:
	v_cmp_ge_u32_e32 vcc, v0, v26
                                        ; implicit-def: $vgpr22_vgpr23
	s_and_saveexec_b64 s[0:1], vcc
	s_xor_b64 s[0:1], exec, s[0:1]
; %bb.115:
	v_not_b32_e32 v22, v0
	v_ashrrev_i32_e32 v23, 31, v22
	v_lshl_add_u64 v[22:23], v[6:7], 0, v[22:23]
; %bb.116:
	s_andn2_saveexec_b64 s[0:1], s[0:1]
; %bb.117:
	v_lshl_add_u64 v[22:23], v[2:3], 0, v[0:1]
; %bb.118:
	s_or_b64 exec, exec, s[0:1]
	v_lshl_add_u64 v[22:23], v[22:23], 2, s[28:29]
	v_cmp_ge_u32_e32 vcc, v52, v26
	s_waitcnt lgkmcnt(7)
	global_store_dword v[22:23], v50, off
                                        ; implicit-def: $vgpr22_vgpr23
	s_and_saveexec_b64 s[0:1], vcc
	s_xor_b64 s[0:1], exec, s[0:1]
; %bb.119:
	v_xor_b32_e32 v22, 0xfffffdff, v0
	v_ashrrev_i32_e32 v23, 31, v22
	v_lshl_add_u64 v[22:23], v[6:7], 0, v[22:23]
; %bb.120:
	s_andn2_saveexec_b64 s[0:1], s[0:1]
; %bb.121:
	v_lshl_add_u64 v[22:23], v[2:3], 0, v[52:53]
; %bb.122:
	s_or_b64 exec, exec, s[0:1]
	v_lshl_add_u64 v[22:23], v[22:23], 2, s[28:29]
	v_cmp_ge_u32_e32 vcc, v48, v26
	global_store_dword v[22:23], v51, off
                                        ; implicit-def: $vgpr22_vgpr23
	s_and_saveexec_b64 s[0:1], vcc
	s_xor_b64 s[0:1], exec, s[0:1]
; %bb.123:
	v_xor_b32_e32 v22, 0xfffffbff, v0
	v_ashrrev_i32_e32 v23, 31, v22
	v_lshl_add_u64 v[22:23], v[6:7], 0, v[22:23]
; %bb.124:
	s_andn2_saveexec_b64 s[0:1], s[0:1]
; %bb.125:
	v_lshl_add_u64 v[22:23], v[2:3], 0, v[48:49]
; %bb.126:
	s_or_b64 exec, exec, s[0:1]
	v_lshl_add_u64 v[22:23], v[22:23], 2, s[28:29]
	v_cmp_ge_u32_e32 vcc, v46, v26
	s_waitcnt lgkmcnt(6)
	global_store_dword v[22:23], v44, off
                                        ; implicit-def: $vgpr22_vgpr23
	s_and_saveexec_b64 s[0:1], vcc
	s_xor_b64 s[0:1], exec, s[0:1]
; %bb.127:
	v_xor_b32_e32 v22, 0xfffff9ff, v0
	v_ashrrev_i32_e32 v23, 31, v22
	v_lshl_add_u64 v[22:23], v[6:7], 0, v[22:23]
; %bb.128:
	s_andn2_saveexec_b64 s[0:1], s[0:1]
; %bb.129:
	v_lshl_add_u64 v[22:23], v[2:3], 0, v[46:47]
; %bb.130:
	s_or_b64 exec, exec, s[0:1]
	v_lshl_add_u64 v[22:23], v[22:23], 2, s[28:29]
	v_cmp_ge_u32_e32 vcc, v42, v26
	global_store_dword v[22:23], v45, off
                                        ; implicit-def: $vgpr22_vgpr23
	s_and_saveexec_b64 s[0:1], vcc
	s_xor_b64 s[0:1], exec, s[0:1]
; %bb.131:
	v_xor_b32_e32 v22, 0xfffff7ff, v0
	;; [unrolled: 33-line block ×7, first 2 shown]
	v_ashrrev_i32_e32 v23, 31, v22
	v_lshl_add_u64 v[22:23], v[6:7], 0, v[22:23]
; %bb.172:
	s_andn2_saveexec_b64 s[0:1], s[0:1]
; %bb.173:
	v_lshl_add_u64 v[22:23], v[2:3], 0, v[4:5]
; %bb.174:
	s_or_b64 exec, exec, s[0:1]
	s_mov_b64 s[0:1], -1
.LBB522_175:
	s_and_saveexec_b64 s[2:3], s[0:1]
	s_cbranch_execz .LBB522_270
.LBB522_176:
	v_lshl_add_u64 v[0:1], v[22:23], 2, s[28:29]
	s_waitcnt lgkmcnt(0)
	global_store_dword v[0:1], v56, off
	s_or_b64 exec, exec, s[2:3]
	s_and_b64 s[0:1], s[18:19], s[22:23]
	s_and_saveexec_b64 s[2:3], s[0:1]
	s_cbranch_execnz .LBB522_271
.LBB522_177:
	s_endpgm
.LBB522_178:
	s_mov_b64 s[0:1], 0
                                        ; implicit-def: $vgpr22_vgpr23
	s_cbranch_execz .LBB522_175
; %bb.179:
	v_cmp_gt_u32_e32 vcc, s33, v0
	s_and_saveexec_b64 s[2:3], vcc
	s_cbranch_execz .LBB522_221
; %bb.180:
	v_cmp_ge_u32_e32 vcc, v0, v26
                                        ; implicit-def: $vgpr22_vgpr23
	s_and_saveexec_b64 s[4:5], vcc
	s_xor_b64 s[4:5], exec, s[4:5]
; %bb.181:
	v_not_b32_e32 v22, v0
	v_ashrrev_i32_e32 v23, 31, v22
	v_lshl_add_u64 v[22:23], v[6:7], 0, v[22:23]
; %bb.182:
	s_andn2_saveexec_b64 s[4:5], s[4:5]
; %bb.183:
	v_lshl_add_u64 v[22:23], v[2:3], 0, v[0:1]
; %bb.184:
	s_or_b64 exec, exec, s[4:5]
	v_lshl_add_u64 v[22:23], v[22:23], 2, s[28:29]
	s_waitcnt lgkmcnt(7)
	global_store_dword v[22:23], v50, off
	s_or_b64 exec, exec, s[2:3]
	v_cmp_gt_u32_e32 vcc, s33, v52
	s_and_saveexec_b64 s[2:3], vcc
	s_cbranch_execnz .LBB522_222
.LBB522_185:
	s_or_b64 exec, exec, s[2:3]
	v_cmp_gt_u32_e32 vcc, s33, v48
	s_and_saveexec_b64 s[2:3], vcc
	s_cbranch_execz .LBB522_227
.LBB522_186:
	v_cmp_ge_u32_e32 vcc, v48, v26
                                        ; implicit-def: $vgpr22_vgpr23
	s_and_saveexec_b64 s[4:5], vcc
	s_xor_b64 s[4:5], exec, s[4:5]
; %bb.187:
	v_xor_b32_e32 v22, 0xfffffbff, v0
	v_ashrrev_i32_e32 v23, 31, v22
	v_lshl_add_u64 v[22:23], v[6:7], 0, v[22:23]
                                        ; implicit-def: $vgpr48_vgpr49
; %bb.188:
	s_andn2_saveexec_b64 s[4:5], s[4:5]
; %bb.189:
	v_lshl_add_u64 v[22:23], v[2:3], 0, v[48:49]
; %bb.190:
	s_or_b64 exec, exec, s[4:5]
	v_lshl_add_u64 v[22:23], v[22:23], 2, s[28:29]
	s_waitcnt lgkmcnt(6)
	global_store_dword v[22:23], v44, off
	s_or_b64 exec, exec, s[2:3]
	v_cmp_gt_u32_e32 vcc, s33, v46
	s_and_saveexec_b64 s[2:3], vcc
	s_cbranch_execnz .LBB522_228
.LBB522_191:
	s_or_b64 exec, exec, s[2:3]
	v_cmp_gt_u32_e32 vcc, s33, v42
	s_and_saveexec_b64 s[2:3], vcc
	s_cbranch_execz .LBB522_233
.LBB522_192:
	v_cmp_ge_u32_e32 vcc, v42, v26
                                        ; implicit-def: $vgpr22_vgpr23
	s_and_saveexec_b64 s[4:5], vcc
	s_xor_b64 s[4:5], exec, s[4:5]
; %bb.193:
	v_xor_b32_e32 v22, 0xfffff7ff, v0
	v_ashrrev_i32_e32 v23, 31, v22
	v_lshl_add_u64 v[22:23], v[6:7], 0, v[22:23]
                                        ; implicit-def: $vgpr42_vgpr43
; %bb.194:
	s_andn2_saveexec_b64 s[4:5], s[4:5]
; %bb.195:
	v_lshl_add_u64 v[22:23], v[2:3], 0, v[42:43]
; %bb.196:
	s_or_b64 exec, exec, s[4:5]
	v_lshl_add_u64 v[22:23], v[22:23], 2, s[28:29]
	s_waitcnt lgkmcnt(5)
	global_store_dword v[22:23], v38, off
	s_or_b64 exec, exec, s[2:3]
	v_cmp_gt_u32_e32 vcc, s33, v40
	s_and_saveexec_b64 s[2:3], vcc
	s_cbranch_execnz .LBB522_234
.LBB522_197:
	s_or_b64 exec, exec, s[2:3]
	v_cmp_gt_u32_e32 vcc, s33, v36
	s_and_saveexec_b64 s[2:3], vcc
	s_cbranch_execz .LBB522_239
.LBB522_198:
	v_cmp_ge_u32_e32 vcc, v36, v26
                                        ; implicit-def: $vgpr22_vgpr23
	s_and_saveexec_b64 s[4:5], vcc
	s_xor_b64 s[4:5], exec, s[4:5]
; %bb.199:
	v_xor_b32_e32 v22, 0xfffff3ff, v0
	v_ashrrev_i32_e32 v23, 31, v22
	v_lshl_add_u64 v[22:23], v[6:7], 0, v[22:23]
                                        ; implicit-def: $vgpr36_vgpr37
; %bb.200:
	s_andn2_saveexec_b64 s[4:5], s[4:5]
; %bb.201:
	v_lshl_add_u64 v[22:23], v[2:3], 0, v[36:37]
; %bb.202:
	s_or_b64 exec, exec, s[4:5]
	v_lshl_add_u64 v[22:23], v[22:23], 2, s[28:29]
	s_waitcnt lgkmcnt(4)
	global_store_dword v[22:23], v32, off
	s_or_b64 exec, exec, s[2:3]
	v_cmp_gt_u32_e32 vcc, s33, v34
	s_and_saveexec_b64 s[2:3], vcc
	s_cbranch_execnz .LBB522_240
.LBB522_203:
	s_or_b64 exec, exec, s[2:3]
	v_cmp_gt_u32_e32 vcc, s33, v30
	s_and_saveexec_b64 s[2:3], vcc
	s_cbranch_execz .LBB522_245
.LBB522_204:
	v_cmp_ge_u32_e32 vcc, v30, v26
                                        ; implicit-def: $vgpr22_vgpr23
	s_and_saveexec_b64 s[4:5], vcc
	s_xor_b64 s[4:5], exec, s[4:5]
; %bb.205:
	v_xor_b32_e32 v22, 0xffffefff, v0
	v_ashrrev_i32_e32 v23, 31, v22
	v_lshl_add_u64 v[22:23], v[6:7], 0, v[22:23]
                                        ; implicit-def: $vgpr30_vgpr31
; %bb.206:
	s_andn2_saveexec_b64 s[4:5], s[4:5]
; %bb.207:
	v_lshl_add_u64 v[22:23], v[2:3], 0, v[30:31]
; %bb.208:
	s_or_b64 exec, exec, s[4:5]
	v_lshl_add_u64 v[22:23], v[22:23], 2, s[28:29]
	s_waitcnt lgkmcnt(3)
	global_store_dword v[22:23], v20, off
	s_or_b64 exec, exec, s[2:3]
	v_cmp_gt_u32_e32 vcc, s33, v28
	s_and_saveexec_b64 s[2:3], vcc
	s_cbranch_execnz .LBB522_246
.LBB522_209:
	s_or_b64 exec, exec, s[2:3]
	v_cmp_gt_u32_e32 vcc, s33, v18
	s_and_saveexec_b64 s[2:3], vcc
	s_cbranch_execz .LBB522_251
.LBB522_210:
	v_cmp_ge_u32_e32 vcc, v18, v26
                                        ; implicit-def: $vgpr20_vgpr21
	s_and_saveexec_b64 s[4:5], vcc
	s_xor_b64 s[4:5], exec, s[4:5]
	s_cbranch_execz .LBB522_212
; %bb.211:
	v_xor_b32_e32 v18, 0xffffebff, v0
	v_ashrrev_i32_e32 v19, 31, v18
	s_waitcnt lgkmcnt(3)
	v_lshl_add_u64 v[20:21], v[6:7], 0, v[18:19]
                                        ; implicit-def: $vgpr18_vgpr19
.LBB522_212:
	s_andn2_saveexec_b64 s[4:5], s[4:5]
	s_cbranch_execz .LBB522_214
; %bb.213:
	s_waitcnt lgkmcnt(3)
	v_lshl_add_u64 v[20:21], v[2:3], 0, v[18:19]
.LBB522_214:
	s_or_b64 exec, exec, s[4:5]
	s_waitcnt lgkmcnt(3)
	v_lshl_add_u64 v[18:19], v[20:21], 2, s[28:29]
	s_waitcnt lgkmcnt(2)
	global_store_dword v[18:19], v14, off
	s_or_b64 exec, exec, s[2:3]
	v_cmp_gt_u32_e32 vcc, s33, v16
	s_and_saveexec_b64 s[2:3], vcc
	s_cbranch_execnz .LBB522_252
.LBB522_215:
	s_or_b64 exec, exec, s[2:3]
	v_cmp_gt_u32_e32 vcc, s33, v12
	s_and_saveexec_b64 s[2:3], vcc
	s_cbranch_execz .LBB522_257
.LBB522_216:
	v_cmp_ge_u32_e32 vcc, v12, v26
                                        ; implicit-def: $vgpr14_vgpr15
	s_and_saveexec_b64 s[4:5], vcc
	s_xor_b64 s[4:5], exec, s[4:5]
	s_cbranch_execz .LBB522_218
; %bb.217:
	v_xor_b32_e32 v12, 0xffffe7ff, v0
	v_ashrrev_i32_e32 v13, 31, v12
	s_waitcnt lgkmcnt(2)
	v_lshl_add_u64 v[14:15], v[6:7], 0, v[12:13]
                                        ; implicit-def: $vgpr12_vgpr13
.LBB522_218:
	s_andn2_saveexec_b64 s[4:5], s[4:5]
	s_cbranch_execz .LBB522_220
; %bb.219:
	s_waitcnt lgkmcnt(2)
	v_lshl_add_u64 v[14:15], v[2:3], 0, v[12:13]
.LBB522_220:
	s_or_b64 exec, exec, s[4:5]
	s_waitcnt lgkmcnt(2)
	v_lshl_add_u64 v[12:13], v[14:15], 2, s[28:29]
	s_waitcnt lgkmcnt(1)
	global_store_dword v[12:13], v8, off
	s_or_b64 exec, exec, s[2:3]
	v_cmp_gt_u32_e32 vcc, s33, v10
	s_and_saveexec_b64 s[2:3], vcc
	s_cbranch_execz .LBB522_263
	s_branch .LBB522_258
.LBB522_221:
	s_or_b64 exec, exec, s[2:3]
	v_cmp_gt_u32_e32 vcc, s33, v52
	s_and_saveexec_b64 s[2:3], vcc
	s_cbranch_execz .LBB522_185
.LBB522_222:
	v_cmp_ge_u32_e32 vcc, v52, v26
                                        ; implicit-def: $vgpr22_vgpr23
	s_and_saveexec_b64 s[4:5], vcc
	s_xor_b64 s[4:5], exec, s[4:5]
; %bb.223:
	v_xor_b32_e32 v22, 0xfffffdff, v0
	v_ashrrev_i32_e32 v23, 31, v22
	v_lshl_add_u64 v[22:23], v[6:7], 0, v[22:23]
                                        ; implicit-def: $vgpr52_vgpr53
; %bb.224:
	s_andn2_saveexec_b64 s[4:5], s[4:5]
; %bb.225:
	v_lshl_add_u64 v[22:23], v[2:3], 0, v[52:53]
; %bb.226:
	s_or_b64 exec, exec, s[4:5]
	v_lshl_add_u64 v[22:23], v[22:23], 2, s[28:29]
	s_waitcnt lgkmcnt(7)
	global_store_dword v[22:23], v51, off
	s_or_b64 exec, exec, s[2:3]
	v_cmp_gt_u32_e32 vcc, s33, v48
	s_and_saveexec_b64 s[2:3], vcc
	s_cbranch_execnz .LBB522_186
.LBB522_227:
	s_or_b64 exec, exec, s[2:3]
	v_cmp_gt_u32_e32 vcc, s33, v46
	s_and_saveexec_b64 s[2:3], vcc
	s_cbranch_execz .LBB522_191
.LBB522_228:
	v_cmp_ge_u32_e32 vcc, v46, v26
                                        ; implicit-def: $vgpr22_vgpr23
	s_and_saveexec_b64 s[4:5], vcc
	s_xor_b64 s[4:5], exec, s[4:5]
; %bb.229:
	v_xor_b32_e32 v22, 0xfffff9ff, v0
	v_ashrrev_i32_e32 v23, 31, v22
	v_lshl_add_u64 v[22:23], v[6:7], 0, v[22:23]
                                        ; implicit-def: $vgpr46_vgpr47
; %bb.230:
	s_andn2_saveexec_b64 s[4:5], s[4:5]
; %bb.231:
	v_lshl_add_u64 v[22:23], v[2:3], 0, v[46:47]
; %bb.232:
	s_or_b64 exec, exec, s[4:5]
	v_lshl_add_u64 v[22:23], v[22:23], 2, s[28:29]
	s_waitcnt lgkmcnt(6)
	global_store_dword v[22:23], v45, off
	s_or_b64 exec, exec, s[2:3]
	v_cmp_gt_u32_e32 vcc, s33, v42
	s_and_saveexec_b64 s[2:3], vcc
	s_cbranch_execnz .LBB522_192
.LBB522_233:
	s_or_b64 exec, exec, s[2:3]
	v_cmp_gt_u32_e32 vcc, s33, v40
	s_and_saveexec_b64 s[2:3], vcc
	s_cbranch_execz .LBB522_197
.LBB522_234:
	v_cmp_ge_u32_e32 vcc, v40, v26
                                        ; implicit-def: $vgpr22_vgpr23
	s_and_saveexec_b64 s[4:5], vcc
	s_xor_b64 s[4:5], exec, s[4:5]
; %bb.235:
	v_xor_b32_e32 v22, 0xfffff5ff, v0
	v_ashrrev_i32_e32 v23, 31, v22
	v_lshl_add_u64 v[22:23], v[6:7], 0, v[22:23]
                                        ; implicit-def: $vgpr40_vgpr41
; %bb.236:
	s_andn2_saveexec_b64 s[4:5], s[4:5]
; %bb.237:
	v_lshl_add_u64 v[22:23], v[2:3], 0, v[40:41]
; %bb.238:
	s_or_b64 exec, exec, s[4:5]
	v_lshl_add_u64 v[22:23], v[22:23], 2, s[28:29]
	s_waitcnt lgkmcnt(5)
	global_store_dword v[22:23], v39, off
	s_or_b64 exec, exec, s[2:3]
	v_cmp_gt_u32_e32 vcc, s33, v36
	s_and_saveexec_b64 s[2:3], vcc
	s_cbranch_execnz .LBB522_198
.LBB522_239:
	s_or_b64 exec, exec, s[2:3]
	v_cmp_gt_u32_e32 vcc, s33, v34
	s_and_saveexec_b64 s[2:3], vcc
	s_cbranch_execz .LBB522_203
.LBB522_240:
	v_cmp_ge_u32_e32 vcc, v34, v26
                                        ; implicit-def: $vgpr22_vgpr23
	s_and_saveexec_b64 s[4:5], vcc
	s_xor_b64 s[4:5], exec, s[4:5]
; %bb.241:
	v_xor_b32_e32 v22, 0xfffff1ff, v0
	v_ashrrev_i32_e32 v23, 31, v22
	v_lshl_add_u64 v[22:23], v[6:7], 0, v[22:23]
                                        ; implicit-def: $vgpr34_vgpr35
; %bb.242:
	s_andn2_saveexec_b64 s[4:5], s[4:5]
; %bb.243:
	v_lshl_add_u64 v[22:23], v[2:3], 0, v[34:35]
; %bb.244:
	s_or_b64 exec, exec, s[4:5]
	v_lshl_add_u64 v[22:23], v[22:23], 2, s[28:29]
	s_waitcnt lgkmcnt(4)
	global_store_dword v[22:23], v33, off
	s_or_b64 exec, exec, s[2:3]
	v_cmp_gt_u32_e32 vcc, s33, v30
	s_and_saveexec_b64 s[2:3], vcc
	s_cbranch_execnz .LBB522_204
.LBB522_245:
	s_or_b64 exec, exec, s[2:3]
	v_cmp_gt_u32_e32 vcc, s33, v28
	s_and_saveexec_b64 s[2:3], vcc
	s_cbranch_execz .LBB522_209
.LBB522_246:
	v_cmp_ge_u32_e32 vcc, v28, v26
                                        ; implicit-def: $vgpr22_vgpr23
	s_and_saveexec_b64 s[4:5], vcc
	s_xor_b64 s[4:5], exec, s[4:5]
; %bb.247:
	v_xor_b32_e32 v22, 0xffffedff, v0
	v_ashrrev_i32_e32 v23, 31, v22
	v_lshl_add_u64 v[22:23], v[6:7], 0, v[22:23]
                                        ; implicit-def: $vgpr28_vgpr29
; %bb.248:
	s_andn2_saveexec_b64 s[4:5], s[4:5]
; %bb.249:
	v_lshl_add_u64 v[22:23], v[2:3], 0, v[28:29]
; %bb.250:
	s_or_b64 exec, exec, s[4:5]
	v_lshl_add_u64 v[22:23], v[22:23], 2, s[28:29]
	s_waitcnt lgkmcnt(3)
	global_store_dword v[22:23], v21, off
	s_or_b64 exec, exec, s[2:3]
	v_cmp_gt_u32_e32 vcc, s33, v18
	s_and_saveexec_b64 s[2:3], vcc
	s_cbranch_execnz .LBB522_210
.LBB522_251:
	s_or_b64 exec, exec, s[2:3]
	v_cmp_gt_u32_e32 vcc, s33, v16
	s_and_saveexec_b64 s[2:3], vcc
	s_cbranch_execz .LBB522_215
.LBB522_252:
	v_cmp_ge_u32_e32 vcc, v16, v26
                                        ; implicit-def: $vgpr18_vgpr19
	s_and_saveexec_b64 s[4:5], vcc
	s_xor_b64 s[4:5], exec, s[4:5]
; %bb.253:
	v_xor_b32_e32 v16, 0xffffe9ff, v0
	v_ashrrev_i32_e32 v17, 31, v16
	v_lshl_add_u64 v[18:19], v[6:7], 0, v[16:17]
                                        ; implicit-def: $vgpr16_vgpr17
; %bb.254:
	s_andn2_saveexec_b64 s[4:5], s[4:5]
; %bb.255:
	v_lshl_add_u64 v[18:19], v[2:3], 0, v[16:17]
; %bb.256:
	s_or_b64 exec, exec, s[4:5]
	v_lshl_add_u64 v[16:17], v[18:19], 2, s[28:29]
	s_waitcnt lgkmcnt(2)
	global_store_dword v[16:17], v15, off
	s_or_b64 exec, exec, s[2:3]
	v_cmp_gt_u32_e32 vcc, s33, v12
	s_and_saveexec_b64 s[2:3], vcc
	s_cbranch_execnz .LBB522_216
.LBB522_257:
	s_or_b64 exec, exec, s[2:3]
	v_cmp_gt_u32_e32 vcc, s33, v10
	s_and_saveexec_b64 s[2:3], vcc
	s_cbranch_execz .LBB522_263
.LBB522_258:
	v_cmp_ge_u32_e32 vcc, v10, v26
                                        ; implicit-def: $vgpr12_vgpr13
	s_and_saveexec_b64 s[4:5], vcc
	s_xor_b64 s[4:5], exec, s[4:5]
; %bb.259:
	v_xor_b32_e32 v10, 0xffffe5ff, v0
	v_ashrrev_i32_e32 v11, 31, v10
	v_lshl_add_u64 v[12:13], v[6:7], 0, v[10:11]
                                        ; implicit-def: $vgpr10_vgpr11
; %bb.260:
	s_andn2_saveexec_b64 s[4:5], s[4:5]
; %bb.261:
	v_lshl_add_u64 v[12:13], v[2:3], 0, v[10:11]
; %bb.262:
	s_or_b64 exec, exec, s[4:5]
	v_lshl_add_u64 v[10:11], v[12:13], 2, s[28:29]
	s_waitcnt lgkmcnt(1)
	global_store_dword v[10:11], v9, off
.LBB522_263:
	s_or_b64 exec, exec, s[2:3]
	v_cmp_gt_u32_e32 vcc, s33, v4
                                        ; implicit-def: $vgpr22_vgpr23
	s_and_saveexec_b64 s[2:3], vcc
	s_cbranch_execz .LBB522_269
; %bb.264:
	v_cmp_ge_u32_e32 vcc, v4, v26
                                        ; implicit-def: $vgpr22_vgpr23
	s_and_saveexec_b64 s[4:5], vcc
	s_xor_b64 s[4:5], exec, s[4:5]
; %bb.265:
	v_xor_b32_e32 v0, 0xffffe3ff, v0
	v_ashrrev_i32_e32 v1, 31, v0
	v_lshl_add_u64 v[22:23], v[6:7], 0, v[0:1]
                                        ; implicit-def: $vgpr4_vgpr5
; %bb.266:
	s_andn2_saveexec_b64 s[4:5], s[4:5]
; %bb.267:
	v_lshl_add_u64 v[22:23], v[2:3], 0, v[4:5]
; %bb.268:
	s_or_b64 exec, exec, s[4:5]
	s_or_b64 s[0:1], s[0:1], exec
.LBB522_269:
	s_or_b64 exec, exec, s[2:3]
	s_and_saveexec_b64 s[2:3], s[0:1]
	s_cbranch_execnz .LBB522_176
.LBB522_270:
	s_or_b64 exec, exec, s[2:3]
	s_and_b64 s[0:1], s[18:19], s[22:23]
	s_and_saveexec_b64 s[2:3], s[0:1]
	s_cbranch_execz .LBB522_177
.LBB522_271:
	v_mov_b32_e32 v4, 0
	v_lshl_add_u64 v[0:1], v[2:3], 0, v[26:27]
	global_store_dwordx2 v4, v[0:1], s[20:21]
	s_endpgm
	.section	.rodata,"a",@progbits
	.p2align	6, 0x0
	.amdhsa_kernel _ZN7rocprim17ROCPRIM_400000_NS6detail17trampoline_kernelINS0_14default_configENS1_25partition_config_selectorILNS1_17partition_subalgoE2EiNS0_10empty_typeEbEEZZNS1_14partition_implILS5_2ELb0ES3_jN6thrust23THRUST_200600_302600_NS6detail15normal_iteratorINSA_7pointerIiNSA_11hip_rocprim3tagENSA_11use_defaultESG_EEEEPS6_NSA_18transform_iteratorINSA_8identityIiEENSC_INSA_10device_ptrIiEEEESG_SG_EENS0_5tupleIJPiSJ_EEENSR_IJSJ_SJ_EEES6_PlJS6_EEE10hipError_tPvRmT3_T4_T5_T6_T7_T9_mT8_P12ihipStream_tbDpT10_ENKUlT_T0_E_clISt17integral_constantIbLb1EES1F_EEDaS1A_S1B_EUlS1A_E_NS1_11comp_targetILNS1_3genE5ELNS1_11target_archE942ELNS1_3gpuE9ELNS1_3repE0EEENS1_30default_config_static_selectorELNS0_4arch9wavefront6targetE1EEEvT1_
		.amdhsa_group_segment_fixed_size 30728
		.amdhsa_private_segment_fixed_size 0
		.amdhsa_kernarg_size 144
		.amdhsa_user_sgpr_count 2
		.amdhsa_user_sgpr_dispatch_ptr 0
		.amdhsa_user_sgpr_queue_ptr 0
		.amdhsa_user_sgpr_kernarg_segment_ptr 1
		.amdhsa_user_sgpr_dispatch_id 0
		.amdhsa_user_sgpr_kernarg_preload_length 0
		.amdhsa_user_sgpr_kernarg_preload_offset 0
		.amdhsa_user_sgpr_private_segment_size 0
		.amdhsa_uses_dynamic_stack 0
		.amdhsa_enable_private_segment 0
		.amdhsa_system_sgpr_workgroup_id_x 1
		.amdhsa_system_sgpr_workgroup_id_y 0
		.amdhsa_system_sgpr_workgroup_id_z 0
		.amdhsa_system_sgpr_workgroup_info 0
		.amdhsa_system_vgpr_workitem_id 0
		.amdhsa_next_free_vgpr 67
		.amdhsa_next_free_sgpr 46
		.amdhsa_accum_offset 68
		.amdhsa_reserve_vcc 1
		.amdhsa_float_round_mode_32 0
		.amdhsa_float_round_mode_16_64 0
		.amdhsa_float_denorm_mode_32 3
		.amdhsa_float_denorm_mode_16_64 3
		.amdhsa_dx10_clamp 1
		.amdhsa_ieee_mode 1
		.amdhsa_fp16_overflow 0
		.amdhsa_tg_split 0
		.amdhsa_exception_fp_ieee_invalid_op 0
		.amdhsa_exception_fp_denorm_src 0
		.amdhsa_exception_fp_ieee_div_zero 0
		.amdhsa_exception_fp_ieee_overflow 0
		.amdhsa_exception_fp_ieee_underflow 0
		.amdhsa_exception_fp_ieee_inexact 0
		.amdhsa_exception_int_div_zero 0
	.end_amdhsa_kernel
	.section	.text._ZN7rocprim17ROCPRIM_400000_NS6detail17trampoline_kernelINS0_14default_configENS1_25partition_config_selectorILNS1_17partition_subalgoE2EiNS0_10empty_typeEbEEZZNS1_14partition_implILS5_2ELb0ES3_jN6thrust23THRUST_200600_302600_NS6detail15normal_iteratorINSA_7pointerIiNSA_11hip_rocprim3tagENSA_11use_defaultESG_EEEEPS6_NSA_18transform_iteratorINSA_8identityIiEENSC_INSA_10device_ptrIiEEEESG_SG_EENS0_5tupleIJPiSJ_EEENSR_IJSJ_SJ_EEES6_PlJS6_EEE10hipError_tPvRmT3_T4_T5_T6_T7_T9_mT8_P12ihipStream_tbDpT10_ENKUlT_T0_E_clISt17integral_constantIbLb1EES1F_EEDaS1A_S1B_EUlS1A_E_NS1_11comp_targetILNS1_3genE5ELNS1_11target_archE942ELNS1_3gpuE9ELNS1_3repE0EEENS1_30default_config_static_selectorELNS0_4arch9wavefront6targetE1EEEvT1_,"axG",@progbits,_ZN7rocprim17ROCPRIM_400000_NS6detail17trampoline_kernelINS0_14default_configENS1_25partition_config_selectorILNS1_17partition_subalgoE2EiNS0_10empty_typeEbEEZZNS1_14partition_implILS5_2ELb0ES3_jN6thrust23THRUST_200600_302600_NS6detail15normal_iteratorINSA_7pointerIiNSA_11hip_rocprim3tagENSA_11use_defaultESG_EEEEPS6_NSA_18transform_iteratorINSA_8identityIiEENSC_INSA_10device_ptrIiEEEESG_SG_EENS0_5tupleIJPiSJ_EEENSR_IJSJ_SJ_EEES6_PlJS6_EEE10hipError_tPvRmT3_T4_T5_T6_T7_T9_mT8_P12ihipStream_tbDpT10_ENKUlT_T0_E_clISt17integral_constantIbLb1EES1F_EEDaS1A_S1B_EUlS1A_E_NS1_11comp_targetILNS1_3genE5ELNS1_11target_archE942ELNS1_3gpuE9ELNS1_3repE0EEENS1_30default_config_static_selectorELNS0_4arch9wavefront6targetE1EEEvT1_,comdat
.Lfunc_end522:
	.size	_ZN7rocprim17ROCPRIM_400000_NS6detail17trampoline_kernelINS0_14default_configENS1_25partition_config_selectorILNS1_17partition_subalgoE2EiNS0_10empty_typeEbEEZZNS1_14partition_implILS5_2ELb0ES3_jN6thrust23THRUST_200600_302600_NS6detail15normal_iteratorINSA_7pointerIiNSA_11hip_rocprim3tagENSA_11use_defaultESG_EEEEPS6_NSA_18transform_iteratorINSA_8identityIiEENSC_INSA_10device_ptrIiEEEESG_SG_EENS0_5tupleIJPiSJ_EEENSR_IJSJ_SJ_EEES6_PlJS6_EEE10hipError_tPvRmT3_T4_T5_T6_T7_T9_mT8_P12ihipStream_tbDpT10_ENKUlT_T0_E_clISt17integral_constantIbLb1EES1F_EEDaS1A_S1B_EUlS1A_E_NS1_11comp_targetILNS1_3genE5ELNS1_11target_archE942ELNS1_3gpuE9ELNS1_3repE0EEENS1_30default_config_static_selectorELNS0_4arch9wavefront6targetE1EEEvT1_, .Lfunc_end522-_ZN7rocprim17ROCPRIM_400000_NS6detail17trampoline_kernelINS0_14default_configENS1_25partition_config_selectorILNS1_17partition_subalgoE2EiNS0_10empty_typeEbEEZZNS1_14partition_implILS5_2ELb0ES3_jN6thrust23THRUST_200600_302600_NS6detail15normal_iteratorINSA_7pointerIiNSA_11hip_rocprim3tagENSA_11use_defaultESG_EEEEPS6_NSA_18transform_iteratorINSA_8identityIiEENSC_INSA_10device_ptrIiEEEESG_SG_EENS0_5tupleIJPiSJ_EEENSR_IJSJ_SJ_EEES6_PlJS6_EEE10hipError_tPvRmT3_T4_T5_T6_T7_T9_mT8_P12ihipStream_tbDpT10_ENKUlT_T0_E_clISt17integral_constantIbLb1EES1F_EEDaS1A_S1B_EUlS1A_E_NS1_11comp_targetILNS1_3genE5ELNS1_11target_archE942ELNS1_3gpuE9ELNS1_3repE0EEENS1_30default_config_static_selectorELNS0_4arch9wavefront6targetE1EEEvT1_
                                        ; -- End function
	.section	.AMDGPU.csdata,"",@progbits
; Kernel info:
; codeLenInByte = 9024
; NumSgprs: 52
; NumVgprs: 67
; NumAgprs: 0
; TotalNumVgprs: 67
; ScratchSize: 0
; MemoryBound: 0
; FloatMode: 240
; IeeeMode: 1
; LDSByteSize: 30728 bytes/workgroup (compile time only)
; SGPRBlocks: 6
; VGPRBlocks: 8
; NumSGPRsForWavesPerEU: 52
; NumVGPRsForWavesPerEU: 67
; AccumOffset: 68
; Occupancy: 4
; WaveLimiterHint : 1
; COMPUTE_PGM_RSRC2:SCRATCH_EN: 0
; COMPUTE_PGM_RSRC2:USER_SGPR: 2
; COMPUTE_PGM_RSRC2:TRAP_HANDLER: 0
; COMPUTE_PGM_RSRC2:TGID_X_EN: 1
; COMPUTE_PGM_RSRC2:TGID_Y_EN: 0
; COMPUTE_PGM_RSRC2:TGID_Z_EN: 0
; COMPUTE_PGM_RSRC2:TIDIG_COMP_CNT: 0
; COMPUTE_PGM_RSRC3_GFX90A:ACCUM_OFFSET: 16
; COMPUTE_PGM_RSRC3_GFX90A:TG_SPLIT: 0
	.section	.text._ZN7rocprim17ROCPRIM_400000_NS6detail17trampoline_kernelINS0_14default_configENS1_25partition_config_selectorILNS1_17partition_subalgoE2EiNS0_10empty_typeEbEEZZNS1_14partition_implILS5_2ELb0ES3_jN6thrust23THRUST_200600_302600_NS6detail15normal_iteratorINSA_7pointerIiNSA_11hip_rocprim3tagENSA_11use_defaultESG_EEEEPS6_NSA_18transform_iteratorINSA_8identityIiEENSC_INSA_10device_ptrIiEEEESG_SG_EENS0_5tupleIJPiSJ_EEENSR_IJSJ_SJ_EEES6_PlJS6_EEE10hipError_tPvRmT3_T4_T5_T6_T7_T9_mT8_P12ihipStream_tbDpT10_ENKUlT_T0_E_clISt17integral_constantIbLb1EES1F_EEDaS1A_S1B_EUlS1A_E_NS1_11comp_targetILNS1_3genE4ELNS1_11target_archE910ELNS1_3gpuE8ELNS1_3repE0EEENS1_30default_config_static_selectorELNS0_4arch9wavefront6targetE1EEEvT1_,"axG",@progbits,_ZN7rocprim17ROCPRIM_400000_NS6detail17trampoline_kernelINS0_14default_configENS1_25partition_config_selectorILNS1_17partition_subalgoE2EiNS0_10empty_typeEbEEZZNS1_14partition_implILS5_2ELb0ES3_jN6thrust23THRUST_200600_302600_NS6detail15normal_iteratorINSA_7pointerIiNSA_11hip_rocprim3tagENSA_11use_defaultESG_EEEEPS6_NSA_18transform_iteratorINSA_8identityIiEENSC_INSA_10device_ptrIiEEEESG_SG_EENS0_5tupleIJPiSJ_EEENSR_IJSJ_SJ_EEES6_PlJS6_EEE10hipError_tPvRmT3_T4_T5_T6_T7_T9_mT8_P12ihipStream_tbDpT10_ENKUlT_T0_E_clISt17integral_constantIbLb1EES1F_EEDaS1A_S1B_EUlS1A_E_NS1_11comp_targetILNS1_3genE4ELNS1_11target_archE910ELNS1_3gpuE8ELNS1_3repE0EEENS1_30default_config_static_selectorELNS0_4arch9wavefront6targetE1EEEvT1_,comdat
	.protected	_ZN7rocprim17ROCPRIM_400000_NS6detail17trampoline_kernelINS0_14default_configENS1_25partition_config_selectorILNS1_17partition_subalgoE2EiNS0_10empty_typeEbEEZZNS1_14partition_implILS5_2ELb0ES3_jN6thrust23THRUST_200600_302600_NS6detail15normal_iteratorINSA_7pointerIiNSA_11hip_rocprim3tagENSA_11use_defaultESG_EEEEPS6_NSA_18transform_iteratorINSA_8identityIiEENSC_INSA_10device_ptrIiEEEESG_SG_EENS0_5tupleIJPiSJ_EEENSR_IJSJ_SJ_EEES6_PlJS6_EEE10hipError_tPvRmT3_T4_T5_T6_T7_T9_mT8_P12ihipStream_tbDpT10_ENKUlT_T0_E_clISt17integral_constantIbLb1EES1F_EEDaS1A_S1B_EUlS1A_E_NS1_11comp_targetILNS1_3genE4ELNS1_11target_archE910ELNS1_3gpuE8ELNS1_3repE0EEENS1_30default_config_static_selectorELNS0_4arch9wavefront6targetE1EEEvT1_ ; -- Begin function _ZN7rocprim17ROCPRIM_400000_NS6detail17trampoline_kernelINS0_14default_configENS1_25partition_config_selectorILNS1_17partition_subalgoE2EiNS0_10empty_typeEbEEZZNS1_14partition_implILS5_2ELb0ES3_jN6thrust23THRUST_200600_302600_NS6detail15normal_iteratorINSA_7pointerIiNSA_11hip_rocprim3tagENSA_11use_defaultESG_EEEEPS6_NSA_18transform_iteratorINSA_8identityIiEENSC_INSA_10device_ptrIiEEEESG_SG_EENS0_5tupleIJPiSJ_EEENSR_IJSJ_SJ_EEES6_PlJS6_EEE10hipError_tPvRmT3_T4_T5_T6_T7_T9_mT8_P12ihipStream_tbDpT10_ENKUlT_T0_E_clISt17integral_constantIbLb1EES1F_EEDaS1A_S1B_EUlS1A_E_NS1_11comp_targetILNS1_3genE4ELNS1_11target_archE910ELNS1_3gpuE8ELNS1_3repE0EEENS1_30default_config_static_selectorELNS0_4arch9wavefront6targetE1EEEvT1_
	.globl	_ZN7rocprim17ROCPRIM_400000_NS6detail17trampoline_kernelINS0_14default_configENS1_25partition_config_selectorILNS1_17partition_subalgoE2EiNS0_10empty_typeEbEEZZNS1_14partition_implILS5_2ELb0ES3_jN6thrust23THRUST_200600_302600_NS6detail15normal_iteratorINSA_7pointerIiNSA_11hip_rocprim3tagENSA_11use_defaultESG_EEEEPS6_NSA_18transform_iteratorINSA_8identityIiEENSC_INSA_10device_ptrIiEEEESG_SG_EENS0_5tupleIJPiSJ_EEENSR_IJSJ_SJ_EEES6_PlJS6_EEE10hipError_tPvRmT3_T4_T5_T6_T7_T9_mT8_P12ihipStream_tbDpT10_ENKUlT_T0_E_clISt17integral_constantIbLb1EES1F_EEDaS1A_S1B_EUlS1A_E_NS1_11comp_targetILNS1_3genE4ELNS1_11target_archE910ELNS1_3gpuE8ELNS1_3repE0EEENS1_30default_config_static_selectorELNS0_4arch9wavefront6targetE1EEEvT1_
	.p2align	8
	.type	_ZN7rocprim17ROCPRIM_400000_NS6detail17trampoline_kernelINS0_14default_configENS1_25partition_config_selectorILNS1_17partition_subalgoE2EiNS0_10empty_typeEbEEZZNS1_14partition_implILS5_2ELb0ES3_jN6thrust23THRUST_200600_302600_NS6detail15normal_iteratorINSA_7pointerIiNSA_11hip_rocprim3tagENSA_11use_defaultESG_EEEEPS6_NSA_18transform_iteratorINSA_8identityIiEENSC_INSA_10device_ptrIiEEEESG_SG_EENS0_5tupleIJPiSJ_EEENSR_IJSJ_SJ_EEES6_PlJS6_EEE10hipError_tPvRmT3_T4_T5_T6_T7_T9_mT8_P12ihipStream_tbDpT10_ENKUlT_T0_E_clISt17integral_constantIbLb1EES1F_EEDaS1A_S1B_EUlS1A_E_NS1_11comp_targetILNS1_3genE4ELNS1_11target_archE910ELNS1_3gpuE8ELNS1_3repE0EEENS1_30default_config_static_selectorELNS0_4arch9wavefront6targetE1EEEvT1_,@function
_ZN7rocprim17ROCPRIM_400000_NS6detail17trampoline_kernelINS0_14default_configENS1_25partition_config_selectorILNS1_17partition_subalgoE2EiNS0_10empty_typeEbEEZZNS1_14partition_implILS5_2ELb0ES3_jN6thrust23THRUST_200600_302600_NS6detail15normal_iteratorINSA_7pointerIiNSA_11hip_rocprim3tagENSA_11use_defaultESG_EEEEPS6_NSA_18transform_iteratorINSA_8identityIiEENSC_INSA_10device_ptrIiEEEESG_SG_EENS0_5tupleIJPiSJ_EEENSR_IJSJ_SJ_EEES6_PlJS6_EEE10hipError_tPvRmT3_T4_T5_T6_T7_T9_mT8_P12ihipStream_tbDpT10_ENKUlT_T0_E_clISt17integral_constantIbLb1EES1F_EEDaS1A_S1B_EUlS1A_E_NS1_11comp_targetILNS1_3genE4ELNS1_11target_archE910ELNS1_3gpuE8ELNS1_3repE0EEENS1_30default_config_static_selectorELNS0_4arch9wavefront6targetE1EEEvT1_: ; @_ZN7rocprim17ROCPRIM_400000_NS6detail17trampoline_kernelINS0_14default_configENS1_25partition_config_selectorILNS1_17partition_subalgoE2EiNS0_10empty_typeEbEEZZNS1_14partition_implILS5_2ELb0ES3_jN6thrust23THRUST_200600_302600_NS6detail15normal_iteratorINSA_7pointerIiNSA_11hip_rocprim3tagENSA_11use_defaultESG_EEEEPS6_NSA_18transform_iteratorINSA_8identityIiEENSC_INSA_10device_ptrIiEEEESG_SG_EENS0_5tupleIJPiSJ_EEENSR_IJSJ_SJ_EEES6_PlJS6_EEE10hipError_tPvRmT3_T4_T5_T6_T7_T9_mT8_P12ihipStream_tbDpT10_ENKUlT_T0_E_clISt17integral_constantIbLb1EES1F_EEDaS1A_S1B_EUlS1A_E_NS1_11comp_targetILNS1_3genE4ELNS1_11target_archE910ELNS1_3gpuE8ELNS1_3repE0EEENS1_30default_config_static_selectorELNS0_4arch9wavefront6targetE1EEEvT1_
; %bb.0:
	.section	.rodata,"a",@progbits
	.p2align	6, 0x0
	.amdhsa_kernel _ZN7rocprim17ROCPRIM_400000_NS6detail17trampoline_kernelINS0_14default_configENS1_25partition_config_selectorILNS1_17partition_subalgoE2EiNS0_10empty_typeEbEEZZNS1_14partition_implILS5_2ELb0ES3_jN6thrust23THRUST_200600_302600_NS6detail15normal_iteratorINSA_7pointerIiNSA_11hip_rocprim3tagENSA_11use_defaultESG_EEEEPS6_NSA_18transform_iteratorINSA_8identityIiEENSC_INSA_10device_ptrIiEEEESG_SG_EENS0_5tupleIJPiSJ_EEENSR_IJSJ_SJ_EEES6_PlJS6_EEE10hipError_tPvRmT3_T4_T5_T6_T7_T9_mT8_P12ihipStream_tbDpT10_ENKUlT_T0_E_clISt17integral_constantIbLb1EES1F_EEDaS1A_S1B_EUlS1A_E_NS1_11comp_targetILNS1_3genE4ELNS1_11target_archE910ELNS1_3gpuE8ELNS1_3repE0EEENS1_30default_config_static_selectorELNS0_4arch9wavefront6targetE1EEEvT1_
		.amdhsa_group_segment_fixed_size 0
		.amdhsa_private_segment_fixed_size 0
		.amdhsa_kernarg_size 144
		.amdhsa_user_sgpr_count 2
		.amdhsa_user_sgpr_dispatch_ptr 0
		.amdhsa_user_sgpr_queue_ptr 0
		.amdhsa_user_sgpr_kernarg_segment_ptr 1
		.amdhsa_user_sgpr_dispatch_id 0
		.amdhsa_user_sgpr_kernarg_preload_length 0
		.amdhsa_user_sgpr_kernarg_preload_offset 0
		.amdhsa_user_sgpr_private_segment_size 0
		.amdhsa_uses_dynamic_stack 0
		.amdhsa_enable_private_segment 0
		.amdhsa_system_sgpr_workgroup_id_x 1
		.amdhsa_system_sgpr_workgroup_id_y 0
		.amdhsa_system_sgpr_workgroup_id_z 0
		.amdhsa_system_sgpr_workgroup_info 0
		.amdhsa_system_vgpr_workitem_id 0
		.amdhsa_next_free_vgpr 1
		.amdhsa_next_free_sgpr 0
		.amdhsa_accum_offset 4
		.amdhsa_reserve_vcc 0
		.amdhsa_float_round_mode_32 0
		.amdhsa_float_round_mode_16_64 0
		.amdhsa_float_denorm_mode_32 3
		.amdhsa_float_denorm_mode_16_64 3
		.amdhsa_dx10_clamp 1
		.amdhsa_ieee_mode 1
		.amdhsa_fp16_overflow 0
		.amdhsa_tg_split 0
		.amdhsa_exception_fp_ieee_invalid_op 0
		.amdhsa_exception_fp_denorm_src 0
		.amdhsa_exception_fp_ieee_div_zero 0
		.amdhsa_exception_fp_ieee_overflow 0
		.amdhsa_exception_fp_ieee_underflow 0
		.amdhsa_exception_fp_ieee_inexact 0
		.amdhsa_exception_int_div_zero 0
	.end_amdhsa_kernel
	.section	.text._ZN7rocprim17ROCPRIM_400000_NS6detail17trampoline_kernelINS0_14default_configENS1_25partition_config_selectorILNS1_17partition_subalgoE2EiNS0_10empty_typeEbEEZZNS1_14partition_implILS5_2ELb0ES3_jN6thrust23THRUST_200600_302600_NS6detail15normal_iteratorINSA_7pointerIiNSA_11hip_rocprim3tagENSA_11use_defaultESG_EEEEPS6_NSA_18transform_iteratorINSA_8identityIiEENSC_INSA_10device_ptrIiEEEESG_SG_EENS0_5tupleIJPiSJ_EEENSR_IJSJ_SJ_EEES6_PlJS6_EEE10hipError_tPvRmT3_T4_T5_T6_T7_T9_mT8_P12ihipStream_tbDpT10_ENKUlT_T0_E_clISt17integral_constantIbLb1EES1F_EEDaS1A_S1B_EUlS1A_E_NS1_11comp_targetILNS1_3genE4ELNS1_11target_archE910ELNS1_3gpuE8ELNS1_3repE0EEENS1_30default_config_static_selectorELNS0_4arch9wavefront6targetE1EEEvT1_,"axG",@progbits,_ZN7rocprim17ROCPRIM_400000_NS6detail17trampoline_kernelINS0_14default_configENS1_25partition_config_selectorILNS1_17partition_subalgoE2EiNS0_10empty_typeEbEEZZNS1_14partition_implILS5_2ELb0ES3_jN6thrust23THRUST_200600_302600_NS6detail15normal_iteratorINSA_7pointerIiNSA_11hip_rocprim3tagENSA_11use_defaultESG_EEEEPS6_NSA_18transform_iteratorINSA_8identityIiEENSC_INSA_10device_ptrIiEEEESG_SG_EENS0_5tupleIJPiSJ_EEENSR_IJSJ_SJ_EEES6_PlJS6_EEE10hipError_tPvRmT3_T4_T5_T6_T7_T9_mT8_P12ihipStream_tbDpT10_ENKUlT_T0_E_clISt17integral_constantIbLb1EES1F_EEDaS1A_S1B_EUlS1A_E_NS1_11comp_targetILNS1_3genE4ELNS1_11target_archE910ELNS1_3gpuE8ELNS1_3repE0EEENS1_30default_config_static_selectorELNS0_4arch9wavefront6targetE1EEEvT1_,comdat
.Lfunc_end523:
	.size	_ZN7rocprim17ROCPRIM_400000_NS6detail17trampoline_kernelINS0_14default_configENS1_25partition_config_selectorILNS1_17partition_subalgoE2EiNS0_10empty_typeEbEEZZNS1_14partition_implILS5_2ELb0ES3_jN6thrust23THRUST_200600_302600_NS6detail15normal_iteratorINSA_7pointerIiNSA_11hip_rocprim3tagENSA_11use_defaultESG_EEEEPS6_NSA_18transform_iteratorINSA_8identityIiEENSC_INSA_10device_ptrIiEEEESG_SG_EENS0_5tupleIJPiSJ_EEENSR_IJSJ_SJ_EEES6_PlJS6_EEE10hipError_tPvRmT3_T4_T5_T6_T7_T9_mT8_P12ihipStream_tbDpT10_ENKUlT_T0_E_clISt17integral_constantIbLb1EES1F_EEDaS1A_S1B_EUlS1A_E_NS1_11comp_targetILNS1_3genE4ELNS1_11target_archE910ELNS1_3gpuE8ELNS1_3repE0EEENS1_30default_config_static_selectorELNS0_4arch9wavefront6targetE1EEEvT1_, .Lfunc_end523-_ZN7rocprim17ROCPRIM_400000_NS6detail17trampoline_kernelINS0_14default_configENS1_25partition_config_selectorILNS1_17partition_subalgoE2EiNS0_10empty_typeEbEEZZNS1_14partition_implILS5_2ELb0ES3_jN6thrust23THRUST_200600_302600_NS6detail15normal_iteratorINSA_7pointerIiNSA_11hip_rocprim3tagENSA_11use_defaultESG_EEEEPS6_NSA_18transform_iteratorINSA_8identityIiEENSC_INSA_10device_ptrIiEEEESG_SG_EENS0_5tupleIJPiSJ_EEENSR_IJSJ_SJ_EEES6_PlJS6_EEE10hipError_tPvRmT3_T4_T5_T6_T7_T9_mT8_P12ihipStream_tbDpT10_ENKUlT_T0_E_clISt17integral_constantIbLb1EES1F_EEDaS1A_S1B_EUlS1A_E_NS1_11comp_targetILNS1_3genE4ELNS1_11target_archE910ELNS1_3gpuE8ELNS1_3repE0EEENS1_30default_config_static_selectorELNS0_4arch9wavefront6targetE1EEEvT1_
                                        ; -- End function
	.section	.AMDGPU.csdata,"",@progbits
; Kernel info:
; codeLenInByte = 0
; NumSgprs: 6
; NumVgprs: 0
; NumAgprs: 0
; TotalNumVgprs: 0
; ScratchSize: 0
; MemoryBound: 0
; FloatMode: 240
; IeeeMode: 1
; LDSByteSize: 0 bytes/workgroup (compile time only)
; SGPRBlocks: 0
; VGPRBlocks: 0
; NumSGPRsForWavesPerEU: 6
; NumVGPRsForWavesPerEU: 1
; AccumOffset: 4
; Occupancy: 8
; WaveLimiterHint : 0
; COMPUTE_PGM_RSRC2:SCRATCH_EN: 0
; COMPUTE_PGM_RSRC2:USER_SGPR: 2
; COMPUTE_PGM_RSRC2:TRAP_HANDLER: 0
; COMPUTE_PGM_RSRC2:TGID_X_EN: 1
; COMPUTE_PGM_RSRC2:TGID_Y_EN: 0
; COMPUTE_PGM_RSRC2:TGID_Z_EN: 0
; COMPUTE_PGM_RSRC2:TIDIG_COMP_CNT: 0
; COMPUTE_PGM_RSRC3_GFX90A:ACCUM_OFFSET: 0
; COMPUTE_PGM_RSRC3_GFX90A:TG_SPLIT: 0
	.section	.text._ZN7rocprim17ROCPRIM_400000_NS6detail17trampoline_kernelINS0_14default_configENS1_25partition_config_selectorILNS1_17partition_subalgoE2EiNS0_10empty_typeEbEEZZNS1_14partition_implILS5_2ELb0ES3_jN6thrust23THRUST_200600_302600_NS6detail15normal_iteratorINSA_7pointerIiNSA_11hip_rocprim3tagENSA_11use_defaultESG_EEEEPS6_NSA_18transform_iteratorINSA_8identityIiEENSC_INSA_10device_ptrIiEEEESG_SG_EENS0_5tupleIJPiSJ_EEENSR_IJSJ_SJ_EEES6_PlJS6_EEE10hipError_tPvRmT3_T4_T5_T6_T7_T9_mT8_P12ihipStream_tbDpT10_ENKUlT_T0_E_clISt17integral_constantIbLb1EES1F_EEDaS1A_S1B_EUlS1A_E_NS1_11comp_targetILNS1_3genE3ELNS1_11target_archE908ELNS1_3gpuE7ELNS1_3repE0EEENS1_30default_config_static_selectorELNS0_4arch9wavefront6targetE1EEEvT1_,"axG",@progbits,_ZN7rocprim17ROCPRIM_400000_NS6detail17trampoline_kernelINS0_14default_configENS1_25partition_config_selectorILNS1_17partition_subalgoE2EiNS0_10empty_typeEbEEZZNS1_14partition_implILS5_2ELb0ES3_jN6thrust23THRUST_200600_302600_NS6detail15normal_iteratorINSA_7pointerIiNSA_11hip_rocprim3tagENSA_11use_defaultESG_EEEEPS6_NSA_18transform_iteratorINSA_8identityIiEENSC_INSA_10device_ptrIiEEEESG_SG_EENS0_5tupleIJPiSJ_EEENSR_IJSJ_SJ_EEES6_PlJS6_EEE10hipError_tPvRmT3_T4_T5_T6_T7_T9_mT8_P12ihipStream_tbDpT10_ENKUlT_T0_E_clISt17integral_constantIbLb1EES1F_EEDaS1A_S1B_EUlS1A_E_NS1_11comp_targetILNS1_3genE3ELNS1_11target_archE908ELNS1_3gpuE7ELNS1_3repE0EEENS1_30default_config_static_selectorELNS0_4arch9wavefront6targetE1EEEvT1_,comdat
	.protected	_ZN7rocprim17ROCPRIM_400000_NS6detail17trampoline_kernelINS0_14default_configENS1_25partition_config_selectorILNS1_17partition_subalgoE2EiNS0_10empty_typeEbEEZZNS1_14partition_implILS5_2ELb0ES3_jN6thrust23THRUST_200600_302600_NS6detail15normal_iteratorINSA_7pointerIiNSA_11hip_rocprim3tagENSA_11use_defaultESG_EEEEPS6_NSA_18transform_iteratorINSA_8identityIiEENSC_INSA_10device_ptrIiEEEESG_SG_EENS0_5tupleIJPiSJ_EEENSR_IJSJ_SJ_EEES6_PlJS6_EEE10hipError_tPvRmT3_T4_T5_T6_T7_T9_mT8_P12ihipStream_tbDpT10_ENKUlT_T0_E_clISt17integral_constantIbLb1EES1F_EEDaS1A_S1B_EUlS1A_E_NS1_11comp_targetILNS1_3genE3ELNS1_11target_archE908ELNS1_3gpuE7ELNS1_3repE0EEENS1_30default_config_static_selectorELNS0_4arch9wavefront6targetE1EEEvT1_ ; -- Begin function _ZN7rocprim17ROCPRIM_400000_NS6detail17trampoline_kernelINS0_14default_configENS1_25partition_config_selectorILNS1_17partition_subalgoE2EiNS0_10empty_typeEbEEZZNS1_14partition_implILS5_2ELb0ES3_jN6thrust23THRUST_200600_302600_NS6detail15normal_iteratorINSA_7pointerIiNSA_11hip_rocprim3tagENSA_11use_defaultESG_EEEEPS6_NSA_18transform_iteratorINSA_8identityIiEENSC_INSA_10device_ptrIiEEEESG_SG_EENS0_5tupleIJPiSJ_EEENSR_IJSJ_SJ_EEES6_PlJS6_EEE10hipError_tPvRmT3_T4_T5_T6_T7_T9_mT8_P12ihipStream_tbDpT10_ENKUlT_T0_E_clISt17integral_constantIbLb1EES1F_EEDaS1A_S1B_EUlS1A_E_NS1_11comp_targetILNS1_3genE3ELNS1_11target_archE908ELNS1_3gpuE7ELNS1_3repE0EEENS1_30default_config_static_selectorELNS0_4arch9wavefront6targetE1EEEvT1_
	.globl	_ZN7rocprim17ROCPRIM_400000_NS6detail17trampoline_kernelINS0_14default_configENS1_25partition_config_selectorILNS1_17partition_subalgoE2EiNS0_10empty_typeEbEEZZNS1_14partition_implILS5_2ELb0ES3_jN6thrust23THRUST_200600_302600_NS6detail15normal_iteratorINSA_7pointerIiNSA_11hip_rocprim3tagENSA_11use_defaultESG_EEEEPS6_NSA_18transform_iteratorINSA_8identityIiEENSC_INSA_10device_ptrIiEEEESG_SG_EENS0_5tupleIJPiSJ_EEENSR_IJSJ_SJ_EEES6_PlJS6_EEE10hipError_tPvRmT3_T4_T5_T6_T7_T9_mT8_P12ihipStream_tbDpT10_ENKUlT_T0_E_clISt17integral_constantIbLb1EES1F_EEDaS1A_S1B_EUlS1A_E_NS1_11comp_targetILNS1_3genE3ELNS1_11target_archE908ELNS1_3gpuE7ELNS1_3repE0EEENS1_30default_config_static_selectorELNS0_4arch9wavefront6targetE1EEEvT1_
	.p2align	8
	.type	_ZN7rocprim17ROCPRIM_400000_NS6detail17trampoline_kernelINS0_14default_configENS1_25partition_config_selectorILNS1_17partition_subalgoE2EiNS0_10empty_typeEbEEZZNS1_14partition_implILS5_2ELb0ES3_jN6thrust23THRUST_200600_302600_NS6detail15normal_iteratorINSA_7pointerIiNSA_11hip_rocprim3tagENSA_11use_defaultESG_EEEEPS6_NSA_18transform_iteratorINSA_8identityIiEENSC_INSA_10device_ptrIiEEEESG_SG_EENS0_5tupleIJPiSJ_EEENSR_IJSJ_SJ_EEES6_PlJS6_EEE10hipError_tPvRmT3_T4_T5_T6_T7_T9_mT8_P12ihipStream_tbDpT10_ENKUlT_T0_E_clISt17integral_constantIbLb1EES1F_EEDaS1A_S1B_EUlS1A_E_NS1_11comp_targetILNS1_3genE3ELNS1_11target_archE908ELNS1_3gpuE7ELNS1_3repE0EEENS1_30default_config_static_selectorELNS0_4arch9wavefront6targetE1EEEvT1_,@function
_ZN7rocprim17ROCPRIM_400000_NS6detail17trampoline_kernelINS0_14default_configENS1_25partition_config_selectorILNS1_17partition_subalgoE2EiNS0_10empty_typeEbEEZZNS1_14partition_implILS5_2ELb0ES3_jN6thrust23THRUST_200600_302600_NS6detail15normal_iteratorINSA_7pointerIiNSA_11hip_rocprim3tagENSA_11use_defaultESG_EEEEPS6_NSA_18transform_iteratorINSA_8identityIiEENSC_INSA_10device_ptrIiEEEESG_SG_EENS0_5tupleIJPiSJ_EEENSR_IJSJ_SJ_EEES6_PlJS6_EEE10hipError_tPvRmT3_T4_T5_T6_T7_T9_mT8_P12ihipStream_tbDpT10_ENKUlT_T0_E_clISt17integral_constantIbLb1EES1F_EEDaS1A_S1B_EUlS1A_E_NS1_11comp_targetILNS1_3genE3ELNS1_11target_archE908ELNS1_3gpuE7ELNS1_3repE0EEENS1_30default_config_static_selectorELNS0_4arch9wavefront6targetE1EEEvT1_: ; @_ZN7rocprim17ROCPRIM_400000_NS6detail17trampoline_kernelINS0_14default_configENS1_25partition_config_selectorILNS1_17partition_subalgoE2EiNS0_10empty_typeEbEEZZNS1_14partition_implILS5_2ELb0ES3_jN6thrust23THRUST_200600_302600_NS6detail15normal_iteratorINSA_7pointerIiNSA_11hip_rocprim3tagENSA_11use_defaultESG_EEEEPS6_NSA_18transform_iteratorINSA_8identityIiEENSC_INSA_10device_ptrIiEEEESG_SG_EENS0_5tupleIJPiSJ_EEENSR_IJSJ_SJ_EEES6_PlJS6_EEE10hipError_tPvRmT3_T4_T5_T6_T7_T9_mT8_P12ihipStream_tbDpT10_ENKUlT_T0_E_clISt17integral_constantIbLb1EES1F_EEDaS1A_S1B_EUlS1A_E_NS1_11comp_targetILNS1_3genE3ELNS1_11target_archE908ELNS1_3gpuE7ELNS1_3repE0EEENS1_30default_config_static_selectorELNS0_4arch9wavefront6targetE1EEEvT1_
; %bb.0:
	.section	.rodata,"a",@progbits
	.p2align	6, 0x0
	.amdhsa_kernel _ZN7rocprim17ROCPRIM_400000_NS6detail17trampoline_kernelINS0_14default_configENS1_25partition_config_selectorILNS1_17partition_subalgoE2EiNS0_10empty_typeEbEEZZNS1_14partition_implILS5_2ELb0ES3_jN6thrust23THRUST_200600_302600_NS6detail15normal_iteratorINSA_7pointerIiNSA_11hip_rocprim3tagENSA_11use_defaultESG_EEEEPS6_NSA_18transform_iteratorINSA_8identityIiEENSC_INSA_10device_ptrIiEEEESG_SG_EENS0_5tupleIJPiSJ_EEENSR_IJSJ_SJ_EEES6_PlJS6_EEE10hipError_tPvRmT3_T4_T5_T6_T7_T9_mT8_P12ihipStream_tbDpT10_ENKUlT_T0_E_clISt17integral_constantIbLb1EES1F_EEDaS1A_S1B_EUlS1A_E_NS1_11comp_targetILNS1_3genE3ELNS1_11target_archE908ELNS1_3gpuE7ELNS1_3repE0EEENS1_30default_config_static_selectorELNS0_4arch9wavefront6targetE1EEEvT1_
		.amdhsa_group_segment_fixed_size 0
		.amdhsa_private_segment_fixed_size 0
		.amdhsa_kernarg_size 144
		.amdhsa_user_sgpr_count 2
		.amdhsa_user_sgpr_dispatch_ptr 0
		.amdhsa_user_sgpr_queue_ptr 0
		.amdhsa_user_sgpr_kernarg_segment_ptr 1
		.amdhsa_user_sgpr_dispatch_id 0
		.amdhsa_user_sgpr_kernarg_preload_length 0
		.amdhsa_user_sgpr_kernarg_preload_offset 0
		.amdhsa_user_sgpr_private_segment_size 0
		.amdhsa_uses_dynamic_stack 0
		.amdhsa_enable_private_segment 0
		.amdhsa_system_sgpr_workgroup_id_x 1
		.amdhsa_system_sgpr_workgroup_id_y 0
		.amdhsa_system_sgpr_workgroup_id_z 0
		.amdhsa_system_sgpr_workgroup_info 0
		.amdhsa_system_vgpr_workitem_id 0
		.amdhsa_next_free_vgpr 1
		.amdhsa_next_free_sgpr 0
		.amdhsa_accum_offset 4
		.amdhsa_reserve_vcc 0
		.amdhsa_float_round_mode_32 0
		.amdhsa_float_round_mode_16_64 0
		.amdhsa_float_denorm_mode_32 3
		.amdhsa_float_denorm_mode_16_64 3
		.amdhsa_dx10_clamp 1
		.amdhsa_ieee_mode 1
		.amdhsa_fp16_overflow 0
		.amdhsa_tg_split 0
		.amdhsa_exception_fp_ieee_invalid_op 0
		.amdhsa_exception_fp_denorm_src 0
		.amdhsa_exception_fp_ieee_div_zero 0
		.amdhsa_exception_fp_ieee_overflow 0
		.amdhsa_exception_fp_ieee_underflow 0
		.amdhsa_exception_fp_ieee_inexact 0
		.amdhsa_exception_int_div_zero 0
	.end_amdhsa_kernel
	.section	.text._ZN7rocprim17ROCPRIM_400000_NS6detail17trampoline_kernelINS0_14default_configENS1_25partition_config_selectorILNS1_17partition_subalgoE2EiNS0_10empty_typeEbEEZZNS1_14partition_implILS5_2ELb0ES3_jN6thrust23THRUST_200600_302600_NS6detail15normal_iteratorINSA_7pointerIiNSA_11hip_rocprim3tagENSA_11use_defaultESG_EEEEPS6_NSA_18transform_iteratorINSA_8identityIiEENSC_INSA_10device_ptrIiEEEESG_SG_EENS0_5tupleIJPiSJ_EEENSR_IJSJ_SJ_EEES6_PlJS6_EEE10hipError_tPvRmT3_T4_T5_T6_T7_T9_mT8_P12ihipStream_tbDpT10_ENKUlT_T0_E_clISt17integral_constantIbLb1EES1F_EEDaS1A_S1B_EUlS1A_E_NS1_11comp_targetILNS1_3genE3ELNS1_11target_archE908ELNS1_3gpuE7ELNS1_3repE0EEENS1_30default_config_static_selectorELNS0_4arch9wavefront6targetE1EEEvT1_,"axG",@progbits,_ZN7rocprim17ROCPRIM_400000_NS6detail17trampoline_kernelINS0_14default_configENS1_25partition_config_selectorILNS1_17partition_subalgoE2EiNS0_10empty_typeEbEEZZNS1_14partition_implILS5_2ELb0ES3_jN6thrust23THRUST_200600_302600_NS6detail15normal_iteratorINSA_7pointerIiNSA_11hip_rocprim3tagENSA_11use_defaultESG_EEEEPS6_NSA_18transform_iteratorINSA_8identityIiEENSC_INSA_10device_ptrIiEEEESG_SG_EENS0_5tupleIJPiSJ_EEENSR_IJSJ_SJ_EEES6_PlJS6_EEE10hipError_tPvRmT3_T4_T5_T6_T7_T9_mT8_P12ihipStream_tbDpT10_ENKUlT_T0_E_clISt17integral_constantIbLb1EES1F_EEDaS1A_S1B_EUlS1A_E_NS1_11comp_targetILNS1_3genE3ELNS1_11target_archE908ELNS1_3gpuE7ELNS1_3repE0EEENS1_30default_config_static_selectorELNS0_4arch9wavefront6targetE1EEEvT1_,comdat
.Lfunc_end524:
	.size	_ZN7rocprim17ROCPRIM_400000_NS6detail17trampoline_kernelINS0_14default_configENS1_25partition_config_selectorILNS1_17partition_subalgoE2EiNS0_10empty_typeEbEEZZNS1_14partition_implILS5_2ELb0ES3_jN6thrust23THRUST_200600_302600_NS6detail15normal_iteratorINSA_7pointerIiNSA_11hip_rocprim3tagENSA_11use_defaultESG_EEEEPS6_NSA_18transform_iteratorINSA_8identityIiEENSC_INSA_10device_ptrIiEEEESG_SG_EENS0_5tupleIJPiSJ_EEENSR_IJSJ_SJ_EEES6_PlJS6_EEE10hipError_tPvRmT3_T4_T5_T6_T7_T9_mT8_P12ihipStream_tbDpT10_ENKUlT_T0_E_clISt17integral_constantIbLb1EES1F_EEDaS1A_S1B_EUlS1A_E_NS1_11comp_targetILNS1_3genE3ELNS1_11target_archE908ELNS1_3gpuE7ELNS1_3repE0EEENS1_30default_config_static_selectorELNS0_4arch9wavefront6targetE1EEEvT1_, .Lfunc_end524-_ZN7rocprim17ROCPRIM_400000_NS6detail17trampoline_kernelINS0_14default_configENS1_25partition_config_selectorILNS1_17partition_subalgoE2EiNS0_10empty_typeEbEEZZNS1_14partition_implILS5_2ELb0ES3_jN6thrust23THRUST_200600_302600_NS6detail15normal_iteratorINSA_7pointerIiNSA_11hip_rocprim3tagENSA_11use_defaultESG_EEEEPS6_NSA_18transform_iteratorINSA_8identityIiEENSC_INSA_10device_ptrIiEEEESG_SG_EENS0_5tupleIJPiSJ_EEENSR_IJSJ_SJ_EEES6_PlJS6_EEE10hipError_tPvRmT3_T4_T5_T6_T7_T9_mT8_P12ihipStream_tbDpT10_ENKUlT_T0_E_clISt17integral_constantIbLb1EES1F_EEDaS1A_S1B_EUlS1A_E_NS1_11comp_targetILNS1_3genE3ELNS1_11target_archE908ELNS1_3gpuE7ELNS1_3repE0EEENS1_30default_config_static_selectorELNS0_4arch9wavefront6targetE1EEEvT1_
                                        ; -- End function
	.section	.AMDGPU.csdata,"",@progbits
; Kernel info:
; codeLenInByte = 0
; NumSgprs: 6
; NumVgprs: 0
; NumAgprs: 0
; TotalNumVgprs: 0
; ScratchSize: 0
; MemoryBound: 0
; FloatMode: 240
; IeeeMode: 1
; LDSByteSize: 0 bytes/workgroup (compile time only)
; SGPRBlocks: 0
; VGPRBlocks: 0
; NumSGPRsForWavesPerEU: 6
; NumVGPRsForWavesPerEU: 1
; AccumOffset: 4
; Occupancy: 8
; WaveLimiterHint : 0
; COMPUTE_PGM_RSRC2:SCRATCH_EN: 0
; COMPUTE_PGM_RSRC2:USER_SGPR: 2
; COMPUTE_PGM_RSRC2:TRAP_HANDLER: 0
; COMPUTE_PGM_RSRC2:TGID_X_EN: 1
; COMPUTE_PGM_RSRC2:TGID_Y_EN: 0
; COMPUTE_PGM_RSRC2:TGID_Z_EN: 0
; COMPUTE_PGM_RSRC2:TIDIG_COMP_CNT: 0
; COMPUTE_PGM_RSRC3_GFX90A:ACCUM_OFFSET: 0
; COMPUTE_PGM_RSRC3_GFX90A:TG_SPLIT: 0
	.section	.text._ZN7rocprim17ROCPRIM_400000_NS6detail17trampoline_kernelINS0_14default_configENS1_25partition_config_selectorILNS1_17partition_subalgoE2EiNS0_10empty_typeEbEEZZNS1_14partition_implILS5_2ELb0ES3_jN6thrust23THRUST_200600_302600_NS6detail15normal_iteratorINSA_7pointerIiNSA_11hip_rocprim3tagENSA_11use_defaultESG_EEEEPS6_NSA_18transform_iteratorINSA_8identityIiEENSC_INSA_10device_ptrIiEEEESG_SG_EENS0_5tupleIJPiSJ_EEENSR_IJSJ_SJ_EEES6_PlJS6_EEE10hipError_tPvRmT3_T4_T5_T6_T7_T9_mT8_P12ihipStream_tbDpT10_ENKUlT_T0_E_clISt17integral_constantIbLb1EES1F_EEDaS1A_S1B_EUlS1A_E_NS1_11comp_targetILNS1_3genE2ELNS1_11target_archE906ELNS1_3gpuE6ELNS1_3repE0EEENS1_30default_config_static_selectorELNS0_4arch9wavefront6targetE1EEEvT1_,"axG",@progbits,_ZN7rocprim17ROCPRIM_400000_NS6detail17trampoline_kernelINS0_14default_configENS1_25partition_config_selectorILNS1_17partition_subalgoE2EiNS0_10empty_typeEbEEZZNS1_14partition_implILS5_2ELb0ES3_jN6thrust23THRUST_200600_302600_NS6detail15normal_iteratorINSA_7pointerIiNSA_11hip_rocprim3tagENSA_11use_defaultESG_EEEEPS6_NSA_18transform_iteratorINSA_8identityIiEENSC_INSA_10device_ptrIiEEEESG_SG_EENS0_5tupleIJPiSJ_EEENSR_IJSJ_SJ_EEES6_PlJS6_EEE10hipError_tPvRmT3_T4_T5_T6_T7_T9_mT8_P12ihipStream_tbDpT10_ENKUlT_T0_E_clISt17integral_constantIbLb1EES1F_EEDaS1A_S1B_EUlS1A_E_NS1_11comp_targetILNS1_3genE2ELNS1_11target_archE906ELNS1_3gpuE6ELNS1_3repE0EEENS1_30default_config_static_selectorELNS0_4arch9wavefront6targetE1EEEvT1_,comdat
	.protected	_ZN7rocprim17ROCPRIM_400000_NS6detail17trampoline_kernelINS0_14default_configENS1_25partition_config_selectorILNS1_17partition_subalgoE2EiNS0_10empty_typeEbEEZZNS1_14partition_implILS5_2ELb0ES3_jN6thrust23THRUST_200600_302600_NS6detail15normal_iteratorINSA_7pointerIiNSA_11hip_rocprim3tagENSA_11use_defaultESG_EEEEPS6_NSA_18transform_iteratorINSA_8identityIiEENSC_INSA_10device_ptrIiEEEESG_SG_EENS0_5tupleIJPiSJ_EEENSR_IJSJ_SJ_EEES6_PlJS6_EEE10hipError_tPvRmT3_T4_T5_T6_T7_T9_mT8_P12ihipStream_tbDpT10_ENKUlT_T0_E_clISt17integral_constantIbLb1EES1F_EEDaS1A_S1B_EUlS1A_E_NS1_11comp_targetILNS1_3genE2ELNS1_11target_archE906ELNS1_3gpuE6ELNS1_3repE0EEENS1_30default_config_static_selectorELNS0_4arch9wavefront6targetE1EEEvT1_ ; -- Begin function _ZN7rocprim17ROCPRIM_400000_NS6detail17trampoline_kernelINS0_14default_configENS1_25partition_config_selectorILNS1_17partition_subalgoE2EiNS0_10empty_typeEbEEZZNS1_14partition_implILS5_2ELb0ES3_jN6thrust23THRUST_200600_302600_NS6detail15normal_iteratorINSA_7pointerIiNSA_11hip_rocprim3tagENSA_11use_defaultESG_EEEEPS6_NSA_18transform_iteratorINSA_8identityIiEENSC_INSA_10device_ptrIiEEEESG_SG_EENS0_5tupleIJPiSJ_EEENSR_IJSJ_SJ_EEES6_PlJS6_EEE10hipError_tPvRmT3_T4_T5_T6_T7_T9_mT8_P12ihipStream_tbDpT10_ENKUlT_T0_E_clISt17integral_constantIbLb1EES1F_EEDaS1A_S1B_EUlS1A_E_NS1_11comp_targetILNS1_3genE2ELNS1_11target_archE906ELNS1_3gpuE6ELNS1_3repE0EEENS1_30default_config_static_selectorELNS0_4arch9wavefront6targetE1EEEvT1_
	.globl	_ZN7rocprim17ROCPRIM_400000_NS6detail17trampoline_kernelINS0_14default_configENS1_25partition_config_selectorILNS1_17partition_subalgoE2EiNS0_10empty_typeEbEEZZNS1_14partition_implILS5_2ELb0ES3_jN6thrust23THRUST_200600_302600_NS6detail15normal_iteratorINSA_7pointerIiNSA_11hip_rocprim3tagENSA_11use_defaultESG_EEEEPS6_NSA_18transform_iteratorINSA_8identityIiEENSC_INSA_10device_ptrIiEEEESG_SG_EENS0_5tupleIJPiSJ_EEENSR_IJSJ_SJ_EEES6_PlJS6_EEE10hipError_tPvRmT3_T4_T5_T6_T7_T9_mT8_P12ihipStream_tbDpT10_ENKUlT_T0_E_clISt17integral_constantIbLb1EES1F_EEDaS1A_S1B_EUlS1A_E_NS1_11comp_targetILNS1_3genE2ELNS1_11target_archE906ELNS1_3gpuE6ELNS1_3repE0EEENS1_30default_config_static_selectorELNS0_4arch9wavefront6targetE1EEEvT1_
	.p2align	8
	.type	_ZN7rocprim17ROCPRIM_400000_NS6detail17trampoline_kernelINS0_14default_configENS1_25partition_config_selectorILNS1_17partition_subalgoE2EiNS0_10empty_typeEbEEZZNS1_14partition_implILS5_2ELb0ES3_jN6thrust23THRUST_200600_302600_NS6detail15normal_iteratorINSA_7pointerIiNSA_11hip_rocprim3tagENSA_11use_defaultESG_EEEEPS6_NSA_18transform_iteratorINSA_8identityIiEENSC_INSA_10device_ptrIiEEEESG_SG_EENS0_5tupleIJPiSJ_EEENSR_IJSJ_SJ_EEES6_PlJS6_EEE10hipError_tPvRmT3_T4_T5_T6_T7_T9_mT8_P12ihipStream_tbDpT10_ENKUlT_T0_E_clISt17integral_constantIbLb1EES1F_EEDaS1A_S1B_EUlS1A_E_NS1_11comp_targetILNS1_3genE2ELNS1_11target_archE906ELNS1_3gpuE6ELNS1_3repE0EEENS1_30default_config_static_selectorELNS0_4arch9wavefront6targetE1EEEvT1_,@function
_ZN7rocprim17ROCPRIM_400000_NS6detail17trampoline_kernelINS0_14default_configENS1_25partition_config_selectorILNS1_17partition_subalgoE2EiNS0_10empty_typeEbEEZZNS1_14partition_implILS5_2ELb0ES3_jN6thrust23THRUST_200600_302600_NS6detail15normal_iteratorINSA_7pointerIiNSA_11hip_rocprim3tagENSA_11use_defaultESG_EEEEPS6_NSA_18transform_iteratorINSA_8identityIiEENSC_INSA_10device_ptrIiEEEESG_SG_EENS0_5tupleIJPiSJ_EEENSR_IJSJ_SJ_EEES6_PlJS6_EEE10hipError_tPvRmT3_T4_T5_T6_T7_T9_mT8_P12ihipStream_tbDpT10_ENKUlT_T0_E_clISt17integral_constantIbLb1EES1F_EEDaS1A_S1B_EUlS1A_E_NS1_11comp_targetILNS1_3genE2ELNS1_11target_archE906ELNS1_3gpuE6ELNS1_3repE0EEENS1_30default_config_static_selectorELNS0_4arch9wavefront6targetE1EEEvT1_: ; @_ZN7rocprim17ROCPRIM_400000_NS6detail17trampoline_kernelINS0_14default_configENS1_25partition_config_selectorILNS1_17partition_subalgoE2EiNS0_10empty_typeEbEEZZNS1_14partition_implILS5_2ELb0ES3_jN6thrust23THRUST_200600_302600_NS6detail15normal_iteratorINSA_7pointerIiNSA_11hip_rocprim3tagENSA_11use_defaultESG_EEEEPS6_NSA_18transform_iteratorINSA_8identityIiEENSC_INSA_10device_ptrIiEEEESG_SG_EENS0_5tupleIJPiSJ_EEENSR_IJSJ_SJ_EEES6_PlJS6_EEE10hipError_tPvRmT3_T4_T5_T6_T7_T9_mT8_P12ihipStream_tbDpT10_ENKUlT_T0_E_clISt17integral_constantIbLb1EES1F_EEDaS1A_S1B_EUlS1A_E_NS1_11comp_targetILNS1_3genE2ELNS1_11target_archE906ELNS1_3gpuE6ELNS1_3repE0EEENS1_30default_config_static_selectorELNS0_4arch9wavefront6targetE1EEEvT1_
; %bb.0:
	.section	.rodata,"a",@progbits
	.p2align	6, 0x0
	.amdhsa_kernel _ZN7rocprim17ROCPRIM_400000_NS6detail17trampoline_kernelINS0_14default_configENS1_25partition_config_selectorILNS1_17partition_subalgoE2EiNS0_10empty_typeEbEEZZNS1_14partition_implILS5_2ELb0ES3_jN6thrust23THRUST_200600_302600_NS6detail15normal_iteratorINSA_7pointerIiNSA_11hip_rocprim3tagENSA_11use_defaultESG_EEEEPS6_NSA_18transform_iteratorINSA_8identityIiEENSC_INSA_10device_ptrIiEEEESG_SG_EENS0_5tupleIJPiSJ_EEENSR_IJSJ_SJ_EEES6_PlJS6_EEE10hipError_tPvRmT3_T4_T5_T6_T7_T9_mT8_P12ihipStream_tbDpT10_ENKUlT_T0_E_clISt17integral_constantIbLb1EES1F_EEDaS1A_S1B_EUlS1A_E_NS1_11comp_targetILNS1_3genE2ELNS1_11target_archE906ELNS1_3gpuE6ELNS1_3repE0EEENS1_30default_config_static_selectorELNS0_4arch9wavefront6targetE1EEEvT1_
		.amdhsa_group_segment_fixed_size 0
		.amdhsa_private_segment_fixed_size 0
		.amdhsa_kernarg_size 144
		.amdhsa_user_sgpr_count 2
		.amdhsa_user_sgpr_dispatch_ptr 0
		.amdhsa_user_sgpr_queue_ptr 0
		.amdhsa_user_sgpr_kernarg_segment_ptr 1
		.amdhsa_user_sgpr_dispatch_id 0
		.amdhsa_user_sgpr_kernarg_preload_length 0
		.amdhsa_user_sgpr_kernarg_preload_offset 0
		.amdhsa_user_sgpr_private_segment_size 0
		.amdhsa_uses_dynamic_stack 0
		.amdhsa_enable_private_segment 0
		.amdhsa_system_sgpr_workgroup_id_x 1
		.amdhsa_system_sgpr_workgroup_id_y 0
		.amdhsa_system_sgpr_workgroup_id_z 0
		.amdhsa_system_sgpr_workgroup_info 0
		.amdhsa_system_vgpr_workitem_id 0
		.amdhsa_next_free_vgpr 1
		.amdhsa_next_free_sgpr 0
		.amdhsa_accum_offset 4
		.amdhsa_reserve_vcc 0
		.amdhsa_float_round_mode_32 0
		.amdhsa_float_round_mode_16_64 0
		.amdhsa_float_denorm_mode_32 3
		.amdhsa_float_denorm_mode_16_64 3
		.amdhsa_dx10_clamp 1
		.amdhsa_ieee_mode 1
		.amdhsa_fp16_overflow 0
		.amdhsa_tg_split 0
		.amdhsa_exception_fp_ieee_invalid_op 0
		.amdhsa_exception_fp_denorm_src 0
		.amdhsa_exception_fp_ieee_div_zero 0
		.amdhsa_exception_fp_ieee_overflow 0
		.amdhsa_exception_fp_ieee_underflow 0
		.amdhsa_exception_fp_ieee_inexact 0
		.amdhsa_exception_int_div_zero 0
	.end_amdhsa_kernel
	.section	.text._ZN7rocprim17ROCPRIM_400000_NS6detail17trampoline_kernelINS0_14default_configENS1_25partition_config_selectorILNS1_17partition_subalgoE2EiNS0_10empty_typeEbEEZZNS1_14partition_implILS5_2ELb0ES3_jN6thrust23THRUST_200600_302600_NS6detail15normal_iteratorINSA_7pointerIiNSA_11hip_rocprim3tagENSA_11use_defaultESG_EEEEPS6_NSA_18transform_iteratorINSA_8identityIiEENSC_INSA_10device_ptrIiEEEESG_SG_EENS0_5tupleIJPiSJ_EEENSR_IJSJ_SJ_EEES6_PlJS6_EEE10hipError_tPvRmT3_T4_T5_T6_T7_T9_mT8_P12ihipStream_tbDpT10_ENKUlT_T0_E_clISt17integral_constantIbLb1EES1F_EEDaS1A_S1B_EUlS1A_E_NS1_11comp_targetILNS1_3genE2ELNS1_11target_archE906ELNS1_3gpuE6ELNS1_3repE0EEENS1_30default_config_static_selectorELNS0_4arch9wavefront6targetE1EEEvT1_,"axG",@progbits,_ZN7rocprim17ROCPRIM_400000_NS6detail17trampoline_kernelINS0_14default_configENS1_25partition_config_selectorILNS1_17partition_subalgoE2EiNS0_10empty_typeEbEEZZNS1_14partition_implILS5_2ELb0ES3_jN6thrust23THRUST_200600_302600_NS6detail15normal_iteratorINSA_7pointerIiNSA_11hip_rocprim3tagENSA_11use_defaultESG_EEEEPS6_NSA_18transform_iteratorINSA_8identityIiEENSC_INSA_10device_ptrIiEEEESG_SG_EENS0_5tupleIJPiSJ_EEENSR_IJSJ_SJ_EEES6_PlJS6_EEE10hipError_tPvRmT3_T4_T5_T6_T7_T9_mT8_P12ihipStream_tbDpT10_ENKUlT_T0_E_clISt17integral_constantIbLb1EES1F_EEDaS1A_S1B_EUlS1A_E_NS1_11comp_targetILNS1_3genE2ELNS1_11target_archE906ELNS1_3gpuE6ELNS1_3repE0EEENS1_30default_config_static_selectorELNS0_4arch9wavefront6targetE1EEEvT1_,comdat
.Lfunc_end525:
	.size	_ZN7rocprim17ROCPRIM_400000_NS6detail17trampoline_kernelINS0_14default_configENS1_25partition_config_selectorILNS1_17partition_subalgoE2EiNS0_10empty_typeEbEEZZNS1_14partition_implILS5_2ELb0ES3_jN6thrust23THRUST_200600_302600_NS6detail15normal_iteratorINSA_7pointerIiNSA_11hip_rocprim3tagENSA_11use_defaultESG_EEEEPS6_NSA_18transform_iteratorINSA_8identityIiEENSC_INSA_10device_ptrIiEEEESG_SG_EENS0_5tupleIJPiSJ_EEENSR_IJSJ_SJ_EEES6_PlJS6_EEE10hipError_tPvRmT3_T4_T5_T6_T7_T9_mT8_P12ihipStream_tbDpT10_ENKUlT_T0_E_clISt17integral_constantIbLb1EES1F_EEDaS1A_S1B_EUlS1A_E_NS1_11comp_targetILNS1_3genE2ELNS1_11target_archE906ELNS1_3gpuE6ELNS1_3repE0EEENS1_30default_config_static_selectorELNS0_4arch9wavefront6targetE1EEEvT1_, .Lfunc_end525-_ZN7rocprim17ROCPRIM_400000_NS6detail17trampoline_kernelINS0_14default_configENS1_25partition_config_selectorILNS1_17partition_subalgoE2EiNS0_10empty_typeEbEEZZNS1_14partition_implILS5_2ELb0ES3_jN6thrust23THRUST_200600_302600_NS6detail15normal_iteratorINSA_7pointerIiNSA_11hip_rocprim3tagENSA_11use_defaultESG_EEEEPS6_NSA_18transform_iteratorINSA_8identityIiEENSC_INSA_10device_ptrIiEEEESG_SG_EENS0_5tupleIJPiSJ_EEENSR_IJSJ_SJ_EEES6_PlJS6_EEE10hipError_tPvRmT3_T4_T5_T6_T7_T9_mT8_P12ihipStream_tbDpT10_ENKUlT_T0_E_clISt17integral_constantIbLb1EES1F_EEDaS1A_S1B_EUlS1A_E_NS1_11comp_targetILNS1_3genE2ELNS1_11target_archE906ELNS1_3gpuE6ELNS1_3repE0EEENS1_30default_config_static_selectorELNS0_4arch9wavefront6targetE1EEEvT1_
                                        ; -- End function
	.section	.AMDGPU.csdata,"",@progbits
; Kernel info:
; codeLenInByte = 0
; NumSgprs: 6
; NumVgprs: 0
; NumAgprs: 0
; TotalNumVgprs: 0
; ScratchSize: 0
; MemoryBound: 0
; FloatMode: 240
; IeeeMode: 1
; LDSByteSize: 0 bytes/workgroup (compile time only)
; SGPRBlocks: 0
; VGPRBlocks: 0
; NumSGPRsForWavesPerEU: 6
; NumVGPRsForWavesPerEU: 1
; AccumOffset: 4
; Occupancy: 8
; WaveLimiterHint : 0
; COMPUTE_PGM_RSRC2:SCRATCH_EN: 0
; COMPUTE_PGM_RSRC2:USER_SGPR: 2
; COMPUTE_PGM_RSRC2:TRAP_HANDLER: 0
; COMPUTE_PGM_RSRC2:TGID_X_EN: 1
; COMPUTE_PGM_RSRC2:TGID_Y_EN: 0
; COMPUTE_PGM_RSRC2:TGID_Z_EN: 0
; COMPUTE_PGM_RSRC2:TIDIG_COMP_CNT: 0
; COMPUTE_PGM_RSRC3_GFX90A:ACCUM_OFFSET: 0
; COMPUTE_PGM_RSRC3_GFX90A:TG_SPLIT: 0
	.section	.text._ZN7rocprim17ROCPRIM_400000_NS6detail17trampoline_kernelINS0_14default_configENS1_25partition_config_selectorILNS1_17partition_subalgoE2EiNS0_10empty_typeEbEEZZNS1_14partition_implILS5_2ELb0ES3_jN6thrust23THRUST_200600_302600_NS6detail15normal_iteratorINSA_7pointerIiNSA_11hip_rocprim3tagENSA_11use_defaultESG_EEEEPS6_NSA_18transform_iteratorINSA_8identityIiEENSC_INSA_10device_ptrIiEEEESG_SG_EENS0_5tupleIJPiSJ_EEENSR_IJSJ_SJ_EEES6_PlJS6_EEE10hipError_tPvRmT3_T4_T5_T6_T7_T9_mT8_P12ihipStream_tbDpT10_ENKUlT_T0_E_clISt17integral_constantIbLb1EES1F_EEDaS1A_S1B_EUlS1A_E_NS1_11comp_targetILNS1_3genE10ELNS1_11target_archE1200ELNS1_3gpuE4ELNS1_3repE0EEENS1_30default_config_static_selectorELNS0_4arch9wavefront6targetE1EEEvT1_,"axG",@progbits,_ZN7rocprim17ROCPRIM_400000_NS6detail17trampoline_kernelINS0_14default_configENS1_25partition_config_selectorILNS1_17partition_subalgoE2EiNS0_10empty_typeEbEEZZNS1_14partition_implILS5_2ELb0ES3_jN6thrust23THRUST_200600_302600_NS6detail15normal_iteratorINSA_7pointerIiNSA_11hip_rocprim3tagENSA_11use_defaultESG_EEEEPS6_NSA_18transform_iteratorINSA_8identityIiEENSC_INSA_10device_ptrIiEEEESG_SG_EENS0_5tupleIJPiSJ_EEENSR_IJSJ_SJ_EEES6_PlJS6_EEE10hipError_tPvRmT3_T4_T5_T6_T7_T9_mT8_P12ihipStream_tbDpT10_ENKUlT_T0_E_clISt17integral_constantIbLb1EES1F_EEDaS1A_S1B_EUlS1A_E_NS1_11comp_targetILNS1_3genE10ELNS1_11target_archE1200ELNS1_3gpuE4ELNS1_3repE0EEENS1_30default_config_static_selectorELNS0_4arch9wavefront6targetE1EEEvT1_,comdat
	.protected	_ZN7rocprim17ROCPRIM_400000_NS6detail17trampoline_kernelINS0_14default_configENS1_25partition_config_selectorILNS1_17partition_subalgoE2EiNS0_10empty_typeEbEEZZNS1_14partition_implILS5_2ELb0ES3_jN6thrust23THRUST_200600_302600_NS6detail15normal_iteratorINSA_7pointerIiNSA_11hip_rocprim3tagENSA_11use_defaultESG_EEEEPS6_NSA_18transform_iteratorINSA_8identityIiEENSC_INSA_10device_ptrIiEEEESG_SG_EENS0_5tupleIJPiSJ_EEENSR_IJSJ_SJ_EEES6_PlJS6_EEE10hipError_tPvRmT3_T4_T5_T6_T7_T9_mT8_P12ihipStream_tbDpT10_ENKUlT_T0_E_clISt17integral_constantIbLb1EES1F_EEDaS1A_S1B_EUlS1A_E_NS1_11comp_targetILNS1_3genE10ELNS1_11target_archE1200ELNS1_3gpuE4ELNS1_3repE0EEENS1_30default_config_static_selectorELNS0_4arch9wavefront6targetE1EEEvT1_ ; -- Begin function _ZN7rocprim17ROCPRIM_400000_NS6detail17trampoline_kernelINS0_14default_configENS1_25partition_config_selectorILNS1_17partition_subalgoE2EiNS0_10empty_typeEbEEZZNS1_14partition_implILS5_2ELb0ES3_jN6thrust23THRUST_200600_302600_NS6detail15normal_iteratorINSA_7pointerIiNSA_11hip_rocprim3tagENSA_11use_defaultESG_EEEEPS6_NSA_18transform_iteratorINSA_8identityIiEENSC_INSA_10device_ptrIiEEEESG_SG_EENS0_5tupleIJPiSJ_EEENSR_IJSJ_SJ_EEES6_PlJS6_EEE10hipError_tPvRmT3_T4_T5_T6_T7_T9_mT8_P12ihipStream_tbDpT10_ENKUlT_T0_E_clISt17integral_constantIbLb1EES1F_EEDaS1A_S1B_EUlS1A_E_NS1_11comp_targetILNS1_3genE10ELNS1_11target_archE1200ELNS1_3gpuE4ELNS1_3repE0EEENS1_30default_config_static_selectorELNS0_4arch9wavefront6targetE1EEEvT1_
	.globl	_ZN7rocprim17ROCPRIM_400000_NS6detail17trampoline_kernelINS0_14default_configENS1_25partition_config_selectorILNS1_17partition_subalgoE2EiNS0_10empty_typeEbEEZZNS1_14partition_implILS5_2ELb0ES3_jN6thrust23THRUST_200600_302600_NS6detail15normal_iteratorINSA_7pointerIiNSA_11hip_rocprim3tagENSA_11use_defaultESG_EEEEPS6_NSA_18transform_iteratorINSA_8identityIiEENSC_INSA_10device_ptrIiEEEESG_SG_EENS0_5tupleIJPiSJ_EEENSR_IJSJ_SJ_EEES6_PlJS6_EEE10hipError_tPvRmT3_T4_T5_T6_T7_T9_mT8_P12ihipStream_tbDpT10_ENKUlT_T0_E_clISt17integral_constantIbLb1EES1F_EEDaS1A_S1B_EUlS1A_E_NS1_11comp_targetILNS1_3genE10ELNS1_11target_archE1200ELNS1_3gpuE4ELNS1_3repE0EEENS1_30default_config_static_selectorELNS0_4arch9wavefront6targetE1EEEvT1_
	.p2align	8
	.type	_ZN7rocprim17ROCPRIM_400000_NS6detail17trampoline_kernelINS0_14default_configENS1_25partition_config_selectorILNS1_17partition_subalgoE2EiNS0_10empty_typeEbEEZZNS1_14partition_implILS5_2ELb0ES3_jN6thrust23THRUST_200600_302600_NS6detail15normal_iteratorINSA_7pointerIiNSA_11hip_rocprim3tagENSA_11use_defaultESG_EEEEPS6_NSA_18transform_iteratorINSA_8identityIiEENSC_INSA_10device_ptrIiEEEESG_SG_EENS0_5tupleIJPiSJ_EEENSR_IJSJ_SJ_EEES6_PlJS6_EEE10hipError_tPvRmT3_T4_T5_T6_T7_T9_mT8_P12ihipStream_tbDpT10_ENKUlT_T0_E_clISt17integral_constantIbLb1EES1F_EEDaS1A_S1B_EUlS1A_E_NS1_11comp_targetILNS1_3genE10ELNS1_11target_archE1200ELNS1_3gpuE4ELNS1_3repE0EEENS1_30default_config_static_selectorELNS0_4arch9wavefront6targetE1EEEvT1_,@function
_ZN7rocprim17ROCPRIM_400000_NS6detail17trampoline_kernelINS0_14default_configENS1_25partition_config_selectorILNS1_17partition_subalgoE2EiNS0_10empty_typeEbEEZZNS1_14partition_implILS5_2ELb0ES3_jN6thrust23THRUST_200600_302600_NS6detail15normal_iteratorINSA_7pointerIiNSA_11hip_rocprim3tagENSA_11use_defaultESG_EEEEPS6_NSA_18transform_iteratorINSA_8identityIiEENSC_INSA_10device_ptrIiEEEESG_SG_EENS0_5tupleIJPiSJ_EEENSR_IJSJ_SJ_EEES6_PlJS6_EEE10hipError_tPvRmT3_T4_T5_T6_T7_T9_mT8_P12ihipStream_tbDpT10_ENKUlT_T0_E_clISt17integral_constantIbLb1EES1F_EEDaS1A_S1B_EUlS1A_E_NS1_11comp_targetILNS1_3genE10ELNS1_11target_archE1200ELNS1_3gpuE4ELNS1_3repE0EEENS1_30default_config_static_selectorELNS0_4arch9wavefront6targetE1EEEvT1_: ; @_ZN7rocprim17ROCPRIM_400000_NS6detail17trampoline_kernelINS0_14default_configENS1_25partition_config_selectorILNS1_17partition_subalgoE2EiNS0_10empty_typeEbEEZZNS1_14partition_implILS5_2ELb0ES3_jN6thrust23THRUST_200600_302600_NS6detail15normal_iteratorINSA_7pointerIiNSA_11hip_rocprim3tagENSA_11use_defaultESG_EEEEPS6_NSA_18transform_iteratorINSA_8identityIiEENSC_INSA_10device_ptrIiEEEESG_SG_EENS0_5tupleIJPiSJ_EEENSR_IJSJ_SJ_EEES6_PlJS6_EEE10hipError_tPvRmT3_T4_T5_T6_T7_T9_mT8_P12ihipStream_tbDpT10_ENKUlT_T0_E_clISt17integral_constantIbLb1EES1F_EEDaS1A_S1B_EUlS1A_E_NS1_11comp_targetILNS1_3genE10ELNS1_11target_archE1200ELNS1_3gpuE4ELNS1_3repE0EEENS1_30default_config_static_selectorELNS0_4arch9wavefront6targetE1EEEvT1_
; %bb.0:
	.section	.rodata,"a",@progbits
	.p2align	6, 0x0
	.amdhsa_kernel _ZN7rocprim17ROCPRIM_400000_NS6detail17trampoline_kernelINS0_14default_configENS1_25partition_config_selectorILNS1_17partition_subalgoE2EiNS0_10empty_typeEbEEZZNS1_14partition_implILS5_2ELb0ES3_jN6thrust23THRUST_200600_302600_NS6detail15normal_iteratorINSA_7pointerIiNSA_11hip_rocprim3tagENSA_11use_defaultESG_EEEEPS6_NSA_18transform_iteratorINSA_8identityIiEENSC_INSA_10device_ptrIiEEEESG_SG_EENS0_5tupleIJPiSJ_EEENSR_IJSJ_SJ_EEES6_PlJS6_EEE10hipError_tPvRmT3_T4_T5_T6_T7_T9_mT8_P12ihipStream_tbDpT10_ENKUlT_T0_E_clISt17integral_constantIbLb1EES1F_EEDaS1A_S1B_EUlS1A_E_NS1_11comp_targetILNS1_3genE10ELNS1_11target_archE1200ELNS1_3gpuE4ELNS1_3repE0EEENS1_30default_config_static_selectorELNS0_4arch9wavefront6targetE1EEEvT1_
		.amdhsa_group_segment_fixed_size 0
		.amdhsa_private_segment_fixed_size 0
		.amdhsa_kernarg_size 144
		.amdhsa_user_sgpr_count 2
		.amdhsa_user_sgpr_dispatch_ptr 0
		.amdhsa_user_sgpr_queue_ptr 0
		.amdhsa_user_sgpr_kernarg_segment_ptr 1
		.amdhsa_user_sgpr_dispatch_id 0
		.amdhsa_user_sgpr_kernarg_preload_length 0
		.amdhsa_user_sgpr_kernarg_preload_offset 0
		.amdhsa_user_sgpr_private_segment_size 0
		.amdhsa_uses_dynamic_stack 0
		.amdhsa_enable_private_segment 0
		.amdhsa_system_sgpr_workgroup_id_x 1
		.amdhsa_system_sgpr_workgroup_id_y 0
		.amdhsa_system_sgpr_workgroup_id_z 0
		.amdhsa_system_sgpr_workgroup_info 0
		.amdhsa_system_vgpr_workitem_id 0
		.amdhsa_next_free_vgpr 1
		.amdhsa_next_free_sgpr 0
		.amdhsa_accum_offset 4
		.amdhsa_reserve_vcc 0
		.amdhsa_float_round_mode_32 0
		.amdhsa_float_round_mode_16_64 0
		.amdhsa_float_denorm_mode_32 3
		.amdhsa_float_denorm_mode_16_64 3
		.amdhsa_dx10_clamp 1
		.amdhsa_ieee_mode 1
		.amdhsa_fp16_overflow 0
		.amdhsa_tg_split 0
		.amdhsa_exception_fp_ieee_invalid_op 0
		.amdhsa_exception_fp_denorm_src 0
		.amdhsa_exception_fp_ieee_div_zero 0
		.amdhsa_exception_fp_ieee_overflow 0
		.amdhsa_exception_fp_ieee_underflow 0
		.amdhsa_exception_fp_ieee_inexact 0
		.amdhsa_exception_int_div_zero 0
	.end_amdhsa_kernel
	.section	.text._ZN7rocprim17ROCPRIM_400000_NS6detail17trampoline_kernelINS0_14default_configENS1_25partition_config_selectorILNS1_17partition_subalgoE2EiNS0_10empty_typeEbEEZZNS1_14partition_implILS5_2ELb0ES3_jN6thrust23THRUST_200600_302600_NS6detail15normal_iteratorINSA_7pointerIiNSA_11hip_rocprim3tagENSA_11use_defaultESG_EEEEPS6_NSA_18transform_iteratorINSA_8identityIiEENSC_INSA_10device_ptrIiEEEESG_SG_EENS0_5tupleIJPiSJ_EEENSR_IJSJ_SJ_EEES6_PlJS6_EEE10hipError_tPvRmT3_T4_T5_T6_T7_T9_mT8_P12ihipStream_tbDpT10_ENKUlT_T0_E_clISt17integral_constantIbLb1EES1F_EEDaS1A_S1B_EUlS1A_E_NS1_11comp_targetILNS1_3genE10ELNS1_11target_archE1200ELNS1_3gpuE4ELNS1_3repE0EEENS1_30default_config_static_selectorELNS0_4arch9wavefront6targetE1EEEvT1_,"axG",@progbits,_ZN7rocprim17ROCPRIM_400000_NS6detail17trampoline_kernelINS0_14default_configENS1_25partition_config_selectorILNS1_17partition_subalgoE2EiNS0_10empty_typeEbEEZZNS1_14partition_implILS5_2ELb0ES3_jN6thrust23THRUST_200600_302600_NS6detail15normal_iteratorINSA_7pointerIiNSA_11hip_rocprim3tagENSA_11use_defaultESG_EEEEPS6_NSA_18transform_iteratorINSA_8identityIiEENSC_INSA_10device_ptrIiEEEESG_SG_EENS0_5tupleIJPiSJ_EEENSR_IJSJ_SJ_EEES6_PlJS6_EEE10hipError_tPvRmT3_T4_T5_T6_T7_T9_mT8_P12ihipStream_tbDpT10_ENKUlT_T0_E_clISt17integral_constantIbLb1EES1F_EEDaS1A_S1B_EUlS1A_E_NS1_11comp_targetILNS1_3genE10ELNS1_11target_archE1200ELNS1_3gpuE4ELNS1_3repE0EEENS1_30default_config_static_selectorELNS0_4arch9wavefront6targetE1EEEvT1_,comdat
.Lfunc_end526:
	.size	_ZN7rocprim17ROCPRIM_400000_NS6detail17trampoline_kernelINS0_14default_configENS1_25partition_config_selectorILNS1_17partition_subalgoE2EiNS0_10empty_typeEbEEZZNS1_14partition_implILS5_2ELb0ES3_jN6thrust23THRUST_200600_302600_NS6detail15normal_iteratorINSA_7pointerIiNSA_11hip_rocprim3tagENSA_11use_defaultESG_EEEEPS6_NSA_18transform_iteratorINSA_8identityIiEENSC_INSA_10device_ptrIiEEEESG_SG_EENS0_5tupleIJPiSJ_EEENSR_IJSJ_SJ_EEES6_PlJS6_EEE10hipError_tPvRmT3_T4_T5_T6_T7_T9_mT8_P12ihipStream_tbDpT10_ENKUlT_T0_E_clISt17integral_constantIbLb1EES1F_EEDaS1A_S1B_EUlS1A_E_NS1_11comp_targetILNS1_3genE10ELNS1_11target_archE1200ELNS1_3gpuE4ELNS1_3repE0EEENS1_30default_config_static_selectorELNS0_4arch9wavefront6targetE1EEEvT1_, .Lfunc_end526-_ZN7rocprim17ROCPRIM_400000_NS6detail17trampoline_kernelINS0_14default_configENS1_25partition_config_selectorILNS1_17partition_subalgoE2EiNS0_10empty_typeEbEEZZNS1_14partition_implILS5_2ELb0ES3_jN6thrust23THRUST_200600_302600_NS6detail15normal_iteratorINSA_7pointerIiNSA_11hip_rocprim3tagENSA_11use_defaultESG_EEEEPS6_NSA_18transform_iteratorINSA_8identityIiEENSC_INSA_10device_ptrIiEEEESG_SG_EENS0_5tupleIJPiSJ_EEENSR_IJSJ_SJ_EEES6_PlJS6_EEE10hipError_tPvRmT3_T4_T5_T6_T7_T9_mT8_P12ihipStream_tbDpT10_ENKUlT_T0_E_clISt17integral_constantIbLb1EES1F_EEDaS1A_S1B_EUlS1A_E_NS1_11comp_targetILNS1_3genE10ELNS1_11target_archE1200ELNS1_3gpuE4ELNS1_3repE0EEENS1_30default_config_static_selectorELNS0_4arch9wavefront6targetE1EEEvT1_
                                        ; -- End function
	.section	.AMDGPU.csdata,"",@progbits
; Kernel info:
; codeLenInByte = 0
; NumSgprs: 6
; NumVgprs: 0
; NumAgprs: 0
; TotalNumVgprs: 0
; ScratchSize: 0
; MemoryBound: 0
; FloatMode: 240
; IeeeMode: 1
; LDSByteSize: 0 bytes/workgroup (compile time only)
; SGPRBlocks: 0
; VGPRBlocks: 0
; NumSGPRsForWavesPerEU: 6
; NumVGPRsForWavesPerEU: 1
; AccumOffset: 4
; Occupancy: 8
; WaveLimiterHint : 0
; COMPUTE_PGM_RSRC2:SCRATCH_EN: 0
; COMPUTE_PGM_RSRC2:USER_SGPR: 2
; COMPUTE_PGM_RSRC2:TRAP_HANDLER: 0
; COMPUTE_PGM_RSRC2:TGID_X_EN: 1
; COMPUTE_PGM_RSRC2:TGID_Y_EN: 0
; COMPUTE_PGM_RSRC2:TGID_Z_EN: 0
; COMPUTE_PGM_RSRC2:TIDIG_COMP_CNT: 0
; COMPUTE_PGM_RSRC3_GFX90A:ACCUM_OFFSET: 0
; COMPUTE_PGM_RSRC3_GFX90A:TG_SPLIT: 0
	.section	.text._ZN7rocprim17ROCPRIM_400000_NS6detail17trampoline_kernelINS0_14default_configENS1_25partition_config_selectorILNS1_17partition_subalgoE2EiNS0_10empty_typeEbEEZZNS1_14partition_implILS5_2ELb0ES3_jN6thrust23THRUST_200600_302600_NS6detail15normal_iteratorINSA_7pointerIiNSA_11hip_rocprim3tagENSA_11use_defaultESG_EEEEPS6_NSA_18transform_iteratorINSA_8identityIiEENSC_INSA_10device_ptrIiEEEESG_SG_EENS0_5tupleIJPiSJ_EEENSR_IJSJ_SJ_EEES6_PlJS6_EEE10hipError_tPvRmT3_T4_T5_T6_T7_T9_mT8_P12ihipStream_tbDpT10_ENKUlT_T0_E_clISt17integral_constantIbLb1EES1F_EEDaS1A_S1B_EUlS1A_E_NS1_11comp_targetILNS1_3genE9ELNS1_11target_archE1100ELNS1_3gpuE3ELNS1_3repE0EEENS1_30default_config_static_selectorELNS0_4arch9wavefront6targetE1EEEvT1_,"axG",@progbits,_ZN7rocprim17ROCPRIM_400000_NS6detail17trampoline_kernelINS0_14default_configENS1_25partition_config_selectorILNS1_17partition_subalgoE2EiNS0_10empty_typeEbEEZZNS1_14partition_implILS5_2ELb0ES3_jN6thrust23THRUST_200600_302600_NS6detail15normal_iteratorINSA_7pointerIiNSA_11hip_rocprim3tagENSA_11use_defaultESG_EEEEPS6_NSA_18transform_iteratorINSA_8identityIiEENSC_INSA_10device_ptrIiEEEESG_SG_EENS0_5tupleIJPiSJ_EEENSR_IJSJ_SJ_EEES6_PlJS6_EEE10hipError_tPvRmT3_T4_T5_T6_T7_T9_mT8_P12ihipStream_tbDpT10_ENKUlT_T0_E_clISt17integral_constantIbLb1EES1F_EEDaS1A_S1B_EUlS1A_E_NS1_11comp_targetILNS1_3genE9ELNS1_11target_archE1100ELNS1_3gpuE3ELNS1_3repE0EEENS1_30default_config_static_selectorELNS0_4arch9wavefront6targetE1EEEvT1_,comdat
	.protected	_ZN7rocprim17ROCPRIM_400000_NS6detail17trampoline_kernelINS0_14default_configENS1_25partition_config_selectorILNS1_17partition_subalgoE2EiNS0_10empty_typeEbEEZZNS1_14partition_implILS5_2ELb0ES3_jN6thrust23THRUST_200600_302600_NS6detail15normal_iteratorINSA_7pointerIiNSA_11hip_rocprim3tagENSA_11use_defaultESG_EEEEPS6_NSA_18transform_iteratorINSA_8identityIiEENSC_INSA_10device_ptrIiEEEESG_SG_EENS0_5tupleIJPiSJ_EEENSR_IJSJ_SJ_EEES6_PlJS6_EEE10hipError_tPvRmT3_T4_T5_T6_T7_T9_mT8_P12ihipStream_tbDpT10_ENKUlT_T0_E_clISt17integral_constantIbLb1EES1F_EEDaS1A_S1B_EUlS1A_E_NS1_11comp_targetILNS1_3genE9ELNS1_11target_archE1100ELNS1_3gpuE3ELNS1_3repE0EEENS1_30default_config_static_selectorELNS0_4arch9wavefront6targetE1EEEvT1_ ; -- Begin function _ZN7rocprim17ROCPRIM_400000_NS6detail17trampoline_kernelINS0_14default_configENS1_25partition_config_selectorILNS1_17partition_subalgoE2EiNS0_10empty_typeEbEEZZNS1_14partition_implILS5_2ELb0ES3_jN6thrust23THRUST_200600_302600_NS6detail15normal_iteratorINSA_7pointerIiNSA_11hip_rocprim3tagENSA_11use_defaultESG_EEEEPS6_NSA_18transform_iteratorINSA_8identityIiEENSC_INSA_10device_ptrIiEEEESG_SG_EENS0_5tupleIJPiSJ_EEENSR_IJSJ_SJ_EEES6_PlJS6_EEE10hipError_tPvRmT3_T4_T5_T6_T7_T9_mT8_P12ihipStream_tbDpT10_ENKUlT_T0_E_clISt17integral_constantIbLb1EES1F_EEDaS1A_S1B_EUlS1A_E_NS1_11comp_targetILNS1_3genE9ELNS1_11target_archE1100ELNS1_3gpuE3ELNS1_3repE0EEENS1_30default_config_static_selectorELNS0_4arch9wavefront6targetE1EEEvT1_
	.globl	_ZN7rocprim17ROCPRIM_400000_NS6detail17trampoline_kernelINS0_14default_configENS1_25partition_config_selectorILNS1_17partition_subalgoE2EiNS0_10empty_typeEbEEZZNS1_14partition_implILS5_2ELb0ES3_jN6thrust23THRUST_200600_302600_NS6detail15normal_iteratorINSA_7pointerIiNSA_11hip_rocprim3tagENSA_11use_defaultESG_EEEEPS6_NSA_18transform_iteratorINSA_8identityIiEENSC_INSA_10device_ptrIiEEEESG_SG_EENS0_5tupleIJPiSJ_EEENSR_IJSJ_SJ_EEES6_PlJS6_EEE10hipError_tPvRmT3_T4_T5_T6_T7_T9_mT8_P12ihipStream_tbDpT10_ENKUlT_T0_E_clISt17integral_constantIbLb1EES1F_EEDaS1A_S1B_EUlS1A_E_NS1_11comp_targetILNS1_3genE9ELNS1_11target_archE1100ELNS1_3gpuE3ELNS1_3repE0EEENS1_30default_config_static_selectorELNS0_4arch9wavefront6targetE1EEEvT1_
	.p2align	8
	.type	_ZN7rocprim17ROCPRIM_400000_NS6detail17trampoline_kernelINS0_14default_configENS1_25partition_config_selectorILNS1_17partition_subalgoE2EiNS0_10empty_typeEbEEZZNS1_14partition_implILS5_2ELb0ES3_jN6thrust23THRUST_200600_302600_NS6detail15normal_iteratorINSA_7pointerIiNSA_11hip_rocprim3tagENSA_11use_defaultESG_EEEEPS6_NSA_18transform_iteratorINSA_8identityIiEENSC_INSA_10device_ptrIiEEEESG_SG_EENS0_5tupleIJPiSJ_EEENSR_IJSJ_SJ_EEES6_PlJS6_EEE10hipError_tPvRmT3_T4_T5_T6_T7_T9_mT8_P12ihipStream_tbDpT10_ENKUlT_T0_E_clISt17integral_constantIbLb1EES1F_EEDaS1A_S1B_EUlS1A_E_NS1_11comp_targetILNS1_3genE9ELNS1_11target_archE1100ELNS1_3gpuE3ELNS1_3repE0EEENS1_30default_config_static_selectorELNS0_4arch9wavefront6targetE1EEEvT1_,@function
_ZN7rocprim17ROCPRIM_400000_NS6detail17trampoline_kernelINS0_14default_configENS1_25partition_config_selectorILNS1_17partition_subalgoE2EiNS0_10empty_typeEbEEZZNS1_14partition_implILS5_2ELb0ES3_jN6thrust23THRUST_200600_302600_NS6detail15normal_iteratorINSA_7pointerIiNSA_11hip_rocprim3tagENSA_11use_defaultESG_EEEEPS6_NSA_18transform_iteratorINSA_8identityIiEENSC_INSA_10device_ptrIiEEEESG_SG_EENS0_5tupleIJPiSJ_EEENSR_IJSJ_SJ_EEES6_PlJS6_EEE10hipError_tPvRmT3_T4_T5_T6_T7_T9_mT8_P12ihipStream_tbDpT10_ENKUlT_T0_E_clISt17integral_constantIbLb1EES1F_EEDaS1A_S1B_EUlS1A_E_NS1_11comp_targetILNS1_3genE9ELNS1_11target_archE1100ELNS1_3gpuE3ELNS1_3repE0EEENS1_30default_config_static_selectorELNS0_4arch9wavefront6targetE1EEEvT1_: ; @_ZN7rocprim17ROCPRIM_400000_NS6detail17trampoline_kernelINS0_14default_configENS1_25partition_config_selectorILNS1_17partition_subalgoE2EiNS0_10empty_typeEbEEZZNS1_14partition_implILS5_2ELb0ES3_jN6thrust23THRUST_200600_302600_NS6detail15normal_iteratorINSA_7pointerIiNSA_11hip_rocprim3tagENSA_11use_defaultESG_EEEEPS6_NSA_18transform_iteratorINSA_8identityIiEENSC_INSA_10device_ptrIiEEEESG_SG_EENS0_5tupleIJPiSJ_EEENSR_IJSJ_SJ_EEES6_PlJS6_EEE10hipError_tPvRmT3_T4_T5_T6_T7_T9_mT8_P12ihipStream_tbDpT10_ENKUlT_T0_E_clISt17integral_constantIbLb1EES1F_EEDaS1A_S1B_EUlS1A_E_NS1_11comp_targetILNS1_3genE9ELNS1_11target_archE1100ELNS1_3gpuE3ELNS1_3repE0EEENS1_30default_config_static_selectorELNS0_4arch9wavefront6targetE1EEEvT1_
; %bb.0:
	.section	.rodata,"a",@progbits
	.p2align	6, 0x0
	.amdhsa_kernel _ZN7rocprim17ROCPRIM_400000_NS6detail17trampoline_kernelINS0_14default_configENS1_25partition_config_selectorILNS1_17partition_subalgoE2EiNS0_10empty_typeEbEEZZNS1_14partition_implILS5_2ELb0ES3_jN6thrust23THRUST_200600_302600_NS6detail15normal_iteratorINSA_7pointerIiNSA_11hip_rocprim3tagENSA_11use_defaultESG_EEEEPS6_NSA_18transform_iteratorINSA_8identityIiEENSC_INSA_10device_ptrIiEEEESG_SG_EENS0_5tupleIJPiSJ_EEENSR_IJSJ_SJ_EEES6_PlJS6_EEE10hipError_tPvRmT3_T4_T5_T6_T7_T9_mT8_P12ihipStream_tbDpT10_ENKUlT_T0_E_clISt17integral_constantIbLb1EES1F_EEDaS1A_S1B_EUlS1A_E_NS1_11comp_targetILNS1_3genE9ELNS1_11target_archE1100ELNS1_3gpuE3ELNS1_3repE0EEENS1_30default_config_static_selectorELNS0_4arch9wavefront6targetE1EEEvT1_
		.amdhsa_group_segment_fixed_size 0
		.amdhsa_private_segment_fixed_size 0
		.amdhsa_kernarg_size 144
		.amdhsa_user_sgpr_count 2
		.amdhsa_user_sgpr_dispatch_ptr 0
		.amdhsa_user_sgpr_queue_ptr 0
		.amdhsa_user_sgpr_kernarg_segment_ptr 1
		.amdhsa_user_sgpr_dispatch_id 0
		.amdhsa_user_sgpr_kernarg_preload_length 0
		.amdhsa_user_sgpr_kernarg_preload_offset 0
		.amdhsa_user_sgpr_private_segment_size 0
		.amdhsa_uses_dynamic_stack 0
		.amdhsa_enable_private_segment 0
		.amdhsa_system_sgpr_workgroup_id_x 1
		.amdhsa_system_sgpr_workgroup_id_y 0
		.amdhsa_system_sgpr_workgroup_id_z 0
		.amdhsa_system_sgpr_workgroup_info 0
		.amdhsa_system_vgpr_workitem_id 0
		.amdhsa_next_free_vgpr 1
		.amdhsa_next_free_sgpr 0
		.amdhsa_accum_offset 4
		.amdhsa_reserve_vcc 0
		.amdhsa_float_round_mode_32 0
		.amdhsa_float_round_mode_16_64 0
		.amdhsa_float_denorm_mode_32 3
		.amdhsa_float_denorm_mode_16_64 3
		.amdhsa_dx10_clamp 1
		.amdhsa_ieee_mode 1
		.amdhsa_fp16_overflow 0
		.amdhsa_tg_split 0
		.amdhsa_exception_fp_ieee_invalid_op 0
		.amdhsa_exception_fp_denorm_src 0
		.amdhsa_exception_fp_ieee_div_zero 0
		.amdhsa_exception_fp_ieee_overflow 0
		.amdhsa_exception_fp_ieee_underflow 0
		.amdhsa_exception_fp_ieee_inexact 0
		.amdhsa_exception_int_div_zero 0
	.end_amdhsa_kernel
	.section	.text._ZN7rocprim17ROCPRIM_400000_NS6detail17trampoline_kernelINS0_14default_configENS1_25partition_config_selectorILNS1_17partition_subalgoE2EiNS0_10empty_typeEbEEZZNS1_14partition_implILS5_2ELb0ES3_jN6thrust23THRUST_200600_302600_NS6detail15normal_iteratorINSA_7pointerIiNSA_11hip_rocprim3tagENSA_11use_defaultESG_EEEEPS6_NSA_18transform_iteratorINSA_8identityIiEENSC_INSA_10device_ptrIiEEEESG_SG_EENS0_5tupleIJPiSJ_EEENSR_IJSJ_SJ_EEES6_PlJS6_EEE10hipError_tPvRmT3_T4_T5_T6_T7_T9_mT8_P12ihipStream_tbDpT10_ENKUlT_T0_E_clISt17integral_constantIbLb1EES1F_EEDaS1A_S1B_EUlS1A_E_NS1_11comp_targetILNS1_3genE9ELNS1_11target_archE1100ELNS1_3gpuE3ELNS1_3repE0EEENS1_30default_config_static_selectorELNS0_4arch9wavefront6targetE1EEEvT1_,"axG",@progbits,_ZN7rocprim17ROCPRIM_400000_NS6detail17trampoline_kernelINS0_14default_configENS1_25partition_config_selectorILNS1_17partition_subalgoE2EiNS0_10empty_typeEbEEZZNS1_14partition_implILS5_2ELb0ES3_jN6thrust23THRUST_200600_302600_NS6detail15normal_iteratorINSA_7pointerIiNSA_11hip_rocprim3tagENSA_11use_defaultESG_EEEEPS6_NSA_18transform_iteratorINSA_8identityIiEENSC_INSA_10device_ptrIiEEEESG_SG_EENS0_5tupleIJPiSJ_EEENSR_IJSJ_SJ_EEES6_PlJS6_EEE10hipError_tPvRmT3_T4_T5_T6_T7_T9_mT8_P12ihipStream_tbDpT10_ENKUlT_T0_E_clISt17integral_constantIbLb1EES1F_EEDaS1A_S1B_EUlS1A_E_NS1_11comp_targetILNS1_3genE9ELNS1_11target_archE1100ELNS1_3gpuE3ELNS1_3repE0EEENS1_30default_config_static_selectorELNS0_4arch9wavefront6targetE1EEEvT1_,comdat
.Lfunc_end527:
	.size	_ZN7rocprim17ROCPRIM_400000_NS6detail17trampoline_kernelINS0_14default_configENS1_25partition_config_selectorILNS1_17partition_subalgoE2EiNS0_10empty_typeEbEEZZNS1_14partition_implILS5_2ELb0ES3_jN6thrust23THRUST_200600_302600_NS6detail15normal_iteratorINSA_7pointerIiNSA_11hip_rocprim3tagENSA_11use_defaultESG_EEEEPS6_NSA_18transform_iteratorINSA_8identityIiEENSC_INSA_10device_ptrIiEEEESG_SG_EENS0_5tupleIJPiSJ_EEENSR_IJSJ_SJ_EEES6_PlJS6_EEE10hipError_tPvRmT3_T4_T5_T6_T7_T9_mT8_P12ihipStream_tbDpT10_ENKUlT_T0_E_clISt17integral_constantIbLb1EES1F_EEDaS1A_S1B_EUlS1A_E_NS1_11comp_targetILNS1_3genE9ELNS1_11target_archE1100ELNS1_3gpuE3ELNS1_3repE0EEENS1_30default_config_static_selectorELNS0_4arch9wavefront6targetE1EEEvT1_, .Lfunc_end527-_ZN7rocprim17ROCPRIM_400000_NS6detail17trampoline_kernelINS0_14default_configENS1_25partition_config_selectorILNS1_17partition_subalgoE2EiNS0_10empty_typeEbEEZZNS1_14partition_implILS5_2ELb0ES3_jN6thrust23THRUST_200600_302600_NS6detail15normal_iteratorINSA_7pointerIiNSA_11hip_rocprim3tagENSA_11use_defaultESG_EEEEPS6_NSA_18transform_iteratorINSA_8identityIiEENSC_INSA_10device_ptrIiEEEESG_SG_EENS0_5tupleIJPiSJ_EEENSR_IJSJ_SJ_EEES6_PlJS6_EEE10hipError_tPvRmT3_T4_T5_T6_T7_T9_mT8_P12ihipStream_tbDpT10_ENKUlT_T0_E_clISt17integral_constantIbLb1EES1F_EEDaS1A_S1B_EUlS1A_E_NS1_11comp_targetILNS1_3genE9ELNS1_11target_archE1100ELNS1_3gpuE3ELNS1_3repE0EEENS1_30default_config_static_selectorELNS0_4arch9wavefront6targetE1EEEvT1_
                                        ; -- End function
	.section	.AMDGPU.csdata,"",@progbits
; Kernel info:
; codeLenInByte = 0
; NumSgprs: 6
; NumVgprs: 0
; NumAgprs: 0
; TotalNumVgprs: 0
; ScratchSize: 0
; MemoryBound: 0
; FloatMode: 240
; IeeeMode: 1
; LDSByteSize: 0 bytes/workgroup (compile time only)
; SGPRBlocks: 0
; VGPRBlocks: 0
; NumSGPRsForWavesPerEU: 6
; NumVGPRsForWavesPerEU: 1
; AccumOffset: 4
; Occupancy: 8
; WaveLimiterHint : 0
; COMPUTE_PGM_RSRC2:SCRATCH_EN: 0
; COMPUTE_PGM_RSRC2:USER_SGPR: 2
; COMPUTE_PGM_RSRC2:TRAP_HANDLER: 0
; COMPUTE_PGM_RSRC2:TGID_X_EN: 1
; COMPUTE_PGM_RSRC2:TGID_Y_EN: 0
; COMPUTE_PGM_RSRC2:TGID_Z_EN: 0
; COMPUTE_PGM_RSRC2:TIDIG_COMP_CNT: 0
; COMPUTE_PGM_RSRC3_GFX90A:ACCUM_OFFSET: 0
; COMPUTE_PGM_RSRC3_GFX90A:TG_SPLIT: 0
	.section	.text._ZN7rocprim17ROCPRIM_400000_NS6detail17trampoline_kernelINS0_14default_configENS1_25partition_config_selectorILNS1_17partition_subalgoE2EiNS0_10empty_typeEbEEZZNS1_14partition_implILS5_2ELb0ES3_jN6thrust23THRUST_200600_302600_NS6detail15normal_iteratorINSA_7pointerIiNSA_11hip_rocprim3tagENSA_11use_defaultESG_EEEEPS6_NSA_18transform_iteratorINSA_8identityIiEENSC_INSA_10device_ptrIiEEEESG_SG_EENS0_5tupleIJPiSJ_EEENSR_IJSJ_SJ_EEES6_PlJS6_EEE10hipError_tPvRmT3_T4_T5_T6_T7_T9_mT8_P12ihipStream_tbDpT10_ENKUlT_T0_E_clISt17integral_constantIbLb1EES1F_EEDaS1A_S1B_EUlS1A_E_NS1_11comp_targetILNS1_3genE8ELNS1_11target_archE1030ELNS1_3gpuE2ELNS1_3repE0EEENS1_30default_config_static_selectorELNS0_4arch9wavefront6targetE1EEEvT1_,"axG",@progbits,_ZN7rocprim17ROCPRIM_400000_NS6detail17trampoline_kernelINS0_14default_configENS1_25partition_config_selectorILNS1_17partition_subalgoE2EiNS0_10empty_typeEbEEZZNS1_14partition_implILS5_2ELb0ES3_jN6thrust23THRUST_200600_302600_NS6detail15normal_iteratorINSA_7pointerIiNSA_11hip_rocprim3tagENSA_11use_defaultESG_EEEEPS6_NSA_18transform_iteratorINSA_8identityIiEENSC_INSA_10device_ptrIiEEEESG_SG_EENS0_5tupleIJPiSJ_EEENSR_IJSJ_SJ_EEES6_PlJS6_EEE10hipError_tPvRmT3_T4_T5_T6_T7_T9_mT8_P12ihipStream_tbDpT10_ENKUlT_T0_E_clISt17integral_constantIbLb1EES1F_EEDaS1A_S1B_EUlS1A_E_NS1_11comp_targetILNS1_3genE8ELNS1_11target_archE1030ELNS1_3gpuE2ELNS1_3repE0EEENS1_30default_config_static_selectorELNS0_4arch9wavefront6targetE1EEEvT1_,comdat
	.protected	_ZN7rocprim17ROCPRIM_400000_NS6detail17trampoline_kernelINS0_14default_configENS1_25partition_config_selectorILNS1_17partition_subalgoE2EiNS0_10empty_typeEbEEZZNS1_14partition_implILS5_2ELb0ES3_jN6thrust23THRUST_200600_302600_NS6detail15normal_iteratorINSA_7pointerIiNSA_11hip_rocprim3tagENSA_11use_defaultESG_EEEEPS6_NSA_18transform_iteratorINSA_8identityIiEENSC_INSA_10device_ptrIiEEEESG_SG_EENS0_5tupleIJPiSJ_EEENSR_IJSJ_SJ_EEES6_PlJS6_EEE10hipError_tPvRmT3_T4_T5_T6_T7_T9_mT8_P12ihipStream_tbDpT10_ENKUlT_T0_E_clISt17integral_constantIbLb1EES1F_EEDaS1A_S1B_EUlS1A_E_NS1_11comp_targetILNS1_3genE8ELNS1_11target_archE1030ELNS1_3gpuE2ELNS1_3repE0EEENS1_30default_config_static_selectorELNS0_4arch9wavefront6targetE1EEEvT1_ ; -- Begin function _ZN7rocprim17ROCPRIM_400000_NS6detail17trampoline_kernelINS0_14default_configENS1_25partition_config_selectorILNS1_17partition_subalgoE2EiNS0_10empty_typeEbEEZZNS1_14partition_implILS5_2ELb0ES3_jN6thrust23THRUST_200600_302600_NS6detail15normal_iteratorINSA_7pointerIiNSA_11hip_rocprim3tagENSA_11use_defaultESG_EEEEPS6_NSA_18transform_iteratorINSA_8identityIiEENSC_INSA_10device_ptrIiEEEESG_SG_EENS0_5tupleIJPiSJ_EEENSR_IJSJ_SJ_EEES6_PlJS6_EEE10hipError_tPvRmT3_T4_T5_T6_T7_T9_mT8_P12ihipStream_tbDpT10_ENKUlT_T0_E_clISt17integral_constantIbLb1EES1F_EEDaS1A_S1B_EUlS1A_E_NS1_11comp_targetILNS1_3genE8ELNS1_11target_archE1030ELNS1_3gpuE2ELNS1_3repE0EEENS1_30default_config_static_selectorELNS0_4arch9wavefront6targetE1EEEvT1_
	.globl	_ZN7rocprim17ROCPRIM_400000_NS6detail17trampoline_kernelINS0_14default_configENS1_25partition_config_selectorILNS1_17partition_subalgoE2EiNS0_10empty_typeEbEEZZNS1_14partition_implILS5_2ELb0ES3_jN6thrust23THRUST_200600_302600_NS6detail15normal_iteratorINSA_7pointerIiNSA_11hip_rocprim3tagENSA_11use_defaultESG_EEEEPS6_NSA_18transform_iteratorINSA_8identityIiEENSC_INSA_10device_ptrIiEEEESG_SG_EENS0_5tupleIJPiSJ_EEENSR_IJSJ_SJ_EEES6_PlJS6_EEE10hipError_tPvRmT3_T4_T5_T6_T7_T9_mT8_P12ihipStream_tbDpT10_ENKUlT_T0_E_clISt17integral_constantIbLb1EES1F_EEDaS1A_S1B_EUlS1A_E_NS1_11comp_targetILNS1_3genE8ELNS1_11target_archE1030ELNS1_3gpuE2ELNS1_3repE0EEENS1_30default_config_static_selectorELNS0_4arch9wavefront6targetE1EEEvT1_
	.p2align	8
	.type	_ZN7rocprim17ROCPRIM_400000_NS6detail17trampoline_kernelINS0_14default_configENS1_25partition_config_selectorILNS1_17partition_subalgoE2EiNS0_10empty_typeEbEEZZNS1_14partition_implILS5_2ELb0ES3_jN6thrust23THRUST_200600_302600_NS6detail15normal_iteratorINSA_7pointerIiNSA_11hip_rocprim3tagENSA_11use_defaultESG_EEEEPS6_NSA_18transform_iteratorINSA_8identityIiEENSC_INSA_10device_ptrIiEEEESG_SG_EENS0_5tupleIJPiSJ_EEENSR_IJSJ_SJ_EEES6_PlJS6_EEE10hipError_tPvRmT3_T4_T5_T6_T7_T9_mT8_P12ihipStream_tbDpT10_ENKUlT_T0_E_clISt17integral_constantIbLb1EES1F_EEDaS1A_S1B_EUlS1A_E_NS1_11comp_targetILNS1_3genE8ELNS1_11target_archE1030ELNS1_3gpuE2ELNS1_3repE0EEENS1_30default_config_static_selectorELNS0_4arch9wavefront6targetE1EEEvT1_,@function
_ZN7rocprim17ROCPRIM_400000_NS6detail17trampoline_kernelINS0_14default_configENS1_25partition_config_selectorILNS1_17partition_subalgoE2EiNS0_10empty_typeEbEEZZNS1_14partition_implILS5_2ELb0ES3_jN6thrust23THRUST_200600_302600_NS6detail15normal_iteratorINSA_7pointerIiNSA_11hip_rocprim3tagENSA_11use_defaultESG_EEEEPS6_NSA_18transform_iteratorINSA_8identityIiEENSC_INSA_10device_ptrIiEEEESG_SG_EENS0_5tupleIJPiSJ_EEENSR_IJSJ_SJ_EEES6_PlJS6_EEE10hipError_tPvRmT3_T4_T5_T6_T7_T9_mT8_P12ihipStream_tbDpT10_ENKUlT_T0_E_clISt17integral_constantIbLb1EES1F_EEDaS1A_S1B_EUlS1A_E_NS1_11comp_targetILNS1_3genE8ELNS1_11target_archE1030ELNS1_3gpuE2ELNS1_3repE0EEENS1_30default_config_static_selectorELNS0_4arch9wavefront6targetE1EEEvT1_: ; @_ZN7rocprim17ROCPRIM_400000_NS6detail17trampoline_kernelINS0_14default_configENS1_25partition_config_selectorILNS1_17partition_subalgoE2EiNS0_10empty_typeEbEEZZNS1_14partition_implILS5_2ELb0ES3_jN6thrust23THRUST_200600_302600_NS6detail15normal_iteratorINSA_7pointerIiNSA_11hip_rocprim3tagENSA_11use_defaultESG_EEEEPS6_NSA_18transform_iteratorINSA_8identityIiEENSC_INSA_10device_ptrIiEEEESG_SG_EENS0_5tupleIJPiSJ_EEENSR_IJSJ_SJ_EEES6_PlJS6_EEE10hipError_tPvRmT3_T4_T5_T6_T7_T9_mT8_P12ihipStream_tbDpT10_ENKUlT_T0_E_clISt17integral_constantIbLb1EES1F_EEDaS1A_S1B_EUlS1A_E_NS1_11comp_targetILNS1_3genE8ELNS1_11target_archE1030ELNS1_3gpuE2ELNS1_3repE0EEENS1_30default_config_static_selectorELNS0_4arch9wavefront6targetE1EEEvT1_
; %bb.0:
	.section	.rodata,"a",@progbits
	.p2align	6, 0x0
	.amdhsa_kernel _ZN7rocprim17ROCPRIM_400000_NS6detail17trampoline_kernelINS0_14default_configENS1_25partition_config_selectorILNS1_17partition_subalgoE2EiNS0_10empty_typeEbEEZZNS1_14partition_implILS5_2ELb0ES3_jN6thrust23THRUST_200600_302600_NS6detail15normal_iteratorINSA_7pointerIiNSA_11hip_rocprim3tagENSA_11use_defaultESG_EEEEPS6_NSA_18transform_iteratorINSA_8identityIiEENSC_INSA_10device_ptrIiEEEESG_SG_EENS0_5tupleIJPiSJ_EEENSR_IJSJ_SJ_EEES6_PlJS6_EEE10hipError_tPvRmT3_T4_T5_T6_T7_T9_mT8_P12ihipStream_tbDpT10_ENKUlT_T0_E_clISt17integral_constantIbLb1EES1F_EEDaS1A_S1B_EUlS1A_E_NS1_11comp_targetILNS1_3genE8ELNS1_11target_archE1030ELNS1_3gpuE2ELNS1_3repE0EEENS1_30default_config_static_selectorELNS0_4arch9wavefront6targetE1EEEvT1_
		.amdhsa_group_segment_fixed_size 0
		.amdhsa_private_segment_fixed_size 0
		.amdhsa_kernarg_size 144
		.amdhsa_user_sgpr_count 2
		.amdhsa_user_sgpr_dispatch_ptr 0
		.amdhsa_user_sgpr_queue_ptr 0
		.amdhsa_user_sgpr_kernarg_segment_ptr 1
		.amdhsa_user_sgpr_dispatch_id 0
		.amdhsa_user_sgpr_kernarg_preload_length 0
		.amdhsa_user_sgpr_kernarg_preload_offset 0
		.amdhsa_user_sgpr_private_segment_size 0
		.amdhsa_uses_dynamic_stack 0
		.amdhsa_enable_private_segment 0
		.amdhsa_system_sgpr_workgroup_id_x 1
		.amdhsa_system_sgpr_workgroup_id_y 0
		.amdhsa_system_sgpr_workgroup_id_z 0
		.amdhsa_system_sgpr_workgroup_info 0
		.amdhsa_system_vgpr_workitem_id 0
		.amdhsa_next_free_vgpr 1
		.amdhsa_next_free_sgpr 0
		.amdhsa_accum_offset 4
		.amdhsa_reserve_vcc 0
		.amdhsa_float_round_mode_32 0
		.amdhsa_float_round_mode_16_64 0
		.amdhsa_float_denorm_mode_32 3
		.amdhsa_float_denorm_mode_16_64 3
		.amdhsa_dx10_clamp 1
		.amdhsa_ieee_mode 1
		.amdhsa_fp16_overflow 0
		.amdhsa_tg_split 0
		.amdhsa_exception_fp_ieee_invalid_op 0
		.amdhsa_exception_fp_denorm_src 0
		.amdhsa_exception_fp_ieee_div_zero 0
		.amdhsa_exception_fp_ieee_overflow 0
		.amdhsa_exception_fp_ieee_underflow 0
		.amdhsa_exception_fp_ieee_inexact 0
		.amdhsa_exception_int_div_zero 0
	.end_amdhsa_kernel
	.section	.text._ZN7rocprim17ROCPRIM_400000_NS6detail17trampoline_kernelINS0_14default_configENS1_25partition_config_selectorILNS1_17partition_subalgoE2EiNS0_10empty_typeEbEEZZNS1_14partition_implILS5_2ELb0ES3_jN6thrust23THRUST_200600_302600_NS6detail15normal_iteratorINSA_7pointerIiNSA_11hip_rocprim3tagENSA_11use_defaultESG_EEEEPS6_NSA_18transform_iteratorINSA_8identityIiEENSC_INSA_10device_ptrIiEEEESG_SG_EENS0_5tupleIJPiSJ_EEENSR_IJSJ_SJ_EEES6_PlJS6_EEE10hipError_tPvRmT3_T4_T5_T6_T7_T9_mT8_P12ihipStream_tbDpT10_ENKUlT_T0_E_clISt17integral_constantIbLb1EES1F_EEDaS1A_S1B_EUlS1A_E_NS1_11comp_targetILNS1_3genE8ELNS1_11target_archE1030ELNS1_3gpuE2ELNS1_3repE0EEENS1_30default_config_static_selectorELNS0_4arch9wavefront6targetE1EEEvT1_,"axG",@progbits,_ZN7rocprim17ROCPRIM_400000_NS6detail17trampoline_kernelINS0_14default_configENS1_25partition_config_selectorILNS1_17partition_subalgoE2EiNS0_10empty_typeEbEEZZNS1_14partition_implILS5_2ELb0ES3_jN6thrust23THRUST_200600_302600_NS6detail15normal_iteratorINSA_7pointerIiNSA_11hip_rocprim3tagENSA_11use_defaultESG_EEEEPS6_NSA_18transform_iteratorINSA_8identityIiEENSC_INSA_10device_ptrIiEEEESG_SG_EENS0_5tupleIJPiSJ_EEENSR_IJSJ_SJ_EEES6_PlJS6_EEE10hipError_tPvRmT3_T4_T5_T6_T7_T9_mT8_P12ihipStream_tbDpT10_ENKUlT_T0_E_clISt17integral_constantIbLb1EES1F_EEDaS1A_S1B_EUlS1A_E_NS1_11comp_targetILNS1_3genE8ELNS1_11target_archE1030ELNS1_3gpuE2ELNS1_3repE0EEENS1_30default_config_static_selectorELNS0_4arch9wavefront6targetE1EEEvT1_,comdat
.Lfunc_end528:
	.size	_ZN7rocprim17ROCPRIM_400000_NS6detail17trampoline_kernelINS0_14default_configENS1_25partition_config_selectorILNS1_17partition_subalgoE2EiNS0_10empty_typeEbEEZZNS1_14partition_implILS5_2ELb0ES3_jN6thrust23THRUST_200600_302600_NS6detail15normal_iteratorINSA_7pointerIiNSA_11hip_rocprim3tagENSA_11use_defaultESG_EEEEPS6_NSA_18transform_iteratorINSA_8identityIiEENSC_INSA_10device_ptrIiEEEESG_SG_EENS0_5tupleIJPiSJ_EEENSR_IJSJ_SJ_EEES6_PlJS6_EEE10hipError_tPvRmT3_T4_T5_T6_T7_T9_mT8_P12ihipStream_tbDpT10_ENKUlT_T0_E_clISt17integral_constantIbLb1EES1F_EEDaS1A_S1B_EUlS1A_E_NS1_11comp_targetILNS1_3genE8ELNS1_11target_archE1030ELNS1_3gpuE2ELNS1_3repE0EEENS1_30default_config_static_selectorELNS0_4arch9wavefront6targetE1EEEvT1_, .Lfunc_end528-_ZN7rocprim17ROCPRIM_400000_NS6detail17trampoline_kernelINS0_14default_configENS1_25partition_config_selectorILNS1_17partition_subalgoE2EiNS0_10empty_typeEbEEZZNS1_14partition_implILS5_2ELb0ES3_jN6thrust23THRUST_200600_302600_NS6detail15normal_iteratorINSA_7pointerIiNSA_11hip_rocprim3tagENSA_11use_defaultESG_EEEEPS6_NSA_18transform_iteratorINSA_8identityIiEENSC_INSA_10device_ptrIiEEEESG_SG_EENS0_5tupleIJPiSJ_EEENSR_IJSJ_SJ_EEES6_PlJS6_EEE10hipError_tPvRmT3_T4_T5_T6_T7_T9_mT8_P12ihipStream_tbDpT10_ENKUlT_T0_E_clISt17integral_constantIbLb1EES1F_EEDaS1A_S1B_EUlS1A_E_NS1_11comp_targetILNS1_3genE8ELNS1_11target_archE1030ELNS1_3gpuE2ELNS1_3repE0EEENS1_30default_config_static_selectorELNS0_4arch9wavefront6targetE1EEEvT1_
                                        ; -- End function
	.section	.AMDGPU.csdata,"",@progbits
; Kernel info:
; codeLenInByte = 0
; NumSgprs: 6
; NumVgprs: 0
; NumAgprs: 0
; TotalNumVgprs: 0
; ScratchSize: 0
; MemoryBound: 0
; FloatMode: 240
; IeeeMode: 1
; LDSByteSize: 0 bytes/workgroup (compile time only)
; SGPRBlocks: 0
; VGPRBlocks: 0
; NumSGPRsForWavesPerEU: 6
; NumVGPRsForWavesPerEU: 1
; AccumOffset: 4
; Occupancy: 8
; WaveLimiterHint : 0
; COMPUTE_PGM_RSRC2:SCRATCH_EN: 0
; COMPUTE_PGM_RSRC2:USER_SGPR: 2
; COMPUTE_PGM_RSRC2:TRAP_HANDLER: 0
; COMPUTE_PGM_RSRC2:TGID_X_EN: 1
; COMPUTE_PGM_RSRC2:TGID_Y_EN: 0
; COMPUTE_PGM_RSRC2:TGID_Z_EN: 0
; COMPUTE_PGM_RSRC2:TIDIG_COMP_CNT: 0
; COMPUTE_PGM_RSRC3_GFX90A:ACCUM_OFFSET: 0
; COMPUTE_PGM_RSRC3_GFX90A:TG_SPLIT: 0
	.section	.text._ZN7rocprim17ROCPRIM_400000_NS6detail17trampoline_kernelINS0_14default_configENS1_25partition_config_selectorILNS1_17partition_subalgoE2EiNS0_10empty_typeEbEEZZNS1_14partition_implILS5_2ELb0ES3_jN6thrust23THRUST_200600_302600_NS6detail15normal_iteratorINSA_7pointerIiNSA_11hip_rocprim3tagENSA_11use_defaultESG_EEEEPS6_NSA_18transform_iteratorINSA_8identityIiEENSC_INSA_10device_ptrIiEEEESG_SG_EENS0_5tupleIJPiSJ_EEENSR_IJSJ_SJ_EEES6_PlJS6_EEE10hipError_tPvRmT3_T4_T5_T6_T7_T9_mT8_P12ihipStream_tbDpT10_ENKUlT_T0_E_clISt17integral_constantIbLb1EES1E_IbLb0EEEEDaS1A_S1B_EUlS1A_E_NS1_11comp_targetILNS1_3genE0ELNS1_11target_archE4294967295ELNS1_3gpuE0ELNS1_3repE0EEENS1_30default_config_static_selectorELNS0_4arch9wavefront6targetE1EEEvT1_,"axG",@progbits,_ZN7rocprim17ROCPRIM_400000_NS6detail17trampoline_kernelINS0_14default_configENS1_25partition_config_selectorILNS1_17partition_subalgoE2EiNS0_10empty_typeEbEEZZNS1_14partition_implILS5_2ELb0ES3_jN6thrust23THRUST_200600_302600_NS6detail15normal_iteratorINSA_7pointerIiNSA_11hip_rocprim3tagENSA_11use_defaultESG_EEEEPS6_NSA_18transform_iteratorINSA_8identityIiEENSC_INSA_10device_ptrIiEEEESG_SG_EENS0_5tupleIJPiSJ_EEENSR_IJSJ_SJ_EEES6_PlJS6_EEE10hipError_tPvRmT3_T4_T5_T6_T7_T9_mT8_P12ihipStream_tbDpT10_ENKUlT_T0_E_clISt17integral_constantIbLb1EES1E_IbLb0EEEEDaS1A_S1B_EUlS1A_E_NS1_11comp_targetILNS1_3genE0ELNS1_11target_archE4294967295ELNS1_3gpuE0ELNS1_3repE0EEENS1_30default_config_static_selectorELNS0_4arch9wavefront6targetE1EEEvT1_,comdat
	.protected	_ZN7rocprim17ROCPRIM_400000_NS6detail17trampoline_kernelINS0_14default_configENS1_25partition_config_selectorILNS1_17partition_subalgoE2EiNS0_10empty_typeEbEEZZNS1_14partition_implILS5_2ELb0ES3_jN6thrust23THRUST_200600_302600_NS6detail15normal_iteratorINSA_7pointerIiNSA_11hip_rocprim3tagENSA_11use_defaultESG_EEEEPS6_NSA_18transform_iteratorINSA_8identityIiEENSC_INSA_10device_ptrIiEEEESG_SG_EENS0_5tupleIJPiSJ_EEENSR_IJSJ_SJ_EEES6_PlJS6_EEE10hipError_tPvRmT3_T4_T5_T6_T7_T9_mT8_P12ihipStream_tbDpT10_ENKUlT_T0_E_clISt17integral_constantIbLb1EES1E_IbLb0EEEEDaS1A_S1B_EUlS1A_E_NS1_11comp_targetILNS1_3genE0ELNS1_11target_archE4294967295ELNS1_3gpuE0ELNS1_3repE0EEENS1_30default_config_static_selectorELNS0_4arch9wavefront6targetE1EEEvT1_ ; -- Begin function _ZN7rocprim17ROCPRIM_400000_NS6detail17trampoline_kernelINS0_14default_configENS1_25partition_config_selectorILNS1_17partition_subalgoE2EiNS0_10empty_typeEbEEZZNS1_14partition_implILS5_2ELb0ES3_jN6thrust23THRUST_200600_302600_NS6detail15normal_iteratorINSA_7pointerIiNSA_11hip_rocprim3tagENSA_11use_defaultESG_EEEEPS6_NSA_18transform_iteratorINSA_8identityIiEENSC_INSA_10device_ptrIiEEEESG_SG_EENS0_5tupleIJPiSJ_EEENSR_IJSJ_SJ_EEES6_PlJS6_EEE10hipError_tPvRmT3_T4_T5_T6_T7_T9_mT8_P12ihipStream_tbDpT10_ENKUlT_T0_E_clISt17integral_constantIbLb1EES1E_IbLb0EEEEDaS1A_S1B_EUlS1A_E_NS1_11comp_targetILNS1_3genE0ELNS1_11target_archE4294967295ELNS1_3gpuE0ELNS1_3repE0EEENS1_30default_config_static_selectorELNS0_4arch9wavefront6targetE1EEEvT1_
	.globl	_ZN7rocprim17ROCPRIM_400000_NS6detail17trampoline_kernelINS0_14default_configENS1_25partition_config_selectorILNS1_17partition_subalgoE2EiNS0_10empty_typeEbEEZZNS1_14partition_implILS5_2ELb0ES3_jN6thrust23THRUST_200600_302600_NS6detail15normal_iteratorINSA_7pointerIiNSA_11hip_rocprim3tagENSA_11use_defaultESG_EEEEPS6_NSA_18transform_iteratorINSA_8identityIiEENSC_INSA_10device_ptrIiEEEESG_SG_EENS0_5tupleIJPiSJ_EEENSR_IJSJ_SJ_EEES6_PlJS6_EEE10hipError_tPvRmT3_T4_T5_T6_T7_T9_mT8_P12ihipStream_tbDpT10_ENKUlT_T0_E_clISt17integral_constantIbLb1EES1E_IbLb0EEEEDaS1A_S1B_EUlS1A_E_NS1_11comp_targetILNS1_3genE0ELNS1_11target_archE4294967295ELNS1_3gpuE0ELNS1_3repE0EEENS1_30default_config_static_selectorELNS0_4arch9wavefront6targetE1EEEvT1_
	.p2align	8
	.type	_ZN7rocprim17ROCPRIM_400000_NS6detail17trampoline_kernelINS0_14default_configENS1_25partition_config_selectorILNS1_17partition_subalgoE2EiNS0_10empty_typeEbEEZZNS1_14partition_implILS5_2ELb0ES3_jN6thrust23THRUST_200600_302600_NS6detail15normal_iteratorINSA_7pointerIiNSA_11hip_rocprim3tagENSA_11use_defaultESG_EEEEPS6_NSA_18transform_iteratorINSA_8identityIiEENSC_INSA_10device_ptrIiEEEESG_SG_EENS0_5tupleIJPiSJ_EEENSR_IJSJ_SJ_EEES6_PlJS6_EEE10hipError_tPvRmT3_T4_T5_T6_T7_T9_mT8_P12ihipStream_tbDpT10_ENKUlT_T0_E_clISt17integral_constantIbLb1EES1E_IbLb0EEEEDaS1A_S1B_EUlS1A_E_NS1_11comp_targetILNS1_3genE0ELNS1_11target_archE4294967295ELNS1_3gpuE0ELNS1_3repE0EEENS1_30default_config_static_selectorELNS0_4arch9wavefront6targetE1EEEvT1_,@function
_ZN7rocprim17ROCPRIM_400000_NS6detail17trampoline_kernelINS0_14default_configENS1_25partition_config_selectorILNS1_17partition_subalgoE2EiNS0_10empty_typeEbEEZZNS1_14partition_implILS5_2ELb0ES3_jN6thrust23THRUST_200600_302600_NS6detail15normal_iteratorINSA_7pointerIiNSA_11hip_rocprim3tagENSA_11use_defaultESG_EEEEPS6_NSA_18transform_iteratorINSA_8identityIiEENSC_INSA_10device_ptrIiEEEESG_SG_EENS0_5tupleIJPiSJ_EEENSR_IJSJ_SJ_EEES6_PlJS6_EEE10hipError_tPvRmT3_T4_T5_T6_T7_T9_mT8_P12ihipStream_tbDpT10_ENKUlT_T0_E_clISt17integral_constantIbLb1EES1E_IbLb0EEEEDaS1A_S1B_EUlS1A_E_NS1_11comp_targetILNS1_3genE0ELNS1_11target_archE4294967295ELNS1_3gpuE0ELNS1_3repE0EEENS1_30default_config_static_selectorELNS0_4arch9wavefront6targetE1EEEvT1_: ; @_ZN7rocprim17ROCPRIM_400000_NS6detail17trampoline_kernelINS0_14default_configENS1_25partition_config_selectorILNS1_17partition_subalgoE2EiNS0_10empty_typeEbEEZZNS1_14partition_implILS5_2ELb0ES3_jN6thrust23THRUST_200600_302600_NS6detail15normal_iteratorINSA_7pointerIiNSA_11hip_rocprim3tagENSA_11use_defaultESG_EEEEPS6_NSA_18transform_iteratorINSA_8identityIiEENSC_INSA_10device_ptrIiEEEESG_SG_EENS0_5tupleIJPiSJ_EEENSR_IJSJ_SJ_EEES6_PlJS6_EEE10hipError_tPvRmT3_T4_T5_T6_T7_T9_mT8_P12ihipStream_tbDpT10_ENKUlT_T0_E_clISt17integral_constantIbLb1EES1E_IbLb0EEEEDaS1A_S1B_EUlS1A_E_NS1_11comp_targetILNS1_3genE0ELNS1_11target_archE4294967295ELNS1_3gpuE0ELNS1_3repE0EEENS1_30default_config_static_selectorELNS0_4arch9wavefront6targetE1EEEvT1_
; %bb.0:
	.section	.rodata,"a",@progbits
	.p2align	6, 0x0
	.amdhsa_kernel _ZN7rocprim17ROCPRIM_400000_NS6detail17trampoline_kernelINS0_14default_configENS1_25partition_config_selectorILNS1_17partition_subalgoE2EiNS0_10empty_typeEbEEZZNS1_14partition_implILS5_2ELb0ES3_jN6thrust23THRUST_200600_302600_NS6detail15normal_iteratorINSA_7pointerIiNSA_11hip_rocprim3tagENSA_11use_defaultESG_EEEEPS6_NSA_18transform_iteratorINSA_8identityIiEENSC_INSA_10device_ptrIiEEEESG_SG_EENS0_5tupleIJPiSJ_EEENSR_IJSJ_SJ_EEES6_PlJS6_EEE10hipError_tPvRmT3_T4_T5_T6_T7_T9_mT8_P12ihipStream_tbDpT10_ENKUlT_T0_E_clISt17integral_constantIbLb1EES1E_IbLb0EEEEDaS1A_S1B_EUlS1A_E_NS1_11comp_targetILNS1_3genE0ELNS1_11target_archE4294967295ELNS1_3gpuE0ELNS1_3repE0EEENS1_30default_config_static_selectorELNS0_4arch9wavefront6targetE1EEEvT1_
		.amdhsa_group_segment_fixed_size 0
		.amdhsa_private_segment_fixed_size 0
		.amdhsa_kernarg_size 128
		.amdhsa_user_sgpr_count 2
		.amdhsa_user_sgpr_dispatch_ptr 0
		.amdhsa_user_sgpr_queue_ptr 0
		.amdhsa_user_sgpr_kernarg_segment_ptr 1
		.amdhsa_user_sgpr_dispatch_id 0
		.amdhsa_user_sgpr_kernarg_preload_length 0
		.amdhsa_user_sgpr_kernarg_preload_offset 0
		.amdhsa_user_sgpr_private_segment_size 0
		.amdhsa_uses_dynamic_stack 0
		.amdhsa_enable_private_segment 0
		.amdhsa_system_sgpr_workgroup_id_x 1
		.amdhsa_system_sgpr_workgroup_id_y 0
		.amdhsa_system_sgpr_workgroup_id_z 0
		.amdhsa_system_sgpr_workgroup_info 0
		.amdhsa_system_vgpr_workitem_id 0
		.amdhsa_next_free_vgpr 1
		.amdhsa_next_free_sgpr 0
		.amdhsa_accum_offset 4
		.amdhsa_reserve_vcc 0
		.amdhsa_float_round_mode_32 0
		.amdhsa_float_round_mode_16_64 0
		.amdhsa_float_denorm_mode_32 3
		.amdhsa_float_denorm_mode_16_64 3
		.amdhsa_dx10_clamp 1
		.amdhsa_ieee_mode 1
		.amdhsa_fp16_overflow 0
		.amdhsa_tg_split 0
		.amdhsa_exception_fp_ieee_invalid_op 0
		.amdhsa_exception_fp_denorm_src 0
		.amdhsa_exception_fp_ieee_div_zero 0
		.amdhsa_exception_fp_ieee_overflow 0
		.amdhsa_exception_fp_ieee_underflow 0
		.amdhsa_exception_fp_ieee_inexact 0
		.amdhsa_exception_int_div_zero 0
	.end_amdhsa_kernel
	.section	.text._ZN7rocprim17ROCPRIM_400000_NS6detail17trampoline_kernelINS0_14default_configENS1_25partition_config_selectorILNS1_17partition_subalgoE2EiNS0_10empty_typeEbEEZZNS1_14partition_implILS5_2ELb0ES3_jN6thrust23THRUST_200600_302600_NS6detail15normal_iteratorINSA_7pointerIiNSA_11hip_rocprim3tagENSA_11use_defaultESG_EEEEPS6_NSA_18transform_iteratorINSA_8identityIiEENSC_INSA_10device_ptrIiEEEESG_SG_EENS0_5tupleIJPiSJ_EEENSR_IJSJ_SJ_EEES6_PlJS6_EEE10hipError_tPvRmT3_T4_T5_T6_T7_T9_mT8_P12ihipStream_tbDpT10_ENKUlT_T0_E_clISt17integral_constantIbLb1EES1E_IbLb0EEEEDaS1A_S1B_EUlS1A_E_NS1_11comp_targetILNS1_3genE0ELNS1_11target_archE4294967295ELNS1_3gpuE0ELNS1_3repE0EEENS1_30default_config_static_selectorELNS0_4arch9wavefront6targetE1EEEvT1_,"axG",@progbits,_ZN7rocprim17ROCPRIM_400000_NS6detail17trampoline_kernelINS0_14default_configENS1_25partition_config_selectorILNS1_17partition_subalgoE2EiNS0_10empty_typeEbEEZZNS1_14partition_implILS5_2ELb0ES3_jN6thrust23THRUST_200600_302600_NS6detail15normal_iteratorINSA_7pointerIiNSA_11hip_rocprim3tagENSA_11use_defaultESG_EEEEPS6_NSA_18transform_iteratorINSA_8identityIiEENSC_INSA_10device_ptrIiEEEESG_SG_EENS0_5tupleIJPiSJ_EEENSR_IJSJ_SJ_EEES6_PlJS6_EEE10hipError_tPvRmT3_T4_T5_T6_T7_T9_mT8_P12ihipStream_tbDpT10_ENKUlT_T0_E_clISt17integral_constantIbLb1EES1E_IbLb0EEEEDaS1A_S1B_EUlS1A_E_NS1_11comp_targetILNS1_3genE0ELNS1_11target_archE4294967295ELNS1_3gpuE0ELNS1_3repE0EEENS1_30default_config_static_selectorELNS0_4arch9wavefront6targetE1EEEvT1_,comdat
.Lfunc_end529:
	.size	_ZN7rocprim17ROCPRIM_400000_NS6detail17trampoline_kernelINS0_14default_configENS1_25partition_config_selectorILNS1_17partition_subalgoE2EiNS0_10empty_typeEbEEZZNS1_14partition_implILS5_2ELb0ES3_jN6thrust23THRUST_200600_302600_NS6detail15normal_iteratorINSA_7pointerIiNSA_11hip_rocprim3tagENSA_11use_defaultESG_EEEEPS6_NSA_18transform_iteratorINSA_8identityIiEENSC_INSA_10device_ptrIiEEEESG_SG_EENS0_5tupleIJPiSJ_EEENSR_IJSJ_SJ_EEES6_PlJS6_EEE10hipError_tPvRmT3_T4_T5_T6_T7_T9_mT8_P12ihipStream_tbDpT10_ENKUlT_T0_E_clISt17integral_constantIbLb1EES1E_IbLb0EEEEDaS1A_S1B_EUlS1A_E_NS1_11comp_targetILNS1_3genE0ELNS1_11target_archE4294967295ELNS1_3gpuE0ELNS1_3repE0EEENS1_30default_config_static_selectorELNS0_4arch9wavefront6targetE1EEEvT1_, .Lfunc_end529-_ZN7rocprim17ROCPRIM_400000_NS6detail17trampoline_kernelINS0_14default_configENS1_25partition_config_selectorILNS1_17partition_subalgoE2EiNS0_10empty_typeEbEEZZNS1_14partition_implILS5_2ELb0ES3_jN6thrust23THRUST_200600_302600_NS6detail15normal_iteratorINSA_7pointerIiNSA_11hip_rocprim3tagENSA_11use_defaultESG_EEEEPS6_NSA_18transform_iteratorINSA_8identityIiEENSC_INSA_10device_ptrIiEEEESG_SG_EENS0_5tupleIJPiSJ_EEENSR_IJSJ_SJ_EEES6_PlJS6_EEE10hipError_tPvRmT3_T4_T5_T6_T7_T9_mT8_P12ihipStream_tbDpT10_ENKUlT_T0_E_clISt17integral_constantIbLb1EES1E_IbLb0EEEEDaS1A_S1B_EUlS1A_E_NS1_11comp_targetILNS1_3genE0ELNS1_11target_archE4294967295ELNS1_3gpuE0ELNS1_3repE0EEENS1_30default_config_static_selectorELNS0_4arch9wavefront6targetE1EEEvT1_
                                        ; -- End function
	.section	.AMDGPU.csdata,"",@progbits
; Kernel info:
; codeLenInByte = 0
; NumSgprs: 6
; NumVgprs: 0
; NumAgprs: 0
; TotalNumVgprs: 0
; ScratchSize: 0
; MemoryBound: 0
; FloatMode: 240
; IeeeMode: 1
; LDSByteSize: 0 bytes/workgroup (compile time only)
; SGPRBlocks: 0
; VGPRBlocks: 0
; NumSGPRsForWavesPerEU: 6
; NumVGPRsForWavesPerEU: 1
; AccumOffset: 4
; Occupancy: 8
; WaveLimiterHint : 0
; COMPUTE_PGM_RSRC2:SCRATCH_EN: 0
; COMPUTE_PGM_RSRC2:USER_SGPR: 2
; COMPUTE_PGM_RSRC2:TRAP_HANDLER: 0
; COMPUTE_PGM_RSRC2:TGID_X_EN: 1
; COMPUTE_PGM_RSRC2:TGID_Y_EN: 0
; COMPUTE_PGM_RSRC2:TGID_Z_EN: 0
; COMPUTE_PGM_RSRC2:TIDIG_COMP_CNT: 0
; COMPUTE_PGM_RSRC3_GFX90A:ACCUM_OFFSET: 0
; COMPUTE_PGM_RSRC3_GFX90A:TG_SPLIT: 0
	.section	.text._ZN7rocprim17ROCPRIM_400000_NS6detail17trampoline_kernelINS0_14default_configENS1_25partition_config_selectorILNS1_17partition_subalgoE2EiNS0_10empty_typeEbEEZZNS1_14partition_implILS5_2ELb0ES3_jN6thrust23THRUST_200600_302600_NS6detail15normal_iteratorINSA_7pointerIiNSA_11hip_rocprim3tagENSA_11use_defaultESG_EEEEPS6_NSA_18transform_iteratorINSA_8identityIiEENSC_INSA_10device_ptrIiEEEESG_SG_EENS0_5tupleIJPiSJ_EEENSR_IJSJ_SJ_EEES6_PlJS6_EEE10hipError_tPvRmT3_T4_T5_T6_T7_T9_mT8_P12ihipStream_tbDpT10_ENKUlT_T0_E_clISt17integral_constantIbLb1EES1E_IbLb0EEEEDaS1A_S1B_EUlS1A_E_NS1_11comp_targetILNS1_3genE5ELNS1_11target_archE942ELNS1_3gpuE9ELNS1_3repE0EEENS1_30default_config_static_selectorELNS0_4arch9wavefront6targetE1EEEvT1_,"axG",@progbits,_ZN7rocprim17ROCPRIM_400000_NS6detail17trampoline_kernelINS0_14default_configENS1_25partition_config_selectorILNS1_17partition_subalgoE2EiNS0_10empty_typeEbEEZZNS1_14partition_implILS5_2ELb0ES3_jN6thrust23THRUST_200600_302600_NS6detail15normal_iteratorINSA_7pointerIiNSA_11hip_rocprim3tagENSA_11use_defaultESG_EEEEPS6_NSA_18transform_iteratorINSA_8identityIiEENSC_INSA_10device_ptrIiEEEESG_SG_EENS0_5tupleIJPiSJ_EEENSR_IJSJ_SJ_EEES6_PlJS6_EEE10hipError_tPvRmT3_T4_T5_T6_T7_T9_mT8_P12ihipStream_tbDpT10_ENKUlT_T0_E_clISt17integral_constantIbLb1EES1E_IbLb0EEEEDaS1A_S1B_EUlS1A_E_NS1_11comp_targetILNS1_3genE5ELNS1_11target_archE942ELNS1_3gpuE9ELNS1_3repE0EEENS1_30default_config_static_selectorELNS0_4arch9wavefront6targetE1EEEvT1_,comdat
	.protected	_ZN7rocprim17ROCPRIM_400000_NS6detail17trampoline_kernelINS0_14default_configENS1_25partition_config_selectorILNS1_17partition_subalgoE2EiNS0_10empty_typeEbEEZZNS1_14partition_implILS5_2ELb0ES3_jN6thrust23THRUST_200600_302600_NS6detail15normal_iteratorINSA_7pointerIiNSA_11hip_rocprim3tagENSA_11use_defaultESG_EEEEPS6_NSA_18transform_iteratorINSA_8identityIiEENSC_INSA_10device_ptrIiEEEESG_SG_EENS0_5tupleIJPiSJ_EEENSR_IJSJ_SJ_EEES6_PlJS6_EEE10hipError_tPvRmT3_T4_T5_T6_T7_T9_mT8_P12ihipStream_tbDpT10_ENKUlT_T0_E_clISt17integral_constantIbLb1EES1E_IbLb0EEEEDaS1A_S1B_EUlS1A_E_NS1_11comp_targetILNS1_3genE5ELNS1_11target_archE942ELNS1_3gpuE9ELNS1_3repE0EEENS1_30default_config_static_selectorELNS0_4arch9wavefront6targetE1EEEvT1_ ; -- Begin function _ZN7rocprim17ROCPRIM_400000_NS6detail17trampoline_kernelINS0_14default_configENS1_25partition_config_selectorILNS1_17partition_subalgoE2EiNS0_10empty_typeEbEEZZNS1_14partition_implILS5_2ELb0ES3_jN6thrust23THRUST_200600_302600_NS6detail15normal_iteratorINSA_7pointerIiNSA_11hip_rocprim3tagENSA_11use_defaultESG_EEEEPS6_NSA_18transform_iteratorINSA_8identityIiEENSC_INSA_10device_ptrIiEEEESG_SG_EENS0_5tupleIJPiSJ_EEENSR_IJSJ_SJ_EEES6_PlJS6_EEE10hipError_tPvRmT3_T4_T5_T6_T7_T9_mT8_P12ihipStream_tbDpT10_ENKUlT_T0_E_clISt17integral_constantIbLb1EES1E_IbLb0EEEEDaS1A_S1B_EUlS1A_E_NS1_11comp_targetILNS1_3genE5ELNS1_11target_archE942ELNS1_3gpuE9ELNS1_3repE0EEENS1_30default_config_static_selectorELNS0_4arch9wavefront6targetE1EEEvT1_
	.globl	_ZN7rocprim17ROCPRIM_400000_NS6detail17trampoline_kernelINS0_14default_configENS1_25partition_config_selectorILNS1_17partition_subalgoE2EiNS0_10empty_typeEbEEZZNS1_14partition_implILS5_2ELb0ES3_jN6thrust23THRUST_200600_302600_NS6detail15normal_iteratorINSA_7pointerIiNSA_11hip_rocprim3tagENSA_11use_defaultESG_EEEEPS6_NSA_18transform_iteratorINSA_8identityIiEENSC_INSA_10device_ptrIiEEEESG_SG_EENS0_5tupleIJPiSJ_EEENSR_IJSJ_SJ_EEES6_PlJS6_EEE10hipError_tPvRmT3_T4_T5_T6_T7_T9_mT8_P12ihipStream_tbDpT10_ENKUlT_T0_E_clISt17integral_constantIbLb1EES1E_IbLb0EEEEDaS1A_S1B_EUlS1A_E_NS1_11comp_targetILNS1_3genE5ELNS1_11target_archE942ELNS1_3gpuE9ELNS1_3repE0EEENS1_30default_config_static_selectorELNS0_4arch9wavefront6targetE1EEEvT1_
	.p2align	8
	.type	_ZN7rocprim17ROCPRIM_400000_NS6detail17trampoline_kernelINS0_14default_configENS1_25partition_config_selectorILNS1_17partition_subalgoE2EiNS0_10empty_typeEbEEZZNS1_14partition_implILS5_2ELb0ES3_jN6thrust23THRUST_200600_302600_NS6detail15normal_iteratorINSA_7pointerIiNSA_11hip_rocprim3tagENSA_11use_defaultESG_EEEEPS6_NSA_18transform_iteratorINSA_8identityIiEENSC_INSA_10device_ptrIiEEEESG_SG_EENS0_5tupleIJPiSJ_EEENSR_IJSJ_SJ_EEES6_PlJS6_EEE10hipError_tPvRmT3_T4_T5_T6_T7_T9_mT8_P12ihipStream_tbDpT10_ENKUlT_T0_E_clISt17integral_constantIbLb1EES1E_IbLb0EEEEDaS1A_S1B_EUlS1A_E_NS1_11comp_targetILNS1_3genE5ELNS1_11target_archE942ELNS1_3gpuE9ELNS1_3repE0EEENS1_30default_config_static_selectorELNS0_4arch9wavefront6targetE1EEEvT1_,@function
_ZN7rocprim17ROCPRIM_400000_NS6detail17trampoline_kernelINS0_14default_configENS1_25partition_config_selectorILNS1_17partition_subalgoE2EiNS0_10empty_typeEbEEZZNS1_14partition_implILS5_2ELb0ES3_jN6thrust23THRUST_200600_302600_NS6detail15normal_iteratorINSA_7pointerIiNSA_11hip_rocprim3tagENSA_11use_defaultESG_EEEEPS6_NSA_18transform_iteratorINSA_8identityIiEENSC_INSA_10device_ptrIiEEEESG_SG_EENS0_5tupleIJPiSJ_EEENSR_IJSJ_SJ_EEES6_PlJS6_EEE10hipError_tPvRmT3_T4_T5_T6_T7_T9_mT8_P12ihipStream_tbDpT10_ENKUlT_T0_E_clISt17integral_constantIbLb1EES1E_IbLb0EEEEDaS1A_S1B_EUlS1A_E_NS1_11comp_targetILNS1_3genE5ELNS1_11target_archE942ELNS1_3gpuE9ELNS1_3repE0EEENS1_30default_config_static_selectorELNS0_4arch9wavefront6targetE1EEEvT1_: ; @_ZN7rocprim17ROCPRIM_400000_NS6detail17trampoline_kernelINS0_14default_configENS1_25partition_config_selectorILNS1_17partition_subalgoE2EiNS0_10empty_typeEbEEZZNS1_14partition_implILS5_2ELb0ES3_jN6thrust23THRUST_200600_302600_NS6detail15normal_iteratorINSA_7pointerIiNSA_11hip_rocprim3tagENSA_11use_defaultESG_EEEEPS6_NSA_18transform_iteratorINSA_8identityIiEENSC_INSA_10device_ptrIiEEEESG_SG_EENS0_5tupleIJPiSJ_EEENSR_IJSJ_SJ_EEES6_PlJS6_EEE10hipError_tPvRmT3_T4_T5_T6_T7_T9_mT8_P12ihipStream_tbDpT10_ENKUlT_T0_E_clISt17integral_constantIbLb1EES1E_IbLb0EEEEDaS1A_S1B_EUlS1A_E_NS1_11comp_targetILNS1_3genE5ELNS1_11target_archE942ELNS1_3gpuE9ELNS1_3repE0EEENS1_30default_config_static_selectorELNS0_4arch9wavefront6targetE1EEEvT1_
; %bb.0:
	s_load_dwordx4 s[24:27], s[0:1], 0x8
	s_load_dwordx2 s[6:7], s[0:1], 0x20
	s_load_dwordx2 s[28:29], s[0:1], 0x60
	s_load_dwordx4 s[20:23], s[0:1], 0x50
	s_load_dword s3, s[0:1], 0x78
	s_waitcnt lgkmcnt(0)
	s_lshl_b64 s[8:9], s[26:27], 2
	s_add_u32 s12, s24, s8
	s_addc_u32 s13, s25, s9
	s_load_dwordx2 s[30:31], s[22:23], 0x0
	s_add_i32 s10, s3, -1
	s_mulk_i32 s3, 0x1e00
	s_add_i32 s4, s3, s26
	s_sub_i32 s33, s28, s4
	s_addk_i32 s33, 0x1e00
	s_add_u32 s4, s26, s3
	s_addc_u32 s5, s27, 0
	s_cmp_eq_u32 s2, s10
	v_mov_b64_e32 v[2:3], s[28:29]
	s_cselect_b64 s[22:23], -1, 0
	s_cmp_lg_u32 s2, s10
	s_mul_i32 s24, s2, 0x1e00
	s_mov_b32 s25, 0
	v_cmp_lt_u64_e32 vcc, s[4:5], v[2:3]
	s_cselect_b64 s[4:5], -1, 0
	s_or_b64 s[34:35], s[4:5], vcc
	s_lshl_b64 s[10:11], s[24:25], 2
	s_add_u32 s12, s12, s10
	s_addc_u32 s13, s13, s11
	s_mov_b64 s[4:5], -1
	s_and_b64 vcc, exec, s[34:35]
	v_lshlrev_b32_e32 v22, 2, v0
	s_cbranch_vccz .LBB530_2
; %bb.1:
	v_mov_b32_e32 v23, 0
	v_lshl_add_u64 v[2:3], s[12:13], 0, v[22:23]
	v_add_co_u32_e32 v4, vcc, 0x1000, v2
	s_mov_b64 s[4:5], 0
	s_nop 0
	v_addc_co_u32_e32 v5, vcc, 0, v3, vcc
	v_add_co_u32_e32 v6, vcc, 0x2000, v2
	s_nop 1
	v_addc_co_u32_e32 v7, vcc, 0, v3, vcc
	v_add_co_u32_e32 v8, vcc, 0x3000, v2
	s_nop 1
	v_addc_co_u32_e32 v9, vcc, 0, v3, vcc
	flat_load_dword v1, v[2:3]
	flat_load_dword v10, v[2:3] offset:2048
	flat_load_dword v11, v[4:5]
	flat_load_dword v12, v[4:5] offset:2048
	;; [unrolled: 2-line block ×4, first 2 shown]
	v_add_co_u32_e32 v4, vcc, 0x4000, v2
	s_nop 1
	v_addc_co_u32_e32 v5, vcc, 0, v3, vcc
	v_add_co_u32_e32 v6, vcc, 0x5000, v2
	s_nop 1
	v_addc_co_u32_e32 v7, vcc, 0, v3, vcc
	;; [unrolled: 3-line block ×4, first 2 shown]
	flat_load_dword v17, v[4:5]
	flat_load_dword v18, v[4:5] offset:2048
	flat_load_dword v19, v[6:7]
	flat_load_dword v20, v[6:7] offset:2048
	;; [unrolled: 2-line block ×3, first 2 shown]
	flat_load_dword v24, v[2:3]
	s_waitcnt vmcnt(0) lgkmcnt(0)
	ds_write2st64_b32 v22, v1, v10 offset1:8
	ds_write2st64_b32 v22, v11, v12 offset0:16 offset1:24
	ds_write2st64_b32 v22, v13, v14 offset0:32 offset1:40
	;; [unrolled: 1-line block ×6, first 2 shown]
	ds_write_b32 v22, v24 offset:28672
	s_waitcnt lgkmcnt(0)
	s_barrier
.LBB530_2:
	s_andn2_b64 vcc, exec, s[4:5]
	v_cmp_gt_u32_e64 s[4:5], s33, v0
	s_cbranch_vccnz .LBB530_34
; %bb.3:
                                        ; implicit-def: $vgpr2_vgpr3_vgpr4_vgpr5_vgpr6_vgpr7_vgpr8_vgpr9_vgpr10_vgpr11_vgpr12_vgpr13_vgpr14_vgpr15_vgpr16_vgpr17
	s_and_saveexec_b64 s[14:15], s[4:5]
	s_cbranch_execz .LBB530_5
; %bb.4:
	v_mov_b32_e32 v23, 0
	v_lshl_add_u64 v[2:3], s[12:13], 0, v[22:23]
	flat_load_dword v2, v[2:3]
.LBB530_5:
	s_or_b64 exec, exec, s[14:15]
	v_or_b32_e32 v1, 0x200, v0
	v_cmp_gt_u32_e32 vcc, s33, v1
	s_and_saveexec_b64 s[4:5], vcc
	s_cbranch_execz .LBB530_7
; %bb.6:
	v_mov_b32_e32 v23, 0
	v_lshl_add_u64 v[18:19], s[12:13], 0, v[22:23]
	flat_load_dword v3, v[18:19] offset:2048
.LBB530_7:
	s_or_b64 exec, exec, s[4:5]
	v_or_b32_e32 v1, 0x400, v0
	v_cmp_gt_u32_e32 vcc, s33, v1
	s_and_saveexec_b64 s[4:5], vcc
	s_cbranch_execz .LBB530_9
; %bb.8:
	v_lshlrev_b32_e32 v18, 2, v1
	v_mov_b32_e32 v19, 0
	v_lshl_add_u64 v[18:19], s[12:13], 0, v[18:19]
	flat_load_dword v4, v[18:19]
.LBB530_9:
	s_or_b64 exec, exec, s[4:5]
	v_or_b32_e32 v1, 0x600, v0
	v_cmp_gt_u32_e32 vcc, s33, v1
	s_and_saveexec_b64 s[4:5], vcc
	s_cbranch_execz .LBB530_11
; %bb.10:
	v_lshlrev_b32_e32 v18, 2, v1
	v_mov_b32_e32 v19, 0
	v_lshl_add_u64 v[18:19], s[12:13], 0, v[18:19]
	flat_load_dword v5, v[18:19]
.LBB530_11:
	;; [unrolled: 11-line block ×13, first 2 shown]
	s_or_b64 exec, exec, s[4:5]
	s_waitcnt vmcnt(0) lgkmcnt(0)
	ds_write2st64_b32 v22, v2, v3 offset1:8
	ds_write2st64_b32 v22, v4, v5 offset0:16 offset1:24
	ds_write2st64_b32 v22, v6, v7 offset0:32 offset1:40
	;; [unrolled: 1-line block ×6, first 2 shown]
	ds_write_b32 v22, v16 offset:28672
	s_waitcnt lgkmcnt(0)
	s_barrier
.LBB530_34:
	v_mul_u32_u24_e32 v21, 15, v0
	v_lshlrev_b32_e32 v1, 2, v21
	s_waitcnt lgkmcnt(0)
	ds_read2_b32 v[38:39], v1 offset1:1
	ds_read2_b32 v[36:37], v1 offset0:2 offset1:3
	ds_read2_b32 v[34:35], v1 offset0:4 offset1:5
	;; [unrolled: 1-line block ×6, first 2 shown]
	ds_read_b32 v1, v1 offset:56
	s_add_u32 s3, s6, s8
	s_addc_u32 s5, s7, s9
	s_add_u32 s4, s3, s10
	s_addc_u32 s5, s5, s11
	s_mov_b64 s[6:7], -1
	s_and_b64 vcc, exec, s[34:35]
	s_waitcnt lgkmcnt(0)
	s_barrier
	s_cbranch_vccz .LBB530_36
; %bb.35:
	v_mov_b32_e32 v23, 0
	v_lshl_add_u64 v[2:3], s[4:5], 0, v[22:23]
	v_add_co_u32_e32 v4, vcc, 0x1000, v2
	global_load_dword v8, v22, s[4:5]
	global_load_dword v9, v22, s[4:5] offset:2048
	v_addc_co_u32_e32 v5, vcc, 0, v3, vcc
	v_add_co_u32_e32 v6, vcc, 0x2000, v2
	s_mov_b64 s[6:7], 0
	s_nop 0
	v_addc_co_u32_e32 v7, vcc, 0, v3, vcc
	global_load_dword v10, v[4:5], off
	global_load_dword v11, v[4:5], off offset:2048
	global_load_dword v12, v[6:7], off
	global_load_dword v13, v[6:7], off offset:2048
	v_add_co_u32_e32 v4, vcc, 0x3000, v2
	s_nop 1
	v_addc_co_u32_e32 v5, vcc, 0, v3, vcc
	v_add_co_u32_e32 v6, vcc, 0x4000, v2
	s_nop 1
	v_addc_co_u32_e32 v7, vcc, 0, v3, vcc
	global_load_dword v14, v[4:5], off
	global_load_dword v15, v[4:5], off offset:2048
	global_load_dword v16, v[6:7], off
	global_load_dword v17, v[6:7], off offset:2048
	v_add_co_u32_e32 v4, vcc, 0x5000, v2
	s_nop 1
	v_addc_co_u32_e32 v5, vcc, 0, v3, vcc
	v_add_co_u32_e32 v6, vcc, 0x6000, v2
	s_nop 1
	v_addc_co_u32_e32 v7, vcc, 0, v3, vcc
	v_add_co_u32_e32 v2, vcc, 0x7000, v2
	global_load_dword v18, v[4:5], off
	global_load_dword v19, v[4:5], off offset:2048
	global_load_dword v20, v[6:7], off
	global_load_dword v23, v[6:7], off offset:2048
	v_addc_co_u32_e32 v3, vcc, 0, v3, vcc
	global_load_dword v2, v[2:3], off
	s_waitcnt vmcnt(14)
	v_cmp_ne_u32_e32 vcc, 0, v8
	s_nop 1
	v_cndmask_b32_e64 v3, 0, 1, vcc
	s_waitcnt vmcnt(13)
	v_cmp_ne_u32_e32 vcc, 0, v9
	s_nop 1
	v_cndmask_b32_e64 v4, 0, 1, vcc
	s_waitcnt vmcnt(12)
	v_cmp_ne_u32_e32 vcc, 0, v10
	ds_write_b8 v0, v3
	ds_write_b8 v0, v4 offset:512
	v_cndmask_b32_e64 v3, 0, 1, vcc
	s_waitcnt vmcnt(11)
	v_cmp_ne_u32_e32 vcc, 0, v11
	s_nop 1
	v_cndmask_b32_e64 v4, 0, 1, vcc
	s_waitcnt vmcnt(10)
	v_cmp_ne_u32_e32 vcc, 0, v12
	ds_write_b8 v0, v3 offset:1024
	ds_write_b8 v0, v4 offset:1536
	v_cndmask_b32_e64 v5, 0, 1, vcc
	s_waitcnt vmcnt(9)
	v_cmp_ne_u32_e32 vcc, 0, v13
	s_nop 1
	v_cndmask_b32_e64 v6, 0, 1, vcc
	s_waitcnt vmcnt(8)
	v_cmp_ne_u32_e32 vcc, 0, v14
	ds_write_b8 v0, v5 offset:2048
	;; [unrolled: 9-line block ×3, first 2 shown]
	ds_write_b8 v0, v4 offset:3584
	v_cndmask_b32_e64 v5, 0, 1, vcc
	s_waitcnt vmcnt(5)
	v_cmp_ne_u32_e32 vcc, 0, v17
	ds_write_b8 v0, v5 offset:4096
	s_nop 0
	v_cndmask_b32_e64 v6, 0, 1, vcc
	s_waitcnt vmcnt(4)
	v_cmp_ne_u32_e32 vcc, 0, v18
	s_nop 1
	v_cndmask_b32_e64 v3, 0, 1, vcc
	s_waitcnt vmcnt(3)
	v_cmp_ne_u32_e32 vcc, 0, v19
	;; [unrolled: 4-line block ×5, first 2 shown]
	s_nop 1
	v_cndmask_b32_e64 v2, 0, 1, vcc
	ds_write_b8 v0, v6 offset:4608
	ds_write_b8 v0, v3 offset:5120
	;; [unrolled: 1-line block ×6, first 2 shown]
	s_waitcnt lgkmcnt(0)
	s_barrier
.LBB530_36:
	s_load_dwordx2 s[36:37], s[0:1], 0x70
	s_andn2_b64 vcc, exec, s[6:7]
	s_cbranch_vccnz .LBB530_68
; %bb.37:
	v_cmp_gt_u32_e32 vcc, s33, v0
	v_mov_b32_e32 v2, 0
	v_mov_b32_e32 v3, 0
	s_and_saveexec_b64 s[6:7], vcc
	s_cbranch_execz .LBB530_39
; %bb.38:
	global_load_dword v3, v22, s[4:5]
	s_waitcnt vmcnt(0)
	v_cmp_ne_u32_e32 vcc, 0, v3
	s_nop 1
	v_cndmask_b32_e64 v3, 0, 1, vcc
.LBB530_39:
	s_or_b64 exec, exec, s[6:7]
	v_or_b32_e32 v4, 0x200, v0
	v_cmp_gt_u32_e32 vcc, s33, v4
	s_and_saveexec_b64 s[6:7], vcc
	s_cbranch_execz .LBB530_41
; %bb.40:
	global_load_dword v2, v22, s[4:5] offset:2048
	s_waitcnt vmcnt(0)
	v_cmp_ne_u32_e32 vcc, 0, v2
	s_nop 1
	v_cndmask_b32_e64 v2, 0, 1, vcc
.LBB530_41:
	s_or_b64 exec, exec, s[6:7]
	v_or_b32_e32 v6, 0x400, v0
	v_cmp_gt_u32_e32 vcc, s33, v6
	v_mov_b32_e32 v4, 0
	v_mov_b32_e32 v5, 0
	s_and_saveexec_b64 s[6:7], vcc
	s_cbranch_execz .LBB530_43
; %bb.42:
	v_lshlrev_b32_e32 v5, 2, v6
	global_load_dword v5, v5, s[4:5]
	s_waitcnt vmcnt(0)
	v_cmp_ne_u32_e32 vcc, 0, v5
	s_nop 1
	v_cndmask_b32_e64 v5, 0, 1, vcc
.LBB530_43:
	s_or_b64 exec, exec, s[6:7]
	v_or_b32_e32 v6, 0x600, v0
	v_cmp_gt_u32_e32 vcc, s33, v6
	s_and_saveexec_b64 s[6:7], vcc
	s_cbranch_execz .LBB530_45
; %bb.44:
	v_lshlrev_b32_e32 v4, 2, v6
	global_load_dword v4, v4, s[4:5]
	s_waitcnt vmcnt(0)
	v_cmp_ne_u32_e32 vcc, 0, v4
	s_nop 1
	v_cndmask_b32_e64 v4, 0, 1, vcc
.LBB530_45:
	s_or_b64 exec, exec, s[6:7]
	v_or_b32_e32 v8, 0x800, v0
	v_cmp_gt_u32_e32 vcc, s33, v8
	v_mov_b32_e32 v6, 0
	v_mov_b32_e32 v7, 0
	s_and_saveexec_b64 s[6:7], vcc
	s_cbranch_execz .LBB530_47
; %bb.46:
	v_lshlrev_b32_e32 v7, 2, v8
	global_load_dword v7, v7, s[4:5]
	s_waitcnt vmcnt(0)
	v_cmp_ne_u32_e32 vcc, 0, v7
	s_nop 1
	v_cndmask_b32_e64 v7, 0, 1, vcc
.LBB530_47:
	s_or_b64 exec, exec, s[6:7]
	v_or_b32_e32 v8, 0xa00, v0
	v_cmp_gt_u32_e32 vcc, s33, v8
	s_and_saveexec_b64 s[6:7], vcc
	s_cbranch_execz .LBB530_49
; %bb.48:
	v_lshlrev_b32_e32 v6, 2, v8
	global_load_dword v6, v6, s[4:5]
	s_waitcnt vmcnt(0)
	v_cmp_ne_u32_e32 vcc, 0, v6
	s_nop 1
	v_cndmask_b32_e64 v6, 0, 1, vcc
.LBB530_49:
	s_or_b64 exec, exec, s[6:7]
	v_or_b32_e32 v10, 0xc00, v0
	v_cmp_gt_u32_e32 vcc, s33, v10
	v_mov_b32_e32 v8, 0
	v_mov_b32_e32 v9, 0
	s_and_saveexec_b64 s[6:7], vcc
	s_cbranch_execz .LBB530_51
; %bb.50:
	v_lshlrev_b32_e32 v9, 2, v10
	global_load_dword v9, v9, s[4:5]
	s_waitcnt vmcnt(0)
	v_cmp_ne_u32_e32 vcc, 0, v9
	s_nop 1
	v_cndmask_b32_e64 v9, 0, 1, vcc
.LBB530_51:
	s_or_b64 exec, exec, s[6:7]
	v_or_b32_e32 v10, 0xe00, v0
	v_cmp_gt_u32_e32 vcc, s33, v10
	s_and_saveexec_b64 s[6:7], vcc
	s_cbranch_execz .LBB530_53
; %bb.52:
	v_lshlrev_b32_e32 v8, 2, v10
	global_load_dword v8, v8, s[4:5]
	s_waitcnt vmcnt(0)
	v_cmp_ne_u32_e32 vcc, 0, v8
	s_nop 1
	v_cndmask_b32_e64 v8, 0, 1, vcc
.LBB530_53:
	s_or_b64 exec, exec, s[6:7]
	v_or_b32_e32 v12, 0x1000, v0
	v_cmp_gt_u32_e32 vcc, s33, v12
	v_mov_b32_e32 v10, 0
	v_mov_b32_e32 v11, 0
	s_and_saveexec_b64 s[6:7], vcc
	s_cbranch_execz .LBB530_55
; %bb.54:
	v_lshlrev_b32_e32 v11, 2, v12
	global_load_dword v11, v11, s[4:5]
	s_waitcnt vmcnt(0)
	v_cmp_ne_u32_e32 vcc, 0, v11
	s_nop 1
	v_cndmask_b32_e64 v11, 0, 1, vcc
.LBB530_55:
	s_or_b64 exec, exec, s[6:7]
	v_or_b32_e32 v12, 0x1200, v0
	v_cmp_gt_u32_e32 vcc, s33, v12
	s_and_saveexec_b64 s[6:7], vcc
	s_cbranch_execz .LBB530_57
; %bb.56:
	v_lshlrev_b32_e32 v10, 2, v12
	global_load_dword v10, v10, s[4:5]
	s_waitcnt vmcnt(0)
	v_cmp_ne_u32_e32 vcc, 0, v10
	s_nop 1
	v_cndmask_b32_e64 v10, 0, 1, vcc
.LBB530_57:
	s_or_b64 exec, exec, s[6:7]
	v_or_b32_e32 v14, 0x1400, v0
	v_cmp_gt_u32_e32 vcc, s33, v14
	v_mov_b32_e32 v12, 0
	v_mov_b32_e32 v13, 0
	s_and_saveexec_b64 s[6:7], vcc
	s_cbranch_execz .LBB530_59
; %bb.58:
	v_lshlrev_b32_e32 v13, 2, v14
	global_load_dword v13, v13, s[4:5]
	s_waitcnt vmcnt(0)
	v_cmp_ne_u32_e32 vcc, 0, v13
	s_nop 1
	v_cndmask_b32_e64 v13, 0, 1, vcc
.LBB530_59:
	s_or_b64 exec, exec, s[6:7]
	v_or_b32_e32 v14, 0x1600, v0
	v_cmp_gt_u32_e32 vcc, s33, v14
	s_and_saveexec_b64 s[6:7], vcc
	s_cbranch_execz .LBB530_61
; %bb.60:
	v_lshlrev_b32_e32 v12, 2, v14
	global_load_dword v12, v12, s[4:5]
	s_waitcnt vmcnt(0)
	v_cmp_ne_u32_e32 vcc, 0, v12
	s_nop 1
	v_cndmask_b32_e64 v12, 0, 1, vcc
.LBB530_61:
	s_or_b64 exec, exec, s[6:7]
	v_or_b32_e32 v16, 0x1800, v0
	v_cmp_gt_u32_e32 vcc, s33, v16
	v_mov_b32_e32 v14, 0
	v_mov_b32_e32 v15, 0
	s_and_saveexec_b64 s[6:7], vcc
	s_cbranch_execz .LBB530_63
; %bb.62:
	v_lshlrev_b32_e32 v15, 2, v16
	global_load_dword v15, v15, s[4:5]
	s_waitcnt vmcnt(0)
	v_cmp_ne_u32_e32 vcc, 0, v15
	s_nop 1
	v_cndmask_b32_e64 v15, 0, 1, vcc
.LBB530_63:
	s_or_b64 exec, exec, s[6:7]
	v_or_b32_e32 v16, 0x1a00, v0
	v_cmp_gt_u32_e32 vcc, s33, v16
	s_and_saveexec_b64 s[6:7], vcc
	s_cbranch_execz .LBB530_65
; %bb.64:
	v_lshlrev_b32_e32 v14, 2, v16
	global_load_dword v14, v14, s[4:5]
	s_waitcnt vmcnt(0)
	v_cmp_ne_u32_e32 vcc, 0, v14
	s_nop 1
	v_cndmask_b32_e64 v14, 0, 1, vcc
.LBB530_65:
	s_or_b64 exec, exec, s[6:7]
	v_or_b32_e32 v17, 0x1c00, v0
	v_cmp_gt_u32_e32 vcc, s33, v17
	v_mov_b32_e32 v16, 0
	s_and_saveexec_b64 s[6:7], vcc
	s_cbranch_execz .LBB530_67
; %bb.66:
	v_lshlrev_b32_e32 v16, 2, v17
	global_load_dword v16, v16, s[4:5]
	s_waitcnt vmcnt(0)
	v_cmp_ne_u32_e32 vcc, 0, v16
	s_nop 1
	v_cndmask_b32_e64 v16, 0, 1, vcc
.LBB530_67:
	s_or_b64 exec, exec, s[6:7]
	ds_write_b8 v0, v3
	ds_write_b8 v0, v2 offset:512
	ds_write_b8 v0, v5 offset:1024
	;; [unrolled: 1-line block ×14, first 2 shown]
	s_waitcnt lgkmcnt(0)
	s_barrier
.LBB530_68:
	s_waitcnt lgkmcnt(0)
	ds_read_b96 v[18:20], v21
	ds_read_u8 v2, v21 offset:12
	ds_read_u8 v3, v21 offset:13
	;; [unrolled: 1-line block ×3, first 2 shown]
	s_cmp_lg_u32 s2, 0
	v_lshrrev_b32_e32 v56, 6, v0
	s_waitcnt lgkmcnt(2)
	v_and_b32_e32 v42, 1, v2
	v_and_b32_e32 v51, 0xff, v18
	v_bfe_u32 v53, v18, 8, 8
	v_bfe_u32 v54, v18, 16, 8
	v_lshrrev_b32_e32 v44, 24, v18
	v_and_b32_e32 v48, 0xff, v19
	v_add3_u32 v2, v53, v51, v54
	v_bfe_u32 v49, v19, 8, 8
	v_bfe_u32 v50, v19, 16, 8
	v_add3_u32 v2, v2, v44, v48
	v_lshrrev_b32_e32 v43, 24, v19
	v_and_b32_e32 v45, 0xff, v20
	v_add3_u32 v2, v2, v49, v50
	v_bfe_u32 v46, v20, 8, 8
	v_bfe_u32 v47, v20, 16, 8
	v_add3_u32 v2, v2, v43, v45
	v_lshrrev_b32_e32 v41, 24, v20
	v_add3_u32 v2, v2, v46, v47
	s_waitcnt lgkmcnt(1)
	v_and_b32_e32 v40, 1, v3
	s_waitcnt lgkmcnt(0)
	v_and_b32_e32 v23, 1, v4
	v_add3_u32 v2, v2, v41, v42
	v_add3_u32 v57, v2, v40, v23
	v_mbcnt_lo_u32_b32 v2, -1, 0
	v_mbcnt_hi_u32_b32 v55, -1, v2
	v_and_b32_e32 v2, 15, v55
	v_cmp_eq_u32_e64 s[14:15], 0, v2
	v_cmp_lt_u32_e64 s[12:13], 1, v2
	v_cmp_lt_u32_e64 s[10:11], 3, v2
	;; [unrolled: 1-line block ×3, first 2 shown]
	v_and_b32_e32 v2, 16, v55
	v_cmp_eq_u32_e64 s[6:7], 0, v2
	v_or_b32_e32 v2, 63, v0
	v_cmp_lt_u32_e64 s[18:19], 31, v55
	v_cmp_eq_u32_e64 s[4:5], v2, v0
	s_barrier
	s_cbranch_scc0 .LBB530_99
; %bb.69:
	v_mov_b32_dpp v2, v57 row_shr:1 row_mask:0xf bank_mask:0xf
	v_cndmask_b32_e64 v2, v2, 0, s[14:15]
	v_add_u32_e32 v2, v2, v57
	s_nop 1
	v_mov_b32_dpp v3, v2 row_shr:2 row_mask:0xf bank_mask:0xf
	v_cndmask_b32_e64 v3, 0, v3, s[12:13]
	v_add_u32_e32 v2, v2, v3
	s_nop 1
	;; [unrolled: 4-line block ×4, first 2 shown]
	v_mov_b32_dpp v3, v2 row_bcast:15 row_mask:0xf bank_mask:0xf
	v_cndmask_b32_e64 v3, v3, 0, s[6:7]
	v_add_u32_e32 v2, v2, v3
	s_nop 1
	v_mov_b32_dpp v3, v2 row_bcast:31 row_mask:0xf bank_mask:0xf
	v_cndmask_b32_e64 v3, 0, v3, s[18:19]
	v_add_u32_e32 v2, v2, v3
	s_and_saveexec_b64 s[16:17], s[4:5]
	s_cbranch_execz .LBB530_71
; %bb.70:
	v_lshlrev_b32_e32 v3, 2, v56
	ds_write_b32 v3, v2
.LBB530_71:
	s_or_b64 exec, exec, s[16:17]
	v_cmp_gt_u32_e32 vcc, 8, v0
	s_waitcnt lgkmcnt(0)
	s_barrier
	s_and_saveexec_b64 s[16:17], vcc
	s_cbranch_execz .LBB530_73
; %bb.72:
	ds_read_b32 v3, v22
	v_and_b32_e32 v4, 7, v55
	v_cmp_ne_u32_e32 vcc, 0, v4
	s_waitcnt lgkmcnt(0)
	v_mov_b32_dpp v5, v3 row_shr:1 row_mask:0xf bank_mask:0xf
	v_cndmask_b32_e32 v5, 0, v5, vcc
	v_add_u32_e32 v3, v5, v3
	v_cmp_lt_u32_e32 vcc, 1, v4
	s_nop 0
	v_mov_b32_dpp v5, v3 row_shr:2 row_mask:0xf bank_mask:0xf
	v_cndmask_b32_e32 v5, 0, v5, vcc
	v_add_u32_e32 v3, v3, v5
	v_cmp_lt_u32_e32 vcc, 3, v4
	s_nop 0
	v_mov_b32_dpp v5, v3 row_shr:4 row_mask:0xf bank_mask:0xf
	v_cndmask_b32_e32 v4, 0, v5, vcc
	v_add_u32_e32 v3, v3, v4
	ds_write_b32 v22, v3
.LBB530_73:
	s_or_b64 exec, exec, s[16:17]
	v_cmp_gt_u32_e32 vcc, 64, v0
	v_cmp_lt_u32_e64 s[16:17], 63, v0
	s_waitcnt lgkmcnt(0)
	s_barrier
	s_waitcnt lgkmcnt(0)
                                        ; implicit-def: $vgpr12
	s_and_saveexec_b64 s[38:39], s[16:17]
	s_cbranch_execz .LBB530_75
; %bb.74:
	v_lshl_add_u32 v3, v56, 2, -4
	ds_read_b32 v12, v3
	s_waitcnt lgkmcnt(0)
	v_add_u32_e32 v2, v12, v2
.LBB530_75:
	s_or_b64 exec, exec, s[38:39]
	v_add_u32_e32 v3, -1, v55
	v_and_b32_e32 v4, 64, v55
	v_cmp_lt_i32_e64 s[16:17], v3, v4
	s_nop 1
	v_cndmask_b32_e64 v3, v3, v55, s[16:17]
	v_lshlrev_b32_e32 v3, 2, v3
	ds_bpermute_b32 v13, v3, v2
	v_cmp_eq_u32_e64 s[16:17], 0, v55
	s_and_saveexec_b64 s[38:39], vcc
	s_cbranch_execz .LBB530_98
; %bb.76:
	v_mov_b32_e32 v11, 0
	ds_read_b32 v2, v11 offset:28
	s_and_saveexec_b64 s[40:41], s[16:17]
	s_cbranch_execz .LBB530_78
; %bb.77:
	s_add_i32 s42, s2, 64
	s_mov_b32 s43, 0
	s_lshl_b64 s[42:43], s[42:43], 3
	s_add_u32 s42, s36, s42
	v_mov_b32_e32 v3, 1
	s_addc_u32 s43, s37, s43
	s_waitcnt lgkmcnt(0)
	global_store_dwordx2 v11, v[2:3], s[42:43] sc1
.LBB530_78:
	s_or_b64 exec, exec, s[40:41]
	v_xad_u32 v4, v55, -1, s2
	v_add_u32_e32 v10, 64, v4
	v_lshl_add_u64 v[6:7], v[10:11], 3, s[36:37]
	global_load_dwordx2 v[8:9], v[6:7], off sc1
	s_waitcnt vmcnt(0)
	v_cmp_eq_u16_sdwa s[42:43], v9, v11 src0_sel:BYTE_0 src1_sel:DWORD
	s_and_saveexec_b64 s[40:41], s[42:43]
	s_cbranch_execz .LBB530_84
; %bb.79:
	s_mov_b32 s3, 1
	s_mov_b64 s[42:43], 0
	v_mov_b32_e32 v3, 0
.LBB530_80:                             ; =>This Loop Header: Depth=1
                                        ;     Child Loop BB530_81 Depth 2
	s_max_u32 s25, s3, 1
.LBB530_81:                             ;   Parent Loop BB530_80 Depth=1
                                        ; =>  This Inner Loop Header: Depth=2
	s_add_i32 s25, s25, -1
	s_cmp_eq_u32 s25, 0
	s_sleep 1
	s_cbranch_scc0 .LBB530_81
; %bb.82:                               ;   in Loop: Header=BB530_80 Depth=1
	global_load_dwordx2 v[8:9], v[6:7], off sc1
	s_cmp_lt_u32 s3, 32
	s_cselect_b64 s[44:45], -1, 0
	s_cmp_lg_u64 s[44:45], 0
	s_addc_u32 s3, s3, 0
	s_waitcnt vmcnt(0)
	v_cmp_ne_u16_sdwa s[44:45], v9, v3 src0_sel:BYTE_0 src1_sel:DWORD
	s_or_b64 s[42:43], s[44:45], s[42:43]
	s_andn2_b64 exec, exec, s[42:43]
	s_cbranch_execnz .LBB530_80
; %bb.83:
	s_or_b64 exec, exec, s[42:43]
.LBB530_84:
	s_or_b64 exec, exec, s[40:41]
	v_and_b32_e32 v15, 63, v55
	v_mov_b32_e32 v14, 2
	v_cmp_ne_u32_e32 vcc, 63, v15
	v_cmp_eq_u16_sdwa s[40:41], v9, v14 src0_sel:BYTE_0 src1_sel:DWORD
	v_lshlrev_b64 v[6:7], v55, -1
	v_addc_co_u32_e32 v10, vcc, 0, v55, vcc
	v_and_b32_e32 v3, s41, v7
	v_lshlrev_b32_e32 v16, 2, v10
	v_or_b32_e32 v3, 0x80000000, v3
	ds_bpermute_b32 v10, v16, v8
	v_and_b32_e32 v5, s40, v6
	v_ffbl_b32_e32 v3, v3
	v_add_u32_e32 v3, 32, v3
	v_ffbl_b32_e32 v5, v5
	v_min_u32_e32 v3, v5, v3
	v_cmp_lt_u32_e32 vcc, v15, v3
	v_add_u32_e32 v24, 2, v15
	v_add_u32_e32 v52, 4, v15
	s_waitcnt lgkmcnt(0)
	v_cndmask_b32_e32 v5, 0, v10, vcc
	v_cmp_gt_u32_e32 vcc, 62, v15
	v_add_u32_e32 v5, v5, v8
	v_add_u32_e32 v59, 8, v15
	v_cndmask_b32_e64 v8, 0, 1, vcc
	v_lshlrev_b32_e32 v8, 1, v8
	v_add_lshl_u32 v17, v8, v55, 2
	ds_bpermute_b32 v8, v17, v5
	v_cmp_le_u32_e32 vcc, v24, v3
	v_add_u32_e32 v61, 16, v15
	v_add_u32_e32 v63, 32, v15
	s_waitcnt lgkmcnt(0)
	v_cndmask_b32_e32 v8, 0, v8, vcc
	v_cmp_gt_u32_e32 vcc, 60, v15
	v_add_u32_e32 v5, v5, v8
	s_nop 0
	v_cndmask_b32_e64 v8, 0, 1, vcc
	v_lshlrev_b32_e32 v8, 2, v8
	v_add_lshl_u32 v25, v8, v55, 2
	ds_bpermute_b32 v8, v25, v5
	v_cmp_le_u32_e32 vcc, v52, v3
	s_waitcnt lgkmcnt(0)
	s_nop 0
	v_cndmask_b32_e32 v8, 0, v8, vcc
	v_cmp_gt_u32_e32 vcc, 56, v15
	v_add_u32_e32 v5, v5, v8
	s_nop 0
	v_cndmask_b32_e64 v8, 0, 1, vcc
	v_lshlrev_b32_e32 v8, 3, v8
	v_add_lshl_u32 v58, v8, v55, 2
	ds_bpermute_b32 v8, v58, v5
	v_cmp_le_u32_e32 vcc, v59, v3
	s_waitcnt lgkmcnt(0)
	s_nop 0
	;; [unrolled: 11-line block ×4, first 2 shown]
	v_cndmask_b32_e32 v3, 0, v8, vcc
	v_add_u32_e32 v8, v5, v3
	v_mov_b32_e32 v5, 0
	s_branch .LBB530_86
.LBB530_85:                             ;   in Loop: Header=BB530_86 Depth=1
	s_or_b64 exec, exec, s[40:41]
	v_cmp_eq_u16_sdwa s[40:41], v9, v14 src0_sel:BYTE_0 src1_sel:DWORD
	ds_bpermute_b32 v64, v16, v8
	v_subrev_u32_e32 v4, 64, v4
	v_and_b32_e32 v10, s41, v7
	v_or_b32_e32 v10, 0x80000000, v10
	v_and_b32_e32 v11, s40, v6
	v_ffbl_b32_e32 v10, v10
	v_add_u32_e32 v10, 32, v10
	v_ffbl_b32_e32 v11, v11
	v_min_u32_e32 v10, v11, v10
	v_cmp_lt_u32_e32 vcc, v15, v10
	s_waitcnt lgkmcnt(0)
	s_nop 0
	v_cndmask_b32_e32 v11, 0, v64, vcc
	v_add_u32_e32 v8, v11, v8
	ds_bpermute_b32 v11, v17, v8
	v_cmp_le_u32_e32 vcc, v24, v10
	s_waitcnt lgkmcnt(0)
	s_nop 0
	v_cndmask_b32_e32 v11, 0, v11, vcc
	v_add_u32_e32 v8, v8, v11
	ds_bpermute_b32 v11, v25, v8
	v_cmp_le_u32_e32 vcc, v52, v10
	;; [unrolled: 6-line block ×5, first 2 shown]
	s_waitcnt lgkmcnt(0)
	s_nop 0
	v_cndmask_b32_e32 v10, 0, v11, vcc
	v_add3_u32 v8, v10, v3, v8
.LBB530_86:                             ; =>This Loop Header: Depth=1
                                        ;     Child Loop BB530_89 Depth 2
                                        ;       Child Loop BB530_90 Depth 3
	v_cmp_ne_u16_sdwa s[40:41], v9, v14 src0_sel:BYTE_0 src1_sel:DWORD
	s_nop 1
	v_cndmask_b32_e64 v3, 0, 1, s[40:41]
	;;#ASMSTART
	;;#ASMEND
	s_nop 0
	v_cmp_ne_u32_e32 vcc, 0, v3
	s_cmp_lg_u64 vcc, exec
	v_mov_b32_e32 v3, v8
	s_cbranch_scc1 .LBB530_93
; %bb.87:                               ;   in Loop: Header=BB530_86 Depth=1
	v_lshl_add_u64 v[10:11], v[4:5], 3, s[36:37]
	global_load_dwordx2 v[8:9], v[10:11], off sc1
	s_waitcnt vmcnt(0)
	v_cmp_eq_u16_sdwa s[42:43], v9, v5 src0_sel:BYTE_0 src1_sel:DWORD
	s_and_saveexec_b64 s[40:41], s[42:43]
	s_cbranch_execz .LBB530_85
; %bb.88:                               ;   in Loop: Header=BB530_86 Depth=1
	s_mov_b32 s3, 1
	s_mov_b64 s[42:43], 0
.LBB530_89:                             ;   Parent Loop BB530_86 Depth=1
                                        ; =>  This Loop Header: Depth=2
                                        ;       Child Loop BB530_90 Depth 3
	s_max_u32 s25, s3, 1
.LBB530_90:                             ;   Parent Loop BB530_86 Depth=1
                                        ;     Parent Loop BB530_89 Depth=2
                                        ; =>    This Inner Loop Header: Depth=3
	s_add_i32 s25, s25, -1
	s_cmp_eq_u32 s25, 0
	s_sleep 1
	s_cbranch_scc0 .LBB530_90
; %bb.91:                               ;   in Loop: Header=BB530_89 Depth=2
	global_load_dwordx2 v[8:9], v[10:11], off sc1
	s_cmp_lt_u32 s3, 32
	s_cselect_b64 s[44:45], -1, 0
	s_cmp_lg_u64 s[44:45], 0
	s_addc_u32 s3, s3, 0
	s_waitcnt vmcnt(0)
	v_cmp_ne_u16_sdwa s[44:45], v9, v5 src0_sel:BYTE_0 src1_sel:DWORD
	s_or_b64 s[42:43], s[44:45], s[42:43]
	s_andn2_b64 exec, exec, s[42:43]
	s_cbranch_execnz .LBB530_89
; %bb.92:                               ;   in Loop: Header=BB530_86 Depth=1
	s_or_b64 exec, exec, s[42:43]
	s_branch .LBB530_85
.LBB530_93:                             ;   in Loop: Header=BB530_86 Depth=1
                                        ; implicit-def: $vgpr8
                                        ; implicit-def: $vgpr9
	s_cbranch_execz .LBB530_86
; %bb.94:
	s_and_saveexec_b64 s[40:41], s[16:17]
	s_cbranch_execz .LBB530_96
; %bb.95:
	s_add_i32 s2, s2, 64
	s_mov_b32 s3, 0
	s_lshl_b64 s[2:3], s[2:3], 3
	s_add_u32 s2, s36, s2
	v_add_u32_e32 v4, v3, v2
	v_mov_b32_e32 v5, 2
	s_addc_u32 s3, s37, s3
	v_mov_b32_e32 v6, 0
	global_store_dwordx2 v6, v[4:5], s[2:3] sc1
	ds_write_b64 v6, v[2:3] offset:30720
.LBB530_96:
	s_or_b64 exec, exec, s[40:41]
	v_cmp_eq_u32_e32 vcc, 0, v0
	s_and_b64 exec, exec, vcc
	s_cbranch_execz .LBB530_98
; %bb.97:
	v_mov_b32_e32 v2, 0
	ds_write_b32 v2, v3 offset:28
.LBB530_98:
	s_or_b64 exec, exec, s[38:39]
	v_mov_b32_e32 v14, 0
	s_waitcnt lgkmcnt(0)
	s_barrier
	ds_read_b32 v2, v14 offset:28
	v_cndmask_b32_e64 v3, v13, v12, s[16:17]
	v_cmp_ne_u32_e32 vcc, 0, v0
	s_waitcnt lgkmcnt(0)
	s_barrier
	v_cndmask_b32_e32 v3, 0, v3, vcc
	v_add_u32_e32 v2, v2, v3
	v_add_u32_e32 v3, v2, v51
	;; [unrolled: 1-line block ×10, first 2 shown]
	ds_read_b64 v[24:25], v14 offset:30720
	v_add_u32_e32 v12, v11, v46
	v_add_u32_e32 v13, v12, v47
	;; [unrolled: 1-line block ×5, first 2 shown]
	s_waitcnt lgkmcnt(0)
	v_mov_b32_e32 v52, v25
	s_load_dwordx2 s[2:3], s[0:1], 0x30
	s_branch .LBB530_109
.LBB530_99:
                                        ; implicit-def: $vgpr52
                                        ; implicit-def: $vgpr24
                                        ; implicit-def: $vgpr2_vgpr3_vgpr4_vgpr5_vgpr6_vgpr7_vgpr8_vgpr9_vgpr10_vgpr11_vgpr12_vgpr13_vgpr14_vgpr15_vgpr16_vgpr17
	s_load_dwordx2 s[2:3], s[0:1], 0x30
	s_cbranch_execz .LBB530_109
; %bb.100:
	v_mov_b32_dpp v2, v57 row_shr:1 row_mask:0xf bank_mask:0xf
	v_cndmask_b32_e64 v2, v2, 0, s[14:15]
	v_add_u32_e32 v2, v2, v57
	s_nop 1
	v_mov_b32_dpp v3, v2 row_shr:2 row_mask:0xf bank_mask:0xf
	v_cndmask_b32_e64 v3, 0, v3, s[12:13]
	v_add_u32_e32 v2, v2, v3
	s_nop 1
	;; [unrolled: 4-line block ×4, first 2 shown]
	v_mov_b32_dpp v3, v2 row_bcast:15 row_mask:0xf bank_mask:0xf
	v_cndmask_b32_e64 v3, v3, 0, s[6:7]
	v_add_u32_e32 v2, v2, v3
	s_nop 1
	v_mov_b32_dpp v3, v2 row_bcast:31 row_mask:0xf bank_mask:0xf
	v_cndmask_b32_e64 v3, 0, v3, s[18:19]
	v_add_u32_e32 v2, v2, v3
	s_and_saveexec_b64 s[0:1], s[4:5]
	s_cbranch_execz .LBB530_102
; %bb.101:
	v_lshlrev_b32_e32 v3, 2, v56
	ds_write_b32 v3, v2
.LBB530_102:
	s_or_b64 exec, exec, s[0:1]
	v_cmp_gt_u32_e32 vcc, 8, v0
	s_waitcnt lgkmcnt(0)
	s_barrier
	s_and_saveexec_b64 s[0:1], vcc
	s_cbranch_execz .LBB530_104
; %bb.103:
	v_mad_i32_i24 v3, v0, -11, v21
	ds_read_b32 v4, v3
	v_and_b32_e32 v5, 7, v55
	v_cmp_ne_u32_e32 vcc, 0, v5
	s_waitcnt lgkmcnt(0)
	v_mov_b32_dpp v6, v4 row_shr:1 row_mask:0xf bank_mask:0xf
	v_cndmask_b32_e32 v6, 0, v6, vcc
	v_add_u32_e32 v4, v6, v4
	v_cmp_lt_u32_e32 vcc, 1, v5
	s_nop 0
	v_mov_b32_dpp v6, v4 row_shr:2 row_mask:0xf bank_mask:0xf
	v_cndmask_b32_e32 v6, 0, v6, vcc
	v_add_u32_e32 v4, v4, v6
	v_cmp_lt_u32_e32 vcc, 3, v5
	s_nop 0
	v_mov_b32_dpp v6, v4 row_shr:4 row_mask:0xf bank_mask:0xf
	v_cndmask_b32_e32 v5, 0, v6, vcc
	v_add_u32_e32 v4, v4, v5
	ds_write_b32 v3, v4
.LBB530_104:
	s_or_b64 exec, exec, s[0:1]
	v_cmp_lt_u32_e32 vcc, 63, v0
	v_mov_b32_e32 v4, 0
	v_mov_b32_e32 v3, 0
	s_waitcnt lgkmcnt(0)
	s_barrier
	s_and_saveexec_b64 s[0:1], vcc
	s_cbranch_execz .LBB530_106
; %bb.105:
	v_lshl_add_u32 v3, v56, 2, -4
	ds_read_b32 v3, v3
.LBB530_106:
	s_or_b64 exec, exec, s[0:1]
	v_add_u32_e32 v5, -1, v55
	v_and_b32_e32 v6, 64, v55
	v_cmp_lt_i32_e32 vcc, v5, v6
	s_waitcnt lgkmcnt(0)
	v_add_u32_e32 v2, v3, v2
	ds_read_b32 v24, v4 offset:28
	v_cndmask_b32_e32 v5, v5, v55, vcc
	v_lshlrev_b32_e32 v5, 2, v5
	ds_bpermute_b32 v2, v5, v2
	v_cmp_eq_u32_e32 vcc, 0, v0
	s_and_saveexec_b64 s[0:1], vcc
	s_cbranch_execz .LBB530_108
; %bb.107:
	v_mov_b32_e32 v4, 0
	v_mov_b32_e32 v25, 2
	s_waitcnt lgkmcnt(1)
	global_store_dwordx2 v4, v[24:25], s[36:37] offset:512 sc1
.LBB530_108:
	s_or_b64 exec, exec, s[0:1]
	v_cmp_eq_u32_e64 s[0:1], 0, v55
	v_mov_b32_e32 v52, 0
	s_waitcnt lgkmcnt(0)
	v_cndmask_b32_e64 v2, v2, v3, s[0:1]
	v_cndmask_b32_e64 v2, v2, 0, vcc
	v_add_u32_e32 v3, v2, v51
	v_add_u32_e32 v4, v3, v53
	;; [unrolled: 1-line block ×14, first 2 shown]
	s_barrier
.LBB530_109:
	v_add_u32_e32 v21, v24, v21
	v_sub_u32_e32 v2, v2, v52
	v_and_b32_e32 v47, 1, v18
	v_sub_u32_e32 v46, v21, v2
	v_cmp_eq_u32_e32 vcc, 1, v47
	v_lshrrev_b32_e32 v45, 8, v18
	v_lshrrev_b32_e32 v25, 8, v19
	v_cndmask_b32_e32 v2, v46, v2, vcc
	v_lshlrev_b32_e32 v2, 2, v2
	ds_write_b32 v2, v38
	v_sub_u32_e32 v2, v3, v52
	v_sub_u32_e32 v3, v21, v2
	v_and_b32_e32 v38, 1, v45
	v_add_u32_e32 v3, 1, v3
	v_cmp_eq_u32_e32 vcc, 1, v38
	v_lshrrev_b32_e32 v17, 8, v20
	s_add_u32 s0, s26, s24
	v_cndmask_b32_e32 v2, v3, v2, vcc
	v_lshlrev_b32_e32 v2, 2, v2
	ds_write_b32 v2, v39
	v_sub_u32_e32 v2, v4, v52
	v_mov_b32_e32 v4, 1
	v_sub_u32_e32 v3, v21, v2
	v_and_b32_sdwa v18, v4, v18 dst_sel:DWORD dst_unused:UNUSED_PAD src0_sel:DWORD src1_sel:WORD_1
	v_add_u32_e32 v3, 2, v3
	v_cmp_eq_u32_e32 vcc, 1, v18
	s_addc_u32 s1, s27, 0
	s_sub_u32 s0, s28, s0
	v_cndmask_b32_e32 v2, v3, v2, vcc
	v_lshlrev_b32_e32 v2, 2, v2
	ds_write_b32 v2, v36
	v_sub_u32_e32 v2, v5, v52
	v_sub_u32_e32 v3, v21, v2
	v_and_b32_e32 v5, 1, v44
	v_add_u32_e32 v3, 3, v3
	v_cmp_eq_u32_e32 vcc, 1, v5
	v_and_b32_e32 v5, 1, v19
	s_subb_u32 s1, s29, s1
	v_cndmask_b32_e32 v2, v3, v2, vcc
	v_lshlrev_b32_e32 v2, 2, v2
	ds_write_b32 v2, v37
	v_sub_u32_e32 v2, v6, v52
	v_sub_u32_e32 v3, v21, v2
	v_add_u32_e32 v3, 4, v3
	v_cmp_eq_u32_e32 vcc, 1, v5
	v_and_b32_e32 v5, 1, v25
	v_or_b32_e32 v50, 0x200, v0
	v_cndmask_b32_e32 v2, v3, v2, vcc
	v_lshlrev_b32_e32 v2, 2, v2
	ds_write_b32 v2, v34
	v_sub_u32_e32 v2, v7, v52
	v_sub_u32_e32 v3, v21, v2
	v_add_u32_e32 v3, 5, v3
	v_cmp_eq_u32_e32 vcc, 1, v5
	v_and_b32_sdwa v5, v4, v19 dst_sel:DWORD dst_unused:UNUSED_PAD src0_sel:DWORD src1_sel:WORD_1
	v_and_b32_sdwa v4, v4, v20 dst_sel:DWORD dst_unused:UNUSED_PAD src0_sel:DWORD src1_sel:WORD_1
	v_cndmask_b32_e32 v2, v3, v2, vcc
	v_lshlrev_b32_e32 v2, 2, v2
	ds_write_b32 v2, v35
	v_sub_u32_e32 v2, v8, v52
	v_sub_u32_e32 v3, v21, v2
	v_add_u32_e32 v3, 6, v3
	v_cmp_eq_u32_e32 vcc, 1, v5
	v_and_b32_e32 v5, 1, v43
	v_or_b32_e32 v46, 0x400, v0
	v_cndmask_b32_e32 v2, v3, v2, vcc
	v_lshlrev_b32_e32 v2, 2, v2
	ds_write_b32 v2, v32
	v_sub_u32_e32 v2, v9, v52
	v_sub_u32_e32 v3, v21, v2
	v_add_u32_e32 v3, 7, v3
	v_cmp_eq_u32_e32 vcc, 1, v5
	v_and_b32_e32 v5, 1, v20
	v_or_b32_e32 v44, 0x600, v0
	;; [unrolled: 9-line block ×3, first 2 shown]
	v_cndmask_b32_e32 v2, v3, v2, vcc
	v_lshlrev_b32_e32 v2, 2, v2
	ds_write_b32 v2, v30
	v_sub_u32_e32 v2, v11, v52
	v_sub_u32_e32 v3, v21, v2
	v_add_u32_e32 v3, 9, v3
	v_cmp_eq_u32_e32 vcc, 1, v5
	v_or_b32_e32 v34, 0xc00, v0
	v_or_b32_e32 v32, 0xe00, v0
	v_cndmask_b32_e32 v2, v3, v2, vcc
	v_lshlrev_b32_e32 v2, 2, v2
	ds_write_b32 v2, v31
	v_sub_u32_e32 v2, v12, v52
	v_sub_u32_e32 v3, v21, v2
	v_add_u32_e32 v3, 10, v3
	v_cmp_eq_u32_e32 vcc, 1, v4
	v_and_b32_e32 v4, 1, v41
	v_or_b32_e32 v18, 0x1400, v0
	v_cndmask_b32_e32 v2, v3, v2, vcc
	v_lshlrev_b32_e32 v2, 2, v2
	ds_write_b32 v2, v28
	v_sub_u32_e32 v2, v13, v52
	v_sub_u32_e32 v3, v21, v2
	v_add_u32_e32 v3, 11, v3
	v_cmp_eq_u32_e32 vcc, 1, v4
	v_or_b32_e32 v28, 0x1000, v0
	v_or_b32_e32 v12, 0x1800, v0
	v_cndmask_b32_e32 v2, v3, v2, vcc
	v_lshlrev_b32_e32 v2, 2, v2
	ds_write_b32 v2, v29
	v_sub_u32_e32 v2, v14, v52
	v_sub_u32_e32 v3, v21, v2
	v_add_u32_e32 v3, 12, v3
	v_cmp_eq_u32_e32 vcc, 1, v42
	v_or_b32_e32 v10, 0x1a00, v0
	;; [unrolled: 9-line block ×4, first 2 shown]
	s_nop 0
	v_cndmask_b32_e32 v2, v3, v2, vcc
	v_lshlrev_b32_e32 v2, 2, v2
	ds_write_b32 v2, v1
	s_waitcnt lgkmcnt(0)
	s_barrier
	ds_read2st64_b32 v[48:49], v22 offset1:8
	ds_read2st64_b32 v[42:43], v22 offset0:16 offset1:24
	ds_read2st64_b32 v[36:37], v22 offset0:32 offset1:40
	;; [unrolled: 1-line block ×6, first 2 shown]
	ds_read_b32 v54, v22 offset:28672
	v_mov_b32_e32 v1, 0
	v_mov_b32_e32 v53, v1
	;; [unrolled: 1-line block ×3, first 2 shown]
	v_lshl_add_u64 v[2:3], s[30:31], 0, v[52:53]
	v_lshl_add_u64 v[6:7], s[0:1], 0, v[24:25]
	v_mov_b32_e32 v51, v1
	v_mov_b32_e32 v47, v1
	;; [unrolled: 1-line block ×14, first 2 shown]
	s_andn2_b64 vcc, exec, s[34:35]
	v_lshl_add_u64 v[6:7], v[6:7], 0, v[2:3]
	s_cbranch_vccnz .LBB530_171
; %bb.110:
	v_cmp_ge_u32_e32 vcc, v0, v24
                                        ; implicit-def: $vgpr22_vgpr23
	s_and_saveexec_b64 s[0:1], vcc
	s_xor_b64 s[0:1], exec, s[0:1]
; %bb.111:
	v_not_b32_e32 v22, v0
	v_ashrrev_i32_e32 v23, 31, v22
	v_lshl_add_u64 v[22:23], v[6:7], 0, v[22:23]
; %bb.112:
	s_andn2_saveexec_b64 s[0:1], s[0:1]
; %bb.113:
	v_lshl_add_u64 v[22:23], v[2:3], 0, v[0:1]
; %bb.114:
	s_or_b64 exec, exec, s[0:1]
	v_lshl_add_u64 v[22:23], v[22:23], 2, s[2:3]
	v_cmp_ge_u32_e32 vcc, v50, v24
	s_waitcnt lgkmcnt(7)
	global_store_dword v[22:23], v48, off
                                        ; implicit-def: $vgpr22_vgpr23
	s_and_saveexec_b64 s[0:1], vcc
	s_xor_b64 s[0:1], exec, s[0:1]
; %bb.115:
	v_xor_b32_e32 v22, 0xfffffdff, v0
	v_ashrrev_i32_e32 v23, 31, v22
	v_lshl_add_u64 v[22:23], v[6:7], 0, v[22:23]
; %bb.116:
	s_andn2_saveexec_b64 s[0:1], s[0:1]
; %bb.117:
	v_lshl_add_u64 v[22:23], v[2:3], 0, v[50:51]
; %bb.118:
	s_or_b64 exec, exec, s[0:1]
	v_lshl_add_u64 v[22:23], v[22:23], 2, s[2:3]
	v_cmp_ge_u32_e32 vcc, v46, v24
	global_store_dword v[22:23], v49, off
                                        ; implicit-def: $vgpr22_vgpr23
	s_and_saveexec_b64 s[0:1], vcc
	s_xor_b64 s[0:1], exec, s[0:1]
; %bb.119:
	v_xor_b32_e32 v22, 0xfffffbff, v0
	v_ashrrev_i32_e32 v23, 31, v22
	v_lshl_add_u64 v[22:23], v[6:7], 0, v[22:23]
; %bb.120:
	s_andn2_saveexec_b64 s[0:1], s[0:1]
; %bb.121:
	v_lshl_add_u64 v[22:23], v[2:3], 0, v[46:47]
; %bb.122:
	s_or_b64 exec, exec, s[0:1]
	v_lshl_add_u64 v[22:23], v[22:23], 2, s[2:3]
	v_cmp_ge_u32_e32 vcc, v44, v24
	s_waitcnt lgkmcnt(6)
	global_store_dword v[22:23], v42, off
                                        ; implicit-def: $vgpr22_vgpr23
	s_and_saveexec_b64 s[0:1], vcc
	s_xor_b64 s[0:1], exec, s[0:1]
; %bb.123:
	v_xor_b32_e32 v22, 0xfffff9ff, v0
	v_ashrrev_i32_e32 v23, 31, v22
	v_lshl_add_u64 v[22:23], v[6:7], 0, v[22:23]
; %bb.124:
	s_andn2_saveexec_b64 s[0:1], s[0:1]
; %bb.125:
	v_lshl_add_u64 v[22:23], v[2:3], 0, v[44:45]
; %bb.126:
	s_or_b64 exec, exec, s[0:1]
	v_lshl_add_u64 v[22:23], v[22:23], 2, s[2:3]
	v_cmp_ge_u32_e32 vcc, v40, v24
	global_store_dword v[22:23], v43, off
                                        ; implicit-def: $vgpr22_vgpr23
	s_and_saveexec_b64 s[0:1], vcc
	s_xor_b64 s[0:1], exec, s[0:1]
; %bb.127:
	v_xor_b32_e32 v22, 0xfffff7ff, v0
	;; [unrolled: 33-line block ×7, first 2 shown]
	v_ashrrev_i32_e32 v23, 31, v22
	v_lshl_add_u64 v[22:23], v[6:7], 0, v[22:23]
; %bb.168:
	s_andn2_saveexec_b64 s[0:1], s[0:1]
; %bb.169:
	v_lshl_add_u64 v[22:23], v[2:3], 0, v[4:5]
; %bb.170:
	s_or_b64 exec, exec, s[0:1]
	s_mov_b64 s[0:1], -1
	s_branch .LBB530_263
.LBB530_171:
	s_mov_b64 s[0:1], 0
                                        ; implicit-def: $vgpr22_vgpr23
	s_cbranch_execz .LBB530_263
; %bb.172:
	v_cmp_gt_u32_e32 vcc, s33, v0
	s_and_saveexec_b64 s[4:5], vcc
	s_cbranch_execz .LBB530_214
; %bb.173:
	v_cmp_ge_u32_e32 vcc, v0, v24
                                        ; implicit-def: $vgpr22_vgpr23
	s_and_saveexec_b64 s[6:7], vcc
	s_xor_b64 s[6:7], exec, s[6:7]
; %bb.174:
	v_not_b32_e32 v22, v0
	v_ashrrev_i32_e32 v23, 31, v22
	v_lshl_add_u64 v[22:23], v[6:7], 0, v[22:23]
; %bb.175:
	s_andn2_saveexec_b64 s[6:7], s[6:7]
; %bb.176:
	v_lshl_add_u64 v[22:23], v[2:3], 0, v[0:1]
; %bb.177:
	s_or_b64 exec, exec, s[6:7]
	v_lshl_add_u64 v[22:23], v[22:23], 2, s[2:3]
	s_waitcnt lgkmcnt(7)
	global_store_dword v[22:23], v48, off
	s_or_b64 exec, exec, s[4:5]
	v_cmp_gt_u32_e32 vcc, s33, v50
	s_and_saveexec_b64 s[4:5], vcc
	s_cbranch_execnz .LBB530_215
.LBB530_178:
	s_or_b64 exec, exec, s[4:5]
	v_cmp_gt_u32_e32 vcc, s33, v46
	s_and_saveexec_b64 s[4:5], vcc
	s_cbranch_execz .LBB530_220
.LBB530_179:
	v_cmp_ge_u32_e32 vcc, v46, v24
                                        ; implicit-def: $vgpr22_vgpr23
	s_and_saveexec_b64 s[6:7], vcc
	s_xor_b64 s[6:7], exec, s[6:7]
; %bb.180:
	v_xor_b32_e32 v22, 0xfffffbff, v0
	v_ashrrev_i32_e32 v23, 31, v22
	v_lshl_add_u64 v[22:23], v[6:7], 0, v[22:23]
                                        ; implicit-def: $vgpr46_vgpr47
; %bb.181:
	s_andn2_saveexec_b64 s[6:7], s[6:7]
; %bb.182:
	v_lshl_add_u64 v[22:23], v[2:3], 0, v[46:47]
; %bb.183:
	s_or_b64 exec, exec, s[6:7]
	v_lshl_add_u64 v[22:23], v[22:23], 2, s[2:3]
	s_waitcnt lgkmcnt(6)
	global_store_dword v[22:23], v42, off
	s_or_b64 exec, exec, s[4:5]
	v_cmp_gt_u32_e32 vcc, s33, v44
	s_and_saveexec_b64 s[4:5], vcc
	s_cbranch_execnz .LBB530_221
.LBB530_184:
	s_or_b64 exec, exec, s[4:5]
	v_cmp_gt_u32_e32 vcc, s33, v40
	s_and_saveexec_b64 s[4:5], vcc
	s_cbranch_execz .LBB530_226
.LBB530_185:
	v_cmp_ge_u32_e32 vcc, v40, v24
                                        ; implicit-def: $vgpr22_vgpr23
	s_and_saveexec_b64 s[6:7], vcc
	s_xor_b64 s[6:7], exec, s[6:7]
; %bb.186:
	v_xor_b32_e32 v22, 0xfffff7ff, v0
	v_ashrrev_i32_e32 v23, 31, v22
	v_lshl_add_u64 v[22:23], v[6:7], 0, v[22:23]
                                        ; implicit-def: $vgpr40_vgpr41
; %bb.187:
	s_andn2_saveexec_b64 s[6:7], s[6:7]
; %bb.188:
	v_lshl_add_u64 v[22:23], v[2:3], 0, v[40:41]
; %bb.189:
	s_or_b64 exec, exec, s[6:7]
	v_lshl_add_u64 v[22:23], v[22:23], 2, s[2:3]
	s_waitcnt lgkmcnt(5)
	global_store_dword v[22:23], v36, off
	s_or_b64 exec, exec, s[4:5]
	v_cmp_gt_u32_e32 vcc, s33, v38
	s_and_saveexec_b64 s[4:5], vcc
	s_cbranch_execnz .LBB530_227
.LBB530_190:
	s_or_b64 exec, exec, s[4:5]
	v_cmp_gt_u32_e32 vcc, s33, v34
	s_and_saveexec_b64 s[4:5], vcc
	s_cbranch_execz .LBB530_232
.LBB530_191:
	v_cmp_ge_u32_e32 vcc, v34, v24
                                        ; implicit-def: $vgpr22_vgpr23
	s_and_saveexec_b64 s[6:7], vcc
	s_xor_b64 s[6:7], exec, s[6:7]
; %bb.192:
	v_xor_b32_e32 v22, 0xfffff3ff, v0
	v_ashrrev_i32_e32 v23, 31, v22
	v_lshl_add_u64 v[22:23], v[6:7], 0, v[22:23]
                                        ; implicit-def: $vgpr34_vgpr35
; %bb.193:
	s_andn2_saveexec_b64 s[6:7], s[6:7]
; %bb.194:
	v_lshl_add_u64 v[22:23], v[2:3], 0, v[34:35]
; %bb.195:
	s_or_b64 exec, exec, s[6:7]
	v_lshl_add_u64 v[22:23], v[22:23], 2, s[2:3]
	s_waitcnt lgkmcnt(4)
	global_store_dword v[22:23], v30, off
	s_or_b64 exec, exec, s[4:5]
	v_cmp_gt_u32_e32 vcc, s33, v32
	s_and_saveexec_b64 s[4:5], vcc
	s_cbranch_execnz .LBB530_233
.LBB530_196:
	s_or_b64 exec, exec, s[4:5]
	v_cmp_gt_u32_e32 vcc, s33, v28
	s_and_saveexec_b64 s[4:5], vcc
	s_cbranch_execz .LBB530_238
.LBB530_197:
	v_cmp_ge_u32_e32 vcc, v28, v24
                                        ; implicit-def: $vgpr22_vgpr23
	s_and_saveexec_b64 s[6:7], vcc
	s_xor_b64 s[6:7], exec, s[6:7]
; %bb.198:
	v_xor_b32_e32 v22, 0xffffefff, v0
	v_ashrrev_i32_e32 v23, 31, v22
	v_lshl_add_u64 v[22:23], v[6:7], 0, v[22:23]
                                        ; implicit-def: $vgpr28_vgpr29
; %bb.199:
	s_andn2_saveexec_b64 s[6:7], s[6:7]
; %bb.200:
	v_lshl_add_u64 v[22:23], v[2:3], 0, v[28:29]
; %bb.201:
	s_or_b64 exec, exec, s[6:7]
	v_lshl_add_u64 v[22:23], v[22:23], 2, s[2:3]
	s_waitcnt lgkmcnt(3)
	global_store_dword v[22:23], v20, off
	s_or_b64 exec, exec, s[4:5]
	v_cmp_gt_u32_e32 vcc, s33, v26
	s_and_saveexec_b64 s[4:5], vcc
	s_cbranch_execnz .LBB530_239
.LBB530_202:
	s_or_b64 exec, exec, s[4:5]
	v_cmp_gt_u32_e32 vcc, s33, v18
	s_and_saveexec_b64 s[4:5], vcc
	s_cbranch_execz .LBB530_244
.LBB530_203:
	v_cmp_ge_u32_e32 vcc, v18, v24
                                        ; implicit-def: $vgpr20_vgpr21
	s_and_saveexec_b64 s[6:7], vcc
	s_xor_b64 s[6:7], exec, s[6:7]
	s_cbranch_execz .LBB530_205
; %bb.204:
	v_xor_b32_e32 v18, 0xffffebff, v0
	v_ashrrev_i32_e32 v19, 31, v18
	s_waitcnt lgkmcnt(3)
	v_lshl_add_u64 v[20:21], v[6:7], 0, v[18:19]
                                        ; implicit-def: $vgpr18_vgpr19
.LBB530_205:
	s_andn2_saveexec_b64 s[6:7], s[6:7]
	s_cbranch_execz .LBB530_207
; %bb.206:
	s_waitcnt lgkmcnt(3)
	v_lshl_add_u64 v[20:21], v[2:3], 0, v[18:19]
.LBB530_207:
	s_or_b64 exec, exec, s[6:7]
	s_waitcnt lgkmcnt(3)
	v_lshl_add_u64 v[18:19], v[20:21], 2, s[2:3]
	s_waitcnt lgkmcnt(2)
	global_store_dword v[18:19], v14, off
	s_or_b64 exec, exec, s[4:5]
	v_cmp_gt_u32_e32 vcc, s33, v16
	s_and_saveexec_b64 s[4:5], vcc
	s_cbranch_execnz .LBB530_245
.LBB530_208:
	s_or_b64 exec, exec, s[4:5]
	v_cmp_gt_u32_e32 vcc, s33, v12
	s_and_saveexec_b64 s[4:5], vcc
	s_cbranch_execz .LBB530_250
.LBB530_209:
	v_cmp_ge_u32_e32 vcc, v12, v24
                                        ; implicit-def: $vgpr14_vgpr15
	s_and_saveexec_b64 s[6:7], vcc
	s_xor_b64 s[6:7], exec, s[6:7]
	s_cbranch_execz .LBB530_211
; %bb.210:
	v_xor_b32_e32 v12, 0xffffe7ff, v0
	v_ashrrev_i32_e32 v13, 31, v12
	s_waitcnt lgkmcnt(2)
	v_lshl_add_u64 v[14:15], v[6:7], 0, v[12:13]
                                        ; implicit-def: $vgpr12_vgpr13
.LBB530_211:
	s_andn2_saveexec_b64 s[6:7], s[6:7]
	s_cbranch_execz .LBB530_213
; %bb.212:
	s_waitcnt lgkmcnt(2)
	v_lshl_add_u64 v[14:15], v[2:3], 0, v[12:13]
.LBB530_213:
	s_or_b64 exec, exec, s[6:7]
	s_waitcnt lgkmcnt(2)
	v_lshl_add_u64 v[12:13], v[14:15], 2, s[2:3]
	s_waitcnt lgkmcnt(1)
	global_store_dword v[12:13], v8, off
	s_or_b64 exec, exec, s[4:5]
	v_cmp_gt_u32_e32 vcc, s33, v10
	s_and_saveexec_b64 s[4:5], vcc
	s_cbranch_execz .LBB530_256
	s_branch .LBB530_251
.LBB530_214:
	s_or_b64 exec, exec, s[4:5]
	v_cmp_gt_u32_e32 vcc, s33, v50
	s_and_saveexec_b64 s[4:5], vcc
	s_cbranch_execz .LBB530_178
.LBB530_215:
	v_cmp_ge_u32_e32 vcc, v50, v24
                                        ; implicit-def: $vgpr22_vgpr23
	s_and_saveexec_b64 s[6:7], vcc
	s_xor_b64 s[6:7], exec, s[6:7]
; %bb.216:
	v_xor_b32_e32 v22, 0xfffffdff, v0
	v_ashrrev_i32_e32 v23, 31, v22
	v_lshl_add_u64 v[22:23], v[6:7], 0, v[22:23]
                                        ; implicit-def: $vgpr50_vgpr51
; %bb.217:
	s_andn2_saveexec_b64 s[6:7], s[6:7]
; %bb.218:
	v_lshl_add_u64 v[22:23], v[2:3], 0, v[50:51]
; %bb.219:
	s_or_b64 exec, exec, s[6:7]
	v_lshl_add_u64 v[22:23], v[22:23], 2, s[2:3]
	s_waitcnt lgkmcnt(7)
	global_store_dword v[22:23], v49, off
	s_or_b64 exec, exec, s[4:5]
	v_cmp_gt_u32_e32 vcc, s33, v46
	s_and_saveexec_b64 s[4:5], vcc
	s_cbranch_execnz .LBB530_179
.LBB530_220:
	s_or_b64 exec, exec, s[4:5]
	v_cmp_gt_u32_e32 vcc, s33, v44
	s_and_saveexec_b64 s[4:5], vcc
	s_cbranch_execz .LBB530_184
.LBB530_221:
	v_cmp_ge_u32_e32 vcc, v44, v24
                                        ; implicit-def: $vgpr22_vgpr23
	s_and_saveexec_b64 s[6:7], vcc
	s_xor_b64 s[6:7], exec, s[6:7]
; %bb.222:
	v_xor_b32_e32 v22, 0xfffff9ff, v0
	v_ashrrev_i32_e32 v23, 31, v22
	v_lshl_add_u64 v[22:23], v[6:7], 0, v[22:23]
                                        ; implicit-def: $vgpr44_vgpr45
; %bb.223:
	s_andn2_saveexec_b64 s[6:7], s[6:7]
; %bb.224:
	v_lshl_add_u64 v[22:23], v[2:3], 0, v[44:45]
; %bb.225:
	s_or_b64 exec, exec, s[6:7]
	v_lshl_add_u64 v[22:23], v[22:23], 2, s[2:3]
	s_waitcnt lgkmcnt(6)
	global_store_dword v[22:23], v43, off
	s_or_b64 exec, exec, s[4:5]
	v_cmp_gt_u32_e32 vcc, s33, v40
	s_and_saveexec_b64 s[4:5], vcc
	s_cbranch_execnz .LBB530_185
.LBB530_226:
	s_or_b64 exec, exec, s[4:5]
	v_cmp_gt_u32_e32 vcc, s33, v38
	s_and_saveexec_b64 s[4:5], vcc
	s_cbranch_execz .LBB530_190
.LBB530_227:
	v_cmp_ge_u32_e32 vcc, v38, v24
                                        ; implicit-def: $vgpr22_vgpr23
	s_and_saveexec_b64 s[6:7], vcc
	s_xor_b64 s[6:7], exec, s[6:7]
; %bb.228:
	v_xor_b32_e32 v22, 0xfffff5ff, v0
	v_ashrrev_i32_e32 v23, 31, v22
	v_lshl_add_u64 v[22:23], v[6:7], 0, v[22:23]
                                        ; implicit-def: $vgpr38_vgpr39
; %bb.229:
	s_andn2_saveexec_b64 s[6:7], s[6:7]
; %bb.230:
	v_lshl_add_u64 v[22:23], v[2:3], 0, v[38:39]
; %bb.231:
	s_or_b64 exec, exec, s[6:7]
	v_lshl_add_u64 v[22:23], v[22:23], 2, s[2:3]
	s_waitcnt lgkmcnt(5)
	global_store_dword v[22:23], v37, off
	s_or_b64 exec, exec, s[4:5]
	v_cmp_gt_u32_e32 vcc, s33, v34
	s_and_saveexec_b64 s[4:5], vcc
	s_cbranch_execnz .LBB530_191
.LBB530_232:
	s_or_b64 exec, exec, s[4:5]
	v_cmp_gt_u32_e32 vcc, s33, v32
	s_and_saveexec_b64 s[4:5], vcc
	s_cbranch_execz .LBB530_196
.LBB530_233:
	v_cmp_ge_u32_e32 vcc, v32, v24
                                        ; implicit-def: $vgpr22_vgpr23
	s_and_saveexec_b64 s[6:7], vcc
	s_xor_b64 s[6:7], exec, s[6:7]
; %bb.234:
	v_xor_b32_e32 v22, 0xfffff1ff, v0
	v_ashrrev_i32_e32 v23, 31, v22
	v_lshl_add_u64 v[22:23], v[6:7], 0, v[22:23]
                                        ; implicit-def: $vgpr32_vgpr33
; %bb.235:
	s_andn2_saveexec_b64 s[6:7], s[6:7]
; %bb.236:
	v_lshl_add_u64 v[22:23], v[2:3], 0, v[32:33]
; %bb.237:
	s_or_b64 exec, exec, s[6:7]
	v_lshl_add_u64 v[22:23], v[22:23], 2, s[2:3]
	s_waitcnt lgkmcnt(4)
	global_store_dword v[22:23], v31, off
	s_or_b64 exec, exec, s[4:5]
	v_cmp_gt_u32_e32 vcc, s33, v28
	s_and_saveexec_b64 s[4:5], vcc
	s_cbranch_execnz .LBB530_197
.LBB530_238:
	s_or_b64 exec, exec, s[4:5]
	v_cmp_gt_u32_e32 vcc, s33, v26
	s_and_saveexec_b64 s[4:5], vcc
	s_cbranch_execz .LBB530_202
.LBB530_239:
	v_cmp_ge_u32_e32 vcc, v26, v24
                                        ; implicit-def: $vgpr22_vgpr23
	s_and_saveexec_b64 s[6:7], vcc
	s_xor_b64 s[6:7], exec, s[6:7]
; %bb.240:
	v_xor_b32_e32 v22, 0xffffedff, v0
	v_ashrrev_i32_e32 v23, 31, v22
	v_lshl_add_u64 v[22:23], v[6:7], 0, v[22:23]
                                        ; implicit-def: $vgpr26_vgpr27
; %bb.241:
	s_andn2_saveexec_b64 s[6:7], s[6:7]
; %bb.242:
	v_lshl_add_u64 v[22:23], v[2:3], 0, v[26:27]
; %bb.243:
	s_or_b64 exec, exec, s[6:7]
	v_lshl_add_u64 v[22:23], v[22:23], 2, s[2:3]
	s_waitcnt lgkmcnt(3)
	global_store_dword v[22:23], v21, off
	s_or_b64 exec, exec, s[4:5]
	v_cmp_gt_u32_e32 vcc, s33, v18
	s_and_saveexec_b64 s[4:5], vcc
	s_cbranch_execnz .LBB530_203
.LBB530_244:
	s_or_b64 exec, exec, s[4:5]
	v_cmp_gt_u32_e32 vcc, s33, v16
	s_and_saveexec_b64 s[4:5], vcc
	s_cbranch_execz .LBB530_208
.LBB530_245:
	v_cmp_ge_u32_e32 vcc, v16, v24
                                        ; implicit-def: $vgpr18_vgpr19
	s_and_saveexec_b64 s[6:7], vcc
	s_xor_b64 s[6:7], exec, s[6:7]
; %bb.246:
	v_xor_b32_e32 v16, 0xffffe9ff, v0
	v_ashrrev_i32_e32 v17, 31, v16
	v_lshl_add_u64 v[18:19], v[6:7], 0, v[16:17]
                                        ; implicit-def: $vgpr16_vgpr17
; %bb.247:
	s_andn2_saveexec_b64 s[6:7], s[6:7]
; %bb.248:
	v_lshl_add_u64 v[18:19], v[2:3], 0, v[16:17]
; %bb.249:
	s_or_b64 exec, exec, s[6:7]
	v_lshl_add_u64 v[16:17], v[18:19], 2, s[2:3]
	s_waitcnt lgkmcnt(2)
	global_store_dword v[16:17], v15, off
	s_or_b64 exec, exec, s[4:5]
	v_cmp_gt_u32_e32 vcc, s33, v12
	s_and_saveexec_b64 s[4:5], vcc
	s_cbranch_execnz .LBB530_209
.LBB530_250:
	s_or_b64 exec, exec, s[4:5]
	v_cmp_gt_u32_e32 vcc, s33, v10
	s_and_saveexec_b64 s[4:5], vcc
	s_cbranch_execz .LBB530_256
.LBB530_251:
	v_cmp_ge_u32_e32 vcc, v10, v24
                                        ; implicit-def: $vgpr12_vgpr13
	s_and_saveexec_b64 s[6:7], vcc
	s_xor_b64 s[6:7], exec, s[6:7]
; %bb.252:
	v_xor_b32_e32 v10, 0xffffe5ff, v0
	v_ashrrev_i32_e32 v11, 31, v10
	v_lshl_add_u64 v[12:13], v[6:7], 0, v[10:11]
                                        ; implicit-def: $vgpr10_vgpr11
; %bb.253:
	s_andn2_saveexec_b64 s[6:7], s[6:7]
; %bb.254:
	v_lshl_add_u64 v[12:13], v[2:3], 0, v[10:11]
; %bb.255:
	s_or_b64 exec, exec, s[6:7]
	v_lshl_add_u64 v[10:11], v[12:13], 2, s[2:3]
	s_waitcnt lgkmcnt(1)
	global_store_dword v[10:11], v9, off
.LBB530_256:
	s_or_b64 exec, exec, s[4:5]
	v_cmp_gt_u32_e32 vcc, s33, v4
                                        ; implicit-def: $vgpr22_vgpr23
	s_and_saveexec_b64 s[4:5], vcc
	s_cbranch_execz .LBB530_262
; %bb.257:
	v_cmp_ge_u32_e32 vcc, v4, v24
                                        ; implicit-def: $vgpr22_vgpr23
	s_and_saveexec_b64 s[6:7], vcc
	s_xor_b64 s[6:7], exec, s[6:7]
; %bb.258:
	v_xor_b32_e32 v4, 0xffffe3ff, v0
	v_ashrrev_i32_e32 v5, 31, v4
	v_lshl_add_u64 v[22:23], v[6:7], 0, v[4:5]
                                        ; implicit-def: $vgpr4_vgpr5
; %bb.259:
	s_andn2_saveexec_b64 s[6:7], s[6:7]
; %bb.260:
	v_lshl_add_u64 v[22:23], v[2:3], 0, v[4:5]
; %bb.261:
	s_or_b64 exec, exec, s[6:7]
	s_or_b64 s[0:1], s[0:1], exec
.LBB530_262:
	s_or_b64 exec, exec, s[4:5]
.LBB530_263:
	s_and_saveexec_b64 s[4:5], s[0:1]
	s_cbranch_execz .LBB530_265
; %bb.264:
	v_lshl_add_u64 v[4:5], v[22:23], 2, s[2:3]
	s_waitcnt lgkmcnt(0)
	global_store_dword v[4:5], v54, off
.LBB530_265:
	s_or_b64 exec, exec, s[4:5]
	v_cmp_eq_u32_e32 vcc, 0, v0
	s_and_b64 s[0:1], vcc, s[22:23]
	s_and_saveexec_b64 s[2:3], s[0:1]
	s_cbranch_execz .LBB530_267
; %bb.266:
	v_mov_b32_e32 v4, 0
	v_lshl_add_u64 v[0:1], v[2:3], 0, v[24:25]
	global_store_dwordx2 v4, v[0:1], s[20:21]
.LBB530_267:
	s_endpgm
	.section	.rodata,"a",@progbits
	.p2align	6, 0x0
	.amdhsa_kernel _ZN7rocprim17ROCPRIM_400000_NS6detail17trampoline_kernelINS0_14default_configENS1_25partition_config_selectorILNS1_17partition_subalgoE2EiNS0_10empty_typeEbEEZZNS1_14partition_implILS5_2ELb0ES3_jN6thrust23THRUST_200600_302600_NS6detail15normal_iteratorINSA_7pointerIiNSA_11hip_rocprim3tagENSA_11use_defaultESG_EEEEPS6_NSA_18transform_iteratorINSA_8identityIiEENSC_INSA_10device_ptrIiEEEESG_SG_EENS0_5tupleIJPiSJ_EEENSR_IJSJ_SJ_EEES6_PlJS6_EEE10hipError_tPvRmT3_T4_T5_T6_T7_T9_mT8_P12ihipStream_tbDpT10_ENKUlT_T0_E_clISt17integral_constantIbLb1EES1E_IbLb0EEEEDaS1A_S1B_EUlS1A_E_NS1_11comp_targetILNS1_3genE5ELNS1_11target_archE942ELNS1_3gpuE9ELNS1_3repE0EEENS1_30default_config_static_selectorELNS0_4arch9wavefront6targetE1EEEvT1_
		.amdhsa_group_segment_fixed_size 30728
		.amdhsa_private_segment_fixed_size 0
		.amdhsa_kernarg_size 128
		.amdhsa_user_sgpr_count 2
		.amdhsa_user_sgpr_dispatch_ptr 0
		.amdhsa_user_sgpr_queue_ptr 0
		.amdhsa_user_sgpr_kernarg_segment_ptr 1
		.amdhsa_user_sgpr_dispatch_id 0
		.amdhsa_user_sgpr_kernarg_preload_length 0
		.amdhsa_user_sgpr_kernarg_preload_offset 0
		.amdhsa_user_sgpr_private_segment_size 0
		.amdhsa_uses_dynamic_stack 0
		.amdhsa_enable_private_segment 0
		.amdhsa_system_sgpr_workgroup_id_x 1
		.amdhsa_system_sgpr_workgroup_id_y 0
		.amdhsa_system_sgpr_workgroup_id_z 0
		.amdhsa_system_sgpr_workgroup_info 0
		.amdhsa_system_vgpr_workitem_id 0
		.amdhsa_next_free_vgpr 65
		.amdhsa_next_free_sgpr 46
		.amdhsa_accum_offset 68
		.amdhsa_reserve_vcc 1
		.amdhsa_float_round_mode_32 0
		.amdhsa_float_round_mode_16_64 0
		.amdhsa_float_denorm_mode_32 3
		.amdhsa_float_denorm_mode_16_64 3
		.amdhsa_dx10_clamp 1
		.amdhsa_ieee_mode 1
		.amdhsa_fp16_overflow 0
		.amdhsa_tg_split 0
		.amdhsa_exception_fp_ieee_invalid_op 0
		.amdhsa_exception_fp_denorm_src 0
		.amdhsa_exception_fp_ieee_div_zero 0
		.amdhsa_exception_fp_ieee_overflow 0
		.amdhsa_exception_fp_ieee_underflow 0
		.amdhsa_exception_fp_ieee_inexact 0
		.amdhsa_exception_int_div_zero 0
	.end_amdhsa_kernel
	.section	.text._ZN7rocprim17ROCPRIM_400000_NS6detail17trampoline_kernelINS0_14default_configENS1_25partition_config_selectorILNS1_17partition_subalgoE2EiNS0_10empty_typeEbEEZZNS1_14partition_implILS5_2ELb0ES3_jN6thrust23THRUST_200600_302600_NS6detail15normal_iteratorINSA_7pointerIiNSA_11hip_rocprim3tagENSA_11use_defaultESG_EEEEPS6_NSA_18transform_iteratorINSA_8identityIiEENSC_INSA_10device_ptrIiEEEESG_SG_EENS0_5tupleIJPiSJ_EEENSR_IJSJ_SJ_EEES6_PlJS6_EEE10hipError_tPvRmT3_T4_T5_T6_T7_T9_mT8_P12ihipStream_tbDpT10_ENKUlT_T0_E_clISt17integral_constantIbLb1EES1E_IbLb0EEEEDaS1A_S1B_EUlS1A_E_NS1_11comp_targetILNS1_3genE5ELNS1_11target_archE942ELNS1_3gpuE9ELNS1_3repE0EEENS1_30default_config_static_selectorELNS0_4arch9wavefront6targetE1EEEvT1_,"axG",@progbits,_ZN7rocprim17ROCPRIM_400000_NS6detail17trampoline_kernelINS0_14default_configENS1_25partition_config_selectorILNS1_17partition_subalgoE2EiNS0_10empty_typeEbEEZZNS1_14partition_implILS5_2ELb0ES3_jN6thrust23THRUST_200600_302600_NS6detail15normal_iteratorINSA_7pointerIiNSA_11hip_rocprim3tagENSA_11use_defaultESG_EEEEPS6_NSA_18transform_iteratorINSA_8identityIiEENSC_INSA_10device_ptrIiEEEESG_SG_EENS0_5tupleIJPiSJ_EEENSR_IJSJ_SJ_EEES6_PlJS6_EEE10hipError_tPvRmT3_T4_T5_T6_T7_T9_mT8_P12ihipStream_tbDpT10_ENKUlT_T0_E_clISt17integral_constantIbLb1EES1E_IbLb0EEEEDaS1A_S1B_EUlS1A_E_NS1_11comp_targetILNS1_3genE5ELNS1_11target_archE942ELNS1_3gpuE9ELNS1_3repE0EEENS1_30default_config_static_selectorELNS0_4arch9wavefront6targetE1EEEvT1_,comdat
.Lfunc_end530:
	.size	_ZN7rocprim17ROCPRIM_400000_NS6detail17trampoline_kernelINS0_14default_configENS1_25partition_config_selectorILNS1_17partition_subalgoE2EiNS0_10empty_typeEbEEZZNS1_14partition_implILS5_2ELb0ES3_jN6thrust23THRUST_200600_302600_NS6detail15normal_iteratorINSA_7pointerIiNSA_11hip_rocprim3tagENSA_11use_defaultESG_EEEEPS6_NSA_18transform_iteratorINSA_8identityIiEENSC_INSA_10device_ptrIiEEEESG_SG_EENS0_5tupleIJPiSJ_EEENSR_IJSJ_SJ_EEES6_PlJS6_EEE10hipError_tPvRmT3_T4_T5_T6_T7_T9_mT8_P12ihipStream_tbDpT10_ENKUlT_T0_E_clISt17integral_constantIbLb1EES1E_IbLb0EEEEDaS1A_S1B_EUlS1A_E_NS1_11comp_targetILNS1_3genE5ELNS1_11target_archE942ELNS1_3gpuE9ELNS1_3repE0EEENS1_30default_config_static_selectorELNS0_4arch9wavefront6targetE1EEEvT1_, .Lfunc_end530-_ZN7rocprim17ROCPRIM_400000_NS6detail17trampoline_kernelINS0_14default_configENS1_25partition_config_selectorILNS1_17partition_subalgoE2EiNS0_10empty_typeEbEEZZNS1_14partition_implILS5_2ELb0ES3_jN6thrust23THRUST_200600_302600_NS6detail15normal_iteratorINSA_7pointerIiNSA_11hip_rocprim3tagENSA_11use_defaultESG_EEEEPS6_NSA_18transform_iteratorINSA_8identityIiEENSC_INSA_10device_ptrIiEEEESG_SG_EENS0_5tupleIJPiSJ_EEENSR_IJSJ_SJ_EEES6_PlJS6_EEE10hipError_tPvRmT3_T4_T5_T6_T7_T9_mT8_P12ihipStream_tbDpT10_ENKUlT_T0_E_clISt17integral_constantIbLb1EES1E_IbLb0EEEEDaS1A_S1B_EUlS1A_E_NS1_11comp_targetILNS1_3genE5ELNS1_11target_archE942ELNS1_3gpuE9ELNS1_3repE0EEENS1_30default_config_static_selectorELNS0_4arch9wavefront6targetE1EEEvT1_
                                        ; -- End function
	.section	.AMDGPU.csdata,"",@progbits
; Kernel info:
; codeLenInByte = 8884
; NumSgprs: 52
; NumVgprs: 65
; NumAgprs: 0
; TotalNumVgprs: 65
; ScratchSize: 0
; MemoryBound: 0
; FloatMode: 240
; IeeeMode: 1
; LDSByteSize: 30728 bytes/workgroup (compile time only)
; SGPRBlocks: 6
; VGPRBlocks: 8
; NumSGPRsForWavesPerEU: 52
; NumVGPRsForWavesPerEU: 65
; AccumOffset: 68
; Occupancy: 4
; WaveLimiterHint : 1
; COMPUTE_PGM_RSRC2:SCRATCH_EN: 0
; COMPUTE_PGM_RSRC2:USER_SGPR: 2
; COMPUTE_PGM_RSRC2:TRAP_HANDLER: 0
; COMPUTE_PGM_RSRC2:TGID_X_EN: 1
; COMPUTE_PGM_RSRC2:TGID_Y_EN: 0
; COMPUTE_PGM_RSRC2:TGID_Z_EN: 0
; COMPUTE_PGM_RSRC2:TIDIG_COMP_CNT: 0
; COMPUTE_PGM_RSRC3_GFX90A:ACCUM_OFFSET: 16
; COMPUTE_PGM_RSRC3_GFX90A:TG_SPLIT: 0
	.section	.text._ZN7rocprim17ROCPRIM_400000_NS6detail17trampoline_kernelINS0_14default_configENS1_25partition_config_selectorILNS1_17partition_subalgoE2EiNS0_10empty_typeEbEEZZNS1_14partition_implILS5_2ELb0ES3_jN6thrust23THRUST_200600_302600_NS6detail15normal_iteratorINSA_7pointerIiNSA_11hip_rocprim3tagENSA_11use_defaultESG_EEEEPS6_NSA_18transform_iteratorINSA_8identityIiEENSC_INSA_10device_ptrIiEEEESG_SG_EENS0_5tupleIJPiSJ_EEENSR_IJSJ_SJ_EEES6_PlJS6_EEE10hipError_tPvRmT3_T4_T5_T6_T7_T9_mT8_P12ihipStream_tbDpT10_ENKUlT_T0_E_clISt17integral_constantIbLb1EES1E_IbLb0EEEEDaS1A_S1B_EUlS1A_E_NS1_11comp_targetILNS1_3genE4ELNS1_11target_archE910ELNS1_3gpuE8ELNS1_3repE0EEENS1_30default_config_static_selectorELNS0_4arch9wavefront6targetE1EEEvT1_,"axG",@progbits,_ZN7rocprim17ROCPRIM_400000_NS6detail17trampoline_kernelINS0_14default_configENS1_25partition_config_selectorILNS1_17partition_subalgoE2EiNS0_10empty_typeEbEEZZNS1_14partition_implILS5_2ELb0ES3_jN6thrust23THRUST_200600_302600_NS6detail15normal_iteratorINSA_7pointerIiNSA_11hip_rocprim3tagENSA_11use_defaultESG_EEEEPS6_NSA_18transform_iteratorINSA_8identityIiEENSC_INSA_10device_ptrIiEEEESG_SG_EENS0_5tupleIJPiSJ_EEENSR_IJSJ_SJ_EEES6_PlJS6_EEE10hipError_tPvRmT3_T4_T5_T6_T7_T9_mT8_P12ihipStream_tbDpT10_ENKUlT_T0_E_clISt17integral_constantIbLb1EES1E_IbLb0EEEEDaS1A_S1B_EUlS1A_E_NS1_11comp_targetILNS1_3genE4ELNS1_11target_archE910ELNS1_3gpuE8ELNS1_3repE0EEENS1_30default_config_static_selectorELNS0_4arch9wavefront6targetE1EEEvT1_,comdat
	.protected	_ZN7rocprim17ROCPRIM_400000_NS6detail17trampoline_kernelINS0_14default_configENS1_25partition_config_selectorILNS1_17partition_subalgoE2EiNS0_10empty_typeEbEEZZNS1_14partition_implILS5_2ELb0ES3_jN6thrust23THRUST_200600_302600_NS6detail15normal_iteratorINSA_7pointerIiNSA_11hip_rocprim3tagENSA_11use_defaultESG_EEEEPS6_NSA_18transform_iteratorINSA_8identityIiEENSC_INSA_10device_ptrIiEEEESG_SG_EENS0_5tupleIJPiSJ_EEENSR_IJSJ_SJ_EEES6_PlJS6_EEE10hipError_tPvRmT3_T4_T5_T6_T7_T9_mT8_P12ihipStream_tbDpT10_ENKUlT_T0_E_clISt17integral_constantIbLb1EES1E_IbLb0EEEEDaS1A_S1B_EUlS1A_E_NS1_11comp_targetILNS1_3genE4ELNS1_11target_archE910ELNS1_3gpuE8ELNS1_3repE0EEENS1_30default_config_static_selectorELNS0_4arch9wavefront6targetE1EEEvT1_ ; -- Begin function _ZN7rocprim17ROCPRIM_400000_NS6detail17trampoline_kernelINS0_14default_configENS1_25partition_config_selectorILNS1_17partition_subalgoE2EiNS0_10empty_typeEbEEZZNS1_14partition_implILS5_2ELb0ES3_jN6thrust23THRUST_200600_302600_NS6detail15normal_iteratorINSA_7pointerIiNSA_11hip_rocprim3tagENSA_11use_defaultESG_EEEEPS6_NSA_18transform_iteratorINSA_8identityIiEENSC_INSA_10device_ptrIiEEEESG_SG_EENS0_5tupleIJPiSJ_EEENSR_IJSJ_SJ_EEES6_PlJS6_EEE10hipError_tPvRmT3_T4_T5_T6_T7_T9_mT8_P12ihipStream_tbDpT10_ENKUlT_T0_E_clISt17integral_constantIbLb1EES1E_IbLb0EEEEDaS1A_S1B_EUlS1A_E_NS1_11comp_targetILNS1_3genE4ELNS1_11target_archE910ELNS1_3gpuE8ELNS1_3repE0EEENS1_30default_config_static_selectorELNS0_4arch9wavefront6targetE1EEEvT1_
	.globl	_ZN7rocprim17ROCPRIM_400000_NS6detail17trampoline_kernelINS0_14default_configENS1_25partition_config_selectorILNS1_17partition_subalgoE2EiNS0_10empty_typeEbEEZZNS1_14partition_implILS5_2ELb0ES3_jN6thrust23THRUST_200600_302600_NS6detail15normal_iteratorINSA_7pointerIiNSA_11hip_rocprim3tagENSA_11use_defaultESG_EEEEPS6_NSA_18transform_iteratorINSA_8identityIiEENSC_INSA_10device_ptrIiEEEESG_SG_EENS0_5tupleIJPiSJ_EEENSR_IJSJ_SJ_EEES6_PlJS6_EEE10hipError_tPvRmT3_T4_T5_T6_T7_T9_mT8_P12ihipStream_tbDpT10_ENKUlT_T0_E_clISt17integral_constantIbLb1EES1E_IbLb0EEEEDaS1A_S1B_EUlS1A_E_NS1_11comp_targetILNS1_3genE4ELNS1_11target_archE910ELNS1_3gpuE8ELNS1_3repE0EEENS1_30default_config_static_selectorELNS0_4arch9wavefront6targetE1EEEvT1_
	.p2align	8
	.type	_ZN7rocprim17ROCPRIM_400000_NS6detail17trampoline_kernelINS0_14default_configENS1_25partition_config_selectorILNS1_17partition_subalgoE2EiNS0_10empty_typeEbEEZZNS1_14partition_implILS5_2ELb0ES3_jN6thrust23THRUST_200600_302600_NS6detail15normal_iteratorINSA_7pointerIiNSA_11hip_rocprim3tagENSA_11use_defaultESG_EEEEPS6_NSA_18transform_iteratorINSA_8identityIiEENSC_INSA_10device_ptrIiEEEESG_SG_EENS0_5tupleIJPiSJ_EEENSR_IJSJ_SJ_EEES6_PlJS6_EEE10hipError_tPvRmT3_T4_T5_T6_T7_T9_mT8_P12ihipStream_tbDpT10_ENKUlT_T0_E_clISt17integral_constantIbLb1EES1E_IbLb0EEEEDaS1A_S1B_EUlS1A_E_NS1_11comp_targetILNS1_3genE4ELNS1_11target_archE910ELNS1_3gpuE8ELNS1_3repE0EEENS1_30default_config_static_selectorELNS0_4arch9wavefront6targetE1EEEvT1_,@function
_ZN7rocprim17ROCPRIM_400000_NS6detail17trampoline_kernelINS0_14default_configENS1_25partition_config_selectorILNS1_17partition_subalgoE2EiNS0_10empty_typeEbEEZZNS1_14partition_implILS5_2ELb0ES3_jN6thrust23THRUST_200600_302600_NS6detail15normal_iteratorINSA_7pointerIiNSA_11hip_rocprim3tagENSA_11use_defaultESG_EEEEPS6_NSA_18transform_iteratorINSA_8identityIiEENSC_INSA_10device_ptrIiEEEESG_SG_EENS0_5tupleIJPiSJ_EEENSR_IJSJ_SJ_EEES6_PlJS6_EEE10hipError_tPvRmT3_T4_T5_T6_T7_T9_mT8_P12ihipStream_tbDpT10_ENKUlT_T0_E_clISt17integral_constantIbLb1EES1E_IbLb0EEEEDaS1A_S1B_EUlS1A_E_NS1_11comp_targetILNS1_3genE4ELNS1_11target_archE910ELNS1_3gpuE8ELNS1_3repE0EEENS1_30default_config_static_selectorELNS0_4arch9wavefront6targetE1EEEvT1_: ; @_ZN7rocprim17ROCPRIM_400000_NS6detail17trampoline_kernelINS0_14default_configENS1_25partition_config_selectorILNS1_17partition_subalgoE2EiNS0_10empty_typeEbEEZZNS1_14partition_implILS5_2ELb0ES3_jN6thrust23THRUST_200600_302600_NS6detail15normal_iteratorINSA_7pointerIiNSA_11hip_rocprim3tagENSA_11use_defaultESG_EEEEPS6_NSA_18transform_iteratorINSA_8identityIiEENSC_INSA_10device_ptrIiEEEESG_SG_EENS0_5tupleIJPiSJ_EEENSR_IJSJ_SJ_EEES6_PlJS6_EEE10hipError_tPvRmT3_T4_T5_T6_T7_T9_mT8_P12ihipStream_tbDpT10_ENKUlT_T0_E_clISt17integral_constantIbLb1EES1E_IbLb0EEEEDaS1A_S1B_EUlS1A_E_NS1_11comp_targetILNS1_3genE4ELNS1_11target_archE910ELNS1_3gpuE8ELNS1_3repE0EEENS1_30default_config_static_selectorELNS0_4arch9wavefront6targetE1EEEvT1_
; %bb.0:
	.section	.rodata,"a",@progbits
	.p2align	6, 0x0
	.amdhsa_kernel _ZN7rocprim17ROCPRIM_400000_NS6detail17trampoline_kernelINS0_14default_configENS1_25partition_config_selectorILNS1_17partition_subalgoE2EiNS0_10empty_typeEbEEZZNS1_14partition_implILS5_2ELb0ES3_jN6thrust23THRUST_200600_302600_NS6detail15normal_iteratorINSA_7pointerIiNSA_11hip_rocprim3tagENSA_11use_defaultESG_EEEEPS6_NSA_18transform_iteratorINSA_8identityIiEENSC_INSA_10device_ptrIiEEEESG_SG_EENS0_5tupleIJPiSJ_EEENSR_IJSJ_SJ_EEES6_PlJS6_EEE10hipError_tPvRmT3_T4_T5_T6_T7_T9_mT8_P12ihipStream_tbDpT10_ENKUlT_T0_E_clISt17integral_constantIbLb1EES1E_IbLb0EEEEDaS1A_S1B_EUlS1A_E_NS1_11comp_targetILNS1_3genE4ELNS1_11target_archE910ELNS1_3gpuE8ELNS1_3repE0EEENS1_30default_config_static_selectorELNS0_4arch9wavefront6targetE1EEEvT1_
		.amdhsa_group_segment_fixed_size 0
		.amdhsa_private_segment_fixed_size 0
		.amdhsa_kernarg_size 128
		.amdhsa_user_sgpr_count 2
		.amdhsa_user_sgpr_dispatch_ptr 0
		.amdhsa_user_sgpr_queue_ptr 0
		.amdhsa_user_sgpr_kernarg_segment_ptr 1
		.amdhsa_user_sgpr_dispatch_id 0
		.amdhsa_user_sgpr_kernarg_preload_length 0
		.amdhsa_user_sgpr_kernarg_preload_offset 0
		.amdhsa_user_sgpr_private_segment_size 0
		.amdhsa_uses_dynamic_stack 0
		.amdhsa_enable_private_segment 0
		.amdhsa_system_sgpr_workgroup_id_x 1
		.amdhsa_system_sgpr_workgroup_id_y 0
		.amdhsa_system_sgpr_workgroup_id_z 0
		.amdhsa_system_sgpr_workgroup_info 0
		.amdhsa_system_vgpr_workitem_id 0
		.amdhsa_next_free_vgpr 1
		.amdhsa_next_free_sgpr 0
		.amdhsa_accum_offset 4
		.amdhsa_reserve_vcc 0
		.amdhsa_float_round_mode_32 0
		.amdhsa_float_round_mode_16_64 0
		.amdhsa_float_denorm_mode_32 3
		.amdhsa_float_denorm_mode_16_64 3
		.amdhsa_dx10_clamp 1
		.amdhsa_ieee_mode 1
		.amdhsa_fp16_overflow 0
		.amdhsa_tg_split 0
		.amdhsa_exception_fp_ieee_invalid_op 0
		.amdhsa_exception_fp_denorm_src 0
		.amdhsa_exception_fp_ieee_div_zero 0
		.amdhsa_exception_fp_ieee_overflow 0
		.amdhsa_exception_fp_ieee_underflow 0
		.amdhsa_exception_fp_ieee_inexact 0
		.amdhsa_exception_int_div_zero 0
	.end_amdhsa_kernel
	.section	.text._ZN7rocprim17ROCPRIM_400000_NS6detail17trampoline_kernelINS0_14default_configENS1_25partition_config_selectorILNS1_17partition_subalgoE2EiNS0_10empty_typeEbEEZZNS1_14partition_implILS5_2ELb0ES3_jN6thrust23THRUST_200600_302600_NS6detail15normal_iteratorINSA_7pointerIiNSA_11hip_rocprim3tagENSA_11use_defaultESG_EEEEPS6_NSA_18transform_iteratorINSA_8identityIiEENSC_INSA_10device_ptrIiEEEESG_SG_EENS0_5tupleIJPiSJ_EEENSR_IJSJ_SJ_EEES6_PlJS6_EEE10hipError_tPvRmT3_T4_T5_T6_T7_T9_mT8_P12ihipStream_tbDpT10_ENKUlT_T0_E_clISt17integral_constantIbLb1EES1E_IbLb0EEEEDaS1A_S1B_EUlS1A_E_NS1_11comp_targetILNS1_3genE4ELNS1_11target_archE910ELNS1_3gpuE8ELNS1_3repE0EEENS1_30default_config_static_selectorELNS0_4arch9wavefront6targetE1EEEvT1_,"axG",@progbits,_ZN7rocprim17ROCPRIM_400000_NS6detail17trampoline_kernelINS0_14default_configENS1_25partition_config_selectorILNS1_17partition_subalgoE2EiNS0_10empty_typeEbEEZZNS1_14partition_implILS5_2ELb0ES3_jN6thrust23THRUST_200600_302600_NS6detail15normal_iteratorINSA_7pointerIiNSA_11hip_rocprim3tagENSA_11use_defaultESG_EEEEPS6_NSA_18transform_iteratorINSA_8identityIiEENSC_INSA_10device_ptrIiEEEESG_SG_EENS0_5tupleIJPiSJ_EEENSR_IJSJ_SJ_EEES6_PlJS6_EEE10hipError_tPvRmT3_T4_T5_T6_T7_T9_mT8_P12ihipStream_tbDpT10_ENKUlT_T0_E_clISt17integral_constantIbLb1EES1E_IbLb0EEEEDaS1A_S1B_EUlS1A_E_NS1_11comp_targetILNS1_3genE4ELNS1_11target_archE910ELNS1_3gpuE8ELNS1_3repE0EEENS1_30default_config_static_selectorELNS0_4arch9wavefront6targetE1EEEvT1_,comdat
.Lfunc_end531:
	.size	_ZN7rocprim17ROCPRIM_400000_NS6detail17trampoline_kernelINS0_14default_configENS1_25partition_config_selectorILNS1_17partition_subalgoE2EiNS0_10empty_typeEbEEZZNS1_14partition_implILS5_2ELb0ES3_jN6thrust23THRUST_200600_302600_NS6detail15normal_iteratorINSA_7pointerIiNSA_11hip_rocprim3tagENSA_11use_defaultESG_EEEEPS6_NSA_18transform_iteratorINSA_8identityIiEENSC_INSA_10device_ptrIiEEEESG_SG_EENS0_5tupleIJPiSJ_EEENSR_IJSJ_SJ_EEES6_PlJS6_EEE10hipError_tPvRmT3_T4_T5_T6_T7_T9_mT8_P12ihipStream_tbDpT10_ENKUlT_T0_E_clISt17integral_constantIbLb1EES1E_IbLb0EEEEDaS1A_S1B_EUlS1A_E_NS1_11comp_targetILNS1_3genE4ELNS1_11target_archE910ELNS1_3gpuE8ELNS1_3repE0EEENS1_30default_config_static_selectorELNS0_4arch9wavefront6targetE1EEEvT1_, .Lfunc_end531-_ZN7rocprim17ROCPRIM_400000_NS6detail17trampoline_kernelINS0_14default_configENS1_25partition_config_selectorILNS1_17partition_subalgoE2EiNS0_10empty_typeEbEEZZNS1_14partition_implILS5_2ELb0ES3_jN6thrust23THRUST_200600_302600_NS6detail15normal_iteratorINSA_7pointerIiNSA_11hip_rocprim3tagENSA_11use_defaultESG_EEEEPS6_NSA_18transform_iteratorINSA_8identityIiEENSC_INSA_10device_ptrIiEEEESG_SG_EENS0_5tupleIJPiSJ_EEENSR_IJSJ_SJ_EEES6_PlJS6_EEE10hipError_tPvRmT3_T4_T5_T6_T7_T9_mT8_P12ihipStream_tbDpT10_ENKUlT_T0_E_clISt17integral_constantIbLb1EES1E_IbLb0EEEEDaS1A_S1B_EUlS1A_E_NS1_11comp_targetILNS1_3genE4ELNS1_11target_archE910ELNS1_3gpuE8ELNS1_3repE0EEENS1_30default_config_static_selectorELNS0_4arch9wavefront6targetE1EEEvT1_
                                        ; -- End function
	.section	.AMDGPU.csdata,"",@progbits
; Kernel info:
; codeLenInByte = 0
; NumSgprs: 6
; NumVgprs: 0
; NumAgprs: 0
; TotalNumVgprs: 0
; ScratchSize: 0
; MemoryBound: 0
; FloatMode: 240
; IeeeMode: 1
; LDSByteSize: 0 bytes/workgroup (compile time only)
; SGPRBlocks: 0
; VGPRBlocks: 0
; NumSGPRsForWavesPerEU: 6
; NumVGPRsForWavesPerEU: 1
; AccumOffset: 4
; Occupancy: 8
; WaveLimiterHint : 0
; COMPUTE_PGM_RSRC2:SCRATCH_EN: 0
; COMPUTE_PGM_RSRC2:USER_SGPR: 2
; COMPUTE_PGM_RSRC2:TRAP_HANDLER: 0
; COMPUTE_PGM_RSRC2:TGID_X_EN: 1
; COMPUTE_PGM_RSRC2:TGID_Y_EN: 0
; COMPUTE_PGM_RSRC2:TGID_Z_EN: 0
; COMPUTE_PGM_RSRC2:TIDIG_COMP_CNT: 0
; COMPUTE_PGM_RSRC3_GFX90A:ACCUM_OFFSET: 0
; COMPUTE_PGM_RSRC3_GFX90A:TG_SPLIT: 0
	.section	.text._ZN7rocprim17ROCPRIM_400000_NS6detail17trampoline_kernelINS0_14default_configENS1_25partition_config_selectorILNS1_17partition_subalgoE2EiNS0_10empty_typeEbEEZZNS1_14partition_implILS5_2ELb0ES3_jN6thrust23THRUST_200600_302600_NS6detail15normal_iteratorINSA_7pointerIiNSA_11hip_rocprim3tagENSA_11use_defaultESG_EEEEPS6_NSA_18transform_iteratorINSA_8identityIiEENSC_INSA_10device_ptrIiEEEESG_SG_EENS0_5tupleIJPiSJ_EEENSR_IJSJ_SJ_EEES6_PlJS6_EEE10hipError_tPvRmT3_T4_T5_T6_T7_T9_mT8_P12ihipStream_tbDpT10_ENKUlT_T0_E_clISt17integral_constantIbLb1EES1E_IbLb0EEEEDaS1A_S1B_EUlS1A_E_NS1_11comp_targetILNS1_3genE3ELNS1_11target_archE908ELNS1_3gpuE7ELNS1_3repE0EEENS1_30default_config_static_selectorELNS0_4arch9wavefront6targetE1EEEvT1_,"axG",@progbits,_ZN7rocprim17ROCPRIM_400000_NS6detail17trampoline_kernelINS0_14default_configENS1_25partition_config_selectorILNS1_17partition_subalgoE2EiNS0_10empty_typeEbEEZZNS1_14partition_implILS5_2ELb0ES3_jN6thrust23THRUST_200600_302600_NS6detail15normal_iteratorINSA_7pointerIiNSA_11hip_rocprim3tagENSA_11use_defaultESG_EEEEPS6_NSA_18transform_iteratorINSA_8identityIiEENSC_INSA_10device_ptrIiEEEESG_SG_EENS0_5tupleIJPiSJ_EEENSR_IJSJ_SJ_EEES6_PlJS6_EEE10hipError_tPvRmT3_T4_T5_T6_T7_T9_mT8_P12ihipStream_tbDpT10_ENKUlT_T0_E_clISt17integral_constantIbLb1EES1E_IbLb0EEEEDaS1A_S1B_EUlS1A_E_NS1_11comp_targetILNS1_3genE3ELNS1_11target_archE908ELNS1_3gpuE7ELNS1_3repE0EEENS1_30default_config_static_selectorELNS0_4arch9wavefront6targetE1EEEvT1_,comdat
	.protected	_ZN7rocprim17ROCPRIM_400000_NS6detail17trampoline_kernelINS0_14default_configENS1_25partition_config_selectorILNS1_17partition_subalgoE2EiNS0_10empty_typeEbEEZZNS1_14partition_implILS5_2ELb0ES3_jN6thrust23THRUST_200600_302600_NS6detail15normal_iteratorINSA_7pointerIiNSA_11hip_rocprim3tagENSA_11use_defaultESG_EEEEPS6_NSA_18transform_iteratorINSA_8identityIiEENSC_INSA_10device_ptrIiEEEESG_SG_EENS0_5tupleIJPiSJ_EEENSR_IJSJ_SJ_EEES6_PlJS6_EEE10hipError_tPvRmT3_T4_T5_T6_T7_T9_mT8_P12ihipStream_tbDpT10_ENKUlT_T0_E_clISt17integral_constantIbLb1EES1E_IbLb0EEEEDaS1A_S1B_EUlS1A_E_NS1_11comp_targetILNS1_3genE3ELNS1_11target_archE908ELNS1_3gpuE7ELNS1_3repE0EEENS1_30default_config_static_selectorELNS0_4arch9wavefront6targetE1EEEvT1_ ; -- Begin function _ZN7rocprim17ROCPRIM_400000_NS6detail17trampoline_kernelINS0_14default_configENS1_25partition_config_selectorILNS1_17partition_subalgoE2EiNS0_10empty_typeEbEEZZNS1_14partition_implILS5_2ELb0ES3_jN6thrust23THRUST_200600_302600_NS6detail15normal_iteratorINSA_7pointerIiNSA_11hip_rocprim3tagENSA_11use_defaultESG_EEEEPS6_NSA_18transform_iteratorINSA_8identityIiEENSC_INSA_10device_ptrIiEEEESG_SG_EENS0_5tupleIJPiSJ_EEENSR_IJSJ_SJ_EEES6_PlJS6_EEE10hipError_tPvRmT3_T4_T5_T6_T7_T9_mT8_P12ihipStream_tbDpT10_ENKUlT_T0_E_clISt17integral_constantIbLb1EES1E_IbLb0EEEEDaS1A_S1B_EUlS1A_E_NS1_11comp_targetILNS1_3genE3ELNS1_11target_archE908ELNS1_3gpuE7ELNS1_3repE0EEENS1_30default_config_static_selectorELNS0_4arch9wavefront6targetE1EEEvT1_
	.globl	_ZN7rocprim17ROCPRIM_400000_NS6detail17trampoline_kernelINS0_14default_configENS1_25partition_config_selectorILNS1_17partition_subalgoE2EiNS0_10empty_typeEbEEZZNS1_14partition_implILS5_2ELb0ES3_jN6thrust23THRUST_200600_302600_NS6detail15normal_iteratorINSA_7pointerIiNSA_11hip_rocprim3tagENSA_11use_defaultESG_EEEEPS6_NSA_18transform_iteratorINSA_8identityIiEENSC_INSA_10device_ptrIiEEEESG_SG_EENS0_5tupleIJPiSJ_EEENSR_IJSJ_SJ_EEES6_PlJS6_EEE10hipError_tPvRmT3_T4_T5_T6_T7_T9_mT8_P12ihipStream_tbDpT10_ENKUlT_T0_E_clISt17integral_constantIbLb1EES1E_IbLb0EEEEDaS1A_S1B_EUlS1A_E_NS1_11comp_targetILNS1_3genE3ELNS1_11target_archE908ELNS1_3gpuE7ELNS1_3repE0EEENS1_30default_config_static_selectorELNS0_4arch9wavefront6targetE1EEEvT1_
	.p2align	8
	.type	_ZN7rocprim17ROCPRIM_400000_NS6detail17trampoline_kernelINS0_14default_configENS1_25partition_config_selectorILNS1_17partition_subalgoE2EiNS0_10empty_typeEbEEZZNS1_14partition_implILS5_2ELb0ES3_jN6thrust23THRUST_200600_302600_NS6detail15normal_iteratorINSA_7pointerIiNSA_11hip_rocprim3tagENSA_11use_defaultESG_EEEEPS6_NSA_18transform_iteratorINSA_8identityIiEENSC_INSA_10device_ptrIiEEEESG_SG_EENS0_5tupleIJPiSJ_EEENSR_IJSJ_SJ_EEES6_PlJS6_EEE10hipError_tPvRmT3_T4_T5_T6_T7_T9_mT8_P12ihipStream_tbDpT10_ENKUlT_T0_E_clISt17integral_constantIbLb1EES1E_IbLb0EEEEDaS1A_S1B_EUlS1A_E_NS1_11comp_targetILNS1_3genE3ELNS1_11target_archE908ELNS1_3gpuE7ELNS1_3repE0EEENS1_30default_config_static_selectorELNS0_4arch9wavefront6targetE1EEEvT1_,@function
_ZN7rocprim17ROCPRIM_400000_NS6detail17trampoline_kernelINS0_14default_configENS1_25partition_config_selectorILNS1_17partition_subalgoE2EiNS0_10empty_typeEbEEZZNS1_14partition_implILS5_2ELb0ES3_jN6thrust23THRUST_200600_302600_NS6detail15normal_iteratorINSA_7pointerIiNSA_11hip_rocprim3tagENSA_11use_defaultESG_EEEEPS6_NSA_18transform_iteratorINSA_8identityIiEENSC_INSA_10device_ptrIiEEEESG_SG_EENS0_5tupleIJPiSJ_EEENSR_IJSJ_SJ_EEES6_PlJS6_EEE10hipError_tPvRmT3_T4_T5_T6_T7_T9_mT8_P12ihipStream_tbDpT10_ENKUlT_T0_E_clISt17integral_constantIbLb1EES1E_IbLb0EEEEDaS1A_S1B_EUlS1A_E_NS1_11comp_targetILNS1_3genE3ELNS1_11target_archE908ELNS1_3gpuE7ELNS1_3repE0EEENS1_30default_config_static_selectorELNS0_4arch9wavefront6targetE1EEEvT1_: ; @_ZN7rocprim17ROCPRIM_400000_NS6detail17trampoline_kernelINS0_14default_configENS1_25partition_config_selectorILNS1_17partition_subalgoE2EiNS0_10empty_typeEbEEZZNS1_14partition_implILS5_2ELb0ES3_jN6thrust23THRUST_200600_302600_NS6detail15normal_iteratorINSA_7pointerIiNSA_11hip_rocprim3tagENSA_11use_defaultESG_EEEEPS6_NSA_18transform_iteratorINSA_8identityIiEENSC_INSA_10device_ptrIiEEEESG_SG_EENS0_5tupleIJPiSJ_EEENSR_IJSJ_SJ_EEES6_PlJS6_EEE10hipError_tPvRmT3_T4_T5_T6_T7_T9_mT8_P12ihipStream_tbDpT10_ENKUlT_T0_E_clISt17integral_constantIbLb1EES1E_IbLb0EEEEDaS1A_S1B_EUlS1A_E_NS1_11comp_targetILNS1_3genE3ELNS1_11target_archE908ELNS1_3gpuE7ELNS1_3repE0EEENS1_30default_config_static_selectorELNS0_4arch9wavefront6targetE1EEEvT1_
; %bb.0:
	.section	.rodata,"a",@progbits
	.p2align	6, 0x0
	.amdhsa_kernel _ZN7rocprim17ROCPRIM_400000_NS6detail17trampoline_kernelINS0_14default_configENS1_25partition_config_selectorILNS1_17partition_subalgoE2EiNS0_10empty_typeEbEEZZNS1_14partition_implILS5_2ELb0ES3_jN6thrust23THRUST_200600_302600_NS6detail15normal_iteratorINSA_7pointerIiNSA_11hip_rocprim3tagENSA_11use_defaultESG_EEEEPS6_NSA_18transform_iteratorINSA_8identityIiEENSC_INSA_10device_ptrIiEEEESG_SG_EENS0_5tupleIJPiSJ_EEENSR_IJSJ_SJ_EEES6_PlJS6_EEE10hipError_tPvRmT3_T4_T5_T6_T7_T9_mT8_P12ihipStream_tbDpT10_ENKUlT_T0_E_clISt17integral_constantIbLb1EES1E_IbLb0EEEEDaS1A_S1B_EUlS1A_E_NS1_11comp_targetILNS1_3genE3ELNS1_11target_archE908ELNS1_3gpuE7ELNS1_3repE0EEENS1_30default_config_static_selectorELNS0_4arch9wavefront6targetE1EEEvT1_
		.amdhsa_group_segment_fixed_size 0
		.amdhsa_private_segment_fixed_size 0
		.amdhsa_kernarg_size 128
		.amdhsa_user_sgpr_count 2
		.amdhsa_user_sgpr_dispatch_ptr 0
		.amdhsa_user_sgpr_queue_ptr 0
		.amdhsa_user_sgpr_kernarg_segment_ptr 1
		.amdhsa_user_sgpr_dispatch_id 0
		.amdhsa_user_sgpr_kernarg_preload_length 0
		.amdhsa_user_sgpr_kernarg_preload_offset 0
		.amdhsa_user_sgpr_private_segment_size 0
		.amdhsa_uses_dynamic_stack 0
		.amdhsa_enable_private_segment 0
		.amdhsa_system_sgpr_workgroup_id_x 1
		.amdhsa_system_sgpr_workgroup_id_y 0
		.amdhsa_system_sgpr_workgroup_id_z 0
		.amdhsa_system_sgpr_workgroup_info 0
		.amdhsa_system_vgpr_workitem_id 0
		.amdhsa_next_free_vgpr 1
		.amdhsa_next_free_sgpr 0
		.amdhsa_accum_offset 4
		.amdhsa_reserve_vcc 0
		.amdhsa_float_round_mode_32 0
		.amdhsa_float_round_mode_16_64 0
		.amdhsa_float_denorm_mode_32 3
		.amdhsa_float_denorm_mode_16_64 3
		.amdhsa_dx10_clamp 1
		.amdhsa_ieee_mode 1
		.amdhsa_fp16_overflow 0
		.amdhsa_tg_split 0
		.amdhsa_exception_fp_ieee_invalid_op 0
		.amdhsa_exception_fp_denorm_src 0
		.amdhsa_exception_fp_ieee_div_zero 0
		.amdhsa_exception_fp_ieee_overflow 0
		.amdhsa_exception_fp_ieee_underflow 0
		.amdhsa_exception_fp_ieee_inexact 0
		.amdhsa_exception_int_div_zero 0
	.end_amdhsa_kernel
	.section	.text._ZN7rocprim17ROCPRIM_400000_NS6detail17trampoline_kernelINS0_14default_configENS1_25partition_config_selectorILNS1_17partition_subalgoE2EiNS0_10empty_typeEbEEZZNS1_14partition_implILS5_2ELb0ES3_jN6thrust23THRUST_200600_302600_NS6detail15normal_iteratorINSA_7pointerIiNSA_11hip_rocprim3tagENSA_11use_defaultESG_EEEEPS6_NSA_18transform_iteratorINSA_8identityIiEENSC_INSA_10device_ptrIiEEEESG_SG_EENS0_5tupleIJPiSJ_EEENSR_IJSJ_SJ_EEES6_PlJS6_EEE10hipError_tPvRmT3_T4_T5_T6_T7_T9_mT8_P12ihipStream_tbDpT10_ENKUlT_T0_E_clISt17integral_constantIbLb1EES1E_IbLb0EEEEDaS1A_S1B_EUlS1A_E_NS1_11comp_targetILNS1_3genE3ELNS1_11target_archE908ELNS1_3gpuE7ELNS1_3repE0EEENS1_30default_config_static_selectorELNS0_4arch9wavefront6targetE1EEEvT1_,"axG",@progbits,_ZN7rocprim17ROCPRIM_400000_NS6detail17trampoline_kernelINS0_14default_configENS1_25partition_config_selectorILNS1_17partition_subalgoE2EiNS0_10empty_typeEbEEZZNS1_14partition_implILS5_2ELb0ES3_jN6thrust23THRUST_200600_302600_NS6detail15normal_iteratorINSA_7pointerIiNSA_11hip_rocprim3tagENSA_11use_defaultESG_EEEEPS6_NSA_18transform_iteratorINSA_8identityIiEENSC_INSA_10device_ptrIiEEEESG_SG_EENS0_5tupleIJPiSJ_EEENSR_IJSJ_SJ_EEES6_PlJS6_EEE10hipError_tPvRmT3_T4_T5_T6_T7_T9_mT8_P12ihipStream_tbDpT10_ENKUlT_T0_E_clISt17integral_constantIbLb1EES1E_IbLb0EEEEDaS1A_S1B_EUlS1A_E_NS1_11comp_targetILNS1_3genE3ELNS1_11target_archE908ELNS1_3gpuE7ELNS1_3repE0EEENS1_30default_config_static_selectorELNS0_4arch9wavefront6targetE1EEEvT1_,comdat
.Lfunc_end532:
	.size	_ZN7rocprim17ROCPRIM_400000_NS6detail17trampoline_kernelINS0_14default_configENS1_25partition_config_selectorILNS1_17partition_subalgoE2EiNS0_10empty_typeEbEEZZNS1_14partition_implILS5_2ELb0ES3_jN6thrust23THRUST_200600_302600_NS6detail15normal_iteratorINSA_7pointerIiNSA_11hip_rocprim3tagENSA_11use_defaultESG_EEEEPS6_NSA_18transform_iteratorINSA_8identityIiEENSC_INSA_10device_ptrIiEEEESG_SG_EENS0_5tupleIJPiSJ_EEENSR_IJSJ_SJ_EEES6_PlJS6_EEE10hipError_tPvRmT3_T4_T5_T6_T7_T9_mT8_P12ihipStream_tbDpT10_ENKUlT_T0_E_clISt17integral_constantIbLb1EES1E_IbLb0EEEEDaS1A_S1B_EUlS1A_E_NS1_11comp_targetILNS1_3genE3ELNS1_11target_archE908ELNS1_3gpuE7ELNS1_3repE0EEENS1_30default_config_static_selectorELNS0_4arch9wavefront6targetE1EEEvT1_, .Lfunc_end532-_ZN7rocprim17ROCPRIM_400000_NS6detail17trampoline_kernelINS0_14default_configENS1_25partition_config_selectorILNS1_17partition_subalgoE2EiNS0_10empty_typeEbEEZZNS1_14partition_implILS5_2ELb0ES3_jN6thrust23THRUST_200600_302600_NS6detail15normal_iteratorINSA_7pointerIiNSA_11hip_rocprim3tagENSA_11use_defaultESG_EEEEPS6_NSA_18transform_iteratorINSA_8identityIiEENSC_INSA_10device_ptrIiEEEESG_SG_EENS0_5tupleIJPiSJ_EEENSR_IJSJ_SJ_EEES6_PlJS6_EEE10hipError_tPvRmT3_T4_T5_T6_T7_T9_mT8_P12ihipStream_tbDpT10_ENKUlT_T0_E_clISt17integral_constantIbLb1EES1E_IbLb0EEEEDaS1A_S1B_EUlS1A_E_NS1_11comp_targetILNS1_3genE3ELNS1_11target_archE908ELNS1_3gpuE7ELNS1_3repE0EEENS1_30default_config_static_selectorELNS0_4arch9wavefront6targetE1EEEvT1_
                                        ; -- End function
	.section	.AMDGPU.csdata,"",@progbits
; Kernel info:
; codeLenInByte = 0
; NumSgprs: 6
; NumVgprs: 0
; NumAgprs: 0
; TotalNumVgprs: 0
; ScratchSize: 0
; MemoryBound: 0
; FloatMode: 240
; IeeeMode: 1
; LDSByteSize: 0 bytes/workgroup (compile time only)
; SGPRBlocks: 0
; VGPRBlocks: 0
; NumSGPRsForWavesPerEU: 6
; NumVGPRsForWavesPerEU: 1
; AccumOffset: 4
; Occupancy: 8
; WaveLimiterHint : 0
; COMPUTE_PGM_RSRC2:SCRATCH_EN: 0
; COMPUTE_PGM_RSRC2:USER_SGPR: 2
; COMPUTE_PGM_RSRC2:TRAP_HANDLER: 0
; COMPUTE_PGM_RSRC2:TGID_X_EN: 1
; COMPUTE_PGM_RSRC2:TGID_Y_EN: 0
; COMPUTE_PGM_RSRC2:TGID_Z_EN: 0
; COMPUTE_PGM_RSRC2:TIDIG_COMP_CNT: 0
; COMPUTE_PGM_RSRC3_GFX90A:ACCUM_OFFSET: 0
; COMPUTE_PGM_RSRC3_GFX90A:TG_SPLIT: 0
	.section	.text._ZN7rocprim17ROCPRIM_400000_NS6detail17trampoline_kernelINS0_14default_configENS1_25partition_config_selectorILNS1_17partition_subalgoE2EiNS0_10empty_typeEbEEZZNS1_14partition_implILS5_2ELb0ES3_jN6thrust23THRUST_200600_302600_NS6detail15normal_iteratorINSA_7pointerIiNSA_11hip_rocprim3tagENSA_11use_defaultESG_EEEEPS6_NSA_18transform_iteratorINSA_8identityIiEENSC_INSA_10device_ptrIiEEEESG_SG_EENS0_5tupleIJPiSJ_EEENSR_IJSJ_SJ_EEES6_PlJS6_EEE10hipError_tPvRmT3_T4_T5_T6_T7_T9_mT8_P12ihipStream_tbDpT10_ENKUlT_T0_E_clISt17integral_constantIbLb1EES1E_IbLb0EEEEDaS1A_S1B_EUlS1A_E_NS1_11comp_targetILNS1_3genE2ELNS1_11target_archE906ELNS1_3gpuE6ELNS1_3repE0EEENS1_30default_config_static_selectorELNS0_4arch9wavefront6targetE1EEEvT1_,"axG",@progbits,_ZN7rocprim17ROCPRIM_400000_NS6detail17trampoline_kernelINS0_14default_configENS1_25partition_config_selectorILNS1_17partition_subalgoE2EiNS0_10empty_typeEbEEZZNS1_14partition_implILS5_2ELb0ES3_jN6thrust23THRUST_200600_302600_NS6detail15normal_iteratorINSA_7pointerIiNSA_11hip_rocprim3tagENSA_11use_defaultESG_EEEEPS6_NSA_18transform_iteratorINSA_8identityIiEENSC_INSA_10device_ptrIiEEEESG_SG_EENS0_5tupleIJPiSJ_EEENSR_IJSJ_SJ_EEES6_PlJS6_EEE10hipError_tPvRmT3_T4_T5_T6_T7_T9_mT8_P12ihipStream_tbDpT10_ENKUlT_T0_E_clISt17integral_constantIbLb1EES1E_IbLb0EEEEDaS1A_S1B_EUlS1A_E_NS1_11comp_targetILNS1_3genE2ELNS1_11target_archE906ELNS1_3gpuE6ELNS1_3repE0EEENS1_30default_config_static_selectorELNS0_4arch9wavefront6targetE1EEEvT1_,comdat
	.protected	_ZN7rocprim17ROCPRIM_400000_NS6detail17trampoline_kernelINS0_14default_configENS1_25partition_config_selectorILNS1_17partition_subalgoE2EiNS0_10empty_typeEbEEZZNS1_14partition_implILS5_2ELb0ES3_jN6thrust23THRUST_200600_302600_NS6detail15normal_iteratorINSA_7pointerIiNSA_11hip_rocprim3tagENSA_11use_defaultESG_EEEEPS6_NSA_18transform_iteratorINSA_8identityIiEENSC_INSA_10device_ptrIiEEEESG_SG_EENS0_5tupleIJPiSJ_EEENSR_IJSJ_SJ_EEES6_PlJS6_EEE10hipError_tPvRmT3_T4_T5_T6_T7_T9_mT8_P12ihipStream_tbDpT10_ENKUlT_T0_E_clISt17integral_constantIbLb1EES1E_IbLb0EEEEDaS1A_S1B_EUlS1A_E_NS1_11comp_targetILNS1_3genE2ELNS1_11target_archE906ELNS1_3gpuE6ELNS1_3repE0EEENS1_30default_config_static_selectorELNS0_4arch9wavefront6targetE1EEEvT1_ ; -- Begin function _ZN7rocprim17ROCPRIM_400000_NS6detail17trampoline_kernelINS0_14default_configENS1_25partition_config_selectorILNS1_17partition_subalgoE2EiNS0_10empty_typeEbEEZZNS1_14partition_implILS5_2ELb0ES3_jN6thrust23THRUST_200600_302600_NS6detail15normal_iteratorINSA_7pointerIiNSA_11hip_rocprim3tagENSA_11use_defaultESG_EEEEPS6_NSA_18transform_iteratorINSA_8identityIiEENSC_INSA_10device_ptrIiEEEESG_SG_EENS0_5tupleIJPiSJ_EEENSR_IJSJ_SJ_EEES6_PlJS6_EEE10hipError_tPvRmT3_T4_T5_T6_T7_T9_mT8_P12ihipStream_tbDpT10_ENKUlT_T0_E_clISt17integral_constantIbLb1EES1E_IbLb0EEEEDaS1A_S1B_EUlS1A_E_NS1_11comp_targetILNS1_3genE2ELNS1_11target_archE906ELNS1_3gpuE6ELNS1_3repE0EEENS1_30default_config_static_selectorELNS0_4arch9wavefront6targetE1EEEvT1_
	.globl	_ZN7rocprim17ROCPRIM_400000_NS6detail17trampoline_kernelINS0_14default_configENS1_25partition_config_selectorILNS1_17partition_subalgoE2EiNS0_10empty_typeEbEEZZNS1_14partition_implILS5_2ELb0ES3_jN6thrust23THRUST_200600_302600_NS6detail15normal_iteratorINSA_7pointerIiNSA_11hip_rocprim3tagENSA_11use_defaultESG_EEEEPS6_NSA_18transform_iteratorINSA_8identityIiEENSC_INSA_10device_ptrIiEEEESG_SG_EENS0_5tupleIJPiSJ_EEENSR_IJSJ_SJ_EEES6_PlJS6_EEE10hipError_tPvRmT3_T4_T5_T6_T7_T9_mT8_P12ihipStream_tbDpT10_ENKUlT_T0_E_clISt17integral_constantIbLb1EES1E_IbLb0EEEEDaS1A_S1B_EUlS1A_E_NS1_11comp_targetILNS1_3genE2ELNS1_11target_archE906ELNS1_3gpuE6ELNS1_3repE0EEENS1_30default_config_static_selectorELNS0_4arch9wavefront6targetE1EEEvT1_
	.p2align	8
	.type	_ZN7rocprim17ROCPRIM_400000_NS6detail17trampoline_kernelINS0_14default_configENS1_25partition_config_selectorILNS1_17partition_subalgoE2EiNS0_10empty_typeEbEEZZNS1_14partition_implILS5_2ELb0ES3_jN6thrust23THRUST_200600_302600_NS6detail15normal_iteratorINSA_7pointerIiNSA_11hip_rocprim3tagENSA_11use_defaultESG_EEEEPS6_NSA_18transform_iteratorINSA_8identityIiEENSC_INSA_10device_ptrIiEEEESG_SG_EENS0_5tupleIJPiSJ_EEENSR_IJSJ_SJ_EEES6_PlJS6_EEE10hipError_tPvRmT3_T4_T5_T6_T7_T9_mT8_P12ihipStream_tbDpT10_ENKUlT_T0_E_clISt17integral_constantIbLb1EES1E_IbLb0EEEEDaS1A_S1B_EUlS1A_E_NS1_11comp_targetILNS1_3genE2ELNS1_11target_archE906ELNS1_3gpuE6ELNS1_3repE0EEENS1_30default_config_static_selectorELNS0_4arch9wavefront6targetE1EEEvT1_,@function
_ZN7rocprim17ROCPRIM_400000_NS6detail17trampoline_kernelINS0_14default_configENS1_25partition_config_selectorILNS1_17partition_subalgoE2EiNS0_10empty_typeEbEEZZNS1_14partition_implILS5_2ELb0ES3_jN6thrust23THRUST_200600_302600_NS6detail15normal_iteratorINSA_7pointerIiNSA_11hip_rocprim3tagENSA_11use_defaultESG_EEEEPS6_NSA_18transform_iteratorINSA_8identityIiEENSC_INSA_10device_ptrIiEEEESG_SG_EENS0_5tupleIJPiSJ_EEENSR_IJSJ_SJ_EEES6_PlJS6_EEE10hipError_tPvRmT3_T4_T5_T6_T7_T9_mT8_P12ihipStream_tbDpT10_ENKUlT_T0_E_clISt17integral_constantIbLb1EES1E_IbLb0EEEEDaS1A_S1B_EUlS1A_E_NS1_11comp_targetILNS1_3genE2ELNS1_11target_archE906ELNS1_3gpuE6ELNS1_3repE0EEENS1_30default_config_static_selectorELNS0_4arch9wavefront6targetE1EEEvT1_: ; @_ZN7rocprim17ROCPRIM_400000_NS6detail17trampoline_kernelINS0_14default_configENS1_25partition_config_selectorILNS1_17partition_subalgoE2EiNS0_10empty_typeEbEEZZNS1_14partition_implILS5_2ELb0ES3_jN6thrust23THRUST_200600_302600_NS6detail15normal_iteratorINSA_7pointerIiNSA_11hip_rocprim3tagENSA_11use_defaultESG_EEEEPS6_NSA_18transform_iteratorINSA_8identityIiEENSC_INSA_10device_ptrIiEEEESG_SG_EENS0_5tupleIJPiSJ_EEENSR_IJSJ_SJ_EEES6_PlJS6_EEE10hipError_tPvRmT3_T4_T5_T6_T7_T9_mT8_P12ihipStream_tbDpT10_ENKUlT_T0_E_clISt17integral_constantIbLb1EES1E_IbLb0EEEEDaS1A_S1B_EUlS1A_E_NS1_11comp_targetILNS1_3genE2ELNS1_11target_archE906ELNS1_3gpuE6ELNS1_3repE0EEENS1_30default_config_static_selectorELNS0_4arch9wavefront6targetE1EEEvT1_
; %bb.0:
	.section	.rodata,"a",@progbits
	.p2align	6, 0x0
	.amdhsa_kernel _ZN7rocprim17ROCPRIM_400000_NS6detail17trampoline_kernelINS0_14default_configENS1_25partition_config_selectorILNS1_17partition_subalgoE2EiNS0_10empty_typeEbEEZZNS1_14partition_implILS5_2ELb0ES3_jN6thrust23THRUST_200600_302600_NS6detail15normal_iteratorINSA_7pointerIiNSA_11hip_rocprim3tagENSA_11use_defaultESG_EEEEPS6_NSA_18transform_iteratorINSA_8identityIiEENSC_INSA_10device_ptrIiEEEESG_SG_EENS0_5tupleIJPiSJ_EEENSR_IJSJ_SJ_EEES6_PlJS6_EEE10hipError_tPvRmT3_T4_T5_T6_T7_T9_mT8_P12ihipStream_tbDpT10_ENKUlT_T0_E_clISt17integral_constantIbLb1EES1E_IbLb0EEEEDaS1A_S1B_EUlS1A_E_NS1_11comp_targetILNS1_3genE2ELNS1_11target_archE906ELNS1_3gpuE6ELNS1_3repE0EEENS1_30default_config_static_selectorELNS0_4arch9wavefront6targetE1EEEvT1_
		.amdhsa_group_segment_fixed_size 0
		.amdhsa_private_segment_fixed_size 0
		.amdhsa_kernarg_size 128
		.amdhsa_user_sgpr_count 2
		.amdhsa_user_sgpr_dispatch_ptr 0
		.amdhsa_user_sgpr_queue_ptr 0
		.amdhsa_user_sgpr_kernarg_segment_ptr 1
		.amdhsa_user_sgpr_dispatch_id 0
		.amdhsa_user_sgpr_kernarg_preload_length 0
		.amdhsa_user_sgpr_kernarg_preload_offset 0
		.amdhsa_user_sgpr_private_segment_size 0
		.amdhsa_uses_dynamic_stack 0
		.amdhsa_enable_private_segment 0
		.amdhsa_system_sgpr_workgroup_id_x 1
		.amdhsa_system_sgpr_workgroup_id_y 0
		.amdhsa_system_sgpr_workgroup_id_z 0
		.amdhsa_system_sgpr_workgroup_info 0
		.amdhsa_system_vgpr_workitem_id 0
		.amdhsa_next_free_vgpr 1
		.amdhsa_next_free_sgpr 0
		.amdhsa_accum_offset 4
		.amdhsa_reserve_vcc 0
		.amdhsa_float_round_mode_32 0
		.amdhsa_float_round_mode_16_64 0
		.amdhsa_float_denorm_mode_32 3
		.amdhsa_float_denorm_mode_16_64 3
		.amdhsa_dx10_clamp 1
		.amdhsa_ieee_mode 1
		.amdhsa_fp16_overflow 0
		.amdhsa_tg_split 0
		.amdhsa_exception_fp_ieee_invalid_op 0
		.amdhsa_exception_fp_denorm_src 0
		.amdhsa_exception_fp_ieee_div_zero 0
		.amdhsa_exception_fp_ieee_overflow 0
		.amdhsa_exception_fp_ieee_underflow 0
		.amdhsa_exception_fp_ieee_inexact 0
		.amdhsa_exception_int_div_zero 0
	.end_amdhsa_kernel
	.section	.text._ZN7rocprim17ROCPRIM_400000_NS6detail17trampoline_kernelINS0_14default_configENS1_25partition_config_selectorILNS1_17partition_subalgoE2EiNS0_10empty_typeEbEEZZNS1_14partition_implILS5_2ELb0ES3_jN6thrust23THRUST_200600_302600_NS6detail15normal_iteratorINSA_7pointerIiNSA_11hip_rocprim3tagENSA_11use_defaultESG_EEEEPS6_NSA_18transform_iteratorINSA_8identityIiEENSC_INSA_10device_ptrIiEEEESG_SG_EENS0_5tupleIJPiSJ_EEENSR_IJSJ_SJ_EEES6_PlJS6_EEE10hipError_tPvRmT3_T4_T5_T6_T7_T9_mT8_P12ihipStream_tbDpT10_ENKUlT_T0_E_clISt17integral_constantIbLb1EES1E_IbLb0EEEEDaS1A_S1B_EUlS1A_E_NS1_11comp_targetILNS1_3genE2ELNS1_11target_archE906ELNS1_3gpuE6ELNS1_3repE0EEENS1_30default_config_static_selectorELNS0_4arch9wavefront6targetE1EEEvT1_,"axG",@progbits,_ZN7rocprim17ROCPRIM_400000_NS6detail17trampoline_kernelINS0_14default_configENS1_25partition_config_selectorILNS1_17partition_subalgoE2EiNS0_10empty_typeEbEEZZNS1_14partition_implILS5_2ELb0ES3_jN6thrust23THRUST_200600_302600_NS6detail15normal_iteratorINSA_7pointerIiNSA_11hip_rocprim3tagENSA_11use_defaultESG_EEEEPS6_NSA_18transform_iteratorINSA_8identityIiEENSC_INSA_10device_ptrIiEEEESG_SG_EENS0_5tupleIJPiSJ_EEENSR_IJSJ_SJ_EEES6_PlJS6_EEE10hipError_tPvRmT3_T4_T5_T6_T7_T9_mT8_P12ihipStream_tbDpT10_ENKUlT_T0_E_clISt17integral_constantIbLb1EES1E_IbLb0EEEEDaS1A_S1B_EUlS1A_E_NS1_11comp_targetILNS1_3genE2ELNS1_11target_archE906ELNS1_3gpuE6ELNS1_3repE0EEENS1_30default_config_static_selectorELNS0_4arch9wavefront6targetE1EEEvT1_,comdat
.Lfunc_end533:
	.size	_ZN7rocprim17ROCPRIM_400000_NS6detail17trampoline_kernelINS0_14default_configENS1_25partition_config_selectorILNS1_17partition_subalgoE2EiNS0_10empty_typeEbEEZZNS1_14partition_implILS5_2ELb0ES3_jN6thrust23THRUST_200600_302600_NS6detail15normal_iteratorINSA_7pointerIiNSA_11hip_rocprim3tagENSA_11use_defaultESG_EEEEPS6_NSA_18transform_iteratorINSA_8identityIiEENSC_INSA_10device_ptrIiEEEESG_SG_EENS0_5tupleIJPiSJ_EEENSR_IJSJ_SJ_EEES6_PlJS6_EEE10hipError_tPvRmT3_T4_T5_T6_T7_T9_mT8_P12ihipStream_tbDpT10_ENKUlT_T0_E_clISt17integral_constantIbLb1EES1E_IbLb0EEEEDaS1A_S1B_EUlS1A_E_NS1_11comp_targetILNS1_3genE2ELNS1_11target_archE906ELNS1_3gpuE6ELNS1_3repE0EEENS1_30default_config_static_selectorELNS0_4arch9wavefront6targetE1EEEvT1_, .Lfunc_end533-_ZN7rocprim17ROCPRIM_400000_NS6detail17trampoline_kernelINS0_14default_configENS1_25partition_config_selectorILNS1_17partition_subalgoE2EiNS0_10empty_typeEbEEZZNS1_14partition_implILS5_2ELb0ES3_jN6thrust23THRUST_200600_302600_NS6detail15normal_iteratorINSA_7pointerIiNSA_11hip_rocprim3tagENSA_11use_defaultESG_EEEEPS6_NSA_18transform_iteratorINSA_8identityIiEENSC_INSA_10device_ptrIiEEEESG_SG_EENS0_5tupleIJPiSJ_EEENSR_IJSJ_SJ_EEES6_PlJS6_EEE10hipError_tPvRmT3_T4_T5_T6_T7_T9_mT8_P12ihipStream_tbDpT10_ENKUlT_T0_E_clISt17integral_constantIbLb1EES1E_IbLb0EEEEDaS1A_S1B_EUlS1A_E_NS1_11comp_targetILNS1_3genE2ELNS1_11target_archE906ELNS1_3gpuE6ELNS1_3repE0EEENS1_30default_config_static_selectorELNS0_4arch9wavefront6targetE1EEEvT1_
                                        ; -- End function
	.section	.AMDGPU.csdata,"",@progbits
; Kernel info:
; codeLenInByte = 0
; NumSgprs: 6
; NumVgprs: 0
; NumAgprs: 0
; TotalNumVgprs: 0
; ScratchSize: 0
; MemoryBound: 0
; FloatMode: 240
; IeeeMode: 1
; LDSByteSize: 0 bytes/workgroup (compile time only)
; SGPRBlocks: 0
; VGPRBlocks: 0
; NumSGPRsForWavesPerEU: 6
; NumVGPRsForWavesPerEU: 1
; AccumOffset: 4
; Occupancy: 8
; WaveLimiterHint : 0
; COMPUTE_PGM_RSRC2:SCRATCH_EN: 0
; COMPUTE_PGM_RSRC2:USER_SGPR: 2
; COMPUTE_PGM_RSRC2:TRAP_HANDLER: 0
; COMPUTE_PGM_RSRC2:TGID_X_EN: 1
; COMPUTE_PGM_RSRC2:TGID_Y_EN: 0
; COMPUTE_PGM_RSRC2:TGID_Z_EN: 0
; COMPUTE_PGM_RSRC2:TIDIG_COMP_CNT: 0
; COMPUTE_PGM_RSRC3_GFX90A:ACCUM_OFFSET: 0
; COMPUTE_PGM_RSRC3_GFX90A:TG_SPLIT: 0
	.section	.text._ZN7rocprim17ROCPRIM_400000_NS6detail17trampoline_kernelINS0_14default_configENS1_25partition_config_selectorILNS1_17partition_subalgoE2EiNS0_10empty_typeEbEEZZNS1_14partition_implILS5_2ELb0ES3_jN6thrust23THRUST_200600_302600_NS6detail15normal_iteratorINSA_7pointerIiNSA_11hip_rocprim3tagENSA_11use_defaultESG_EEEEPS6_NSA_18transform_iteratorINSA_8identityIiEENSC_INSA_10device_ptrIiEEEESG_SG_EENS0_5tupleIJPiSJ_EEENSR_IJSJ_SJ_EEES6_PlJS6_EEE10hipError_tPvRmT3_T4_T5_T6_T7_T9_mT8_P12ihipStream_tbDpT10_ENKUlT_T0_E_clISt17integral_constantIbLb1EES1E_IbLb0EEEEDaS1A_S1B_EUlS1A_E_NS1_11comp_targetILNS1_3genE10ELNS1_11target_archE1200ELNS1_3gpuE4ELNS1_3repE0EEENS1_30default_config_static_selectorELNS0_4arch9wavefront6targetE1EEEvT1_,"axG",@progbits,_ZN7rocprim17ROCPRIM_400000_NS6detail17trampoline_kernelINS0_14default_configENS1_25partition_config_selectorILNS1_17partition_subalgoE2EiNS0_10empty_typeEbEEZZNS1_14partition_implILS5_2ELb0ES3_jN6thrust23THRUST_200600_302600_NS6detail15normal_iteratorINSA_7pointerIiNSA_11hip_rocprim3tagENSA_11use_defaultESG_EEEEPS6_NSA_18transform_iteratorINSA_8identityIiEENSC_INSA_10device_ptrIiEEEESG_SG_EENS0_5tupleIJPiSJ_EEENSR_IJSJ_SJ_EEES6_PlJS6_EEE10hipError_tPvRmT3_T4_T5_T6_T7_T9_mT8_P12ihipStream_tbDpT10_ENKUlT_T0_E_clISt17integral_constantIbLb1EES1E_IbLb0EEEEDaS1A_S1B_EUlS1A_E_NS1_11comp_targetILNS1_3genE10ELNS1_11target_archE1200ELNS1_3gpuE4ELNS1_3repE0EEENS1_30default_config_static_selectorELNS0_4arch9wavefront6targetE1EEEvT1_,comdat
	.protected	_ZN7rocprim17ROCPRIM_400000_NS6detail17trampoline_kernelINS0_14default_configENS1_25partition_config_selectorILNS1_17partition_subalgoE2EiNS0_10empty_typeEbEEZZNS1_14partition_implILS5_2ELb0ES3_jN6thrust23THRUST_200600_302600_NS6detail15normal_iteratorINSA_7pointerIiNSA_11hip_rocprim3tagENSA_11use_defaultESG_EEEEPS6_NSA_18transform_iteratorINSA_8identityIiEENSC_INSA_10device_ptrIiEEEESG_SG_EENS0_5tupleIJPiSJ_EEENSR_IJSJ_SJ_EEES6_PlJS6_EEE10hipError_tPvRmT3_T4_T5_T6_T7_T9_mT8_P12ihipStream_tbDpT10_ENKUlT_T0_E_clISt17integral_constantIbLb1EES1E_IbLb0EEEEDaS1A_S1B_EUlS1A_E_NS1_11comp_targetILNS1_3genE10ELNS1_11target_archE1200ELNS1_3gpuE4ELNS1_3repE0EEENS1_30default_config_static_selectorELNS0_4arch9wavefront6targetE1EEEvT1_ ; -- Begin function _ZN7rocprim17ROCPRIM_400000_NS6detail17trampoline_kernelINS0_14default_configENS1_25partition_config_selectorILNS1_17partition_subalgoE2EiNS0_10empty_typeEbEEZZNS1_14partition_implILS5_2ELb0ES3_jN6thrust23THRUST_200600_302600_NS6detail15normal_iteratorINSA_7pointerIiNSA_11hip_rocprim3tagENSA_11use_defaultESG_EEEEPS6_NSA_18transform_iteratorINSA_8identityIiEENSC_INSA_10device_ptrIiEEEESG_SG_EENS0_5tupleIJPiSJ_EEENSR_IJSJ_SJ_EEES6_PlJS6_EEE10hipError_tPvRmT3_T4_T5_T6_T7_T9_mT8_P12ihipStream_tbDpT10_ENKUlT_T0_E_clISt17integral_constantIbLb1EES1E_IbLb0EEEEDaS1A_S1B_EUlS1A_E_NS1_11comp_targetILNS1_3genE10ELNS1_11target_archE1200ELNS1_3gpuE4ELNS1_3repE0EEENS1_30default_config_static_selectorELNS0_4arch9wavefront6targetE1EEEvT1_
	.globl	_ZN7rocprim17ROCPRIM_400000_NS6detail17trampoline_kernelINS0_14default_configENS1_25partition_config_selectorILNS1_17partition_subalgoE2EiNS0_10empty_typeEbEEZZNS1_14partition_implILS5_2ELb0ES3_jN6thrust23THRUST_200600_302600_NS6detail15normal_iteratorINSA_7pointerIiNSA_11hip_rocprim3tagENSA_11use_defaultESG_EEEEPS6_NSA_18transform_iteratorINSA_8identityIiEENSC_INSA_10device_ptrIiEEEESG_SG_EENS0_5tupleIJPiSJ_EEENSR_IJSJ_SJ_EEES6_PlJS6_EEE10hipError_tPvRmT3_T4_T5_T6_T7_T9_mT8_P12ihipStream_tbDpT10_ENKUlT_T0_E_clISt17integral_constantIbLb1EES1E_IbLb0EEEEDaS1A_S1B_EUlS1A_E_NS1_11comp_targetILNS1_3genE10ELNS1_11target_archE1200ELNS1_3gpuE4ELNS1_3repE0EEENS1_30default_config_static_selectorELNS0_4arch9wavefront6targetE1EEEvT1_
	.p2align	8
	.type	_ZN7rocprim17ROCPRIM_400000_NS6detail17trampoline_kernelINS0_14default_configENS1_25partition_config_selectorILNS1_17partition_subalgoE2EiNS0_10empty_typeEbEEZZNS1_14partition_implILS5_2ELb0ES3_jN6thrust23THRUST_200600_302600_NS6detail15normal_iteratorINSA_7pointerIiNSA_11hip_rocprim3tagENSA_11use_defaultESG_EEEEPS6_NSA_18transform_iteratorINSA_8identityIiEENSC_INSA_10device_ptrIiEEEESG_SG_EENS0_5tupleIJPiSJ_EEENSR_IJSJ_SJ_EEES6_PlJS6_EEE10hipError_tPvRmT3_T4_T5_T6_T7_T9_mT8_P12ihipStream_tbDpT10_ENKUlT_T0_E_clISt17integral_constantIbLb1EES1E_IbLb0EEEEDaS1A_S1B_EUlS1A_E_NS1_11comp_targetILNS1_3genE10ELNS1_11target_archE1200ELNS1_3gpuE4ELNS1_3repE0EEENS1_30default_config_static_selectorELNS0_4arch9wavefront6targetE1EEEvT1_,@function
_ZN7rocprim17ROCPRIM_400000_NS6detail17trampoline_kernelINS0_14default_configENS1_25partition_config_selectorILNS1_17partition_subalgoE2EiNS0_10empty_typeEbEEZZNS1_14partition_implILS5_2ELb0ES3_jN6thrust23THRUST_200600_302600_NS6detail15normal_iteratorINSA_7pointerIiNSA_11hip_rocprim3tagENSA_11use_defaultESG_EEEEPS6_NSA_18transform_iteratorINSA_8identityIiEENSC_INSA_10device_ptrIiEEEESG_SG_EENS0_5tupleIJPiSJ_EEENSR_IJSJ_SJ_EEES6_PlJS6_EEE10hipError_tPvRmT3_T4_T5_T6_T7_T9_mT8_P12ihipStream_tbDpT10_ENKUlT_T0_E_clISt17integral_constantIbLb1EES1E_IbLb0EEEEDaS1A_S1B_EUlS1A_E_NS1_11comp_targetILNS1_3genE10ELNS1_11target_archE1200ELNS1_3gpuE4ELNS1_3repE0EEENS1_30default_config_static_selectorELNS0_4arch9wavefront6targetE1EEEvT1_: ; @_ZN7rocprim17ROCPRIM_400000_NS6detail17trampoline_kernelINS0_14default_configENS1_25partition_config_selectorILNS1_17partition_subalgoE2EiNS0_10empty_typeEbEEZZNS1_14partition_implILS5_2ELb0ES3_jN6thrust23THRUST_200600_302600_NS6detail15normal_iteratorINSA_7pointerIiNSA_11hip_rocprim3tagENSA_11use_defaultESG_EEEEPS6_NSA_18transform_iteratorINSA_8identityIiEENSC_INSA_10device_ptrIiEEEESG_SG_EENS0_5tupleIJPiSJ_EEENSR_IJSJ_SJ_EEES6_PlJS6_EEE10hipError_tPvRmT3_T4_T5_T6_T7_T9_mT8_P12ihipStream_tbDpT10_ENKUlT_T0_E_clISt17integral_constantIbLb1EES1E_IbLb0EEEEDaS1A_S1B_EUlS1A_E_NS1_11comp_targetILNS1_3genE10ELNS1_11target_archE1200ELNS1_3gpuE4ELNS1_3repE0EEENS1_30default_config_static_selectorELNS0_4arch9wavefront6targetE1EEEvT1_
; %bb.0:
	.section	.rodata,"a",@progbits
	.p2align	6, 0x0
	.amdhsa_kernel _ZN7rocprim17ROCPRIM_400000_NS6detail17trampoline_kernelINS0_14default_configENS1_25partition_config_selectorILNS1_17partition_subalgoE2EiNS0_10empty_typeEbEEZZNS1_14partition_implILS5_2ELb0ES3_jN6thrust23THRUST_200600_302600_NS6detail15normal_iteratorINSA_7pointerIiNSA_11hip_rocprim3tagENSA_11use_defaultESG_EEEEPS6_NSA_18transform_iteratorINSA_8identityIiEENSC_INSA_10device_ptrIiEEEESG_SG_EENS0_5tupleIJPiSJ_EEENSR_IJSJ_SJ_EEES6_PlJS6_EEE10hipError_tPvRmT3_T4_T5_T6_T7_T9_mT8_P12ihipStream_tbDpT10_ENKUlT_T0_E_clISt17integral_constantIbLb1EES1E_IbLb0EEEEDaS1A_S1B_EUlS1A_E_NS1_11comp_targetILNS1_3genE10ELNS1_11target_archE1200ELNS1_3gpuE4ELNS1_3repE0EEENS1_30default_config_static_selectorELNS0_4arch9wavefront6targetE1EEEvT1_
		.amdhsa_group_segment_fixed_size 0
		.amdhsa_private_segment_fixed_size 0
		.amdhsa_kernarg_size 128
		.amdhsa_user_sgpr_count 2
		.amdhsa_user_sgpr_dispatch_ptr 0
		.amdhsa_user_sgpr_queue_ptr 0
		.amdhsa_user_sgpr_kernarg_segment_ptr 1
		.amdhsa_user_sgpr_dispatch_id 0
		.amdhsa_user_sgpr_kernarg_preload_length 0
		.amdhsa_user_sgpr_kernarg_preload_offset 0
		.amdhsa_user_sgpr_private_segment_size 0
		.amdhsa_uses_dynamic_stack 0
		.amdhsa_enable_private_segment 0
		.amdhsa_system_sgpr_workgroup_id_x 1
		.amdhsa_system_sgpr_workgroup_id_y 0
		.amdhsa_system_sgpr_workgroup_id_z 0
		.amdhsa_system_sgpr_workgroup_info 0
		.amdhsa_system_vgpr_workitem_id 0
		.amdhsa_next_free_vgpr 1
		.amdhsa_next_free_sgpr 0
		.amdhsa_accum_offset 4
		.amdhsa_reserve_vcc 0
		.amdhsa_float_round_mode_32 0
		.amdhsa_float_round_mode_16_64 0
		.amdhsa_float_denorm_mode_32 3
		.amdhsa_float_denorm_mode_16_64 3
		.amdhsa_dx10_clamp 1
		.amdhsa_ieee_mode 1
		.amdhsa_fp16_overflow 0
		.amdhsa_tg_split 0
		.amdhsa_exception_fp_ieee_invalid_op 0
		.amdhsa_exception_fp_denorm_src 0
		.amdhsa_exception_fp_ieee_div_zero 0
		.amdhsa_exception_fp_ieee_overflow 0
		.amdhsa_exception_fp_ieee_underflow 0
		.amdhsa_exception_fp_ieee_inexact 0
		.amdhsa_exception_int_div_zero 0
	.end_amdhsa_kernel
	.section	.text._ZN7rocprim17ROCPRIM_400000_NS6detail17trampoline_kernelINS0_14default_configENS1_25partition_config_selectorILNS1_17partition_subalgoE2EiNS0_10empty_typeEbEEZZNS1_14partition_implILS5_2ELb0ES3_jN6thrust23THRUST_200600_302600_NS6detail15normal_iteratorINSA_7pointerIiNSA_11hip_rocprim3tagENSA_11use_defaultESG_EEEEPS6_NSA_18transform_iteratorINSA_8identityIiEENSC_INSA_10device_ptrIiEEEESG_SG_EENS0_5tupleIJPiSJ_EEENSR_IJSJ_SJ_EEES6_PlJS6_EEE10hipError_tPvRmT3_T4_T5_T6_T7_T9_mT8_P12ihipStream_tbDpT10_ENKUlT_T0_E_clISt17integral_constantIbLb1EES1E_IbLb0EEEEDaS1A_S1B_EUlS1A_E_NS1_11comp_targetILNS1_3genE10ELNS1_11target_archE1200ELNS1_3gpuE4ELNS1_3repE0EEENS1_30default_config_static_selectorELNS0_4arch9wavefront6targetE1EEEvT1_,"axG",@progbits,_ZN7rocprim17ROCPRIM_400000_NS6detail17trampoline_kernelINS0_14default_configENS1_25partition_config_selectorILNS1_17partition_subalgoE2EiNS0_10empty_typeEbEEZZNS1_14partition_implILS5_2ELb0ES3_jN6thrust23THRUST_200600_302600_NS6detail15normal_iteratorINSA_7pointerIiNSA_11hip_rocprim3tagENSA_11use_defaultESG_EEEEPS6_NSA_18transform_iteratorINSA_8identityIiEENSC_INSA_10device_ptrIiEEEESG_SG_EENS0_5tupleIJPiSJ_EEENSR_IJSJ_SJ_EEES6_PlJS6_EEE10hipError_tPvRmT3_T4_T5_T6_T7_T9_mT8_P12ihipStream_tbDpT10_ENKUlT_T0_E_clISt17integral_constantIbLb1EES1E_IbLb0EEEEDaS1A_S1B_EUlS1A_E_NS1_11comp_targetILNS1_3genE10ELNS1_11target_archE1200ELNS1_3gpuE4ELNS1_3repE0EEENS1_30default_config_static_selectorELNS0_4arch9wavefront6targetE1EEEvT1_,comdat
.Lfunc_end534:
	.size	_ZN7rocprim17ROCPRIM_400000_NS6detail17trampoline_kernelINS0_14default_configENS1_25partition_config_selectorILNS1_17partition_subalgoE2EiNS0_10empty_typeEbEEZZNS1_14partition_implILS5_2ELb0ES3_jN6thrust23THRUST_200600_302600_NS6detail15normal_iteratorINSA_7pointerIiNSA_11hip_rocprim3tagENSA_11use_defaultESG_EEEEPS6_NSA_18transform_iteratorINSA_8identityIiEENSC_INSA_10device_ptrIiEEEESG_SG_EENS0_5tupleIJPiSJ_EEENSR_IJSJ_SJ_EEES6_PlJS6_EEE10hipError_tPvRmT3_T4_T5_T6_T7_T9_mT8_P12ihipStream_tbDpT10_ENKUlT_T0_E_clISt17integral_constantIbLb1EES1E_IbLb0EEEEDaS1A_S1B_EUlS1A_E_NS1_11comp_targetILNS1_3genE10ELNS1_11target_archE1200ELNS1_3gpuE4ELNS1_3repE0EEENS1_30default_config_static_selectorELNS0_4arch9wavefront6targetE1EEEvT1_, .Lfunc_end534-_ZN7rocprim17ROCPRIM_400000_NS6detail17trampoline_kernelINS0_14default_configENS1_25partition_config_selectorILNS1_17partition_subalgoE2EiNS0_10empty_typeEbEEZZNS1_14partition_implILS5_2ELb0ES3_jN6thrust23THRUST_200600_302600_NS6detail15normal_iteratorINSA_7pointerIiNSA_11hip_rocprim3tagENSA_11use_defaultESG_EEEEPS6_NSA_18transform_iteratorINSA_8identityIiEENSC_INSA_10device_ptrIiEEEESG_SG_EENS0_5tupleIJPiSJ_EEENSR_IJSJ_SJ_EEES6_PlJS6_EEE10hipError_tPvRmT3_T4_T5_T6_T7_T9_mT8_P12ihipStream_tbDpT10_ENKUlT_T0_E_clISt17integral_constantIbLb1EES1E_IbLb0EEEEDaS1A_S1B_EUlS1A_E_NS1_11comp_targetILNS1_3genE10ELNS1_11target_archE1200ELNS1_3gpuE4ELNS1_3repE0EEENS1_30default_config_static_selectorELNS0_4arch9wavefront6targetE1EEEvT1_
                                        ; -- End function
	.section	.AMDGPU.csdata,"",@progbits
; Kernel info:
; codeLenInByte = 0
; NumSgprs: 6
; NumVgprs: 0
; NumAgprs: 0
; TotalNumVgprs: 0
; ScratchSize: 0
; MemoryBound: 0
; FloatMode: 240
; IeeeMode: 1
; LDSByteSize: 0 bytes/workgroup (compile time only)
; SGPRBlocks: 0
; VGPRBlocks: 0
; NumSGPRsForWavesPerEU: 6
; NumVGPRsForWavesPerEU: 1
; AccumOffset: 4
; Occupancy: 8
; WaveLimiterHint : 0
; COMPUTE_PGM_RSRC2:SCRATCH_EN: 0
; COMPUTE_PGM_RSRC2:USER_SGPR: 2
; COMPUTE_PGM_RSRC2:TRAP_HANDLER: 0
; COMPUTE_PGM_RSRC2:TGID_X_EN: 1
; COMPUTE_PGM_RSRC2:TGID_Y_EN: 0
; COMPUTE_PGM_RSRC2:TGID_Z_EN: 0
; COMPUTE_PGM_RSRC2:TIDIG_COMP_CNT: 0
; COMPUTE_PGM_RSRC3_GFX90A:ACCUM_OFFSET: 0
; COMPUTE_PGM_RSRC3_GFX90A:TG_SPLIT: 0
	.section	.text._ZN7rocprim17ROCPRIM_400000_NS6detail17trampoline_kernelINS0_14default_configENS1_25partition_config_selectorILNS1_17partition_subalgoE2EiNS0_10empty_typeEbEEZZNS1_14partition_implILS5_2ELb0ES3_jN6thrust23THRUST_200600_302600_NS6detail15normal_iteratorINSA_7pointerIiNSA_11hip_rocprim3tagENSA_11use_defaultESG_EEEEPS6_NSA_18transform_iteratorINSA_8identityIiEENSC_INSA_10device_ptrIiEEEESG_SG_EENS0_5tupleIJPiSJ_EEENSR_IJSJ_SJ_EEES6_PlJS6_EEE10hipError_tPvRmT3_T4_T5_T6_T7_T9_mT8_P12ihipStream_tbDpT10_ENKUlT_T0_E_clISt17integral_constantIbLb1EES1E_IbLb0EEEEDaS1A_S1B_EUlS1A_E_NS1_11comp_targetILNS1_3genE9ELNS1_11target_archE1100ELNS1_3gpuE3ELNS1_3repE0EEENS1_30default_config_static_selectorELNS0_4arch9wavefront6targetE1EEEvT1_,"axG",@progbits,_ZN7rocprim17ROCPRIM_400000_NS6detail17trampoline_kernelINS0_14default_configENS1_25partition_config_selectorILNS1_17partition_subalgoE2EiNS0_10empty_typeEbEEZZNS1_14partition_implILS5_2ELb0ES3_jN6thrust23THRUST_200600_302600_NS6detail15normal_iteratorINSA_7pointerIiNSA_11hip_rocprim3tagENSA_11use_defaultESG_EEEEPS6_NSA_18transform_iteratorINSA_8identityIiEENSC_INSA_10device_ptrIiEEEESG_SG_EENS0_5tupleIJPiSJ_EEENSR_IJSJ_SJ_EEES6_PlJS6_EEE10hipError_tPvRmT3_T4_T5_T6_T7_T9_mT8_P12ihipStream_tbDpT10_ENKUlT_T0_E_clISt17integral_constantIbLb1EES1E_IbLb0EEEEDaS1A_S1B_EUlS1A_E_NS1_11comp_targetILNS1_3genE9ELNS1_11target_archE1100ELNS1_3gpuE3ELNS1_3repE0EEENS1_30default_config_static_selectorELNS0_4arch9wavefront6targetE1EEEvT1_,comdat
	.protected	_ZN7rocprim17ROCPRIM_400000_NS6detail17trampoline_kernelINS0_14default_configENS1_25partition_config_selectorILNS1_17partition_subalgoE2EiNS0_10empty_typeEbEEZZNS1_14partition_implILS5_2ELb0ES3_jN6thrust23THRUST_200600_302600_NS6detail15normal_iteratorINSA_7pointerIiNSA_11hip_rocprim3tagENSA_11use_defaultESG_EEEEPS6_NSA_18transform_iteratorINSA_8identityIiEENSC_INSA_10device_ptrIiEEEESG_SG_EENS0_5tupleIJPiSJ_EEENSR_IJSJ_SJ_EEES6_PlJS6_EEE10hipError_tPvRmT3_T4_T5_T6_T7_T9_mT8_P12ihipStream_tbDpT10_ENKUlT_T0_E_clISt17integral_constantIbLb1EES1E_IbLb0EEEEDaS1A_S1B_EUlS1A_E_NS1_11comp_targetILNS1_3genE9ELNS1_11target_archE1100ELNS1_3gpuE3ELNS1_3repE0EEENS1_30default_config_static_selectorELNS0_4arch9wavefront6targetE1EEEvT1_ ; -- Begin function _ZN7rocprim17ROCPRIM_400000_NS6detail17trampoline_kernelINS0_14default_configENS1_25partition_config_selectorILNS1_17partition_subalgoE2EiNS0_10empty_typeEbEEZZNS1_14partition_implILS5_2ELb0ES3_jN6thrust23THRUST_200600_302600_NS6detail15normal_iteratorINSA_7pointerIiNSA_11hip_rocprim3tagENSA_11use_defaultESG_EEEEPS6_NSA_18transform_iteratorINSA_8identityIiEENSC_INSA_10device_ptrIiEEEESG_SG_EENS0_5tupleIJPiSJ_EEENSR_IJSJ_SJ_EEES6_PlJS6_EEE10hipError_tPvRmT3_T4_T5_T6_T7_T9_mT8_P12ihipStream_tbDpT10_ENKUlT_T0_E_clISt17integral_constantIbLb1EES1E_IbLb0EEEEDaS1A_S1B_EUlS1A_E_NS1_11comp_targetILNS1_3genE9ELNS1_11target_archE1100ELNS1_3gpuE3ELNS1_3repE0EEENS1_30default_config_static_selectorELNS0_4arch9wavefront6targetE1EEEvT1_
	.globl	_ZN7rocprim17ROCPRIM_400000_NS6detail17trampoline_kernelINS0_14default_configENS1_25partition_config_selectorILNS1_17partition_subalgoE2EiNS0_10empty_typeEbEEZZNS1_14partition_implILS5_2ELb0ES3_jN6thrust23THRUST_200600_302600_NS6detail15normal_iteratorINSA_7pointerIiNSA_11hip_rocprim3tagENSA_11use_defaultESG_EEEEPS6_NSA_18transform_iteratorINSA_8identityIiEENSC_INSA_10device_ptrIiEEEESG_SG_EENS0_5tupleIJPiSJ_EEENSR_IJSJ_SJ_EEES6_PlJS6_EEE10hipError_tPvRmT3_T4_T5_T6_T7_T9_mT8_P12ihipStream_tbDpT10_ENKUlT_T0_E_clISt17integral_constantIbLb1EES1E_IbLb0EEEEDaS1A_S1B_EUlS1A_E_NS1_11comp_targetILNS1_3genE9ELNS1_11target_archE1100ELNS1_3gpuE3ELNS1_3repE0EEENS1_30default_config_static_selectorELNS0_4arch9wavefront6targetE1EEEvT1_
	.p2align	8
	.type	_ZN7rocprim17ROCPRIM_400000_NS6detail17trampoline_kernelINS0_14default_configENS1_25partition_config_selectorILNS1_17partition_subalgoE2EiNS0_10empty_typeEbEEZZNS1_14partition_implILS5_2ELb0ES3_jN6thrust23THRUST_200600_302600_NS6detail15normal_iteratorINSA_7pointerIiNSA_11hip_rocprim3tagENSA_11use_defaultESG_EEEEPS6_NSA_18transform_iteratorINSA_8identityIiEENSC_INSA_10device_ptrIiEEEESG_SG_EENS0_5tupleIJPiSJ_EEENSR_IJSJ_SJ_EEES6_PlJS6_EEE10hipError_tPvRmT3_T4_T5_T6_T7_T9_mT8_P12ihipStream_tbDpT10_ENKUlT_T0_E_clISt17integral_constantIbLb1EES1E_IbLb0EEEEDaS1A_S1B_EUlS1A_E_NS1_11comp_targetILNS1_3genE9ELNS1_11target_archE1100ELNS1_3gpuE3ELNS1_3repE0EEENS1_30default_config_static_selectorELNS0_4arch9wavefront6targetE1EEEvT1_,@function
_ZN7rocprim17ROCPRIM_400000_NS6detail17trampoline_kernelINS0_14default_configENS1_25partition_config_selectorILNS1_17partition_subalgoE2EiNS0_10empty_typeEbEEZZNS1_14partition_implILS5_2ELb0ES3_jN6thrust23THRUST_200600_302600_NS6detail15normal_iteratorINSA_7pointerIiNSA_11hip_rocprim3tagENSA_11use_defaultESG_EEEEPS6_NSA_18transform_iteratorINSA_8identityIiEENSC_INSA_10device_ptrIiEEEESG_SG_EENS0_5tupleIJPiSJ_EEENSR_IJSJ_SJ_EEES6_PlJS6_EEE10hipError_tPvRmT3_T4_T5_T6_T7_T9_mT8_P12ihipStream_tbDpT10_ENKUlT_T0_E_clISt17integral_constantIbLb1EES1E_IbLb0EEEEDaS1A_S1B_EUlS1A_E_NS1_11comp_targetILNS1_3genE9ELNS1_11target_archE1100ELNS1_3gpuE3ELNS1_3repE0EEENS1_30default_config_static_selectorELNS0_4arch9wavefront6targetE1EEEvT1_: ; @_ZN7rocprim17ROCPRIM_400000_NS6detail17trampoline_kernelINS0_14default_configENS1_25partition_config_selectorILNS1_17partition_subalgoE2EiNS0_10empty_typeEbEEZZNS1_14partition_implILS5_2ELb0ES3_jN6thrust23THRUST_200600_302600_NS6detail15normal_iteratorINSA_7pointerIiNSA_11hip_rocprim3tagENSA_11use_defaultESG_EEEEPS6_NSA_18transform_iteratorINSA_8identityIiEENSC_INSA_10device_ptrIiEEEESG_SG_EENS0_5tupleIJPiSJ_EEENSR_IJSJ_SJ_EEES6_PlJS6_EEE10hipError_tPvRmT3_T4_T5_T6_T7_T9_mT8_P12ihipStream_tbDpT10_ENKUlT_T0_E_clISt17integral_constantIbLb1EES1E_IbLb0EEEEDaS1A_S1B_EUlS1A_E_NS1_11comp_targetILNS1_3genE9ELNS1_11target_archE1100ELNS1_3gpuE3ELNS1_3repE0EEENS1_30default_config_static_selectorELNS0_4arch9wavefront6targetE1EEEvT1_
; %bb.0:
	.section	.rodata,"a",@progbits
	.p2align	6, 0x0
	.amdhsa_kernel _ZN7rocprim17ROCPRIM_400000_NS6detail17trampoline_kernelINS0_14default_configENS1_25partition_config_selectorILNS1_17partition_subalgoE2EiNS0_10empty_typeEbEEZZNS1_14partition_implILS5_2ELb0ES3_jN6thrust23THRUST_200600_302600_NS6detail15normal_iteratorINSA_7pointerIiNSA_11hip_rocprim3tagENSA_11use_defaultESG_EEEEPS6_NSA_18transform_iteratorINSA_8identityIiEENSC_INSA_10device_ptrIiEEEESG_SG_EENS0_5tupleIJPiSJ_EEENSR_IJSJ_SJ_EEES6_PlJS6_EEE10hipError_tPvRmT3_T4_T5_T6_T7_T9_mT8_P12ihipStream_tbDpT10_ENKUlT_T0_E_clISt17integral_constantIbLb1EES1E_IbLb0EEEEDaS1A_S1B_EUlS1A_E_NS1_11comp_targetILNS1_3genE9ELNS1_11target_archE1100ELNS1_3gpuE3ELNS1_3repE0EEENS1_30default_config_static_selectorELNS0_4arch9wavefront6targetE1EEEvT1_
		.amdhsa_group_segment_fixed_size 0
		.amdhsa_private_segment_fixed_size 0
		.amdhsa_kernarg_size 128
		.amdhsa_user_sgpr_count 2
		.amdhsa_user_sgpr_dispatch_ptr 0
		.amdhsa_user_sgpr_queue_ptr 0
		.amdhsa_user_sgpr_kernarg_segment_ptr 1
		.amdhsa_user_sgpr_dispatch_id 0
		.amdhsa_user_sgpr_kernarg_preload_length 0
		.amdhsa_user_sgpr_kernarg_preload_offset 0
		.amdhsa_user_sgpr_private_segment_size 0
		.amdhsa_uses_dynamic_stack 0
		.amdhsa_enable_private_segment 0
		.amdhsa_system_sgpr_workgroup_id_x 1
		.amdhsa_system_sgpr_workgroup_id_y 0
		.amdhsa_system_sgpr_workgroup_id_z 0
		.amdhsa_system_sgpr_workgroup_info 0
		.amdhsa_system_vgpr_workitem_id 0
		.amdhsa_next_free_vgpr 1
		.amdhsa_next_free_sgpr 0
		.amdhsa_accum_offset 4
		.amdhsa_reserve_vcc 0
		.amdhsa_float_round_mode_32 0
		.amdhsa_float_round_mode_16_64 0
		.amdhsa_float_denorm_mode_32 3
		.amdhsa_float_denorm_mode_16_64 3
		.amdhsa_dx10_clamp 1
		.amdhsa_ieee_mode 1
		.amdhsa_fp16_overflow 0
		.amdhsa_tg_split 0
		.amdhsa_exception_fp_ieee_invalid_op 0
		.amdhsa_exception_fp_denorm_src 0
		.amdhsa_exception_fp_ieee_div_zero 0
		.amdhsa_exception_fp_ieee_overflow 0
		.amdhsa_exception_fp_ieee_underflow 0
		.amdhsa_exception_fp_ieee_inexact 0
		.amdhsa_exception_int_div_zero 0
	.end_amdhsa_kernel
	.section	.text._ZN7rocprim17ROCPRIM_400000_NS6detail17trampoline_kernelINS0_14default_configENS1_25partition_config_selectorILNS1_17partition_subalgoE2EiNS0_10empty_typeEbEEZZNS1_14partition_implILS5_2ELb0ES3_jN6thrust23THRUST_200600_302600_NS6detail15normal_iteratorINSA_7pointerIiNSA_11hip_rocprim3tagENSA_11use_defaultESG_EEEEPS6_NSA_18transform_iteratorINSA_8identityIiEENSC_INSA_10device_ptrIiEEEESG_SG_EENS0_5tupleIJPiSJ_EEENSR_IJSJ_SJ_EEES6_PlJS6_EEE10hipError_tPvRmT3_T4_T5_T6_T7_T9_mT8_P12ihipStream_tbDpT10_ENKUlT_T0_E_clISt17integral_constantIbLb1EES1E_IbLb0EEEEDaS1A_S1B_EUlS1A_E_NS1_11comp_targetILNS1_3genE9ELNS1_11target_archE1100ELNS1_3gpuE3ELNS1_3repE0EEENS1_30default_config_static_selectorELNS0_4arch9wavefront6targetE1EEEvT1_,"axG",@progbits,_ZN7rocprim17ROCPRIM_400000_NS6detail17trampoline_kernelINS0_14default_configENS1_25partition_config_selectorILNS1_17partition_subalgoE2EiNS0_10empty_typeEbEEZZNS1_14partition_implILS5_2ELb0ES3_jN6thrust23THRUST_200600_302600_NS6detail15normal_iteratorINSA_7pointerIiNSA_11hip_rocprim3tagENSA_11use_defaultESG_EEEEPS6_NSA_18transform_iteratorINSA_8identityIiEENSC_INSA_10device_ptrIiEEEESG_SG_EENS0_5tupleIJPiSJ_EEENSR_IJSJ_SJ_EEES6_PlJS6_EEE10hipError_tPvRmT3_T4_T5_T6_T7_T9_mT8_P12ihipStream_tbDpT10_ENKUlT_T0_E_clISt17integral_constantIbLb1EES1E_IbLb0EEEEDaS1A_S1B_EUlS1A_E_NS1_11comp_targetILNS1_3genE9ELNS1_11target_archE1100ELNS1_3gpuE3ELNS1_3repE0EEENS1_30default_config_static_selectorELNS0_4arch9wavefront6targetE1EEEvT1_,comdat
.Lfunc_end535:
	.size	_ZN7rocprim17ROCPRIM_400000_NS6detail17trampoline_kernelINS0_14default_configENS1_25partition_config_selectorILNS1_17partition_subalgoE2EiNS0_10empty_typeEbEEZZNS1_14partition_implILS5_2ELb0ES3_jN6thrust23THRUST_200600_302600_NS6detail15normal_iteratorINSA_7pointerIiNSA_11hip_rocprim3tagENSA_11use_defaultESG_EEEEPS6_NSA_18transform_iteratorINSA_8identityIiEENSC_INSA_10device_ptrIiEEEESG_SG_EENS0_5tupleIJPiSJ_EEENSR_IJSJ_SJ_EEES6_PlJS6_EEE10hipError_tPvRmT3_T4_T5_T6_T7_T9_mT8_P12ihipStream_tbDpT10_ENKUlT_T0_E_clISt17integral_constantIbLb1EES1E_IbLb0EEEEDaS1A_S1B_EUlS1A_E_NS1_11comp_targetILNS1_3genE9ELNS1_11target_archE1100ELNS1_3gpuE3ELNS1_3repE0EEENS1_30default_config_static_selectorELNS0_4arch9wavefront6targetE1EEEvT1_, .Lfunc_end535-_ZN7rocprim17ROCPRIM_400000_NS6detail17trampoline_kernelINS0_14default_configENS1_25partition_config_selectorILNS1_17partition_subalgoE2EiNS0_10empty_typeEbEEZZNS1_14partition_implILS5_2ELb0ES3_jN6thrust23THRUST_200600_302600_NS6detail15normal_iteratorINSA_7pointerIiNSA_11hip_rocprim3tagENSA_11use_defaultESG_EEEEPS6_NSA_18transform_iteratorINSA_8identityIiEENSC_INSA_10device_ptrIiEEEESG_SG_EENS0_5tupleIJPiSJ_EEENSR_IJSJ_SJ_EEES6_PlJS6_EEE10hipError_tPvRmT3_T4_T5_T6_T7_T9_mT8_P12ihipStream_tbDpT10_ENKUlT_T0_E_clISt17integral_constantIbLb1EES1E_IbLb0EEEEDaS1A_S1B_EUlS1A_E_NS1_11comp_targetILNS1_3genE9ELNS1_11target_archE1100ELNS1_3gpuE3ELNS1_3repE0EEENS1_30default_config_static_selectorELNS0_4arch9wavefront6targetE1EEEvT1_
                                        ; -- End function
	.section	.AMDGPU.csdata,"",@progbits
; Kernel info:
; codeLenInByte = 0
; NumSgprs: 6
; NumVgprs: 0
; NumAgprs: 0
; TotalNumVgprs: 0
; ScratchSize: 0
; MemoryBound: 0
; FloatMode: 240
; IeeeMode: 1
; LDSByteSize: 0 bytes/workgroup (compile time only)
; SGPRBlocks: 0
; VGPRBlocks: 0
; NumSGPRsForWavesPerEU: 6
; NumVGPRsForWavesPerEU: 1
; AccumOffset: 4
; Occupancy: 8
; WaveLimiterHint : 0
; COMPUTE_PGM_RSRC2:SCRATCH_EN: 0
; COMPUTE_PGM_RSRC2:USER_SGPR: 2
; COMPUTE_PGM_RSRC2:TRAP_HANDLER: 0
; COMPUTE_PGM_RSRC2:TGID_X_EN: 1
; COMPUTE_PGM_RSRC2:TGID_Y_EN: 0
; COMPUTE_PGM_RSRC2:TGID_Z_EN: 0
; COMPUTE_PGM_RSRC2:TIDIG_COMP_CNT: 0
; COMPUTE_PGM_RSRC3_GFX90A:ACCUM_OFFSET: 0
; COMPUTE_PGM_RSRC3_GFX90A:TG_SPLIT: 0
	.section	.text._ZN7rocprim17ROCPRIM_400000_NS6detail17trampoline_kernelINS0_14default_configENS1_25partition_config_selectorILNS1_17partition_subalgoE2EiNS0_10empty_typeEbEEZZNS1_14partition_implILS5_2ELb0ES3_jN6thrust23THRUST_200600_302600_NS6detail15normal_iteratorINSA_7pointerIiNSA_11hip_rocprim3tagENSA_11use_defaultESG_EEEEPS6_NSA_18transform_iteratorINSA_8identityIiEENSC_INSA_10device_ptrIiEEEESG_SG_EENS0_5tupleIJPiSJ_EEENSR_IJSJ_SJ_EEES6_PlJS6_EEE10hipError_tPvRmT3_T4_T5_T6_T7_T9_mT8_P12ihipStream_tbDpT10_ENKUlT_T0_E_clISt17integral_constantIbLb1EES1E_IbLb0EEEEDaS1A_S1B_EUlS1A_E_NS1_11comp_targetILNS1_3genE8ELNS1_11target_archE1030ELNS1_3gpuE2ELNS1_3repE0EEENS1_30default_config_static_selectorELNS0_4arch9wavefront6targetE1EEEvT1_,"axG",@progbits,_ZN7rocprim17ROCPRIM_400000_NS6detail17trampoline_kernelINS0_14default_configENS1_25partition_config_selectorILNS1_17partition_subalgoE2EiNS0_10empty_typeEbEEZZNS1_14partition_implILS5_2ELb0ES3_jN6thrust23THRUST_200600_302600_NS6detail15normal_iteratorINSA_7pointerIiNSA_11hip_rocprim3tagENSA_11use_defaultESG_EEEEPS6_NSA_18transform_iteratorINSA_8identityIiEENSC_INSA_10device_ptrIiEEEESG_SG_EENS0_5tupleIJPiSJ_EEENSR_IJSJ_SJ_EEES6_PlJS6_EEE10hipError_tPvRmT3_T4_T5_T6_T7_T9_mT8_P12ihipStream_tbDpT10_ENKUlT_T0_E_clISt17integral_constantIbLb1EES1E_IbLb0EEEEDaS1A_S1B_EUlS1A_E_NS1_11comp_targetILNS1_3genE8ELNS1_11target_archE1030ELNS1_3gpuE2ELNS1_3repE0EEENS1_30default_config_static_selectorELNS0_4arch9wavefront6targetE1EEEvT1_,comdat
	.protected	_ZN7rocprim17ROCPRIM_400000_NS6detail17trampoline_kernelINS0_14default_configENS1_25partition_config_selectorILNS1_17partition_subalgoE2EiNS0_10empty_typeEbEEZZNS1_14partition_implILS5_2ELb0ES3_jN6thrust23THRUST_200600_302600_NS6detail15normal_iteratorINSA_7pointerIiNSA_11hip_rocprim3tagENSA_11use_defaultESG_EEEEPS6_NSA_18transform_iteratorINSA_8identityIiEENSC_INSA_10device_ptrIiEEEESG_SG_EENS0_5tupleIJPiSJ_EEENSR_IJSJ_SJ_EEES6_PlJS6_EEE10hipError_tPvRmT3_T4_T5_T6_T7_T9_mT8_P12ihipStream_tbDpT10_ENKUlT_T0_E_clISt17integral_constantIbLb1EES1E_IbLb0EEEEDaS1A_S1B_EUlS1A_E_NS1_11comp_targetILNS1_3genE8ELNS1_11target_archE1030ELNS1_3gpuE2ELNS1_3repE0EEENS1_30default_config_static_selectorELNS0_4arch9wavefront6targetE1EEEvT1_ ; -- Begin function _ZN7rocprim17ROCPRIM_400000_NS6detail17trampoline_kernelINS0_14default_configENS1_25partition_config_selectorILNS1_17partition_subalgoE2EiNS0_10empty_typeEbEEZZNS1_14partition_implILS5_2ELb0ES3_jN6thrust23THRUST_200600_302600_NS6detail15normal_iteratorINSA_7pointerIiNSA_11hip_rocprim3tagENSA_11use_defaultESG_EEEEPS6_NSA_18transform_iteratorINSA_8identityIiEENSC_INSA_10device_ptrIiEEEESG_SG_EENS0_5tupleIJPiSJ_EEENSR_IJSJ_SJ_EEES6_PlJS6_EEE10hipError_tPvRmT3_T4_T5_T6_T7_T9_mT8_P12ihipStream_tbDpT10_ENKUlT_T0_E_clISt17integral_constantIbLb1EES1E_IbLb0EEEEDaS1A_S1B_EUlS1A_E_NS1_11comp_targetILNS1_3genE8ELNS1_11target_archE1030ELNS1_3gpuE2ELNS1_3repE0EEENS1_30default_config_static_selectorELNS0_4arch9wavefront6targetE1EEEvT1_
	.globl	_ZN7rocprim17ROCPRIM_400000_NS6detail17trampoline_kernelINS0_14default_configENS1_25partition_config_selectorILNS1_17partition_subalgoE2EiNS0_10empty_typeEbEEZZNS1_14partition_implILS5_2ELb0ES3_jN6thrust23THRUST_200600_302600_NS6detail15normal_iteratorINSA_7pointerIiNSA_11hip_rocprim3tagENSA_11use_defaultESG_EEEEPS6_NSA_18transform_iteratorINSA_8identityIiEENSC_INSA_10device_ptrIiEEEESG_SG_EENS0_5tupleIJPiSJ_EEENSR_IJSJ_SJ_EEES6_PlJS6_EEE10hipError_tPvRmT3_T4_T5_T6_T7_T9_mT8_P12ihipStream_tbDpT10_ENKUlT_T0_E_clISt17integral_constantIbLb1EES1E_IbLb0EEEEDaS1A_S1B_EUlS1A_E_NS1_11comp_targetILNS1_3genE8ELNS1_11target_archE1030ELNS1_3gpuE2ELNS1_3repE0EEENS1_30default_config_static_selectorELNS0_4arch9wavefront6targetE1EEEvT1_
	.p2align	8
	.type	_ZN7rocprim17ROCPRIM_400000_NS6detail17trampoline_kernelINS0_14default_configENS1_25partition_config_selectorILNS1_17partition_subalgoE2EiNS0_10empty_typeEbEEZZNS1_14partition_implILS5_2ELb0ES3_jN6thrust23THRUST_200600_302600_NS6detail15normal_iteratorINSA_7pointerIiNSA_11hip_rocprim3tagENSA_11use_defaultESG_EEEEPS6_NSA_18transform_iteratorINSA_8identityIiEENSC_INSA_10device_ptrIiEEEESG_SG_EENS0_5tupleIJPiSJ_EEENSR_IJSJ_SJ_EEES6_PlJS6_EEE10hipError_tPvRmT3_T4_T5_T6_T7_T9_mT8_P12ihipStream_tbDpT10_ENKUlT_T0_E_clISt17integral_constantIbLb1EES1E_IbLb0EEEEDaS1A_S1B_EUlS1A_E_NS1_11comp_targetILNS1_3genE8ELNS1_11target_archE1030ELNS1_3gpuE2ELNS1_3repE0EEENS1_30default_config_static_selectorELNS0_4arch9wavefront6targetE1EEEvT1_,@function
_ZN7rocprim17ROCPRIM_400000_NS6detail17trampoline_kernelINS0_14default_configENS1_25partition_config_selectorILNS1_17partition_subalgoE2EiNS0_10empty_typeEbEEZZNS1_14partition_implILS5_2ELb0ES3_jN6thrust23THRUST_200600_302600_NS6detail15normal_iteratorINSA_7pointerIiNSA_11hip_rocprim3tagENSA_11use_defaultESG_EEEEPS6_NSA_18transform_iteratorINSA_8identityIiEENSC_INSA_10device_ptrIiEEEESG_SG_EENS0_5tupleIJPiSJ_EEENSR_IJSJ_SJ_EEES6_PlJS6_EEE10hipError_tPvRmT3_T4_T5_T6_T7_T9_mT8_P12ihipStream_tbDpT10_ENKUlT_T0_E_clISt17integral_constantIbLb1EES1E_IbLb0EEEEDaS1A_S1B_EUlS1A_E_NS1_11comp_targetILNS1_3genE8ELNS1_11target_archE1030ELNS1_3gpuE2ELNS1_3repE0EEENS1_30default_config_static_selectorELNS0_4arch9wavefront6targetE1EEEvT1_: ; @_ZN7rocprim17ROCPRIM_400000_NS6detail17trampoline_kernelINS0_14default_configENS1_25partition_config_selectorILNS1_17partition_subalgoE2EiNS0_10empty_typeEbEEZZNS1_14partition_implILS5_2ELb0ES3_jN6thrust23THRUST_200600_302600_NS6detail15normal_iteratorINSA_7pointerIiNSA_11hip_rocprim3tagENSA_11use_defaultESG_EEEEPS6_NSA_18transform_iteratorINSA_8identityIiEENSC_INSA_10device_ptrIiEEEESG_SG_EENS0_5tupleIJPiSJ_EEENSR_IJSJ_SJ_EEES6_PlJS6_EEE10hipError_tPvRmT3_T4_T5_T6_T7_T9_mT8_P12ihipStream_tbDpT10_ENKUlT_T0_E_clISt17integral_constantIbLb1EES1E_IbLb0EEEEDaS1A_S1B_EUlS1A_E_NS1_11comp_targetILNS1_3genE8ELNS1_11target_archE1030ELNS1_3gpuE2ELNS1_3repE0EEENS1_30default_config_static_selectorELNS0_4arch9wavefront6targetE1EEEvT1_
; %bb.0:
	.section	.rodata,"a",@progbits
	.p2align	6, 0x0
	.amdhsa_kernel _ZN7rocprim17ROCPRIM_400000_NS6detail17trampoline_kernelINS0_14default_configENS1_25partition_config_selectorILNS1_17partition_subalgoE2EiNS0_10empty_typeEbEEZZNS1_14partition_implILS5_2ELb0ES3_jN6thrust23THRUST_200600_302600_NS6detail15normal_iteratorINSA_7pointerIiNSA_11hip_rocprim3tagENSA_11use_defaultESG_EEEEPS6_NSA_18transform_iteratorINSA_8identityIiEENSC_INSA_10device_ptrIiEEEESG_SG_EENS0_5tupleIJPiSJ_EEENSR_IJSJ_SJ_EEES6_PlJS6_EEE10hipError_tPvRmT3_T4_T5_T6_T7_T9_mT8_P12ihipStream_tbDpT10_ENKUlT_T0_E_clISt17integral_constantIbLb1EES1E_IbLb0EEEEDaS1A_S1B_EUlS1A_E_NS1_11comp_targetILNS1_3genE8ELNS1_11target_archE1030ELNS1_3gpuE2ELNS1_3repE0EEENS1_30default_config_static_selectorELNS0_4arch9wavefront6targetE1EEEvT1_
		.amdhsa_group_segment_fixed_size 0
		.amdhsa_private_segment_fixed_size 0
		.amdhsa_kernarg_size 128
		.amdhsa_user_sgpr_count 2
		.amdhsa_user_sgpr_dispatch_ptr 0
		.amdhsa_user_sgpr_queue_ptr 0
		.amdhsa_user_sgpr_kernarg_segment_ptr 1
		.amdhsa_user_sgpr_dispatch_id 0
		.amdhsa_user_sgpr_kernarg_preload_length 0
		.amdhsa_user_sgpr_kernarg_preload_offset 0
		.amdhsa_user_sgpr_private_segment_size 0
		.amdhsa_uses_dynamic_stack 0
		.amdhsa_enable_private_segment 0
		.amdhsa_system_sgpr_workgroup_id_x 1
		.amdhsa_system_sgpr_workgroup_id_y 0
		.amdhsa_system_sgpr_workgroup_id_z 0
		.amdhsa_system_sgpr_workgroup_info 0
		.amdhsa_system_vgpr_workitem_id 0
		.amdhsa_next_free_vgpr 1
		.amdhsa_next_free_sgpr 0
		.amdhsa_accum_offset 4
		.amdhsa_reserve_vcc 0
		.amdhsa_float_round_mode_32 0
		.amdhsa_float_round_mode_16_64 0
		.amdhsa_float_denorm_mode_32 3
		.amdhsa_float_denorm_mode_16_64 3
		.amdhsa_dx10_clamp 1
		.amdhsa_ieee_mode 1
		.amdhsa_fp16_overflow 0
		.amdhsa_tg_split 0
		.amdhsa_exception_fp_ieee_invalid_op 0
		.amdhsa_exception_fp_denorm_src 0
		.amdhsa_exception_fp_ieee_div_zero 0
		.amdhsa_exception_fp_ieee_overflow 0
		.amdhsa_exception_fp_ieee_underflow 0
		.amdhsa_exception_fp_ieee_inexact 0
		.amdhsa_exception_int_div_zero 0
	.end_amdhsa_kernel
	.section	.text._ZN7rocprim17ROCPRIM_400000_NS6detail17trampoline_kernelINS0_14default_configENS1_25partition_config_selectorILNS1_17partition_subalgoE2EiNS0_10empty_typeEbEEZZNS1_14partition_implILS5_2ELb0ES3_jN6thrust23THRUST_200600_302600_NS6detail15normal_iteratorINSA_7pointerIiNSA_11hip_rocprim3tagENSA_11use_defaultESG_EEEEPS6_NSA_18transform_iteratorINSA_8identityIiEENSC_INSA_10device_ptrIiEEEESG_SG_EENS0_5tupleIJPiSJ_EEENSR_IJSJ_SJ_EEES6_PlJS6_EEE10hipError_tPvRmT3_T4_T5_T6_T7_T9_mT8_P12ihipStream_tbDpT10_ENKUlT_T0_E_clISt17integral_constantIbLb1EES1E_IbLb0EEEEDaS1A_S1B_EUlS1A_E_NS1_11comp_targetILNS1_3genE8ELNS1_11target_archE1030ELNS1_3gpuE2ELNS1_3repE0EEENS1_30default_config_static_selectorELNS0_4arch9wavefront6targetE1EEEvT1_,"axG",@progbits,_ZN7rocprim17ROCPRIM_400000_NS6detail17trampoline_kernelINS0_14default_configENS1_25partition_config_selectorILNS1_17partition_subalgoE2EiNS0_10empty_typeEbEEZZNS1_14partition_implILS5_2ELb0ES3_jN6thrust23THRUST_200600_302600_NS6detail15normal_iteratorINSA_7pointerIiNSA_11hip_rocprim3tagENSA_11use_defaultESG_EEEEPS6_NSA_18transform_iteratorINSA_8identityIiEENSC_INSA_10device_ptrIiEEEESG_SG_EENS0_5tupleIJPiSJ_EEENSR_IJSJ_SJ_EEES6_PlJS6_EEE10hipError_tPvRmT3_T4_T5_T6_T7_T9_mT8_P12ihipStream_tbDpT10_ENKUlT_T0_E_clISt17integral_constantIbLb1EES1E_IbLb0EEEEDaS1A_S1B_EUlS1A_E_NS1_11comp_targetILNS1_3genE8ELNS1_11target_archE1030ELNS1_3gpuE2ELNS1_3repE0EEENS1_30default_config_static_selectorELNS0_4arch9wavefront6targetE1EEEvT1_,comdat
.Lfunc_end536:
	.size	_ZN7rocprim17ROCPRIM_400000_NS6detail17trampoline_kernelINS0_14default_configENS1_25partition_config_selectorILNS1_17partition_subalgoE2EiNS0_10empty_typeEbEEZZNS1_14partition_implILS5_2ELb0ES3_jN6thrust23THRUST_200600_302600_NS6detail15normal_iteratorINSA_7pointerIiNSA_11hip_rocprim3tagENSA_11use_defaultESG_EEEEPS6_NSA_18transform_iteratorINSA_8identityIiEENSC_INSA_10device_ptrIiEEEESG_SG_EENS0_5tupleIJPiSJ_EEENSR_IJSJ_SJ_EEES6_PlJS6_EEE10hipError_tPvRmT3_T4_T5_T6_T7_T9_mT8_P12ihipStream_tbDpT10_ENKUlT_T0_E_clISt17integral_constantIbLb1EES1E_IbLb0EEEEDaS1A_S1B_EUlS1A_E_NS1_11comp_targetILNS1_3genE8ELNS1_11target_archE1030ELNS1_3gpuE2ELNS1_3repE0EEENS1_30default_config_static_selectorELNS0_4arch9wavefront6targetE1EEEvT1_, .Lfunc_end536-_ZN7rocprim17ROCPRIM_400000_NS6detail17trampoline_kernelINS0_14default_configENS1_25partition_config_selectorILNS1_17partition_subalgoE2EiNS0_10empty_typeEbEEZZNS1_14partition_implILS5_2ELb0ES3_jN6thrust23THRUST_200600_302600_NS6detail15normal_iteratorINSA_7pointerIiNSA_11hip_rocprim3tagENSA_11use_defaultESG_EEEEPS6_NSA_18transform_iteratorINSA_8identityIiEENSC_INSA_10device_ptrIiEEEESG_SG_EENS0_5tupleIJPiSJ_EEENSR_IJSJ_SJ_EEES6_PlJS6_EEE10hipError_tPvRmT3_T4_T5_T6_T7_T9_mT8_P12ihipStream_tbDpT10_ENKUlT_T0_E_clISt17integral_constantIbLb1EES1E_IbLb0EEEEDaS1A_S1B_EUlS1A_E_NS1_11comp_targetILNS1_3genE8ELNS1_11target_archE1030ELNS1_3gpuE2ELNS1_3repE0EEENS1_30default_config_static_selectorELNS0_4arch9wavefront6targetE1EEEvT1_
                                        ; -- End function
	.section	.AMDGPU.csdata,"",@progbits
; Kernel info:
; codeLenInByte = 0
; NumSgprs: 6
; NumVgprs: 0
; NumAgprs: 0
; TotalNumVgprs: 0
; ScratchSize: 0
; MemoryBound: 0
; FloatMode: 240
; IeeeMode: 1
; LDSByteSize: 0 bytes/workgroup (compile time only)
; SGPRBlocks: 0
; VGPRBlocks: 0
; NumSGPRsForWavesPerEU: 6
; NumVGPRsForWavesPerEU: 1
; AccumOffset: 4
; Occupancy: 8
; WaveLimiterHint : 0
; COMPUTE_PGM_RSRC2:SCRATCH_EN: 0
; COMPUTE_PGM_RSRC2:USER_SGPR: 2
; COMPUTE_PGM_RSRC2:TRAP_HANDLER: 0
; COMPUTE_PGM_RSRC2:TGID_X_EN: 1
; COMPUTE_PGM_RSRC2:TGID_Y_EN: 0
; COMPUTE_PGM_RSRC2:TGID_Z_EN: 0
; COMPUTE_PGM_RSRC2:TIDIG_COMP_CNT: 0
; COMPUTE_PGM_RSRC3_GFX90A:ACCUM_OFFSET: 0
; COMPUTE_PGM_RSRC3_GFX90A:TG_SPLIT: 0
	.section	.text._ZN7rocprim17ROCPRIM_400000_NS6detail17trampoline_kernelINS0_14default_configENS1_25partition_config_selectorILNS1_17partition_subalgoE2EiNS0_10empty_typeEbEEZZNS1_14partition_implILS5_2ELb0ES3_jN6thrust23THRUST_200600_302600_NS6detail15normal_iteratorINSA_7pointerIiNSA_11hip_rocprim3tagENSA_11use_defaultESG_EEEEPS6_NSA_18transform_iteratorINSA_8identityIiEENSC_INSA_10device_ptrIiEEEESG_SG_EENS0_5tupleIJPiSJ_EEENSR_IJSJ_SJ_EEES6_PlJS6_EEE10hipError_tPvRmT3_T4_T5_T6_T7_T9_mT8_P12ihipStream_tbDpT10_ENKUlT_T0_E_clISt17integral_constantIbLb0EES1E_IbLb1EEEEDaS1A_S1B_EUlS1A_E_NS1_11comp_targetILNS1_3genE0ELNS1_11target_archE4294967295ELNS1_3gpuE0ELNS1_3repE0EEENS1_30default_config_static_selectorELNS0_4arch9wavefront6targetE1EEEvT1_,"axG",@progbits,_ZN7rocprim17ROCPRIM_400000_NS6detail17trampoline_kernelINS0_14default_configENS1_25partition_config_selectorILNS1_17partition_subalgoE2EiNS0_10empty_typeEbEEZZNS1_14partition_implILS5_2ELb0ES3_jN6thrust23THRUST_200600_302600_NS6detail15normal_iteratorINSA_7pointerIiNSA_11hip_rocprim3tagENSA_11use_defaultESG_EEEEPS6_NSA_18transform_iteratorINSA_8identityIiEENSC_INSA_10device_ptrIiEEEESG_SG_EENS0_5tupleIJPiSJ_EEENSR_IJSJ_SJ_EEES6_PlJS6_EEE10hipError_tPvRmT3_T4_T5_T6_T7_T9_mT8_P12ihipStream_tbDpT10_ENKUlT_T0_E_clISt17integral_constantIbLb0EES1E_IbLb1EEEEDaS1A_S1B_EUlS1A_E_NS1_11comp_targetILNS1_3genE0ELNS1_11target_archE4294967295ELNS1_3gpuE0ELNS1_3repE0EEENS1_30default_config_static_selectorELNS0_4arch9wavefront6targetE1EEEvT1_,comdat
	.protected	_ZN7rocprim17ROCPRIM_400000_NS6detail17trampoline_kernelINS0_14default_configENS1_25partition_config_selectorILNS1_17partition_subalgoE2EiNS0_10empty_typeEbEEZZNS1_14partition_implILS5_2ELb0ES3_jN6thrust23THRUST_200600_302600_NS6detail15normal_iteratorINSA_7pointerIiNSA_11hip_rocprim3tagENSA_11use_defaultESG_EEEEPS6_NSA_18transform_iteratorINSA_8identityIiEENSC_INSA_10device_ptrIiEEEESG_SG_EENS0_5tupleIJPiSJ_EEENSR_IJSJ_SJ_EEES6_PlJS6_EEE10hipError_tPvRmT3_T4_T5_T6_T7_T9_mT8_P12ihipStream_tbDpT10_ENKUlT_T0_E_clISt17integral_constantIbLb0EES1E_IbLb1EEEEDaS1A_S1B_EUlS1A_E_NS1_11comp_targetILNS1_3genE0ELNS1_11target_archE4294967295ELNS1_3gpuE0ELNS1_3repE0EEENS1_30default_config_static_selectorELNS0_4arch9wavefront6targetE1EEEvT1_ ; -- Begin function _ZN7rocprim17ROCPRIM_400000_NS6detail17trampoline_kernelINS0_14default_configENS1_25partition_config_selectorILNS1_17partition_subalgoE2EiNS0_10empty_typeEbEEZZNS1_14partition_implILS5_2ELb0ES3_jN6thrust23THRUST_200600_302600_NS6detail15normal_iteratorINSA_7pointerIiNSA_11hip_rocprim3tagENSA_11use_defaultESG_EEEEPS6_NSA_18transform_iteratorINSA_8identityIiEENSC_INSA_10device_ptrIiEEEESG_SG_EENS0_5tupleIJPiSJ_EEENSR_IJSJ_SJ_EEES6_PlJS6_EEE10hipError_tPvRmT3_T4_T5_T6_T7_T9_mT8_P12ihipStream_tbDpT10_ENKUlT_T0_E_clISt17integral_constantIbLb0EES1E_IbLb1EEEEDaS1A_S1B_EUlS1A_E_NS1_11comp_targetILNS1_3genE0ELNS1_11target_archE4294967295ELNS1_3gpuE0ELNS1_3repE0EEENS1_30default_config_static_selectorELNS0_4arch9wavefront6targetE1EEEvT1_
	.globl	_ZN7rocprim17ROCPRIM_400000_NS6detail17trampoline_kernelINS0_14default_configENS1_25partition_config_selectorILNS1_17partition_subalgoE2EiNS0_10empty_typeEbEEZZNS1_14partition_implILS5_2ELb0ES3_jN6thrust23THRUST_200600_302600_NS6detail15normal_iteratorINSA_7pointerIiNSA_11hip_rocprim3tagENSA_11use_defaultESG_EEEEPS6_NSA_18transform_iteratorINSA_8identityIiEENSC_INSA_10device_ptrIiEEEESG_SG_EENS0_5tupleIJPiSJ_EEENSR_IJSJ_SJ_EEES6_PlJS6_EEE10hipError_tPvRmT3_T4_T5_T6_T7_T9_mT8_P12ihipStream_tbDpT10_ENKUlT_T0_E_clISt17integral_constantIbLb0EES1E_IbLb1EEEEDaS1A_S1B_EUlS1A_E_NS1_11comp_targetILNS1_3genE0ELNS1_11target_archE4294967295ELNS1_3gpuE0ELNS1_3repE0EEENS1_30default_config_static_selectorELNS0_4arch9wavefront6targetE1EEEvT1_
	.p2align	8
	.type	_ZN7rocprim17ROCPRIM_400000_NS6detail17trampoline_kernelINS0_14default_configENS1_25partition_config_selectorILNS1_17partition_subalgoE2EiNS0_10empty_typeEbEEZZNS1_14partition_implILS5_2ELb0ES3_jN6thrust23THRUST_200600_302600_NS6detail15normal_iteratorINSA_7pointerIiNSA_11hip_rocprim3tagENSA_11use_defaultESG_EEEEPS6_NSA_18transform_iteratorINSA_8identityIiEENSC_INSA_10device_ptrIiEEEESG_SG_EENS0_5tupleIJPiSJ_EEENSR_IJSJ_SJ_EEES6_PlJS6_EEE10hipError_tPvRmT3_T4_T5_T6_T7_T9_mT8_P12ihipStream_tbDpT10_ENKUlT_T0_E_clISt17integral_constantIbLb0EES1E_IbLb1EEEEDaS1A_S1B_EUlS1A_E_NS1_11comp_targetILNS1_3genE0ELNS1_11target_archE4294967295ELNS1_3gpuE0ELNS1_3repE0EEENS1_30default_config_static_selectorELNS0_4arch9wavefront6targetE1EEEvT1_,@function
_ZN7rocprim17ROCPRIM_400000_NS6detail17trampoline_kernelINS0_14default_configENS1_25partition_config_selectorILNS1_17partition_subalgoE2EiNS0_10empty_typeEbEEZZNS1_14partition_implILS5_2ELb0ES3_jN6thrust23THRUST_200600_302600_NS6detail15normal_iteratorINSA_7pointerIiNSA_11hip_rocprim3tagENSA_11use_defaultESG_EEEEPS6_NSA_18transform_iteratorINSA_8identityIiEENSC_INSA_10device_ptrIiEEEESG_SG_EENS0_5tupleIJPiSJ_EEENSR_IJSJ_SJ_EEES6_PlJS6_EEE10hipError_tPvRmT3_T4_T5_T6_T7_T9_mT8_P12ihipStream_tbDpT10_ENKUlT_T0_E_clISt17integral_constantIbLb0EES1E_IbLb1EEEEDaS1A_S1B_EUlS1A_E_NS1_11comp_targetILNS1_3genE0ELNS1_11target_archE4294967295ELNS1_3gpuE0ELNS1_3repE0EEENS1_30default_config_static_selectorELNS0_4arch9wavefront6targetE1EEEvT1_: ; @_ZN7rocprim17ROCPRIM_400000_NS6detail17trampoline_kernelINS0_14default_configENS1_25partition_config_selectorILNS1_17partition_subalgoE2EiNS0_10empty_typeEbEEZZNS1_14partition_implILS5_2ELb0ES3_jN6thrust23THRUST_200600_302600_NS6detail15normal_iteratorINSA_7pointerIiNSA_11hip_rocprim3tagENSA_11use_defaultESG_EEEEPS6_NSA_18transform_iteratorINSA_8identityIiEENSC_INSA_10device_ptrIiEEEESG_SG_EENS0_5tupleIJPiSJ_EEENSR_IJSJ_SJ_EEES6_PlJS6_EEE10hipError_tPvRmT3_T4_T5_T6_T7_T9_mT8_P12ihipStream_tbDpT10_ENKUlT_T0_E_clISt17integral_constantIbLb0EES1E_IbLb1EEEEDaS1A_S1B_EUlS1A_E_NS1_11comp_targetILNS1_3genE0ELNS1_11target_archE4294967295ELNS1_3gpuE0ELNS1_3repE0EEENS1_30default_config_static_selectorELNS0_4arch9wavefront6targetE1EEEvT1_
; %bb.0:
	.section	.rodata,"a",@progbits
	.p2align	6, 0x0
	.amdhsa_kernel _ZN7rocprim17ROCPRIM_400000_NS6detail17trampoline_kernelINS0_14default_configENS1_25partition_config_selectorILNS1_17partition_subalgoE2EiNS0_10empty_typeEbEEZZNS1_14partition_implILS5_2ELb0ES3_jN6thrust23THRUST_200600_302600_NS6detail15normal_iteratorINSA_7pointerIiNSA_11hip_rocprim3tagENSA_11use_defaultESG_EEEEPS6_NSA_18transform_iteratorINSA_8identityIiEENSC_INSA_10device_ptrIiEEEESG_SG_EENS0_5tupleIJPiSJ_EEENSR_IJSJ_SJ_EEES6_PlJS6_EEE10hipError_tPvRmT3_T4_T5_T6_T7_T9_mT8_P12ihipStream_tbDpT10_ENKUlT_T0_E_clISt17integral_constantIbLb0EES1E_IbLb1EEEEDaS1A_S1B_EUlS1A_E_NS1_11comp_targetILNS1_3genE0ELNS1_11target_archE4294967295ELNS1_3gpuE0ELNS1_3repE0EEENS1_30default_config_static_selectorELNS0_4arch9wavefront6targetE1EEEvT1_
		.amdhsa_group_segment_fixed_size 0
		.amdhsa_private_segment_fixed_size 0
		.amdhsa_kernarg_size 144
		.amdhsa_user_sgpr_count 2
		.amdhsa_user_sgpr_dispatch_ptr 0
		.amdhsa_user_sgpr_queue_ptr 0
		.amdhsa_user_sgpr_kernarg_segment_ptr 1
		.amdhsa_user_sgpr_dispatch_id 0
		.amdhsa_user_sgpr_kernarg_preload_length 0
		.amdhsa_user_sgpr_kernarg_preload_offset 0
		.amdhsa_user_sgpr_private_segment_size 0
		.amdhsa_uses_dynamic_stack 0
		.amdhsa_enable_private_segment 0
		.amdhsa_system_sgpr_workgroup_id_x 1
		.amdhsa_system_sgpr_workgroup_id_y 0
		.amdhsa_system_sgpr_workgroup_id_z 0
		.amdhsa_system_sgpr_workgroup_info 0
		.amdhsa_system_vgpr_workitem_id 0
		.amdhsa_next_free_vgpr 1
		.amdhsa_next_free_sgpr 0
		.amdhsa_accum_offset 4
		.amdhsa_reserve_vcc 0
		.amdhsa_float_round_mode_32 0
		.amdhsa_float_round_mode_16_64 0
		.amdhsa_float_denorm_mode_32 3
		.amdhsa_float_denorm_mode_16_64 3
		.amdhsa_dx10_clamp 1
		.amdhsa_ieee_mode 1
		.amdhsa_fp16_overflow 0
		.amdhsa_tg_split 0
		.amdhsa_exception_fp_ieee_invalid_op 0
		.amdhsa_exception_fp_denorm_src 0
		.amdhsa_exception_fp_ieee_div_zero 0
		.amdhsa_exception_fp_ieee_overflow 0
		.amdhsa_exception_fp_ieee_underflow 0
		.amdhsa_exception_fp_ieee_inexact 0
		.amdhsa_exception_int_div_zero 0
	.end_amdhsa_kernel
	.section	.text._ZN7rocprim17ROCPRIM_400000_NS6detail17trampoline_kernelINS0_14default_configENS1_25partition_config_selectorILNS1_17partition_subalgoE2EiNS0_10empty_typeEbEEZZNS1_14partition_implILS5_2ELb0ES3_jN6thrust23THRUST_200600_302600_NS6detail15normal_iteratorINSA_7pointerIiNSA_11hip_rocprim3tagENSA_11use_defaultESG_EEEEPS6_NSA_18transform_iteratorINSA_8identityIiEENSC_INSA_10device_ptrIiEEEESG_SG_EENS0_5tupleIJPiSJ_EEENSR_IJSJ_SJ_EEES6_PlJS6_EEE10hipError_tPvRmT3_T4_T5_T6_T7_T9_mT8_P12ihipStream_tbDpT10_ENKUlT_T0_E_clISt17integral_constantIbLb0EES1E_IbLb1EEEEDaS1A_S1B_EUlS1A_E_NS1_11comp_targetILNS1_3genE0ELNS1_11target_archE4294967295ELNS1_3gpuE0ELNS1_3repE0EEENS1_30default_config_static_selectorELNS0_4arch9wavefront6targetE1EEEvT1_,"axG",@progbits,_ZN7rocprim17ROCPRIM_400000_NS6detail17trampoline_kernelINS0_14default_configENS1_25partition_config_selectorILNS1_17partition_subalgoE2EiNS0_10empty_typeEbEEZZNS1_14partition_implILS5_2ELb0ES3_jN6thrust23THRUST_200600_302600_NS6detail15normal_iteratorINSA_7pointerIiNSA_11hip_rocprim3tagENSA_11use_defaultESG_EEEEPS6_NSA_18transform_iteratorINSA_8identityIiEENSC_INSA_10device_ptrIiEEEESG_SG_EENS0_5tupleIJPiSJ_EEENSR_IJSJ_SJ_EEES6_PlJS6_EEE10hipError_tPvRmT3_T4_T5_T6_T7_T9_mT8_P12ihipStream_tbDpT10_ENKUlT_T0_E_clISt17integral_constantIbLb0EES1E_IbLb1EEEEDaS1A_S1B_EUlS1A_E_NS1_11comp_targetILNS1_3genE0ELNS1_11target_archE4294967295ELNS1_3gpuE0ELNS1_3repE0EEENS1_30default_config_static_selectorELNS0_4arch9wavefront6targetE1EEEvT1_,comdat
.Lfunc_end537:
	.size	_ZN7rocprim17ROCPRIM_400000_NS6detail17trampoline_kernelINS0_14default_configENS1_25partition_config_selectorILNS1_17partition_subalgoE2EiNS0_10empty_typeEbEEZZNS1_14partition_implILS5_2ELb0ES3_jN6thrust23THRUST_200600_302600_NS6detail15normal_iteratorINSA_7pointerIiNSA_11hip_rocprim3tagENSA_11use_defaultESG_EEEEPS6_NSA_18transform_iteratorINSA_8identityIiEENSC_INSA_10device_ptrIiEEEESG_SG_EENS0_5tupleIJPiSJ_EEENSR_IJSJ_SJ_EEES6_PlJS6_EEE10hipError_tPvRmT3_T4_T5_T6_T7_T9_mT8_P12ihipStream_tbDpT10_ENKUlT_T0_E_clISt17integral_constantIbLb0EES1E_IbLb1EEEEDaS1A_S1B_EUlS1A_E_NS1_11comp_targetILNS1_3genE0ELNS1_11target_archE4294967295ELNS1_3gpuE0ELNS1_3repE0EEENS1_30default_config_static_selectorELNS0_4arch9wavefront6targetE1EEEvT1_, .Lfunc_end537-_ZN7rocprim17ROCPRIM_400000_NS6detail17trampoline_kernelINS0_14default_configENS1_25partition_config_selectorILNS1_17partition_subalgoE2EiNS0_10empty_typeEbEEZZNS1_14partition_implILS5_2ELb0ES3_jN6thrust23THRUST_200600_302600_NS6detail15normal_iteratorINSA_7pointerIiNSA_11hip_rocprim3tagENSA_11use_defaultESG_EEEEPS6_NSA_18transform_iteratorINSA_8identityIiEENSC_INSA_10device_ptrIiEEEESG_SG_EENS0_5tupleIJPiSJ_EEENSR_IJSJ_SJ_EEES6_PlJS6_EEE10hipError_tPvRmT3_T4_T5_T6_T7_T9_mT8_P12ihipStream_tbDpT10_ENKUlT_T0_E_clISt17integral_constantIbLb0EES1E_IbLb1EEEEDaS1A_S1B_EUlS1A_E_NS1_11comp_targetILNS1_3genE0ELNS1_11target_archE4294967295ELNS1_3gpuE0ELNS1_3repE0EEENS1_30default_config_static_selectorELNS0_4arch9wavefront6targetE1EEEvT1_
                                        ; -- End function
	.section	.AMDGPU.csdata,"",@progbits
; Kernel info:
; codeLenInByte = 0
; NumSgprs: 6
; NumVgprs: 0
; NumAgprs: 0
; TotalNumVgprs: 0
; ScratchSize: 0
; MemoryBound: 0
; FloatMode: 240
; IeeeMode: 1
; LDSByteSize: 0 bytes/workgroup (compile time only)
; SGPRBlocks: 0
; VGPRBlocks: 0
; NumSGPRsForWavesPerEU: 6
; NumVGPRsForWavesPerEU: 1
; AccumOffset: 4
; Occupancy: 8
; WaveLimiterHint : 0
; COMPUTE_PGM_RSRC2:SCRATCH_EN: 0
; COMPUTE_PGM_RSRC2:USER_SGPR: 2
; COMPUTE_PGM_RSRC2:TRAP_HANDLER: 0
; COMPUTE_PGM_RSRC2:TGID_X_EN: 1
; COMPUTE_PGM_RSRC2:TGID_Y_EN: 0
; COMPUTE_PGM_RSRC2:TGID_Z_EN: 0
; COMPUTE_PGM_RSRC2:TIDIG_COMP_CNT: 0
; COMPUTE_PGM_RSRC3_GFX90A:ACCUM_OFFSET: 0
; COMPUTE_PGM_RSRC3_GFX90A:TG_SPLIT: 0
	.section	.text._ZN7rocprim17ROCPRIM_400000_NS6detail17trampoline_kernelINS0_14default_configENS1_25partition_config_selectorILNS1_17partition_subalgoE2EiNS0_10empty_typeEbEEZZNS1_14partition_implILS5_2ELb0ES3_jN6thrust23THRUST_200600_302600_NS6detail15normal_iteratorINSA_7pointerIiNSA_11hip_rocprim3tagENSA_11use_defaultESG_EEEEPS6_NSA_18transform_iteratorINSA_8identityIiEENSC_INSA_10device_ptrIiEEEESG_SG_EENS0_5tupleIJPiSJ_EEENSR_IJSJ_SJ_EEES6_PlJS6_EEE10hipError_tPvRmT3_T4_T5_T6_T7_T9_mT8_P12ihipStream_tbDpT10_ENKUlT_T0_E_clISt17integral_constantIbLb0EES1E_IbLb1EEEEDaS1A_S1B_EUlS1A_E_NS1_11comp_targetILNS1_3genE5ELNS1_11target_archE942ELNS1_3gpuE9ELNS1_3repE0EEENS1_30default_config_static_selectorELNS0_4arch9wavefront6targetE1EEEvT1_,"axG",@progbits,_ZN7rocprim17ROCPRIM_400000_NS6detail17trampoline_kernelINS0_14default_configENS1_25partition_config_selectorILNS1_17partition_subalgoE2EiNS0_10empty_typeEbEEZZNS1_14partition_implILS5_2ELb0ES3_jN6thrust23THRUST_200600_302600_NS6detail15normal_iteratorINSA_7pointerIiNSA_11hip_rocprim3tagENSA_11use_defaultESG_EEEEPS6_NSA_18transform_iteratorINSA_8identityIiEENSC_INSA_10device_ptrIiEEEESG_SG_EENS0_5tupleIJPiSJ_EEENSR_IJSJ_SJ_EEES6_PlJS6_EEE10hipError_tPvRmT3_T4_T5_T6_T7_T9_mT8_P12ihipStream_tbDpT10_ENKUlT_T0_E_clISt17integral_constantIbLb0EES1E_IbLb1EEEEDaS1A_S1B_EUlS1A_E_NS1_11comp_targetILNS1_3genE5ELNS1_11target_archE942ELNS1_3gpuE9ELNS1_3repE0EEENS1_30default_config_static_selectorELNS0_4arch9wavefront6targetE1EEEvT1_,comdat
	.protected	_ZN7rocprim17ROCPRIM_400000_NS6detail17trampoline_kernelINS0_14default_configENS1_25partition_config_selectorILNS1_17partition_subalgoE2EiNS0_10empty_typeEbEEZZNS1_14partition_implILS5_2ELb0ES3_jN6thrust23THRUST_200600_302600_NS6detail15normal_iteratorINSA_7pointerIiNSA_11hip_rocprim3tagENSA_11use_defaultESG_EEEEPS6_NSA_18transform_iteratorINSA_8identityIiEENSC_INSA_10device_ptrIiEEEESG_SG_EENS0_5tupleIJPiSJ_EEENSR_IJSJ_SJ_EEES6_PlJS6_EEE10hipError_tPvRmT3_T4_T5_T6_T7_T9_mT8_P12ihipStream_tbDpT10_ENKUlT_T0_E_clISt17integral_constantIbLb0EES1E_IbLb1EEEEDaS1A_S1B_EUlS1A_E_NS1_11comp_targetILNS1_3genE5ELNS1_11target_archE942ELNS1_3gpuE9ELNS1_3repE0EEENS1_30default_config_static_selectorELNS0_4arch9wavefront6targetE1EEEvT1_ ; -- Begin function _ZN7rocprim17ROCPRIM_400000_NS6detail17trampoline_kernelINS0_14default_configENS1_25partition_config_selectorILNS1_17partition_subalgoE2EiNS0_10empty_typeEbEEZZNS1_14partition_implILS5_2ELb0ES3_jN6thrust23THRUST_200600_302600_NS6detail15normal_iteratorINSA_7pointerIiNSA_11hip_rocprim3tagENSA_11use_defaultESG_EEEEPS6_NSA_18transform_iteratorINSA_8identityIiEENSC_INSA_10device_ptrIiEEEESG_SG_EENS0_5tupleIJPiSJ_EEENSR_IJSJ_SJ_EEES6_PlJS6_EEE10hipError_tPvRmT3_T4_T5_T6_T7_T9_mT8_P12ihipStream_tbDpT10_ENKUlT_T0_E_clISt17integral_constantIbLb0EES1E_IbLb1EEEEDaS1A_S1B_EUlS1A_E_NS1_11comp_targetILNS1_3genE5ELNS1_11target_archE942ELNS1_3gpuE9ELNS1_3repE0EEENS1_30default_config_static_selectorELNS0_4arch9wavefront6targetE1EEEvT1_
	.globl	_ZN7rocprim17ROCPRIM_400000_NS6detail17trampoline_kernelINS0_14default_configENS1_25partition_config_selectorILNS1_17partition_subalgoE2EiNS0_10empty_typeEbEEZZNS1_14partition_implILS5_2ELb0ES3_jN6thrust23THRUST_200600_302600_NS6detail15normal_iteratorINSA_7pointerIiNSA_11hip_rocprim3tagENSA_11use_defaultESG_EEEEPS6_NSA_18transform_iteratorINSA_8identityIiEENSC_INSA_10device_ptrIiEEEESG_SG_EENS0_5tupleIJPiSJ_EEENSR_IJSJ_SJ_EEES6_PlJS6_EEE10hipError_tPvRmT3_T4_T5_T6_T7_T9_mT8_P12ihipStream_tbDpT10_ENKUlT_T0_E_clISt17integral_constantIbLb0EES1E_IbLb1EEEEDaS1A_S1B_EUlS1A_E_NS1_11comp_targetILNS1_3genE5ELNS1_11target_archE942ELNS1_3gpuE9ELNS1_3repE0EEENS1_30default_config_static_selectorELNS0_4arch9wavefront6targetE1EEEvT1_
	.p2align	8
	.type	_ZN7rocprim17ROCPRIM_400000_NS6detail17trampoline_kernelINS0_14default_configENS1_25partition_config_selectorILNS1_17partition_subalgoE2EiNS0_10empty_typeEbEEZZNS1_14partition_implILS5_2ELb0ES3_jN6thrust23THRUST_200600_302600_NS6detail15normal_iteratorINSA_7pointerIiNSA_11hip_rocprim3tagENSA_11use_defaultESG_EEEEPS6_NSA_18transform_iteratorINSA_8identityIiEENSC_INSA_10device_ptrIiEEEESG_SG_EENS0_5tupleIJPiSJ_EEENSR_IJSJ_SJ_EEES6_PlJS6_EEE10hipError_tPvRmT3_T4_T5_T6_T7_T9_mT8_P12ihipStream_tbDpT10_ENKUlT_T0_E_clISt17integral_constantIbLb0EES1E_IbLb1EEEEDaS1A_S1B_EUlS1A_E_NS1_11comp_targetILNS1_3genE5ELNS1_11target_archE942ELNS1_3gpuE9ELNS1_3repE0EEENS1_30default_config_static_selectorELNS0_4arch9wavefront6targetE1EEEvT1_,@function
_ZN7rocprim17ROCPRIM_400000_NS6detail17trampoline_kernelINS0_14default_configENS1_25partition_config_selectorILNS1_17partition_subalgoE2EiNS0_10empty_typeEbEEZZNS1_14partition_implILS5_2ELb0ES3_jN6thrust23THRUST_200600_302600_NS6detail15normal_iteratorINSA_7pointerIiNSA_11hip_rocprim3tagENSA_11use_defaultESG_EEEEPS6_NSA_18transform_iteratorINSA_8identityIiEENSC_INSA_10device_ptrIiEEEESG_SG_EENS0_5tupleIJPiSJ_EEENSR_IJSJ_SJ_EEES6_PlJS6_EEE10hipError_tPvRmT3_T4_T5_T6_T7_T9_mT8_P12ihipStream_tbDpT10_ENKUlT_T0_E_clISt17integral_constantIbLb0EES1E_IbLb1EEEEDaS1A_S1B_EUlS1A_E_NS1_11comp_targetILNS1_3genE5ELNS1_11target_archE942ELNS1_3gpuE9ELNS1_3repE0EEENS1_30default_config_static_selectorELNS0_4arch9wavefront6targetE1EEEvT1_: ; @_ZN7rocprim17ROCPRIM_400000_NS6detail17trampoline_kernelINS0_14default_configENS1_25partition_config_selectorILNS1_17partition_subalgoE2EiNS0_10empty_typeEbEEZZNS1_14partition_implILS5_2ELb0ES3_jN6thrust23THRUST_200600_302600_NS6detail15normal_iteratorINSA_7pointerIiNSA_11hip_rocprim3tagENSA_11use_defaultESG_EEEEPS6_NSA_18transform_iteratorINSA_8identityIiEENSC_INSA_10device_ptrIiEEEESG_SG_EENS0_5tupleIJPiSJ_EEENSR_IJSJ_SJ_EEES6_PlJS6_EEE10hipError_tPvRmT3_T4_T5_T6_T7_T9_mT8_P12ihipStream_tbDpT10_ENKUlT_T0_E_clISt17integral_constantIbLb0EES1E_IbLb1EEEEDaS1A_S1B_EUlS1A_E_NS1_11comp_targetILNS1_3genE5ELNS1_11target_archE942ELNS1_3gpuE9ELNS1_3repE0EEENS1_30default_config_static_selectorELNS0_4arch9wavefront6targetE1EEEvT1_
; %bb.0:
	s_load_dwordx2 s[2:3], s[0:1], 0x20
	s_load_dwordx2 s[28:29], s[0:1], 0x30
	;; [unrolled: 1-line block ×3, first 2 shown]
	s_load_dwordx4 s[20:23], s[0:1], 0x50
	s_load_dwordx2 s[36:37], s[0:1], 0x70
	v_cmp_eq_u32_e64 s[18:19], 0, v0
	s_and_saveexec_b64 s[4:5], s[18:19]
	s_cbranch_execz .LBB538_4
; %bb.1:
	s_mov_b64 s[8:9], exec
	v_mbcnt_lo_u32_b32 v1, s8, 0
	v_mbcnt_hi_u32_b32 v1, s9, v1
	v_cmp_eq_u32_e32 vcc, 0, v1
                                        ; implicit-def: $vgpr2
	s_and_saveexec_b64 s[6:7], vcc
	s_cbranch_execz .LBB538_3
; %bb.2:
	s_load_dwordx2 s[10:11], s[0:1], 0x80
	s_bcnt1_i32_b64 s8, s[8:9]
	v_mov_b32_e32 v2, 0
	v_mov_b32_e32 v3, s8
	s_waitcnt lgkmcnt(0)
	global_atomic_add v2, v2, v3, s[10:11] sc0
.LBB538_3:
	s_or_b64 exec, exec, s[6:7]
	s_waitcnt vmcnt(0)
	v_readfirstlane_b32 s6, v2
	v_mov_b32_e32 v2, 0
	s_nop 0
	v_add_u32_e32 v1, s6, v1
	ds_write_b32 v2, v1
.LBB538_4:
	s_or_b64 exec, exec, s[4:5]
	v_mov_b32_e32 v23, 0
	s_load_dwordx4 s[24:27], s[0:1], 0x8
	s_load_dword s6, s[0:1], 0x78
	s_waitcnt lgkmcnt(0)
	s_barrier
	ds_read_b32 v1, v23
	s_waitcnt lgkmcnt(0)
	s_barrier
	global_load_dwordx2 v[24:25], v23, s[22:23]
	s_lshl_b64 s[4:5], s[26:27], 2
	s_add_u32 s8, s24, s4
	s_mul_i32 s0, s6, 0x1e00
	s_addc_u32 s9, s25, s5
	s_add_i32 s1, s0, s26
	s_sub_i32 s33, s30, s1
	s_add_i32 s7, s6, -1
	s_addk_i32 s33, 0x1e00
	s_add_u32 s0, s26, s0
	v_readfirstlane_b32 s42, v1
	s_addc_u32 s1, s27, 0
	s_cmp_eq_u32 s42, s7
	v_mov_b64_e32 v[2:3], s[30:31]
	s_cselect_b64 s[22:23], -1, 0
	s_cmp_lg_u32 s42, s7
	s_mul_i32 s24, s42, 0x1e00
	s_mov_b32 s25, 0
	v_cmp_lt_u64_e32 vcc, s[0:1], v[2:3]
	s_cselect_b64 s[0:1], -1, 0
	s_or_b64 s[34:35], vcc, s[0:1]
	s_lshl_b64 s[6:7], s[24:25], 2
	s_add_u32 s8, s8, s6
	s_addc_u32 s9, s9, s7
	s_mov_b64 s[0:1], -1
	s_and_b64 vcc, exec, s[34:35]
	v_lshlrev_b32_e32 v22, 2, v0
	s_cbranch_vccz .LBB538_6
; %bb.5:
	v_lshl_add_u64 v[2:3], s[8:9], 0, v[22:23]
	v_add_co_u32_e32 v4, vcc, 0x1000, v2
	s_mov_b64 s[0:1], 0
	s_nop 0
	v_addc_co_u32_e32 v5, vcc, 0, v3, vcc
	v_add_co_u32_e32 v6, vcc, 0x2000, v2
	s_nop 1
	v_addc_co_u32_e32 v7, vcc, 0, v3, vcc
	v_add_co_u32_e32 v8, vcc, 0x3000, v2
	s_nop 1
	v_addc_co_u32_e32 v9, vcc, 0, v3, vcc
	flat_load_dword v1, v[2:3]
	flat_load_dword v10, v[2:3] offset:2048
	flat_load_dword v11, v[4:5]
	flat_load_dword v12, v[4:5] offset:2048
	;; [unrolled: 2-line block ×4, first 2 shown]
	v_add_co_u32_e32 v4, vcc, 0x4000, v2
	s_nop 1
	v_addc_co_u32_e32 v5, vcc, 0, v3, vcc
	v_add_co_u32_e32 v6, vcc, 0x5000, v2
	s_nop 1
	v_addc_co_u32_e32 v7, vcc, 0, v3, vcc
	v_add_co_u32_e32 v8, vcc, 0x6000, v2
	s_nop 1
	v_addc_co_u32_e32 v9, vcc, 0, v3, vcc
	v_add_co_u32_e32 v2, vcc, 0x7000, v2
	s_nop 1
	v_addc_co_u32_e32 v3, vcc, 0, v3, vcc
	flat_load_dword v17, v[4:5]
	flat_load_dword v18, v[4:5] offset:2048
	flat_load_dword v19, v[6:7]
	flat_load_dword v20, v[6:7] offset:2048
	;; [unrolled: 2-line block ×3, first 2 shown]
	flat_load_dword v26, v[2:3]
	s_waitcnt vmcnt(0) lgkmcnt(0)
	ds_write2st64_b32 v22, v1, v10 offset1:8
	ds_write2st64_b32 v22, v11, v12 offset0:16 offset1:24
	ds_write2st64_b32 v22, v13, v14 offset0:32 offset1:40
	;; [unrolled: 1-line block ×6, first 2 shown]
	ds_write_b32 v22, v26 offset:28672
	s_waitcnt lgkmcnt(0)
	s_barrier
.LBB538_6:
	s_andn2_b64 vcc, exec, s[0:1]
	v_cmp_gt_u32_e64 s[0:1], s33, v0
	s_cbranch_vccnz .LBB538_38
; %bb.7:
                                        ; implicit-def: $vgpr2_vgpr3_vgpr4_vgpr5_vgpr6_vgpr7_vgpr8_vgpr9_vgpr10_vgpr11_vgpr12_vgpr13_vgpr14_vgpr15_vgpr16_vgpr17
	s_and_saveexec_b64 s[10:11], s[0:1]
	s_cbranch_execz .LBB538_9
; %bb.8:
	v_mov_b32_e32 v23, 0
	v_lshl_add_u64 v[2:3], s[8:9], 0, v[22:23]
	flat_load_dword v2, v[2:3]
.LBB538_9:
	s_or_b64 exec, exec, s[10:11]
	v_or_b32_e32 v1, 0x200, v0
	v_cmp_gt_u32_e32 vcc, s33, v1
	s_and_saveexec_b64 s[0:1], vcc
	s_cbranch_execz .LBB538_11
; %bb.10:
	v_mov_b32_e32 v23, 0
	v_lshl_add_u64 v[18:19], s[8:9], 0, v[22:23]
	flat_load_dword v3, v[18:19] offset:2048
.LBB538_11:
	s_or_b64 exec, exec, s[0:1]
	v_or_b32_e32 v1, 0x400, v0
	v_cmp_gt_u32_e32 vcc, s33, v1
	s_and_saveexec_b64 s[0:1], vcc
	s_cbranch_execz .LBB538_13
; %bb.12:
	v_lshlrev_b32_e32 v18, 2, v1
	v_mov_b32_e32 v19, 0
	v_lshl_add_u64 v[18:19], s[8:9], 0, v[18:19]
	flat_load_dword v4, v[18:19]
.LBB538_13:
	s_or_b64 exec, exec, s[0:1]
	v_or_b32_e32 v1, 0x600, v0
	v_cmp_gt_u32_e32 vcc, s33, v1
	s_and_saveexec_b64 s[0:1], vcc
	s_cbranch_execz .LBB538_15
; %bb.14:
	v_lshlrev_b32_e32 v18, 2, v1
	v_mov_b32_e32 v19, 0
	v_lshl_add_u64 v[18:19], s[8:9], 0, v[18:19]
	flat_load_dword v5, v[18:19]
.LBB538_15:
	;; [unrolled: 11-line block ×13, first 2 shown]
	s_or_b64 exec, exec, s[0:1]
	s_waitcnt vmcnt(0) lgkmcnt(0)
	ds_write2st64_b32 v22, v2, v3 offset1:8
	ds_write2st64_b32 v22, v4, v5 offset0:16 offset1:24
	ds_write2st64_b32 v22, v6, v7 offset0:32 offset1:40
	;; [unrolled: 1-line block ×6, first 2 shown]
	ds_write_b32 v22, v16 offset:28672
	s_waitcnt lgkmcnt(0)
	s_barrier
.LBB538_38:
	v_mul_u32_u24_e32 v21, 15, v0
	v_lshlrev_b32_e32 v1, 2, v21
	ds_read2_b32 v[40:41], v1 offset1:1
	ds_read2_b32 v[38:39], v1 offset0:2 offset1:3
	ds_read2_b32 v[36:37], v1 offset0:4 offset1:5
	;; [unrolled: 1-line block ×6, first 2 shown]
	ds_read_b32 v1, v1 offset:56
	s_add_u32 s0, s2, s4
	s_addc_u32 s1, s3, s5
	s_add_u32 s0, s0, s6
	s_addc_u32 s1, s1, s7
	s_mov_b64 s[2:3], -1
	s_and_b64 vcc, exec, s[34:35]
	s_waitcnt lgkmcnt(0)
	s_barrier
	s_cbranch_vccz .LBB538_40
; %bb.39:
	v_mov_b32_e32 v23, 0
	v_lshl_add_u64 v[2:3], s[0:1], 0, v[22:23]
	v_add_co_u32_e32 v4, vcc, 0x1000, v2
	global_load_dword v8, v22, s[0:1]
	global_load_dword v9, v22, s[0:1] offset:2048
	v_addc_co_u32_e32 v5, vcc, 0, v3, vcc
	v_add_co_u32_e32 v6, vcc, 0x2000, v2
	s_mov_b64 s[2:3], 0
	s_nop 0
	v_addc_co_u32_e32 v7, vcc, 0, v3, vcc
	global_load_dword v10, v[4:5], off
	global_load_dword v11, v[4:5], off offset:2048
	global_load_dword v12, v[6:7], off
	global_load_dword v13, v[6:7], off offset:2048
	v_add_co_u32_e32 v4, vcc, 0x3000, v2
	s_nop 1
	v_addc_co_u32_e32 v5, vcc, 0, v3, vcc
	v_add_co_u32_e32 v6, vcc, 0x4000, v2
	s_nop 1
	v_addc_co_u32_e32 v7, vcc, 0, v3, vcc
	global_load_dword v14, v[4:5], off
	global_load_dword v15, v[4:5], off offset:2048
	global_load_dword v16, v[6:7], off
	global_load_dword v17, v[6:7], off offset:2048
	v_add_co_u32_e32 v4, vcc, 0x5000, v2
	s_nop 1
	v_addc_co_u32_e32 v5, vcc, 0, v3, vcc
	v_add_co_u32_e32 v6, vcc, 0x6000, v2
	s_nop 1
	v_addc_co_u32_e32 v7, vcc, 0, v3, vcc
	v_add_co_u32_e32 v2, vcc, 0x7000, v2
	global_load_dword v18, v[4:5], off
	global_load_dword v19, v[4:5], off offset:2048
	global_load_dword v20, v[6:7], off
	global_load_dword v23, v[6:7], off offset:2048
	v_addc_co_u32_e32 v3, vcc, 0, v3, vcc
	global_load_dword v2, v[2:3], off
	s_waitcnt vmcnt(14)
	v_cmp_ne_u32_e32 vcc, 0, v8
	s_nop 1
	v_cndmask_b32_e64 v3, 0, 1, vcc
	s_waitcnt vmcnt(13)
	v_cmp_ne_u32_e32 vcc, 0, v9
	s_nop 1
	v_cndmask_b32_e64 v4, 0, 1, vcc
	s_waitcnt vmcnt(12)
	v_cmp_ne_u32_e32 vcc, 0, v10
	ds_write_b8 v0, v3
	ds_write_b8 v0, v4 offset:512
	v_cndmask_b32_e64 v3, 0, 1, vcc
	s_waitcnt vmcnt(11)
	v_cmp_ne_u32_e32 vcc, 0, v11
	s_nop 1
	v_cndmask_b32_e64 v4, 0, 1, vcc
	s_waitcnt vmcnt(10)
	v_cmp_ne_u32_e32 vcc, 0, v12
	ds_write_b8 v0, v3 offset:1024
	ds_write_b8 v0, v4 offset:1536
	v_cndmask_b32_e64 v5, 0, 1, vcc
	s_waitcnt vmcnt(9)
	v_cmp_ne_u32_e32 vcc, 0, v13
	s_nop 1
	v_cndmask_b32_e64 v6, 0, 1, vcc
	s_waitcnt vmcnt(8)
	v_cmp_ne_u32_e32 vcc, 0, v14
	ds_write_b8 v0, v5 offset:2048
	;; [unrolled: 9-line block ×3, first 2 shown]
	ds_write_b8 v0, v4 offset:3584
	v_cndmask_b32_e64 v5, 0, 1, vcc
	s_waitcnt vmcnt(5)
	v_cmp_ne_u32_e32 vcc, 0, v17
	ds_write_b8 v0, v5 offset:4096
	s_nop 0
	v_cndmask_b32_e64 v6, 0, 1, vcc
	s_waitcnt vmcnt(4)
	v_cmp_ne_u32_e32 vcc, 0, v18
	s_nop 1
	v_cndmask_b32_e64 v3, 0, 1, vcc
	s_waitcnt vmcnt(3)
	v_cmp_ne_u32_e32 vcc, 0, v19
	;; [unrolled: 4-line block ×5, first 2 shown]
	s_nop 1
	v_cndmask_b32_e64 v2, 0, 1, vcc
	ds_write_b8 v0, v6 offset:4608
	ds_write_b8 v0, v3 offset:5120
	;; [unrolled: 1-line block ×6, first 2 shown]
	s_waitcnt lgkmcnt(0)
	s_barrier
.LBB538_40:
	s_andn2_b64 vcc, exec, s[2:3]
	s_cbranch_vccnz .LBB538_72
; %bb.41:
	v_cmp_gt_u32_e32 vcc, s33, v0
	v_mov_b32_e32 v2, 0
	v_mov_b32_e32 v3, 0
	s_and_saveexec_b64 s[2:3], vcc
	s_cbranch_execz .LBB538_43
; %bb.42:
	global_load_dword v3, v22, s[0:1]
	s_waitcnt vmcnt(0)
	v_cmp_ne_u32_e32 vcc, 0, v3
	s_nop 1
	v_cndmask_b32_e64 v3, 0, 1, vcc
.LBB538_43:
	s_or_b64 exec, exec, s[2:3]
	v_or_b32_e32 v4, 0x200, v0
	v_cmp_gt_u32_e32 vcc, s33, v4
	s_and_saveexec_b64 s[2:3], vcc
	s_cbranch_execz .LBB538_45
; %bb.44:
	global_load_dword v2, v22, s[0:1] offset:2048
	s_waitcnt vmcnt(0)
	v_cmp_ne_u32_e32 vcc, 0, v2
	s_nop 1
	v_cndmask_b32_e64 v2, 0, 1, vcc
.LBB538_45:
	s_or_b64 exec, exec, s[2:3]
	v_or_b32_e32 v6, 0x400, v0
	v_cmp_gt_u32_e32 vcc, s33, v6
	v_mov_b32_e32 v4, 0
	v_mov_b32_e32 v5, 0
	s_and_saveexec_b64 s[2:3], vcc
	s_cbranch_execz .LBB538_47
; %bb.46:
	v_lshlrev_b32_e32 v5, 2, v6
	global_load_dword v5, v5, s[0:1]
	s_waitcnt vmcnt(0)
	v_cmp_ne_u32_e32 vcc, 0, v5
	s_nop 1
	v_cndmask_b32_e64 v5, 0, 1, vcc
.LBB538_47:
	s_or_b64 exec, exec, s[2:3]
	v_or_b32_e32 v6, 0x600, v0
	v_cmp_gt_u32_e32 vcc, s33, v6
	s_and_saveexec_b64 s[2:3], vcc
	s_cbranch_execz .LBB538_49
; %bb.48:
	v_lshlrev_b32_e32 v4, 2, v6
	global_load_dword v4, v4, s[0:1]
	s_waitcnt vmcnt(0)
	v_cmp_ne_u32_e32 vcc, 0, v4
	s_nop 1
	v_cndmask_b32_e64 v4, 0, 1, vcc
.LBB538_49:
	s_or_b64 exec, exec, s[2:3]
	v_or_b32_e32 v8, 0x800, v0
	v_cmp_gt_u32_e32 vcc, s33, v8
	v_mov_b32_e32 v6, 0
	v_mov_b32_e32 v7, 0
	s_and_saveexec_b64 s[2:3], vcc
	s_cbranch_execz .LBB538_51
; %bb.50:
	v_lshlrev_b32_e32 v7, 2, v8
	global_load_dword v7, v7, s[0:1]
	s_waitcnt vmcnt(0)
	v_cmp_ne_u32_e32 vcc, 0, v7
	s_nop 1
	v_cndmask_b32_e64 v7, 0, 1, vcc
.LBB538_51:
	s_or_b64 exec, exec, s[2:3]
	v_or_b32_e32 v8, 0xa00, v0
	v_cmp_gt_u32_e32 vcc, s33, v8
	s_and_saveexec_b64 s[2:3], vcc
	s_cbranch_execz .LBB538_53
; %bb.52:
	v_lshlrev_b32_e32 v6, 2, v8
	global_load_dword v6, v6, s[0:1]
	s_waitcnt vmcnt(0)
	v_cmp_ne_u32_e32 vcc, 0, v6
	s_nop 1
	v_cndmask_b32_e64 v6, 0, 1, vcc
.LBB538_53:
	;; [unrolled: 28-line block ×6, first 2 shown]
	s_or_b64 exec, exec, s[2:3]
	v_or_b32_e32 v17, 0x1c00, v0
	v_cmp_gt_u32_e32 vcc, s33, v17
	v_mov_b32_e32 v16, 0
	s_and_saveexec_b64 s[2:3], vcc
	s_cbranch_execz .LBB538_71
; %bb.70:
	v_lshlrev_b32_e32 v16, 2, v17
	global_load_dword v16, v16, s[0:1]
	s_waitcnt vmcnt(0)
	v_cmp_ne_u32_e32 vcc, 0, v16
	s_nop 1
	v_cndmask_b32_e64 v16, 0, 1, vcc
.LBB538_71:
	s_or_b64 exec, exec, s[2:3]
	ds_write_b8 v0, v3
	ds_write_b8 v0, v2 offset:512
	ds_write_b8 v0, v5 offset:1024
	;; [unrolled: 1-line block ×14, first 2 shown]
	s_waitcnt lgkmcnt(0)
	s_barrier
.LBB538_72:
	ds_read_b96 v[18:20], v21
	ds_read_u8 v2, v21 offset:12
	ds_read_u8 v3, v21 offset:13
	;; [unrolled: 1-line block ×3, first 2 shown]
	s_cmp_lg_u32 s42, 0
	v_lshrrev_b32_e32 v58, 6, v0
	s_waitcnt lgkmcnt(2)
	v_and_b32_e32 v44, 1, v2
	v_and_b32_e32 v53, 0xff, v18
	v_bfe_u32 v55, v18, 8, 8
	v_bfe_u32 v56, v18, 16, 8
	v_lshrrev_b32_e32 v46, 24, v18
	v_and_b32_e32 v50, 0xff, v19
	v_add3_u32 v2, v55, v53, v56
	v_bfe_u32 v51, v19, 8, 8
	v_bfe_u32 v52, v19, 16, 8
	v_add3_u32 v2, v2, v46, v50
	v_lshrrev_b32_e32 v45, 24, v19
	v_and_b32_e32 v47, 0xff, v20
	v_add3_u32 v2, v2, v51, v52
	v_bfe_u32 v48, v20, 8, 8
	v_bfe_u32 v49, v20, 16, 8
	v_add3_u32 v2, v2, v45, v47
	v_lshrrev_b32_e32 v43, 24, v20
	v_add3_u32 v2, v2, v48, v49
	s_waitcnt lgkmcnt(1)
	v_and_b32_e32 v42, 1, v3
	s_waitcnt lgkmcnt(0)
	v_and_b32_e32 v23, 1, v4
	v_add3_u32 v2, v2, v43, v44
	v_add3_u32 v59, v2, v42, v23
	v_mbcnt_lo_u32_b32 v2, -1, 0
	v_mbcnt_hi_u32_b32 v57, -1, v2
	v_and_b32_e32 v2, 15, v57
	v_cmp_eq_u32_e64 s[14:15], 0, v2
	v_cmp_lt_u32_e64 s[12:13], 1, v2
	v_cmp_lt_u32_e64 s[10:11], 3, v2
	;; [unrolled: 1-line block ×3, first 2 shown]
	v_and_b32_e32 v2, 16, v57
	v_cmp_eq_u32_e64 s[6:7], 0, v2
	v_or_b32_e32 v2, 63, v0
	v_cmp_lt_u32_e64 s[2:3], 31, v57
	v_cmp_eq_u32_e64 s[4:5], v2, v0
	s_barrier
	s_cbranch_scc0 .LBB538_99
; %bb.73:
	v_mov_b32_dpp v2, v59 row_shr:1 row_mask:0xf bank_mask:0xf
	v_cndmask_b32_e64 v2, v2, 0, s[14:15]
	v_add_u32_e32 v2, v2, v59
	s_nop 1
	v_mov_b32_dpp v3, v2 row_shr:2 row_mask:0xf bank_mask:0xf
	v_cndmask_b32_e64 v3, 0, v3, s[12:13]
	v_add_u32_e32 v2, v2, v3
	s_nop 1
	;; [unrolled: 4-line block ×4, first 2 shown]
	v_mov_b32_dpp v3, v2 row_bcast:15 row_mask:0xf bank_mask:0xf
	v_cndmask_b32_e64 v3, v3, 0, s[6:7]
	v_add_u32_e32 v2, v2, v3
	s_nop 1
	v_mov_b32_dpp v3, v2 row_bcast:31 row_mask:0xf bank_mask:0xf
	v_cndmask_b32_e64 v3, 0, v3, s[2:3]
	v_add_u32_e32 v2, v2, v3
	s_and_saveexec_b64 s[0:1], s[4:5]
	s_cbranch_execz .LBB538_75
; %bb.74:
	v_lshlrev_b32_e32 v3, 2, v58
	ds_write_b32 v3, v2
.LBB538_75:
	s_or_b64 exec, exec, s[0:1]
	v_cmp_gt_u32_e32 vcc, 8, v0
	s_waitcnt lgkmcnt(0)
	s_barrier
	s_and_saveexec_b64 s[0:1], vcc
	s_cbranch_execz .LBB538_77
; %bb.76:
	ds_read_b32 v3, v22
	v_and_b32_e32 v4, 7, v57
	v_cmp_ne_u32_e32 vcc, 0, v4
	s_waitcnt lgkmcnt(0)
	v_mov_b32_dpp v5, v3 row_shr:1 row_mask:0xf bank_mask:0xf
	v_cndmask_b32_e32 v5, 0, v5, vcc
	v_add_u32_e32 v3, v5, v3
	v_cmp_lt_u32_e32 vcc, 1, v4
	s_nop 0
	v_mov_b32_dpp v5, v3 row_shr:2 row_mask:0xf bank_mask:0xf
	v_cndmask_b32_e32 v5, 0, v5, vcc
	v_add_u32_e32 v3, v3, v5
	v_cmp_lt_u32_e32 vcc, 3, v4
	s_nop 0
	v_mov_b32_dpp v5, v3 row_shr:4 row_mask:0xf bank_mask:0xf
	v_cndmask_b32_e32 v4, 0, v5, vcc
	v_add_u32_e32 v3, v3, v4
	ds_write_b32 v22, v3
.LBB538_77:
	s_or_b64 exec, exec, s[0:1]
	v_cmp_gt_u32_e32 vcc, 64, v0
	v_cmp_lt_u32_e64 s[0:1], 63, v0
	s_waitcnt lgkmcnt(0)
	s_barrier
	s_waitcnt lgkmcnt(0)
                                        ; implicit-def: $vgpr12
	s_and_saveexec_b64 s[16:17], s[0:1]
	s_cbranch_execz .LBB538_79
; %bb.78:
	v_lshl_add_u32 v3, v58, 2, -4
	ds_read_b32 v12, v3
	s_waitcnt lgkmcnt(0)
	v_add_u32_e32 v2, v12, v2
.LBB538_79:
	s_or_b64 exec, exec, s[16:17]
	v_add_u32_e32 v3, -1, v57
	v_and_b32_e32 v4, 64, v57
	v_cmp_lt_i32_e64 s[0:1], v3, v4
	v_cmp_eq_u32_e64 s[16:17], 0, v57
	s_nop 0
	v_cndmask_b32_e64 v3, v3, v57, s[0:1]
	v_lshlrev_b32_e32 v3, 2, v3
	ds_bpermute_b32 v13, v3, v2
	s_and_saveexec_b64 s[0:1], vcc
	s_cbranch_execz .LBB538_98
; %bb.80:
	v_mov_b32_e32 v9, 0
	ds_read_b32 v2, v9 offset:28
	s_and_saveexec_b64 s[38:39], s[16:17]
	s_cbranch_execz .LBB538_82
; %bb.81:
	s_add_i32 s40, s42, 64
	s_mov_b32 s41, 0
	s_lshl_b64 s[40:41], s[40:41], 3
	s_add_u32 s40, s36, s40
	v_mov_b32_e32 v3, 1
	s_addc_u32 s41, s37, s41
	s_waitcnt lgkmcnt(0)
	global_store_dwordx2 v9, v[2:3], s[40:41] sc1
.LBB538_82:
	s_or_b64 exec, exec, s[38:39]
	v_xad_u32 v4, v57, -1, s42
	v_add_u32_e32 v8, 64, v4
	v_lshl_add_u64 v[10:11], v[8:9], 3, s[36:37]
	global_load_dwordx2 v[6:7], v[10:11], off sc1
	s_waitcnt vmcnt(0)
	v_cmp_eq_u16_sdwa s[40:41], v7, v9 src0_sel:BYTE_0 src1_sel:DWORD
	s_and_saveexec_b64 s[38:39], s[40:41]
	s_cbranch_execz .LBB538_86
; %bb.83:
	s_mov_b64 s[40:41], 0
	v_mov_b32_e32 v3, 0
.LBB538_84:                             ; =>This Inner Loop Header: Depth=1
	global_load_dwordx2 v[6:7], v[10:11], off sc1
	s_waitcnt vmcnt(0)
	v_cmp_ne_u16_sdwa s[44:45], v7, v3 src0_sel:BYTE_0 src1_sel:DWORD
	s_or_b64 s[40:41], s[44:45], s[40:41]
	s_andn2_b64 exec, exec, s[40:41]
	s_cbranch_execnz .LBB538_84
; %bb.85:
	s_or_b64 exec, exec, s[40:41]
.LBB538_86:
	s_or_b64 exec, exec, s[38:39]
	v_and_b32_e32 v15, 63, v57
	v_mov_b32_e32 v14, 2
	v_cmp_ne_u32_e32 vcc, 63, v15
	v_cmp_eq_u16_sdwa s[38:39], v7, v14 src0_sel:BYTE_0 src1_sel:DWORD
	v_lshlrev_b64 v[8:9], v57, -1
	v_addc_co_u32_e32 v10, vcc, 0, v57, vcc
	v_and_b32_e32 v3, s39, v9
	v_lshlrev_b32_e32 v16, 2, v10
	v_or_b32_e32 v3, 0x80000000, v3
	ds_bpermute_b32 v10, v16, v6
	v_and_b32_e32 v5, s38, v8
	v_ffbl_b32_e32 v3, v3
	v_add_u32_e32 v3, 32, v3
	v_ffbl_b32_e32 v5, v5
	v_min_u32_e32 v3, v5, v3
	v_cmp_lt_u32_e32 vcc, v15, v3
	v_add_u32_e32 v26, 2, v15
	v_add_u32_e32 v54, 4, v15
	s_waitcnt lgkmcnt(0)
	v_cndmask_b32_e32 v5, 0, v10, vcc
	v_cmp_gt_u32_e32 vcc, 62, v15
	v_add_u32_e32 v5, v5, v6
	v_add_u32_e32 v61, 8, v15
	v_cndmask_b32_e64 v6, 0, 1, vcc
	v_lshlrev_b32_e32 v6, 1, v6
	v_add_lshl_u32 v17, v6, v57, 2
	ds_bpermute_b32 v6, v17, v5
	v_cmp_le_u32_e32 vcc, v26, v3
	v_add_u32_e32 v63, 16, v15
	v_add_u32_e32 v65, 32, v15
	s_waitcnt lgkmcnt(0)
	v_cndmask_b32_e32 v6, 0, v6, vcc
	v_cmp_gt_u32_e32 vcc, 60, v15
	v_add_u32_e32 v5, v5, v6
	s_nop 0
	v_cndmask_b32_e64 v6, 0, 1, vcc
	v_lshlrev_b32_e32 v6, 2, v6
	v_add_lshl_u32 v27, v6, v57, 2
	ds_bpermute_b32 v6, v27, v5
	v_cmp_le_u32_e32 vcc, v54, v3
	s_waitcnt lgkmcnt(0)
	s_nop 0
	v_cndmask_b32_e32 v6, 0, v6, vcc
	v_cmp_gt_u32_e32 vcc, 56, v15
	v_add_u32_e32 v5, v5, v6
	s_nop 0
	v_cndmask_b32_e64 v6, 0, 1, vcc
	v_lshlrev_b32_e32 v6, 3, v6
	v_add_lshl_u32 v60, v6, v57, 2
	ds_bpermute_b32 v6, v60, v5
	v_cmp_le_u32_e32 vcc, v61, v3
	s_waitcnt lgkmcnt(0)
	s_nop 0
	;; [unrolled: 11-line block ×4, first 2 shown]
	v_cndmask_b32_e32 v3, 0, v6, vcc
	v_add_u32_e32 v6, v5, v3
	v_mov_b32_e32 v5, 0
	s_branch .LBB538_88
.LBB538_87:                             ;   in Loop: Header=BB538_88 Depth=1
	s_or_b64 exec, exec, s[38:39]
	v_cmp_eq_u16_sdwa s[38:39], v7, v14 src0_sel:BYTE_0 src1_sel:DWORD
	ds_bpermute_b32 v66, v16, v6
	v_subrev_u32_e32 v4, 64, v4
	v_and_b32_e32 v10, s39, v9
	v_or_b32_e32 v10, 0x80000000, v10
	v_and_b32_e32 v11, s38, v8
	v_ffbl_b32_e32 v10, v10
	v_add_u32_e32 v10, 32, v10
	v_ffbl_b32_e32 v11, v11
	v_min_u32_e32 v10, v11, v10
	v_cmp_lt_u32_e32 vcc, v15, v10
	s_waitcnt lgkmcnt(0)
	s_nop 0
	v_cndmask_b32_e32 v11, 0, v66, vcc
	v_add_u32_e32 v6, v11, v6
	ds_bpermute_b32 v11, v17, v6
	v_cmp_le_u32_e32 vcc, v26, v10
	s_waitcnt lgkmcnt(0)
	s_nop 0
	v_cndmask_b32_e32 v11, 0, v11, vcc
	v_add_u32_e32 v6, v6, v11
	ds_bpermute_b32 v11, v27, v6
	v_cmp_le_u32_e32 vcc, v54, v10
	;; [unrolled: 6-line block ×5, first 2 shown]
	s_waitcnt lgkmcnt(0)
	s_nop 0
	v_cndmask_b32_e32 v10, 0, v11, vcc
	v_add3_u32 v6, v10, v3, v6
.LBB538_88:                             ; =>This Loop Header: Depth=1
                                        ;     Child Loop BB538_91 Depth 2
	v_cmp_ne_u16_sdwa s[38:39], v7, v14 src0_sel:BYTE_0 src1_sel:DWORD
	s_nop 1
	v_cndmask_b32_e64 v3, 0, 1, s[38:39]
	;;#ASMSTART
	;;#ASMEND
	s_nop 0
	v_cmp_ne_u32_e32 vcc, 0, v3
	s_cmp_lg_u64 vcc, exec
	v_mov_b32_e32 v3, v6
	s_cbranch_scc1 .LBB538_93
; %bb.89:                               ;   in Loop: Header=BB538_88 Depth=1
	v_lshl_add_u64 v[10:11], v[4:5], 3, s[36:37]
	global_load_dwordx2 v[6:7], v[10:11], off sc1
	s_waitcnt vmcnt(0)
	v_cmp_eq_u16_sdwa s[40:41], v7, v5 src0_sel:BYTE_0 src1_sel:DWORD
	s_and_saveexec_b64 s[38:39], s[40:41]
	s_cbranch_execz .LBB538_87
; %bb.90:                               ;   in Loop: Header=BB538_88 Depth=1
	s_mov_b64 s[40:41], 0
.LBB538_91:                             ;   Parent Loop BB538_88 Depth=1
                                        ; =>  This Inner Loop Header: Depth=2
	global_load_dwordx2 v[6:7], v[10:11], off sc1
	s_waitcnt vmcnt(0)
	v_cmp_ne_u16_sdwa s[44:45], v7, v5 src0_sel:BYTE_0 src1_sel:DWORD
	s_or_b64 s[40:41], s[44:45], s[40:41]
	s_andn2_b64 exec, exec, s[40:41]
	s_cbranch_execnz .LBB538_91
; %bb.92:                               ;   in Loop: Header=BB538_88 Depth=1
	s_or_b64 exec, exec, s[40:41]
	s_branch .LBB538_87
.LBB538_93:                             ;   in Loop: Header=BB538_88 Depth=1
                                        ; implicit-def: $vgpr6
                                        ; implicit-def: $vgpr7
	s_cbranch_execz .LBB538_88
; %bb.94:
	s_and_saveexec_b64 s[38:39], s[16:17]
	s_cbranch_execz .LBB538_96
; %bb.95:
	s_add_i32 s40, s42, 64
	s_mov_b32 s41, 0
	s_lshl_b64 s[40:41], s[40:41], 3
	s_add_u32 s40, s36, s40
	v_add_u32_e32 v4, v3, v2
	v_mov_b32_e32 v5, 2
	s_addc_u32 s41, s37, s41
	v_mov_b32_e32 v6, 0
	global_store_dwordx2 v6, v[4:5], s[40:41] sc1
	ds_write_b64 v6, v[2:3] offset:30720
.LBB538_96:
	s_or_b64 exec, exec, s[38:39]
	s_and_b64 exec, exec, s[18:19]
	s_cbranch_execz .LBB538_98
; %bb.97:
	v_mov_b32_e32 v2, 0
	ds_write_b32 v2, v3 offset:28
.LBB538_98:
	s_or_b64 exec, exec, s[0:1]
	v_mov_b32_e32 v14, 0
	s_waitcnt lgkmcnt(0)
	s_barrier
	ds_read_b32 v2, v14 offset:28
	v_cndmask_b32_e64 v3, v13, v12, s[16:17]
	v_cndmask_b32_e64 v3, v3, 0, s[18:19]
	s_waitcnt lgkmcnt(0)
	s_barrier
	v_add_u32_e32 v2, v2, v3
	v_add_u32_e32 v3, v2, v53
	;; [unrolled: 1-line block ×10, first 2 shown]
	ds_read_b64 v[26:27], v14 offset:30720
	v_add_u32_e32 v12, v11, v48
	v_add_u32_e32 v13, v12, v49
	;; [unrolled: 1-line block ×5, first 2 shown]
	s_waitcnt lgkmcnt(0)
	v_mov_b32_e32 v54, v27
	s_branch .LBB538_109
.LBB538_99:
                                        ; implicit-def: $vgpr54
                                        ; implicit-def: $vgpr26
                                        ; implicit-def: $vgpr2_vgpr3_vgpr4_vgpr5_vgpr6_vgpr7_vgpr8_vgpr9_vgpr10_vgpr11_vgpr12_vgpr13_vgpr14_vgpr15_vgpr16_vgpr17
	s_cbranch_execz .LBB538_109
; %bb.100:
	s_nop 0
	v_mov_b32_dpp v2, v59 row_shr:1 row_mask:0xf bank_mask:0xf
	v_cndmask_b32_e64 v2, v2, 0, s[14:15]
	v_add_u32_e32 v2, v2, v59
	s_nop 1
	v_mov_b32_dpp v3, v2 row_shr:2 row_mask:0xf bank_mask:0xf
	v_cndmask_b32_e64 v3, 0, v3, s[12:13]
	v_add_u32_e32 v2, v2, v3
	;; [unrolled: 4-line block ×4, first 2 shown]
	s_nop 1
	v_mov_b32_dpp v3, v2 row_bcast:15 row_mask:0xf bank_mask:0xf
	v_cndmask_b32_e64 v3, v3, 0, s[6:7]
	v_add_u32_e32 v2, v2, v3
	s_nop 1
	v_mov_b32_dpp v3, v2 row_bcast:31 row_mask:0xf bank_mask:0xf
	v_cndmask_b32_e64 v3, 0, v3, s[2:3]
	v_add_u32_e32 v2, v2, v3
	s_and_saveexec_b64 s[0:1], s[4:5]
	s_cbranch_execz .LBB538_102
; %bb.101:
	v_lshlrev_b32_e32 v3, 2, v58
	ds_write_b32 v3, v2
.LBB538_102:
	s_or_b64 exec, exec, s[0:1]
	v_cmp_gt_u32_e32 vcc, 8, v0
	s_waitcnt lgkmcnt(0)
	s_barrier
	s_and_saveexec_b64 s[0:1], vcc
	s_cbranch_execz .LBB538_104
; %bb.103:
	v_mad_i32_i24 v3, v0, -11, v21
	ds_read_b32 v4, v3
	v_and_b32_e32 v5, 7, v57
	v_cmp_ne_u32_e32 vcc, 0, v5
	s_waitcnt lgkmcnt(0)
	v_mov_b32_dpp v6, v4 row_shr:1 row_mask:0xf bank_mask:0xf
	v_cndmask_b32_e32 v6, 0, v6, vcc
	v_add_u32_e32 v4, v6, v4
	v_cmp_lt_u32_e32 vcc, 1, v5
	s_nop 0
	v_mov_b32_dpp v6, v4 row_shr:2 row_mask:0xf bank_mask:0xf
	v_cndmask_b32_e32 v6, 0, v6, vcc
	v_add_u32_e32 v4, v4, v6
	v_cmp_lt_u32_e32 vcc, 3, v5
	s_nop 0
	v_mov_b32_dpp v6, v4 row_shr:4 row_mask:0xf bank_mask:0xf
	v_cndmask_b32_e32 v5, 0, v6, vcc
	v_add_u32_e32 v4, v4, v5
	ds_write_b32 v3, v4
.LBB538_104:
	s_or_b64 exec, exec, s[0:1]
	v_cmp_lt_u32_e32 vcc, 63, v0
	v_mov_b32_e32 v4, 0
	v_mov_b32_e32 v3, 0
	s_waitcnt lgkmcnt(0)
	s_barrier
	s_and_saveexec_b64 s[0:1], vcc
	s_cbranch_execz .LBB538_106
; %bb.105:
	v_lshl_add_u32 v3, v58, 2, -4
	ds_read_b32 v3, v3
.LBB538_106:
	s_or_b64 exec, exec, s[0:1]
	v_add_u32_e32 v5, -1, v57
	v_and_b32_e32 v6, 64, v57
	v_cmp_lt_i32_e32 vcc, v5, v6
	s_waitcnt lgkmcnt(0)
	v_add_u32_e32 v2, v3, v2
	ds_read_b32 v26, v4 offset:28
	v_cndmask_b32_e32 v5, v5, v57, vcc
	v_lshlrev_b32_e32 v5, 2, v5
	ds_bpermute_b32 v2, v5, v2
	s_and_saveexec_b64 s[0:1], s[18:19]
	s_cbranch_execz .LBB538_108
; %bb.107:
	v_mov_b32_e32 v4, 0
	v_mov_b32_e32 v27, 2
	s_waitcnt lgkmcnt(1)
	global_store_dwordx2 v4, v[26:27], s[36:37] offset:512 sc1
.LBB538_108:
	s_or_b64 exec, exec, s[0:1]
	v_cmp_eq_u32_e32 vcc, 0, v57
	v_mov_b32_e32 v54, 0
	s_waitcnt lgkmcnt(0)
	v_cndmask_b32_e32 v2, v2, v3, vcc
	v_cndmask_b32_e64 v2, v2, 0, s[18:19]
	v_add_u32_e32 v3, v2, v53
	v_add_u32_e32 v4, v3, v55
	;; [unrolled: 1-line block ×14, first 2 shown]
	s_barrier
.LBB538_109:
	v_add_u32_e32 v21, v26, v21
	v_sub_u32_e32 v2, v2, v54
	v_and_b32_e32 v49, 1, v18
	v_sub_u32_e32 v48, v21, v2
	v_cmp_eq_u32_e32 vcc, 1, v49
	v_lshrrev_b32_e32 v47, 8, v18
	v_lshrrev_b32_e32 v27, 8, v19
	v_cndmask_b32_e32 v2, v48, v2, vcc
	v_lshlrev_b32_e32 v2, 2, v2
	ds_write_b32 v2, v40
	v_sub_u32_e32 v2, v3, v54
	v_sub_u32_e32 v3, v21, v2
	v_and_b32_e32 v40, 1, v47
	v_add_u32_e32 v3, 1, v3
	v_cmp_eq_u32_e32 vcc, 1, v40
	v_lshrrev_b32_e32 v17, 8, v20
	s_add_u32 s0, s26, s24
	v_cndmask_b32_e32 v2, v3, v2, vcc
	v_lshlrev_b32_e32 v2, 2, v2
	ds_write_b32 v2, v41
	v_sub_u32_e32 v2, v4, v54
	v_mov_b32_e32 v4, 1
	v_sub_u32_e32 v3, v21, v2
	v_and_b32_sdwa v18, v4, v18 dst_sel:DWORD dst_unused:UNUSED_PAD src0_sel:DWORD src1_sel:WORD_1
	v_add_u32_e32 v3, 2, v3
	v_cmp_eq_u32_e32 vcc, 1, v18
	s_addc_u32 s1, s27, 0
	s_sub_u32 s0, s30, s0
	v_cndmask_b32_e32 v2, v3, v2, vcc
	v_lshlrev_b32_e32 v2, 2, v2
	ds_write_b32 v2, v38
	v_sub_u32_e32 v2, v5, v54
	v_sub_u32_e32 v3, v21, v2
	v_and_b32_e32 v5, 1, v46
	v_add_u32_e32 v3, 3, v3
	v_cmp_eq_u32_e32 vcc, 1, v5
	v_and_b32_e32 v5, 1, v19
	s_subb_u32 s1, s31, s1
	v_cndmask_b32_e32 v2, v3, v2, vcc
	v_lshlrev_b32_e32 v2, 2, v2
	ds_write_b32 v2, v39
	v_sub_u32_e32 v2, v6, v54
	v_sub_u32_e32 v3, v21, v2
	v_add_u32_e32 v3, 4, v3
	v_cmp_eq_u32_e32 vcc, 1, v5
	v_and_b32_e32 v5, 1, v27
	v_or_b32_e32 v52, 0x200, v0
	v_cndmask_b32_e32 v2, v3, v2, vcc
	v_lshlrev_b32_e32 v2, 2, v2
	ds_write_b32 v2, v36
	v_sub_u32_e32 v2, v7, v54
	v_sub_u32_e32 v3, v21, v2
	v_add_u32_e32 v3, 5, v3
	v_cmp_eq_u32_e32 vcc, 1, v5
	v_and_b32_sdwa v5, v4, v19 dst_sel:DWORD dst_unused:UNUSED_PAD src0_sel:DWORD src1_sel:WORD_1
	v_and_b32_sdwa v4, v4, v20 dst_sel:DWORD dst_unused:UNUSED_PAD src0_sel:DWORD src1_sel:WORD_1
	v_cndmask_b32_e32 v2, v3, v2, vcc
	v_lshlrev_b32_e32 v2, 2, v2
	ds_write_b32 v2, v37
	v_sub_u32_e32 v2, v8, v54
	v_sub_u32_e32 v3, v21, v2
	v_add_u32_e32 v3, 6, v3
	v_cmp_eq_u32_e32 vcc, 1, v5
	v_and_b32_e32 v5, 1, v45
	v_or_b32_e32 v48, 0x400, v0
	v_cndmask_b32_e32 v2, v3, v2, vcc
	v_lshlrev_b32_e32 v2, 2, v2
	ds_write_b32 v2, v34
	v_sub_u32_e32 v2, v9, v54
	v_sub_u32_e32 v3, v21, v2
	v_add_u32_e32 v3, 7, v3
	v_cmp_eq_u32_e32 vcc, 1, v5
	v_and_b32_e32 v5, 1, v20
	v_or_b32_e32 v46, 0x600, v0
	;; [unrolled: 9-line block ×3, first 2 shown]
	v_cndmask_b32_e32 v2, v3, v2, vcc
	v_lshlrev_b32_e32 v2, 2, v2
	ds_write_b32 v2, v32
	v_sub_u32_e32 v2, v11, v54
	v_sub_u32_e32 v3, v21, v2
	v_add_u32_e32 v3, 9, v3
	v_cmp_eq_u32_e32 vcc, 1, v5
	v_or_b32_e32 v36, 0xc00, v0
	v_or_b32_e32 v34, 0xe00, v0
	v_cndmask_b32_e32 v2, v3, v2, vcc
	v_lshlrev_b32_e32 v2, 2, v2
	ds_write_b32 v2, v33
	v_sub_u32_e32 v2, v12, v54
	v_sub_u32_e32 v3, v21, v2
	v_add_u32_e32 v3, 10, v3
	v_cmp_eq_u32_e32 vcc, 1, v4
	v_and_b32_e32 v4, 1, v43
	v_or_b32_e32 v18, 0x1400, v0
	v_cndmask_b32_e32 v2, v3, v2, vcc
	v_lshlrev_b32_e32 v2, 2, v2
	ds_write_b32 v2, v30
	v_sub_u32_e32 v2, v13, v54
	v_sub_u32_e32 v3, v21, v2
	v_add_u32_e32 v3, 11, v3
	v_cmp_eq_u32_e32 vcc, 1, v4
	v_or_b32_e32 v30, 0x1000, v0
	v_or_b32_e32 v12, 0x1800, v0
	v_cndmask_b32_e32 v2, v3, v2, vcc
	v_lshlrev_b32_e32 v2, 2, v2
	ds_write_b32 v2, v31
	v_sub_u32_e32 v2, v14, v54
	v_sub_u32_e32 v3, v21, v2
	v_add_u32_e32 v3, 12, v3
	v_cmp_eq_u32_e32 vcc, 1, v44
	v_or_b32_e32 v10, 0x1a00, v0
	;; [unrolled: 9-line block ×4, first 2 shown]
	s_nop 0
	v_cndmask_b32_e32 v2, v3, v2, vcc
	v_lshlrev_b32_e32 v2, 2, v2
	ds_write_b32 v2, v1
	s_waitcnt lgkmcnt(0)
	s_barrier
	ds_read2st64_b32 v[50:51], v22 offset1:8
	ds_read2st64_b32 v[44:45], v22 offset0:16 offset1:24
	ds_read2st64_b32 v[38:39], v22 offset0:32 offset1:40
	;; [unrolled: 1-line block ×6, first 2 shown]
	ds_read_b32 v56, v22 offset:28672
	v_mov_b32_e32 v1, 0
	v_mov_b32_e32 v55, v1
	;; [unrolled: 1-line block ×3, first 2 shown]
	s_waitcnt vmcnt(0)
	v_lshl_add_u64 v[2:3], v[24:25], 0, v[54:55]
	v_lshl_add_u64 v[6:7], s[0:1], 0, v[26:27]
	v_mov_b32_e32 v53, v1
	v_mov_b32_e32 v49, v1
	;; [unrolled: 1-line block ×14, first 2 shown]
	s_andn2_b64 vcc, exec, s[34:35]
	v_lshl_add_u64 v[6:7], v[6:7], 0, v[2:3]
	s_cbranch_vccnz .LBB538_174
; %bb.110:
	v_cmp_ge_u32_e32 vcc, v0, v26
                                        ; implicit-def: $vgpr22_vgpr23
	s_and_saveexec_b64 s[0:1], vcc
	s_xor_b64 s[0:1], exec, s[0:1]
; %bb.111:
	v_not_b32_e32 v22, v0
	v_ashrrev_i32_e32 v23, 31, v22
	v_lshl_add_u64 v[22:23], v[6:7], 0, v[22:23]
; %bb.112:
	s_andn2_saveexec_b64 s[0:1], s[0:1]
; %bb.113:
	v_lshl_add_u64 v[22:23], v[2:3], 0, v[0:1]
; %bb.114:
	s_or_b64 exec, exec, s[0:1]
	v_lshl_add_u64 v[22:23], v[22:23], 2, s[28:29]
	v_cmp_ge_u32_e32 vcc, v52, v26
	s_waitcnt lgkmcnt(7)
	global_store_dword v[22:23], v50, off
                                        ; implicit-def: $vgpr22_vgpr23
	s_and_saveexec_b64 s[0:1], vcc
	s_xor_b64 s[0:1], exec, s[0:1]
; %bb.115:
	v_xor_b32_e32 v22, 0xfffffdff, v0
	v_ashrrev_i32_e32 v23, 31, v22
	v_lshl_add_u64 v[22:23], v[6:7], 0, v[22:23]
; %bb.116:
	s_andn2_saveexec_b64 s[0:1], s[0:1]
; %bb.117:
	v_lshl_add_u64 v[22:23], v[2:3], 0, v[52:53]
; %bb.118:
	s_or_b64 exec, exec, s[0:1]
	v_lshl_add_u64 v[22:23], v[22:23], 2, s[28:29]
	v_cmp_ge_u32_e32 vcc, v48, v26
	global_store_dword v[22:23], v51, off
                                        ; implicit-def: $vgpr22_vgpr23
	s_and_saveexec_b64 s[0:1], vcc
	s_xor_b64 s[0:1], exec, s[0:1]
; %bb.119:
	v_xor_b32_e32 v22, 0xfffffbff, v0
	v_ashrrev_i32_e32 v23, 31, v22
	v_lshl_add_u64 v[22:23], v[6:7], 0, v[22:23]
; %bb.120:
	s_andn2_saveexec_b64 s[0:1], s[0:1]
; %bb.121:
	v_lshl_add_u64 v[22:23], v[2:3], 0, v[48:49]
; %bb.122:
	s_or_b64 exec, exec, s[0:1]
	v_lshl_add_u64 v[22:23], v[22:23], 2, s[28:29]
	v_cmp_ge_u32_e32 vcc, v46, v26
	s_waitcnt lgkmcnt(6)
	global_store_dword v[22:23], v44, off
                                        ; implicit-def: $vgpr22_vgpr23
	s_and_saveexec_b64 s[0:1], vcc
	s_xor_b64 s[0:1], exec, s[0:1]
; %bb.123:
	v_xor_b32_e32 v22, 0xfffff9ff, v0
	v_ashrrev_i32_e32 v23, 31, v22
	v_lshl_add_u64 v[22:23], v[6:7], 0, v[22:23]
; %bb.124:
	s_andn2_saveexec_b64 s[0:1], s[0:1]
; %bb.125:
	v_lshl_add_u64 v[22:23], v[2:3], 0, v[46:47]
; %bb.126:
	s_or_b64 exec, exec, s[0:1]
	v_lshl_add_u64 v[22:23], v[22:23], 2, s[28:29]
	v_cmp_ge_u32_e32 vcc, v42, v26
	global_store_dword v[22:23], v45, off
                                        ; implicit-def: $vgpr22_vgpr23
	s_and_saveexec_b64 s[0:1], vcc
	s_xor_b64 s[0:1], exec, s[0:1]
; %bb.127:
	v_xor_b32_e32 v22, 0xfffff7ff, v0
	;; [unrolled: 33-line block ×7, first 2 shown]
	v_ashrrev_i32_e32 v23, 31, v22
	v_lshl_add_u64 v[22:23], v[6:7], 0, v[22:23]
; %bb.168:
	s_andn2_saveexec_b64 s[0:1], s[0:1]
; %bb.169:
	v_lshl_add_u64 v[22:23], v[2:3], 0, v[4:5]
; %bb.170:
	s_or_b64 exec, exec, s[0:1]
	s_mov_b64 s[0:1], -1
.LBB538_171:
	s_and_saveexec_b64 s[2:3], s[0:1]
	s_cbranch_execz .LBB538_266
.LBB538_172:
	v_lshl_add_u64 v[0:1], v[22:23], 2, s[28:29]
	s_waitcnt lgkmcnt(0)
	global_store_dword v[0:1], v56, off
	s_or_b64 exec, exec, s[2:3]
	s_and_b64 s[0:1], s[18:19], s[22:23]
	s_and_saveexec_b64 s[2:3], s[0:1]
	s_cbranch_execnz .LBB538_267
.LBB538_173:
	s_endpgm
.LBB538_174:
	s_mov_b64 s[0:1], 0
                                        ; implicit-def: $vgpr22_vgpr23
	s_cbranch_execz .LBB538_171
; %bb.175:
	v_cmp_gt_u32_e32 vcc, s33, v0
	s_and_saveexec_b64 s[2:3], vcc
	s_cbranch_execz .LBB538_217
; %bb.176:
	v_cmp_ge_u32_e32 vcc, v0, v26
                                        ; implicit-def: $vgpr22_vgpr23
	s_and_saveexec_b64 s[4:5], vcc
	s_xor_b64 s[4:5], exec, s[4:5]
; %bb.177:
	v_not_b32_e32 v22, v0
	v_ashrrev_i32_e32 v23, 31, v22
	v_lshl_add_u64 v[22:23], v[6:7], 0, v[22:23]
; %bb.178:
	s_andn2_saveexec_b64 s[4:5], s[4:5]
; %bb.179:
	v_lshl_add_u64 v[22:23], v[2:3], 0, v[0:1]
; %bb.180:
	s_or_b64 exec, exec, s[4:5]
	v_lshl_add_u64 v[22:23], v[22:23], 2, s[28:29]
	s_waitcnt lgkmcnt(7)
	global_store_dword v[22:23], v50, off
	s_or_b64 exec, exec, s[2:3]
	v_cmp_gt_u32_e32 vcc, s33, v52
	s_and_saveexec_b64 s[2:3], vcc
	s_cbranch_execnz .LBB538_218
.LBB538_181:
	s_or_b64 exec, exec, s[2:3]
	v_cmp_gt_u32_e32 vcc, s33, v48
	s_and_saveexec_b64 s[2:3], vcc
	s_cbranch_execz .LBB538_223
.LBB538_182:
	v_cmp_ge_u32_e32 vcc, v48, v26
                                        ; implicit-def: $vgpr22_vgpr23
	s_and_saveexec_b64 s[4:5], vcc
	s_xor_b64 s[4:5], exec, s[4:5]
; %bb.183:
	v_xor_b32_e32 v22, 0xfffffbff, v0
	v_ashrrev_i32_e32 v23, 31, v22
	v_lshl_add_u64 v[22:23], v[6:7], 0, v[22:23]
                                        ; implicit-def: $vgpr48_vgpr49
; %bb.184:
	s_andn2_saveexec_b64 s[4:5], s[4:5]
; %bb.185:
	v_lshl_add_u64 v[22:23], v[2:3], 0, v[48:49]
; %bb.186:
	s_or_b64 exec, exec, s[4:5]
	v_lshl_add_u64 v[22:23], v[22:23], 2, s[28:29]
	s_waitcnt lgkmcnt(6)
	global_store_dword v[22:23], v44, off
	s_or_b64 exec, exec, s[2:3]
	v_cmp_gt_u32_e32 vcc, s33, v46
	s_and_saveexec_b64 s[2:3], vcc
	s_cbranch_execnz .LBB538_224
.LBB538_187:
	s_or_b64 exec, exec, s[2:3]
	v_cmp_gt_u32_e32 vcc, s33, v42
	s_and_saveexec_b64 s[2:3], vcc
	s_cbranch_execz .LBB538_229
.LBB538_188:
	v_cmp_ge_u32_e32 vcc, v42, v26
                                        ; implicit-def: $vgpr22_vgpr23
	s_and_saveexec_b64 s[4:5], vcc
	s_xor_b64 s[4:5], exec, s[4:5]
; %bb.189:
	v_xor_b32_e32 v22, 0xfffff7ff, v0
	v_ashrrev_i32_e32 v23, 31, v22
	v_lshl_add_u64 v[22:23], v[6:7], 0, v[22:23]
                                        ; implicit-def: $vgpr42_vgpr43
; %bb.190:
	s_andn2_saveexec_b64 s[4:5], s[4:5]
; %bb.191:
	v_lshl_add_u64 v[22:23], v[2:3], 0, v[42:43]
; %bb.192:
	s_or_b64 exec, exec, s[4:5]
	v_lshl_add_u64 v[22:23], v[22:23], 2, s[28:29]
	s_waitcnt lgkmcnt(5)
	global_store_dword v[22:23], v38, off
	s_or_b64 exec, exec, s[2:3]
	v_cmp_gt_u32_e32 vcc, s33, v40
	s_and_saveexec_b64 s[2:3], vcc
	s_cbranch_execnz .LBB538_230
.LBB538_193:
	s_or_b64 exec, exec, s[2:3]
	v_cmp_gt_u32_e32 vcc, s33, v36
	s_and_saveexec_b64 s[2:3], vcc
	s_cbranch_execz .LBB538_235
.LBB538_194:
	v_cmp_ge_u32_e32 vcc, v36, v26
                                        ; implicit-def: $vgpr22_vgpr23
	s_and_saveexec_b64 s[4:5], vcc
	s_xor_b64 s[4:5], exec, s[4:5]
; %bb.195:
	v_xor_b32_e32 v22, 0xfffff3ff, v0
	v_ashrrev_i32_e32 v23, 31, v22
	v_lshl_add_u64 v[22:23], v[6:7], 0, v[22:23]
                                        ; implicit-def: $vgpr36_vgpr37
; %bb.196:
	s_andn2_saveexec_b64 s[4:5], s[4:5]
; %bb.197:
	v_lshl_add_u64 v[22:23], v[2:3], 0, v[36:37]
; %bb.198:
	s_or_b64 exec, exec, s[4:5]
	v_lshl_add_u64 v[22:23], v[22:23], 2, s[28:29]
	s_waitcnt lgkmcnt(4)
	global_store_dword v[22:23], v32, off
	s_or_b64 exec, exec, s[2:3]
	v_cmp_gt_u32_e32 vcc, s33, v34
	s_and_saveexec_b64 s[2:3], vcc
	s_cbranch_execnz .LBB538_236
.LBB538_199:
	s_or_b64 exec, exec, s[2:3]
	v_cmp_gt_u32_e32 vcc, s33, v30
	s_and_saveexec_b64 s[2:3], vcc
	s_cbranch_execz .LBB538_241
.LBB538_200:
	v_cmp_ge_u32_e32 vcc, v30, v26
                                        ; implicit-def: $vgpr22_vgpr23
	s_and_saveexec_b64 s[4:5], vcc
	s_xor_b64 s[4:5], exec, s[4:5]
; %bb.201:
	v_xor_b32_e32 v22, 0xffffefff, v0
	v_ashrrev_i32_e32 v23, 31, v22
	v_lshl_add_u64 v[22:23], v[6:7], 0, v[22:23]
                                        ; implicit-def: $vgpr30_vgpr31
; %bb.202:
	s_andn2_saveexec_b64 s[4:5], s[4:5]
; %bb.203:
	v_lshl_add_u64 v[22:23], v[2:3], 0, v[30:31]
; %bb.204:
	s_or_b64 exec, exec, s[4:5]
	v_lshl_add_u64 v[22:23], v[22:23], 2, s[28:29]
	s_waitcnt lgkmcnt(3)
	global_store_dword v[22:23], v20, off
	s_or_b64 exec, exec, s[2:3]
	v_cmp_gt_u32_e32 vcc, s33, v28
	s_and_saveexec_b64 s[2:3], vcc
	s_cbranch_execnz .LBB538_242
.LBB538_205:
	s_or_b64 exec, exec, s[2:3]
	v_cmp_gt_u32_e32 vcc, s33, v18
	s_and_saveexec_b64 s[2:3], vcc
	s_cbranch_execz .LBB538_247
.LBB538_206:
	v_cmp_ge_u32_e32 vcc, v18, v26
                                        ; implicit-def: $vgpr20_vgpr21
	s_and_saveexec_b64 s[4:5], vcc
	s_xor_b64 s[4:5], exec, s[4:5]
	s_cbranch_execz .LBB538_208
; %bb.207:
	v_xor_b32_e32 v18, 0xffffebff, v0
	v_ashrrev_i32_e32 v19, 31, v18
	s_waitcnt lgkmcnt(3)
	v_lshl_add_u64 v[20:21], v[6:7], 0, v[18:19]
                                        ; implicit-def: $vgpr18_vgpr19
.LBB538_208:
	s_andn2_saveexec_b64 s[4:5], s[4:5]
	s_cbranch_execz .LBB538_210
; %bb.209:
	s_waitcnt lgkmcnt(3)
	v_lshl_add_u64 v[20:21], v[2:3], 0, v[18:19]
.LBB538_210:
	s_or_b64 exec, exec, s[4:5]
	s_waitcnt lgkmcnt(3)
	v_lshl_add_u64 v[18:19], v[20:21], 2, s[28:29]
	s_waitcnt lgkmcnt(2)
	global_store_dword v[18:19], v14, off
	s_or_b64 exec, exec, s[2:3]
	v_cmp_gt_u32_e32 vcc, s33, v16
	s_and_saveexec_b64 s[2:3], vcc
	s_cbranch_execnz .LBB538_248
.LBB538_211:
	s_or_b64 exec, exec, s[2:3]
	v_cmp_gt_u32_e32 vcc, s33, v12
	s_and_saveexec_b64 s[2:3], vcc
	s_cbranch_execz .LBB538_253
.LBB538_212:
	v_cmp_ge_u32_e32 vcc, v12, v26
                                        ; implicit-def: $vgpr14_vgpr15
	s_and_saveexec_b64 s[4:5], vcc
	s_xor_b64 s[4:5], exec, s[4:5]
	s_cbranch_execz .LBB538_214
; %bb.213:
	v_xor_b32_e32 v12, 0xffffe7ff, v0
	v_ashrrev_i32_e32 v13, 31, v12
	s_waitcnt lgkmcnt(2)
	v_lshl_add_u64 v[14:15], v[6:7], 0, v[12:13]
                                        ; implicit-def: $vgpr12_vgpr13
.LBB538_214:
	s_andn2_saveexec_b64 s[4:5], s[4:5]
	s_cbranch_execz .LBB538_216
; %bb.215:
	s_waitcnt lgkmcnt(2)
	v_lshl_add_u64 v[14:15], v[2:3], 0, v[12:13]
.LBB538_216:
	s_or_b64 exec, exec, s[4:5]
	s_waitcnt lgkmcnt(2)
	v_lshl_add_u64 v[12:13], v[14:15], 2, s[28:29]
	s_waitcnt lgkmcnt(1)
	global_store_dword v[12:13], v8, off
	s_or_b64 exec, exec, s[2:3]
	v_cmp_gt_u32_e32 vcc, s33, v10
	s_and_saveexec_b64 s[2:3], vcc
	s_cbranch_execz .LBB538_259
	s_branch .LBB538_254
.LBB538_217:
	s_or_b64 exec, exec, s[2:3]
	v_cmp_gt_u32_e32 vcc, s33, v52
	s_and_saveexec_b64 s[2:3], vcc
	s_cbranch_execz .LBB538_181
.LBB538_218:
	v_cmp_ge_u32_e32 vcc, v52, v26
                                        ; implicit-def: $vgpr22_vgpr23
	s_and_saveexec_b64 s[4:5], vcc
	s_xor_b64 s[4:5], exec, s[4:5]
; %bb.219:
	v_xor_b32_e32 v22, 0xfffffdff, v0
	v_ashrrev_i32_e32 v23, 31, v22
	v_lshl_add_u64 v[22:23], v[6:7], 0, v[22:23]
                                        ; implicit-def: $vgpr52_vgpr53
; %bb.220:
	s_andn2_saveexec_b64 s[4:5], s[4:5]
; %bb.221:
	v_lshl_add_u64 v[22:23], v[2:3], 0, v[52:53]
; %bb.222:
	s_or_b64 exec, exec, s[4:5]
	v_lshl_add_u64 v[22:23], v[22:23], 2, s[28:29]
	s_waitcnt lgkmcnt(7)
	global_store_dword v[22:23], v51, off
	s_or_b64 exec, exec, s[2:3]
	v_cmp_gt_u32_e32 vcc, s33, v48
	s_and_saveexec_b64 s[2:3], vcc
	s_cbranch_execnz .LBB538_182
.LBB538_223:
	s_or_b64 exec, exec, s[2:3]
	v_cmp_gt_u32_e32 vcc, s33, v46
	s_and_saveexec_b64 s[2:3], vcc
	s_cbranch_execz .LBB538_187
.LBB538_224:
	v_cmp_ge_u32_e32 vcc, v46, v26
                                        ; implicit-def: $vgpr22_vgpr23
	s_and_saveexec_b64 s[4:5], vcc
	s_xor_b64 s[4:5], exec, s[4:5]
; %bb.225:
	v_xor_b32_e32 v22, 0xfffff9ff, v0
	v_ashrrev_i32_e32 v23, 31, v22
	v_lshl_add_u64 v[22:23], v[6:7], 0, v[22:23]
                                        ; implicit-def: $vgpr46_vgpr47
; %bb.226:
	s_andn2_saveexec_b64 s[4:5], s[4:5]
; %bb.227:
	v_lshl_add_u64 v[22:23], v[2:3], 0, v[46:47]
; %bb.228:
	s_or_b64 exec, exec, s[4:5]
	v_lshl_add_u64 v[22:23], v[22:23], 2, s[28:29]
	s_waitcnt lgkmcnt(6)
	global_store_dword v[22:23], v45, off
	s_or_b64 exec, exec, s[2:3]
	v_cmp_gt_u32_e32 vcc, s33, v42
	s_and_saveexec_b64 s[2:3], vcc
	s_cbranch_execnz .LBB538_188
.LBB538_229:
	s_or_b64 exec, exec, s[2:3]
	v_cmp_gt_u32_e32 vcc, s33, v40
	s_and_saveexec_b64 s[2:3], vcc
	s_cbranch_execz .LBB538_193
.LBB538_230:
	v_cmp_ge_u32_e32 vcc, v40, v26
                                        ; implicit-def: $vgpr22_vgpr23
	s_and_saveexec_b64 s[4:5], vcc
	s_xor_b64 s[4:5], exec, s[4:5]
; %bb.231:
	v_xor_b32_e32 v22, 0xfffff5ff, v0
	v_ashrrev_i32_e32 v23, 31, v22
	v_lshl_add_u64 v[22:23], v[6:7], 0, v[22:23]
                                        ; implicit-def: $vgpr40_vgpr41
; %bb.232:
	s_andn2_saveexec_b64 s[4:5], s[4:5]
; %bb.233:
	v_lshl_add_u64 v[22:23], v[2:3], 0, v[40:41]
; %bb.234:
	s_or_b64 exec, exec, s[4:5]
	v_lshl_add_u64 v[22:23], v[22:23], 2, s[28:29]
	s_waitcnt lgkmcnt(5)
	global_store_dword v[22:23], v39, off
	s_or_b64 exec, exec, s[2:3]
	v_cmp_gt_u32_e32 vcc, s33, v36
	s_and_saveexec_b64 s[2:3], vcc
	s_cbranch_execnz .LBB538_194
.LBB538_235:
	s_or_b64 exec, exec, s[2:3]
	v_cmp_gt_u32_e32 vcc, s33, v34
	s_and_saveexec_b64 s[2:3], vcc
	s_cbranch_execz .LBB538_199
.LBB538_236:
	v_cmp_ge_u32_e32 vcc, v34, v26
                                        ; implicit-def: $vgpr22_vgpr23
	s_and_saveexec_b64 s[4:5], vcc
	s_xor_b64 s[4:5], exec, s[4:5]
; %bb.237:
	v_xor_b32_e32 v22, 0xfffff1ff, v0
	v_ashrrev_i32_e32 v23, 31, v22
	v_lshl_add_u64 v[22:23], v[6:7], 0, v[22:23]
                                        ; implicit-def: $vgpr34_vgpr35
; %bb.238:
	s_andn2_saveexec_b64 s[4:5], s[4:5]
; %bb.239:
	v_lshl_add_u64 v[22:23], v[2:3], 0, v[34:35]
; %bb.240:
	s_or_b64 exec, exec, s[4:5]
	v_lshl_add_u64 v[22:23], v[22:23], 2, s[28:29]
	s_waitcnt lgkmcnt(4)
	global_store_dword v[22:23], v33, off
	s_or_b64 exec, exec, s[2:3]
	v_cmp_gt_u32_e32 vcc, s33, v30
	s_and_saveexec_b64 s[2:3], vcc
	s_cbranch_execnz .LBB538_200
.LBB538_241:
	s_or_b64 exec, exec, s[2:3]
	v_cmp_gt_u32_e32 vcc, s33, v28
	s_and_saveexec_b64 s[2:3], vcc
	s_cbranch_execz .LBB538_205
.LBB538_242:
	v_cmp_ge_u32_e32 vcc, v28, v26
                                        ; implicit-def: $vgpr22_vgpr23
	s_and_saveexec_b64 s[4:5], vcc
	s_xor_b64 s[4:5], exec, s[4:5]
; %bb.243:
	v_xor_b32_e32 v22, 0xffffedff, v0
	v_ashrrev_i32_e32 v23, 31, v22
	v_lshl_add_u64 v[22:23], v[6:7], 0, v[22:23]
                                        ; implicit-def: $vgpr28_vgpr29
; %bb.244:
	s_andn2_saveexec_b64 s[4:5], s[4:5]
; %bb.245:
	v_lshl_add_u64 v[22:23], v[2:3], 0, v[28:29]
; %bb.246:
	s_or_b64 exec, exec, s[4:5]
	v_lshl_add_u64 v[22:23], v[22:23], 2, s[28:29]
	s_waitcnt lgkmcnt(3)
	global_store_dword v[22:23], v21, off
	s_or_b64 exec, exec, s[2:3]
	v_cmp_gt_u32_e32 vcc, s33, v18
	s_and_saveexec_b64 s[2:3], vcc
	s_cbranch_execnz .LBB538_206
.LBB538_247:
	s_or_b64 exec, exec, s[2:3]
	v_cmp_gt_u32_e32 vcc, s33, v16
	s_and_saveexec_b64 s[2:3], vcc
	s_cbranch_execz .LBB538_211
.LBB538_248:
	v_cmp_ge_u32_e32 vcc, v16, v26
                                        ; implicit-def: $vgpr18_vgpr19
	s_and_saveexec_b64 s[4:5], vcc
	s_xor_b64 s[4:5], exec, s[4:5]
; %bb.249:
	v_xor_b32_e32 v16, 0xffffe9ff, v0
	v_ashrrev_i32_e32 v17, 31, v16
	v_lshl_add_u64 v[18:19], v[6:7], 0, v[16:17]
                                        ; implicit-def: $vgpr16_vgpr17
; %bb.250:
	s_andn2_saveexec_b64 s[4:5], s[4:5]
; %bb.251:
	v_lshl_add_u64 v[18:19], v[2:3], 0, v[16:17]
; %bb.252:
	s_or_b64 exec, exec, s[4:5]
	v_lshl_add_u64 v[16:17], v[18:19], 2, s[28:29]
	s_waitcnt lgkmcnt(2)
	global_store_dword v[16:17], v15, off
	s_or_b64 exec, exec, s[2:3]
	v_cmp_gt_u32_e32 vcc, s33, v12
	s_and_saveexec_b64 s[2:3], vcc
	s_cbranch_execnz .LBB538_212
.LBB538_253:
	s_or_b64 exec, exec, s[2:3]
	v_cmp_gt_u32_e32 vcc, s33, v10
	s_and_saveexec_b64 s[2:3], vcc
	s_cbranch_execz .LBB538_259
.LBB538_254:
	v_cmp_ge_u32_e32 vcc, v10, v26
                                        ; implicit-def: $vgpr12_vgpr13
	s_and_saveexec_b64 s[4:5], vcc
	s_xor_b64 s[4:5], exec, s[4:5]
; %bb.255:
	v_xor_b32_e32 v10, 0xffffe5ff, v0
	v_ashrrev_i32_e32 v11, 31, v10
	v_lshl_add_u64 v[12:13], v[6:7], 0, v[10:11]
                                        ; implicit-def: $vgpr10_vgpr11
; %bb.256:
	s_andn2_saveexec_b64 s[4:5], s[4:5]
; %bb.257:
	v_lshl_add_u64 v[12:13], v[2:3], 0, v[10:11]
; %bb.258:
	s_or_b64 exec, exec, s[4:5]
	v_lshl_add_u64 v[10:11], v[12:13], 2, s[28:29]
	s_waitcnt lgkmcnt(1)
	global_store_dword v[10:11], v9, off
.LBB538_259:
	s_or_b64 exec, exec, s[2:3]
	v_cmp_gt_u32_e32 vcc, s33, v4
                                        ; implicit-def: $vgpr22_vgpr23
	s_and_saveexec_b64 s[2:3], vcc
	s_cbranch_execz .LBB538_265
; %bb.260:
	v_cmp_ge_u32_e32 vcc, v4, v26
                                        ; implicit-def: $vgpr22_vgpr23
	s_and_saveexec_b64 s[4:5], vcc
	s_xor_b64 s[4:5], exec, s[4:5]
; %bb.261:
	v_xor_b32_e32 v0, 0xffffe3ff, v0
	v_ashrrev_i32_e32 v1, 31, v0
	v_lshl_add_u64 v[22:23], v[6:7], 0, v[0:1]
                                        ; implicit-def: $vgpr4_vgpr5
; %bb.262:
	s_andn2_saveexec_b64 s[4:5], s[4:5]
; %bb.263:
	v_lshl_add_u64 v[22:23], v[2:3], 0, v[4:5]
; %bb.264:
	s_or_b64 exec, exec, s[4:5]
	s_or_b64 s[0:1], s[0:1], exec
.LBB538_265:
	s_or_b64 exec, exec, s[2:3]
	s_and_saveexec_b64 s[2:3], s[0:1]
	s_cbranch_execnz .LBB538_172
.LBB538_266:
	s_or_b64 exec, exec, s[2:3]
	s_and_b64 s[0:1], s[18:19], s[22:23]
	s_and_saveexec_b64 s[2:3], s[0:1]
	s_cbranch_execz .LBB538_173
.LBB538_267:
	v_mov_b32_e32 v4, 0
	v_lshl_add_u64 v[0:1], v[2:3], 0, v[26:27]
	global_store_dwordx2 v4, v[0:1], s[20:21]
	s_endpgm
	.section	.rodata,"a",@progbits
	.p2align	6, 0x0
	.amdhsa_kernel _ZN7rocprim17ROCPRIM_400000_NS6detail17trampoline_kernelINS0_14default_configENS1_25partition_config_selectorILNS1_17partition_subalgoE2EiNS0_10empty_typeEbEEZZNS1_14partition_implILS5_2ELb0ES3_jN6thrust23THRUST_200600_302600_NS6detail15normal_iteratorINSA_7pointerIiNSA_11hip_rocprim3tagENSA_11use_defaultESG_EEEEPS6_NSA_18transform_iteratorINSA_8identityIiEENSC_INSA_10device_ptrIiEEEESG_SG_EENS0_5tupleIJPiSJ_EEENSR_IJSJ_SJ_EEES6_PlJS6_EEE10hipError_tPvRmT3_T4_T5_T6_T7_T9_mT8_P12ihipStream_tbDpT10_ENKUlT_T0_E_clISt17integral_constantIbLb0EES1E_IbLb1EEEEDaS1A_S1B_EUlS1A_E_NS1_11comp_targetILNS1_3genE5ELNS1_11target_archE942ELNS1_3gpuE9ELNS1_3repE0EEENS1_30default_config_static_selectorELNS0_4arch9wavefront6targetE1EEEvT1_
		.amdhsa_group_segment_fixed_size 30728
		.amdhsa_private_segment_fixed_size 0
		.amdhsa_kernarg_size 144
		.amdhsa_user_sgpr_count 2
		.amdhsa_user_sgpr_dispatch_ptr 0
		.amdhsa_user_sgpr_queue_ptr 0
		.amdhsa_user_sgpr_kernarg_segment_ptr 1
		.amdhsa_user_sgpr_dispatch_id 0
		.amdhsa_user_sgpr_kernarg_preload_length 0
		.amdhsa_user_sgpr_kernarg_preload_offset 0
		.amdhsa_user_sgpr_private_segment_size 0
		.amdhsa_uses_dynamic_stack 0
		.amdhsa_enable_private_segment 0
		.amdhsa_system_sgpr_workgroup_id_x 1
		.amdhsa_system_sgpr_workgroup_id_y 0
		.amdhsa_system_sgpr_workgroup_id_z 0
		.amdhsa_system_sgpr_workgroup_info 0
		.amdhsa_system_vgpr_workitem_id 0
		.amdhsa_next_free_vgpr 67
		.amdhsa_next_free_sgpr 46
		.amdhsa_accum_offset 68
		.amdhsa_reserve_vcc 1
		.amdhsa_float_round_mode_32 0
		.amdhsa_float_round_mode_16_64 0
		.amdhsa_float_denorm_mode_32 3
		.amdhsa_float_denorm_mode_16_64 3
		.amdhsa_dx10_clamp 1
		.amdhsa_ieee_mode 1
		.amdhsa_fp16_overflow 0
		.amdhsa_tg_split 0
		.amdhsa_exception_fp_ieee_invalid_op 0
		.amdhsa_exception_fp_denorm_src 0
		.amdhsa_exception_fp_ieee_div_zero 0
		.amdhsa_exception_fp_ieee_overflow 0
		.amdhsa_exception_fp_ieee_underflow 0
		.amdhsa_exception_fp_ieee_inexact 0
		.amdhsa_exception_int_div_zero 0
	.end_amdhsa_kernel
	.section	.text._ZN7rocprim17ROCPRIM_400000_NS6detail17trampoline_kernelINS0_14default_configENS1_25partition_config_selectorILNS1_17partition_subalgoE2EiNS0_10empty_typeEbEEZZNS1_14partition_implILS5_2ELb0ES3_jN6thrust23THRUST_200600_302600_NS6detail15normal_iteratorINSA_7pointerIiNSA_11hip_rocprim3tagENSA_11use_defaultESG_EEEEPS6_NSA_18transform_iteratorINSA_8identityIiEENSC_INSA_10device_ptrIiEEEESG_SG_EENS0_5tupleIJPiSJ_EEENSR_IJSJ_SJ_EEES6_PlJS6_EEE10hipError_tPvRmT3_T4_T5_T6_T7_T9_mT8_P12ihipStream_tbDpT10_ENKUlT_T0_E_clISt17integral_constantIbLb0EES1E_IbLb1EEEEDaS1A_S1B_EUlS1A_E_NS1_11comp_targetILNS1_3genE5ELNS1_11target_archE942ELNS1_3gpuE9ELNS1_3repE0EEENS1_30default_config_static_selectorELNS0_4arch9wavefront6targetE1EEEvT1_,"axG",@progbits,_ZN7rocprim17ROCPRIM_400000_NS6detail17trampoline_kernelINS0_14default_configENS1_25partition_config_selectorILNS1_17partition_subalgoE2EiNS0_10empty_typeEbEEZZNS1_14partition_implILS5_2ELb0ES3_jN6thrust23THRUST_200600_302600_NS6detail15normal_iteratorINSA_7pointerIiNSA_11hip_rocprim3tagENSA_11use_defaultESG_EEEEPS6_NSA_18transform_iteratorINSA_8identityIiEENSC_INSA_10device_ptrIiEEEESG_SG_EENS0_5tupleIJPiSJ_EEENSR_IJSJ_SJ_EEES6_PlJS6_EEE10hipError_tPvRmT3_T4_T5_T6_T7_T9_mT8_P12ihipStream_tbDpT10_ENKUlT_T0_E_clISt17integral_constantIbLb0EES1E_IbLb1EEEEDaS1A_S1B_EUlS1A_E_NS1_11comp_targetILNS1_3genE5ELNS1_11target_archE942ELNS1_3gpuE9ELNS1_3repE0EEENS1_30default_config_static_selectorELNS0_4arch9wavefront6targetE1EEEvT1_,comdat
.Lfunc_end538:
	.size	_ZN7rocprim17ROCPRIM_400000_NS6detail17trampoline_kernelINS0_14default_configENS1_25partition_config_selectorILNS1_17partition_subalgoE2EiNS0_10empty_typeEbEEZZNS1_14partition_implILS5_2ELb0ES3_jN6thrust23THRUST_200600_302600_NS6detail15normal_iteratorINSA_7pointerIiNSA_11hip_rocprim3tagENSA_11use_defaultESG_EEEEPS6_NSA_18transform_iteratorINSA_8identityIiEENSC_INSA_10device_ptrIiEEEESG_SG_EENS0_5tupleIJPiSJ_EEENSR_IJSJ_SJ_EEES6_PlJS6_EEE10hipError_tPvRmT3_T4_T5_T6_T7_T9_mT8_P12ihipStream_tbDpT10_ENKUlT_T0_E_clISt17integral_constantIbLb0EES1E_IbLb1EEEEDaS1A_S1B_EUlS1A_E_NS1_11comp_targetILNS1_3genE5ELNS1_11target_archE942ELNS1_3gpuE9ELNS1_3repE0EEENS1_30default_config_static_selectorELNS0_4arch9wavefront6targetE1EEEvT1_, .Lfunc_end538-_ZN7rocprim17ROCPRIM_400000_NS6detail17trampoline_kernelINS0_14default_configENS1_25partition_config_selectorILNS1_17partition_subalgoE2EiNS0_10empty_typeEbEEZZNS1_14partition_implILS5_2ELb0ES3_jN6thrust23THRUST_200600_302600_NS6detail15normal_iteratorINSA_7pointerIiNSA_11hip_rocprim3tagENSA_11use_defaultESG_EEEEPS6_NSA_18transform_iteratorINSA_8identityIiEENSC_INSA_10device_ptrIiEEEESG_SG_EENS0_5tupleIJPiSJ_EEENSR_IJSJ_SJ_EEES6_PlJS6_EEE10hipError_tPvRmT3_T4_T5_T6_T7_T9_mT8_P12ihipStream_tbDpT10_ENKUlT_T0_E_clISt17integral_constantIbLb0EES1E_IbLb1EEEEDaS1A_S1B_EUlS1A_E_NS1_11comp_targetILNS1_3genE5ELNS1_11target_archE942ELNS1_3gpuE9ELNS1_3repE0EEENS1_30default_config_static_selectorELNS0_4arch9wavefront6targetE1EEEvT1_
                                        ; -- End function
	.section	.AMDGPU.csdata,"",@progbits
; Kernel info:
; codeLenInByte = 8944
; NumSgprs: 52
; NumVgprs: 67
; NumAgprs: 0
; TotalNumVgprs: 67
; ScratchSize: 0
; MemoryBound: 0
; FloatMode: 240
; IeeeMode: 1
; LDSByteSize: 30728 bytes/workgroup (compile time only)
; SGPRBlocks: 6
; VGPRBlocks: 8
; NumSGPRsForWavesPerEU: 52
; NumVGPRsForWavesPerEU: 67
; AccumOffset: 68
; Occupancy: 4
; WaveLimiterHint : 1
; COMPUTE_PGM_RSRC2:SCRATCH_EN: 0
; COMPUTE_PGM_RSRC2:USER_SGPR: 2
; COMPUTE_PGM_RSRC2:TRAP_HANDLER: 0
; COMPUTE_PGM_RSRC2:TGID_X_EN: 1
; COMPUTE_PGM_RSRC2:TGID_Y_EN: 0
; COMPUTE_PGM_RSRC2:TGID_Z_EN: 0
; COMPUTE_PGM_RSRC2:TIDIG_COMP_CNT: 0
; COMPUTE_PGM_RSRC3_GFX90A:ACCUM_OFFSET: 16
; COMPUTE_PGM_RSRC3_GFX90A:TG_SPLIT: 0
	.section	.text._ZN7rocprim17ROCPRIM_400000_NS6detail17trampoline_kernelINS0_14default_configENS1_25partition_config_selectorILNS1_17partition_subalgoE2EiNS0_10empty_typeEbEEZZNS1_14partition_implILS5_2ELb0ES3_jN6thrust23THRUST_200600_302600_NS6detail15normal_iteratorINSA_7pointerIiNSA_11hip_rocprim3tagENSA_11use_defaultESG_EEEEPS6_NSA_18transform_iteratorINSA_8identityIiEENSC_INSA_10device_ptrIiEEEESG_SG_EENS0_5tupleIJPiSJ_EEENSR_IJSJ_SJ_EEES6_PlJS6_EEE10hipError_tPvRmT3_T4_T5_T6_T7_T9_mT8_P12ihipStream_tbDpT10_ENKUlT_T0_E_clISt17integral_constantIbLb0EES1E_IbLb1EEEEDaS1A_S1B_EUlS1A_E_NS1_11comp_targetILNS1_3genE4ELNS1_11target_archE910ELNS1_3gpuE8ELNS1_3repE0EEENS1_30default_config_static_selectorELNS0_4arch9wavefront6targetE1EEEvT1_,"axG",@progbits,_ZN7rocprim17ROCPRIM_400000_NS6detail17trampoline_kernelINS0_14default_configENS1_25partition_config_selectorILNS1_17partition_subalgoE2EiNS0_10empty_typeEbEEZZNS1_14partition_implILS5_2ELb0ES3_jN6thrust23THRUST_200600_302600_NS6detail15normal_iteratorINSA_7pointerIiNSA_11hip_rocprim3tagENSA_11use_defaultESG_EEEEPS6_NSA_18transform_iteratorINSA_8identityIiEENSC_INSA_10device_ptrIiEEEESG_SG_EENS0_5tupleIJPiSJ_EEENSR_IJSJ_SJ_EEES6_PlJS6_EEE10hipError_tPvRmT3_T4_T5_T6_T7_T9_mT8_P12ihipStream_tbDpT10_ENKUlT_T0_E_clISt17integral_constantIbLb0EES1E_IbLb1EEEEDaS1A_S1B_EUlS1A_E_NS1_11comp_targetILNS1_3genE4ELNS1_11target_archE910ELNS1_3gpuE8ELNS1_3repE0EEENS1_30default_config_static_selectorELNS0_4arch9wavefront6targetE1EEEvT1_,comdat
	.protected	_ZN7rocprim17ROCPRIM_400000_NS6detail17trampoline_kernelINS0_14default_configENS1_25partition_config_selectorILNS1_17partition_subalgoE2EiNS0_10empty_typeEbEEZZNS1_14partition_implILS5_2ELb0ES3_jN6thrust23THRUST_200600_302600_NS6detail15normal_iteratorINSA_7pointerIiNSA_11hip_rocprim3tagENSA_11use_defaultESG_EEEEPS6_NSA_18transform_iteratorINSA_8identityIiEENSC_INSA_10device_ptrIiEEEESG_SG_EENS0_5tupleIJPiSJ_EEENSR_IJSJ_SJ_EEES6_PlJS6_EEE10hipError_tPvRmT3_T4_T5_T6_T7_T9_mT8_P12ihipStream_tbDpT10_ENKUlT_T0_E_clISt17integral_constantIbLb0EES1E_IbLb1EEEEDaS1A_S1B_EUlS1A_E_NS1_11comp_targetILNS1_3genE4ELNS1_11target_archE910ELNS1_3gpuE8ELNS1_3repE0EEENS1_30default_config_static_selectorELNS0_4arch9wavefront6targetE1EEEvT1_ ; -- Begin function _ZN7rocprim17ROCPRIM_400000_NS6detail17trampoline_kernelINS0_14default_configENS1_25partition_config_selectorILNS1_17partition_subalgoE2EiNS0_10empty_typeEbEEZZNS1_14partition_implILS5_2ELb0ES3_jN6thrust23THRUST_200600_302600_NS6detail15normal_iteratorINSA_7pointerIiNSA_11hip_rocprim3tagENSA_11use_defaultESG_EEEEPS6_NSA_18transform_iteratorINSA_8identityIiEENSC_INSA_10device_ptrIiEEEESG_SG_EENS0_5tupleIJPiSJ_EEENSR_IJSJ_SJ_EEES6_PlJS6_EEE10hipError_tPvRmT3_T4_T5_T6_T7_T9_mT8_P12ihipStream_tbDpT10_ENKUlT_T0_E_clISt17integral_constantIbLb0EES1E_IbLb1EEEEDaS1A_S1B_EUlS1A_E_NS1_11comp_targetILNS1_3genE4ELNS1_11target_archE910ELNS1_3gpuE8ELNS1_3repE0EEENS1_30default_config_static_selectorELNS0_4arch9wavefront6targetE1EEEvT1_
	.globl	_ZN7rocprim17ROCPRIM_400000_NS6detail17trampoline_kernelINS0_14default_configENS1_25partition_config_selectorILNS1_17partition_subalgoE2EiNS0_10empty_typeEbEEZZNS1_14partition_implILS5_2ELb0ES3_jN6thrust23THRUST_200600_302600_NS6detail15normal_iteratorINSA_7pointerIiNSA_11hip_rocprim3tagENSA_11use_defaultESG_EEEEPS6_NSA_18transform_iteratorINSA_8identityIiEENSC_INSA_10device_ptrIiEEEESG_SG_EENS0_5tupleIJPiSJ_EEENSR_IJSJ_SJ_EEES6_PlJS6_EEE10hipError_tPvRmT3_T4_T5_T6_T7_T9_mT8_P12ihipStream_tbDpT10_ENKUlT_T0_E_clISt17integral_constantIbLb0EES1E_IbLb1EEEEDaS1A_S1B_EUlS1A_E_NS1_11comp_targetILNS1_3genE4ELNS1_11target_archE910ELNS1_3gpuE8ELNS1_3repE0EEENS1_30default_config_static_selectorELNS0_4arch9wavefront6targetE1EEEvT1_
	.p2align	8
	.type	_ZN7rocprim17ROCPRIM_400000_NS6detail17trampoline_kernelINS0_14default_configENS1_25partition_config_selectorILNS1_17partition_subalgoE2EiNS0_10empty_typeEbEEZZNS1_14partition_implILS5_2ELb0ES3_jN6thrust23THRUST_200600_302600_NS6detail15normal_iteratorINSA_7pointerIiNSA_11hip_rocprim3tagENSA_11use_defaultESG_EEEEPS6_NSA_18transform_iteratorINSA_8identityIiEENSC_INSA_10device_ptrIiEEEESG_SG_EENS0_5tupleIJPiSJ_EEENSR_IJSJ_SJ_EEES6_PlJS6_EEE10hipError_tPvRmT3_T4_T5_T6_T7_T9_mT8_P12ihipStream_tbDpT10_ENKUlT_T0_E_clISt17integral_constantIbLb0EES1E_IbLb1EEEEDaS1A_S1B_EUlS1A_E_NS1_11comp_targetILNS1_3genE4ELNS1_11target_archE910ELNS1_3gpuE8ELNS1_3repE0EEENS1_30default_config_static_selectorELNS0_4arch9wavefront6targetE1EEEvT1_,@function
_ZN7rocprim17ROCPRIM_400000_NS6detail17trampoline_kernelINS0_14default_configENS1_25partition_config_selectorILNS1_17partition_subalgoE2EiNS0_10empty_typeEbEEZZNS1_14partition_implILS5_2ELb0ES3_jN6thrust23THRUST_200600_302600_NS6detail15normal_iteratorINSA_7pointerIiNSA_11hip_rocprim3tagENSA_11use_defaultESG_EEEEPS6_NSA_18transform_iteratorINSA_8identityIiEENSC_INSA_10device_ptrIiEEEESG_SG_EENS0_5tupleIJPiSJ_EEENSR_IJSJ_SJ_EEES6_PlJS6_EEE10hipError_tPvRmT3_T4_T5_T6_T7_T9_mT8_P12ihipStream_tbDpT10_ENKUlT_T0_E_clISt17integral_constantIbLb0EES1E_IbLb1EEEEDaS1A_S1B_EUlS1A_E_NS1_11comp_targetILNS1_3genE4ELNS1_11target_archE910ELNS1_3gpuE8ELNS1_3repE0EEENS1_30default_config_static_selectorELNS0_4arch9wavefront6targetE1EEEvT1_: ; @_ZN7rocprim17ROCPRIM_400000_NS6detail17trampoline_kernelINS0_14default_configENS1_25partition_config_selectorILNS1_17partition_subalgoE2EiNS0_10empty_typeEbEEZZNS1_14partition_implILS5_2ELb0ES3_jN6thrust23THRUST_200600_302600_NS6detail15normal_iteratorINSA_7pointerIiNSA_11hip_rocprim3tagENSA_11use_defaultESG_EEEEPS6_NSA_18transform_iteratorINSA_8identityIiEENSC_INSA_10device_ptrIiEEEESG_SG_EENS0_5tupleIJPiSJ_EEENSR_IJSJ_SJ_EEES6_PlJS6_EEE10hipError_tPvRmT3_T4_T5_T6_T7_T9_mT8_P12ihipStream_tbDpT10_ENKUlT_T0_E_clISt17integral_constantIbLb0EES1E_IbLb1EEEEDaS1A_S1B_EUlS1A_E_NS1_11comp_targetILNS1_3genE4ELNS1_11target_archE910ELNS1_3gpuE8ELNS1_3repE0EEENS1_30default_config_static_selectorELNS0_4arch9wavefront6targetE1EEEvT1_
; %bb.0:
	.section	.rodata,"a",@progbits
	.p2align	6, 0x0
	.amdhsa_kernel _ZN7rocprim17ROCPRIM_400000_NS6detail17trampoline_kernelINS0_14default_configENS1_25partition_config_selectorILNS1_17partition_subalgoE2EiNS0_10empty_typeEbEEZZNS1_14partition_implILS5_2ELb0ES3_jN6thrust23THRUST_200600_302600_NS6detail15normal_iteratorINSA_7pointerIiNSA_11hip_rocprim3tagENSA_11use_defaultESG_EEEEPS6_NSA_18transform_iteratorINSA_8identityIiEENSC_INSA_10device_ptrIiEEEESG_SG_EENS0_5tupleIJPiSJ_EEENSR_IJSJ_SJ_EEES6_PlJS6_EEE10hipError_tPvRmT3_T4_T5_T6_T7_T9_mT8_P12ihipStream_tbDpT10_ENKUlT_T0_E_clISt17integral_constantIbLb0EES1E_IbLb1EEEEDaS1A_S1B_EUlS1A_E_NS1_11comp_targetILNS1_3genE4ELNS1_11target_archE910ELNS1_3gpuE8ELNS1_3repE0EEENS1_30default_config_static_selectorELNS0_4arch9wavefront6targetE1EEEvT1_
		.amdhsa_group_segment_fixed_size 0
		.amdhsa_private_segment_fixed_size 0
		.amdhsa_kernarg_size 144
		.amdhsa_user_sgpr_count 2
		.amdhsa_user_sgpr_dispatch_ptr 0
		.amdhsa_user_sgpr_queue_ptr 0
		.amdhsa_user_sgpr_kernarg_segment_ptr 1
		.amdhsa_user_sgpr_dispatch_id 0
		.amdhsa_user_sgpr_kernarg_preload_length 0
		.amdhsa_user_sgpr_kernarg_preload_offset 0
		.amdhsa_user_sgpr_private_segment_size 0
		.amdhsa_uses_dynamic_stack 0
		.amdhsa_enable_private_segment 0
		.amdhsa_system_sgpr_workgroup_id_x 1
		.amdhsa_system_sgpr_workgroup_id_y 0
		.amdhsa_system_sgpr_workgroup_id_z 0
		.amdhsa_system_sgpr_workgroup_info 0
		.amdhsa_system_vgpr_workitem_id 0
		.amdhsa_next_free_vgpr 1
		.amdhsa_next_free_sgpr 0
		.amdhsa_accum_offset 4
		.amdhsa_reserve_vcc 0
		.amdhsa_float_round_mode_32 0
		.amdhsa_float_round_mode_16_64 0
		.amdhsa_float_denorm_mode_32 3
		.amdhsa_float_denorm_mode_16_64 3
		.amdhsa_dx10_clamp 1
		.amdhsa_ieee_mode 1
		.amdhsa_fp16_overflow 0
		.amdhsa_tg_split 0
		.amdhsa_exception_fp_ieee_invalid_op 0
		.amdhsa_exception_fp_denorm_src 0
		.amdhsa_exception_fp_ieee_div_zero 0
		.amdhsa_exception_fp_ieee_overflow 0
		.amdhsa_exception_fp_ieee_underflow 0
		.amdhsa_exception_fp_ieee_inexact 0
		.amdhsa_exception_int_div_zero 0
	.end_amdhsa_kernel
	.section	.text._ZN7rocprim17ROCPRIM_400000_NS6detail17trampoline_kernelINS0_14default_configENS1_25partition_config_selectorILNS1_17partition_subalgoE2EiNS0_10empty_typeEbEEZZNS1_14partition_implILS5_2ELb0ES3_jN6thrust23THRUST_200600_302600_NS6detail15normal_iteratorINSA_7pointerIiNSA_11hip_rocprim3tagENSA_11use_defaultESG_EEEEPS6_NSA_18transform_iteratorINSA_8identityIiEENSC_INSA_10device_ptrIiEEEESG_SG_EENS0_5tupleIJPiSJ_EEENSR_IJSJ_SJ_EEES6_PlJS6_EEE10hipError_tPvRmT3_T4_T5_T6_T7_T9_mT8_P12ihipStream_tbDpT10_ENKUlT_T0_E_clISt17integral_constantIbLb0EES1E_IbLb1EEEEDaS1A_S1B_EUlS1A_E_NS1_11comp_targetILNS1_3genE4ELNS1_11target_archE910ELNS1_3gpuE8ELNS1_3repE0EEENS1_30default_config_static_selectorELNS0_4arch9wavefront6targetE1EEEvT1_,"axG",@progbits,_ZN7rocprim17ROCPRIM_400000_NS6detail17trampoline_kernelINS0_14default_configENS1_25partition_config_selectorILNS1_17partition_subalgoE2EiNS0_10empty_typeEbEEZZNS1_14partition_implILS5_2ELb0ES3_jN6thrust23THRUST_200600_302600_NS6detail15normal_iteratorINSA_7pointerIiNSA_11hip_rocprim3tagENSA_11use_defaultESG_EEEEPS6_NSA_18transform_iteratorINSA_8identityIiEENSC_INSA_10device_ptrIiEEEESG_SG_EENS0_5tupleIJPiSJ_EEENSR_IJSJ_SJ_EEES6_PlJS6_EEE10hipError_tPvRmT3_T4_T5_T6_T7_T9_mT8_P12ihipStream_tbDpT10_ENKUlT_T0_E_clISt17integral_constantIbLb0EES1E_IbLb1EEEEDaS1A_S1B_EUlS1A_E_NS1_11comp_targetILNS1_3genE4ELNS1_11target_archE910ELNS1_3gpuE8ELNS1_3repE0EEENS1_30default_config_static_selectorELNS0_4arch9wavefront6targetE1EEEvT1_,comdat
.Lfunc_end539:
	.size	_ZN7rocprim17ROCPRIM_400000_NS6detail17trampoline_kernelINS0_14default_configENS1_25partition_config_selectorILNS1_17partition_subalgoE2EiNS0_10empty_typeEbEEZZNS1_14partition_implILS5_2ELb0ES3_jN6thrust23THRUST_200600_302600_NS6detail15normal_iteratorINSA_7pointerIiNSA_11hip_rocprim3tagENSA_11use_defaultESG_EEEEPS6_NSA_18transform_iteratorINSA_8identityIiEENSC_INSA_10device_ptrIiEEEESG_SG_EENS0_5tupleIJPiSJ_EEENSR_IJSJ_SJ_EEES6_PlJS6_EEE10hipError_tPvRmT3_T4_T5_T6_T7_T9_mT8_P12ihipStream_tbDpT10_ENKUlT_T0_E_clISt17integral_constantIbLb0EES1E_IbLb1EEEEDaS1A_S1B_EUlS1A_E_NS1_11comp_targetILNS1_3genE4ELNS1_11target_archE910ELNS1_3gpuE8ELNS1_3repE0EEENS1_30default_config_static_selectorELNS0_4arch9wavefront6targetE1EEEvT1_, .Lfunc_end539-_ZN7rocprim17ROCPRIM_400000_NS6detail17trampoline_kernelINS0_14default_configENS1_25partition_config_selectorILNS1_17partition_subalgoE2EiNS0_10empty_typeEbEEZZNS1_14partition_implILS5_2ELb0ES3_jN6thrust23THRUST_200600_302600_NS6detail15normal_iteratorINSA_7pointerIiNSA_11hip_rocprim3tagENSA_11use_defaultESG_EEEEPS6_NSA_18transform_iteratorINSA_8identityIiEENSC_INSA_10device_ptrIiEEEESG_SG_EENS0_5tupleIJPiSJ_EEENSR_IJSJ_SJ_EEES6_PlJS6_EEE10hipError_tPvRmT3_T4_T5_T6_T7_T9_mT8_P12ihipStream_tbDpT10_ENKUlT_T0_E_clISt17integral_constantIbLb0EES1E_IbLb1EEEEDaS1A_S1B_EUlS1A_E_NS1_11comp_targetILNS1_3genE4ELNS1_11target_archE910ELNS1_3gpuE8ELNS1_3repE0EEENS1_30default_config_static_selectorELNS0_4arch9wavefront6targetE1EEEvT1_
                                        ; -- End function
	.section	.AMDGPU.csdata,"",@progbits
; Kernel info:
; codeLenInByte = 0
; NumSgprs: 6
; NumVgprs: 0
; NumAgprs: 0
; TotalNumVgprs: 0
; ScratchSize: 0
; MemoryBound: 0
; FloatMode: 240
; IeeeMode: 1
; LDSByteSize: 0 bytes/workgroup (compile time only)
; SGPRBlocks: 0
; VGPRBlocks: 0
; NumSGPRsForWavesPerEU: 6
; NumVGPRsForWavesPerEU: 1
; AccumOffset: 4
; Occupancy: 8
; WaveLimiterHint : 0
; COMPUTE_PGM_RSRC2:SCRATCH_EN: 0
; COMPUTE_PGM_RSRC2:USER_SGPR: 2
; COMPUTE_PGM_RSRC2:TRAP_HANDLER: 0
; COMPUTE_PGM_RSRC2:TGID_X_EN: 1
; COMPUTE_PGM_RSRC2:TGID_Y_EN: 0
; COMPUTE_PGM_RSRC2:TGID_Z_EN: 0
; COMPUTE_PGM_RSRC2:TIDIG_COMP_CNT: 0
; COMPUTE_PGM_RSRC3_GFX90A:ACCUM_OFFSET: 0
; COMPUTE_PGM_RSRC3_GFX90A:TG_SPLIT: 0
	.section	.text._ZN7rocprim17ROCPRIM_400000_NS6detail17trampoline_kernelINS0_14default_configENS1_25partition_config_selectorILNS1_17partition_subalgoE2EiNS0_10empty_typeEbEEZZNS1_14partition_implILS5_2ELb0ES3_jN6thrust23THRUST_200600_302600_NS6detail15normal_iteratorINSA_7pointerIiNSA_11hip_rocprim3tagENSA_11use_defaultESG_EEEEPS6_NSA_18transform_iteratorINSA_8identityIiEENSC_INSA_10device_ptrIiEEEESG_SG_EENS0_5tupleIJPiSJ_EEENSR_IJSJ_SJ_EEES6_PlJS6_EEE10hipError_tPvRmT3_T4_T5_T6_T7_T9_mT8_P12ihipStream_tbDpT10_ENKUlT_T0_E_clISt17integral_constantIbLb0EES1E_IbLb1EEEEDaS1A_S1B_EUlS1A_E_NS1_11comp_targetILNS1_3genE3ELNS1_11target_archE908ELNS1_3gpuE7ELNS1_3repE0EEENS1_30default_config_static_selectorELNS0_4arch9wavefront6targetE1EEEvT1_,"axG",@progbits,_ZN7rocprim17ROCPRIM_400000_NS6detail17trampoline_kernelINS0_14default_configENS1_25partition_config_selectorILNS1_17partition_subalgoE2EiNS0_10empty_typeEbEEZZNS1_14partition_implILS5_2ELb0ES3_jN6thrust23THRUST_200600_302600_NS6detail15normal_iteratorINSA_7pointerIiNSA_11hip_rocprim3tagENSA_11use_defaultESG_EEEEPS6_NSA_18transform_iteratorINSA_8identityIiEENSC_INSA_10device_ptrIiEEEESG_SG_EENS0_5tupleIJPiSJ_EEENSR_IJSJ_SJ_EEES6_PlJS6_EEE10hipError_tPvRmT3_T4_T5_T6_T7_T9_mT8_P12ihipStream_tbDpT10_ENKUlT_T0_E_clISt17integral_constantIbLb0EES1E_IbLb1EEEEDaS1A_S1B_EUlS1A_E_NS1_11comp_targetILNS1_3genE3ELNS1_11target_archE908ELNS1_3gpuE7ELNS1_3repE0EEENS1_30default_config_static_selectorELNS0_4arch9wavefront6targetE1EEEvT1_,comdat
	.protected	_ZN7rocprim17ROCPRIM_400000_NS6detail17trampoline_kernelINS0_14default_configENS1_25partition_config_selectorILNS1_17partition_subalgoE2EiNS0_10empty_typeEbEEZZNS1_14partition_implILS5_2ELb0ES3_jN6thrust23THRUST_200600_302600_NS6detail15normal_iteratorINSA_7pointerIiNSA_11hip_rocprim3tagENSA_11use_defaultESG_EEEEPS6_NSA_18transform_iteratorINSA_8identityIiEENSC_INSA_10device_ptrIiEEEESG_SG_EENS0_5tupleIJPiSJ_EEENSR_IJSJ_SJ_EEES6_PlJS6_EEE10hipError_tPvRmT3_T4_T5_T6_T7_T9_mT8_P12ihipStream_tbDpT10_ENKUlT_T0_E_clISt17integral_constantIbLb0EES1E_IbLb1EEEEDaS1A_S1B_EUlS1A_E_NS1_11comp_targetILNS1_3genE3ELNS1_11target_archE908ELNS1_3gpuE7ELNS1_3repE0EEENS1_30default_config_static_selectorELNS0_4arch9wavefront6targetE1EEEvT1_ ; -- Begin function _ZN7rocprim17ROCPRIM_400000_NS6detail17trampoline_kernelINS0_14default_configENS1_25partition_config_selectorILNS1_17partition_subalgoE2EiNS0_10empty_typeEbEEZZNS1_14partition_implILS5_2ELb0ES3_jN6thrust23THRUST_200600_302600_NS6detail15normal_iteratorINSA_7pointerIiNSA_11hip_rocprim3tagENSA_11use_defaultESG_EEEEPS6_NSA_18transform_iteratorINSA_8identityIiEENSC_INSA_10device_ptrIiEEEESG_SG_EENS0_5tupleIJPiSJ_EEENSR_IJSJ_SJ_EEES6_PlJS6_EEE10hipError_tPvRmT3_T4_T5_T6_T7_T9_mT8_P12ihipStream_tbDpT10_ENKUlT_T0_E_clISt17integral_constantIbLb0EES1E_IbLb1EEEEDaS1A_S1B_EUlS1A_E_NS1_11comp_targetILNS1_3genE3ELNS1_11target_archE908ELNS1_3gpuE7ELNS1_3repE0EEENS1_30default_config_static_selectorELNS0_4arch9wavefront6targetE1EEEvT1_
	.globl	_ZN7rocprim17ROCPRIM_400000_NS6detail17trampoline_kernelINS0_14default_configENS1_25partition_config_selectorILNS1_17partition_subalgoE2EiNS0_10empty_typeEbEEZZNS1_14partition_implILS5_2ELb0ES3_jN6thrust23THRUST_200600_302600_NS6detail15normal_iteratorINSA_7pointerIiNSA_11hip_rocprim3tagENSA_11use_defaultESG_EEEEPS6_NSA_18transform_iteratorINSA_8identityIiEENSC_INSA_10device_ptrIiEEEESG_SG_EENS0_5tupleIJPiSJ_EEENSR_IJSJ_SJ_EEES6_PlJS6_EEE10hipError_tPvRmT3_T4_T5_T6_T7_T9_mT8_P12ihipStream_tbDpT10_ENKUlT_T0_E_clISt17integral_constantIbLb0EES1E_IbLb1EEEEDaS1A_S1B_EUlS1A_E_NS1_11comp_targetILNS1_3genE3ELNS1_11target_archE908ELNS1_3gpuE7ELNS1_3repE0EEENS1_30default_config_static_selectorELNS0_4arch9wavefront6targetE1EEEvT1_
	.p2align	8
	.type	_ZN7rocprim17ROCPRIM_400000_NS6detail17trampoline_kernelINS0_14default_configENS1_25partition_config_selectorILNS1_17partition_subalgoE2EiNS0_10empty_typeEbEEZZNS1_14partition_implILS5_2ELb0ES3_jN6thrust23THRUST_200600_302600_NS6detail15normal_iteratorINSA_7pointerIiNSA_11hip_rocprim3tagENSA_11use_defaultESG_EEEEPS6_NSA_18transform_iteratorINSA_8identityIiEENSC_INSA_10device_ptrIiEEEESG_SG_EENS0_5tupleIJPiSJ_EEENSR_IJSJ_SJ_EEES6_PlJS6_EEE10hipError_tPvRmT3_T4_T5_T6_T7_T9_mT8_P12ihipStream_tbDpT10_ENKUlT_T0_E_clISt17integral_constantIbLb0EES1E_IbLb1EEEEDaS1A_S1B_EUlS1A_E_NS1_11comp_targetILNS1_3genE3ELNS1_11target_archE908ELNS1_3gpuE7ELNS1_3repE0EEENS1_30default_config_static_selectorELNS0_4arch9wavefront6targetE1EEEvT1_,@function
_ZN7rocprim17ROCPRIM_400000_NS6detail17trampoline_kernelINS0_14default_configENS1_25partition_config_selectorILNS1_17partition_subalgoE2EiNS0_10empty_typeEbEEZZNS1_14partition_implILS5_2ELb0ES3_jN6thrust23THRUST_200600_302600_NS6detail15normal_iteratorINSA_7pointerIiNSA_11hip_rocprim3tagENSA_11use_defaultESG_EEEEPS6_NSA_18transform_iteratorINSA_8identityIiEENSC_INSA_10device_ptrIiEEEESG_SG_EENS0_5tupleIJPiSJ_EEENSR_IJSJ_SJ_EEES6_PlJS6_EEE10hipError_tPvRmT3_T4_T5_T6_T7_T9_mT8_P12ihipStream_tbDpT10_ENKUlT_T0_E_clISt17integral_constantIbLb0EES1E_IbLb1EEEEDaS1A_S1B_EUlS1A_E_NS1_11comp_targetILNS1_3genE3ELNS1_11target_archE908ELNS1_3gpuE7ELNS1_3repE0EEENS1_30default_config_static_selectorELNS0_4arch9wavefront6targetE1EEEvT1_: ; @_ZN7rocprim17ROCPRIM_400000_NS6detail17trampoline_kernelINS0_14default_configENS1_25partition_config_selectorILNS1_17partition_subalgoE2EiNS0_10empty_typeEbEEZZNS1_14partition_implILS5_2ELb0ES3_jN6thrust23THRUST_200600_302600_NS6detail15normal_iteratorINSA_7pointerIiNSA_11hip_rocprim3tagENSA_11use_defaultESG_EEEEPS6_NSA_18transform_iteratorINSA_8identityIiEENSC_INSA_10device_ptrIiEEEESG_SG_EENS0_5tupleIJPiSJ_EEENSR_IJSJ_SJ_EEES6_PlJS6_EEE10hipError_tPvRmT3_T4_T5_T6_T7_T9_mT8_P12ihipStream_tbDpT10_ENKUlT_T0_E_clISt17integral_constantIbLb0EES1E_IbLb1EEEEDaS1A_S1B_EUlS1A_E_NS1_11comp_targetILNS1_3genE3ELNS1_11target_archE908ELNS1_3gpuE7ELNS1_3repE0EEENS1_30default_config_static_selectorELNS0_4arch9wavefront6targetE1EEEvT1_
; %bb.0:
	.section	.rodata,"a",@progbits
	.p2align	6, 0x0
	.amdhsa_kernel _ZN7rocprim17ROCPRIM_400000_NS6detail17trampoline_kernelINS0_14default_configENS1_25partition_config_selectorILNS1_17partition_subalgoE2EiNS0_10empty_typeEbEEZZNS1_14partition_implILS5_2ELb0ES3_jN6thrust23THRUST_200600_302600_NS6detail15normal_iteratorINSA_7pointerIiNSA_11hip_rocprim3tagENSA_11use_defaultESG_EEEEPS6_NSA_18transform_iteratorINSA_8identityIiEENSC_INSA_10device_ptrIiEEEESG_SG_EENS0_5tupleIJPiSJ_EEENSR_IJSJ_SJ_EEES6_PlJS6_EEE10hipError_tPvRmT3_T4_T5_T6_T7_T9_mT8_P12ihipStream_tbDpT10_ENKUlT_T0_E_clISt17integral_constantIbLb0EES1E_IbLb1EEEEDaS1A_S1B_EUlS1A_E_NS1_11comp_targetILNS1_3genE3ELNS1_11target_archE908ELNS1_3gpuE7ELNS1_3repE0EEENS1_30default_config_static_selectorELNS0_4arch9wavefront6targetE1EEEvT1_
		.amdhsa_group_segment_fixed_size 0
		.amdhsa_private_segment_fixed_size 0
		.amdhsa_kernarg_size 144
		.amdhsa_user_sgpr_count 2
		.amdhsa_user_sgpr_dispatch_ptr 0
		.amdhsa_user_sgpr_queue_ptr 0
		.amdhsa_user_sgpr_kernarg_segment_ptr 1
		.amdhsa_user_sgpr_dispatch_id 0
		.amdhsa_user_sgpr_kernarg_preload_length 0
		.amdhsa_user_sgpr_kernarg_preload_offset 0
		.amdhsa_user_sgpr_private_segment_size 0
		.amdhsa_uses_dynamic_stack 0
		.amdhsa_enable_private_segment 0
		.amdhsa_system_sgpr_workgroup_id_x 1
		.amdhsa_system_sgpr_workgroup_id_y 0
		.amdhsa_system_sgpr_workgroup_id_z 0
		.amdhsa_system_sgpr_workgroup_info 0
		.amdhsa_system_vgpr_workitem_id 0
		.amdhsa_next_free_vgpr 1
		.amdhsa_next_free_sgpr 0
		.amdhsa_accum_offset 4
		.amdhsa_reserve_vcc 0
		.amdhsa_float_round_mode_32 0
		.amdhsa_float_round_mode_16_64 0
		.amdhsa_float_denorm_mode_32 3
		.amdhsa_float_denorm_mode_16_64 3
		.amdhsa_dx10_clamp 1
		.amdhsa_ieee_mode 1
		.amdhsa_fp16_overflow 0
		.amdhsa_tg_split 0
		.amdhsa_exception_fp_ieee_invalid_op 0
		.amdhsa_exception_fp_denorm_src 0
		.amdhsa_exception_fp_ieee_div_zero 0
		.amdhsa_exception_fp_ieee_overflow 0
		.amdhsa_exception_fp_ieee_underflow 0
		.amdhsa_exception_fp_ieee_inexact 0
		.amdhsa_exception_int_div_zero 0
	.end_amdhsa_kernel
	.section	.text._ZN7rocprim17ROCPRIM_400000_NS6detail17trampoline_kernelINS0_14default_configENS1_25partition_config_selectorILNS1_17partition_subalgoE2EiNS0_10empty_typeEbEEZZNS1_14partition_implILS5_2ELb0ES3_jN6thrust23THRUST_200600_302600_NS6detail15normal_iteratorINSA_7pointerIiNSA_11hip_rocprim3tagENSA_11use_defaultESG_EEEEPS6_NSA_18transform_iteratorINSA_8identityIiEENSC_INSA_10device_ptrIiEEEESG_SG_EENS0_5tupleIJPiSJ_EEENSR_IJSJ_SJ_EEES6_PlJS6_EEE10hipError_tPvRmT3_T4_T5_T6_T7_T9_mT8_P12ihipStream_tbDpT10_ENKUlT_T0_E_clISt17integral_constantIbLb0EES1E_IbLb1EEEEDaS1A_S1B_EUlS1A_E_NS1_11comp_targetILNS1_3genE3ELNS1_11target_archE908ELNS1_3gpuE7ELNS1_3repE0EEENS1_30default_config_static_selectorELNS0_4arch9wavefront6targetE1EEEvT1_,"axG",@progbits,_ZN7rocprim17ROCPRIM_400000_NS6detail17trampoline_kernelINS0_14default_configENS1_25partition_config_selectorILNS1_17partition_subalgoE2EiNS0_10empty_typeEbEEZZNS1_14partition_implILS5_2ELb0ES3_jN6thrust23THRUST_200600_302600_NS6detail15normal_iteratorINSA_7pointerIiNSA_11hip_rocprim3tagENSA_11use_defaultESG_EEEEPS6_NSA_18transform_iteratorINSA_8identityIiEENSC_INSA_10device_ptrIiEEEESG_SG_EENS0_5tupleIJPiSJ_EEENSR_IJSJ_SJ_EEES6_PlJS6_EEE10hipError_tPvRmT3_T4_T5_T6_T7_T9_mT8_P12ihipStream_tbDpT10_ENKUlT_T0_E_clISt17integral_constantIbLb0EES1E_IbLb1EEEEDaS1A_S1B_EUlS1A_E_NS1_11comp_targetILNS1_3genE3ELNS1_11target_archE908ELNS1_3gpuE7ELNS1_3repE0EEENS1_30default_config_static_selectorELNS0_4arch9wavefront6targetE1EEEvT1_,comdat
.Lfunc_end540:
	.size	_ZN7rocprim17ROCPRIM_400000_NS6detail17trampoline_kernelINS0_14default_configENS1_25partition_config_selectorILNS1_17partition_subalgoE2EiNS0_10empty_typeEbEEZZNS1_14partition_implILS5_2ELb0ES3_jN6thrust23THRUST_200600_302600_NS6detail15normal_iteratorINSA_7pointerIiNSA_11hip_rocprim3tagENSA_11use_defaultESG_EEEEPS6_NSA_18transform_iteratorINSA_8identityIiEENSC_INSA_10device_ptrIiEEEESG_SG_EENS0_5tupleIJPiSJ_EEENSR_IJSJ_SJ_EEES6_PlJS6_EEE10hipError_tPvRmT3_T4_T5_T6_T7_T9_mT8_P12ihipStream_tbDpT10_ENKUlT_T0_E_clISt17integral_constantIbLb0EES1E_IbLb1EEEEDaS1A_S1B_EUlS1A_E_NS1_11comp_targetILNS1_3genE3ELNS1_11target_archE908ELNS1_3gpuE7ELNS1_3repE0EEENS1_30default_config_static_selectorELNS0_4arch9wavefront6targetE1EEEvT1_, .Lfunc_end540-_ZN7rocprim17ROCPRIM_400000_NS6detail17trampoline_kernelINS0_14default_configENS1_25partition_config_selectorILNS1_17partition_subalgoE2EiNS0_10empty_typeEbEEZZNS1_14partition_implILS5_2ELb0ES3_jN6thrust23THRUST_200600_302600_NS6detail15normal_iteratorINSA_7pointerIiNSA_11hip_rocprim3tagENSA_11use_defaultESG_EEEEPS6_NSA_18transform_iteratorINSA_8identityIiEENSC_INSA_10device_ptrIiEEEESG_SG_EENS0_5tupleIJPiSJ_EEENSR_IJSJ_SJ_EEES6_PlJS6_EEE10hipError_tPvRmT3_T4_T5_T6_T7_T9_mT8_P12ihipStream_tbDpT10_ENKUlT_T0_E_clISt17integral_constantIbLb0EES1E_IbLb1EEEEDaS1A_S1B_EUlS1A_E_NS1_11comp_targetILNS1_3genE3ELNS1_11target_archE908ELNS1_3gpuE7ELNS1_3repE0EEENS1_30default_config_static_selectorELNS0_4arch9wavefront6targetE1EEEvT1_
                                        ; -- End function
	.section	.AMDGPU.csdata,"",@progbits
; Kernel info:
; codeLenInByte = 0
; NumSgprs: 6
; NumVgprs: 0
; NumAgprs: 0
; TotalNumVgprs: 0
; ScratchSize: 0
; MemoryBound: 0
; FloatMode: 240
; IeeeMode: 1
; LDSByteSize: 0 bytes/workgroup (compile time only)
; SGPRBlocks: 0
; VGPRBlocks: 0
; NumSGPRsForWavesPerEU: 6
; NumVGPRsForWavesPerEU: 1
; AccumOffset: 4
; Occupancy: 8
; WaveLimiterHint : 0
; COMPUTE_PGM_RSRC2:SCRATCH_EN: 0
; COMPUTE_PGM_RSRC2:USER_SGPR: 2
; COMPUTE_PGM_RSRC2:TRAP_HANDLER: 0
; COMPUTE_PGM_RSRC2:TGID_X_EN: 1
; COMPUTE_PGM_RSRC2:TGID_Y_EN: 0
; COMPUTE_PGM_RSRC2:TGID_Z_EN: 0
; COMPUTE_PGM_RSRC2:TIDIG_COMP_CNT: 0
; COMPUTE_PGM_RSRC3_GFX90A:ACCUM_OFFSET: 0
; COMPUTE_PGM_RSRC3_GFX90A:TG_SPLIT: 0
	.section	.text._ZN7rocprim17ROCPRIM_400000_NS6detail17trampoline_kernelINS0_14default_configENS1_25partition_config_selectorILNS1_17partition_subalgoE2EiNS0_10empty_typeEbEEZZNS1_14partition_implILS5_2ELb0ES3_jN6thrust23THRUST_200600_302600_NS6detail15normal_iteratorINSA_7pointerIiNSA_11hip_rocprim3tagENSA_11use_defaultESG_EEEEPS6_NSA_18transform_iteratorINSA_8identityIiEENSC_INSA_10device_ptrIiEEEESG_SG_EENS0_5tupleIJPiSJ_EEENSR_IJSJ_SJ_EEES6_PlJS6_EEE10hipError_tPvRmT3_T4_T5_T6_T7_T9_mT8_P12ihipStream_tbDpT10_ENKUlT_T0_E_clISt17integral_constantIbLb0EES1E_IbLb1EEEEDaS1A_S1B_EUlS1A_E_NS1_11comp_targetILNS1_3genE2ELNS1_11target_archE906ELNS1_3gpuE6ELNS1_3repE0EEENS1_30default_config_static_selectorELNS0_4arch9wavefront6targetE1EEEvT1_,"axG",@progbits,_ZN7rocprim17ROCPRIM_400000_NS6detail17trampoline_kernelINS0_14default_configENS1_25partition_config_selectorILNS1_17partition_subalgoE2EiNS0_10empty_typeEbEEZZNS1_14partition_implILS5_2ELb0ES3_jN6thrust23THRUST_200600_302600_NS6detail15normal_iteratorINSA_7pointerIiNSA_11hip_rocprim3tagENSA_11use_defaultESG_EEEEPS6_NSA_18transform_iteratorINSA_8identityIiEENSC_INSA_10device_ptrIiEEEESG_SG_EENS0_5tupleIJPiSJ_EEENSR_IJSJ_SJ_EEES6_PlJS6_EEE10hipError_tPvRmT3_T4_T5_T6_T7_T9_mT8_P12ihipStream_tbDpT10_ENKUlT_T0_E_clISt17integral_constantIbLb0EES1E_IbLb1EEEEDaS1A_S1B_EUlS1A_E_NS1_11comp_targetILNS1_3genE2ELNS1_11target_archE906ELNS1_3gpuE6ELNS1_3repE0EEENS1_30default_config_static_selectorELNS0_4arch9wavefront6targetE1EEEvT1_,comdat
	.protected	_ZN7rocprim17ROCPRIM_400000_NS6detail17trampoline_kernelINS0_14default_configENS1_25partition_config_selectorILNS1_17partition_subalgoE2EiNS0_10empty_typeEbEEZZNS1_14partition_implILS5_2ELb0ES3_jN6thrust23THRUST_200600_302600_NS6detail15normal_iteratorINSA_7pointerIiNSA_11hip_rocprim3tagENSA_11use_defaultESG_EEEEPS6_NSA_18transform_iteratorINSA_8identityIiEENSC_INSA_10device_ptrIiEEEESG_SG_EENS0_5tupleIJPiSJ_EEENSR_IJSJ_SJ_EEES6_PlJS6_EEE10hipError_tPvRmT3_T4_T5_T6_T7_T9_mT8_P12ihipStream_tbDpT10_ENKUlT_T0_E_clISt17integral_constantIbLb0EES1E_IbLb1EEEEDaS1A_S1B_EUlS1A_E_NS1_11comp_targetILNS1_3genE2ELNS1_11target_archE906ELNS1_3gpuE6ELNS1_3repE0EEENS1_30default_config_static_selectorELNS0_4arch9wavefront6targetE1EEEvT1_ ; -- Begin function _ZN7rocprim17ROCPRIM_400000_NS6detail17trampoline_kernelINS0_14default_configENS1_25partition_config_selectorILNS1_17partition_subalgoE2EiNS0_10empty_typeEbEEZZNS1_14partition_implILS5_2ELb0ES3_jN6thrust23THRUST_200600_302600_NS6detail15normal_iteratorINSA_7pointerIiNSA_11hip_rocprim3tagENSA_11use_defaultESG_EEEEPS6_NSA_18transform_iteratorINSA_8identityIiEENSC_INSA_10device_ptrIiEEEESG_SG_EENS0_5tupleIJPiSJ_EEENSR_IJSJ_SJ_EEES6_PlJS6_EEE10hipError_tPvRmT3_T4_T5_T6_T7_T9_mT8_P12ihipStream_tbDpT10_ENKUlT_T0_E_clISt17integral_constantIbLb0EES1E_IbLb1EEEEDaS1A_S1B_EUlS1A_E_NS1_11comp_targetILNS1_3genE2ELNS1_11target_archE906ELNS1_3gpuE6ELNS1_3repE0EEENS1_30default_config_static_selectorELNS0_4arch9wavefront6targetE1EEEvT1_
	.globl	_ZN7rocprim17ROCPRIM_400000_NS6detail17trampoline_kernelINS0_14default_configENS1_25partition_config_selectorILNS1_17partition_subalgoE2EiNS0_10empty_typeEbEEZZNS1_14partition_implILS5_2ELb0ES3_jN6thrust23THRUST_200600_302600_NS6detail15normal_iteratorINSA_7pointerIiNSA_11hip_rocprim3tagENSA_11use_defaultESG_EEEEPS6_NSA_18transform_iteratorINSA_8identityIiEENSC_INSA_10device_ptrIiEEEESG_SG_EENS0_5tupleIJPiSJ_EEENSR_IJSJ_SJ_EEES6_PlJS6_EEE10hipError_tPvRmT3_T4_T5_T6_T7_T9_mT8_P12ihipStream_tbDpT10_ENKUlT_T0_E_clISt17integral_constantIbLb0EES1E_IbLb1EEEEDaS1A_S1B_EUlS1A_E_NS1_11comp_targetILNS1_3genE2ELNS1_11target_archE906ELNS1_3gpuE6ELNS1_3repE0EEENS1_30default_config_static_selectorELNS0_4arch9wavefront6targetE1EEEvT1_
	.p2align	8
	.type	_ZN7rocprim17ROCPRIM_400000_NS6detail17trampoline_kernelINS0_14default_configENS1_25partition_config_selectorILNS1_17partition_subalgoE2EiNS0_10empty_typeEbEEZZNS1_14partition_implILS5_2ELb0ES3_jN6thrust23THRUST_200600_302600_NS6detail15normal_iteratorINSA_7pointerIiNSA_11hip_rocprim3tagENSA_11use_defaultESG_EEEEPS6_NSA_18transform_iteratorINSA_8identityIiEENSC_INSA_10device_ptrIiEEEESG_SG_EENS0_5tupleIJPiSJ_EEENSR_IJSJ_SJ_EEES6_PlJS6_EEE10hipError_tPvRmT3_T4_T5_T6_T7_T9_mT8_P12ihipStream_tbDpT10_ENKUlT_T0_E_clISt17integral_constantIbLb0EES1E_IbLb1EEEEDaS1A_S1B_EUlS1A_E_NS1_11comp_targetILNS1_3genE2ELNS1_11target_archE906ELNS1_3gpuE6ELNS1_3repE0EEENS1_30default_config_static_selectorELNS0_4arch9wavefront6targetE1EEEvT1_,@function
_ZN7rocprim17ROCPRIM_400000_NS6detail17trampoline_kernelINS0_14default_configENS1_25partition_config_selectorILNS1_17partition_subalgoE2EiNS0_10empty_typeEbEEZZNS1_14partition_implILS5_2ELb0ES3_jN6thrust23THRUST_200600_302600_NS6detail15normal_iteratorINSA_7pointerIiNSA_11hip_rocprim3tagENSA_11use_defaultESG_EEEEPS6_NSA_18transform_iteratorINSA_8identityIiEENSC_INSA_10device_ptrIiEEEESG_SG_EENS0_5tupleIJPiSJ_EEENSR_IJSJ_SJ_EEES6_PlJS6_EEE10hipError_tPvRmT3_T4_T5_T6_T7_T9_mT8_P12ihipStream_tbDpT10_ENKUlT_T0_E_clISt17integral_constantIbLb0EES1E_IbLb1EEEEDaS1A_S1B_EUlS1A_E_NS1_11comp_targetILNS1_3genE2ELNS1_11target_archE906ELNS1_3gpuE6ELNS1_3repE0EEENS1_30default_config_static_selectorELNS0_4arch9wavefront6targetE1EEEvT1_: ; @_ZN7rocprim17ROCPRIM_400000_NS6detail17trampoline_kernelINS0_14default_configENS1_25partition_config_selectorILNS1_17partition_subalgoE2EiNS0_10empty_typeEbEEZZNS1_14partition_implILS5_2ELb0ES3_jN6thrust23THRUST_200600_302600_NS6detail15normal_iteratorINSA_7pointerIiNSA_11hip_rocprim3tagENSA_11use_defaultESG_EEEEPS6_NSA_18transform_iteratorINSA_8identityIiEENSC_INSA_10device_ptrIiEEEESG_SG_EENS0_5tupleIJPiSJ_EEENSR_IJSJ_SJ_EEES6_PlJS6_EEE10hipError_tPvRmT3_T4_T5_T6_T7_T9_mT8_P12ihipStream_tbDpT10_ENKUlT_T0_E_clISt17integral_constantIbLb0EES1E_IbLb1EEEEDaS1A_S1B_EUlS1A_E_NS1_11comp_targetILNS1_3genE2ELNS1_11target_archE906ELNS1_3gpuE6ELNS1_3repE0EEENS1_30default_config_static_selectorELNS0_4arch9wavefront6targetE1EEEvT1_
; %bb.0:
	.section	.rodata,"a",@progbits
	.p2align	6, 0x0
	.amdhsa_kernel _ZN7rocprim17ROCPRIM_400000_NS6detail17trampoline_kernelINS0_14default_configENS1_25partition_config_selectorILNS1_17partition_subalgoE2EiNS0_10empty_typeEbEEZZNS1_14partition_implILS5_2ELb0ES3_jN6thrust23THRUST_200600_302600_NS6detail15normal_iteratorINSA_7pointerIiNSA_11hip_rocprim3tagENSA_11use_defaultESG_EEEEPS6_NSA_18transform_iteratorINSA_8identityIiEENSC_INSA_10device_ptrIiEEEESG_SG_EENS0_5tupleIJPiSJ_EEENSR_IJSJ_SJ_EEES6_PlJS6_EEE10hipError_tPvRmT3_T4_T5_T6_T7_T9_mT8_P12ihipStream_tbDpT10_ENKUlT_T0_E_clISt17integral_constantIbLb0EES1E_IbLb1EEEEDaS1A_S1B_EUlS1A_E_NS1_11comp_targetILNS1_3genE2ELNS1_11target_archE906ELNS1_3gpuE6ELNS1_3repE0EEENS1_30default_config_static_selectorELNS0_4arch9wavefront6targetE1EEEvT1_
		.amdhsa_group_segment_fixed_size 0
		.amdhsa_private_segment_fixed_size 0
		.amdhsa_kernarg_size 144
		.amdhsa_user_sgpr_count 2
		.amdhsa_user_sgpr_dispatch_ptr 0
		.amdhsa_user_sgpr_queue_ptr 0
		.amdhsa_user_sgpr_kernarg_segment_ptr 1
		.amdhsa_user_sgpr_dispatch_id 0
		.amdhsa_user_sgpr_kernarg_preload_length 0
		.amdhsa_user_sgpr_kernarg_preload_offset 0
		.amdhsa_user_sgpr_private_segment_size 0
		.amdhsa_uses_dynamic_stack 0
		.amdhsa_enable_private_segment 0
		.amdhsa_system_sgpr_workgroup_id_x 1
		.amdhsa_system_sgpr_workgroup_id_y 0
		.amdhsa_system_sgpr_workgroup_id_z 0
		.amdhsa_system_sgpr_workgroup_info 0
		.amdhsa_system_vgpr_workitem_id 0
		.amdhsa_next_free_vgpr 1
		.amdhsa_next_free_sgpr 0
		.amdhsa_accum_offset 4
		.amdhsa_reserve_vcc 0
		.amdhsa_float_round_mode_32 0
		.amdhsa_float_round_mode_16_64 0
		.amdhsa_float_denorm_mode_32 3
		.amdhsa_float_denorm_mode_16_64 3
		.amdhsa_dx10_clamp 1
		.amdhsa_ieee_mode 1
		.amdhsa_fp16_overflow 0
		.amdhsa_tg_split 0
		.amdhsa_exception_fp_ieee_invalid_op 0
		.amdhsa_exception_fp_denorm_src 0
		.amdhsa_exception_fp_ieee_div_zero 0
		.amdhsa_exception_fp_ieee_overflow 0
		.amdhsa_exception_fp_ieee_underflow 0
		.amdhsa_exception_fp_ieee_inexact 0
		.amdhsa_exception_int_div_zero 0
	.end_amdhsa_kernel
	.section	.text._ZN7rocprim17ROCPRIM_400000_NS6detail17trampoline_kernelINS0_14default_configENS1_25partition_config_selectorILNS1_17partition_subalgoE2EiNS0_10empty_typeEbEEZZNS1_14partition_implILS5_2ELb0ES3_jN6thrust23THRUST_200600_302600_NS6detail15normal_iteratorINSA_7pointerIiNSA_11hip_rocprim3tagENSA_11use_defaultESG_EEEEPS6_NSA_18transform_iteratorINSA_8identityIiEENSC_INSA_10device_ptrIiEEEESG_SG_EENS0_5tupleIJPiSJ_EEENSR_IJSJ_SJ_EEES6_PlJS6_EEE10hipError_tPvRmT3_T4_T5_T6_T7_T9_mT8_P12ihipStream_tbDpT10_ENKUlT_T0_E_clISt17integral_constantIbLb0EES1E_IbLb1EEEEDaS1A_S1B_EUlS1A_E_NS1_11comp_targetILNS1_3genE2ELNS1_11target_archE906ELNS1_3gpuE6ELNS1_3repE0EEENS1_30default_config_static_selectorELNS0_4arch9wavefront6targetE1EEEvT1_,"axG",@progbits,_ZN7rocprim17ROCPRIM_400000_NS6detail17trampoline_kernelINS0_14default_configENS1_25partition_config_selectorILNS1_17partition_subalgoE2EiNS0_10empty_typeEbEEZZNS1_14partition_implILS5_2ELb0ES3_jN6thrust23THRUST_200600_302600_NS6detail15normal_iteratorINSA_7pointerIiNSA_11hip_rocprim3tagENSA_11use_defaultESG_EEEEPS6_NSA_18transform_iteratorINSA_8identityIiEENSC_INSA_10device_ptrIiEEEESG_SG_EENS0_5tupleIJPiSJ_EEENSR_IJSJ_SJ_EEES6_PlJS6_EEE10hipError_tPvRmT3_T4_T5_T6_T7_T9_mT8_P12ihipStream_tbDpT10_ENKUlT_T0_E_clISt17integral_constantIbLb0EES1E_IbLb1EEEEDaS1A_S1B_EUlS1A_E_NS1_11comp_targetILNS1_3genE2ELNS1_11target_archE906ELNS1_3gpuE6ELNS1_3repE0EEENS1_30default_config_static_selectorELNS0_4arch9wavefront6targetE1EEEvT1_,comdat
.Lfunc_end541:
	.size	_ZN7rocprim17ROCPRIM_400000_NS6detail17trampoline_kernelINS0_14default_configENS1_25partition_config_selectorILNS1_17partition_subalgoE2EiNS0_10empty_typeEbEEZZNS1_14partition_implILS5_2ELb0ES3_jN6thrust23THRUST_200600_302600_NS6detail15normal_iteratorINSA_7pointerIiNSA_11hip_rocprim3tagENSA_11use_defaultESG_EEEEPS6_NSA_18transform_iteratorINSA_8identityIiEENSC_INSA_10device_ptrIiEEEESG_SG_EENS0_5tupleIJPiSJ_EEENSR_IJSJ_SJ_EEES6_PlJS6_EEE10hipError_tPvRmT3_T4_T5_T6_T7_T9_mT8_P12ihipStream_tbDpT10_ENKUlT_T0_E_clISt17integral_constantIbLb0EES1E_IbLb1EEEEDaS1A_S1B_EUlS1A_E_NS1_11comp_targetILNS1_3genE2ELNS1_11target_archE906ELNS1_3gpuE6ELNS1_3repE0EEENS1_30default_config_static_selectorELNS0_4arch9wavefront6targetE1EEEvT1_, .Lfunc_end541-_ZN7rocprim17ROCPRIM_400000_NS6detail17trampoline_kernelINS0_14default_configENS1_25partition_config_selectorILNS1_17partition_subalgoE2EiNS0_10empty_typeEbEEZZNS1_14partition_implILS5_2ELb0ES3_jN6thrust23THRUST_200600_302600_NS6detail15normal_iteratorINSA_7pointerIiNSA_11hip_rocprim3tagENSA_11use_defaultESG_EEEEPS6_NSA_18transform_iteratorINSA_8identityIiEENSC_INSA_10device_ptrIiEEEESG_SG_EENS0_5tupleIJPiSJ_EEENSR_IJSJ_SJ_EEES6_PlJS6_EEE10hipError_tPvRmT3_T4_T5_T6_T7_T9_mT8_P12ihipStream_tbDpT10_ENKUlT_T0_E_clISt17integral_constantIbLb0EES1E_IbLb1EEEEDaS1A_S1B_EUlS1A_E_NS1_11comp_targetILNS1_3genE2ELNS1_11target_archE906ELNS1_3gpuE6ELNS1_3repE0EEENS1_30default_config_static_selectorELNS0_4arch9wavefront6targetE1EEEvT1_
                                        ; -- End function
	.section	.AMDGPU.csdata,"",@progbits
; Kernel info:
; codeLenInByte = 0
; NumSgprs: 6
; NumVgprs: 0
; NumAgprs: 0
; TotalNumVgprs: 0
; ScratchSize: 0
; MemoryBound: 0
; FloatMode: 240
; IeeeMode: 1
; LDSByteSize: 0 bytes/workgroup (compile time only)
; SGPRBlocks: 0
; VGPRBlocks: 0
; NumSGPRsForWavesPerEU: 6
; NumVGPRsForWavesPerEU: 1
; AccumOffset: 4
; Occupancy: 8
; WaveLimiterHint : 0
; COMPUTE_PGM_RSRC2:SCRATCH_EN: 0
; COMPUTE_PGM_RSRC2:USER_SGPR: 2
; COMPUTE_PGM_RSRC2:TRAP_HANDLER: 0
; COMPUTE_PGM_RSRC2:TGID_X_EN: 1
; COMPUTE_PGM_RSRC2:TGID_Y_EN: 0
; COMPUTE_PGM_RSRC2:TGID_Z_EN: 0
; COMPUTE_PGM_RSRC2:TIDIG_COMP_CNT: 0
; COMPUTE_PGM_RSRC3_GFX90A:ACCUM_OFFSET: 0
; COMPUTE_PGM_RSRC3_GFX90A:TG_SPLIT: 0
	.section	.text._ZN7rocprim17ROCPRIM_400000_NS6detail17trampoline_kernelINS0_14default_configENS1_25partition_config_selectorILNS1_17partition_subalgoE2EiNS0_10empty_typeEbEEZZNS1_14partition_implILS5_2ELb0ES3_jN6thrust23THRUST_200600_302600_NS6detail15normal_iteratorINSA_7pointerIiNSA_11hip_rocprim3tagENSA_11use_defaultESG_EEEEPS6_NSA_18transform_iteratorINSA_8identityIiEENSC_INSA_10device_ptrIiEEEESG_SG_EENS0_5tupleIJPiSJ_EEENSR_IJSJ_SJ_EEES6_PlJS6_EEE10hipError_tPvRmT3_T4_T5_T6_T7_T9_mT8_P12ihipStream_tbDpT10_ENKUlT_T0_E_clISt17integral_constantIbLb0EES1E_IbLb1EEEEDaS1A_S1B_EUlS1A_E_NS1_11comp_targetILNS1_3genE10ELNS1_11target_archE1200ELNS1_3gpuE4ELNS1_3repE0EEENS1_30default_config_static_selectorELNS0_4arch9wavefront6targetE1EEEvT1_,"axG",@progbits,_ZN7rocprim17ROCPRIM_400000_NS6detail17trampoline_kernelINS0_14default_configENS1_25partition_config_selectorILNS1_17partition_subalgoE2EiNS0_10empty_typeEbEEZZNS1_14partition_implILS5_2ELb0ES3_jN6thrust23THRUST_200600_302600_NS6detail15normal_iteratorINSA_7pointerIiNSA_11hip_rocprim3tagENSA_11use_defaultESG_EEEEPS6_NSA_18transform_iteratorINSA_8identityIiEENSC_INSA_10device_ptrIiEEEESG_SG_EENS0_5tupleIJPiSJ_EEENSR_IJSJ_SJ_EEES6_PlJS6_EEE10hipError_tPvRmT3_T4_T5_T6_T7_T9_mT8_P12ihipStream_tbDpT10_ENKUlT_T0_E_clISt17integral_constantIbLb0EES1E_IbLb1EEEEDaS1A_S1B_EUlS1A_E_NS1_11comp_targetILNS1_3genE10ELNS1_11target_archE1200ELNS1_3gpuE4ELNS1_3repE0EEENS1_30default_config_static_selectorELNS0_4arch9wavefront6targetE1EEEvT1_,comdat
	.protected	_ZN7rocprim17ROCPRIM_400000_NS6detail17trampoline_kernelINS0_14default_configENS1_25partition_config_selectorILNS1_17partition_subalgoE2EiNS0_10empty_typeEbEEZZNS1_14partition_implILS5_2ELb0ES3_jN6thrust23THRUST_200600_302600_NS6detail15normal_iteratorINSA_7pointerIiNSA_11hip_rocprim3tagENSA_11use_defaultESG_EEEEPS6_NSA_18transform_iteratorINSA_8identityIiEENSC_INSA_10device_ptrIiEEEESG_SG_EENS0_5tupleIJPiSJ_EEENSR_IJSJ_SJ_EEES6_PlJS6_EEE10hipError_tPvRmT3_T4_T5_T6_T7_T9_mT8_P12ihipStream_tbDpT10_ENKUlT_T0_E_clISt17integral_constantIbLb0EES1E_IbLb1EEEEDaS1A_S1B_EUlS1A_E_NS1_11comp_targetILNS1_3genE10ELNS1_11target_archE1200ELNS1_3gpuE4ELNS1_3repE0EEENS1_30default_config_static_selectorELNS0_4arch9wavefront6targetE1EEEvT1_ ; -- Begin function _ZN7rocprim17ROCPRIM_400000_NS6detail17trampoline_kernelINS0_14default_configENS1_25partition_config_selectorILNS1_17partition_subalgoE2EiNS0_10empty_typeEbEEZZNS1_14partition_implILS5_2ELb0ES3_jN6thrust23THRUST_200600_302600_NS6detail15normal_iteratorINSA_7pointerIiNSA_11hip_rocprim3tagENSA_11use_defaultESG_EEEEPS6_NSA_18transform_iteratorINSA_8identityIiEENSC_INSA_10device_ptrIiEEEESG_SG_EENS0_5tupleIJPiSJ_EEENSR_IJSJ_SJ_EEES6_PlJS6_EEE10hipError_tPvRmT3_T4_T5_T6_T7_T9_mT8_P12ihipStream_tbDpT10_ENKUlT_T0_E_clISt17integral_constantIbLb0EES1E_IbLb1EEEEDaS1A_S1B_EUlS1A_E_NS1_11comp_targetILNS1_3genE10ELNS1_11target_archE1200ELNS1_3gpuE4ELNS1_3repE0EEENS1_30default_config_static_selectorELNS0_4arch9wavefront6targetE1EEEvT1_
	.globl	_ZN7rocprim17ROCPRIM_400000_NS6detail17trampoline_kernelINS0_14default_configENS1_25partition_config_selectorILNS1_17partition_subalgoE2EiNS0_10empty_typeEbEEZZNS1_14partition_implILS5_2ELb0ES3_jN6thrust23THRUST_200600_302600_NS6detail15normal_iteratorINSA_7pointerIiNSA_11hip_rocprim3tagENSA_11use_defaultESG_EEEEPS6_NSA_18transform_iteratorINSA_8identityIiEENSC_INSA_10device_ptrIiEEEESG_SG_EENS0_5tupleIJPiSJ_EEENSR_IJSJ_SJ_EEES6_PlJS6_EEE10hipError_tPvRmT3_T4_T5_T6_T7_T9_mT8_P12ihipStream_tbDpT10_ENKUlT_T0_E_clISt17integral_constantIbLb0EES1E_IbLb1EEEEDaS1A_S1B_EUlS1A_E_NS1_11comp_targetILNS1_3genE10ELNS1_11target_archE1200ELNS1_3gpuE4ELNS1_3repE0EEENS1_30default_config_static_selectorELNS0_4arch9wavefront6targetE1EEEvT1_
	.p2align	8
	.type	_ZN7rocprim17ROCPRIM_400000_NS6detail17trampoline_kernelINS0_14default_configENS1_25partition_config_selectorILNS1_17partition_subalgoE2EiNS0_10empty_typeEbEEZZNS1_14partition_implILS5_2ELb0ES3_jN6thrust23THRUST_200600_302600_NS6detail15normal_iteratorINSA_7pointerIiNSA_11hip_rocprim3tagENSA_11use_defaultESG_EEEEPS6_NSA_18transform_iteratorINSA_8identityIiEENSC_INSA_10device_ptrIiEEEESG_SG_EENS0_5tupleIJPiSJ_EEENSR_IJSJ_SJ_EEES6_PlJS6_EEE10hipError_tPvRmT3_T4_T5_T6_T7_T9_mT8_P12ihipStream_tbDpT10_ENKUlT_T0_E_clISt17integral_constantIbLb0EES1E_IbLb1EEEEDaS1A_S1B_EUlS1A_E_NS1_11comp_targetILNS1_3genE10ELNS1_11target_archE1200ELNS1_3gpuE4ELNS1_3repE0EEENS1_30default_config_static_selectorELNS0_4arch9wavefront6targetE1EEEvT1_,@function
_ZN7rocprim17ROCPRIM_400000_NS6detail17trampoline_kernelINS0_14default_configENS1_25partition_config_selectorILNS1_17partition_subalgoE2EiNS0_10empty_typeEbEEZZNS1_14partition_implILS5_2ELb0ES3_jN6thrust23THRUST_200600_302600_NS6detail15normal_iteratorINSA_7pointerIiNSA_11hip_rocprim3tagENSA_11use_defaultESG_EEEEPS6_NSA_18transform_iteratorINSA_8identityIiEENSC_INSA_10device_ptrIiEEEESG_SG_EENS0_5tupleIJPiSJ_EEENSR_IJSJ_SJ_EEES6_PlJS6_EEE10hipError_tPvRmT3_T4_T5_T6_T7_T9_mT8_P12ihipStream_tbDpT10_ENKUlT_T0_E_clISt17integral_constantIbLb0EES1E_IbLb1EEEEDaS1A_S1B_EUlS1A_E_NS1_11comp_targetILNS1_3genE10ELNS1_11target_archE1200ELNS1_3gpuE4ELNS1_3repE0EEENS1_30default_config_static_selectorELNS0_4arch9wavefront6targetE1EEEvT1_: ; @_ZN7rocprim17ROCPRIM_400000_NS6detail17trampoline_kernelINS0_14default_configENS1_25partition_config_selectorILNS1_17partition_subalgoE2EiNS0_10empty_typeEbEEZZNS1_14partition_implILS5_2ELb0ES3_jN6thrust23THRUST_200600_302600_NS6detail15normal_iteratorINSA_7pointerIiNSA_11hip_rocprim3tagENSA_11use_defaultESG_EEEEPS6_NSA_18transform_iteratorINSA_8identityIiEENSC_INSA_10device_ptrIiEEEESG_SG_EENS0_5tupleIJPiSJ_EEENSR_IJSJ_SJ_EEES6_PlJS6_EEE10hipError_tPvRmT3_T4_T5_T6_T7_T9_mT8_P12ihipStream_tbDpT10_ENKUlT_T0_E_clISt17integral_constantIbLb0EES1E_IbLb1EEEEDaS1A_S1B_EUlS1A_E_NS1_11comp_targetILNS1_3genE10ELNS1_11target_archE1200ELNS1_3gpuE4ELNS1_3repE0EEENS1_30default_config_static_selectorELNS0_4arch9wavefront6targetE1EEEvT1_
; %bb.0:
	.section	.rodata,"a",@progbits
	.p2align	6, 0x0
	.amdhsa_kernel _ZN7rocprim17ROCPRIM_400000_NS6detail17trampoline_kernelINS0_14default_configENS1_25partition_config_selectorILNS1_17partition_subalgoE2EiNS0_10empty_typeEbEEZZNS1_14partition_implILS5_2ELb0ES3_jN6thrust23THRUST_200600_302600_NS6detail15normal_iteratorINSA_7pointerIiNSA_11hip_rocprim3tagENSA_11use_defaultESG_EEEEPS6_NSA_18transform_iteratorINSA_8identityIiEENSC_INSA_10device_ptrIiEEEESG_SG_EENS0_5tupleIJPiSJ_EEENSR_IJSJ_SJ_EEES6_PlJS6_EEE10hipError_tPvRmT3_T4_T5_T6_T7_T9_mT8_P12ihipStream_tbDpT10_ENKUlT_T0_E_clISt17integral_constantIbLb0EES1E_IbLb1EEEEDaS1A_S1B_EUlS1A_E_NS1_11comp_targetILNS1_3genE10ELNS1_11target_archE1200ELNS1_3gpuE4ELNS1_3repE0EEENS1_30default_config_static_selectorELNS0_4arch9wavefront6targetE1EEEvT1_
		.amdhsa_group_segment_fixed_size 0
		.amdhsa_private_segment_fixed_size 0
		.amdhsa_kernarg_size 144
		.amdhsa_user_sgpr_count 2
		.amdhsa_user_sgpr_dispatch_ptr 0
		.amdhsa_user_sgpr_queue_ptr 0
		.amdhsa_user_sgpr_kernarg_segment_ptr 1
		.amdhsa_user_sgpr_dispatch_id 0
		.amdhsa_user_sgpr_kernarg_preload_length 0
		.amdhsa_user_sgpr_kernarg_preload_offset 0
		.amdhsa_user_sgpr_private_segment_size 0
		.amdhsa_uses_dynamic_stack 0
		.amdhsa_enable_private_segment 0
		.amdhsa_system_sgpr_workgroup_id_x 1
		.amdhsa_system_sgpr_workgroup_id_y 0
		.amdhsa_system_sgpr_workgroup_id_z 0
		.amdhsa_system_sgpr_workgroup_info 0
		.amdhsa_system_vgpr_workitem_id 0
		.amdhsa_next_free_vgpr 1
		.amdhsa_next_free_sgpr 0
		.amdhsa_accum_offset 4
		.amdhsa_reserve_vcc 0
		.amdhsa_float_round_mode_32 0
		.amdhsa_float_round_mode_16_64 0
		.amdhsa_float_denorm_mode_32 3
		.amdhsa_float_denorm_mode_16_64 3
		.amdhsa_dx10_clamp 1
		.amdhsa_ieee_mode 1
		.amdhsa_fp16_overflow 0
		.amdhsa_tg_split 0
		.amdhsa_exception_fp_ieee_invalid_op 0
		.amdhsa_exception_fp_denorm_src 0
		.amdhsa_exception_fp_ieee_div_zero 0
		.amdhsa_exception_fp_ieee_overflow 0
		.amdhsa_exception_fp_ieee_underflow 0
		.amdhsa_exception_fp_ieee_inexact 0
		.amdhsa_exception_int_div_zero 0
	.end_amdhsa_kernel
	.section	.text._ZN7rocprim17ROCPRIM_400000_NS6detail17trampoline_kernelINS0_14default_configENS1_25partition_config_selectorILNS1_17partition_subalgoE2EiNS0_10empty_typeEbEEZZNS1_14partition_implILS5_2ELb0ES3_jN6thrust23THRUST_200600_302600_NS6detail15normal_iteratorINSA_7pointerIiNSA_11hip_rocprim3tagENSA_11use_defaultESG_EEEEPS6_NSA_18transform_iteratorINSA_8identityIiEENSC_INSA_10device_ptrIiEEEESG_SG_EENS0_5tupleIJPiSJ_EEENSR_IJSJ_SJ_EEES6_PlJS6_EEE10hipError_tPvRmT3_T4_T5_T6_T7_T9_mT8_P12ihipStream_tbDpT10_ENKUlT_T0_E_clISt17integral_constantIbLb0EES1E_IbLb1EEEEDaS1A_S1B_EUlS1A_E_NS1_11comp_targetILNS1_3genE10ELNS1_11target_archE1200ELNS1_3gpuE4ELNS1_3repE0EEENS1_30default_config_static_selectorELNS0_4arch9wavefront6targetE1EEEvT1_,"axG",@progbits,_ZN7rocprim17ROCPRIM_400000_NS6detail17trampoline_kernelINS0_14default_configENS1_25partition_config_selectorILNS1_17partition_subalgoE2EiNS0_10empty_typeEbEEZZNS1_14partition_implILS5_2ELb0ES3_jN6thrust23THRUST_200600_302600_NS6detail15normal_iteratorINSA_7pointerIiNSA_11hip_rocprim3tagENSA_11use_defaultESG_EEEEPS6_NSA_18transform_iteratorINSA_8identityIiEENSC_INSA_10device_ptrIiEEEESG_SG_EENS0_5tupleIJPiSJ_EEENSR_IJSJ_SJ_EEES6_PlJS6_EEE10hipError_tPvRmT3_T4_T5_T6_T7_T9_mT8_P12ihipStream_tbDpT10_ENKUlT_T0_E_clISt17integral_constantIbLb0EES1E_IbLb1EEEEDaS1A_S1B_EUlS1A_E_NS1_11comp_targetILNS1_3genE10ELNS1_11target_archE1200ELNS1_3gpuE4ELNS1_3repE0EEENS1_30default_config_static_selectorELNS0_4arch9wavefront6targetE1EEEvT1_,comdat
.Lfunc_end542:
	.size	_ZN7rocprim17ROCPRIM_400000_NS6detail17trampoline_kernelINS0_14default_configENS1_25partition_config_selectorILNS1_17partition_subalgoE2EiNS0_10empty_typeEbEEZZNS1_14partition_implILS5_2ELb0ES3_jN6thrust23THRUST_200600_302600_NS6detail15normal_iteratorINSA_7pointerIiNSA_11hip_rocprim3tagENSA_11use_defaultESG_EEEEPS6_NSA_18transform_iteratorINSA_8identityIiEENSC_INSA_10device_ptrIiEEEESG_SG_EENS0_5tupleIJPiSJ_EEENSR_IJSJ_SJ_EEES6_PlJS6_EEE10hipError_tPvRmT3_T4_T5_T6_T7_T9_mT8_P12ihipStream_tbDpT10_ENKUlT_T0_E_clISt17integral_constantIbLb0EES1E_IbLb1EEEEDaS1A_S1B_EUlS1A_E_NS1_11comp_targetILNS1_3genE10ELNS1_11target_archE1200ELNS1_3gpuE4ELNS1_3repE0EEENS1_30default_config_static_selectorELNS0_4arch9wavefront6targetE1EEEvT1_, .Lfunc_end542-_ZN7rocprim17ROCPRIM_400000_NS6detail17trampoline_kernelINS0_14default_configENS1_25partition_config_selectorILNS1_17partition_subalgoE2EiNS0_10empty_typeEbEEZZNS1_14partition_implILS5_2ELb0ES3_jN6thrust23THRUST_200600_302600_NS6detail15normal_iteratorINSA_7pointerIiNSA_11hip_rocprim3tagENSA_11use_defaultESG_EEEEPS6_NSA_18transform_iteratorINSA_8identityIiEENSC_INSA_10device_ptrIiEEEESG_SG_EENS0_5tupleIJPiSJ_EEENSR_IJSJ_SJ_EEES6_PlJS6_EEE10hipError_tPvRmT3_T4_T5_T6_T7_T9_mT8_P12ihipStream_tbDpT10_ENKUlT_T0_E_clISt17integral_constantIbLb0EES1E_IbLb1EEEEDaS1A_S1B_EUlS1A_E_NS1_11comp_targetILNS1_3genE10ELNS1_11target_archE1200ELNS1_3gpuE4ELNS1_3repE0EEENS1_30default_config_static_selectorELNS0_4arch9wavefront6targetE1EEEvT1_
                                        ; -- End function
	.section	.AMDGPU.csdata,"",@progbits
; Kernel info:
; codeLenInByte = 0
; NumSgprs: 6
; NumVgprs: 0
; NumAgprs: 0
; TotalNumVgprs: 0
; ScratchSize: 0
; MemoryBound: 0
; FloatMode: 240
; IeeeMode: 1
; LDSByteSize: 0 bytes/workgroup (compile time only)
; SGPRBlocks: 0
; VGPRBlocks: 0
; NumSGPRsForWavesPerEU: 6
; NumVGPRsForWavesPerEU: 1
; AccumOffset: 4
; Occupancy: 8
; WaveLimiterHint : 0
; COMPUTE_PGM_RSRC2:SCRATCH_EN: 0
; COMPUTE_PGM_RSRC2:USER_SGPR: 2
; COMPUTE_PGM_RSRC2:TRAP_HANDLER: 0
; COMPUTE_PGM_RSRC2:TGID_X_EN: 1
; COMPUTE_PGM_RSRC2:TGID_Y_EN: 0
; COMPUTE_PGM_RSRC2:TGID_Z_EN: 0
; COMPUTE_PGM_RSRC2:TIDIG_COMP_CNT: 0
; COMPUTE_PGM_RSRC3_GFX90A:ACCUM_OFFSET: 0
; COMPUTE_PGM_RSRC3_GFX90A:TG_SPLIT: 0
	.section	.text._ZN7rocprim17ROCPRIM_400000_NS6detail17trampoline_kernelINS0_14default_configENS1_25partition_config_selectorILNS1_17partition_subalgoE2EiNS0_10empty_typeEbEEZZNS1_14partition_implILS5_2ELb0ES3_jN6thrust23THRUST_200600_302600_NS6detail15normal_iteratorINSA_7pointerIiNSA_11hip_rocprim3tagENSA_11use_defaultESG_EEEEPS6_NSA_18transform_iteratorINSA_8identityIiEENSC_INSA_10device_ptrIiEEEESG_SG_EENS0_5tupleIJPiSJ_EEENSR_IJSJ_SJ_EEES6_PlJS6_EEE10hipError_tPvRmT3_T4_T5_T6_T7_T9_mT8_P12ihipStream_tbDpT10_ENKUlT_T0_E_clISt17integral_constantIbLb0EES1E_IbLb1EEEEDaS1A_S1B_EUlS1A_E_NS1_11comp_targetILNS1_3genE9ELNS1_11target_archE1100ELNS1_3gpuE3ELNS1_3repE0EEENS1_30default_config_static_selectorELNS0_4arch9wavefront6targetE1EEEvT1_,"axG",@progbits,_ZN7rocprim17ROCPRIM_400000_NS6detail17trampoline_kernelINS0_14default_configENS1_25partition_config_selectorILNS1_17partition_subalgoE2EiNS0_10empty_typeEbEEZZNS1_14partition_implILS5_2ELb0ES3_jN6thrust23THRUST_200600_302600_NS6detail15normal_iteratorINSA_7pointerIiNSA_11hip_rocprim3tagENSA_11use_defaultESG_EEEEPS6_NSA_18transform_iteratorINSA_8identityIiEENSC_INSA_10device_ptrIiEEEESG_SG_EENS0_5tupleIJPiSJ_EEENSR_IJSJ_SJ_EEES6_PlJS6_EEE10hipError_tPvRmT3_T4_T5_T6_T7_T9_mT8_P12ihipStream_tbDpT10_ENKUlT_T0_E_clISt17integral_constantIbLb0EES1E_IbLb1EEEEDaS1A_S1B_EUlS1A_E_NS1_11comp_targetILNS1_3genE9ELNS1_11target_archE1100ELNS1_3gpuE3ELNS1_3repE0EEENS1_30default_config_static_selectorELNS0_4arch9wavefront6targetE1EEEvT1_,comdat
	.protected	_ZN7rocprim17ROCPRIM_400000_NS6detail17trampoline_kernelINS0_14default_configENS1_25partition_config_selectorILNS1_17partition_subalgoE2EiNS0_10empty_typeEbEEZZNS1_14partition_implILS5_2ELb0ES3_jN6thrust23THRUST_200600_302600_NS6detail15normal_iteratorINSA_7pointerIiNSA_11hip_rocprim3tagENSA_11use_defaultESG_EEEEPS6_NSA_18transform_iteratorINSA_8identityIiEENSC_INSA_10device_ptrIiEEEESG_SG_EENS0_5tupleIJPiSJ_EEENSR_IJSJ_SJ_EEES6_PlJS6_EEE10hipError_tPvRmT3_T4_T5_T6_T7_T9_mT8_P12ihipStream_tbDpT10_ENKUlT_T0_E_clISt17integral_constantIbLb0EES1E_IbLb1EEEEDaS1A_S1B_EUlS1A_E_NS1_11comp_targetILNS1_3genE9ELNS1_11target_archE1100ELNS1_3gpuE3ELNS1_3repE0EEENS1_30default_config_static_selectorELNS0_4arch9wavefront6targetE1EEEvT1_ ; -- Begin function _ZN7rocprim17ROCPRIM_400000_NS6detail17trampoline_kernelINS0_14default_configENS1_25partition_config_selectorILNS1_17partition_subalgoE2EiNS0_10empty_typeEbEEZZNS1_14partition_implILS5_2ELb0ES3_jN6thrust23THRUST_200600_302600_NS6detail15normal_iteratorINSA_7pointerIiNSA_11hip_rocprim3tagENSA_11use_defaultESG_EEEEPS6_NSA_18transform_iteratorINSA_8identityIiEENSC_INSA_10device_ptrIiEEEESG_SG_EENS0_5tupleIJPiSJ_EEENSR_IJSJ_SJ_EEES6_PlJS6_EEE10hipError_tPvRmT3_T4_T5_T6_T7_T9_mT8_P12ihipStream_tbDpT10_ENKUlT_T0_E_clISt17integral_constantIbLb0EES1E_IbLb1EEEEDaS1A_S1B_EUlS1A_E_NS1_11comp_targetILNS1_3genE9ELNS1_11target_archE1100ELNS1_3gpuE3ELNS1_3repE0EEENS1_30default_config_static_selectorELNS0_4arch9wavefront6targetE1EEEvT1_
	.globl	_ZN7rocprim17ROCPRIM_400000_NS6detail17trampoline_kernelINS0_14default_configENS1_25partition_config_selectorILNS1_17partition_subalgoE2EiNS0_10empty_typeEbEEZZNS1_14partition_implILS5_2ELb0ES3_jN6thrust23THRUST_200600_302600_NS6detail15normal_iteratorINSA_7pointerIiNSA_11hip_rocprim3tagENSA_11use_defaultESG_EEEEPS6_NSA_18transform_iteratorINSA_8identityIiEENSC_INSA_10device_ptrIiEEEESG_SG_EENS0_5tupleIJPiSJ_EEENSR_IJSJ_SJ_EEES6_PlJS6_EEE10hipError_tPvRmT3_T4_T5_T6_T7_T9_mT8_P12ihipStream_tbDpT10_ENKUlT_T0_E_clISt17integral_constantIbLb0EES1E_IbLb1EEEEDaS1A_S1B_EUlS1A_E_NS1_11comp_targetILNS1_3genE9ELNS1_11target_archE1100ELNS1_3gpuE3ELNS1_3repE0EEENS1_30default_config_static_selectorELNS0_4arch9wavefront6targetE1EEEvT1_
	.p2align	8
	.type	_ZN7rocprim17ROCPRIM_400000_NS6detail17trampoline_kernelINS0_14default_configENS1_25partition_config_selectorILNS1_17partition_subalgoE2EiNS0_10empty_typeEbEEZZNS1_14partition_implILS5_2ELb0ES3_jN6thrust23THRUST_200600_302600_NS6detail15normal_iteratorINSA_7pointerIiNSA_11hip_rocprim3tagENSA_11use_defaultESG_EEEEPS6_NSA_18transform_iteratorINSA_8identityIiEENSC_INSA_10device_ptrIiEEEESG_SG_EENS0_5tupleIJPiSJ_EEENSR_IJSJ_SJ_EEES6_PlJS6_EEE10hipError_tPvRmT3_T4_T5_T6_T7_T9_mT8_P12ihipStream_tbDpT10_ENKUlT_T0_E_clISt17integral_constantIbLb0EES1E_IbLb1EEEEDaS1A_S1B_EUlS1A_E_NS1_11comp_targetILNS1_3genE9ELNS1_11target_archE1100ELNS1_3gpuE3ELNS1_3repE0EEENS1_30default_config_static_selectorELNS0_4arch9wavefront6targetE1EEEvT1_,@function
_ZN7rocprim17ROCPRIM_400000_NS6detail17trampoline_kernelINS0_14default_configENS1_25partition_config_selectorILNS1_17partition_subalgoE2EiNS0_10empty_typeEbEEZZNS1_14partition_implILS5_2ELb0ES3_jN6thrust23THRUST_200600_302600_NS6detail15normal_iteratorINSA_7pointerIiNSA_11hip_rocprim3tagENSA_11use_defaultESG_EEEEPS6_NSA_18transform_iteratorINSA_8identityIiEENSC_INSA_10device_ptrIiEEEESG_SG_EENS0_5tupleIJPiSJ_EEENSR_IJSJ_SJ_EEES6_PlJS6_EEE10hipError_tPvRmT3_T4_T5_T6_T7_T9_mT8_P12ihipStream_tbDpT10_ENKUlT_T0_E_clISt17integral_constantIbLb0EES1E_IbLb1EEEEDaS1A_S1B_EUlS1A_E_NS1_11comp_targetILNS1_3genE9ELNS1_11target_archE1100ELNS1_3gpuE3ELNS1_3repE0EEENS1_30default_config_static_selectorELNS0_4arch9wavefront6targetE1EEEvT1_: ; @_ZN7rocprim17ROCPRIM_400000_NS6detail17trampoline_kernelINS0_14default_configENS1_25partition_config_selectorILNS1_17partition_subalgoE2EiNS0_10empty_typeEbEEZZNS1_14partition_implILS5_2ELb0ES3_jN6thrust23THRUST_200600_302600_NS6detail15normal_iteratorINSA_7pointerIiNSA_11hip_rocprim3tagENSA_11use_defaultESG_EEEEPS6_NSA_18transform_iteratorINSA_8identityIiEENSC_INSA_10device_ptrIiEEEESG_SG_EENS0_5tupleIJPiSJ_EEENSR_IJSJ_SJ_EEES6_PlJS6_EEE10hipError_tPvRmT3_T4_T5_T6_T7_T9_mT8_P12ihipStream_tbDpT10_ENKUlT_T0_E_clISt17integral_constantIbLb0EES1E_IbLb1EEEEDaS1A_S1B_EUlS1A_E_NS1_11comp_targetILNS1_3genE9ELNS1_11target_archE1100ELNS1_3gpuE3ELNS1_3repE0EEENS1_30default_config_static_selectorELNS0_4arch9wavefront6targetE1EEEvT1_
; %bb.0:
	.section	.rodata,"a",@progbits
	.p2align	6, 0x0
	.amdhsa_kernel _ZN7rocprim17ROCPRIM_400000_NS6detail17trampoline_kernelINS0_14default_configENS1_25partition_config_selectorILNS1_17partition_subalgoE2EiNS0_10empty_typeEbEEZZNS1_14partition_implILS5_2ELb0ES3_jN6thrust23THRUST_200600_302600_NS6detail15normal_iteratorINSA_7pointerIiNSA_11hip_rocprim3tagENSA_11use_defaultESG_EEEEPS6_NSA_18transform_iteratorINSA_8identityIiEENSC_INSA_10device_ptrIiEEEESG_SG_EENS0_5tupleIJPiSJ_EEENSR_IJSJ_SJ_EEES6_PlJS6_EEE10hipError_tPvRmT3_T4_T5_T6_T7_T9_mT8_P12ihipStream_tbDpT10_ENKUlT_T0_E_clISt17integral_constantIbLb0EES1E_IbLb1EEEEDaS1A_S1B_EUlS1A_E_NS1_11comp_targetILNS1_3genE9ELNS1_11target_archE1100ELNS1_3gpuE3ELNS1_3repE0EEENS1_30default_config_static_selectorELNS0_4arch9wavefront6targetE1EEEvT1_
		.amdhsa_group_segment_fixed_size 0
		.amdhsa_private_segment_fixed_size 0
		.amdhsa_kernarg_size 144
		.amdhsa_user_sgpr_count 2
		.amdhsa_user_sgpr_dispatch_ptr 0
		.amdhsa_user_sgpr_queue_ptr 0
		.amdhsa_user_sgpr_kernarg_segment_ptr 1
		.amdhsa_user_sgpr_dispatch_id 0
		.amdhsa_user_sgpr_kernarg_preload_length 0
		.amdhsa_user_sgpr_kernarg_preload_offset 0
		.amdhsa_user_sgpr_private_segment_size 0
		.amdhsa_uses_dynamic_stack 0
		.amdhsa_enable_private_segment 0
		.amdhsa_system_sgpr_workgroup_id_x 1
		.amdhsa_system_sgpr_workgroup_id_y 0
		.amdhsa_system_sgpr_workgroup_id_z 0
		.amdhsa_system_sgpr_workgroup_info 0
		.amdhsa_system_vgpr_workitem_id 0
		.amdhsa_next_free_vgpr 1
		.amdhsa_next_free_sgpr 0
		.amdhsa_accum_offset 4
		.amdhsa_reserve_vcc 0
		.amdhsa_float_round_mode_32 0
		.amdhsa_float_round_mode_16_64 0
		.amdhsa_float_denorm_mode_32 3
		.amdhsa_float_denorm_mode_16_64 3
		.amdhsa_dx10_clamp 1
		.amdhsa_ieee_mode 1
		.amdhsa_fp16_overflow 0
		.amdhsa_tg_split 0
		.amdhsa_exception_fp_ieee_invalid_op 0
		.amdhsa_exception_fp_denorm_src 0
		.amdhsa_exception_fp_ieee_div_zero 0
		.amdhsa_exception_fp_ieee_overflow 0
		.amdhsa_exception_fp_ieee_underflow 0
		.amdhsa_exception_fp_ieee_inexact 0
		.amdhsa_exception_int_div_zero 0
	.end_amdhsa_kernel
	.section	.text._ZN7rocprim17ROCPRIM_400000_NS6detail17trampoline_kernelINS0_14default_configENS1_25partition_config_selectorILNS1_17partition_subalgoE2EiNS0_10empty_typeEbEEZZNS1_14partition_implILS5_2ELb0ES3_jN6thrust23THRUST_200600_302600_NS6detail15normal_iteratorINSA_7pointerIiNSA_11hip_rocprim3tagENSA_11use_defaultESG_EEEEPS6_NSA_18transform_iteratorINSA_8identityIiEENSC_INSA_10device_ptrIiEEEESG_SG_EENS0_5tupleIJPiSJ_EEENSR_IJSJ_SJ_EEES6_PlJS6_EEE10hipError_tPvRmT3_T4_T5_T6_T7_T9_mT8_P12ihipStream_tbDpT10_ENKUlT_T0_E_clISt17integral_constantIbLb0EES1E_IbLb1EEEEDaS1A_S1B_EUlS1A_E_NS1_11comp_targetILNS1_3genE9ELNS1_11target_archE1100ELNS1_3gpuE3ELNS1_3repE0EEENS1_30default_config_static_selectorELNS0_4arch9wavefront6targetE1EEEvT1_,"axG",@progbits,_ZN7rocprim17ROCPRIM_400000_NS6detail17trampoline_kernelINS0_14default_configENS1_25partition_config_selectorILNS1_17partition_subalgoE2EiNS0_10empty_typeEbEEZZNS1_14partition_implILS5_2ELb0ES3_jN6thrust23THRUST_200600_302600_NS6detail15normal_iteratorINSA_7pointerIiNSA_11hip_rocprim3tagENSA_11use_defaultESG_EEEEPS6_NSA_18transform_iteratorINSA_8identityIiEENSC_INSA_10device_ptrIiEEEESG_SG_EENS0_5tupleIJPiSJ_EEENSR_IJSJ_SJ_EEES6_PlJS6_EEE10hipError_tPvRmT3_T4_T5_T6_T7_T9_mT8_P12ihipStream_tbDpT10_ENKUlT_T0_E_clISt17integral_constantIbLb0EES1E_IbLb1EEEEDaS1A_S1B_EUlS1A_E_NS1_11comp_targetILNS1_3genE9ELNS1_11target_archE1100ELNS1_3gpuE3ELNS1_3repE0EEENS1_30default_config_static_selectorELNS0_4arch9wavefront6targetE1EEEvT1_,comdat
.Lfunc_end543:
	.size	_ZN7rocprim17ROCPRIM_400000_NS6detail17trampoline_kernelINS0_14default_configENS1_25partition_config_selectorILNS1_17partition_subalgoE2EiNS0_10empty_typeEbEEZZNS1_14partition_implILS5_2ELb0ES3_jN6thrust23THRUST_200600_302600_NS6detail15normal_iteratorINSA_7pointerIiNSA_11hip_rocprim3tagENSA_11use_defaultESG_EEEEPS6_NSA_18transform_iteratorINSA_8identityIiEENSC_INSA_10device_ptrIiEEEESG_SG_EENS0_5tupleIJPiSJ_EEENSR_IJSJ_SJ_EEES6_PlJS6_EEE10hipError_tPvRmT3_T4_T5_T6_T7_T9_mT8_P12ihipStream_tbDpT10_ENKUlT_T0_E_clISt17integral_constantIbLb0EES1E_IbLb1EEEEDaS1A_S1B_EUlS1A_E_NS1_11comp_targetILNS1_3genE9ELNS1_11target_archE1100ELNS1_3gpuE3ELNS1_3repE0EEENS1_30default_config_static_selectorELNS0_4arch9wavefront6targetE1EEEvT1_, .Lfunc_end543-_ZN7rocprim17ROCPRIM_400000_NS6detail17trampoline_kernelINS0_14default_configENS1_25partition_config_selectorILNS1_17partition_subalgoE2EiNS0_10empty_typeEbEEZZNS1_14partition_implILS5_2ELb0ES3_jN6thrust23THRUST_200600_302600_NS6detail15normal_iteratorINSA_7pointerIiNSA_11hip_rocprim3tagENSA_11use_defaultESG_EEEEPS6_NSA_18transform_iteratorINSA_8identityIiEENSC_INSA_10device_ptrIiEEEESG_SG_EENS0_5tupleIJPiSJ_EEENSR_IJSJ_SJ_EEES6_PlJS6_EEE10hipError_tPvRmT3_T4_T5_T6_T7_T9_mT8_P12ihipStream_tbDpT10_ENKUlT_T0_E_clISt17integral_constantIbLb0EES1E_IbLb1EEEEDaS1A_S1B_EUlS1A_E_NS1_11comp_targetILNS1_3genE9ELNS1_11target_archE1100ELNS1_3gpuE3ELNS1_3repE0EEENS1_30default_config_static_selectorELNS0_4arch9wavefront6targetE1EEEvT1_
                                        ; -- End function
	.section	.AMDGPU.csdata,"",@progbits
; Kernel info:
; codeLenInByte = 0
; NumSgprs: 6
; NumVgprs: 0
; NumAgprs: 0
; TotalNumVgprs: 0
; ScratchSize: 0
; MemoryBound: 0
; FloatMode: 240
; IeeeMode: 1
; LDSByteSize: 0 bytes/workgroup (compile time only)
; SGPRBlocks: 0
; VGPRBlocks: 0
; NumSGPRsForWavesPerEU: 6
; NumVGPRsForWavesPerEU: 1
; AccumOffset: 4
; Occupancy: 8
; WaveLimiterHint : 0
; COMPUTE_PGM_RSRC2:SCRATCH_EN: 0
; COMPUTE_PGM_RSRC2:USER_SGPR: 2
; COMPUTE_PGM_RSRC2:TRAP_HANDLER: 0
; COMPUTE_PGM_RSRC2:TGID_X_EN: 1
; COMPUTE_PGM_RSRC2:TGID_Y_EN: 0
; COMPUTE_PGM_RSRC2:TGID_Z_EN: 0
; COMPUTE_PGM_RSRC2:TIDIG_COMP_CNT: 0
; COMPUTE_PGM_RSRC3_GFX90A:ACCUM_OFFSET: 0
; COMPUTE_PGM_RSRC3_GFX90A:TG_SPLIT: 0
	.section	.text._ZN7rocprim17ROCPRIM_400000_NS6detail17trampoline_kernelINS0_14default_configENS1_25partition_config_selectorILNS1_17partition_subalgoE2EiNS0_10empty_typeEbEEZZNS1_14partition_implILS5_2ELb0ES3_jN6thrust23THRUST_200600_302600_NS6detail15normal_iteratorINSA_7pointerIiNSA_11hip_rocprim3tagENSA_11use_defaultESG_EEEEPS6_NSA_18transform_iteratorINSA_8identityIiEENSC_INSA_10device_ptrIiEEEESG_SG_EENS0_5tupleIJPiSJ_EEENSR_IJSJ_SJ_EEES6_PlJS6_EEE10hipError_tPvRmT3_T4_T5_T6_T7_T9_mT8_P12ihipStream_tbDpT10_ENKUlT_T0_E_clISt17integral_constantIbLb0EES1E_IbLb1EEEEDaS1A_S1B_EUlS1A_E_NS1_11comp_targetILNS1_3genE8ELNS1_11target_archE1030ELNS1_3gpuE2ELNS1_3repE0EEENS1_30default_config_static_selectorELNS0_4arch9wavefront6targetE1EEEvT1_,"axG",@progbits,_ZN7rocprim17ROCPRIM_400000_NS6detail17trampoline_kernelINS0_14default_configENS1_25partition_config_selectorILNS1_17partition_subalgoE2EiNS0_10empty_typeEbEEZZNS1_14partition_implILS5_2ELb0ES3_jN6thrust23THRUST_200600_302600_NS6detail15normal_iteratorINSA_7pointerIiNSA_11hip_rocprim3tagENSA_11use_defaultESG_EEEEPS6_NSA_18transform_iteratorINSA_8identityIiEENSC_INSA_10device_ptrIiEEEESG_SG_EENS0_5tupleIJPiSJ_EEENSR_IJSJ_SJ_EEES6_PlJS6_EEE10hipError_tPvRmT3_T4_T5_T6_T7_T9_mT8_P12ihipStream_tbDpT10_ENKUlT_T0_E_clISt17integral_constantIbLb0EES1E_IbLb1EEEEDaS1A_S1B_EUlS1A_E_NS1_11comp_targetILNS1_3genE8ELNS1_11target_archE1030ELNS1_3gpuE2ELNS1_3repE0EEENS1_30default_config_static_selectorELNS0_4arch9wavefront6targetE1EEEvT1_,comdat
	.protected	_ZN7rocprim17ROCPRIM_400000_NS6detail17trampoline_kernelINS0_14default_configENS1_25partition_config_selectorILNS1_17partition_subalgoE2EiNS0_10empty_typeEbEEZZNS1_14partition_implILS5_2ELb0ES3_jN6thrust23THRUST_200600_302600_NS6detail15normal_iteratorINSA_7pointerIiNSA_11hip_rocprim3tagENSA_11use_defaultESG_EEEEPS6_NSA_18transform_iteratorINSA_8identityIiEENSC_INSA_10device_ptrIiEEEESG_SG_EENS0_5tupleIJPiSJ_EEENSR_IJSJ_SJ_EEES6_PlJS6_EEE10hipError_tPvRmT3_T4_T5_T6_T7_T9_mT8_P12ihipStream_tbDpT10_ENKUlT_T0_E_clISt17integral_constantIbLb0EES1E_IbLb1EEEEDaS1A_S1B_EUlS1A_E_NS1_11comp_targetILNS1_3genE8ELNS1_11target_archE1030ELNS1_3gpuE2ELNS1_3repE0EEENS1_30default_config_static_selectorELNS0_4arch9wavefront6targetE1EEEvT1_ ; -- Begin function _ZN7rocprim17ROCPRIM_400000_NS6detail17trampoline_kernelINS0_14default_configENS1_25partition_config_selectorILNS1_17partition_subalgoE2EiNS0_10empty_typeEbEEZZNS1_14partition_implILS5_2ELb0ES3_jN6thrust23THRUST_200600_302600_NS6detail15normal_iteratorINSA_7pointerIiNSA_11hip_rocprim3tagENSA_11use_defaultESG_EEEEPS6_NSA_18transform_iteratorINSA_8identityIiEENSC_INSA_10device_ptrIiEEEESG_SG_EENS0_5tupleIJPiSJ_EEENSR_IJSJ_SJ_EEES6_PlJS6_EEE10hipError_tPvRmT3_T4_T5_T6_T7_T9_mT8_P12ihipStream_tbDpT10_ENKUlT_T0_E_clISt17integral_constantIbLb0EES1E_IbLb1EEEEDaS1A_S1B_EUlS1A_E_NS1_11comp_targetILNS1_3genE8ELNS1_11target_archE1030ELNS1_3gpuE2ELNS1_3repE0EEENS1_30default_config_static_selectorELNS0_4arch9wavefront6targetE1EEEvT1_
	.globl	_ZN7rocprim17ROCPRIM_400000_NS6detail17trampoline_kernelINS0_14default_configENS1_25partition_config_selectorILNS1_17partition_subalgoE2EiNS0_10empty_typeEbEEZZNS1_14partition_implILS5_2ELb0ES3_jN6thrust23THRUST_200600_302600_NS6detail15normal_iteratorINSA_7pointerIiNSA_11hip_rocprim3tagENSA_11use_defaultESG_EEEEPS6_NSA_18transform_iteratorINSA_8identityIiEENSC_INSA_10device_ptrIiEEEESG_SG_EENS0_5tupleIJPiSJ_EEENSR_IJSJ_SJ_EEES6_PlJS6_EEE10hipError_tPvRmT3_T4_T5_T6_T7_T9_mT8_P12ihipStream_tbDpT10_ENKUlT_T0_E_clISt17integral_constantIbLb0EES1E_IbLb1EEEEDaS1A_S1B_EUlS1A_E_NS1_11comp_targetILNS1_3genE8ELNS1_11target_archE1030ELNS1_3gpuE2ELNS1_3repE0EEENS1_30default_config_static_selectorELNS0_4arch9wavefront6targetE1EEEvT1_
	.p2align	8
	.type	_ZN7rocprim17ROCPRIM_400000_NS6detail17trampoline_kernelINS0_14default_configENS1_25partition_config_selectorILNS1_17partition_subalgoE2EiNS0_10empty_typeEbEEZZNS1_14partition_implILS5_2ELb0ES3_jN6thrust23THRUST_200600_302600_NS6detail15normal_iteratorINSA_7pointerIiNSA_11hip_rocprim3tagENSA_11use_defaultESG_EEEEPS6_NSA_18transform_iteratorINSA_8identityIiEENSC_INSA_10device_ptrIiEEEESG_SG_EENS0_5tupleIJPiSJ_EEENSR_IJSJ_SJ_EEES6_PlJS6_EEE10hipError_tPvRmT3_T4_T5_T6_T7_T9_mT8_P12ihipStream_tbDpT10_ENKUlT_T0_E_clISt17integral_constantIbLb0EES1E_IbLb1EEEEDaS1A_S1B_EUlS1A_E_NS1_11comp_targetILNS1_3genE8ELNS1_11target_archE1030ELNS1_3gpuE2ELNS1_3repE0EEENS1_30default_config_static_selectorELNS0_4arch9wavefront6targetE1EEEvT1_,@function
_ZN7rocprim17ROCPRIM_400000_NS6detail17trampoline_kernelINS0_14default_configENS1_25partition_config_selectorILNS1_17partition_subalgoE2EiNS0_10empty_typeEbEEZZNS1_14partition_implILS5_2ELb0ES3_jN6thrust23THRUST_200600_302600_NS6detail15normal_iteratorINSA_7pointerIiNSA_11hip_rocprim3tagENSA_11use_defaultESG_EEEEPS6_NSA_18transform_iteratorINSA_8identityIiEENSC_INSA_10device_ptrIiEEEESG_SG_EENS0_5tupleIJPiSJ_EEENSR_IJSJ_SJ_EEES6_PlJS6_EEE10hipError_tPvRmT3_T4_T5_T6_T7_T9_mT8_P12ihipStream_tbDpT10_ENKUlT_T0_E_clISt17integral_constantIbLb0EES1E_IbLb1EEEEDaS1A_S1B_EUlS1A_E_NS1_11comp_targetILNS1_3genE8ELNS1_11target_archE1030ELNS1_3gpuE2ELNS1_3repE0EEENS1_30default_config_static_selectorELNS0_4arch9wavefront6targetE1EEEvT1_: ; @_ZN7rocprim17ROCPRIM_400000_NS6detail17trampoline_kernelINS0_14default_configENS1_25partition_config_selectorILNS1_17partition_subalgoE2EiNS0_10empty_typeEbEEZZNS1_14partition_implILS5_2ELb0ES3_jN6thrust23THRUST_200600_302600_NS6detail15normal_iteratorINSA_7pointerIiNSA_11hip_rocprim3tagENSA_11use_defaultESG_EEEEPS6_NSA_18transform_iteratorINSA_8identityIiEENSC_INSA_10device_ptrIiEEEESG_SG_EENS0_5tupleIJPiSJ_EEENSR_IJSJ_SJ_EEES6_PlJS6_EEE10hipError_tPvRmT3_T4_T5_T6_T7_T9_mT8_P12ihipStream_tbDpT10_ENKUlT_T0_E_clISt17integral_constantIbLb0EES1E_IbLb1EEEEDaS1A_S1B_EUlS1A_E_NS1_11comp_targetILNS1_3genE8ELNS1_11target_archE1030ELNS1_3gpuE2ELNS1_3repE0EEENS1_30default_config_static_selectorELNS0_4arch9wavefront6targetE1EEEvT1_
; %bb.0:
	.section	.rodata,"a",@progbits
	.p2align	6, 0x0
	.amdhsa_kernel _ZN7rocprim17ROCPRIM_400000_NS6detail17trampoline_kernelINS0_14default_configENS1_25partition_config_selectorILNS1_17partition_subalgoE2EiNS0_10empty_typeEbEEZZNS1_14partition_implILS5_2ELb0ES3_jN6thrust23THRUST_200600_302600_NS6detail15normal_iteratorINSA_7pointerIiNSA_11hip_rocprim3tagENSA_11use_defaultESG_EEEEPS6_NSA_18transform_iteratorINSA_8identityIiEENSC_INSA_10device_ptrIiEEEESG_SG_EENS0_5tupleIJPiSJ_EEENSR_IJSJ_SJ_EEES6_PlJS6_EEE10hipError_tPvRmT3_T4_T5_T6_T7_T9_mT8_P12ihipStream_tbDpT10_ENKUlT_T0_E_clISt17integral_constantIbLb0EES1E_IbLb1EEEEDaS1A_S1B_EUlS1A_E_NS1_11comp_targetILNS1_3genE8ELNS1_11target_archE1030ELNS1_3gpuE2ELNS1_3repE0EEENS1_30default_config_static_selectorELNS0_4arch9wavefront6targetE1EEEvT1_
		.amdhsa_group_segment_fixed_size 0
		.amdhsa_private_segment_fixed_size 0
		.amdhsa_kernarg_size 144
		.amdhsa_user_sgpr_count 2
		.amdhsa_user_sgpr_dispatch_ptr 0
		.amdhsa_user_sgpr_queue_ptr 0
		.amdhsa_user_sgpr_kernarg_segment_ptr 1
		.amdhsa_user_sgpr_dispatch_id 0
		.amdhsa_user_sgpr_kernarg_preload_length 0
		.amdhsa_user_sgpr_kernarg_preload_offset 0
		.amdhsa_user_sgpr_private_segment_size 0
		.amdhsa_uses_dynamic_stack 0
		.amdhsa_enable_private_segment 0
		.amdhsa_system_sgpr_workgroup_id_x 1
		.amdhsa_system_sgpr_workgroup_id_y 0
		.amdhsa_system_sgpr_workgroup_id_z 0
		.amdhsa_system_sgpr_workgroup_info 0
		.amdhsa_system_vgpr_workitem_id 0
		.amdhsa_next_free_vgpr 1
		.amdhsa_next_free_sgpr 0
		.amdhsa_accum_offset 4
		.amdhsa_reserve_vcc 0
		.amdhsa_float_round_mode_32 0
		.amdhsa_float_round_mode_16_64 0
		.amdhsa_float_denorm_mode_32 3
		.amdhsa_float_denorm_mode_16_64 3
		.amdhsa_dx10_clamp 1
		.amdhsa_ieee_mode 1
		.amdhsa_fp16_overflow 0
		.amdhsa_tg_split 0
		.amdhsa_exception_fp_ieee_invalid_op 0
		.amdhsa_exception_fp_denorm_src 0
		.amdhsa_exception_fp_ieee_div_zero 0
		.amdhsa_exception_fp_ieee_overflow 0
		.amdhsa_exception_fp_ieee_underflow 0
		.amdhsa_exception_fp_ieee_inexact 0
		.amdhsa_exception_int_div_zero 0
	.end_amdhsa_kernel
	.section	.text._ZN7rocprim17ROCPRIM_400000_NS6detail17trampoline_kernelINS0_14default_configENS1_25partition_config_selectorILNS1_17partition_subalgoE2EiNS0_10empty_typeEbEEZZNS1_14partition_implILS5_2ELb0ES3_jN6thrust23THRUST_200600_302600_NS6detail15normal_iteratorINSA_7pointerIiNSA_11hip_rocprim3tagENSA_11use_defaultESG_EEEEPS6_NSA_18transform_iteratorINSA_8identityIiEENSC_INSA_10device_ptrIiEEEESG_SG_EENS0_5tupleIJPiSJ_EEENSR_IJSJ_SJ_EEES6_PlJS6_EEE10hipError_tPvRmT3_T4_T5_T6_T7_T9_mT8_P12ihipStream_tbDpT10_ENKUlT_T0_E_clISt17integral_constantIbLb0EES1E_IbLb1EEEEDaS1A_S1B_EUlS1A_E_NS1_11comp_targetILNS1_3genE8ELNS1_11target_archE1030ELNS1_3gpuE2ELNS1_3repE0EEENS1_30default_config_static_selectorELNS0_4arch9wavefront6targetE1EEEvT1_,"axG",@progbits,_ZN7rocprim17ROCPRIM_400000_NS6detail17trampoline_kernelINS0_14default_configENS1_25partition_config_selectorILNS1_17partition_subalgoE2EiNS0_10empty_typeEbEEZZNS1_14partition_implILS5_2ELb0ES3_jN6thrust23THRUST_200600_302600_NS6detail15normal_iteratorINSA_7pointerIiNSA_11hip_rocprim3tagENSA_11use_defaultESG_EEEEPS6_NSA_18transform_iteratorINSA_8identityIiEENSC_INSA_10device_ptrIiEEEESG_SG_EENS0_5tupleIJPiSJ_EEENSR_IJSJ_SJ_EEES6_PlJS6_EEE10hipError_tPvRmT3_T4_T5_T6_T7_T9_mT8_P12ihipStream_tbDpT10_ENKUlT_T0_E_clISt17integral_constantIbLb0EES1E_IbLb1EEEEDaS1A_S1B_EUlS1A_E_NS1_11comp_targetILNS1_3genE8ELNS1_11target_archE1030ELNS1_3gpuE2ELNS1_3repE0EEENS1_30default_config_static_selectorELNS0_4arch9wavefront6targetE1EEEvT1_,comdat
.Lfunc_end544:
	.size	_ZN7rocprim17ROCPRIM_400000_NS6detail17trampoline_kernelINS0_14default_configENS1_25partition_config_selectorILNS1_17partition_subalgoE2EiNS0_10empty_typeEbEEZZNS1_14partition_implILS5_2ELb0ES3_jN6thrust23THRUST_200600_302600_NS6detail15normal_iteratorINSA_7pointerIiNSA_11hip_rocprim3tagENSA_11use_defaultESG_EEEEPS6_NSA_18transform_iteratorINSA_8identityIiEENSC_INSA_10device_ptrIiEEEESG_SG_EENS0_5tupleIJPiSJ_EEENSR_IJSJ_SJ_EEES6_PlJS6_EEE10hipError_tPvRmT3_T4_T5_T6_T7_T9_mT8_P12ihipStream_tbDpT10_ENKUlT_T0_E_clISt17integral_constantIbLb0EES1E_IbLb1EEEEDaS1A_S1B_EUlS1A_E_NS1_11comp_targetILNS1_3genE8ELNS1_11target_archE1030ELNS1_3gpuE2ELNS1_3repE0EEENS1_30default_config_static_selectorELNS0_4arch9wavefront6targetE1EEEvT1_, .Lfunc_end544-_ZN7rocprim17ROCPRIM_400000_NS6detail17trampoline_kernelINS0_14default_configENS1_25partition_config_selectorILNS1_17partition_subalgoE2EiNS0_10empty_typeEbEEZZNS1_14partition_implILS5_2ELb0ES3_jN6thrust23THRUST_200600_302600_NS6detail15normal_iteratorINSA_7pointerIiNSA_11hip_rocprim3tagENSA_11use_defaultESG_EEEEPS6_NSA_18transform_iteratorINSA_8identityIiEENSC_INSA_10device_ptrIiEEEESG_SG_EENS0_5tupleIJPiSJ_EEENSR_IJSJ_SJ_EEES6_PlJS6_EEE10hipError_tPvRmT3_T4_T5_T6_T7_T9_mT8_P12ihipStream_tbDpT10_ENKUlT_T0_E_clISt17integral_constantIbLb0EES1E_IbLb1EEEEDaS1A_S1B_EUlS1A_E_NS1_11comp_targetILNS1_3genE8ELNS1_11target_archE1030ELNS1_3gpuE2ELNS1_3repE0EEENS1_30default_config_static_selectorELNS0_4arch9wavefront6targetE1EEEvT1_
                                        ; -- End function
	.section	.AMDGPU.csdata,"",@progbits
; Kernel info:
; codeLenInByte = 0
; NumSgprs: 6
; NumVgprs: 0
; NumAgprs: 0
; TotalNumVgprs: 0
; ScratchSize: 0
; MemoryBound: 0
; FloatMode: 240
; IeeeMode: 1
; LDSByteSize: 0 bytes/workgroup (compile time only)
; SGPRBlocks: 0
; VGPRBlocks: 0
; NumSGPRsForWavesPerEU: 6
; NumVGPRsForWavesPerEU: 1
; AccumOffset: 4
; Occupancy: 8
; WaveLimiterHint : 0
; COMPUTE_PGM_RSRC2:SCRATCH_EN: 0
; COMPUTE_PGM_RSRC2:USER_SGPR: 2
; COMPUTE_PGM_RSRC2:TRAP_HANDLER: 0
; COMPUTE_PGM_RSRC2:TGID_X_EN: 1
; COMPUTE_PGM_RSRC2:TGID_Y_EN: 0
; COMPUTE_PGM_RSRC2:TGID_Z_EN: 0
; COMPUTE_PGM_RSRC2:TIDIG_COMP_CNT: 0
; COMPUTE_PGM_RSRC3_GFX90A:ACCUM_OFFSET: 0
; COMPUTE_PGM_RSRC3_GFX90A:TG_SPLIT: 0
	.section	.text._ZN7rocprim17ROCPRIM_400000_NS6detail17trampoline_kernelINS0_14default_configENS1_25partition_config_selectorILNS1_17partition_subalgoE2EsNS0_10empty_typeEbEEZZNS1_14partition_implILS5_2ELb0ES3_jN6thrust23THRUST_200600_302600_NS6detail15normal_iteratorINSA_7pointerIsNSA_11hip_rocprim3tagENSA_11use_defaultESG_EEEEPS6_NSA_18transform_iteratorINSA_8identityIsEENSC_INSA_10device_ptrIsEEEESG_SG_EENS0_5tupleIJPsSJ_EEENSR_IJSJ_SJ_EEES6_PlJS6_EEE10hipError_tPvRmT3_T4_T5_T6_T7_T9_mT8_P12ihipStream_tbDpT10_ENKUlT_T0_E_clISt17integral_constantIbLb0EES1F_EEDaS1A_S1B_EUlS1A_E_NS1_11comp_targetILNS1_3genE0ELNS1_11target_archE4294967295ELNS1_3gpuE0ELNS1_3repE0EEENS1_30default_config_static_selectorELNS0_4arch9wavefront6targetE1EEEvT1_,"axG",@progbits,_ZN7rocprim17ROCPRIM_400000_NS6detail17trampoline_kernelINS0_14default_configENS1_25partition_config_selectorILNS1_17partition_subalgoE2EsNS0_10empty_typeEbEEZZNS1_14partition_implILS5_2ELb0ES3_jN6thrust23THRUST_200600_302600_NS6detail15normal_iteratorINSA_7pointerIsNSA_11hip_rocprim3tagENSA_11use_defaultESG_EEEEPS6_NSA_18transform_iteratorINSA_8identityIsEENSC_INSA_10device_ptrIsEEEESG_SG_EENS0_5tupleIJPsSJ_EEENSR_IJSJ_SJ_EEES6_PlJS6_EEE10hipError_tPvRmT3_T4_T5_T6_T7_T9_mT8_P12ihipStream_tbDpT10_ENKUlT_T0_E_clISt17integral_constantIbLb0EES1F_EEDaS1A_S1B_EUlS1A_E_NS1_11comp_targetILNS1_3genE0ELNS1_11target_archE4294967295ELNS1_3gpuE0ELNS1_3repE0EEENS1_30default_config_static_selectorELNS0_4arch9wavefront6targetE1EEEvT1_,comdat
	.protected	_ZN7rocprim17ROCPRIM_400000_NS6detail17trampoline_kernelINS0_14default_configENS1_25partition_config_selectorILNS1_17partition_subalgoE2EsNS0_10empty_typeEbEEZZNS1_14partition_implILS5_2ELb0ES3_jN6thrust23THRUST_200600_302600_NS6detail15normal_iteratorINSA_7pointerIsNSA_11hip_rocprim3tagENSA_11use_defaultESG_EEEEPS6_NSA_18transform_iteratorINSA_8identityIsEENSC_INSA_10device_ptrIsEEEESG_SG_EENS0_5tupleIJPsSJ_EEENSR_IJSJ_SJ_EEES6_PlJS6_EEE10hipError_tPvRmT3_T4_T5_T6_T7_T9_mT8_P12ihipStream_tbDpT10_ENKUlT_T0_E_clISt17integral_constantIbLb0EES1F_EEDaS1A_S1B_EUlS1A_E_NS1_11comp_targetILNS1_3genE0ELNS1_11target_archE4294967295ELNS1_3gpuE0ELNS1_3repE0EEENS1_30default_config_static_selectorELNS0_4arch9wavefront6targetE1EEEvT1_ ; -- Begin function _ZN7rocprim17ROCPRIM_400000_NS6detail17trampoline_kernelINS0_14default_configENS1_25partition_config_selectorILNS1_17partition_subalgoE2EsNS0_10empty_typeEbEEZZNS1_14partition_implILS5_2ELb0ES3_jN6thrust23THRUST_200600_302600_NS6detail15normal_iteratorINSA_7pointerIsNSA_11hip_rocprim3tagENSA_11use_defaultESG_EEEEPS6_NSA_18transform_iteratorINSA_8identityIsEENSC_INSA_10device_ptrIsEEEESG_SG_EENS0_5tupleIJPsSJ_EEENSR_IJSJ_SJ_EEES6_PlJS6_EEE10hipError_tPvRmT3_T4_T5_T6_T7_T9_mT8_P12ihipStream_tbDpT10_ENKUlT_T0_E_clISt17integral_constantIbLb0EES1F_EEDaS1A_S1B_EUlS1A_E_NS1_11comp_targetILNS1_3genE0ELNS1_11target_archE4294967295ELNS1_3gpuE0ELNS1_3repE0EEENS1_30default_config_static_selectorELNS0_4arch9wavefront6targetE1EEEvT1_
	.globl	_ZN7rocprim17ROCPRIM_400000_NS6detail17trampoline_kernelINS0_14default_configENS1_25partition_config_selectorILNS1_17partition_subalgoE2EsNS0_10empty_typeEbEEZZNS1_14partition_implILS5_2ELb0ES3_jN6thrust23THRUST_200600_302600_NS6detail15normal_iteratorINSA_7pointerIsNSA_11hip_rocprim3tagENSA_11use_defaultESG_EEEEPS6_NSA_18transform_iteratorINSA_8identityIsEENSC_INSA_10device_ptrIsEEEESG_SG_EENS0_5tupleIJPsSJ_EEENSR_IJSJ_SJ_EEES6_PlJS6_EEE10hipError_tPvRmT3_T4_T5_T6_T7_T9_mT8_P12ihipStream_tbDpT10_ENKUlT_T0_E_clISt17integral_constantIbLb0EES1F_EEDaS1A_S1B_EUlS1A_E_NS1_11comp_targetILNS1_3genE0ELNS1_11target_archE4294967295ELNS1_3gpuE0ELNS1_3repE0EEENS1_30default_config_static_selectorELNS0_4arch9wavefront6targetE1EEEvT1_
	.p2align	8
	.type	_ZN7rocprim17ROCPRIM_400000_NS6detail17trampoline_kernelINS0_14default_configENS1_25partition_config_selectorILNS1_17partition_subalgoE2EsNS0_10empty_typeEbEEZZNS1_14partition_implILS5_2ELb0ES3_jN6thrust23THRUST_200600_302600_NS6detail15normal_iteratorINSA_7pointerIsNSA_11hip_rocprim3tagENSA_11use_defaultESG_EEEEPS6_NSA_18transform_iteratorINSA_8identityIsEENSC_INSA_10device_ptrIsEEEESG_SG_EENS0_5tupleIJPsSJ_EEENSR_IJSJ_SJ_EEES6_PlJS6_EEE10hipError_tPvRmT3_T4_T5_T6_T7_T9_mT8_P12ihipStream_tbDpT10_ENKUlT_T0_E_clISt17integral_constantIbLb0EES1F_EEDaS1A_S1B_EUlS1A_E_NS1_11comp_targetILNS1_3genE0ELNS1_11target_archE4294967295ELNS1_3gpuE0ELNS1_3repE0EEENS1_30default_config_static_selectorELNS0_4arch9wavefront6targetE1EEEvT1_,@function
_ZN7rocprim17ROCPRIM_400000_NS6detail17trampoline_kernelINS0_14default_configENS1_25partition_config_selectorILNS1_17partition_subalgoE2EsNS0_10empty_typeEbEEZZNS1_14partition_implILS5_2ELb0ES3_jN6thrust23THRUST_200600_302600_NS6detail15normal_iteratorINSA_7pointerIsNSA_11hip_rocprim3tagENSA_11use_defaultESG_EEEEPS6_NSA_18transform_iteratorINSA_8identityIsEENSC_INSA_10device_ptrIsEEEESG_SG_EENS0_5tupleIJPsSJ_EEENSR_IJSJ_SJ_EEES6_PlJS6_EEE10hipError_tPvRmT3_T4_T5_T6_T7_T9_mT8_P12ihipStream_tbDpT10_ENKUlT_T0_E_clISt17integral_constantIbLb0EES1F_EEDaS1A_S1B_EUlS1A_E_NS1_11comp_targetILNS1_3genE0ELNS1_11target_archE4294967295ELNS1_3gpuE0ELNS1_3repE0EEENS1_30default_config_static_selectorELNS0_4arch9wavefront6targetE1EEEvT1_: ; @_ZN7rocprim17ROCPRIM_400000_NS6detail17trampoline_kernelINS0_14default_configENS1_25partition_config_selectorILNS1_17partition_subalgoE2EsNS0_10empty_typeEbEEZZNS1_14partition_implILS5_2ELb0ES3_jN6thrust23THRUST_200600_302600_NS6detail15normal_iteratorINSA_7pointerIsNSA_11hip_rocprim3tagENSA_11use_defaultESG_EEEEPS6_NSA_18transform_iteratorINSA_8identityIsEENSC_INSA_10device_ptrIsEEEESG_SG_EENS0_5tupleIJPsSJ_EEENSR_IJSJ_SJ_EEES6_PlJS6_EEE10hipError_tPvRmT3_T4_T5_T6_T7_T9_mT8_P12ihipStream_tbDpT10_ENKUlT_T0_E_clISt17integral_constantIbLb0EES1F_EEDaS1A_S1B_EUlS1A_E_NS1_11comp_targetILNS1_3genE0ELNS1_11target_archE4294967295ELNS1_3gpuE0ELNS1_3repE0EEENS1_30default_config_static_selectorELNS0_4arch9wavefront6targetE1EEEvT1_
; %bb.0:
	.section	.rodata,"a",@progbits
	.p2align	6, 0x0
	.amdhsa_kernel _ZN7rocprim17ROCPRIM_400000_NS6detail17trampoline_kernelINS0_14default_configENS1_25partition_config_selectorILNS1_17partition_subalgoE2EsNS0_10empty_typeEbEEZZNS1_14partition_implILS5_2ELb0ES3_jN6thrust23THRUST_200600_302600_NS6detail15normal_iteratorINSA_7pointerIsNSA_11hip_rocprim3tagENSA_11use_defaultESG_EEEEPS6_NSA_18transform_iteratorINSA_8identityIsEENSC_INSA_10device_ptrIsEEEESG_SG_EENS0_5tupleIJPsSJ_EEENSR_IJSJ_SJ_EEES6_PlJS6_EEE10hipError_tPvRmT3_T4_T5_T6_T7_T9_mT8_P12ihipStream_tbDpT10_ENKUlT_T0_E_clISt17integral_constantIbLb0EES1F_EEDaS1A_S1B_EUlS1A_E_NS1_11comp_targetILNS1_3genE0ELNS1_11target_archE4294967295ELNS1_3gpuE0ELNS1_3repE0EEENS1_30default_config_static_selectorELNS0_4arch9wavefront6targetE1EEEvT1_
		.amdhsa_group_segment_fixed_size 0
		.amdhsa_private_segment_fixed_size 0
		.amdhsa_kernarg_size 128
		.amdhsa_user_sgpr_count 2
		.amdhsa_user_sgpr_dispatch_ptr 0
		.amdhsa_user_sgpr_queue_ptr 0
		.amdhsa_user_sgpr_kernarg_segment_ptr 1
		.amdhsa_user_sgpr_dispatch_id 0
		.amdhsa_user_sgpr_kernarg_preload_length 0
		.amdhsa_user_sgpr_kernarg_preload_offset 0
		.amdhsa_user_sgpr_private_segment_size 0
		.amdhsa_uses_dynamic_stack 0
		.amdhsa_enable_private_segment 0
		.amdhsa_system_sgpr_workgroup_id_x 1
		.amdhsa_system_sgpr_workgroup_id_y 0
		.amdhsa_system_sgpr_workgroup_id_z 0
		.amdhsa_system_sgpr_workgroup_info 0
		.amdhsa_system_vgpr_workitem_id 0
		.amdhsa_next_free_vgpr 1
		.amdhsa_next_free_sgpr 0
		.amdhsa_accum_offset 4
		.amdhsa_reserve_vcc 0
		.amdhsa_float_round_mode_32 0
		.amdhsa_float_round_mode_16_64 0
		.amdhsa_float_denorm_mode_32 3
		.amdhsa_float_denorm_mode_16_64 3
		.amdhsa_dx10_clamp 1
		.amdhsa_ieee_mode 1
		.amdhsa_fp16_overflow 0
		.amdhsa_tg_split 0
		.amdhsa_exception_fp_ieee_invalid_op 0
		.amdhsa_exception_fp_denorm_src 0
		.amdhsa_exception_fp_ieee_div_zero 0
		.amdhsa_exception_fp_ieee_overflow 0
		.amdhsa_exception_fp_ieee_underflow 0
		.amdhsa_exception_fp_ieee_inexact 0
		.amdhsa_exception_int_div_zero 0
	.end_amdhsa_kernel
	.section	.text._ZN7rocprim17ROCPRIM_400000_NS6detail17trampoline_kernelINS0_14default_configENS1_25partition_config_selectorILNS1_17partition_subalgoE2EsNS0_10empty_typeEbEEZZNS1_14partition_implILS5_2ELb0ES3_jN6thrust23THRUST_200600_302600_NS6detail15normal_iteratorINSA_7pointerIsNSA_11hip_rocprim3tagENSA_11use_defaultESG_EEEEPS6_NSA_18transform_iteratorINSA_8identityIsEENSC_INSA_10device_ptrIsEEEESG_SG_EENS0_5tupleIJPsSJ_EEENSR_IJSJ_SJ_EEES6_PlJS6_EEE10hipError_tPvRmT3_T4_T5_T6_T7_T9_mT8_P12ihipStream_tbDpT10_ENKUlT_T0_E_clISt17integral_constantIbLb0EES1F_EEDaS1A_S1B_EUlS1A_E_NS1_11comp_targetILNS1_3genE0ELNS1_11target_archE4294967295ELNS1_3gpuE0ELNS1_3repE0EEENS1_30default_config_static_selectorELNS0_4arch9wavefront6targetE1EEEvT1_,"axG",@progbits,_ZN7rocprim17ROCPRIM_400000_NS6detail17trampoline_kernelINS0_14default_configENS1_25partition_config_selectorILNS1_17partition_subalgoE2EsNS0_10empty_typeEbEEZZNS1_14partition_implILS5_2ELb0ES3_jN6thrust23THRUST_200600_302600_NS6detail15normal_iteratorINSA_7pointerIsNSA_11hip_rocprim3tagENSA_11use_defaultESG_EEEEPS6_NSA_18transform_iteratorINSA_8identityIsEENSC_INSA_10device_ptrIsEEEESG_SG_EENS0_5tupleIJPsSJ_EEENSR_IJSJ_SJ_EEES6_PlJS6_EEE10hipError_tPvRmT3_T4_T5_T6_T7_T9_mT8_P12ihipStream_tbDpT10_ENKUlT_T0_E_clISt17integral_constantIbLb0EES1F_EEDaS1A_S1B_EUlS1A_E_NS1_11comp_targetILNS1_3genE0ELNS1_11target_archE4294967295ELNS1_3gpuE0ELNS1_3repE0EEENS1_30default_config_static_selectorELNS0_4arch9wavefront6targetE1EEEvT1_,comdat
.Lfunc_end545:
	.size	_ZN7rocprim17ROCPRIM_400000_NS6detail17trampoline_kernelINS0_14default_configENS1_25partition_config_selectorILNS1_17partition_subalgoE2EsNS0_10empty_typeEbEEZZNS1_14partition_implILS5_2ELb0ES3_jN6thrust23THRUST_200600_302600_NS6detail15normal_iteratorINSA_7pointerIsNSA_11hip_rocprim3tagENSA_11use_defaultESG_EEEEPS6_NSA_18transform_iteratorINSA_8identityIsEENSC_INSA_10device_ptrIsEEEESG_SG_EENS0_5tupleIJPsSJ_EEENSR_IJSJ_SJ_EEES6_PlJS6_EEE10hipError_tPvRmT3_T4_T5_T6_T7_T9_mT8_P12ihipStream_tbDpT10_ENKUlT_T0_E_clISt17integral_constantIbLb0EES1F_EEDaS1A_S1B_EUlS1A_E_NS1_11comp_targetILNS1_3genE0ELNS1_11target_archE4294967295ELNS1_3gpuE0ELNS1_3repE0EEENS1_30default_config_static_selectorELNS0_4arch9wavefront6targetE1EEEvT1_, .Lfunc_end545-_ZN7rocprim17ROCPRIM_400000_NS6detail17trampoline_kernelINS0_14default_configENS1_25partition_config_selectorILNS1_17partition_subalgoE2EsNS0_10empty_typeEbEEZZNS1_14partition_implILS5_2ELb0ES3_jN6thrust23THRUST_200600_302600_NS6detail15normal_iteratorINSA_7pointerIsNSA_11hip_rocprim3tagENSA_11use_defaultESG_EEEEPS6_NSA_18transform_iteratorINSA_8identityIsEENSC_INSA_10device_ptrIsEEEESG_SG_EENS0_5tupleIJPsSJ_EEENSR_IJSJ_SJ_EEES6_PlJS6_EEE10hipError_tPvRmT3_T4_T5_T6_T7_T9_mT8_P12ihipStream_tbDpT10_ENKUlT_T0_E_clISt17integral_constantIbLb0EES1F_EEDaS1A_S1B_EUlS1A_E_NS1_11comp_targetILNS1_3genE0ELNS1_11target_archE4294967295ELNS1_3gpuE0ELNS1_3repE0EEENS1_30default_config_static_selectorELNS0_4arch9wavefront6targetE1EEEvT1_
                                        ; -- End function
	.section	.AMDGPU.csdata,"",@progbits
; Kernel info:
; codeLenInByte = 0
; NumSgprs: 6
; NumVgprs: 0
; NumAgprs: 0
; TotalNumVgprs: 0
; ScratchSize: 0
; MemoryBound: 0
; FloatMode: 240
; IeeeMode: 1
; LDSByteSize: 0 bytes/workgroup (compile time only)
; SGPRBlocks: 0
; VGPRBlocks: 0
; NumSGPRsForWavesPerEU: 6
; NumVGPRsForWavesPerEU: 1
; AccumOffset: 4
; Occupancy: 8
; WaveLimiterHint : 0
; COMPUTE_PGM_RSRC2:SCRATCH_EN: 0
; COMPUTE_PGM_RSRC2:USER_SGPR: 2
; COMPUTE_PGM_RSRC2:TRAP_HANDLER: 0
; COMPUTE_PGM_RSRC2:TGID_X_EN: 1
; COMPUTE_PGM_RSRC2:TGID_Y_EN: 0
; COMPUTE_PGM_RSRC2:TGID_Z_EN: 0
; COMPUTE_PGM_RSRC2:TIDIG_COMP_CNT: 0
; COMPUTE_PGM_RSRC3_GFX90A:ACCUM_OFFSET: 0
; COMPUTE_PGM_RSRC3_GFX90A:TG_SPLIT: 0
	.section	.text._ZN7rocprim17ROCPRIM_400000_NS6detail17trampoline_kernelINS0_14default_configENS1_25partition_config_selectorILNS1_17partition_subalgoE2EsNS0_10empty_typeEbEEZZNS1_14partition_implILS5_2ELb0ES3_jN6thrust23THRUST_200600_302600_NS6detail15normal_iteratorINSA_7pointerIsNSA_11hip_rocprim3tagENSA_11use_defaultESG_EEEEPS6_NSA_18transform_iteratorINSA_8identityIsEENSC_INSA_10device_ptrIsEEEESG_SG_EENS0_5tupleIJPsSJ_EEENSR_IJSJ_SJ_EEES6_PlJS6_EEE10hipError_tPvRmT3_T4_T5_T6_T7_T9_mT8_P12ihipStream_tbDpT10_ENKUlT_T0_E_clISt17integral_constantIbLb0EES1F_EEDaS1A_S1B_EUlS1A_E_NS1_11comp_targetILNS1_3genE5ELNS1_11target_archE942ELNS1_3gpuE9ELNS1_3repE0EEENS1_30default_config_static_selectorELNS0_4arch9wavefront6targetE1EEEvT1_,"axG",@progbits,_ZN7rocprim17ROCPRIM_400000_NS6detail17trampoline_kernelINS0_14default_configENS1_25partition_config_selectorILNS1_17partition_subalgoE2EsNS0_10empty_typeEbEEZZNS1_14partition_implILS5_2ELb0ES3_jN6thrust23THRUST_200600_302600_NS6detail15normal_iteratorINSA_7pointerIsNSA_11hip_rocprim3tagENSA_11use_defaultESG_EEEEPS6_NSA_18transform_iteratorINSA_8identityIsEENSC_INSA_10device_ptrIsEEEESG_SG_EENS0_5tupleIJPsSJ_EEENSR_IJSJ_SJ_EEES6_PlJS6_EEE10hipError_tPvRmT3_T4_T5_T6_T7_T9_mT8_P12ihipStream_tbDpT10_ENKUlT_T0_E_clISt17integral_constantIbLb0EES1F_EEDaS1A_S1B_EUlS1A_E_NS1_11comp_targetILNS1_3genE5ELNS1_11target_archE942ELNS1_3gpuE9ELNS1_3repE0EEENS1_30default_config_static_selectorELNS0_4arch9wavefront6targetE1EEEvT1_,comdat
	.protected	_ZN7rocprim17ROCPRIM_400000_NS6detail17trampoline_kernelINS0_14default_configENS1_25partition_config_selectorILNS1_17partition_subalgoE2EsNS0_10empty_typeEbEEZZNS1_14partition_implILS5_2ELb0ES3_jN6thrust23THRUST_200600_302600_NS6detail15normal_iteratorINSA_7pointerIsNSA_11hip_rocprim3tagENSA_11use_defaultESG_EEEEPS6_NSA_18transform_iteratorINSA_8identityIsEENSC_INSA_10device_ptrIsEEEESG_SG_EENS0_5tupleIJPsSJ_EEENSR_IJSJ_SJ_EEES6_PlJS6_EEE10hipError_tPvRmT3_T4_T5_T6_T7_T9_mT8_P12ihipStream_tbDpT10_ENKUlT_T0_E_clISt17integral_constantIbLb0EES1F_EEDaS1A_S1B_EUlS1A_E_NS1_11comp_targetILNS1_3genE5ELNS1_11target_archE942ELNS1_3gpuE9ELNS1_3repE0EEENS1_30default_config_static_selectorELNS0_4arch9wavefront6targetE1EEEvT1_ ; -- Begin function _ZN7rocprim17ROCPRIM_400000_NS6detail17trampoline_kernelINS0_14default_configENS1_25partition_config_selectorILNS1_17partition_subalgoE2EsNS0_10empty_typeEbEEZZNS1_14partition_implILS5_2ELb0ES3_jN6thrust23THRUST_200600_302600_NS6detail15normal_iteratorINSA_7pointerIsNSA_11hip_rocprim3tagENSA_11use_defaultESG_EEEEPS6_NSA_18transform_iteratorINSA_8identityIsEENSC_INSA_10device_ptrIsEEEESG_SG_EENS0_5tupleIJPsSJ_EEENSR_IJSJ_SJ_EEES6_PlJS6_EEE10hipError_tPvRmT3_T4_T5_T6_T7_T9_mT8_P12ihipStream_tbDpT10_ENKUlT_T0_E_clISt17integral_constantIbLb0EES1F_EEDaS1A_S1B_EUlS1A_E_NS1_11comp_targetILNS1_3genE5ELNS1_11target_archE942ELNS1_3gpuE9ELNS1_3repE0EEENS1_30default_config_static_selectorELNS0_4arch9wavefront6targetE1EEEvT1_
	.globl	_ZN7rocprim17ROCPRIM_400000_NS6detail17trampoline_kernelINS0_14default_configENS1_25partition_config_selectorILNS1_17partition_subalgoE2EsNS0_10empty_typeEbEEZZNS1_14partition_implILS5_2ELb0ES3_jN6thrust23THRUST_200600_302600_NS6detail15normal_iteratorINSA_7pointerIsNSA_11hip_rocprim3tagENSA_11use_defaultESG_EEEEPS6_NSA_18transform_iteratorINSA_8identityIsEENSC_INSA_10device_ptrIsEEEESG_SG_EENS0_5tupleIJPsSJ_EEENSR_IJSJ_SJ_EEES6_PlJS6_EEE10hipError_tPvRmT3_T4_T5_T6_T7_T9_mT8_P12ihipStream_tbDpT10_ENKUlT_T0_E_clISt17integral_constantIbLb0EES1F_EEDaS1A_S1B_EUlS1A_E_NS1_11comp_targetILNS1_3genE5ELNS1_11target_archE942ELNS1_3gpuE9ELNS1_3repE0EEENS1_30default_config_static_selectorELNS0_4arch9wavefront6targetE1EEEvT1_
	.p2align	8
	.type	_ZN7rocprim17ROCPRIM_400000_NS6detail17trampoline_kernelINS0_14default_configENS1_25partition_config_selectorILNS1_17partition_subalgoE2EsNS0_10empty_typeEbEEZZNS1_14partition_implILS5_2ELb0ES3_jN6thrust23THRUST_200600_302600_NS6detail15normal_iteratorINSA_7pointerIsNSA_11hip_rocprim3tagENSA_11use_defaultESG_EEEEPS6_NSA_18transform_iteratorINSA_8identityIsEENSC_INSA_10device_ptrIsEEEESG_SG_EENS0_5tupleIJPsSJ_EEENSR_IJSJ_SJ_EEES6_PlJS6_EEE10hipError_tPvRmT3_T4_T5_T6_T7_T9_mT8_P12ihipStream_tbDpT10_ENKUlT_T0_E_clISt17integral_constantIbLb0EES1F_EEDaS1A_S1B_EUlS1A_E_NS1_11comp_targetILNS1_3genE5ELNS1_11target_archE942ELNS1_3gpuE9ELNS1_3repE0EEENS1_30default_config_static_selectorELNS0_4arch9wavefront6targetE1EEEvT1_,@function
_ZN7rocprim17ROCPRIM_400000_NS6detail17trampoline_kernelINS0_14default_configENS1_25partition_config_selectorILNS1_17partition_subalgoE2EsNS0_10empty_typeEbEEZZNS1_14partition_implILS5_2ELb0ES3_jN6thrust23THRUST_200600_302600_NS6detail15normal_iteratorINSA_7pointerIsNSA_11hip_rocprim3tagENSA_11use_defaultESG_EEEEPS6_NSA_18transform_iteratorINSA_8identityIsEENSC_INSA_10device_ptrIsEEEESG_SG_EENS0_5tupleIJPsSJ_EEENSR_IJSJ_SJ_EEES6_PlJS6_EEE10hipError_tPvRmT3_T4_T5_T6_T7_T9_mT8_P12ihipStream_tbDpT10_ENKUlT_T0_E_clISt17integral_constantIbLb0EES1F_EEDaS1A_S1B_EUlS1A_E_NS1_11comp_targetILNS1_3genE5ELNS1_11target_archE942ELNS1_3gpuE9ELNS1_3repE0EEENS1_30default_config_static_selectorELNS0_4arch9wavefront6targetE1EEEvT1_: ; @_ZN7rocprim17ROCPRIM_400000_NS6detail17trampoline_kernelINS0_14default_configENS1_25partition_config_selectorILNS1_17partition_subalgoE2EsNS0_10empty_typeEbEEZZNS1_14partition_implILS5_2ELb0ES3_jN6thrust23THRUST_200600_302600_NS6detail15normal_iteratorINSA_7pointerIsNSA_11hip_rocprim3tagENSA_11use_defaultESG_EEEEPS6_NSA_18transform_iteratorINSA_8identityIsEENSC_INSA_10device_ptrIsEEEESG_SG_EENS0_5tupleIJPsSJ_EEENSR_IJSJ_SJ_EEES6_PlJS6_EEE10hipError_tPvRmT3_T4_T5_T6_T7_T9_mT8_P12ihipStream_tbDpT10_ENKUlT_T0_E_clISt17integral_constantIbLb0EES1F_EEDaS1A_S1B_EUlS1A_E_NS1_11comp_targetILNS1_3genE5ELNS1_11target_archE942ELNS1_3gpuE9ELNS1_3repE0EEENS1_30default_config_static_selectorELNS0_4arch9wavefront6targetE1EEEvT1_
; %bb.0:
	s_load_dwordx4 s[24:27], s[0:1], 0x8
	s_load_dwordx2 s[6:7], s[0:1], 0x20
	s_load_dwordx2 s[28:29], s[0:1], 0x60
	s_load_dwordx4 s[20:23], s[0:1], 0x50
	s_load_dword s3, s[0:1], 0x78
	s_waitcnt lgkmcnt(0)
	s_lshl_b64 s[8:9], s[26:27], 1
	s_add_u32 s12, s24, s8
	s_addc_u32 s13, s25, s9
	s_load_dwordx2 s[30:31], s[22:23], 0x0
	s_add_i32 s10, s3, -1
	s_mulk_i32 s3, 0x3c00
	s_add_i32 s4, s3, s26
	s_sub_i32 s33, s28, s4
	s_addk_i32 s33, 0x3c00
	s_add_u32 s4, s26, s3
	s_addc_u32 s5, s27, 0
	s_cmp_eq_u32 s2, s10
	v_mov_b64_e32 v[2:3], s[28:29]
	s_cselect_b64 s[22:23], -1, 0
	s_cmp_lg_u32 s2, s10
	s_mul_i32 s24, s2, 0x3c00
	s_mov_b32 s25, 0
	v_cmp_lt_u64_e32 vcc, s[4:5], v[2:3]
	s_cselect_b64 s[4:5], -1, 0
	s_or_b64 s[34:35], s[4:5], vcc
	s_lshl_b64 s[10:11], s[24:25], 1
	s_add_u32 s12, s12, s10
	s_addc_u32 s13, s13, s11
	s_mov_b64 s[4:5], -1
	s_and_b64 vcc, exec, s[34:35]
	v_lshlrev_b32_e32 v12, 1, v0
	s_cbranch_vccz .LBB546_2
; %bb.1:
	v_mov_b32_e32 v13, 0
	v_lshl_add_u64 v[2:3], s[12:13], 0, v[12:13]
	v_add_co_u32_e32 v4, vcc, 0x1000, v2
	s_mov_b64 s[4:5], 0
	s_nop 0
	v_addc_co_u32_e32 v5, vcc, 0, v3, vcc
	flat_load_ushort v1, v[2:3]
	flat_load_ushort v8, v[2:3] offset:1024
	flat_load_ushort v9, v[2:3] offset:2048
	flat_load_ushort v10, v[2:3] offset:3072
	flat_load_ushort v11, v[4:5]
	flat_load_ushort v13, v[4:5] offset:1024
	flat_load_ushort v14, v[4:5] offset:2048
	flat_load_ushort v15, v[4:5] offset:3072
	v_add_co_u32_e32 v4, vcc, 0x2000, v2
	s_nop 1
	v_addc_co_u32_e32 v5, vcc, 0, v3, vcc
	v_add_co_u32_e32 v6, vcc, 0x3000, v2
	s_nop 1
	v_addc_co_u32_e32 v7, vcc, 0, v3, vcc
	flat_load_ushort v16, v[4:5]
	flat_load_ushort v17, v[4:5] offset:1024
	flat_load_ushort v18, v[4:5] offset:2048
	flat_load_ushort v19, v[4:5] offset:3072
	flat_load_ushort v20, v[6:7]
	flat_load_ushort v21, v[6:7] offset:1024
	flat_load_ushort v22, v[6:7] offset:2048
	flat_load_ushort v23, v[6:7] offset:3072
	v_add_co_u32_e32 v4, vcc, 0x4000, v2
	s_nop 1
	v_addc_co_u32_e32 v5, vcc, 0, v3, vcc
	v_add_co_u32_e32 v6, vcc, 0x5000, v2
	;; [unrolled: 14-line block ×3, first 2 shown]
	s_nop 1
	v_addc_co_u32_e32 v3, vcc, 0, v3, vcc
	flat_load_ushort v6, v[4:5]
	flat_load_ushort v7, v[4:5] offset:1024
	flat_load_ushort v32, v[4:5] offset:2048
	;; [unrolled: 1-line block ×3, first 2 shown]
	flat_load_ushort v34, v[2:3]
	flat_load_ushort v35, v[2:3] offset:1024
	s_waitcnt vmcnt(0) lgkmcnt(0)
	ds_write_b16 v12, v1
	ds_write_b16 v12, v8 offset:1024
	ds_write_b16 v12, v9 offset:2048
	ds_write_b16 v12, v10 offset:3072
	ds_write_b16 v12, v11 offset:4096
	ds_write_b16 v12, v13 offset:5120
	ds_write_b16 v12, v14 offset:6144
	ds_write_b16 v12, v15 offset:7168
	ds_write_b16 v12, v16 offset:8192
	ds_write_b16 v12, v17 offset:9216
	ds_write_b16 v12, v18 offset:10240
	ds_write_b16 v12, v19 offset:11264
	ds_write_b16 v12, v20 offset:12288
	ds_write_b16 v12, v21 offset:13312
	ds_write_b16 v12, v22 offset:14336
	ds_write_b16 v12, v23 offset:15360
	ds_write_b16 v12, v24 offset:16384
	ds_write_b16 v12, v25 offset:17408
	ds_write_b16 v12, v26 offset:18432
	ds_write_b16 v12, v27 offset:19456
	ds_write_b16 v12, v28 offset:20480
	ds_write_b16 v12, v29 offset:21504
	ds_write_b16 v12, v30 offset:22528
	ds_write_b16 v12, v31 offset:23552
	ds_write_b16 v12, v6 offset:24576
	ds_write_b16 v12, v7 offset:25600
	ds_write_b16 v12, v32 offset:26624
	ds_write_b16 v12, v33 offset:27648
	ds_write_b16 v12, v34 offset:28672
	ds_write_b16 v12, v35 offset:29696
	s_waitcnt lgkmcnt(0)
	s_barrier
.LBB546_2:
	s_andn2_b64 vcc, exec, s[4:5]
	v_cmp_gt_u32_e64 s[4:5], s33, v0
	s_cbranch_vccnz .LBB546_64
; %bb.3:
                                        ; implicit-def: $vgpr1
	s_and_saveexec_b64 s[14:15], s[4:5]
	s_cbranch_execz .LBB546_5
; %bb.4:
	v_mov_b32_e32 v13, 0
	v_lshl_add_u64 v[2:3], s[12:13], 0, v[12:13]
	flat_load_ushort v1, v[2:3]
.LBB546_5:
	s_or_b64 exec, exec, s[14:15]
	v_or_b32_e32 v2, 0x200, v0
	v_cmp_gt_u32_e32 vcc, s33, v2
                                        ; implicit-def: $vgpr2
	s_and_saveexec_b64 s[4:5], vcc
	s_cbranch_execz .LBB546_7
; %bb.6:
	v_mov_b32_e32 v13, 0
	v_lshl_add_u64 v[2:3], s[12:13], 0, v[12:13]
	flat_load_ushort v2, v[2:3] offset:1024
.LBB546_7:
	s_or_b64 exec, exec, s[4:5]
	v_or_b32_e32 v3, 0x400, v0
	v_cmp_gt_u32_e32 vcc, s33, v3
                                        ; implicit-def: $vgpr3
	s_and_saveexec_b64 s[4:5], vcc
	s_cbranch_execz .LBB546_9
; %bb.8:
	v_mov_b32_e32 v13, 0
	v_lshl_add_u64 v[4:5], s[12:13], 0, v[12:13]
	flat_load_ushort v3, v[4:5] offset:2048
.LBB546_9:
	s_or_b64 exec, exec, s[4:5]
	v_or_b32_e32 v4, 0x600, v0
	v_cmp_gt_u32_e32 vcc, s33, v4
                                        ; implicit-def: $vgpr4
	s_and_saveexec_b64 s[4:5], vcc
	s_cbranch_execz .LBB546_11
; %bb.10:
	v_mov_b32_e32 v13, 0
	v_lshl_add_u64 v[4:5], s[12:13], 0, v[12:13]
	flat_load_ushort v4, v[4:5] offset:3072
.LBB546_11:
	s_or_b64 exec, exec, s[4:5]
	v_or_b32_e32 v6, 0x800, v0
	v_cmp_gt_u32_e32 vcc, s33, v6
                                        ; implicit-def: $vgpr5
	s_and_saveexec_b64 s[4:5], vcc
	s_cbranch_execz .LBB546_13
; %bb.12:
	v_lshlrev_b32_e32 v6, 1, v6
	v_mov_b32_e32 v7, 0
	v_lshl_add_u64 v[6:7], s[12:13], 0, v[6:7]
	flat_load_ushort v5, v[6:7]
.LBB546_13:
	s_or_b64 exec, exec, s[4:5]
	v_or_b32_e32 v7, 0xa00, v0
	v_cmp_gt_u32_e32 vcc, s33, v7
                                        ; implicit-def: $vgpr6
	s_and_saveexec_b64 s[4:5], vcc
	s_cbranch_execz .LBB546_15
; %bb.14:
	v_lshlrev_b32_e32 v6, 1, v7
	v_mov_b32_e32 v7, 0
	v_lshl_add_u64 v[6:7], s[12:13], 0, v[6:7]
	flat_load_ushort v6, v[6:7]
.LBB546_15:
	s_or_b64 exec, exec, s[4:5]
	v_or_b32_e32 v8, 0xc00, v0
	v_cmp_gt_u32_e32 vcc, s33, v8
                                        ; implicit-def: $vgpr7
	s_and_saveexec_b64 s[4:5], vcc
	s_cbranch_execz .LBB546_17
; %bb.16:
	v_lshlrev_b32_e32 v8, 1, v8
	v_mov_b32_e32 v9, 0
	v_lshl_add_u64 v[8:9], s[12:13], 0, v[8:9]
	flat_load_ushort v7, v[8:9]
.LBB546_17:
	s_or_b64 exec, exec, s[4:5]
	v_or_b32_e32 v9, 0xe00, v0
	v_cmp_gt_u32_e32 vcc, s33, v9
                                        ; implicit-def: $vgpr8
	s_and_saveexec_b64 s[4:5], vcc
	s_cbranch_execz .LBB546_19
; %bb.18:
	v_lshlrev_b32_e32 v8, 1, v9
	v_mov_b32_e32 v9, 0
	v_lshl_add_u64 v[8:9], s[12:13], 0, v[8:9]
	flat_load_ushort v8, v[8:9]
.LBB546_19:
	s_or_b64 exec, exec, s[4:5]
	v_or_b32_e32 v10, 0x1000, v0
	v_cmp_gt_u32_e32 vcc, s33, v10
                                        ; implicit-def: $vgpr9
	s_and_saveexec_b64 s[4:5], vcc
	s_cbranch_execz .LBB546_21
; %bb.20:
	v_lshlrev_b32_e32 v10, 1, v10
	v_mov_b32_e32 v11, 0
	v_lshl_add_u64 v[10:11], s[12:13], 0, v[10:11]
	flat_load_ushort v9, v[10:11]
.LBB546_21:
	s_or_b64 exec, exec, s[4:5]
	v_or_b32_e32 v11, 0x1200, v0
	v_cmp_gt_u32_e32 vcc, s33, v11
                                        ; implicit-def: $vgpr10
	s_and_saveexec_b64 s[4:5], vcc
	s_cbranch_execz .LBB546_23
; %bb.22:
	v_lshlrev_b32_e32 v10, 1, v11
	v_mov_b32_e32 v11, 0
	v_lshl_add_u64 v[10:11], s[12:13], 0, v[10:11]
	flat_load_ushort v10, v[10:11]
.LBB546_23:
	s_or_b64 exec, exec, s[4:5]
	v_or_b32_e32 v13, 0x1400, v0
	v_cmp_gt_u32_e32 vcc, s33, v13
                                        ; implicit-def: $vgpr11
	s_and_saveexec_b64 s[4:5], vcc
	s_cbranch_execz .LBB546_25
; %bb.24:
	v_lshlrev_b32_e32 v14, 1, v13
	v_mov_b32_e32 v15, 0
	v_lshl_add_u64 v[14:15], s[12:13], 0, v[14:15]
	flat_load_ushort v11, v[14:15]
.LBB546_25:
	s_or_b64 exec, exec, s[4:5]
	v_or_b32_e32 v14, 0x1600, v0
	v_cmp_gt_u32_e32 vcc, s33, v14
                                        ; implicit-def: $vgpr13
	s_and_saveexec_b64 s[4:5], vcc
	s_cbranch_execz .LBB546_27
; %bb.26:
	v_lshlrev_b32_e32 v14, 1, v14
	v_mov_b32_e32 v15, 0
	v_lshl_add_u64 v[14:15], s[12:13], 0, v[14:15]
	flat_load_ushort v13, v[14:15]
.LBB546_27:
	s_or_b64 exec, exec, s[4:5]
	v_or_b32_e32 v15, 0x1800, v0
	v_cmp_gt_u32_e32 vcc, s33, v15
                                        ; implicit-def: $vgpr14
	s_and_saveexec_b64 s[4:5], vcc
	s_cbranch_execz .LBB546_29
; %bb.28:
	v_lshlrev_b32_e32 v14, 1, v15
	v_mov_b32_e32 v15, 0
	v_lshl_add_u64 v[14:15], s[12:13], 0, v[14:15]
	flat_load_ushort v14, v[14:15]
.LBB546_29:
	s_or_b64 exec, exec, s[4:5]
	v_or_b32_e32 v16, 0x1a00, v0
	v_cmp_gt_u32_e32 vcc, s33, v16
                                        ; implicit-def: $vgpr15
	s_and_saveexec_b64 s[4:5], vcc
	s_cbranch_execz .LBB546_31
; %bb.30:
	v_lshlrev_b32_e32 v16, 1, v16
	v_mov_b32_e32 v17, 0
	v_lshl_add_u64 v[16:17], s[12:13], 0, v[16:17]
	flat_load_ushort v15, v[16:17]
.LBB546_31:
	s_or_b64 exec, exec, s[4:5]
	v_or_b32_e32 v17, 0x1c00, v0
	v_cmp_gt_u32_e32 vcc, s33, v17
                                        ; implicit-def: $vgpr16
	s_and_saveexec_b64 s[4:5], vcc
	s_cbranch_execz .LBB546_33
; %bb.32:
	v_lshlrev_b32_e32 v16, 1, v17
	v_mov_b32_e32 v17, 0
	v_lshl_add_u64 v[16:17], s[12:13], 0, v[16:17]
	flat_load_ushort v16, v[16:17]
.LBB546_33:
	s_or_b64 exec, exec, s[4:5]
	v_or_b32_e32 v18, 0x1e00, v0
	v_cmp_gt_u32_e32 vcc, s33, v18
                                        ; implicit-def: $vgpr17
	s_and_saveexec_b64 s[4:5], vcc
	s_cbranch_execz .LBB546_35
; %bb.34:
	v_lshlrev_b32_e32 v18, 1, v18
	v_mov_b32_e32 v19, 0
	v_lshl_add_u64 v[18:19], s[12:13], 0, v[18:19]
	flat_load_ushort v17, v[18:19]
.LBB546_35:
	s_or_b64 exec, exec, s[4:5]
	v_or_b32_e32 v19, 0x2000, v0
	v_cmp_gt_u32_e32 vcc, s33, v19
                                        ; implicit-def: $vgpr18
	s_and_saveexec_b64 s[4:5], vcc
	s_cbranch_execz .LBB546_37
; %bb.36:
	v_lshlrev_b32_e32 v18, 1, v19
	v_mov_b32_e32 v19, 0
	v_lshl_add_u64 v[18:19], s[12:13], 0, v[18:19]
	flat_load_ushort v18, v[18:19]
.LBB546_37:
	s_or_b64 exec, exec, s[4:5]
	v_or_b32_e32 v20, 0x2200, v0
	v_cmp_gt_u32_e32 vcc, s33, v20
                                        ; implicit-def: $vgpr19
	s_and_saveexec_b64 s[4:5], vcc
	s_cbranch_execz .LBB546_39
; %bb.38:
	v_lshlrev_b32_e32 v20, 1, v20
	v_mov_b32_e32 v21, 0
	v_lshl_add_u64 v[20:21], s[12:13], 0, v[20:21]
	flat_load_ushort v19, v[20:21]
.LBB546_39:
	s_or_b64 exec, exec, s[4:5]
	v_or_b32_e32 v21, 0x2400, v0
	v_cmp_gt_u32_e32 vcc, s33, v21
                                        ; implicit-def: $vgpr20
	s_and_saveexec_b64 s[4:5], vcc
	s_cbranch_execz .LBB546_41
; %bb.40:
	v_lshlrev_b32_e32 v20, 1, v21
	v_mov_b32_e32 v21, 0
	v_lshl_add_u64 v[20:21], s[12:13], 0, v[20:21]
	flat_load_ushort v20, v[20:21]
.LBB546_41:
	s_or_b64 exec, exec, s[4:5]
	v_or_b32_e32 v22, 0x2600, v0
	v_cmp_gt_u32_e32 vcc, s33, v22
                                        ; implicit-def: $vgpr21
	s_and_saveexec_b64 s[4:5], vcc
	s_cbranch_execz .LBB546_43
; %bb.42:
	v_lshlrev_b32_e32 v22, 1, v22
	v_mov_b32_e32 v23, 0
	v_lshl_add_u64 v[22:23], s[12:13], 0, v[22:23]
	flat_load_ushort v21, v[22:23]
.LBB546_43:
	s_or_b64 exec, exec, s[4:5]
	v_or_b32_e32 v23, 0x2800, v0
	v_cmp_gt_u32_e32 vcc, s33, v23
                                        ; implicit-def: $vgpr22
	s_and_saveexec_b64 s[4:5], vcc
	s_cbranch_execz .LBB546_45
; %bb.44:
	v_lshlrev_b32_e32 v22, 1, v23
	v_mov_b32_e32 v23, 0
	v_lshl_add_u64 v[22:23], s[12:13], 0, v[22:23]
	flat_load_ushort v22, v[22:23]
.LBB546_45:
	s_or_b64 exec, exec, s[4:5]
	v_or_b32_e32 v24, 0x2a00, v0
	v_cmp_gt_u32_e32 vcc, s33, v24
                                        ; implicit-def: $vgpr23
	s_and_saveexec_b64 s[4:5], vcc
	s_cbranch_execz .LBB546_47
; %bb.46:
	v_lshlrev_b32_e32 v24, 1, v24
	v_mov_b32_e32 v25, 0
	v_lshl_add_u64 v[24:25], s[12:13], 0, v[24:25]
	flat_load_ushort v23, v[24:25]
.LBB546_47:
	s_or_b64 exec, exec, s[4:5]
	v_or_b32_e32 v25, 0x2c00, v0
	v_cmp_gt_u32_e32 vcc, s33, v25
                                        ; implicit-def: $vgpr24
	s_and_saveexec_b64 s[4:5], vcc
	s_cbranch_execz .LBB546_49
; %bb.48:
	v_lshlrev_b32_e32 v24, 1, v25
	v_mov_b32_e32 v25, 0
	v_lshl_add_u64 v[24:25], s[12:13], 0, v[24:25]
	flat_load_ushort v24, v[24:25]
.LBB546_49:
	s_or_b64 exec, exec, s[4:5]
	v_or_b32_e32 v26, 0x2e00, v0
	v_cmp_gt_u32_e32 vcc, s33, v26
                                        ; implicit-def: $vgpr25
	s_and_saveexec_b64 s[4:5], vcc
	s_cbranch_execz .LBB546_51
; %bb.50:
	v_lshlrev_b32_e32 v26, 1, v26
	v_mov_b32_e32 v27, 0
	v_lshl_add_u64 v[26:27], s[12:13], 0, v[26:27]
	flat_load_ushort v25, v[26:27]
.LBB546_51:
	s_or_b64 exec, exec, s[4:5]
	v_or_b32_e32 v27, 0x3000, v0
	v_cmp_gt_u32_e32 vcc, s33, v27
                                        ; implicit-def: $vgpr26
	s_and_saveexec_b64 s[4:5], vcc
	s_cbranch_execz .LBB546_53
; %bb.52:
	v_lshlrev_b32_e32 v26, 1, v27
	v_mov_b32_e32 v27, 0
	v_lshl_add_u64 v[26:27], s[12:13], 0, v[26:27]
	flat_load_ushort v26, v[26:27]
.LBB546_53:
	s_or_b64 exec, exec, s[4:5]
	v_or_b32_e32 v28, 0x3200, v0
	v_cmp_gt_u32_e32 vcc, s33, v28
                                        ; implicit-def: $vgpr27
	s_and_saveexec_b64 s[4:5], vcc
	s_cbranch_execz .LBB546_55
; %bb.54:
	v_lshlrev_b32_e32 v28, 1, v28
	v_mov_b32_e32 v29, 0
	v_lshl_add_u64 v[28:29], s[12:13], 0, v[28:29]
	flat_load_ushort v27, v[28:29]
.LBB546_55:
	s_or_b64 exec, exec, s[4:5]
	v_or_b32_e32 v29, 0x3400, v0
	v_cmp_gt_u32_e32 vcc, s33, v29
                                        ; implicit-def: $vgpr28
	s_and_saveexec_b64 s[4:5], vcc
	s_cbranch_execz .LBB546_57
; %bb.56:
	v_lshlrev_b32_e32 v28, 1, v29
	v_mov_b32_e32 v29, 0
	v_lshl_add_u64 v[28:29], s[12:13], 0, v[28:29]
	flat_load_ushort v28, v[28:29]
.LBB546_57:
	s_or_b64 exec, exec, s[4:5]
	v_or_b32_e32 v30, 0x3600, v0
	v_cmp_gt_u32_e32 vcc, s33, v30
                                        ; implicit-def: $vgpr29
	s_and_saveexec_b64 s[4:5], vcc
	s_cbranch_execz .LBB546_59
; %bb.58:
	v_lshlrev_b32_e32 v30, 1, v30
	v_mov_b32_e32 v31, 0
	v_lshl_add_u64 v[30:31], s[12:13], 0, v[30:31]
	flat_load_ushort v29, v[30:31]
.LBB546_59:
	s_or_b64 exec, exec, s[4:5]
	v_or_b32_e32 v31, 0x3800, v0
	v_cmp_gt_u32_e32 vcc, s33, v31
                                        ; implicit-def: $vgpr30
	s_and_saveexec_b64 s[4:5], vcc
	s_cbranch_execz .LBB546_61
; %bb.60:
	v_lshlrev_b32_e32 v30, 1, v31
	v_mov_b32_e32 v31, 0
	v_lshl_add_u64 v[30:31], s[12:13], 0, v[30:31]
	flat_load_ushort v30, v[30:31]
.LBB546_61:
	s_or_b64 exec, exec, s[4:5]
	v_or_b32_e32 v32, 0x3a00, v0
	v_cmp_gt_u32_e32 vcc, s33, v32
                                        ; implicit-def: $vgpr31
	s_and_saveexec_b64 s[4:5], vcc
	s_cbranch_execz .LBB546_63
; %bb.62:
	v_lshlrev_b32_e32 v32, 1, v32
	v_mov_b32_e32 v33, 0
	v_lshl_add_u64 v[32:33], s[12:13], 0, v[32:33]
	flat_load_ushort v31, v[32:33]
.LBB546_63:
	s_or_b64 exec, exec, s[4:5]
	s_waitcnt vmcnt(0) lgkmcnt(0)
	ds_write_b16 v12, v1
	ds_write_b16 v12, v2 offset:1024
	ds_write_b16 v12, v3 offset:2048
	;; [unrolled: 1-line block ×29, first 2 shown]
	s_waitcnt lgkmcnt(0)
	s_barrier
.LBB546_64:
	v_mul_u32_u24_e32 v9, 30, v0
	v_lshlrev_b32_e32 v2, 1, v9
	s_waitcnt lgkmcnt(0)
	ds_read2_b32 v[26:27], v2 offset1:1
	ds_read2_b32 v[24:25], v2 offset0:2 offset1:3
	ds_read2_b32 v[22:23], v2 offset0:4 offset1:5
	;; [unrolled: 1-line block ×3, first 2 shown]
	ds_read_b32 v1, v2 offset:56
	ds_read2_b32 v[14:15], v2 offset0:12 offset1:13
	ds_read2_b32 v[16:17], v2 offset0:10 offset1:11
	;; [unrolled: 1-line block ×3, first 2 shown]
	s_add_u32 s3, s6, s8
	s_addc_u32 s5, s7, s9
	s_add_u32 s4, s3, s10
	s_addc_u32 s5, s5, s11
	s_mov_b64 s[6:7], -1
	s_and_b64 vcc, exec, s[34:35]
	s_waitcnt lgkmcnt(0)
	s_barrier
	s_cbranch_vccz .LBB546_66
; %bb.65:
	global_load_ushort v8, v12, s[4:5]
	v_mov_b32_e32 v13, 0
	v_lshl_add_u64 v[2:3], s[4:5], 0, v[12:13]
	s_movk_i32 s3, 0x1000
	v_add_co_u32_e32 v4, vcc, s3, v2
	s_movk_i32 s3, 0x2000
	s_nop 0
	v_addc_co_u32_e32 v5, vcc, 0, v3, vcc
	v_add_co_u32_e32 v6, vcc, s3, v2
	s_movk_i32 s3, 0x3000
	s_nop 0
	v_addc_co_u32_e32 v7, vcc, 0, v3, vcc
	global_load_ushort v13, v12, s[4:5] offset:1024
	global_load_ushort v28, v12, s[4:5] offset:2048
	;; [unrolled: 1-line block ×3, first 2 shown]
	global_load_ushort v30, v[6:7], off offset:-4096
	global_load_ushort v31, v[4:5], off offset:1024
	global_load_ushort v32, v[4:5], off offset:2048
	;; [unrolled: 1-line block ×3, first 2 shown]
	global_load_ushort v34, v[6:7], off
	global_load_ushort v35, v[6:7], off offset:1024
	global_load_ushort v36, v[6:7], off offset:2048
	v_add_co_u32_e32 v4, vcc, s3, v2
	s_movk_i32 s3, 0x4000
	s_nop 0
	v_addc_co_u32_e32 v5, vcc, 0, v3, vcc
	v_add_co_u32_e32 v10, vcc, s3, v2
	s_movk_i32 s6, 0x6000
	s_nop 0
	v_addc_co_u32_e32 v11, vcc, 0, v3, vcc
	global_load_ushort v37, v[6:7], off offset:3072
	global_load_ushort v38, v[10:11], off offset:-4096
	global_load_ushort v39, v[4:5], off offset:1024
	global_load_ushort v40, v[4:5], off offset:2048
	;; [unrolled: 1-line block ×3, first 2 shown]
	global_load_ushort v42, v[10:11], off
	global_load_ushort v43, v[10:11], off offset:1024
	global_load_ushort v44, v[10:11], off offset:2048
	v_add_co_u32_e32 v4, vcc, s6, v2
	s_movk_i32 s3, 0x5000
	s_nop 0
	v_addc_co_u32_e32 v5, vcc, 0, v3, vcc
	global_load_ushort v45, v[10:11], off offset:3072
	global_load_ushort v46, v[4:5], off offset:-4096
	v_add_co_u32_e32 v6, vcc, s3, v2
	s_movk_i32 s3, 0x7000
	s_nop 0
	v_addc_co_u32_e32 v7, vcc, 0, v3, vcc
	global_load_ushort v10, v[6:7], off offset:1024
	global_load_ushort v11, v[6:7], off offset:2048
	;; [unrolled: 1-line block ×3, first 2 shown]
	global_load_ushort v48, v[4:5], off
	global_load_ushort v49, v[4:5], off offset:1024
	global_load_ushort v50, v[4:5], off offset:2048
	;; [unrolled: 1-line block ×3, first 2 shown]
	v_add_co_u32_e32 v2, vcc, s3, v2
	s_mov_b64 s[6:7], 0
	s_nop 0
	v_addc_co_u32_e32 v3, vcc, 0, v3, vcc
	global_load_ushort v4, v[2:3], off
	global_load_ushort v5, v[2:3], off offset:1024
	s_waitcnt vmcnt(29)
	v_cmp_ne_u16_e32 vcc, 0, v8
	s_nop 1
	v_cndmask_b32_e64 v2, 0, 1, vcc
	s_waitcnt vmcnt(28)
	v_cmp_ne_u16_e32 vcc, 0, v13
	s_nop 1
	v_cndmask_b32_e64 v3, 0, 1, vcc
	;; [unrolled: 4-line block ×7, first 2 shown]
	v_cmp_ne_u16_e32 vcc, 0, v30
	s_nop 1
	v_cndmask_b32_e64 v29, 0, 1, vcc
	s_waitcnt vmcnt(21)
	v_cmp_ne_u16_e32 vcc, 0, v34
	s_nop 1
	v_cndmask_b32_e64 v30, 0, 1, vcc
	s_waitcnt vmcnt(20)
	;; [unrolled: 4-line block ×22, first 2 shown]
	v_cmp_ne_u16_e32 vcc, 0, v5
	s_nop 1
	v_cndmask_b32_e64 v5, 0, 1, vcc
	ds_write_b8 v0, v2
	ds_write_b8 v0, v3 offset:512
	ds_write_b8 v0, v6 offset:1024
	;; [unrolled: 1-line block ×29, first 2 shown]
	s_waitcnt lgkmcnt(0)
	s_barrier
.LBB546_66:
	s_load_dwordx2 s[36:37], s[0:1], 0x70
	s_andn2_b64 vcc, exec, s[6:7]
	s_cbranch_vccnz .LBB546_128
; %bb.67:
	v_cmp_gt_u32_e32 vcc, s33, v0
	v_mov_b32_e32 v2, 0
	v_mov_b32_e32 v3, 0
	s_and_saveexec_b64 s[6:7], vcc
	s_cbranch_execz .LBB546_69
; %bb.68:
	global_load_ushort v3, v12, s[4:5]
	s_waitcnt vmcnt(0)
	v_cmp_ne_u16_e32 vcc, 0, v3
	s_nop 1
	v_cndmask_b32_e64 v3, 0, 1, vcc
.LBB546_69:
	s_or_b64 exec, exec, s[6:7]
	v_or_b32_e32 v4, 0x200, v0
	v_cmp_gt_u32_e32 vcc, s33, v4
	s_and_saveexec_b64 s[6:7], vcc
	s_cbranch_execz .LBB546_71
; %bb.70:
	global_load_ushort v2, v12, s[4:5] offset:1024
	s_waitcnt vmcnt(0)
	v_cmp_ne_u16_e32 vcc, 0, v2
	s_nop 1
	v_cndmask_b32_e64 v2, 0, 1, vcc
.LBB546_71:
	s_or_b64 exec, exec, s[6:7]
	v_or_b32_e32 v4, 0x400, v0
	v_cmp_gt_u32_e32 vcc, s33, v4
	v_mov_b32_e32 v4, 0
	v_mov_b32_e32 v5, 0
	s_and_saveexec_b64 s[6:7], vcc
	s_cbranch_execz .LBB546_73
; %bb.72:
	global_load_ushort v5, v12, s[4:5] offset:2048
	s_waitcnt vmcnt(0)
	v_cmp_ne_u16_e32 vcc, 0, v5
	s_nop 1
	v_cndmask_b32_e64 v5, 0, 1, vcc
.LBB546_73:
	s_or_b64 exec, exec, s[6:7]
	v_or_b32_e32 v6, 0x600, v0
	v_cmp_gt_u32_e32 vcc, s33, v6
	s_and_saveexec_b64 s[6:7], vcc
	s_cbranch_execz .LBB546_75
; %bb.74:
	global_load_ushort v4, v12, s[4:5] offset:3072
	s_waitcnt vmcnt(0)
	v_cmp_ne_u16_e32 vcc, 0, v4
	s_nop 1
	v_cndmask_b32_e64 v4, 0, 1, vcc
.LBB546_75:
	s_or_b64 exec, exec, s[6:7]
	v_or_b32_e32 v8, 0x800, v0
	v_cmp_gt_u32_e32 vcc, s33, v8
	v_mov_b32_e32 v6, 0
	v_mov_b32_e32 v7, 0
	s_and_saveexec_b64 s[6:7], vcc
	s_cbranch_execz .LBB546_77
; %bb.76:
	v_lshlrev_b32_e32 v7, 1, v8
	global_load_ushort v7, v7, s[4:5]
	s_waitcnt vmcnt(0)
	v_cmp_ne_u16_e32 vcc, 0, v7
	s_nop 1
	v_cndmask_b32_e64 v7, 0, 1, vcc
.LBB546_77:
	s_or_b64 exec, exec, s[6:7]
	v_or_b32_e32 v8, 0xa00, v0
	v_cmp_gt_u32_e32 vcc, s33, v8
	s_and_saveexec_b64 s[6:7], vcc
	s_cbranch_execz .LBB546_79
; %bb.78:
	v_lshlrev_b32_e32 v6, 1, v8
	global_load_ushort v6, v6, s[4:5]
	s_waitcnt vmcnt(0)
	v_cmp_ne_u16_e32 vcc, 0, v6
	s_nop 1
	v_cndmask_b32_e64 v6, 0, 1, vcc
.LBB546_79:
	s_or_b64 exec, exec, s[6:7]
	v_or_b32_e32 v11, 0xc00, v0
	v_cmp_gt_u32_e32 vcc, s33, v11
	v_mov_b32_e32 v8, 0
	v_mov_b32_e32 v10, 0
	s_and_saveexec_b64 s[6:7], vcc
	s_cbranch_execz .LBB546_81
; %bb.80:
	v_lshlrev_b32_e32 v10, 1, v11
	global_load_ushort v10, v10, s[4:5]
	s_waitcnt vmcnt(0)
	v_cmp_ne_u16_e32 vcc, 0, v10
	s_nop 1
	v_cndmask_b32_e64 v10, 0, 1, vcc
.LBB546_81:
	s_or_b64 exec, exec, s[6:7]
	v_or_b32_e32 v11, 0xe00, v0
	v_cmp_gt_u32_e32 vcc, s33, v11
	s_and_saveexec_b64 s[6:7], vcc
	s_cbranch_execz .LBB546_83
; %bb.82:
	v_lshlrev_b32_e32 v8, 1, v11
	global_load_ushort v8, v8, s[4:5]
	s_waitcnt vmcnt(0)
	v_cmp_ne_u16_e32 vcc, 0, v8
	s_nop 1
	v_cndmask_b32_e64 v8, 0, 1, vcc
.LBB546_83:
	;; [unrolled: 28-line block ×13, first 2 shown]
	s_or_b64 exec, exec, s[6:7]
	ds_write_b8 v0, v3
	ds_write_b8 v0, v2 offset:512
	ds_write_b8 v0, v5 offset:1024
	;; [unrolled: 1-line block ×29, first 2 shown]
	s_waitcnt lgkmcnt(0)
	s_barrier
.LBB546_128:
	s_waitcnt lgkmcnt(0)
	ds_read_b128 v[2:5], v9
	ds_read_b96 v[6:8], v9 offset:16
	ds_read_u16 v36, v9 offset:28
	s_cmp_lg_u32 s2, 0
	v_lshrrev_b32_e32 v65, 6, v0
	s_waitcnt lgkmcnt(0)
	v_lshrrev_b32_e32 v44, 24, v2
	v_bfe_u32 v63, v2, 16, 8
	v_add_u32_sdwa v10, v2, v2 dst_sel:DWORD dst_unused:UNUSED_PAD src0_sel:BYTE_1 src1_sel:BYTE_0
	v_and_b32_e32 v60, 0xff, v3
	v_bfe_u32 v61, v3, 8, 8
	v_add3_u32 v10, v10, v63, v44
	v_lshrrev_b32_e32 v43, 24, v3
	v_bfe_u32 v62, v3, 16, 8
	v_add3_u32 v10, v10, v60, v61
	v_and_b32_e32 v57, 0xff, v4
	v_bfe_u32 v58, v4, 8, 8
	v_add3_u32 v10, v10, v62, v43
	v_lshrrev_b32_e32 v42, 24, v4
	v_bfe_u32 v59, v4, 16, 8
	v_add3_u32 v10, v10, v57, v58
	;; [unrolled: 6-line block ×6, first 2 shown]
	v_lshrrev_b16_e32 v13, 8, v36
	v_and_b32_e32 v38, 0xff, v36
	v_add3_u32 v10, v10, v47, v37
	v_add3_u32 v66, v10, v38, v13
	v_mbcnt_lo_u32_b32 v10, -1, 0
	v_mbcnt_hi_u32_b32 v64, -1, v10
	v_and_b32_e32 v10, 15, v64
	v_cmp_eq_u32_e64 s[14:15], 0, v10
	v_cmp_lt_u32_e64 s[12:13], 1, v10
	v_cmp_lt_u32_e64 s[10:11], 3, v10
	;; [unrolled: 1-line block ×3, first 2 shown]
	v_and_b32_e32 v10, 16, v64
	v_cmp_eq_u32_e64 s[6:7], 0, v10
	v_or_b32_e32 v10, 63, v0
	v_cmp_lt_u32_e64 s[18:19], 31, v64
	v_cmp_eq_u32_e64 s[4:5], v10, v0
	s_barrier
	s_cbranch_scc0 .LBB546_155
; %bb.129:
	v_mov_b32_dpp v10, v66 row_shr:1 row_mask:0xf bank_mask:0xf
	v_cndmask_b32_e64 v10, v10, 0, s[14:15]
	v_add_u32_e32 v10, v10, v66
	s_nop 1
	v_mov_b32_dpp v11, v10 row_shr:2 row_mask:0xf bank_mask:0xf
	v_cndmask_b32_e64 v11, 0, v11, s[12:13]
	v_add_u32_e32 v10, v10, v11
	s_nop 1
	;; [unrolled: 4-line block ×4, first 2 shown]
	v_mov_b32_dpp v11, v10 row_bcast:15 row_mask:0xf bank_mask:0xf
	v_cndmask_b32_e64 v11, v11, 0, s[6:7]
	v_add_u32_e32 v10, v10, v11
	s_nop 1
	v_mov_b32_dpp v11, v10 row_bcast:31 row_mask:0xf bank_mask:0xf
	v_cndmask_b32_e64 v11, 0, v11, s[18:19]
	v_add_u32_e32 v10, v10, v11
	s_and_saveexec_b64 s[16:17], s[4:5]
	s_cbranch_execz .LBB546_131
; %bb.130:
	v_lshlrev_b32_e32 v11, 2, v65
	ds_write_b32 v11, v10
.LBB546_131:
	s_or_b64 exec, exec, s[16:17]
	v_cmp_gt_u32_e32 vcc, 8, v0
	s_waitcnt lgkmcnt(0)
	s_barrier
	s_and_saveexec_b64 s[16:17], vcc
	s_cbranch_execz .LBB546_133
; %bb.132:
	v_lshlrev_b32_e32 v11, 2, v0
	ds_read_b32 v28, v11
	v_and_b32_e32 v29, 7, v64
	v_cmp_ne_u32_e32 vcc, 0, v29
	s_waitcnt lgkmcnt(0)
	v_mov_b32_dpp v30, v28 row_shr:1 row_mask:0xf bank_mask:0xf
	v_cndmask_b32_e32 v30, 0, v30, vcc
	v_add_u32_e32 v28, v30, v28
	v_cmp_lt_u32_e32 vcc, 1, v29
	s_nop 0
	v_mov_b32_dpp v30, v28 row_shr:2 row_mask:0xf bank_mask:0xf
	v_cndmask_b32_e32 v30, 0, v30, vcc
	v_add_u32_e32 v28, v28, v30
	v_cmp_lt_u32_e32 vcc, 3, v29
	s_nop 0
	v_mov_b32_dpp v30, v28 row_shr:4 row_mask:0xf bank_mask:0xf
	v_cndmask_b32_e32 v29, 0, v30, vcc
	v_add_u32_e32 v28, v28, v29
	ds_write_b32 v11, v28
.LBB546_133:
	s_or_b64 exec, exec, s[16:17]
	v_cmp_gt_u32_e32 vcc, 64, v0
	v_cmp_lt_u32_e64 s[16:17], 63, v0
	s_waitcnt lgkmcnt(0)
	s_barrier
	s_waitcnt lgkmcnt(0)
                                        ; implicit-def: $vgpr67
	s_and_saveexec_b64 s[38:39], s[16:17]
	s_cbranch_execz .LBB546_135
; %bb.134:
	v_lshl_add_u32 v11, v65, 2, -4
	ds_read_b32 v67, v11
	s_waitcnt lgkmcnt(0)
	v_add_u32_e32 v10, v67, v10
.LBB546_135:
	s_or_b64 exec, exec, s[38:39]
	v_add_u32_e32 v11, -1, v64
	v_and_b32_e32 v28, 64, v64
	v_cmp_lt_i32_e64 s[16:17], v11, v28
	s_nop 1
	v_cndmask_b32_e64 v11, v11, v64, s[16:17]
	v_lshlrev_b32_e32 v11, 2, v11
	ds_bpermute_b32 v68, v11, v10
	v_cmp_eq_u32_e64 s[16:17], 0, v64
	s_and_saveexec_b64 s[38:39], vcc
	s_cbranch_execz .LBB546_154
; %bb.136:
	v_mov_b32_e32 v33, 0
	ds_read_b32 v10, v33 offset:28
	s_and_saveexec_b64 s[40:41], s[16:17]
	s_cbranch_execz .LBB546_138
; %bb.137:
	s_add_i32 s42, s2, 64
	s_mov_b32 s43, 0
	s_lshl_b64 s[42:43], s[42:43], 3
	s_add_u32 s42, s36, s42
	v_mov_b32_e32 v11, 1
	s_addc_u32 s43, s37, s43
	s_waitcnt lgkmcnt(0)
	global_store_dwordx2 v33, v[10:11], s[42:43] sc1
.LBB546_138:
	s_or_b64 exec, exec, s[40:41]
	v_xad_u32 v28, v64, -1, s2
	v_add_u32_e32 v32, 64, v28
	v_lshl_add_u64 v[34:35], v[32:33], 3, s[36:37]
	global_load_dwordx2 v[30:31], v[34:35], off sc1
	s_waitcnt vmcnt(0)
	v_cmp_eq_u16_sdwa s[42:43], v31, v33 src0_sel:BYTE_0 src1_sel:DWORD
	s_and_saveexec_b64 s[40:41], s[42:43]
	s_cbranch_execz .LBB546_142
; %bb.139:
	s_mov_b64 s[42:43], 0
	v_mov_b32_e32 v11, 0
.LBB546_140:                            ; =>This Inner Loop Header: Depth=1
	global_load_dwordx2 v[30:31], v[34:35], off sc1
	s_waitcnt vmcnt(0)
	v_cmp_ne_u16_sdwa s[44:45], v31, v11 src0_sel:BYTE_0 src1_sel:DWORD
	s_or_b64 s[42:43], s[44:45], s[42:43]
	s_andn2_b64 exec, exec, s[42:43]
	s_cbranch_execnz .LBB546_140
; %bb.141:
	s_or_b64 exec, exec, s[42:43]
.LBB546_142:
	s_or_b64 exec, exec, s[40:41]
	v_and_b32_e32 v70, 63, v64
	v_mov_b32_e32 v69, 2
	v_cmp_ne_u32_e32 vcc, 63, v70
	v_cmp_eq_u16_sdwa s[40:41], v31, v69 src0_sel:BYTE_0 src1_sel:DWORD
	v_lshlrev_b64 v[32:33], v64, -1
	v_addc_co_u32_e32 v34, vcc, 0, v64, vcc
	v_and_b32_e32 v11, s41, v33
	v_lshlrev_b32_e32 v71, 2, v34
	v_or_b32_e32 v11, 0x80000000, v11
	ds_bpermute_b32 v34, v71, v30
	v_and_b32_e32 v29, s40, v32
	v_ffbl_b32_e32 v11, v11
	v_add_u32_e32 v11, 32, v11
	v_ffbl_b32_e32 v29, v29
	v_min_u32_e32 v11, v29, v11
	v_cmp_lt_u32_e32 vcc, v70, v11
	v_add_u32_e32 v73, 2, v70
	v_add_u32_e32 v75, 4, v70
	s_waitcnt lgkmcnt(0)
	v_cndmask_b32_e32 v29, 0, v34, vcc
	v_cmp_gt_u32_e32 vcc, 62, v70
	v_add_u32_e32 v29, v29, v30
	v_add_u32_e32 v77, 8, v70
	v_cndmask_b32_e64 v30, 0, 1, vcc
	v_lshlrev_b32_e32 v30, 1, v30
	v_add_lshl_u32 v72, v30, v64, 2
	ds_bpermute_b32 v30, v72, v29
	v_cmp_le_u32_e32 vcc, v73, v11
	v_add_u32_e32 v79, 16, v70
	v_add_u32_e32 v81, 32, v70
	s_waitcnt lgkmcnt(0)
	v_cndmask_b32_e32 v30, 0, v30, vcc
	v_cmp_gt_u32_e32 vcc, 60, v70
	v_add_u32_e32 v29, v29, v30
	s_nop 0
	v_cndmask_b32_e64 v30, 0, 1, vcc
	v_lshlrev_b32_e32 v30, 2, v30
	v_add_lshl_u32 v74, v30, v64, 2
	ds_bpermute_b32 v30, v74, v29
	v_cmp_le_u32_e32 vcc, v75, v11
	s_waitcnt lgkmcnt(0)
	s_nop 0
	v_cndmask_b32_e32 v30, 0, v30, vcc
	v_cmp_gt_u32_e32 vcc, 56, v70
	v_add_u32_e32 v29, v29, v30
	s_nop 0
	v_cndmask_b32_e64 v30, 0, 1, vcc
	v_lshlrev_b32_e32 v30, 3, v30
	v_add_lshl_u32 v76, v30, v64, 2
	ds_bpermute_b32 v30, v76, v29
	v_cmp_le_u32_e32 vcc, v77, v11
	s_waitcnt lgkmcnt(0)
	s_nop 0
	;; [unrolled: 11-line block ×4, first 2 shown]
	v_cndmask_b32_e32 v11, 0, v30, vcc
	v_add_u32_e32 v30, v29, v11
	v_mov_b32_e32 v29, 0
	s_branch .LBB546_144
.LBB546_143:                            ;   in Loop: Header=BB546_144 Depth=1
	s_or_b64 exec, exec, s[40:41]
	v_cmp_eq_u16_sdwa s[40:41], v31, v69 src0_sel:BYTE_0 src1_sel:DWORD
	ds_bpermute_b32 v82, v71, v30
	v_subrev_u32_e32 v28, 64, v28
	v_and_b32_e32 v34, s41, v33
	v_or_b32_e32 v34, 0x80000000, v34
	v_and_b32_e32 v35, s40, v32
	v_ffbl_b32_e32 v34, v34
	v_add_u32_e32 v34, 32, v34
	v_ffbl_b32_e32 v35, v35
	v_min_u32_e32 v34, v35, v34
	v_cmp_lt_u32_e32 vcc, v70, v34
	s_waitcnt lgkmcnt(0)
	s_nop 0
	v_cndmask_b32_e32 v35, 0, v82, vcc
	v_add_u32_e32 v30, v35, v30
	ds_bpermute_b32 v35, v72, v30
	v_cmp_le_u32_e32 vcc, v73, v34
	s_waitcnt lgkmcnt(0)
	s_nop 0
	v_cndmask_b32_e32 v35, 0, v35, vcc
	v_add_u32_e32 v30, v30, v35
	ds_bpermute_b32 v35, v74, v30
	v_cmp_le_u32_e32 vcc, v75, v34
	;; [unrolled: 6-line block ×5, first 2 shown]
	s_waitcnt lgkmcnt(0)
	s_nop 0
	v_cndmask_b32_e32 v34, 0, v35, vcc
	v_add3_u32 v30, v34, v11, v30
.LBB546_144:                            ; =>This Loop Header: Depth=1
                                        ;     Child Loop BB546_147 Depth 2
	v_cmp_ne_u16_sdwa s[40:41], v31, v69 src0_sel:BYTE_0 src1_sel:DWORD
	s_nop 1
	v_cndmask_b32_e64 v11, 0, 1, s[40:41]
	;;#ASMSTART
	;;#ASMEND
	s_nop 0
	v_cmp_ne_u32_e32 vcc, 0, v11
	s_cmp_lg_u64 vcc, exec
	v_mov_b32_e32 v11, v30
	s_cbranch_scc1 .LBB546_149
; %bb.145:                              ;   in Loop: Header=BB546_144 Depth=1
	v_lshl_add_u64 v[34:35], v[28:29], 3, s[36:37]
	global_load_dwordx2 v[30:31], v[34:35], off sc1
	s_waitcnt vmcnt(0)
	v_cmp_eq_u16_sdwa s[42:43], v31, v29 src0_sel:BYTE_0 src1_sel:DWORD
	s_and_saveexec_b64 s[40:41], s[42:43]
	s_cbranch_execz .LBB546_143
; %bb.146:                              ;   in Loop: Header=BB546_144 Depth=1
	s_mov_b64 s[42:43], 0
.LBB546_147:                            ;   Parent Loop BB546_144 Depth=1
                                        ; =>  This Inner Loop Header: Depth=2
	global_load_dwordx2 v[30:31], v[34:35], off sc1
	s_waitcnt vmcnt(0)
	v_cmp_ne_u16_sdwa s[44:45], v31, v29 src0_sel:BYTE_0 src1_sel:DWORD
	s_or_b64 s[42:43], s[44:45], s[42:43]
	s_andn2_b64 exec, exec, s[42:43]
	s_cbranch_execnz .LBB546_147
; %bb.148:                              ;   in Loop: Header=BB546_144 Depth=1
	s_or_b64 exec, exec, s[42:43]
	s_branch .LBB546_143
.LBB546_149:                            ;   in Loop: Header=BB546_144 Depth=1
                                        ; implicit-def: $vgpr30
                                        ; implicit-def: $vgpr31
	s_cbranch_execz .LBB546_144
; %bb.150:
	s_and_saveexec_b64 s[40:41], s[16:17]
	s_cbranch_execz .LBB546_152
; %bb.151:
	s_add_i32 s2, s2, 64
	s_mov_b32 s3, 0
	s_lshl_b64 s[2:3], s[2:3], 3
	s_add_u32 s2, s36, s2
	v_add_u32_e32 v28, v11, v10
	v_mov_b32_e32 v29, 2
	s_addc_u32 s3, s37, s3
	v_mov_b32_e32 v30, 0
	global_store_dwordx2 v30, v[28:29], s[2:3] sc1
	ds_write_b64 v30, v[10:11] offset:30720
.LBB546_152:
	s_or_b64 exec, exec, s[40:41]
	v_cmp_eq_u32_e32 vcc, 0, v0
	s_and_b64 exec, exec, vcc
	s_cbranch_execz .LBB546_154
; %bb.153:
	v_mov_b32_e32 v10, 0
	ds_write_b32 v10, v11 offset:28
.LBB546_154:
	s_or_b64 exec, exec, s[38:39]
	v_mov_b32_e32 v10, 0
	s_waitcnt lgkmcnt(0)
	s_barrier
	ds_read_b32 v29, v10 offset:28
	s_waitcnt lgkmcnt(0)
	s_barrier
	ds_read_b64 v[10:11], v10 offset:30720
	v_cndmask_b32_e64 v28, v68, v67, s[16:17]
	v_cmp_ne_u32_e32 vcc, 0, v0
	s_waitcnt lgkmcnt(0)
	v_mov_b32_e32 v68, v11
	v_cndmask_b32_e32 v28, 0, v28, vcc
	v_add_u32_e32 v33, v29, v28
	s_load_dwordx2 s[2:3], s[0:1], 0x30
	s_branch .LBB546_165
.LBB546_155:
                                        ; implicit-def: $vgpr68
                                        ; implicit-def: $vgpr10
                                        ; implicit-def: $vgpr33
	s_load_dwordx2 s[2:3], s[0:1], 0x30
	s_cbranch_execz .LBB546_165
; %bb.156:
	v_mov_b32_dpp v10, v66 row_shr:1 row_mask:0xf bank_mask:0xf
	v_cndmask_b32_e64 v10, v10, 0, s[14:15]
	v_add_u32_e32 v10, v10, v66
	s_nop 1
	v_mov_b32_dpp v11, v10 row_shr:2 row_mask:0xf bank_mask:0xf
	v_cndmask_b32_e64 v11, 0, v11, s[12:13]
	v_add_u32_e32 v10, v10, v11
	s_nop 1
	v_mov_b32_dpp v11, v10 row_shr:4 row_mask:0xf bank_mask:0xf
	v_cndmask_b32_e64 v11, 0, v11, s[10:11]
	v_add_u32_e32 v10, v10, v11
	s_nop 1
	v_mov_b32_dpp v11, v10 row_shr:8 row_mask:0xf bank_mask:0xf
	v_cndmask_b32_e64 v11, 0, v11, s[8:9]
	v_add_u32_e32 v10, v10, v11
	s_nop 1
	v_mov_b32_dpp v11, v10 row_bcast:15 row_mask:0xf bank_mask:0xf
	v_cndmask_b32_e64 v11, v11, 0, s[6:7]
	v_add_u32_e32 v10, v10, v11
	s_nop 1
	v_mov_b32_dpp v11, v10 row_bcast:31 row_mask:0xf bank_mask:0xf
	v_cndmask_b32_e64 v11, 0, v11, s[18:19]
	v_add_u32_e32 v10, v10, v11
	s_and_saveexec_b64 s[0:1], s[4:5]
	s_cbranch_execz .LBB546_158
; %bb.157:
	v_lshlrev_b32_e32 v11, 2, v65
	ds_write_b32 v11, v10
.LBB546_158:
	s_or_b64 exec, exec, s[0:1]
	v_cmp_gt_u32_e32 vcc, 8, v0
	s_waitcnt lgkmcnt(0)
	s_barrier
	s_and_saveexec_b64 s[0:1], vcc
	s_cbranch_execz .LBB546_160
; %bb.159:
	v_lshlrev_b32_e32 v11, 2, v0
	ds_read_b32 v28, v11
	v_and_b32_e32 v29, 7, v64
	v_cmp_ne_u32_e32 vcc, 0, v29
	s_waitcnt lgkmcnt(0)
	v_mov_b32_dpp v30, v28 row_shr:1 row_mask:0xf bank_mask:0xf
	v_cndmask_b32_e32 v30, 0, v30, vcc
	v_add_u32_e32 v28, v30, v28
	v_cmp_lt_u32_e32 vcc, 1, v29
	s_nop 0
	v_mov_b32_dpp v30, v28 row_shr:2 row_mask:0xf bank_mask:0xf
	v_cndmask_b32_e32 v30, 0, v30, vcc
	v_add_u32_e32 v28, v28, v30
	v_cmp_lt_u32_e32 vcc, 3, v29
	s_nop 0
	v_mov_b32_dpp v30, v28 row_shr:4 row_mask:0xf bank_mask:0xf
	v_cndmask_b32_e32 v29, 0, v30, vcc
	v_add_u32_e32 v28, v28, v29
	ds_write_b32 v11, v28
.LBB546_160:
	s_or_b64 exec, exec, s[0:1]
	v_cmp_lt_u32_e32 vcc, 63, v0
	v_mov_b32_e32 v11, 0
	v_mov_b32_e32 v28, 0
	s_waitcnt lgkmcnt(0)
	s_barrier
	s_and_saveexec_b64 s[0:1], vcc
	s_cbranch_execz .LBB546_162
; %bb.161:
	v_lshl_add_u32 v28, v65, 2, -4
	ds_read_b32 v28, v28
.LBB546_162:
	s_or_b64 exec, exec, s[0:1]
	v_add_u32_e32 v29, -1, v64
	v_and_b32_e32 v30, 64, v64
	v_cmp_lt_i32_e32 vcc, v29, v30
	s_waitcnt lgkmcnt(0)
	v_add_u32_e32 v10, v28, v10
	v_cndmask_b32_e32 v29, v29, v64, vcc
	v_lshlrev_b32_e32 v29, 2, v29
	ds_bpermute_b32 v29, v29, v10
	ds_read_b32 v10, v11 offset:28
	v_cmp_eq_u32_e32 vcc, 0, v0
	s_and_saveexec_b64 s[0:1], vcc
	s_cbranch_execz .LBB546_164
; %bb.163:
	v_mov_b32_e32 v30, 0
	v_mov_b32_e32 v11, 2
	s_waitcnt lgkmcnt(0)
	global_store_dwordx2 v30, v[10:11], s[36:37] offset:512 sc1
.LBB546_164:
	s_or_b64 exec, exec, s[0:1]
	v_cmp_eq_u32_e64 s[0:1], 0, v64
	v_mov_b32_e32 v68, 0
	s_waitcnt lgkmcnt(0)
	v_cndmask_b32_e64 v11, v29, v28, s[0:1]
	v_cndmask_b32_e64 v33, v11, 0, vcc
	s_barrier
.LBB546_165:
	v_add_u32_sdwa v35, v33, v2 dst_sel:DWORD dst_unused:UNUSED_PAD src0_sel:DWORD src1_sel:BYTE_0
	v_add_u32_e32 v9, v10, v9
	v_sub_u32_e32 v33, v33, v68
	v_and_b32_e32 v74, 1, v2
	v_sub_u32_e32 v73, v9, v33
	v_cmp_eq_u32_e32 vcc, 1, v74
	v_lshrrev_b32_e32 v34, 8, v2
	v_add_u32_sdwa v64, v35, v2 dst_sel:DWORD dst_unused:UNUSED_PAD src0_sel:DWORD src1_sel:BYTE_1
	v_cndmask_b32_e32 v33, v73, v33, vcc
	v_lshlrev_b32_e32 v33, 1, v33
	ds_write_b16 v33, v26
	v_sub_u32_e32 v33, v35, v68
	v_sub_u32_e32 v35, v9, v33
	v_and_b32_e32 v34, 1, v34
	v_add_u32_e32 v35, 1, v35
	v_cmp_eq_u32_e32 vcc, 1, v34
	v_mov_b32_e32 v34, 1
	v_and_b32_sdwa v2, v34, v2 dst_sel:DWORD dst_unused:UNUSED_PAD src0_sel:DWORD src1_sel:WORD_1
	v_cndmask_b32_e32 v33, v35, v33, vcc
	v_lshlrev_b32_e32 v33, 1, v33
	ds_write_b16_d16_hi v33, v26
	v_sub_u32_e32 v26, v64, v68
	v_sub_u32_e32 v33, v9, v26
	v_add_u32_e32 v33, 2, v33
	v_cmp_eq_u32_e32 vcc, 1, v2
	v_add_u32_e32 v63, v64, v63
	v_add_u32_e32 v65, v63, v44
	v_cndmask_b32_e32 v2, v33, v26, vcc
	v_lshlrev_b32_e32 v2, 1, v2
	ds_write_b16 v2, v27
	v_sub_u32_e32 v2, v63, v68
	v_sub_u32_e32 v26, v9, v2
	v_and_b32_e32 v33, 1, v44
	v_add_u32_e32 v26, 3, v26
	v_cmp_eq_u32_e32 vcc, 1, v33
	v_add_u32_e32 v60, v65, v60
	v_lshrrev_b32_e32 v32, 8, v3
	v_cndmask_b32_e32 v2, v26, v2, vcc
	v_lshlrev_b32_e32 v2, 1, v2
	ds_write_b16_d16_hi v2, v27
	v_sub_u32_e32 v2, v65, v68
	v_sub_u32_e32 v26, v9, v2
	v_and_b32_e32 v27, 1, v3
	v_add_u32_e32 v26, 4, v26
	v_cmp_eq_u32_e32 vcc, 1, v27
	v_and_b32_e32 v27, 1, v32
	v_add_u32_e32 v61, v60, v61
	v_cndmask_b32_e32 v2, v26, v2, vcc
	v_lshlrev_b32_e32 v2, 1, v2
	ds_write_b16 v2, v24
	v_sub_u32_e32 v2, v60, v68
	v_sub_u32_e32 v26, v9, v2
	v_add_u32_e32 v26, 5, v26
	v_cmp_eq_u32_e32 vcc, 1, v27
	v_and_b32_sdwa v3, v34, v3 dst_sel:DWORD dst_unused:UNUSED_PAD src0_sel:DWORD src1_sel:WORD_1
	v_add_u32_e32 v62, v61, v62
	v_cndmask_b32_e32 v2, v26, v2, vcc
	v_lshlrev_b32_e32 v2, 1, v2
	ds_write_b16_d16_hi v2, v24
	v_sub_u32_e32 v2, v61, v68
	v_sub_u32_e32 v24, v9, v2
	v_add_u32_e32 v24, 6, v24
	v_cmp_eq_u32_e32 vcc, 1, v3
	v_add_u32_e32 v66, v62, v43
	v_add_u32_e32 v57, v66, v57
	v_cndmask_b32_e32 v2, v24, v2, vcc
	v_lshlrev_b32_e32 v2, 1, v2
	ds_write_b16 v2, v25
	v_sub_u32_e32 v2, v62, v68
	v_sub_u32_e32 v3, v9, v2
	v_and_b32_e32 v24, 1, v43
	v_add_u32_e32 v3, 7, v3
	v_cmp_eq_u32_e32 vcc, 1, v24
	v_and_b32_e32 v24, 1, v4
	v_lshrrev_b32_e32 v31, 8, v4
	v_cndmask_b32_e32 v2, v3, v2, vcc
	v_lshlrev_b32_e32 v2, 1, v2
	ds_write_b16_d16_hi v2, v25
	v_sub_u32_e32 v2, v66, v68
	v_sub_u32_e32 v3, v9, v2
	v_add_u32_e32 v3, 8, v3
	v_cmp_eq_u32_e32 vcc, 1, v24
	v_and_b32_e32 v24, 1, v31
	v_add_u32_e32 v58, v57, v58
	v_cndmask_b32_e32 v2, v3, v2, vcc
	v_lshlrev_b32_e32 v2, 1, v2
	ds_write_b16 v2, v22
	v_sub_u32_e32 v2, v57, v68
	v_sub_u32_e32 v3, v9, v2
	v_add_u32_e32 v3, 9, v3
	v_cmp_eq_u32_e32 vcc, 1, v24
	v_and_b32_sdwa v4, v34, v4 dst_sel:DWORD dst_unused:UNUSED_PAD src0_sel:DWORD src1_sel:WORD_1
	v_add_u32_e32 v59, v58, v59
	v_cndmask_b32_e32 v2, v3, v2, vcc
	v_lshlrev_b32_e32 v2, 1, v2
	ds_write_b16_d16_hi v2, v22
	v_sub_u32_e32 v2, v58, v68
	v_sub_u32_e32 v3, v9, v2
	v_add_u32_e32 v3, 10, v3
	v_cmp_eq_u32_e32 vcc, 1, v4
	v_and_b32_e32 v4, 1, v42
	v_add_u32_e32 v67, v59, v42
	v_cndmask_b32_e32 v2, v3, v2, vcc
	v_lshlrev_b32_e32 v2, 1, v2
	ds_write_b16 v2, v23
	v_sub_u32_e32 v2, v59, v68
	v_sub_u32_e32 v3, v9, v2
	v_add_u32_e32 v3, 11, v3
	v_cmp_eq_u32_e32 vcc, 1, v4
	v_and_b32_e32 v4, 1, v5
	v_add_u32_e32 v54, v67, v54
	v_cndmask_b32_e32 v2, v3, v2, vcc
	v_lshlrev_b32_e32 v2, 1, v2
	ds_write_b16_d16_hi v2, v23
	v_sub_u32_e32 v2, v67, v68
	v_sub_u32_e32 v3, v9, v2
	v_add_u32_e32 v3, 12, v3
	v_cmp_eq_u32_e32 vcc, 1, v4
	v_lshrrev_b32_e32 v30, 8, v5
	v_and_b32_e32 v4, 1, v30
	v_cndmask_b32_e32 v2, v3, v2, vcc
	v_lshlrev_b32_e32 v2, 1, v2
	ds_write_b16 v2, v20
	v_sub_u32_e32 v2, v54, v68
	v_sub_u32_e32 v3, v9, v2
	v_add_u32_e32 v3, 13, v3
	v_cmp_eq_u32_e32 vcc, 1, v4
	v_add_u32_e32 v55, v54, v55
	v_and_b32_sdwa v4, v34, v5 dst_sel:DWORD dst_unused:UNUSED_PAD src0_sel:DWORD src1_sel:WORD_1
	v_cndmask_b32_e32 v2, v3, v2, vcc
	v_lshlrev_b32_e32 v2, 1, v2
	ds_write_b16_d16_hi v2, v20
	v_sub_u32_e32 v2, v55, v68
	v_sub_u32_e32 v3, v9, v2
	v_add_u32_e32 v3, 14, v3
	v_cmp_eq_u32_e32 vcc, 1, v4
	v_add_u32_e32 v56, v55, v56
	v_and_b32_e32 v4, 1, v41
	v_cndmask_b32_e32 v2, v3, v2, vcc
	v_lshlrev_b32_e32 v2, 1, v2
	ds_write_b16 v2, v21
	v_sub_u32_e32 v2, v56, v68
	v_sub_u32_e32 v3, v9, v2
	v_add_u32_e32 v3, 15, v3
	v_cmp_eq_u32_e32 vcc, 1, v4
	v_add_u32_e32 v69, v56, v41
	v_and_b32_e32 v4, 1, v6
	v_cndmask_b32_e32 v2, v3, v2, vcc
	v_lshlrev_b32_e32 v2, 1, v2
	ds_write_b16_d16_hi v2, v21
	v_sub_u32_e32 v2, v69, v68
	v_sub_u32_e32 v3, v9, v2
	v_add_u32_e32 v3, 16, v3
	v_cmp_eq_u32_e32 vcc, 1, v4
	v_add_u32_e32 v51, v69, v51
	v_lshrrev_b32_e32 v29, 8, v6
	v_cndmask_b32_e32 v2, v3, v2, vcc
	v_lshlrev_b32_e32 v2, 1, v2
	ds_write_b16 v2, v18
	v_sub_u32_e32 v2, v51, v68
	v_sub_u32_e32 v3, v9, v2
	v_and_b32_e32 v4, 1, v29
	v_add_u32_e32 v3, 17, v3
	v_cmp_eq_u32_e32 vcc, 1, v4
	v_add_u32_e32 v52, v51, v52
	v_and_b32_sdwa v4, v34, v6 dst_sel:DWORD dst_unused:UNUSED_PAD src0_sel:DWORD src1_sel:WORD_1
	v_cndmask_b32_e32 v2, v3, v2, vcc
	v_lshlrev_b32_e32 v2, 1, v2
	ds_write_b16_d16_hi v2, v18
	v_sub_u32_e32 v2, v52, v68
	v_sub_u32_e32 v3, v9, v2
	v_add_u32_e32 v3, 18, v3
	v_cmp_eq_u32_e32 vcc, 1, v4
	v_add_u32_e32 v53, v52, v53
	v_and_b32_e32 v4, 1, v40
	v_cndmask_b32_e32 v2, v3, v2, vcc
	v_lshlrev_b32_e32 v2, 1, v2
	ds_write_b16 v2, v19
	v_sub_u32_e32 v2, v53, v68
	v_sub_u32_e32 v3, v9, v2
	v_add_u32_e32 v3, 19, v3
	v_cmp_eq_u32_e32 vcc, 1, v4
	v_add_u32_e32 v70, v53, v40
	v_and_b32_e32 v4, 1, v7
	v_cndmask_b32_e32 v2, v3, v2, vcc
	v_lshlrev_b32_e32 v2, 1, v2
	ds_write_b16_d16_hi v2, v19
	v_sub_u32_e32 v2, v70, v68
	v_sub_u32_e32 v3, v9, v2
	v_add_u32_e32 v3, 20, v3
	v_cmp_eq_u32_e32 vcc, 1, v4
	v_add_u32_e32 v48, v70, v48
	v_lshrrev_b32_e32 v28, 8, v7
	v_cndmask_b32_e32 v2, v3, v2, vcc
	v_lshlrev_b32_e32 v2, 1, v2
	ds_write_b16 v2, v16
	v_sub_u32_e32 v2, v48, v68
	v_sub_u32_e32 v3, v9, v2
	v_and_b32_e32 v4, 1, v28
	;; [unrolled: 37-line block ×3, first 2 shown]
	v_add_u32_e32 v3, 25, v3
	v_cmp_eq_u32_e32 vcc, 1, v4
	v_add_u32_e32 v46, v45, v46
	v_and_b32_sdwa v4, v34, v8 dst_sel:DWORD dst_unused:UNUSED_PAD src0_sel:DWORD src1_sel:WORD_1
	v_cndmask_b32_e32 v2, v3, v2, vcc
	v_lshlrev_b32_e32 v2, 1, v2
	ds_write_b16_d16_hi v2, v14
	v_sub_u32_e32 v2, v46, v68
	v_sub_u32_e32 v3, v9, v2
	v_add_u32_e32 v3, 26, v3
	v_cmp_eq_u32_e32 vcc, 1, v4
	v_add_u32_e32 v47, v46, v47
	v_and_b32_e32 v4, 1, v37
	v_cndmask_b32_e32 v2, v3, v2, vcc
	v_lshlrev_b32_e32 v2, 1, v2
	ds_write_b16 v2, v15
	v_sub_u32_e32 v2, v47, v68
	v_sub_u32_e32 v3, v9, v2
	v_add_u32_e32 v3, 27, v3
	v_cmp_eq_u32_e32 vcc, 1, v4
	v_add_u32_e32 v72, v47, v37
	v_and_b32_e32 v4, 1, v36
	v_cndmask_b32_e32 v2, v3, v2, vcc
	v_lshlrev_b32_e32 v2, 1, v2
	ds_write_b16_d16_hi v2, v15
	v_sub_u32_e32 v2, v72, v68
	v_sub_u32_e32 v3, v9, v2
	v_add_u32_e32 v3, 28, v3
	v_cmp_eq_u32_e32 vcc, 1, v4
	v_and_b32_e32 v4, 1, v13
	s_add_u32 s0, s26, s24
	v_cndmask_b32_e32 v2, v3, v2, vcc
	v_lshlrev_b32_e32 v2, 1, v2
	ds_write_b16 v2, v1
	v_sub_u32_e32 v2, v38, v68
	v_add_u32_e32 v2, v72, v2
	v_sub_u32_e32 v3, v9, v2
	v_add_u32_e32 v3, 29, v3
	v_cmp_eq_u32_e32 vcc, 1, v4
	s_addc_u32 s1, s27, 0
	s_sub_u32 s0, s28, s0
	v_cndmask_b32_e32 v2, v3, v2, vcc
	v_lshlrev_b32_e32 v2, 1, v2
	ds_write_b16_d16_hi v2, v1
	s_waitcnt lgkmcnt(0)
	s_barrier
	ds_read_u16 v99, v12
	ds_read_u16 v98, v12 offset:1024
	ds_read_u16 v97, v12 offset:2048
	;; [unrolled: 1-line block ×29, first 2 shown]
	v_mov_b32_e32 v1, 0
	v_mov_b32_e32 v69, v1
	;; [unrolled: 1-line block ×3, first 2 shown]
	s_subb_u32 s1, s29, s1
	v_lshl_add_u64 v[2:3], s[30:31], 0, v[68:69]
	v_lshl_add_u64 v[6:7], s[0:1], 0, v[10:11]
	v_or_b32_e32 v66, 0x200, v0
	v_mov_b32_e32 v67, v1
	v_or_b32_e32 v64, 0x400, v0
	v_mov_b32_e32 v65, v1
	;; [unrolled: 2-line block ×29, first 2 shown]
	s_andn2_b64 vcc, exec, s[34:35]
	v_lshl_add_u64 v[6:7], v[6:7], 0, v[2:3]
	s_cbranch_vccnz .LBB546_287
; %bb.166:
	v_cmp_ge_u32_e32 vcc, v0, v10
                                        ; implicit-def: $vgpr12_vgpr13
	s_and_saveexec_b64 s[0:1], vcc
	s_xor_b64 s[0:1], exec, s[0:1]
; %bb.167:
	v_not_b32_e32 v12, v0
	v_ashrrev_i32_e32 v13, 31, v12
	v_lshl_add_u64 v[12:13], v[6:7], 0, v[12:13]
; %bb.168:
	s_andn2_saveexec_b64 s[0:1], s[0:1]
; %bb.169:
	v_lshl_add_u64 v[12:13], v[2:3], 0, v[0:1]
; %bb.170:
	s_or_b64 exec, exec, s[0:1]
	v_lshl_add_u64 v[12:13], v[12:13], 1, s[2:3]
	v_cmp_ge_u32_e32 vcc, v66, v10
	s_waitcnt lgkmcnt(14)
	global_store_short v[12:13], v99, off
                                        ; implicit-def: $vgpr12_vgpr13
	s_and_saveexec_b64 s[0:1], vcc
	s_xor_b64 s[0:1], exec, s[0:1]
; %bb.171:
	v_xor_b32_e32 v12, 0xfffffdff, v0
	v_ashrrev_i32_e32 v13, 31, v12
	v_lshl_add_u64 v[12:13], v[6:7], 0, v[12:13]
; %bb.172:
	s_andn2_saveexec_b64 s[0:1], s[0:1]
; %bb.173:
	v_lshl_add_u64 v[12:13], v[2:3], 0, v[66:67]
; %bb.174:
	s_or_b64 exec, exec, s[0:1]
	v_lshl_add_u64 v[12:13], v[12:13], 1, s[2:3]
	v_cmp_ge_u32_e32 vcc, v64, v10
	global_store_short v[12:13], v98, off
                                        ; implicit-def: $vgpr12_vgpr13
	s_and_saveexec_b64 s[0:1], vcc
	s_xor_b64 s[0:1], exec, s[0:1]
; %bb.175:
	v_xor_b32_e32 v12, 0xfffffbff, v0
	v_ashrrev_i32_e32 v13, 31, v12
	v_lshl_add_u64 v[12:13], v[6:7], 0, v[12:13]
; %bb.176:
	s_andn2_saveexec_b64 s[0:1], s[0:1]
; %bb.177:
	v_lshl_add_u64 v[12:13], v[2:3], 0, v[64:65]
; %bb.178:
	s_or_b64 exec, exec, s[0:1]
	v_lshl_add_u64 v[12:13], v[12:13], 1, s[2:3]
	v_cmp_ge_u32_e32 vcc, v62, v10
	;; [unrolled: 16-line block ×16, first 2 shown]
	s_waitcnt lgkmcnt(13)
	global_store_short v[12:13], v83, off
                                        ; implicit-def: $vgpr12_vgpr13
	s_and_saveexec_b64 s[0:1], vcc
	s_xor_b64 s[0:1], exec, s[0:1]
; %bb.235:
	v_xor_b32_e32 v12, 0xffffddff, v0
	v_ashrrev_i32_e32 v13, 31, v12
	v_lshl_add_u64 v[12:13], v[6:7], 0, v[12:13]
; %bb.236:
	s_andn2_saveexec_b64 s[0:1], s[0:1]
; %bb.237:
	v_lshl_add_u64 v[12:13], v[2:3], 0, v[34:35]
; %bb.238:
	s_or_b64 exec, exec, s[0:1]
	v_lshl_add_u64 v[12:13], v[12:13], 1, s[2:3]
	v_cmp_ge_u32_e32 vcc, v32, v10
	s_waitcnt lgkmcnt(12)
	global_store_short v[12:13], v82, off
                                        ; implicit-def: $vgpr12_vgpr13
	s_and_saveexec_b64 s[0:1], vcc
	s_xor_b64 s[0:1], exec, s[0:1]
; %bb.239:
	v_xor_b32_e32 v12, 0xffffdbff, v0
	v_ashrrev_i32_e32 v13, 31, v12
	v_lshl_add_u64 v[12:13], v[6:7], 0, v[12:13]
; %bb.240:
	s_andn2_saveexec_b64 s[0:1], s[0:1]
; %bb.241:
	v_lshl_add_u64 v[12:13], v[2:3], 0, v[32:33]
; %bb.242:
	s_or_b64 exec, exec, s[0:1]
	v_lshl_add_u64 v[12:13], v[12:13], 1, s[2:3]
	v_cmp_ge_u32_e32 vcc, v30, v10
	;; [unrolled: 17-line block ×12, first 2 shown]
	s_waitcnt lgkmcnt(1)
	global_store_short v[12:13], v71, off
                                        ; implicit-def: $vgpr12_vgpr13
	s_and_saveexec_b64 s[0:1], vcc
	s_xor_b64 s[0:1], exec, s[0:1]
; %bb.283:
	v_xor_b32_e32 v12, 0xffffc5ff, v0
	v_ashrrev_i32_e32 v13, 31, v12
	v_lshl_add_u64 v[12:13], v[6:7], 0, v[12:13]
; %bb.284:
	s_andn2_saveexec_b64 s[0:1], s[0:1]
; %bb.285:
	v_lshl_add_u64 v[12:13], v[2:3], 0, v[4:5]
; %bb.286:
	s_or_b64 exec, exec, s[0:1]
	s_mov_b64 s[0:1], -1
	s_branch .LBB546_469
.LBB546_287:
	s_mov_b64 s[0:1], 0
                                        ; implicit-def: $vgpr12_vgpr13
	s_cbranch_execz .LBB546_469
; %bb.288:
	v_cmp_gt_u32_e32 vcc, s33, v0
	s_and_saveexec_b64 s[4:5], vcc
	s_cbranch_execz .LBB546_374
; %bb.289:
	v_cmp_ge_u32_e32 vcc, v0, v10
                                        ; implicit-def: $vgpr12_vgpr13
	s_and_saveexec_b64 s[6:7], vcc
	s_xor_b64 s[6:7], exec, s[6:7]
; %bb.290:
	v_not_b32_e32 v12, v0
	v_ashrrev_i32_e32 v13, 31, v12
	v_lshl_add_u64 v[12:13], v[6:7], 0, v[12:13]
; %bb.291:
	s_andn2_saveexec_b64 s[6:7], s[6:7]
; %bb.292:
	v_lshl_add_u64 v[12:13], v[2:3], 0, v[0:1]
; %bb.293:
	s_or_b64 exec, exec, s[6:7]
	v_lshl_add_u64 v[12:13], v[12:13], 1, s[2:3]
	s_waitcnt lgkmcnt(14)
	global_store_short v[12:13], v99, off
	s_or_b64 exec, exec, s[4:5]
	v_cmp_gt_u32_e32 vcc, s33, v66
	s_and_saveexec_b64 s[4:5], vcc
	s_cbranch_execnz .LBB546_375
.LBB546_294:
	s_or_b64 exec, exec, s[4:5]
	v_cmp_gt_u32_e32 vcc, s33, v64
	s_and_saveexec_b64 s[4:5], vcc
	s_cbranch_execz .LBB546_380
.LBB546_295:
	v_cmp_ge_u32_e32 vcc, v64, v10
                                        ; implicit-def: $vgpr12_vgpr13
	s_and_saveexec_b64 s[6:7], vcc
	s_xor_b64 s[6:7], exec, s[6:7]
; %bb.296:
	v_xor_b32_e32 v12, 0xfffffbff, v0
	v_ashrrev_i32_e32 v13, 31, v12
	v_lshl_add_u64 v[12:13], v[6:7], 0, v[12:13]
                                        ; implicit-def: $vgpr64_vgpr65
; %bb.297:
	s_andn2_saveexec_b64 s[6:7], s[6:7]
; %bb.298:
	v_lshl_add_u64 v[12:13], v[2:3], 0, v[64:65]
; %bb.299:
	s_or_b64 exec, exec, s[6:7]
	v_lshl_add_u64 v[12:13], v[12:13], 1, s[2:3]
	s_waitcnt lgkmcnt(14)
	global_store_short v[12:13], v97, off
	s_or_b64 exec, exec, s[4:5]
	v_cmp_gt_u32_e32 vcc, s33, v62
	s_and_saveexec_b64 s[4:5], vcc
	s_cbranch_execnz .LBB546_381
.LBB546_300:
	s_or_b64 exec, exec, s[4:5]
	v_cmp_gt_u32_e32 vcc, s33, v60
	s_and_saveexec_b64 s[4:5], vcc
	s_cbranch_execz .LBB546_386
.LBB546_301:
	v_cmp_ge_u32_e32 vcc, v60, v10
                                        ; implicit-def: $vgpr12_vgpr13
	s_and_saveexec_b64 s[6:7], vcc
	s_xor_b64 s[6:7], exec, s[6:7]
; %bb.302:
	v_xor_b32_e32 v12, 0xfffff7ff, v0
	v_ashrrev_i32_e32 v13, 31, v12
	v_lshl_add_u64 v[12:13], v[6:7], 0, v[12:13]
                                        ; implicit-def: $vgpr60_vgpr61
; %bb.303:
	s_andn2_saveexec_b64 s[6:7], s[6:7]
; %bb.304:
	v_lshl_add_u64 v[12:13], v[2:3], 0, v[60:61]
; %bb.305:
	s_or_b64 exec, exec, s[6:7]
	v_lshl_add_u64 v[12:13], v[12:13], 1, s[2:3]
	s_waitcnt lgkmcnt(14)
	global_store_short v[12:13], v95, off
	s_or_b64 exec, exec, s[4:5]
	v_cmp_gt_u32_e32 vcc, s33, v58
	s_and_saveexec_b64 s[4:5], vcc
	s_cbranch_execnz .LBB546_387
.LBB546_306:
	s_or_b64 exec, exec, s[4:5]
	v_cmp_gt_u32_e32 vcc, s33, v56
	s_and_saveexec_b64 s[4:5], vcc
	s_cbranch_execz .LBB546_392
.LBB546_307:
	v_cmp_ge_u32_e32 vcc, v56, v10
                                        ; implicit-def: $vgpr12_vgpr13
	s_and_saveexec_b64 s[6:7], vcc
	s_xor_b64 s[6:7], exec, s[6:7]
; %bb.308:
	v_xor_b32_e32 v12, 0xfffff3ff, v0
	v_ashrrev_i32_e32 v13, 31, v12
	v_lshl_add_u64 v[12:13], v[6:7], 0, v[12:13]
                                        ; implicit-def: $vgpr56_vgpr57
; %bb.309:
	s_andn2_saveexec_b64 s[6:7], s[6:7]
; %bb.310:
	v_lshl_add_u64 v[12:13], v[2:3], 0, v[56:57]
; %bb.311:
	s_or_b64 exec, exec, s[6:7]
	v_lshl_add_u64 v[12:13], v[12:13], 1, s[2:3]
	s_waitcnt lgkmcnt(14)
	global_store_short v[12:13], v93, off
	s_or_b64 exec, exec, s[4:5]
	v_cmp_gt_u32_e32 vcc, s33, v54
	s_and_saveexec_b64 s[4:5], vcc
	s_cbranch_execnz .LBB546_393
.LBB546_312:
	s_or_b64 exec, exec, s[4:5]
	v_cmp_gt_u32_e32 vcc, s33, v52
	s_and_saveexec_b64 s[4:5], vcc
	s_cbranch_execz .LBB546_398
.LBB546_313:
	v_cmp_ge_u32_e32 vcc, v52, v10
                                        ; implicit-def: $vgpr12_vgpr13
	s_and_saveexec_b64 s[6:7], vcc
	s_xor_b64 s[6:7], exec, s[6:7]
; %bb.314:
	v_xor_b32_e32 v12, 0xffffefff, v0
	v_ashrrev_i32_e32 v13, 31, v12
	v_lshl_add_u64 v[12:13], v[6:7], 0, v[12:13]
                                        ; implicit-def: $vgpr52_vgpr53
; %bb.315:
	s_andn2_saveexec_b64 s[6:7], s[6:7]
; %bb.316:
	v_lshl_add_u64 v[12:13], v[2:3], 0, v[52:53]
; %bb.317:
	s_or_b64 exec, exec, s[6:7]
	v_lshl_add_u64 v[12:13], v[12:13], 1, s[2:3]
	s_waitcnt lgkmcnt(14)
	global_store_short v[12:13], v91, off
	s_or_b64 exec, exec, s[4:5]
	v_cmp_gt_u32_e32 vcc, s33, v50
	s_and_saveexec_b64 s[4:5], vcc
	s_cbranch_execnz .LBB546_399
.LBB546_318:
	s_or_b64 exec, exec, s[4:5]
	v_cmp_gt_u32_e32 vcc, s33, v48
	s_and_saveexec_b64 s[4:5], vcc
	s_cbranch_execz .LBB546_404
.LBB546_319:
	v_cmp_ge_u32_e32 vcc, v48, v10
                                        ; implicit-def: $vgpr12_vgpr13
	s_and_saveexec_b64 s[6:7], vcc
	s_xor_b64 s[6:7], exec, s[6:7]
; %bb.320:
	v_xor_b32_e32 v12, 0xffffebff, v0
	v_ashrrev_i32_e32 v13, 31, v12
	v_lshl_add_u64 v[12:13], v[6:7], 0, v[12:13]
                                        ; implicit-def: $vgpr48_vgpr49
; %bb.321:
	s_andn2_saveexec_b64 s[6:7], s[6:7]
; %bb.322:
	v_lshl_add_u64 v[12:13], v[2:3], 0, v[48:49]
; %bb.323:
	s_or_b64 exec, exec, s[6:7]
	v_lshl_add_u64 v[12:13], v[12:13], 1, s[2:3]
	s_waitcnt lgkmcnt(14)
	global_store_short v[12:13], v89, off
	s_or_b64 exec, exec, s[4:5]
	v_cmp_gt_u32_e32 vcc, s33, v46
	s_and_saveexec_b64 s[4:5], vcc
	s_cbranch_execnz .LBB546_405
.LBB546_324:
	s_or_b64 exec, exec, s[4:5]
	v_cmp_gt_u32_e32 vcc, s33, v44
	s_and_saveexec_b64 s[4:5], vcc
	s_cbranch_execz .LBB546_410
.LBB546_325:
	v_cmp_ge_u32_e32 vcc, v44, v10
                                        ; implicit-def: $vgpr12_vgpr13
	s_and_saveexec_b64 s[6:7], vcc
	s_xor_b64 s[6:7], exec, s[6:7]
; %bb.326:
	v_xor_b32_e32 v12, 0xffffe7ff, v0
	v_ashrrev_i32_e32 v13, 31, v12
	v_lshl_add_u64 v[12:13], v[6:7], 0, v[12:13]
                                        ; implicit-def: $vgpr44_vgpr45
; %bb.327:
	s_andn2_saveexec_b64 s[6:7], s[6:7]
; %bb.328:
	v_lshl_add_u64 v[12:13], v[2:3], 0, v[44:45]
; %bb.329:
	s_or_b64 exec, exec, s[6:7]
	v_lshl_add_u64 v[12:13], v[12:13], 1, s[2:3]
	s_waitcnt lgkmcnt(14)
	global_store_short v[12:13], v87, off
	s_or_b64 exec, exec, s[4:5]
	v_cmp_gt_u32_e32 vcc, s33, v42
	s_and_saveexec_b64 s[4:5], vcc
	s_cbranch_execnz .LBB546_411
.LBB546_330:
	s_or_b64 exec, exec, s[4:5]
	v_cmp_gt_u32_e32 vcc, s33, v40
	s_and_saveexec_b64 s[4:5], vcc
	s_cbranch_execz .LBB546_416
.LBB546_331:
	v_cmp_ge_u32_e32 vcc, v40, v10
                                        ; implicit-def: $vgpr12_vgpr13
	s_and_saveexec_b64 s[6:7], vcc
	s_xor_b64 s[6:7], exec, s[6:7]
; %bb.332:
	v_xor_b32_e32 v12, 0xffffe3ff, v0
	v_ashrrev_i32_e32 v13, 31, v12
	v_lshl_add_u64 v[12:13], v[6:7], 0, v[12:13]
                                        ; implicit-def: $vgpr40_vgpr41
; %bb.333:
	s_andn2_saveexec_b64 s[6:7], s[6:7]
; %bb.334:
	v_lshl_add_u64 v[12:13], v[2:3], 0, v[40:41]
; %bb.335:
	s_or_b64 exec, exec, s[6:7]
	v_lshl_add_u64 v[12:13], v[12:13], 1, s[2:3]
	s_waitcnt lgkmcnt(14)
	global_store_short v[12:13], v85, off
	s_or_b64 exec, exec, s[4:5]
	v_cmp_gt_u32_e32 vcc, s33, v38
	s_and_saveexec_b64 s[4:5], vcc
	s_cbranch_execnz .LBB546_417
.LBB546_336:
	s_or_b64 exec, exec, s[4:5]
	v_cmp_gt_u32_e32 vcc, s33, v36
	s_and_saveexec_b64 s[4:5], vcc
	s_cbranch_execz .LBB546_422
.LBB546_337:
	v_cmp_ge_u32_e32 vcc, v36, v10
                                        ; implicit-def: $vgpr12_vgpr13
	s_and_saveexec_b64 s[6:7], vcc
	s_xor_b64 s[6:7], exec, s[6:7]
; %bb.338:
	v_xor_b32_e32 v12, 0xffffdfff, v0
	v_ashrrev_i32_e32 v13, 31, v12
	v_lshl_add_u64 v[12:13], v[6:7], 0, v[12:13]
                                        ; implicit-def: $vgpr36_vgpr37
; %bb.339:
	s_andn2_saveexec_b64 s[6:7], s[6:7]
; %bb.340:
	v_lshl_add_u64 v[12:13], v[2:3], 0, v[36:37]
; %bb.341:
	s_or_b64 exec, exec, s[6:7]
	v_lshl_add_u64 v[12:13], v[12:13], 1, s[2:3]
	s_waitcnt lgkmcnt(13)
	global_store_short v[12:13], v83, off
	s_or_b64 exec, exec, s[4:5]
	v_cmp_gt_u32_e32 vcc, s33, v34
	s_and_saveexec_b64 s[4:5], vcc
	s_cbranch_execnz .LBB546_423
.LBB546_342:
	s_or_b64 exec, exec, s[4:5]
	v_cmp_gt_u32_e32 vcc, s33, v32
	s_and_saveexec_b64 s[4:5], vcc
	s_cbranch_execz .LBB546_428
.LBB546_343:
	v_cmp_ge_u32_e32 vcc, v32, v10
                                        ; implicit-def: $vgpr12_vgpr13
	s_and_saveexec_b64 s[6:7], vcc
	s_xor_b64 s[6:7], exec, s[6:7]
; %bb.344:
	v_xor_b32_e32 v12, 0xffffdbff, v0
	v_ashrrev_i32_e32 v13, 31, v12
	v_lshl_add_u64 v[12:13], v[6:7], 0, v[12:13]
                                        ; implicit-def: $vgpr32_vgpr33
; %bb.345:
	s_andn2_saveexec_b64 s[6:7], s[6:7]
; %bb.346:
	v_lshl_add_u64 v[12:13], v[2:3], 0, v[32:33]
; %bb.347:
	s_or_b64 exec, exec, s[6:7]
	v_lshl_add_u64 v[12:13], v[12:13], 1, s[2:3]
	s_waitcnt lgkmcnt(11)
	global_store_short v[12:13], v81, off
	s_or_b64 exec, exec, s[4:5]
	v_cmp_gt_u32_e32 vcc, s33, v30
	s_and_saveexec_b64 s[4:5], vcc
	s_cbranch_execnz .LBB546_429
.LBB546_348:
	s_or_b64 exec, exec, s[4:5]
	v_cmp_gt_u32_e32 vcc, s33, v28
	s_and_saveexec_b64 s[4:5], vcc
	s_cbranch_execz .LBB546_434
.LBB546_349:
	v_cmp_ge_u32_e32 vcc, v28, v10
                                        ; implicit-def: $vgpr12_vgpr13
	s_and_saveexec_b64 s[6:7], vcc
	s_xor_b64 s[6:7], exec, s[6:7]
; %bb.350:
	v_xor_b32_e32 v12, 0xffffd7ff, v0
	v_ashrrev_i32_e32 v13, 31, v12
	v_lshl_add_u64 v[12:13], v[6:7], 0, v[12:13]
                                        ; implicit-def: $vgpr28_vgpr29
; %bb.351:
	s_andn2_saveexec_b64 s[6:7], s[6:7]
; %bb.352:
	v_lshl_add_u64 v[12:13], v[2:3], 0, v[28:29]
; %bb.353:
	s_or_b64 exec, exec, s[6:7]
	v_lshl_add_u64 v[12:13], v[12:13], 1, s[2:3]
	s_waitcnt lgkmcnt(9)
	global_store_short v[12:13], v79, off
	s_or_b64 exec, exec, s[4:5]
	v_cmp_gt_u32_e32 vcc, s33, v26
	s_and_saveexec_b64 s[4:5], vcc
	s_cbranch_execnz .LBB546_435
.LBB546_354:
	s_or_b64 exec, exec, s[4:5]
	v_cmp_gt_u32_e32 vcc, s33, v24
	s_and_saveexec_b64 s[4:5], vcc
	s_cbranch_execz .LBB546_440
.LBB546_355:
	v_cmp_ge_u32_e32 vcc, v24, v10
                                        ; implicit-def: $vgpr12_vgpr13
	s_and_saveexec_b64 s[6:7], vcc
	s_xor_b64 s[6:7], exec, s[6:7]
; %bb.356:
	v_xor_b32_e32 v12, 0xffffd3ff, v0
	v_ashrrev_i32_e32 v13, 31, v12
	v_lshl_add_u64 v[12:13], v[6:7], 0, v[12:13]
                                        ; implicit-def: $vgpr24_vgpr25
; %bb.357:
	s_andn2_saveexec_b64 s[6:7], s[6:7]
; %bb.358:
	v_lshl_add_u64 v[12:13], v[2:3], 0, v[24:25]
; %bb.359:
	s_or_b64 exec, exec, s[6:7]
	v_lshl_add_u64 v[12:13], v[12:13], 1, s[2:3]
	s_waitcnt lgkmcnt(7)
	global_store_short v[12:13], v77, off
	s_or_b64 exec, exec, s[4:5]
	v_cmp_gt_u32_e32 vcc, s33, v22
	s_and_saveexec_b64 s[4:5], vcc
	s_cbranch_execnz .LBB546_441
.LBB546_360:
	s_or_b64 exec, exec, s[4:5]
	v_cmp_gt_u32_e32 vcc, s33, v20
	s_and_saveexec_b64 s[4:5], vcc
	s_cbranch_execz .LBB546_446
.LBB546_361:
	v_cmp_ge_u32_e32 vcc, v20, v10
                                        ; implicit-def: $vgpr12_vgpr13
	s_and_saveexec_b64 s[6:7], vcc
	s_xor_b64 s[6:7], exec, s[6:7]
; %bb.362:
	v_xor_b32_e32 v12, 0xffffcfff, v0
	v_ashrrev_i32_e32 v13, 31, v12
	v_lshl_add_u64 v[12:13], v[6:7], 0, v[12:13]
                                        ; implicit-def: $vgpr20_vgpr21
; %bb.363:
	s_andn2_saveexec_b64 s[6:7], s[6:7]
; %bb.364:
	v_lshl_add_u64 v[12:13], v[2:3], 0, v[20:21]
; %bb.365:
	s_or_b64 exec, exec, s[6:7]
	v_lshl_add_u64 v[12:13], v[12:13], 1, s[2:3]
	s_waitcnt lgkmcnt(5)
	global_store_short v[12:13], v75, off
	s_or_b64 exec, exec, s[4:5]
	v_cmp_gt_u32_e32 vcc, s33, v18
	s_and_saveexec_b64 s[4:5], vcc
	s_cbranch_execnz .LBB546_447
.LBB546_366:
	s_or_b64 exec, exec, s[4:5]
	v_cmp_gt_u32_e32 vcc, s33, v16
	s_and_saveexec_b64 s[4:5], vcc
	s_cbranch_execz .LBB546_452
.LBB546_367:
	v_cmp_ge_u32_e32 vcc, v16, v10
                                        ; implicit-def: $vgpr12_vgpr13
	s_and_saveexec_b64 s[6:7], vcc
	s_xor_b64 s[6:7], exec, s[6:7]
; %bb.368:
	v_xor_b32_e32 v12, 0xffffcbff, v0
	v_ashrrev_i32_e32 v13, 31, v12
	v_lshl_add_u64 v[12:13], v[6:7], 0, v[12:13]
                                        ; implicit-def: $vgpr16_vgpr17
; %bb.369:
	s_andn2_saveexec_b64 s[6:7], s[6:7]
; %bb.370:
	v_lshl_add_u64 v[12:13], v[2:3], 0, v[16:17]
; %bb.371:
	s_or_b64 exec, exec, s[6:7]
	v_lshl_add_u64 v[12:13], v[12:13], 1, s[2:3]
	s_waitcnt lgkmcnt(3)
	global_store_short v[12:13], v73, off
	s_or_b64 exec, exec, s[4:5]
	v_cmp_gt_u32_e32 vcc, s33, v14
	s_and_saveexec_b64 s[4:5], vcc
	s_cbranch_execnz .LBB546_453
.LBB546_372:
	s_or_b64 exec, exec, s[4:5]
	v_cmp_gt_u32_e32 vcc, s33, v8
	s_and_saveexec_b64 s[4:5], vcc
	s_cbranch_execnz .LBB546_458
.LBB546_373:
	s_or_b64 exec, exec, s[4:5]
	v_cmp_gt_u32_e32 vcc, s33, v4
                                        ; implicit-def: $vgpr12_vgpr13
	s_and_saveexec_b64 s[4:5], vcc
	s_cbranch_execz .LBB546_468
	s_branch .LBB546_463
.LBB546_374:
	s_or_b64 exec, exec, s[4:5]
	v_cmp_gt_u32_e32 vcc, s33, v66
	s_and_saveexec_b64 s[4:5], vcc
	s_cbranch_execz .LBB546_294
.LBB546_375:
	v_cmp_ge_u32_e32 vcc, v66, v10
                                        ; implicit-def: $vgpr12_vgpr13
	s_and_saveexec_b64 s[6:7], vcc
	s_xor_b64 s[6:7], exec, s[6:7]
; %bb.376:
	v_xor_b32_e32 v12, 0xfffffdff, v0
	v_ashrrev_i32_e32 v13, 31, v12
	v_lshl_add_u64 v[12:13], v[6:7], 0, v[12:13]
                                        ; implicit-def: $vgpr66_vgpr67
; %bb.377:
	s_andn2_saveexec_b64 s[6:7], s[6:7]
; %bb.378:
	v_lshl_add_u64 v[12:13], v[2:3], 0, v[66:67]
; %bb.379:
	s_or_b64 exec, exec, s[6:7]
	v_lshl_add_u64 v[12:13], v[12:13], 1, s[2:3]
	s_waitcnt lgkmcnt(14)
	global_store_short v[12:13], v98, off
	s_or_b64 exec, exec, s[4:5]
	v_cmp_gt_u32_e32 vcc, s33, v64
	s_and_saveexec_b64 s[4:5], vcc
	s_cbranch_execnz .LBB546_295
.LBB546_380:
	s_or_b64 exec, exec, s[4:5]
	v_cmp_gt_u32_e32 vcc, s33, v62
	s_and_saveexec_b64 s[4:5], vcc
	s_cbranch_execz .LBB546_300
.LBB546_381:
	v_cmp_ge_u32_e32 vcc, v62, v10
                                        ; implicit-def: $vgpr12_vgpr13
	s_and_saveexec_b64 s[6:7], vcc
	s_xor_b64 s[6:7], exec, s[6:7]
; %bb.382:
	v_xor_b32_e32 v12, 0xfffff9ff, v0
	v_ashrrev_i32_e32 v13, 31, v12
	v_lshl_add_u64 v[12:13], v[6:7], 0, v[12:13]
                                        ; implicit-def: $vgpr62_vgpr63
; %bb.383:
	s_andn2_saveexec_b64 s[6:7], s[6:7]
; %bb.384:
	v_lshl_add_u64 v[12:13], v[2:3], 0, v[62:63]
; %bb.385:
	s_or_b64 exec, exec, s[6:7]
	v_lshl_add_u64 v[12:13], v[12:13], 1, s[2:3]
	s_waitcnt lgkmcnt(14)
	global_store_short v[12:13], v96, off
	s_or_b64 exec, exec, s[4:5]
	v_cmp_gt_u32_e32 vcc, s33, v60
	s_and_saveexec_b64 s[4:5], vcc
	s_cbranch_execnz .LBB546_301
.LBB546_386:
	s_or_b64 exec, exec, s[4:5]
	v_cmp_gt_u32_e32 vcc, s33, v58
	s_and_saveexec_b64 s[4:5], vcc
	s_cbranch_execz .LBB546_306
.LBB546_387:
	v_cmp_ge_u32_e32 vcc, v58, v10
                                        ; implicit-def: $vgpr12_vgpr13
	s_and_saveexec_b64 s[6:7], vcc
	s_xor_b64 s[6:7], exec, s[6:7]
; %bb.388:
	v_xor_b32_e32 v12, 0xfffff5ff, v0
	v_ashrrev_i32_e32 v13, 31, v12
	v_lshl_add_u64 v[12:13], v[6:7], 0, v[12:13]
                                        ; implicit-def: $vgpr58_vgpr59
; %bb.389:
	s_andn2_saveexec_b64 s[6:7], s[6:7]
; %bb.390:
	v_lshl_add_u64 v[12:13], v[2:3], 0, v[58:59]
; %bb.391:
	s_or_b64 exec, exec, s[6:7]
	v_lshl_add_u64 v[12:13], v[12:13], 1, s[2:3]
	s_waitcnt lgkmcnt(14)
	global_store_short v[12:13], v94, off
	s_or_b64 exec, exec, s[4:5]
	v_cmp_gt_u32_e32 vcc, s33, v56
	s_and_saveexec_b64 s[4:5], vcc
	s_cbranch_execnz .LBB546_307
.LBB546_392:
	s_or_b64 exec, exec, s[4:5]
	v_cmp_gt_u32_e32 vcc, s33, v54
	s_and_saveexec_b64 s[4:5], vcc
	s_cbranch_execz .LBB546_312
.LBB546_393:
	v_cmp_ge_u32_e32 vcc, v54, v10
                                        ; implicit-def: $vgpr12_vgpr13
	s_and_saveexec_b64 s[6:7], vcc
	s_xor_b64 s[6:7], exec, s[6:7]
; %bb.394:
	v_xor_b32_e32 v12, 0xfffff1ff, v0
	v_ashrrev_i32_e32 v13, 31, v12
	v_lshl_add_u64 v[12:13], v[6:7], 0, v[12:13]
                                        ; implicit-def: $vgpr54_vgpr55
; %bb.395:
	s_andn2_saveexec_b64 s[6:7], s[6:7]
; %bb.396:
	v_lshl_add_u64 v[12:13], v[2:3], 0, v[54:55]
; %bb.397:
	s_or_b64 exec, exec, s[6:7]
	v_lshl_add_u64 v[12:13], v[12:13], 1, s[2:3]
	s_waitcnt lgkmcnt(14)
	global_store_short v[12:13], v92, off
	s_or_b64 exec, exec, s[4:5]
	v_cmp_gt_u32_e32 vcc, s33, v52
	s_and_saveexec_b64 s[4:5], vcc
	s_cbranch_execnz .LBB546_313
.LBB546_398:
	s_or_b64 exec, exec, s[4:5]
	v_cmp_gt_u32_e32 vcc, s33, v50
	s_and_saveexec_b64 s[4:5], vcc
	s_cbranch_execz .LBB546_318
.LBB546_399:
	v_cmp_ge_u32_e32 vcc, v50, v10
                                        ; implicit-def: $vgpr12_vgpr13
	s_and_saveexec_b64 s[6:7], vcc
	s_xor_b64 s[6:7], exec, s[6:7]
; %bb.400:
	v_xor_b32_e32 v12, 0xffffedff, v0
	v_ashrrev_i32_e32 v13, 31, v12
	v_lshl_add_u64 v[12:13], v[6:7], 0, v[12:13]
                                        ; implicit-def: $vgpr50_vgpr51
; %bb.401:
	s_andn2_saveexec_b64 s[6:7], s[6:7]
; %bb.402:
	v_lshl_add_u64 v[12:13], v[2:3], 0, v[50:51]
; %bb.403:
	s_or_b64 exec, exec, s[6:7]
	v_lshl_add_u64 v[12:13], v[12:13], 1, s[2:3]
	s_waitcnt lgkmcnt(14)
	global_store_short v[12:13], v90, off
	s_or_b64 exec, exec, s[4:5]
	v_cmp_gt_u32_e32 vcc, s33, v48
	s_and_saveexec_b64 s[4:5], vcc
	s_cbranch_execnz .LBB546_319
.LBB546_404:
	s_or_b64 exec, exec, s[4:5]
	v_cmp_gt_u32_e32 vcc, s33, v46
	s_and_saveexec_b64 s[4:5], vcc
	s_cbranch_execz .LBB546_324
.LBB546_405:
	v_cmp_ge_u32_e32 vcc, v46, v10
                                        ; implicit-def: $vgpr12_vgpr13
	s_and_saveexec_b64 s[6:7], vcc
	s_xor_b64 s[6:7], exec, s[6:7]
; %bb.406:
	v_xor_b32_e32 v12, 0xffffe9ff, v0
	v_ashrrev_i32_e32 v13, 31, v12
	v_lshl_add_u64 v[12:13], v[6:7], 0, v[12:13]
                                        ; implicit-def: $vgpr46_vgpr47
; %bb.407:
	s_andn2_saveexec_b64 s[6:7], s[6:7]
; %bb.408:
	v_lshl_add_u64 v[12:13], v[2:3], 0, v[46:47]
; %bb.409:
	s_or_b64 exec, exec, s[6:7]
	v_lshl_add_u64 v[12:13], v[12:13], 1, s[2:3]
	s_waitcnt lgkmcnt(14)
	global_store_short v[12:13], v88, off
	s_or_b64 exec, exec, s[4:5]
	v_cmp_gt_u32_e32 vcc, s33, v44
	s_and_saveexec_b64 s[4:5], vcc
	s_cbranch_execnz .LBB546_325
.LBB546_410:
	s_or_b64 exec, exec, s[4:5]
	v_cmp_gt_u32_e32 vcc, s33, v42
	s_and_saveexec_b64 s[4:5], vcc
	s_cbranch_execz .LBB546_330
.LBB546_411:
	v_cmp_ge_u32_e32 vcc, v42, v10
                                        ; implicit-def: $vgpr12_vgpr13
	s_and_saveexec_b64 s[6:7], vcc
	s_xor_b64 s[6:7], exec, s[6:7]
; %bb.412:
	v_xor_b32_e32 v12, 0xffffe5ff, v0
	v_ashrrev_i32_e32 v13, 31, v12
	v_lshl_add_u64 v[12:13], v[6:7], 0, v[12:13]
                                        ; implicit-def: $vgpr42_vgpr43
; %bb.413:
	s_andn2_saveexec_b64 s[6:7], s[6:7]
; %bb.414:
	v_lshl_add_u64 v[12:13], v[2:3], 0, v[42:43]
; %bb.415:
	s_or_b64 exec, exec, s[6:7]
	v_lshl_add_u64 v[12:13], v[12:13], 1, s[2:3]
	s_waitcnt lgkmcnt(14)
	global_store_short v[12:13], v86, off
	s_or_b64 exec, exec, s[4:5]
	v_cmp_gt_u32_e32 vcc, s33, v40
	s_and_saveexec_b64 s[4:5], vcc
	s_cbranch_execnz .LBB546_331
.LBB546_416:
	s_or_b64 exec, exec, s[4:5]
	v_cmp_gt_u32_e32 vcc, s33, v38
	s_and_saveexec_b64 s[4:5], vcc
	s_cbranch_execz .LBB546_336
.LBB546_417:
	v_cmp_ge_u32_e32 vcc, v38, v10
                                        ; implicit-def: $vgpr12_vgpr13
	s_and_saveexec_b64 s[6:7], vcc
	s_xor_b64 s[6:7], exec, s[6:7]
; %bb.418:
	v_xor_b32_e32 v12, 0xffffe1ff, v0
	v_ashrrev_i32_e32 v13, 31, v12
	v_lshl_add_u64 v[12:13], v[6:7], 0, v[12:13]
                                        ; implicit-def: $vgpr38_vgpr39
; %bb.419:
	s_andn2_saveexec_b64 s[6:7], s[6:7]
; %bb.420:
	v_lshl_add_u64 v[12:13], v[2:3], 0, v[38:39]
; %bb.421:
	s_or_b64 exec, exec, s[6:7]
	v_lshl_add_u64 v[12:13], v[12:13], 1, s[2:3]
	s_waitcnt lgkmcnt(14)
	global_store_short v[12:13], v84, off
	s_or_b64 exec, exec, s[4:5]
	v_cmp_gt_u32_e32 vcc, s33, v36
	s_and_saveexec_b64 s[4:5], vcc
	s_cbranch_execnz .LBB546_337
.LBB546_422:
	s_or_b64 exec, exec, s[4:5]
	v_cmp_gt_u32_e32 vcc, s33, v34
	s_and_saveexec_b64 s[4:5], vcc
	s_cbranch_execz .LBB546_342
.LBB546_423:
	v_cmp_ge_u32_e32 vcc, v34, v10
                                        ; implicit-def: $vgpr12_vgpr13
	s_and_saveexec_b64 s[6:7], vcc
	s_xor_b64 s[6:7], exec, s[6:7]
; %bb.424:
	v_xor_b32_e32 v12, 0xffffddff, v0
	v_ashrrev_i32_e32 v13, 31, v12
	v_lshl_add_u64 v[12:13], v[6:7], 0, v[12:13]
                                        ; implicit-def: $vgpr34_vgpr35
; %bb.425:
	s_andn2_saveexec_b64 s[6:7], s[6:7]
; %bb.426:
	v_lshl_add_u64 v[12:13], v[2:3], 0, v[34:35]
; %bb.427:
	s_or_b64 exec, exec, s[6:7]
	v_lshl_add_u64 v[12:13], v[12:13], 1, s[2:3]
	s_waitcnt lgkmcnt(12)
	global_store_short v[12:13], v82, off
	s_or_b64 exec, exec, s[4:5]
	v_cmp_gt_u32_e32 vcc, s33, v32
	s_and_saveexec_b64 s[4:5], vcc
	s_cbranch_execnz .LBB546_343
.LBB546_428:
	s_or_b64 exec, exec, s[4:5]
	v_cmp_gt_u32_e32 vcc, s33, v30
	s_and_saveexec_b64 s[4:5], vcc
	s_cbranch_execz .LBB546_348
.LBB546_429:
	v_cmp_ge_u32_e32 vcc, v30, v10
                                        ; implicit-def: $vgpr12_vgpr13
	s_and_saveexec_b64 s[6:7], vcc
	s_xor_b64 s[6:7], exec, s[6:7]
; %bb.430:
	v_xor_b32_e32 v12, 0xffffd9ff, v0
	v_ashrrev_i32_e32 v13, 31, v12
	v_lshl_add_u64 v[12:13], v[6:7], 0, v[12:13]
                                        ; implicit-def: $vgpr30_vgpr31
; %bb.431:
	s_andn2_saveexec_b64 s[6:7], s[6:7]
; %bb.432:
	v_lshl_add_u64 v[12:13], v[2:3], 0, v[30:31]
; %bb.433:
	s_or_b64 exec, exec, s[6:7]
	v_lshl_add_u64 v[12:13], v[12:13], 1, s[2:3]
	s_waitcnt lgkmcnt(10)
	global_store_short v[12:13], v80, off
	s_or_b64 exec, exec, s[4:5]
	v_cmp_gt_u32_e32 vcc, s33, v28
	s_and_saveexec_b64 s[4:5], vcc
	s_cbranch_execnz .LBB546_349
.LBB546_434:
	s_or_b64 exec, exec, s[4:5]
	v_cmp_gt_u32_e32 vcc, s33, v26
	s_and_saveexec_b64 s[4:5], vcc
	s_cbranch_execz .LBB546_354
.LBB546_435:
	v_cmp_ge_u32_e32 vcc, v26, v10
                                        ; implicit-def: $vgpr12_vgpr13
	s_and_saveexec_b64 s[6:7], vcc
	s_xor_b64 s[6:7], exec, s[6:7]
; %bb.436:
	v_xor_b32_e32 v12, 0xffffd5ff, v0
	v_ashrrev_i32_e32 v13, 31, v12
	v_lshl_add_u64 v[12:13], v[6:7], 0, v[12:13]
                                        ; implicit-def: $vgpr26_vgpr27
; %bb.437:
	s_andn2_saveexec_b64 s[6:7], s[6:7]
; %bb.438:
	v_lshl_add_u64 v[12:13], v[2:3], 0, v[26:27]
; %bb.439:
	s_or_b64 exec, exec, s[6:7]
	v_lshl_add_u64 v[12:13], v[12:13], 1, s[2:3]
	s_waitcnt lgkmcnt(8)
	global_store_short v[12:13], v78, off
	s_or_b64 exec, exec, s[4:5]
	v_cmp_gt_u32_e32 vcc, s33, v24
	s_and_saveexec_b64 s[4:5], vcc
	s_cbranch_execnz .LBB546_355
.LBB546_440:
	s_or_b64 exec, exec, s[4:5]
	v_cmp_gt_u32_e32 vcc, s33, v22
	s_and_saveexec_b64 s[4:5], vcc
	s_cbranch_execz .LBB546_360
.LBB546_441:
	v_cmp_ge_u32_e32 vcc, v22, v10
                                        ; implicit-def: $vgpr12_vgpr13
	s_and_saveexec_b64 s[6:7], vcc
	s_xor_b64 s[6:7], exec, s[6:7]
; %bb.442:
	v_xor_b32_e32 v12, 0xffffd1ff, v0
	v_ashrrev_i32_e32 v13, 31, v12
	v_lshl_add_u64 v[12:13], v[6:7], 0, v[12:13]
                                        ; implicit-def: $vgpr22_vgpr23
; %bb.443:
	s_andn2_saveexec_b64 s[6:7], s[6:7]
; %bb.444:
	v_lshl_add_u64 v[12:13], v[2:3], 0, v[22:23]
; %bb.445:
	s_or_b64 exec, exec, s[6:7]
	v_lshl_add_u64 v[12:13], v[12:13], 1, s[2:3]
	s_waitcnt lgkmcnt(6)
	global_store_short v[12:13], v76, off
	s_or_b64 exec, exec, s[4:5]
	v_cmp_gt_u32_e32 vcc, s33, v20
	s_and_saveexec_b64 s[4:5], vcc
	s_cbranch_execnz .LBB546_361
.LBB546_446:
	s_or_b64 exec, exec, s[4:5]
	v_cmp_gt_u32_e32 vcc, s33, v18
	s_and_saveexec_b64 s[4:5], vcc
	s_cbranch_execz .LBB546_366
.LBB546_447:
	v_cmp_ge_u32_e32 vcc, v18, v10
                                        ; implicit-def: $vgpr12_vgpr13
	s_and_saveexec_b64 s[6:7], vcc
	s_xor_b64 s[6:7], exec, s[6:7]
; %bb.448:
	v_xor_b32_e32 v12, 0xffffcdff, v0
	v_ashrrev_i32_e32 v13, 31, v12
	v_lshl_add_u64 v[12:13], v[6:7], 0, v[12:13]
                                        ; implicit-def: $vgpr18_vgpr19
; %bb.449:
	s_andn2_saveexec_b64 s[6:7], s[6:7]
; %bb.450:
	v_lshl_add_u64 v[12:13], v[2:3], 0, v[18:19]
; %bb.451:
	s_or_b64 exec, exec, s[6:7]
	v_lshl_add_u64 v[12:13], v[12:13], 1, s[2:3]
	s_waitcnt lgkmcnt(4)
	global_store_short v[12:13], v74, off
	s_or_b64 exec, exec, s[4:5]
	v_cmp_gt_u32_e32 vcc, s33, v16
	s_and_saveexec_b64 s[4:5], vcc
	s_cbranch_execnz .LBB546_367
.LBB546_452:
	s_or_b64 exec, exec, s[4:5]
	v_cmp_gt_u32_e32 vcc, s33, v14
	s_and_saveexec_b64 s[4:5], vcc
	s_cbranch_execz .LBB546_372
.LBB546_453:
	v_cmp_ge_u32_e32 vcc, v14, v10
                                        ; implicit-def: $vgpr12_vgpr13
	s_and_saveexec_b64 s[6:7], vcc
	s_xor_b64 s[6:7], exec, s[6:7]
; %bb.454:
	v_xor_b32_e32 v12, 0xffffc9ff, v0
	v_ashrrev_i32_e32 v13, 31, v12
	v_lshl_add_u64 v[12:13], v[6:7], 0, v[12:13]
                                        ; implicit-def: $vgpr14_vgpr15
; %bb.455:
	s_andn2_saveexec_b64 s[6:7], s[6:7]
; %bb.456:
	v_lshl_add_u64 v[12:13], v[2:3], 0, v[14:15]
; %bb.457:
	s_or_b64 exec, exec, s[6:7]
	v_lshl_add_u64 v[12:13], v[12:13], 1, s[2:3]
	s_waitcnt lgkmcnt(2)
	global_store_short v[12:13], v72, off
	s_or_b64 exec, exec, s[4:5]
	v_cmp_gt_u32_e32 vcc, s33, v8
	s_and_saveexec_b64 s[4:5], vcc
	s_cbranch_execz .LBB546_373
.LBB546_458:
	v_cmp_ge_u32_e32 vcc, v8, v10
                                        ; implicit-def: $vgpr12_vgpr13
	s_and_saveexec_b64 s[6:7], vcc
	s_xor_b64 s[6:7], exec, s[6:7]
; %bb.459:
	v_xor_b32_e32 v8, 0xffffc7ff, v0
	v_ashrrev_i32_e32 v9, 31, v8
	v_lshl_add_u64 v[12:13], v[6:7], 0, v[8:9]
                                        ; implicit-def: $vgpr8_vgpr9
; %bb.460:
	s_andn2_saveexec_b64 s[6:7], s[6:7]
; %bb.461:
	v_lshl_add_u64 v[12:13], v[2:3], 0, v[8:9]
; %bb.462:
	s_or_b64 exec, exec, s[6:7]
	v_lshl_add_u64 v[8:9], v[12:13], 1, s[2:3]
	s_waitcnt lgkmcnt(1)
	global_store_short v[8:9], v71, off
	s_or_b64 exec, exec, s[4:5]
	v_cmp_gt_u32_e32 vcc, s33, v4
                                        ; implicit-def: $vgpr12_vgpr13
	s_and_saveexec_b64 s[4:5], vcc
	s_cbranch_execz .LBB546_468
.LBB546_463:
	v_cmp_ge_u32_e32 vcc, v4, v10
                                        ; implicit-def: $vgpr12_vgpr13
	s_and_saveexec_b64 s[6:7], vcc
	s_xor_b64 s[6:7], exec, s[6:7]
; %bb.464:
	v_xor_b32_e32 v4, 0xffffc5ff, v0
	v_ashrrev_i32_e32 v5, 31, v4
	v_lshl_add_u64 v[12:13], v[6:7], 0, v[4:5]
                                        ; implicit-def: $vgpr4_vgpr5
; %bb.465:
	s_andn2_saveexec_b64 s[6:7], s[6:7]
; %bb.466:
	v_lshl_add_u64 v[12:13], v[2:3], 0, v[4:5]
; %bb.467:
	s_or_b64 exec, exec, s[6:7]
	s_or_b64 s[0:1], s[0:1], exec
.LBB546_468:
	s_or_b64 exec, exec, s[4:5]
.LBB546_469:
	s_and_saveexec_b64 s[4:5], s[0:1]
	s_cbranch_execz .LBB546_471
; %bb.470:
	v_lshl_add_u64 v[4:5], v[12:13], 1, s[2:3]
	s_waitcnt lgkmcnt(0)
	global_store_short v[4:5], v70, off
.LBB546_471:
	s_or_b64 exec, exec, s[4:5]
	v_cmp_eq_u32_e32 vcc, 0, v0
	s_and_b64 s[0:1], vcc, s[22:23]
	s_and_saveexec_b64 s[2:3], s[0:1]
	s_cbranch_execz .LBB546_473
; %bb.472:
	v_mov_b32_e32 v4, 0
	v_lshl_add_u64 v[0:1], v[2:3], 0, v[10:11]
	global_store_dwordx2 v4, v[0:1], s[20:21]
.LBB546_473:
	s_endpgm
	.section	.rodata,"a",@progbits
	.p2align	6, 0x0
	.amdhsa_kernel _ZN7rocprim17ROCPRIM_400000_NS6detail17trampoline_kernelINS0_14default_configENS1_25partition_config_selectorILNS1_17partition_subalgoE2EsNS0_10empty_typeEbEEZZNS1_14partition_implILS5_2ELb0ES3_jN6thrust23THRUST_200600_302600_NS6detail15normal_iteratorINSA_7pointerIsNSA_11hip_rocprim3tagENSA_11use_defaultESG_EEEEPS6_NSA_18transform_iteratorINSA_8identityIsEENSC_INSA_10device_ptrIsEEEESG_SG_EENS0_5tupleIJPsSJ_EEENSR_IJSJ_SJ_EEES6_PlJS6_EEE10hipError_tPvRmT3_T4_T5_T6_T7_T9_mT8_P12ihipStream_tbDpT10_ENKUlT_T0_E_clISt17integral_constantIbLb0EES1F_EEDaS1A_S1B_EUlS1A_E_NS1_11comp_targetILNS1_3genE5ELNS1_11target_archE942ELNS1_3gpuE9ELNS1_3repE0EEENS1_30default_config_static_selectorELNS0_4arch9wavefront6targetE1EEEvT1_
		.amdhsa_group_segment_fixed_size 30728
		.amdhsa_private_segment_fixed_size 0
		.amdhsa_kernarg_size 128
		.amdhsa_user_sgpr_count 2
		.amdhsa_user_sgpr_dispatch_ptr 0
		.amdhsa_user_sgpr_queue_ptr 0
		.amdhsa_user_sgpr_kernarg_segment_ptr 1
		.amdhsa_user_sgpr_dispatch_id 0
		.amdhsa_user_sgpr_kernarg_preload_length 0
		.amdhsa_user_sgpr_kernarg_preload_offset 0
		.amdhsa_user_sgpr_private_segment_size 0
		.amdhsa_uses_dynamic_stack 0
		.amdhsa_enable_private_segment 0
		.amdhsa_system_sgpr_workgroup_id_x 1
		.amdhsa_system_sgpr_workgroup_id_y 0
		.amdhsa_system_sgpr_workgroup_id_z 0
		.amdhsa_system_sgpr_workgroup_info 0
		.amdhsa_system_vgpr_workitem_id 0
		.amdhsa_next_free_vgpr 100
		.amdhsa_next_free_sgpr 46
		.amdhsa_accum_offset 100
		.amdhsa_reserve_vcc 1
		.amdhsa_float_round_mode_32 0
		.amdhsa_float_round_mode_16_64 0
		.amdhsa_float_denorm_mode_32 3
		.amdhsa_float_denorm_mode_16_64 3
		.amdhsa_dx10_clamp 1
		.amdhsa_ieee_mode 1
		.amdhsa_fp16_overflow 0
		.amdhsa_tg_split 0
		.amdhsa_exception_fp_ieee_invalid_op 0
		.amdhsa_exception_fp_denorm_src 0
		.amdhsa_exception_fp_ieee_div_zero 0
		.amdhsa_exception_fp_ieee_overflow 0
		.amdhsa_exception_fp_ieee_underflow 0
		.amdhsa_exception_fp_ieee_inexact 0
		.amdhsa_exception_int_div_zero 0
	.end_amdhsa_kernel
	.section	.text._ZN7rocprim17ROCPRIM_400000_NS6detail17trampoline_kernelINS0_14default_configENS1_25partition_config_selectorILNS1_17partition_subalgoE2EsNS0_10empty_typeEbEEZZNS1_14partition_implILS5_2ELb0ES3_jN6thrust23THRUST_200600_302600_NS6detail15normal_iteratorINSA_7pointerIsNSA_11hip_rocprim3tagENSA_11use_defaultESG_EEEEPS6_NSA_18transform_iteratorINSA_8identityIsEENSC_INSA_10device_ptrIsEEEESG_SG_EENS0_5tupleIJPsSJ_EEENSR_IJSJ_SJ_EEES6_PlJS6_EEE10hipError_tPvRmT3_T4_T5_T6_T7_T9_mT8_P12ihipStream_tbDpT10_ENKUlT_T0_E_clISt17integral_constantIbLb0EES1F_EEDaS1A_S1B_EUlS1A_E_NS1_11comp_targetILNS1_3genE5ELNS1_11target_archE942ELNS1_3gpuE9ELNS1_3repE0EEENS1_30default_config_static_selectorELNS0_4arch9wavefront6targetE1EEEvT1_,"axG",@progbits,_ZN7rocprim17ROCPRIM_400000_NS6detail17trampoline_kernelINS0_14default_configENS1_25partition_config_selectorILNS1_17partition_subalgoE2EsNS0_10empty_typeEbEEZZNS1_14partition_implILS5_2ELb0ES3_jN6thrust23THRUST_200600_302600_NS6detail15normal_iteratorINSA_7pointerIsNSA_11hip_rocprim3tagENSA_11use_defaultESG_EEEEPS6_NSA_18transform_iteratorINSA_8identityIsEENSC_INSA_10device_ptrIsEEEESG_SG_EENS0_5tupleIJPsSJ_EEENSR_IJSJ_SJ_EEES6_PlJS6_EEE10hipError_tPvRmT3_T4_T5_T6_T7_T9_mT8_P12ihipStream_tbDpT10_ENKUlT_T0_E_clISt17integral_constantIbLb0EES1F_EEDaS1A_S1B_EUlS1A_E_NS1_11comp_targetILNS1_3genE5ELNS1_11target_archE942ELNS1_3gpuE9ELNS1_3repE0EEENS1_30default_config_static_selectorELNS0_4arch9wavefront6targetE1EEEvT1_,comdat
.Lfunc_end546:
	.size	_ZN7rocprim17ROCPRIM_400000_NS6detail17trampoline_kernelINS0_14default_configENS1_25partition_config_selectorILNS1_17partition_subalgoE2EsNS0_10empty_typeEbEEZZNS1_14partition_implILS5_2ELb0ES3_jN6thrust23THRUST_200600_302600_NS6detail15normal_iteratorINSA_7pointerIsNSA_11hip_rocprim3tagENSA_11use_defaultESG_EEEEPS6_NSA_18transform_iteratorINSA_8identityIsEENSC_INSA_10device_ptrIsEEEESG_SG_EENS0_5tupleIJPsSJ_EEENSR_IJSJ_SJ_EEES6_PlJS6_EEE10hipError_tPvRmT3_T4_T5_T6_T7_T9_mT8_P12ihipStream_tbDpT10_ENKUlT_T0_E_clISt17integral_constantIbLb0EES1F_EEDaS1A_S1B_EUlS1A_E_NS1_11comp_targetILNS1_3genE5ELNS1_11target_archE942ELNS1_3gpuE9ELNS1_3repE0EEENS1_30default_config_static_selectorELNS0_4arch9wavefront6targetE1EEEvT1_, .Lfunc_end546-_ZN7rocprim17ROCPRIM_400000_NS6detail17trampoline_kernelINS0_14default_configENS1_25partition_config_selectorILNS1_17partition_subalgoE2EsNS0_10empty_typeEbEEZZNS1_14partition_implILS5_2ELb0ES3_jN6thrust23THRUST_200600_302600_NS6detail15normal_iteratorINSA_7pointerIsNSA_11hip_rocprim3tagENSA_11use_defaultESG_EEEEPS6_NSA_18transform_iteratorINSA_8identityIsEENSC_INSA_10device_ptrIsEEEESG_SG_EENS0_5tupleIJPsSJ_EEENSR_IJSJ_SJ_EEES6_PlJS6_EEE10hipError_tPvRmT3_T4_T5_T6_T7_T9_mT8_P12ihipStream_tbDpT10_ENKUlT_T0_E_clISt17integral_constantIbLb0EES1F_EEDaS1A_S1B_EUlS1A_E_NS1_11comp_targetILNS1_3genE5ELNS1_11target_archE942ELNS1_3gpuE9ELNS1_3repE0EEENS1_30default_config_static_selectorELNS0_4arch9wavefront6targetE1EEEvT1_
                                        ; -- End function
	.section	.AMDGPU.csdata,"",@progbits
; Kernel info:
; codeLenInByte = 15116
; NumSgprs: 52
; NumVgprs: 100
; NumAgprs: 0
; TotalNumVgprs: 100
; ScratchSize: 0
; MemoryBound: 0
; FloatMode: 240
; IeeeMode: 1
; LDSByteSize: 30728 bytes/workgroup (compile time only)
; SGPRBlocks: 6
; VGPRBlocks: 12
; NumSGPRsForWavesPerEU: 52
; NumVGPRsForWavesPerEU: 100
; AccumOffset: 100
; Occupancy: 4
; WaveLimiterHint : 1
; COMPUTE_PGM_RSRC2:SCRATCH_EN: 0
; COMPUTE_PGM_RSRC2:USER_SGPR: 2
; COMPUTE_PGM_RSRC2:TRAP_HANDLER: 0
; COMPUTE_PGM_RSRC2:TGID_X_EN: 1
; COMPUTE_PGM_RSRC2:TGID_Y_EN: 0
; COMPUTE_PGM_RSRC2:TGID_Z_EN: 0
; COMPUTE_PGM_RSRC2:TIDIG_COMP_CNT: 0
; COMPUTE_PGM_RSRC3_GFX90A:ACCUM_OFFSET: 24
; COMPUTE_PGM_RSRC3_GFX90A:TG_SPLIT: 0
	.section	.text._ZN7rocprim17ROCPRIM_400000_NS6detail17trampoline_kernelINS0_14default_configENS1_25partition_config_selectorILNS1_17partition_subalgoE2EsNS0_10empty_typeEbEEZZNS1_14partition_implILS5_2ELb0ES3_jN6thrust23THRUST_200600_302600_NS6detail15normal_iteratorINSA_7pointerIsNSA_11hip_rocprim3tagENSA_11use_defaultESG_EEEEPS6_NSA_18transform_iteratorINSA_8identityIsEENSC_INSA_10device_ptrIsEEEESG_SG_EENS0_5tupleIJPsSJ_EEENSR_IJSJ_SJ_EEES6_PlJS6_EEE10hipError_tPvRmT3_T4_T5_T6_T7_T9_mT8_P12ihipStream_tbDpT10_ENKUlT_T0_E_clISt17integral_constantIbLb0EES1F_EEDaS1A_S1B_EUlS1A_E_NS1_11comp_targetILNS1_3genE4ELNS1_11target_archE910ELNS1_3gpuE8ELNS1_3repE0EEENS1_30default_config_static_selectorELNS0_4arch9wavefront6targetE1EEEvT1_,"axG",@progbits,_ZN7rocprim17ROCPRIM_400000_NS6detail17trampoline_kernelINS0_14default_configENS1_25partition_config_selectorILNS1_17partition_subalgoE2EsNS0_10empty_typeEbEEZZNS1_14partition_implILS5_2ELb0ES3_jN6thrust23THRUST_200600_302600_NS6detail15normal_iteratorINSA_7pointerIsNSA_11hip_rocprim3tagENSA_11use_defaultESG_EEEEPS6_NSA_18transform_iteratorINSA_8identityIsEENSC_INSA_10device_ptrIsEEEESG_SG_EENS0_5tupleIJPsSJ_EEENSR_IJSJ_SJ_EEES6_PlJS6_EEE10hipError_tPvRmT3_T4_T5_T6_T7_T9_mT8_P12ihipStream_tbDpT10_ENKUlT_T0_E_clISt17integral_constantIbLb0EES1F_EEDaS1A_S1B_EUlS1A_E_NS1_11comp_targetILNS1_3genE4ELNS1_11target_archE910ELNS1_3gpuE8ELNS1_3repE0EEENS1_30default_config_static_selectorELNS0_4arch9wavefront6targetE1EEEvT1_,comdat
	.protected	_ZN7rocprim17ROCPRIM_400000_NS6detail17trampoline_kernelINS0_14default_configENS1_25partition_config_selectorILNS1_17partition_subalgoE2EsNS0_10empty_typeEbEEZZNS1_14partition_implILS5_2ELb0ES3_jN6thrust23THRUST_200600_302600_NS6detail15normal_iteratorINSA_7pointerIsNSA_11hip_rocprim3tagENSA_11use_defaultESG_EEEEPS6_NSA_18transform_iteratorINSA_8identityIsEENSC_INSA_10device_ptrIsEEEESG_SG_EENS0_5tupleIJPsSJ_EEENSR_IJSJ_SJ_EEES6_PlJS6_EEE10hipError_tPvRmT3_T4_T5_T6_T7_T9_mT8_P12ihipStream_tbDpT10_ENKUlT_T0_E_clISt17integral_constantIbLb0EES1F_EEDaS1A_S1B_EUlS1A_E_NS1_11comp_targetILNS1_3genE4ELNS1_11target_archE910ELNS1_3gpuE8ELNS1_3repE0EEENS1_30default_config_static_selectorELNS0_4arch9wavefront6targetE1EEEvT1_ ; -- Begin function _ZN7rocprim17ROCPRIM_400000_NS6detail17trampoline_kernelINS0_14default_configENS1_25partition_config_selectorILNS1_17partition_subalgoE2EsNS0_10empty_typeEbEEZZNS1_14partition_implILS5_2ELb0ES3_jN6thrust23THRUST_200600_302600_NS6detail15normal_iteratorINSA_7pointerIsNSA_11hip_rocprim3tagENSA_11use_defaultESG_EEEEPS6_NSA_18transform_iteratorINSA_8identityIsEENSC_INSA_10device_ptrIsEEEESG_SG_EENS0_5tupleIJPsSJ_EEENSR_IJSJ_SJ_EEES6_PlJS6_EEE10hipError_tPvRmT3_T4_T5_T6_T7_T9_mT8_P12ihipStream_tbDpT10_ENKUlT_T0_E_clISt17integral_constantIbLb0EES1F_EEDaS1A_S1B_EUlS1A_E_NS1_11comp_targetILNS1_3genE4ELNS1_11target_archE910ELNS1_3gpuE8ELNS1_3repE0EEENS1_30default_config_static_selectorELNS0_4arch9wavefront6targetE1EEEvT1_
	.globl	_ZN7rocprim17ROCPRIM_400000_NS6detail17trampoline_kernelINS0_14default_configENS1_25partition_config_selectorILNS1_17partition_subalgoE2EsNS0_10empty_typeEbEEZZNS1_14partition_implILS5_2ELb0ES3_jN6thrust23THRUST_200600_302600_NS6detail15normal_iteratorINSA_7pointerIsNSA_11hip_rocprim3tagENSA_11use_defaultESG_EEEEPS6_NSA_18transform_iteratorINSA_8identityIsEENSC_INSA_10device_ptrIsEEEESG_SG_EENS0_5tupleIJPsSJ_EEENSR_IJSJ_SJ_EEES6_PlJS6_EEE10hipError_tPvRmT3_T4_T5_T6_T7_T9_mT8_P12ihipStream_tbDpT10_ENKUlT_T0_E_clISt17integral_constantIbLb0EES1F_EEDaS1A_S1B_EUlS1A_E_NS1_11comp_targetILNS1_3genE4ELNS1_11target_archE910ELNS1_3gpuE8ELNS1_3repE0EEENS1_30default_config_static_selectorELNS0_4arch9wavefront6targetE1EEEvT1_
	.p2align	8
	.type	_ZN7rocprim17ROCPRIM_400000_NS6detail17trampoline_kernelINS0_14default_configENS1_25partition_config_selectorILNS1_17partition_subalgoE2EsNS0_10empty_typeEbEEZZNS1_14partition_implILS5_2ELb0ES3_jN6thrust23THRUST_200600_302600_NS6detail15normal_iteratorINSA_7pointerIsNSA_11hip_rocprim3tagENSA_11use_defaultESG_EEEEPS6_NSA_18transform_iteratorINSA_8identityIsEENSC_INSA_10device_ptrIsEEEESG_SG_EENS0_5tupleIJPsSJ_EEENSR_IJSJ_SJ_EEES6_PlJS6_EEE10hipError_tPvRmT3_T4_T5_T6_T7_T9_mT8_P12ihipStream_tbDpT10_ENKUlT_T0_E_clISt17integral_constantIbLb0EES1F_EEDaS1A_S1B_EUlS1A_E_NS1_11comp_targetILNS1_3genE4ELNS1_11target_archE910ELNS1_3gpuE8ELNS1_3repE0EEENS1_30default_config_static_selectorELNS0_4arch9wavefront6targetE1EEEvT1_,@function
_ZN7rocprim17ROCPRIM_400000_NS6detail17trampoline_kernelINS0_14default_configENS1_25partition_config_selectorILNS1_17partition_subalgoE2EsNS0_10empty_typeEbEEZZNS1_14partition_implILS5_2ELb0ES3_jN6thrust23THRUST_200600_302600_NS6detail15normal_iteratorINSA_7pointerIsNSA_11hip_rocprim3tagENSA_11use_defaultESG_EEEEPS6_NSA_18transform_iteratorINSA_8identityIsEENSC_INSA_10device_ptrIsEEEESG_SG_EENS0_5tupleIJPsSJ_EEENSR_IJSJ_SJ_EEES6_PlJS6_EEE10hipError_tPvRmT3_T4_T5_T6_T7_T9_mT8_P12ihipStream_tbDpT10_ENKUlT_T0_E_clISt17integral_constantIbLb0EES1F_EEDaS1A_S1B_EUlS1A_E_NS1_11comp_targetILNS1_3genE4ELNS1_11target_archE910ELNS1_3gpuE8ELNS1_3repE0EEENS1_30default_config_static_selectorELNS0_4arch9wavefront6targetE1EEEvT1_: ; @_ZN7rocprim17ROCPRIM_400000_NS6detail17trampoline_kernelINS0_14default_configENS1_25partition_config_selectorILNS1_17partition_subalgoE2EsNS0_10empty_typeEbEEZZNS1_14partition_implILS5_2ELb0ES3_jN6thrust23THRUST_200600_302600_NS6detail15normal_iteratorINSA_7pointerIsNSA_11hip_rocprim3tagENSA_11use_defaultESG_EEEEPS6_NSA_18transform_iteratorINSA_8identityIsEENSC_INSA_10device_ptrIsEEEESG_SG_EENS0_5tupleIJPsSJ_EEENSR_IJSJ_SJ_EEES6_PlJS6_EEE10hipError_tPvRmT3_T4_T5_T6_T7_T9_mT8_P12ihipStream_tbDpT10_ENKUlT_T0_E_clISt17integral_constantIbLb0EES1F_EEDaS1A_S1B_EUlS1A_E_NS1_11comp_targetILNS1_3genE4ELNS1_11target_archE910ELNS1_3gpuE8ELNS1_3repE0EEENS1_30default_config_static_selectorELNS0_4arch9wavefront6targetE1EEEvT1_
; %bb.0:
	.section	.rodata,"a",@progbits
	.p2align	6, 0x0
	.amdhsa_kernel _ZN7rocprim17ROCPRIM_400000_NS6detail17trampoline_kernelINS0_14default_configENS1_25partition_config_selectorILNS1_17partition_subalgoE2EsNS0_10empty_typeEbEEZZNS1_14partition_implILS5_2ELb0ES3_jN6thrust23THRUST_200600_302600_NS6detail15normal_iteratorINSA_7pointerIsNSA_11hip_rocprim3tagENSA_11use_defaultESG_EEEEPS6_NSA_18transform_iteratorINSA_8identityIsEENSC_INSA_10device_ptrIsEEEESG_SG_EENS0_5tupleIJPsSJ_EEENSR_IJSJ_SJ_EEES6_PlJS6_EEE10hipError_tPvRmT3_T4_T5_T6_T7_T9_mT8_P12ihipStream_tbDpT10_ENKUlT_T0_E_clISt17integral_constantIbLb0EES1F_EEDaS1A_S1B_EUlS1A_E_NS1_11comp_targetILNS1_3genE4ELNS1_11target_archE910ELNS1_3gpuE8ELNS1_3repE0EEENS1_30default_config_static_selectorELNS0_4arch9wavefront6targetE1EEEvT1_
		.amdhsa_group_segment_fixed_size 0
		.amdhsa_private_segment_fixed_size 0
		.amdhsa_kernarg_size 128
		.amdhsa_user_sgpr_count 2
		.amdhsa_user_sgpr_dispatch_ptr 0
		.amdhsa_user_sgpr_queue_ptr 0
		.amdhsa_user_sgpr_kernarg_segment_ptr 1
		.amdhsa_user_sgpr_dispatch_id 0
		.amdhsa_user_sgpr_kernarg_preload_length 0
		.amdhsa_user_sgpr_kernarg_preload_offset 0
		.amdhsa_user_sgpr_private_segment_size 0
		.amdhsa_uses_dynamic_stack 0
		.amdhsa_enable_private_segment 0
		.amdhsa_system_sgpr_workgroup_id_x 1
		.amdhsa_system_sgpr_workgroup_id_y 0
		.amdhsa_system_sgpr_workgroup_id_z 0
		.amdhsa_system_sgpr_workgroup_info 0
		.amdhsa_system_vgpr_workitem_id 0
		.amdhsa_next_free_vgpr 1
		.amdhsa_next_free_sgpr 0
		.amdhsa_accum_offset 4
		.amdhsa_reserve_vcc 0
		.amdhsa_float_round_mode_32 0
		.amdhsa_float_round_mode_16_64 0
		.amdhsa_float_denorm_mode_32 3
		.amdhsa_float_denorm_mode_16_64 3
		.amdhsa_dx10_clamp 1
		.amdhsa_ieee_mode 1
		.amdhsa_fp16_overflow 0
		.amdhsa_tg_split 0
		.amdhsa_exception_fp_ieee_invalid_op 0
		.amdhsa_exception_fp_denorm_src 0
		.amdhsa_exception_fp_ieee_div_zero 0
		.amdhsa_exception_fp_ieee_overflow 0
		.amdhsa_exception_fp_ieee_underflow 0
		.amdhsa_exception_fp_ieee_inexact 0
		.amdhsa_exception_int_div_zero 0
	.end_amdhsa_kernel
	.section	.text._ZN7rocprim17ROCPRIM_400000_NS6detail17trampoline_kernelINS0_14default_configENS1_25partition_config_selectorILNS1_17partition_subalgoE2EsNS0_10empty_typeEbEEZZNS1_14partition_implILS5_2ELb0ES3_jN6thrust23THRUST_200600_302600_NS6detail15normal_iteratorINSA_7pointerIsNSA_11hip_rocprim3tagENSA_11use_defaultESG_EEEEPS6_NSA_18transform_iteratorINSA_8identityIsEENSC_INSA_10device_ptrIsEEEESG_SG_EENS0_5tupleIJPsSJ_EEENSR_IJSJ_SJ_EEES6_PlJS6_EEE10hipError_tPvRmT3_T4_T5_T6_T7_T9_mT8_P12ihipStream_tbDpT10_ENKUlT_T0_E_clISt17integral_constantIbLb0EES1F_EEDaS1A_S1B_EUlS1A_E_NS1_11comp_targetILNS1_3genE4ELNS1_11target_archE910ELNS1_3gpuE8ELNS1_3repE0EEENS1_30default_config_static_selectorELNS0_4arch9wavefront6targetE1EEEvT1_,"axG",@progbits,_ZN7rocprim17ROCPRIM_400000_NS6detail17trampoline_kernelINS0_14default_configENS1_25partition_config_selectorILNS1_17partition_subalgoE2EsNS0_10empty_typeEbEEZZNS1_14partition_implILS5_2ELb0ES3_jN6thrust23THRUST_200600_302600_NS6detail15normal_iteratorINSA_7pointerIsNSA_11hip_rocprim3tagENSA_11use_defaultESG_EEEEPS6_NSA_18transform_iteratorINSA_8identityIsEENSC_INSA_10device_ptrIsEEEESG_SG_EENS0_5tupleIJPsSJ_EEENSR_IJSJ_SJ_EEES6_PlJS6_EEE10hipError_tPvRmT3_T4_T5_T6_T7_T9_mT8_P12ihipStream_tbDpT10_ENKUlT_T0_E_clISt17integral_constantIbLb0EES1F_EEDaS1A_S1B_EUlS1A_E_NS1_11comp_targetILNS1_3genE4ELNS1_11target_archE910ELNS1_3gpuE8ELNS1_3repE0EEENS1_30default_config_static_selectorELNS0_4arch9wavefront6targetE1EEEvT1_,comdat
.Lfunc_end547:
	.size	_ZN7rocprim17ROCPRIM_400000_NS6detail17trampoline_kernelINS0_14default_configENS1_25partition_config_selectorILNS1_17partition_subalgoE2EsNS0_10empty_typeEbEEZZNS1_14partition_implILS5_2ELb0ES3_jN6thrust23THRUST_200600_302600_NS6detail15normal_iteratorINSA_7pointerIsNSA_11hip_rocprim3tagENSA_11use_defaultESG_EEEEPS6_NSA_18transform_iteratorINSA_8identityIsEENSC_INSA_10device_ptrIsEEEESG_SG_EENS0_5tupleIJPsSJ_EEENSR_IJSJ_SJ_EEES6_PlJS6_EEE10hipError_tPvRmT3_T4_T5_T6_T7_T9_mT8_P12ihipStream_tbDpT10_ENKUlT_T0_E_clISt17integral_constantIbLb0EES1F_EEDaS1A_S1B_EUlS1A_E_NS1_11comp_targetILNS1_3genE4ELNS1_11target_archE910ELNS1_3gpuE8ELNS1_3repE0EEENS1_30default_config_static_selectorELNS0_4arch9wavefront6targetE1EEEvT1_, .Lfunc_end547-_ZN7rocprim17ROCPRIM_400000_NS6detail17trampoline_kernelINS0_14default_configENS1_25partition_config_selectorILNS1_17partition_subalgoE2EsNS0_10empty_typeEbEEZZNS1_14partition_implILS5_2ELb0ES3_jN6thrust23THRUST_200600_302600_NS6detail15normal_iteratorINSA_7pointerIsNSA_11hip_rocprim3tagENSA_11use_defaultESG_EEEEPS6_NSA_18transform_iteratorINSA_8identityIsEENSC_INSA_10device_ptrIsEEEESG_SG_EENS0_5tupleIJPsSJ_EEENSR_IJSJ_SJ_EEES6_PlJS6_EEE10hipError_tPvRmT3_T4_T5_T6_T7_T9_mT8_P12ihipStream_tbDpT10_ENKUlT_T0_E_clISt17integral_constantIbLb0EES1F_EEDaS1A_S1B_EUlS1A_E_NS1_11comp_targetILNS1_3genE4ELNS1_11target_archE910ELNS1_3gpuE8ELNS1_3repE0EEENS1_30default_config_static_selectorELNS0_4arch9wavefront6targetE1EEEvT1_
                                        ; -- End function
	.section	.AMDGPU.csdata,"",@progbits
; Kernel info:
; codeLenInByte = 0
; NumSgprs: 6
; NumVgprs: 0
; NumAgprs: 0
; TotalNumVgprs: 0
; ScratchSize: 0
; MemoryBound: 0
; FloatMode: 240
; IeeeMode: 1
; LDSByteSize: 0 bytes/workgroup (compile time only)
; SGPRBlocks: 0
; VGPRBlocks: 0
; NumSGPRsForWavesPerEU: 6
; NumVGPRsForWavesPerEU: 1
; AccumOffset: 4
; Occupancy: 8
; WaveLimiterHint : 0
; COMPUTE_PGM_RSRC2:SCRATCH_EN: 0
; COMPUTE_PGM_RSRC2:USER_SGPR: 2
; COMPUTE_PGM_RSRC2:TRAP_HANDLER: 0
; COMPUTE_PGM_RSRC2:TGID_X_EN: 1
; COMPUTE_PGM_RSRC2:TGID_Y_EN: 0
; COMPUTE_PGM_RSRC2:TGID_Z_EN: 0
; COMPUTE_PGM_RSRC2:TIDIG_COMP_CNT: 0
; COMPUTE_PGM_RSRC3_GFX90A:ACCUM_OFFSET: 0
; COMPUTE_PGM_RSRC3_GFX90A:TG_SPLIT: 0
	.section	.text._ZN7rocprim17ROCPRIM_400000_NS6detail17trampoline_kernelINS0_14default_configENS1_25partition_config_selectorILNS1_17partition_subalgoE2EsNS0_10empty_typeEbEEZZNS1_14partition_implILS5_2ELb0ES3_jN6thrust23THRUST_200600_302600_NS6detail15normal_iteratorINSA_7pointerIsNSA_11hip_rocprim3tagENSA_11use_defaultESG_EEEEPS6_NSA_18transform_iteratorINSA_8identityIsEENSC_INSA_10device_ptrIsEEEESG_SG_EENS0_5tupleIJPsSJ_EEENSR_IJSJ_SJ_EEES6_PlJS6_EEE10hipError_tPvRmT3_T4_T5_T6_T7_T9_mT8_P12ihipStream_tbDpT10_ENKUlT_T0_E_clISt17integral_constantIbLb0EES1F_EEDaS1A_S1B_EUlS1A_E_NS1_11comp_targetILNS1_3genE3ELNS1_11target_archE908ELNS1_3gpuE7ELNS1_3repE0EEENS1_30default_config_static_selectorELNS0_4arch9wavefront6targetE1EEEvT1_,"axG",@progbits,_ZN7rocprim17ROCPRIM_400000_NS6detail17trampoline_kernelINS0_14default_configENS1_25partition_config_selectorILNS1_17partition_subalgoE2EsNS0_10empty_typeEbEEZZNS1_14partition_implILS5_2ELb0ES3_jN6thrust23THRUST_200600_302600_NS6detail15normal_iteratorINSA_7pointerIsNSA_11hip_rocprim3tagENSA_11use_defaultESG_EEEEPS6_NSA_18transform_iteratorINSA_8identityIsEENSC_INSA_10device_ptrIsEEEESG_SG_EENS0_5tupleIJPsSJ_EEENSR_IJSJ_SJ_EEES6_PlJS6_EEE10hipError_tPvRmT3_T4_T5_T6_T7_T9_mT8_P12ihipStream_tbDpT10_ENKUlT_T0_E_clISt17integral_constantIbLb0EES1F_EEDaS1A_S1B_EUlS1A_E_NS1_11comp_targetILNS1_3genE3ELNS1_11target_archE908ELNS1_3gpuE7ELNS1_3repE0EEENS1_30default_config_static_selectorELNS0_4arch9wavefront6targetE1EEEvT1_,comdat
	.protected	_ZN7rocprim17ROCPRIM_400000_NS6detail17trampoline_kernelINS0_14default_configENS1_25partition_config_selectorILNS1_17partition_subalgoE2EsNS0_10empty_typeEbEEZZNS1_14partition_implILS5_2ELb0ES3_jN6thrust23THRUST_200600_302600_NS6detail15normal_iteratorINSA_7pointerIsNSA_11hip_rocprim3tagENSA_11use_defaultESG_EEEEPS6_NSA_18transform_iteratorINSA_8identityIsEENSC_INSA_10device_ptrIsEEEESG_SG_EENS0_5tupleIJPsSJ_EEENSR_IJSJ_SJ_EEES6_PlJS6_EEE10hipError_tPvRmT3_T4_T5_T6_T7_T9_mT8_P12ihipStream_tbDpT10_ENKUlT_T0_E_clISt17integral_constantIbLb0EES1F_EEDaS1A_S1B_EUlS1A_E_NS1_11comp_targetILNS1_3genE3ELNS1_11target_archE908ELNS1_3gpuE7ELNS1_3repE0EEENS1_30default_config_static_selectorELNS0_4arch9wavefront6targetE1EEEvT1_ ; -- Begin function _ZN7rocprim17ROCPRIM_400000_NS6detail17trampoline_kernelINS0_14default_configENS1_25partition_config_selectorILNS1_17partition_subalgoE2EsNS0_10empty_typeEbEEZZNS1_14partition_implILS5_2ELb0ES3_jN6thrust23THRUST_200600_302600_NS6detail15normal_iteratorINSA_7pointerIsNSA_11hip_rocprim3tagENSA_11use_defaultESG_EEEEPS6_NSA_18transform_iteratorINSA_8identityIsEENSC_INSA_10device_ptrIsEEEESG_SG_EENS0_5tupleIJPsSJ_EEENSR_IJSJ_SJ_EEES6_PlJS6_EEE10hipError_tPvRmT3_T4_T5_T6_T7_T9_mT8_P12ihipStream_tbDpT10_ENKUlT_T0_E_clISt17integral_constantIbLb0EES1F_EEDaS1A_S1B_EUlS1A_E_NS1_11comp_targetILNS1_3genE3ELNS1_11target_archE908ELNS1_3gpuE7ELNS1_3repE0EEENS1_30default_config_static_selectorELNS0_4arch9wavefront6targetE1EEEvT1_
	.globl	_ZN7rocprim17ROCPRIM_400000_NS6detail17trampoline_kernelINS0_14default_configENS1_25partition_config_selectorILNS1_17partition_subalgoE2EsNS0_10empty_typeEbEEZZNS1_14partition_implILS5_2ELb0ES3_jN6thrust23THRUST_200600_302600_NS6detail15normal_iteratorINSA_7pointerIsNSA_11hip_rocprim3tagENSA_11use_defaultESG_EEEEPS6_NSA_18transform_iteratorINSA_8identityIsEENSC_INSA_10device_ptrIsEEEESG_SG_EENS0_5tupleIJPsSJ_EEENSR_IJSJ_SJ_EEES6_PlJS6_EEE10hipError_tPvRmT3_T4_T5_T6_T7_T9_mT8_P12ihipStream_tbDpT10_ENKUlT_T0_E_clISt17integral_constantIbLb0EES1F_EEDaS1A_S1B_EUlS1A_E_NS1_11comp_targetILNS1_3genE3ELNS1_11target_archE908ELNS1_3gpuE7ELNS1_3repE0EEENS1_30default_config_static_selectorELNS0_4arch9wavefront6targetE1EEEvT1_
	.p2align	8
	.type	_ZN7rocprim17ROCPRIM_400000_NS6detail17trampoline_kernelINS0_14default_configENS1_25partition_config_selectorILNS1_17partition_subalgoE2EsNS0_10empty_typeEbEEZZNS1_14partition_implILS5_2ELb0ES3_jN6thrust23THRUST_200600_302600_NS6detail15normal_iteratorINSA_7pointerIsNSA_11hip_rocprim3tagENSA_11use_defaultESG_EEEEPS6_NSA_18transform_iteratorINSA_8identityIsEENSC_INSA_10device_ptrIsEEEESG_SG_EENS0_5tupleIJPsSJ_EEENSR_IJSJ_SJ_EEES6_PlJS6_EEE10hipError_tPvRmT3_T4_T5_T6_T7_T9_mT8_P12ihipStream_tbDpT10_ENKUlT_T0_E_clISt17integral_constantIbLb0EES1F_EEDaS1A_S1B_EUlS1A_E_NS1_11comp_targetILNS1_3genE3ELNS1_11target_archE908ELNS1_3gpuE7ELNS1_3repE0EEENS1_30default_config_static_selectorELNS0_4arch9wavefront6targetE1EEEvT1_,@function
_ZN7rocprim17ROCPRIM_400000_NS6detail17trampoline_kernelINS0_14default_configENS1_25partition_config_selectorILNS1_17partition_subalgoE2EsNS0_10empty_typeEbEEZZNS1_14partition_implILS5_2ELb0ES3_jN6thrust23THRUST_200600_302600_NS6detail15normal_iteratorINSA_7pointerIsNSA_11hip_rocprim3tagENSA_11use_defaultESG_EEEEPS6_NSA_18transform_iteratorINSA_8identityIsEENSC_INSA_10device_ptrIsEEEESG_SG_EENS0_5tupleIJPsSJ_EEENSR_IJSJ_SJ_EEES6_PlJS6_EEE10hipError_tPvRmT3_T4_T5_T6_T7_T9_mT8_P12ihipStream_tbDpT10_ENKUlT_T0_E_clISt17integral_constantIbLb0EES1F_EEDaS1A_S1B_EUlS1A_E_NS1_11comp_targetILNS1_3genE3ELNS1_11target_archE908ELNS1_3gpuE7ELNS1_3repE0EEENS1_30default_config_static_selectorELNS0_4arch9wavefront6targetE1EEEvT1_: ; @_ZN7rocprim17ROCPRIM_400000_NS6detail17trampoline_kernelINS0_14default_configENS1_25partition_config_selectorILNS1_17partition_subalgoE2EsNS0_10empty_typeEbEEZZNS1_14partition_implILS5_2ELb0ES3_jN6thrust23THRUST_200600_302600_NS6detail15normal_iteratorINSA_7pointerIsNSA_11hip_rocprim3tagENSA_11use_defaultESG_EEEEPS6_NSA_18transform_iteratorINSA_8identityIsEENSC_INSA_10device_ptrIsEEEESG_SG_EENS0_5tupleIJPsSJ_EEENSR_IJSJ_SJ_EEES6_PlJS6_EEE10hipError_tPvRmT3_T4_T5_T6_T7_T9_mT8_P12ihipStream_tbDpT10_ENKUlT_T0_E_clISt17integral_constantIbLb0EES1F_EEDaS1A_S1B_EUlS1A_E_NS1_11comp_targetILNS1_3genE3ELNS1_11target_archE908ELNS1_3gpuE7ELNS1_3repE0EEENS1_30default_config_static_selectorELNS0_4arch9wavefront6targetE1EEEvT1_
; %bb.0:
	.section	.rodata,"a",@progbits
	.p2align	6, 0x0
	.amdhsa_kernel _ZN7rocprim17ROCPRIM_400000_NS6detail17trampoline_kernelINS0_14default_configENS1_25partition_config_selectorILNS1_17partition_subalgoE2EsNS0_10empty_typeEbEEZZNS1_14partition_implILS5_2ELb0ES3_jN6thrust23THRUST_200600_302600_NS6detail15normal_iteratorINSA_7pointerIsNSA_11hip_rocprim3tagENSA_11use_defaultESG_EEEEPS6_NSA_18transform_iteratorINSA_8identityIsEENSC_INSA_10device_ptrIsEEEESG_SG_EENS0_5tupleIJPsSJ_EEENSR_IJSJ_SJ_EEES6_PlJS6_EEE10hipError_tPvRmT3_T4_T5_T6_T7_T9_mT8_P12ihipStream_tbDpT10_ENKUlT_T0_E_clISt17integral_constantIbLb0EES1F_EEDaS1A_S1B_EUlS1A_E_NS1_11comp_targetILNS1_3genE3ELNS1_11target_archE908ELNS1_3gpuE7ELNS1_3repE0EEENS1_30default_config_static_selectorELNS0_4arch9wavefront6targetE1EEEvT1_
		.amdhsa_group_segment_fixed_size 0
		.amdhsa_private_segment_fixed_size 0
		.amdhsa_kernarg_size 128
		.amdhsa_user_sgpr_count 2
		.amdhsa_user_sgpr_dispatch_ptr 0
		.amdhsa_user_sgpr_queue_ptr 0
		.amdhsa_user_sgpr_kernarg_segment_ptr 1
		.amdhsa_user_sgpr_dispatch_id 0
		.amdhsa_user_sgpr_kernarg_preload_length 0
		.amdhsa_user_sgpr_kernarg_preload_offset 0
		.amdhsa_user_sgpr_private_segment_size 0
		.amdhsa_uses_dynamic_stack 0
		.amdhsa_enable_private_segment 0
		.amdhsa_system_sgpr_workgroup_id_x 1
		.amdhsa_system_sgpr_workgroup_id_y 0
		.amdhsa_system_sgpr_workgroup_id_z 0
		.amdhsa_system_sgpr_workgroup_info 0
		.amdhsa_system_vgpr_workitem_id 0
		.amdhsa_next_free_vgpr 1
		.amdhsa_next_free_sgpr 0
		.amdhsa_accum_offset 4
		.amdhsa_reserve_vcc 0
		.amdhsa_float_round_mode_32 0
		.amdhsa_float_round_mode_16_64 0
		.amdhsa_float_denorm_mode_32 3
		.amdhsa_float_denorm_mode_16_64 3
		.amdhsa_dx10_clamp 1
		.amdhsa_ieee_mode 1
		.amdhsa_fp16_overflow 0
		.amdhsa_tg_split 0
		.amdhsa_exception_fp_ieee_invalid_op 0
		.amdhsa_exception_fp_denorm_src 0
		.amdhsa_exception_fp_ieee_div_zero 0
		.amdhsa_exception_fp_ieee_overflow 0
		.amdhsa_exception_fp_ieee_underflow 0
		.amdhsa_exception_fp_ieee_inexact 0
		.amdhsa_exception_int_div_zero 0
	.end_amdhsa_kernel
	.section	.text._ZN7rocprim17ROCPRIM_400000_NS6detail17trampoline_kernelINS0_14default_configENS1_25partition_config_selectorILNS1_17partition_subalgoE2EsNS0_10empty_typeEbEEZZNS1_14partition_implILS5_2ELb0ES3_jN6thrust23THRUST_200600_302600_NS6detail15normal_iteratorINSA_7pointerIsNSA_11hip_rocprim3tagENSA_11use_defaultESG_EEEEPS6_NSA_18transform_iteratorINSA_8identityIsEENSC_INSA_10device_ptrIsEEEESG_SG_EENS0_5tupleIJPsSJ_EEENSR_IJSJ_SJ_EEES6_PlJS6_EEE10hipError_tPvRmT3_T4_T5_T6_T7_T9_mT8_P12ihipStream_tbDpT10_ENKUlT_T0_E_clISt17integral_constantIbLb0EES1F_EEDaS1A_S1B_EUlS1A_E_NS1_11comp_targetILNS1_3genE3ELNS1_11target_archE908ELNS1_3gpuE7ELNS1_3repE0EEENS1_30default_config_static_selectorELNS0_4arch9wavefront6targetE1EEEvT1_,"axG",@progbits,_ZN7rocprim17ROCPRIM_400000_NS6detail17trampoline_kernelINS0_14default_configENS1_25partition_config_selectorILNS1_17partition_subalgoE2EsNS0_10empty_typeEbEEZZNS1_14partition_implILS5_2ELb0ES3_jN6thrust23THRUST_200600_302600_NS6detail15normal_iteratorINSA_7pointerIsNSA_11hip_rocprim3tagENSA_11use_defaultESG_EEEEPS6_NSA_18transform_iteratorINSA_8identityIsEENSC_INSA_10device_ptrIsEEEESG_SG_EENS0_5tupleIJPsSJ_EEENSR_IJSJ_SJ_EEES6_PlJS6_EEE10hipError_tPvRmT3_T4_T5_T6_T7_T9_mT8_P12ihipStream_tbDpT10_ENKUlT_T0_E_clISt17integral_constantIbLb0EES1F_EEDaS1A_S1B_EUlS1A_E_NS1_11comp_targetILNS1_3genE3ELNS1_11target_archE908ELNS1_3gpuE7ELNS1_3repE0EEENS1_30default_config_static_selectorELNS0_4arch9wavefront6targetE1EEEvT1_,comdat
.Lfunc_end548:
	.size	_ZN7rocprim17ROCPRIM_400000_NS6detail17trampoline_kernelINS0_14default_configENS1_25partition_config_selectorILNS1_17partition_subalgoE2EsNS0_10empty_typeEbEEZZNS1_14partition_implILS5_2ELb0ES3_jN6thrust23THRUST_200600_302600_NS6detail15normal_iteratorINSA_7pointerIsNSA_11hip_rocprim3tagENSA_11use_defaultESG_EEEEPS6_NSA_18transform_iteratorINSA_8identityIsEENSC_INSA_10device_ptrIsEEEESG_SG_EENS0_5tupleIJPsSJ_EEENSR_IJSJ_SJ_EEES6_PlJS6_EEE10hipError_tPvRmT3_T4_T5_T6_T7_T9_mT8_P12ihipStream_tbDpT10_ENKUlT_T0_E_clISt17integral_constantIbLb0EES1F_EEDaS1A_S1B_EUlS1A_E_NS1_11comp_targetILNS1_3genE3ELNS1_11target_archE908ELNS1_3gpuE7ELNS1_3repE0EEENS1_30default_config_static_selectorELNS0_4arch9wavefront6targetE1EEEvT1_, .Lfunc_end548-_ZN7rocprim17ROCPRIM_400000_NS6detail17trampoline_kernelINS0_14default_configENS1_25partition_config_selectorILNS1_17partition_subalgoE2EsNS0_10empty_typeEbEEZZNS1_14partition_implILS5_2ELb0ES3_jN6thrust23THRUST_200600_302600_NS6detail15normal_iteratorINSA_7pointerIsNSA_11hip_rocprim3tagENSA_11use_defaultESG_EEEEPS6_NSA_18transform_iteratorINSA_8identityIsEENSC_INSA_10device_ptrIsEEEESG_SG_EENS0_5tupleIJPsSJ_EEENSR_IJSJ_SJ_EEES6_PlJS6_EEE10hipError_tPvRmT3_T4_T5_T6_T7_T9_mT8_P12ihipStream_tbDpT10_ENKUlT_T0_E_clISt17integral_constantIbLb0EES1F_EEDaS1A_S1B_EUlS1A_E_NS1_11comp_targetILNS1_3genE3ELNS1_11target_archE908ELNS1_3gpuE7ELNS1_3repE0EEENS1_30default_config_static_selectorELNS0_4arch9wavefront6targetE1EEEvT1_
                                        ; -- End function
	.section	.AMDGPU.csdata,"",@progbits
; Kernel info:
; codeLenInByte = 0
; NumSgprs: 6
; NumVgprs: 0
; NumAgprs: 0
; TotalNumVgprs: 0
; ScratchSize: 0
; MemoryBound: 0
; FloatMode: 240
; IeeeMode: 1
; LDSByteSize: 0 bytes/workgroup (compile time only)
; SGPRBlocks: 0
; VGPRBlocks: 0
; NumSGPRsForWavesPerEU: 6
; NumVGPRsForWavesPerEU: 1
; AccumOffset: 4
; Occupancy: 8
; WaveLimiterHint : 0
; COMPUTE_PGM_RSRC2:SCRATCH_EN: 0
; COMPUTE_PGM_RSRC2:USER_SGPR: 2
; COMPUTE_PGM_RSRC2:TRAP_HANDLER: 0
; COMPUTE_PGM_RSRC2:TGID_X_EN: 1
; COMPUTE_PGM_RSRC2:TGID_Y_EN: 0
; COMPUTE_PGM_RSRC2:TGID_Z_EN: 0
; COMPUTE_PGM_RSRC2:TIDIG_COMP_CNT: 0
; COMPUTE_PGM_RSRC3_GFX90A:ACCUM_OFFSET: 0
; COMPUTE_PGM_RSRC3_GFX90A:TG_SPLIT: 0
	.section	.text._ZN7rocprim17ROCPRIM_400000_NS6detail17trampoline_kernelINS0_14default_configENS1_25partition_config_selectorILNS1_17partition_subalgoE2EsNS0_10empty_typeEbEEZZNS1_14partition_implILS5_2ELb0ES3_jN6thrust23THRUST_200600_302600_NS6detail15normal_iteratorINSA_7pointerIsNSA_11hip_rocprim3tagENSA_11use_defaultESG_EEEEPS6_NSA_18transform_iteratorINSA_8identityIsEENSC_INSA_10device_ptrIsEEEESG_SG_EENS0_5tupleIJPsSJ_EEENSR_IJSJ_SJ_EEES6_PlJS6_EEE10hipError_tPvRmT3_T4_T5_T6_T7_T9_mT8_P12ihipStream_tbDpT10_ENKUlT_T0_E_clISt17integral_constantIbLb0EES1F_EEDaS1A_S1B_EUlS1A_E_NS1_11comp_targetILNS1_3genE2ELNS1_11target_archE906ELNS1_3gpuE6ELNS1_3repE0EEENS1_30default_config_static_selectorELNS0_4arch9wavefront6targetE1EEEvT1_,"axG",@progbits,_ZN7rocprim17ROCPRIM_400000_NS6detail17trampoline_kernelINS0_14default_configENS1_25partition_config_selectorILNS1_17partition_subalgoE2EsNS0_10empty_typeEbEEZZNS1_14partition_implILS5_2ELb0ES3_jN6thrust23THRUST_200600_302600_NS6detail15normal_iteratorINSA_7pointerIsNSA_11hip_rocprim3tagENSA_11use_defaultESG_EEEEPS6_NSA_18transform_iteratorINSA_8identityIsEENSC_INSA_10device_ptrIsEEEESG_SG_EENS0_5tupleIJPsSJ_EEENSR_IJSJ_SJ_EEES6_PlJS6_EEE10hipError_tPvRmT3_T4_T5_T6_T7_T9_mT8_P12ihipStream_tbDpT10_ENKUlT_T0_E_clISt17integral_constantIbLb0EES1F_EEDaS1A_S1B_EUlS1A_E_NS1_11comp_targetILNS1_3genE2ELNS1_11target_archE906ELNS1_3gpuE6ELNS1_3repE0EEENS1_30default_config_static_selectorELNS0_4arch9wavefront6targetE1EEEvT1_,comdat
	.protected	_ZN7rocprim17ROCPRIM_400000_NS6detail17trampoline_kernelINS0_14default_configENS1_25partition_config_selectorILNS1_17partition_subalgoE2EsNS0_10empty_typeEbEEZZNS1_14partition_implILS5_2ELb0ES3_jN6thrust23THRUST_200600_302600_NS6detail15normal_iteratorINSA_7pointerIsNSA_11hip_rocprim3tagENSA_11use_defaultESG_EEEEPS6_NSA_18transform_iteratorINSA_8identityIsEENSC_INSA_10device_ptrIsEEEESG_SG_EENS0_5tupleIJPsSJ_EEENSR_IJSJ_SJ_EEES6_PlJS6_EEE10hipError_tPvRmT3_T4_T5_T6_T7_T9_mT8_P12ihipStream_tbDpT10_ENKUlT_T0_E_clISt17integral_constantIbLb0EES1F_EEDaS1A_S1B_EUlS1A_E_NS1_11comp_targetILNS1_3genE2ELNS1_11target_archE906ELNS1_3gpuE6ELNS1_3repE0EEENS1_30default_config_static_selectorELNS0_4arch9wavefront6targetE1EEEvT1_ ; -- Begin function _ZN7rocprim17ROCPRIM_400000_NS6detail17trampoline_kernelINS0_14default_configENS1_25partition_config_selectorILNS1_17partition_subalgoE2EsNS0_10empty_typeEbEEZZNS1_14partition_implILS5_2ELb0ES3_jN6thrust23THRUST_200600_302600_NS6detail15normal_iteratorINSA_7pointerIsNSA_11hip_rocprim3tagENSA_11use_defaultESG_EEEEPS6_NSA_18transform_iteratorINSA_8identityIsEENSC_INSA_10device_ptrIsEEEESG_SG_EENS0_5tupleIJPsSJ_EEENSR_IJSJ_SJ_EEES6_PlJS6_EEE10hipError_tPvRmT3_T4_T5_T6_T7_T9_mT8_P12ihipStream_tbDpT10_ENKUlT_T0_E_clISt17integral_constantIbLb0EES1F_EEDaS1A_S1B_EUlS1A_E_NS1_11comp_targetILNS1_3genE2ELNS1_11target_archE906ELNS1_3gpuE6ELNS1_3repE0EEENS1_30default_config_static_selectorELNS0_4arch9wavefront6targetE1EEEvT1_
	.globl	_ZN7rocprim17ROCPRIM_400000_NS6detail17trampoline_kernelINS0_14default_configENS1_25partition_config_selectorILNS1_17partition_subalgoE2EsNS0_10empty_typeEbEEZZNS1_14partition_implILS5_2ELb0ES3_jN6thrust23THRUST_200600_302600_NS6detail15normal_iteratorINSA_7pointerIsNSA_11hip_rocprim3tagENSA_11use_defaultESG_EEEEPS6_NSA_18transform_iteratorINSA_8identityIsEENSC_INSA_10device_ptrIsEEEESG_SG_EENS0_5tupleIJPsSJ_EEENSR_IJSJ_SJ_EEES6_PlJS6_EEE10hipError_tPvRmT3_T4_T5_T6_T7_T9_mT8_P12ihipStream_tbDpT10_ENKUlT_T0_E_clISt17integral_constantIbLb0EES1F_EEDaS1A_S1B_EUlS1A_E_NS1_11comp_targetILNS1_3genE2ELNS1_11target_archE906ELNS1_3gpuE6ELNS1_3repE0EEENS1_30default_config_static_selectorELNS0_4arch9wavefront6targetE1EEEvT1_
	.p2align	8
	.type	_ZN7rocprim17ROCPRIM_400000_NS6detail17trampoline_kernelINS0_14default_configENS1_25partition_config_selectorILNS1_17partition_subalgoE2EsNS0_10empty_typeEbEEZZNS1_14partition_implILS5_2ELb0ES3_jN6thrust23THRUST_200600_302600_NS6detail15normal_iteratorINSA_7pointerIsNSA_11hip_rocprim3tagENSA_11use_defaultESG_EEEEPS6_NSA_18transform_iteratorINSA_8identityIsEENSC_INSA_10device_ptrIsEEEESG_SG_EENS0_5tupleIJPsSJ_EEENSR_IJSJ_SJ_EEES6_PlJS6_EEE10hipError_tPvRmT3_T4_T5_T6_T7_T9_mT8_P12ihipStream_tbDpT10_ENKUlT_T0_E_clISt17integral_constantIbLb0EES1F_EEDaS1A_S1B_EUlS1A_E_NS1_11comp_targetILNS1_3genE2ELNS1_11target_archE906ELNS1_3gpuE6ELNS1_3repE0EEENS1_30default_config_static_selectorELNS0_4arch9wavefront6targetE1EEEvT1_,@function
_ZN7rocprim17ROCPRIM_400000_NS6detail17trampoline_kernelINS0_14default_configENS1_25partition_config_selectorILNS1_17partition_subalgoE2EsNS0_10empty_typeEbEEZZNS1_14partition_implILS5_2ELb0ES3_jN6thrust23THRUST_200600_302600_NS6detail15normal_iteratorINSA_7pointerIsNSA_11hip_rocprim3tagENSA_11use_defaultESG_EEEEPS6_NSA_18transform_iteratorINSA_8identityIsEENSC_INSA_10device_ptrIsEEEESG_SG_EENS0_5tupleIJPsSJ_EEENSR_IJSJ_SJ_EEES6_PlJS6_EEE10hipError_tPvRmT3_T4_T5_T6_T7_T9_mT8_P12ihipStream_tbDpT10_ENKUlT_T0_E_clISt17integral_constantIbLb0EES1F_EEDaS1A_S1B_EUlS1A_E_NS1_11comp_targetILNS1_3genE2ELNS1_11target_archE906ELNS1_3gpuE6ELNS1_3repE0EEENS1_30default_config_static_selectorELNS0_4arch9wavefront6targetE1EEEvT1_: ; @_ZN7rocprim17ROCPRIM_400000_NS6detail17trampoline_kernelINS0_14default_configENS1_25partition_config_selectorILNS1_17partition_subalgoE2EsNS0_10empty_typeEbEEZZNS1_14partition_implILS5_2ELb0ES3_jN6thrust23THRUST_200600_302600_NS6detail15normal_iteratorINSA_7pointerIsNSA_11hip_rocprim3tagENSA_11use_defaultESG_EEEEPS6_NSA_18transform_iteratorINSA_8identityIsEENSC_INSA_10device_ptrIsEEEESG_SG_EENS0_5tupleIJPsSJ_EEENSR_IJSJ_SJ_EEES6_PlJS6_EEE10hipError_tPvRmT3_T4_T5_T6_T7_T9_mT8_P12ihipStream_tbDpT10_ENKUlT_T0_E_clISt17integral_constantIbLb0EES1F_EEDaS1A_S1B_EUlS1A_E_NS1_11comp_targetILNS1_3genE2ELNS1_11target_archE906ELNS1_3gpuE6ELNS1_3repE0EEENS1_30default_config_static_selectorELNS0_4arch9wavefront6targetE1EEEvT1_
; %bb.0:
	.section	.rodata,"a",@progbits
	.p2align	6, 0x0
	.amdhsa_kernel _ZN7rocprim17ROCPRIM_400000_NS6detail17trampoline_kernelINS0_14default_configENS1_25partition_config_selectorILNS1_17partition_subalgoE2EsNS0_10empty_typeEbEEZZNS1_14partition_implILS5_2ELb0ES3_jN6thrust23THRUST_200600_302600_NS6detail15normal_iteratorINSA_7pointerIsNSA_11hip_rocprim3tagENSA_11use_defaultESG_EEEEPS6_NSA_18transform_iteratorINSA_8identityIsEENSC_INSA_10device_ptrIsEEEESG_SG_EENS0_5tupleIJPsSJ_EEENSR_IJSJ_SJ_EEES6_PlJS6_EEE10hipError_tPvRmT3_T4_T5_T6_T7_T9_mT8_P12ihipStream_tbDpT10_ENKUlT_T0_E_clISt17integral_constantIbLb0EES1F_EEDaS1A_S1B_EUlS1A_E_NS1_11comp_targetILNS1_3genE2ELNS1_11target_archE906ELNS1_3gpuE6ELNS1_3repE0EEENS1_30default_config_static_selectorELNS0_4arch9wavefront6targetE1EEEvT1_
		.amdhsa_group_segment_fixed_size 0
		.amdhsa_private_segment_fixed_size 0
		.amdhsa_kernarg_size 128
		.amdhsa_user_sgpr_count 2
		.amdhsa_user_sgpr_dispatch_ptr 0
		.amdhsa_user_sgpr_queue_ptr 0
		.amdhsa_user_sgpr_kernarg_segment_ptr 1
		.amdhsa_user_sgpr_dispatch_id 0
		.amdhsa_user_sgpr_kernarg_preload_length 0
		.amdhsa_user_sgpr_kernarg_preload_offset 0
		.amdhsa_user_sgpr_private_segment_size 0
		.amdhsa_uses_dynamic_stack 0
		.amdhsa_enable_private_segment 0
		.amdhsa_system_sgpr_workgroup_id_x 1
		.amdhsa_system_sgpr_workgroup_id_y 0
		.amdhsa_system_sgpr_workgroup_id_z 0
		.amdhsa_system_sgpr_workgroup_info 0
		.amdhsa_system_vgpr_workitem_id 0
		.amdhsa_next_free_vgpr 1
		.amdhsa_next_free_sgpr 0
		.amdhsa_accum_offset 4
		.amdhsa_reserve_vcc 0
		.amdhsa_float_round_mode_32 0
		.amdhsa_float_round_mode_16_64 0
		.amdhsa_float_denorm_mode_32 3
		.amdhsa_float_denorm_mode_16_64 3
		.amdhsa_dx10_clamp 1
		.amdhsa_ieee_mode 1
		.amdhsa_fp16_overflow 0
		.amdhsa_tg_split 0
		.amdhsa_exception_fp_ieee_invalid_op 0
		.amdhsa_exception_fp_denorm_src 0
		.amdhsa_exception_fp_ieee_div_zero 0
		.amdhsa_exception_fp_ieee_overflow 0
		.amdhsa_exception_fp_ieee_underflow 0
		.amdhsa_exception_fp_ieee_inexact 0
		.amdhsa_exception_int_div_zero 0
	.end_amdhsa_kernel
	.section	.text._ZN7rocprim17ROCPRIM_400000_NS6detail17trampoline_kernelINS0_14default_configENS1_25partition_config_selectorILNS1_17partition_subalgoE2EsNS0_10empty_typeEbEEZZNS1_14partition_implILS5_2ELb0ES3_jN6thrust23THRUST_200600_302600_NS6detail15normal_iteratorINSA_7pointerIsNSA_11hip_rocprim3tagENSA_11use_defaultESG_EEEEPS6_NSA_18transform_iteratorINSA_8identityIsEENSC_INSA_10device_ptrIsEEEESG_SG_EENS0_5tupleIJPsSJ_EEENSR_IJSJ_SJ_EEES6_PlJS6_EEE10hipError_tPvRmT3_T4_T5_T6_T7_T9_mT8_P12ihipStream_tbDpT10_ENKUlT_T0_E_clISt17integral_constantIbLb0EES1F_EEDaS1A_S1B_EUlS1A_E_NS1_11comp_targetILNS1_3genE2ELNS1_11target_archE906ELNS1_3gpuE6ELNS1_3repE0EEENS1_30default_config_static_selectorELNS0_4arch9wavefront6targetE1EEEvT1_,"axG",@progbits,_ZN7rocprim17ROCPRIM_400000_NS6detail17trampoline_kernelINS0_14default_configENS1_25partition_config_selectorILNS1_17partition_subalgoE2EsNS0_10empty_typeEbEEZZNS1_14partition_implILS5_2ELb0ES3_jN6thrust23THRUST_200600_302600_NS6detail15normal_iteratorINSA_7pointerIsNSA_11hip_rocprim3tagENSA_11use_defaultESG_EEEEPS6_NSA_18transform_iteratorINSA_8identityIsEENSC_INSA_10device_ptrIsEEEESG_SG_EENS0_5tupleIJPsSJ_EEENSR_IJSJ_SJ_EEES6_PlJS6_EEE10hipError_tPvRmT3_T4_T5_T6_T7_T9_mT8_P12ihipStream_tbDpT10_ENKUlT_T0_E_clISt17integral_constantIbLb0EES1F_EEDaS1A_S1B_EUlS1A_E_NS1_11comp_targetILNS1_3genE2ELNS1_11target_archE906ELNS1_3gpuE6ELNS1_3repE0EEENS1_30default_config_static_selectorELNS0_4arch9wavefront6targetE1EEEvT1_,comdat
.Lfunc_end549:
	.size	_ZN7rocprim17ROCPRIM_400000_NS6detail17trampoline_kernelINS0_14default_configENS1_25partition_config_selectorILNS1_17partition_subalgoE2EsNS0_10empty_typeEbEEZZNS1_14partition_implILS5_2ELb0ES3_jN6thrust23THRUST_200600_302600_NS6detail15normal_iteratorINSA_7pointerIsNSA_11hip_rocprim3tagENSA_11use_defaultESG_EEEEPS6_NSA_18transform_iteratorINSA_8identityIsEENSC_INSA_10device_ptrIsEEEESG_SG_EENS0_5tupleIJPsSJ_EEENSR_IJSJ_SJ_EEES6_PlJS6_EEE10hipError_tPvRmT3_T4_T5_T6_T7_T9_mT8_P12ihipStream_tbDpT10_ENKUlT_T0_E_clISt17integral_constantIbLb0EES1F_EEDaS1A_S1B_EUlS1A_E_NS1_11comp_targetILNS1_3genE2ELNS1_11target_archE906ELNS1_3gpuE6ELNS1_3repE0EEENS1_30default_config_static_selectorELNS0_4arch9wavefront6targetE1EEEvT1_, .Lfunc_end549-_ZN7rocprim17ROCPRIM_400000_NS6detail17trampoline_kernelINS0_14default_configENS1_25partition_config_selectorILNS1_17partition_subalgoE2EsNS0_10empty_typeEbEEZZNS1_14partition_implILS5_2ELb0ES3_jN6thrust23THRUST_200600_302600_NS6detail15normal_iteratorINSA_7pointerIsNSA_11hip_rocprim3tagENSA_11use_defaultESG_EEEEPS6_NSA_18transform_iteratorINSA_8identityIsEENSC_INSA_10device_ptrIsEEEESG_SG_EENS0_5tupleIJPsSJ_EEENSR_IJSJ_SJ_EEES6_PlJS6_EEE10hipError_tPvRmT3_T4_T5_T6_T7_T9_mT8_P12ihipStream_tbDpT10_ENKUlT_T0_E_clISt17integral_constantIbLb0EES1F_EEDaS1A_S1B_EUlS1A_E_NS1_11comp_targetILNS1_3genE2ELNS1_11target_archE906ELNS1_3gpuE6ELNS1_3repE0EEENS1_30default_config_static_selectorELNS0_4arch9wavefront6targetE1EEEvT1_
                                        ; -- End function
	.section	.AMDGPU.csdata,"",@progbits
; Kernel info:
; codeLenInByte = 0
; NumSgprs: 6
; NumVgprs: 0
; NumAgprs: 0
; TotalNumVgprs: 0
; ScratchSize: 0
; MemoryBound: 0
; FloatMode: 240
; IeeeMode: 1
; LDSByteSize: 0 bytes/workgroup (compile time only)
; SGPRBlocks: 0
; VGPRBlocks: 0
; NumSGPRsForWavesPerEU: 6
; NumVGPRsForWavesPerEU: 1
; AccumOffset: 4
; Occupancy: 8
; WaveLimiterHint : 0
; COMPUTE_PGM_RSRC2:SCRATCH_EN: 0
; COMPUTE_PGM_RSRC2:USER_SGPR: 2
; COMPUTE_PGM_RSRC2:TRAP_HANDLER: 0
; COMPUTE_PGM_RSRC2:TGID_X_EN: 1
; COMPUTE_PGM_RSRC2:TGID_Y_EN: 0
; COMPUTE_PGM_RSRC2:TGID_Z_EN: 0
; COMPUTE_PGM_RSRC2:TIDIG_COMP_CNT: 0
; COMPUTE_PGM_RSRC3_GFX90A:ACCUM_OFFSET: 0
; COMPUTE_PGM_RSRC3_GFX90A:TG_SPLIT: 0
	.section	.text._ZN7rocprim17ROCPRIM_400000_NS6detail17trampoline_kernelINS0_14default_configENS1_25partition_config_selectorILNS1_17partition_subalgoE2EsNS0_10empty_typeEbEEZZNS1_14partition_implILS5_2ELb0ES3_jN6thrust23THRUST_200600_302600_NS6detail15normal_iteratorINSA_7pointerIsNSA_11hip_rocprim3tagENSA_11use_defaultESG_EEEEPS6_NSA_18transform_iteratorINSA_8identityIsEENSC_INSA_10device_ptrIsEEEESG_SG_EENS0_5tupleIJPsSJ_EEENSR_IJSJ_SJ_EEES6_PlJS6_EEE10hipError_tPvRmT3_T4_T5_T6_T7_T9_mT8_P12ihipStream_tbDpT10_ENKUlT_T0_E_clISt17integral_constantIbLb0EES1F_EEDaS1A_S1B_EUlS1A_E_NS1_11comp_targetILNS1_3genE10ELNS1_11target_archE1200ELNS1_3gpuE4ELNS1_3repE0EEENS1_30default_config_static_selectorELNS0_4arch9wavefront6targetE1EEEvT1_,"axG",@progbits,_ZN7rocprim17ROCPRIM_400000_NS6detail17trampoline_kernelINS0_14default_configENS1_25partition_config_selectorILNS1_17partition_subalgoE2EsNS0_10empty_typeEbEEZZNS1_14partition_implILS5_2ELb0ES3_jN6thrust23THRUST_200600_302600_NS6detail15normal_iteratorINSA_7pointerIsNSA_11hip_rocprim3tagENSA_11use_defaultESG_EEEEPS6_NSA_18transform_iteratorINSA_8identityIsEENSC_INSA_10device_ptrIsEEEESG_SG_EENS0_5tupleIJPsSJ_EEENSR_IJSJ_SJ_EEES6_PlJS6_EEE10hipError_tPvRmT3_T4_T5_T6_T7_T9_mT8_P12ihipStream_tbDpT10_ENKUlT_T0_E_clISt17integral_constantIbLb0EES1F_EEDaS1A_S1B_EUlS1A_E_NS1_11comp_targetILNS1_3genE10ELNS1_11target_archE1200ELNS1_3gpuE4ELNS1_3repE0EEENS1_30default_config_static_selectorELNS0_4arch9wavefront6targetE1EEEvT1_,comdat
	.protected	_ZN7rocprim17ROCPRIM_400000_NS6detail17trampoline_kernelINS0_14default_configENS1_25partition_config_selectorILNS1_17partition_subalgoE2EsNS0_10empty_typeEbEEZZNS1_14partition_implILS5_2ELb0ES3_jN6thrust23THRUST_200600_302600_NS6detail15normal_iteratorINSA_7pointerIsNSA_11hip_rocprim3tagENSA_11use_defaultESG_EEEEPS6_NSA_18transform_iteratorINSA_8identityIsEENSC_INSA_10device_ptrIsEEEESG_SG_EENS0_5tupleIJPsSJ_EEENSR_IJSJ_SJ_EEES6_PlJS6_EEE10hipError_tPvRmT3_T4_T5_T6_T7_T9_mT8_P12ihipStream_tbDpT10_ENKUlT_T0_E_clISt17integral_constantIbLb0EES1F_EEDaS1A_S1B_EUlS1A_E_NS1_11comp_targetILNS1_3genE10ELNS1_11target_archE1200ELNS1_3gpuE4ELNS1_3repE0EEENS1_30default_config_static_selectorELNS0_4arch9wavefront6targetE1EEEvT1_ ; -- Begin function _ZN7rocprim17ROCPRIM_400000_NS6detail17trampoline_kernelINS0_14default_configENS1_25partition_config_selectorILNS1_17partition_subalgoE2EsNS0_10empty_typeEbEEZZNS1_14partition_implILS5_2ELb0ES3_jN6thrust23THRUST_200600_302600_NS6detail15normal_iteratorINSA_7pointerIsNSA_11hip_rocprim3tagENSA_11use_defaultESG_EEEEPS6_NSA_18transform_iteratorINSA_8identityIsEENSC_INSA_10device_ptrIsEEEESG_SG_EENS0_5tupleIJPsSJ_EEENSR_IJSJ_SJ_EEES6_PlJS6_EEE10hipError_tPvRmT3_T4_T5_T6_T7_T9_mT8_P12ihipStream_tbDpT10_ENKUlT_T0_E_clISt17integral_constantIbLb0EES1F_EEDaS1A_S1B_EUlS1A_E_NS1_11comp_targetILNS1_3genE10ELNS1_11target_archE1200ELNS1_3gpuE4ELNS1_3repE0EEENS1_30default_config_static_selectorELNS0_4arch9wavefront6targetE1EEEvT1_
	.globl	_ZN7rocprim17ROCPRIM_400000_NS6detail17trampoline_kernelINS0_14default_configENS1_25partition_config_selectorILNS1_17partition_subalgoE2EsNS0_10empty_typeEbEEZZNS1_14partition_implILS5_2ELb0ES3_jN6thrust23THRUST_200600_302600_NS6detail15normal_iteratorINSA_7pointerIsNSA_11hip_rocprim3tagENSA_11use_defaultESG_EEEEPS6_NSA_18transform_iteratorINSA_8identityIsEENSC_INSA_10device_ptrIsEEEESG_SG_EENS0_5tupleIJPsSJ_EEENSR_IJSJ_SJ_EEES6_PlJS6_EEE10hipError_tPvRmT3_T4_T5_T6_T7_T9_mT8_P12ihipStream_tbDpT10_ENKUlT_T0_E_clISt17integral_constantIbLb0EES1F_EEDaS1A_S1B_EUlS1A_E_NS1_11comp_targetILNS1_3genE10ELNS1_11target_archE1200ELNS1_3gpuE4ELNS1_3repE0EEENS1_30default_config_static_selectorELNS0_4arch9wavefront6targetE1EEEvT1_
	.p2align	8
	.type	_ZN7rocprim17ROCPRIM_400000_NS6detail17trampoline_kernelINS0_14default_configENS1_25partition_config_selectorILNS1_17partition_subalgoE2EsNS0_10empty_typeEbEEZZNS1_14partition_implILS5_2ELb0ES3_jN6thrust23THRUST_200600_302600_NS6detail15normal_iteratorINSA_7pointerIsNSA_11hip_rocprim3tagENSA_11use_defaultESG_EEEEPS6_NSA_18transform_iteratorINSA_8identityIsEENSC_INSA_10device_ptrIsEEEESG_SG_EENS0_5tupleIJPsSJ_EEENSR_IJSJ_SJ_EEES6_PlJS6_EEE10hipError_tPvRmT3_T4_T5_T6_T7_T9_mT8_P12ihipStream_tbDpT10_ENKUlT_T0_E_clISt17integral_constantIbLb0EES1F_EEDaS1A_S1B_EUlS1A_E_NS1_11comp_targetILNS1_3genE10ELNS1_11target_archE1200ELNS1_3gpuE4ELNS1_3repE0EEENS1_30default_config_static_selectorELNS0_4arch9wavefront6targetE1EEEvT1_,@function
_ZN7rocprim17ROCPRIM_400000_NS6detail17trampoline_kernelINS0_14default_configENS1_25partition_config_selectorILNS1_17partition_subalgoE2EsNS0_10empty_typeEbEEZZNS1_14partition_implILS5_2ELb0ES3_jN6thrust23THRUST_200600_302600_NS6detail15normal_iteratorINSA_7pointerIsNSA_11hip_rocprim3tagENSA_11use_defaultESG_EEEEPS6_NSA_18transform_iteratorINSA_8identityIsEENSC_INSA_10device_ptrIsEEEESG_SG_EENS0_5tupleIJPsSJ_EEENSR_IJSJ_SJ_EEES6_PlJS6_EEE10hipError_tPvRmT3_T4_T5_T6_T7_T9_mT8_P12ihipStream_tbDpT10_ENKUlT_T0_E_clISt17integral_constantIbLb0EES1F_EEDaS1A_S1B_EUlS1A_E_NS1_11comp_targetILNS1_3genE10ELNS1_11target_archE1200ELNS1_3gpuE4ELNS1_3repE0EEENS1_30default_config_static_selectorELNS0_4arch9wavefront6targetE1EEEvT1_: ; @_ZN7rocprim17ROCPRIM_400000_NS6detail17trampoline_kernelINS0_14default_configENS1_25partition_config_selectorILNS1_17partition_subalgoE2EsNS0_10empty_typeEbEEZZNS1_14partition_implILS5_2ELb0ES3_jN6thrust23THRUST_200600_302600_NS6detail15normal_iteratorINSA_7pointerIsNSA_11hip_rocprim3tagENSA_11use_defaultESG_EEEEPS6_NSA_18transform_iteratorINSA_8identityIsEENSC_INSA_10device_ptrIsEEEESG_SG_EENS0_5tupleIJPsSJ_EEENSR_IJSJ_SJ_EEES6_PlJS6_EEE10hipError_tPvRmT3_T4_T5_T6_T7_T9_mT8_P12ihipStream_tbDpT10_ENKUlT_T0_E_clISt17integral_constantIbLb0EES1F_EEDaS1A_S1B_EUlS1A_E_NS1_11comp_targetILNS1_3genE10ELNS1_11target_archE1200ELNS1_3gpuE4ELNS1_3repE0EEENS1_30default_config_static_selectorELNS0_4arch9wavefront6targetE1EEEvT1_
; %bb.0:
	.section	.rodata,"a",@progbits
	.p2align	6, 0x0
	.amdhsa_kernel _ZN7rocprim17ROCPRIM_400000_NS6detail17trampoline_kernelINS0_14default_configENS1_25partition_config_selectorILNS1_17partition_subalgoE2EsNS0_10empty_typeEbEEZZNS1_14partition_implILS5_2ELb0ES3_jN6thrust23THRUST_200600_302600_NS6detail15normal_iteratorINSA_7pointerIsNSA_11hip_rocprim3tagENSA_11use_defaultESG_EEEEPS6_NSA_18transform_iteratorINSA_8identityIsEENSC_INSA_10device_ptrIsEEEESG_SG_EENS0_5tupleIJPsSJ_EEENSR_IJSJ_SJ_EEES6_PlJS6_EEE10hipError_tPvRmT3_T4_T5_T6_T7_T9_mT8_P12ihipStream_tbDpT10_ENKUlT_T0_E_clISt17integral_constantIbLb0EES1F_EEDaS1A_S1B_EUlS1A_E_NS1_11comp_targetILNS1_3genE10ELNS1_11target_archE1200ELNS1_3gpuE4ELNS1_3repE0EEENS1_30default_config_static_selectorELNS0_4arch9wavefront6targetE1EEEvT1_
		.amdhsa_group_segment_fixed_size 0
		.amdhsa_private_segment_fixed_size 0
		.amdhsa_kernarg_size 128
		.amdhsa_user_sgpr_count 2
		.amdhsa_user_sgpr_dispatch_ptr 0
		.amdhsa_user_sgpr_queue_ptr 0
		.amdhsa_user_sgpr_kernarg_segment_ptr 1
		.amdhsa_user_sgpr_dispatch_id 0
		.amdhsa_user_sgpr_kernarg_preload_length 0
		.amdhsa_user_sgpr_kernarg_preload_offset 0
		.amdhsa_user_sgpr_private_segment_size 0
		.amdhsa_uses_dynamic_stack 0
		.amdhsa_enable_private_segment 0
		.amdhsa_system_sgpr_workgroup_id_x 1
		.amdhsa_system_sgpr_workgroup_id_y 0
		.amdhsa_system_sgpr_workgroup_id_z 0
		.amdhsa_system_sgpr_workgroup_info 0
		.amdhsa_system_vgpr_workitem_id 0
		.amdhsa_next_free_vgpr 1
		.amdhsa_next_free_sgpr 0
		.amdhsa_accum_offset 4
		.amdhsa_reserve_vcc 0
		.amdhsa_float_round_mode_32 0
		.amdhsa_float_round_mode_16_64 0
		.amdhsa_float_denorm_mode_32 3
		.amdhsa_float_denorm_mode_16_64 3
		.amdhsa_dx10_clamp 1
		.amdhsa_ieee_mode 1
		.amdhsa_fp16_overflow 0
		.amdhsa_tg_split 0
		.amdhsa_exception_fp_ieee_invalid_op 0
		.amdhsa_exception_fp_denorm_src 0
		.amdhsa_exception_fp_ieee_div_zero 0
		.amdhsa_exception_fp_ieee_overflow 0
		.amdhsa_exception_fp_ieee_underflow 0
		.amdhsa_exception_fp_ieee_inexact 0
		.amdhsa_exception_int_div_zero 0
	.end_amdhsa_kernel
	.section	.text._ZN7rocprim17ROCPRIM_400000_NS6detail17trampoline_kernelINS0_14default_configENS1_25partition_config_selectorILNS1_17partition_subalgoE2EsNS0_10empty_typeEbEEZZNS1_14partition_implILS5_2ELb0ES3_jN6thrust23THRUST_200600_302600_NS6detail15normal_iteratorINSA_7pointerIsNSA_11hip_rocprim3tagENSA_11use_defaultESG_EEEEPS6_NSA_18transform_iteratorINSA_8identityIsEENSC_INSA_10device_ptrIsEEEESG_SG_EENS0_5tupleIJPsSJ_EEENSR_IJSJ_SJ_EEES6_PlJS6_EEE10hipError_tPvRmT3_T4_T5_T6_T7_T9_mT8_P12ihipStream_tbDpT10_ENKUlT_T0_E_clISt17integral_constantIbLb0EES1F_EEDaS1A_S1B_EUlS1A_E_NS1_11comp_targetILNS1_3genE10ELNS1_11target_archE1200ELNS1_3gpuE4ELNS1_3repE0EEENS1_30default_config_static_selectorELNS0_4arch9wavefront6targetE1EEEvT1_,"axG",@progbits,_ZN7rocprim17ROCPRIM_400000_NS6detail17trampoline_kernelINS0_14default_configENS1_25partition_config_selectorILNS1_17partition_subalgoE2EsNS0_10empty_typeEbEEZZNS1_14partition_implILS5_2ELb0ES3_jN6thrust23THRUST_200600_302600_NS6detail15normal_iteratorINSA_7pointerIsNSA_11hip_rocprim3tagENSA_11use_defaultESG_EEEEPS6_NSA_18transform_iteratorINSA_8identityIsEENSC_INSA_10device_ptrIsEEEESG_SG_EENS0_5tupleIJPsSJ_EEENSR_IJSJ_SJ_EEES6_PlJS6_EEE10hipError_tPvRmT3_T4_T5_T6_T7_T9_mT8_P12ihipStream_tbDpT10_ENKUlT_T0_E_clISt17integral_constantIbLb0EES1F_EEDaS1A_S1B_EUlS1A_E_NS1_11comp_targetILNS1_3genE10ELNS1_11target_archE1200ELNS1_3gpuE4ELNS1_3repE0EEENS1_30default_config_static_selectorELNS0_4arch9wavefront6targetE1EEEvT1_,comdat
.Lfunc_end550:
	.size	_ZN7rocprim17ROCPRIM_400000_NS6detail17trampoline_kernelINS0_14default_configENS1_25partition_config_selectorILNS1_17partition_subalgoE2EsNS0_10empty_typeEbEEZZNS1_14partition_implILS5_2ELb0ES3_jN6thrust23THRUST_200600_302600_NS6detail15normal_iteratorINSA_7pointerIsNSA_11hip_rocprim3tagENSA_11use_defaultESG_EEEEPS6_NSA_18transform_iteratorINSA_8identityIsEENSC_INSA_10device_ptrIsEEEESG_SG_EENS0_5tupleIJPsSJ_EEENSR_IJSJ_SJ_EEES6_PlJS6_EEE10hipError_tPvRmT3_T4_T5_T6_T7_T9_mT8_P12ihipStream_tbDpT10_ENKUlT_T0_E_clISt17integral_constantIbLb0EES1F_EEDaS1A_S1B_EUlS1A_E_NS1_11comp_targetILNS1_3genE10ELNS1_11target_archE1200ELNS1_3gpuE4ELNS1_3repE0EEENS1_30default_config_static_selectorELNS0_4arch9wavefront6targetE1EEEvT1_, .Lfunc_end550-_ZN7rocprim17ROCPRIM_400000_NS6detail17trampoline_kernelINS0_14default_configENS1_25partition_config_selectorILNS1_17partition_subalgoE2EsNS0_10empty_typeEbEEZZNS1_14partition_implILS5_2ELb0ES3_jN6thrust23THRUST_200600_302600_NS6detail15normal_iteratorINSA_7pointerIsNSA_11hip_rocprim3tagENSA_11use_defaultESG_EEEEPS6_NSA_18transform_iteratorINSA_8identityIsEENSC_INSA_10device_ptrIsEEEESG_SG_EENS0_5tupleIJPsSJ_EEENSR_IJSJ_SJ_EEES6_PlJS6_EEE10hipError_tPvRmT3_T4_T5_T6_T7_T9_mT8_P12ihipStream_tbDpT10_ENKUlT_T0_E_clISt17integral_constantIbLb0EES1F_EEDaS1A_S1B_EUlS1A_E_NS1_11comp_targetILNS1_3genE10ELNS1_11target_archE1200ELNS1_3gpuE4ELNS1_3repE0EEENS1_30default_config_static_selectorELNS0_4arch9wavefront6targetE1EEEvT1_
                                        ; -- End function
	.section	.AMDGPU.csdata,"",@progbits
; Kernel info:
; codeLenInByte = 0
; NumSgprs: 6
; NumVgprs: 0
; NumAgprs: 0
; TotalNumVgprs: 0
; ScratchSize: 0
; MemoryBound: 0
; FloatMode: 240
; IeeeMode: 1
; LDSByteSize: 0 bytes/workgroup (compile time only)
; SGPRBlocks: 0
; VGPRBlocks: 0
; NumSGPRsForWavesPerEU: 6
; NumVGPRsForWavesPerEU: 1
; AccumOffset: 4
; Occupancy: 8
; WaveLimiterHint : 0
; COMPUTE_PGM_RSRC2:SCRATCH_EN: 0
; COMPUTE_PGM_RSRC2:USER_SGPR: 2
; COMPUTE_PGM_RSRC2:TRAP_HANDLER: 0
; COMPUTE_PGM_RSRC2:TGID_X_EN: 1
; COMPUTE_PGM_RSRC2:TGID_Y_EN: 0
; COMPUTE_PGM_RSRC2:TGID_Z_EN: 0
; COMPUTE_PGM_RSRC2:TIDIG_COMP_CNT: 0
; COMPUTE_PGM_RSRC3_GFX90A:ACCUM_OFFSET: 0
; COMPUTE_PGM_RSRC3_GFX90A:TG_SPLIT: 0
	.section	.text._ZN7rocprim17ROCPRIM_400000_NS6detail17trampoline_kernelINS0_14default_configENS1_25partition_config_selectorILNS1_17partition_subalgoE2EsNS0_10empty_typeEbEEZZNS1_14partition_implILS5_2ELb0ES3_jN6thrust23THRUST_200600_302600_NS6detail15normal_iteratorINSA_7pointerIsNSA_11hip_rocprim3tagENSA_11use_defaultESG_EEEEPS6_NSA_18transform_iteratorINSA_8identityIsEENSC_INSA_10device_ptrIsEEEESG_SG_EENS0_5tupleIJPsSJ_EEENSR_IJSJ_SJ_EEES6_PlJS6_EEE10hipError_tPvRmT3_T4_T5_T6_T7_T9_mT8_P12ihipStream_tbDpT10_ENKUlT_T0_E_clISt17integral_constantIbLb0EES1F_EEDaS1A_S1B_EUlS1A_E_NS1_11comp_targetILNS1_3genE9ELNS1_11target_archE1100ELNS1_3gpuE3ELNS1_3repE0EEENS1_30default_config_static_selectorELNS0_4arch9wavefront6targetE1EEEvT1_,"axG",@progbits,_ZN7rocprim17ROCPRIM_400000_NS6detail17trampoline_kernelINS0_14default_configENS1_25partition_config_selectorILNS1_17partition_subalgoE2EsNS0_10empty_typeEbEEZZNS1_14partition_implILS5_2ELb0ES3_jN6thrust23THRUST_200600_302600_NS6detail15normal_iteratorINSA_7pointerIsNSA_11hip_rocprim3tagENSA_11use_defaultESG_EEEEPS6_NSA_18transform_iteratorINSA_8identityIsEENSC_INSA_10device_ptrIsEEEESG_SG_EENS0_5tupleIJPsSJ_EEENSR_IJSJ_SJ_EEES6_PlJS6_EEE10hipError_tPvRmT3_T4_T5_T6_T7_T9_mT8_P12ihipStream_tbDpT10_ENKUlT_T0_E_clISt17integral_constantIbLb0EES1F_EEDaS1A_S1B_EUlS1A_E_NS1_11comp_targetILNS1_3genE9ELNS1_11target_archE1100ELNS1_3gpuE3ELNS1_3repE0EEENS1_30default_config_static_selectorELNS0_4arch9wavefront6targetE1EEEvT1_,comdat
	.protected	_ZN7rocprim17ROCPRIM_400000_NS6detail17trampoline_kernelINS0_14default_configENS1_25partition_config_selectorILNS1_17partition_subalgoE2EsNS0_10empty_typeEbEEZZNS1_14partition_implILS5_2ELb0ES3_jN6thrust23THRUST_200600_302600_NS6detail15normal_iteratorINSA_7pointerIsNSA_11hip_rocprim3tagENSA_11use_defaultESG_EEEEPS6_NSA_18transform_iteratorINSA_8identityIsEENSC_INSA_10device_ptrIsEEEESG_SG_EENS0_5tupleIJPsSJ_EEENSR_IJSJ_SJ_EEES6_PlJS6_EEE10hipError_tPvRmT3_T4_T5_T6_T7_T9_mT8_P12ihipStream_tbDpT10_ENKUlT_T0_E_clISt17integral_constantIbLb0EES1F_EEDaS1A_S1B_EUlS1A_E_NS1_11comp_targetILNS1_3genE9ELNS1_11target_archE1100ELNS1_3gpuE3ELNS1_3repE0EEENS1_30default_config_static_selectorELNS0_4arch9wavefront6targetE1EEEvT1_ ; -- Begin function _ZN7rocprim17ROCPRIM_400000_NS6detail17trampoline_kernelINS0_14default_configENS1_25partition_config_selectorILNS1_17partition_subalgoE2EsNS0_10empty_typeEbEEZZNS1_14partition_implILS5_2ELb0ES3_jN6thrust23THRUST_200600_302600_NS6detail15normal_iteratorINSA_7pointerIsNSA_11hip_rocprim3tagENSA_11use_defaultESG_EEEEPS6_NSA_18transform_iteratorINSA_8identityIsEENSC_INSA_10device_ptrIsEEEESG_SG_EENS0_5tupleIJPsSJ_EEENSR_IJSJ_SJ_EEES6_PlJS6_EEE10hipError_tPvRmT3_T4_T5_T6_T7_T9_mT8_P12ihipStream_tbDpT10_ENKUlT_T0_E_clISt17integral_constantIbLb0EES1F_EEDaS1A_S1B_EUlS1A_E_NS1_11comp_targetILNS1_3genE9ELNS1_11target_archE1100ELNS1_3gpuE3ELNS1_3repE0EEENS1_30default_config_static_selectorELNS0_4arch9wavefront6targetE1EEEvT1_
	.globl	_ZN7rocprim17ROCPRIM_400000_NS6detail17trampoline_kernelINS0_14default_configENS1_25partition_config_selectorILNS1_17partition_subalgoE2EsNS0_10empty_typeEbEEZZNS1_14partition_implILS5_2ELb0ES3_jN6thrust23THRUST_200600_302600_NS6detail15normal_iteratorINSA_7pointerIsNSA_11hip_rocprim3tagENSA_11use_defaultESG_EEEEPS6_NSA_18transform_iteratorINSA_8identityIsEENSC_INSA_10device_ptrIsEEEESG_SG_EENS0_5tupleIJPsSJ_EEENSR_IJSJ_SJ_EEES6_PlJS6_EEE10hipError_tPvRmT3_T4_T5_T6_T7_T9_mT8_P12ihipStream_tbDpT10_ENKUlT_T0_E_clISt17integral_constantIbLb0EES1F_EEDaS1A_S1B_EUlS1A_E_NS1_11comp_targetILNS1_3genE9ELNS1_11target_archE1100ELNS1_3gpuE3ELNS1_3repE0EEENS1_30default_config_static_selectorELNS0_4arch9wavefront6targetE1EEEvT1_
	.p2align	8
	.type	_ZN7rocprim17ROCPRIM_400000_NS6detail17trampoline_kernelINS0_14default_configENS1_25partition_config_selectorILNS1_17partition_subalgoE2EsNS0_10empty_typeEbEEZZNS1_14partition_implILS5_2ELb0ES3_jN6thrust23THRUST_200600_302600_NS6detail15normal_iteratorINSA_7pointerIsNSA_11hip_rocprim3tagENSA_11use_defaultESG_EEEEPS6_NSA_18transform_iteratorINSA_8identityIsEENSC_INSA_10device_ptrIsEEEESG_SG_EENS0_5tupleIJPsSJ_EEENSR_IJSJ_SJ_EEES6_PlJS6_EEE10hipError_tPvRmT3_T4_T5_T6_T7_T9_mT8_P12ihipStream_tbDpT10_ENKUlT_T0_E_clISt17integral_constantIbLb0EES1F_EEDaS1A_S1B_EUlS1A_E_NS1_11comp_targetILNS1_3genE9ELNS1_11target_archE1100ELNS1_3gpuE3ELNS1_3repE0EEENS1_30default_config_static_selectorELNS0_4arch9wavefront6targetE1EEEvT1_,@function
_ZN7rocprim17ROCPRIM_400000_NS6detail17trampoline_kernelINS0_14default_configENS1_25partition_config_selectorILNS1_17partition_subalgoE2EsNS0_10empty_typeEbEEZZNS1_14partition_implILS5_2ELb0ES3_jN6thrust23THRUST_200600_302600_NS6detail15normal_iteratorINSA_7pointerIsNSA_11hip_rocprim3tagENSA_11use_defaultESG_EEEEPS6_NSA_18transform_iteratorINSA_8identityIsEENSC_INSA_10device_ptrIsEEEESG_SG_EENS0_5tupleIJPsSJ_EEENSR_IJSJ_SJ_EEES6_PlJS6_EEE10hipError_tPvRmT3_T4_T5_T6_T7_T9_mT8_P12ihipStream_tbDpT10_ENKUlT_T0_E_clISt17integral_constantIbLb0EES1F_EEDaS1A_S1B_EUlS1A_E_NS1_11comp_targetILNS1_3genE9ELNS1_11target_archE1100ELNS1_3gpuE3ELNS1_3repE0EEENS1_30default_config_static_selectorELNS0_4arch9wavefront6targetE1EEEvT1_: ; @_ZN7rocprim17ROCPRIM_400000_NS6detail17trampoline_kernelINS0_14default_configENS1_25partition_config_selectorILNS1_17partition_subalgoE2EsNS0_10empty_typeEbEEZZNS1_14partition_implILS5_2ELb0ES3_jN6thrust23THRUST_200600_302600_NS6detail15normal_iteratorINSA_7pointerIsNSA_11hip_rocprim3tagENSA_11use_defaultESG_EEEEPS6_NSA_18transform_iteratorINSA_8identityIsEENSC_INSA_10device_ptrIsEEEESG_SG_EENS0_5tupleIJPsSJ_EEENSR_IJSJ_SJ_EEES6_PlJS6_EEE10hipError_tPvRmT3_T4_T5_T6_T7_T9_mT8_P12ihipStream_tbDpT10_ENKUlT_T0_E_clISt17integral_constantIbLb0EES1F_EEDaS1A_S1B_EUlS1A_E_NS1_11comp_targetILNS1_3genE9ELNS1_11target_archE1100ELNS1_3gpuE3ELNS1_3repE0EEENS1_30default_config_static_selectorELNS0_4arch9wavefront6targetE1EEEvT1_
; %bb.0:
	.section	.rodata,"a",@progbits
	.p2align	6, 0x0
	.amdhsa_kernel _ZN7rocprim17ROCPRIM_400000_NS6detail17trampoline_kernelINS0_14default_configENS1_25partition_config_selectorILNS1_17partition_subalgoE2EsNS0_10empty_typeEbEEZZNS1_14partition_implILS5_2ELb0ES3_jN6thrust23THRUST_200600_302600_NS6detail15normal_iteratorINSA_7pointerIsNSA_11hip_rocprim3tagENSA_11use_defaultESG_EEEEPS6_NSA_18transform_iteratorINSA_8identityIsEENSC_INSA_10device_ptrIsEEEESG_SG_EENS0_5tupleIJPsSJ_EEENSR_IJSJ_SJ_EEES6_PlJS6_EEE10hipError_tPvRmT3_T4_T5_T6_T7_T9_mT8_P12ihipStream_tbDpT10_ENKUlT_T0_E_clISt17integral_constantIbLb0EES1F_EEDaS1A_S1B_EUlS1A_E_NS1_11comp_targetILNS1_3genE9ELNS1_11target_archE1100ELNS1_3gpuE3ELNS1_3repE0EEENS1_30default_config_static_selectorELNS0_4arch9wavefront6targetE1EEEvT1_
		.amdhsa_group_segment_fixed_size 0
		.amdhsa_private_segment_fixed_size 0
		.amdhsa_kernarg_size 128
		.amdhsa_user_sgpr_count 2
		.amdhsa_user_sgpr_dispatch_ptr 0
		.amdhsa_user_sgpr_queue_ptr 0
		.amdhsa_user_sgpr_kernarg_segment_ptr 1
		.amdhsa_user_sgpr_dispatch_id 0
		.amdhsa_user_sgpr_kernarg_preload_length 0
		.amdhsa_user_sgpr_kernarg_preload_offset 0
		.amdhsa_user_sgpr_private_segment_size 0
		.amdhsa_uses_dynamic_stack 0
		.amdhsa_enable_private_segment 0
		.amdhsa_system_sgpr_workgroup_id_x 1
		.amdhsa_system_sgpr_workgroup_id_y 0
		.amdhsa_system_sgpr_workgroup_id_z 0
		.amdhsa_system_sgpr_workgroup_info 0
		.amdhsa_system_vgpr_workitem_id 0
		.amdhsa_next_free_vgpr 1
		.amdhsa_next_free_sgpr 0
		.amdhsa_accum_offset 4
		.amdhsa_reserve_vcc 0
		.amdhsa_float_round_mode_32 0
		.amdhsa_float_round_mode_16_64 0
		.amdhsa_float_denorm_mode_32 3
		.amdhsa_float_denorm_mode_16_64 3
		.amdhsa_dx10_clamp 1
		.amdhsa_ieee_mode 1
		.amdhsa_fp16_overflow 0
		.amdhsa_tg_split 0
		.amdhsa_exception_fp_ieee_invalid_op 0
		.amdhsa_exception_fp_denorm_src 0
		.amdhsa_exception_fp_ieee_div_zero 0
		.amdhsa_exception_fp_ieee_overflow 0
		.amdhsa_exception_fp_ieee_underflow 0
		.amdhsa_exception_fp_ieee_inexact 0
		.amdhsa_exception_int_div_zero 0
	.end_amdhsa_kernel
	.section	.text._ZN7rocprim17ROCPRIM_400000_NS6detail17trampoline_kernelINS0_14default_configENS1_25partition_config_selectorILNS1_17partition_subalgoE2EsNS0_10empty_typeEbEEZZNS1_14partition_implILS5_2ELb0ES3_jN6thrust23THRUST_200600_302600_NS6detail15normal_iteratorINSA_7pointerIsNSA_11hip_rocprim3tagENSA_11use_defaultESG_EEEEPS6_NSA_18transform_iteratorINSA_8identityIsEENSC_INSA_10device_ptrIsEEEESG_SG_EENS0_5tupleIJPsSJ_EEENSR_IJSJ_SJ_EEES6_PlJS6_EEE10hipError_tPvRmT3_T4_T5_T6_T7_T9_mT8_P12ihipStream_tbDpT10_ENKUlT_T0_E_clISt17integral_constantIbLb0EES1F_EEDaS1A_S1B_EUlS1A_E_NS1_11comp_targetILNS1_3genE9ELNS1_11target_archE1100ELNS1_3gpuE3ELNS1_3repE0EEENS1_30default_config_static_selectorELNS0_4arch9wavefront6targetE1EEEvT1_,"axG",@progbits,_ZN7rocprim17ROCPRIM_400000_NS6detail17trampoline_kernelINS0_14default_configENS1_25partition_config_selectorILNS1_17partition_subalgoE2EsNS0_10empty_typeEbEEZZNS1_14partition_implILS5_2ELb0ES3_jN6thrust23THRUST_200600_302600_NS6detail15normal_iteratorINSA_7pointerIsNSA_11hip_rocprim3tagENSA_11use_defaultESG_EEEEPS6_NSA_18transform_iteratorINSA_8identityIsEENSC_INSA_10device_ptrIsEEEESG_SG_EENS0_5tupleIJPsSJ_EEENSR_IJSJ_SJ_EEES6_PlJS6_EEE10hipError_tPvRmT3_T4_T5_T6_T7_T9_mT8_P12ihipStream_tbDpT10_ENKUlT_T0_E_clISt17integral_constantIbLb0EES1F_EEDaS1A_S1B_EUlS1A_E_NS1_11comp_targetILNS1_3genE9ELNS1_11target_archE1100ELNS1_3gpuE3ELNS1_3repE0EEENS1_30default_config_static_selectorELNS0_4arch9wavefront6targetE1EEEvT1_,comdat
.Lfunc_end551:
	.size	_ZN7rocprim17ROCPRIM_400000_NS6detail17trampoline_kernelINS0_14default_configENS1_25partition_config_selectorILNS1_17partition_subalgoE2EsNS0_10empty_typeEbEEZZNS1_14partition_implILS5_2ELb0ES3_jN6thrust23THRUST_200600_302600_NS6detail15normal_iteratorINSA_7pointerIsNSA_11hip_rocprim3tagENSA_11use_defaultESG_EEEEPS6_NSA_18transform_iteratorINSA_8identityIsEENSC_INSA_10device_ptrIsEEEESG_SG_EENS0_5tupleIJPsSJ_EEENSR_IJSJ_SJ_EEES6_PlJS6_EEE10hipError_tPvRmT3_T4_T5_T6_T7_T9_mT8_P12ihipStream_tbDpT10_ENKUlT_T0_E_clISt17integral_constantIbLb0EES1F_EEDaS1A_S1B_EUlS1A_E_NS1_11comp_targetILNS1_3genE9ELNS1_11target_archE1100ELNS1_3gpuE3ELNS1_3repE0EEENS1_30default_config_static_selectorELNS0_4arch9wavefront6targetE1EEEvT1_, .Lfunc_end551-_ZN7rocprim17ROCPRIM_400000_NS6detail17trampoline_kernelINS0_14default_configENS1_25partition_config_selectorILNS1_17partition_subalgoE2EsNS0_10empty_typeEbEEZZNS1_14partition_implILS5_2ELb0ES3_jN6thrust23THRUST_200600_302600_NS6detail15normal_iteratorINSA_7pointerIsNSA_11hip_rocprim3tagENSA_11use_defaultESG_EEEEPS6_NSA_18transform_iteratorINSA_8identityIsEENSC_INSA_10device_ptrIsEEEESG_SG_EENS0_5tupleIJPsSJ_EEENSR_IJSJ_SJ_EEES6_PlJS6_EEE10hipError_tPvRmT3_T4_T5_T6_T7_T9_mT8_P12ihipStream_tbDpT10_ENKUlT_T0_E_clISt17integral_constantIbLb0EES1F_EEDaS1A_S1B_EUlS1A_E_NS1_11comp_targetILNS1_3genE9ELNS1_11target_archE1100ELNS1_3gpuE3ELNS1_3repE0EEENS1_30default_config_static_selectorELNS0_4arch9wavefront6targetE1EEEvT1_
                                        ; -- End function
	.section	.AMDGPU.csdata,"",@progbits
; Kernel info:
; codeLenInByte = 0
; NumSgprs: 6
; NumVgprs: 0
; NumAgprs: 0
; TotalNumVgprs: 0
; ScratchSize: 0
; MemoryBound: 0
; FloatMode: 240
; IeeeMode: 1
; LDSByteSize: 0 bytes/workgroup (compile time only)
; SGPRBlocks: 0
; VGPRBlocks: 0
; NumSGPRsForWavesPerEU: 6
; NumVGPRsForWavesPerEU: 1
; AccumOffset: 4
; Occupancy: 8
; WaveLimiterHint : 0
; COMPUTE_PGM_RSRC2:SCRATCH_EN: 0
; COMPUTE_PGM_RSRC2:USER_SGPR: 2
; COMPUTE_PGM_RSRC2:TRAP_HANDLER: 0
; COMPUTE_PGM_RSRC2:TGID_X_EN: 1
; COMPUTE_PGM_RSRC2:TGID_Y_EN: 0
; COMPUTE_PGM_RSRC2:TGID_Z_EN: 0
; COMPUTE_PGM_RSRC2:TIDIG_COMP_CNT: 0
; COMPUTE_PGM_RSRC3_GFX90A:ACCUM_OFFSET: 0
; COMPUTE_PGM_RSRC3_GFX90A:TG_SPLIT: 0
	.section	.text._ZN7rocprim17ROCPRIM_400000_NS6detail17trampoline_kernelINS0_14default_configENS1_25partition_config_selectorILNS1_17partition_subalgoE2EsNS0_10empty_typeEbEEZZNS1_14partition_implILS5_2ELb0ES3_jN6thrust23THRUST_200600_302600_NS6detail15normal_iteratorINSA_7pointerIsNSA_11hip_rocprim3tagENSA_11use_defaultESG_EEEEPS6_NSA_18transform_iteratorINSA_8identityIsEENSC_INSA_10device_ptrIsEEEESG_SG_EENS0_5tupleIJPsSJ_EEENSR_IJSJ_SJ_EEES6_PlJS6_EEE10hipError_tPvRmT3_T4_T5_T6_T7_T9_mT8_P12ihipStream_tbDpT10_ENKUlT_T0_E_clISt17integral_constantIbLb0EES1F_EEDaS1A_S1B_EUlS1A_E_NS1_11comp_targetILNS1_3genE8ELNS1_11target_archE1030ELNS1_3gpuE2ELNS1_3repE0EEENS1_30default_config_static_selectorELNS0_4arch9wavefront6targetE1EEEvT1_,"axG",@progbits,_ZN7rocprim17ROCPRIM_400000_NS6detail17trampoline_kernelINS0_14default_configENS1_25partition_config_selectorILNS1_17partition_subalgoE2EsNS0_10empty_typeEbEEZZNS1_14partition_implILS5_2ELb0ES3_jN6thrust23THRUST_200600_302600_NS6detail15normal_iteratorINSA_7pointerIsNSA_11hip_rocprim3tagENSA_11use_defaultESG_EEEEPS6_NSA_18transform_iteratorINSA_8identityIsEENSC_INSA_10device_ptrIsEEEESG_SG_EENS0_5tupleIJPsSJ_EEENSR_IJSJ_SJ_EEES6_PlJS6_EEE10hipError_tPvRmT3_T4_T5_T6_T7_T9_mT8_P12ihipStream_tbDpT10_ENKUlT_T0_E_clISt17integral_constantIbLb0EES1F_EEDaS1A_S1B_EUlS1A_E_NS1_11comp_targetILNS1_3genE8ELNS1_11target_archE1030ELNS1_3gpuE2ELNS1_3repE0EEENS1_30default_config_static_selectorELNS0_4arch9wavefront6targetE1EEEvT1_,comdat
	.protected	_ZN7rocprim17ROCPRIM_400000_NS6detail17trampoline_kernelINS0_14default_configENS1_25partition_config_selectorILNS1_17partition_subalgoE2EsNS0_10empty_typeEbEEZZNS1_14partition_implILS5_2ELb0ES3_jN6thrust23THRUST_200600_302600_NS6detail15normal_iteratorINSA_7pointerIsNSA_11hip_rocprim3tagENSA_11use_defaultESG_EEEEPS6_NSA_18transform_iteratorINSA_8identityIsEENSC_INSA_10device_ptrIsEEEESG_SG_EENS0_5tupleIJPsSJ_EEENSR_IJSJ_SJ_EEES6_PlJS6_EEE10hipError_tPvRmT3_T4_T5_T6_T7_T9_mT8_P12ihipStream_tbDpT10_ENKUlT_T0_E_clISt17integral_constantIbLb0EES1F_EEDaS1A_S1B_EUlS1A_E_NS1_11comp_targetILNS1_3genE8ELNS1_11target_archE1030ELNS1_3gpuE2ELNS1_3repE0EEENS1_30default_config_static_selectorELNS0_4arch9wavefront6targetE1EEEvT1_ ; -- Begin function _ZN7rocprim17ROCPRIM_400000_NS6detail17trampoline_kernelINS0_14default_configENS1_25partition_config_selectorILNS1_17partition_subalgoE2EsNS0_10empty_typeEbEEZZNS1_14partition_implILS5_2ELb0ES3_jN6thrust23THRUST_200600_302600_NS6detail15normal_iteratorINSA_7pointerIsNSA_11hip_rocprim3tagENSA_11use_defaultESG_EEEEPS6_NSA_18transform_iteratorINSA_8identityIsEENSC_INSA_10device_ptrIsEEEESG_SG_EENS0_5tupleIJPsSJ_EEENSR_IJSJ_SJ_EEES6_PlJS6_EEE10hipError_tPvRmT3_T4_T5_T6_T7_T9_mT8_P12ihipStream_tbDpT10_ENKUlT_T0_E_clISt17integral_constantIbLb0EES1F_EEDaS1A_S1B_EUlS1A_E_NS1_11comp_targetILNS1_3genE8ELNS1_11target_archE1030ELNS1_3gpuE2ELNS1_3repE0EEENS1_30default_config_static_selectorELNS0_4arch9wavefront6targetE1EEEvT1_
	.globl	_ZN7rocprim17ROCPRIM_400000_NS6detail17trampoline_kernelINS0_14default_configENS1_25partition_config_selectorILNS1_17partition_subalgoE2EsNS0_10empty_typeEbEEZZNS1_14partition_implILS5_2ELb0ES3_jN6thrust23THRUST_200600_302600_NS6detail15normal_iteratorINSA_7pointerIsNSA_11hip_rocprim3tagENSA_11use_defaultESG_EEEEPS6_NSA_18transform_iteratorINSA_8identityIsEENSC_INSA_10device_ptrIsEEEESG_SG_EENS0_5tupleIJPsSJ_EEENSR_IJSJ_SJ_EEES6_PlJS6_EEE10hipError_tPvRmT3_T4_T5_T6_T7_T9_mT8_P12ihipStream_tbDpT10_ENKUlT_T0_E_clISt17integral_constantIbLb0EES1F_EEDaS1A_S1B_EUlS1A_E_NS1_11comp_targetILNS1_3genE8ELNS1_11target_archE1030ELNS1_3gpuE2ELNS1_3repE0EEENS1_30default_config_static_selectorELNS0_4arch9wavefront6targetE1EEEvT1_
	.p2align	8
	.type	_ZN7rocprim17ROCPRIM_400000_NS6detail17trampoline_kernelINS0_14default_configENS1_25partition_config_selectorILNS1_17partition_subalgoE2EsNS0_10empty_typeEbEEZZNS1_14partition_implILS5_2ELb0ES3_jN6thrust23THRUST_200600_302600_NS6detail15normal_iteratorINSA_7pointerIsNSA_11hip_rocprim3tagENSA_11use_defaultESG_EEEEPS6_NSA_18transform_iteratorINSA_8identityIsEENSC_INSA_10device_ptrIsEEEESG_SG_EENS0_5tupleIJPsSJ_EEENSR_IJSJ_SJ_EEES6_PlJS6_EEE10hipError_tPvRmT3_T4_T5_T6_T7_T9_mT8_P12ihipStream_tbDpT10_ENKUlT_T0_E_clISt17integral_constantIbLb0EES1F_EEDaS1A_S1B_EUlS1A_E_NS1_11comp_targetILNS1_3genE8ELNS1_11target_archE1030ELNS1_3gpuE2ELNS1_3repE0EEENS1_30default_config_static_selectorELNS0_4arch9wavefront6targetE1EEEvT1_,@function
_ZN7rocprim17ROCPRIM_400000_NS6detail17trampoline_kernelINS0_14default_configENS1_25partition_config_selectorILNS1_17partition_subalgoE2EsNS0_10empty_typeEbEEZZNS1_14partition_implILS5_2ELb0ES3_jN6thrust23THRUST_200600_302600_NS6detail15normal_iteratorINSA_7pointerIsNSA_11hip_rocprim3tagENSA_11use_defaultESG_EEEEPS6_NSA_18transform_iteratorINSA_8identityIsEENSC_INSA_10device_ptrIsEEEESG_SG_EENS0_5tupleIJPsSJ_EEENSR_IJSJ_SJ_EEES6_PlJS6_EEE10hipError_tPvRmT3_T4_T5_T6_T7_T9_mT8_P12ihipStream_tbDpT10_ENKUlT_T0_E_clISt17integral_constantIbLb0EES1F_EEDaS1A_S1B_EUlS1A_E_NS1_11comp_targetILNS1_3genE8ELNS1_11target_archE1030ELNS1_3gpuE2ELNS1_3repE0EEENS1_30default_config_static_selectorELNS0_4arch9wavefront6targetE1EEEvT1_: ; @_ZN7rocprim17ROCPRIM_400000_NS6detail17trampoline_kernelINS0_14default_configENS1_25partition_config_selectorILNS1_17partition_subalgoE2EsNS0_10empty_typeEbEEZZNS1_14partition_implILS5_2ELb0ES3_jN6thrust23THRUST_200600_302600_NS6detail15normal_iteratorINSA_7pointerIsNSA_11hip_rocprim3tagENSA_11use_defaultESG_EEEEPS6_NSA_18transform_iteratorINSA_8identityIsEENSC_INSA_10device_ptrIsEEEESG_SG_EENS0_5tupleIJPsSJ_EEENSR_IJSJ_SJ_EEES6_PlJS6_EEE10hipError_tPvRmT3_T4_T5_T6_T7_T9_mT8_P12ihipStream_tbDpT10_ENKUlT_T0_E_clISt17integral_constantIbLb0EES1F_EEDaS1A_S1B_EUlS1A_E_NS1_11comp_targetILNS1_3genE8ELNS1_11target_archE1030ELNS1_3gpuE2ELNS1_3repE0EEENS1_30default_config_static_selectorELNS0_4arch9wavefront6targetE1EEEvT1_
; %bb.0:
	.section	.rodata,"a",@progbits
	.p2align	6, 0x0
	.amdhsa_kernel _ZN7rocprim17ROCPRIM_400000_NS6detail17trampoline_kernelINS0_14default_configENS1_25partition_config_selectorILNS1_17partition_subalgoE2EsNS0_10empty_typeEbEEZZNS1_14partition_implILS5_2ELb0ES3_jN6thrust23THRUST_200600_302600_NS6detail15normal_iteratorINSA_7pointerIsNSA_11hip_rocprim3tagENSA_11use_defaultESG_EEEEPS6_NSA_18transform_iteratorINSA_8identityIsEENSC_INSA_10device_ptrIsEEEESG_SG_EENS0_5tupleIJPsSJ_EEENSR_IJSJ_SJ_EEES6_PlJS6_EEE10hipError_tPvRmT3_T4_T5_T6_T7_T9_mT8_P12ihipStream_tbDpT10_ENKUlT_T0_E_clISt17integral_constantIbLb0EES1F_EEDaS1A_S1B_EUlS1A_E_NS1_11comp_targetILNS1_3genE8ELNS1_11target_archE1030ELNS1_3gpuE2ELNS1_3repE0EEENS1_30default_config_static_selectorELNS0_4arch9wavefront6targetE1EEEvT1_
		.amdhsa_group_segment_fixed_size 0
		.amdhsa_private_segment_fixed_size 0
		.amdhsa_kernarg_size 128
		.amdhsa_user_sgpr_count 2
		.amdhsa_user_sgpr_dispatch_ptr 0
		.amdhsa_user_sgpr_queue_ptr 0
		.amdhsa_user_sgpr_kernarg_segment_ptr 1
		.amdhsa_user_sgpr_dispatch_id 0
		.amdhsa_user_sgpr_kernarg_preload_length 0
		.amdhsa_user_sgpr_kernarg_preload_offset 0
		.amdhsa_user_sgpr_private_segment_size 0
		.amdhsa_uses_dynamic_stack 0
		.amdhsa_enable_private_segment 0
		.amdhsa_system_sgpr_workgroup_id_x 1
		.amdhsa_system_sgpr_workgroup_id_y 0
		.amdhsa_system_sgpr_workgroup_id_z 0
		.amdhsa_system_sgpr_workgroup_info 0
		.amdhsa_system_vgpr_workitem_id 0
		.amdhsa_next_free_vgpr 1
		.amdhsa_next_free_sgpr 0
		.amdhsa_accum_offset 4
		.amdhsa_reserve_vcc 0
		.amdhsa_float_round_mode_32 0
		.amdhsa_float_round_mode_16_64 0
		.amdhsa_float_denorm_mode_32 3
		.amdhsa_float_denorm_mode_16_64 3
		.amdhsa_dx10_clamp 1
		.amdhsa_ieee_mode 1
		.amdhsa_fp16_overflow 0
		.amdhsa_tg_split 0
		.amdhsa_exception_fp_ieee_invalid_op 0
		.amdhsa_exception_fp_denorm_src 0
		.amdhsa_exception_fp_ieee_div_zero 0
		.amdhsa_exception_fp_ieee_overflow 0
		.amdhsa_exception_fp_ieee_underflow 0
		.amdhsa_exception_fp_ieee_inexact 0
		.amdhsa_exception_int_div_zero 0
	.end_amdhsa_kernel
	.section	.text._ZN7rocprim17ROCPRIM_400000_NS6detail17trampoline_kernelINS0_14default_configENS1_25partition_config_selectorILNS1_17partition_subalgoE2EsNS0_10empty_typeEbEEZZNS1_14partition_implILS5_2ELb0ES3_jN6thrust23THRUST_200600_302600_NS6detail15normal_iteratorINSA_7pointerIsNSA_11hip_rocprim3tagENSA_11use_defaultESG_EEEEPS6_NSA_18transform_iteratorINSA_8identityIsEENSC_INSA_10device_ptrIsEEEESG_SG_EENS0_5tupleIJPsSJ_EEENSR_IJSJ_SJ_EEES6_PlJS6_EEE10hipError_tPvRmT3_T4_T5_T6_T7_T9_mT8_P12ihipStream_tbDpT10_ENKUlT_T0_E_clISt17integral_constantIbLb0EES1F_EEDaS1A_S1B_EUlS1A_E_NS1_11comp_targetILNS1_3genE8ELNS1_11target_archE1030ELNS1_3gpuE2ELNS1_3repE0EEENS1_30default_config_static_selectorELNS0_4arch9wavefront6targetE1EEEvT1_,"axG",@progbits,_ZN7rocprim17ROCPRIM_400000_NS6detail17trampoline_kernelINS0_14default_configENS1_25partition_config_selectorILNS1_17partition_subalgoE2EsNS0_10empty_typeEbEEZZNS1_14partition_implILS5_2ELb0ES3_jN6thrust23THRUST_200600_302600_NS6detail15normal_iteratorINSA_7pointerIsNSA_11hip_rocprim3tagENSA_11use_defaultESG_EEEEPS6_NSA_18transform_iteratorINSA_8identityIsEENSC_INSA_10device_ptrIsEEEESG_SG_EENS0_5tupleIJPsSJ_EEENSR_IJSJ_SJ_EEES6_PlJS6_EEE10hipError_tPvRmT3_T4_T5_T6_T7_T9_mT8_P12ihipStream_tbDpT10_ENKUlT_T0_E_clISt17integral_constantIbLb0EES1F_EEDaS1A_S1B_EUlS1A_E_NS1_11comp_targetILNS1_3genE8ELNS1_11target_archE1030ELNS1_3gpuE2ELNS1_3repE0EEENS1_30default_config_static_selectorELNS0_4arch9wavefront6targetE1EEEvT1_,comdat
.Lfunc_end552:
	.size	_ZN7rocprim17ROCPRIM_400000_NS6detail17trampoline_kernelINS0_14default_configENS1_25partition_config_selectorILNS1_17partition_subalgoE2EsNS0_10empty_typeEbEEZZNS1_14partition_implILS5_2ELb0ES3_jN6thrust23THRUST_200600_302600_NS6detail15normal_iteratorINSA_7pointerIsNSA_11hip_rocprim3tagENSA_11use_defaultESG_EEEEPS6_NSA_18transform_iteratorINSA_8identityIsEENSC_INSA_10device_ptrIsEEEESG_SG_EENS0_5tupleIJPsSJ_EEENSR_IJSJ_SJ_EEES6_PlJS6_EEE10hipError_tPvRmT3_T4_T5_T6_T7_T9_mT8_P12ihipStream_tbDpT10_ENKUlT_T0_E_clISt17integral_constantIbLb0EES1F_EEDaS1A_S1B_EUlS1A_E_NS1_11comp_targetILNS1_3genE8ELNS1_11target_archE1030ELNS1_3gpuE2ELNS1_3repE0EEENS1_30default_config_static_selectorELNS0_4arch9wavefront6targetE1EEEvT1_, .Lfunc_end552-_ZN7rocprim17ROCPRIM_400000_NS6detail17trampoline_kernelINS0_14default_configENS1_25partition_config_selectorILNS1_17partition_subalgoE2EsNS0_10empty_typeEbEEZZNS1_14partition_implILS5_2ELb0ES3_jN6thrust23THRUST_200600_302600_NS6detail15normal_iteratorINSA_7pointerIsNSA_11hip_rocprim3tagENSA_11use_defaultESG_EEEEPS6_NSA_18transform_iteratorINSA_8identityIsEENSC_INSA_10device_ptrIsEEEESG_SG_EENS0_5tupleIJPsSJ_EEENSR_IJSJ_SJ_EEES6_PlJS6_EEE10hipError_tPvRmT3_T4_T5_T6_T7_T9_mT8_P12ihipStream_tbDpT10_ENKUlT_T0_E_clISt17integral_constantIbLb0EES1F_EEDaS1A_S1B_EUlS1A_E_NS1_11comp_targetILNS1_3genE8ELNS1_11target_archE1030ELNS1_3gpuE2ELNS1_3repE0EEENS1_30default_config_static_selectorELNS0_4arch9wavefront6targetE1EEEvT1_
                                        ; -- End function
	.section	.AMDGPU.csdata,"",@progbits
; Kernel info:
; codeLenInByte = 0
; NumSgprs: 6
; NumVgprs: 0
; NumAgprs: 0
; TotalNumVgprs: 0
; ScratchSize: 0
; MemoryBound: 0
; FloatMode: 240
; IeeeMode: 1
; LDSByteSize: 0 bytes/workgroup (compile time only)
; SGPRBlocks: 0
; VGPRBlocks: 0
; NumSGPRsForWavesPerEU: 6
; NumVGPRsForWavesPerEU: 1
; AccumOffset: 4
; Occupancy: 8
; WaveLimiterHint : 0
; COMPUTE_PGM_RSRC2:SCRATCH_EN: 0
; COMPUTE_PGM_RSRC2:USER_SGPR: 2
; COMPUTE_PGM_RSRC2:TRAP_HANDLER: 0
; COMPUTE_PGM_RSRC2:TGID_X_EN: 1
; COMPUTE_PGM_RSRC2:TGID_Y_EN: 0
; COMPUTE_PGM_RSRC2:TGID_Z_EN: 0
; COMPUTE_PGM_RSRC2:TIDIG_COMP_CNT: 0
; COMPUTE_PGM_RSRC3_GFX90A:ACCUM_OFFSET: 0
; COMPUTE_PGM_RSRC3_GFX90A:TG_SPLIT: 0
	.section	.text._ZN7rocprim17ROCPRIM_400000_NS6detail17trampoline_kernelINS0_14default_configENS1_25partition_config_selectorILNS1_17partition_subalgoE2EsNS0_10empty_typeEbEEZZNS1_14partition_implILS5_2ELb0ES3_jN6thrust23THRUST_200600_302600_NS6detail15normal_iteratorINSA_7pointerIsNSA_11hip_rocprim3tagENSA_11use_defaultESG_EEEEPS6_NSA_18transform_iteratorINSA_8identityIsEENSC_INSA_10device_ptrIsEEEESG_SG_EENS0_5tupleIJPsSJ_EEENSR_IJSJ_SJ_EEES6_PlJS6_EEE10hipError_tPvRmT3_T4_T5_T6_T7_T9_mT8_P12ihipStream_tbDpT10_ENKUlT_T0_E_clISt17integral_constantIbLb1EES1F_EEDaS1A_S1B_EUlS1A_E_NS1_11comp_targetILNS1_3genE0ELNS1_11target_archE4294967295ELNS1_3gpuE0ELNS1_3repE0EEENS1_30default_config_static_selectorELNS0_4arch9wavefront6targetE1EEEvT1_,"axG",@progbits,_ZN7rocprim17ROCPRIM_400000_NS6detail17trampoline_kernelINS0_14default_configENS1_25partition_config_selectorILNS1_17partition_subalgoE2EsNS0_10empty_typeEbEEZZNS1_14partition_implILS5_2ELb0ES3_jN6thrust23THRUST_200600_302600_NS6detail15normal_iteratorINSA_7pointerIsNSA_11hip_rocprim3tagENSA_11use_defaultESG_EEEEPS6_NSA_18transform_iteratorINSA_8identityIsEENSC_INSA_10device_ptrIsEEEESG_SG_EENS0_5tupleIJPsSJ_EEENSR_IJSJ_SJ_EEES6_PlJS6_EEE10hipError_tPvRmT3_T4_T5_T6_T7_T9_mT8_P12ihipStream_tbDpT10_ENKUlT_T0_E_clISt17integral_constantIbLb1EES1F_EEDaS1A_S1B_EUlS1A_E_NS1_11comp_targetILNS1_3genE0ELNS1_11target_archE4294967295ELNS1_3gpuE0ELNS1_3repE0EEENS1_30default_config_static_selectorELNS0_4arch9wavefront6targetE1EEEvT1_,comdat
	.protected	_ZN7rocprim17ROCPRIM_400000_NS6detail17trampoline_kernelINS0_14default_configENS1_25partition_config_selectorILNS1_17partition_subalgoE2EsNS0_10empty_typeEbEEZZNS1_14partition_implILS5_2ELb0ES3_jN6thrust23THRUST_200600_302600_NS6detail15normal_iteratorINSA_7pointerIsNSA_11hip_rocprim3tagENSA_11use_defaultESG_EEEEPS6_NSA_18transform_iteratorINSA_8identityIsEENSC_INSA_10device_ptrIsEEEESG_SG_EENS0_5tupleIJPsSJ_EEENSR_IJSJ_SJ_EEES6_PlJS6_EEE10hipError_tPvRmT3_T4_T5_T6_T7_T9_mT8_P12ihipStream_tbDpT10_ENKUlT_T0_E_clISt17integral_constantIbLb1EES1F_EEDaS1A_S1B_EUlS1A_E_NS1_11comp_targetILNS1_3genE0ELNS1_11target_archE4294967295ELNS1_3gpuE0ELNS1_3repE0EEENS1_30default_config_static_selectorELNS0_4arch9wavefront6targetE1EEEvT1_ ; -- Begin function _ZN7rocprim17ROCPRIM_400000_NS6detail17trampoline_kernelINS0_14default_configENS1_25partition_config_selectorILNS1_17partition_subalgoE2EsNS0_10empty_typeEbEEZZNS1_14partition_implILS5_2ELb0ES3_jN6thrust23THRUST_200600_302600_NS6detail15normal_iteratorINSA_7pointerIsNSA_11hip_rocprim3tagENSA_11use_defaultESG_EEEEPS6_NSA_18transform_iteratorINSA_8identityIsEENSC_INSA_10device_ptrIsEEEESG_SG_EENS0_5tupleIJPsSJ_EEENSR_IJSJ_SJ_EEES6_PlJS6_EEE10hipError_tPvRmT3_T4_T5_T6_T7_T9_mT8_P12ihipStream_tbDpT10_ENKUlT_T0_E_clISt17integral_constantIbLb1EES1F_EEDaS1A_S1B_EUlS1A_E_NS1_11comp_targetILNS1_3genE0ELNS1_11target_archE4294967295ELNS1_3gpuE0ELNS1_3repE0EEENS1_30default_config_static_selectorELNS0_4arch9wavefront6targetE1EEEvT1_
	.globl	_ZN7rocprim17ROCPRIM_400000_NS6detail17trampoline_kernelINS0_14default_configENS1_25partition_config_selectorILNS1_17partition_subalgoE2EsNS0_10empty_typeEbEEZZNS1_14partition_implILS5_2ELb0ES3_jN6thrust23THRUST_200600_302600_NS6detail15normal_iteratorINSA_7pointerIsNSA_11hip_rocprim3tagENSA_11use_defaultESG_EEEEPS6_NSA_18transform_iteratorINSA_8identityIsEENSC_INSA_10device_ptrIsEEEESG_SG_EENS0_5tupleIJPsSJ_EEENSR_IJSJ_SJ_EEES6_PlJS6_EEE10hipError_tPvRmT3_T4_T5_T6_T7_T9_mT8_P12ihipStream_tbDpT10_ENKUlT_T0_E_clISt17integral_constantIbLb1EES1F_EEDaS1A_S1B_EUlS1A_E_NS1_11comp_targetILNS1_3genE0ELNS1_11target_archE4294967295ELNS1_3gpuE0ELNS1_3repE0EEENS1_30default_config_static_selectorELNS0_4arch9wavefront6targetE1EEEvT1_
	.p2align	8
	.type	_ZN7rocprim17ROCPRIM_400000_NS6detail17trampoline_kernelINS0_14default_configENS1_25partition_config_selectorILNS1_17partition_subalgoE2EsNS0_10empty_typeEbEEZZNS1_14partition_implILS5_2ELb0ES3_jN6thrust23THRUST_200600_302600_NS6detail15normal_iteratorINSA_7pointerIsNSA_11hip_rocprim3tagENSA_11use_defaultESG_EEEEPS6_NSA_18transform_iteratorINSA_8identityIsEENSC_INSA_10device_ptrIsEEEESG_SG_EENS0_5tupleIJPsSJ_EEENSR_IJSJ_SJ_EEES6_PlJS6_EEE10hipError_tPvRmT3_T4_T5_T6_T7_T9_mT8_P12ihipStream_tbDpT10_ENKUlT_T0_E_clISt17integral_constantIbLb1EES1F_EEDaS1A_S1B_EUlS1A_E_NS1_11comp_targetILNS1_3genE0ELNS1_11target_archE4294967295ELNS1_3gpuE0ELNS1_3repE0EEENS1_30default_config_static_selectorELNS0_4arch9wavefront6targetE1EEEvT1_,@function
_ZN7rocprim17ROCPRIM_400000_NS6detail17trampoline_kernelINS0_14default_configENS1_25partition_config_selectorILNS1_17partition_subalgoE2EsNS0_10empty_typeEbEEZZNS1_14partition_implILS5_2ELb0ES3_jN6thrust23THRUST_200600_302600_NS6detail15normal_iteratorINSA_7pointerIsNSA_11hip_rocprim3tagENSA_11use_defaultESG_EEEEPS6_NSA_18transform_iteratorINSA_8identityIsEENSC_INSA_10device_ptrIsEEEESG_SG_EENS0_5tupleIJPsSJ_EEENSR_IJSJ_SJ_EEES6_PlJS6_EEE10hipError_tPvRmT3_T4_T5_T6_T7_T9_mT8_P12ihipStream_tbDpT10_ENKUlT_T0_E_clISt17integral_constantIbLb1EES1F_EEDaS1A_S1B_EUlS1A_E_NS1_11comp_targetILNS1_3genE0ELNS1_11target_archE4294967295ELNS1_3gpuE0ELNS1_3repE0EEENS1_30default_config_static_selectorELNS0_4arch9wavefront6targetE1EEEvT1_: ; @_ZN7rocprim17ROCPRIM_400000_NS6detail17trampoline_kernelINS0_14default_configENS1_25partition_config_selectorILNS1_17partition_subalgoE2EsNS0_10empty_typeEbEEZZNS1_14partition_implILS5_2ELb0ES3_jN6thrust23THRUST_200600_302600_NS6detail15normal_iteratorINSA_7pointerIsNSA_11hip_rocprim3tagENSA_11use_defaultESG_EEEEPS6_NSA_18transform_iteratorINSA_8identityIsEENSC_INSA_10device_ptrIsEEEESG_SG_EENS0_5tupleIJPsSJ_EEENSR_IJSJ_SJ_EEES6_PlJS6_EEE10hipError_tPvRmT3_T4_T5_T6_T7_T9_mT8_P12ihipStream_tbDpT10_ENKUlT_T0_E_clISt17integral_constantIbLb1EES1F_EEDaS1A_S1B_EUlS1A_E_NS1_11comp_targetILNS1_3genE0ELNS1_11target_archE4294967295ELNS1_3gpuE0ELNS1_3repE0EEENS1_30default_config_static_selectorELNS0_4arch9wavefront6targetE1EEEvT1_
; %bb.0:
	.section	.rodata,"a",@progbits
	.p2align	6, 0x0
	.amdhsa_kernel _ZN7rocprim17ROCPRIM_400000_NS6detail17trampoline_kernelINS0_14default_configENS1_25partition_config_selectorILNS1_17partition_subalgoE2EsNS0_10empty_typeEbEEZZNS1_14partition_implILS5_2ELb0ES3_jN6thrust23THRUST_200600_302600_NS6detail15normal_iteratorINSA_7pointerIsNSA_11hip_rocprim3tagENSA_11use_defaultESG_EEEEPS6_NSA_18transform_iteratorINSA_8identityIsEENSC_INSA_10device_ptrIsEEEESG_SG_EENS0_5tupleIJPsSJ_EEENSR_IJSJ_SJ_EEES6_PlJS6_EEE10hipError_tPvRmT3_T4_T5_T6_T7_T9_mT8_P12ihipStream_tbDpT10_ENKUlT_T0_E_clISt17integral_constantIbLb1EES1F_EEDaS1A_S1B_EUlS1A_E_NS1_11comp_targetILNS1_3genE0ELNS1_11target_archE4294967295ELNS1_3gpuE0ELNS1_3repE0EEENS1_30default_config_static_selectorELNS0_4arch9wavefront6targetE1EEEvT1_
		.amdhsa_group_segment_fixed_size 0
		.amdhsa_private_segment_fixed_size 0
		.amdhsa_kernarg_size 144
		.amdhsa_user_sgpr_count 2
		.amdhsa_user_sgpr_dispatch_ptr 0
		.amdhsa_user_sgpr_queue_ptr 0
		.amdhsa_user_sgpr_kernarg_segment_ptr 1
		.amdhsa_user_sgpr_dispatch_id 0
		.amdhsa_user_sgpr_kernarg_preload_length 0
		.amdhsa_user_sgpr_kernarg_preload_offset 0
		.amdhsa_user_sgpr_private_segment_size 0
		.amdhsa_uses_dynamic_stack 0
		.amdhsa_enable_private_segment 0
		.amdhsa_system_sgpr_workgroup_id_x 1
		.amdhsa_system_sgpr_workgroup_id_y 0
		.amdhsa_system_sgpr_workgroup_id_z 0
		.amdhsa_system_sgpr_workgroup_info 0
		.amdhsa_system_vgpr_workitem_id 0
		.amdhsa_next_free_vgpr 1
		.amdhsa_next_free_sgpr 0
		.amdhsa_accum_offset 4
		.amdhsa_reserve_vcc 0
		.amdhsa_float_round_mode_32 0
		.amdhsa_float_round_mode_16_64 0
		.amdhsa_float_denorm_mode_32 3
		.amdhsa_float_denorm_mode_16_64 3
		.amdhsa_dx10_clamp 1
		.amdhsa_ieee_mode 1
		.amdhsa_fp16_overflow 0
		.amdhsa_tg_split 0
		.amdhsa_exception_fp_ieee_invalid_op 0
		.amdhsa_exception_fp_denorm_src 0
		.amdhsa_exception_fp_ieee_div_zero 0
		.amdhsa_exception_fp_ieee_overflow 0
		.amdhsa_exception_fp_ieee_underflow 0
		.amdhsa_exception_fp_ieee_inexact 0
		.amdhsa_exception_int_div_zero 0
	.end_amdhsa_kernel
	.section	.text._ZN7rocprim17ROCPRIM_400000_NS6detail17trampoline_kernelINS0_14default_configENS1_25partition_config_selectorILNS1_17partition_subalgoE2EsNS0_10empty_typeEbEEZZNS1_14partition_implILS5_2ELb0ES3_jN6thrust23THRUST_200600_302600_NS6detail15normal_iteratorINSA_7pointerIsNSA_11hip_rocprim3tagENSA_11use_defaultESG_EEEEPS6_NSA_18transform_iteratorINSA_8identityIsEENSC_INSA_10device_ptrIsEEEESG_SG_EENS0_5tupleIJPsSJ_EEENSR_IJSJ_SJ_EEES6_PlJS6_EEE10hipError_tPvRmT3_T4_T5_T6_T7_T9_mT8_P12ihipStream_tbDpT10_ENKUlT_T0_E_clISt17integral_constantIbLb1EES1F_EEDaS1A_S1B_EUlS1A_E_NS1_11comp_targetILNS1_3genE0ELNS1_11target_archE4294967295ELNS1_3gpuE0ELNS1_3repE0EEENS1_30default_config_static_selectorELNS0_4arch9wavefront6targetE1EEEvT1_,"axG",@progbits,_ZN7rocprim17ROCPRIM_400000_NS6detail17trampoline_kernelINS0_14default_configENS1_25partition_config_selectorILNS1_17partition_subalgoE2EsNS0_10empty_typeEbEEZZNS1_14partition_implILS5_2ELb0ES3_jN6thrust23THRUST_200600_302600_NS6detail15normal_iteratorINSA_7pointerIsNSA_11hip_rocprim3tagENSA_11use_defaultESG_EEEEPS6_NSA_18transform_iteratorINSA_8identityIsEENSC_INSA_10device_ptrIsEEEESG_SG_EENS0_5tupleIJPsSJ_EEENSR_IJSJ_SJ_EEES6_PlJS6_EEE10hipError_tPvRmT3_T4_T5_T6_T7_T9_mT8_P12ihipStream_tbDpT10_ENKUlT_T0_E_clISt17integral_constantIbLb1EES1F_EEDaS1A_S1B_EUlS1A_E_NS1_11comp_targetILNS1_3genE0ELNS1_11target_archE4294967295ELNS1_3gpuE0ELNS1_3repE0EEENS1_30default_config_static_selectorELNS0_4arch9wavefront6targetE1EEEvT1_,comdat
.Lfunc_end553:
	.size	_ZN7rocprim17ROCPRIM_400000_NS6detail17trampoline_kernelINS0_14default_configENS1_25partition_config_selectorILNS1_17partition_subalgoE2EsNS0_10empty_typeEbEEZZNS1_14partition_implILS5_2ELb0ES3_jN6thrust23THRUST_200600_302600_NS6detail15normal_iteratorINSA_7pointerIsNSA_11hip_rocprim3tagENSA_11use_defaultESG_EEEEPS6_NSA_18transform_iteratorINSA_8identityIsEENSC_INSA_10device_ptrIsEEEESG_SG_EENS0_5tupleIJPsSJ_EEENSR_IJSJ_SJ_EEES6_PlJS6_EEE10hipError_tPvRmT3_T4_T5_T6_T7_T9_mT8_P12ihipStream_tbDpT10_ENKUlT_T0_E_clISt17integral_constantIbLb1EES1F_EEDaS1A_S1B_EUlS1A_E_NS1_11comp_targetILNS1_3genE0ELNS1_11target_archE4294967295ELNS1_3gpuE0ELNS1_3repE0EEENS1_30default_config_static_selectorELNS0_4arch9wavefront6targetE1EEEvT1_, .Lfunc_end553-_ZN7rocprim17ROCPRIM_400000_NS6detail17trampoline_kernelINS0_14default_configENS1_25partition_config_selectorILNS1_17partition_subalgoE2EsNS0_10empty_typeEbEEZZNS1_14partition_implILS5_2ELb0ES3_jN6thrust23THRUST_200600_302600_NS6detail15normal_iteratorINSA_7pointerIsNSA_11hip_rocprim3tagENSA_11use_defaultESG_EEEEPS6_NSA_18transform_iteratorINSA_8identityIsEENSC_INSA_10device_ptrIsEEEESG_SG_EENS0_5tupleIJPsSJ_EEENSR_IJSJ_SJ_EEES6_PlJS6_EEE10hipError_tPvRmT3_T4_T5_T6_T7_T9_mT8_P12ihipStream_tbDpT10_ENKUlT_T0_E_clISt17integral_constantIbLb1EES1F_EEDaS1A_S1B_EUlS1A_E_NS1_11comp_targetILNS1_3genE0ELNS1_11target_archE4294967295ELNS1_3gpuE0ELNS1_3repE0EEENS1_30default_config_static_selectorELNS0_4arch9wavefront6targetE1EEEvT1_
                                        ; -- End function
	.section	.AMDGPU.csdata,"",@progbits
; Kernel info:
; codeLenInByte = 0
; NumSgprs: 6
; NumVgprs: 0
; NumAgprs: 0
; TotalNumVgprs: 0
; ScratchSize: 0
; MemoryBound: 0
; FloatMode: 240
; IeeeMode: 1
; LDSByteSize: 0 bytes/workgroup (compile time only)
; SGPRBlocks: 0
; VGPRBlocks: 0
; NumSGPRsForWavesPerEU: 6
; NumVGPRsForWavesPerEU: 1
; AccumOffset: 4
; Occupancy: 8
; WaveLimiterHint : 0
; COMPUTE_PGM_RSRC2:SCRATCH_EN: 0
; COMPUTE_PGM_RSRC2:USER_SGPR: 2
; COMPUTE_PGM_RSRC2:TRAP_HANDLER: 0
; COMPUTE_PGM_RSRC2:TGID_X_EN: 1
; COMPUTE_PGM_RSRC2:TGID_Y_EN: 0
; COMPUTE_PGM_RSRC2:TGID_Z_EN: 0
; COMPUTE_PGM_RSRC2:TIDIG_COMP_CNT: 0
; COMPUTE_PGM_RSRC3_GFX90A:ACCUM_OFFSET: 0
; COMPUTE_PGM_RSRC3_GFX90A:TG_SPLIT: 0
	.section	.text._ZN7rocprim17ROCPRIM_400000_NS6detail17trampoline_kernelINS0_14default_configENS1_25partition_config_selectorILNS1_17partition_subalgoE2EsNS0_10empty_typeEbEEZZNS1_14partition_implILS5_2ELb0ES3_jN6thrust23THRUST_200600_302600_NS6detail15normal_iteratorINSA_7pointerIsNSA_11hip_rocprim3tagENSA_11use_defaultESG_EEEEPS6_NSA_18transform_iteratorINSA_8identityIsEENSC_INSA_10device_ptrIsEEEESG_SG_EENS0_5tupleIJPsSJ_EEENSR_IJSJ_SJ_EEES6_PlJS6_EEE10hipError_tPvRmT3_T4_T5_T6_T7_T9_mT8_P12ihipStream_tbDpT10_ENKUlT_T0_E_clISt17integral_constantIbLb1EES1F_EEDaS1A_S1B_EUlS1A_E_NS1_11comp_targetILNS1_3genE5ELNS1_11target_archE942ELNS1_3gpuE9ELNS1_3repE0EEENS1_30default_config_static_selectorELNS0_4arch9wavefront6targetE1EEEvT1_,"axG",@progbits,_ZN7rocprim17ROCPRIM_400000_NS6detail17trampoline_kernelINS0_14default_configENS1_25partition_config_selectorILNS1_17partition_subalgoE2EsNS0_10empty_typeEbEEZZNS1_14partition_implILS5_2ELb0ES3_jN6thrust23THRUST_200600_302600_NS6detail15normal_iteratorINSA_7pointerIsNSA_11hip_rocprim3tagENSA_11use_defaultESG_EEEEPS6_NSA_18transform_iteratorINSA_8identityIsEENSC_INSA_10device_ptrIsEEEESG_SG_EENS0_5tupleIJPsSJ_EEENSR_IJSJ_SJ_EEES6_PlJS6_EEE10hipError_tPvRmT3_T4_T5_T6_T7_T9_mT8_P12ihipStream_tbDpT10_ENKUlT_T0_E_clISt17integral_constantIbLb1EES1F_EEDaS1A_S1B_EUlS1A_E_NS1_11comp_targetILNS1_3genE5ELNS1_11target_archE942ELNS1_3gpuE9ELNS1_3repE0EEENS1_30default_config_static_selectorELNS0_4arch9wavefront6targetE1EEEvT1_,comdat
	.protected	_ZN7rocprim17ROCPRIM_400000_NS6detail17trampoline_kernelINS0_14default_configENS1_25partition_config_selectorILNS1_17partition_subalgoE2EsNS0_10empty_typeEbEEZZNS1_14partition_implILS5_2ELb0ES3_jN6thrust23THRUST_200600_302600_NS6detail15normal_iteratorINSA_7pointerIsNSA_11hip_rocprim3tagENSA_11use_defaultESG_EEEEPS6_NSA_18transform_iteratorINSA_8identityIsEENSC_INSA_10device_ptrIsEEEESG_SG_EENS0_5tupleIJPsSJ_EEENSR_IJSJ_SJ_EEES6_PlJS6_EEE10hipError_tPvRmT3_T4_T5_T6_T7_T9_mT8_P12ihipStream_tbDpT10_ENKUlT_T0_E_clISt17integral_constantIbLb1EES1F_EEDaS1A_S1B_EUlS1A_E_NS1_11comp_targetILNS1_3genE5ELNS1_11target_archE942ELNS1_3gpuE9ELNS1_3repE0EEENS1_30default_config_static_selectorELNS0_4arch9wavefront6targetE1EEEvT1_ ; -- Begin function _ZN7rocprim17ROCPRIM_400000_NS6detail17trampoline_kernelINS0_14default_configENS1_25partition_config_selectorILNS1_17partition_subalgoE2EsNS0_10empty_typeEbEEZZNS1_14partition_implILS5_2ELb0ES3_jN6thrust23THRUST_200600_302600_NS6detail15normal_iteratorINSA_7pointerIsNSA_11hip_rocprim3tagENSA_11use_defaultESG_EEEEPS6_NSA_18transform_iteratorINSA_8identityIsEENSC_INSA_10device_ptrIsEEEESG_SG_EENS0_5tupleIJPsSJ_EEENSR_IJSJ_SJ_EEES6_PlJS6_EEE10hipError_tPvRmT3_T4_T5_T6_T7_T9_mT8_P12ihipStream_tbDpT10_ENKUlT_T0_E_clISt17integral_constantIbLb1EES1F_EEDaS1A_S1B_EUlS1A_E_NS1_11comp_targetILNS1_3genE5ELNS1_11target_archE942ELNS1_3gpuE9ELNS1_3repE0EEENS1_30default_config_static_selectorELNS0_4arch9wavefront6targetE1EEEvT1_
	.globl	_ZN7rocprim17ROCPRIM_400000_NS6detail17trampoline_kernelINS0_14default_configENS1_25partition_config_selectorILNS1_17partition_subalgoE2EsNS0_10empty_typeEbEEZZNS1_14partition_implILS5_2ELb0ES3_jN6thrust23THRUST_200600_302600_NS6detail15normal_iteratorINSA_7pointerIsNSA_11hip_rocprim3tagENSA_11use_defaultESG_EEEEPS6_NSA_18transform_iteratorINSA_8identityIsEENSC_INSA_10device_ptrIsEEEESG_SG_EENS0_5tupleIJPsSJ_EEENSR_IJSJ_SJ_EEES6_PlJS6_EEE10hipError_tPvRmT3_T4_T5_T6_T7_T9_mT8_P12ihipStream_tbDpT10_ENKUlT_T0_E_clISt17integral_constantIbLb1EES1F_EEDaS1A_S1B_EUlS1A_E_NS1_11comp_targetILNS1_3genE5ELNS1_11target_archE942ELNS1_3gpuE9ELNS1_3repE0EEENS1_30default_config_static_selectorELNS0_4arch9wavefront6targetE1EEEvT1_
	.p2align	8
	.type	_ZN7rocprim17ROCPRIM_400000_NS6detail17trampoline_kernelINS0_14default_configENS1_25partition_config_selectorILNS1_17partition_subalgoE2EsNS0_10empty_typeEbEEZZNS1_14partition_implILS5_2ELb0ES3_jN6thrust23THRUST_200600_302600_NS6detail15normal_iteratorINSA_7pointerIsNSA_11hip_rocprim3tagENSA_11use_defaultESG_EEEEPS6_NSA_18transform_iteratorINSA_8identityIsEENSC_INSA_10device_ptrIsEEEESG_SG_EENS0_5tupleIJPsSJ_EEENSR_IJSJ_SJ_EEES6_PlJS6_EEE10hipError_tPvRmT3_T4_T5_T6_T7_T9_mT8_P12ihipStream_tbDpT10_ENKUlT_T0_E_clISt17integral_constantIbLb1EES1F_EEDaS1A_S1B_EUlS1A_E_NS1_11comp_targetILNS1_3genE5ELNS1_11target_archE942ELNS1_3gpuE9ELNS1_3repE0EEENS1_30default_config_static_selectorELNS0_4arch9wavefront6targetE1EEEvT1_,@function
_ZN7rocprim17ROCPRIM_400000_NS6detail17trampoline_kernelINS0_14default_configENS1_25partition_config_selectorILNS1_17partition_subalgoE2EsNS0_10empty_typeEbEEZZNS1_14partition_implILS5_2ELb0ES3_jN6thrust23THRUST_200600_302600_NS6detail15normal_iteratorINSA_7pointerIsNSA_11hip_rocprim3tagENSA_11use_defaultESG_EEEEPS6_NSA_18transform_iteratorINSA_8identityIsEENSC_INSA_10device_ptrIsEEEESG_SG_EENS0_5tupleIJPsSJ_EEENSR_IJSJ_SJ_EEES6_PlJS6_EEE10hipError_tPvRmT3_T4_T5_T6_T7_T9_mT8_P12ihipStream_tbDpT10_ENKUlT_T0_E_clISt17integral_constantIbLb1EES1F_EEDaS1A_S1B_EUlS1A_E_NS1_11comp_targetILNS1_3genE5ELNS1_11target_archE942ELNS1_3gpuE9ELNS1_3repE0EEENS1_30default_config_static_selectorELNS0_4arch9wavefront6targetE1EEEvT1_: ; @_ZN7rocprim17ROCPRIM_400000_NS6detail17trampoline_kernelINS0_14default_configENS1_25partition_config_selectorILNS1_17partition_subalgoE2EsNS0_10empty_typeEbEEZZNS1_14partition_implILS5_2ELb0ES3_jN6thrust23THRUST_200600_302600_NS6detail15normal_iteratorINSA_7pointerIsNSA_11hip_rocprim3tagENSA_11use_defaultESG_EEEEPS6_NSA_18transform_iteratorINSA_8identityIsEENSC_INSA_10device_ptrIsEEEESG_SG_EENS0_5tupleIJPsSJ_EEENSR_IJSJ_SJ_EEES6_PlJS6_EEE10hipError_tPvRmT3_T4_T5_T6_T7_T9_mT8_P12ihipStream_tbDpT10_ENKUlT_T0_E_clISt17integral_constantIbLb1EES1F_EEDaS1A_S1B_EUlS1A_E_NS1_11comp_targetILNS1_3genE5ELNS1_11target_archE942ELNS1_3gpuE9ELNS1_3repE0EEENS1_30default_config_static_selectorELNS0_4arch9wavefront6targetE1EEEvT1_
; %bb.0:
	s_load_dwordx2 s[2:3], s[0:1], 0x20
	s_load_dwordx2 s[28:29], s[0:1], 0x30
	s_load_dwordx2 s[30:31], s[0:1], 0x60
	s_load_dwordx4 s[20:23], s[0:1], 0x50
	s_load_dwordx2 s[36:37], s[0:1], 0x70
	v_cmp_eq_u32_e64 s[18:19], 0, v0
	s_and_saveexec_b64 s[4:5], s[18:19]
	s_cbranch_execz .LBB554_4
; %bb.1:
	s_mov_b64 s[8:9], exec
	v_mbcnt_lo_u32_b32 v1, s8, 0
	v_mbcnt_hi_u32_b32 v1, s9, v1
	v_cmp_eq_u32_e32 vcc, 0, v1
                                        ; implicit-def: $vgpr2
	s_and_saveexec_b64 s[6:7], vcc
	s_cbranch_execz .LBB554_3
; %bb.2:
	s_load_dwordx2 s[10:11], s[0:1], 0x80
	s_bcnt1_i32_b64 s8, s[8:9]
	v_mov_b32_e32 v2, 0
	v_mov_b32_e32 v3, s8
	s_waitcnt lgkmcnt(0)
	global_atomic_add v2, v2, v3, s[10:11] sc0
.LBB554_3:
	s_or_b64 exec, exec, s[6:7]
	s_waitcnt vmcnt(0)
	v_readfirstlane_b32 s6, v2
	v_mov_b32_e32 v2, 0
	s_nop 0
	v_add_u32_e32 v1, s6, v1
	ds_write_b32 v2, v1
.LBB554_4:
	s_or_b64 exec, exec, s[4:5]
	v_mov_b32_e32 v13, 0
	s_load_dwordx4 s[24:27], s[0:1], 0x8
	s_load_dword s6, s[0:1], 0x78
	s_waitcnt lgkmcnt(0)
	s_barrier
	ds_read_b32 v1, v13
	s_waitcnt lgkmcnt(0)
	s_barrier
	global_load_dwordx2 v[14:15], v13, s[22:23]
	s_lshl_b64 s[4:5], s[26:27], 1
	s_add_u32 s8, s24, s4
	s_mul_i32 s0, s6, 0x3c00
	s_addc_u32 s9, s25, s5
	s_add_i32 s1, s0, s26
	s_sub_i32 s33, s30, s1
	s_add_i32 s7, s6, -1
	s_addk_i32 s33, 0x3c00
	s_add_u32 s0, s26, s0
	v_readfirstlane_b32 s42, v1
	s_addc_u32 s1, s27, 0
	s_cmp_eq_u32 s42, s7
	v_mov_b64_e32 v[2:3], s[30:31]
	s_cselect_b64 s[22:23], -1, 0
	s_cmp_lg_u32 s42, s7
	s_mul_i32 s24, s42, 0x3c00
	s_mov_b32 s25, 0
	v_cmp_lt_u64_e32 vcc, s[0:1], v[2:3]
	s_cselect_b64 s[0:1], -1, 0
	s_or_b64 s[34:35], vcc, s[0:1]
	s_lshl_b64 s[6:7], s[24:25], 1
	s_add_u32 s8, s8, s6
	s_addc_u32 s9, s9, s7
	s_mov_b64 s[0:1], -1
	s_and_b64 vcc, exec, s[34:35]
	v_lshlrev_b32_e32 v12, 1, v0
	s_cbranch_vccz .LBB554_6
; %bb.5:
	v_lshl_add_u64 v[2:3], s[8:9], 0, v[12:13]
	v_add_co_u32_e32 v4, vcc, 0x1000, v2
	s_mov_b64 s[0:1], 0
	s_nop 0
	v_addc_co_u32_e32 v5, vcc, 0, v3, vcc
	flat_load_ushort v1, v[2:3]
	flat_load_ushort v8, v[2:3] offset:1024
	flat_load_ushort v9, v[2:3] offset:2048
	flat_load_ushort v10, v[2:3] offset:3072
	flat_load_ushort v11, v[4:5]
	flat_load_ushort v13, v[4:5] offset:1024
	flat_load_ushort v16, v[4:5] offset:2048
	flat_load_ushort v17, v[4:5] offset:3072
	v_add_co_u32_e32 v4, vcc, 0x2000, v2
	s_nop 1
	v_addc_co_u32_e32 v5, vcc, 0, v3, vcc
	v_add_co_u32_e32 v6, vcc, 0x3000, v2
	s_nop 1
	v_addc_co_u32_e32 v7, vcc, 0, v3, vcc
	flat_load_ushort v18, v[4:5]
	flat_load_ushort v19, v[4:5] offset:1024
	flat_load_ushort v20, v[4:5] offset:2048
	flat_load_ushort v21, v[4:5] offset:3072
	flat_load_ushort v22, v[6:7]
	flat_load_ushort v23, v[6:7] offset:1024
	flat_load_ushort v24, v[6:7] offset:2048
	flat_load_ushort v25, v[6:7] offset:3072
	v_add_co_u32_e32 v4, vcc, 0x4000, v2
	s_nop 1
	v_addc_co_u32_e32 v5, vcc, 0, v3, vcc
	v_add_co_u32_e32 v6, vcc, 0x5000, v2
	;; [unrolled: 14-line block ×3, first 2 shown]
	s_nop 1
	v_addc_co_u32_e32 v3, vcc, 0, v3, vcc
	flat_load_ushort v6, v[4:5]
	flat_load_ushort v7, v[4:5] offset:1024
	flat_load_ushort v34, v[4:5] offset:2048
	;; [unrolled: 1-line block ×3, first 2 shown]
	flat_load_ushort v36, v[2:3]
	flat_load_ushort v37, v[2:3] offset:1024
	s_waitcnt vmcnt(0) lgkmcnt(0)
	ds_write_b16 v12, v1
	ds_write_b16 v12, v8 offset:1024
	ds_write_b16 v12, v9 offset:2048
	;; [unrolled: 1-line block ×29, first 2 shown]
	s_waitcnt lgkmcnt(0)
	s_barrier
.LBB554_6:
	s_andn2_b64 vcc, exec, s[0:1]
	v_cmp_gt_u32_e64 s[0:1], s33, v0
	s_cbranch_vccnz .LBB554_68
; %bb.7:
                                        ; implicit-def: $vgpr1
	s_and_saveexec_b64 s[10:11], s[0:1]
	s_cbranch_execz .LBB554_9
; %bb.8:
	v_mov_b32_e32 v13, 0
	v_lshl_add_u64 v[2:3], s[8:9], 0, v[12:13]
	flat_load_ushort v1, v[2:3]
.LBB554_9:
	s_or_b64 exec, exec, s[10:11]
	v_or_b32_e32 v2, 0x200, v0
	v_cmp_gt_u32_e32 vcc, s33, v2
                                        ; implicit-def: $vgpr2
	s_and_saveexec_b64 s[0:1], vcc
	s_cbranch_execz .LBB554_11
; %bb.10:
	v_mov_b32_e32 v13, 0
	v_lshl_add_u64 v[2:3], s[8:9], 0, v[12:13]
	flat_load_ushort v2, v[2:3] offset:1024
.LBB554_11:
	s_or_b64 exec, exec, s[0:1]
	v_or_b32_e32 v3, 0x400, v0
	v_cmp_gt_u32_e32 vcc, s33, v3
                                        ; implicit-def: $vgpr3
	s_and_saveexec_b64 s[0:1], vcc
	s_cbranch_execz .LBB554_13
; %bb.12:
	v_mov_b32_e32 v13, 0
	v_lshl_add_u64 v[4:5], s[8:9], 0, v[12:13]
	flat_load_ushort v3, v[4:5] offset:2048
.LBB554_13:
	s_or_b64 exec, exec, s[0:1]
	v_or_b32_e32 v4, 0x600, v0
	v_cmp_gt_u32_e32 vcc, s33, v4
                                        ; implicit-def: $vgpr4
	s_and_saveexec_b64 s[0:1], vcc
	s_cbranch_execz .LBB554_15
; %bb.14:
	v_mov_b32_e32 v13, 0
	v_lshl_add_u64 v[4:5], s[8:9], 0, v[12:13]
	flat_load_ushort v4, v[4:5] offset:3072
.LBB554_15:
	s_or_b64 exec, exec, s[0:1]
	v_or_b32_e32 v6, 0x800, v0
	v_cmp_gt_u32_e32 vcc, s33, v6
                                        ; implicit-def: $vgpr5
	s_and_saveexec_b64 s[0:1], vcc
	s_cbranch_execz .LBB554_17
; %bb.16:
	v_lshlrev_b32_e32 v6, 1, v6
	v_mov_b32_e32 v7, 0
	v_lshl_add_u64 v[6:7], s[8:9], 0, v[6:7]
	flat_load_ushort v5, v[6:7]
.LBB554_17:
	s_or_b64 exec, exec, s[0:1]
	v_or_b32_e32 v7, 0xa00, v0
	v_cmp_gt_u32_e32 vcc, s33, v7
                                        ; implicit-def: $vgpr6
	s_and_saveexec_b64 s[0:1], vcc
	s_cbranch_execz .LBB554_19
; %bb.18:
	v_lshlrev_b32_e32 v6, 1, v7
	v_mov_b32_e32 v7, 0
	v_lshl_add_u64 v[6:7], s[8:9], 0, v[6:7]
	flat_load_ushort v6, v[6:7]
.LBB554_19:
	s_or_b64 exec, exec, s[0:1]
	v_or_b32_e32 v8, 0xc00, v0
	v_cmp_gt_u32_e32 vcc, s33, v8
                                        ; implicit-def: $vgpr7
	s_and_saveexec_b64 s[0:1], vcc
	s_cbranch_execz .LBB554_21
; %bb.20:
	v_lshlrev_b32_e32 v8, 1, v8
	v_mov_b32_e32 v9, 0
	v_lshl_add_u64 v[8:9], s[8:9], 0, v[8:9]
	flat_load_ushort v7, v[8:9]
.LBB554_21:
	s_or_b64 exec, exec, s[0:1]
	v_or_b32_e32 v9, 0xe00, v0
	v_cmp_gt_u32_e32 vcc, s33, v9
                                        ; implicit-def: $vgpr8
	s_and_saveexec_b64 s[0:1], vcc
	s_cbranch_execz .LBB554_23
; %bb.22:
	v_lshlrev_b32_e32 v8, 1, v9
	v_mov_b32_e32 v9, 0
	v_lshl_add_u64 v[8:9], s[8:9], 0, v[8:9]
	flat_load_ushort v8, v[8:9]
.LBB554_23:
	s_or_b64 exec, exec, s[0:1]
	v_or_b32_e32 v10, 0x1000, v0
	v_cmp_gt_u32_e32 vcc, s33, v10
                                        ; implicit-def: $vgpr9
	s_and_saveexec_b64 s[0:1], vcc
	s_cbranch_execz .LBB554_25
; %bb.24:
	v_lshlrev_b32_e32 v10, 1, v10
	v_mov_b32_e32 v11, 0
	v_lshl_add_u64 v[10:11], s[8:9], 0, v[10:11]
	flat_load_ushort v9, v[10:11]
.LBB554_25:
	s_or_b64 exec, exec, s[0:1]
	v_or_b32_e32 v11, 0x1200, v0
	v_cmp_gt_u32_e32 vcc, s33, v11
                                        ; implicit-def: $vgpr10
	s_and_saveexec_b64 s[0:1], vcc
	s_cbranch_execz .LBB554_27
; %bb.26:
	v_lshlrev_b32_e32 v10, 1, v11
	v_mov_b32_e32 v11, 0
	v_lshl_add_u64 v[10:11], s[8:9], 0, v[10:11]
	flat_load_ushort v10, v[10:11]
.LBB554_27:
	s_or_b64 exec, exec, s[0:1]
	v_or_b32_e32 v13, 0x1400, v0
	v_cmp_gt_u32_e32 vcc, s33, v13
                                        ; implicit-def: $vgpr11
	s_and_saveexec_b64 s[0:1], vcc
	s_cbranch_execz .LBB554_29
; %bb.28:
	v_lshlrev_b32_e32 v16, 1, v13
	v_mov_b32_e32 v17, 0
	v_lshl_add_u64 v[16:17], s[8:9], 0, v[16:17]
	flat_load_ushort v11, v[16:17]
.LBB554_29:
	s_or_b64 exec, exec, s[0:1]
	v_or_b32_e32 v16, 0x1600, v0
	v_cmp_gt_u32_e32 vcc, s33, v16
                                        ; implicit-def: $vgpr13
	s_and_saveexec_b64 s[0:1], vcc
	s_cbranch_execz .LBB554_31
; %bb.30:
	v_lshlrev_b32_e32 v16, 1, v16
	v_mov_b32_e32 v17, 0
	v_lshl_add_u64 v[16:17], s[8:9], 0, v[16:17]
	flat_load_ushort v13, v[16:17]
.LBB554_31:
	s_or_b64 exec, exec, s[0:1]
	v_or_b32_e32 v17, 0x1800, v0
	v_cmp_gt_u32_e32 vcc, s33, v17
                                        ; implicit-def: $vgpr16
	s_and_saveexec_b64 s[0:1], vcc
	s_cbranch_execz .LBB554_33
; %bb.32:
	v_lshlrev_b32_e32 v16, 1, v17
	v_mov_b32_e32 v17, 0
	v_lshl_add_u64 v[16:17], s[8:9], 0, v[16:17]
	flat_load_ushort v16, v[16:17]
.LBB554_33:
	s_or_b64 exec, exec, s[0:1]
	v_or_b32_e32 v18, 0x1a00, v0
	v_cmp_gt_u32_e32 vcc, s33, v18
                                        ; implicit-def: $vgpr17
	s_and_saveexec_b64 s[0:1], vcc
	s_cbranch_execz .LBB554_35
; %bb.34:
	v_lshlrev_b32_e32 v18, 1, v18
	v_mov_b32_e32 v19, 0
	v_lshl_add_u64 v[18:19], s[8:9], 0, v[18:19]
	flat_load_ushort v17, v[18:19]
.LBB554_35:
	s_or_b64 exec, exec, s[0:1]
	v_or_b32_e32 v19, 0x1c00, v0
	v_cmp_gt_u32_e32 vcc, s33, v19
                                        ; implicit-def: $vgpr18
	s_and_saveexec_b64 s[0:1], vcc
	s_cbranch_execz .LBB554_37
; %bb.36:
	v_lshlrev_b32_e32 v18, 1, v19
	v_mov_b32_e32 v19, 0
	v_lshl_add_u64 v[18:19], s[8:9], 0, v[18:19]
	flat_load_ushort v18, v[18:19]
.LBB554_37:
	s_or_b64 exec, exec, s[0:1]
	v_or_b32_e32 v20, 0x1e00, v0
	v_cmp_gt_u32_e32 vcc, s33, v20
                                        ; implicit-def: $vgpr19
	s_and_saveexec_b64 s[0:1], vcc
	s_cbranch_execz .LBB554_39
; %bb.38:
	v_lshlrev_b32_e32 v20, 1, v20
	v_mov_b32_e32 v21, 0
	v_lshl_add_u64 v[20:21], s[8:9], 0, v[20:21]
	flat_load_ushort v19, v[20:21]
.LBB554_39:
	s_or_b64 exec, exec, s[0:1]
	v_or_b32_e32 v21, 0x2000, v0
	v_cmp_gt_u32_e32 vcc, s33, v21
                                        ; implicit-def: $vgpr20
	s_and_saveexec_b64 s[0:1], vcc
	s_cbranch_execz .LBB554_41
; %bb.40:
	v_lshlrev_b32_e32 v20, 1, v21
	v_mov_b32_e32 v21, 0
	v_lshl_add_u64 v[20:21], s[8:9], 0, v[20:21]
	flat_load_ushort v20, v[20:21]
.LBB554_41:
	s_or_b64 exec, exec, s[0:1]
	v_or_b32_e32 v22, 0x2200, v0
	v_cmp_gt_u32_e32 vcc, s33, v22
                                        ; implicit-def: $vgpr21
	s_and_saveexec_b64 s[0:1], vcc
	s_cbranch_execz .LBB554_43
; %bb.42:
	v_lshlrev_b32_e32 v22, 1, v22
	v_mov_b32_e32 v23, 0
	v_lshl_add_u64 v[22:23], s[8:9], 0, v[22:23]
	flat_load_ushort v21, v[22:23]
.LBB554_43:
	s_or_b64 exec, exec, s[0:1]
	v_or_b32_e32 v23, 0x2400, v0
	v_cmp_gt_u32_e32 vcc, s33, v23
                                        ; implicit-def: $vgpr22
	s_and_saveexec_b64 s[0:1], vcc
	s_cbranch_execz .LBB554_45
; %bb.44:
	v_lshlrev_b32_e32 v22, 1, v23
	v_mov_b32_e32 v23, 0
	v_lshl_add_u64 v[22:23], s[8:9], 0, v[22:23]
	flat_load_ushort v22, v[22:23]
.LBB554_45:
	s_or_b64 exec, exec, s[0:1]
	v_or_b32_e32 v24, 0x2600, v0
	v_cmp_gt_u32_e32 vcc, s33, v24
                                        ; implicit-def: $vgpr23
	s_and_saveexec_b64 s[0:1], vcc
	s_cbranch_execz .LBB554_47
; %bb.46:
	v_lshlrev_b32_e32 v24, 1, v24
	v_mov_b32_e32 v25, 0
	v_lshl_add_u64 v[24:25], s[8:9], 0, v[24:25]
	flat_load_ushort v23, v[24:25]
.LBB554_47:
	s_or_b64 exec, exec, s[0:1]
	v_or_b32_e32 v25, 0x2800, v0
	v_cmp_gt_u32_e32 vcc, s33, v25
                                        ; implicit-def: $vgpr24
	s_and_saveexec_b64 s[0:1], vcc
	s_cbranch_execz .LBB554_49
; %bb.48:
	v_lshlrev_b32_e32 v24, 1, v25
	v_mov_b32_e32 v25, 0
	v_lshl_add_u64 v[24:25], s[8:9], 0, v[24:25]
	flat_load_ushort v24, v[24:25]
.LBB554_49:
	s_or_b64 exec, exec, s[0:1]
	v_or_b32_e32 v26, 0x2a00, v0
	v_cmp_gt_u32_e32 vcc, s33, v26
                                        ; implicit-def: $vgpr25
	s_and_saveexec_b64 s[0:1], vcc
	s_cbranch_execz .LBB554_51
; %bb.50:
	v_lshlrev_b32_e32 v26, 1, v26
	v_mov_b32_e32 v27, 0
	v_lshl_add_u64 v[26:27], s[8:9], 0, v[26:27]
	flat_load_ushort v25, v[26:27]
.LBB554_51:
	s_or_b64 exec, exec, s[0:1]
	v_or_b32_e32 v27, 0x2c00, v0
	v_cmp_gt_u32_e32 vcc, s33, v27
                                        ; implicit-def: $vgpr26
	s_and_saveexec_b64 s[0:1], vcc
	s_cbranch_execz .LBB554_53
; %bb.52:
	v_lshlrev_b32_e32 v26, 1, v27
	v_mov_b32_e32 v27, 0
	v_lshl_add_u64 v[26:27], s[8:9], 0, v[26:27]
	flat_load_ushort v26, v[26:27]
.LBB554_53:
	s_or_b64 exec, exec, s[0:1]
	v_or_b32_e32 v28, 0x2e00, v0
	v_cmp_gt_u32_e32 vcc, s33, v28
                                        ; implicit-def: $vgpr27
	s_and_saveexec_b64 s[0:1], vcc
	s_cbranch_execz .LBB554_55
; %bb.54:
	v_lshlrev_b32_e32 v28, 1, v28
	v_mov_b32_e32 v29, 0
	v_lshl_add_u64 v[28:29], s[8:9], 0, v[28:29]
	flat_load_ushort v27, v[28:29]
.LBB554_55:
	s_or_b64 exec, exec, s[0:1]
	v_or_b32_e32 v29, 0x3000, v0
	v_cmp_gt_u32_e32 vcc, s33, v29
                                        ; implicit-def: $vgpr28
	s_and_saveexec_b64 s[0:1], vcc
	s_cbranch_execz .LBB554_57
; %bb.56:
	v_lshlrev_b32_e32 v28, 1, v29
	v_mov_b32_e32 v29, 0
	v_lshl_add_u64 v[28:29], s[8:9], 0, v[28:29]
	flat_load_ushort v28, v[28:29]
.LBB554_57:
	s_or_b64 exec, exec, s[0:1]
	v_or_b32_e32 v30, 0x3200, v0
	v_cmp_gt_u32_e32 vcc, s33, v30
                                        ; implicit-def: $vgpr29
	s_and_saveexec_b64 s[0:1], vcc
	s_cbranch_execz .LBB554_59
; %bb.58:
	v_lshlrev_b32_e32 v30, 1, v30
	v_mov_b32_e32 v31, 0
	v_lshl_add_u64 v[30:31], s[8:9], 0, v[30:31]
	flat_load_ushort v29, v[30:31]
.LBB554_59:
	s_or_b64 exec, exec, s[0:1]
	v_or_b32_e32 v31, 0x3400, v0
	v_cmp_gt_u32_e32 vcc, s33, v31
                                        ; implicit-def: $vgpr30
	s_and_saveexec_b64 s[0:1], vcc
	s_cbranch_execz .LBB554_61
; %bb.60:
	v_lshlrev_b32_e32 v30, 1, v31
	v_mov_b32_e32 v31, 0
	v_lshl_add_u64 v[30:31], s[8:9], 0, v[30:31]
	flat_load_ushort v30, v[30:31]
.LBB554_61:
	s_or_b64 exec, exec, s[0:1]
	v_or_b32_e32 v32, 0x3600, v0
	v_cmp_gt_u32_e32 vcc, s33, v32
                                        ; implicit-def: $vgpr31
	s_and_saveexec_b64 s[0:1], vcc
	s_cbranch_execz .LBB554_63
; %bb.62:
	v_lshlrev_b32_e32 v32, 1, v32
	v_mov_b32_e32 v33, 0
	v_lshl_add_u64 v[32:33], s[8:9], 0, v[32:33]
	flat_load_ushort v31, v[32:33]
.LBB554_63:
	s_or_b64 exec, exec, s[0:1]
	v_or_b32_e32 v33, 0x3800, v0
	v_cmp_gt_u32_e32 vcc, s33, v33
                                        ; implicit-def: $vgpr32
	s_and_saveexec_b64 s[0:1], vcc
	s_cbranch_execz .LBB554_65
; %bb.64:
	v_lshlrev_b32_e32 v32, 1, v33
	v_mov_b32_e32 v33, 0
	v_lshl_add_u64 v[32:33], s[8:9], 0, v[32:33]
	flat_load_ushort v32, v[32:33]
.LBB554_65:
	s_or_b64 exec, exec, s[0:1]
	v_or_b32_e32 v34, 0x3a00, v0
	v_cmp_gt_u32_e32 vcc, s33, v34
                                        ; implicit-def: $vgpr33
	s_and_saveexec_b64 s[0:1], vcc
	s_cbranch_execz .LBB554_67
; %bb.66:
	v_lshlrev_b32_e32 v34, 1, v34
	v_mov_b32_e32 v35, 0
	v_lshl_add_u64 v[34:35], s[8:9], 0, v[34:35]
	flat_load_ushort v33, v[34:35]
.LBB554_67:
	s_or_b64 exec, exec, s[0:1]
	s_waitcnt vmcnt(0) lgkmcnt(0)
	ds_write_b16 v12, v1
	ds_write_b16 v12, v2 offset:1024
	ds_write_b16 v12, v3 offset:2048
	;; [unrolled: 1-line block ×29, first 2 shown]
	s_waitcnt lgkmcnt(0)
	s_barrier
.LBB554_68:
	v_mul_u32_u24_e32 v9, 30, v0
	v_lshlrev_b32_e32 v2, 1, v9
	ds_read2_b32 v[28:29], v2 offset1:1
	ds_read2_b32 v[26:27], v2 offset0:2 offset1:3
	ds_read2_b32 v[24:25], v2 offset0:4 offset1:5
	;; [unrolled: 1-line block ×3, first 2 shown]
	ds_read_b32 v1, v2 offset:56
	ds_read2_b32 v[16:17], v2 offset0:12 offset1:13
	ds_read2_b32 v[18:19], v2 offset0:10 offset1:11
	;; [unrolled: 1-line block ×3, first 2 shown]
	s_add_u32 s0, s2, s4
	s_addc_u32 s1, s3, s5
	s_add_u32 s0, s0, s6
	s_addc_u32 s1, s1, s7
	s_mov_b64 s[2:3], -1
	s_and_b64 vcc, exec, s[34:35]
	s_waitcnt lgkmcnt(0)
	s_barrier
	s_cbranch_vccz .LBB554_70
; %bb.69:
	global_load_ushort v8, v12, s[0:1]
	v_mov_b32_e32 v13, 0
	v_lshl_add_u64 v[2:3], s[0:1], 0, v[12:13]
	s_movk_i32 s2, 0x1000
	v_add_co_u32_e32 v4, vcc, s2, v2
	s_movk_i32 s2, 0x2000
	s_nop 0
	v_addc_co_u32_e32 v5, vcc, 0, v3, vcc
	v_add_co_u32_e32 v6, vcc, s2, v2
	s_movk_i32 s2, 0x3000
	s_nop 0
	v_addc_co_u32_e32 v7, vcc, 0, v3, vcc
	global_load_ushort v13, v12, s[0:1] offset:1024
	global_load_ushort v30, v12, s[0:1] offset:2048
	;; [unrolled: 1-line block ×3, first 2 shown]
	global_load_ushort v32, v[6:7], off offset:-4096
	global_load_ushort v33, v[4:5], off offset:1024
	global_load_ushort v34, v[4:5], off offset:2048
	;; [unrolled: 1-line block ×3, first 2 shown]
	global_load_ushort v36, v[6:7], off
	global_load_ushort v37, v[6:7], off offset:1024
	global_load_ushort v38, v[6:7], off offset:2048
	v_add_co_u32_e32 v4, vcc, s2, v2
	s_movk_i32 s2, 0x4000
	s_nop 0
	v_addc_co_u32_e32 v5, vcc, 0, v3, vcc
	v_add_co_u32_e32 v10, vcc, s2, v2
	s_movk_i32 s3, 0x6000
	s_nop 0
	v_addc_co_u32_e32 v11, vcc, 0, v3, vcc
	global_load_ushort v39, v[6:7], off offset:3072
	global_load_ushort v40, v[10:11], off offset:-4096
	global_load_ushort v41, v[4:5], off offset:1024
	global_load_ushort v42, v[4:5], off offset:2048
	;; [unrolled: 1-line block ×3, first 2 shown]
	global_load_ushort v44, v[10:11], off
	global_load_ushort v45, v[10:11], off offset:1024
	global_load_ushort v46, v[10:11], off offset:2048
	v_add_co_u32_e32 v4, vcc, s3, v2
	s_movk_i32 s2, 0x5000
	s_nop 0
	v_addc_co_u32_e32 v5, vcc, 0, v3, vcc
	global_load_ushort v47, v[10:11], off offset:3072
	global_load_ushort v48, v[4:5], off offset:-4096
	v_add_co_u32_e32 v6, vcc, s2, v2
	s_movk_i32 s2, 0x7000
	s_nop 0
	v_addc_co_u32_e32 v7, vcc, 0, v3, vcc
	global_load_ushort v10, v[6:7], off offset:1024
	global_load_ushort v11, v[6:7], off offset:2048
	;; [unrolled: 1-line block ×3, first 2 shown]
	global_load_ushort v50, v[4:5], off
	global_load_ushort v51, v[4:5], off offset:1024
	global_load_ushort v52, v[4:5], off offset:2048
	;; [unrolled: 1-line block ×3, first 2 shown]
	v_add_co_u32_e32 v2, vcc, s2, v2
	s_mov_b64 s[2:3], 0
	s_nop 0
	v_addc_co_u32_e32 v3, vcc, 0, v3, vcc
	global_load_ushort v4, v[2:3], off
	global_load_ushort v5, v[2:3], off offset:1024
	s_waitcnt vmcnt(29)
	v_cmp_ne_u16_e32 vcc, 0, v8
	s_nop 1
	v_cndmask_b32_e64 v2, 0, 1, vcc
	s_waitcnt vmcnt(28)
	v_cmp_ne_u16_e32 vcc, 0, v13
	s_nop 1
	v_cndmask_b32_e64 v3, 0, 1, vcc
	;; [unrolled: 4-line block ×7, first 2 shown]
	v_cmp_ne_u16_e32 vcc, 0, v32
	s_nop 1
	v_cndmask_b32_e64 v31, 0, 1, vcc
	s_waitcnt vmcnt(21)
	v_cmp_ne_u16_e32 vcc, 0, v36
	s_nop 1
	v_cndmask_b32_e64 v32, 0, 1, vcc
	s_waitcnt vmcnt(20)
	;; [unrolled: 4-line block ×22, first 2 shown]
	v_cmp_ne_u16_e32 vcc, 0, v5
	s_nop 1
	v_cndmask_b32_e64 v5, 0, 1, vcc
	ds_write_b8 v0, v2
	ds_write_b8 v0, v3 offset:512
	ds_write_b8 v0, v6 offset:1024
	;; [unrolled: 1-line block ×29, first 2 shown]
	s_waitcnt lgkmcnt(0)
	s_barrier
.LBB554_70:
	s_andn2_b64 vcc, exec, s[2:3]
	s_cbranch_vccnz .LBB554_132
; %bb.71:
	v_cmp_gt_u32_e32 vcc, s33, v0
	v_mov_b32_e32 v2, 0
	v_mov_b32_e32 v3, 0
	s_and_saveexec_b64 s[2:3], vcc
	s_cbranch_execz .LBB554_73
; %bb.72:
	global_load_ushort v3, v12, s[0:1]
	s_waitcnt vmcnt(0)
	v_cmp_ne_u16_e32 vcc, 0, v3
	s_nop 1
	v_cndmask_b32_e64 v3, 0, 1, vcc
.LBB554_73:
	s_or_b64 exec, exec, s[2:3]
	v_or_b32_e32 v4, 0x200, v0
	v_cmp_gt_u32_e32 vcc, s33, v4
	s_and_saveexec_b64 s[2:3], vcc
	s_cbranch_execz .LBB554_75
; %bb.74:
	global_load_ushort v2, v12, s[0:1] offset:1024
	s_waitcnt vmcnt(0)
	v_cmp_ne_u16_e32 vcc, 0, v2
	s_nop 1
	v_cndmask_b32_e64 v2, 0, 1, vcc
.LBB554_75:
	s_or_b64 exec, exec, s[2:3]
	v_or_b32_e32 v4, 0x400, v0
	v_cmp_gt_u32_e32 vcc, s33, v4
	v_mov_b32_e32 v4, 0
	v_mov_b32_e32 v5, 0
	s_and_saveexec_b64 s[2:3], vcc
	s_cbranch_execz .LBB554_77
; %bb.76:
	global_load_ushort v5, v12, s[0:1] offset:2048
	s_waitcnt vmcnt(0)
	v_cmp_ne_u16_e32 vcc, 0, v5
	s_nop 1
	v_cndmask_b32_e64 v5, 0, 1, vcc
.LBB554_77:
	s_or_b64 exec, exec, s[2:3]
	v_or_b32_e32 v6, 0x600, v0
	v_cmp_gt_u32_e32 vcc, s33, v6
	s_and_saveexec_b64 s[2:3], vcc
	s_cbranch_execz .LBB554_79
; %bb.78:
	global_load_ushort v4, v12, s[0:1] offset:3072
	s_waitcnt vmcnt(0)
	v_cmp_ne_u16_e32 vcc, 0, v4
	s_nop 1
	v_cndmask_b32_e64 v4, 0, 1, vcc
.LBB554_79:
	s_or_b64 exec, exec, s[2:3]
	v_or_b32_e32 v8, 0x800, v0
	v_cmp_gt_u32_e32 vcc, s33, v8
	v_mov_b32_e32 v6, 0
	v_mov_b32_e32 v7, 0
	s_and_saveexec_b64 s[2:3], vcc
	s_cbranch_execz .LBB554_81
; %bb.80:
	v_lshlrev_b32_e32 v7, 1, v8
	global_load_ushort v7, v7, s[0:1]
	s_waitcnt vmcnt(0)
	v_cmp_ne_u16_e32 vcc, 0, v7
	s_nop 1
	v_cndmask_b32_e64 v7, 0, 1, vcc
.LBB554_81:
	s_or_b64 exec, exec, s[2:3]
	v_or_b32_e32 v8, 0xa00, v0
	v_cmp_gt_u32_e32 vcc, s33, v8
	s_and_saveexec_b64 s[2:3], vcc
	s_cbranch_execz .LBB554_83
; %bb.82:
	v_lshlrev_b32_e32 v6, 1, v8
	global_load_ushort v6, v6, s[0:1]
	s_waitcnt vmcnt(0)
	v_cmp_ne_u16_e32 vcc, 0, v6
	s_nop 1
	v_cndmask_b32_e64 v6, 0, 1, vcc
.LBB554_83:
	s_or_b64 exec, exec, s[2:3]
	v_or_b32_e32 v11, 0xc00, v0
	v_cmp_gt_u32_e32 vcc, s33, v11
	v_mov_b32_e32 v8, 0
	v_mov_b32_e32 v10, 0
	s_and_saveexec_b64 s[2:3], vcc
	s_cbranch_execz .LBB554_85
; %bb.84:
	v_lshlrev_b32_e32 v10, 1, v11
	global_load_ushort v10, v10, s[0:1]
	s_waitcnt vmcnt(0)
	v_cmp_ne_u16_e32 vcc, 0, v10
	s_nop 1
	v_cndmask_b32_e64 v10, 0, 1, vcc
.LBB554_85:
	s_or_b64 exec, exec, s[2:3]
	v_or_b32_e32 v11, 0xe00, v0
	v_cmp_gt_u32_e32 vcc, s33, v11
	s_and_saveexec_b64 s[2:3], vcc
	s_cbranch_execz .LBB554_87
; %bb.86:
	v_lshlrev_b32_e32 v8, 1, v11
	global_load_ushort v8, v8, s[0:1]
	s_waitcnt vmcnt(0)
	v_cmp_ne_u16_e32 vcc, 0, v8
	s_nop 1
	v_cndmask_b32_e64 v8, 0, 1, vcc
.LBB554_87:
	;; [unrolled: 28-line block ×13, first 2 shown]
	s_or_b64 exec, exec, s[2:3]
	ds_write_b8 v0, v3
	ds_write_b8 v0, v2 offset:512
	ds_write_b8 v0, v5 offset:1024
	;; [unrolled: 1-line block ×29, first 2 shown]
	s_waitcnt lgkmcnt(0)
	s_barrier
.LBB554_132:
	ds_read_b128 v[2:5], v9
	ds_read_b96 v[6:8], v9 offset:16
	ds_read_u16 v38, v9 offset:28
	s_cmp_lg_u32 s42, 0
	v_lshrrev_b32_e32 v67, 6, v0
	s_waitcnt lgkmcnt(0)
	v_lshrrev_b32_e32 v46, 24, v2
	v_bfe_u32 v65, v2, 16, 8
	v_add_u32_sdwa v10, v2, v2 dst_sel:DWORD dst_unused:UNUSED_PAD src0_sel:BYTE_1 src1_sel:BYTE_0
	v_and_b32_e32 v62, 0xff, v3
	v_bfe_u32 v63, v3, 8, 8
	v_add3_u32 v10, v10, v65, v46
	v_lshrrev_b32_e32 v45, 24, v3
	v_bfe_u32 v64, v3, 16, 8
	v_add3_u32 v10, v10, v62, v63
	v_and_b32_e32 v59, 0xff, v4
	v_bfe_u32 v60, v4, 8, 8
	v_add3_u32 v10, v10, v64, v45
	v_lshrrev_b32_e32 v44, 24, v4
	v_bfe_u32 v61, v4, 16, 8
	v_add3_u32 v10, v10, v59, v60
	;; [unrolled: 6-line block ×6, first 2 shown]
	v_lshrrev_b16_e32 v13, 8, v38
	v_and_b32_e32 v40, 0xff, v38
	v_add3_u32 v10, v10, v49, v39
	v_add3_u32 v68, v10, v40, v13
	v_mbcnt_lo_u32_b32 v10, -1, 0
	v_mbcnt_hi_u32_b32 v66, -1, v10
	v_and_b32_e32 v10, 15, v66
	v_cmp_eq_u32_e64 s[14:15], 0, v10
	v_cmp_lt_u32_e64 s[12:13], 1, v10
	v_cmp_lt_u32_e64 s[10:11], 3, v10
	;; [unrolled: 1-line block ×3, first 2 shown]
	v_and_b32_e32 v10, 16, v66
	v_cmp_eq_u32_e64 s[6:7], 0, v10
	v_or_b32_e32 v10, 63, v0
	v_cmp_lt_u32_e64 s[2:3], 31, v66
	v_cmp_eq_u32_e64 s[4:5], v10, v0
	s_barrier
	s_cbranch_scc0 .LBB554_163
; %bb.133:
	v_mov_b32_dpp v10, v68 row_shr:1 row_mask:0xf bank_mask:0xf
	v_cndmask_b32_e64 v10, v10, 0, s[14:15]
	v_add_u32_e32 v10, v10, v68
	s_nop 1
	v_mov_b32_dpp v11, v10 row_shr:2 row_mask:0xf bank_mask:0xf
	v_cndmask_b32_e64 v11, 0, v11, s[12:13]
	v_add_u32_e32 v10, v10, v11
	s_nop 1
	;; [unrolled: 4-line block ×4, first 2 shown]
	v_mov_b32_dpp v11, v10 row_bcast:15 row_mask:0xf bank_mask:0xf
	v_cndmask_b32_e64 v11, v11, 0, s[6:7]
	v_add_u32_e32 v10, v10, v11
	s_nop 1
	v_mov_b32_dpp v11, v10 row_bcast:31 row_mask:0xf bank_mask:0xf
	v_cndmask_b32_e64 v11, 0, v11, s[2:3]
	v_add_u32_e32 v10, v10, v11
	s_and_saveexec_b64 s[0:1], s[4:5]
	s_cbranch_execz .LBB554_135
; %bb.134:
	v_lshlrev_b32_e32 v11, 2, v67
	ds_write_b32 v11, v10
.LBB554_135:
	s_or_b64 exec, exec, s[0:1]
	v_cmp_gt_u32_e32 vcc, 8, v0
	s_waitcnt lgkmcnt(0)
	s_barrier
	s_and_saveexec_b64 s[0:1], vcc
	s_cbranch_execz .LBB554_137
; %bb.136:
	v_lshlrev_b32_e32 v11, 2, v0
	ds_read_b32 v30, v11
	v_and_b32_e32 v31, 7, v66
	v_cmp_ne_u32_e32 vcc, 0, v31
	s_waitcnt lgkmcnt(0)
	v_mov_b32_dpp v32, v30 row_shr:1 row_mask:0xf bank_mask:0xf
	v_cndmask_b32_e32 v32, 0, v32, vcc
	v_add_u32_e32 v30, v32, v30
	v_cmp_lt_u32_e32 vcc, 1, v31
	s_nop 0
	v_mov_b32_dpp v32, v30 row_shr:2 row_mask:0xf bank_mask:0xf
	v_cndmask_b32_e32 v32, 0, v32, vcc
	v_add_u32_e32 v30, v30, v32
	v_cmp_lt_u32_e32 vcc, 3, v31
	s_nop 0
	v_mov_b32_dpp v32, v30 row_shr:4 row_mask:0xf bank_mask:0xf
	v_cndmask_b32_e32 v31, 0, v32, vcc
	v_add_u32_e32 v30, v30, v31
	ds_write_b32 v11, v30
.LBB554_137:
	s_or_b64 exec, exec, s[0:1]
	v_cmp_gt_u32_e32 vcc, 64, v0
	v_cmp_lt_u32_e64 s[0:1], 63, v0
	s_waitcnt lgkmcnt(0)
	s_barrier
	s_waitcnt lgkmcnt(0)
                                        ; implicit-def: $vgpr69
	s_and_saveexec_b64 s[16:17], s[0:1]
	s_cbranch_execz .LBB554_139
; %bb.138:
	v_lshl_add_u32 v11, v67, 2, -4
	ds_read_b32 v69, v11
	s_waitcnt lgkmcnt(0)
	v_add_u32_e32 v10, v69, v10
.LBB554_139:
	s_or_b64 exec, exec, s[16:17]
	v_add_u32_e32 v11, -1, v66
	v_and_b32_e32 v30, 64, v66
	v_cmp_lt_i32_e64 s[0:1], v11, v30
	v_cmp_eq_u32_e64 s[16:17], 0, v66
	s_nop 0
	v_cndmask_b32_e64 v11, v11, v66, s[0:1]
	v_lshlrev_b32_e32 v11, 2, v11
	ds_bpermute_b32 v70, v11, v10
	s_and_saveexec_b64 s[0:1], vcc
	s_cbranch_execz .LBB554_162
; %bb.140:
	v_mov_b32_e32 v37, 0
	ds_read_b32 v10, v37 offset:28
	s_and_saveexec_b64 s[38:39], s[16:17]
	s_cbranch_execz .LBB554_142
; %bb.141:
	s_add_i32 s40, s42, 64
	s_mov_b32 s41, 0
	s_lshl_b64 s[40:41], s[40:41], 3
	s_add_u32 s40, s36, s40
	v_mov_b32_e32 v11, 1
	s_addc_u32 s41, s37, s41
	s_waitcnt lgkmcnt(0)
	global_store_dwordx2 v37, v[10:11], s[40:41] sc1
.LBB554_142:
	s_or_b64 exec, exec, s[38:39]
	v_xad_u32 v30, v66, -1, s42
	v_add_u32_e32 v36, 64, v30
	v_lshl_add_u64 v[32:33], v[36:37], 3, s[36:37]
	global_load_dwordx2 v[34:35], v[32:33], off sc1
	s_waitcnt vmcnt(0)
	v_cmp_eq_u16_sdwa s[40:41], v35, v37 src0_sel:BYTE_0 src1_sel:DWORD
	s_and_saveexec_b64 s[38:39], s[40:41]
	s_cbranch_execz .LBB554_148
; %bb.143:
	s_mov_b32 s25, 1
	s_mov_b64 s[40:41], 0
	v_mov_b32_e32 v11, 0
.LBB554_144:                            ; =>This Loop Header: Depth=1
                                        ;     Child Loop BB554_145 Depth 2
	s_max_u32 s43, s25, 1
.LBB554_145:                            ;   Parent Loop BB554_144 Depth=1
                                        ; =>  This Inner Loop Header: Depth=2
	s_add_i32 s43, s43, -1
	s_cmp_eq_u32 s43, 0
	s_sleep 1
	s_cbranch_scc0 .LBB554_145
; %bb.146:                              ;   in Loop: Header=BB554_144 Depth=1
	global_load_dwordx2 v[34:35], v[32:33], off sc1
	s_cmp_lt_u32 s25, 32
	s_cselect_b64 s[44:45], -1, 0
	s_cmp_lg_u64 s[44:45], 0
	s_addc_u32 s25, s25, 0
	s_waitcnt vmcnt(0)
	v_cmp_ne_u16_sdwa s[44:45], v35, v11 src0_sel:BYTE_0 src1_sel:DWORD
	s_or_b64 s[40:41], s[44:45], s[40:41]
	s_andn2_b64 exec, exec, s[40:41]
	s_cbranch_execnz .LBB554_144
; %bb.147:
	s_or_b64 exec, exec, s[40:41]
.LBB554_148:
	s_or_b64 exec, exec, s[38:39]
	v_and_b32_e32 v72, 63, v66
	v_mov_b32_e32 v71, 2
	v_cmp_ne_u32_e32 vcc, 63, v72
	v_cmp_eq_u16_sdwa s[38:39], v35, v71 src0_sel:BYTE_0 src1_sel:DWORD
	v_lshlrev_b64 v[32:33], v66, -1
	v_addc_co_u32_e32 v36, vcc, 0, v66, vcc
	v_and_b32_e32 v11, s39, v33
	v_lshlrev_b32_e32 v73, 2, v36
	v_or_b32_e32 v11, 0x80000000, v11
	ds_bpermute_b32 v36, v73, v34
	v_and_b32_e32 v31, s38, v32
	v_ffbl_b32_e32 v11, v11
	v_add_u32_e32 v11, 32, v11
	v_ffbl_b32_e32 v31, v31
	v_min_u32_e32 v11, v31, v11
	v_cmp_lt_u32_e32 vcc, v72, v11
	v_add_u32_e32 v75, 2, v72
	v_add_u32_e32 v77, 4, v72
	s_waitcnt lgkmcnt(0)
	v_cndmask_b32_e32 v31, 0, v36, vcc
	v_cmp_gt_u32_e32 vcc, 62, v72
	v_add_u32_e32 v31, v31, v34
	v_add_u32_e32 v79, 8, v72
	v_cndmask_b32_e64 v34, 0, 1, vcc
	v_lshlrev_b32_e32 v34, 1, v34
	v_add_lshl_u32 v74, v34, v66, 2
	ds_bpermute_b32 v34, v74, v31
	v_cmp_le_u32_e32 vcc, v75, v11
	v_add_u32_e32 v81, 16, v72
	v_add_u32_e32 v83, 32, v72
	s_waitcnt lgkmcnt(0)
	v_cndmask_b32_e32 v34, 0, v34, vcc
	v_cmp_gt_u32_e32 vcc, 60, v72
	v_add_u32_e32 v31, v31, v34
	s_nop 0
	v_cndmask_b32_e64 v34, 0, 1, vcc
	v_lshlrev_b32_e32 v34, 2, v34
	v_add_lshl_u32 v76, v34, v66, 2
	ds_bpermute_b32 v34, v76, v31
	v_cmp_le_u32_e32 vcc, v77, v11
	s_waitcnt lgkmcnt(0)
	s_nop 0
	v_cndmask_b32_e32 v34, 0, v34, vcc
	v_cmp_gt_u32_e32 vcc, 56, v72
	v_add_u32_e32 v31, v31, v34
	s_nop 0
	v_cndmask_b32_e64 v34, 0, 1, vcc
	v_lshlrev_b32_e32 v34, 3, v34
	v_add_lshl_u32 v78, v34, v66, 2
	ds_bpermute_b32 v34, v78, v31
	v_cmp_le_u32_e32 vcc, v79, v11
	s_waitcnt lgkmcnt(0)
	s_nop 0
	;; [unrolled: 11-line block ×4, first 2 shown]
	v_cndmask_b32_e32 v11, 0, v34, vcc
	v_add_u32_e32 v34, v31, v11
	v_mov_b32_e32 v31, 0
	s_branch .LBB554_150
.LBB554_149:                            ;   in Loop: Header=BB554_150 Depth=1
	s_or_b64 exec, exec, s[38:39]
	v_cmp_eq_u16_sdwa s[38:39], v35, v71 src0_sel:BYTE_0 src1_sel:DWORD
	ds_bpermute_b32 v84, v73, v34
	v_subrev_u32_e32 v30, 64, v30
	v_and_b32_e32 v36, s39, v33
	v_or_b32_e32 v36, 0x80000000, v36
	v_and_b32_e32 v37, s38, v32
	v_ffbl_b32_e32 v36, v36
	v_add_u32_e32 v36, 32, v36
	v_ffbl_b32_e32 v37, v37
	v_min_u32_e32 v36, v37, v36
	v_cmp_lt_u32_e32 vcc, v72, v36
	s_waitcnt lgkmcnt(0)
	s_nop 0
	v_cndmask_b32_e32 v37, 0, v84, vcc
	v_add_u32_e32 v34, v37, v34
	ds_bpermute_b32 v37, v74, v34
	v_cmp_le_u32_e32 vcc, v75, v36
	s_waitcnt lgkmcnt(0)
	s_nop 0
	v_cndmask_b32_e32 v37, 0, v37, vcc
	v_add_u32_e32 v34, v34, v37
	ds_bpermute_b32 v37, v76, v34
	v_cmp_le_u32_e32 vcc, v77, v36
	;; [unrolled: 6-line block ×5, first 2 shown]
	s_waitcnt lgkmcnt(0)
	s_nop 0
	v_cndmask_b32_e32 v36, 0, v37, vcc
	v_add3_u32 v34, v36, v11, v34
.LBB554_150:                            ; =>This Loop Header: Depth=1
                                        ;     Child Loop BB554_153 Depth 2
                                        ;       Child Loop BB554_154 Depth 3
	v_cmp_ne_u16_sdwa s[38:39], v35, v71 src0_sel:BYTE_0 src1_sel:DWORD
	s_nop 1
	v_cndmask_b32_e64 v11, 0, 1, s[38:39]
	;;#ASMSTART
	;;#ASMEND
	s_nop 0
	v_cmp_ne_u32_e32 vcc, 0, v11
	s_cmp_lg_u64 vcc, exec
	v_mov_b32_e32 v11, v34
	s_cbranch_scc1 .LBB554_157
; %bb.151:                              ;   in Loop: Header=BB554_150 Depth=1
	v_lshl_add_u64 v[36:37], v[30:31], 3, s[36:37]
	global_load_dwordx2 v[34:35], v[36:37], off sc1
	s_waitcnt vmcnt(0)
	v_cmp_eq_u16_sdwa s[40:41], v35, v31 src0_sel:BYTE_0 src1_sel:DWORD
	s_and_saveexec_b64 s[38:39], s[40:41]
	s_cbranch_execz .LBB554_149
; %bb.152:                              ;   in Loop: Header=BB554_150 Depth=1
	s_mov_b32 s25, 1
	s_mov_b64 s[40:41], 0
.LBB554_153:                            ;   Parent Loop BB554_150 Depth=1
                                        ; =>  This Loop Header: Depth=2
                                        ;       Child Loop BB554_154 Depth 3
	s_max_u32 s43, s25, 1
.LBB554_154:                            ;   Parent Loop BB554_150 Depth=1
                                        ;     Parent Loop BB554_153 Depth=2
                                        ; =>    This Inner Loop Header: Depth=3
	s_add_i32 s43, s43, -1
	s_cmp_eq_u32 s43, 0
	s_sleep 1
	s_cbranch_scc0 .LBB554_154
; %bb.155:                              ;   in Loop: Header=BB554_153 Depth=2
	global_load_dwordx2 v[34:35], v[36:37], off sc1
	s_cmp_lt_u32 s25, 32
	s_cselect_b64 s[44:45], -1, 0
	s_cmp_lg_u64 s[44:45], 0
	s_addc_u32 s25, s25, 0
	s_waitcnt vmcnt(0)
	v_cmp_ne_u16_sdwa s[44:45], v35, v31 src0_sel:BYTE_0 src1_sel:DWORD
	s_or_b64 s[40:41], s[44:45], s[40:41]
	s_andn2_b64 exec, exec, s[40:41]
	s_cbranch_execnz .LBB554_153
; %bb.156:                              ;   in Loop: Header=BB554_150 Depth=1
	s_or_b64 exec, exec, s[40:41]
	s_branch .LBB554_149
.LBB554_157:                            ;   in Loop: Header=BB554_150 Depth=1
                                        ; implicit-def: $vgpr34
                                        ; implicit-def: $vgpr35
	s_cbranch_execz .LBB554_150
; %bb.158:
	s_and_saveexec_b64 s[38:39], s[16:17]
	s_cbranch_execz .LBB554_160
; %bb.159:
	s_add_i32 s40, s42, 64
	s_mov_b32 s41, 0
	s_lshl_b64 s[40:41], s[40:41], 3
	s_add_u32 s40, s36, s40
	v_add_u32_e32 v30, v11, v10
	v_mov_b32_e32 v31, 2
	s_addc_u32 s41, s37, s41
	v_mov_b32_e32 v32, 0
	global_store_dwordx2 v32, v[30:31], s[40:41] sc1
	ds_write_b64 v32, v[10:11] offset:30720
.LBB554_160:
	s_or_b64 exec, exec, s[38:39]
	s_and_b64 exec, exec, s[18:19]
	s_cbranch_execz .LBB554_162
; %bb.161:
	v_mov_b32_e32 v10, 0
	ds_write_b32 v10, v11 offset:28
.LBB554_162:
	s_or_b64 exec, exec, s[0:1]
	v_mov_b32_e32 v10, 0
	s_waitcnt lgkmcnt(0)
	s_barrier
	ds_read_b32 v30, v10 offset:28
	s_waitcnt lgkmcnt(0)
	s_barrier
	ds_read_b64 v[10:11], v10 offset:30720
	v_cndmask_b32_e64 v31, v70, v69, s[16:17]
	v_cndmask_b32_e64 v31, v31, 0, s[18:19]
	v_add_u32_e32 v35, v30, v31
	s_waitcnt lgkmcnt(0)
	v_mov_b32_e32 v70, v11
	s_branch .LBB554_173
.LBB554_163:
                                        ; implicit-def: $vgpr70
                                        ; implicit-def: $vgpr10
                                        ; implicit-def: $vgpr35
	s_cbranch_execz .LBB554_173
; %bb.164:
	s_nop 0
	v_mov_b32_dpp v10, v68 row_shr:1 row_mask:0xf bank_mask:0xf
	v_cndmask_b32_e64 v10, v10, 0, s[14:15]
	v_add_u32_e32 v10, v10, v68
	s_nop 1
	v_mov_b32_dpp v11, v10 row_shr:2 row_mask:0xf bank_mask:0xf
	v_cndmask_b32_e64 v11, 0, v11, s[12:13]
	v_add_u32_e32 v10, v10, v11
	;; [unrolled: 4-line block ×4, first 2 shown]
	s_nop 1
	v_mov_b32_dpp v11, v10 row_bcast:15 row_mask:0xf bank_mask:0xf
	v_cndmask_b32_e64 v11, v11, 0, s[6:7]
	v_add_u32_e32 v10, v10, v11
	s_nop 1
	v_mov_b32_dpp v11, v10 row_bcast:31 row_mask:0xf bank_mask:0xf
	v_cndmask_b32_e64 v11, 0, v11, s[2:3]
	v_add_u32_e32 v10, v10, v11
	s_and_saveexec_b64 s[0:1], s[4:5]
	s_cbranch_execz .LBB554_166
; %bb.165:
	v_lshlrev_b32_e32 v11, 2, v67
	ds_write_b32 v11, v10
.LBB554_166:
	s_or_b64 exec, exec, s[0:1]
	v_cmp_gt_u32_e32 vcc, 8, v0
	s_waitcnt lgkmcnt(0)
	s_barrier
	s_and_saveexec_b64 s[0:1], vcc
	s_cbranch_execz .LBB554_168
; %bb.167:
	v_lshlrev_b32_e32 v11, 2, v0
	ds_read_b32 v30, v11
	v_and_b32_e32 v31, 7, v66
	v_cmp_ne_u32_e32 vcc, 0, v31
	s_waitcnt lgkmcnt(0)
	v_mov_b32_dpp v32, v30 row_shr:1 row_mask:0xf bank_mask:0xf
	v_cndmask_b32_e32 v32, 0, v32, vcc
	v_add_u32_e32 v30, v32, v30
	v_cmp_lt_u32_e32 vcc, 1, v31
	s_nop 0
	v_mov_b32_dpp v32, v30 row_shr:2 row_mask:0xf bank_mask:0xf
	v_cndmask_b32_e32 v32, 0, v32, vcc
	v_add_u32_e32 v30, v30, v32
	v_cmp_lt_u32_e32 vcc, 3, v31
	s_nop 0
	v_mov_b32_dpp v32, v30 row_shr:4 row_mask:0xf bank_mask:0xf
	v_cndmask_b32_e32 v31, 0, v32, vcc
	v_add_u32_e32 v30, v30, v31
	ds_write_b32 v11, v30
.LBB554_168:
	s_or_b64 exec, exec, s[0:1]
	v_cmp_lt_u32_e32 vcc, 63, v0
	v_mov_b32_e32 v11, 0
	v_mov_b32_e32 v30, 0
	s_waitcnt lgkmcnt(0)
	s_barrier
	s_and_saveexec_b64 s[0:1], vcc
	s_cbranch_execz .LBB554_170
; %bb.169:
	v_lshl_add_u32 v30, v67, 2, -4
	ds_read_b32 v30, v30
.LBB554_170:
	s_or_b64 exec, exec, s[0:1]
	v_add_u32_e32 v31, -1, v66
	v_and_b32_e32 v32, 64, v66
	v_cmp_lt_i32_e32 vcc, v31, v32
	s_waitcnt lgkmcnt(0)
	v_add_u32_e32 v10, v30, v10
	v_cndmask_b32_e32 v31, v31, v66, vcc
	v_lshlrev_b32_e32 v31, 2, v31
	ds_bpermute_b32 v31, v31, v10
	ds_read_b32 v10, v11 offset:28
	s_and_saveexec_b64 s[0:1], s[18:19]
	s_cbranch_execz .LBB554_172
; %bb.171:
	v_mov_b32_e32 v32, 0
	v_mov_b32_e32 v11, 2
	s_waitcnt lgkmcnt(0)
	global_store_dwordx2 v32, v[10:11], s[36:37] offset:512 sc1
.LBB554_172:
	s_or_b64 exec, exec, s[0:1]
	v_cmp_eq_u32_e32 vcc, 0, v66
	v_mov_b32_e32 v70, 0
	s_waitcnt lgkmcnt(0)
	v_cndmask_b32_e32 v11, v31, v30, vcc
	v_cndmask_b32_e64 v35, v11, 0, s[18:19]
	s_barrier
.LBB554_173:
	v_add_u32_sdwa v37, v35, v2 dst_sel:DWORD dst_unused:UNUSED_PAD src0_sel:DWORD src1_sel:BYTE_0
	v_add_u32_e32 v9, v10, v9
	v_sub_u32_e32 v35, v35, v70
	v_and_b32_e32 v76, 1, v2
	v_sub_u32_e32 v75, v9, v35
	v_cmp_eq_u32_e32 vcc, 1, v76
	v_lshrrev_b32_e32 v36, 8, v2
	v_add_u32_sdwa v66, v37, v2 dst_sel:DWORD dst_unused:UNUSED_PAD src0_sel:DWORD src1_sel:BYTE_1
	v_cndmask_b32_e32 v35, v75, v35, vcc
	v_lshlrev_b32_e32 v35, 1, v35
	ds_write_b16 v35, v28
	v_sub_u32_e32 v35, v37, v70
	v_sub_u32_e32 v37, v9, v35
	v_and_b32_e32 v36, 1, v36
	v_add_u32_e32 v37, 1, v37
	v_cmp_eq_u32_e32 vcc, 1, v36
	v_mov_b32_e32 v36, 1
	v_and_b32_sdwa v2, v36, v2 dst_sel:DWORD dst_unused:UNUSED_PAD src0_sel:DWORD src1_sel:WORD_1
	v_cndmask_b32_e32 v35, v37, v35, vcc
	v_lshlrev_b32_e32 v35, 1, v35
	ds_write_b16_d16_hi v35, v28
	v_sub_u32_e32 v28, v66, v70
	v_sub_u32_e32 v35, v9, v28
	v_add_u32_e32 v35, 2, v35
	v_cmp_eq_u32_e32 vcc, 1, v2
	v_add_u32_e32 v65, v66, v65
	v_add_u32_e32 v67, v65, v46
	v_cndmask_b32_e32 v2, v35, v28, vcc
	v_lshlrev_b32_e32 v2, 1, v2
	ds_write_b16 v2, v29
	v_sub_u32_e32 v2, v65, v70
	v_sub_u32_e32 v28, v9, v2
	v_and_b32_e32 v35, 1, v46
	v_add_u32_e32 v28, 3, v28
	v_cmp_eq_u32_e32 vcc, 1, v35
	v_add_u32_e32 v62, v67, v62
	v_lshrrev_b32_e32 v34, 8, v3
	v_cndmask_b32_e32 v2, v28, v2, vcc
	v_lshlrev_b32_e32 v2, 1, v2
	ds_write_b16_d16_hi v2, v29
	v_sub_u32_e32 v2, v67, v70
	v_sub_u32_e32 v28, v9, v2
	v_and_b32_e32 v29, 1, v3
	v_add_u32_e32 v28, 4, v28
	v_cmp_eq_u32_e32 vcc, 1, v29
	v_and_b32_e32 v29, 1, v34
	v_add_u32_e32 v63, v62, v63
	v_cndmask_b32_e32 v2, v28, v2, vcc
	v_lshlrev_b32_e32 v2, 1, v2
	ds_write_b16 v2, v26
	v_sub_u32_e32 v2, v62, v70
	v_sub_u32_e32 v28, v9, v2
	v_add_u32_e32 v28, 5, v28
	v_cmp_eq_u32_e32 vcc, 1, v29
	v_and_b32_sdwa v3, v36, v3 dst_sel:DWORD dst_unused:UNUSED_PAD src0_sel:DWORD src1_sel:WORD_1
	v_add_u32_e32 v64, v63, v64
	v_cndmask_b32_e32 v2, v28, v2, vcc
	v_lshlrev_b32_e32 v2, 1, v2
	ds_write_b16_d16_hi v2, v26
	v_sub_u32_e32 v2, v63, v70
	v_sub_u32_e32 v26, v9, v2
	v_add_u32_e32 v26, 6, v26
	v_cmp_eq_u32_e32 vcc, 1, v3
	v_add_u32_e32 v68, v64, v45
	v_add_u32_e32 v59, v68, v59
	v_cndmask_b32_e32 v2, v26, v2, vcc
	v_lshlrev_b32_e32 v2, 1, v2
	ds_write_b16 v2, v27
	v_sub_u32_e32 v2, v64, v70
	v_sub_u32_e32 v3, v9, v2
	v_and_b32_e32 v26, 1, v45
	v_add_u32_e32 v3, 7, v3
	v_cmp_eq_u32_e32 vcc, 1, v26
	v_and_b32_e32 v26, 1, v4
	v_lshrrev_b32_e32 v33, 8, v4
	v_cndmask_b32_e32 v2, v3, v2, vcc
	v_lshlrev_b32_e32 v2, 1, v2
	ds_write_b16_d16_hi v2, v27
	v_sub_u32_e32 v2, v68, v70
	v_sub_u32_e32 v3, v9, v2
	v_add_u32_e32 v3, 8, v3
	v_cmp_eq_u32_e32 vcc, 1, v26
	v_and_b32_e32 v26, 1, v33
	v_add_u32_e32 v60, v59, v60
	v_cndmask_b32_e32 v2, v3, v2, vcc
	v_lshlrev_b32_e32 v2, 1, v2
	ds_write_b16 v2, v24
	v_sub_u32_e32 v2, v59, v70
	v_sub_u32_e32 v3, v9, v2
	v_add_u32_e32 v3, 9, v3
	v_cmp_eq_u32_e32 vcc, 1, v26
	v_and_b32_sdwa v4, v36, v4 dst_sel:DWORD dst_unused:UNUSED_PAD src0_sel:DWORD src1_sel:WORD_1
	v_add_u32_e32 v61, v60, v61
	v_cndmask_b32_e32 v2, v3, v2, vcc
	v_lshlrev_b32_e32 v2, 1, v2
	ds_write_b16_d16_hi v2, v24
	v_sub_u32_e32 v2, v60, v70
	v_sub_u32_e32 v3, v9, v2
	v_add_u32_e32 v3, 10, v3
	v_cmp_eq_u32_e32 vcc, 1, v4
	v_and_b32_e32 v4, 1, v44
	v_add_u32_e32 v69, v61, v44
	v_cndmask_b32_e32 v2, v3, v2, vcc
	v_lshlrev_b32_e32 v2, 1, v2
	ds_write_b16 v2, v25
	v_sub_u32_e32 v2, v61, v70
	v_sub_u32_e32 v3, v9, v2
	v_add_u32_e32 v3, 11, v3
	v_cmp_eq_u32_e32 vcc, 1, v4
	v_and_b32_e32 v4, 1, v5
	v_add_u32_e32 v56, v69, v56
	v_cndmask_b32_e32 v2, v3, v2, vcc
	v_lshlrev_b32_e32 v2, 1, v2
	ds_write_b16_d16_hi v2, v25
	v_sub_u32_e32 v2, v69, v70
	v_sub_u32_e32 v3, v9, v2
	v_add_u32_e32 v3, 12, v3
	v_cmp_eq_u32_e32 vcc, 1, v4
	v_lshrrev_b32_e32 v32, 8, v5
	v_and_b32_e32 v4, 1, v32
	v_cndmask_b32_e32 v2, v3, v2, vcc
	v_lshlrev_b32_e32 v2, 1, v2
	ds_write_b16 v2, v22
	v_sub_u32_e32 v2, v56, v70
	v_sub_u32_e32 v3, v9, v2
	v_add_u32_e32 v3, 13, v3
	v_cmp_eq_u32_e32 vcc, 1, v4
	v_add_u32_e32 v57, v56, v57
	v_and_b32_sdwa v4, v36, v5 dst_sel:DWORD dst_unused:UNUSED_PAD src0_sel:DWORD src1_sel:WORD_1
	v_cndmask_b32_e32 v2, v3, v2, vcc
	v_lshlrev_b32_e32 v2, 1, v2
	ds_write_b16_d16_hi v2, v22
	v_sub_u32_e32 v2, v57, v70
	v_sub_u32_e32 v3, v9, v2
	v_add_u32_e32 v3, 14, v3
	v_cmp_eq_u32_e32 vcc, 1, v4
	v_add_u32_e32 v58, v57, v58
	v_and_b32_e32 v4, 1, v43
	v_cndmask_b32_e32 v2, v3, v2, vcc
	v_lshlrev_b32_e32 v2, 1, v2
	ds_write_b16 v2, v23
	v_sub_u32_e32 v2, v58, v70
	v_sub_u32_e32 v3, v9, v2
	v_add_u32_e32 v3, 15, v3
	v_cmp_eq_u32_e32 vcc, 1, v4
	v_add_u32_e32 v71, v58, v43
	v_and_b32_e32 v4, 1, v6
	v_cndmask_b32_e32 v2, v3, v2, vcc
	v_lshlrev_b32_e32 v2, 1, v2
	ds_write_b16_d16_hi v2, v23
	v_sub_u32_e32 v2, v71, v70
	v_sub_u32_e32 v3, v9, v2
	v_add_u32_e32 v3, 16, v3
	v_cmp_eq_u32_e32 vcc, 1, v4
	v_add_u32_e32 v53, v71, v53
	v_lshrrev_b32_e32 v31, 8, v6
	v_cndmask_b32_e32 v2, v3, v2, vcc
	v_lshlrev_b32_e32 v2, 1, v2
	ds_write_b16 v2, v20
	v_sub_u32_e32 v2, v53, v70
	v_sub_u32_e32 v3, v9, v2
	v_and_b32_e32 v4, 1, v31
	v_add_u32_e32 v3, 17, v3
	v_cmp_eq_u32_e32 vcc, 1, v4
	v_add_u32_e32 v54, v53, v54
	v_and_b32_sdwa v4, v36, v6 dst_sel:DWORD dst_unused:UNUSED_PAD src0_sel:DWORD src1_sel:WORD_1
	v_cndmask_b32_e32 v2, v3, v2, vcc
	v_lshlrev_b32_e32 v2, 1, v2
	ds_write_b16_d16_hi v2, v20
	v_sub_u32_e32 v2, v54, v70
	v_sub_u32_e32 v3, v9, v2
	v_add_u32_e32 v3, 18, v3
	v_cmp_eq_u32_e32 vcc, 1, v4
	v_add_u32_e32 v55, v54, v55
	v_and_b32_e32 v4, 1, v42
	v_cndmask_b32_e32 v2, v3, v2, vcc
	v_lshlrev_b32_e32 v2, 1, v2
	ds_write_b16 v2, v21
	v_sub_u32_e32 v2, v55, v70
	v_sub_u32_e32 v3, v9, v2
	v_add_u32_e32 v3, 19, v3
	v_cmp_eq_u32_e32 vcc, 1, v4
	v_add_u32_e32 v72, v55, v42
	v_and_b32_e32 v4, 1, v7
	v_cndmask_b32_e32 v2, v3, v2, vcc
	v_lshlrev_b32_e32 v2, 1, v2
	ds_write_b16_d16_hi v2, v21
	v_sub_u32_e32 v2, v72, v70
	v_sub_u32_e32 v3, v9, v2
	v_add_u32_e32 v3, 20, v3
	v_cmp_eq_u32_e32 vcc, 1, v4
	v_add_u32_e32 v50, v72, v50
	v_lshrrev_b32_e32 v30, 8, v7
	v_cndmask_b32_e32 v2, v3, v2, vcc
	v_lshlrev_b32_e32 v2, 1, v2
	ds_write_b16 v2, v18
	v_sub_u32_e32 v2, v50, v70
	v_sub_u32_e32 v3, v9, v2
	v_and_b32_e32 v4, 1, v30
	;; [unrolled: 37-line block ×3, first 2 shown]
	v_add_u32_e32 v3, 25, v3
	v_cmp_eq_u32_e32 vcc, 1, v4
	v_add_u32_e32 v48, v47, v48
	v_and_b32_sdwa v4, v36, v8 dst_sel:DWORD dst_unused:UNUSED_PAD src0_sel:DWORD src1_sel:WORD_1
	v_cndmask_b32_e32 v2, v3, v2, vcc
	v_lshlrev_b32_e32 v2, 1, v2
	ds_write_b16_d16_hi v2, v16
	v_sub_u32_e32 v2, v48, v70
	v_sub_u32_e32 v3, v9, v2
	v_add_u32_e32 v3, 26, v3
	v_cmp_eq_u32_e32 vcc, 1, v4
	v_add_u32_e32 v49, v48, v49
	v_and_b32_e32 v4, 1, v39
	v_cndmask_b32_e32 v2, v3, v2, vcc
	v_lshlrev_b32_e32 v2, 1, v2
	ds_write_b16 v2, v17
	v_sub_u32_e32 v2, v49, v70
	v_sub_u32_e32 v3, v9, v2
	v_add_u32_e32 v3, 27, v3
	v_cmp_eq_u32_e32 vcc, 1, v4
	v_add_u32_e32 v74, v49, v39
	v_and_b32_e32 v4, 1, v38
	v_cndmask_b32_e32 v2, v3, v2, vcc
	v_lshlrev_b32_e32 v2, 1, v2
	ds_write_b16_d16_hi v2, v17
	v_sub_u32_e32 v2, v74, v70
	v_sub_u32_e32 v3, v9, v2
	v_add_u32_e32 v3, 28, v3
	v_cmp_eq_u32_e32 vcc, 1, v4
	v_and_b32_e32 v4, 1, v13
	s_add_u32 s0, s26, s24
	v_cndmask_b32_e32 v2, v3, v2, vcc
	v_lshlrev_b32_e32 v2, 1, v2
	ds_write_b16 v2, v1
	v_sub_u32_e32 v2, v40, v70
	v_add_u32_e32 v2, v74, v2
	v_sub_u32_e32 v3, v9, v2
	v_add_u32_e32 v3, 29, v3
	v_cmp_eq_u32_e32 vcc, 1, v4
	s_addc_u32 s1, s27, 0
	s_sub_u32 s0, s30, s0
	v_cndmask_b32_e32 v2, v3, v2, vcc
	v_lshlrev_b32_e32 v2, 1, v2
	ds_write_b16_d16_hi v2, v1
	s_waitcnt lgkmcnt(0)
	s_barrier
	ds_read_u16 v101, v12
	ds_read_u16 v100, v12 offset:1024
	ds_read_u16 v99, v12 offset:2048
	;; [unrolled: 1-line block ×29, first 2 shown]
	v_mov_b32_e32 v1, 0
	v_mov_b32_e32 v71, v1
	v_mov_b32_e32 v11, v1
	s_subb_u32 s1, s31, s1
	s_waitcnt vmcnt(0)
	v_lshl_add_u64 v[2:3], v[14:15], 0, v[70:71]
	v_lshl_add_u64 v[6:7], s[0:1], 0, v[10:11]
	v_or_b32_e32 v68, 0x200, v0
	v_mov_b32_e32 v69, v1
	v_or_b32_e32 v66, 0x400, v0
	v_mov_b32_e32 v67, v1
	;; [unrolled: 2-line block ×29, first 2 shown]
	s_andn2_b64 vcc, exec, s[34:35]
	v_lshl_add_u64 v[6:7], v[6:7], 0, v[2:3]
	s_cbranch_vccnz .LBB554_298
; %bb.174:
	v_cmp_ge_u32_e32 vcc, v0, v10
                                        ; implicit-def: $vgpr12_vgpr13
	s_and_saveexec_b64 s[0:1], vcc
	s_xor_b64 s[0:1], exec, s[0:1]
; %bb.175:
	v_not_b32_e32 v12, v0
	v_ashrrev_i32_e32 v13, 31, v12
	v_lshl_add_u64 v[12:13], v[6:7], 0, v[12:13]
; %bb.176:
	s_andn2_saveexec_b64 s[0:1], s[0:1]
; %bb.177:
	v_lshl_add_u64 v[12:13], v[2:3], 0, v[0:1]
; %bb.178:
	s_or_b64 exec, exec, s[0:1]
	v_lshl_add_u64 v[12:13], v[12:13], 1, s[28:29]
	v_cmp_ge_u32_e32 vcc, v68, v10
	s_waitcnt lgkmcnt(14)
	global_store_short v[12:13], v101, off
                                        ; implicit-def: $vgpr12_vgpr13
	s_and_saveexec_b64 s[0:1], vcc
	s_xor_b64 s[0:1], exec, s[0:1]
; %bb.179:
	v_xor_b32_e32 v12, 0xfffffdff, v0
	v_ashrrev_i32_e32 v13, 31, v12
	v_lshl_add_u64 v[12:13], v[6:7], 0, v[12:13]
; %bb.180:
	s_andn2_saveexec_b64 s[0:1], s[0:1]
; %bb.181:
	v_lshl_add_u64 v[12:13], v[2:3], 0, v[68:69]
; %bb.182:
	s_or_b64 exec, exec, s[0:1]
	v_lshl_add_u64 v[12:13], v[12:13], 1, s[28:29]
	v_cmp_ge_u32_e32 vcc, v66, v10
	global_store_short v[12:13], v100, off
                                        ; implicit-def: $vgpr12_vgpr13
	s_and_saveexec_b64 s[0:1], vcc
	s_xor_b64 s[0:1], exec, s[0:1]
; %bb.183:
	v_xor_b32_e32 v12, 0xfffffbff, v0
	v_ashrrev_i32_e32 v13, 31, v12
	v_lshl_add_u64 v[12:13], v[6:7], 0, v[12:13]
; %bb.184:
	s_andn2_saveexec_b64 s[0:1], s[0:1]
; %bb.185:
	v_lshl_add_u64 v[12:13], v[2:3], 0, v[66:67]
; %bb.186:
	s_or_b64 exec, exec, s[0:1]
	v_lshl_add_u64 v[12:13], v[12:13], 1, s[28:29]
	v_cmp_ge_u32_e32 vcc, v64, v10
	;; [unrolled: 16-line block ×16, first 2 shown]
	s_waitcnt lgkmcnt(13)
	global_store_short v[12:13], v85, off
                                        ; implicit-def: $vgpr12_vgpr13
	s_and_saveexec_b64 s[0:1], vcc
	s_xor_b64 s[0:1], exec, s[0:1]
; %bb.243:
	v_xor_b32_e32 v12, 0xffffddff, v0
	v_ashrrev_i32_e32 v13, 31, v12
	v_lshl_add_u64 v[12:13], v[6:7], 0, v[12:13]
; %bb.244:
	s_andn2_saveexec_b64 s[0:1], s[0:1]
; %bb.245:
	v_lshl_add_u64 v[12:13], v[2:3], 0, v[36:37]
; %bb.246:
	s_or_b64 exec, exec, s[0:1]
	v_lshl_add_u64 v[12:13], v[12:13], 1, s[28:29]
	v_cmp_ge_u32_e32 vcc, v34, v10
	s_waitcnt lgkmcnt(12)
	global_store_short v[12:13], v84, off
                                        ; implicit-def: $vgpr12_vgpr13
	s_and_saveexec_b64 s[0:1], vcc
	s_xor_b64 s[0:1], exec, s[0:1]
; %bb.247:
	v_xor_b32_e32 v12, 0xffffdbff, v0
	v_ashrrev_i32_e32 v13, 31, v12
	v_lshl_add_u64 v[12:13], v[6:7], 0, v[12:13]
; %bb.248:
	s_andn2_saveexec_b64 s[0:1], s[0:1]
; %bb.249:
	v_lshl_add_u64 v[12:13], v[2:3], 0, v[34:35]
; %bb.250:
	s_or_b64 exec, exec, s[0:1]
	v_lshl_add_u64 v[12:13], v[12:13], 1, s[28:29]
	v_cmp_ge_u32_e32 vcc, v32, v10
	s_waitcnt lgkmcnt(11)
	global_store_short v[12:13], v83, off
                                        ; implicit-def: $vgpr12_vgpr13
	s_and_saveexec_b64 s[0:1], vcc
	s_xor_b64 s[0:1], exec, s[0:1]
; %bb.251:
	v_xor_b32_e32 v12, 0xffffd9ff, v0
	v_ashrrev_i32_e32 v13, 31, v12
	v_lshl_add_u64 v[12:13], v[6:7], 0, v[12:13]
; %bb.252:
	s_andn2_saveexec_b64 s[0:1], s[0:1]
; %bb.253:
	v_lshl_add_u64 v[12:13], v[2:3], 0, v[32:33]
; %bb.254:
	s_or_b64 exec, exec, s[0:1]
	v_lshl_add_u64 v[12:13], v[12:13], 1, s[28:29]
	v_cmp_ge_u32_e32 vcc, v30, v10
	s_waitcnt lgkmcnt(10)
	global_store_short v[12:13], v82, off
                                        ; implicit-def: $vgpr12_vgpr13
	s_and_saveexec_b64 s[0:1], vcc
	s_xor_b64 s[0:1], exec, s[0:1]
; %bb.255:
	v_xor_b32_e32 v12, 0xffffd7ff, v0
	v_ashrrev_i32_e32 v13, 31, v12
	v_lshl_add_u64 v[12:13], v[6:7], 0, v[12:13]
; %bb.256:
	s_andn2_saveexec_b64 s[0:1], s[0:1]
; %bb.257:
	v_lshl_add_u64 v[12:13], v[2:3], 0, v[30:31]
; %bb.258:
	s_or_b64 exec, exec, s[0:1]
	v_lshl_add_u64 v[12:13], v[12:13], 1, s[28:29]
	v_cmp_ge_u32_e32 vcc, v28, v10
	s_waitcnt lgkmcnt(9)
	global_store_short v[12:13], v81, off
                                        ; implicit-def: $vgpr12_vgpr13
	s_and_saveexec_b64 s[0:1], vcc
	s_xor_b64 s[0:1], exec, s[0:1]
; %bb.259:
	v_xor_b32_e32 v12, 0xffffd5ff, v0
	v_ashrrev_i32_e32 v13, 31, v12
	v_lshl_add_u64 v[12:13], v[6:7], 0, v[12:13]
; %bb.260:
	s_andn2_saveexec_b64 s[0:1], s[0:1]
; %bb.261:
	v_lshl_add_u64 v[12:13], v[2:3], 0, v[28:29]
; %bb.262:
	s_or_b64 exec, exec, s[0:1]
	v_lshl_add_u64 v[12:13], v[12:13], 1, s[28:29]
	v_cmp_ge_u32_e32 vcc, v26, v10
	s_waitcnt lgkmcnt(8)
	global_store_short v[12:13], v80, off
                                        ; implicit-def: $vgpr12_vgpr13
	s_and_saveexec_b64 s[0:1], vcc
	s_xor_b64 s[0:1], exec, s[0:1]
; %bb.263:
	v_xor_b32_e32 v12, 0xffffd3ff, v0
	v_ashrrev_i32_e32 v13, 31, v12
	v_lshl_add_u64 v[12:13], v[6:7], 0, v[12:13]
; %bb.264:
	s_andn2_saveexec_b64 s[0:1], s[0:1]
; %bb.265:
	v_lshl_add_u64 v[12:13], v[2:3], 0, v[26:27]
; %bb.266:
	s_or_b64 exec, exec, s[0:1]
	v_lshl_add_u64 v[12:13], v[12:13], 1, s[28:29]
	v_cmp_ge_u32_e32 vcc, v24, v10
	s_waitcnt lgkmcnt(7)
	global_store_short v[12:13], v79, off
                                        ; implicit-def: $vgpr12_vgpr13
	s_and_saveexec_b64 s[0:1], vcc
	s_xor_b64 s[0:1], exec, s[0:1]
; %bb.267:
	v_xor_b32_e32 v12, 0xffffd1ff, v0
	v_ashrrev_i32_e32 v13, 31, v12
	v_lshl_add_u64 v[12:13], v[6:7], 0, v[12:13]
; %bb.268:
	s_andn2_saveexec_b64 s[0:1], s[0:1]
; %bb.269:
	v_lshl_add_u64 v[12:13], v[2:3], 0, v[24:25]
; %bb.270:
	s_or_b64 exec, exec, s[0:1]
	v_lshl_add_u64 v[12:13], v[12:13], 1, s[28:29]
	v_cmp_ge_u32_e32 vcc, v22, v10
	s_waitcnt lgkmcnt(6)
	global_store_short v[12:13], v78, off
                                        ; implicit-def: $vgpr12_vgpr13
	s_and_saveexec_b64 s[0:1], vcc
	s_xor_b64 s[0:1], exec, s[0:1]
; %bb.271:
	v_xor_b32_e32 v12, 0xffffcfff, v0
	v_ashrrev_i32_e32 v13, 31, v12
	v_lshl_add_u64 v[12:13], v[6:7], 0, v[12:13]
; %bb.272:
	s_andn2_saveexec_b64 s[0:1], s[0:1]
; %bb.273:
	v_lshl_add_u64 v[12:13], v[2:3], 0, v[22:23]
; %bb.274:
	s_or_b64 exec, exec, s[0:1]
	v_lshl_add_u64 v[12:13], v[12:13], 1, s[28:29]
	v_cmp_ge_u32_e32 vcc, v20, v10
	s_waitcnt lgkmcnt(5)
	global_store_short v[12:13], v77, off
                                        ; implicit-def: $vgpr12_vgpr13
	s_and_saveexec_b64 s[0:1], vcc
	s_xor_b64 s[0:1], exec, s[0:1]
; %bb.275:
	v_xor_b32_e32 v12, 0xffffcdff, v0
	v_ashrrev_i32_e32 v13, 31, v12
	v_lshl_add_u64 v[12:13], v[6:7], 0, v[12:13]
; %bb.276:
	s_andn2_saveexec_b64 s[0:1], s[0:1]
; %bb.277:
	v_lshl_add_u64 v[12:13], v[2:3], 0, v[20:21]
; %bb.278:
	s_or_b64 exec, exec, s[0:1]
	v_lshl_add_u64 v[12:13], v[12:13], 1, s[28:29]
	v_cmp_ge_u32_e32 vcc, v18, v10
	s_waitcnt lgkmcnt(4)
	global_store_short v[12:13], v76, off
                                        ; implicit-def: $vgpr12_vgpr13
	s_and_saveexec_b64 s[0:1], vcc
	s_xor_b64 s[0:1], exec, s[0:1]
; %bb.279:
	v_xor_b32_e32 v12, 0xffffcbff, v0
	v_ashrrev_i32_e32 v13, 31, v12
	v_lshl_add_u64 v[12:13], v[6:7], 0, v[12:13]
; %bb.280:
	s_andn2_saveexec_b64 s[0:1], s[0:1]
; %bb.281:
	v_lshl_add_u64 v[12:13], v[2:3], 0, v[18:19]
; %bb.282:
	s_or_b64 exec, exec, s[0:1]
	v_lshl_add_u64 v[12:13], v[12:13], 1, s[28:29]
	v_cmp_ge_u32_e32 vcc, v16, v10
	s_waitcnt lgkmcnt(3)
	global_store_short v[12:13], v75, off
                                        ; implicit-def: $vgpr12_vgpr13
	s_and_saveexec_b64 s[0:1], vcc
	s_xor_b64 s[0:1], exec, s[0:1]
; %bb.283:
	v_xor_b32_e32 v12, 0xffffc9ff, v0
	v_ashrrev_i32_e32 v13, 31, v12
	v_lshl_add_u64 v[12:13], v[6:7], 0, v[12:13]
; %bb.284:
	s_andn2_saveexec_b64 s[0:1], s[0:1]
; %bb.285:
	v_lshl_add_u64 v[12:13], v[2:3], 0, v[16:17]
; %bb.286:
	s_or_b64 exec, exec, s[0:1]
	v_lshl_add_u64 v[12:13], v[12:13], 1, s[28:29]
	v_cmp_ge_u32_e32 vcc, v8, v10
	s_waitcnt lgkmcnt(2)
	global_store_short v[12:13], v74, off
                                        ; implicit-def: $vgpr12_vgpr13
	s_and_saveexec_b64 s[0:1], vcc
	s_xor_b64 s[0:1], exec, s[0:1]
; %bb.287:
	v_xor_b32_e32 v12, 0xffffc7ff, v0
	v_ashrrev_i32_e32 v13, 31, v12
	v_lshl_add_u64 v[12:13], v[6:7], 0, v[12:13]
; %bb.288:
	s_andn2_saveexec_b64 s[0:1], s[0:1]
; %bb.289:
	v_lshl_add_u64 v[12:13], v[2:3], 0, v[8:9]
; %bb.290:
	s_or_b64 exec, exec, s[0:1]
	v_lshl_add_u64 v[12:13], v[12:13], 1, s[28:29]
	v_cmp_ge_u32_e32 vcc, v4, v10
	s_waitcnt lgkmcnt(1)
	global_store_short v[12:13], v73, off
                                        ; implicit-def: $vgpr12_vgpr13
	s_and_saveexec_b64 s[0:1], vcc
	s_xor_b64 s[0:1], exec, s[0:1]
; %bb.291:
	v_xor_b32_e32 v12, 0xffffc5ff, v0
	v_ashrrev_i32_e32 v13, 31, v12
	v_lshl_add_u64 v[12:13], v[6:7], 0, v[12:13]
; %bb.292:
	s_andn2_saveexec_b64 s[0:1], s[0:1]
; %bb.293:
	v_lshl_add_u64 v[12:13], v[2:3], 0, v[4:5]
; %bb.294:
	s_or_b64 exec, exec, s[0:1]
	s_mov_b64 s[0:1], -1
.LBB554_295:
	s_and_saveexec_b64 s[2:3], s[0:1]
	s_cbranch_execz .LBB554_386
.LBB554_296:
	v_lshl_add_u64 v[0:1], v[12:13], 1, s[28:29]
	s_waitcnt lgkmcnt(0)
	global_store_short v[0:1], v72, off
	s_or_b64 exec, exec, s[2:3]
	s_and_b64 s[0:1], s[18:19], s[22:23]
	s_and_saveexec_b64 s[2:3], s[0:1]
	s_cbranch_execnz .LBB554_387
.LBB554_297:
	s_endpgm
.LBB554_298:
	s_mov_b64 s[0:1], 0
                                        ; implicit-def: $vgpr12_vgpr13
	s_cbranch_execz .LBB554_295
; %bb.299:
	v_cmp_gt_u32_e32 vcc, s33, v0
	s_and_saveexec_b64 s[2:3], vcc
	s_cbranch_execz .LBB554_388
; %bb.300:
	v_cmp_ge_u32_e32 vcc, v0, v10
                                        ; implicit-def: $vgpr12_vgpr13
	s_and_saveexec_b64 s[4:5], vcc
	s_xor_b64 s[4:5], exec, s[4:5]
; %bb.301:
	v_not_b32_e32 v12, v0
	v_ashrrev_i32_e32 v13, 31, v12
	v_lshl_add_u64 v[12:13], v[6:7], 0, v[12:13]
; %bb.302:
	s_andn2_saveexec_b64 s[4:5], s[4:5]
; %bb.303:
	v_lshl_add_u64 v[12:13], v[2:3], 0, v[0:1]
; %bb.304:
	s_or_b64 exec, exec, s[4:5]
	v_lshl_add_u64 v[12:13], v[12:13], 1, s[28:29]
	s_waitcnt lgkmcnt(14)
	global_store_short v[12:13], v101, off
	s_or_b64 exec, exec, s[2:3]
	v_cmp_gt_u32_e32 vcc, s33, v68
	s_and_saveexec_b64 s[2:3], vcc
	s_cbranch_execnz .LBB554_389
.LBB554_305:
	s_or_b64 exec, exec, s[2:3]
	v_cmp_gt_u32_e32 vcc, s33, v66
	s_and_saveexec_b64 s[2:3], vcc
	s_cbranch_execz .LBB554_394
.LBB554_306:
	v_cmp_ge_u32_e32 vcc, v66, v10
                                        ; implicit-def: $vgpr12_vgpr13
	s_and_saveexec_b64 s[4:5], vcc
	s_xor_b64 s[4:5], exec, s[4:5]
; %bb.307:
	v_xor_b32_e32 v12, 0xfffffbff, v0
	v_ashrrev_i32_e32 v13, 31, v12
	v_lshl_add_u64 v[12:13], v[6:7], 0, v[12:13]
                                        ; implicit-def: $vgpr66_vgpr67
; %bb.308:
	s_andn2_saveexec_b64 s[4:5], s[4:5]
; %bb.309:
	v_lshl_add_u64 v[12:13], v[2:3], 0, v[66:67]
; %bb.310:
	s_or_b64 exec, exec, s[4:5]
	v_lshl_add_u64 v[12:13], v[12:13], 1, s[28:29]
	s_waitcnt lgkmcnt(14)
	global_store_short v[12:13], v99, off
	s_or_b64 exec, exec, s[2:3]
	v_cmp_gt_u32_e32 vcc, s33, v64
	s_and_saveexec_b64 s[2:3], vcc
	s_cbranch_execnz .LBB554_395
.LBB554_311:
	s_or_b64 exec, exec, s[2:3]
	v_cmp_gt_u32_e32 vcc, s33, v62
	s_and_saveexec_b64 s[2:3], vcc
	s_cbranch_execz .LBB554_400
.LBB554_312:
	v_cmp_ge_u32_e32 vcc, v62, v10
                                        ; implicit-def: $vgpr12_vgpr13
	s_and_saveexec_b64 s[4:5], vcc
	s_xor_b64 s[4:5], exec, s[4:5]
; %bb.313:
	v_xor_b32_e32 v12, 0xfffff7ff, v0
	v_ashrrev_i32_e32 v13, 31, v12
	v_lshl_add_u64 v[12:13], v[6:7], 0, v[12:13]
                                        ; implicit-def: $vgpr62_vgpr63
; %bb.314:
	s_andn2_saveexec_b64 s[4:5], s[4:5]
; %bb.315:
	v_lshl_add_u64 v[12:13], v[2:3], 0, v[62:63]
; %bb.316:
	s_or_b64 exec, exec, s[4:5]
	v_lshl_add_u64 v[12:13], v[12:13], 1, s[28:29]
	s_waitcnt lgkmcnt(14)
	global_store_short v[12:13], v97, off
	s_or_b64 exec, exec, s[2:3]
	v_cmp_gt_u32_e32 vcc, s33, v60
	s_and_saveexec_b64 s[2:3], vcc
	s_cbranch_execnz .LBB554_401
.LBB554_317:
	s_or_b64 exec, exec, s[2:3]
	v_cmp_gt_u32_e32 vcc, s33, v58
	s_and_saveexec_b64 s[2:3], vcc
	s_cbranch_execz .LBB554_406
.LBB554_318:
	v_cmp_ge_u32_e32 vcc, v58, v10
                                        ; implicit-def: $vgpr12_vgpr13
	s_and_saveexec_b64 s[4:5], vcc
	s_xor_b64 s[4:5], exec, s[4:5]
; %bb.319:
	v_xor_b32_e32 v12, 0xfffff3ff, v0
	v_ashrrev_i32_e32 v13, 31, v12
	v_lshl_add_u64 v[12:13], v[6:7], 0, v[12:13]
                                        ; implicit-def: $vgpr58_vgpr59
; %bb.320:
	s_andn2_saveexec_b64 s[4:5], s[4:5]
; %bb.321:
	v_lshl_add_u64 v[12:13], v[2:3], 0, v[58:59]
; %bb.322:
	s_or_b64 exec, exec, s[4:5]
	v_lshl_add_u64 v[12:13], v[12:13], 1, s[28:29]
	s_waitcnt lgkmcnt(14)
	global_store_short v[12:13], v95, off
	s_or_b64 exec, exec, s[2:3]
	v_cmp_gt_u32_e32 vcc, s33, v56
	s_and_saveexec_b64 s[2:3], vcc
	s_cbranch_execnz .LBB554_407
.LBB554_323:
	s_or_b64 exec, exec, s[2:3]
	v_cmp_gt_u32_e32 vcc, s33, v54
	s_and_saveexec_b64 s[2:3], vcc
	s_cbranch_execz .LBB554_412
.LBB554_324:
	v_cmp_ge_u32_e32 vcc, v54, v10
                                        ; implicit-def: $vgpr12_vgpr13
	s_and_saveexec_b64 s[4:5], vcc
	s_xor_b64 s[4:5], exec, s[4:5]
; %bb.325:
	v_xor_b32_e32 v12, 0xffffefff, v0
	v_ashrrev_i32_e32 v13, 31, v12
	v_lshl_add_u64 v[12:13], v[6:7], 0, v[12:13]
                                        ; implicit-def: $vgpr54_vgpr55
; %bb.326:
	s_andn2_saveexec_b64 s[4:5], s[4:5]
; %bb.327:
	v_lshl_add_u64 v[12:13], v[2:3], 0, v[54:55]
; %bb.328:
	s_or_b64 exec, exec, s[4:5]
	v_lshl_add_u64 v[12:13], v[12:13], 1, s[28:29]
	s_waitcnt lgkmcnt(14)
	global_store_short v[12:13], v93, off
	s_or_b64 exec, exec, s[2:3]
	v_cmp_gt_u32_e32 vcc, s33, v52
	s_and_saveexec_b64 s[2:3], vcc
	s_cbranch_execnz .LBB554_413
.LBB554_329:
	s_or_b64 exec, exec, s[2:3]
	v_cmp_gt_u32_e32 vcc, s33, v50
	s_and_saveexec_b64 s[2:3], vcc
	s_cbranch_execz .LBB554_418
.LBB554_330:
	v_cmp_ge_u32_e32 vcc, v50, v10
                                        ; implicit-def: $vgpr12_vgpr13
	s_and_saveexec_b64 s[4:5], vcc
	s_xor_b64 s[4:5], exec, s[4:5]
; %bb.331:
	v_xor_b32_e32 v12, 0xffffebff, v0
	v_ashrrev_i32_e32 v13, 31, v12
	v_lshl_add_u64 v[12:13], v[6:7], 0, v[12:13]
                                        ; implicit-def: $vgpr50_vgpr51
; %bb.332:
	s_andn2_saveexec_b64 s[4:5], s[4:5]
; %bb.333:
	v_lshl_add_u64 v[12:13], v[2:3], 0, v[50:51]
; %bb.334:
	s_or_b64 exec, exec, s[4:5]
	v_lshl_add_u64 v[12:13], v[12:13], 1, s[28:29]
	s_waitcnt lgkmcnt(14)
	global_store_short v[12:13], v91, off
	s_or_b64 exec, exec, s[2:3]
	v_cmp_gt_u32_e32 vcc, s33, v48
	s_and_saveexec_b64 s[2:3], vcc
	s_cbranch_execnz .LBB554_419
.LBB554_335:
	s_or_b64 exec, exec, s[2:3]
	v_cmp_gt_u32_e32 vcc, s33, v46
	s_and_saveexec_b64 s[2:3], vcc
	s_cbranch_execz .LBB554_424
.LBB554_336:
	v_cmp_ge_u32_e32 vcc, v46, v10
                                        ; implicit-def: $vgpr12_vgpr13
	s_and_saveexec_b64 s[4:5], vcc
	s_xor_b64 s[4:5], exec, s[4:5]
; %bb.337:
	v_xor_b32_e32 v12, 0xffffe7ff, v0
	v_ashrrev_i32_e32 v13, 31, v12
	v_lshl_add_u64 v[12:13], v[6:7], 0, v[12:13]
                                        ; implicit-def: $vgpr46_vgpr47
; %bb.338:
	s_andn2_saveexec_b64 s[4:5], s[4:5]
; %bb.339:
	v_lshl_add_u64 v[12:13], v[2:3], 0, v[46:47]
; %bb.340:
	s_or_b64 exec, exec, s[4:5]
	v_lshl_add_u64 v[12:13], v[12:13], 1, s[28:29]
	s_waitcnt lgkmcnt(14)
	global_store_short v[12:13], v89, off
	s_or_b64 exec, exec, s[2:3]
	v_cmp_gt_u32_e32 vcc, s33, v44
	s_and_saveexec_b64 s[2:3], vcc
	s_cbranch_execnz .LBB554_425
.LBB554_341:
	s_or_b64 exec, exec, s[2:3]
	v_cmp_gt_u32_e32 vcc, s33, v42
	s_and_saveexec_b64 s[2:3], vcc
	s_cbranch_execz .LBB554_430
.LBB554_342:
	v_cmp_ge_u32_e32 vcc, v42, v10
                                        ; implicit-def: $vgpr12_vgpr13
	s_and_saveexec_b64 s[4:5], vcc
	s_xor_b64 s[4:5], exec, s[4:5]
; %bb.343:
	v_xor_b32_e32 v12, 0xffffe3ff, v0
	v_ashrrev_i32_e32 v13, 31, v12
	v_lshl_add_u64 v[12:13], v[6:7], 0, v[12:13]
                                        ; implicit-def: $vgpr42_vgpr43
; %bb.344:
	s_andn2_saveexec_b64 s[4:5], s[4:5]
; %bb.345:
	v_lshl_add_u64 v[12:13], v[2:3], 0, v[42:43]
; %bb.346:
	s_or_b64 exec, exec, s[4:5]
	v_lshl_add_u64 v[12:13], v[12:13], 1, s[28:29]
	s_waitcnt lgkmcnt(14)
	global_store_short v[12:13], v87, off
	s_or_b64 exec, exec, s[2:3]
	v_cmp_gt_u32_e32 vcc, s33, v40
	s_and_saveexec_b64 s[2:3], vcc
	s_cbranch_execnz .LBB554_431
.LBB554_347:
	s_or_b64 exec, exec, s[2:3]
	v_cmp_gt_u32_e32 vcc, s33, v38
	s_and_saveexec_b64 s[2:3], vcc
	s_cbranch_execz .LBB554_436
.LBB554_348:
	v_cmp_ge_u32_e32 vcc, v38, v10
                                        ; implicit-def: $vgpr12_vgpr13
	s_and_saveexec_b64 s[4:5], vcc
	s_xor_b64 s[4:5], exec, s[4:5]
; %bb.349:
	v_xor_b32_e32 v12, 0xffffdfff, v0
	v_ashrrev_i32_e32 v13, 31, v12
	v_lshl_add_u64 v[12:13], v[6:7], 0, v[12:13]
                                        ; implicit-def: $vgpr38_vgpr39
; %bb.350:
	s_andn2_saveexec_b64 s[4:5], s[4:5]
; %bb.351:
	v_lshl_add_u64 v[12:13], v[2:3], 0, v[38:39]
; %bb.352:
	s_or_b64 exec, exec, s[4:5]
	v_lshl_add_u64 v[12:13], v[12:13], 1, s[28:29]
	s_waitcnt lgkmcnt(13)
	global_store_short v[12:13], v85, off
	s_or_b64 exec, exec, s[2:3]
	v_cmp_gt_u32_e32 vcc, s33, v36
	s_and_saveexec_b64 s[2:3], vcc
	s_cbranch_execnz .LBB554_437
.LBB554_353:
	s_or_b64 exec, exec, s[2:3]
	v_cmp_gt_u32_e32 vcc, s33, v34
	s_and_saveexec_b64 s[2:3], vcc
	s_cbranch_execz .LBB554_442
.LBB554_354:
	v_cmp_ge_u32_e32 vcc, v34, v10
                                        ; implicit-def: $vgpr12_vgpr13
	s_and_saveexec_b64 s[4:5], vcc
	s_xor_b64 s[4:5], exec, s[4:5]
; %bb.355:
	v_xor_b32_e32 v12, 0xffffdbff, v0
	v_ashrrev_i32_e32 v13, 31, v12
	v_lshl_add_u64 v[12:13], v[6:7], 0, v[12:13]
                                        ; implicit-def: $vgpr34_vgpr35
; %bb.356:
	s_andn2_saveexec_b64 s[4:5], s[4:5]
; %bb.357:
	v_lshl_add_u64 v[12:13], v[2:3], 0, v[34:35]
; %bb.358:
	s_or_b64 exec, exec, s[4:5]
	v_lshl_add_u64 v[12:13], v[12:13], 1, s[28:29]
	s_waitcnt lgkmcnt(11)
	global_store_short v[12:13], v83, off
	s_or_b64 exec, exec, s[2:3]
	v_cmp_gt_u32_e32 vcc, s33, v32
	s_and_saveexec_b64 s[2:3], vcc
	s_cbranch_execnz .LBB554_443
.LBB554_359:
	s_or_b64 exec, exec, s[2:3]
	v_cmp_gt_u32_e32 vcc, s33, v30
	s_and_saveexec_b64 s[2:3], vcc
	s_cbranch_execz .LBB554_448
.LBB554_360:
	v_cmp_ge_u32_e32 vcc, v30, v10
                                        ; implicit-def: $vgpr12_vgpr13
	s_and_saveexec_b64 s[4:5], vcc
	s_xor_b64 s[4:5], exec, s[4:5]
; %bb.361:
	v_xor_b32_e32 v12, 0xffffd7ff, v0
	v_ashrrev_i32_e32 v13, 31, v12
	v_lshl_add_u64 v[12:13], v[6:7], 0, v[12:13]
                                        ; implicit-def: $vgpr30_vgpr31
; %bb.362:
	s_andn2_saveexec_b64 s[4:5], s[4:5]
; %bb.363:
	v_lshl_add_u64 v[12:13], v[2:3], 0, v[30:31]
; %bb.364:
	s_or_b64 exec, exec, s[4:5]
	v_lshl_add_u64 v[12:13], v[12:13], 1, s[28:29]
	s_waitcnt lgkmcnt(9)
	global_store_short v[12:13], v81, off
	s_or_b64 exec, exec, s[2:3]
	v_cmp_gt_u32_e32 vcc, s33, v28
	s_and_saveexec_b64 s[2:3], vcc
	s_cbranch_execnz .LBB554_449
.LBB554_365:
	s_or_b64 exec, exec, s[2:3]
	v_cmp_gt_u32_e32 vcc, s33, v26
	s_and_saveexec_b64 s[2:3], vcc
	s_cbranch_execz .LBB554_454
.LBB554_366:
	v_cmp_ge_u32_e32 vcc, v26, v10
                                        ; implicit-def: $vgpr12_vgpr13
	s_and_saveexec_b64 s[4:5], vcc
	s_xor_b64 s[4:5], exec, s[4:5]
; %bb.367:
	v_xor_b32_e32 v12, 0xffffd3ff, v0
	v_ashrrev_i32_e32 v13, 31, v12
	v_lshl_add_u64 v[12:13], v[6:7], 0, v[12:13]
                                        ; implicit-def: $vgpr26_vgpr27
; %bb.368:
	s_andn2_saveexec_b64 s[4:5], s[4:5]
; %bb.369:
	v_lshl_add_u64 v[12:13], v[2:3], 0, v[26:27]
; %bb.370:
	s_or_b64 exec, exec, s[4:5]
	v_lshl_add_u64 v[12:13], v[12:13], 1, s[28:29]
	s_waitcnt lgkmcnt(7)
	global_store_short v[12:13], v79, off
	s_or_b64 exec, exec, s[2:3]
	v_cmp_gt_u32_e32 vcc, s33, v24
	s_and_saveexec_b64 s[2:3], vcc
	s_cbranch_execnz .LBB554_455
.LBB554_371:
	s_or_b64 exec, exec, s[2:3]
	v_cmp_gt_u32_e32 vcc, s33, v22
	s_and_saveexec_b64 s[2:3], vcc
	s_cbranch_execz .LBB554_460
.LBB554_372:
	v_cmp_ge_u32_e32 vcc, v22, v10
                                        ; implicit-def: $vgpr12_vgpr13
	s_and_saveexec_b64 s[4:5], vcc
	s_xor_b64 s[4:5], exec, s[4:5]
; %bb.373:
	v_xor_b32_e32 v12, 0xffffcfff, v0
	v_ashrrev_i32_e32 v13, 31, v12
	v_lshl_add_u64 v[12:13], v[6:7], 0, v[12:13]
                                        ; implicit-def: $vgpr22_vgpr23
; %bb.374:
	s_andn2_saveexec_b64 s[4:5], s[4:5]
; %bb.375:
	v_lshl_add_u64 v[12:13], v[2:3], 0, v[22:23]
; %bb.376:
	s_or_b64 exec, exec, s[4:5]
	v_lshl_add_u64 v[12:13], v[12:13], 1, s[28:29]
	s_waitcnt lgkmcnt(5)
	global_store_short v[12:13], v77, off
	s_or_b64 exec, exec, s[2:3]
	v_cmp_gt_u32_e32 vcc, s33, v20
	s_and_saveexec_b64 s[2:3], vcc
	s_cbranch_execnz .LBB554_461
.LBB554_377:
	s_or_b64 exec, exec, s[2:3]
	v_cmp_gt_u32_e32 vcc, s33, v18
	s_and_saveexec_b64 s[2:3], vcc
	s_cbranch_execz .LBB554_466
.LBB554_378:
	v_cmp_ge_u32_e32 vcc, v18, v10
                                        ; implicit-def: $vgpr12_vgpr13
	s_and_saveexec_b64 s[4:5], vcc
	s_xor_b64 s[4:5], exec, s[4:5]
; %bb.379:
	v_xor_b32_e32 v12, 0xffffcbff, v0
	v_ashrrev_i32_e32 v13, 31, v12
	v_lshl_add_u64 v[12:13], v[6:7], 0, v[12:13]
                                        ; implicit-def: $vgpr18_vgpr19
; %bb.380:
	s_andn2_saveexec_b64 s[4:5], s[4:5]
; %bb.381:
	v_lshl_add_u64 v[12:13], v[2:3], 0, v[18:19]
; %bb.382:
	s_or_b64 exec, exec, s[4:5]
	v_lshl_add_u64 v[12:13], v[12:13], 1, s[28:29]
	s_waitcnt lgkmcnt(3)
	global_store_short v[12:13], v75, off
	s_or_b64 exec, exec, s[2:3]
	v_cmp_gt_u32_e32 vcc, s33, v16
	s_and_saveexec_b64 s[2:3], vcc
	s_cbranch_execnz .LBB554_467
.LBB554_383:
	s_or_b64 exec, exec, s[2:3]
	v_cmp_gt_u32_e32 vcc, s33, v8
	s_and_saveexec_b64 s[2:3], vcc
	s_cbranch_execnz .LBB554_472
.LBB554_384:
	s_or_b64 exec, exec, s[2:3]
	v_cmp_gt_u32_e32 vcc, s33, v4
                                        ; implicit-def: $vgpr12_vgpr13
	s_and_saveexec_b64 s[2:3], vcc
	s_cbranch_execnz .LBB554_477
.LBB554_385:
	s_or_b64 exec, exec, s[2:3]
	s_and_saveexec_b64 s[2:3], s[0:1]
	s_cbranch_execnz .LBB554_296
.LBB554_386:
	s_or_b64 exec, exec, s[2:3]
	s_and_b64 s[0:1], s[18:19], s[22:23]
	s_and_saveexec_b64 s[2:3], s[0:1]
	s_cbranch_execz .LBB554_297
.LBB554_387:
	v_mov_b32_e32 v4, 0
	v_lshl_add_u64 v[0:1], v[2:3], 0, v[10:11]
	global_store_dwordx2 v4, v[0:1], s[20:21]
	s_endpgm
.LBB554_388:
	s_or_b64 exec, exec, s[2:3]
	v_cmp_gt_u32_e32 vcc, s33, v68
	s_and_saveexec_b64 s[2:3], vcc
	s_cbranch_execz .LBB554_305
.LBB554_389:
	v_cmp_ge_u32_e32 vcc, v68, v10
                                        ; implicit-def: $vgpr12_vgpr13
	s_and_saveexec_b64 s[4:5], vcc
	s_xor_b64 s[4:5], exec, s[4:5]
; %bb.390:
	v_xor_b32_e32 v12, 0xfffffdff, v0
	v_ashrrev_i32_e32 v13, 31, v12
	v_lshl_add_u64 v[12:13], v[6:7], 0, v[12:13]
                                        ; implicit-def: $vgpr68_vgpr69
; %bb.391:
	s_andn2_saveexec_b64 s[4:5], s[4:5]
; %bb.392:
	v_lshl_add_u64 v[12:13], v[2:3], 0, v[68:69]
; %bb.393:
	s_or_b64 exec, exec, s[4:5]
	v_lshl_add_u64 v[12:13], v[12:13], 1, s[28:29]
	s_waitcnt lgkmcnt(14)
	global_store_short v[12:13], v100, off
	s_or_b64 exec, exec, s[2:3]
	v_cmp_gt_u32_e32 vcc, s33, v66
	s_and_saveexec_b64 s[2:3], vcc
	s_cbranch_execnz .LBB554_306
.LBB554_394:
	s_or_b64 exec, exec, s[2:3]
	v_cmp_gt_u32_e32 vcc, s33, v64
	s_and_saveexec_b64 s[2:3], vcc
	s_cbranch_execz .LBB554_311
.LBB554_395:
	v_cmp_ge_u32_e32 vcc, v64, v10
                                        ; implicit-def: $vgpr12_vgpr13
	s_and_saveexec_b64 s[4:5], vcc
	s_xor_b64 s[4:5], exec, s[4:5]
; %bb.396:
	v_xor_b32_e32 v12, 0xfffff9ff, v0
	v_ashrrev_i32_e32 v13, 31, v12
	v_lshl_add_u64 v[12:13], v[6:7], 0, v[12:13]
                                        ; implicit-def: $vgpr64_vgpr65
; %bb.397:
	s_andn2_saveexec_b64 s[4:5], s[4:5]
; %bb.398:
	v_lshl_add_u64 v[12:13], v[2:3], 0, v[64:65]
; %bb.399:
	s_or_b64 exec, exec, s[4:5]
	v_lshl_add_u64 v[12:13], v[12:13], 1, s[28:29]
	s_waitcnt lgkmcnt(14)
	global_store_short v[12:13], v98, off
	s_or_b64 exec, exec, s[2:3]
	v_cmp_gt_u32_e32 vcc, s33, v62
	s_and_saveexec_b64 s[2:3], vcc
	s_cbranch_execnz .LBB554_312
.LBB554_400:
	s_or_b64 exec, exec, s[2:3]
	v_cmp_gt_u32_e32 vcc, s33, v60
	s_and_saveexec_b64 s[2:3], vcc
	s_cbranch_execz .LBB554_317
.LBB554_401:
	v_cmp_ge_u32_e32 vcc, v60, v10
                                        ; implicit-def: $vgpr12_vgpr13
	s_and_saveexec_b64 s[4:5], vcc
	s_xor_b64 s[4:5], exec, s[4:5]
; %bb.402:
	v_xor_b32_e32 v12, 0xfffff5ff, v0
	v_ashrrev_i32_e32 v13, 31, v12
	v_lshl_add_u64 v[12:13], v[6:7], 0, v[12:13]
                                        ; implicit-def: $vgpr60_vgpr61
; %bb.403:
	s_andn2_saveexec_b64 s[4:5], s[4:5]
; %bb.404:
	v_lshl_add_u64 v[12:13], v[2:3], 0, v[60:61]
; %bb.405:
	s_or_b64 exec, exec, s[4:5]
	v_lshl_add_u64 v[12:13], v[12:13], 1, s[28:29]
	s_waitcnt lgkmcnt(14)
	global_store_short v[12:13], v96, off
	s_or_b64 exec, exec, s[2:3]
	v_cmp_gt_u32_e32 vcc, s33, v58
	s_and_saveexec_b64 s[2:3], vcc
	s_cbranch_execnz .LBB554_318
.LBB554_406:
	s_or_b64 exec, exec, s[2:3]
	v_cmp_gt_u32_e32 vcc, s33, v56
	s_and_saveexec_b64 s[2:3], vcc
	s_cbranch_execz .LBB554_323
.LBB554_407:
	v_cmp_ge_u32_e32 vcc, v56, v10
                                        ; implicit-def: $vgpr12_vgpr13
	s_and_saveexec_b64 s[4:5], vcc
	s_xor_b64 s[4:5], exec, s[4:5]
; %bb.408:
	v_xor_b32_e32 v12, 0xfffff1ff, v0
	v_ashrrev_i32_e32 v13, 31, v12
	v_lshl_add_u64 v[12:13], v[6:7], 0, v[12:13]
                                        ; implicit-def: $vgpr56_vgpr57
; %bb.409:
	s_andn2_saveexec_b64 s[4:5], s[4:5]
; %bb.410:
	v_lshl_add_u64 v[12:13], v[2:3], 0, v[56:57]
; %bb.411:
	s_or_b64 exec, exec, s[4:5]
	v_lshl_add_u64 v[12:13], v[12:13], 1, s[28:29]
	s_waitcnt lgkmcnt(14)
	global_store_short v[12:13], v94, off
	s_or_b64 exec, exec, s[2:3]
	v_cmp_gt_u32_e32 vcc, s33, v54
	s_and_saveexec_b64 s[2:3], vcc
	s_cbranch_execnz .LBB554_324
.LBB554_412:
	s_or_b64 exec, exec, s[2:3]
	v_cmp_gt_u32_e32 vcc, s33, v52
	s_and_saveexec_b64 s[2:3], vcc
	s_cbranch_execz .LBB554_329
.LBB554_413:
	v_cmp_ge_u32_e32 vcc, v52, v10
                                        ; implicit-def: $vgpr12_vgpr13
	s_and_saveexec_b64 s[4:5], vcc
	s_xor_b64 s[4:5], exec, s[4:5]
; %bb.414:
	v_xor_b32_e32 v12, 0xffffedff, v0
	v_ashrrev_i32_e32 v13, 31, v12
	v_lshl_add_u64 v[12:13], v[6:7], 0, v[12:13]
                                        ; implicit-def: $vgpr52_vgpr53
; %bb.415:
	s_andn2_saveexec_b64 s[4:5], s[4:5]
; %bb.416:
	v_lshl_add_u64 v[12:13], v[2:3], 0, v[52:53]
; %bb.417:
	s_or_b64 exec, exec, s[4:5]
	v_lshl_add_u64 v[12:13], v[12:13], 1, s[28:29]
	s_waitcnt lgkmcnt(14)
	global_store_short v[12:13], v92, off
	s_or_b64 exec, exec, s[2:3]
	v_cmp_gt_u32_e32 vcc, s33, v50
	s_and_saveexec_b64 s[2:3], vcc
	s_cbranch_execnz .LBB554_330
.LBB554_418:
	s_or_b64 exec, exec, s[2:3]
	v_cmp_gt_u32_e32 vcc, s33, v48
	s_and_saveexec_b64 s[2:3], vcc
	s_cbranch_execz .LBB554_335
.LBB554_419:
	v_cmp_ge_u32_e32 vcc, v48, v10
                                        ; implicit-def: $vgpr12_vgpr13
	s_and_saveexec_b64 s[4:5], vcc
	s_xor_b64 s[4:5], exec, s[4:5]
; %bb.420:
	v_xor_b32_e32 v12, 0xffffe9ff, v0
	v_ashrrev_i32_e32 v13, 31, v12
	v_lshl_add_u64 v[12:13], v[6:7], 0, v[12:13]
                                        ; implicit-def: $vgpr48_vgpr49
; %bb.421:
	s_andn2_saveexec_b64 s[4:5], s[4:5]
; %bb.422:
	v_lshl_add_u64 v[12:13], v[2:3], 0, v[48:49]
; %bb.423:
	s_or_b64 exec, exec, s[4:5]
	v_lshl_add_u64 v[12:13], v[12:13], 1, s[28:29]
	s_waitcnt lgkmcnt(14)
	global_store_short v[12:13], v90, off
	s_or_b64 exec, exec, s[2:3]
	v_cmp_gt_u32_e32 vcc, s33, v46
	s_and_saveexec_b64 s[2:3], vcc
	s_cbranch_execnz .LBB554_336
.LBB554_424:
	s_or_b64 exec, exec, s[2:3]
	v_cmp_gt_u32_e32 vcc, s33, v44
	s_and_saveexec_b64 s[2:3], vcc
	s_cbranch_execz .LBB554_341
.LBB554_425:
	v_cmp_ge_u32_e32 vcc, v44, v10
                                        ; implicit-def: $vgpr12_vgpr13
	s_and_saveexec_b64 s[4:5], vcc
	s_xor_b64 s[4:5], exec, s[4:5]
; %bb.426:
	v_xor_b32_e32 v12, 0xffffe5ff, v0
	v_ashrrev_i32_e32 v13, 31, v12
	v_lshl_add_u64 v[12:13], v[6:7], 0, v[12:13]
                                        ; implicit-def: $vgpr44_vgpr45
; %bb.427:
	s_andn2_saveexec_b64 s[4:5], s[4:5]
; %bb.428:
	v_lshl_add_u64 v[12:13], v[2:3], 0, v[44:45]
; %bb.429:
	s_or_b64 exec, exec, s[4:5]
	v_lshl_add_u64 v[12:13], v[12:13], 1, s[28:29]
	s_waitcnt lgkmcnt(14)
	global_store_short v[12:13], v88, off
	s_or_b64 exec, exec, s[2:3]
	v_cmp_gt_u32_e32 vcc, s33, v42
	s_and_saveexec_b64 s[2:3], vcc
	s_cbranch_execnz .LBB554_342
.LBB554_430:
	s_or_b64 exec, exec, s[2:3]
	v_cmp_gt_u32_e32 vcc, s33, v40
	s_and_saveexec_b64 s[2:3], vcc
	s_cbranch_execz .LBB554_347
.LBB554_431:
	v_cmp_ge_u32_e32 vcc, v40, v10
                                        ; implicit-def: $vgpr12_vgpr13
	s_and_saveexec_b64 s[4:5], vcc
	s_xor_b64 s[4:5], exec, s[4:5]
; %bb.432:
	v_xor_b32_e32 v12, 0xffffe1ff, v0
	v_ashrrev_i32_e32 v13, 31, v12
	v_lshl_add_u64 v[12:13], v[6:7], 0, v[12:13]
                                        ; implicit-def: $vgpr40_vgpr41
; %bb.433:
	s_andn2_saveexec_b64 s[4:5], s[4:5]
; %bb.434:
	v_lshl_add_u64 v[12:13], v[2:3], 0, v[40:41]
; %bb.435:
	s_or_b64 exec, exec, s[4:5]
	v_lshl_add_u64 v[12:13], v[12:13], 1, s[28:29]
	s_waitcnt lgkmcnt(14)
	global_store_short v[12:13], v86, off
	s_or_b64 exec, exec, s[2:3]
	v_cmp_gt_u32_e32 vcc, s33, v38
	s_and_saveexec_b64 s[2:3], vcc
	s_cbranch_execnz .LBB554_348
.LBB554_436:
	s_or_b64 exec, exec, s[2:3]
	v_cmp_gt_u32_e32 vcc, s33, v36
	s_and_saveexec_b64 s[2:3], vcc
	s_cbranch_execz .LBB554_353
.LBB554_437:
	v_cmp_ge_u32_e32 vcc, v36, v10
                                        ; implicit-def: $vgpr12_vgpr13
	s_and_saveexec_b64 s[4:5], vcc
	s_xor_b64 s[4:5], exec, s[4:5]
; %bb.438:
	v_xor_b32_e32 v12, 0xffffddff, v0
	v_ashrrev_i32_e32 v13, 31, v12
	v_lshl_add_u64 v[12:13], v[6:7], 0, v[12:13]
                                        ; implicit-def: $vgpr36_vgpr37
; %bb.439:
	s_andn2_saveexec_b64 s[4:5], s[4:5]
; %bb.440:
	v_lshl_add_u64 v[12:13], v[2:3], 0, v[36:37]
; %bb.441:
	s_or_b64 exec, exec, s[4:5]
	v_lshl_add_u64 v[12:13], v[12:13], 1, s[28:29]
	s_waitcnt lgkmcnt(12)
	global_store_short v[12:13], v84, off
	s_or_b64 exec, exec, s[2:3]
	v_cmp_gt_u32_e32 vcc, s33, v34
	s_and_saveexec_b64 s[2:3], vcc
	s_cbranch_execnz .LBB554_354
.LBB554_442:
	s_or_b64 exec, exec, s[2:3]
	v_cmp_gt_u32_e32 vcc, s33, v32
	s_and_saveexec_b64 s[2:3], vcc
	s_cbranch_execz .LBB554_359
.LBB554_443:
	v_cmp_ge_u32_e32 vcc, v32, v10
                                        ; implicit-def: $vgpr12_vgpr13
	s_and_saveexec_b64 s[4:5], vcc
	s_xor_b64 s[4:5], exec, s[4:5]
; %bb.444:
	v_xor_b32_e32 v12, 0xffffd9ff, v0
	v_ashrrev_i32_e32 v13, 31, v12
	v_lshl_add_u64 v[12:13], v[6:7], 0, v[12:13]
                                        ; implicit-def: $vgpr32_vgpr33
; %bb.445:
	s_andn2_saveexec_b64 s[4:5], s[4:5]
; %bb.446:
	v_lshl_add_u64 v[12:13], v[2:3], 0, v[32:33]
; %bb.447:
	s_or_b64 exec, exec, s[4:5]
	v_lshl_add_u64 v[12:13], v[12:13], 1, s[28:29]
	s_waitcnt lgkmcnt(10)
	global_store_short v[12:13], v82, off
	s_or_b64 exec, exec, s[2:3]
	v_cmp_gt_u32_e32 vcc, s33, v30
	s_and_saveexec_b64 s[2:3], vcc
	s_cbranch_execnz .LBB554_360
.LBB554_448:
	s_or_b64 exec, exec, s[2:3]
	v_cmp_gt_u32_e32 vcc, s33, v28
	s_and_saveexec_b64 s[2:3], vcc
	s_cbranch_execz .LBB554_365
.LBB554_449:
	v_cmp_ge_u32_e32 vcc, v28, v10
                                        ; implicit-def: $vgpr12_vgpr13
	s_and_saveexec_b64 s[4:5], vcc
	s_xor_b64 s[4:5], exec, s[4:5]
; %bb.450:
	v_xor_b32_e32 v12, 0xffffd5ff, v0
	v_ashrrev_i32_e32 v13, 31, v12
	v_lshl_add_u64 v[12:13], v[6:7], 0, v[12:13]
                                        ; implicit-def: $vgpr28_vgpr29
; %bb.451:
	s_andn2_saveexec_b64 s[4:5], s[4:5]
; %bb.452:
	v_lshl_add_u64 v[12:13], v[2:3], 0, v[28:29]
; %bb.453:
	s_or_b64 exec, exec, s[4:5]
	v_lshl_add_u64 v[12:13], v[12:13], 1, s[28:29]
	s_waitcnt lgkmcnt(8)
	global_store_short v[12:13], v80, off
	s_or_b64 exec, exec, s[2:3]
	v_cmp_gt_u32_e32 vcc, s33, v26
	s_and_saveexec_b64 s[2:3], vcc
	s_cbranch_execnz .LBB554_366
.LBB554_454:
	s_or_b64 exec, exec, s[2:3]
	v_cmp_gt_u32_e32 vcc, s33, v24
	s_and_saveexec_b64 s[2:3], vcc
	s_cbranch_execz .LBB554_371
.LBB554_455:
	v_cmp_ge_u32_e32 vcc, v24, v10
                                        ; implicit-def: $vgpr12_vgpr13
	s_and_saveexec_b64 s[4:5], vcc
	s_xor_b64 s[4:5], exec, s[4:5]
; %bb.456:
	v_xor_b32_e32 v12, 0xffffd1ff, v0
	v_ashrrev_i32_e32 v13, 31, v12
	v_lshl_add_u64 v[12:13], v[6:7], 0, v[12:13]
                                        ; implicit-def: $vgpr24_vgpr25
; %bb.457:
	s_andn2_saveexec_b64 s[4:5], s[4:5]
; %bb.458:
	v_lshl_add_u64 v[12:13], v[2:3], 0, v[24:25]
; %bb.459:
	s_or_b64 exec, exec, s[4:5]
	v_lshl_add_u64 v[12:13], v[12:13], 1, s[28:29]
	s_waitcnt lgkmcnt(6)
	global_store_short v[12:13], v78, off
	s_or_b64 exec, exec, s[2:3]
	v_cmp_gt_u32_e32 vcc, s33, v22
	s_and_saveexec_b64 s[2:3], vcc
	s_cbranch_execnz .LBB554_372
.LBB554_460:
	s_or_b64 exec, exec, s[2:3]
	v_cmp_gt_u32_e32 vcc, s33, v20
	s_and_saveexec_b64 s[2:3], vcc
	s_cbranch_execz .LBB554_377
.LBB554_461:
	v_cmp_ge_u32_e32 vcc, v20, v10
                                        ; implicit-def: $vgpr12_vgpr13
	s_and_saveexec_b64 s[4:5], vcc
	s_xor_b64 s[4:5], exec, s[4:5]
; %bb.462:
	v_xor_b32_e32 v12, 0xffffcdff, v0
	v_ashrrev_i32_e32 v13, 31, v12
	v_lshl_add_u64 v[12:13], v[6:7], 0, v[12:13]
                                        ; implicit-def: $vgpr20_vgpr21
; %bb.463:
	s_andn2_saveexec_b64 s[4:5], s[4:5]
; %bb.464:
	v_lshl_add_u64 v[12:13], v[2:3], 0, v[20:21]
; %bb.465:
	s_or_b64 exec, exec, s[4:5]
	v_lshl_add_u64 v[12:13], v[12:13], 1, s[28:29]
	s_waitcnt lgkmcnt(4)
	global_store_short v[12:13], v76, off
	s_or_b64 exec, exec, s[2:3]
	v_cmp_gt_u32_e32 vcc, s33, v18
	s_and_saveexec_b64 s[2:3], vcc
	s_cbranch_execnz .LBB554_378
.LBB554_466:
	s_or_b64 exec, exec, s[2:3]
	v_cmp_gt_u32_e32 vcc, s33, v16
	s_and_saveexec_b64 s[2:3], vcc
	s_cbranch_execz .LBB554_383
.LBB554_467:
	v_cmp_ge_u32_e32 vcc, v16, v10
                                        ; implicit-def: $vgpr12_vgpr13
	s_and_saveexec_b64 s[4:5], vcc
	s_xor_b64 s[4:5], exec, s[4:5]
; %bb.468:
	v_xor_b32_e32 v12, 0xffffc9ff, v0
	v_ashrrev_i32_e32 v13, 31, v12
	v_lshl_add_u64 v[12:13], v[6:7], 0, v[12:13]
                                        ; implicit-def: $vgpr16_vgpr17
; %bb.469:
	s_andn2_saveexec_b64 s[4:5], s[4:5]
; %bb.470:
	v_lshl_add_u64 v[12:13], v[2:3], 0, v[16:17]
; %bb.471:
	s_or_b64 exec, exec, s[4:5]
	v_lshl_add_u64 v[12:13], v[12:13], 1, s[28:29]
	s_waitcnt lgkmcnt(2)
	global_store_short v[12:13], v74, off
	s_or_b64 exec, exec, s[2:3]
	v_cmp_gt_u32_e32 vcc, s33, v8
	s_and_saveexec_b64 s[2:3], vcc
	s_cbranch_execz .LBB554_384
.LBB554_472:
	v_cmp_ge_u32_e32 vcc, v8, v10
                                        ; implicit-def: $vgpr12_vgpr13
	s_and_saveexec_b64 s[4:5], vcc
	s_xor_b64 s[4:5], exec, s[4:5]
; %bb.473:
	v_xor_b32_e32 v8, 0xffffc7ff, v0
	v_ashrrev_i32_e32 v9, 31, v8
	v_lshl_add_u64 v[12:13], v[6:7], 0, v[8:9]
                                        ; implicit-def: $vgpr8_vgpr9
; %bb.474:
	s_andn2_saveexec_b64 s[4:5], s[4:5]
; %bb.475:
	v_lshl_add_u64 v[12:13], v[2:3], 0, v[8:9]
; %bb.476:
	s_or_b64 exec, exec, s[4:5]
	v_lshl_add_u64 v[8:9], v[12:13], 1, s[28:29]
	s_waitcnt lgkmcnt(1)
	global_store_short v[8:9], v73, off
	s_or_b64 exec, exec, s[2:3]
	v_cmp_gt_u32_e32 vcc, s33, v4
                                        ; implicit-def: $vgpr12_vgpr13
	s_and_saveexec_b64 s[2:3], vcc
	s_cbranch_execz .LBB554_385
.LBB554_477:
	v_cmp_ge_u32_e32 vcc, v4, v10
                                        ; implicit-def: $vgpr12_vgpr13
	s_and_saveexec_b64 s[4:5], vcc
	s_xor_b64 s[4:5], exec, s[4:5]
; %bb.478:
	v_xor_b32_e32 v0, 0xffffc5ff, v0
	v_ashrrev_i32_e32 v1, 31, v0
	v_lshl_add_u64 v[12:13], v[6:7], 0, v[0:1]
                                        ; implicit-def: $vgpr4_vgpr5
; %bb.479:
	s_andn2_saveexec_b64 s[4:5], s[4:5]
; %bb.480:
	v_lshl_add_u64 v[12:13], v[2:3], 0, v[4:5]
; %bb.481:
	s_or_b64 exec, exec, s[4:5]
	s_or_b64 s[0:1], s[0:1], exec
	s_or_b64 exec, exec, s[2:3]
	s_and_saveexec_b64 s[2:3], s[0:1]
	s_cbranch_execnz .LBB554_296
	s_branch .LBB554_386
	.section	.rodata,"a",@progbits
	.p2align	6, 0x0
	.amdhsa_kernel _ZN7rocprim17ROCPRIM_400000_NS6detail17trampoline_kernelINS0_14default_configENS1_25partition_config_selectorILNS1_17partition_subalgoE2EsNS0_10empty_typeEbEEZZNS1_14partition_implILS5_2ELb0ES3_jN6thrust23THRUST_200600_302600_NS6detail15normal_iteratorINSA_7pointerIsNSA_11hip_rocprim3tagENSA_11use_defaultESG_EEEEPS6_NSA_18transform_iteratorINSA_8identityIsEENSC_INSA_10device_ptrIsEEEESG_SG_EENS0_5tupleIJPsSJ_EEENSR_IJSJ_SJ_EEES6_PlJS6_EEE10hipError_tPvRmT3_T4_T5_T6_T7_T9_mT8_P12ihipStream_tbDpT10_ENKUlT_T0_E_clISt17integral_constantIbLb1EES1F_EEDaS1A_S1B_EUlS1A_E_NS1_11comp_targetILNS1_3genE5ELNS1_11target_archE942ELNS1_3gpuE9ELNS1_3repE0EEENS1_30default_config_static_selectorELNS0_4arch9wavefront6targetE1EEEvT1_
		.amdhsa_group_segment_fixed_size 30728
		.amdhsa_private_segment_fixed_size 0
		.amdhsa_kernarg_size 144
		.amdhsa_user_sgpr_count 2
		.amdhsa_user_sgpr_dispatch_ptr 0
		.amdhsa_user_sgpr_queue_ptr 0
		.amdhsa_user_sgpr_kernarg_segment_ptr 1
		.amdhsa_user_sgpr_dispatch_id 0
		.amdhsa_user_sgpr_kernarg_preload_length 0
		.amdhsa_user_sgpr_kernarg_preload_offset 0
		.amdhsa_user_sgpr_private_segment_size 0
		.amdhsa_uses_dynamic_stack 0
		.amdhsa_enable_private_segment 0
		.amdhsa_system_sgpr_workgroup_id_x 1
		.amdhsa_system_sgpr_workgroup_id_y 0
		.amdhsa_system_sgpr_workgroup_id_z 0
		.amdhsa_system_sgpr_workgroup_info 0
		.amdhsa_system_vgpr_workitem_id 0
		.amdhsa_next_free_vgpr 102
		.amdhsa_next_free_sgpr 46
		.amdhsa_accum_offset 104
		.amdhsa_reserve_vcc 1
		.amdhsa_float_round_mode_32 0
		.amdhsa_float_round_mode_16_64 0
		.amdhsa_float_denorm_mode_32 3
		.amdhsa_float_denorm_mode_16_64 3
		.amdhsa_dx10_clamp 1
		.amdhsa_ieee_mode 1
		.amdhsa_fp16_overflow 0
		.amdhsa_tg_split 0
		.amdhsa_exception_fp_ieee_invalid_op 0
		.amdhsa_exception_fp_denorm_src 0
		.amdhsa_exception_fp_ieee_div_zero 0
		.amdhsa_exception_fp_ieee_overflow 0
		.amdhsa_exception_fp_ieee_underflow 0
		.amdhsa_exception_fp_ieee_inexact 0
		.amdhsa_exception_int_div_zero 0
	.end_amdhsa_kernel
	.section	.text._ZN7rocprim17ROCPRIM_400000_NS6detail17trampoline_kernelINS0_14default_configENS1_25partition_config_selectorILNS1_17partition_subalgoE2EsNS0_10empty_typeEbEEZZNS1_14partition_implILS5_2ELb0ES3_jN6thrust23THRUST_200600_302600_NS6detail15normal_iteratorINSA_7pointerIsNSA_11hip_rocprim3tagENSA_11use_defaultESG_EEEEPS6_NSA_18transform_iteratorINSA_8identityIsEENSC_INSA_10device_ptrIsEEEESG_SG_EENS0_5tupleIJPsSJ_EEENSR_IJSJ_SJ_EEES6_PlJS6_EEE10hipError_tPvRmT3_T4_T5_T6_T7_T9_mT8_P12ihipStream_tbDpT10_ENKUlT_T0_E_clISt17integral_constantIbLb1EES1F_EEDaS1A_S1B_EUlS1A_E_NS1_11comp_targetILNS1_3genE5ELNS1_11target_archE942ELNS1_3gpuE9ELNS1_3repE0EEENS1_30default_config_static_selectorELNS0_4arch9wavefront6targetE1EEEvT1_,"axG",@progbits,_ZN7rocprim17ROCPRIM_400000_NS6detail17trampoline_kernelINS0_14default_configENS1_25partition_config_selectorILNS1_17partition_subalgoE2EsNS0_10empty_typeEbEEZZNS1_14partition_implILS5_2ELb0ES3_jN6thrust23THRUST_200600_302600_NS6detail15normal_iteratorINSA_7pointerIsNSA_11hip_rocprim3tagENSA_11use_defaultESG_EEEEPS6_NSA_18transform_iteratorINSA_8identityIsEENSC_INSA_10device_ptrIsEEEESG_SG_EENS0_5tupleIJPsSJ_EEENSR_IJSJ_SJ_EEES6_PlJS6_EEE10hipError_tPvRmT3_T4_T5_T6_T7_T9_mT8_P12ihipStream_tbDpT10_ENKUlT_T0_E_clISt17integral_constantIbLb1EES1F_EEDaS1A_S1B_EUlS1A_E_NS1_11comp_targetILNS1_3genE5ELNS1_11target_archE942ELNS1_3gpuE9ELNS1_3repE0EEENS1_30default_config_static_selectorELNS0_4arch9wavefront6targetE1EEEvT1_,comdat
.Lfunc_end554:
	.size	_ZN7rocprim17ROCPRIM_400000_NS6detail17trampoline_kernelINS0_14default_configENS1_25partition_config_selectorILNS1_17partition_subalgoE2EsNS0_10empty_typeEbEEZZNS1_14partition_implILS5_2ELb0ES3_jN6thrust23THRUST_200600_302600_NS6detail15normal_iteratorINSA_7pointerIsNSA_11hip_rocprim3tagENSA_11use_defaultESG_EEEEPS6_NSA_18transform_iteratorINSA_8identityIsEENSC_INSA_10device_ptrIsEEEESG_SG_EENS0_5tupleIJPsSJ_EEENSR_IJSJ_SJ_EEES6_PlJS6_EEE10hipError_tPvRmT3_T4_T5_T6_T7_T9_mT8_P12ihipStream_tbDpT10_ENKUlT_T0_E_clISt17integral_constantIbLb1EES1F_EEDaS1A_S1B_EUlS1A_E_NS1_11comp_targetILNS1_3genE5ELNS1_11target_archE942ELNS1_3gpuE9ELNS1_3repE0EEENS1_30default_config_static_selectorELNS0_4arch9wavefront6targetE1EEEvT1_, .Lfunc_end554-_ZN7rocprim17ROCPRIM_400000_NS6detail17trampoline_kernelINS0_14default_configENS1_25partition_config_selectorILNS1_17partition_subalgoE2EsNS0_10empty_typeEbEEZZNS1_14partition_implILS5_2ELb0ES3_jN6thrust23THRUST_200600_302600_NS6detail15normal_iteratorINSA_7pointerIsNSA_11hip_rocprim3tagENSA_11use_defaultESG_EEEEPS6_NSA_18transform_iteratorINSA_8identityIsEENSC_INSA_10device_ptrIsEEEESG_SG_EENS0_5tupleIJPsSJ_EEENSR_IJSJ_SJ_EEES6_PlJS6_EEE10hipError_tPvRmT3_T4_T5_T6_T7_T9_mT8_P12ihipStream_tbDpT10_ENKUlT_T0_E_clISt17integral_constantIbLb1EES1F_EEDaS1A_S1B_EUlS1A_E_NS1_11comp_targetILNS1_3genE5ELNS1_11target_archE942ELNS1_3gpuE9ELNS1_3repE0EEENS1_30default_config_static_selectorELNS0_4arch9wavefront6targetE1EEEvT1_
                                        ; -- End function
	.section	.AMDGPU.csdata,"",@progbits
; Kernel info:
; codeLenInByte = 15348
; NumSgprs: 52
; NumVgprs: 102
; NumAgprs: 0
; TotalNumVgprs: 102
; ScratchSize: 0
; MemoryBound: 0
; FloatMode: 240
; IeeeMode: 1
; LDSByteSize: 30728 bytes/workgroup (compile time only)
; SGPRBlocks: 6
; VGPRBlocks: 12
; NumSGPRsForWavesPerEU: 52
; NumVGPRsForWavesPerEU: 102
; AccumOffset: 104
; Occupancy: 4
; WaveLimiterHint : 1
; COMPUTE_PGM_RSRC2:SCRATCH_EN: 0
; COMPUTE_PGM_RSRC2:USER_SGPR: 2
; COMPUTE_PGM_RSRC2:TRAP_HANDLER: 0
; COMPUTE_PGM_RSRC2:TGID_X_EN: 1
; COMPUTE_PGM_RSRC2:TGID_Y_EN: 0
; COMPUTE_PGM_RSRC2:TGID_Z_EN: 0
; COMPUTE_PGM_RSRC2:TIDIG_COMP_CNT: 0
; COMPUTE_PGM_RSRC3_GFX90A:ACCUM_OFFSET: 25
; COMPUTE_PGM_RSRC3_GFX90A:TG_SPLIT: 0
	.section	.text._ZN7rocprim17ROCPRIM_400000_NS6detail17trampoline_kernelINS0_14default_configENS1_25partition_config_selectorILNS1_17partition_subalgoE2EsNS0_10empty_typeEbEEZZNS1_14partition_implILS5_2ELb0ES3_jN6thrust23THRUST_200600_302600_NS6detail15normal_iteratorINSA_7pointerIsNSA_11hip_rocprim3tagENSA_11use_defaultESG_EEEEPS6_NSA_18transform_iteratorINSA_8identityIsEENSC_INSA_10device_ptrIsEEEESG_SG_EENS0_5tupleIJPsSJ_EEENSR_IJSJ_SJ_EEES6_PlJS6_EEE10hipError_tPvRmT3_T4_T5_T6_T7_T9_mT8_P12ihipStream_tbDpT10_ENKUlT_T0_E_clISt17integral_constantIbLb1EES1F_EEDaS1A_S1B_EUlS1A_E_NS1_11comp_targetILNS1_3genE4ELNS1_11target_archE910ELNS1_3gpuE8ELNS1_3repE0EEENS1_30default_config_static_selectorELNS0_4arch9wavefront6targetE1EEEvT1_,"axG",@progbits,_ZN7rocprim17ROCPRIM_400000_NS6detail17trampoline_kernelINS0_14default_configENS1_25partition_config_selectorILNS1_17partition_subalgoE2EsNS0_10empty_typeEbEEZZNS1_14partition_implILS5_2ELb0ES3_jN6thrust23THRUST_200600_302600_NS6detail15normal_iteratorINSA_7pointerIsNSA_11hip_rocprim3tagENSA_11use_defaultESG_EEEEPS6_NSA_18transform_iteratorINSA_8identityIsEENSC_INSA_10device_ptrIsEEEESG_SG_EENS0_5tupleIJPsSJ_EEENSR_IJSJ_SJ_EEES6_PlJS6_EEE10hipError_tPvRmT3_T4_T5_T6_T7_T9_mT8_P12ihipStream_tbDpT10_ENKUlT_T0_E_clISt17integral_constantIbLb1EES1F_EEDaS1A_S1B_EUlS1A_E_NS1_11comp_targetILNS1_3genE4ELNS1_11target_archE910ELNS1_3gpuE8ELNS1_3repE0EEENS1_30default_config_static_selectorELNS0_4arch9wavefront6targetE1EEEvT1_,comdat
	.protected	_ZN7rocprim17ROCPRIM_400000_NS6detail17trampoline_kernelINS0_14default_configENS1_25partition_config_selectorILNS1_17partition_subalgoE2EsNS0_10empty_typeEbEEZZNS1_14partition_implILS5_2ELb0ES3_jN6thrust23THRUST_200600_302600_NS6detail15normal_iteratorINSA_7pointerIsNSA_11hip_rocprim3tagENSA_11use_defaultESG_EEEEPS6_NSA_18transform_iteratorINSA_8identityIsEENSC_INSA_10device_ptrIsEEEESG_SG_EENS0_5tupleIJPsSJ_EEENSR_IJSJ_SJ_EEES6_PlJS6_EEE10hipError_tPvRmT3_T4_T5_T6_T7_T9_mT8_P12ihipStream_tbDpT10_ENKUlT_T0_E_clISt17integral_constantIbLb1EES1F_EEDaS1A_S1B_EUlS1A_E_NS1_11comp_targetILNS1_3genE4ELNS1_11target_archE910ELNS1_3gpuE8ELNS1_3repE0EEENS1_30default_config_static_selectorELNS0_4arch9wavefront6targetE1EEEvT1_ ; -- Begin function _ZN7rocprim17ROCPRIM_400000_NS6detail17trampoline_kernelINS0_14default_configENS1_25partition_config_selectorILNS1_17partition_subalgoE2EsNS0_10empty_typeEbEEZZNS1_14partition_implILS5_2ELb0ES3_jN6thrust23THRUST_200600_302600_NS6detail15normal_iteratorINSA_7pointerIsNSA_11hip_rocprim3tagENSA_11use_defaultESG_EEEEPS6_NSA_18transform_iteratorINSA_8identityIsEENSC_INSA_10device_ptrIsEEEESG_SG_EENS0_5tupleIJPsSJ_EEENSR_IJSJ_SJ_EEES6_PlJS6_EEE10hipError_tPvRmT3_T4_T5_T6_T7_T9_mT8_P12ihipStream_tbDpT10_ENKUlT_T0_E_clISt17integral_constantIbLb1EES1F_EEDaS1A_S1B_EUlS1A_E_NS1_11comp_targetILNS1_3genE4ELNS1_11target_archE910ELNS1_3gpuE8ELNS1_3repE0EEENS1_30default_config_static_selectorELNS0_4arch9wavefront6targetE1EEEvT1_
	.globl	_ZN7rocprim17ROCPRIM_400000_NS6detail17trampoline_kernelINS0_14default_configENS1_25partition_config_selectorILNS1_17partition_subalgoE2EsNS0_10empty_typeEbEEZZNS1_14partition_implILS5_2ELb0ES3_jN6thrust23THRUST_200600_302600_NS6detail15normal_iteratorINSA_7pointerIsNSA_11hip_rocprim3tagENSA_11use_defaultESG_EEEEPS6_NSA_18transform_iteratorINSA_8identityIsEENSC_INSA_10device_ptrIsEEEESG_SG_EENS0_5tupleIJPsSJ_EEENSR_IJSJ_SJ_EEES6_PlJS6_EEE10hipError_tPvRmT3_T4_T5_T6_T7_T9_mT8_P12ihipStream_tbDpT10_ENKUlT_T0_E_clISt17integral_constantIbLb1EES1F_EEDaS1A_S1B_EUlS1A_E_NS1_11comp_targetILNS1_3genE4ELNS1_11target_archE910ELNS1_3gpuE8ELNS1_3repE0EEENS1_30default_config_static_selectorELNS0_4arch9wavefront6targetE1EEEvT1_
	.p2align	8
	.type	_ZN7rocprim17ROCPRIM_400000_NS6detail17trampoline_kernelINS0_14default_configENS1_25partition_config_selectorILNS1_17partition_subalgoE2EsNS0_10empty_typeEbEEZZNS1_14partition_implILS5_2ELb0ES3_jN6thrust23THRUST_200600_302600_NS6detail15normal_iteratorINSA_7pointerIsNSA_11hip_rocprim3tagENSA_11use_defaultESG_EEEEPS6_NSA_18transform_iteratorINSA_8identityIsEENSC_INSA_10device_ptrIsEEEESG_SG_EENS0_5tupleIJPsSJ_EEENSR_IJSJ_SJ_EEES6_PlJS6_EEE10hipError_tPvRmT3_T4_T5_T6_T7_T9_mT8_P12ihipStream_tbDpT10_ENKUlT_T0_E_clISt17integral_constantIbLb1EES1F_EEDaS1A_S1B_EUlS1A_E_NS1_11comp_targetILNS1_3genE4ELNS1_11target_archE910ELNS1_3gpuE8ELNS1_3repE0EEENS1_30default_config_static_selectorELNS0_4arch9wavefront6targetE1EEEvT1_,@function
_ZN7rocprim17ROCPRIM_400000_NS6detail17trampoline_kernelINS0_14default_configENS1_25partition_config_selectorILNS1_17partition_subalgoE2EsNS0_10empty_typeEbEEZZNS1_14partition_implILS5_2ELb0ES3_jN6thrust23THRUST_200600_302600_NS6detail15normal_iteratorINSA_7pointerIsNSA_11hip_rocprim3tagENSA_11use_defaultESG_EEEEPS6_NSA_18transform_iteratorINSA_8identityIsEENSC_INSA_10device_ptrIsEEEESG_SG_EENS0_5tupleIJPsSJ_EEENSR_IJSJ_SJ_EEES6_PlJS6_EEE10hipError_tPvRmT3_T4_T5_T6_T7_T9_mT8_P12ihipStream_tbDpT10_ENKUlT_T0_E_clISt17integral_constantIbLb1EES1F_EEDaS1A_S1B_EUlS1A_E_NS1_11comp_targetILNS1_3genE4ELNS1_11target_archE910ELNS1_3gpuE8ELNS1_3repE0EEENS1_30default_config_static_selectorELNS0_4arch9wavefront6targetE1EEEvT1_: ; @_ZN7rocprim17ROCPRIM_400000_NS6detail17trampoline_kernelINS0_14default_configENS1_25partition_config_selectorILNS1_17partition_subalgoE2EsNS0_10empty_typeEbEEZZNS1_14partition_implILS5_2ELb0ES3_jN6thrust23THRUST_200600_302600_NS6detail15normal_iteratorINSA_7pointerIsNSA_11hip_rocprim3tagENSA_11use_defaultESG_EEEEPS6_NSA_18transform_iteratorINSA_8identityIsEENSC_INSA_10device_ptrIsEEEESG_SG_EENS0_5tupleIJPsSJ_EEENSR_IJSJ_SJ_EEES6_PlJS6_EEE10hipError_tPvRmT3_T4_T5_T6_T7_T9_mT8_P12ihipStream_tbDpT10_ENKUlT_T0_E_clISt17integral_constantIbLb1EES1F_EEDaS1A_S1B_EUlS1A_E_NS1_11comp_targetILNS1_3genE4ELNS1_11target_archE910ELNS1_3gpuE8ELNS1_3repE0EEENS1_30default_config_static_selectorELNS0_4arch9wavefront6targetE1EEEvT1_
; %bb.0:
	.section	.rodata,"a",@progbits
	.p2align	6, 0x0
	.amdhsa_kernel _ZN7rocprim17ROCPRIM_400000_NS6detail17trampoline_kernelINS0_14default_configENS1_25partition_config_selectorILNS1_17partition_subalgoE2EsNS0_10empty_typeEbEEZZNS1_14partition_implILS5_2ELb0ES3_jN6thrust23THRUST_200600_302600_NS6detail15normal_iteratorINSA_7pointerIsNSA_11hip_rocprim3tagENSA_11use_defaultESG_EEEEPS6_NSA_18transform_iteratorINSA_8identityIsEENSC_INSA_10device_ptrIsEEEESG_SG_EENS0_5tupleIJPsSJ_EEENSR_IJSJ_SJ_EEES6_PlJS6_EEE10hipError_tPvRmT3_T4_T5_T6_T7_T9_mT8_P12ihipStream_tbDpT10_ENKUlT_T0_E_clISt17integral_constantIbLb1EES1F_EEDaS1A_S1B_EUlS1A_E_NS1_11comp_targetILNS1_3genE4ELNS1_11target_archE910ELNS1_3gpuE8ELNS1_3repE0EEENS1_30default_config_static_selectorELNS0_4arch9wavefront6targetE1EEEvT1_
		.amdhsa_group_segment_fixed_size 0
		.amdhsa_private_segment_fixed_size 0
		.amdhsa_kernarg_size 144
		.amdhsa_user_sgpr_count 2
		.amdhsa_user_sgpr_dispatch_ptr 0
		.amdhsa_user_sgpr_queue_ptr 0
		.amdhsa_user_sgpr_kernarg_segment_ptr 1
		.amdhsa_user_sgpr_dispatch_id 0
		.amdhsa_user_sgpr_kernarg_preload_length 0
		.amdhsa_user_sgpr_kernarg_preload_offset 0
		.amdhsa_user_sgpr_private_segment_size 0
		.amdhsa_uses_dynamic_stack 0
		.amdhsa_enable_private_segment 0
		.amdhsa_system_sgpr_workgroup_id_x 1
		.amdhsa_system_sgpr_workgroup_id_y 0
		.amdhsa_system_sgpr_workgroup_id_z 0
		.amdhsa_system_sgpr_workgroup_info 0
		.amdhsa_system_vgpr_workitem_id 0
		.amdhsa_next_free_vgpr 1
		.amdhsa_next_free_sgpr 0
		.amdhsa_accum_offset 4
		.amdhsa_reserve_vcc 0
		.amdhsa_float_round_mode_32 0
		.amdhsa_float_round_mode_16_64 0
		.amdhsa_float_denorm_mode_32 3
		.amdhsa_float_denorm_mode_16_64 3
		.amdhsa_dx10_clamp 1
		.amdhsa_ieee_mode 1
		.amdhsa_fp16_overflow 0
		.amdhsa_tg_split 0
		.amdhsa_exception_fp_ieee_invalid_op 0
		.amdhsa_exception_fp_denorm_src 0
		.amdhsa_exception_fp_ieee_div_zero 0
		.amdhsa_exception_fp_ieee_overflow 0
		.amdhsa_exception_fp_ieee_underflow 0
		.amdhsa_exception_fp_ieee_inexact 0
		.amdhsa_exception_int_div_zero 0
	.end_amdhsa_kernel
	.section	.text._ZN7rocprim17ROCPRIM_400000_NS6detail17trampoline_kernelINS0_14default_configENS1_25partition_config_selectorILNS1_17partition_subalgoE2EsNS0_10empty_typeEbEEZZNS1_14partition_implILS5_2ELb0ES3_jN6thrust23THRUST_200600_302600_NS6detail15normal_iteratorINSA_7pointerIsNSA_11hip_rocprim3tagENSA_11use_defaultESG_EEEEPS6_NSA_18transform_iteratorINSA_8identityIsEENSC_INSA_10device_ptrIsEEEESG_SG_EENS0_5tupleIJPsSJ_EEENSR_IJSJ_SJ_EEES6_PlJS6_EEE10hipError_tPvRmT3_T4_T5_T6_T7_T9_mT8_P12ihipStream_tbDpT10_ENKUlT_T0_E_clISt17integral_constantIbLb1EES1F_EEDaS1A_S1B_EUlS1A_E_NS1_11comp_targetILNS1_3genE4ELNS1_11target_archE910ELNS1_3gpuE8ELNS1_3repE0EEENS1_30default_config_static_selectorELNS0_4arch9wavefront6targetE1EEEvT1_,"axG",@progbits,_ZN7rocprim17ROCPRIM_400000_NS6detail17trampoline_kernelINS0_14default_configENS1_25partition_config_selectorILNS1_17partition_subalgoE2EsNS0_10empty_typeEbEEZZNS1_14partition_implILS5_2ELb0ES3_jN6thrust23THRUST_200600_302600_NS6detail15normal_iteratorINSA_7pointerIsNSA_11hip_rocprim3tagENSA_11use_defaultESG_EEEEPS6_NSA_18transform_iteratorINSA_8identityIsEENSC_INSA_10device_ptrIsEEEESG_SG_EENS0_5tupleIJPsSJ_EEENSR_IJSJ_SJ_EEES6_PlJS6_EEE10hipError_tPvRmT3_T4_T5_T6_T7_T9_mT8_P12ihipStream_tbDpT10_ENKUlT_T0_E_clISt17integral_constantIbLb1EES1F_EEDaS1A_S1B_EUlS1A_E_NS1_11comp_targetILNS1_3genE4ELNS1_11target_archE910ELNS1_3gpuE8ELNS1_3repE0EEENS1_30default_config_static_selectorELNS0_4arch9wavefront6targetE1EEEvT1_,comdat
.Lfunc_end555:
	.size	_ZN7rocprim17ROCPRIM_400000_NS6detail17trampoline_kernelINS0_14default_configENS1_25partition_config_selectorILNS1_17partition_subalgoE2EsNS0_10empty_typeEbEEZZNS1_14partition_implILS5_2ELb0ES3_jN6thrust23THRUST_200600_302600_NS6detail15normal_iteratorINSA_7pointerIsNSA_11hip_rocprim3tagENSA_11use_defaultESG_EEEEPS6_NSA_18transform_iteratorINSA_8identityIsEENSC_INSA_10device_ptrIsEEEESG_SG_EENS0_5tupleIJPsSJ_EEENSR_IJSJ_SJ_EEES6_PlJS6_EEE10hipError_tPvRmT3_T4_T5_T6_T7_T9_mT8_P12ihipStream_tbDpT10_ENKUlT_T0_E_clISt17integral_constantIbLb1EES1F_EEDaS1A_S1B_EUlS1A_E_NS1_11comp_targetILNS1_3genE4ELNS1_11target_archE910ELNS1_3gpuE8ELNS1_3repE0EEENS1_30default_config_static_selectorELNS0_4arch9wavefront6targetE1EEEvT1_, .Lfunc_end555-_ZN7rocprim17ROCPRIM_400000_NS6detail17trampoline_kernelINS0_14default_configENS1_25partition_config_selectorILNS1_17partition_subalgoE2EsNS0_10empty_typeEbEEZZNS1_14partition_implILS5_2ELb0ES3_jN6thrust23THRUST_200600_302600_NS6detail15normal_iteratorINSA_7pointerIsNSA_11hip_rocprim3tagENSA_11use_defaultESG_EEEEPS6_NSA_18transform_iteratorINSA_8identityIsEENSC_INSA_10device_ptrIsEEEESG_SG_EENS0_5tupleIJPsSJ_EEENSR_IJSJ_SJ_EEES6_PlJS6_EEE10hipError_tPvRmT3_T4_T5_T6_T7_T9_mT8_P12ihipStream_tbDpT10_ENKUlT_T0_E_clISt17integral_constantIbLb1EES1F_EEDaS1A_S1B_EUlS1A_E_NS1_11comp_targetILNS1_3genE4ELNS1_11target_archE910ELNS1_3gpuE8ELNS1_3repE0EEENS1_30default_config_static_selectorELNS0_4arch9wavefront6targetE1EEEvT1_
                                        ; -- End function
	.section	.AMDGPU.csdata,"",@progbits
; Kernel info:
; codeLenInByte = 0
; NumSgprs: 6
; NumVgprs: 0
; NumAgprs: 0
; TotalNumVgprs: 0
; ScratchSize: 0
; MemoryBound: 0
; FloatMode: 240
; IeeeMode: 1
; LDSByteSize: 0 bytes/workgroup (compile time only)
; SGPRBlocks: 0
; VGPRBlocks: 0
; NumSGPRsForWavesPerEU: 6
; NumVGPRsForWavesPerEU: 1
; AccumOffset: 4
; Occupancy: 8
; WaveLimiterHint : 0
; COMPUTE_PGM_RSRC2:SCRATCH_EN: 0
; COMPUTE_PGM_RSRC2:USER_SGPR: 2
; COMPUTE_PGM_RSRC2:TRAP_HANDLER: 0
; COMPUTE_PGM_RSRC2:TGID_X_EN: 1
; COMPUTE_PGM_RSRC2:TGID_Y_EN: 0
; COMPUTE_PGM_RSRC2:TGID_Z_EN: 0
; COMPUTE_PGM_RSRC2:TIDIG_COMP_CNT: 0
; COMPUTE_PGM_RSRC3_GFX90A:ACCUM_OFFSET: 0
; COMPUTE_PGM_RSRC3_GFX90A:TG_SPLIT: 0
	.section	.text._ZN7rocprim17ROCPRIM_400000_NS6detail17trampoline_kernelINS0_14default_configENS1_25partition_config_selectorILNS1_17partition_subalgoE2EsNS0_10empty_typeEbEEZZNS1_14partition_implILS5_2ELb0ES3_jN6thrust23THRUST_200600_302600_NS6detail15normal_iteratorINSA_7pointerIsNSA_11hip_rocprim3tagENSA_11use_defaultESG_EEEEPS6_NSA_18transform_iteratorINSA_8identityIsEENSC_INSA_10device_ptrIsEEEESG_SG_EENS0_5tupleIJPsSJ_EEENSR_IJSJ_SJ_EEES6_PlJS6_EEE10hipError_tPvRmT3_T4_T5_T6_T7_T9_mT8_P12ihipStream_tbDpT10_ENKUlT_T0_E_clISt17integral_constantIbLb1EES1F_EEDaS1A_S1B_EUlS1A_E_NS1_11comp_targetILNS1_3genE3ELNS1_11target_archE908ELNS1_3gpuE7ELNS1_3repE0EEENS1_30default_config_static_selectorELNS0_4arch9wavefront6targetE1EEEvT1_,"axG",@progbits,_ZN7rocprim17ROCPRIM_400000_NS6detail17trampoline_kernelINS0_14default_configENS1_25partition_config_selectorILNS1_17partition_subalgoE2EsNS0_10empty_typeEbEEZZNS1_14partition_implILS5_2ELb0ES3_jN6thrust23THRUST_200600_302600_NS6detail15normal_iteratorINSA_7pointerIsNSA_11hip_rocprim3tagENSA_11use_defaultESG_EEEEPS6_NSA_18transform_iteratorINSA_8identityIsEENSC_INSA_10device_ptrIsEEEESG_SG_EENS0_5tupleIJPsSJ_EEENSR_IJSJ_SJ_EEES6_PlJS6_EEE10hipError_tPvRmT3_T4_T5_T6_T7_T9_mT8_P12ihipStream_tbDpT10_ENKUlT_T0_E_clISt17integral_constantIbLb1EES1F_EEDaS1A_S1B_EUlS1A_E_NS1_11comp_targetILNS1_3genE3ELNS1_11target_archE908ELNS1_3gpuE7ELNS1_3repE0EEENS1_30default_config_static_selectorELNS0_4arch9wavefront6targetE1EEEvT1_,comdat
	.protected	_ZN7rocprim17ROCPRIM_400000_NS6detail17trampoline_kernelINS0_14default_configENS1_25partition_config_selectorILNS1_17partition_subalgoE2EsNS0_10empty_typeEbEEZZNS1_14partition_implILS5_2ELb0ES3_jN6thrust23THRUST_200600_302600_NS6detail15normal_iteratorINSA_7pointerIsNSA_11hip_rocprim3tagENSA_11use_defaultESG_EEEEPS6_NSA_18transform_iteratorINSA_8identityIsEENSC_INSA_10device_ptrIsEEEESG_SG_EENS0_5tupleIJPsSJ_EEENSR_IJSJ_SJ_EEES6_PlJS6_EEE10hipError_tPvRmT3_T4_T5_T6_T7_T9_mT8_P12ihipStream_tbDpT10_ENKUlT_T0_E_clISt17integral_constantIbLb1EES1F_EEDaS1A_S1B_EUlS1A_E_NS1_11comp_targetILNS1_3genE3ELNS1_11target_archE908ELNS1_3gpuE7ELNS1_3repE0EEENS1_30default_config_static_selectorELNS0_4arch9wavefront6targetE1EEEvT1_ ; -- Begin function _ZN7rocprim17ROCPRIM_400000_NS6detail17trampoline_kernelINS0_14default_configENS1_25partition_config_selectorILNS1_17partition_subalgoE2EsNS0_10empty_typeEbEEZZNS1_14partition_implILS5_2ELb0ES3_jN6thrust23THRUST_200600_302600_NS6detail15normal_iteratorINSA_7pointerIsNSA_11hip_rocprim3tagENSA_11use_defaultESG_EEEEPS6_NSA_18transform_iteratorINSA_8identityIsEENSC_INSA_10device_ptrIsEEEESG_SG_EENS0_5tupleIJPsSJ_EEENSR_IJSJ_SJ_EEES6_PlJS6_EEE10hipError_tPvRmT3_T4_T5_T6_T7_T9_mT8_P12ihipStream_tbDpT10_ENKUlT_T0_E_clISt17integral_constantIbLb1EES1F_EEDaS1A_S1B_EUlS1A_E_NS1_11comp_targetILNS1_3genE3ELNS1_11target_archE908ELNS1_3gpuE7ELNS1_3repE0EEENS1_30default_config_static_selectorELNS0_4arch9wavefront6targetE1EEEvT1_
	.globl	_ZN7rocprim17ROCPRIM_400000_NS6detail17trampoline_kernelINS0_14default_configENS1_25partition_config_selectorILNS1_17partition_subalgoE2EsNS0_10empty_typeEbEEZZNS1_14partition_implILS5_2ELb0ES3_jN6thrust23THRUST_200600_302600_NS6detail15normal_iteratorINSA_7pointerIsNSA_11hip_rocprim3tagENSA_11use_defaultESG_EEEEPS6_NSA_18transform_iteratorINSA_8identityIsEENSC_INSA_10device_ptrIsEEEESG_SG_EENS0_5tupleIJPsSJ_EEENSR_IJSJ_SJ_EEES6_PlJS6_EEE10hipError_tPvRmT3_T4_T5_T6_T7_T9_mT8_P12ihipStream_tbDpT10_ENKUlT_T0_E_clISt17integral_constantIbLb1EES1F_EEDaS1A_S1B_EUlS1A_E_NS1_11comp_targetILNS1_3genE3ELNS1_11target_archE908ELNS1_3gpuE7ELNS1_3repE0EEENS1_30default_config_static_selectorELNS0_4arch9wavefront6targetE1EEEvT1_
	.p2align	8
	.type	_ZN7rocprim17ROCPRIM_400000_NS6detail17trampoline_kernelINS0_14default_configENS1_25partition_config_selectorILNS1_17partition_subalgoE2EsNS0_10empty_typeEbEEZZNS1_14partition_implILS5_2ELb0ES3_jN6thrust23THRUST_200600_302600_NS6detail15normal_iteratorINSA_7pointerIsNSA_11hip_rocprim3tagENSA_11use_defaultESG_EEEEPS6_NSA_18transform_iteratorINSA_8identityIsEENSC_INSA_10device_ptrIsEEEESG_SG_EENS0_5tupleIJPsSJ_EEENSR_IJSJ_SJ_EEES6_PlJS6_EEE10hipError_tPvRmT3_T4_T5_T6_T7_T9_mT8_P12ihipStream_tbDpT10_ENKUlT_T0_E_clISt17integral_constantIbLb1EES1F_EEDaS1A_S1B_EUlS1A_E_NS1_11comp_targetILNS1_3genE3ELNS1_11target_archE908ELNS1_3gpuE7ELNS1_3repE0EEENS1_30default_config_static_selectorELNS0_4arch9wavefront6targetE1EEEvT1_,@function
_ZN7rocprim17ROCPRIM_400000_NS6detail17trampoline_kernelINS0_14default_configENS1_25partition_config_selectorILNS1_17partition_subalgoE2EsNS0_10empty_typeEbEEZZNS1_14partition_implILS5_2ELb0ES3_jN6thrust23THRUST_200600_302600_NS6detail15normal_iteratorINSA_7pointerIsNSA_11hip_rocprim3tagENSA_11use_defaultESG_EEEEPS6_NSA_18transform_iteratorINSA_8identityIsEENSC_INSA_10device_ptrIsEEEESG_SG_EENS0_5tupleIJPsSJ_EEENSR_IJSJ_SJ_EEES6_PlJS6_EEE10hipError_tPvRmT3_T4_T5_T6_T7_T9_mT8_P12ihipStream_tbDpT10_ENKUlT_T0_E_clISt17integral_constantIbLb1EES1F_EEDaS1A_S1B_EUlS1A_E_NS1_11comp_targetILNS1_3genE3ELNS1_11target_archE908ELNS1_3gpuE7ELNS1_3repE0EEENS1_30default_config_static_selectorELNS0_4arch9wavefront6targetE1EEEvT1_: ; @_ZN7rocprim17ROCPRIM_400000_NS6detail17trampoline_kernelINS0_14default_configENS1_25partition_config_selectorILNS1_17partition_subalgoE2EsNS0_10empty_typeEbEEZZNS1_14partition_implILS5_2ELb0ES3_jN6thrust23THRUST_200600_302600_NS6detail15normal_iteratorINSA_7pointerIsNSA_11hip_rocprim3tagENSA_11use_defaultESG_EEEEPS6_NSA_18transform_iteratorINSA_8identityIsEENSC_INSA_10device_ptrIsEEEESG_SG_EENS0_5tupleIJPsSJ_EEENSR_IJSJ_SJ_EEES6_PlJS6_EEE10hipError_tPvRmT3_T4_T5_T6_T7_T9_mT8_P12ihipStream_tbDpT10_ENKUlT_T0_E_clISt17integral_constantIbLb1EES1F_EEDaS1A_S1B_EUlS1A_E_NS1_11comp_targetILNS1_3genE3ELNS1_11target_archE908ELNS1_3gpuE7ELNS1_3repE0EEENS1_30default_config_static_selectorELNS0_4arch9wavefront6targetE1EEEvT1_
; %bb.0:
	.section	.rodata,"a",@progbits
	.p2align	6, 0x0
	.amdhsa_kernel _ZN7rocprim17ROCPRIM_400000_NS6detail17trampoline_kernelINS0_14default_configENS1_25partition_config_selectorILNS1_17partition_subalgoE2EsNS0_10empty_typeEbEEZZNS1_14partition_implILS5_2ELb0ES3_jN6thrust23THRUST_200600_302600_NS6detail15normal_iteratorINSA_7pointerIsNSA_11hip_rocprim3tagENSA_11use_defaultESG_EEEEPS6_NSA_18transform_iteratorINSA_8identityIsEENSC_INSA_10device_ptrIsEEEESG_SG_EENS0_5tupleIJPsSJ_EEENSR_IJSJ_SJ_EEES6_PlJS6_EEE10hipError_tPvRmT3_T4_T5_T6_T7_T9_mT8_P12ihipStream_tbDpT10_ENKUlT_T0_E_clISt17integral_constantIbLb1EES1F_EEDaS1A_S1B_EUlS1A_E_NS1_11comp_targetILNS1_3genE3ELNS1_11target_archE908ELNS1_3gpuE7ELNS1_3repE0EEENS1_30default_config_static_selectorELNS0_4arch9wavefront6targetE1EEEvT1_
		.amdhsa_group_segment_fixed_size 0
		.amdhsa_private_segment_fixed_size 0
		.amdhsa_kernarg_size 144
		.amdhsa_user_sgpr_count 2
		.amdhsa_user_sgpr_dispatch_ptr 0
		.amdhsa_user_sgpr_queue_ptr 0
		.amdhsa_user_sgpr_kernarg_segment_ptr 1
		.amdhsa_user_sgpr_dispatch_id 0
		.amdhsa_user_sgpr_kernarg_preload_length 0
		.amdhsa_user_sgpr_kernarg_preload_offset 0
		.amdhsa_user_sgpr_private_segment_size 0
		.amdhsa_uses_dynamic_stack 0
		.amdhsa_enable_private_segment 0
		.amdhsa_system_sgpr_workgroup_id_x 1
		.amdhsa_system_sgpr_workgroup_id_y 0
		.amdhsa_system_sgpr_workgroup_id_z 0
		.amdhsa_system_sgpr_workgroup_info 0
		.amdhsa_system_vgpr_workitem_id 0
		.amdhsa_next_free_vgpr 1
		.amdhsa_next_free_sgpr 0
		.amdhsa_accum_offset 4
		.amdhsa_reserve_vcc 0
		.amdhsa_float_round_mode_32 0
		.amdhsa_float_round_mode_16_64 0
		.amdhsa_float_denorm_mode_32 3
		.amdhsa_float_denorm_mode_16_64 3
		.amdhsa_dx10_clamp 1
		.amdhsa_ieee_mode 1
		.amdhsa_fp16_overflow 0
		.amdhsa_tg_split 0
		.amdhsa_exception_fp_ieee_invalid_op 0
		.amdhsa_exception_fp_denorm_src 0
		.amdhsa_exception_fp_ieee_div_zero 0
		.amdhsa_exception_fp_ieee_overflow 0
		.amdhsa_exception_fp_ieee_underflow 0
		.amdhsa_exception_fp_ieee_inexact 0
		.amdhsa_exception_int_div_zero 0
	.end_amdhsa_kernel
	.section	.text._ZN7rocprim17ROCPRIM_400000_NS6detail17trampoline_kernelINS0_14default_configENS1_25partition_config_selectorILNS1_17partition_subalgoE2EsNS0_10empty_typeEbEEZZNS1_14partition_implILS5_2ELb0ES3_jN6thrust23THRUST_200600_302600_NS6detail15normal_iteratorINSA_7pointerIsNSA_11hip_rocprim3tagENSA_11use_defaultESG_EEEEPS6_NSA_18transform_iteratorINSA_8identityIsEENSC_INSA_10device_ptrIsEEEESG_SG_EENS0_5tupleIJPsSJ_EEENSR_IJSJ_SJ_EEES6_PlJS6_EEE10hipError_tPvRmT3_T4_T5_T6_T7_T9_mT8_P12ihipStream_tbDpT10_ENKUlT_T0_E_clISt17integral_constantIbLb1EES1F_EEDaS1A_S1B_EUlS1A_E_NS1_11comp_targetILNS1_3genE3ELNS1_11target_archE908ELNS1_3gpuE7ELNS1_3repE0EEENS1_30default_config_static_selectorELNS0_4arch9wavefront6targetE1EEEvT1_,"axG",@progbits,_ZN7rocprim17ROCPRIM_400000_NS6detail17trampoline_kernelINS0_14default_configENS1_25partition_config_selectorILNS1_17partition_subalgoE2EsNS0_10empty_typeEbEEZZNS1_14partition_implILS5_2ELb0ES3_jN6thrust23THRUST_200600_302600_NS6detail15normal_iteratorINSA_7pointerIsNSA_11hip_rocprim3tagENSA_11use_defaultESG_EEEEPS6_NSA_18transform_iteratorINSA_8identityIsEENSC_INSA_10device_ptrIsEEEESG_SG_EENS0_5tupleIJPsSJ_EEENSR_IJSJ_SJ_EEES6_PlJS6_EEE10hipError_tPvRmT3_T4_T5_T6_T7_T9_mT8_P12ihipStream_tbDpT10_ENKUlT_T0_E_clISt17integral_constantIbLb1EES1F_EEDaS1A_S1B_EUlS1A_E_NS1_11comp_targetILNS1_3genE3ELNS1_11target_archE908ELNS1_3gpuE7ELNS1_3repE0EEENS1_30default_config_static_selectorELNS0_4arch9wavefront6targetE1EEEvT1_,comdat
.Lfunc_end556:
	.size	_ZN7rocprim17ROCPRIM_400000_NS6detail17trampoline_kernelINS0_14default_configENS1_25partition_config_selectorILNS1_17partition_subalgoE2EsNS0_10empty_typeEbEEZZNS1_14partition_implILS5_2ELb0ES3_jN6thrust23THRUST_200600_302600_NS6detail15normal_iteratorINSA_7pointerIsNSA_11hip_rocprim3tagENSA_11use_defaultESG_EEEEPS6_NSA_18transform_iteratorINSA_8identityIsEENSC_INSA_10device_ptrIsEEEESG_SG_EENS0_5tupleIJPsSJ_EEENSR_IJSJ_SJ_EEES6_PlJS6_EEE10hipError_tPvRmT3_T4_T5_T6_T7_T9_mT8_P12ihipStream_tbDpT10_ENKUlT_T0_E_clISt17integral_constantIbLb1EES1F_EEDaS1A_S1B_EUlS1A_E_NS1_11comp_targetILNS1_3genE3ELNS1_11target_archE908ELNS1_3gpuE7ELNS1_3repE0EEENS1_30default_config_static_selectorELNS0_4arch9wavefront6targetE1EEEvT1_, .Lfunc_end556-_ZN7rocprim17ROCPRIM_400000_NS6detail17trampoline_kernelINS0_14default_configENS1_25partition_config_selectorILNS1_17partition_subalgoE2EsNS0_10empty_typeEbEEZZNS1_14partition_implILS5_2ELb0ES3_jN6thrust23THRUST_200600_302600_NS6detail15normal_iteratorINSA_7pointerIsNSA_11hip_rocprim3tagENSA_11use_defaultESG_EEEEPS6_NSA_18transform_iteratorINSA_8identityIsEENSC_INSA_10device_ptrIsEEEESG_SG_EENS0_5tupleIJPsSJ_EEENSR_IJSJ_SJ_EEES6_PlJS6_EEE10hipError_tPvRmT3_T4_T5_T6_T7_T9_mT8_P12ihipStream_tbDpT10_ENKUlT_T0_E_clISt17integral_constantIbLb1EES1F_EEDaS1A_S1B_EUlS1A_E_NS1_11comp_targetILNS1_3genE3ELNS1_11target_archE908ELNS1_3gpuE7ELNS1_3repE0EEENS1_30default_config_static_selectorELNS0_4arch9wavefront6targetE1EEEvT1_
                                        ; -- End function
	.section	.AMDGPU.csdata,"",@progbits
; Kernel info:
; codeLenInByte = 0
; NumSgprs: 6
; NumVgprs: 0
; NumAgprs: 0
; TotalNumVgprs: 0
; ScratchSize: 0
; MemoryBound: 0
; FloatMode: 240
; IeeeMode: 1
; LDSByteSize: 0 bytes/workgroup (compile time only)
; SGPRBlocks: 0
; VGPRBlocks: 0
; NumSGPRsForWavesPerEU: 6
; NumVGPRsForWavesPerEU: 1
; AccumOffset: 4
; Occupancy: 8
; WaveLimiterHint : 0
; COMPUTE_PGM_RSRC2:SCRATCH_EN: 0
; COMPUTE_PGM_RSRC2:USER_SGPR: 2
; COMPUTE_PGM_RSRC2:TRAP_HANDLER: 0
; COMPUTE_PGM_RSRC2:TGID_X_EN: 1
; COMPUTE_PGM_RSRC2:TGID_Y_EN: 0
; COMPUTE_PGM_RSRC2:TGID_Z_EN: 0
; COMPUTE_PGM_RSRC2:TIDIG_COMP_CNT: 0
; COMPUTE_PGM_RSRC3_GFX90A:ACCUM_OFFSET: 0
; COMPUTE_PGM_RSRC3_GFX90A:TG_SPLIT: 0
	.section	.text._ZN7rocprim17ROCPRIM_400000_NS6detail17trampoline_kernelINS0_14default_configENS1_25partition_config_selectorILNS1_17partition_subalgoE2EsNS0_10empty_typeEbEEZZNS1_14partition_implILS5_2ELb0ES3_jN6thrust23THRUST_200600_302600_NS6detail15normal_iteratorINSA_7pointerIsNSA_11hip_rocprim3tagENSA_11use_defaultESG_EEEEPS6_NSA_18transform_iteratorINSA_8identityIsEENSC_INSA_10device_ptrIsEEEESG_SG_EENS0_5tupleIJPsSJ_EEENSR_IJSJ_SJ_EEES6_PlJS6_EEE10hipError_tPvRmT3_T4_T5_T6_T7_T9_mT8_P12ihipStream_tbDpT10_ENKUlT_T0_E_clISt17integral_constantIbLb1EES1F_EEDaS1A_S1B_EUlS1A_E_NS1_11comp_targetILNS1_3genE2ELNS1_11target_archE906ELNS1_3gpuE6ELNS1_3repE0EEENS1_30default_config_static_selectorELNS0_4arch9wavefront6targetE1EEEvT1_,"axG",@progbits,_ZN7rocprim17ROCPRIM_400000_NS6detail17trampoline_kernelINS0_14default_configENS1_25partition_config_selectorILNS1_17partition_subalgoE2EsNS0_10empty_typeEbEEZZNS1_14partition_implILS5_2ELb0ES3_jN6thrust23THRUST_200600_302600_NS6detail15normal_iteratorINSA_7pointerIsNSA_11hip_rocprim3tagENSA_11use_defaultESG_EEEEPS6_NSA_18transform_iteratorINSA_8identityIsEENSC_INSA_10device_ptrIsEEEESG_SG_EENS0_5tupleIJPsSJ_EEENSR_IJSJ_SJ_EEES6_PlJS6_EEE10hipError_tPvRmT3_T4_T5_T6_T7_T9_mT8_P12ihipStream_tbDpT10_ENKUlT_T0_E_clISt17integral_constantIbLb1EES1F_EEDaS1A_S1B_EUlS1A_E_NS1_11comp_targetILNS1_3genE2ELNS1_11target_archE906ELNS1_3gpuE6ELNS1_3repE0EEENS1_30default_config_static_selectorELNS0_4arch9wavefront6targetE1EEEvT1_,comdat
	.protected	_ZN7rocprim17ROCPRIM_400000_NS6detail17trampoline_kernelINS0_14default_configENS1_25partition_config_selectorILNS1_17partition_subalgoE2EsNS0_10empty_typeEbEEZZNS1_14partition_implILS5_2ELb0ES3_jN6thrust23THRUST_200600_302600_NS6detail15normal_iteratorINSA_7pointerIsNSA_11hip_rocprim3tagENSA_11use_defaultESG_EEEEPS6_NSA_18transform_iteratorINSA_8identityIsEENSC_INSA_10device_ptrIsEEEESG_SG_EENS0_5tupleIJPsSJ_EEENSR_IJSJ_SJ_EEES6_PlJS6_EEE10hipError_tPvRmT3_T4_T5_T6_T7_T9_mT8_P12ihipStream_tbDpT10_ENKUlT_T0_E_clISt17integral_constantIbLb1EES1F_EEDaS1A_S1B_EUlS1A_E_NS1_11comp_targetILNS1_3genE2ELNS1_11target_archE906ELNS1_3gpuE6ELNS1_3repE0EEENS1_30default_config_static_selectorELNS0_4arch9wavefront6targetE1EEEvT1_ ; -- Begin function _ZN7rocprim17ROCPRIM_400000_NS6detail17trampoline_kernelINS0_14default_configENS1_25partition_config_selectorILNS1_17partition_subalgoE2EsNS0_10empty_typeEbEEZZNS1_14partition_implILS5_2ELb0ES3_jN6thrust23THRUST_200600_302600_NS6detail15normal_iteratorINSA_7pointerIsNSA_11hip_rocprim3tagENSA_11use_defaultESG_EEEEPS6_NSA_18transform_iteratorINSA_8identityIsEENSC_INSA_10device_ptrIsEEEESG_SG_EENS0_5tupleIJPsSJ_EEENSR_IJSJ_SJ_EEES6_PlJS6_EEE10hipError_tPvRmT3_T4_T5_T6_T7_T9_mT8_P12ihipStream_tbDpT10_ENKUlT_T0_E_clISt17integral_constantIbLb1EES1F_EEDaS1A_S1B_EUlS1A_E_NS1_11comp_targetILNS1_3genE2ELNS1_11target_archE906ELNS1_3gpuE6ELNS1_3repE0EEENS1_30default_config_static_selectorELNS0_4arch9wavefront6targetE1EEEvT1_
	.globl	_ZN7rocprim17ROCPRIM_400000_NS6detail17trampoline_kernelINS0_14default_configENS1_25partition_config_selectorILNS1_17partition_subalgoE2EsNS0_10empty_typeEbEEZZNS1_14partition_implILS5_2ELb0ES3_jN6thrust23THRUST_200600_302600_NS6detail15normal_iteratorINSA_7pointerIsNSA_11hip_rocprim3tagENSA_11use_defaultESG_EEEEPS6_NSA_18transform_iteratorINSA_8identityIsEENSC_INSA_10device_ptrIsEEEESG_SG_EENS0_5tupleIJPsSJ_EEENSR_IJSJ_SJ_EEES6_PlJS6_EEE10hipError_tPvRmT3_T4_T5_T6_T7_T9_mT8_P12ihipStream_tbDpT10_ENKUlT_T0_E_clISt17integral_constantIbLb1EES1F_EEDaS1A_S1B_EUlS1A_E_NS1_11comp_targetILNS1_3genE2ELNS1_11target_archE906ELNS1_3gpuE6ELNS1_3repE0EEENS1_30default_config_static_selectorELNS0_4arch9wavefront6targetE1EEEvT1_
	.p2align	8
	.type	_ZN7rocprim17ROCPRIM_400000_NS6detail17trampoline_kernelINS0_14default_configENS1_25partition_config_selectorILNS1_17partition_subalgoE2EsNS0_10empty_typeEbEEZZNS1_14partition_implILS5_2ELb0ES3_jN6thrust23THRUST_200600_302600_NS6detail15normal_iteratorINSA_7pointerIsNSA_11hip_rocprim3tagENSA_11use_defaultESG_EEEEPS6_NSA_18transform_iteratorINSA_8identityIsEENSC_INSA_10device_ptrIsEEEESG_SG_EENS0_5tupleIJPsSJ_EEENSR_IJSJ_SJ_EEES6_PlJS6_EEE10hipError_tPvRmT3_T4_T5_T6_T7_T9_mT8_P12ihipStream_tbDpT10_ENKUlT_T0_E_clISt17integral_constantIbLb1EES1F_EEDaS1A_S1B_EUlS1A_E_NS1_11comp_targetILNS1_3genE2ELNS1_11target_archE906ELNS1_3gpuE6ELNS1_3repE0EEENS1_30default_config_static_selectorELNS0_4arch9wavefront6targetE1EEEvT1_,@function
_ZN7rocprim17ROCPRIM_400000_NS6detail17trampoline_kernelINS0_14default_configENS1_25partition_config_selectorILNS1_17partition_subalgoE2EsNS0_10empty_typeEbEEZZNS1_14partition_implILS5_2ELb0ES3_jN6thrust23THRUST_200600_302600_NS6detail15normal_iteratorINSA_7pointerIsNSA_11hip_rocprim3tagENSA_11use_defaultESG_EEEEPS6_NSA_18transform_iteratorINSA_8identityIsEENSC_INSA_10device_ptrIsEEEESG_SG_EENS0_5tupleIJPsSJ_EEENSR_IJSJ_SJ_EEES6_PlJS6_EEE10hipError_tPvRmT3_T4_T5_T6_T7_T9_mT8_P12ihipStream_tbDpT10_ENKUlT_T0_E_clISt17integral_constantIbLb1EES1F_EEDaS1A_S1B_EUlS1A_E_NS1_11comp_targetILNS1_3genE2ELNS1_11target_archE906ELNS1_3gpuE6ELNS1_3repE0EEENS1_30default_config_static_selectorELNS0_4arch9wavefront6targetE1EEEvT1_: ; @_ZN7rocprim17ROCPRIM_400000_NS6detail17trampoline_kernelINS0_14default_configENS1_25partition_config_selectorILNS1_17partition_subalgoE2EsNS0_10empty_typeEbEEZZNS1_14partition_implILS5_2ELb0ES3_jN6thrust23THRUST_200600_302600_NS6detail15normal_iteratorINSA_7pointerIsNSA_11hip_rocprim3tagENSA_11use_defaultESG_EEEEPS6_NSA_18transform_iteratorINSA_8identityIsEENSC_INSA_10device_ptrIsEEEESG_SG_EENS0_5tupleIJPsSJ_EEENSR_IJSJ_SJ_EEES6_PlJS6_EEE10hipError_tPvRmT3_T4_T5_T6_T7_T9_mT8_P12ihipStream_tbDpT10_ENKUlT_T0_E_clISt17integral_constantIbLb1EES1F_EEDaS1A_S1B_EUlS1A_E_NS1_11comp_targetILNS1_3genE2ELNS1_11target_archE906ELNS1_3gpuE6ELNS1_3repE0EEENS1_30default_config_static_selectorELNS0_4arch9wavefront6targetE1EEEvT1_
; %bb.0:
	.section	.rodata,"a",@progbits
	.p2align	6, 0x0
	.amdhsa_kernel _ZN7rocprim17ROCPRIM_400000_NS6detail17trampoline_kernelINS0_14default_configENS1_25partition_config_selectorILNS1_17partition_subalgoE2EsNS0_10empty_typeEbEEZZNS1_14partition_implILS5_2ELb0ES3_jN6thrust23THRUST_200600_302600_NS6detail15normal_iteratorINSA_7pointerIsNSA_11hip_rocprim3tagENSA_11use_defaultESG_EEEEPS6_NSA_18transform_iteratorINSA_8identityIsEENSC_INSA_10device_ptrIsEEEESG_SG_EENS0_5tupleIJPsSJ_EEENSR_IJSJ_SJ_EEES6_PlJS6_EEE10hipError_tPvRmT3_T4_T5_T6_T7_T9_mT8_P12ihipStream_tbDpT10_ENKUlT_T0_E_clISt17integral_constantIbLb1EES1F_EEDaS1A_S1B_EUlS1A_E_NS1_11comp_targetILNS1_3genE2ELNS1_11target_archE906ELNS1_3gpuE6ELNS1_3repE0EEENS1_30default_config_static_selectorELNS0_4arch9wavefront6targetE1EEEvT1_
		.amdhsa_group_segment_fixed_size 0
		.amdhsa_private_segment_fixed_size 0
		.amdhsa_kernarg_size 144
		.amdhsa_user_sgpr_count 2
		.amdhsa_user_sgpr_dispatch_ptr 0
		.amdhsa_user_sgpr_queue_ptr 0
		.amdhsa_user_sgpr_kernarg_segment_ptr 1
		.amdhsa_user_sgpr_dispatch_id 0
		.amdhsa_user_sgpr_kernarg_preload_length 0
		.amdhsa_user_sgpr_kernarg_preload_offset 0
		.amdhsa_user_sgpr_private_segment_size 0
		.amdhsa_uses_dynamic_stack 0
		.amdhsa_enable_private_segment 0
		.amdhsa_system_sgpr_workgroup_id_x 1
		.amdhsa_system_sgpr_workgroup_id_y 0
		.amdhsa_system_sgpr_workgroup_id_z 0
		.amdhsa_system_sgpr_workgroup_info 0
		.amdhsa_system_vgpr_workitem_id 0
		.amdhsa_next_free_vgpr 1
		.amdhsa_next_free_sgpr 0
		.amdhsa_accum_offset 4
		.amdhsa_reserve_vcc 0
		.amdhsa_float_round_mode_32 0
		.amdhsa_float_round_mode_16_64 0
		.amdhsa_float_denorm_mode_32 3
		.amdhsa_float_denorm_mode_16_64 3
		.amdhsa_dx10_clamp 1
		.amdhsa_ieee_mode 1
		.amdhsa_fp16_overflow 0
		.amdhsa_tg_split 0
		.amdhsa_exception_fp_ieee_invalid_op 0
		.amdhsa_exception_fp_denorm_src 0
		.amdhsa_exception_fp_ieee_div_zero 0
		.amdhsa_exception_fp_ieee_overflow 0
		.amdhsa_exception_fp_ieee_underflow 0
		.amdhsa_exception_fp_ieee_inexact 0
		.amdhsa_exception_int_div_zero 0
	.end_amdhsa_kernel
	.section	.text._ZN7rocprim17ROCPRIM_400000_NS6detail17trampoline_kernelINS0_14default_configENS1_25partition_config_selectorILNS1_17partition_subalgoE2EsNS0_10empty_typeEbEEZZNS1_14partition_implILS5_2ELb0ES3_jN6thrust23THRUST_200600_302600_NS6detail15normal_iteratorINSA_7pointerIsNSA_11hip_rocprim3tagENSA_11use_defaultESG_EEEEPS6_NSA_18transform_iteratorINSA_8identityIsEENSC_INSA_10device_ptrIsEEEESG_SG_EENS0_5tupleIJPsSJ_EEENSR_IJSJ_SJ_EEES6_PlJS6_EEE10hipError_tPvRmT3_T4_T5_T6_T7_T9_mT8_P12ihipStream_tbDpT10_ENKUlT_T0_E_clISt17integral_constantIbLb1EES1F_EEDaS1A_S1B_EUlS1A_E_NS1_11comp_targetILNS1_3genE2ELNS1_11target_archE906ELNS1_3gpuE6ELNS1_3repE0EEENS1_30default_config_static_selectorELNS0_4arch9wavefront6targetE1EEEvT1_,"axG",@progbits,_ZN7rocprim17ROCPRIM_400000_NS6detail17trampoline_kernelINS0_14default_configENS1_25partition_config_selectorILNS1_17partition_subalgoE2EsNS0_10empty_typeEbEEZZNS1_14partition_implILS5_2ELb0ES3_jN6thrust23THRUST_200600_302600_NS6detail15normal_iteratorINSA_7pointerIsNSA_11hip_rocprim3tagENSA_11use_defaultESG_EEEEPS6_NSA_18transform_iteratorINSA_8identityIsEENSC_INSA_10device_ptrIsEEEESG_SG_EENS0_5tupleIJPsSJ_EEENSR_IJSJ_SJ_EEES6_PlJS6_EEE10hipError_tPvRmT3_T4_T5_T6_T7_T9_mT8_P12ihipStream_tbDpT10_ENKUlT_T0_E_clISt17integral_constantIbLb1EES1F_EEDaS1A_S1B_EUlS1A_E_NS1_11comp_targetILNS1_3genE2ELNS1_11target_archE906ELNS1_3gpuE6ELNS1_3repE0EEENS1_30default_config_static_selectorELNS0_4arch9wavefront6targetE1EEEvT1_,comdat
.Lfunc_end557:
	.size	_ZN7rocprim17ROCPRIM_400000_NS6detail17trampoline_kernelINS0_14default_configENS1_25partition_config_selectorILNS1_17partition_subalgoE2EsNS0_10empty_typeEbEEZZNS1_14partition_implILS5_2ELb0ES3_jN6thrust23THRUST_200600_302600_NS6detail15normal_iteratorINSA_7pointerIsNSA_11hip_rocprim3tagENSA_11use_defaultESG_EEEEPS6_NSA_18transform_iteratorINSA_8identityIsEENSC_INSA_10device_ptrIsEEEESG_SG_EENS0_5tupleIJPsSJ_EEENSR_IJSJ_SJ_EEES6_PlJS6_EEE10hipError_tPvRmT3_T4_T5_T6_T7_T9_mT8_P12ihipStream_tbDpT10_ENKUlT_T0_E_clISt17integral_constantIbLb1EES1F_EEDaS1A_S1B_EUlS1A_E_NS1_11comp_targetILNS1_3genE2ELNS1_11target_archE906ELNS1_3gpuE6ELNS1_3repE0EEENS1_30default_config_static_selectorELNS0_4arch9wavefront6targetE1EEEvT1_, .Lfunc_end557-_ZN7rocprim17ROCPRIM_400000_NS6detail17trampoline_kernelINS0_14default_configENS1_25partition_config_selectorILNS1_17partition_subalgoE2EsNS0_10empty_typeEbEEZZNS1_14partition_implILS5_2ELb0ES3_jN6thrust23THRUST_200600_302600_NS6detail15normal_iteratorINSA_7pointerIsNSA_11hip_rocprim3tagENSA_11use_defaultESG_EEEEPS6_NSA_18transform_iteratorINSA_8identityIsEENSC_INSA_10device_ptrIsEEEESG_SG_EENS0_5tupleIJPsSJ_EEENSR_IJSJ_SJ_EEES6_PlJS6_EEE10hipError_tPvRmT3_T4_T5_T6_T7_T9_mT8_P12ihipStream_tbDpT10_ENKUlT_T0_E_clISt17integral_constantIbLb1EES1F_EEDaS1A_S1B_EUlS1A_E_NS1_11comp_targetILNS1_3genE2ELNS1_11target_archE906ELNS1_3gpuE6ELNS1_3repE0EEENS1_30default_config_static_selectorELNS0_4arch9wavefront6targetE1EEEvT1_
                                        ; -- End function
	.section	.AMDGPU.csdata,"",@progbits
; Kernel info:
; codeLenInByte = 0
; NumSgprs: 6
; NumVgprs: 0
; NumAgprs: 0
; TotalNumVgprs: 0
; ScratchSize: 0
; MemoryBound: 0
; FloatMode: 240
; IeeeMode: 1
; LDSByteSize: 0 bytes/workgroup (compile time only)
; SGPRBlocks: 0
; VGPRBlocks: 0
; NumSGPRsForWavesPerEU: 6
; NumVGPRsForWavesPerEU: 1
; AccumOffset: 4
; Occupancy: 8
; WaveLimiterHint : 0
; COMPUTE_PGM_RSRC2:SCRATCH_EN: 0
; COMPUTE_PGM_RSRC2:USER_SGPR: 2
; COMPUTE_PGM_RSRC2:TRAP_HANDLER: 0
; COMPUTE_PGM_RSRC2:TGID_X_EN: 1
; COMPUTE_PGM_RSRC2:TGID_Y_EN: 0
; COMPUTE_PGM_RSRC2:TGID_Z_EN: 0
; COMPUTE_PGM_RSRC2:TIDIG_COMP_CNT: 0
; COMPUTE_PGM_RSRC3_GFX90A:ACCUM_OFFSET: 0
; COMPUTE_PGM_RSRC3_GFX90A:TG_SPLIT: 0
	.section	.text._ZN7rocprim17ROCPRIM_400000_NS6detail17trampoline_kernelINS0_14default_configENS1_25partition_config_selectorILNS1_17partition_subalgoE2EsNS0_10empty_typeEbEEZZNS1_14partition_implILS5_2ELb0ES3_jN6thrust23THRUST_200600_302600_NS6detail15normal_iteratorINSA_7pointerIsNSA_11hip_rocprim3tagENSA_11use_defaultESG_EEEEPS6_NSA_18transform_iteratorINSA_8identityIsEENSC_INSA_10device_ptrIsEEEESG_SG_EENS0_5tupleIJPsSJ_EEENSR_IJSJ_SJ_EEES6_PlJS6_EEE10hipError_tPvRmT3_T4_T5_T6_T7_T9_mT8_P12ihipStream_tbDpT10_ENKUlT_T0_E_clISt17integral_constantIbLb1EES1F_EEDaS1A_S1B_EUlS1A_E_NS1_11comp_targetILNS1_3genE10ELNS1_11target_archE1200ELNS1_3gpuE4ELNS1_3repE0EEENS1_30default_config_static_selectorELNS0_4arch9wavefront6targetE1EEEvT1_,"axG",@progbits,_ZN7rocprim17ROCPRIM_400000_NS6detail17trampoline_kernelINS0_14default_configENS1_25partition_config_selectorILNS1_17partition_subalgoE2EsNS0_10empty_typeEbEEZZNS1_14partition_implILS5_2ELb0ES3_jN6thrust23THRUST_200600_302600_NS6detail15normal_iteratorINSA_7pointerIsNSA_11hip_rocprim3tagENSA_11use_defaultESG_EEEEPS6_NSA_18transform_iteratorINSA_8identityIsEENSC_INSA_10device_ptrIsEEEESG_SG_EENS0_5tupleIJPsSJ_EEENSR_IJSJ_SJ_EEES6_PlJS6_EEE10hipError_tPvRmT3_T4_T5_T6_T7_T9_mT8_P12ihipStream_tbDpT10_ENKUlT_T0_E_clISt17integral_constantIbLb1EES1F_EEDaS1A_S1B_EUlS1A_E_NS1_11comp_targetILNS1_3genE10ELNS1_11target_archE1200ELNS1_3gpuE4ELNS1_3repE0EEENS1_30default_config_static_selectorELNS0_4arch9wavefront6targetE1EEEvT1_,comdat
	.protected	_ZN7rocprim17ROCPRIM_400000_NS6detail17trampoline_kernelINS0_14default_configENS1_25partition_config_selectorILNS1_17partition_subalgoE2EsNS0_10empty_typeEbEEZZNS1_14partition_implILS5_2ELb0ES3_jN6thrust23THRUST_200600_302600_NS6detail15normal_iteratorINSA_7pointerIsNSA_11hip_rocprim3tagENSA_11use_defaultESG_EEEEPS6_NSA_18transform_iteratorINSA_8identityIsEENSC_INSA_10device_ptrIsEEEESG_SG_EENS0_5tupleIJPsSJ_EEENSR_IJSJ_SJ_EEES6_PlJS6_EEE10hipError_tPvRmT3_T4_T5_T6_T7_T9_mT8_P12ihipStream_tbDpT10_ENKUlT_T0_E_clISt17integral_constantIbLb1EES1F_EEDaS1A_S1B_EUlS1A_E_NS1_11comp_targetILNS1_3genE10ELNS1_11target_archE1200ELNS1_3gpuE4ELNS1_3repE0EEENS1_30default_config_static_selectorELNS0_4arch9wavefront6targetE1EEEvT1_ ; -- Begin function _ZN7rocprim17ROCPRIM_400000_NS6detail17trampoline_kernelINS0_14default_configENS1_25partition_config_selectorILNS1_17partition_subalgoE2EsNS0_10empty_typeEbEEZZNS1_14partition_implILS5_2ELb0ES3_jN6thrust23THRUST_200600_302600_NS6detail15normal_iteratorINSA_7pointerIsNSA_11hip_rocprim3tagENSA_11use_defaultESG_EEEEPS6_NSA_18transform_iteratorINSA_8identityIsEENSC_INSA_10device_ptrIsEEEESG_SG_EENS0_5tupleIJPsSJ_EEENSR_IJSJ_SJ_EEES6_PlJS6_EEE10hipError_tPvRmT3_T4_T5_T6_T7_T9_mT8_P12ihipStream_tbDpT10_ENKUlT_T0_E_clISt17integral_constantIbLb1EES1F_EEDaS1A_S1B_EUlS1A_E_NS1_11comp_targetILNS1_3genE10ELNS1_11target_archE1200ELNS1_3gpuE4ELNS1_3repE0EEENS1_30default_config_static_selectorELNS0_4arch9wavefront6targetE1EEEvT1_
	.globl	_ZN7rocprim17ROCPRIM_400000_NS6detail17trampoline_kernelINS0_14default_configENS1_25partition_config_selectorILNS1_17partition_subalgoE2EsNS0_10empty_typeEbEEZZNS1_14partition_implILS5_2ELb0ES3_jN6thrust23THRUST_200600_302600_NS6detail15normal_iteratorINSA_7pointerIsNSA_11hip_rocprim3tagENSA_11use_defaultESG_EEEEPS6_NSA_18transform_iteratorINSA_8identityIsEENSC_INSA_10device_ptrIsEEEESG_SG_EENS0_5tupleIJPsSJ_EEENSR_IJSJ_SJ_EEES6_PlJS6_EEE10hipError_tPvRmT3_T4_T5_T6_T7_T9_mT8_P12ihipStream_tbDpT10_ENKUlT_T0_E_clISt17integral_constantIbLb1EES1F_EEDaS1A_S1B_EUlS1A_E_NS1_11comp_targetILNS1_3genE10ELNS1_11target_archE1200ELNS1_3gpuE4ELNS1_3repE0EEENS1_30default_config_static_selectorELNS0_4arch9wavefront6targetE1EEEvT1_
	.p2align	8
	.type	_ZN7rocprim17ROCPRIM_400000_NS6detail17trampoline_kernelINS0_14default_configENS1_25partition_config_selectorILNS1_17partition_subalgoE2EsNS0_10empty_typeEbEEZZNS1_14partition_implILS5_2ELb0ES3_jN6thrust23THRUST_200600_302600_NS6detail15normal_iteratorINSA_7pointerIsNSA_11hip_rocprim3tagENSA_11use_defaultESG_EEEEPS6_NSA_18transform_iteratorINSA_8identityIsEENSC_INSA_10device_ptrIsEEEESG_SG_EENS0_5tupleIJPsSJ_EEENSR_IJSJ_SJ_EEES6_PlJS6_EEE10hipError_tPvRmT3_T4_T5_T6_T7_T9_mT8_P12ihipStream_tbDpT10_ENKUlT_T0_E_clISt17integral_constantIbLb1EES1F_EEDaS1A_S1B_EUlS1A_E_NS1_11comp_targetILNS1_3genE10ELNS1_11target_archE1200ELNS1_3gpuE4ELNS1_3repE0EEENS1_30default_config_static_selectorELNS0_4arch9wavefront6targetE1EEEvT1_,@function
_ZN7rocprim17ROCPRIM_400000_NS6detail17trampoline_kernelINS0_14default_configENS1_25partition_config_selectorILNS1_17partition_subalgoE2EsNS0_10empty_typeEbEEZZNS1_14partition_implILS5_2ELb0ES3_jN6thrust23THRUST_200600_302600_NS6detail15normal_iteratorINSA_7pointerIsNSA_11hip_rocprim3tagENSA_11use_defaultESG_EEEEPS6_NSA_18transform_iteratorINSA_8identityIsEENSC_INSA_10device_ptrIsEEEESG_SG_EENS0_5tupleIJPsSJ_EEENSR_IJSJ_SJ_EEES6_PlJS6_EEE10hipError_tPvRmT3_T4_T5_T6_T7_T9_mT8_P12ihipStream_tbDpT10_ENKUlT_T0_E_clISt17integral_constantIbLb1EES1F_EEDaS1A_S1B_EUlS1A_E_NS1_11comp_targetILNS1_3genE10ELNS1_11target_archE1200ELNS1_3gpuE4ELNS1_3repE0EEENS1_30default_config_static_selectorELNS0_4arch9wavefront6targetE1EEEvT1_: ; @_ZN7rocprim17ROCPRIM_400000_NS6detail17trampoline_kernelINS0_14default_configENS1_25partition_config_selectorILNS1_17partition_subalgoE2EsNS0_10empty_typeEbEEZZNS1_14partition_implILS5_2ELb0ES3_jN6thrust23THRUST_200600_302600_NS6detail15normal_iteratorINSA_7pointerIsNSA_11hip_rocprim3tagENSA_11use_defaultESG_EEEEPS6_NSA_18transform_iteratorINSA_8identityIsEENSC_INSA_10device_ptrIsEEEESG_SG_EENS0_5tupleIJPsSJ_EEENSR_IJSJ_SJ_EEES6_PlJS6_EEE10hipError_tPvRmT3_T4_T5_T6_T7_T9_mT8_P12ihipStream_tbDpT10_ENKUlT_T0_E_clISt17integral_constantIbLb1EES1F_EEDaS1A_S1B_EUlS1A_E_NS1_11comp_targetILNS1_3genE10ELNS1_11target_archE1200ELNS1_3gpuE4ELNS1_3repE0EEENS1_30default_config_static_selectorELNS0_4arch9wavefront6targetE1EEEvT1_
; %bb.0:
	.section	.rodata,"a",@progbits
	.p2align	6, 0x0
	.amdhsa_kernel _ZN7rocprim17ROCPRIM_400000_NS6detail17trampoline_kernelINS0_14default_configENS1_25partition_config_selectorILNS1_17partition_subalgoE2EsNS0_10empty_typeEbEEZZNS1_14partition_implILS5_2ELb0ES3_jN6thrust23THRUST_200600_302600_NS6detail15normal_iteratorINSA_7pointerIsNSA_11hip_rocprim3tagENSA_11use_defaultESG_EEEEPS6_NSA_18transform_iteratorINSA_8identityIsEENSC_INSA_10device_ptrIsEEEESG_SG_EENS0_5tupleIJPsSJ_EEENSR_IJSJ_SJ_EEES6_PlJS6_EEE10hipError_tPvRmT3_T4_T5_T6_T7_T9_mT8_P12ihipStream_tbDpT10_ENKUlT_T0_E_clISt17integral_constantIbLb1EES1F_EEDaS1A_S1B_EUlS1A_E_NS1_11comp_targetILNS1_3genE10ELNS1_11target_archE1200ELNS1_3gpuE4ELNS1_3repE0EEENS1_30default_config_static_selectorELNS0_4arch9wavefront6targetE1EEEvT1_
		.amdhsa_group_segment_fixed_size 0
		.amdhsa_private_segment_fixed_size 0
		.amdhsa_kernarg_size 144
		.amdhsa_user_sgpr_count 2
		.amdhsa_user_sgpr_dispatch_ptr 0
		.amdhsa_user_sgpr_queue_ptr 0
		.amdhsa_user_sgpr_kernarg_segment_ptr 1
		.amdhsa_user_sgpr_dispatch_id 0
		.amdhsa_user_sgpr_kernarg_preload_length 0
		.amdhsa_user_sgpr_kernarg_preload_offset 0
		.amdhsa_user_sgpr_private_segment_size 0
		.amdhsa_uses_dynamic_stack 0
		.amdhsa_enable_private_segment 0
		.amdhsa_system_sgpr_workgroup_id_x 1
		.amdhsa_system_sgpr_workgroup_id_y 0
		.amdhsa_system_sgpr_workgroup_id_z 0
		.amdhsa_system_sgpr_workgroup_info 0
		.amdhsa_system_vgpr_workitem_id 0
		.amdhsa_next_free_vgpr 1
		.amdhsa_next_free_sgpr 0
		.amdhsa_accum_offset 4
		.amdhsa_reserve_vcc 0
		.amdhsa_float_round_mode_32 0
		.amdhsa_float_round_mode_16_64 0
		.amdhsa_float_denorm_mode_32 3
		.amdhsa_float_denorm_mode_16_64 3
		.amdhsa_dx10_clamp 1
		.amdhsa_ieee_mode 1
		.amdhsa_fp16_overflow 0
		.amdhsa_tg_split 0
		.amdhsa_exception_fp_ieee_invalid_op 0
		.amdhsa_exception_fp_denorm_src 0
		.amdhsa_exception_fp_ieee_div_zero 0
		.amdhsa_exception_fp_ieee_overflow 0
		.amdhsa_exception_fp_ieee_underflow 0
		.amdhsa_exception_fp_ieee_inexact 0
		.amdhsa_exception_int_div_zero 0
	.end_amdhsa_kernel
	.section	.text._ZN7rocprim17ROCPRIM_400000_NS6detail17trampoline_kernelINS0_14default_configENS1_25partition_config_selectorILNS1_17partition_subalgoE2EsNS0_10empty_typeEbEEZZNS1_14partition_implILS5_2ELb0ES3_jN6thrust23THRUST_200600_302600_NS6detail15normal_iteratorINSA_7pointerIsNSA_11hip_rocprim3tagENSA_11use_defaultESG_EEEEPS6_NSA_18transform_iteratorINSA_8identityIsEENSC_INSA_10device_ptrIsEEEESG_SG_EENS0_5tupleIJPsSJ_EEENSR_IJSJ_SJ_EEES6_PlJS6_EEE10hipError_tPvRmT3_T4_T5_T6_T7_T9_mT8_P12ihipStream_tbDpT10_ENKUlT_T0_E_clISt17integral_constantIbLb1EES1F_EEDaS1A_S1B_EUlS1A_E_NS1_11comp_targetILNS1_3genE10ELNS1_11target_archE1200ELNS1_3gpuE4ELNS1_3repE0EEENS1_30default_config_static_selectorELNS0_4arch9wavefront6targetE1EEEvT1_,"axG",@progbits,_ZN7rocprim17ROCPRIM_400000_NS6detail17trampoline_kernelINS0_14default_configENS1_25partition_config_selectorILNS1_17partition_subalgoE2EsNS0_10empty_typeEbEEZZNS1_14partition_implILS5_2ELb0ES3_jN6thrust23THRUST_200600_302600_NS6detail15normal_iteratorINSA_7pointerIsNSA_11hip_rocprim3tagENSA_11use_defaultESG_EEEEPS6_NSA_18transform_iteratorINSA_8identityIsEENSC_INSA_10device_ptrIsEEEESG_SG_EENS0_5tupleIJPsSJ_EEENSR_IJSJ_SJ_EEES6_PlJS6_EEE10hipError_tPvRmT3_T4_T5_T6_T7_T9_mT8_P12ihipStream_tbDpT10_ENKUlT_T0_E_clISt17integral_constantIbLb1EES1F_EEDaS1A_S1B_EUlS1A_E_NS1_11comp_targetILNS1_3genE10ELNS1_11target_archE1200ELNS1_3gpuE4ELNS1_3repE0EEENS1_30default_config_static_selectorELNS0_4arch9wavefront6targetE1EEEvT1_,comdat
.Lfunc_end558:
	.size	_ZN7rocprim17ROCPRIM_400000_NS6detail17trampoline_kernelINS0_14default_configENS1_25partition_config_selectorILNS1_17partition_subalgoE2EsNS0_10empty_typeEbEEZZNS1_14partition_implILS5_2ELb0ES3_jN6thrust23THRUST_200600_302600_NS6detail15normal_iteratorINSA_7pointerIsNSA_11hip_rocprim3tagENSA_11use_defaultESG_EEEEPS6_NSA_18transform_iteratorINSA_8identityIsEENSC_INSA_10device_ptrIsEEEESG_SG_EENS0_5tupleIJPsSJ_EEENSR_IJSJ_SJ_EEES6_PlJS6_EEE10hipError_tPvRmT3_T4_T5_T6_T7_T9_mT8_P12ihipStream_tbDpT10_ENKUlT_T0_E_clISt17integral_constantIbLb1EES1F_EEDaS1A_S1B_EUlS1A_E_NS1_11comp_targetILNS1_3genE10ELNS1_11target_archE1200ELNS1_3gpuE4ELNS1_3repE0EEENS1_30default_config_static_selectorELNS0_4arch9wavefront6targetE1EEEvT1_, .Lfunc_end558-_ZN7rocprim17ROCPRIM_400000_NS6detail17trampoline_kernelINS0_14default_configENS1_25partition_config_selectorILNS1_17partition_subalgoE2EsNS0_10empty_typeEbEEZZNS1_14partition_implILS5_2ELb0ES3_jN6thrust23THRUST_200600_302600_NS6detail15normal_iteratorINSA_7pointerIsNSA_11hip_rocprim3tagENSA_11use_defaultESG_EEEEPS6_NSA_18transform_iteratorINSA_8identityIsEENSC_INSA_10device_ptrIsEEEESG_SG_EENS0_5tupleIJPsSJ_EEENSR_IJSJ_SJ_EEES6_PlJS6_EEE10hipError_tPvRmT3_T4_T5_T6_T7_T9_mT8_P12ihipStream_tbDpT10_ENKUlT_T0_E_clISt17integral_constantIbLb1EES1F_EEDaS1A_S1B_EUlS1A_E_NS1_11comp_targetILNS1_3genE10ELNS1_11target_archE1200ELNS1_3gpuE4ELNS1_3repE0EEENS1_30default_config_static_selectorELNS0_4arch9wavefront6targetE1EEEvT1_
                                        ; -- End function
	.section	.AMDGPU.csdata,"",@progbits
; Kernel info:
; codeLenInByte = 0
; NumSgprs: 6
; NumVgprs: 0
; NumAgprs: 0
; TotalNumVgprs: 0
; ScratchSize: 0
; MemoryBound: 0
; FloatMode: 240
; IeeeMode: 1
; LDSByteSize: 0 bytes/workgroup (compile time only)
; SGPRBlocks: 0
; VGPRBlocks: 0
; NumSGPRsForWavesPerEU: 6
; NumVGPRsForWavesPerEU: 1
; AccumOffset: 4
; Occupancy: 8
; WaveLimiterHint : 0
; COMPUTE_PGM_RSRC2:SCRATCH_EN: 0
; COMPUTE_PGM_RSRC2:USER_SGPR: 2
; COMPUTE_PGM_RSRC2:TRAP_HANDLER: 0
; COMPUTE_PGM_RSRC2:TGID_X_EN: 1
; COMPUTE_PGM_RSRC2:TGID_Y_EN: 0
; COMPUTE_PGM_RSRC2:TGID_Z_EN: 0
; COMPUTE_PGM_RSRC2:TIDIG_COMP_CNT: 0
; COMPUTE_PGM_RSRC3_GFX90A:ACCUM_OFFSET: 0
; COMPUTE_PGM_RSRC3_GFX90A:TG_SPLIT: 0
	.section	.text._ZN7rocprim17ROCPRIM_400000_NS6detail17trampoline_kernelINS0_14default_configENS1_25partition_config_selectorILNS1_17partition_subalgoE2EsNS0_10empty_typeEbEEZZNS1_14partition_implILS5_2ELb0ES3_jN6thrust23THRUST_200600_302600_NS6detail15normal_iteratorINSA_7pointerIsNSA_11hip_rocprim3tagENSA_11use_defaultESG_EEEEPS6_NSA_18transform_iteratorINSA_8identityIsEENSC_INSA_10device_ptrIsEEEESG_SG_EENS0_5tupleIJPsSJ_EEENSR_IJSJ_SJ_EEES6_PlJS6_EEE10hipError_tPvRmT3_T4_T5_T6_T7_T9_mT8_P12ihipStream_tbDpT10_ENKUlT_T0_E_clISt17integral_constantIbLb1EES1F_EEDaS1A_S1B_EUlS1A_E_NS1_11comp_targetILNS1_3genE9ELNS1_11target_archE1100ELNS1_3gpuE3ELNS1_3repE0EEENS1_30default_config_static_selectorELNS0_4arch9wavefront6targetE1EEEvT1_,"axG",@progbits,_ZN7rocprim17ROCPRIM_400000_NS6detail17trampoline_kernelINS0_14default_configENS1_25partition_config_selectorILNS1_17partition_subalgoE2EsNS0_10empty_typeEbEEZZNS1_14partition_implILS5_2ELb0ES3_jN6thrust23THRUST_200600_302600_NS6detail15normal_iteratorINSA_7pointerIsNSA_11hip_rocprim3tagENSA_11use_defaultESG_EEEEPS6_NSA_18transform_iteratorINSA_8identityIsEENSC_INSA_10device_ptrIsEEEESG_SG_EENS0_5tupleIJPsSJ_EEENSR_IJSJ_SJ_EEES6_PlJS6_EEE10hipError_tPvRmT3_T4_T5_T6_T7_T9_mT8_P12ihipStream_tbDpT10_ENKUlT_T0_E_clISt17integral_constantIbLb1EES1F_EEDaS1A_S1B_EUlS1A_E_NS1_11comp_targetILNS1_3genE9ELNS1_11target_archE1100ELNS1_3gpuE3ELNS1_3repE0EEENS1_30default_config_static_selectorELNS0_4arch9wavefront6targetE1EEEvT1_,comdat
	.protected	_ZN7rocprim17ROCPRIM_400000_NS6detail17trampoline_kernelINS0_14default_configENS1_25partition_config_selectorILNS1_17partition_subalgoE2EsNS0_10empty_typeEbEEZZNS1_14partition_implILS5_2ELb0ES3_jN6thrust23THRUST_200600_302600_NS6detail15normal_iteratorINSA_7pointerIsNSA_11hip_rocprim3tagENSA_11use_defaultESG_EEEEPS6_NSA_18transform_iteratorINSA_8identityIsEENSC_INSA_10device_ptrIsEEEESG_SG_EENS0_5tupleIJPsSJ_EEENSR_IJSJ_SJ_EEES6_PlJS6_EEE10hipError_tPvRmT3_T4_T5_T6_T7_T9_mT8_P12ihipStream_tbDpT10_ENKUlT_T0_E_clISt17integral_constantIbLb1EES1F_EEDaS1A_S1B_EUlS1A_E_NS1_11comp_targetILNS1_3genE9ELNS1_11target_archE1100ELNS1_3gpuE3ELNS1_3repE0EEENS1_30default_config_static_selectorELNS0_4arch9wavefront6targetE1EEEvT1_ ; -- Begin function _ZN7rocprim17ROCPRIM_400000_NS6detail17trampoline_kernelINS0_14default_configENS1_25partition_config_selectorILNS1_17partition_subalgoE2EsNS0_10empty_typeEbEEZZNS1_14partition_implILS5_2ELb0ES3_jN6thrust23THRUST_200600_302600_NS6detail15normal_iteratorINSA_7pointerIsNSA_11hip_rocprim3tagENSA_11use_defaultESG_EEEEPS6_NSA_18transform_iteratorINSA_8identityIsEENSC_INSA_10device_ptrIsEEEESG_SG_EENS0_5tupleIJPsSJ_EEENSR_IJSJ_SJ_EEES6_PlJS6_EEE10hipError_tPvRmT3_T4_T5_T6_T7_T9_mT8_P12ihipStream_tbDpT10_ENKUlT_T0_E_clISt17integral_constantIbLb1EES1F_EEDaS1A_S1B_EUlS1A_E_NS1_11comp_targetILNS1_3genE9ELNS1_11target_archE1100ELNS1_3gpuE3ELNS1_3repE0EEENS1_30default_config_static_selectorELNS0_4arch9wavefront6targetE1EEEvT1_
	.globl	_ZN7rocprim17ROCPRIM_400000_NS6detail17trampoline_kernelINS0_14default_configENS1_25partition_config_selectorILNS1_17partition_subalgoE2EsNS0_10empty_typeEbEEZZNS1_14partition_implILS5_2ELb0ES3_jN6thrust23THRUST_200600_302600_NS6detail15normal_iteratorINSA_7pointerIsNSA_11hip_rocprim3tagENSA_11use_defaultESG_EEEEPS6_NSA_18transform_iteratorINSA_8identityIsEENSC_INSA_10device_ptrIsEEEESG_SG_EENS0_5tupleIJPsSJ_EEENSR_IJSJ_SJ_EEES6_PlJS6_EEE10hipError_tPvRmT3_T4_T5_T6_T7_T9_mT8_P12ihipStream_tbDpT10_ENKUlT_T0_E_clISt17integral_constantIbLb1EES1F_EEDaS1A_S1B_EUlS1A_E_NS1_11comp_targetILNS1_3genE9ELNS1_11target_archE1100ELNS1_3gpuE3ELNS1_3repE0EEENS1_30default_config_static_selectorELNS0_4arch9wavefront6targetE1EEEvT1_
	.p2align	8
	.type	_ZN7rocprim17ROCPRIM_400000_NS6detail17trampoline_kernelINS0_14default_configENS1_25partition_config_selectorILNS1_17partition_subalgoE2EsNS0_10empty_typeEbEEZZNS1_14partition_implILS5_2ELb0ES3_jN6thrust23THRUST_200600_302600_NS6detail15normal_iteratorINSA_7pointerIsNSA_11hip_rocprim3tagENSA_11use_defaultESG_EEEEPS6_NSA_18transform_iteratorINSA_8identityIsEENSC_INSA_10device_ptrIsEEEESG_SG_EENS0_5tupleIJPsSJ_EEENSR_IJSJ_SJ_EEES6_PlJS6_EEE10hipError_tPvRmT3_T4_T5_T6_T7_T9_mT8_P12ihipStream_tbDpT10_ENKUlT_T0_E_clISt17integral_constantIbLb1EES1F_EEDaS1A_S1B_EUlS1A_E_NS1_11comp_targetILNS1_3genE9ELNS1_11target_archE1100ELNS1_3gpuE3ELNS1_3repE0EEENS1_30default_config_static_selectorELNS0_4arch9wavefront6targetE1EEEvT1_,@function
_ZN7rocprim17ROCPRIM_400000_NS6detail17trampoline_kernelINS0_14default_configENS1_25partition_config_selectorILNS1_17partition_subalgoE2EsNS0_10empty_typeEbEEZZNS1_14partition_implILS5_2ELb0ES3_jN6thrust23THRUST_200600_302600_NS6detail15normal_iteratorINSA_7pointerIsNSA_11hip_rocprim3tagENSA_11use_defaultESG_EEEEPS6_NSA_18transform_iteratorINSA_8identityIsEENSC_INSA_10device_ptrIsEEEESG_SG_EENS0_5tupleIJPsSJ_EEENSR_IJSJ_SJ_EEES6_PlJS6_EEE10hipError_tPvRmT3_T4_T5_T6_T7_T9_mT8_P12ihipStream_tbDpT10_ENKUlT_T0_E_clISt17integral_constantIbLb1EES1F_EEDaS1A_S1B_EUlS1A_E_NS1_11comp_targetILNS1_3genE9ELNS1_11target_archE1100ELNS1_3gpuE3ELNS1_3repE0EEENS1_30default_config_static_selectorELNS0_4arch9wavefront6targetE1EEEvT1_: ; @_ZN7rocprim17ROCPRIM_400000_NS6detail17trampoline_kernelINS0_14default_configENS1_25partition_config_selectorILNS1_17partition_subalgoE2EsNS0_10empty_typeEbEEZZNS1_14partition_implILS5_2ELb0ES3_jN6thrust23THRUST_200600_302600_NS6detail15normal_iteratorINSA_7pointerIsNSA_11hip_rocprim3tagENSA_11use_defaultESG_EEEEPS6_NSA_18transform_iteratorINSA_8identityIsEENSC_INSA_10device_ptrIsEEEESG_SG_EENS0_5tupleIJPsSJ_EEENSR_IJSJ_SJ_EEES6_PlJS6_EEE10hipError_tPvRmT3_T4_T5_T6_T7_T9_mT8_P12ihipStream_tbDpT10_ENKUlT_T0_E_clISt17integral_constantIbLb1EES1F_EEDaS1A_S1B_EUlS1A_E_NS1_11comp_targetILNS1_3genE9ELNS1_11target_archE1100ELNS1_3gpuE3ELNS1_3repE0EEENS1_30default_config_static_selectorELNS0_4arch9wavefront6targetE1EEEvT1_
; %bb.0:
	.section	.rodata,"a",@progbits
	.p2align	6, 0x0
	.amdhsa_kernel _ZN7rocprim17ROCPRIM_400000_NS6detail17trampoline_kernelINS0_14default_configENS1_25partition_config_selectorILNS1_17partition_subalgoE2EsNS0_10empty_typeEbEEZZNS1_14partition_implILS5_2ELb0ES3_jN6thrust23THRUST_200600_302600_NS6detail15normal_iteratorINSA_7pointerIsNSA_11hip_rocprim3tagENSA_11use_defaultESG_EEEEPS6_NSA_18transform_iteratorINSA_8identityIsEENSC_INSA_10device_ptrIsEEEESG_SG_EENS0_5tupleIJPsSJ_EEENSR_IJSJ_SJ_EEES6_PlJS6_EEE10hipError_tPvRmT3_T4_T5_T6_T7_T9_mT8_P12ihipStream_tbDpT10_ENKUlT_T0_E_clISt17integral_constantIbLb1EES1F_EEDaS1A_S1B_EUlS1A_E_NS1_11comp_targetILNS1_3genE9ELNS1_11target_archE1100ELNS1_3gpuE3ELNS1_3repE0EEENS1_30default_config_static_selectorELNS0_4arch9wavefront6targetE1EEEvT1_
		.amdhsa_group_segment_fixed_size 0
		.amdhsa_private_segment_fixed_size 0
		.amdhsa_kernarg_size 144
		.amdhsa_user_sgpr_count 2
		.amdhsa_user_sgpr_dispatch_ptr 0
		.amdhsa_user_sgpr_queue_ptr 0
		.amdhsa_user_sgpr_kernarg_segment_ptr 1
		.amdhsa_user_sgpr_dispatch_id 0
		.amdhsa_user_sgpr_kernarg_preload_length 0
		.amdhsa_user_sgpr_kernarg_preload_offset 0
		.amdhsa_user_sgpr_private_segment_size 0
		.amdhsa_uses_dynamic_stack 0
		.amdhsa_enable_private_segment 0
		.amdhsa_system_sgpr_workgroup_id_x 1
		.amdhsa_system_sgpr_workgroup_id_y 0
		.amdhsa_system_sgpr_workgroup_id_z 0
		.amdhsa_system_sgpr_workgroup_info 0
		.amdhsa_system_vgpr_workitem_id 0
		.amdhsa_next_free_vgpr 1
		.amdhsa_next_free_sgpr 0
		.amdhsa_accum_offset 4
		.amdhsa_reserve_vcc 0
		.amdhsa_float_round_mode_32 0
		.amdhsa_float_round_mode_16_64 0
		.amdhsa_float_denorm_mode_32 3
		.amdhsa_float_denorm_mode_16_64 3
		.amdhsa_dx10_clamp 1
		.amdhsa_ieee_mode 1
		.amdhsa_fp16_overflow 0
		.amdhsa_tg_split 0
		.amdhsa_exception_fp_ieee_invalid_op 0
		.amdhsa_exception_fp_denorm_src 0
		.amdhsa_exception_fp_ieee_div_zero 0
		.amdhsa_exception_fp_ieee_overflow 0
		.amdhsa_exception_fp_ieee_underflow 0
		.amdhsa_exception_fp_ieee_inexact 0
		.amdhsa_exception_int_div_zero 0
	.end_amdhsa_kernel
	.section	.text._ZN7rocprim17ROCPRIM_400000_NS6detail17trampoline_kernelINS0_14default_configENS1_25partition_config_selectorILNS1_17partition_subalgoE2EsNS0_10empty_typeEbEEZZNS1_14partition_implILS5_2ELb0ES3_jN6thrust23THRUST_200600_302600_NS6detail15normal_iteratorINSA_7pointerIsNSA_11hip_rocprim3tagENSA_11use_defaultESG_EEEEPS6_NSA_18transform_iteratorINSA_8identityIsEENSC_INSA_10device_ptrIsEEEESG_SG_EENS0_5tupleIJPsSJ_EEENSR_IJSJ_SJ_EEES6_PlJS6_EEE10hipError_tPvRmT3_T4_T5_T6_T7_T9_mT8_P12ihipStream_tbDpT10_ENKUlT_T0_E_clISt17integral_constantIbLb1EES1F_EEDaS1A_S1B_EUlS1A_E_NS1_11comp_targetILNS1_3genE9ELNS1_11target_archE1100ELNS1_3gpuE3ELNS1_3repE0EEENS1_30default_config_static_selectorELNS0_4arch9wavefront6targetE1EEEvT1_,"axG",@progbits,_ZN7rocprim17ROCPRIM_400000_NS6detail17trampoline_kernelINS0_14default_configENS1_25partition_config_selectorILNS1_17partition_subalgoE2EsNS0_10empty_typeEbEEZZNS1_14partition_implILS5_2ELb0ES3_jN6thrust23THRUST_200600_302600_NS6detail15normal_iteratorINSA_7pointerIsNSA_11hip_rocprim3tagENSA_11use_defaultESG_EEEEPS6_NSA_18transform_iteratorINSA_8identityIsEENSC_INSA_10device_ptrIsEEEESG_SG_EENS0_5tupleIJPsSJ_EEENSR_IJSJ_SJ_EEES6_PlJS6_EEE10hipError_tPvRmT3_T4_T5_T6_T7_T9_mT8_P12ihipStream_tbDpT10_ENKUlT_T0_E_clISt17integral_constantIbLb1EES1F_EEDaS1A_S1B_EUlS1A_E_NS1_11comp_targetILNS1_3genE9ELNS1_11target_archE1100ELNS1_3gpuE3ELNS1_3repE0EEENS1_30default_config_static_selectorELNS0_4arch9wavefront6targetE1EEEvT1_,comdat
.Lfunc_end559:
	.size	_ZN7rocprim17ROCPRIM_400000_NS6detail17trampoline_kernelINS0_14default_configENS1_25partition_config_selectorILNS1_17partition_subalgoE2EsNS0_10empty_typeEbEEZZNS1_14partition_implILS5_2ELb0ES3_jN6thrust23THRUST_200600_302600_NS6detail15normal_iteratorINSA_7pointerIsNSA_11hip_rocprim3tagENSA_11use_defaultESG_EEEEPS6_NSA_18transform_iteratorINSA_8identityIsEENSC_INSA_10device_ptrIsEEEESG_SG_EENS0_5tupleIJPsSJ_EEENSR_IJSJ_SJ_EEES6_PlJS6_EEE10hipError_tPvRmT3_T4_T5_T6_T7_T9_mT8_P12ihipStream_tbDpT10_ENKUlT_T0_E_clISt17integral_constantIbLb1EES1F_EEDaS1A_S1B_EUlS1A_E_NS1_11comp_targetILNS1_3genE9ELNS1_11target_archE1100ELNS1_3gpuE3ELNS1_3repE0EEENS1_30default_config_static_selectorELNS0_4arch9wavefront6targetE1EEEvT1_, .Lfunc_end559-_ZN7rocprim17ROCPRIM_400000_NS6detail17trampoline_kernelINS0_14default_configENS1_25partition_config_selectorILNS1_17partition_subalgoE2EsNS0_10empty_typeEbEEZZNS1_14partition_implILS5_2ELb0ES3_jN6thrust23THRUST_200600_302600_NS6detail15normal_iteratorINSA_7pointerIsNSA_11hip_rocprim3tagENSA_11use_defaultESG_EEEEPS6_NSA_18transform_iteratorINSA_8identityIsEENSC_INSA_10device_ptrIsEEEESG_SG_EENS0_5tupleIJPsSJ_EEENSR_IJSJ_SJ_EEES6_PlJS6_EEE10hipError_tPvRmT3_T4_T5_T6_T7_T9_mT8_P12ihipStream_tbDpT10_ENKUlT_T0_E_clISt17integral_constantIbLb1EES1F_EEDaS1A_S1B_EUlS1A_E_NS1_11comp_targetILNS1_3genE9ELNS1_11target_archE1100ELNS1_3gpuE3ELNS1_3repE0EEENS1_30default_config_static_selectorELNS0_4arch9wavefront6targetE1EEEvT1_
                                        ; -- End function
	.section	.AMDGPU.csdata,"",@progbits
; Kernel info:
; codeLenInByte = 0
; NumSgprs: 6
; NumVgprs: 0
; NumAgprs: 0
; TotalNumVgprs: 0
; ScratchSize: 0
; MemoryBound: 0
; FloatMode: 240
; IeeeMode: 1
; LDSByteSize: 0 bytes/workgroup (compile time only)
; SGPRBlocks: 0
; VGPRBlocks: 0
; NumSGPRsForWavesPerEU: 6
; NumVGPRsForWavesPerEU: 1
; AccumOffset: 4
; Occupancy: 8
; WaveLimiterHint : 0
; COMPUTE_PGM_RSRC2:SCRATCH_EN: 0
; COMPUTE_PGM_RSRC2:USER_SGPR: 2
; COMPUTE_PGM_RSRC2:TRAP_HANDLER: 0
; COMPUTE_PGM_RSRC2:TGID_X_EN: 1
; COMPUTE_PGM_RSRC2:TGID_Y_EN: 0
; COMPUTE_PGM_RSRC2:TGID_Z_EN: 0
; COMPUTE_PGM_RSRC2:TIDIG_COMP_CNT: 0
; COMPUTE_PGM_RSRC3_GFX90A:ACCUM_OFFSET: 0
; COMPUTE_PGM_RSRC3_GFX90A:TG_SPLIT: 0
	.section	.text._ZN7rocprim17ROCPRIM_400000_NS6detail17trampoline_kernelINS0_14default_configENS1_25partition_config_selectorILNS1_17partition_subalgoE2EsNS0_10empty_typeEbEEZZNS1_14partition_implILS5_2ELb0ES3_jN6thrust23THRUST_200600_302600_NS6detail15normal_iteratorINSA_7pointerIsNSA_11hip_rocprim3tagENSA_11use_defaultESG_EEEEPS6_NSA_18transform_iteratorINSA_8identityIsEENSC_INSA_10device_ptrIsEEEESG_SG_EENS0_5tupleIJPsSJ_EEENSR_IJSJ_SJ_EEES6_PlJS6_EEE10hipError_tPvRmT3_T4_T5_T6_T7_T9_mT8_P12ihipStream_tbDpT10_ENKUlT_T0_E_clISt17integral_constantIbLb1EES1F_EEDaS1A_S1B_EUlS1A_E_NS1_11comp_targetILNS1_3genE8ELNS1_11target_archE1030ELNS1_3gpuE2ELNS1_3repE0EEENS1_30default_config_static_selectorELNS0_4arch9wavefront6targetE1EEEvT1_,"axG",@progbits,_ZN7rocprim17ROCPRIM_400000_NS6detail17trampoline_kernelINS0_14default_configENS1_25partition_config_selectorILNS1_17partition_subalgoE2EsNS0_10empty_typeEbEEZZNS1_14partition_implILS5_2ELb0ES3_jN6thrust23THRUST_200600_302600_NS6detail15normal_iteratorINSA_7pointerIsNSA_11hip_rocprim3tagENSA_11use_defaultESG_EEEEPS6_NSA_18transform_iteratorINSA_8identityIsEENSC_INSA_10device_ptrIsEEEESG_SG_EENS0_5tupleIJPsSJ_EEENSR_IJSJ_SJ_EEES6_PlJS6_EEE10hipError_tPvRmT3_T4_T5_T6_T7_T9_mT8_P12ihipStream_tbDpT10_ENKUlT_T0_E_clISt17integral_constantIbLb1EES1F_EEDaS1A_S1B_EUlS1A_E_NS1_11comp_targetILNS1_3genE8ELNS1_11target_archE1030ELNS1_3gpuE2ELNS1_3repE0EEENS1_30default_config_static_selectorELNS0_4arch9wavefront6targetE1EEEvT1_,comdat
	.protected	_ZN7rocprim17ROCPRIM_400000_NS6detail17trampoline_kernelINS0_14default_configENS1_25partition_config_selectorILNS1_17partition_subalgoE2EsNS0_10empty_typeEbEEZZNS1_14partition_implILS5_2ELb0ES3_jN6thrust23THRUST_200600_302600_NS6detail15normal_iteratorINSA_7pointerIsNSA_11hip_rocprim3tagENSA_11use_defaultESG_EEEEPS6_NSA_18transform_iteratorINSA_8identityIsEENSC_INSA_10device_ptrIsEEEESG_SG_EENS0_5tupleIJPsSJ_EEENSR_IJSJ_SJ_EEES6_PlJS6_EEE10hipError_tPvRmT3_T4_T5_T6_T7_T9_mT8_P12ihipStream_tbDpT10_ENKUlT_T0_E_clISt17integral_constantIbLb1EES1F_EEDaS1A_S1B_EUlS1A_E_NS1_11comp_targetILNS1_3genE8ELNS1_11target_archE1030ELNS1_3gpuE2ELNS1_3repE0EEENS1_30default_config_static_selectorELNS0_4arch9wavefront6targetE1EEEvT1_ ; -- Begin function _ZN7rocprim17ROCPRIM_400000_NS6detail17trampoline_kernelINS0_14default_configENS1_25partition_config_selectorILNS1_17partition_subalgoE2EsNS0_10empty_typeEbEEZZNS1_14partition_implILS5_2ELb0ES3_jN6thrust23THRUST_200600_302600_NS6detail15normal_iteratorINSA_7pointerIsNSA_11hip_rocprim3tagENSA_11use_defaultESG_EEEEPS6_NSA_18transform_iteratorINSA_8identityIsEENSC_INSA_10device_ptrIsEEEESG_SG_EENS0_5tupleIJPsSJ_EEENSR_IJSJ_SJ_EEES6_PlJS6_EEE10hipError_tPvRmT3_T4_T5_T6_T7_T9_mT8_P12ihipStream_tbDpT10_ENKUlT_T0_E_clISt17integral_constantIbLb1EES1F_EEDaS1A_S1B_EUlS1A_E_NS1_11comp_targetILNS1_3genE8ELNS1_11target_archE1030ELNS1_3gpuE2ELNS1_3repE0EEENS1_30default_config_static_selectorELNS0_4arch9wavefront6targetE1EEEvT1_
	.globl	_ZN7rocprim17ROCPRIM_400000_NS6detail17trampoline_kernelINS0_14default_configENS1_25partition_config_selectorILNS1_17partition_subalgoE2EsNS0_10empty_typeEbEEZZNS1_14partition_implILS5_2ELb0ES3_jN6thrust23THRUST_200600_302600_NS6detail15normal_iteratorINSA_7pointerIsNSA_11hip_rocprim3tagENSA_11use_defaultESG_EEEEPS6_NSA_18transform_iteratorINSA_8identityIsEENSC_INSA_10device_ptrIsEEEESG_SG_EENS0_5tupleIJPsSJ_EEENSR_IJSJ_SJ_EEES6_PlJS6_EEE10hipError_tPvRmT3_T4_T5_T6_T7_T9_mT8_P12ihipStream_tbDpT10_ENKUlT_T0_E_clISt17integral_constantIbLb1EES1F_EEDaS1A_S1B_EUlS1A_E_NS1_11comp_targetILNS1_3genE8ELNS1_11target_archE1030ELNS1_3gpuE2ELNS1_3repE0EEENS1_30default_config_static_selectorELNS0_4arch9wavefront6targetE1EEEvT1_
	.p2align	8
	.type	_ZN7rocprim17ROCPRIM_400000_NS6detail17trampoline_kernelINS0_14default_configENS1_25partition_config_selectorILNS1_17partition_subalgoE2EsNS0_10empty_typeEbEEZZNS1_14partition_implILS5_2ELb0ES3_jN6thrust23THRUST_200600_302600_NS6detail15normal_iteratorINSA_7pointerIsNSA_11hip_rocprim3tagENSA_11use_defaultESG_EEEEPS6_NSA_18transform_iteratorINSA_8identityIsEENSC_INSA_10device_ptrIsEEEESG_SG_EENS0_5tupleIJPsSJ_EEENSR_IJSJ_SJ_EEES6_PlJS6_EEE10hipError_tPvRmT3_T4_T5_T6_T7_T9_mT8_P12ihipStream_tbDpT10_ENKUlT_T0_E_clISt17integral_constantIbLb1EES1F_EEDaS1A_S1B_EUlS1A_E_NS1_11comp_targetILNS1_3genE8ELNS1_11target_archE1030ELNS1_3gpuE2ELNS1_3repE0EEENS1_30default_config_static_selectorELNS0_4arch9wavefront6targetE1EEEvT1_,@function
_ZN7rocprim17ROCPRIM_400000_NS6detail17trampoline_kernelINS0_14default_configENS1_25partition_config_selectorILNS1_17partition_subalgoE2EsNS0_10empty_typeEbEEZZNS1_14partition_implILS5_2ELb0ES3_jN6thrust23THRUST_200600_302600_NS6detail15normal_iteratorINSA_7pointerIsNSA_11hip_rocprim3tagENSA_11use_defaultESG_EEEEPS6_NSA_18transform_iteratorINSA_8identityIsEENSC_INSA_10device_ptrIsEEEESG_SG_EENS0_5tupleIJPsSJ_EEENSR_IJSJ_SJ_EEES6_PlJS6_EEE10hipError_tPvRmT3_T4_T5_T6_T7_T9_mT8_P12ihipStream_tbDpT10_ENKUlT_T0_E_clISt17integral_constantIbLb1EES1F_EEDaS1A_S1B_EUlS1A_E_NS1_11comp_targetILNS1_3genE8ELNS1_11target_archE1030ELNS1_3gpuE2ELNS1_3repE0EEENS1_30default_config_static_selectorELNS0_4arch9wavefront6targetE1EEEvT1_: ; @_ZN7rocprim17ROCPRIM_400000_NS6detail17trampoline_kernelINS0_14default_configENS1_25partition_config_selectorILNS1_17partition_subalgoE2EsNS0_10empty_typeEbEEZZNS1_14partition_implILS5_2ELb0ES3_jN6thrust23THRUST_200600_302600_NS6detail15normal_iteratorINSA_7pointerIsNSA_11hip_rocprim3tagENSA_11use_defaultESG_EEEEPS6_NSA_18transform_iteratorINSA_8identityIsEENSC_INSA_10device_ptrIsEEEESG_SG_EENS0_5tupleIJPsSJ_EEENSR_IJSJ_SJ_EEES6_PlJS6_EEE10hipError_tPvRmT3_T4_T5_T6_T7_T9_mT8_P12ihipStream_tbDpT10_ENKUlT_T0_E_clISt17integral_constantIbLb1EES1F_EEDaS1A_S1B_EUlS1A_E_NS1_11comp_targetILNS1_3genE8ELNS1_11target_archE1030ELNS1_3gpuE2ELNS1_3repE0EEENS1_30default_config_static_selectorELNS0_4arch9wavefront6targetE1EEEvT1_
; %bb.0:
	.section	.rodata,"a",@progbits
	.p2align	6, 0x0
	.amdhsa_kernel _ZN7rocprim17ROCPRIM_400000_NS6detail17trampoline_kernelINS0_14default_configENS1_25partition_config_selectorILNS1_17partition_subalgoE2EsNS0_10empty_typeEbEEZZNS1_14partition_implILS5_2ELb0ES3_jN6thrust23THRUST_200600_302600_NS6detail15normal_iteratorINSA_7pointerIsNSA_11hip_rocprim3tagENSA_11use_defaultESG_EEEEPS6_NSA_18transform_iteratorINSA_8identityIsEENSC_INSA_10device_ptrIsEEEESG_SG_EENS0_5tupleIJPsSJ_EEENSR_IJSJ_SJ_EEES6_PlJS6_EEE10hipError_tPvRmT3_T4_T5_T6_T7_T9_mT8_P12ihipStream_tbDpT10_ENKUlT_T0_E_clISt17integral_constantIbLb1EES1F_EEDaS1A_S1B_EUlS1A_E_NS1_11comp_targetILNS1_3genE8ELNS1_11target_archE1030ELNS1_3gpuE2ELNS1_3repE0EEENS1_30default_config_static_selectorELNS0_4arch9wavefront6targetE1EEEvT1_
		.amdhsa_group_segment_fixed_size 0
		.amdhsa_private_segment_fixed_size 0
		.amdhsa_kernarg_size 144
		.amdhsa_user_sgpr_count 2
		.amdhsa_user_sgpr_dispatch_ptr 0
		.amdhsa_user_sgpr_queue_ptr 0
		.amdhsa_user_sgpr_kernarg_segment_ptr 1
		.amdhsa_user_sgpr_dispatch_id 0
		.amdhsa_user_sgpr_kernarg_preload_length 0
		.amdhsa_user_sgpr_kernarg_preload_offset 0
		.amdhsa_user_sgpr_private_segment_size 0
		.amdhsa_uses_dynamic_stack 0
		.amdhsa_enable_private_segment 0
		.amdhsa_system_sgpr_workgroup_id_x 1
		.amdhsa_system_sgpr_workgroup_id_y 0
		.amdhsa_system_sgpr_workgroup_id_z 0
		.amdhsa_system_sgpr_workgroup_info 0
		.amdhsa_system_vgpr_workitem_id 0
		.amdhsa_next_free_vgpr 1
		.amdhsa_next_free_sgpr 0
		.amdhsa_accum_offset 4
		.amdhsa_reserve_vcc 0
		.amdhsa_float_round_mode_32 0
		.amdhsa_float_round_mode_16_64 0
		.amdhsa_float_denorm_mode_32 3
		.amdhsa_float_denorm_mode_16_64 3
		.amdhsa_dx10_clamp 1
		.amdhsa_ieee_mode 1
		.amdhsa_fp16_overflow 0
		.amdhsa_tg_split 0
		.amdhsa_exception_fp_ieee_invalid_op 0
		.amdhsa_exception_fp_denorm_src 0
		.amdhsa_exception_fp_ieee_div_zero 0
		.amdhsa_exception_fp_ieee_overflow 0
		.amdhsa_exception_fp_ieee_underflow 0
		.amdhsa_exception_fp_ieee_inexact 0
		.amdhsa_exception_int_div_zero 0
	.end_amdhsa_kernel
	.section	.text._ZN7rocprim17ROCPRIM_400000_NS6detail17trampoline_kernelINS0_14default_configENS1_25partition_config_selectorILNS1_17partition_subalgoE2EsNS0_10empty_typeEbEEZZNS1_14partition_implILS5_2ELb0ES3_jN6thrust23THRUST_200600_302600_NS6detail15normal_iteratorINSA_7pointerIsNSA_11hip_rocprim3tagENSA_11use_defaultESG_EEEEPS6_NSA_18transform_iteratorINSA_8identityIsEENSC_INSA_10device_ptrIsEEEESG_SG_EENS0_5tupleIJPsSJ_EEENSR_IJSJ_SJ_EEES6_PlJS6_EEE10hipError_tPvRmT3_T4_T5_T6_T7_T9_mT8_P12ihipStream_tbDpT10_ENKUlT_T0_E_clISt17integral_constantIbLb1EES1F_EEDaS1A_S1B_EUlS1A_E_NS1_11comp_targetILNS1_3genE8ELNS1_11target_archE1030ELNS1_3gpuE2ELNS1_3repE0EEENS1_30default_config_static_selectorELNS0_4arch9wavefront6targetE1EEEvT1_,"axG",@progbits,_ZN7rocprim17ROCPRIM_400000_NS6detail17trampoline_kernelINS0_14default_configENS1_25partition_config_selectorILNS1_17partition_subalgoE2EsNS0_10empty_typeEbEEZZNS1_14partition_implILS5_2ELb0ES3_jN6thrust23THRUST_200600_302600_NS6detail15normal_iteratorINSA_7pointerIsNSA_11hip_rocprim3tagENSA_11use_defaultESG_EEEEPS6_NSA_18transform_iteratorINSA_8identityIsEENSC_INSA_10device_ptrIsEEEESG_SG_EENS0_5tupleIJPsSJ_EEENSR_IJSJ_SJ_EEES6_PlJS6_EEE10hipError_tPvRmT3_T4_T5_T6_T7_T9_mT8_P12ihipStream_tbDpT10_ENKUlT_T0_E_clISt17integral_constantIbLb1EES1F_EEDaS1A_S1B_EUlS1A_E_NS1_11comp_targetILNS1_3genE8ELNS1_11target_archE1030ELNS1_3gpuE2ELNS1_3repE0EEENS1_30default_config_static_selectorELNS0_4arch9wavefront6targetE1EEEvT1_,comdat
.Lfunc_end560:
	.size	_ZN7rocprim17ROCPRIM_400000_NS6detail17trampoline_kernelINS0_14default_configENS1_25partition_config_selectorILNS1_17partition_subalgoE2EsNS0_10empty_typeEbEEZZNS1_14partition_implILS5_2ELb0ES3_jN6thrust23THRUST_200600_302600_NS6detail15normal_iteratorINSA_7pointerIsNSA_11hip_rocprim3tagENSA_11use_defaultESG_EEEEPS6_NSA_18transform_iteratorINSA_8identityIsEENSC_INSA_10device_ptrIsEEEESG_SG_EENS0_5tupleIJPsSJ_EEENSR_IJSJ_SJ_EEES6_PlJS6_EEE10hipError_tPvRmT3_T4_T5_T6_T7_T9_mT8_P12ihipStream_tbDpT10_ENKUlT_T0_E_clISt17integral_constantIbLb1EES1F_EEDaS1A_S1B_EUlS1A_E_NS1_11comp_targetILNS1_3genE8ELNS1_11target_archE1030ELNS1_3gpuE2ELNS1_3repE0EEENS1_30default_config_static_selectorELNS0_4arch9wavefront6targetE1EEEvT1_, .Lfunc_end560-_ZN7rocprim17ROCPRIM_400000_NS6detail17trampoline_kernelINS0_14default_configENS1_25partition_config_selectorILNS1_17partition_subalgoE2EsNS0_10empty_typeEbEEZZNS1_14partition_implILS5_2ELb0ES3_jN6thrust23THRUST_200600_302600_NS6detail15normal_iteratorINSA_7pointerIsNSA_11hip_rocprim3tagENSA_11use_defaultESG_EEEEPS6_NSA_18transform_iteratorINSA_8identityIsEENSC_INSA_10device_ptrIsEEEESG_SG_EENS0_5tupleIJPsSJ_EEENSR_IJSJ_SJ_EEES6_PlJS6_EEE10hipError_tPvRmT3_T4_T5_T6_T7_T9_mT8_P12ihipStream_tbDpT10_ENKUlT_T0_E_clISt17integral_constantIbLb1EES1F_EEDaS1A_S1B_EUlS1A_E_NS1_11comp_targetILNS1_3genE8ELNS1_11target_archE1030ELNS1_3gpuE2ELNS1_3repE0EEENS1_30default_config_static_selectorELNS0_4arch9wavefront6targetE1EEEvT1_
                                        ; -- End function
	.section	.AMDGPU.csdata,"",@progbits
; Kernel info:
; codeLenInByte = 0
; NumSgprs: 6
; NumVgprs: 0
; NumAgprs: 0
; TotalNumVgprs: 0
; ScratchSize: 0
; MemoryBound: 0
; FloatMode: 240
; IeeeMode: 1
; LDSByteSize: 0 bytes/workgroup (compile time only)
; SGPRBlocks: 0
; VGPRBlocks: 0
; NumSGPRsForWavesPerEU: 6
; NumVGPRsForWavesPerEU: 1
; AccumOffset: 4
; Occupancy: 8
; WaveLimiterHint : 0
; COMPUTE_PGM_RSRC2:SCRATCH_EN: 0
; COMPUTE_PGM_RSRC2:USER_SGPR: 2
; COMPUTE_PGM_RSRC2:TRAP_HANDLER: 0
; COMPUTE_PGM_RSRC2:TGID_X_EN: 1
; COMPUTE_PGM_RSRC2:TGID_Y_EN: 0
; COMPUTE_PGM_RSRC2:TGID_Z_EN: 0
; COMPUTE_PGM_RSRC2:TIDIG_COMP_CNT: 0
; COMPUTE_PGM_RSRC3_GFX90A:ACCUM_OFFSET: 0
; COMPUTE_PGM_RSRC3_GFX90A:TG_SPLIT: 0
	.section	.text._ZN7rocprim17ROCPRIM_400000_NS6detail17trampoline_kernelINS0_14default_configENS1_25partition_config_selectorILNS1_17partition_subalgoE2EsNS0_10empty_typeEbEEZZNS1_14partition_implILS5_2ELb0ES3_jN6thrust23THRUST_200600_302600_NS6detail15normal_iteratorINSA_7pointerIsNSA_11hip_rocprim3tagENSA_11use_defaultESG_EEEEPS6_NSA_18transform_iteratorINSA_8identityIsEENSC_INSA_10device_ptrIsEEEESG_SG_EENS0_5tupleIJPsSJ_EEENSR_IJSJ_SJ_EEES6_PlJS6_EEE10hipError_tPvRmT3_T4_T5_T6_T7_T9_mT8_P12ihipStream_tbDpT10_ENKUlT_T0_E_clISt17integral_constantIbLb1EES1E_IbLb0EEEEDaS1A_S1B_EUlS1A_E_NS1_11comp_targetILNS1_3genE0ELNS1_11target_archE4294967295ELNS1_3gpuE0ELNS1_3repE0EEENS1_30default_config_static_selectorELNS0_4arch9wavefront6targetE1EEEvT1_,"axG",@progbits,_ZN7rocprim17ROCPRIM_400000_NS6detail17trampoline_kernelINS0_14default_configENS1_25partition_config_selectorILNS1_17partition_subalgoE2EsNS0_10empty_typeEbEEZZNS1_14partition_implILS5_2ELb0ES3_jN6thrust23THRUST_200600_302600_NS6detail15normal_iteratorINSA_7pointerIsNSA_11hip_rocprim3tagENSA_11use_defaultESG_EEEEPS6_NSA_18transform_iteratorINSA_8identityIsEENSC_INSA_10device_ptrIsEEEESG_SG_EENS0_5tupleIJPsSJ_EEENSR_IJSJ_SJ_EEES6_PlJS6_EEE10hipError_tPvRmT3_T4_T5_T6_T7_T9_mT8_P12ihipStream_tbDpT10_ENKUlT_T0_E_clISt17integral_constantIbLb1EES1E_IbLb0EEEEDaS1A_S1B_EUlS1A_E_NS1_11comp_targetILNS1_3genE0ELNS1_11target_archE4294967295ELNS1_3gpuE0ELNS1_3repE0EEENS1_30default_config_static_selectorELNS0_4arch9wavefront6targetE1EEEvT1_,comdat
	.protected	_ZN7rocprim17ROCPRIM_400000_NS6detail17trampoline_kernelINS0_14default_configENS1_25partition_config_selectorILNS1_17partition_subalgoE2EsNS0_10empty_typeEbEEZZNS1_14partition_implILS5_2ELb0ES3_jN6thrust23THRUST_200600_302600_NS6detail15normal_iteratorINSA_7pointerIsNSA_11hip_rocprim3tagENSA_11use_defaultESG_EEEEPS6_NSA_18transform_iteratorINSA_8identityIsEENSC_INSA_10device_ptrIsEEEESG_SG_EENS0_5tupleIJPsSJ_EEENSR_IJSJ_SJ_EEES6_PlJS6_EEE10hipError_tPvRmT3_T4_T5_T6_T7_T9_mT8_P12ihipStream_tbDpT10_ENKUlT_T0_E_clISt17integral_constantIbLb1EES1E_IbLb0EEEEDaS1A_S1B_EUlS1A_E_NS1_11comp_targetILNS1_3genE0ELNS1_11target_archE4294967295ELNS1_3gpuE0ELNS1_3repE0EEENS1_30default_config_static_selectorELNS0_4arch9wavefront6targetE1EEEvT1_ ; -- Begin function _ZN7rocprim17ROCPRIM_400000_NS6detail17trampoline_kernelINS0_14default_configENS1_25partition_config_selectorILNS1_17partition_subalgoE2EsNS0_10empty_typeEbEEZZNS1_14partition_implILS5_2ELb0ES3_jN6thrust23THRUST_200600_302600_NS6detail15normal_iteratorINSA_7pointerIsNSA_11hip_rocprim3tagENSA_11use_defaultESG_EEEEPS6_NSA_18transform_iteratorINSA_8identityIsEENSC_INSA_10device_ptrIsEEEESG_SG_EENS0_5tupleIJPsSJ_EEENSR_IJSJ_SJ_EEES6_PlJS6_EEE10hipError_tPvRmT3_T4_T5_T6_T7_T9_mT8_P12ihipStream_tbDpT10_ENKUlT_T0_E_clISt17integral_constantIbLb1EES1E_IbLb0EEEEDaS1A_S1B_EUlS1A_E_NS1_11comp_targetILNS1_3genE0ELNS1_11target_archE4294967295ELNS1_3gpuE0ELNS1_3repE0EEENS1_30default_config_static_selectorELNS0_4arch9wavefront6targetE1EEEvT1_
	.globl	_ZN7rocprim17ROCPRIM_400000_NS6detail17trampoline_kernelINS0_14default_configENS1_25partition_config_selectorILNS1_17partition_subalgoE2EsNS0_10empty_typeEbEEZZNS1_14partition_implILS5_2ELb0ES3_jN6thrust23THRUST_200600_302600_NS6detail15normal_iteratorINSA_7pointerIsNSA_11hip_rocprim3tagENSA_11use_defaultESG_EEEEPS6_NSA_18transform_iteratorINSA_8identityIsEENSC_INSA_10device_ptrIsEEEESG_SG_EENS0_5tupleIJPsSJ_EEENSR_IJSJ_SJ_EEES6_PlJS6_EEE10hipError_tPvRmT3_T4_T5_T6_T7_T9_mT8_P12ihipStream_tbDpT10_ENKUlT_T0_E_clISt17integral_constantIbLb1EES1E_IbLb0EEEEDaS1A_S1B_EUlS1A_E_NS1_11comp_targetILNS1_3genE0ELNS1_11target_archE4294967295ELNS1_3gpuE0ELNS1_3repE0EEENS1_30default_config_static_selectorELNS0_4arch9wavefront6targetE1EEEvT1_
	.p2align	8
	.type	_ZN7rocprim17ROCPRIM_400000_NS6detail17trampoline_kernelINS0_14default_configENS1_25partition_config_selectorILNS1_17partition_subalgoE2EsNS0_10empty_typeEbEEZZNS1_14partition_implILS5_2ELb0ES3_jN6thrust23THRUST_200600_302600_NS6detail15normal_iteratorINSA_7pointerIsNSA_11hip_rocprim3tagENSA_11use_defaultESG_EEEEPS6_NSA_18transform_iteratorINSA_8identityIsEENSC_INSA_10device_ptrIsEEEESG_SG_EENS0_5tupleIJPsSJ_EEENSR_IJSJ_SJ_EEES6_PlJS6_EEE10hipError_tPvRmT3_T4_T5_T6_T7_T9_mT8_P12ihipStream_tbDpT10_ENKUlT_T0_E_clISt17integral_constantIbLb1EES1E_IbLb0EEEEDaS1A_S1B_EUlS1A_E_NS1_11comp_targetILNS1_3genE0ELNS1_11target_archE4294967295ELNS1_3gpuE0ELNS1_3repE0EEENS1_30default_config_static_selectorELNS0_4arch9wavefront6targetE1EEEvT1_,@function
_ZN7rocprim17ROCPRIM_400000_NS6detail17trampoline_kernelINS0_14default_configENS1_25partition_config_selectorILNS1_17partition_subalgoE2EsNS0_10empty_typeEbEEZZNS1_14partition_implILS5_2ELb0ES3_jN6thrust23THRUST_200600_302600_NS6detail15normal_iteratorINSA_7pointerIsNSA_11hip_rocprim3tagENSA_11use_defaultESG_EEEEPS6_NSA_18transform_iteratorINSA_8identityIsEENSC_INSA_10device_ptrIsEEEESG_SG_EENS0_5tupleIJPsSJ_EEENSR_IJSJ_SJ_EEES6_PlJS6_EEE10hipError_tPvRmT3_T4_T5_T6_T7_T9_mT8_P12ihipStream_tbDpT10_ENKUlT_T0_E_clISt17integral_constantIbLb1EES1E_IbLb0EEEEDaS1A_S1B_EUlS1A_E_NS1_11comp_targetILNS1_3genE0ELNS1_11target_archE4294967295ELNS1_3gpuE0ELNS1_3repE0EEENS1_30default_config_static_selectorELNS0_4arch9wavefront6targetE1EEEvT1_: ; @_ZN7rocprim17ROCPRIM_400000_NS6detail17trampoline_kernelINS0_14default_configENS1_25partition_config_selectorILNS1_17partition_subalgoE2EsNS0_10empty_typeEbEEZZNS1_14partition_implILS5_2ELb0ES3_jN6thrust23THRUST_200600_302600_NS6detail15normal_iteratorINSA_7pointerIsNSA_11hip_rocprim3tagENSA_11use_defaultESG_EEEEPS6_NSA_18transform_iteratorINSA_8identityIsEENSC_INSA_10device_ptrIsEEEESG_SG_EENS0_5tupleIJPsSJ_EEENSR_IJSJ_SJ_EEES6_PlJS6_EEE10hipError_tPvRmT3_T4_T5_T6_T7_T9_mT8_P12ihipStream_tbDpT10_ENKUlT_T0_E_clISt17integral_constantIbLb1EES1E_IbLb0EEEEDaS1A_S1B_EUlS1A_E_NS1_11comp_targetILNS1_3genE0ELNS1_11target_archE4294967295ELNS1_3gpuE0ELNS1_3repE0EEENS1_30default_config_static_selectorELNS0_4arch9wavefront6targetE1EEEvT1_
; %bb.0:
	.section	.rodata,"a",@progbits
	.p2align	6, 0x0
	.amdhsa_kernel _ZN7rocprim17ROCPRIM_400000_NS6detail17trampoline_kernelINS0_14default_configENS1_25partition_config_selectorILNS1_17partition_subalgoE2EsNS0_10empty_typeEbEEZZNS1_14partition_implILS5_2ELb0ES3_jN6thrust23THRUST_200600_302600_NS6detail15normal_iteratorINSA_7pointerIsNSA_11hip_rocprim3tagENSA_11use_defaultESG_EEEEPS6_NSA_18transform_iteratorINSA_8identityIsEENSC_INSA_10device_ptrIsEEEESG_SG_EENS0_5tupleIJPsSJ_EEENSR_IJSJ_SJ_EEES6_PlJS6_EEE10hipError_tPvRmT3_T4_T5_T6_T7_T9_mT8_P12ihipStream_tbDpT10_ENKUlT_T0_E_clISt17integral_constantIbLb1EES1E_IbLb0EEEEDaS1A_S1B_EUlS1A_E_NS1_11comp_targetILNS1_3genE0ELNS1_11target_archE4294967295ELNS1_3gpuE0ELNS1_3repE0EEENS1_30default_config_static_selectorELNS0_4arch9wavefront6targetE1EEEvT1_
		.amdhsa_group_segment_fixed_size 0
		.amdhsa_private_segment_fixed_size 0
		.amdhsa_kernarg_size 128
		.amdhsa_user_sgpr_count 2
		.amdhsa_user_sgpr_dispatch_ptr 0
		.amdhsa_user_sgpr_queue_ptr 0
		.amdhsa_user_sgpr_kernarg_segment_ptr 1
		.amdhsa_user_sgpr_dispatch_id 0
		.amdhsa_user_sgpr_kernarg_preload_length 0
		.amdhsa_user_sgpr_kernarg_preload_offset 0
		.amdhsa_user_sgpr_private_segment_size 0
		.amdhsa_uses_dynamic_stack 0
		.amdhsa_enable_private_segment 0
		.amdhsa_system_sgpr_workgroup_id_x 1
		.amdhsa_system_sgpr_workgroup_id_y 0
		.amdhsa_system_sgpr_workgroup_id_z 0
		.amdhsa_system_sgpr_workgroup_info 0
		.amdhsa_system_vgpr_workitem_id 0
		.amdhsa_next_free_vgpr 1
		.amdhsa_next_free_sgpr 0
		.amdhsa_accum_offset 4
		.amdhsa_reserve_vcc 0
		.amdhsa_float_round_mode_32 0
		.amdhsa_float_round_mode_16_64 0
		.amdhsa_float_denorm_mode_32 3
		.amdhsa_float_denorm_mode_16_64 3
		.amdhsa_dx10_clamp 1
		.amdhsa_ieee_mode 1
		.amdhsa_fp16_overflow 0
		.amdhsa_tg_split 0
		.amdhsa_exception_fp_ieee_invalid_op 0
		.amdhsa_exception_fp_denorm_src 0
		.amdhsa_exception_fp_ieee_div_zero 0
		.amdhsa_exception_fp_ieee_overflow 0
		.amdhsa_exception_fp_ieee_underflow 0
		.amdhsa_exception_fp_ieee_inexact 0
		.amdhsa_exception_int_div_zero 0
	.end_amdhsa_kernel
	.section	.text._ZN7rocprim17ROCPRIM_400000_NS6detail17trampoline_kernelINS0_14default_configENS1_25partition_config_selectorILNS1_17partition_subalgoE2EsNS0_10empty_typeEbEEZZNS1_14partition_implILS5_2ELb0ES3_jN6thrust23THRUST_200600_302600_NS6detail15normal_iteratorINSA_7pointerIsNSA_11hip_rocprim3tagENSA_11use_defaultESG_EEEEPS6_NSA_18transform_iteratorINSA_8identityIsEENSC_INSA_10device_ptrIsEEEESG_SG_EENS0_5tupleIJPsSJ_EEENSR_IJSJ_SJ_EEES6_PlJS6_EEE10hipError_tPvRmT3_T4_T5_T6_T7_T9_mT8_P12ihipStream_tbDpT10_ENKUlT_T0_E_clISt17integral_constantIbLb1EES1E_IbLb0EEEEDaS1A_S1B_EUlS1A_E_NS1_11comp_targetILNS1_3genE0ELNS1_11target_archE4294967295ELNS1_3gpuE0ELNS1_3repE0EEENS1_30default_config_static_selectorELNS0_4arch9wavefront6targetE1EEEvT1_,"axG",@progbits,_ZN7rocprim17ROCPRIM_400000_NS6detail17trampoline_kernelINS0_14default_configENS1_25partition_config_selectorILNS1_17partition_subalgoE2EsNS0_10empty_typeEbEEZZNS1_14partition_implILS5_2ELb0ES3_jN6thrust23THRUST_200600_302600_NS6detail15normal_iteratorINSA_7pointerIsNSA_11hip_rocprim3tagENSA_11use_defaultESG_EEEEPS6_NSA_18transform_iteratorINSA_8identityIsEENSC_INSA_10device_ptrIsEEEESG_SG_EENS0_5tupleIJPsSJ_EEENSR_IJSJ_SJ_EEES6_PlJS6_EEE10hipError_tPvRmT3_T4_T5_T6_T7_T9_mT8_P12ihipStream_tbDpT10_ENKUlT_T0_E_clISt17integral_constantIbLb1EES1E_IbLb0EEEEDaS1A_S1B_EUlS1A_E_NS1_11comp_targetILNS1_3genE0ELNS1_11target_archE4294967295ELNS1_3gpuE0ELNS1_3repE0EEENS1_30default_config_static_selectorELNS0_4arch9wavefront6targetE1EEEvT1_,comdat
.Lfunc_end561:
	.size	_ZN7rocprim17ROCPRIM_400000_NS6detail17trampoline_kernelINS0_14default_configENS1_25partition_config_selectorILNS1_17partition_subalgoE2EsNS0_10empty_typeEbEEZZNS1_14partition_implILS5_2ELb0ES3_jN6thrust23THRUST_200600_302600_NS6detail15normal_iteratorINSA_7pointerIsNSA_11hip_rocprim3tagENSA_11use_defaultESG_EEEEPS6_NSA_18transform_iteratorINSA_8identityIsEENSC_INSA_10device_ptrIsEEEESG_SG_EENS0_5tupleIJPsSJ_EEENSR_IJSJ_SJ_EEES6_PlJS6_EEE10hipError_tPvRmT3_T4_T5_T6_T7_T9_mT8_P12ihipStream_tbDpT10_ENKUlT_T0_E_clISt17integral_constantIbLb1EES1E_IbLb0EEEEDaS1A_S1B_EUlS1A_E_NS1_11comp_targetILNS1_3genE0ELNS1_11target_archE4294967295ELNS1_3gpuE0ELNS1_3repE0EEENS1_30default_config_static_selectorELNS0_4arch9wavefront6targetE1EEEvT1_, .Lfunc_end561-_ZN7rocprim17ROCPRIM_400000_NS6detail17trampoline_kernelINS0_14default_configENS1_25partition_config_selectorILNS1_17partition_subalgoE2EsNS0_10empty_typeEbEEZZNS1_14partition_implILS5_2ELb0ES3_jN6thrust23THRUST_200600_302600_NS6detail15normal_iteratorINSA_7pointerIsNSA_11hip_rocprim3tagENSA_11use_defaultESG_EEEEPS6_NSA_18transform_iteratorINSA_8identityIsEENSC_INSA_10device_ptrIsEEEESG_SG_EENS0_5tupleIJPsSJ_EEENSR_IJSJ_SJ_EEES6_PlJS6_EEE10hipError_tPvRmT3_T4_T5_T6_T7_T9_mT8_P12ihipStream_tbDpT10_ENKUlT_T0_E_clISt17integral_constantIbLb1EES1E_IbLb0EEEEDaS1A_S1B_EUlS1A_E_NS1_11comp_targetILNS1_3genE0ELNS1_11target_archE4294967295ELNS1_3gpuE0ELNS1_3repE0EEENS1_30default_config_static_selectorELNS0_4arch9wavefront6targetE1EEEvT1_
                                        ; -- End function
	.section	.AMDGPU.csdata,"",@progbits
; Kernel info:
; codeLenInByte = 0
; NumSgprs: 6
; NumVgprs: 0
; NumAgprs: 0
; TotalNumVgprs: 0
; ScratchSize: 0
; MemoryBound: 0
; FloatMode: 240
; IeeeMode: 1
; LDSByteSize: 0 bytes/workgroup (compile time only)
; SGPRBlocks: 0
; VGPRBlocks: 0
; NumSGPRsForWavesPerEU: 6
; NumVGPRsForWavesPerEU: 1
; AccumOffset: 4
; Occupancy: 8
; WaveLimiterHint : 0
; COMPUTE_PGM_RSRC2:SCRATCH_EN: 0
; COMPUTE_PGM_RSRC2:USER_SGPR: 2
; COMPUTE_PGM_RSRC2:TRAP_HANDLER: 0
; COMPUTE_PGM_RSRC2:TGID_X_EN: 1
; COMPUTE_PGM_RSRC2:TGID_Y_EN: 0
; COMPUTE_PGM_RSRC2:TGID_Z_EN: 0
; COMPUTE_PGM_RSRC2:TIDIG_COMP_CNT: 0
; COMPUTE_PGM_RSRC3_GFX90A:ACCUM_OFFSET: 0
; COMPUTE_PGM_RSRC3_GFX90A:TG_SPLIT: 0
	.section	.text._ZN7rocprim17ROCPRIM_400000_NS6detail17trampoline_kernelINS0_14default_configENS1_25partition_config_selectorILNS1_17partition_subalgoE2EsNS0_10empty_typeEbEEZZNS1_14partition_implILS5_2ELb0ES3_jN6thrust23THRUST_200600_302600_NS6detail15normal_iteratorINSA_7pointerIsNSA_11hip_rocprim3tagENSA_11use_defaultESG_EEEEPS6_NSA_18transform_iteratorINSA_8identityIsEENSC_INSA_10device_ptrIsEEEESG_SG_EENS0_5tupleIJPsSJ_EEENSR_IJSJ_SJ_EEES6_PlJS6_EEE10hipError_tPvRmT3_T4_T5_T6_T7_T9_mT8_P12ihipStream_tbDpT10_ENKUlT_T0_E_clISt17integral_constantIbLb1EES1E_IbLb0EEEEDaS1A_S1B_EUlS1A_E_NS1_11comp_targetILNS1_3genE5ELNS1_11target_archE942ELNS1_3gpuE9ELNS1_3repE0EEENS1_30default_config_static_selectorELNS0_4arch9wavefront6targetE1EEEvT1_,"axG",@progbits,_ZN7rocprim17ROCPRIM_400000_NS6detail17trampoline_kernelINS0_14default_configENS1_25partition_config_selectorILNS1_17partition_subalgoE2EsNS0_10empty_typeEbEEZZNS1_14partition_implILS5_2ELb0ES3_jN6thrust23THRUST_200600_302600_NS6detail15normal_iteratorINSA_7pointerIsNSA_11hip_rocprim3tagENSA_11use_defaultESG_EEEEPS6_NSA_18transform_iteratorINSA_8identityIsEENSC_INSA_10device_ptrIsEEEESG_SG_EENS0_5tupleIJPsSJ_EEENSR_IJSJ_SJ_EEES6_PlJS6_EEE10hipError_tPvRmT3_T4_T5_T6_T7_T9_mT8_P12ihipStream_tbDpT10_ENKUlT_T0_E_clISt17integral_constantIbLb1EES1E_IbLb0EEEEDaS1A_S1B_EUlS1A_E_NS1_11comp_targetILNS1_3genE5ELNS1_11target_archE942ELNS1_3gpuE9ELNS1_3repE0EEENS1_30default_config_static_selectorELNS0_4arch9wavefront6targetE1EEEvT1_,comdat
	.protected	_ZN7rocprim17ROCPRIM_400000_NS6detail17trampoline_kernelINS0_14default_configENS1_25partition_config_selectorILNS1_17partition_subalgoE2EsNS0_10empty_typeEbEEZZNS1_14partition_implILS5_2ELb0ES3_jN6thrust23THRUST_200600_302600_NS6detail15normal_iteratorINSA_7pointerIsNSA_11hip_rocprim3tagENSA_11use_defaultESG_EEEEPS6_NSA_18transform_iteratorINSA_8identityIsEENSC_INSA_10device_ptrIsEEEESG_SG_EENS0_5tupleIJPsSJ_EEENSR_IJSJ_SJ_EEES6_PlJS6_EEE10hipError_tPvRmT3_T4_T5_T6_T7_T9_mT8_P12ihipStream_tbDpT10_ENKUlT_T0_E_clISt17integral_constantIbLb1EES1E_IbLb0EEEEDaS1A_S1B_EUlS1A_E_NS1_11comp_targetILNS1_3genE5ELNS1_11target_archE942ELNS1_3gpuE9ELNS1_3repE0EEENS1_30default_config_static_selectorELNS0_4arch9wavefront6targetE1EEEvT1_ ; -- Begin function _ZN7rocprim17ROCPRIM_400000_NS6detail17trampoline_kernelINS0_14default_configENS1_25partition_config_selectorILNS1_17partition_subalgoE2EsNS0_10empty_typeEbEEZZNS1_14partition_implILS5_2ELb0ES3_jN6thrust23THRUST_200600_302600_NS6detail15normal_iteratorINSA_7pointerIsNSA_11hip_rocprim3tagENSA_11use_defaultESG_EEEEPS6_NSA_18transform_iteratorINSA_8identityIsEENSC_INSA_10device_ptrIsEEEESG_SG_EENS0_5tupleIJPsSJ_EEENSR_IJSJ_SJ_EEES6_PlJS6_EEE10hipError_tPvRmT3_T4_T5_T6_T7_T9_mT8_P12ihipStream_tbDpT10_ENKUlT_T0_E_clISt17integral_constantIbLb1EES1E_IbLb0EEEEDaS1A_S1B_EUlS1A_E_NS1_11comp_targetILNS1_3genE5ELNS1_11target_archE942ELNS1_3gpuE9ELNS1_3repE0EEENS1_30default_config_static_selectorELNS0_4arch9wavefront6targetE1EEEvT1_
	.globl	_ZN7rocprim17ROCPRIM_400000_NS6detail17trampoline_kernelINS0_14default_configENS1_25partition_config_selectorILNS1_17partition_subalgoE2EsNS0_10empty_typeEbEEZZNS1_14partition_implILS5_2ELb0ES3_jN6thrust23THRUST_200600_302600_NS6detail15normal_iteratorINSA_7pointerIsNSA_11hip_rocprim3tagENSA_11use_defaultESG_EEEEPS6_NSA_18transform_iteratorINSA_8identityIsEENSC_INSA_10device_ptrIsEEEESG_SG_EENS0_5tupleIJPsSJ_EEENSR_IJSJ_SJ_EEES6_PlJS6_EEE10hipError_tPvRmT3_T4_T5_T6_T7_T9_mT8_P12ihipStream_tbDpT10_ENKUlT_T0_E_clISt17integral_constantIbLb1EES1E_IbLb0EEEEDaS1A_S1B_EUlS1A_E_NS1_11comp_targetILNS1_3genE5ELNS1_11target_archE942ELNS1_3gpuE9ELNS1_3repE0EEENS1_30default_config_static_selectorELNS0_4arch9wavefront6targetE1EEEvT1_
	.p2align	8
	.type	_ZN7rocprim17ROCPRIM_400000_NS6detail17trampoline_kernelINS0_14default_configENS1_25partition_config_selectorILNS1_17partition_subalgoE2EsNS0_10empty_typeEbEEZZNS1_14partition_implILS5_2ELb0ES3_jN6thrust23THRUST_200600_302600_NS6detail15normal_iteratorINSA_7pointerIsNSA_11hip_rocprim3tagENSA_11use_defaultESG_EEEEPS6_NSA_18transform_iteratorINSA_8identityIsEENSC_INSA_10device_ptrIsEEEESG_SG_EENS0_5tupleIJPsSJ_EEENSR_IJSJ_SJ_EEES6_PlJS6_EEE10hipError_tPvRmT3_T4_T5_T6_T7_T9_mT8_P12ihipStream_tbDpT10_ENKUlT_T0_E_clISt17integral_constantIbLb1EES1E_IbLb0EEEEDaS1A_S1B_EUlS1A_E_NS1_11comp_targetILNS1_3genE5ELNS1_11target_archE942ELNS1_3gpuE9ELNS1_3repE0EEENS1_30default_config_static_selectorELNS0_4arch9wavefront6targetE1EEEvT1_,@function
_ZN7rocprim17ROCPRIM_400000_NS6detail17trampoline_kernelINS0_14default_configENS1_25partition_config_selectorILNS1_17partition_subalgoE2EsNS0_10empty_typeEbEEZZNS1_14partition_implILS5_2ELb0ES3_jN6thrust23THRUST_200600_302600_NS6detail15normal_iteratorINSA_7pointerIsNSA_11hip_rocprim3tagENSA_11use_defaultESG_EEEEPS6_NSA_18transform_iteratorINSA_8identityIsEENSC_INSA_10device_ptrIsEEEESG_SG_EENS0_5tupleIJPsSJ_EEENSR_IJSJ_SJ_EEES6_PlJS6_EEE10hipError_tPvRmT3_T4_T5_T6_T7_T9_mT8_P12ihipStream_tbDpT10_ENKUlT_T0_E_clISt17integral_constantIbLb1EES1E_IbLb0EEEEDaS1A_S1B_EUlS1A_E_NS1_11comp_targetILNS1_3genE5ELNS1_11target_archE942ELNS1_3gpuE9ELNS1_3repE0EEENS1_30default_config_static_selectorELNS0_4arch9wavefront6targetE1EEEvT1_: ; @_ZN7rocprim17ROCPRIM_400000_NS6detail17trampoline_kernelINS0_14default_configENS1_25partition_config_selectorILNS1_17partition_subalgoE2EsNS0_10empty_typeEbEEZZNS1_14partition_implILS5_2ELb0ES3_jN6thrust23THRUST_200600_302600_NS6detail15normal_iteratorINSA_7pointerIsNSA_11hip_rocprim3tagENSA_11use_defaultESG_EEEEPS6_NSA_18transform_iteratorINSA_8identityIsEENSC_INSA_10device_ptrIsEEEESG_SG_EENS0_5tupleIJPsSJ_EEENSR_IJSJ_SJ_EEES6_PlJS6_EEE10hipError_tPvRmT3_T4_T5_T6_T7_T9_mT8_P12ihipStream_tbDpT10_ENKUlT_T0_E_clISt17integral_constantIbLb1EES1E_IbLb0EEEEDaS1A_S1B_EUlS1A_E_NS1_11comp_targetILNS1_3genE5ELNS1_11target_archE942ELNS1_3gpuE9ELNS1_3repE0EEENS1_30default_config_static_selectorELNS0_4arch9wavefront6targetE1EEEvT1_
; %bb.0:
	s_load_dwordx4 s[24:27], s[0:1], 0x8
	s_load_dwordx2 s[6:7], s[0:1], 0x20
	s_load_dwordx2 s[28:29], s[0:1], 0x60
	s_load_dwordx4 s[20:23], s[0:1], 0x50
	s_load_dword s3, s[0:1], 0x78
	s_waitcnt lgkmcnt(0)
	s_lshl_b64 s[8:9], s[26:27], 1
	s_add_u32 s12, s24, s8
	s_addc_u32 s13, s25, s9
	s_load_dwordx2 s[30:31], s[22:23], 0x0
	s_add_i32 s10, s3, -1
	s_mulk_i32 s3, 0x3c00
	s_add_i32 s4, s3, s26
	s_sub_i32 s33, s28, s4
	s_addk_i32 s33, 0x3c00
	s_add_u32 s4, s26, s3
	s_addc_u32 s5, s27, 0
	s_cmp_eq_u32 s2, s10
	v_mov_b64_e32 v[2:3], s[28:29]
	s_cselect_b64 s[22:23], -1, 0
	s_cmp_lg_u32 s2, s10
	s_mul_i32 s24, s2, 0x3c00
	s_mov_b32 s25, 0
	v_cmp_lt_u64_e32 vcc, s[4:5], v[2:3]
	s_cselect_b64 s[4:5], -1, 0
	s_or_b64 s[34:35], s[4:5], vcc
	s_lshl_b64 s[10:11], s[24:25], 1
	s_add_u32 s12, s12, s10
	s_addc_u32 s13, s13, s11
	s_mov_b64 s[4:5], -1
	s_and_b64 vcc, exec, s[34:35]
	v_lshlrev_b32_e32 v12, 1, v0
	s_cbranch_vccz .LBB562_2
; %bb.1:
	v_mov_b32_e32 v13, 0
	v_lshl_add_u64 v[2:3], s[12:13], 0, v[12:13]
	v_add_co_u32_e32 v4, vcc, 0x1000, v2
	s_mov_b64 s[4:5], 0
	s_nop 0
	v_addc_co_u32_e32 v5, vcc, 0, v3, vcc
	flat_load_ushort v1, v[2:3]
	flat_load_ushort v8, v[2:3] offset:1024
	flat_load_ushort v9, v[2:3] offset:2048
	flat_load_ushort v10, v[2:3] offset:3072
	flat_load_ushort v11, v[4:5]
	flat_load_ushort v13, v[4:5] offset:1024
	flat_load_ushort v14, v[4:5] offset:2048
	flat_load_ushort v15, v[4:5] offset:3072
	v_add_co_u32_e32 v4, vcc, 0x2000, v2
	s_nop 1
	v_addc_co_u32_e32 v5, vcc, 0, v3, vcc
	v_add_co_u32_e32 v6, vcc, 0x3000, v2
	s_nop 1
	v_addc_co_u32_e32 v7, vcc, 0, v3, vcc
	flat_load_ushort v16, v[4:5]
	flat_load_ushort v17, v[4:5] offset:1024
	flat_load_ushort v18, v[4:5] offset:2048
	flat_load_ushort v19, v[4:5] offset:3072
	flat_load_ushort v20, v[6:7]
	flat_load_ushort v21, v[6:7] offset:1024
	flat_load_ushort v22, v[6:7] offset:2048
	flat_load_ushort v23, v[6:7] offset:3072
	v_add_co_u32_e32 v4, vcc, 0x4000, v2
	s_nop 1
	v_addc_co_u32_e32 v5, vcc, 0, v3, vcc
	v_add_co_u32_e32 v6, vcc, 0x5000, v2
	;; [unrolled: 14-line block ×3, first 2 shown]
	s_nop 1
	v_addc_co_u32_e32 v3, vcc, 0, v3, vcc
	flat_load_ushort v6, v[4:5]
	flat_load_ushort v7, v[4:5] offset:1024
	flat_load_ushort v32, v[4:5] offset:2048
	;; [unrolled: 1-line block ×3, first 2 shown]
	flat_load_ushort v34, v[2:3]
	flat_load_ushort v35, v[2:3] offset:1024
	s_waitcnt vmcnt(0) lgkmcnt(0)
	ds_write_b16 v12, v1
	ds_write_b16 v12, v8 offset:1024
	ds_write_b16 v12, v9 offset:2048
	;; [unrolled: 1-line block ×29, first 2 shown]
	s_waitcnt lgkmcnt(0)
	s_barrier
.LBB562_2:
	s_andn2_b64 vcc, exec, s[4:5]
	v_cmp_gt_u32_e64 s[4:5], s33, v0
	s_cbranch_vccnz .LBB562_64
; %bb.3:
                                        ; implicit-def: $vgpr1
	s_and_saveexec_b64 s[14:15], s[4:5]
	s_cbranch_execz .LBB562_5
; %bb.4:
	v_mov_b32_e32 v13, 0
	v_lshl_add_u64 v[2:3], s[12:13], 0, v[12:13]
	flat_load_ushort v1, v[2:3]
.LBB562_5:
	s_or_b64 exec, exec, s[14:15]
	v_or_b32_e32 v2, 0x200, v0
	v_cmp_gt_u32_e32 vcc, s33, v2
                                        ; implicit-def: $vgpr2
	s_and_saveexec_b64 s[4:5], vcc
	s_cbranch_execz .LBB562_7
; %bb.6:
	v_mov_b32_e32 v13, 0
	v_lshl_add_u64 v[2:3], s[12:13], 0, v[12:13]
	flat_load_ushort v2, v[2:3] offset:1024
.LBB562_7:
	s_or_b64 exec, exec, s[4:5]
	v_or_b32_e32 v3, 0x400, v0
	v_cmp_gt_u32_e32 vcc, s33, v3
                                        ; implicit-def: $vgpr3
	s_and_saveexec_b64 s[4:5], vcc
	s_cbranch_execz .LBB562_9
; %bb.8:
	v_mov_b32_e32 v13, 0
	v_lshl_add_u64 v[4:5], s[12:13], 0, v[12:13]
	flat_load_ushort v3, v[4:5] offset:2048
.LBB562_9:
	s_or_b64 exec, exec, s[4:5]
	v_or_b32_e32 v4, 0x600, v0
	v_cmp_gt_u32_e32 vcc, s33, v4
                                        ; implicit-def: $vgpr4
	s_and_saveexec_b64 s[4:5], vcc
	s_cbranch_execz .LBB562_11
; %bb.10:
	v_mov_b32_e32 v13, 0
	v_lshl_add_u64 v[4:5], s[12:13], 0, v[12:13]
	flat_load_ushort v4, v[4:5] offset:3072
.LBB562_11:
	s_or_b64 exec, exec, s[4:5]
	v_or_b32_e32 v6, 0x800, v0
	v_cmp_gt_u32_e32 vcc, s33, v6
                                        ; implicit-def: $vgpr5
	s_and_saveexec_b64 s[4:5], vcc
	s_cbranch_execz .LBB562_13
; %bb.12:
	v_lshlrev_b32_e32 v6, 1, v6
	v_mov_b32_e32 v7, 0
	v_lshl_add_u64 v[6:7], s[12:13], 0, v[6:7]
	flat_load_ushort v5, v[6:7]
.LBB562_13:
	s_or_b64 exec, exec, s[4:5]
	v_or_b32_e32 v7, 0xa00, v0
	v_cmp_gt_u32_e32 vcc, s33, v7
                                        ; implicit-def: $vgpr6
	s_and_saveexec_b64 s[4:5], vcc
	s_cbranch_execz .LBB562_15
; %bb.14:
	v_lshlrev_b32_e32 v6, 1, v7
	v_mov_b32_e32 v7, 0
	v_lshl_add_u64 v[6:7], s[12:13], 0, v[6:7]
	flat_load_ushort v6, v[6:7]
.LBB562_15:
	s_or_b64 exec, exec, s[4:5]
	v_or_b32_e32 v8, 0xc00, v0
	v_cmp_gt_u32_e32 vcc, s33, v8
                                        ; implicit-def: $vgpr7
	s_and_saveexec_b64 s[4:5], vcc
	s_cbranch_execz .LBB562_17
; %bb.16:
	v_lshlrev_b32_e32 v8, 1, v8
	v_mov_b32_e32 v9, 0
	v_lshl_add_u64 v[8:9], s[12:13], 0, v[8:9]
	flat_load_ushort v7, v[8:9]
.LBB562_17:
	s_or_b64 exec, exec, s[4:5]
	v_or_b32_e32 v9, 0xe00, v0
	v_cmp_gt_u32_e32 vcc, s33, v9
                                        ; implicit-def: $vgpr8
	s_and_saveexec_b64 s[4:5], vcc
	s_cbranch_execz .LBB562_19
; %bb.18:
	v_lshlrev_b32_e32 v8, 1, v9
	v_mov_b32_e32 v9, 0
	v_lshl_add_u64 v[8:9], s[12:13], 0, v[8:9]
	flat_load_ushort v8, v[8:9]
.LBB562_19:
	s_or_b64 exec, exec, s[4:5]
	v_or_b32_e32 v10, 0x1000, v0
	v_cmp_gt_u32_e32 vcc, s33, v10
                                        ; implicit-def: $vgpr9
	s_and_saveexec_b64 s[4:5], vcc
	s_cbranch_execz .LBB562_21
; %bb.20:
	v_lshlrev_b32_e32 v10, 1, v10
	v_mov_b32_e32 v11, 0
	v_lshl_add_u64 v[10:11], s[12:13], 0, v[10:11]
	flat_load_ushort v9, v[10:11]
.LBB562_21:
	s_or_b64 exec, exec, s[4:5]
	v_or_b32_e32 v11, 0x1200, v0
	v_cmp_gt_u32_e32 vcc, s33, v11
                                        ; implicit-def: $vgpr10
	s_and_saveexec_b64 s[4:5], vcc
	s_cbranch_execz .LBB562_23
; %bb.22:
	v_lshlrev_b32_e32 v10, 1, v11
	v_mov_b32_e32 v11, 0
	v_lshl_add_u64 v[10:11], s[12:13], 0, v[10:11]
	flat_load_ushort v10, v[10:11]
.LBB562_23:
	s_or_b64 exec, exec, s[4:5]
	v_or_b32_e32 v13, 0x1400, v0
	v_cmp_gt_u32_e32 vcc, s33, v13
                                        ; implicit-def: $vgpr11
	s_and_saveexec_b64 s[4:5], vcc
	s_cbranch_execz .LBB562_25
; %bb.24:
	v_lshlrev_b32_e32 v14, 1, v13
	v_mov_b32_e32 v15, 0
	v_lshl_add_u64 v[14:15], s[12:13], 0, v[14:15]
	flat_load_ushort v11, v[14:15]
.LBB562_25:
	s_or_b64 exec, exec, s[4:5]
	v_or_b32_e32 v14, 0x1600, v0
	v_cmp_gt_u32_e32 vcc, s33, v14
                                        ; implicit-def: $vgpr13
	s_and_saveexec_b64 s[4:5], vcc
	s_cbranch_execz .LBB562_27
; %bb.26:
	v_lshlrev_b32_e32 v14, 1, v14
	v_mov_b32_e32 v15, 0
	v_lshl_add_u64 v[14:15], s[12:13], 0, v[14:15]
	flat_load_ushort v13, v[14:15]
.LBB562_27:
	s_or_b64 exec, exec, s[4:5]
	v_or_b32_e32 v15, 0x1800, v0
	v_cmp_gt_u32_e32 vcc, s33, v15
                                        ; implicit-def: $vgpr14
	s_and_saveexec_b64 s[4:5], vcc
	s_cbranch_execz .LBB562_29
; %bb.28:
	v_lshlrev_b32_e32 v14, 1, v15
	v_mov_b32_e32 v15, 0
	v_lshl_add_u64 v[14:15], s[12:13], 0, v[14:15]
	flat_load_ushort v14, v[14:15]
.LBB562_29:
	s_or_b64 exec, exec, s[4:5]
	v_or_b32_e32 v16, 0x1a00, v0
	v_cmp_gt_u32_e32 vcc, s33, v16
                                        ; implicit-def: $vgpr15
	s_and_saveexec_b64 s[4:5], vcc
	s_cbranch_execz .LBB562_31
; %bb.30:
	v_lshlrev_b32_e32 v16, 1, v16
	v_mov_b32_e32 v17, 0
	v_lshl_add_u64 v[16:17], s[12:13], 0, v[16:17]
	flat_load_ushort v15, v[16:17]
.LBB562_31:
	s_or_b64 exec, exec, s[4:5]
	v_or_b32_e32 v17, 0x1c00, v0
	v_cmp_gt_u32_e32 vcc, s33, v17
                                        ; implicit-def: $vgpr16
	s_and_saveexec_b64 s[4:5], vcc
	s_cbranch_execz .LBB562_33
; %bb.32:
	v_lshlrev_b32_e32 v16, 1, v17
	v_mov_b32_e32 v17, 0
	v_lshl_add_u64 v[16:17], s[12:13], 0, v[16:17]
	flat_load_ushort v16, v[16:17]
.LBB562_33:
	s_or_b64 exec, exec, s[4:5]
	v_or_b32_e32 v18, 0x1e00, v0
	v_cmp_gt_u32_e32 vcc, s33, v18
                                        ; implicit-def: $vgpr17
	s_and_saveexec_b64 s[4:5], vcc
	s_cbranch_execz .LBB562_35
; %bb.34:
	v_lshlrev_b32_e32 v18, 1, v18
	v_mov_b32_e32 v19, 0
	v_lshl_add_u64 v[18:19], s[12:13], 0, v[18:19]
	flat_load_ushort v17, v[18:19]
.LBB562_35:
	s_or_b64 exec, exec, s[4:5]
	v_or_b32_e32 v19, 0x2000, v0
	v_cmp_gt_u32_e32 vcc, s33, v19
                                        ; implicit-def: $vgpr18
	s_and_saveexec_b64 s[4:5], vcc
	s_cbranch_execz .LBB562_37
; %bb.36:
	v_lshlrev_b32_e32 v18, 1, v19
	v_mov_b32_e32 v19, 0
	v_lshl_add_u64 v[18:19], s[12:13], 0, v[18:19]
	flat_load_ushort v18, v[18:19]
.LBB562_37:
	s_or_b64 exec, exec, s[4:5]
	v_or_b32_e32 v20, 0x2200, v0
	v_cmp_gt_u32_e32 vcc, s33, v20
                                        ; implicit-def: $vgpr19
	s_and_saveexec_b64 s[4:5], vcc
	s_cbranch_execz .LBB562_39
; %bb.38:
	v_lshlrev_b32_e32 v20, 1, v20
	v_mov_b32_e32 v21, 0
	v_lshl_add_u64 v[20:21], s[12:13], 0, v[20:21]
	flat_load_ushort v19, v[20:21]
.LBB562_39:
	s_or_b64 exec, exec, s[4:5]
	v_or_b32_e32 v21, 0x2400, v0
	v_cmp_gt_u32_e32 vcc, s33, v21
                                        ; implicit-def: $vgpr20
	s_and_saveexec_b64 s[4:5], vcc
	s_cbranch_execz .LBB562_41
; %bb.40:
	v_lshlrev_b32_e32 v20, 1, v21
	v_mov_b32_e32 v21, 0
	v_lshl_add_u64 v[20:21], s[12:13], 0, v[20:21]
	flat_load_ushort v20, v[20:21]
.LBB562_41:
	s_or_b64 exec, exec, s[4:5]
	v_or_b32_e32 v22, 0x2600, v0
	v_cmp_gt_u32_e32 vcc, s33, v22
                                        ; implicit-def: $vgpr21
	s_and_saveexec_b64 s[4:5], vcc
	s_cbranch_execz .LBB562_43
; %bb.42:
	v_lshlrev_b32_e32 v22, 1, v22
	v_mov_b32_e32 v23, 0
	v_lshl_add_u64 v[22:23], s[12:13], 0, v[22:23]
	flat_load_ushort v21, v[22:23]
.LBB562_43:
	s_or_b64 exec, exec, s[4:5]
	v_or_b32_e32 v23, 0x2800, v0
	v_cmp_gt_u32_e32 vcc, s33, v23
                                        ; implicit-def: $vgpr22
	s_and_saveexec_b64 s[4:5], vcc
	s_cbranch_execz .LBB562_45
; %bb.44:
	v_lshlrev_b32_e32 v22, 1, v23
	v_mov_b32_e32 v23, 0
	v_lshl_add_u64 v[22:23], s[12:13], 0, v[22:23]
	flat_load_ushort v22, v[22:23]
.LBB562_45:
	s_or_b64 exec, exec, s[4:5]
	v_or_b32_e32 v24, 0x2a00, v0
	v_cmp_gt_u32_e32 vcc, s33, v24
                                        ; implicit-def: $vgpr23
	s_and_saveexec_b64 s[4:5], vcc
	s_cbranch_execz .LBB562_47
; %bb.46:
	v_lshlrev_b32_e32 v24, 1, v24
	v_mov_b32_e32 v25, 0
	v_lshl_add_u64 v[24:25], s[12:13], 0, v[24:25]
	flat_load_ushort v23, v[24:25]
.LBB562_47:
	s_or_b64 exec, exec, s[4:5]
	v_or_b32_e32 v25, 0x2c00, v0
	v_cmp_gt_u32_e32 vcc, s33, v25
                                        ; implicit-def: $vgpr24
	s_and_saveexec_b64 s[4:5], vcc
	s_cbranch_execz .LBB562_49
; %bb.48:
	v_lshlrev_b32_e32 v24, 1, v25
	v_mov_b32_e32 v25, 0
	v_lshl_add_u64 v[24:25], s[12:13], 0, v[24:25]
	flat_load_ushort v24, v[24:25]
.LBB562_49:
	s_or_b64 exec, exec, s[4:5]
	v_or_b32_e32 v26, 0x2e00, v0
	v_cmp_gt_u32_e32 vcc, s33, v26
                                        ; implicit-def: $vgpr25
	s_and_saveexec_b64 s[4:5], vcc
	s_cbranch_execz .LBB562_51
; %bb.50:
	v_lshlrev_b32_e32 v26, 1, v26
	v_mov_b32_e32 v27, 0
	v_lshl_add_u64 v[26:27], s[12:13], 0, v[26:27]
	flat_load_ushort v25, v[26:27]
.LBB562_51:
	s_or_b64 exec, exec, s[4:5]
	v_or_b32_e32 v27, 0x3000, v0
	v_cmp_gt_u32_e32 vcc, s33, v27
                                        ; implicit-def: $vgpr26
	s_and_saveexec_b64 s[4:5], vcc
	s_cbranch_execz .LBB562_53
; %bb.52:
	v_lshlrev_b32_e32 v26, 1, v27
	v_mov_b32_e32 v27, 0
	v_lshl_add_u64 v[26:27], s[12:13], 0, v[26:27]
	flat_load_ushort v26, v[26:27]
.LBB562_53:
	s_or_b64 exec, exec, s[4:5]
	v_or_b32_e32 v28, 0x3200, v0
	v_cmp_gt_u32_e32 vcc, s33, v28
                                        ; implicit-def: $vgpr27
	s_and_saveexec_b64 s[4:5], vcc
	s_cbranch_execz .LBB562_55
; %bb.54:
	v_lshlrev_b32_e32 v28, 1, v28
	v_mov_b32_e32 v29, 0
	v_lshl_add_u64 v[28:29], s[12:13], 0, v[28:29]
	flat_load_ushort v27, v[28:29]
.LBB562_55:
	s_or_b64 exec, exec, s[4:5]
	v_or_b32_e32 v29, 0x3400, v0
	v_cmp_gt_u32_e32 vcc, s33, v29
                                        ; implicit-def: $vgpr28
	s_and_saveexec_b64 s[4:5], vcc
	s_cbranch_execz .LBB562_57
; %bb.56:
	v_lshlrev_b32_e32 v28, 1, v29
	v_mov_b32_e32 v29, 0
	v_lshl_add_u64 v[28:29], s[12:13], 0, v[28:29]
	flat_load_ushort v28, v[28:29]
.LBB562_57:
	s_or_b64 exec, exec, s[4:5]
	v_or_b32_e32 v30, 0x3600, v0
	v_cmp_gt_u32_e32 vcc, s33, v30
                                        ; implicit-def: $vgpr29
	s_and_saveexec_b64 s[4:5], vcc
	s_cbranch_execz .LBB562_59
; %bb.58:
	v_lshlrev_b32_e32 v30, 1, v30
	v_mov_b32_e32 v31, 0
	v_lshl_add_u64 v[30:31], s[12:13], 0, v[30:31]
	flat_load_ushort v29, v[30:31]
.LBB562_59:
	s_or_b64 exec, exec, s[4:5]
	v_or_b32_e32 v31, 0x3800, v0
	v_cmp_gt_u32_e32 vcc, s33, v31
                                        ; implicit-def: $vgpr30
	s_and_saveexec_b64 s[4:5], vcc
	s_cbranch_execz .LBB562_61
; %bb.60:
	v_lshlrev_b32_e32 v30, 1, v31
	v_mov_b32_e32 v31, 0
	v_lshl_add_u64 v[30:31], s[12:13], 0, v[30:31]
	flat_load_ushort v30, v[30:31]
.LBB562_61:
	s_or_b64 exec, exec, s[4:5]
	v_or_b32_e32 v32, 0x3a00, v0
	v_cmp_gt_u32_e32 vcc, s33, v32
                                        ; implicit-def: $vgpr31
	s_and_saveexec_b64 s[4:5], vcc
	s_cbranch_execz .LBB562_63
; %bb.62:
	v_lshlrev_b32_e32 v32, 1, v32
	v_mov_b32_e32 v33, 0
	v_lshl_add_u64 v[32:33], s[12:13], 0, v[32:33]
	flat_load_ushort v31, v[32:33]
.LBB562_63:
	s_or_b64 exec, exec, s[4:5]
	s_waitcnt vmcnt(0) lgkmcnt(0)
	ds_write_b16 v12, v1
	ds_write_b16 v12, v2 offset:1024
	ds_write_b16 v12, v3 offset:2048
	;; [unrolled: 1-line block ×29, first 2 shown]
	s_waitcnt lgkmcnt(0)
	s_barrier
.LBB562_64:
	v_mul_u32_u24_e32 v9, 30, v0
	v_lshlrev_b32_e32 v2, 1, v9
	s_waitcnt lgkmcnt(0)
	ds_read2_b32 v[26:27], v2 offset1:1
	ds_read2_b32 v[24:25], v2 offset0:2 offset1:3
	ds_read2_b32 v[22:23], v2 offset0:4 offset1:5
	;; [unrolled: 1-line block ×3, first 2 shown]
	ds_read_b32 v1, v2 offset:56
	ds_read2_b32 v[14:15], v2 offset0:12 offset1:13
	ds_read2_b32 v[16:17], v2 offset0:10 offset1:11
	;; [unrolled: 1-line block ×3, first 2 shown]
	s_add_u32 s3, s6, s8
	s_addc_u32 s5, s7, s9
	s_add_u32 s4, s3, s10
	s_addc_u32 s5, s5, s11
	s_mov_b64 s[6:7], -1
	s_and_b64 vcc, exec, s[34:35]
	s_waitcnt lgkmcnt(0)
	s_barrier
	s_cbranch_vccz .LBB562_66
; %bb.65:
	global_load_ushort v8, v12, s[4:5]
	v_mov_b32_e32 v13, 0
	v_lshl_add_u64 v[2:3], s[4:5], 0, v[12:13]
	s_movk_i32 s3, 0x1000
	v_add_co_u32_e32 v4, vcc, s3, v2
	s_movk_i32 s3, 0x2000
	s_nop 0
	v_addc_co_u32_e32 v5, vcc, 0, v3, vcc
	v_add_co_u32_e32 v6, vcc, s3, v2
	s_movk_i32 s3, 0x3000
	s_nop 0
	v_addc_co_u32_e32 v7, vcc, 0, v3, vcc
	global_load_ushort v13, v12, s[4:5] offset:1024
	global_load_ushort v28, v12, s[4:5] offset:2048
	;; [unrolled: 1-line block ×3, first 2 shown]
	global_load_ushort v30, v[6:7], off offset:-4096
	global_load_ushort v31, v[4:5], off offset:1024
	global_load_ushort v32, v[4:5], off offset:2048
	;; [unrolled: 1-line block ×3, first 2 shown]
	global_load_ushort v34, v[6:7], off
	global_load_ushort v35, v[6:7], off offset:1024
	global_load_ushort v36, v[6:7], off offset:2048
	v_add_co_u32_e32 v4, vcc, s3, v2
	s_movk_i32 s3, 0x4000
	s_nop 0
	v_addc_co_u32_e32 v5, vcc, 0, v3, vcc
	v_add_co_u32_e32 v10, vcc, s3, v2
	s_movk_i32 s6, 0x6000
	s_nop 0
	v_addc_co_u32_e32 v11, vcc, 0, v3, vcc
	global_load_ushort v37, v[6:7], off offset:3072
	global_load_ushort v38, v[10:11], off offset:-4096
	global_load_ushort v39, v[4:5], off offset:1024
	global_load_ushort v40, v[4:5], off offset:2048
	;; [unrolled: 1-line block ×3, first 2 shown]
	global_load_ushort v42, v[10:11], off
	global_load_ushort v43, v[10:11], off offset:1024
	global_load_ushort v44, v[10:11], off offset:2048
	v_add_co_u32_e32 v4, vcc, s6, v2
	s_movk_i32 s3, 0x5000
	s_nop 0
	v_addc_co_u32_e32 v5, vcc, 0, v3, vcc
	global_load_ushort v45, v[10:11], off offset:3072
	global_load_ushort v46, v[4:5], off offset:-4096
	v_add_co_u32_e32 v6, vcc, s3, v2
	s_movk_i32 s3, 0x7000
	s_nop 0
	v_addc_co_u32_e32 v7, vcc, 0, v3, vcc
	global_load_ushort v10, v[6:7], off offset:1024
	global_load_ushort v11, v[6:7], off offset:2048
	;; [unrolled: 1-line block ×3, first 2 shown]
	global_load_ushort v48, v[4:5], off
	global_load_ushort v49, v[4:5], off offset:1024
	global_load_ushort v50, v[4:5], off offset:2048
	;; [unrolled: 1-line block ×3, first 2 shown]
	v_add_co_u32_e32 v2, vcc, s3, v2
	s_mov_b64 s[6:7], 0
	s_nop 0
	v_addc_co_u32_e32 v3, vcc, 0, v3, vcc
	global_load_ushort v4, v[2:3], off
	global_load_ushort v5, v[2:3], off offset:1024
	s_waitcnt vmcnt(29)
	v_cmp_ne_u16_e32 vcc, 0, v8
	s_nop 1
	v_cndmask_b32_e64 v2, 0, 1, vcc
	s_waitcnt vmcnt(28)
	v_cmp_ne_u16_e32 vcc, 0, v13
	s_nop 1
	v_cndmask_b32_e64 v3, 0, 1, vcc
	;; [unrolled: 4-line block ×7, first 2 shown]
	v_cmp_ne_u16_e32 vcc, 0, v30
	s_nop 1
	v_cndmask_b32_e64 v29, 0, 1, vcc
	s_waitcnt vmcnt(21)
	v_cmp_ne_u16_e32 vcc, 0, v34
	s_nop 1
	v_cndmask_b32_e64 v30, 0, 1, vcc
	s_waitcnt vmcnt(20)
	;; [unrolled: 4-line block ×22, first 2 shown]
	v_cmp_ne_u16_e32 vcc, 0, v5
	s_nop 1
	v_cndmask_b32_e64 v5, 0, 1, vcc
	ds_write_b8 v0, v2
	ds_write_b8 v0, v3 offset:512
	ds_write_b8 v0, v6 offset:1024
	;; [unrolled: 1-line block ×29, first 2 shown]
	s_waitcnt lgkmcnt(0)
	s_barrier
.LBB562_66:
	s_load_dwordx2 s[36:37], s[0:1], 0x70
	s_andn2_b64 vcc, exec, s[6:7]
	s_cbranch_vccnz .LBB562_128
; %bb.67:
	v_cmp_gt_u32_e32 vcc, s33, v0
	v_mov_b32_e32 v2, 0
	v_mov_b32_e32 v3, 0
	s_and_saveexec_b64 s[6:7], vcc
	s_cbranch_execz .LBB562_69
; %bb.68:
	global_load_ushort v3, v12, s[4:5]
	s_waitcnt vmcnt(0)
	v_cmp_ne_u16_e32 vcc, 0, v3
	s_nop 1
	v_cndmask_b32_e64 v3, 0, 1, vcc
.LBB562_69:
	s_or_b64 exec, exec, s[6:7]
	v_or_b32_e32 v4, 0x200, v0
	v_cmp_gt_u32_e32 vcc, s33, v4
	s_and_saveexec_b64 s[6:7], vcc
	s_cbranch_execz .LBB562_71
; %bb.70:
	global_load_ushort v2, v12, s[4:5] offset:1024
	s_waitcnt vmcnt(0)
	v_cmp_ne_u16_e32 vcc, 0, v2
	s_nop 1
	v_cndmask_b32_e64 v2, 0, 1, vcc
.LBB562_71:
	s_or_b64 exec, exec, s[6:7]
	v_or_b32_e32 v4, 0x400, v0
	v_cmp_gt_u32_e32 vcc, s33, v4
	v_mov_b32_e32 v4, 0
	v_mov_b32_e32 v5, 0
	s_and_saveexec_b64 s[6:7], vcc
	s_cbranch_execz .LBB562_73
; %bb.72:
	global_load_ushort v5, v12, s[4:5] offset:2048
	s_waitcnt vmcnt(0)
	v_cmp_ne_u16_e32 vcc, 0, v5
	s_nop 1
	v_cndmask_b32_e64 v5, 0, 1, vcc
.LBB562_73:
	s_or_b64 exec, exec, s[6:7]
	v_or_b32_e32 v6, 0x600, v0
	v_cmp_gt_u32_e32 vcc, s33, v6
	s_and_saveexec_b64 s[6:7], vcc
	s_cbranch_execz .LBB562_75
; %bb.74:
	global_load_ushort v4, v12, s[4:5] offset:3072
	s_waitcnt vmcnt(0)
	v_cmp_ne_u16_e32 vcc, 0, v4
	s_nop 1
	v_cndmask_b32_e64 v4, 0, 1, vcc
.LBB562_75:
	s_or_b64 exec, exec, s[6:7]
	v_or_b32_e32 v8, 0x800, v0
	v_cmp_gt_u32_e32 vcc, s33, v8
	v_mov_b32_e32 v6, 0
	v_mov_b32_e32 v7, 0
	s_and_saveexec_b64 s[6:7], vcc
	s_cbranch_execz .LBB562_77
; %bb.76:
	v_lshlrev_b32_e32 v7, 1, v8
	global_load_ushort v7, v7, s[4:5]
	s_waitcnt vmcnt(0)
	v_cmp_ne_u16_e32 vcc, 0, v7
	s_nop 1
	v_cndmask_b32_e64 v7, 0, 1, vcc
.LBB562_77:
	s_or_b64 exec, exec, s[6:7]
	v_or_b32_e32 v8, 0xa00, v0
	v_cmp_gt_u32_e32 vcc, s33, v8
	s_and_saveexec_b64 s[6:7], vcc
	s_cbranch_execz .LBB562_79
; %bb.78:
	v_lshlrev_b32_e32 v6, 1, v8
	global_load_ushort v6, v6, s[4:5]
	s_waitcnt vmcnt(0)
	v_cmp_ne_u16_e32 vcc, 0, v6
	s_nop 1
	v_cndmask_b32_e64 v6, 0, 1, vcc
.LBB562_79:
	s_or_b64 exec, exec, s[6:7]
	v_or_b32_e32 v11, 0xc00, v0
	v_cmp_gt_u32_e32 vcc, s33, v11
	v_mov_b32_e32 v8, 0
	v_mov_b32_e32 v10, 0
	s_and_saveexec_b64 s[6:7], vcc
	s_cbranch_execz .LBB562_81
; %bb.80:
	v_lshlrev_b32_e32 v10, 1, v11
	global_load_ushort v10, v10, s[4:5]
	s_waitcnt vmcnt(0)
	v_cmp_ne_u16_e32 vcc, 0, v10
	s_nop 1
	v_cndmask_b32_e64 v10, 0, 1, vcc
.LBB562_81:
	s_or_b64 exec, exec, s[6:7]
	v_or_b32_e32 v11, 0xe00, v0
	v_cmp_gt_u32_e32 vcc, s33, v11
	s_and_saveexec_b64 s[6:7], vcc
	s_cbranch_execz .LBB562_83
; %bb.82:
	v_lshlrev_b32_e32 v8, 1, v11
	global_load_ushort v8, v8, s[4:5]
	s_waitcnt vmcnt(0)
	v_cmp_ne_u16_e32 vcc, 0, v8
	s_nop 1
	v_cndmask_b32_e64 v8, 0, 1, vcc
.LBB562_83:
	;; [unrolled: 28-line block ×13, first 2 shown]
	s_or_b64 exec, exec, s[6:7]
	ds_write_b8 v0, v3
	ds_write_b8 v0, v2 offset:512
	ds_write_b8 v0, v5 offset:1024
	;; [unrolled: 1-line block ×29, first 2 shown]
	s_waitcnt lgkmcnt(0)
	s_barrier
.LBB562_128:
	s_waitcnt lgkmcnt(0)
	ds_read_b128 v[2:5], v9
	ds_read_b96 v[6:8], v9 offset:16
	ds_read_u16 v36, v9 offset:28
	s_cmp_lg_u32 s2, 0
	v_lshrrev_b32_e32 v65, 6, v0
	s_waitcnt lgkmcnt(0)
	v_lshrrev_b32_e32 v44, 24, v2
	v_bfe_u32 v63, v2, 16, 8
	v_add_u32_sdwa v10, v2, v2 dst_sel:DWORD dst_unused:UNUSED_PAD src0_sel:BYTE_1 src1_sel:BYTE_0
	v_and_b32_e32 v60, 0xff, v3
	v_bfe_u32 v61, v3, 8, 8
	v_add3_u32 v10, v10, v63, v44
	v_lshrrev_b32_e32 v43, 24, v3
	v_bfe_u32 v62, v3, 16, 8
	v_add3_u32 v10, v10, v60, v61
	v_and_b32_e32 v57, 0xff, v4
	v_bfe_u32 v58, v4, 8, 8
	v_add3_u32 v10, v10, v62, v43
	v_lshrrev_b32_e32 v42, 24, v4
	v_bfe_u32 v59, v4, 16, 8
	v_add3_u32 v10, v10, v57, v58
	;; [unrolled: 6-line block ×6, first 2 shown]
	v_lshrrev_b16_e32 v13, 8, v36
	v_and_b32_e32 v38, 0xff, v36
	v_add3_u32 v10, v10, v47, v37
	v_add3_u32 v66, v10, v38, v13
	v_mbcnt_lo_u32_b32 v10, -1, 0
	v_mbcnt_hi_u32_b32 v64, -1, v10
	v_and_b32_e32 v10, 15, v64
	v_cmp_eq_u32_e64 s[14:15], 0, v10
	v_cmp_lt_u32_e64 s[12:13], 1, v10
	v_cmp_lt_u32_e64 s[10:11], 3, v10
	;; [unrolled: 1-line block ×3, first 2 shown]
	v_and_b32_e32 v10, 16, v64
	v_cmp_eq_u32_e64 s[6:7], 0, v10
	v_or_b32_e32 v10, 63, v0
	v_cmp_lt_u32_e64 s[18:19], 31, v64
	v_cmp_eq_u32_e64 s[4:5], v10, v0
	s_barrier
	s_cbranch_scc0 .LBB562_159
; %bb.129:
	v_mov_b32_dpp v10, v66 row_shr:1 row_mask:0xf bank_mask:0xf
	v_cndmask_b32_e64 v10, v10, 0, s[14:15]
	v_add_u32_e32 v10, v10, v66
	s_nop 1
	v_mov_b32_dpp v11, v10 row_shr:2 row_mask:0xf bank_mask:0xf
	v_cndmask_b32_e64 v11, 0, v11, s[12:13]
	v_add_u32_e32 v10, v10, v11
	s_nop 1
	;; [unrolled: 4-line block ×4, first 2 shown]
	v_mov_b32_dpp v11, v10 row_bcast:15 row_mask:0xf bank_mask:0xf
	v_cndmask_b32_e64 v11, v11, 0, s[6:7]
	v_add_u32_e32 v10, v10, v11
	s_nop 1
	v_mov_b32_dpp v11, v10 row_bcast:31 row_mask:0xf bank_mask:0xf
	v_cndmask_b32_e64 v11, 0, v11, s[18:19]
	v_add_u32_e32 v10, v10, v11
	s_and_saveexec_b64 s[16:17], s[4:5]
	s_cbranch_execz .LBB562_131
; %bb.130:
	v_lshlrev_b32_e32 v11, 2, v65
	ds_write_b32 v11, v10
.LBB562_131:
	s_or_b64 exec, exec, s[16:17]
	v_cmp_gt_u32_e32 vcc, 8, v0
	s_waitcnt lgkmcnt(0)
	s_barrier
	s_and_saveexec_b64 s[16:17], vcc
	s_cbranch_execz .LBB562_133
; %bb.132:
	v_lshlrev_b32_e32 v11, 2, v0
	ds_read_b32 v28, v11
	v_and_b32_e32 v29, 7, v64
	v_cmp_ne_u32_e32 vcc, 0, v29
	s_waitcnt lgkmcnt(0)
	v_mov_b32_dpp v30, v28 row_shr:1 row_mask:0xf bank_mask:0xf
	v_cndmask_b32_e32 v30, 0, v30, vcc
	v_add_u32_e32 v28, v30, v28
	v_cmp_lt_u32_e32 vcc, 1, v29
	s_nop 0
	v_mov_b32_dpp v30, v28 row_shr:2 row_mask:0xf bank_mask:0xf
	v_cndmask_b32_e32 v30, 0, v30, vcc
	v_add_u32_e32 v28, v28, v30
	v_cmp_lt_u32_e32 vcc, 3, v29
	s_nop 0
	v_mov_b32_dpp v30, v28 row_shr:4 row_mask:0xf bank_mask:0xf
	v_cndmask_b32_e32 v29, 0, v30, vcc
	v_add_u32_e32 v28, v28, v29
	ds_write_b32 v11, v28
.LBB562_133:
	s_or_b64 exec, exec, s[16:17]
	v_cmp_gt_u32_e32 vcc, 64, v0
	v_cmp_lt_u32_e64 s[16:17], 63, v0
	s_waitcnt lgkmcnt(0)
	s_barrier
	s_waitcnt lgkmcnt(0)
                                        ; implicit-def: $vgpr67
	s_and_saveexec_b64 s[38:39], s[16:17]
	s_cbranch_execz .LBB562_135
; %bb.134:
	v_lshl_add_u32 v11, v65, 2, -4
	ds_read_b32 v67, v11
	s_waitcnt lgkmcnt(0)
	v_add_u32_e32 v10, v67, v10
.LBB562_135:
	s_or_b64 exec, exec, s[38:39]
	v_add_u32_e32 v11, -1, v64
	v_and_b32_e32 v28, 64, v64
	v_cmp_lt_i32_e64 s[16:17], v11, v28
	s_nop 1
	v_cndmask_b32_e64 v11, v11, v64, s[16:17]
	v_lshlrev_b32_e32 v11, 2, v11
	ds_bpermute_b32 v68, v11, v10
	v_cmp_eq_u32_e64 s[16:17], 0, v64
	s_and_saveexec_b64 s[38:39], vcc
	s_cbranch_execz .LBB562_158
; %bb.136:
	v_mov_b32_e32 v35, 0
	ds_read_b32 v10, v35 offset:28
	s_and_saveexec_b64 s[40:41], s[16:17]
	s_cbranch_execz .LBB562_138
; %bb.137:
	s_add_i32 s42, s2, 64
	s_mov_b32 s43, 0
	s_lshl_b64 s[42:43], s[42:43], 3
	s_add_u32 s42, s36, s42
	v_mov_b32_e32 v11, 1
	s_addc_u32 s43, s37, s43
	s_waitcnt lgkmcnt(0)
	global_store_dwordx2 v35, v[10:11], s[42:43] sc1
.LBB562_138:
	s_or_b64 exec, exec, s[40:41]
	v_xad_u32 v28, v64, -1, s2
	v_add_u32_e32 v34, 64, v28
	v_lshl_add_u64 v[30:31], v[34:35], 3, s[36:37]
	global_load_dwordx2 v[32:33], v[30:31], off sc1
	s_waitcnt vmcnt(0)
	v_cmp_eq_u16_sdwa s[42:43], v33, v35 src0_sel:BYTE_0 src1_sel:DWORD
	s_and_saveexec_b64 s[40:41], s[42:43]
	s_cbranch_execz .LBB562_144
; %bb.139:
	s_mov_b32 s3, 1
	s_mov_b64 s[42:43], 0
	v_mov_b32_e32 v11, 0
.LBB562_140:                            ; =>This Loop Header: Depth=1
                                        ;     Child Loop BB562_141 Depth 2
	s_max_u32 s25, s3, 1
.LBB562_141:                            ;   Parent Loop BB562_140 Depth=1
                                        ; =>  This Inner Loop Header: Depth=2
	s_add_i32 s25, s25, -1
	s_cmp_eq_u32 s25, 0
	s_sleep 1
	s_cbranch_scc0 .LBB562_141
; %bb.142:                              ;   in Loop: Header=BB562_140 Depth=1
	global_load_dwordx2 v[32:33], v[30:31], off sc1
	s_cmp_lt_u32 s3, 32
	s_cselect_b64 s[44:45], -1, 0
	s_cmp_lg_u64 s[44:45], 0
	s_addc_u32 s3, s3, 0
	s_waitcnt vmcnt(0)
	v_cmp_ne_u16_sdwa s[44:45], v33, v11 src0_sel:BYTE_0 src1_sel:DWORD
	s_or_b64 s[42:43], s[44:45], s[42:43]
	s_andn2_b64 exec, exec, s[42:43]
	s_cbranch_execnz .LBB562_140
; %bb.143:
	s_or_b64 exec, exec, s[42:43]
.LBB562_144:
	s_or_b64 exec, exec, s[40:41]
	v_and_b32_e32 v70, 63, v64
	v_mov_b32_e32 v69, 2
	v_cmp_ne_u32_e32 vcc, 63, v70
	v_cmp_eq_u16_sdwa s[40:41], v33, v69 src0_sel:BYTE_0 src1_sel:DWORD
	v_lshlrev_b64 v[30:31], v64, -1
	v_addc_co_u32_e32 v34, vcc, 0, v64, vcc
	v_and_b32_e32 v11, s41, v31
	v_lshlrev_b32_e32 v71, 2, v34
	v_or_b32_e32 v11, 0x80000000, v11
	ds_bpermute_b32 v34, v71, v32
	v_and_b32_e32 v29, s40, v30
	v_ffbl_b32_e32 v11, v11
	v_add_u32_e32 v11, 32, v11
	v_ffbl_b32_e32 v29, v29
	v_min_u32_e32 v11, v29, v11
	v_cmp_lt_u32_e32 vcc, v70, v11
	v_add_u32_e32 v73, 2, v70
	v_add_u32_e32 v75, 4, v70
	s_waitcnt lgkmcnt(0)
	v_cndmask_b32_e32 v29, 0, v34, vcc
	v_cmp_gt_u32_e32 vcc, 62, v70
	v_add_u32_e32 v29, v29, v32
	v_add_u32_e32 v77, 8, v70
	v_cndmask_b32_e64 v32, 0, 1, vcc
	v_lshlrev_b32_e32 v32, 1, v32
	v_add_lshl_u32 v72, v32, v64, 2
	ds_bpermute_b32 v32, v72, v29
	v_cmp_le_u32_e32 vcc, v73, v11
	v_add_u32_e32 v79, 16, v70
	v_add_u32_e32 v81, 32, v70
	s_waitcnt lgkmcnt(0)
	v_cndmask_b32_e32 v32, 0, v32, vcc
	v_cmp_gt_u32_e32 vcc, 60, v70
	v_add_u32_e32 v29, v29, v32
	s_nop 0
	v_cndmask_b32_e64 v32, 0, 1, vcc
	v_lshlrev_b32_e32 v32, 2, v32
	v_add_lshl_u32 v74, v32, v64, 2
	ds_bpermute_b32 v32, v74, v29
	v_cmp_le_u32_e32 vcc, v75, v11
	s_waitcnt lgkmcnt(0)
	s_nop 0
	v_cndmask_b32_e32 v32, 0, v32, vcc
	v_cmp_gt_u32_e32 vcc, 56, v70
	v_add_u32_e32 v29, v29, v32
	s_nop 0
	v_cndmask_b32_e64 v32, 0, 1, vcc
	v_lshlrev_b32_e32 v32, 3, v32
	v_add_lshl_u32 v76, v32, v64, 2
	ds_bpermute_b32 v32, v76, v29
	v_cmp_le_u32_e32 vcc, v77, v11
	s_waitcnt lgkmcnt(0)
	s_nop 0
	;; [unrolled: 11-line block ×4, first 2 shown]
	v_cndmask_b32_e32 v11, 0, v32, vcc
	v_add_u32_e32 v32, v29, v11
	v_mov_b32_e32 v29, 0
	s_branch .LBB562_146
.LBB562_145:                            ;   in Loop: Header=BB562_146 Depth=1
	s_or_b64 exec, exec, s[40:41]
	v_cmp_eq_u16_sdwa s[40:41], v33, v69 src0_sel:BYTE_0 src1_sel:DWORD
	ds_bpermute_b32 v82, v71, v32
	v_subrev_u32_e32 v28, 64, v28
	v_and_b32_e32 v34, s41, v31
	v_or_b32_e32 v34, 0x80000000, v34
	v_and_b32_e32 v35, s40, v30
	v_ffbl_b32_e32 v34, v34
	v_add_u32_e32 v34, 32, v34
	v_ffbl_b32_e32 v35, v35
	v_min_u32_e32 v34, v35, v34
	v_cmp_lt_u32_e32 vcc, v70, v34
	s_waitcnt lgkmcnt(0)
	s_nop 0
	v_cndmask_b32_e32 v35, 0, v82, vcc
	v_add_u32_e32 v32, v35, v32
	ds_bpermute_b32 v35, v72, v32
	v_cmp_le_u32_e32 vcc, v73, v34
	s_waitcnt lgkmcnt(0)
	s_nop 0
	v_cndmask_b32_e32 v35, 0, v35, vcc
	v_add_u32_e32 v32, v32, v35
	ds_bpermute_b32 v35, v74, v32
	v_cmp_le_u32_e32 vcc, v75, v34
	;; [unrolled: 6-line block ×5, first 2 shown]
	s_waitcnt lgkmcnt(0)
	s_nop 0
	v_cndmask_b32_e32 v34, 0, v35, vcc
	v_add3_u32 v32, v34, v11, v32
.LBB562_146:                            ; =>This Loop Header: Depth=1
                                        ;     Child Loop BB562_149 Depth 2
                                        ;       Child Loop BB562_150 Depth 3
	v_cmp_ne_u16_sdwa s[40:41], v33, v69 src0_sel:BYTE_0 src1_sel:DWORD
	s_nop 1
	v_cndmask_b32_e64 v11, 0, 1, s[40:41]
	;;#ASMSTART
	;;#ASMEND
	s_nop 0
	v_cmp_ne_u32_e32 vcc, 0, v11
	s_cmp_lg_u64 vcc, exec
	v_mov_b32_e32 v11, v32
	s_cbranch_scc1 .LBB562_153
; %bb.147:                              ;   in Loop: Header=BB562_146 Depth=1
	v_lshl_add_u64 v[34:35], v[28:29], 3, s[36:37]
	global_load_dwordx2 v[32:33], v[34:35], off sc1
	s_waitcnt vmcnt(0)
	v_cmp_eq_u16_sdwa s[42:43], v33, v29 src0_sel:BYTE_0 src1_sel:DWORD
	s_and_saveexec_b64 s[40:41], s[42:43]
	s_cbranch_execz .LBB562_145
; %bb.148:                              ;   in Loop: Header=BB562_146 Depth=1
	s_mov_b32 s3, 1
	s_mov_b64 s[42:43], 0
.LBB562_149:                            ;   Parent Loop BB562_146 Depth=1
                                        ; =>  This Loop Header: Depth=2
                                        ;       Child Loop BB562_150 Depth 3
	s_max_u32 s25, s3, 1
.LBB562_150:                            ;   Parent Loop BB562_146 Depth=1
                                        ;     Parent Loop BB562_149 Depth=2
                                        ; =>    This Inner Loop Header: Depth=3
	s_add_i32 s25, s25, -1
	s_cmp_eq_u32 s25, 0
	s_sleep 1
	s_cbranch_scc0 .LBB562_150
; %bb.151:                              ;   in Loop: Header=BB562_149 Depth=2
	global_load_dwordx2 v[32:33], v[34:35], off sc1
	s_cmp_lt_u32 s3, 32
	s_cselect_b64 s[44:45], -1, 0
	s_cmp_lg_u64 s[44:45], 0
	s_addc_u32 s3, s3, 0
	s_waitcnt vmcnt(0)
	v_cmp_ne_u16_sdwa s[44:45], v33, v29 src0_sel:BYTE_0 src1_sel:DWORD
	s_or_b64 s[42:43], s[44:45], s[42:43]
	s_andn2_b64 exec, exec, s[42:43]
	s_cbranch_execnz .LBB562_149
; %bb.152:                              ;   in Loop: Header=BB562_146 Depth=1
	s_or_b64 exec, exec, s[42:43]
	s_branch .LBB562_145
.LBB562_153:                            ;   in Loop: Header=BB562_146 Depth=1
                                        ; implicit-def: $vgpr32
                                        ; implicit-def: $vgpr33
	s_cbranch_execz .LBB562_146
; %bb.154:
	s_and_saveexec_b64 s[40:41], s[16:17]
	s_cbranch_execz .LBB562_156
; %bb.155:
	s_add_i32 s2, s2, 64
	s_mov_b32 s3, 0
	s_lshl_b64 s[2:3], s[2:3], 3
	s_add_u32 s2, s36, s2
	v_add_u32_e32 v28, v11, v10
	v_mov_b32_e32 v29, 2
	s_addc_u32 s3, s37, s3
	v_mov_b32_e32 v30, 0
	global_store_dwordx2 v30, v[28:29], s[2:3] sc1
	ds_write_b64 v30, v[10:11] offset:30720
.LBB562_156:
	s_or_b64 exec, exec, s[40:41]
	v_cmp_eq_u32_e32 vcc, 0, v0
	s_and_b64 exec, exec, vcc
	s_cbranch_execz .LBB562_158
; %bb.157:
	v_mov_b32_e32 v10, 0
	ds_write_b32 v10, v11 offset:28
.LBB562_158:
	s_or_b64 exec, exec, s[38:39]
	v_mov_b32_e32 v10, 0
	s_waitcnt lgkmcnt(0)
	s_barrier
	ds_read_b32 v29, v10 offset:28
	s_waitcnt lgkmcnt(0)
	s_barrier
	ds_read_b64 v[10:11], v10 offset:30720
	v_cndmask_b32_e64 v28, v68, v67, s[16:17]
	v_cmp_ne_u32_e32 vcc, 0, v0
	s_waitcnt lgkmcnt(0)
	v_mov_b32_e32 v68, v11
	v_cndmask_b32_e32 v28, 0, v28, vcc
	v_add_u32_e32 v33, v29, v28
	s_load_dwordx2 s[2:3], s[0:1], 0x30
	s_branch .LBB562_169
.LBB562_159:
                                        ; implicit-def: $vgpr68
                                        ; implicit-def: $vgpr10
                                        ; implicit-def: $vgpr33
	s_load_dwordx2 s[2:3], s[0:1], 0x30
	s_cbranch_execz .LBB562_169
; %bb.160:
	v_mov_b32_dpp v10, v66 row_shr:1 row_mask:0xf bank_mask:0xf
	v_cndmask_b32_e64 v10, v10, 0, s[14:15]
	v_add_u32_e32 v10, v10, v66
	s_nop 1
	v_mov_b32_dpp v11, v10 row_shr:2 row_mask:0xf bank_mask:0xf
	v_cndmask_b32_e64 v11, 0, v11, s[12:13]
	v_add_u32_e32 v10, v10, v11
	s_nop 1
	;; [unrolled: 4-line block ×4, first 2 shown]
	v_mov_b32_dpp v11, v10 row_bcast:15 row_mask:0xf bank_mask:0xf
	v_cndmask_b32_e64 v11, v11, 0, s[6:7]
	v_add_u32_e32 v10, v10, v11
	s_nop 1
	v_mov_b32_dpp v11, v10 row_bcast:31 row_mask:0xf bank_mask:0xf
	v_cndmask_b32_e64 v11, 0, v11, s[18:19]
	v_add_u32_e32 v10, v10, v11
	s_and_saveexec_b64 s[0:1], s[4:5]
	s_cbranch_execz .LBB562_162
; %bb.161:
	v_lshlrev_b32_e32 v11, 2, v65
	ds_write_b32 v11, v10
.LBB562_162:
	s_or_b64 exec, exec, s[0:1]
	v_cmp_gt_u32_e32 vcc, 8, v0
	s_waitcnt lgkmcnt(0)
	s_barrier
	s_and_saveexec_b64 s[0:1], vcc
	s_cbranch_execz .LBB562_164
; %bb.163:
	v_lshlrev_b32_e32 v11, 2, v0
	ds_read_b32 v28, v11
	v_and_b32_e32 v29, 7, v64
	v_cmp_ne_u32_e32 vcc, 0, v29
	s_waitcnt lgkmcnt(0)
	v_mov_b32_dpp v30, v28 row_shr:1 row_mask:0xf bank_mask:0xf
	v_cndmask_b32_e32 v30, 0, v30, vcc
	v_add_u32_e32 v28, v30, v28
	v_cmp_lt_u32_e32 vcc, 1, v29
	s_nop 0
	v_mov_b32_dpp v30, v28 row_shr:2 row_mask:0xf bank_mask:0xf
	v_cndmask_b32_e32 v30, 0, v30, vcc
	v_add_u32_e32 v28, v28, v30
	v_cmp_lt_u32_e32 vcc, 3, v29
	s_nop 0
	v_mov_b32_dpp v30, v28 row_shr:4 row_mask:0xf bank_mask:0xf
	v_cndmask_b32_e32 v29, 0, v30, vcc
	v_add_u32_e32 v28, v28, v29
	ds_write_b32 v11, v28
.LBB562_164:
	s_or_b64 exec, exec, s[0:1]
	v_cmp_lt_u32_e32 vcc, 63, v0
	v_mov_b32_e32 v11, 0
	v_mov_b32_e32 v28, 0
	s_waitcnt lgkmcnt(0)
	s_barrier
	s_and_saveexec_b64 s[0:1], vcc
	s_cbranch_execz .LBB562_166
; %bb.165:
	v_lshl_add_u32 v28, v65, 2, -4
	ds_read_b32 v28, v28
.LBB562_166:
	s_or_b64 exec, exec, s[0:1]
	v_add_u32_e32 v29, -1, v64
	v_and_b32_e32 v30, 64, v64
	v_cmp_lt_i32_e32 vcc, v29, v30
	s_waitcnt lgkmcnt(0)
	v_add_u32_e32 v10, v28, v10
	v_cndmask_b32_e32 v29, v29, v64, vcc
	v_lshlrev_b32_e32 v29, 2, v29
	ds_bpermute_b32 v29, v29, v10
	ds_read_b32 v10, v11 offset:28
	v_cmp_eq_u32_e32 vcc, 0, v0
	s_and_saveexec_b64 s[0:1], vcc
	s_cbranch_execz .LBB562_168
; %bb.167:
	v_mov_b32_e32 v30, 0
	v_mov_b32_e32 v11, 2
	s_waitcnt lgkmcnt(0)
	global_store_dwordx2 v30, v[10:11], s[36:37] offset:512 sc1
.LBB562_168:
	s_or_b64 exec, exec, s[0:1]
	v_cmp_eq_u32_e64 s[0:1], 0, v64
	v_mov_b32_e32 v68, 0
	s_waitcnt lgkmcnt(0)
	v_cndmask_b32_e64 v11, v29, v28, s[0:1]
	v_cndmask_b32_e64 v33, v11, 0, vcc
	s_barrier
.LBB562_169:
	v_add_u32_sdwa v35, v33, v2 dst_sel:DWORD dst_unused:UNUSED_PAD src0_sel:DWORD src1_sel:BYTE_0
	v_add_u32_e32 v9, v10, v9
	v_sub_u32_e32 v33, v33, v68
	v_and_b32_e32 v74, 1, v2
	v_sub_u32_e32 v73, v9, v33
	v_cmp_eq_u32_e32 vcc, 1, v74
	v_lshrrev_b32_e32 v34, 8, v2
	v_add_u32_sdwa v64, v35, v2 dst_sel:DWORD dst_unused:UNUSED_PAD src0_sel:DWORD src1_sel:BYTE_1
	v_cndmask_b32_e32 v33, v73, v33, vcc
	v_lshlrev_b32_e32 v33, 1, v33
	ds_write_b16 v33, v26
	v_sub_u32_e32 v33, v35, v68
	v_sub_u32_e32 v35, v9, v33
	v_and_b32_e32 v34, 1, v34
	v_add_u32_e32 v35, 1, v35
	v_cmp_eq_u32_e32 vcc, 1, v34
	v_mov_b32_e32 v34, 1
	v_and_b32_sdwa v2, v34, v2 dst_sel:DWORD dst_unused:UNUSED_PAD src0_sel:DWORD src1_sel:WORD_1
	v_cndmask_b32_e32 v33, v35, v33, vcc
	v_lshlrev_b32_e32 v33, 1, v33
	ds_write_b16_d16_hi v33, v26
	v_sub_u32_e32 v26, v64, v68
	v_sub_u32_e32 v33, v9, v26
	v_add_u32_e32 v33, 2, v33
	v_cmp_eq_u32_e32 vcc, 1, v2
	v_add_u32_e32 v63, v64, v63
	v_add_u32_e32 v65, v63, v44
	v_cndmask_b32_e32 v2, v33, v26, vcc
	v_lshlrev_b32_e32 v2, 1, v2
	ds_write_b16 v2, v27
	v_sub_u32_e32 v2, v63, v68
	v_sub_u32_e32 v26, v9, v2
	v_and_b32_e32 v33, 1, v44
	v_add_u32_e32 v26, 3, v26
	v_cmp_eq_u32_e32 vcc, 1, v33
	v_add_u32_e32 v60, v65, v60
	v_lshrrev_b32_e32 v32, 8, v3
	v_cndmask_b32_e32 v2, v26, v2, vcc
	v_lshlrev_b32_e32 v2, 1, v2
	ds_write_b16_d16_hi v2, v27
	v_sub_u32_e32 v2, v65, v68
	v_sub_u32_e32 v26, v9, v2
	v_and_b32_e32 v27, 1, v3
	v_add_u32_e32 v26, 4, v26
	v_cmp_eq_u32_e32 vcc, 1, v27
	v_and_b32_e32 v27, 1, v32
	v_add_u32_e32 v61, v60, v61
	v_cndmask_b32_e32 v2, v26, v2, vcc
	v_lshlrev_b32_e32 v2, 1, v2
	ds_write_b16 v2, v24
	v_sub_u32_e32 v2, v60, v68
	v_sub_u32_e32 v26, v9, v2
	v_add_u32_e32 v26, 5, v26
	v_cmp_eq_u32_e32 vcc, 1, v27
	v_and_b32_sdwa v3, v34, v3 dst_sel:DWORD dst_unused:UNUSED_PAD src0_sel:DWORD src1_sel:WORD_1
	v_add_u32_e32 v62, v61, v62
	v_cndmask_b32_e32 v2, v26, v2, vcc
	v_lshlrev_b32_e32 v2, 1, v2
	ds_write_b16_d16_hi v2, v24
	v_sub_u32_e32 v2, v61, v68
	v_sub_u32_e32 v24, v9, v2
	v_add_u32_e32 v24, 6, v24
	v_cmp_eq_u32_e32 vcc, 1, v3
	v_add_u32_e32 v66, v62, v43
	v_add_u32_e32 v57, v66, v57
	v_cndmask_b32_e32 v2, v24, v2, vcc
	v_lshlrev_b32_e32 v2, 1, v2
	ds_write_b16 v2, v25
	v_sub_u32_e32 v2, v62, v68
	v_sub_u32_e32 v3, v9, v2
	v_and_b32_e32 v24, 1, v43
	v_add_u32_e32 v3, 7, v3
	v_cmp_eq_u32_e32 vcc, 1, v24
	v_and_b32_e32 v24, 1, v4
	v_lshrrev_b32_e32 v31, 8, v4
	v_cndmask_b32_e32 v2, v3, v2, vcc
	v_lshlrev_b32_e32 v2, 1, v2
	ds_write_b16_d16_hi v2, v25
	v_sub_u32_e32 v2, v66, v68
	v_sub_u32_e32 v3, v9, v2
	v_add_u32_e32 v3, 8, v3
	v_cmp_eq_u32_e32 vcc, 1, v24
	v_and_b32_e32 v24, 1, v31
	v_add_u32_e32 v58, v57, v58
	v_cndmask_b32_e32 v2, v3, v2, vcc
	v_lshlrev_b32_e32 v2, 1, v2
	ds_write_b16 v2, v22
	v_sub_u32_e32 v2, v57, v68
	v_sub_u32_e32 v3, v9, v2
	v_add_u32_e32 v3, 9, v3
	v_cmp_eq_u32_e32 vcc, 1, v24
	v_and_b32_sdwa v4, v34, v4 dst_sel:DWORD dst_unused:UNUSED_PAD src0_sel:DWORD src1_sel:WORD_1
	v_add_u32_e32 v59, v58, v59
	v_cndmask_b32_e32 v2, v3, v2, vcc
	v_lshlrev_b32_e32 v2, 1, v2
	ds_write_b16_d16_hi v2, v22
	v_sub_u32_e32 v2, v58, v68
	v_sub_u32_e32 v3, v9, v2
	v_add_u32_e32 v3, 10, v3
	v_cmp_eq_u32_e32 vcc, 1, v4
	v_and_b32_e32 v4, 1, v42
	v_add_u32_e32 v67, v59, v42
	v_cndmask_b32_e32 v2, v3, v2, vcc
	v_lshlrev_b32_e32 v2, 1, v2
	ds_write_b16 v2, v23
	v_sub_u32_e32 v2, v59, v68
	v_sub_u32_e32 v3, v9, v2
	v_add_u32_e32 v3, 11, v3
	v_cmp_eq_u32_e32 vcc, 1, v4
	v_and_b32_e32 v4, 1, v5
	v_add_u32_e32 v54, v67, v54
	v_cndmask_b32_e32 v2, v3, v2, vcc
	v_lshlrev_b32_e32 v2, 1, v2
	ds_write_b16_d16_hi v2, v23
	v_sub_u32_e32 v2, v67, v68
	v_sub_u32_e32 v3, v9, v2
	v_add_u32_e32 v3, 12, v3
	v_cmp_eq_u32_e32 vcc, 1, v4
	v_lshrrev_b32_e32 v30, 8, v5
	v_and_b32_e32 v4, 1, v30
	v_cndmask_b32_e32 v2, v3, v2, vcc
	v_lshlrev_b32_e32 v2, 1, v2
	ds_write_b16 v2, v20
	v_sub_u32_e32 v2, v54, v68
	v_sub_u32_e32 v3, v9, v2
	v_add_u32_e32 v3, 13, v3
	v_cmp_eq_u32_e32 vcc, 1, v4
	v_add_u32_e32 v55, v54, v55
	v_and_b32_sdwa v4, v34, v5 dst_sel:DWORD dst_unused:UNUSED_PAD src0_sel:DWORD src1_sel:WORD_1
	v_cndmask_b32_e32 v2, v3, v2, vcc
	v_lshlrev_b32_e32 v2, 1, v2
	ds_write_b16_d16_hi v2, v20
	v_sub_u32_e32 v2, v55, v68
	v_sub_u32_e32 v3, v9, v2
	v_add_u32_e32 v3, 14, v3
	v_cmp_eq_u32_e32 vcc, 1, v4
	v_add_u32_e32 v56, v55, v56
	v_and_b32_e32 v4, 1, v41
	v_cndmask_b32_e32 v2, v3, v2, vcc
	v_lshlrev_b32_e32 v2, 1, v2
	ds_write_b16 v2, v21
	v_sub_u32_e32 v2, v56, v68
	v_sub_u32_e32 v3, v9, v2
	v_add_u32_e32 v3, 15, v3
	v_cmp_eq_u32_e32 vcc, 1, v4
	v_add_u32_e32 v69, v56, v41
	v_and_b32_e32 v4, 1, v6
	v_cndmask_b32_e32 v2, v3, v2, vcc
	v_lshlrev_b32_e32 v2, 1, v2
	ds_write_b16_d16_hi v2, v21
	v_sub_u32_e32 v2, v69, v68
	v_sub_u32_e32 v3, v9, v2
	v_add_u32_e32 v3, 16, v3
	v_cmp_eq_u32_e32 vcc, 1, v4
	v_add_u32_e32 v51, v69, v51
	v_lshrrev_b32_e32 v29, 8, v6
	v_cndmask_b32_e32 v2, v3, v2, vcc
	v_lshlrev_b32_e32 v2, 1, v2
	ds_write_b16 v2, v18
	v_sub_u32_e32 v2, v51, v68
	v_sub_u32_e32 v3, v9, v2
	v_and_b32_e32 v4, 1, v29
	v_add_u32_e32 v3, 17, v3
	v_cmp_eq_u32_e32 vcc, 1, v4
	v_add_u32_e32 v52, v51, v52
	v_and_b32_sdwa v4, v34, v6 dst_sel:DWORD dst_unused:UNUSED_PAD src0_sel:DWORD src1_sel:WORD_1
	v_cndmask_b32_e32 v2, v3, v2, vcc
	v_lshlrev_b32_e32 v2, 1, v2
	ds_write_b16_d16_hi v2, v18
	v_sub_u32_e32 v2, v52, v68
	v_sub_u32_e32 v3, v9, v2
	v_add_u32_e32 v3, 18, v3
	v_cmp_eq_u32_e32 vcc, 1, v4
	v_add_u32_e32 v53, v52, v53
	v_and_b32_e32 v4, 1, v40
	v_cndmask_b32_e32 v2, v3, v2, vcc
	v_lshlrev_b32_e32 v2, 1, v2
	ds_write_b16 v2, v19
	v_sub_u32_e32 v2, v53, v68
	v_sub_u32_e32 v3, v9, v2
	v_add_u32_e32 v3, 19, v3
	v_cmp_eq_u32_e32 vcc, 1, v4
	v_add_u32_e32 v70, v53, v40
	v_and_b32_e32 v4, 1, v7
	v_cndmask_b32_e32 v2, v3, v2, vcc
	v_lshlrev_b32_e32 v2, 1, v2
	ds_write_b16_d16_hi v2, v19
	v_sub_u32_e32 v2, v70, v68
	v_sub_u32_e32 v3, v9, v2
	v_add_u32_e32 v3, 20, v3
	v_cmp_eq_u32_e32 vcc, 1, v4
	v_add_u32_e32 v48, v70, v48
	v_lshrrev_b32_e32 v28, 8, v7
	v_cndmask_b32_e32 v2, v3, v2, vcc
	v_lshlrev_b32_e32 v2, 1, v2
	ds_write_b16 v2, v16
	v_sub_u32_e32 v2, v48, v68
	v_sub_u32_e32 v3, v9, v2
	v_and_b32_e32 v4, 1, v28
	;; [unrolled: 37-line block ×3, first 2 shown]
	v_add_u32_e32 v3, 25, v3
	v_cmp_eq_u32_e32 vcc, 1, v4
	v_add_u32_e32 v46, v45, v46
	v_and_b32_sdwa v4, v34, v8 dst_sel:DWORD dst_unused:UNUSED_PAD src0_sel:DWORD src1_sel:WORD_1
	v_cndmask_b32_e32 v2, v3, v2, vcc
	v_lshlrev_b32_e32 v2, 1, v2
	ds_write_b16_d16_hi v2, v14
	v_sub_u32_e32 v2, v46, v68
	v_sub_u32_e32 v3, v9, v2
	v_add_u32_e32 v3, 26, v3
	v_cmp_eq_u32_e32 vcc, 1, v4
	v_add_u32_e32 v47, v46, v47
	v_and_b32_e32 v4, 1, v37
	v_cndmask_b32_e32 v2, v3, v2, vcc
	v_lshlrev_b32_e32 v2, 1, v2
	ds_write_b16 v2, v15
	v_sub_u32_e32 v2, v47, v68
	v_sub_u32_e32 v3, v9, v2
	v_add_u32_e32 v3, 27, v3
	v_cmp_eq_u32_e32 vcc, 1, v4
	v_add_u32_e32 v72, v47, v37
	v_and_b32_e32 v4, 1, v36
	v_cndmask_b32_e32 v2, v3, v2, vcc
	v_lshlrev_b32_e32 v2, 1, v2
	ds_write_b16_d16_hi v2, v15
	v_sub_u32_e32 v2, v72, v68
	v_sub_u32_e32 v3, v9, v2
	v_add_u32_e32 v3, 28, v3
	v_cmp_eq_u32_e32 vcc, 1, v4
	v_and_b32_e32 v4, 1, v13
	s_add_u32 s0, s26, s24
	v_cndmask_b32_e32 v2, v3, v2, vcc
	v_lshlrev_b32_e32 v2, 1, v2
	ds_write_b16 v2, v1
	v_sub_u32_e32 v2, v38, v68
	v_add_u32_e32 v2, v72, v2
	v_sub_u32_e32 v3, v9, v2
	v_add_u32_e32 v3, 29, v3
	v_cmp_eq_u32_e32 vcc, 1, v4
	s_addc_u32 s1, s27, 0
	s_sub_u32 s0, s28, s0
	v_cndmask_b32_e32 v2, v3, v2, vcc
	v_lshlrev_b32_e32 v2, 1, v2
	ds_write_b16_d16_hi v2, v1
	s_waitcnt lgkmcnt(0)
	s_barrier
	ds_read_u16 v99, v12
	ds_read_u16 v98, v12 offset:1024
	ds_read_u16 v97, v12 offset:2048
	;; [unrolled: 1-line block ×29, first 2 shown]
	v_mov_b32_e32 v1, 0
	v_mov_b32_e32 v69, v1
	;; [unrolled: 1-line block ×3, first 2 shown]
	s_subb_u32 s1, s29, s1
	v_lshl_add_u64 v[2:3], s[30:31], 0, v[68:69]
	v_lshl_add_u64 v[6:7], s[0:1], 0, v[10:11]
	v_or_b32_e32 v66, 0x200, v0
	v_mov_b32_e32 v67, v1
	v_or_b32_e32 v64, 0x400, v0
	v_mov_b32_e32 v65, v1
	;; [unrolled: 2-line block ×29, first 2 shown]
	s_andn2_b64 vcc, exec, s[34:35]
	v_lshl_add_u64 v[6:7], v[6:7], 0, v[2:3]
	s_cbranch_vccnz .LBB562_291
; %bb.170:
	v_cmp_ge_u32_e32 vcc, v0, v10
                                        ; implicit-def: $vgpr12_vgpr13
	s_and_saveexec_b64 s[0:1], vcc
	s_xor_b64 s[0:1], exec, s[0:1]
; %bb.171:
	v_not_b32_e32 v12, v0
	v_ashrrev_i32_e32 v13, 31, v12
	v_lshl_add_u64 v[12:13], v[6:7], 0, v[12:13]
; %bb.172:
	s_andn2_saveexec_b64 s[0:1], s[0:1]
; %bb.173:
	v_lshl_add_u64 v[12:13], v[2:3], 0, v[0:1]
; %bb.174:
	s_or_b64 exec, exec, s[0:1]
	v_lshl_add_u64 v[12:13], v[12:13], 1, s[2:3]
	v_cmp_ge_u32_e32 vcc, v66, v10
	s_waitcnt lgkmcnt(14)
	global_store_short v[12:13], v99, off
                                        ; implicit-def: $vgpr12_vgpr13
	s_and_saveexec_b64 s[0:1], vcc
	s_xor_b64 s[0:1], exec, s[0:1]
; %bb.175:
	v_xor_b32_e32 v12, 0xfffffdff, v0
	v_ashrrev_i32_e32 v13, 31, v12
	v_lshl_add_u64 v[12:13], v[6:7], 0, v[12:13]
; %bb.176:
	s_andn2_saveexec_b64 s[0:1], s[0:1]
; %bb.177:
	v_lshl_add_u64 v[12:13], v[2:3], 0, v[66:67]
; %bb.178:
	s_or_b64 exec, exec, s[0:1]
	v_lshl_add_u64 v[12:13], v[12:13], 1, s[2:3]
	v_cmp_ge_u32_e32 vcc, v64, v10
	global_store_short v[12:13], v98, off
                                        ; implicit-def: $vgpr12_vgpr13
	s_and_saveexec_b64 s[0:1], vcc
	s_xor_b64 s[0:1], exec, s[0:1]
; %bb.179:
	v_xor_b32_e32 v12, 0xfffffbff, v0
	v_ashrrev_i32_e32 v13, 31, v12
	v_lshl_add_u64 v[12:13], v[6:7], 0, v[12:13]
; %bb.180:
	s_andn2_saveexec_b64 s[0:1], s[0:1]
; %bb.181:
	v_lshl_add_u64 v[12:13], v[2:3], 0, v[64:65]
; %bb.182:
	s_or_b64 exec, exec, s[0:1]
	v_lshl_add_u64 v[12:13], v[12:13], 1, s[2:3]
	v_cmp_ge_u32_e32 vcc, v62, v10
	;; [unrolled: 16-line block ×16, first 2 shown]
	s_waitcnt lgkmcnt(13)
	global_store_short v[12:13], v83, off
                                        ; implicit-def: $vgpr12_vgpr13
	s_and_saveexec_b64 s[0:1], vcc
	s_xor_b64 s[0:1], exec, s[0:1]
; %bb.239:
	v_xor_b32_e32 v12, 0xffffddff, v0
	v_ashrrev_i32_e32 v13, 31, v12
	v_lshl_add_u64 v[12:13], v[6:7], 0, v[12:13]
; %bb.240:
	s_andn2_saveexec_b64 s[0:1], s[0:1]
; %bb.241:
	v_lshl_add_u64 v[12:13], v[2:3], 0, v[34:35]
; %bb.242:
	s_or_b64 exec, exec, s[0:1]
	v_lshl_add_u64 v[12:13], v[12:13], 1, s[2:3]
	v_cmp_ge_u32_e32 vcc, v32, v10
	s_waitcnt lgkmcnt(12)
	global_store_short v[12:13], v82, off
                                        ; implicit-def: $vgpr12_vgpr13
	s_and_saveexec_b64 s[0:1], vcc
	s_xor_b64 s[0:1], exec, s[0:1]
; %bb.243:
	v_xor_b32_e32 v12, 0xffffdbff, v0
	v_ashrrev_i32_e32 v13, 31, v12
	v_lshl_add_u64 v[12:13], v[6:7], 0, v[12:13]
; %bb.244:
	s_andn2_saveexec_b64 s[0:1], s[0:1]
; %bb.245:
	v_lshl_add_u64 v[12:13], v[2:3], 0, v[32:33]
; %bb.246:
	s_or_b64 exec, exec, s[0:1]
	v_lshl_add_u64 v[12:13], v[12:13], 1, s[2:3]
	v_cmp_ge_u32_e32 vcc, v30, v10
	;; [unrolled: 17-line block ×12, first 2 shown]
	s_waitcnt lgkmcnt(1)
	global_store_short v[12:13], v71, off
                                        ; implicit-def: $vgpr12_vgpr13
	s_and_saveexec_b64 s[0:1], vcc
	s_xor_b64 s[0:1], exec, s[0:1]
; %bb.287:
	v_xor_b32_e32 v12, 0xffffc5ff, v0
	v_ashrrev_i32_e32 v13, 31, v12
	v_lshl_add_u64 v[12:13], v[6:7], 0, v[12:13]
; %bb.288:
	s_andn2_saveexec_b64 s[0:1], s[0:1]
; %bb.289:
	v_lshl_add_u64 v[12:13], v[2:3], 0, v[4:5]
; %bb.290:
	s_or_b64 exec, exec, s[0:1]
	s_mov_b64 s[0:1], -1
	s_branch .LBB562_473
.LBB562_291:
	s_mov_b64 s[0:1], 0
                                        ; implicit-def: $vgpr12_vgpr13
	s_cbranch_execz .LBB562_473
; %bb.292:
	v_cmp_gt_u32_e32 vcc, s33, v0
	s_and_saveexec_b64 s[4:5], vcc
	s_cbranch_execz .LBB562_378
; %bb.293:
	v_cmp_ge_u32_e32 vcc, v0, v10
                                        ; implicit-def: $vgpr12_vgpr13
	s_and_saveexec_b64 s[6:7], vcc
	s_xor_b64 s[6:7], exec, s[6:7]
; %bb.294:
	v_not_b32_e32 v12, v0
	v_ashrrev_i32_e32 v13, 31, v12
	v_lshl_add_u64 v[12:13], v[6:7], 0, v[12:13]
; %bb.295:
	s_andn2_saveexec_b64 s[6:7], s[6:7]
; %bb.296:
	v_lshl_add_u64 v[12:13], v[2:3], 0, v[0:1]
; %bb.297:
	s_or_b64 exec, exec, s[6:7]
	v_lshl_add_u64 v[12:13], v[12:13], 1, s[2:3]
	s_waitcnt lgkmcnt(14)
	global_store_short v[12:13], v99, off
	s_or_b64 exec, exec, s[4:5]
	v_cmp_gt_u32_e32 vcc, s33, v66
	s_and_saveexec_b64 s[4:5], vcc
	s_cbranch_execnz .LBB562_379
.LBB562_298:
	s_or_b64 exec, exec, s[4:5]
	v_cmp_gt_u32_e32 vcc, s33, v64
	s_and_saveexec_b64 s[4:5], vcc
	s_cbranch_execz .LBB562_384
.LBB562_299:
	v_cmp_ge_u32_e32 vcc, v64, v10
                                        ; implicit-def: $vgpr12_vgpr13
	s_and_saveexec_b64 s[6:7], vcc
	s_xor_b64 s[6:7], exec, s[6:7]
; %bb.300:
	v_xor_b32_e32 v12, 0xfffffbff, v0
	v_ashrrev_i32_e32 v13, 31, v12
	v_lshl_add_u64 v[12:13], v[6:7], 0, v[12:13]
                                        ; implicit-def: $vgpr64_vgpr65
; %bb.301:
	s_andn2_saveexec_b64 s[6:7], s[6:7]
; %bb.302:
	v_lshl_add_u64 v[12:13], v[2:3], 0, v[64:65]
; %bb.303:
	s_or_b64 exec, exec, s[6:7]
	v_lshl_add_u64 v[12:13], v[12:13], 1, s[2:3]
	s_waitcnt lgkmcnt(14)
	global_store_short v[12:13], v97, off
	s_or_b64 exec, exec, s[4:5]
	v_cmp_gt_u32_e32 vcc, s33, v62
	s_and_saveexec_b64 s[4:5], vcc
	s_cbranch_execnz .LBB562_385
.LBB562_304:
	s_or_b64 exec, exec, s[4:5]
	v_cmp_gt_u32_e32 vcc, s33, v60
	s_and_saveexec_b64 s[4:5], vcc
	s_cbranch_execz .LBB562_390
.LBB562_305:
	v_cmp_ge_u32_e32 vcc, v60, v10
                                        ; implicit-def: $vgpr12_vgpr13
	s_and_saveexec_b64 s[6:7], vcc
	s_xor_b64 s[6:7], exec, s[6:7]
; %bb.306:
	v_xor_b32_e32 v12, 0xfffff7ff, v0
	v_ashrrev_i32_e32 v13, 31, v12
	v_lshl_add_u64 v[12:13], v[6:7], 0, v[12:13]
                                        ; implicit-def: $vgpr60_vgpr61
; %bb.307:
	s_andn2_saveexec_b64 s[6:7], s[6:7]
; %bb.308:
	v_lshl_add_u64 v[12:13], v[2:3], 0, v[60:61]
; %bb.309:
	s_or_b64 exec, exec, s[6:7]
	v_lshl_add_u64 v[12:13], v[12:13], 1, s[2:3]
	s_waitcnt lgkmcnt(14)
	global_store_short v[12:13], v95, off
	s_or_b64 exec, exec, s[4:5]
	v_cmp_gt_u32_e32 vcc, s33, v58
	s_and_saveexec_b64 s[4:5], vcc
	s_cbranch_execnz .LBB562_391
.LBB562_310:
	s_or_b64 exec, exec, s[4:5]
	v_cmp_gt_u32_e32 vcc, s33, v56
	s_and_saveexec_b64 s[4:5], vcc
	s_cbranch_execz .LBB562_396
.LBB562_311:
	v_cmp_ge_u32_e32 vcc, v56, v10
                                        ; implicit-def: $vgpr12_vgpr13
	s_and_saveexec_b64 s[6:7], vcc
	s_xor_b64 s[6:7], exec, s[6:7]
; %bb.312:
	v_xor_b32_e32 v12, 0xfffff3ff, v0
	v_ashrrev_i32_e32 v13, 31, v12
	v_lshl_add_u64 v[12:13], v[6:7], 0, v[12:13]
                                        ; implicit-def: $vgpr56_vgpr57
; %bb.313:
	s_andn2_saveexec_b64 s[6:7], s[6:7]
; %bb.314:
	v_lshl_add_u64 v[12:13], v[2:3], 0, v[56:57]
; %bb.315:
	s_or_b64 exec, exec, s[6:7]
	v_lshl_add_u64 v[12:13], v[12:13], 1, s[2:3]
	s_waitcnt lgkmcnt(14)
	global_store_short v[12:13], v93, off
	s_or_b64 exec, exec, s[4:5]
	v_cmp_gt_u32_e32 vcc, s33, v54
	s_and_saveexec_b64 s[4:5], vcc
	s_cbranch_execnz .LBB562_397
.LBB562_316:
	s_or_b64 exec, exec, s[4:5]
	v_cmp_gt_u32_e32 vcc, s33, v52
	s_and_saveexec_b64 s[4:5], vcc
	s_cbranch_execz .LBB562_402
.LBB562_317:
	v_cmp_ge_u32_e32 vcc, v52, v10
                                        ; implicit-def: $vgpr12_vgpr13
	s_and_saveexec_b64 s[6:7], vcc
	s_xor_b64 s[6:7], exec, s[6:7]
; %bb.318:
	v_xor_b32_e32 v12, 0xffffefff, v0
	v_ashrrev_i32_e32 v13, 31, v12
	v_lshl_add_u64 v[12:13], v[6:7], 0, v[12:13]
                                        ; implicit-def: $vgpr52_vgpr53
; %bb.319:
	s_andn2_saveexec_b64 s[6:7], s[6:7]
; %bb.320:
	v_lshl_add_u64 v[12:13], v[2:3], 0, v[52:53]
; %bb.321:
	s_or_b64 exec, exec, s[6:7]
	v_lshl_add_u64 v[12:13], v[12:13], 1, s[2:3]
	s_waitcnt lgkmcnt(14)
	global_store_short v[12:13], v91, off
	s_or_b64 exec, exec, s[4:5]
	v_cmp_gt_u32_e32 vcc, s33, v50
	s_and_saveexec_b64 s[4:5], vcc
	s_cbranch_execnz .LBB562_403
.LBB562_322:
	s_or_b64 exec, exec, s[4:5]
	v_cmp_gt_u32_e32 vcc, s33, v48
	s_and_saveexec_b64 s[4:5], vcc
	s_cbranch_execz .LBB562_408
.LBB562_323:
	v_cmp_ge_u32_e32 vcc, v48, v10
                                        ; implicit-def: $vgpr12_vgpr13
	s_and_saveexec_b64 s[6:7], vcc
	s_xor_b64 s[6:7], exec, s[6:7]
; %bb.324:
	v_xor_b32_e32 v12, 0xffffebff, v0
	v_ashrrev_i32_e32 v13, 31, v12
	v_lshl_add_u64 v[12:13], v[6:7], 0, v[12:13]
                                        ; implicit-def: $vgpr48_vgpr49
; %bb.325:
	s_andn2_saveexec_b64 s[6:7], s[6:7]
; %bb.326:
	v_lshl_add_u64 v[12:13], v[2:3], 0, v[48:49]
; %bb.327:
	s_or_b64 exec, exec, s[6:7]
	v_lshl_add_u64 v[12:13], v[12:13], 1, s[2:3]
	s_waitcnt lgkmcnt(14)
	global_store_short v[12:13], v89, off
	s_or_b64 exec, exec, s[4:5]
	v_cmp_gt_u32_e32 vcc, s33, v46
	s_and_saveexec_b64 s[4:5], vcc
	s_cbranch_execnz .LBB562_409
.LBB562_328:
	s_or_b64 exec, exec, s[4:5]
	v_cmp_gt_u32_e32 vcc, s33, v44
	s_and_saveexec_b64 s[4:5], vcc
	s_cbranch_execz .LBB562_414
.LBB562_329:
	v_cmp_ge_u32_e32 vcc, v44, v10
                                        ; implicit-def: $vgpr12_vgpr13
	s_and_saveexec_b64 s[6:7], vcc
	s_xor_b64 s[6:7], exec, s[6:7]
; %bb.330:
	v_xor_b32_e32 v12, 0xffffe7ff, v0
	v_ashrrev_i32_e32 v13, 31, v12
	v_lshl_add_u64 v[12:13], v[6:7], 0, v[12:13]
                                        ; implicit-def: $vgpr44_vgpr45
; %bb.331:
	s_andn2_saveexec_b64 s[6:7], s[6:7]
; %bb.332:
	v_lshl_add_u64 v[12:13], v[2:3], 0, v[44:45]
; %bb.333:
	s_or_b64 exec, exec, s[6:7]
	v_lshl_add_u64 v[12:13], v[12:13], 1, s[2:3]
	s_waitcnt lgkmcnt(14)
	global_store_short v[12:13], v87, off
	s_or_b64 exec, exec, s[4:5]
	v_cmp_gt_u32_e32 vcc, s33, v42
	s_and_saveexec_b64 s[4:5], vcc
	s_cbranch_execnz .LBB562_415
.LBB562_334:
	s_or_b64 exec, exec, s[4:5]
	v_cmp_gt_u32_e32 vcc, s33, v40
	s_and_saveexec_b64 s[4:5], vcc
	s_cbranch_execz .LBB562_420
.LBB562_335:
	v_cmp_ge_u32_e32 vcc, v40, v10
                                        ; implicit-def: $vgpr12_vgpr13
	s_and_saveexec_b64 s[6:7], vcc
	s_xor_b64 s[6:7], exec, s[6:7]
; %bb.336:
	v_xor_b32_e32 v12, 0xffffe3ff, v0
	v_ashrrev_i32_e32 v13, 31, v12
	v_lshl_add_u64 v[12:13], v[6:7], 0, v[12:13]
                                        ; implicit-def: $vgpr40_vgpr41
; %bb.337:
	s_andn2_saveexec_b64 s[6:7], s[6:7]
; %bb.338:
	v_lshl_add_u64 v[12:13], v[2:3], 0, v[40:41]
; %bb.339:
	s_or_b64 exec, exec, s[6:7]
	v_lshl_add_u64 v[12:13], v[12:13], 1, s[2:3]
	s_waitcnt lgkmcnt(14)
	global_store_short v[12:13], v85, off
	s_or_b64 exec, exec, s[4:5]
	v_cmp_gt_u32_e32 vcc, s33, v38
	s_and_saveexec_b64 s[4:5], vcc
	s_cbranch_execnz .LBB562_421
.LBB562_340:
	s_or_b64 exec, exec, s[4:5]
	v_cmp_gt_u32_e32 vcc, s33, v36
	s_and_saveexec_b64 s[4:5], vcc
	s_cbranch_execz .LBB562_426
.LBB562_341:
	v_cmp_ge_u32_e32 vcc, v36, v10
                                        ; implicit-def: $vgpr12_vgpr13
	s_and_saveexec_b64 s[6:7], vcc
	s_xor_b64 s[6:7], exec, s[6:7]
; %bb.342:
	v_xor_b32_e32 v12, 0xffffdfff, v0
	v_ashrrev_i32_e32 v13, 31, v12
	v_lshl_add_u64 v[12:13], v[6:7], 0, v[12:13]
                                        ; implicit-def: $vgpr36_vgpr37
; %bb.343:
	s_andn2_saveexec_b64 s[6:7], s[6:7]
; %bb.344:
	v_lshl_add_u64 v[12:13], v[2:3], 0, v[36:37]
; %bb.345:
	s_or_b64 exec, exec, s[6:7]
	v_lshl_add_u64 v[12:13], v[12:13], 1, s[2:3]
	s_waitcnt lgkmcnt(13)
	global_store_short v[12:13], v83, off
	s_or_b64 exec, exec, s[4:5]
	v_cmp_gt_u32_e32 vcc, s33, v34
	s_and_saveexec_b64 s[4:5], vcc
	s_cbranch_execnz .LBB562_427
.LBB562_346:
	s_or_b64 exec, exec, s[4:5]
	v_cmp_gt_u32_e32 vcc, s33, v32
	s_and_saveexec_b64 s[4:5], vcc
	s_cbranch_execz .LBB562_432
.LBB562_347:
	v_cmp_ge_u32_e32 vcc, v32, v10
                                        ; implicit-def: $vgpr12_vgpr13
	s_and_saveexec_b64 s[6:7], vcc
	s_xor_b64 s[6:7], exec, s[6:7]
; %bb.348:
	v_xor_b32_e32 v12, 0xffffdbff, v0
	v_ashrrev_i32_e32 v13, 31, v12
	v_lshl_add_u64 v[12:13], v[6:7], 0, v[12:13]
                                        ; implicit-def: $vgpr32_vgpr33
; %bb.349:
	s_andn2_saveexec_b64 s[6:7], s[6:7]
; %bb.350:
	v_lshl_add_u64 v[12:13], v[2:3], 0, v[32:33]
; %bb.351:
	s_or_b64 exec, exec, s[6:7]
	v_lshl_add_u64 v[12:13], v[12:13], 1, s[2:3]
	s_waitcnt lgkmcnt(11)
	global_store_short v[12:13], v81, off
	s_or_b64 exec, exec, s[4:5]
	v_cmp_gt_u32_e32 vcc, s33, v30
	s_and_saveexec_b64 s[4:5], vcc
	s_cbranch_execnz .LBB562_433
.LBB562_352:
	s_or_b64 exec, exec, s[4:5]
	v_cmp_gt_u32_e32 vcc, s33, v28
	s_and_saveexec_b64 s[4:5], vcc
	s_cbranch_execz .LBB562_438
.LBB562_353:
	v_cmp_ge_u32_e32 vcc, v28, v10
                                        ; implicit-def: $vgpr12_vgpr13
	s_and_saveexec_b64 s[6:7], vcc
	s_xor_b64 s[6:7], exec, s[6:7]
; %bb.354:
	v_xor_b32_e32 v12, 0xffffd7ff, v0
	v_ashrrev_i32_e32 v13, 31, v12
	v_lshl_add_u64 v[12:13], v[6:7], 0, v[12:13]
                                        ; implicit-def: $vgpr28_vgpr29
; %bb.355:
	s_andn2_saveexec_b64 s[6:7], s[6:7]
; %bb.356:
	v_lshl_add_u64 v[12:13], v[2:3], 0, v[28:29]
; %bb.357:
	s_or_b64 exec, exec, s[6:7]
	v_lshl_add_u64 v[12:13], v[12:13], 1, s[2:3]
	s_waitcnt lgkmcnt(9)
	global_store_short v[12:13], v79, off
	s_or_b64 exec, exec, s[4:5]
	v_cmp_gt_u32_e32 vcc, s33, v26
	s_and_saveexec_b64 s[4:5], vcc
	s_cbranch_execnz .LBB562_439
.LBB562_358:
	s_or_b64 exec, exec, s[4:5]
	v_cmp_gt_u32_e32 vcc, s33, v24
	s_and_saveexec_b64 s[4:5], vcc
	s_cbranch_execz .LBB562_444
.LBB562_359:
	v_cmp_ge_u32_e32 vcc, v24, v10
                                        ; implicit-def: $vgpr12_vgpr13
	s_and_saveexec_b64 s[6:7], vcc
	s_xor_b64 s[6:7], exec, s[6:7]
; %bb.360:
	v_xor_b32_e32 v12, 0xffffd3ff, v0
	v_ashrrev_i32_e32 v13, 31, v12
	v_lshl_add_u64 v[12:13], v[6:7], 0, v[12:13]
                                        ; implicit-def: $vgpr24_vgpr25
; %bb.361:
	s_andn2_saveexec_b64 s[6:7], s[6:7]
; %bb.362:
	v_lshl_add_u64 v[12:13], v[2:3], 0, v[24:25]
; %bb.363:
	s_or_b64 exec, exec, s[6:7]
	v_lshl_add_u64 v[12:13], v[12:13], 1, s[2:3]
	s_waitcnt lgkmcnt(7)
	global_store_short v[12:13], v77, off
	s_or_b64 exec, exec, s[4:5]
	v_cmp_gt_u32_e32 vcc, s33, v22
	s_and_saveexec_b64 s[4:5], vcc
	s_cbranch_execnz .LBB562_445
.LBB562_364:
	s_or_b64 exec, exec, s[4:5]
	v_cmp_gt_u32_e32 vcc, s33, v20
	s_and_saveexec_b64 s[4:5], vcc
	s_cbranch_execz .LBB562_450
.LBB562_365:
	v_cmp_ge_u32_e32 vcc, v20, v10
                                        ; implicit-def: $vgpr12_vgpr13
	s_and_saveexec_b64 s[6:7], vcc
	s_xor_b64 s[6:7], exec, s[6:7]
; %bb.366:
	v_xor_b32_e32 v12, 0xffffcfff, v0
	v_ashrrev_i32_e32 v13, 31, v12
	v_lshl_add_u64 v[12:13], v[6:7], 0, v[12:13]
                                        ; implicit-def: $vgpr20_vgpr21
; %bb.367:
	s_andn2_saveexec_b64 s[6:7], s[6:7]
; %bb.368:
	v_lshl_add_u64 v[12:13], v[2:3], 0, v[20:21]
; %bb.369:
	s_or_b64 exec, exec, s[6:7]
	v_lshl_add_u64 v[12:13], v[12:13], 1, s[2:3]
	s_waitcnt lgkmcnt(5)
	global_store_short v[12:13], v75, off
	s_or_b64 exec, exec, s[4:5]
	v_cmp_gt_u32_e32 vcc, s33, v18
	s_and_saveexec_b64 s[4:5], vcc
	s_cbranch_execnz .LBB562_451
.LBB562_370:
	s_or_b64 exec, exec, s[4:5]
	v_cmp_gt_u32_e32 vcc, s33, v16
	s_and_saveexec_b64 s[4:5], vcc
	s_cbranch_execz .LBB562_456
.LBB562_371:
	v_cmp_ge_u32_e32 vcc, v16, v10
                                        ; implicit-def: $vgpr12_vgpr13
	s_and_saveexec_b64 s[6:7], vcc
	s_xor_b64 s[6:7], exec, s[6:7]
; %bb.372:
	v_xor_b32_e32 v12, 0xffffcbff, v0
	v_ashrrev_i32_e32 v13, 31, v12
	v_lshl_add_u64 v[12:13], v[6:7], 0, v[12:13]
                                        ; implicit-def: $vgpr16_vgpr17
; %bb.373:
	s_andn2_saveexec_b64 s[6:7], s[6:7]
; %bb.374:
	v_lshl_add_u64 v[12:13], v[2:3], 0, v[16:17]
; %bb.375:
	s_or_b64 exec, exec, s[6:7]
	v_lshl_add_u64 v[12:13], v[12:13], 1, s[2:3]
	s_waitcnt lgkmcnt(3)
	global_store_short v[12:13], v73, off
	s_or_b64 exec, exec, s[4:5]
	v_cmp_gt_u32_e32 vcc, s33, v14
	s_and_saveexec_b64 s[4:5], vcc
	s_cbranch_execnz .LBB562_457
.LBB562_376:
	s_or_b64 exec, exec, s[4:5]
	v_cmp_gt_u32_e32 vcc, s33, v8
	s_and_saveexec_b64 s[4:5], vcc
	s_cbranch_execnz .LBB562_462
.LBB562_377:
	s_or_b64 exec, exec, s[4:5]
	v_cmp_gt_u32_e32 vcc, s33, v4
                                        ; implicit-def: $vgpr12_vgpr13
	s_and_saveexec_b64 s[4:5], vcc
	s_cbranch_execz .LBB562_472
	s_branch .LBB562_467
.LBB562_378:
	s_or_b64 exec, exec, s[4:5]
	v_cmp_gt_u32_e32 vcc, s33, v66
	s_and_saveexec_b64 s[4:5], vcc
	s_cbranch_execz .LBB562_298
.LBB562_379:
	v_cmp_ge_u32_e32 vcc, v66, v10
                                        ; implicit-def: $vgpr12_vgpr13
	s_and_saveexec_b64 s[6:7], vcc
	s_xor_b64 s[6:7], exec, s[6:7]
; %bb.380:
	v_xor_b32_e32 v12, 0xfffffdff, v0
	v_ashrrev_i32_e32 v13, 31, v12
	v_lshl_add_u64 v[12:13], v[6:7], 0, v[12:13]
                                        ; implicit-def: $vgpr66_vgpr67
; %bb.381:
	s_andn2_saveexec_b64 s[6:7], s[6:7]
; %bb.382:
	v_lshl_add_u64 v[12:13], v[2:3], 0, v[66:67]
; %bb.383:
	s_or_b64 exec, exec, s[6:7]
	v_lshl_add_u64 v[12:13], v[12:13], 1, s[2:3]
	s_waitcnt lgkmcnt(14)
	global_store_short v[12:13], v98, off
	s_or_b64 exec, exec, s[4:5]
	v_cmp_gt_u32_e32 vcc, s33, v64
	s_and_saveexec_b64 s[4:5], vcc
	s_cbranch_execnz .LBB562_299
.LBB562_384:
	s_or_b64 exec, exec, s[4:5]
	v_cmp_gt_u32_e32 vcc, s33, v62
	s_and_saveexec_b64 s[4:5], vcc
	s_cbranch_execz .LBB562_304
.LBB562_385:
	v_cmp_ge_u32_e32 vcc, v62, v10
                                        ; implicit-def: $vgpr12_vgpr13
	s_and_saveexec_b64 s[6:7], vcc
	s_xor_b64 s[6:7], exec, s[6:7]
; %bb.386:
	v_xor_b32_e32 v12, 0xfffff9ff, v0
	v_ashrrev_i32_e32 v13, 31, v12
	v_lshl_add_u64 v[12:13], v[6:7], 0, v[12:13]
                                        ; implicit-def: $vgpr62_vgpr63
; %bb.387:
	s_andn2_saveexec_b64 s[6:7], s[6:7]
; %bb.388:
	v_lshl_add_u64 v[12:13], v[2:3], 0, v[62:63]
; %bb.389:
	s_or_b64 exec, exec, s[6:7]
	v_lshl_add_u64 v[12:13], v[12:13], 1, s[2:3]
	s_waitcnt lgkmcnt(14)
	global_store_short v[12:13], v96, off
	s_or_b64 exec, exec, s[4:5]
	v_cmp_gt_u32_e32 vcc, s33, v60
	s_and_saveexec_b64 s[4:5], vcc
	s_cbranch_execnz .LBB562_305
.LBB562_390:
	s_or_b64 exec, exec, s[4:5]
	v_cmp_gt_u32_e32 vcc, s33, v58
	s_and_saveexec_b64 s[4:5], vcc
	s_cbranch_execz .LBB562_310
.LBB562_391:
	v_cmp_ge_u32_e32 vcc, v58, v10
                                        ; implicit-def: $vgpr12_vgpr13
	s_and_saveexec_b64 s[6:7], vcc
	s_xor_b64 s[6:7], exec, s[6:7]
; %bb.392:
	v_xor_b32_e32 v12, 0xfffff5ff, v0
	v_ashrrev_i32_e32 v13, 31, v12
	v_lshl_add_u64 v[12:13], v[6:7], 0, v[12:13]
                                        ; implicit-def: $vgpr58_vgpr59
; %bb.393:
	s_andn2_saveexec_b64 s[6:7], s[6:7]
; %bb.394:
	v_lshl_add_u64 v[12:13], v[2:3], 0, v[58:59]
; %bb.395:
	s_or_b64 exec, exec, s[6:7]
	v_lshl_add_u64 v[12:13], v[12:13], 1, s[2:3]
	s_waitcnt lgkmcnt(14)
	global_store_short v[12:13], v94, off
	s_or_b64 exec, exec, s[4:5]
	v_cmp_gt_u32_e32 vcc, s33, v56
	s_and_saveexec_b64 s[4:5], vcc
	s_cbranch_execnz .LBB562_311
.LBB562_396:
	s_or_b64 exec, exec, s[4:5]
	v_cmp_gt_u32_e32 vcc, s33, v54
	s_and_saveexec_b64 s[4:5], vcc
	s_cbranch_execz .LBB562_316
.LBB562_397:
	v_cmp_ge_u32_e32 vcc, v54, v10
                                        ; implicit-def: $vgpr12_vgpr13
	s_and_saveexec_b64 s[6:7], vcc
	s_xor_b64 s[6:7], exec, s[6:7]
; %bb.398:
	v_xor_b32_e32 v12, 0xfffff1ff, v0
	v_ashrrev_i32_e32 v13, 31, v12
	v_lshl_add_u64 v[12:13], v[6:7], 0, v[12:13]
                                        ; implicit-def: $vgpr54_vgpr55
; %bb.399:
	s_andn2_saveexec_b64 s[6:7], s[6:7]
; %bb.400:
	v_lshl_add_u64 v[12:13], v[2:3], 0, v[54:55]
; %bb.401:
	s_or_b64 exec, exec, s[6:7]
	v_lshl_add_u64 v[12:13], v[12:13], 1, s[2:3]
	s_waitcnt lgkmcnt(14)
	global_store_short v[12:13], v92, off
	s_or_b64 exec, exec, s[4:5]
	v_cmp_gt_u32_e32 vcc, s33, v52
	s_and_saveexec_b64 s[4:5], vcc
	s_cbranch_execnz .LBB562_317
.LBB562_402:
	s_or_b64 exec, exec, s[4:5]
	v_cmp_gt_u32_e32 vcc, s33, v50
	s_and_saveexec_b64 s[4:5], vcc
	s_cbranch_execz .LBB562_322
.LBB562_403:
	v_cmp_ge_u32_e32 vcc, v50, v10
                                        ; implicit-def: $vgpr12_vgpr13
	s_and_saveexec_b64 s[6:7], vcc
	s_xor_b64 s[6:7], exec, s[6:7]
; %bb.404:
	v_xor_b32_e32 v12, 0xffffedff, v0
	v_ashrrev_i32_e32 v13, 31, v12
	v_lshl_add_u64 v[12:13], v[6:7], 0, v[12:13]
                                        ; implicit-def: $vgpr50_vgpr51
; %bb.405:
	s_andn2_saveexec_b64 s[6:7], s[6:7]
; %bb.406:
	v_lshl_add_u64 v[12:13], v[2:3], 0, v[50:51]
; %bb.407:
	s_or_b64 exec, exec, s[6:7]
	v_lshl_add_u64 v[12:13], v[12:13], 1, s[2:3]
	s_waitcnt lgkmcnt(14)
	global_store_short v[12:13], v90, off
	s_or_b64 exec, exec, s[4:5]
	v_cmp_gt_u32_e32 vcc, s33, v48
	s_and_saveexec_b64 s[4:5], vcc
	s_cbranch_execnz .LBB562_323
.LBB562_408:
	s_or_b64 exec, exec, s[4:5]
	v_cmp_gt_u32_e32 vcc, s33, v46
	s_and_saveexec_b64 s[4:5], vcc
	s_cbranch_execz .LBB562_328
.LBB562_409:
	v_cmp_ge_u32_e32 vcc, v46, v10
                                        ; implicit-def: $vgpr12_vgpr13
	s_and_saveexec_b64 s[6:7], vcc
	s_xor_b64 s[6:7], exec, s[6:7]
; %bb.410:
	v_xor_b32_e32 v12, 0xffffe9ff, v0
	v_ashrrev_i32_e32 v13, 31, v12
	v_lshl_add_u64 v[12:13], v[6:7], 0, v[12:13]
                                        ; implicit-def: $vgpr46_vgpr47
; %bb.411:
	s_andn2_saveexec_b64 s[6:7], s[6:7]
; %bb.412:
	v_lshl_add_u64 v[12:13], v[2:3], 0, v[46:47]
; %bb.413:
	s_or_b64 exec, exec, s[6:7]
	v_lshl_add_u64 v[12:13], v[12:13], 1, s[2:3]
	s_waitcnt lgkmcnt(14)
	global_store_short v[12:13], v88, off
	s_or_b64 exec, exec, s[4:5]
	v_cmp_gt_u32_e32 vcc, s33, v44
	s_and_saveexec_b64 s[4:5], vcc
	s_cbranch_execnz .LBB562_329
.LBB562_414:
	s_or_b64 exec, exec, s[4:5]
	v_cmp_gt_u32_e32 vcc, s33, v42
	s_and_saveexec_b64 s[4:5], vcc
	s_cbranch_execz .LBB562_334
.LBB562_415:
	v_cmp_ge_u32_e32 vcc, v42, v10
                                        ; implicit-def: $vgpr12_vgpr13
	s_and_saveexec_b64 s[6:7], vcc
	s_xor_b64 s[6:7], exec, s[6:7]
; %bb.416:
	v_xor_b32_e32 v12, 0xffffe5ff, v0
	v_ashrrev_i32_e32 v13, 31, v12
	v_lshl_add_u64 v[12:13], v[6:7], 0, v[12:13]
                                        ; implicit-def: $vgpr42_vgpr43
; %bb.417:
	s_andn2_saveexec_b64 s[6:7], s[6:7]
; %bb.418:
	v_lshl_add_u64 v[12:13], v[2:3], 0, v[42:43]
; %bb.419:
	s_or_b64 exec, exec, s[6:7]
	v_lshl_add_u64 v[12:13], v[12:13], 1, s[2:3]
	s_waitcnt lgkmcnt(14)
	global_store_short v[12:13], v86, off
	s_or_b64 exec, exec, s[4:5]
	v_cmp_gt_u32_e32 vcc, s33, v40
	s_and_saveexec_b64 s[4:5], vcc
	s_cbranch_execnz .LBB562_335
.LBB562_420:
	s_or_b64 exec, exec, s[4:5]
	v_cmp_gt_u32_e32 vcc, s33, v38
	s_and_saveexec_b64 s[4:5], vcc
	s_cbranch_execz .LBB562_340
.LBB562_421:
	v_cmp_ge_u32_e32 vcc, v38, v10
                                        ; implicit-def: $vgpr12_vgpr13
	s_and_saveexec_b64 s[6:7], vcc
	s_xor_b64 s[6:7], exec, s[6:7]
; %bb.422:
	v_xor_b32_e32 v12, 0xffffe1ff, v0
	v_ashrrev_i32_e32 v13, 31, v12
	v_lshl_add_u64 v[12:13], v[6:7], 0, v[12:13]
                                        ; implicit-def: $vgpr38_vgpr39
; %bb.423:
	s_andn2_saveexec_b64 s[6:7], s[6:7]
; %bb.424:
	v_lshl_add_u64 v[12:13], v[2:3], 0, v[38:39]
; %bb.425:
	s_or_b64 exec, exec, s[6:7]
	v_lshl_add_u64 v[12:13], v[12:13], 1, s[2:3]
	s_waitcnt lgkmcnt(14)
	global_store_short v[12:13], v84, off
	s_or_b64 exec, exec, s[4:5]
	v_cmp_gt_u32_e32 vcc, s33, v36
	s_and_saveexec_b64 s[4:5], vcc
	s_cbranch_execnz .LBB562_341
.LBB562_426:
	s_or_b64 exec, exec, s[4:5]
	v_cmp_gt_u32_e32 vcc, s33, v34
	s_and_saveexec_b64 s[4:5], vcc
	s_cbranch_execz .LBB562_346
.LBB562_427:
	v_cmp_ge_u32_e32 vcc, v34, v10
                                        ; implicit-def: $vgpr12_vgpr13
	s_and_saveexec_b64 s[6:7], vcc
	s_xor_b64 s[6:7], exec, s[6:7]
; %bb.428:
	v_xor_b32_e32 v12, 0xffffddff, v0
	v_ashrrev_i32_e32 v13, 31, v12
	v_lshl_add_u64 v[12:13], v[6:7], 0, v[12:13]
                                        ; implicit-def: $vgpr34_vgpr35
; %bb.429:
	s_andn2_saveexec_b64 s[6:7], s[6:7]
; %bb.430:
	v_lshl_add_u64 v[12:13], v[2:3], 0, v[34:35]
; %bb.431:
	s_or_b64 exec, exec, s[6:7]
	v_lshl_add_u64 v[12:13], v[12:13], 1, s[2:3]
	s_waitcnt lgkmcnt(12)
	global_store_short v[12:13], v82, off
	s_or_b64 exec, exec, s[4:5]
	v_cmp_gt_u32_e32 vcc, s33, v32
	s_and_saveexec_b64 s[4:5], vcc
	s_cbranch_execnz .LBB562_347
.LBB562_432:
	s_or_b64 exec, exec, s[4:5]
	v_cmp_gt_u32_e32 vcc, s33, v30
	s_and_saveexec_b64 s[4:5], vcc
	s_cbranch_execz .LBB562_352
.LBB562_433:
	v_cmp_ge_u32_e32 vcc, v30, v10
                                        ; implicit-def: $vgpr12_vgpr13
	s_and_saveexec_b64 s[6:7], vcc
	s_xor_b64 s[6:7], exec, s[6:7]
; %bb.434:
	v_xor_b32_e32 v12, 0xffffd9ff, v0
	v_ashrrev_i32_e32 v13, 31, v12
	v_lshl_add_u64 v[12:13], v[6:7], 0, v[12:13]
                                        ; implicit-def: $vgpr30_vgpr31
; %bb.435:
	s_andn2_saveexec_b64 s[6:7], s[6:7]
; %bb.436:
	v_lshl_add_u64 v[12:13], v[2:3], 0, v[30:31]
; %bb.437:
	s_or_b64 exec, exec, s[6:7]
	v_lshl_add_u64 v[12:13], v[12:13], 1, s[2:3]
	s_waitcnt lgkmcnt(10)
	global_store_short v[12:13], v80, off
	s_or_b64 exec, exec, s[4:5]
	v_cmp_gt_u32_e32 vcc, s33, v28
	s_and_saveexec_b64 s[4:5], vcc
	s_cbranch_execnz .LBB562_353
.LBB562_438:
	s_or_b64 exec, exec, s[4:5]
	v_cmp_gt_u32_e32 vcc, s33, v26
	s_and_saveexec_b64 s[4:5], vcc
	s_cbranch_execz .LBB562_358
.LBB562_439:
	v_cmp_ge_u32_e32 vcc, v26, v10
                                        ; implicit-def: $vgpr12_vgpr13
	s_and_saveexec_b64 s[6:7], vcc
	s_xor_b64 s[6:7], exec, s[6:7]
; %bb.440:
	v_xor_b32_e32 v12, 0xffffd5ff, v0
	v_ashrrev_i32_e32 v13, 31, v12
	v_lshl_add_u64 v[12:13], v[6:7], 0, v[12:13]
                                        ; implicit-def: $vgpr26_vgpr27
; %bb.441:
	s_andn2_saveexec_b64 s[6:7], s[6:7]
; %bb.442:
	v_lshl_add_u64 v[12:13], v[2:3], 0, v[26:27]
; %bb.443:
	s_or_b64 exec, exec, s[6:7]
	v_lshl_add_u64 v[12:13], v[12:13], 1, s[2:3]
	s_waitcnt lgkmcnt(8)
	global_store_short v[12:13], v78, off
	s_or_b64 exec, exec, s[4:5]
	v_cmp_gt_u32_e32 vcc, s33, v24
	s_and_saveexec_b64 s[4:5], vcc
	s_cbranch_execnz .LBB562_359
.LBB562_444:
	s_or_b64 exec, exec, s[4:5]
	v_cmp_gt_u32_e32 vcc, s33, v22
	s_and_saveexec_b64 s[4:5], vcc
	s_cbranch_execz .LBB562_364
.LBB562_445:
	v_cmp_ge_u32_e32 vcc, v22, v10
                                        ; implicit-def: $vgpr12_vgpr13
	s_and_saveexec_b64 s[6:7], vcc
	s_xor_b64 s[6:7], exec, s[6:7]
; %bb.446:
	v_xor_b32_e32 v12, 0xffffd1ff, v0
	v_ashrrev_i32_e32 v13, 31, v12
	v_lshl_add_u64 v[12:13], v[6:7], 0, v[12:13]
                                        ; implicit-def: $vgpr22_vgpr23
; %bb.447:
	s_andn2_saveexec_b64 s[6:7], s[6:7]
; %bb.448:
	v_lshl_add_u64 v[12:13], v[2:3], 0, v[22:23]
; %bb.449:
	s_or_b64 exec, exec, s[6:7]
	v_lshl_add_u64 v[12:13], v[12:13], 1, s[2:3]
	s_waitcnt lgkmcnt(6)
	global_store_short v[12:13], v76, off
	s_or_b64 exec, exec, s[4:5]
	v_cmp_gt_u32_e32 vcc, s33, v20
	s_and_saveexec_b64 s[4:5], vcc
	s_cbranch_execnz .LBB562_365
.LBB562_450:
	s_or_b64 exec, exec, s[4:5]
	v_cmp_gt_u32_e32 vcc, s33, v18
	s_and_saveexec_b64 s[4:5], vcc
	s_cbranch_execz .LBB562_370
.LBB562_451:
	v_cmp_ge_u32_e32 vcc, v18, v10
                                        ; implicit-def: $vgpr12_vgpr13
	s_and_saveexec_b64 s[6:7], vcc
	s_xor_b64 s[6:7], exec, s[6:7]
; %bb.452:
	v_xor_b32_e32 v12, 0xffffcdff, v0
	v_ashrrev_i32_e32 v13, 31, v12
	v_lshl_add_u64 v[12:13], v[6:7], 0, v[12:13]
                                        ; implicit-def: $vgpr18_vgpr19
; %bb.453:
	s_andn2_saveexec_b64 s[6:7], s[6:7]
; %bb.454:
	v_lshl_add_u64 v[12:13], v[2:3], 0, v[18:19]
; %bb.455:
	s_or_b64 exec, exec, s[6:7]
	v_lshl_add_u64 v[12:13], v[12:13], 1, s[2:3]
	s_waitcnt lgkmcnt(4)
	global_store_short v[12:13], v74, off
	s_or_b64 exec, exec, s[4:5]
	v_cmp_gt_u32_e32 vcc, s33, v16
	s_and_saveexec_b64 s[4:5], vcc
	s_cbranch_execnz .LBB562_371
.LBB562_456:
	s_or_b64 exec, exec, s[4:5]
	v_cmp_gt_u32_e32 vcc, s33, v14
	s_and_saveexec_b64 s[4:5], vcc
	s_cbranch_execz .LBB562_376
.LBB562_457:
	v_cmp_ge_u32_e32 vcc, v14, v10
                                        ; implicit-def: $vgpr12_vgpr13
	s_and_saveexec_b64 s[6:7], vcc
	s_xor_b64 s[6:7], exec, s[6:7]
; %bb.458:
	v_xor_b32_e32 v12, 0xffffc9ff, v0
	v_ashrrev_i32_e32 v13, 31, v12
	v_lshl_add_u64 v[12:13], v[6:7], 0, v[12:13]
                                        ; implicit-def: $vgpr14_vgpr15
; %bb.459:
	s_andn2_saveexec_b64 s[6:7], s[6:7]
; %bb.460:
	v_lshl_add_u64 v[12:13], v[2:3], 0, v[14:15]
; %bb.461:
	s_or_b64 exec, exec, s[6:7]
	v_lshl_add_u64 v[12:13], v[12:13], 1, s[2:3]
	s_waitcnt lgkmcnt(2)
	global_store_short v[12:13], v72, off
	s_or_b64 exec, exec, s[4:5]
	v_cmp_gt_u32_e32 vcc, s33, v8
	s_and_saveexec_b64 s[4:5], vcc
	s_cbranch_execz .LBB562_377
.LBB562_462:
	v_cmp_ge_u32_e32 vcc, v8, v10
                                        ; implicit-def: $vgpr12_vgpr13
	s_and_saveexec_b64 s[6:7], vcc
	s_xor_b64 s[6:7], exec, s[6:7]
; %bb.463:
	v_xor_b32_e32 v8, 0xffffc7ff, v0
	v_ashrrev_i32_e32 v9, 31, v8
	v_lshl_add_u64 v[12:13], v[6:7], 0, v[8:9]
                                        ; implicit-def: $vgpr8_vgpr9
; %bb.464:
	s_andn2_saveexec_b64 s[6:7], s[6:7]
; %bb.465:
	v_lshl_add_u64 v[12:13], v[2:3], 0, v[8:9]
; %bb.466:
	s_or_b64 exec, exec, s[6:7]
	v_lshl_add_u64 v[8:9], v[12:13], 1, s[2:3]
	s_waitcnt lgkmcnt(1)
	global_store_short v[8:9], v71, off
	s_or_b64 exec, exec, s[4:5]
	v_cmp_gt_u32_e32 vcc, s33, v4
                                        ; implicit-def: $vgpr12_vgpr13
	s_and_saveexec_b64 s[4:5], vcc
	s_cbranch_execz .LBB562_472
.LBB562_467:
	v_cmp_ge_u32_e32 vcc, v4, v10
                                        ; implicit-def: $vgpr12_vgpr13
	s_and_saveexec_b64 s[6:7], vcc
	s_xor_b64 s[6:7], exec, s[6:7]
; %bb.468:
	v_xor_b32_e32 v4, 0xffffc5ff, v0
	v_ashrrev_i32_e32 v5, 31, v4
	v_lshl_add_u64 v[12:13], v[6:7], 0, v[4:5]
                                        ; implicit-def: $vgpr4_vgpr5
; %bb.469:
	s_andn2_saveexec_b64 s[6:7], s[6:7]
; %bb.470:
	v_lshl_add_u64 v[12:13], v[2:3], 0, v[4:5]
; %bb.471:
	s_or_b64 exec, exec, s[6:7]
	s_or_b64 s[0:1], s[0:1], exec
.LBB562_472:
	s_or_b64 exec, exec, s[4:5]
.LBB562_473:
	s_and_saveexec_b64 s[4:5], s[0:1]
	s_cbranch_execz .LBB562_475
; %bb.474:
	v_lshl_add_u64 v[4:5], v[12:13], 1, s[2:3]
	s_waitcnt lgkmcnt(0)
	global_store_short v[4:5], v70, off
.LBB562_475:
	s_or_b64 exec, exec, s[4:5]
	v_cmp_eq_u32_e32 vcc, 0, v0
	s_and_b64 s[0:1], vcc, s[22:23]
	s_and_saveexec_b64 s[2:3], s[0:1]
	s_cbranch_execz .LBB562_477
; %bb.476:
	v_mov_b32_e32 v4, 0
	v_lshl_add_u64 v[0:1], v[2:3], 0, v[10:11]
	global_store_dwordx2 v4, v[0:1], s[20:21]
.LBB562_477:
	s_endpgm
	.section	.rodata,"a",@progbits
	.p2align	6, 0x0
	.amdhsa_kernel _ZN7rocprim17ROCPRIM_400000_NS6detail17trampoline_kernelINS0_14default_configENS1_25partition_config_selectorILNS1_17partition_subalgoE2EsNS0_10empty_typeEbEEZZNS1_14partition_implILS5_2ELb0ES3_jN6thrust23THRUST_200600_302600_NS6detail15normal_iteratorINSA_7pointerIsNSA_11hip_rocprim3tagENSA_11use_defaultESG_EEEEPS6_NSA_18transform_iteratorINSA_8identityIsEENSC_INSA_10device_ptrIsEEEESG_SG_EENS0_5tupleIJPsSJ_EEENSR_IJSJ_SJ_EEES6_PlJS6_EEE10hipError_tPvRmT3_T4_T5_T6_T7_T9_mT8_P12ihipStream_tbDpT10_ENKUlT_T0_E_clISt17integral_constantIbLb1EES1E_IbLb0EEEEDaS1A_S1B_EUlS1A_E_NS1_11comp_targetILNS1_3genE5ELNS1_11target_archE942ELNS1_3gpuE9ELNS1_3repE0EEENS1_30default_config_static_selectorELNS0_4arch9wavefront6targetE1EEEvT1_
		.amdhsa_group_segment_fixed_size 30728
		.amdhsa_private_segment_fixed_size 0
		.amdhsa_kernarg_size 128
		.amdhsa_user_sgpr_count 2
		.amdhsa_user_sgpr_dispatch_ptr 0
		.amdhsa_user_sgpr_queue_ptr 0
		.amdhsa_user_sgpr_kernarg_segment_ptr 1
		.amdhsa_user_sgpr_dispatch_id 0
		.amdhsa_user_sgpr_kernarg_preload_length 0
		.amdhsa_user_sgpr_kernarg_preload_offset 0
		.amdhsa_user_sgpr_private_segment_size 0
		.amdhsa_uses_dynamic_stack 0
		.amdhsa_enable_private_segment 0
		.amdhsa_system_sgpr_workgroup_id_x 1
		.amdhsa_system_sgpr_workgroup_id_y 0
		.amdhsa_system_sgpr_workgroup_id_z 0
		.amdhsa_system_sgpr_workgroup_info 0
		.amdhsa_system_vgpr_workitem_id 0
		.amdhsa_next_free_vgpr 100
		.amdhsa_next_free_sgpr 46
		.amdhsa_accum_offset 100
		.amdhsa_reserve_vcc 1
		.amdhsa_float_round_mode_32 0
		.amdhsa_float_round_mode_16_64 0
		.amdhsa_float_denorm_mode_32 3
		.amdhsa_float_denorm_mode_16_64 3
		.amdhsa_dx10_clamp 1
		.amdhsa_ieee_mode 1
		.amdhsa_fp16_overflow 0
		.amdhsa_tg_split 0
		.amdhsa_exception_fp_ieee_invalid_op 0
		.amdhsa_exception_fp_denorm_src 0
		.amdhsa_exception_fp_ieee_div_zero 0
		.amdhsa_exception_fp_ieee_overflow 0
		.amdhsa_exception_fp_ieee_underflow 0
		.amdhsa_exception_fp_ieee_inexact 0
		.amdhsa_exception_int_div_zero 0
	.end_amdhsa_kernel
	.section	.text._ZN7rocprim17ROCPRIM_400000_NS6detail17trampoline_kernelINS0_14default_configENS1_25partition_config_selectorILNS1_17partition_subalgoE2EsNS0_10empty_typeEbEEZZNS1_14partition_implILS5_2ELb0ES3_jN6thrust23THRUST_200600_302600_NS6detail15normal_iteratorINSA_7pointerIsNSA_11hip_rocprim3tagENSA_11use_defaultESG_EEEEPS6_NSA_18transform_iteratorINSA_8identityIsEENSC_INSA_10device_ptrIsEEEESG_SG_EENS0_5tupleIJPsSJ_EEENSR_IJSJ_SJ_EEES6_PlJS6_EEE10hipError_tPvRmT3_T4_T5_T6_T7_T9_mT8_P12ihipStream_tbDpT10_ENKUlT_T0_E_clISt17integral_constantIbLb1EES1E_IbLb0EEEEDaS1A_S1B_EUlS1A_E_NS1_11comp_targetILNS1_3genE5ELNS1_11target_archE942ELNS1_3gpuE9ELNS1_3repE0EEENS1_30default_config_static_selectorELNS0_4arch9wavefront6targetE1EEEvT1_,"axG",@progbits,_ZN7rocprim17ROCPRIM_400000_NS6detail17trampoline_kernelINS0_14default_configENS1_25partition_config_selectorILNS1_17partition_subalgoE2EsNS0_10empty_typeEbEEZZNS1_14partition_implILS5_2ELb0ES3_jN6thrust23THRUST_200600_302600_NS6detail15normal_iteratorINSA_7pointerIsNSA_11hip_rocprim3tagENSA_11use_defaultESG_EEEEPS6_NSA_18transform_iteratorINSA_8identityIsEENSC_INSA_10device_ptrIsEEEESG_SG_EENS0_5tupleIJPsSJ_EEENSR_IJSJ_SJ_EEES6_PlJS6_EEE10hipError_tPvRmT3_T4_T5_T6_T7_T9_mT8_P12ihipStream_tbDpT10_ENKUlT_T0_E_clISt17integral_constantIbLb1EES1E_IbLb0EEEEDaS1A_S1B_EUlS1A_E_NS1_11comp_targetILNS1_3genE5ELNS1_11target_archE942ELNS1_3gpuE9ELNS1_3repE0EEENS1_30default_config_static_selectorELNS0_4arch9wavefront6targetE1EEEvT1_,comdat
.Lfunc_end562:
	.size	_ZN7rocprim17ROCPRIM_400000_NS6detail17trampoline_kernelINS0_14default_configENS1_25partition_config_selectorILNS1_17partition_subalgoE2EsNS0_10empty_typeEbEEZZNS1_14partition_implILS5_2ELb0ES3_jN6thrust23THRUST_200600_302600_NS6detail15normal_iteratorINSA_7pointerIsNSA_11hip_rocprim3tagENSA_11use_defaultESG_EEEEPS6_NSA_18transform_iteratorINSA_8identityIsEENSC_INSA_10device_ptrIsEEEESG_SG_EENS0_5tupleIJPsSJ_EEENSR_IJSJ_SJ_EEES6_PlJS6_EEE10hipError_tPvRmT3_T4_T5_T6_T7_T9_mT8_P12ihipStream_tbDpT10_ENKUlT_T0_E_clISt17integral_constantIbLb1EES1E_IbLb0EEEEDaS1A_S1B_EUlS1A_E_NS1_11comp_targetILNS1_3genE5ELNS1_11target_archE942ELNS1_3gpuE9ELNS1_3repE0EEENS1_30default_config_static_selectorELNS0_4arch9wavefront6targetE1EEEvT1_, .Lfunc_end562-_ZN7rocprim17ROCPRIM_400000_NS6detail17trampoline_kernelINS0_14default_configENS1_25partition_config_selectorILNS1_17partition_subalgoE2EsNS0_10empty_typeEbEEZZNS1_14partition_implILS5_2ELb0ES3_jN6thrust23THRUST_200600_302600_NS6detail15normal_iteratorINSA_7pointerIsNSA_11hip_rocprim3tagENSA_11use_defaultESG_EEEEPS6_NSA_18transform_iteratorINSA_8identityIsEENSC_INSA_10device_ptrIsEEEESG_SG_EENS0_5tupleIJPsSJ_EEENSR_IJSJ_SJ_EEES6_PlJS6_EEE10hipError_tPvRmT3_T4_T5_T6_T7_T9_mT8_P12ihipStream_tbDpT10_ENKUlT_T0_E_clISt17integral_constantIbLb1EES1E_IbLb0EEEEDaS1A_S1B_EUlS1A_E_NS1_11comp_targetILNS1_3genE5ELNS1_11target_archE942ELNS1_3gpuE9ELNS1_3repE0EEENS1_30default_config_static_selectorELNS0_4arch9wavefront6targetE1EEEvT1_
                                        ; -- End function
	.section	.AMDGPU.csdata,"",@progbits
; Kernel info:
; codeLenInByte = 15196
; NumSgprs: 52
; NumVgprs: 100
; NumAgprs: 0
; TotalNumVgprs: 100
; ScratchSize: 0
; MemoryBound: 0
; FloatMode: 240
; IeeeMode: 1
; LDSByteSize: 30728 bytes/workgroup (compile time only)
; SGPRBlocks: 6
; VGPRBlocks: 12
; NumSGPRsForWavesPerEU: 52
; NumVGPRsForWavesPerEU: 100
; AccumOffset: 100
; Occupancy: 4
; WaveLimiterHint : 1
; COMPUTE_PGM_RSRC2:SCRATCH_EN: 0
; COMPUTE_PGM_RSRC2:USER_SGPR: 2
; COMPUTE_PGM_RSRC2:TRAP_HANDLER: 0
; COMPUTE_PGM_RSRC2:TGID_X_EN: 1
; COMPUTE_PGM_RSRC2:TGID_Y_EN: 0
; COMPUTE_PGM_RSRC2:TGID_Z_EN: 0
; COMPUTE_PGM_RSRC2:TIDIG_COMP_CNT: 0
; COMPUTE_PGM_RSRC3_GFX90A:ACCUM_OFFSET: 24
; COMPUTE_PGM_RSRC3_GFX90A:TG_SPLIT: 0
	.section	.text._ZN7rocprim17ROCPRIM_400000_NS6detail17trampoline_kernelINS0_14default_configENS1_25partition_config_selectorILNS1_17partition_subalgoE2EsNS0_10empty_typeEbEEZZNS1_14partition_implILS5_2ELb0ES3_jN6thrust23THRUST_200600_302600_NS6detail15normal_iteratorINSA_7pointerIsNSA_11hip_rocprim3tagENSA_11use_defaultESG_EEEEPS6_NSA_18transform_iteratorINSA_8identityIsEENSC_INSA_10device_ptrIsEEEESG_SG_EENS0_5tupleIJPsSJ_EEENSR_IJSJ_SJ_EEES6_PlJS6_EEE10hipError_tPvRmT3_T4_T5_T6_T7_T9_mT8_P12ihipStream_tbDpT10_ENKUlT_T0_E_clISt17integral_constantIbLb1EES1E_IbLb0EEEEDaS1A_S1B_EUlS1A_E_NS1_11comp_targetILNS1_3genE4ELNS1_11target_archE910ELNS1_3gpuE8ELNS1_3repE0EEENS1_30default_config_static_selectorELNS0_4arch9wavefront6targetE1EEEvT1_,"axG",@progbits,_ZN7rocprim17ROCPRIM_400000_NS6detail17trampoline_kernelINS0_14default_configENS1_25partition_config_selectorILNS1_17partition_subalgoE2EsNS0_10empty_typeEbEEZZNS1_14partition_implILS5_2ELb0ES3_jN6thrust23THRUST_200600_302600_NS6detail15normal_iteratorINSA_7pointerIsNSA_11hip_rocprim3tagENSA_11use_defaultESG_EEEEPS6_NSA_18transform_iteratorINSA_8identityIsEENSC_INSA_10device_ptrIsEEEESG_SG_EENS0_5tupleIJPsSJ_EEENSR_IJSJ_SJ_EEES6_PlJS6_EEE10hipError_tPvRmT3_T4_T5_T6_T7_T9_mT8_P12ihipStream_tbDpT10_ENKUlT_T0_E_clISt17integral_constantIbLb1EES1E_IbLb0EEEEDaS1A_S1B_EUlS1A_E_NS1_11comp_targetILNS1_3genE4ELNS1_11target_archE910ELNS1_3gpuE8ELNS1_3repE0EEENS1_30default_config_static_selectorELNS0_4arch9wavefront6targetE1EEEvT1_,comdat
	.protected	_ZN7rocprim17ROCPRIM_400000_NS6detail17trampoline_kernelINS0_14default_configENS1_25partition_config_selectorILNS1_17partition_subalgoE2EsNS0_10empty_typeEbEEZZNS1_14partition_implILS5_2ELb0ES3_jN6thrust23THRUST_200600_302600_NS6detail15normal_iteratorINSA_7pointerIsNSA_11hip_rocprim3tagENSA_11use_defaultESG_EEEEPS6_NSA_18transform_iteratorINSA_8identityIsEENSC_INSA_10device_ptrIsEEEESG_SG_EENS0_5tupleIJPsSJ_EEENSR_IJSJ_SJ_EEES6_PlJS6_EEE10hipError_tPvRmT3_T4_T5_T6_T7_T9_mT8_P12ihipStream_tbDpT10_ENKUlT_T0_E_clISt17integral_constantIbLb1EES1E_IbLb0EEEEDaS1A_S1B_EUlS1A_E_NS1_11comp_targetILNS1_3genE4ELNS1_11target_archE910ELNS1_3gpuE8ELNS1_3repE0EEENS1_30default_config_static_selectorELNS0_4arch9wavefront6targetE1EEEvT1_ ; -- Begin function _ZN7rocprim17ROCPRIM_400000_NS6detail17trampoline_kernelINS0_14default_configENS1_25partition_config_selectorILNS1_17partition_subalgoE2EsNS0_10empty_typeEbEEZZNS1_14partition_implILS5_2ELb0ES3_jN6thrust23THRUST_200600_302600_NS6detail15normal_iteratorINSA_7pointerIsNSA_11hip_rocprim3tagENSA_11use_defaultESG_EEEEPS6_NSA_18transform_iteratorINSA_8identityIsEENSC_INSA_10device_ptrIsEEEESG_SG_EENS0_5tupleIJPsSJ_EEENSR_IJSJ_SJ_EEES6_PlJS6_EEE10hipError_tPvRmT3_T4_T5_T6_T7_T9_mT8_P12ihipStream_tbDpT10_ENKUlT_T0_E_clISt17integral_constantIbLb1EES1E_IbLb0EEEEDaS1A_S1B_EUlS1A_E_NS1_11comp_targetILNS1_3genE4ELNS1_11target_archE910ELNS1_3gpuE8ELNS1_3repE0EEENS1_30default_config_static_selectorELNS0_4arch9wavefront6targetE1EEEvT1_
	.globl	_ZN7rocprim17ROCPRIM_400000_NS6detail17trampoline_kernelINS0_14default_configENS1_25partition_config_selectorILNS1_17partition_subalgoE2EsNS0_10empty_typeEbEEZZNS1_14partition_implILS5_2ELb0ES3_jN6thrust23THRUST_200600_302600_NS6detail15normal_iteratorINSA_7pointerIsNSA_11hip_rocprim3tagENSA_11use_defaultESG_EEEEPS6_NSA_18transform_iteratorINSA_8identityIsEENSC_INSA_10device_ptrIsEEEESG_SG_EENS0_5tupleIJPsSJ_EEENSR_IJSJ_SJ_EEES6_PlJS6_EEE10hipError_tPvRmT3_T4_T5_T6_T7_T9_mT8_P12ihipStream_tbDpT10_ENKUlT_T0_E_clISt17integral_constantIbLb1EES1E_IbLb0EEEEDaS1A_S1B_EUlS1A_E_NS1_11comp_targetILNS1_3genE4ELNS1_11target_archE910ELNS1_3gpuE8ELNS1_3repE0EEENS1_30default_config_static_selectorELNS0_4arch9wavefront6targetE1EEEvT1_
	.p2align	8
	.type	_ZN7rocprim17ROCPRIM_400000_NS6detail17trampoline_kernelINS0_14default_configENS1_25partition_config_selectorILNS1_17partition_subalgoE2EsNS0_10empty_typeEbEEZZNS1_14partition_implILS5_2ELb0ES3_jN6thrust23THRUST_200600_302600_NS6detail15normal_iteratorINSA_7pointerIsNSA_11hip_rocprim3tagENSA_11use_defaultESG_EEEEPS6_NSA_18transform_iteratorINSA_8identityIsEENSC_INSA_10device_ptrIsEEEESG_SG_EENS0_5tupleIJPsSJ_EEENSR_IJSJ_SJ_EEES6_PlJS6_EEE10hipError_tPvRmT3_T4_T5_T6_T7_T9_mT8_P12ihipStream_tbDpT10_ENKUlT_T0_E_clISt17integral_constantIbLb1EES1E_IbLb0EEEEDaS1A_S1B_EUlS1A_E_NS1_11comp_targetILNS1_3genE4ELNS1_11target_archE910ELNS1_3gpuE8ELNS1_3repE0EEENS1_30default_config_static_selectorELNS0_4arch9wavefront6targetE1EEEvT1_,@function
_ZN7rocprim17ROCPRIM_400000_NS6detail17trampoline_kernelINS0_14default_configENS1_25partition_config_selectorILNS1_17partition_subalgoE2EsNS0_10empty_typeEbEEZZNS1_14partition_implILS5_2ELb0ES3_jN6thrust23THRUST_200600_302600_NS6detail15normal_iteratorINSA_7pointerIsNSA_11hip_rocprim3tagENSA_11use_defaultESG_EEEEPS6_NSA_18transform_iteratorINSA_8identityIsEENSC_INSA_10device_ptrIsEEEESG_SG_EENS0_5tupleIJPsSJ_EEENSR_IJSJ_SJ_EEES6_PlJS6_EEE10hipError_tPvRmT3_T4_T5_T6_T7_T9_mT8_P12ihipStream_tbDpT10_ENKUlT_T0_E_clISt17integral_constantIbLb1EES1E_IbLb0EEEEDaS1A_S1B_EUlS1A_E_NS1_11comp_targetILNS1_3genE4ELNS1_11target_archE910ELNS1_3gpuE8ELNS1_3repE0EEENS1_30default_config_static_selectorELNS0_4arch9wavefront6targetE1EEEvT1_: ; @_ZN7rocprim17ROCPRIM_400000_NS6detail17trampoline_kernelINS0_14default_configENS1_25partition_config_selectorILNS1_17partition_subalgoE2EsNS0_10empty_typeEbEEZZNS1_14partition_implILS5_2ELb0ES3_jN6thrust23THRUST_200600_302600_NS6detail15normal_iteratorINSA_7pointerIsNSA_11hip_rocprim3tagENSA_11use_defaultESG_EEEEPS6_NSA_18transform_iteratorINSA_8identityIsEENSC_INSA_10device_ptrIsEEEESG_SG_EENS0_5tupleIJPsSJ_EEENSR_IJSJ_SJ_EEES6_PlJS6_EEE10hipError_tPvRmT3_T4_T5_T6_T7_T9_mT8_P12ihipStream_tbDpT10_ENKUlT_T0_E_clISt17integral_constantIbLb1EES1E_IbLb0EEEEDaS1A_S1B_EUlS1A_E_NS1_11comp_targetILNS1_3genE4ELNS1_11target_archE910ELNS1_3gpuE8ELNS1_3repE0EEENS1_30default_config_static_selectorELNS0_4arch9wavefront6targetE1EEEvT1_
; %bb.0:
	.section	.rodata,"a",@progbits
	.p2align	6, 0x0
	.amdhsa_kernel _ZN7rocprim17ROCPRIM_400000_NS6detail17trampoline_kernelINS0_14default_configENS1_25partition_config_selectorILNS1_17partition_subalgoE2EsNS0_10empty_typeEbEEZZNS1_14partition_implILS5_2ELb0ES3_jN6thrust23THRUST_200600_302600_NS6detail15normal_iteratorINSA_7pointerIsNSA_11hip_rocprim3tagENSA_11use_defaultESG_EEEEPS6_NSA_18transform_iteratorINSA_8identityIsEENSC_INSA_10device_ptrIsEEEESG_SG_EENS0_5tupleIJPsSJ_EEENSR_IJSJ_SJ_EEES6_PlJS6_EEE10hipError_tPvRmT3_T4_T5_T6_T7_T9_mT8_P12ihipStream_tbDpT10_ENKUlT_T0_E_clISt17integral_constantIbLb1EES1E_IbLb0EEEEDaS1A_S1B_EUlS1A_E_NS1_11comp_targetILNS1_3genE4ELNS1_11target_archE910ELNS1_3gpuE8ELNS1_3repE0EEENS1_30default_config_static_selectorELNS0_4arch9wavefront6targetE1EEEvT1_
		.amdhsa_group_segment_fixed_size 0
		.amdhsa_private_segment_fixed_size 0
		.amdhsa_kernarg_size 128
		.amdhsa_user_sgpr_count 2
		.amdhsa_user_sgpr_dispatch_ptr 0
		.amdhsa_user_sgpr_queue_ptr 0
		.amdhsa_user_sgpr_kernarg_segment_ptr 1
		.amdhsa_user_sgpr_dispatch_id 0
		.amdhsa_user_sgpr_kernarg_preload_length 0
		.amdhsa_user_sgpr_kernarg_preload_offset 0
		.amdhsa_user_sgpr_private_segment_size 0
		.amdhsa_uses_dynamic_stack 0
		.amdhsa_enable_private_segment 0
		.amdhsa_system_sgpr_workgroup_id_x 1
		.amdhsa_system_sgpr_workgroup_id_y 0
		.amdhsa_system_sgpr_workgroup_id_z 0
		.amdhsa_system_sgpr_workgroup_info 0
		.amdhsa_system_vgpr_workitem_id 0
		.amdhsa_next_free_vgpr 1
		.amdhsa_next_free_sgpr 0
		.amdhsa_accum_offset 4
		.amdhsa_reserve_vcc 0
		.amdhsa_float_round_mode_32 0
		.amdhsa_float_round_mode_16_64 0
		.amdhsa_float_denorm_mode_32 3
		.amdhsa_float_denorm_mode_16_64 3
		.amdhsa_dx10_clamp 1
		.amdhsa_ieee_mode 1
		.amdhsa_fp16_overflow 0
		.amdhsa_tg_split 0
		.amdhsa_exception_fp_ieee_invalid_op 0
		.amdhsa_exception_fp_denorm_src 0
		.amdhsa_exception_fp_ieee_div_zero 0
		.amdhsa_exception_fp_ieee_overflow 0
		.amdhsa_exception_fp_ieee_underflow 0
		.amdhsa_exception_fp_ieee_inexact 0
		.amdhsa_exception_int_div_zero 0
	.end_amdhsa_kernel
	.section	.text._ZN7rocprim17ROCPRIM_400000_NS6detail17trampoline_kernelINS0_14default_configENS1_25partition_config_selectorILNS1_17partition_subalgoE2EsNS0_10empty_typeEbEEZZNS1_14partition_implILS5_2ELb0ES3_jN6thrust23THRUST_200600_302600_NS6detail15normal_iteratorINSA_7pointerIsNSA_11hip_rocprim3tagENSA_11use_defaultESG_EEEEPS6_NSA_18transform_iteratorINSA_8identityIsEENSC_INSA_10device_ptrIsEEEESG_SG_EENS0_5tupleIJPsSJ_EEENSR_IJSJ_SJ_EEES6_PlJS6_EEE10hipError_tPvRmT3_T4_T5_T6_T7_T9_mT8_P12ihipStream_tbDpT10_ENKUlT_T0_E_clISt17integral_constantIbLb1EES1E_IbLb0EEEEDaS1A_S1B_EUlS1A_E_NS1_11comp_targetILNS1_3genE4ELNS1_11target_archE910ELNS1_3gpuE8ELNS1_3repE0EEENS1_30default_config_static_selectorELNS0_4arch9wavefront6targetE1EEEvT1_,"axG",@progbits,_ZN7rocprim17ROCPRIM_400000_NS6detail17trampoline_kernelINS0_14default_configENS1_25partition_config_selectorILNS1_17partition_subalgoE2EsNS0_10empty_typeEbEEZZNS1_14partition_implILS5_2ELb0ES3_jN6thrust23THRUST_200600_302600_NS6detail15normal_iteratorINSA_7pointerIsNSA_11hip_rocprim3tagENSA_11use_defaultESG_EEEEPS6_NSA_18transform_iteratorINSA_8identityIsEENSC_INSA_10device_ptrIsEEEESG_SG_EENS0_5tupleIJPsSJ_EEENSR_IJSJ_SJ_EEES6_PlJS6_EEE10hipError_tPvRmT3_T4_T5_T6_T7_T9_mT8_P12ihipStream_tbDpT10_ENKUlT_T0_E_clISt17integral_constantIbLb1EES1E_IbLb0EEEEDaS1A_S1B_EUlS1A_E_NS1_11comp_targetILNS1_3genE4ELNS1_11target_archE910ELNS1_3gpuE8ELNS1_3repE0EEENS1_30default_config_static_selectorELNS0_4arch9wavefront6targetE1EEEvT1_,comdat
.Lfunc_end563:
	.size	_ZN7rocprim17ROCPRIM_400000_NS6detail17trampoline_kernelINS0_14default_configENS1_25partition_config_selectorILNS1_17partition_subalgoE2EsNS0_10empty_typeEbEEZZNS1_14partition_implILS5_2ELb0ES3_jN6thrust23THRUST_200600_302600_NS6detail15normal_iteratorINSA_7pointerIsNSA_11hip_rocprim3tagENSA_11use_defaultESG_EEEEPS6_NSA_18transform_iteratorINSA_8identityIsEENSC_INSA_10device_ptrIsEEEESG_SG_EENS0_5tupleIJPsSJ_EEENSR_IJSJ_SJ_EEES6_PlJS6_EEE10hipError_tPvRmT3_T4_T5_T6_T7_T9_mT8_P12ihipStream_tbDpT10_ENKUlT_T0_E_clISt17integral_constantIbLb1EES1E_IbLb0EEEEDaS1A_S1B_EUlS1A_E_NS1_11comp_targetILNS1_3genE4ELNS1_11target_archE910ELNS1_3gpuE8ELNS1_3repE0EEENS1_30default_config_static_selectorELNS0_4arch9wavefront6targetE1EEEvT1_, .Lfunc_end563-_ZN7rocprim17ROCPRIM_400000_NS6detail17trampoline_kernelINS0_14default_configENS1_25partition_config_selectorILNS1_17partition_subalgoE2EsNS0_10empty_typeEbEEZZNS1_14partition_implILS5_2ELb0ES3_jN6thrust23THRUST_200600_302600_NS6detail15normal_iteratorINSA_7pointerIsNSA_11hip_rocprim3tagENSA_11use_defaultESG_EEEEPS6_NSA_18transform_iteratorINSA_8identityIsEENSC_INSA_10device_ptrIsEEEESG_SG_EENS0_5tupleIJPsSJ_EEENSR_IJSJ_SJ_EEES6_PlJS6_EEE10hipError_tPvRmT3_T4_T5_T6_T7_T9_mT8_P12ihipStream_tbDpT10_ENKUlT_T0_E_clISt17integral_constantIbLb1EES1E_IbLb0EEEEDaS1A_S1B_EUlS1A_E_NS1_11comp_targetILNS1_3genE4ELNS1_11target_archE910ELNS1_3gpuE8ELNS1_3repE0EEENS1_30default_config_static_selectorELNS0_4arch9wavefront6targetE1EEEvT1_
                                        ; -- End function
	.section	.AMDGPU.csdata,"",@progbits
; Kernel info:
; codeLenInByte = 0
; NumSgprs: 6
; NumVgprs: 0
; NumAgprs: 0
; TotalNumVgprs: 0
; ScratchSize: 0
; MemoryBound: 0
; FloatMode: 240
; IeeeMode: 1
; LDSByteSize: 0 bytes/workgroup (compile time only)
; SGPRBlocks: 0
; VGPRBlocks: 0
; NumSGPRsForWavesPerEU: 6
; NumVGPRsForWavesPerEU: 1
; AccumOffset: 4
; Occupancy: 8
; WaveLimiterHint : 0
; COMPUTE_PGM_RSRC2:SCRATCH_EN: 0
; COMPUTE_PGM_RSRC2:USER_SGPR: 2
; COMPUTE_PGM_RSRC2:TRAP_HANDLER: 0
; COMPUTE_PGM_RSRC2:TGID_X_EN: 1
; COMPUTE_PGM_RSRC2:TGID_Y_EN: 0
; COMPUTE_PGM_RSRC2:TGID_Z_EN: 0
; COMPUTE_PGM_RSRC2:TIDIG_COMP_CNT: 0
; COMPUTE_PGM_RSRC3_GFX90A:ACCUM_OFFSET: 0
; COMPUTE_PGM_RSRC3_GFX90A:TG_SPLIT: 0
	.section	.text._ZN7rocprim17ROCPRIM_400000_NS6detail17trampoline_kernelINS0_14default_configENS1_25partition_config_selectorILNS1_17partition_subalgoE2EsNS0_10empty_typeEbEEZZNS1_14partition_implILS5_2ELb0ES3_jN6thrust23THRUST_200600_302600_NS6detail15normal_iteratorINSA_7pointerIsNSA_11hip_rocprim3tagENSA_11use_defaultESG_EEEEPS6_NSA_18transform_iteratorINSA_8identityIsEENSC_INSA_10device_ptrIsEEEESG_SG_EENS0_5tupleIJPsSJ_EEENSR_IJSJ_SJ_EEES6_PlJS6_EEE10hipError_tPvRmT3_T4_T5_T6_T7_T9_mT8_P12ihipStream_tbDpT10_ENKUlT_T0_E_clISt17integral_constantIbLb1EES1E_IbLb0EEEEDaS1A_S1B_EUlS1A_E_NS1_11comp_targetILNS1_3genE3ELNS1_11target_archE908ELNS1_3gpuE7ELNS1_3repE0EEENS1_30default_config_static_selectorELNS0_4arch9wavefront6targetE1EEEvT1_,"axG",@progbits,_ZN7rocprim17ROCPRIM_400000_NS6detail17trampoline_kernelINS0_14default_configENS1_25partition_config_selectorILNS1_17partition_subalgoE2EsNS0_10empty_typeEbEEZZNS1_14partition_implILS5_2ELb0ES3_jN6thrust23THRUST_200600_302600_NS6detail15normal_iteratorINSA_7pointerIsNSA_11hip_rocprim3tagENSA_11use_defaultESG_EEEEPS6_NSA_18transform_iteratorINSA_8identityIsEENSC_INSA_10device_ptrIsEEEESG_SG_EENS0_5tupleIJPsSJ_EEENSR_IJSJ_SJ_EEES6_PlJS6_EEE10hipError_tPvRmT3_T4_T5_T6_T7_T9_mT8_P12ihipStream_tbDpT10_ENKUlT_T0_E_clISt17integral_constantIbLb1EES1E_IbLb0EEEEDaS1A_S1B_EUlS1A_E_NS1_11comp_targetILNS1_3genE3ELNS1_11target_archE908ELNS1_3gpuE7ELNS1_3repE0EEENS1_30default_config_static_selectorELNS0_4arch9wavefront6targetE1EEEvT1_,comdat
	.protected	_ZN7rocprim17ROCPRIM_400000_NS6detail17trampoline_kernelINS0_14default_configENS1_25partition_config_selectorILNS1_17partition_subalgoE2EsNS0_10empty_typeEbEEZZNS1_14partition_implILS5_2ELb0ES3_jN6thrust23THRUST_200600_302600_NS6detail15normal_iteratorINSA_7pointerIsNSA_11hip_rocprim3tagENSA_11use_defaultESG_EEEEPS6_NSA_18transform_iteratorINSA_8identityIsEENSC_INSA_10device_ptrIsEEEESG_SG_EENS0_5tupleIJPsSJ_EEENSR_IJSJ_SJ_EEES6_PlJS6_EEE10hipError_tPvRmT3_T4_T5_T6_T7_T9_mT8_P12ihipStream_tbDpT10_ENKUlT_T0_E_clISt17integral_constantIbLb1EES1E_IbLb0EEEEDaS1A_S1B_EUlS1A_E_NS1_11comp_targetILNS1_3genE3ELNS1_11target_archE908ELNS1_3gpuE7ELNS1_3repE0EEENS1_30default_config_static_selectorELNS0_4arch9wavefront6targetE1EEEvT1_ ; -- Begin function _ZN7rocprim17ROCPRIM_400000_NS6detail17trampoline_kernelINS0_14default_configENS1_25partition_config_selectorILNS1_17partition_subalgoE2EsNS0_10empty_typeEbEEZZNS1_14partition_implILS5_2ELb0ES3_jN6thrust23THRUST_200600_302600_NS6detail15normal_iteratorINSA_7pointerIsNSA_11hip_rocprim3tagENSA_11use_defaultESG_EEEEPS6_NSA_18transform_iteratorINSA_8identityIsEENSC_INSA_10device_ptrIsEEEESG_SG_EENS0_5tupleIJPsSJ_EEENSR_IJSJ_SJ_EEES6_PlJS6_EEE10hipError_tPvRmT3_T4_T5_T6_T7_T9_mT8_P12ihipStream_tbDpT10_ENKUlT_T0_E_clISt17integral_constantIbLb1EES1E_IbLb0EEEEDaS1A_S1B_EUlS1A_E_NS1_11comp_targetILNS1_3genE3ELNS1_11target_archE908ELNS1_3gpuE7ELNS1_3repE0EEENS1_30default_config_static_selectorELNS0_4arch9wavefront6targetE1EEEvT1_
	.globl	_ZN7rocprim17ROCPRIM_400000_NS6detail17trampoline_kernelINS0_14default_configENS1_25partition_config_selectorILNS1_17partition_subalgoE2EsNS0_10empty_typeEbEEZZNS1_14partition_implILS5_2ELb0ES3_jN6thrust23THRUST_200600_302600_NS6detail15normal_iteratorINSA_7pointerIsNSA_11hip_rocprim3tagENSA_11use_defaultESG_EEEEPS6_NSA_18transform_iteratorINSA_8identityIsEENSC_INSA_10device_ptrIsEEEESG_SG_EENS0_5tupleIJPsSJ_EEENSR_IJSJ_SJ_EEES6_PlJS6_EEE10hipError_tPvRmT3_T4_T5_T6_T7_T9_mT8_P12ihipStream_tbDpT10_ENKUlT_T0_E_clISt17integral_constantIbLb1EES1E_IbLb0EEEEDaS1A_S1B_EUlS1A_E_NS1_11comp_targetILNS1_3genE3ELNS1_11target_archE908ELNS1_3gpuE7ELNS1_3repE0EEENS1_30default_config_static_selectorELNS0_4arch9wavefront6targetE1EEEvT1_
	.p2align	8
	.type	_ZN7rocprim17ROCPRIM_400000_NS6detail17trampoline_kernelINS0_14default_configENS1_25partition_config_selectorILNS1_17partition_subalgoE2EsNS0_10empty_typeEbEEZZNS1_14partition_implILS5_2ELb0ES3_jN6thrust23THRUST_200600_302600_NS6detail15normal_iteratorINSA_7pointerIsNSA_11hip_rocprim3tagENSA_11use_defaultESG_EEEEPS6_NSA_18transform_iteratorINSA_8identityIsEENSC_INSA_10device_ptrIsEEEESG_SG_EENS0_5tupleIJPsSJ_EEENSR_IJSJ_SJ_EEES6_PlJS6_EEE10hipError_tPvRmT3_T4_T5_T6_T7_T9_mT8_P12ihipStream_tbDpT10_ENKUlT_T0_E_clISt17integral_constantIbLb1EES1E_IbLb0EEEEDaS1A_S1B_EUlS1A_E_NS1_11comp_targetILNS1_3genE3ELNS1_11target_archE908ELNS1_3gpuE7ELNS1_3repE0EEENS1_30default_config_static_selectorELNS0_4arch9wavefront6targetE1EEEvT1_,@function
_ZN7rocprim17ROCPRIM_400000_NS6detail17trampoline_kernelINS0_14default_configENS1_25partition_config_selectorILNS1_17partition_subalgoE2EsNS0_10empty_typeEbEEZZNS1_14partition_implILS5_2ELb0ES3_jN6thrust23THRUST_200600_302600_NS6detail15normal_iteratorINSA_7pointerIsNSA_11hip_rocprim3tagENSA_11use_defaultESG_EEEEPS6_NSA_18transform_iteratorINSA_8identityIsEENSC_INSA_10device_ptrIsEEEESG_SG_EENS0_5tupleIJPsSJ_EEENSR_IJSJ_SJ_EEES6_PlJS6_EEE10hipError_tPvRmT3_T4_T5_T6_T7_T9_mT8_P12ihipStream_tbDpT10_ENKUlT_T0_E_clISt17integral_constantIbLb1EES1E_IbLb0EEEEDaS1A_S1B_EUlS1A_E_NS1_11comp_targetILNS1_3genE3ELNS1_11target_archE908ELNS1_3gpuE7ELNS1_3repE0EEENS1_30default_config_static_selectorELNS0_4arch9wavefront6targetE1EEEvT1_: ; @_ZN7rocprim17ROCPRIM_400000_NS6detail17trampoline_kernelINS0_14default_configENS1_25partition_config_selectorILNS1_17partition_subalgoE2EsNS0_10empty_typeEbEEZZNS1_14partition_implILS5_2ELb0ES3_jN6thrust23THRUST_200600_302600_NS6detail15normal_iteratorINSA_7pointerIsNSA_11hip_rocprim3tagENSA_11use_defaultESG_EEEEPS6_NSA_18transform_iteratorINSA_8identityIsEENSC_INSA_10device_ptrIsEEEESG_SG_EENS0_5tupleIJPsSJ_EEENSR_IJSJ_SJ_EEES6_PlJS6_EEE10hipError_tPvRmT3_T4_T5_T6_T7_T9_mT8_P12ihipStream_tbDpT10_ENKUlT_T0_E_clISt17integral_constantIbLb1EES1E_IbLb0EEEEDaS1A_S1B_EUlS1A_E_NS1_11comp_targetILNS1_3genE3ELNS1_11target_archE908ELNS1_3gpuE7ELNS1_3repE0EEENS1_30default_config_static_selectorELNS0_4arch9wavefront6targetE1EEEvT1_
; %bb.0:
	.section	.rodata,"a",@progbits
	.p2align	6, 0x0
	.amdhsa_kernel _ZN7rocprim17ROCPRIM_400000_NS6detail17trampoline_kernelINS0_14default_configENS1_25partition_config_selectorILNS1_17partition_subalgoE2EsNS0_10empty_typeEbEEZZNS1_14partition_implILS5_2ELb0ES3_jN6thrust23THRUST_200600_302600_NS6detail15normal_iteratorINSA_7pointerIsNSA_11hip_rocprim3tagENSA_11use_defaultESG_EEEEPS6_NSA_18transform_iteratorINSA_8identityIsEENSC_INSA_10device_ptrIsEEEESG_SG_EENS0_5tupleIJPsSJ_EEENSR_IJSJ_SJ_EEES6_PlJS6_EEE10hipError_tPvRmT3_T4_T5_T6_T7_T9_mT8_P12ihipStream_tbDpT10_ENKUlT_T0_E_clISt17integral_constantIbLb1EES1E_IbLb0EEEEDaS1A_S1B_EUlS1A_E_NS1_11comp_targetILNS1_3genE3ELNS1_11target_archE908ELNS1_3gpuE7ELNS1_3repE0EEENS1_30default_config_static_selectorELNS0_4arch9wavefront6targetE1EEEvT1_
		.amdhsa_group_segment_fixed_size 0
		.amdhsa_private_segment_fixed_size 0
		.amdhsa_kernarg_size 128
		.amdhsa_user_sgpr_count 2
		.amdhsa_user_sgpr_dispatch_ptr 0
		.amdhsa_user_sgpr_queue_ptr 0
		.amdhsa_user_sgpr_kernarg_segment_ptr 1
		.amdhsa_user_sgpr_dispatch_id 0
		.amdhsa_user_sgpr_kernarg_preload_length 0
		.amdhsa_user_sgpr_kernarg_preload_offset 0
		.amdhsa_user_sgpr_private_segment_size 0
		.amdhsa_uses_dynamic_stack 0
		.amdhsa_enable_private_segment 0
		.amdhsa_system_sgpr_workgroup_id_x 1
		.amdhsa_system_sgpr_workgroup_id_y 0
		.amdhsa_system_sgpr_workgroup_id_z 0
		.amdhsa_system_sgpr_workgroup_info 0
		.amdhsa_system_vgpr_workitem_id 0
		.amdhsa_next_free_vgpr 1
		.amdhsa_next_free_sgpr 0
		.amdhsa_accum_offset 4
		.amdhsa_reserve_vcc 0
		.amdhsa_float_round_mode_32 0
		.amdhsa_float_round_mode_16_64 0
		.amdhsa_float_denorm_mode_32 3
		.amdhsa_float_denorm_mode_16_64 3
		.amdhsa_dx10_clamp 1
		.amdhsa_ieee_mode 1
		.amdhsa_fp16_overflow 0
		.amdhsa_tg_split 0
		.amdhsa_exception_fp_ieee_invalid_op 0
		.amdhsa_exception_fp_denorm_src 0
		.amdhsa_exception_fp_ieee_div_zero 0
		.amdhsa_exception_fp_ieee_overflow 0
		.amdhsa_exception_fp_ieee_underflow 0
		.amdhsa_exception_fp_ieee_inexact 0
		.amdhsa_exception_int_div_zero 0
	.end_amdhsa_kernel
	.section	.text._ZN7rocprim17ROCPRIM_400000_NS6detail17trampoline_kernelINS0_14default_configENS1_25partition_config_selectorILNS1_17partition_subalgoE2EsNS0_10empty_typeEbEEZZNS1_14partition_implILS5_2ELb0ES3_jN6thrust23THRUST_200600_302600_NS6detail15normal_iteratorINSA_7pointerIsNSA_11hip_rocprim3tagENSA_11use_defaultESG_EEEEPS6_NSA_18transform_iteratorINSA_8identityIsEENSC_INSA_10device_ptrIsEEEESG_SG_EENS0_5tupleIJPsSJ_EEENSR_IJSJ_SJ_EEES6_PlJS6_EEE10hipError_tPvRmT3_T4_T5_T6_T7_T9_mT8_P12ihipStream_tbDpT10_ENKUlT_T0_E_clISt17integral_constantIbLb1EES1E_IbLb0EEEEDaS1A_S1B_EUlS1A_E_NS1_11comp_targetILNS1_3genE3ELNS1_11target_archE908ELNS1_3gpuE7ELNS1_3repE0EEENS1_30default_config_static_selectorELNS0_4arch9wavefront6targetE1EEEvT1_,"axG",@progbits,_ZN7rocprim17ROCPRIM_400000_NS6detail17trampoline_kernelINS0_14default_configENS1_25partition_config_selectorILNS1_17partition_subalgoE2EsNS0_10empty_typeEbEEZZNS1_14partition_implILS5_2ELb0ES3_jN6thrust23THRUST_200600_302600_NS6detail15normal_iteratorINSA_7pointerIsNSA_11hip_rocprim3tagENSA_11use_defaultESG_EEEEPS6_NSA_18transform_iteratorINSA_8identityIsEENSC_INSA_10device_ptrIsEEEESG_SG_EENS0_5tupleIJPsSJ_EEENSR_IJSJ_SJ_EEES6_PlJS6_EEE10hipError_tPvRmT3_T4_T5_T6_T7_T9_mT8_P12ihipStream_tbDpT10_ENKUlT_T0_E_clISt17integral_constantIbLb1EES1E_IbLb0EEEEDaS1A_S1B_EUlS1A_E_NS1_11comp_targetILNS1_3genE3ELNS1_11target_archE908ELNS1_3gpuE7ELNS1_3repE0EEENS1_30default_config_static_selectorELNS0_4arch9wavefront6targetE1EEEvT1_,comdat
.Lfunc_end564:
	.size	_ZN7rocprim17ROCPRIM_400000_NS6detail17trampoline_kernelINS0_14default_configENS1_25partition_config_selectorILNS1_17partition_subalgoE2EsNS0_10empty_typeEbEEZZNS1_14partition_implILS5_2ELb0ES3_jN6thrust23THRUST_200600_302600_NS6detail15normal_iteratorINSA_7pointerIsNSA_11hip_rocprim3tagENSA_11use_defaultESG_EEEEPS6_NSA_18transform_iteratorINSA_8identityIsEENSC_INSA_10device_ptrIsEEEESG_SG_EENS0_5tupleIJPsSJ_EEENSR_IJSJ_SJ_EEES6_PlJS6_EEE10hipError_tPvRmT3_T4_T5_T6_T7_T9_mT8_P12ihipStream_tbDpT10_ENKUlT_T0_E_clISt17integral_constantIbLb1EES1E_IbLb0EEEEDaS1A_S1B_EUlS1A_E_NS1_11comp_targetILNS1_3genE3ELNS1_11target_archE908ELNS1_3gpuE7ELNS1_3repE0EEENS1_30default_config_static_selectorELNS0_4arch9wavefront6targetE1EEEvT1_, .Lfunc_end564-_ZN7rocprim17ROCPRIM_400000_NS6detail17trampoline_kernelINS0_14default_configENS1_25partition_config_selectorILNS1_17partition_subalgoE2EsNS0_10empty_typeEbEEZZNS1_14partition_implILS5_2ELb0ES3_jN6thrust23THRUST_200600_302600_NS6detail15normal_iteratorINSA_7pointerIsNSA_11hip_rocprim3tagENSA_11use_defaultESG_EEEEPS6_NSA_18transform_iteratorINSA_8identityIsEENSC_INSA_10device_ptrIsEEEESG_SG_EENS0_5tupleIJPsSJ_EEENSR_IJSJ_SJ_EEES6_PlJS6_EEE10hipError_tPvRmT3_T4_T5_T6_T7_T9_mT8_P12ihipStream_tbDpT10_ENKUlT_T0_E_clISt17integral_constantIbLb1EES1E_IbLb0EEEEDaS1A_S1B_EUlS1A_E_NS1_11comp_targetILNS1_3genE3ELNS1_11target_archE908ELNS1_3gpuE7ELNS1_3repE0EEENS1_30default_config_static_selectorELNS0_4arch9wavefront6targetE1EEEvT1_
                                        ; -- End function
	.section	.AMDGPU.csdata,"",@progbits
; Kernel info:
; codeLenInByte = 0
; NumSgprs: 6
; NumVgprs: 0
; NumAgprs: 0
; TotalNumVgprs: 0
; ScratchSize: 0
; MemoryBound: 0
; FloatMode: 240
; IeeeMode: 1
; LDSByteSize: 0 bytes/workgroup (compile time only)
; SGPRBlocks: 0
; VGPRBlocks: 0
; NumSGPRsForWavesPerEU: 6
; NumVGPRsForWavesPerEU: 1
; AccumOffset: 4
; Occupancy: 8
; WaveLimiterHint : 0
; COMPUTE_PGM_RSRC2:SCRATCH_EN: 0
; COMPUTE_PGM_RSRC2:USER_SGPR: 2
; COMPUTE_PGM_RSRC2:TRAP_HANDLER: 0
; COMPUTE_PGM_RSRC2:TGID_X_EN: 1
; COMPUTE_PGM_RSRC2:TGID_Y_EN: 0
; COMPUTE_PGM_RSRC2:TGID_Z_EN: 0
; COMPUTE_PGM_RSRC2:TIDIG_COMP_CNT: 0
; COMPUTE_PGM_RSRC3_GFX90A:ACCUM_OFFSET: 0
; COMPUTE_PGM_RSRC3_GFX90A:TG_SPLIT: 0
	.section	.text._ZN7rocprim17ROCPRIM_400000_NS6detail17trampoline_kernelINS0_14default_configENS1_25partition_config_selectorILNS1_17partition_subalgoE2EsNS0_10empty_typeEbEEZZNS1_14partition_implILS5_2ELb0ES3_jN6thrust23THRUST_200600_302600_NS6detail15normal_iteratorINSA_7pointerIsNSA_11hip_rocprim3tagENSA_11use_defaultESG_EEEEPS6_NSA_18transform_iteratorINSA_8identityIsEENSC_INSA_10device_ptrIsEEEESG_SG_EENS0_5tupleIJPsSJ_EEENSR_IJSJ_SJ_EEES6_PlJS6_EEE10hipError_tPvRmT3_T4_T5_T6_T7_T9_mT8_P12ihipStream_tbDpT10_ENKUlT_T0_E_clISt17integral_constantIbLb1EES1E_IbLb0EEEEDaS1A_S1B_EUlS1A_E_NS1_11comp_targetILNS1_3genE2ELNS1_11target_archE906ELNS1_3gpuE6ELNS1_3repE0EEENS1_30default_config_static_selectorELNS0_4arch9wavefront6targetE1EEEvT1_,"axG",@progbits,_ZN7rocprim17ROCPRIM_400000_NS6detail17trampoline_kernelINS0_14default_configENS1_25partition_config_selectorILNS1_17partition_subalgoE2EsNS0_10empty_typeEbEEZZNS1_14partition_implILS5_2ELb0ES3_jN6thrust23THRUST_200600_302600_NS6detail15normal_iteratorINSA_7pointerIsNSA_11hip_rocprim3tagENSA_11use_defaultESG_EEEEPS6_NSA_18transform_iteratorINSA_8identityIsEENSC_INSA_10device_ptrIsEEEESG_SG_EENS0_5tupleIJPsSJ_EEENSR_IJSJ_SJ_EEES6_PlJS6_EEE10hipError_tPvRmT3_T4_T5_T6_T7_T9_mT8_P12ihipStream_tbDpT10_ENKUlT_T0_E_clISt17integral_constantIbLb1EES1E_IbLb0EEEEDaS1A_S1B_EUlS1A_E_NS1_11comp_targetILNS1_3genE2ELNS1_11target_archE906ELNS1_3gpuE6ELNS1_3repE0EEENS1_30default_config_static_selectorELNS0_4arch9wavefront6targetE1EEEvT1_,comdat
	.protected	_ZN7rocprim17ROCPRIM_400000_NS6detail17trampoline_kernelINS0_14default_configENS1_25partition_config_selectorILNS1_17partition_subalgoE2EsNS0_10empty_typeEbEEZZNS1_14partition_implILS5_2ELb0ES3_jN6thrust23THRUST_200600_302600_NS6detail15normal_iteratorINSA_7pointerIsNSA_11hip_rocprim3tagENSA_11use_defaultESG_EEEEPS6_NSA_18transform_iteratorINSA_8identityIsEENSC_INSA_10device_ptrIsEEEESG_SG_EENS0_5tupleIJPsSJ_EEENSR_IJSJ_SJ_EEES6_PlJS6_EEE10hipError_tPvRmT3_T4_T5_T6_T7_T9_mT8_P12ihipStream_tbDpT10_ENKUlT_T0_E_clISt17integral_constantIbLb1EES1E_IbLb0EEEEDaS1A_S1B_EUlS1A_E_NS1_11comp_targetILNS1_3genE2ELNS1_11target_archE906ELNS1_3gpuE6ELNS1_3repE0EEENS1_30default_config_static_selectorELNS0_4arch9wavefront6targetE1EEEvT1_ ; -- Begin function _ZN7rocprim17ROCPRIM_400000_NS6detail17trampoline_kernelINS0_14default_configENS1_25partition_config_selectorILNS1_17partition_subalgoE2EsNS0_10empty_typeEbEEZZNS1_14partition_implILS5_2ELb0ES3_jN6thrust23THRUST_200600_302600_NS6detail15normal_iteratorINSA_7pointerIsNSA_11hip_rocprim3tagENSA_11use_defaultESG_EEEEPS6_NSA_18transform_iteratorINSA_8identityIsEENSC_INSA_10device_ptrIsEEEESG_SG_EENS0_5tupleIJPsSJ_EEENSR_IJSJ_SJ_EEES6_PlJS6_EEE10hipError_tPvRmT3_T4_T5_T6_T7_T9_mT8_P12ihipStream_tbDpT10_ENKUlT_T0_E_clISt17integral_constantIbLb1EES1E_IbLb0EEEEDaS1A_S1B_EUlS1A_E_NS1_11comp_targetILNS1_3genE2ELNS1_11target_archE906ELNS1_3gpuE6ELNS1_3repE0EEENS1_30default_config_static_selectorELNS0_4arch9wavefront6targetE1EEEvT1_
	.globl	_ZN7rocprim17ROCPRIM_400000_NS6detail17trampoline_kernelINS0_14default_configENS1_25partition_config_selectorILNS1_17partition_subalgoE2EsNS0_10empty_typeEbEEZZNS1_14partition_implILS5_2ELb0ES3_jN6thrust23THRUST_200600_302600_NS6detail15normal_iteratorINSA_7pointerIsNSA_11hip_rocprim3tagENSA_11use_defaultESG_EEEEPS6_NSA_18transform_iteratorINSA_8identityIsEENSC_INSA_10device_ptrIsEEEESG_SG_EENS0_5tupleIJPsSJ_EEENSR_IJSJ_SJ_EEES6_PlJS6_EEE10hipError_tPvRmT3_T4_T5_T6_T7_T9_mT8_P12ihipStream_tbDpT10_ENKUlT_T0_E_clISt17integral_constantIbLb1EES1E_IbLb0EEEEDaS1A_S1B_EUlS1A_E_NS1_11comp_targetILNS1_3genE2ELNS1_11target_archE906ELNS1_3gpuE6ELNS1_3repE0EEENS1_30default_config_static_selectorELNS0_4arch9wavefront6targetE1EEEvT1_
	.p2align	8
	.type	_ZN7rocprim17ROCPRIM_400000_NS6detail17trampoline_kernelINS0_14default_configENS1_25partition_config_selectorILNS1_17partition_subalgoE2EsNS0_10empty_typeEbEEZZNS1_14partition_implILS5_2ELb0ES3_jN6thrust23THRUST_200600_302600_NS6detail15normal_iteratorINSA_7pointerIsNSA_11hip_rocprim3tagENSA_11use_defaultESG_EEEEPS6_NSA_18transform_iteratorINSA_8identityIsEENSC_INSA_10device_ptrIsEEEESG_SG_EENS0_5tupleIJPsSJ_EEENSR_IJSJ_SJ_EEES6_PlJS6_EEE10hipError_tPvRmT3_T4_T5_T6_T7_T9_mT8_P12ihipStream_tbDpT10_ENKUlT_T0_E_clISt17integral_constantIbLb1EES1E_IbLb0EEEEDaS1A_S1B_EUlS1A_E_NS1_11comp_targetILNS1_3genE2ELNS1_11target_archE906ELNS1_3gpuE6ELNS1_3repE0EEENS1_30default_config_static_selectorELNS0_4arch9wavefront6targetE1EEEvT1_,@function
_ZN7rocprim17ROCPRIM_400000_NS6detail17trampoline_kernelINS0_14default_configENS1_25partition_config_selectorILNS1_17partition_subalgoE2EsNS0_10empty_typeEbEEZZNS1_14partition_implILS5_2ELb0ES3_jN6thrust23THRUST_200600_302600_NS6detail15normal_iteratorINSA_7pointerIsNSA_11hip_rocprim3tagENSA_11use_defaultESG_EEEEPS6_NSA_18transform_iteratorINSA_8identityIsEENSC_INSA_10device_ptrIsEEEESG_SG_EENS0_5tupleIJPsSJ_EEENSR_IJSJ_SJ_EEES6_PlJS6_EEE10hipError_tPvRmT3_T4_T5_T6_T7_T9_mT8_P12ihipStream_tbDpT10_ENKUlT_T0_E_clISt17integral_constantIbLb1EES1E_IbLb0EEEEDaS1A_S1B_EUlS1A_E_NS1_11comp_targetILNS1_3genE2ELNS1_11target_archE906ELNS1_3gpuE6ELNS1_3repE0EEENS1_30default_config_static_selectorELNS0_4arch9wavefront6targetE1EEEvT1_: ; @_ZN7rocprim17ROCPRIM_400000_NS6detail17trampoline_kernelINS0_14default_configENS1_25partition_config_selectorILNS1_17partition_subalgoE2EsNS0_10empty_typeEbEEZZNS1_14partition_implILS5_2ELb0ES3_jN6thrust23THRUST_200600_302600_NS6detail15normal_iteratorINSA_7pointerIsNSA_11hip_rocprim3tagENSA_11use_defaultESG_EEEEPS6_NSA_18transform_iteratorINSA_8identityIsEENSC_INSA_10device_ptrIsEEEESG_SG_EENS0_5tupleIJPsSJ_EEENSR_IJSJ_SJ_EEES6_PlJS6_EEE10hipError_tPvRmT3_T4_T5_T6_T7_T9_mT8_P12ihipStream_tbDpT10_ENKUlT_T0_E_clISt17integral_constantIbLb1EES1E_IbLb0EEEEDaS1A_S1B_EUlS1A_E_NS1_11comp_targetILNS1_3genE2ELNS1_11target_archE906ELNS1_3gpuE6ELNS1_3repE0EEENS1_30default_config_static_selectorELNS0_4arch9wavefront6targetE1EEEvT1_
; %bb.0:
	.section	.rodata,"a",@progbits
	.p2align	6, 0x0
	.amdhsa_kernel _ZN7rocprim17ROCPRIM_400000_NS6detail17trampoline_kernelINS0_14default_configENS1_25partition_config_selectorILNS1_17partition_subalgoE2EsNS0_10empty_typeEbEEZZNS1_14partition_implILS5_2ELb0ES3_jN6thrust23THRUST_200600_302600_NS6detail15normal_iteratorINSA_7pointerIsNSA_11hip_rocprim3tagENSA_11use_defaultESG_EEEEPS6_NSA_18transform_iteratorINSA_8identityIsEENSC_INSA_10device_ptrIsEEEESG_SG_EENS0_5tupleIJPsSJ_EEENSR_IJSJ_SJ_EEES6_PlJS6_EEE10hipError_tPvRmT3_T4_T5_T6_T7_T9_mT8_P12ihipStream_tbDpT10_ENKUlT_T0_E_clISt17integral_constantIbLb1EES1E_IbLb0EEEEDaS1A_S1B_EUlS1A_E_NS1_11comp_targetILNS1_3genE2ELNS1_11target_archE906ELNS1_3gpuE6ELNS1_3repE0EEENS1_30default_config_static_selectorELNS0_4arch9wavefront6targetE1EEEvT1_
		.amdhsa_group_segment_fixed_size 0
		.amdhsa_private_segment_fixed_size 0
		.amdhsa_kernarg_size 128
		.amdhsa_user_sgpr_count 2
		.amdhsa_user_sgpr_dispatch_ptr 0
		.amdhsa_user_sgpr_queue_ptr 0
		.amdhsa_user_sgpr_kernarg_segment_ptr 1
		.amdhsa_user_sgpr_dispatch_id 0
		.amdhsa_user_sgpr_kernarg_preload_length 0
		.amdhsa_user_sgpr_kernarg_preload_offset 0
		.amdhsa_user_sgpr_private_segment_size 0
		.amdhsa_uses_dynamic_stack 0
		.amdhsa_enable_private_segment 0
		.amdhsa_system_sgpr_workgroup_id_x 1
		.amdhsa_system_sgpr_workgroup_id_y 0
		.amdhsa_system_sgpr_workgroup_id_z 0
		.amdhsa_system_sgpr_workgroup_info 0
		.amdhsa_system_vgpr_workitem_id 0
		.amdhsa_next_free_vgpr 1
		.amdhsa_next_free_sgpr 0
		.amdhsa_accum_offset 4
		.amdhsa_reserve_vcc 0
		.amdhsa_float_round_mode_32 0
		.amdhsa_float_round_mode_16_64 0
		.amdhsa_float_denorm_mode_32 3
		.amdhsa_float_denorm_mode_16_64 3
		.amdhsa_dx10_clamp 1
		.amdhsa_ieee_mode 1
		.amdhsa_fp16_overflow 0
		.amdhsa_tg_split 0
		.amdhsa_exception_fp_ieee_invalid_op 0
		.amdhsa_exception_fp_denorm_src 0
		.amdhsa_exception_fp_ieee_div_zero 0
		.amdhsa_exception_fp_ieee_overflow 0
		.amdhsa_exception_fp_ieee_underflow 0
		.amdhsa_exception_fp_ieee_inexact 0
		.amdhsa_exception_int_div_zero 0
	.end_amdhsa_kernel
	.section	.text._ZN7rocprim17ROCPRIM_400000_NS6detail17trampoline_kernelINS0_14default_configENS1_25partition_config_selectorILNS1_17partition_subalgoE2EsNS0_10empty_typeEbEEZZNS1_14partition_implILS5_2ELb0ES3_jN6thrust23THRUST_200600_302600_NS6detail15normal_iteratorINSA_7pointerIsNSA_11hip_rocprim3tagENSA_11use_defaultESG_EEEEPS6_NSA_18transform_iteratorINSA_8identityIsEENSC_INSA_10device_ptrIsEEEESG_SG_EENS0_5tupleIJPsSJ_EEENSR_IJSJ_SJ_EEES6_PlJS6_EEE10hipError_tPvRmT3_T4_T5_T6_T7_T9_mT8_P12ihipStream_tbDpT10_ENKUlT_T0_E_clISt17integral_constantIbLb1EES1E_IbLb0EEEEDaS1A_S1B_EUlS1A_E_NS1_11comp_targetILNS1_3genE2ELNS1_11target_archE906ELNS1_3gpuE6ELNS1_3repE0EEENS1_30default_config_static_selectorELNS0_4arch9wavefront6targetE1EEEvT1_,"axG",@progbits,_ZN7rocprim17ROCPRIM_400000_NS6detail17trampoline_kernelINS0_14default_configENS1_25partition_config_selectorILNS1_17partition_subalgoE2EsNS0_10empty_typeEbEEZZNS1_14partition_implILS5_2ELb0ES3_jN6thrust23THRUST_200600_302600_NS6detail15normal_iteratorINSA_7pointerIsNSA_11hip_rocprim3tagENSA_11use_defaultESG_EEEEPS6_NSA_18transform_iteratorINSA_8identityIsEENSC_INSA_10device_ptrIsEEEESG_SG_EENS0_5tupleIJPsSJ_EEENSR_IJSJ_SJ_EEES6_PlJS6_EEE10hipError_tPvRmT3_T4_T5_T6_T7_T9_mT8_P12ihipStream_tbDpT10_ENKUlT_T0_E_clISt17integral_constantIbLb1EES1E_IbLb0EEEEDaS1A_S1B_EUlS1A_E_NS1_11comp_targetILNS1_3genE2ELNS1_11target_archE906ELNS1_3gpuE6ELNS1_3repE0EEENS1_30default_config_static_selectorELNS0_4arch9wavefront6targetE1EEEvT1_,comdat
.Lfunc_end565:
	.size	_ZN7rocprim17ROCPRIM_400000_NS6detail17trampoline_kernelINS0_14default_configENS1_25partition_config_selectorILNS1_17partition_subalgoE2EsNS0_10empty_typeEbEEZZNS1_14partition_implILS5_2ELb0ES3_jN6thrust23THRUST_200600_302600_NS6detail15normal_iteratorINSA_7pointerIsNSA_11hip_rocprim3tagENSA_11use_defaultESG_EEEEPS6_NSA_18transform_iteratorINSA_8identityIsEENSC_INSA_10device_ptrIsEEEESG_SG_EENS0_5tupleIJPsSJ_EEENSR_IJSJ_SJ_EEES6_PlJS6_EEE10hipError_tPvRmT3_T4_T5_T6_T7_T9_mT8_P12ihipStream_tbDpT10_ENKUlT_T0_E_clISt17integral_constantIbLb1EES1E_IbLb0EEEEDaS1A_S1B_EUlS1A_E_NS1_11comp_targetILNS1_3genE2ELNS1_11target_archE906ELNS1_3gpuE6ELNS1_3repE0EEENS1_30default_config_static_selectorELNS0_4arch9wavefront6targetE1EEEvT1_, .Lfunc_end565-_ZN7rocprim17ROCPRIM_400000_NS6detail17trampoline_kernelINS0_14default_configENS1_25partition_config_selectorILNS1_17partition_subalgoE2EsNS0_10empty_typeEbEEZZNS1_14partition_implILS5_2ELb0ES3_jN6thrust23THRUST_200600_302600_NS6detail15normal_iteratorINSA_7pointerIsNSA_11hip_rocprim3tagENSA_11use_defaultESG_EEEEPS6_NSA_18transform_iteratorINSA_8identityIsEENSC_INSA_10device_ptrIsEEEESG_SG_EENS0_5tupleIJPsSJ_EEENSR_IJSJ_SJ_EEES6_PlJS6_EEE10hipError_tPvRmT3_T4_T5_T6_T7_T9_mT8_P12ihipStream_tbDpT10_ENKUlT_T0_E_clISt17integral_constantIbLb1EES1E_IbLb0EEEEDaS1A_S1B_EUlS1A_E_NS1_11comp_targetILNS1_3genE2ELNS1_11target_archE906ELNS1_3gpuE6ELNS1_3repE0EEENS1_30default_config_static_selectorELNS0_4arch9wavefront6targetE1EEEvT1_
                                        ; -- End function
	.section	.AMDGPU.csdata,"",@progbits
; Kernel info:
; codeLenInByte = 0
; NumSgprs: 6
; NumVgprs: 0
; NumAgprs: 0
; TotalNumVgprs: 0
; ScratchSize: 0
; MemoryBound: 0
; FloatMode: 240
; IeeeMode: 1
; LDSByteSize: 0 bytes/workgroup (compile time only)
; SGPRBlocks: 0
; VGPRBlocks: 0
; NumSGPRsForWavesPerEU: 6
; NumVGPRsForWavesPerEU: 1
; AccumOffset: 4
; Occupancy: 8
; WaveLimiterHint : 0
; COMPUTE_PGM_RSRC2:SCRATCH_EN: 0
; COMPUTE_PGM_RSRC2:USER_SGPR: 2
; COMPUTE_PGM_RSRC2:TRAP_HANDLER: 0
; COMPUTE_PGM_RSRC2:TGID_X_EN: 1
; COMPUTE_PGM_RSRC2:TGID_Y_EN: 0
; COMPUTE_PGM_RSRC2:TGID_Z_EN: 0
; COMPUTE_PGM_RSRC2:TIDIG_COMP_CNT: 0
; COMPUTE_PGM_RSRC3_GFX90A:ACCUM_OFFSET: 0
; COMPUTE_PGM_RSRC3_GFX90A:TG_SPLIT: 0
	.section	.text._ZN7rocprim17ROCPRIM_400000_NS6detail17trampoline_kernelINS0_14default_configENS1_25partition_config_selectorILNS1_17partition_subalgoE2EsNS0_10empty_typeEbEEZZNS1_14partition_implILS5_2ELb0ES3_jN6thrust23THRUST_200600_302600_NS6detail15normal_iteratorINSA_7pointerIsNSA_11hip_rocprim3tagENSA_11use_defaultESG_EEEEPS6_NSA_18transform_iteratorINSA_8identityIsEENSC_INSA_10device_ptrIsEEEESG_SG_EENS0_5tupleIJPsSJ_EEENSR_IJSJ_SJ_EEES6_PlJS6_EEE10hipError_tPvRmT3_T4_T5_T6_T7_T9_mT8_P12ihipStream_tbDpT10_ENKUlT_T0_E_clISt17integral_constantIbLb1EES1E_IbLb0EEEEDaS1A_S1B_EUlS1A_E_NS1_11comp_targetILNS1_3genE10ELNS1_11target_archE1200ELNS1_3gpuE4ELNS1_3repE0EEENS1_30default_config_static_selectorELNS0_4arch9wavefront6targetE1EEEvT1_,"axG",@progbits,_ZN7rocprim17ROCPRIM_400000_NS6detail17trampoline_kernelINS0_14default_configENS1_25partition_config_selectorILNS1_17partition_subalgoE2EsNS0_10empty_typeEbEEZZNS1_14partition_implILS5_2ELb0ES3_jN6thrust23THRUST_200600_302600_NS6detail15normal_iteratorINSA_7pointerIsNSA_11hip_rocprim3tagENSA_11use_defaultESG_EEEEPS6_NSA_18transform_iteratorINSA_8identityIsEENSC_INSA_10device_ptrIsEEEESG_SG_EENS0_5tupleIJPsSJ_EEENSR_IJSJ_SJ_EEES6_PlJS6_EEE10hipError_tPvRmT3_T4_T5_T6_T7_T9_mT8_P12ihipStream_tbDpT10_ENKUlT_T0_E_clISt17integral_constantIbLb1EES1E_IbLb0EEEEDaS1A_S1B_EUlS1A_E_NS1_11comp_targetILNS1_3genE10ELNS1_11target_archE1200ELNS1_3gpuE4ELNS1_3repE0EEENS1_30default_config_static_selectorELNS0_4arch9wavefront6targetE1EEEvT1_,comdat
	.protected	_ZN7rocprim17ROCPRIM_400000_NS6detail17trampoline_kernelINS0_14default_configENS1_25partition_config_selectorILNS1_17partition_subalgoE2EsNS0_10empty_typeEbEEZZNS1_14partition_implILS5_2ELb0ES3_jN6thrust23THRUST_200600_302600_NS6detail15normal_iteratorINSA_7pointerIsNSA_11hip_rocprim3tagENSA_11use_defaultESG_EEEEPS6_NSA_18transform_iteratorINSA_8identityIsEENSC_INSA_10device_ptrIsEEEESG_SG_EENS0_5tupleIJPsSJ_EEENSR_IJSJ_SJ_EEES6_PlJS6_EEE10hipError_tPvRmT3_T4_T5_T6_T7_T9_mT8_P12ihipStream_tbDpT10_ENKUlT_T0_E_clISt17integral_constantIbLb1EES1E_IbLb0EEEEDaS1A_S1B_EUlS1A_E_NS1_11comp_targetILNS1_3genE10ELNS1_11target_archE1200ELNS1_3gpuE4ELNS1_3repE0EEENS1_30default_config_static_selectorELNS0_4arch9wavefront6targetE1EEEvT1_ ; -- Begin function _ZN7rocprim17ROCPRIM_400000_NS6detail17trampoline_kernelINS0_14default_configENS1_25partition_config_selectorILNS1_17partition_subalgoE2EsNS0_10empty_typeEbEEZZNS1_14partition_implILS5_2ELb0ES3_jN6thrust23THRUST_200600_302600_NS6detail15normal_iteratorINSA_7pointerIsNSA_11hip_rocprim3tagENSA_11use_defaultESG_EEEEPS6_NSA_18transform_iteratorINSA_8identityIsEENSC_INSA_10device_ptrIsEEEESG_SG_EENS0_5tupleIJPsSJ_EEENSR_IJSJ_SJ_EEES6_PlJS6_EEE10hipError_tPvRmT3_T4_T5_T6_T7_T9_mT8_P12ihipStream_tbDpT10_ENKUlT_T0_E_clISt17integral_constantIbLb1EES1E_IbLb0EEEEDaS1A_S1B_EUlS1A_E_NS1_11comp_targetILNS1_3genE10ELNS1_11target_archE1200ELNS1_3gpuE4ELNS1_3repE0EEENS1_30default_config_static_selectorELNS0_4arch9wavefront6targetE1EEEvT1_
	.globl	_ZN7rocprim17ROCPRIM_400000_NS6detail17trampoline_kernelINS0_14default_configENS1_25partition_config_selectorILNS1_17partition_subalgoE2EsNS0_10empty_typeEbEEZZNS1_14partition_implILS5_2ELb0ES3_jN6thrust23THRUST_200600_302600_NS6detail15normal_iteratorINSA_7pointerIsNSA_11hip_rocprim3tagENSA_11use_defaultESG_EEEEPS6_NSA_18transform_iteratorINSA_8identityIsEENSC_INSA_10device_ptrIsEEEESG_SG_EENS0_5tupleIJPsSJ_EEENSR_IJSJ_SJ_EEES6_PlJS6_EEE10hipError_tPvRmT3_T4_T5_T6_T7_T9_mT8_P12ihipStream_tbDpT10_ENKUlT_T0_E_clISt17integral_constantIbLb1EES1E_IbLb0EEEEDaS1A_S1B_EUlS1A_E_NS1_11comp_targetILNS1_3genE10ELNS1_11target_archE1200ELNS1_3gpuE4ELNS1_3repE0EEENS1_30default_config_static_selectorELNS0_4arch9wavefront6targetE1EEEvT1_
	.p2align	8
	.type	_ZN7rocprim17ROCPRIM_400000_NS6detail17trampoline_kernelINS0_14default_configENS1_25partition_config_selectorILNS1_17partition_subalgoE2EsNS0_10empty_typeEbEEZZNS1_14partition_implILS5_2ELb0ES3_jN6thrust23THRUST_200600_302600_NS6detail15normal_iteratorINSA_7pointerIsNSA_11hip_rocprim3tagENSA_11use_defaultESG_EEEEPS6_NSA_18transform_iteratorINSA_8identityIsEENSC_INSA_10device_ptrIsEEEESG_SG_EENS0_5tupleIJPsSJ_EEENSR_IJSJ_SJ_EEES6_PlJS6_EEE10hipError_tPvRmT3_T4_T5_T6_T7_T9_mT8_P12ihipStream_tbDpT10_ENKUlT_T0_E_clISt17integral_constantIbLb1EES1E_IbLb0EEEEDaS1A_S1B_EUlS1A_E_NS1_11comp_targetILNS1_3genE10ELNS1_11target_archE1200ELNS1_3gpuE4ELNS1_3repE0EEENS1_30default_config_static_selectorELNS0_4arch9wavefront6targetE1EEEvT1_,@function
_ZN7rocprim17ROCPRIM_400000_NS6detail17trampoline_kernelINS0_14default_configENS1_25partition_config_selectorILNS1_17partition_subalgoE2EsNS0_10empty_typeEbEEZZNS1_14partition_implILS5_2ELb0ES3_jN6thrust23THRUST_200600_302600_NS6detail15normal_iteratorINSA_7pointerIsNSA_11hip_rocprim3tagENSA_11use_defaultESG_EEEEPS6_NSA_18transform_iteratorINSA_8identityIsEENSC_INSA_10device_ptrIsEEEESG_SG_EENS0_5tupleIJPsSJ_EEENSR_IJSJ_SJ_EEES6_PlJS6_EEE10hipError_tPvRmT3_T4_T5_T6_T7_T9_mT8_P12ihipStream_tbDpT10_ENKUlT_T0_E_clISt17integral_constantIbLb1EES1E_IbLb0EEEEDaS1A_S1B_EUlS1A_E_NS1_11comp_targetILNS1_3genE10ELNS1_11target_archE1200ELNS1_3gpuE4ELNS1_3repE0EEENS1_30default_config_static_selectorELNS0_4arch9wavefront6targetE1EEEvT1_: ; @_ZN7rocprim17ROCPRIM_400000_NS6detail17trampoline_kernelINS0_14default_configENS1_25partition_config_selectorILNS1_17partition_subalgoE2EsNS0_10empty_typeEbEEZZNS1_14partition_implILS5_2ELb0ES3_jN6thrust23THRUST_200600_302600_NS6detail15normal_iteratorINSA_7pointerIsNSA_11hip_rocprim3tagENSA_11use_defaultESG_EEEEPS6_NSA_18transform_iteratorINSA_8identityIsEENSC_INSA_10device_ptrIsEEEESG_SG_EENS0_5tupleIJPsSJ_EEENSR_IJSJ_SJ_EEES6_PlJS6_EEE10hipError_tPvRmT3_T4_T5_T6_T7_T9_mT8_P12ihipStream_tbDpT10_ENKUlT_T0_E_clISt17integral_constantIbLb1EES1E_IbLb0EEEEDaS1A_S1B_EUlS1A_E_NS1_11comp_targetILNS1_3genE10ELNS1_11target_archE1200ELNS1_3gpuE4ELNS1_3repE0EEENS1_30default_config_static_selectorELNS0_4arch9wavefront6targetE1EEEvT1_
; %bb.0:
	.section	.rodata,"a",@progbits
	.p2align	6, 0x0
	.amdhsa_kernel _ZN7rocprim17ROCPRIM_400000_NS6detail17trampoline_kernelINS0_14default_configENS1_25partition_config_selectorILNS1_17partition_subalgoE2EsNS0_10empty_typeEbEEZZNS1_14partition_implILS5_2ELb0ES3_jN6thrust23THRUST_200600_302600_NS6detail15normal_iteratorINSA_7pointerIsNSA_11hip_rocprim3tagENSA_11use_defaultESG_EEEEPS6_NSA_18transform_iteratorINSA_8identityIsEENSC_INSA_10device_ptrIsEEEESG_SG_EENS0_5tupleIJPsSJ_EEENSR_IJSJ_SJ_EEES6_PlJS6_EEE10hipError_tPvRmT3_T4_T5_T6_T7_T9_mT8_P12ihipStream_tbDpT10_ENKUlT_T0_E_clISt17integral_constantIbLb1EES1E_IbLb0EEEEDaS1A_S1B_EUlS1A_E_NS1_11comp_targetILNS1_3genE10ELNS1_11target_archE1200ELNS1_3gpuE4ELNS1_3repE0EEENS1_30default_config_static_selectorELNS0_4arch9wavefront6targetE1EEEvT1_
		.amdhsa_group_segment_fixed_size 0
		.amdhsa_private_segment_fixed_size 0
		.amdhsa_kernarg_size 128
		.amdhsa_user_sgpr_count 2
		.amdhsa_user_sgpr_dispatch_ptr 0
		.amdhsa_user_sgpr_queue_ptr 0
		.amdhsa_user_sgpr_kernarg_segment_ptr 1
		.amdhsa_user_sgpr_dispatch_id 0
		.amdhsa_user_sgpr_kernarg_preload_length 0
		.amdhsa_user_sgpr_kernarg_preload_offset 0
		.amdhsa_user_sgpr_private_segment_size 0
		.amdhsa_uses_dynamic_stack 0
		.amdhsa_enable_private_segment 0
		.amdhsa_system_sgpr_workgroup_id_x 1
		.amdhsa_system_sgpr_workgroup_id_y 0
		.amdhsa_system_sgpr_workgroup_id_z 0
		.amdhsa_system_sgpr_workgroup_info 0
		.amdhsa_system_vgpr_workitem_id 0
		.amdhsa_next_free_vgpr 1
		.amdhsa_next_free_sgpr 0
		.amdhsa_accum_offset 4
		.amdhsa_reserve_vcc 0
		.amdhsa_float_round_mode_32 0
		.amdhsa_float_round_mode_16_64 0
		.amdhsa_float_denorm_mode_32 3
		.amdhsa_float_denorm_mode_16_64 3
		.amdhsa_dx10_clamp 1
		.amdhsa_ieee_mode 1
		.amdhsa_fp16_overflow 0
		.amdhsa_tg_split 0
		.amdhsa_exception_fp_ieee_invalid_op 0
		.amdhsa_exception_fp_denorm_src 0
		.amdhsa_exception_fp_ieee_div_zero 0
		.amdhsa_exception_fp_ieee_overflow 0
		.amdhsa_exception_fp_ieee_underflow 0
		.amdhsa_exception_fp_ieee_inexact 0
		.amdhsa_exception_int_div_zero 0
	.end_amdhsa_kernel
	.section	.text._ZN7rocprim17ROCPRIM_400000_NS6detail17trampoline_kernelINS0_14default_configENS1_25partition_config_selectorILNS1_17partition_subalgoE2EsNS0_10empty_typeEbEEZZNS1_14partition_implILS5_2ELb0ES3_jN6thrust23THRUST_200600_302600_NS6detail15normal_iteratorINSA_7pointerIsNSA_11hip_rocprim3tagENSA_11use_defaultESG_EEEEPS6_NSA_18transform_iteratorINSA_8identityIsEENSC_INSA_10device_ptrIsEEEESG_SG_EENS0_5tupleIJPsSJ_EEENSR_IJSJ_SJ_EEES6_PlJS6_EEE10hipError_tPvRmT3_T4_T5_T6_T7_T9_mT8_P12ihipStream_tbDpT10_ENKUlT_T0_E_clISt17integral_constantIbLb1EES1E_IbLb0EEEEDaS1A_S1B_EUlS1A_E_NS1_11comp_targetILNS1_3genE10ELNS1_11target_archE1200ELNS1_3gpuE4ELNS1_3repE0EEENS1_30default_config_static_selectorELNS0_4arch9wavefront6targetE1EEEvT1_,"axG",@progbits,_ZN7rocprim17ROCPRIM_400000_NS6detail17trampoline_kernelINS0_14default_configENS1_25partition_config_selectorILNS1_17partition_subalgoE2EsNS0_10empty_typeEbEEZZNS1_14partition_implILS5_2ELb0ES3_jN6thrust23THRUST_200600_302600_NS6detail15normal_iteratorINSA_7pointerIsNSA_11hip_rocprim3tagENSA_11use_defaultESG_EEEEPS6_NSA_18transform_iteratorINSA_8identityIsEENSC_INSA_10device_ptrIsEEEESG_SG_EENS0_5tupleIJPsSJ_EEENSR_IJSJ_SJ_EEES6_PlJS6_EEE10hipError_tPvRmT3_T4_T5_T6_T7_T9_mT8_P12ihipStream_tbDpT10_ENKUlT_T0_E_clISt17integral_constantIbLb1EES1E_IbLb0EEEEDaS1A_S1B_EUlS1A_E_NS1_11comp_targetILNS1_3genE10ELNS1_11target_archE1200ELNS1_3gpuE4ELNS1_3repE0EEENS1_30default_config_static_selectorELNS0_4arch9wavefront6targetE1EEEvT1_,comdat
.Lfunc_end566:
	.size	_ZN7rocprim17ROCPRIM_400000_NS6detail17trampoline_kernelINS0_14default_configENS1_25partition_config_selectorILNS1_17partition_subalgoE2EsNS0_10empty_typeEbEEZZNS1_14partition_implILS5_2ELb0ES3_jN6thrust23THRUST_200600_302600_NS6detail15normal_iteratorINSA_7pointerIsNSA_11hip_rocprim3tagENSA_11use_defaultESG_EEEEPS6_NSA_18transform_iteratorINSA_8identityIsEENSC_INSA_10device_ptrIsEEEESG_SG_EENS0_5tupleIJPsSJ_EEENSR_IJSJ_SJ_EEES6_PlJS6_EEE10hipError_tPvRmT3_T4_T5_T6_T7_T9_mT8_P12ihipStream_tbDpT10_ENKUlT_T0_E_clISt17integral_constantIbLb1EES1E_IbLb0EEEEDaS1A_S1B_EUlS1A_E_NS1_11comp_targetILNS1_3genE10ELNS1_11target_archE1200ELNS1_3gpuE4ELNS1_3repE0EEENS1_30default_config_static_selectorELNS0_4arch9wavefront6targetE1EEEvT1_, .Lfunc_end566-_ZN7rocprim17ROCPRIM_400000_NS6detail17trampoline_kernelINS0_14default_configENS1_25partition_config_selectorILNS1_17partition_subalgoE2EsNS0_10empty_typeEbEEZZNS1_14partition_implILS5_2ELb0ES3_jN6thrust23THRUST_200600_302600_NS6detail15normal_iteratorINSA_7pointerIsNSA_11hip_rocprim3tagENSA_11use_defaultESG_EEEEPS6_NSA_18transform_iteratorINSA_8identityIsEENSC_INSA_10device_ptrIsEEEESG_SG_EENS0_5tupleIJPsSJ_EEENSR_IJSJ_SJ_EEES6_PlJS6_EEE10hipError_tPvRmT3_T4_T5_T6_T7_T9_mT8_P12ihipStream_tbDpT10_ENKUlT_T0_E_clISt17integral_constantIbLb1EES1E_IbLb0EEEEDaS1A_S1B_EUlS1A_E_NS1_11comp_targetILNS1_3genE10ELNS1_11target_archE1200ELNS1_3gpuE4ELNS1_3repE0EEENS1_30default_config_static_selectorELNS0_4arch9wavefront6targetE1EEEvT1_
                                        ; -- End function
	.section	.AMDGPU.csdata,"",@progbits
; Kernel info:
; codeLenInByte = 0
; NumSgprs: 6
; NumVgprs: 0
; NumAgprs: 0
; TotalNumVgprs: 0
; ScratchSize: 0
; MemoryBound: 0
; FloatMode: 240
; IeeeMode: 1
; LDSByteSize: 0 bytes/workgroup (compile time only)
; SGPRBlocks: 0
; VGPRBlocks: 0
; NumSGPRsForWavesPerEU: 6
; NumVGPRsForWavesPerEU: 1
; AccumOffset: 4
; Occupancy: 8
; WaveLimiterHint : 0
; COMPUTE_PGM_RSRC2:SCRATCH_EN: 0
; COMPUTE_PGM_RSRC2:USER_SGPR: 2
; COMPUTE_PGM_RSRC2:TRAP_HANDLER: 0
; COMPUTE_PGM_RSRC2:TGID_X_EN: 1
; COMPUTE_PGM_RSRC2:TGID_Y_EN: 0
; COMPUTE_PGM_RSRC2:TGID_Z_EN: 0
; COMPUTE_PGM_RSRC2:TIDIG_COMP_CNT: 0
; COMPUTE_PGM_RSRC3_GFX90A:ACCUM_OFFSET: 0
; COMPUTE_PGM_RSRC3_GFX90A:TG_SPLIT: 0
	.section	.text._ZN7rocprim17ROCPRIM_400000_NS6detail17trampoline_kernelINS0_14default_configENS1_25partition_config_selectorILNS1_17partition_subalgoE2EsNS0_10empty_typeEbEEZZNS1_14partition_implILS5_2ELb0ES3_jN6thrust23THRUST_200600_302600_NS6detail15normal_iteratorINSA_7pointerIsNSA_11hip_rocprim3tagENSA_11use_defaultESG_EEEEPS6_NSA_18transform_iteratorINSA_8identityIsEENSC_INSA_10device_ptrIsEEEESG_SG_EENS0_5tupleIJPsSJ_EEENSR_IJSJ_SJ_EEES6_PlJS6_EEE10hipError_tPvRmT3_T4_T5_T6_T7_T9_mT8_P12ihipStream_tbDpT10_ENKUlT_T0_E_clISt17integral_constantIbLb1EES1E_IbLb0EEEEDaS1A_S1B_EUlS1A_E_NS1_11comp_targetILNS1_3genE9ELNS1_11target_archE1100ELNS1_3gpuE3ELNS1_3repE0EEENS1_30default_config_static_selectorELNS0_4arch9wavefront6targetE1EEEvT1_,"axG",@progbits,_ZN7rocprim17ROCPRIM_400000_NS6detail17trampoline_kernelINS0_14default_configENS1_25partition_config_selectorILNS1_17partition_subalgoE2EsNS0_10empty_typeEbEEZZNS1_14partition_implILS5_2ELb0ES3_jN6thrust23THRUST_200600_302600_NS6detail15normal_iteratorINSA_7pointerIsNSA_11hip_rocprim3tagENSA_11use_defaultESG_EEEEPS6_NSA_18transform_iteratorINSA_8identityIsEENSC_INSA_10device_ptrIsEEEESG_SG_EENS0_5tupleIJPsSJ_EEENSR_IJSJ_SJ_EEES6_PlJS6_EEE10hipError_tPvRmT3_T4_T5_T6_T7_T9_mT8_P12ihipStream_tbDpT10_ENKUlT_T0_E_clISt17integral_constantIbLb1EES1E_IbLb0EEEEDaS1A_S1B_EUlS1A_E_NS1_11comp_targetILNS1_3genE9ELNS1_11target_archE1100ELNS1_3gpuE3ELNS1_3repE0EEENS1_30default_config_static_selectorELNS0_4arch9wavefront6targetE1EEEvT1_,comdat
	.protected	_ZN7rocprim17ROCPRIM_400000_NS6detail17trampoline_kernelINS0_14default_configENS1_25partition_config_selectorILNS1_17partition_subalgoE2EsNS0_10empty_typeEbEEZZNS1_14partition_implILS5_2ELb0ES3_jN6thrust23THRUST_200600_302600_NS6detail15normal_iteratorINSA_7pointerIsNSA_11hip_rocprim3tagENSA_11use_defaultESG_EEEEPS6_NSA_18transform_iteratorINSA_8identityIsEENSC_INSA_10device_ptrIsEEEESG_SG_EENS0_5tupleIJPsSJ_EEENSR_IJSJ_SJ_EEES6_PlJS6_EEE10hipError_tPvRmT3_T4_T5_T6_T7_T9_mT8_P12ihipStream_tbDpT10_ENKUlT_T0_E_clISt17integral_constantIbLb1EES1E_IbLb0EEEEDaS1A_S1B_EUlS1A_E_NS1_11comp_targetILNS1_3genE9ELNS1_11target_archE1100ELNS1_3gpuE3ELNS1_3repE0EEENS1_30default_config_static_selectorELNS0_4arch9wavefront6targetE1EEEvT1_ ; -- Begin function _ZN7rocprim17ROCPRIM_400000_NS6detail17trampoline_kernelINS0_14default_configENS1_25partition_config_selectorILNS1_17partition_subalgoE2EsNS0_10empty_typeEbEEZZNS1_14partition_implILS5_2ELb0ES3_jN6thrust23THRUST_200600_302600_NS6detail15normal_iteratorINSA_7pointerIsNSA_11hip_rocprim3tagENSA_11use_defaultESG_EEEEPS6_NSA_18transform_iteratorINSA_8identityIsEENSC_INSA_10device_ptrIsEEEESG_SG_EENS0_5tupleIJPsSJ_EEENSR_IJSJ_SJ_EEES6_PlJS6_EEE10hipError_tPvRmT3_T4_T5_T6_T7_T9_mT8_P12ihipStream_tbDpT10_ENKUlT_T0_E_clISt17integral_constantIbLb1EES1E_IbLb0EEEEDaS1A_S1B_EUlS1A_E_NS1_11comp_targetILNS1_3genE9ELNS1_11target_archE1100ELNS1_3gpuE3ELNS1_3repE0EEENS1_30default_config_static_selectorELNS0_4arch9wavefront6targetE1EEEvT1_
	.globl	_ZN7rocprim17ROCPRIM_400000_NS6detail17trampoline_kernelINS0_14default_configENS1_25partition_config_selectorILNS1_17partition_subalgoE2EsNS0_10empty_typeEbEEZZNS1_14partition_implILS5_2ELb0ES3_jN6thrust23THRUST_200600_302600_NS6detail15normal_iteratorINSA_7pointerIsNSA_11hip_rocprim3tagENSA_11use_defaultESG_EEEEPS6_NSA_18transform_iteratorINSA_8identityIsEENSC_INSA_10device_ptrIsEEEESG_SG_EENS0_5tupleIJPsSJ_EEENSR_IJSJ_SJ_EEES6_PlJS6_EEE10hipError_tPvRmT3_T4_T5_T6_T7_T9_mT8_P12ihipStream_tbDpT10_ENKUlT_T0_E_clISt17integral_constantIbLb1EES1E_IbLb0EEEEDaS1A_S1B_EUlS1A_E_NS1_11comp_targetILNS1_3genE9ELNS1_11target_archE1100ELNS1_3gpuE3ELNS1_3repE0EEENS1_30default_config_static_selectorELNS0_4arch9wavefront6targetE1EEEvT1_
	.p2align	8
	.type	_ZN7rocprim17ROCPRIM_400000_NS6detail17trampoline_kernelINS0_14default_configENS1_25partition_config_selectorILNS1_17partition_subalgoE2EsNS0_10empty_typeEbEEZZNS1_14partition_implILS5_2ELb0ES3_jN6thrust23THRUST_200600_302600_NS6detail15normal_iteratorINSA_7pointerIsNSA_11hip_rocprim3tagENSA_11use_defaultESG_EEEEPS6_NSA_18transform_iteratorINSA_8identityIsEENSC_INSA_10device_ptrIsEEEESG_SG_EENS0_5tupleIJPsSJ_EEENSR_IJSJ_SJ_EEES6_PlJS6_EEE10hipError_tPvRmT3_T4_T5_T6_T7_T9_mT8_P12ihipStream_tbDpT10_ENKUlT_T0_E_clISt17integral_constantIbLb1EES1E_IbLb0EEEEDaS1A_S1B_EUlS1A_E_NS1_11comp_targetILNS1_3genE9ELNS1_11target_archE1100ELNS1_3gpuE3ELNS1_3repE0EEENS1_30default_config_static_selectorELNS0_4arch9wavefront6targetE1EEEvT1_,@function
_ZN7rocprim17ROCPRIM_400000_NS6detail17trampoline_kernelINS0_14default_configENS1_25partition_config_selectorILNS1_17partition_subalgoE2EsNS0_10empty_typeEbEEZZNS1_14partition_implILS5_2ELb0ES3_jN6thrust23THRUST_200600_302600_NS6detail15normal_iteratorINSA_7pointerIsNSA_11hip_rocprim3tagENSA_11use_defaultESG_EEEEPS6_NSA_18transform_iteratorINSA_8identityIsEENSC_INSA_10device_ptrIsEEEESG_SG_EENS0_5tupleIJPsSJ_EEENSR_IJSJ_SJ_EEES6_PlJS6_EEE10hipError_tPvRmT3_T4_T5_T6_T7_T9_mT8_P12ihipStream_tbDpT10_ENKUlT_T0_E_clISt17integral_constantIbLb1EES1E_IbLb0EEEEDaS1A_S1B_EUlS1A_E_NS1_11comp_targetILNS1_3genE9ELNS1_11target_archE1100ELNS1_3gpuE3ELNS1_3repE0EEENS1_30default_config_static_selectorELNS0_4arch9wavefront6targetE1EEEvT1_: ; @_ZN7rocprim17ROCPRIM_400000_NS6detail17trampoline_kernelINS0_14default_configENS1_25partition_config_selectorILNS1_17partition_subalgoE2EsNS0_10empty_typeEbEEZZNS1_14partition_implILS5_2ELb0ES3_jN6thrust23THRUST_200600_302600_NS6detail15normal_iteratorINSA_7pointerIsNSA_11hip_rocprim3tagENSA_11use_defaultESG_EEEEPS6_NSA_18transform_iteratorINSA_8identityIsEENSC_INSA_10device_ptrIsEEEESG_SG_EENS0_5tupleIJPsSJ_EEENSR_IJSJ_SJ_EEES6_PlJS6_EEE10hipError_tPvRmT3_T4_T5_T6_T7_T9_mT8_P12ihipStream_tbDpT10_ENKUlT_T0_E_clISt17integral_constantIbLb1EES1E_IbLb0EEEEDaS1A_S1B_EUlS1A_E_NS1_11comp_targetILNS1_3genE9ELNS1_11target_archE1100ELNS1_3gpuE3ELNS1_3repE0EEENS1_30default_config_static_selectorELNS0_4arch9wavefront6targetE1EEEvT1_
; %bb.0:
	.section	.rodata,"a",@progbits
	.p2align	6, 0x0
	.amdhsa_kernel _ZN7rocprim17ROCPRIM_400000_NS6detail17trampoline_kernelINS0_14default_configENS1_25partition_config_selectorILNS1_17partition_subalgoE2EsNS0_10empty_typeEbEEZZNS1_14partition_implILS5_2ELb0ES3_jN6thrust23THRUST_200600_302600_NS6detail15normal_iteratorINSA_7pointerIsNSA_11hip_rocprim3tagENSA_11use_defaultESG_EEEEPS6_NSA_18transform_iteratorINSA_8identityIsEENSC_INSA_10device_ptrIsEEEESG_SG_EENS0_5tupleIJPsSJ_EEENSR_IJSJ_SJ_EEES6_PlJS6_EEE10hipError_tPvRmT3_T4_T5_T6_T7_T9_mT8_P12ihipStream_tbDpT10_ENKUlT_T0_E_clISt17integral_constantIbLb1EES1E_IbLb0EEEEDaS1A_S1B_EUlS1A_E_NS1_11comp_targetILNS1_3genE9ELNS1_11target_archE1100ELNS1_3gpuE3ELNS1_3repE0EEENS1_30default_config_static_selectorELNS0_4arch9wavefront6targetE1EEEvT1_
		.amdhsa_group_segment_fixed_size 0
		.amdhsa_private_segment_fixed_size 0
		.amdhsa_kernarg_size 128
		.amdhsa_user_sgpr_count 2
		.amdhsa_user_sgpr_dispatch_ptr 0
		.amdhsa_user_sgpr_queue_ptr 0
		.amdhsa_user_sgpr_kernarg_segment_ptr 1
		.amdhsa_user_sgpr_dispatch_id 0
		.amdhsa_user_sgpr_kernarg_preload_length 0
		.amdhsa_user_sgpr_kernarg_preload_offset 0
		.amdhsa_user_sgpr_private_segment_size 0
		.amdhsa_uses_dynamic_stack 0
		.amdhsa_enable_private_segment 0
		.amdhsa_system_sgpr_workgroup_id_x 1
		.amdhsa_system_sgpr_workgroup_id_y 0
		.amdhsa_system_sgpr_workgroup_id_z 0
		.amdhsa_system_sgpr_workgroup_info 0
		.amdhsa_system_vgpr_workitem_id 0
		.amdhsa_next_free_vgpr 1
		.amdhsa_next_free_sgpr 0
		.amdhsa_accum_offset 4
		.amdhsa_reserve_vcc 0
		.amdhsa_float_round_mode_32 0
		.amdhsa_float_round_mode_16_64 0
		.amdhsa_float_denorm_mode_32 3
		.amdhsa_float_denorm_mode_16_64 3
		.amdhsa_dx10_clamp 1
		.amdhsa_ieee_mode 1
		.amdhsa_fp16_overflow 0
		.amdhsa_tg_split 0
		.amdhsa_exception_fp_ieee_invalid_op 0
		.amdhsa_exception_fp_denorm_src 0
		.amdhsa_exception_fp_ieee_div_zero 0
		.amdhsa_exception_fp_ieee_overflow 0
		.amdhsa_exception_fp_ieee_underflow 0
		.amdhsa_exception_fp_ieee_inexact 0
		.amdhsa_exception_int_div_zero 0
	.end_amdhsa_kernel
	.section	.text._ZN7rocprim17ROCPRIM_400000_NS6detail17trampoline_kernelINS0_14default_configENS1_25partition_config_selectorILNS1_17partition_subalgoE2EsNS0_10empty_typeEbEEZZNS1_14partition_implILS5_2ELb0ES3_jN6thrust23THRUST_200600_302600_NS6detail15normal_iteratorINSA_7pointerIsNSA_11hip_rocprim3tagENSA_11use_defaultESG_EEEEPS6_NSA_18transform_iteratorINSA_8identityIsEENSC_INSA_10device_ptrIsEEEESG_SG_EENS0_5tupleIJPsSJ_EEENSR_IJSJ_SJ_EEES6_PlJS6_EEE10hipError_tPvRmT3_T4_T5_T6_T7_T9_mT8_P12ihipStream_tbDpT10_ENKUlT_T0_E_clISt17integral_constantIbLb1EES1E_IbLb0EEEEDaS1A_S1B_EUlS1A_E_NS1_11comp_targetILNS1_3genE9ELNS1_11target_archE1100ELNS1_3gpuE3ELNS1_3repE0EEENS1_30default_config_static_selectorELNS0_4arch9wavefront6targetE1EEEvT1_,"axG",@progbits,_ZN7rocprim17ROCPRIM_400000_NS6detail17trampoline_kernelINS0_14default_configENS1_25partition_config_selectorILNS1_17partition_subalgoE2EsNS0_10empty_typeEbEEZZNS1_14partition_implILS5_2ELb0ES3_jN6thrust23THRUST_200600_302600_NS6detail15normal_iteratorINSA_7pointerIsNSA_11hip_rocprim3tagENSA_11use_defaultESG_EEEEPS6_NSA_18transform_iteratorINSA_8identityIsEENSC_INSA_10device_ptrIsEEEESG_SG_EENS0_5tupleIJPsSJ_EEENSR_IJSJ_SJ_EEES6_PlJS6_EEE10hipError_tPvRmT3_T4_T5_T6_T7_T9_mT8_P12ihipStream_tbDpT10_ENKUlT_T0_E_clISt17integral_constantIbLb1EES1E_IbLb0EEEEDaS1A_S1B_EUlS1A_E_NS1_11comp_targetILNS1_3genE9ELNS1_11target_archE1100ELNS1_3gpuE3ELNS1_3repE0EEENS1_30default_config_static_selectorELNS0_4arch9wavefront6targetE1EEEvT1_,comdat
.Lfunc_end567:
	.size	_ZN7rocprim17ROCPRIM_400000_NS6detail17trampoline_kernelINS0_14default_configENS1_25partition_config_selectorILNS1_17partition_subalgoE2EsNS0_10empty_typeEbEEZZNS1_14partition_implILS5_2ELb0ES3_jN6thrust23THRUST_200600_302600_NS6detail15normal_iteratorINSA_7pointerIsNSA_11hip_rocprim3tagENSA_11use_defaultESG_EEEEPS6_NSA_18transform_iteratorINSA_8identityIsEENSC_INSA_10device_ptrIsEEEESG_SG_EENS0_5tupleIJPsSJ_EEENSR_IJSJ_SJ_EEES6_PlJS6_EEE10hipError_tPvRmT3_T4_T5_T6_T7_T9_mT8_P12ihipStream_tbDpT10_ENKUlT_T0_E_clISt17integral_constantIbLb1EES1E_IbLb0EEEEDaS1A_S1B_EUlS1A_E_NS1_11comp_targetILNS1_3genE9ELNS1_11target_archE1100ELNS1_3gpuE3ELNS1_3repE0EEENS1_30default_config_static_selectorELNS0_4arch9wavefront6targetE1EEEvT1_, .Lfunc_end567-_ZN7rocprim17ROCPRIM_400000_NS6detail17trampoline_kernelINS0_14default_configENS1_25partition_config_selectorILNS1_17partition_subalgoE2EsNS0_10empty_typeEbEEZZNS1_14partition_implILS5_2ELb0ES3_jN6thrust23THRUST_200600_302600_NS6detail15normal_iteratorINSA_7pointerIsNSA_11hip_rocprim3tagENSA_11use_defaultESG_EEEEPS6_NSA_18transform_iteratorINSA_8identityIsEENSC_INSA_10device_ptrIsEEEESG_SG_EENS0_5tupleIJPsSJ_EEENSR_IJSJ_SJ_EEES6_PlJS6_EEE10hipError_tPvRmT3_T4_T5_T6_T7_T9_mT8_P12ihipStream_tbDpT10_ENKUlT_T0_E_clISt17integral_constantIbLb1EES1E_IbLb0EEEEDaS1A_S1B_EUlS1A_E_NS1_11comp_targetILNS1_3genE9ELNS1_11target_archE1100ELNS1_3gpuE3ELNS1_3repE0EEENS1_30default_config_static_selectorELNS0_4arch9wavefront6targetE1EEEvT1_
                                        ; -- End function
	.section	.AMDGPU.csdata,"",@progbits
; Kernel info:
; codeLenInByte = 0
; NumSgprs: 6
; NumVgprs: 0
; NumAgprs: 0
; TotalNumVgprs: 0
; ScratchSize: 0
; MemoryBound: 0
; FloatMode: 240
; IeeeMode: 1
; LDSByteSize: 0 bytes/workgroup (compile time only)
; SGPRBlocks: 0
; VGPRBlocks: 0
; NumSGPRsForWavesPerEU: 6
; NumVGPRsForWavesPerEU: 1
; AccumOffset: 4
; Occupancy: 8
; WaveLimiterHint : 0
; COMPUTE_PGM_RSRC2:SCRATCH_EN: 0
; COMPUTE_PGM_RSRC2:USER_SGPR: 2
; COMPUTE_PGM_RSRC2:TRAP_HANDLER: 0
; COMPUTE_PGM_RSRC2:TGID_X_EN: 1
; COMPUTE_PGM_RSRC2:TGID_Y_EN: 0
; COMPUTE_PGM_RSRC2:TGID_Z_EN: 0
; COMPUTE_PGM_RSRC2:TIDIG_COMP_CNT: 0
; COMPUTE_PGM_RSRC3_GFX90A:ACCUM_OFFSET: 0
; COMPUTE_PGM_RSRC3_GFX90A:TG_SPLIT: 0
	.section	.text._ZN7rocprim17ROCPRIM_400000_NS6detail17trampoline_kernelINS0_14default_configENS1_25partition_config_selectorILNS1_17partition_subalgoE2EsNS0_10empty_typeEbEEZZNS1_14partition_implILS5_2ELb0ES3_jN6thrust23THRUST_200600_302600_NS6detail15normal_iteratorINSA_7pointerIsNSA_11hip_rocprim3tagENSA_11use_defaultESG_EEEEPS6_NSA_18transform_iteratorINSA_8identityIsEENSC_INSA_10device_ptrIsEEEESG_SG_EENS0_5tupleIJPsSJ_EEENSR_IJSJ_SJ_EEES6_PlJS6_EEE10hipError_tPvRmT3_T4_T5_T6_T7_T9_mT8_P12ihipStream_tbDpT10_ENKUlT_T0_E_clISt17integral_constantIbLb1EES1E_IbLb0EEEEDaS1A_S1B_EUlS1A_E_NS1_11comp_targetILNS1_3genE8ELNS1_11target_archE1030ELNS1_3gpuE2ELNS1_3repE0EEENS1_30default_config_static_selectorELNS0_4arch9wavefront6targetE1EEEvT1_,"axG",@progbits,_ZN7rocprim17ROCPRIM_400000_NS6detail17trampoline_kernelINS0_14default_configENS1_25partition_config_selectorILNS1_17partition_subalgoE2EsNS0_10empty_typeEbEEZZNS1_14partition_implILS5_2ELb0ES3_jN6thrust23THRUST_200600_302600_NS6detail15normal_iteratorINSA_7pointerIsNSA_11hip_rocprim3tagENSA_11use_defaultESG_EEEEPS6_NSA_18transform_iteratorINSA_8identityIsEENSC_INSA_10device_ptrIsEEEESG_SG_EENS0_5tupleIJPsSJ_EEENSR_IJSJ_SJ_EEES6_PlJS6_EEE10hipError_tPvRmT3_T4_T5_T6_T7_T9_mT8_P12ihipStream_tbDpT10_ENKUlT_T0_E_clISt17integral_constantIbLb1EES1E_IbLb0EEEEDaS1A_S1B_EUlS1A_E_NS1_11comp_targetILNS1_3genE8ELNS1_11target_archE1030ELNS1_3gpuE2ELNS1_3repE0EEENS1_30default_config_static_selectorELNS0_4arch9wavefront6targetE1EEEvT1_,comdat
	.protected	_ZN7rocprim17ROCPRIM_400000_NS6detail17trampoline_kernelINS0_14default_configENS1_25partition_config_selectorILNS1_17partition_subalgoE2EsNS0_10empty_typeEbEEZZNS1_14partition_implILS5_2ELb0ES3_jN6thrust23THRUST_200600_302600_NS6detail15normal_iteratorINSA_7pointerIsNSA_11hip_rocprim3tagENSA_11use_defaultESG_EEEEPS6_NSA_18transform_iteratorINSA_8identityIsEENSC_INSA_10device_ptrIsEEEESG_SG_EENS0_5tupleIJPsSJ_EEENSR_IJSJ_SJ_EEES6_PlJS6_EEE10hipError_tPvRmT3_T4_T5_T6_T7_T9_mT8_P12ihipStream_tbDpT10_ENKUlT_T0_E_clISt17integral_constantIbLb1EES1E_IbLb0EEEEDaS1A_S1B_EUlS1A_E_NS1_11comp_targetILNS1_3genE8ELNS1_11target_archE1030ELNS1_3gpuE2ELNS1_3repE0EEENS1_30default_config_static_selectorELNS0_4arch9wavefront6targetE1EEEvT1_ ; -- Begin function _ZN7rocprim17ROCPRIM_400000_NS6detail17trampoline_kernelINS0_14default_configENS1_25partition_config_selectorILNS1_17partition_subalgoE2EsNS0_10empty_typeEbEEZZNS1_14partition_implILS5_2ELb0ES3_jN6thrust23THRUST_200600_302600_NS6detail15normal_iteratorINSA_7pointerIsNSA_11hip_rocprim3tagENSA_11use_defaultESG_EEEEPS6_NSA_18transform_iteratorINSA_8identityIsEENSC_INSA_10device_ptrIsEEEESG_SG_EENS0_5tupleIJPsSJ_EEENSR_IJSJ_SJ_EEES6_PlJS6_EEE10hipError_tPvRmT3_T4_T5_T6_T7_T9_mT8_P12ihipStream_tbDpT10_ENKUlT_T0_E_clISt17integral_constantIbLb1EES1E_IbLb0EEEEDaS1A_S1B_EUlS1A_E_NS1_11comp_targetILNS1_3genE8ELNS1_11target_archE1030ELNS1_3gpuE2ELNS1_3repE0EEENS1_30default_config_static_selectorELNS0_4arch9wavefront6targetE1EEEvT1_
	.globl	_ZN7rocprim17ROCPRIM_400000_NS6detail17trampoline_kernelINS0_14default_configENS1_25partition_config_selectorILNS1_17partition_subalgoE2EsNS0_10empty_typeEbEEZZNS1_14partition_implILS5_2ELb0ES3_jN6thrust23THRUST_200600_302600_NS6detail15normal_iteratorINSA_7pointerIsNSA_11hip_rocprim3tagENSA_11use_defaultESG_EEEEPS6_NSA_18transform_iteratorINSA_8identityIsEENSC_INSA_10device_ptrIsEEEESG_SG_EENS0_5tupleIJPsSJ_EEENSR_IJSJ_SJ_EEES6_PlJS6_EEE10hipError_tPvRmT3_T4_T5_T6_T7_T9_mT8_P12ihipStream_tbDpT10_ENKUlT_T0_E_clISt17integral_constantIbLb1EES1E_IbLb0EEEEDaS1A_S1B_EUlS1A_E_NS1_11comp_targetILNS1_3genE8ELNS1_11target_archE1030ELNS1_3gpuE2ELNS1_3repE0EEENS1_30default_config_static_selectorELNS0_4arch9wavefront6targetE1EEEvT1_
	.p2align	8
	.type	_ZN7rocprim17ROCPRIM_400000_NS6detail17trampoline_kernelINS0_14default_configENS1_25partition_config_selectorILNS1_17partition_subalgoE2EsNS0_10empty_typeEbEEZZNS1_14partition_implILS5_2ELb0ES3_jN6thrust23THRUST_200600_302600_NS6detail15normal_iteratorINSA_7pointerIsNSA_11hip_rocprim3tagENSA_11use_defaultESG_EEEEPS6_NSA_18transform_iteratorINSA_8identityIsEENSC_INSA_10device_ptrIsEEEESG_SG_EENS0_5tupleIJPsSJ_EEENSR_IJSJ_SJ_EEES6_PlJS6_EEE10hipError_tPvRmT3_T4_T5_T6_T7_T9_mT8_P12ihipStream_tbDpT10_ENKUlT_T0_E_clISt17integral_constantIbLb1EES1E_IbLb0EEEEDaS1A_S1B_EUlS1A_E_NS1_11comp_targetILNS1_3genE8ELNS1_11target_archE1030ELNS1_3gpuE2ELNS1_3repE0EEENS1_30default_config_static_selectorELNS0_4arch9wavefront6targetE1EEEvT1_,@function
_ZN7rocprim17ROCPRIM_400000_NS6detail17trampoline_kernelINS0_14default_configENS1_25partition_config_selectorILNS1_17partition_subalgoE2EsNS0_10empty_typeEbEEZZNS1_14partition_implILS5_2ELb0ES3_jN6thrust23THRUST_200600_302600_NS6detail15normal_iteratorINSA_7pointerIsNSA_11hip_rocprim3tagENSA_11use_defaultESG_EEEEPS6_NSA_18transform_iteratorINSA_8identityIsEENSC_INSA_10device_ptrIsEEEESG_SG_EENS0_5tupleIJPsSJ_EEENSR_IJSJ_SJ_EEES6_PlJS6_EEE10hipError_tPvRmT3_T4_T5_T6_T7_T9_mT8_P12ihipStream_tbDpT10_ENKUlT_T0_E_clISt17integral_constantIbLb1EES1E_IbLb0EEEEDaS1A_S1B_EUlS1A_E_NS1_11comp_targetILNS1_3genE8ELNS1_11target_archE1030ELNS1_3gpuE2ELNS1_3repE0EEENS1_30default_config_static_selectorELNS0_4arch9wavefront6targetE1EEEvT1_: ; @_ZN7rocprim17ROCPRIM_400000_NS6detail17trampoline_kernelINS0_14default_configENS1_25partition_config_selectorILNS1_17partition_subalgoE2EsNS0_10empty_typeEbEEZZNS1_14partition_implILS5_2ELb0ES3_jN6thrust23THRUST_200600_302600_NS6detail15normal_iteratorINSA_7pointerIsNSA_11hip_rocprim3tagENSA_11use_defaultESG_EEEEPS6_NSA_18transform_iteratorINSA_8identityIsEENSC_INSA_10device_ptrIsEEEESG_SG_EENS0_5tupleIJPsSJ_EEENSR_IJSJ_SJ_EEES6_PlJS6_EEE10hipError_tPvRmT3_T4_T5_T6_T7_T9_mT8_P12ihipStream_tbDpT10_ENKUlT_T0_E_clISt17integral_constantIbLb1EES1E_IbLb0EEEEDaS1A_S1B_EUlS1A_E_NS1_11comp_targetILNS1_3genE8ELNS1_11target_archE1030ELNS1_3gpuE2ELNS1_3repE0EEENS1_30default_config_static_selectorELNS0_4arch9wavefront6targetE1EEEvT1_
; %bb.0:
	.section	.rodata,"a",@progbits
	.p2align	6, 0x0
	.amdhsa_kernel _ZN7rocprim17ROCPRIM_400000_NS6detail17trampoline_kernelINS0_14default_configENS1_25partition_config_selectorILNS1_17partition_subalgoE2EsNS0_10empty_typeEbEEZZNS1_14partition_implILS5_2ELb0ES3_jN6thrust23THRUST_200600_302600_NS6detail15normal_iteratorINSA_7pointerIsNSA_11hip_rocprim3tagENSA_11use_defaultESG_EEEEPS6_NSA_18transform_iteratorINSA_8identityIsEENSC_INSA_10device_ptrIsEEEESG_SG_EENS0_5tupleIJPsSJ_EEENSR_IJSJ_SJ_EEES6_PlJS6_EEE10hipError_tPvRmT3_T4_T5_T6_T7_T9_mT8_P12ihipStream_tbDpT10_ENKUlT_T0_E_clISt17integral_constantIbLb1EES1E_IbLb0EEEEDaS1A_S1B_EUlS1A_E_NS1_11comp_targetILNS1_3genE8ELNS1_11target_archE1030ELNS1_3gpuE2ELNS1_3repE0EEENS1_30default_config_static_selectorELNS0_4arch9wavefront6targetE1EEEvT1_
		.amdhsa_group_segment_fixed_size 0
		.amdhsa_private_segment_fixed_size 0
		.amdhsa_kernarg_size 128
		.amdhsa_user_sgpr_count 2
		.amdhsa_user_sgpr_dispatch_ptr 0
		.amdhsa_user_sgpr_queue_ptr 0
		.amdhsa_user_sgpr_kernarg_segment_ptr 1
		.amdhsa_user_sgpr_dispatch_id 0
		.amdhsa_user_sgpr_kernarg_preload_length 0
		.amdhsa_user_sgpr_kernarg_preload_offset 0
		.amdhsa_user_sgpr_private_segment_size 0
		.amdhsa_uses_dynamic_stack 0
		.amdhsa_enable_private_segment 0
		.amdhsa_system_sgpr_workgroup_id_x 1
		.amdhsa_system_sgpr_workgroup_id_y 0
		.amdhsa_system_sgpr_workgroup_id_z 0
		.amdhsa_system_sgpr_workgroup_info 0
		.amdhsa_system_vgpr_workitem_id 0
		.amdhsa_next_free_vgpr 1
		.amdhsa_next_free_sgpr 0
		.amdhsa_accum_offset 4
		.amdhsa_reserve_vcc 0
		.amdhsa_float_round_mode_32 0
		.amdhsa_float_round_mode_16_64 0
		.amdhsa_float_denorm_mode_32 3
		.amdhsa_float_denorm_mode_16_64 3
		.amdhsa_dx10_clamp 1
		.amdhsa_ieee_mode 1
		.amdhsa_fp16_overflow 0
		.amdhsa_tg_split 0
		.amdhsa_exception_fp_ieee_invalid_op 0
		.amdhsa_exception_fp_denorm_src 0
		.amdhsa_exception_fp_ieee_div_zero 0
		.amdhsa_exception_fp_ieee_overflow 0
		.amdhsa_exception_fp_ieee_underflow 0
		.amdhsa_exception_fp_ieee_inexact 0
		.amdhsa_exception_int_div_zero 0
	.end_amdhsa_kernel
	.section	.text._ZN7rocprim17ROCPRIM_400000_NS6detail17trampoline_kernelINS0_14default_configENS1_25partition_config_selectorILNS1_17partition_subalgoE2EsNS0_10empty_typeEbEEZZNS1_14partition_implILS5_2ELb0ES3_jN6thrust23THRUST_200600_302600_NS6detail15normal_iteratorINSA_7pointerIsNSA_11hip_rocprim3tagENSA_11use_defaultESG_EEEEPS6_NSA_18transform_iteratorINSA_8identityIsEENSC_INSA_10device_ptrIsEEEESG_SG_EENS0_5tupleIJPsSJ_EEENSR_IJSJ_SJ_EEES6_PlJS6_EEE10hipError_tPvRmT3_T4_T5_T6_T7_T9_mT8_P12ihipStream_tbDpT10_ENKUlT_T0_E_clISt17integral_constantIbLb1EES1E_IbLb0EEEEDaS1A_S1B_EUlS1A_E_NS1_11comp_targetILNS1_3genE8ELNS1_11target_archE1030ELNS1_3gpuE2ELNS1_3repE0EEENS1_30default_config_static_selectorELNS0_4arch9wavefront6targetE1EEEvT1_,"axG",@progbits,_ZN7rocprim17ROCPRIM_400000_NS6detail17trampoline_kernelINS0_14default_configENS1_25partition_config_selectorILNS1_17partition_subalgoE2EsNS0_10empty_typeEbEEZZNS1_14partition_implILS5_2ELb0ES3_jN6thrust23THRUST_200600_302600_NS6detail15normal_iteratorINSA_7pointerIsNSA_11hip_rocprim3tagENSA_11use_defaultESG_EEEEPS6_NSA_18transform_iteratorINSA_8identityIsEENSC_INSA_10device_ptrIsEEEESG_SG_EENS0_5tupleIJPsSJ_EEENSR_IJSJ_SJ_EEES6_PlJS6_EEE10hipError_tPvRmT3_T4_T5_T6_T7_T9_mT8_P12ihipStream_tbDpT10_ENKUlT_T0_E_clISt17integral_constantIbLb1EES1E_IbLb0EEEEDaS1A_S1B_EUlS1A_E_NS1_11comp_targetILNS1_3genE8ELNS1_11target_archE1030ELNS1_3gpuE2ELNS1_3repE0EEENS1_30default_config_static_selectorELNS0_4arch9wavefront6targetE1EEEvT1_,comdat
.Lfunc_end568:
	.size	_ZN7rocprim17ROCPRIM_400000_NS6detail17trampoline_kernelINS0_14default_configENS1_25partition_config_selectorILNS1_17partition_subalgoE2EsNS0_10empty_typeEbEEZZNS1_14partition_implILS5_2ELb0ES3_jN6thrust23THRUST_200600_302600_NS6detail15normal_iteratorINSA_7pointerIsNSA_11hip_rocprim3tagENSA_11use_defaultESG_EEEEPS6_NSA_18transform_iteratorINSA_8identityIsEENSC_INSA_10device_ptrIsEEEESG_SG_EENS0_5tupleIJPsSJ_EEENSR_IJSJ_SJ_EEES6_PlJS6_EEE10hipError_tPvRmT3_T4_T5_T6_T7_T9_mT8_P12ihipStream_tbDpT10_ENKUlT_T0_E_clISt17integral_constantIbLb1EES1E_IbLb0EEEEDaS1A_S1B_EUlS1A_E_NS1_11comp_targetILNS1_3genE8ELNS1_11target_archE1030ELNS1_3gpuE2ELNS1_3repE0EEENS1_30default_config_static_selectorELNS0_4arch9wavefront6targetE1EEEvT1_, .Lfunc_end568-_ZN7rocprim17ROCPRIM_400000_NS6detail17trampoline_kernelINS0_14default_configENS1_25partition_config_selectorILNS1_17partition_subalgoE2EsNS0_10empty_typeEbEEZZNS1_14partition_implILS5_2ELb0ES3_jN6thrust23THRUST_200600_302600_NS6detail15normal_iteratorINSA_7pointerIsNSA_11hip_rocprim3tagENSA_11use_defaultESG_EEEEPS6_NSA_18transform_iteratorINSA_8identityIsEENSC_INSA_10device_ptrIsEEEESG_SG_EENS0_5tupleIJPsSJ_EEENSR_IJSJ_SJ_EEES6_PlJS6_EEE10hipError_tPvRmT3_T4_T5_T6_T7_T9_mT8_P12ihipStream_tbDpT10_ENKUlT_T0_E_clISt17integral_constantIbLb1EES1E_IbLb0EEEEDaS1A_S1B_EUlS1A_E_NS1_11comp_targetILNS1_3genE8ELNS1_11target_archE1030ELNS1_3gpuE2ELNS1_3repE0EEENS1_30default_config_static_selectorELNS0_4arch9wavefront6targetE1EEEvT1_
                                        ; -- End function
	.section	.AMDGPU.csdata,"",@progbits
; Kernel info:
; codeLenInByte = 0
; NumSgprs: 6
; NumVgprs: 0
; NumAgprs: 0
; TotalNumVgprs: 0
; ScratchSize: 0
; MemoryBound: 0
; FloatMode: 240
; IeeeMode: 1
; LDSByteSize: 0 bytes/workgroup (compile time only)
; SGPRBlocks: 0
; VGPRBlocks: 0
; NumSGPRsForWavesPerEU: 6
; NumVGPRsForWavesPerEU: 1
; AccumOffset: 4
; Occupancy: 8
; WaveLimiterHint : 0
; COMPUTE_PGM_RSRC2:SCRATCH_EN: 0
; COMPUTE_PGM_RSRC2:USER_SGPR: 2
; COMPUTE_PGM_RSRC2:TRAP_HANDLER: 0
; COMPUTE_PGM_RSRC2:TGID_X_EN: 1
; COMPUTE_PGM_RSRC2:TGID_Y_EN: 0
; COMPUTE_PGM_RSRC2:TGID_Z_EN: 0
; COMPUTE_PGM_RSRC2:TIDIG_COMP_CNT: 0
; COMPUTE_PGM_RSRC3_GFX90A:ACCUM_OFFSET: 0
; COMPUTE_PGM_RSRC3_GFX90A:TG_SPLIT: 0
	.section	.text._ZN7rocprim17ROCPRIM_400000_NS6detail17trampoline_kernelINS0_14default_configENS1_25partition_config_selectorILNS1_17partition_subalgoE2EsNS0_10empty_typeEbEEZZNS1_14partition_implILS5_2ELb0ES3_jN6thrust23THRUST_200600_302600_NS6detail15normal_iteratorINSA_7pointerIsNSA_11hip_rocprim3tagENSA_11use_defaultESG_EEEEPS6_NSA_18transform_iteratorINSA_8identityIsEENSC_INSA_10device_ptrIsEEEESG_SG_EENS0_5tupleIJPsSJ_EEENSR_IJSJ_SJ_EEES6_PlJS6_EEE10hipError_tPvRmT3_T4_T5_T6_T7_T9_mT8_P12ihipStream_tbDpT10_ENKUlT_T0_E_clISt17integral_constantIbLb0EES1E_IbLb1EEEEDaS1A_S1B_EUlS1A_E_NS1_11comp_targetILNS1_3genE0ELNS1_11target_archE4294967295ELNS1_3gpuE0ELNS1_3repE0EEENS1_30default_config_static_selectorELNS0_4arch9wavefront6targetE1EEEvT1_,"axG",@progbits,_ZN7rocprim17ROCPRIM_400000_NS6detail17trampoline_kernelINS0_14default_configENS1_25partition_config_selectorILNS1_17partition_subalgoE2EsNS0_10empty_typeEbEEZZNS1_14partition_implILS5_2ELb0ES3_jN6thrust23THRUST_200600_302600_NS6detail15normal_iteratorINSA_7pointerIsNSA_11hip_rocprim3tagENSA_11use_defaultESG_EEEEPS6_NSA_18transform_iteratorINSA_8identityIsEENSC_INSA_10device_ptrIsEEEESG_SG_EENS0_5tupleIJPsSJ_EEENSR_IJSJ_SJ_EEES6_PlJS6_EEE10hipError_tPvRmT3_T4_T5_T6_T7_T9_mT8_P12ihipStream_tbDpT10_ENKUlT_T0_E_clISt17integral_constantIbLb0EES1E_IbLb1EEEEDaS1A_S1B_EUlS1A_E_NS1_11comp_targetILNS1_3genE0ELNS1_11target_archE4294967295ELNS1_3gpuE0ELNS1_3repE0EEENS1_30default_config_static_selectorELNS0_4arch9wavefront6targetE1EEEvT1_,comdat
	.protected	_ZN7rocprim17ROCPRIM_400000_NS6detail17trampoline_kernelINS0_14default_configENS1_25partition_config_selectorILNS1_17partition_subalgoE2EsNS0_10empty_typeEbEEZZNS1_14partition_implILS5_2ELb0ES3_jN6thrust23THRUST_200600_302600_NS6detail15normal_iteratorINSA_7pointerIsNSA_11hip_rocprim3tagENSA_11use_defaultESG_EEEEPS6_NSA_18transform_iteratorINSA_8identityIsEENSC_INSA_10device_ptrIsEEEESG_SG_EENS0_5tupleIJPsSJ_EEENSR_IJSJ_SJ_EEES6_PlJS6_EEE10hipError_tPvRmT3_T4_T5_T6_T7_T9_mT8_P12ihipStream_tbDpT10_ENKUlT_T0_E_clISt17integral_constantIbLb0EES1E_IbLb1EEEEDaS1A_S1B_EUlS1A_E_NS1_11comp_targetILNS1_3genE0ELNS1_11target_archE4294967295ELNS1_3gpuE0ELNS1_3repE0EEENS1_30default_config_static_selectorELNS0_4arch9wavefront6targetE1EEEvT1_ ; -- Begin function _ZN7rocprim17ROCPRIM_400000_NS6detail17trampoline_kernelINS0_14default_configENS1_25partition_config_selectorILNS1_17partition_subalgoE2EsNS0_10empty_typeEbEEZZNS1_14partition_implILS5_2ELb0ES3_jN6thrust23THRUST_200600_302600_NS6detail15normal_iteratorINSA_7pointerIsNSA_11hip_rocprim3tagENSA_11use_defaultESG_EEEEPS6_NSA_18transform_iteratorINSA_8identityIsEENSC_INSA_10device_ptrIsEEEESG_SG_EENS0_5tupleIJPsSJ_EEENSR_IJSJ_SJ_EEES6_PlJS6_EEE10hipError_tPvRmT3_T4_T5_T6_T7_T9_mT8_P12ihipStream_tbDpT10_ENKUlT_T0_E_clISt17integral_constantIbLb0EES1E_IbLb1EEEEDaS1A_S1B_EUlS1A_E_NS1_11comp_targetILNS1_3genE0ELNS1_11target_archE4294967295ELNS1_3gpuE0ELNS1_3repE0EEENS1_30default_config_static_selectorELNS0_4arch9wavefront6targetE1EEEvT1_
	.globl	_ZN7rocprim17ROCPRIM_400000_NS6detail17trampoline_kernelINS0_14default_configENS1_25partition_config_selectorILNS1_17partition_subalgoE2EsNS0_10empty_typeEbEEZZNS1_14partition_implILS5_2ELb0ES3_jN6thrust23THRUST_200600_302600_NS6detail15normal_iteratorINSA_7pointerIsNSA_11hip_rocprim3tagENSA_11use_defaultESG_EEEEPS6_NSA_18transform_iteratorINSA_8identityIsEENSC_INSA_10device_ptrIsEEEESG_SG_EENS0_5tupleIJPsSJ_EEENSR_IJSJ_SJ_EEES6_PlJS6_EEE10hipError_tPvRmT3_T4_T5_T6_T7_T9_mT8_P12ihipStream_tbDpT10_ENKUlT_T0_E_clISt17integral_constantIbLb0EES1E_IbLb1EEEEDaS1A_S1B_EUlS1A_E_NS1_11comp_targetILNS1_3genE0ELNS1_11target_archE4294967295ELNS1_3gpuE0ELNS1_3repE0EEENS1_30default_config_static_selectorELNS0_4arch9wavefront6targetE1EEEvT1_
	.p2align	8
	.type	_ZN7rocprim17ROCPRIM_400000_NS6detail17trampoline_kernelINS0_14default_configENS1_25partition_config_selectorILNS1_17partition_subalgoE2EsNS0_10empty_typeEbEEZZNS1_14partition_implILS5_2ELb0ES3_jN6thrust23THRUST_200600_302600_NS6detail15normal_iteratorINSA_7pointerIsNSA_11hip_rocprim3tagENSA_11use_defaultESG_EEEEPS6_NSA_18transform_iteratorINSA_8identityIsEENSC_INSA_10device_ptrIsEEEESG_SG_EENS0_5tupleIJPsSJ_EEENSR_IJSJ_SJ_EEES6_PlJS6_EEE10hipError_tPvRmT3_T4_T5_T6_T7_T9_mT8_P12ihipStream_tbDpT10_ENKUlT_T0_E_clISt17integral_constantIbLb0EES1E_IbLb1EEEEDaS1A_S1B_EUlS1A_E_NS1_11comp_targetILNS1_3genE0ELNS1_11target_archE4294967295ELNS1_3gpuE0ELNS1_3repE0EEENS1_30default_config_static_selectorELNS0_4arch9wavefront6targetE1EEEvT1_,@function
_ZN7rocprim17ROCPRIM_400000_NS6detail17trampoline_kernelINS0_14default_configENS1_25partition_config_selectorILNS1_17partition_subalgoE2EsNS0_10empty_typeEbEEZZNS1_14partition_implILS5_2ELb0ES3_jN6thrust23THRUST_200600_302600_NS6detail15normal_iteratorINSA_7pointerIsNSA_11hip_rocprim3tagENSA_11use_defaultESG_EEEEPS6_NSA_18transform_iteratorINSA_8identityIsEENSC_INSA_10device_ptrIsEEEESG_SG_EENS0_5tupleIJPsSJ_EEENSR_IJSJ_SJ_EEES6_PlJS6_EEE10hipError_tPvRmT3_T4_T5_T6_T7_T9_mT8_P12ihipStream_tbDpT10_ENKUlT_T0_E_clISt17integral_constantIbLb0EES1E_IbLb1EEEEDaS1A_S1B_EUlS1A_E_NS1_11comp_targetILNS1_3genE0ELNS1_11target_archE4294967295ELNS1_3gpuE0ELNS1_3repE0EEENS1_30default_config_static_selectorELNS0_4arch9wavefront6targetE1EEEvT1_: ; @_ZN7rocprim17ROCPRIM_400000_NS6detail17trampoline_kernelINS0_14default_configENS1_25partition_config_selectorILNS1_17partition_subalgoE2EsNS0_10empty_typeEbEEZZNS1_14partition_implILS5_2ELb0ES3_jN6thrust23THRUST_200600_302600_NS6detail15normal_iteratorINSA_7pointerIsNSA_11hip_rocprim3tagENSA_11use_defaultESG_EEEEPS6_NSA_18transform_iteratorINSA_8identityIsEENSC_INSA_10device_ptrIsEEEESG_SG_EENS0_5tupleIJPsSJ_EEENSR_IJSJ_SJ_EEES6_PlJS6_EEE10hipError_tPvRmT3_T4_T5_T6_T7_T9_mT8_P12ihipStream_tbDpT10_ENKUlT_T0_E_clISt17integral_constantIbLb0EES1E_IbLb1EEEEDaS1A_S1B_EUlS1A_E_NS1_11comp_targetILNS1_3genE0ELNS1_11target_archE4294967295ELNS1_3gpuE0ELNS1_3repE0EEENS1_30default_config_static_selectorELNS0_4arch9wavefront6targetE1EEEvT1_
; %bb.0:
	.section	.rodata,"a",@progbits
	.p2align	6, 0x0
	.amdhsa_kernel _ZN7rocprim17ROCPRIM_400000_NS6detail17trampoline_kernelINS0_14default_configENS1_25partition_config_selectorILNS1_17partition_subalgoE2EsNS0_10empty_typeEbEEZZNS1_14partition_implILS5_2ELb0ES3_jN6thrust23THRUST_200600_302600_NS6detail15normal_iteratorINSA_7pointerIsNSA_11hip_rocprim3tagENSA_11use_defaultESG_EEEEPS6_NSA_18transform_iteratorINSA_8identityIsEENSC_INSA_10device_ptrIsEEEESG_SG_EENS0_5tupleIJPsSJ_EEENSR_IJSJ_SJ_EEES6_PlJS6_EEE10hipError_tPvRmT3_T4_T5_T6_T7_T9_mT8_P12ihipStream_tbDpT10_ENKUlT_T0_E_clISt17integral_constantIbLb0EES1E_IbLb1EEEEDaS1A_S1B_EUlS1A_E_NS1_11comp_targetILNS1_3genE0ELNS1_11target_archE4294967295ELNS1_3gpuE0ELNS1_3repE0EEENS1_30default_config_static_selectorELNS0_4arch9wavefront6targetE1EEEvT1_
		.amdhsa_group_segment_fixed_size 0
		.amdhsa_private_segment_fixed_size 0
		.amdhsa_kernarg_size 144
		.amdhsa_user_sgpr_count 2
		.amdhsa_user_sgpr_dispatch_ptr 0
		.amdhsa_user_sgpr_queue_ptr 0
		.amdhsa_user_sgpr_kernarg_segment_ptr 1
		.amdhsa_user_sgpr_dispatch_id 0
		.amdhsa_user_sgpr_kernarg_preload_length 0
		.amdhsa_user_sgpr_kernarg_preload_offset 0
		.amdhsa_user_sgpr_private_segment_size 0
		.amdhsa_uses_dynamic_stack 0
		.amdhsa_enable_private_segment 0
		.amdhsa_system_sgpr_workgroup_id_x 1
		.amdhsa_system_sgpr_workgroup_id_y 0
		.amdhsa_system_sgpr_workgroup_id_z 0
		.amdhsa_system_sgpr_workgroup_info 0
		.amdhsa_system_vgpr_workitem_id 0
		.amdhsa_next_free_vgpr 1
		.amdhsa_next_free_sgpr 0
		.amdhsa_accum_offset 4
		.amdhsa_reserve_vcc 0
		.amdhsa_float_round_mode_32 0
		.amdhsa_float_round_mode_16_64 0
		.amdhsa_float_denorm_mode_32 3
		.amdhsa_float_denorm_mode_16_64 3
		.amdhsa_dx10_clamp 1
		.amdhsa_ieee_mode 1
		.amdhsa_fp16_overflow 0
		.amdhsa_tg_split 0
		.amdhsa_exception_fp_ieee_invalid_op 0
		.amdhsa_exception_fp_denorm_src 0
		.amdhsa_exception_fp_ieee_div_zero 0
		.amdhsa_exception_fp_ieee_overflow 0
		.amdhsa_exception_fp_ieee_underflow 0
		.amdhsa_exception_fp_ieee_inexact 0
		.amdhsa_exception_int_div_zero 0
	.end_amdhsa_kernel
	.section	.text._ZN7rocprim17ROCPRIM_400000_NS6detail17trampoline_kernelINS0_14default_configENS1_25partition_config_selectorILNS1_17partition_subalgoE2EsNS0_10empty_typeEbEEZZNS1_14partition_implILS5_2ELb0ES3_jN6thrust23THRUST_200600_302600_NS6detail15normal_iteratorINSA_7pointerIsNSA_11hip_rocprim3tagENSA_11use_defaultESG_EEEEPS6_NSA_18transform_iteratorINSA_8identityIsEENSC_INSA_10device_ptrIsEEEESG_SG_EENS0_5tupleIJPsSJ_EEENSR_IJSJ_SJ_EEES6_PlJS6_EEE10hipError_tPvRmT3_T4_T5_T6_T7_T9_mT8_P12ihipStream_tbDpT10_ENKUlT_T0_E_clISt17integral_constantIbLb0EES1E_IbLb1EEEEDaS1A_S1B_EUlS1A_E_NS1_11comp_targetILNS1_3genE0ELNS1_11target_archE4294967295ELNS1_3gpuE0ELNS1_3repE0EEENS1_30default_config_static_selectorELNS0_4arch9wavefront6targetE1EEEvT1_,"axG",@progbits,_ZN7rocprim17ROCPRIM_400000_NS6detail17trampoline_kernelINS0_14default_configENS1_25partition_config_selectorILNS1_17partition_subalgoE2EsNS0_10empty_typeEbEEZZNS1_14partition_implILS5_2ELb0ES3_jN6thrust23THRUST_200600_302600_NS6detail15normal_iteratorINSA_7pointerIsNSA_11hip_rocprim3tagENSA_11use_defaultESG_EEEEPS6_NSA_18transform_iteratorINSA_8identityIsEENSC_INSA_10device_ptrIsEEEESG_SG_EENS0_5tupleIJPsSJ_EEENSR_IJSJ_SJ_EEES6_PlJS6_EEE10hipError_tPvRmT3_T4_T5_T6_T7_T9_mT8_P12ihipStream_tbDpT10_ENKUlT_T0_E_clISt17integral_constantIbLb0EES1E_IbLb1EEEEDaS1A_S1B_EUlS1A_E_NS1_11comp_targetILNS1_3genE0ELNS1_11target_archE4294967295ELNS1_3gpuE0ELNS1_3repE0EEENS1_30default_config_static_selectorELNS0_4arch9wavefront6targetE1EEEvT1_,comdat
.Lfunc_end569:
	.size	_ZN7rocprim17ROCPRIM_400000_NS6detail17trampoline_kernelINS0_14default_configENS1_25partition_config_selectorILNS1_17partition_subalgoE2EsNS0_10empty_typeEbEEZZNS1_14partition_implILS5_2ELb0ES3_jN6thrust23THRUST_200600_302600_NS6detail15normal_iteratorINSA_7pointerIsNSA_11hip_rocprim3tagENSA_11use_defaultESG_EEEEPS6_NSA_18transform_iteratorINSA_8identityIsEENSC_INSA_10device_ptrIsEEEESG_SG_EENS0_5tupleIJPsSJ_EEENSR_IJSJ_SJ_EEES6_PlJS6_EEE10hipError_tPvRmT3_T4_T5_T6_T7_T9_mT8_P12ihipStream_tbDpT10_ENKUlT_T0_E_clISt17integral_constantIbLb0EES1E_IbLb1EEEEDaS1A_S1B_EUlS1A_E_NS1_11comp_targetILNS1_3genE0ELNS1_11target_archE4294967295ELNS1_3gpuE0ELNS1_3repE0EEENS1_30default_config_static_selectorELNS0_4arch9wavefront6targetE1EEEvT1_, .Lfunc_end569-_ZN7rocprim17ROCPRIM_400000_NS6detail17trampoline_kernelINS0_14default_configENS1_25partition_config_selectorILNS1_17partition_subalgoE2EsNS0_10empty_typeEbEEZZNS1_14partition_implILS5_2ELb0ES3_jN6thrust23THRUST_200600_302600_NS6detail15normal_iteratorINSA_7pointerIsNSA_11hip_rocprim3tagENSA_11use_defaultESG_EEEEPS6_NSA_18transform_iteratorINSA_8identityIsEENSC_INSA_10device_ptrIsEEEESG_SG_EENS0_5tupleIJPsSJ_EEENSR_IJSJ_SJ_EEES6_PlJS6_EEE10hipError_tPvRmT3_T4_T5_T6_T7_T9_mT8_P12ihipStream_tbDpT10_ENKUlT_T0_E_clISt17integral_constantIbLb0EES1E_IbLb1EEEEDaS1A_S1B_EUlS1A_E_NS1_11comp_targetILNS1_3genE0ELNS1_11target_archE4294967295ELNS1_3gpuE0ELNS1_3repE0EEENS1_30default_config_static_selectorELNS0_4arch9wavefront6targetE1EEEvT1_
                                        ; -- End function
	.section	.AMDGPU.csdata,"",@progbits
; Kernel info:
; codeLenInByte = 0
; NumSgprs: 6
; NumVgprs: 0
; NumAgprs: 0
; TotalNumVgprs: 0
; ScratchSize: 0
; MemoryBound: 0
; FloatMode: 240
; IeeeMode: 1
; LDSByteSize: 0 bytes/workgroup (compile time only)
; SGPRBlocks: 0
; VGPRBlocks: 0
; NumSGPRsForWavesPerEU: 6
; NumVGPRsForWavesPerEU: 1
; AccumOffset: 4
; Occupancy: 8
; WaveLimiterHint : 0
; COMPUTE_PGM_RSRC2:SCRATCH_EN: 0
; COMPUTE_PGM_RSRC2:USER_SGPR: 2
; COMPUTE_PGM_RSRC2:TRAP_HANDLER: 0
; COMPUTE_PGM_RSRC2:TGID_X_EN: 1
; COMPUTE_PGM_RSRC2:TGID_Y_EN: 0
; COMPUTE_PGM_RSRC2:TGID_Z_EN: 0
; COMPUTE_PGM_RSRC2:TIDIG_COMP_CNT: 0
; COMPUTE_PGM_RSRC3_GFX90A:ACCUM_OFFSET: 0
; COMPUTE_PGM_RSRC3_GFX90A:TG_SPLIT: 0
	.section	.text._ZN7rocprim17ROCPRIM_400000_NS6detail17trampoline_kernelINS0_14default_configENS1_25partition_config_selectorILNS1_17partition_subalgoE2EsNS0_10empty_typeEbEEZZNS1_14partition_implILS5_2ELb0ES3_jN6thrust23THRUST_200600_302600_NS6detail15normal_iteratorINSA_7pointerIsNSA_11hip_rocprim3tagENSA_11use_defaultESG_EEEEPS6_NSA_18transform_iteratorINSA_8identityIsEENSC_INSA_10device_ptrIsEEEESG_SG_EENS0_5tupleIJPsSJ_EEENSR_IJSJ_SJ_EEES6_PlJS6_EEE10hipError_tPvRmT3_T4_T5_T6_T7_T9_mT8_P12ihipStream_tbDpT10_ENKUlT_T0_E_clISt17integral_constantIbLb0EES1E_IbLb1EEEEDaS1A_S1B_EUlS1A_E_NS1_11comp_targetILNS1_3genE5ELNS1_11target_archE942ELNS1_3gpuE9ELNS1_3repE0EEENS1_30default_config_static_selectorELNS0_4arch9wavefront6targetE1EEEvT1_,"axG",@progbits,_ZN7rocprim17ROCPRIM_400000_NS6detail17trampoline_kernelINS0_14default_configENS1_25partition_config_selectorILNS1_17partition_subalgoE2EsNS0_10empty_typeEbEEZZNS1_14partition_implILS5_2ELb0ES3_jN6thrust23THRUST_200600_302600_NS6detail15normal_iteratorINSA_7pointerIsNSA_11hip_rocprim3tagENSA_11use_defaultESG_EEEEPS6_NSA_18transform_iteratorINSA_8identityIsEENSC_INSA_10device_ptrIsEEEESG_SG_EENS0_5tupleIJPsSJ_EEENSR_IJSJ_SJ_EEES6_PlJS6_EEE10hipError_tPvRmT3_T4_T5_T6_T7_T9_mT8_P12ihipStream_tbDpT10_ENKUlT_T0_E_clISt17integral_constantIbLb0EES1E_IbLb1EEEEDaS1A_S1B_EUlS1A_E_NS1_11comp_targetILNS1_3genE5ELNS1_11target_archE942ELNS1_3gpuE9ELNS1_3repE0EEENS1_30default_config_static_selectorELNS0_4arch9wavefront6targetE1EEEvT1_,comdat
	.protected	_ZN7rocprim17ROCPRIM_400000_NS6detail17trampoline_kernelINS0_14default_configENS1_25partition_config_selectorILNS1_17partition_subalgoE2EsNS0_10empty_typeEbEEZZNS1_14partition_implILS5_2ELb0ES3_jN6thrust23THRUST_200600_302600_NS6detail15normal_iteratorINSA_7pointerIsNSA_11hip_rocprim3tagENSA_11use_defaultESG_EEEEPS6_NSA_18transform_iteratorINSA_8identityIsEENSC_INSA_10device_ptrIsEEEESG_SG_EENS0_5tupleIJPsSJ_EEENSR_IJSJ_SJ_EEES6_PlJS6_EEE10hipError_tPvRmT3_T4_T5_T6_T7_T9_mT8_P12ihipStream_tbDpT10_ENKUlT_T0_E_clISt17integral_constantIbLb0EES1E_IbLb1EEEEDaS1A_S1B_EUlS1A_E_NS1_11comp_targetILNS1_3genE5ELNS1_11target_archE942ELNS1_3gpuE9ELNS1_3repE0EEENS1_30default_config_static_selectorELNS0_4arch9wavefront6targetE1EEEvT1_ ; -- Begin function _ZN7rocprim17ROCPRIM_400000_NS6detail17trampoline_kernelINS0_14default_configENS1_25partition_config_selectorILNS1_17partition_subalgoE2EsNS0_10empty_typeEbEEZZNS1_14partition_implILS5_2ELb0ES3_jN6thrust23THRUST_200600_302600_NS6detail15normal_iteratorINSA_7pointerIsNSA_11hip_rocprim3tagENSA_11use_defaultESG_EEEEPS6_NSA_18transform_iteratorINSA_8identityIsEENSC_INSA_10device_ptrIsEEEESG_SG_EENS0_5tupleIJPsSJ_EEENSR_IJSJ_SJ_EEES6_PlJS6_EEE10hipError_tPvRmT3_T4_T5_T6_T7_T9_mT8_P12ihipStream_tbDpT10_ENKUlT_T0_E_clISt17integral_constantIbLb0EES1E_IbLb1EEEEDaS1A_S1B_EUlS1A_E_NS1_11comp_targetILNS1_3genE5ELNS1_11target_archE942ELNS1_3gpuE9ELNS1_3repE0EEENS1_30default_config_static_selectorELNS0_4arch9wavefront6targetE1EEEvT1_
	.globl	_ZN7rocprim17ROCPRIM_400000_NS6detail17trampoline_kernelINS0_14default_configENS1_25partition_config_selectorILNS1_17partition_subalgoE2EsNS0_10empty_typeEbEEZZNS1_14partition_implILS5_2ELb0ES3_jN6thrust23THRUST_200600_302600_NS6detail15normal_iteratorINSA_7pointerIsNSA_11hip_rocprim3tagENSA_11use_defaultESG_EEEEPS6_NSA_18transform_iteratorINSA_8identityIsEENSC_INSA_10device_ptrIsEEEESG_SG_EENS0_5tupleIJPsSJ_EEENSR_IJSJ_SJ_EEES6_PlJS6_EEE10hipError_tPvRmT3_T4_T5_T6_T7_T9_mT8_P12ihipStream_tbDpT10_ENKUlT_T0_E_clISt17integral_constantIbLb0EES1E_IbLb1EEEEDaS1A_S1B_EUlS1A_E_NS1_11comp_targetILNS1_3genE5ELNS1_11target_archE942ELNS1_3gpuE9ELNS1_3repE0EEENS1_30default_config_static_selectorELNS0_4arch9wavefront6targetE1EEEvT1_
	.p2align	8
	.type	_ZN7rocprim17ROCPRIM_400000_NS6detail17trampoline_kernelINS0_14default_configENS1_25partition_config_selectorILNS1_17partition_subalgoE2EsNS0_10empty_typeEbEEZZNS1_14partition_implILS5_2ELb0ES3_jN6thrust23THRUST_200600_302600_NS6detail15normal_iteratorINSA_7pointerIsNSA_11hip_rocprim3tagENSA_11use_defaultESG_EEEEPS6_NSA_18transform_iteratorINSA_8identityIsEENSC_INSA_10device_ptrIsEEEESG_SG_EENS0_5tupleIJPsSJ_EEENSR_IJSJ_SJ_EEES6_PlJS6_EEE10hipError_tPvRmT3_T4_T5_T6_T7_T9_mT8_P12ihipStream_tbDpT10_ENKUlT_T0_E_clISt17integral_constantIbLb0EES1E_IbLb1EEEEDaS1A_S1B_EUlS1A_E_NS1_11comp_targetILNS1_3genE5ELNS1_11target_archE942ELNS1_3gpuE9ELNS1_3repE0EEENS1_30default_config_static_selectorELNS0_4arch9wavefront6targetE1EEEvT1_,@function
_ZN7rocprim17ROCPRIM_400000_NS6detail17trampoline_kernelINS0_14default_configENS1_25partition_config_selectorILNS1_17partition_subalgoE2EsNS0_10empty_typeEbEEZZNS1_14partition_implILS5_2ELb0ES3_jN6thrust23THRUST_200600_302600_NS6detail15normal_iteratorINSA_7pointerIsNSA_11hip_rocprim3tagENSA_11use_defaultESG_EEEEPS6_NSA_18transform_iteratorINSA_8identityIsEENSC_INSA_10device_ptrIsEEEESG_SG_EENS0_5tupleIJPsSJ_EEENSR_IJSJ_SJ_EEES6_PlJS6_EEE10hipError_tPvRmT3_T4_T5_T6_T7_T9_mT8_P12ihipStream_tbDpT10_ENKUlT_T0_E_clISt17integral_constantIbLb0EES1E_IbLb1EEEEDaS1A_S1B_EUlS1A_E_NS1_11comp_targetILNS1_3genE5ELNS1_11target_archE942ELNS1_3gpuE9ELNS1_3repE0EEENS1_30default_config_static_selectorELNS0_4arch9wavefront6targetE1EEEvT1_: ; @_ZN7rocprim17ROCPRIM_400000_NS6detail17trampoline_kernelINS0_14default_configENS1_25partition_config_selectorILNS1_17partition_subalgoE2EsNS0_10empty_typeEbEEZZNS1_14partition_implILS5_2ELb0ES3_jN6thrust23THRUST_200600_302600_NS6detail15normal_iteratorINSA_7pointerIsNSA_11hip_rocprim3tagENSA_11use_defaultESG_EEEEPS6_NSA_18transform_iteratorINSA_8identityIsEENSC_INSA_10device_ptrIsEEEESG_SG_EENS0_5tupleIJPsSJ_EEENSR_IJSJ_SJ_EEES6_PlJS6_EEE10hipError_tPvRmT3_T4_T5_T6_T7_T9_mT8_P12ihipStream_tbDpT10_ENKUlT_T0_E_clISt17integral_constantIbLb0EES1E_IbLb1EEEEDaS1A_S1B_EUlS1A_E_NS1_11comp_targetILNS1_3genE5ELNS1_11target_archE942ELNS1_3gpuE9ELNS1_3repE0EEENS1_30default_config_static_selectorELNS0_4arch9wavefront6targetE1EEEvT1_
; %bb.0:
	s_load_dwordx2 s[2:3], s[0:1], 0x20
	s_load_dwordx2 s[28:29], s[0:1], 0x30
	;; [unrolled: 1-line block ×3, first 2 shown]
	s_load_dwordx4 s[20:23], s[0:1], 0x50
	s_load_dwordx2 s[36:37], s[0:1], 0x70
	v_cmp_eq_u32_e64 s[18:19], 0, v0
	s_and_saveexec_b64 s[4:5], s[18:19]
	s_cbranch_execz .LBB570_4
; %bb.1:
	s_mov_b64 s[8:9], exec
	v_mbcnt_lo_u32_b32 v1, s8, 0
	v_mbcnt_hi_u32_b32 v1, s9, v1
	v_cmp_eq_u32_e32 vcc, 0, v1
                                        ; implicit-def: $vgpr2
	s_and_saveexec_b64 s[6:7], vcc
	s_cbranch_execz .LBB570_3
; %bb.2:
	s_load_dwordx2 s[10:11], s[0:1], 0x80
	s_bcnt1_i32_b64 s8, s[8:9]
	v_mov_b32_e32 v2, 0
	v_mov_b32_e32 v3, s8
	s_waitcnt lgkmcnt(0)
	global_atomic_add v2, v2, v3, s[10:11] sc0
.LBB570_3:
	s_or_b64 exec, exec, s[6:7]
	s_waitcnt vmcnt(0)
	v_readfirstlane_b32 s6, v2
	v_mov_b32_e32 v2, 0
	s_nop 0
	v_add_u32_e32 v1, s6, v1
	ds_write_b32 v2, v1
.LBB570_4:
	s_or_b64 exec, exec, s[4:5]
	v_mov_b32_e32 v13, 0
	s_load_dwordx4 s[24:27], s[0:1], 0x8
	s_load_dword s6, s[0:1], 0x78
	s_waitcnt lgkmcnt(0)
	s_barrier
	ds_read_b32 v1, v13
	s_waitcnt lgkmcnt(0)
	s_barrier
	global_load_dwordx2 v[14:15], v13, s[22:23]
	s_lshl_b64 s[4:5], s[26:27], 1
	s_add_u32 s8, s24, s4
	s_mul_i32 s0, s6, 0x3c00
	s_addc_u32 s9, s25, s5
	s_add_i32 s1, s0, s26
	s_sub_i32 s33, s30, s1
	s_add_i32 s7, s6, -1
	s_addk_i32 s33, 0x3c00
	s_add_u32 s0, s26, s0
	v_readfirstlane_b32 s42, v1
	s_addc_u32 s1, s27, 0
	s_cmp_eq_u32 s42, s7
	v_mov_b64_e32 v[2:3], s[30:31]
	s_cselect_b64 s[22:23], -1, 0
	s_cmp_lg_u32 s42, s7
	s_mul_i32 s24, s42, 0x3c00
	s_mov_b32 s25, 0
	v_cmp_lt_u64_e32 vcc, s[0:1], v[2:3]
	s_cselect_b64 s[0:1], -1, 0
	s_or_b64 s[34:35], vcc, s[0:1]
	s_lshl_b64 s[6:7], s[24:25], 1
	s_add_u32 s8, s8, s6
	s_addc_u32 s9, s9, s7
	s_mov_b64 s[0:1], -1
	s_and_b64 vcc, exec, s[34:35]
	v_lshlrev_b32_e32 v12, 1, v0
	s_cbranch_vccz .LBB570_6
; %bb.5:
	v_lshl_add_u64 v[2:3], s[8:9], 0, v[12:13]
	v_add_co_u32_e32 v4, vcc, 0x1000, v2
	s_mov_b64 s[0:1], 0
	s_nop 0
	v_addc_co_u32_e32 v5, vcc, 0, v3, vcc
	flat_load_ushort v1, v[2:3]
	flat_load_ushort v8, v[2:3] offset:1024
	flat_load_ushort v9, v[2:3] offset:2048
	flat_load_ushort v10, v[2:3] offset:3072
	flat_load_ushort v11, v[4:5]
	flat_load_ushort v13, v[4:5] offset:1024
	flat_load_ushort v16, v[4:5] offset:2048
	flat_load_ushort v17, v[4:5] offset:3072
	v_add_co_u32_e32 v4, vcc, 0x2000, v2
	s_nop 1
	v_addc_co_u32_e32 v5, vcc, 0, v3, vcc
	v_add_co_u32_e32 v6, vcc, 0x3000, v2
	s_nop 1
	v_addc_co_u32_e32 v7, vcc, 0, v3, vcc
	flat_load_ushort v18, v[4:5]
	flat_load_ushort v19, v[4:5] offset:1024
	flat_load_ushort v20, v[4:5] offset:2048
	flat_load_ushort v21, v[4:5] offset:3072
	flat_load_ushort v22, v[6:7]
	flat_load_ushort v23, v[6:7] offset:1024
	flat_load_ushort v24, v[6:7] offset:2048
	flat_load_ushort v25, v[6:7] offset:3072
	v_add_co_u32_e32 v4, vcc, 0x4000, v2
	s_nop 1
	v_addc_co_u32_e32 v5, vcc, 0, v3, vcc
	v_add_co_u32_e32 v6, vcc, 0x5000, v2
	;; [unrolled: 14-line block ×3, first 2 shown]
	s_nop 1
	v_addc_co_u32_e32 v3, vcc, 0, v3, vcc
	flat_load_ushort v6, v[4:5]
	flat_load_ushort v7, v[4:5] offset:1024
	flat_load_ushort v34, v[4:5] offset:2048
	;; [unrolled: 1-line block ×3, first 2 shown]
	flat_load_ushort v36, v[2:3]
	flat_load_ushort v37, v[2:3] offset:1024
	s_waitcnt vmcnt(0) lgkmcnt(0)
	ds_write_b16 v12, v1
	ds_write_b16 v12, v8 offset:1024
	ds_write_b16 v12, v9 offset:2048
	;; [unrolled: 1-line block ×29, first 2 shown]
	s_waitcnt lgkmcnt(0)
	s_barrier
.LBB570_6:
	s_andn2_b64 vcc, exec, s[0:1]
	v_cmp_gt_u32_e64 s[0:1], s33, v0
	s_cbranch_vccnz .LBB570_68
; %bb.7:
                                        ; implicit-def: $vgpr1
	s_and_saveexec_b64 s[10:11], s[0:1]
	s_cbranch_execz .LBB570_9
; %bb.8:
	v_mov_b32_e32 v13, 0
	v_lshl_add_u64 v[2:3], s[8:9], 0, v[12:13]
	flat_load_ushort v1, v[2:3]
.LBB570_9:
	s_or_b64 exec, exec, s[10:11]
	v_or_b32_e32 v2, 0x200, v0
	v_cmp_gt_u32_e32 vcc, s33, v2
                                        ; implicit-def: $vgpr2
	s_and_saveexec_b64 s[0:1], vcc
	s_cbranch_execz .LBB570_11
; %bb.10:
	v_mov_b32_e32 v13, 0
	v_lshl_add_u64 v[2:3], s[8:9], 0, v[12:13]
	flat_load_ushort v2, v[2:3] offset:1024
.LBB570_11:
	s_or_b64 exec, exec, s[0:1]
	v_or_b32_e32 v3, 0x400, v0
	v_cmp_gt_u32_e32 vcc, s33, v3
                                        ; implicit-def: $vgpr3
	s_and_saveexec_b64 s[0:1], vcc
	s_cbranch_execz .LBB570_13
; %bb.12:
	v_mov_b32_e32 v13, 0
	v_lshl_add_u64 v[4:5], s[8:9], 0, v[12:13]
	flat_load_ushort v3, v[4:5] offset:2048
.LBB570_13:
	s_or_b64 exec, exec, s[0:1]
	v_or_b32_e32 v4, 0x600, v0
	v_cmp_gt_u32_e32 vcc, s33, v4
                                        ; implicit-def: $vgpr4
	s_and_saveexec_b64 s[0:1], vcc
	s_cbranch_execz .LBB570_15
; %bb.14:
	v_mov_b32_e32 v13, 0
	v_lshl_add_u64 v[4:5], s[8:9], 0, v[12:13]
	flat_load_ushort v4, v[4:5] offset:3072
.LBB570_15:
	s_or_b64 exec, exec, s[0:1]
	v_or_b32_e32 v6, 0x800, v0
	v_cmp_gt_u32_e32 vcc, s33, v6
                                        ; implicit-def: $vgpr5
	s_and_saveexec_b64 s[0:1], vcc
	s_cbranch_execz .LBB570_17
; %bb.16:
	v_lshlrev_b32_e32 v6, 1, v6
	v_mov_b32_e32 v7, 0
	v_lshl_add_u64 v[6:7], s[8:9], 0, v[6:7]
	flat_load_ushort v5, v[6:7]
.LBB570_17:
	s_or_b64 exec, exec, s[0:1]
	v_or_b32_e32 v7, 0xa00, v0
	v_cmp_gt_u32_e32 vcc, s33, v7
                                        ; implicit-def: $vgpr6
	s_and_saveexec_b64 s[0:1], vcc
	s_cbranch_execz .LBB570_19
; %bb.18:
	v_lshlrev_b32_e32 v6, 1, v7
	v_mov_b32_e32 v7, 0
	v_lshl_add_u64 v[6:7], s[8:9], 0, v[6:7]
	flat_load_ushort v6, v[6:7]
.LBB570_19:
	s_or_b64 exec, exec, s[0:1]
	v_or_b32_e32 v8, 0xc00, v0
	v_cmp_gt_u32_e32 vcc, s33, v8
                                        ; implicit-def: $vgpr7
	s_and_saveexec_b64 s[0:1], vcc
	s_cbranch_execz .LBB570_21
; %bb.20:
	v_lshlrev_b32_e32 v8, 1, v8
	v_mov_b32_e32 v9, 0
	v_lshl_add_u64 v[8:9], s[8:9], 0, v[8:9]
	flat_load_ushort v7, v[8:9]
.LBB570_21:
	s_or_b64 exec, exec, s[0:1]
	v_or_b32_e32 v9, 0xe00, v0
	v_cmp_gt_u32_e32 vcc, s33, v9
                                        ; implicit-def: $vgpr8
	s_and_saveexec_b64 s[0:1], vcc
	s_cbranch_execz .LBB570_23
; %bb.22:
	v_lshlrev_b32_e32 v8, 1, v9
	v_mov_b32_e32 v9, 0
	v_lshl_add_u64 v[8:9], s[8:9], 0, v[8:9]
	flat_load_ushort v8, v[8:9]
.LBB570_23:
	s_or_b64 exec, exec, s[0:1]
	v_or_b32_e32 v10, 0x1000, v0
	v_cmp_gt_u32_e32 vcc, s33, v10
                                        ; implicit-def: $vgpr9
	s_and_saveexec_b64 s[0:1], vcc
	s_cbranch_execz .LBB570_25
; %bb.24:
	v_lshlrev_b32_e32 v10, 1, v10
	v_mov_b32_e32 v11, 0
	v_lshl_add_u64 v[10:11], s[8:9], 0, v[10:11]
	flat_load_ushort v9, v[10:11]
.LBB570_25:
	s_or_b64 exec, exec, s[0:1]
	v_or_b32_e32 v11, 0x1200, v0
	v_cmp_gt_u32_e32 vcc, s33, v11
                                        ; implicit-def: $vgpr10
	s_and_saveexec_b64 s[0:1], vcc
	s_cbranch_execz .LBB570_27
; %bb.26:
	v_lshlrev_b32_e32 v10, 1, v11
	v_mov_b32_e32 v11, 0
	v_lshl_add_u64 v[10:11], s[8:9], 0, v[10:11]
	flat_load_ushort v10, v[10:11]
.LBB570_27:
	s_or_b64 exec, exec, s[0:1]
	v_or_b32_e32 v13, 0x1400, v0
	v_cmp_gt_u32_e32 vcc, s33, v13
                                        ; implicit-def: $vgpr11
	s_and_saveexec_b64 s[0:1], vcc
	s_cbranch_execz .LBB570_29
; %bb.28:
	v_lshlrev_b32_e32 v16, 1, v13
	v_mov_b32_e32 v17, 0
	v_lshl_add_u64 v[16:17], s[8:9], 0, v[16:17]
	flat_load_ushort v11, v[16:17]
.LBB570_29:
	s_or_b64 exec, exec, s[0:1]
	v_or_b32_e32 v16, 0x1600, v0
	v_cmp_gt_u32_e32 vcc, s33, v16
                                        ; implicit-def: $vgpr13
	s_and_saveexec_b64 s[0:1], vcc
	s_cbranch_execz .LBB570_31
; %bb.30:
	v_lshlrev_b32_e32 v16, 1, v16
	v_mov_b32_e32 v17, 0
	v_lshl_add_u64 v[16:17], s[8:9], 0, v[16:17]
	flat_load_ushort v13, v[16:17]
.LBB570_31:
	s_or_b64 exec, exec, s[0:1]
	v_or_b32_e32 v17, 0x1800, v0
	v_cmp_gt_u32_e32 vcc, s33, v17
                                        ; implicit-def: $vgpr16
	s_and_saveexec_b64 s[0:1], vcc
	s_cbranch_execz .LBB570_33
; %bb.32:
	v_lshlrev_b32_e32 v16, 1, v17
	v_mov_b32_e32 v17, 0
	v_lshl_add_u64 v[16:17], s[8:9], 0, v[16:17]
	flat_load_ushort v16, v[16:17]
.LBB570_33:
	s_or_b64 exec, exec, s[0:1]
	v_or_b32_e32 v18, 0x1a00, v0
	v_cmp_gt_u32_e32 vcc, s33, v18
                                        ; implicit-def: $vgpr17
	s_and_saveexec_b64 s[0:1], vcc
	s_cbranch_execz .LBB570_35
; %bb.34:
	v_lshlrev_b32_e32 v18, 1, v18
	v_mov_b32_e32 v19, 0
	v_lshl_add_u64 v[18:19], s[8:9], 0, v[18:19]
	flat_load_ushort v17, v[18:19]
.LBB570_35:
	s_or_b64 exec, exec, s[0:1]
	v_or_b32_e32 v19, 0x1c00, v0
	v_cmp_gt_u32_e32 vcc, s33, v19
                                        ; implicit-def: $vgpr18
	s_and_saveexec_b64 s[0:1], vcc
	s_cbranch_execz .LBB570_37
; %bb.36:
	v_lshlrev_b32_e32 v18, 1, v19
	v_mov_b32_e32 v19, 0
	v_lshl_add_u64 v[18:19], s[8:9], 0, v[18:19]
	flat_load_ushort v18, v[18:19]
.LBB570_37:
	s_or_b64 exec, exec, s[0:1]
	v_or_b32_e32 v20, 0x1e00, v0
	v_cmp_gt_u32_e32 vcc, s33, v20
                                        ; implicit-def: $vgpr19
	s_and_saveexec_b64 s[0:1], vcc
	s_cbranch_execz .LBB570_39
; %bb.38:
	v_lshlrev_b32_e32 v20, 1, v20
	v_mov_b32_e32 v21, 0
	v_lshl_add_u64 v[20:21], s[8:9], 0, v[20:21]
	flat_load_ushort v19, v[20:21]
.LBB570_39:
	s_or_b64 exec, exec, s[0:1]
	v_or_b32_e32 v21, 0x2000, v0
	v_cmp_gt_u32_e32 vcc, s33, v21
                                        ; implicit-def: $vgpr20
	s_and_saveexec_b64 s[0:1], vcc
	s_cbranch_execz .LBB570_41
; %bb.40:
	v_lshlrev_b32_e32 v20, 1, v21
	v_mov_b32_e32 v21, 0
	v_lshl_add_u64 v[20:21], s[8:9], 0, v[20:21]
	flat_load_ushort v20, v[20:21]
.LBB570_41:
	s_or_b64 exec, exec, s[0:1]
	v_or_b32_e32 v22, 0x2200, v0
	v_cmp_gt_u32_e32 vcc, s33, v22
                                        ; implicit-def: $vgpr21
	s_and_saveexec_b64 s[0:1], vcc
	s_cbranch_execz .LBB570_43
; %bb.42:
	v_lshlrev_b32_e32 v22, 1, v22
	v_mov_b32_e32 v23, 0
	v_lshl_add_u64 v[22:23], s[8:9], 0, v[22:23]
	flat_load_ushort v21, v[22:23]
.LBB570_43:
	s_or_b64 exec, exec, s[0:1]
	v_or_b32_e32 v23, 0x2400, v0
	v_cmp_gt_u32_e32 vcc, s33, v23
                                        ; implicit-def: $vgpr22
	s_and_saveexec_b64 s[0:1], vcc
	s_cbranch_execz .LBB570_45
; %bb.44:
	v_lshlrev_b32_e32 v22, 1, v23
	v_mov_b32_e32 v23, 0
	v_lshl_add_u64 v[22:23], s[8:9], 0, v[22:23]
	flat_load_ushort v22, v[22:23]
.LBB570_45:
	s_or_b64 exec, exec, s[0:1]
	v_or_b32_e32 v24, 0x2600, v0
	v_cmp_gt_u32_e32 vcc, s33, v24
                                        ; implicit-def: $vgpr23
	s_and_saveexec_b64 s[0:1], vcc
	s_cbranch_execz .LBB570_47
; %bb.46:
	v_lshlrev_b32_e32 v24, 1, v24
	v_mov_b32_e32 v25, 0
	v_lshl_add_u64 v[24:25], s[8:9], 0, v[24:25]
	flat_load_ushort v23, v[24:25]
.LBB570_47:
	s_or_b64 exec, exec, s[0:1]
	v_or_b32_e32 v25, 0x2800, v0
	v_cmp_gt_u32_e32 vcc, s33, v25
                                        ; implicit-def: $vgpr24
	s_and_saveexec_b64 s[0:1], vcc
	s_cbranch_execz .LBB570_49
; %bb.48:
	v_lshlrev_b32_e32 v24, 1, v25
	v_mov_b32_e32 v25, 0
	v_lshl_add_u64 v[24:25], s[8:9], 0, v[24:25]
	flat_load_ushort v24, v[24:25]
.LBB570_49:
	s_or_b64 exec, exec, s[0:1]
	v_or_b32_e32 v26, 0x2a00, v0
	v_cmp_gt_u32_e32 vcc, s33, v26
                                        ; implicit-def: $vgpr25
	s_and_saveexec_b64 s[0:1], vcc
	s_cbranch_execz .LBB570_51
; %bb.50:
	v_lshlrev_b32_e32 v26, 1, v26
	v_mov_b32_e32 v27, 0
	v_lshl_add_u64 v[26:27], s[8:9], 0, v[26:27]
	flat_load_ushort v25, v[26:27]
.LBB570_51:
	s_or_b64 exec, exec, s[0:1]
	v_or_b32_e32 v27, 0x2c00, v0
	v_cmp_gt_u32_e32 vcc, s33, v27
                                        ; implicit-def: $vgpr26
	s_and_saveexec_b64 s[0:1], vcc
	s_cbranch_execz .LBB570_53
; %bb.52:
	v_lshlrev_b32_e32 v26, 1, v27
	v_mov_b32_e32 v27, 0
	v_lshl_add_u64 v[26:27], s[8:9], 0, v[26:27]
	flat_load_ushort v26, v[26:27]
.LBB570_53:
	s_or_b64 exec, exec, s[0:1]
	v_or_b32_e32 v28, 0x2e00, v0
	v_cmp_gt_u32_e32 vcc, s33, v28
                                        ; implicit-def: $vgpr27
	s_and_saveexec_b64 s[0:1], vcc
	s_cbranch_execz .LBB570_55
; %bb.54:
	v_lshlrev_b32_e32 v28, 1, v28
	v_mov_b32_e32 v29, 0
	v_lshl_add_u64 v[28:29], s[8:9], 0, v[28:29]
	flat_load_ushort v27, v[28:29]
.LBB570_55:
	s_or_b64 exec, exec, s[0:1]
	v_or_b32_e32 v29, 0x3000, v0
	v_cmp_gt_u32_e32 vcc, s33, v29
                                        ; implicit-def: $vgpr28
	s_and_saveexec_b64 s[0:1], vcc
	s_cbranch_execz .LBB570_57
; %bb.56:
	v_lshlrev_b32_e32 v28, 1, v29
	v_mov_b32_e32 v29, 0
	v_lshl_add_u64 v[28:29], s[8:9], 0, v[28:29]
	flat_load_ushort v28, v[28:29]
.LBB570_57:
	s_or_b64 exec, exec, s[0:1]
	v_or_b32_e32 v30, 0x3200, v0
	v_cmp_gt_u32_e32 vcc, s33, v30
                                        ; implicit-def: $vgpr29
	s_and_saveexec_b64 s[0:1], vcc
	s_cbranch_execz .LBB570_59
; %bb.58:
	v_lshlrev_b32_e32 v30, 1, v30
	v_mov_b32_e32 v31, 0
	v_lshl_add_u64 v[30:31], s[8:9], 0, v[30:31]
	flat_load_ushort v29, v[30:31]
.LBB570_59:
	s_or_b64 exec, exec, s[0:1]
	v_or_b32_e32 v31, 0x3400, v0
	v_cmp_gt_u32_e32 vcc, s33, v31
                                        ; implicit-def: $vgpr30
	s_and_saveexec_b64 s[0:1], vcc
	s_cbranch_execz .LBB570_61
; %bb.60:
	v_lshlrev_b32_e32 v30, 1, v31
	v_mov_b32_e32 v31, 0
	v_lshl_add_u64 v[30:31], s[8:9], 0, v[30:31]
	flat_load_ushort v30, v[30:31]
.LBB570_61:
	s_or_b64 exec, exec, s[0:1]
	v_or_b32_e32 v32, 0x3600, v0
	v_cmp_gt_u32_e32 vcc, s33, v32
                                        ; implicit-def: $vgpr31
	s_and_saveexec_b64 s[0:1], vcc
	s_cbranch_execz .LBB570_63
; %bb.62:
	v_lshlrev_b32_e32 v32, 1, v32
	v_mov_b32_e32 v33, 0
	v_lshl_add_u64 v[32:33], s[8:9], 0, v[32:33]
	flat_load_ushort v31, v[32:33]
.LBB570_63:
	s_or_b64 exec, exec, s[0:1]
	v_or_b32_e32 v33, 0x3800, v0
	v_cmp_gt_u32_e32 vcc, s33, v33
                                        ; implicit-def: $vgpr32
	s_and_saveexec_b64 s[0:1], vcc
	s_cbranch_execz .LBB570_65
; %bb.64:
	v_lshlrev_b32_e32 v32, 1, v33
	v_mov_b32_e32 v33, 0
	v_lshl_add_u64 v[32:33], s[8:9], 0, v[32:33]
	flat_load_ushort v32, v[32:33]
.LBB570_65:
	s_or_b64 exec, exec, s[0:1]
	v_or_b32_e32 v34, 0x3a00, v0
	v_cmp_gt_u32_e32 vcc, s33, v34
                                        ; implicit-def: $vgpr33
	s_and_saveexec_b64 s[0:1], vcc
	s_cbranch_execz .LBB570_67
; %bb.66:
	v_lshlrev_b32_e32 v34, 1, v34
	v_mov_b32_e32 v35, 0
	v_lshl_add_u64 v[34:35], s[8:9], 0, v[34:35]
	flat_load_ushort v33, v[34:35]
.LBB570_67:
	s_or_b64 exec, exec, s[0:1]
	s_waitcnt vmcnt(0) lgkmcnt(0)
	ds_write_b16 v12, v1
	ds_write_b16 v12, v2 offset:1024
	ds_write_b16 v12, v3 offset:2048
	;; [unrolled: 1-line block ×29, first 2 shown]
	s_waitcnt lgkmcnt(0)
	s_barrier
.LBB570_68:
	v_mul_u32_u24_e32 v9, 30, v0
	v_lshlrev_b32_e32 v2, 1, v9
	ds_read2_b32 v[28:29], v2 offset1:1
	ds_read2_b32 v[26:27], v2 offset0:2 offset1:3
	ds_read2_b32 v[24:25], v2 offset0:4 offset1:5
	;; [unrolled: 1-line block ×3, first 2 shown]
	ds_read_b32 v1, v2 offset:56
	ds_read2_b32 v[16:17], v2 offset0:12 offset1:13
	ds_read2_b32 v[18:19], v2 offset0:10 offset1:11
	;; [unrolled: 1-line block ×3, first 2 shown]
	s_add_u32 s0, s2, s4
	s_addc_u32 s1, s3, s5
	s_add_u32 s0, s0, s6
	s_addc_u32 s1, s1, s7
	s_mov_b64 s[2:3], -1
	s_and_b64 vcc, exec, s[34:35]
	s_waitcnt lgkmcnt(0)
	s_barrier
	s_cbranch_vccz .LBB570_70
; %bb.69:
	global_load_ushort v8, v12, s[0:1]
	v_mov_b32_e32 v13, 0
	v_lshl_add_u64 v[2:3], s[0:1], 0, v[12:13]
	s_movk_i32 s2, 0x1000
	v_add_co_u32_e32 v4, vcc, s2, v2
	s_movk_i32 s2, 0x2000
	s_nop 0
	v_addc_co_u32_e32 v5, vcc, 0, v3, vcc
	v_add_co_u32_e32 v6, vcc, s2, v2
	s_movk_i32 s2, 0x3000
	s_nop 0
	v_addc_co_u32_e32 v7, vcc, 0, v3, vcc
	global_load_ushort v13, v12, s[0:1] offset:1024
	global_load_ushort v30, v12, s[0:1] offset:2048
	;; [unrolled: 1-line block ×3, first 2 shown]
	global_load_ushort v32, v[6:7], off offset:-4096
	global_load_ushort v33, v[4:5], off offset:1024
	global_load_ushort v34, v[4:5], off offset:2048
	;; [unrolled: 1-line block ×3, first 2 shown]
	global_load_ushort v36, v[6:7], off
	global_load_ushort v37, v[6:7], off offset:1024
	global_load_ushort v38, v[6:7], off offset:2048
	v_add_co_u32_e32 v4, vcc, s2, v2
	s_movk_i32 s2, 0x4000
	s_nop 0
	v_addc_co_u32_e32 v5, vcc, 0, v3, vcc
	v_add_co_u32_e32 v10, vcc, s2, v2
	s_movk_i32 s3, 0x6000
	s_nop 0
	v_addc_co_u32_e32 v11, vcc, 0, v3, vcc
	global_load_ushort v39, v[6:7], off offset:3072
	global_load_ushort v40, v[10:11], off offset:-4096
	global_load_ushort v41, v[4:5], off offset:1024
	global_load_ushort v42, v[4:5], off offset:2048
	;; [unrolled: 1-line block ×3, first 2 shown]
	global_load_ushort v44, v[10:11], off
	global_load_ushort v45, v[10:11], off offset:1024
	global_load_ushort v46, v[10:11], off offset:2048
	v_add_co_u32_e32 v4, vcc, s3, v2
	s_movk_i32 s2, 0x5000
	s_nop 0
	v_addc_co_u32_e32 v5, vcc, 0, v3, vcc
	global_load_ushort v47, v[10:11], off offset:3072
	global_load_ushort v48, v[4:5], off offset:-4096
	v_add_co_u32_e32 v6, vcc, s2, v2
	s_movk_i32 s2, 0x7000
	s_nop 0
	v_addc_co_u32_e32 v7, vcc, 0, v3, vcc
	global_load_ushort v10, v[6:7], off offset:1024
	global_load_ushort v11, v[6:7], off offset:2048
	global_load_ushort v49, v[6:7], off offset:3072
	global_load_ushort v50, v[4:5], off
	global_load_ushort v51, v[4:5], off offset:1024
	global_load_ushort v52, v[4:5], off offset:2048
	;; [unrolled: 1-line block ×3, first 2 shown]
	v_add_co_u32_e32 v2, vcc, s2, v2
	s_mov_b64 s[2:3], 0
	s_nop 0
	v_addc_co_u32_e32 v3, vcc, 0, v3, vcc
	global_load_ushort v4, v[2:3], off
	global_load_ushort v5, v[2:3], off offset:1024
	s_waitcnt vmcnt(29)
	v_cmp_ne_u16_e32 vcc, 0, v8
	s_nop 1
	v_cndmask_b32_e64 v2, 0, 1, vcc
	s_waitcnt vmcnt(28)
	v_cmp_ne_u16_e32 vcc, 0, v13
	s_nop 1
	v_cndmask_b32_e64 v3, 0, 1, vcc
	;; [unrolled: 4-line block ×7, first 2 shown]
	v_cmp_ne_u16_e32 vcc, 0, v32
	s_nop 1
	v_cndmask_b32_e64 v31, 0, 1, vcc
	s_waitcnt vmcnt(21)
	v_cmp_ne_u16_e32 vcc, 0, v36
	s_nop 1
	v_cndmask_b32_e64 v32, 0, 1, vcc
	s_waitcnt vmcnt(20)
	;; [unrolled: 4-line block ×22, first 2 shown]
	v_cmp_ne_u16_e32 vcc, 0, v5
	s_nop 1
	v_cndmask_b32_e64 v5, 0, 1, vcc
	ds_write_b8 v0, v2
	ds_write_b8 v0, v3 offset:512
	ds_write_b8 v0, v6 offset:1024
	;; [unrolled: 1-line block ×29, first 2 shown]
	s_waitcnt lgkmcnt(0)
	s_barrier
.LBB570_70:
	s_andn2_b64 vcc, exec, s[2:3]
	s_cbranch_vccnz .LBB570_132
; %bb.71:
	v_cmp_gt_u32_e32 vcc, s33, v0
	v_mov_b32_e32 v2, 0
	v_mov_b32_e32 v3, 0
	s_and_saveexec_b64 s[2:3], vcc
	s_cbranch_execz .LBB570_73
; %bb.72:
	global_load_ushort v3, v12, s[0:1]
	s_waitcnt vmcnt(0)
	v_cmp_ne_u16_e32 vcc, 0, v3
	s_nop 1
	v_cndmask_b32_e64 v3, 0, 1, vcc
.LBB570_73:
	s_or_b64 exec, exec, s[2:3]
	v_or_b32_e32 v4, 0x200, v0
	v_cmp_gt_u32_e32 vcc, s33, v4
	s_and_saveexec_b64 s[2:3], vcc
	s_cbranch_execz .LBB570_75
; %bb.74:
	global_load_ushort v2, v12, s[0:1] offset:1024
	s_waitcnt vmcnt(0)
	v_cmp_ne_u16_e32 vcc, 0, v2
	s_nop 1
	v_cndmask_b32_e64 v2, 0, 1, vcc
.LBB570_75:
	s_or_b64 exec, exec, s[2:3]
	v_or_b32_e32 v4, 0x400, v0
	v_cmp_gt_u32_e32 vcc, s33, v4
	v_mov_b32_e32 v4, 0
	v_mov_b32_e32 v5, 0
	s_and_saveexec_b64 s[2:3], vcc
	s_cbranch_execz .LBB570_77
; %bb.76:
	global_load_ushort v5, v12, s[0:1] offset:2048
	s_waitcnt vmcnt(0)
	v_cmp_ne_u16_e32 vcc, 0, v5
	s_nop 1
	v_cndmask_b32_e64 v5, 0, 1, vcc
.LBB570_77:
	s_or_b64 exec, exec, s[2:3]
	v_or_b32_e32 v6, 0x600, v0
	v_cmp_gt_u32_e32 vcc, s33, v6
	s_and_saveexec_b64 s[2:3], vcc
	s_cbranch_execz .LBB570_79
; %bb.78:
	global_load_ushort v4, v12, s[0:1] offset:3072
	s_waitcnt vmcnt(0)
	v_cmp_ne_u16_e32 vcc, 0, v4
	s_nop 1
	v_cndmask_b32_e64 v4, 0, 1, vcc
.LBB570_79:
	s_or_b64 exec, exec, s[2:3]
	v_or_b32_e32 v8, 0x800, v0
	v_cmp_gt_u32_e32 vcc, s33, v8
	v_mov_b32_e32 v6, 0
	v_mov_b32_e32 v7, 0
	s_and_saveexec_b64 s[2:3], vcc
	s_cbranch_execz .LBB570_81
; %bb.80:
	v_lshlrev_b32_e32 v7, 1, v8
	global_load_ushort v7, v7, s[0:1]
	s_waitcnt vmcnt(0)
	v_cmp_ne_u16_e32 vcc, 0, v7
	s_nop 1
	v_cndmask_b32_e64 v7, 0, 1, vcc
.LBB570_81:
	s_or_b64 exec, exec, s[2:3]
	v_or_b32_e32 v8, 0xa00, v0
	v_cmp_gt_u32_e32 vcc, s33, v8
	s_and_saveexec_b64 s[2:3], vcc
	s_cbranch_execz .LBB570_83
; %bb.82:
	v_lshlrev_b32_e32 v6, 1, v8
	global_load_ushort v6, v6, s[0:1]
	s_waitcnt vmcnt(0)
	v_cmp_ne_u16_e32 vcc, 0, v6
	s_nop 1
	v_cndmask_b32_e64 v6, 0, 1, vcc
.LBB570_83:
	s_or_b64 exec, exec, s[2:3]
	v_or_b32_e32 v11, 0xc00, v0
	v_cmp_gt_u32_e32 vcc, s33, v11
	v_mov_b32_e32 v8, 0
	v_mov_b32_e32 v10, 0
	s_and_saveexec_b64 s[2:3], vcc
	s_cbranch_execz .LBB570_85
; %bb.84:
	v_lshlrev_b32_e32 v10, 1, v11
	global_load_ushort v10, v10, s[0:1]
	s_waitcnt vmcnt(0)
	v_cmp_ne_u16_e32 vcc, 0, v10
	s_nop 1
	v_cndmask_b32_e64 v10, 0, 1, vcc
.LBB570_85:
	s_or_b64 exec, exec, s[2:3]
	v_or_b32_e32 v11, 0xe00, v0
	v_cmp_gt_u32_e32 vcc, s33, v11
	s_and_saveexec_b64 s[2:3], vcc
	s_cbranch_execz .LBB570_87
; %bb.86:
	v_lshlrev_b32_e32 v8, 1, v11
	global_load_ushort v8, v8, s[0:1]
	s_waitcnt vmcnt(0)
	v_cmp_ne_u16_e32 vcc, 0, v8
	s_nop 1
	v_cndmask_b32_e64 v8, 0, 1, vcc
.LBB570_87:
	;; [unrolled: 28-line block ×13, first 2 shown]
	s_or_b64 exec, exec, s[2:3]
	ds_write_b8 v0, v3
	ds_write_b8 v0, v2 offset:512
	ds_write_b8 v0, v5 offset:1024
	;; [unrolled: 1-line block ×29, first 2 shown]
	s_waitcnt lgkmcnt(0)
	s_barrier
.LBB570_132:
	ds_read_b128 v[2:5], v9
	ds_read_b96 v[6:8], v9 offset:16
	ds_read_u16 v38, v9 offset:28
	s_cmp_lg_u32 s42, 0
	v_lshrrev_b32_e32 v67, 6, v0
	s_waitcnt lgkmcnt(0)
	v_lshrrev_b32_e32 v46, 24, v2
	v_bfe_u32 v65, v2, 16, 8
	v_add_u32_sdwa v10, v2, v2 dst_sel:DWORD dst_unused:UNUSED_PAD src0_sel:BYTE_1 src1_sel:BYTE_0
	v_and_b32_e32 v62, 0xff, v3
	v_bfe_u32 v63, v3, 8, 8
	v_add3_u32 v10, v10, v65, v46
	v_lshrrev_b32_e32 v45, 24, v3
	v_bfe_u32 v64, v3, 16, 8
	v_add3_u32 v10, v10, v62, v63
	v_and_b32_e32 v59, 0xff, v4
	v_bfe_u32 v60, v4, 8, 8
	v_add3_u32 v10, v10, v64, v45
	v_lshrrev_b32_e32 v44, 24, v4
	v_bfe_u32 v61, v4, 16, 8
	v_add3_u32 v10, v10, v59, v60
	;; [unrolled: 6-line block ×6, first 2 shown]
	v_lshrrev_b16_e32 v13, 8, v38
	v_and_b32_e32 v40, 0xff, v38
	v_add3_u32 v10, v10, v49, v39
	v_add3_u32 v68, v10, v40, v13
	v_mbcnt_lo_u32_b32 v10, -1, 0
	v_mbcnt_hi_u32_b32 v66, -1, v10
	v_and_b32_e32 v10, 15, v66
	v_cmp_eq_u32_e64 s[14:15], 0, v10
	v_cmp_lt_u32_e64 s[12:13], 1, v10
	v_cmp_lt_u32_e64 s[10:11], 3, v10
	;; [unrolled: 1-line block ×3, first 2 shown]
	v_and_b32_e32 v10, 16, v66
	v_cmp_eq_u32_e64 s[6:7], 0, v10
	v_or_b32_e32 v10, 63, v0
	v_cmp_lt_u32_e64 s[2:3], 31, v66
	v_cmp_eq_u32_e64 s[4:5], v10, v0
	s_barrier
	s_cbranch_scc0 .LBB570_159
; %bb.133:
	v_mov_b32_dpp v10, v68 row_shr:1 row_mask:0xf bank_mask:0xf
	v_cndmask_b32_e64 v10, v10, 0, s[14:15]
	v_add_u32_e32 v10, v10, v68
	s_nop 1
	v_mov_b32_dpp v11, v10 row_shr:2 row_mask:0xf bank_mask:0xf
	v_cndmask_b32_e64 v11, 0, v11, s[12:13]
	v_add_u32_e32 v10, v10, v11
	s_nop 1
	;; [unrolled: 4-line block ×4, first 2 shown]
	v_mov_b32_dpp v11, v10 row_bcast:15 row_mask:0xf bank_mask:0xf
	v_cndmask_b32_e64 v11, v11, 0, s[6:7]
	v_add_u32_e32 v10, v10, v11
	s_nop 1
	v_mov_b32_dpp v11, v10 row_bcast:31 row_mask:0xf bank_mask:0xf
	v_cndmask_b32_e64 v11, 0, v11, s[2:3]
	v_add_u32_e32 v10, v10, v11
	s_and_saveexec_b64 s[0:1], s[4:5]
	s_cbranch_execz .LBB570_135
; %bb.134:
	v_lshlrev_b32_e32 v11, 2, v67
	ds_write_b32 v11, v10
.LBB570_135:
	s_or_b64 exec, exec, s[0:1]
	v_cmp_gt_u32_e32 vcc, 8, v0
	s_waitcnt lgkmcnt(0)
	s_barrier
	s_and_saveexec_b64 s[0:1], vcc
	s_cbranch_execz .LBB570_137
; %bb.136:
	v_lshlrev_b32_e32 v11, 2, v0
	ds_read_b32 v30, v11
	v_and_b32_e32 v31, 7, v66
	v_cmp_ne_u32_e32 vcc, 0, v31
	s_waitcnt lgkmcnt(0)
	v_mov_b32_dpp v32, v30 row_shr:1 row_mask:0xf bank_mask:0xf
	v_cndmask_b32_e32 v32, 0, v32, vcc
	v_add_u32_e32 v30, v32, v30
	v_cmp_lt_u32_e32 vcc, 1, v31
	s_nop 0
	v_mov_b32_dpp v32, v30 row_shr:2 row_mask:0xf bank_mask:0xf
	v_cndmask_b32_e32 v32, 0, v32, vcc
	v_add_u32_e32 v30, v30, v32
	v_cmp_lt_u32_e32 vcc, 3, v31
	s_nop 0
	v_mov_b32_dpp v32, v30 row_shr:4 row_mask:0xf bank_mask:0xf
	v_cndmask_b32_e32 v31, 0, v32, vcc
	v_add_u32_e32 v30, v30, v31
	ds_write_b32 v11, v30
.LBB570_137:
	s_or_b64 exec, exec, s[0:1]
	v_cmp_gt_u32_e32 vcc, 64, v0
	v_cmp_lt_u32_e64 s[0:1], 63, v0
	s_waitcnt lgkmcnt(0)
	s_barrier
	s_waitcnt lgkmcnt(0)
                                        ; implicit-def: $vgpr69
	s_and_saveexec_b64 s[16:17], s[0:1]
	s_cbranch_execz .LBB570_139
; %bb.138:
	v_lshl_add_u32 v11, v67, 2, -4
	ds_read_b32 v69, v11
	s_waitcnt lgkmcnt(0)
	v_add_u32_e32 v10, v69, v10
.LBB570_139:
	s_or_b64 exec, exec, s[16:17]
	v_add_u32_e32 v11, -1, v66
	v_and_b32_e32 v30, 64, v66
	v_cmp_lt_i32_e64 s[0:1], v11, v30
	v_cmp_eq_u32_e64 s[16:17], 0, v66
	s_nop 0
	v_cndmask_b32_e64 v11, v11, v66, s[0:1]
	v_lshlrev_b32_e32 v11, 2, v11
	ds_bpermute_b32 v70, v11, v10
	s_and_saveexec_b64 s[0:1], vcc
	s_cbranch_execz .LBB570_158
; %bb.140:
	v_mov_b32_e32 v35, 0
	ds_read_b32 v10, v35 offset:28
	s_and_saveexec_b64 s[38:39], s[16:17]
	s_cbranch_execz .LBB570_142
; %bb.141:
	s_add_i32 s40, s42, 64
	s_mov_b32 s41, 0
	s_lshl_b64 s[40:41], s[40:41], 3
	s_add_u32 s40, s36, s40
	v_mov_b32_e32 v11, 1
	s_addc_u32 s41, s37, s41
	s_waitcnt lgkmcnt(0)
	global_store_dwordx2 v35, v[10:11], s[40:41] sc1
.LBB570_142:
	s_or_b64 exec, exec, s[38:39]
	v_xad_u32 v30, v66, -1, s42
	v_add_u32_e32 v34, 64, v30
	v_lshl_add_u64 v[36:37], v[34:35], 3, s[36:37]
	global_load_dwordx2 v[32:33], v[36:37], off sc1
	s_waitcnt vmcnt(0)
	v_cmp_eq_u16_sdwa s[40:41], v33, v35 src0_sel:BYTE_0 src1_sel:DWORD
	s_and_saveexec_b64 s[38:39], s[40:41]
	s_cbranch_execz .LBB570_146
; %bb.143:
	s_mov_b64 s[40:41], 0
	v_mov_b32_e32 v11, 0
.LBB570_144:                            ; =>This Inner Loop Header: Depth=1
	global_load_dwordx2 v[32:33], v[36:37], off sc1
	s_waitcnt vmcnt(0)
	v_cmp_ne_u16_sdwa s[44:45], v33, v11 src0_sel:BYTE_0 src1_sel:DWORD
	s_or_b64 s[40:41], s[44:45], s[40:41]
	s_andn2_b64 exec, exec, s[40:41]
	s_cbranch_execnz .LBB570_144
; %bb.145:
	s_or_b64 exec, exec, s[40:41]
.LBB570_146:
	s_or_b64 exec, exec, s[38:39]
	v_and_b32_e32 v72, 63, v66
	v_mov_b32_e32 v71, 2
	v_cmp_ne_u32_e32 vcc, 63, v72
	v_cmp_eq_u16_sdwa s[38:39], v33, v71 src0_sel:BYTE_0 src1_sel:DWORD
	v_lshlrev_b64 v[34:35], v66, -1
	v_addc_co_u32_e32 v36, vcc, 0, v66, vcc
	v_and_b32_e32 v11, s39, v35
	v_lshlrev_b32_e32 v73, 2, v36
	v_or_b32_e32 v11, 0x80000000, v11
	ds_bpermute_b32 v36, v73, v32
	v_and_b32_e32 v31, s38, v34
	v_ffbl_b32_e32 v11, v11
	v_add_u32_e32 v11, 32, v11
	v_ffbl_b32_e32 v31, v31
	v_min_u32_e32 v11, v31, v11
	v_cmp_lt_u32_e32 vcc, v72, v11
	v_add_u32_e32 v75, 2, v72
	v_add_u32_e32 v77, 4, v72
	s_waitcnt lgkmcnt(0)
	v_cndmask_b32_e32 v31, 0, v36, vcc
	v_cmp_gt_u32_e32 vcc, 62, v72
	v_add_u32_e32 v31, v31, v32
	v_add_u32_e32 v79, 8, v72
	v_cndmask_b32_e64 v32, 0, 1, vcc
	v_lshlrev_b32_e32 v32, 1, v32
	v_add_lshl_u32 v74, v32, v66, 2
	ds_bpermute_b32 v32, v74, v31
	v_cmp_le_u32_e32 vcc, v75, v11
	v_add_u32_e32 v81, 16, v72
	v_add_u32_e32 v83, 32, v72
	s_waitcnt lgkmcnt(0)
	v_cndmask_b32_e32 v32, 0, v32, vcc
	v_cmp_gt_u32_e32 vcc, 60, v72
	v_add_u32_e32 v31, v31, v32
	s_nop 0
	v_cndmask_b32_e64 v32, 0, 1, vcc
	v_lshlrev_b32_e32 v32, 2, v32
	v_add_lshl_u32 v76, v32, v66, 2
	ds_bpermute_b32 v32, v76, v31
	v_cmp_le_u32_e32 vcc, v77, v11
	s_waitcnt lgkmcnt(0)
	s_nop 0
	v_cndmask_b32_e32 v32, 0, v32, vcc
	v_cmp_gt_u32_e32 vcc, 56, v72
	v_add_u32_e32 v31, v31, v32
	s_nop 0
	v_cndmask_b32_e64 v32, 0, 1, vcc
	v_lshlrev_b32_e32 v32, 3, v32
	v_add_lshl_u32 v78, v32, v66, 2
	ds_bpermute_b32 v32, v78, v31
	v_cmp_le_u32_e32 vcc, v79, v11
	s_waitcnt lgkmcnt(0)
	s_nop 0
	;; [unrolled: 11-line block ×4, first 2 shown]
	v_cndmask_b32_e32 v11, 0, v32, vcc
	v_add_u32_e32 v32, v31, v11
	v_mov_b32_e32 v31, 0
	s_branch .LBB570_148
.LBB570_147:                            ;   in Loop: Header=BB570_148 Depth=1
	s_or_b64 exec, exec, s[38:39]
	v_cmp_eq_u16_sdwa s[38:39], v33, v71 src0_sel:BYTE_0 src1_sel:DWORD
	ds_bpermute_b32 v84, v73, v32
	v_subrev_u32_e32 v30, 64, v30
	v_and_b32_e32 v36, s39, v35
	v_or_b32_e32 v36, 0x80000000, v36
	v_and_b32_e32 v37, s38, v34
	v_ffbl_b32_e32 v36, v36
	v_add_u32_e32 v36, 32, v36
	v_ffbl_b32_e32 v37, v37
	v_min_u32_e32 v36, v37, v36
	v_cmp_lt_u32_e32 vcc, v72, v36
	s_waitcnt lgkmcnt(0)
	s_nop 0
	v_cndmask_b32_e32 v37, 0, v84, vcc
	v_add_u32_e32 v32, v37, v32
	ds_bpermute_b32 v37, v74, v32
	v_cmp_le_u32_e32 vcc, v75, v36
	s_waitcnt lgkmcnt(0)
	s_nop 0
	v_cndmask_b32_e32 v37, 0, v37, vcc
	v_add_u32_e32 v32, v32, v37
	ds_bpermute_b32 v37, v76, v32
	v_cmp_le_u32_e32 vcc, v77, v36
	;; [unrolled: 6-line block ×5, first 2 shown]
	s_waitcnt lgkmcnt(0)
	s_nop 0
	v_cndmask_b32_e32 v36, 0, v37, vcc
	v_add3_u32 v32, v36, v11, v32
.LBB570_148:                            ; =>This Loop Header: Depth=1
                                        ;     Child Loop BB570_151 Depth 2
	v_cmp_ne_u16_sdwa s[38:39], v33, v71 src0_sel:BYTE_0 src1_sel:DWORD
	s_nop 1
	v_cndmask_b32_e64 v11, 0, 1, s[38:39]
	;;#ASMSTART
	;;#ASMEND
	s_nop 0
	v_cmp_ne_u32_e32 vcc, 0, v11
	s_cmp_lg_u64 vcc, exec
	v_mov_b32_e32 v11, v32
	s_cbranch_scc1 .LBB570_153
; %bb.149:                              ;   in Loop: Header=BB570_148 Depth=1
	v_lshl_add_u64 v[36:37], v[30:31], 3, s[36:37]
	global_load_dwordx2 v[32:33], v[36:37], off sc1
	s_waitcnt vmcnt(0)
	v_cmp_eq_u16_sdwa s[40:41], v33, v31 src0_sel:BYTE_0 src1_sel:DWORD
	s_and_saveexec_b64 s[38:39], s[40:41]
	s_cbranch_execz .LBB570_147
; %bb.150:                              ;   in Loop: Header=BB570_148 Depth=1
	s_mov_b64 s[40:41], 0
.LBB570_151:                            ;   Parent Loop BB570_148 Depth=1
                                        ; =>  This Inner Loop Header: Depth=2
	global_load_dwordx2 v[32:33], v[36:37], off sc1
	s_waitcnt vmcnt(0)
	v_cmp_ne_u16_sdwa s[44:45], v33, v31 src0_sel:BYTE_0 src1_sel:DWORD
	s_or_b64 s[40:41], s[44:45], s[40:41]
	s_andn2_b64 exec, exec, s[40:41]
	s_cbranch_execnz .LBB570_151
; %bb.152:                              ;   in Loop: Header=BB570_148 Depth=1
	s_or_b64 exec, exec, s[40:41]
	s_branch .LBB570_147
.LBB570_153:                            ;   in Loop: Header=BB570_148 Depth=1
                                        ; implicit-def: $vgpr32
                                        ; implicit-def: $vgpr33
	s_cbranch_execz .LBB570_148
; %bb.154:
	s_and_saveexec_b64 s[38:39], s[16:17]
	s_cbranch_execz .LBB570_156
; %bb.155:
	s_add_i32 s40, s42, 64
	s_mov_b32 s41, 0
	s_lshl_b64 s[40:41], s[40:41], 3
	s_add_u32 s40, s36, s40
	v_add_u32_e32 v30, v11, v10
	v_mov_b32_e32 v31, 2
	s_addc_u32 s41, s37, s41
	v_mov_b32_e32 v32, 0
	global_store_dwordx2 v32, v[30:31], s[40:41] sc1
	ds_write_b64 v32, v[10:11] offset:30720
.LBB570_156:
	s_or_b64 exec, exec, s[38:39]
	s_and_b64 exec, exec, s[18:19]
	s_cbranch_execz .LBB570_158
; %bb.157:
	v_mov_b32_e32 v10, 0
	ds_write_b32 v10, v11 offset:28
.LBB570_158:
	s_or_b64 exec, exec, s[0:1]
	v_mov_b32_e32 v10, 0
	s_waitcnt lgkmcnt(0)
	s_barrier
	ds_read_b32 v30, v10 offset:28
	s_waitcnt lgkmcnt(0)
	s_barrier
	ds_read_b64 v[10:11], v10 offset:30720
	v_cndmask_b32_e64 v31, v70, v69, s[16:17]
	v_cndmask_b32_e64 v31, v31, 0, s[18:19]
	v_add_u32_e32 v35, v30, v31
	s_waitcnt lgkmcnt(0)
	v_mov_b32_e32 v70, v11
	s_branch .LBB570_169
.LBB570_159:
                                        ; implicit-def: $vgpr70
                                        ; implicit-def: $vgpr10
                                        ; implicit-def: $vgpr35
	s_cbranch_execz .LBB570_169
; %bb.160:
	s_nop 0
	v_mov_b32_dpp v10, v68 row_shr:1 row_mask:0xf bank_mask:0xf
	v_cndmask_b32_e64 v10, v10, 0, s[14:15]
	v_add_u32_e32 v10, v10, v68
	s_nop 1
	v_mov_b32_dpp v11, v10 row_shr:2 row_mask:0xf bank_mask:0xf
	v_cndmask_b32_e64 v11, 0, v11, s[12:13]
	v_add_u32_e32 v10, v10, v11
	;; [unrolled: 4-line block ×4, first 2 shown]
	s_nop 1
	v_mov_b32_dpp v11, v10 row_bcast:15 row_mask:0xf bank_mask:0xf
	v_cndmask_b32_e64 v11, v11, 0, s[6:7]
	v_add_u32_e32 v10, v10, v11
	s_nop 1
	v_mov_b32_dpp v11, v10 row_bcast:31 row_mask:0xf bank_mask:0xf
	v_cndmask_b32_e64 v11, 0, v11, s[2:3]
	v_add_u32_e32 v10, v10, v11
	s_and_saveexec_b64 s[0:1], s[4:5]
	s_cbranch_execz .LBB570_162
; %bb.161:
	v_lshlrev_b32_e32 v11, 2, v67
	ds_write_b32 v11, v10
.LBB570_162:
	s_or_b64 exec, exec, s[0:1]
	v_cmp_gt_u32_e32 vcc, 8, v0
	s_waitcnt lgkmcnt(0)
	s_barrier
	s_and_saveexec_b64 s[0:1], vcc
	s_cbranch_execz .LBB570_164
; %bb.163:
	v_lshlrev_b32_e32 v11, 2, v0
	ds_read_b32 v30, v11
	v_and_b32_e32 v31, 7, v66
	v_cmp_ne_u32_e32 vcc, 0, v31
	s_waitcnt lgkmcnt(0)
	v_mov_b32_dpp v32, v30 row_shr:1 row_mask:0xf bank_mask:0xf
	v_cndmask_b32_e32 v32, 0, v32, vcc
	v_add_u32_e32 v30, v32, v30
	v_cmp_lt_u32_e32 vcc, 1, v31
	s_nop 0
	v_mov_b32_dpp v32, v30 row_shr:2 row_mask:0xf bank_mask:0xf
	v_cndmask_b32_e32 v32, 0, v32, vcc
	v_add_u32_e32 v30, v30, v32
	v_cmp_lt_u32_e32 vcc, 3, v31
	s_nop 0
	v_mov_b32_dpp v32, v30 row_shr:4 row_mask:0xf bank_mask:0xf
	v_cndmask_b32_e32 v31, 0, v32, vcc
	v_add_u32_e32 v30, v30, v31
	ds_write_b32 v11, v30
.LBB570_164:
	s_or_b64 exec, exec, s[0:1]
	v_cmp_lt_u32_e32 vcc, 63, v0
	v_mov_b32_e32 v11, 0
	v_mov_b32_e32 v30, 0
	s_waitcnt lgkmcnt(0)
	s_barrier
	s_and_saveexec_b64 s[0:1], vcc
	s_cbranch_execz .LBB570_166
; %bb.165:
	v_lshl_add_u32 v30, v67, 2, -4
	ds_read_b32 v30, v30
.LBB570_166:
	s_or_b64 exec, exec, s[0:1]
	v_add_u32_e32 v31, -1, v66
	v_and_b32_e32 v32, 64, v66
	v_cmp_lt_i32_e32 vcc, v31, v32
	s_waitcnt lgkmcnt(0)
	v_add_u32_e32 v10, v30, v10
	v_cndmask_b32_e32 v31, v31, v66, vcc
	v_lshlrev_b32_e32 v31, 2, v31
	ds_bpermute_b32 v31, v31, v10
	ds_read_b32 v10, v11 offset:28
	s_and_saveexec_b64 s[0:1], s[18:19]
	s_cbranch_execz .LBB570_168
; %bb.167:
	v_mov_b32_e32 v32, 0
	v_mov_b32_e32 v11, 2
	s_waitcnt lgkmcnt(0)
	global_store_dwordx2 v32, v[10:11], s[36:37] offset:512 sc1
.LBB570_168:
	s_or_b64 exec, exec, s[0:1]
	v_cmp_eq_u32_e32 vcc, 0, v66
	v_mov_b32_e32 v70, 0
	s_waitcnt lgkmcnt(0)
	v_cndmask_b32_e32 v11, v31, v30, vcc
	v_cndmask_b32_e64 v35, v11, 0, s[18:19]
	s_barrier
.LBB570_169:
	v_add_u32_sdwa v37, v35, v2 dst_sel:DWORD dst_unused:UNUSED_PAD src0_sel:DWORD src1_sel:BYTE_0
	v_add_u32_e32 v9, v10, v9
	v_sub_u32_e32 v35, v35, v70
	v_and_b32_e32 v76, 1, v2
	v_sub_u32_e32 v75, v9, v35
	v_cmp_eq_u32_e32 vcc, 1, v76
	v_lshrrev_b32_e32 v36, 8, v2
	v_add_u32_sdwa v66, v37, v2 dst_sel:DWORD dst_unused:UNUSED_PAD src0_sel:DWORD src1_sel:BYTE_1
	v_cndmask_b32_e32 v35, v75, v35, vcc
	v_lshlrev_b32_e32 v35, 1, v35
	ds_write_b16 v35, v28
	v_sub_u32_e32 v35, v37, v70
	v_sub_u32_e32 v37, v9, v35
	v_and_b32_e32 v36, 1, v36
	v_add_u32_e32 v37, 1, v37
	v_cmp_eq_u32_e32 vcc, 1, v36
	v_mov_b32_e32 v36, 1
	v_and_b32_sdwa v2, v36, v2 dst_sel:DWORD dst_unused:UNUSED_PAD src0_sel:DWORD src1_sel:WORD_1
	v_cndmask_b32_e32 v35, v37, v35, vcc
	v_lshlrev_b32_e32 v35, 1, v35
	ds_write_b16_d16_hi v35, v28
	v_sub_u32_e32 v28, v66, v70
	v_sub_u32_e32 v35, v9, v28
	v_add_u32_e32 v35, 2, v35
	v_cmp_eq_u32_e32 vcc, 1, v2
	v_add_u32_e32 v65, v66, v65
	v_add_u32_e32 v67, v65, v46
	v_cndmask_b32_e32 v2, v35, v28, vcc
	v_lshlrev_b32_e32 v2, 1, v2
	ds_write_b16 v2, v29
	v_sub_u32_e32 v2, v65, v70
	v_sub_u32_e32 v28, v9, v2
	v_and_b32_e32 v35, 1, v46
	v_add_u32_e32 v28, 3, v28
	v_cmp_eq_u32_e32 vcc, 1, v35
	v_add_u32_e32 v62, v67, v62
	v_lshrrev_b32_e32 v34, 8, v3
	v_cndmask_b32_e32 v2, v28, v2, vcc
	v_lshlrev_b32_e32 v2, 1, v2
	ds_write_b16_d16_hi v2, v29
	v_sub_u32_e32 v2, v67, v70
	v_sub_u32_e32 v28, v9, v2
	v_and_b32_e32 v29, 1, v3
	v_add_u32_e32 v28, 4, v28
	v_cmp_eq_u32_e32 vcc, 1, v29
	v_and_b32_e32 v29, 1, v34
	v_add_u32_e32 v63, v62, v63
	v_cndmask_b32_e32 v2, v28, v2, vcc
	v_lshlrev_b32_e32 v2, 1, v2
	ds_write_b16 v2, v26
	v_sub_u32_e32 v2, v62, v70
	v_sub_u32_e32 v28, v9, v2
	v_add_u32_e32 v28, 5, v28
	v_cmp_eq_u32_e32 vcc, 1, v29
	v_and_b32_sdwa v3, v36, v3 dst_sel:DWORD dst_unused:UNUSED_PAD src0_sel:DWORD src1_sel:WORD_1
	v_add_u32_e32 v64, v63, v64
	v_cndmask_b32_e32 v2, v28, v2, vcc
	v_lshlrev_b32_e32 v2, 1, v2
	ds_write_b16_d16_hi v2, v26
	v_sub_u32_e32 v2, v63, v70
	v_sub_u32_e32 v26, v9, v2
	v_add_u32_e32 v26, 6, v26
	v_cmp_eq_u32_e32 vcc, 1, v3
	v_add_u32_e32 v68, v64, v45
	v_add_u32_e32 v59, v68, v59
	v_cndmask_b32_e32 v2, v26, v2, vcc
	v_lshlrev_b32_e32 v2, 1, v2
	ds_write_b16 v2, v27
	v_sub_u32_e32 v2, v64, v70
	v_sub_u32_e32 v3, v9, v2
	v_and_b32_e32 v26, 1, v45
	v_add_u32_e32 v3, 7, v3
	v_cmp_eq_u32_e32 vcc, 1, v26
	v_and_b32_e32 v26, 1, v4
	v_lshrrev_b32_e32 v33, 8, v4
	v_cndmask_b32_e32 v2, v3, v2, vcc
	v_lshlrev_b32_e32 v2, 1, v2
	ds_write_b16_d16_hi v2, v27
	v_sub_u32_e32 v2, v68, v70
	v_sub_u32_e32 v3, v9, v2
	v_add_u32_e32 v3, 8, v3
	v_cmp_eq_u32_e32 vcc, 1, v26
	v_and_b32_e32 v26, 1, v33
	v_add_u32_e32 v60, v59, v60
	v_cndmask_b32_e32 v2, v3, v2, vcc
	v_lshlrev_b32_e32 v2, 1, v2
	ds_write_b16 v2, v24
	v_sub_u32_e32 v2, v59, v70
	v_sub_u32_e32 v3, v9, v2
	v_add_u32_e32 v3, 9, v3
	v_cmp_eq_u32_e32 vcc, 1, v26
	v_and_b32_sdwa v4, v36, v4 dst_sel:DWORD dst_unused:UNUSED_PAD src0_sel:DWORD src1_sel:WORD_1
	v_add_u32_e32 v61, v60, v61
	v_cndmask_b32_e32 v2, v3, v2, vcc
	v_lshlrev_b32_e32 v2, 1, v2
	ds_write_b16_d16_hi v2, v24
	v_sub_u32_e32 v2, v60, v70
	v_sub_u32_e32 v3, v9, v2
	v_add_u32_e32 v3, 10, v3
	v_cmp_eq_u32_e32 vcc, 1, v4
	v_and_b32_e32 v4, 1, v44
	v_add_u32_e32 v69, v61, v44
	v_cndmask_b32_e32 v2, v3, v2, vcc
	v_lshlrev_b32_e32 v2, 1, v2
	ds_write_b16 v2, v25
	v_sub_u32_e32 v2, v61, v70
	v_sub_u32_e32 v3, v9, v2
	v_add_u32_e32 v3, 11, v3
	v_cmp_eq_u32_e32 vcc, 1, v4
	v_and_b32_e32 v4, 1, v5
	v_add_u32_e32 v56, v69, v56
	v_cndmask_b32_e32 v2, v3, v2, vcc
	v_lshlrev_b32_e32 v2, 1, v2
	ds_write_b16_d16_hi v2, v25
	v_sub_u32_e32 v2, v69, v70
	v_sub_u32_e32 v3, v9, v2
	v_add_u32_e32 v3, 12, v3
	v_cmp_eq_u32_e32 vcc, 1, v4
	v_lshrrev_b32_e32 v32, 8, v5
	v_and_b32_e32 v4, 1, v32
	v_cndmask_b32_e32 v2, v3, v2, vcc
	v_lshlrev_b32_e32 v2, 1, v2
	ds_write_b16 v2, v22
	v_sub_u32_e32 v2, v56, v70
	v_sub_u32_e32 v3, v9, v2
	v_add_u32_e32 v3, 13, v3
	v_cmp_eq_u32_e32 vcc, 1, v4
	v_add_u32_e32 v57, v56, v57
	v_and_b32_sdwa v4, v36, v5 dst_sel:DWORD dst_unused:UNUSED_PAD src0_sel:DWORD src1_sel:WORD_1
	v_cndmask_b32_e32 v2, v3, v2, vcc
	v_lshlrev_b32_e32 v2, 1, v2
	ds_write_b16_d16_hi v2, v22
	v_sub_u32_e32 v2, v57, v70
	v_sub_u32_e32 v3, v9, v2
	v_add_u32_e32 v3, 14, v3
	v_cmp_eq_u32_e32 vcc, 1, v4
	v_add_u32_e32 v58, v57, v58
	v_and_b32_e32 v4, 1, v43
	v_cndmask_b32_e32 v2, v3, v2, vcc
	v_lshlrev_b32_e32 v2, 1, v2
	ds_write_b16 v2, v23
	v_sub_u32_e32 v2, v58, v70
	v_sub_u32_e32 v3, v9, v2
	v_add_u32_e32 v3, 15, v3
	v_cmp_eq_u32_e32 vcc, 1, v4
	v_add_u32_e32 v71, v58, v43
	v_and_b32_e32 v4, 1, v6
	v_cndmask_b32_e32 v2, v3, v2, vcc
	v_lshlrev_b32_e32 v2, 1, v2
	ds_write_b16_d16_hi v2, v23
	v_sub_u32_e32 v2, v71, v70
	v_sub_u32_e32 v3, v9, v2
	v_add_u32_e32 v3, 16, v3
	v_cmp_eq_u32_e32 vcc, 1, v4
	v_add_u32_e32 v53, v71, v53
	v_lshrrev_b32_e32 v31, 8, v6
	v_cndmask_b32_e32 v2, v3, v2, vcc
	v_lshlrev_b32_e32 v2, 1, v2
	ds_write_b16 v2, v20
	v_sub_u32_e32 v2, v53, v70
	v_sub_u32_e32 v3, v9, v2
	v_and_b32_e32 v4, 1, v31
	v_add_u32_e32 v3, 17, v3
	v_cmp_eq_u32_e32 vcc, 1, v4
	v_add_u32_e32 v54, v53, v54
	v_and_b32_sdwa v4, v36, v6 dst_sel:DWORD dst_unused:UNUSED_PAD src0_sel:DWORD src1_sel:WORD_1
	v_cndmask_b32_e32 v2, v3, v2, vcc
	v_lshlrev_b32_e32 v2, 1, v2
	ds_write_b16_d16_hi v2, v20
	v_sub_u32_e32 v2, v54, v70
	v_sub_u32_e32 v3, v9, v2
	v_add_u32_e32 v3, 18, v3
	v_cmp_eq_u32_e32 vcc, 1, v4
	v_add_u32_e32 v55, v54, v55
	v_and_b32_e32 v4, 1, v42
	v_cndmask_b32_e32 v2, v3, v2, vcc
	v_lshlrev_b32_e32 v2, 1, v2
	ds_write_b16 v2, v21
	v_sub_u32_e32 v2, v55, v70
	v_sub_u32_e32 v3, v9, v2
	v_add_u32_e32 v3, 19, v3
	v_cmp_eq_u32_e32 vcc, 1, v4
	v_add_u32_e32 v72, v55, v42
	v_and_b32_e32 v4, 1, v7
	v_cndmask_b32_e32 v2, v3, v2, vcc
	v_lshlrev_b32_e32 v2, 1, v2
	ds_write_b16_d16_hi v2, v21
	v_sub_u32_e32 v2, v72, v70
	v_sub_u32_e32 v3, v9, v2
	v_add_u32_e32 v3, 20, v3
	v_cmp_eq_u32_e32 vcc, 1, v4
	v_add_u32_e32 v50, v72, v50
	v_lshrrev_b32_e32 v30, 8, v7
	v_cndmask_b32_e32 v2, v3, v2, vcc
	v_lshlrev_b32_e32 v2, 1, v2
	ds_write_b16 v2, v18
	v_sub_u32_e32 v2, v50, v70
	v_sub_u32_e32 v3, v9, v2
	v_and_b32_e32 v4, 1, v30
	;; [unrolled: 37-line block ×3, first 2 shown]
	v_add_u32_e32 v3, 25, v3
	v_cmp_eq_u32_e32 vcc, 1, v4
	v_add_u32_e32 v48, v47, v48
	v_and_b32_sdwa v4, v36, v8 dst_sel:DWORD dst_unused:UNUSED_PAD src0_sel:DWORD src1_sel:WORD_1
	v_cndmask_b32_e32 v2, v3, v2, vcc
	v_lshlrev_b32_e32 v2, 1, v2
	ds_write_b16_d16_hi v2, v16
	v_sub_u32_e32 v2, v48, v70
	v_sub_u32_e32 v3, v9, v2
	v_add_u32_e32 v3, 26, v3
	v_cmp_eq_u32_e32 vcc, 1, v4
	v_add_u32_e32 v49, v48, v49
	v_and_b32_e32 v4, 1, v39
	v_cndmask_b32_e32 v2, v3, v2, vcc
	v_lshlrev_b32_e32 v2, 1, v2
	ds_write_b16 v2, v17
	v_sub_u32_e32 v2, v49, v70
	v_sub_u32_e32 v3, v9, v2
	v_add_u32_e32 v3, 27, v3
	v_cmp_eq_u32_e32 vcc, 1, v4
	v_add_u32_e32 v74, v49, v39
	v_and_b32_e32 v4, 1, v38
	v_cndmask_b32_e32 v2, v3, v2, vcc
	v_lshlrev_b32_e32 v2, 1, v2
	ds_write_b16_d16_hi v2, v17
	v_sub_u32_e32 v2, v74, v70
	v_sub_u32_e32 v3, v9, v2
	v_add_u32_e32 v3, 28, v3
	v_cmp_eq_u32_e32 vcc, 1, v4
	v_and_b32_e32 v4, 1, v13
	s_add_u32 s0, s26, s24
	v_cndmask_b32_e32 v2, v3, v2, vcc
	v_lshlrev_b32_e32 v2, 1, v2
	ds_write_b16 v2, v1
	v_sub_u32_e32 v2, v40, v70
	v_add_u32_e32 v2, v74, v2
	v_sub_u32_e32 v3, v9, v2
	v_add_u32_e32 v3, 29, v3
	v_cmp_eq_u32_e32 vcc, 1, v4
	s_addc_u32 s1, s27, 0
	s_sub_u32 s0, s30, s0
	v_cndmask_b32_e32 v2, v3, v2, vcc
	v_lshlrev_b32_e32 v2, 1, v2
	ds_write_b16_d16_hi v2, v1
	s_waitcnt lgkmcnt(0)
	s_barrier
	ds_read_u16 v101, v12
	ds_read_u16 v100, v12 offset:1024
	ds_read_u16 v99, v12 offset:2048
	;; [unrolled: 1-line block ×29, first 2 shown]
	v_mov_b32_e32 v1, 0
	v_mov_b32_e32 v71, v1
	;; [unrolled: 1-line block ×3, first 2 shown]
	s_subb_u32 s1, s31, s1
	s_waitcnt vmcnt(0)
	v_lshl_add_u64 v[2:3], v[14:15], 0, v[70:71]
	v_lshl_add_u64 v[6:7], s[0:1], 0, v[10:11]
	v_or_b32_e32 v68, 0x200, v0
	v_mov_b32_e32 v69, v1
	v_or_b32_e32 v66, 0x400, v0
	v_mov_b32_e32 v67, v1
	;; [unrolled: 2-line block ×29, first 2 shown]
	s_andn2_b64 vcc, exec, s[34:35]
	v_lshl_add_u64 v[6:7], v[6:7], 0, v[2:3]
	s_cbranch_vccnz .LBB570_294
; %bb.170:
	v_cmp_ge_u32_e32 vcc, v0, v10
                                        ; implicit-def: $vgpr12_vgpr13
	s_and_saveexec_b64 s[0:1], vcc
	s_xor_b64 s[0:1], exec, s[0:1]
; %bb.171:
	v_not_b32_e32 v12, v0
	v_ashrrev_i32_e32 v13, 31, v12
	v_lshl_add_u64 v[12:13], v[6:7], 0, v[12:13]
; %bb.172:
	s_andn2_saveexec_b64 s[0:1], s[0:1]
; %bb.173:
	v_lshl_add_u64 v[12:13], v[2:3], 0, v[0:1]
; %bb.174:
	s_or_b64 exec, exec, s[0:1]
	v_lshl_add_u64 v[12:13], v[12:13], 1, s[28:29]
	v_cmp_ge_u32_e32 vcc, v68, v10
	s_waitcnt lgkmcnt(14)
	global_store_short v[12:13], v101, off
                                        ; implicit-def: $vgpr12_vgpr13
	s_and_saveexec_b64 s[0:1], vcc
	s_xor_b64 s[0:1], exec, s[0:1]
; %bb.175:
	v_xor_b32_e32 v12, 0xfffffdff, v0
	v_ashrrev_i32_e32 v13, 31, v12
	v_lshl_add_u64 v[12:13], v[6:7], 0, v[12:13]
; %bb.176:
	s_andn2_saveexec_b64 s[0:1], s[0:1]
; %bb.177:
	v_lshl_add_u64 v[12:13], v[2:3], 0, v[68:69]
; %bb.178:
	s_or_b64 exec, exec, s[0:1]
	v_lshl_add_u64 v[12:13], v[12:13], 1, s[28:29]
	v_cmp_ge_u32_e32 vcc, v66, v10
	global_store_short v[12:13], v100, off
                                        ; implicit-def: $vgpr12_vgpr13
	s_and_saveexec_b64 s[0:1], vcc
	s_xor_b64 s[0:1], exec, s[0:1]
; %bb.179:
	v_xor_b32_e32 v12, 0xfffffbff, v0
	v_ashrrev_i32_e32 v13, 31, v12
	v_lshl_add_u64 v[12:13], v[6:7], 0, v[12:13]
; %bb.180:
	s_andn2_saveexec_b64 s[0:1], s[0:1]
; %bb.181:
	v_lshl_add_u64 v[12:13], v[2:3], 0, v[66:67]
; %bb.182:
	s_or_b64 exec, exec, s[0:1]
	v_lshl_add_u64 v[12:13], v[12:13], 1, s[28:29]
	v_cmp_ge_u32_e32 vcc, v64, v10
	;; [unrolled: 16-line block ×16, first 2 shown]
	s_waitcnt lgkmcnt(13)
	global_store_short v[12:13], v85, off
                                        ; implicit-def: $vgpr12_vgpr13
	s_and_saveexec_b64 s[0:1], vcc
	s_xor_b64 s[0:1], exec, s[0:1]
; %bb.239:
	v_xor_b32_e32 v12, 0xffffddff, v0
	v_ashrrev_i32_e32 v13, 31, v12
	v_lshl_add_u64 v[12:13], v[6:7], 0, v[12:13]
; %bb.240:
	s_andn2_saveexec_b64 s[0:1], s[0:1]
; %bb.241:
	v_lshl_add_u64 v[12:13], v[2:3], 0, v[36:37]
; %bb.242:
	s_or_b64 exec, exec, s[0:1]
	v_lshl_add_u64 v[12:13], v[12:13], 1, s[28:29]
	v_cmp_ge_u32_e32 vcc, v34, v10
	s_waitcnt lgkmcnt(12)
	global_store_short v[12:13], v84, off
                                        ; implicit-def: $vgpr12_vgpr13
	s_and_saveexec_b64 s[0:1], vcc
	s_xor_b64 s[0:1], exec, s[0:1]
; %bb.243:
	v_xor_b32_e32 v12, 0xffffdbff, v0
	v_ashrrev_i32_e32 v13, 31, v12
	v_lshl_add_u64 v[12:13], v[6:7], 0, v[12:13]
; %bb.244:
	s_andn2_saveexec_b64 s[0:1], s[0:1]
; %bb.245:
	v_lshl_add_u64 v[12:13], v[2:3], 0, v[34:35]
; %bb.246:
	s_or_b64 exec, exec, s[0:1]
	v_lshl_add_u64 v[12:13], v[12:13], 1, s[28:29]
	v_cmp_ge_u32_e32 vcc, v32, v10
	;; [unrolled: 17-line block ×12, first 2 shown]
	s_waitcnt lgkmcnt(1)
	global_store_short v[12:13], v73, off
                                        ; implicit-def: $vgpr12_vgpr13
	s_and_saveexec_b64 s[0:1], vcc
	s_xor_b64 s[0:1], exec, s[0:1]
; %bb.287:
	v_xor_b32_e32 v12, 0xffffc5ff, v0
	v_ashrrev_i32_e32 v13, 31, v12
	v_lshl_add_u64 v[12:13], v[6:7], 0, v[12:13]
; %bb.288:
	s_andn2_saveexec_b64 s[0:1], s[0:1]
; %bb.289:
	v_lshl_add_u64 v[12:13], v[2:3], 0, v[4:5]
; %bb.290:
	s_or_b64 exec, exec, s[0:1]
	s_mov_b64 s[0:1], -1
.LBB570_291:
	s_and_saveexec_b64 s[2:3], s[0:1]
	s_cbranch_execz .LBB570_382
.LBB570_292:
	v_lshl_add_u64 v[0:1], v[12:13], 1, s[28:29]
	s_waitcnt lgkmcnt(0)
	global_store_short v[0:1], v72, off
	s_or_b64 exec, exec, s[2:3]
	s_and_b64 s[0:1], s[18:19], s[22:23]
	s_and_saveexec_b64 s[2:3], s[0:1]
	s_cbranch_execnz .LBB570_383
.LBB570_293:
	s_endpgm
.LBB570_294:
	s_mov_b64 s[0:1], 0
                                        ; implicit-def: $vgpr12_vgpr13
	s_cbranch_execz .LBB570_291
; %bb.295:
	v_cmp_gt_u32_e32 vcc, s33, v0
	s_and_saveexec_b64 s[2:3], vcc
	s_cbranch_execz .LBB570_384
; %bb.296:
	v_cmp_ge_u32_e32 vcc, v0, v10
                                        ; implicit-def: $vgpr12_vgpr13
	s_and_saveexec_b64 s[4:5], vcc
	s_xor_b64 s[4:5], exec, s[4:5]
; %bb.297:
	v_not_b32_e32 v12, v0
	v_ashrrev_i32_e32 v13, 31, v12
	v_lshl_add_u64 v[12:13], v[6:7], 0, v[12:13]
; %bb.298:
	s_andn2_saveexec_b64 s[4:5], s[4:5]
; %bb.299:
	v_lshl_add_u64 v[12:13], v[2:3], 0, v[0:1]
; %bb.300:
	s_or_b64 exec, exec, s[4:5]
	v_lshl_add_u64 v[12:13], v[12:13], 1, s[28:29]
	s_waitcnt lgkmcnt(14)
	global_store_short v[12:13], v101, off
	s_or_b64 exec, exec, s[2:3]
	v_cmp_gt_u32_e32 vcc, s33, v68
	s_and_saveexec_b64 s[2:3], vcc
	s_cbranch_execnz .LBB570_385
.LBB570_301:
	s_or_b64 exec, exec, s[2:3]
	v_cmp_gt_u32_e32 vcc, s33, v66
	s_and_saveexec_b64 s[2:3], vcc
	s_cbranch_execz .LBB570_390
.LBB570_302:
	v_cmp_ge_u32_e32 vcc, v66, v10
                                        ; implicit-def: $vgpr12_vgpr13
	s_and_saveexec_b64 s[4:5], vcc
	s_xor_b64 s[4:5], exec, s[4:5]
; %bb.303:
	v_xor_b32_e32 v12, 0xfffffbff, v0
	v_ashrrev_i32_e32 v13, 31, v12
	v_lshl_add_u64 v[12:13], v[6:7], 0, v[12:13]
                                        ; implicit-def: $vgpr66_vgpr67
; %bb.304:
	s_andn2_saveexec_b64 s[4:5], s[4:5]
; %bb.305:
	v_lshl_add_u64 v[12:13], v[2:3], 0, v[66:67]
; %bb.306:
	s_or_b64 exec, exec, s[4:5]
	v_lshl_add_u64 v[12:13], v[12:13], 1, s[28:29]
	s_waitcnt lgkmcnt(14)
	global_store_short v[12:13], v99, off
	s_or_b64 exec, exec, s[2:3]
	v_cmp_gt_u32_e32 vcc, s33, v64
	s_and_saveexec_b64 s[2:3], vcc
	s_cbranch_execnz .LBB570_391
.LBB570_307:
	s_or_b64 exec, exec, s[2:3]
	v_cmp_gt_u32_e32 vcc, s33, v62
	s_and_saveexec_b64 s[2:3], vcc
	s_cbranch_execz .LBB570_396
.LBB570_308:
	v_cmp_ge_u32_e32 vcc, v62, v10
                                        ; implicit-def: $vgpr12_vgpr13
	s_and_saveexec_b64 s[4:5], vcc
	s_xor_b64 s[4:5], exec, s[4:5]
; %bb.309:
	v_xor_b32_e32 v12, 0xfffff7ff, v0
	v_ashrrev_i32_e32 v13, 31, v12
	v_lshl_add_u64 v[12:13], v[6:7], 0, v[12:13]
                                        ; implicit-def: $vgpr62_vgpr63
; %bb.310:
	s_andn2_saveexec_b64 s[4:5], s[4:5]
; %bb.311:
	v_lshl_add_u64 v[12:13], v[2:3], 0, v[62:63]
; %bb.312:
	s_or_b64 exec, exec, s[4:5]
	v_lshl_add_u64 v[12:13], v[12:13], 1, s[28:29]
	s_waitcnt lgkmcnt(14)
	global_store_short v[12:13], v97, off
	s_or_b64 exec, exec, s[2:3]
	v_cmp_gt_u32_e32 vcc, s33, v60
	s_and_saveexec_b64 s[2:3], vcc
	s_cbranch_execnz .LBB570_397
.LBB570_313:
	s_or_b64 exec, exec, s[2:3]
	v_cmp_gt_u32_e32 vcc, s33, v58
	s_and_saveexec_b64 s[2:3], vcc
	s_cbranch_execz .LBB570_402
.LBB570_314:
	v_cmp_ge_u32_e32 vcc, v58, v10
                                        ; implicit-def: $vgpr12_vgpr13
	s_and_saveexec_b64 s[4:5], vcc
	s_xor_b64 s[4:5], exec, s[4:5]
; %bb.315:
	v_xor_b32_e32 v12, 0xfffff3ff, v0
	v_ashrrev_i32_e32 v13, 31, v12
	v_lshl_add_u64 v[12:13], v[6:7], 0, v[12:13]
                                        ; implicit-def: $vgpr58_vgpr59
; %bb.316:
	s_andn2_saveexec_b64 s[4:5], s[4:5]
; %bb.317:
	v_lshl_add_u64 v[12:13], v[2:3], 0, v[58:59]
; %bb.318:
	s_or_b64 exec, exec, s[4:5]
	v_lshl_add_u64 v[12:13], v[12:13], 1, s[28:29]
	s_waitcnt lgkmcnt(14)
	global_store_short v[12:13], v95, off
	s_or_b64 exec, exec, s[2:3]
	v_cmp_gt_u32_e32 vcc, s33, v56
	s_and_saveexec_b64 s[2:3], vcc
	s_cbranch_execnz .LBB570_403
.LBB570_319:
	s_or_b64 exec, exec, s[2:3]
	v_cmp_gt_u32_e32 vcc, s33, v54
	s_and_saveexec_b64 s[2:3], vcc
	s_cbranch_execz .LBB570_408
.LBB570_320:
	v_cmp_ge_u32_e32 vcc, v54, v10
                                        ; implicit-def: $vgpr12_vgpr13
	s_and_saveexec_b64 s[4:5], vcc
	s_xor_b64 s[4:5], exec, s[4:5]
; %bb.321:
	v_xor_b32_e32 v12, 0xffffefff, v0
	v_ashrrev_i32_e32 v13, 31, v12
	v_lshl_add_u64 v[12:13], v[6:7], 0, v[12:13]
                                        ; implicit-def: $vgpr54_vgpr55
; %bb.322:
	s_andn2_saveexec_b64 s[4:5], s[4:5]
; %bb.323:
	v_lshl_add_u64 v[12:13], v[2:3], 0, v[54:55]
; %bb.324:
	s_or_b64 exec, exec, s[4:5]
	v_lshl_add_u64 v[12:13], v[12:13], 1, s[28:29]
	s_waitcnt lgkmcnt(14)
	global_store_short v[12:13], v93, off
	s_or_b64 exec, exec, s[2:3]
	v_cmp_gt_u32_e32 vcc, s33, v52
	s_and_saveexec_b64 s[2:3], vcc
	s_cbranch_execnz .LBB570_409
.LBB570_325:
	s_or_b64 exec, exec, s[2:3]
	v_cmp_gt_u32_e32 vcc, s33, v50
	s_and_saveexec_b64 s[2:3], vcc
	s_cbranch_execz .LBB570_414
.LBB570_326:
	v_cmp_ge_u32_e32 vcc, v50, v10
                                        ; implicit-def: $vgpr12_vgpr13
	s_and_saveexec_b64 s[4:5], vcc
	s_xor_b64 s[4:5], exec, s[4:5]
; %bb.327:
	v_xor_b32_e32 v12, 0xffffebff, v0
	v_ashrrev_i32_e32 v13, 31, v12
	v_lshl_add_u64 v[12:13], v[6:7], 0, v[12:13]
                                        ; implicit-def: $vgpr50_vgpr51
; %bb.328:
	s_andn2_saveexec_b64 s[4:5], s[4:5]
; %bb.329:
	v_lshl_add_u64 v[12:13], v[2:3], 0, v[50:51]
; %bb.330:
	s_or_b64 exec, exec, s[4:5]
	v_lshl_add_u64 v[12:13], v[12:13], 1, s[28:29]
	s_waitcnt lgkmcnt(14)
	global_store_short v[12:13], v91, off
	s_or_b64 exec, exec, s[2:3]
	v_cmp_gt_u32_e32 vcc, s33, v48
	s_and_saveexec_b64 s[2:3], vcc
	s_cbranch_execnz .LBB570_415
.LBB570_331:
	s_or_b64 exec, exec, s[2:3]
	v_cmp_gt_u32_e32 vcc, s33, v46
	s_and_saveexec_b64 s[2:3], vcc
	s_cbranch_execz .LBB570_420
.LBB570_332:
	v_cmp_ge_u32_e32 vcc, v46, v10
                                        ; implicit-def: $vgpr12_vgpr13
	s_and_saveexec_b64 s[4:5], vcc
	s_xor_b64 s[4:5], exec, s[4:5]
; %bb.333:
	v_xor_b32_e32 v12, 0xffffe7ff, v0
	v_ashrrev_i32_e32 v13, 31, v12
	v_lshl_add_u64 v[12:13], v[6:7], 0, v[12:13]
                                        ; implicit-def: $vgpr46_vgpr47
; %bb.334:
	s_andn2_saveexec_b64 s[4:5], s[4:5]
; %bb.335:
	v_lshl_add_u64 v[12:13], v[2:3], 0, v[46:47]
; %bb.336:
	s_or_b64 exec, exec, s[4:5]
	v_lshl_add_u64 v[12:13], v[12:13], 1, s[28:29]
	s_waitcnt lgkmcnt(14)
	global_store_short v[12:13], v89, off
	s_or_b64 exec, exec, s[2:3]
	v_cmp_gt_u32_e32 vcc, s33, v44
	s_and_saveexec_b64 s[2:3], vcc
	s_cbranch_execnz .LBB570_421
.LBB570_337:
	s_or_b64 exec, exec, s[2:3]
	v_cmp_gt_u32_e32 vcc, s33, v42
	s_and_saveexec_b64 s[2:3], vcc
	s_cbranch_execz .LBB570_426
.LBB570_338:
	v_cmp_ge_u32_e32 vcc, v42, v10
                                        ; implicit-def: $vgpr12_vgpr13
	s_and_saveexec_b64 s[4:5], vcc
	s_xor_b64 s[4:5], exec, s[4:5]
; %bb.339:
	v_xor_b32_e32 v12, 0xffffe3ff, v0
	v_ashrrev_i32_e32 v13, 31, v12
	v_lshl_add_u64 v[12:13], v[6:7], 0, v[12:13]
                                        ; implicit-def: $vgpr42_vgpr43
; %bb.340:
	s_andn2_saveexec_b64 s[4:5], s[4:5]
; %bb.341:
	v_lshl_add_u64 v[12:13], v[2:3], 0, v[42:43]
; %bb.342:
	s_or_b64 exec, exec, s[4:5]
	v_lshl_add_u64 v[12:13], v[12:13], 1, s[28:29]
	s_waitcnt lgkmcnt(14)
	global_store_short v[12:13], v87, off
	s_or_b64 exec, exec, s[2:3]
	v_cmp_gt_u32_e32 vcc, s33, v40
	s_and_saveexec_b64 s[2:3], vcc
	s_cbranch_execnz .LBB570_427
.LBB570_343:
	s_or_b64 exec, exec, s[2:3]
	v_cmp_gt_u32_e32 vcc, s33, v38
	s_and_saveexec_b64 s[2:3], vcc
	s_cbranch_execz .LBB570_432
.LBB570_344:
	v_cmp_ge_u32_e32 vcc, v38, v10
                                        ; implicit-def: $vgpr12_vgpr13
	s_and_saveexec_b64 s[4:5], vcc
	s_xor_b64 s[4:5], exec, s[4:5]
; %bb.345:
	v_xor_b32_e32 v12, 0xffffdfff, v0
	v_ashrrev_i32_e32 v13, 31, v12
	v_lshl_add_u64 v[12:13], v[6:7], 0, v[12:13]
                                        ; implicit-def: $vgpr38_vgpr39
; %bb.346:
	s_andn2_saveexec_b64 s[4:5], s[4:5]
; %bb.347:
	v_lshl_add_u64 v[12:13], v[2:3], 0, v[38:39]
; %bb.348:
	s_or_b64 exec, exec, s[4:5]
	v_lshl_add_u64 v[12:13], v[12:13], 1, s[28:29]
	s_waitcnt lgkmcnt(13)
	global_store_short v[12:13], v85, off
	s_or_b64 exec, exec, s[2:3]
	v_cmp_gt_u32_e32 vcc, s33, v36
	s_and_saveexec_b64 s[2:3], vcc
	s_cbranch_execnz .LBB570_433
.LBB570_349:
	s_or_b64 exec, exec, s[2:3]
	v_cmp_gt_u32_e32 vcc, s33, v34
	s_and_saveexec_b64 s[2:3], vcc
	s_cbranch_execz .LBB570_438
.LBB570_350:
	v_cmp_ge_u32_e32 vcc, v34, v10
                                        ; implicit-def: $vgpr12_vgpr13
	s_and_saveexec_b64 s[4:5], vcc
	s_xor_b64 s[4:5], exec, s[4:5]
; %bb.351:
	v_xor_b32_e32 v12, 0xffffdbff, v0
	v_ashrrev_i32_e32 v13, 31, v12
	v_lshl_add_u64 v[12:13], v[6:7], 0, v[12:13]
                                        ; implicit-def: $vgpr34_vgpr35
; %bb.352:
	s_andn2_saveexec_b64 s[4:5], s[4:5]
; %bb.353:
	v_lshl_add_u64 v[12:13], v[2:3], 0, v[34:35]
; %bb.354:
	s_or_b64 exec, exec, s[4:5]
	v_lshl_add_u64 v[12:13], v[12:13], 1, s[28:29]
	s_waitcnt lgkmcnt(11)
	global_store_short v[12:13], v83, off
	s_or_b64 exec, exec, s[2:3]
	v_cmp_gt_u32_e32 vcc, s33, v32
	s_and_saveexec_b64 s[2:3], vcc
	s_cbranch_execnz .LBB570_439
.LBB570_355:
	s_or_b64 exec, exec, s[2:3]
	v_cmp_gt_u32_e32 vcc, s33, v30
	s_and_saveexec_b64 s[2:3], vcc
	s_cbranch_execz .LBB570_444
.LBB570_356:
	v_cmp_ge_u32_e32 vcc, v30, v10
                                        ; implicit-def: $vgpr12_vgpr13
	s_and_saveexec_b64 s[4:5], vcc
	s_xor_b64 s[4:5], exec, s[4:5]
; %bb.357:
	v_xor_b32_e32 v12, 0xffffd7ff, v0
	v_ashrrev_i32_e32 v13, 31, v12
	v_lshl_add_u64 v[12:13], v[6:7], 0, v[12:13]
                                        ; implicit-def: $vgpr30_vgpr31
; %bb.358:
	s_andn2_saveexec_b64 s[4:5], s[4:5]
; %bb.359:
	v_lshl_add_u64 v[12:13], v[2:3], 0, v[30:31]
; %bb.360:
	s_or_b64 exec, exec, s[4:5]
	v_lshl_add_u64 v[12:13], v[12:13], 1, s[28:29]
	s_waitcnt lgkmcnt(9)
	global_store_short v[12:13], v81, off
	s_or_b64 exec, exec, s[2:3]
	v_cmp_gt_u32_e32 vcc, s33, v28
	s_and_saveexec_b64 s[2:3], vcc
	s_cbranch_execnz .LBB570_445
.LBB570_361:
	s_or_b64 exec, exec, s[2:3]
	v_cmp_gt_u32_e32 vcc, s33, v26
	s_and_saveexec_b64 s[2:3], vcc
	s_cbranch_execz .LBB570_450
.LBB570_362:
	v_cmp_ge_u32_e32 vcc, v26, v10
                                        ; implicit-def: $vgpr12_vgpr13
	s_and_saveexec_b64 s[4:5], vcc
	s_xor_b64 s[4:5], exec, s[4:5]
; %bb.363:
	v_xor_b32_e32 v12, 0xffffd3ff, v0
	v_ashrrev_i32_e32 v13, 31, v12
	v_lshl_add_u64 v[12:13], v[6:7], 0, v[12:13]
                                        ; implicit-def: $vgpr26_vgpr27
; %bb.364:
	s_andn2_saveexec_b64 s[4:5], s[4:5]
; %bb.365:
	v_lshl_add_u64 v[12:13], v[2:3], 0, v[26:27]
; %bb.366:
	s_or_b64 exec, exec, s[4:5]
	v_lshl_add_u64 v[12:13], v[12:13], 1, s[28:29]
	s_waitcnt lgkmcnt(7)
	global_store_short v[12:13], v79, off
	s_or_b64 exec, exec, s[2:3]
	v_cmp_gt_u32_e32 vcc, s33, v24
	s_and_saveexec_b64 s[2:3], vcc
	s_cbranch_execnz .LBB570_451
.LBB570_367:
	s_or_b64 exec, exec, s[2:3]
	v_cmp_gt_u32_e32 vcc, s33, v22
	s_and_saveexec_b64 s[2:3], vcc
	s_cbranch_execz .LBB570_456
.LBB570_368:
	v_cmp_ge_u32_e32 vcc, v22, v10
                                        ; implicit-def: $vgpr12_vgpr13
	s_and_saveexec_b64 s[4:5], vcc
	s_xor_b64 s[4:5], exec, s[4:5]
; %bb.369:
	v_xor_b32_e32 v12, 0xffffcfff, v0
	v_ashrrev_i32_e32 v13, 31, v12
	v_lshl_add_u64 v[12:13], v[6:7], 0, v[12:13]
                                        ; implicit-def: $vgpr22_vgpr23
; %bb.370:
	s_andn2_saveexec_b64 s[4:5], s[4:5]
; %bb.371:
	v_lshl_add_u64 v[12:13], v[2:3], 0, v[22:23]
; %bb.372:
	s_or_b64 exec, exec, s[4:5]
	v_lshl_add_u64 v[12:13], v[12:13], 1, s[28:29]
	s_waitcnt lgkmcnt(5)
	global_store_short v[12:13], v77, off
	s_or_b64 exec, exec, s[2:3]
	v_cmp_gt_u32_e32 vcc, s33, v20
	s_and_saveexec_b64 s[2:3], vcc
	s_cbranch_execnz .LBB570_457
.LBB570_373:
	s_or_b64 exec, exec, s[2:3]
	v_cmp_gt_u32_e32 vcc, s33, v18
	s_and_saveexec_b64 s[2:3], vcc
	s_cbranch_execz .LBB570_462
.LBB570_374:
	v_cmp_ge_u32_e32 vcc, v18, v10
                                        ; implicit-def: $vgpr12_vgpr13
	s_and_saveexec_b64 s[4:5], vcc
	s_xor_b64 s[4:5], exec, s[4:5]
; %bb.375:
	v_xor_b32_e32 v12, 0xffffcbff, v0
	v_ashrrev_i32_e32 v13, 31, v12
	v_lshl_add_u64 v[12:13], v[6:7], 0, v[12:13]
                                        ; implicit-def: $vgpr18_vgpr19
; %bb.376:
	s_andn2_saveexec_b64 s[4:5], s[4:5]
; %bb.377:
	v_lshl_add_u64 v[12:13], v[2:3], 0, v[18:19]
; %bb.378:
	s_or_b64 exec, exec, s[4:5]
	v_lshl_add_u64 v[12:13], v[12:13], 1, s[28:29]
	s_waitcnt lgkmcnt(3)
	global_store_short v[12:13], v75, off
	s_or_b64 exec, exec, s[2:3]
	v_cmp_gt_u32_e32 vcc, s33, v16
	s_and_saveexec_b64 s[2:3], vcc
	s_cbranch_execnz .LBB570_463
.LBB570_379:
	s_or_b64 exec, exec, s[2:3]
	v_cmp_gt_u32_e32 vcc, s33, v8
	s_and_saveexec_b64 s[2:3], vcc
	s_cbranch_execnz .LBB570_468
.LBB570_380:
	s_or_b64 exec, exec, s[2:3]
	v_cmp_gt_u32_e32 vcc, s33, v4
                                        ; implicit-def: $vgpr12_vgpr13
	s_and_saveexec_b64 s[2:3], vcc
	s_cbranch_execnz .LBB570_473
.LBB570_381:
	s_or_b64 exec, exec, s[2:3]
	s_and_saveexec_b64 s[2:3], s[0:1]
	s_cbranch_execnz .LBB570_292
.LBB570_382:
	s_or_b64 exec, exec, s[2:3]
	s_and_b64 s[0:1], s[18:19], s[22:23]
	s_and_saveexec_b64 s[2:3], s[0:1]
	s_cbranch_execz .LBB570_293
.LBB570_383:
	v_mov_b32_e32 v4, 0
	v_lshl_add_u64 v[0:1], v[2:3], 0, v[10:11]
	global_store_dwordx2 v4, v[0:1], s[20:21]
	s_endpgm
.LBB570_384:
	s_or_b64 exec, exec, s[2:3]
	v_cmp_gt_u32_e32 vcc, s33, v68
	s_and_saveexec_b64 s[2:3], vcc
	s_cbranch_execz .LBB570_301
.LBB570_385:
	v_cmp_ge_u32_e32 vcc, v68, v10
                                        ; implicit-def: $vgpr12_vgpr13
	s_and_saveexec_b64 s[4:5], vcc
	s_xor_b64 s[4:5], exec, s[4:5]
; %bb.386:
	v_xor_b32_e32 v12, 0xfffffdff, v0
	v_ashrrev_i32_e32 v13, 31, v12
	v_lshl_add_u64 v[12:13], v[6:7], 0, v[12:13]
                                        ; implicit-def: $vgpr68_vgpr69
; %bb.387:
	s_andn2_saveexec_b64 s[4:5], s[4:5]
; %bb.388:
	v_lshl_add_u64 v[12:13], v[2:3], 0, v[68:69]
; %bb.389:
	s_or_b64 exec, exec, s[4:5]
	v_lshl_add_u64 v[12:13], v[12:13], 1, s[28:29]
	s_waitcnt lgkmcnt(14)
	global_store_short v[12:13], v100, off
	s_or_b64 exec, exec, s[2:3]
	v_cmp_gt_u32_e32 vcc, s33, v66
	s_and_saveexec_b64 s[2:3], vcc
	s_cbranch_execnz .LBB570_302
.LBB570_390:
	s_or_b64 exec, exec, s[2:3]
	v_cmp_gt_u32_e32 vcc, s33, v64
	s_and_saveexec_b64 s[2:3], vcc
	s_cbranch_execz .LBB570_307
.LBB570_391:
	v_cmp_ge_u32_e32 vcc, v64, v10
                                        ; implicit-def: $vgpr12_vgpr13
	s_and_saveexec_b64 s[4:5], vcc
	s_xor_b64 s[4:5], exec, s[4:5]
; %bb.392:
	v_xor_b32_e32 v12, 0xfffff9ff, v0
	v_ashrrev_i32_e32 v13, 31, v12
	v_lshl_add_u64 v[12:13], v[6:7], 0, v[12:13]
                                        ; implicit-def: $vgpr64_vgpr65
; %bb.393:
	s_andn2_saveexec_b64 s[4:5], s[4:5]
; %bb.394:
	v_lshl_add_u64 v[12:13], v[2:3], 0, v[64:65]
; %bb.395:
	s_or_b64 exec, exec, s[4:5]
	v_lshl_add_u64 v[12:13], v[12:13], 1, s[28:29]
	s_waitcnt lgkmcnt(14)
	global_store_short v[12:13], v98, off
	s_or_b64 exec, exec, s[2:3]
	v_cmp_gt_u32_e32 vcc, s33, v62
	s_and_saveexec_b64 s[2:3], vcc
	s_cbranch_execnz .LBB570_308
.LBB570_396:
	s_or_b64 exec, exec, s[2:3]
	v_cmp_gt_u32_e32 vcc, s33, v60
	s_and_saveexec_b64 s[2:3], vcc
	s_cbranch_execz .LBB570_313
.LBB570_397:
	v_cmp_ge_u32_e32 vcc, v60, v10
                                        ; implicit-def: $vgpr12_vgpr13
	s_and_saveexec_b64 s[4:5], vcc
	s_xor_b64 s[4:5], exec, s[4:5]
; %bb.398:
	v_xor_b32_e32 v12, 0xfffff5ff, v0
	v_ashrrev_i32_e32 v13, 31, v12
	v_lshl_add_u64 v[12:13], v[6:7], 0, v[12:13]
                                        ; implicit-def: $vgpr60_vgpr61
; %bb.399:
	s_andn2_saveexec_b64 s[4:5], s[4:5]
; %bb.400:
	v_lshl_add_u64 v[12:13], v[2:3], 0, v[60:61]
; %bb.401:
	s_or_b64 exec, exec, s[4:5]
	v_lshl_add_u64 v[12:13], v[12:13], 1, s[28:29]
	s_waitcnt lgkmcnt(14)
	global_store_short v[12:13], v96, off
	s_or_b64 exec, exec, s[2:3]
	v_cmp_gt_u32_e32 vcc, s33, v58
	s_and_saveexec_b64 s[2:3], vcc
	s_cbranch_execnz .LBB570_314
.LBB570_402:
	s_or_b64 exec, exec, s[2:3]
	v_cmp_gt_u32_e32 vcc, s33, v56
	s_and_saveexec_b64 s[2:3], vcc
	s_cbranch_execz .LBB570_319
.LBB570_403:
	v_cmp_ge_u32_e32 vcc, v56, v10
                                        ; implicit-def: $vgpr12_vgpr13
	s_and_saveexec_b64 s[4:5], vcc
	s_xor_b64 s[4:5], exec, s[4:5]
; %bb.404:
	v_xor_b32_e32 v12, 0xfffff1ff, v0
	v_ashrrev_i32_e32 v13, 31, v12
	v_lshl_add_u64 v[12:13], v[6:7], 0, v[12:13]
                                        ; implicit-def: $vgpr56_vgpr57
; %bb.405:
	s_andn2_saveexec_b64 s[4:5], s[4:5]
; %bb.406:
	v_lshl_add_u64 v[12:13], v[2:3], 0, v[56:57]
; %bb.407:
	s_or_b64 exec, exec, s[4:5]
	v_lshl_add_u64 v[12:13], v[12:13], 1, s[28:29]
	s_waitcnt lgkmcnt(14)
	global_store_short v[12:13], v94, off
	s_or_b64 exec, exec, s[2:3]
	v_cmp_gt_u32_e32 vcc, s33, v54
	s_and_saveexec_b64 s[2:3], vcc
	s_cbranch_execnz .LBB570_320
.LBB570_408:
	s_or_b64 exec, exec, s[2:3]
	v_cmp_gt_u32_e32 vcc, s33, v52
	s_and_saveexec_b64 s[2:3], vcc
	s_cbranch_execz .LBB570_325
.LBB570_409:
	v_cmp_ge_u32_e32 vcc, v52, v10
                                        ; implicit-def: $vgpr12_vgpr13
	s_and_saveexec_b64 s[4:5], vcc
	s_xor_b64 s[4:5], exec, s[4:5]
; %bb.410:
	v_xor_b32_e32 v12, 0xffffedff, v0
	v_ashrrev_i32_e32 v13, 31, v12
	v_lshl_add_u64 v[12:13], v[6:7], 0, v[12:13]
                                        ; implicit-def: $vgpr52_vgpr53
; %bb.411:
	s_andn2_saveexec_b64 s[4:5], s[4:5]
; %bb.412:
	v_lshl_add_u64 v[12:13], v[2:3], 0, v[52:53]
; %bb.413:
	s_or_b64 exec, exec, s[4:5]
	v_lshl_add_u64 v[12:13], v[12:13], 1, s[28:29]
	s_waitcnt lgkmcnt(14)
	global_store_short v[12:13], v92, off
	s_or_b64 exec, exec, s[2:3]
	v_cmp_gt_u32_e32 vcc, s33, v50
	s_and_saveexec_b64 s[2:3], vcc
	s_cbranch_execnz .LBB570_326
.LBB570_414:
	s_or_b64 exec, exec, s[2:3]
	v_cmp_gt_u32_e32 vcc, s33, v48
	s_and_saveexec_b64 s[2:3], vcc
	s_cbranch_execz .LBB570_331
.LBB570_415:
	v_cmp_ge_u32_e32 vcc, v48, v10
                                        ; implicit-def: $vgpr12_vgpr13
	s_and_saveexec_b64 s[4:5], vcc
	s_xor_b64 s[4:5], exec, s[4:5]
; %bb.416:
	v_xor_b32_e32 v12, 0xffffe9ff, v0
	v_ashrrev_i32_e32 v13, 31, v12
	v_lshl_add_u64 v[12:13], v[6:7], 0, v[12:13]
                                        ; implicit-def: $vgpr48_vgpr49
; %bb.417:
	s_andn2_saveexec_b64 s[4:5], s[4:5]
; %bb.418:
	v_lshl_add_u64 v[12:13], v[2:3], 0, v[48:49]
; %bb.419:
	s_or_b64 exec, exec, s[4:5]
	v_lshl_add_u64 v[12:13], v[12:13], 1, s[28:29]
	s_waitcnt lgkmcnt(14)
	global_store_short v[12:13], v90, off
	s_or_b64 exec, exec, s[2:3]
	v_cmp_gt_u32_e32 vcc, s33, v46
	s_and_saveexec_b64 s[2:3], vcc
	s_cbranch_execnz .LBB570_332
.LBB570_420:
	s_or_b64 exec, exec, s[2:3]
	v_cmp_gt_u32_e32 vcc, s33, v44
	s_and_saveexec_b64 s[2:3], vcc
	s_cbranch_execz .LBB570_337
.LBB570_421:
	v_cmp_ge_u32_e32 vcc, v44, v10
                                        ; implicit-def: $vgpr12_vgpr13
	s_and_saveexec_b64 s[4:5], vcc
	s_xor_b64 s[4:5], exec, s[4:5]
; %bb.422:
	v_xor_b32_e32 v12, 0xffffe5ff, v0
	v_ashrrev_i32_e32 v13, 31, v12
	v_lshl_add_u64 v[12:13], v[6:7], 0, v[12:13]
                                        ; implicit-def: $vgpr44_vgpr45
; %bb.423:
	s_andn2_saveexec_b64 s[4:5], s[4:5]
; %bb.424:
	v_lshl_add_u64 v[12:13], v[2:3], 0, v[44:45]
; %bb.425:
	s_or_b64 exec, exec, s[4:5]
	v_lshl_add_u64 v[12:13], v[12:13], 1, s[28:29]
	s_waitcnt lgkmcnt(14)
	global_store_short v[12:13], v88, off
	s_or_b64 exec, exec, s[2:3]
	v_cmp_gt_u32_e32 vcc, s33, v42
	s_and_saveexec_b64 s[2:3], vcc
	s_cbranch_execnz .LBB570_338
.LBB570_426:
	s_or_b64 exec, exec, s[2:3]
	v_cmp_gt_u32_e32 vcc, s33, v40
	s_and_saveexec_b64 s[2:3], vcc
	s_cbranch_execz .LBB570_343
.LBB570_427:
	v_cmp_ge_u32_e32 vcc, v40, v10
                                        ; implicit-def: $vgpr12_vgpr13
	s_and_saveexec_b64 s[4:5], vcc
	s_xor_b64 s[4:5], exec, s[4:5]
; %bb.428:
	v_xor_b32_e32 v12, 0xffffe1ff, v0
	v_ashrrev_i32_e32 v13, 31, v12
	v_lshl_add_u64 v[12:13], v[6:7], 0, v[12:13]
                                        ; implicit-def: $vgpr40_vgpr41
; %bb.429:
	s_andn2_saveexec_b64 s[4:5], s[4:5]
; %bb.430:
	v_lshl_add_u64 v[12:13], v[2:3], 0, v[40:41]
; %bb.431:
	s_or_b64 exec, exec, s[4:5]
	v_lshl_add_u64 v[12:13], v[12:13], 1, s[28:29]
	s_waitcnt lgkmcnt(14)
	global_store_short v[12:13], v86, off
	s_or_b64 exec, exec, s[2:3]
	v_cmp_gt_u32_e32 vcc, s33, v38
	s_and_saveexec_b64 s[2:3], vcc
	s_cbranch_execnz .LBB570_344
.LBB570_432:
	s_or_b64 exec, exec, s[2:3]
	v_cmp_gt_u32_e32 vcc, s33, v36
	s_and_saveexec_b64 s[2:3], vcc
	s_cbranch_execz .LBB570_349
.LBB570_433:
	v_cmp_ge_u32_e32 vcc, v36, v10
                                        ; implicit-def: $vgpr12_vgpr13
	s_and_saveexec_b64 s[4:5], vcc
	s_xor_b64 s[4:5], exec, s[4:5]
; %bb.434:
	v_xor_b32_e32 v12, 0xffffddff, v0
	v_ashrrev_i32_e32 v13, 31, v12
	v_lshl_add_u64 v[12:13], v[6:7], 0, v[12:13]
                                        ; implicit-def: $vgpr36_vgpr37
; %bb.435:
	s_andn2_saveexec_b64 s[4:5], s[4:5]
; %bb.436:
	v_lshl_add_u64 v[12:13], v[2:3], 0, v[36:37]
; %bb.437:
	s_or_b64 exec, exec, s[4:5]
	v_lshl_add_u64 v[12:13], v[12:13], 1, s[28:29]
	s_waitcnt lgkmcnt(12)
	global_store_short v[12:13], v84, off
	s_or_b64 exec, exec, s[2:3]
	v_cmp_gt_u32_e32 vcc, s33, v34
	s_and_saveexec_b64 s[2:3], vcc
	s_cbranch_execnz .LBB570_350
.LBB570_438:
	s_or_b64 exec, exec, s[2:3]
	v_cmp_gt_u32_e32 vcc, s33, v32
	s_and_saveexec_b64 s[2:3], vcc
	s_cbranch_execz .LBB570_355
.LBB570_439:
	v_cmp_ge_u32_e32 vcc, v32, v10
                                        ; implicit-def: $vgpr12_vgpr13
	s_and_saveexec_b64 s[4:5], vcc
	s_xor_b64 s[4:5], exec, s[4:5]
; %bb.440:
	v_xor_b32_e32 v12, 0xffffd9ff, v0
	v_ashrrev_i32_e32 v13, 31, v12
	v_lshl_add_u64 v[12:13], v[6:7], 0, v[12:13]
                                        ; implicit-def: $vgpr32_vgpr33
; %bb.441:
	s_andn2_saveexec_b64 s[4:5], s[4:5]
; %bb.442:
	v_lshl_add_u64 v[12:13], v[2:3], 0, v[32:33]
; %bb.443:
	s_or_b64 exec, exec, s[4:5]
	v_lshl_add_u64 v[12:13], v[12:13], 1, s[28:29]
	s_waitcnt lgkmcnt(10)
	global_store_short v[12:13], v82, off
	s_or_b64 exec, exec, s[2:3]
	v_cmp_gt_u32_e32 vcc, s33, v30
	s_and_saveexec_b64 s[2:3], vcc
	s_cbranch_execnz .LBB570_356
.LBB570_444:
	s_or_b64 exec, exec, s[2:3]
	v_cmp_gt_u32_e32 vcc, s33, v28
	s_and_saveexec_b64 s[2:3], vcc
	s_cbranch_execz .LBB570_361
.LBB570_445:
	v_cmp_ge_u32_e32 vcc, v28, v10
                                        ; implicit-def: $vgpr12_vgpr13
	s_and_saveexec_b64 s[4:5], vcc
	s_xor_b64 s[4:5], exec, s[4:5]
; %bb.446:
	v_xor_b32_e32 v12, 0xffffd5ff, v0
	v_ashrrev_i32_e32 v13, 31, v12
	v_lshl_add_u64 v[12:13], v[6:7], 0, v[12:13]
                                        ; implicit-def: $vgpr28_vgpr29
; %bb.447:
	s_andn2_saveexec_b64 s[4:5], s[4:5]
; %bb.448:
	v_lshl_add_u64 v[12:13], v[2:3], 0, v[28:29]
; %bb.449:
	s_or_b64 exec, exec, s[4:5]
	v_lshl_add_u64 v[12:13], v[12:13], 1, s[28:29]
	s_waitcnt lgkmcnt(8)
	global_store_short v[12:13], v80, off
	s_or_b64 exec, exec, s[2:3]
	v_cmp_gt_u32_e32 vcc, s33, v26
	s_and_saveexec_b64 s[2:3], vcc
	s_cbranch_execnz .LBB570_362
.LBB570_450:
	s_or_b64 exec, exec, s[2:3]
	v_cmp_gt_u32_e32 vcc, s33, v24
	s_and_saveexec_b64 s[2:3], vcc
	s_cbranch_execz .LBB570_367
.LBB570_451:
	v_cmp_ge_u32_e32 vcc, v24, v10
                                        ; implicit-def: $vgpr12_vgpr13
	s_and_saveexec_b64 s[4:5], vcc
	s_xor_b64 s[4:5], exec, s[4:5]
; %bb.452:
	v_xor_b32_e32 v12, 0xffffd1ff, v0
	v_ashrrev_i32_e32 v13, 31, v12
	v_lshl_add_u64 v[12:13], v[6:7], 0, v[12:13]
                                        ; implicit-def: $vgpr24_vgpr25
; %bb.453:
	s_andn2_saveexec_b64 s[4:5], s[4:5]
; %bb.454:
	v_lshl_add_u64 v[12:13], v[2:3], 0, v[24:25]
; %bb.455:
	s_or_b64 exec, exec, s[4:5]
	v_lshl_add_u64 v[12:13], v[12:13], 1, s[28:29]
	s_waitcnt lgkmcnt(6)
	global_store_short v[12:13], v78, off
	s_or_b64 exec, exec, s[2:3]
	v_cmp_gt_u32_e32 vcc, s33, v22
	s_and_saveexec_b64 s[2:3], vcc
	s_cbranch_execnz .LBB570_368
.LBB570_456:
	s_or_b64 exec, exec, s[2:3]
	v_cmp_gt_u32_e32 vcc, s33, v20
	s_and_saveexec_b64 s[2:3], vcc
	s_cbranch_execz .LBB570_373
.LBB570_457:
	v_cmp_ge_u32_e32 vcc, v20, v10
                                        ; implicit-def: $vgpr12_vgpr13
	s_and_saveexec_b64 s[4:5], vcc
	s_xor_b64 s[4:5], exec, s[4:5]
; %bb.458:
	v_xor_b32_e32 v12, 0xffffcdff, v0
	v_ashrrev_i32_e32 v13, 31, v12
	v_lshl_add_u64 v[12:13], v[6:7], 0, v[12:13]
                                        ; implicit-def: $vgpr20_vgpr21
; %bb.459:
	s_andn2_saveexec_b64 s[4:5], s[4:5]
; %bb.460:
	v_lshl_add_u64 v[12:13], v[2:3], 0, v[20:21]
; %bb.461:
	s_or_b64 exec, exec, s[4:5]
	v_lshl_add_u64 v[12:13], v[12:13], 1, s[28:29]
	s_waitcnt lgkmcnt(4)
	global_store_short v[12:13], v76, off
	s_or_b64 exec, exec, s[2:3]
	v_cmp_gt_u32_e32 vcc, s33, v18
	s_and_saveexec_b64 s[2:3], vcc
	s_cbranch_execnz .LBB570_374
.LBB570_462:
	s_or_b64 exec, exec, s[2:3]
	v_cmp_gt_u32_e32 vcc, s33, v16
	s_and_saveexec_b64 s[2:3], vcc
	s_cbranch_execz .LBB570_379
.LBB570_463:
	v_cmp_ge_u32_e32 vcc, v16, v10
                                        ; implicit-def: $vgpr12_vgpr13
	s_and_saveexec_b64 s[4:5], vcc
	s_xor_b64 s[4:5], exec, s[4:5]
; %bb.464:
	v_xor_b32_e32 v12, 0xffffc9ff, v0
	v_ashrrev_i32_e32 v13, 31, v12
	v_lshl_add_u64 v[12:13], v[6:7], 0, v[12:13]
                                        ; implicit-def: $vgpr16_vgpr17
; %bb.465:
	s_andn2_saveexec_b64 s[4:5], s[4:5]
; %bb.466:
	v_lshl_add_u64 v[12:13], v[2:3], 0, v[16:17]
; %bb.467:
	s_or_b64 exec, exec, s[4:5]
	v_lshl_add_u64 v[12:13], v[12:13], 1, s[28:29]
	s_waitcnt lgkmcnt(2)
	global_store_short v[12:13], v74, off
	s_or_b64 exec, exec, s[2:3]
	v_cmp_gt_u32_e32 vcc, s33, v8
	s_and_saveexec_b64 s[2:3], vcc
	s_cbranch_execz .LBB570_380
.LBB570_468:
	v_cmp_ge_u32_e32 vcc, v8, v10
                                        ; implicit-def: $vgpr12_vgpr13
	s_and_saveexec_b64 s[4:5], vcc
	s_xor_b64 s[4:5], exec, s[4:5]
; %bb.469:
	v_xor_b32_e32 v8, 0xffffc7ff, v0
	v_ashrrev_i32_e32 v9, 31, v8
	v_lshl_add_u64 v[12:13], v[6:7], 0, v[8:9]
                                        ; implicit-def: $vgpr8_vgpr9
; %bb.470:
	s_andn2_saveexec_b64 s[4:5], s[4:5]
; %bb.471:
	v_lshl_add_u64 v[12:13], v[2:3], 0, v[8:9]
; %bb.472:
	s_or_b64 exec, exec, s[4:5]
	v_lshl_add_u64 v[8:9], v[12:13], 1, s[28:29]
	s_waitcnt lgkmcnt(1)
	global_store_short v[8:9], v73, off
	s_or_b64 exec, exec, s[2:3]
	v_cmp_gt_u32_e32 vcc, s33, v4
                                        ; implicit-def: $vgpr12_vgpr13
	s_and_saveexec_b64 s[2:3], vcc
	s_cbranch_execz .LBB570_381
.LBB570_473:
	v_cmp_ge_u32_e32 vcc, v4, v10
                                        ; implicit-def: $vgpr12_vgpr13
	s_and_saveexec_b64 s[4:5], vcc
	s_xor_b64 s[4:5], exec, s[4:5]
; %bb.474:
	v_xor_b32_e32 v0, 0xffffc5ff, v0
	v_ashrrev_i32_e32 v1, 31, v0
	v_lshl_add_u64 v[12:13], v[6:7], 0, v[0:1]
                                        ; implicit-def: $vgpr4_vgpr5
; %bb.475:
	s_andn2_saveexec_b64 s[4:5], s[4:5]
; %bb.476:
	v_lshl_add_u64 v[12:13], v[2:3], 0, v[4:5]
; %bb.477:
	s_or_b64 exec, exec, s[4:5]
	s_or_b64 s[0:1], s[0:1], exec
	s_or_b64 exec, exec, s[2:3]
	s_and_saveexec_b64 s[2:3], s[0:1]
	s_cbranch_execnz .LBB570_292
	s_branch .LBB570_382
	.section	.rodata,"a",@progbits
	.p2align	6, 0x0
	.amdhsa_kernel _ZN7rocprim17ROCPRIM_400000_NS6detail17trampoline_kernelINS0_14default_configENS1_25partition_config_selectorILNS1_17partition_subalgoE2EsNS0_10empty_typeEbEEZZNS1_14partition_implILS5_2ELb0ES3_jN6thrust23THRUST_200600_302600_NS6detail15normal_iteratorINSA_7pointerIsNSA_11hip_rocprim3tagENSA_11use_defaultESG_EEEEPS6_NSA_18transform_iteratorINSA_8identityIsEENSC_INSA_10device_ptrIsEEEESG_SG_EENS0_5tupleIJPsSJ_EEENSR_IJSJ_SJ_EEES6_PlJS6_EEE10hipError_tPvRmT3_T4_T5_T6_T7_T9_mT8_P12ihipStream_tbDpT10_ENKUlT_T0_E_clISt17integral_constantIbLb0EES1E_IbLb1EEEEDaS1A_S1B_EUlS1A_E_NS1_11comp_targetILNS1_3genE5ELNS1_11target_archE942ELNS1_3gpuE9ELNS1_3repE0EEENS1_30default_config_static_selectorELNS0_4arch9wavefront6targetE1EEEvT1_
		.amdhsa_group_segment_fixed_size 30728
		.amdhsa_private_segment_fixed_size 0
		.amdhsa_kernarg_size 144
		.amdhsa_user_sgpr_count 2
		.amdhsa_user_sgpr_dispatch_ptr 0
		.amdhsa_user_sgpr_queue_ptr 0
		.amdhsa_user_sgpr_kernarg_segment_ptr 1
		.amdhsa_user_sgpr_dispatch_id 0
		.amdhsa_user_sgpr_kernarg_preload_length 0
		.amdhsa_user_sgpr_kernarg_preload_offset 0
		.amdhsa_user_sgpr_private_segment_size 0
		.amdhsa_uses_dynamic_stack 0
		.amdhsa_enable_private_segment 0
		.amdhsa_system_sgpr_workgroup_id_x 1
		.amdhsa_system_sgpr_workgroup_id_y 0
		.amdhsa_system_sgpr_workgroup_id_z 0
		.amdhsa_system_sgpr_workgroup_info 0
		.amdhsa_system_vgpr_workitem_id 0
		.amdhsa_next_free_vgpr 102
		.amdhsa_next_free_sgpr 46
		.amdhsa_accum_offset 104
		.amdhsa_reserve_vcc 1
		.amdhsa_float_round_mode_32 0
		.amdhsa_float_round_mode_16_64 0
		.amdhsa_float_denorm_mode_32 3
		.amdhsa_float_denorm_mode_16_64 3
		.amdhsa_dx10_clamp 1
		.amdhsa_ieee_mode 1
		.amdhsa_fp16_overflow 0
		.amdhsa_tg_split 0
		.amdhsa_exception_fp_ieee_invalid_op 0
		.amdhsa_exception_fp_denorm_src 0
		.amdhsa_exception_fp_ieee_div_zero 0
		.amdhsa_exception_fp_ieee_overflow 0
		.amdhsa_exception_fp_ieee_underflow 0
		.amdhsa_exception_fp_ieee_inexact 0
		.amdhsa_exception_int_div_zero 0
	.end_amdhsa_kernel
	.section	.text._ZN7rocprim17ROCPRIM_400000_NS6detail17trampoline_kernelINS0_14default_configENS1_25partition_config_selectorILNS1_17partition_subalgoE2EsNS0_10empty_typeEbEEZZNS1_14partition_implILS5_2ELb0ES3_jN6thrust23THRUST_200600_302600_NS6detail15normal_iteratorINSA_7pointerIsNSA_11hip_rocprim3tagENSA_11use_defaultESG_EEEEPS6_NSA_18transform_iteratorINSA_8identityIsEENSC_INSA_10device_ptrIsEEEESG_SG_EENS0_5tupleIJPsSJ_EEENSR_IJSJ_SJ_EEES6_PlJS6_EEE10hipError_tPvRmT3_T4_T5_T6_T7_T9_mT8_P12ihipStream_tbDpT10_ENKUlT_T0_E_clISt17integral_constantIbLb0EES1E_IbLb1EEEEDaS1A_S1B_EUlS1A_E_NS1_11comp_targetILNS1_3genE5ELNS1_11target_archE942ELNS1_3gpuE9ELNS1_3repE0EEENS1_30default_config_static_selectorELNS0_4arch9wavefront6targetE1EEEvT1_,"axG",@progbits,_ZN7rocprim17ROCPRIM_400000_NS6detail17trampoline_kernelINS0_14default_configENS1_25partition_config_selectorILNS1_17partition_subalgoE2EsNS0_10empty_typeEbEEZZNS1_14partition_implILS5_2ELb0ES3_jN6thrust23THRUST_200600_302600_NS6detail15normal_iteratorINSA_7pointerIsNSA_11hip_rocprim3tagENSA_11use_defaultESG_EEEEPS6_NSA_18transform_iteratorINSA_8identityIsEENSC_INSA_10device_ptrIsEEEESG_SG_EENS0_5tupleIJPsSJ_EEENSR_IJSJ_SJ_EEES6_PlJS6_EEE10hipError_tPvRmT3_T4_T5_T6_T7_T9_mT8_P12ihipStream_tbDpT10_ENKUlT_T0_E_clISt17integral_constantIbLb0EES1E_IbLb1EEEEDaS1A_S1B_EUlS1A_E_NS1_11comp_targetILNS1_3genE5ELNS1_11target_archE942ELNS1_3gpuE9ELNS1_3repE0EEENS1_30default_config_static_selectorELNS0_4arch9wavefront6targetE1EEEvT1_,comdat
.Lfunc_end570:
	.size	_ZN7rocprim17ROCPRIM_400000_NS6detail17trampoline_kernelINS0_14default_configENS1_25partition_config_selectorILNS1_17partition_subalgoE2EsNS0_10empty_typeEbEEZZNS1_14partition_implILS5_2ELb0ES3_jN6thrust23THRUST_200600_302600_NS6detail15normal_iteratorINSA_7pointerIsNSA_11hip_rocprim3tagENSA_11use_defaultESG_EEEEPS6_NSA_18transform_iteratorINSA_8identityIsEENSC_INSA_10device_ptrIsEEEESG_SG_EENS0_5tupleIJPsSJ_EEENSR_IJSJ_SJ_EEES6_PlJS6_EEE10hipError_tPvRmT3_T4_T5_T6_T7_T9_mT8_P12ihipStream_tbDpT10_ENKUlT_T0_E_clISt17integral_constantIbLb0EES1E_IbLb1EEEEDaS1A_S1B_EUlS1A_E_NS1_11comp_targetILNS1_3genE5ELNS1_11target_archE942ELNS1_3gpuE9ELNS1_3repE0EEENS1_30default_config_static_selectorELNS0_4arch9wavefront6targetE1EEEvT1_, .Lfunc_end570-_ZN7rocprim17ROCPRIM_400000_NS6detail17trampoline_kernelINS0_14default_configENS1_25partition_config_selectorILNS1_17partition_subalgoE2EsNS0_10empty_typeEbEEZZNS1_14partition_implILS5_2ELb0ES3_jN6thrust23THRUST_200600_302600_NS6detail15normal_iteratorINSA_7pointerIsNSA_11hip_rocprim3tagENSA_11use_defaultESG_EEEEPS6_NSA_18transform_iteratorINSA_8identityIsEENSC_INSA_10device_ptrIsEEEESG_SG_EENS0_5tupleIJPsSJ_EEENSR_IJSJ_SJ_EEES6_PlJS6_EEE10hipError_tPvRmT3_T4_T5_T6_T7_T9_mT8_P12ihipStream_tbDpT10_ENKUlT_T0_E_clISt17integral_constantIbLb0EES1E_IbLb1EEEEDaS1A_S1B_EUlS1A_E_NS1_11comp_targetILNS1_3genE5ELNS1_11target_archE942ELNS1_3gpuE9ELNS1_3repE0EEENS1_30default_config_static_selectorELNS0_4arch9wavefront6targetE1EEEvT1_
                                        ; -- End function
	.section	.AMDGPU.csdata,"",@progbits
; Kernel info:
; codeLenInByte = 15268
; NumSgprs: 52
; NumVgprs: 102
; NumAgprs: 0
; TotalNumVgprs: 102
; ScratchSize: 0
; MemoryBound: 0
; FloatMode: 240
; IeeeMode: 1
; LDSByteSize: 30728 bytes/workgroup (compile time only)
; SGPRBlocks: 6
; VGPRBlocks: 12
; NumSGPRsForWavesPerEU: 52
; NumVGPRsForWavesPerEU: 102
; AccumOffset: 104
; Occupancy: 4
; WaveLimiterHint : 1
; COMPUTE_PGM_RSRC2:SCRATCH_EN: 0
; COMPUTE_PGM_RSRC2:USER_SGPR: 2
; COMPUTE_PGM_RSRC2:TRAP_HANDLER: 0
; COMPUTE_PGM_RSRC2:TGID_X_EN: 1
; COMPUTE_PGM_RSRC2:TGID_Y_EN: 0
; COMPUTE_PGM_RSRC2:TGID_Z_EN: 0
; COMPUTE_PGM_RSRC2:TIDIG_COMP_CNT: 0
; COMPUTE_PGM_RSRC3_GFX90A:ACCUM_OFFSET: 25
; COMPUTE_PGM_RSRC3_GFX90A:TG_SPLIT: 0
	.section	.text._ZN7rocprim17ROCPRIM_400000_NS6detail17trampoline_kernelINS0_14default_configENS1_25partition_config_selectorILNS1_17partition_subalgoE2EsNS0_10empty_typeEbEEZZNS1_14partition_implILS5_2ELb0ES3_jN6thrust23THRUST_200600_302600_NS6detail15normal_iteratorINSA_7pointerIsNSA_11hip_rocprim3tagENSA_11use_defaultESG_EEEEPS6_NSA_18transform_iteratorINSA_8identityIsEENSC_INSA_10device_ptrIsEEEESG_SG_EENS0_5tupleIJPsSJ_EEENSR_IJSJ_SJ_EEES6_PlJS6_EEE10hipError_tPvRmT3_T4_T5_T6_T7_T9_mT8_P12ihipStream_tbDpT10_ENKUlT_T0_E_clISt17integral_constantIbLb0EES1E_IbLb1EEEEDaS1A_S1B_EUlS1A_E_NS1_11comp_targetILNS1_3genE4ELNS1_11target_archE910ELNS1_3gpuE8ELNS1_3repE0EEENS1_30default_config_static_selectorELNS0_4arch9wavefront6targetE1EEEvT1_,"axG",@progbits,_ZN7rocprim17ROCPRIM_400000_NS6detail17trampoline_kernelINS0_14default_configENS1_25partition_config_selectorILNS1_17partition_subalgoE2EsNS0_10empty_typeEbEEZZNS1_14partition_implILS5_2ELb0ES3_jN6thrust23THRUST_200600_302600_NS6detail15normal_iteratorINSA_7pointerIsNSA_11hip_rocprim3tagENSA_11use_defaultESG_EEEEPS6_NSA_18transform_iteratorINSA_8identityIsEENSC_INSA_10device_ptrIsEEEESG_SG_EENS0_5tupleIJPsSJ_EEENSR_IJSJ_SJ_EEES6_PlJS6_EEE10hipError_tPvRmT3_T4_T5_T6_T7_T9_mT8_P12ihipStream_tbDpT10_ENKUlT_T0_E_clISt17integral_constantIbLb0EES1E_IbLb1EEEEDaS1A_S1B_EUlS1A_E_NS1_11comp_targetILNS1_3genE4ELNS1_11target_archE910ELNS1_3gpuE8ELNS1_3repE0EEENS1_30default_config_static_selectorELNS0_4arch9wavefront6targetE1EEEvT1_,comdat
	.protected	_ZN7rocprim17ROCPRIM_400000_NS6detail17trampoline_kernelINS0_14default_configENS1_25partition_config_selectorILNS1_17partition_subalgoE2EsNS0_10empty_typeEbEEZZNS1_14partition_implILS5_2ELb0ES3_jN6thrust23THRUST_200600_302600_NS6detail15normal_iteratorINSA_7pointerIsNSA_11hip_rocprim3tagENSA_11use_defaultESG_EEEEPS6_NSA_18transform_iteratorINSA_8identityIsEENSC_INSA_10device_ptrIsEEEESG_SG_EENS0_5tupleIJPsSJ_EEENSR_IJSJ_SJ_EEES6_PlJS6_EEE10hipError_tPvRmT3_T4_T5_T6_T7_T9_mT8_P12ihipStream_tbDpT10_ENKUlT_T0_E_clISt17integral_constantIbLb0EES1E_IbLb1EEEEDaS1A_S1B_EUlS1A_E_NS1_11comp_targetILNS1_3genE4ELNS1_11target_archE910ELNS1_3gpuE8ELNS1_3repE0EEENS1_30default_config_static_selectorELNS0_4arch9wavefront6targetE1EEEvT1_ ; -- Begin function _ZN7rocprim17ROCPRIM_400000_NS6detail17trampoline_kernelINS0_14default_configENS1_25partition_config_selectorILNS1_17partition_subalgoE2EsNS0_10empty_typeEbEEZZNS1_14partition_implILS5_2ELb0ES3_jN6thrust23THRUST_200600_302600_NS6detail15normal_iteratorINSA_7pointerIsNSA_11hip_rocprim3tagENSA_11use_defaultESG_EEEEPS6_NSA_18transform_iteratorINSA_8identityIsEENSC_INSA_10device_ptrIsEEEESG_SG_EENS0_5tupleIJPsSJ_EEENSR_IJSJ_SJ_EEES6_PlJS6_EEE10hipError_tPvRmT3_T4_T5_T6_T7_T9_mT8_P12ihipStream_tbDpT10_ENKUlT_T0_E_clISt17integral_constantIbLb0EES1E_IbLb1EEEEDaS1A_S1B_EUlS1A_E_NS1_11comp_targetILNS1_3genE4ELNS1_11target_archE910ELNS1_3gpuE8ELNS1_3repE0EEENS1_30default_config_static_selectorELNS0_4arch9wavefront6targetE1EEEvT1_
	.globl	_ZN7rocprim17ROCPRIM_400000_NS6detail17trampoline_kernelINS0_14default_configENS1_25partition_config_selectorILNS1_17partition_subalgoE2EsNS0_10empty_typeEbEEZZNS1_14partition_implILS5_2ELb0ES3_jN6thrust23THRUST_200600_302600_NS6detail15normal_iteratorINSA_7pointerIsNSA_11hip_rocprim3tagENSA_11use_defaultESG_EEEEPS6_NSA_18transform_iteratorINSA_8identityIsEENSC_INSA_10device_ptrIsEEEESG_SG_EENS0_5tupleIJPsSJ_EEENSR_IJSJ_SJ_EEES6_PlJS6_EEE10hipError_tPvRmT3_T4_T5_T6_T7_T9_mT8_P12ihipStream_tbDpT10_ENKUlT_T0_E_clISt17integral_constantIbLb0EES1E_IbLb1EEEEDaS1A_S1B_EUlS1A_E_NS1_11comp_targetILNS1_3genE4ELNS1_11target_archE910ELNS1_3gpuE8ELNS1_3repE0EEENS1_30default_config_static_selectorELNS0_4arch9wavefront6targetE1EEEvT1_
	.p2align	8
	.type	_ZN7rocprim17ROCPRIM_400000_NS6detail17trampoline_kernelINS0_14default_configENS1_25partition_config_selectorILNS1_17partition_subalgoE2EsNS0_10empty_typeEbEEZZNS1_14partition_implILS5_2ELb0ES3_jN6thrust23THRUST_200600_302600_NS6detail15normal_iteratorINSA_7pointerIsNSA_11hip_rocprim3tagENSA_11use_defaultESG_EEEEPS6_NSA_18transform_iteratorINSA_8identityIsEENSC_INSA_10device_ptrIsEEEESG_SG_EENS0_5tupleIJPsSJ_EEENSR_IJSJ_SJ_EEES6_PlJS6_EEE10hipError_tPvRmT3_T4_T5_T6_T7_T9_mT8_P12ihipStream_tbDpT10_ENKUlT_T0_E_clISt17integral_constantIbLb0EES1E_IbLb1EEEEDaS1A_S1B_EUlS1A_E_NS1_11comp_targetILNS1_3genE4ELNS1_11target_archE910ELNS1_3gpuE8ELNS1_3repE0EEENS1_30default_config_static_selectorELNS0_4arch9wavefront6targetE1EEEvT1_,@function
_ZN7rocprim17ROCPRIM_400000_NS6detail17trampoline_kernelINS0_14default_configENS1_25partition_config_selectorILNS1_17partition_subalgoE2EsNS0_10empty_typeEbEEZZNS1_14partition_implILS5_2ELb0ES3_jN6thrust23THRUST_200600_302600_NS6detail15normal_iteratorINSA_7pointerIsNSA_11hip_rocprim3tagENSA_11use_defaultESG_EEEEPS6_NSA_18transform_iteratorINSA_8identityIsEENSC_INSA_10device_ptrIsEEEESG_SG_EENS0_5tupleIJPsSJ_EEENSR_IJSJ_SJ_EEES6_PlJS6_EEE10hipError_tPvRmT3_T4_T5_T6_T7_T9_mT8_P12ihipStream_tbDpT10_ENKUlT_T0_E_clISt17integral_constantIbLb0EES1E_IbLb1EEEEDaS1A_S1B_EUlS1A_E_NS1_11comp_targetILNS1_3genE4ELNS1_11target_archE910ELNS1_3gpuE8ELNS1_3repE0EEENS1_30default_config_static_selectorELNS0_4arch9wavefront6targetE1EEEvT1_: ; @_ZN7rocprim17ROCPRIM_400000_NS6detail17trampoline_kernelINS0_14default_configENS1_25partition_config_selectorILNS1_17partition_subalgoE2EsNS0_10empty_typeEbEEZZNS1_14partition_implILS5_2ELb0ES3_jN6thrust23THRUST_200600_302600_NS6detail15normal_iteratorINSA_7pointerIsNSA_11hip_rocprim3tagENSA_11use_defaultESG_EEEEPS6_NSA_18transform_iteratorINSA_8identityIsEENSC_INSA_10device_ptrIsEEEESG_SG_EENS0_5tupleIJPsSJ_EEENSR_IJSJ_SJ_EEES6_PlJS6_EEE10hipError_tPvRmT3_T4_T5_T6_T7_T9_mT8_P12ihipStream_tbDpT10_ENKUlT_T0_E_clISt17integral_constantIbLb0EES1E_IbLb1EEEEDaS1A_S1B_EUlS1A_E_NS1_11comp_targetILNS1_3genE4ELNS1_11target_archE910ELNS1_3gpuE8ELNS1_3repE0EEENS1_30default_config_static_selectorELNS0_4arch9wavefront6targetE1EEEvT1_
; %bb.0:
	.section	.rodata,"a",@progbits
	.p2align	6, 0x0
	.amdhsa_kernel _ZN7rocprim17ROCPRIM_400000_NS6detail17trampoline_kernelINS0_14default_configENS1_25partition_config_selectorILNS1_17partition_subalgoE2EsNS0_10empty_typeEbEEZZNS1_14partition_implILS5_2ELb0ES3_jN6thrust23THRUST_200600_302600_NS6detail15normal_iteratorINSA_7pointerIsNSA_11hip_rocprim3tagENSA_11use_defaultESG_EEEEPS6_NSA_18transform_iteratorINSA_8identityIsEENSC_INSA_10device_ptrIsEEEESG_SG_EENS0_5tupleIJPsSJ_EEENSR_IJSJ_SJ_EEES6_PlJS6_EEE10hipError_tPvRmT3_T4_T5_T6_T7_T9_mT8_P12ihipStream_tbDpT10_ENKUlT_T0_E_clISt17integral_constantIbLb0EES1E_IbLb1EEEEDaS1A_S1B_EUlS1A_E_NS1_11comp_targetILNS1_3genE4ELNS1_11target_archE910ELNS1_3gpuE8ELNS1_3repE0EEENS1_30default_config_static_selectorELNS0_4arch9wavefront6targetE1EEEvT1_
		.amdhsa_group_segment_fixed_size 0
		.amdhsa_private_segment_fixed_size 0
		.amdhsa_kernarg_size 144
		.amdhsa_user_sgpr_count 2
		.amdhsa_user_sgpr_dispatch_ptr 0
		.amdhsa_user_sgpr_queue_ptr 0
		.amdhsa_user_sgpr_kernarg_segment_ptr 1
		.amdhsa_user_sgpr_dispatch_id 0
		.amdhsa_user_sgpr_kernarg_preload_length 0
		.amdhsa_user_sgpr_kernarg_preload_offset 0
		.amdhsa_user_sgpr_private_segment_size 0
		.amdhsa_uses_dynamic_stack 0
		.amdhsa_enable_private_segment 0
		.amdhsa_system_sgpr_workgroup_id_x 1
		.amdhsa_system_sgpr_workgroup_id_y 0
		.amdhsa_system_sgpr_workgroup_id_z 0
		.amdhsa_system_sgpr_workgroup_info 0
		.amdhsa_system_vgpr_workitem_id 0
		.amdhsa_next_free_vgpr 1
		.amdhsa_next_free_sgpr 0
		.amdhsa_accum_offset 4
		.amdhsa_reserve_vcc 0
		.amdhsa_float_round_mode_32 0
		.amdhsa_float_round_mode_16_64 0
		.amdhsa_float_denorm_mode_32 3
		.amdhsa_float_denorm_mode_16_64 3
		.amdhsa_dx10_clamp 1
		.amdhsa_ieee_mode 1
		.amdhsa_fp16_overflow 0
		.amdhsa_tg_split 0
		.amdhsa_exception_fp_ieee_invalid_op 0
		.amdhsa_exception_fp_denorm_src 0
		.amdhsa_exception_fp_ieee_div_zero 0
		.amdhsa_exception_fp_ieee_overflow 0
		.amdhsa_exception_fp_ieee_underflow 0
		.amdhsa_exception_fp_ieee_inexact 0
		.amdhsa_exception_int_div_zero 0
	.end_amdhsa_kernel
	.section	.text._ZN7rocprim17ROCPRIM_400000_NS6detail17trampoline_kernelINS0_14default_configENS1_25partition_config_selectorILNS1_17partition_subalgoE2EsNS0_10empty_typeEbEEZZNS1_14partition_implILS5_2ELb0ES3_jN6thrust23THRUST_200600_302600_NS6detail15normal_iteratorINSA_7pointerIsNSA_11hip_rocprim3tagENSA_11use_defaultESG_EEEEPS6_NSA_18transform_iteratorINSA_8identityIsEENSC_INSA_10device_ptrIsEEEESG_SG_EENS0_5tupleIJPsSJ_EEENSR_IJSJ_SJ_EEES6_PlJS6_EEE10hipError_tPvRmT3_T4_T5_T6_T7_T9_mT8_P12ihipStream_tbDpT10_ENKUlT_T0_E_clISt17integral_constantIbLb0EES1E_IbLb1EEEEDaS1A_S1B_EUlS1A_E_NS1_11comp_targetILNS1_3genE4ELNS1_11target_archE910ELNS1_3gpuE8ELNS1_3repE0EEENS1_30default_config_static_selectorELNS0_4arch9wavefront6targetE1EEEvT1_,"axG",@progbits,_ZN7rocprim17ROCPRIM_400000_NS6detail17trampoline_kernelINS0_14default_configENS1_25partition_config_selectorILNS1_17partition_subalgoE2EsNS0_10empty_typeEbEEZZNS1_14partition_implILS5_2ELb0ES3_jN6thrust23THRUST_200600_302600_NS6detail15normal_iteratorINSA_7pointerIsNSA_11hip_rocprim3tagENSA_11use_defaultESG_EEEEPS6_NSA_18transform_iteratorINSA_8identityIsEENSC_INSA_10device_ptrIsEEEESG_SG_EENS0_5tupleIJPsSJ_EEENSR_IJSJ_SJ_EEES6_PlJS6_EEE10hipError_tPvRmT3_T4_T5_T6_T7_T9_mT8_P12ihipStream_tbDpT10_ENKUlT_T0_E_clISt17integral_constantIbLb0EES1E_IbLb1EEEEDaS1A_S1B_EUlS1A_E_NS1_11comp_targetILNS1_3genE4ELNS1_11target_archE910ELNS1_3gpuE8ELNS1_3repE0EEENS1_30default_config_static_selectorELNS0_4arch9wavefront6targetE1EEEvT1_,comdat
.Lfunc_end571:
	.size	_ZN7rocprim17ROCPRIM_400000_NS6detail17trampoline_kernelINS0_14default_configENS1_25partition_config_selectorILNS1_17partition_subalgoE2EsNS0_10empty_typeEbEEZZNS1_14partition_implILS5_2ELb0ES3_jN6thrust23THRUST_200600_302600_NS6detail15normal_iteratorINSA_7pointerIsNSA_11hip_rocprim3tagENSA_11use_defaultESG_EEEEPS6_NSA_18transform_iteratorINSA_8identityIsEENSC_INSA_10device_ptrIsEEEESG_SG_EENS0_5tupleIJPsSJ_EEENSR_IJSJ_SJ_EEES6_PlJS6_EEE10hipError_tPvRmT3_T4_T5_T6_T7_T9_mT8_P12ihipStream_tbDpT10_ENKUlT_T0_E_clISt17integral_constantIbLb0EES1E_IbLb1EEEEDaS1A_S1B_EUlS1A_E_NS1_11comp_targetILNS1_3genE4ELNS1_11target_archE910ELNS1_3gpuE8ELNS1_3repE0EEENS1_30default_config_static_selectorELNS0_4arch9wavefront6targetE1EEEvT1_, .Lfunc_end571-_ZN7rocprim17ROCPRIM_400000_NS6detail17trampoline_kernelINS0_14default_configENS1_25partition_config_selectorILNS1_17partition_subalgoE2EsNS0_10empty_typeEbEEZZNS1_14partition_implILS5_2ELb0ES3_jN6thrust23THRUST_200600_302600_NS6detail15normal_iteratorINSA_7pointerIsNSA_11hip_rocprim3tagENSA_11use_defaultESG_EEEEPS6_NSA_18transform_iteratorINSA_8identityIsEENSC_INSA_10device_ptrIsEEEESG_SG_EENS0_5tupleIJPsSJ_EEENSR_IJSJ_SJ_EEES6_PlJS6_EEE10hipError_tPvRmT3_T4_T5_T6_T7_T9_mT8_P12ihipStream_tbDpT10_ENKUlT_T0_E_clISt17integral_constantIbLb0EES1E_IbLb1EEEEDaS1A_S1B_EUlS1A_E_NS1_11comp_targetILNS1_3genE4ELNS1_11target_archE910ELNS1_3gpuE8ELNS1_3repE0EEENS1_30default_config_static_selectorELNS0_4arch9wavefront6targetE1EEEvT1_
                                        ; -- End function
	.section	.AMDGPU.csdata,"",@progbits
; Kernel info:
; codeLenInByte = 0
; NumSgprs: 6
; NumVgprs: 0
; NumAgprs: 0
; TotalNumVgprs: 0
; ScratchSize: 0
; MemoryBound: 0
; FloatMode: 240
; IeeeMode: 1
; LDSByteSize: 0 bytes/workgroup (compile time only)
; SGPRBlocks: 0
; VGPRBlocks: 0
; NumSGPRsForWavesPerEU: 6
; NumVGPRsForWavesPerEU: 1
; AccumOffset: 4
; Occupancy: 8
; WaveLimiterHint : 0
; COMPUTE_PGM_RSRC2:SCRATCH_EN: 0
; COMPUTE_PGM_RSRC2:USER_SGPR: 2
; COMPUTE_PGM_RSRC2:TRAP_HANDLER: 0
; COMPUTE_PGM_RSRC2:TGID_X_EN: 1
; COMPUTE_PGM_RSRC2:TGID_Y_EN: 0
; COMPUTE_PGM_RSRC2:TGID_Z_EN: 0
; COMPUTE_PGM_RSRC2:TIDIG_COMP_CNT: 0
; COMPUTE_PGM_RSRC3_GFX90A:ACCUM_OFFSET: 0
; COMPUTE_PGM_RSRC3_GFX90A:TG_SPLIT: 0
	.section	.text._ZN7rocprim17ROCPRIM_400000_NS6detail17trampoline_kernelINS0_14default_configENS1_25partition_config_selectorILNS1_17partition_subalgoE2EsNS0_10empty_typeEbEEZZNS1_14partition_implILS5_2ELb0ES3_jN6thrust23THRUST_200600_302600_NS6detail15normal_iteratorINSA_7pointerIsNSA_11hip_rocprim3tagENSA_11use_defaultESG_EEEEPS6_NSA_18transform_iteratorINSA_8identityIsEENSC_INSA_10device_ptrIsEEEESG_SG_EENS0_5tupleIJPsSJ_EEENSR_IJSJ_SJ_EEES6_PlJS6_EEE10hipError_tPvRmT3_T4_T5_T6_T7_T9_mT8_P12ihipStream_tbDpT10_ENKUlT_T0_E_clISt17integral_constantIbLb0EES1E_IbLb1EEEEDaS1A_S1B_EUlS1A_E_NS1_11comp_targetILNS1_3genE3ELNS1_11target_archE908ELNS1_3gpuE7ELNS1_3repE0EEENS1_30default_config_static_selectorELNS0_4arch9wavefront6targetE1EEEvT1_,"axG",@progbits,_ZN7rocprim17ROCPRIM_400000_NS6detail17trampoline_kernelINS0_14default_configENS1_25partition_config_selectorILNS1_17partition_subalgoE2EsNS0_10empty_typeEbEEZZNS1_14partition_implILS5_2ELb0ES3_jN6thrust23THRUST_200600_302600_NS6detail15normal_iteratorINSA_7pointerIsNSA_11hip_rocprim3tagENSA_11use_defaultESG_EEEEPS6_NSA_18transform_iteratorINSA_8identityIsEENSC_INSA_10device_ptrIsEEEESG_SG_EENS0_5tupleIJPsSJ_EEENSR_IJSJ_SJ_EEES6_PlJS6_EEE10hipError_tPvRmT3_T4_T5_T6_T7_T9_mT8_P12ihipStream_tbDpT10_ENKUlT_T0_E_clISt17integral_constantIbLb0EES1E_IbLb1EEEEDaS1A_S1B_EUlS1A_E_NS1_11comp_targetILNS1_3genE3ELNS1_11target_archE908ELNS1_3gpuE7ELNS1_3repE0EEENS1_30default_config_static_selectorELNS0_4arch9wavefront6targetE1EEEvT1_,comdat
	.protected	_ZN7rocprim17ROCPRIM_400000_NS6detail17trampoline_kernelINS0_14default_configENS1_25partition_config_selectorILNS1_17partition_subalgoE2EsNS0_10empty_typeEbEEZZNS1_14partition_implILS5_2ELb0ES3_jN6thrust23THRUST_200600_302600_NS6detail15normal_iteratorINSA_7pointerIsNSA_11hip_rocprim3tagENSA_11use_defaultESG_EEEEPS6_NSA_18transform_iteratorINSA_8identityIsEENSC_INSA_10device_ptrIsEEEESG_SG_EENS0_5tupleIJPsSJ_EEENSR_IJSJ_SJ_EEES6_PlJS6_EEE10hipError_tPvRmT3_T4_T5_T6_T7_T9_mT8_P12ihipStream_tbDpT10_ENKUlT_T0_E_clISt17integral_constantIbLb0EES1E_IbLb1EEEEDaS1A_S1B_EUlS1A_E_NS1_11comp_targetILNS1_3genE3ELNS1_11target_archE908ELNS1_3gpuE7ELNS1_3repE0EEENS1_30default_config_static_selectorELNS0_4arch9wavefront6targetE1EEEvT1_ ; -- Begin function _ZN7rocprim17ROCPRIM_400000_NS6detail17trampoline_kernelINS0_14default_configENS1_25partition_config_selectorILNS1_17partition_subalgoE2EsNS0_10empty_typeEbEEZZNS1_14partition_implILS5_2ELb0ES3_jN6thrust23THRUST_200600_302600_NS6detail15normal_iteratorINSA_7pointerIsNSA_11hip_rocprim3tagENSA_11use_defaultESG_EEEEPS6_NSA_18transform_iteratorINSA_8identityIsEENSC_INSA_10device_ptrIsEEEESG_SG_EENS0_5tupleIJPsSJ_EEENSR_IJSJ_SJ_EEES6_PlJS6_EEE10hipError_tPvRmT3_T4_T5_T6_T7_T9_mT8_P12ihipStream_tbDpT10_ENKUlT_T0_E_clISt17integral_constantIbLb0EES1E_IbLb1EEEEDaS1A_S1B_EUlS1A_E_NS1_11comp_targetILNS1_3genE3ELNS1_11target_archE908ELNS1_3gpuE7ELNS1_3repE0EEENS1_30default_config_static_selectorELNS0_4arch9wavefront6targetE1EEEvT1_
	.globl	_ZN7rocprim17ROCPRIM_400000_NS6detail17trampoline_kernelINS0_14default_configENS1_25partition_config_selectorILNS1_17partition_subalgoE2EsNS0_10empty_typeEbEEZZNS1_14partition_implILS5_2ELb0ES3_jN6thrust23THRUST_200600_302600_NS6detail15normal_iteratorINSA_7pointerIsNSA_11hip_rocprim3tagENSA_11use_defaultESG_EEEEPS6_NSA_18transform_iteratorINSA_8identityIsEENSC_INSA_10device_ptrIsEEEESG_SG_EENS0_5tupleIJPsSJ_EEENSR_IJSJ_SJ_EEES6_PlJS6_EEE10hipError_tPvRmT3_T4_T5_T6_T7_T9_mT8_P12ihipStream_tbDpT10_ENKUlT_T0_E_clISt17integral_constantIbLb0EES1E_IbLb1EEEEDaS1A_S1B_EUlS1A_E_NS1_11comp_targetILNS1_3genE3ELNS1_11target_archE908ELNS1_3gpuE7ELNS1_3repE0EEENS1_30default_config_static_selectorELNS0_4arch9wavefront6targetE1EEEvT1_
	.p2align	8
	.type	_ZN7rocprim17ROCPRIM_400000_NS6detail17trampoline_kernelINS0_14default_configENS1_25partition_config_selectorILNS1_17partition_subalgoE2EsNS0_10empty_typeEbEEZZNS1_14partition_implILS5_2ELb0ES3_jN6thrust23THRUST_200600_302600_NS6detail15normal_iteratorINSA_7pointerIsNSA_11hip_rocprim3tagENSA_11use_defaultESG_EEEEPS6_NSA_18transform_iteratorINSA_8identityIsEENSC_INSA_10device_ptrIsEEEESG_SG_EENS0_5tupleIJPsSJ_EEENSR_IJSJ_SJ_EEES6_PlJS6_EEE10hipError_tPvRmT3_T4_T5_T6_T7_T9_mT8_P12ihipStream_tbDpT10_ENKUlT_T0_E_clISt17integral_constantIbLb0EES1E_IbLb1EEEEDaS1A_S1B_EUlS1A_E_NS1_11comp_targetILNS1_3genE3ELNS1_11target_archE908ELNS1_3gpuE7ELNS1_3repE0EEENS1_30default_config_static_selectorELNS0_4arch9wavefront6targetE1EEEvT1_,@function
_ZN7rocprim17ROCPRIM_400000_NS6detail17trampoline_kernelINS0_14default_configENS1_25partition_config_selectorILNS1_17partition_subalgoE2EsNS0_10empty_typeEbEEZZNS1_14partition_implILS5_2ELb0ES3_jN6thrust23THRUST_200600_302600_NS6detail15normal_iteratorINSA_7pointerIsNSA_11hip_rocprim3tagENSA_11use_defaultESG_EEEEPS6_NSA_18transform_iteratorINSA_8identityIsEENSC_INSA_10device_ptrIsEEEESG_SG_EENS0_5tupleIJPsSJ_EEENSR_IJSJ_SJ_EEES6_PlJS6_EEE10hipError_tPvRmT3_T4_T5_T6_T7_T9_mT8_P12ihipStream_tbDpT10_ENKUlT_T0_E_clISt17integral_constantIbLb0EES1E_IbLb1EEEEDaS1A_S1B_EUlS1A_E_NS1_11comp_targetILNS1_3genE3ELNS1_11target_archE908ELNS1_3gpuE7ELNS1_3repE0EEENS1_30default_config_static_selectorELNS0_4arch9wavefront6targetE1EEEvT1_: ; @_ZN7rocprim17ROCPRIM_400000_NS6detail17trampoline_kernelINS0_14default_configENS1_25partition_config_selectorILNS1_17partition_subalgoE2EsNS0_10empty_typeEbEEZZNS1_14partition_implILS5_2ELb0ES3_jN6thrust23THRUST_200600_302600_NS6detail15normal_iteratorINSA_7pointerIsNSA_11hip_rocprim3tagENSA_11use_defaultESG_EEEEPS6_NSA_18transform_iteratorINSA_8identityIsEENSC_INSA_10device_ptrIsEEEESG_SG_EENS0_5tupleIJPsSJ_EEENSR_IJSJ_SJ_EEES6_PlJS6_EEE10hipError_tPvRmT3_T4_T5_T6_T7_T9_mT8_P12ihipStream_tbDpT10_ENKUlT_T0_E_clISt17integral_constantIbLb0EES1E_IbLb1EEEEDaS1A_S1B_EUlS1A_E_NS1_11comp_targetILNS1_3genE3ELNS1_11target_archE908ELNS1_3gpuE7ELNS1_3repE0EEENS1_30default_config_static_selectorELNS0_4arch9wavefront6targetE1EEEvT1_
; %bb.0:
	.section	.rodata,"a",@progbits
	.p2align	6, 0x0
	.amdhsa_kernel _ZN7rocprim17ROCPRIM_400000_NS6detail17trampoline_kernelINS0_14default_configENS1_25partition_config_selectorILNS1_17partition_subalgoE2EsNS0_10empty_typeEbEEZZNS1_14partition_implILS5_2ELb0ES3_jN6thrust23THRUST_200600_302600_NS6detail15normal_iteratorINSA_7pointerIsNSA_11hip_rocprim3tagENSA_11use_defaultESG_EEEEPS6_NSA_18transform_iteratorINSA_8identityIsEENSC_INSA_10device_ptrIsEEEESG_SG_EENS0_5tupleIJPsSJ_EEENSR_IJSJ_SJ_EEES6_PlJS6_EEE10hipError_tPvRmT3_T4_T5_T6_T7_T9_mT8_P12ihipStream_tbDpT10_ENKUlT_T0_E_clISt17integral_constantIbLb0EES1E_IbLb1EEEEDaS1A_S1B_EUlS1A_E_NS1_11comp_targetILNS1_3genE3ELNS1_11target_archE908ELNS1_3gpuE7ELNS1_3repE0EEENS1_30default_config_static_selectorELNS0_4arch9wavefront6targetE1EEEvT1_
		.amdhsa_group_segment_fixed_size 0
		.amdhsa_private_segment_fixed_size 0
		.amdhsa_kernarg_size 144
		.amdhsa_user_sgpr_count 2
		.amdhsa_user_sgpr_dispatch_ptr 0
		.amdhsa_user_sgpr_queue_ptr 0
		.amdhsa_user_sgpr_kernarg_segment_ptr 1
		.amdhsa_user_sgpr_dispatch_id 0
		.amdhsa_user_sgpr_kernarg_preload_length 0
		.amdhsa_user_sgpr_kernarg_preload_offset 0
		.amdhsa_user_sgpr_private_segment_size 0
		.amdhsa_uses_dynamic_stack 0
		.amdhsa_enable_private_segment 0
		.amdhsa_system_sgpr_workgroup_id_x 1
		.amdhsa_system_sgpr_workgroup_id_y 0
		.amdhsa_system_sgpr_workgroup_id_z 0
		.amdhsa_system_sgpr_workgroup_info 0
		.amdhsa_system_vgpr_workitem_id 0
		.amdhsa_next_free_vgpr 1
		.amdhsa_next_free_sgpr 0
		.amdhsa_accum_offset 4
		.amdhsa_reserve_vcc 0
		.amdhsa_float_round_mode_32 0
		.amdhsa_float_round_mode_16_64 0
		.amdhsa_float_denorm_mode_32 3
		.amdhsa_float_denorm_mode_16_64 3
		.amdhsa_dx10_clamp 1
		.amdhsa_ieee_mode 1
		.amdhsa_fp16_overflow 0
		.amdhsa_tg_split 0
		.amdhsa_exception_fp_ieee_invalid_op 0
		.amdhsa_exception_fp_denorm_src 0
		.amdhsa_exception_fp_ieee_div_zero 0
		.amdhsa_exception_fp_ieee_overflow 0
		.amdhsa_exception_fp_ieee_underflow 0
		.amdhsa_exception_fp_ieee_inexact 0
		.amdhsa_exception_int_div_zero 0
	.end_amdhsa_kernel
	.section	.text._ZN7rocprim17ROCPRIM_400000_NS6detail17trampoline_kernelINS0_14default_configENS1_25partition_config_selectorILNS1_17partition_subalgoE2EsNS0_10empty_typeEbEEZZNS1_14partition_implILS5_2ELb0ES3_jN6thrust23THRUST_200600_302600_NS6detail15normal_iteratorINSA_7pointerIsNSA_11hip_rocprim3tagENSA_11use_defaultESG_EEEEPS6_NSA_18transform_iteratorINSA_8identityIsEENSC_INSA_10device_ptrIsEEEESG_SG_EENS0_5tupleIJPsSJ_EEENSR_IJSJ_SJ_EEES6_PlJS6_EEE10hipError_tPvRmT3_T4_T5_T6_T7_T9_mT8_P12ihipStream_tbDpT10_ENKUlT_T0_E_clISt17integral_constantIbLb0EES1E_IbLb1EEEEDaS1A_S1B_EUlS1A_E_NS1_11comp_targetILNS1_3genE3ELNS1_11target_archE908ELNS1_3gpuE7ELNS1_3repE0EEENS1_30default_config_static_selectorELNS0_4arch9wavefront6targetE1EEEvT1_,"axG",@progbits,_ZN7rocprim17ROCPRIM_400000_NS6detail17trampoline_kernelINS0_14default_configENS1_25partition_config_selectorILNS1_17partition_subalgoE2EsNS0_10empty_typeEbEEZZNS1_14partition_implILS5_2ELb0ES3_jN6thrust23THRUST_200600_302600_NS6detail15normal_iteratorINSA_7pointerIsNSA_11hip_rocprim3tagENSA_11use_defaultESG_EEEEPS6_NSA_18transform_iteratorINSA_8identityIsEENSC_INSA_10device_ptrIsEEEESG_SG_EENS0_5tupleIJPsSJ_EEENSR_IJSJ_SJ_EEES6_PlJS6_EEE10hipError_tPvRmT3_T4_T5_T6_T7_T9_mT8_P12ihipStream_tbDpT10_ENKUlT_T0_E_clISt17integral_constantIbLb0EES1E_IbLb1EEEEDaS1A_S1B_EUlS1A_E_NS1_11comp_targetILNS1_3genE3ELNS1_11target_archE908ELNS1_3gpuE7ELNS1_3repE0EEENS1_30default_config_static_selectorELNS0_4arch9wavefront6targetE1EEEvT1_,comdat
.Lfunc_end572:
	.size	_ZN7rocprim17ROCPRIM_400000_NS6detail17trampoline_kernelINS0_14default_configENS1_25partition_config_selectorILNS1_17partition_subalgoE2EsNS0_10empty_typeEbEEZZNS1_14partition_implILS5_2ELb0ES3_jN6thrust23THRUST_200600_302600_NS6detail15normal_iteratorINSA_7pointerIsNSA_11hip_rocprim3tagENSA_11use_defaultESG_EEEEPS6_NSA_18transform_iteratorINSA_8identityIsEENSC_INSA_10device_ptrIsEEEESG_SG_EENS0_5tupleIJPsSJ_EEENSR_IJSJ_SJ_EEES6_PlJS6_EEE10hipError_tPvRmT3_T4_T5_T6_T7_T9_mT8_P12ihipStream_tbDpT10_ENKUlT_T0_E_clISt17integral_constantIbLb0EES1E_IbLb1EEEEDaS1A_S1B_EUlS1A_E_NS1_11comp_targetILNS1_3genE3ELNS1_11target_archE908ELNS1_3gpuE7ELNS1_3repE0EEENS1_30default_config_static_selectorELNS0_4arch9wavefront6targetE1EEEvT1_, .Lfunc_end572-_ZN7rocprim17ROCPRIM_400000_NS6detail17trampoline_kernelINS0_14default_configENS1_25partition_config_selectorILNS1_17partition_subalgoE2EsNS0_10empty_typeEbEEZZNS1_14partition_implILS5_2ELb0ES3_jN6thrust23THRUST_200600_302600_NS6detail15normal_iteratorINSA_7pointerIsNSA_11hip_rocprim3tagENSA_11use_defaultESG_EEEEPS6_NSA_18transform_iteratorINSA_8identityIsEENSC_INSA_10device_ptrIsEEEESG_SG_EENS0_5tupleIJPsSJ_EEENSR_IJSJ_SJ_EEES6_PlJS6_EEE10hipError_tPvRmT3_T4_T5_T6_T7_T9_mT8_P12ihipStream_tbDpT10_ENKUlT_T0_E_clISt17integral_constantIbLb0EES1E_IbLb1EEEEDaS1A_S1B_EUlS1A_E_NS1_11comp_targetILNS1_3genE3ELNS1_11target_archE908ELNS1_3gpuE7ELNS1_3repE0EEENS1_30default_config_static_selectorELNS0_4arch9wavefront6targetE1EEEvT1_
                                        ; -- End function
	.section	.AMDGPU.csdata,"",@progbits
; Kernel info:
; codeLenInByte = 0
; NumSgprs: 6
; NumVgprs: 0
; NumAgprs: 0
; TotalNumVgprs: 0
; ScratchSize: 0
; MemoryBound: 0
; FloatMode: 240
; IeeeMode: 1
; LDSByteSize: 0 bytes/workgroup (compile time only)
; SGPRBlocks: 0
; VGPRBlocks: 0
; NumSGPRsForWavesPerEU: 6
; NumVGPRsForWavesPerEU: 1
; AccumOffset: 4
; Occupancy: 8
; WaveLimiterHint : 0
; COMPUTE_PGM_RSRC2:SCRATCH_EN: 0
; COMPUTE_PGM_RSRC2:USER_SGPR: 2
; COMPUTE_PGM_RSRC2:TRAP_HANDLER: 0
; COMPUTE_PGM_RSRC2:TGID_X_EN: 1
; COMPUTE_PGM_RSRC2:TGID_Y_EN: 0
; COMPUTE_PGM_RSRC2:TGID_Z_EN: 0
; COMPUTE_PGM_RSRC2:TIDIG_COMP_CNT: 0
; COMPUTE_PGM_RSRC3_GFX90A:ACCUM_OFFSET: 0
; COMPUTE_PGM_RSRC3_GFX90A:TG_SPLIT: 0
	.section	.text._ZN7rocprim17ROCPRIM_400000_NS6detail17trampoline_kernelINS0_14default_configENS1_25partition_config_selectorILNS1_17partition_subalgoE2EsNS0_10empty_typeEbEEZZNS1_14partition_implILS5_2ELb0ES3_jN6thrust23THRUST_200600_302600_NS6detail15normal_iteratorINSA_7pointerIsNSA_11hip_rocprim3tagENSA_11use_defaultESG_EEEEPS6_NSA_18transform_iteratorINSA_8identityIsEENSC_INSA_10device_ptrIsEEEESG_SG_EENS0_5tupleIJPsSJ_EEENSR_IJSJ_SJ_EEES6_PlJS6_EEE10hipError_tPvRmT3_T4_T5_T6_T7_T9_mT8_P12ihipStream_tbDpT10_ENKUlT_T0_E_clISt17integral_constantIbLb0EES1E_IbLb1EEEEDaS1A_S1B_EUlS1A_E_NS1_11comp_targetILNS1_3genE2ELNS1_11target_archE906ELNS1_3gpuE6ELNS1_3repE0EEENS1_30default_config_static_selectorELNS0_4arch9wavefront6targetE1EEEvT1_,"axG",@progbits,_ZN7rocprim17ROCPRIM_400000_NS6detail17trampoline_kernelINS0_14default_configENS1_25partition_config_selectorILNS1_17partition_subalgoE2EsNS0_10empty_typeEbEEZZNS1_14partition_implILS5_2ELb0ES3_jN6thrust23THRUST_200600_302600_NS6detail15normal_iteratorINSA_7pointerIsNSA_11hip_rocprim3tagENSA_11use_defaultESG_EEEEPS6_NSA_18transform_iteratorINSA_8identityIsEENSC_INSA_10device_ptrIsEEEESG_SG_EENS0_5tupleIJPsSJ_EEENSR_IJSJ_SJ_EEES6_PlJS6_EEE10hipError_tPvRmT3_T4_T5_T6_T7_T9_mT8_P12ihipStream_tbDpT10_ENKUlT_T0_E_clISt17integral_constantIbLb0EES1E_IbLb1EEEEDaS1A_S1B_EUlS1A_E_NS1_11comp_targetILNS1_3genE2ELNS1_11target_archE906ELNS1_3gpuE6ELNS1_3repE0EEENS1_30default_config_static_selectorELNS0_4arch9wavefront6targetE1EEEvT1_,comdat
	.protected	_ZN7rocprim17ROCPRIM_400000_NS6detail17trampoline_kernelINS0_14default_configENS1_25partition_config_selectorILNS1_17partition_subalgoE2EsNS0_10empty_typeEbEEZZNS1_14partition_implILS5_2ELb0ES3_jN6thrust23THRUST_200600_302600_NS6detail15normal_iteratorINSA_7pointerIsNSA_11hip_rocprim3tagENSA_11use_defaultESG_EEEEPS6_NSA_18transform_iteratorINSA_8identityIsEENSC_INSA_10device_ptrIsEEEESG_SG_EENS0_5tupleIJPsSJ_EEENSR_IJSJ_SJ_EEES6_PlJS6_EEE10hipError_tPvRmT3_T4_T5_T6_T7_T9_mT8_P12ihipStream_tbDpT10_ENKUlT_T0_E_clISt17integral_constantIbLb0EES1E_IbLb1EEEEDaS1A_S1B_EUlS1A_E_NS1_11comp_targetILNS1_3genE2ELNS1_11target_archE906ELNS1_3gpuE6ELNS1_3repE0EEENS1_30default_config_static_selectorELNS0_4arch9wavefront6targetE1EEEvT1_ ; -- Begin function _ZN7rocprim17ROCPRIM_400000_NS6detail17trampoline_kernelINS0_14default_configENS1_25partition_config_selectorILNS1_17partition_subalgoE2EsNS0_10empty_typeEbEEZZNS1_14partition_implILS5_2ELb0ES3_jN6thrust23THRUST_200600_302600_NS6detail15normal_iteratorINSA_7pointerIsNSA_11hip_rocprim3tagENSA_11use_defaultESG_EEEEPS6_NSA_18transform_iteratorINSA_8identityIsEENSC_INSA_10device_ptrIsEEEESG_SG_EENS0_5tupleIJPsSJ_EEENSR_IJSJ_SJ_EEES6_PlJS6_EEE10hipError_tPvRmT3_T4_T5_T6_T7_T9_mT8_P12ihipStream_tbDpT10_ENKUlT_T0_E_clISt17integral_constantIbLb0EES1E_IbLb1EEEEDaS1A_S1B_EUlS1A_E_NS1_11comp_targetILNS1_3genE2ELNS1_11target_archE906ELNS1_3gpuE6ELNS1_3repE0EEENS1_30default_config_static_selectorELNS0_4arch9wavefront6targetE1EEEvT1_
	.globl	_ZN7rocprim17ROCPRIM_400000_NS6detail17trampoline_kernelINS0_14default_configENS1_25partition_config_selectorILNS1_17partition_subalgoE2EsNS0_10empty_typeEbEEZZNS1_14partition_implILS5_2ELb0ES3_jN6thrust23THRUST_200600_302600_NS6detail15normal_iteratorINSA_7pointerIsNSA_11hip_rocprim3tagENSA_11use_defaultESG_EEEEPS6_NSA_18transform_iteratorINSA_8identityIsEENSC_INSA_10device_ptrIsEEEESG_SG_EENS0_5tupleIJPsSJ_EEENSR_IJSJ_SJ_EEES6_PlJS6_EEE10hipError_tPvRmT3_T4_T5_T6_T7_T9_mT8_P12ihipStream_tbDpT10_ENKUlT_T0_E_clISt17integral_constantIbLb0EES1E_IbLb1EEEEDaS1A_S1B_EUlS1A_E_NS1_11comp_targetILNS1_3genE2ELNS1_11target_archE906ELNS1_3gpuE6ELNS1_3repE0EEENS1_30default_config_static_selectorELNS0_4arch9wavefront6targetE1EEEvT1_
	.p2align	8
	.type	_ZN7rocprim17ROCPRIM_400000_NS6detail17trampoline_kernelINS0_14default_configENS1_25partition_config_selectorILNS1_17partition_subalgoE2EsNS0_10empty_typeEbEEZZNS1_14partition_implILS5_2ELb0ES3_jN6thrust23THRUST_200600_302600_NS6detail15normal_iteratorINSA_7pointerIsNSA_11hip_rocprim3tagENSA_11use_defaultESG_EEEEPS6_NSA_18transform_iteratorINSA_8identityIsEENSC_INSA_10device_ptrIsEEEESG_SG_EENS0_5tupleIJPsSJ_EEENSR_IJSJ_SJ_EEES6_PlJS6_EEE10hipError_tPvRmT3_T4_T5_T6_T7_T9_mT8_P12ihipStream_tbDpT10_ENKUlT_T0_E_clISt17integral_constantIbLb0EES1E_IbLb1EEEEDaS1A_S1B_EUlS1A_E_NS1_11comp_targetILNS1_3genE2ELNS1_11target_archE906ELNS1_3gpuE6ELNS1_3repE0EEENS1_30default_config_static_selectorELNS0_4arch9wavefront6targetE1EEEvT1_,@function
_ZN7rocprim17ROCPRIM_400000_NS6detail17trampoline_kernelINS0_14default_configENS1_25partition_config_selectorILNS1_17partition_subalgoE2EsNS0_10empty_typeEbEEZZNS1_14partition_implILS5_2ELb0ES3_jN6thrust23THRUST_200600_302600_NS6detail15normal_iteratorINSA_7pointerIsNSA_11hip_rocprim3tagENSA_11use_defaultESG_EEEEPS6_NSA_18transform_iteratorINSA_8identityIsEENSC_INSA_10device_ptrIsEEEESG_SG_EENS0_5tupleIJPsSJ_EEENSR_IJSJ_SJ_EEES6_PlJS6_EEE10hipError_tPvRmT3_T4_T5_T6_T7_T9_mT8_P12ihipStream_tbDpT10_ENKUlT_T0_E_clISt17integral_constantIbLb0EES1E_IbLb1EEEEDaS1A_S1B_EUlS1A_E_NS1_11comp_targetILNS1_3genE2ELNS1_11target_archE906ELNS1_3gpuE6ELNS1_3repE0EEENS1_30default_config_static_selectorELNS0_4arch9wavefront6targetE1EEEvT1_: ; @_ZN7rocprim17ROCPRIM_400000_NS6detail17trampoline_kernelINS0_14default_configENS1_25partition_config_selectorILNS1_17partition_subalgoE2EsNS0_10empty_typeEbEEZZNS1_14partition_implILS5_2ELb0ES3_jN6thrust23THRUST_200600_302600_NS6detail15normal_iteratorINSA_7pointerIsNSA_11hip_rocprim3tagENSA_11use_defaultESG_EEEEPS6_NSA_18transform_iteratorINSA_8identityIsEENSC_INSA_10device_ptrIsEEEESG_SG_EENS0_5tupleIJPsSJ_EEENSR_IJSJ_SJ_EEES6_PlJS6_EEE10hipError_tPvRmT3_T4_T5_T6_T7_T9_mT8_P12ihipStream_tbDpT10_ENKUlT_T0_E_clISt17integral_constantIbLb0EES1E_IbLb1EEEEDaS1A_S1B_EUlS1A_E_NS1_11comp_targetILNS1_3genE2ELNS1_11target_archE906ELNS1_3gpuE6ELNS1_3repE0EEENS1_30default_config_static_selectorELNS0_4arch9wavefront6targetE1EEEvT1_
; %bb.0:
	.section	.rodata,"a",@progbits
	.p2align	6, 0x0
	.amdhsa_kernel _ZN7rocprim17ROCPRIM_400000_NS6detail17trampoline_kernelINS0_14default_configENS1_25partition_config_selectorILNS1_17partition_subalgoE2EsNS0_10empty_typeEbEEZZNS1_14partition_implILS5_2ELb0ES3_jN6thrust23THRUST_200600_302600_NS6detail15normal_iteratorINSA_7pointerIsNSA_11hip_rocprim3tagENSA_11use_defaultESG_EEEEPS6_NSA_18transform_iteratorINSA_8identityIsEENSC_INSA_10device_ptrIsEEEESG_SG_EENS0_5tupleIJPsSJ_EEENSR_IJSJ_SJ_EEES6_PlJS6_EEE10hipError_tPvRmT3_T4_T5_T6_T7_T9_mT8_P12ihipStream_tbDpT10_ENKUlT_T0_E_clISt17integral_constantIbLb0EES1E_IbLb1EEEEDaS1A_S1B_EUlS1A_E_NS1_11comp_targetILNS1_3genE2ELNS1_11target_archE906ELNS1_3gpuE6ELNS1_3repE0EEENS1_30default_config_static_selectorELNS0_4arch9wavefront6targetE1EEEvT1_
		.amdhsa_group_segment_fixed_size 0
		.amdhsa_private_segment_fixed_size 0
		.amdhsa_kernarg_size 144
		.amdhsa_user_sgpr_count 2
		.amdhsa_user_sgpr_dispatch_ptr 0
		.amdhsa_user_sgpr_queue_ptr 0
		.amdhsa_user_sgpr_kernarg_segment_ptr 1
		.amdhsa_user_sgpr_dispatch_id 0
		.amdhsa_user_sgpr_kernarg_preload_length 0
		.amdhsa_user_sgpr_kernarg_preload_offset 0
		.amdhsa_user_sgpr_private_segment_size 0
		.amdhsa_uses_dynamic_stack 0
		.amdhsa_enable_private_segment 0
		.amdhsa_system_sgpr_workgroup_id_x 1
		.amdhsa_system_sgpr_workgroup_id_y 0
		.amdhsa_system_sgpr_workgroup_id_z 0
		.amdhsa_system_sgpr_workgroup_info 0
		.amdhsa_system_vgpr_workitem_id 0
		.amdhsa_next_free_vgpr 1
		.amdhsa_next_free_sgpr 0
		.amdhsa_accum_offset 4
		.amdhsa_reserve_vcc 0
		.amdhsa_float_round_mode_32 0
		.amdhsa_float_round_mode_16_64 0
		.amdhsa_float_denorm_mode_32 3
		.amdhsa_float_denorm_mode_16_64 3
		.amdhsa_dx10_clamp 1
		.amdhsa_ieee_mode 1
		.amdhsa_fp16_overflow 0
		.amdhsa_tg_split 0
		.amdhsa_exception_fp_ieee_invalid_op 0
		.amdhsa_exception_fp_denorm_src 0
		.amdhsa_exception_fp_ieee_div_zero 0
		.amdhsa_exception_fp_ieee_overflow 0
		.amdhsa_exception_fp_ieee_underflow 0
		.amdhsa_exception_fp_ieee_inexact 0
		.amdhsa_exception_int_div_zero 0
	.end_amdhsa_kernel
	.section	.text._ZN7rocprim17ROCPRIM_400000_NS6detail17trampoline_kernelINS0_14default_configENS1_25partition_config_selectorILNS1_17partition_subalgoE2EsNS0_10empty_typeEbEEZZNS1_14partition_implILS5_2ELb0ES3_jN6thrust23THRUST_200600_302600_NS6detail15normal_iteratorINSA_7pointerIsNSA_11hip_rocprim3tagENSA_11use_defaultESG_EEEEPS6_NSA_18transform_iteratorINSA_8identityIsEENSC_INSA_10device_ptrIsEEEESG_SG_EENS0_5tupleIJPsSJ_EEENSR_IJSJ_SJ_EEES6_PlJS6_EEE10hipError_tPvRmT3_T4_T5_T6_T7_T9_mT8_P12ihipStream_tbDpT10_ENKUlT_T0_E_clISt17integral_constantIbLb0EES1E_IbLb1EEEEDaS1A_S1B_EUlS1A_E_NS1_11comp_targetILNS1_3genE2ELNS1_11target_archE906ELNS1_3gpuE6ELNS1_3repE0EEENS1_30default_config_static_selectorELNS0_4arch9wavefront6targetE1EEEvT1_,"axG",@progbits,_ZN7rocprim17ROCPRIM_400000_NS6detail17trampoline_kernelINS0_14default_configENS1_25partition_config_selectorILNS1_17partition_subalgoE2EsNS0_10empty_typeEbEEZZNS1_14partition_implILS5_2ELb0ES3_jN6thrust23THRUST_200600_302600_NS6detail15normal_iteratorINSA_7pointerIsNSA_11hip_rocprim3tagENSA_11use_defaultESG_EEEEPS6_NSA_18transform_iteratorINSA_8identityIsEENSC_INSA_10device_ptrIsEEEESG_SG_EENS0_5tupleIJPsSJ_EEENSR_IJSJ_SJ_EEES6_PlJS6_EEE10hipError_tPvRmT3_T4_T5_T6_T7_T9_mT8_P12ihipStream_tbDpT10_ENKUlT_T0_E_clISt17integral_constantIbLb0EES1E_IbLb1EEEEDaS1A_S1B_EUlS1A_E_NS1_11comp_targetILNS1_3genE2ELNS1_11target_archE906ELNS1_3gpuE6ELNS1_3repE0EEENS1_30default_config_static_selectorELNS0_4arch9wavefront6targetE1EEEvT1_,comdat
.Lfunc_end573:
	.size	_ZN7rocprim17ROCPRIM_400000_NS6detail17trampoline_kernelINS0_14default_configENS1_25partition_config_selectorILNS1_17partition_subalgoE2EsNS0_10empty_typeEbEEZZNS1_14partition_implILS5_2ELb0ES3_jN6thrust23THRUST_200600_302600_NS6detail15normal_iteratorINSA_7pointerIsNSA_11hip_rocprim3tagENSA_11use_defaultESG_EEEEPS6_NSA_18transform_iteratorINSA_8identityIsEENSC_INSA_10device_ptrIsEEEESG_SG_EENS0_5tupleIJPsSJ_EEENSR_IJSJ_SJ_EEES6_PlJS6_EEE10hipError_tPvRmT3_T4_T5_T6_T7_T9_mT8_P12ihipStream_tbDpT10_ENKUlT_T0_E_clISt17integral_constantIbLb0EES1E_IbLb1EEEEDaS1A_S1B_EUlS1A_E_NS1_11comp_targetILNS1_3genE2ELNS1_11target_archE906ELNS1_3gpuE6ELNS1_3repE0EEENS1_30default_config_static_selectorELNS0_4arch9wavefront6targetE1EEEvT1_, .Lfunc_end573-_ZN7rocprim17ROCPRIM_400000_NS6detail17trampoline_kernelINS0_14default_configENS1_25partition_config_selectorILNS1_17partition_subalgoE2EsNS0_10empty_typeEbEEZZNS1_14partition_implILS5_2ELb0ES3_jN6thrust23THRUST_200600_302600_NS6detail15normal_iteratorINSA_7pointerIsNSA_11hip_rocprim3tagENSA_11use_defaultESG_EEEEPS6_NSA_18transform_iteratorINSA_8identityIsEENSC_INSA_10device_ptrIsEEEESG_SG_EENS0_5tupleIJPsSJ_EEENSR_IJSJ_SJ_EEES6_PlJS6_EEE10hipError_tPvRmT3_T4_T5_T6_T7_T9_mT8_P12ihipStream_tbDpT10_ENKUlT_T0_E_clISt17integral_constantIbLb0EES1E_IbLb1EEEEDaS1A_S1B_EUlS1A_E_NS1_11comp_targetILNS1_3genE2ELNS1_11target_archE906ELNS1_3gpuE6ELNS1_3repE0EEENS1_30default_config_static_selectorELNS0_4arch9wavefront6targetE1EEEvT1_
                                        ; -- End function
	.section	.AMDGPU.csdata,"",@progbits
; Kernel info:
; codeLenInByte = 0
; NumSgprs: 6
; NumVgprs: 0
; NumAgprs: 0
; TotalNumVgprs: 0
; ScratchSize: 0
; MemoryBound: 0
; FloatMode: 240
; IeeeMode: 1
; LDSByteSize: 0 bytes/workgroup (compile time only)
; SGPRBlocks: 0
; VGPRBlocks: 0
; NumSGPRsForWavesPerEU: 6
; NumVGPRsForWavesPerEU: 1
; AccumOffset: 4
; Occupancy: 8
; WaveLimiterHint : 0
; COMPUTE_PGM_RSRC2:SCRATCH_EN: 0
; COMPUTE_PGM_RSRC2:USER_SGPR: 2
; COMPUTE_PGM_RSRC2:TRAP_HANDLER: 0
; COMPUTE_PGM_RSRC2:TGID_X_EN: 1
; COMPUTE_PGM_RSRC2:TGID_Y_EN: 0
; COMPUTE_PGM_RSRC2:TGID_Z_EN: 0
; COMPUTE_PGM_RSRC2:TIDIG_COMP_CNT: 0
; COMPUTE_PGM_RSRC3_GFX90A:ACCUM_OFFSET: 0
; COMPUTE_PGM_RSRC3_GFX90A:TG_SPLIT: 0
	.section	.text._ZN7rocprim17ROCPRIM_400000_NS6detail17trampoline_kernelINS0_14default_configENS1_25partition_config_selectorILNS1_17partition_subalgoE2EsNS0_10empty_typeEbEEZZNS1_14partition_implILS5_2ELb0ES3_jN6thrust23THRUST_200600_302600_NS6detail15normal_iteratorINSA_7pointerIsNSA_11hip_rocprim3tagENSA_11use_defaultESG_EEEEPS6_NSA_18transform_iteratorINSA_8identityIsEENSC_INSA_10device_ptrIsEEEESG_SG_EENS0_5tupleIJPsSJ_EEENSR_IJSJ_SJ_EEES6_PlJS6_EEE10hipError_tPvRmT3_T4_T5_T6_T7_T9_mT8_P12ihipStream_tbDpT10_ENKUlT_T0_E_clISt17integral_constantIbLb0EES1E_IbLb1EEEEDaS1A_S1B_EUlS1A_E_NS1_11comp_targetILNS1_3genE10ELNS1_11target_archE1200ELNS1_3gpuE4ELNS1_3repE0EEENS1_30default_config_static_selectorELNS0_4arch9wavefront6targetE1EEEvT1_,"axG",@progbits,_ZN7rocprim17ROCPRIM_400000_NS6detail17trampoline_kernelINS0_14default_configENS1_25partition_config_selectorILNS1_17partition_subalgoE2EsNS0_10empty_typeEbEEZZNS1_14partition_implILS5_2ELb0ES3_jN6thrust23THRUST_200600_302600_NS6detail15normal_iteratorINSA_7pointerIsNSA_11hip_rocprim3tagENSA_11use_defaultESG_EEEEPS6_NSA_18transform_iteratorINSA_8identityIsEENSC_INSA_10device_ptrIsEEEESG_SG_EENS0_5tupleIJPsSJ_EEENSR_IJSJ_SJ_EEES6_PlJS6_EEE10hipError_tPvRmT3_T4_T5_T6_T7_T9_mT8_P12ihipStream_tbDpT10_ENKUlT_T0_E_clISt17integral_constantIbLb0EES1E_IbLb1EEEEDaS1A_S1B_EUlS1A_E_NS1_11comp_targetILNS1_3genE10ELNS1_11target_archE1200ELNS1_3gpuE4ELNS1_3repE0EEENS1_30default_config_static_selectorELNS0_4arch9wavefront6targetE1EEEvT1_,comdat
	.protected	_ZN7rocprim17ROCPRIM_400000_NS6detail17trampoline_kernelINS0_14default_configENS1_25partition_config_selectorILNS1_17partition_subalgoE2EsNS0_10empty_typeEbEEZZNS1_14partition_implILS5_2ELb0ES3_jN6thrust23THRUST_200600_302600_NS6detail15normal_iteratorINSA_7pointerIsNSA_11hip_rocprim3tagENSA_11use_defaultESG_EEEEPS6_NSA_18transform_iteratorINSA_8identityIsEENSC_INSA_10device_ptrIsEEEESG_SG_EENS0_5tupleIJPsSJ_EEENSR_IJSJ_SJ_EEES6_PlJS6_EEE10hipError_tPvRmT3_T4_T5_T6_T7_T9_mT8_P12ihipStream_tbDpT10_ENKUlT_T0_E_clISt17integral_constantIbLb0EES1E_IbLb1EEEEDaS1A_S1B_EUlS1A_E_NS1_11comp_targetILNS1_3genE10ELNS1_11target_archE1200ELNS1_3gpuE4ELNS1_3repE0EEENS1_30default_config_static_selectorELNS0_4arch9wavefront6targetE1EEEvT1_ ; -- Begin function _ZN7rocprim17ROCPRIM_400000_NS6detail17trampoline_kernelINS0_14default_configENS1_25partition_config_selectorILNS1_17partition_subalgoE2EsNS0_10empty_typeEbEEZZNS1_14partition_implILS5_2ELb0ES3_jN6thrust23THRUST_200600_302600_NS6detail15normal_iteratorINSA_7pointerIsNSA_11hip_rocprim3tagENSA_11use_defaultESG_EEEEPS6_NSA_18transform_iteratorINSA_8identityIsEENSC_INSA_10device_ptrIsEEEESG_SG_EENS0_5tupleIJPsSJ_EEENSR_IJSJ_SJ_EEES6_PlJS6_EEE10hipError_tPvRmT3_T4_T5_T6_T7_T9_mT8_P12ihipStream_tbDpT10_ENKUlT_T0_E_clISt17integral_constantIbLb0EES1E_IbLb1EEEEDaS1A_S1B_EUlS1A_E_NS1_11comp_targetILNS1_3genE10ELNS1_11target_archE1200ELNS1_3gpuE4ELNS1_3repE0EEENS1_30default_config_static_selectorELNS0_4arch9wavefront6targetE1EEEvT1_
	.globl	_ZN7rocprim17ROCPRIM_400000_NS6detail17trampoline_kernelINS0_14default_configENS1_25partition_config_selectorILNS1_17partition_subalgoE2EsNS0_10empty_typeEbEEZZNS1_14partition_implILS5_2ELb0ES3_jN6thrust23THRUST_200600_302600_NS6detail15normal_iteratorINSA_7pointerIsNSA_11hip_rocprim3tagENSA_11use_defaultESG_EEEEPS6_NSA_18transform_iteratorINSA_8identityIsEENSC_INSA_10device_ptrIsEEEESG_SG_EENS0_5tupleIJPsSJ_EEENSR_IJSJ_SJ_EEES6_PlJS6_EEE10hipError_tPvRmT3_T4_T5_T6_T7_T9_mT8_P12ihipStream_tbDpT10_ENKUlT_T0_E_clISt17integral_constantIbLb0EES1E_IbLb1EEEEDaS1A_S1B_EUlS1A_E_NS1_11comp_targetILNS1_3genE10ELNS1_11target_archE1200ELNS1_3gpuE4ELNS1_3repE0EEENS1_30default_config_static_selectorELNS0_4arch9wavefront6targetE1EEEvT1_
	.p2align	8
	.type	_ZN7rocprim17ROCPRIM_400000_NS6detail17trampoline_kernelINS0_14default_configENS1_25partition_config_selectorILNS1_17partition_subalgoE2EsNS0_10empty_typeEbEEZZNS1_14partition_implILS5_2ELb0ES3_jN6thrust23THRUST_200600_302600_NS6detail15normal_iteratorINSA_7pointerIsNSA_11hip_rocprim3tagENSA_11use_defaultESG_EEEEPS6_NSA_18transform_iteratorINSA_8identityIsEENSC_INSA_10device_ptrIsEEEESG_SG_EENS0_5tupleIJPsSJ_EEENSR_IJSJ_SJ_EEES6_PlJS6_EEE10hipError_tPvRmT3_T4_T5_T6_T7_T9_mT8_P12ihipStream_tbDpT10_ENKUlT_T0_E_clISt17integral_constantIbLb0EES1E_IbLb1EEEEDaS1A_S1B_EUlS1A_E_NS1_11comp_targetILNS1_3genE10ELNS1_11target_archE1200ELNS1_3gpuE4ELNS1_3repE0EEENS1_30default_config_static_selectorELNS0_4arch9wavefront6targetE1EEEvT1_,@function
_ZN7rocprim17ROCPRIM_400000_NS6detail17trampoline_kernelINS0_14default_configENS1_25partition_config_selectorILNS1_17partition_subalgoE2EsNS0_10empty_typeEbEEZZNS1_14partition_implILS5_2ELb0ES3_jN6thrust23THRUST_200600_302600_NS6detail15normal_iteratorINSA_7pointerIsNSA_11hip_rocprim3tagENSA_11use_defaultESG_EEEEPS6_NSA_18transform_iteratorINSA_8identityIsEENSC_INSA_10device_ptrIsEEEESG_SG_EENS0_5tupleIJPsSJ_EEENSR_IJSJ_SJ_EEES6_PlJS6_EEE10hipError_tPvRmT3_T4_T5_T6_T7_T9_mT8_P12ihipStream_tbDpT10_ENKUlT_T0_E_clISt17integral_constantIbLb0EES1E_IbLb1EEEEDaS1A_S1B_EUlS1A_E_NS1_11comp_targetILNS1_3genE10ELNS1_11target_archE1200ELNS1_3gpuE4ELNS1_3repE0EEENS1_30default_config_static_selectorELNS0_4arch9wavefront6targetE1EEEvT1_: ; @_ZN7rocprim17ROCPRIM_400000_NS6detail17trampoline_kernelINS0_14default_configENS1_25partition_config_selectorILNS1_17partition_subalgoE2EsNS0_10empty_typeEbEEZZNS1_14partition_implILS5_2ELb0ES3_jN6thrust23THRUST_200600_302600_NS6detail15normal_iteratorINSA_7pointerIsNSA_11hip_rocprim3tagENSA_11use_defaultESG_EEEEPS6_NSA_18transform_iteratorINSA_8identityIsEENSC_INSA_10device_ptrIsEEEESG_SG_EENS0_5tupleIJPsSJ_EEENSR_IJSJ_SJ_EEES6_PlJS6_EEE10hipError_tPvRmT3_T4_T5_T6_T7_T9_mT8_P12ihipStream_tbDpT10_ENKUlT_T0_E_clISt17integral_constantIbLb0EES1E_IbLb1EEEEDaS1A_S1B_EUlS1A_E_NS1_11comp_targetILNS1_3genE10ELNS1_11target_archE1200ELNS1_3gpuE4ELNS1_3repE0EEENS1_30default_config_static_selectorELNS0_4arch9wavefront6targetE1EEEvT1_
; %bb.0:
	.section	.rodata,"a",@progbits
	.p2align	6, 0x0
	.amdhsa_kernel _ZN7rocprim17ROCPRIM_400000_NS6detail17trampoline_kernelINS0_14default_configENS1_25partition_config_selectorILNS1_17partition_subalgoE2EsNS0_10empty_typeEbEEZZNS1_14partition_implILS5_2ELb0ES3_jN6thrust23THRUST_200600_302600_NS6detail15normal_iteratorINSA_7pointerIsNSA_11hip_rocprim3tagENSA_11use_defaultESG_EEEEPS6_NSA_18transform_iteratorINSA_8identityIsEENSC_INSA_10device_ptrIsEEEESG_SG_EENS0_5tupleIJPsSJ_EEENSR_IJSJ_SJ_EEES6_PlJS6_EEE10hipError_tPvRmT3_T4_T5_T6_T7_T9_mT8_P12ihipStream_tbDpT10_ENKUlT_T0_E_clISt17integral_constantIbLb0EES1E_IbLb1EEEEDaS1A_S1B_EUlS1A_E_NS1_11comp_targetILNS1_3genE10ELNS1_11target_archE1200ELNS1_3gpuE4ELNS1_3repE0EEENS1_30default_config_static_selectorELNS0_4arch9wavefront6targetE1EEEvT1_
		.amdhsa_group_segment_fixed_size 0
		.amdhsa_private_segment_fixed_size 0
		.amdhsa_kernarg_size 144
		.amdhsa_user_sgpr_count 2
		.amdhsa_user_sgpr_dispatch_ptr 0
		.amdhsa_user_sgpr_queue_ptr 0
		.amdhsa_user_sgpr_kernarg_segment_ptr 1
		.amdhsa_user_sgpr_dispatch_id 0
		.amdhsa_user_sgpr_kernarg_preload_length 0
		.amdhsa_user_sgpr_kernarg_preload_offset 0
		.amdhsa_user_sgpr_private_segment_size 0
		.amdhsa_uses_dynamic_stack 0
		.amdhsa_enable_private_segment 0
		.amdhsa_system_sgpr_workgroup_id_x 1
		.amdhsa_system_sgpr_workgroup_id_y 0
		.amdhsa_system_sgpr_workgroup_id_z 0
		.amdhsa_system_sgpr_workgroup_info 0
		.amdhsa_system_vgpr_workitem_id 0
		.amdhsa_next_free_vgpr 1
		.amdhsa_next_free_sgpr 0
		.amdhsa_accum_offset 4
		.amdhsa_reserve_vcc 0
		.amdhsa_float_round_mode_32 0
		.amdhsa_float_round_mode_16_64 0
		.amdhsa_float_denorm_mode_32 3
		.amdhsa_float_denorm_mode_16_64 3
		.amdhsa_dx10_clamp 1
		.amdhsa_ieee_mode 1
		.amdhsa_fp16_overflow 0
		.amdhsa_tg_split 0
		.amdhsa_exception_fp_ieee_invalid_op 0
		.amdhsa_exception_fp_denorm_src 0
		.amdhsa_exception_fp_ieee_div_zero 0
		.amdhsa_exception_fp_ieee_overflow 0
		.amdhsa_exception_fp_ieee_underflow 0
		.amdhsa_exception_fp_ieee_inexact 0
		.amdhsa_exception_int_div_zero 0
	.end_amdhsa_kernel
	.section	.text._ZN7rocprim17ROCPRIM_400000_NS6detail17trampoline_kernelINS0_14default_configENS1_25partition_config_selectorILNS1_17partition_subalgoE2EsNS0_10empty_typeEbEEZZNS1_14partition_implILS5_2ELb0ES3_jN6thrust23THRUST_200600_302600_NS6detail15normal_iteratorINSA_7pointerIsNSA_11hip_rocprim3tagENSA_11use_defaultESG_EEEEPS6_NSA_18transform_iteratorINSA_8identityIsEENSC_INSA_10device_ptrIsEEEESG_SG_EENS0_5tupleIJPsSJ_EEENSR_IJSJ_SJ_EEES6_PlJS6_EEE10hipError_tPvRmT3_T4_T5_T6_T7_T9_mT8_P12ihipStream_tbDpT10_ENKUlT_T0_E_clISt17integral_constantIbLb0EES1E_IbLb1EEEEDaS1A_S1B_EUlS1A_E_NS1_11comp_targetILNS1_3genE10ELNS1_11target_archE1200ELNS1_3gpuE4ELNS1_3repE0EEENS1_30default_config_static_selectorELNS0_4arch9wavefront6targetE1EEEvT1_,"axG",@progbits,_ZN7rocprim17ROCPRIM_400000_NS6detail17trampoline_kernelINS0_14default_configENS1_25partition_config_selectorILNS1_17partition_subalgoE2EsNS0_10empty_typeEbEEZZNS1_14partition_implILS5_2ELb0ES3_jN6thrust23THRUST_200600_302600_NS6detail15normal_iteratorINSA_7pointerIsNSA_11hip_rocprim3tagENSA_11use_defaultESG_EEEEPS6_NSA_18transform_iteratorINSA_8identityIsEENSC_INSA_10device_ptrIsEEEESG_SG_EENS0_5tupleIJPsSJ_EEENSR_IJSJ_SJ_EEES6_PlJS6_EEE10hipError_tPvRmT3_T4_T5_T6_T7_T9_mT8_P12ihipStream_tbDpT10_ENKUlT_T0_E_clISt17integral_constantIbLb0EES1E_IbLb1EEEEDaS1A_S1B_EUlS1A_E_NS1_11comp_targetILNS1_3genE10ELNS1_11target_archE1200ELNS1_3gpuE4ELNS1_3repE0EEENS1_30default_config_static_selectorELNS0_4arch9wavefront6targetE1EEEvT1_,comdat
.Lfunc_end574:
	.size	_ZN7rocprim17ROCPRIM_400000_NS6detail17trampoline_kernelINS0_14default_configENS1_25partition_config_selectorILNS1_17partition_subalgoE2EsNS0_10empty_typeEbEEZZNS1_14partition_implILS5_2ELb0ES3_jN6thrust23THRUST_200600_302600_NS6detail15normal_iteratorINSA_7pointerIsNSA_11hip_rocprim3tagENSA_11use_defaultESG_EEEEPS6_NSA_18transform_iteratorINSA_8identityIsEENSC_INSA_10device_ptrIsEEEESG_SG_EENS0_5tupleIJPsSJ_EEENSR_IJSJ_SJ_EEES6_PlJS6_EEE10hipError_tPvRmT3_T4_T5_T6_T7_T9_mT8_P12ihipStream_tbDpT10_ENKUlT_T0_E_clISt17integral_constantIbLb0EES1E_IbLb1EEEEDaS1A_S1B_EUlS1A_E_NS1_11comp_targetILNS1_3genE10ELNS1_11target_archE1200ELNS1_3gpuE4ELNS1_3repE0EEENS1_30default_config_static_selectorELNS0_4arch9wavefront6targetE1EEEvT1_, .Lfunc_end574-_ZN7rocprim17ROCPRIM_400000_NS6detail17trampoline_kernelINS0_14default_configENS1_25partition_config_selectorILNS1_17partition_subalgoE2EsNS0_10empty_typeEbEEZZNS1_14partition_implILS5_2ELb0ES3_jN6thrust23THRUST_200600_302600_NS6detail15normal_iteratorINSA_7pointerIsNSA_11hip_rocprim3tagENSA_11use_defaultESG_EEEEPS6_NSA_18transform_iteratorINSA_8identityIsEENSC_INSA_10device_ptrIsEEEESG_SG_EENS0_5tupleIJPsSJ_EEENSR_IJSJ_SJ_EEES6_PlJS6_EEE10hipError_tPvRmT3_T4_T5_T6_T7_T9_mT8_P12ihipStream_tbDpT10_ENKUlT_T0_E_clISt17integral_constantIbLb0EES1E_IbLb1EEEEDaS1A_S1B_EUlS1A_E_NS1_11comp_targetILNS1_3genE10ELNS1_11target_archE1200ELNS1_3gpuE4ELNS1_3repE0EEENS1_30default_config_static_selectorELNS0_4arch9wavefront6targetE1EEEvT1_
                                        ; -- End function
	.section	.AMDGPU.csdata,"",@progbits
; Kernel info:
; codeLenInByte = 0
; NumSgprs: 6
; NumVgprs: 0
; NumAgprs: 0
; TotalNumVgprs: 0
; ScratchSize: 0
; MemoryBound: 0
; FloatMode: 240
; IeeeMode: 1
; LDSByteSize: 0 bytes/workgroup (compile time only)
; SGPRBlocks: 0
; VGPRBlocks: 0
; NumSGPRsForWavesPerEU: 6
; NumVGPRsForWavesPerEU: 1
; AccumOffset: 4
; Occupancy: 8
; WaveLimiterHint : 0
; COMPUTE_PGM_RSRC2:SCRATCH_EN: 0
; COMPUTE_PGM_RSRC2:USER_SGPR: 2
; COMPUTE_PGM_RSRC2:TRAP_HANDLER: 0
; COMPUTE_PGM_RSRC2:TGID_X_EN: 1
; COMPUTE_PGM_RSRC2:TGID_Y_EN: 0
; COMPUTE_PGM_RSRC2:TGID_Z_EN: 0
; COMPUTE_PGM_RSRC2:TIDIG_COMP_CNT: 0
; COMPUTE_PGM_RSRC3_GFX90A:ACCUM_OFFSET: 0
; COMPUTE_PGM_RSRC3_GFX90A:TG_SPLIT: 0
	.section	.text._ZN7rocprim17ROCPRIM_400000_NS6detail17trampoline_kernelINS0_14default_configENS1_25partition_config_selectorILNS1_17partition_subalgoE2EsNS0_10empty_typeEbEEZZNS1_14partition_implILS5_2ELb0ES3_jN6thrust23THRUST_200600_302600_NS6detail15normal_iteratorINSA_7pointerIsNSA_11hip_rocprim3tagENSA_11use_defaultESG_EEEEPS6_NSA_18transform_iteratorINSA_8identityIsEENSC_INSA_10device_ptrIsEEEESG_SG_EENS0_5tupleIJPsSJ_EEENSR_IJSJ_SJ_EEES6_PlJS6_EEE10hipError_tPvRmT3_T4_T5_T6_T7_T9_mT8_P12ihipStream_tbDpT10_ENKUlT_T0_E_clISt17integral_constantIbLb0EES1E_IbLb1EEEEDaS1A_S1B_EUlS1A_E_NS1_11comp_targetILNS1_3genE9ELNS1_11target_archE1100ELNS1_3gpuE3ELNS1_3repE0EEENS1_30default_config_static_selectorELNS0_4arch9wavefront6targetE1EEEvT1_,"axG",@progbits,_ZN7rocprim17ROCPRIM_400000_NS6detail17trampoline_kernelINS0_14default_configENS1_25partition_config_selectorILNS1_17partition_subalgoE2EsNS0_10empty_typeEbEEZZNS1_14partition_implILS5_2ELb0ES3_jN6thrust23THRUST_200600_302600_NS6detail15normal_iteratorINSA_7pointerIsNSA_11hip_rocprim3tagENSA_11use_defaultESG_EEEEPS6_NSA_18transform_iteratorINSA_8identityIsEENSC_INSA_10device_ptrIsEEEESG_SG_EENS0_5tupleIJPsSJ_EEENSR_IJSJ_SJ_EEES6_PlJS6_EEE10hipError_tPvRmT3_T4_T5_T6_T7_T9_mT8_P12ihipStream_tbDpT10_ENKUlT_T0_E_clISt17integral_constantIbLb0EES1E_IbLb1EEEEDaS1A_S1B_EUlS1A_E_NS1_11comp_targetILNS1_3genE9ELNS1_11target_archE1100ELNS1_3gpuE3ELNS1_3repE0EEENS1_30default_config_static_selectorELNS0_4arch9wavefront6targetE1EEEvT1_,comdat
	.protected	_ZN7rocprim17ROCPRIM_400000_NS6detail17trampoline_kernelINS0_14default_configENS1_25partition_config_selectorILNS1_17partition_subalgoE2EsNS0_10empty_typeEbEEZZNS1_14partition_implILS5_2ELb0ES3_jN6thrust23THRUST_200600_302600_NS6detail15normal_iteratorINSA_7pointerIsNSA_11hip_rocprim3tagENSA_11use_defaultESG_EEEEPS6_NSA_18transform_iteratorINSA_8identityIsEENSC_INSA_10device_ptrIsEEEESG_SG_EENS0_5tupleIJPsSJ_EEENSR_IJSJ_SJ_EEES6_PlJS6_EEE10hipError_tPvRmT3_T4_T5_T6_T7_T9_mT8_P12ihipStream_tbDpT10_ENKUlT_T0_E_clISt17integral_constantIbLb0EES1E_IbLb1EEEEDaS1A_S1B_EUlS1A_E_NS1_11comp_targetILNS1_3genE9ELNS1_11target_archE1100ELNS1_3gpuE3ELNS1_3repE0EEENS1_30default_config_static_selectorELNS0_4arch9wavefront6targetE1EEEvT1_ ; -- Begin function _ZN7rocprim17ROCPRIM_400000_NS6detail17trampoline_kernelINS0_14default_configENS1_25partition_config_selectorILNS1_17partition_subalgoE2EsNS0_10empty_typeEbEEZZNS1_14partition_implILS5_2ELb0ES3_jN6thrust23THRUST_200600_302600_NS6detail15normal_iteratorINSA_7pointerIsNSA_11hip_rocprim3tagENSA_11use_defaultESG_EEEEPS6_NSA_18transform_iteratorINSA_8identityIsEENSC_INSA_10device_ptrIsEEEESG_SG_EENS0_5tupleIJPsSJ_EEENSR_IJSJ_SJ_EEES6_PlJS6_EEE10hipError_tPvRmT3_T4_T5_T6_T7_T9_mT8_P12ihipStream_tbDpT10_ENKUlT_T0_E_clISt17integral_constantIbLb0EES1E_IbLb1EEEEDaS1A_S1B_EUlS1A_E_NS1_11comp_targetILNS1_3genE9ELNS1_11target_archE1100ELNS1_3gpuE3ELNS1_3repE0EEENS1_30default_config_static_selectorELNS0_4arch9wavefront6targetE1EEEvT1_
	.globl	_ZN7rocprim17ROCPRIM_400000_NS6detail17trampoline_kernelINS0_14default_configENS1_25partition_config_selectorILNS1_17partition_subalgoE2EsNS0_10empty_typeEbEEZZNS1_14partition_implILS5_2ELb0ES3_jN6thrust23THRUST_200600_302600_NS6detail15normal_iteratorINSA_7pointerIsNSA_11hip_rocprim3tagENSA_11use_defaultESG_EEEEPS6_NSA_18transform_iteratorINSA_8identityIsEENSC_INSA_10device_ptrIsEEEESG_SG_EENS0_5tupleIJPsSJ_EEENSR_IJSJ_SJ_EEES6_PlJS6_EEE10hipError_tPvRmT3_T4_T5_T6_T7_T9_mT8_P12ihipStream_tbDpT10_ENKUlT_T0_E_clISt17integral_constantIbLb0EES1E_IbLb1EEEEDaS1A_S1B_EUlS1A_E_NS1_11comp_targetILNS1_3genE9ELNS1_11target_archE1100ELNS1_3gpuE3ELNS1_3repE0EEENS1_30default_config_static_selectorELNS0_4arch9wavefront6targetE1EEEvT1_
	.p2align	8
	.type	_ZN7rocprim17ROCPRIM_400000_NS6detail17trampoline_kernelINS0_14default_configENS1_25partition_config_selectorILNS1_17partition_subalgoE2EsNS0_10empty_typeEbEEZZNS1_14partition_implILS5_2ELb0ES3_jN6thrust23THRUST_200600_302600_NS6detail15normal_iteratorINSA_7pointerIsNSA_11hip_rocprim3tagENSA_11use_defaultESG_EEEEPS6_NSA_18transform_iteratorINSA_8identityIsEENSC_INSA_10device_ptrIsEEEESG_SG_EENS0_5tupleIJPsSJ_EEENSR_IJSJ_SJ_EEES6_PlJS6_EEE10hipError_tPvRmT3_T4_T5_T6_T7_T9_mT8_P12ihipStream_tbDpT10_ENKUlT_T0_E_clISt17integral_constantIbLb0EES1E_IbLb1EEEEDaS1A_S1B_EUlS1A_E_NS1_11comp_targetILNS1_3genE9ELNS1_11target_archE1100ELNS1_3gpuE3ELNS1_3repE0EEENS1_30default_config_static_selectorELNS0_4arch9wavefront6targetE1EEEvT1_,@function
_ZN7rocprim17ROCPRIM_400000_NS6detail17trampoline_kernelINS0_14default_configENS1_25partition_config_selectorILNS1_17partition_subalgoE2EsNS0_10empty_typeEbEEZZNS1_14partition_implILS5_2ELb0ES3_jN6thrust23THRUST_200600_302600_NS6detail15normal_iteratorINSA_7pointerIsNSA_11hip_rocprim3tagENSA_11use_defaultESG_EEEEPS6_NSA_18transform_iteratorINSA_8identityIsEENSC_INSA_10device_ptrIsEEEESG_SG_EENS0_5tupleIJPsSJ_EEENSR_IJSJ_SJ_EEES6_PlJS6_EEE10hipError_tPvRmT3_T4_T5_T6_T7_T9_mT8_P12ihipStream_tbDpT10_ENKUlT_T0_E_clISt17integral_constantIbLb0EES1E_IbLb1EEEEDaS1A_S1B_EUlS1A_E_NS1_11comp_targetILNS1_3genE9ELNS1_11target_archE1100ELNS1_3gpuE3ELNS1_3repE0EEENS1_30default_config_static_selectorELNS0_4arch9wavefront6targetE1EEEvT1_: ; @_ZN7rocprim17ROCPRIM_400000_NS6detail17trampoline_kernelINS0_14default_configENS1_25partition_config_selectorILNS1_17partition_subalgoE2EsNS0_10empty_typeEbEEZZNS1_14partition_implILS5_2ELb0ES3_jN6thrust23THRUST_200600_302600_NS6detail15normal_iteratorINSA_7pointerIsNSA_11hip_rocprim3tagENSA_11use_defaultESG_EEEEPS6_NSA_18transform_iteratorINSA_8identityIsEENSC_INSA_10device_ptrIsEEEESG_SG_EENS0_5tupleIJPsSJ_EEENSR_IJSJ_SJ_EEES6_PlJS6_EEE10hipError_tPvRmT3_T4_T5_T6_T7_T9_mT8_P12ihipStream_tbDpT10_ENKUlT_T0_E_clISt17integral_constantIbLb0EES1E_IbLb1EEEEDaS1A_S1B_EUlS1A_E_NS1_11comp_targetILNS1_3genE9ELNS1_11target_archE1100ELNS1_3gpuE3ELNS1_3repE0EEENS1_30default_config_static_selectorELNS0_4arch9wavefront6targetE1EEEvT1_
; %bb.0:
	.section	.rodata,"a",@progbits
	.p2align	6, 0x0
	.amdhsa_kernel _ZN7rocprim17ROCPRIM_400000_NS6detail17trampoline_kernelINS0_14default_configENS1_25partition_config_selectorILNS1_17partition_subalgoE2EsNS0_10empty_typeEbEEZZNS1_14partition_implILS5_2ELb0ES3_jN6thrust23THRUST_200600_302600_NS6detail15normal_iteratorINSA_7pointerIsNSA_11hip_rocprim3tagENSA_11use_defaultESG_EEEEPS6_NSA_18transform_iteratorINSA_8identityIsEENSC_INSA_10device_ptrIsEEEESG_SG_EENS0_5tupleIJPsSJ_EEENSR_IJSJ_SJ_EEES6_PlJS6_EEE10hipError_tPvRmT3_T4_T5_T6_T7_T9_mT8_P12ihipStream_tbDpT10_ENKUlT_T0_E_clISt17integral_constantIbLb0EES1E_IbLb1EEEEDaS1A_S1B_EUlS1A_E_NS1_11comp_targetILNS1_3genE9ELNS1_11target_archE1100ELNS1_3gpuE3ELNS1_3repE0EEENS1_30default_config_static_selectorELNS0_4arch9wavefront6targetE1EEEvT1_
		.amdhsa_group_segment_fixed_size 0
		.amdhsa_private_segment_fixed_size 0
		.amdhsa_kernarg_size 144
		.amdhsa_user_sgpr_count 2
		.amdhsa_user_sgpr_dispatch_ptr 0
		.amdhsa_user_sgpr_queue_ptr 0
		.amdhsa_user_sgpr_kernarg_segment_ptr 1
		.amdhsa_user_sgpr_dispatch_id 0
		.amdhsa_user_sgpr_kernarg_preload_length 0
		.amdhsa_user_sgpr_kernarg_preload_offset 0
		.amdhsa_user_sgpr_private_segment_size 0
		.amdhsa_uses_dynamic_stack 0
		.amdhsa_enable_private_segment 0
		.amdhsa_system_sgpr_workgroup_id_x 1
		.amdhsa_system_sgpr_workgroup_id_y 0
		.amdhsa_system_sgpr_workgroup_id_z 0
		.amdhsa_system_sgpr_workgroup_info 0
		.amdhsa_system_vgpr_workitem_id 0
		.amdhsa_next_free_vgpr 1
		.amdhsa_next_free_sgpr 0
		.amdhsa_accum_offset 4
		.amdhsa_reserve_vcc 0
		.amdhsa_float_round_mode_32 0
		.amdhsa_float_round_mode_16_64 0
		.amdhsa_float_denorm_mode_32 3
		.amdhsa_float_denorm_mode_16_64 3
		.amdhsa_dx10_clamp 1
		.amdhsa_ieee_mode 1
		.amdhsa_fp16_overflow 0
		.amdhsa_tg_split 0
		.amdhsa_exception_fp_ieee_invalid_op 0
		.amdhsa_exception_fp_denorm_src 0
		.amdhsa_exception_fp_ieee_div_zero 0
		.amdhsa_exception_fp_ieee_overflow 0
		.amdhsa_exception_fp_ieee_underflow 0
		.amdhsa_exception_fp_ieee_inexact 0
		.amdhsa_exception_int_div_zero 0
	.end_amdhsa_kernel
	.section	.text._ZN7rocprim17ROCPRIM_400000_NS6detail17trampoline_kernelINS0_14default_configENS1_25partition_config_selectorILNS1_17partition_subalgoE2EsNS0_10empty_typeEbEEZZNS1_14partition_implILS5_2ELb0ES3_jN6thrust23THRUST_200600_302600_NS6detail15normal_iteratorINSA_7pointerIsNSA_11hip_rocprim3tagENSA_11use_defaultESG_EEEEPS6_NSA_18transform_iteratorINSA_8identityIsEENSC_INSA_10device_ptrIsEEEESG_SG_EENS0_5tupleIJPsSJ_EEENSR_IJSJ_SJ_EEES6_PlJS6_EEE10hipError_tPvRmT3_T4_T5_T6_T7_T9_mT8_P12ihipStream_tbDpT10_ENKUlT_T0_E_clISt17integral_constantIbLb0EES1E_IbLb1EEEEDaS1A_S1B_EUlS1A_E_NS1_11comp_targetILNS1_3genE9ELNS1_11target_archE1100ELNS1_3gpuE3ELNS1_3repE0EEENS1_30default_config_static_selectorELNS0_4arch9wavefront6targetE1EEEvT1_,"axG",@progbits,_ZN7rocprim17ROCPRIM_400000_NS6detail17trampoline_kernelINS0_14default_configENS1_25partition_config_selectorILNS1_17partition_subalgoE2EsNS0_10empty_typeEbEEZZNS1_14partition_implILS5_2ELb0ES3_jN6thrust23THRUST_200600_302600_NS6detail15normal_iteratorINSA_7pointerIsNSA_11hip_rocprim3tagENSA_11use_defaultESG_EEEEPS6_NSA_18transform_iteratorINSA_8identityIsEENSC_INSA_10device_ptrIsEEEESG_SG_EENS0_5tupleIJPsSJ_EEENSR_IJSJ_SJ_EEES6_PlJS6_EEE10hipError_tPvRmT3_T4_T5_T6_T7_T9_mT8_P12ihipStream_tbDpT10_ENKUlT_T0_E_clISt17integral_constantIbLb0EES1E_IbLb1EEEEDaS1A_S1B_EUlS1A_E_NS1_11comp_targetILNS1_3genE9ELNS1_11target_archE1100ELNS1_3gpuE3ELNS1_3repE0EEENS1_30default_config_static_selectorELNS0_4arch9wavefront6targetE1EEEvT1_,comdat
.Lfunc_end575:
	.size	_ZN7rocprim17ROCPRIM_400000_NS6detail17trampoline_kernelINS0_14default_configENS1_25partition_config_selectorILNS1_17partition_subalgoE2EsNS0_10empty_typeEbEEZZNS1_14partition_implILS5_2ELb0ES3_jN6thrust23THRUST_200600_302600_NS6detail15normal_iteratorINSA_7pointerIsNSA_11hip_rocprim3tagENSA_11use_defaultESG_EEEEPS6_NSA_18transform_iteratorINSA_8identityIsEENSC_INSA_10device_ptrIsEEEESG_SG_EENS0_5tupleIJPsSJ_EEENSR_IJSJ_SJ_EEES6_PlJS6_EEE10hipError_tPvRmT3_T4_T5_T6_T7_T9_mT8_P12ihipStream_tbDpT10_ENKUlT_T0_E_clISt17integral_constantIbLb0EES1E_IbLb1EEEEDaS1A_S1B_EUlS1A_E_NS1_11comp_targetILNS1_3genE9ELNS1_11target_archE1100ELNS1_3gpuE3ELNS1_3repE0EEENS1_30default_config_static_selectorELNS0_4arch9wavefront6targetE1EEEvT1_, .Lfunc_end575-_ZN7rocprim17ROCPRIM_400000_NS6detail17trampoline_kernelINS0_14default_configENS1_25partition_config_selectorILNS1_17partition_subalgoE2EsNS0_10empty_typeEbEEZZNS1_14partition_implILS5_2ELb0ES3_jN6thrust23THRUST_200600_302600_NS6detail15normal_iteratorINSA_7pointerIsNSA_11hip_rocprim3tagENSA_11use_defaultESG_EEEEPS6_NSA_18transform_iteratorINSA_8identityIsEENSC_INSA_10device_ptrIsEEEESG_SG_EENS0_5tupleIJPsSJ_EEENSR_IJSJ_SJ_EEES6_PlJS6_EEE10hipError_tPvRmT3_T4_T5_T6_T7_T9_mT8_P12ihipStream_tbDpT10_ENKUlT_T0_E_clISt17integral_constantIbLb0EES1E_IbLb1EEEEDaS1A_S1B_EUlS1A_E_NS1_11comp_targetILNS1_3genE9ELNS1_11target_archE1100ELNS1_3gpuE3ELNS1_3repE0EEENS1_30default_config_static_selectorELNS0_4arch9wavefront6targetE1EEEvT1_
                                        ; -- End function
	.section	.AMDGPU.csdata,"",@progbits
; Kernel info:
; codeLenInByte = 0
; NumSgprs: 6
; NumVgprs: 0
; NumAgprs: 0
; TotalNumVgprs: 0
; ScratchSize: 0
; MemoryBound: 0
; FloatMode: 240
; IeeeMode: 1
; LDSByteSize: 0 bytes/workgroup (compile time only)
; SGPRBlocks: 0
; VGPRBlocks: 0
; NumSGPRsForWavesPerEU: 6
; NumVGPRsForWavesPerEU: 1
; AccumOffset: 4
; Occupancy: 8
; WaveLimiterHint : 0
; COMPUTE_PGM_RSRC2:SCRATCH_EN: 0
; COMPUTE_PGM_RSRC2:USER_SGPR: 2
; COMPUTE_PGM_RSRC2:TRAP_HANDLER: 0
; COMPUTE_PGM_RSRC2:TGID_X_EN: 1
; COMPUTE_PGM_RSRC2:TGID_Y_EN: 0
; COMPUTE_PGM_RSRC2:TGID_Z_EN: 0
; COMPUTE_PGM_RSRC2:TIDIG_COMP_CNT: 0
; COMPUTE_PGM_RSRC3_GFX90A:ACCUM_OFFSET: 0
; COMPUTE_PGM_RSRC3_GFX90A:TG_SPLIT: 0
	.section	.text._ZN7rocprim17ROCPRIM_400000_NS6detail17trampoline_kernelINS0_14default_configENS1_25partition_config_selectorILNS1_17partition_subalgoE2EsNS0_10empty_typeEbEEZZNS1_14partition_implILS5_2ELb0ES3_jN6thrust23THRUST_200600_302600_NS6detail15normal_iteratorINSA_7pointerIsNSA_11hip_rocprim3tagENSA_11use_defaultESG_EEEEPS6_NSA_18transform_iteratorINSA_8identityIsEENSC_INSA_10device_ptrIsEEEESG_SG_EENS0_5tupleIJPsSJ_EEENSR_IJSJ_SJ_EEES6_PlJS6_EEE10hipError_tPvRmT3_T4_T5_T6_T7_T9_mT8_P12ihipStream_tbDpT10_ENKUlT_T0_E_clISt17integral_constantIbLb0EES1E_IbLb1EEEEDaS1A_S1B_EUlS1A_E_NS1_11comp_targetILNS1_3genE8ELNS1_11target_archE1030ELNS1_3gpuE2ELNS1_3repE0EEENS1_30default_config_static_selectorELNS0_4arch9wavefront6targetE1EEEvT1_,"axG",@progbits,_ZN7rocprim17ROCPRIM_400000_NS6detail17trampoline_kernelINS0_14default_configENS1_25partition_config_selectorILNS1_17partition_subalgoE2EsNS0_10empty_typeEbEEZZNS1_14partition_implILS5_2ELb0ES3_jN6thrust23THRUST_200600_302600_NS6detail15normal_iteratorINSA_7pointerIsNSA_11hip_rocprim3tagENSA_11use_defaultESG_EEEEPS6_NSA_18transform_iteratorINSA_8identityIsEENSC_INSA_10device_ptrIsEEEESG_SG_EENS0_5tupleIJPsSJ_EEENSR_IJSJ_SJ_EEES6_PlJS6_EEE10hipError_tPvRmT3_T4_T5_T6_T7_T9_mT8_P12ihipStream_tbDpT10_ENKUlT_T0_E_clISt17integral_constantIbLb0EES1E_IbLb1EEEEDaS1A_S1B_EUlS1A_E_NS1_11comp_targetILNS1_3genE8ELNS1_11target_archE1030ELNS1_3gpuE2ELNS1_3repE0EEENS1_30default_config_static_selectorELNS0_4arch9wavefront6targetE1EEEvT1_,comdat
	.protected	_ZN7rocprim17ROCPRIM_400000_NS6detail17trampoline_kernelINS0_14default_configENS1_25partition_config_selectorILNS1_17partition_subalgoE2EsNS0_10empty_typeEbEEZZNS1_14partition_implILS5_2ELb0ES3_jN6thrust23THRUST_200600_302600_NS6detail15normal_iteratorINSA_7pointerIsNSA_11hip_rocprim3tagENSA_11use_defaultESG_EEEEPS6_NSA_18transform_iteratorINSA_8identityIsEENSC_INSA_10device_ptrIsEEEESG_SG_EENS0_5tupleIJPsSJ_EEENSR_IJSJ_SJ_EEES6_PlJS6_EEE10hipError_tPvRmT3_T4_T5_T6_T7_T9_mT8_P12ihipStream_tbDpT10_ENKUlT_T0_E_clISt17integral_constantIbLb0EES1E_IbLb1EEEEDaS1A_S1B_EUlS1A_E_NS1_11comp_targetILNS1_3genE8ELNS1_11target_archE1030ELNS1_3gpuE2ELNS1_3repE0EEENS1_30default_config_static_selectorELNS0_4arch9wavefront6targetE1EEEvT1_ ; -- Begin function _ZN7rocprim17ROCPRIM_400000_NS6detail17trampoline_kernelINS0_14default_configENS1_25partition_config_selectorILNS1_17partition_subalgoE2EsNS0_10empty_typeEbEEZZNS1_14partition_implILS5_2ELb0ES3_jN6thrust23THRUST_200600_302600_NS6detail15normal_iteratorINSA_7pointerIsNSA_11hip_rocprim3tagENSA_11use_defaultESG_EEEEPS6_NSA_18transform_iteratorINSA_8identityIsEENSC_INSA_10device_ptrIsEEEESG_SG_EENS0_5tupleIJPsSJ_EEENSR_IJSJ_SJ_EEES6_PlJS6_EEE10hipError_tPvRmT3_T4_T5_T6_T7_T9_mT8_P12ihipStream_tbDpT10_ENKUlT_T0_E_clISt17integral_constantIbLb0EES1E_IbLb1EEEEDaS1A_S1B_EUlS1A_E_NS1_11comp_targetILNS1_3genE8ELNS1_11target_archE1030ELNS1_3gpuE2ELNS1_3repE0EEENS1_30default_config_static_selectorELNS0_4arch9wavefront6targetE1EEEvT1_
	.globl	_ZN7rocprim17ROCPRIM_400000_NS6detail17trampoline_kernelINS0_14default_configENS1_25partition_config_selectorILNS1_17partition_subalgoE2EsNS0_10empty_typeEbEEZZNS1_14partition_implILS5_2ELb0ES3_jN6thrust23THRUST_200600_302600_NS6detail15normal_iteratorINSA_7pointerIsNSA_11hip_rocprim3tagENSA_11use_defaultESG_EEEEPS6_NSA_18transform_iteratorINSA_8identityIsEENSC_INSA_10device_ptrIsEEEESG_SG_EENS0_5tupleIJPsSJ_EEENSR_IJSJ_SJ_EEES6_PlJS6_EEE10hipError_tPvRmT3_T4_T5_T6_T7_T9_mT8_P12ihipStream_tbDpT10_ENKUlT_T0_E_clISt17integral_constantIbLb0EES1E_IbLb1EEEEDaS1A_S1B_EUlS1A_E_NS1_11comp_targetILNS1_3genE8ELNS1_11target_archE1030ELNS1_3gpuE2ELNS1_3repE0EEENS1_30default_config_static_selectorELNS0_4arch9wavefront6targetE1EEEvT1_
	.p2align	8
	.type	_ZN7rocprim17ROCPRIM_400000_NS6detail17trampoline_kernelINS0_14default_configENS1_25partition_config_selectorILNS1_17partition_subalgoE2EsNS0_10empty_typeEbEEZZNS1_14partition_implILS5_2ELb0ES3_jN6thrust23THRUST_200600_302600_NS6detail15normal_iteratorINSA_7pointerIsNSA_11hip_rocprim3tagENSA_11use_defaultESG_EEEEPS6_NSA_18transform_iteratorINSA_8identityIsEENSC_INSA_10device_ptrIsEEEESG_SG_EENS0_5tupleIJPsSJ_EEENSR_IJSJ_SJ_EEES6_PlJS6_EEE10hipError_tPvRmT3_T4_T5_T6_T7_T9_mT8_P12ihipStream_tbDpT10_ENKUlT_T0_E_clISt17integral_constantIbLb0EES1E_IbLb1EEEEDaS1A_S1B_EUlS1A_E_NS1_11comp_targetILNS1_3genE8ELNS1_11target_archE1030ELNS1_3gpuE2ELNS1_3repE0EEENS1_30default_config_static_selectorELNS0_4arch9wavefront6targetE1EEEvT1_,@function
_ZN7rocprim17ROCPRIM_400000_NS6detail17trampoline_kernelINS0_14default_configENS1_25partition_config_selectorILNS1_17partition_subalgoE2EsNS0_10empty_typeEbEEZZNS1_14partition_implILS5_2ELb0ES3_jN6thrust23THRUST_200600_302600_NS6detail15normal_iteratorINSA_7pointerIsNSA_11hip_rocprim3tagENSA_11use_defaultESG_EEEEPS6_NSA_18transform_iteratorINSA_8identityIsEENSC_INSA_10device_ptrIsEEEESG_SG_EENS0_5tupleIJPsSJ_EEENSR_IJSJ_SJ_EEES6_PlJS6_EEE10hipError_tPvRmT3_T4_T5_T6_T7_T9_mT8_P12ihipStream_tbDpT10_ENKUlT_T0_E_clISt17integral_constantIbLb0EES1E_IbLb1EEEEDaS1A_S1B_EUlS1A_E_NS1_11comp_targetILNS1_3genE8ELNS1_11target_archE1030ELNS1_3gpuE2ELNS1_3repE0EEENS1_30default_config_static_selectorELNS0_4arch9wavefront6targetE1EEEvT1_: ; @_ZN7rocprim17ROCPRIM_400000_NS6detail17trampoline_kernelINS0_14default_configENS1_25partition_config_selectorILNS1_17partition_subalgoE2EsNS0_10empty_typeEbEEZZNS1_14partition_implILS5_2ELb0ES3_jN6thrust23THRUST_200600_302600_NS6detail15normal_iteratorINSA_7pointerIsNSA_11hip_rocprim3tagENSA_11use_defaultESG_EEEEPS6_NSA_18transform_iteratorINSA_8identityIsEENSC_INSA_10device_ptrIsEEEESG_SG_EENS0_5tupleIJPsSJ_EEENSR_IJSJ_SJ_EEES6_PlJS6_EEE10hipError_tPvRmT3_T4_T5_T6_T7_T9_mT8_P12ihipStream_tbDpT10_ENKUlT_T0_E_clISt17integral_constantIbLb0EES1E_IbLb1EEEEDaS1A_S1B_EUlS1A_E_NS1_11comp_targetILNS1_3genE8ELNS1_11target_archE1030ELNS1_3gpuE2ELNS1_3repE0EEENS1_30default_config_static_selectorELNS0_4arch9wavefront6targetE1EEEvT1_
; %bb.0:
	.section	.rodata,"a",@progbits
	.p2align	6, 0x0
	.amdhsa_kernel _ZN7rocprim17ROCPRIM_400000_NS6detail17trampoline_kernelINS0_14default_configENS1_25partition_config_selectorILNS1_17partition_subalgoE2EsNS0_10empty_typeEbEEZZNS1_14partition_implILS5_2ELb0ES3_jN6thrust23THRUST_200600_302600_NS6detail15normal_iteratorINSA_7pointerIsNSA_11hip_rocprim3tagENSA_11use_defaultESG_EEEEPS6_NSA_18transform_iteratorINSA_8identityIsEENSC_INSA_10device_ptrIsEEEESG_SG_EENS0_5tupleIJPsSJ_EEENSR_IJSJ_SJ_EEES6_PlJS6_EEE10hipError_tPvRmT3_T4_T5_T6_T7_T9_mT8_P12ihipStream_tbDpT10_ENKUlT_T0_E_clISt17integral_constantIbLb0EES1E_IbLb1EEEEDaS1A_S1B_EUlS1A_E_NS1_11comp_targetILNS1_3genE8ELNS1_11target_archE1030ELNS1_3gpuE2ELNS1_3repE0EEENS1_30default_config_static_selectorELNS0_4arch9wavefront6targetE1EEEvT1_
		.amdhsa_group_segment_fixed_size 0
		.amdhsa_private_segment_fixed_size 0
		.amdhsa_kernarg_size 144
		.amdhsa_user_sgpr_count 2
		.amdhsa_user_sgpr_dispatch_ptr 0
		.amdhsa_user_sgpr_queue_ptr 0
		.amdhsa_user_sgpr_kernarg_segment_ptr 1
		.amdhsa_user_sgpr_dispatch_id 0
		.amdhsa_user_sgpr_kernarg_preload_length 0
		.amdhsa_user_sgpr_kernarg_preload_offset 0
		.amdhsa_user_sgpr_private_segment_size 0
		.amdhsa_uses_dynamic_stack 0
		.amdhsa_enable_private_segment 0
		.amdhsa_system_sgpr_workgroup_id_x 1
		.amdhsa_system_sgpr_workgroup_id_y 0
		.amdhsa_system_sgpr_workgroup_id_z 0
		.amdhsa_system_sgpr_workgroup_info 0
		.amdhsa_system_vgpr_workitem_id 0
		.amdhsa_next_free_vgpr 1
		.amdhsa_next_free_sgpr 0
		.amdhsa_accum_offset 4
		.amdhsa_reserve_vcc 0
		.amdhsa_float_round_mode_32 0
		.amdhsa_float_round_mode_16_64 0
		.amdhsa_float_denorm_mode_32 3
		.amdhsa_float_denorm_mode_16_64 3
		.amdhsa_dx10_clamp 1
		.amdhsa_ieee_mode 1
		.amdhsa_fp16_overflow 0
		.amdhsa_tg_split 0
		.amdhsa_exception_fp_ieee_invalid_op 0
		.amdhsa_exception_fp_denorm_src 0
		.amdhsa_exception_fp_ieee_div_zero 0
		.amdhsa_exception_fp_ieee_overflow 0
		.amdhsa_exception_fp_ieee_underflow 0
		.amdhsa_exception_fp_ieee_inexact 0
		.amdhsa_exception_int_div_zero 0
	.end_amdhsa_kernel
	.section	.text._ZN7rocprim17ROCPRIM_400000_NS6detail17trampoline_kernelINS0_14default_configENS1_25partition_config_selectorILNS1_17partition_subalgoE2EsNS0_10empty_typeEbEEZZNS1_14partition_implILS5_2ELb0ES3_jN6thrust23THRUST_200600_302600_NS6detail15normal_iteratorINSA_7pointerIsNSA_11hip_rocprim3tagENSA_11use_defaultESG_EEEEPS6_NSA_18transform_iteratorINSA_8identityIsEENSC_INSA_10device_ptrIsEEEESG_SG_EENS0_5tupleIJPsSJ_EEENSR_IJSJ_SJ_EEES6_PlJS6_EEE10hipError_tPvRmT3_T4_T5_T6_T7_T9_mT8_P12ihipStream_tbDpT10_ENKUlT_T0_E_clISt17integral_constantIbLb0EES1E_IbLb1EEEEDaS1A_S1B_EUlS1A_E_NS1_11comp_targetILNS1_3genE8ELNS1_11target_archE1030ELNS1_3gpuE2ELNS1_3repE0EEENS1_30default_config_static_selectorELNS0_4arch9wavefront6targetE1EEEvT1_,"axG",@progbits,_ZN7rocprim17ROCPRIM_400000_NS6detail17trampoline_kernelINS0_14default_configENS1_25partition_config_selectorILNS1_17partition_subalgoE2EsNS0_10empty_typeEbEEZZNS1_14partition_implILS5_2ELb0ES3_jN6thrust23THRUST_200600_302600_NS6detail15normal_iteratorINSA_7pointerIsNSA_11hip_rocprim3tagENSA_11use_defaultESG_EEEEPS6_NSA_18transform_iteratorINSA_8identityIsEENSC_INSA_10device_ptrIsEEEESG_SG_EENS0_5tupleIJPsSJ_EEENSR_IJSJ_SJ_EEES6_PlJS6_EEE10hipError_tPvRmT3_T4_T5_T6_T7_T9_mT8_P12ihipStream_tbDpT10_ENKUlT_T0_E_clISt17integral_constantIbLb0EES1E_IbLb1EEEEDaS1A_S1B_EUlS1A_E_NS1_11comp_targetILNS1_3genE8ELNS1_11target_archE1030ELNS1_3gpuE2ELNS1_3repE0EEENS1_30default_config_static_selectorELNS0_4arch9wavefront6targetE1EEEvT1_,comdat
.Lfunc_end576:
	.size	_ZN7rocprim17ROCPRIM_400000_NS6detail17trampoline_kernelINS0_14default_configENS1_25partition_config_selectorILNS1_17partition_subalgoE2EsNS0_10empty_typeEbEEZZNS1_14partition_implILS5_2ELb0ES3_jN6thrust23THRUST_200600_302600_NS6detail15normal_iteratorINSA_7pointerIsNSA_11hip_rocprim3tagENSA_11use_defaultESG_EEEEPS6_NSA_18transform_iteratorINSA_8identityIsEENSC_INSA_10device_ptrIsEEEESG_SG_EENS0_5tupleIJPsSJ_EEENSR_IJSJ_SJ_EEES6_PlJS6_EEE10hipError_tPvRmT3_T4_T5_T6_T7_T9_mT8_P12ihipStream_tbDpT10_ENKUlT_T0_E_clISt17integral_constantIbLb0EES1E_IbLb1EEEEDaS1A_S1B_EUlS1A_E_NS1_11comp_targetILNS1_3genE8ELNS1_11target_archE1030ELNS1_3gpuE2ELNS1_3repE0EEENS1_30default_config_static_selectorELNS0_4arch9wavefront6targetE1EEEvT1_, .Lfunc_end576-_ZN7rocprim17ROCPRIM_400000_NS6detail17trampoline_kernelINS0_14default_configENS1_25partition_config_selectorILNS1_17partition_subalgoE2EsNS0_10empty_typeEbEEZZNS1_14partition_implILS5_2ELb0ES3_jN6thrust23THRUST_200600_302600_NS6detail15normal_iteratorINSA_7pointerIsNSA_11hip_rocprim3tagENSA_11use_defaultESG_EEEEPS6_NSA_18transform_iteratorINSA_8identityIsEENSC_INSA_10device_ptrIsEEEESG_SG_EENS0_5tupleIJPsSJ_EEENSR_IJSJ_SJ_EEES6_PlJS6_EEE10hipError_tPvRmT3_T4_T5_T6_T7_T9_mT8_P12ihipStream_tbDpT10_ENKUlT_T0_E_clISt17integral_constantIbLb0EES1E_IbLb1EEEEDaS1A_S1B_EUlS1A_E_NS1_11comp_targetILNS1_3genE8ELNS1_11target_archE1030ELNS1_3gpuE2ELNS1_3repE0EEENS1_30default_config_static_selectorELNS0_4arch9wavefront6targetE1EEEvT1_
                                        ; -- End function
	.section	.AMDGPU.csdata,"",@progbits
; Kernel info:
; codeLenInByte = 0
; NumSgprs: 6
; NumVgprs: 0
; NumAgprs: 0
; TotalNumVgprs: 0
; ScratchSize: 0
; MemoryBound: 0
; FloatMode: 240
; IeeeMode: 1
; LDSByteSize: 0 bytes/workgroup (compile time only)
; SGPRBlocks: 0
; VGPRBlocks: 0
; NumSGPRsForWavesPerEU: 6
; NumVGPRsForWavesPerEU: 1
; AccumOffset: 4
; Occupancy: 8
; WaveLimiterHint : 0
; COMPUTE_PGM_RSRC2:SCRATCH_EN: 0
; COMPUTE_PGM_RSRC2:USER_SGPR: 2
; COMPUTE_PGM_RSRC2:TRAP_HANDLER: 0
; COMPUTE_PGM_RSRC2:TGID_X_EN: 1
; COMPUTE_PGM_RSRC2:TGID_Y_EN: 0
; COMPUTE_PGM_RSRC2:TGID_Z_EN: 0
; COMPUTE_PGM_RSRC2:TIDIG_COMP_CNT: 0
; COMPUTE_PGM_RSRC3_GFX90A:ACCUM_OFFSET: 0
; COMPUTE_PGM_RSRC3_GFX90A:TG_SPLIT: 0
	.section	.text._ZN7rocprim17ROCPRIM_400000_NS6detail17trampoline_kernelINS0_14default_configENS1_25partition_config_selectorILNS1_17partition_subalgoE1ExNS0_10empty_typeEbEEZZNS1_14partition_implILS5_1ELb0ES3_jN6thrust23THRUST_200600_302600_NS6detail15normal_iteratorINSA_10device_ptrIxEEEEPS6_NSA_18transform_iteratorINSA_8identityIxEESF_NSA_11use_defaultESK_EENS0_5tupleIJSF_SF_EEENSM_IJSG_SG_EEES6_PlJS6_EEE10hipError_tPvRmT3_T4_T5_T6_T7_T9_mT8_P12ihipStream_tbDpT10_ENKUlT_T0_E_clISt17integral_constantIbLb0EES19_EEDaS14_S15_EUlS14_E_NS1_11comp_targetILNS1_3genE0ELNS1_11target_archE4294967295ELNS1_3gpuE0ELNS1_3repE0EEENS1_30default_config_static_selectorELNS0_4arch9wavefront6targetE1EEEvT1_,"axG",@progbits,_ZN7rocprim17ROCPRIM_400000_NS6detail17trampoline_kernelINS0_14default_configENS1_25partition_config_selectorILNS1_17partition_subalgoE1ExNS0_10empty_typeEbEEZZNS1_14partition_implILS5_1ELb0ES3_jN6thrust23THRUST_200600_302600_NS6detail15normal_iteratorINSA_10device_ptrIxEEEEPS6_NSA_18transform_iteratorINSA_8identityIxEESF_NSA_11use_defaultESK_EENS0_5tupleIJSF_SF_EEENSM_IJSG_SG_EEES6_PlJS6_EEE10hipError_tPvRmT3_T4_T5_T6_T7_T9_mT8_P12ihipStream_tbDpT10_ENKUlT_T0_E_clISt17integral_constantIbLb0EES19_EEDaS14_S15_EUlS14_E_NS1_11comp_targetILNS1_3genE0ELNS1_11target_archE4294967295ELNS1_3gpuE0ELNS1_3repE0EEENS1_30default_config_static_selectorELNS0_4arch9wavefront6targetE1EEEvT1_,comdat
	.protected	_ZN7rocprim17ROCPRIM_400000_NS6detail17trampoline_kernelINS0_14default_configENS1_25partition_config_selectorILNS1_17partition_subalgoE1ExNS0_10empty_typeEbEEZZNS1_14partition_implILS5_1ELb0ES3_jN6thrust23THRUST_200600_302600_NS6detail15normal_iteratorINSA_10device_ptrIxEEEEPS6_NSA_18transform_iteratorINSA_8identityIxEESF_NSA_11use_defaultESK_EENS0_5tupleIJSF_SF_EEENSM_IJSG_SG_EEES6_PlJS6_EEE10hipError_tPvRmT3_T4_T5_T6_T7_T9_mT8_P12ihipStream_tbDpT10_ENKUlT_T0_E_clISt17integral_constantIbLb0EES19_EEDaS14_S15_EUlS14_E_NS1_11comp_targetILNS1_3genE0ELNS1_11target_archE4294967295ELNS1_3gpuE0ELNS1_3repE0EEENS1_30default_config_static_selectorELNS0_4arch9wavefront6targetE1EEEvT1_ ; -- Begin function _ZN7rocprim17ROCPRIM_400000_NS6detail17trampoline_kernelINS0_14default_configENS1_25partition_config_selectorILNS1_17partition_subalgoE1ExNS0_10empty_typeEbEEZZNS1_14partition_implILS5_1ELb0ES3_jN6thrust23THRUST_200600_302600_NS6detail15normal_iteratorINSA_10device_ptrIxEEEEPS6_NSA_18transform_iteratorINSA_8identityIxEESF_NSA_11use_defaultESK_EENS0_5tupleIJSF_SF_EEENSM_IJSG_SG_EEES6_PlJS6_EEE10hipError_tPvRmT3_T4_T5_T6_T7_T9_mT8_P12ihipStream_tbDpT10_ENKUlT_T0_E_clISt17integral_constantIbLb0EES19_EEDaS14_S15_EUlS14_E_NS1_11comp_targetILNS1_3genE0ELNS1_11target_archE4294967295ELNS1_3gpuE0ELNS1_3repE0EEENS1_30default_config_static_selectorELNS0_4arch9wavefront6targetE1EEEvT1_
	.globl	_ZN7rocprim17ROCPRIM_400000_NS6detail17trampoline_kernelINS0_14default_configENS1_25partition_config_selectorILNS1_17partition_subalgoE1ExNS0_10empty_typeEbEEZZNS1_14partition_implILS5_1ELb0ES3_jN6thrust23THRUST_200600_302600_NS6detail15normal_iteratorINSA_10device_ptrIxEEEEPS6_NSA_18transform_iteratorINSA_8identityIxEESF_NSA_11use_defaultESK_EENS0_5tupleIJSF_SF_EEENSM_IJSG_SG_EEES6_PlJS6_EEE10hipError_tPvRmT3_T4_T5_T6_T7_T9_mT8_P12ihipStream_tbDpT10_ENKUlT_T0_E_clISt17integral_constantIbLb0EES19_EEDaS14_S15_EUlS14_E_NS1_11comp_targetILNS1_3genE0ELNS1_11target_archE4294967295ELNS1_3gpuE0ELNS1_3repE0EEENS1_30default_config_static_selectorELNS0_4arch9wavefront6targetE1EEEvT1_
	.p2align	8
	.type	_ZN7rocprim17ROCPRIM_400000_NS6detail17trampoline_kernelINS0_14default_configENS1_25partition_config_selectorILNS1_17partition_subalgoE1ExNS0_10empty_typeEbEEZZNS1_14partition_implILS5_1ELb0ES3_jN6thrust23THRUST_200600_302600_NS6detail15normal_iteratorINSA_10device_ptrIxEEEEPS6_NSA_18transform_iteratorINSA_8identityIxEESF_NSA_11use_defaultESK_EENS0_5tupleIJSF_SF_EEENSM_IJSG_SG_EEES6_PlJS6_EEE10hipError_tPvRmT3_T4_T5_T6_T7_T9_mT8_P12ihipStream_tbDpT10_ENKUlT_T0_E_clISt17integral_constantIbLb0EES19_EEDaS14_S15_EUlS14_E_NS1_11comp_targetILNS1_3genE0ELNS1_11target_archE4294967295ELNS1_3gpuE0ELNS1_3repE0EEENS1_30default_config_static_selectorELNS0_4arch9wavefront6targetE1EEEvT1_,@function
_ZN7rocprim17ROCPRIM_400000_NS6detail17trampoline_kernelINS0_14default_configENS1_25partition_config_selectorILNS1_17partition_subalgoE1ExNS0_10empty_typeEbEEZZNS1_14partition_implILS5_1ELb0ES3_jN6thrust23THRUST_200600_302600_NS6detail15normal_iteratorINSA_10device_ptrIxEEEEPS6_NSA_18transform_iteratorINSA_8identityIxEESF_NSA_11use_defaultESK_EENS0_5tupleIJSF_SF_EEENSM_IJSG_SG_EEES6_PlJS6_EEE10hipError_tPvRmT3_T4_T5_T6_T7_T9_mT8_P12ihipStream_tbDpT10_ENKUlT_T0_E_clISt17integral_constantIbLb0EES19_EEDaS14_S15_EUlS14_E_NS1_11comp_targetILNS1_3genE0ELNS1_11target_archE4294967295ELNS1_3gpuE0ELNS1_3repE0EEENS1_30default_config_static_selectorELNS0_4arch9wavefront6targetE1EEEvT1_: ; @_ZN7rocprim17ROCPRIM_400000_NS6detail17trampoline_kernelINS0_14default_configENS1_25partition_config_selectorILNS1_17partition_subalgoE1ExNS0_10empty_typeEbEEZZNS1_14partition_implILS5_1ELb0ES3_jN6thrust23THRUST_200600_302600_NS6detail15normal_iteratorINSA_10device_ptrIxEEEEPS6_NSA_18transform_iteratorINSA_8identityIxEESF_NSA_11use_defaultESK_EENS0_5tupleIJSF_SF_EEENSM_IJSG_SG_EEES6_PlJS6_EEE10hipError_tPvRmT3_T4_T5_T6_T7_T9_mT8_P12ihipStream_tbDpT10_ENKUlT_T0_E_clISt17integral_constantIbLb0EES19_EEDaS14_S15_EUlS14_E_NS1_11comp_targetILNS1_3genE0ELNS1_11target_archE4294967295ELNS1_3gpuE0ELNS1_3repE0EEENS1_30default_config_static_selectorELNS0_4arch9wavefront6targetE1EEEvT1_
; %bb.0:
	.section	.rodata,"a",@progbits
	.p2align	6, 0x0
	.amdhsa_kernel _ZN7rocprim17ROCPRIM_400000_NS6detail17trampoline_kernelINS0_14default_configENS1_25partition_config_selectorILNS1_17partition_subalgoE1ExNS0_10empty_typeEbEEZZNS1_14partition_implILS5_1ELb0ES3_jN6thrust23THRUST_200600_302600_NS6detail15normal_iteratorINSA_10device_ptrIxEEEEPS6_NSA_18transform_iteratorINSA_8identityIxEESF_NSA_11use_defaultESK_EENS0_5tupleIJSF_SF_EEENSM_IJSG_SG_EEES6_PlJS6_EEE10hipError_tPvRmT3_T4_T5_T6_T7_T9_mT8_P12ihipStream_tbDpT10_ENKUlT_T0_E_clISt17integral_constantIbLb0EES19_EEDaS14_S15_EUlS14_E_NS1_11comp_targetILNS1_3genE0ELNS1_11target_archE4294967295ELNS1_3gpuE0ELNS1_3repE0EEENS1_30default_config_static_selectorELNS0_4arch9wavefront6targetE1EEEvT1_
		.amdhsa_group_segment_fixed_size 0
		.amdhsa_private_segment_fixed_size 0
		.amdhsa_kernarg_size 128
		.amdhsa_user_sgpr_count 2
		.amdhsa_user_sgpr_dispatch_ptr 0
		.amdhsa_user_sgpr_queue_ptr 0
		.amdhsa_user_sgpr_kernarg_segment_ptr 1
		.amdhsa_user_sgpr_dispatch_id 0
		.amdhsa_user_sgpr_kernarg_preload_length 0
		.amdhsa_user_sgpr_kernarg_preload_offset 0
		.amdhsa_user_sgpr_private_segment_size 0
		.amdhsa_uses_dynamic_stack 0
		.amdhsa_enable_private_segment 0
		.amdhsa_system_sgpr_workgroup_id_x 1
		.amdhsa_system_sgpr_workgroup_id_y 0
		.amdhsa_system_sgpr_workgroup_id_z 0
		.amdhsa_system_sgpr_workgroup_info 0
		.amdhsa_system_vgpr_workitem_id 0
		.amdhsa_next_free_vgpr 1
		.amdhsa_next_free_sgpr 0
		.amdhsa_accum_offset 4
		.amdhsa_reserve_vcc 0
		.amdhsa_float_round_mode_32 0
		.amdhsa_float_round_mode_16_64 0
		.amdhsa_float_denorm_mode_32 3
		.amdhsa_float_denorm_mode_16_64 3
		.amdhsa_dx10_clamp 1
		.amdhsa_ieee_mode 1
		.amdhsa_fp16_overflow 0
		.amdhsa_tg_split 0
		.amdhsa_exception_fp_ieee_invalid_op 0
		.amdhsa_exception_fp_denorm_src 0
		.amdhsa_exception_fp_ieee_div_zero 0
		.amdhsa_exception_fp_ieee_overflow 0
		.amdhsa_exception_fp_ieee_underflow 0
		.amdhsa_exception_fp_ieee_inexact 0
		.amdhsa_exception_int_div_zero 0
	.end_amdhsa_kernel
	.section	.text._ZN7rocprim17ROCPRIM_400000_NS6detail17trampoline_kernelINS0_14default_configENS1_25partition_config_selectorILNS1_17partition_subalgoE1ExNS0_10empty_typeEbEEZZNS1_14partition_implILS5_1ELb0ES3_jN6thrust23THRUST_200600_302600_NS6detail15normal_iteratorINSA_10device_ptrIxEEEEPS6_NSA_18transform_iteratorINSA_8identityIxEESF_NSA_11use_defaultESK_EENS0_5tupleIJSF_SF_EEENSM_IJSG_SG_EEES6_PlJS6_EEE10hipError_tPvRmT3_T4_T5_T6_T7_T9_mT8_P12ihipStream_tbDpT10_ENKUlT_T0_E_clISt17integral_constantIbLb0EES19_EEDaS14_S15_EUlS14_E_NS1_11comp_targetILNS1_3genE0ELNS1_11target_archE4294967295ELNS1_3gpuE0ELNS1_3repE0EEENS1_30default_config_static_selectorELNS0_4arch9wavefront6targetE1EEEvT1_,"axG",@progbits,_ZN7rocprim17ROCPRIM_400000_NS6detail17trampoline_kernelINS0_14default_configENS1_25partition_config_selectorILNS1_17partition_subalgoE1ExNS0_10empty_typeEbEEZZNS1_14partition_implILS5_1ELb0ES3_jN6thrust23THRUST_200600_302600_NS6detail15normal_iteratorINSA_10device_ptrIxEEEEPS6_NSA_18transform_iteratorINSA_8identityIxEESF_NSA_11use_defaultESK_EENS0_5tupleIJSF_SF_EEENSM_IJSG_SG_EEES6_PlJS6_EEE10hipError_tPvRmT3_T4_T5_T6_T7_T9_mT8_P12ihipStream_tbDpT10_ENKUlT_T0_E_clISt17integral_constantIbLb0EES19_EEDaS14_S15_EUlS14_E_NS1_11comp_targetILNS1_3genE0ELNS1_11target_archE4294967295ELNS1_3gpuE0ELNS1_3repE0EEENS1_30default_config_static_selectorELNS0_4arch9wavefront6targetE1EEEvT1_,comdat
.Lfunc_end577:
	.size	_ZN7rocprim17ROCPRIM_400000_NS6detail17trampoline_kernelINS0_14default_configENS1_25partition_config_selectorILNS1_17partition_subalgoE1ExNS0_10empty_typeEbEEZZNS1_14partition_implILS5_1ELb0ES3_jN6thrust23THRUST_200600_302600_NS6detail15normal_iteratorINSA_10device_ptrIxEEEEPS6_NSA_18transform_iteratorINSA_8identityIxEESF_NSA_11use_defaultESK_EENS0_5tupleIJSF_SF_EEENSM_IJSG_SG_EEES6_PlJS6_EEE10hipError_tPvRmT3_T4_T5_T6_T7_T9_mT8_P12ihipStream_tbDpT10_ENKUlT_T0_E_clISt17integral_constantIbLb0EES19_EEDaS14_S15_EUlS14_E_NS1_11comp_targetILNS1_3genE0ELNS1_11target_archE4294967295ELNS1_3gpuE0ELNS1_3repE0EEENS1_30default_config_static_selectorELNS0_4arch9wavefront6targetE1EEEvT1_, .Lfunc_end577-_ZN7rocprim17ROCPRIM_400000_NS6detail17trampoline_kernelINS0_14default_configENS1_25partition_config_selectorILNS1_17partition_subalgoE1ExNS0_10empty_typeEbEEZZNS1_14partition_implILS5_1ELb0ES3_jN6thrust23THRUST_200600_302600_NS6detail15normal_iteratorINSA_10device_ptrIxEEEEPS6_NSA_18transform_iteratorINSA_8identityIxEESF_NSA_11use_defaultESK_EENS0_5tupleIJSF_SF_EEENSM_IJSG_SG_EEES6_PlJS6_EEE10hipError_tPvRmT3_T4_T5_T6_T7_T9_mT8_P12ihipStream_tbDpT10_ENKUlT_T0_E_clISt17integral_constantIbLb0EES19_EEDaS14_S15_EUlS14_E_NS1_11comp_targetILNS1_3genE0ELNS1_11target_archE4294967295ELNS1_3gpuE0ELNS1_3repE0EEENS1_30default_config_static_selectorELNS0_4arch9wavefront6targetE1EEEvT1_
                                        ; -- End function
	.section	.AMDGPU.csdata,"",@progbits
; Kernel info:
; codeLenInByte = 0
; NumSgprs: 6
; NumVgprs: 0
; NumAgprs: 0
; TotalNumVgprs: 0
; ScratchSize: 0
; MemoryBound: 0
; FloatMode: 240
; IeeeMode: 1
; LDSByteSize: 0 bytes/workgroup (compile time only)
; SGPRBlocks: 0
; VGPRBlocks: 0
; NumSGPRsForWavesPerEU: 6
; NumVGPRsForWavesPerEU: 1
; AccumOffset: 4
; Occupancy: 8
; WaveLimiterHint : 0
; COMPUTE_PGM_RSRC2:SCRATCH_EN: 0
; COMPUTE_PGM_RSRC2:USER_SGPR: 2
; COMPUTE_PGM_RSRC2:TRAP_HANDLER: 0
; COMPUTE_PGM_RSRC2:TGID_X_EN: 1
; COMPUTE_PGM_RSRC2:TGID_Y_EN: 0
; COMPUTE_PGM_RSRC2:TGID_Z_EN: 0
; COMPUTE_PGM_RSRC2:TIDIG_COMP_CNT: 0
; COMPUTE_PGM_RSRC3_GFX90A:ACCUM_OFFSET: 0
; COMPUTE_PGM_RSRC3_GFX90A:TG_SPLIT: 0
	.section	.text._ZN7rocprim17ROCPRIM_400000_NS6detail17trampoline_kernelINS0_14default_configENS1_25partition_config_selectorILNS1_17partition_subalgoE1ExNS0_10empty_typeEbEEZZNS1_14partition_implILS5_1ELb0ES3_jN6thrust23THRUST_200600_302600_NS6detail15normal_iteratorINSA_10device_ptrIxEEEEPS6_NSA_18transform_iteratorINSA_8identityIxEESF_NSA_11use_defaultESK_EENS0_5tupleIJSF_SF_EEENSM_IJSG_SG_EEES6_PlJS6_EEE10hipError_tPvRmT3_T4_T5_T6_T7_T9_mT8_P12ihipStream_tbDpT10_ENKUlT_T0_E_clISt17integral_constantIbLb0EES19_EEDaS14_S15_EUlS14_E_NS1_11comp_targetILNS1_3genE5ELNS1_11target_archE942ELNS1_3gpuE9ELNS1_3repE0EEENS1_30default_config_static_selectorELNS0_4arch9wavefront6targetE1EEEvT1_,"axG",@progbits,_ZN7rocprim17ROCPRIM_400000_NS6detail17trampoline_kernelINS0_14default_configENS1_25partition_config_selectorILNS1_17partition_subalgoE1ExNS0_10empty_typeEbEEZZNS1_14partition_implILS5_1ELb0ES3_jN6thrust23THRUST_200600_302600_NS6detail15normal_iteratorINSA_10device_ptrIxEEEEPS6_NSA_18transform_iteratorINSA_8identityIxEESF_NSA_11use_defaultESK_EENS0_5tupleIJSF_SF_EEENSM_IJSG_SG_EEES6_PlJS6_EEE10hipError_tPvRmT3_T4_T5_T6_T7_T9_mT8_P12ihipStream_tbDpT10_ENKUlT_T0_E_clISt17integral_constantIbLb0EES19_EEDaS14_S15_EUlS14_E_NS1_11comp_targetILNS1_3genE5ELNS1_11target_archE942ELNS1_3gpuE9ELNS1_3repE0EEENS1_30default_config_static_selectorELNS0_4arch9wavefront6targetE1EEEvT1_,comdat
	.protected	_ZN7rocprim17ROCPRIM_400000_NS6detail17trampoline_kernelINS0_14default_configENS1_25partition_config_selectorILNS1_17partition_subalgoE1ExNS0_10empty_typeEbEEZZNS1_14partition_implILS5_1ELb0ES3_jN6thrust23THRUST_200600_302600_NS6detail15normal_iteratorINSA_10device_ptrIxEEEEPS6_NSA_18transform_iteratorINSA_8identityIxEESF_NSA_11use_defaultESK_EENS0_5tupleIJSF_SF_EEENSM_IJSG_SG_EEES6_PlJS6_EEE10hipError_tPvRmT3_T4_T5_T6_T7_T9_mT8_P12ihipStream_tbDpT10_ENKUlT_T0_E_clISt17integral_constantIbLb0EES19_EEDaS14_S15_EUlS14_E_NS1_11comp_targetILNS1_3genE5ELNS1_11target_archE942ELNS1_3gpuE9ELNS1_3repE0EEENS1_30default_config_static_selectorELNS0_4arch9wavefront6targetE1EEEvT1_ ; -- Begin function _ZN7rocprim17ROCPRIM_400000_NS6detail17trampoline_kernelINS0_14default_configENS1_25partition_config_selectorILNS1_17partition_subalgoE1ExNS0_10empty_typeEbEEZZNS1_14partition_implILS5_1ELb0ES3_jN6thrust23THRUST_200600_302600_NS6detail15normal_iteratorINSA_10device_ptrIxEEEEPS6_NSA_18transform_iteratorINSA_8identityIxEESF_NSA_11use_defaultESK_EENS0_5tupleIJSF_SF_EEENSM_IJSG_SG_EEES6_PlJS6_EEE10hipError_tPvRmT3_T4_T5_T6_T7_T9_mT8_P12ihipStream_tbDpT10_ENKUlT_T0_E_clISt17integral_constantIbLb0EES19_EEDaS14_S15_EUlS14_E_NS1_11comp_targetILNS1_3genE5ELNS1_11target_archE942ELNS1_3gpuE9ELNS1_3repE0EEENS1_30default_config_static_selectorELNS0_4arch9wavefront6targetE1EEEvT1_
	.globl	_ZN7rocprim17ROCPRIM_400000_NS6detail17trampoline_kernelINS0_14default_configENS1_25partition_config_selectorILNS1_17partition_subalgoE1ExNS0_10empty_typeEbEEZZNS1_14partition_implILS5_1ELb0ES3_jN6thrust23THRUST_200600_302600_NS6detail15normal_iteratorINSA_10device_ptrIxEEEEPS6_NSA_18transform_iteratorINSA_8identityIxEESF_NSA_11use_defaultESK_EENS0_5tupleIJSF_SF_EEENSM_IJSG_SG_EEES6_PlJS6_EEE10hipError_tPvRmT3_T4_T5_T6_T7_T9_mT8_P12ihipStream_tbDpT10_ENKUlT_T0_E_clISt17integral_constantIbLb0EES19_EEDaS14_S15_EUlS14_E_NS1_11comp_targetILNS1_3genE5ELNS1_11target_archE942ELNS1_3gpuE9ELNS1_3repE0EEENS1_30default_config_static_selectorELNS0_4arch9wavefront6targetE1EEEvT1_
	.p2align	8
	.type	_ZN7rocprim17ROCPRIM_400000_NS6detail17trampoline_kernelINS0_14default_configENS1_25partition_config_selectorILNS1_17partition_subalgoE1ExNS0_10empty_typeEbEEZZNS1_14partition_implILS5_1ELb0ES3_jN6thrust23THRUST_200600_302600_NS6detail15normal_iteratorINSA_10device_ptrIxEEEEPS6_NSA_18transform_iteratorINSA_8identityIxEESF_NSA_11use_defaultESK_EENS0_5tupleIJSF_SF_EEENSM_IJSG_SG_EEES6_PlJS6_EEE10hipError_tPvRmT3_T4_T5_T6_T7_T9_mT8_P12ihipStream_tbDpT10_ENKUlT_T0_E_clISt17integral_constantIbLb0EES19_EEDaS14_S15_EUlS14_E_NS1_11comp_targetILNS1_3genE5ELNS1_11target_archE942ELNS1_3gpuE9ELNS1_3repE0EEENS1_30default_config_static_selectorELNS0_4arch9wavefront6targetE1EEEvT1_,@function
_ZN7rocprim17ROCPRIM_400000_NS6detail17trampoline_kernelINS0_14default_configENS1_25partition_config_selectorILNS1_17partition_subalgoE1ExNS0_10empty_typeEbEEZZNS1_14partition_implILS5_1ELb0ES3_jN6thrust23THRUST_200600_302600_NS6detail15normal_iteratorINSA_10device_ptrIxEEEEPS6_NSA_18transform_iteratorINSA_8identityIxEESF_NSA_11use_defaultESK_EENS0_5tupleIJSF_SF_EEENSM_IJSG_SG_EEES6_PlJS6_EEE10hipError_tPvRmT3_T4_T5_T6_T7_T9_mT8_P12ihipStream_tbDpT10_ENKUlT_T0_E_clISt17integral_constantIbLb0EES19_EEDaS14_S15_EUlS14_E_NS1_11comp_targetILNS1_3genE5ELNS1_11target_archE942ELNS1_3gpuE9ELNS1_3repE0EEENS1_30default_config_static_selectorELNS0_4arch9wavefront6targetE1EEEvT1_: ; @_ZN7rocprim17ROCPRIM_400000_NS6detail17trampoline_kernelINS0_14default_configENS1_25partition_config_selectorILNS1_17partition_subalgoE1ExNS0_10empty_typeEbEEZZNS1_14partition_implILS5_1ELb0ES3_jN6thrust23THRUST_200600_302600_NS6detail15normal_iteratorINSA_10device_ptrIxEEEEPS6_NSA_18transform_iteratorINSA_8identityIxEESF_NSA_11use_defaultESK_EENS0_5tupleIJSF_SF_EEENSM_IJSG_SG_EEES6_PlJS6_EEE10hipError_tPvRmT3_T4_T5_T6_T7_T9_mT8_P12ihipStream_tbDpT10_ENKUlT_T0_E_clISt17integral_constantIbLb0EES19_EEDaS14_S15_EUlS14_E_NS1_11comp_targetILNS1_3genE5ELNS1_11target_archE942ELNS1_3gpuE9ELNS1_3repE0EEENS1_30default_config_static_selectorELNS0_4arch9wavefront6targetE1EEEvT1_
; %bb.0:
	s_load_dwordx2 s[4:5], s[0:1], 0x60
	s_load_dwordx4 s[24:27], s[0:1], 0x8
	s_load_dwordx2 s[6:7], s[0:1], 0x20
	s_load_dwordx4 s[20:23], s[0:1], 0x50
	s_load_dword s3, s[0:1], 0x78
	s_waitcnt lgkmcnt(0)
	v_mov_b32_e32 v3, s5
	s_lshl_b64 s[8:9], s[26:27], 3
	s_add_u32 s12, s24, s8
	s_addc_u32 s13, s25, s9
	s_add_i32 s14, s3, -1
	s_mulk_i32 s3, 0xe00
	s_add_i32 s5, s3, s26
	s_sub_i32 s33, s4, s5
	s_addk_i32 s33, 0xe00
	v_mov_b32_e32 v2, s4
	s_add_u32 s4, s26, s3
	s_addc_u32 s5, s27, 0
	s_cmp_eq_u32 s2, s14
	s_load_dwordx2 s[28:29], s[22:23], 0x0
	s_cselect_b64 s[22:23], -1, 0
	s_cmp_lg_u32 s2, s14
	s_mul_i32 s10, s2, 0xe00
	s_mov_b32 s11, 0
	v_cmp_lt_u64_e32 vcc, s[4:5], v[2:3]
	s_cselect_b64 s[4:5], -1, 0
	s_or_b64 s[24:25], s[4:5], vcc
	s_lshl_b64 s[30:31], s[10:11], 3
	s_add_u32 s10, s12, s30
	s_addc_u32 s11, s13, s31
	s_mov_b64 s[4:5], -1
	s_and_b64 vcc, exec, s[24:25]
	v_lshlrev_b32_e32 v18, 3, v0
	s_cbranch_vccz .LBB578_2
; %bb.1:
	v_mov_b32_e32 v19, 0
	v_lshl_add_u64 v[2:3], s[10:11], 0, v[18:19]
	v_add_co_u32_e32 v4, vcc, 0x1000, v2
	s_mov_b64 s[4:5], 0
	s_nop 0
	v_addc_co_u32_e32 v5, vcc, 0, v3, vcc
	v_add_co_u32_e32 v6, vcc, 0x2000, v2
	s_nop 1
	v_addc_co_u32_e32 v7, vcc, 0, v3, vcc
	v_add_co_u32_e32 v8, vcc, 0x3000, v2
	s_nop 1
	v_addc_co_u32_e32 v9, vcc, 0, v3, vcc
	flat_load_dwordx2 v[10:11], v[2:3]
	flat_load_dwordx2 v[12:13], v[4:5]
	;; [unrolled: 1-line block ×4, first 2 shown]
	v_add_co_u32_e32 v4, vcc, 0x4000, v2
	s_nop 1
	v_addc_co_u32_e32 v5, vcc, 0, v3, vcc
	v_add_co_u32_e32 v6, vcc, 0x5000, v2
	s_nop 1
	v_addc_co_u32_e32 v7, vcc, 0, v3, vcc
	;; [unrolled: 3-line block ×3, first 2 shown]
	flat_load_dwordx2 v[8:9], v[4:5]
	flat_load_dwordx2 v[20:21], v[6:7]
	;; [unrolled: 1-line block ×3, first 2 shown]
	s_waitcnt vmcnt(0) lgkmcnt(0)
	ds_write2st64_b64 v18, v[10:11], v[12:13] offset1:8
	ds_write2st64_b64 v18, v[14:15], v[16:17] offset0:16 offset1:24
	ds_write2st64_b64 v18, v[8:9], v[20:21] offset0:32 offset1:40
	ds_write_b64 v18, v[22:23] offset:24576
	s_waitcnt lgkmcnt(0)
	s_barrier
.LBB578_2:
	s_andn2_b64 vcc, exec, s[4:5]
	v_cmp_gt_u32_e64 s[4:5], s33, v0
	s_cbranch_vccnz .LBB578_18
; %bb.3:
                                        ; implicit-def: $vgpr2_vgpr3_vgpr4_vgpr5_vgpr6_vgpr7_vgpr8_vgpr9_vgpr10_vgpr11_vgpr12_vgpr13_vgpr14_vgpr15_vgpr16_vgpr17
	s_and_saveexec_b64 s[12:13], s[4:5]
	s_cbranch_execz .LBB578_5
; %bb.4:
	v_mov_b32_e32 v19, 0
	v_lshl_add_u64 v[2:3], s[10:11], 0, v[18:19]
	flat_load_dwordx2 v[2:3], v[2:3]
.LBB578_5:
	s_or_b64 exec, exec, s[12:13]
	v_or_b32_e32 v1, 0x200, v0
	v_cmp_gt_u32_e32 vcc, s33, v1
	s_and_saveexec_b64 s[4:5], vcc
	s_cbranch_execz .LBB578_7
; %bb.6:
	v_lshlrev_b32_e32 v4, 3, v1
	v_mov_b32_e32 v5, 0
	v_lshl_add_u64 v[4:5], s[10:11], 0, v[4:5]
	flat_load_dwordx2 v[4:5], v[4:5]
.LBB578_7:
	s_or_b64 exec, exec, s[4:5]
	v_or_b32_e32 v1, 0x400, v0
	v_cmp_gt_u32_e32 vcc, s33, v1
	s_and_saveexec_b64 s[4:5], vcc
	s_cbranch_execz .LBB578_9
; %bb.8:
	v_lshlrev_b32_e32 v6, 3, v1
	v_mov_b32_e32 v7, 0
	v_lshl_add_u64 v[6:7], s[10:11], 0, v[6:7]
	flat_load_dwordx2 v[6:7], v[6:7]
.LBB578_9:
	s_or_b64 exec, exec, s[4:5]
	v_or_b32_e32 v1, 0x600, v0
	v_cmp_gt_u32_e32 vcc, s33, v1
	s_and_saveexec_b64 s[4:5], vcc
	s_cbranch_execz .LBB578_11
; %bb.10:
	v_lshlrev_b32_e32 v8, 3, v1
	v_mov_b32_e32 v9, 0
	v_lshl_add_u64 v[8:9], s[10:11], 0, v[8:9]
	flat_load_dwordx2 v[8:9], v[8:9]
.LBB578_11:
	s_or_b64 exec, exec, s[4:5]
	v_or_b32_e32 v1, 0x800, v0
	v_cmp_gt_u32_e32 vcc, s33, v1
	s_and_saveexec_b64 s[4:5], vcc
	s_cbranch_execz .LBB578_13
; %bb.12:
	v_lshlrev_b32_e32 v10, 3, v1
	v_mov_b32_e32 v11, 0
	v_lshl_add_u64 v[10:11], s[10:11], 0, v[10:11]
	flat_load_dwordx2 v[10:11], v[10:11]
.LBB578_13:
	s_or_b64 exec, exec, s[4:5]
	v_or_b32_e32 v1, 0xa00, v0
	v_cmp_gt_u32_e32 vcc, s33, v1
	s_and_saveexec_b64 s[4:5], vcc
	s_cbranch_execz .LBB578_15
; %bb.14:
	v_lshlrev_b32_e32 v12, 3, v1
	v_mov_b32_e32 v13, 0
	v_lshl_add_u64 v[12:13], s[10:11], 0, v[12:13]
	flat_load_dwordx2 v[12:13], v[12:13]
.LBB578_15:
	s_or_b64 exec, exec, s[4:5]
	v_or_b32_e32 v1, 0xc00, v0
	v_cmp_gt_u32_e32 vcc, s33, v1
	s_and_saveexec_b64 s[4:5], vcc
	s_cbranch_execz .LBB578_17
; %bb.16:
	v_lshlrev_b32_e32 v14, 3, v1
	v_mov_b32_e32 v15, 0
	v_lshl_add_u64 v[14:15], s[10:11], 0, v[14:15]
	flat_load_dwordx2 v[14:15], v[14:15]
.LBB578_17:
	s_or_b64 exec, exec, s[4:5]
	s_waitcnt vmcnt(0) lgkmcnt(0)
	ds_write2st64_b64 v18, v[2:3], v[4:5] offset1:8
	ds_write2st64_b64 v18, v[6:7], v[8:9] offset0:16 offset1:24
	ds_write2st64_b64 v18, v[10:11], v[12:13] offset0:32 offset1:40
	ds_write_b64 v18, v[14:15] offset:24576
	s_waitcnt lgkmcnt(0)
	s_barrier
.LBB578_18:
	v_mul_u32_u24_e32 v1, 7, v0
	v_lshlrev_b32_e32 v16, 3, v1
	s_waitcnt lgkmcnt(0)
	ds_read2_b64 v[10:13], v16 offset1:1
	ds_read2_b64 v[6:9], v16 offset0:2 offset1:3
	ds_read2_b64 v[2:5], v16 offset0:4 offset1:5
	ds_read_b64 v[14:15], v16 offset:48
	s_add_u32 s3, s6, s8
	s_addc_u32 s5, s7, s9
	s_add_u32 s4, s3, s30
	s_addc_u32 s5, s5, s31
	s_mov_b64 s[6:7], -1
	s_and_b64 vcc, exec, s[24:25]
	s_waitcnt lgkmcnt(0)
	s_barrier
	s_cbranch_vccz .LBB578_20
; %bb.19:
	v_mov_b32_e32 v19, 0
	v_lshl_add_u64 v[20:21], s[4:5], 0, v[18:19]
	v_add_co_u32_e32 v24, vcc, 0x1000, v20
	global_load_dwordx2 v[22:23], v18, s[4:5]
	s_nop 0
	v_addc_co_u32_e32 v25, vcc, 0, v21, vcc
	v_add_co_u32_e32 v26, vcc, 0x2000, v20
	s_mov_b64 s[6:7], 0
	s_nop 0
	v_addc_co_u32_e32 v27, vcc, 0, v21, vcc
	v_add_co_u32_e32 v28, vcc, 0x3000, v20
	s_nop 1
	v_addc_co_u32_e32 v29, vcc, 0, v21, vcc
	v_add_co_u32_e32 v30, vcc, 0x4000, v20
	s_nop 1
	v_addc_co_u32_e32 v31, vcc, 0, v21, vcc
	global_load_dwordx2 v[32:33], v[24:25], off
	global_load_dwordx2 v[34:35], v[26:27], off
	;; [unrolled: 1-line block ×4, first 2 shown]
	v_add_co_u32_e32 v24, vcc, 0x5000, v20
	s_nop 1
	v_addc_co_u32_e32 v25, vcc, 0, v21, vcc
	v_add_co_u32_e32 v20, vcc, 0x6000, v20
	global_load_dwordx2 v[24:25], v[24:25], off
	s_nop 0
	v_addc_co_u32_e32 v21, vcc, 0, v21, vcc
	global_load_dwordx2 v[20:21], v[20:21], off
	s_waitcnt vmcnt(6)
	v_cmp_ne_u64_e32 vcc, 0, v[22:23]
	s_nop 1
	v_cndmask_b32_e64 v17, 0, 1, vcc
	ds_write_b8 v0, v17
	s_waitcnt vmcnt(5)
	v_cmp_ne_u64_e32 vcc, 0, v[32:33]
	s_nop 1
	v_cndmask_b32_e64 v17, 0, 1, vcc
	s_waitcnt vmcnt(4)
	v_cmp_ne_u64_e32 vcc, 0, v[34:35]
	ds_write_b8 v0, v17 offset:512
	s_nop 0
	v_cndmask_b32_e64 v19, 0, 1, vcc
	s_waitcnt vmcnt(3)
	v_cmp_ne_u64_e32 vcc, 0, v[36:37]
	ds_write_b8 v0, v19 offset:1024
	;; [unrolled: 5-line block ×4, first 2 shown]
	s_nop 0
	v_cndmask_b32_e64 v17, 0, 1, vcc
	s_waitcnt vmcnt(0)
	v_cmp_ne_u64_e32 vcc, 0, v[20:21]
	s_nop 1
	v_cndmask_b32_e64 v19, 0, 1, vcc
	ds_write_b8 v0, v17 offset:2560
	ds_write_b8 v0, v19 offset:3072
	s_waitcnt lgkmcnt(0)
	s_barrier
.LBB578_20:
	s_load_dwordx2 s[34:35], s[0:1], 0x70
	s_andn2_b64 vcc, exec, s[6:7]
	s_cbranch_vccnz .LBB578_36
; %bb.21:
	v_cmp_gt_u32_e32 vcc, s33, v0
	v_mov_b32_e32 v17, 0
	v_mov_b32_e32 v19, 0
	s_and_saveexec_b64 s[6:7], vcc
	s_cbranch_execz .LBB578_23
; %bb.22:
	global_load_dwordx2 v[20:21], v18, s[4:5]
	s_waitcnt vmcnt(0)
	v_cmp_ne_u64_e32 vcc, 0, v[20:21]
	s_nop 1
	v_cndmask_b32_e64 v19, 0, 1, vcc
.LBB578_23:
	s_or_b64 exec, exec, s[6:7]
	v_or_b32_e32 v20, 0x200, v0
	v_cmp_gt_u32_e32 vcc, s33, v20
	s_and_saveexec_b64 s[6:7], vcc
	s_cbranch_execz .LBB578_25
; %bb.24:
	v_lshlrev_b32_e32 v17, 3, v20
	global_load_dwordx2 v[20:21], v17, s[4:5]
	s_waitcnt vmcnt(0)
	v_cmp_ne_u64_e32 vcc, 0, v[20:21]
	s_nop 1
	v_cndmask_b32_e64 v17, 0, 1, vcc
.LBB578_25:
	s_or_b64 exec, exec, s[6:7]
	v_or_b32_e32 v22, 0x400, v0
	v_cmp_gt_u32_e32 vcc, s33, v22
	v_mov_b32_e32 v20, 0
	v_mov_b32_e32 v21, 0
	s_and_saveexec_b64 s[6:7], vcc
	s_cbranch_execz .LBB578_27
; %bb.26:
	v_lshlrev_b32_e32 v21, 3, v22
	global_load_dwordx2 v[22:23], v21, s[4:5]
	s_waitcnt vmcnt(0)
	v_cmp_ne_u64_e32 vcc, 0, v[22:23]
	s_nop 1
	v_cndmask_b32_e64 v21, 0, 1, vcc
.LBB578_27:
	s_or_b64 exec, exec, s[6:7]
	v_or_b32_e32 v22, 0x600, v0
	v_cmp_gt_u32_e32 vcc, s33, v22
	s_and_saveexec_b64 s[6:7], vcc
	s_cbranch_execz .LBB578_29
; %bb.28:
	v_lshlrev_b32_e32 v20, 3, v22
	global_load_dwordx2 v[22:23], v20, s[4:5]
	s_waitcnt vmcnt(0)
	v_cmp_ne_u64_e32 vcc, 0, v[22:23]
	s_nop 1
	v_cndmask_b32_e64 v20, 0, 1, vcc
.LBB578_29:
	s_or_b64 exec, exec, s[6:7]
	v_or_b32_e32 v24, 0x800, v0
	v_cmp_gt_u32_e32 vcc, s33, v24
	v_mov_b32_e32 v22, 0
	v_mov_b32_e32 v23, 0
	s_and_saveexec_b64 s[6:7], vcc
	s_cbranch_execz .LBB578_31
; %bb.30:
	v_lshlrev_b32_e32 v23, 3, v24
	global_load_dwordx2 v[24:25], v23, s[4:5]
	s_waitcnt vmcnt(0)
	v_cmp_ne_u64_e32 vcc, 0, v[24:25]
	s_nop 1
	v_cndmask_b32_e64 v23, 0, 1, vcc
.LBB578_31:
	s_or_b64 exec, exec, s[6:7]
	v_or_b32_e32 v24, 0xa00, v0
	v_cmp_gt_u32_e32 vcc, s33, v24
	s_and_saveexec_b64 s[6:7], vcc
	s_cbranch_execz .LBB578_33
; %bb.32:
	v_lshlrev_b32_e32 v22, 3, v24
	global_load_dwordx2 v[24:25], v22, s[4:5]
	s_waitcnt vmcnt(0)
	v_cmp_ne_u64_e32 vcc, 0, v[24:25]
	s_nop 1
	v_cndmask_b32_e64 v22, 0, 1, vcc
.LBB578_33:
	s_or_b64 exec, exec, s[6:7]
	v_or_b32_e32 v25, 0xc00, v0
	v_cmp_gt_u32_e32 vcc, s33, v25
	v_mov_b32_e32 v24, 0
	s_and_saveexec_b64 s[6:7], vcc
	s_cbranch_execz .LBB578_35
; %bb.34:
	v_lshlrev_b32_e32 v24, 3, v25
	global_load_dwordx2 v[24:25], v24, s[4:5]
	s_waitcnt vmcnt(0)
	v_cmp_ne_u64_e32 vcc, 0, v[24:25]
	s_nop 1
	v_cndmask_b32_e64 v24, 0, 1, vcc
.LBB578_35:
	s_or_b64 exec, exec, s[6:7]
	ds_write_b8 v0, v19
	ds_write_b8 v0, v17 offset:512
	ds_write_b8 v0, v21 offset:1024
	ds_write_b8 v0, v20 offset:1536
	ds_write_b8 v0, v23 offset:2048
	ds_write_b8 v0, v22 offset:2560
	ds_write_b8 v0, v24 offset:3072
	s_waitcnt lgkmcnt(0)
	s_barrier
.LBB578_36:
	s_movk_i32 s3, 0xffcf
	v_mad_i32_i24 v35, v0, s3, v16
	s_waitcnt lgkmcnt(0)
	ds_read_u8 v16, v35
	ds_read_u8 v17, v35 offset:1
	ds_read_u8 v19, v35 offset:2
	;; [unrolled: 1-line block ×6, first 2 shown]
	s_waitcnt lgkmcnt(6)
	v_and_b32_e32 v33, 1, v16
	s_waitcnt lgkmcnt(5)
	v_and_b32_e32 v32, 1, v17
	;; [unrolled: 2-line block ×5, first 2 shown]
	v_add3_u32 v16, v32, v33, v31
	s_waitcnt lgkmcnt(1)
	v_and_b32_e32 v28, 1, v22
	s_waitcnt lgkmcnt(0)
	v_and_b32_e32 v19, 1, v23
	v_add3_u32 v16, v16, v30, v29
	v_add3_u32 v37, v16, v28, v19
	v_mbcnt_lo_u32_b32 v16, -1, 0
	v_mbcnt_hi_u32_b32 v34, -1, v16
	v_and_b32_e32 v16, 15, v34
	v_cmp_eq_u32_e64 s[14:15], 0, v16
	v_cmp_lt_u32_e64 s[12:13], 1, v16
	v_cmp_lt_u32_e64 s[10:11], 3, v16
	;; [unrolled: 1-line block ×3, first 2 shown]
	v_and_b32_e32 v16, 16, v34
	v_cmp_eq_u32_e64 s[6:7], 0, v16
	v_or_b32_e32 v16, 63, v0
	s_cmp_lg_u32 s2, 0
	v_cmp_lt_u32_e64 s[18:19], 31, v34
	v_lshrrev_b32_e32 v36, 6, v0
	v_cmp_eq_u32_e64 s[4:5], v16, v0
	s_barrier
	s_cbranch_scc0 .LBB578_63
; %bb.37:
	v_mov_b32_dpp v16, v37 row_shr:1 row_mask:0xf bank_mask:0xf
	v_cndmask_b32_e64 v16, v16, 0, s[14:15]
	v_add_u32_e32 v16, v16, v37
	s_nop 1
	v_mov_b32_dpp v17, v16 row_shr:2 row_mask:0xf bank_mask:0xf
	v_cndmask_b32_e64 v17, 0, v17, s[12:13]
	v_add_u32_e32 v16, v16, v17
	s_nop 1
	;; [unrolled: 4-line block ×4, first 2 shown]
	v_mov_b32_dpp v17, v16 row_bcast:15 row_mask:0xf bank_mask:0xf
	v_cndmask_b32_e64 v17, v17, 0, s[6:7]
	v_add_u32_e32 v16, v16, v17
	s_nop 1
	v_mov_b32_dpp v17, v16 row_bcast:31 row_mask:0xf bank_mask:0xf
	v_cndmask_b32_e64 v17, 0, v17, s[18:19]
	v_add_u32_e32 v16, v16, v17
	s_and_saveexec_b64 s[16:17], s[4:5]
	s_cbranch_execz .LBB578_39
; %bb.38:
	v_lshlrev_b32_e32 v17, 2, v36
	ds_write_b32 v17, v16
.LBB578_39:
	s_or_b64 exec, exec, s[16:17]
	v_cmp_gt_u32_e32 vcc, 8, v0
	s_waitcnt lgkmcnt(0)
	s_barrier
	s_and_saveexec_b64 s[16:17], vcc
	s_cbranch_execz .LBB578_41
; %bb.40:
	v_lshlrev_b32_e32 v17, 2, v0
	ds_read_b32 v20, v17
	v_and_b32_e32 v21, 7, v34
	v_cmp_ne_u32_e32 vcc, 0, v21
	s_waitcnt lgkmcnt(0)
	v_mov_b32_dpp v22, v20 row_shr:1 row_mask:0xf bank_mask:0xf
	v_cndmask_b32_e32 v22, 0, v22, vcc
	v_add_u32_e32 v20, v22, v20
	v_cmp_lt_u32_e32 vcc, 1, v21
	s_nop 0
	v_mov_b32_dpp v22, v20 row_shr:2 row_mask:0xf bank_mask:0xf
	v_cndmask_b32_e32 v22, 0, v22, vcc
	v_add_u32_e32 v20, v20, v22
	v_cmp_lt_u32_e32 vcc, 3, v21
	s_nop 0
	v_mov_b32_dpp v22, v20 row_shr:4 row_mask:0xf bank_mask:0xf
	v_cndmask_b32_e32 v21, 0, v22, vcc
	v_add_u32_e32 v20, v20, v21
	ds_write_b32 v17, v20
.LBB578_41:
	s_or_b64 exec, exec, s[16:17]
	v_cmp_gt_u32_e32 vcc, 64, v0
	v_cmp_lt_u32_e64 s[16:17], 63, v0
	s_waitcnt lgkmcnt(0)
	s_barrier
	s_waitcnt lgkmcnt(0)
                                        ; implicit-def: $vgpr38
	s_and_saveexec_b64 s[36:37], s[16:17]
	s_cbranch_execz .LBB578_43
; %bb.42:
	v_lshl_add_u32 v17, v36, 2, -4
	ds_read_b32 v38, v17
	s_waitcnt lgkmcnt(0)
	v_add_u32_e32 v16, v38, v16
.LBB578_43:
	s_or_b64 exec, exec, s[36:37]
	v_add_u32_e32 v17, -1, v34
	v_and_b32_e32 v20, 64, v34
	v_cmp_lt_i32_e64 s[16:17], v17, v20
	s_nop 1
	v_cndmask_b32_e64 v17, v17, v34, s[16:17]
	v_lshlrev_b32_e32 v17, 2, v17
	ds_bpermute_b32 v39, v17, v16
	v_cmp_eq_u32_e64 s[16:17], 0, v34
	s_and_saveexec_b64 s[36:37], vcc
	s_cbranch_execz .LBB578_62
; %bb.44:
	v_mov_b32_e32 v25, 0
	ds_read_b32 v16, v25 offset:28
	s_and_saveexec_b64 s[38:39], s[16:17]
	s_cbranch_execz .LBB578_46
; %bb.45:
	s_add_i32 s40, s2, 64
	s_mov_b32 s41, 0
	s_lshl_b64 s[40:41], s[40:41], 3
	s_add_u32 s40, s34, s40
	v_mov_b32_e32 v17, 1
	s_addc_u32 s41, s35, s41
	s_waitcnt lgkmcnt(0)
	global_store_dwordx2 v25, v[16:17], s[40:41] sc1
.LBB578_46:
	s_or_b64 exec, exec, s[38:39]
	v_xad_u32 v20, v34, -1, s2
	v_add_u32_e32 v24, 64, v20
	v_lshl_add_u64 v[26:27], v[24:25], 3, s[34:35]
	global_load_dwordx2 v[22:23], v[26:27], off sc1
	s_waitcnt vmcnt(0)
	v_cmp_eq_u16_sdwa s[40:41], v23, v25 src0_sel:BYTE_0 src1_sel:DWORD
	s_and_saveexec_b64 s[38:39], s[40:41]
	s_cbranch_execz .LBB578_50
; %bb.47:
	s_mov_b64 s[40:41], 0
	v_mov_b32_e32 v17, 0
.LBB578_48:                             ; =>This Inner Loop Header: Depth=1
	global_load_dwordx2 v[22:23], v[26:27], off sc1
	s_waitcnt vmcnt(0)
	v_cmp_ne_u16_sdwa s[42:43], v23, v17 src0_sel:BYTE_0 src1_sel:DWORD
	s_or_b64 s[40:41], s[42:43], s[40:41]
	s_andn2_b64 exec, exec, s[40:41]
	s_cbranch_execnz .LBB578_48
; %bb.49:
	s_or_b64 exec, exec, s[40:41]
.LBB578_50:
	s_or_b64 exec, exec, s[38:39]
	v_and_b32_e32 v41, 63, v34
	v_mov_b32_e32 v40, 2
	v_cmp_ne_u32_e32 vcc, 63, v41
	v_cmp_eq_u16_sdwa s[38:39], v23, v40 src0_sel:BYTE_0 src1_sel:DWORD
	v_lshlrev_b64 v[24:25], v34, -1
	v_addc_co_u32_e32 v26, vcc, 0, v34, vcc
	v_and_b32_e32 v17, s39, v25
	v_lshlrev_b32_e32 v42, 2, v26
	v_or_b32_e32 v17, 0x80000000, v17
	ds_bpermute_b32 v26, v42, v22
	v_and_b32_e32 v21, s38, v24
	v_ffbl_b32_e32 v17, v17
	v_add_u32_e32 v17, 32, v17
	v_ffbl_b32_e32 v21, v21
	v_min_u32_e32 v17, v21, v17
	v_cmp_lt_u32_e32 vcc, v41, v17
	v_add_u32_e32 v44, 2, v41
	v_add_u32_e32 v46, 4, v41
	s_waitcnt lgkmcnt(0)
	v_cndmask_b32_e32 v21, 0, v26, vcc
	v_cmp_gt_u32_e32 vcc, 62, v41
	v_add_u32_e32 v21, v21, v22
	v_add_u32_e32 v48, 8, v41
	v_cndmask_b32_e64 v22, 0, 1, vcc
	v_lshlrev_b32_e32 v22, 1, v22
	v_add_lshl_u32 v43, v22, v34, 2
	ds_bpermute_b32 v22, v43, v21
	v_cmp_le_u32_e32 vcc, v44, v17
	v_add_u32_e32 v50, 16, v41
	v_add_u32_e32 v52, 32, v41
	s_waitcnt lgkmcnt(0)
	v_cndmask_b32_e32 v22, 0, v22, vcc
	v_cmp_gt_u32_e32 vcc, 60, v41
	v_add_u32_e32 v21, v21, v22
	s_nop 0
	v_cndmask_b32_e64 v22, 0, 1, vcc
	v_lshlrev_b32_e32 v22, 2, v22
	v_add_lshl_u32 v45, v22, v34, 2
	ds_bpermute_b32 v22, v45, v21
	v_cmp_le_u32_e32 vcc, v46, v17
	s_waitcnt lgkmcnt(0)
	s_nop 0
	v_cndmask_b32_e32 v22, 0, v22, vcc
	v_cmp_gt_u32_e32 vcc, 56, v41
	v_add_u32_e32 v21, v21, v22
	s_nop 0
	v_cndmask_b32_e64 v22, 0, 1, vcc
	v_lshlrev_b32_e32 v22, 3, v22
	v_add_lshl_u32 v47, v22, v34, 2
	ds_bpermute_b32 v22, v47, v21
	v_cmp_le_u32_e32 vcc, v48, v17
	s_waitcnt lgkmcnt(0)
	s_nop 0
	;; [unrolled: 11-line block ×4, first 2 shown]
	v_cndmask_b32_e32 v17, 0, v22, vcc
	v_add_u32_e32 v22, v21, v17
	v_mov_b32_e32 v21, 0
	s_branch .LBB578_52
.LBB578_51:                             ;   in Loop: Header=BB578_52 Depth=1
	s_or_b64 exec, exec, s[38:39]
	v_cmp_eq_u16_sdwa s[38:39], v23, v40 src0_sel:BYTE_0 src1_sel:DWORD
	ds_bpermute_b32 v53, v42, v22
	v_subrev_u32_e32 v20, 64, v20
	v_and_b32_e32 v26, s39, v25
	v_or_b32_e32 v26, 0x80000000, v26
	v_and_b32_e32 v27, s38, v24
	v_ffbl_b32_e32 v26, v26
	v_add_u32_e32 v26, 32, v26
	v_ffbl_b32_e32 v27, v27
	v_min_u32_e32 v26, v27, v26
	v_cmp_lt_u32_e32 vcc, v41, v26
	s_waitcnt lgkmcnt(0)
	s_nop 0
	v_cndmask_b32_e32 v27, 0, v53, vcc
	v_add_u32_e32 v22, v27, v22
	ds_bpermute_b32 v27, v43, v22
	v_cmp_le_u32_e32 vcc, v44, v26
	s_waitcnt lgkmcnt(0)
	s_nop 0
	v_cndmask_b32_e32 v27, 0, v27, vcc
	v_add_u32_e32 v22, v22, v27
	ds_bpermute_b32 v27, v45, v22
	v_cmp_le_u32_e32 vcc, v46, v26
	;; [unrolled: 6-line block ×5, first 2 shown]
	s_waitcnt lgkmcnt(0)
	s_nop 0
	v_cndmask_b32_e32 v26, 0, v27, vcc
	v_add3_u32 v22, v26, v17, v22
.LBB578_52:                             ; =>This Loop Header: Depth=1
                                        ;     Child Loop BB578_55 Depth 2
	v_cmp_ne_u16_sdwa s[38:39], v23, v40 src0_sel:BYTE_0 src1_sel:DWORD
	s_nop 1
	v_cndmask_b32_e64 v17, 0, 1, s[38:39]
	;;#ASMSTART
	;;#ASMEND
	s_nop 0
	v_cmp_ne_u32_e32 vcc, 0, v17
	s_cmp_lg_u64 vcc, exec
	v_mov_b32_e32 v17, v22
	s_cbranch_scc1 .LBB578_57
; %bb.53:                               ;   in Loop: Header=BB578_52 Depth=1
	v_lshl_add_u64 v[26:27], v[20:21], 3, s[34:35]
	global_load_dwordx2 v[22:23], v[26:27], off sc1
	s_waitcnt vmcnt(0)
	v_cmp_eq_u16_sdwa s[40:41], v23, v21 src0_sel:BYTE_0 src1_sel:DWORD
	s_and_saveexec_b64 s[38:39], s[40:41]
	s_cbranch_execz .LBB578_51
; %bb.54:                               ;   in Loop: Header=BB578_52 Depth=1
	s_mov_b64 s[40:41], 0
.LBB578_55:                             ;   Parent Loop BB578_52 Depth=1
                                        ; =>  This Inner Loop Header: Depth=2
	global_load_dwordx2 v[22:23], v[26:27], off sc1
	s_waitcnt vmcnt(0)
	v_cmp_ne_u16_sdwa s[42:43], v23, v21 src0_sel:BYTE_0 src1_sel:DWORD
	s_or_b64 s[40:41], s[42:43], s[40:41]
	s_andn2_b64 exec, exec, s[40:41]
	s_cbranch_execnz .LBB578_55
; %bb.56:                               ;   in Loop: Header=BB578_52 Depth=1
	s_or_b64 exec, exec, s[40:41]
	s_branch .LBB578_51
.LBB578_57:                             ;   in Loop: Header=BB578_52 Depth=1
                                        ; implicit-def: $vgpr22
                                        ; implicit-def: $vgpr23
	s_cbranch_execz .LBB578_52
; %bb.58:
	s_and_saveexec_b64 s[38:39], s[16:17]
	s_cbranch_execz .LBB578_60
; %bb.59:
	s_add_i32 s2, s2, 64
	s_mov_b32 s3, 0
	s_lshl_b64 s[2:3], s[2:3], 3
	s_add_u32 s2, s34, s2
	v_add_u32_e32 v20, v17, v16
	v_mov_b32_e32 v21, 2
	s_addc_u32 s3, s35, s3
	v_mov_b32_e32 v22, 0
	global_store_dwordx2 v22, v[20:21], s[2:3] sc1
	ds_write_b64 v22, v[16:17] offset:28672
.LBB578_60:
	s_or_b64 exec, exec, s[38:39]
	v_cmp_eq_u32_e32 vcc, 0, v0
	s_and_b64 exec, exec, vcc
	s_cbranch_execz .LBB578_62
; %bb.61:
	v_mov_b32_e32 v16, 0
	ds_write_b32 v16, v17 offset:28
.LBB578_62:
	s_or_b64 exec, exec, s[36:37]
	v_mov_b32_e32 v16, 0
	s_waitcnt lgkmcnt(0)
	s_barrier
	ds_read_b32 v17, v16 offset:28
	v_cndmask_b32_e64 v20, v39, v38, s[16:17]
	v_cmp_ne_u32_e32 vcc, 0, v0
	s_waitcnt lgkmcnt(0)
	s_barrier
	v_cndmask_b32_e32 v20, 0, v20, vcc
	v_add_u32_e32 v27, v17, v20
	v_add_u32_e32 v26, v27, v33
	ds_read_b64 v[16:17], v16 offset:28672
	v_add_u32_e32 v25, v26, v32
	v_add_u32_e32 v23, v25, v31
	;; [unrolled: 1-line block ×5, first 2 shown]
	s_waitcnt lgkmcnt(0)
	v_mov_b32_e32 v20, v17
	s_branch .LBB578_73
.LBB578_63:
                                        ; implicit-def: $vgpr20
                                        ; implicit-def: $vgpr16
                                        ; implicit-def: $vgpr21
                                        ; implicit-def: $vgpr22
                                        ; implicit-def: $vgpr24
                                        ; implicit-def: $vgpr23
                                        ; implicit-def: $vgpr25
                                        ; implicit-def: $vgpr26
                                        ; implicit-def: $vgpr27
	s_cbranch_execz .LBB578_73
; %bb.64:
	s_nop 0
	v_mov_b32_dpp v16, v37 row_shr:1 row_mask:0xf bank_mask:0xf
	v_cndmask_b32_e64 v16, v16, 0, s[14:15]
	v_add_u32_e32 v16, v16, v37
	s_nop 1
	v_mov_b32_dpp v17, v16 row_shr:2 row_mask:0xf bank_mask:0xf
	v_cndmask_b32_e64 v17, 0, v17, s[12:13]
	v_add_u32_e32 v16, v16, v17
	;; [unrolled: 4-line block ×4, first 2 shown]
	s_nop 1
	v_mov_b32_dpp v17, v16 row_bcast:15 row_mask:0xf bank_mask:0xf
	v_cndmask_b32_e64 v17, v17, 0, s[6:7]
	v_add_u32_e32 v16, v16, v17
	s_nop 1
	v_mov_b32_dpp v17, v16 row_bcast:31 row_mask:0xf bank_mask:0xf
	v_cndmask_b32_e64 v17, 0, v17, s[18:19]
	v_add_u32_e32 v16, v16, v17
	s_and_saveexec_b64 s[2:3], s[4:5]
	s_cbranch_execz .LBB578_66
; %bb.65:
	v_lshlrev_b32_e32 v17, 2, v36
	ds_write_b32 v17, v16
.LBB578_66:
	s_or_b64 exec, exec, s[2:3]
	v_cmp_gt_u32_e32 vcc, 8, v0
	s_waitcnt lgkmcnt(0)
	s_barrier
	s_and_saveexec_b64 s[2:3], vcc
	s_cbranch_execz .LBB578_68
; %bb.67:
	v_mad_i32_i24 v17, v0, -3, v35
	ds_read_b32 v20, v17
	v_and_b32_e32 v21, 7, v34
	v_cmp_ne_u32_e32 vcc, 0, v21
	s_waitcnt lgkmcnt(0)
	v_mov_b32_dpp v22, v20 row_shr:1 row_mask:0xf bank_mask:0xf
	v_cndmask_b32_e32 v22, 0, v22, vcc
	v_add_u32_e32 v20, v22, v20
	v_cmp_lt_u32_e32 vcc, 1, v21
	s_nop 0
	v_mov_b32_dpp v22, v20 row_shr:2 row_mask:0xf bank_mask:0xf
	v_cndmask_b32_e32 v22, 0, v22, vcc
	v_add_u32_e32 v20, v20, v22
	v_cmp_lt_u32_e32 vcc, 3, v21
	s_nop 0
	v_mov_b32_dpp v22, v20 row_shr:4 row_mask:0xf bank_mask:0xf
	v_cndmask_b32_e32 v21, 0, v22, vcc
	v_add_u32_e32 v20, v20, v21
	ds_write_b32 v17, v20
.LBB578_68:
	s_or_b64 exec, exec, s[2:3]
	v_cmp_lt_u32_e32 vcc, 63, v0
	v_mov_b32_e32 v17, 0
	v_mov_b32_e32 v20, 0
	s_waitcnt lgkmcnt(0)
	s_barrier
	s_and_saveexec_b64 s[2:3], vcc
	s_cbranch_execz .LBB578_70
; %bb.69:
	v_lshl_add_u32 v20, v36, 2, -4
	ds_read_b32 v20, v20
.LBB578_70:
	s_or_b64 exec, exec, s[2:3]
	v_add_u32_e32 v21, -1, v34
	v_and_b32_e32 v22, 64, v34
	v_cmp_lt_i32_e32 vcc, v21, v22
	s_waitcnt lgkmcnt(0)
	v_add_u32_e32 v16, v20, v16
	v_cndmask_b32_e32 v21, v21, v34, vcc
	v_lshlrev_b32_e32 v21, 2, v21
	ds_bpermute_b32 v21, v21, v16
	ds_read_b32 v16, v17 offset:28
	v_cmp_eq_u32_e32 vcc, 0, v0
	s_and_saveexec_b64 s[2:3], vcc
	s_cbranch_execz .LBB578_72
; %bb.71:
	v_mov_b32_e32 v22, 0
	v_mov_b32_e32 v17, 2
	s_waitcnt lgkmcnt(0)
	global_store_dwordx2 v22, v[16:17], s[34:35] offset:512 sc1
.LBB578_72:
	s_or_b64 exec, exec, s[2:3]
	v_cmp_eq_u32_e64 s[2:3], 0, v34
	s_waitcnt lgkmcnt(0)
	s_barrier
	v_cndmask_b32_e64 v17, v21, v20, s[2:3]
	v_cndmask_b32_e64 v27, v17, 0, vcc
	v_add_u32_e32 v26, v27, v33
	v_add_u32_e32 v25, v26, v32
	;; [unrolled: 1-line block ×5, first 2 shown]
	v_mov_b32_e32 v20, 0
	v_add_u32_e32 v21, v22, v28
.LBB578_73:
	v_add_u32_e32 v1, v16, v1
	v_sub_u32_e32 v17, v27, v20
	v_sub_u32_e32 v27, v1, v17
	v_cmp_eq_u32_e32 vcc, 1, v33
	s_load_dwordx4 s[0:3], s[0:1], 0x30
	s_nop 0
	v_cndmask_b32_e32 v17, v27, v17, vcc
	v_lshlrev_b32_e32 v17, 3, v17
	ds_write_b64 v17, v[10:11]
	v_sub_u32_e32 v10, v26, v20
	v_sub_u32_e32 v11, v1, v10
	v_add_u32_e32 v11, 1, v11
	v_cmp_eq_u32_e32 vcc, 1, v32
	v_or_b32_e32 v32, 0x200, v0
	s_nop 0
	v_cndmask_b32_e32 v10, v11, v10, vcc
	v_lshlrev_b32_e32 v10, 3, v10
	ds_write_b64 v10, v[12:13]
	v_sub_u32_e32 v10, v25, v20
	v_sub_u32_e32 v11, v1, v10
	v_add_u32_e32 v11, 2, v11
	v_cmp_eq_u32_e32 vcc, 1, v31
	v_or_b32_e32 v31, 0x400, v0
	;; [unrolled: 9-line block ×5, first 2 shown]
	s_nop 0
	v_cndmask_b32_e32 v2, v3, v2, vcc
	v_lshlrev_b32_e32 v2, 3, v2
	ds_write_b64 v2, v[4:5]
	v_sub_u32_e32 v2, v21, v20
	v_sub_u32_e32 v1, v1, v2
	v_add_u32_e32 v1, 6, v1
	v_cmp_eq_u32_e32 vcc, 1, v19
	v_mov_b32_e32 v21, 0
	v_lshl_add_u64 v[26:27], s[28:29], 0, v[20:21]
	v_cndmask_b32_e32 v1, v1, v2, vcc
	v_lshlrev_b32_e32 v1, 3, v1
	v_mov_b32_e32 v17, v21
	ds_write_b64 v1, v[14:15]
	v_lshl_add_u64 v[14:15], v[26:27], 0, v[16:17]
	s_waitcnt lgkmcnt(0)
	s_barrier
	ds_read2st64_b64 v[10:13], v18 offset1:8
	ds_read2st64_b64 v[6:9], v18 offset0:16 offset1:24
	ds_read2st64_b64 v[2:5], v18 offset0:32 offset1:40
	ds_read_b64 v[22:23], v18 offset:24576
	v_mov_b32_e32 v17, s27
	v_sub_co_u32_e32 v24, vcc, s26, v14
	v_lshlrev_b64 v[26:27], 3, v[26:27]
	s_nop 0
	v_subb_co_u32_e32 v25, vcc, v17, v15, vcc
	v_lshlrev_b64 v[24:25], 3, v[24:25]
	v_lshl_add_u64 v[24:25], s[2:3], 0, v[24:25]
	v_or_b32_e32 v1, 0xc00, v0
	v_lshl_add_u64 v[24:25], v[24:25], 0, s[30:31]
	s_andn2_b64 vcc, exec, s[24:25]
	v_lshl_add_u64 v[26:27], s[0:1], 0, v[26:27]
	s_cbranch_vccnz .LBB578_75
; %bb.74:
	v_cmp_lt_u32_e32 vcc, v0, v16
	v_mov_b32_e32 v19, v21
	v_lshlrev_b32_e32 v20, 3, v32
	v_cndmask_b32_e32 v35, v25, v27, vcc
	v_cndmask_b32_e32 v34, v24, v26, vcc
	v_lshl_add_u64 v[34:35], v[34:35], 0, v[18:19]
	v_cmp_lt_u32_e32 vcc, v32, v16
	s_waitcnt lgkmcnt(3)
	global_store_dwordx2 v[34:35], v[10:11], off
	v_cndmask_b32_e32 v35, v25, v27, vcc
	v_cndmask_b32_e32 v34, v24, v26, vcc
	v_lshl_add_u64 v[34:35], v[34:35], 0, v[20:21]
	v_cmp_lt_u32_e32 vcc, v31, v16
	global_store_dwordx2 v[34:35], v[12:13], off
	v_lshlrev_b32_e32 v20, 3, v31
	v_cndmask_b32_e32 v35, v25, v27, vcc
	v_cndmask_b32_e32 v34, v24, v26, vcc
	v_lshl_add_u64 v[34:35], v[34:35], 0, v[20:21]
	v_cmp_lt_u32_e32 vcc, v30, v16
	s_waitcnt lgkmcnt(2)
	global_store_dwordx2 v[34:35], v[6:7], off
	v_lshlrev_b32_e32 v20, 3, v30
	v_cndmask_b32_e32 v35, v25, v27, vcc
	v_cndmask_b32_e32 v34, v24, v26, vcc
	v_lshl_add_u64 v[34:35], v[34:35], 0, v[20:21]
	v_cmp_lt_u32_e32 vcc, v29, v16
	global_store_dwordx2 v[34:35], v[8:9], off
	v_lshlrev_b32_e32 v20, 3, v29
	v_cndmask_b32_e32 v35, v25, v27, vcc
	v_cndmask_b32_e32 v34, v24, v26, vcc
	v_lshl_add_u64 v[34:35], v[34:35], 0, v[20:21]
	v_cmp_lt_u32_e32 vcc, v28, v16
	s_waitcnt lgkmcnt(1)
	global_store_dwordx2 v[34:35], v[2:3], off
	v_lshlrev_b32_e32 v20, 3, v28
	v_cndmask_b32_e32 v35, v25, v27, vcc
	v_cndmask_b32_e32 v34, v24, v26, vcc
	v_lshl_add_u64 v[20:21], v[34:35], 0, v[20:21]
	s_mov_b64 s[0:1], -1
	global_store_dwordx2 v[20:21], v[4:5], off
	s_cbranch_execz .LBB578_76
	s_branch .LBB578_84
.LBB578_75:
	s_mov_b64 s[0:1], 0
.LBB578_76:
	v_cmp_gt_u32_e32 vcc, s33, v0
	s_and_saveexec_b64 s[0:1], vcc
	s_cbranch_execnz .LBB578_89
; %bb.77:
	s_or_b64 exec, exec, s[0:1]
	v_cmp_gt_u32_e32 vcc, s33, v32
	s_and_saveexec_b64 s[0:1], vcc
	s_cbranch_execnz .LBB578_90
.LBB578_78:
	s_or_b64 exec, exec, s[0:1]
	v_cmp_gt_u32_e32 vcc, s33, v31
	s_and_saveexec_b64 s[0:1], vcc
	s_cbranch_execnz .LBB578_91
.LBB578_79:
	s_or_b64 exec, exec, s[0:1]
	v_cmp_gt_u32_e32 vcc, s33, v30
	s_and_saveexec_b64 s[0:1], vcc
	s_cbranch_execnz .LBB578_92
.LBB578_80:
	s_or_b64 exec, exec, s[0:1]
	v_cmp_gt_u32_e32 vcc, s33, v29
	s_and_saveexec_b64 s[0:1], vcc
	s_cbranch_execnz .LBB578_93
.LBB578_81:
	s_or_b64 exec, exec, s[0:1]
	v_cmp_gt_u32_e32 vcc, s33, v28
	s_and_saveexec_b64 s[0:1], vcc
	s_cbranch_execz .LBB578_83
.LBB578_82:
	v_cmp_lt_u32_e32 vcc, v28, v16
	s_waitcnt lgkmcnt(2)
	v_lshlrev_b32_e32 v6, 3, v28
	v_mov_b32_e32 v7, 0
	s_waitcnt lgkmcnt(1)
	v_cndmask_b32_e32 v3, v25, v27, vcc
	v_cndmask_b32_e32 v2, v24, v26, vcc
	v_lshl_add_u64 v[2:3], v[2:3], 0, v[6:7]
	global_store_dwordx2 v[2:3], v[4:5], off
.LBB578_83:
	s_or_b64 exec, exec, s[0:1]
	v_cmp_gt_u32_e64 s[0:1], s33, v1
.LBB578_84:
	s_and_saveexec_b64 s[2:3], s[0:1]
	s_cbranch_execz .LBB578_86
; %bb.85:
	v_cmp_lt_u32_e32 vcc, v1, v16
	s_waitcnt lgkmcnt(1)
	v_lshlrev_b32_e32 v4, 3, v1
	v_mov_b32_e32 v5, 0
	v_cndmask_b32_e32 v3, v25, v27, vcc
	v_cndmask_b32_e32 v2, v24, v26, vcc
	v_lshl_add_u64 v[2:3], v[2:3], 0, v[4:5]
	s_waitcnt lgkmcnt(0)
	global_store_dwordx2 v[2:3], v[22:23], off
.LBB578_86:
	s_or_b64 exec, exec, s[2:3]
	v_cmp_eq_u32_e32 vcc, 0, v0
	s_and_b64 s[0:1], vcc, s[22:23]
	s_and_saveexec_b64 s[2:3], s[0:1]
	s_cbranch_execz .LBB578_88
; %bb.87:
	v_mov_b32_e32 v0, 0
	global_store_dwordx2 v0, v[14:15], s[20:21]
.LBB578_88:
	s_endpgm
.LBB578_89:
	v_cmp_lt_u32_e32 vcc, v0, v16
	v_mov_b32_e32 v19, 0
	s_nop 0
	v_cndmask_b32_e32 v21, v25, v27, vcc
	v_cndmask_b32_e32 v20, v24, v26, vcc
	v_lshl_add_u64 v[18:19], v[20:21], 0, v[18:19]
	s_waitcnt lgkmcnt(3)
	global_store_dwordx2 v[18:19], v[10:11], off
	s_or_b64 exec, exec, s[0:1]
	v_cmp_gt_u32_e32 vcc, s33, v32
	s_and_saveexec_b64 s[0:1], vcc
	s_cbranch_execz .LBB578_78
.LBB578_90:
	v_cmp_lt_u32_e32 vcc, v32, v16
	v_lshlrev_b32_e32 v18, 3, v32
	v_mov_b32_e32 v19, 0
	s_waitcnt lgkmcnt(3)
	v_cndmask_b32_e32 v11, v25, v27, vcc
	v_cndmask_b32_e32 v10, v24, v26, vcc
	v_lshl_add_u64 v[10:11], v[10:11], 0, v[18:19]
	global_store_dwordx2 v[10:11], v[12:13], off
	s_or_b64 exec, exec, s[0:1]
	v_cmp_gt_u32_e32 vcc, s33, v31
	s_and_saveexec_b64 s[0:1], vcc
	s_cbranch_execz .LBB578_79
.LBB578_91:
	v_cmp_lt_u32_e32 vcc, v31, v16
	s_waitcnt lgkmcnt(3)
	v_lshlrev_b32_e32 v12, 3, v31
	v_mov_b32_e32 v13, 0
	v_cndmask_b32_e32 v11, v25, v27, vcc
	v_cndmask_b32_e32 v10, v24, v26, vcc
	v_lshl_add_u64 v[10:11], v[10:11], 0, v[12:13]
	s_waitcnt lgkmcnt(2)
	global_store_dwordx2 v[10:11], v[6:7], off
	s_or_b64 exec, exec, s[0:1]
	v_cmp_gt_u32_e32 vcc, s33, v30
	s_and_saveexec_b64 s[0:1], vcc
	s_cbranch_execz .LBB578_80
.LBB578_92:
	v_cmp_lt_u32_e32 vcc, v30, v16
	s_waitcnt lgkmcnt(3)
	v_lshlrev_b32_e32 v10, 3, v30
	v_mov_b32_e32 v11, 0
	s_waitcnt lgkmcnt(2)
	v_cndmask_b32_e32 v7, v25, v27, vcc
	v_cndmask_b32_e32 v6, v24, v26, vcc
	v_lshl_add_u64 v[6:7], v[6:7], 0, v[10:11]
	global_store_dwordx2 v[6:7], v[8:9], off
	s_or_b64 exec, exec, s[0:1]
	v_cmp_gt_u32_e32 vcc, s33, v29
	s_and_saveexec_b64 s[0:1], vcc
	s_cbranch_execz .LBB578_81
.LBB578_93:
	v_cmp_lt_u32_e32 vcc, v29, v16
	s_waitcnt lgkmcnt(2)
	v_lshlrev_b32_e32 v8, 3, v29
	v_mov_b32_e32 v9, 0
	v_cndmask_b32_e32 v7, v25, v27, vcc
	v_cndmask_b32_e32 v6, v24, v26, vcc
	v_lshl_add_u64 v[6:7], v[6:7], 0, v[8:9]
	s_waitcnt lgkmcnt(1)
	global_store_dwordx2 v[6:7], v[2:3], off
	s_or_b64 exec, exec, s[0:1]
	v_cmp_gt_u32_e32 vcc, s33, v28
	s_and_saveexec_b64 s[0:1], vcc
	s_cbranch_execnz .LBB578_82
	s_branch .LBB578_83
	.section	.rodata,"a",@progbits
	.p2align	6, 0x0
	.amdhsa_kernel _ZN7rocprim17ROCPRIM_400000_NS6detail17trampoline_kernelINS0_14default_configENS1_25partition_config_selectorILNS1_17partition_subalgoE1ExNS0_10empty_typeEbEEZZNS1_14partition_implILS5_1ELb0ES3_jN6thrust23THRUST_200600_302600_NS6detail15normal_iteratorINSA_10device_ptrIxEEEEPS6_NSA_18transform_iteratorINSA_8identityIxEESF_NSA_11use_defaultESK_EENS0_5tupleIJSF_SF_EEENSM_IJSG_SG_EEES6_PlJS6_EEE10hipError_tPvRmT3_T4_T5_T6_T7_T9_mT8_P12ihipStream_tbDpT10_ENKUlT_T0_E_clISt17integral_constantIbLb0EES19_EEDaS14_S15_EUlS14_E_NS1_11comp_targetILNS1_3genE5ELNS1_11target_archE942ELNS1_3gpuE9ELNS1_3repE0EEENS1_30default_config_static_selectorELNS0_4arch9wavefront6targetE1EEEvT1_
		.amdhsa_group_segment_fixed_size 28680
		.amdhsa_private_segment_fixed_size 0
		.amdhsa_kernarg_size 128
		.amdhsa_user_sgpr_count 2
		.amdhsa_user_sgpr_dispatch_ptr 0
		.amdhsa_user_sgpr_queue_ptr 0
		.amdhsa_user_sgpr_kernarg_segment_ptr 1
		.amdhsa_user_sgpr_dispatch_id 0
		.amdhsa_user_sgpr_kernarg_preload_length 0
		.amdhsa_user_sgpr_kernarg_preload_offset 0
		.amdhsa_user_sgpr_private_segment_size 0
		.amdhsa_uses_dynamic_stack 0
		.amdhsa_enable_private_segment 0
		.amdhsa_system_sgpr_workgroup_id_x 1
		.amdhsa_system_sgpr_workgroup_id_y 0
		.amdhsa_system_sgpr_workgroup_id_z 0
		.amdhsa_system_sgpr_workgroup_info 0
		.amdhsa_system_vgpr_workitem_id 0
		.amdhsa_next_free_vgpr 54
		.amdhsa_next_free_sgpr 44
		.amdhsa_accum_offset 56
		.amdhsa_reserve_vcc 1
		.amdhsa_float_round_mode_32 0
		.amdhsa_float_round_mode_16_64 0
		.amdhsa_float_denorm_mode_32 3
		.amdhsa_float_denorm_mode_16_64 3
		.amdhsa_dx10_clamp 1
		.amdhsa_ieee_mode 1
		.amdhsa_fp16_overflow 0
		.amdhsa_tg_split 0
		.amdhsa_exception_fp_ieee_invalid_op 0
		.amdhsa_exception_fp_denorm_src 0
		.amdhsa_exception_fp_ieee_div_zero 0
		.amdhsa_exception_fp_ieee_overflow 0
		.amdhsa_exception_fp_ieee_underflow 0
		.amdhsa_exception_fp_ieee_inexact 0
		.amdhsa_exception_int_div_zero 0
	.end_amdhsa_kernel
	.section	.text._ZN7rocprim17ROCPRIM_400000_NS6detail17trampoline_kernelINS0_14default_configENS1_25partition_config_selectorILNS1_17partition_subalgoE1ExNS0_10empty_typeEbEEZZNS1_14partition_implILS5_1ELb0ES3_jN6thrust23THRUST_200600_302600_NS6detail15normal_iteratorINSA_10device_ptrIxEEEEPS6_NSA_18transform_iteratorINSA_8identityIxEESF_NSA_11use_defaultESK_EENS0_5tupleIJSF_SF_EEENSM_IJSG_SG_EEES6_PlJS6_EEE10hipError_tPvRmT3_T4_T5_T6_T7_T9_mT8_P12ihipStream_tbDpT10_ENKUlT_T0_E_clISt17integral_constantIbLb0EES19_EEDaS14_S15_EUlS14_E_NS1_11comp_targetILNS1_3genE5ELNS1_11target_archE942ELNS1_3gpuE9ELNS1_3repE0EEENS1_30default_config_static_selectorELNS0_4arch9wavefront6targetE1EEEvT1_,"axG",@progbits,_ZN7rocprim17ROCPRIM_400000_NS6detail17trampoline_kernelINS0_14default_configENS1_25partition_config_selectorILNS1_17partition_subalgoE1ExNS0_10empty_typeEbEEZZNS1_14partition_implILS5_1ELb0ES3_jN6thrust23THRUST_200600_302600_NS6detail15normal_iteratorINSA_10device_ptrIxEEEEPS6_NSA_18transform_iteratorINSA_8identityIxEESF_NSA_11use_defaultESK_EENS0_5tupleIJSF_SF_EEENSM_IJSG_SG_EEES6_PlJS6_EEE10hipError_tPvRmT3_T4_T5_T6_T7_T9_mT8_P12ihipStream_tbDpT10_ENKUlT_T0_E_clISt17integral_constantIbLb0EES19_EEDaS14_S15_EUlS14_E_NS1_11comp_targetILNS1_3genE5ELNS1_11target_archE942ELNS1_3gpuE9ELNS1_3repE0EEENS1_30default_config_static_selectorELNS0_4arch9wavefront6targetE1EEEvT1_,comdat
.Lfunc_end578:
	.size	_ZN7rocprim17ROCPRIM_400000_NS6detail17trampoline_kernelINS0_14default_configENS1_25partition_config_selectorILNS1_17partition_subalgoE1ExNS0_10empty_typeEbEEZZNS1_14partition_implILS5_1ELb0ES3_jN6thrust23THRUST_200600_302600_NS6detail15normal_iteratorINSA_10device_ptrIxEEEEPS6_NSA_18transform_iteratorINSA_8identityIxEESF_NSA_11use_defaultESK_EENS0_5tupleIJSF_SF_EEENSM_IJSG_SG_EEES6_PlJS6_EEE10hipError_tPvRmT3_T4_T5_T6_T7_T9_mT8_P12ihipStream_tbDpT10_ENKUlT_T0_E_clISt17integral_constantIbLb0EES19_EEDaS14_S15_EUlS14_E_NS1_11comp_targetILNS1_3genE5ELNS1_11target_archE942ELNS1_3gpuE9ELNS1_3repE0EEENS1_30default_config_static_selectorELNS0_4arch9wavefront6targetE1EEEvT1_, .Lfunc_end578-_ZN7rocprim17ROCPRIM_400000_NS6detail17trampoline_kernelINS0_14default_configENS1_25partition_config_selectorILNS1_17partition_subalgoE1ExNS0_10empty_typeEbEEZZNS1_14partition_implILS5_1ELb0ES3_jN6thrust23THRUST_200600_302600_NS6detail15normal_iteratorINSA_10device_ptrIxEEEEPS6_NSA_18transform_iteratorINSA_8identityIxEESF_NSA_11use_defaultESK_EENS0_5tupleIJSF_SF_EEENSM_IJSG_SG_EEES6_PlJS6_EEE10hipError_tPvRmT3_T4_T5_T6_T7_T9_mT8_P12ihipStream_tbDpT10_ENKUlT_T0_E_clISt17integral_constantIbLb0EES19_EEDaS14_S15_EUlS14_E_NS1_11comp_targetILNS1_3genE5ELNS1_11target_archE942ELNS1_3gpuE9ELNS1_3repE0EEENS1_30default_config_static_selectorELNS0_4arch9wavefront6targetE1EEEvT1_
                                        ; -- End function
	.section	.AMDGPU.csdata,"",@progbits
; Kernel info:
; codeLenInByte = 5088
; NumSgprs: 50
; NumVgprs: 54
; NumAgprs: 0
; TotalNumVgprs: 54
; ScratchSize: 0
; MemoryBound: 0
; FloatMode: 240
; IeeeMode: 1
; LDSByteSize: 28680 bytes/workgroup (compile time only)
; SGPRBlocks: 6
; VGPRBlocks: 6
; NumSGPRsForWavesPerEU: 50
; NumVGPRsForWavesPerEU: 54
; AccumOffset: 56
; Occupancy: 4
; WaveLimiterHint : 1
; COMPUTE_PGM_RSRC2:SCRATCH_EN: 0
; COMPUTE_PGM_RSRC2:USER_SGPR: 2
; COMPUTE_PGM_RSRC2:TRAP_HANDLER: 0
; COMPUTE_PGM_RSRC2:TGID_X_EN: 1
; COMPUTE_PGM_RSRC2:TGID_Y_EN: 0
; COMPUTE_PGM_RSRC2:TGID_Z_EN: 0
; COMPUTE_PGM_RSRC2:TIDIG_COMP_CNT: 0
; COMPUTE_PGM_RSRC3_GFX90A:ACCUM_OFFSET: 13
; COMPUTE_PGM_RSRC3_GFX90A:TG_SPLIT: 0
	.section	.text._ZN7rocprim17ROCPRIM_400000_NS6detail17trampoline_kernelINS0_14default_configENS1_25partition_config_selectorILNS1_17partition_subalgoE1ExNS0_10empty_typeEbEEZZNS1_14partition_implILS5_1ELb0ES3_jN6thrust23THRUST_200600_302600_NS6detail15normal_iteratorINSA_10device_ptrIxEEEEPS6_NSA_18transform_iteratorINSA_8identityIxEESF_NSA_11use_defaultESK_EENS0_5tupleIJSF_SF_EEENSM_IJSG_SG_EEES6_PlJS6_EEE10hipError_tPvRmT3_T4_T5_T6_T7_T9_mT8_P12ihipStream_tbDpT10_ENKUlT_T0_E_clISt17integral_constantIbLb0EES19_EEDaS14_S15_EUlS14_E_NS1_11comp_targetILNS1_3genE4ELNS1_11target_archE910ELNS1_3gpuE8ELNS1_3repE0EEENS1_30default_config_static_selectorELNS0_4arch9wavefront6targetE1EEEvT1_,"axG",@progbits,_ZN7rocprim17ROCPRIM_400000_NS6detail17trampoline_kernelINS0_14default_configENS1_25partition_config_selectorILNS1_17partition_subalgoE1ExNS0_10empty_typeEbEEZZNS1_14partition_implILS5_1ELb0ES3_jN6thrust23THRUST_200600_302600_NS6detail15normal_iteratorINSA_10device_ptrIxEEEEPS6_NSA_18transform_iteratorINSA_8identityIxEESF_NSA_11use_defaultESK_EENS0_5tupleIJSF_SF_EEENSM_IJSG_SG_EEES6_PlJS6_EEE10hipError_tPvRmT3_T4_T5_T6_T7_T9_mT8_P12ihipStream_tbDpT10_ENKUlT_T0_E_clISt17integral_constantIbLb0EES19_EEDaS14_S15_EUlS14_E_NS1_11comp_targetILNS1_3genE4ELNS1_11target_archE910ELNS1_3gpuE8ELNS1_3repE0EEENS1_30default_config_static_selectorELNS0_4arch9wavefront6targetE1EEEvT1_,comdat
	.protected	_ZN7rocprim17ROCPRIM_400000_NS6detail17trampoline_kernelINS0_14default_configENS1_25partition_config_selectorILNS1_17partition_subalgoE1ExNS0_10empty_typeEbEEZZNS1_14partition_implILS5_1ELb0ES3_jN6thrust23THRUST_200600_302600_NS6detail15normal_iteratorINSA_10device_ptrIxEEEEPS6_NSA_18transform_iteratorINSA_8identityIxEESF_NSA_11use_defaultESK_EENS0_5tupleIJSF_SF_EEENSM_IJSG_SG_EEES6_PlJS6_EEE10hipError_tPvRmT3_T4_T5_T6_T7_T9_mT8_P12ihipStream_tbDpT10_ENKUlT_T0_E_clISt17integral_constantIbLb0EES19_EEDaS14_S15_EUlS14_E_NS1_11comp_targetILNS1_3genE4ELNS1_11target_archE910ELNS1_3gpuE8ELNS1_3repE0EEENS1_30default_config_static_selectorELNS0_4arch9wavefront6targetE1EEEvT1_ ; -- Begin function _ZN7rocprim17ROCPRIM_400000_NS6detail17trampoline_kernelINS0_14default_configENS1_25partition_config_selectorILNS1_17partition_subalgoE1ExNS0_10empty_typeEbEEZZNS1_14partition_implILS5_1ELb0ES3_jN6thrust23THRUST_200600_302600_NS6detail15normal_iteratorINSA_10device_ptrIxEEEEPS6_NSA_18transform_iteratorINSA_8identityIxEESF_NSA_11use_defaultESK_EENS0_5tupleIJSF_SF_EEENSM_IJSG_SG_EEES6_PlJS6_EEE10hipError_tPvRmT3_T4_T5_T6_T7_T9_mT8_P12ihipStream_tbDpT10_ENKUlT_T0_E_clISt17integral_constantIbLb0EES19_EEDaS14_S15_EUlS14_E_NS1_11comp_targetILNS1_3genE4ELNS1_11target_archE910ELNS1_3gpuE8ELNS1_3repE0EEENS1_30default_config_static_selectorELNS0_4arch9wavefront6targetE1EEEvT1_
	.globl	_ZN7rocprim17ROCPRIM_400000_NS6detail17trampoline_kernelINS0_14default_configENS1_25partition_config_selectorILNS1_17partition_subalgoE1ExNS0_10empty_typeEbEEZZNS1_14partition_implILS5_1ELb0ES3_jN6thrust23THRUST_200600_302600_NS6detail15normal_iteratorINSA_10device_ptrIxEEEEPS6_NSA_18transform_iteratorINSA_8identityIxEESF_NSA_11use_defaultESK_EENS0_5tupleIJSF_SF_EEENSM_IJSG_SG_EEES6_PlJS6_EEE10hipError_tPvRmT3_T4_T5_T6_T7_T9_mT8_P12ihipStream_tbDpT10_ENKUlT_T0_E_clISt17integral_constantIbLb0EES19_EEDaS14_S15_EUlS14_E_NS1_11comp_targetILNS1_3genE4ELNS1_11target_archE910ELNS1_3gpuE8ELNS1_3repE0EEENS1_30default_config_static_selectorELNS0_4arch9wavefront6targetE1EEEvT1_
	.p2align	8
	.type	_ZN7rocprim17ROCPRIM_400000_NS6detail17trampoline_kernelINS0_14default_configENS1_25partition_config_selectorILNS1_17partition_subalgoE1ExNS0_10empty_typeEbEEZZNS1_14partition_implILS5_1ELb0ES3_jN6thrust23THRUST_200600_302600_NS6detail15normal_iteratorINSA_10device_ptrIxEEEEPS6_NSA_18transform_iteratorINSA_8identityIxEESF_NSA_11use_defaultESK_EENS0_5tupleIJSF_SF_EEENSM_IJSG_SG_EEES6_PlJS6_EEE10hipError_tPvRmT3_T4_T5_T6_T7_T9_mT8_P12ihipStream_tbDpT10_ENKUlT_T0_E_clISt17integral_constantIbLb0EES19_EEDaS14_S15_EUlS14_E_NS1_11comp_targetILNS1_3genE4ELNS1_11target_archE910ELNS1_3gpuE8ELNS1_3repE0EEENS1_30default_config_static_selectorELNS0_4arch9wavefront6targetE1EEEvT1_,@function
_ZN7rocprim17ROCPRIM_400000_NS6detail17trampoline_kernelINS0_14default_configENS1_25partition_config_selectorILNS1_17partition_subalgoE1ExNS0_10empty_typeEbEEZZNS1_14partition_implILS5_1ELb0ES3_jN6thrust23THRUST_200600_302600_NS6detail15normal_iteratorINSA_10device_ptrIxEEEEPS6_NSA_18transform_iteratorINSA_8identityIxEESF_NSA_11use_defaultESK_EENS0_5tupleIJSF_SF_EEENSM_IJSG_SG_EEES6_PlJS6_EEE10hipError_tPvRmT3_T4_T5_T6_T7_T9_mT8_P12ihipStream_tbDpT10_ENKUlT_T0_E_clISt17integral_constantIbLb0EES19_EEDaS14_S15_EUlS14_E_NS1_11comp_targetILNS1_3genE4ELNS1_11target_archE910ELNS1_3gpuE8ELNS1_3repE0EEENS1_30default_config_static_selectorELNS0_4arch9wavefront6targetE1EEEvT1_: ; @_ZN7rocprim17ROCPRIM_400000_NS6detail17trampoline_kernelINS0_14default_configENS1_25partition_config_selectorILNS1_17partition_subalgoE1ExNS0_10empty_typeEbEEZZNS1_14partition_implILS5_1ELb0ES3_jN6thrust23THRUST_200600_302600_NS6detail15normal_iteratorINSA_10device_ptrIxEEEEPS6_NSA_18transform_iteratorINSA_8identityIxEESF_NSA_11use_defaultESK_EENS0_5tupleIJSF_SF_EEENSM_IJSG_SG_EEES6_PlJS6_EEE10hipError_tPvRmT3_T4_T5_T6_T7_T9_mT8_P12ihipStream_tbDpT10_ENKUlT_T0_E_clISt17integral_constantIbLb0EES19_EEDaS14_S15_EUlS14_E_NS1_11comp_targetILNS1_3genE4ELNS1_11target_archE910ELNS1_3gpuE8ELNS1_3repE0EEENS1_30default_config_static_selectorELNS0_4arch9wavefront6targetE1EEEvT1_
; %bb.0:
	.section	.rodata,"a",@progbits
	.p2align	6, 0x0
	.amdhsa_kernel _ZN7rocprim17ROCPRIM_400000_NS6detail17trampoline_kernelINS0_14default_configENS1_25partition_config_selectorILNS1_17partition_subalgoE1ExNS0_10empty_typeEbEEZZNS1_14partition_implILS5_1ELb0ES3_jN6thrust23THRUST_200600_302600_NS6detail15normal_iteratorINSA_10device_ptrIxEEEEPS6_NSA_18transform_iteratorINSA_8identityIxEESF_NSA_11use_defaultESK_EENS0_5tupleIJSF_SF_EEENSM_IJSG_SG_EEES6_PlJS6_EEE10hipError_tPvRmT3_T4_T5_T6_T7_T9_mT8_P12ihipStream_tbDpT10_ENKUlT_T0_E_clISt17integral_constantIbLb0EES19_EEDaS14_S15_EUlS14_E_NS1_11comp_targetILNS1_3genE4ELNS1_11target_archE910ELNS1_3gpuE8ELNS1_3repE0EEENS1_30default_config_static_selectorELNS0_4arch9wavefront6targetE1EEEvT1_
		.amdhsa_group_segment_fixed_size 0
		.amdhsa_private_segment_fixed_size 0
		.amdhsa_kernarg_size 128
		.amdhsa_user_sgpr_count 2
		.amdhsa_user_sgpr_dispatch_ptr 0
		.amdhsa_user_sgpr_queue_ptr 0
		.amdhsa_user_sgpr_kernarg_segment_ptr 1
		.amdhsa_user_sgpr_dispatch_id 0
		.amdhsa_user_sgpr_kernarg_preload_length 0
		.amdhsa_user_sgpr_kernarg_preload_offset 0
		.amdhsa_user_sgpr_private_segment_size 0
		.amdhsa_uses_dynamic_stack 0
		.amdhsa_enable_private_segment 0
		.amdhsa_system_sgpr_workgroup_id_x 1
		.amdhsa_system_sgpr_workgroup_id_y 0
		.amdhsa_system_sgpr_workgroup_id_z 0
		.amdhsa_system_sgpr_workgroup_info 0
		.amdhsa_system_vgpr_workitem_id 0
		.amdhsa_next_free_vgpr 1
		.amdhsa_next_free_sgpr 0
		.amdhsa_accum_offset 4
		.amdhsa_reserve_vcc 0
		.amdhsa_float_round_mode_32 0
		.amdhsa_float_round_mode_16_64 0
		.amdhsa_float_denorm_mode_32 3
		.amdhsa_float_denorm_mode_16_64 3
		.amdhsa_dx10_clamp 1
		.amdhsa_ieee_mode 1
		.amdhsa_fp16_overflow 0
		.amdhsa_tg_split 0
		.amdhsa_exception_fp_ieee_invalid_op 0
		.amdhsa_exception_fp_denorm_src 0
		.amdhsa_exception_fp_ieee_div_zero 0
		.amdhsa_exception_fp_ieee_overflow 0
		.amdhsa_exception_fp_ieee_underflow 0
		.amdhsa_exception_fp_ieee_inexact 0
		.amdhsa_exception_int_div_zero 0
	.end_amdhsa_kernel
	.section	.text._ZN7rocprim17ROCPRIM_400000_NS6detail17trampoline_kernelINS0_14default_configENS1_25partition_config_selectorILNS1_17partition_subalgoE1ExNS0_10empty_typeEbEEZZNS1_14partition_implILS5_1ELb0ES3_jN6thrust23THRUST_200600_302600_NS6detail15normal_iteratorINSA_10device_ptrIxEEEEPS6_NSA_18transform_iteratorINSA_8identityIxEESF_NSA_11use_defaultESK_EENS0_5tupleIJSF_SF_EEENSM_IJSG_SG_EEES6_PlJS6_EEE10hipError_tPvRmT3_T4_T5_T6_T7_T9_mT8_P12ihipStream_tbDpT10_ENKUlT_T0_E_clISt17integral_constantIbLb0EES19_EEDaS14_S15_EUlS14_E_NS1_11comp_targetILNS1_3genE4ELNS1_11target_archE910ELNS1_3gpuE8ELNS1_3repE0EEENS1_30default_config_static_selectorELNS0_4arch9wavefront6targetE1EEEvT1_,"axG",@progbits,_ZN7rocprim17ROCPRIM_400000_NS6detail17trampoline_kernelINS0_14default_configENS1_25partition_config_selectorILNS1_17partition_subalgoE1ExNS0_10empty_typeEbEEZZNS1_14partition_implILS5_1ELb0ES3_jN6thrust23THRUST_200600_302600_NS6detail15normal_iteratorINSA_10device_ptrIxEEEEPS6_NSA_18transform_iteratorINSA_8identityIxEESF_NSA_11use_defaultESK_EENS0_5tupleIJSF_SF_EEENSM_IJSG_SG_EEES6_PlJS6_EEE10hipError_tPvRmT3_T4_T5_T6_T7_T9_mT8_P12ihipStream_tbDpT10_ENKUlT_T0_E_clISt17integral_constantIbLb0EES19_EEDaS14_S15_EUlS14_E_NS1_11comp_targetILNS1_3genE4ELNS1_11target_archE910ELNS1_3gpuE8ELNS1_3repE0EEENS1_30default_config_static_selectorELNS0_4arch9wavefront6targetE1EEEvT1_,comdat
.Lfunc_end579:
	.size	_ZN7rocprim17ROCPRIM_400000_NS6detail17trampoline_kernelINS0_14default_configENS1_25partition_config_selectorILNS1_17partition_subalgoE1ExNS0_10empty_typeEbEEZZNS1_14partition_implILS5_1ELb0ES3_jN6thrust23THRUST_200600_302600_NS6detail15normal_iteratorINSA_10device_ptrIxEEEEPS6_NSA_18transform_iteratorINSA_8identityIxEESF_NSA_11use_defaultESK_EENS0_5tupleIJSF_SF_EEENSM_IJSG_SG_EEES6_PlJS6_EEE10hipError_tPvRmT3_T4_T5_T6_T7_T9_mT8_P12ihipStream_tbDpT10_ENKUlT_T0_E_clISt17integral_constantIbLb0EES19_EEDaS14_S15_EUlS14_E_NS1_11comp_targetILNS1_3genE4ELNS1_11target_archE910ELNS1_3gpuE8ELNS1_3repE0EEENS1_30default_config_static_selectorELNS0_4arch9wavefront6targetE1EEEvT1_, .Lfunc_end579-_ZN7rocprim17ROCPRIM_400000_NS6detail17trampoline_kernelINS0_14default_configENS1_25partition_config_selectorILNS1_17partition_subalgoE1ExNS0_10empty_typeEbEEZZNS1_14partition_implILS5_1ELb0ES3_jN6thrust23THRUST_200600_302600_NS6detail15normal_iteratorINSA_10device_ptrIxEEEEPS6_NSA_18transform_iteratorINSA_8identityIxEESF_NSA_11use_defaultESK_EENS0_5tupleIJSF_SF_EEENSM_IJSG_SG_EEES6_PlJS6_EEE10hipError_tPvRmT3_T4_T5_T6_T7_T9_mT8_P12ihipStream_tbDpT10_ENKUlT_T0_E_clISt17integral_constantIbLb0EES19_EEDaS14_S15_EUlS14_E_NS1_11comp_targetILNS1_3genE4ELNS1_11target_archE910ELNS1_3gpuE8ELNS1_3repE0EEENS1_30default_config_static_selectorELNS0_4arch9wavefront6targetE1EEEvT1_
                                        ; -- End function
	.section	.AMDGPU.csdata,"",@progbits
; Kernel info:
; codeLenInByte = 0
; NumSgprs: 6
; NumVgprs: 0
; NumAgprs: 0
; TotalNumVgprs: 0
; ScratchSize: 0
; MemoryBound: 0
; FloatMode: 240
; IeeeMode: 1
; LDSByteSize: 0 bytes/workgroup (compile time only)
; SGPRBlocks: 0
; VGPRBlocks: 0
; NumSGPRsForWavesPerEU: 6
; NumVGPRsForWavesPerEU: 1
; AccumOffset: 4
; Occupancy: 8
; WaveLimiterHint : 0
; COMPUTE_PGM_RSRC2:SCRATCH_EN: 0
; COMPUTE_PGM_RSRC2:USER_SGPR: 2
; COMPUTE_PGM_RSRC2:TRAP_HANDLER: 0
; COMPUTE_PGM_RSRC2:TGID_X_EN: 1
; COMPUTE_PGM_RSRC2:TGID_Y_EN: 0
; COMPUTE_PGM_RSRC2:TGID_Z_EN: 0
; COMPUTE_PGM_RSRC2:TIDIG_COMP_CNT: 0
; COMPUTE_PGM_RSRC3_GFX90A:ACCUM_OFFSET: 0
; COMPUTE_PGM_RSRC3_GFX90A:TG_SPLIT: 0
	.section	.text._ZN7rocprim17ROCPRIM_400000_NS6detail17trampoline_kernelINS0_14default_configENS1_25partition_config_selectorILNS1_17partition_subalgoE1ExNS0_10empty_typeEbEEZZNS1_14partition_implILS5_1ELb0ES3_jN6thrust23THRUST_200600_302600_NS6detail15normal_iteratorINSA_10device_ptrIxEEEEPS6_NSA_18transform_iteratorINSA_8identityIxEESF_NSA_11use_defaultESK_EENS0_5tupleIJSF_SF_EEENSM_IJSG_SG_EEES6_PlJS6_EEE10hipError_tPvRmT3_T4_T5_T6_T7_T9_mT8_P12ihipStream_tbDpT10_ENKUlT_T0_E_clISt17integral_constantIbLb0EES19_EEDaS14_S15_EUlS14_E_NS1_11comp_targetILNS1_3genE3ELNS1_11target_archE908ELNS1_3gpuE7ELNS1_3repE0EEENS1_30default_config_static_selectorELNS0_4arch9wavefront6targetE1EEEvT1_,"axG",@progbits,_ZN7rocprim17ROCPRIM_400000_NS6detail17trampoline_kernelINS0_14default_configENS1_25partition_config_selectorILNS1_17partition_subalgoE1ExNS0_10empty_typeEbEEZZNS1_14partition_implILS5_1ELb0ES3_jN6thrust23THRUST_200600_302600_NS6detail15normal_iteratorINSA_10device_ptrIxEEEEPS6_NSA_18transform_iteratorINSA_8identityIxEESF_NSA_11use_defaultESK_EENS0_5tupleIJSF_SF_EEENSM_IJSG_SG_EEES6_PlJS6_EEE10hipError_tPvRmT3_T4_T5_T6_T7_T9_mT8_P12ihipStream_tbDpT10_ENKUlT_T0_E_clISt17integral_constantIbLb0EES19_EEDaS14_S15_EUlS14_E_NS1_11comp_targetILNS1_3genE3ELNS1_11target_archE908ELNS1_3gpuE7ELNS1_3repE0EEENS1_30default_config_static_selectorELNS0_4arch9wavefront6targetE1EEEvT1_,comdat
	.protected	_ZN7rocprim17ROCPRIM_400000_NS6detail17trampoline_kernelINS0_14default_configENS1_25partition_config_selectorILNS1_17partition_subalgoE1ExNS0_10empty_typeEbEEZZNS1_14partition_implILS5_1ELb0ES3_jN6thrust23THRUST_200600_302600_NS6detail15normal_iteratorINSA_10device_ptrIxEEEEPS6_NSA_18transform_iteratorINSA_8identityIxEESF_NSA_11use_defaultESK_EENS0_5tupleIJSF_SF_EEENSM_IJSG_SG_EEES6_PlJS6_EEE10hipError_tPvRmT3_T4_T5_T6_T7_T9_mT8_P12ihipStream_tbDpT10_ENKUlT_T0_E_clISt17integral_constantIbLb0EES19_EEDaS14_S15_EUlS14_E_NS1_11comp_targetILNS1_3genE3ELNS1_11target_archE908ELNS1_3gpuE7ELNS1_3repE0EEENS1_30default_config_static_selectorELNS0_4arch9wavefront6targetE1EEEvT1_ ; -- Begin function _ZN7rocprim17ROCPRIM_400000_NS6detail17trampoline_kernelINS0_14default_configENS1_25partition_config_selectorILNS1_17partition_subalgoE1ExNS0_10empty_typeEbEEZZNS1_14partition_implILS5_1ELb0ES3_jN6thrust23THRUST_200600_302600_NS6detail15normal_iteratorINSA_10device_ptrIxEEEEPS6_NSA_18transform_iteratorINSA_8identityIxEESF_NSA_11use_defaultESK_EENS0_5tupleIJSF_SF_EEENSM_IJSG_SG_EEES6_PlJS6_EEE10hipError_tPvRmT3_T4_T5_T6_T7_T9_mT8_P12ihipStream_tbDpT10_ENKUlT_T0_E_clISt17integral_constantIbLb0EES19_EEDaS14_S15_EUlS14_E_NS1_11comp_targetILNS1_3genE3ELNS1_11target_archE908ELNS1_3gpuE7ELNS1_3repE0EEENS1_30default_config_static_selectorELNS0_4arch9wavefront6targetE1EEEvT1_
	.globl	_ZN7rocprim17ROCPRIM_400000_NS6detail17trampoline_kernelINS0_14default_configENS1_25partition_config_selectorILNS1_17partition_subalgoE1ExNS0_10empty_typeEbEEZZNS1_14partition_implILS5_1ELb0ES3_jN6thrust23THRUST_200600_302600_NS6detail15normal_iteratorINSA_10device_ptrIxEEEEPS6_NSA_18transform_iteratorINSA_8identityIxEESF_NSA_11use_defaultESK_EENS0_5tupleIJSF_SF_EEENSM_IJSG_SG_EEES6_PlJS6_EEE10hipError_tPvRmT3_T4_T5_T6_T7_T9_mT8_P12ihipStream_tbDpT10_ENKUlT_T0_E_clISt17integral_constantIbLb0EES19_EEDaS14_S15_EUlS14_E_NS1_11comp_targetILNS1_3genE3ELNS1_11target_archE908ELNS1_3gpuE7ELNS1_3repE0EEENS1_30default_config_static_selectorELNS0_4arch9wavefront6targetE1EEEvT1_
	.p2align	8
	.type	_ZN7rocprim17ROCPRIM_400000_NS6detail17trampoline_kernelINS0_14default_configENS1_25partition_config_selectorILNS1_17partition_subalgoE1ExNS0_10empty_typeEbEEZZNS1_14partition_implILS5_1ELb0ES3_jN6thrust23THRUST_200600_302600_NS6detail15normal_iteratorINSA_10device_ptrIxEEEEPS6_NSA_18transform_iteratorINSA_8identityIxEESF_NSA_11use_defaultESK_EENS0_5tupleIJSF_SF_EEENSM_IJSG_SG_EEES6_PlJS6_EEE10hipError_tPvRmT3_T4_T5_T6_T7_T9_mT8_P12ihipStream_tbDpT10_ENKUlT_T0_E_clISt17integral_constantIbLb0EES19_EEDaS14_S15_EUlS14_E_NS1_11comp_targetILNS1_3genE3ELNS1_11target_archE908ELNS1_3gpuE7ELNS1_3repE0EEENS1_30default_config_static_selectorELNS0_4arch9wavefront6targetE1EEEvT1_,@function
_ZN7rocprim17ROCPRIM_400000_NS6detail17trampoline_kernelINS0_14default_configENS1_25partition_config_selectorILNS1_17partition_subalgoE1ExNS0_10empty_typeEbEEZZNS1_14partition_implILS5_1ELb0ES3_jN6thrust23THRUST_200600_302600_NS6detail15normal_iteratorINSA_10device_ptrIxEEEEPS6_NSA_18transform_iteratorINSA_8identityIxEESF_NSA_11use_defaultESK_EENS0_5tupleIJSF_SF_EEENSM_IJSG_SG_EEES6_PlJS6_EEE10hipError_tPvRmT3_T4_T5_T6_T7_T9_mT8_P12ihipStream_tbDpT10_ENKUlT_T0_E_clISt17integral_constantIbLb0EES19_EEDaS14_S15_EUlS14_E_NS1_11comp_targetILNS1_3genE3ELNS1_11target_archE908ELNS1_3gpuE7ELNS1_3repE0EEENS1_30default_config_static_selectorELNS0_4arch9wavefront6targetE1EEEvT1_: ; @_ZN7rocprim17ROCPRIM_400000_NS6detail17trampoline_kernelINS0_14default_configENS1_25partition_config_selectorILNS1_17partition_subalgoE1ExNS0_10empty_typeEbEEZZNS1_14partition_implILS5_1ELb0ES3_jN6thrust23THRUST_200600_302600_NS6detail15normal_iteratorINSA_10device_ptrIxEEEEPS6_NSA_18transform_iteratorINSA_8identityIxEESF_NSA_11use_defaultESK_EENS0_5tupleIJSF_SF_EEENSM_IJSG_SG_EEES6_PlJS6_EEE10hipError_tPvRmT3_T4_T5_T6_T7_T9_mT8_P12ihipStream_tbDpT10_ENKUlT_T0_E_clISt17integral_constantIbLb0EES19_EEDaS14_S15_EUlS14_E_NS1_11comp_targetILNS1_3genE3ELNS1_11target_archE908ELNS1_3gpuE7ELNS1_3repE0EEENS1_30default_config_static_selectorELNS0_4arch9wavefront6targetE1EEEvT1_
; %bb.0:
	.section	.rodata,"a",@progbits
	.p2align	6, 0x0
	.amdhsa_kernel _ZN7rocprim17ROCPRIM_400000_NS6detail17trampoline_kernelINS0_14default_configENS1_25partition_config_selectorILNS1_17partition_subalgoE1ExNS0_10empty_typeEbEEZZNS1_14partition_implILS5_1ELb0ES3_jN6thrust23THRUST_200600_302600_NS6detail15normal_iteratorINSA_10device_ptrIxEEEEPS6_NSA_18transform_iteratorINSA_8identityIxEESF_NSA_11use_defaultESK_EENS0_5tupleIJSF_SF_EEENSM_IJSG_SG_EEES6_PlJS6_EEE10hipError_tPvRmT3_T4_T5_T6_T7_T9_mT8_P12ihipStream_tbDpT10_ENKUlT_T0_E_clISt17integral_constantIbLb0EES19_EEDaS14_S15_EUlS14_E_NS1_11comp_targetILNS1_3genE3ELNS1_11target_archE908ELNS1_3gpuE7ELNS1_3repE0EEENS1_30default_config_static_selectorELNS0_4arch9wavefront6targetE1EEEvT1_
		.amdhsa_group_segment_fixed_size 0
		.amdhsa_private_segment_fixed_size 0
		.amdhsa_kernarg_size 128
		.amdhsa_user_sgpr_count 2
		.amdhsa_user_sgpr_dispatch_ptr 0
		.amdhsa_user_sgpr_queue_ptr 0
		.amdhsa_user_sgpr_kernarg_segment_ptr 1
		.amdhsa_user_sgpr_dispatch_id 0
		.amdhsa_user_sgpr_kernarg_preload_length 0
		.amdhsa_user_sgpr_kernarg_preload_offset 0
		.amdhsa_user_sgpr_private_segment_size 0
		.amdhsa_uses_dynamic_stack 0
		.amdhsa_enable_private_segment 0
		.amdhsa_system_sgpr_workgroup_id_x 1
		.amdhsa_system_sgpr_workgroup_id_y 0
		.amdhsa_system_sgpr_workgroup_id_z 0
		.amdhsa_system_sgpr_workgroup_info 0
		.amdhsa_system_vgpr_workitem_id 0
		.amdhsa_next_free_vgpr 1
		.amdhsa_next_free_sgpr 0
		.amdhsa_accum_offset 4
		.amdhsa_reserve_vcc 0
		.amdhsa_float_round_mode_32 0
		.amdhsa_float_round_mode_16_64 0
		.amdhsa_float_denorm_mode_32 3
		.amdhsa_float_denorm_mode_16_64 3
		.amdhsa_dx10_clamp 1
		.amdhsa_ieee_mode 1
		.amdhsa_fp16_overflow 0
		.amdhsa_tg_split 0
		.amdhsa_exception_fp_ieee_invalid_op 0
		.amdhsa_exception_fp_denorm_src 0
		.amdhsa_exception_fp_ieee_div_zero 0
		.amdhsa_exception_fp_ieee_overflow 0
		.amdhsa_exception_fp_ieee_underflow 0
		.amdhsa_exception_fp_ieee_inexact 0
		.amdhsa_exception_int_div_zero 0
	.end_amdhsa_kernel
	.section	.text._ZN7rocprim17ROCPRIM_400000_NS6detail17trampoline_kernelINS0_14default_configENS1_25partition_config_selectorILNS1_17partition_subalgoE1ExNS0_10empty_typeEbEEZZNS1_14partition_implILS5_1ELb0ES3_jN6thrust23THRUST_200600_302600_NS6detail15normal_iteratorINSA_10device_ptrIxEEEEPS6_NSA_18transform_iteratorINSA_8identityIxEESF_NSA_11use_defaultESK_EENS0_5tupleIJSF_SF_EEENSM_IJSG_SG_EEES6_PlJS6_EEE10hipError_tPvRmT3_T4_T5_T6_T7_T9_mT8_P12ihipStream_tbDpT10_ENKUlT_T0_E_clISt17integral_constantIbLb0EES19_EEDaS14_S15_EUlS14_E_NS1_11comp_targetILNS1_3genE3ELNS1_11target_archE908ELNS1_3gpuE7ELNS1_3repE0EEENS1_30default_config_static_selectorELNS0_4arch9wavefront6targetE1EEEvT1_,"axG",@progbits,_ZN7rocprim17ROCPRIM_400000_NS6detail17trampoline_kernelINS0_14default_configENS1_25partition_config_selectorILNS1_17partition_subalgoE1ExNS0_10empty_typeEbEEZZNS1_14partition_implILS5_1ELb0ES3_jN6thrust23THRUST_200600_302600_NS6detail15normal_iteratorINSA_10device_ptrIxEEEEPS6_NSA_18transform_iteratorINSA_8identityIxEESF_NSA_11use_defaultESK_EENS0_5tupleIJSF_SF_EEENSM_IJSG_SG_EEES6_PlJS6_EEE10hipError_tPvRmT3_T4_T5_T6_T7_T9_mT8_P12ihipStream_tbDpT10_ENKUlT_T0_E_clISt17integral_constantIbLb0EES19_EEDaS14_S15_EUlS14_E_NS1_11comp_targetILNS1_3genE3ELNS1_11target_archE908ELNS1_3gpuE7ELNS1_3repE0EEENS1_30default_config_static_selectorELNS0_4arch9wavefront6targetE1EEEvT1_,comdat
.Lfunc_end580:
	.size	_ZN7rocprim17ROCPRIM_400000_NS6detail17trampoline_kernelINS0_14default_configENS1_25partition_config_selectorILNS1_17partition_subalgoE1ExNS0_10empty_typeEbEEZZNS1_14partition_implILS5_1ELb0ES3_jN6thrust23THRUST_200600_302600_NS6detail15normal_iteratorINSA_10device_ptrIxEEEEPS6_NSA_18transform_iteratorINSA_8identityIxEESF_NSA_11use_defaultESK_EENS0_5tupleIJSF_SF_EEENSM_IJSG_SG_EEES6_PlJS6_EEE10hipError_tPvRmT3_T4_T5_T6_T7_T9_mT8_P12ihipStream_tbDpT10_ENKUlT_T0_E_clISt17integral_constantIbLb0EES19_EEDaS14_S15_EUlS14_E_NS1_11comp_targetILNS1_3genE3ELNS1_11target_archE908ELNS1_3gpuE7ELNS1_3repE0EEENS1_30default_config_static_selectorELNS0_4arch9wavefront6targetE1EEEvT1_, .Lfunc_end580-_ZN7rocprim17ROCPRIM_400000_NS6detail17trampoline_kernelINS0_14default_configENS1_25partition_config_selectorILNS1_17partition_subalgoE1ExNS0_10empty_typeEbEEZZNS1_14partition_implILS5_1ELb0ES3_jN6thrust23THRUST_200600_302600_NS6detail15normal_iteratorINSA_10device_ptrIxEEEEPS6_NSA_18transform_iteratorINSA_8identityIxEESF_NSA_11use_defaultESK_EENS0_5tupleIJSF_SF_EEENSM_IJSG_SG_EEES6_PlJS6_EEE10hipError_tPvRmT3_T4_T5_T6_T7_T9_mT8_P12ihipStream_tbDpT10_ENKUlT_T0_E_clISt17integral_constantIbLb0EES19_EEDaS14_S15_EUlS14_E_NS1_11comp_targetILNS1_3genE3ELNS1_11target_archE908ELNS1_3gpuE7ELNS1_3repE0EEENS1_30default_config_static_selectorELNS0_4arch9wavefront6targetE1EEEvT1_
                                        ; -- End function
	.section	.AMDGPU.csdata,"",@progbits
; Kernel info:
; codeLenInByte = 0
; NumSgprs: 6
; NumVgprs: 0
; NumAgprs: 0
; TotalNumVgprs: 0
; ScratchSize: 0
; MemoryBound: 0
; FloatMode: 240
; IeeeMode: 1
; LDSByteSize: 0 bytes/workgroup (compile time only)
; SGPRBlocks: 0
; VGPRBlocks: 0
; NumSGPRsForWavesPerEU: 6
; NumVGPRsForWavesPerEU: 1
; AccumOffset: 4
; Occupancy: 8
; WaveLimiterHint : 0
; COMPUTE_PGM_RSRC2:SCRATCH_EN: 0
; COMPUTE_PGM_RSRC2:USER_SGPR: 2
; COMPUTE_PGM_RSRC2:TRAP_HANDLER: 0
; COMPUTE_PGM_RSRC2:TGID_X_EN: 1
; COMPUTE_PGM_RSRC2:TGID_Y_EN: 0
; COMPUTE_PGM_RSRC2:TGID_Z_EN: 0
; COMPUTE_PGM_RSRC2:TIDIG_COMP_CNT: 0
; COMPUTE_PGM_RSRC3_GFX90A:ACCUM_OFFSET: 0
; COMPUTE_PGM_RSRC3_GFX90A:TG_SPLIT: 0
	.section	.text._ZN7rocprim17ROCPRIM_400000_NS6detail17trampoline_kernelINS0_14default_configENS1_25partition_config_selectorILNS1_17partition_subalgoE1ExNS0_10empty_typeEbEEZZNS1_14partition_implILS5_1ELb0ES3_jN6thrust23THRUST_200600_302600_NS6detail15normal_iteratorINSA_10device_ptrIxEEEEPS6_NSA_18transform_iteratorINSA_8identityIxEESF_NSA_11use_defaultESK_EENS0_5tupleIJSF_SF_EEENSM_IJSG_SG_EEES6_PlJS6_EEE10hipError_tPvRmT3_T4_T5_T6_T7_T9_mT8_P12ihipStream_tbDpT10_ENKUlT_T0_E_clISt17integral_constantIbLb0EES19_EEDaS14_S15_EUlS14_E_NS1_11comp_targetILNS1_3genE2ELNS1_11target_archE906ELNS1_3gpuE6ELNS1_3repE0EEENS1_30default_config_static_selectorELNS0_4arch9wavefront6targetE1EEEvT1_,"axG",@progbits,_ZN7rocprim17ROCPRIM_400000_NS6detail17trampoline_kernelINS0_14default_configENS1_25partition_config_selectorILNS1_17partition_subalgoE1ExNS0_10empty_typeEbEEZZNS1_14partition_implILS5_1ELb0ES3_jN6thrust23THRUST_200600_302600_NS6detail15normal_iteratorINSA_10device_ptrIxEEEEPS6_NSA_18transform_iteratorINSA_8identityIxEESF_NSA_11use_defaultESK_EENS0_5tupleIJSF_SF_EEENSM_IJSG_SG_EEES6_PlJS6_EEE10hipError_tPvRmT3_T4_T5_T6_T7_T9_mT8_P12ihipStream_tbDpT10_ENKUlT_T0_E_clISt17integral_constantIbLb0EES19_EEDaS14_S15_EUlS14_E_NS1_11comp_targetILNS1_3genE2ELNS1_11target_archE906ELNS1_3gpuE6ELNS1_3repE0EEENS1_30default_config_static_selectorELNS0_4arch9wavefront6targetE1EEEvT1_,comdat
	.protected	_ZN7rocprim17ROCPRIM_400000_NS6detail17trampoline_kernelINS0_14default_configENS1_25partition_config_selectorILNS1_17partition_subalgoE1ExNS0_10empty_typeEbEEZZNS1_14partition_implILS5_1ELb0ES3_jN6thrust23THRUST_200600_302600_NS6detail15normal_iteratorINSA_10device_ptrIxEEEEPS6_NSA_18transform_iteratorINSA_8identityIxEESF_NSA_11use_defaultESK_EENS0_5tupleIJSF_SF_EEENSM_IJSG_SG_EEES6_PlJS6_EEE10hipError_tPvRmT3_T4_T5_T6_T7_T9_mT8_P12ihipStream_tbDpT10_ENKUlT_T0_E_clISt17integral_constantIbLb0EES19_EEDaS14_S15_EUlS14_E_NS1_11comp_targetILNS1_3genE2ELNS1_11target_archE906ELNS1_3gpuE6ELNS1_3repE0EEENS1_30default_config_static_selectorELNS0_4arch9wavefront6targetE1EEEvT1_ ; -- Begin function _ZN7rocprim17ROCPRIM_400000_NS6detail17trampoline_kernelINS0_14default_configENS1_25partition_config_selectorILNS1_17partition_subalgoE1ExNS0_10empty_typeEbEEZZNS1_14partition_implILS5_1ELb0ES3_jN6thrust23THRUST_200600_302600_NS6detail15normal_iteratorINSA_10device_ptrIxEEEEPS6_NSA_18transform_iteratorINSA_8identityIxEESF_NSA_11use_defaultESK_EENS0_5tupleIJSF_SF_EEENSM_IJSG_SG_EEES6_PlJS6_EEE10hipError_tPvRmT3_T4_T5_T6_T7_T9_mT8_P12ihipStream_tbDpT10_ENKUlT_T0_E_clISt17integral_constantIbLb0EES19_EEDaS14_S15_EUlS14_E_NS1_11comp_targetILNS1_3genE2ELNS1_11target_archE906ELNS1_3gpuE6ELNS1_3repE0EEENS1_30default_config_static_selectorELNS0_4arch9wavefront6targetE1EEEvT1_
	.globl	_ZN7rocprim17ROCPRIM_400000_NS6detail17trampoline_kernelINS0_14default_configENS1_25partition_config_selectorILNS1_17partition_subalgoE1ExNS0_10empty_typeEbEEZZNS1_14partition_implILS5_1ELb0ES3_jN6thrust23THRUST_200600_302600_NS6detail15normal_iteratorINSA_10device_ptrIxEEEEPS6_NSA_18transform_iteratorINSA_8identityIxEESF_NSA_11use_defaultESK_EENS0_5tupleIJSF_SF_EEENSM_IJSG_SG_EEES6_PlJS6_EEE10hipError_tPvRmT3_T4_T5_T6_T7_T9_mT8_P12ihipStream_tbDpT10_ENKUlT_T0_E_clISt17integral_constantIbLb0EES19_EEDaS14_S15_EUlS14_E_NS1_11comp_targetILNS1_3genE2ELNS1_11target_archE906ELNS1_3gpuE6ELNS1_3repE0EEENS1_30default_config_static_selectorELNS0_4arch9wavefront6targetE1EEEvT1_
	.p2align	8
	.type	_ZN7rocprim17ROCPRIM_400000_NS6detail17trampoline_kernelINS0_14default_configENS1_25partition_config_selectorILNS1_17partition_subalgoE1ExNS0_10empty_typeEbEEZZNS1_14partition_implILS5_1ELb0ES3_jN6thrust23THRUST_200600_302600_NS6detail15normal_iteratorINSA_10device_ptrIxEEEEPS6_NSA_18transform_iteratorINSA_8identityIxEESF_NSA_11use_defaultESK_EENS0_5tupleIJSF_SF_EEENSM_IJSG_SG_EEES6_PlJS6_EEE10hipError_tPvRmT3_T4_T5_T6_T7_T9_mT8_P12ihipStream_tbDpT10_ENKUlT_T0_E_clISt17integral_constantIbLb0EES19_EEDaS14_S15_EUlS14_E_NS1_11comp_targetILNS1_3genE2ELNS1_11target_archE906ELNS1_3gpuE6ELNS1_3repE0EEENS1_30default_config_static_selectorELNS0_4arch9wavefront6targetE1EEEvT1_,@function
_ZN7rocprim17ROCPRIM_400000_NS6detail17trampoline_kernelINS0_14default_configENS1_25partition_config_selectorILNS1_17partition_subalgoE1ExNS0_10empty_typeEbEEZZNS1_14partition_implILS5_1ELb0ES3_jN6thrust23THRUST_200600_302600_NS6detail15normal_iteratorINSA_10device_ptrIxEEEEPS6_NSA_18transform_iteratorINSA_8identityIxEESF_NSA_11use_defaultESK_EENS0_5tupleIJSF_SF_EEENSM_IJSG_SG_EEES6_PlJS6_EEE10hipError_tPvRmT3_T4_T5_T6_T7_T9_mT8_P12ihipStream_tbDpT10_ENKUlT_T0_E_clISt17integral_constantIbLb0EES19_EEDaS14_S15_EUlS14_E_NS1_11comp_targetILNS1_3genE2ELNS1_11target_archE906ELNS1_3gpuE6ELNS1_3repE0EEENS1_30default_config_static_selectorELNS0_4arch9wavefront6targetE1EEEvT1_: ; @_ZN7rocprim17ROCPRIM_400000_NS6detail17trampoline_kernelINS0_14default_configENS1_25partition_config_selectorILNS1_17partition_subalgoE1ExNS0_10empty_typeEbEEZZNS1_14partition_implILS5_1ELb0ES3_jN6thrust23THRUST_200600_302600_NS6detail15normal_iteratorINSA_10device_ptrIxEEEEPS6_NSA_18transform_iteratorINSA_8identityIxEESF_NSA_11use_defaultESK_EENS0_5tupleIJSF_SF_EEENSM_IJSG_SG_EEES6_PlJS6_EEE10hipError_tPvRmT3_T4_T5_T6_T7_T9_mT8_P12ihipStream_tbDpT10_ENKUlT_T0_E_clISt17integral_constantIbLb0EES19_EEDaS14_S15_EUlS14_E_NS1_11comp_targetILNS1_3genE2ELNS1_11target_archE906ELNS1_3gpuE6ELNS1_3repE0EEENS1_30default_config_static_selectorELNS0_4arch9wavefront6targetE1EEEvT1_
; %bb.0:
	.section	.rodata,"a",@progbits
	.p2align	6, 0x0
	.amdhsa_kernel _ZN7rocprim17ROCPRIM_400000_NS6detail17trampoline_kernelINS0_14default_configENS1_25partition_config_selectorILNS1_17partition_subalgoE1ExNS0_10empty_typeEbEEZZNS1_14partition_implILS5_1ELb0ES3_jN6thrust23THRUST_200600_302600_NS6detail15normal_iteratorINSA_10device_ptrIxEEEEPS6_NSA_18transform_iteratorINSA_8identityIxEESF_NSA_11use_defaultESK_EENS0_5tupleIJSF_SF_EEENSM_IJSG_SG_EEES6_PlJS6_EEE10hipError_tPvRmT3_T4_T5_T6_T7_T9_mT8_P12ihipStream_tbDpT10_ENKUlT_T0_E_clISt17integral_constantIbLb0EES19_EEDaS14_S15_EUlS14_E_NS1_11comp_targetILNS1_3genE2ELNS1_11target_archE906ELNS1_3gpuE6ELNS1_3repE0EEENS1_30default_config_static_selectorELNS0_4arch9wavefront6targetE1EEEvT1_
		.amdhsa_group_segment_fixed_size 0
		.amdhsa_private_segment_fixed_size 0
		.amdhsa_kernarg_size 128
		.amdhsa_user_sgpr_count 2
		.amdhsa_user_sgpr_dispatch_ptr 0
		.amdhsa_user_sgpr_queue_ptr 0
		.amdhsa_user_sgpr_kernarg_segment_ptr 1
		.amdhsa_user_sgpr_dispatch_id 0
		.amdhsa_user_sgpr_kernarg_preload_length 0
		.amdhsa_user_sgpr_kernarg_preload_offset 0
		.amdhsa_user_sgpr_private_segment_size 0
		.amdhsa_uses_dynamic_stack 0
		.amdhsa_enable_private_segment 0
		.amdhsa_system_sgpr_workgroup_id_x 1
		.amdhsa_system_sgpr_workgroup_id_y 0
		.amdhsa_system_sgpr_workgroup_id_z 0
		.amdhsa_system_sgpr_workgroup_info 0
		.amdhsa_system_vgpr_workitem_id 0
		.amdhsa_next_free_vgpr 1
		.amdhsa_next_free_sgpr 0
		.amdhsa_accum_offset 4
		.amdhsa_reserve_vcc 0
		.amdhsa_float_round_mode_32 0
		.amdhsa_float_round_mode_16_64 0
		.amdhsa_float_denorm_mode_32 3
		.amdhsa_float_denorm_mode_16_64 3
		.amdhsa_dx10_clamp 1
		.amdhsa_ieee_mode 1
		.amdhsa_fp16_overflow 0
		.amdhsa_tg_split 0
		.amdhsa_exception_fp_ieee_invalid_op 0
		.amdhsa_exception_fp_denorm_src 0
		.amdhsa_exception_fp_ieee_div_zero 0
		.amdhsa_exception_fp_ieee_overflow 0
		.amdhsa_exception_fp_ieee_underflow 0
		.amdhsa_exception_fp_ieee_inexact 0
		.amdhsa_exception_int_div_zero 0
	.end_amdhsa_kernel
	.section	.text._ZN7rocprim17ROCPRIM_400000_NS6detail17trampoline_kernelINS0_14default_configENS1_25partition_config_selectorILNS1_17partition_subalgoE1ExNS0_10empty_typeEbEEZZNS1_14partition_implILS5_1ELb0ES3_jN6thrust23THRUST_200600_302600_NS6detail15normal_iteratorINSA_10device_ptrIxEEEEPS6_NSA_18transform_iteratorINSA_8identityIxEESF_NSA_11use_defaultESK_EENS0_5tupleIJSF_SF_EEENSM_IJSG_SG_EEES6_PlJS6_EEE10hipError_tPvRmT3_T4_T5_T6_T7_T9_mT8_P12ihipStream_tbDpT10_ENKUlT_T0_E_clISt17integral_constantIbLb0EES19_EEDaS14_S15_EUlS14_E_NS1_11comp_targetILNS1_3genE2ELNS1_11target_archE906ELNS1_3gpuE6ELNS1_3repE0EEENS1_30default_config_static_selectorELNS0_4arch9wavefront6targetE1EEEvT1_,"axG",@progbits,_ZN7rocprim17ROCPRIM_400000_NS6detail17trampoline_kernelINS0_14default_configENS1_25partition_config_selectorILNS1_17partition_subalgoE1ExNS0_10empty_typeEbEEZZNS1_14partition_implILS5_1ELb0ES3_jN6thrust23THRUST_200600_302600_NS6detail15normal_iteratorINSA_10device_ptrIxEEEEPS6_NSA_18transform_iteratorINSA_8identityIxEESF_NSA_11use_defaultESK_EENS0_5tupleIJSF_SF_EEENSM_IJSG_SG_EEES6_PlJS6_EEE10hipError_tPvRmT3_T4_T5_T6_T7_T9_mT8_P12ihipStream_tbDpT10_ENKUlT_T0_E_clISt17integral_constantIbLb0EES19_EEDaS14_S15_EUlS14_E_NS1_11comp_targetILNS1_3genE2ELNS1_11target_archE906ELNS1_3gpuE6ELNS1_3repE0EEENS1_30default_config_static_selectorELNS0_4arch9wavefront6targetE1EEEvT1_,comdat
.Lfunc_end581:
	.size	_ZN7rocprim17ROCPRIM_400000_NS6detail17trampoline_kernelINS0_14default_configENS1_25partition_config_selectorILNS1_17partition_subalgoE1ExNS0_10empty_typeEbEEZZNS1_14partition_implILS5_1ELb0ES3_jN6thrust23THRUST_200600_302600_NS6detail15normal_iteratorINSA_10device_ptrIxEEEEPS6_NSA_18transform_iteratorINSA_8identityIxEESF_NSA_11use_defaultESK_EENS0_5tupleIJSF_SF_EEENSM_IJSG_SG_EEES6_PlJS6_EEE10hipError_tPvRmT3_T4_T5_T6_T7_T9_mT8_P12ihipStream_tbDpT10_ENKUlT_T0_E_clISt17integral_constantIbLb0EES19_EEDaS14_S15_EUlS14_E_NS1_11comp_targetILNS1_3genE2ELNS1_11target_archE906ELNS1_3gpuE6ELNS1_3repE0EEENS1_30default_config_static_selectorELNS0_4arch9wavefront6targetE1EEEvT1_, .Lfunc_end581-_ZN7rocprim17ROCPRIM_400000_NS6detail17trampoline_kernelINS0_14default_configENS1_25partition_config_selectorILNS1_17partition_subalgoE1ExNS0_10empty_typeEbEEZZNS1_14partition_implILS5_1ELb0ES3_jN6thrust23THRUST_200600_302600_NS6detail15normal_iteratorINSA_10device_ptrIxEEEEPS6_NSA_18transform_iteratorINSA_8identityIxEESF_NSA_11use_defaultESK_EENS0_5tupleIJSF_SF_EEENSM_IJSG_SG_EEES6_PlJS6_EEE10hipError_tPvRmT3_T4_T5_T6_T7_T9_mT8_P12ihipStream_tbDpT10_ENKUlT_T0_E_clISt17integral_constantIbLb0EES19_EEDaS14_S15_EUlS14_E_NS1_11comp_targetILNS1_3genE2ELNS1_11target_archE906ELNS1_3gpuE6ELNS1_3repE0EEENS1_30default_config_static_selectorELNS0_4arch9wavefront6targetE1EEEvT1_
                                        ; -- End function
	.section	.AMDGPU.csdata,"",@progbits
; Kernel info:
; codeLenInByte = 0
; NumSgprs: 6
; NumVgprs: 0
; NumAgprs: 0
; TotalNumVgprs: 0
; ScratchSize: 0
; MemoryBound: 0
; FloatMode: 240
; IeeeMode: 1
; LDSByteSize: 0 bytes/workgroup (compile time only)
; SGPRBlocks: 0
; VGPRBlocks: 0
; NumSGPRsForWavesPerEU: 6
; NumVGPRsForWavesPerEU: 1
; AccumOffset: 4
; Occupancy: 8
; WaveLimiterHint : 0
; COMPUTE_PGM_RSRC2:SCRATCH_EN: 0
; COMPUTE_PGM_RSRC2:USER_SGPR: 2
; COMPUTE_PGM_RSRC2:TRAP_HANDLER: 0
; COMPUTE_PGM_RSRC2:TGID_X_EN: 1
; COMPUTE_PGM_RSRC2:TGID_Y_EN: 0
; COMPUTE_PGM_RSRC2:TGID_Z_EN: 0
; COMPUTE_PGM_RSRC2:TIDIG_COMP_CNT: 0
; COMPUTE_PGM_RSRC3_GFX90A:ACCUM_OFFSET: 0
; COMPUTE_PGM_RSRC3_GFX90A:TG_SPLIT: 0
	.section	.text._ZN7rocprim17ROCPRIM_400000_NS6detail17trampoline_kernelINS0_14default_configENS1_25partition_config_selectorILNS1_17partition_subalgoE1ExNS0_10empty_typeEbEEZZNS1_14partition_implILS5_1ELb0ES3_jN6thrust23THRUST_200600_302600_NS6detail15normal_iteratorINSA_10device_ptrIxEEEEPS6_NSA_18transform_iteratorINSA_8identityIxEESF_NSA_11use_defaultESK_EENS0_5tupleIJSF_SF_EEENSM_IJSG_SG_EEES6_PlJS6_EEE10hipError_tPvRmT3_T4_T5_T6_T7_T9_mT8_P12ihipStream_tbDpT10_ENKUlT_T0_E_clISt17integral_constantIbLb0EES19_EEDaS14_S15_EUlS14_E_NS1_11comp_targetILNS1_3genE10ELNS1_11target_archE1200ELNS1_3gpuE4ELNS1_3repE0EEENS1_30default_config_static_selectorELNS0_4arch9wavefront6targetE1EEEvT1_,"axG",@progbits,_ZN7rocprim17ROCPRIM_400000_NS6detail17trampoline_kernelINS0_14default_configENS1_25partition_config_selectorILNS1_17partition_subalgoE1ExNS0_10empty_typeEbEEZZNS1_14partition_implILS5_1ELb0ES3_jN6thrust23THRUST_200600_302600_NS6detail15normal_iteratorINSA_10device_ptrIxEEEEPS6_NSA_18transform_iteratorINSA_8identityIxEESF_NSA_11use_defaultESK_EENS0_5tupleIJSF_SF_EEENSM_IJSG_SG_EEES6_PlJS6_EEE10hipError_tPvRmT3_T4_T5_T6_T7_T9_mT8_P12ihipStream_tbDpT10_ENKUlT_T0_E_clISt17integral_constantIbLb0EES19_EEDaS14_S15_EUlS14_E_NS1_11comp_targetILNS1_3genE10ELNS1_11target_archE1200ELNS1_3gpuE4ELNS1_3repE0EEENS1_30default_config_static_selectorELNS0_4arch9wavefront6targetE1EEEvT1_,comdat
	.protected	_ZN7rocprim17ROCPRIM_400000_NS6detail17trampoline_kernelINS0_14default_configENS1_25partition_config_selectorILNS1_17partition_subalgoE1ExNS0_10empty_typeEbEEZZNS1_14partition_implILS5_1ELb0ES3_jN6thrust23THRUST_200600_302600_NS6detail15normal_iteratorINSA_10device_ptrIxEEEEPS6_NSA_18transform_iteratorINSA_8identityIxEESF_NSA_11use_defaultESK_EENS0_5tupleIJSF_SF_EEENSM_IJSG_SG_EEES6_PlJS6_EEE10hipError_tPvRmT3_T4_T5_T6_T7_T9_mT8_P12ihipStream_tbDpT10_ENKUlT_T0_E_clISt17integral_constantIbLb0EES19_EEDaS14_S15_EUlS14_E_NS1_11comp_targetILNS1_3genE10ELNS1_11target_archE1200ELNS1_3gpuE4ELNS1_3repE0EEENS1_30default_config_static_selectorELNS0_4arch9wavefront6targetE1EEEvT1_ ; -- Begin function _ZN7rocprim17ROCPRIM_400000_NS6detail17trampoline_kernelINS0_14default_configENS1_25partition_config_selectorILNS1_17partition_subalgoE1ExNS0_10empty_typeEbEEZZNS1_14partition_implILS5_1ELb0ES3_jN6thrust23THRUST_200600_302600_NS6detail15normal_iteratorINSA_10device_ptrIxEEEEPS6_NSA_18transform_iteratorINSA_8identityIxEESF_NSA_11use_defaultESK_EENS0_5tupleIJSF_SF_EEENSM_IJSG_SG_EEES6_PlJS6_EEE10hipError_tPvRmT3_T4_T5_T6_T7_T9_mT8_P12ihipStream_tbDpT10_ENKUlT_T0_E_clISt17integral_constantIbLb0EES19_EEDaS14_S15_EUlS14_E_NS1_11comp_targetILNS1_3genE10ELNS1_11target_archE1200ELNS1_3gpuE4ELNS1_3repE0EEENS1_30default_config_static_selectorELNS0_4arch9wavefront6targetE1EEEvT1_
	.globl	_ZN7rocprim17ROCPRIM_400000_NS6detail17trampoline_kernelINS0_14default_configENS1_25partition_config_selectorILNS1_17partition_subalgoE1ExNS0_10empty_typeEbEEZZNS1_14partition_implILS5_1ELb0ES3_jN6thrust23THRUST_200600_302600_NS6detail15normal_iteratorINSA_10device_ptrIxEEEEPS6_NSA_18transform_iteratorINSA_8identityIxEESF_NSA_11use_defaultESK_EENS0_5tupleIJSF_SF_EEENSM_IJSG_SG_EEES6_PlJS6_EEE10hipError_tPvRmT3_T4_T5_T6_T7_T9_mT8_P12ihipStream_tbDpT10_ENKUlT_T0_E_clISt17integral_constantIbLb0EES19_EEDaS14_S15_EUlS14_E_NS1_11comp_targetILNS1_3genE10ELNS1_11target_archE1200ELNS1_3gpuE4ELNS1_3repE0EEENS1_30default_config_static_selectorELNS0_4arch9wavefront6targetE1EEEvT1_
	.p2align	8
	.type	_ZN7rocprim17ROCPRIM_400000_NS6detail17trampoline_kernelINS0_14default_configENS1_25partition_config_selectorILNS1_17partition_subalgoE1ExNS0_10empty_typeEbEEZZNS1_14partition_implILS5_1ELb0ES3_jN6thrust23THRUST_200600_302600_NS6detail15normal_iteratorINSA_10device_ptrIxEEEEPS6_NSA_18transform_iteratorINSA_8identityIxEESF_NSA_11use_defaultESK_EENS0_5tupleIJSF_SF_EEENSM_IJSG_SG_EEES6_PlJS6_EEE10hipError_tPvRmT3_T4_T5_T6_T7_T9_mT8_P12ihipStream_tbDpT10_ENKUlT_T0_E_clISt17integral_constantIbLb0EES19_EEDaS14_S15_EUlS14_E_NS1_11comp_targetILNS1_3genE10ELNS1_11target_archE1200ELNS1_3gpuE4ELNS1_3repE0EEENS1_30default_config_static_selectorELNS0_4arch9wavefront6targetE1EEEvT1_,@function
_ZN7rocprim17ROCPRIM_400000_NS6detail17trampoline_kernelINS0_14default_configENS1_25partition_config_selectorILNS1_17partition_subalgoE1ExNS0_10empty_typeEbEEZZNS1_14partition_implILS5_1ELb0ES3_jN6thrust23THRUST_200600_302600_NS6detail15normal_iteratorINSA_10device_ptrIxEEEEPS6_NSA_18transform_iteratorINSA_8identityIxEESF_NSA_11use_defaultESK_EENS0_5tupleIJSF_SF_EEENSM_IJSG_SG_EEES6_PlJS6_EEE10hipError_tPvRmT3_T4_T5_T6_T7_T9_mT8_P12ihipStream_tbDpT10_ENKUlT_T0_E_clISt17integral_constantIbLb0EES19_EEDaS14_S15_EUlS14_E_NS1_11comp_targetILNS1_3genE10ELNS1_11target_archE1200ELNS1_3gpuE4ELNS1_3repE0EEENS1_30default_config_static_selectorELNS0_4arch9wavefront6targetE1EEEvT1_: ; @_ZN7rocprim17ROCPRIM_400000_NS6detail17trampoline_kernelINS0_14default_configENS1_25partition_config_selectorILNS1_17partition_subalgoE1ExNS0_10empty_typeEbEEZZNS1_14partition_implILS5_1ELb0ES3_jN6thrust23THRUST_200600_302600_NS6detail15normal_iteratorINSA_10device_ptrIxEEEEPS6_NSA_18transform_iteratorINSA_8identityIxEESF_NSA_11use_defaultESK_EENS0_5tupleIJSF_SF_EEENSM_IJSG_SG_EEES6_PlJS6_EEE10hipError_tPvRmT3_T4_T5_T6_T7_T9_mT8_P12ihipStream_tbDpT10_ENKUlT_T0_E_clISt17integral_constantIbLb0EES19_EEDaS14_S15_EUlS14_E_NS1_11comp_targetILNS1_3genE10ELNS1_11target_archE1200ELNS1_3gpuE4ELNS1_3repE0EEENS1_30default_config_static_selectorELNS0_4arch9wavefront6targetE1EEEvT1_
; %bb.0:
	.section	.rodata,"a",@progbits
	.p2align	6, 0x0
	.amdhsa_kernel _ZN7rocprim17ROCPRIM_400000_NS6detail17trampoline_kernelINS0_14default_configENS1_25partition_config_selectorILNS1_17partition_subalgoE1ExNS0_10empty_typeEbEEZZNS1_14partition_implILS5_1ELb0ES3_jN6thrust23THRUST_200600_302600_NS6detail15normal_iteratorINSA_10device_ptrIxEEEEPS6_NSA_18transform_iteratorINSA_8identityIxEESF_NSA_11use_defaultESK_EENS0_5tupleIJSF_SF_EEENSM_IJSG_SG_EEES6_PlJS6_EEE10hipError_tPvRmT3_T4_T5_T6_T7_T9_mT8_P12ihipStream_tbDpT10_ENKUlT_T0_E_clISt17integral_constantIbLb0EES19_EEDaS14_S15_EUlS14_E_NS1_11comp_targetILNS1_3genE10ELNS1_11target_archE1200ELNS1_3gpuE4ELNS1_3repE0EEENS1_30default_config_static_selectorELNS0_4arch9wavefront6targetE1EEEvT1_
		.amdhsa_group_segment_fixed_size 0
		.amdhsa_private_segment_fixed_size 0
		.amdhsa_kernarg_size 128
		.amdhsa_user_sgpr_count 2
		.amdhsa_user_sgpr_dispatch_ptr 0
		.amdhsa_user_sgpr_queue_ptr 0
		.amdhsa_user_sgpr_kernarg_segment_ptr 1
		.amdhsa_user_sgpr_dispatch_id 0
		.amdhsa_user_sgpr_kernarg_preload_length 0
		.amdhsa_user_sgpr_kernarg_preload_offset 0
		.amdhsa_user_sgpr_private_segment_size 0
		.amdhsa_uses_dynamic_stack 0
		.amdhsa_enable_private_segment 0
		.amdhsa_system_sgpr_workgroup_id_x 1
		.amdhsa_system_sgpr_workgroup_id_y 0
		.amdhsa_system_sgpr_workgroup_id_z 0
		.amdhsa_system_sgpr_workgroup_info 0
		.amdhsa_system_vgpr_workitem_id 0
		.amdhsa_next_free_vgpr 1
		.amdhsa_next_free_sgpr 0
		.amdhsa_accum_offset 4
		.amdhsa_reserve_vcc 0
		.amdhsa_float_round_mode_32 0
		.amdhsa_float_round_mode_16_64 0
		.amdhsa_float_denorm_mode_32 3
		.amdhsa_float_denorm_mode_16_64 3
		.amdhsa_dx10_clamp 1
		.amdhsa_ieee_mode 1
		.amdhsa_fp16_overflow 0
		.amdhsa_tg_split 0
		.amdhsa_exception_fp_ieee_invalid_op 0
		.amdhsa_exception_fp_denorm_src 0
		.amdhsa_exception_fp_ieee_div_zero 0
		.amdhsa_exception_fp_ieee_overflow 0
		.amdhsa_exception_fp_ieee_underflow 0
		.amdhsa_exception_fp_ieee_inexact 0
		.amdhsa_exception_int_div_zero 0
	.end_amdhsa_kernel
	.section	.text._ZN7rocprim17ROCPRIM_400000_NS6detail17trampoline_kernelINS0_14default_configENS1_25partition_config_selectorILNS1_17partition_subalgoE1ExNS0_10empty_typeEbEEZZNS1_14partition_implILS5_1ELb0ES3_jN6thrust23THRUST_200600_302600_NS6detail15normal_iteratorINSA_10device_ptrIxEEEEPS6_NSA_18transform_iteratorINSA_8identityIxEESF_NSA_11use_defaultESK_EENS0_5tupleIJSF_SF_EEENSM_IJSG_SG_EEES6_PlJS6_EEE10hipError_tPvRmT3_T4_T5_T6_T7_T9_mT8_P12ihipStream_tbDpT10_ENKUlT_T0_E_clISt17integral_constantIbLb0EES19_EEDaS14_S15_EUlS14_E_NS1_11comp_targetILNS1_3genE10ELNS1_11target_archE1200ELNS1_3gpuE4ELNS1_3repE0EEENS1_30default_config_static_selectorELNS0_4arch9wavefront6targetE1EEEvT1_,"axG",@progbits,_ZN7rocprim17ROCPRIM_400000_NS6detail17trampoline_kernelINS0_14default_configENS1_25partition_config_selectorILNS1_17partition_subalgoE1ExNS0_10empty_typeEbEEZZNS1_14partition_implILS5_1ELb0ES3_jN6thrust23THRUST_200600_302600_NS6detail15normal_iteratorINSA_10device_ptrIxEEEEPS6_NSA_18transform_iteratorINSA_8identityIxEESF_NSA_11use_defaultESK_EENS0_5tupleIJSF_SF_EEENSM_IJSG_SG_EEES6_PlJS6_EEE10hipError_tPvRmT3_T4_T5_T6_T7_T9_mT8_P12ihipStream_tbDpT10_ENKUlT_T0_E_clISt17integral_constantIbLb0EES19_EEDaS14_S15_EUlS14_E_NS1_11comp_targetILNS1_3genE10ELNS1_11target_archE1200ELNS1_3gpuE4ELNS1_3repE0EEENS1_30default_config_static_selectorELNS0_4arch9wavefront6targetE1EEEvT1_,comdat
.Lfunc_end582:
	.size	_ZN7rocprim17ROCPRIM_400000_NS6detail17trampoline_kernelINS0_14default_configENS1_25partition_config_selectorILNS1_17partition_subalgoE1ExNS0_10empty_typeEbEEZZNS1_14partition_implILS5_1ELb0ES3_jN6thrust23THRUST_200600_302600_NS6detail15normal_iteratorINSA_10device_ptrIxEEEEPS6_NSA_18transform_iteratorINSA_8identityIxEESF_NSA_11use_defaultESK_EENS0_5tupleIJSF_SF_EEENSM_IJSG_SG_EEES6_PlJS6_EEE10hipError_tPvRmT3_T4_T5_T6_T7_T9_mT8_P12ihipStream_tbDpT10_ENKUlT_T0_E_clISt17integral_constantIbLb0EES19_EEDaS14_S15_EUlS14_E_NS1_11comp_targetILNS1_3genE10ELNS1_11target_archE1200ELNS1_3gpuE4ELNS1_3repE0EEENS1_30default_config_static_selectorELNS0_4arch9wavefront6targetE1EEEvT1_, .Lfunc_end582-_ZN7rocprim17ROCPRIM_400000_NS6detail17trampoline_kernelINS0_14default_configENS1_25partition_config_selectorILNS1_17partition_subalgoE1ExNS0_10empty_typeEbEEZZNS1_14partition_implILS5_1ELb0ES3_jN6thrust23THRUST_200600_302600_NS6detail15normal_iteratorINSA_10device_ptrIxEEEEPS6_NSA_18transform_iteratorINSA_8identityIxEESF_NSA_11use_defaultESK_EENS0_5tupleIJSF_SF_EEENSM_IJSG_SG_EEES6_PlJS6_EEE10hipError_tPvRmT3_T4_T5_T6_T7_T9_mT8_P12ihipStream_tbDpT10_ENKUlT_T0_E_clISt17integral_constantIbLb0EES19_EEDaS14_S15_EUlS14_E_NS1_11comp_targetILNS1_3genE10ELNS1_11target_archE1200ELNS1_3gpuE4ELNS1_3repE0EEENS1_30default_config_static_selectorELNS0_4arch9wavefront6targetE1EEEvT1_
                                        ; -- End function
	.section	.AMDGPU.csdata,"",@progbits
; Kernel info:
; codeLenInByte = 0
; NumSgprs: 6
; NumVgprs: 0
; NumAgprs: 0
; TotalNumVgprs: 0
; ScratchSize: 0
; MemoryBound: 0
; FloatMode: 240
; IeeeMode: 1
; LDSByteSize: 0 bytes/workgroup (compile time only)
; SGPRBlocks: 0
; VGPRBlocks: 0
; NumSGPRsForWavesPerEU: 6
; NumVGPRsForWavesPerEU: 1
; AccumOffset: 4
; Occupancy: 8
; WaveLimiterHint : 0
; COMPUTE_PGM_RSRC2:SCRATCH_EN: 0
; COMPUTE_PGM_RSRC2:USER_SGPR: 2
; COMPUTE_PGM_RSRC2:TRAP_HANDLER: 0
; COMPUTE_PGM_RSRC2:TGID_X_EN: 1
; COMPUTE_PGM_RSRC2:TGID_Y_EN: 0
; COMPUTE_PGM_RSRC2:TGID_Z_EN: 0
; COMPUTE_PGM_RSRC2:TIDIG_COMP_CNT: 0
; COMPUTE_PGM_RSRC3_GFX90A:ACCUM_OFFSET: 0
; COMPUTE_PGM_RSRC3_GFX90A:TG_SPLIT: 0
	.section	.text._ZN7rocprim17ROCPRIM_400000_NS6detail17trampoline_kernelINS0_14default_configENS1_25partition_config_selectorILNS1_17partition_subalgoE1ExNS0_10empty_typeEbEEZZNS1_14partition_implILS5_1ELb0ES3_jN6thrust23THRUST_200600_302600_NS6detail15normal_iteratorINSA_10device_ptrIxEEEEPS6_NSA_18transform_iteratorINSA_8identityIxEESF_NSA_11use_defaultESK_EENS0_5tupleIJSF_SF_EEENSM_IJSG_SG_EEES6_PlJS6_EEE10hipError_tPvRmT3_T4_T5_T6_T7_T9_mT8_P12ihipStream_tbDpT10_ENKUlT_T0_E_clISt17integral_constantIbLb0EES19_EEDaS14_S15_EUlS14_E_NS1_11comp_targetILNS1_3genE9ELNS1_11target_archE1100ELNS1_3gpuE3ELNS1_3repE0EEENS1_30default_config_static_selectorELNS0_4arch9wavefront6targetE1EEEvT1_,"axG",@progbits,_ZN7rocprim17ROCPRIM_400000_NS6detail17trampoline_kernelINS0_14default_configENS1_25partition_config_selectorILNS1_17partition_subalgoE1ExNS0_10empty_typeEbEEZZNS1_14partition_implILS5_1ELb0ES3_jN6thrust23THRUST_200600_302600_NS6detail15normal_iteratorINSA_10device_ptrIxEEEEPS6_NSA_18transform_iteratorINSA_8identityIxEESF_NSA_11use_defaultESK_EENS0_5tupleIJSF_SF_EEENSM_IJSG_SG_EEES6_PlJS6_EEE10hipError_tPvRmT3_T4_T5_T6_T7_T9_mT8_P12ihipStream_tbDpT10_ENKUlT_T0_E_clISt17integral_constantIbLb0EES19_EEDaS14_S15_EUlS14_E_NS1_11comp_targetILNS1_3genE9ELNS1_11target_archE1100ELNS1_3gpuE3ELNS1_3repE0EEENS1_30default_config_static_selectorELNS0_4arch9wavefront6targetE1EEEvT1_,comdat
	.protected	_ZN7rocprim17ROCPRIM_400000_NS6detail17trampoline_kernelINS0_14default_configENS1_25partition_config_selectorILNS1_17partition_subalgoE1ExNS0_10empty_typeEbEEZZNS1_14partition_implILS5_1ELb0ES3_jN6thrust23THRUST_200600_302600_NS6detail15normal_iteratorINSA_10device_ptrIxEEEEPS6_NSA_18transform_iteratorINSA_8identityIxEESF_NSA_11use_defaultESK_EENS0_5tupleIJSF_SF_EEENSM_IJSG_SG_EEES6_PlJS6_EEE10hipError_tPvRmT3_T4_T5_T6_T7_T9_mT8_P12ihipStream_tbDpT10_ENKUlT_T0_E_clISt17integral_constantIbLb0EES19_EEDaS14_S15_EUlS14_E_NS1_11comp_targetILNS1_3genE9ELNS1_11target_archE1100ELNS1_3gpuE3ELNS1_3repE0EEENS1_30default_config_static_selectorELNS0_4arch9wavefront6targetE1EEEvT1_ ; -- Begin function _ZN7rocprim17ROCPRIM_400000_NS6detail17trampoline_kernelINS0_14default_configENS1_25partition_config_selectorILNS1_17partition_subalgoE1ExNS0_10empty_typeEbEEZZNS1_14partition_implILS5_1ELb0ES3_jN6thrust23THRUST_200600_302600_NS6detail15normal_iteratorINSA_10device_ptrIxEEEEPS6_NSA_18transform_iteratorINSA_8identityIxEESF_NSA_11use_defaultESK_EENS0_5tupleIJSF_SF_EEENSM_IJSG_SG_EEES6_PlJS6_EEE10hipError_tPvRmT3_T4_T5_T6_T7_T9_mT8_P12ihipStream_tbDpT10_ENKUlT_T0_E_clISt17integral_constantIbLb0EES19_EEDaS14_S15_EUlS14_E_NS1_11comp_targetILNS1_3genE9ELNS1_11target_archE1100ELNS1_3gpuE3ELNS1_3repE0EEENS1_30default_config_static_selectorELNS0_4arch9wavefront6targetE1EEEvT1_
	.globl	_ZN7rocprim17ROCPRIM_400000_NS6detail17trampoline_kernelINS0_14default_configENS1_25partition_config_selectorILNS1_17partition_subalgoE1ExNS0_10empty_typeEbEEZZNS1_14partition_implILS5_1ELb0ES3_jN6thrust23THRUST_200600_302600_NS6detail15normal_iteratorINSA_10device_ptrIxEEEEPS6_NSA_18transform_iteratorINSA_8identityIxEESF_NSA_11use_defaultESK_EENS0_5tupleIJSF_SF_EEENSM_IJSG_SG_EEES6_PlJS6_EEE10hipError_tPvRmT3_T4_T5_T6_T7_T9_mT8_P12ihipStream_tbDpT10_ENKUlT_T0_E_clISt17integral_constantIbLb0EES19_EEDaS14_S15_EUlS14_E_NS1_11comp_targetILNS1_3genE9ELNS1_11target_archE1100ELNS1_3gpuE3ELNS1_3repE0EEENS1_30default_config_static_selectorELNS0_4arch9wavefront6targetE1EEEvT1_
	.p2align	8
	.type	_ZN7rocprim17ROCPRIM_400000_NS6detail17trampoline_kernelINS0_14default_configENS1_25partition_config_selectorILNS1_17partition_subalgoE1ExNS0_10empty_typeEbEEZZNS1_14partition_implILS5_1ELb0ES3_jN6thrust23THRUST_200600_302600_NS6detail15normal_iteratorINSA_10device_ptrIxEEEEPS6_NSA_18transform_iteratorINSA_8identityIxEESF_NSA_11use_defaultESK_EENS0_5tupleIJSF_SF_EEENSM_IJSG_SG_EEES6_PlJS6_EEE10hipError_tPvRmT3_T4_T5_T6_T7_T9_mT8_P12ihipStream_tbDpT10_ENKUlT_T0_E_clISt17integral_constantIbLb0EES19_EEDaS14_S15_EUlS14_E_NS1_11comp_targetILNS1_3genE9ELNS1_11target_archE1100ELNS1_3gpuE3ELNS1_3repE0EEENS1_30default_config_static_selectorELNS0_4arch9wavefront6targetE1EEEvT1_,@function
_ZN7rocprim17ROCPRIM_400000_NS6detail17trampoline_kernelINS0_14default_configENS1_25partition_config_selectorILNS1_17partition_subalgoE1ExNS0_10empty_typeEbEEZZNS1_14partition_implILS5_1ELb0ES3_jN6thrust23THRUST_200600_302600_NS6detail15normal_iteratorINSA_10device_ptrIxEEEEPS6_NSA_18transform_iteratorINSA_8identityIxEESF_NSA_11use_defaultESK_EENS0_5tupleIJSF_SF_EEENSM_IJSG_SG_EEES6_PlJS6_EEE10hipError_tPvRmT3_T4_T5_T6_T7_T9_mT8_P12ihipStream_tbDpT10_ENKUlT_T0_E_clISt17integral_constantIbLb0EES19_EEDaS14_S15_EUlS14_E_NS1_11comp_targetILNS1_3genE9ELNS1_11target_archE1100ELNS1_3gpuE3ELNS1_3repE0EEENS1_30default_config_static_selectorELNS0_4arch9wavefront6targetE1EEEvT1_: ; @_ZN7rocprim17ROCPRIM_400000_NS6detail17trampoline_kernelINS0_14default_configENS1_25partition_config_selectorILNS1_17partition_subalgoE1ExNS0_10empty_typeEbEEZZNS1_14partition_implILS5_1ELb0ES3_jN6thrust23THRUST_200600_302600_NS6detail15normal_iteratorINSA_10device_ptrIxEEEEPS6_NSA_18transform_iteratorINSA_8identityIxEESF_NSA_11use_defaultESK_EENS0_5tupleIJSF_SF_EEENSM_IJSG_SG_EEES6_PlJS6_EEE10hipError_tPvRmT3_T4_T5_T6_T7_T9_mT8_P12ihipStream_tbDpT10_ENKUlT_T0_E_clISt17integral_constantIbLb0EES19_EEDaS14_S15_EUlS14_E_NS1_11comp_targetILNS1_3genE9ELNS1_11target_archE1100ELNS1_3gpuE3ELNS1_3repE0EEENS1_30default_config_static_selectorELNS0_4arch9wavefront6targetE1EEEvT1_
; %bb.0:
	.section	.rodata,"a",@progbits
	.p2align	6, 0x0
	.amdhsa_kernel _ZN7rocprim17ROCPRIM_400000_NS6detail17trampoline_kernelINS0_14default_configENS1_25partition_config_selectorILNS1_17partition_subalgoE1ExNS0_10empty_typeEbEEZZNS1_14partition_implILS5_1ELb0ES3_jN6thrust23THRUST_200600_302600_NS6detail15normal_iteratorINSA_10device_ptrIxEEEEPS6_NSA_18transform_iteratorINSA_8identityIxEESF_NSA_11use_defaultESK_EENS0_5tupleIJSF_SF_EEENSM_IJSG_SG_EEES6_PlJS6_EEE10hipError_tPvRmT3_T4_T5_T6_T7_T9_mT8_P12ihipStream_tbDpT10_ENKUlT_T0_E_clISt17integral_constantIbLb0EES19_EEDaS14_S15_EUlS14_E_NS1_11comp_targetILNS1_3genE9ELNS1_11target_archE1100ELNS1_3gpuE3ELNS1_3repE0EEENS1_30default_config_static_selectorELNS0_4arch9wavefront6targetE1EEEvT1_
		.amdhsa_group_segment_fixed_size 0
		.amdhsa_private_segment_fixed_size 0
		.amdhsa_kernarg_size 128
		.amdhsa_user_sgpr_count 2
		.amdhsa_user_sgpr_dispatch_ptr 0
		.amdhsa_user_sgpr_queue_ptr 0
		.amdhsa_user_sgpr_kernarg_segment_ptr 1
		.amdhsa_user_sgpr_dispatch_id 0
		.amdhsa_user_sgpr_kernarg_preload_length 0
		.amdhsa_user_sgpr_kernarg_preload_offset 0
		.amdhsa_user_sgpr_private_segment_size 0
		.amdhsa_uses_dynamic_stack 0
		.amdhsa_enable_private_segment 0
		.amdhsa_system_sgpr_workgroup_id_x 1
		.amdhsa_system_sgpr_workgroup_id_y 0
		.amdhsa_system_sgpr_workgroup_id_z 0
		.amdhsa_system_sgpr_workgroup_info 0
		.amdhsa_system_vgpr_workitem_id 0
		.amdhsa_next_free_vgpr 1
		.amdhsa_next_free_sgpr 0
		.amdhsa_accum_offset 4
		.amdhsa_reserve_vcc 0
		.amdhsa_float_round_mode_32 0
		.amdhsa_float_round_mode_16_64 0
		.amdhsa_float_denorm_mode_32 3
		.amdhsa_float_denorm_mode_16_64 3
		.amdhsa_dx10_clamp 1
		.amdhsa_ieee_mode 1
		.amdhsa_fp16_overflow 0
		.amdhsa_tg_split 0
		.amdhsa_exception_fp_ieee_invalid_op 0
		.amdhsa_exception_fp_denorm_src 0
		.amdhsa_exception_fp_ieee_div_zero 0
		.amdhsa_exception_fp_ieee_overflow 0
		.amdhsa_exception_fp_ieee_underflow 0
		.amdhsa_exception_fp_ieee_inexact 0
		.amdhsa_exception_int_div_zero 0
	.end_amdhsa_kernel
	.section	.text._ZN7rocprim17ROCPRIM_400000_NS6detail17trampoline_kernelINS0_14default_configENS1_25partition_config_selectorILNS1_17partition_subalgoE1ExNS0_10empty_typeEbEEZZNS1_14partition_implILS5_1ELb0ES3_jN6thrust23THRUST_200600_302600_NS6detail15normal_iteratorINSA_10device_ptrIxEEEEPS6_NSA_18transform_iteratorINSA_8identityIxEESF_NSA_11use_defaultESK_EENS0_5tupleIJSF_SF_EEENSM_IJSG_SG_EEES6_PlJS6_EEE10hipError_tPvRmT3_T4_T5_T6_T7_T9_mT8_P12ihipStream_tbDpT10_ENKUlT_T0_E_clISt17integral_constantIbLb0EES19_EEDaS14_S15_EUlS14_E_NS1_11comp_targetILNS1_3genE9ELNS1_11target_archE1100ELNS1_3gpuE3ELNS1_3repE0EEENS1_30default_config_static_selectorELNS0_4arch9wavefront6targetE1EEEvT1_,"axG",@progbits,_ZN7rocprim17ROCPRIM_400000_NS6detail17trampoline_kernelINS0_14default_configENS1_25partition_config_selectorILNS1_17partition_subalgoE1ExNS0_10empty_typeEbEEZZNS1_14partition_implILS5_1ELb0ES3_jN6thrust23THRUST_200600_302600_NS6detail15normal_iteratorINSA_10device_ptrIxEEEEPS6_NSA_18transform_iteratorINSA_8identityIxEESF_NSA_11use_defaultESK_EENS0_5tupleIJSF_SF_EEENSM_IJSG_SG_EEES6_PlJS6_EEE10hipError_tPvRmT3_T4_T5_T6_T7_T9_mT8_P12ihipStream_tbDpT10_ENKUlT_T0_E_clISt17integral_constantIbLb0EES19_EEDaS14_S15_EUlS14_E_NS1_11comp_targetILNS1_3genE9ELNS1_11target_archE1100ELNS1_3gpuE3ELNS1_3repE0EEENS1_30default_config_static_selectorELNS0_4arch9wavefront6targetE1EEEvT1_,comdat
.Lfunc_end583:
	.size	_ZN7rocprim17ROCPRIM_400000_NS6detail17trampoline_kernelINS0_14default_configENS1_25partition_config_selectorILNS1_17partition_subalgoE1ExNS0_10empty_typeEbEEZZNS1_14partition_implILS5_1ELb0ES3_jN6thrust23THRUST_200600_302600_NS6detail15normal_iteratorINSA_10device_ptrIxEEEEPS6_NSA_18transform_iteratorINSA_8identityIxEESF_NSA_11use_defaultESK_EENS0_5tupleIJSF_SF_EEENSM_IJSG_SG_EEES6_PlJS6_EEE10hipError_tPvRmT3_T4_T5_T6_T7_T9_mT8_P12ihipStream_tbDpT10_ENKUlT_T0_E_clISt17integral_constantIbLb0EES19_EEDaS14_S15_EUlS14_E_NS1_11comp_targetILNS1_3genE9ELNS1_11target_archE1100ELNS1_3gpuE3ELNS1_3repE0EEENS1_30default_config_static_selectorELNS0_4arch9wavefront6targetE1EEEvT1_, .Lfunc_end583-_ZN7rocprim17ROCPRIM_400000_NS6detail17trampoline_kernelINS0_14default_configENS1_25partition_config_selectorILNS1_17partition_subalgoE1ExNS0_10empty_typeEbEEZZNS1_14partition_implILS5_1ELb0ES3_jN6thrust23THRUST_200600_302600_NS6detail15normal_iteratorINSA_10device_ptrIxEEEEPS6_NSA_18transform_iteratorINSA_8identityIxEESF_NSA_11use_defaultESK_EENS0_5tupleIJSF_SF_EEENSM_IJSG_SG_EEES6_PlJS6_EEE10hipError_tPvRmT3_T4_T5_T6_T7_T9_mT8_P12ihipStream_tbDpT10_ENKUlT_T0_E_clISt17integral_constantIbLb0EES19_EEDaS14_S15_EUlS14_E_NS1_11comp_targetILNS1_3genE9ELNS1_11target_archE1100ELNS1_3gpuE3ELNS1_3repE0EEENS1_30default_config_static_selectorELNS0_4arch9wavefront6targetE1EEEvT1_
                                        ; -- End function
	.section	.AMDGPU.csdata,"",@progbits
; Kernel info:
; codeLenInByte = 0
; NumSgprs: 6
; NumVgprs: 0
; NumAgprs: 0
; TotalNumVgprs: 0
; ScratchSize: 0
; MemoryBound: 0
; FloatMode: 240
; IeeeMode: 1
; LDSByteSize: 0 bytes/workgroup (compile time only)
; SGPRBlocks: 0
; VGPRBlocks: 0
; NumSGPRsForWavesPerEU: 6
; NumVGPRsForWavesPerEU: 1
; AccumOffset: 4
; Occupancy: 8
; WaveLimiterHint : 0
; COMPUTE_PGM_RSRC2:SCRATCH_EN: 0
; COMPUTE_PGM_RSRC2:USER_SGPR: 2
; COMPUTE_PGM_RSRC2:TRAP_HANDLER: 0
; COMPUTE_PGM_RSRC2:TGID_X_EN: 1
; COMPUTE_PGM_RSRC2:TGID_Y_EN: 0
; COMPUTE_PGM_RSRC2:TGID_Z_EN: 0
; COMPUTE_PGM_RSRC2:TIDIG_COMP_CNT: 0
; COMPUTE_PGM_RSRC3_GFX90A:ACCUM_OFFSET: 0
; COMPUTE_PGM_RSRC3_GFX90A:TG_SPLIT: 0
	.section	.text._ZN7rocprim17ROCPRIM_400000_NS6detail17trampoline_kernelINS0_14default_configENS1_25partition_config_selectorILNS1_17partition_subalgoE1ExNS0_10empty_typeEbEEZZNS1_14partition_implILS5_1ELb0ES3_jN6thrust23THRUST_200600_302600_NS6detail15normal_iteratorINSA_10device_ptrIxEEEEPS6_NSA_18transform_iteratorINSA_8identityIxEESF_NSA_11use_defaultESK_EENS0_5tupleIJSF_SF_EEENSM_IJSG_SG_EEES6_PlJS6_EEE10hipError_tPvRmT3_T4_T5_T6_T7_T9_mT8_P12ihipStream_tbDpT10_ENKUlT_T0_E_clISt17integral_constantIbLb0EES19_EEDaS14_S15_EUlS14_E_NS1_11comp_targetILNS1_3genE8ELNS1_11target_archE1030ELNS1_3gpuE2ELNS1_3repE0EEENS1_30default_config_static_selectorELNS0_4arch9wavefront6targetE1EEEvT1_,"axG",@progbits,_ZN7rocprim17ROCPRIM_400000_NS6detail17trampoline_kernelINS0_14default_configENS1_25partition_config_selectorILNS1_17partition_subalgoE1ExNS0_10empty_typeEbEEZZNS1_14partition_implILS5_1ELb0ES3_jN6thrust23THRUST_200600_302600_NS6detail15normal_iteratorINSA_10device_ptrIxEEEEPS6_NSA_18transform_iteratorINSA_8identityIxEESF_NSA_11use_defaultESK_EENS0_5tupleIJSF_SF_EEENSM_IJSG_SG_EEES6_PlJS6_EEE10hipError_tPvRmT3_T4_T5_T6_T7_T9_mT8_P12ihipStream_tbDpT10_ENKUlT_T0_E_clISt17integral_constantIbLb0EES19_EEDaS14_S15_EUlS14_E_NS1_11comp_targetILNS1_3genE8ELNS1_11target_archE1030ELNS1_3gpuE2ELNS1_3repE0EEENS1_30default_config_static_selectorELNS0_4arch9wavefront6targetE1EEEvT1_,comdat
	.protected	_ZN7rocprim17ROCPRIM_400000_NS6detail17trampoline_kernelINS0_14default_configENS1_25partition_config_selectorILNS1_17partition_subalgoE1ExNS0_10empty_typeEbEEZZNS1_14partition_implILS5_1ELb0ES3_jN6thrust23THRUST_200600_302600_NS6detail15normal_iteratorINSA_10device_ptrIxEEEEPS6_NSA_18transform_iteratorINSA_8identityIxEESF_NSA_11use_defaultESK_EENS0_5tupleIJSF_SF_EEENSM_IJSG_SG_EEES6_PlJS6_EEE10hipError_tPvRmT3_T4_T5_T6_T7_T9_mT8_P12ihipStream_tbDpT10_ENKUlT_T0_E_clISt17integral_constantIbLb0EES19_EEDaS14_S15_EUlS14_E_NS1_11comp_targetILNS1_3genE8ELNS1_11target_archE1030ELNS1_3gpuE2ELNS1_3repE0EEENS1_30default_config_static_selectorELNS0_4arch9wavefront6targetE1EEEvT1_ ; -- Begin function _ZN7rocprim17ROCPRIM_400000_NS6detail17trampoline_kernelINS0_14default_configENS1_25partition_config_selectorILNS1_17partition_subalgoE1ExNS0_10empty_typeEbEEZZNS1_14partition_implILS5_1ELb0ES3_jN6thrust23THRUST_200600_302600_NS6detail15normal_iteratorINSA_10device_ptrIxEEEEPS6_NSA_18transform_iteratorINSA_8identityIxEESF_NSA_11use_defaultESK_EENS0_5tupleIJSF_SF_EEENSM_IJSG_SG_EEES6_PlJS6_EEE10hipError_tPvRmT3_T4_T5_T6_T7_T9_mT8_P12ihipStream_tbDpT10_ENKUlT_T0_E_clISt17integral_constantIbLb0EES19_EEDaS14_S15_EUlS14_E_NS1_11comp_targetILNS1_3genE8ELNS1_11target_archE1030ELNS1_3gpuE2ELNS1_3repE0EEENS1_30default_config_static_selectorELNS0_4arch9wavefront6targetE1EEEvT1_
	.globl	_ZN7rocprim17ROCPRIM_400000_NS6detail17trampoline_kernelINS0_14default_configENS1_25partition_config_selectorILNS1_17partition_subalgoE1ExNS0_10empty_typeEbEEZZNS1_14partition_implILS5_1ELb0ES3_jN6thrust23THRUST_200600_302600_NS6detail15normal_iteratorINSA_10device_ptrIxEEEEPS6_NSA_18transform_iteratorINSA_8identityIxEESF_NSA_11use_defaultESK_EENS0_5tupleIJSF_SF_EEENSM_IJSG_SG_EEES6_PlJS6_EEE10hipError_tPvRmT3_T4_T5_T6_T7_T9_mT8_P12ihipStream_tbDpT10_ENKUlT_T0_E_clISt17integral_constantIbLb0EES19_EEDaS14_S15_EUlS14_E_NS1_11comp_targetILNS1_3genE8ELNS1_11target_archE1030ELNS1_3gpuE2ELNS1_3repE0EEENS1_30default_config_static_selectorELNS0_4arch9wavefront6targetE1EEEvT1_
	.p2align	8
	.type	_ZN7rocprim17ROCPRIM_400000_NS6detail17trampoline_kernelINS0_14default_configENS1_25partition_config_selectorILNS1_17partition_subalgoE1ExNS0_10empty_typeEbEEZZNS1_14partition_implILS5_1ELb0ES3_jN6thrust23THRUST_200600_302600_NS6detail15normal_iteratorINSA_10device_ptrIxEEEEPS6_NSA_18transform_iteratorINSA_8identityIxEESF_NSA_11use_defaultESK_EENS0_5tupleIJSF_SF_EEENSM_IJSG_SG_EEES6_PlJS6_EEE10hipError_tPvRmT3_T4_T5_T6_T7_T9_mT8_P12ihipStream_tbDpT10_ENKUlT_T0_E_clISt17integral_constantIbLb0EES19_EEDaS14_S15_EUlS14_E_NS1_11comp_targetILNS1_3genE8ELNS1_11target_archE1030ELNS1_3gpuE2ELNS1_3repE0EEENS1_30default_config_static_selectorELNS0_4arch9wavefront6targetE1EEEvT1_,@function
_ZN7rocprim17ROCPRIM_400000_NS6detail17trampoline_kernelINS0_14default_configENS1_25partition_config_selectorILNS1_17partition_subalgoE1ExNS0_10empty_typeEbEEZZNS1_14partition_implILS5_1ELb0ES3_jN6thrust23THRUST_200600_302600_NS6detail15normal_iteratorINSA_10device_ptrIxEEEEPS6_NSA_18transform_iteratorINSA_8identityIxEESF_NSA_11use_defaultESK_EENS0_5tupleIJSF_SF_EEENSM_IJSG_SG_EEES6_PlJS6_EEE10hipError_tPvRmT3_T4_T5_T6_T7_T9_mT8_P12ihipStream_tbDpT10_ENKUlT_T0_E_clISt17integral_constantIbLb0EES19_EEDaS14_S15_EUlS14_E_NS1_11comp_targetILNS1_3genE8ELNS1_11target_archE1030ELNS1_3gpuE2ELNS1_3repE0EEENS1_30default_config_static_selectorELNS0_4arch9wavefront6targetE1EEEvT1_: ; @_ZN7rocprim17ROCPRIM_400000_NS6detail17trampoline_kernelINS0_14default_configENS1_25partition_config_selectorILNS1_17partition_subalgoE1ExNS0_10empty_typeEbEEZZNS1_14partition_implILS5_1ELb0ES3_jN6thrust23THRUST_200600_302600_NS6detail15normal_iteratorINSA_10device_ptrIxEEEEPS6_NSA_18transform_iteratorINSA_8identityIxEESF_NSA_11use_defaultESK_EENS0_5tupleIJSF_SF_EEENSM_IJSG_SG_EEES6_PlJS6_EEE10hipError_tPvRmT3_T4_T5_T6_T7_T9_mT8_P12ihipStream_tbDpT10_ENKUlT_T0_E_clISt17integral_constantIbLb0EES19_EEDaS14_S15_EUlS14_E_NS1_11comp_targetILNS1_3genE8ELNS1_11target_archE1030ELNS1_3gpuE2ELNS1_3repE0EEENS1_30default_config_static_selectorELNS0_4arch9wavefront6targetE1EEEvT1_
; %bb.0:
	.section	.rodata,"a",@progbits
	.p2align	6, 0x0
	.amdhsa_kernel _ZN7rocprim17ROCPRIM_400000_NS6detail17trampoline_kernelINS0_14default_configENS1_25partition_config_selectorILNS1_17partition_subalgoE1ExNS0_10empty_typeEbEEZZNS1_14partition_implILS5_1ELb0ES3_jN6thrust23THRUST_200600_302600_NS6detail15normal_iteratorINSA_10device_ptrIxEEEEPS6_NSA_18transform_iteratorINSA_8identityIxEESF_NSA_11use_defaultESK_EENS0_5tupleIJSF_SF_EEENSM_IJSG_SG_EEES6_PlJS6_EEE10hipError_tPvRmT3_T4_T5_T6_T7_T9_mT8_P12ihipStream_tbDpT10_ENKUlT_T0_E_clISt17integral_constantIbLb0EES19_EEDaS14_S15_EUlS14_E_NS1_11comp_targetILNS1_3genE8ELNS1_11target_archE1030ELNS1_3gpuE2ELNS1_3repE0EEENS1_30default_config_static_selectorELNS0_4arch9wavefront6targetE1EEEvT1_
		.amdhsa_group_segment_fixed_size 0
		.amdhsa_private_segment_fixed_size 0
		.amdhsa_kernarg_size 128
		.amdhsa_user_sgpr_count 2
		.amdhsa_user_sgpr_dispatch_ptr 0
		.amdhsa_user_sgpr_queue_ptr 0
		.amdhsa_user_sgpr_kernarg_segment_ptr 1
		.amdhsa_user_sgpr_dispatch_id 0
		.amdhsa_user_sgpr_kernarg_preload_length 0
		.amdhsa_user_sgpr_kernarg_preload_offset 0
		.amdhsa_user_sgpr_private_segment_size 0
		.amdhsa_uses_dynamic_stack 0
		.amdhsa_enable_private_segment 0
		.amdhsa_system_sgpr_workgroup_id_x 1
		.amdhsa_system_sgpr_workgroup_id_y 0
		.amdhsa_system_sgpr_workgroup_id_z 0
		.amdhsa_system_sgpr_workgroup_info 0
		.amdhsa_system_vgpr_workitem_id 0
		.amdhsa_next_free_vgpr 1
		.amdhsa_next_free_sgpr 0
		.amdhsa_accum_offset 4
		.amdhsa_reserve_vcc 0
		.amdhsa_float_round_mode_32 0
		.amdhsa_float_round_mode_16_64 0
		.amdhsa_float_denorm_mode_32 3
		.amdhsa_float_denorm_mode_16_64 3
		.amdhsa_dx10_clamp 1
		.amdhsa_ieee_mode 1
		.amdhsa_fp16_overflow 0
		.amdhsa_tg_split 0
		.amdhsa_exception_fp_ieee_invalid_op 0
		.amdhsa_exception_fp_denorm_src 0
		.amdhsa_exception_fp_ieee_div_zero 0
		.amdhsa_exception_fp_ieee_overflow 0
		.amdhsa_exception_fp_ieee_underflow 0
		.amdhsa_exception_fp_ieee_inexact 0
		.amdhsa_exception_int_div_zero 0
	.end_amdhsa_kernel
	.section	.text._ZN7rocprim17ROCPRIM_400000_NS6detail17trampoline_kernelINS0_14default_configENS1_25partition_config_selectorILNS1_17partition_subalgoE1ExNS0_10empty_typeEbEEZZNS1_14partition_implILS5_1ELb0ES3_jN6thrust23THRUST_200600_302600_NS6detail15normal_iteratorINSA_10device_ptrIxEEEEPS6_NSA_18transform_iteratorINSA_8identityIxEESF_NSA_11use_defaultESK_EENS0_5tupleIJSF_SF_EEENSM_IJSG_SG_EEES6_PlJS6_EEE10hipError_tPvRmT3_T4_T5_T6_T7_T9_mT8_P12ihipStream_tbDpT10_ENKUlT_T0_E_clISt17integral_constantIbLb0EES19_EEDaS14_S15_EUlS14_E_NS1_11comp_targetILNS1_3genE8ELNS1_11target_archE1030ELNS1_3gpuE2ELNS1_3repE0EEENS1_30default_config_static_selectorELNS0_4arch9wavefront6targetE1EEEvT1_,"axG",@progbits,_ZN7rocprim17ROCPRIM_400000_NS6detail17trampoline_kernelINS0_14default_configENS1_25partition_config_selectorILNS1_17partition_subalgoE1ExNS0_10empty_typeEbEEZZNS1_14partition_implILS5_1ELb0ES3_jN6thrust23THRUST_200600_302600_NS6detail15normal_iteratorINSA_10device_ptrIxEEEEPS6_NSA_18transform_iteratorINSA_8identityIxEESF_NSA_11use_defaultESK_EENS0_5tupleIJSF_SF_EEENSM_IJSG_SG_EEES6_PlJS6_EEE10hipError_tPvRmT3_T4_T5_T6_T7_T9_mT8_P12ihipStream_tbDpT10_ENKUlT_T0_E_clISt17integral_constantIbLb0EES19_EEDaS14_S15_EUlS14_E_NS1_11comp_targetILNS1_3genE8ELNS1_11target_archE1030ELNS1_3gpuE2ELNS1_3repE0EEENS1_30default_config_static_selectorELNS0_4arch9wavefront6targetE1EEEvT1_,comdat
.Lfunc_end584:
	.size	_ZN7rocprim17ROCPRIM_400000_NS6detail17trampoline_kernelINS0_14default_configENS1_25partition_config_selectorILNS1_17partition_subalgoE1ExNS0_10empty_typeEbEEZZNS1_14partition_implILS5_1ELb0ES3_jN6thrust23THRUST_200600_302600_NS6detail15normal_iteratorINSA_10device_ptrIxEEEEPS6_NSA_18transform_iteratorINSA_8identityIxEESF_NSA_11use_defaultESK_EENS0_5tupleIJSF_SF_EEENSM_IJSG_SG_EEES6_PlJS6_EEE10hipError_tPvRmT3_T4_T5_T6_T7_T9_mT8_P12ihipStream_tbDpT10_ENKUlT_T0_E_clISt17integral_constantIbLb0EES19_EEDaS14_S15_EUlS14_E_NS1_11comp_targetILNS1_3genE8ELNS1_11target_archE1030ELNS1_3gpuE2ELNS1_3repE0EEENS1_30default_config_static_selectorELNS0_4arch9wavefront6targetE1EEEvT1_, .Lfunc_end584-_ZN7rocprim17ROCPRIM_400000_NS6detail17trampoline_kernelINS0_14default_configENS1_25partition_config_selectorILNS1_17partition_subalgoE1ExNS0_10empty_typeEbEEZZNS1_14partition_implILS5_1ELb0ES3_jN6thrust23THRUST_200600_302600_NS6detail15normal_iteratorINSA_10device_ptrIxEEEEPS6_NSA_18transform_iteratorINSA_8identityIxEESF_NSA_11use_defaultESK_EENS0_5tupleIJSF_SF_EEENSM_IJSG_SG_EEES6_PlJS6_EEE10hipError_tPvRmT3_T4_T5_T6_T7_T9_mT8_P12ihipStream_tbDpT10_ENKUlT_T0_E_clISt17integral_constantIbLb0EES19_EEDaS14_S15_EUlS14_E_NS1_11comp_targetILNS1_3genE8ELNS1_11target_archE1030ELNS1_3gpuE2ELNS1_3repE0EEENS1_30default_config_static_selectorELNS0_4arch9wavefront6targetE1EEEvT1_
                                        ; -- End function
	.section	.AMDGPU.csdata,"",@progbits
; Kernel info:
; codeLenInByte = 0
; NumSgprs: 6
; NumVgprs: 0
; NumAgprs: 0
; TotalNumVgprs: 0
; ScratchSize: 0
; MemoryBound: 0
; FloatMode: 240
; IeeeMode: 1
; LDSByteSize: 0 bytes/workgroup (compile time only)
; SGPRBlocks: 0
; VGPRBlocks: 0
; NumSGPRsForWavesPerEU: 6
; NumVGPRsForWavesPerEU: 1
; AccumOffset: 4
; Occupancy: 8
; WaveLimiterHint : 0
; COMPUTE_PGM_RSRC2:SCRATCH_EN: 0
; COMPUTE_PGM_RSRC2:USER_SGPR: 2
; COMPUTE_PGM_RSRC2:TRAP_HANDLER: 0
; COMPUTE_PGM_RSRC2:TGID_X_EN: 1
; COMPUTE_PGM_RSRC2:TGID_Y_EN: 0
; COMPUTE_PGM_RSRC2:TGID_Z_EN: 0
; COMPUTE_PGM_RSRC2:TIDIG_COMP_CNT: 0
; COMPUTE_PGM_RSRC3_GFX90A:ACCUM_OFFSET: 0
; COMPUTE_PGM_RSRC3_GFX90A:TG_SPLIT: 0
	.section	.text._ZN7rocprim17ROCPRIM_400000_NS6detail17trampoline_kernelINS0_14default_configENS1_25partition_config_selectorILNS1_17partition_subalgoE1ExNS0_10empty_typeEbEEZZNS1_14partition_implILS5_1ELb0ES3_jN6thrust23THRUST_200600_302600_NS6detail15normal_iteratorINSA_10device_ptrIxEEEEPS6_NSA_18transform_iteratorINSA_8identityIxEESF_NSA_11use_defaultESK_EENS0_5tupleIJSF_SF_EEENSM_IJSG_SG_EEES6_PlJS6_EEE10hipError_tPvRmT3_T4_T5_T6_T7_T9_mT8_P12ihipStream_tbDpT10_ENKUlT_T0_E_clISt17integral_constantIbLb1EES19_EEDaS14_S15_EUlS14_E_NS1_11comp_targetILNS1_3genE0ELNS1_11target_archE4294967295ELNS1_3gpuE0ELNS1_3repE0EEENS1_30default_config_static_selectorELNS0_4arch9wavefront6targetE1EEEvT1_,"axG",@progbits,_ZN7rocprim17ROCPRIM_400000_NS6detail17trampoline_kernelINS0_14default_configENS1_25partition_config_selectorILNS1_17partition_subalgoE1ExNS0_10empty_typeEbEEZZNS1_14partition_implILS5_1ELb0ES3_jN6thrust23THRUST_200600_302600_NS6detail15normal_iteratorINSA_10device_ptrIxEEEEPS6_NSA_18transform_iteratorINSA_8identityIxEESF_NSA_11use_defaultESK_EENS0_5tupleIJSF_SF_EEENSM_IJSG_SG_EEES6_PlJS6_EEE10hipError_tPvRmT3_T4_T5_T6_T7_T9_mT8_P12ihipStream_tbDpT10_ENKUlT_T0_E_clISt17integral_constantIbLb1EES19_EEDaS14_S15_EUlS14_E_NS1_11comp_targetILNS1_3genE0ELNS1_11target_archE4294967295ELNS1_3gpuE0ELNS1_3repE0EEENS1_30default_config_static_selectorELNS0_4arch9wavefront6targetE1EEEvT1_,comdat
	.protected	_ZN7rocprim17ROCPRIM_400000_NS6detail17trampoline_kernelINS0_14default_configENS1_25partition_config_selectorILNS1_17partition_subalgoE1ExNS0_10empty_typeEbEEZZNS1_14partition_implILS5_1ELb0ES3_jN6thrust23THRUST_200600_302600_NS6detail15normal_iteratorINSA_10device_ptrIxEEEEPS6_NSA_18transform_iteratorINSA_8identityIxEESF_NSA_11use_defaultESK_EENS0_5tupleIJSF_SF_EEENSM_IJSG_SG_EEES6_PlJS6_EEE10hipError_tPvRmT3_T4_T5_T6_T7_T9_mT8_P12ihipStream_tbDpT10_ENKUlT_T0_E_clISt17integral_constantIbLb1EES19_EEDaS14_S15_EUlS14_E_NS1_11comp_targetILNS1_3genE0ELNS1_11target_archE4294967295ELNS1_3gpuE0ELNS1_3repE0EEENS1_30default_config_static_selectorELNS0_4arch9wavefront6targetE1EEEvT1_ ; -- Begin function _ZN7rocprim17ROCPRIM_400000_NS6detail17trampoline_kernelINS0_14default_configENS1_25partition_config_selectorILNS1_17partition_subalgoE1ExNS0_10empty_typeEbEEZZNS1_14partition_implILS5_1ELb0ES3_jN6thrust23THRUST_200600_302600_NS6detail15normal_iteratorINSA_10device_ptrIxEEEEPS6_NSA_18transform_iteratorINSA_8identityIxEESF_NSA_11use_defaultESK_EENS0_5tupleIJSF_SF_EEENSM_IJSG_SG_EEES6_PlJS6_EEE10hipError_tPvRmT3_T4_T5_T6_T7_T9_mT8_P12ihipStream_tbDpT10_ENKUlT_T0_E_clISt17integral_constantIbLb1EES19_EEDaS14_S15_EUlS14_E_NS1_11comp_targetILNS1_3genE0ELNS1_11target_archE4294967295ELNS1_3gpuE0ELNS1_3repE0EEENS1_30default_config_static_selectorELNS0_4arch9wavefront6targetE1EEEvT1_
	.globl	_ZN7rocprim17ROCPRIM_400000_NS6detail17trampoline_kernelINS0_14default_configENS1_25partition_config_selectorILNS1_17partition_subalgoE1ExNS0_10empty_typeEbEEZZNS1_14partition_implILS5_1ELb0ES3_jN6thrust23THRUST_200600_302600_NS6detail15normal_iteratorINSA_10device_ptrIxEEEEPS6_NSA_18transform_iteratorINSA_8identityIxEESF_NSA_11use_defaultESK_EENS0_5tupleIJSF_SF_EEENSM_IJSG_SG_EEES6_PlJS6_EEE10hipError_tPvRmT3_T4_T5_T6_T7_T9_mT8_P12ihipStream_tbDpT10_ENKUlT_T0_E_clISt17integral_constantIbLb1EES19_EEDaS14_S15_EUlS14_E_NS1_11comp_targetILNS1_3genE0ELNS1_11target_archE4294967295ELNS1_3gpuE0ELNS1_3repE0EEENS1_30default_config_static_selectorELNS0_4arch9wavefront6targetE1EEEvT1_
	.p2align	8
	.type	_ZN7rocprim17ROCPRIM_400000_NS6detail17trampoline_kernelINS0_14default_configENS1_25partition_config_selectorILNS1_17partition_subalgoE1ExNS0_10empty_typeEbEEZZNS1_14partition_implILS5_1ELb0ES3_jN6thrust23THRUST_200600_302600_NS6detail15normal_iteratorINSA_10device_ptrIxEEEEPS6_NSA_18transform_iteratorINSA_8identityIxEESF_NSA_11use_defaultESK_EENS0_5tupleIJSF_SF_EEENSM_IJSG_SG_EEES6_PlJS6_EEE10hipError_tPvRmT3_T4_T5_T6_T7_T9_mT8_P12ihipStream_tbDpT10_ENKUlT_T0_E_clISt17integral_constantIbLb1EES19_EEDaS14_S15_EUlS14_E_NS1_11comp_targetILNS1_3genE0ELNS1_11target_archE4294967295ELNS1_3gpuE0ELNS1_3repE0EEENS1_30default_config_static_selectorELNS0_4arch9wavefront6targetE1EEEvT1_,@function
_ZN7rocprim17ROCPRIM_400000_NS6detail17trampoline_kernelINS0_14default_configENS1_25partition_config_selectorILNS1_17partition_subalgoE1ExNS0_10empty_typeEbEEZZNS1_14partition_implILS5_1ELb0ES3_jN6thrust23THRUST_200600_302600_NS6detail15normal_iteratorINSA_10device_ptrIxEEEEPS6_NSA_18transform_iteratorINSA_8identityIxEESF_NSA_11use_defaultESK_EENS0_5tupleIJSF_SF_EEENSM_IJSG_SG_EEES6_PlJS6_EEE10hipError_tPvRmT3_T4_T5_T6_T7_T9_mT8_P12ihipStream_tbDpT10_ENKUlT_T0_E_clISt17integral_constantIbLb1EES19_EEDaS14_S15_EUlS14_E_NS1_11comp_targetILNS1_3genE0ELNS1_11target_archE4294967295ELNS1_3gpuE0ELNS1_3repE0EEENS1_30default_config_static_selectorELNS0_4arch9wavefront6targetE1EEEvT1_: ; @_ZN7rocprim17ROCPRIM_400000_NS6detail17trampoline_kernelINS0_14default_configENS1_25partition_config_selectorILNS1_17partition_subalgoE1ExNS0_10empty_typeEbEEZZNS1_14partition_implILS5_1ELb0ES3_jN6thrust23THRUST_200600_302600_NS6detail15normal_iteratorINSA_10device_ptrIxEEEEPS6_NSA_18transform_iteratorINSA_8identityIxEESF_NSA_11use_defaultESK_EENS0_5tupleIJSF_SF_EEENSM_IJSG_SG_EEES6_PlJS6_EEE10hipError_tPvRmT3_T4_T5_T6_T7_T9_mT8_P12ihipStream_tbDpT10_ENKUlT_T0_E_clISt17integral_constantIbLb1EES19_EEDaS14_S15_EUlS14_E_NS1_11comp_targetILNS1_3genE0ELNS1_11target_archE4294967295ELNS1_3gpuE0ELNS1_3repE0EEENS1_30default_config_static_selectorELNS0_4arch9wavefront6targetE1EEEvT1_
; %bb.0:
	.section	.rodata,"a",@progbits
	.p2align	6, 0x0
	.amdhsa_kernel _ZN7rocprim17ROCPRIM_400000_NS6detail17trampoline_kernelINS0_14default_configENS1_25partition_config_selectorILNS1_17partition_subalgoE1ExNS0_10empty_typeEbEEZZNS1_14partition_implILS5_1ELb0ES3_jN6thrust23THRUST_200600_302600_NS6detail15normal_iteratorINSA_10device_ptrIxEEEEPS6_NSA_18transform_iteratorINSA_8identityIxEESF_NSA_11use_defaultESK_EENS0_5tupleIJSF_SF_EEENSM_IJSG_SG_EEES6_PlJS6_EEE10hipError_tPvRmT3_T4_T5_T6_T7_T9_mT8_P12ihipStream_tbDpT10_ENKUlT_T0_E_clISt17integral_constantIbLb1EES19_EEDaS14_S15_EUlS14_E_NS1_11comp_targetILNS1_3genE0ELNS1_11target_archE4294967295ELNS1_3gpuE0ELNS1_3repE0EEENS1_30default_config_static_selectorELNS0_4arch9wavefront6targetE1EEEvT1_
		.amdhsa_group_segment_fixed_size 0
		.amdhsa_private_segment_fixed_size 0
		.amdhsa_kernarg_size 144
		.amdhsa_user_sgpr_count 2
		.amdhsa_user_sgpr_dispatch_ptr 0
		.amdhsa_user_sgpr_queue_ptr 0
		.amdhsa_user_sgpr_kernarg_segment_ptr 1
		.amdhsa_user_sgpr_dispatch_id 0
		.amdhsa_user_sgpr_kernarg_preload_length 0
		.amdhsa_user_sgpr_kernarg_preload_offset 0
		.amdhsa_user_sgpr_private_segment_size 0
		.amdhsa_uses_dynamic_stack 0
		.amdhsa_enable_private_segment 0
		.amdhsa_system_sgpr_workgroup_id_x 1
		.amdhsa_system_sgpr_workgroup_id_y 0
		.amdhsa_system_sgpr_workgroup_id_z 0
		.amdhsa_system_sgpr_workgroup_info 0
		.amdhsa_system_vgpr_workitem_id 0
		.amdhsa_next_free_vgpr 1
		.amdhsa_next_free_sgpr 0
		.amdhsa_accum_offset 4
		.amdhsa_reserve_vcc 0
		.amdhsa_float_round_mode_32 0
		.amdhsa_float_round_mode_16_64 0
		.amdhsa_float_denorm_mode_32 3
		.amdhsa_float_denorm_mode_16_64 3
		.amdhsa_dx10_clamp 1
		.amdhsa_ieee_mode 1
		.amdhsa_fp16_overflow 0
		.amdhsa_tg_split 0
		.amdhsa_exception_fp_ieee_invalid_op 0
		.amdhsa_exception_fp_denorm_src 0
		.amdhsa_exception_fp_ieee_div_zero 0
		.amdhsa_exception_fp_ieee_overflow 0
		.amdhsa_exception_fp_ieee_underflow 0
		.amdhsa_exception_fp_ieee_inexact 0
		.amdhsa_exception_int_div_zero 0
	.end_amdhsa_kernel
	.section	.text._ZN7rocprim17ROCPRIM_400000_NS6detail17trampoline_kernelINS0_14default_configENS1_25partition_config_selectorILNS1_17partition_subalgoE1ExNS0_10empty_typeEbEEZZNS1_14partition_implILS5_1ELb0ES3_jN6thrust23THRUST_200600_302600_NS6detail15normal_iteratorINSA_10device_ptrIxEEEEPS6_NSA_18transform_iteratorINSA_8identityIxEESF_NSA_11use_defaultESK_EENS0_5tupleIJSF_SF_EEENSM_IJSG_SG_EEES6_PlJS6_EEE10hipError_tPvRmT3_T4_T5_T6_T7_T9_mT8_P12ihipStream_tbDpT10_ENKUlT_T0_E_clISt17integral_constantIbLb1EES19_EEDaS14_S15_EUlS14_E_NS1_11comp_targetILNS1_3genE0ELNS1_11target_archE4294967295ELNS1_3gpuE0ELNS1_3repE0EEENS1_30default_config_static_selectorELNS0_4arch9wavefront6targetE1EEEvT1_,"axG",@progbits,_ZN7rocprim17ROCPRIM_400000_NS6detail17trampoline_kernelINS0_14default_configENS1_25partition_config_selectorILNS1_17partition_subalgoE1ExNS0_10empty_typeEbEEZZNS1_14partition_implILS5_1ELb0ES3_jN6thrust23THRUST_200600_302600_NS6detail15normal_iteratorINSA_10device_ptrIxEEEEPS6_NSA_18transform_iteratorINSA_8identityIxEESF_NSA_11use_defaultESK_EENS0_5tupleIJSF_SF_EEENSM_IJSG_SG_EEES6_PlJS6_EEE10hipError_tPvRmT3_T4_T5_T6_T7_T9_mT8_P12ihipStream_tbDpT10_ENKUlT_T0_E_clISt17integral_constantIbLb1EES19_EEDaS14_S15_EUlS14_E_NS1_11comp_targetILNS1_3genE0ELNS1_11target_archE4294967295ELNS1_3gpuE0ELNS1_3repE0EEENS1_30default_config_static_selectorELNS0_4arch9wavefront6targetE1EEEvT1_,comdat
.Lfunc_end585:
	.size	_ZN7rocprim17ROCPRIM_400000_NS6detail17trampoline_kernelINS0_14default_configENS1_25partition_config_selectorILNS1_17partition_subalgoE1ExNS0_10empty_typeEbEEZZNS1_14partition_implILS5_1ELb0ES3_jN6thrust23THRUST_200600_302600_NS6detail15normal_iteratorINSA_10device_ptrIxEEEEPS6_NSA_18transform_iteratorINSA_8identityIxEESF_NSA_11use_defaultESK_EENS0_5tupleIJSF_SF_EEENSM_IJSG_SG_EEES6_PlJS6_EEE10hipError_tPvRmT3_T4_T5_T6_T7_T9_mT8_P12ihipStream_tbDpT10_ENKUlT_T0_E_clISt17integral_constantIbLb1EES19_EEDaS14_S15_EUlS14_E_NS1_11comp_targetILNS1_3genE0ELNS1_11target_archE4294967295ELNS1_3gpuE0ELNS1_3repE0EEENS1_30default_config_static_selectorELNS0_4arch9wavefront6targetE1EEEvT1_, .Lfunc_end585-_ZN7rocprim17ROCPRIM_400000_NS6detail17trampoline_kernelINS0_14default_configENS1_25partition_config_selectorILNS1_17partition_subalgoE1ExNS0_10empty_typeEbEEZZNS1_14partition_implILS5_1ELb0ES3_jN6thrust23THRUST_200600_302600_NS6detail15normal_iteratorINSA_10device_ptrIxEEEEPS6_NSA_18transform_iteratorINSA_8identityIxEESF_NSA_11use_defaultESK_EENS0_5tupleIJSF_SF_EEENSM_IJSG_SG_EEES6_PlJS6_EEE10hipError_tPvRmT3_T4_T5_T6_T7_T9_mT8_P12ihipStream_tbDpT10_ENKUlT_T0_E_clISt17integral_constantIbLb1EES19_EEDaS14_S15_EUlS14_E_NS1_11comp_targetILNS1_3genE0ELNS1_11target_archE4294967295ELNS1_3gpuE0ELNS1_3repE0EEENS1_30default_config_static_selectorELNS0_4arch9wavefront6targetE1EEEvT1_
                                        ; -- End function
	.section	.AMDGPU.csdata,"",@progbits
; Kernel info:
; codeLenInByte = 0
; NumSgprs: 6
; NumVgprs: 0
; NumAgprs: 0
; TotalNumVgprs: 0
; ScratchSize: 0
; MemoryBound: 0
; FloatMode: 240
; IeeeMode: 1
; LDSByteSize: 0 bytes/workgroup (compile time only)
; SGPRBlocks: 0
; VGPRBlocks: 0
; NumSGPRsForWavesPerEU: 6
; NumVGPRsForWavesPerEU: 1
; AccumOffset: 4
; Occupancy: 8
; WaveLimiterHint : 0
; COMPUTE_PGM_RSRC2:SCRATCH_EN: 0
; COMPUTE_PGM_RSRC2:USER_SGPR: 2
; COMPUTE_PGM_RSRC2:TRAP_HANDLER: 0
; COMPUTE_PGM_RSRC2:TGID_X_EN: 1
; COMPUTE_PGM_RSRC2:TGID_Y_EN: 0
; COMPUTE_PGM_RSRC2:TGID_Z_EN: 0
; COMPUTE_PGM_RSRC2:TIDIG_COMP_CNT: 0
; COMPUTE_PGM_RSRC3_GFX90A:ACCUM_OFFSET: 0
; COMPUTE_PGM_RSRC3_GFX90A:TG_SPLIT: 0
	.section	.text._ZN7rocprim17ROCPRIM_400000_NS6detail17trampoline_kernelINS0_14default_configENS1_25partition_config_selectorILNS1_17partition_subalgoE1ExNS0_10empty_typeEbEEZZNS1_14partition_implILS5_1ELb0ES3_jN6thrust23THRUST_200600_302600_NS6detail15normal_iteratorINSA_10device_ptrIxEEEEPS6_NSA_18transform_iteratorINSA_8identityIxEESF_NSA_11use_defaultESK_EENS0_5tupleIJSF_SF_EEENSM_IJSG_SG_EEES6_PlJS6_EEE10hipError_tPvRmT3_T4_T5_T6_T7_T9_mT8_P12ihipStream_tbDpT10_ENKUlT_T0_E_clISt17integral_constantIbLb1EES19_EEDaS14_S15_EUlS14_E_NS1_11comp_targetILNS1_3genE5ELNS1_11target_archE942ELNS1_3gpuE9ELNS1_3repE0EEENS1_30default_config_static_selectorELNS0_4arch9wavefront6targetE1EEEvT1_,"axG",@progbits,_ZN7rocprim17ROCPRIM_400000_NS6detail17trampoline_kernelINS0_14default_configENS1_25partition_config_selectorILNS1_17partition_subalgoE1ExNS0_10empty_typeEbEEZZNS1_14partition_implILS5_1ELb0ES3_jN6thrust23THRUST_200600_302600_NS6detail15normal_iteratorINSA_10device_ptrIxEEEEPS6_NSA_18transform_iteratorINSA_8identityIxEESF_NSA_11use_defaultESK_EENS0_5tupleIJSF_SF_EEENSM_IJSG_SG_EEES6_PlJS6_EEE10hipError_tPvRmT3_T4_T5_T6_T7_T9_mT8_P12ihipStream_tbDpT10_ENKUlT_T0_E_clISt17integral_constantIbLb1EES19_EEDaS14_S15_EUlS14_E_NS1_11comp_targetILNS1_3genE5ELNS1_11target_archE942ELNS1_3gpuE9ELNS1_3repE0EEENS1_30default_config_static_selectorELNS0_4arch9wavefront6targetE1EEEvT1_,comdat
	.protected	_ZN7rocprim17ROCPRIM_400000_NS6detail17trampoline_kernelINS0_14default_configENS1_25partition_config_selectorILNS1_17partition_subalgoE1ExNS0_10empty_typeEbEEZZNS1_14partition_implILS5_1ELb0ES3_jN6thrust23THRUST_200600_302600_NS6detail15normal_iteratorINSA_10device_ptrIxEEEEPS6_NSA_18transform_iteratorINSA_8identityIxEESF_NSA_11use_defaultESK_EENS0_5tupleIJSF_SF_EEENSM_IJSG_SG_EEES6_PlJS6_EEE10hipError_tPvRmT3_T4_T5_T6_T7_T9_mT8_P12ihipStream_tbDpT10_ENKUlT_T0_E_clISt17integral_constantIbLb1EES19_EEDaS14_S15_EUlS14_E_NS1_11comp_targetILNS1_3genE5ELNS1_11target_archE942ELNS1_3gpuE9ELNS1_3repE0EEENS1_30default_config_static_selectorELNS0_4arch9wavefront6targetE1EEEvT1_ ; -- Begin function _ZN7rocprim17ROCPRIM_400000_NS6detail17trampoline_kernelINS0_14default_configENS1_25partition_config_selectorILNS1_17partition_subalgoE1ExNS0_10empty_typeEbEEZZNS1_14partition_implILS5_1ELb0ES3_jN6thrust23THRUST_200600_302600_NS6detail15normal_iteratorINSA_10device_ptrIxEEEEPS6_NSA_18transform_iteratorINSA_8identityIxEESF_NSA_11use_defaultESK_EENS0_5tupleIJSF_SF_EEENSM_IJSG_SG_EEES6_PlJS6_EEE10hipError_tPvRmT3_T4_T5_T6_T7_T9_mT8_P12ihipStream_tbDpT10_ENKUlT_T0_E_clISt17integral_constantIbLb1EES19_EEDaS14_S15_EUlS14_E_NS1_11comp_targetILNS1_3genE5ELNS1_11target_archE942ELNS1_3gpuE9ELNS1_3repE0EEENS1_30default_config_static_selectorELNS0_4arch9wavefront6targetE1EEEvT1_
	.globl	_ZN7rocprim17ROCPRIM_400000_NS6detail17trampoline_kernelINS0_14default_configENS1_25partition_config_selectorILNS1_17partition_subalgoE1ExNS0_10empty_typeEbEEZZNS1_14partition_implILS5_1ELb0ES3_jN6thrust23THRUST_200600_302600_NS6detail15normal_iteratorINSA_10device_ptrIxEEEEPS6_NSA_18transform_iteratorINSA_8identityIxEESF_NSA_11use_defaultESK_EENS0_5tupleIJSF_SF_EEENSM_IJSG_SG_EEES6_PlJS6_EEE10hipError_tPvRmT3_T4_T5_T6_T7_T9_mT8_P12ihipStream_tbDpT10_ENKUlT_T0_E_clISt17integral_constantIbLb1EES19_EEDaS14_S15_EUlS14_E_NS1_11comp_targetILNS1_3genE5ELNS1_11target_archE942ELNS1_3gpuE9ELNS1_3repE0EEENS1_30default_config_static_selectorELNS0_4arch9wavefront6targetE1EEEvT1_
	.p2align	8
	.type	_ZN7rocprim17ROCPRIM_400000_NS6detail17trampoline_kernelINS0_14default_configENS1_25partition_config_selectorILNS1_17partition_subalgoE1ExNS0_10empty_typeEbEEZZNS1_14partition_implILS5_1ELb0ES3_jN6thrust23THRUST_200600_302600_NS6detail15normal_iteratorINSA_10device_ptrIxEEEEPS6_NSA_18transform_iteratorINSA_8identityIxEESF_NSA_11use_defaultESK_EENS0_5tupleIJSF_SF_EEENSM_IJSG_SG_EEES6_PlJS6_EEE10hipError_tPvRmT3_T4_T5_T6_T7_T9_mT8_P12ihipStream_tbDpT10_ENKUlT_T0_E_clISt17integral_constantIbLb1EES19_EEDaS14_S15_EUlS14_E_NS1_11comp_targetILNS1_3genE5ELNS1_11target_archE942ELNS1_3gpuE9ELNS1_3repE0EEENS1_30default_config_static_selectorELNS0_4arch9wavefront6targetE1EEEvT1_,@function
_ZN7rocprim17ROCPRIM_400000_NS6detail17trampoline_kernelINS0_14default_configENS1_25partition_config_selectorILNS1_17partition_subalgoE1ExNS0_10empty_typeEbEEZZNS1_14partition_implILS5_1ELb0ES3_jN6thrust23THRUST_200600_302600_NS6detail15normal_iteratorINSA_10device_ptrIxEEEEPS6_NSA_18transform_iteratorINSA_8identityIxEESF_NSA_11use_defaultESK_EENS0_5tupleIJSF_SF_EEENSM_IJSG_SG_EEES6_PlJS6_EEE10hipError_tPvRmT3_T4_T5_T6_T7_T9_mT8_P12ihipStream_tbDpT10_ENKUlT_T0_E_clISt17integral_constantIbLb1EES19_EEDaS14_S15_EUlS14_E_NS1_11comp_targetILNS1_3genE5ELNS1_11target_archE942ELNS1_3gpuE9ELNS1_3repE0EEENS1_30default_config_static_selectorELNS0_4arch9wavefront6targetE1EEEvT1_: ; @_ZN7rocprim17ROCPRIM_400000_NS6detail17trampoline_kernelINS0_14default_configENS1_25partition_config_selectorILNS1_17partition_subalgoE1ExNS0_10empty_typeEbEEZZNS1_14partition_implILS5_1ELb0ES3_jN6thrust23THRUST_200600_302600_NS6detail15normal_iteratorINSA_10device_ptrIxEEEEPS6_NSA_18transform_iteratorINSA_8identityIxEESF_NSA_11use_defaultESK_EENS0_5tupleIJSF_SF_EEENSM_IJSG_SG_EEES6_PlJS6_EEE10hipError_tPvRmT3_T4_T5_T6_T7_T9_mT8_P12ihipStream_tbDpT10_ENKUlT_T0_E_clISt17integral_constantIbLb1EES19_EEDaS14_S15_EUlS14_E_NS1_11comp_targetILNS1_3genE5ELNS1_11target_archE942ELNS1_3gpuE9ELNS1_3repE0EEENS1_30default_config_static_selectorELNS0_4arch9wavefront6targetE1EEEvT1_
; %bb.0:
	s_load_dwordx2 s[2:3], s[0:1], 0x20
	s_load_dwordx4 s[20:23], s[0:1], 0x50
	s_load_dwordx2 s[6:7], s[0:1], 0x60
	s_load_dwordx2 s[34:35], s[0:1], 0x70
	v_cmp_eq_u32_e64 s[18:19], 0, v0
	s_and_saveexec_b64 s[4:5], s[18:19]
	s_cbranch_execz .LBB586_4
; %bb.1:
	s_mov_b64 s[10:11], exec
	v_mbcnt_lo_u32_b32 v1, s10, 0
	v_mbcnt_hi_u32_b32 v1, s11, v1
	v_cmp_eq_u32_e32 vcc, 0, v1
                                        ; implicit-def: $vgpr2
	s_and_saveexec_b64 s[8:9], vcc
	s_cbranch_execz .LBB586_3
; %bb.2:
	s_load_dwordx2 s[12:13], s[0:1], 0x80
	s_bcnt1_i32_b64 s10, s[10:11]
	v_mov_b32_e32 v2, 0
	v_mov_b32_e32 v3, s10
	s_waitcnt lgkmcnt(0)
	global_atomic_add v2, v2, v3, s[12:13] sc0
.LBB586_3:
	s_or_b64 exec, exec, s[8:9]
	s_waitcnt vmcnt(0)
	v_readfirstlane_b32 s8, v2
	v_mov_b32_e32 v2, 0
	s_nop 0
	v_add_u32_e32 v1, s8, v1
	ds_write_b32 v2, v1
.LBB586_4:
	s_or_b64 exec, exec, s[4:5]
	v_mov_b32_e32 v19, 0
	s_load_dwordx4 s[28:31], s[0:1], 0x8
	s_load_dwordx4 s[24:27], s[0:1], 0x30
	s_load_dword s8, s[0:1], 0x78
	s_waitcnt lgkmcnt(0)
	s_barrier
	ds_read_b32 v1, v19
	s_waitcnt lgkmcnt(0)
	s_barrier
	global_load_dwordx2 v[20:21], v19, s[22:23]
	v_mov_b32_e32 v3, s7
	s_lshl_b64 s[4:5], s[30:31], 3
	s_movk_i32 s7, 0xe00
	s_add_u32 s0, s28, s4
	v_mul_lo_u32 v18, v1, s7
	s_mul_i32 s7, s8, 0xe00
	s_addc_u32 s1, s29, s5
	s_add_i32 s9, s8, -1
	s_add_i32 s8, s7, s30
	s_sub_i32 s33, s6, s8
	s_addk_i32 s33, 0xe00
	v_mov_b32_e32 v2, s6
	s_add_u32 s6, s30, s7
	v_readfirstlane_b32 s40, v1
	s_addc_u32 s7, s31, 0
	s_cmp_eq_u32 s40, s9
	s_cselect_b64 s[22:23], -1, 0
	s_cmp_lg_u32 s40, s9
	v_cmp_lt_u64_e32 vcc, s[6:7], v[2:3]
	s_cselect_b64 s[6:7], -1, 0
	s_or_b64 s[28:29], vcc, s[6:7]
	v_lshlrev_b64 v[22:23], 3, v[18:19]
	v_lshl_add_u64 v[24:25], s[0:1], 0, v[22:23]
	s_mov_b64 s[0:1], -1
	s_and_b64 vcc, exec, s[28:29]
	v_lshlrev_b32_e32 v18, 3, v0
	s_cbranch_vccz .LBB586_6
; %bb.5:
	v_lshl_add_u64 v[2:3], v[24:25], 0, v[18:19]
	v_add_co_u32_e32 v4, vcc, 0x1000, v2
	s_mov_b64 s[0:1], 0
	s_nop 0
	v_addc_co_u32_e32 v5, vcc, 0, v3, vcc
	v_add_co_u32_e32 v6, vcc, 0x2000, v2
	s_nop 1
	v_addc_co_u32_e32 v7, vcc, 0, v3, vcc
	v_add_co_u32_e32 v8, vcc, 0x3000, v2
	s_nop 1
	v_addc_co_u32_e32 v9, vcc, 0, v3, vcc
	flat_load_dwordx2 v[10:11], v[2:3]
	flat_load_dwordx2 v[12:13], v[4:5]
	;; [unrolled: 1-line block ×4, first 2 shown]
	v_add_co_u32_e32 v4, vcc, 0x4000, v2
	s_nop 1
	v_addc_co_u32_e32 v5, vcc, 0, v3, vcc
	v_add_co_u32_e32 v6, vcc, 0x5000, v2
	s_nop 1
	v_addc_co_u32_e32 v7, vcc, 0, v3, vcc
	;; [unrolled: 3-line block ×3, first 2 shown]
	flat_load_dwordx2 v[8:9], v[4:5]
	flat_load_dwordx2 v[26:27], v[6:7]
	;; [unrolled: 1-line block ×3, first 2 shown]
	s_waitcnt vmcnt(0) lgkmcnt(0)
	ds_write2st64_b64 v18, v[10:11], v[12:13] offset1:8
	ds_write2st64_b64 v18, v[14:15], v[16:17] offset0:16 offset1:24
	ds_write2st64_b64 v18, v[8:9], v[26:27] offset0:32 offset1:40
	ds_write_b64 v18, v[28:29] offset:24576
	s_waitcnt lgkmcnt(0)
	s_barrier
.LBB586_6:
	s_andn2_b64 vcc, exec, s[0:1]
	v_cmp_gt_u32_e64 s[0:1], s33, v0
	s_cbranch_vccnz .LBB586_22
; %bb.7:
                                        ; implicit-def: $vgpr2_vgpr3_vgpr4_vgpr5_vgpr6_vgpr7_vgpr8_vgpr9_vgpr10_vgpr11_vgpr12_vgpr13_vgpr14_vgpr15_vgpr16_vgpr17
	s_and_saveexec_b64 s[6:7], s[0:1]
	s_cbranch_execz .LBB586_9
; %bb.8:
	v_mov_b32_e32 v19, 0
	v_lshl_add_u64 v[2:3], v[24:25], 0, v[18:19]
	flat_load_dwordx2 v[2:3], v[2:3]
.LBB586_9:
	s_or_b64 exec, exec, s[6:7]
	v_or_b32_e32 v1, 0x200, v0
	v_cmp_gt_u32_e32 vcc, s33, v1
	s_and_saveexec_b64 s[0:1], vcc
	s_cbranch_execz .LBB586_11
; %bb.10:
	v_lshlrev_b32_e32 v4, 3, v1
	v_mov_b32_e32 v5, 0
	v_lshl_add_u64 v[4:5], v[24:25], 0, v[4:5]
	flat_load_dwordx2 v[4:5], v[4:5]
.LBB586_11:
	s_or_b64 exec, exec, s[0:1]
	v_or_b32_e32 v1, 0x400, v0
	v_cmp_gt_u32_e32 vcc, s33, v1
	s_and_saveexec_b64 s[0:1], vcc
	s_cbranch_execz .LBB586_13
; %bb.12:
	v_lshlrev_b32_e32 v6, 3, v1
	v_mov_b32_e32 v7, 0
	v_lshl_add_u64 v[6:7], v[24:25], 0, v[6:7]
	flat_load_dwordx2 v[6:7], v[6:7]
.LBB586_13:
	;; [unrolled: 11-line block ×6, first 2 shown]
	s_or_b64 exec, exec, s[0:1]
	s_waitcnt vmcnt(0) lgkmcnt(0)
	ds_write2st64_b64 v18, v[2:3], v[4:5] offset1:8
	ds_write2st64_b64 v18, v[6:7], v[8:9] offset0:16 offset1:24
	ds_write2st64_b64 v18, v[10:11], v[12:13] offset0:32 offset1:40
	ds_write_b64 v18, v[14:15] offset:24576
	s_waitcnt lgkmcnt(0)
	s_barrier
.LBB586_22:
	v_mul_u32_u24_e32 v1, 7, v0
	v_lshlrev_b32_e32 v24, 3, v1
	ds_read2_b64 v[10:13], v24 offset1:1
	ds_read2_b64 v[6:9], v24 offset0:2 offset1:3
	ds_read2_b64 v[2:5], v24 offset0:4 offset1:5
	ds_read_b64 v[14:15], v24 offset:48
	s_add_u32 s0, s2, s4
	s_addc_u32 s1, s3, s5
	v_lshl_add_u64 v[16:17], s[0:1], 0, v[22:23]
	s_mov_b64 s[0:1], -1
	s_and_b64 vcc, exec, s[28:29]
	s_waitcnt lgkmcnt(0)
	s_barrier
	s_cbranch_vccz .LBB586_24
; %bb.23:
	v_mov_b32_e32 v19, 0
	v_lshl_add_u64 v[26:27], v[16:17], 0, v[18:19]
	v_add_co_u32_e32 v30, vcc, 0x1000, v26
	v_readfirstlane_b32 s0, v16
	s_nop 0
	v_addc_co_u32_e32 v31, vcc, 0, v27, vcc
	v_add_co_u32_e32 v32, vcc, 0x2000, v26
	v_readfirstlane_b32 s1, v17
	s_nop 0
	v_addc_co_u32_e32 v33, vcc, 0, v27, vcc
	v_add_co_u32_e32 v34, vcc, 0x3000, v26
	s_nop 1
	v_addc_co_u32_e32 v35, vcc, 0, v27, vcc
	global_load_dwordx2 v[28:29], v18, s[0:1]
	v_add_co_u32_e32 v36, vcc, 0x4000, v26
	s_mov_b64 s[0:1], 0
	s_nop 0
	v_addc_co_u32_e32 v37, vcc, 0, v27, vcc
	global_load_dwordx2 v[38:39], v[30:31], off
	global_load_dwordx2 v[40:41], v[32:33], off
	;; [unrolled: 1-line block ×4, first 2 shown]
	v_add_co_u32_e32 v30, vcc, 0x5000, v26
	s_nop 1
	v_addc_co_u32_e32 v31, vcc, 0, v27, vcc
	v_add_co_u32_e32 v26, vcc, 0x6000, v26
	global_load_dwordx2 v[30:31], v[30:31], off
	s_nop 0
	v_addc_co_u32_e32 v27, vcc, 0, v27, vcc
	global_load_dwordx2 v[26:27], v[26:27], off
	s_waitcnt vmcnt(6)
	v_cmp_ne_u64_e32 vcc, 0, v[28:29]
	s_nop 1
	v_cndmask_b32_e64 v19, 0, 1, vcc
	ds_write_b8 v0, v19
	s_waitcnt vmcnt(5)
	v_cmp_ne_u64_e32 vcc, 0, v[38:39]
	s_nop 1
	v_cndmask_b32_e64 v19, 0, 1, vcc
	s_waitcnt vmcnt(4)
	v_cmp_ne_u64_e32 vcc, 0, v[40:41]
	ds_write_b8 v0, v19 offset:512
	s_nop 0
	v_cndmask_b32_e64 v25, 0, 1, vcc
	s_waitcnt vmcnt(3)
	v_cmp_ne_u64_e32 vcc, 0, v[42:43]
	ds_write_b8 v0, v25 offset:1024
	;; [unrolled: 5-line block ×4, first 2 shown]
	s_nop 0
	v_cndmask_b32_e64 v19, 0, 1, vcc
	s_waitcnt vmcnt(0)
	v_cmp_ne_u64_e32 vcc, 0, v[26:27]
	s_nop 1
	v_cndmask_b32_e64 v25, 0, 1, vcc
	ds_write_b8 v0, v19 offset:2560
	ds_write_b8 v0, v25 offset:3072
	s_waitcnt lgkmcnt(0)
	s_barrier
.LBB586_24:
	s_andn2_b64 vcc, exec, s[0:1]
	s_cbranch_vccnz .LBB586_40
; %bb.25:
	v_cmp_gt_u32_e32 vcc, s33, v0
	v_mov_b32_e32 v19, 0
	v_mov_b32_e32 v25, 0
	s_and_saveexec_b64 s[0:1], vcc
	s_cbranch_execz .LBB586_27
; %bb.26:
	v_readfirstlane_b32 s2, v16
	v_readfirstlane_b32 s3, v17
	s_nop 4
	global_load_dwordx2 v[26:27], v18, s[2:3]
	s_waitcnt vmcnt(0)
	v_cmp_ne_u64_e32 vcc, 0, v[26:27]
	s_nop 1
	v_cndmask_b32_e64 v25, 0, 1, vcc
.LBB586_27:
	s_or_b64 exec, exec, s[0:1]
	v_or_b32_e32 v26, 0x200, v0
	v_cmp_gt_u32_e32 vcc, s33, v26
	s_and_saveexec_b64 s[0:1], vcc
	s_cbranch_execz .LBB586_29
; %bb.28:
	v_lshlrev_b32_e32 v19, 3, v26
	v_readfirstlane_b32 s2, v16
	v_readfirstlane_b32 s3, v17
	s_nop 4
	global_load_dwordx2 v[26:27], v19, s[2:3]
	s_waitcnt vmcnt(0)
	v_cmp_ne_u64_e32 vcc, 0, v[26:27]
	s_nop 1
	v_cndmask_b32_e64 v19, 0, 1, vcc
.LBB586_29:
	s_or_b64 exec, exec, s[0:1]
	v_or_b32_e32 v28, 0x400, v0
	v_cmp_gt_u32_e32 vcc, s33, v28
	v_mov_b32_e32 v26, 0
	v_mov_b32_e32 v27, 0
	s_and_saveexec_b64 s[0:1], vcc
	s_cbranch_execz .LBB586_31
; %bb.30:
	v_lshlrev_b32_e32 v27, 3, v28
	v_readfirstlane_b32 s2, v16
	v_readfirstlane_b32 s3, v17
	s_nop 4
	global_load_dwordx2 v[28:29], v27, s[2:3]
	s_waitcnt vmcnt(0)
	v_cmp_ne_u64_e32 vcc, 0, v[28:29]
	s_nop 1
	v_cndmask_b32_e64 v27, 0, 1, vcc
.LBB586_31:
	s_or_b64 exec, exec, s[0:1]
	v_or_b32_e32 v28, 0x600, v0
	v_cmp_gt_u32_e32 vcc, s33, v28
	s_and_saveexec_b64 s[0:1], vcc
	s_cbranch_execz .LBB586_33
; %bb.32:
	v_lshlrev_b32_e32 v26, 3, v28
	v_readfirstlane_b32 s2, v16
	v_readfirstlane_b32 s3, v17
	s_nop 4
	global_load_dwordx2 v[28:29], v26, s[2:3]
	s_waitcnt vmcnt(0)
	v_cmp_ne_u64_e32 vcc, 0, v[28:29]
	s_nop 1
	v_cndmask_b32_e64 v26, 0, 1, vcc
.LBB586_33:
	s_or_b64 exec, exec, s[0:1]
	v_or_b32_e32 v30, 0x800, v0
	v_cmp_gt_u32_e32 vcc, s33, v30
	v_mov_b32_e32 v28, 0
	v_mov_b32_e32 v29, 0
	s_and_saveexec_b64 s[0:1], vcc
	s_cbranch_execz .LBB586_35
; %bb.34:
	v_lshlrev_b32_e32 v29, 3, v30
	v_readfirstlane_b32 s2, v16
	v_readfirstlane_b32 s3, v17
	s_nop 4
	global_load_dwordx2 v[30:31], v29, s[2:3]
	s_waitcnt vmcnt(0)
	v_cmp_ne_u64_e32 vcc, 0, v[30:31]
	s_nop 1
	v_cndmask_b32_e64 v29, 0, 1, vcc
.LBB586_35:
	s_or_b64 exec, exec, s[0:1]
	v_or_b32_e32 v30, 0xa00, v0
	v_cmp_gt_u32_e32 vcc, s33, v30
	s_and_saveexec_b64 s[0:1], vcc
	s_cbranch_execz .LBB586_37
; %bb.36:
	v_lshlrev_b32_e32 v28, 3, v30
	v_readfirstlane_b32 s2, v16
	v_readfirstlane_b32 s3, v17
	s_nop 4
	global_load_dwordx2 v[30:31], v28, s[2:3]
	s_waitcnt vmcnt(0)
	v_cmp_ne_u64_e32 vcc, 0, v[30:31]
	s_nop 1
	v_cndmask_b32_e64 v28, 0, 1, vcc
.LBB586_37:
	s_or_b64 exec, exec, s[0:1]
	v_or_b32_e32 v31, 0xc00, v0
	v_cmp_gt_u32_e32 vcc, s33, v31
	v_mov_b32_e32 v30, 0
	s_and_saveexec_b64 s[0:1], vcc
	s_cbranch_execz .LBB586_39
; %bb.38:
	v_lshlrev_b32_e32 v30, 3, v31
	v_readfirstlane_b32 s2, v16
	v_readfirstlane_b32 s3, v17
	s_nop 4
	global_load_dwordx2 v[16:17], v30, s[2:3]
	s_waitcnt vmcnt(0)
	v_cmp_ne_u64_e32 vcc, 0, v[16:17]
	s_nop 1
	v_cndmask_b32_e64 v30, 0, 1, vcc
.LBB586_39:
	s_or_b64 exec, exec, s[0:1]
	ds_write_b8 v0, v25
	ds_write_b8 v0, v19 offset:512
	ds_write_b8 v0, v27 offset:1024
	;; [unrolled: 1-line block ×6, first 2 shown]
	s_waitcnt lgkmcnt(0)
	s_barrier
.LBB586_40:
	s_movk_i32 s0, 0xffcf
	v_mad_i32_i24 v39, v0, s0, v24
	ds_read_u8 v16, v39
	ds_read_u8 v17, v39 offset:1
	ds_read_u8 v19, v39 offset:2
	;; [unrolled: 1-line block ×6, first 2 shown]
	s_waitcnt lgkmcnt(6)
	v_and_b32_e32 v37, 1, v16
	s_waitcnt lgkmcnt(5)
	v_and_b32_e32 v36, 1, v17
	;; [unrolled: 2-line block ×5, first 2 shown]
	v_add3_u32 v16, v36, v37, v35
	s_waitcnt lgkmcnt(1)
	v_and_b32_e32 v32, 1, v26
	s_waitcnt lgkmcnt(0)
	v_and_b32_e32 v19, 1, v27
	v_add3_u32 v16, v16, v34, v33
	v_add3_u32 v41, v16, v32, v19
	v_mbcnt_lo_u32_b32 v16, -1, 0
	v_mbcnt_hi_u32_b32 v38, -1, v16
	v_and_b32_e32 v16, 15, v38
	v_cmp_eq_u32_e64 s[14:15], 0, v16
	v_cmp_lt_u32_e64 s[12:13], 1, v16
	v_cmp_lt_u32_e64 s[10:11], 3, v16
	;; [unrolled: 1-line block ×3, first 2 shown]
	v_and_b32_e32 v16, 16, v38
	v_cmp_eq_u32_e64 s[6:7], 0, v16
	v_or_b32_e32 v16, 63, v0
	s_cmp_lg_u32 s40, 0
	v_cmp_lt_u32_e64 s[2:3], 31, v38
	v_lshrrev_b32_e32 v40, 6, v0
	v_cmp_eq_u32_e64 s[4:5], v16, v0
	s_barrier
	s_cbranch_scc0 .LBB586_71
; %bb.41:
	v_mov_b32_dpp v16, v41 row_shr:1 row_mask:0xf bank_mask:0xf
	v_cndmask_b32_e64 v16, v16, 0, s[14:15]
	v_add_u32_e32 v16, v16, v41
	s_nop 1
	v_mov_b32_dpp v17, v16 row_shr:2 row_mask:0xf bank_mask:0xf
	v_cndmask_b32_e64 v17, 0, v17, s[12:13]
	v_add_u32_e32 v16, v16, v17
	s_nop 1
	;; [unrolled: 4-line block ×4, first 2 shown]
	v_mov_b32_dpp v17, v16 row_bcast:15 row_mask:0xf bank_mask:0xf
	v_cndmask_b32_e64 v17, v17, 0, s[6:7]
	v_add_u32_e32 v16, v16, v17
	s_nop 1
	v_mov_b32_dpp v17, v16 row_bcast:31 row_mask:0xf bank_mask:0xf
	v_cndmask_b32_e64 v17, 0, v17, s[2:3]
	v_add_u32_e32 v16, v16, v17
	s_and_saveexec_b64 s[0:1], s[4:5]
	s_cbranch_execz .LBB586_43
; %bb.42:
	v_lshlrev_b32_e32 v17, 2, v40
	ds_write_b32 v17, v16
.LBB586_43:
	s_or_b64 exec, exec, s[0:1]
	v_cmp_gt_u32_e32 vcc, 8, v0
	s_waitcnt lgkmcnt(0)
	s_barrier
	s_and_saveexec_b64 s[0:1], vcc
	s_cbranch_execz .LBB586_45
; %bb.44:
	v_lshlrev_b32_e32 v17, 2, v0
	ds_read_b32 v24, v17
	v_and_b32_e32 v25, 7, v38
	v_cmp_ne_u32_e32 vcc, 0, v25
	s_waitcnt lgkmcnt(0)
	v_mov_b32_dpp v26, v24 row_shr:1 row_mask:0xf bank_mask:0xf
	v_cndmask_b32_e32 v26, 0, v26, vcc
	v_add_u32_e32 v24, v26, v24
	v_cmp_lt_u32_e32 vcc, 1, v25
	s_nop 0
	v_mov_b32_dpp v26, v24 row_shr:2 row_mask:0xf bank_mask:0xf
	v_cndmask_b32_e32 v26, 0, v26, vcc
	v_add_u32_e32 v24, v24, v26
	v_cmp_lt_u32_e32 vcc, 3, v25
	s_nop 0
	v_mov_b32_dpp v26, v24 row_shr:4 row_mask:0xf bank_mask:0xf
	v_cndmask_b32_e32 v25, 0, v26, vcc
	v_add_u32_e32 v24, v24, v25
	ds_write_b32 v17, v24
.LBB586_45:
	s_or_b64 exec, exec, s[0:1]
	v_cmp_gt_u32_e32 vcc, 64, v0
	v_cmp_lt_u32_e64 s[0:1], 63, v0
	s_waitcnt lgkmcnt(0)
	s_barrier
	s_waitcnt lgkmcnt(0)
                                        ; implicit-def: $vgpr42
	s_and_saveexec_b64 s[16:17], s[0:1]
	s_cbranch_execz .LBB586_47
; %bb.46:
	v_lshl_add_u32 v17, v40, 2, -4
	ds_read_b32 v42, v17
	s_waitcnt lgkmcnt(0)
	v_add_u32_e32 v16, v42, v16
.LBB586_47:
	s_or_b64 exec, exec, s[16:17]
	v_add_u32_e32 v17, -1, v38
	v_and_b32_e32 v24, 64, v38
	v_cmp_lt_i32_e64 s[0:1], v17, v24
	v_cmp_eq_u32_e64 s[16:17], 0, v38
	s_nop 0
	v_cndmask_b32_e64 v17, v17, v38, s[0:1]
	v_lshlrev_b32_e32 v17, 2, v17
	ds_bpermute_b32 v43, v17, v16
	s_and_saveexec_b64 s[0:1], vcc
	s_cbranch_execz .LBB586_70
; %bb.48:
	v_mov_b32_e32 v31, 0
	ds_read_b32 v16, v31 offset:28
	s_and_saveexec_b64 s[36:37], s[16:17]
	s_cbranch_execz .LBB586_50
; %bb.49:
	s_add_i32 s38, s40, 64
	s_mov_b32 s39, 0
	s_lshl_b64 s[38:39], s[38:39], 3
	s_add_u32 s38, s34, s38
	v_mov_b32_e32 v17, 1
	s_addc_u32 s39, s35, s39
	s_waitcnt lgkmcnt(0)
	global_store_dwordx2 v31, v[16:17], s[38:39] sc1
.LBB586_50:
	s_or_b64 exec, exec, s[36:37]
	v_xad_u32 v24, v38, -1, s40
	v_add_u32_e32 v30, 64, v24
	v_lshl_add_u64 v[26:27], v[30:31], 3, s[34:35]
	global_load_dwordx2 v[28:29], v[26:27], off sc1
	s_waitcnt vmcnt(0)
	v_cmp_eq_u16_sdwa s[38:39], v29, v31 src0_sel:BYTE_0 src1_sel:DWORD
	s_and_saveexec_b64 s[36:37], s[38:39]
	s_cbranch_execz .LBB586_56
; %bb.51:
	s_mov_b32 s41, 1
	s_mov_b64 s[38:39], 0
	v_mov_b32_e32 v17, 0
.LBB586_52:                             ; =>This Loop Header: Depth=1
                                        ;     Child Loop BB586_53 Depth 2
	s_max_u32 s42, s41, 1
.LBB586_53:                             ;   Parent Loop BB586_52 Depth=1
                                        ; =>  This Inner Loop Header: Depth=2
	s_add_i32 s42, s42, -1
	s_cmp_eq_u32 s42, 0
	s_sleep 1
	s_cbranch_scc0 .LBB586_53
; %bb.54:                               ;   in Loop: Header=BB586_52 Depth=1
	global_load_dwordx2 v[28:29], v[26:27], off sc1
	s_cmp_lt_u32 s41, 32
	s_cselect_b64 s[42:43], -1, 0
	s_cmp_lg_u64 s[42:43], 0
	s_addc_u32 s41, s41, 0
	s_waitcnt vmcnt(0)
	v_cmp_ne_u16_sdwa s[42:43], v29, v17 src0_sel:BYTE_0 src1_sel:DWORD
	s_or_b64 s[38:39], s[42:43], s[38:39]
	s_andn2_b64 exec, exec, s[38:39]
	s_cbranch_execnz .LBB586_52
; %bb.55:
	s_or_b64 exec, exec, s[38:39]
.LBB586_56:
	s_or_b64 exec, exec, s[36:37]
	v_and_b32_e32 v45, 63, v38
	v_mov_b32_e32 v44, 2
	v_cmp_ne_u32_e32 vcc, 63, v45
	v_cmp_eq_u16_sdwa s[36:37], v29, v44 src0_sel:BYTE_0 src1_sel:DWORD
	v_lshlrev_b64 v[26:27], v38, -1
	v_addc_co_u32_e32 v30, vcc, 0, v38, vcc
	v_and_b32_e32 v17, s37, v27
	v_lshlrev_b32_e32 v46, 2, v30
	v_or_b32_e32 v17, 0x80000000, v17
	ds_bpermute_b32 v30, v46, v28
	v_and_b32_e32 v25, s36, v26
	v_ffbl_b32_e32 v17, v17
	v_add_u32_e32 v17, 32, v17
	v_ffbl_b32_e32 v25, v25
	v_min_u32_e32 v17, v25, v17
	v_cmp_lt_u32_e32 vcc, v45, v17
	v_add_u32_e32 v48, 2, v45
	v_add_u32_e32 v50, 4, v45
	s_waitcnt lgkmcnt(0)
	v_cndmask_b32_e32 v25, 0, v30, vcc
	v_cmp_gt_u32_e32 vcc, 62, v45
	v_add_u32_e32 v25, v25, v28
	v_add_u32_e32 v52, 8, v45
	v_cndmask_b32_e64 v28, 0, 1, vcc
	v_lshlrev_b32_e32 v28, 1, v28
	v_add_lshl_u32 v47, v28, v38, 2
	ds_bpermute_b32 v28, v47, v25
	v_cmp_le_u32_e32 vcc, v48, v17
	v_add_u32_e32 v54, 16, v45
	v_add_u32_e32 v56, 32, v45
	s_waitcnt lgkmcnt(0)
	v_cndmask_b32_e32 v28, 0, v28, vcc
	v_cmp_gt_u32_e32 vcc, 60, v45
	v_add_u32_e32 v25, v25, v28
	s_nop 0
	v_cndmask_b32_e64 v28, 0, 1, vcc
	v_lshlrev_b32_e32 v28, 2, v28
	v_add_lshl_u32 v49, v28, v38, 2
	ds_bpermute_b32 v28, v49, v25
	v_cmp_le_u32_e32 vcc, v50, v17
	s_waitcnt lgkmcnt(0)
	s_nop 0
	v_cndmask_b32_e32 v28, 0, v28, vcc
	v_cmp_gt_u32_e32 vcc, 56, v45
	v_add_u32_e32 v25, v25, v28
	s_nop 0
	v_cndmask_b32_e64 v28, 0, 1, vcc
	v_lshlrev_b32_e32 v28, 3, v28
	v_add_lshl_u32 v51, v28, v38, 2
	ds_bpermute_b32 v28, v51, v25
	v_cmp_le_u32_e32 vcc, v52, v17
	s_waitcnt lgkmcnt(0)
	s_nop 0
	;; [unrolled: 11-line block ×4, first 2 shown]
	v_cndmask_b32_e32 v17, 0, v28, vcc
	v_add_u32_e32 v28, v25, v17
	v_mov_b32_e32 v25, 0
	s_branch .LBB586_58
.LBB586_57:                             ;   in Loop: Header=BB586_58 Depth=1
	s_or_b64 exec, exec, s[36:37]
	v_cmp_eq_u16_sdwa s[36:37], v29, v44 src0_sel:BYTE_0 src1_sel:DWORD
	ds_bpermute_b32 v57, v46, v28
	v_subrev_u32_e32 v24, 64, v24
	v_and_b32_e32 v30, s37, v27
	v_or_b32_e32 v30, 0x80000000, v30
	v_and_b32_e32 v31, s36, v26
	v_ffbl_b32_e32 v30, v30
	v_add_u32_e32 v30, 32, v30
	v_ffbl_b32_e32 v31, v31
	v_min_u32_e32 v30, v31, v30
	v_cmp_lt_u32_e32 vcc, v45, v30
	s_waitcnt lgkmcnt(0)
	s_nop 0
	v_cndmask_b32_e32 v31, 0, v57, vcc
	v_add_u32_e32 v28, v31, v28
	ds_bpermute_b32 v31, v47, v28
	v_cmp_le_u32_e32 vcc, v48, v30
	s_waitcnt lgkmcnt(0)
	s_nop 0
	v_cndmask_b32_e32 v31, 0, v31, vcc
	v_add_u32_e32 v28, v28, v31
	ds_bpermute_b32 v31, v49, v28
	v_cmp_le_u32_e32 vcc, v50, v30
	;; [unrolled: 6-line block ×5, first 2 shown]
	s_waitcnt lgkmcnt(0)
	s_nop 0
	v_cndmask_b32_e32 v30, 0, v31, vcc
	v_add3_u32 v28, v30, v17, v28
.LBB586_58:                             ; =>This Loop Header: Depth=1
                                        ;     Child Loop BB586_61 Depth 2
                                        ;       Child Loop BB586_62 Depth 3
	v_cmp_ne_u16_sdwa s[36:37], v29, v44 src0_sel:BYTE_0 src1_sel:DWORD
	s_nop 1
	v_cndmask_b32_e64 v17, 0, 1, s[36:37]
	;;#ASMSTART
	;;#ASMEND
	s_nop 0
	v_cmp_ne_u32_e32 vcc, 0, v17
	s_cmp_lg_u64 vcc, exec
	v_mov_b32_e32 v17, v28
	s_cbranch_scc1 .LBB586_65
; %bb.59:                               ;   in Loop: Header=BB586_58 Depth=1
	v_lshl_add_u64 v[30:31], v[24:25], 3, s[34:35]
	global_load_dwordx2 v[28:29], v[30:31], off sc1
	s_waitcnt vmcnt(0)
	v_cmp_eq_u16_sdwa s[38:39], v29, v25 src0_sel:BYTE_0 src1_sel:DWORD
	s_and_saveexec_b64 s[36:37], s[38:39]
	s_cbranch_execz .LBB586_57
; %bb.60:                               ;   in Loop: Header=BB586_58 Depth=1
	s_mov_b32 s41, 1
	s_mov_b64 s[38:39], 0
.LBB586_61:                             ;   Parent Loop BB586_58 Depth=1
                                        ; =>  This Loop Header: Depth=2
                                        ;       Child Loop BB586_62 Depth 3
	s_max_u32 s42, s41, 1
.LBB586_62:                             ;   Parent Loop BB586_58 Depth=1
                                        ;     Parent Loop BB586_61 Depth=2
                                        ; =>    This Inner Loop Header: Depth=3
	s_add_i32 s42, s42, -1
	s_cmp_eq_u32 s42, 0
	s_sleep 1
	s_cbranch_scc0 .LBB586_62
; %bb.63:                               ;   in Loop: Header=BB586_61 Depth=2
	global_load_dwordx2 v[28:29], v[30:31], off sc1
	s_cmp_lt_u32 s41, 32
	s_cselect_b64 s[42:43], -1, 0
	s_cmp_lg_u64 s[42:43], 0
	s_addc_u32 s41, s41, 0
	s_waitcnt vmcnt(0)
	v_cmp_ne_u16_sdwa s[42:43], v29, v25 src0_sel:BYTE_0 src1_sel:DWORD
	s_or_b64 s[38:39], s[42:43], s[38:39]
	s_andn2_b64 exec, exec, s[38:39]
	s_cbranch_execnz .LBB586_61
; %bb.64:                               ;   in Loop: Header=BB586_58 Depth=1
	s_or_b64 exec, exec, s[38:39]
	s_branch .LBB586_57
.LBB586_65:                             ;   in Loop: Header=BB586_58 Depth=1
                                        ; implicit-def: $vgpr28
                                        ; implicit-def: $vgpr29
	s_cbranch_execz .LBB586_58
; %bb.66:
	s_and_saveexec_b64 s[36:37], s[16:17]
	s_cbranch_execz .LBB586_68
; %bb.67:
	s_add_i32 s38, s40, 64
	s_mov_b32 s39, 0
	s_lshl_b64 s[38:39], s[38:39], 3
	s_add_u32 s38, s34, s38
	v_add_u32_e32 v24, v17, v16
	v_mov_b32_e32 v25, 2
	s_addc_u32 s39, s35, s39
	v_mov_b32_e32 v26, 0
	global_store_dwordx2 v26, v[24:25], s[38:39] sc1
	ds_write_b64 v26, v[16:17] offset:28672
.LBB586_68:
	s_or_b64 exec, exec, s[36:37]
	s_and_b64 exec, exec, s[18:19]
	s_cbranch_execz .LBB586_70
; %bb.69:
	v_mov_b32_e32 v16, 0
	ds_write_b32 v16, v17 offset:28
.LBB586_70:
	s_or_b64 exec, exec, s[0:1]
	v_mov_b32_e32 v16, 0
	s_waitcnt lgkmcnt(0)
	s_barrier
	ds_read_b32 v17, v16 offset:28
	v_cndmask_b32_e64 v24, v43, v42, s[16:17]
	v_cndmask_b32_e64 v24, v24, 0, s[18:19]
	s_waitcnt lgkmcnt(0)
	s_barrier
	v_add_u32_e32 v31, v17, v24
	v_add_u32_e32 v30, v31, v37
	ds_read_b64 v[16:17], v16 offset:28672
	v_add_u32_e32 v29, v30, v36
	v_add_u32_e32 v27, v29, v35
	;; [unrolled: 1-line block ×5, first 2 shown]
	s_waitcnt lgkmcnt(0)
	v_mov_b32_e32 v24, v17
	s_branch .LBB586_81
.LBB586_71:
                                        ; implicit-def: $vgpr24
                                        ; implicit-def: $vgpr16
                                        ; implicit-def: $vgpr25
                                        ; implicit-def: $vgpr26
                                        ; implicit-def: $vgpr28
                                        ; implicit-def: $vgpr27
                                        ; implicit-def: $vgpr29
                                        ; implicit-def: $vgpr30
                                        ; implicit-def: $vgpr31
	s_cbranch_execz .LBB586_81
; %bb.72:
	s_nop 0
	v_mov_b32_dpp v16, v41 row_shr:1 row_mask:0xf bank_mask:0xf
	v_cndmask_b32_e64 v16, v16, 0, s[14:15]
	v_add_u32_e32 v16, v16, v41
	s_nop 1
	v_mov_b32_dpp v17, v16 row_shr:2 row_mask:0xf bank_mask:0xf
	v_cndmask_b32_e64 v17, 0, v17, s[12:13]
	v_add_u32_e32 v16, v16, v17
	;; [unrolled: 4-line block ×4, first 2 shown]
	s_nop 1
	v_mov_b32_dpp v17, v16 row_bcast:15 row_mask:0xf bank_mask:0xf
	v_cndmask_b32_e64 v17, v17, 0, s[6:7]
	v_add_u32_e32 v16, v16, v17
	s_nop 1
	v_mov_b32_dpp v17, v16 row_bcast:31 row_mask:0xf bank_mask:0xf
	v_cndmask_b32_e64 v17, 0, v17, s[2:3]
	v_add_u32_e32 v16, v16, v17
	s_and_saveexec_b64 s[0:1], s[4:5]
	s_cbranch_execz .LBB586_74
; %bb.73:
	v_lshlrev_b32_e32 v17, 2, v40
	ds_write_b32 v17, v16
.LBB586_74:
	s_or_b64 exec, exec, s[0:1]
	v_cmp_gt_u32_e32 vcc, 8, v0
	s_waitcnt lgkmcnt(0)
	s_barrier
	s_and_saveexec_b64 s[0:1], vcc
	s_cbranch_execz .LBB586_76
; %bb.75:
	v_mad_i32_i24 v17, v0, -3, v39
	ds_read_b32 v24, v17
	v_and_b32_e32 v25, 7, v38
	v_cmp_ne_u32_e32 vcc, 0, v25
	s_waitcnt lgkmcnt(0)
	v_mov_b32_dpp v26, v24 row_shr:1 row_mask:0xf bank_mask:0xf
	v_cndmask_b32_e32 v26, 0, v26, vcc
	v_add_u32_e32 v24, v26, v24
	v_cmp_lt_u32_e32 vcc, 1, v25
	s_nop 0
	v_mov_b32_dpp v26, v24 row_shr:2 row_mask:0xf bank_mask:0xf
	v_cndmask_b32_e32 v26, 0, v26, vcc
	v_add_u32_e32 v24, v24, v26
	v_cmp_lt_u32_e32 vcc, 3, v25
	s_nop 0
	v_mov_b32_dpp v26, v24 row_shr:4 row_mask:0xf bank_mask:0xf
	v_cndmask_b32_e32 v25, 0, v26, vcc
	v_add_u32_e32 v24, v24, v25
	ds_write_b32 v17, v24
.LBB586_76:
	s_or_b64 exec, exec, s[0:1]
	v_cmp_lt_u32_e32 vcc, 63, v0
	v_mov_b32_e32 v17, 0
	v_mov_b32_e32 v24, 0
	s_waitcnt lgkmcnt(0)
	s_barrier
	s_and_saveexec_b64 s[0:1], vcc
	s_cbranch_execz .LBB586_78
; %bb.77:
	v_lshl_add_u32 v24, v40, 2, -4
	ds_read_b32 v24, v24
.LBB586_78:
	s_or_b64 exec, exec, s[0:1]
	v_add_u32_e32 v25, -1, v38
	v_and_b32_e32 v26, 64, v38
	v_cmp_lt_i32_e32 vcc, v25, v26
	s_waitcnt lgkmcnt(0)
	v_add_u32_e32 v16, v24, v16
	v_cndmask_b32_e32 v25, v25, v38, vcc
	v_lshlrev_b32_e32 v25, 2, v25
	ds_bpermute_b32 v25, v25, v16
	ds_read_b32 v16, v17 offset:28
	s_and_saveexec_b64 s[0:1], s[18:19]
	s_cbranch_execz .LBB586_80
; %bb.79:
	v_mov_b32_e32 v26, 0
	v_mov_b32_e32 v17, 2
	s_waitcnt lgkmcnt(0)
	global_store_dwordx2 v26, v[16:17], s[34:35] offset:512 sc1
.LBB586_80:
	s_or_b64 exec, exec, s[0:1]
	v_cmp_eq_u32_e32 vcc, 0, v38
	s_waitcnt lgkmcnt(0)
	s_barrier
	v_cndmask_b32_e32 v17, v25, v24, vcc
	v_cndmask_b32_e64 v31, v17, 0, s[18:19]
	v_add_u32_e32 v30, v31, v37
	v_add_u32_e32 v29, v30, v36
	;; [unrolled: 1-line block ×5, first 2 shown]
	v_mov_b32_e32 v24, 0
	v_add_u32_e32 v25, v26, v32
.LBB586_81:
	v_add_u32_e32 v1, v16, v1
	v_sub_u32_e32 v17, v31, v24
	v_sub_u32_e32 v31, v1, v17
	v_cmp_eq_u32_e32 vcc, 1, v37
	s_nop 1
	v_cndmask_b32_e32 v17, v31, v17, vcc
	v_lshlrev_b32_e32 v17, 3, v17
	ds_write_b64 v17, v[10:11]
	v_sub_u32_e32 v10, v30, v24
	v_sub_u32_e32 v11, v1, v10
	v_add_u32_e32 v11, 1, v11
	v_cmp_eq_u32_e32 vcc, 1, v36
	v_or_b32_e32 v31, 0x400, v0
	v_or_b32_e32 v30, 0x600, v0
	v_cndmask_b32_e32 v10, v11, v10, vcc
	v_lshlrev_b32_e32 v10, 3, v10
	ds_write_b64 v10, v[12:13]
	v_sub_u32_e32 v10, v29, v24
	v_sub_u32_e32 v11, v1, v10
	v_add_u32_e32 v11, 2, v11
	v_cmp_eq_u32_e32 vcc, 1, v35
	v_or_b32_e32 v29, 0x800, v0
	s_nop 0
	v_cndmask_b32_e32 v10, v11, v10, vcc
	v_lshlrev_b32_e32 v10, 3, v10
	ds_write_b64 v10, v[6:7]
	v_sub_u32_e32 v6, v27, v24
	v_sub_u32_e32 v7, v1, v6
	v_add_u32_e32 v7, 3, v7
	v_cmp_eq_u32_e32 vcc, 1, v34
	s_nop 1
	v_cndmask_b32_e32 v6, v7, v6, vcc
	v_lshlrev_b32_e32 v6, 3, v6
	ds_write_b64 v6, v[8:9]
	v_sub_u32_e32 v6, v28, v24
	v_sub_u32_e32 v7, v1, v6
	v_add_u32_e32 v7, 4, v7
	v_cmp_eq_u32_e32 vcc, 1, v33
	v_or_b32_e32 v28, 0xa00, v0
	s_nop 0
	v_cndmask_b32_e32 v6, v7, v6, vcc
	v_lshlrev_b32_e32 v6, 3, v6
	ds_write_b64 v6, v[2:3]
	v_sub_u32_e32 v2, v26, v24
	v_sub_u32_e32 v3, v1, v2
	v_add_u32_e32 v3, 5, v3
	v_cmp_eq_u32_e32 vcc, 1, v32
	v_or_b32_e32 v32, 0x200, v0
	s_nop 0
	v_cndmask_b32_e32 v2, v3, v2, vcc
	v_lshlrev_b32_e32 v2, 3, v2
	ds_write_b64 v2, v[4:5]
	v_sub_u32_e32 v2, v25, v24
	v_sub_u32_e32 v1, v1, v2
	v_add_u32_e32 v1, 6, v1
	v_cmp_eq_u32_e32 vcc, 1, v19
	v_mov_b32_e32 v25, 0
	s_waitcnt vmcnt(0)
	v_lshl_add_u64 v[34:35], v[20:21], 0, v[24:25]
	v_cndmask_b32_e32 v1, v1, v2, vcc
	v_lshlrev_b32_e32 v1, 3, v1
	v_mov_b32_e32 v17, v25
	ds_write_b64 v1, v[14:15]
	v_lshl_add_u64 v[14:15], v[34:35], 0, v[16:17]
	v_mov_b32_e32 v17, s31
	v_sub_co_u32_e32 v20, vcc, s30, v14
	s_waitcnt lgkmcnt(0)
	s_barrier
	ds_read2st64_b64 v[10:13], v18 offset1:8
	ds_read2st64_b64 v[6:9], v18 offset0:16 offset1:24
	ds_read2st64_b64 v[2:5], v18 offset0:32 offset1:40
	ds_read_b64 v[26:27], v18 offset:24576
	v_subb_co_u32_e32 v21, vcc, v17, v15, vcc
	v_lshlrev_b64 v[20:21], 3, v[20:21]
	v_lshl_add_u64 v[20:21], s[26:27], 0, v[20:21]
	v_lshl_add_u64 v[20:21], v[20:21], 0, v[22:23]
	v_lshlrev_b64 v[22:23], 3, v[34:35]
	v_or_b32_e32 v1, 0xc00, v0
	s_andn2_b64 vcc, exec, s[28:29]
	v_lshl_add_u64 v[22:23], s[24:25], 0, v[22:23]
	s_cbranch_vccnz .LBB586_83
; %bb.82:
	v_cmp_lt_u32_e32 vcc, v0, v16
	v_mov_b32_e32 v19, v25
	v_lshlrev_b32_e32 v24, 3, v32
	v_cndmask_b32_e32 v35, v21, v23, vcc
	v_cndmask_b32_e32 v34, v20, v22, vcc
	v_lshl_add_u64 v[34:35], v[34:35], 0, v[18:19]
	v_cmp_lt_u32_e32 vcc, v32, v16
	s_waitcnt lgkmcnt(3)
	global_store_dwordx2 v[34:35], v[10:11], off
	v_cndmask_b32_e32 v35, v21, v23, vcc
	v_cndmask_b32_e32 v34, v20, v22, vcc
	v_lshl_add_u64 v[34:35], v[34:35], 0, v[24:25]
	v_cmp_lt_u32_e32 vcc, v31, v16
	global_store_dwordx2 v[34:35], v[12:13], off
	v_lshlrev_b32_e32 v24, 3, v31
	v_cndmask_b32_e32 v35, v21, v23, vcc
	v_cndmask_b32_e32 v34, v20, v22, vcc
	v_lshl_add_u64 v[34:35], v[34:35], 0, v[24:25]
	v_cmp_lt_u32_e32 vcc, v30, v16
	s_waitcnt lgkmcnt(2)
	global_store_dwordx2 v[34:35], v[6:7], off
	v_lshlrev_b32_e32 v24, 3, v30
	v_cndmask_b32_e32 v35, v21, v23, vcc
	v_cndmask_b32_e32 v34, v20, v22, vcc
	v_lshl_add_u64 v[34:35], v[34:35], 0, v[24:25]
	v_cmp_lt_u32_e32 vcc, v29, v16
	global_store_dwordx2 v[34:35], v[8:9], off
	v_lshlrev_b32_e32 v24, 3, v29
	v_cndmask_b32_e32 v35, v21, v23, vcc
	v_cndmask_b32_e32 v34, v20, v22, vcc
	v_lshl_add_u64 v[34:35], v[34:35], 0, v[24:25]
	v_cmp_lt_u32_e32 vcc, v28, v16
	s_waitcnt lgkmcnt(1)
	global_store_dwordx2 v[34:35], v[2:3], off
	v_lshlrev_b32_e32 v24, 3, v28
	v_cndmask_b32_e32 v35, v21, v23, vcc
	v_cndmask_b32_e32 v34, v20, v22, vcc
	v_lshl_add_u64 v[24:25], v[34:35], 0, v[24:25]
	s_mov_b64 s[0:1], -1
	global_store_dwordx2 v[24:25], v[4:5], off
	s_cbranch_execz .LBB586_84
	s_branch .LBB586_92
.LBB586_83:
	s_mov_b64 s[0:1], 0
.LBB586_84:
	v_cmp_gt_u32_e32 vcc, s33, v0
	s_and_saveexec_b64 s[0:1], vcc
	s_cbranch_execnz .LBB586_97
; %bb.85:
	s_or_b64 exec, exec, s[0:1]
	v_cmp_gt_u32_e32 vcc, s33, v32
	s_and_saveexec_b64 s[0:1], vcc
	s_cbranch_execnz .LBB586_98
.LBB586_86:
	s_or_b64 exec, exec, s[0:1]
	v_cmp_gt_u32_e32 vcc, s33, v31
	s_and_saveexec_b64 s[0:1], vcc
	s_cbranch_execnz .LBB586_99
.LBB586_87:
	s_or_b64 exec, exec, s[0:1]
	v_cmp_gt_u32_e32 vcc, s33, v30
	s_and_saveexec_b64 s[0:1], vcc
	s_cbranch_execnz .LBB586_100
.LBB586_88:
	s_or_b64 exec, exec, s[0:1]
	v_cmp_gt_u32_e32 vcc, s33, v29
	s_and_saveexec_b64 s[0:1], vcc
	s_cbranch_execnz .LBB586_101
.LBB586_89:
	s_or_b64 exec, exec, s[0:1]
	v_cmp_gt_u32_e32 vcc, s33, v28
	s_and_saveexec_b64 s[0:1], vcc
	s_cbranch_execz .LBB586_91
.LBB586_90:
	v_cmp_lt_u32_e32 vcc, v28, v16
	s_waitcnt lgkmcnt(2)
	v_lshlrev_b32_e32 v6, 3, v28
	v_mov_b32_e32 v7, 0
	s_waitcnt lgkmcnt(1)
	v_cndmask_b32_e32 v3, v21, v23, vcc
	v_cndmask_b32_e32 v2, v20, v22, vcc
	v_lshl_add_u64 v[2:3], v[2:3], 0, v[6:7]
	global_store_dwordx2 v[2:3], v[4:5], off
.LBB586_91:
	s_or_b64 exec, exec, s[0:1]
	v_cmp_gt_u32_e64 s[0:1], s33, v1
.LBB586_92:
	s_and_saveexec_b64 s[2:3], s[0:1]
	s_cbranch_execnz .LBB586_95
; %bb.93:
	s_or_b64 exec, exec, s[2:3]
	s_and_b64 s[0:1], s[18:19], s[22:23]
	s_and_saveexec_b64 s[2:3], s[0:1]
	s_cbranch_execnz .LBB586_96
.LBB586_94:
	s_endpgm
.LBB586_95:
	v_cmp_lt_u32_e32 vcc, v1, v16
	v_lshlrev_b32_e32 v0, 3, v1
	v_mov_b32_e32 v1, 0
	s_waitcnt lgkmcnt(1)
	v_cndmask_b32_e32 v3, v21, v23, vcc
	v_cndmask_b32_e32 v2, v20, v22, vcc
	v_lshl_add_u64 v[0:1], v[2:3], 0, v[0:1]
	s_waitcnt lgkmcnt(0)
	global_store_dwordx2 v[0:1], v[26:27], off
	s_or_b64 exec, exec, s[2:3]
	s_and_b64 s[0:1], s[18:19], s[22:23]
	s_and_saveexec_b64 s[2:3], s[0:1]
	s_cbranch_execz .LBB586_94
.LBB586_96:
	v_mov_b32_e32 v0, 0
	global_store_dwordx2 v0, v[14:15], s[20:21]
	s_endpgm
.LBB586_97:
	v_cmp_lt_u32_e32 vcc, v0, v16
	v_mov_b32_e32 v19, 0
	s_nop 0
	v_cndmask_b32_e32 v25, v21, v23, vcc
	v_cndmask_b32_e32 v24, v20, v22, vcc
	v_lshl_add_u64 v[18:19], v[24:25], 0, v[18:19]
	s_waitcnt lgkmcnt(3)
	global_store_dwordx2 v[18:19], v[10:11], off
	s_or_b64 exec, exec, s[0:1]
	v_cmp_gt_u32_e32 vcc, s33, v32
	s_and_saveexec_b64 s[0:1], vcc
	s_cbranch_execz .LBB586_86
.LBB586_98:
	v_cmp_lt_u32_e32 vcc, v32, v16
	v_lshlrev_b32_e32 v18, 3, v32
	v_mov_b32_e32 v19, 0
	s_waitcnt lgkmcnt(3)
	v_cndmask_b32_e32 v11, v21, v23, vcc
	v_cndmask_b32_e32 v10, v20, v22, vcc
	v_lshl_add_u64 v[10:11], v[10:11], 0, v[18:19]
	global_store_dwordx2 v[10:11], v[12:13], off
	s_or_b64 exec, exec, s[0:1]
	v_cmp_gt_u32_e32 vcc, s33, v31
	s_and_saveexec_b64 s[0:1], vcc
	s_cbranch_execz .LBB586_87
.LBB586_99:
	v_cmp_lt_u32_e32 vcc, v31, v16
	s_waitcnt lgkmcnt(3)
	v_lshlrev_b32_e32 v12, 3, v31
	v_mov_b32_e32 v13, 0
	v_cndmask_b32_e32 v11, v21, v23, vcc
	v_cndmask_b32_e32 v10, v20, v22, vcc
	v_lshl_add_u64 v[10:11], v[10:11], 0, v[12:13]
	s_waitcnt lgkmcnt(2)
	global_store_dwordx2 v[10:11], v[6:7], off
	s_or_b64 exec, exec, s[0:1]
	v_cmp_gt_u32_e32 vcc, s33, v30
	s_and_saveexec_b64 s[0:1], vcc
	s_cbranch_execz .LBB586_88
.LBB586_100:
	v_cmp_lt_u32_e32 vcc, v30, v16
	s_waitcnt lgkmcnt(3)
	v_lshlrev_b32_e32 v10, 3, v30
	v_mov_b32_e32 v11, 0
	s_waitcnt lgkmcnt(2)
	v_cndmask_b32_e32 v7, v21, v23, vcc
	v_cndmask_b32_e32 v6, v20, v22, vcc
	v_lshl_add_u64 v[6:7], v[6:7], 0, v[10:11]
	global_store_dwordx2 v[6:7], v[8:9], off
	s_or_b64 exec, exec, s[0:1]
	v_cmp_gt_u32_e32 vcc, s33, v29
	s_and_saveexec_b64 s[0:1], vcc
	s_cbranch_execz .LBB586_89
.LBB586_101:
	v_cmp_lt_u32_e32 vcc, v29, v16
	s_waitcnt lgkmcnt(2)
	v_lshlrev_b32_e32 v8, 3, v29
	v_mov_b32_e32 v9, 0
	v_cndmask_b32_e32 v7, v21, v23, vcc
	v_cndmask_b32_e32 v6, v20, v22, vcc
	v_lshl_add_u64 v[6:7], v[6:7], 0, v[8:9]
	s_waitcnt lgkmcnt(1)
	global_store_dwordx2 v[6:7], v[2:3], off
	s_or_b64 exec, exec, s[0:1]
	v_cmp_gt_u32_e32 vcc, s33, v28
	s_and_saveexec_b64 s[0:1], vcc
	s_cbranch_execnz .LBB586_90
	s_branch .LBB586_91
	.section	.rodata,"a",@progbits
	.p2align	6, 0x0
	.amdhsa_kernel _ZN7rocprim17ROCPRIM_400000_NS6detail17trampoline_kernelINS0_14default_configENS1_25partition_config_selectorILNS1_17partition_subalgoE1ExNS0_10empty_typeEbEEZZNS1_14partition_implILS5_1ELb0ES3_jN6thrust23THRUST_200600_302600_NS6detail15normal_iteratorINSA_10device_ptrIxEEEEPS6_NSA_18transform_iteratorINSA_8identityIxEESF_NSA_11use_defaultESK_EENS0_5tupleIJSF_SF_EEENSM_IJSG_SG_EEES6_PlJS6_EEE10hipError_tPvRmT3_T4_T5_T6_T7_T9_mT8_P12ihipStream_tbDpT10_ENKUlT_T0_E_clISt17integral_constantIbLb1EES19_EEDaS14_S15_EUlS14_E_NS1_11comp_targetILNS1_3genE5ELNS1_11target_archE942ELNS1_3gpuE9ELNS1_3repE0EEENS1_30default_config_static_selectorELNS0_4arch9wavefront6targetE1EEEvT1_
		.amdhsa_group_segment_fixed_size 28680
		.amdhsa_private_segment_fixed_size 0
		.amdhsa_kernarg_size 144
		.amdhsa_user_sgpr_count 2
		.amdhsa_user_sgpr_dispatch_ptr 0
		.amdhsa_user_sgpr_queue_ptr 0
		.amdhsa_user_sgpr_kernarg_segment_ptr 1
		.amdhsa_user_sgpr_dispatch_id 0
		.amdhsa_user_sgpr_kernarg_preload_length 0
		.amdhsa_user_sgpr_kernarg_preload_offset 0
		.amdhsa_user_sgpr_private_segment_size 0
		.amdhsa_uses_dynamic_stack 0
		.amdhsa_enable_private_segment 0
		.amdhsa_system_sgpr_workgroup_id_x 1
		.amdhsa_system_sgpr_workgroup_id_y 0
		.amdhsa_system_sgpr_workgroup_id_z 0
		.amdhsa_system_sgpr_workgroup_info 0
		.amdhsa_system_vgpr_workitem_id 0
		.amdhsa_next_free_vgpr 58
		.amdhsa_next_free_sgpr 44
		.amdhsa_accum_offset 60
		.amdhsa_reserve_vcc 1
		.amdhsa_float_round_mode_32 0
		.amdhsa_float_round_mode_16_64 0
		.amdhsa_float_denorm_mode_32 3
		.amdhsa_float_denorm_mode_16_64 3
		.amdhsa_dx10_clamp 1
		.amdhsa_ieee_mode 1
		.amdhsa_fp16_overflow 0
		.amdhsa_tg_split 0
		.amdhsa_exception_fp_ieee_invalid_op 0
		.amdhsa_exception_fp_denorm_src 0
		.amdhsa_exception_fp_ieee_div_zero 0
		.amdhsa_exception_fp_ieee_overflow 0
		.amdhsa_exception_fp_ieee_underflow 0
		.amdhsa_exception_fp_ieee_inexact 0
		.amdhsa_exception_int_div_zero 0
	.end_amdhsa_kernel
	.section	.text._ZN7rocprim17ROCPRIM_400000_NS6detail17trampoline_kernelINS0_14default_configENS1_25partition_config_selectorILNS1_17partition_subalgoE1ExNS0_10empty_typeEbEEZZNS1_14partition_implILS5_1ELb0ES3_jN6thrust23THRUST_200600_302600_NS6detail15normal_iteratorINSA_10device_ptrIxEEEEPS6_NSA_18transform_iteratorINSA_8identityIxEESF_NSA_11use_defaultESK_EENS0_5tupleIJSF_SF_EEENSM_IJSG_SG_EEES6_PlJS6_EEE10hipError_tPvRmT3_T4_T5_T6_T7_T9_mT8_P12ihipStream_tbDpT10_ENKUlT_T0_E_clISt17integral_constantIbLb1EES19_EEDaS14_S15_EUlS14_E_NS1_11comp_targetILNS1_3genE5ELNS1_11target_archE942ELNS1_3gpuE9ELNS1_3repE0EEENS1_30default_config_static_selectorELNS0_4arch9wavefront6targetE1EEEvT1_,"axG",@progbits,_ZN7rocprim17ROCPRIM_400000_NS6detail17trampoline_kernelINS0_14default_configENS1_25partition_config_selectorILNS1_17partition_subalgoE1ExNS0_10empty_typeEbEEZZNS1_14partition_implILS5_1ELb0ES3_jN6thrust23THRUST_200600_302600_NS6detail15normal_iteratorINSA_10device_ptrIxEEEEPS6_NSA_18transform_iteratorINSA_8identityIxEESF_NSA_11use_defaultESK_EENS0_5tupleIJSF_SF_EEENSM_IJSG_SG_EEES6_PlJS6_EEE10hipError_tPvRmT3_T4_T5_T6_T7_T9_mT8_P12ihipStream_tbDpT10_ENKUlT_T0_E_clISt17integral_constantIbLb1EES19_EEDaS14_S15_EUlS14_E_NS1_11comp_targetILNS1_3genE5ELNS1_11target_archE942ELNS1_3gpuE9ELNS1_3repE0EEENS1_30default_config_static_selectorELNS0_4arch9wavefront6targetE1EEEvT1_,comdat
.Lfunc_end586:
	.size	_ZN7rocprim17ROCPRIM_400000_NS6detail17trampoline_kernelINS0_14default_configENS1_25partition_config_selectorILNS1_17partition_subalgoE1ExNS0_10empty_typeEbEEZZNS1_14partition_implILS5_1ELb0ES3_jN6thrust23THRUST_200600_302600_NS6detail15normal_iteratorINSA_10device_ptrIxEEEEPS6_NSA_18transform_iteratorINSA_8identityIxEESF_NSA_11use_defaultESK_EENS0_5tupleIJSF_SF_EEENSM_IJSG_SG_EEES6_PlJS6_EEE10hipError_tPvRmT3_T4_T5_T6_T7_T9_mT8_P12ihipStream_tbDpT10_ENKUlT_T0_E_clISt17integral_constantIbLb1EES19_EEDaS14_S15_EUlS14_E_NS1_11comp_targetILNS1_3genE5ELNS1_11target_archE942ELNS1_3gpuE9ELNS1_3repE0EEENS1_30default_config_static_selectorELNS0_4arch9wavefront6targetE1EEEvT1_, .Lfunc_end586-_ZN7rocprim17ROCPRIM_400000_NS6detail17trampoline_kernelINS0_14default_configENS1_25partition_config_selectorILNS1_17partition_subalgoE1ExNS0_10empty_typeEbEEZZNS1_14partition_implILS5_1ELb0ES3_jN6thrust23THRUST_200600_302600_NS6detail15normal_iteratorINSA_10device_ptrIxEEEEPS6_NSA_18transform_iteratorINSA_8identityIxEESF_NSA_11use_defaultESK_EENS0_5tupleIJSF_SF_EEENSM_IJSG_SG_EEES6_PlJS6_EEE10hipError_tPvRmT3_T4_T5_T6_T7_T9_mT8_P12ihipStream_tbDpT10_ENKUlT_T0_E_clISt17integral_constantIbLb1EES19_EEDaS14_S15_EUlS14_E_NS1_11comp_targetILNS1_3genE5ELNS1_11target_archE942ELNS1_3gpuE9ELNS1_3repE0EEENS1_30default_config_static_selectorELNS0_4arch9wavefront6targetE1EEEvT1_
                                        ; -- End function
	.section	.AMDGPU.csdata,"",@progbits
; Kernel info:
; codeLenInByte = 5396
; NumSgprs: 50
; NumVgprs: 58
; NumAgprs: 0
; TotalNumVgprs: 58
; ScratchSize: 0
; MemoryBound: 0
; FloatMode: 240
; IeeeMode: 1
; LDSByteSize: 28680 bytes/workgroup (compile time only)
; SGPRBlocks: 6
; VGPRBlocks: 7
; NumSGPRsForWavesPerEU: 50
; NumVGPRsForWavesPerEU: 58
; AccumOffset: 60
; Occupancy: 4
; WaveLimiterHint : 1
; COMPUTE_PGM_RSRC2:SCRATCH_EN: 0
; COMPUTE_PGM_RSRC2:USER_SGPR: 2
; COMPUTE_PGM_RSRC2:TRAP_HANDLER: 0
; COMPUTE_PGM_RSRC2:TGID_X_EN: 1
; COMPUTE_PGM_RSRC2:TGID_Y_EN: 0
; COMPUTE_PGM_RSRC2:TGID_Z_EN: 0
; COMPUTE_PGM_RSRC2:TIDIG_COMP_CNT: 0
; COMPUTE_PGM_RSRC3_GFX90A:ACCUM_OFFSET: 14
; COMPUTE_PGM_RSRC3_GFX90A:TG_SPLIT: 0
	.section	.text._ZN7rocprim17ROCPRIM_400000_NS6detail17trampoline_kernelINS0_14default_configENS1_25partition_config_selectorILNS1_17partition_subalgoE1ExNS0_10empty_typeEbEEZZNS1_14partition_implILS5_1ELb0ES3_jN6thrust23THRUST_200600_302600_NS6detail15normal_iteratorINSA_10device_ptrIxEEEEPS6_NSA_18transform_iteratorINSA_8identityIxEESF_NSA_11use_defaultESK_EENS0_5tupleIJSF_SF_EEENSM_IJSG_SG_EEES6_PlJS6_EEE10hipError_tPvRmT3_T4_T5_T6_T7_T9_mT8_P12ihipStream_tbDpT10_ENKUlT_T0_E_clISt17integral_constantIbLb1EES19_EEDaS14_S15_EUlS14_E_NS1_11comp_targetILNS1_3genE4ELNS1_11target_archE910ELNS1_3gpuE8ELNS1_3repE0EEENS1_30default_config_static_selectorELNS0_4arch9wavefront6targetE1EEEvT1_,"axG",@progbits,_ZN7rocprim17ROCPRIM_400000_NS6detail17trampoline_kernelINS0_14default_configENS1_25partition_config_selectorILNS1_17partition_subalgoE1ExNS0_10empty_typeEbEEZZNS1_14partition_implILS5_1ELb0ES3_jN6thrust23THRUST_200600_302600_NS6detail15normal_iteratorINSA_10device_ptrIxEEEEPS6_NSA_18transform_iteratorINSA_8identityIxEESF_NSA_11use_defaultESK_EENS0_5tupleIJSF_SF_EEENSM_IJSG_SG_EEES6_PlJS6_EEE10hipError_tPvRmT3_T4_T5_T6_T7_T9_mT8_P12ihipStream_tbDpT10_ENKUlT_T0_E_clISt17integral_constantIbLb1EES19_EEDaS14_S15_EUlS14_E_NS1_11comp_targetILNS1_3genE4ELNS1_11target_archE910ELNS1_3gpuE8ELNS1_3repE0EEENS1_30default_config_static_selectorELNS0_4arch9wavefront6targetE1EEEvT1_,comdat
	.protected	_ZN7rocprim17ROCPRIM_400000_NS6detail17trampoline_kernelINS0_14default_configENS1_25partition_config_selectorILNS1_17partition_subalgoE1ExNS0_10empty_typeEbEEZZNS1_14partition_implILS5_1ELb0ES3_jN6thrust23THRUST_200600_302600_NS6detail15normal_iteratorINSA_10device_ptrIxEEEEPS6_NSA_18transform_iteratorINSA_8identityIxEESF_NSA_11use_defaultESK_EENS0_5tupleIJSF_SF_EEENSM_IJSG_SG_EEES6_PlJS6_EEE10hipError_tPvRmT3_T4_T5_T6_T7_T9_mT8_P12ihipStream_tbDpT10_ENKUlT_T0_E_clISt17integral_constantIbLb1EES19_EEDaS14_S15_EUlS14_E_NS1_11comp_targetILNS1_3genE4ELNS1_11target_archE910ELNS1_3gpuE8ELNS1_3repE0EEENS1_30default_config_static_selectorELNS0_4arch9wavefront6targetE1EEEvT1_ ; -- Begin function _ZN7rocprim17ROCPRIM_400000_NS6detail17trampoline_kernelINS0_14default_configENS1_25partition_config_selectorILNS1_17partition_subalgoE1ExNS0_10empty_typeEbEEZZNS1_14partition_implILS5_1ELb0ES3_jN6thrust23THRUST_200600_302600_NS6detail15normal_iteratorINSA_10device_ptrIxEEEEPS6_NSA_18transform_iteratorINSA_8identityIxEESF_NSA_11use_defaultESK_EENS0_5tupleIJSF_SF_EEENSM_IJSG_SG_EEES6_PlJS6_EEE10hipError_tPvRmT3_T4_T5_T6_T7_T9_mT8_P12ihipStream_tbDpT10_ENKUlT_T0_E_clISt17integral_constantIbLb1EES19_EEDaS14_S15_EUlS14_E_NS1_11comp_targetILNS1_3genE4ELNS1_11target_archE910ELNS1_3gpuE8ELNS1_3repE0EEENS1_30default_config_static_selectorELNS0_4arch9wavefront6targetE1EEEvT1_
	.globl	_ZN7rocprim17ROCPRIM_400000_NS6detail17trampoline_kernelINS0_14default_configENS1_25partition_config_selectorILNS1_17partition_subalgoE1ExNS0_10empty_typeEbEEZZNS1_14partition_implILS5_1ELb0ES3_jN6thrust23THRUST_200600_302600_NS6detail15normal_iteratorINSA_10device_ptrIxEEEEPS6_NSA_18transform_iteratorINSA_8identityIxEESF_NSA_11use_defaultESK_EENS0_5tupleIJSF_SF_EEENSM_IJSG_SG_EEES6_PlJS6_EEE10hipError_tPvRmT3_T4_T5_T6_T7_T9_mT8_P12ihipStream_tbDpT10_ENKUlT_T0_E_clISt17integral_constantIbLb1EES19_EEDaS14_S15_EUlS14_E_NS1_11comp_targetILNS1_3genE4ELNS1_11target_archE910ELNS1_3gpuE8ELNS1_3repE0EEENS1_30default_config_static_selectorELNS0_4arch9wavefront6targetE1EEEvT1_
	.p2align	8
	.type	_ZN7rocprim17ROCPRIM_400000_NS6detail17trampoline_kernelINS0_14default_configENS1_25partition_config_selectorILNS1_17partition_subalgoE1ExNS0_10empty_typeEbEEZZNS1_14partition_implILS5_1ELb0ES3_jN6thrust23THRUST_200600_302600_NS6detail15normal_iteratorINSA_10device_ptrIxEEEEPS6_NSA_18transform_iteratorINSA_8identityIxEESF_NSA_11use_defaultESK_EENS0_5tupleIJSF_SF_EEENSM_IJSG_SG_EEES6_PlJS6_EEE10hipError_tPvRmT3_T4_T5_T6_T7_T9_mT8_P12ihipStream_tbDpT10_ENKUlT_T0_E_clISt17integral_constantIbLb1EES19_EEDaS14_S15_EUlS14_E_NS1_11comp_targetILNS1_3genE4ELNS1_11target_archE910ELNS1_3gpuE8ELNS1_3repE0EEENS1_30default_config_static_selectorELNS0_4arch9wavefront6targetE1EEEvT1_,@function
_ZN7rocprim17ROCPRIM_400000_NS6detail17trampoline_kernelINS0_14default_configENS1_25partition_config_selectorILNS1_17partition_subalgoE1ExNS0_10empty_typeEbEEZZNS1_14partition_implILS5_1ELb0ES3_jN6thrust23THRUST_200600_302600_NS6detail15normal_iteratorINSA_10device_ptrIxEEEEPS6_NSA_18transform_iteratorINSA_8identityIxEESF_NSA_11use_defaultESK_EENS0_5tupleIJSF_SF_EEENSM_IJSG_SG_EEES6_PlJS6_EEE10hipError_tPvRmT3_T4_T5_T6_T7_T9_mT8_P12ihipStream_tbDpT10_ENKUlT_T0_E_clISt17integral_constantIbLb1EES19_EEDaS14_S15_EUlS14_E_NS1_11comp_targetILNS1_3genE4ELNS1_11target_archE910ELNS1_3gpuE8ELNS1_3repE0EEENS1_30default_config_static_selectorELNS0_4arch9wavefront6targetE1EEEvT1_: ; @_ZN7rocprim17ROCPRIM_400000_NS6detail17trampoline_kernelINS0_14default_configENS1_25partition_config_selectorILNS1_17partition_subalgoE1ExNS0_10empty_typeEbEEZZNS1_14partition_implILS5_1ELb0ES3_jN6thrust23THRUST_200600_302600_NS6detail15normal_iteratorINSA_10device_ptrIxEEEEPS6_NSA_18transform_iteratorINSA_8identityIxEESF_NSA_11use_defaultESK_EENS0_5tupleIJSF_SF_EEENSM_IJSG_SG_EEES6_PlJS6_EEE10hipError_tPvRmT3_T4_T5_T6_T7_T9_mT8_P12ihipStream_tbDpT10_ENKUlT_T0_E_clISt17integral_constantIbLb1EES19_EEDaS14_S15_EUlS14_E_NS1_11comp_targetILNS1_3genE4ELNS1_11target_archE910ELNS1_3gpuE8ELNS1_3repE0EEENS1_30default_config_static_selectorELNS0_4arch9wavefront6targetE1EEEvT1_
; %bb.0:
	.section	.rodata,"a",@progbits
	.p2align	6, 0x0
	.amdhsa_kernel _ZN7rocprim17ROCPRIM_400000_NS6detail17trampoline_kernelINS0_14default_configENS1_25partition_config_selectorILNS1_17partition_subalgoE1ExNS0_10empty_typeEbEEZZNS1_14partition_implILS5_1ELb0ES3_jN6thrust23THRUST_200600_302600_NS6detail15normal_iteratorINSA_10device_ptrIxEEEEPS6_NSA_18transform_iteratorINSA_8identityIxEESF_NSA_11use_defaultESK_EENS0_5tupleIJSF_SF_EEENSM_IJSG_SG_EEES6_PlJS6_EEE10hipError_tPvRmT3_T4_T5_T6_T7_T9_mT8_P12ihipStream_tbDpT10_ENKUlT_T0_E_clISt17integral_constantIbLb1EES19_EEDaS14_S15_EUlS14_E_NS1_11comp_targetILNS1_3genE4ELNS1_11target_archE910ELNS1_3gpuE8ELNS1_3repE0EEENS1_30default_config_static_selectorELNS0_4arch9wavefront6targetE1EEEvT1_
		.amdhsa_group_segment_fixed_size 0
		.amdhsa_private_segment_fixed_size 0
		.amdhsa_kernarg_size 144
		.amdhsa_user_sgpr_count 2
		.amdhsa_user_sgpr_dispatch_ptr 0
		.amdhsa_user_sgpr_queue_ptr 0
		.amdhsa_user_sgpr_kernarg_segment_ptr 1
		.amdhsa_user_sgpr_dispatch_id 0
		.amdhsa_user_sgpr_kernarg_preload_length 0
		.amdhsa_user_sgpr_kernarg_preload_offset 0
		.amdhsa_user_sgpr_private_segment_size 0
		.amdhsa_uses_dynamic_stack 0
		.amdhsa_enable_private_segment 0
		.amdhsa_system_sgpr_workgroup_id_x 1
		.amdhsa_system_sgpr_workgroup_id_y 0
		.amdhsa_system_sgpr_workgroup_id_z 0
		.amdhsa_system_sgpr_workgroup_info 0
		.amdhsa_system_vgpr_workitem_id 0
		.amdhsa_next_free_vgpr 1
		.amdhsa_next_free_sgpr 0
		.amdhsa_accum_offset 4
		.amdhsa_reserve_vcc 0
		.amdhsa_float_round_mode_32 0
		.amdhsa_float_round_mode_16_64 0
		.amdhsa_float_denorm_mode_32 3
		.amdhsa_float_denorm_mode_16_64 3
		.amdhsa_dx10_clamp 1
		.amdhsa_ieee_mode 1
		.amdhsa_fp16_overflow 0
		.amdhsa_tg_split 0
		.amdhsa_exception_fp_ieee_invalid_op 0
		.amdhsa_exception_fp_denorm_src 0
		.amdhsa_exception_fp_ieee_div_zero 0
		.amdhsa_exception_fp_ieee_overflow 0
		.amdhsa_exception_fp_ieee_underflow 0
		.amdhsa_exception_fp_ieee_inexact 0
		.amdhsa_exception_int_div_zero 0
	.end_amdhsa_kernel
	.section	.text._ZN7rocprim17ROCPRIM_400000_NS6detail17trampoline_kernelINS0_14default_configENS1_25partition_config_selectorILNS1_17partition_subalgoE1ExNS0_10empty_typeEbEEZZNS1_14partition_implILS5_1ELb0ES3_jN6thrust23THRUST_200600_302600_NS6detail15normal_iteratorINSA_10device_ptrIxEEEEPS6_NSA_18transform_iteratorINSA_8identityIxEESF_NSA_11use_defaultESK_EENS0_5tupleIJSF_SF_EEENSM_IJSG_SG_EEES6_PlJS6_EEE10hipError_tPvRmT3_T4_T5_T6_T7_T9_mT8_P12ihipStream_tbDpT10_ENKUlT_T0_E_clISt17integral_constantIbLb1EES19_EEDaS14_S15_EUlS14_E_NS1_11comp_targetILNS1_3genE4ELNS1_11target_archE910ELNS1_3gpuE8ELNS1_3repE0EEENS1_30default_config_static_selectorELNS0_4arch9wavefront6targetE1EEEvT1_,"axG",@progbits,_ZN7rocprim17ROCPRIM_400000_NS6detail17trampoline_kernelINS0_14default_configENS1_25partition_config_selectorILNS1_17partition_subalgoE1ExNS0_10empty_typeEbEEZZNS1_14partition_implILS5_1ELb0ES3_jN6thrust23THRUST_200600_302600_NS6detail15normal_iteratorINSA_10device_ptrIxEEEEPS6_NSA_18transform_iteratorINSA_8identityIxEESF_NSA_11use_defaultESK_EENS0_5tupleIJSF_SF_EEENSM_IJSG_SG_EEES6_PlJS6_EEE10hipError_tPvRmT3_T4_T5_T6_T7_T9_mT8_P12ihipStream_tbDpT10_ENKUlT_T0_E_clISt17integral_constantIbLb1EES19_EEDaS14_S15_EUlS14_E_NS1_11comp_targetILNS1_3genE4ELNS1_11target_archE910ELNS1_3gpuE8ELNS1_3repE0EEENS1_30default_config_static_selectorELNS0_4arch9wavefront6targetE1EEEvT1_,comdat
.Lfunc_end587:
	.size	_ZN7rocprim17ROCPRIM_400000_NS6detail17trampoline_kernelINS0_14default_configENS1_25partition_config_selectorILNS1_17partition_subalgoE1ExNS0_10empty_typeEbEEZZNS1_14partition_implILS5_1ELb0ES3_jN6thrust23THRUST_200600_302600_NS6detail15normal_iteratorINSA_10device_ptrIxEEEEPS6_NSA_18transform_iteratorINSA_8identityIxEESF_NSA_11use_defaultESK_EENS0_5tupleIJSF_SF_EEENSM_IJSG_SG_EEES6_PlJS6_EEE10hipError_tPvRmT3_T4_T5_T6_T7_T9_mT8_P12ihipStream_tbDpT10_ENKUlT_T0_E_clISt17integral_constantIbLb1EES19_EEDaS14_S15_EUlS14_E_NS1_11comp_targetILNS1_3genE4ELNS1_11target_archE910ELNS1_3gpuE8ELNS1_3repE0EEENS1_30default_config_static_selectorELNS0_4arch9wavefront6targetE1EEEvT1_, .Lfunc_end587-_ZN7rocprim17ROCPRIM_400000_NS6detail17trampoline_kernelINS0_14default_configENS1_25partition_config_selectorILNS1_17partition_subalgoE1ExNS0_10empty_typeEbEEZZNS1_14partition_implILS5_1ELb0ES3_jN6thrust23THRUST_200600_302600_NS6detail15normal_iteratorINSA_10device_ptrIxEEEEPS6_NSA_18transform_iteratorINSA_8identityIxEESF_NSA_11use_defaultESK_EENS0_5tupleIJSF_SF_EEENSM_IJSG_SG_EEES6_PlJS6_EEE10hipError_tPvRmT3_T4_T5_T6_T7_T9_mT8_P12ihipStream_tbDpT10_ENKUlT_T0_E_clISt17integral_constantIbLb1EES19_EEDaS14_S15_EUlS14_E_NS1_11comp_targetILNS1_3genE4ELNS1_11target_archE910ELNS1_3gpuE8ELNS1_3repE0EEENS1_30default_config_static_selectorELNS0_4arch9wavefront6targetE1EEEvT1_
                                        ; -- End function
	.section	.AMDGPU.csdata,"",@progbits
; Kernel info:
; codeLenInByte = 0
; NumSgprs: 6
; NumVgprs: 0
; NumAgprs: 0
; TotalNumVgprs: 0
; ScratchSize: 0
; MemoryBound: 0
; FloatMode: 240
; IeeeMode: 1
; LDSByteSize: 0 bytes/workgroup (compile time only)
; SGPRBlocks: 0
; VGPRBlocks: 0
; NumSGPRsForWavesPerEU: 6
; NumVGPRsForWavesPerEU: 1
; AccumOffset: 4
; Occupancy: 8
; WaveLimiterHint : 0
; COMPUTE_PGM_RSRC2:SCRATCH_EN: 0
; COMPUTE_PGM_RSRC2:USER_SGPR: 2
; COMPUTE_PGM_RSRC2:TRAP_HANDLER: 0
; COMPUTE_PGM_RSRC2:TGID_X_EN: 1
; COMPUTE_PGM_RSRC2:TGID_Y_EN: 0
; COMPUTE_PGM_RSRC2:TGID_Z_EN: 0
; COMPUTE_PGM_RSRC2:TIDIG_COMP_CNT: 0
; COMPUTE_PGM_RSRC3_GFX90A:ACCUM_OFFSET: 0
; COMPUTE_PGM_RSRC3_GFX90A:TG_SPLIT: 0
	.section	.text._ZN7rocprim17ROCPRIM_400000_NS6detail17trampoline_kernelINS0_14default_configENS1_25partition_config_selectorILNS1_17partition_subalgoE1ExNS0_10empty_typeEbEEZZNS1_14partition_implILS5_1ELb0ES3_jN6thrust23THRUST_200600_302600_NS6detail15normal_iteratorINSA_10device_ptrIxEEEEPS6_NSA_18transform_iteratorINSA_8identityIxEESF_NSA_11use_defaultESK_EENS0_5tupleIJSF_SF_EEENSM_IJSG_SG_EEES6_PlJS6_EEE10hipError_tPvRmT3_T4_T5_T6_T7_T9_mT8_P12ihipStream_tbDpT10_ENKUlT_T0_E_clISt17integral_constantIbLb1EES19_EEDaS14_S15_EUlS14_E_NS1_11comp_targetILNS1_3genE3ELNS1_11target_archE908ELNS1_3gpuE7ELNS1_3repE0EEENS1_30default_config_static_selectorELNS0_4arch9wavefront6targetE1EEEvT1_,"axG",@progbits,_ZN7rocprim17ROCPRIM_400000_NS6detail17trampoline_kernelINS0_14default_configENS1_25partition_config_selectorILNS1_17partition_subalgoE1ExNS0_10empty_typeEbEEZZNS1_14partition_implILS5_1ELb0ES3_jN6thrust23THRUST_200600_302600_NS6detail15normal_iteratorINSA_10device_ptrIxEEEEPS6_NSA_18transform_iteratorINSA_8identityIxEESF_NSA_11use_defaultESK_EENS0_5tupleIJSF_SF_EEENSM_IJSG_SG_EEES6_PlJS6_EEE10hipError_tPvRmT3_T4_T5_T6_T7_T9_mT8_P12ihipStream_tbDpT10_ENKUlT_T0_E_clISt17integral_constantIbLb1EES19_EEDaS14_S15_EUlS14_E_NS1_11comp_targetILNS1_3genE3ELNS1_11target_archE908ELNS1_3gpuE7ELNS1_3repE0EEENS1_30default_config_static_selectorELNS0_4arch9wavefront6targetE1EEEvT1_,comdat
	.protected	_ZN7rocprim17ROCPRIM_400000_NS6detail17trampoline_kernelINS0_14default_configENS1_25partition_config_selectorILNS1_17partition_subalgoE1ExNS0_10empty_typeEbEEZZNS1_14partition_implILS5_1ELb0ES3_jN6thrust23THRUST_200600_302600_NS6detail15normal_iteratorINSA_10device_ptrIxEEEEPS6_NSA_18transform_iteratorINSA_8identityIxEESF_NSA_11use_defaultESK_EENS0_5tupleIJSF_SF_EEENSM_IJSG_SG_EEES6_PlJS6_EEE10hipError_tPvRmT3_T4_T5_T6_T7_T9_mT8_P12ihipStream_tbDpT10_ENKUlT_T0_E_clISt17integral_constantIbLb1EES19_EEDaS14_S15_EUlS14_E_NS1_11comp_targetILNS1_3genE3ELNS1_11target_archE908ELNS1_3gpuE7ELNS1_3repE0EEENS1_30default_config_static_selectorELNS0_4arch9wavefront6targetE1EEEvT1_ ; -- Begin function _ZN7rocprim17ROCPRIM_400000_NS6detail17trampoline_kernelINS0_14default_configENS1_25partition_config_selectorILNS1_17partition_subalgoE1ExNS0_10empty_typeEbEEZZNS1_14partition_implILS5_1ELb0ES3_jN6thrust23THRUST_200600_302600_NS6detail15normal_iteratorINSA_10device_ptrIxEEEEPS6_NSA_18transform_iteratorINSA_8identityIxEESF_NSA_11use_defaultESK_EENS0_5tupleIJSF_SF_EEENSM_IJSG_SG_EEES6_PlJS6_EEE10hipError_tPvRmT3_T4_T5_T6_T7_T9_mT8_P12ihipStream_tbDpT10_ENKUlT_T0_E_clISt17integral_constantIbLb1EES19_EEDaS14_S15_EUlS14_E_NS1_11comp_targetILNS1_3genE3ELNS1_11target_archE908ELNS1_3gpuE7ELNS1_3repE0EEENS1_30default_config_static_selectorELNS0_4arch9wavefront6targetE1EEEvT1_
	.globl	_ZN7rocprim17ROCPRIM_400000_NS6detail17trampoline_kernelINS0_14default_configENS1_25partition_config_selectorILNS1_17partition_subalgoE1ExNS0_10empty_typeEbEEZZNS1_14partition_implILS5_1ELb0ES3_jN6thrust23THRUST_200600_302600_NS6detail15normal_iteratorINSA_10device_ptrIxEEEEPS6_NSA_18transform_iteratorINSA_8identityIxEESF_NSA_11use_defaultESK_EENS0_5tupleIJSF_SF_EEENSM_IJSG_SG_EEES6_PlJS6_EEE10hipError_tPvRmT3_T4_T5_T6_T7_T9_mT8_P12ihipStream_tbDpT10_ENKUlT_T0_E_clISt17integral_constantIbLb1EES19_EEDaS14_S15_EUlS14_E_NS1_11comp_targetILNS1_3genE3ELNS1_11target_archE908ELNS1_3gpuE7ELNS1_3repE0EEENS1_30default_config_static_selectorELNS0_4arch9wavefront6targetE1EEEvT1_
	.p2align	8
	.type	_ZN7rocprim17ROCPRIM_400000_NS6detail17trampoline_kernelINS0_14default_configENS1_25partition_config_selectorILNS1_17partition_subalgoE1ExNS0_10empty_typeEbEEZZNS1_14partition_implILS5_1ELb0ES3_jN6thrust23THRUST_200600_302600_NS6detail15normal_iteratorINSA_10device_ptrIxEEEEPS6_NSA_18transform_iteratorINSA_8identityIxEESF_NSA_11use_defaultESK_EENS0_5tupleIJSF_SF_EEENSM_IJSG_SG_EEES6_PlJS6_EEE10hipError_tPvRmT3_T4_T5_T6_T7_T9_mT8_P12ihipStream_tbDpT10_ENKUlT_T0_E_clISt17integral_constantIbLb1EES19_EEDaS14_S15_EUlS14_E_NS1_11comp_targetILNS1_3genE3ELNS1_11target_archE908ELNS1_3gpuE7ELNS1_3repE0EEENS1_30default_config_static_selectorELNS0_4arch9wavefront6targetE1EEEvT1_,@function
_ZN7rocprim17ROCPRIM_400000_NS6detail17trampoline_kernelINS0_14default_configENS1_25partition_config_selectorILNS1_17partition_subalgoE1ExNS0_10empty_typeEbEEZZNS1_14partition_implILS5_1ELb0ES3_jN6thrust23THRUST_200600_302600_NS6detail15normal_iteratorINSA_10device_ptrIxEEEEPS6_NSA_18transform_iteratorINSA_8identityIxEESF_NSA_11use_defaultESK_EENS0_5tupleIJSF_SF_EEENSM_IJSG_SG_EEES6_PlJS6_EEE10hipError_tPvRmT3_T4_T5_T6_T7_T9_mT8_P12ihipStream_tbDpT10_ENKUlT_T0_E_clISt17integral_constantIbLb1EES19_EEDaS14_S15_EUlS14_E_NS1_11comp_targetILNS1_3genE3ELNS1_11target_archE908ELNS1_3gpuE7ELNS1_3repE0EEENS1_30default_config_static_selectorELNS0_4arch9wavefront6targetE1EEEvT1_: ; @_ZN7rocprim17ROCPRIM_400000_NS6detail17trampoline_kernelINS0_14default_configENS1_25partition_config_selectorILNS1_17partition_subalgoE1ExNS0_10empty_typeEbEEZZNS1_14partition_implILS5_1ELb0ES3_jN6thrust23THRUST_200600_302600_NS6detail15normal_iteratorINSA_10device_ptrIxEEEEPS6_NSA_18transform_iteratorINSA_8identityIxEESF_NSA_11use_defaultESK_EENS0_5tupleIJSF_SF_EEENSM_IJSG_SG_EEES6_PlJS6_EEE10hipError_tPvRmT3_T4_T5_T6_T7_T9_mT8_P12ihipStream_tbDpT10_ENKUlT_T0_E_clISt17integral_constantIbLb1EES19_EEDaS14_S15_EUlS14_E_NS1_11comp_targetILNS1_3genE3ELNS1_11target_archE908ELNS1_3gpuE7ELNS1_3repE0EEENS1_30default_config_static_selectorELNS0_4arch9wavefront6targetE1EEEvT1_
; %bb.0:
	.section	.rodata,"a",@progbits
	.p2align	6, 0x0
	.amdhsa_kernel _ZN7rocprim17ROCPRIM_400000_NS6detail17trampoline_kernelINS0_14default_configENS1_25partition_config_selectorILNS1_17partition_subalgoE1ExNS0_10empty_typeEbEEZZNS1_14partition_implILS5_1ELb0ES3_jN6thrust23THRUST_200600_302600_NS6detail15normal_iteratorINSA_10device_ptrIxEEEEPS6_NSA_18transform_iteratorINSA_8identityIxEESF_NSA_11use_defaultESK_EENS0_5tupleIJSF_SF_EEENSM_IJSG_SG_EEES6_PlJS6_EEE10hipError_tPvRmT3_T4_T5_T6_T7_T9_mT8_P12ihipStream_tbDpT10_ENKUlT_T0_E_clISt17integral_constantIbLb1EES19_EEDaS14_S15_EUlS14_E_NS1_11comp_targetILNS1_3genE3ELNS1_11target_archE908ELNS1_3gpuE7ELNS1_3repE0EEENS1_30default_config_static_selectorELNS0_4arch9wavefront6targetE1EEEvT1_
		.amdhsa_group_segment_fixed_size 0
		.amdhsa_private_segment_fixed_size 0
		.amdhsa_kernarg_size 144
		.amdhsa_user_sgpr_count 2
		.amdhsa_user_sgpr_dispatch_ptr 0
		.amdhsa_user_sgpr_queue_ptr 0
		.amdhsa_user_sgpr_kernarg_segment_ptr 1
		.amdhsa_user_sgpr_dispatch_id 0
		.amdhsa_user_sgpr_kernarg_preload_length 0
		.amdhsa_user_sgpr_kernarg_preload_offset 0
		.amdhsa_user_sgpr_private_segment_size 0
		.amdhsa_uses_dynamic_stack 0
		.amdhsa_enable_private_segment 0
		.amdhsa_system_sgpr_workgroup_id_x 1
		.amdhsa_system_sgpr_workgroup_id_y 0
		.amdhsa_system_sgpr_workgroup_id_z 0
		.amdhsa_system_sgpr_workgroup_info 0
		.amdhsa_system_vgpr_workitem_id 0
		.amdhsa_next_free_vgpr 1
		.amdhsa_next_free_sgpr 0
		.amdhsa_accum_offset 4
		.amdhsa_reserve_vcc 0
		.amdhsa_float_round_mode_32 0
		.amdhsa_float_round_mode_16_64 0
		.amdhsa_float_denorm_mode_32 3
		.amdhsa_float_denorm_mode_16_64 3
		.amdhsa_dx10_clamp 1
		.amdhsa_ieee_mode 1
		.amdhsa_fp16_overflow 0
		.amdhsa_tg_split 0
		.amdhsa_exception_fp_ieee_invalid_op 0
		.amdhsa_exception_fp_denorm_src 0
		.amdhsa_exception_fp_ieee_div_zero 0
		.amdhsa_exception_fp_ieee_overflow 0
		.amdhsa_exception_fp_ieee_underflow 0
		.amdhsa_exception_fp_ieee_inexact 0
		.amdhsa_exception_int_div_zero 0
	.end_amdhsa_kernel
	.section	.text._ZN7rocprim17ROCPRIM_400000_NS6detail17trampoline_kernelINS0_14default_configENS1_25partition_config_selectorILNS1_17partition_subalgoE1ExNS0_10empty_typeEbEEZZNS1_14partition_implILS5_1ELb0ES3_jN6thrust23THRUST_200600_302600_NS6detail15normal_iteratorINSA_10device_ptrIxEEEEPS6_NSA_18transform_iteratorINSA_8identityIxEESF_NSA_11use_defaultESK_EENS0_5tupleIJSF_SF_EEENSM_IJSG_SG_EEES6_PlJS6_EEE10hipError_tPvRmT3_T4_T5_T6_T7_T9_mT8_P12ihipStream_tbDpT10_ENKUlT_T0_E_clISt17integral_constantIbLb1EES19_EEDaS14_S15_EUlS14_E_NS1_11comp_targetILNS1_3genE3ELNS1_11target_archE908ELNS1_3gpuE7ELNS1_3repE0EEENS1_30default_config_static_selectorELNS0_4arch9wavefront6targetE1EEEvT1_,"axG",@progbits,_ZN7rocprim17ROCPRIM_400000_NS6detail17trampoline_kernelINS0_14default_configENS1_25partition_config_selectorILNS1_17partition_subalgoE1ExNS0_10empty_typeEbEEZZNS1_14partition_implILS5_1ELb0ES3_jN6thrust23THRUST_200600_302600_NS6detail15normal_iteratorINSA_10device_ptrIxEEEEPS6_NSA_18transform_iteratorINSA_8identityIxEESF_NSA_11use_defaultESK_EENS0_5tupleIJSF_SF_EEENSM_IJSG_SG_EEES6_PlJS6_EEE10hipError_tPvRmT3_T4_T5_T6_T7_T9_mT8_P12ihipStream_tbDpT10_ENKUlT_T0_E_clISt17integral_constantIbLb1EES19_EEDaS14_S15_EUlS14_E_NS1_11comp_targetILNS1_3genE3ELNS1_11target_archE908ELNS1_3gpuE7ELNS1_3repE0EEENS1_30default_config_static_selectorELNS0_4arch9wavefront6targetE1EEEvT1_,comdat
.Lfunc_end588:
	.size	_ZN7rocprim17ROCPRIM_400000_NS6detail17trampoline_kernelINS0_14default_configENS1_25partition_config_selectorILNS1_17partition_subalgoE1ExNS0_10empty_typeEbEEZZNS1_14partition_implILS5_1ELb0ES3_jN6thrust23THRUST_200600_302600_NS6detail15normal_iteratorINSA_10device_ptrIxEEEEPS6_NSA_18transform_iteratorINSA_8identityIxEESF_NSA_11use_defaultESK_EENS0_5tupleIJSF_SF_EEENSM_IJSG_SG_EEES6_PlJS6_EEE10hipError_tPvRmT3_T4_T5_T6_T7_T9_mT8_P12ihipStream_tbDpT10_ENKUlT_T0_E_clISt17integral_constantIbLb1EES19_EEDaS14_S15_EUlS14_E_NS1_11comp_targetILNS1_3genE3ELNS1_11target_archE908ELNS1_3gpuE7ELNS1_3repE0EEENS1_30default_config_static_selectorELNS0_4arch9wavefront6targetE1EEEvT1_, .Lfunc_end588-_ZN7rocprim17ROCPRIM_400000_NS6detail17trampoline_kernelINS0_14default_configENS1_25partition_config_selectorILNS1_17partition_subalgoE1ExNS0_10empty_typeEbEEZZNS1_14partition_implILS5_1ELb0ES3_jN6thrust23THRUST_200600_302600_NS6detail15normal_iteratorINSA_10device_ptrIxEEEEPS6_NSA_18transform_iteratorINSA_8identityIxEESF_NSA_11use_defaultESK_EENS0_5tupleIJSF_SF_EEENSM_IJSG_SG_EEES6_PlJS6_EEE10hipError_tPvRmT3_T4_T5_T6_T7_T9_mT8_P12ihipStream_tbDpT10_ENKUlT_T0_E_clISt17integral_constantIbLb1EES19_EEDaS14_S15_EUlS14_E_NS1_11comp_targetILNS1_3genE3ELNS1_11target_archE908ELNS1_3gpuE7ELNS1_3repE0EEENS1_30default_config_static_selectorELNS0_4arch9wavefront6targetE1EEEvT1_
                                        ; -- End function
	.section	.AMDGPU.csdata,"",@progbits
; Kernel info:
; codeLenInByte = 0
; NumSgprs: 6
; NumVgprs: 0
; NumAgprs: 0
; TotalNumVgprs: 0
; ScratchSize: 0
; MemoryBound: 0
; FloatMode: 240
; IeeeMode: 1
; LDSByteSize: 0 bytes/workgroup (compile time only)
; SGPRBlocks: 0
; VGPRBlocks: 0
; NumSGPRsForWavesPerEU: 6
; NumVGPRsForWavesPerEU: 1
; AccumOffset: 4
; Occupancy: 8
; WaveLimiterHint : 0
; COMPUTE_PGM_RSRC2:SCRATCH_EN: 0
; COMPUTE_PGM_RSRC2:USER_SGPR: 2
; COMPUTE_PGM_RSRC2:TRAP_HANDLER: 0
; COMPUTE_PGM_RSRC2:TGID_X_EN: 1
; COMPUTE_PGM_RSRC2:TGID_Y_EN: 0
; COMPUTE_PGM_RSRC2:TGID_Z_EN: 0
; COMPUTE_PGM_RSRC2:TIDIG_COMP_CNT: 0
; COMPUTE_PGM_RSRC3_GFX90A:ACCUM_OFFSET: 0
; COMPUTE_PGM_RSRC3_GFX90A:TG_SPLIT: 0
	.section	.text._ZN7rocprim17ROCPRIM_400000_NS6detail17trampoline_kernelINS0_14default_configENS1_25partition_config_selectorILNS1_17partition_subalgoE1ExNS0_10empty_typeEbEEZZNS1_14partition_implILS5_1ELb0ES3_jN6thrust23THRUST_200600_302600_NS6detail15normal_iteratorINSA_10device_ptrIxEEEEPS6_NSA_18transform_iteratorINSA_8identityIxEESF_NSA_11use_defaultESK_EENS0_5tupleIJSF_SF_EEENSM_IJSG_SG_EEES6_PlJS6_EEE10hipError_tPvRmT3_T4_T5_T6_T7_T9_mT8_P12ihipStream_tbDpT10_ENKUlT_T0_E_clISt17integral_constantIbLb1EES19_EEDaS14_S15_EUlS14_E_NS1_11comp_targetILNS1_3genE2ELNS1_11target_archE906ELNS1_3gpuE6ELNS1_3repE0EEENS1_30default_config_static_selectorELNS0_4arch9wavefront6targetE1EEEvT1_,"axG",@progbits,_ZN7rocprim17ROCPRIM_400000_NS6detail17trampoline_kernelINS0_14default_configENS1_25partition_config_selectorILNS1_17partition_subalgoE1ExNS0_10empty_typeEbEEZZNS1_14partition_implILS5_1ELb0ES3_jN6thrust23THRUST_200600_302600_NS6detail15normal_iteratorINSA_10device_ptrIxEEEEPS6_NSA_18transform_iteratorINSA_8identityIxEESF_NSA_11use_defaultESK_EENS0_5tupleIJSF_SF_EEENSM_IJSG_SG_EEES6_PlJS6_EEE10hipError_tPvRmT3_T4_T5_T6_T7_T9_mT8_P12ihipStream_tbDpT10_ENKUlT_T0_E_clISt17integral_constantIbLb1EES19_EEDaS14_S15_EUlS14_E_NS1_11comp_targetILNS1_3genE2ELNS1_11target_archE906ELNS1_3gpuE6ELNS1_3repE0EEENS1_30default_config_static_selectorELNS0_4arch9wavefront6targetE1EEEvT1_,comdat
	.protected	_ZN7rocprim17ROCPRIM_400000_NS6detail17trampoline_kernelINS0_14default_configENS1_25partition_config_selectorILNS1_17partition_subalgoE1ExNS0_10empty_typeEbEEZZNS1_14partition_implILS5_1ELb0ES3_jN6thrust23THRUST_200600_302600_NS6detail15normal_iteratorINSA_10device_ptrIxEEEEPS6_NSA_18transform_iteratorINSA_8identityIxEESF_NSA_11use_defaultESK_EENS0_5tupleIJSF_SF_EEENSM_IJSG_SG_EEES6_PlJS6_EEE10hipError_tPvRmT3_T4_T5_T6_T7_T9_mT8_P12ihipStream_tbDpT10_ENKUlT_T0_E_clISt17integral_constantIbLb1EES19_EEDaS14_S15_EUlS14_E_NS1_11comp_targetILNS1_3genE2ELNS1_11target_archE906ELNS1_3gpuE6ELNS1_3repE0EEENS1_30default_config_static_selectorELNS0_4arch9wavefront6targetE1EEEvT1_ ; -- Begin function _ZN7rocprim17ROCPRIM_400000_NS6detail17trampoline_kernelINS0_14default_configENS1_25partition_config_selectorILNS1_17partition_subalgoE1ExNS0_10empty_typeEbEEZZNS1_14partition_implILS5_1ELb0ES3_jN6thrust23THRUST_200600_302600_NS6detail15normal_iteratorINSA_10device_ptrIxEEEEPS6_NSA_18transform_iteratorINSA_8identityIxEESF_NSA_11use_defaultESK_EENS0_5tupleIJSF_SF_EEENSM_IJSG_SG_EEES6_PlJS6_EEE10hipError_tPvRmT3_T4_T5_T6_T7_T9_mT8_P12ihipStream_tbDpT10_ENKUlT_T0_E_clISt17integral_constantIbLb1EES19_EEDaS14_S15_EUlS14_E_NS1_11comp_targetILNS1_3genE2ELNS1_11target_archE906ELNS1_3gpuE6ELNS1_3repE0EEENS1_30default_config_static_selectorELNS0_4arch9wavefront6targetE1EEEvT1_
	.globl	_ZN7rocprim17ROCPRIM_400000_NS6detail17trampoline_kernelINS0_14default_configENS1_25partition_config_selectorILNS1_17partition_subalgoE1ExNS0_10empty_typeEbEEZZNS1_14partition_implILS5_1ELb0ES3_jN6thrust23THRUST_200600_302600_NS6detail15normal_iteratorINSA_10device_ptrIxEEEEPS6_NSA_18transform_iteratorINSA_8identityIxEESF_NSA_11use_defaultESK_EENS0_5tupleIJSF_SF_EEENSM_IJSG_SG_EEES6_PlJS6_EEE10hipError_tPvRmT3_T4_T5_T6_T7_T9_mT8_P12ihipStream_tbDpT10_ENKUlT_T0_E_clISt17integral_constantIbLb1EES19_EEDaS14_S15_EUlS14_E_NS1_11comp_targetILNS1_3genE2ELNS1_11target_archE906ELNS1_3gpuE6ELNS1_3repE0EEENS1_30default_config_static_selectorELNS0_4arch9wavefront6targetE1EEEvT1_
	.p2align	8
	.type	_ZN7rocprim17ROCPRIM_400000_NS6detail17trampoline_kernelINS0_14default_configENS1_25partition_config_selectorILNS1_17partition_subalgoE1ExNS0_10empty_typeEbEEZZNS1_14partition_implILS5_1ELb0ES3_jN6thrust23THRUST_200600_302600_NS6detail15normal_iteratorINSA_10device_ptrIxEEEEPS6_NSA_18transform_iteratorINSA_8identityIxEESF_NSA_11use_defaultESK_EENS0_5tupleIJSF_SF_EEENSM_IJSG_SG_EEES6_PlJS6_EEE10hipError_tPvRmT3_T4_T5_T6_T7_T9_mT8_P12ihipStream_tbDpT10_ENKUlT_T0_E_clISt17integral_constantIbLb1EES19_EEDaS14_S15_EUlS14_E_NS1_11comp_targetILNS1_3genE2ELNS1_11target_archE906ELNS1_3gpuE6ELNS1_3repE0EEENS1_30default_config_static_selectorELNS0_4arch9wavefront6targetE1EEEvT1_,@function
_ZN7rocprim17ROCPRIM_400000_NS6detail17trampoline_kernelINS0_14default_configENS1_25partition_config_selectorILNS1_17partition_subalgoE1ExNS0_10empty_typeEbEEZZNS1_14partition_implILS5_1ELb0ES3_jN6thrust23THRUST_200600_302600_NS6detail15normal_iteratorINSA_10device_ptrIxEEEEPS6_NSA_18transform_iteratorINSA_8identityIxEESF_NSA_11use_defaultESK_EENS0_5tupleIJSF_SF_EEENSM_IJSG_SG_EEES6_PlJS6_EEE10hipError_tPvRmT3_T4_T5_T6_T7_T9_mT8_P12ihipStream_tbDpT10_ENKUlT_T0_E_clISt17integral_constantIbLb1EES19_EEDaS14_S15_EUlS14_E_NS1_11comp_targetILNS1_3genE2ELNS1_11target_archE906ELNS1_3gpuE6ELNS1_3repE0EEENS1_30default_config_static_selectorELNS0_4arch9wavefront6targetE1EEEvT1_: ; @_ZN7rocprim17ROCPRIM_400000_NS6detail17trampoline_kernelINS0_14default_configENS1_25partition_config_selectorILNS1_17partition_subalgoE1ExNS0_10empty_typeEbEEZZNS1_14partition_implILS5_1ELb0ES3_jN6thrust23THRUST_200600_302600_NS6detail15normal_iteratorINSA_10device_ptrIxEEEEPS6_NSA_18transform_iteratorINSA_8identityIxEESF_NSA_11use_defaultESK_EENS0_5tupleIJSF_SF_EEENSM_IJSG_SG_EEES6_PlJS6_EEE10hipError_tPvRmT3_T4_T5_T6_T7_T9_mT8_P12ihipStream_tbDpT10_ENKUlT_T0_E_clISt17integral_constantIbLb1EES19_EEDaS14_S15_EUlS14_E_NS1_11comp_targetILNS1_3genE2ELNS1_11target_archE906ELNS1_3gpuE6ELNS1_3repE0EEENS1_30default_config_static_selectorELNS0_4arch9wavefront6targetE1EEEvT1_
; %bb.0:
	.section	.rodata,"a",@progbits
	.p2align	6, 0x0
	.amdhsa_kernel _ZN7rocprim17ROCPRIM_400000_NS6detail17trampoline_kernelINS0_14default_configENS1_25partition_config_selectorILNS1_17partition_subalgoE1ExNS0_10empty_typeEbEEZZNS1_14partition_implILS5_1ELb0ES3_jN6thrust23THRUST_200600_302600_NS6detail15normal_iteratorINSA_10device_ptrIxEEEEPS6_NSA_18transform_iteratorINSA_8identityIxEESF_NSA_11use_defaultESK_EENS0_5tupleIJSF_SF_EEENSM_IJSG_SG_EEES6_PlJS6_EEE10hipError_tPvRmT3_T4_T5_T6_T7_T9_mT8_P12ihipStream_tbDpT10_ENKUlT_T0_E_clISt17integral_constantIbLb1EES19_EEDaS14_S15_EUlS14_E_NS1_11comp_targetILNS1_3genE2ELNS1_11target_archE906ELNS1_3gpuE6ELNS1_3repE0EEENS1_30default_config_static_selectorELNS0_4arch9wavefront6targetE1EEEvT1_
		.amdhsa_group_segment_fixed_size 0
		.amdhsa_private_segment_fixed_size 0
		.amdhsa_kernarg_size 144
		.amdhsa_user_sgpr_count 2
		.amdhsa_user_sgpr_dispatch_ptr 0
		.amdhsa_user_sgpr_queue_ptr 0
		.amdhsa_user_sgpr_kernarg_segment_ptr 1
		.amdhsa_user_sgpr_dispatch_id 0
		.amdhsa_user_sgpr_kernarg_preload_length 0
		.amdhsa_user_sgpr_kernarg_preload_offset 0
		.amdhsa_user_sgpr_private_segment_size 0
		.amdhsa_uses_dynamic_stack 0
		.amdhsa_enable_private_segment 0
		.amdhsa_system_sgpr_workgroup_id_x 1
		.amdhsa_system_sgpr_workgroup_id_y 0
		.amdhsa_system_sgpr_workgroup_id_z 0
		.amdhsa_system_sgpr_workgroup_info 0
		.amdhsa_system_vgpr_workitem_id 0
		.amdhsa_next_free_vgpr 1
		.amdhsa_next_free_sgpr 0
		.amdhsa_accum_offset 4
		.amdhsa_reserve_vcc 0
		.amdhsa_float_round_mode_32 0
		.amdhsa_float_round_mode_16_64 0
		.amdhsa_float_denorm_mode_32 3
		.amdhsa_float_denorm_mode_16_64 3
		.amdhsa_dx10_clamp 1
		.amdhsa_ieee_mode 1
		.amdhsa_fp16_overflow 0
		.amdhsa_tg_split 0
		.amdhsa_exception_fp_ieee_invalid_op 0
		.amdhsa_exception_fp_denorm_src 0
		.amdhsa_exception_fp_ieee_div_zero 0
		.amdhsa_exception_fp_ieee_overflow 0
		.amdhsa_exception_fp_ieee_underflow 0
		.amdhsa_exception_fp_ieee_inexact 0
		.amdhsa_exception_int_div_zero 0
	.end_amdhsa_kernel
	.section	.text._ZN7rocprim17ROCPRIM_400000_NS6detail17trampoline_kernelINS0_14default_configENS1_25partition_config_selectorILNS1_17partition_subalgoE1ExNS0_10empty_typeEbEEZZNS1_14partition_implILS5_1ELb0ES3_jN6thrust23THRUST_200600_302600_NS6detail15normal_iteratorINSA_10device_ptrIxEEEEPS6_NSA_18transform_iteratorINSA_8identityIxEESF_NSA_11use_defaultESK_EENS0_5tupleIJSF_SF_EEENSM_IJSG_SG_EEES6_PlJS6_EEE10hipError_tPvRmT3_T4_T5_T6_T7_T9_mT8_P12ihipStream_tbDpT10_ENKUlT_T0_E_clISt17integral_constantIbLb1EES19_EEDaS14_S15_EUlS14_E_NS1_11comp_targetILNS1_3genE2ELNS1_11target_archE906ELNS1_3gpuE6ELNS1_3repE0EEENS1_30default_config_static_selectorELNS0_4arch9wavefront6targetE1EEEvT1_,"axG",@progbits,_ZN7rocprim17ROCPRIM_400000_NS6detail17trampoline_kernelINS0_14default_configENS1_25partition_config_selectorILNS1_17partition_subalgoE1ExNS0_10empty_typeEbEEZZNS1_14partition_implILS5_1ELb0ES3_jN6thrust23THRUST_200600_302600_NS6detail15normal_iteratorINSA_10device_ptrIxEEEEPS6_NSA_18transform_iteratorINSA_8identityIxEESF_NSA_11use_defaultESK_EENS0_5tupleIJSF_SF_EEENSM_IJSG_SG_EEES6_PlJS6_EEE10hipError_tPvRmT3_T4_T5_T6_T7_T9_mT8_P12ihipStream_tbDpT10_ENKUlT_T0_E_clISt17integral_constantIbLb1EES19_EEDaS14_S15_EUlS14_E_NS1_11comp_targetILNS1_3genE2ELNS1_11target_archE906ELNS1_3gpuE6ELNS1_3repE0EEENS1_30default_config_static_selectorELNS0_4arch9wavefront6targetE1EEEvT1_,comdat
.Lfunc_end589:
	.size	_ZN7rocprim17ROCPRIM_400000_NS6detail17trampoline_kernelINS0_14default_configENS1_25partition_config_selectorILNS1_17partition_subalgoE1ExNS0_10empty_typeEbEEZZNS1_14partition_implILS5_1ELb0ES3_jN6thrust23THRUST_200600_302600_NS6detail15normal_iteratorINSA_10device_ptrIxEEEEPS6_NSA_18transform_iteratorINSA_8identityIxEESF_NSA_11use_defaultESK_EENS0_5tupleIJSF_SF_EEENSM_IJSG_SG_EEES6_PlJS6_EEE10hipError_tPvRmT3_T4_T5_T6_T7_T9_mT8_P12ihipStream_tbDpT10_ENKUlT_T0_E_clISt17integral_constantIbLb1EES19_EEDaS14_S15_EUlS14_E_NS1_11comp_targetILNS1_3genE2ELNS1_11target_archE906ELNS1_3gpuE6ELNS1_3repE0EEENS1_30default_config_static_selectorELNS0_4arch9wavefront6targetE1EEEvT1_, .Lfunc_end589-_ZN7rocprim17ROCPRIM_400000_NS6detail17trampoline_kernelINS0_14default_configENS1_25partition_config_selectorILNS1_17partition_subalgoE1ExNS0_10empty_typeEbEEZZNS1_14partition_implILS5_1ELb0ES3_jN6thrust23THRUST_200600_302600_NS6detail15normal_iteratorINSA_10device_ptrIxEEEEPS6_NSA_18transform_iteratorINSA_8identityIxEESF_NSA_11use_defaultESK_EENS0_5tupleIJSF_SF_EEENSM_IJSG_SG_EEES6_PlJS6_EEE10hipError_tPvRmT3_T4_T5_T6_T7_T9_mT8_P12ihipStream_tbDpT10_ENKUlT_T0_E_clISt17integral_constantIbLb1EES19_EEDaS14_S15_EUlS14_E_NS1_11comp_targetILNS1_3genE2ELNS1_11target_archE906ELNS1_3gpuE6ELNS1_3repE0EEENS1_30default_config_static_selectorELNS0_4arch9wavefront6targetE1EEEvT1_
                                        ; -- End function
	.section	.AMDGPU.csdata,"",@progbits
; Kernel info:
; codeLenInByte = 0
; NumSgprs: 6
; NumVgprs: 0
; NumAgprs: 0
; TotalNumVgprs: 0
; ScratchSize: 0
; MemoryBound: 0
; FloatMode: 240
; IeeeMode: 1
; LDSByteSize: 0 bytes/workgroup (compile time only)
; SGPRBlocks: 0
; VGPRBlocks: 0
; NumSGPRsForWavesPerEU: 6
; NumVGPRsForWavesPerEU: 1
; AccumOffset: 4
; Occupancy: 8
; WaveLimiterHint : 0
; COMPUTE_PGM_RSRC2:SCRATCH_EN: 0
; COMPUTE_PGM_RSRC2:USER_SGPR: 2
; COMPUTE_PGM_RSRC2:TRAP_HANDLER: 0
; COMPUTE_PGM_RSRC2:TGID_X_EN: 1
; COMPUTE_PGM_RSRC2:TGID_Y_EN: 0
; COMPUTE_PGM_RSRC2:TGID_Z_EN: 0
; COMPUTE_PGM_RSRC2:TIDIG_COMP_CNT: 0
; COMPUTE_PGM_RSRC3_GFX90A:ACCUM_OFFSET: 0
; COMPUTE_PGM_RSRC3_GFX90A:TG_SPLIT: 0
	.section	.text._ZN7rocprim17ROCPRIM_400000_NS6detail17trampoline_kernelINS0_14default_configENS1_25partition_config_selectorILNS1_17partition_subalgoE1ExNS0_10empty_typeEbEEZZNS1_14partition_implILS5_1ELb0ES3_jN6thrust23THRUST_200600_302600_NS6detail15normal_iteratorINSA_10device_ptrIxEEEEPS6_NSA_18transform_iteratorINSA_8identityIxEESF_NSA_11use_defaultESK_EENS0_5tupleIJSF_SF_EEENSM_IJSG_SG_EEES6_PlJS6_EEE10hipError_tPvRmT3_T4_T5_T6_T7_T9_mT8_P12ihipStream_tbDpT10_ENKUlT_T0_E_clISt17integral_constantIbLb1EES19_EEDaS14_S15_EUlS14_E_NS1_11comp_targetILNS1_3genE10ELNS1_11target_archE1200ELNS1_3gpuE4ELNS1_3repE0EEENS1_30default_config_static_selectorELNS0_4arch9wavefront6targetE1EEEvT1_,"axG",@progbits,_ZN7rocprim17ROCPRIM_400000_NS6detail17trampoline_kernelINS0_14default_configENS1_25partition_config_selectorILNS1_17partition_subalgoE1ExNS0_10empty_typeEbEEZZNS1_14partition_implILS5_1ELb0ES3_jN6thrust23THRUST_200600_302600_NS6detail15normal_iteratorINSA_10device_ptrIxEEEEPS6_NSA_18transform_iteratorINSA_8identityIxEESF_NSA_11use_defaultESK_EENS0_5tupleIJSF_SF_EEENSM_IJSG_SG_EEES6_PlJS6_EEE10hipError_tPvRmT3_T4_T5_T6_T7_T9_mT8_P12ihipStream_tbDpT10_ENKUlT_T0_E_clISt17integral_constantIbLb1EES19_EEDaS14_S15_EUlS14_E_NS1_11comp_targetILNS1_3genE10ELNS1_11target_archE1200ELNS1_3gpuE4ELNS1_3repE0EEENS1_30default_config_static_selectorELNS0_4arch9wavefront6targetE1EEEvT1_,comdat
	.protected	_ZN7rocprim17ROCPRIM_400000_NS6detail17trampoline_kernelINS0_14default_configENS1_25partition_config_selectorILNS1_17partition_subalgoE1ExNS0_10empty_typeEbEEZZNS1_14partition_implILS5_1ELb0ES3_jN6thrust23THRUST_200600_302600_NS6detail15normal_iteratorINSA_10device_ptrIxEEEEPS6_NSA_18transform_iteratorINSA_8identityIxEESF_NSA_11use_defaultESK_EENS0_5tupleIJSF_SF_EEENSM_IJSG_SG_EEES6_PlJS6_EEE10hipError_tPvRmT3_T4_T5_T6_T7_T9_mT8_P12ihipStream_tbDpT10_ENKUlT_T0_E_clISt17integral_constantIbLb1EES19_EEDaS14_S15_EUlS14_E_NS1_11comp_targetILNS1_3genE10ELNS1_11target_archE1200ELNS1_3gpuE4ELNS1_3repE0EEENS1_30default_config_static_selectorELNS0_4arch9wavefront6targetE1EEEvT1_ ; -- Begin function _ZN7rocprim17ROCPRIM_400000_NS6detail17trampoline_kernelINS0_14default_configENS1_25partition_config_selectorILNS1_17partition_subalgoE1ExNS0_10empty_typeEbEEZZNS1_14partition_implILS5_1ELb0ES3_jN6thrust23THRUST_200600_302600_NS6detail15normal_iteratorINSA_10device_ptrIxEEEEPS6_NSA_18transform_iteratorINSA_8identityIxEESF_NSA_11use_defaultESK_EENS0_5tupleIJSF_SF_EEENSM_IJSG_SG_EEES6_PlJS6_EEE10hipError_tPvRmT3_T4_T5_T6_T7_T9_mT8_P12ihipStream_tbDpT10_ENKUlT_T0_E_clISt17integral_constantIbLb1EES19_EEDaS14_S15_EUlS14_E_NS1_11comp_targetILNS1_3genE10ELNS1_11target_archE1200ELNS1_3gpuE4ELNS1_3repE0EEENS1_30default_config_static_selectorELNS0_4arch9wavefront6targetE1EEEvT1_
	.globl	_ZN7rocprim17ROCPRIM_400000_NS6detail17trampoline_kernelINS0_14default_configENS1_25partition_config_selectorILNS1_17partition_subalgoE1ExNS0_10empty_typeEbEEZZNS1_14partition_implILS5_1ELb0ES3_jN6thrust23THRUST_200600_302600_NS6detail15normal_iteratorINSA_10device_ptrIxEEEEPS6_NSA_18transform_iteratorINSA_8identityIxEESF_NSA_11use_defaultESK_EENS0_5tupleIJSF_SF_EEENSM_IJSG_SG_EEES6_PlJS6_EEE10hipError_tPvRmT3_T4_T5_T6_T7_T9_mT8_P12ihipStream_tbDpT10_ENKUlT_T0_E_clISt17integral_constantIbLb1EES19_EEDaS14_S15_EUlS14_E_NS1_11comp_targetILNS1_3genE10ELNS1_11target_archE1200ELNS1_3gpuE4ELNS1_3repE0EEENS1_30default_config_static_selectorELNS0_4arch9wavefront6targetE1EEEvT1_
	.p2align	8
	.type	_ZN7rocprim17ROCPRIM_400000_NS6detail17trampoline_kernelINS0_14default_configENS1_25partition_config_selectorILNS1_17partition_subalgoE1ExNS0_10empty_typeEbEEZZNS1_14partition_implILS5_1ELb0ES3_jN6thrust23THRUST_200600_302600_NS6detail15normal_iteratorINSA_10device_ptrIxEEEEPS6_NSA_18transform_iteratorINSA_8identityIxEESF_NSA_11use_defaultESK_EENS0_5tupleIJSF_SF_EEENSM_IJSG_SG_EEES6_PlJS6_EEE10hipError_tPvRmT3_T4_T5_T6_T7_T9_mT8_P12ihipStream_tbDpT10_ENKUlT_T0_E_clISt17integral_constantIbLb1EES19_EEDaS14_S15_EUlS14_E_NS1_11comp_targetILNS1_3genE10ELNS1_11target_archE1200ELNS1_3gpuE4ELNS1_3repE0EEENS1_30default_config_static_selectorELNS0_4arch9wavefront6targetE1EEEvT1_,@function
_ZN7rocprim17ROCPRIM_400000_NS6detail17trampoline_kernelINS0_14default_configENS1_25partition_config_selectorILNS1_17partition_subalgoE1ExNS0_10empty_typeEbEEZZNS1_14partition_implILS5_1ELb0ES3_jN6thrust23THRUST_200600_302600_NS6detail15normal_iteratorINSA_10device_ptrIxEEEEPS6_NSA_18transform_iteratorINSA_8identityIxEESF_NSA_11use_defaultESK_EENS0_5tupleIJSF_SF_EEENSM_IJSG_SG_EEES6_PlJS6_EEE10hipError_tPvRmT3_T4_T5_T6_T7_T9_mT8_P12ihipStream_tbDpT10_ENKUlT_T0_E_clISt17integral_constantIbLb1EES19_EEDaS14_S15_EUlS14_E_NS1_11comp_targetILNS1_3genE10ELNS1_11target_archE1200ELNS1_3gpuE4ELNS1_3repE0EEENS1_30default_config_static_selectorELNS0_4arch9wavefront6targetE1EEEvT1_: ; @_ZN7rocprim17ROCPRIM_400000_NS6detail17trampoline_kernelINS0_14default_configENS1_25partition_config_selectorILNS1_17partition_subalgoE1ExNS0_10empty_typeEbEEZZNS1_14partition_implILS5_1ELb0ES3_jN6thrust23THRUST_200600_302600_NS6detail15normal_iteratorINSA_10device_ptrIxEEEEPS6_NSA_18transform_iteratorINSA_8identityIxEESF_NSA_11use_defaultESK_EENS0_5tupleIJSF_SF_EEENSM_IJSG_SG_EEES6_PlJS6_EEE10hipError_tPvRmT3_T4_T5_T6_T7_T9_mT8_P12ihipStream_tbDpT10_ENKUlT_T0_E_clISt17integral_constantIbLb1EES19_EEDaS14_S15_EUlS14_E_NS1_11comp_targetILNS1_3genE10ELNS1_11target_archE1200ELNS1_3gpuE4ELNS1_3repE0EEENS1_30default_config_static_selectorELNS0_4arch9wavefront6targetE1EEEvT1_
; %bb.0:
	.section	.rodata,"a",@progbits
	.p2align	6, 0x0
	.amdhsa_kernel _ZN7rocprim17ROCPRIM_400000_NS6detail17trampoline_kernelINS0_14default_configENS1_25partition_config_selectorILNS1_17partition_subalgoE1ExNS0_10empty_typeEbEEZZNS1_14partition_implILS5_1ELb0ES3_jN6thrust23THRUST_200600_302600_NS6detail15normal_iteratorINSA_10device_ptrIxEEEEPS6_NSA_18transform_iteratorINSA_8identityIxEESF_NSA_11use_defaultESK_EENS0_5tupleIJSF_SF_EEENSM_IJSG_SG_EEES6_PlJS6_EEE10hipError_tPvRmT3_T4_T5_T6_T7_T9_mT8_P12ihipStream_tbDpT10_ENKUlT_T0_E_clISt17integral_constantIbLb1EES19_EEDaS14_S15_EUlS14_E_NS1_11comp_targetILNS1_3genE10ELNS1_11target_archE1200ELNS1_3gpuE4ELNS1_3repE0EEENS1_30default_config_static_selectorELNS0_4arch9wavefront6targetE1EEEvT1_
		.amdhsa_group_segment_fixed_size 0
		.amdhsa_private_segment_fixed_size 0
		.amdhsa_kernarg_size 144
		.amdhsa_user_sgpr_count 2
		.amdhsa_user_sgpr_dispatch_ptr 0
		.amdhsa_user_sgpr_queue_ptr 0
		.amdhsa_user_sgpr_kernarg_segment_ptr 1
		.amdhsa_user_sgpr_dispatch_id 0
		.amdhsa_user_sgpr_kernarg_preload_length 0
		.amdhsa_user_sgpr_kernarg_preload_offset 0
		.amdhsa_user_sgpr_private_segment_size 0
		.amdhsa_uses_dynamic_stack 0
		.amdhsa_enable_private_segment 0
		.amdhsa_system_sgpr_workgroup_id_x 1
		.amdhsa_system_sgpr_workgroup_id_y 0
		.amdhsa_system_sgpr_workgroup_id_z 0
		.amdhsa_system_sgpr_workgroup_info 0
		.amdhsa_system_vgpr_workitem_id 0
		.amdhsa_next_free_vgpr 1
		.amdhsa_next_free_sgpr 0
		.amdhsa_accum_offset 4
		.amdhsa_reserve_vcc 0
		.amdhsa_float_round_mode_32 0
		.amdhsa_float_round_mode_16_64 0
		.amdhsa_float_denorm_mode_32 3
		.amdhsa_float_denorm_mode_16_64 3
		.amdhsa_dx10_clamp 1
		.amdhsa_ieee_mode 1
		.amdhsa_fp16_overflow 0
		.amdhsa_tg_split 0
		.amdhsa_exception_fp_ieee_invalid_op 0
		.amdhsa_exception_fp_denorm_src 0
		.amdhsa_exception_fp_ieee_div_zero 0
		.amdhsa_exception_fp_ieee_overflow 0
		.amdhsa_exception_fp_ieee_underflow 0
		.amdhsa_exception_fp_ieee_inexact 0
		.amdhsa_exception_int_div_zero 0
	.end_amdhsa_kernel
	.section	.text._ZN7rocprim17ROCPRIM_400000_NS6detail17trampoline_kernelINS0_14default_configENS1_25partition_config_selectorILNS1_17partition_subalgoE1ExNS0_10empty_typeEbEEZZNS1_14partition_implILS5_1ELb0ES3_jN6thrust23THRUST_200600_302600_NS6detail15normal_iteratorINSA_10device_ptrIxEEEEPS6_NSA_18transform_iteratorINSA_8identityIxEESF_NSA_11use_defaultESK_EENS0_5tupleIJSF_SF_EEENSM_IJSG_SG_EEES6_PlJS6_EEE10hipError_tPvRmT3_T4_T5_T6_T7_T9_mT8_P12ihipStream_tbDpT10_ENKUlT_T0_E_clISt17integral_constantIbLb1EES19_EEDaS14_S15_EUlS14_E_NS1_11comp_targetILNS1_3genE10ELNS1_11target_archE1200ELNS1_3gpuE4ELNS1_3repE0EEENS1_30default_config_static_selectorELNS0_4arch9wavefront6targetE1EEEvT1_,"axG",@progbits,_ZN7rocprim17ROCPRIM_400000_NS6detail17trampoline_kernelINS0_14default_configENS1_25partition_config_selectorILNS1_17partition_subalgoE1ExNS0_10empty_typeEbEEZZNS1_14partition_implILS5_1ELb0ES3_jN6thrust23THRUST_200600_302600_NS6detail15normal_iteratorINSA_10device_ptrIxEEEEPS6_NSA_18transform_iteratorINSA_8identityIxEESF_NSA_11use_defaultESK_EENS0_5tupleIJSF_SF_EEENSM_IJSG_SG_EEES6_PlJS6_EEE10hipError_tPvRmT3_T4_T5_T6_T7_T9_mT8_P12ihipStream_tbDpT10_ENKUlT_T0_E_clISt17integral_constantIbLb1EES19_EEDaS14_S15_EUlS14_E_NS1_11comp_targetILNS1_3genE10ELNS1_11target_archE1200ELNS1_3gpuE4ELNS1_3repE0EEENS1_30default_config_static_selectorELNS0_4arch9wavefront6targetE1EEEvT1_,comdat
.Lfunc_end590:
	.size	_ZN7rocprim17ROCPRIM_400000_NS6detail17trampoline_kernelINS0_14default_configENS1_25partition_config_selectorILNS1_17partition_subalgoE1ExNS0_10empty_typeEbEEZZNS1_14partition_implILS5_1ELb0ES3_jN6thrust23THRUST_200600_302600_NS6detail15normal_iteratorINSA_10device_ptrIxEEEEPS6_NSA_18transform_iteratorINSA_8identityIxEESF_NSA_11use_defaultESK_EENS0_5tupleIJSF_SF_EEENSM_IJSG_SG_EEES6_PlJS6_EEE10hipError_tPvRmT3_T4_T5_T6_T7_T9_mT8_P12ihipStream_tbDpT10_ENKUlT_T0_E_clISt17integral_constantIbLb1EES19_EEDaS14_S15_EUlS14_E_NS1_11comp_targetILNS1_3genE10ELNS1_11target_archE1200ELNS1_3gpuE4ELNS1_3repE0EEENS1_30default_config_static_selectorELNS0_4arch9wavefront6targetE1EEEvT1_, .Lfunc_end590-_ZN7rocprim17ROCPRIM_400000_NS6detail17trampoline_kernelINS0_14default_configENS1_25partition_config_selectorILNS1_17partition_subalgoE1ExNS0_10empty_typeEbEEZZNS1_14partition_implILS5_1ELb0ES3_jN6thrust23THRUST_200600_302600_NS6detail15normal_iteratorINSA_10device_ptrIxEEEEPS6_NSA_18transform_iteratorINSA_8identityIxEESF_NSA_11use_defaultESK_EENS0_5tupleIJSF_SF_EEENSM_IJSG_SG_EEES6_PlJS6_EEE10hipError_tPvRmT3_T4_T5_T6_T7_T9_mT8_P12ihipStream_tbDpT10_ENKUlT_T0_E_clISt17integral_constantIbLb1EES19_EEDaS14_S15_EUlS14_E_NS1_11comp_targetILNS1_3genE10ELNS1_11target_archE1200ELNS1_3gpuE4ELNS1_3repE0EEENS1_30default_config_static_selectorELNS0_4arch9wavefront6targetE1EEEvT1_
                                        ; -- End function
	.section	.AMDGPU.csdata,"",@progbits
; Kernel info:
; codeLenInByte = 0
; NumSgprs: 6
; NumVgprs: 0
; NumAgprs: 0
; TotalNumVgprs: 0
; ScratchSize: 0
; MemoryBound: 0
; FloatMode: 240
; IeeeMode: 1
; LDSByteSize: 0 bytes/workgroup (compile time only)
; SGPRBlocks: 0
; VGPRBlocks: 0
; NumSGPRsForWavesPerEU: 6
; NumVGPRsForWavesPerEU: 1
; AccumOffset: 4
; Occupancy: 8
; WaveLimiterHint : 0
; COMPUTE_PGM_RSRC2:SCRATCH_EN: 0
; COMPUTE_PGM_RSRC2:USER_SGPR: 2
; COMPUTE_PGM_RSRC2:TRAP_HANDLER: 0
; COMPUTE_PGM_RSRC2:TGID_X_EN: 1
; COMPUTE_PGM_RSRC2:TGID_Y_EN: 0
; COMPUTE_PGM_RSRC2:TGID_Z_EN: 0
; COMPUTE_PGM_RSRC2:TIDIG_COMP_CNT: 0
; COMPUTE_PGM_RSRC3_GFX90A:ACCUM_OFFSET: 0
; COMPUTE_PGM_RSRC3_GFX90A:TG_SPLIT: 0
	.section	.text._ZN7rocprim17ROCPRIM_400000_NS6detail17trampoline_kernelINS0_14default_configENS1_25partition_config_selectorILNS1_17partition_subalgoE1ExNS0_10empty_typeEbEEZZNS1_14partition_implILS5_1ELb0ES3_jN6thrust23THRUST_200600_302600_NS6detail15normal_iteratorINSA_10device_ptrIxEEEEPS6_NSA_18transform_iteratorINSA_8identityIxEESF_NSA_11use_defaultESK_EENS0_5tupleIJSF_SF_EEENSM_IJSG_SG_EEES6_PlJS6_EEE10hipError_tPvRmT3_T4_T5_T6_T7_T9_mT8_P12ihipStream_tbDpT10_ENKUlT_T0_E_clISt17integral_constantIbLb1EES19_EEDaS14_S15_EUlS14_E_NS1_11comp_targetILNS1_3genE9ELNS1_11target_archE1100ELNS1_3gpuE3ELNS1_3repE0EEENS1_30default_config_static_selectorELNS0_4arch9wavefront6targetE1EEEvT1_,"axG",@progbits,_ZN7rocprim17ROCPRIM_400000_NS6detail17trampoline_kernelINS0_14default_configENS1_25partition_config_selectorILNS1_17partition_subalgoE1ExNS0_10empty_typeEbEEZZNS1_14partition_implILS5_1ELb0ES3_jN6thrust23THRUST_200600_302600_NS6detail15normal_iteratorINSA_10device_ptrIxEEEEPS6_NSA_18transform_iteratorINSA_8identityIxEESF_NSA_11use_defaultESK_EENS0_5tupleIJSF_SF_EEENSM_IJSG_SG_EEES6_PlJS6_EEE10hipError_tPvRmT3_T4_T5_T6_T7_T9_mT8_P12ihipStream_tbDpT10_ENKUlT_T0_E_clISt17integral_constantIbLb1EES19_EEDaS14_S15_EUlS14_E_NS1_11comp_targetILNS1_3genE9ELNS1_11target_archE1100ELNS1_3gpuE3ELNS1_3repE0EEENS1_30default_config_static_selectorELNS0_4arch9wavefront6targetE1EEEvT1_,comdat
	.protected	_ZN7rocprim17ROCPRIM_400000_NS6detail17trampoline_kernelINS0_14default_configENS1_25partition_config_selectorILNS1_17partition_subalgoE1ExNS0_10empty_typeEbEEZZNS1_14partition_implILS5_1ELb0ES3_jN6thrust23THRUST_200600_302600_NS6detail15normal_iteratorINSA_10device_ptrIxEEEEPS6_NSA_18transform_iteratorINSA_8identityIxEESF_NSA_11use_defaultESK_EENS0_5tupleIJSF_SF_EEENSM_IJSG_SG_EEES6_PlJS6_EEE10hipError_tPvRmT3_T4_T5_T6_T7_T9_mT8_P12ihipStream_tbDpT10_ENKUlT_T0_E_clISt17integral_constantIbLb1EES19_EEDaS14_S15_EUlS14_E_NS1_11comp_targetILNS1_3genE9ELNS1_11target_archE1100ELNS1_3gpuE3ELNS1_3repE0EEENS1_30default_config_static_selectorELNS0_4arch9wavefront6targetE1EEEvT1_ ; -- Begin function _ZN7rocprim17ROCPRIM_400000_NS6detail17trampoline_kernelINS0_14default_configENS1_25partition_config_selectorILNS1_17partition_subalgoE1ExNS0_10empty_typeEbEEZZNS1_14partition_implILS5_1ELb0ES3_jN6thrust23THRUST_200600_302600_NS6detail15normal_iteratorINSA_10device_ptrIxEEEEPS6_NSA_18transform_iteratorINSA_8identityIxEESF_NSA_11use_defaultESK_EENS0_5tupleIJSF_SF_EEENSM_IJSG_SG_EEES6_PlJS6_EEE10hipError_tPvRmT3_T4_T5_T6_T7_T9_mT8_P12ihipStream_tbDpT10_ENKUlT_T0_E_clISt17integral_constantIbLb1EES19_EEDaS14_S15_EUlS14_E_NS1_11comp_targetILNS1_3genE9ELNS1_11target_archE1100ELNS1_3gpuE3ELNS1_3repE0EEENS1_30default_config_static_selectorELNS0_4arch9wavefront6targetE1EEEvT1_
	.globl	_ZN7rocprim17ROCPRIM_400000_NS6detail17trampoline_kernelINS0_14default_configENS1_25partition_config_selectorILNS1_17partition_subalgoE1ExNS0_10empty_typeEbEEZZNS1_14partition_implILS5_1ELb0ES3_jN6thrust23THRUST_200600_302600_NS6detail15normal_iteratorINSA_10device_ptrIxEEEEPS6_NSA_18transform_iteratorINSA_8identityIxEESF_NSA_11use_defaultESK_EENS0_5tupleIJSF_SF_EEENSM_IJSG_SG_EEES6_PlJS6_EEE10hipError_tPvRmT3_T4_T5_T6_T7_T9_mT8_P12ihipStream_tbDpT10_ENKUlT_T0_E_clISt17integral_constantIbLb1EES19_EEDaS14_S15_EUlS14_E_NS1_11comp_targetILNS1_3genE9ELNS1_11target_archE1100ELNS1_3gpuE3ELNS1_3repE0EEENS1_30default_config_static_selectorELNS0_4arch9wavefront6targetE1EEEvT1_
	.p2align	8
	.type	_ZN7rocprim17ROCPRIM_400000_NS6detail17trampoline_kernelINS0_14default_configENS1_25partition_config_selectorILNS1_17partition_subalgoE1ExNS0_10empty_typeEbEEZZNS1_14partition_implILS5_1ELb0ES3_jN6thrust23THRUST_200600_302600_NS6detail15normal_iteratorINSA_10device_ptrIxEEEEPS6_NSA_18transform_iteratorINSA_8identityIxEESF_NSA_11use_defaultESK_EENS0_5tupleIJSF_SF_EEENSM_IJSG_SG_EEES6_PlJS6_EEE10hipError_tPvRmT3_T4_T5_T6_T7_T9_mT8_P12ihipStream_tbDpT10_ENKUlT_T0_E_clISt17integral_constantIbLb1EES19_EEDaS14_S15_EUlS14_E_NS1_11comp_targetILNS1_3genE9ELNS1_11target_archE1100ELNS1_3gpuE3ELNS1_3repE0EEENS1_30default_config_static_selectorELNS0_4arch9wavefront6targetE1EEEvT1_,@function
_ZN7rocprim17ROCPRIM_400000_NS6detail17trampoline_kernelINS0_14default_configENS1_25partition_config_selectorILNS1_17partition_subalgoE1ExNS0_10empty_typeEbEEZZNS1_14partition_implILS5_1ELb0ES3_jN6thrust23THRUST_200600_302600_NS6detail15normal_iteratorINSA_10device_ptrIxEEEEPS6_NSA_18transform_iteratorINSA_8identityIxEESF_NSA_11use_defaultESK_EENS0_5tupleIJSF_SF_EEENSM_IJSG_SG_EEES6_PlJS6_EEE10hipError_tPvRmT3_T4_T5_T6_T7_T9_mT8_P12ihipStream_tbDpT10_ENKUlT_T0_E_clISt17integral_constantIbLb1EES19_EEDaS14_S15_EUlS14_E_NS1_11comp_targetILNS1_3genE9ELNS1_11target_archE1100ELNS1_3gpuE3ELNS1_3repE0EEENS1_30default_config_static_selectorELNS0_4arch9wavefront6targetE1EEEvT1_: ; @_ZN7rocprim17ROCPRIM_400000_NS6detail17trampoline_kernelINS0_14default_configENS1_25partition_config_selectorILNS1_17partition_subalgoE1ExNS0_10empty_typeEbEEZZNS1_14partition_implILS5_1ELb0ES3_jN6thrust23THRUST_200600_302600_NS6detail15normal_iteratorINSA_10device_ptrIxEEEEPS6_NSA_18transform_iteratorINSA_8identityIxEESF_NSA_11use_defaultESK_EENS0_5tupleIJSF_SF_EEENSM_IJSG_SG_EEES6_PlJS6_EEE10hipError_tPvRmT3_T4_T5_T6_T7_T9_mT8_P12ihipStream_tbDpT10_ENKUlT_T0_E_clISt17integral_constantIbLb1EES19_EEDaS14_S15_EUlS14_E_NS1_11comp_targetILNS1_3genE9ELNS1_11target_archE1100ELNS1_3gpuE3ELNS1_3repE0EEENS1_30default_config_static_selectorELNS0_4arch9wavefront6targetE1EEEvT1_
; %bb.0:
	.section	.rodata,"a",@progbits
	.p2align	6, 0x0
	.amdhsa_kernel _ZN7rocprim17ROCPRIM_400000_NS6detail17trampoline_kernelINS0_14default_configENS1_25partition_config_selectorILNS1_17partition_subalgoE1ExNS0_10empty_typeEbEEZZNS1_14partition_implILS5_1ELb0ES3_jN6thrust23THRUST_200600_302600_NS6detail15normal_iteratorINSA_10device_ptrIxEEEEPS6_NSA_18transform_iteratorINSA_8identityIxEESF_NSA_11use_defaultESK_EENS0_5tupleIJSF_SF_EEENSM_IJSG_SG_EEES6_PlJS6_EEE10hipError_tPvRmT3_T4_T5_T6_T7_T9_mT8_P12ihipStream_tbDpT10_ENKUlT_T0_E_clISt17integral_constantIbLb1EES19_EEDaS14_S15_EUlS14_E_NS1_11comp_targetILNS1_3genE9ELNS1_11target_archE1100ELNS1_3gpuE3ELNS1_3repE0EEENS1_30default_config_static_selectorELNS0_4arch9wavefront6targetE1EEEvT1_
		.amdhsa_group_segment_fixed_size 0
		.amdhsa_private_segment_fixed_size 0
		.amdhsa_kernarg_size 144
		.amdhsa_user_sgpr_count 2
		.amdhsa_user_sgpr_dispatch_ptr 0
		.amdhsa_user_sgpr_queue_ptr 0
		.amdhsa_user_sgpr_kernarg_segment_ptr 1
		.amdhsa_user_sgpr_dispatch_id 0
		.amdhsa_user_sgpr_kernarg_preload_length 0
		.amdhsa_user_sgpr_kernarg_preload_offset 0
		.amdhsa_user_sgpr_private_segment_size 0
		.amdhsa_uses_dynamic_stack 0
		.amdhsa_enable_private_segment 0
		.amdhsa_system_sgpr_workgroup_id_x 1
		.amdhsa_system_sgpr_workgroup_id_y 0
		.amdhsa_system_sgpr_workgroup_id_z 0
		.amdhsa_system_sgpr_workgroup_info 0
		.amdhsa_system_vgpr_workitem_id 0
		.amdhsa_next_free_vgpr 1
		.amdhsa_next_free_sgpr 0
		.amdhsa_accum_offset 4
		.amdhsa_reserve_vcc 0
		.amdhsa_float_round_mode_32 0
		.amdhsa_float_round_mode_16_64 0
		.amdhsa_float_denorm_mode_32 3
		.amdhsa_float_denorm_mode_16_64 3
		.amdhsa_dx10_clamp 1
		.amdhsa_ieee_mode 1
		.amdhsa_fp16_overflow 0
		.amdhsa_tg_split 0
		.amdhsa_exception_fp_ieee_invalid_op 0
		.amdhsa_exception_fp_denorm_src 0
		.amdhsa_exception_fp_ieee_div_zero 0
		.amdhsa_exception_fp_ieee_overflow 0
		.amdhsa_exception_fp_ieee_underflow 0
		.amdhsa_exception_fp_ieee_inexact 0
		.amdhsa_exception_int_div_zero 0
	.end_amdhsa_kernel
	.section	.text._ZN7rocprim17ROCPRIM_400000_NS6detail17trampoline_kernelINS0_14default_configENS1_25partition_config_selectorILNS1_17partition_subalgoE1ExNS0_10empty_typeEbEEZZNS1_14partition_implILS5_1ELb0ES3_jN6thrust23THRUST_200600_302600_NS6detail15normal_iteratorINSA_10device_ptrIxEEEEPS6_NSA_18transform_iteratorINSA_8identityIxEESF_NSA_11use_defaultESK_EENS0_5tupleIJSF_SF_EEENSM_IJSG_SG_EEES6_PlJS6_EEE10hipError_tPvRmT3_T4_T5_T6_T7_T9_mT8_P12ihipStream_tbDpT10_ENKUlT_T0_E_clISt17integral_constantIbLb1EES19_EEDaS14_S15_EUlS14_E_NS1_11comp_targetILNS1_3genE9ELNS1_11target_archE1100ELNS1_3gpuE3ELNS1_3repE0EEENS1_30default_config_static_selectorELNS0_4arch9wavefront6targetE1EEEvT1_,"axG",@progbits,_ZN7rocprim17ROCPRIM_400000_NS6detail17trampoline_kernelINS0_14default_configENS1_25partition_config_selectorILNS1_17partition_subalgoE1ExNS0_10empty_typeEbEEZZNS1_14partition_implILS5_1ELb0ES3_jN6thrust23THRUST_200600_302600_NS6detail15normal_iteratorINSA_10device_ptrIxEEEEPS6_NSA_18transform_iteratorINSA_8identityIxEESF_NSA_11use_defaultESK_EENS0_5tupleIJSF_SF_EEENSM_IJSG_SG_EEES6_PlJS6_EEE10hipError_tPvRmT3_T4_T5_T6_T7_T9_mT8_P12ihipStream_tbDpT10_ENKUlT_T0_E_clISt17integral_constantIbLb1EES19_EEDaS14_S15_EUlS14_E_NS1_11comp_targetILNS1_3genE9ELNS1_11target_archE1100ELNS1_3gpuE3ELNS1_3repE0EEENS1_30default_config_static_selectorELNS0_4arch9wavefront6targetE1EEEvT1_,comdat
.Lfunc_end591:
	.size	_ZN7rocprim17ROCPRIM_400000_NS6detail17trampoline_kernelINS0_14default_configENS1_25partition_config_selectorILNS1_17partition_subalgoE1ExNS0_10empty_typeEbEEZZNS1_14partition_implILS5_1ELb0ES3_jN6thrust23THRUST_200600_302600_NS6detail15normal_iteratorINSA_10device_ptrIxEEEEPS6_NSA_18transform_iteratorINSA_8identityIxEESF_NSA_11use_defaultESK_EENS0_5tupleIJSF_SF_EEENSM_IJSG_SG_EEES6_PlJS6_EEE10hipError_tPvRmT3_T4_T5_T6_T7_T9_mT8_P12ihipStream_tbDpT10_ENKUlT_T0_E_clISt17integral_constantIbLb1EES19_EEDaS14_S15_EUlS14_E_NS1_11comp_targetILNS1_3genE9ELNS1_11target_archE1100ELNS1_3gpuE3ELNS1_3repE0EEENS1_30default_config_static_selectorELNS0_4arch9wavefront6targetE1EEEvT1_, .Lfunc_end591-_ZN7rocprim17ROCPRIM_400000_NS6detail17trampoline_kernelINS0_14default_configENS1_25partition_config_selectorILNS1_17partition_subalgoE1ExNS0_10empty_typeEbEEZZNS1_14partition_implILS5_1ELb0ES3_jN6thrust23THRUST_200600_302600_NS6detail15normal_iteratorINSA_10device_ptrIxEEEEPS6_NSA_18transform_iteratorINSA_8identityIxEESF_NSA_11use_defaultESK_EENS0_5tupleIJSF_SF_EEENSM_IJSG_SG_EEES6_PlJS6_EEE10hipError_tPvRmT3_T4_T5_T6_T7_T9_mT8_P12ihipStream_tbDpT10_ENKUlT_T0_E_clISt17integral_constantIbLb1EES19_EEDaS14_S15_EUlS14_E_NS1_11comp_targetILNS1_3genE9ELNS1_11target_archE1100ELNS1_3gpuE3ELNS1_3repE0EEENS1_30default_config_static_selectorELNS0_4arch9wavefront6targetE1EEEvT1_
                                        ; -- End function
	.section	.AMDGPU.csdata,"",@progbits
; Kernel info:
; codeLenInByte = 0
; NumSgprs: 6
; NumVgprs: 0
; NumAgprs: 0
; TotalNumVgprs: 0
; ScratchSize: 0
; MemoryBound: 0
; FloatMode: 240
; IeeeMode: 1
; LDSByteSize: 0 bytes/workgroup (compile time only)
; SGPRBlocks: 0
; VGPRBlocks: 0
; NumSGPRsForWavesPerEU: 6
; NumVGPRsForWavesPerEU: 1
; AccumOffset: 4
; Occupancy: 8
; WaveLimiterHint : 0
; COMPUTE_PGM_RSRC2:SCRATCH_EN: 0
; COMPUTE_PGM_RSRC2:USER_SGPR: 2
; COMPUTE_PGM_RSRC2:TRAP_HANDLER: 0
; COMPUTE_PGM_RSRC2:TGID_X_EN: 1
; COMPUTE_PGM_RSRC2:TGID_Y_EN: 0
; COMPUTE_PGM_RSRC2:TGID_Z_EN: 0
; COMPUTE_PGM_RSRC2:TIDIG_COMP_CNT: 0
; COMPUTE_PGM_RSRC3_GFX90A:ACCUM_OFFSET: 0
; COMPUTE_PGM_RSRC3_GFX90A:TG_SPLIT: 0
	.section	.text._ZN7rocprim17ROCPRIM_400000_NS6detail17trampoline_kernelINS0_14default_configENS1_25partition_config_selectorILNS1_17partition_subalgoE1ExNS0_10empty_typeEbEEZZNS1_14partition_implILS5_1ELb0ES3_jN6thrust23THRUST_200600_302600_NS6detail15normal_iteratorINSA_10device_ptrIxEEEEPS6_NSA_18transform_iteratorINSA_8identityIxEESF_NSA_11use_defaultESK_EENS0_5tupleIJSF_SF_EEENSM_IJSG_SG_EEES6_PlJS6_EEE10hipError_tPvRmT3_T4_T5_T6_T7_T9_mT8_P12ihipStream_tbDpT10_ENKUlT_T0_E_clISt17integral_constantIbLb1EES19_EEDaS14_S15_EUlS14_E_NS1_11comp_targetILNS1_3genE8ELNS1_11target_archE1030ELNS1_3gpuE2ELNS1_3repE0EEENS1_30default_config_static_selectorELNS0_4arch9wavefront6targetE1EEEvT1_,"axG",@progbits,_ZN7rocprim17ROCPRIM_400000_NS6detail17trampoline_kernelINS0_14default_configENS1_25partition_config_selectorILNS1_17partition_subalgoE1ExNS0_10empty_typeEbEEZZNS1_14partition_implILS5_1ELb0ES3_jN6thrust23THRUST_200600_302600_NS6detail15normal_iteratorINSA_10device_ptrIxEEEEPS6_NSA_18transform_iteratorINSA_8identityIxEESF_NSA_11use_defaultESK_EENS0_5tupleIJSF_SF_EEENSM_IJSG_SG_EEES6_PlJS6_EEE10hipError_tPvRmT3_T4_T5_T6_T7_T9_mT8_P12ihipStream_tbDpT10_ENKUlT_T0_E_clISt17integral_constantIbLb1EES19_EEDaS14_S15_EUlS14_E_NS1_11comp_targetILNS1_3genE8ELNS1_11target_archE1030ELNS1_3gpuE2ELNS1_3repE0EEENS1_30default_config_static_selectorELNS0_4arch9wavefront6targetE1EEEvT1_,comdat
	.protected	_ZN7rocprim17ROCPRIM_400000_NS6detail17trampoline_kernelINS0_14default_configENS1_25partition_config_selectorILNS1_17partition_subalgoE1ExNS0_10empty_typeEbEEZZNS1_14partition_implILS5_1ELb0ES3_jN6thrust23THRUST_200600_302600_NS6detail15normal_iteratorINSA_10device_ptrIxEEEEPS6_NSA_18transform_iteratorINSA_8identityIxEESF_NSA_11use_defaultESK_EENS0_5tupleIJSF_SF_EEENSM_IJSG_SG_EEES6_PlJS6_EEE10hipError_tPvRmT3_T4_T5_T6_T7_T9_mT8_P12ihipStream_tbDpT10_ENKUlT_T0_E_clISt17integral_constantIbLb1EES19_EEDaS14_S15_EUlS14_E_NS1_11comp_targetILNS1_3genE8ELNS1_11target_archE1030ELNS1_3gpuE2ELNS1_3repE0EEENS1_30default_config_static_selectorELNS0_4arch9wavefront6targetE1EEEvT1_ ; -- Begin function _ZN7rocprim17ROCPRIM_400000_NS6detail17trampoline_kernelINS0_14default_configENS1_25partition_config_selectorILNS1_17partition_subalgoE1ExNS0_10empty_typeEbEEZZNS1_14partition_implILS5_1ELb0ES3_jN6thrust23THRUST_200600_302600_NS6detail15normal_iteratorINSA_10device_ptrIxEEEEPS6_NSA_18transform_iteratorINSA_8identityIxEESF_NSA_11use_defaultESK_EENS0_5tupleIJSF_SF_EEENSM_IJSG_SG_EEES6_PlJS6_EEE10hipError_tPvRmT3_T4_T5_T6_T7_T9_mT8_P12ihipStream_tbDpT10_ENKUlT_T0_E_clISt17integral_constantIbLb1EES19_EEDaS14_S15_EUlS14_E_NS1_11comp_targetILNS1_3genE8ELNS1_11target_archE1030ELNS1_3gpuE2ELNS1_3repE0EEENS1_30default_config_static_selectorELNS0_4arch9wavefront6targetE1EEEvT1_
	.globl	_ZN7rocprim17ROCPRIM_400000_NS6detail17trampoline_kernelINS0_14default_configENS1_25partition_config_selectorILNS1_17partition_subalgoE1ExNS0_10empty_typeEbEEZZNS1_14partition_implILS5_1ELb0ES3_jN6thrust23THRUST_200600_302600_NS6detail15normal_iteratorINSA_10device_ptrIxEEEEPS6_NSA_18transform_iteratorINSA_8identityIxEESF_NSA_11use_defaultESK_EENS0_5tupleIJSF_SF_EEENSM_IJSG_SG_EEES6_PlJS6_EEE10hipError_tPvRmT3_T4_T5_T6_T7_T9_mT8_P12ihipStream_tbDpT10_ENKUlT_T0_E_clISt17integral_constantIbLb1EES19_EEDaS14_S15_EUlS14_E_NS1_11comp_targetILNS1_3genE8ELNS1_11target_archE1030ELNS1_3gpuE2ELNS1_3repE0EEENS1_30default_config_static_selectorELNS0_4arch9wavefront6targetE1EEEvT1_
	.p2align	8
	.type	_ZN7rocprim17ROCPRIM_400000_NS6detail17trampoline_kernelINS0_14default_configENS1_25partition_config_selectorILNS1_17partition_subalgoE1ExNS0_10empty_typeEbEEZZNS1_14partition_implILS5_1ELb0ES3_jN6thrust23THRUST_200600_302600_NS6detail15normal_iteratorINSA_10device_ptrIxEEEEPS6_NSA_18transform_iteratorINSA_8identityIxEESF_NSA_11use_defaultESK_EENS0_5tupleIJSF_SF_EEENSM_IJSG_SG_EEES6_PlJS6_EEE10hipError_tPvRmT3_T4_T5_T6_T7_T9_mT8_P12ihipStream_tbDpT10_ENKUlT_T0_E_clISt17integral_constantIbLb1EES19_EEDaS14_S15_EUlS14_E_NS1_11comp_targetILNS1_3genE8ELNS1_11target_archE1030ELNS1_3gpuE2ELNS1_3repE0EEENS1_30default_config_static_selectorELNS0_4arch9wavefront6targetE1EEEvT1_,@function
_ZN7rocprim17ROCPRIM_400000_NS6detail17trampoline_kernelINS0_14default_configENS1_25partition_config_selectorILNS1_17partition_subalgoE1ExNS0_10empty_typeEbEEZZNS1_14partition_implILS5_1ELb0ES3_jN6thrust23THRUST_200600_302600_NS6detail15normal_iteratorINSA_10device_ptrIxEEEEPS6_NSA_18transform_iteratorINSA_8identityIxEESF_NSA_11use_defaultESK_EENS0_5tupleIJSF_SF_EEENSM_IJSG_SG_EEES6_PlJS6_EEE10hipError_tPvRmT3_T4_T5_T6_T7_T9_mT8_P12ihipStream_tbDpT10_ENKUlT_T0_E_clISt17integral_constantIbLb1EES19_EEDaS14_S15_EUlS14_E_NS1_11comp_targetILNS1_3genE8ELNS1_11target_archE1030ELNS1_3gpuE2ELNS1_3repE0EEENS1_30default_config_static_selectorELNS0_4arch9wavefront6targetE1EEEvT1_: ; @_ZN7rocprim17ROCPRIM_400000_NS6detail17trampoline_kernelINS0_14default_configENS1_25partition_config_selectorILNS1_17partition_subalgoE1ExNS0_10empty_typeEbEEZZNS1_14partition_implILS5_1ELb0ES3_jN6thrust23THRUST_200600_302600_NS6detail15normal_iteratorINSA_10device_ptrIxEEEEPS6_NSA_18transform_iteratorINSA_8identityIxEESF_NSA_11use_defaultESK_EENS0_5tupleIJSF_SF_EEENSM_IJSG_SG_EEES6_PlJS6_EEE10hipError_tPvRmT3_T4_T5_T6_T7_T9_mT8_P12ihipStream_tbDpT10_ENKUlT_T0_E_clISt17integral_constantIbLb1EES19_EEDaS14_S15_EUlS14_E_NS1_11comp_targetILNS1_3genE8ELNS1_11target_archE1030ELNS1_3gpuE2ELNS1_3repE0EEENS1_30default_config_static_selectorELNS0_4arch9wavefront6targetE1EEEvT1_
; %bb.0:
	.section	.rodata,"a",@progbits
	.p2align	6, 0x0
	.amdhsa_kernel _ZN7rocprim17ROCPRIM_400000_NS6detail17trampoline_kernelINS0_14default_configENS1_25partition_config_selectorILNS1_17partition_subalgoE1ExNS0_10empty_typeEbEEZZNS1_14partition_implILS5_1ELb0ES3_jN6thrust23THRUST_200600_302600_NS6detail15normal_iteratorINSA_10device_ptrIxEEEEPS6_NSA_18transform_iteratorINSA_8identityIxEESF_NSA_11use_defaultESK_EENS0_5tupleIJSF_SF_EEENSM_IJSG_SG_EEES6_PlJS6_EEE10hipError_tPvRmT3_T4_T5_T6_T7_T9_mT8_P12ihipStream_tbDpT10_ENKUlT_T0_E_clISt17integral_constantIbLb1EES19_EEDaS14_S15_EUlS14_E_NS1_11comp_targetILNS1_3genE8ELNS1_11target_archE1030ELNS1_3gpuE2ELNS1_3repE0EEENS1_30default_config_static_selectorELNS0_4arch9wavefront6targetE1EEEvT1_
		.amdhsa_group_segment_fixed_size 0
		.amdhsa_private_segment_fixed_size 0
		.amdhsa_kernarg_size 144
		.amdhsa_user_sgpr_count 2
		.amdhsa_user_sgpr_dispatch_ptr 0
		.amdhsa_user_sgpr_queue_ptr 0
		.amdhsa_user_sgpr_kernarg_segment_ptr 1
		.amdhsa_user_sgpr_dispatch_id 0
		.amdhsa_user_sgpr_kernarg_preload_length 0
		.amdhsa_user_sgpr_kernarg_preload_offset 0
		.amdhsa_user_sgpr_private_segment_size 0
		.amdhsa_uses_dynamic_stack 0
		.amdhsa_enable_private_segment 0
		.amdhsa_system_sgpr_workgroup_id_x 1
		.amdhsa_system_sgpr_workgroup_id_y 0
		.amdhsa_system_sgpr_workgroup_id_z 0
		.amdhsa_system_sgpr_workgroup_info 0
		.amdhsa_system_vgpr_workitem_id 0
		.amdhsa_next_free_vgpr 1
		.amdhsa_next_free_sgpr 0
		.amdhsa_accum_offset 4
		.amdhsa_reserve_vcc 0
		.amdhsa_float_round_mode_32 0
		.amdhsa_float_round_mode_16_64 0
		.amdhsa_float_denorm_mode_32 3
		.amdhsa_float_denorm_mode_16_64 3
		.amdhsa_dx10_clamp 1
		.amdhsa_ieee_mode 1
		.amdhsa_fp16_overflow 0
		.amdhsa_tg_split 0
		.amdhsa_exception_fp_ieee_invalid_op 0
		.amdhsa_exception_fp_denorm_src 0
		.amdhsa_exception_fp_ieee_div_zero 0
		.amdhsa_exception_fp_ieee_overflow 0
		.amdhsa_exception_fp_ieee_underflow 0
		.amdhsa_exception_fp_ieee_inexact 0
		.amdhsa_exception_int_div_zero 0
	.end_amdhsa_kernel
	.section	.text._ZN7rocprim17ROCPRIM_400000_NS6detail17trampoline_kernelINS0_14default_configENS1_25partition_config_selectorILNS1_17partition_subalgoE1ExNS0_10empty_typeEbEEZZNS1_14partition_implILS5_1ELb0ES3_jN6thrust23THRUST_200600_302600_NS6detail15normal_iteratorINSA_10device_ptrIxEEEEPS6_NSA_18transform_iteratorINSA_8identityIxEESF_NSA_11use_defaultESK_EENS0_5tupleIJSF_SF_EEENSM_IJSG_SG_EEES6_PlJS6_EEE10hipError_tPvRmT3_T4_T5_T6_T7_T9_mT8_P12ihipStream_tbDpT10_ENKUlT_T0_E_clISt17integral_constantIbLb1EES19_EEDaS14_S15_EUlS14_E_NS1_11comp_targetILNS1_3genE8ELNS1_11target_archE1030ELNS1_3gpuE2ELNS1_3repE0EEENS1_30default_config_static_selectorELNS0_4arch9wavefront6targetE1EEEvT1_,"axG",@progbits,_ZN7rocprim17ROCPRIM_400000_NS6detail17trampoline_kernelINS0_14default_configENS1_25partition_config_selectorILNS1_17partition_subalgoE1ExNS0_10empty_typeEbEEZZNS1_14partition_implILS5_1ELb0ES3_jN6thrust23THRUST_200600_302600_NS6detail15normal_iteratorINSA_10device_ptrIxEEEEPS6_NSA_18transform_iteratorINSA_8identityIxEESF_NSA_11use_defaultESK_EENS0_5tupleIJSF_SF_EEENSM_IJSG_SG_EEES6_PlJS6_EEE10hipError_tPvRmT3_T4_T5_T6_T7_T9_mT8_P12ihipStream_tbDpT10_ENKUlT_T0_E_clISt17integral_constantIbLb1EES19_EEDaS14_S15_EUlS14_E_NS1_11comp_targetILNS1_3genE8ELNS1_11target_archE1030ELNS1_3gpuE2ELNS1_3repE0EEENS1_30default_config_static_selectorELNS0_4arch9wavefront6targetE1EEEvT1_,comdat
.Lfunc_end592:
	.size	_ZN7rocprim17ROCPRIM_400000_NS6detail17trampoline_kernelINS0_14default_configENS1_25partition_config_selectorILNS1_17partition_subalgoE1ExNS0_10empty_typeEbEEZZNS1_14partition_implILS5_1ELb0ES3_jN6thrust23THRUST_200600_302600_NS6detail15normal_iteratorINSA_10device_ptrIxEEEEPS6_NSA_18transform_iteratorINSA_8identityIxEESF_NSA_11use_defaultESK_EENS0_5tupleIJSF_SF_EEENSM_IJSG_SG_EEES6_PlJS6_EEE10hipError_tPvRmT3_T4_T5_T6_T7_T9_mT8_P12ihipStream_tbDpT10_ENKUlT_T0_E_clISt17integral_constantIbLb1EES19_EEDaS14_S15_EUlS14_E_NS1_11comp_targetILNS1_3genE8ELNS1_11target_archE1030ELNS1_3gpuE2ELNS1_3repE0EEENS1_30default_config_static_selectorELNS0_4arch9wavefront6targetE1EEEvT1_, .Lfunc_end592-_ZN7rocprim17ROCPRIM_400000_NS6detail17trampoline_kernelINS0_14default_configENS1_25partition_config_selectorILNS1_17partition_subalgoE1ExNS0_10empty_typeEbEEZZNS1_14partition_implILS5_1ELb0ES3_jN6thrust23THRUST_200600_302600_NS6detail15normal_iteratorINSA_10device_ptrIxEEEEPS6_NSA_18transform_iteratorINSA_8identityIxEESF_NSA_11use_defaultESK_EENS0_5tupleIJSF_SF_EEENSM_IJSG_SG_EEES6_PlJS6_EEE10hipError_tPvRmT3_T4_T5_T6_T7_T9_mT8_P12ihipStream_tbDpT10_ENKUlT_T0_E_clISt17integral_constantIbLb1EES19_EEDaS14_S15_EUlS14_E_NS1_11comp_targetILNS1_3genE8ELNS1_11target_archE1030ELNS1_3gpuE2ELNS1_3repE0EEENS1_30default_config_static_selectorELNS0_4arch9wavefront6targetE1EEEvT1_
                                        ; -- End function
	.section	.AMDGPU.csdata,"",@progbits
; Kernel info:
; codeLenInByte = 0
; NumSgprs: 6
; NumVgprs: 0
; NumAgprs: 0
; TotalNumVgprs: 0
; ScratchSize: 0
; MemoryBound: 0
; FloatMode: 240
; IeeeMode: 1
; LDSByteSize: 0 bytes/workgroup (compile time only)
; SGPRBlocks: 0
; VGPRBlocks: 0
; NumSGPRsForWavesPerEU: 6
; NumVGPRsForWavesPerEU: 1
; AccumOffset: 4
; Occupancy: 8
; WaveLimiterHint : 0
; COMPUTE_PGM_RSRC2:SCRATCH_EN: 0
; COMPUTE_PGM_RSRC2:USER_SGPR: 2
; COMPUTE_PGM_RSRC2:TRAP_HANDLER: 0
; COMPUTE_PGM_RSRC2:TGID_X_EN: 1
; COMPUTE_PGM_RSRC2:TGID_Y_EN: 0
; COMPUTE_PGM_RSRC2:TGID_Z_EN: 0
; COMPUTE_PGM_RSRC2:TIDIG_COMP_CNT: 0
; COMPUTE_PGM_RSRC3_GFX90A:ACCUM_OFFSET: 0
; COMPUTE_PGM_RSRC3_GFX90A:TG_SPLIT: 0
	.section	.text._ZN7rocprim17ROCPRIM_400000_NS6detail17trampoline_kernelINS0_14default_configENS1_25partition_config_selectorILNS1_17partition_subalgoE1ExNS0_10empty_typeEbEEZZNS1_14partition_implILS5_1ELb0ES3_jN6thrust23THRUST_200600_302600_NS6detail15normal_iteratorINSA_10device_ptrIxEEEEPS6_NSA_18transform_iteratorINSA_8identityIxEESF_NSA_11use_defaultESK_EENS0_5tupleIJSF_SF_EEENSM_IJSG_SG_EEES6_PlJS6_EEE10hipError_tPvRmT3_T4_T5_T6_T7_T9_mT8_P12ihipStream_tbDpT10_ENKUlT_T0_E_clISt17integral_constantIbLb1EES18_IbLb0EEEEDaS14_S15_EUlS14_E_NS1_11comp_targetILNS1_3genE0ELNS1_11target_archE4294967295ELNS1_3gpuE0ELNS1_3repE0EEENS1_30default_config_static_selectorELNS0_4arch9wavefront6targetE1EEEvT1_,"axG",@progbits,_ZN7rocprim17ROCPRIM_400000_NS6detail17trampoline_kernelINS0_14default_configENS1_25partition_config_selectorILNS1_17partition_subalgoE1ExNS0_10empty_typeEbEEZZNS1_14partition_implILS5_1ELb0ES3_jN6thrust23THRUST_200600_302600_NS6detail15normal_iteratorINSA_10device_ptrIxEEEEPS6_NSA_18transform_iteratorINSA_8identityIxEESF_NSA_11use_defaultESK_EENS0_5tupleIJSF_SF_EEENSM_IJSG_SG_EEES6_PlJS6_EEE10hipError_tPvRmT3_T4_T5_T6_T7_T9_mT8_P12ihipStream_tbDpT10_ENKUlT_T0_E_clISt17integral_constantIbLb1EES18_IbLb0EEEEDaS14_S15_EUlS14_E_NS1_11comp_targetILNS1_3genE0ELNS1_11target_archE4294967295ELNS1_3gpuE0ELNS1_3repE0EEENS1_30default_config_static_selectorELNS0_4arch9wavefront6targetE1EEEvT1_,comdat
	.protected	_ZN7rocprim17ROCPRIM_400000_NS6detail17trampoline_kernelINS0_14default_configENS1_25partition_config_selectorILNS1_17partition_subalgoE1ExNS0_10empty_typeEbEEZZNS1_14partition_implILS5_1ELb0ES3_jN6thrust23THRUST_200600_302600_NS6detail15normal_iteratorINSA_10device_ptrIxEEEEPS6_NSA_18transform_iteratorINSA_8identityIxEESF_NSA_11use_defaultESK_EENS0_5tupleIJSF_SF_EEENSM_IJSG_SG_EEES6_PlJS6_EEE10hipError_tPvRmT3_T4_T5_T6_T7_T9_mT8_P12ihipStream_tbDpT10_ENKUlT_T0_E_clISt17integral_constantIbLb1EES18_IbLb0EEEEDaS14_S15_EUlS14_E_NS1_11comp_targetILNS1_3genE0ELNS1_11target_archE4294967295ELNS1_3gpuE0ELNS1_3repE0EEENS1_30default_config_static_selectorELNS0_4arch9wavefront6targetE1EEEvT1_ ; -- Begin function _ZN7rocprim17ROCPRIM_400000_NS6detail17trampoline_kernelINS0_14default_configENS1_25partition_config_selectorILNS1_17partition_subalgoE1ExNS0_10empty_typeEbEEZZNS1_14partition_implILS5_1ELb0ES3_jN6thrust23THRUST_200600_302600_NS6detail15normal_iteratorINSA_10device_ptrIxEEEEPS6_NSA_18transform_iteratorINSA_8identityIxEESF_NSA_11use_defaultESK_EENS0_5tupleIJSF_SF_EEENSM_IJSG_SG_EEES6_PlJS6_EEE10hipError_tPvRmT3_T4_T5_T6_T7_T9_mT8_P12ihipStream_tbDpT10_ENKUlT_T0_E_clISt17integral_constantIbLb1EES18_IbLb0EEEEDaS14_S15_EUlS14_E_NS1_11comp_targetILNS1_3genE0ELNS1_11target_archE4294967295ELNS1_3gpuE0ELNS1_3repE0EEENS1_30default_config_static_selectorELNS0_4arch9wavefront6targetE1EEEvT1_
	.globl	_ZN7rocprim17ROCPRIM_400000_NS6detail17trampoline_kernelINS0_14default_configENS1_25partition_config_selectorILNS1_17partition_subalgoE1ExNS0_10empty_typeEbEEZZNS1_14partition_implILS5_1ELb0ES3_jN6thrust23THRUST_200600_302600_NS6detail15normal_iteratorINSA_10device_ptrIxEEEEPS6_NSA_18transform_iteratorINSA_8identityIxEESF_NSA_11use_defaultESK_EENS0_5tupleIJSF_SF_EEENSM_IJSG_SG_EEES6_PlJS6_EEE10hipError_tPvRmT3_T4_T5_T6_T7_T9_mT8_P12ihipStream_tbDpT10_ENKUlT_T0_E_clISt17integral_constantIbLb1EES18_IbLb0EEEEDaS14_S15_EUlS14_E_NS1_11comp_targetILNS1_3genE0ELNS1_11target_archE4294967295ELNS1_3gpuE0ELNS1_3repE0EEENS1_30default_config_static_selectorELNS0_4arch9wavefront6targetE1EEEvT1_
	.p2align	8
	.type	_ZN7rocprim17ROCPRIM_400000_NS6detail17trampoline_kernelINS0_14default_configENS1_25partition_config_selectorILNS1_17partition_subalgoE1ExNS0_10empty_typeEbEEZZNS1_14partition_implILS5_1ELb0ES3_jN6thrust23THRUST_200600_302600_NS6detail15normal_iteratorINSA_10device_ptrIxEEEEPS6_NSA_18transform_iteratorINSA_8identityIxEESF_NSA_11use_defaultESK_EENS0_5tupleIJSF_SF_EEENSM_IJSG_SG_EEES6_PlJS6_EEE10hipError_tPvRmT3_T4_T5_T6_T7_T9_mT8_P12ihipStream_tbDpT10_ENKUlT_T0_E_clISt17integral_constantIbLb1EES18_IbLb0EEEEDaS14_S15_EUlS14_E_NS1_11comp_targetILNS1_3genE0ELNS1_11target_archE4294967295ELNS1_3gpuE0ELNS1_3repE0EEENS1_30default_config_static_selectorELNS0_4arch9wavefront6targetE1EEEvT1_,@function
_ZN7rocprim17ROCPRIM_400000_NS6detail17trampoline_kernelINS0_14default_configENS1_25partition_config_selectorILNS1_17partition_subalgoE1ExNS0_10empty_typeEbEEZZNS1_14partition_implILS5_1ELb0ES3_jN6thrust23THRUST_200600_302600_NS6detail15normal_iteratorINSA_10device_ptrIxEEEEPS6_NSA_18transform_iteratorINSA_8identityIxEESF_NSA_11use_defaultESK_EENS0_5tupleIJSF_SF_EEENSM_IJSG_SG_EEES6_PlJS6_EEE10hipError_tPvRmT3_T4_T5_T6_T7_T9_mT8_P12ihipStream_tbDpT10_ENKUlT_T0_E_clISt17integral_constantIbLb1EES18_IbLb0EEEEDaS14_S15_EUlS14_E_NS1_11comp_targetILNS1_3genE0ELNS1_11target_archE4294967295ELNS1_3gpuE0ELNS1_3repE0EEENS1_30default_config_static_selectorELNS0_4arch9wavefront6targetE1EEEvT1_: ; @_ZN7rocprim17ROCPRIM_400000_NS6detail17trampoline_kernelINS0_14default_configENS1_25partition_config_selectorILNS1_17partition_subalgoE1ExNS0_10empty_typeEbEEZZNS1_14partition_implILS5_1ELb0ES3_jN6thrust23THRUST_200600_302600_NS6detail15normal_iteratorINSA_10device_ptrIxEEEEPS6_NSA_18transform_iteratorINSA_8identityIxEESF_NSA_11use_defaultESK_EENS0_5tupleIJSF_SF_EEENSM_IJSG_SG_EEES6_PlJS6_EEE10hipError_tPvRmT3_T4_T5_T6_T7_T9_mT8_P12ihipStream_tbDpT10_ENKUlT_T0_E_clISt17integral_constantIbLb1EES18_IbLb0EEEEDaS14_S15_EUlS14_E_NS1_11comp_targetILNS1_3genE0ELNS1_11target_archE4294967295ELNS1_3gpuE0ELNS1_3repE0EEENS1_30default_config_static_selectorELNS0_4arch9wavefront6targetE1EEEvT1_
; %bb.0:
	.section	.rodata,"a",@progbits
	.p2align	6, 0x0
	.amdhsa_kernel _ZN7rocprim17ROCPRIM_400000_NS6detail17trampoline_kernelINS0_14default_configENS1_25partition_config_selectorILNS1_17partition_subalgoE1ExNS0_10empty_typeEbEEZZNS1_14partition_implILS5_1ELb0ES3_jN6thrust23THRUST_200600_302600_NS6detail15normal_iteratorINSA_10device_ptrIxEEEEPS6_NSA_18transform_iteratorINSA_8identityIxEESF_NSA_11use_defaultESK_EENS0_5tupleIJSF_SF_EEENSM_IJSG_SG_EEES6_PlJS6_EEE10hipError_tPvRmT3_T4_T5_T6_T7_T9_mT8_P12ihipStream_tbDpT10_ENKUlT_T0_E_clISt17integral_constantIbLb1EES18_IbLb0EEEEDaS14_S15_EUlS14_E_NS1_11comp_targetILNS1_3genE0ELNS1_11target_archE4294967295ELNS1_3gpuE0ELNS1_3repE0EEENS1_30default_config_static_selectorELNS0_4arch9wavefront6targetE1EEEvT1_
		.amdhsa_group_segment_fixed_size 0
		.amdhsa_private_segment_fixed_size 0
		.amdhsa_kernarg_size 128
		.amdhsa_user_sgpr_count 2
		.amdhsa_user_sgpr_dispatch_ptr 0
		.amdhsa_user_sgpr_queue_ptr 0
		.amdhsa_user_sgpr_kernarg_segment_ptr 1
		.amdhsa_user_sgpr_dispatch_id 0
		.amdhsa_user_sgpr_kernarg_preload_length 0
		.amdhsa_user_sgpr_kernarg_preload_offset 0
		.amdhsa_user_sgpr_private_segment_size 0
		.amdhsa_uses_dynamic_stack 0
		.amdhsa_enable_private_segment 0
		.amdhsa_system_sgpr_workgroup_id_x 1
		.amdhsa_system_sgpr_workgroup_id_y 0
		.amdhsa_system_sgpr_workgroup_id_z 0
		.amdhsa_system_sgpr_workgroup_info 0
		.amdhsa_system_vgpr_workitem_id 0
		.amdhsa_next_free_vgpr 1
		.amdhsa_next_free_sgpr 0
		.amdhsa_accum_offset 4
		.amdhsa_reserve_vcc 0
		.amdhsa_float_round_mode_32 0
		.amdhsa_float_round_mode_16_64 0
		.amdhsa_float_denorm_mode_32 3
		.amdhsa_float_denorm_mode_16_64 3
		.amdhsa_dx10_clamp 1
		.amdhsa_ieee_mode 1
		.amdhsa_fp16_overflow 0
		.amdhsa_tg_split 0
		.amdhsa_exception_fp_ieee_invalid_op 0
		.amdhsa_exception_fp_denorm_src 0
		.amdhsa_exception_fp_ieee_div_zero 0
		.amdhsa_exception_fp_ieee_overflow 0
		.amdhsa_exception_fp_ieee_underflow 0
		.amdhsa_exception_fp_ieee_inexact 0
		.amdhsa_exception_int_div_zero 0
	.end_amdhsa_kernel
	.section	.text._ZN7rocprim17ROCPRIM_400000_NS6detail17trampoline_kernelINS0_14default_configENS1_25partition_config_selectorILNS1_17partition_subalgoE1ExNS0_10empty_typeEbEEZZNS1_14partition_implILS5_1ELb0ES3_jN6thrust23THRUST_200600_302600_NS6detail15normal_iteratorINSA_10device_ptrIxEEEEPS6_NSA_18transform_iteratorINSA_8identityIxEESF_NSA_11use_defaultESK_EENS0_5tupleIJSF_SF_EEENSM_IJSG_SG_EEES6_PlJS6_EEE10hipError_tPvRmT3_T4_T5_T6_T7_T9_mT8_P12ihipStream_tbDpT10_ENKUlT_T0_E_clISt17integral_constantIbLb1EES18_IbLb0EEEEDaS14_S15_EUlS14_E_NS1_11comp_targetILNS1_3genE0ELNS1_11target_archE4294967295ELNS1_3gpuE0ELNS1_3repE0EEENS1_30default_config_static_selectorELNS0_4arch9wavefront6targetE1EEEvT1_,"axG",@progbits,_ZN7rocprim17ROCPRIM_400000_NS6detail17trampoline_kernelINS0_14default_configENS1_25partition_config_selectorILNS1_17partition_subalgoE1ExNS0_10empty_typeEbEEZZNS1_14partition_implILS5_1ELb0ES3_jN6thrust23THRUST_200600_302600_NS6detail15normal_iteratorINSA_10device_ptrIxEEEEPS6_NSA_18transform_iteratorINSA_8identityIxEESF_NSA_11use_defaultESK_EENS0_5tupleIJSF_SF_EEENSM_IJSG_SG_EEES6_PlJS6_EEE10hipError_tPvRmT3_T4_T5_T6_T7_T9_mT8_P12ihipStream_tbDpT10_ENKUlT_T0_E_clISt17integral_constantIbLb1EES18_IbLb0EEEEDaS14_S15_EUlS14_E_NS1_11comp_targetILNS1_3genE0ELNS1_11target_archE4294967295ELNS1_3gpuE0ELNS1_3repE0EEENS1_30default_config_static_selectorELNS0_4arch9wavefront6targetE1EEEvT1_,comdat
.Lfunc_end593:
	.size	_ZN7rocprim17ROCPRIM_400000_NS6detail17trampoline_kernelINS0_14default_configENS1_25partition_config_selectorILNS1_17partition_subalgoE1ExNS0_10empty_typeEbEEZZNS1_14partition_implILS5_1ELb0ES3_jN6thrust23THRUST_200600_302600_NS6detail15normal_iteratorINSA_10device_ptrIxEEEEPS6_NSA_18transform_iteratorINSA_8identityIxEESF_NSA_11use_defaultESK_EENS0_5tupleIJSF_SF_EEENSM_IJSG_SG_EEES6_PlJS6_EEE10hipError_tPvRmT3_T4_T5_T6_T7_T9_mT8_P12ihipStream_tbDpT10_ENKUlT_T0_E_clISt17integral_constantIbLb1EES18_IbLb0EEEEDaS14_S15_EUlS14_E_NS1_11comp_targetILNS1_3genE0ELNS1_11target_archE4294967295ELNS1_3gpuE0ELNS1_3repE0EEENS1_30default_config_static_selectorELNS0_4arch9wavefront6targetE1EEEvT1_, .Lfunc_end593-_ZN7rocprim17ROCPRIM_400000_NS6detail17trampoline_kernelINS0_14default_configENS1_25partition_config_selectorILNS1_17partition_subalgoE1ExNS0_10empty_typeEbEEZZNS1_14partition_implILS5_1ELb0ES3_jN6thrust23THRUST_200600_302600_NS6detail15normal_iteratorINSA_10device_ptrIxEEEEPS6_NSA_18transform_iteratorINSA_8identityIxEESF_NSA_11use_defaultESK_EENS0_5tupleIJSF_SF_EEENSM_IJSG_SG_EEES6_PlJS6_EEE10hipError_tPvRmT3_T4_T5_T6_T7_T9_mT8_P12ihipStream_tbDpT10_ENKUlT_T0_E_clISt17integral_constantIbLb1EES18_IbLb0EEEEDaS14_S15_EUlS14_E_NS1_11comp_targetILNS1_3genE0ELNS1_11target_archE4294967295ELNS1_3gpuE0ELNS1_3repE0EEENS1_30default_config_static_selectorELNS0_4arch9wavefront6targetE1EEEvT1_
                                        ; -- End function
	.section	.AMDGPU.csdata,"",@progbits
; Kernel info:
; codeLenInByte = 0
; NumSgprs: 6
; NumVgprs: 0
; NumAgprs: 0
; TotalNumVgprs: 0
; ScratchSize: 0
; MemoryBound: 0
; FloatMode: 240
; IeeeMode: 1
; LDSByteSize: 0 bytes/workgroup (compile time only)
; SGPRBlocks: 0
; VGPRBlocks: 0
; NumSGPRsForWavesPerEU: 6
; NumVGPRsForWavesPerEU: 1
; AccumOffset: 4
; Occupancy: 8
; WaveLimiterHint : 0
; COMPUTE_PGM_RSRC2:SCRATCH_EN: 0
; COMPUTE_PGM_RSRC2:USER_SGPR: 2
; COMPUTE_PGM_RSRC2:TRAP_HANDLER: 0
; COMPUTE_PGM_RSRC2:TGID_X_EN: 1
; COMPUTE_PGM_RSRC2:TGID_Y_EN: 0
; COMPUTE_PGM_RSRC2:TGID_Z_EN: 0
; COMPUTE_PGM_RSRC2:TIDIG_COMP_CNT: 0
; COMPUTE_PGM_RSRC3_GFX90A:ACCUM_OFFSET: 0
; COMPUTE_PGM_RSRC3_GFX90A:TG_SPLIT: 0
	.section	.text._ZN7rocprim17ROCPRIM_400000_NS6detail17trampoline_kernelINS0_14default_configENS1_25partition_config_selectorILNS1_17partition_subalgoE1ExNS0_10empty_typeEbEEZZNS1_14partition_implILS5_1ELb0ES3_jN6thrust23THRUST_200600_302600_NS6detail15normal_iteratorINSA_10device_ptrIxEEEEPS6_NSA_18transform_iteratorINSA_8identityIxEESF_NSA_11use_defaultESK_EENS0_5tupleIJSF_SF_EEENSM_IJSG_SG_EEES6_PlJS6_EEE10hipError_tPvRmT3_T4_T5_T6_T7_T9_mT8_P12ihipStream_tbDpT10_ENKUlT_T0_E_clISt17integral_constantIbLb1EES18_IbLb0EEEEDaS14_S15_EUlS14_E_NS1_11comp_targetILNS1_3genE5ELNS1_11target_archE942ELNS1_3gpuE9ELNS1_3repE0EEENS1_30default_config_static_selectorELNS0_4arch9wavefront6targetE1EEEvT1_,"axG",@progbits,_ZN7rocprim17ROCPRIM_400000_NS6detail17trampoline_kernelINS0_14default_configENS1_25partition_config_selectorILNS1_17partition_subalgoE1ExNS0_10empty_typeEbEEZZNS1_14partition_implILS5_1ELb0ES3_jN6thrust23THRUST_200600_302600_NS6detail15normal_iteratorINSA_10device_ptrIxEEEEPS6_NSA_18transform_iteratorINSA_8identityIxEESF_NSA_11use_defaultESK_EENS0_5tupleIJSF_SF_EEENSM_IJSG_SG_EEES6_PlJS6_EEE10hipError_tPvRmT3_T4_T5_T6_T7_T9_mT8_P12ihipStream_tbDpT10_ENKUlT_T0_E_clISt17integral_constantIbLb1EES18_IbLb0EEEEDaS14_S15_EUlS14_E_NS1_11comp_targetILNS1_3genE5ELNS1_11target_archE942ELNS1_3gpuE9ELNS1_3repE0EEENS1_30default_config_static_selectorELNS0_4arch9wavefront6targetE1EEEvT1_,comdat
	.protected	_ZN7rocprim17ROCPRIM_400000_NS6detail17trampoline_kernelINS0_14default_configENS1_25partition_config_selectorILNS1_17partition_subalgoE1ExNS0_10empty_typeEbEEZZNS1_14partition_implILS5_1ELb0ES3_jN6thrust23THRUST_200600_302600_NS6detail15normal_iteratorINSA_10device_ptrIxEEEEPS6_NSA_18transform_iteratorINSA_8identityIxEESF_NSA_11use_defaultESK_EENS0_5tupleIJSF_SF_EEENSM_IJSG_SG_EEES6_PlJS6_EEE10hipError_tPvRmT3_T4_T5_T6_T7_T9_mT8_P12ihipStream_tbDpT10_ENKUlT_T0_E_clISt17integral_constantIbLb1EES18_IbLb0EEEEDaS14_S15_EUlS14_E_NS1_11comp_targetILNS1_3genE5ELNS1_11target_archE942ELNS1_3gpuE9ELNS1_3repE0EEENS1_30default_config_static_selectorELNS0_4arch9wavefront6targetE1EEEvT1_ ; -- Begin function _ZN7rocprim17ROCPRIM_400000_NS6detail17trampoline_kernelINS0_14default_configENS1_25partition_config_selectorILNS1_17partition_subalgoE1ExNS0_10empty_typeEbEEZZNS1_14partition_implILS5_1ELb0ES3_jN6thrust23THRUST_200600_302600_NS6detail15normal_iteratorINSA_10device_ptrIxEEEEPS6_NSA_18transform_iteratorINSA_8identityIxEESF_NSA_11use_defaultESK_EENS0_5tupleIJSF_SF_EEENSM_IJSG_SG_EEES6_PlJS6_EEE10hipError_tPvRmT3_T4_T5_T6_T7_T9_mT8_P12ihipStream_tbDpT10_ENKUlT_T0_E_clISt17integral_constantIbLb1EES18_IbLb0EEEEDaS14_S15_EUlS14_E_NS1_11comp_targetILNS1_3genE5ELNS1_11target_archE942ELNS1_3gpuE9ELNS1_3repE0EEENS1_30default_config_static_selectorELNS0_4arch9wavefront6targetE1EEEvT1_
	.globl	_ZN7rocprim17ROCPRIM_400000_NS6detail17trampoline_kernelINS0_14default_configENS1_25partition_config_selectorILNS1_17partition_subalgoE1ExNS0_10empty_typeEbEEZZNS1_14partition_implILS5_1ELb0ES3_jN6thrust23THRUST_200600_302600_NS6detail15normal_iteratorINSA_10device_ptrIxEEEEPS6_NSA_18transform_iteratorINSA_8identityIxEESF_NSA_11use_defaultESK_EENS0_5tupleIJSF_SF_EEENSM_IJSG_SG_EEES6_PlJS6_EEE10hipError_tPvRmT3_T4_T5_T6_T7_T9_mT8_P12ihipStream_tbDpT10_ENKUlT_T0_E_clISt17integral_constantIbLb1EES18_IbLb0EEEEDaS14_S15_EUlS14_E_NS1_11comp_targetILNS1_3genE5ELNS1_11target_archE942ELNS1_3gpuE9ELNS1_3repE0EEENS1_30default_config_static_selectorELNS0_4arch9wavefront6targetE1EEEvT1_
	.p2align	8
	.type	_ZN7rocprim17ROCPRIM_400000_NS6detail17trampoline_kernelINS0_14default_configENS1_25partition_config_selectorILNS1_17partition_subalgoE1ExNS0_10empty_typeEbEEZZNS1_14partition_implILS5_1ELb0ES3_jN6thrust23THRUST_200600_302600_NS6detail15normal_iteratorINSA_10device_ptrIxEEEEPS6_NSA_18transform_iteratorINSA_8identityIxEESF_NSA_11use_defaultESK_EENS0_5tupleIJSF_SF_EEENSM_IJSG_SG_EEES6_PlJS6_EEE10hipError_tPvRmT3_T4_T5_T6_T7_T9_mT8_P12ihipStream_tbDpT10_ENKUlT_T0_E_clISt17integral_constantIbLb1EES18_IbLb0EEEEDaS14_S15_EUlS14_E_NS1_11comp_targetILNS1_3genE5ELNS1_11target_archE942ELNS1_3gpuE9ELNS1_3repE0EEENS1_30default_config_static_selectorELNS0_4arch9wavefront6targetE1EEEvT1_,@function
_ZN7rocprim17ROCPRIM_400000_NS6detail17trampoline_kernelINS0_14default_configENS1_25partition_config_selectorILNS1_17partition_subalgoE1ExNS0_10empty_typeEbEEZZNS1_14partition_implILS5_1ELb0ES3_jN6thrust23THRUST_200600_302600_NS6detail15normal_iteratorINSA_10device_ptrIxEEEEPS6_NSA_18transform_iteratorINSA_8identityIxEESF_NSA_11use_defaultESK_EENS0_5tupleIJSF_SF_EEENSM_IJSG_SG_EEES6_PlJS6_EEE10hipError_tPvRmT3_T4_T5_T6_T7_T9_mT8_P12ihipStream_tbDpT10_ENKUlT_T0_E_clISt17integral_constantIbLb1EES18_IbLb0EEEEDaS14_S15_EUlS14_E_NS1_11comp_targetILNS1_3genE5ELNS1_11target_archE942ELNS1_3gpuE9ELNS1_3repE0EEENS1_30default_config_static_selectorELNS0_4arch9wavefront6targetE1EEEvT1_: ; @_ZN7rocprim17ROCPRIM_400000_NS6detail17trampoline_kernelINS0_14default_configENS1_25partition_config_selectorILNS1_17partition_subalgoE1ExNS0_10empty_typeEbEEZZNS1_14partition_implILS5_1ELb0ES3_jN6thrust23THRUST_200600_302600_NS6detail15normal_iteratorINSA_10device_ptrIxEEEEPS6_NSA_18transform_iteratorINSA_8identityIxEESF_NSA_11use_defaultESK_EENS0_5tupleIJSF_SF_EEENSM_IJSG_SG_EEES6_PlJS6_EEE10hipError_tPvRmT3_T4_T5_T6_T7_T9_mT8_P12ihipStream_tbDpT10_ENKUlT_T0_E_clISt17integral_constantIbLb1EES18_IbLb0EEEEDaS14_S15_EUlS14_E_NS1_11comp_targetILNS1_3genE5ELNS1_11target_archE942ELNS1_3gpuE9ELNS1_3repE0EEENS1_30default_config_static_selectorELNS0_4arch9wavefront6targetE1EEEvT1_
; %bb.0:
	s_load_dwordx2 s[4:5], s[0:1], 0x60
	s_load_dwordx4 s[24:27], s[0:1], 0x8
	s_load_dwordx2 s[6:7], s[0:1], 0x20
	s_load_dwordx4 s[20:23], s[0:1], 0x50
	s_load_dword s3, s[0:1], 0x78
	s_waitcnt lgkmcnt(0)
	v_mov_b32_e32 v3, s5
	s_lshl_b64 s[8:9], s[26:27], 3
	s_add_u32 s12, s24, s8
	s_addc_u32 s13, s25, s9
	s_add_i32 s14, s3, -1
	s_mulk_i32 s3, 0xe00
	s_add_i32 s5, s3, s26
	s_sub_i32 s33, s4, s5
	s_addk_i32 s33, 0xe00
	v_mov_b32_e32 v2, s4
	s_add_u32 s4, s26, s3
	s_addc_u32 s5, s27, 0
	s_cmp_eq_u32 s2, s14
	s_load_dwordx2 s[28:29], s[22:23], 0x0
	s_cselect_b64 s[22:23], -1, 0
	s_cmp_lg_u32 s2, s14
	s_mul_i32 s10, s2, 0xe00
	s_mov_b32 s11, 0
	v_cmp_lt_u64_e32 vcc, s[4:5], v[2:3]
	s_cselect_b64 s[4:5], -1, 0
	s_or_b64 s[24:25], s[4:5], vcc
	s_lshl_b64 s[30:31], s[10:11], 3
	s_add_u32 s10, s12, s30
	s_addc_u32 s11, s13, s31
	s_mov_b64 s[4:5], -1
	s_and_b64 vcc, exec, s[24:25]
	v_lshlrev_b32_e32 v18, 3, v0
	s_cbranch_vccz .LBB594_2
; %bb.1:
	v_mov_b32_e32 v19, 0
	v_lshl_add_u64 v[2:3], s[10:11], 0, v[18:19]
	v_add_co_u32_e32 v4, vcc, 0x1000, v2
	s_mov_b64 s[4:5], 0
	s_nop 0
	v_addc_co_u32_e32 v5, vcc, 0, v3, vcc
	v_add_co_u32_e32 v6, vcc, 0x2000, v2
	s_nop 1
	v_addc_co_u32_e32 v7, vcc, 0, v3, vcc
	v_add_co_u32_e32 v8, vcc, 0x3000, v2
	s_nop 1
	v_addc_co_u32_e32 v9, vcc, 0, v3, vcc
	flat_load_dwordx2 v[10:11], v[2:3]
	flat_load_dwordx2 v[12:13], v[4:5]
	;; [unrolled: 1-line block ×4, first 2 shown]
	v_add_co_u32_e32 v4, vcc, 0x4000, v2
	s_nop 1
	v_addc_co_u32_e32 v5, vcc, 0, v3, vcc
	v_add_co_u32_e32 v6, vcc, 0x5000, v2
	s_nop 1
	v_addc_co_u32_e32 v7, vcc, 0, v3, vcc
	v_add_co_u32_e32 v2, vcc, 0x6000, v2
	s_nop 1
	v_addc_co_u32_e32 v3, vcc, 0, v3, vcc
	flat_load_dwordx2 v[8:9], v[4:5]
	flat_load_dwordx2 v[20:21], v[6:7]
	;; [unrolled: 1-line block ×3, first 2 shown]
	s_waitcnt vmcnt(0) lgkmcnt(0)
	ds_write2st64_b64 v18, v[10:11], v[12:13] offset1:8
	ds_write2st64_b64 v18, v[14:15], v[16:17] offset0:16 offset1:24
	ds_write2st64_b64 v18, v[8:9], v[20:21] offset0:32 offset1:40
	ds_write_b64 v18, v[22:23] offset:24576
	s_waitcnt lgkmcnt(0)
	s_barrier
.LBB594_2:
	s_andn2_b64 vcc, exec, s[4:5]
	v_cmp_gt_u32_e64 s[4:5], s33, v0
	s_cbranch_vccnz .LBB594_18
; %bb.3:
                                        ; implicit-def: $vgpr2_vgpr3_vgpr4_vgpr5_vgpr6_vgpr7_vgpr8_vgpr9_vgpr10_vgpr11_vgpr12_vgpr13_vgpr14_vgpr15_vgpr16_vgpr17
	s_and_saveexec_b64 s[12:13], s[4:5]
	s_cbranch_execz .LBB594_5
; %bb.4:
	v_mov_b32_e32 v19, 0
	v_lshl_add_u64 v[2:3], s[10:11], 0, v[18:19]
	flat_load_dwordx2 v[2:3], v[2:3]
.LBB594_5:
	s_or_b64 exec, exec, s[12:13]
	v_or_b32_e32 v1, 0x200, v0
	v_cmp_gt_u32_e32 vcc, s33, v1
	s_and_saveexec_b64 s[4:5], vcc
	s_cbranch_execz .LBB594_7
; %bb.6:
	v_lshlrev_b32_e32 v4, 3, v1
	v_mov_b32_e32 v5, 0
	v_lshl_add_u64 v[4:5], s[10:11], 0, v[4:5]
	flat_load_dwordx2 v[4:5], v[4:5]
.LBB594_7:
	s_or_b64 exec, exec, s[4:5]
	v_or_b32_e32 v1, 0x400, v0
	v_cmp_gt_u32_e32 vcc, s33, v1
	s_and_saveexec_b64 s[4:5], vcc
	s_cbranch_execz .LBB594_9
; %bb.8:
	v_lshlrev_b32_e32 v6, 3, v1
	v_mov_b32_e32 v7, 0
	v_lshl_add_u64 v[6:7], s[10:11], 0, v[6:7]
	flat_load_dwordx2 v[6:7], v[6:7]
.LBB594_9:
	;; [unrolled: 11-line block ×6, first 2 shown]
	s_or_b64 exec, exec, s[4:5]
	s_waitcnt vmcnt(0) lgkmcnt(0)
	ds_write2st64_b64 v18, v[2:3], v[4:5] offset1:8
	ds_write2st64_b64 v18, v[6:7], v[8:9] offset0:16 offset1:24
	ds_write2st64_b64 v18, v[10:11], v[12:13] offset0:32 offset1:40
	ds_write_b64 v18, v[14:15] offset:24576
	s_waitcnt lgkmcnt(0)
	s_barrier
.LBB594_18:
	v_mul_u32_u24_e32 v1, 7, v0
	v_lshlrev_b32_e32 v16, 3, v1
	s_waitcnt lgkmcnt(0)
	ds_read2_b64 v[10:13], v16 offset1:1
	ds_read2_b64 v[6:9], v16 offset0:2 offset1:3
	ds_read2_b64 v[2:5], v16 offset0:4 offset1:5
	ds_read_b64 v[14:15], v16 offset:48
	s_add_u32 s3, s6, s8
	s_addc_u32 s5, s7, s9
	s_add_u32 s4, s3, s30
	s_addc_u32 s5, s5, s31
	s_mov_b64 s[6:7], -1
	s_and_b64 vcc, exec, s[24:25]
	s_waitcnt lgkmcnt(0)
	s_barrier
	s_cbranch_vccz .LBB594_20
; %bb.19:
	v_mov_b32_e32 v19, 0
	v_lshl_add_u64 v[20:21], s[4:5], 0, v[18:19]
	v_add_co_u32_e32 v24, vcc, 0x1000, v20
	global_load_dwordx2 v[22:23], v18, s[4:5]
	s_nop 0
	v_addc_co_u32_e32 v25, vcc, 0, v21, vcc
	v_add_co_u32_e32 v26, vcc, 0x2000, v20
	s_mov_b64 s[6:7], 0
	s_nop 0
	v_addc_co_u32_e32 v27, vcc, 0, v21, vcc
	v_add_co_u32_e32 v28, vcc, 0x3000, v20
	s_nop 1
	v_addc_co_u32_e32 v29, vcc, 0, v21, vcc
	v_add_co_u32_e32 v30, vcc, 0x4000, v20
	s_nop 1
	v_addc_co_u32_e32 v31, vcc, 0, v21, vcc
	global_load_dwordx2 v[32:33], v[24:25], off
	global_load_dwordx2 v[34:35], v[26:27], off
	;; [unrolled: 1-line block ×4, first 2 shown]
	v_add_co_u32_e32 v24, vcc, 0x5000, v20
	s_nop 1
	v_addc_co_u32_e32 v25, vcc, 0, v21, vcc
	v_add_co_u32_e32 v20, vcc, 0x6000, v20
	global_load_dwordx2 v[24:25], v[24:25], off
	s_nop 0
	v_addc_co_u32_e32 v21, vcc, 0, v21, vcc
	global_load_dwordx2 v[20:21], v[20:21], off
	s_waitcnt vmcnt(6)
	v_cmp_ne_u64_e32 vcc, 0, v[22:23]
	s_nop 1
	v_cndmask_b32_e64 v17, 0, 1, vcc
	ds_write_b8 v0, v17
	s_waitcnt vmcnt(5)
	v_cmp_ne_u64_e32 vcc, 0, v[32:33]
	s_nop 1
	v_cndmask_b32_e64 v17, 0, 1, vcc
	s_waitcnt vmcnt(4)
	v_cmp_ne_u64_e32 vcc, 0, v[34:35]
	ds_write_b8 v0, v17 offset:512
	s_nop 0
	v_cndmask_b32_e64 v19, 0, 1, vcc
	s_waitcnt vmcnt(3)
	v_cmp_ne_u64_e32 vcc, 0, v[36:37]
	ds_write_b8 v0, v19 offset:1024
	;; [unrolled: 5-line block ×4, first 2 shown]
	s_nop 0
	v_cndmask_b32_e64 v17, 0, 1, vcc
	s_waitcnt vmcnt(0)
	v_cmp_ne_u64_e32 vcc, 0, v[20:21]
	s_nop 1
	v_cndmask_b32_e64 v19, 0, 1, vcc
	ds_write_b8 v0, v17 offset:2560
	ds_write_b8 v0, v19 offset:3072
	s_waitcnt lgkmcnt(0)
	s_barrier
.LBB594_20:
	s_load_dwordx2 s[34:35], s[0:1], 0x70
	s_andn2_b64 vcc, exec, s[6:7]
	s_cbranch_vccnz .LBB594_36
; %bb.21:
	v_cmp_gt_u32_e32 vcc, s33, v0
	v_mov_b32_e32 v17, 0
	v_mov_b32_e32 v19, 0
	s_and_saveexec_b64 s[6:7], vcc
	s_cbranch_execz .LBB594_23
; %bb.22:
	global_load_dwordx2 v[20:21], v18, s[4:5]
	s_waitcnt vmcnt(0)
	v_cmp_ne_u64_e32 vcc, 0, v[20:21]
	s_nop 1
	v_cndmask_b32_e64 v19, 0, 1, vcc
.LBB594_23:
	s_or_b64 exec, exec, s[6:7]
	v_or_b32_e32 v20, 0x200, v0
	v_cmp_gt_u32_e32 vcc, s33, v20
	s_and_saveexec_b64 s[6:7], vcc
	s_cbranch_execz .LBB594_25
; %bb.24:
	v_lshlrev_b32_e32 v17, 3, v20
	global_load_dwordx2 v[20:21], v17, s[4:5]
	s_waitcnt vmcnt(0)
	v_cmp_ne_u64_e32 vcc, 0, v[20:21]
	s_nop 1
	v_cndmask_b32_e64 v17, 0, 1, vcc
.LBB594_25:
	s_or_b64 exec, exec, s[6:7]
	v_or_b32_e32 v22, 0x400, v0
	v_cmp_gt_u32_e32 vcc, s33, v22
	v_mov_b32_e32 v20, 0
	v_mov_b32_e32 v21, 0
	s_and_saveexec_b64 s[6:7], vcc
	s_cbranch_execz .LBB594_27
; %bb.26:
	v_lshlrev_b32_e32 v21, 3, v22
	global_load_dwordx2 v[22:23], v21, s[4:5]
	s_waitcnt vmcnt(0)
	v_cmp_ne_u64_e32 vcc, 0, v[22:23]
	s_nop 1
	v_cndmask_b32_e64 v21, 0, 1, vcc
.LBB594_27:
	s_or_b64 exec, exec, s[6:7]
	v_or_b32_e32 v22, 0x600, v0
	v_cmp_gt_u32_e32 vcc, s33, v22
	s_and_saveexec_b64 s[6:7], vcc
	s_cbranch_execz .LBB594_29
; %bb.28:
	v_lshlrev_b32_e32 v20, 3, v22
	global_load_dwordx2 v[22:23], v20, s[4:5]
	s_waitcnt vmcnt(0)
	v_cmp_ne_u64_e32 vcc, 0, v[22:23]
	s_nop 1
	v_cndmask_b32_e64 v20, 0, 1, vcc
.LBB594_29:
	s_or_b64 exec, exec, s[6:7]
	v_or_b32_e32 v24, 0x800, v0
	v_cmp_gt_u32_e32 vcc, s33, v24
	v_mov_b32_e32 v22, 0
	v_mov_b32_e32 v23, 0
	s_and_saveexec_b64 s[6:7], vcc
	s_cbranch_execz .LBB594_31
; %bb.30:
	v_lshlrev_b32_e32 v23, 3, v24
	global_load_dwordx2 v[24:25], v23, s[4:5]
	s_waitcnt vmcnt(0)
	v_cmp_ne_u64_e32 vcc, 0, v[24:25]
	s_nop 1
	v_cndmask_b32_e64 v23, 0, 1, vcc
.LBB594_31:
	s_or_b64 exec, exec, s[6:7]
	v_or_b32_e32 v24, 0xa00, v0
	v_cmp_gt_u32_e32 vcc, s33, v24
	s_and_saveexec_b64 s[6:7], vcc
	s_cbranch_execz .LBB594_33
; %bb.32:
	v_lshlrev_b32_e32 v22, 3, v24
	global_load_dwordx2 v[24:25], v22, s[4:5]
	s_waitcnt vmcnt(0)
	v_cmp_ne_u64_e32 vcc, 0, v[24:25]
	s_nop 1
	v_cndmask_b32_e64 v22, 0, 1, vcc
.LBB594_33:
	s_or_b64 exec, exec, s[6:7]
	v_or_b32_e32 v25, 0xc00, v0
	v_cmp_gt_u32_e32 vcc, s33, v25
	v_mov_b32_e32 v24, 0
	s_and_saveexec_b64 s[6:7], vcc
	s_cbranch_execz .LBB594_35
; %bb.34:
	v_lshlrev_b32_e32 v24, 3, v25
	global_load_dwordx2 v[24:25], v24, s[4:5]
	s_waitcnt vmcnt(0)
	v_cmp_ne_u64_e32 vcc, 0, v[24:25]
	s_nop 1
	v_cndmask_b32_e64 v24, 0, 1, vcc
.LBB594_35:
	s_or_b64 exec, exec, s[6:7]
	ds_write_b8 v0, v19
	ds_write_b8 v0, v17 offset:512
	ds_write_b8 v0, v21 offset:1024
	;; [unrolled: 1-line block ×6, first 2 shown]
	s_waitcnt lgkmcnt(0)
	s_barrier
.LBB594_36:
	s_movk_i32 s3, 0xffcf
	v_mad_i32_i24 v35, v0, s3, v16
	s_waitcnt lgkmcnt(0)
	ds_read_u8 v16, v35
	ds_read_u8 v17, v35 offset:1
	ds_read_u8 v19, v35 offset:2
	;; [unrolled: 1-line block ×6, first 2 shown]
	s_waitcnt lgkmcnt(6)
	v_and_b32_e32 v33, 1, v16
	s_waitcnt lgkmcnt(5)
	v_and_b32_e32 v32, 1, v17
	s_waitcnt lgkmcnt(4)
	v_and_b32_e32 v31, 1, v19
	s_waitcnt lgkmcnt(3)
	v_and_b32_e32 v30, 1, v20
	s_waitcnt lgkmcnt(2)
	v_and_b32_e32 v29, 1, v21
	v_add3_u32 v16, v32, v33, v31
	s_waitcnt lgkmcnt(1)
	v_and_b32_e32 v28, 1, v22
	s_waitcnt lgkmcnt(0)
	v_and_b32_e32 v19, 1, v23
	v_add3_u32 v16, v16, v30, v29
	v_add3_u32 v37, v16, v28, v19
	v_mbcnt_lo_u32_b32 v16, -1, 0
	v_mbcnt_hi_u32_b32 v34, -1, v16
	v_and_b32_e32 v16, 15, v34
	v_cmp_eq_u32_e64 s[14:15], 0, v16
	v_cmp_lt_u32_e64 s[12:13], 1, v16
	v_cmp_lt_u32_e64 s[10:11], 3, v16
	;; [unrolled: 1-line block ×3, first 2 shown]
	v_and_b32_e32 v16, 16, v34
	v_cmp_eq_u32_e64 s[6:7], 0, v16
	v_or_b32_e32 v16, 63, v0
	s_cmp_lg_u32 s2, 0
	v_cmp_lt_u32_e64 s[18:19], 31, v34
	v_lshrrev_b32_e32 v36, 6, v0
	v_cmp_eq_u32_e64 s[4:5], v16, v0
	s_barrier
	s_cbranch_scc0 .LBB594_67
; %bb.37:
	v_mov_b32_dpp v16, v37 row_shr:1 row_mask:0xf bank_mask:0xf
	v_cndmask_b32_e64 v16, v16, 0, s[14:15]
	v_add_u32_e32 v16, v16, v37
	s_nop 1
	v_mov_b32_dpp v17, v16 row_shr:2 row_mask:0xf bank_mask:0xf
	v_cndmask_b32_e64 v17, 0, v17, s[12:13]
	v_add_u32_e32 v16, v16, v17
	s_nop 1
	;; [unrolled: 4-line block ×4, first 2 shown]
	v_mov_b32_dpp v17, v16 row_bcast:15 row_mask:0xf bank_mask:0xf
	v_cndmask_b32_e64 v17, v17, 0, s[6:7]
	v_add_u32_e32 v16, v16, v17
	s_nop 1
	v_mov_b32_dpp v17, v16 row_bcast:31 row_mask:0xf bank_mask:0xf
	v_cndmask_b32_e64 v17, 0, v17, s[18:19]
	v_add_u32_e32 v16, v16, v17
	s_and_saveexec_b64 s[16:17], s[4:5]
	s_cbranch_execz .LBB594_39
; %bb.38:
	v_lshlrev_b32_e32 v17, 2, v36
	ds_write_b32 v17, v16
.LBB594_39:
	s_or_b64 exec, exec, s[16:17]
	v_cmp_gt_u32_e32 vcc, 8, v0
	s_waitcnt lgkmcnt(0)
	s_barrier
	s_and_saveexec_b64 s[16:17], vcc
	s_cbranch_execz .LBB594_41
; %bb.40:
	v_lshlrev_b32_e32 v17, 2, v0
	ds_read_b32 v20, v17
	v_and_b32_e32 v21, 7, v34
	v_cmp_ne_u32_e32 vcc, 0, v21
	s_waitcnt lgkmcnt(0)
	v_mov_b32_dpp v22, v20 row_shr:1 row_mask:0xf bank_mask:0xf
	v_cndmask_b32_e32 v22, 0, v22, vcc
	v_add_u32_e32 v20, v22, v20
	v_cmp_lt_u32_e32 vcc, 1, v21
	s_nop 0
	v_mov_b32_dpp v22, v20 row_shr:2 row_mask:0xf bank_mask:0xf
	v_cndmask_b32_e32 v22, 0, v22, vcc
	v_add_u32_e32 v20, v20, v22
	v_cmp_lt_u32_e32 vcc, 3, v21
	s_nop 0
	v_mov_b32_dpp v22, v20 row_shr:4 row_mask:0xf bank_mask:0xf
	v_cndmask_b32_e32 v21, 0, v22, vcc
	v_add_u32_e32 v20, v20, v21
	ds_write_b32 v17, v20
.LBB594_41:
	s_or_b64 exec, exec, s[16:17]
	v_cmp_gt_u32_e32 vcc, 64, v0
	v_cmp_lt_u32_e64 s[16:17], 63, v0
	s_waitcnt lgkmcnt(0)
	s_barrier
	s_waitcnt lgkmcnt(0)
                                        ; implicit-def: $vgpr38
	s_and_saveexec_b64 s[36:37], s[16:17]
	s_cbranch_execz .LBB594_43
; %bb.42:
	v_lshl_add_u32 v17, v36, 2, -4
	ds_read_b32 v38, v17
	s_waitcnt lgkmcnt(0)
	v_add_u32_e32 v16, v38, v16
.LBB594_43:
	s_or_b64 exec, exec, s[36:37]
	v_add_u32_e32 v17, -1, v34
	v_and_b32_e32 v20, 64, v34
	v_cmp_lt_i32_e64 s[16:17], v17, v20
	s_nop 1
	v_cndmask_b32_e64 v17, v17, v34, s[16:17]
	v_lshlrev_b32_e32 v17, 2, v17
	ds_bpermute_b32 v39, v17, v16
	v_cmp_eq_u32_e64 s[16:17], 0, v34
	s_and_saveexec_b64 s[36:37], vcc
	s_cbranch_execz .LBB594_66
; %bb.44:
	v_mov_b32_e32 v27, 0
	ds_read_b32 v16, v27 offset:28
	s_and_saveexec_b64 s[38:39], s[16:17]
	s_cbranch_execz .LBB594_46
; %bb.45:
	s_add_i32 s40, s2, 64
	s_mov_b32 s41, 0
	s_lshl_b64 s[40:41], s[40:41], 3
	s_add_u32 s40, s34, s40
	v_mov_b32_e32 v17, 1
	s_addc_u32 s41, s35, s41
	s_waitcnt lgkmcnt(0)
	global_store_dwordx2 v27, v[16:17], s[40:41] sc1
.LBB594_46:
	s_or_b64 exec, exec, s[38:39]
	v_xad_u32 v20, v34, -1, s2
	v_add_u32_e32 v26, 64, v20
	v_lshl_add_u64 v[22:23], v[26:27], 3, s[34:35]
	global_load_dwordx2 v[24:25], v[22:23], off sc1
	s_waitcnt vmcnt(0)
	v_cmp_eq_u16_sdwa s[40:41], v25, v27 src0_sel:BYTE_0 src1_sel:DWORD
	s_and_saveexec_b64 s[38:39], s[40:41]
	s_cbranch_execz .LBB594_52
; %bb.47:
	s_mov_b32 s3, 1
	s_mov_b64 s[40:41], 0
	v_mov_b32_e32 v17, 0
.LBB594_48:                             ; =>This Loop Header: Depth=1
                                        ;     Child Loop BB594_49 Depth 2
	s_max_u32 s42, s3, 1
.LBB594_49:                             ;   Parent Loop BB594_48 Depth=1
                                        ; =>  This Inner Loop Header: Depth=2
	s_add_i32 s42, s42, -1
	s_cmp_eq_u32 s42, 0
	s_sleep 1
	s_cbranch_scc0 .LBB594_49
; %bb.50:                               ;   in Loop: Header=BB594_48 Depth=1
	global_load_dwordx2 v[24:25], v[22:23], off sc1
	s_cmp_lt_u32 s3, 32
	s_cselect_b64 s[42:43], -1, 0
	s_cmp_lg_u64 s[42:43], 0
	s_addc_u32 s3, s3, 0
	s_waitcnt vmcnt(0)
	v_cmp_ne_u16_sdwa s[42:43], v25, v17 src0_sel:BYTE_0 src1_sel:DWORD
	s_or_b64 s[40:41], s[42:43], s[40:41]
	s_andn2_b64 exec, exec, s[40:41]
	s_cbranch_execnz .LBB594_48
; %bb.51:
	s_or_b64 exec, exec, s[40:41]
.LBB594_52:
	s_or_b64 exec, exec, s[38:39]
	v_and_b32_e32 v41, 63, v34
	v_mov_b32_e32 v40, 2
	v_cmp_ne_u32_e32 vcc, 63, v41
	v_cmp_eq_u16_sdwa s[38:39], v25, v40 src0_sel:BYTE_0 src1_sel:DWORD
	v_lshlrev_b64 v[22:23], v34, -1
	v_addc_co_u32_e32 v26, vcc, 0, v34, vcc
	v_and_b32_e32 v17, s39, v23
	v_lshlrev_b32_e32 v42, 2, v26
	v_or_b32_e32 v17, 0x80000000, v17
	ds_bpermute_b32 v26, v42, v24
	v_and_b32_e32 v21, s38, v22
	v_ffbl_b32_e32 v17, v17
	v_add_u32_e32 v17, 32, v17
	v_ffbl_b32_e32 v21, v21
	v_min_u32_e32 v17, v21, v17
	v_cmp_lt_u32_e32 vcc, v41, v17
	v_add_u32_e32 v44, 2, v41
	v_add_u32_e32 v46, 4, v41
	s_waitcnt lgkmcnt(0)
	v_cndmask_b32_e32 v21, 0, v26, vcc
	v_cmp_gt_u32_e32 vcc, 62, v41
	v_add_u32_e32 v21, v21, v24
	v_add_u32_e32 v48, 8, v41
	v_cndmask_b32_e64 v24, 0, 1, vcc
	v_lshlrev_b32_e32 v24, 1, v24
	v_add_lshl_u32 v43, v24, v34, 2
	ds_bpermute_b32 v24, v43, v21
	v_cmp_le_u32_e32 vcc, v44, v17
	v_add_u32_e32 v50, 16, v41
	v_add_u32_e32 v52, 32, v41
	s_waitcnt lgkmcnt(0)
	v_cndmask_b32_e32 v24, 0, v24, vcc
	v_cmp_gt_u32_e32 vcc, 60, v41
	v_add_u32_e32 v21, v21, v24
	s_nop 0
	v_cndmask_b32_e64 v24, 0, 1, vcc
	v_lshlrev_b32_e32 v24, 2, v24
	v_add_lshl_u32 v45, v24, v34, 2
	ds_bpermute_b32 v24, v45, v21
	v_cmp_le_u32_e32 vcc, v46, v17
	s_waitcnt lgkmcnt(0)
	s_nop 0
	v_cndmask_b32_e32 v24, 0, v24, vcc
	v_cmp_gt_u32_e32 vcc, 56, v41
	v_add_u32_e32 v21, v21, v24
	s_nop 0
	v_cndmask_b32_e64 v24, 0, 1, vcc
	v_lshlrev_b32_e32 v24, 3, v24
	v_add_lshl_u32 v47, v24, v34, 2
	ds_bpermute_b32 v24, v47, v21
	v_cmp_le_u32_e32 vcc, v48, v17
	s_waitcnt lgkmcnt(0)
	s_nop 0
	;; [unrolled: 11-line block ×4, first 2 shown]
	v_cndmask_b32_e32 v17, 0, v24, vcc
	v_add_u32_e32 v24, v21, v17
	v_mov_b32_e32 v21, 0
	s_branch .LBB594_54
.LBB594_53:                             ;   in Loop: Header=BB594_54 Depth=1
	s_or_b64 exec, exec, s[38:39]
	v_cmp_eq_u16_sdwa s[38:39], v25, v40 src0_sel:BYTE_0 src1_sel:DWORD
	ds_bpermute_b32 v53, v42, v24
	v_subrev_u32_e32 v20, 64, v20
	v_and_b32_e32 v26, s39, v23
	v_or_b32_e32 v26, 0x80000000, v26
	v_and_b32_e32 v27, s38, v22
	v_ffbl_b32_e32 v26, v26
	v_add_u32_e32 v26, 32, v26
	v_ffbl_b32_e32 v27, v27
	v_min_u32_e32 v26, v27, v26
	v_cmp_lt_u32_e32 vcc, v41, v26
	s_waitcnt lgkmcnt(0)
	s_nop 0
	v_cndmask_b32_e32 v27, 0, v53, vcc
	v_add_u32_e32 v24, v27, v24
	ds_bpermute_b32 v27, v43, v24
	v_cmp_le_u32_e32 vcc, v44, v26
	s_waitcnt lgkmcnt(0)
	s_nop 0
	v_cndmask_b32_e32 v27, 0, v27, vcc
	v_add_u32_e32 v24, v24, v27
	ds_bpermute_b32 v27, v45, v24
	v_cmp_le_u32_e32 vcc, v46, v26
	;; [unrolled: 6-line block ×5, first 2 shown]
	s_waitcnt lgkmcnt(0)
	s_nop 0
	v_cndmask_b32_e32 v26, 0, v27, vcc
	v_add3_u32 v24, v26, v17, v24
.LBB594_54:                             ; =>This Loop Header: Depth=1
                                        ;     Child Loop BB594_57 Depth 2
                                        ;       Child Loop BB594_58 Depth 3
	v_cmp_ne_u16_sdwa s[38:39], v25, v40 src0_sel:BYTE_0 src1_sel:DWORD
	s_nop 1
	v_cndmask_b32_e64 v17, 0, 1, s[38:39]
	;;#ASMSTART
	;;#ASMEND
	s_nop 0
	v_cmp_ne_u32_e32 vcc, 0, v17
	s_cmp_lg_u64 vcc, exec
	v_mov_b32_e32 v17, v24
	s_cbranch_scc1 .LBB594_61
; %bb.55:                               ;   in Loop: Header=BB594_54 Depth=1
	v_lshl_add_u64 v[26:27], v[20:21], 3, s[34:35]
	global_load_dwordx2 v[24:25], v[26:27], off sc1
	s_waitcnt vmcnt(0)
	v_cmp_eq_u16_sdwa s[40:41], v25, v21 src0_sel:BYTE_0 src1_sel:DWORD
	s_and_saveexec_b64 s[38:39], s[40:41]
	s_cbranch_execz .LBB594_53
; %bb.56:                               ;   in Loop: Header=BB594_54 Depth=1
	s_mov_b32 s3, 1
	s_mov_b64 s[40:41], 0
.LBB594_57:                             ;   Parent Loop BB594_54 Depth=1
                                        ; =>  This Loop Header: Depth=2
                                        ;       Child Loop BB594_58 Depth 3
	s_max_u32 s42, s3, 1
.LBB594_58:                             ;   Parent Loop BB594_54 Depth=1
                                        ;     Parent Loop BB594_57 Depth=2
                                        ; =>    This Inner Loop Header: Depth=3
	s_add_i32 s42, s42, -1
	s_cmp_eq_u32 s42, 0
	s_sleep 1
	s_cbranch_scc0 .LBB594_58
; %bb.59:                               ;   in Loop: Header=BB594_57 Depth=2
	global_load_dwordx2 v[24:25], v[26:27], off sc1
	s_cmp_lt_u32 s3, 32
	s_cselect_b64 s[42:43], -1, 0
	s_cmp_lg_u64 s[42:43], 0
	s_addc_u32 s3, s3, 0
	s_waitcnt vmcnt(0)
	v_cmp_ne_u16_sdwa s[42:43], v25, v21 src0_sel:BYTE_0 src1_sel:DWORD
	s_or_b64 s[40:41], s[42:43], s[40:41]
	s_andn2_b64 exec, exec, s[40:41]
	s_cbranch_execnz .LBB594_57
; %bb.60:                               ;   in Loop: Header=BB594_54 Depth=1
	s_or_b64 exec, exec, s[40:41]
	s_branch .LBB594_53
.LBB594_61:                             ;   in Loop: Header=BB594_54 Depth=1
                                        ; implicit-def: $vgpr24
                                        ; implicit-def: $vgpr25
	s_cbranch_execz .LBB594_54
; %bb.62:
	s_and_saveexec_b64 s[38:39], s[16:17]
	s_cbranch_execz .LBB594_64
; %bb.63:
	s_add_i32 s2, s2, 64
	s_mov_b32 s3, 0
	s_lshl_b64 s[2:3], s[2:3], 3
	s_add_u32 s2, s34, s2
	v_add_u32_e32 v20, v17, v16
	v_mov_b32_e32 v21, 2
	s_addc_u32 s3, s35, s3
	v_mov_b32_e32 v22, 0
	global_store_dwordx2 v22, v[20:21], s[2:3] sc1
	ds_write_b64 v22, v[16:17] offset:28672
.LBB594_64:
	s_or_b64 exec, exec, s[38:39]
	v_cmp_eq_u32_e32 vcc, 0, v0
	s_and_b64 exec, exec, vcc
	s_cbranch_execz .LBB594_66
; %bb.65:
	v_mov_b32_e32 v16, 0
	ds_write_b32 v16, v17 offset:28
.LBB594_66:
	s_or_b64 exec, exec, s[36:37]
	v_mov_b32_e32 v16, 0
	s_waitcnt lgkmcnt(0)
	s_barrier
	ds_read_b32 v17, v16 offset:28
	v_cndmask_b32_e64 v20, v39, v38, s[16:17]
	v_cmp_ne_u32_e32 vcc, 0, v0
	s_waitcnt lgkmcnt(0)
	s_barrier
	v_cndmask_b32_e32 v20, 0, v20, vcc
	v_add_u32_e32 v27, v17, v20
	v_add_u32_e32 v26, v27, v33
	ds_read_b64 v[16:17], v16 offset:28672
	v_add_u32_e32 v25, v26, v32
	v_add_u32_e32 v23, v25, v31
	;; [unrolled: 1-line block ×5, first 2 shown]
	s_waitcnt lgkmcnt(0)
	v_mov_b32_e32 v20, v17
	s_branch .LBB594_77
.LBB594_67:
                                        ; implicit-def: $vgpr20
                                        ; implicit-def: $vgpr16
                                        ; implicit-def: $vgpr21
                                        ; implicit-def: $vgpr22
                                        ; implicit-def: $vgpr24
                                        ; implicit-def: $vgpr23
                                        ; implicit-def: $vgpr25
                                        ; implicit-def: $vgpr26
                                        ; implicit-def: $vgpr27
	s_cbranch_execz .LBB594_77
; %bb.68:
	s_nop 0
	v_mov_b32_dpp v16, v37 row_shr:1 row_mask:0xf bank_mask:0xf
	v_cndmask_b32_e64 v16, v16, 0, s[14:15]
	v_add_u32_e32 v16, v16, v37
	s_nop 1
	v_mov_b32_dpp v17, v16 row_shr:2 row_mask:0xf bank_mask:0xf
	v_cndmask_b32_e64 v17, 0, v17, s[12:13]
	v_add_u32_e32 v16, v16, v17
	;; [unrolled: 4-line block ×4, first 2 shown]
	s_nop 1
	v_mov_b32_dpp v17, v16 row_bcast:15 row_mask:0xf bank_mask:0xf
	v_cndmask_b32_e64 v17, v17, 0, s[6:7]
	v_add_u32_e32 v16, v16, v17
	s_nop 1
	v_mov_b32_dpp v17, v16 row_bcast:31 row_mask:0xf bank_mask:0xf
	v_cndmask_b32_e64 v17, 0, v17, s[18:19]
	v_add_u32_e32 v16, v16, v17
	s_and_saveexec_b64 s[2:3], s[4:5]
	s_cbranch_execz .LBB594_70
; %bb.69:
	v_lshlrev_b32_e32 v17, 2, v36
	ds_write_b32 v17, v16
.LBB594_70:
	s_or_b64 exec, exec, s[2:3]
	v_cmp_gt_u32_e32 vcc, 8, v0
	s_waitcnt lgkmcnt(0)
	s_barrier
	s_and_saveexec_b64 s[2:3], vcc
	s_cbranch_execz .LBB594_72
; %bb.71:
	v_mad_i32_i24 v17, v0, -3, v35
	ds_read_b32 v20, v17
	v_and_b32_e32 v21, 7, v34
	v_cmp_ne_u32_e32 vcc, 0, v21
	s_waitcnt lgkmcnt(0)
	v_mov_b32_dpp v22, v20 row_shr:1 row_mask:0xf bank_mask:0xf
	v_cndmask_b32_e32 v22, 0, v22, vcc
	v_add_u32_e32 v20, v22, v20
	v_cmp_lt_u32_e32 vcc, 1, v21
	s_nop 0
	v_mov_b32_dpp v22, v20 row_shr:2 row_mask:0xf bank_mask:0xf
	v_cndmask_b32_e32 v22, 0, v22, vcc
	v_add_u32_e32 v20, v20, v22
	v_cmp_lt_u32_e32 vcc, 3, v21
	s_nop 0
	v_mov_b32_dpp v22, v20 row_shr:4 row_mask:0xf bank_mask:0xf
	v_cndmask_b32_e32 v21, 0, v22, vcc
	v_add_u32_e32 v20, v20, v21
	ds_write_b32 v17, v20
.LBB594_72:
	s_or_b64 exec, exec, s[2:3]
	v_cmp_lt_u32_e32 vcc, 63, v0
	v_mov_b32_e32 v17, 0
	v_mov_b32_e32 v20, 0
	s_waitcnt lgkmcnt(0)
	s_barrier
	s_and_saveexec_b64 s[2:3], vcc
	s_cbranch_execz .LBB594_74
; %bb.73:
	v_lshl_add_u32 v20, v36, 2, -4
	ds_read_b32 v20, v20
.LBB594_74:
	s_or_b64 exec, exec, s[2:3]
	v_add_u32_e32 v21, -1, v34
	v_and_b32_e32 v22, 64, v34
	v_cmp_lt_i32_e32 vcc, v21, v22
	s_waitcnt lgkmcnt(0)
	v_add_u32_e32 v16, v20, v16
	v_cndmask_b32_e32 v21, v21, v34, vcc
	v_lshlrev_b32_e32 v21, 2, v21
	ds_bpermute_b32 v21, v21, v16
	ds_read_b32 v16, v17 offset:28
	v_cmp_eq_u32_e32 vcc, 0, v0
	s_and_saveexec_b64 s[2:3], vcc
	s_cbranch_execz .LBB594_76
; %bb.75:
	v_mov_b32_e32 v22, 0
	v_mov_b32_e32 v17, 2
	s_waitcnt lgkmcnt(0)
	global_store_dwordx2 v22, v[16:17], s[34:35] offset:512 sc1
.LBB594_76:
	s_or_b64 exec, exec, s[2:3]
	v_cmp_eq_u32_e64 s[2:3], 0, v34
	s_waitcnt lgkmcnt(0)
	s_barrier
	v_cndmask_b32_e64 v17, v21, v20, s[2:3]
	v_cndmask_b32_e64 v27, v17, 0, vcc
	v_add_u32_e32 v26, v27, v33
	v_add_u32_e32 v25, v26, v32
	;; [unrolled: 1-line block ×5, first 2 shown]
	v_mov_b32_e32 v20, 0
	v_add_u32_e32 v21, v22, v28
.LBB594_77:
	v_add_u32_e32 v1, v16, v1
	v_sub_u32_e32 v17, v27, v20
	v_sub_u32_e32 v27, v1, v17
	v_cmp_eq_u32_e32 vcc, 1, v33
	s_load_dwordx4 s[0:3], s[0:1], 0x30
	s_nop 0
	v_cndmask_b32_e32 v17, v27, v17, vcc
	v_lshlrev_b32_e32 v17, 3, v17
	ds_write_b64 v17, v[10:11]
	v_sub_u32_e32 v10, v26, v20
	v_sub_u32_e32 v11, v1, v10
	v_add_u32_e32 v11, 1, v11
	v_cmp_eq_u32_e32 vcc, 1, v32
	v_or_b32_e32 v32, 0x200, v0
	s_nop 0
	v_cndmask_b32_e32 v10, v11, v10, vcc
	v_lshlrev_b32_e32 v10, 3, v10
	ds_write_b64 v10, v[12:13]
	v_sub_u32_e32 v10, v25, v20
	v_sub_u32_e32 v11, v1, v10
	v_add_u32_e32 v11, 2, v11
	v_cmp_eq_u32_e32 vcc, 1, v31
	v_or_b32_e32 v31, 0x400, v0
	;; [unrolled: 9-line block ×5, first 2 shown]
	s_nop 0
	v_cndmask_b32_e32 v2, v3, v2, vcc
	v_lshlrev_b32_e32 v2, 3, v2
	ds_write_b64 v2, v[4:5]
	v_sub_u32_e32 v2, v21, v20
	v_sub_u32_e32 v1, v1, v2
	v_add_u32_e32 v1, 6, v1
	v_cmp_eq_u32_e32 vcc, 1, v19
	v_mov_b32_e32 v21, 0
	v_lshl_add_u64 v[26:27], s[28:29], 0, v[20:21]
	v_cndmask_b32_e32 v1, v1, v2, vcc
	v_lshlrev_b32_e32 v1, 3, v1
	v_mov_b32_e32 v17, v21
	ds_write_b64 v1, v[14:15]
	v_lshl_add_u64 v[14:15], v[26:27], 0, v[16:17]
	s_waitcnt lgkmcnt(0)
	s_barrier
	ds_read2st64_b64 v[10:13], v18 offset1:8
	ds_read2st64_b64 v[6:9], v18 offset0:16 offset1:24
	ds_read2st64_b64 v[2:5], v18 offset0:32 offset1:40
	ds_read_b64 v[22:23], v18 offset:24576
	v_mov_b32_e32 v17, s27
	v_sub_co_u32_e32 v24, vcc, s26, v14
	v_lshlrev_b64 v[26:27], 3, v[26:27]
	s_nop 0
	v_subb_co_u32_e32 v25, vcc, v17, v15, vcc
	v_lshlrev_b64 v[24:25], 3, v[24:25]
	v_lshl_add_u64 v[24:25], s[2:3], 0, v[24:25]
	v_or_b32_e32 v1, 0xc00, v0
	v_lshl_add_u64 v[24:25], v[24:25], 0, s[30:31]
	s_andn2_b64 vcc, exec, s[24:25]
	v_lshl_add_u64 v[26:27], s[0:1], 0, v[26:27]
	s_cbranch_vccnz .LBB594_79
; %bb.78:
	v_cmp_lt_u32_e32 vcc, v0, v16
	v_mov_b32_e32 v19, v21
	v_lshlrev_b32_e32 v20, 3, v32
	v_cndmask_b32_e32 v35, v25, v27, vcc
	v_cndmask_b32_e32 v34, v24, v26, vcc
	v_lshl_add_u64 v[34:35], v[34:35], 0, v[18:19]
	v_cmp_lt_u32_e32 vcc, v32, v16
	s_waitcnt lgkmcnt(3)
	global_store_dwordx2 v[34:35], v[10:11], off
	v_cndmask_b32_e32 v35, v25, v27, vcc
	v_cndmask_b32_e32 v34, v24, v26, vcc
	v_lshl_add_u64 v[34:35], v[34:35], 0, v[20:21]
	v_cmp_lt_u32_e32 vcc, v31, v16
	global_store_dwordx2 v[34:35], v[12:13], off
	v_lshlrev_b32_e32 v20, 3, v31
	v_cndmask_b32_e32 v35, v25, v27, vcc
	v_cndmask_b32_e32 v34, v24, v26, vcc
	v_lshl_add_u64 v[34:35], v[34:35], 0, v[20:21]
	v_cmp_lt_u32_e32 vcc, v30, v16
	s_waitcnt lgkmcnt(2)
	global_store_dwordx2 v[34:35], v[6:7], off
	v_lshlrev_b32_e32 v20, 3, v30
	v_cndmask_b32_e32 v35, v25, v27, vcc
	v_cndmask_b32_e32 v34, v24, v26, vcc
	v_lshl_add_u64 v[34:35], v[34:35], 0, v[20:21]
	v_cmp_lt_u32_e32 vcc, v29, v16
	global_store_dwordx2 v[34:35], v[8:9], off
	v_lshlrev_b32_e32 v20, 3, v29
	v_cndmask_b32_e32 v35, v25, v27, vcc
	v_cndmask_b32_e32 v34, v24, v26, vcc
	v_lshl_add_u64 v[34:35], v[34:35], 0, v[20:21]
	v_cmp_lt_u32_e32 vcc, v28, v16
	s_waitcnt lgkmcnt(1)
	global_store_dwordx2 v[34:35], v[2:3], off
	v_lshlrev_b32_e32 v20, 3, v28
	v_cndmask_b32_e32 v35, v25, v27, vcc
	v_cndmask_b32_e32 v34, v24, v26, vcc
	v_lshl_add_u64 v[20:21], v[34:35], 0, v[20:21]
	s_mov_b64 s[0:1], -1
	global_store_dwordx2 v[20:21], v[4:5], off
	s_cbranch_execz .LBB594_80
	s_branch .LBB594_88
.LBB594_79:
	s_mov_b64 s[0:1], 0
.LBB594_80:
	v_cmp_gt_u32_e32 vcc, s33, v0
	s_and_saveexec_b64 s[0:1], vcc
	s_cbranch_execnz .LBB594_93
; %bb.81:
	s_or_b64 exec, exec, s[0:1]
	v_cmp_gt_u32_e32 vcc, s33, v32
	s_and_saveexec_b64 s[0:1], vcc
	s_cbranch_execnz .LBB594_94
.LBB594_82:
	s_or_b64 exec, exec, s[0:1]
	v_cmp_gt_u32_e32 vcc, s33, v31
	s_and_saveexec_b64 s[0:1], vcc
	s_cbranch_execnz .LBB594_95
.LBB594_83:
	s_or_b64 exec, exec, s[0:1]
	v_cmp_gt_u32_e32 vcc, s33, v30
	s_and_saveexec_b64 s[0:1], vcc
	s_cbranch_execnz .LBB594_96
.LBB594_84:
	s_or_b64 exec, exec, s[0:1]
	v_cmp_gt_u32_e32 vcc, s33, v29
	s_and_saveexec_b64 s[0:1], vcc
	s_cbranch_execnz .LBB594_97
.LBB594_85:
	s_or_b64 exec, exec, s[0:1]
	v_cmp_gt_u32_e32 vcc, s33, v28
	s_and_saveexec_b64 s[0:1], vcc
	s_cbranch_execz .LBB594_87
.LBB594_86:
	v_cmp_lt_u32_e32 vcc, v28, v16
	s_waitcnt lgkmcnt(2)
	v_lshlrev_b32_e32 v6, 3, v28
	v_mov_b32_e32 v7, 0
	s_waitcnt lgkmcnt(1)
	v_cndmask_b32_e32 v3, v25, v27, vcc
	v_cndmask_b32_e32 v2, v24, v26, vcc
	v_lshl_add_u64 v[2:3], v[2:3], 0, v[6:7]
	global_store_dwordx2 v[2:3], v[4:5], off
.LBB594_87:
	s_or_b64 exec, exec, s[0:1]
	v_cmp_gt_u32_e64 s[0:1], s33, v1
.LBB594_88:
	s_and_saveexec_b64 s[2:3], s[0:1]
	s_cbranch_execz .LBB594_90
; %bb.89:
	v_cmp_lt_u32_e32 vcc, v1, v16
	s_waitcnt lgkmcnt(1)
	v_lshlrev_b32_e32 v4, 3, v1
	v_mov_b32_e32 v5, 0
	v_cndmask_b32_e32 v3, v25, v27, vcc
	v_cndmask_b32_e32 v2, v24, v26, vcc
	v_lshl_add_u64 v[2:3], v[2:3], 0, v[4:5]
	s_waitcnt lgkmcnt(0)
	global_store_dwordx2 v[2:3], v[22:23], off
.LBB594_90:
	s_or_b64 exec, exec, s[2:3]
	v_cmp_eq_u32_e32 vcc, 0, v0
	s_and_b64 s[0:1], vcc, s[22:23]
	s_and_saveexec_b64 s[2:3], s[0:1]
	s_cbranch_execz .LBB594_92
; %bb.91:
	v_mov_b32_e32 v0, 0
	global_store_dwordx2 v0, v[14:15], s[20:21]
.LBB594_92:
	s_endpgm
.LBB594_93:
	v_cmp_lt_u32_e32 vcc, v0, v16
	v_mov_b32_e32 v19, 0
	s_nop 0
	v_cndmask_b32_e32 v21, v25, v27, vcc
	v_cndmask_b32_e32 v20, v24, v26, vcc
	v_lshl_add_u64 v[18:19], v[20:21], 0, v[18:19]
	s_waitcnt lgkmcnt(3)
	global_store_dwordx2 v[18:19], v[10:11], off
	s_or_b64 exec, exec, s[0:1]
	v_cmp_gt_u32_e32 vcc, s33, v32
	s_and_saveexec_b64 s[0:1], vcc
	s_cbranch_execz .LBB594_82
.LBB594_94:
	v_cmp_lt_u32_e32 vcc, v32, v16
	v_lshlrev_b32_e32 v18, 3, v32
	v_mov_b32_e32 v19, 0
	s_waitcnt lgkmcnt(3)
	v_cndmask_b32_e32 v11, v25, v27, vcc
	v_cndmask_b32_e32 v10, v24, v26, vcc
	v_lshl_add_u64 v[10:11], v[10:11], 0, v[18:19]
	global_store_dwordx2 v[10:11], v[12:13], off
	s_or_b64 exec, exec, s[0:1]
	v_cmp_gt_u32_e32 vcc, s33, v31
	s_and_saveexec_b64 s[0:1], vcc
	s_cbranch_execz .LBB594_83
.LBB594_95:
	v_cmp_lt_u32_e32 vcc, v31, v16
	s_waitcnt lgkmcnt(3)
	v_lshlrev_b32_e32 v12, 3, v31
	v_mov_b32_e32 v13, 0
	v_cndmask_b32_e32 v11, v25, v27, vcc
	v_cndmask_b32_e32 v10, v24, v26, vcc
	v_lshl_add_u64 v[10:11], v[10:11], 0, v[12:13]
	s_waitcnt lgkmcnt(2)
	global_store_dwordx2 v[10:11], v[6:7], off
	s_or_b64 exec, exec, s[0:1]
	v_cmp_gt_u32_e32 vcc, s33, v30
	s_and_saveexec_b64 s[0:1], vcc
	s_cbranch_execz .LBB594_84
.LBB594_96:
	v_cmp_lt_u32_e32 vcc, v30, v16
	s_waitcnt lgkmcnt(3)
	v_lshlrev_b32_e32 v10, 3, v30
	v_mov_b32_e32 v11, 0
	s_waitcnt lgkmcnt(2)
	v_cndmask_b32_e32 v7, v25, v27, vcc
	v_cndmask_b32_e32 v6, v24, v26, vcc
	v_lshl_add_u64 v[6:7], v[6:7], 0, v[10:11]
	global_store_dwordx2 v[6:7], v[8:9], off
	s_or_b64 exec, exec, s[0:1]
	v_cmp_gt_u32_e32 vcc, s33, v29
	s_and_saveexec_b64 s[0:1], vcc
	s_cbranch_execz .LBB594_85
.LBB594_97:
	v_cmp_lt_u32_e32 vcc, v29, v16
	s_waitcnt lgkmcnt(2)
	v_lshlrev_b32_e32 v8, 3, v29
	v_mov_b32_e32 v9, 0
	v_cndmask_b32_e32 v7, v25, v27, vcc
	v_cndmask_b32_e32 v6, v24, v26, vcc
	v_lshl_add_u64 v[6:7], v[6:7], 0, v[8:9]
	s_waitcnt lgkmcnt(1)
	global_store_dwordx2 v[6:7], v[2:3], off
	s_or_b64 exec, exec, s[0:1]
	v_cmp_gt_u32_e32 vcc, s33, v28
	s_and_saveexec_b64 s[0:1], vcc
	s_cbranch_execnz .LBB594_86
	s_branch .LBB594_87
	.section	.rodata,"a",@progbits
	.p2align	6, 0x0
	.amdhsa_kernel _ZN7rocprim17ROCPRIM_400000_NS6detail17trampoline_kernelINS0_14default_configENS1_25partition_config_selectorILNS1_17partition_subalgoE1ExNS0_10empty_typeEbEEZZNS1_14partition_implILS5_1ELb0ES3_jN6thrust23THRUST_200600_302600_NS6detail15normal_iteratorINSA_10device_ptrIxEEEEPS6_NSA_18transform_iteratorINSA_8identityIxEESF_NSA_11use_defaultESK_EENS0_5tupleIJSF_SF_EEENSM_IJSG_SG_EEES6_PlJS6_EEE10hipError_tPvRmT3_T4_T5_T6_T7_T9_mT8_P12ihipStream_tbDpT10_ENKUlT_T0_E_clISt17integral_constantIbLb1EES18_IbLb0EEEEDaS14_S15_EUlS14_E_NS1_11comp_targetILNS1_3genE5ELNS1_11target_archE942ELNS1_3gpuE9ELNS1_3repE0EEENS1_30default_config_static_selectorELNS0_4arch9wavefront6targetE1EEEvT1_
		.amdhsa_group_segment_fixed_size 28680
		.amdhsa_private_segment_fixed_size 0
		.amdhsa_kernarg_size 128
		.amdhsa_user_sgpr_count 2
		.amdhsa_user_sgpr_dispatch_ptr 0
		.amdhsa_user_sgpr_queue_ptr 0
		.amdhsa_user_sgpr_kernarg_segment_ptr 1
		.amdhsa_user_sgpr_dispatch_id 0
		.amdhsa_user_sgpr_kernarg_preload_length 0
		.amdhsa_user_sgpr_kernarg_preload_offset 0
		.amdhsa_user_sgpr_private_segment_size 0
		.amdhsa_uses_dynamic_stack 0
		.amdhsa_enable_private_segment 0
		.amdhsa_system_sgpr_workgroup_id_x 1
		.amdhsa_system_sgpr_workgroup_id_y 0
		.amdhsa_system_sgpr_workgroup_id_z 0
		.amdhsa_system_sgpr_workgroup_info 0
		.amdhsa_system_vgpr_workitem_id 0
		.amdhsa_next_free_vgpr 54
		.amdhsa_next_free_sgpr 44
		.amdhsa_accum_offset 56
		.amdhsa_reserve_vcc 1
		.amdhsa_float_round_mode_32 0
		.amdhsa_float_round_mode_16_64 0
		.amdhsa_float_denorm_mode_32 3
		.amdhsa_float_denorm_mode_16_64 3
		.amdhsa_dx10_clamp 1
		.amdhsa_ieee_mode 1
		.amdhsa_fp16_overflow 0
		.amdhsa_tg_split 0
		.amdhsa_exception_fp_ieee_invalid_op 0
		.amdhsa_exception_fp_denorm_src 0
		.amdhsa_exception_fp_ieee_div_zero 0
		.amdhsa_exception_fp_ieee_overflow 0
		.amdhsa_exception_fp_ieee_underflow 0
		.amdhsa_exception_fp_ieee_inexact 0
		.amdhsa_exception_int_div_zero 0
	.end_amdhsa_kernel
	.section	.text._ZN7rocprim17ROCPRIM_400000_NS6detail17trampoline_kernelINS0_14default_configENS1_25partition_config_selectorILNS1_17partition_subalgoE1ExNS0_10empty_typeEbEEZZNS1_14partition_implILS5_1ELb0ES3_jN6thrust23THRUST_200600_302600_NS6detail15normal_iteratorINSA_10device_ptrIxEEEEPS6_NSA_18transform_iteratorINSA_8identityIxEESF_NSA_11use_defaultESK_EENS0_5tupleIJSF_SF_EEENSM_IJSG_SG_EEES6_PlJS6_EEE10hipError_tPvRmT3_T4_T5_T6_T7_T9_mT8_P12ihipStream_tbDpT10_ENKUlT_T0_E_clISt17integral_constantIbLb1EES18_IbLb0EEEEDaS14_S15_EUlS14_E_NS1_11comp_targetILNS1_3genE5ELNS1_11target_archE942ELNS1_3gpuE9ELNS1_3repE0EEENS1_30default_config_static_selectorELNS0_4arch9wavefront6targetE1EEEvT1_,"axG",@progbits,_ZN7rocprim17ROCPRIM_400000_NS6detail17trampoline_kernelINS0_14default_configENS1_25partition_config_selectorILNS1_17partition_subalgoE1ExNS0_10empty_typeEbEEZZNS1_14partition_implILS5_1ELb0ES3_jN6thrust23THRUST_200600_302600_NS6detail15normal_iteratorINSA_10device_ptrIxEEEEPS6_NSA_18transform_iteratorINSA_8identityIxEESF_NSA_11use_defaultESK_EENS0_5tupleIJSF_SF_EEENSM_IJSG_SG_EEES6_PlJS6_EEE10hipError_tPvRmT3_T4_T5_T6_T7_T9_mT8_P12ihipStream_tbDpT10_ENKUlT_T0_E_clISt17integral_constantIbLb1EES18_IbLb0EEEEDaS14_S15_EUlS14_E_NS1_11comp_targetILNS1_3genE5ELNS1_11target_archE942ELNS1_3gpuE9ELNS1_3repE0EEENS1_30default_config_static_selectorELNS0_4arch9wavefront6targetE1EEEvT1_,comdat
.Lfunc_end594:
	.size	_ZN7rocprim17ROCPRIM_400000_NS6detail17trampoline_kernelINS0_14default_configENS1_25partition_config_selectorILNS1_17partition_subalgoE1ExNS0_10empty_typeEbEEZZNS1_14partition_implILS5_1ELb0ES3_jN6thrust23THRUST_200600_302600_NS6detail15normal_iteratorINSA_10device_ptrIxEEEEPS6_NSA_18transform_iteratorINSA_8identityIxEESF_NSA_11use_defaultESK_EENS0_5tupleIJSF_SF_EEENSM_IJSG_SG_EEES6_PlJS6_EEE10hipError_tPvRmT3_T4_T5_T6_T7_T9_mT8_P12ihipStream_tbDpT10_ENKUlT_T0_E_clISt17integral_constantIbLb1EES18_IbLb0EEEEDaS14_S15_EUlS14_E_NS1_11comp_targetILNS1_3genE5ELNS1_11target_archE942ELNS1_3gpuE9ELNS1_3repE0EEENS1_30default_config_static_selectorELNS0_4arch9wavefront6targetE1EEEvT1_, .Lfunc_end594-_ZN7rocprim17ROCPRIM_400000_NS6detail17trampoline_kernelINS0_14default_configENS1_25partition_config_selectorILNS1_17partition_subalgoE1ExNS0_10empty_typeEbEEZZNS1_14partition_implILS5_1ELb0ES3_jN6thrust23THRUST_200600_302600_NS6detail15normal_iteratorINSA_10device_ptrIxEEEEPS6_NSA_18transform_iteratorINSA_8identityIxEESF_NSA_11use_defaultESK_EENS0_5tupleIJSF_SF_EEENSM_IJSG_SG_EEES6_PlJS6_EEE10hipError_tPvRmT3_T4_T5_T6_T7_T9_mT8_P12ihipStream_tbDpT10_ENKUlT_T0_E_clISt17integral_constantIbLb1EES18_IbLb0EEEEDaS14_S15_EUlS14_E_NS1_11comp_targetILNS1_3genE5ELNS1_11target_archE942ELNS1_3gpuE9ELNS1_3repE0EEENS1_30default_config_static_selectorELNS0_4arch9wavefront6targetE1EEEvT1_
                                        ; -- End function
	.section	.AMDGPU.csdata,"",@progbits
; Kernel info:
; codeLenInByte = 5168
; NumSgprs: 50
; NumVgprs: 54
; NumAgprs: 0
; TotalNumVgprs: 54
; ScratchSize: 0
; MemoryBound: 0
; FloatMode: 240
; IeeeMode: 1
; LDSByteSize: 28680 bytes/workgroup (compile time only)
; SGPRBlocks: 6
; VGPRBlocks: 6
; NumSGPRsForWavesPerEU: 50
; NumVGPRsForWavesPerEU: 54
; AccumOffset: 56
; Occupancy: 4
; WaveLimiterHint : 1
; COMPUTE_PGM_RSRC2:SCRATCH_EN: 0
; COMPUTE_PGM_RSRC2:USER_SGPR: 2
; COMPUTE_PGM_RSRC2:TRAP_HANDLER: 0
; COMPUTE_PGM_RSRC2:TGID_X_EN: 1
; COMPUTE_PGM_RSRC2:TGID_Y_EN: 0
; COMPUTE_PGM_RSRC2:TGID_Z_EN: 0
; COMPUTE_PGM_RSRC2:TIDIG_COMP_CNT: 0
; COMPUTE_PGM_RSRC3_GFX90A:ACCUM_OFFSET: 13
; COMPUTE_PGM_RSRC3_GFX90A:TG_SPLIT: 0
	.section	.text._ZN7rocprim17ROCPRIM_400000_NS6detail17trampoline_kernelINS0_14default_configENS1_25partition_config_selectorILNS1_17partition_subalgoE1ExNS0_10empty_typeEbEEZZNS1_14partition_implILS5_1ELb0ES3_jN6thrust23THRUST_200600_302600_NS6detail15normal_iteratorINSA_10device_ptrIxEEEEPS6_NSA_18transform_iteratorINSA_8identityIxEESF_NSA_11use_defaultESK_EENS0_5tupleIJSF_SF_EEENSM_IJSG_SG_EEES6_PlJS6_EEE10hipError_tPvRmT3_T4_T5_T6_T7_T9_mT8_P12ihipStream_tbDpT10_ENKUlT_T0_E_clISt17integral_constantIbLb1EES18_IbLb0EEEEDaS14_S15_EUlS14_E_NS1_11comp_targetILNS1_3genE4ELNS1_11target_archE910ELNS1_3gpuE8ELNS1_3repE0EEENS1_30default_config_static_selectorELNS0_4arch9wavefront6targetE1EEEvT1_,"axG",@progbits,_ZN7rocprim17ROCPRIM_400000_NS6detail17trampoline_kernelINS0_14default_configENS1_25partition_config_selectorILNS1_17partition_subalgoE1ExNS0_10empty_typeEbEEZZNS1_14partition_implILS5_1ELb0ES3_jN6thrust23THRUST_200600_302600_NS6detail15normal_iteratorINSA_10device_ptrIxEEEEPS6_NSA_18transform_iteratorINSA_8identityIxEESF_NSA_11use_defaultESK_EENS0_5tupleIJSF_SF_EEENSM_IJSG_SG_EEES6_PlJS6_EEE10hipError_tPvRmT3_T4_T5_T6_T7_T9_mT8_P12ihipStream_tbDpT10_ENKUlT_T0_E_clISt17integral_constantIbLb1EES18_IbLb0EEEEDaS14_S15_EUlS14_E_NS1_11comp_targetILNS1_3genE4ELNS1_11target_archE910ELNS1_3gpuE8ELNS1_3repE0EEENS1_30default_config_static_selectorELNS0_4arch9wavefront6targetE1EEEvT1_,comdat
	.protected	_ZN7rocprim17ROCPRIM_400000_NS6detail17trampoline_kernelINS0_14default_configENS1_25partition_config_selectorILNS1_17partition_subalgoE1ExNS0_10empty_typeEbEEZZNS1_14partition_implILS5_1ELb0ES3_jN6thrust23THRUST_200600_302600_NS6detail15normal_iteratorINSA_10device_ptrIxEEEEPS6_NSA_18transform_iteratorINSA_8identityIxEESF_NSA_11use_defaultESK_EENS0_5tupleIJSF_SF_EEENSM_IJSG_SG_EEES6_PlJS6_EEE10hipError_tPvRmT3_T4_T5_T6_T7_T9_mT8_P12ihipStream_tbDpT10_ENKUlT_T0_E_clISt17integral_constantIbLb1EES18_IbLb0EEEEDaS14_S15_EUlS14_E_NS1_11comp_targetILNS1_3genE4ELNS1_11target_archE910ELNS1_3gpuE8ELNS1_3repE0EEENS1_30default_config_static_selectorELNS0_4arch9wavefront6targetE1EEEvT1_ ; -- Begin function _ZN7rocprim17ROCPRIM_400000_NS6detail17trampoline_kernelINS0_14default_configENS1_25partition_config_selectorILNS1_17partition_subalgoE1ExNS0_10empty_typeEbEEZZNS1_14partition_implILS5_1ELb0ES3_jN6thrust23THRUST_200600_302600_NS6detail15normal_iteratorINSA_10device_ptrIxEEEEPS6_NSA_18transform_iteratorINSA_8identityIxEESF_NSA_11use_defaultESK_EENS0_5tupleIJSF_SF_EEENSM_IJSG_SG_EEES6_PlJS6_EEE10hipError_tPvRmT3_T4_T5_T6_T7_T9_mT8_P12ihipStream_tbDpT10_ENKUlT_T0_E_clISt17integral_constantIbLb1EES18_IbLb0EEEEDaS14_S15_EUlS14_E_NS1_11comp_targetILNS1_3genE4ELNS1_11target_archE910ELNS1_3gpuE8ELNS1_3repE0EEENS1_30default_config_static_selectorELNS0_4arch9wavefront6targetE1EEEvT1_
	.globl	_ZN7rocprim17ROCPRIM_400000_NS6detail17trampoline_kernelINS0_14default_configENS1_25partition_config_selectorILNS1_17partition_subalgoE1ExNS0_10empty_typeEbEEZZNS1_14partition_implILS5_1ELb0ES3_jN6thrust23THRUST_200600_302600_NS6detail15normal_iteratorINSA_10device_ptrIxEEEEPS6_NSA_18transform_iteratorINSA_8identityIxEESF_NSA_11use_defaultESK_EENS0_5tupleIJSF_SF_EEENSM_IJSG_SG_EEES6_PlJS6_EEE10hipError_tPvRmT3_T4_T5_T6_T7_T9_mT8_P12ihipStream_tbDpT10_ENKUlT_T0_E_clISt17integral_constantIbLb1EES18_IbLb0EEEEDaS14_S15_EUlS14_E_NS1_11comp_targetILNS1_3genE4ELNS1_11target_archE910ELNS1_3gpuE8ELNS1_3repE0EEENS1_30default_config_static_selectorELNS0_4arch9wavefront6targetE1EEEvT1_
	.p2align	8
	.type	_ZN7rocprim17ROCPRIM_400000_NS6detail17trampoline_kernelINS0_14default_configENS1_25partition_config_selectorILNS1_17partition_subalgoE1ExNS0_10empty_typeEbEEZZNS1_14partition_implILS5_1ELb0ES3_jN6thrust23THRUST_200600_302600_NS6detail15normal_iteratorINSA_10device_ptrIxEEEEPS6_NSA_18transform_iteratorINSA_8identityIxEESF_NSA_11use_defaultESK_EENS0_5tupleIJSF_SF_EEENSM_IJSG_SG_EEES6_PlJS6_EEE10hipError_tPvRmT3_T4_T5_T6_T7_T9_mT8_P12ihipStream_tbDpT10_ENKUlT_T0_E_clISt17integral_constantIbLb1EES18_IbLb0EEEEDaS14_S15_EUlS14_E_NS1_11comp_targetILNS1_3genE4ELNS1_11target_archE910ELNS1_3gpuE8ELNS1_3repE0EEENS1_30default_config_static_selectorELNS0_4arch9wavefront6targetE1EEEvT1_,@function
_ZN7rocprim17ROCPRIM_400000_NS6detail17trampoline_kernelINS0_14default_configENS1_25partition_config_selectorILNS1_17partition_subalgoE1ExNS0_10empty_typeEbEEZZNS1_14partition_implILS5_1ELb0ES3_jN6thrust23THRUST_200600_302600_NS6detail15normal_iteratorINSA_10device_ptrIxEEEEPS6_NSA_18transform_iteratorINSA_8identityIxEESF_NSA_11use_defaultESK_EENS0_5tupleIJSF_SF_EEENSM_IJSG_SG_EEES6_PlJS6_EEE10hipError_tPvRmT3_T4_T5_T6_T7_T9_mT8_P12ihipStream_tbDpT10_ENKUlT_T0_E_clISt17integral_constantIbLb1EES18_IbLb0EEEEDaS14_S15_EUlS14_E_NS1_11comp_targetILNS1_3genE4ELNS1_11target_archE910ELNS1_3gpuE8ELNS1_3repE0EEENS1_30default_config_static_selectorELNS0_4arch9wavefront6targetE1EEEvT1_: ; @_ZN7rocprim17ROCPRIM_400000_NS6detail17trampoline_kernelINS0_14default_configENS1_25partition_config_selectorILNS1_17partition_subalgoE1ExNS0_10empty_typeEbEEZZNS1_14partition_implILS5_1ELb0ES3_jN6thrust23THRUST_200600_302600_NS6detail15normal_iteratorINSA_10device_ptrIxEEEEPS6_NSA_18transform_iteratorINSA_8identityIxEESF_NSA_11use_defaultESK_EENS0_5tupleIJSF_SF_EEENSM_IJSG_SG_EEES6_PlJS6_EEE10hipError_tPvRmT3_T4_T5_T6_T7_T9_mT8_P12ihipStream_tbDpT10_ENKUlT_T0_E_clISt17integral_constantIbLb1EES18_IbLb0EEEEDaS14_S15_EUlS14_E_NS1_11comp_targetILNS1_3genE4ELNS1_11target_archE910ELNS1_3gpuE8ELNS1_3repE0EEENS1_30default_config_static_selectorELNS0_4arch9wavefront6targetE1EEEvT1_
; %bb.0:
	.section	.rodata,"a",@progbits
	.p2align	6, 0x0
	.amdhsa_kernel _ZN7rocprim17ROCPRIM_400000_NS6detail17trampoline_kernelINS0_14default_configENS1_25partition_config_selectorILNS1_17partition_subalgoE1ExNS0_10empty_typeEbEEZZNS1_14partition_implILS5_1ELb0ES3_jN6thrust23THRUST_200600_302600_NS6detail15normal_iteratorINSA_10device_ptrIxEEEEPS6_NSA_18transform_iteratorINSA_8identityIxEESF_NSA_11use_defaultESK_EENS0_5tupleIJSF_SF_EEENSM_IJSG_SG_EEES6_PlJS6_EEE10hipError_tPvRmT3_T4_T5_T6_T7_T9_mT8_P12ihipStream_tbDpT10_ENKUlT_T0_E_clISt17integral_constantIbLb1EES18_IbLb0EEEEDaS14_S15_EUlS14_E_NS1_11comp_targetILNS1_3genE4ELNS1_11target_archE910ELNS1_3gpuE8ELNS1_3repE0EEENS1_30default_config_static_selectorELNS0_4arch9wavefront6targetE1EEEvT1_
		.amdhsa_group_segment_fixed_size 0
		.amdhsa_private_segment_fixed_size 0
		.amdhsa_kernarg_size 128
		.amdhsa_user_sgpr_count 2
		.amdhsa_user_sgpr_dispatch_ptr 0
		.amdhsa_user_sgpr_queue_ptr 0
		.amdhsa_user_sgpr_kernarg_segment_ptr 1
		.amdhsa_user_sgpr_dispatch_id 0
		.amdhsa_user_sgpr_kernarg_preload_length 0
		.amdhsa_user_sgpr_kernarg_preload_offset 0
		.amdhsa_user_sgpr_private_segment_size 0
		.amdhsa_uses_dynamic_stack 0
		.amdhsa_enable_private_segment 0
		.amdhsa_system_sgpr_workgroup_id_x 1
		.amdhsa_system_sgpr_workgroup_id_y 0
		.amdhsa_system_sgpr_workgroup_id_z 0
		.amdhsa_system_sgpr_workgroup_info 0
		.amdhsa_system_vgpr_workitem_id 0
		.amdhsa_next_free_vgpr 1
		.amdhsa_next_free_sgpr 0
		.amdhsa_accum_offset 4
		.amdhsa_reserve_vcc 0
		.amdhsa_float_round_mode_32 0
		.amdhsa_float_round_mode_16_64 0
		.amdhsa_float_denorm_mode_32 3
		.amdhsa_float_denorm_mode_16_64 3
		.amdhsa_dx10_clamp 1
		.amdhsa_ieee_mode 1
		.amdhsa_fp16_overflow 0
		.amdhsa_tg_split 0
		.amdhsa_exception_fp_ieee_invalid_op 0
		.amdhsa_exception_fp_denorm_src 0
		.amdhsa_exception_fp_ieee_div_zero 0
		.amdhsa_exception_fp_ieee_overflow 0
		.amdhsa_exception_fp_ieee_underflow 0
		.amdhsa_exception_fp_ieee_inexact 0
		.amdhsa_exception_int_div_zero 0
	.end_amdhsa_kernel
	.section	.text._ZN7rocprim17ROCPRIM_400000_NS6detail17trampoline_kernelINS0_14default_configENS1_25partition_config_selectorILNS1_17partition_subalgoE1ExNS0_10empty_typeEbEEZZNS1_14partition_implILS5_1ELb0ES3_jN6thrust23THRUST_200600_302600_NS6detail15normal_iteratorINSA_10device_ptrIxEEEEPS6_NSA_18transform_iteratorINSA_8identityIxEESF_NSA_11use_defaultESK_EENS0_5tupleIJSF_SF_EEENSM_IJSG_SG_EEES6_PlJS6_EEE10hipError_tPvRmT3_T4_T5_T6_T7_T9_mT8_P12ihipStream_tbDpT10_ENKUlT_T0_E_clISt17integral_constantIbLb1EES18_IbLb0EEEEDaS14_S15_EUlS14_E_NS1_11comp_targetILNS1_3genE4ELNS1_11target_archE910ELNS1_3gpuE8ELNS1_3repE0EEENS1_30default_config_static_selectorELNS0_4arch9wavefront6targetE1EEEvT1_,"axG",@progbits,_ZN7rocprim17ROCPRIM_400000_NS6detail17trampoline_kernelINS0_14default_configENS1_25partition_config_selectorILNS1_17partition_subalgoE1ExNS0_10empty_typeEbEEZZNS1_14partition_implILS5_1ELb0ES3_jN6thrust23THRUST_200600_302600_NS6detail15normal_iteratorINSA_10device_ptrIxEEEEPS6_NSA_18transform_iteratorINSA_8identityIxEESF_NSA_11use_defaultESK_EENS0_5tupleIJSF_SF_EEENSM_IJSG_SG_EEES6_PlJS6_EEE10hipError_tPvRmT3_T4_T5_T6_T7_T9_mT8_P12ihipStream_tbDpT10_ENKUlT_T0_E_clISt17integral_constantIbLb1EES18_IbLb0EEEEDaS14_S15_EUlS14_E_NS1_11comp_targetILNS1_3genE4ELNS1_11target_archE910ELNS1_3gpuE8ELNS1_3repE0EEENS1_30default_config_static_selectorELNS0_4arch9wavefront6targetE1EEEvT1_,comdat
.Lfunc_end595:
	.size	_ZN7rocprim17ROCPRIM_400000_NS6detail17trampoline_kernelINS0_14default_configENS1_25partition_config_selectorILNS1_17partition_subalgoE1ExNS0_10empty_typeEbEEZZNS1_14partition_implILS5_1ELb0ES3_jN6thrust23THRUST_200600_302600_NS6detail15normal_iteratorINSA_10device_ptrIxEEEEPS6_NSA_18transform_iteratorINSA_8identityIxEESF_NSA_11use_defaultESK_EENS0_5tupleIJSF_SF_EEENSM_IJSG_SG_EEES6_PlJS6_EEE10hipError_tPvRmT3_T4_T5_T6_T7_T9_mT8_P12ihipStream_tbDpT10_ENKUlT_T0_E_clISt17integral_constantIbLb1EES18_IbLb0EEEEDaS14_S15_EUlS14_E_NS1_11comp_targetILNS1_3genE4ELNS1_11target_archE910ELNS1_3gpuE8ELNS1_3repE0EEENS1_30default_config_static_selectorELNS0_4arch9wavefront6targetE1EEEvT1_, .Lfunc_end595-_ZN7rocprim17ROCPRIM_400000_NS6detail17trampoline_kernelINS0_14default_configENS1_25partition_config_selectorILNS1_17partition_subalgoE1ExNS0_10empty_typeEbEEZZNS1_14partition_implILS5_1ELb0ES3_jN6thrust23THRUST_200600_302600_NS6detail15normal_iteratorINSA_10device_ptrIxEEEEPS6_NSA_18transform_iteratorINSA_8identityIxEESF_NSA_11use_defaultESK_EENS0_5tupleIJSF_SF_EEENSM_IJSG_SG_EEES6_PlJS6_EEE10hipError_tPvRmT3_T4_T5_T6_T7_T9_mT8_P12ihipStream_tbDpT10_ENKUlT_T0_E_clISt17integral_constantIbLb1EES18_IbLb0EEEEDaS14_S15_EUlS14_E_NS1_11comp_targetILNS1_3genE4ELNS1_11target_archE910ELNS1_3gpuE8ELNS1_3repE0EEENS1_30default_config_static_selectorELNS0_4arch9wavefront6targetE1EEEvT1_
                                        ; -- End function
	.section	.AMDGPU.csdata,"",@progbits
; Kernel info:
; codeLenInByte = 0
; NumSgprs: 6
; NumVgprs: 0
; NumAgprs: 0
; TotalNumVgprs: 0
; ScratchSize: 0
; MemoryBound: 0
; FloatMode: 240
; IeeeMode: 1
; LDSByteSize: 0 bytes/workgroup (compile time only)
; SGPRBlocks: 0
; VGPRBlocks: 0
; NumSGPRsForWavesPerEU: 6
; NumVGPRsForWavesPerEU: 1
; AccumOffset: 4
; Occupancy: 8
; WaveLimiterHint : 0
; COMPUTE_PGM_RSRC2:SCRATCH_EN: 0
; COMPUTE_PGM_RSRC2:USER_SGPR: 2
; COMPUTE_PGM_RSRC2:TRAP_HANDLER: 0
; COMPUTE_PGM_RSRC2:TGID_X_EN: 1
; COMPUTE_PGM_RSRC2:TGID_Y_EN: 0
; COMPUTE_PGM_RSRC2:TGID_Z_EN: 0
; COMPUTE_PGM_RSRC2:TIDIG_COMP_CNT: 0
; COMPUTE_PGM_RSRC3_GFX90A:ACCUM_OFFSET: 0
; COMPUTE_PGM_RSRC3_GFX90A:TG_SPLIT: 0
	.section	.text._ZN7rocprim17ROCPRIM_400000_NS6detail17trampoline_kernelINS0_14default_configENS1_25partition_config_selectorILNS1_17partition_subalgoE1ExNS0_10empty_typeEbEEZZNS1_14partition_implILS5_1ELb0ES3_jN6thrust23THRUST_200600_302600_NS6detail15normal_iteratorINSA_10device_ptrIxEEEEPS6_NSA_18transform_iteratorINSA_8identityIxEESF_NSA_11use_defaultESK_EENS0_5tupleIJSF_SF_EEENSM_IJSG_SG_EEES6_PlJS6_EEE10hipError_tPvRmT3_T4_T5_T6_T7_T9_mT8_P12ihipStream_tbDpT10_ENKUlT_T0_E_clISt17integral_constantIbLb1EES18_IbLb0EEEEDaS14_S15_EUlS14_E_NS1_11comp_targetILNS1_3genE3ELNS1_11target_archE908ELNS1_3gpuE7ELNS1_3repE0EEENS1_30default_config_static_selectorELNS0_4arch9wavefront6targetE1EEEvT1_,"axG",@progbits,_ZN7rocprim17ROCPRIM_400000_NS6detail17trampoline_kernelINS0_14default_configENS1_25partition_config_selectorILNS1_17partition_subalgoE1ExNS0_10empty_typeEbEEZZNS1_14partition_implILS5_1ELb0ES3_jN6thrust23THRUST_200600_302600_NS6detail15normal_iteratorINSA_10device_ptrIxEEEEPS6_NSA_18transform_iteratorINSA_8identityIxEESF_NSA_11use_defaultESK_EENS0_5tupleIJSF_SF_EEENSM_IJSG_SG_EEES6_PlJS6_EEE10hipError_tPvRmT3_T4_T5_T6_T7_T9_mT8_P12ihipStream_tbDpT10_ENKUlT_T0_E_clISt17integral_constantIbLb1EES18_IbLb0EEEEDaS14_S15_EUlS14_E_NS1_11comp_targetILNS1_3genE3ELNS1_11target_archE908ELNS1_3gpuE7ELNS1_3repE0EEENS1_30default_config_static_selectorELNS0_4arch9wavefront6targetE1EEEvT1_,comdat
	.protected	_ZN7rocprim17ROCPRIM_400000_NS6detail17trampoline_kernelINS0_14default_configENS1_25partition_config_selectorILNS1_17partition_subalgoE1ExNS0_10empty_typeEbEEZZNS1_14partition_implILS5_1ELb0ES3_jN6thrust23THRUST_200600_302600_NS6detail15normal_iteratorINSA_10device_ptrIxEEEEPS6_NSA_18transform_iteratorINSA_8identityIxEESF_NSA_11use_defaultESK_EENS0_5tupleIJSF_SF_EEENSM_IJSG_SG_EEES6_PlJS6_EEE10hipError_tPvRmT3_T4_T5_T6_T7_T9_mT8_P12ihipStream_tbDpT10_ENKUlT_T0_E_clISt17integral_constantIbLb1EES18_IbLb0EEEEDaS14_S15_EUlS14_E_NS1_11comp_targetILNS1_3genE3ELNS1_11target_archE908ELNS1_3gpuE7ELNS1_3repE0EEENS1_30default_config_static_selectorELNS0_4arch9wavefront6targetE1EEEvT1_ ; -- Begin function _ZN7rocprim17ROCPRIM_400000_NS6detail17trampoline_kernelINS0_14default_configENS1_25partition_config_selectorILNS1_17partition_subalgoE1ExNS0_10empty_typeEbEEZZNS1_14partition_implILS5_1ELb0ES3_jN6thrust23THRUST_200600_302600_NS6detail15normal_iteratorINSA_10device_ptrIxEEEEPS6_NSA_18transform_iteratorINSA_8identityIxEESF_NSA_11use_defaultESK_EENS0_5tupleIJSF_SF_EEENSM_IJSG_SG_EEES6_PlJS6_EEE10hipError_tPvRmT3_T4_T5_T6_T7_T9_mT8_P12ihipStream_tbDpT10_ENKUlT_T0_E_clISt17integral_constantIbLb1EES18_IbLb0EEEEDaS14_S15_EUlS14_E_NS1_11comp_targetILNS1_3genE3ELNS1_11target_archE908ELNS1_3gpuE7ELNS1_3repE0EEENS1_30default_config_static_selectorELNS0_4arch9wavefront6targetE1EEEvT1_
	.globl	_ZN7rocprim17ROCPRIM_400000_NS6detail17trampoline_kernelINS0_14default_configENS1_25partition_config_selectorILNS1_17partition_subalgoE1ExNS0_10empty_typeEbEEZZNS1_14partition_implILS5_1ELb0ES3_jN6thrust23THRUST_200600_302600_NS6detail15normal_iteratorINSA_10device_ptrIxEEEEPS6_NSA_18transform_iteratorINSA_8identityIxEESF_NSA_11use_defaultESK_EENS0_5tupleIJSF_SF_EEENSM_IJSG_SG_EEES6_PlJS6_EEE10hipError_tPvRmT3_T4_T5_T6_T7_T9_mT8_P12ihipStream_tbDpT10_ENKUlT_T0_E_clISt17integral_constantIbLb1EES18_IbLb0EEEEDaS14_S15_EUlS14_E_NS1_11comp_targetILNS1_3genE3ELNS1_11target_archE908ELNS1_3gpuE7ELNS1_3repE0EEENS1_30default_config_static_selectorELNS0_4arch9wavefront6targetE1EEEvT1_
	.p2align	8
	.type	_ZN7rocprim17ROCPRIM_400000_NS6detail17trampoline_kernelINS0_14default_configENS1_25partition_config_selectorILNS1_17partition_subalgoE1ExNS0_10empty_typeEbEEZZNS1_14partition_implILS5_1ELb0ES3_jN6thrust23THRUST_200600_302600_NS6detail15normal_iteratorINSA_10device_ptrIxEEEEPS6_NSA_18transform_iteratorINSA_8identityIxEESF_NSA_11use_defaultESK_EENS0_5tupleIJSF_SF_EEENSM_IJSG_SG_EEES6_PlJS6_EEE10hipError_tPvRmT3_T4_T5_T6_T7_T9_mT8_P12ihipStream_tbDpT10_ENKUlT_T0_E_clISt17integral_constantIbLb1EES18_IbLb0EEEEDaS14_S15_EUlS14_E_NS1_11comp_targetILNS1_3genE3ELNS1_11target_archE908ELNS1_3gpuE7ELNS1_3repE0EEENS1_30default_config_static_selectorELNS0_4arch9wavefront6targetE1EEEvT1_,@function
_ZN7rocprim17ROCPRIM_400000_NS6detail17trampoline_kernelINS0_14default_configENS1_25partition_config_selectorILNS1_17partition_subalgoE1ExNS0_10empty_typeEbEEZZNS1_14partition_implILS5_1ELb0ES3_jN6thrust23THRUST_200600_302600_NS6detail15normal_iteratorINSA_10device_ptrIxEEEEPS6_NSA_18transform_iteratorINSA_8identityIxEESF_NSA_11use_defaultESK_EENS0_5tupleIJSF_SF_EEENSM_IJSG_SG_EEES6_PlJS6_EEE10hipError_tPvRmT3_T4_T5_T6_T7_T9_mT8_P12ihipStream_tbDpT10_ENKUlT_T0_E_clISt17integral_constantIbLb1EES18_IbLb0EEEEDaS14_S15_EUlS14_E_NS1_11comp_targetILNS1_3genE3ELNS1_11target_archE908ELNS1_3gpuE7ELNS1_3repE0EEENS1_30default_config_static_selectorELNS0_4arch9wavefront6targetE1EEEvT1_: ; @_ZN7rocprim17ROCPRIM_400000_NS6detail17trampoline_kernelINS0_14default_configENS1_25partition_config_selectorILNS1_17partition_subalgoE1ExNS0_10empty_typeEbEEZZNS1_14partition_implILS5_1ELb0ES3_jN6thrust23THRUST_200600_302600_NS6detail15normal_iteratorINSA_10device_ptrIxEEEEPS6_NSA_18transform_iteratorINSA_8identityIxEESF_NSA_11use_defaultESK_EENS0_5tupleIJSF_SF_EEENSM_IJSG_SG_EEES6_PlJS6_EEE10hipError_tPvRmT3_T4_T5_T6_T7_T9_mT8_P12ihipStream_tbDpT10_ENKUlT_T0_E_clISt17integral_constantIbLb1EES18_IbLb0EEEEDaS14_S15_EUlS14_E_NS1_11comp_targetILNS1_3genE3ELNS1_11target_archE908ELNS1_3gpuE7ELNS1_3repE0EEENS1_30default_config_static_selectorELNS0_4arch9wavefront6targetE1EEEvT1_
; %bb.0:
	.section	.rodata,"a",@progbits
	.p2align	6, 0x0
	.amdhsa_kernel _ZN7rocprim17ROCPRIM_400000_NS6detail17trampoline_kernelINS0_14default_configENS1_25partition_config_selectorILNS1_17partition_subalgoE1ExNS0_10empty_typeEbEEZZNS1_14partition_implILS5_1ELb0ES3_jN6thrust23THRUST_200600_302600_NS6detail15normal_iteratorINSA_10device_ptrIxEEEEPS6_NSA_18transform_iteratorINSA_8identityIxEESF_NSA_11use_defaultESK_EENS0_5tupleIJSF_SF_EEENSM_IJSG_SG_EEES6_PlJS6_EEE10hipError_tPvRmT3_T4_T5_T6_T7_T9_mT8_P12ihipStream_tbDpT10_ENKUlT_T0_E_clISt17integral_constantIbLb1EES18_IbLb0EEEEDaS14_S15_EUlS14_E_NS1_11comp_targetILNS1_3genE3ELNS1_11target_archE908ELNS1_3gpuE7ELNS1_3repE0EEENS1_30default_config_static_selectorELNS0_4arch9wavefront6targetE1EEEvT1_
		.amdhsa_group_segment_fixed_size 0
		.amdhsa_private_segment_fixed_size 0
		.amdhsa_kernarg_size 128
		.amdhsa_user_sgpr_count 2
		.amdhsa_user_sgpr_dispatch_ptr 0
		.amdhsa_user_sgpr_queue_ptr 0
		.amdhsa_user_sgpr_kernarg_segment_ptr 1
		.amdhsa_user_sgpr_dispatch_id 0
		.amdhsa_user_sgpr_kernarg_preload_length 0
		.amdhsa_user_sgpr_kernarg_preload_offset 0
		.amdhsa_user_sgpr_private_segment_size 0
		.amdhsa_uses_dynamic_stack 0
		.amdhsa_enable_private_segment 0
		.amdhsa_system_sgpr_workgroup_id_x 1
		.amdhsa_system_sgpr_workgroup_id_y 0
		.amdhsa_system_sgpr_workgroup_id_z 0
		.amdhsa_system_sgpr_workgroup_info 0
		.amdhsa_system_vgpr_workitem_id 0
		.amdhsa_next_free_vgpr 1
		.amdhsa_next_free_sgpr 0
		.amdhsa_accum_offset 4
		.amdhsa_reserve_vcc 0
		.amdhsa_float_round_mode_32 0
		.amdhsa_float_round_mode_16_64 0
		.amdhsa_float_denorm_mode_32 3
		.amdhsa_float_denorm_mode_16_64 3
		.amdhsa_dx10_clamp 1
		.amdhsa_ieee_mode 1
		.amdhsa_fp16_overflow 0
		.amdhsa_tg_split 0
		.amdhsa_exception_fp_ieee_invalid_op 0
		.amdhsa_exception_fp_denorm_src 0
		.amdhsa_exception_fp_ieee_div_zero 0
		.amdhsa_exception_fp_ieee_overflow 0
		.amdhsa_exception_fp_ieee_underflow 0
		.amdhsa_exception_fp_ieee_inexact 0
		.amdhsa_exception_int_div_zero 0
	.end_amdhsa_kernel
	.section	.text._ZN7rocprim17ROCPRIM_400000_NS6detail17trampoline_kernelINS0_14default_configENS1_25partition_config_selectorILNS1_17partition_subalgoE1ExNS0_10empty_typeEbEEZZNS1_14partition_implILS5_1ELb0ES3_jN6thrust23THRUST_200600_302600_NS6detail15normal_iteratorINSA_10device_ptrIxEEEEPS6_NSA_18transform_iteratorINSA_8identityIxEESF_NSA_11use_defaultESK_EENS0_5tupleIJSF_SF_EEENSM_IJSG_SG_EEES6_PlJS6_EEE10hipError_tPvRmT3_T4_T5_T6_T7_T9_mT8_P12ihipStream_tbDpT10_ENKUlT_T0_E_clISt17integral_constantIbLb1EES18_IbLb0EEEEDaS14_S15_EUlS14_E_NS1_11comp_targetILNS1_3genE3ELNS1_11target_archE908ELNS1_3gpuE7ELNS1_3repE0EEENS1_30default_config_static_selectorELNS0_4arch9wavefront6targetE1EEEvT1_,"axG",@progbits,_ZN7rocprim17ROCPRIM_400000_NS6detail17trampoline_kernelINS0_14default_configENS1_25partition_config_selectorILNS1_17partition_subalgoE1ExNS0_10empty_typeEbEEZZNS1_14partition_implILS5_1ELb0ES3_jN6thrust23THRUST_200600_302600_NS6detail15normal_iteratorINSA_10device_ptrIxEEEEPS6_NSA_18transform_iteratorINSA_8identityIxEESF_NSA_11use_defaultESK_EENS0_5tupleIJSF_SF_EEENSM_IJSG_SG_EEES6_PlJS6_EEE10hipError_tPvRmT3_T4_T5_T6_T7_T9_mT8_P12ihipStream_tbDpT10_ENKUlT_T0_E_clISt17integral_constantIbLb1EES18_IbLb0EEEEDaS14_S15_EUlS14_E_NS1_11comp_targetILNS1_3genE3ELNS1_11target_archE908ELNS1_3gpuE7ELNS1_3repE0EEENS1_30default_config_static_selectorELNS0_4arch9wavefront6targetE1EEEvT1_,comdat
.Lfunc_end596:
	.size	_ZN7rocprim17ROCPRIM_400000_NS6detail17trampoline_kernelINS0_14default_configENS1_25partition_config_selectorILNS1_17partition_subalgoE1ExNS0_10empty_typeEbEEZZNS1_14partition_implILS5_1ELb0ES3_jN6thrust23THRUST_200600_302600_NS6detail15normal_iteratorINSA_10device_ptrIxEEEEPS6_NSA_18transform_iteratorINSA_8identityIxEESF_NSA_11use_defaultESK_EENS0_5tupleIJSF_SF_EEENSM_IJSG_SG_EEES6_PlJS6_EEE10hipError_tPvRmT3_T4_T5_T6_T7_T9_mT8_P12ihipStream_tbDpT10_ENKUlT_T0_E_clISt17integral_constantIbLb1EES18_IbLb0EEEEDaS14_S15_EUlS14_E_NS1_11comp_targetILNS1_3genE3ELNS1_11target_archE908ELNS1_3gpuE7ELNS1_3repE0EEENS1_30default_config_static_selectorELNS0_4arch9wavefront6targetE1EEEvT1_, .Lfunc_end596-_ZN7rocprim17ROCPRIM_400000_NS6detail17trampoline_kernelINS0_14default_configENS1_25partition_config_selectorILNS1_17partition_subalgoE1ExNS0_10empty_typeEbEEZZNS1_14partition_implILS5_1ELb0ES3_jN6thrust23THRUST_200600_302600_NS6detail15normal_iteratorINSA_10device_ptrIxEEEEPS6_NSA_18transform_iteratorINSA_8identityIxEESF_NSA_11use_defaultESK_EENS0_5tupleIJSF_SF_EEENSM_IJSG_SG_EEES6_PlJS6_EEE10hipError_tPvRmT3_T4_T5_T6_T7_T9_mT8_P12ihipStream_tbDpT10_ENKUlT_T0_E_clISt17integral_constantIbLb1EES18_IbLb0EEEEDaS14_S15_EUlS14_E_NS1_11comp_targetILNS1_3genE3ELNS1_11target_archE908ELNS1_3gpuE7ELNS1_3repE0EEENS1_30default_config_static_selectorELNS0_4arch9wavefront6targetE1EEEvT1_
                                        ; -- End function
	.section	.AMDGPU.csdata,"",@progbits
; Kernel info:
; codeLenInByte = 0
; NumSgprs: 6
; NumVgprs: 0
; NumAgprs: 0
; TotalNumVgprs: 0
; ScratchSize: 0
; MemoryBound: 0
; FloatMode: 240
; IeeeMode: 1
; LDSByteSize: 0 bytes/workgroup (compile time only)
; SGPRBlocks: 0
; VGPRBlocks: 0
; NumSGPRsForWavesPerEU: 6
; NumVGPRsForWavesPerEU: 1
; AccumOffset: 4
; Occupancy: 8
; WaveLimiterHint : 0
; COMPUTE_PGM_RSRC2:SCRATCH_EN: 0
; COMPUTE_PGM_RSRC2:USER_SGPR: 2
; COMPUTE_PGM_RSRC2:TRAP_HANDLER: 0
; COMPUTE_PGM_RSRC2:TGID_X_EN: 1
; COMPUTE_PGM_RSRC2:TGID_Y_EN: 0
; COMPUTE_PGM_RSRC2:TGID_Z_EN: 0
; COMPUTE_PGM_RSRC2:TIDIG_COMP_CNT: 0
; COMPUTE_PGM_RSRC3_GFX90A:ACCUM_OFFSET: 0
; COMPUTE_PGM_RSRC3_GFX90A:TG_SPLIT: 0
	.section	.text._ZN7rocprim17ROCPRIM_400000_NS6detail17trampoline_kernelINS0_14default_configENS1_25partition_config_selectorILNS1_17partition_subalgoE1ExNS0_10empty_typeEbEEZZNS1_14partition_implILS5_1ELb0ES3_jN6thrust23THRUST_200600_302600_NS6detail15normal_iteratorINSA_10device_ptrIxEEEEPS6_NSA_18transform_iteratorINSA_8identityIxEESF_NSA_11use_defaultESK_EENS0_5tupleIJSF_SF_EEENSM_IJSG_SG_EEES6_PlJS6_EEE10hipError_tPvRmT3_T4_T5_T6_T7_T9_mT8_P12ihipStream_tbDpT10_ENKUlT_T0_E_clISt17integral_constantIbLb1EES18_IbLb0EEEEDaS14_S15_EUlS14_E_NS1_11comp_targetILNS1_3genE2ELNS1_11target_archE906ELNS1_3gpuE6ELNS1_3repE0EEENS1_30default_config_static_selectorELNS0_4arch9wavefront6targetE1EEEvT1_,"axG",@progbits,_ZN7rocprim17ROCPRIM_400000_NS6detail17trampoline_kernelINS0_14default_configENS1_25partition_config_selectorILNS1_17partition_subalgoE1ExNS0_10empty_typeEbEEZZNS1_14partition_implILS5_1ELb0ES3_jN6thrust23THRUST_200600_302600_NS6detail15normal_iteratorINSA_10device_ptrIxEEEEPS6_NSA_18transform_iteratorINSA_8identityIxEESF_NSA_11use_defaultESK_EENS0_5tupleIJSF_SF_EEENSM_IJSG_SG_EEES6_PlJS6_EEE10hipError_tPvRmT3_T4_T5_T6_T7_T9_mT8_P12ihipStream_tbDpT10_ENKUlT_T0_E_clISt17integral_constantIbLb1EES18_IbLb0EEEEDaS14_S15_EUlS14_E_NS1_11comp_targetILNS1_3genE2ELNS1_11target_archE906ELNS1_3gpuE6ELNS1_3repE0EEENS1_30default_config_static_selectorELNS0_4arch9wavefront6targetE1EEEvT1_,comdat
	.protected	_ZN7rocprim17ROCPRIM_400000_NS6detail17trampoline_kernelINS0_14default_configENS1_25partition_config_selectorILNS1_17partition_subalgoE1ExNS0_10empty_typeEbEEZZNS1_14partition_implILS5_1ELb0ES3_jN6thrust23THRUST_200600_302600_NS6detail15normal_iteratorINSA_10device_ptrIxEEEEPS6_NSA_18transform_iteratorINSA_8identityIxEESF_NSA_11use_defaultESK_EENS0_5tupleIJSF_SF_EEENSM_IJSG_SG_EEES6_PlJS6_EEE10hipError_tPvRmT3_T4_T5_T6_T7_T9_mT8_P12ihipStream_tbDpT10_ENKUlT_T0_E_clISt17integral_constantIbLb1EES18_IbLb0EEEEDaS14_S15_EUlS14_E_NS1_11comp_targetILNS1_3genE2ELNS1_11target_archE906ELNS1_3gpuE6ELNS1_3repE0EEENS1_30default_config_static_selectorELNS0_4arch9wavefront6targetE1EEEvT1_ ; -- Begin function _ZN7rocprim17ROCPRIM_400000_NS6detail17trampoline_kernelINS0_14default_configENS1_25partition_config_selectorILNS1_17partition_subalgoE1ExNS0_10empty_typeEbEEZZNS1_14partition_implILS5_1ELb0ES3_jN6thrust23THRUST_200600_302600_NS6detail15normal_iteratorINSA_10device_ptrIxEEEEPS6_NSA_18transform_iteratorINSA_8identityIxEESF_NSA_11use_defaultESK_EENS0_5tupleIJSF_SF_EEENSM_IJSG_SG_EEES6_PlJS6_EEE10hipError_tPvRmT3_T4_T5_T6_T7_T9_mT8_P12ihipStream_tbDpT10_ENKUlT_T0_E_clISt17integral_constantIbLb1EES18_IbLb0EEEEDaS14_S15_EUlS14_E_NS1_11comp_targetILNS1_3genE2ELNS1_11target_archE906ELNS1_3gpuE6ELNS1_3repE0EEENS1_30default_config_static_selectorELNS0_4arch9wavefront6targetE1EEEvT1_
	.globl	_ZN7rocprim17ROCPRIM_400000_NS6detail17trampoline_kernelINS0_14default_configENS1_25partition_config_selectorILNS1_17partition_subalgoE1ExNS0_10empty_typeEbEEZZNS1_14partition_implILS5_1ELb0ES3_jN6thrust23THRUST_200600_302600_NS6detail15normal_iteratorINSA_10device_ptrIxEEEEPS6_NSA_18transform_iteratorINSA_8identityIxEESF_NSA_11use_defaultESK_EENS0_5tupleIJSF_SF_EEENSM_IJSG_SG_EEES6_PlJS6_EEE10hipError_tPvRmT3_T4_T5_T6_T7_T9_mT8_P12ihipStream_tbDpT10_ENKUlT_T0_E_clISt17integral_constantIbLb1EES18_IbLb0EEEEDaS14_S15_EUlS14_E_NS1_11comp_targetILNS1_3genE2ELNS1_11target_archE906ELNS1_3gpuE6ELNS1_3repE0EEENS1_30default_config_static_selectorELNS0_4arch9wavefront6targetE1EEEvT1_
	.p2align	8
	.type	_ZN7rocprim17ROCPRIM_400000_NS6detail17trampoline_kernelINS0_14default_configENS1_25partition_config_selectorILNS1_17partition_subalgoE1ExNS0_10empty_typeEbEEZZNS1_14partition_implILS5_1ELb0ES3_jN6thrust23THRUST_200600_302600_NS6detail15normal_iteratorINSA_10device_ptrIxEEEEPS6_NSA_18transform_iteratorINSA_8identityIxEESF_NSA_11use_defaultESK_EENS0_5tupleIJSF_SF_EEENSM_IJSG_SG_EEES6_PlJS6_EEE10hipError_tPvRmT3_T4_T5_T6_T7_T9_mT8_P12ihipStream_tbDpT10_ENKUlT_T0_E_clISt17integral_constantIbLb1EES18_IbLb0EEEEDaS14_S15_EUlS14_E_NS1_11comp_targetILNS1_3genE2ELNS1_11target_archE906ELNS1_3gpuE6ELNS1_3repE0EEENS1_30default_config_static_selectorELNS0_4arch9wavefront6targetE1EEEvT1_,@function
_ZN7rocprim17ROCPRIM_400000_NS6detail17trampoline_kernelINS0_14default_configENS1_25partition_config_selectorILNS1_17partition_subalgoE1ExNS0_10empty_typeEbEEZZNS1_14partition_implILS5_1ELb0ES3_jN6thrust23THRUST_200600_302600_NS6detail15normal_iteratorINSA_10device_ptrIxEEEEPS6_NSA_18transform_iteratorINSA_8identityIxEESF_NSA_11use_defaultESK_EENS0_5tupleIJSF_SF_EEENSM_IJSG_SG_EEES6_PlJS6_EEE10hipError_tPvRmT3_T4_T5_T6_T7_T9_mT8_P12ihipStream_tbDpT10_ENKUlT_T0_E_clISt17integral_constantIbLb1EES18_IbLb0EEEEDaS14_S15_EUlS14_E_NS1_11comp_targetILNS1_3genE2ELNS1_11target_archE906ELNS1_3gpuE6ELNS1_3repE0EEENS1_30default_config_static_selectorELNS0_4arch9wavefront6targetE1EEEvT1_: ; @_ZN7rocprim17ROCPRIM_400000_NS6detail17trampoline_kernelINS0_14default_configENS1_25partition_config_selectorILNS1_17partition_subalgoE1ExNS0_10empty_typeEbEEZZNS1_14partition_implILS5_1ELb0ES3_jN6thrust23THRUST_200600_302600_NS6detail15normal_iteratorINSA_10device_ptrIxEEEEPS6_NSA_18transform_iteratorINSA_8identityIxEESF_NSA_11use_defaultESK_EENS0_5tupleIJSF_SF_EEENSM_IJSG_SG_EEES6_PlJS6_EEE10hipError_tPvRmT3_T4_T5_T6_T7_T9_mT8_P12ihipStream_tbDpT10_ENKUlT_T0_E_clISt17integral_constantIbLb1EES18_IbLb0EEEEDaS14_S15_EUlS14_E_NS1_11comp_targetILNS1_3genE2ELNS1_11target_archE906ELNS1_3gpuE6ELNS1_3repE0EEENS1_30default_config_static_selectorELNS0_4arch9wavefront6targetE1EEEvT1_
; %bb.0:
	.section	.rodata,"a",@progbits
	.p2align	6, 0x0
	.amdhsa_kernel _ZN7rocprim17ROCPRIM_400000_NS6detail17trampoline_kernelINS0_14default_configENS1_25partition_config_selectorILNS1_17partition_subalgoE1ExNS0_10empty_typeEbEEZZNS1_14partition_implILS5_1ELb0ES3_jN6thrust23THRUST_200600_302600_NS6detail15normal_iteratorINSA_10device_ptrIxEEEEPS6_NSA_18transform_iteratorINSA_8identityIxEESF_NSA_11use_defaultESK_EENS0_5tupleIJSF_SF_EEENSM_IJSG_SG_EEES6_PlJS6_EEE10hipError_tPvRmT3_T4_T5_T6_T7_T9_mT8_P12ihipStream_tbDpT10_ENKUlT_T0_E_clISt17integral_constantIbLb1EES18_IbLb0EEEEDaS14_S15_EUlS14_E_NS1_11comp_targetILNS1_3genE2ELNS1_11target_archE906ELNS1_3gpuE6ELNS1_3repE0EEENS1_30default_config_static_selectorELNS0_4arch9wavefront6targetE1EEEvT1_
		.amdhsa_group_segment_fixed_size 0
		.amdhsa_private_segment_fixed_size 0
		.amdhsa_kernarg_size 128
		.amdhsa_user_sgpr_count 2
		.amdhsa_user_sgpr_dispatch_ptr 0
		.amdhsa_user_sgpr_queue_ptr 0
		.amdhsa_user_sgpr_kernarg_segment_ptr 1
		.amdhsa_user_sgpr_dispatch_id 0
		.amdhsa_user_sgpr_kernarg_preload_length 0
		.amdhsa_user_sgpr_kernarg_preload_offset 0
		.amdhsa_user_sgpr_private_segment_size 0
		.amdhsa_uses_dynamic_stack 0
		.amdhsa_enable_private_segment 0
		.amdhsa_system_sgpr_workgroup_id_x 1
		.amdhsa_system_sgpr_workgroup_id_y 0
		.amdhsa_system_sgpr_workgroup_id_z 0
		.amdhsa_system_sgpr_workgroup_info 0
		.amdhsa_system_vgpr_workitem_id 0
		.amdhsa_next_free_vgpr 1
		.amdhsa_next_free_sgpr 0
		.amdhsa_accum_offset 4
		.amdhsa_reserve_vcc 0
		.amdhsa_float_round_mode_32 0
		.amdhsa_float_round_mode_16_64 0
		.amdhsa_float_denorm_mode_32 3
		.amdhsa_float_denorm_mode_16_64 3
		.amdhsa_dx10_clamp 1
		.amdhsa_ieee_mode 1
		.amdhsa_fp16_overflow 0
		.amdhsa_tg_split 0
		.amdhsa_exception_fp_ieee_invalid_op 0
		.amdhsa_exception_fp_denorm_src 0
		.amdhsa_exception_fp_ieee_div_zero 0
		.amdhsa_exception_fp_ieee_overflow 0
		.amdhsa_exception_fp_ieee_underflow 0
		.amdhsa_exception_fp_ieee_inexact 0
		.amdhsa_exception_int_div_zero 0
	.end_amdhsa_kernel
	.section	.text._ZN7rocprim17ROCPRIM_400000_NS6detail17trampoline_kernelINS0_14default_configENS1_25partition_config_selectorILNS1_17partition_subalgoE1ExNS0_10empty_typeEbEEZZNS1_14partition_implILS5_1ELb0ES3_jN6thrust23THRUST_200600_302600_NS6detail15normal_iteratorINSA_10device_ptrIxEEEEPS6_NSA_18transform_iteratorINSA_8identityIxEESF_NSA_11use_defaultESK_EENS0_5tupleIJSF_SF_EEENSM_IJSG_SG_EEES6_PlJS6_EEE10hipError_tPvRmT3_T4_T5_T6_T7_T9_mT8_P12ihipStream_tbDpT10_ENKUlT_T0_E_clISt17integral_constantIbLb1EES18_IbLb0EEEEDaS14_S15_EUlS14_E_NS1_11comp_targetILNS1_3genE2ELNS1_11target_archE906ELNS1_3gpuE6ELNS1_3repE0EEENS1_30default_config_static_selectorELNS0_4arch9wavefront6targetE1EEEvT1_,"axG",@progbits,_ZN7rocprim17ROCPRIM_400000_NS6detail17trampoline_kernelINS0_14default_configENS1_25partition_config_selectorILNS1_17partition_subalgoE1ExNS0_10empty_typeEbEEZZNS1_14partition_implILS5_1ELb0ES3_jN6thrust23THRUST_200600_302600_NS6detail15normal_iteratorINSA_10device_ptrIxEEEEPS6_NSA_18transform_iteratorINSA_8identityIxEESF_NSA_11use_defaultESK_EENS0_5tupleIJSF_SF_EEENSM_IJSG_SG_EEES6_PlJS6_EEE10hipError_tPvRmT3_T4_T5_T6_T7_T9_mT8_P12ihipStream_tbDpT10_ENKUlT_T0_E_clISt17integral_constantIbLb1EES18_IbLb0EEEEDaS14_S15_EUlS14_E_NS1_11comp_targetILNS1_3genE2ELNS1_11target_archE906ELNS1_3gpuE6ELNS1_3repE0EEENS1_30default_config_static_selectorELNS0_4arch9wavefront6targetE1EEEvT1_,comdat
.Lfunc_end597:
	.size	_ZN7rocprim17ROCPRIM_400000_NS6detail17trampoline_kernelINS0_14default_configENS1_25partition_config_selectorILNS1_17partition_subalgoE1ExNS0_10empty_typeEbEEZZNS1_14partition_implILS5_1ELb0ES3_jN6thrust23THRUST_200600_302600_NS6detail15normal_iteratorINSA_10device_ptrIxEEEEPS6_NSA_18transform_iteratorINSA_8identityIxEESF_NSA_11use_defaultESK_EENS0_5tupleIJSF_SF_EEENSM_IJSG_SG_EEES6_PlJS6_EEE10hipError_tPvRmT3_T4_T5_T6_T7_T9_mT8_P12ihipStream_tbDpT10_ENKUlT_T0_E_clISt17integral_constantIbLb1EES18_IbLb0EEEEDaS14_S15_EUlS14_E_NS1_11comp_targetILNS1_3genE2ELNS1_11target_archE906ELNS1_3gpuE6ELNS1_3repE0EEENS1_30default_config_static_selectorELNS0_4arch9wavefront6targetE1EEEvT1_, .Lfunc_end597-_ZN7rocprim17ROCPRIM_400000_NS6detail17trampoline_kernelINS0_14default_configENS1_25partition_config_selectorILNS1_17partition_subalgoE1ExNS0_10empty_typeEbEEZZNS1_14partition_implILS5_1ELb0ES3_jN6thrust23THRUST_200600_302600_NS6detail15normal_iteratorINSA_10device_ptrIxEEEEPS6_NSA_18transform_iteratorINSA_8identityIxEESF_NSA_11use_defaultESK_EENS0_5tupleIJSF_SF_EEENSM_IJSG_SG_EEES6_PlJS6_EEE10hipError_tPvRmT3_T4_T5_T6_T7_T9_mT8_P12ihipStream_tbDpT10_ENKUlT_T0_E_clISt17integral_constantIbLb1EES18_IbLb0EEEEDaS14_S15_EUlS14_E_NS1_11comp_targetILNS1_3genE2ELNS1_11target_archE906ELNS1_3gpuE6ELNS1_3repE0EEENS1_30default_config_static_selectorELNS0_4arch9wavefront6targetE1EEEvT1_
                                        ; -- End function
	.section	.AMDGPU.csdata,"",@progbits
; Kernel info:
; codeLenInByte = 0
; NumSgprs: 6
; NumVgprs: 0
; NumAgprs: 0
; TotalNumVgprs: 0
; ScratchSize: 0
; MemoryBound: 0
; FloatMode: 240
; IeeeMode: 1
; LDSByteSize: 0 bytes/workgroup (compile time only)
; SGPRBlocks: 0
; VGPRBlocks: 0
; NumSGPRsForWavesPerEU: 6
; NumVGPRsForWavesPerEU: 1
; AccumOffset: 4
; Occupancy: 8
; WaveLimiterHint : 0
; COMPUTE_PGM_RSRC2:SCRATCH_EN: 0
; COMPUTE_PGM_RSRC2:USER_SGPR: 2
; COMPUTE_PGM_RSRC2:TRAP_HANDLER: 0
; COMPUTE_PGM_RSRC2:TGID_X_EN: 1
; COMPUTE_PGM_RSRC2:TGID_Y_EN: 0
; COMPUTE_PGM_RSRC2:TGID_Z_EN: 0
; COMPUTE_PGM_RSRC2:TIDIG_COMP_CNT: 0
; COMPUTE_PGM_RSRC3_GFX90A:ACCUM_OFFSET: 0
; COMPUTE_PGM_RSRC3_GFX90A:TG_SPLIT: 0
	.section	.text._ZN7rocprim17ROCPRIM_400000_NS6detail17trampoline_kernelINS0_14default_configENS1_25partition_config_selectorILNS1_17partition_subalgoE1ExNS0_10empty_typeEbEEZZNS1_14partition_implILS5_1ELb0ES3_jN6thrust23THRUST_200600_302600_NS6detail15normal_iteratorINSA_10device_ptrIxEEEEPS6_NSA_18transform_iteratorINSA_8identityIxEESF_NSA_11use_defaultESK_EENS0_5tupleIJSF_SF_EEENSM_IJSG_SG_EEES6_PlJS6_EEE10hipError_tPvRmT3_T4_T5_T6_T7_T9_mT8_P12ihipStream_tbDpT10_ENKUlT_T0_E_clISt17integral_constantIbLb1EES18_IbLb0EEEEDaS14_S15_EUlS14_E_NS1_11comp_targetILNS1_3genE10ELNS1_11target_archE1200ELNS1_3gpuE4ELNS1_3repE0EEENS1_30default_config_static_selectorELNS0_4arch9wavefront6targetE1EEEvT1_,"axG",@progbits,_ZN7rocprim17ROCPRIM_400000_NS6detail17trampoline_kernelINS0_14default_configENS1_25partition_config_selectorILNS1_17partition_subalgoE1ExNS0_10empty_typeEbEEZZNS1_14partition_implILS5_1ELb0ES3_jN6thrust23THRUST_200600_302600_NS6detail15normal_iteratorINSA_10device_ptrIxEEEEPS6_NSA_18transform_iteratorINSA_8identityIxEESF_NSA_11use_defaultESK_EENS0_5tupleIJSF_SF_EEENSM_IJSG_SG_EEES6_PlJS6_EEE10hipError_tPvRmT3_T4_T5_T6_T7_T9_mT8_P12ihipStream_tbDpT10_ENKUlT_T0_E_clISt17integral_constantIbLb1EES18_IbLb0EEEEDaS14_S15_EUlS14_E_NS1_11comp_targetILNS1_3genE10ELNS1_11target_archE1200ELNS1_3gpuE4ELNS1_3repE0EEENS1_30default_config_static_selectorELNS0_4arch9wavefront6targetE1EEEvT1_,comdat
	.protected	_ZN7rocprim17ROCPRIM_400000_NS6detail17trampoline_kernelINS0_14default_configENS1_25partition_config_selectorILNS1_17partition_subalgoE1ExNS0_10empty_typeEbEEZZNS1_14partition_implILS5_1ELb0ES3_jN6thrust23THRUST_200600_302600_NS6detail15normal_iteratorINSA_10device_ptrIxEEEEPS6_NSA_18transform_iteratorINSA_8identityIxEESF_NSA_11use_defaultESK_EENS0_5tupleIJSF_SF_EEENSM_IJSG_SG_EEES6_PlJS6_EEE10hipError_tPvRmT3_T4_T5_T6_T7_T9_mT8_P12ihipStream_tbDpT10_ENKUlT_T0_E_clISt17integral_constantIbLb1EES18_IbLb0EEEEDaS14_S15_EUlS14_E_NS1_11comp_targetILNS1_3genE10ELNS1_11target_archE1200ELNS1_3gpuE4ELNS1_3repE0EEENS1_30default_config_static_selectorELNS0_4arch9wavefront6targetE1EEEvT1_ ; -- Begin function _ZN7rocprim17ROCPRIM_400000_NS6detail17trampoline_kernelINS0_14default_configENS1_25partition_config_selectorILNS1_17partition_subalgoE1ExNS0_10empty_typeEbEEZZNS1_14partition_implILS5_1ELb0ES3_jN6thrust23THRUST_200600_302600_NS6detail15normal_iteratorINSA_10device_ptrIxEEEEPS6_NSA_18transform_iteratorINSA_8identityIxEESF_NSA_11use_defaultESK_EENS0_5tupleIJSF_SF_EEENSM_IJSG_SG_EEES6_PlJS6_EEE10hipError_tPvRmT3_T4_T5_T6_T7_T9_mT8_P12ihipStream_tbDpT10_ENKUlT_T0_E_clISt17integral_constantIbLb1EES18_IbLb0EEEEDaS14_S15_EUlS14_E_NS1_11comp_targetILNS1_3genE10ELNS1_11target_archE1200ELNS1_3gpuE4ELNS1_3repE0EEENS1_30default_config_static_selectorELNS0_4arch9wavefront6targetE1EEEvT1_
	.globl	_ZN7rocprim17ROCPRIM_400000_NS6detail17trampoline_kernelINS0_14default_configENS1_25partition_config_selectorILNS1_17partition_subalgoE1ExNS0_10empty_typeEbEEZZNS1_14partition_implILS5_1ELb0ES3_jN6thrust23THRUST_200600_302600_NS6detail15normal_iteratorINSA_10device_ptrIxEEEEPS6_NSA_18transform_iteratorINSA_8identityIxEESF_NSA_11use_defaultESK_EENS0_5tupleIJSF_SF_EEENSM_IJSG_SG_EEES6_PlJS6_EEE10hipError_tPvRmT3_T4_T5_T6_T7_T9_mT8_P12ihipStream_tbDpT10_ENKUlT_T0_E_clISt17integral_constantIbLb1EES18_IbLb0EEEEDaS14_S15_EUlS14_E_NS1_11comp_targetILNS1_3genE10ELNS1_11target_archE1200ELNS1_3gpuE4ELNS1_3repE0EEENS1_30default_config_static_selectorELNS0_4arch9wavefront6targetE1EEEvT1_
	.p2align	8
	.type	_ZN7rocprim17ROCPRIM_400000_NS6detail17trampoline_kernelINS0_14default_configENS1_25partition_config_selectorILNS1_17partition_subalgoE1ExNS0_10empty_typeEbEEZZNS1_14partition_implILS5_1ELb0ES3_jN6thrust23THRUST_200600_302600_NS6detail15normal_iteratorINSA_10device_ptrIxEEEEPS6_NSA_18transform_iteratorINSA_8identityIxEESF_NSA_11use_defaultESK_EENS0_5tupleIJSF_SF_EEENSM_IJSG_SG_EEES6_PlJS6_EEE10hipError_tPvRmT3_T4_T5_T6_T7_T9_mT8_P12ihipStream_tbDpT10_ENKUlT_T0_E_clISt17integral_constantIbLb1EES18_IbLb0EEEEDaS14_S15_EUlS14_E_NS1_11comp_targetILNS1_3genE10ELNS1_11target_archE1200ELNS1_3gpuE4ELNS1_3repE0EEENS1_30default_config_static_selectorELNS0_4arch9wavefront6targetE1EEEvT1_,@function
_ZN7rocprim17ROCPRIM_400000_NS6detail17trampoline_kernelINS0_14default_configENS1_25partition_config_selectorILNS1_17partition_subalgoE1ExNS0_10empty_typeEbEEZZNS1_14partition_implILS5_1ELb0ES3_jN6thrust23THRUST_200600_302600_NS6detail15normal_iteratorINSA_10device_ptrIxEEEEPS6_NSA_18transform_iteratorINSA_8identityIxEESF_NSA_11use_defaultESK_EENS0_5tupleIJSF_SF_EEENSM_IJSG_SG_EEES6_PlJS6_EEE10hipError_tPvRmT3_T4_T5_T6_T7_T9_mT8_P12ihipStream_tbDpT10_ENKUlT_T0_E_clISt17integral_constantIbLb1EES18_IbLb0EEEEDaS14_S15_EUlS14_E_NS1_11comp_targetILNS1_3genE10ELNS1_11target_archE1200ELNS1_3gpuE4ELNS1_3repE0EEENS1_30default_config_static_selectorELNS0_4arch9wavefront6targetE1EEEvT1_: ; @_ZN7rocprim17ROCPRIM_400000_NS6detail17trampoline_kernelINS0_14default_configENS1_25partition_config_selectorILNS1_17partition_subalgoE1ExNS0_10empty_typeEbEEZZNS1_14partition_implILS5_1ELb0ES3_jN6thrust23THRUST_200600_302600_NS6detail15normal_iteratorINSA_10device_ptrIxEEEEPS6_NSA_18transform_iteratorINSA_8identityIxEESF_NSA_11use_defaultESK_EENS0_5tupleIJSF_SF_EEENSM_IJSG_SG_EEES6_PlJS6_EEE10hipError_tPvRmT3_T4_T5_T6_T7_T9_mT8_P12ihipStream_tbDpT10_ENKUlT_T0_E_clISt17integral_constantIbLb1EES18_IbLb0EEEEDaS14_S15_EUlS14_E_NS1_11comp_targetILNS1_3genE10ELNS1_11target_archE1200ELNS1_3gpuE4ELNS1_3repE0EEENS1_30default_config_static_selectorELNS0_4arch9wavefront6targetE1EEEvT1_
; %bb.0:
	.section	.rodata,"a",@progbits
	.p2align	6, 0x0
	.amdhsa_kernel _ZN7rocprim17ROCPRIM_400000_NS6detail17trampoline_kernelINS0_14default_configENS1_25partition_config_selectorILNS1_17partition_subalgoE1ExNS0_10empty_typeEbEEZZNS1_14partition_implILS5_1ELb0ES3_jN6thrust23THRUST_200600_302600_NS6detail15normal_iteratorINSA_10device_ptrIxEEEEPS6_NSA_18transform_iteratorINSA_8identityIxEESF_NSA_11use_defaultESK_EENS0_5tupleIJSF_SF_EEENSM_IJSG_SG_EEES6_PlJS6_EEE10hipError_tPvRmT3_T4_T5_T6_T7_T9_mT8_P12ihipStream_tbDpT10_ENKUlT_T0_E_clISt17integral_constantIbLb1EES18_IbLb0EEEEDaS14_S15_EUlS14_E_NS1_11comp_targetILNS1_3genE10ELNS1_11target_archE1200ELNS1_3gpuE4ELNS1_3repE0EEENS1_30default_config_static_selectorELNS0_4arch9wavefront6targetE1EEEvT1_
		.amdhsa_group_segment_fixed_size 0
		.amdhsa_private_segment_fixed_size 0
		.amdhsa_kernarg_size 128
		.amdhsa_user_sgpr_count 2
		.amdhsa_user_sgpr_dispatch_ptr 0
		.amdhsa_user_sgpr_queue_ptr 0
		.amdhsa_user_sgpr_kernarg_segment_ptr 1
		.amdhsa_user_sgpr_dispatch_id 0
		.amdhsa_user_sgpr_kernarg_preload_length 0
		.amdhsa_user_sgpr_kernarg_preload_offset 0
		.amdhsa_user_sgpr_private_segment_size 0
		.amdhsa_uses_dynamic_stack 0
		.amdhsa_enable_private_segment 0
		.amdhsa_system_sgpr_workgroup_id_x 1
		.amdhsa_system_sgpr_workgroup_id_y 0
		.amdhsa_system_sgpr_workgroup_id_z 0
		.amdhsa_system_sgpr_workgroup_info 0
		.amdhsa_system_vgpr_workitem_id 0
		.amdhsa_next_free_vgpr 1
		.amdhsa_next_free_sgpr 0
		.amdhsa_accum_offset 4
		.amdhsa_reserve_vcc 0
		.amdhsa_float_round_mode_32 0
		.amdhsa_float_round_mode_16_64 0
		.amdhsa_float_denorm_mode_32 3
		.amdhsa_float_denorm_mode_16_64 3
		.amdhsa_dx10_clamp 1
		.amdhsa_ieee_mode 1
		.amdhsa_fp16_overflow 0
		.amdhsa_tg_split 0
		.amdhsa_exception_fp_ieee_invalid_op 0
		.amdhsa_exception_fp_denorm_src 0
		.amdhsa_exception_fp_ieee_div_zero 0
		.amdhsa_exception_fp_ieee_overflow 0
		.amdhsa_exception_fp_ieee_underflow 0
		.amdhsa_exception_fp_ieee_inexact 0
		.amdhsa_exception_int_div_zero 0
	.end_amdhsa_kernel
	.section	.text._ZN7rocprim17ROCPRIM_400000_NS6detail17trampoline_kernelINS0_14default_configENS1_25partition_config_selectorILNS1_17partition_subalgoE1ExNS0_10empty_typeEbEEZZNS1_14partition_implILS5_1ELb0ES3_jN6thrust23THRUST_200600_302600_NS6detail15normal_iteratorINSA_10device_ptrIxEEEEPS6_NSA_18transform_iteratorINSA_8identityIxEESF_NSA_11use_defaultESK_EENS0_5tupleIJSF_SF_EEENSM_IJSG_SG_EEES6_PlJS6_EEE10hipError_tPvRmT3_T4_T5_T6_T7_T9_mT8_P12ihipStream_tbDpT10_ENKUlT_T0_E_clISt17integral_constantIbLb1EES18_IbLb0EEEEDaS14_S15_EUlS14_E_NS1_11comp_targetILNS1_3genE10ELNS1_11target_archE1200ELNS1_3gpuE4ELNS1_3repE0EEENS1_30default_config_static_selectorELNS0_4arch9wavefront6targetE1EEEvT1_,"axG",@progbits,_ZN7rocprim17ROCPRIM_400000_NS6detail17trampoline_kernelINS0_14default_configENS1_25partition_config_selectorILNS1_17partition_subalgoE1ExNS0_10empty_typeEbEEZZNS1_14partition_implILS5_1ELb0ES3_jN6thrust23THRUST_200600_302600_NS6detail15normal_iteratorINSA_10device_ptrIxEEEEPS6_NSA_18transform_iteratorINSA_8identityIxEESF_NSA_11use_defaultESK_EENS0_5tupleIJSF_SF_EEENSM_IJSG_SG_EEES6_PlJS6_EEE10hipError_tPvRmT3_T4_T5_T6_T7_T9_mT8_P12ihipStream_tbDpT10_ENKUlT_T0_E_clISt17integral_constantIbLb1EES18_IbLb0EEEEDaS14_S15_EUlS14_E_NS1_11comp_targetILNS1_3genE10ELNS1_11target_archE1200ELNS1_3gpuE4ELNS1_3repE0EEENS1_30default_config_static_selectorELNS0_4arch9wavefront6targetE1EEEvT1_,comdat
.Lfunc_end598:
	.size	_ZN7rocprim17ROCPRIM_400000_NS6detail17trampoline_kernelINS0_14default_configENS1_25partition_config_selectorILNS1_17partition_subalgoE1ExNS0_10empty_typeEbEEZZNS1_14partition_implILS5_1ELb0ES3_jN6thrust23THRUST_200600_302600_NS6detail15normal_iteratorINSA_10device_ptrIxEEEEPS6_NSA_18transform_iteratorINSA_8identityIxEESF_NSA_11use_defaultESK_EENS0_5tupleIJSF_SF_EEENSM_IJSG_SG_EEES6_PlJS6_EEE10hipError_tPvRmT3_T4_T5_T6_T7_T9_mT8_P12ihipStream_tbDpT10_ENKUlT_T0_E_clISt17integral_constantIbLb1EES18_IbLb0EEEEDaS14_S15_EUlS14_E_NS1_11comp_targetILNS1_3genE10ELNS1_11target_archE1200ELNS1_3gpuE4ELNS1_3repE0EEENS1_30default_config_static_selectorELNS0_4arch9wavefront6targetE1EEEvT1_, .Lfunc_end598-_ZN7rocprim17ROCPRIM_400000_NS6detail17trampoline_kernelINS0_14default_configENS1_25partition_config_selectorILNS1_17partition_subalgoE1ExNS0_10empty_typeEbEEZZNS1_14partition_implILS5_1ELb0ES3_jN6thrust23THRUST_200600_302600_NS6detail15normal_iteratorINSA_10device_ptrIxEEEEPS6_NSA_18transform_iteratorINSA_8identityIxEESF_NSA_11use_defaultESK_EENS0_5tupleIJSF_SF_EEENSM_IJSG_SG_EEES6_PlJS6_EEE10hipError_tPvRmT3_T4_T5_T6_T7_T9_mT8_P12ihipStream_tbDpT10_ENKUlT_T0_E_clISt17integral_constantIbLb1EES18_IbLb0EEEEDaS14_S15_EUlS14_E_NS1_11comp_targetILNS1_3genE10ELNS1_11target_archE1200ELNS1_3gpuE4ELNS1_3repE0EEENS1_30default_config_static_selectorELNS0_4arch9wavefront6targetE1EEEvT1_
                                        ; -- End function
	.section	.AMDGPU.csdata,"",@progbits
; Kernel info:
; codeLenInByte = 0
; NumSgprs: 6
; NumVgprs: 0
; NumAgprs: 0
; TotalNumVgprs: 0
; ScratchSize: 0
; MemoryBound: 0
; FloatMode: 240
; IeeeMode: 1
; LDSByteSize: 0 bytes/workgroup (compile time only)
; SGPRBlocks: 0
; VGPRBlocks: 0
; NumSGPRsForWavesPerEU: 6
; NumVGPRsForWavesPerEU: 1
; AccumOffset: 4
; Occupancy: 8
; WaveLimiterHint : 0
; COMPUTE_PGM_RSRC2:SCRATCH_EN: 0
; COMPUTE_PGM_RSRC2:USER_SGPR: 2
; COMPUTE_PGM_RSRC2:TRAP_HANDLER: 0
; COMPUTE_PGM_RSRC2:TGID_X_EN: 1
; COMPUTE_PGM_RSRC2:TGID_Y_EN: 0
; COMPUTE_PGM_RSRC2:TGID_Z_EN: 0
; COMPUTE_PGM_RSRC2:TIDIG_COMP_CNT: 0
; COMPUTE_PGM_RSRC3_GFX90A:ACCUM_OFFSET: 0
; COMPUTE_PGM_RSRC3_GFX90A:TG_SPLIT: 0
	.section	.text._ZN7rocprim17ROCPRIM_400000_NS6detail17trampoline_kernelINS0_14default_configENS1_25partition_config_selectorILNS1_17partition_subalgoE1ExNS0_10empty_typeEbEEZZNS1_14partition_implILS5_1ELb0ES3_jN6thrust23THRUST_200600_302600_NS6detail15normal_iteratorINSA_10device_ptrIxEEEEPS6_NSA_18transform_iteratorINSA_8identityIxEESF_NSA_11use_defaultESK_EENS0_5tupleIJSF_SF_EEENSM_IJSG_SG_EEES6_PlJS6_EEE10hipError_tPvRmT3_T4_T5_T6_T7_T9_mT8_P12ihipStream_tbDpT10_ENKUlT_T0_E_clISt17integral_constantIbLb1EES18_IbLb0EEEEDaS14_S15_EUlS14_E_NS1_11comp_targetILNS1_3genE9ELNS1_11target_archE1100ELNS1_3gpuE3ELNS1_3repE0EEENS1_30default_config_static_selectorELNS0_4arch9wavefront6targetE1EEEvT1_,"axG",@progbits,_ZN7rocprim17ROCPRIM_400000_NS6detail17trampoline_kernelINS0_14default_configENS1_25partition_config_selectorILNS1_17partition_subalgoE1ExNS0_10empty_typeEbEEZZNS1_14partition_implILS5_1ELb0ES3_jN6thrust23THRUST_200600_302600_NS6detail15normal_iteratorINSA_10device_ptrIxEEEEPS6_NSA_18transform_iteratorINSA_8identityIxEESF_NSA_11use_defaultESK_EENS0_5tupleIJSF_SF_EEENSM_IJSG_SG_EEES6_PlJS6_EEE10hipError_tPvRmT3_T4_T5_T6_T7_T9_mT8_P12ihipStream_tbDpT10_ENKUlT_T0_E_clISt17integral_constantIbLb1EES18_IbLb0EEEEDaS14_S15_EUlS14_E_NS1_11comp_targetILNS1_3genE9ELNS1_11target_archE1100ELNS1_3gpuE3ELNS1_3repE0EEENS1_30default_config_static_selectorELNS0_4arch9wavefront6targetE1EEEvT1_,comdat
	.protected	_ZN7rocprim17ROCPRIM_400000_NS6detail17trampoline_kernelINS0_14default_configENS1_25partition_config_selectorILNS1_17partition_subalgoE1ExNS0_10empty_typeEbEEZZNS1_14partition_implILS5_1ELb0ES3_jN6thrust23THRUST_200600_302600_NS6detail15normal_iteratorINSA_10device_ptrIxEEEEPS6_NSA_18transform_iteratorINSA_8identityIxEESF_NSA_11use_defaultESK_EENS0_5tupleIJSF_SF_EEENSM_IJSG_SG_EEES6_PlJS6_EEE10hipError_tPvRmT3_T4_T5_T6_T7_T9_mT8_P12ihipStream_tbDpT10_ENKUlT_T0_E_clISt17integral_constantIbLb1EES18_IbLb0EEEEDaS14_S15_EUlS14_E_NS1_11comp_targetILNS1_3genE9ELNS1_11target_archE1100ELNS1_3gpuE3ELNS1_3repE0EEENS1_30default_config_static_selectorELNS0_4arch9wavefront6targetE1EEEvT1_ ; -- Begin function _ZN7rocprim17ROCPRIM_400000_NS6detail17trampoline_kernelINS0_14default_configENS1_25partition_config_selectorILNS1_17partition_subalgoE1ExNS0_10empty_typeEbEEZZNS1_14partition_implILS5_1ELb0ES3_jN6thrust23THRUST_200600_302600_NS6detail15normal_iteratorINSA_10device_ptrIxEEEEPS6_NSA_18transform_iteratorINSA_8identityIxEESF_NSA_11use_defaultESK_EENS0_5tupleIJSF_SF_EEENSM_IJSG_SG_EEES6_PlJS6_EEE10hipError_tPvRmT3_T4_T5_T6_T7_T9_mT8_P12ihipStream_tbDpT10_ENKUlT_T0_E_clISt17integral_constantIbLb1EES18_IbLb0EEEEDaS14_S15_EUlS14_E_NS1_11comp_targetILNS1_3genE9ELNS1_11target_archE1100ELNS1_3gpuE3ELNS1_3repE0EEENS1_30default_config_static_selectorELNS0_4arch9wavefront6targetE1EEEvT1_
	.globl	_ZN7rocprim17ROCPRIM_400000_NS6detail17trampoline_kernelINS0_14default_configENS1_25partition_config_selectorILNS1_17partition_subalgoE1ExNS0_10empty_typeEbEEZZNS1_14partition_implILS5_1ELb0ES3_jN6thrust23THRUST_200600_302600_NS6detail15normal_iteratorINSA_10device_ptrIxEEEEPS6_NSA_18transform_iteratorINSA_8identityIxEESF_NSA_11use_defaultESK_EENS0_5tupleIJSF_SF_EEENSM_IJSG_SG_EEES6_PlJS6_EEE10hipError_tPvRmT3_T4_T5_T6_T7_T9_mT8_P12ihipStream_tbDpT10_ENKUlT_T0_E_clISt17integral_constantIbLb1EES18_IbLb0EEEEDaS14_S15_EUlS14_E_NS1_11comp_targetILNS1_3genE9ELNS1_11target_archE1100ELNS1_3gpuE3ELNS1_3repE0EEENS1_30default_config_static_selectorELNS0_4arch9wavefront6targetE1EEEvT1_
	.p2align	8
	.type	_ZN7rocprim17ROCPRIM_400000_NS6detail17trampoline_kernelINS0_14default_configENS1_25partition_config_selectorILNS1_17partition_subalgoE1ExNS0_10empty_typeEbEEZZNS1_14partition_implILS5_1ELb0ES3_jN6thrust23THRUST_200600_302600_NS6detail15normal_iteratorINSA_10device_ptrIxEEEEPS6_NSA_18transform_iteratorINSA_8identityIxEESF_NSA_11use_defaultESK_EENS0_5tupleIJSF_SF_EEENSM_IJSG_SG_EEES6_PlJS6_EEE10hipError_tPvRmT3_T4_T5_T6_T7_T9_mT8_P12ihipStream_tbDpT10_ENKUlT_T0_E_clISt17integral_constantIbLb1EES18_IbLb0EEEEDaS14_S15_EUlS14_E_NS1_11comp_targetILNS1_3genE9ELNS1_11target_archE1100ELNS1_3gpuE3ELNS1_3repE0EEENS1_30default_config_static_selectorELNS0_4arch9wavefront6targetE1EEEvT1_,@function
_ZN7rocprim17ROCPRIM_400000_NS6detail17trampoline_kernelINS0_14default_configENS1_25partition_config_selectorILNS1_17partition_subalgoE1ExNS0_10empty_typeEbEEZZNS1_14partition_implILS5_1ELb0ES3_jN6thrust23THRUST_200600_302600_NS6detail15normal_iteratorINSA_10device_ptrIxEEEEPS6_NSA_18transform_iteratorINSA_8identityIxEESF_NSA_11use_defaultESK_EENS0_5tupleIJSF_SF_EEENSM_IJSG_SG_EEES6_PlJS6_EEE10hipError_tPvRmT3_T4_T5_T6_T7_T9_mT8_P12ihipStream_tbDpT10_ENKUlT_T0_E_clISt17integral_constantIbLb1EES18_IbLb0EEEEDaS14_S15_EUlS14_E_NS1_11comp_targetILNS1_3genE9ELNS1_11target_archE1100ELNS1_3gpuE3ELNS1_3repE0EEENS1_30default_config_static_selectorELNS0_4arch9wavefront6targetE1EEEvT1_: ; @_ZN7rocprim17ROCPRIM_400000_NS6detail17trampoline_kernelINS0_14default_configENS1_25partition_config_selectorILNS1_17partition_subalgoE1ExNS0_10empty_typeEbEEZZNS1_14partition_implILS5_1ELb0ES3_jN6thrust23THRUST_200600_302600_NS6detail15normal_iteratorINSA_10device_ptrIxEEEEPS6_NSA_18transform_iteratorINSA_8identityIxEESF_NSA_11use_defaultESK_EENS0_5tupleIJSF_SF_EEENSM_IJSG_SG_EEES6_PlJS6_EEE10hipError_tPvRmT3_T4_T5_T6_T7_T9_mT8_P12ihipStream_tbDpT10_ENKUlT_T0_E_clISt17integral_constantIbLb1EES18_IbLb0EEEEDaS14_S15_EUlS14_E_NS1_11comp_targetILNS1_3genE9ELNS1_11target_archE1100ELNS1_3gpuE3ELNS1_3repE0EEENS1_30default_config_static_selectorELNS0_4arch9wavefront6targetE1EEEvT1_
; %bb.0:
	.section	.rodata,"a",@progbits
	.p2align	6, 0x0
	.amdhsa_kernel _ZN7rocprim17ROCPRIM_400000_NS6detail17trampoline_kernelINS0_14default_configENS1_25partition_config_selectorILNS1_17partition_subalgoE1ExNS0_10empty_typeEbEEZZNS1_14partition_implILS5_1ELb0ES3_jN6thrust23THRUST_200600_302600_NS6detail15normal_iteratorINSA_10device_ptrIxEEEEPS6_NSA_18transform_iteratorINSA_8identityIxEESF_NSA_11use_defaultESK_EENS0_5tupleIJSF_SF_EEENSM_IJSG_SG_EEES6_PlJS6_EEE10hipError_tPvRmT3_T4_T5_T6_T7_T9_mT8_P12ihipStream_tbDpT10_ENKUlT_T0_E_clISt17integral_constantIbLb1EES18_IbLb0EEEEDaS14_S15_EUlS14_E_NS1_11comp_targetILNS1_3genE9ELNS1_11target_archE1100ELNS1_3gpuE3ELNS1_3repE0EEENS1_30default_config_static_selectorELNS0_4arch9wavefront6targetE1EEEvT1_
		.amdhsa_group_segment_fixed_size 0
		.amdhsa_private_segment_fixed_size 0
		.amdhsa_kernarg_size 128
		.amdhsa_user_sgpr_count 2
		.amdhsa_user_sgpr_dispatch_ptr 0
		.amdhsa_user_sgpr_queue_ptr 0
		.amdhsa_user_sgpr_kernarg_segment_ptr 1
		.amdhsa_user_sgpr_dispatch_id 0
		.amdhsa_user_sgpr_kernarg_preload_length 0
		.amdhsa_user_sgpr_kernarg_preload_offset 0
		.amdhsa_user_sgpr_private_segment_size 0
		.amdhsa_uses_dynamic_stack 0
		.amdhsa_enable_private_segment 0
		.amdhsa_system_sgpr_workgroup_id_x 1
		.amdhsa_system_sgpr_workgroup_id_y 0
		.amdhsa_system_sgpr_workgroup_id_z 0
		.amdhsa_system_sgpr_workgroup_info 0
		.amdhsa_system_vgpr_workitem_id 0
		.amdhsa_next_free_vgpr 1
		.amdhsa_next_free_sgpr 0
		.amdhsa_accum_offset 4
		.amdhsa_reserve_vcc 0
		.amdhsa_float_round_mode_32 0
		.amdhsa_float_round_mode_16_64 0
		.amdhsa_float_denorm_mode_32 3
		.amdhsa_float_denorm_mode_16_64 3
		.amdhsa_dx10_clamp 1
		.amdhsa_ieee_mode 1
		.amdhsa_fp16_overflow 0
		.amdhsa_tg_split 0
		.amdhsa_exception_fp_ieee_invalid_op 0
		.amdhsa_exception_fp_denorm_src 0
		.amdhsa_exception_fp_ieee_div_zero 0
		.amdhsa_exception_fp_ieee_overflow 0
		.amdhsa_exception_fp_ieee_underflow 0
		.amdhsa_exception_fp_ieee_inexact 0
		.amdhsa_exception_int_div_zero 0
	.end_amdhsa_kernel
	.section	.text._ZN7rocprim17ROCPRIM_400000_NS6detail17trampoline_kernelINS0_14default_configENS1_25partition_config_selectorILNS1_17partition_subalgoE1ExNS0_10empty_typeEbEEZZNS1_14partition_implILS5_1ELb0ES3_jN6thrust23THRUST_200600_302600_NS6detail15normal_iteratorINSA_10device_ptrIxEEEEPS6_NSA_18transform_iteratorINSA_8identityIxEESF_NSA_11use_defaultESK_EENS0_5tupleIJSF_SF_EEENSM_IJSG_SG_EEES6_PlJS6_EEE10hipError_tPvRmT3_T4_T5_T6_T7_T9_mT8_P12ihipStream_tbDpT10_ENKUlT_T0_E_clISt17integral_constantIbLb1EES18_IbLb0EEEEDaS14_S15_EUlS14_E_NS1_11comp_targetILNS1_3genE9ELNS1_11target_archE1100ELNS1_3gpuE3ELNS1_3repE0EEENS1_30default_config_static_selectorELNS0_4arch9wavefront6targetE1EEEvT1_,"axG",@progbits,_ZN7rocprim17ROCPRIM_400000_NS6detail17trampoline_kernelINS0_14default_configENS1_25partition_config_selectorILNS1_17partition_subalgoE1ExNS0_10empty_typeEbEEZZNS1_14partition_implILS5_1ELb0ES3_jN6thrust23THRUST_200600_302600_NS6detail15normal_iteratorINSA_10device_ptrIxEEEEPS6_NSA_18transform_iteratorINSA_8identityIxEESF_NSA_11use_defaultESK_EENS0_5tupleIJSF_SF_EEENSM_IJSG_SG_EEES6_PlJS6_EEE10hipError_tPvRmT3_T4_T5_T6_T7_T9_mT8_P12ihipStream_tbDpT10_ENKUlT_T0_E_clISt17integral_constantIbLb1EES18_IbLb0EEEEDaS14_S15_EUlS14_E_NS1_11comp_targetILNS1_3genE9ELNS1_11target_archE1100ELNS1_3gpuE3ELNS1_3repE0EEENS1_30default_config_static_selectorELNS0_4arch9wavefront6targetE1EEEvT1_,comdat
.Lfunc_end599:
	.size	_ZN7rocprim17ROCPRIM_400000_NS6detail17trampoline_kernelINS0_14default_configENS1_25partition_config_selectorILNS1_17partition_subalgoE1ExNS0_10empty_typeEbEEZZNS1_14partition_implILS5_1ELb0ES3_jN6thrust23THRUST_200600_302600_NS6detail15normal_iteratorINSA_10device_ptrIxEEEEPS6_NSA_18transform_iteratorINSA_8identityIxEESF_NSA_11use_defaultESK_EENS0_5tupleIJSF_SF_EEENSM_IJSG_SG_EEES6_PlJS6_EEE10hipError_tPvRmT3_T4_T5_T6_T7_T9_mT8_P12ihipStream_tbDpT10_ENKUlT_T0_E_clISt17integral_constantIbLb1EES18_IbLb0EEEEDaS14_S15_EUlS14_E_NS1_11comp_targetILNS1_3genE9ELNS1_11target_archE1100ELNS1_3gpuE3ELNS1_3repE0EEENS1_30default_config_static_selectorELNS0_4arch9wavefront6targetE1EEEvT1_, .Lfunc_end599-_ZN7rocprim17ROCPRIM_400000_NS6detail17trampoline_kernelINS0_14default_configENS1_25partition_config_selectorILNS1_17partition_subalgoE1ExNS0_10empty_typeEbEEZZNS1_14partition_implILS5_1ELb0ES3_jN6thrust23THRUST_200600_302600_NS6detail15normal_iteratorINSA_10device_ptrIxEEEEPS6_NSA_18transform_iteratorINSA_8identityIxEESF_NSA_11use_defaultESK_EENS0_5tupleIJSF_SF_EEENSM_IJSG_SG_EEES6_PlJS6_EEE10hipError_tPvRmT3_T4_T5_T6_T7_T9_mT8_P12ihipStream_tbDpT10_ENKUlT_T0_E_clISt17integral_constantIbLb1EES18_IbLb0EEEEDaS14_S15_EUlS14_E_NS1_11comp_targetILNS1_3genE9ELNS1_11target_archE1100ELNS1_3gpuE3ELNS1_3repE0EEENS1_30default_config_static_selectorELNS0_4arch9wavefront6targetE1EEEvT1_
                                        ; -- End function
	.section	.AMDGPU.csdata,"",@progbits
; Kernel info:
; codeLenInByte = 0
; NumSgprs: 6
; NumVgprs: 0
; NumAgprs: 0
; TotalNumVgprs: 0
; ScratchSize: 0
; MemoryBound: 0
; FloatMode: 240
; IeeeMode: 1
; LDSByteSize: 0 bytes/workgroup (compile time only)
; SGPRBlocks: 0
; VGPRBlocks: 0
; NumSGPRsForWavesPerEU: 6
; NumVGPRsForWavesPerEU: 1
; AccumOffset: 4
; Occupancy: 8
; WaveLimiterHint : 0
; COMPUTE_PGM_RSRC2:SCRATCH_EN: 0
; COMPUTE_PGM_RSRC2:USER_SGPR: 2
; COMPUTE_PGM_RSRC2:TRAP_HANDLER: 0
; COMPUTE_PGM_RSRC2:TGID_X_EN: 1
; COMPUTE_PGM_RSRC2:TGID_Y_EN: 0
; COMPUTE_PGM_RSRC2:TGID_Z_EN: 0
; COMPUTE_PGM_RSRC2:TIDIG_COMP_CNT: 0
; COMPUTE_PGM_RSRC3_GFX90A:ACCUM_OFFSET: 0
; COMPUTE_PGM_RSRC3_GFX90A:TG_SPLIT: 0
	.section	.text._ZN7rocprim17ROCPRIM_400000_NS6detail17trampoline_kernelINS0_14default_configENS1_25partition_config_selectorILNS1_17partition_subalgoE1ExNS0_10empty_typeEbEEZZNS1_14partition_implILS5_1ELb0ES3_jN6thrust23THRUST_200600_302600_NS6detail15normal_iteratorINSA_10device_ptrIxEEEEPS6_NSA_18transform_iteratorINSA_8identityIxEESF_NSA_11use_defaultESK_EENS0_5tupleIJSF_SF_EEENSM_IJSG_SG_EEES6_PlJS6_EEE10hipError_tPvRmT3_T4_T5_T6_T7_T9_mT8_P12ihipStream_tbDpT10_ENKUlT_T0_E_clISt17integral_constantIbLb1EES18_IbLb0EEEEDaS14_S15_EUlS14_E_NS1_11comp_targetILNS1_3genE8ELNS1_11target_archE1030ELNS1_3gpuE2ELNS1_3repE0EEENS1_30default_config_static_selectorELNS0_4arch9wavefront6targetE1EEEvT1_,"axG",@progbits,_ZN7rocprim17ROCPRIM_400000_NS6detail17trampoline_kernelINS0_14default_configENS1_25partition_config_selectorILNS1_17partition_subalgoE1ExNS0_10empty_typeEbEEZZNS1_14partition_implILS5_1ELb0ES3_jN6thrust23THRUST_200600_302600_NS6detail15normal_iteratorINSA_10device_ptrIxEEEEPS6_NSA_18transform_iteratorINSA_8identityIxEESF_NSA_11use_defaultESK_EENS0_5tupleIJSF_SF_EEENSM_IJSG_SG_EEES6_PlJS6_EEE10hipError_tPvRmT3_T4_T5_T6_T7_T9_mT8_P12ihipStream_tbDpT10_ENKUlT_T0_E_clISt17integral_constantIbLb1EES18_IbLb0EEEEDaS14_S15_EUlS14_E_NS1_11comp_targetILNS1_3genE8ELNS1_11target_archE1030ELNS1_3gpuE2ELNS1_3repE0EEENS1_30default_config_static_selectorELNS0_4arch9wavefront6targetE1EEEvT1_,comdat
	.protected	_ZN7rocprim17ROCPRIM_400000_NS6detail17trampoline_kernelINS0_14default_configENS1_25partition_config_selectorILNS1_17partition_subalgoE1ExNS0_10empty_typeEbEEZZNS1_14partition_implILS5_1ELb0ES3_jN6thrust23THRUST_200600_302600_NS6detail15normal_iteratorINSA_10device_ptrIxEEEEPS6_NSA_18transform_iteratorINSA_8identityIxEESF_NSA_11use_defaultESK_EENS0_5tupleIJSF_SF_EEENSM_IJSG_SG_EEES6_PlJS6_EEE10hipError_tPvRmT3_T4_T5_T6_T7_T9_mT8_P12ihipStream_tbDpT10_ENKUlT_T0_E_clISt17integral_constantIbLb1EES18_IbLb0EEEEDaS14_S15_EUlS14_E_NS1_11comp_targetILNS1_3genE8ELNS1_11target_archE1030ELNS1_3gpuE2ELNS1_3repE0EEENS1_30default_config_static_selectorELNS0_4arch9wavefront6targetE1EEEvT1_ ; -- Begin function _ZN7rocprim17ROCPRIM_400000_NS6detail17trampoline_kernelINS0_14default_configENS1_25partition_config_selectorILNS1_17partition_subalgoE1ExNS0_10empty_typeEbEEZZNS1_14partition_implILS5_1ELb0ES3_jN6thrust23THRUST_200600_302600_NS6detail15normal_iteratorINSA_10device_ptrIxEEEEPS6_NSA_18transform_iteratorINSA_8identityIxEESF_NSA_11use_defaultESK_EENS0_5tupleIJSF_SF_EEENSM_IJSG_SG_EEES6_PlJS6_EEE10hipError_tPvRmT3_T4_T5_T6_T7_T9_mT8_P12ihipStream_tbDpT10_ENKUlT_T0_E_clISt17integral_constantIbLb1EES18_IbLb0EEEEDaS14_S15_EUlS14_E_NS1_11comp_targetILNS1_3genE8ELNS1_11target_archE1030ELNS1_3gpuE2ELNS1_3repE0EEENS1_30default_config_static_selectorELNS0_4arch9wavefront6targetE1EEEvT1_
	.globl	_ZN7rocprim17ROCPRIM_400000_NS6detail17trampoline_kernelINS0_14default_configENS1_25partition_config_selectorILNS1_17partition_subalgoE1ExNS0_10empty_typeEbEEZZNS1_14partition_implILS5_1ELb0ES3_jN6thrust23THRUST_200600_302600_NS6detail15normal_iteratorINSA_10device_ptrIxEEEEPS6_NSA_18transform_iteratorINSA_8identityIxEESF_NSA_11use_defaultESK_EENS0_5tupleIJSF_SF_EEENSM_IJSG_SG_EEES6_PlJS6_EEE10hipError_tPvRmT3_T4_T5_T6_T7_T9_mT8_P12ihipStream_tbDpT10_ENKUlT_T0_E_clISt17integral_constantIbLb1EES18_IbLb0EEEEDaS14_S15_EUlS14_E_NS1_11comp_targetILNS1_3genE8ELNS1_11target_archE1030ELNS1_3gpuE2ELNS1_3repE0EEENS1_30default_config_static_selectorELNS0_4arch9wavefront6targetE1EEEvT1_
	.p2align	8
	.type	_ZN7rocprim17ROCPRIM_400000_NS6detail17trampoline_kernelINS0_14default_configENS1_25partition_config_selectorILNS1_17partition_subalgoE1ExNS0_10empty_typeEbEEZZNS1_14partition_implILS5_1ELb0ES3_jN6thrust23THRUST_200600_302600_NS6detail15normal_iteratorINSA_10device_ptrIxEEEEPS6_NSA_18transform_iteratorINSA_8identityIxEESF_NSA_11use_defaultESK_EENS0_5tupleIJSF_SF_EEENSM_IJSG_SG_EEES6_PlJS6_EEE10hipError_tPvRmT3_T4_T5_T6_T7_T9_mT8_P12ihipStream_tbDpT10_ENKUlT_T0_E_clISt17integral_constantIbLb1EES18_IbLb0EEEEDaS14_S15_EUlS14_E_NS1_11comp_targetILNS1_3genE8ELNS1_11target_archE1030ELNS1_3gpuE2ELNS1_3repE0EEENS1_30default_config_static_selectorELNS0_4arch9wavefront6targetE1EEEvT1_,@function
_ZN7rocprim17ROCPRIM_400000_NS6detail17trampoline_kernelINS0_14default_configENS1_25partition_config_selectorILNS1_17partition_subalgoE1ExNS0_10empty_typeEbEEZZNS1_14partition_implILS5_1ELb0ES3_jN6thrust23THRUST_200600_302600_NS6detail15normal_iteratorINSA_10device_ptrIxEEEEPS6_NSA_18transform_iteratorINSA_8identityIxEESF_NSA_11use_defaultESK_EENS0_5tupleIJSF_SF_EEENSM_IJSG_SG_EEES6_PlJS6_EEE10hipError_tPvRmT3_T4_T5_T6_T7_T9_mT8_P12ihipStream_tbDpT10_ENKUlT_T0_E_clISt17integral_constantIbLb1EES18_IbLb0EEEEDaS14_S15_EUlS14_E_NS1_11comp_targetILNS1_3genE8ELNS1_11target_archE1030ELNS1_3gpuE2ELNS1_3repE0EEENS1_30default_config_static_selectorELNS0_4arch9wavefront6targetE1EEEvT1_: ; @_ZN7rocprim17ROCPRIM_400000_NS6detail17trampoline_kernelINS0_14default_configENS1_25partition_config_selectorILNS1_17partition_subalgoE1ExNS0_10empty_typeEbEEZZNS1_14partition_implILS5_1ELb0ES3_jN6thrust23THRUST_200600_302600_NS6detail15normal_iteratorINSA_10device_ptrIxEEEEPS6_NSA_18transform_iteratorINSA_8identityIxEESF_NSA_11use_defaultESK_EENS0_5tupleIJSF_SF_EEENSM_IJSG_SG_EEES6_PlJS6_EEE10hipError_tPvRmT3_T4_T5_T6_T7_T9_mT8_P12ihipStream_tbDpT10_ENKUlT_T0_E_clISt17integral_constantIbLb1EES18_IbLb0EEEEDaS14_S15_EUlS14_E_NS1_11comp_targetILNS1_3genE8ELNS1_11target_archE1030ELNS1_3gpuE2ELNS1_3repE0EEENS1_30default_config_static_selectorELNS0_4arch9wavefront6targetE1EEEvT1_
; %bb.0:
	.section	.rodata,"a",@progbits
	.p2align	6, 0x0
	.amdhsa_kernel _ZN7rocprim17ROCPRIM_400000_NS6detail17trampoline_kernelINS0_14default_configENS1_25partition_config_selectorILNS1_17partition_subalgoE1ExNS0_10empty_typeEbEEZZNS1_14partition_implILS5_1ELb0ES3_jN6thrust23THRUST_200600_302600_NS6detail15normal_iteratorINSA_10device_ptrIxEEEEPS6_NSA_18transform_iteratorINSA_8identityIxEESF_NSA_11use_defaultESK_EENS0_5tupleIJSF_SF_EEENSM_IJSG_SG_EEES6_PlJS6_EEE10hipError_tPvRmT3_T4_T5_T6_T7_T9_mT8_P12ihipStream_tbDpT10_ENKUlT_T0_E_clISt17integral_constantIbLb1EES18_IbLb0EEEEDaS14_S15_EUlS14_E_NS1_11comp_targetILNS1_3genE8ELNS1_11target_archE1030ELNS1_3gpuE2ELNS1_3repE0EEENS1_30default_config_static_selectorELNS0_4arch9wavefront6targetE1EEEvT1_
		.amdhsa_group_segment_fixed_size 0
		.amdhsa_private_segment_fixed_size 0
		.amdhsa_kernarg_size 128
		.amdhsa_user_sgpr_count 2
		.amdhsa_user_sgpr_dispatch_ptr 0
		.amdhsa_user_sgpr_queue_ptr 0
		.amdhsa_user_sgpr_kernarg_segment_ptr 1
		.amdhsa_user_sgpr_dispatch_id 0
		.amdhsa_user_sgpr_kernarg_preload_length 0
		.amdhsa_user_sgpr_kernarg_preload_offset 0
		.amdhsa_user_sgpr_private_segment_size 0
		.amdhsa_uses_dynamic_stack 0
		.amdhsa_enable_private_segment 0
		.amdhsa_system_sgpr_workgroup_id_x 1
		.amdhsa_system_sgpr_workgroup_id_y 0
		.amdhsa_system_sgpr_workgroup_id_z 0
		.amdhsa_system_sgpr_workgroup_info 0
		.amdhsa_system_vgpr_workitem_id 0
		.amdhsa_next_free_vgpr 1
		.amdhsa_next_free_sgpr 0
		.amdhsa_accum_offset 4
		.amdhsa_reserve_vcc 0
		.amdhsa_float_round_mode_32 0
		.amdhsa_float_round_mode_16_64 0
		.amdhsa_float_denorm_mode_32 3
		.amdhsa_float_denorm_mode_16_64 3
		.amdhsa_dx10_clamp 1
		.amdhsa_ieee_mode 1
		.amdhsa_fp16_overflow 0
		.amdhsa_tg_split 0
		.amdhsa_exception_fp_ieee_invalid_op 0
		.amdhsa_exception_fp_denorm_src 0
		.amdhsa_exception_fp_ieee_div_zero 0
		.amdhsa_exception_fp_ieee_overflow 0
		.amdhsa_exception_fp_ieee_underflow 0
		.amdhsa_exception_fp_ieee_inexact 0
		.amdhsa_exception_int_div_zero 0
	.end_amdhsa_kernel
	.section	.text._ZN7rocprim17ROCPRIM_400000_NS6detail17trampoline_kernelINS0_14default_configENS1_25partition_config_selectorILNS1_17partition_subalgoE1ExNS0_10empty_typeEbEEZZNS1_14partition_implILS5_1ELb0ES3_jN6thrust23THRUST_200600_302600_NS6detail15normal_iteratorINSA_10device_ptrIxEEEEPS6_NSA_18transform_iteratorINSA_8identityIxEESF_NSA_11use_defaultESK_EENS0_5tupleIJSF_SF_EEENSM_IJSG_SG_EEES6_PlJS6_EEE10hipError_tPvRmT3_T4_T5_T6_T7_T9_mT8_P12ihipStream_tbDpT10_ENKUlT_T0_E_clISt17integral_constantIbLb1EES18_IbLb0EEEEDaS14_S15_EUlS14_E_NS1_11comp_targetILNS1_3genE8ELNS1_11target_archE1030ELNS1_3gpuE2ELNS1_3repE0EEENS1_30default_config_static_selectorELNS0_4arch9wavefront6targetE1EEEvT1_,"axG",@progbits,_ZN7rocprim17ROCPRIM_400000_NS6detail17trampoline_kernelINS0_14default_configENS1_25partition_config_selectorILNS1_17partition_subalgoE1ExNS0_10empty_typeEbEEZZNS1_14partition_implILS5_1ELb0ES3_jN6thrust23THRUST_200600_302600_NS6detail15normal_iteratorINSA_10device_ptrIxEEEEPS6_NSA_18transform_iteratorINSA_8identityIxEESF_NSA_11use_defaultESK_EENS0_5tupleIJSF_SF_EEENSM_IJSG_SG_EEES6_PlJS6_EEE10hipError_tPvRmT3_T4_T5_T6_T7_T9_mT8_P12ihipStream_tbDpT10_ENKUlT_T0_E_clISt17integral_constantIbLb1EES18_IbLb0EEEEDaS14_S15_EUlS14_E_NS1_11comp_targetILNS1_3genE8ELNS1_11target_archE1030ELNS1_3gpuE2ELNS1_3repE0EEENS1_30default_config_static_selectorELNS0_4arch9wavefront6targetE1EEEvT1_,comdat
.Lfunc_end600:
	.size	_ZN7rocprim17ROCPRIM_400000_NS6detail17trampoline_kernelINS0_14default_configENS1_25partition_config_selectorILNS1_17partition_subalgoE1ExNS0_10empty_typeEbEEZZNS1_14partition_implILS5_1ELb0ES3_jN6thrust23THRUST_200600_302600_NS6detail15normal_iteratorINSA_10device_ptrIxEEEEPS6_NSA_18transform_iteratorINSA_8identityIxEESF_NSA_11use_defaultESK_EENS0_5tupleIJSF_SF_EEENSM_IJSG_SG_EEES6_PlJS6_EEE10hipError_tPvRmT3_T4_T5_T6_T7_T9_mT8_P12ihipStream_tbDpT10_ENKUlT_T0_E_clISt17integral_constantIbLb1EES18_IbLb0EEEEDaS14_S15_EUlS14_E_NS1_11comp_targetILNS1_3genE8ELNS1_11target_archE1030ELNS1_3gpuE2ELNS1_3repE0EEENS1_30default_config_static_selectorELNS0_4arch9wavefront6targetE1EEEvT1_, .Lfunc_end600-_ZN7rocprim17ROCPRIM_400000_NS6detail17trampoline_kernelINS0_14default_configENS1_25partition_config_selectorILNS1_17partition_subalgoE1ExNS0_10empty_typeEbEEZZNS1_14partition_implILS5_1ELb0ES3_jN6thrust23THRUST_200600_302600_NS6detail15normal_iteratorINSA_10device_ptrIxEEEEPS6_NSA_18transform_iteratorINSA_8identityIxEESF_NSA_11use_defaultESK_EENS0_5tupleIJSF_SF_EEENSM_IJSG_SG_EEES6_PlJS6_EEE10hipError_tPvRmT3_T4_T5_T6_T7_T9_mT8_P12ihipStream_tbDpT10_ENKUlT_T0_E_clISt17integral_constantIbLb1EES18_IbLb0EEEEDaS14_S15_EUlS14_E_NS1_11comp_targetILNS1_3genE8ELNS1_11target_archE1030ELNS1_3gpuE2ELNS1_3repE0EEENS1_30default_config_static_selectorELNS0_4arch9wavefront6targetE1EEEvT1_
                                        ; -- End function
	.section	.AMDGPU.csdata,"",@progbits
; Kernel info:
; codeLenInByte = 0
; NumSgprs: 6
; NumVgprs: 0
; NumAgprs: 0
; TotalNumVgprs: 0
; ScratchSize: 0
; MemoryBound: 0
; FloatMode: 240
; IeeeMode: 1
; LDSByteSize: 0 bytes/workgroup (compile time only)
; SGPRBlocks: 0
; VGPRBlocks: 0
; NumSGPRsForWavesPerEU: 6
; NumVGPRsForWavesPerEU: 1
; AccumOffset: 4
; Occupancy: 8
; WaveLimiterHint : 0
; COMPUTE_PGM_RSRC2:SCRATCH_EN: 0
; COMPUTE_PGM_RSRC2:USER_SGPR: 2
; COMPUTE_PGM_RSRC2:TRAP_HANDLER: 0
; COMPUTE_PGM_RSRC2:TGID_X_EN: 1
; COMPUTE_PGM_RSRC2:TGID_Y_EN: 0
; COMPUTE_PGM_RSRC2:TGID_Z_EN: 0
; COMPUTE_PGM_RSRC2:TIDIG_COMP_CNT: 0
; COMPUTE_PGM_RSRC3_GFX90A:ACCUM_OFFSET: 0
; COMPUTE_PGM_RSRC3_GFX90A:TG_SPLIT: 0
	.section	.text._ZN7rocprim17ROCPRIM_400000_NS6detail17trampoline_kernelINS0_14default_configENS1_25partition_config_selectorILNS1_17partition_subalgoE1ExNS0_10empty_typeEbEEZZNS1_14partition_implILS5_1ELb0ES3_jN6thrust23THRUST_200600_302600_NS6detail15normal_iteratorINSA_10device_ptrIxEEEEPS6_NSA_18transform_iteratorINSA_8identityIxEESF_NSA_11use_defaultESK_EENS0_5tupleIJSF_SF_EEENSM_IJSG_SG_EEES6_PlJS6_EEE10hipError_tPvRmT3_T4_T5_T6_T7_T9_mT8_P12ihipStream_tbDpT10_ENKUlT_T0_E_clISt17integral_constantIbLb0EES18_IbLb1EEEEDaS14_S15_EUlS14_E_NS1_11comp_targetILNS1_3genE0ELNS1_11target_archE4294967295ELNS1_3gpuE0ELNS1_3repE0EEENS1_30default_config_static_selectorELNS0_4arch9wavefront6targetE1EEEvT1_,"axG",@progbits,_ZN7rocprim17ROCPRIM_400000_NS6detail17trampoline_kernelINS0_14default_configENS1_25partition_config_selectorILNS1_17partition_subalgoE1ExNS0_10empty_typeEbEEZZNS1_14partition_implILS5_1ELb0ES3_jN6thrust23THRUST_200600_302600_NS6detail15normal_iteratorINSA_10device_ptrIxEEEEPS6_NSA_18transform_iteratorINSA_8identityIxEESF_NSA_11use_defaultESK_EENS0_5tupleIJSF_SF_EEENSM_IJSG_SG_EEES6_PlJS6_EEE10hipError_tPvRmT3_T4_T5_T6_T7_T9_mT8_P12ihipStream_tbDpT10_ENKUlT_T0_E_clISt17integral_constantIbLb0EES18_IbLb1EEEEDaS14_S15_EUlS14_E_NS1_11comp_targetILNS1_3genE0ELNS1_11target_archE4294967295ELNS1_3gpuE0ELNS1_3repE0EEENS1_30default_config_static_selectorELNS0_4arch9wavefront6targetE1EEEvT1_,comdat
	.protected	_ZN7rocprim17ROCPRIM_400000_NS6detail17trampoline_kernelINS0_14default_configENS1_25partition_config_selectorILNS1_17partition_subalgoE1ExNS0_10empty_typeEbEEZZNS1_14partition_implILS5_1ELb0ES3_jN6thrust23THRUST_200600_302600_NS6detail15normal_iteratorINSA_10device_ptrIxEEEEPS6_NSA_18transform_iteratorINSA_8identityIxEESF_NSA_11use_defaultESK_EENS0_5tupleIJSF_SF_EEENSM_IJSG_SG_EEES6_PlJS6_EEE10hipError_tPvRmT3_T4_T5_T6_T7_T9_mT8_P12ihipStream_tbDpT10_ENKUlT_T0_E_clISt17integral_constantIbLb0EES18_IbLb1EEEEDaS14_S15_EUlS14_E_NS1_11comp_targetILNS1_3genE0ELNS1_11target_archE4294967295ELNS1_3gpuE0ELNS1_3repE0EEENS1_30default_config_static_selectorELNS0_4arch9wavefront6targetE1EEEvT1_ ; -- Begin function _ZN7rocprim17ROCPRIM_400000_NS6detail17trampoline_kernelINS0_14default_configENS1_25partition_config_selectorILNS1_17partition_subalgoE1ExNS0_10empty_typeEbEEZZNS1_14partition_implILS5_1ELb0ES3_jN6thrust23THRUST_200600_302600_NS6detail15normal_iteratorINSA_10device_ptrIxEEEEPS6_NSA_18transform_iteratorINSA_8identityIxEESF_NSA_11use_defaultESK_EENS0_5tupleIJSF_SF_EEENSM_IJSG_SG_EEES6_PlJS6_EEE10hipError_tPvRmT3_T4_T5_T6_T7_T9_mT8_P12ihipStream_tbDpT10_ENKUlT_T0_E_clISt17integral_constantIbLb0EES18_IbLb1EEEEDaS14_S15_EUlS14_E_NS1_11comp_targetILNS1_3genE0ELNS1_11target_archE4294967295ELNS1_3gpuE0ELNS1_3repE0EEENS1_30default_config_static_selectorELNS0_4arch9wavefront6targetE1EEEvT1_
	.globl	_ZN7rocprim17ROCPRIM_400000_NS6detail17trampoline_kernelINS0_14default_configENS1_25partition_config_selectorILNS1_17partition_subalgoE1ExNS0_10empty_typeEbEEZZNS1_14partition_implILS5_1ELb0ES3_jN6thrust23THRUST_200600_302600_NS6detail15normal_iteratorINSA_10device_ptrIxEEEEPS6_NSA_18transform_iteratorINSA_8identityIxEESF_NSA_11use_defaultESK_EENS0_5tupleIJSF_SF_EEENSM_IJSG_SG_EEES6_PlJS6_EEE10hipError_tPvRmT3_T4_T5_T6_T7_T9_mT8_P12ihipStream_tbDpT10_ENKUlT_T0_E_clISt17integral_constantIbLb0EES18_IbLb1EEEEDaS14_S15_EUlS14_E_NS1_11comp_targetILNS1_3genE0ELNS1_11target_archE4294967295ELNS1_3gpuE0ELNS1_3repE0EEENS1_30default_config_static_selectorELNS0_4arch9wavefront6targetE1EEEvT1_
	.p2align	8
	.type	_ZN7rocprim17ROCPRIM_400000_NS6detail17trampoline_kernelINS0_14default_configENS1_25partition_config_selectorILNS1_17partition_subalgoE1ExNS0_10empty_typeEbEEZZNS1_14partition_implILS5_1ELb0ES3_jN6thrust23THRUST_200600_302600_NS6detail15normal_iteratorINSA_10device_ptrIxEEEEPS6_NSA_18transform_iteratorINSA_8identityIxEESF_NSA_11use_defaultESK_EENS0_5tupleIJSF_SF_EEENSM_IJSG_SG_EEES6_PlJS6_EEE10hipError_tPvRmT3_T4_T5_T6_T7_T9_mT8_P12ihipStream_tbDpT10_ENKUlT_T0_E_clISt17integral_constantIbLb0EES18_IbLb1EEEEDaS14_S15_EUlS14_E_NS1_11comp_targetILNS1_3genE0ELNS1_11target_archE4294967295ELNS1_3gpuE0ELNS1_3repE0EEENS1_30default_config_static_selectorELNS0_4arch9wavefront6targetE1EEEvT1_,@function
_ZN7rocprim17ROCPRIM_400000_NS6detail17trampoline_kernelINS0_14default_configENS1_25partition_config_selectorILNS1_17partition_subalgoE1ExNS0_10empty_typeEbEEZZNS1_14partition_implILS5_1ELb0ES3_jN6thrust23THRUST_200600_302600_NS6detail15normal_iteratorINSA_10device_ptrIxEEEEPS6_NSA_18transform_iteratorINSA_8identityIxEESF_NSA_11use_defaultESK_EENS0_5tupleIJSF_SF_EEENSM_IJSG_SG_EEES6_PlJS6_EEE10hipError_tPvRmT3_T4_T5_T6_T7_T9_mT8_P12ihipStream_tbDpT10_ENKUlT_T0_E_clISt17integral_constantIbLb0EES18_IbLb1EEEEDaS14_S15_EUlS14_E_NS1_11comp_targetILNS1_3genE0ELNS1_11target_archE4294967295ELNS1_3gpuE0ELNS1_3repE0EEENS1_30default_config_static_selectorELNS0_4arch9wavefront6targetE1EEEvT1_: ; @_ZN7rocprim17ROCPRIM_400000_NS6detail17trampoline_kernelINS0_14default_configENS1_25partition_config_selectorILNS1_17partition_subalgoE1ExNS0_10empty_typeEbEEZZNS1_14partition_implILS5_1ELb0ES3_jN6thrust23THRUST_200600_302600_NS6detail15normal_iteratorINSA_10device_ptrIxEEEEPS6_NSA_18transform_iteratorINSA_8identityIxEESF_NSA_11use_defaultESK_EENS0_5tupleIJSF_SF_EEENSM_IJSG_SG_EEES6_PlJS6_EEE10hipError_tPvRmT3_T4_T5_T6_T7_T9_mT8_P12ihipStream_tbDpT10_ENKUlT_T0_E_clISt17integral_constantIbLb0EES18_IbLb1EEEEDaS14_S15_EUlS14_E_NS1_11comp_targetILNS1_3genE0ELNS1_11target_archE4294967295ELNS1_3gpuE0ELNS1_3repE0EEENS1_30default_config_static_selectorELNS0_4arch9wavefront6targetE1EEEvT1_
; %bb.0:
	.section	.rodata,"a",@progbits
	.p2align	6, 0x0
	.amdhsa_kernel _ZN7rocprim17ROCPRIM_400000_NS6detail17trampoline_kernelINS0_14default_configENS1_25partition_config_selectorILNS1_17partition_subalgoE1ExNS0_10empty_typeEbEEZZNS1_14partition_implILS5_1ELb0ES3_jN6thrust23THRUST_200600_302600_NS6detail15normal_iteratorINSA_10device_ptrIxEEEEPS6_NSA_18transform_iteratorINSA_8identityIxEESF_NSA_11use_defaultESK_EENS0_5tupleIJSF_SF_EEENSM_IJSG_SG_EEES6_PlJS6_EEE10hipError_tPvRmT3_T4_T5_T6_T7_T9_mT8_P12ihipStream_tbDpT10_ENKUlT_T0_E_clISt17integral_constantIbLb0EES18_IbLb1EEEEDaS14_S15_EUlS14_E_NS1_11comp_targetILNS1_3genE0ELNS1_11target_archE4294967295ELNS1_3gpuE0ELNS1_3repE0EEENS1_30default_config_static_selectorELNS0_4arch9wavefront6targetE1EEEvT1_
		.amdhsa_group_segment_fixed_size 0
		.amdhsa_private_segment_fixed_size 0
		.amdhsa_kernarg_size 144
		.amdhsa_user_sgpr_count 2
		.amdhsa_user_sgpr_dispatch_ptr 0
		.amdhsa_user_sgpr_queue_ptr 0
		.amdhsa_user_sgpr_kernarg_segment_ptr 1
		.amdhsa_user_sgpr_dispatch_id 0
		.amdhsa_user_sgpr_kernarg_preload_length 0
		.amdhsa_user_sgpr_kernarg_preload_offset 0
		.amdhsa_user_sgpr_private_segment_size 0
		.amdhsa_uses_dynamic_stack 0
		.amdhsa_enable_private_segment 0
		.amdhsa_system_sgpr_workgroup_id_x 1
		.amdhsa_system_sgpr_workgroup_id_y 0
		.amdhsa_system_sgpr_workgroup_id_z 0
		.amdhsa_system_sgpr_workgroup_info 0
		.amdhsa_system_vgpr_workitem_id 0
		.amdhsa_next_free_vgpr 1
		.amdhsa_next_free_sgpr 0
		.amdhsa_accum_offset 4
		.amdhsa_reserve_vcc 0
		.amdhsa_float_round_mode_32 0
		.amdhsa_float_round_mode_16_64 0
		.amdhsa_float_denorm_mode_32 3
		.amdhsa_float_denorm_mode_16_64 3
		.amdhsa_dx10_clamp 1
		.amdhsa_ieee_mode 1
		.amdhsa_fp16_overflow 0
		.amdhsa_tg_split 0
		.amdhsa_exception_fp_ieee_invalid_op 0
		.amdhsa_exception_fp_denorm_src 0
		.amdhsa_exception_fp_ieee_div_zero 0
		.amdhsa_exception_fp_ieee_overflow 0
		.amdhsa_exception_fp_ieee_underflow 0
		.amdhsa_exception_fp_ieee_inexact 0
		.amdhsa_exception_int_div_zero 0
	.end_amdhsa_kernel
	.section	.text._ZN7rocprim17ROCPRIM_400000_NS6detail17trampoline_kernelINS0_14default_configENS1_25partition_config_selectorILNS1_17partition_subalgoE1ExNS0_10empty_typeEbEEZZNS1_14partition_implILS5_1ELb0ES3_jN6thrust23THRUST_200600_302600_NS6detail15normal_iteratorINSA_10device_ptrIxEEEEPS6_NSA_18transform_iteratorINSA_8identityIxEESF_NSA_11use_defaultESK_EENS0_5tupleIJSF_SF_EEENSM_IJSG_SG_EEES6_PlJS6_EEE10hipError_tPvRmT3_T4_T5_T6_T7_T9_mT8_P12ihipStream_tbDpT10_ENKUlT_T0_E_clISt17integral_constantIbLb0EES18_IbLb1EEEEDaS14_S15_EUlS14_E_NS1_11comp_targetILNS1_3genE0ELNS1_11target_archE4294967295ELNS1_3gpuE0ELNS1_3repE0EEENS1_30default_config_static_selectorELNS0_4arch9wavefront6targetE1EEEvT1_,"axG",@progbits,_ZN7rocprim17ROCPRIM_400000_NS6detail17trampoline_kernelINS0_14default_configENS1_25partition_config_selectorILNS1_17partition_subalgoE1ExNS0_10empty_typeEbEEZZNS1_14partition_implILS5_1ELb0ES3_jN6thrust23THRUST_200600_302600_NS6detail15normal_iteratorINSA_10device_ptrIxEEEEPS6_NSA_18transform_iteratorINSA_8identityIxEESF_NSA_11use_defaultESK_EENS0_5tupleIJSF_SF_EEENSM_IJSG_SG_EEES6_PlJS6_EEE10hipError_tPvRmT3_T4_T5_T6_T7_T9_mT8_P12ihipStream_tbDpT10_ENKUlT_T0_E_clISt17integral_constantIbLb0EES18_IbLb1EEEEDaS14_S15_EUlS14_E_NS1_11comp_targetILNS1_3genE0ELNS1_11target_archE4294967295ELNS1_3gpuE0ELNS1_3repE0EEENS1_30default_config_static_selectorELNS0_4arch9wavefront6targetE1EEEvT1_,comdat
.Lfunc_end601:
	.size	_ZN7rocprim17ROCPRIM_400000_NS6detail17trampoline_kernelINS0_14default_configENS1_25partition_config_selectorILNS1_17partition_subalgoE1ExNS0_10empty_typeEbEEZZNS1_14partition_implILS5_1ELb0ES3_jN6thrust23THRUST_200600_302600_NS6detail15normal_iteratorINSA_10device_ptrIxEEEEPS6_NSA_18transform_iteratorINSA_8identityIxEESF_NSA_11use_defaultESK_EENS0_5tupleIJSF_SF_EEENSM_IJSG_SG_EEES6_PlJS6_EEE10hipError_tPvRmT3_T4_T5_T6_T7_T9_mT8_P12ihipStream_tbDpT10_ENKUlT_T0_E_clISt17integral_constantIbLb0EES18_IbLb1EEEEDaS14_S15_EUlS14_E_NS1_11comp_targetILNS1_3genE0ELNS1_11target_archE4294967295ELNS1_3gpuE0ELNS1_3repE0EEENS1_30default_config_static_selectorELNS0_4arch9wavefront6targetE1EEEvT1_, .Lfunc_end601-_ZN7rocprim17ROCPRIM_400000_NS6detail17trampoline_kernelINS0_14default_configENS1_25partition_config_selectorILNS1_17partition_subalgoE1ExNS0_10empty_typeEbEEZZNS1_14partition_implILS5_1ELb0ES3_jN6thrust23THRUST_200600_302600_NS6detail15normal_iteratorINSA_10device_ptrIxEEEEPS6_NSA_18transform_iteratorINSA_8identityIxEESF_NSA_11use_defaultESK_EENS0_5tupleIJSF_SF_EEENSM_IJSG_SG_EEES6_PlJS6_EEE10hipError_tPvRmT3_T4_T5_T6_T7_T9_mT8_P12ihipStream_tbDpT10_ENKUlT_T0_E_clISt17integral_constantIbLb0EES18_IbLb1EEEEDaS14_S15_EUlS14_E_NS1_11comp_targetILNS1_3genE0ELNS1_11target_archE4294967295ELNS1_3gpuE0ELNS1_3repE0EEENS1_30default_config_static_selectorELNS0_4arch9wavefront6targetE1EEEvT1_
                                        ; -- End function
	.section	.AMDGPU.csdata,"",@progbits
; Kernel info:
; codeLenInByte = 0
; NumSgprs: 6
; NumVgprs: 0
; NumAgprs: 0
; TotalNumVgprs: 0
; ScratchSize: 0
; MemoryBound: 0
; FloatMode: 240
; IeeeMode: 1
; LDSByteSize: 0 bytes/workgroup (compile time only)
; SGPRBlocks: 0
; VGPRBlocks: 0
; NumSGPRsForWavesPerEU: 6
; NumVGPRsForWavesPerEU: 1
; AccumOffset: 4
; Occupancy: 8
; WaveLimiterHint : 0
; COMPUTE_PGM_RSRC2:SCRATCH_EN: 0
; COMPUTE_PGM_RSRC2:USER_SGPR: 2
; COMPUTE_PGM_RSRC2:TRAP_HANDLER: 0
; COMPUTE_PGM_RSRC2:TGID_X_EN: 1
; COMPUTE_PGM_RSRC2:TGID_Y_EN: 0
; COMPUTE_PGM_RSRC2:TGID_Z_EN: 0
; COMPUTE_PGM_RSRC2:TIDIG_COMP_CNT: 0
; COMPUTE_PGM_RSRC3_GFX90A:ACCUM_OFFSET: 0
; COMPUTE_PGM_RSRC3_GFX90A:TG_SPLIT: 0
	.section	.text._ZN7rocprim17ROCPRIM_400000_NS6detail17trampoline_kernelINS0_14default_configENS1_25partition_config_selectorILNS1_17partition_subalgoE1ExNS0_10empty_typeEbEEZZNS1_14partition_implILS5_1ELb0ES3_jN6thrust23THRUST_200600_302600_NS6detail15normal_iteratorINSA_10device_ptrIxEEEEPS6_NSA_18transform_iteratorINSA_8identityIxEESF_NSA_11use_defaultESK_EENS0_5tupleIJSF_SF_EEENSM_IJSG_SG_EEES6_PlJS6_EEE10hipError_tPvRmT3_T4_T5_T6_T7_T9_mT8_P12ihipStream_tbDpT10_ENKUlT_T0_E_clISt17integral_constantIbLb0EES18_IbLb1EEEEDaS14_S15_EUlS14_E_NS1_11comp_targetILNS1_3genE5ELNS1_11target_archE942ELNS1_3gpuE9ELNS1_3repE0EEENS1_30default_config_static_selectorELNS0_4arch9wavefront6targetE1EEEvT1_,"axG",@progbits,_ZN7rocprim17ROCPRIM_400000_NS6detail17trampoline_kernelINS0_14default_configENS1_25partition_config_selectorILNS1_17partition_subalgoE1ExNS0_10empty_typeEbEEZZNS1_14partition_implILS5_1ELb0ES3_jN6thrust23THRUST_200600_302600_NS6detail15normal_iteratorINSA_10device_ptrIxEEEEPS6_NSA_18transform_iteratorINSA_8identityIxEESF_NSA_11use_defaultESK_EENS0_5tupleIJSF_SF_EEENSM_IJSG_SG_EEES6_PlJS6_EEE10hipError_tPvRmT3_T4_T5_T6_T7_T9_mT8_P12ihipStream_tbDpT10_ENKUlT_T0_E_clISt17integral_constantIbLb0EES18_IbLb1EEEEDaS14_S15_EUlS14_E_NS1_11comp_targetILNS1_3genE5ELNS1_11target_archE942ELNS1_3gpuE9ELNS1_3repE0EEENS1_30default_config_static_selectorELNS0_4arch9wavefront6targetE1EEEvT1_,comdat
	.protected	_ZN7rocprim17ROCPRIM_400000_NS6detail17trampoline_kernelINS0_14default_configENS1_25partition_config_selectorILNS1_17partition_subalgoE1ExNS0_10empty_typeEbEEZZNS1_14partition_implILS5_1ELb0ES3_jN6thrust23THRUST_200600_302600_NS6detail15normal_iteratorINSA_10device_ptrIxEEEEPS6_NSA_18transform_iteratorINSA_8identityIxEESF_NSA_11use_defaultESK_EENS0_5tupleIJSF_SF_EEENSM_IJSG_SG_EEES6_PlJS6_EEE10hipError_tPvRmT3_T4_T5_T6_T7_T9_mT8_P12ihipStream_tbDpT10_ENKUlT_T0_E_clISt17integral_constantIbLb0EES18_IbLb1EEEEDaS14_S15_EUlS14_E_NS1_11comp_targetILNS1_3genE5ELNS1_11target_archE942ELNS1_3gpuE9ELNS1_3repE0EEENS1_30default_config_static_selectorELNS0_4arch9wavefront6targetE1EEEvT1_ ; -- Begin function _ZN7rocprim17ROCPRIM_400000_NS6detail17trampoline_kernelINS0_14default_configENS1_25partition_config_selectorILNS1_17partition_subalgoE1ExNS0_10empty_typeEbEEZZNS1_14partition_implILS5_1ELb0ES3_jN6thrust23THRUST_200600_302600_NS6detail15normal_iteratorINSA_10device_ptrIxEEEEPS6_NSA_18transform_iteratorINSA_8identityIxEESF_NSA_11use_defaultESK_EENS0_5tupleIJSF_SF_EEENSM_IJSG_SG_EEES6_PlJS6_EEE10hipError_tPvRmT3_T4_T5_T6_T7_T9_mT8_P12ihipStream_tbDpT10_ENKUlT_T0_E_clISt17integral_constantIbLb0EES18_IbLb1EEEEDaS14_S15_EUlS14_E_NS1_11comp_targetILNS1_3genE5ELNS1_11target_archE942ELNS1_3gpuE9ELNS1_3repE0EEENS1_30default_config_static_selectorELNS0_4arch9wavefront6targetE1EEEvT1_
	.globl	_ZN7rocprim17ROCPRIM_400000_NS6detail17trampoline_kernelINS0_14default_configENS1_25partition_config_selectorILNS1_17partition_subalgoE1ExNS0_10empty_typeEbEEZZNS1_14partition_implILS5_1ELb0ES3_jN6thrust23THRUST_200600_302600_NS6detail15normal_iteratorINSA_10device_ptrIxEEEEPS6_NSA_18transform_iteratorINSA_8identityIxEESF_NSA_11use_defaultESK_EENS0_5tupleIJSF_SF_EEENSM_IJSG_SG_EEES6_PlJS6_EEE10hipError_tPvRmT3_T4_T5_T6_T7_T9_mT8_P12ihipStream_tbDpT10_ENKUlT_T0_E_clISt17integral_constantIbLb0EES18_IbLb1EEEEDaS14_S15_EUlS14_E_NS1_11comp_targetILNS1_3genE5ELNS1_11target_archE942ELNS1_3gpuE9ELNS1_3repE0EEENS1_30default_config_static_selectorELNS0_4arch9wavefront6targetE1EEEvT1_
	.p2align	8
	.type	_ZN7rocprim17ROCPRIM_400000_NS6detail17trampoline_kernelINS0_14default_configENS1_25partition_config_selectorILNS1_17partition_subalgoE1ExNS0_10empty_typeEbEEZZNS1_14partition_implILS5_1ELb0ES3_jN6thrust23THRUST_200600_302600_NS6detail15normal_iteratorINSA_10device_ptrIxEEEEPS6_NSA_18transform_iteratorINSA_8identityIxEESF_NSA_11use_defaultESK_EENS0_5tupleIJSF_SF_EEENSM_IJSG_SG_EEES6_PlJS6_EEE10hipError_tPvRmT3_T4_T5_T6_T7_T9_mT8_P12ihipStream_tbDpT10_ENKUlT_T0_E_clISt17integral_constantIbLb0EES18_IbLb1EEEEDaS14_S15_EUlS14_E_NS1_11comp_targetILNS1_3genE5ELNS1_11target_archE942ELNS1_3gpuE9ELNS1_3repE0EEENS1_30default_config_static_selectorELNS0_4arch9wavefront6targetE1EEEvT1_,@function
_ZN7rocprim17ROCPRIM_400000_NS6detail17trampoline_kernelINS0_14default_configENS1_25partition_config_selectorILNS1_17partition_subalgoE1ExNS0_10empty_typeEbEEZZNS1_14partition_implILS5_1ELb0ES3_jN6thrust23THRUST_200600_302600_NS6detail15normal_iteratorINSA_10device_ptrIxEEEEPS6_NSA_18transform_iteratorINSA_8identityIxEESF_NSA_11use_defaultESK_EENS0_5tupleIJSF_SF_EEENSM_IJSG_SG_EEES6_PlJS6_EEE10hipError_tPvRmT3_T4_T5_T6_T7_T9_mT8_P12ihipStream_tbDpT10_ENKUlT_T0_E_clISt17integral_constantIbLb0EES18_IbLb1EEEEDaS14_S15_EUlS14_E_NS1_11comp_targetILNS1_3genE5ELNS1_11target_archE942ELNS1_3gpuE9ELNS1_3repE0EEENS1_30default_config_static_selectorELNS0_4arch9wavefront6targetE1EEEvT1_: ; @_ZN7rocprim17ROCPRIM_400000_NS6detail17trampoline_kernelINS0_14default_configENS1_25partition_config_selectorILNS1_17partition_subalgoE1ExNS0_10empty_typeEbEEZZNS1_14partition_implILS5_1ELb0ES3_jN6thrust23THRUST_200600_302600_NS6detail15normal_iteratorINSA_10device_ptrIxEEEEPS6_NSA_18transform_iteratorINSA_8identityIxEESF_NSA_11use_defaultESK_EENS0_5tupleIJSF_SF_EEENSM_IJSG_SG_EEES6_PlJS6_EEE10hipError_tPvRmT3_T4_T5_T6_T7_T9_mT8_P12ihipStream_tbDpT10_ENKUlT_T0_E_clISt17integral_constantIbLb0EES18_IbLb1EEEEDaS14_S15_EUlS14_E_NS1_11comp_targetILNS1_3genE5ELNS1_11target_archE942ELNS1_3gpuE9ELNS1_3repE0EEENS1_30default_config_static_selectorELNS0_4arch9wavefront6targetE1EEEvT1_
; %bb.0:
	s_load_dwordx2 s[2:3], s[0:1], 0x20
	s_load_dwordx4 s[20:23], s[0:1], 0x50
	s_load_dwordx2 s[6:7], s[0:1], 0x60
	s_load_dwordx2 s[34:35], s[0:1], 0x70
	v_cmp_eq_u32_e64 s[18:19], 0, v0
	s_and_saveexec_b64 s[4:5], s[18:19]
	s_cbranch_execz .LBB602_4
; %bb.1:
	s_mov_b64 s[10:11], exec
	v_mbcnt_lo_u32_b32 v1, s10, 0
	v_mbcnt_hi_u32_b32 v1, s11, v1
	v_cmp_eq_u32_e32 vcc, 0, v1
                                        ; implicit-def: $vgpr2
	s_and_saveexec_b64 s[8:9], vcc
	s_cbranch_execz .LBB602_3
; %bb.2:
	s_load_dwordx2 s[12:13], s[0:1], 0x80
	s_bcnt1_i32_b64 s10, s[10:11]
	v_mov_b32_e32 v2, 0
	v_mov_b32_e32 v3, s10
	s_waitcnt lgkmcnt(0)
	global_atomic_add v2, v2, v3, s[12:13] sc0
.LBB602_3:
	s_or_b64 exec, exec, s[8:9]
	s_waitcnt vmcnt(0)
	v_readfirstlane_b32 s8, v2
	v_mov_b32_e32 v2, 0
	s_nop 0
	v_add_u32_e32 v1, s8, v1
	ds_write_b32 v2, v1
.LBB602_4:
	s_or_b64 exec, exec, s[4:5]
	v_mov_b32_e32 v19, 0
	s_load_dwordx4 s[28:31], s[0:1], 0x8
	s_load_dwordx4 s[24:27], s[0:1], 0x30
	s_load_dword s8, s[0:1], 0x78
	s_waitcnt lgkmcnt(0)
	s_barrier
	ds_read_b32 v1, v19
	s_waitcnt lgkmcnt(0)
	s_barrier
	global_load_dwordx2 v[20:21], v19, s[22:23]
	v_mov_b32_e32 v3, s7
	s_lshl_b64 s[4:5], s[30:31], 3
	s_movk_i32 s7, 0xe00
	s_add_u32 s0, s28, s4
	v_mul_lo_u32 v18, v1, s7
	s_mul_i32 s7, s8, 0xe00
	s_addc_u32 s1, s29, s5
	s_add_i32 s9, s8, -1
	s_add_i32 s8, s7, s30
	s_sub_i32 s33, s6, s8
	s_addk_i32 s33, 0xe00
	v_mov_b32_e32 v2, s6
	s_add_u32 s6, s30, s7
	v_readfirstlane_b32 s40, v1
	s_addc_u32 s7, s31, 0
	s_cmp_eq_u32 s40, s9
	s_cselect_b64 s[22:23], -1, 0
	s_cmp_lg_u32 s40, s9
	v_cmp_lt_u64_e32 vcc, s[6:7], v[2:3]
	s_cselect_b64 s[6:7], -1, 0
	s_or_b64 s[28:29], vcc, s[6:7]
	v_lshlrev_b64 v[22:23], 3, v[18:19]
	v_lshl_add_u64 v[24:25], s[0:1], 0, v[22:23]
	s_mov_b64 s[0:1], -1
	s_and_b64 vcc, exec, s[28:29]
	v_lshlrev_b32_e32 v18, 3, v0
	s_cbranch_vccz .LBB602_6
; %bb.5:
	v_lshl_add_u64 v[2:3], v[24:25], 0, v[18:19]
	v_add_co_u32_e32 v4, vcc, 0x1000, v2
	s_mov_b64 s[0:1], 0
	s_nop 0
	v_addc_co_u32_e32 v5, vcc, 0, v3, vcc
	v_add_co_u32_e32 v6, vcc, 0x2000, v2
	s_nop 1
	v_addc_co_u32_e32 v7, vcc, 0, v3, vcc
	v_add_co_u32_e32 v8, vcc, 0x3000, v2
	s_nop 1
	v_addc_co_u32_e32 v9, vcc, 0, v3, vcc
	flat_load_dwordx2 v[10:11], v[2:3]
	flat_load_dwordx2 v[12:13], v[4:5]
	;; [unrolled: 1-line block ×4, first 2 shown]
	v_add_co_u32_e32 v4, vcc, 0x4000, v2
	s_nop 1
	v_addc_co_u32_e32 v5, vcc, 0, v3, vcc
	v_add_co_u32_e32 v6, vcc, 0x5000, v2
	s_nop 1
	v_addc_co_u32_e32 v7, vcc, 0, v3, vcc
	;; [unrolled: 3-line block ×3, first 2 shown]
	flat_load_dwordx2 v[8:9], v[4:5]
	flat_load_dwordx2 v[26:27], v[6:7]
	;; [unrolled: 1-line block ×3, first 2 shown]
	s_waitcnt vmcnt(0) lgkmcnt(0)
	ds_write2st64_b64 v18, v[10:11], v[12:13] offset1:8
	ds_write2st64_b64 v18, v[14:15], v[16:17] offset0:16 offset1:24
	ds_write2st64_b64 v18, v[8:9], v[26:27] offset0:32 offset1:40
	ds_write_b64 v18, v[28:29] offset:24576
	s_waitcnt lgkmcnt(0)
	s_barrier
.LBB602_6:
	s_andn2_b64 vcc, exec, s[0:1]
	v_cmp_gt_u32_e64 s[0:1], s33, v0
	s_cbranch_vccnz .LBB602_22
; %bb.7:
                                        ; implicit-def: $vgpr2_vgpr3_vgpr4_vgpr5_vgpr6_vgpr7_vgpr8_vgpr9_vgpr10_vgpr11_vgpr12_vgpr13_vgpr14_vgpr15_vgpr16_vgpr17
	s_and_saveexec_b64 s[6:7], s[0:1]
	s_cbranch_execz .LBB602_9
; %bb.8:
	v_mov_b32_e32 v19, 0
	v_lshl_add_u64 v[2:3], v[24:25], 0, v[18:19]
	flat_load_dwordx2 v[2:3], v[2:3]
.LBB602_9:
	s_or_b64 exec, exec, s[6:7]
	v_or_b32_e32 v1, 0x200, v0
	v_cmp_gt_u32_e32 vcc, s33, v1
	s_and_saveexec_b64 s[0:1], vcc
	s_cbranch_execz .LBB602_11
; %bb.10:
	v_lshlrev_b32_e32 v4, 3, v1
	v_mov_b32_e32 v5, 0
	v_lshl_add_u64 v[4:5], v[24:25], 0, v[4:5]
	flat_load_dwordx2 v[4:5], v[4:5]
.LBB602_11:
	s_or_b64 exec, exec, s[0:1]
	v_or_b32_e32 v1, 0x400, v0
	v_cmp_gt_u32_e32 vcc, s33, v1
	s_and_saveexec_b64 s[0:1], vcc
	s_cbranch_execz .LBB602_13
; %bb.12:
	v_lshlrev_b32_e32 v6, 3, v1
	v_mov_b32_e32 v7, 0
	v_lshl_add_u64 v[6:7], v[24:25], 0, v[6:7]
	flat_load_dwordx2 v[6:7], v[6:7]
.LBB602_13:
	;; [unrolled: 11-line block ×6, first 2 shown]
	s_or_b64 exec, exec, s[0:1]
	s_waitcnt vmcnt(0) lgkmcnt(0)
	ds_write2st64_b64 v18, v[2:3], v[4:5] offset1:8
	ds_write2st64_b64 v18, v[6:7], v[8:9] offset0:16 offset1:24
	ds_write2st64_b64 v18, v[10:11], v[12:13] offset0:32 offset1:40
	ds_write_b64 v18, v[14:15] offset:24576
	s_waitcnt lgkmcnt(0)
	s_barrier
.LBB602_22:
	v_mul_u32_u24_e32 v1, 7, v0
	v_lshlrev_b32_e32 v24, 3, v1
	ds_read2_b64 v[10:13], v24 offset1:1
	ds_read2_b64 v[6:9], v24 offset0:2 offset1:3
	ds_read2_b64 v[2:5], v24 offset0:4 offset1:5
	ds_read_b64 v[14:15], v24 offset:48
	s_add_u32 s0, s2, s4
	s_addc_u32 s1, s3, s5
	v_lshl_add_u64 v[16:17], s[0:1], 0, v[22:23]
	s_mov_b64 s[0:1], -1
	s_and_b64 vcc, exec, s[28:29]
	s_waitcnt lgkmcnt(0)
	s_barrier
	s_cbranch_vccz .LBB602_24
; %bb.23:
	v_mov_b32_e32 v19, 0
	v_lshl_add_u64 v[26:27], v[16:17], 0, v[18:19]
	v_add_co_u32_e32 v30, vcc, 0x1000, v26
	v_readfirstlane_b32 s0, v16
	s_nop 0
	v_addc_co_u32_e32 v31, vcc, 0, v27, vcc
	v_add_co_u32_e32 v32, vcc, 0x2000, v26
	v_readfirstlane_b32 s1, v17
	s_nop 0
	v_addc_co_u32_e32 v33, vcc, 0, v27, vcc
	v_add_co_u32_e32 v34, vcc, 0x3000, v26
	s_nop 1
	v_addc_co_u32_e32 v35, vcc, 0, v27, vcc
	global_load_dwordx2 v[28:29], v18, s[0:1]
	v_add_co_u32_e32 v36, vcc, 0x4000, v26
	s_mov_b64 s[0:1], 0
	s_nop 0
	v_addc_co_u32_e32 v37, vcc, 0, v27, vcc
	global_load_dwordx2 v[38:39], v[30:31], off
	global_load_dwordx2 v[40:41], v[32:33], off
	;; [unrolled: 1-line block ×4, first 2 shown]
	v_add_co_u32_e32 v30, vcc, 0x5000, v26
	s_nop 1
	v_addc_co_u32_e32 v31, vcc, 0, v27, vcc
	v_add_co_u32_e32 v26, vcc, 0x6000, v26
	global_load_dwordx2 v[30:31], v[30:31], off
	s_nop 0
	v_addc_co_u32_e32 v27, vcc, 0, v27, vcc
	global_load_dwordx2 v[26:27], v[26:27], off
	s_waitcnt vmcnt(6)
	v_cmp_ne_u64_e32 vcc, 0, v[28:29]
	s_nop 1
	v_cndmask_b32_e64 v19, 0, 1, vcc
	ds_write_b8 v0, v19
	s_waitcnt vmcnt(5)
	v_cmp_ne_u64_e32 vcc, 0, v[38:39]
	s_nop 1
	v_cndmask_b32_e64 v19, 0, 1, vcc
	s_waitcnt vmcnt(4)
	v_cmp_ne_u64_e32 vcc, 0, v[40:41]
	ds_write_b8 v0, v19 offset:512
	s_nop 0
	v_cndmask_b32_e64 v25, 0, 1, vcc
	s_waitcnt vmcnt(3)
	v_cmp_ne_u64_e32 vcc, 0, v[42:43]
	ds_write_b8 v0, v25 offset:1024
	;; [unrolled: 5-line block ×4, first 2 shown]
	s_nop 0
	v_cndmask_b32_e64 v19, 0, 1, vcc
	s_waitcnt vmcnt(0)
	v_cmp_ne_u64_e32 vcc, 0, v[26:27]
	s_nop 1
	v_cndmask_b32_e64 v25, 0, 1, vcc
	ds_write_b8 v0, v19 offset:2560
	ds_write_b8 v0, v25 offset:3072
	s_waitcnt lgkmcnt(0)
	s_barrier
.LBB602_24:
	s_andn2_b64 vcc, exec, s[0:1]
	s_cbranch_vccnz .LBB602_40
; %bb.25:
	v_cmp_gt_u32_e32 vcc, s33, v0
	v_mov_b32_e32 v19, 0
	v_mov_b32_e32 v25, 0
	s_and_saveexec_b64 s[0:1], vcc
	s_cbranch_execz .LBB602_27
; %bb.26:
	v_readfirstlane_b32 s2, v16
	v_readfirstlane_b32 s3, v17
	s_nop 4
	global_load_dwordx2 v[26:27], v18, s[2:3]
	s_waitcnt vmcnt(0)
	v_cmp_ne_u64_e32 vcc, 0, v[26:27]
	s_nop 1
	v_cndmask_b32_e64 v25, 0, 1, vcc
.LBB602_27:
	s_or_b64 exec, exec, s[0:1]
	v_or_b32_e32 v26, 0x200, v0
	v_cmp_gt_u32_e32 vcc, s33, v26
	s_and_saveexec_b64 s[0:1], vcc
	s_cbranch_execz .LBB602_29
; %bb.28:
	v_lshlrev_b32_e32 v19, 3, v26
	v_readfirstlane_b32 s2, v16
	v_readfirstlane_b32 s3, v17
	s_nop 4
	global_load_dwordx2 v[26:27], v19, s[2:3]
	s_waitcnt vmcnt(0)
	v_cmp_ne_u64_e32 vcc, 0, v[26:27]
	s_nop 1
	v_cndmask_b32_e64 v19, 0, 1, vcc
.LBB602_29:
	s_or_b64 exec, exec, s[0:1]
	v_or_b32_e32 v28, 0x400, v0
	v_cmp_gt_u32_e32 vcc, s33, v28
	v_mov_b32_e32 v26, 0
	v_mov_b32_e32 v27, 0
	s_and_saveexec_b64 s[0:1], vcc
	s_cbranch_execz .LBB602_31
; %bb.30:
	v_lshlrev_b32_e32 v27, 3, v28
	v_readfirstlane_b32 s2, v16
	v_readfirstlane_b32 s3, v17
	s_nop 4
	global_load_dwordx2 v[28:29], v27, s[2:3]
	s_waitcnt vmcnt(0)
	v_cmp_ne_u64_e32 vcc, 0, v[28:29]
	s_nop 1
	v_cndmask_b32_e64 v27, 0, 1, vcc
.LBB602_31:
	s_or_b64 exec, exec, s[0:1]
	v_or_b32_e32 v28, 0x600, v0
	v_cmp_gt_u32_e32 vcc, s33, v28
	s_and_saveexec_b64 s[0:1], vcc
	s_cbranch_execz .LBB602_33
; %bb.32:
	v_lshlrev_b32_e32 v26, 3, v28
	v_readfirstlane_b32 s2, v16
	v_readfirstlane_b32 s3, v17
	s_nop 4
	global_load_dwordx2 v[28:29], v26, s[2:3]
	s_waitcnt vmcnt(0)
	v_cmp_ne_u64_e32 vcc, 0, v[28:29]
	s_nop 1
	v_cndmask_b32_e64 v26, 0, 1, vcc
.LBB602_33:
	s_or_b64 exec, exec, s[0:1]
	v_or_b32_e32 v30, 0x800, v0
	v_cmp_gt_u32_e32 vcc, s33, v30
	v_mov_b32_e32 v28, 0
	v_mov_b32_e32 v29, 0
	s_and_saveexec_b64 s[0:1], vcc
	s_cbranch_execz .LBB602_35
; %bb.34:
	v_lshlrev_b32_e32 v29, 3, v30
	v_readfirstlane_b32 s2, v16
	v_readfirstlane_b32 s3, v17
	s_nop 4
	global_load_dwordx2 v[30:31], v29, s[2:3]
	s_waitcnt vmcnt(0)
	v_cmp_ne_u64_e32 vcc, 0, v[30:31]
	s_nop 1
	v_cndmask_b32_e64 v29, 0, 1, vcc
.LBB602_35:
	s_or_b64 exec, exec, s[0:1]
	v_or_b32_e32 v30, 0xa00, v0
	v_cmp_gt_u32_e32 vcc, s33, v30
	s_and_saveexec_b64 s[0:1], vcc
	s_cbranch_execz .LBB602_37
; %bb.36:
	v_lshlrev_b32_e32 v28, 3, v30
	v_readfirstlane_b32 s2, v16
	v_readfirstlane_b32 s3, v17
	s_nop 4
	global_load_dwordx2 v[30:31], v28, s[2:3]
	s_waitcnt vmcnt(0)
	v_cmp_ne_u64_e32 vcc, 0, v[30:31]
	s_nop 1
	v_cndmask_b32_e64 v28, 0, 1, vcc
.LBB602_37:
	s_or_b64 exec, exec, s[0:1]
	v_or_b32_e32 v31, 0xc00, v0
	v_cmp_gt_u32_e32 vcc, s33, v31
	v_mov_b32_e32 v30, 0
	s_and_saveexec_b64 s[0:1], vcc
	s_cbranch_execz .LBB602_39
; %bb.38:
	v_lshlrev_b32_e32 v30, 3, v31
	v_readfirstlane_b32 s2, v16
	v_readfirstlane_b32 s3, v17
	s_nop 4
	global_load_dwordx2 v[16:17], v30, s[2:3]
	s_waitcnt vmcnt(0)
	v_cmp_ne_u64_e32 vcc, 0, v[16:17]
	s_nop 1
	v_cndmask_b32_e64 v30, 0, 1, vcc
.LBB602_39:
	s_or_b64 exec, exec, s[0:1]
	ds_write_b8 v0, v25
	ds_write_b8 v0, v19 offset:512
	ds_write_b8 v0, v27 offset:1024
	;; [unrolled: 1-line block ×6, first 2 shown]
	s_waitcnt lgkmcnt(0)
	s_barrier
.LBB602_40:
	s_movk_i32 s0, 0xffcf
	v_mad_i32_i24 v39, v0, s0, v24
	ds_read_u8 v16, v39
	ds_read_u8 v17, v39 offset:1
	ds_read_u8 v19, v39 offset:2
	;; [unrolled: 1-line block ×6, first 2 shown]
	s_waitcnt lgkmcnt(6)
	v_and_b32_e32 v37, 1, v16
	s_waitcnt lgkmcnt(5)
	v_and_b32_e32 v36, 1, v17
	;; [unrolled: 2-line block ×5, first 2 shown]
	v_add3_u32 v16, v36, v37, v35
	s_waitcnt lgkmcnt(1)
	v_and_b32_e32 v32, 1, v26
	s_waitcnt lgkmcnt(0)
	v_and_b32_e32 v19, 1, v27
	v_add3_u32 v16, v16, v34, v33
	v_add3_u32 v41, v16, v32, v19
	v_mbcnt_lo_u32_b32 v16, -1, 0
	v_mbcnt_hi_u32_b32 v38, -1, v16
	v_and_b32_e32 v16, 15, v38
	v_cmp_eq_u32_e64 s[14:15], 0, v16
	v_cmp_lt_u32_e64 s[12:13], 1, v16
	v_cmp_lt_u32_e64 s[10:11], 3, v16
	;; [unrolled: 1-line block ×3, first 2 shown]
	v_and_b32_e32 v16, 16, v38
	v_cmp_eq_u32_e64 s[6:7], 0, v16
	v_or_b32_e32 v16, 63, v0
	s_cmp_lg_u32 s40, 0
	v_cmp_lt_u32_e64 s[2:3], 31, v38
	v_lshrrev_b32_e32 v40, 6, v0
	v_cmp_eq_u32_e64 s[4:5], v16, v0
	s_barrier
	s_cbranch_scc0 .LBB602_67
; %bb.41:
	v_mov_b32_dpp v16, v41 row_shr:1 row_mask:0xf bank_mask:0xf
	v_cndmask_b32_e64 v16, v16, 0, s[14:15]
	v_add_u32_e32 v16, v16, v41
	s_nop 1
	v_mov_b32_dpp v17, v16 row_shr:2 row_mask:0xf bank_mask:0xf
	v_cndmask_b32_e64 v17, 0, v17, s[12:13]
	v_add_u32_e32 v16, v16, v17
	s_nop 1
	;; [unrolled: 4-line block ×4, first 2 shown]
	v_mov_b32_dpp v17, v16 row_bcast:15 row_mask:0xf bank_mask:0xf
	v_cndmask_b32_e64 v17, v17, 0, s[6:7]
	v_add_u32_e32 v16, v16, v17
	s_nop 1
	v_mov_b32_dpp v17, v16 row_bcast:31 row_mask:0xf bank_mask:0xf
	v_cndmask_b32_e64 v17, 0, v17, s[2:3]
	v_add_u32_e32 v16, v16, v17
	s_and_saveexec_b64 s[0:1], s[4:5]
	s_cbranch_execz .LBB602_43
; %bb.42:
	v_lshlrev_b32_e32 v17, 2, v40
	ds_write_b32 v17, v16
.LBB602_43:
	s_or_b64 exec, exec, s[0:1]
	v_cmp_gt_u32_e32 vcc, 8, v0
	s_waitcnt lgkmcnt(0)
	s_barrier
	s_and_saveexec_b64 s[0:1], vcc
	s_cbranch_execz .LBB602_45
; %bb.44:
	v_lshlrev_b32_e32 v17, 2, v0
	ds_read_b32 v24, v17
	v_and_b32_e32 v25, 7, v38
	v_cmp_ne_u32_e32 vcc, 0, v25
	s_waitcnt lgkmcnt(0)
	v_mov_b32_dpp v26, v24 row_shr:1 row_mask:0xf bank_mask:0xf
	v_cndmask_b32_e32 v26, 0, v26, vcc
	v_add_u32_e32 v24, v26, v24
	v_cmp_lt_u32_e32 vcc, 1, v25
	s_nop 0
	v_mov_b32_dpp v26, v24 row_shr:2 row_mask:0xf bank_mask:0xf
	v_cndmask_b32_e32 v26, 0, v26, vcc
	v_add_u32_e32 v24, v24, v26
	v_cmp_lt_u32_e32 vcc, 3, v25
	s_nop 0
	v_mov_b32_dpp v26, v24 row_shr:4 row_mask:0xf bank_mask:0xf
	v_cndmask_b32_e32 v25, 0, v26, vcc
	v_add_u32_e32 v24, v24, v25
	ds_write_b32 v17, v24
.LBB602_45:
	s_or_b64 exec, exec, s[0:1]
	v_cmp_gt_u32_e32 vcc, 64, v0
	v_cmp_lt_u32_e64 s[0:1], 63, v0
	s_waitcnt lgkmcnt(0)
	s_barrier
	s_waitcnt lgkmcnt(0)
                                        ; implicit-def: $vgpr42
	s_and_saveexec_b64 s[16:17], s[0:1]
	s_cbranch_execz .LBB602_47
; %bb.46:
	v_lshl_add_u32 v17, v40, 2, -4
	ds_read_b32 v42, v17
	s_waitcnt lgkmcnt(0)
	v_add_u32_e32 v16, v42, v16
.LBB602_47:
	s_or_b64 exec, exec, s[16:17]
	v_add_u32_e32 v17, -1, v38
	v_and_b32_e32 v24, 64, v38
	v_cmp_lt_i32_e64 s[0:1], v17, v24
	v_cmp_eq_u32_e64 s[16:17], 0, v38
	s_nop 0
	v_cndmask_b32_e64 v17, v17, v38, s[0:1]
	v_lshlrev_b32_e32 v17, 2, v17
	ds_bpermute_b32 v43, v17, v16
	s_and_saveexec_b64 s[0:1], vcc
	s_cbranch_execz .LBB602_66
; %bb.48:
	v_mov_b32_e32 v29, 0
	ds_read_b32 v16, v29 offset:28
	s_and_saveexec_b64 s[36:37], s[16:17]
	s_cbranch_execz .LBB602_50
; %bb.49:
	s_add_i32 s38, s40, 64
	s_mov_b32 s39, 0
	s_lshl_b64 s[38:39], s[38:39], 3
	s_add_u32 s38, s34, s38
	v_mov_b32_e32 v17, 1
	s_addc_u32 s39, s35, s39
	s_waitcnt lgkmcnt(0)
	global_store_dwordx2 v29, v[16:17], s[38:39] sc1
.LBB602_50:
	s_or_b64 exec, exec, s[36:37]
	v_xad_u32 v24, v38, -1, s40
	v_add_u32_e32 v28, 64, v24
	v_lshl_add_u64 v[30:31], v[28:29], 3, s[34:35]
	global_load_dwordx2 v[26:27], v[30:31], off sc1
	s_waitcnt vmcnt(0)
	v_cmp_eq_u16_sdwa s[38:39], v27, v29 src0_sel:BYTE_0 src1_sel:DWORD
	s_and_saveexec_b64 s[36:37], s[38:39]
	s_cbranch_execz .LBB602_54
; %bb.51:
	s_mov_b64 s[38:39], 0
	v_mov_b32_e32 v17, 0
.LBB602_52:                             ; =>This Inner Loop Header: Depth=1
	global_load_dwordx2 v[26:27], v[30:31], off sc1
	s_waitcnt vmcnt(0)
	v_cmp_ne_u16_sdwa s[42:43], v27, v17 src0_sel:BYTE_0 src1_sel:DWORD
	s_or_b64 s[38:39], s[42:43], s[38:39]
	s_andn2_b64 exec, exec, s[38:39]
	s_cbranch_execnz .LBB602_52
; %bb.53:
	s_or_b64 exec, exec, s[38:39]
.LBB602_54:
	s_or_b64 exec, exec, s[36:37]
	v_and_b32_e32 v45, 63, v38
	v_mov_b32_e32 v44, 2
	v_cmp_ne_u32_e32 vcc, 63, v45
	v_cmp_eq_u16_sdwa s[36:37], v27, v44 src0_sel:BYTE_0 src1_sel:DWORD
	v_lshlrev_b64 v[28:29], v38, -1
	v_addc_co_u32_e32 v30, vcc, 0, v38, vcc
	v_and_b32_e32 v17, s37, v29
	v_lshlrev_b32_e32 v46, 2, v30
	v_or_b32_e32 v17, 0x80000000, v17
	ds_bpermute_b32 v30, v46, v26
	v_and_b32_e32 v25, s36, v28
	v_ffbl_b32_e32 v17, v17
	v_add_u32_e32 v17, 32, v17
	v_ffbl_b32_e32 v25, v25
	v_min_u32_e32 v17, v25, v17
	v_cmp_lt_u32_e32 vcc, v45, v17
	v_add_u32_e32 v48, 2, v45
	v_add_u32_e32 v50, 4, v45
	s_waitcnt lgkmcnt(0)
	v_cndmask_b32_e32 v25, 0, v30, vcc
	v_cmp_gt_u32_e32 vcc, 62, v45
	v_add_u32_e32 v25, v25, v26
	v_add_u32_e32 v52, 8, v45
	v_cndmask_b32_e64 v26, 0, 1, vcc
	v_lshlrev_b32_e32 v26, 1, v26
	v_add_lshl_u32 v47, v26, v38, 2
	ds_bpermute_b32 v26, v47, v25
	v_cmp_le_u32_e32 vcc, v48, v17
	v_add_u32_e32 v54, 16, v45
	v_add_u32_e32 v56, 32, v45
	s_waitcnt lgkmcnt(0)
	v_cndmask_b32_e32 v26, 0, v26, vcc
	v_cmp_gt_u32_e32 vcc, 60, v45
	v_add_u32_e32 v25, v25, v26
	s_nop 0
	v_cndmask_b32_e64 v26, 0, 1, vcc
	v_lshlrev_b32_e32 v26, 2, v26
	v_add_lshl_u32 v49, v26, v38, 2
	ds_bpermute_b32 v26, v49, v25
	v_cmp_le_u32_e32 vcc, v50, v17
	s_waitcnt lgkmcnt(0)
	s_nop 0
	v_cndmask_b32_e32 v26, 0, v26, vcc
	v_cmp_gt_u32_e32 vcc, 56, v45
	v_add_u32_e32 v25, v25, v26
	s_nop 0
	v_cndmask_b32_e64 v26, 0, 1, vcc
	v_lshlrev_b32_e32 v26, 3, v26
	v_add_lshl_u32 v51, v26, v38, 2
	ds_bpermute_b32 v26, v51, v25
	v_cmp_le_u32_e32 vcc, v52, v17
	s_waitcnt lgkmcnt(0)
	s_nop 0
	;; [unrolled: 11-line block ×4, first 2 shown]
	v_cndmask_b32_e32 v17, 0, v26, vcc
	v_add_u32_e32 v26, v25, v17
	v_mov_b32_e32 v25, 0
	s_branch .LBB602_56
.LBB602_55:                             ;   in Loop: Header=BB602_56 Depth=1
	s_or_b64 exec, exec, s[36:37]
	v_cmp_eq_u16_sdwa s[36:37], v27, v44 src0_sel:BYTE_0 src1_sel:DWORD
	ds_bpermute_b32 v57, v46, v26
	v_subrev_u32_e32 v24, 64, v24
	v_and_b32_e32 v30, s37, v29
	v_or_b32_e32 v30, 0x80000000, v30
	v_and_b32_e32 v31, s36, v28
	v_ffbl_b32_e32 v30, v30
	v_add_u32_e32 v30, 32, v30
	v_ffbl_b32_e32 v31, v31
	v_min_u32_e32 v30, v31, v30
	v_cmp_lt_u32_e32 vcc, v45, v30
	s_waitcnt lgkmcnt(0)
	s_nop 0
	v_cndmask_b32_e32 v31, 0, v57, vcc
	v_add_u32_e32 v26, v31, v26
	ds_bpermute_b32 v31, v47, v26
	v_cmp_le_u32_e32 vcc, v48, v30
	s_waitcnt lgkmcnt(0)
	s_nop 0
	v_cndmask_b32_e32 v31, 0, v31, vcc
	v_add_u32_e32 v26, v26, v31
	ds_bpermute_b32 v31, v49, v26
	v_cmp_le_u32_e32 vcc, v50, v30
	;; [unrolled: 6-line block ×5, first 2 shown]
	s_waitcnt lgkmcnt(0)
	s_nop 0
	v_cndmask_b32_e32 v30, 0, v31, vcc
	v_add3_u32 v26, v30, v17, v26
.LBB602_56:                             ; =>This Loop Header: Depth=1
                                        ;     Child Loop BB602_59 Depth 2
	v_cmp_ne_u16_sdwa s[36:37], v27, v44 src0_sel:BYTE_0 src1_sel:DWORD
	s_nop 1
	v_cndmask_b32_e64 v17, 0, 1, s[36:37]
	;;#ASMSTART
	;;#ASMEND
	s_nop 0
	v_cmp_ne_u32_e32 vcc, 0, v17
	s_cmp_lg_u64 vcc, exec
	v_mov_b32_e32 v17, v26
	s_cbranch_scc1 .LBB602_61
; %bb.57:                               ;   in Loop: Header=BB602_56 Depth=1
	v_lshl_add_u64 v[30:31], v[24:25], 3, s[34:35]
	global_load_dwordx2 v[26:27], v[30:31], off sc1
	s_waitcnt vmcnt(0)
	v_cmp_eq_u16_sdwa s[38:39], v27, v25 src0_sel:BYTE_0 src1_sel:DWORD
	s_and_saveexec_b64 s[36:37], s[38:39]
	s_cbranch_execz .LBB602_55
; %bb.58:                               ;   in Loop: Header=BB602_56 Depth=1
	s_mov_b64 s[38:39], 0
.LBB602_59:                             ;   Parent Loop BB602_56 Depth=1
                                        ; =>  This Inner Loop Header: Depth=2
	global_load_dwordx2 v[26:27], v[30:31], off sc1
	s_waitcnt vmcnt(0)
	v_cmp_ne_u16_sdwa s[42:43], v27, v25 src0_sel:BYTE_0 src1_sel:DWORD
	s_or_b64 s[38:39], s[42:43], s[38:39]
	s_andn2_b64 exec, exec, s[38:39]
	s_cbranch_execnz .LBB602_59
; %bb.60:                               ;   in Loop: Header=BB602_56 Depth=1
	s_or_b64 exec, exec, s[38:39]
	s_branch .LBB602_55
.LBB602_61:                             ;   in Loop: Header=BB602_56 Depth=1
                                        ; implicit-def: $vgpr26
                                        ; implicit-def: $vgpr27
	s_cbranch_execz .LBB602_56
; %bb.62:
	s_and_saveexec_b64 s[36:37], s[16:17]
	s_cbranch_execz .LBB602_64
; %bb.63:
	s_add_i32 s38, s40, 64
	s_mov_b32 s39, 0
	s_lshl_b64 s[38:39], s[38:39], 3
	s_add_u32 s38, s34, s38
	v_add_u32_e32 v24, v17, v16
	v_mov_b32_e32 v25, 2
	s_addc_u32 s39, s35, s39
	v_mov_b32_e32 v26, 0
	global_store_dwordx2 v26, v[24:25], s[38:39] sc1
	ds_write_b64 v26, v[16:17] offset:28672
.LBB602_64:
	s_or_b64 exec, exec, s[36:37]
	s_and_b64 exec, exec, s[18:19]
	s_cbranch_execz .LBB602_66
; %bb.65:
	v_mov_b32_e32 v16, 0
	ds_write_b32 v16, v17 offset:28
.LBB602_66:
	s_or_b64 exec, exec, s[0:1]
	v_mov_b32_e32 v16, 0
	s_waitcnt lgkmcnt(0)
	s_barrier
	ds_read_b32 v17, v16 offset:28
	v_cndmask_b32_e64 v24, v43, v42, s[16:17]
	v_cndmask_b32_e64 v24, v24, 0, s[18:19]
	s_waitcnt lgkmcnt(0)
	s_barrier
	v_add_u32_e32 v31, v17, v24
	v_add_u32_e32 v30, v31, v37
	ds_read_b64 v[16:17], v16 offset:28672
	v_add_u32_e32 v29, v30, v36
	v_add_u32_e32 v27, v29, v35
	;; [unrolled: 1-line block ×5, first 2 shown]
	s_waitcnt lgkmcnt(0)
	v_mov_b32_e32 v24, v17
	s_branch .LBB602_77
.LBB602_67:
                                        ; implicit-def: $vgpr24
                                        ; implicit-def: $vgpr16
                                        ; implicit-def: $vgpr25
                                        ; implicit-def: $vgpr26
                                        ; implicit-def: $vgpr28
                                        ; implicit-def: $vgpr27
                                        ; implicit-def: $vgpr29
                                        ; implicit-def: $vgpr30
                                        ; implicit-def: $vgpr31
	s_cbranch_execz .LBB602_77
; %bb.68:
	s_nop 0
	v_mov_b32_dpp v16, v41 row_shr:1 row_mask:0xf bank_mask:0xf
	v_cndmask_b32_e64 v16, v16, 0, s[14:15]
	v_add_u32_e32 v16, v16, v41
	s_nop 1
	v_mov_b32_dpp v17, v16 row_shr:2 row_mask:0xf bank_mask:0xf
	v_cndmask_b32_e64 v17, 0, v17, s[12:13]
	v_add_u32_e32 v16, v16, v17
	s_nop 1
	v_mov_b32_dpp v17, v16 row_shr:4 row_mask:0xf bank_mask:0xf
	v_cndmask_b32_e64 v17, 0, v17, s[10:11]
	v_add_u32_e32 v16, v16, v17
	s_nop 1
	v_mov_b32_dpp v17, v16 row_shr:8 row_mask:0xf bank_mask:0xf
	v_cndmask_b32_e64 v17, 0, v17, s[8:9]
	v_add_u32_e32 v16, v16, v17
	s_nop 1
	v_mov_b32_dpp v17, v16 row_bcast:15 row_mask:0xf bank_mask:0xf
	v_cndmask_b32_e64 v17, v17, 0, s[6:7]
	v_add_u32_e32 v16, v16, v17
	s_nop 1
	v_mov_b32_dpp v17, v16 row_bcast:31 row_mask:0xf bank_mask:0xf
	v_cndmask_b32_e64 v17, 0, v17, s[2:3]
	v_add_u32_e32 v16, v16, v17
	s_and_saveexec_b64 s[0:1], s[4:5]
	s_cbranch_execz .LBB602_70
; %bb.69:
	v_lshlrev_b32_e32 v17, 2, v40
	ds_write_b32 v17, v16
.LBB602_70:
	s_or_b64 exec, exec, s[0:1]
	v_cmp_gt_u32_e32 vcc, 8, v0
	s_waitcnt lgkmcnt(0)
	s_barrier
	s_and_saveexec_b64 s[0:1], vcc
	s_cbranch_execz .LBB602_72
; %bb.71:
	v_mad_i32_i24 v17, v0, -3, v39
	ds_read_b32 v24, v17
	v_and_b32_e32 v25, 7, v38
	v_cmp_ne_u32_e32 vcc, 0, v25
	s_waitcnt lgkmcnt(0)
	v_mov_b32_dpp v26, v24 row_shr:1 row_mask:0xf bank_mask:0xf
	v_cndmask_b32_e32 v26, 0, v26, vcc
	v_add_u32_e32 v24, v26, v24
	v_cmp_lt_u32_e32 vcc, 1, v25
	s_nop 0
	v_mov_b32_dpp v26, v24 row_shr:2 row_mask:0xf bank_mask:0xf
	v_cndmask_b32_e32 v26, 0, v26, vcc
	v_add_u32_e32 v24, v24, v26
	v_cmp_lt_u32_e32 vcc, 3, v25
	s_nop 0
	v_mov_b32_dpp v26, v24 row_shr:4 row_mask:0xf bank_mask:0xf
	v_cndmask_b32_e32 v25, 0, v26, vcc
	v_add_u32_e32 v24, v24, v25
	ds_write_b32 v17, v24
.LBB602_72:
	s_or_b64 exec, exec, s[0:1]
	v_cmp_lt_u32_e32 vcc, 63, v0
	v_mov_b32_e32 v17, 0
	v_mov_b32_e32 v24, 0
	s_waitcnt lgkmcnt(0)
	s_barrier
	s_and_saveexec_b64 s[0:1], vcc
	s_cbranch_execz .LBB602_74
; %bb.73:
	v_lshl_add_u32 v24, v40, 2, -4
	ds_read_b32 v24, v24
.LBB602_74:
	s_or_b64 exec, exec, s[0:1]
	v_add_u32_e32 v25, -1, v38
	v_and_b32_e32 v26, 64, v38
	v_cmp_lt_i32_e32 vcc, v25, v26
	s_waitcnt lgkmcnt(0)
	v_add_u32_e32 v16, v24, v16
	v_cndmask_b32_e32 v25, v25, v38, vcc
	v_lshlrev_b32_e32 v25, 2, v25
	ds_bpermute_b32 v25, v25, v16
	ds_read_b32 v16, v17 offset:28
	s_and_saveexec_b64 s[0:1], s[18:19]
	s_cbranch_execz .LBB602_76
; %bb.75:
	v_mov_b32_e32 v26, 0
	v_mov_b32_e32 v17, 2
	s_waitcnt lgkmcnt(0)
	global_store_dwordx2 v26, v[16:17], s[34:35] offset:512 sc1
.LBB602_76:
	s_or_b64 exec, exec, s[0:1]
	v_cmp_eq_u32_e32 vcc, 0, v38
	s_waitcnt lgkmcnt(0)
	s_barrier
	v_cndmask_b32_e32 v17, v25, v24, vcc
	v_cndmask_b32_e64 v31, v17, 0, s[18:19]
	v_add_u32_e32 v30, v31, v37
	v_add_u32_e32 v29, v30, v36
	;; [unrolled: 1-line block ×5, first 2 shown]
	v_mov_b32_e32 v24, 0
	v_add_u32_e32 v25, v26, v32
.LBB602_77:
	v_add_u32_e32 v1, v16, v1
	v_sub_u32_e32 v17, v31, v24
	v_sub_u32_e32 v31, v1, v17
	v_cmp_eq_u32_e32 vcc, 1, v37
	s_nop 1
	v_cndmask_b32_e32 v17, v31, v17, vcc
	v_lshlrev_b32_e32 v17, 3, v17
	ds_write_b64 v17, v[10:11]
	v_sub_u32_e32 v10, v30, v24
	v_sub_u32_e32 v11, v1, v10
	v_add_u32_e32 v11, 1, v11
	v_cmp_eq_u32_e32 vcc, 1, v36
	v_or_b32_e32 v31, 0x400, v0
	v_or_b32_e32 v30, 0x600, v0
	v_cndmask_b32_e32 v10, v11, v10, vcc
	v_lshlrev_b32_e32 v10, 3, v10
	ds_write_b64 v10, v[12:13]
	v_sub_u32_e32 v10, v29, v24
	v_sub_u32_e32 v11, v1, v10
	v_add_u32_e32 v11, 2, v11
	v_cmp_eq_u32_e32 vcc, 1, v35
	v_or_b32_e32 v29, 0x800, v0
	s_nop 0
	v_cndmask_b32_e32 v10, v11, v10, vcc
	v_lshlrev_b32_e32 v10, 3, v10
	ds_write_b64 v10, v[6:7]
	v_sub_u32_e32 v6, v27, v24
	v_sub_u32_e32 v7, v1, v6
	v_add_u32_e32 v7, 3, v7
	v_cmp_eq_u32_e32 vcc, 1, v34
	s_nop 1
	v_cndmask_b32_e32 v6, v7, v6, vcc
	v_lshlrev_b32_e32 v6, 3, v6
	ds_write_b64 v6, v[8:9]
	v_sub_u32_e32 v6, v28, v24
	v_sub_u32_e32 v7, v1, v6
	v_add_u32_e32 v7, 4, v7
	v_cmp_eq_u32_e32 vcc, 1, v33
	v_or_b32_e32 v28, 0xa00, v0
	s_nop 0
	v_cndmask_b32_e32 v6, v7, v6, vcc
	v_lshlrev_b32_e32 v6, 3, v6
	ds_write_b64 v6, v[2:3]
	v_sub_u32_e32 v2, v26, v24
	v_sub_u32_e32 v3, v1, v2
	v_add_u32_e32 v3, 5, v3
	v_cmp_eq_u32_e32 vcc, 1, v32
	v_or_b32_e32 v32, 0x200, v0
	s_nop 0
	v_cndmask_b32_e32 v2, v3, v2, vcc
	v_lshlrev_b32_e32 v2, 3, v2
	ds_write_b64 v2, v[4:5]
	v_sub_u32_e32 v2, v25, v24
	v_sub_u32_e32 v1, v1, v2
	v_add_u32_e32 v1, 6, v1
	v_cmp_eq_u32_e32 vcc, 1, v19
	v_mov_b32_e32 v25, 0
	s_waitcnt vmcnt(0)
	v_lshl_add_u64 v[34:35], v[20:21], 0, v[24:25]
	v_cndmask_b32_e32 v1, v1, v2, vcc
	v_lshlrev_b32_e32 v1, 3, v1
	v_mov_b32_e32 v17, v25
	ds_write_b64 v1, v[14:15]
	v_lshl_add_u64 v[14:15], v[34:35], 0, v[16:17]
	v_mov_b32_e32 v17, s31
	v_sub_co_u32_e32 v20, vcc, s30, v14
	s_waitcnt lgkmcnt(0)
	s_barrier
	ds_read2st64_b64 v[10:13], v18 offset1:8
	ds_read2st64_b64 v[6:9], v18 offset0:16 offset1:24
	ds_read2st64_b64 v[2:5], v18 offset0:32 offset1:40
	ds_read_b64 v[26:27], v18 offset:24576
	v_subb_co_u32_e32 v21, vcc, v17, v15, vcc
	v_lshlrev_b64 v[20:21], 3, v[20:21]
	v_lshl_add_u64 v[20:21], s[26:27], 0, v[20:21]
	v_lshl_add_u64 v[20:21], v[20:21], 0, v[22:23]
	v_lshlrev_b64 v[22:23], 3, v[34:35]
	v_or_b32_e32 v1, 0xc00, v0
	s_andn2_b64 vcc, exec, s[28:29]
	v_lshl_add_u64 v[22:23], s[24:25], 0, v[22:23]
	s_cbranch_vccnz .LBB602_79
; %bb.78:
	v_cmp_lt_u32_e32 vcc, v0, v16
	v_mov_b32_e32 v19, v25
	v_lshlrev_b32_e32 v24, 3, v32
	v_cndmask_b32_e32 v35, v21, v23, vcc
	v_cndmask_b32_e32 v34, v20, v22, vcc
	v_lshl_add_u64 v[34:35], v[34:35], 0, v[18:19]
	v_cmp_lt_u32_e32 vcc, v32, v16
	s_waitcnt lgkmcnt(3)
	global_store_dwordx2 v[34:35], v[10:11], off
	v_cndmask_b32_e32 v35, v21, v23, vcc
	v_cndmask_b32_e32 v34, v20, v22, vcc
	v_lshl_add_u64 v[34:35], v[34:35], 0, v[24:25]
	v_cmp_lt_u32_e32 vcc, v31, v16
	global_store_dwordx2 v[34:35], v[12:13], off
	v_lshlrev_b32_e32 v24, 3, v31
	v_cndmask_b32_e32 v35, v21, v23, vcc
	v_cndmask_b32_e32 v34, v20, v22, vcc
	v_lshl_add_u64 v[34:35], v[34:35], 0, v[24:25]
	v_cmp_lt_u32_e32 vcc, v30, v16
	s_waitcnt lgkmcnt(2)
	global_store_dwordx2 v[34:35], v[6:7], off
	v_lshlrev_b32_e32 v24, 3, v30
	v_cndmask_b32_e32 v35, v21, v23, vcc
	v_cndmask_b32_e32 v34, v20, v22, vcc
	v_lshl_add_u64 v[34:35], v[34:35], 0, v[24:25]
	v_cmp_lt_u32_e32 vcc, v29, v16
	global_store_dwordx2 v[34:35], v[8:9], off
	v_lshlrev_b32_e32 v24, 3, v29
	v_cndmask_b32_e32 v35, v21, v23, vcc
	v_cndmask_b32_e32 v34, v20, v22, vcc
	v_lshl_add_u64 v[34:35], v[34:35], 0, v[24:25]
	v_cmp_lt_u32_e32 vcc, v28, v16
	s_waitcnt lgkmcnt(1)
	global_store_dwordx2 v[34:35], v[2:3], off
	v_lshlrev_b32_e32 v24, 3, v28
	v_cndmask_b32_e32 v35, v21, v23, vcc
	v_cndmask_b32_e32 v34, v20, v22, vcc
	v_lshl_add_u64 v[24:25], v[34:35], 0, v[24:25]
	s_mov_b64 s[0:1], -1
	global_store_dwordx2 v[24:25], v[4:5], off
	s_cbranch_execz .LBB602_80
	s_branch .LBB602_88
.LBB602_79:
	s_mov_b64 s[0:1], 0
.LBB602_80:
	v_cmp_gt_u32_e32 vcc, s33, v0
	s_and_saveexec_b64 s[0:1], vcc
	s_cbranch_execnz .LBB602_93
; %bb.81:
	s_or_b64 exec, exec, s[0:1]
	v_cmp_gt_u32_e32 vcc, s33, v32
	s_and_saveexec_b64 s[0:1], vcc
	s_cbranch_execnz .LBB602_94
.LBB602_82:
	s_or_b64 exec, exec, s[0:1]
	v_cmp_gt_u32_e32 vcc, s33, v31
	s_and_saveexec_b64 s[0:1], vcc
	s_cbranch_execnz .LBB602_95
.LBB602_83:
	s_or_b64 exec, exec, s[0:1]
	v_cmp_gt_u32_e32 vcc, s33, v30
	s_and_saveexec_b64 s[0:1], vcc
	s_cbranch_execnz .LBB602_96
.LBB602_84:
	s_or_b64 exec, exec, s[0:1]
	v_cmp_gt_u32_e32 vcc, s33, v29
	s_and_saveexec_b64 s[0:1], vcc
	s_cbranch_execnz .LBB602_97
.LBB602_85:
	s_or_b64 exec, exec, s[0:1]
	v_cmp_gt_u32_e32 vcc, s33, v28
	s_and_saveexec_b64 s[0:1], vcc
	s_cbranch_execz .LBB602_87
.LBB602_86:
	v_cmp_lt_u32_e32 vcc, v28, v16
	s_waitcnt lgkmcnt(2)
	v_lshlrev_b32_e32 v6, 3, v28
	v_mov_b32_e32 v7, 0
	s_waitcnt lgkmcnt(1)
	v_cndmask_b32_e32 v3, v21, v23, vcc
	v_cndmask_b32_e32 v2, v20, v22, vcc
	v_lshl_add_u64 v[2:3], v[2:3], 0, v[6:7]
	global_store_dwordx2 v[2:3], v[4:5], off
.LBB602_87:
	s_or_b64 exec, exec, s[0:1]
	v_cmp_gt_u32_e64 s[0:1], s33, v1
.LBB602_88:
	s_and_saveexec_b64 s[2:3], s[0:1]
	s_cbranch_execnz .LBB602_91
; %bb.89:
	s_or_b64 exec, exec, s[2:3]
	s_and_b64 s[0:1], s[18:19], s[22:23]
	s_and_saveexec_b64 s[2:3], s[0:1]
	s_cbranch_execnz .LBB602_92
.LBB602_90:
	s_endpgm
.LBB602_91:
	v_cmp_lt_u32_e32 vcc, v1, v16
	v_lshlrev_b32_e32 v0, 3, v1
	v_mov_b32_e32 v1, 0
	s_waitcnt lgkmcnt(1)
	v_cndmask_b32_e32 v3, v21, v23, vcc
	v_cndmask_b32_e32 v2, v20, v22, vcc
	v_lshl_add_u64 v[0:1], v[2:3], 0, v[0:1]
	s_waitcnt lgkmcnt(0)
	global_store_dwordx2 v[0:1], v[26:27], off
	s_or_b64 exec, exec, s[2:3]
	s_and_b64 s[0:1], s[18:19], s[22:23]
	s_and_saveexec_b64 s[2:3], s[0:1]
	s_cbranch_execz .LBB602_90
.LBB602_92:
	v_mov_b32_e32 v0, 0
	global_store_dwordx2 v0, v[14:15], s[20:21]
	s_endpgm
.LBB602_93:
	v_cmp_lt_u32_e32 vcc, v0, v16
	v_mov_b32_e32 v19, 0
	s_nop 0
	v_cndmask_b32_e32 v25, v21, v23, vcc
	v_cndmask_b32_e32 v24, v20, v22, vcc
	v_lshl_add_u64 v[18:19], v[24:25], 0, v[18:19]
	s_waitcnt lgkmcnt(3)
	global_store_dwordx2 v[18:19], v[10:11], off
	s_or_b64 exec, exec, s[0:1]
	v_cmp_gt_u32_e32 vcc, s33, v32
	s_and_saveexec_b64 s[0:1], vcc
	s_cbranch_execz .LBB602_82
.LBB602_94:
	v_cmp_lt_u32_e32 vcc, v32, v16
	v_lshlrev_b32_e32 v18, 3, v32
	v_mov_b32_e32 v19, 0
	s_waitcnt lgkmcnt(3)
	v_cndmask_b32_e32 v11, v21, v23, vcc
	v_cndmask_b32_e32 v10, v20, v22, vcc
	v_lshl_add_u64 v[10:11], v[10:11], 0, v[18:19]
	global_store_dwordx2 v[10:11], v[12:13], off
	s_or_b64 exec, exec, s[0:1]
	v_cmp_gt_u32_e32 vcc, s33, v31
	s_and_saveexec_b64 s[0:1], vcc
	s_cbranch_execz .LBB602_83
.LBB602_95:
	v_cmp_lt_u32_e32 vcc, v31, v16
	s_waitcnt lgkmcnt(3)
	v_lshlrev_b32_e32 v12, 3, v31
	v_mov_b32_e32 v13, 0
	v_cndmask_b32_e32 v11, v21, v23, vcc
	v_cndmask_b32_e32 v10, v20, v22, vcc
	v_lshl_add_u64 v[10:11], v[10:11], 0, v[12:13]
	s_waitcnt lgkmcnt(2)
	global_store_dwordx2 v[10:11], v[6:7], off
	s_or_b64 exec, exec, s[0:1]
	v_cmp_gt_u32_e32 vcc, s33, v30
	s_and_saveexec_b64 s[0:1], vcc
	s_cbranch_execz .LBB602_84
.LBB602_96:
	v_cmp_lt_u32_e32 vcc, v30, v16
	s_waitcnt lgkmcnt(3)
	v_lshlrev_b32_e32 v10, 3, v30
	v_mov_b32_e32 v11, 0
	s_waitcnt lgkmcnt(2)
	v_cndmask_b32_e32 v7, v21, v23, vcc
	v_cndmask_b32_e32 v6, v20, v22, vcc
	v_lshl_add_u64 v[6:7], v[6:7], 0, v[10:11]
	global_store_dwordx2 v[6:7], v[8:9], off
	s_or_b64 exec, exec, s[0:1]
	v_cmp_gt_u32_e32 vcc, s33, v29
	s_and_saveexec_b64 s[0:1], vcc
	s_cbranch_execz .LBB602_85
.LBB602_97:
	v_cmp_lt_u32_e32 vcc, v29, v16
	s_waitcnt lgkmcnt(2)
	v_lshlrev_b32_e32 v8, 3, v29
	v_mov_b32_e32 v9, 0
	v_cndmask_b32_e32 v7, v21, v23, vcc
	v_cndmask_b32_e32 v6, v20, v22, vcc
	v_lshl_add_u64 v[6:7], v[6:7], 0, v[8:9]
	s_waitcnt lgkmcnt(1)
	global_store_dwordx2 v[6:7], v[2:3], off
	s_or_b64 exec, exec, s[0:1]
	v_cmp_gt_u32_e32 vcc, s33, v28
	s_and_saveexec_b64 s[0:1], vcc
	s_cbranch_execnz .LBB602_86
	s_branch .LBB602_87
	.section	.rodata,"a",@progbits
	.p2align	6, 0x0
	.amdhsa_kernel _ZN7rocprim17ROCPRIM_400000_NS6detail17trampoline_kernelINS0_14default_configENS1_25partition_config_selectorILNS1_17partition_subalgoE1ExNS0_10empty_typeEbEEZZNS1_14partition_implILS5_1ELb0ES3_jN6thrust23THRUST_200600_302600_NS6detail15normal_iteratorINSA_10device_ptrIxEEEEPS6_NSA_18transform_iteratorINSA_8identityIxEESF_NSA_11use_defaultESK_EENS0_5tupleIJSF_SF_EEENSM_IJSG_SG_EEES6_PlJS6_EEE10hipError_tPvRmT3_T4_T5_T6_T7_T9_mT8_P12ihipStream_tbDpT10_ENKUlT_T0_E_clISt17integral_constantIbLb0EES18_IbLb1EEEEDaS14_S15_EUlS14_E_NS1_11comp_targetILNS1_3genE5ELNS1_11target_archE942ELNS1_3gpuE9ELNS1_3repE0EEENS1_30default_config_static_selectorELNS0_4arch9wavefront6targetE1EEEvT1_
		.amdhsa_group_segment_fixed_size 28680
		.amdhsa_private_segment_fixed_size 0
		.amdhsa_kernarg_size 144
		.amdhsa_user_sgpr_count 2
		.amdhsa_user_sgpr_dispatch_ptr 0
		.amdhsa_user_sgpr_queue_ptr 0
		.amdhsa_user_sgpr_kernarg_segment_ptr 1
		.amdhsa_user_sgpr_dispatch_id 0
		.amdhsa_user_sgpr_kernarg_preload_length 0
		.amdhsa_user_sgpr_kernarg_preload_offset 0
		.amdhsa_user_sgpr_private_segment_size 0
		.amdhsa_uses_dynamic_stack 0
		.amdhsa_enable_private_segment 0
		.amdhsa_system_sgpr_workgroup_id_x 1
		.amdhsa_system_sgpr_workgroup_id_y 0
		.amdhsa_system_sgpr_workgroup_id_z 0
		.amdhsa_system_sgpr_workgroup_info 0
		.amdhsa_system_vgpr_workitem_id 0
		.amdhsa_next_free_vgpr 58
		.amdhsa_next_free_sgpr 44
		.amdhsa_accum_offset 60
		.amdhsa_reserve_vcc 1
		.amdhsa_float_round_mode_32 0
		.amdhsa_float_round_mode_16_64 0
		.amdhsa_float_denorm_mode_32 3
		.amdhsa_float_denorm_mode_16_64 3
		.amdhsa_dx10_clamp 1
		.amdhsa_ieee_mode 1
		.amdhsa_fp16_overflow 0
		.amdhsa_tg_split 0
		.amdhsa_exception_fp_ieee_invalid_op 0
		.amdhsa_exception_fp_denorm_src 0
		.amdhsa_exception_fp_ieee_div_zero 0
		.amdhsa_exception_fp_ieee_overflow 0
		.amdhsa_exception_fp_ieee_underflow 0
		.amdhsa_exception_fp_ieee_inexact 0
		.amdhsa_exception_int_div_zero 0
	.end_amdhsa_kernel
	.section	.text._ZN7rocprim17ROCPRIM_400000_NS6detail17trampoline_kernelINS0_14default_configENS1_25partition_config_selectorILNS1_17partition_subalgoE1ExNS0_10empty_typeEbEEZZNS1_14partition_implILS5_1ELb0ES3_jN6thrust23THRUST_200600_302600_NS6detail15normal_iteratorINSA_10device_ptrIxEEEEPS6_NSA_18transform_iteratorINSA_8identityIxEESF_NSA_11use_defaultESK_EENS0_5tupleIJSF_SF_EEENSM_IJSG_SG_EEES6_PlJS6_EEE10hipError_tPvRmT3_T4_T5_T6_T7_T9_mT8_P12ihipStream_tbDpT10_ENKUlT_T0_E_clISt17integral_constantIbLb0EES18_IbLb1EEEEDaS14_S15_EUlS14_E_NS1_11comp_targetILNS1_3genE5ELNS1_11target_archE942ELNS1_3gpuE9ELNS1_3repE0EEENS1_30default_config_static_selectorELNS0_4arch9wavefront6targetE1EEEvT1_,"axG",@progbits,_ZN7rocprim17ROCPRIM_400000_NS6detail17trampoline_kernelINS0_14default_configENS1_25partition_config_selectorILNS1_17partition_subalgoE1ExNS0_10empty_typeEbEEZZNS1_14partition_implILS5_1ELb0ES3_jN6thrust23THRUST_200600_302600_NS6detail15normal_iteratorINSA_10device_ptrIxEEEEPS6_NSA_18transform_iteratorINSA_8identityIxEESF_NSA_11use_defaultESK_EENS0_5tupleIJSF_SF_EEENSM_IJSG_SG_EEES6_PlJS6_EEE10hipError_tPvRmT3_T4_T5_T6_T7_T9_mT8_P12ihipStream_tbDpT10_ENKUlT_T0_E_clISt17integral_constantIbLb0EES18_IbLb1EEEEDaS14_S15_EUlS14_E_NS1_11comp_targetILNS1_3genE5ELNS1_11target_archE942ELNS1_3gpuE9ELNS1_3repE0EEENS1_30default_config_static_selectorELNS0_4arch9wavefront6targetE1EEEvT1_,comdat
.Lfunc_end602:
	.size	_ZN7rocprim17ROCPRIM_400000_NS6detail17trampoline_kernelINS0_14default_configENS1_25partition_config_selectorILNS1_17partition_subalgoE1ExNS0_10empty_typeEbEEZZNS1_14partition_implILS5_1ELb0ES3_jN6thrust23THRUST_200600_302600_NS6detail15normal_iteratorINSA_10device_ptrIxEEEEPS6_NSA_18transform_iteratorINSA_8identityIxEESF_NSA_11use_defaultESK_EENS0_5tupleIJSF_SF_EEENSM_IJSG_SG_EEES6_PlJS6_EEE10hipError_tPvRmT3_T4_T5_T6_T7_T9_mT8_P12ihipStream_tbDpT10_ENKUlT_T0_E_clISt17integral_constantIbLb0EES18_IbLb1EEEEDaS14_S15_EUlS14_E_NS1_11comp_targetILNS1_3genE5ELNS1_11target_archE942ELNS1_3gpuE9ELNS1_3repE0EEENS1_30default_config_static_selectorELNS0_4arch9wavefront6targetE1EEEvT1_, .Lfunc_end602-_ZN7rocprim17ROCPRIM_400000_NS6detail17trampoline_kernelINS0_14default_configENS1_25partition_config_selectorILNS1_17partition_subalgoE1ExNS0_10empty_typeEbEEZZNS1_14partition_implILS5_1ELb0ES3_jN6thrust23THRUST_200600_302600_NS6detail15normal_iteratorINSA_10device_ptrIxEEEEPS6_NSA_18transform_iteratorINSA_8identityIxEESF_NSA_11use_defaultESK_EENS0_5tupleIJSF_SF_EEENSM_IJSG_SG_EEES6_PlJS6_EEE10hipError_tPvRmT3_T4_T5_T6_T7_T9_mT8_P12ihipStream_tbDpT10_ENKUlT_T0_E_clISt17integral_constantIbLb0EES18_IbLb1EEEEDaS14_S15_EUlS14_E_NS1_11comp_targetILNS1_3genE5ELNS1_11target_archE942ELNS1_3gpuE9ELNS1_3repE0EEENS1_30default_config_static_selectorELNS0_4arch9wavefront6targetE1EEEvT1_
                                        ; -- End function
	.section	.AMDGPU.csdata,"",@progbits
; Kernel info:
; codeLenInByte = 5316
; NumSgprs: 50
; NumVgprs: 58
; NumAgprs: 0
; TotalNumVgprs: 58
; ScratchSize: 0
; MemoryBound: 0
; FloatMode: 240
; IeeeMode: 1
; LDSByteSize: 28680 bytes/workgroup (compile time only)
; SGPRBlocks: 6
; VGPRBlocks: 7
; NumSGPRsForWavesPerEU: 50
; NumVGPRsForWavesPerEU: 58
; AccumOffset: 60
; Occupancy: 4
; WaveLimiterHint : 1
; COMPUTE_PGM_RSRC2:SCRATCH_EN: 0
; COMPUTE_PGM_RSRC2:USER_SGPR: 2
; COMPUTE_PGM_RSRC2:TRAP_HANDLER: 0
; COMPUTE_PGM_RSRC2:TGID_X_EN: 1
; COMPUTE_PGM_RSRC2:TGID_Y_EN: 0
; COMPUTE_PGM_RSRC2:TGID_Z_EN: 0
; COMPUTE_PGM_RSRC2:TIDIG_COMP_CNT: 0
; COMPUTE_PGM_RSRC3_GFX90A:ACCUM_OFFSET: 14
; COMPUTE_PGM_RSRC3_GFX90A:TG_SPLIT: 0
	.section	.text._ZN7rocprim17ROCPRIM_400000_NS6detail17trampoline_kernelINS0_14default_configENS1_25partition_config_selectorILNS1_17partition_subalgoE1ExNS0_10empty_typeEbEEZZNS1_14partition_implILS5_1ELb0ES3_jN6thrust23THRUST_200600_302600_NS6detail15normal_iteratorINSA_10device_ptrIxEEEEPS6_NSA_18transform_iteratorINSA_8identityIxEESF_NSA_11use_defaultESK_EENS0_5tupleIJSF_SF_EEENSM_IJSG_SG_EEES6_PlJS6_EEE10hipError_tPvRmT3_T4_T5_T6_T7_T9_mT8_P12ihipStream_tbDpT10_ENKUlT_T0_E_clISt17integral_constantIbLb0EES18_IbLb1EEEEDaS14_S15_EUlS14_E_NS1_11comp_targetILNS1_3genE4ELNS1_11target_archE910ELNS1_3gpuE8ELNS1_3repE0EEENS1_30default_config_static_selectorELNS0_4arch9wavefront6targetE1EEEvT1_,"axG",@progbits,_ZN7rocprim17ROCPRIM_400000_NS6detail17trampoline_kernelINS0_14default_configENS1_25partition_config_selectorILNS1_17partition_subalgoE1ExNS0_10empty_typeEbEEZZNS1_14partition_implILS5_1ELb0ES3_jN6thrust23THRUST_200600_302600_NS6detail15normal_iteratorINSA_10device_ptrIxEEEEPS6_NSA_18transform_iteratorINSA_8identityIxEESF_NSA_11use_defaultESK_EENS0_5tupleIJSF_SF_EEENSM_IJSG_SG_EEES6_PlJS6_EEE10hipError_tPvRmT3_T4_T5_T6_T7_T9_mT8_P12ihipStream_tbDpT10_ENKUlT_T0_E_clISt17integral_constantIbLb0EES18_IbLb1EEEEDaS14_S15_EUlS14_E_NS1_11comp_targetILNS1_3genE4ELNS1_11target_archE910ELNS1_3gpuE8ELNS1_3repE0EEENS1_30default_config_static_selectorELNS0_4arch9wavefront6targetE1EEEvT1_,comdat
	.protected	_ZN7rocprim17ROCPRIM_400000_NS6detail17trampoline_kernelINS0_14default_configENS1_25partition_config_selectorILNS1_17partition_subalgoE1ExNS0_10empty_typeEbEEZZNS1_14partition_implILS5_1ELb0ES3_jN6thrust23THRUST_200600_302600_NS6detail15normal_iteratorINSA_10device_ptrIxEEEEPS6_NSA_18transform_iteratorINSA_8identityIxEESF_NSA_11use_defaultESK_EENS0_5tupleIJSF_SF_EEENSM_IJSG_SG_EEES6_PlJS6_EEE10hipError_tPvRmT3_T4_T5_T6_T7_T9_mT8_P12ihipStream_tbDpT10_ENKUlT_T0_E_clISt17integral_constantIbLb0EES18_IbLb1EEEEDaS14_S15_EUlS14_E_NS1_11comp_targetILNS1_3genE4ELNS1_11target_archE910ELNS1_3gpuE8ELNS1_3repE0EEENS1_30default_config_static_selectorELNS0_4arch9wavefront6targetE1EEEvT1_ ; -- Begin function _ZN7rocprim17ROCPRIM_400000_NS6detail17trampoline_kernelINS0_14default_configENS1_25partition_config_selectorILNS1_17partition_subalgoE1ExNS0_10empty_typeEbEEZZNS1_14partition_implILS5_1ELb0ES3_jN6thrust23THRUST_200600_302600_NS6detail15normal_iteratorINSA_10device_ptrIxEEEEPS6_NSA_18transform_iteratorINSA_8identityIxEESF_NSA_11use_defaultESK_EENS0_5tupleIJSF_SF_EEENSM_IJSG_SG_EEES6_PlJS6_EEE10hipError_tPvRmT3_T4_T5_T6_T7_T9_mT8_P12ihipStream_tbDpT10_ENKUlT_T0_E_clISt17integral_constantIbLb0EES18_IbLb1EEEEDaS14_S15_EUlS14_E_NS1_11comp_targetILNS1_3genE4ELNS1_11target_archE910ELNS1_3gpuE8ELNS1_3repE0EEENS1_30default_config_static_selectorELNS0_4arch9wavefront6targetE1EEEvT1_
	.globl	_ZN7rocprim17ROCPRIM_400000_NS6detail17trampoline_kernelINS0_14default_configENS1_25partition_config_selectorILNS1_17partition_subalgoE1ExNS0_10empty_typeEbEEZZNS1_14partition_implILS5_1ELb0ES3_jN6thrust23THRUST_200600_302600_NS6detail15normal_iteratorINSA_10device_ptrIxEEEEPS6_NSA_18transform_iteratorINSA_8identityIxEESF_NSA_11use_defaultESK_EENS0_5tupleIJSF_SF_EEENSM_IJSG_SG_EEES6_PlJS6_EEE10hipError_tPvRmT3_T4_T5_T6_T7_T9_mT8_P12ihipStream_tbDpT10_ENKUlT_T0_E_clISt17integral_constantIbLb0EES18_IbLb1EEEEDaS14_S15_EUlS14_E_NS1_11comp_targetILNS1_3genE4ELNS1_11target_archE910ELNS1_3gpuE8ELNS1_3repE0EEENS1_30default_config_static_selectorELNS0_4arch9wavefront6targetE1EEEvT1_
	.p2align	8
	.type	_ZN7rocprim17ROCPRIM_400000_NS6detail17trampoline_kernelINS0_14default_configENS1_25partition_config_selectorILNS1_17partition_subalgoE1ExNS0_10empty_typeEbEEZZNS1_14partition_implILS5_1ELb0ES3_jN6thrust23THRUST_200600_302600_NS6detail15normal_iteratorINSA_10device_ptrIxEEEEPS6_NSA_18transform_iteratorINSA_8identityIxEESF_NSA_11use_defaultESK_EENS0_5tupleIJSF_SF_EEENSM_IJSG_SG_EEES6_PlJS6_EEE10hipError_tPvRmT3_T4_T5_T6_T7_T9_mT8_P12ihipStream_tbDpT10_ENKUlT_T0_E_clISt17integral_constantIbLb0EES18_IbLb1EEEEDaS14_S15_EUlS14_E_NS1_11comp_targetILNS1_3genE4ELNS1_11target_archE910ELNS1_3gpuE8ELNS1_3repE0EEENS1_30default_config_static_selectorELNS0_4arch9wavefront6targetE1EEEvT1_,@function
_ZN7rocprim17ROCPRIM_400000_NS6detail17trampoline_kernelINS0_14default_configENS1_25partition_config_selectorILNS1_17partition_subalgoE1ExNS0_10empty_typeEbEEZZNS1_14partition_implILS5_1ELb0ES3_jN6thrust23THRUST_200600_302600_NS6detail15normal_iteratorINSA_10device_ptrIxEEEEPS6_NSA_18transform_iteratorINSA_8identityIxEESF_NSA_11use_defaultESK_EENS0_5tupleIJSF_SF_EEENSM_IJSG_SG_EEES6_PlJS6_EEE10hipError_tPvRmT3_T4_T5_T6_T7_T9_mT8_P12ihipStream_tbDpT10_ENKUlT_T0_E_clISt17integral_constantIbLb0EES18_IbLb1EEEEDaS14_S15_EUlS14_E_NS1_11comp_targetILNS1_3genE4ELNS1_11target_archE910ELNS1_3gpuE8ELNS1_3repE0EEENS1_30default_config_static_selectorELNS0_4arch9wavefront6targetE1EEEvT1_: ; @_ZN7rocprim17ROCPRIM_400000_NS6detail17trampoline_kernelINS0_14default_configENS1_25partition_config_selectorILNS1_17partition_subalgoE1ExNS0_10empty_typeEbEEZZNS1_14partition_implILS5_1ELb0ES3_jN6thrust23THRUST_200600_302600_NS6detail15normal_iteratorINSA_10device_ptrIxEEEEPS6_NSA_18transform_iteratorINSA_8identityIxEESF_NSA_11use_defaultESK_EENS0_5tupleIJSF_SF_EEENSM_IJSG_SG_EEES6_PlJS6_EEE10hipError_tPvRmT3_T4_T5_T6_T7_T9_mT8_P12ihipStream_tbDpT10_ENKUlT_T0_E_clISt17integral_constantIbLb0EES18_IbLb1EEEEDaS14_S15_EUlS14_E_NS1_11comp_targetILNS1_3genE4ELNS1_11target_archE910ELNS1_3gpuE8ELNS1_3repE0EEENS1_30default_config_static_selectorELNS0_4arch9wavefront6targetE1EEEvT1_
; %bb.0:
	.section	.rodata,"a",@progbits
	.p2align	6, 0x0
	.amdhsa_kernel _ZN7rocprim17ROCPRIM_400000_NS6detail17trampoline_kernelINS0_14default_configENS1_25partition_config_selectorILNS1_17partition_subalgoE1ExNS0_10empty_typeEbEEZZNS1_14partition_implILS5_1ELb0ES3_jN6thrust23THRUST_200600_302600_NS6detail15normal_iteratorINSA_10device_ptrIxEEEEPS6_NSA_18transform_iteratorINSA_8identityIxEESF_NSA_11use_defaultESK_EENS0_5tupleIJSF_SF_EEENSM_IJSG_SG_EEES6_PlJS6_EEE10hipError_tPvRmT3_T4_T5_T6_T7_T9_mT8_P12ihipStream_tbDpT10_ENKUlT_T0_E_clISt17integral_constantIbLb0EES18_IbLb1EEEEDaS14_S15_EUlS14_E_NS1_11comp_targetILNS1_3genE4ELNS1_11target_archE910ELNS1_3gpuE8ELNS1_3repE0EEENS1_30default_config_static_selectorELNS0_4arch9wavefront6targetE1EEEvT1_
		.amdhsa_group_segment_fixed_size 0
		.amdhsa_private_segment_fixed_size 0
		.amdhsa_kernarg_size 144
		.amdhsa_user_sgpr_count 2
		.amdhsa_user_sgpr_dispatch_ptr 0
		.amdhsa_user_sgpr_queue_ptr 0
		.amdhsa_user_sgpr_kernarg_segment_ptr 1
		.amdhsa_user_sgpr_dispatch_id 0
		.amdhsa_user_sgpr_kernarg_preload_length 0
		.amdhsa_user_sgpr_kernarg_preload_offset 0
		.amdhsa_user_sgpr_private_segment_size 0
		.amdhsa_uses_dynamic_stack 0
		.amdhsa_enable_private_segment 0
		.amdhsa_system_sgpr_workgroup_id_x 1
		.amdhsa_system_sgpr_workgroup_id_y 0
		.amdhsa_system_sgpr_workgroup_id_z 0
		.amdhsa_system_sgpr_workgroup_info 0
		.amdhsa_system_vgpr_workitem_id 0
		.amdhsa_next_free_vgpr 1
		.amdhsa_next_free_sgpr 0
		.amdhsa_accum_offset 4
		.amdhsa_reserve_vcc 0
		.amdhsa_float_round_mode_32 0
		.amdhsa_float_round_mode_16_64 0
		.amdhsa_float_denorm_mode_32 3
		.amdhsa_float_denorm_mode_16_64 3
		.amdhsa_dx10_clamp 1
		.amdhsa_ieee_mode 1
		.amdhsa_fp16_overflow 0
		.amdhsa_tg_split 0
		.amdhsa_exception_fp_ieee_invalid_op 0
		.amdhsa_exception_fp_denorm_src 0
		.amdhsa_exception_fp_ieee_div_zero 0
		.amdhsa_exception_fp_ieee_overflow 0
		.amdhsa_exception_fp_ieee_underflow 0
		.amdhsa_exception_fp_ieee_inexact 0
		.amdhsa_exception_int_div_zero 0
	.end_amdhsa_kernel
	.section	.text._ZN7rocprim17ROCPRIM_400000_NS6detail17trampoline_kernelINS0_14default_configENS1_25partition_config_selectorILNS1_17partition_subalgoE1ExNS0_10empty_typeEbEEZZNS1_14partition_implILS5_1ELb0ES3_jN6thrust23THRUST_200600_302600_NS6detail15normal_iteratorINSA_10device_ptrIxEEEEPS6_NSA_18transform_iteratorINSA_8identityIxEESF_NSA_11use_defaultESK_EENS0_5tupleIJSF_SF_EEENSM_IJSG_SG_EEES6_PlJS6_EEE10hipError_tPvRmT3_T4_T5_T6_T7_T9_mT8_P12ihipStream_tbDpT10_ENKUlT_T0_E_clISt17integral_constantIbLb0EES18_IbLb1EEEEDaS14_S15_EUlS14_E_NS1_11comp_targetILNS1_3genE4ELNS1_11target_archE910ELNS1_3gpuE8ELNS1_3repE0EEENS1_30default_config_static_selectorELNS0_4arch9wavefront6targetE1EEEvT1_,"axG",@progbits,_ZN7rocprim17ROCPRIM_400000_NS6detail17trampoline_kernelINS0_14default_configENS1_25partition_config_selectorILNS1_17partition_subalgoE1ExNS0_10empty_typeEbEEZZNS1_14partition_implILS5_1ELb0ES3_jN6thrust23THRUST_200600_302600_NS6detail15normal_iteratorINSA_10device_ptrIxEEEEPS6_NSA_18transform_iteratorINSA_8identityIxEESF_NSA_11use_defaultESK_EENS0_5tupleIJSF_SF_EEENSM_IJSG_SG_EEES6_PlJS6_EEE10hipError_tPvRmT3_T4_T5_T6_T7_T9_mT8_P12ihipStream_tbDpT10_ENKUlT_T0_E_clISt17integral_constantIbLb0EES18_IbLb1EEEEDaS14_S15_EUlS14_E_NS1_11comp_targetILNS1_3genE4ELNS1_11target_archE910ELNS1_3gpuE8ELNS1_3repE0EEENS1_30default_config_static_selectorELNS0_4arch9wavefront6targetE1EEEvT1_,comdat
.Lfunc_end603:
	.size	_ZN7rocprim17ROCPRIM_400000_NS6detail17trampoline_kernelINS0_14default_configENS1_25partition_config_selectorILNS1_17partition_subalgoE1ExNS0_10empty_typeEbEEZZNS1_14partition_implILS5_1ELb0ES3_jN6thrust23THRUST_200600_302600_NS6detail15normal_iteratorINSA_10device_ptrIxEEEEPS6_NSA_18transform_iteratorINSA_8identityIxEESF_NSA_11use_defaultESK_EENS0_5tupleIJSF_SF_EEENSM_IJSG_SG_EEES6_PlJS6_EEE10hipError_tPvRmT3_T4_T5_T6_T7_T9_mT8_P12ihipStream_tbDpT10_ENKUlT_T0_E_clISt17integral_constantIbLb0EES18_IbLb1EEEEDaS14_S15_EUlS14_E_NS1_11comp_targetILNS1_3genE4ELNS1_11target_archE910ELNS1_3gpuE8ELNS1_3repE0EEENS1_30default_config_static_selectorELNS0_4arch9wavefront6targetE1EEEvT1_, .Lfunc_end603-_ZN7rocprim17ROCPRIM_400000_NS6detail17trampoline_kernelINS0_14default_configENS1_25partition_config_selectorILNS1_17partition_subalgoE1ExNS0_10empty_typeEbEEZZNS1_14partition_implILS5_1ELb0ES3_jN6thrust23THRUST_200600_302600_NS6detail15normal_iteratorINSA_10device_ptrIxEEEEPS6_NSA_18transform_iteratorINSA_8identityIxEESF_NSA_11use_defaultESK_EENS0_5tupleIJSF_SF_EEENSM_IJSG_SG_EEES6_PlJS6_EEE10hipError_tPvRmT3_T4_T5_T6_T7_T9_mT8_P12ihipStream_tbDpT10_ENKUlT_T0_E_clISt17integral_constantIbLb0EES18_IbLb1EEEEDaS14_S15_EUlS14_E_NS1_11comp_targetILNS1_3genE4ELNS1_11target_archE910ELNS1_3gpuE8ELNS1_3repE0EEENS1_30default_config_static_selectorELNS0_4arch9wavefront6targetE1EEEvT1_
                                        ; -- End function
	.section	.AMDGPU.csdata,"",@progbits
; Kernel info:
; codeLenInByte = 0
; NumSgprs: 6
; NumVgprs: 0
; NumAgprs: 0
; TotalNumVgprs: 0
; ScratchSize: 0
; MemoryBound: 0
; FloatMode: 240
; IeeeMode: 1
; LDSByteSize: 0 bytes/workgroup (compile time only)
; SGPRBlocks: 0
; VGPRBlocks: 0
; NumSGPRsForWavesPerEU: 6
; NumVGPRsForWavesPerEU: 1
; AccumOffset: 4
; Occupancy: 8
; WaveLimiterHint : 0
; COMPUTE_PGM_RSRC2:SCRATCH_EN: 0
; COMPUTE_PGM_RSRC2:USER_SGPR: 2
; COMPUTE_PGM_RSRC2:TRAP_HANDLER: 0
; COMPUTE_PGM_RSRC2:TGID_X_EN: 1
; COMPUTE_PGM_RSRC2:TGID_Y_EN: 0
; COMPUTE_PGM_RSRC2:TGID_Z_EN: 0
; COMPUTE_PGM_RSRC2:TIDIG_COMP_CNT: 0
; COMPUTE_PGM_RSRC3_GFX90A:ACCUM_OFFSET: 0
; COMPUTE_PGM_RSRC3_GFX90A:TG_SPLIT: 0
	.section	.text._ZN7rocprim17ROCPRIM_400000_NS6detail17trampoline_kernelINS0_14default_configENS1_25partition_config_selectorILNS1_17partition_subalgoE1ExNS0_10empty_typeEbEEZZNS1_14partition_implILS5_1ELb0ES3_jN6thrust23THRUST_200600_302600_NS6detail15normal_iteratorINSA_10device_ptrIxEEEEPS6_NSA_18transform_iteratorINSA_8identityIxEESF_NSA_11use_defaultESK_EENS0_5tupleIJSF_SF_EEENSM_IJSG_SG_EEES6_PlJS6_EEE10hipError_tPvRmT3_T4_T5_T6_T7_T9_mT8_P12ihipStream_tbDpT10_ENKUlT_T0_E_clISt17integral_constantIbLb0EES18_IbLb1EEEEDaS14_S15_EUlS14_E_NS1_11comp_targetILNS1_3genE3ELNS1_11target_archE908ELNS1_3gpuE7ELNS1_3repE0EEENS1_30default_config_static_selectorELNS0_4arch9wavefront6targetE1EEEvT1_,"axG",@progbits,_ZN7rocprim17ROCPRIM_400000_NS6detail17trampoline_kernelINS0_14default_configENS1_25partition_config_selectorILNS1_17partition_subalgoE1ExNS0_10empty_typeEbEEZZNS1_14partition_implILS5_1ELb0ES3_jN6thrust23THRUST_200600_302600_NS6detail15normal_iteratorINSA_10device_ptrIxEEEEPS6_NSA_18transform_iteratorINSA_8identityIxEESF_NSA_11use_defaultESK_EENS0_5tupleIJSF_SF_EEENSM_IJSG_SG_EEES6_PlJS6_EEE10hipError_tPvRmT3_T4_T5_T6_T7_T9_mT8_P12ihipStream_tbDpT10_ENKUlT_T0_E_clISt17integral_constantIbLb0EES18_IbLb1EEEEDaS14_S15_EUlS14_E_NS1_11comp_targetILNS1_3genE3ELNS1_11target_archE908ELNS1_3gpuE7ELNS1_3repE0EEENS1_30default_config_static_selectorELNS0_4arch9wavefront6targetE1EEEvT1_,comdat
	.protected	_ZN7rocprim17ROCPRIM_400000_NS6detail17trampoline_kernelINS0_14default_configENS1_25partition_config_selectorILNS1_17partition_subalgoE1ExNS0_10empty_typeEbEEZZNS1_14partition_implILS5_1ELb0ES3_jN6thrust23THRUST_200600_302600_NS6detail15normal_iteratorINSA_10device_ptrIxEEEEPS6_NSA_18transform_iteratorINSA_8identityIxEESF_NSA_11use_defaultESK_EENS0_5tupleIJSF_SF_EEENSM_IJSG_SG_EEES6_PlJS6_EEE10hipError_tPvRmT3_T4_T5_T6_T7_T9_mT8_P12ihipStream_tbDpT10_ENKUlT_T0_E_clISt17integral_constantIbLb0EES18_IbLb1EEEEDaS14_S15_EUlS14_E_NS1_11comp_targetILNS1_3genE3ELNS1_11target_archE908ELNS1_3gpuE7ELNS1_3repE0EEENS1_30default_config_static_selectorELNS0_4arch9wavefront6targetE1EEEvT1_ ; -- Begin function _ZN7rocprim17ROCPRIM_400000_NS6detail17trampoline_kernelINS0_14default_configENS1_25partition_config_selectorILNS1_17partition_subalgoE1ExNS0_10empty_typeEbEEZZNS1_14partition_implILS5_1ELb0ES3_jN6thrust23THRUST_200600_302600_NS6detail15normal_iteratorINSA_10device_ptrIxEEEEPS6_NSA_18transform_iteratorINSA_8identityIxEESF_NSA_11use_defaultESK_EENS0_5tupleIJSF_SF_EEENSM_IJSG_SG_EEES6_PlJS6_EEE10hipError_tPvRmT3_T4_T5_T6_T7_T9_mT8_P12ihipStream_tbDpT10_ENKUlT_T0_E_clISt17integral_constantIbLb0EES18_IbLb1EEEEDaS14_S15_EUlS14_E_NS1_11comp_targetILNS1_3genE3ELNS1_11target_archE908ELNS1_3gpuE7ELNS1_3repE0EEENS1_30default_config_static_selectorELNS0_4arch9wavefront6targetE1EEEvT1_
	.globl	_ZN7rocprim17ROCPRIM_400000_NS6detail17trampoline_kernelINS0_14default_configENS1_25partition_config_selectorILNS1_17partition_subalgoE1ExNS0_10empty_typeEbEEZZNS1_14partition_implILS5_1ELb0ES3_jN6thrust23THRUST_200600_302600_NS6detail15normal_iteratorINSA_10device_ptrIxEEEEPS6_NSA_18transform_iteratorINSA_8identityIxEESF_NSA_11use_defaultESK_EENS0_5tupleIJSF_SF_EEENSM_IJSG_SG_EEES6_PlJS6_EEE10hipError_tPvRmT3_T4_T5_T6_T7_T9_mT8_P12ihipStream_tbDpT10_ENKUlT_T0_E_clISt17integral_constantIbLb0EES18_IbLb1EEEEDaS14_S15_EUlS14_E_NS1_11comp_targetILNS1_3genE3ELNS1_11target_archE908ELNS1_3gpuE7ELNS1_3repE0EEENS1_30default_config_static_selectorELNS0_4arch9wavefront6targetE1EEEvT1_
	.p2align	8
	.type	_ZN7rocprim17ROCPRIM_400000_NS6detail17trampoline_kernelINS0_14default_configENS1_25partition_config_selectorILNS1_17partition_subalgoE1ExNS0_10empty_typeEbEEZZNS1_14partition_implILS5_1ELb0ES3_jN6thrust23THRUST_200600_302600_NS6detail15normal_iteratorINSA_10device_ptrIxEEEEPS6_NSA_18transform_iteratorINSA_8identityIxEESF_NSA_11use_defaultESK_EENS0_5tupleIJSF_SF_EEENSM_IJSG_SG_EEES6_PlJS6_EEE10hipError_tPvRmT3_T4_T5_T6_T7_T9_mT8_P12ihipStream_tbDpT10_ENKUlT_T0_E_clISt17integral_constantIbLb0EES18_IbLb1EEEEDaS14_S15_EUlS14_E_NS1_11comp_targetILNS1_3genE3ELNS1_11target_archE908ELNS1_3gpuE7ELNS1_3repE0EEENS1_30default_config_static_selectorELNS0_4arch9wavefront6targetE1EEEvT1_,@function
_ZN7rocprim17ROCPRIM_400000_NS6detail17trampoline_kernelINS0_14default_configENS1_25partition_config_selectorILNS1_17partition_subalgoE1ExNS0_10empty_typeEbEEZZNS1_14partition_implILS5_1ELb0ES3_jN6thrust23THRUST_200600_302600_NS6detail15normal_iteratorINSA_10device_ptrIxEEEEPS6_NSA_18transform_iteratorINSA_8identityIxEESF_NSA_11use_defaultESK_EENS0_5tupleIJSF_SF_EEENSM_IJSG_SG_EEES6_PlJS6_EEE10hipError_tPvRmT3_T4_T5_T6_T7_T9_mT8_P12ihipStream_tbDpT10_ENKUlT_T0_E_clISt17integral_constantIbLb0EES18_IbLb1EEEEDaS14_S15_EUlS14_E_NS1_11comp_targetILNS1_3genE3ELNS1_11target_archE908ELNS1_3gpuE7ELNS1_3repE0EEENS1_30default_config_static_selectorELNS0_4arch9wavefront6targetE1EEEvT1_: ; @_ZN7rocprim17ROCPRIM_400000_NS6detail17trampoline_kernelINS0_14default_configENS1_25partition_config_selectorILNS1_17partition_subalgoE1ExNS0_10empty_typeEbEEZZNS1_14partition_implILS5_1ELb0ES3_jN6thrust23THRUST_200600_302600_NS6detail15normal_iteratorINSA_10device_ptrIxEEEEPS6_NSA_18transform_iteratorINSA_8identityIxEESF_NSA_11use_defaultESK_EENS0_5tupleIJSF_SF_EEENSM_IJSG_SG_EEES6_PlJS6_EEE10hipError_tPvRmT3_T4_T5_T6_T7_T9_mT8_P12ihipStream_tbDpT10_ENKUlT_T0_E_clISt17integral_constantIbLb0EES18_IbLb1EEEEDaS14_S15_EUlS14_E_NS1_11comp_targetILNS1_3genE3ELNS1_11target_archE908ELNS1_3gpuE7ELNS1_3repE0EEENS1_30default_config_static_selectorELNS0_4arch9wavefront6targetE1EEEvT1_
; %bb.0:
	.section	.rodata,"a",@progbits
	.p2align	6, 0x0
	.amdhsa_kernel _ZN7rocprim17ROCPRIM_400000_NS6detail17trampoline_kernelINS0_14default_configENS1_25partition_config_selectorILNS1_17partition_subalgoE1ExNS0_10empty_typeEbEEZZNS1_14partition_implILS5_1ELb0ES3_jN6thrust23THRUST_200600_302600_NS6detail15normal_iteratorINSA_10device_ptrIxEEEEPS6_NSA_18transform_iteratorINSA_8identityIxEESF_NSA_11use_defaultESK_EENS0_5tupleIJSF_SF_EEENSM_IJSG_SG_EEES6_PlJS6_EEE10hipError_tPvRmT3_T4_T5_T6_T7_T9_mT8_P12ihipStream_tbDpT10_ENKUlT_T0_E_clISt17integral_constantIbLb0EES18_IbLb1EEEEDaS14_S15_EUlS14_E_NS1_11comp_targetILNS1_3genE3ELNS1_11target_archE908ELNS1_3gpuE7ELNS1_3repE0EEENS1_30default_config_static_selectorELNS0_4arch9wavefront6targetE1EEEvT1_
		.amdhsa_group_segment_fixed_size 0
		.amdhsa_private_segment_fixed_size 0
		.amdhsa_kernarg_size 144
		.amdhsa_user_sgpr_count 2
		.amdhsa_user_sgpr_dispatch_ptr 0
		.amdhsa_user_sgpr_queue_ptr 0
		.amdhsa_user_sgpr_kernarg_segment_ptr 1
		.amdhsa_user_sgpr_dispatch_id 0
		.amdhsa_user_sgpr_kernarg_preload_length 0
		.amdhsa_user_sgpr_kernarg_preload_offset 0
		.amdhsa_user_sgpr_private_segment_size 0
		.amdhsa_uses_dynamic_stack 0
		.amdhsa_enable_private_segment 0
		.amdhsa_system_sgpr_workgroup_id_x 1
		.amdhsa_system_sgpr_workgroup_id_y 0
		.amdhsa_system_sgpr_workgroup_id_z 0
		.amdhsa_system_sgpr_workgroup_info 0
		.amdhsa_system_vgpr_workitem_id 0
		.amdhsa_next_free_vgpr 1
		.amdhsa_next_free_sgpr 0
		.amdhsa_accum_offset 4
		.amdhsa_reserve_vcc 0
		.amdhsa_float_round_mode_32 0
		.amdhsa_float_round_mode_16_64 0
		.amdhsa_float_denorm_mode_32 3
		.amdhsa_float_denorm_mode_16_64 3
		.amdhsa_dx10_clamp 1
		.amdhsa_ieee_mode 1
		.amdhsa_fp16_overflow 0
		.amdhsa_tg_split 0
		.amdhsa_exception_fp_ieee_invalid_op 0
		.amdhsa_exception_fp_denorm_src 0
		.amdhsa_exception_fp_ieee_div_zero 0
		.amdhsa_exception_fp_ieee_overflow 0
		.amdhsa_exception_fp_ieee_underflow 0
		.amdhsa_exception_fp_ieee_inexact 0
		.amdhsa_exception_int_div_zero 0
	.end_amdhsa_kernel
	.section	.text._ZN7rocprim17ROCPRIM_400000_NS6detail17trampoline_kernelINS0_14default_configENS1_25partition_config_selectorILNS1_17partition_subalgoE1ExNS0_10empty_typeEbEEZZNS1_14partition_implILS5_1ELb0ES3_jN6thrust23THRUST_200600_302600_NS6detail15normal_iteratorINSA_10device_ptrIxEEEEPS6_NSA_18transform_iteratorINSA_8identityIxEESF_NSA_11use_defaultESK_EENS0_5tupleIJSF_SF_EEENSM_IJSG_SG_EEES6_PlJS6_EEE10hipError_tPvRmT3_T4_T5_T6_T7_T9_mT8_P12ihipStream_tbDpT10_ENKUlT_T0_E_clISt17integral_constantIbLb0EES18_IbLb1EEEEDaS14_S15_EUlS14_E_NS1_11comp_targetILNS1_3genE3ELNS1_11target_archE908ELNS1_3gpuE7ELNS1_3repE0EEENS1_30default_config_static_selectorELNS0_4arch9wavefront6targetE1EEEvT1_,"axG",@progbits,_ZN7rocprim17ROCPRIM_400000_NS6detail17trampoline_kernelINS0_14default_configENS1_25partition_config_selectorILNS1_17partition_subalgoE1ExNS0_10empty_typeEbEEZZNS1_14partition_implILS5_1ELb0ES3_jN6thrust23THRUST_200600_302600_NS6detail15normal_iteratorINSA_10device_ptrIxEEEEPS6_NSA_18transform_iteratorINSA_8identityIxEESF_NSA_11use_defaultESK_EENS0_5tupleIJSF_SF_EEENSM_IJSG_SG_EEES6_PlJS6_EEE10hipError_tPvRmT3_T4_T5_T6_T7_T9_mT8_P12ihipStream_tbDpT10_ENKUlT_T0_E_clISt17integral_constantIbLb0EES18_IbLb1EEEEDaS14_S15_EUlS14_E_NS1_11comp_targetILNS1_3genE3ELNS1_11target_archE908ELNS1_3gpuE7ELNS1_3repE0EEENS1_30default_config_static_selectorELNS0_4arch9wavefront6targetE1EEEvT1_,comdat
.Lfunc_end604:
	.size	_ZN7rocprim17ROCPRIM_400000_NS6detail17trampoline_kernelINS0_14default_configENS1_25partition_config_selectorILNS1_17partition_subalgoE1ExNS0_10empty_typeEbEEZZNS1_14partition_implILS5_1ELb0ES3_jN6thrust23THRUST_200600_302600_NS6detail15normal_iteratorINSA_10device_ptrIxEEEEPS6_NSA_18transform_iteratorINSA_8identityIxEESF_NSA_11use_defaultESK_EENS0_5tupleIJSF_SF_EEENSM_IJSG_SG_EEES6_PlJS6_EEE10hipError_tPvRmT3_T4_T5_T6_T7_T9_mT8_P12ihipStream_tbDpT10_ENKUlT_T0_E_clISt17integral_constantIbLb0EES18_IbLb1EEEEDaS14_S15_EUlS14_E_NS1_11comp_targetILNS1_3genE3ELNS1_11target_archE908ELNS1_3gpuE7ELNS1_3repE0EEENS1_30default_config_static_selectorELNS0_4arch9wavefront6targetE1EEEvT1_, .Lfunc_end604-_ZN7rocprim17ROCPRIM_400000_NS6detail17trampoline_kernelINS0_14default_configENS1_25partition_config_selectorILNS1_17partition_subalgoE1ExNS0_10empty_typeEbEEZZNS1_14partition_implILS5_1ELb0ES3_jN6thrust23THRUST_200600_302600_NS6detail15normal_iteratorINSA_10device_ptrIxEEEEPS6_NSA_18transform_iteratorINSA_8identityIxEESF_NSA_11use_defaultESK_EENS0_5tupleIJSF_SF_EEENSM_IJSG_SG_EEES6_PlJS6_EEE10hipError_tPvRmT3_T4_T5_T6_T7_T9_mT8_P12ihipStream_tbDpT10_ENKUlT_T0_E_clISt17integral_constantIbLb0EES18_IbLb1EEEEDaS14_S15_EUlS14_E_NS1_11comp_targetILNS1_3genE3ELNS1_11target_archE908ELNS1_3gpuE7ELNS1_3repE0EEENS1_30default_config_static_selectorELNS0_4arch9wavefront6targetE1EEEvT1_
                                        ; -- End function
	.section	.AMDGPU.csdata,"",@progbits
; Kernel info:
; codeLenInByte = 0
; NumSgprs: 6
; NumVgprs: 0
; NumAgprs: 0
; TotalNumVgprs: 0
; ScratchSize: 0
; MemoryBound: 0
; FloatMode: 240
; IeeeMode: 1
; LDSByteSize: 0 bytes/workgroup (compile time only)
; SGPRBlocks: 0
; VGPRBlocks: 0
; NumSGPRsForWavesPerEU: 6
; NumVGPRsForWavesPerEU: 1
; AccumOffset: 4
; Occupancy: 8
; WaveLimiterHint : 0
; COMPUTE_PGM_RSRC2:SCRATCH_EN: 0
; COMPUTE_PGM_RSRC2:USER_SGPR: 2
; COMPUTE_PGM_RSRC2:TRAP_HANDLER: 0
; COMPUTE_PGM_RSRC2:TGID_X_EN: 1
; COMPUTE_PGM_RSRC2:TGID_Y_EN: 0
; COMPUTE_PGM_RSRC2:TGID_Z_EN: 0
; COMPUTE_PGM_RSRC2:TIDIG_COMP_CNT: 0
; COMPUTE_PGM_RSRC3_GFX90A:ACCUM_OFFSET: 0
; COMPUTE_PGM_RSRC3_GFX90A:TG_SPLIT: 0
	.section	.text._ZN7rocprim17ROCPRIM_400000_NS6detail17trampoline_kernelINS0_14default_configENS1_25partition_config_selectorILNS1_17partition_subalgoE1ExNS0_10empty_typeEbEEZZNS1_14partition_implILS5_1ELb0ES3_jN6thrust23THRUST_200600_302600_NS6detail15normal_iteratorINSA_10device_ptrIxEEEEPS6_NSA_18transform_iteratorINSA_8identityIxEESF_NSA_11use_defaultESK_EENS0_5tupleIJSF_SF_EEENSM_IJSG_SG_EEES6_PlJS6_EEE10hipError_tPvRmT3_T4_T5_T6_T7_T9_mT8_P12ihipStream_tbDpT10_ENKUlT_T0_E_clISt17integral_constantIbLb0EES18_IbLb1EEEEDaS14_S15_EUlS14_E_NS1_11comp_targetILNS1_3genE2ELNS1_11target_archE906ELNS1_3gpuE6ELNS1_3repE0EEENS1_30default_config_static_selectorELNS0_4arch9wavefront6targetE1EEEvT1_,"axG",@progbits,_ZN7rocprim17ROCPRIM_400000_NS6detail17trampoline_kernelINS0_14default_configENS1_25partition_config_selectorILNS1_17partition_subalgoE1ExNS0_10empty_typeEbEEZZNS1_14partition_implILS5_1ELb0ES3_jN6thrust23THRUST_200600_302600_NS6detail15normal_iteratorINSA_10device_ptrIxEEEEPS6_NSA_18transform_iteratorINSA_8identityIxEESF_NSA_11use_defaultESK_EENS0_5tupleIJSF_SF_EEENSM_IJSG_SG_EEES6_PlJS6_EEE10hipError_tPvRmT3_T4_T5_T6_T7_T9_mT8_P12ihipStream_tbDpT10_ENKUlT_T0_E_clISt17integral_constantIbLb0EES18_IbLb1EEEEDaS14_S15_EUlS14_E_NS1_11comp_targetILNS1_3genE2ELNS1_11target_archE906ELNS1_3gpuE6ELNS1_3repE0EEENS1_30default_config_static_selectorELNS0_4arch9wavefront6targetE1EEEvT1_,comdat
	.protected	_ZN7rocprim17ROCPRIM_400000_NS6detail17trampoline_kernelINS0_14default_configENS1_25partition_config_selectorILNS1_17partition_subalgoE1ExNS0_10empty_typeEbEEZZNS1_14partition_implILS5_1ELb0ES3_jN6thrust23THRUST_200600_302600_NS6detail15normal_iteratorINSA_10device_ptrIxEEEEPS6_NSA_18transform_iteratorINSA_8identityIxEESF_NSA_11use_defaultESK_EENS0_5tupleIJSF_SF_EEENSM_IJSG_SG_EEES6_PlJS6_EEE10hipError_tPvRmT3_T4_T5_T6_T7_T9_mT8_P12ihipStream_tbDpT10_ENKUlT_T0_E_clISt17integral_constantIbLb0EES18_IbLb1EEEEDaS14_S15_EUlS14_E_NS1_11comp_targetILNS1_3genE2ELNS1_11target_archE906ELNS1_3gpuE6ELNS1_3repE0EEENS1_30default_config_static_selectorELNS0_4arch9wavefront6targetE1EEEvT1_ ; -- Begin function _ZN7rocprim17ROCPRIM_400000_NS6detail17trampoline_kernelINS0_14default_configENS1_25partition_config_selectorILNS1_17partition_subalgoE1ExNS0_10empty_typeEbEEZZNS1_14partition_implILS5_1ELb0ES3_jN6thrust23THRUST_200600_302600_NS6detail15normal_iteratorINSA_10device_ptrIxEEEEPS6_NSA_18transform_iteratorINSA_8identityIxEESF_NSA_11use_defaultESK_EENS0_5tupleIJSF_SF_EEENSM_IJSG_SG_EEES6_PlJS6_EEE10hipError_tPvRmT3_T4_T5_T6_T7_T9_mT8_P12ihipStream_tbDpT10_ENKUlT_T0_E_clISt17integral_constantIbLb0EES18_IbLb1EEEEDaS14_S15_EUlS14_E_NS1_11comp_targetILNS1_3genE2ELNS1_11target_archE906ELNS1_3gpuE6ELNS1_3repE0EEENS1_30default_config_static_selectorELNS0_4arch9wavefront6targetE1EEEvT1_
	.globl	_ZN7rocprim17ROCPRIM_400000_NS6detail17trampoline_kernelINS0_14default_configENS1_25partition_config_selectorILNS1_17partition_subalgoE1ExNS0_10empty_typeEbEEZZNS1_14partition_implILS5_1ELb0ES3_jN6thrust23THRUST_200600_302600_NS6detail15normal_iteratorINSA_10device_ptrIxEEEEPS6_NSA_18transform_iteratorINSA_8identityIxEESF_NSA_11use_defaultESK_EENS0_5tupleIJSF_SF_EEENSM_IJSG_SG_EEES6_PlJS6_EEE10hipError_tPvRmT3_T4_T5_T6_T7_T9_mT8_P12ihipStream_tbDpT10_ENKUlT_T0_E_clISt17integral_constantIbLb0EES18_IbLb1EEEEDaS14_S15_EUlS14_E_NS1_11comp_targetILNS1_3genE2ELNS1_11target_archE906ELNS1_3gpuE6ELNS1_3repE0EEENS1_30default_config_static_selectorELNS0_4arch9wavefront6targetE1EEEvT1_
	.p2align	8
	.type	_ZN7rocprim17ROCPRIM_400000_NS6detail17trampoline_kernelINS0_14default_configENS1_25partition_config_selectorILNS1_17partition_subalgoE1ExNS0_10empty_typeEbEEZZNS1_14partition_implILS5_1ELb0ES3_jN6thrust23THRUST_200600_302600_NS6detail15normal_iteratorINSA_10device_ptrIxEEEEPS6_NSA_18transform_iteratorINSA_8identityIxEESF_NSA_11use_defaultESK_EENS0_5tupleIJSF_SF_EEENSM_IJSG_SG_EEES6_PlJS6_EEE10hipError_tPvRmT3_T4_T5_T6_T7_T9_mT8_P12ihipStream_tbDpT10_ENKUlT_T0_E_clISt17integral_constantIbLb0EES18_IbLb1EEEEDaS14_S15_EUlS14_E_NS1_11comp_targetILNS1_3genE2ELNS1_11target_archE906ELNS1_3gpuE6ELNS1_3repE0EEENS1_30default_config_static_selectorELNS0_4arch9wavefront6targetE1EEEvT1_,@function
_ZN7rocprim17ROCPRIM_400000_NS6detail17trampoline_kernelINS0_14default_configENS1_25partition_config_selectorILNS1_17partition_subalgoE1ExNS0_10empty_typeEbEEZZNS1_14partition_implILS5_1ELb0ES3_jN6thrust23THRUST_200600_302600_NS6detail15normal_iteratorINSA_10device_ptrIxEEEEPS6_NSA_18transform_iteratorINSA_8identityIxEESF_NSA_11use_defaultESK_EENS0_5tupleIJSF_SF_EEENSM_IJSG_SG_EEES6_PlJS6_EEE10hipError_tPvRmT3_T4_T5_T6_T7_T9_mT8_P12ihipStream_tbDpT10_ENKUlT_T0_E_clISt17integral_constantIbLb0EES18_IbLb1EEEEDaS14_S15_EUlS14_E_NS1_11comp_targetILNS1_3genE2ELNS1_11target_archE906ELNS1_3gpuE6ELNS1_3repE0EEENS1_30default_config_static_selectorELNS0_4arch9wavefront6targetE1EEEvT1_: ; @_ZN7rocprim17ROCPRIM_400000_NS6detail17trampoline_kernelINS0_14default_configENS1_25partition_config_selectorILNS1_17partition_subalgoE1ExNS0_10empty_typeEbEEZZNS1_14partition_implILS5_1ELb0ES3_jN6thrust23THRUST_200600_302600_NS6detail15normal_iteratorINSA_10device_ptrIxEEEEPS6_NSA_18transform_iteratorINSA_8identityIxEESF_NSA_11use_defaultESK_EENS0_5tupleIJSF_SF_EEENSM_IJSG_SG_EEES6_PlJS6_EEE10hipError_tPvRmT3_T4_T5_T6_T7_T9_mT8_P12ihipStream_tbDpT10_ENKUlT_T0_E_clISt17integral_constantIbLb0EES18_IbLb1EEEEDaS14_S15_EUlS14_E_NS1_11comp_targetILNS1_3genE2ELNS1_11target_archE906ELNS1_3gpuE6ELNS1_3repE0EEENS1_30default_config_static_selectorELNS0_4arch9wavefront6targetE1EEEvT1_
; %bb.0:
	.section	.rodata,"a",@progbits
	.p2align	6, 0x0
	.amdhsa_kernel _ZN7rocprim17ROCPRIM_400000_NS6detail17trampoline_kernelINS0_14default_configENS1_25partition_config_selectorILNS1_17partition_subalgoE1ExNS0_10empty_typeEbEEZZNS1_14partition_implILS5_1ELb0ES3_jN6thrust23THRUST_200600_302600_NS6detail15normal_iteratorINSA_10device_ptrIxEEEEPS6_NSA_18transform_iteratorINSA_8identityIxEESF_NSA_11use_defaultESK_EENS0_5tupleIJSF_SF_EEENSM_IJSG_SG_EEES6_PlJS6_EEE10hipError_tPvRmT3_T4_T5_T6_T7_T9_mT8_P12ihipStream_tbDpT10_ENKUlT_T0_E_clISt17integral_constantIbLb0EES18_IbLb1EEEEDaS14_S15_EUlS14_E_NS1_11comp_targetILNS1_3genE2ELNS1_11target_archE906ELNS1_3gpuE6ELNS1_3repE0EEENS1_30default_config_static_selectorELNS0_4arch9wavefront6targetE1EEEvT1_
		.amdhsa_group_segment_fixed_size 0
		.amdhsa_private_segment_fixed_size 0
		.amdhsa_kernarg_size 144
		.amdhsa_user_sgpr_count 2
		.amdhsa_user_sgpr_dispatch_ptr 0
		.amdhsa_user_sgpr_queue_ptr 0
		.amdhsa_user_sgpr_kernarg_segment_ptr 1
		.amdhsa_user_sgpr_dispatch_id 0
		.amdhsa_user_sgpr_kernarg_preload_length 0
		.amdhsa_user_sgpr_kernarg_preload_offset 0
		.amdhsa_user_sgpr_private_segment_size 0
		.amdhsa_uses_dynamic_stack 0
		.amdhsa_enable_private_segment 0
		.amdhsa_system_sgpr_workgroup_id_x 1
		.amdhsa_system_sgpr_workgroup_id_y 0
		.amdhsa_system_sgpr_workgroup_id_z 0
		.amdhsa_system_sgpr_workgroup_info 0
		.amdhsa_system_vgpr_workitem_id 0
		.amdhsa_next_free_vgpr 1
		.amdhsa_next_free_sgpr 0
		.amdhsa_accum_offset 4
		.amdhsa_reserve_vcc 0
		.amdhsa_float_round_mode_32 0
		.amdhsa_float_round_mode_16_64 0
		.amdhsa_float_denorm_mode_32 3
		.amdhsa_float_denorm_mode_16_64 3
		.amdhsa_dx10_clamp 1
		.amdhsa_ieee_mode 1
		.amdhsa_fp16_overflow 0
		.amdhsa_tg_split 0
		.amdhsa_exception_fp_ieee_invalid_op 0
		.amdhsa_exception_fp_denorm_src 0
		.amdhsa_exception_fp_ieee_div_zero 0
		.amdhsa_exception_fp_ieee_overflow 0
		.amdhsa_exception_fp_ieee_underflow 0
		.amdhsa_exception_fp_ieee_inexact 0
		.amdhsa_exception_int_div_zero 0
	.end_amdhsa_kernel
	.section	.text._ZN7rocprim17ROCPRIM_400000_NS6detail17trampoline_kernelINS0_14default_configENS1_25partition_config_selectorILNS1_17partition_subalgoE1ExNS0_10empty_typeEbEEZZNS1_14partition_implILS5_1ELb0ES3_jN6thrust23THRUST_200600_302600_NS6detail15normal_iteratorINSA_10device_ptrIxEEEEPS6_NSA_18transform_iteratorINSA_8identityIxEESF_NSA_11use_defaultESK_EENS0_5tupleIJSF_SF_EEENSM_IJSG_SG_EEES6_PlJS6_EEE10hipError_tPvRmT3_T4_T5_T6_T7_T9_mT8_P12ihipStream_tbDpT10_ENKUlT_T0_E_clISt17integral_constantIbLb0EES18_IbLb1EEEEDaS14_S15_EUlS14_E_NS1_11comp_targetILNS1_3genE2ELNS1_11target_archE906ELNS1_3gpuE6ELNS1_3repE0EEENS1_30default_config_static_selectorELNS0_4arch9wavefront6targetE1EEEvT1_,"axG",@progbits,_ZN7rocprim17ROCPRIM_400000_NS6detail17trampoline_kernelINS0_14default_configENS1_25partition_config_selectorILNS1_17partition_subalgoE1ExNS0_10empty_typeEbEEZZNS1_14partition_implILS5_1ELb0ES3_jN6thrust23THRUST_200600_302600_NS6detail15normal_iteratorINSA_10device_ptrIxEEEEPS6_NSA_18transform_iteratorINSA_8identityIxEESF_NSA_11use_defaultESK_EENS0_5tupleIJSF_SF_EEENSM_IJSG_SG_EEES6_PlJS6_EEE10hipError_tPvRmT3_T4_T5_T6_T7_T9_mT8_P12ihipStream_tbDpT10_ENKUlT_T0_E_clISt17integral_constantIbLb0EES18_IbLb1EEEEDaS14_S15_EUlS14_E_NS1_11comp_targetILNS1_3genE2ELNS1_11target_archE906ELNS1_3gpuE6ELNS1_3repE0EEENS1_30default_config_static_selectorELNS0_4arch9wavefront6targetE1EEEvT1_,comdat
.Lfunc_end605:
	.size	_ZN7rocprim17ROCPRIM_400000_NS6detail17trampoline_kernelINS0_14default_configENS1_25partition_config_selectorILNS1_17partition_subalgoE1ExNS0_10empty_typeEbEEZZNS1_14partition_implILS5_1ELb0ES3_jN6thrust23THRUST_200600_302600_NS6detail15normal_iteratorINSA_10device_ptrIxEEEEPS6_NSA_18transform_iteratorINSA_8identityIxEESF_NSA_11use_defaultESK_EENS0_5tupleIJSF_SF_EEENSM_IJSG_SG_EEES6_PlJS6_EEE10hipError_tPvRmT3_T4_T5_T6_T7_T9_mT8_P12ihipStream_tbDpT10_ENKUlT_T0_E_clISt17integral_constantIbLb0EES18_IbLb1EEEEDaS14_S15_EUlS14_E_NS1_11comp_targetILNS1_3genE2ELNS1_11target_archE906ELNS1_3gpuE6ELNS1_3repE0EEENS1_30default_config_static_selectorELNS0_4arch9wavefront6targetE1EEEvT1_, .Lfunc_end605-_ZN7rocprim17ROCPRIM_400000_NS6detail17trampoline_kernelINS0_14default_configENS1_25partition_config_selectorILNS1_17partition_subalgoE1ExNS0_10empty_typeEbEEZZNS1_14partition_implILS5_1ELb0ES3_jN6thrust23THRUST_200600_302600_NS6detail15normal_iteratorINSA_10device_ptrIxEEEEPS6_NSA_18transform_iteratorINSA_8identityIxEESF_NSA_11use_defaultESK_EENS0_5tupleIJSF_SF_EEENSM_IJSG_SG_EEES6_PlJS6_EEE10hipError_tPvRmT3_T4_T5_T6_T7_T9_mT8_P12ihipStream_tbDpT10_ENKUlT_T0_E_clISt17integral_constantIbLb0EES18_IbLb1EEEEDaS14_S15_EUlS14_E_NS1_11comp_targetILNS1_3genE2ELNS1_11target_archE906ELNS1_3gpuE6ELNS1_3repE0EEENS1_30default_config_static_selectorELNS0_4arch9wavefront6targetE1EEEvT1_
                                        ; -- End function
	.section	.AMDGPU.csdata,"",@progbits
; Kernel info:
; codeLenInByte = 0
; NumSgprs: 6
; NumVgprs: 0
; NumAgprs: 0
; TotalNumVgprs: 0
; ScratchSize: 0
; MemoryBound: 0
; FloatMode: 240
; IeeeMode: 1
; LDSByteSize: 0 bytes/workgroup (compile time only)
; SGPRBlocks: 0
; VGPRBlocks: 0
; NumSGPRsForWavesPerEU: 6
; NumVGPRsForWavesPerEU: 1
; AccumOffset: 4
; Occupancy: 8
; WaveLimiterHint : 0
; COMPUTE_PGM_RSRC2:SCRATCH_EN: 0
; COMPUTE_PGM_RSRC2:USER_SGPR: 2
; COMPUTE_PGM_RSRC2:TRAP_HANDLER: 0
; COMPUTE_PGM_RSRC2:TGID_X_EN: 1
; COMPUTE_PGM_RSRC2:TGID_Y_EN: 0
; COMPUTE_PGM_RSRC2:TGID_Z_EN: 0
; COMPUTE_PGM_RSRC2:TIDIG_COMP_CNT: 0
; COMPUTE_PGM_RSRC3_GFX90A:ACCUM_OFFSET: 0
; COMPUTE_PGM_RSRC3_GFX90A:TG_SPLIT: 0
	.section	.text._ZN7rocprim17ROCPRIM_400000_NS6detail17trampoline_kernelINS0_14default_configENS1_25partition_config_selectorILNS1_17partition_subalgoE1ExNS0_10empty_typeEbEEZZNS1_14partition_implILS5_1ELb0ES3_jN6thrust23THRUST_200600_302600_NS6detail15normal_iteratorINSA_10device_ptrIxEEEEPS6_NSA_18transform_iteratorINSA_8identityIxEESF_NSA_11use_defaultESK_EENS0_5tupleIJSF_SF_EEENSM_IJSG_SG_EEES6_PlJS6_EEE10hipError_tPvRmT3_T4_T5_T6_T7_T9_mT8_P12ihipStream_tbDpT10_ENKUlT_T0_E_clISt17integral_constantIbLb0EES18_IbLb1EEEEDaS14_S15_EUlS14_E_NS1_11comp_targetILNS1_3genE10ELNS1_11target_archE1200ELNS1_3gpuE4ELNS1_3repE0EEENS1_30default_config_static_selectorELNS0_4arch9wavefront6targetE1EEEvT1_,"axG",@progbits,_ZN7rocprim17ROCPRIM_400000_NS6detail17trampoline_kernelINS0_14default_configENS1_25partition_config_selectorILNS1_17partition_subalgoE1ExNS0_10empty_typeEbEEZZNS1_14partition_implILS5_1ELb0ES3_jN6thrust23THRUST_200600_302600_NS6detail15normal_iteratorINSA_10device_ptrIxEEEEPS6_NSA_18transform_iteratorINSA_8identityIxEESF_NSA_11use_defaultESK_EENS0_5tupleIJSF_SF_EEENSM_IJSG_SG_EEES6_PlJS6_EEE10hipError_tPvRmT3_T4_T5_T6_T7_T9_mT8_P12ihipStream_tbDpT10_ENKUlT_T0_E_clISt17integral_constantIbLb0EES18_IbLb1EEEEDaS14_S15_EUlS14_E_NS1_11comp_targetILNS1_3genE10ELNS1_11target_archE1200ELNS1_3gpuE4ELNS1_3repE0EEENS1_30default_config_static_selectorELNS0_4arch9wavefront6targetE1EEEvT1_,comdat
	.protected	_ZN7rocprim17ROCPRIM_400000_NS6detail17trampoline_kernelINS0_14default_configENS1_25partition_config_selectorILNS1_17partition_subalgoE1ExNS0_10empty_typeEbEEZZNS1_14partition_implILS5_1ELb0ES3_jN6thrust23THRUST_200600_302600_NS6detail15normal_iteratorINSA_10device_ptrIxEEEEPS6_NSA_18transform_iteratorINSA_8identityIxEESF_NSA_11use_defaultESK_EENS0_5tupleIJSF_SF_EEENSM_IJSG_SG_EEES6_PlJS6_EEE10hipError_tPvRmT3_T4_T5_T6_T7_T9_mT8_P12ihipStream_tbDpT10_ENKUlT_T0_E_clISt17integral_constantIbLb0EES18_IbLb1EEEEDaS14_S15_EUlS14_E_NS1_11comp_targetILNS1_3genE10ELNS1_11target_archE1200ELNS1_3gpuE4ELNS1_3repE0EEENS1_30default_config_static_selectorELNS0_4arch9wavefront6targetE1EEEvT1_ ; -- Begin function _ZN7rocprim17ROCPRIM_400000_NS6detail17trampoline_kernelINS0_14default_configENS1_25partition_config_selectorILNS1_17partition_subalgoE1ExNS0_10empty_typeEbEEZZNS1_14partition_implILS5_1ELb0ES3_jN6thrust23THRUST_200600_302600_NS6detail15normal_iteratorINSA_10device_ptrIxEEEEPS6_NSA_18transform_iteratorINSA_8identityIxEESF_NSA_11use_defaultESK_EENS0_5tupleIJSF_SF_EEENSM_IJSG_SG_EEES6_PlJS6_EEE10hipError_tPvRmT3_T4_T5_T6_T7_T9_mT8_P12ihipStream_tbDpT10_ENKUlT_T0_E_clISt17integral_constantIbLb0EES18_IbLb1EEEEDaS14_S15_EUlS14_E_NS1_11comp_targetILNS1_3genE10ELNS1_11target_archE1200ELNS1_3gpuE4ELNS1_3repE0EEENS1_30default_config_static_selectorELNS0_4arch9wavefront6targetE1EEEvT1_
	.globl	_ZN7rocprim17ROCPRIM_400000_NS6detail17trampoline_kernelINS0_14default_configENS1_25partition_config_selectorILNS1_17partition_subalgoE1ExNS0_10empty_typeEbEEZZNS1_14partition_implILS5_1ELb0ES3_jN6thrust23THRUST_200600_302600_NS6detail15normal_iteratorINSA_10device_ptrIxEEEEPS6_NSA_18transform_iteratorINSA_8identityIxEESF_NSA_11use_defaultESK_EENS0_5tupleIJSF_SF_EEENSM_IJSG_SG_EEES6_PlJS6_EEE10hipError_tPvRmT3_T4_T5_T6_T7_T9_mT8_P12ihipStream_tbDpT10_ENKUlT_T0_E_clISt17integral_constantIbLb0EES18_IbLb1EEEEDaS14_S15_EUlS14_E_NS1_11comp_targetILNS1_3genE10ELNS1_11target_archE1200ELNS1_3gpuE4ELNS1_3repE0EEENS1_30default_config_static_selectorELNS0_4arch9wavefront6targetE1EEEvT1_
	.p2align	8
	.type	_ZN7rocprim17ROCPRIM_400000_NS6detail17trampoline_kernelINS0_14default_configENS1_25partition_config_selectorILNS1_17partition_subalgoE1ExNS0_10empty_typeEbEEZZNS1_14partition_implILS5_1ELb0ES3_jN6thrust23THRUST_200600_302600_NS6detail15normal_iteratorINSA_10device_ptrIxEEEEPS6_NSA_18transform_iteratorINSA_8identityIxEESF_NSA_11use_defaultESK_EENS0_5tupleIJSF_SF_EEENSM_IJSG_SG_EEES6_PlJS6_EEE10hipError_tPvRmT3_T4_T5_T6_T7_T9_mT8_P12ihipStream_tbDpT10_ENKUlT_T0_E_clISt17integral_constantIbLb0EES18_IbLb1EEEEDaS14_S15_EUlS14_E_NS1_11comp_targetILNS1_3genE10ELNS1_11target_archE1200ELNS1_3gpuE4ELNS1_3repE0EEENS1_30default_config_static_selectorELNS0_4arch9wavefront6targetE1EEEvT1_,@function
_ZN7rocprim17ROCPRIM_400000_NS6detail17trampoline_kernelINS0_14default_configENS1_25partition_config_selectorILNS1_17partition_subalgoE1ExNS0_10empty_typeEbEEZZNS1_14partition_implILS5_1ELb0ES3_jN6thrust23THRUST_200600_302600_NS6detail15normal_iteratorINSA_10device_ptrIxEEEEPS6_NSA_18transform_iteratorINSA_8identityIxEESF_NSA_11use_defaultESK_EENS0_5tupleIJSF_SF_EEENSM_IJSG_SG_EEES6_PlJS6_EEE10hipError_tPvRmT3_T4_T5_T6_T7_T9_mT8_P12ihipStream_tbDpT10_ENKUlT_T0_E_clISt17integral_constantIbLb0EES18_IbLb1EEEEDaS14_S15_EUlS14_E_NS1_11comp_targetILNS1_3genE10ELNS1_11target_archE1200ELNS1_3gpuE4ELNS1_3repE0EEENS1_30default_config_static_selectorELNS0_4arch9wavefront6targetE1EEEvT1_: ; @_ZN7rocprim17ROCPRIM_400000_NS6detail17trampoline_kernelINS0_14default_configENS1_25partition_config_selectorILNS1_17partition_subalgoE1ExNS0_10empty_typeEbEEZZNS1_14partition_implILS5_1ELb0ES3_jN6thrust23THRUST_200600_302600_NS6detail15normal_iteratorINSA_10device_ptrIxEEEEPS6_NSA_18transform_iteratorINSA_8identityIxEESF_NSA_11use_defaultESK_EENS0_5tupleIJSF_SF_EEENSM_IJSG_SG_EEES6_PlJS6_EEE10hipError_tPvRmT3_T4_T5_T6_T7_T9_mT8_P12ihipStream_tbDpT10_ENKUlT_T0_E_clISt17integral_constantIbLb0EES18_IbLb1EEEEDaS14_S15_EUlS14_E_NS1_11comp_targetILNS1_3genE10ELNS1_11target_archE1200ELNS1_3gpuE4ELNS1_3repE0EEENS1_30default_config_static_selectorELNS0_4arch9wavefront6targetE1EEEvT1_
; %bb.0:
	.section	.rodata,"a",@progbits
	.p2align	6, 0x0
	.amdhsa_kernel _ZN7rocprim17ROCPRIM_400000_NS6detail17trampoline_kernelINS0_14default_configENS1_25partition_config_selectorILNS1_17partition_subalgoE1ExNS0_10empty_typeEbEEZZNS1_14partition_implILS5_1ELb0ES3_jN6thrust23THRUST_200600_302600_NS6detail15normal_iteratorINSA_10device_ptrIxEEEEPS6_NSA_18transform_iteratorINSA_8identityIxEESF_NSA_11use_defaultESK_EENS0_5tupleIJSF_SF_EEENSM_IJSG_SG_EEES6_PlJS6_EEE10hipError_tPvRmT3_T4_T5_T6_T7_T9_mT8_P12ihipStream_tbDpT10_ENKUlT_T0_E_clISt17integral_constantIbLb0EES18_IbLb1EEEEDaS14_S15_EUlS14_E_NS1_11comp_targetILNS1_3genE10ELNS1_11target_archE1200ELNS1_3gpuE4ELNS1_3repE0EEENS1_30default_config_static_selectorELNS0_4arch9wavefront6targetE1EEEvT1_
		.amdhsa_group_segment_fixed_size 0
		.amdhsa_private_segment_fixed_size 0
		.amdhsa_kernarg_size 144
		.amdhsa_user_sgpr_count 2
		.amdhsa_user_sgpr_dispatch_ptr 0
		.amdhsa_user_sgpr_queue_ptr 0
		.amdhsa_user_sgpr_kernarg_segment_ptr 1
		.amdhsa_user_sgpr_dispatch_id 0
		.amdhsa_user_sgpr_kernarg_preload_length 0
		.amdhsa_user_sgpr_kernarg_preload_offset 0
		.amdhsa_user_sgpr_private_segment_size 0
		.amdhsa_uses_dynamic_stack 0
		.amdhsa_enable_private_segment 0
		.amdhsa_system_sgpr_workgroup_id_x 1
		.amdhsa_system_sgpr_workgroup_id_y 0
		.amdhsa_system_sgpr_workgroup_id_z 0
		.amdhsa_system_sgpr_workgroup_info 0
		.amdhsa_system_vgpr_workitem_id 0
		.amdhsa_next_free_vgpr 1
		.amdhsa_next_free_sgpr 0
		.amdhsa_accum_offset 4
		.amdhsa_reserve_vcc 0
		.amdhsa_float_round_mode_32 0
		.amdhsa_float_round_mode_16_64 0
		.amdhsa_float_denorm_mode_32 3
		.amdhsa_float_denorm_mode_16_64 3
		.amdhsa_dx10_clamp 1
		.amdhsa_ieee_mode 1
		.amdhsa_fp16_overflow 0
		.amdhsa_tg_split 0
		.amdhsa_exception_fp_ieee_invalid_op 0
		.amdhsa_exception_fp_denorm_src 0
		.amdhsa_exception_fp_ieee_div_zero 0
		.amdhsa_exception_fp_ieee_overflow 0
		.amdhsa_exception_fp_ieee_underflow 0
		.amdhsa_exception_fp_ieee_inexact 0
		.amdhsa_exception_int_div_zero 0
	.end_amdhsa_kernel
	.section	.text._ZN7rocprim17ROCPRIM_400000_NS6detail17trampoline_kernelINS0_14default_configENS1_25partition_config_selectorILNS1_17partition_subalgoE1ExNS0_10empty_typeEbEEZZNS1_14partition_implILS5_1ELb0ES3_jN6thrust23THRUST_200600_302600_NS6detail15normal_iteratorINSA_10device_ptrIxEEEEPS6_NSA_18transform_iteratorINSA_8identityIxEESF_NSA_11use_defaultESK_EENS0_5tupleIJSF_SF_EEENSM_IJSG_SG_EEES6_PlJS6_EEE10hipError_tPvRmT3_T4_T5_T6_T7_T9_mT8_P12ihipStream_tbDpT10_ENKUlT_T0_E_clISt17integral_constantIbLb0EES18_IbLb1EEEEDaS14_S15_EUlS14_E_NS1_11comp_targetILNS1_3genE10ELNS1_11target_archE1200ELNS1_3gpuE4ELNS1_3repE0EEENS1_30default_config_static_selectorELNS0_4arch9wavefront6targetE1EEEvT1_,"axG",@progbits,_ZN7rocprim17ROCPRIM_400000_NS6detail17trampoline_kernelINS0_14default_configENS1_25partition_config_selectorILNS1_17partition_subalgoE1ExNS0_10empty_typeEbEEZZNS1_14partition_implILS5_1ELb0ES3_jN6thrust23THRUST_200600_302600_NS6detail15normal_iteratorINSA_10device_ptrIxEEEEPS6_NSA_18transform_iteratorINSA_8identityIxEESF_NSA_11use_defaultESK_EENS0_5tupleIJSF_SF_EEENSM_IJSG_SG_EEES6_PlJS6_EEE10hipError_tPvRmT3_T4_T5_T6_T7_T9_mT8_P12ihipStream_tbDpT10_ENKUlT_T0_E_clISt17integral_constantIbLb0EES18_IbLb1EEEEDaS14_S15_EUlS14_E_NS1_11comp_targetILNS1_3genE10ELNS1_11target_archE1200ELNS1_3gpuE4ELNS1_3repE0EEENS1_30default_config_static_selectorELNS0_4arch9wavefront6targetE1EEEvT1_,comdat
.Lfunc_end606:
	.size	_ZN7rocprim17ROCPRIM_400000_NS6detail17trampoline_kernelINS0_14default_configENS1_25partition_config_selectorILNS1_17partition_subalgoE1ExNS0_10empty_typeEbEEZZNS1_14partition_implILS5_1ELb0ES3_jN6thrust23THRUST_200600_302600_NS6detail15normal_iteratorINSA_10device_ptrIxEEEEPS6_NSA_18transform_iteratorINSA_8identityIxEESF_NSA_11use_defaultESK_EENS0_5tupleIJSF_SF_EEENSM_IJSG_SG_EEES6_PlJS6_EEE10hipError_tPvRmT3_T4_T5_T6_T7_T9_mT8_P12ihipStream_tbDpT10_ENKUlT_T0_E_clISt17integral_constantIbLb0EES18_IbLb1EEEEDaS14_S15_EUlS14_E_NS1_11comp_targetILNS1_3genE10ELNS1_11target_archE1200ELNS1_3gpuE4ELNS1_3repE0EEENS1_30default_config_static_selectorELNS0_4arch9wavefront6targetE1EEEvT1_, .Lfunc_end606-_ZN7rocprim17ROCPRIM_400000_NS6detail17trampoline_kernelINS0_14default_configENS1_25partition_config_selectorILNS1_17partition_subalgoE1ExNS0_10empty_typeEbEEZZNS1_14partition_implILS5_1ELb0ES3_jN6thrust23THRUST_200600_302600_NS6detail15normal_iteratorINSA_10device_ptrIxEEEEPS6_NSA_18transform_iteratorINSA_8identityIxEESF_NSA_11use_defaultESK_EENS0_5tupleIJSF_SF_EEENSM_IJSG_SG_EEES6_PlJS6_EEE10hipError_tPvRmT3_T4_T5_T6_T7_T9_mT8_P12ihipStream_tbDpT10_ENKUlT_T0_E_clISt17integral_constantIbLb0EES18_IbLb1EEEEDaS14_S15_EUlS14_E_NS1_11comp_targetILNS1_3genE10ELNS1_11target_archE1200ELNS1_3gpuE4ELNS1_3repE0EEENS1_30default_config_static_selectorELNS0_4arch9wavefront6targetE1EEEvT1_
                                        ; -- End function
	.section	.AMDGPU.csdata,"",@progbits
; Kernel info:
; codeLenInByte = 0
; NumSgprs: 6
; NumVgprs: 0
; NumAgprs: 0
; TotalNumVgprs: 0
; ScratchSize: 0
; MemoryBound: 0
; FloatMode: 240
; IeeeMode: 1
; LDSByteSize: 0 bytes/workgroup (compile time only)
; SGPRBlocks: 0
; VGPRBlocks: 0
; NumSGPRsForWavesPerEU: 6
; NumVGPRsForWavesPerEU: 1
; AccumOffset: 4
; Occupancy: 8
; WaveLimiterHint : 0
; COMPUTE_PGM_RSRC2:SCRATCH_EN: 0
; COMPUTE_PGM_RSRC2:USER_SGPR: 2
; COMPUTE_PGM_RSRC2:TRAP_HANDLER: 0
; COMPUTE_PGM_RSRC2:TGID_X_EN: 1
; COMPUTE_PGM_RSRC2:TGID_Y_EN: 0
; COMPUTE_PGM_RSRC2:TGID_Z_EN: 0
; COMPUTE_PGM_RSRC2:TIDIG_COMP_CNT: 0
; COMPUTE_PGM_RSRC3_GFX90A:ACCUM_OFFSET: 0
; COMPUTE_PGM_RSRC3_GFX90A:TG_SPLIT: 0
	.section	.text._ZN7rocprim17ROCPRIM_400000_NS6detail17trampoline_kernelINS0_14default_configENS1_25partition_config_selectorILNS1_17partition_subalgoE1ExNS0_10empty_typeEbEEZZNS1_14partition_implILS5_1ELb0ES3_jN6thrust23THRUST_200600_302600_NS6detail15normal_iteratorINSA_10device_ptrIxEEEEPS6_NSA_18transform_iteratorINSA_8identityIxEESF_NSA_11use_defaultESK_EENS0_5tupleIJSF_SF_EEENSM_IJSG_SG_EEES6_PlJS6_EEE10hipError_tPvRmT3_T4_T5_T6_T7_T9_mT8_P12ihipStream_tbDpT10_ENKUlT_T0_E_clISt17integral_constantIbLb0EES18_IbLb1EEEEDaS14_S15_EUlS14_E_NS1_11comp_targetILNS1_3genE9ELNS1_11target_archE1100ELNS1_3gpuE3ELNS1_3repE0EEENS1_30default_config_static_selectorELNS0_4arch9wavefront6targetE1EEEvT1_,"axG",@progbits,_ZN7rocprim17ROCPRIM_400000_NS6detail17trampoline_kernelINS0_14default_configENS1_25partition_config_selectorILNS1_17partition_subalgoE1ExNS0_10empty_typeEbEEZZNS1_14partition_implILS5_1ELb0ES3_jN6thrust23THRUST_200600_302600_NS6detail15normal_iteratorINSA_10device_ptrIxEEEEPS6_NSA_18transform_iteratorINSA_8identityIxEESF_NSA_11use_defaultESK_EENS0_5tupleIJSF_SF_EEENSM_IJSG_SG_EEES6_PlJS6_EEE10hipError_tPvRmT3_T4_T5_T6_T7_T9_mT8_P12ihipStream_tbDpT10_ENKUlT_T0_E_clISt17integral_constantIbLb0EES18_IbLb1EEEEDaS14_S15_EUlS14_E_NS1_11comp_targetILNS1_3genE9ELNS1_11target_archE1100ELNS1_3gpuE3ELNS1_3repE0EEENS1_30default_config_static_selectorELNS0_4arch9wavefront6targetE1EEEvT1_,comdat
	.protected	_ZN7rocprim17ROCPRIM_400000_NS6detail17trampoline_kernelINS0_14default_configENS1_25partition_config_selectorILNS1_17partition_subalgoE1ExNS0_10empty_typeEbEEZZNS1_14partition_implILS5_1ELb0ES3_jN6thrust23THRUST_200600_302600_NS6detail15normal_iteratorINSA_10device_ptrIxEEEEPS6_NSA_18transform_iteratorINSA_8identityIxEESF_NSA_11use_defaultESK_EENS0_5tupleIJSF_SF_EEENSM_IJSG_SG_EEES6_PlJS6_EEE10hipError_tPvRmT3_T4_T5_T6_T7_T9_mT8_P12ihipStream_tbDpT10_ENKUlT_T0_E_clISt17integral_constantIbLb0EES18_IbLb1EEEEDaS14_S15_EUlS14_E_NS1_11comp_targetILNS1_3genE9ELNS1_11target_archE1100ELNS1_3gpuE3ELNS1_3repE0EEENS1_30default_config_static_selectorELNS0_4arch9wavefront6targetE1EEEvT1_ ; -- Begin function _ZN7rocprim17ROCPRIM_400000_NS6detail17trampoline_kernelINS0_14default_configENS1_25partition_config_selectorILNS1_17partition_subalgoE1ExNS0_10empty_typeEbEEZZNS1_14partition_implILS5_1ELb0ES3_jN6thrust23THRUST_200600_302600_NS6detail15normal_iteratorINSA_10device_ptrIxEEEEPS6_NSA_18transform_iteratorINSA_8identityIxEESF_NSA_11use_defaultESK_EENS0_5tupleIJSF_SF_EEENSM_IJSG_SG_EEES6_PlJS6_EEE10hipError_tPvRmT3_T4_T5_T6_T7_T9_mT8_P12ihipStream_tbDpT10_ENKUlT_T0_E_clISt17integral_constantIbLb0EES18_IbLb1EEEEDaS14_S15_EUlS14_E_NS1_11comp_targetILNS1_3genE9ELNS1_11target_archE1100ELNS1_3gpuE3ELNS1_3repE0EEENS1_30default_config_static_selectorELNS0_4arch9wavefront6targetE1EEEvT1_
	.globl	_ZN7rocprim17ROCPRIM_400000_NS6detail17trampoline_kernelINS0_14default_configENS1_25partition_config_selectorILNS1_17partition_subalgoE1ExNS0_10empty_typeEbEEZZNS1_14partition_implILS5_1ELb0ES3_jN6thrust23THRUST_200600_302600_NS6detail15normal_iteratorINSA_10device_ptrIxEEEEPS6_NSA_18transform_iteratorINSA_8identityIxEESF_NSA_11use_defaultESK_EENS0_5tupleIJSF_SF_EEENSM_IJSG_SG_EEES6_PlJS6_EEE10hipError_tPvRmT3_T4_T5_T6_T7_T9_mT8_P12ihipStream_tbDpT10_ENKUlT_T0_E_clISt17integral_constantIbLb0EES18_IbLb1EEEEDaS14_S15_EUlS14_E_NS1_11comp_targetILNS1_3genE9ELNS1_11target_archE1100ELNS1_3gpuE3ELNS1_3repE0EEENS1_30default_config_static_selectorELNS0_4arch9wavefront6targetE1EEEvT1_
	.p2align	8
	.type	_ZN7rocprim17ROCPRIM_400000_NS6detail17trampoline_kernelINS0_14default_configENS1_25partition_config_selectorILNS1_17partition_subalgoE1ExNS0_10empty_typeEbEEZZNS1_14partition_implILS5_1ELb0ES3_jN6thrust23THRUST_200600_302600_NS6detail15normal_iteratorINSA_10device_ptrIxEEEEPS6_NSA_18transform_iteratorINSA_8identityIxEESF_NSA_11use_defaultESK_EENS0_5tupleIJSF_SF_EEENSM_IJSG_SG_EEES6_PlJS6_EEE10hipError_tPvRmT3_T4_T5_T6_T7_T9_mT8_P12ihipStream_tbDpT10_ENKUlT_T0_E_clISt17integral_constantIbLb0EES18_IbLb1EEEEDaS14_S15_EUlS14_E_NS1_11comp_targetILNS1_3genE9ELNS1_11target_archE1100ELNS1_3gpuE3ELNS1_3repE0EEENS1_30default_config_static_selectorELNS0_4arch9wavefront6targetE1EEEvT1_,@function
_ZN7rocprim17ROCPRIM_400000_NS6detail17trampoline_kernelINS0_14default_configENS1_25partition_config_selectorILNS1_17partition_subalgoE1ExNS0_10empty_typeEbEEZZNS1_14partition_implILS5_1ELb0ES3_jN6thrust23THRUST_200600_302600_NS6detail15normal_iteratorINSA_10device_ptrIxEEEEPS6_NSA_18transform_iteratorINSA_8identityIxEESF_NSA_11use_defaultESK_EENS0_5tupleIJSF_SF_EEENSM_IJSG_SG_EEES6_PlJS6_EEE10hipError_tPvRmT3_T4_T5_T6_T7_T9_mT8_P12ihipStream_tbDpT10_ENKUlT_T0_E_clISt17integral_constantIbLb0EES18_IbLb1EEEEDaS14_S15_EUlS14_E_NS1_11comp_targetILNS1_3genE9ELNS1_11target_archE1100ELNS1_3gpuE3ELNS1_3repE0EEENS1_30default_config_static_selectorELNS0_4arch9wavefront6targetE1EEEvT1_: ; @_ZN7rocprim17ROCPRIM_400000_NS6detail17trampoline_kernelINS0_14default_configENS1_25partition_config_selectorILNS1_17partition_subalgoE1ExNS0_10empty_typeEbEEZZNS1_14partition_implILS5_1ELb0ES3_jN6thrust23THRUST_200600_302600_NS6detail15normal_iteratorINSA_10device_ptrIxEEEEPS6_NSA_18transform_iteratorINSA_8identityIxEESF_NSA_11use_defaultESK_EENS0_5tupleIJSF_SF_EEENSM_IJSG_SG_EEES6_PlJS6_EEE10hipError_tPvRmT3_T4_T5_T6_T7_T9_mT8_P12ihipStream_tbDpT10_ENKUlT_T0_E_clISt17integral_constantIbLb0EES18_IbLb1EEEEDaS14_S15_EUlS14_E_NS1_11comp_targetILNS1_3genE9ELNS1_11target_archE1100ELNS1_3gpuE3ELNS1_3repE0EEENS1_30default_config_static_selectorELNS0_4arch9wavefront6targetE1EEEvT1_
; %bb.0:
	.section	.rodata,"a",@progbits
	.p2align	6, 0x0
	.amdhsa_kernel _ZN7rocprim17ROCPRIM_400000_NS6detail17trampoline_kernelINS0_14default_configENS1_25partition_config_selectorILNS1_17partition_subalgoE1ExNS0_10empty_typeEbEEZZNS1_14partition_implILS5_1ELb0ES3_jN6thrust23THRUST_200600_302600_NS6detail15normal_iteratorINSA_10device_ptrIxEEEEPS6_NSA_18transform_iteratorINSA_8identityIxEESF_NSA_11use_defaultESK_EENS0_5tupleIJSF_SF_EEENSM_IJSG_SG_EEES6_PlJS6_EEE10hipError_tPvRmT3_T4_T5_T6_T7_T9_mT8_P12ihipStream_tbDpT10_ENKUlT_T0_E_clISt17integral_constantIbLb0EES18_IbLb1EEEEDaS14_S15_EUlS14_E_NS1_11comp_targetILNS1_3genE9ELNS1_11target_archE1100ELNS1_3gpuE3ELNS1_3repE0EEENS1_30default_config_static_selectorELNS0_4arch9wavefront6targetE1EEEvT1_
		.amdhsa_group_segment_fixed_size 0
		.amdhsa_private_segment_fixed_size 0
		.amdhsa_kernarg_size 144
		.amdhsa_user_sgpr_count 2
		.amdhsa_user_sgpr_dispatch_ptr 0
		.amdhsa_user_sgpr_queue_ptr 0
		.amdhsa_user_sgpr_kernarg_segment_ptr 1
		.amdhsa_user_sgpr_dispatch_id 0
		.amdhsa_user_sgpr_kernarg_preload_length 0
		.amdhsa_user_sgpr_kernarg_preload_offset 0
		.amdhsa_user_sgpr_private_segment_size 0
		.amdhsa_uses_dynamic_stack 0
		.amdhsa_enable_private_segment 0
		.amdhsa_system_sgpr_workgroup_id_x 1
		.amdhsa_system_sgpr_workgroup_id_y 0
		.amdhsa_system_sgpr_workgroup_id_z 0
		.amdhsa_system_sgpr_workgroup_info 0
		.amdhsa_system_vgpr_workitem_id 0
		.amdhsa_next_free_vgpr 1
		.amdhsa_next_free_sgpr 0
		.amdhsa_accum_offset 4
		.amdhsa_reserve_vcc 0
		.amdhsa_float_round_mode_32 0
		.amdhsa_float_round_mode_16_64 0
		.amdhsa_float_denorm_mode_32 3
		.amdhsa_float_denorm_mode_16_64 3
		.amdhsa_dx10_clamp 1
		.amdhsa_ieee_mode 1
		.amdhsa_fp16_overflow 0
		.amdhsa_tg_split 0
		.amdhsa_exception_fp_ieee_invalid_op 0
		.amdhsa_exception_fp_denorm_src 0
		.amdhsa_exception_fp_ieee_div_zero 0
		.amdhsa_exception_fp_ieee_overflow 0
		.amdhsa_exception_fp_ieee_underflow 0
		.amdhsa_exception_fp_ieee_inexact 0
		.amdhsa_exception_int_div_zero 0
	.end_amdhsa_kernel
	.section	.text._ZN7rocprim17ROCPRIM_400000_NS6detail17trampoline_kernelINS0_14default_configENS1_25partition_config_selectorILNS1_17partition_subalgoE1ExNS0_10empty_typeEbEEZZNS1_14partition_implILS5_1ELb0ES3_jN6thrust23THRUST_200600_302600_NS6detail15normal_iteratorINSA_10device_ptrIxEEEEPS6_NSA_18transform_iteratorINSA_8identityIxEESF_NSA_11use_defaultESK_EENS0_5tupleIJSF_SF_EEENSM_IJSG_SG_EEES6_PlJS6_EEE10hipError_tPvRmT3_T4_T5_T6_T7_T9_mT8_P12ihipStream_tbDpT10_ENKUlT_T0_E_clISt17integral_constantIbLb0EES18_IbLb1EEEEDaS14_S15_EUlS14_E_NS1_11comp_targetILNS1_3genE9ELNS1_11target_archE1100ELNS1_3gpuE3ELNS1_3repE0EEENS1_30default_config_static_selectorELNS0_4arch9wavefront6targetE1EEEvT1_,"axG",@progbits,_ZN7rocprim17ROCPRIM_400000_NS6detail17trampoline_kernelINS0_14default_configENS1_25partition_config_selectorILNS1_17partition_subalgoE1ExNS0_10empty_typeEbEEZZNS1_14partition_implILS5_1ELb0ES3_jN6thrust23THRUST_200600_302600_NS6detail15normal_iteratorINSA_10device_ptrIxEEEEPS6_NSA_18transform_iteratorINSA_8identityIxEESF_NSA_11use_defaultESK_EENS0_5tupleIJSF_SF_EEENSM_IJSG_SG_EEES6_PlJS6_EEE10hipError_tPvRmT3_T4_T5_T6_T7_T9_mT8_P12ihipStream_tbDpT10_ENKUlT_T0_E_clISt17integral_constantIbLb0EES18_IbLb1EEEEDaS14_S15_EUlS14_E_NS1_11comp_targetILNS1_3genE9ELNS1_11target_archE1100ELNS1_3gpuE3ELNS1_3repE0EEENS1_30default_config_static_selectorELNS0_4arch9wavefront6targetE1EEEvT1_,comdat
.Lfunc_end607:
	.size	_ZN7rocprim17ROCPRIM_400000_NS6detail17trampoline_kernelINS0_14default_configENS1_25partition_config_selectorILNS1_17partition_subalgoE1ExNS0_10empty_typeEbEEZZNS1_14partition_implILS5_1ELb0ES3_jN6thrust23THRUST_200600_302600_NS6detail15normal_iteratorINSA_10device_ptrIxEEEEPS6_NSA_18transform_iteratorINSA_8identityIxEESF_NSA_11use_defaultESK_EENS0_5tupleIJSF_SF_EEENSM_IJSG_SG_EEES6_PlJS6_EEE10hipError_tPvRmT3_T4_T5_T6_T7_T9_mT8_P12ihipStream_tbDpT10_ENKUlT_T0_E_clISt17integral_constantIbLb0EES18_IbLb1EEEEDaS14_S15_EUlS14_E_NS1_11comp_targetILNS1_3genE9ELNS1_11target_archE1100ELNS1_3gpuE3ELNS1_3repE0EEENS1_30default_config_static_selectorELNS0_4arch9wavefront6targetE1EEEvT1_, .Lfunc_end607-_ZN7rocprim17ROCPRIM_400000_NS6detail17trampoline_kernelINS0_14default_configENS1_25partition_config_selectorILNS1_17partition_subalgoE1ExNS0_10empty_typeEbEEZZNS1_14partition_implILS5_1ELb0ES3_jN6thrust23THRUST_200600_302600_NS6detail15normal_iteratorINSA_10device_ptrIxEEEEPS6_NSA_18transform_iteratorINSA_8identityIxEESF_NSA_11use_defaultESK_EENS0_5tupleIJSF_SF_EEENSM_IJSG_SG_EEES6_PlJS6_EEE10hipError_tPvRmT3_T4_T5_T6_T7_T9_mT8_P12ihipStream_tbDpT10_ENKUlT_T0_E_clISt17integral_constantIbLb0EES18_IbLb1EEEEDaS14_S15_EUlS14_E_NS1_11comp_targetILNS1_3genE9ELNS1_11target_archE1100ELNS1_3gpuE3ELNS1_3repE0EEENS1_30default_config_static_selectorELNS0_4arch9wavefront6targetE1EEEvT1_
                                        ; -- End function
	.section	.AMDGPU.csdata,"",@progbits
; Kernel info:
; codeLenInByte = 0
; NumSgprs: 6
; NumVgprs: 0
; NumAgprs: 0
; TotalNumVgprs: 0
; ScratchSize: 0
; MemoryBound: 0
; FloatMode: 240
; IeeeMode: 1
; LDSByteSize: 0 bytes/workgroup (compile time only)
; SGPRBlocks: 0
; VGPRBlocks: 0
; NumSGPRsForWavesPerEU: 6
; NumVGPRsForWavesPerEU: 1
; AccumOffset: 4
; Occupancy: 8
; WaveLimiterHint : 0
; COMPUTE_PGM_RSRC2:SCRATCH_EN: 0
; COMPUTE_PGM_RSRC2:USER_SGPR: 2
; COMPUTE_PGM_RSRC2:TRAP_HANDLER: 0
; COMPUTE_PGM_RSRC2:TGID_X_EN: 1
; COMPUTE_PGM_RSRC2:TGID_Y_EN: 0
; COMPUTE_PGM_RSRC2:TGID_Z_EN: 0
; COMPUTE_PGM_RSRC2:TIDIG_COMP_CNT: 0
; COMPUTE_PGM_RSRC3_GFX90A:ACCUM_OFFSET: 0
; COMPUTE_PGM_RSRC3_GFX90A:TG_SPLIT: 0
	.section	.text._ZN7rocprim17ROCPRIM_400000_NS6detail17trampoline_kernelINS0_14default_configENS1_25partition_config_selectorILNS1_17partition_subalgoE1ExNS0_10empty_typeEbEEZZNS1_14partition_implILS5_1ELb0ES3_jN6thrust23THRUST_200600_302600_NS6detail15normal_iteratorINSA_10device_ptrIxEEEEPS6_NSA_18transform_iteratorINSA_8identityIxEESF_NSA_11use_defaultESK_EENS0_5tupleIJSF_SF_EEENSM_IJSG_SG_EEES6_PlJS6_EEE10hipError_tPvRmT3_T4_T5_T6_T7_T9_mT8_P12ihipStream_tbDpT10_ENKUlT_T0_E_clISt17integral_constantIbLb0EES18_IbLb1EEEEDaS14_S15_EUlS14_E_NS1_11comp_targetILNS1_3genE8ELNS1_11target_archE1030ELNS1_3gpuE2ELNS1_3repE0EEENS1_30default_config_static_selectorELNS0_4arch9wavefront6targetE1EEEvT1_,"axG",@progbits,_ZN7rocprim17ROCPRIM_400000_NS6detail17trampoline_kernelINS0_14default_configENS1_25partition_config_selectorILNS1_17partition_subalgoE1ExNS0_10empty_typeEbEEZZNS1_14partition_implILS5_1ELb0ES3_jN6thrust23THRUST_200600_302600_NS6detail15normal_iteratorINSA_10device_ptrIxEEEEPS6_NSA_18transform_iteratorINSA_8identityIxEESF_NSA_11use_defaultESK_EENS0_5tupleIJSF_SF_EEENSM_IJSG_SG_EEES6_PlJS6_EEE10hipError_tPvRmT3_T4_T5_T6_T7_T9_mT8_P12ihipStream_tbDpT10_ENKUlT_T0_E_clISt17integral_constantIbLb0EES18_IbLb1EEEEDaS14_S15_EUlS14_E_NS1_11comp_targetILNS1_3genE8ELNS1_11target_archE1030ELNS1_3gpuE2ELNS1_3repE0EEENS1_30default_config_static_selectorELNS0_4arch9wavefront6targetE1EEEvT1_,comdat
	.protected	_ZN7rocprim17ROCPRIM_400000_NS6detail17trampoline_kernelINS0_14default_configENS1_25partition_config_selectorILNS1_17partition_subalgoE1ExNS0_10empty_typeEbEEZZNS1_14partition_implILS5_1ELb0ES3_jN6thrust23THRUST_200600_302600_NS6detail15normal_iteratorINSA_10device_ptrIxEEEEPS6_NSA_18transform_iteratorINSA_8identityIxEESF_NSA_11use_defaultESK_EENS0_5tupleIJSF_SF_EEENSM_IJSG_SG_EEES6_PlJS6_EEE10hipError_tPvRmT3_T4_T5_T6_T7_T9_mT8_P12ihipStream_tbDpT10_ENKUlT_T0_E_clISt17integral_constantIbLb0EES18_IbLb1EEEEDaS14_S15_EUlS14_E_NS1_11comp_targetILNS1_3genE8ELNS1_11target_archE1030ELNS1_3gpuE2ELNS1_3repE0EEENS1_30default_config_static_selectorELNS0_4arch9wavefront6targetE1EEEvT1_ ; -- Begin function _ZN7rocprim17ROCPRIM_400000_NS6detail17trampoline_kernelINS0_14default_configENS1_25partition_config_selectorILNS1_17partition_subalgoE1ExNS0_10empty_typeEbEEZZNS1_14partition_implILS5_1ELb0ES3_jN6thrust23THRUST_200600_302600_NS6detail15normal_iteratorINSA_10device_ptrIxEEEEPS6_NSA_18transform_iteratorINSA_8identityIxEESF_NSA_11use_defaultESK_EENS0_5tupleIJSF_SF_EEENSM_IJSG_SG_EEES6_PlJS6_EEE10hipError_tPvRmT3_T4_T5_T6_T7_T9_mT8_P12ihipStream_tbDpT10_ENKUlT_T0_E_clISt17integral_constantIbLb0EES18_IbLb1EEEEDaS14_S15_EUlS14_E_NS1_11comp_targetILNS1_3genE8ELNS1_11target_archE1030ELNS1_3gpuE2ELNS1_3repE0EEENS1_30default_config_static_selectorELNS0_4arch9wavefront6targetE1EEEvT1_
	.globl	_ZN7rocprim17ROCPRIM_400000_NS6detail17trampoline_kernelINS0_14default_configENS1_25partition_config_selectorILNS1_17partition_subalgoE1ExNS0_10empty_typeEbEEZZNS1_14partition_implILS5_1ELb0ES3_jN6thrust23THRUST_200600_302600_NS6detail15normal_iteratorINSA_10device_ptrIxEEEEPS6_NSA_18transform_iteratorINSA_8identityIxEESF_NSA_11use_defaultESK_EENS0_5tupleIJSF_SF_EEENSM_IJSG_SG_EEES6_PlJS6_EEE10hipError_tPvRmT3_T4_T5_T6_T7_T9_mT8_P12ihipStream_tbDpT10_ENKUlT_T0_E_clISt17integral_constantIbLb0EES18_IbLb1EEEEDaS14_S15_EUlS14_E_NS1_11comp_targetILNS1_3genE8ELNS1_11target_archE1030ELNS1_3gpuE2ELNS1_3repE0EEENS1_30default_config_static_selectorELNS0_4arch9wavefront6targetE1EEEvT1_
	.p2align	8
	.type	_ZN7rocprim17ROCPRIM_400000_NS6detail17trampoline_kernelINS0_14default_configENS1_25partition_config_selectorILNS1_17partition_subalgoE1ExNS0_10empty_typeEbEEZZNS1_14partition_implILS5_1ELb0ES3_jN6thrust23THRUST_200600_302600_NS6detail15normal_iteratorINSA_10device_ptrIxEEEEPS6_NSA_18transform_iteratorINSA_8identityIxEESF_NSA_11use_defaultESK_EENS0_5tupleIJSF_SF_EEENSM_IJSG_SG_EEES6_PlJS6_EEE10hipError_tPvRmT3_T4_T5_T6_T7_T9_mT8_P12ihipStream_tbDpT10_ENKUlT_T0_E_clISt17integral_constantIbLb0EES18_IbLb1EEEEDaS14_S15_EUlS14_E_NS1_11comp_targetILNS1_3genE8ELNS1_11target_archE1030ELNS1_3gpuE2ELNS1_3repE0EEENS1_30default_config_static_selectorELNS0_4arch9wavefront6targetE1EEEvT1_,@function
_ZN7rocprim17ROCPRIM_400000_NS6detail17trampoline_kernelINS0_14default_configENS1_25partition_config_selectorILNS1_17partition_subalgoE1ExNS0_10empty_typeEbEEZZNS1_14partition_implILS5_1ELb0ES3_jN6thrust23THRUST_200600_302600_NS6detail15normal_iteratorINSA_10device_ptrIxEEEEPS6_NSA_18transform_iteratorINSA_8identityIxEESF_NSA_11use_defaultESK_EENS0_5tupleIJSF_SF_EEENSM_IJSG_SG_EEES6_PlJS6_EEE10hipError_tPvRmT3_T4_T5_T6_T7_T9_mT8_P12ihipStream_tbDpT10_ENKUlT_T0_E_clISt17integral_constantIbLb0EES18_IbLb1EEEEDaS14_S15_EUlS14_E_NS1_11comp_targetILNS1_3genE8ELNS1_11target_archE1030ELNS1_3gpuE2ELNS1_3repE0EEENS1_30default_config_static_selectorELNS0_4arch9wavefront6targetE1EEEvT1_: ; @_ZN7rocprim17ROCPRIM_400000_NS6detail17trampoline_kernelINS0_14default_configENS1_25partition_config_selectorILNS1_17partition_subalgoE1ExNS0_10empty_typeEbEEZZNS1_14partition_implILS5_1ELb0ES3_jN6thrust23THRUST_200600_302600_NS6detail15normal_iteratorINSA_10device_ptrIxEEEEPS6_NSA_18transform_iteratorINSA_8identityIxEESF_NSA_11use_defaultESK_EENS0_5tupleIJSF_SF_EEENSM_IJSG_SG_EEES6_PlJS6_EEE10hipError_tPvRmT3_T4_T5_T6_T7_T9_mT8_P12ihipStream_tbDpT10_ENKUlT_T0_E_clISt17integral_constantIbLb0EES18_IbLb1EEEEDaS14_S15_EUlS14_E_NS1_11comp_targetILNS1_3genE8ELNS1_11target_archE1030ELNS1_3gpuE2ELNS1_3repE0EEENS1_30default_config_static_selectorELNS0_4arch9wavefront6targetE1EEEvT1_
; %bb.0:
	.section	.rodata,"a",@progbits
	.p2align	6, 0x0
	.amdhsa_kernel _ZN7rocprim17ROCPRIM_400000_NS6detail17trampoline_kernelINS0_14default_configENS1_25partition_config_selectorILNS1_17partition_subalgoE1ExNS0_10empty_typeEbEEZZNS1_14partition_implILS5_1ELb0ES3_jN6thrust23THRUST_200600_302600_NS6detail15normal_iteratorINSA_10device_ptrIxEEEEPS6_NSA_18transform_iteratorINSA_8identityIxEESF_NSA_11use_defaultESK_EENS0_5tupleIJSF_SF_EEENSM_IJSG_SG_EEES6_PlJS6_EEE10hipError_tPvRmT3_T4_T5_T6_T7_T9_mT8_P12ihipStream_tbDpT10_ENKUlT_T0_E_clISt17integral_constantIbLb0EES18_IbLb1EEEEDaS14_S15_EUlS14_E_NS1_11comp_targetILNS1_3genE8ELNS1_11target_archE1030ELNS1_3gpuE2ELNS1_3repE0EEENS1_30default_config_static_selectorELNS0_4arch9wavefront6targetE1EEEvT1_
		.amdhsa_group_segment_fixed_size 0
		.amdhsa_private_segment_fixed_size 0
		.amdhsa_kernarg_size 144
		.amdhsa_user_sgpr_count 2
		.amdhsa_user_sgpr_dispatch_ptr 0
		.amdhsa_user_sgpr_queue_ptr 0
		.amdhsa_user_sgpr_kernarg_segment_ptr 1
		.amdhsa_user_sgpr_dispatch_id 0
		.amdhsa_user_sgpr_kernarg_preload_length 0
		.amdhsa_user_sgpr_kernarg_preload_offset 0
		.amdhsa_user_sgpr_private_segment_size 0
		.amdhsa_uses_dynamic_stack 0
		.amdhsa_enable_private_segment 0
		.amdhsa_system_sgpr_workgroup_id_x 1
		.amdhsa_system_sgpr_workgroup_id_y 0
		.amdhsa_system_sgpr_workgroup_id_z 0
		.amdhsa_system_sgpr_workgroup_info 0
		.amdhsa_system_vgpr_workitem_id 0
		.amdhsa_next_free_vgpr 1
		.amdhsa_next_free_sgpr 0
		.amdhsa_accum_offset 4
		.amdhsa_reserve_vcc 0
		.amdhsa_float_round_mode_32 0
		.amdhsa_float_round_mode_16_64 0
		.amdhsa_float_denorm_mode_32 3
		.amdhsa_float_denorm_mode_16_64 3
		.amdhsa_dx10_clamp 1
		.amdhsa_ieee_mode 1
		.amdhsa_fp16_overflow 0
		.amdhsa_tg_split 0
		.amdhsa_exception_fp_ieee_invalid_op 0
		.amdhsa_exception_fp_denorm_src 0
		.amdhsa_exception_fp_ieee_div_zero 0
		.amdhsa_exception_fp_ieee_overflow 0
		.amdhsa_exception_fp_ieee_underflow 0
		.amdhsa_exception_fp_ieee_inexact 0
		.amdhsa_exception_int_div_zero 0
	.end_amdhsa_kernel
	.section	.text._ZN7rocprim17ROCPRIM_400000_NS6detail17trampoline_kernelINS0_14default_configENS1_25partition_config_selectorILNS1_17partition_subalgoE1ExNS0_10empty_typeEbEEZZNS1_14partition_implILS5_1ELb0ES3_jN6thrust23THRUST_200600_302600_NS6detail15normal_iteratorINSA_10device_ptrIxEEEEPS6_NSA_18transform_iteratorINSA_8identityIxEESF_NSA_11use_defaultESK_EENS0_5tupleIJSF_SF_EEENSM_IJSG_SG_EEES6_PlJS6_EEE10hipError_tPvRmT3_T4_T5_T6_T7_T9_mT8_P12ihipStream_tbDpT10_ENKUlT_T0_E_clISt17integral_constantIbLb0EES18_IbLb1EEEEDaS14_S15_EUlS14_E_NS1_11comp_targetILNS1_3genE8ELNS1_11target_archE1030ELNS1_3gpuE2ELNS1_3repE0EEENS1_30default_config_static_selectorELNS0_4arch9wavefront6targetE1EEEvT1_,"axG",@progbits,_ZN7rocprim17ROCPRIM_400000_NS6detail17trampoline_kernelINS0_14default_configENS1_25partition_config_selectorILNS1_17partition_subalgoE1ExNS0_10empty_typeEbEEZZNS1_14partition_implILS5_1ELb0ES3_jN6thrust23THRUST_200600_302600_NS6detail15normal_iteratorINSA_10device_ptrIxEEEEPS6_NSA_18transform_iteratorINSA_8identityIxEESF_NSA_11use_defaultESK_EENS0_5tupleIJSF_SF_EEENSM_IJSG_SG_EEES6_PlJS6_EEE10hipError_tPvRmT3_T4_T5_T6_T7_T9_mT8_P12ihipStream_tbDpT10_ENKUlT_T0_E_clISt17integral_constantIbLb0EES18_IbLb1EEEEDaS14_S15_EUlS14_E_NS1_11comp_targetILNS1_3genE8ELNS1_11target_archE1030ELNS1_3gpuE2ELNS1_3repE0EEENS1_30default_config_static_selectorELNS0_4arch9wavefront6targetE1EEEvT1_,comdat
.Lfunc_end608:
	.size	_ZN7rocprim17ROCPRIM_400000_NS6detail17trampoline_kernelINS0_14default_configENS1_25partition_config_selectorILNS1_17partition_subalgoE1ExNS0_10empty_typeEbEEZZNS1_14partition_implILS5_1ELb0ES3_jN6thrust23THRUST_200600_302600_NS6detail15normal_iteratorINSA_10device_ptrIxEEEEPS6_NSA_18transform_iteratorINSA_8identityIxEESF_NSA_11use_defaultESK_EENS0_5tupleIJSF_SF_EEENSM_IJSG_SG_EEES6_PlJS6_EEE10hipError_tPvRmT3_T4_T5_T6_T7_T9_mT8_P12ihipStream_tbDpT10_ENKUlT_T0_E_clISt17integral_constantIbLb0EES18_IbLb1EEEEDaS14_S15_EUlS14_E_NS1_11comp_targetILNS1_3genE8ELNS1_11target_archE1030ELNS1_3gpuE2ELNS1_3repE0EEENS1_30default_config_static_selectorELNS0_4arch9wavefront6targetE1EEEvT1_, .Lfunc_end608-_ZN7rocprim17ROCPRIM_400000_NS6detail17trampoline_kernelINS0_14default_configENS1_25partition_config_selectorILNS1_17partition_subalgoE1ExNS0_10empty_typeEbEEZZNS1_14partition_implILS5_1ELb0ES3_jN6thrust23THRUST_200600_302600_NS6detail15normal_iteratorINSA_10device_ptrIxEEEEPS6_NSA_18transform_iteratorINSA_8identityIxEESF_NSA_11use_defaultESK_EENS0_5tupleIJSF_SF_EEENSM_IJSG_SG_EEES6_PlJS6_EEE10hipError_tPvRmT3_T4_T5_T6_T7_T9_mT8_P12ihipStream_tbDpT10_ENKUlT_T0_E_clISt17integral_constantIbLb0EES18_IbLb1EEEEDaS14_S15_EUlS14_E_NS1_11comp_targetILNS1_3genE8ELNS1_11target_archE1030ELNS1_3gpuE2ELNS1_3repE0EEENS1_30default_config_static_selectorELNS0_4arch9wavefront6targetE1EEEvT1_
                                        ; -- End function
	.section	.AMDGPU.csdata,"",@progbits
; Kernel info:
; codeLenInByte = 0
; NumSgprs: 6
; NumVgprs: 0
; NumAgprs: 0
; TotalNumVgprs: 0
; ScratchSize: 0
; MemoryBound: 0
; FloatMode: 240
; IeeeMode: 1
; LDSByteSize: 0 bytes/workgroup (compile time only)
; SGPRBlocks: 0
; VGPRBlocks: 0
; NumSGPRsForWavesPerEU: 6
; NumVGPRsForWavesPerEU: 1
; AccumOffset: 4
; Occupancy: 8
; WaveLimiterHint : 0
; COMPUTE_PGM_RSRC2:SCRATCH_EN: 0
; COMPUTE_PGM_RSRC2:USER_SGPR: 2
; COMPUTE_PGM_RSRC2:TRAP_HANDLER: 0
; COMPUTE_PGM_RSRC2:TGID_X_EN: 1
; COMPUTE_PGM_RSRC2:TGID_Y_EN: 0
; COMPUTE_PGM_RSRC2:TGID_Z_EN: 0
; COMPUTE_PGM_RSRC2:TIDIG_COMP_CNT: 0
; COMPUTE_PGM_RSRC3_GFX90A:ACCUM_OFFSET: 0
; COMPUTE_PGM_RSRC3_GFX90A:TG_SPLIT: 0
	.section	.text._ZN7rocprim17ROCPRIM_400000_NS6detail17trampoline_kernelINS0_14default_configENS1_25partition_config_selectorILNS1_17partition_subalgoE1EiNS0_10empty_typeEbEEZZNS1_14partition_implILS5_1ELb0ES3_jN6thrust23THRUST_200600_302600_NS6detail15normal_iteratorINSA_10device_ptrIiEEEEPS6_NSA_18transform_iteratorINSA_8identityIiEESF_NSA_11use_defaultESK_EENS0_5tupleIJSF_SF_EEENSM_IJSG_SG_EEES6_PlJS6_EEE10hipError_tPvRmT3_T4_T5_T6_T7_T9_mT8_P12ihipStream_tbDpT10_ENKUlT_T0_E_clISt17integral_constantIbLb0EES19_EEDaS14_S15_EUlS14_E_NS1_11comp_targetILNS1_3genE0ELNS1_11target_archE4294967295ELNS1_3gpuE0ELNS1_3repE0EEENS1_30default_config_static_selectorELNS0_4arch9wavefront6targetE1EEEvT1_,"axG",@progbits,_ZN7rocprim17ROCPRIM_400000_NS6detail17trampoline_kernelINS0_14default_configENS1_25partition_config_selectorILNS1_17partition_subalgoE1EiNS0_10empty_typeEbEEZZNS1_14partition_implILS5_1ELb0ES3_jN6thrust23THRUST_200600_302600_NS6detail15normal_iteratorINSA_10device_ptrIiEEEEPS6_NSA_18transform_iteratorINSA_8identityIiEESF_NSA_11use_defaultESK_EENS0_5tupleIJSF_SF_EEENSM_IJSG_SG_EEES6_PlJS6_EEE10hipError_tPvRmT3_T4_T5_T6_T7_T9_mT8_P12ihipStream_tbDpT10_ENKUlT_T0_E_clISt17integral_constantIbLb0EES19_EEDaS14_S15_EUlS14_E_NS1_11comp_targetILNS1_3genE0ELNS1_11target_archE4294967295ELNS1_3gpuE0ELNS1_3repE0EEENS1_30default_config_static_selectorELNS0_4arch9wavefront6targetE1EEEvT1_,comdat
	.protected	_ZN7rocprim17ROCPRIM_400000_NS6detail17trampoline_kernelINS0_14default_configENS1_25partition_config_selectorILNS1_17partition_subalgoE1EiNS0_10empty_typeEbEEZZNS1_14partition_implILS5_1ELb0ES3_jN6thrust23THRUST_200600_302600_NS6detail15normal_iteratorINSA_10device_ptrIiEEEEPS6_NSA_18transform_iteratorINSA_8identityIiEESF_NSA_11use_defaultESK_EENS0_5tupleIJSF_SF_EEENSM_IJSG_SG_EEES6_PlJS6_EEE10hipError_tPvRmT3_T4_T5_T6_T7_T9_mT8_P12ihipStream_tbDpT10_ENKUlT_T0_E_clISt17integral_constantIbLb0EES19_EEDaS14_S15_EUlS14_E_NS1_11comp_targetILNS1_3genE0ELNS1_11target_archE4294967295ELNS1_3gpuE0ELNS1_3repE0EEENS1_30default_config_static_selectorELNS0_4arch9wavefront6targetE1EEEvT1_ ; -- Begin function _ZN7rocprim17ROCPRIM_400000_NS6detail17trampoline_kernelINS0_14default_configENS1_25partition_config_selectorILNS1_17partition_subalgoE1EiNS0_10empty_typeEbEEZZNS1_14partition_implILS5_1ELb0ES3_jN6thrust23THRUST_200600_302600_NS6detail15normal_iteratorINSA_10device_ptrIiEEEEPS6_NSA_18transform_iteratorINSA_8identityIiEESF_NSA_11use_defaultESK_EENS0_5tupleIJSF_SF_EEENSM_IJSG_SG_EEES6_PlJS6_EEE10hipError_tPvRmT3_T4_T5_T6_T7_T9_mT8_P12ihipStream_tbDpT10_ENKUlT_T0_E_clISt17integral_constantIbLb0EES19_EEDaS14_S15_EUlS14_E_NS1_11comp_targetILNS1_3genE0ELNS1_11target_archE4294967295ELNS1_3gpuE0ELNS1_3repE0EEENS1_30default_config_static_selectorELNS0_4arch9wavefront6targetE1EEEvT1_
	.globl	_ZN7rocprim17ROCPRIM_400000_NS6detail17trampoline_kernelINS0_14default_configENS1_25partition_config_selectorILNS1_17partition_subalgoE1EiNS0_10empty_typeEbEEZZNS1_14partition_implILS5_1ELb0ES3_jN6thrust23THRUST_200600_302600_NS6detail15normal_iteratorINSA_10device_ptrIiEEEEPS6_NSA_18transform_iteratorINSA_8identityIiEESF_NSA_11use_defaultESK_EENS0_5tupleIJSF_SF_EEENSM_IJSG_SG_EEES6_PlJS6_EEE10hipError_tPvRmT3_T4_T5_T6_T7_T9_mT8_P12ihipStream_tbDpT10_ENKUlT_T0_E_clISt17integral_constantIbLb0EES19_EEDaS14_S15_EUlS14_E_NS1_11comp_targetILNS1_3genE0ELNS1_11target_archE4294967295ELNS1_3gpuE0ELNS1_3repE0EEENS1_30default_config_static_selectorELNS0_4arch9wavefront6targetE1EEEvT1_
	.p2align	8
	.type	_ZN7rocprim17ROCPRIM_400000_NS6detail17trampoline_kernelINS0_14default_configENS1_25partition_config_selectorILNS1_17partition_subalgoE1EiNS0_10empty_typeEbEEZZNS1_14partition_implILS5_1ELb0ES3_jN6thrust23THRUST_200600_302600_NS6detail15normal_iteratorINSA_10device_ptrIiEEEEPS6_NSA_18transform_iteratorINSA_8identityIiEESF_NSA_11use_defaultESK_EENS0_5tupleIJSF_SF_EEENSM_IJSG_SG_EEES6_PlJS6_EEE10hipError_tPvRmT3_T4_T5_T6_T7_T9_mT8_P12ihipStream_tbDpT10_ENKUlT_T0_E_clISt17integral_constantIbLb0EES19_EEDaS14_S15_EUlS14_E_NS1_11comp_targetILNS1_3genE0ELNS1_11target_archE4294967295ELNS1_3gpuE0ELNS1_3repE0EEENS1_30default_config_static_selectorELNS0_4arch9wavefront6targetE1EEEvT1_,@function
_ZN7rocprim17ROCPRIM_400000_NS6detail17trampoline_kernelINS0_14default_configENS1_25partition_config_selectorILNS1_17partition_subalgoE1EiNS0_10empty_typeEbEEZZNS1_14partition_implILS5_1ELb0ES3_jN6thrust23THRUST_200600_302600_NS6detail15normal_iteratorINSA_10device_ptrIiEEEEPS6_NSA_18transform_iteratorINSA_8identityIiEESF_NSA_11use_defaultESK_EENS0_5tupleIJSF_SF_EEENSM_IJSG_SG_EEES6_PlJS6_EEE10hipError_tPvRmT3_T4_T5_T6_T7_T9_mT8_P12ihipStream_tbDpT10_ENKUlT_T0_E_clISt17integral_constantIbLb0EES19_EEDaS14_S15_EUlS14_E_NS1_11comp_targetILNS1_3genE0ELNS1_11target_archE4294967295ELNS1_3gpuE0ELNS1_3repE0EEENS1_30default_config_static_selectorELNS0_4arch9wavefront6targetE1EEEvT1_: ; @_ZN7rocprim17ROCPRIM_400000_NS6detail17trampoline_kernelINS0_14default_configENS1_25partition_config_selectorILNS1_17partition_subalgoE1EiNS0_10empty_typeEbEEZZNS1_14partition_implILS5_1ELb0ES3_jN6thrust23THRUST_200600_302600_NS6detail15normal_iteratorINSA_10device_ptrIiEEEEPS6_NSA_18transform_iteratorINSA_8identityIiEESF_NSA_11use_defaultESK_EENS0_5tupleIJSF_SF_EEENSM_IJSG_SG_EEES6_PlJS6_EEE10hipError_tPvRmT3_T4_T5_T6_T7_T9_mT8_P12ihipStream_tbDpT10_ENKUlT_T0_E_clISt17integral_constantIbLb0EES19_EEDaS14_S15_EUlS14_E_NS1_11comp_targetILNS1_3genE0ELNS1_11target_archE4294967295ELNS1_3gpuE0ELNS1_3repE0EEENS1_30default_config_static_selectorELNS0_4arch9wavefront6targetE1EEEvT1_
; %bb.0:
	.section	.rodata,"a",@progbits
	.p2align	6, 0x0
	.amdhsa_kernel _ZN7rocprim17ROCPRIM_400000_NS6detail17trampoline_kernelINS0_14default_configENS1_25partition_config_selectorILNS1_17partition_subalgoE1EiNS0_10empty_typeEbEEZZNS1_14partition_implILS5_1ELb0ES3_jN6thrust23THRUST_200600_302600_NS6detail15normal_iteratorINSA_10device_ptrIiEEEEPS6_NSA_18transform_iteratorINSA_8identityIiEESF_NSA_11use_defaultESK_EENS0_5tupleIJSF_SF_EEENSM_IJSG_SG_EEES6_PlJS6_EEE10hipError_tPvRmT3_T4_T5_T6_T7_T9_mT8_P12ihipStream_tbDpT10_ENKUlT_T0_E_clISt17integral_constantIbLb0EES19_EEDaS14_S15_EUlS14_E_NS1_11comp_targetILNS1_3genE0ELNS1_11target_archE4294967295ELNS1_3gpuE0ELNS1_3repE0EEENS1_30default_config_static_selectorELNS0_4arch9wavefront6targetE1EEEvT1_
		.amdhsa_group_segment_fixed_size 0
		.amdhsa_private_segment_fixed_size 0
		.amdhsa_kernarg_size 128
		.amdhsa_user_sgpr_count 2
		.amdhsa_user_sgpr_dispatch_ptr 0
		.amdhsa_user_sgpr_queue_ptr 0
		.amdhsa_user_sgpr_kernarg_segment_ptr 1
		.amdhsa_user_sgpr_dispatch_id 0
		.amdhsa_user_sgpr_kernarg_preload_length 0
		.amdhsa_user_sgpr_kernarg_preload_offset 0
		.amdhsa_user_sgpr_private_segment_size 0
		.amdhsa_uses_dynamic_stack 0
		.amdhsa_enable_private_segment 0
		.amdhsa_system_sgpr_workgroup_id_x 1
		.amdhsa_system_sgpr_workgroup_id_y 0
		.amdhsa_system_sgpr_workgroup_id_z 0
		.amdhsa_system_sgpr_workgroup_info 0
		.amdhsa_system_vgpr_workitem_id 0
		.amdhsa_next_free_vgpr 1
		.amdhsa_next_free_sgpr 0
		.amdhsa_accum_offset 4
		.amdhsa_reserve_vcc 0
		.amdhsa_float_round_mode_32 0
		.amdhsa_float_round_mode_16_64 0
		.amdhsa_float_denorm_mode_32 3
		.amdhsa_float_denorm_mode_16_64 3
		.amdhsa_dx10_clamp 1
		.amdhsa_ieee_mode 1
		.amdhsa_fp16_overflow 0
		.amdhsa_tg_split 0
		.amdhsa_exception_fp_ieee_invalid_op 0
		.amdhsa_exception_fp_denorm_src 0
		.amdhsa_exception_fp_ieee_div_zero 0
		.amdhsa_exception_fp_ieee_overflow 0
		.amdhsa_exception_fp_ieee_underflow 0
		.amdhsa_exception_fp_ieee_inexact 0
		.amdhsa_exception_int_div_zero 0
	.end_amdhsa_kernel
	.section	.text._ZN7rocprim17ROCPRIM_400000_NS6detail17trampoline_kernelINS0_14default_configENS1_25partition_config_selectorILNS1_17partition_subalgoE1EiNS0_10empty_typeEbEEZZNS1_14partition_implILS5_1ELb0ES3_jN6thrust23THRUST_200600_302600_NS6detail15normal_iteratorINSA_10device_ptrIiEEEEPS6_NSA_18transform_iteratorINSA_8identityIiEESF_NSA_11use_defaultESK_EENS0_5tupleIJSF_SF_EEENSM_IJSG_SG_EEES6_PlJS6_EEE10hipError_tPvRmT3_T4_T5_T6_T7_T9_mT8_P12ihipStream_tbDpT10_ENKUlT_T0_E_clISt17integral_constantIbLb0EES19_EEDaS14_S15_EUlS14_E_NS1_11comp_targetILNS1_3genE0ELNS1_11target_archE4294967295ELNS1_3gpuE0ELNS1_3repE0EEENS1_30default_config_static_selectorELNS0_4arch9wavefront6targetE1EEEvT1_,"axG",@progbits,_ZN7rocprim17ROCPRIM_400000_NS6detail17trampoline_kernelINS0_14default_configENS1_25partition_config_selectorILNS1_17partition_subalgoE1EiNS0_10empty_typeEbEEZZNS1_14partition_implILS5_1ELb0ES3_jN6thrust23THRUST_200600_302600_NS6detail15normal_iteratorINSA_10device_ptrIiEEEEPS6_NSA_18transform_iteratorINSA_8identityIiEESF_NSA_11use_defaultESK_EENS0_5tupleIJSF_SF_EEENSM_IJSG_SG_EEES6_PlJS6_EEE10hipError_tPvRmT3_T4_T5_T6_T7_T9_mT8_P12ihipStream_tbDpT10_ENKUlT_T0_E_clISt17integral_constantIbLb0EES19_EEDaS14_S15_EUlS14_E_NS1_11comp_targetILNS1_3genE0ELNS1_11target_archE4294967295ELNS1_3gpuE0ELNS1_3repE0EEENS1_30default_config_static_selectorELNS0_4arch9wavefront6targetE1EEEvT1_,comdat
.Lfunc_end609:
	.size	_ZN7rocprim17ROCPRIM_400000_NS6detail17trampoline_kernelINS0_14default_configENS1_25partition_config_selectorILNS1_17partition_subalgoE1EiNS0_10empty_typeEbEEZZNS1_14partition_implILS5_1ELb0ES3_jN6thrust23THRUST_200600_302600_NS6detail15normal_iteratorINSA_10device_ptrIiEEEEPS6_NSA_18transform_iteratorINSA_8identityIiEESF_NSA_11use_defaultESK_EENS0_5tupleIJSF_SF_EEENSM_IJSG_SG_EEES6_PlJS6_EEE10hipError_tPvRmT3_T4_T5_T6_T7_T9_mT8_P12ihipStream_tbDpT10_ENKUlT_T0_E_clISt17integral_constantIbLb0EES19_EEDaS14_S15_EUlS14_E_NS1_11comp_targetILNS1_3genE0ELNS1_11target_archE4294967295ELNS1_3gpuE0ELNS1_3repE0EEENS1_30default_config_static_selectorELNS0_4arch9wavefront6targetE1EEEvT1_, .Lfunc_end609-_ZN7rocprim17ROCPRIM_400000_NS6detail17trampoline_kernelINS0_14default_configENS1_25partition_config_selectorILNS1_17partition_subalgoE1EiNS0_10empty_typeEbEEZZNS1_14partition_implILS5_1ELb0ES3_jN6thrust23THRUST_200600_302600_NS6detail15normal_iteratorINSA_10device_ptrIiEEEEPS6_NSA_18transform_iteratorINSA_8identityIiEESF_NSA_11use_defaultESK_EENS0_5tupleIJSF_SF_EEENSM_IJSG_SG_EEES6_PlJS6_EEE10hipError_tPvRmT3_T4_T5_T6_T7_T9_mT8_P12ihipStream_tbDpT10_ENKUlT_T0_E_clISt17integral_constantIbLb0EES19_EEDaS14_S15_EUlS14_E_NS1_11comp_targetILNS1_3genE0ELNS1_11target_archE4294967295ELNS1_3gpuE0ELNS1_3repE0EEENS1_30default_config_static_selectorELNS0_4arch9wavefront6targetE1EEEvT1_
                                        ; -- End function
	.section	.AMDGPU.csdata,"",@progbits
; Kernel info:
; codeLenInByte = 0
; NumSgprs: 6
; NumVgprs: 0
; NumAgprs: 0
; TotalNumVgprs: 0
; ScratchSize: 0
; MemoryBound: 0
; FloatMode: 240
; IeeeMode: 1
; LDSByteSize: 0 bytes/workgroup (compile time only)
; SGPRBlocks: 0
; VGPRBlocks: 0
; NumSGPRsForWavesPerEU: 6
; NumVGPRsForWavesPerEU: 1
; AccumOffset: 4
; Occupancy: 8
; WaveLimiterHint : 0
; COMPUTE_PGM_RSRC2:SCRATCH_EN: 0
; COMPUTE_PGM_RSRC2:USER_SGPR: 2
; COMPUTE_PGM_RSRC2:TRAP_HANDLER: 0
; COMPUTE_PGM_RSRC2:TGID_X_EN: 1
; COMPUTE_PGM_RSRC2:TGID_Y_EN: 0
; COMPUTE_PGM_RSRC2:TGID_Z_EN: 0
; COMPUTE_PGM_RSRC2:TIDIG_COMP_CNT: 0
; COMPUTE_PGM_RSRC3_GFX90A:ACCUM_OFFSET: 0
; COMPUTE_PGM_RSRC3_GFX90A:TG_SPLIT: 0
	.section	.text._ZN7rocprim17ROCPRIM_400000_NS6detail17trampoline_kernelINS0_14default_configENS1_25partition_config_selectorILNS1_17partition_subalgoE1EiNS0_10empty_typeEbEEZZNS1_14partition_implILS5_1ELb0ES3_jN6thrust23THRUST_200600_302600_NS6detail15normal_iteratorINSA_10device_ptrIiEEEEPS6_NSA_18transform_iteratorINSA_8identityIiEESF_NSA_11use_defaultESK_EENS0_5tupleIJSF_SF_EEENSM_IJSG_SG_EEES6_PlJS6_EEE10hipError_tPvRmT3_T4_T5_T6_T7_T9_mT8_P12ihipStream_tbDpT10_ENKUlT_T0_E_clISt17integral_constantIbLb0EES19_EEDaS14_S15_EUlS14_E_NS1_11comp_targetILNS1_3genE5ELNS1_11target_archE942ELNS1_3gpuE9ELNS1_3repE0EEENS1_30default_config_static_selectorELNS0_4arch9wavefront6targetE1EEEvT1_,"axG",@progbits,_ZN7rocprim17ROCPRIM_400000_NS6detail17trampoline_kernelINS0_14default_configENS1_25partition_config_selectorILNS1_17partition_subalgoE1EiNS0_10empty_typeEbEEZZNS1_14partition_implILS5_1ELb0ES3_jN6thrust23THRUST_200600_302600_NS6detail15normal_iteratorINSA_10device_ptrIiEEEEPS6_NSA_18transform_iteratorINSA_8identityIiEESF_NSA_11use_defaultESK_EENS0_5tupleIJSF_SF_EEENSM_IJSG_SG_EEES6_PlJS6_EEE10hipError_tPvRmT3_T4_T5_T6_T7_T9_mT8_P12ihipStream_tbDpT10_ENKUlT_T0_E_clISt17integral_constantIbLb0EES19_EEDaS14_S15_EUlS14_E_NS1_11comp_targetILNS1_3genE5ELNS1_11target_archE942ELNS1_3gpuE9ELNS1_3repE0EEENS1_30default_config_static_selectorELNS0_4arch9wavefront6targetE1EEEvT1_,comdat
	.protected	_ZN7rocprim17ROCPRIM_400000_NS6detail17trampoline_kernelINS0_14default_configENS1_25partition_config_selectorILNS1_17partition_subalgoE1EiNS0_10empty_typeEbEEZZNS1_14partition_implILS5_1ELb0ES3_jN6thrust23THRUST_200600_302600_NS6detail15normal_iteratorINSA_10device_ptrIiEEEEPS6_NSA_18transform_iteratorINSA_8identityIiEESF_NSA_11use_defaultESK_EENS0_5tupleIJSF_SF_EEENSM_IJSG_SG_EEES6_PlJS6_EEE10hipError_tPvRmT3_T4_T5_T6_T7_T9_mT8_P12ihipStream_tbDpT10_ENKUlT_T0_E_clISt17integral_constantIbLb0EES19_EEDaS14_S15_EUlS14_E_NS1_11comp_targetILNS1_3genE5ELNS1_11target_archE942ELNS1_3gpuE9ELNS1_3repE0EEENS1_30default_config_static_selectorELNS0_4arch9wavefront6targetE1EEEvT1_ ; -- Begin function _ZN7rocprim17ROCPRIM_400000_NS6detail17trampoline_kernelINS0_14default_configENS1_25partition_config_selectorILNS1_17partition_subalgoE1EiNS0_10empty_typeEbEEZZNS1_14partition_implILS5_1ELb0ES3_jN6thrust23THRUST_200600_302600_NS6detail15normal_iteratorINSA_10device_ptrIiEEEEPS6_NSA_18transform_iteratorINSA_8identityIiEESF_NSA_11use_defaultESK_EENS0_5tupleIJSF_SF_EEENSM_IJSG_SG_EEES6_PlJS6_EEE10hipError_tPvRmT3_T4_T5_T6_T7_T9_mT8_P12ihipStream_tbDpT10_ENKUlT_T0_E_clISt17integral_constantIbLb0EES19_EEDaS14_S15_EUlS14_E_NS1_11comp_targetILNS1_3genE5ELNS1_11target_archE942ELNS1_3gpuE9ELNS1_3repE0EEENS1_30default_config_static_selectorELNS0_4arch9wavefront6targetE1EEEvT1_
	.globl	_ZN7rocprim17ROCPRIM_400000_NS6detail17trampoline_kernelINS0_14default_configENS1_25partition_config_selectorILNS1_17partition_subalgoE1EiNS0_10empty_typeEbEEZZNS1_14partition_implILS5_1ELb0ES3_jN6thrust23THRUST_200600_302600_NS6detail15normal_iteratorINSA_10device_ptrIiEEEEPS6_NSA_18transform_iteratorINSA_8identityIiEESF_NSA_11use_defaultESK_EENS0_5tupleIJSF_SF_EEENSM_IJSG_SG_EEES6_PlJS6_EEE10hipError_tPvRmT3_T4_T5_T6_T7_T9_mT8_P12ihipStream_tbDpT10_ENKUlT_T0_E_clISt17integral_constantIbLb0EES19_EEDaS14_S15_EUlS14_E_NS1_11comp_targetILNS1_3genE5ELNS1_11target_archE942ELNS1_3gpuE9ELNS1_3repE0EEENS1_30default_config_static_selectorELNS0_4arch9wavefront6targetE1EEEvT1_
	.p2align	8
	.type	_ZN7rocprim17ROCPRIM_400000_NS6detail17trampoline_kernelINS0_14default_configENS1_25partition_config_selectorILNS1_17partition_subalgoE1EiNS0_10empty_typeEbEEZZNS1_14partition_implILS5_1ELb0ES3_jN6thrust23THRUST_200600_302600_NS6detail15normal_iteratorINSA_10device_ptrIiEEEEPS6_NSA_18transform_iteratorINSA_8identityIiEESF_NSA_11use_defaultESK_EENS0_5tupleIJSF_SF_EEENSM_IJSG_SG_EEES6_PlJS6_EEE10hipError_tPvRmT3_T4_T5_T6_T7_T9_mT8_P12ihipStream_tbDpT10_ENKUlT_T0_E_clISt17integral_constantIbLb0EES19_EEDaS14_S15_EUlS14_E_NS1_11comp_targetILNS1_3genE5ELNS1_11target_archE942ELNS1_3gpuE9ELNS1_3repE0EEENS1_30default_config_static_selectorELNS0_4arch9wavefront6targetE1EEEvT1_,@function
_ZN7rocprim17ROCPRIM_400000_NS6detail17trampoline_kernelINS0_14default_configENS1_25partition_config_selectorILNS1_17partition_subalgoE1EiNS0_10empty_typeEbEEZZNS1_14partition_implILS5_1ELb0ES3_jN6thrust23THRUST_200600_302600_NS6detail15normal_iteratorINSA_10device_ptrIiEEEEPS6_NSA_18transform_iteratorINSA_8identityIiEESF_NSA_11use_defaultESK_EENS0_5tupleIJSF_SF_EEENSM_IJSG_SG_EEES6_PlJS6_EEE10hipError_tPvRmT3_T4_T5_T6_T7_T9_mT8_P12ihipStream_tbDpT10_ENKUlT_T0_E_clISt17integral_constantIbLb0EES19_EEDaS14_S15_EUlS14_E_NS1_11comp_targetILNS1_3genE5ELNS1_11target_archE942ELNS1_3gpuE9ELNS1_3repE0EEENS1_30default_config_static_selectorELNS0_4arch9wavefront6targetE1EEEvT1_: ; @_ZN7rocprim17ROCPRIM_400000_NS6detail17trampoline_kernelINS0_14default_configENS1_25partition_config_selectorILNS1_17partition_subalgoE1EiNS0_10empty_typeEbEEZZNS1_14partition_implILS5_1ELb0ES3_jN6thrust23THRUST_200600_302600_NS6detail15normal_iteratorINSA_10device_ptrIiEEEEPS6_NSA_18transform_iteratorINSA_8identityIiEESF_NSA_11use_defaultESK_EENS0_5tupleIJSF_SF_EEENSM_IJSG_SG_EEES6_PlJS6_EEE10hipError_tPvRmT3_T4_T5_T6_T7_T9_mT8_P12ihipStream_tbDpT10_ENKUlT_T0_E_clISt17integral_constantIbLb0EES19_EEDaS14_S15_EUlS14_E_NS1_11comp_targetILNS1_3genE5ELNS1_11target_archE942ELNS1_3gpuE9ELNS1_3repE0EEENS1_30default_config_static_selectorELNS0_4arch9wavefront6targetE1EEEvT1_
; %bb.0:
	s_load_dwordx2 s[4:5], s[0:1], 0x60
	s_load_dwordx4 s[24:27], s[0:1], 0x8
	s_load_dwordx2 s[6:7], s[0:1], 0x20
	s_load_dwordx4 s[20:23], s[0:1], 0x50
	s_load_dword s3, s[0:1], 0x78
	s_waitcnt lgkmcnt(0)
	v_mov_b32_e32 v3, s5
	s_lshl_b64 s[8:9], s[26:27], 2
	s_add_u32 s12, s24, s8
	s_addc_u32 s13, s25, s9
	s_add_i32 s14, s3, -1
	s_mulk_i32 s3, 0x1e00
	s_add_i32 s5, s3, s26
	s_sub_i32 s33, s4, s5
	s_addk_i32 s33, 0x1e00
	v_mov_b32_e32 v2, s4
	s_add_u32 s4, s26, s3
	s_addc_u32 s5, s27, 0
	s_cmp_eq_u32 s2, s14
	s_load_dwordx2 s[28:29], s[22:23], 0x0
	s_cselect_b64 s[22:23], -1, 0
	s_cmp_lg_u32 s2, s14
	s_mul_i32 s10, s2, 0x1e00
	s_mov_b32 s11, 0
	v_cmp_lt_u64_e32 vcc, s[4:5], v[2:3]
	s_cselect_b64 s[4:5], -1, 0
	s_or_b64 s[24:25], s[4:5], vcc
	s_lshl_b64 s[30:31], s[10:11], 2
	s_add_u32 s10, s12, s30
	s_addc_u32 s11, s13, s31
	s_mov_b64 s[4:5], -1
	s_and_b64 vcc, exec, s[24:25]
	v_lshlrev_b32_e32 v22, 2, v0
	s_cbranch_vccz .LBB610_2
; %bb.1:
	v_mov_b32_e32 v23, 0
	v_lshl_add_u64 v[2:3], s[10:11], 0, v[22:23]
	v_add_co_u32_e32 v4, vcc, 0x1000, v2
	s_mov_b64 s[4:5], 0
	s_nop 0
	v_addc_co_u32_e32 v5, vcc, 0, v3, vcc
	v_add_co_u32_e32 v6, vcc, 0x2000, v2
	s_nop 1
	v_addc_co_u32_e32 v7, vcc, 0, v3, vcc
	v_add_co_u32_e32 v8, vcc, 0x3000, v2
	s_nop 1
	v_addc_co_u32_e32 v9, vcc, 0, v3, vcc
	flat_load_dword v1, v[2:3]
	flat_load_dword v10, v[2:3] offset:2048
	flat_load_dword v11, v[4:5]
	flat_load_dword v12, v[4:5] offset:2048
	;; [unrolled: 2-line block ×4, first 2 shown]
	v_add_co_u32_e32 v4, vcc, 0x4000, v2
	s_nop 1
	v_addc_co_u32_e32 v5, vcc, 0, v3, vcc
	v_add_co_u32_e32 v6, vcc, 0x5000, v2
	s_nop 1
	v_addc_co_u32_e32 v7, vcc, 0, v3, vcc
	;; [unrolled: 3-line block ×4, first 2 shown]
	flat_load_dword v17, v[4:5]
	flat_load_dword v18, v[4:5] offset:2048
	flat_load_dword v19, v[6:7]
	flat_load_dword v20, v[6:7] offset:2048
	;; [unrolled: 2-line block ×3, first 2 shown]
	flat_load_dword v24, v[2:3]
	s_waitcnt vmcnt(0) lgkmcnt(0)
	ds_write2st64_b32 v22, v1, v10 offset1:8
	ds_write2st64_b32 v22, v11, v12 offset0:16 offset1:24
	ds_write2st64_b32 v22, v13, v14 offset0:32 offset1:40
	;; [unrolled: 1-line block ×6, first 2 shown]
	ds_write_b32 v22, v24 offset:28672
	s_waitcnt lgkmcnt(0)
	s_barrier
.LBB610_2:
	s_andn2_b64 vcc, exec, s[4:5]
	v_cmp_gt_u32_e64 s[4:5], s33, v0
	s_cbranch_vccnz .LBB610_34
; %bb.3:
                                        ; implicit-def: $vgpr2_vgpr3_vgpr4_vgpr5_vgpr6_vgpr7_vgpr8_vgpr9_vgpr10_vgpr11_vgpr12_vgpr13_vgpr14_vgpr15_vgpr16_vgpr17
	s_and_saveexec_b64 s[12:13], s[4:5]
	s_cbranch_execz .LBB610_5
; %bb.4:
	v_mov_b32_e32 v23, 0
	v_lshl_add_u64 v[2:3], s[10:11], 0, v[22:23]
	flat_load_dword v2, v[2:3]
.LBB610_5:
	s_or_b64 exec, exec, s[12:13]
	v_or_b32_e32 v1, 0x200, v0
	v_cmp_gt_u32_e32 vcc, s33, v1
	s_and_saveexec_b64 s[4:5], vcc
	s_cbranch_execz .LBB610_7
; %bb.6:
	v_mov_b32_e32 v23, 0
	v_lshl_add_u64 v[18:19], s[10:11], 0, v[22:23]
	flat_load_dword v3, v[18:19] offset:2048
.LBB610_7:
	s_or_b64 exec, exec, s[4:5]
	v_or_b32_e32 v1, 0x400, v0
	v_cmp_gt_u32_e32 vcc, s33, v1
	s_and_saveexec_b64 s[4:5], vcc
	s_cbranch_execz .LBB610_9
; %bb.8:
	v_lshlrev_b32_e32 v18, 2, v1
	v_mov_b32_e32 v19, 0
	v_lshl_add_u64 v[18:19], s[10:11], 0, v[18:19]
	flat_load_dword v4, v[18:19]
.LBB610_9:
	s_or_b64 exec, exec, s[4:5]
	v_or_b32_e32 v1, 0x600, v0
	v_cmp_gt_u32_e32 vcc, s33, v1
	s_and_saveexec_b64 s[4:5], vcc
	s_cbranch_execz .LBB610_11
; %bb.10:
	v_lshlrev_b32_e32 v18, 2, v1
	v_mov_b32_e32 v19, 0
	v_lshl_add_u64 v[18:19], s[10:11], 0, v[18:19]
	flat_load_dword v5, v[18:19]
.LBB610_11:
	;; [unrolled: 11-line block ×13, first 2 shown]
	s_or_b64 exec, exec, s[4:5]
	s_waitcnt vmcnt(0) lgkmcnt(0)
	ds_write2st64_b32 v22, v2, v3 offset1:8
	ds_write2st64_b32 v22, v4, v5 offset0:16 offset1:24
	ds_write2st64_b32 v22, v6, v7 offset0:32 offset1:40
	;; [unrolled: 1-line block ×6, first 2 shown]
	ds_write_b32 v22, v16 offset:28672
	s_waitcnt lgkmcnt(0)
	s_barrier
.LBB610_34:
	v_mul_u32_u24_e32 v21, 15, v0
	v_lshlrev_b32_e32 v1, 2, v21
	s_waitcnt lgkmcnt(0)
	ds_read2_b32 v[36:37], v1 offset1:1
	ds_read2_b32 v[34:35], v1 offset0:2 offset1:3
	ds_read2_b32 v[32:33], v1 offset0:4 offset1:5
	;; [unrolled: 1-line block ×6, first 2 shown]
	ds_read_b32 v1, v1 offset:56
	s_add_u32 s3, s6, s8
	s_addc_u32 s5, s7, s9
	s_add_u32 s4, s3, s30
	s_addc_u32 s5, s5, s31
	s_mov_b64 s[6:7], -1
	s_and_b64 vcc, exec, s[24:25]
	s_waitcnt lgkmcnt(0)
	s_barrier
	s_cbranch_vccz .LBB610_36
; %bb.35:
	v_mov_b32_e32 v23, 0
	v_lshl_add_u64 v[2:3], s[4:5], 0, v[22:23]
	v_add_co_u32_e32 v4, vcc, 0x1000, v2
	global_load_dword v8, v22, s[4:5]
	global_load_dword v9, v22, s[4:5] offset:2048
	v_addc_co_u32_e32 v5, vcc, 0, v3, vcc
	v_add_co_u32_e32 v6, vcc, 0x2000, v2
	s_mov_b64 s[6:7], 0
	s_nop 0
	v_addc_co_u32_e32 v7, vcc, 0, v3, vcc
	global_load_dword v10, v[4:5], off
	global_load_dword v11, v[4:5], off offset:2048
	global_load_dword v12, v[6:7], off
	global_load_dword v13, v[6:7], off offset:2048
	v_add_co_u32_e32 v4, vcc, 0x3000, v2
	s_nop 1
	v_addc_co_u32_e32 v5, vcc, 0, v3, vcc
	v_add_co_u32_e32 v6, vcc, 0x4000, v2
	s_nop 1
	v_addc_co_u32_e32 v7, vcc, 0, v3, vcc
	global_load_dword v14, v[4:5], off
	global_load_dword v15, v[4:5], off offset:2048
	global_load_dword v16, v[6:7], off
	global_load_dword v17, v[6:7], off offset:2048
	v_add_co_u32_e32 v4, vcc, 0x5000, v2
	s_nop 1
	v_addc_co_u32_e32 v5, vcc, 0, v3, vcc
	v_add_co_u32_e32 v6, vcc, 0x6000, v2
	s_nop 1
	v_addc_co_u32_e32 v7, vcc, 0, v3, vcc
	v_add_co_u32_e32 v2, vcc, 0x7000, v2
	global_load_dword v18, v[4:5], off
	global_load_dword v19, v[4:5], off offset:2048
	global_load_dword v20, v[6:7], off
	global_load_dword v23, v[6:7], off offset:2048
	v_addc_co_u32_e32 v3, vcc, 0, v3, vcc
	global_load_dword v2, v[2:3], off
	s_waitcnt vmcnt(14)
	v_cmp_ne_u32_e32 vcc, 0, v8
	s_nop 1
	v_cndmask_b32_e64 v3, 0, 1, vcc
	s_waitcnt vmcnt(13)
	v_cmp_ne_u32_e32 vcc, 0, v9
	s_nop 1
	v_cndmask_b32_e64 v4, 0, 1, vcc
	s_waitcnt vmcnt(12)
	v_cmp_ne_u32_e32 vcc, 0, v10
	ds_write_b8 v0, v3
	ds_write_b8 v0, v4 offset:512
	v_cndmask_b32_e64 v3, 0, 1, vcc
	s_waitcnt vmcnt(11)
	v_cmp_ne_u32_e32 vcc, 0, v11
	s_nop 1
	v_cndmask_b32_e64 v4, 0, 1, vcc
	s_waitcnt vmcnt(10)
	v_cmp_ne_u32_e32 vcc, 0, v12
	ds_write_b8 v0, v3 offset:1024
	ds_write_b8 v0, v4 offset:1536
	v_cndmask_b32_e64 v5, 0, 1, vcc
	s_waitcnt vmcnt(9)
	v_cmp_ne_u32_e32 vcc, 0, v13
	s_nop 1
	v_cndmask_b32_e64 v6, 0, 1, vcc
	s_waitcnt vmcnt(8)
	v_cmp_ne_u32_e32 vcc, 0, v14
	ds_write_b8 v0, v5 offset:2048
	;; [unrolled: 9-line block ×3, first 2 shown]
	ds_write_b8 v0, v4 offset:3584
	v_cndmask_b32_e64 v5, 0, 1, vcc
	s_waitcnt vmcnt(5)
	v_cmp_ne_u32_e32 vcc, 0, v17
	ds_write_b8 v0, v5 offset:4096
	s_nop 0
	v_cndmask_b32_e64 v6, 0, 1, vcc
	s_waitcnt vmcnt(4)
	v_cmp_ne_u32_e32 vcc, 0, v18
	s_nop 1
	v_cndmask_b32_e64 v3, 0, 1, vcc
	s_waitcnt vmcnt(3)
	v_cmp_ne_u32_e32 vcc, 0, v19
	s_nop 1
	v_cndmask_b32_e64 v4, 0, 1, vcc
	s_waitcnt vmcnt(2)
	v_cmp_ne_u32_e32 vcc, 0, v20
	s_nop 1
	v_cndmask_b32_e64 v5, 0, 1, vcc
	s_waitcnt vmcnt(1)
	v_cmp_ne_u32_e32 vcc, 0, v23
	s_nop 1
	v_cndmask_b32_e64 v7, 0, 1, vcc
	s_waitcnt vmcnt(0)
	v_cmp_ne_u32_e32 vcc, 0, v2
	s_nop 1
	v_cndmask_b32_e64 v2, 0, 1, vcc
	ds_write_b8 v0, v6 offset:4608
	ds_write_b8 v0, v3 offset:5120
	;; [unrolled: 1-line block ×6, first 2 shown]
	s_waitcnt lgkmcnt(0)
	s_barrier
.LBB610_36:
	s_load_dwordx2 s[34:35], s[0:1], 0x70
	s_andn2_b64 vcc, exec, s[6:7]
	s_cbranch_vccnz .LBB610_68
; %bb.37:
	v_cmp_gt_u32_e32 vcc, s33, v0
	v_mov_b32_e32 v2, 0
	v_mov_b32_e32 v3, 0
	s_and_saveexec_b64 s[6:7], vcc
	s_cbranch_execz .LBB610_39
; %bb.38:
	global_load_dword v3, v22, s[4:5]
	s_waitcnt vmcnt(0)
	v_cmp_ne_u32_e32 vcc, 0, v3
	s_nop 1
	v_cndmask_b32_e64 v3, 0, 1, vcc
.LBB610_39:
	s_or_b64 exec, exec, s[6:7]
	v_or_b32_e32 v4, 0x200, v0
	v_cmp_gt_u32_e32 vcc, s33, v4
	s_and_saveexec_b64 s[6:7], vcc
	s_cbranch_execz .LBB610_41
; %bb.40:
	global_load_dword v2, v22, s[4:5] offset:2048
	s_waitcnt vmcnt(0)
	v_cmp_ne_u32_e32 vcc, 0, v2
	s_nop 1
	v_cndmask_b32_e64 v2, 0, 1, vcc
.LBB610_41:
	s_or_b64 exec, exec, s[6:7]
	v_or_b32_e32 v6, 0x400, v0
	v_cmp_gt_u32_e32 vcc, s33, v6
	v_mov_b32_e32 v4, 0
	v_mov_b32_e32 v5, 0
	s_and_saveexec_b64 s[6:7], vcc
	s_cbranch_execz .LBB610_43
; %bb.42:
	v_lshlrev_b32_e32 v5, 2, v6
	global_load_dword v5, v5, s[4:5]
	s_waitcnt vmcnt(0)
	v_cmp_ne_u32_e32 vcc, 0, v5
	s_nop 1
	v_cndmask_b32_e64 v5, 0, 1, vcc
.LBB610_43:
	s_or_b64 exec, exec, s[6:7]
	v_or_b32_e32 v6, 0x600, v0
	v_cmp_gt_u32_e32 vcc, s33, v6
	s_and_saveexec_b64 s[6:7], vcc
	s_cbranch_execz .LBB610_45
; %bb.44:
	v_lshlrev_b32_e32 v4, 2, v6
	global_load_dword v4, v4, s[4:5]
	s_waitcnt vmcnt(0)
	v_cmp_ne_u32_e32 vcc, 0, v4
	s_nop 1
	v_cndmask_b32_e64 v4, 0, 1, vcc
.LBB610_45:
	s_or_b64 exec, exec, s[6:7]
	v_or_b32_e32 v8, 0x800, v0
	v_cmp_gt_u32_e32 vcc, s33, v8
	v_mov_b32_e32 v6, 0
	v_mov_b32_e32 v7, 0
	s_and_saveexec_b64 s[6:7], vcc
	s_cbranch_execz .LBB610_47
; %bb.46:
	v_lshlrev_b32_e32 v7, 2, v8
	global_load_dword v7, v7, s[4:5]
	s_waitcnt vmcnt(0)
	v_cmp_ne_u32_e32 vcc, 0, v7
	s_nop 1
	v_cndmask_b32_e64 v7, 0, 1, vcc
.LBB610_47:
	s_or_b64 exec, exec, s[6:7]
	v_or_b32_e32 v8, 0xa00, v0
	v_cmp_gt_u32_e32 vcc, s33, v8
	s_and_saveexec_b64 s[6:7], vcc
	s_cbranch_execz .LBB610_49
; %bb.48:
	v_lshlrev_b32_e32 v6, 2, v8
	global_load_dword v6, v6, s[4:5]
	s_waitcnt vmcnt(0)
	v_cmp_ne_u32_e32 vcc, 0, v6
	s_nop 1
	v_cndmask_b32_e64 v6, 0, 1, vcc
.LBB610_49:
	;; [unrolled: 28-line block ×6, first 2 shown]
	s_or_b64 exec, exec, s[6:7]
	v_or_b32_e32 v17, 0x1c00, v0
	v_cmp_gt_u32_e32 vcc, s33, v17
	v_mov_b32_e32 v16, 0
	s_and_saveexec_b64 s[6:7], vcc
	s_cbranch_execz .LBB610_67
; %bb.66:
	v_lshlrev_b32_e32 v16, 2, v17
	global_load_dword v16, v16, s[4:5]
	s_waitcnt vmcnt(0)
	v_cmp_ne_u32_e32 vcc, 0, v16
	s_nop 1
	v_cndmask_b32_e64 v16, 0, 1, vcc
.LBB610_67:
	s_or_b64 exec, exec, s[6:7]
	ds_write_b8 v0, v3
	ds_write_b8 v0, v2 offset:512
	ds_write_b8 v0, v5 offset:1024
	ds_write_b8 v0, v4 offset:1536
	ds_write_b8 v0, v7 offset:2048
	ds_write_b8 v0, v6 offset:2560
	ds_write_b8 v0, v9 offset:3072
	ds_write_b8 v0, v8 offset:3584
	ds_write_b8 v0, v11 offset:4096
	ds_write_b8 v0, v10 offset:4608
	ds_write_b8 v0, v13 offset:5120
	ds_write_b8 v0, v12 offset:5632
	ds_write_b8 v0, v15 offset:6144
	ds_write_b8 v0, v14 offset:6656
	ds_write_b8 v0, v16 offset:7168
	s_waitcnt lgkmcnt(0)
	s_barrier
.LBB610_68:
	s_waitcnt lgkmcnt(0)
	ds_read_b96 v[18:20], v21
	ds_read_u8 v2, v21 offset:12
	ds_read_u8 v3, v21 offset:13
	;; [unrolled: 1-line block ×3, first 2 shown]
	s_cmp_lg_u32 s2, 0
	v_lshrrev_b32_e32 v56, 6, v0
	s_waitcnt lgkmcnt(2)
	v_and_b32_e32 v43, 1, v2
	v_and_b32_e32 v52, 0xff, v18
	v_bfe_u32 v53, v18, 8, 8
	v_bfe_u32 v54, v18, 16, 8
	v_lshrrev_b32_e32 v45, 24, v18
	v_and_b32_e32 v49, 0xff, v19
	v_add3_u32 v2, v53, v52, v54
	v_bfe_u32 v50, v19, 8, 8
	v_bfe_u32 v51, v19, 16, 8
	v_add3_u32 v2, v2, v45, v49
	v_lshrrev_b32_e32 v44, 24, v19
	v_and_b32_e32 v46, 0xff, v20
	v_add3_u32 v2, v2, v50, v51
	v_bfe_u32 v47, v20, 8, 8
	v_bfe_u32 v48, v20, 16, 8
	v_add3_u32 v2, v2, v44, v46
	v_lshrrev_b32_e32 v42, 24, v20
	v_add3_u32 v2, v2, v47, v48
	s_waitcnt lgkmcnt(1)
	v_and_b32_e32 v41, 1, v3
	s_waitcnt lgkmcnt(0)
	v_and_b32_e32 v23, 1, v4
	v_add3_u32 v2, v2, v42, v43
	v_add3_u32 v57, v2, v41, v23
	v_mbcnt_lo_u32_b32 v2, -1, 0
	v_mbcnt_hi_u32_b32 v55, -1, v2
	v_and_b32_e32 v2, 15, v55
	v_cmp_eq_u32_e64 s[14:15], 0, v2
	v_cmp_lt_u32_e64 s[12:13], 1, v2
	v_cmp_lt_u32_e64 s[10:11], 3, v2
	;; [unrolled: 1-line block ×3, first 2 shown]
	v_and_b32_e32 v2, 16, v55
	v_cmp_eq_u32_e64 s[6:7], 0, v2
	v_or_b32_e32 v2, 63, v0
	v_cmp_lt_u32_e64 s[18:19], 31, v55
	v_cmp_eq_u32_e64 s[4:5], v2, v0
	s_barrier
	s_cbranch_scc0 .LBB610_95
; %bb.69:
	v_mov_b32_dpp v2, v57 row_shr:1 row_mask:0xf bank_mask:0xf
	v_cndmask_b32_e64 v2, v2, 0, s[14:15]
	v_add_u32_e32 v2, v2, v57
	s_nop 1
	v_mov_b32_dpp v3, v2 row_shr:2 row_mask:0xf bank_mask:0xf
	v_cndmask_b32_e64 v3, 0, v3, s[12:13]
	v_add_u32_e32 v2, v2, v3
	s_nop 1
	;; [unrolled: 4-line block ×4, first 2 shown]
	v_mov_b32_dpp v3, v2 row_bcast:15 row_mask:0xf bank_mask:0xf
	v_cndmask_b32_e64 v3, v3, 0, s[6:7]
	v_add_u32_e32 v2, v2, v3
	s_nop 1
	v_mov_b32_dpp v3, v2 row_bcast:31 row_mask:0xf bank_mask:0xf
	v_cndmask_b32_e64 v3, 0, v3, s[18:19]
	v_add_u32_e32 v2, v2, v3
	s_and_saveexec_b64 s[16:17], s[4:5]
	s_cbranch_execz .LBB610_71
; %bb.70:
	v_lshlrev_b32_e32 v3, 2, v56
	ds_write_b32 v3, v2
.LBB610_71:
	s_or_b64 exec, exec, s[16:17]
	v_cmp_gt_u32_e32 vcc, 8, v0
	s_waitcnt lgkmcnt(0)
	s_barrier
	s_and_saveexec_b64 s[16:17], vcc
	s_cbranch_execz .LBB610_73
; %bb.72:
	ds_read_b32 v3, v22
	v_and_b32_e32 v4, 7, v55
	v_cmp_ne_u32_e32 vcc, 0, v4
	s_waitcnt lgkmcnt(0)
	v_mov_b32_dpp v5, v3 row_shr:1 row_mask:0xf bank_mask:0xf
	v_cndmask_b32_e32 v5, 0, v5, vcc
	v_add_u32_e32 v3, v5, v3
	v_cmp_lt_u32_e32 vcc, 1, v4
	s_nop 0
	v_mov_b32_dpp v5, v3 row_shr:2 row_mask:0xf bank_mask:0xf
	v_cndmask_b32_e32 v5, 0, v5, vcc
	v_add_u32_e32 v3, v3, v5
	v_cmp_lt_u32_e32 vcc, 3, v4
	s_nop 0
	v_mov_b32_dpp v5, v3 row_shr:4 row_mask:0xf bank_mask:0xf
	v_cndmask_b32_e32 v4, 0, v5, vcc
	v_add_u32_e32 v3, v3, v4
	ds_write_b32 v22, v3
.LBB610_73:
	s_or_b64 exec, exec, s[16:17]
	v_cmp_gt_u32_e32 vcc, 64, v0
	v_cmp_lt_u32_e64 s[16:17], 63, v0
	s_waitcnt lgkmcnt(0)
	s_barrier
	s_waitcnt lgkmcnt(0)
                                        ; implicit-def: $vgpr12
	s_and_saveexec_b64 s[36:37], s[16:17]
	s_cbranch_execz .LBB610_75
; %bb.74:
	v_lshl_add_u32 v3, v56, 2, -4
	ds_read_b32 v12, v3
	s_waitcnt lgkmcnt(0)
	v_add_u32_e32 v2, v12, v2
.LBB610_75:
	s_or_b64 exec, exec, s[36:37]
	v_add_u32_e32 v3, -1, v55
	v_and_b32_e32 v4, 64, v55
	v_cmp_lt_i32_e64 s[16:17], v3, v4
	s_nop 1
	v_cndmask_b32_e64 v3, v3, v55, s[16:17]
	v_lshlrev_b32_e32 v3, 2, v3
	ds_bpermute_b32 v13, v3, v2
	v_cmp_eq_u32_e64 s[16:17], 0, v55
	s_and_saveexec_b64 s[36:37], vcc
	s_cbranch_execz .LBB610_94
; %bb.76:
	v_mov_b32_e32 v9, 0
	ds_read_b32 v2, v9 offset:28
	s_and_saveexec_b64 s[38:39], s[16:17]
	s_cbranch_execz .LBB610_78
; %bb.77:
	s_add_i32 s40, s2, 64
	s_mov_b32 s41, 0
	s_lshl_b64 s[40:41], s[40:41], 3
	s_add_u32 s40, s34, s40
	v_mov_b32_e32 v3, 1
	s_addc_u32 s41, s35, s41
	s_waitcnt lgkmcnt(0)
	global_store_dwordx2 v9, v[2:3], s[40:41] sc1
.LBB610_78:
	s_or_b64 exec, exec, s[38:39]
	v_xad_u32 v4, v55, -1, s2
	v_add_u32_e32 v8, 64, v4
	v_lshl_add_u64 v[10:11], v[8:9], 3, s[34:35]
	global_load_dwordx2 v[6:7], v[10:11], off sc1
	s_waitcnt vmcnt(0)
	v_cmp_eq_u16_sdwa s[40:41], v7, v9 src0_sel:BYTE_0 src1_sel:DWORD
	s_and_saveexec_b64 s[38:39], s[40:41]
	s_cbranch_execz .LBB610_82
; %bb.79:
	s_mov_b64 s[40:41], 0
	v_mov_b32_e32 v3, 0
.LBB610_80:                             ; =>This Inner Loop Header: Depth=1
	global_load_dwordx2 v[6:7], v[10:11], off sc1
	s_waitcnt vmcnt(0)
	v_cmp_ne_u16_sdwa s[42:43], v7, v3 src0_sel:BYTE_0 src1_sel:DWORD
	s_or_b64 s[40:41], s[42:43], s[40:41]
	s_andn2_b64 exec, exec, s[40:41]
	s_cbranch_execnz .LBB610_80
; %bb.81:
	s_or_b64 exec, exec, s[40:41]
.LBB610_82:
	s_or_b64 exec, exec, s[38:39]
	v_and_b32_e32 v15, 63, v55
	v_mov_b32_e32 v14, 2
	v_cmp_ne_u32_e32 vcc, 63, v15
	v_cmp_eq_u16_sdwa s[38:39], v7, v14 src0_sel:BYTE_0 src1_sel:DWORD
	v_lshlrev_b64 v[8:9], v55, -1
	v_addc_co_u32_e32 v10, vcc, 0, v55, vcc
	v_and_b32_e32 v3, s39, v9
	v_lshlrev_b32_e32 v16, 2, v10
	v_or_b32_e32 v3, 0x80000000, v3
	ds_bpermute_b32 v10, v16, v6
	v_and_b32_e32 v5, s38, v8
	v_ffbl_b32_e32 v3, v3
	v_add_u32_e32 v3, 32, v3
	v_ffbl_b32_e32 v5, v5
	v_min_u32_e32 v3, v5, v3
	v_cmp_lt_u32_e32 vcc, v15, v3
	v_add_u32_e32 v38, 2, v15
	v_add_u32_e32 v40, 4, v15
	s_waitcnt lgkmcnt(0)
	v_cndmask_b32_e32 v5, 0, v10, vcc
	v_cmp_gt_u32_e32 vcc, 62, v15
	v_add_u32_e32 v5, v5, v6
	v_add_u32_e32 v59, 8, v15
	v_cndmask_b32_e64 v6, 0, 1, vcc
	v_lshlrev_b32_e32 v6, 1, v6
	v_add_lshl_u32 v17, v6, v55, 2
	ds_bpermute_b32 v6, v17, v5
	v_cmp_le_u32_e32 vcc, v38, v3
	v_add_u32_e32 v61, 16, v15
	v_add_u32_e32 v63, 32, v15
	s_waitcnt lgkmcnt(0)
	v_cndmask_b32_e32 v6, 0, v6, vcc
	v_cmp_gt_u32_e32 vcc, 60, v15
	v_add_u32_e32 v5, v5, v6
	s_nop 0
	v_cndmask_b32_e64 v6, 0, 1, vcc
	v_lshlrev_b32_e32 v6, 2, v6
	v_add_lshl_u32 v39, v6, v55, 2
	ds_bpermute_b32 v6, v39, v5
	v_cmp_le_u32_e32 vcc, v40, v3
	s_waitcnt lgkmcnt(0)
	s_nop 0
	v_cndmask_b32_e32 v6, 0, v6, vcc
	v_cmp_gt_u32_e32 vcc, 56, v15
	v_add_u32_e32 v5, v5, v6
	s_nop 0
	v_cndmask_b32_e64 v6, 0, 1, vcc
	v_lshlrev_b32_e32 v6, 3, v6
	v_add_lshl_u32 v58, v6, v55, 2
	ds_bpermute_b32 v6, v58, v5
	v_cmp_le_u32_e32 vcc, v59, v3
	s_waitcnt lgkmcnt(0)
	s_nop 0
	;; [unrolled: 11-line block ×4, first 2 shown]
	v_cndmask_b32_e32 v3, 0, v6, vcc
	v_add_u32_e32 v6, v5, v3
	v_mov_b32_e32 v5, 0
	s_branch .LBB610_84
.LBB610_83:                             ;   in Loop: Header=BB610_84 Depth=1
	s_or_b64 exec, exec, s[38:39]
	v_cmp_eq_u16_sdwa s[38:39], v7, v14 src0_sel:BYTE_0 src1_sel:DWORD
	ds_bpermute_b32 v64, v16, v6
	v_subrev_u32_e32 v4, 64, v4
	v_and_b32_e32 v10, s39, v9
	v_or_b32_e32 v10, 0x80000000, v10
	v_and_b32_e32 v11, s38, v8
	v_ffbl_b32_e32 v10, v10
	v_add_u32_e32 v10, 32, v10
	v_ffbl_b32_e32 v11, v11
	v_min_u32_e32 v10, v11, v10
	v_cmp_lt_u32_e32 vcc, v15, v10
	s_waitcnt lgkmcnt(0)
	s_nop 0
	v_cndmask_b32_e32 v11, 0, v64, vcc
	v_add_u32_e32 v6, v11, v6
	ds_bpermute_b32 v11, v17, v6
	v_cmp_le_u32_e32 vcc, v38, v10
	s_waitcnt lgkmcnt(0)
	s_nop 0
	v_cndmask_b32_e32 v11, 0, v11, vcc
	v_add_u32_e32 v6, v6, v11
	ds_bpermute_b32 v11, v39, v6
	v_cmp_le_u32_e32 vcc, v40, v10
	;; [unrolled: 6-line block ×5, first 2 shown]
	s_waitcnt lgkmcnt(0)
	s_nop 0
	v_cndmask_b32_e32 v10, 0, v11, vcc
	v_add3_u32 v6, v10, v3, v6
.LBB610_84:                             ; =>This Loop Header: Depth=1
                                        ;     Child Loop BB610_87 Depth 2
	v_cmp_ne_u16_sdwa s[38:39], v7, v14 src0_sel:BYTE_0 src1_sel:DWORD
	s_nop 1
	v_cndmask_b32_e64 v3, 0, 1, s[38:39]
	;;#ASMSTART
	;;#ASMEND
	s_nop 0
	v_cmp_ne_u32_e32 vcc, 0, v3
	s_cmp_lg_u64 vcc, exec
	v_mov_b32_e32 v3, v6
	s_cbranch_scc1 .LBB610_89
; %bb.85:                               ;   in Loop: Header=BB610_84 Depth=1
	v_lshl_add_u64 v[10:11], v[4:5], 3, s[34:35]
	global_load_dwordx2 v[6:7], v[10:11], off sc1
	s_waitcnt vmcnt(0)
	v_cmp_eq_u16_sdwa s[40:41], v7, v5 src0_sel:BYTE_0 src1_sel:DWORD
	s_and_saveexec_b64 s[38:39], s[40:41]
	s_cbranch_execz .LBB610_83
; %bb.86:                               ;   in Loop: Header=BB610_84 Depth=1
	s_mov_b64 s[40:41], 0
.LBB610_87:                             ;   Parent Loop BB610_84 Depth=1
                                        ; =>  This Inner Loop Header: Depth=2
	global_load_dwordx2 v[6:7], v[10:11], off sc1
	s_waitcnt vmcnt(0)
	v_cmp_ne_u16_sdwa s[42:43], v7, v5 src0_sel:BYTE_0 src1_sel:DWORD
	s_or_b64 s[40:41], s[42:43], s[40:41]
	s_andn2_b64 exec, exec, s[40:41]
	s_cbranch_execnz .LBB610_87
; %bb.88:                               ;   in Loop: Header=BB610_84 Depth=1
	s_or_b64 exec, exec, s[40:41]
	s_branch .LBB610_83
.LBB610_89:                             ;   in Loop: Header=BB610_84 Depth=1
                                        ; implicit-def: $vgpr6
                                        ; implicit-def: $vgpr7
	s_cbranch_execz .LBB610_84
; %bb.90:
	s_and_saveexec_b64 s[38:39], s[16:17]
	s_cbranch_execz .LBB610_92
; %bb.91:
	s_add_i32 s2, s2, 64
	s_mov_b32 s3, 0
	s_lshl_b64 s[2:3], s[2:3], 3
	s_add_u32 s2, s34, s2
	v_add_u32_e32 v4, v3, v2
	v_mov_b32_e32 v5, 2
	s_addc_u32 s3, s35, s3
	v_mov_b32_e32 v6, 0
	global_store_dwordx2 v6, v[4:5], s[2:3] sc1
	ds_write_b64 v6, v[2:3] offset:30720
.LBB610_92:
	s_or_b64 exec, exec, s[38:39]
	v_cmp_eq_u32_e32 vcc, 0, v0
	s_and_b64 exec, exec, vcc
	s_cbranch_execz .LBB610_94
; %bb.93:
	v_mov_b32_e32 v2, 0
	ds_write_b32 v2, v3 offset:28
.LBB610_94:
	s_or_b64 exec, exec, s[36:37]
	v_mov_b32_e32 v14, 0
	s_waitcnt lgkmcnt(0)
	s_barrier
	ds_read_b32 v2, v14 offset:28
	v_cndmask_b32_e64 v3, v13, v12, s[16:17]
	v_cmp_ne_u32_e32 vcc, 0, v0
	s_waitcnt lgkmcnt(0)
	s_barrier
	v_cndmask_b32_e32 v3, 0, v3, vcc
	v_add_u32_e32 v2, v2, v3
	v_add_u32_e32 v3, v2, v52
	;; [unrolled: 1-line block ×10, first 2 shown]
	ds_read_b64 v[38:39], v14 offset:30720
	v_add_u32_e32 v12, v11, v47
	v_add_u32_e32 v13, v12, v48
	;; [unrolled: 1-line block ×5, first 2 shown]
	s_waitcnt lgkmcnt(0)
	v_mov_b32_e32 v40, v39
	s_branch .LBB610_105
.LBB610_95:
                                        ; implicit-def: $vgpr40
                                        ; implicit-def: $vgpr38
                                        ; implicit-def: $vgpr2_vgpr3_vgpr4_vgpr5_vgpr6_vgpr7_vgpr8_vgpr9_vgpr10_vgpr11_vgpr12_vgpr13_vgpr14_vgpr15_vgpr16_vgpr17
	s_cbranch_execz .LBB610_105
; %bb.96:
	s_nop 0
	v_mov_b32_dpp v2, v57 row_shr:1 row_mask:0xf bank_mask:0xf
	v_cndmask_b32_e64 v2, v2, 0, s[14:15]
	v_add_u32_e32 v2, v2, v57
	s_nop 1
	v_mov_b32_dpp v3, v2 row_shr:2 row_mask:0xf bank_mask:0xf
	v_cndmask_b32_e64 v3, 0, v3, s[12:13]
	v_add_u32_e32 v2, v2, v3
	;; [unrolled: 4-line block ×4, first 2 shown]
	s_nop 1
	v_mov_b32_dpp v3, v2 row_bcast:15 row_mask:0xf bank_mask:0xf
	v_cndmask_b32_e64 v3, v3, 0, s[6:7]
	v_add_u32_e32 v2, v2, v3
	s_nop 1
	v_mov_b32_dpp v3, v2 row_bcast:31 row_mask:0xf bank_mask:0xf
	v_cndmask_b32_e64 v3, 0, v3, s[18:19]
	v_add_u32_e32 v2, v2, v3
	s_and_saveexec_b64 s[2:3], s[4:5]
	s_cbranch_execz .LBB610_98
; %bb.97:
	v_lshlrev_b32_e32 v3, 2, v56
	ds_write_b32 v3, v2
.LBB610_98:
	s_or_b64 exec, exec, s[2:3]
	v_cmp_gt_u32_e32 vcc, 8, v0
	s_waitcnt lgkmcnt(0)
	s_barrier
	s_and_saveexec_b64 s[2:3], vcc
	s_cbranch_execz .LBB610_100
; %bb.99:
	v_mad_i32_i24 v3, v0, -11, v21
	ds_read_b32 v4, v3
	v_and_b32_e32 v5, 7, v55
	v_cmp_ne_u32_e32 vcc, 0, v5
	s_waitcnt lgkmcnt(0)
	v_mov_b32_dpp v6, v4 row_shr:1 row_mask:0xf bank_mask:0xf
	v_cndmask_b32_e32 v6, 0, v6, vcc
	v_add_u32_e32 v4, v6, v4
	v_cmp_lt_u32_e32 vcc, 1, v5
	s_nop 0
	v_mov_b32_dpp v6, v4 row_shr:2 row_mask:0xf bank_mask:0xf
	v_cndmask_b32_e32 v6, 0, v6, vcc
	v_add_u32_e32 v4, v4, v6
	v_cmp_lt_u32_e32 vcc, 3, v5
	s_nop 0
	v_mov_b32_dpp v6, v4 row_shr:4 row_mask:0xf bank_mask:0xf
	v_cndmask_b32_e32 v5, 0, v6, vcc
	v_add_u32_e32 v4, v4, v5
	ds_write_b32 v3, v4
.LBB610_100:
	s_or_b64 exec, exec, s[2:3]
	v_cmp_lt_u32_e32 vcc, 63, v0
	v_mov_b32_e32 v4, 0
	v_mov_b32_e32 v3, 0
	s_waitcnt lgkmcnt(0)
	s_barrier
	s_and_saveexec_b64 s[2:3], vcc
	s_cbranch_execz .LBB610_102
; %bb.101:
	v_lshl_add_u32 v3, v56, 2, -4
	ds_read_b32 v3, v3
.LBB610_102:
	s_or_b64 exec, exec, s[2:3]
	v_add_u32_e32 v5, -1, v55
	v_and_b32_e32 v6, 64, v55
	v_cmp_lt_i32_e32 vcc, v5, v6
	s_waitcnt lgkmcnt(0)
	v_add_u32_e32 v2, v3, v2
	ds_read_b32 v38, v4 offset:28
	v_cndmask_b32_e32 v5, v5, v55, vcc
	v_lshlrev_b32_e32 v5, 2, v5
	ds_bpermute_b32 v2, v5, v2
	v_cmp_eq_u32_e32 vcc, 0, v0
	s_and_saveexec_b64 s[2:3], vcc
	s_cbranch_execz .LBB610_104
; %bb.103:
	v_mov_b32_e32 v4, 0
	v_mov_b32_e32 v39, 2
	s_waitcnt lgkmcnt(1)
	global_store_dwordx2 v4, v[38:39], s[34:35] offset:512 sc1
.LBB610_104:
	s_or_b64 exec, exec, s[2:3]
	v_cmp_eq_u32_e64 s[2:3], 0, v55
	v_mov_b32_e32 v40, 0
	s_waitcnt lgkmcnt(0)
	v_cndmask_b32_e64 v2, v2, v3, s[2:3]
	v_cndmask_b32_e64 v2, v2, 0, vcc
	v_add_u32_e32 v3, v2, v52
	v_add_u32_e32 v4, v3, v53
	;; [unrolled: 1-line block ×14, first 2 shown]
	s_barrier
.LBB610_105:
	v_add_u32_e32 v21, v38, v21
	v_sub_u32_e32 v2, v2, v40
	v_and_b32_e32 v48, 1, v18
	v_sub_u32_e32 v47, v21, v2
	v_cmp_eq_u32_e32 vcc, 1, v48
	v_lshrrev_b32_e32 v46, 8, v18
	v_lshrrev_b32_e32 v39, 8, v19
	v_cndmask_b32_e32 v2, v47, v2, vcc
	v_lshlrev_b32_e32 v2, 2, v2
	ds_write_b32 v2, v36
	v_sub_u32_e32 v2, v3, v40
	v_sub_u32_e32 v3, v21, v2
	v_and_b32_e32 v36, 1, v46
	v_add_u32_e32 v3, 1, v3
	v_cmp_eq_u32_e32 vcc, 1, v36
	v_lshrrev_b32_e32 v17, 8, v20
	s_load_dwordx4 s[0:3], s[0:1], 0x30
	v_cndmask_b32_e32 v2, v3, v2, vcc
	v_lshlrev_b32_e32 v2, 2, v2
	ds_write_b32 v2, v37
	v_sub_u32_e32 v2, v4, v40
	v_mov_b32_e32 v4, 1
	v_sub_u32_e32 v3, v21, v2
	v_and_b32_sdwa v18, v4, v18 dst_sel:DWORD dst_unused:UNUSED_PAD src0_sel:DWORD src1_sel:WORD_1
	v_add_u32_e32 v3, 2, v3
	v_cmp_eq_u32_e32 vcc, 1, v18
	v_or_b32_e32 v37, 0x200, v0
	v_or_b32_e32 v36, 0x400, v0
	v_cndmask_b32_e32 v2, v3, v2, vcc
	v_lshlrev_b32_e32 v2, 2, v2
	ds_write_b32 v2, v34
	v_sub_u32_e32 v2, v5, v40
	v_sub_u32_e32 v3, v21, v2
	v_and_b32_e32 v5, 1, v45
	v_add_u32_e32 v3, 3, v3
	v_cmp_eq_u32_e32 vcc, 1, v5
	v_and_b32_e32 v5, 1, v19
	v_or_b32_e32 v34, 0x800, v0
	v_cndmask_b32_e32 v2, v3, v2, vcc
	v_lshlrev_b32_e32 v2, 2, v2
	ds_write_b32 v2, v35
	v_sub_u32_e32 v2, v6, v40
	v_sub_u32_e32 v3, v21, v2
	v_add_u32_e32 v3, 4, v3
	v_cmp_eq_u32_e32 vcc, 1, v5
	v_and_b32_e32 v5, 1, v39
	v_or_b32_e32 v35, 0x600, v0
	v_cndmask_b32_e32 v2, v3, v2, vcc
	v_lshlrev_b32_e32 v2, 2, v2
	ds_write_b32 v2, v32
	v_sub_u32_e32 v2, v7, v40
	v_sub_u32_e32 v3, v21, v2
	v_add_u32_e32 v3, 5, v3
	v_cmp_eq_u32_e32 vcc, 1, v5
	v_and_b32_sdwa v5, v4, v19 dst_sel:DWORD dst_unused:UNUSED_PAD src0_sel:DWORD src1_sel:WORD_1
	v_and_b32_sdwa v4, v4, v20 dst_sel:DWORD dst_unused:UNUSED_PAD src0_sel:DWORD src1_sel:WORD_1
	v_cndmask_b32_e32 v2, v3, v2, vcc
	v_lshlrev_b32_e32 v2, 2, v2
	ds_write_b32 v2, v33
	v_sub_u32_e32 v2, v8, v40
	v_sub_u32_e32 v3, v21, v2
	v_add_u32_e32 v3, 6, v3
	v_cmp_eq_u32_e32 vcc, 1, v5
	v_and_b32_e32 v5, 1, v44
	v_mov_b32_e32 v7, s27
	v_cndmask_b32_e32 v2, v3, v2, vcc
	v_lshlrev_b32_e32 v2, 2, v2
	ds_write_b32 v2, v30
	v_sub_u32_e32 v2, v9, v40
	v_sub_u32_e32 v3, v21, v2
	v_add_u32_e32 v3, 7, v3
	v_cmp_eq_u32_e32 vcc, 1, v5
	v_and_b32_e32 v5, 1, v20
	v_or_b32_e32 v33, 0xa00, v0
	v_cndmask_b32_e32 v2, v3, v2, vcc
	v_lshlrev_b32_e32 v2, 2, v2
	ds_write_b32 v2, v31
	v_sub_u32_e32 v2, v10, v40
	v_sub_u32_e32 v3, v21, v2
	v_add_u32_e32 v3, 8, v3
	v_cmp_eq_u32_e32 vcc, 1, v5
	v_and_b32_e32 v5, 1, v17
	v_or_b32_e32 v32, 0xc00, v0
	v_cndmask_b32_e32 v2, v3, v2, vcc
	v_lshlrev_b32_e32 v2, 2, v2
	ds_write_b32 v2, v28
	v_sub_u32_e32 v2, v11, v40
	v_sub_u32_e32 v3, v21, v2
	v_add_u32_e32 v3, 9, v3
	v_cmp_eq_u32_e32 vcc, 1, v5
	v_or_b32_e32 v31, 0xe00, v0
	v_or_b32_e32 v30, 0x1000, v0
	v_cndmask_b32_e32 v2, v3, v2, vcc
	v_lshlrev_b32_e32 v2, 2, v2
	ds_write_b32 v2, v29
	v_sub_u32_e32 v2, v12, v40
	v_sub_u32_e32 v3, v21, v2
	v_add_u32_e32 v3, 10, v3
	v_cmp_eq_u32_e32 vcc, 1, v4
	v_and_b32_e32 v4, 1, v42
	v_or_b32_e32 v29, 0x1200, v0
	v_cndmask_b32_e32 v2, v3, v2, vcc
	v_lshlrev_b32_e32 v2, 2, v2
	ds_write_b32 v2, v26
	v_sub_u32_e32 v2, v13, v40
	v_sub_u32_e32 v3, v21, v2
	v_add_u32_e32 v3, 11, v3
	v_cmp_eq_u32_e32 vcc, 1, v4
	v_or_b32_e32 v28, 0x1400, v0
	v_or_b32_e32 v26, 0x1800, v0
	v_cndmask_b32_e32 v2, v3, v2, vcc
	v_lshlrev_b32_e32 v2, 2, v2
	ds_write_b32 v2, v27
	v_sub_u32_e32 v2, v14, v40
	v_sub_u32_e32 v3, v21, v2
	v_add_u32_e32 v3, 12, v3
	v_cmp_eq_u32_e32 vcc, 1, v43
	v_or_b32_e32 v27, 0x1600, v0
	s_nop 0
	v_cndmask_b32_e32 v2, v3, v2, vcc
	v_lshlrev_b32_e32 v2, 2, v2
	ds_write_b32 v2, v24
	v_sub_u32_e32 v2, v15, v40
	v_sub_u32_e32 v3, v21, v2
	v_add_u32_e32 v3, 13, v3
	v_cmp_eq_u32_e32 vcc, 1, v41
	v_mov_b32_e32 v41, 0
	v_lshl_add_u64 v[8:9], s[28:29], 0, v[40:41]
	v_cndmask_b32_e32 v2, v3, v2, vcc
	v_lshlrev_b32_e32 v2, 2, v2
	ds_write_b32 v2, v25
	v_sub_u32_e32 v2, v16, v40
	v_sub_u32_e32 v3, v21, v2
	v_add_u32_e32 v3, 14, v3
	v_cmp_eq_u32_e32 vcc, 1, v23
	v_mov_b32_e32 v39, v41
	v_or_b32_e32 v25, 0x1a00, v0
	v_cndmask_b32_e32 v2, v3, v2, vcc
	v_lshlrev_b32_e32 v2, 2, v2
	ds_write_b32 v2, v1
	v_lshl_add_u64 v[2:3], v[8:9], 0, v[38:39]
	s_waitcnt lgkmcnt(0)
	s_barrier
	ds_read2st64_b32 v[20:21], v22 offset1:8
	ds_read2st64_b32 v[18:19], v22 offset0:16 offset1:24
	ds_read2st64_b32 v[16:17], v22 offset0:32 offset1:40
	;; [unrolled: 1-line block ×6, first 2 shown]
	ds_read_b32 v1, v22 offset:28672
	v_sub_co_u32_e32 v6, vcc, s26, v2
	v_lshlrev_b64 v[8:9], 2, v[8:9]
	s_nop 0
	v_subb_co_u32_e32 v7, vcc, v7, v3, vcc
	v_lshlrev_b64 v[6:7], 2, v[6:7]
	v_lshl_add_u64 v[6:7], s[2:3], 0, v[6:7]
	v_or_b32_e32 v24, 0x1c00, v0
	v_lshl_add_u64 v[6:7], v[6:7], 0, s[30:31]
	s_andn2_b64 vcc, exec, s[24:25]
	v_lshl_add_u64 v[8:9], s[0:1], 0, v[8:9]
	s_cbranch_vccnz .LBB610_107
; %bb.106:
	v_cmp_gt_u32_e32 vcc, v38, v0
	v_mov_b32_e32 v23, v41
	v_lshlrev_b32_e32 v40, 2, v36
	v_cndmask_b32_e32 v43, v7, v9, vcc
	v_cndmask_b32_e32 v42, v6, v8, vcc
	v_lshl_add_u64 v[42:43], v[42:43], 0, v[22:23]
	v_cmp_lt_u32_e32 vcc, v37, v38
	s_waitcnt lgkmcnt(7)
	global_store_dword v[42:43], v20, off
	v_cndmask_b32_e32 v43, v7, v9, vcc
	v_cndmask_b32_e32 v42, v6, v8, vcc
	v_lshl_add_u64 v[42:43], v[42:43], 0, v[22:23]
	v_cmp_lt_u32_e32 vcc, v36, v38
	global_store_dword v[42:43], v21, off offset:2048
	s_mov_b64 s[0:1], -1
	v_cndmask_b32_e32 v43, v7, v9, vcc
	v_cndmask_b32_e32 v42, v6, v8, vcc
	v_lshl_add_u64 v[42:43], v[42:43], 0, v[40:41]
	v_cmp_lt_u32_e32 vcc, v35, v38
	s_waitcnt lgkmcnt(6)
	global_store_dword v[42:43], v18, off
	v_lshlrev_b32_e32 v40, 2, v35
	v_cndmask_b32_e32 v43, v7, v9, vcc
	v_cndmask_b32_e32 v42, v6, v8, vcc
	v_lshl_add_u64 v[42:43], v[42:43], 0, v[40:41]
	v_cmp_lt_u32_e32 vcc, v34, v38
	global_store_dword v[42:43], v19, off
	v_lshlrev_b32_e32 v40, 2, v34
	v_cndmask_b32_e32 v43, v7, v9, vcc
	v_cndmask_b32_e32 v42, v6, v8, vcc
	v_lshl_add_u64 v[42:43], v[42:43], 0, v[40:41]
	v_cmp_lt_u32_e32 vcc, v33, v38
	s_waitcnt lgkmcnt(5)
	global_store_dword v[42:43], v16, off
	v_lshlrev_b32_e32 v40, 2, v33
	v_cndmask_b32_e32 v43, v7, v9, vcc
	v_cndmask_b32_e32 v42, v6, v8, vcc
	v_lshl_add_u64 v[42:43], v[42:43], 0, v[40:41]
	v_cmp_lt_u32_e32 vcc, v32, v38
	global_store_dword v[42:43], v17, off
	v_lshlrev_b32_e32 v40, 2, v32
	;; [unrolled: 13-line block ×5, first 2 shown]
	v_cndmask_b32_e32 v43, v7, v9, vcc
	v_cndmask_b32_e32 v42, v6, v8, vcc
	v_lshl_add_u64 v[42:43], v[42:43], 0, v[40:41]
	v_cmp_lt_u32_e32 vcc, v25, v38
	s_waitcnt lgkmcnt(1)
	global_store_dword v[42:43], v4, off
	v_lshlrev_b32_e32 v40, 2, v25
	v_cndmask_b32_e32 v43, v7, v9, vcc
	v_cndmask_b32_e32 v42, v6, v8, vcc
	v_lshl_add_u64 v[40:41], v[42:43], 0, v[40:41]
	global_store_dword v[40:41], v5, off
	s_cbranch_execz .LBB610_108
	s_branch .LBB610_124
.LBB610_107:
	s_mov_b64 s[0:1], 0
.LBB610_108:
	v_cmp_gt_u32_e32 vcc, s33, v0
	s_and_saveexec_b64 s[0:1], vcc
	s_cbranch_execnz .LBB610_129
; %bb.109:
	s_or_b64 exec, exec, s[0:1]
	v_cmp_gt_u32_e32 vcc, s33, v37
	s_and_saveexec_b64 s[0:1], vcc
	s_cbranch_execnz .LBB610_130
.LBB610_110:
	s_or_b64 exec, exec, s[0:1]
	v_cmp_gt_u32_e32 vcc, s33, v36
	s_and_saveexec_b64 s[0:1], vcc
	s_cbranch_execnz .LBB610_131
.LBB610_111:
	s_or_b64 exec, exec, s[0:1]
	v_cmp_gt_u32_e32 vcc, s33, v35
	s_and_saveexec_b64 s[0:1], vcc
	s_cbranch_execnz .LBB610_132
.LBB610_112:
	s_or_b64 exec, exec, s[0:1]
	v_cmp_gt_u32_e32 vcc, s33, v34
	s_and_saveexec_b64 s[0:1], vcc
	s_cbranch_execnz .LBB610_133
.LBB610_113:
	s_or_b64 exec, exec, s[0:1]
	v_cmp_gt_u32_e32 vcc, s33, v33
	s_and_saveexec_b64 s[0:1], vcc
	s_cbranch_execnz .LBB610_134
.LBB610_114:
	s_or_b64 exec, exec, s[0:1]
	v_cmp_gt_u32_e32 vcc, s33, v32
	s_and_saveexec_b64 s[0:1], vcc
	s_cbranch_execnz .LBB610_135
.LBB610_115:
	s_or_b64 exec, exec, s[0:1]
	v_cmp_gt_u32_e32 vcc, s33, v31
	s_and_saveexec_b64 s[0:1], vcc
	s_cbranch_execnz .LBB610_136
.LBB610_116:
	s_or_b64 exec, exec, s[0:1]
	v_cmp_gt_u32_e32 vcc, s33, v30
	s_and_saveexec_b64 s[0:1], vcc
	s_cbranch_execnz .LBB610_137
.LBB610_117:
	s_or_b64 exec, exec, s[0:1]
	v_cmp_gt_u32_e32 vcc, s33, v29
	s_and_saveexec_b64 s[0:1], vcc
	s_cbranch_execnz .LBB610_138
.LBB610_118:
	s_or_b64 exec, exec, s[0:1]
	v_cmp_gt_u32_e32 vcc, s33, v28
	s_and_saveexec_b64 s[0:1], vcc
	s_cbranch_execnz .LBB610_139
.LBB610_119:
	s_or_b64 exec, exec, s[0:1]
	v_cmp_gt_u32_e32 vcc, s33, v27
	s_and_saveexec_b64 s[0:1], vcc
	s_cbranch_execnz .LBB610_140
.LBB610_120:
	s_or_b64 exec, exec, s[0:1]
	v_cmp_gt_u32_e32 vcc, s33, v26
	s_and_saveexec_b64 s[0:1], vcc
	s_cbranch_execnz .LBB610_141
.LBB610_121:
	s_or_b64 exec, exec, s[0:1]
	v_cmp_gt_u32_e32 vcc, s33, v25
	s_and_saveexec_b64 s[0:1], vcc
	s_cbranch_execz .LBB610_123
.LBB610_122:
	v_cmp_lt_u32_e32 vcc, v25, v38
	s_waitcnt lgkmcnt(3)
	v_lshlrev_b32_e32 v12, 2, v25
	v_mov_b32_e32 v13, 0
	s_waitcnt lgkmcnt(2)
	v_cndmask_b32_e32 v11, v7, v9, vcc
	v_cndmask_b32_e32 v10, v6, v8, vcc
	v_lshl_add_u64 v[10:11], v[10:11], 0, v[12:13]
	s_waitcnt lgkmcnt(1)
	global_store_dword v[10:11], v5, off
.LBB610_123:
	s_or_b64 exec, exec, s[0:1]
	v_cmp_gt_u32_e64 s[0:1], s33, v24
.LBB610_124:
	s_and_saveexec_b64 s[2:3], s[0:1]
	s_cbranch_execz .LBB610_126
; %bb.125:
	v_cmp_lt_u32_e32 vcc, v24, v38
	s_waitcnt lgkmcnt(1)
	s_nop 0
	v_cndmask_b32_e32 v5, v7, v9, vcc
	v_cndmask_b32_e32 v4, v6, v8, vcc
	v_lshlrev_b32_e32 v6, 2, v24
	v_mov_b32_e32 v7, 0
	v_lshl_add_u64 v[4:5], v[4:5], 0, v[6:7]
	s_waitcnt lgkmcnt(0)
	global_store_dword v[4:5], v1, off
.LBB610_126:
	s_or_b64 exec, exec, s[2:3]
	v_cmp_eq_u32_e32 vcc, 0, v0
	s_and_b64 s[0:1], vcc, s[22:23]
	s_and_saveexec_b64 s[2:3], s[0:1]
	s_cbranch_execz .LBB610_128
; %bb.127:
	v_mov_b32_e32 v0, 0
	global_store_dwordx2 v0, v[2:3], s[20:21]
.LBB610_128:
	s_endpgm
.LBB610_129:
	v_cmp_gt_u32_e32 vcc, v38, v0
	v_mov_b32_e32 v23, 0
	s_nop 0
	v_cndmask_b32_e32 v41, v7, v9, vcc
	v_cndmask_b32_e32 v40, v6, v8, vcc
	v_lshl_add_u64 v[40:41], v[40:41], 0, v[22:23]
	s_waitcnt lgkmcnt(7)
	global_store_dword v[40:41], v20, off
	s_or_b64 exec, exec, s[0:1]
	v_cmp_gt_u32_e32 vcc, s33, v37
	s_and_saveexec_b64 s[0:1], vcc
	s_cbranch_execz .LBB610_110
.LBB610_130:
	v_cmp_lt_u32_e32 vcc, v37, v38
	v_mov_b32_e32 v23, 0
	s_nop 0
	v_cndmask_b32_e32 v41, v7, v9, vcc
	v_cndmask_b32_e32 v40, v6, v8, vcc
	v_lshl_add_u64 v[22:23], v[40:41], 0, v[22:23]
	s_waitcnt lgkmcnt(7)
	global_store_dword v[22:23], v21, off offset:2048
	s_or_b64 exec, exec, s[0:1]
	v_cmp_gt_u32_e32 vcc, s33, v36
	s_and_saveexec_b64 s[0:1], vcc
	s_cbranch_execz .LBB610_111
.LBB610_131:
	v_cmp_lt_u32_e32 vcc, v36, v38
	v_lshlrev_b32_e32 v22, 2, v36
	v_mov_b32_e32 v23, 0
	s_waitcnt lgkmcnt(7)
	v_cndmask_b32_e32 v21, v7, v9, vcc
	v_cndmask_b32_e32 v20, v6, v8, vcc
	v_lshl_add_u64 v[20:21], v[20:21], 0, v[22:23]
	s_waitcnt lgkmcnt(6)
	global_store_dword v[20:21], v18, off
	s_or_b64 exec, exec, s[0:1]
	v_cmp_gt_u32_e32 vcc, s33, v35
	s_and_saveexec_b64 s[0:1], vcc
	s_cbranch_execz .LBB610_112
.LBB610_132:
	v_cmp_lt_u32_e32 vcc, v35, v38
	v_lshlrev_b32_e32 v22, 2, v35
	v_mov_b32_e32 v23, 0
	s_waitcnt lgkmcnt(7)
	v_cndmask_b32_e32 v21, v7, v9, vcc
	v_cndmask_b32_e32 v20, v6, v8, vcc
	v_lshl_add_u64 v[20:21], v[20:21], 0, v[22:23]
	s_waitcnt lgkmcnt(6)
	global_store_dword v[20:21], v19, off
	s_or_b64 exec, exec, s[0:1]
	v_cmp_gt_u32_e32 vcc, s33, v34
	s_and_saveexec_b64 s[0:1], vcc
	s_cbranch_execz .LBB610_113
.LBB610_133:
	v_cmp_lt_u32_e32 vcc, v34, v38
	s_waitcnt lgkmcnt(7)
	v_lshlrev_b32_e32 v20, 2, v34
	v_mov_b32_e32 v21, 0
	s_waitcnt lgkmcnt(6)
	v_cndmask_b32_e32 v19, v7, v9, vcc
	v_cndmask_b32_e32 v18, v6, v8, vcc
	v_lshl_add_u64 v[18:19], v[18:19], 0, v[20:21]
	s_waitcnt lgkmcnt(5)
	global_store_dword v[18:19], v16, off
	s_or_b64 exec, exec, s[0:1]
	v_cmp_gt_u32_e32 vcc, s33, v33
	s_and_saveexec_b64 s[0:1], vcc
	s_cbranch_execz .LBB610_114
.LBB610_134:
	v_cmp_lt_u32_e32 vcc, v33, v38
	s_waitcnt lgkmcnt(7)
	v_lshlrev_b32_e32 v20, 2, v33
	v_mov_b32_e32 v21, 0
	s_waitcnt lgkmcnt(6)
	v_cndmask_b32_e32 v19, v7, v9, vcc
	v_cndmask_b32_e32 v18, v6, v8, vcc
	v_lshl_add_u64 v[18:19], v[18:19], 0, v[20:21]
	s_waitcnt lgkmcnt(5)
	global_store_dword v[18:19], v17, off
	s_or_b64 exec, exec, s[0:1]
	v_cmp_gt_u32_e32 vcc, s33, v32
	s_and_saveexec_b64 s[0:1], vcc
	s_cbranch_execz .LBB610_115
.LBB610_135:
	v_cmp_lt_u32_e32 vcc, v32, v38
	s_waitcnt lgkmcnt(6)
	v_lshlrev_b32_e32 v18, 2, v32
	v_mov_b32_e32 v19, 0
	s_waitcnt lgkmcnt(5)
	v_cndmask_b32_e32 v17, v7, v9, vcc
	v_cndmask_b32_e32 v16, v6, v8, vcc
	v_lshl_add_u64 v[16:17], v[16:17], 0, v[18:19]
	s_waitcnt lgkmcnt(4)
	global_store_dword v[16:17], v14, off
	s_or_b64 exec, exec, s[0:1]
	v_cmp_gt_u32_e32 vcc, s33, v31
	s_and_saveexec_b64 s[0:1], vcc
	s_cbranch_execz .LBB610_116
.LBB610_136:
	v_cmp_lt_u32_e32 vcc, v31, v38
	s_waitcnt lgkmcnt(6)
	v_lshlrev_b32_e32 v18, 2, v31
	v_mov_b32_e32 v19, 0
	s_waitcnt lgkmcnt(5)
	v_cndmask_b32_e32 v17, v7, v9, vcc
	v_cndmask_b32_e32 v16, v6, v8, vcc
	v_lshl_add_u64 v[16:17], v[16:17], 0, v[18:19]
	s_waitcnt lgkmcnt(4)
	global_store_dword v[16:17], v15, off
	s_or_b64 exec, exec, s[0:1]
	v_cmp_gt_u32_e32 vcc, s33, v30
	s_and_saveexec_b64 s[0:1], vcc
	s_cbranch_execz .LBB610_117
.LBB610_137:
	v_cmp_lt_u32_e32 vcc, v30, v38
	s_waitcnt lgkmcnt(5)
	v_lshlrev_b32_e32 v16, 2, v30
	v_mov_b32_e32 v17, 0
	s_waitcnt lgkmcnt(4)
	v_cndmask_b32_e32 v15, v7, v9, vcc
	v_cndmask_b32_e32 v14, v6, v8, vcc
	v_lshl_add_u64 v[14:15], v[14:15], 0, v[16:17]
	s_waitcnt lgkmcnt(3)
	global_store_dword v[14:15], v12, off
	s_or_b64 exec, exec, s[0:1]
	v_cmp_gt_u32_e32 vcc, s33, v29
	s_and_saveexec_b64 s[0:1], vcc
	s_cbranch_execz .LBB610_118
.LBB610_138:
	v_cmp_lt_u32_e32 vcc, v29, v38
	s_waitcnt lgkmcnt(5)
	v_lshlrev_b32_e32 v16, 2, v29
	v_mov_b32_e32 v17, 0
	s_waitcnt lgkmcnt(4)
	v_cndmask_b32_e32 v15, v7, v9, vcc
	v_cndmask_b32_e32 v14, v6, v8, vcc
	v_lshl_add_u64 v[14:15], v[14:15], 0, v[16:17]
	s_waitcnt lgkmcnt(3)
	global_store_dword v[14:15], v13, off
	s_or_b64 exec, exec, s[0:1]
	v_cmp_gt_u32_e32 vcc, s33, v28
	s_and_saveexec_b64 s[0:1], vcc
	s_cbranch_execz .LBB610_119
.LBB610_139:
	v_cmp_lt_u32_e32 vcc, v28, v38
	s_waitcnt lgkmcnt(4)
	v_lshlrev_b32_e32 v14, 2, v28
	v_mov_b32_e32 v15, 0
	s_waitcnt lgkmcnt(3)
	v_cndmask_b32_e32 v13, v7, v9, vcc
	v_cndmask_b32_e32 v12, v6, v8, vcc
	v_lshl_add_u64 v[12:13], v[12:13], 0, v[14:15]
	s_waitcnt lgkmcnt(2)
	global_store_dword v[12:13], v10, off
	s_or_b64 exec, exec, s[0:1]
	v_cmp_gt_u32_e32 vcc, s33, v27
	s_and_saveexec_b64 s[0:1], vcc
	s_cbranch_execz .LBB610_120
.LBB610_140:
	v_cmp_lt_u32_e32 vcc, v27, v38
	s_waitcnt lgkmcnt(4)
	v_lshlrev_b32_e32 v14, 2, v27
	v_mov_b32_e32 v15, 0
	s_waitcnt lgkmcnt(3)
	v_cndmask_b32_e32 v13, v7, v9, vcc
	v_cndmask_b32_e32 v12, v6, v8, vcc
	v_lshl_add_u64 v[12:13], v[12:13], 0, v[14:15]
	s_waitcnt lgkmcnt(2)
	global_store_dword v[12:13], v11, off
	s_or_b64 exec, exec, s[0:1]
	v_cmp_gt_u32_e32 vcc, s33, v26
	s_and_saveexec_b64 s[0:1], vcc
	s_cbranch_execz .LBB610_121
.LBB610_141:
	v_cmp_lt_u32_e32 vcc, v26, v38
	s_waitcnt lgkmcnt(3)
	v_lshlrev_b32_e32 v12, 2, v26
	v_mov_b32_e32 v13, 0
	s_waitcnt lgkmcnt(2)
	v_cndmask_b32_e32 v11, v7, v9, vcc
	v_cndmask_b32_e32 v10, v6, v8, vcc
	v_lshl_add_u64 v[10:11], v[10:11], 0, v[12:13]
	s_waitcnt lgkmcnt(1)
	global_store_dword v[10:11], v4, off
	s_or_b64 exec, exec, s[0:1]
	v_cmp_gt_u32_e32 vcc, s33, v25
	s_and_saveexec_b64 s[0:1], vcc
	s_cbranch_execnz .LBB610_122
	s_branch .LBB610_123
	.section	.rodata,"a",@progbits
	.p2align	6, 0x0
	.amdhsa_kernel _ZN7rocprim17ROCPRIM_400000_NS6detail17trampoline_kernelINS0_14default_configENS1_25partition_config_selectorILNS1_17partition_subalgoE1EiNS0_10empty_typeEbEEZZNS1_14partition_implILS5_1ELb0ES3_jN6thrust23THRUST_200600_302600_NS6detail15normal_iteratorINSA_10device_ptrIiEEEEPS6_NSA_18transform_iteratorINSA_8identityIiEESF_NSA_11use_defaultESK_EENS0_5tupleIJSF_SF_EEENSM_IJSG_SG_EEES6_PlJS6_EEE10hipError_tPvRmT3_T4_T5_T6_T7_T9_mT8_P12ihipStream_tbDpT10_ENKUlT_T0_E_clISt17integral_constantIbLb0EES19_EEDaS14_S15_EUlS14_E_NS1_11comp_targetILNS1_3genE5ELNS1_11target_archE942ELNS1_3gpuE9ELNS1_3repE0EEENS1_30default_config_static_selectorELNS0_4arch9wavefront6targetE1EEEvT1_
		.amdhsa_group_segment_fixed_size 30728
		.amdhsa_private_segment_fixed_size 0
		.amdhsa_kernarg_size 128
		.amdhsa_user_sgpr_count 2
		.amdhsa_user_sgpr_dispatch_ptr 0
		.amdhsa_user_sgpr_queue_ptr 0
		.amdhsa_user_sgpr_kernarg_segment_ptr 1
		.amdhsa_user_sgpr_dispatch_id 0
		.amdhsa_user_sgpr_kernarg_preload_length 0
		.amdhsa_user_sgpr_kernarg_preload_offset 0
		.amdhsa_user_sgpr_private_segment_size 0
		.amdhsa_uses_dynamic_stack 0
		.amdhsa_enable_private_segment 0
		.amdhsa_system_sgpr_workgroup_id_x 1
		.amdhsa_system_sgpr_workgroup_id_y 0
		.amdhsa_system_sgpr_workgroup_id_z 0
		.amdhsa_system_sgpr_workgroup_info 0
		.amdhsa_system_vgpr_workitem_id 0
		.amdhsa_next_free_vgpr 65
		.amdhsa_next_free_sgpr 44
		.amdhsa_accum_offset 68
		.amdhsa_reserve_vcc 1
		.amdhsa_float_round_mode_32 0
		.amdhsa_float_round_mode_16_64 0
		.amdhsa_float_denorm_mode_32 3
		.amdhsa_float_denorm_mode_16_64 3
		.amdhsa_dx10_clamp 1
		.amdhsa_ieee_mode 1
		.amdhsa_fp16_overflow 0
		.amdhsa_tg_split 0
		.amdhsa_exception_fp_ieee_invalid_op 0
		.amdhsa_exception_fp_denorm_src 0
		.amdhsa_exception_fp_ieee_div_zero 0
		.amdhsa_exception_fp_ieee_overflow 0
		.amdhsa_exception_fp_ieee_underflow 0
		.amdhsa_exception_fp_ieee_inexact 0
		.amdhsa_exception_int_div_zero 0
	.end_amdhsa_kernel
	.section	.text._ZN7rocprim17ROCPRIM_400000_NS6detail17trampoline_kernelINS0_14default_configENS1_25partition_config_selectorILNS1_17partition_subalgoE1EiNS0_10empty_typeEbEEZZNS1_14partition_implILS5_1ELb0ES3_jN6thrust23THRUST_200600_302600_NS6detail15normal_iteratorINSA_10device_ptrIiEEEEPS6_NSA_18transform_iteratorINSA_8identityIiEESF_NSA_11use_defaultESK_EENS0_5tupleIJSF_SF_EEENSM_IJSG_SG_EEES6_PlJS6_EEE10hipError_tPvRmT3_T4_T5_T6_T7_T9_mT8_P12ihipStream_tbDpT10_ENKUlT_T0_E_clISt17integral_constantIbLb0EES19_EEDaS14_S15_EUlS14_E_NS1_11comp_targetILNS1_3genE5ELNS1_11target_archE942ELNS1_3gpuE9ELNS1_3repE0EEENS1_30default_config_static_selectorELNS0_4arch9wavefront6targetE1EEEvT1_,"axG",@progbits,_ZN7rocprim17ROCPRIM_400000_NS6detail17trampoline_kernelINS0_14default_configENS1_25partition_config_selectorILNS1_17partition_subalgoE1EiNS0_10empty_typeEbEEZZNS1_14partition_implILS5_1ELb0ES3_jN6thrust23THRUST_200600_302600_NS6detail15normal_iteratorINSA_10device_ptrIiEEEEPS6_NSA_18transform_iteratorINSA_8identityIiEESF_NSA_11use_defaultESK_EENS0_5tupleIJSF_SF_EEENSM_IJSG_SG_EEES6_PlJS6_EEE10hipError_tPvRmT3_T4_T5_T6_T7_T9_mT8_P12ihipStream_tbDpT10_ENKUlT_T0_E_clISt17integral_constantIbLb0EES19_EEDaS14_S15_EUlS14_E_NS1_11comp_targetILNS1_3genE5ELNS1_11target_archE942ELNS1_3gpuE9ELNS1_3repE0EEENS1_30default_config_static_selectorELNS0_4arch9wavefront6targetE1EEEvT1_,comdat
.Lfunc_end610:
	.size	_ZN7rocprim17ROCPRIM_400000_NS6detail17trampoline_kernelINS0_14default_configENS1_25partition_config_selectorILNS1_17partition_subalgoE1EiNS0_10empty_typeEbEEZZNS1_14partition_implILS5_1ELb0ES3_jN6thrust23THRUST_200600_302600_NS6detail15normal_iteratorINSA_10device_ptrIiEEEEPS6_NSA_18transform_iteratorINSA_8identityIiEESF_NSA_11use_defaultESK_EENS0_5tupleIJSF_SF_EEENSM_IJSG_SG_EEES6_PlJS6_EEE10hipError_tPvRmT3_T4_T5_T6_T7_T9_mT8_P12ihipStream_tbDpT10_ENKUlT_T0_E_clISt17integral_constantIbLb0EES19_EEDaS14_S15_EUlS14_E_NS1_11comp_targetILNS1_3genE5ELNS1_11target_archE942ELNS1_3gpuE9ELNS1_3repE0EEENS1_30default_config_static_selectorELNS0_4arch9wavefront6targetE1EEEvT1_, .Lfunc_end610-_ZN7rocprim17ROCPRIM_400000_NS6detail17trampoline_kernelINS0_14default_configENS1_25partition_config_selectorILNS1_17partition_subalgoE1EiNS0_10empty_typeEbEEZZNS1_14partition_implILS5_1ELb0ES3_jN6thrust23THRUST_200600_302600_NS6detail15normal_iteratorINSA_10device_ptrIiEEEEPS6_NSA_18transform_iteratorINSA_8identityIiEESF_NSA_11use_defaultESK_EENS0_5tupleIJSF_SF_EEENSM_IJSG_SG_EEES6_PlJS6_EEE10hipError_tPvRmT3_T4_T5_T6_T7_T9_mT8_P12ihipStream_tbDpT10_ENKUlT_T0_E_clISt17integral_constantIbLb0EES19_EEDaS14_S15_EUlS14_E_NS1_11comp_targetILNS1_3genE5ELNS1_11target_archE942ELNS1_3gpuE9ELNS1_3repE0EEENS1_30default_config_static_selectorELNS0_4arch9wavefront6targetE1EEEvT1_
                                        ; -- End function
	.section	.AMDGPU.csdata,"",@progbits
; Kernel info:
; codeLenInByte = 7900
; NumSgprs: 50
; NumVgprs: 65
; NumAgprs: 0
; TotalNumVgprs: 65
; ScratchSize: 0
; MemoryBound: 0
; FloatMode: 240
; IeeeMode: 1
; LDSByteSize: 30728 bytes/workgroup (compile time only)
; SGPRBlocks: 6
; VGPRBlocks: 8
; NumSGPRsForWavesPerEU: 50
; NumVGPRsForWavesPerEU: 65
; AccumOffset: 68
; Occupancy: 4
; WaveLimiterHint : 1
; COMPUTE_PGM_RSRC2:SCRATCH_EN: 0
; COMPUTE_PGM_RSRC2:USER_SGPR: 2
; COMPUTE_PGM_RSRC2:TRAP_HANDLER: 0
; COMPUTE_PGM_RSRC2:TGID_X_EN: 1
; COMPUTE_PGM_RSRC2:TGID_Y_EN: 0
; COMPUTE_PGM_RSRC2:TGID_Z_EN: 0
; COMPUTE_PGM_RSRC2:TIDIG_COMP_CNT: 0
; COMPUTE_PGM_RSRC3_GFX90A:ACCUM_OFFSET: 16
; COMPUTE_PGM_RSRC3_GFX90A:TG_SPLIT: 0
	.section	.text._ZN7rocprim17ROCPRIM_400000_NS6detail17trampoline_kernelINS0_14default_configENS1_25partition_config_selectorILNS1_17partition_subalgoE1EiNS0_10empty_typeEbEEZZNS1_14partition_implILS5_1ELb0ES3_jN6thrust23THRUST_200600_302600_NS6detail15normal_iteratorINSA_10device_ptrIiEEEEPS6_NSA_18transform_iteratorINSA_8identityIiEESF_NSA_11use_defaultESK_EENS0_5tupleIJSF_SF_EEENSM_IJSG_SG_EEES6_PlJS6_EEE10hipError_tPvRmT3_T4_T5_T6_T7_T9_mT8_P12ihipStream_tbDpT10_ENKUlT_T0_E_clISt17integral_constantIbLb0EES19_EEDaS14_S15_EUlS14_E_NS1_11comp_targetILNS1_3genE4ELNS1_11target_archE910ELNS1_3gpuE8ELNS1_3repE0EEENS1_30default_config_static_selectorELNS0_4arch9wavefront6targetE1EEEvT1_,"axG",@progbits,_ZN7rocprim17ROCPRIM_400000_NS6detail17trampoline_kernelINS0_14default_configENS1_25partition_config_selectorILNS1_17partition_subalgoE1EiNS0_10empty_typeEbEEZZNS1_14partition_implILS5_1ELb0ES3_jN6thrust23THRUST_200600_302600_NS6detail15normal_iteratorINSA_10device_ptrIiEEEEPS6_NSA_18transform_iteratorINSA_8identityIiEESF_NSA_11use_defaultESK_EENS0_5tupleIJSF_SF_EEENSM_IJSG_SG_EEES6_PlJS6_EEE10hipError_tPvRmT3_T4_T5_T6_T7_T9_mT8_P12ihipStream_tbDpT10_ENKUlT_T0_E_clISt17integral_constantIbLb0EES19_EEDaS14_S15_EUlS14_E_NS1_11comp_targetILNS1_3genE4ELNS1_11target_archE910ELNS1_3gpuE8ELNS1_3repE0EEENS1_30default_config_static_selectorELNS0_4arch9wavefront6targetE1EEEvT1_,comdat
	.protected	_ZN7rocprim17ROCPRIM_400000_NS6detail17trampoline_kernelINS0_14default_configENS1_25partition_config_selectorILNS1_17partition_subalgoE1EiNS0_10empty_typeEbEEZZNS1_14partition_implILS5_1ELb0ES3_jN6thrust23THRUST_200600_302600_NS6detail15normal_iteratorINSA_10device_ptrIiEEEEPS6_NSA_18transform_iteratorINSA_8identityIiEESF_NSA_11use_defaultESK_EENS0_5tupleIJSF_SF_EEENSM_IJSG_SG_EEES6_PlJS6_EEE10hipError_tPvRmT3_T4_T5_T6_T7_T9_mT8_P12ihipStream_tbDpT10_ENKUlT_T0_E_clISt17integral_constantIbLb0EES19_EEDaS14_S15_EUlS14_E_NS1_11comp_targetILNS1_3genE4ELNS1_11target_archE910ELNS1_3gpuE8ELNS1_3repE0EEENS1_30default_config_static_selectorELNS0_4arch9wavefront6targetE1EEEvT1_ ; -- Begin function _ZN7rocprim17ROCPRIM_400000_NS6detail17trampoline_kernelINS0_14default_configENS1_25partition_config_selectorILNS1_17partition_subalgoE1EiNS0_10empty_typeEbEEZZNS1_14partition_implILS5_1ELb0ES3_jN6thrust23THRUST_200600_302600_NS6detail15normal_iteratorINSA_10device_ptrIiEEEEPS6_NSA_18transform_iteratorINSA_8identityIiEESF_NSA_11use_defaultESK_EENS0_5tupleIJSF_SF_EEENSM_IJSG_SG_EEES6_PlJS6_EEE10hipError_tPvRmT3_T4_T5_T6_T7_T9_mT8_P12ihipStream_tbDpT10_ENKUlT_T0_E_clISt17integral_constantIbLb0EES19_EEDaS14_S15_EUlS14_E_NS1_11comp_targetILNS1_3genE4ELNS1_11target_archE910ELNS1_3gpuE8ELNS1_3repE0EEENS1_30default_config_static_selectorELNS0_4arch9wavefront6targetE1EEEvT1_
	.globl	_ZN7rocprim17ROCPRIM_400000_NS6detail17trampoline_kernelINS0_14default_configENS1_25partition_config_selectorILNS1_17partition_subalgoE1EiNS0_10empty_typeEbEEZZNS1_14partition_implILS5_1ELb0ES3_jN6thrust23THRUST_200600_302600_NS6detail15normal_iteratorINSA_10device_ptrIiEEEEPS6_NSA_18transform_iteratorINSA_8identityIiEESF_NSA_11use_defaultESK_EENS0_5tupleIJSF_SF_EEENSM_IJSG_SG_EEES6_PlJS6_EEE10hipError_tPvRmT3_T4_T5_T6_T7_T9_mT8_P12ihipStream_tbDpT10_ENKUlT_T0_E_clISt17integral_constantIbLb0EES19_EEDaS14_S15_EUlS14_E_NS1_11comp_targetILNS1_3genE4ELNS1_11target_archE910ELNS1_3gpuE8ELNS1_3repE0EEENS1_30default_config_static_selectorELNS0_4arch9wavefront6targetE1EEEvT1_
	.p2align	8
	.type	_ZN7rocprim17ROCPRIM_400000_NS6detail17trampoline_kernelINS0_14default_configENS1_25partition_config_selectorILNS1_17partition_subalgoE1EiNS0_10empty_typeEbEEZZNS1_14partition_implILS5_1ELb0ES3_jN6thrust23THRUST_200600_302600_NS6detail15normal_iteratorINSA_10device_ptrIiEEEEPS6_NSA_18transform_iteratorINSA_8identityIiEESF_NSA_11use_defaultESK_EENS0_5tupleIJSF_SF_EEENSM_IJSG_SG_EEES6_PlJS6_EEE10hipError_tPvRmT3_T4_T5_T6_T7_T9_mT8_P12ihipStream_tbDpT10_ENKUlT_T0_E_clISt17integral_constantIbLb0EES19_EEDaS14_S15_EUlS14_E_NS1_11comp_targetILNS1_3genE4ELNS1_11target_archE910ELNS1_3gpuE8ELNS1_3repE0EEENS1_30default_config_static_selectorELNS0_4arch9wavefront6targetE1EEEvT1_,@function
_ZN7rocprim17ROCPRIM_400000_NS6detail17trampoline_kernelINS0_14default_configENS1_25partition_config_selectorILNS1_17partition_subalgoE1EiNS0_10empty_typeEbEEZZNS1_14partition_implILS5_1ELb0ES3_jN6thrust23THRUST_200600_302600_NS6detail15normal_iteratorINSA_10device_ptrIiEEEEPS6_NSA_18transform_iteratorINSA_8identityIiEESF_NSA_11use_defaultESK_EENS0_5tupleIJSF_SF_EEENSM_IJSG_SG_EEES6_PlJS6_EEE10hipError_tPvRmT3_T4_T5_T6_T7_T9_mT8_P12ihipStream_tbDpT10_ENKUlT_T0_E_clISt17integral_constantIbLb0EES19_EEDaS14_S15_EUlS14_E_NS1_11comp_targetILNS1_3genE4ELNS1_11target_archE910ELNS1_3gpuE8ELNS1_3repE0EEENS1_30default_config_static_selectorELNS0_4arch9wavefront6targetE1EEEvT1_: ; @_ZN7rocprim17ROCPRIM_400000_NS6detail17trampoline_kernelINS0_14default_configENS1_25partition_config_selectorILNS1_17partition_subalgoE1EiNS0_10empty_typeEbEEZZNS1_14partition_implILS5_1ELb0ES3_jN6thrust23THRUST_200600_302600_NS6detail15normal_iteratorINSA_10device_ptrIiEEEEPS6_NSA_18transform_iteratorINSA_8identityIiEESF_NSA_11use_defaultESK_EENS0_5tupleIJSF_SF_EEENSM_IJSG_SG_EEES6_PlJS6_EEE10hipError_tPvRmT3_T4_T5_T6_T7_T9_mT8_P12ihipStream_tbDpT10_ENKUlT_T0_E_clISt17integral_constantIbLb0EES19_EEDaS14_S15_EUlS14_E_NS1_11comp_targetILNS1_3genE4ELNS1_11target_archE910ELNS1_3gpuE8ELNS1_3repE0EEENS1_30default_config_static_selectorELNS0_4arch9wavefront6targetE1EEEvT1_
; %bb.0:
	.section	.rodata,"a",@progbits
	.p2align	6, 0x0
	.amdhsa_kernel _ZN7rocprim17ROCPRIM_400000_NS6detail17trampoline_kernelINS0_14default_configENS1_25partition_config_selectorILNS1_17partition_subalgoE1EiNS0_10empty_typeEbEEZZNS1_14partition_implILS5_1ELb0ES3_jN6thrust23THRUST_200600_302600_NS6detail15normal_iteratorINSA_10device_ptrIiEEEEPS6_NSA_18transform_iteratorINSA_8identityIiEESF_NSA_11use_defaultESK_EENS0_5tupleIJSF_SF_EEENSM_IJSG_SG_EEES6_PlJS6_EEE10hipError_tPvRmT3_T4_T5_T6_T7_T9_mT8_P12ihipStream_tbDpT10_ENKUlT_T0_E_clISt17integral_constantIbLb0EES19_EEDaS14_S15_EUlS14_E_NS1_11comp_targetILNS1_3genE4ELNS1_11target_archE910ELNS1_3gpuE8ELNS1_3repE0EEENS1_30default_config_static_selectorELNS0_4arch9wavefront6targetE1EEEvT1_
		.amdhsa_group_segment_fixed_size 0
		.amdhsa_private_segment_fixed_size 0
		.amdhsa_kernarg_size 128
		.amdhsa_user_sgpr_count 2
		.amdhsa_user_sgpr_dispatch_ptr 0
		.amdhsa_user_sgpr_queue_ptr 0
		.amdhsa_user_sgpr_kernarg_segment_ptr 1
		.amdhsa_user_sgpr_dispatch_id 0
		.amdhsa_user_sgpr_kernarg_preload_length 0
		.amdhsa_user_sgpr_kernarg_preload_offset 0
		.amdhsa_user_sgpr_private_segment_size 0
		.amdhsa_uses_dynamic_stack 0
		.amdhsa_enable_private_segment 0
		.amdhsa_system_sgpr_workgroup_id_x 1
		.amdhsa_system_sgpr_workgroup_id_y 0
		.amdhsa_system_sgpr_workgroup_id_z 0
		.amdhsa_system_sgpr_workgroup_info 0
		.amdhsa_system_vgpr_workitem_id 0
		.amdhsa_next_free_vgpr 1
		.amdhsa_next_free_sgpr 0
		.amdhsa_accum_offset 4
		.amdhsa_reserve_vcc 0
		.amdhsa_float_round_mode_32 0
		.amdhsa_float_round_mode_16_64 0
		.amdhsa_float_denorm_mode_32 3
		.amdhsa_float_denorm_mode_16_64 3
		.amdhsa_dx10_clamp 1
		.amdhsa_ieee_mode 1
		.amdhsa_fp16_overflow 0
		.amdhsa_tg_split 0
		.amdhsa_exception_fp_ieee_invalid_op 0
		.amdhsa_exception_fp_denorm_src 0
		.amdhsa_exception_fp_ieee_div_zero 0
		.amdhsa_exception_fp_ieee_overflow 0
		.amdhsa_exception_fp_ieee_underflow 0
		.amdhsa_exception_fp_ieee_inexact 0
		.amdhsa_exception_int_div_zero 0
	.end_amdhsa_kernel
	.section	.text._ZN7rocprim17ROCPRIM_400000_NS6detail17trampoline_kernelINS0_14default_configENS1_25partition_config_selectorILNS1_17partition_subalgoE1EiNS0_10empty_typeEbEEZZNS1_14partition_implILS5_1ELb0ES3_jN6thrust23THRUST_200600_302600_NS6detail15normal_iteratorINSA_10device_ptrIiEEEEPS6_NSA_18transform_iteratorINSA_8identityIiEESF_NSA_11use_defaultESK_EENS0_5tupleIJSF_SF_EEENSM_IJSG_SG_EEES6_PlJS6_EEE10hipError_tPvRmT3_T4_T5_T6_T7_T9_mT8_P12ihipStream_tbDpT10_ENKUlT_T0_E_clISt17integral_constantIbLb0EES19_EEDaS14_S15_EUlS14_E_NS1_11comp_targetILNS1_3genE4ELNS1_11target_archE910ELNS1_3gpuE8ELNS1_3repE0EEENS1_30default_config_static_selectorELNS0_4arch9wavefront6targetE1EEEvT1_,"axG",@progbits,_ZN7rocprim17ROCPRIM_400000_NS6detail17trampoline_kernelINS0_14default_configENS1_25partition_config_selectorILNS1_17partition_subalgoE1EiNS0_10empty_typeEbEEZZNS1_14partition_implILS5_1ELb0ES3_jN6thrust23THRUST_200600_302600_NS6detail15normal_iteratorINSA_10device_ptrIiEEEEPS6_NSA_18transform_iteratorINSA_8identityIiEESF_NSA_11use_defaultESK_EENS0_5tupleIJSF_SF_EEENSM_IJSG_SG_EEES6_PlJS6_EEE10hipError_tPvRmT3_T4_T5_T6_T7_T9_mT8_P12ihipStream_tbDpT10_ENKUlT_T0_E_clISt17integral_constantIbLb0EES19_EEDaS14_S15_EUlS14_E_NS1_11comp_targetILNS1_3genE4ELNS1_11target_archE910ELNS1_3gpuE8ELNS1_3repE0EEENS1_30default_config_static_selectorELNS0_4arch9wavefront6targetE1EEEvT1_,comdat
.Lfunc_end611:
	.size	_ZN7rocprim17ROCPRIM_400000_NS6detail17trampoline_kernelINS0_14default_configENS1_25partition_config_selectorILNS1_17partition_subalgoE1EiNS0_10empty_typeEbEEZZNS1_14partition_implILS5_1ELb0ES3_jN6thrust23THRUST_200600_302600_NS6detail15normal_iteratorINSA_10device_ptrIiEEEEPS6_NSA_18transform_iteratorINSA_8identityIiEESF_NSA_11use_defaultESK_EENS0_5tupleIJSF_SF_EEENSM_IJSG_SG_EEES6_PlJS6_EEE10hipError_tPvRmT3_T4_T5_T6_T7_T9_mT8_P12ihipStream_tbDpT10_ENKUlT_T0_E_clISt17integral_constantIbLb0EES19_EEDaS14_S15_EUlS14_E_NS1_11comp_targetILNS1_3genE4ELNS1_11target_archE910ELNS1_3gpuE8ELNS1_3repE0EEENS1_30default_config_static_selectorELNS0_4arch9wavefront6targetE1EEEvT1_, .Lfunc_end611-_ZN7rocprim17ROCPRIM_400000_NS6detail17trampoline_kernelINS0_14default_configENS1_25partition_config_selectorILNS1_17partition_subalgoE1EiNS0_10empty_typeEbEEZZNS1_14partition_implILS5_1ELb0ES3_jN6thrust23THRUST_200600_302600_NS6detail15normal_iteratorINSA_10device_ptrIiEEEEPS6_NSA_18transform_iteratorINSA_8identityIiEESF_NSA_11use_defaultESK_EENS0_5tupleIJSF_SF_EEENSM_IJSG_SG_EEES6_PlJS6_EEE10hipError_tPvRmT3_T4_T5_T6_T7_T9_mT8_P12ihipStream_tbDpT10_ENKUlT_T0_E_clISt17integral_constantIbLb0EES19_EEDaS14_S15_EUlS14_E_NS1_11comp_targetILNS1_3genE4ELNS1_11target_archE910ELNS1_3gpuE8ELNS1_3repE0EEENS1_30default_config_static_selectorELNS0_4arch9wavefront6targetE1EEEvT1_
                                        ; -- End function
	.section	.AMDGPU.csdata,"",@progbits
; Kernel info:
; codeLenInByte = 0
; NumSgprs: 6
; NumVgprs: 0
; NumAgprs: 0
; TotalNumVgprs: 0
; ScratchSize: 0
; MemoryBound: 0
; FloatMode: 240
; IeeeMode: 1
; LDSByteSize: 0 bytes/workgroup (compile time only)
; SGPRBlocks: 0
; VGPRBlocks: 0
; NumSGPRsForWavesPerEU: 6
; NumVGPRsForWavesPerEU: 1
; AccumOffset: 4
; Occupancy: 8
; WaveLimiterHint : 0
; COMPUTE_PGM_RSRC2:SCRATCH_EN: 0
; COMPUTE_PGM_RSRC2:USER_SGPR: 2
; COMPUTE_PGM_RSRC2:TRAP_HANDLER: 0
; COMPUTE_PGM_RSRC2:TGID_X_EN: 1
; COMPUTE_PGM_RSRC2:TGID_Y_EN: 0
; COMPUTE_PGM_RSRC2:TGID_Z_EN: 0
; COMPUTE_PGM_RSRC2:TIDIG_COMP_CNT: 0
; COMPUTE_PGM_RSRC3_GFX90A:ACCUM_OFFSET: 0
; COMPUTE_PGM_RSRC3_GFX90A:TG_SPLIT: 0
	.section	.text._ZN7rocprim17ROCPRIM_400000_NS6detail17trampoline_kernelINS0_14default_configENS1_25partition_config_selectorILNS1_17partition_subalgoE1EiNS0_10empty_typeEbEEZZNS1_14partition_implILS5_1ELb0ES3_jN6thrust23THRUST_200600_302600_NS6detail15normal_iteratorINSA_10device_ptrIiEEEEPS6_NSA_18transform_iteratorINSA_8identityIiEESF_NSA_11use_defaultESK_EENS0_5tupleIJSF_SF_EEENSM_IJSG_SG_EEES6_PlJS6_EEE10hipError_tPvRmT3_T4_T5_T6_T7_T9_mT8_P12ihipStream_tbDpT10_ENKUlT_T0_E_clISt17integral_constantIbLb0EES19_EEDaS14_S15_EUlS14_E_NS1_11comp_targetILNS1_3genE3ELNS1_11target_archE908ELNS1_3gpuE7ELNS1_3repE0EEENS1_30default_config_static_selectorELNS0_4arch9wavefront6targetE1EEEvT1_,"axG",@progbits,_ZN7rocprim17ROCPRIM_400000_NS6detail17trampoline_kernelINS0_14default_configENS1_25partition_config_selectorILNS1_17partition_subalgoE1EiNS0_10empty_typeEbEEZZNS1_14partition_implILS5_1ELb0ES3_jN6thrust23THRUST_200600_302600_NS6detail15normal_iteratorINSA_10device_ptrIiEEEEPS6_NSA_18transform_iteratorINSA_8identityIiEESF_NSA_11use_defaultESK_EENS0_5tupleIJSF_SF_EEENSM_IJSG_SG_EEES6_PlJS6_EEE10hipError_tPvRmT3_T4_T5_T6_T7_T9_mT8_P12ihipStream_tbDpT10_ENKUlT_T0_E_clISt17integral_constantIbLb0EES19_EEDaS14_S15_EUlS14_E_NS1_11comp_targetILNS1_3genE3ELNS1_11target_archE908ELNS1_3gpuE7ELNS1_3repE0EEENS1_30default_config_static_selectorELNS0_4arch9wavefront6targetE1EEEvT1_,comdat
	.protected	_ZN7rocprim17ROCPRIM_400000_NS6detail17trampoline_kernelINS0_14default_configENS1_25partition_config_selectorILNS1_17partition_subalgoE1EiNS0_10empty_typeEbEEZZNS1_14partition_implILS5_1ELb0ES3_jN6thrust23THRUST_200600_302600_NS6detail15normal_iteratorINSA_10device_ptrIiEEEEPS6_NSA_18transform_iteratorINSA_8identityIiEESF_NSA_11use_defaultESK_EENS0_5tupleIJSF_SF_EEENSM_IJSG_SG_EEES6_PlJS6_EEE10hipError_tPvRmT3_T4_T5_T6_T7_T9_mT8_P12ihipStream_tbDpT10_ENKUlT_T0_E_clISt17integral_constantIbLb0EES19_EEDaS14_S15_EUlS14_E_NS1_11comp_targetILNS1_3genE3ELNS1_11target_archE908ELNS1_3gpuE7ELNS1_3repE0EEENS1_30default_config_static_selectorELNS0_4arch9wavefront6targetE1EEEvT1_ ; -- Begin function _ZN7rocprim17ROCPRIM_400000_NS6detail17trampoline_kernelINS0_14default_configENS1_25partition_config_selectorILNS1_17partition_subalgoE1EiNS0_10empty_typeEbEEZZNS1_14partition_implILS5_1ELb0ES3_jN6thrust23THRUST_200600_302600_NS6detail15normal_iteratorINSA_10device_ptrIiEEEEPS6_NSA_18transform_iteratorINSA_8identityIiEESF_NSA_11use_defaultESK_EENS0_5tupleIJSF_SF_EEENSM_IJSG_SG_EEES6_PlJS6_EEE10hipError_tPvRmT3_T4_T5_T6_T7_T9_mT8_P12ihipStream_tbDpT10_ENKUlT_T0_E_clISt17integral_constantIbLb0EES19_EEDaS14_S15_EUlS14_E_NS1_11comp_targetILNS1_3genE3ELNS1_11target_archE908ELNS1_3gpuE7ELNS1_3repE0EEENS1_30default_config_static_selectorELNS0_4arch9wavefront6targetE1EEEvT1_
	.globl	_ZN7rocprim17ROCPRIM_400000_NS6detail17trampoline_kernelINS0_14default_configENS1_25partition_config_selectorILNS1_17partition_subalgoE1EiNS0_10empty_typeEbEEZZNS1_14partition_implILS5_1ELb0ES3_jN6thrust23THRUST_200600_302600_NS6detail15normal_iteratorINSA_10device_ptrIiEEEEPS6_NSA_18transform_iteratorINSA_8identityIiEESF_NSA_11use_defaultESK_EENS0_5tupleIJSF_SF_EEENSM_IJSG_SG_EEES6_PlJS6_EEE10hipError_tPvRmT3_T4_T5_T6_T7_T9_mT8_P12ihipStream_tbDpT10_ENKUlT_T0_E_clISt17integral_constantIbLb0EES19_EEDaS14_S15_EUlS14_E_NS1_11comp_targetILNS1_3genE3ELNS1_11target_archE908ELNS1_3gpuE7ELNS1_3repE0EEENS1_30default_config_static_selectorELNS0_4arch9wavefront6targetE1EEEvT1_
	.p2align	8
	.type	_ZN7rocprim17ROCPRIM_400000_NS6detail17trampoline_kernelINS0_14default_configENS1_25partition_config_selectorILNS1_17partition_subalgoE1EiNS0_10empty_typeEbEEZZNS1_14partition_implILS5_1ELb0ES3_jN6thrust23THRUST_200600_302600_NS6detail15normal_iteratorINSA_10device_ptrIiEEEEPS6_NSA_18transform_iteratorINSA_8identityIiEESF_NSA_11use_defaultESK_EENS0_5tupleIJSF_SF_EEENSM_IJSG_SG_EEES6_PlJS6_EEE10hipError_tPvRmT3_T4_T5_T6_T7_T9_mT8_P12ihipStream_tbDpT10_ENKUlT_T0_E_clISt17integral_constantIbLb0EES19_EEDaS14_S15_EUlS14_E_NS1_11comp_targetILNS1_3genE3ELNS1_11target_archE908ELNS1_3gpuE7ELNS1_3repE0EEENS1_30default_config_static_selectorELNS0_4arch9wavefront6targetE1EEEvT1_,@function
_ZN7rocprim17ROCPRIM_400000_NS6detail17trampoline_kernelINS0_14default_configENS1_25partition_config_selectorILNS1_17partition_subalgoE1EiNS0_10empty_typeEbEEZZNS1_14partition_implILS5_1ELb0ES3_jN6thrust23THRUST_200600_302600_NS6detail15normal_iteratorINSA_10device_ptrIiEEEEPS6_NSA_18transform_iteratorINSA_8identityIiEESF_NSA_11use_defaultESK_EENS0_5tupleIJSF_SF_EEENSM_IJSG_SG_EEES6_PlJS6_EEE10hipError_tPvRmT3_T4_T5_T6_T7_T9_mT8_P12ihipStream_tbDpT10_ENKUlT_T0_E_clISt17integral_constantIbLb0EES19_EEDaS14_S15_EUlS14_E_NS1_11comp_targetILNS1_3genE3ELNS1_11target_archE908ELNS1_3gpuE7ELNS1_3repE0EEENS1_30default_config_static_selectorELNS0_4arch9wavefront6targetE1EEEvT1_: ; @_ZN7rocprim17ROCPRIM_400000_NS6detail17trampoline_kernelINS0_14default_configENS1_25partition_config_selectorILNS1_17partition_subalgoE1EiNS0_10empty_typeEbEEZZNS1_14partition_implILS5_1ELb0ES3_jN6thrust23THRUST_200600_302600_NS6detail15normal_iteratorINSA_10device_ptrIiEEEEPS6_NSA_18transform_iteratorINSA_8identityIiEESF_NSA_11use_defaultESK_EENS0_5tupleIJSF_SF_EEENSM_IJSG_SG_EEES6_PlJS6_EEE10hipError_tPvRmT3_T4_T5_T6_T7_T9_mT8_P12ihipStream_tbDpT10_ENKUlT_T0_E_clISt17integral_constantIbLb0EES19_EEDaS14_S15_EUlS14_E_NS1_11comp_targetILNS1_3genE3ELNS1_11target_archE908ELNS1_3gpuE7ELNS1_3repE0EEENS1_30default_config_static_selectorELNS0_4arch9wavefront6targetE1EEEvT1_
; %bb.0:
	.section	.rodata,"a",@progbits
	.p2align	6, 0x0
	.amdhsa_kernel _ZN7rocprim17ROCPRIM_400000_NS6detail17trampoline_kernelINS0_14default_configENS1_25partition_config_selectorILNS1_17partition_subalgoE1EiNS0_10empty_typeEbEEZZNS1_14partition_implILS5_1ELb0ES3_jN6thrust23THRUST_200600_302600_NS6detail15normal_iteratorINSA_10device_ptrIiEEEEPS6_NSA_18transform_iteratorINSA_8identityIiEESF_NSA_11use_defaultESK_EENS0_5tupleIJSF_SF_EEENSM_IJSG_SG_EEES6_PlJS6_EEE10hipError_tPvRmT3_T4_T5_T6_T7_T9_mT8_P12ihipStream_tbDpT10_ENKUlT_T0_E_clISt17integral_constantIbLb0EES19_EEDaS14_S15_EUlS14_E_NS1_11comp_targetILNS1_3genE3ELNS1_11target_archE908ELNS1_3gpuE7ELNS1_3repE0EEENS1_30default_config_static_selectorELNS0_4arch9wavefront6targetE1EEEvT1_
		.amdhsa_group_segment_fixed_size 0
		.amdhsa_private_segment_fixed_size 0
		.amdhsa_kernarg_size 128
		.amdhsa_user_sgpr_count 2
		.amdhsa_user_sgpr_dispatch_ptr 0
		.amdhsa_user_sgpr_queue_ptr 0
		.amdhsa_user_sgpr_kernarg_segment_ptr 1
		.amdhsa_user_sgpr_dispatch_id 0
		.amdhsa_user_sgpr_kernarg_preload_length 0
		.amdhsa_user_sgpr_kernarg_preload_offset 0
		.amdhsa_user_sgpr_private_segment_size 0
		.amdhsa_uses_dynamic_stack 0
		.amdhsa_enable_private_segment 0
		.amdhsa_system_sgpr_workgroup_id_x 1
		.amdhsa_system_sgpr_workgroup_id_y 0
		.amdhsa_system_sgpr_workgroup_id_z 0
		.amdhsa_system_sgpr_workgroup_info 0
		.amdhsa_system_vgpr_workitem_id 0
		.amdhsa_next_free_vgpr 1
		.amdhsa_next_free_sgpr 0
		.amdhsa_accum_offset 4
		.amdhsa_reserve_vcc 0
		.amdhsa_float_round_mode_32 0
		.amdhsa_float_round_mode_16_64 0
		.amdhsa_float_denorm_mode_32 3
		.amdhsa_float_denorm_mode_16_64 3
		.amdhsa_dx10_clamp 1
		.amdhsa_ieee_mode 1
		.amdhsa_fp16_overflow 0
		.amdhsa_tg_split 0
		.amdhsa_exception_fp_ieee_invalid_op 0
		.amdhsa_exception_fp_denorm_src 0
		.amdhsa_exception_fp_ieee_div_zero 0
		.amdhsa_exception_fp_ieee_overflow 0
		.amdhsa_exception_fp_ieee_underflow 0
		.amdhsa_exception_fp_ieee_inexact 0
		.amdhsa_exception_int_div_zero 0
	.end_amdhsa_kernel
	.section	.text._ZN7rocprim17ROCPRIM_400000_NS6detail17trampoline_kernelINS0_14default_configENS1_25partition_config_selectorILNS1_17partition_subalgoE1EiNS0_10empty_typeEbEEZZNS1_14partition_implILS5_1ELb0ES3_jN6thrust23THRUST_200600_302600_NS6detail15normal_iteratorINSA_10device_ptrIiEEEEPS6_NSA_18transform_iteratorINSA_8identityIiEESF_NSA_11use_defaultESK_EENS0_5tupleIJSF_SF_EEENSM_IJSG_SG_EEES6_PlJS6_EEE10hipError_tPvRmT3_T4_T5_T6_T7_T9_mT8_P12ihipStream_tbDpT10_ENKUlT_T0_E_clISt17integral_constantIbLb0EES19_EEDaS14_S15_EUlS14_E_NS1_11comp_targetILNS1_3genE3ELNS1_11target_archE908ELNS1_3gpuE7ELNS1_3repE0EEENS1_30default_config_static_selectorELNS0_4arch9wavefront6targetE1EEEvT1_,"axG",@progbits,_ZN7rocprim17ROCPRIM_400000_NS6detail17trampoline_kernelINS0_14default_configENS1_25partition_config_selectorILNS1_17partition_subalgoE1EiNS0_10empty_typeEbEEZZNS1_14partition_implILS5_1ELb0ES3_jN6thrust23THRUST_200600_302600_NS6detail15normal_iteratorINSA_10device_ptrIiEEEEPS6_NSA_18transform_iteratorINSA_8identityIiEESF_NSA_11use_defaultESK_EENS0_5tupleIJSF_SF_EEENSM_IJSG_SG_EEES6_PlJS6_EEE10hipError_tPvRmT3_T4_T5_T6_T7_T9_mT8_P12ihipStream_tbDpT10_ENKUlT_T0_E_clISt17integral_constantIbLb0EES19_EEDaS14_S15_EUlS14_E_NS1_11comp_targetILNS1_3genE3ELNS1_11target_archE908ELNS1_3gpuE7ELNS1_3repE0EEENS1_30default_config_static_selectorELNS0_4arch9wavefront6targetE1EEEvT1_,comdat
.Lfunc_end612:
	.size	_ZN7rocprim17ROCPRIM_400000_NS6detail17trampoline_kernelINS0_14default_configENS1_25partition_config_selectorILNS1_17partition_subalgoE1EiNS0_10empty_typeEbEEZZNS1_14partition_implILS5_1ELb0ES3_jN6thrust23THRUST_200600_302600_NS6detail15normal_iteratorINSA_10device_ptrIiEEEEPS6_NSA_18transform_iteratorINSA_8identityIiEESF_NSA_11use_defaultESK_EENS0_5tupleIJSF_SF_EEENSM_IJSG_SG_EEES6_PlJS6_EEE10hipError_tPvRmT3_T4_T5_T6_T7_T9_mT8_P12ihipStream_tbDpT10_ENKUlT_T0_E_clISt17integral_constantIbLb0EES19_EEDaS14_S15_EUlS14_E_NS1_11comp_targetILNS1_3genE3ELNS1_11target_archE908ELNS1_3gpuE7ELNS1_3repE0EEENS1_30default_config_static_selectorELNS0_4arch9wavefront6targetE1EEEvT1_, .Lfunc_end612-_ZN7rocprim17ROCPRIM_400000_NS6detail17trampoline_kernelINS0_14default_configENS1_25partition_config_selectorILNS1_17partition_subalgoE1EiNS0_10empty_typeEbEEZZNS1_14partition_implILS5_1ELb0ES3_jN6thrust23THRUST_200600_302600_NS6detail15normal_iteratorINSA_10device_ptrIiEEEEPS6_NSA_18transform_iteratorINSA_8identityIiEESF_NSA_11use_defaultESK_EENS0_5tupleIJSF_SF_EEENSM_IJSG_SG_EEES6_PlJS6_EEE10hipError_tPvRmT3_T4_T5_T6_T7_T9_mT8_P12ihipStream_tbDpT10_ENKUlT_T0_E_clISt17integral_constantIbLb0EES19_EEDaS14_S15_EUlS14_E_NS1_11comp_targetILNS1_3genE3ELNS1_11target_archE908ELNS1_3gpuE7ELNS1_3repE0EEENS1_30default_config_static_selectorELNS0_4arch9wavefront6targetE1EEEvT1_
                                        ; -- End function
	.section	.AMDGPU.csdata,"",@progbits
; Kernel info:
; codeLenInByte = 0
; NumSgprs: 6
; NumVgprs: 0
; NumAgprs: 0
; TotalNumVgprs: 0
; ScratchSize: 0
; MemoryBound: 0
; FloatMode: 240
; IeeeMode: 1
; LDSByteSize: 0 bytes/workgroup (compile time only)
; SGPRBlocks: 0
; VGPRBlocks: 0
; NumSGPRsForWavesPerEU: 6
; NumVGPRsForWavesPerEU: 1
; AccumOffset: 4
; Occupancy: 8
; WaveLimiterHint : 0
; COMPUTE_PGM_RSRC2:SCRATCH_EN: 0
; COMPUTE_PGM_RSRC2:USER_SGPR: 2
; COMPUTE_PGM_RSRC2:TRAP_HANDLER: 0
; COMPUTE_PGM_RSRC2:TGID_X_EN: 1
; COMPUTE_PGM_RSRC2:TGID_Y_EN: 0
; COMPUTE_PGM_RSRC2:TGID_Z_EN: 0
; COMPUTE_PGM_RSRC2:TIDIG_COMP_CNT: 0
; COMPUTE_PGM_RSRC3_GFX90A:ACCUM_OFFSET: 0
; COMPUTE_PGM_RSRC3_GFX90A:TG_SPLIT: 0
	.section	.text._ZN7rocprim17ROCPRIM_400000_NS6detail17trampoline_kernelINS0_14default_configENS1_25partition_config_selectorILNS1_17partition_subalgoE1EiNS0_10empty_typeEbEEZZNS1_14partition_implILS5_1ELb0ES3_jN6thrust23THRUST_200600_302600_NS6detail15normal_iteratorINSA_10device_ptrIiEEEEPS6_NSA_18transform_iteratorINSA_8identityIiEESF_NSA_11use_defaultESK_EENS0_5tupleIJSF_SF_EEENSM_IJSG_SG_EEES6_PlJS6_EEE10hipError_tPvRmT3_T4_T5_T6_T7_T9_mT8_P12ihipStream_tbDpT10_ENKUlT_T0_E_clISt17integral_constantIbLb0EES19_EEDaS14_S15_EUlS14_E_NS1_11comp_targetILNS1_3genE2ELNS1_11target_archE906ELNS1_3gpuE6ELNS1_3repE0EEENS1_30default_config_static_selectorELNS0_4arch9wavefront6targetE1EEEvT1_,"axG",@progbits,_ZN7rocprim17ROCPRIM_400000_NS6detail17trampoline_kernelINS0_14default_configENS1_25partition_config_selectorILNS1_17partition_subalgoE1EiNS0_10empty_typeEbEEZZNS1_14partition_implILS5_1ELb0ES3_jN6thrust23THRUST_200600_302600_NS6detail15normal_iteratorINSA_10device_ptrIiEEEEPS6_NSA_18transform_iteratorINSA_8identityIiEESF_NSA_11use_defaultESK_EENS0_5tupleIJSF_SF_EEENSM_IJSG_SG_EEES6_PlJS6_EEE10hipError_tPvRmT3_T4_T5_T6_T7_T9_mT8_P12ihipStream_tbDpT10_ENKUlT_T0_E_clISt17integral_constantIbLb0EES19_EEDaS14_S15_EUlS14_E_NS1_11comp_targetILNS1_3genE2ELNS1_11target_archE906ELNS1_3gpuE6ELNS1_3repE0EEENS1_30default_config_static_selectorELNS0_4arch9wavefront6targetE1EEEvT1_,comdat
	.protected	_ZN7rocprim17ROCPRIM_400000_NS6detail17trampoline_kernelINS0_14default_configENS1_25partition_config_selectorILNS1_17partition_subalgoE1EiNS0_10empty_typeEbEEZZNS1_14partition_implILS5_1ELb0ES3_jN6thrust23THRUST_200600_302600_NS6detail15normal_iteratorINSA_10device_ptrIiEEEEPS6_NSA_18transform_iteratorINSA_8identityIiEESF_NSA_11use_defaultESK_EENS0_5tupleIJSF_SF_EEENSM_IJSG_SG_EEES6_PlJS6_EEE10hipError_tPvRmT3_T4_T5_T6_T7_T9_mT8_P12ihipStream_tbDpT10_ENKUlT_T0_E_clISt17integral_constantIbLb0EES19_EEDaS14_S15_EUlS14_E_NS1_11comp_targetILNS1_3genE2ELNS1_11target_archE906ELNS1_3gpuE6ELNS1_3repE0EEENS1_30default_config_static_selectorELNS0_4arch9wavefront6targetE1EEEvT1_ ; -- Begin function _ZN7rocprim17ROCPRIM_400000_NS6detail17trampoline_kernelINS0_14default_configENS1_25partition_config_selectorILNS1_17partition_subalgoE1EiNS0_10empty_typeEbEEZZNS1_14partition_implILS5_1ELb0ES3_jN6thrust23THRUST_200600_302600_NS6detail15normal_iteratorINSA_10device_ptrIiEEEEPS6_NSA_18transform_iteratorINSA_8identityIiEESF_NSA_11use_defaultESK_EENS0_5tupleIJSF_SF_EEENSM_IJSG_SG_EEES6_PlJS6_EEE10hipError_tPvRmT3_T4_T5_T6_T7_T9_mT8_P12ihipStream_tbDpT10_ENKUlT_T0_E_clISt17integral_constantIbLb0EES19_EEDaS14_S15_EUlS14_E_NS1_11comp_targetILNS1_3genE2ELNS1_11target_archE906ELNS1_3gpuE6ELNS1_3repE0EEENS1_30default_config_static_selectorELNS0_4arch9wavefront6targetE1EEEvT1_
	.globl	_ZN7rocprim17ROCPRIM_400000_NS6detail17trampoline_kernelINS0_14default_configENS1_25partition_config_selectorILNS1_17partition_subalgoE1EiNS0_10empty_typeEbEEZZNS1_14partition_implILS5_1ELb0ES3_jN6thrust23THRUST_200600_302600_NS6detail15normal_iteratorINSA_10device_ptrIiEEEEPS6_NSA_18transform_iteratorINSA_8identityIiEESF_NSA_11use_defaultESK_EENS0_5tupleIJSF_SF_EEENSM_IJSG_SG_EEES6_PlJS6_EEE10hipError_tPvRmT3_T4_T5_T6_T7_T9_mT8_P12ihipStream_tbDpT10_ENKUlT_T0_E_clISt17integral_constantIbLb0EES19_EEDaS14_S15_EUlS14_E_NS1_11comp_targetILNS1_3genE2ELNS1_11target_archE906ELNS1_3gpuE6ELNS1_3repE0EEENS1_30default_config_static_selectorELNS0_4arch9wavefront6targetE1EEEvT1_
	.p2align	8
	.type	_ZN7rocprim17ROCPRIM_400000_NS6detail17trampoline_kernelINS0_14default_configENS1_25partition_config_selectorILNS1_17partition_subalgoE1EiNS0_10empty_typeEbEEZZNS1_14partition_implILS5_1ELb0ES3_jN6thrust23THRUST_200600_302600_NS6detail15normal_iteratorINSA_10device_ptrIiEEEEPS6_NSA_18transform_iteratorINSA_8identityIiEESF_NSA_11use_defaultESK_EENS0_5tupleIJSF_SF_EEENSM_IJSG_SG_EEES6_PlJS6_EEE10hipError_tPvRmT3_T4_T5_T6_T7_T9_mT8_P12ihipStream_tbDpT10_ENKUlT_T0_E_clISt17integral_constantIbLb0EES19_EEDaS14_S15_EUlS14_E_NS1_11comp_targetILNS1_3genE2ELNS1_11target_archE906ELNS1_3gpuE6ELNS1_3repE0EEENS1_30default_config_static_selectorELNS0_4arch9wavefront6targetE1EEEvT1_,@function
_ZN7rocprim17ROCPRIM_400000_NS6detail17trampoline_kernelINS0_14default_configENS1_25partition_config_selectorILNS1_17partition_subalgoE1EiNS0_10empty_typeEbEEZZNS1_14partition_implILS5_1ELb0ES3_jN6thrust23THRUST_200600_302600_NS6detail15normal_iteratorINSA_10device_ptrIiEEEEPS6_NSA_18transform_iteratorINSA_8identityIiEESF_NSA_11use_defaultESK_EENS0_5tupleIJSF_SF_EEENSM_IJSG_SG_EEES6_PlJS6_EEE10hipError_tPvRmT3_T4_T5_T6_T7_T9_mT8_P12ihipStream_tbDpT10_ENKUlT_T0_E_clISt17integral_constantIbLb0EES19_EEDaS14_S15_EUlS14_E_NS1_11comp_targetILNS1_3genE2ELNS1_11target_archE906ELNS1_3gpuE6ELNS1_3repE0EEENS1_30default_config_static_selectorELNS0_4arch9wavefront6targetE1EEEvT1_: ; @_ZN7rocprim17ROCPRIM_400000_NS6detail17trampoline_kernelINS0_14default_configENS1_25partition_config_selectorILNS1_17partition_subalgoE1EiNS0_10empty_typeEbEEZZNS1_14partition_implILS5_1ELb0ES3_jN6thrust23THRUST_200600_302600_NS6detail15normal_iteratorINSA_10device_ptrIiEEEEPS6_NSA_18transform_iteratorINSA_8identityIiEESF_NSA_11use_defaultESK_EENS0_5tupleIJSF_SF_EEENSM_IJSG_SG_EEES6_PlJS6_EEE10hipError_tPvRmT3_T4_T5_T6_T7_T9_mT8_P12ihipStream_tbDpT10_ENKUlT_T0_E_clISt17integral_constantIbLb0EES19_EEDaS14_S15_EUlS14_E_NS1_11comp_targetILNS1_3genE2ELNS1_11target_archE906ELNS1_3gpuE6ELNS1_3repE0EEENS1_30default_config_static_selectorELNS0_4arch9wavefront6targetE1EEEvT1_
; %bb.0:
	.section	.rodata,"a",@progbits
	.p2align	6, 0x0
	.amdhsa_kernel _ZN7rocprim17ROCPRIM_400000_NS6detail17trampoline_kernelINS0_14default_configENS1_25partition_config_selectorILNS1_17partition_subalgoE1EiNS0_10empty_typeEbEEZZNS1_14partition_implILS5_1ELb0ES3_jN6thrust23THRUST_200600_302600_NS6detail15normal_iteratorINSA_10device_ptrIiEEEEPS6_NSA_18transform_iteratorINSA_8identityIiEESF_NSA_11use_defaultESK_EENS0_5tupleIJSF_SF_EEENSM_IJSG_SG_EEES6_PlJS6_EEE10hipError_tPvRmT3_T4_T5_T6_T7_T9_mT8_P12ihipStream_tbDpT10_ENKUlT_T0_E_clISt17integral_constantIbLb0EES19_EEDaS14_S15_EUlS14_E_NS1_11comp_targetILNS1_3genE2ELNS1_11target_archE906ELNS1_3gpuE6ELNS1_3repE0EEENS1_30default_config_static_selectorELNS0_4arch9wavefront6targetE1EEEvT1_
		.amdhsa_group_segment_fixed_size 0
		.amdhsa_private_segment_fixed_size 0
		.amdhsa_kernarg_size 128
		.amdhsa_user_sgpr_count 2
		.amdhsa_user_sgpr_dispatch_ptr 0
		.amdhsa_user_sgpr_queue_ptr 0
		.amdhsa_user_sgpr_kernarg_segment_ptr 1
		.amdhsa_user_sgpr_dispatch_id 0
		.amdhsa_user_sgpr_kernarg_preload_length 0
		.amdhsa_user_sgpr_kernarg_preload_offset 0
		.amdhsa_user_sgpr_private_segment_size 0
		.amdhsa_uses_dynamic_stack 0
		.amdhsa_enable_private_segment 0
		.amdhsa_system_sgpr_workgroup_id_x 1
		.amdhsa_system_sgpr_workgroup_id_y 0
		.amdhsa_system_sgpr_workgroup_id_z 0
		.amdhsa_system_sgpr_workgroup_info 0
		.amdhsa_system_vgpr_workitem_id 0
		.amdhsa_next_free_vgpr 1
		.amdhsa_next_free_sgpr 0
		.amdhsa_accum_offset 4
		.amdhsa_reserve_vcc 0
		.amdhsa_float_round_mode_32 0
		.amdhsa_float_round_mode_16_64 0
		.amdhsa_float_denorm_mode_32 3
		.amdhsa_float_denorm_mode_16_64 3
		.amdhsa_dx10_clamp 1
		.amdhsa_ieee_mode 1
		.amdhsa_fp16_overflow 0
		.amdhsa_tg_split 0
		.amdhsa_exception_fp_ieee_invalid_op 0
		.amdhsa_exception_fp_denorm_src 0
		.amdhsa_exception_fp_ieee_div_zero 0
		.amdhsa_exception_fp_ieee_overflow 0
		.amdhsa_exception_fp_ieee_underflow 0
		.amdhsa_exception_fp_ieee_inexact 0
		.amdhsa_exception_int_div_zero 0
	.end_amdhsa_kernel
	.section	.text._ZN7rocprim17ROCPRIM_400000_NS6detail17trampoline_kernelINS0_14default_configENS1_25partition_config_selectorILNS1_17partition_subalgoE1EiNS0_10empty_typeEbEEZZNS1_14partition_implILS5_1ELb0ES3_jN6thrust23THRUST_200600_302600_NS6detail15normal_iteratorINSA_10device_ptrIiEEEEPS6_NSA_18transform_iteratorINSA_8identityIiEESF_NSA_11use_defaultESK_EENS0_5tupleIJSF_SF_EEENSM_IJSG_SG_EEES6_PlJS6_EEE10hipError_tPvRmT3_T4_T5_T6_T7_T9_mT8_P12ihipStream_tbDpT10_ENKUlT_T0_E_clISt17integral_constantIbLb0EES19_EEDaS14_S15_EUlS14_E_NS1_11comp_targetILNS1_3genE2ELNS1_11target_archE906ELNS1_3gpuE6ELNS1_3repE0EEENS1_30default_config_static_selectorELNS0_4arch9wavefront6targetE1EEEvT1_,"axG",@progbits,_ZN7rocprim17ROCPRIM_400000_NS6detail17trampoline_kernelINS0_14default_configENS1_25partition_config_selectorILNS1_17partition_subalgoE1EiNS0_10empty_typeEbEEZZNS1_14partition_implILS5_1ELb0ES3_jN6thrust23THRUST_200600_302600_NS6detail15normal_iteratorINSA_10device_ptrIiEEEEPS6_NSA_18transform_iteratorINSA_8identityIiEESF_NSA_11use_defaultESK_EENS0_5tupleIJSF_SF_EEENSM_IJSG_SG_EEES6_PlJS6_EEE10hipError_tPvRmT3_T4_T5_T6_T7_T9_mT8_P12ihipStream_tbDpT10_ENKUlT_T0_E_clISt17integral_constantIbLb0EES19_EEDaS14_S15_EUlS14_E_NS1_11comp_targetILNS1_3genE2ELNS1_11target_archE906ELNS1_3gpuE6ELNS1_3repE0EEENS1_30default_config_static_selectorELNS0_4arch9wavefront6targetE1EEEvT1_,comdat
.Lfunc_end613:
	.size	_ZN7rocprim17ROCPRIM_400000_NS6detail17trampoline_kernelINS0_14default_configENS1_25partition_config_selectorILNS1_17partition_subalgoE1EiNS0_10empty_typeEbEEZZNS1_14partition_implILS5_1ELb0ES3_jN6thrust23THRUST_200600_302600_NS6detail15normal_iteratorINSA_10device_ptrIiEEEEPS6_NSA_18transform_iteratorINSA_8identityIiEESF_NSA_11use_defaultESK_EENS0_5tupleIJSF_SF_EEENSM_IJSG_SG_EEES6_PlJS6_EEE10hipError_tPvRmT3_T4_T5_T6_T7_T9_mT8_P12ihipStream_tbDpT10_ENKUlT_T0_E_clISt17integral_constantIbLb0EES19_EEDaS14_S15_EUlS14_E_NS1_11comp_targetILNS1_3genE2ELNS1_11target_archE906ELNS1_3gpuE6ELNS1_3repE0EEENS1_30default_config_static_selectorELNS0_4arch9wavefront6targetE1EEEvT1_, .Lfunc_end613-_ZN7rocprim17ROCPRIM_400000_NS6detail17trampoline_kernelINS0_14default_configENS1_25partition_config_selectorILNS1_17partition_subalgoE1EiNS0_10empty_typeEbEEZZNS1_14partition_implILS5_1ELb0ES3_jN6thrust23THRUST_200600_302600_NS6detail15normal_iteratorINSA_10device_ptrIiEEEEPS6_NSA_18transform_iteratorINSA_8identityIiEESF_NSA_11use_defaultESK_EENS0_5tupleIJSF_SF_EEENSM_IJSG_SG_EEES6_PlJS6_EEE10hipError_tPvRmT3_T4_T5_T6_T7_T9_mT8_P12ihipStream_tbDpT10_ENKUlT_T0_E_clISt17integral_constantIbLb0EES19_EEDaS14_S15_EUlS14_E_NS1_11comp_targetILNS1_3genE2ELNS1_11target_archE906ELNS1_3gpuE6ELNS1_3repE0EEENS1_30default_config_static_selectorELNS0_4arch9wavefront6targetE1EEEvT1_
                                        ; -- End function
	.section	.AMDGPU.csdata,"",@progbits
; Kernel info:
; codeLenInByte = 0
; NumSgprs: 6
; NumVgprs: 0
; NumAgprs: 0
; TotalNumVgprs: 0
; ScratchSize: 0
; MemoryBound: 0
; FloatMode: 240
; IeeeMode: 1
; LDSByteSize: 0 bytes/workgroup (compile time only)
; SGPRBlocks: 0
; VGPRBlocks: 0
; NumSGPRsForWavesPerEU: 6
; NumVGPRsForWavesPerEU: 1
; AccumOffset: 4
; Occupancy: 8
; WaveLimiterHint : 0
; COMPUTE_PGM_RSRC2:SCRATCH_EN: 0
; COMPUTE_PGM_RSRC2:USER_SGPR: 2
; COMPUTE_PGM_RSRC2:TRAP_HANDLER: 0
; COMPUTE_PGM_RSRC2:TGID_X_EN: 1
; COMPUTE_PGM_RSRC2:TGID_Y_EN: 0
; COMPUTE_PGM_RSRC2:TGID_Z_EN: 0
; COMPUTE_PGM_RSRC2:TIDIG_COMP_CNT: 0
; COMPUTE_PGM_RSRC3_GFX90A:ACCUM_OFFSET: 0
; COMPUTE_PGM_RSRC3_GFX90A:TG_SPLIT: 0
	.section	.text._ZN7rocprim17ROCPRIM_400000_NS6detail17trampoline_kernelINS0_14default_configENS1_25partition_config_selectorILNS1_17partition_subalgoE1EiNS0_10empty_typeEbEEZZNS1_14partition_implILS5_1ELb0ES3_jN6thrust23THRUST_200600_302600_NS6detail15normal_iteratorINSA_10device_ptrIiEEEEPS6_NSA_18transform_iteratorINSA_8identityIiEESF_NSA_11use_defaultESK_EENS0_5tupleIJSF_SF_EEENSM_IJSG_SG_EEES6_PlJS6_EEE10hipError_tPvRmT3_T4_T5_T6_T7_T9_mT8_P12ihipStream_tbDpT10_ENKUlT_T0_E_clISt17integral_constantIbLb0EES19_EEDaS14_S15_EUlS14_E_NS1_11comp_targetILNS1_3genE10ELNS1_11target_archE1200ELNS1_3gpuE4ELNS1_3repE0EEENS1_30default_config_static_selectorELNS0_4arch9wavefront6targetE1EEEvT1_,"axG",@progbits,_ZN7rocprim17ROCPRIM_400000_NS6detail17trampoline_kernelINS0_14default_configENS1_25partition_config_selectorILNS1_17partition_subalgoE1EiNS0_10empty_typeEbEEZZNS1_14partition_implILS5_1ELb0ES3_jN6thrust23THRUST_200600_302600_NS6detail15normal_iteratorINSA_10device_ptrIiEEEEPS6_NSA_18transform_iteratorINSA_8identityIiEESF_NSA_11use_defaultESK_EENS0_5tupleIJSF_SF_EEENSM_IJSG_SG_EEES6_PlJS6_EEE10hipError_tPvRmT3_T4_T5_T6_T7_T9_mT8_P12ihipStream_tbDpT10_ENKUlT_T0_E_clISt17integral_constantIbLb0EES19_EEDaS14_S15_EUlS14_E_NS1_11comp_targetILNS1_3genE10ELNS1_11target_archE1200ELNS1_3gpuE4ELNS1_3repE0EEENS1_30default_config_static_selectorELNS0_4arch9wavefront6targetE1EEEvT1_,comdat
	.protected	_ZN7rocprim17ROCPRIM_400000_NS6detail17trampoline_kernelINS0_14default_configENS1_25partition_config_selectorILNS1_17partition_subalgoE1EiNS0_10empty_typeEbEEZZNS1_14partition_implILS5_1ELb0ES3_jN6thrust23THRUST_200600_302600_NS6detail15normal_iteratorINSA_10device_ptrIiEEEEPS6_NSA_18transform_iteratorINSA_8identityIiEESF_NSA_11use_defaultESK_EENS0_5tupleIJSF_SF_EEENSM_IJSG_SG_EEES6_PlJS6_EEE10hipError_tPvRmT3_T4_T5_T6_T7_T9_mT8_P12ihipStream_tbDpT10_ENKUlT_T0_E_clISt17integral_constantIbLb0EES19_EEDaS14_S15_EUlS14_E_NS1_11comp_targetILNS1_3genE10ELNS1_11target_archE1200ELNS1_3gpuE4ELNS1_3repE0EEENS1_30default_config_static_selectorELNS0_4arch9wavefront6targetE1EEEvT1_ ; -- Begin function _ZN7rocprim17ROCPRIM_400000_NS6detail17trampoline_kernelINS0_14default_configENS1_25partition_config_selectorILNS1_17partition_subalgoE1EiNS0_10empty_typeEbEEZZNS1_14partition_implILS5_1ELb0ES3_jN6thrust23THRUST_200600_302600_NS6detail15normal_iteratorINSA_10device_ptrIiEEEEPS6_NSA_18transform_iteratorINSA_8identityIiEESF_NSA_11use_defaultESK_EENS0_5tupleIJSF_SF_EEENSM_IJSG_SG_EEES6_PlJS6_EEE10hipError_tPvRmT3_T4_T5_T6_T7_T9_mT8_P12ihipStream_tbDpT10_ENKUlT_T0_E_clISt17integral_constantIbLb0EES19_EEDaS14_S15_EUlS14_E_NS1_11comp_targetILNS1_3genE10ELNS1_11target_archE1200ELNS1_3gpuE4ELNS1_3repE0EEENS1_30default_config_static_selectorELNS0_4arch9wavefront6targetE1EEEvT1_
	.globl	_ZN7rocprim17ROCPRIM_400000_NS6detail17trampoline_kernelINS0_14default_configENS1_25partition_config_selectorILNS1_17partition_subalgoE1EiNS0_10empty_typeEbEEZZNS1_14partition_implILS5_1ELb0ES3_jN6thrust23THRUST_200600_302600_NS6detail15normal_iteratorINSA_10device_ptrIiEEEEPS6_NSA_18transform_iteratorINSA_8identityIiEESF_NSA_11use_defaultESK_EENS0_5tupleIJSF_SF_EEENSM_IJSG_SG_EEES6_PlJS6_EEE10hipError_tPvRmT3_T4_T5_T6_T7_T9_mT8_P12ihipStream_tbDpT10_ENKUlT_T0_E_clISt17integral_constantIbLb0EES19_EEDaS14_S15_EUlS14_E_NS1_11comp_targetILNS1_3genE10ELNS1_11target_archE1200ELNS1_3gpuE4ELNS1_3repE0EEENS1_30default_config_static_selectorELNS0_4arch9wavefront6targetE1EEEvT1_
	.p2align	8
	.type	_ZN7rocprim17ROCPRIM_400000_NS6detail17trampoline_kernelINS0_14default_configENS1_25partition_config_selectorILNS1_17partition_subalgoE1EiNS0_10empty_typeEbEEZZNS1_14partition_implILS5_1ELb0ES3_jN6thrust23THRUST_200600_302600_NS6detail15normal_iteratorINSA_10device_ptrIiEEEEPS6_NSA_18transform_iteratorINSA_8identityIiEESF_NSA_11use_defaultESK_EENS0_5tupleIJSF_SF_EEENSM_IJSG_SG_EEES6_PlJS6_EEE10hipError_tPvRmT3_T4_T5_T6_T7_T9_mT8_P12ihipStream_tbDpT10_ENKUlT_T0_E_clISt17integral_constantIbLb0EES19_EEDaS14_S15_EUlS14_E_NS1_11comp_targetILNS1_3genE10ELNS1_11target_archE1200ELNS1_3gpuE4ELNS1_3repE0EEENS1_30default_config_static_selectorELNS0_4arch9wavefront6targetE1EEEvT1_,@function
_ZN7rocprim17ROCPRIM_400000_NS6detail17trampoline_kernelINS0_14default_configENS1_25partition_config_selectorILNS1_17partition_subalgoE1EiNS0_10empty_typeEbEEZZNS1_14partition_implILS5_1ELb0ES3_jN6thrust23THRUST_200600_302600_NS6detail15normal_iteratorINSA_10device_ptrIiEEEEPS6_NSA_18transform_iteratorINSA_8identityIiEESF_NSA_11use_defaultESK_EENS0_5tupleIJSF_SF_EEENSM_IJSG_SG_EEES6_PlJS6_EEE10hipError_tPvRmT3_T4_T5_T6_T7_T9_mT8_P12ihipStream_tbDpT10_ENKUlT_T0_E_clISt17integral_constantIbLb0EES19_EEDaS14_S15_EUlS14_E_NS1_11comp_targetILNS1_3genE10ELNS1_11target_archE1200ELNS1_3gpuE4ELNS1_3repE0EEENS1_30default_config_static_selectorELNS0_4arch9wavefront6targetE1EEEvT1_: ; @_ZN7rocprim17ROCPRIM_400000_NS6detail17trampoline_kernelINS0_14default_configENS1_25partition_config_selectorILNS1_17partition_subalgoE1EiNS0_10empty_typeEbEEZZNS1_14partition_implILS5_1ELb0ES3_jN6thrust23THRUST_200600_302600_NS6detail15normal_iteratorINSA_10device_ptrIiEEEEPS6_NSA_18transform_iteratorINSA_8identityIiEESF_NSA_11use_defaultESK_EENS0_5tupleIJSF_SF_EEENSM_IJSG_SG_EEES6_PlJS6_EEE10hipError_tPvRmT3_T4_T5_T6_T7_T9_mT8_P12ihipStream_tbDpT10_ENKUlT_T0_E_clISt17integral_constantIbLb0EES19_EEDaS14_S15_EUlS14_E_NS1_11comp_targetILNS1_3genE10ELNS1_11target_archE1200ELNS1_3gpuE4ELNS1_3repE0EEENS1_30default_config_static_selectorELNS0_4arch9wavefront6targetE1EEEvT1_
; %bb.0:
	.section	.rodata,"a",@progbits
	.p2align	6, 0x0
	.amdhsa_kernel _ZN7rocprim17ROCPRIM_400000_NS6detail17trampoline_kernelINS0_14default_configENS1_25partition_config_selectorILNS1_17partition_subalgoE1EiNS0_10empty_typeEbEEZZNS1_14partition_implILS5_1ELb0ES3_jN6thrust23THRUST_200600_302600_NS6detail15normal_iteratorINSA_10device_ptrIiEEEEPS6_NSA_18transform_iteratorINSA_8identityIiEESF_NSA_11use_defaultESK_EENS0_5tupleIJSF_SF_EEENSM_IJSG_SG_EEES6_PlJS6_EEE10hipError_tPvRmT3_T4_T5_T6_T7_T9_mT8_P12ihipStream_tbDpT10_ENKUlT_T0_E_clISt17integral_constantIbLb0EES19_EEDaS14_S15_EUlS14_E_NS1_11comp_targetILNS1_3genE10ELNS1_11target_archE1200ELNS1_3gpuE4ELNS1_3repE0EEENS1_30default_config_static_selectorELNS0_4arch9wavefront6targetE1EEEvT1_
		.amdhsa_group_segment_fixed_size 0
		.amdhsa_private_segment_fixed_size 0
		.amdhsa_kernarg_size 128
		.amdhsa_user_sgpr_count 2
		.amdhsa_user_sgpr_dispatch_ptr 0
		.amdhsa_user_sgpr_queue_ptr 0
		.amdhsa_user_sgpr_kernarg_segment_ptr 1
		.amdhsa_user_sgpr_dispatch_id 0
		.amdhsa_user_sgpr_kernarg_preload_length 0
		.amdhsa_user_sgpr_kernarg_preload_offset 0
		.amdhsa_user_sgpr_private_segment_size 0
		.amdhsa_uses_dynamic_stack 0
		.amdhsa_enable_private_segment 0
		.amdhsa_system_sgpr_workgroup_id_x 1
		.amdhsa_system_sgpr_workgroup_id_y 0
		.amdhsa_system_sgpr_workgroup_id_z 0
		.amdhsa_system_sgpr_workgroup_info 0
		.amdhsa_system_vgpr_workitem_id 0
		.amdhsa_next_free_vgpr 1
		.amdhsa_next_free_sgpr 0
		.amdhsa_accum_offset 4
		.amdhsa_reserve_vcc 0
		.amdhsa_float_round_mode_32 0
		.amdhsa_float_round_mode_16_64 0
		.amdhsa_float_denorm_mode_32 3
		.amdhsa_float_denorm_mode_16_64 3
		.amdhsa_dx10_clamp 1
		.amdhsa_ieee_mode 1
		.amdhsa_fp16_overflow 0
		.amdhsa_tg_split 0
		.amdhsa_exception_fp_ieee_invalid_op 0
		.amdhsa_exception_fp_denorm_src 0
		.amdhsa_exception_fp_ieee_div_zero 0
		.amdhsa_exception_fp_ieee_overflow 0
		.amdhsa_exception_fp_ieee_underflow 0
		.amdhsa_exception_fp_ieee_inexact 0
		.amdhsa_exception_int_div_zero 0
	.end_amdhsa_kernel
	.section	.text._ZN7rocprim17ROCPRIM_400000_NS6detail17trampoline_kernelINS0_14default_configENS1_25partition_config_selectorILNS1_17partition_subalgoE1EiNS0_10empty_typeEbEEZZNS1_14partition_implILS5_1ELb0ES3_jN6thrust23THRUST_200600_302600_NS6detail15normal_iteratorINSA_10device_ptrIiEEEEPS6_NSA_18transform_iteratorINSA_8identityIiEESF_NSA_11use_defaultESK_EENS0_5tupleIJSF_SF_EEENSM_IJSG_SG_EEES6_PlJS6_EEE10hipError_tPvRmT3_T4_T5_T6_T7_T9_mT8_P12ihipStream_tbDpT10_ENKUlT_T0_E_clISt17integral_constantIbLb0EES19_EEDaS14_S15_EUlS14_E_NS1_11comp_targetILNS1_3genE10ELNS1_11target_archE1200ELNS1_3gpuE4ELNS1_3repE0EEENS1_30default_config_static_selectorELNS0_4arch9wavefront6targetE1EEEvT1_,"axG",@progbits,_ZN7rocprim17ROCPRIM_400000_NS6detail17trampoline_kernelINS0_14default_configENS1_25partition_config_selectorILNS1_17partition_subalgoE1EiNS0_10empty_typeEbEEZZNS1_14partition_implILS5_1ELb0ES3_jN6thrust23THRUST_200600_302600_NS6detail15normal_iteratorINSA_10device_ptrIiEEEEPS6_NSA_18transform_iteratorINSA_8identityIiEESF_NSA_11use_defaultESK_EENS0_5tupleIJSF_SF_EEENSM_IJSG_SG_EEES6_PlJS6_EEE10hipError_tPvRmT3_T4_T5_T6_T7_T9_mT8_P12ihipStream_tbDpT10_ENKUlT_T0_E_clISt17integral_constantIbLb0EES19_EEDaS14_S15_EUlS14_E_NS1_11comp_targetILNS1_3genE10ELNS1_11target_archE1200ELNS1_3gpuE4ELNS1_3repE0EEENS1_30default_config_static_selectorELNS0_4arch9wavefront6targetE1EEEvT1_,comdat
.Lfunc_end614:
	.size	_ZN7rocprim17ROCPRIM_400000_NS6detail17trampoline_kernelINS0_14default_configENS1_25partition_config_selectorILNS1_17partition_subalgoE1EiNS0_10empty_typeEbEEZZNS1_14partition_implILS5_1ELb0ES3_jN6thrust23THRUST_200600_302600_NS6detail15normal_iteratorINSA_10device_ptrIiEEEEPS6_NSA_18transform_iteratorINSA_8identityIiEESF_NSA_11use_defaultESK_EENS0_5tupleIJSF_SF_EEENSM_IJSG_SG_EEES6_PlJS6_EEE10hipError_tPvRmT3_T4_T5_T6_T7_T9_mT8_P12ihipStream_tbDpT10_ENKUlT_T0_E_clISt17integral_constantIbLb0EES19_EEDaS14_S15_EUlS14_E_NS1_11comp_targetILNS1_3genE10ELNS1_11target_archE1200ELNS1_3gpuE4ELNS1_3repE0EEENS1_30default_config_static_selectorELNS0_4arch9wavefront6targetE1EEEvT1_, .Lfunc_end614-_ZN7rocprim17ROCPRIM_400000_NS6detail17trampoline_kernelINS0_14default_configENS1_25partition_config_selectorILNS1_17partition_subalgoE1EiNS0_10empty_typeEbEEZZNS1_14partition_implILS5_1ELb0ES3_jN6thrust23THRUST_200600_302600_NS6detail15normal_iteratorINSA_10device_ptrIiEEEEPS6_NSA_18transform_iteratorINSA_8identityIiEESF_NSA_11use_defaultESK_EENS0_5tupleIJSF_SF_EEENSM_IJSG_SG_EEES6_PlJS6_EEE10hipError_tPvRmT3_T4_T5_T6_T7_T9_mT8_P12ihipStream_tbDpT10_ENKUlT_T0_E_clISt17integral_constantIbLb0EES19_EEDaS14_S15_EUlS14_E_NS1_11comp_targetILNS1_3genE10ELNS1_11target_archE1200ELNS1_3gpuE4ELNS1_3repE0EEENS1_30default_config_static_selectorELNS0_4arch9wavefront6targetE1EEEvT1_
                                        ; -- End function
	.section	.AMDGPU.csdata,"",@progbits
; Kernel info:
; codeLenInByte = 0
; NumSgprs: 6
; NumVgprs: 0
; NumAgprs: 0
; TotalNumVgprs: 0
; ScratchSize: 0
; MemoryBound: 0
; FloatMode: 240
; IeeeMode: 1
; LDSByteSize: 0 bytes/workgroup (compile time only)
; SGPRBlocks: 0
; VGPRBlocks: 0
; NumSGPRsForWavesPerEU: 6
; NumVGPRsForWavesPerEU: 1
; AccumOffset: 4
; Occupancy: 8
; WaveLimiterHint : 0
; COMPUTE_PGM_RSRC2:SCRATCH_EN: 0
; COMPUTE_PGM_RSRC2:USER_SGPR: 2
; COMPUTE_PGM_RSRC2:TRAP_HANDLER: 0
; COMPUTE_PGM_RSRC2:TGID_X_EN: 1
; COMPUTE_PGM_RSRC2:TGID_Y_EN: 0
; COMPUTE_PGM_RSRC2:TGID_Z_EN: 0
; COMPUTE_PGM_RSRC2:TIDIG_COMP_CNT: 0
; COMPUTE_PGM_RSRC3_GFX90A:ACCUM_OFFSET: 0
; COMPUTE_PGM_RSRC3_GFX90A:TG_SPLIT: 0
	.section	.text._ZN7rocprim17ROCPRIM_400000_NS6detail17trampoline_kernelINS0_14default_configENS1_25partition_config_selectorILNS1_17partition_subalgoE1EiNS0_10empty_typeEbEEZZNS1_14partition_implILS5_1ELb0ES3_jN6thrust23THRUST_200600_302600_NS6detail15normal_iteratorINSA_10device_ptrIiEEEEPS6_NSA_18transform_iteratorINSA_8identityIiEESF_NSA_11use_defaultESK_EENS0_5tupleIJSF_SF_EEENSM_IJSG_SG_EEES6_PlJS6_EEE10hipError_tPvRmT3_T4_T5_T6_T7_T9_mT8_P12ihipStream_tbDpT10_ENKUlT_T0_E_clISt17integral_constantIbLb0EES19_EEDaS14_S15_EUlS14_E_NS1_11comp_targetILNS1_3genE9ELNS1_11target_archE1100ELNS1_3gpuE3ELNS1_3repE0EEENS1_30default_config_static_selectorELNS0_4arch9wavefront6targetE1EEEvT1_,"axG",@progbits,_ZN7rocprim17ROCPRIM_400000_NS6detail17trampoline_kernelINS0_14default_configENS1_25partition_config_selectorILNS1_17partition_subalgoE1EiNS0_10empty_typeEbEEZZNS1_14partition_implILS5_1ELb0ES3_jN6thrust23THRUST_200600_302600_NS6detail15normal_iteratorINSA_10device_ptrIiEEEEPS6_NSA_18transform_iteratorINSA_8identityIiEESF_NSA_11use_defaultESK_EENS0_5tupleIJSF_SF_EEENSM_IJSG_SG_EEES6_PlJS6_EEE10hipError_tPvRmT3_T4_T5_T6_T7_T9_mT8_P12ihipStream_tbDpT10_ENKUlT_T0_E_clISt17integral_constantIbLb0EES19_EEDaS14_S15_EUlS14_E_NS1_11comp_targetILNS1_3genE9ELNS1_11target_archE1100ELNS1_3gpuE3ELNS1_3repE0EEENS1_30default_config_static_selectorELNS0_4arch9wavefront6targetE1EEEvT1_,comdat
	.protected	_ZN7rocprim17ROCPRIM_400000_NS6detail17trampoline_kernelINS0_14default_configENS1_25partition_config_selectorILNS1_17partition_subalgoE1EiNS0_10empty_typeEbEEZZNS1_14partition_implILS5_1ELb0ES3_jN6thrust23THRUST_200600_302600_NS6detail15normal_iteratorINSA_10device_ptrIiEEEEPS6_NSA_18transform_iteratorINSA_8identityIiEESF_NSA_11use_defaultESK_EENS0_5tupleIJSF_SF_EEENSM_IJSG_SG_EEES6_PlJS6_EEE10hipError_tPvRmT3_T4_T5_T6_T7_T9_mT8_P12ihipStream_tbDpT10_ENKUlT_T0_E_clISt17integral_constantIbLb0EES19_EEDaS14_S15_EUlS14_E_NS1_11comp_targetILNS1_3genE9ELNS1_11target_archE1100ELNS1_3gpuE3ELNS1_3repE0EEENS1_30default_config_static_selectorELNS0_4arch9wavefront6targetE1EEEvT1_ ; -- Begin function _ZN7rocprim17ROCPRIM_400000_NS6detail17trampoline_kernelINS0_14default_configENS1_25partition_config_selectorILNS1_17partition_subalgoE1EiNS0_10empty_typeEbEEZZNS1_14partition_implILS5_1ELb0ES3_jN6thrust23THRUST_200600_302600_NS6detail15normal_iteratorINSA_10device_ptrIiEEEEPS6_NSA_18transform_iteratorINSA_8identityIiEESF_NSA_11use_defaultESK_EENS0_5tupleIJSF_SF_EEENSM_IJSG_SG_EEES6_PlJS6_EEE10hipError_tPvRmT3_T4_T5_T6_T7_T9_mT8_P12ihipStream_tbDpT10_ENKUlT_T0_E_clISt17integral_constantIbLb0EES19_EEDaS14_S15_EUlS14_E_NS1_11comp_targetILNS1_3genE9ELNS1_11target_archE1100ELNS1_3gpuE3ELNS1_3repE0EEENS1_30default_config_static_selectorELNS0_4arch9wavefront6targetE1EEEvT1_
	.globl	_ZN7rocprim17ROCPRIM_400000_NS6detail17trampoline_kernelINS0_14default_configENS1_25partition_config_selectorILNS1_17partition_subalgoE1EiNS0_10empty_typeEbEEZZNS1_14partition_implILS5_1ELb0ES3_jN6thrust23THRUST_200600_302600_NS6detail15normal_iteratorINSA_10device_ptrIiEEEEPS6_NSA_18transform_iteratorINSA_8identityIiEESF_NSA_11use_defaultESK_EENS0_5tupleIJSF_SF_EEENSM_IJSG_SG_EEES6_PlJS6_EEE10hipError_tPvRmT3_T4_T5_T6_T7_T9_mT8_P12ihipStream_tbDpT10_ENKUlT_T0_E_clISt17integral_constantIbLb0EES19_EEDaS14_S15_EUlS14_E_NS1_11comp_targetILNS1_3genE9ELNS1_11target_archE1100ELNS1_3gpuE3ELNS1_3repE0EEENS1_30default_config_static_selectorELNS0_4arch9wavefront6targetE1EEEvT1_
	.p2align	8
	.type	_ZN7rocprim17ROCPRIM_400000_NS6detail17trampoline_kernelINS0_14default_configENS1_25partition_config_selectorILNS1_17partition_subalgoE1EiNS0_10empty_typeEbEEZZNS1_14partition_implILS5_1ELb0ES3_jN6thrust23THRUST_200600_302600_NS6detail15normal_iteratorINSA_10device_ptrIiEEEEPS6_NSA_18transform_iteratorINSA_8identityIiEESF_NSA_11use_defaultESK_EENS0_5tupleIJSF_SF_EEENSM_IJSG_SG_EEES6_PlJS6_EEE10hipError_tPvRmT3_T4_T5_T6_T7_T9_mT8_P12ihipStream_tbDpT10_ENKUlT_T0_E_clISt17integral_constantIbLb0EES19_EEDaS14_S15_EUlS14_E_NS1_11comp_targetILNS1_3genE9ELNS1_11target_archE1100ELNS1_3gpuE3ELNS1_3repE0EEENS1_30default_config_static_selectorELNS0_4arch9wavefront6targetE1EEEvT1_,@function
_ZN7rocprim17ROCPRIM_400000_NS6detail17trampoline_kernelINS0_14default_configENS1_25partition_config_selectorILNS1_17partition_subalgoE1EiNS0_10empty_typeEbEEZZNS1_14partition_implILS5_1ELb0ES3_jN6thrust23THRUST_200600_302600_NS6detail15normal_iteratorINSA_10device_ptrIiEEEEPS6_NSA_18transform_iteratorINSA_8identityIiEESF_NSA_11use_defaultESK_EENS0_5tupleIJSF_SF_EEENSM_IJSG_SG_EEES6_PlJS6_EEE10hipError_tPvRmT3_T4_T5_T6_T7_T9_mT8_P12ihipStream_tbDpT10_ENKUlT_T0_E_clISt17integral_constantIbLb0EES19_EEDaS14_S15_EUlS14_E_NS1_11comp_targetILNS1_3genE9ELNS1_11target_archE1100ELNS1_3gpuE3ELNS1_3repE0EEENS1_30default_config_static_selectorELNS0_4arch9wavefront6targetE1EEEvT1_: ; @_ZN7rocprim17ROCPRIM_400000_NS6detail17trampoline_kernelINS0_14default_configENS1_25partition_config_selectorILNS1_17partition_subalgoE1EiNS0_10empty_typeEbEEZZNS1_14partition_implILS5_1ELb0ES3_jN6thrust23THRUST_200600_302600_NS6detail15normal_iteratorINSA_10device_ptrIiEEEEPS6_NSA_18transform_iteratorINSA_8identityIiEESF_NSA_11use_defaultESK_EENS0_5tupleIJSF_SF_EEENSM_IJSG_SG_EEES6_PlJS6_EEE10hipError_tPvRmT3_T4_T5_T6_T7_T9_mT8_P12ihipStream_tbDpT10_ENKUlT_T0_E_clISt17integral_constantIbLb0EES19_EEDaS14_S15_EUlS14_E_NS1_11comp_targetILNS1_3genE9ELNS1_11target_archE1100ELNS1_3gpuE3ELNS1_3repE0EEENS1_30default_config_static_selectorELNS0_4arch9wavefront6targetE1EEEvT1_
; %bb.0:
	.section	.rodata,"a",@progbits
	.p2align	6, 0x0
	.amdhsa_kernel _ZN7rocprim17ROCPRIM_400000_NS6detail17trampoline_kernelINS0_14default_configENS1_25partition_config_selectorILNS1_17partition_subalgoE1EiNS0_10empty_typeEbEEZZNS1_14partition_implILS5_1ELb0ES3_jN6thrust23THRUST_200600_302600_NS6detail15normal_iteratorINSA_10device_ptrIiEEEEPS6_NSA_18transform_iteratorINSA_8identityIiEESF_NSA_11use_defaultESK_EENS0_5tupleIJSF_SF_EEENSM_IJSG_SG_EEES6_PlJS6_EEE10hipError_tPvRmT3_T4_T5_T6_T7_T9_mT8_P12ihipStream_tbDpT10_ENKUlT_T0_E_clISt17integral_constantIbLb0EES19_EEDaS14_S15_EUlS14_E_NS1_11comp_targetILNS1_3genE9ELNS1_11target_archE1100ELNS1_3gpuE3ELNS1_3repE0EEENS1_30default_config_static_selectorELNS0_4arch9wavefront6targetE1EEEvT1_
		.amdhsa_group_segment_fixed_size 0
		.amdhsa_private_segment_fixed_size 0
		.amdhsa_kernarg_size 128
		.amdhsa_user_sgpr_count 2
		.amdhsa_user_sgpr_dispatch_ptr 0
		.amdhsa_user_sgpr_queue_ptr 0
		.amdhsa_user_sgpr_kernarg_segment_ptr 1
		.amdhsa_user_sgpr_dispatch_id 0
		.amdhsa_user_sgpr_kernarg_preload_length 0
		.amdhsa_user_sgpr_kernarg_preload_offset 0
		.amdhsa_user_sgpr_private_segment_size 0
		.amdhsa_uses_dynamic_stack 0
		.amdhsa_enable_private_segment 0
		.amdhsa_system_sgpr_workgroup_id_x 1
		.amdhsa_system_sgpr_workgroup_id_y 0
		.amdhsa_system_sgpr_workgroup_id_z 0
		.amdhsa_system_sgpr_workgroup_info 0
		.amdhsa_system_vgpr_workitem_id 0
		.amdhsa_next_free_vgpr 1
		.amdhsa_next_free_sgpr 0
		.amdhsa_accum_offset 4
		.amdhsa_reserve_vcc 0
		.amdhsa_float_round_mode_32 0
		.amdhsa_float_round_mode_16_64 0
		.amdhsa_float_denorm_mode_32 3
		.amdhsa_float_denorm_mode_16_64 3
		.amdhsa_dx10_clamp 1
		.amdhsa_ieee_mode 1
		.amdhsa_fp16_overflow 0
		.amdhsa_tg_split 0
		.amdhsa_exception_fp_ieee_invalid_op 0
		.amdhsa_exception_fp_denorm_src 0
		.amdhsa_exception_fp_ieee_div_zero 0
		.amdhsa_exception_fp_ieee_overflow 0
		.amdhsa_exception_fp_ieee_underflow 0
		.amdhsa_exception_fp_ieee_inexact 0
		.amdhsa_exception_int_div_zero 0
	.end_amdhsa_kernel
	.section	.text._ZN7rocprim17ROCPRIM_400000_NS6detail17trampoline_kernelINS0_14default_configENS1_25partition_config_selectorILNS1_17partition_subalgoE1EiNS0_10empty_typeEbEEZZNS1_14partition_implILS5_1ELb0ES3_jN6thrust23THRUST_200600_302600_NS6detail15normal_iteratorINSA_10device_ptrIiEEEEPS6_NSA_18transform_iteratorINSA_8identityIiEESF_NSA_11use_defaultESK_EENS0_5tupleIJSF_SF_EEENSM_IJSG_SG_EEES6_PlJS6_EEE10hipError_tPvRmT3_T4_T5_T6_T7_T9_mT8_P12ihipStream_tbDpT10_ENKUlT_T0_E_clISt17integral_constantIbLb0EES19_EEDaS14_S15_EUlS14_E_NS1_11comp_targetILNS1_3genE9ELNS1_11target_archE1100ELNS1_3gpuE3ELNS1_3repE0EEENS1_30default_config_static_selectorELNS0_4arch9wavefront6targetE1EEEvT1_,"axG",@progbits,_ZN7rocprim17ROCPRIM_400000_NS6detail17trampoline_kernelINS0_14default_configENS1_25partition_config_selectorILNS1_17partition_subalgoE1EiNS0_10empty_typeEbEEZZNS1_14partition_implILS5_1ELb0ES3_jN6thrust23THRUST_200600_302600_NS6detail15normal_iteratorINSA_10device_ptrIiEEEEPS6_NSA_18transform_iteratorINSA_8identityIiEESF_NSA_11use_defaultESK_EENS0_5tupleIJSF_SF_EEENSM_IJSG_SG_EEES6_PlJS6_EEE10hipError_tPvRmT3_T4_T5_T6_T7_T9_mT8_P12ihipStream_tbDpT10_ENKUlT_T0_E_clISt17integral_constantIbLb0EES19_EEDaS14_S15_EUlS14_E_NS1_11comp_targetILNS1_3genE9ELNS1_11target_archE1100ELNS1_3gpuE3ELNS1_3repE0EEENS1_30default_config_static_selectorELNS0_4arch9wavefront6targetE1EEEvT1_,comdat
.Lfunc_end615:
	.size	_ZN7rocprim17ROCPRIM_400000_NS6detail17trampoline_kernelINS0_14default_configENS1_25partition_config_selectorILNS1_17partition_subalgoE1EiNS0_10empty_typeEbEEZZNS1_14partition_implILS5_1ELb0ES3_jN6thrust23THRUST_200600_302600_NS6detail15normal_iteratorINSA_10device_ptrIiEEEEPS6_NSA_18transform_iteratorINSA_8identityIiEESF_NSA_11use_defaultESK_EENS0_5tupleIJSF_SF_EEENSM_IJSG_SG_EEES6_PlJS6_EEE10hipError_tPvRmT3_T4_T5_T6_T7_T9_mT8_P12ihipStream_tbDpT10_ENKUlT_T0_E_clISt17integral_constantIbLb0EES19_EEDaS14_S15_EUlS14_E_NS1_11comp_targetILNS1_3genE9ELNS1_11target_archE1100ELNS1_3gpuE3ELNS1_3repE0EEENS1_30default_config_static_selectorELNS0_4arch9wavefront6targetE1EEEvT1_, .Lfunc_end615-_ZN7rocprim17ROCPRIM_400000_NS6detail17trampoline_kernelINS0_14default_configENS1_25partition_config_selectorILNS1_17partition_subalgoE1EiNS0_10empty_typeEbEEZZNS1_14partition_implILS5_1ELb0ES3_jN6thrust23THRUST_200600_302600_NS6detail15normal_iteratorINSA_10device_ptrIiEEEEPS6_NSA_18transform_iteratorINSA_8identityIiEESF_NSA_11use_defaultESK_EENS0_5tupleIJSF_SF_EEENSM_IJSG_SG_EEES6_PlJS6_EEE10hipError_tPvRmT3_T4_T5_T6_T7_T9_mT8_P12ihipStream_tbDpT10_ENKUlT_T0_E_clISt17integral_constantIbLb0EES19_EEDaS14_S15_EUlS14_E_NS1_11comp_targetILNS1_3genE9ELNS1_11target_archE1100ELNS1_3gpuE3ELNS1_3repE0EEENS1_30default_config_static_selectorELNS0_4arch9wavefront6targetE1EEEvT1_
                                        ; -- End function
	.section	.AMDGPU.csdata,"",@progbits
; Kernel info:
; codeLenInByte = 0
; NumSgprs: 6
; NumVgprs: 0
; NumAgprs: 0
; TotalNumVgprs: 0
; ScratchSize: 0
; MemoryBound: 0
; FloatMode: 240
; IeeeMode: 1
; LDSByteSize: 0 bytes/workgroup (compile time only)
; SGPRBlocks: 0
; VGPRBlocks: 0
; NumSGPRsForWavesPerEU: 6
; NumVGPRsForWavesPerEU: 1
; AccumOffset: 4
; Occupancy: 8
; WaveLimiterHint : 0
; COMPUTE_PGM_RSRC2:SCRATCH_EN: 0
; COMPUTE_PGM_RSRC2:USER_SGPR: 2
; COMPUTE_PGM_RSRC2:TRAP_HANDLER: 0
; COMPUTE_PGM_RSRC2:TGID_X_EN: 1
; COMPUTE_PGM_RSRC2:TGID_Y_EN: 0
; COMPUTE_PGM_RSRC2:TGID_Z_EN: 0
; COMPUTE_PGM_RSRC2:TIDIG_COMP_CNT: 0
; COMPUTE_PGM_RSRC3_GFX90A:ACCUM_OFFSET: 0
; COMPUTE_PGM_RSRC3_GFX90A:TG_SPLIT: 0
	.section	.text._ZN7rocprim17ROCPRIM_400000_NS6detail17trampoline_kernelINS0_14default_configENS1_25partition_config_selectorILNS1_17partition_subalgoE1EiNS0_10empty_typeEbEEZZNS1_14partition_implILS5_1ELb0ES3_jN6thrust23THRUST_200600_302600_NS6detail15normal_iteratorINSA_10device_ptrIiEEEEPS6_NSA_18transform_iteratorINSA_8identityIiEESF_NSA_11use_defaultESK_EENS0_5tupleIJSF_SF_EEENSM_IJSG_SG_EEES6_PlJS6_EEE10hipError_tPvRmT3_T4_T5_T6_T7_T9_mT8_P12ihipStream_tbDpT10_ENKUlT_T0_E_clISt17integral_constantIbLb0EES19_EEDaS14_S15_EUlS14_E_NS1_11comp_targetILNS1_3genE8ELNS1_11target_archE1030ELNS1_3gpuE2ELNS1_3repE0EEENS1_30default_config_static_selectorELNS0_4arch9wavefront6targetE1EEEvT1_,"axG",@progbits,_ZN7rocprim17ROCPRIM_400000_NS6detail17trampoline_kernelINS0_14default_configENS1_25partition_config_selectorILNS1_17partition_subalgoE1EiNS0_10empty_typeEbEEZZNS1_14partition_implILS5_1ELb0ES3_jN6thrust23THRUST_200600_302600_NS6detail15normal_iteratorINSA_10device_ptrIiEEEEPS6_NSA_18transform_iteratorINSA_8identityIiEESF_NSA_11use_defaultESK_EENS0_5tupleIJSF_SF_EEENSM_IJSG_SG_EEES6_PlJS6_EEE10hipError_tPvRmT3_T4_T5_T6_T7_T9_mT8_P12ihipStream_tbDpT10_ENKUlT_T0_E_clISt17integral_constantIbLb0EES19_EEDaS14_S15_EUlS14_E_NS1_11comp_targetILNS1_3genE8ELNS1_11target_archE1030ELNS1_3gpuE2ELNS1_3repE0EEENS1_30default_config_static_selectorELNS0_4arch9wavefront6targetE1EEEvT1_,comdat
	.protected	_ZN7rocprim17ROCPRIM_400000_NS6detail17trampoline_kernelINS0_14default_configENS1_25partition_config_selectorILNS1_17partition_subalgoE1EiNS0_10empty_typeEbEEZZNS1_14partition_implILS5_1ELb0ES3_jN6thrust23THRUST_200600_302600_NS6detail15normal_iteratorINSA_10device_ptrIiEEEEPS6_NSA_18transform_iteratorINSA_8identityIiEESF_NSA_11use_defaultESK_EENS0_5tupleIJSF_SF_EEENSM_IJSG_SG_EEES6_PlJS6_EEE10hipError_tPvRmT3_T4_T5_T6_T7_T9_mT8_P12ihipStream_tbDpT10_ENKUlT_T0_E_clISt17integral_constantIbLb0EES19_EEDaS14_S15_EUlS14_E_NS1_11comp_targetILNS1_3genE8ELNS1_11target_archE1030ELNS1_3gpuE2ELNS1_3repE0EEENS1_30default_config_static_selectorELNS0_4arch9wavefront6targetE1EEEvT1_ ; -- Begin function _ZN7rocprim17ROCPRIM_400000_NS6detail17trampoline_kernelINS0_14default_configENS1_25partition_config_selectorILNS1_17partition_subalgoE1EiNS0_10empty_typeEbEEZZNS1_14partition_implILS5_1ELb0ES3_jN6thrust23THRUST_200600_302600_NS6detail15normal_iteratorINSA_10device_ptrIiEEEEPS6_NSA_18transform_iteratorINSA_8identityIiEESF_NSA_11use_defaultESK_EENS0_5tupleIJSF_SF_EEENSM_IJSG_SG_EEES6_PlJS6_EEE10hipError_tPvRmT3_T4_T5_T6_T7_T9_mT8_P12ihipStream_tbDpT10_ENKUlT_T0_E_clISt17integral_constantIbLb0EES19_EEDaS14_S15_EUlS14_E_NS1_11comp_targetILNS1_3genE8ELNS1_11target_archE1030ELNS1_3gpuE2ELNS1_3repE0EEENS1_30default_config_static_selectorELNS0_4arch9wavefront6targetE1EEEvT1_
	.globl	_ZN7rocprim17ROCPRIM_400000_NS6detail17trampoline_kernelINS0_14default_configENS1_25partition_config_selectorILNS1_17partition_subalgoE1EiNS0_10empty_typeEbEEZZNS1_14partition_implILS5_1ELb0ES3_jN6thrust23THRUST_200600_302600_NS6detail15normal_iteratorINSA_10device_ptrIiEEEEPS6_NSA_18transform_iteratorINSA_8identityIiEESF_NSA_11use_defaultESK_EENS0_5tupleIJSF_SF_EEENSM_IJSG_SG_EEES6_PlJS6_EEE10hipError_tPvRmT3_T4_T5_T6_T7_T9_mT8_P12ihipStream_tbDpT10_ENKUlT_T0_E_clISt17integral_constantIbLb0EES19_EEDaS14_S15_EUlS14_E_NS1_11comp_targetILNS1_3genE8ELNS1_11target_archE1030ELNS1_3gpuE2ELNS1_3repE0EEENS1_30default_config_static_selectorELNS0_4arch9wavefront6targetE1EEEvT1_
	.p2align	8
	.type	_ZN7rocprim17ROCPRIM_400000_NS6detail17trampoline_kernelINS0_14default_configENS1_25partition_config_selectorILNS1_17partition_subalgoE1EiNS0_10empty_typeEbEEZZNS1_14partition_implILS5_1ELb0ES3_jN6thrust23THRUST_200600_302600_NS6detail15normal_iteratorINSA_10device_ptrIiEEEEPS6_NSA_18transform_iteratorINSA_8identityIiEESF_NSA_11use_defaultESK_EENS0_5tupleIJSF_SF_EEENSM_IJSG_SG_EEES6_PlJS6_EEE10hipError_tPvRmT3_T4_T5_T6_T7_T9_mT8_P12ihipStream_tbDpT10_ENKUlT_T0_E_clISt17integral_constantIbLb0EES19_EEDaS14_S15_EUlS14_E_NS1_11comp_targetILNS1_3genE8ELNS1_11target_archE1030ELNS1_3gpuE2ELNS1_3repE0EEENS1_30default_config_static_selectorELNS0_4arch9wavefront6targetE1EEEvT1_,@function
_ZN7rocprim17ROCPRIM_400000_NS6detail17trampoline_kernelINS0_14default_configENS1_25partition_config_selectorILNS1_17partition_subalgoE1EiNS0_10empty_typeEbEEZZNS1_14partition_implILS5_1ELb0ES3_jN6thrust23THRUST_200600_302600_NS6detail15normal_iteratorINSA_10device_ptrIiEEEEPS6_NSA_18transform_iteratorINSA_8identityIiEESF_NSA_11use_defaultESK_EENS0_5tupleIJSF_SF_EEENSM_IJSG_SG_EEES6_PlJS6_EEE10hipError_tPvRmT3_T4_T5_T6_T7_T9_mT8_P12ihipStream_tbDpT10_ENKUlT_T0_E_clISt17integral_constantIbLb0EES19_EEDaS14_S15_EUlS14_E_NS1_11comp_targetILNS1_3genE8ELNS1_11target_archE1030ELNS1_3gpuE2ELNS1_3repE0EEENS1_30default_config_static_selectorELNS0_4arch9wavefront6targetE1EEEvT1_: ; @_ZN7rocprim17ROCPRIM_400000_NS6detail17trampoline_kernelINS0_14default_configENS1_25partition_config_selectorILNS1_17partition_subalgoE1EiNS0_10empty_typeEbEEZZNS1_14partition_implILS5_1ELb0ES3_jN6thrust23THRUST_200600_302600_NS6detail15normal_iteratorINSA_10device_ptrIiEEEEPS6_NSA_18transform_iteratorINSA_8identityIiEESF_NSA_11use_defaultESK_EENS0_5tupleIJSF_SF_EEENSM_IJSG_SG_EEES6_PlJS6_EEE10hipError_tPvRmT3_T4_T5_T6_T7_T9_mT8_P12ihipStream_tbDpT10_ENKUlT_T0_E_clISt17integral_constantIbLb0EES19_EEDaS14_S15_EUlS14_E_NS1_11comp_targetILNS1_3genE8ELNS1_11target_archE1030ELNS1_3gpuE2ELNS1_3repE0EEENS1_30default_config_static_selectorELNS0_4arch9wavefront6targetE1EEEvT1_
; %bb.0:
	.section	.rodata,"a",@progbits
	.p2align	6, 0x0
	.amdhsa_kernel _ZN7rocprim17ROCPRIM_400000_NS6detail17trampoline_kernelINS0_14default_configENS1_25partition_config_selectorILNS1_17partition_subalgoE1EiNS0_10empty_typeEbEEZZNS1_14partition_implILS5_1ELb0ES3_jN6thrust23THRUST_200600_302600_NS6detail15normal_iteratorINSA_10device_ptrIiEEEEPS6_NSA_18transform_iteratorINSA_8identityIiEESF_NSA_11use_defaultESK_EENS0_5tupleIJSF_SF_EEENSM_IJSG_SG_EEES6_PlJS6_EEE10hipError_tPvRmT3_T4_T5_T6_T7_T9_mT8_P12ihipStream_tbDpT10_ENKUlT_T0_E_clISt17integral_constantIbLb0EES19_EEDaS14_S15_EUlS14_E_NS1_11comp_targetILNS1_3genE8ELNS1_11target_archE1030ELNS1_3gpuE2ELNS1_3repE0EEENS1_30default_config_static_selectorELNS0_4arch9wavefront6targetE1EEEvT1_
		.amdhsa_group_segment_fixed_size 0
		.amdhsa_private_segment_fixed_size 0
		.amdhsa_kernarg_size 128
		.amdhsa_user_sgpr_count 2
		.amdhsa_user_sgpr_dispatch_ptr 0
		.amdhsa_user_sgpr_queue_ptr 0
		.amdhsa_user_sgpr_kernarg_segment_ptr 1
		.amdhsa_user_sgpr_dispatch_id 0
		.amdhsa_user_sgpr_kernarg_preload_length 0
		.amdhsa_user_sgpr_kernarg_preload_offset 0
		.amdhsa_user_sgpr_private_segment_size 0
		.amdhsa_uses_dynamic_stack 0
		.amdhsa_enable_private_segment 0
		.amdhsa_system_sgpr_workgroup_id_x 1
		.amdhsa_system_sgpr_workgroup_id_y 0
		.amdhsa_system_sgpr_workgroup_id_z 0
		.amdhsa_system_sgpr_workgroup_info 0
		.amdhsa_system_vgpr_workitem_id 0
		.amdhsa_next_free_vgpr 1
		.amdhsa_next_free_sgpr 0
		.amdhsa_accum_offset 4
		.amdhsa_reserve_vcc 0
		.amdhsa_float_round_mode_32 0
		.amdhsa_float_round_mode_16_64 0
		.amdhsa_float_denorm_mode_32 3
		.amdhsa_float_denorm_mode_16_64 3
		.amdhsa_dx10_clamp 1
		.amdhsa_ieee_mode 1
		.amdhsa_fp16_overflow 0
		.amdhsa_tg_split 0
		.amdhsa_exception_fp_ieee_invalid_op 0
		.amdhsa_exception_fp_denorm_src 0
		.amdhsa_exception_fp_ieee_div_zero 0
		.amdhsa_exception_fp_ieee_overflow 0
		.amdhsa_exception_fp_ieee_underflow 0
		.amdhsa_exception_fp_ieee_inexact 0
		.amdhsa_exception_int_div_zero 0
	.end_amdhsa_kernel
	.section	.text._ZN7rocprim17ROCPRIM_400000_NS6detail17trampoline_kernelINS0_14default_configENS1_25partition_config_selectorILNS1_17partition_subalgoE1EiNS0_10empty_typeEbEEZZNS1_14partition_implILS5_1ELb0ES3_jN6thrust23THRUST_200600_302600_NS6detail15normal_iteratorINSA_10device_ptrIiEEEEPS6_NSA_18transform_iteratorINSA_8identityIiEESF_NSA_11use_defaultESK_EENS0_5tupleIJSF_SF_EEENSM_IJSG_SG_EEES6_PlJS6_EEE10hipError_tPvRmT3_T4_T5_T6_T7_T9_mT8_P12ihipStream_tbDpT10_ENKUlT_T0_E_clISt17integral_constantIbLb0EES19_EEDaS14_S15_EUlS14_E_NS1_11comp_targetILNS1_3genE8ELNS1_11target_archE1030ELNS1_3gpuE2ELNS1_3repE0EEENS1_30default_config_static_selectorELNS0_4arch9wavefront6targetE1EEEvT1_,"axG",@progbits,_ZN7rocprim17ROCPRIM_400000_NS6detail17trampoline_kernelINS0_14default_configENS1_25partition_config_selectorILNS1_17partition_subalgoE1EiNS0_10empty_typeEbEEZZNS1_14partition_implILS5_1ELb0ES3_jN6thrust23THRUST_200600_302600_NS6detail15normal_iteratorINSA_10device_ptrIiEEEEPS6_NSA_18transform_iteratorINSA_8identityIiEESF_NSA_11use_defaultESK_EENS0_5tupleIJSF_SF_EEENSM_IJSG_SG_EEES6_PlJS6_EEE10hipError_tPvRmT3_T4_T5_T6_T7_T9_mT8_P12ihipStream_tbDpT10_ENKUlT_T0_E_clISt17integral_constantIbLb0EES19_EEDaS14_S15_EUlS14_E_NS1_11comp_targetILNS1_3genE8ELNS1_11target_archE1030ELNS1_3gpuE2ELNS1_3repE0EEENS1_30default_config_static_selectorELNS0_4arch9wavefront6targetE1EEEvT1_,comdat
.Lfunc_end616:
	.size	_ZN7rocprim17ROCPRIM_400000_NS6detail17trampoline_kernelINS0_14default_configENS1_25partition_config_selectorILNS1_17partition_subalgoE1EiNS0_10empty_typeEbEEZZNS1_14partition_implILS5_1ELb0ES3_jN6thrust23THRUST_200600_302600_NS6detail15normal_iteratorINSA_10device_ptrIiEEEEPS6_NSA_18transform_iteratorINSA_8identityIiEESF_NSA_11use_defaultESK_EENS0_5tupleIJSF_SF_EEENSM_IJSG_SG_EEES6_PlJS6_EEE10hipError_tPvRmT3_T4_T5_T6_T7_T9_mT8_P12ihipStream_tbDpT10_ENKUlT_T0_E_clISt17integral_constantIbLb0EES19_EEDaS14_S15_EUlS14_E_NS1_11comp_targetILNS1_3genE8ELNS1_11target_archE1030ELNS1_3gpuE2ELNS1_3repE0EEENS1_30default_config_static_selectorELNS0_4arch9wavefront6targetE1EEEvT1_, .Lfunc_end616-_ZN7rocprim17ROCPRIM_400000_NS6detail17trampoline_kernelINS0_14default_configENS1_25partition_config_selectorILNS1_17partition_subalgoE1EiNS0_10empty_typeEbEEZZNS1_14partition_implILS5_1ELb0ES3_jN6thrust23THRUST_200600_302600_NS6detail15normal_iteratorINSA_10device_ptrIiEEEEPS6_NSA_18transform_iteratorINSA_8identityIiEESF_NSA_11use_defaultESK_EENS0_5tupleIJSF_SF_EEENSM_IJSG_SG_EEES6_PlJS6_EEE10hipError_tPvRmT3_T4_T5_T6_T7_T9_mT8_P12ihipStream_tbDpT10_ENKUlT_T0_E_clISt17integral_constantIbLb0EES19_EEDaS14_S15_EUlS14_E_NS1_11comp_targetILNS1_3genE8ELNS1_11target_archE1030ELNS1_3gpuE2ELNS1_3repE0EEENS1_30default_config_static_selectorELNS0_4arch9wavefront6targetE1EEEvT1_
                                        ; -- End function
	.section	.AMDGPU.csdata,"",@progbits
; Kernel info:
; codeLenInByte = 0
; NumSgprs: 6
; NumVgprs: 0
; NumAgprs: 0
; TotalNumVgprs: 0
; ScratchSize: 0
; MemoryBound: 0
; FloatMode: 240
; IeeeMode: 1
; LDSByteSize: 0 bytes/workgroup (compile time only)
; SGPRBlocks: 0
; VGPRBlocks: 0
; NumSGPRsForWavesPerEU: 6
; NumVGPRsForWavesPerEU: 1
; AccumOffset: 4
; Occupancy: 8
; WaveLimiterHint : 0
; COMPUTE_PGM_RSRC2:SCRATCH_EN: 0
; COMPUTE_PGM_RSRC2:USER_SGPR: 2
; COMPUTE_PGM_RSRC2:TRAP_HANDLER: 0
; COMPUTE_PGM_RSRC2:TGID_X_EN: 1
; COMPUTE_PGM_RSRC2:TGID_Y_EN: 0
; COMPUTE_PGM_RSRC2:TGID_Z_EN: 0
; COMPUTE_PGM_RSRC2:TIDIG_COMP_CNT: 0
; COMPUTE_PGM_RSRC3_GFX90A:ACCUM_OFFSET: 0
; COMPUTE_PGM_RSRC3_GFX90A:TG_SPLIT: 0
	.section	.text._ZN7rocprim17ROCPRIM_400000_NS6detail17trampoline_kernelINS0_14default_configENS1_25partition_config_selectorILNS1_17partition_subalgoE1EiNS0_10empty_typeEbEEZZNS1_14partition_implILS5_1ELb0ES3_jN6thrust23THRUST_200600_302600_NS6detail15normal_iteratorINSA_10device_ptrIiEEEEPS6_NSA_18transform_iteratorINSA_8identityIiEESF_NSA_11use_defaultESK_EENS0_5tupleIJSF_SF_EEENSM_IJSG_SG_EEES6_PlJS6_EEE10hipError_tPvRmT3_T4_T5_T6_T7_T9_mT8_P12ihipStream_tbDpT10_ENKUlT_T0_E_clISt17integral_constantIbLb1EES19_EEDaS14_S15_EUlS14_E_NS1_11comp_targetILNS1_3genE0ELNS1_11target_archE4294967295ELNS1_3gpuE0ELNS1_3repE0EEENS1_30default_config_static_selectorELNS0_4arch9wavefront6targetE1EEEvT1_,"axG",@progbits,_ZN7rocprim17ROCPRIM_400000_NS6detail17trampoline_kernelINS0_14default_configENS1_25partition_config_selectorILNS1_17partition_subalgoE1EiNS0_10empty_typeEbEEZZNS1_14partition_implILS5_1ELb0ES3_jN6thrust23THRUST_200600_302600_NS6detail15normal_iteratorINSA_10device_ptrIiEEEEPS6_NSA_18transform_iteratorINSA_8identityIiEESF_NSA_11use_defaultESK_EENS0_5tupleIJSF_SF_EEENSM_IJSG_SG_EEES6_PlJS6_EEE10hipError_tPvRmT3_T4_T5_T6_T7_T9_mT8_P12ihipStream_tbDpT10_ENKUlT_T0_E_clISt17integral_constantIbLb1EES19_EEDaS14_S15_EUlS14_E_NS1_11comp_targetILNS1_3genE0ELNS1_11target_archE4294967295ELNS1_3gpuE0ELNS1_3repE0EEENS1_30default_config_static_selectorELNS0_4arch9wavefront6targetE1EEEvT1_,comdat
	.protected	_ZN7rocprim17ROCPRIM_400000_NS6detail17trampoline_kernelINS0_14default_configENS1_25partition_config_selectorILNS1_17partition_subalgoE1EiNS0_10empty_typeEbEEZZNS1_14partition_implILS5_1ELb0ES3_jN6thrust23THRUST_200600_302600_NS6detail15normal_iteratorINSA_10device_ptrIiEEEEPS6_NSA_18transform_iteratorINSA_8identityIiEESF_NSA_11use_defaultESK_EENS0_5tupleIJSF_SF_EEENSM_IJSG_SG_EEES6_PlJS6_EEE10hipError_tPvRmT3_T4_T5_T6_T7_T9_mT8_P12ihipStream_tbDpT10_ENKUlT_T0_E_clISt17integral_constantIbLb1EES19_EEDaS14_S15_EUlS14_E_NS1_11comp_targetILNS1_3genE0ELNS1_11target_archE4294967295ELNS1_3gpuE0ELNS1_3repE0EEENS1_30default_config_static_selectorELNS0_4arch9wavefront6targetE1EEEvT1_ ; -- Begin function _ZN7rocprim17ROCPRIM_400000_NS6detail17trampoline_kernelINS0_14default_configENS1_25partition_config_selectorILNS1_17partition_subalgoE1EiNS0_10empty_typeEbEEZZNS1_14partition_implILS5_1ELb0ES3_jN6thrust23THRUST_200600_302600_NS6detail15normal_iteratorINSA_10device_ptrIiEEEEPS6_NSA_18transform_iteratorINSA_8identityIiEESF_NSA_11use_defaultESK_EENS0_5tupleIJSF_SF_EEENSM_IJSG_SG_EEES6_PlJS6_EEE10hipError_tPvRmT3_T4_T5_T6_T7_T9_mT8_P12ihipStream_tbDpT10_ENKUlT_T0_E_clISt17integral_constantIbLb1EES19_EEDaS14_S15_EUlS14_E_NS1_11comp_targetILNS1_3genE0ELNS1_11target_archE4294967295ELNS1_3gpuE0ELNS1_3repE0EEENS1_30default_config_static_selectorELNS0_4arch9wavefront6targetE1EEEvT1_
	.globl	_ZN7rocprim17ROCPRIM_400000_NS6detail17trampoline_kernelINS0_14default_configENS1_25partition_config_selectorILNS1_17partition_subalgoE1EiNS0_10empty_typeEbEEZZNS1_14partition_implILS5_1ELb0ES3_jN6thrust23THRUST_200600_302600_NS6detail15normal_iteratorINSA_10device_ptrIiEEEEPS6_NSA_18transform_iteratorINSA_8identityIiEESF_NSA_11use_defaultESK_EENS0_5tupleIJSF_SF_EEENSM_IJSG_SG_EEES6_PlJS6_EEE10hipError_tPvRmT3_T4_T5_T6_T7_T9_mT8_P12ihipStream_tbDpT10_ENKUlT_T0_E_clISt17integral_constantIbLb1EES19_EEDaS14_S15_EUlS14_E_NS1_11comp_targetILNS1_3genE0ELNS1_11target_archE4294967295ELNS1_3gpuE0ELNS1_3repE0EEENS1_30default_config_static_selectorELNS0_4arch9wavefront6targetE1EEEvT1_
	.p2align	8
	.type	_ZN7rocprim17ROCPRIM_400000_NS6detail17trampoline_kernelINS0_14default_configENS1_25partition_config_selectorILNS1_17partition_subalgoE1EiNS0_10empty_typeEbEEZZNS1_14partition_implILS5_1ELb0ES3_jN6thrust23THRUST_200600_302600_NS6detail15normal_iteratorINSA_10device_ptrIiEEEEPS6_NSA_18transform_iteratorINSA_8identityIiEESF_NSA_11use_defaultESK_EENS0_5tupleIJSF_SF_EEENSM_IJSG_SG_EEES6_PlJS6_EEE10hipError_tPvRmT3_T4_T5_T6_T7_T9_mT8_P12ihipStream_tbDpT10_ENKUlT_T0_E_clISt17integral_constantIbLb1EES19_EEDaS14_S15_EUlS14_E_NS1_11comp_targetILNS1_3genE0ELNS1_11target_archE4294967295ELNS1_3gpuE0ELNS1_3repE0EEENS1_30default_config_static_selectorELNS0_4arch9wavefront6targetE1EEEvT1_,@function
_ZN7rocprim17ROCPRIM_400000_NS6detail17trampoline_kernelINS0_14default_configENS1_25partition_config_selectorILNS1_17partition_subalgoE1EiNS0_10empty_typeEbEEZZNS1_14partition_implILS5_1ELb0ES3_jN6thrust23THRUST_200600_302600_NS6detail15normal_iteratorINSA_10device_ptrIiEEEEPS6_NSA_18transform_iteratorINSA_8identityIiEESF_NSA_11use_defaultESK_EENS0_5tupleIJSF_SF_EEENSM_IJSG_SG_EEES6_PlJS6_EEE10hipError_tPvRmT3_T4_T5_T6_T7_T9_mT8_P12ihipStream_tbDpT10_ENKUlT_T0_E_clISt17integral_constantIbLb1EES19_EEDaS14_S15_EUlS14_E_NS1_11comp_targetILNS1_3genE0ELNS1_11target_archE4294967295ELNS1_3gpuE0ELNS1_3repE0EEENS1_30default_config_static_selectorELNS0_4arch9wavefront6targetE1EEEvT1_: ; @_ZN7rocprim17ROCPRIM_400000_NS6detail17trampoline_kernelINS0_14default_configENS1_25partition_config_selectorILNS1_17partition_subalgoE1EiNS0_10empty_typeEbEEZZNS1_14partition_implILS5_1ELb0ES3_jN6thrust23THRUST_200600_302600_NS6detail15normal_iteratorINSA_10device_ptrIiEEEEPS6_NSA_18transform_iteratorINSA_8identityIiEESF_NSA_11use_defaultESK_EENS0_5tupleIJSF_SF_EEENSM_IJSG_SG_EEES6_PlJS6_EEE10hipError_tPvRmT3_T4_T5_T6_T7_T9_mT8_P12ihipStream_tbDpT10_ENKUlT_T0_E_clISt17integral_constantIbLb1EES19_EEDaS14_S15_EUlS14_E_NS1_11comp_targetILNS1_3genE0ELNS1_11target_archE4294967295ELNS1_3gpuE0ELNS1_3repE0EEENS1_30default_config_static_selectorELNS0_4arch9wavefront6targetE1EEEvT1_
; %bb.0:
	.section	.rodata,"a",@progbits
	.p2align	6, 0x0
	.amdhsa_kernel _ZN7rocprim17ROCPRIM_400000_NS6detail17trampoline_kernelINS0_14default_configENS1_25partition_config_selectorILNS1_17partition_subalgoE1EiNS0_10empty_typeEbEEZZNS1_14partition_implILS5_1ELb0ES3_jN6thrust23THRUST_200600_302600_NS6detail15normal_iteratorINSA_10device_ptrIiEEEEPS6_NSA_18transform_iteratorINSA_8identityIiEESF_NSA_11use_defaultESK_EENS0_5tupleIJSF_SF_EEENSM_IJSG_SG_EEES6_PlJS6_EEE10hipError_tPvRmT3_T4_T5_T6_T7_T9_mT8_P12ihipStream_tbDpT10_ENKUlT_T0_E_clISt17integral_constantIbLb1EES19_EEDaS14_S15_EUlS14_E_NS1_11comp_targetILNS1_3genE0ELNS1_11target_archE4294967295ELNS1_3gpuE0ELNS1_3repE0EEENS1_30default_config_static_selectorELNS0_4arch9wavefront6targetE1EEEvT1_
		.amdhsa_group_segment_fixed_size 0
		.amdhsa_private_segment_fixed_size 0
		.amdhsa_kernarg_size 144
		.amdhsa_user_sgpr_count 2
		.amdhsa_user_sgpr_dispatch_ptr 0
		.amdhsa_user_sgpr_queue_ptr 0
		.amdhsa_user_sgpr_kernarg_segment_ptr 1
		.amdhsa_user_sgpr_dispatch_id 0
		.amdhsa_user_sgpr_kernarg_preload_length 0
		.amdhsa_user_sgpr_kernarg_preload_offset 0
		.amdhsa_user_sgpr_private_segment_size 0
		.amdhsa_uses_dynamic_stack 0
		.amdhsa_enable_private_segment 0
		.amdhsa_system_sgpr_workgroup_id_x 1
		.amdhsa_system_sgpr_workgroup_id_y 0
		.amdhsa_system_sgpr_workgroup_id_z 0
		.amdhsa_system_sgpr_workgroup_info 0
		.amdhsa_system_vgpr_workitem_id 0
		.amdhsa_next_free_vgpr 1
		.amdhsa_next_free_sgpr 0
		.amdhsa_accum_offset 4
		.amdhsa_reserve_vcc 0
		.amdhsa_float_round_mode_32 0
		.amdhsa_float_round_mode_16_64 0
		.amdhsa_float_denorm_mode_32 3
		.amdhsa_float_denorm_mode_16_64 3
		.amdhsa_dx10_clamp 1
		.amdhsa_ieee_mode 1
		.amdhsa_fp16_overflow 0
		.amdhsa_tg_split 0
		.amdhsa_exception_fp_ieee_invalid_op 0
		.amdhsa_exception_fp_denorm_src 0
		.amdhsa_exception_fp_ieee_div_zero 0
		.amdhsa_exception_fp_ieee_overflow 0
		.amdhsa_exception_fp_ieee_underflow 0
		.amdhsa_exception_fp_ieee_inexact 0
		.amdhsa_exception_int_div_zero 0
	.end_amdhsa_kernel
	.section	.text._ZN7rocprim17ROCPRIM_400000_NS6detail17trampoline_kernelINS0_14default_configENS1_25partition_config_selectorILNS1_17partition_subalgoE1EiNS0_10empty_typeEbEEZZNS1_14partition_implILS5_1ELb0ES3_jN6thrust23THRUST_200600_302600_NS6detail15normal_iteratorINSA_10device_ptrIiEEEEPS6_NSA_18transform_iteratorINSA_8identityIiEESF_NSA_11use_defaultESK_EENS0_5tupleIJSF_SF_EEENSM_IJSG_SG_EEES6_PlJS6_EEE10hipError_tPvRmT3_T4_T5_T6_T7_T9_mT8_P12ihipStream_tbDpT10_ENKUlT_T0_E_clISt17integral_constantIbLb1EES19_EEDaS14_S15_EUlS14_E_NS1_11comp_targetILNS1_3genE0ELNS1_11target_archE4294967295ELNS1_3gpuE0ELNS1_3repE0EEENS1_30default_config_static_selectorELNS0_4arch9wavefront6targetE1EEEvT1_,"axG",@progbits,_ZN7rocprim17ROCPRIM_400000_NS6detail17trampoline_kernelINS0_14default_configENS1_25partition_config_selectorILNS1_17partition_subalgoE1EiNS0_10empty_typeEbEEZZNS1_14partition_implILS5_1ELb0ES3_jN6thrust23THRUST_200600_302600_NS6detail15normal_iteratorINSA_10device_ptrIiEEEEPS6_NSA_18transform_iteratorINSA_8identityIiEESF_NSA_11use_defaultESK_EENS0_5tupleIJSF_SF_EEENSM_IJSG_SG_EEES6_PlJS6_EEE10hipError_tPvRmT3_T4_T5_T6_T7_T9_mT8_P12ihipStream_tbDpT10_ENKUlT_T0_E_clISt17integral_constantIbLb1EES19_EEDaS14_S15_EUlS14_E_NS1_11comp_targetILNS1_3genE0ELNS1_11target_archE4294967295ELNS1_3gpuE0ELNS1_3repE0EEENS1_30default_config_static_selectorELNS0_4arch9wavefront6targetE1EEEvT1_,comdat
.Lfunc_end617:
	.size	_ZN7rocprim17ROCPRIM_400000_NS6detail17trampoline_kernelINS0_14default_configENS1_25partition_config_selectorILNS1_17partition_subalgoE1EiNS0_10empty_typeEbEEZZNS1_14partition_implILS5_1ELb0ES3_jN6thrust23THRUST_200600_302600_NS6detail15normal_iteratorINSA_10device_ptrIiEEEEPS6_NSA_18transform_iteratorINSA_8identityIiEESF_NSA_11use_defaultESK_EENS0_5tupleIJSF_SF_EEENSM_IJSG_SG_EEES6_PlJS6_EEE10hipError_tPvRmT3_T4_T5_T6_T7_T9_mT8_P12ihipStream_tbDpT10_ENKUlT_T0_E_clISt17integral_constantIbLb1EES19_EEDaS14_S15_EUlS14_E_NS1_11comp_targetILNS1_3genE0ELNS1_11target_archE4294967295ELNS1_3gpuE0ELNS1_3repE0EEENS1_30default_config_static_selectorELNS0_4arch9wavefront6targetE1EEEvT1_, .Lfunc_end617-_ZN7rocprim17ROCPRIM_400000_NS6detail17trampoline_kernelINS0_14default_configENS1_25partition_config_selectorILNS1_17partition_subalgoE1EiNS0_10empty_typeEbEEZZNS1_14partition_implILS5_1ELb0ES3_jN6thrust23THRUST_200600_302600_NS6detail15normal_iteratorINSA_10device_ptrIiEEEEPS6_NSA_18transform_iteratorINSA_8identityIiEESF_NSA_11use_defaultESK_EENS0_5tupleIJSF_SF_EEENSM_IJSG_SG_EEES6_PlJS6_EEE10hipError_tPvRmT3_T4_T5_T6_T7_T9_mT8_P12ihipStream_tbDpT10_ENKUlT_T0_E_clISt17integral_constantIbLb1EES19_EEDaS14_S15_EUlS14_E_NS1_11comp_targetILNS1_3genE0ELNS1_11target_archE4294967295ELNS1_3gpuE0ELNS1_3repE0EEENS1_30default_config_static_selectorELNS0_4arch9wavefront6targetE1EEEvT1_
                                        ; -- End function
	.section	.AMDGPU.csdata,"",@progbits
; Kernel info:
; codeLenInByte = 0
; NumSgprs: 6
; NumVgprs: 0
; NumAgprs: 0
; TotalNumVgprs: 0
; ScratchSize: 0
; MemoryBound: 0
; FloatMode: 240
; IeeeMode: 1
; LDSByteSize: 0 bytes/workgroup (compile time only)
; SGPRBlocks: 0
; VGPRBlocks: 0
; NumSGPRsForWavesPerEU: 6
; NumVGPRsForWavesPerEU: 1
; AccumOffset: 4
; Occupancy: 8
; WaveLimiterHint : 0
; COMPUTE_PGM_RSRC2:SCRATCH_EN: 0
; COMPUTE_PGM_RSRC2:USER_SGPR: 2
; COMPUTE_PGM_RSRC2:TRAP_HANDLER: 0
; COMPUTE_PGM_RSRC2:TGID_X_EN: 1
; COMPUTE_PGM_RSRC2:TGID_Y_EN: 0
; COMPUTE_PGM_RSRC2:TGID_Z_EN: 0
; COMPUTE_PGM_RSRC2:TIDIG_COMP_CNT: 0
; COMPUTE_PGM_RSRC3_GFX90A:ACCUM_OFFSET: 0
; COMPUTE_PGM_RSRC3_GFX90A:TG_SPLIT: 0
	.section	.text._ZN7rocprim17ROCPRIM_400000_NS6detail17trampoline_kernelINS0_14default_configENS1_25partition_config_selectorILNS1_17partition_subalgoE1EiNS0_10empty_typeEbEEZZNS1_14partition_implILS5_1ELb0ES3_jN6thrust23THRUST_200600_302600_NS6detail15normal_iteratorINSA_10device_ptrIiEEEEPS6_NSA_18transform_iteratorINSA_8identityIiEESF_NSA_11use_defaultESK_EENS0_5tupleIJSF_SF_EEENSM_IJSG_SG_EEES6_PlJS6_EEE10hipError_tPvRmT3_T4_T5_T6_T7_T9_mT8_P12ihipStream_tbDpT10_ENKUlT_T0_E_clISt17integral_constantIbLb1EES19_EEDaS14_S15_EUlS14_E_NS1_11comp_targetILNS1_3genE5ELNS1_11target_archE942ELNS1_3gpuE9ELNS1_3repE0EEENS1_30default_config_static_selectorELNS0_4arch9wavefront6targetE1EEEvT1_,"axG",@progbits,_ZN7rocprim17ROCPRIM_400000_NS6detail17trampoline_kernelINS0_14default_configENS1_25partition_config_selectorILNS1_17partition_subalgoE1EiNS0_10empty_typeEbEEZZNS1_14partition_implILS5_1ELb0ES3_jN6thrust23THRUST_200600_302600_NS6detail15normal_iteratorINSA_10device_ptrIiEEEEPS6_NSA_18transform_iteratorINSA_8identityIiEESF_NSA_11use_defaultESK_EENS0_5tupleIJSF_SF_EEENSM_IJSG_SG_EEES6_PlJS6_EEE10hipError_tPvRmT3_T4_T5_T6_T7_T9_mT8_P12ihipStream_tbDpT10_ENKUlT_T0_E_clISt17integral_constantIbLb1EES19_EEDaS14_S15_EUlS14_E_NS1_11comp_targetILNS1_3genE5ELNS1_11target_archE942ELNS1_3gpuE9ELNS1_3repE0EEENS1_30default_config_static_selectorELNS0_4arch9wavefront6targetE1EEEvT1_,comdat
	.protected	_ZN7rocprim17ROCPRIM_400000_NS6detail17trampoline_kernelINS0_14default_configENS1_25partition_config_selectorILNS1_17partition_subalgoE1EiNS0_10empty_typeEbEEZZNS1_14partition_implILS5_1ELb0ES3_jN6thrust23THRUST_200600_302600_NS6detail15normal_iteratorINSA_10device_ptrIiEEEEPS6_NSA_18transform_iteratorINSA_8identityIiEESF_NSA_11use_defaultESK_EENS0_5tupleIJSF_SF_EEENSM_IJSG_SG_EEES6_PlJS6_EEE10hipError_tPvRmT3_T4_T5_T6_T7_T9_mT8_P12ihipStream_tbDpT10_ENKUlT_T0_E_clISt17integral_constantIbLb1EES19_EEDaS14_S15_EUlS14_E_NS1_11comp_targetILNS1_3genE5ELNS1_11target_archE942ELNS1_3gpuE9ELNS1_3repE0EEENS1_30default_config_static_selectorELNS0_4arch9wavefront6targetE1EEEvT1_ ; -- Begin function _ZN7rocprim17ROCPRIM_400000_NS6detail17trampoline_kernelINS0_14default_configENS1_25partition_config_selectorILNS1_17partition_subalgoE1EiNS0_10empty_typeEbEEZZNS1_14partition_implILS5_1ELb0ES3_jN6thrust23THRUST_200600_302600_NS6detail15normal_iteratorINSA_10device_ptrIiEEEEPS6_NSA_18transform_iteratorINSA_8identityIiEESF_NSA_11use_defaultESK_EENS0_5tupleIJSF_SF_EEENSM_IJSG_SG_EEES6_PlJS6_EEE10hipError_tPvRmT3_T4_T5_T6_T7_T9_mT8_P12ihipStream_tbDpT10_ENKUlT_T0_E_clISt17integral_constantIbLb1EES19_EEDaS14_S15_EUlS14_E_NS1_11comp_targetILNS1_3genE5ELNS1_11target_archE942ELNS1_3gpuE9ELNS1_3repE0EEENS1_30default_config_static_selectorELNS0_4arch9wavefront6targetE1EEEvT1_
	.globl	_ZN7rocprim17ROCPRIM_400000_NS6detail17trampoline_kernelINS0_14default_configENS1_25partition_config_selectorILNS1_17partition_subalgoE1EiNS0_10empty_typeEbEEZZNS1_14partition_implILS5_1ELb0ES3_jN6thrust23THRUST_200600_302600_NS6detail15normal_iteratorINSA_10device_ptrIiEEEEPS6_NSA_18transform_iteratorINSA_8identityIiEESF_NSA_11use_defaultESK_EENS0_5tupleIJSF_SF_EEENSM_IJSG_SG_EEES6_PlJS6_EEE10hipError_tPvRmT3_T4_T5_T6_T7_T9_mT8_P12ihipStream_tbDpT10_ENKUlT_T0_E_clISt17integral_constantIbLb1EES19_EEDaS14_S15_EUlS14_E_NS1_11comp_targetILNS1_3genE5ELNS1_11target_archE942ELNS1_3gpuE9ELNS1_3repE0EEENS1_30default_config_static_selectorELNS0_4arch9wavefront6targetE1EEEvT1_
	.p2align	8
	.type	_ZN7rocprim17ROCPRIM_400000_NS6detail17trampoline_kernelINS0_14default_configENS1_25partition_config_selectorILNS1_17partition_subalgoE1EiNS0_10empty_typeEbEEZZNS1_14partition_implILS5_1ELb0ES3_jN6thrust23THRUST_200600_302600_NS6detail15normal_iteratorINSA_10device_ptrIiEEEEPS6_NSA_18transform_iteratorINSA_8identityIiEESF_NSA_11use_defaultESK_EENS0_5tupleIJSF_SF_EEENSM_IJSG_SG_EEES6_PlJS6_EEE10hipError_tPvRmT3_T4_T5_T6_T7_T9_mT8_P12ihipStream_tbDpT10_ENKUlT_T0_E_clISt17integral_constantIbLb1EES19_EEDaS14_S15_EUlS14_E_NS1_11comp_targetILNS1_3genE5ELNS1_11target_archE942ELNS1_3gpuE9ELNS1_3repE0EEENS1_30default_config_static_selectorELNS0_4arch9wavefront6targetE1EEEvT1_,@function
_ZN7rocprim17ROCPRIM_400000_NS6detail17trampoline_kernelINS0_14default_configENS1_25partition_config_selectorILNS1_17partition_subalgoE1EiNS0_10empty_typeEbEEZZNS1_14partition_implILS5_1ELb0ES3_jN6thrust23THRUST_200600_302600_NS6detail15normal_iteratorINSA_10device_ptrIiEEEEPS6_NSA_18transform_iteratorINSA_8identityIiEESF_NSA_11use_defaultESK_EENS0_5tupleIJSF_SF_EEENSM_IJSG_SG_EEES6_PlJS6_EEE10hipError_tPvRmT3_T4_T5_T6_T7_T9_mT8_P12ihipStream_tbDpT10_ENKUlT_T0_E_clISt17integral_constantIbLb1EES19_EEDaS14_S15_EUlS14_E_NS1_11comp_targetILNS1_3genE5ELNS1_11target_archE942ELNS1_3gpuE9ELNS1_3repE0EEENS1_30default_config_static_selectorELNS0_4arch9wavefront6targetE1EEEvT1_: ; @_ZN7rocprim17ROCPRIM_400000_NS6detail17trampoline_kernelINS0_14default_configENS1_25partition_config_selectorILNS1_17partition_subalgoE1EiNS0_10empty_typeEbEEZZNS1_14partition_implILS5_1ELb0ES3_jN6thrust23THRUST_200600_302600_NS6detail15normal_iteratorINSA_10device_ptrIiEEEEPS6_NSA_18transform_iteratorINSA_8identityIiEESF_NSA_11use_defaultESK_EENS0_5tupleIJSF_SF_EEENSM_IJSG_SG_EEES6_PlJS6_EEE10hipError_tPvRmT3_T4_T5_T6_T7_T9_mT8_P12ihipStream_tbDpT10_ENKUlT_T0_E_clISt17integral_constantIbLb1EES19_EEDaS14_S15_EUlS14_E_NS1_11comp_targetILNS1_3genE5ELNS1_11target_archE942ELNS1_3gpuE9ELNS1_3repE0EEENS1_30default_config_static_selectorELNS0_4arch9wavefront6targetE1EEEvT1_
; %bb.0:
	s_load_dwordx2 s[2:3], s[0:1], 0x20
	s_load_dwordx4 s[20:23], s[0:1], 0x50
	s_load_dwordx2 s[6:7], s[0:1], 0x60
	s_load_dwordx2 s[34:35], s[0:1], 0x70
	v_cmp_eq_u32_e64 s[18:19], 0, v0
	s_and_saveexec_b64 s[4:5], s[18:19]
	s_cbranch_execz .LBB618_4
; %bb.1:
	s_mov_b64 s[10:11], exec
	v_mbcnt_lo_u32_b32 v1, s10, 0
	v_mbcnt_hi_u32_b32 v1, s11, v1
	v_cmp_eq_u32_e32 vcc, 0, v1
                                        ; implicit-def: $vgpr2
	s_and_saveexec_b64 s[8:9], vcc
	s_cbranch_execz .LBB618_3
; %bb.2:
	s_load_dwordx2 s[12:13], s[0:1], 0x80
	s_bcnt1_i32_b64 s10, s[10:11]
	v_mov_b32_e32 v2, 0
	v_mov_b32_e32 v3, s10
	s_waitcnt lgkmcnt(0)
	global_atomic_add v2, v2, v3, s[12:13] sc0
.LBB618_3:
	s_or_b64 exec, exec, s[8:9]
	s_waitcnt vmcnt(0)
	v_readfirstlane_b32 s8, v2
	v_mov_b32_e32 v2, 0
	s_nop 0
	v_add_u32_e32 v1, s8, v1
	ds_write_b32 v2, v1
.LBB618_4:
	s_or_b64 exec, exec, s[4:5]
	v_mov_b32_e32 v23, 0
	s_load_dwordx4 s[28:31], s[0:1], 0x8
	s_load_dwordx4 s[24:27], s[0:1], 0x30
	s_load_dword s8, s[0:1], 0x78
	s_waitcnt lgkmcnt(0)
	s_barrier
	ds_read_b32 v1, v23
	s_waitcnt lgkmcnt(0)
	s_barrier
	global_load_dwordx2 v[24:25], v23, s[22:23]
	v_mov_b32_e32 v3, s7
	s_lshl_b64 s[4:5], s[30:31], 2
	s_movk_i32 s7, 0x1e00
	s_add_u32 s0, s28, s4
	v_mul_lo_u32 v22, v1, s7
	s_mul_i32 s7, s8, 0x1e00
	s_addc_u32 s1, s29, s5
	s_add_i32 s9, s8, -1
	s_add_i32 s8, s7, s30
	s_sub_i32 s33, s6, s8
	s_addk_i32 s33, 0x1e00
	v_mov_b32_e32 v2, s6
	s_add_u32 s6, s30, s7
	v_readfirstlane_b32 s40, v1
	s_addc_u32 s7, s31, 0
	s_cmp_eq_u32 s40, s9
	s_cselect_b64 s[22:23], -1, 0
	s_cmp_lg_u32 s40, s9
	v_cmp_lt_u64_e32 vcc, s[6:7], v[2:3]
	s_cselect_b64 s[6:7], -1, 0
	s_or_b64 s[28:29], vcc, s[6:7]
	v_lshlrev_b64 v[26:27], 2, v[22:23]
	v_lshl_add_u64 v[18:19], s[0:1], 0, v[26:27]
	s_mov_b64 s[0:1], -1
	s_and_b64 vcc, exec, s[28:29]
	v_lshlrev_b32_e32 v22, 2, v0
	s_cbranch_vccz .LBB618_6
; %bb.5:
	v_lshl_add_u64 v[2:3], v[18:19], 0, v[22:23]
	v_add_co_u32_e32 v4, vcc, 0x1000, v2
	s_mov_b64 s[0:1], 0
	s_nop 0
	v_addc_co_u32_e32 v5, vcc, 0, v3, vcc
	v_add_co_u32_e32 v6, vcc, 0x2000, v2
	s_nop 1
	v_addc_co_u32_e32 v7, vcc, 0, v3, vcc
	v_add_co_u32_e32 v8, vcc, 0x3000, v2
	s_nop 1
	v_addc_co_u32_e32 v9, vcc, 0, v3, vcc
	flat_load_dword v1, v[2:3]
	flat_load_dword v10, v[2:3] offset:2048
	flat_load_dword v11, v[4:5]
	flat_load_dword v12, v[4:5] offset:2048
	;; [unrolled: 2-line block ×4, first 2 shown]
	v_add_co_u32_e32 v4, vcc, 0x4000, v2
	s_nop 1
	v_addc_co_u32_e32 v5, vcc, 0, v3, vcc
	v_add_co_u32_e32 v6, vcc, 0x5000, v2
	s_nop 1
	v_addc_co_u32_e32 v7, vcc, 0, v3, vcc
	;; [unrolled: 3-line block ×4, first 2 shown]
	flat_load_dword v17, v[4:5]
	flat_load_dword v20, v[4:5] offset:2048
	flat_load_dword v21, v[6:7]
	flat_load_dword v23, v[6:7] offset:2048
	;; [unrolled: 2-line block ×3, first 2 shown]
	flat_load_dword v30, v[2:3]
	s_waitcnt vmcnt(0) lgkmcnt(0)
	ds_write2st64_b32 v22, v1, v10 offset1:8
	ds_write2st64_b32 v22, v11, v12 offset0:16 offset1:24
	ds_write2st64_b32 v22, v13, v14 offset0:32 offset1:40
	;; [unrolled: 1-line block ×6, first 2 shown]
	ds_write_b32 v22, v30 offset:28672
	s_waitcnt lgkmcnt(0)
	s_barrier
.LBB618_6:
	s_andn2_b64 vcc, exec, s[0:1]
	v_cmp_gt_u32_e64 s[0:1], s33, v0
	s_cbranch_vccnz .LBB618_38
; %bb.7:
                                        ; implicit-def: $vgpr2_vgpr3_vgpr4_vgpr5_vgpr6_vgpr7_vgpr8_vgpr9_vgpr10_vgpr11_vgpr12_vgpr13_vgpr14_vgpr15_vgpr16_vgpr17
	s_and_saveexec_b64 s[6:7], s[0:1]
	s_cbranch_execz .LBB618_9
; %bb.8:
	v_mov_b32_e32 v23, 0
	v_lshl_add_u64 v[2:3], v[18:19], 0, v[22:23]
	flat_load_dword v2, v[2:3]
.LBB618_9:
	s_or_b64 exec, exec, s[6:7]
	v_or_b32_e32 v1, 0x200, v0
	v_cmp_gt_u32_e32 vcc, s33, v1
	s_and_saveexec_b64 s[0:1], vcc
	s_cbranch_execz .LBB618_11
; %bb.10:
	v_mov_b32_e32 v23, 0
	v_lshl_add_u64 v[20:21], v[18:19], 0, v[22:23]
	flat_load_dword v3, v[20:21] offset:2048
.LBB618_11:
	s_or_b64 exec, exec, s[0:1]
	v_or_b32_e32 v1, 0x400, v0
	v_cmp_gt_u32_e32 vcc, s33, v1
	s_and_saveexec_b64 s[0:1], vcc
	s_cbranch_execz .LBB618_13
; %bb.12:
	v_lshlrev_b32_e32 v20, 2, v1
	v_mov_b32_e32 v21, 0
	v_lshl_add_u64 v[20:21], v[18:19], 0, v[20:21]
	flat_load_dword v4, v[20:21]
.LBB618_13:
	s_or_b64 exec, exec, s[0:1]
	v_or_b32_e32 v1, 0x600, v0
	v_cmp_gt_u32_e32 vcc, s33, v1
	s_and_saveexec_b64 s[0:1], vcc
	s_cbranch_execz .LBB618_15
; %bb.14:
	v_lshlrev_b32_e32 v20, 2, v1
	v_mov_b32_e32 v21, 0
	v_lshl_add_u64 v[20:21], v[18:19], 0, v[20:21]
	flat_load_dword v5, v[20:21]
.LBB618_15:
	;; [unrolled: 11-line block ×13, first 2 shown]
	s_or_b64 exec, exec, s[0:1]
	s_waitcnt vmcnt(0) lgkmcnt(0)
	ds_write2st64_b32 v22, v2, v3 offset1:8
	ds_write2st64_b32 v22, v4, v5 offset0:16 offset1:24
	ds_write2st64_b32 v22, v6, v7 offset0:32 offset1:40
	;; [unrolled: 1-line block ×6, first 2 shown]
	ds_write_b32 v22, v16 offset:28672
	s_waitcnt lgkmcnt(0)
	s_barrier
.LBB618_38:
	v_mul_u32_u24_e32 v21, 15, v0
	v_lshlrev_b32_e32 v1, 2, v21
	ds_read2_b32 v[40:41], v1 offset1:1
	ds_read2_b32 v[38:39], v1 offset0:2 offset1:3
	ds_read2_b32 v[36:37], v1 offset0:4 offset1:5
	;; [unrolled: 1-line block ×6, first 2 shown]
	ds_read_b32 v1, v1 offset:56
	s_add_u32 s0, s2, s4
	s_addc_u32 s1, s3, s5
	v_lshl_add_u64 v[2:3], s[0:1], 0, v[26:27]
	s_mov_b64 s[0:1], -1
	s_and_b64 vcc, exec, s[28:29]
	s_waitcnt lgkmcnt(0)
	s_barrier
	s_cbranch_vccz .LBB618_40
; %bb.39:
	v_mov_b32_e32 v23, 0
	v_lshl_add_u64 v[4:5], v[2:3], 0, v[22:23]
	v_readfirstlane_b32 s0, v2
	v_readfirstlane_b32 s1, v3
	v_add_co_u32_e32 v6, vcc, 0x1000, v4
	s_nop 3
	global_load_dword v12, v22, s[0:1]
	global_load_dword v13, v22, s[0:1] offset:2048
	v_addc_co_u32_e32 v7, vcc, 0, v5, vcc
	global_load_dword v14, v[6:7], off
	global_load_dword v15, v[6:7], off offset:2048
	v_add_co_u32_e32 v6, vcc, 0x2000, v4
	s_mov_b64 s[0:1], 0
	s_nop 0
	v_addc_co_u32_e32 v7, vcc, 0, v5, vcc
	v_add_co_u32_e32 v8, vcc, 0x3000, v4
	s_nop 1
	v_addc_co_u32_e32 v9, vcc, 0, v5, vcc
	v_add_co_u32_e32 v10, vcc, 0x4000, v4
	s_nop 1
	v_addc_co_u32_e32 v11, vcc, 0, v5, vcc
	global_load_dword v16, v[6:7], off
	global_load_dword v17, v[6:7], off offset:2048
	global_load_dword v18, v[8:9], off
	global_load_dword v19, v[8:9], off offset:2048
	;; [unrolled: 2-line block ×3, first 2 shown]
	v_add_co_u32_e32 v6, vcc, 0x5000, v4
	s_nop 1
	v_addc_co_u32_e32 v7, vcc, 0, v5, vcc
	v_add_co_u32_e32 v8, vcc, 0x6000, v4
	s_nop 1
	v_addc_co_u32_e32 v9, vcc, 0, v5, vcc
	v_add_co_u32_e32 v4, vcc, 0x7000, v4
	global_load_dword v10, v[6:7], off
	global_load_dword v11, v[6:7], off offset:2048
	global_load_dword v42, v[8:9], off
	global_load_dword v43, v[8:9], off offset:2048
	v_addc_co_u32_e32 v5, vcc, 0, v5, vcc
	global_load_dword v4, v[4:5], off
	s_waitcnt vmcnt(14)
	v_cmp_ne_u32_e32 vcc, 0, v12
	s_nop 1
	v_cndmask_b32_e64 v5, 0, 1, vcc
	s_waitcnt vmcnt(13)
	v_cmp_ne_u32_e32 vcc, 0, v13
	s_nop 1
	v_cndmask_b32_e64 v6, 0, 1, vcc
	s_waitcnt vmcnt(12)
	v_cmp_ne_u32_e32 vcc, 0, v14
	ds_write_b8 v0, v5
	ds_write_b8 v0, v6 offset:512
	v_cndmask_b32_e64 v5, 0, 1, vcc
	s_waitcnt vmcnt(11)
	v_cmp_ne_u32_e32 vcc, 0, v15
	s_nop 1
	v_cndmask_b32_e64 v6, 0, 1, vcc
	ds_write_b8 v0, v5 offset:1024
	ds_write_b8 v0, v6 offset:1536
	s_waitcnt vmcnt(10)
	v_cmp_ne_u32_e32 vcc, 0, v16
	s_nop 1
	v_cndmask_b32_e64 v7, 0, 1, vcc
	s_waitcnt vmcnt(9)
	v_cmp_ne_u32_e32 vcc, 0, v17
	s_nop 1
	v_cndmask_b32_e64 v8, 0, 1, vcc
	s_waitcnt vmcnt(8)
	v_cmp_ne_u32_e32 vcc, 0, v18
	ds_write_b8 v0, v7 offset:2048
	ds_write_b8 v0, v8 offset:2560
	v_cndmask_b32_e64 v5, 0, 1, vcc
	s_waitcnt vmcnt(7)
	v_cmp_ne_u32_e32 vcc, 0, v19
	ds_write_b8 v0, v5 offset:3072
	s_nop 0
	v_cndmask_b32_e64 v6, 0, 1, vcc
	s_waitcnt vmcnt(6)
	v_cmp_ne_u32_e32 vcc, 0, v20
	s_nop 1
	v_cndmask_b32_e64 v7, 0, 1, vcc
	s_waitcnt vmcnt(5)
	v_cmp_ne_u32_e32 vcc, 0, v23
	;; [unrolled: 4-line block ×7, first 2 shown]
	s_nop 1
	v_cndmask_b32_e64 v4, 0, 1, vcc
	ds_write_b8 v0, v6 offset:3584
	ds_write_b8 v0, v7 offset:4096
	;; [unrolled: 1-line block ×8, first 2 shown]
	s_waitcnt lgkmcnt(0)
	s_barrier
.LBB618_40:
	s_andn2_b64 vcc, exec, s[0:1]
	s_cbranch_vccnz .LBB618_72
; %bb.41:
	v_cmp_gt_u32_e32 vcc, s33, v0
	v_mov_b32_e32 v4, 0
	v_mov_b32_e32 v5, 0
	s_and_saveexec_b64 s[0:1], vcc
	s_cbranch_execz .LBB618_43
; %bb.42:
	v_readfirstlane_b32 s2, v2
	v_readfirstlane_b32 s3, v3
	s_nop 4
	global_load_dword v5, v22, s[2:3]
	s_waitcnt vmcnt(0)
	v_cmp_ne_u32_e32 vcc, 0, v5
	s_nop 1
	v_cndmask_b32_e64 v5, 0, 1, vcc
.LBB618_43:
	s_or_b64 exec, exec, s[0:1]
	v_or_b32_e32 v6, 0x200, v0
	v_cmp_gt_u32_e32 vcc, s33, v6
	s_and_saveexec_b64 s[0:1], vcc
	s_cbranch_execz .LBB618_45
; %bb.44:
	v_readfirstlane_b32 s2, v2
	v_readfirstlane_b32 s3, v3
	s_nop 4
	global_load_dword v4, v22, s[2:3] offset:2048
	s_waitcnt vmcnt(0)
	v_cmp_ne_u32_e32 vcc, 0, v4
	s_nop 1
	v_cndmask_b32_e64 v4, 0, 1, vcc
.LBB618_45:
	s_or_b64 exec, exec, s[0:1]
	v_or_b32_e32 v8, 0x400, v0
	v_cmp_gt_u32_e32 vcc, s33, v8
	v_mov_b32_e32 v6, 0
	v_mov_b32_e32 v7, 0
	s_and_saveexec_b64 s[0:1], vcc
	s_cbranch_execz .LBB618_47
; %bb.46:
	v_lshlrev_b32_e32 v7, 2, v8
	v_readfirstlane_b32 s2, v2
	v_readfirstlane_b32 s3, v3
	s_nop 4
	global_load_dword v7, v7, s[2:3]
	s_waitcnt vmcnt(0)
	v_cmp_ne_u32_e32 vcc, 0, v7
	s_nop 1
	v_cndmask_b32_e64 v7, 0, 1, vcc
.LBB618_47:
	s_or_b64 exec, exec, s[0:1]
	v_or_b32_e32 v8, 0x600, v0
	v_cmp_gt_u32_e32 vcc, s33, v8
	s_and_saveexec_b64 s[0:1], vcc
	s_cbranch_execz .LBB618_49
; %bb.48:
	v_lshlrev_b32_e32 v6, 2, v8
	v_readfirstlane_b32 s2, v2
	v_readfirstlane_b32 s3, v3
	s_nop 4
	global_load_dword v6, v6, s[2:3]
	s_waitcnt vmcnt(0)
	v_cmp_ne_u32_e32 vcc, 0, v6
	s_nop 1
	v_cndmask_b32_e64 v6, 0, 1, vcc
.LBB618_49:
	s_or_b64 exec, exec, s[0:1]
	v_or_b32_e32 v10, 0x800, v0
	v_cmp_gt_u32_e32 vcc, s33, v10
	v_mov_b32_e32 v8, 0
	v_mov_b32_e32 v9, 0
	s_and_saveexec_b64 s[0:1], vcc
	s_cbranch_execz .LBB618_51
; %bb.50:
	v_lshlrev_b32_e32 v9, 2, v10
	v_readfirstlane_b32 s2, v2
	v_readfirstlane_b32 s3, v3
	s_nop 4
	global_load_dword v9, v9, s[2:3]
	s_waitcnt vmcnt(0)
	v_cmp_ne_u32_e32 vcc, 0, v9
	s_nop 1
	v_cndmask_b32_e64 v9, 0, 1, vcc
.LBB618_51:
	s_or_b64 exec, exec, s[0:1]
	v_or_b32_e32 v10, 0xa00, v0
	v_cmp_gt_u32_e32 vcc, s33, v10
	s_and_saveexec_b64 s[0:1], vcc
	s_cbranch_execz .LBB618_53
; %bb.52:
	v_lshlrev_b32_e32 v8, 2, v10
	v_readfirstlane_b32 s2, v2
	v_readfirstlane_b32 s3, v3
	s_nop 4
	global_load_dword v8, v8, s[2:3]
	s_waitcnt vmcnt(0)
	v_cmp_ne_u32_e32 vcc, 0, v8
	s_nop 1
	v_cndmask_b32_e64 v8, 0, 1, vcc
.LBB618_53:
	;; [unrolled: 34-line block ×6, first 2 shown]
	s_or_b64 exec, exec, s[0:1]
	v_or_b32_e32 v19, 0x1c00, v0
	v_cmp_gt_u32_e32 vcc, s33, v19
	v_mov_b32_e32 v18, 0
	s_and_saveexec_b64 s[0:1], vcc
	s_cbranch_execz .LBB618_71
; %bb.70:
	v_lshlrev_b32_e32 v18, 2, v19
	v_readfirstlane_b32 s2, v2
	v_readfirstlane_b32 s3, v3
	s_nop 4
	global_load_dword v2, v18, s[2:3]
	s_waitcnt vmcnt(0)
	v_cmp_ne_u32_e32 vcc, 0, v2
	s_nop 1
	v_cndmask_b32_e64 v18, 0, 1, vcc
.LBB618_71:
	s_or_b64 exec, exec, s[0:1]
	ds_write_b8 v0, v5
	ds_write_b8 v0, v4 offset:512
	ds_write_b8 v0, v7 offset:1024
	;; [unrolled: 1-line block ×14, first 2 shown]
	s_waitcnt lgkmcnt(0)
	s_barrier
.LBB618_72:
	ds_read_b96 v[18:20], v21
	ds_read_u8 v2, v21 offset:12
	ds_read_u8 v3, v21 offset:13
	;; [unrolled: 1-line block ×3, first 2 shown]
	s_cmp_lg_u32 s40, 0
	v_lshrrev_b32_e32 v60, 6, v0
	s_waitcnt lgkmcnt(2)
	v_and_b32_e32 v47, 1, v2
	v_and_b32_e32 v56, 0xff, v18
	v_bfe_u32 v57, v18, 8, 8
	v_bfe_u32 v58, v18, 16, 8
	v_lshrrev_b32_e32 v49, 24, v18
	v_and_b32_e32 v53, 0xff, v19
	v_add3_u32 v2, v57, v56, v58
	v_bfe_u32 v54, v19, 8, 8
	v_bfe_u32 v55, v19, 16, 8
	v_add3_u32 v2, v2, v49, v53
	v_lshrrev_b32_e32 v48, 24, v19
	v_and_b32_e32 v50, 0xff, v20
	v_add3_u32 v2, v2, v54, v55
	v_bfe_u32 v51, v20, 8, 8
	v_bfe_u32 v52, v20, 16, 8
	v_add3_u32 v2, v2, v48, v50
	v_lshrrev_b32_e32 v46, 24, v20
	v_add3_u32 v2, v2, v51, v52
	s_waitcnt lgkmcnt(1)
	v_and_b32_e32 v45, 1, v3
	s_waitcnt lgkmcnt(0)
	v_and_b32_e32 v23, 1, v4
	v_add3_u32 v2, v2, v46, v47
	v_add3_u32 v61, v2, v45, v23
	v_mbcnt_lo_u32_b32 v2, -1, 0
	v_mbcnt_hi_u32_b32 v59, -1, v2
	v_and_b32_e32 v2, 15, v59
	v_cmp_eq_u32_e64 s[14:15], 0, v2
	v_cmp_lt_u32_e64 s[12:13], 1, v2
	v_cmp_lt_u32_e64 s[10:11], 3, v2
	;; [unrolled: 1-line block ×3, first 2 shown]
	v_and_b32_e32 v2, 16, v59
	v_cmp_eq_u32_e64 s[6:7], 0, v2
	v_or_b32_e32 v2, 63, v0
	v_cmp_lt_u32_e64 s[2:3], 31, v59
	v_cmp_eq_u32_e64 s[4:5], v2, v0
	s_barrier
	s_cbranch_scc0 .LBB618_103
; %bb.73:
	v_mov_b32_dpp v2, v61 row_shr:1 row_mask:0xf bank_mask:0xf
	v_cndmask_b32_e64 v2, v2, 0, s[14:15]
	v_add_u32_e32 v2, v2, v61
	s_nop 1
	v_mov_b32_dpp v3, v2 row_shr:2 row_mask:0xf bank_mask:0xf
	v_cndmask_b32_e64 v3, 0, v3, s[12:13]
	v_add_u32_e32 v2, v2, v3
	s_nop 1
	;; [unrolled: 4-line block ×4, first 2 shown]
	v_mov_b32_dpp v3, v2 row_bcast:15 row_mask:0xf bank_mask:0xf
	v_cndmask_b32_e64 v3, v3, 0, s[6:7]
	v_add_u32_e32 v2, v2, v3
	s_nop 1
	v_mov_b32_dpp v3, v2 row_bcast:31 row_mask:0xf bank_mask:0xf
	v_cndmask_b32_e64 v3, 0, v3, s[2:3]
	v_add_u32_e32 v2, v2, v3
	s_and_saveexec_b64 s[0:1], s[4:5]
	s_cbranch_execz .LBB618_75
; %bb.74:
	v_lshlrev_b32_e32 v3, 2, v60
	ds_write_b32 v3, v2
.LBB618_75:
	s_or_b64 exec, exec, s[0:1]
	v_cmp_gt_u32_e32 vcc, 8, v0
	s_waitcnt lgkmcnt(0)
	s_barrier
	s_and_saveexec_b64 s[0:1], vcc
	s_cbranch_execz .LBB618_77
; %bb.76:
	ds_read_b32 v3, v22
	v_and_b32_e32 v4, 7, v59
	v_cmp_ne_u32_e32 vcc, 0, v4
	s_waitcnt lgkmcnt(0)
	v_mov_b32_dpp v5, v3 row_shr:1 row_mask:0xf bank_mask:0xf
	v_cndmask_b32_e32 v5, 0, v5, vcc
	v_add_u32_e32 v3, v5, v3
	v_cmp_lt_u32_e32 vcc, 1, v4
	s_nop 0
	v_mov_b32_dpp v5, v3 row_shr:2 row_mask:0xf bank_mask:0xf
	v_cndmask_b32_e32 v5, 0, v5, vcc
	v_add_u32_e32 v3, v3, v5
	v_cmp_lt_u32_e32 vcc, 3, v4
	s_nop 0
	v_mov_b32_dpp v5, v3 row_shr:4 row_mask:0xf bank_mask:0xf
	v_cndmask_b32_e32 v4, 0, v5, vcc
	v_add_u32_e32 v3, v3, v4
	ds_write_b32 v22, v3
.LBB618_77:
	s_or_b64 exec, exec, s[0:1]
	v_cmp_gt_u32_e32 vcc, 64, v0
	v_cmp_lt_u32_e64 s[0:1], 63, v0
	s_waitcnt lgkmcnt(0)
	s_barrier
	s_waitcnt lgkmcnt(0)
                                        ; implicit-def: $vgpr12
	s_and_saveexec_b64 s[16:17], s[0:1]
	s_cbranch_execz .LBB618_79
; %bb.78:
	v_lshl_add_u32 v3, v60, 2, -4
	ds_read_b32 v12, v3
	s_waitcnt lgkmcnt(0)
	v_add_u32_e32 v2, v12, v2
.LBB618_79:
	s_or_b64 exec, exec, s[16:17]
	v_add_u32_e32 v3, -1, v59
	v_and_b32_e32 v4, 64, v59
	v_cmp_lt_i32_e64 s[0:1], v3, v4
	v_cmp_eq_u32_e64 s[16:17], 0, v59
	s_nop 0
	v_cndmask_b32_e64 v3, v3, v59, s[0:1]
	v_lshlrev_b32_e32 v3, 2, v3
	ds_bpermute_b32 v13, v3, v2
	s_and_saveexec_b64 s[0:1], vcc
	s_cbranch_execz .LBB618_102
; %bb.80:
	v_mov_b32_e32 v11, 0
	ds_read_b32 v2, v11 offset:28
	s_and_saveexec_b64 s[36:37], s[16:17]
	s_cbranch_execz .LBB618_82
; %bb.81:
	s_add_i32 s38, s40, 64
	s_mov_b32 s39, 0
	s_lshl_b64 s[38:39], s[38:39], 3
	s_add_u32 s38, s34, s38
	v_mov_b32_e32 v3, 1
	s_addc_u32 s39, s35, s39
	s_waitcnt lgkmcnt(0)
	global_store_dwordx2 v11, v[2:3], s[38:39] sc1
.LBB618_82:
	s_or_b64 exec, exec, s[36:37]
	v_xad_u32 v4, v59, -1, s40
	v_add_u32_e32 v10, 64, v4
	v_lshl_add_u64 v[6:7], v[10:11], 3, s[34:35]
	global_load_dwordx2 v[8:9], v[6:7], off sc1
	s_waitcnt vmcnt(0)
	v_cmp_eq_u16_sdwa s[38:39], v9, v11 src0_sel:BYTE_0 src1_sel:DWORD
	s_and_saveexec_b64 s[36:37], s[38:39]
	s_cbranch_execz .LBB618_88
; %bb.83:
	s_mov_b32 s41, 1
	s_mov_b64 s[38:39], 0
	v_mov_b32_e32 v3, 0
.LBB618_84:                             ; =>This Loop Header: Depth=1
                                        ;     Child Loop BB618_85 Depth 2
	s_max_u32 s42, s41, 1
.LBB618_85:                             ;   Parent Loop BB618_84 Depth=1
                                        ; =>  This Inner Loop Header: Depth=2
	s_add_i32 s42, s42, -1
	s_cmp_eq_u32 s42, 0
	s_sleep 1
	s_cbranch_scc0 .LBB618_85
; %bb.86:                               ;   in Loop: Header=BB618_84 Depth=1
	global_load_dwordx2 v[8:9], v[6:7], off sc1
	s_cmp_lt_u32 s41, 32
	s_cselect_b64 s[42:43], -1, 0
	s_cmp_lg_u64 s[42:43], 0
	s_addc_u32 s41, s41, 0
	s_waitcnt vmcnt(0)
	v_cmp_ne_u16_sdwa s[42:43], v9, v3 src0_sel:BYTE_0 src1_sel:DWORD
	s_or_b64 s[38:39], s[42:43], s[38:39]
	s_andn2_b64 exec, exec, s[38:39]
	s_cbranch_execnz .LBB618_84
; %bb.87:
	s_or_b64 exec, exec, s[38:39]
.LBB618_88:
	s_or_b64 exec, exec, s[36:37]
	v_and_b32_e32 v15, 63, v59
	v_mov_b32_e32 v14, 2
	v_cmp_ne_u32_e32 vcc, 63, v15
	v_cmp_eq_u16_sdwa s[36:37], v9, v14 src0_sel:BYTE_0 src1_sel:DWORD
	v_lshlrev_b64 v[6:7], v59, -1
	v_addc_co_u32_e32 v10, vcc, 0, v59, vcc
	v_and_b32_e32 v3, s37, v7
	v_lshlrev_b32_e32 v16, 2, v10
	v_or_b32_e32 v3, 0x80000000, v3
	ds_bpermute_b32 v10, v16, v8
	v_and_b32_e32 v5, s36, v6
	v_ffbl_b32_e32 v3, v3
	v_add_u32_e32 v3, 32, v3
	v_ffbl_b32_e32 v5, v5
	v_min_u32_e32 v3, v5, v3
	v_cmp_lt_u32_e32 vcc, v15, v3
	v_add_u32_e32 v42, 2, v15
	v_add_u32_e32 v44, 4, v15
	s_waitcnt lgkmcnt(0)
	v_cndmask_b32_e32 v5, 0, v10, vcc
	v_cmp_gt_u32_e32 vcc, 62, v15
	v_add_u32_e32 v5, v5, v8
	v_add_u32_e32 v63, 8, v15
	v_cndmask_b32_e64 v8, 0, 1, vcc
	v_lshlrev_b32_e32 v8, 1, v8
	v_add_lshl_u32 v17, v8, v59, 2
	ds_bpermute_b32 v8, v17, v5
	v_cmp_le_u32_e32 vcc, v42, v3
	v_add_u32_e32 v65, 16, v15
	v_add_u32_e32 v67, 32, v15
	s_waitcnt lgkmcnt(0)
	v_cndmask_b32_e32 v8, 0, v8, vcc
	v_cmp_gt_u32_e32 vcc, 60, v15
	v_add_u32_e32 v5, v5, v8
	s_nop 0
	v_cndmask_b32_e64 v8, 0, 1, vcc
	v_lshlrev_b32_e32 v8, 2, v8
	v_add_lshl_u32 v43, v8, v59, 2
	ds_bpermute_b32 v8, v43, v5
	v_cmp_le_u32_e32 vcc, v44, v3
	s_waitcnt lgkmcnt(0)
	s_nop 0
	v_cndmask_b32_e32 v8, 0, v8, vcc
	v_cmp_gt_u32_e32 vcc, 56, v15
	v_add_u32_e32 v5, v5, v8
	s_nop 0
	v_cndmask_b32_e64 v8, 0, 1, vcc
	v_lshlrev_b32_e32 v8, 3, v8
	v_add_lshl_u32 v62, v8, v59, 2
	ds_bpermute_b32 v8, v62, v5
	v_cmp_le_u32_e32 vcc, v63, v3
	s_waitcnt lgkmcnt(0)
	s_nop 0
	;; [unrolled: 11-line block ×4, first 2 shown]
	v_cndmask_b32_e32 v3, 0, v8, vcc
	v_add_u32_e32 v8, v5, v3
	v_mov_b32_e32 v5, 0
	s_branch .LBB618_90
.LBB618_89:                             ;   in Loop: Header=BB618_90 Depth=1
	s_or_b64 exec, exec, s[36:37]
	v_cmp_eq_u16_sdwa s[36:37], v9, v14 src0_sel:BYTE_0 src1_sel:DWORD
	ds_bpermute_b32 v68, v16, v8
	v_subrev_u32_e32 v4, 64, v4
	v_and_b32_e32 v10, s37, v7
	v_or_b32_e32 v10, 0x80000000, v10
	v_and_b32_e32 v11, s36, v6
	v_ffbl_b32_e32 v10, v10
	v_add_u32_e32 v10, 32, v10
	v_ffbl_b32_e32 v11, v11
	v_min_u32_e32 v10, v11, v10
	v_cmp_lt_u32_e32 vcc, v15, v10
	s_waitcnt lgkmcnt(0)
	s_nop 0
	v_cndmask_b32_e32 v11, 0, v68, vcc
	v_add_u32_e32 v8, v11, v8
	ds_bpermute_b32 v11, v17, v8
	v_cmp_le_u32_e32 vcc, v42, v10
	s_waitcnt lgkmcnt(0)
	s_nop 0
	v_cndmask_b32_e32 v11, 0, v11, vcc
	v_add_u32_e32 v8, v8, v11
	ds_bpermute_b32 v11, v43, v8
	v_cmp_le_u32_e32 vcc, v44, v10
	;; [unrolled: 6-line block ×5, first 2 shown]
	s_waitcnt lgkmcnt(0)
	s_nop 0
	v_cndmask_b32_e32 v10, 0, v11, vcc
	v_add3_u32 v8, v10, v3, v8
.LBB618_90:                             ; =>This Loop Header: Depth=1
                                        ;     Child Loop BB618_93 Depth 2
                                        ;       Child Loop BB618_94 Depth 3
	v_cmp_ne_u16_sdwa s[36:37], v9, v14 src0_sel:BYTE_0 src1_sel:DWORD
	s_nop 1
	v_cndmask_b32_e64 v3, 0, 1, s[36:37]
	;;#ASMSTART
	;;#ASMEND
	s_nop 0
	v_cmp_ne_u32_e32 vcc, 0, v3
	s_cmp_lg_u64 vcc, exec
	v_mov_b32_e32 v3, v8
	s_cbranch_scc1 .LBB618_97
; %bb.91:                               ;   in Loop: Header=BB618_90 Depth=1
	v_lshl_add_u64 v[10:11], v[4:5], 3, s[34:35]
	global_load_dwordx2 v[8:9], v[10:11], off sc1
	s_waitcnt vmcnt(0)
	v_cmp_eq_u16_sdwa s[38:39], v9, v5 src0_sel:BYTE_0 src1_sel:DWORD
	s_and_saveexec_b64 s[36:37], s[38:39]
	s_cbranch_execz .LBB618_89
; %bb.92:                               ;   in Loop: Header=BB618_90 Depth=1
	s_mov_b32 s41, 1
	s_mov_b64 s[38:39], 0
.LBB618_93:                             ;   Parent Loop BB618_90 Depth=1
                                        ; =>  This Loop Header: Depth=2
                                        ;       Child Loop BB618_94 Depth 3
	s_max_u32 s42, s41, 1
.LBB618_94:                             ;   Parent Loop BB618_90 Depth=1
                                        ;     Parent Loop BB618_93 Depth=2
                                        ; =>    This Inner Loop Header: Depth=3
	s_add_i32 s42, s42, -1
	s_cmp_eq_u32 s42, 0
	s_sleep 1
	s_cbranch_scc0 .LBB618_94
; %bb.95:                               ;   in Loop: Header=BB618_93 Depth=2
	global_load_dwordx2 v[8:9], v[10:11], off sc1
	s_cmp_lt_u32 s41, 32
	s_cselect_b64 s[42:43], -1, 0
	s_cmp_lg_u64 s[42:43], 0
	s_addc_u32 s41, s41, 0
	s_waitcnt vmcnt(0)
	v_cmp_ne_u16_sdwa s[42:43], v9, v5 src0_sel:BYTE_0 src1_sel:DWORD
	s_or_b64 s[38:39], s[42:43], s[38:39]
	s_andn2_b64 exec, exec, s[38:39]
	s_cbranch_execnz .LBB618_93
; %bb.96:                               ;   in Loop: Header=BB618_90 Depth=1
	s_or_b64 exec, exec, s[38:39]
	s_branch .LBB618_89
.LBB618_97:                             ;   in Loop: Header=BB618_90 Depth=1
                                        ; implicit-def: $vgpr8
                                        ; implicit-def: $vgpr9
	s_cbranch_execz .LBB618_90
; %bb.98:
	s_and_saveexec_b64 s[36:37], s[16:17]
	s_cbranch_execz .LBB618_100
; %bb.99:
	s_add_i32 s38, s40, 64
	s_mov_b32 s39, 0
	s_lshl_b64 s[38:39], s[38:39], 3
	s_add_u32 s38, s34, s38
	v_add_u32_e32 v4, v3, v2
	v_mov_b32_e32 v5, 2
	s_addc_u32 s39, s35, s39
	v_mov_b32_e32 v6, 0
	global_store_dwordx2 v6, v[4:5], s[38:39] sc1
	ds_write_b64 v6, v[2:3] offset:30720
.LBB618_100:
	s_or_b64 exec, exec, s[36:37]
	s_and_b64 exec, exec, s[18:19]
	s_cbranch_execz .LBB618_102
; %bb.101:
	v_mov_b32_e32 v2, 0
	ds_write_b32 v2, v3 offset:28
.LBB618_102:
	s_or_b64 exec, exec, s[0:1]
	v_mov_b32_e32 v14, 0
	s_waitcnt lgkmcnt(0)
	s_barrier
	ds_read_b32 v2, v14 offset:28
	v_cndmask_b32_e64 v3, v13, v12, s[16:17]
	v_cndmask_b32_e64 v3, v3, 0, s[18:19]
	s_waitcnt lgkmcnt(0)
	s_barrier
	v_add_u32_e32 v2, v2, v3
	v_add_u32_e32 v3, v2, v56
	;; [unrolled: 1-line block ×10, first 2 shown]
	ds_read_b64 v[42:43], v14 offset:30720
	v_add_u32_e32 v12, v11, v51
	v_add_u32_e32 v13, v12, v52
	;; [unrolled: 1-line block ×5, first 2 shown]
	s_waitcnt lgkmcnt(0)
	v_mov_b32_e32 v44, v43
	s_branch .LBB618_113
.LBB618_103:
                                        ; implicit-def: $vgpr44
                                        ; implicit-def: $vgpr42
                                        ; implicit-def: $vgpr2_vgpr3_vgpr4_vgpr5_vgpr6_vgpr7_vgpr8_vgpr9_vgpr10_vgpr11_vgpr12_vgpr13_vgpr14_vgpr15_vgpr16_vgpr17
	s_cbranch_execz .LBB618_113
; %bb.104:
	s_nop 0
	v_mov_b32_dpp v2, v61 row_shr:1 row_mask:0xf bank_mask:0xf
	v_cndmask_b32_e64 v2, v2, 0, s[14:15]
	v_add_u32_e32 v2, v2, v61
	s_nop 1
	v_mov_b32_dpp v3, v2 row_shr:2 row_mask:0xf bank_mask:0xf
	v_cndmask_b32_e64 v3, 0, v3, s[12:13]
	v_add_u32_e32 v2, v2, v3
	;; [unrolled: 4-line block ×4, first 2 shown]
	s_nop 1
	v_mov_b32_dpp v3, v2 row_bcast:15 row_mask:0xf bank_mask:0xf
	v_cndmask_b32_e64 v3, v3, 0, s[6:7]
	v_add_u32_e32 v2, v2, v3
	s_nop 1
	v_mov_b32_dpp v3, v2 row_bcast:31 row_mask:0xf bank_mask:0xf
	v_cndmask_b32_e64 v3, 0, v3, s[2:3]
	v_add_u32_e32 v2, v2, v3
	s_and_saveexec_b64 s[0:1], s[4:5]
	s_cbranch_execz .LBB618_106
; %bb.105:
	v_lshlrev_b32_e32 v3, 2, v60
	ds_write_b32 v3, v2
.LBB618_106:
	s_or_b64 exec, exec, s[0:1]
	v_cmp_gt_u32_e32 vcc, 8, v0
	s_waitcnt lgkmcnt(0)
	s_barrier
	s_and_saveexec_b64 s[0:1], vcc
	s_cbranch_execz .LBB618_108
; %bb.107:
	v_mad_i32_i24 v3, v0, -11, v21
	ds_read_b32 v4, v3
	v_and_b32_e32 v5, 7, v59
	v_cmp_ne_u32_e32 vcc, 0, v5
	s_waitcnt lgkmcnt(0)
	v_mov_b32_dpp v6, v4 row_shr:1 row_mask:0xf bank_mask:0xf
	v_cndmask_b32_e32 v6, 0, v6, vcc
	v_add_u32_e32 v4, v6, v4
	v_cmp_lt_u32_e32 vcc, 1, v5
	s_nop 0
	v_mov_b32_dpp v6, v4 row_shr:2 row_mask:0xf bank_mask:0xf
	v_cndmask_b32_e32 v6, 0, v6, vcc
	v_add_u32_e32 v4, v4, v6
	v_cmp_lt_u32_e32 vcc, 3, v5
	s_nop 0
	v_mov_b32_dpp v6, v4 row_shr:4 row_mask:0xf bank_mask:0xf
	v_cndmask_b32_e32 v5, 0, v6, vcc
	v_add_u32_e32 v4, v4, v5
	ds_write_b32 v3, v4
.LBB618_108:
	s_or_b64 exec, exec, s[0:1]
	v_cmp_lt_u32_e32 vcc, 63, v0
	v_mov_b32_e32 v4, 0
	v_mov_b32_e32 v3, 0
	s_waitcnt lgkmcnt(0)
	s_barrier
	s_and_saveexec_b64 s[0:1], vcc
	s_cbranch_execz .LBB618_110
; %bb.109:
	v_lshl_add_u32 v3, v60, 2, -4
	ds_read_b32 v3, v3
.LBB618_110:
	s_or_b64 exec, exec, s[0:1]
	v_add_u32_e32 v5, -1, v59
	v_and_b32_e32 v6, 64, v59
	v_cmp_lt_i32_e32 vcc, v5, v6
	s_waitcnt lgkmcnt(0)
	v_add_u32_e32 v2, v3, v2
	ds_read_b32 v42, v4 offset:28
	v_cndmask_b32_e32 v5, v5, v59, vcc
	v_lshlrev_b32_e32 v5, 2, v5
	ds_bpermute_b32 v2, v5, v2
	s_and_saveexec_b64 s[0:1], s[18:19]
	s_cbranch_execz .LBB618_112
; %bb.111:
	v_mov_b32_e32 v4, 0
	v_mov_b32_e32 v43, 2
	s_waitcnt lgkmcnt(1)
	global_store_dwordx2 v4, v[42:43], s[34:35] offset:512 sc1
.LBB618_112:
	s_or_b64 exec, exec, s[0:1]
	v_cmp_eq_u32_e32 vcc, 0, v59
	v_mov_b32_e32 v44, 0
	s_waitcnt lgkmcnt(0)
	v_cndmask_b32_e32 v2, v2, v3, vcc
	v_cndmask_b32_e64 v2, v2, 0, s[18:19]
	v_add_u32_e32 v3, v2, v56
	v_add_u32_e32 v4, v3, v57
	;; [unrolled: 1-line block ×14, first 2 shown]
	s_barrier
.LBB618_113:
	v_add_u32_e32 v21, v42, v21
	v_sub_u32_e32 v2, v2, v44
	v_and_b32_e32 v52, 1, v18
	v_sub_u32_e32 v51, v21, v2
	v_cmp_eq_u32_e32 vcc, 1, v52
	v_lshrrev_b32_e32 v50, 8, v18
	v_lshrrev_b32_e32 v43, 8, v19
	v_cndmask_b32_e32 v2, v51, v2, vcc
	v_lshlrev_b32_e32 v2, 2, v2
	ds_write_b32 v2, v40
	v_sub_u32_e32 v2, v3, v44
	v_sub_u32_e32 v3, v21, v2
	v_and_b32_e32 v40, 1, v50
	v_add_u32_e32 v3, 1, v3
	v_cmp_eq_u32_e32 vcc, 1, v40
	v_lshrrev_b32_e32 v17, 8, v20
	v_or_b32_e32 v40, 0x400, v0
	v_cndmask_b32_e32 v2, v3, v2, vcc
	v_lshlrev_b32_e32 v2, 2, v2
	ds_write_b32 v2, v41
	v_sub_u32_e32 v2, v4, v44
	v_mov_b32_e32 v4, 1
	v_sub_u32_e32 v3, v21, v2
	v_and_b32_sdwa v18, v4, v18 dst_sel:DWORD dst_unused:UNUSED_PAD src0_sel:DWORD src1_sel:WORD_1
	v_add_u32_e32 v3, 2, v3
	v_cmp_eq_u32_e32 vcc, 1, v18
	v_or_b32_e32 v41, 0x200, v0
	s_nop 0
	v_cndmask_b32_e32 v2, v3, v2, vcc
	v_lshlrev_b32_e32 v2, 2, v2
	ds_write_b32 v2, v38
	v_sub_u32_e32 v2, v5, v44
	v_sub_u32_e32 v3, v21, v2
	v_and_b32_e32 v5, 1, v49
	v_add_u32_e32 v3, 3, v3
	v_cmp_eq_u32_e32 vcc, 1, v5
	v_and_b32_e32 v5, 1, v19
	v_or_b32_e32 v38, 0x800, v0
	v_cndmask_b32_e32 v2, v3, v2, vcc
	v_lshlrev_b32_e32 v2, 2, v2
	ds_write_b32 v2, v39
	v_sub_u32_e32 v2, v6, v44
	v_sub_u32_e32 v3, v21, v2
	v_add_u32_e32 v3, 4, v3
	v_cmp_eq_u32_e32 vcc, 1, v5
	v_and_b32_e32 v5, 1, v43
	v_or_b32_e32 v39, 0x600, v0
	v_cndmask_b32_e32 v2, v3, v2, vcc
	v_lshlrev_b32_e32 v2, 2, v2
	ds_write_b32 v2, v36
	v_sub_u32_e32 v2, v7, v44
	v_sub_u32_e32 v3, v21, v2
	v_add_u32_e32 v3, 5, v3
	v_cmp_eq_u32_e32 vcc, 1, v5
	v_and_b32_sdwa v5, v4, v19 dst_sel:DWORD dst_unused:UNUSED_PAD src0_sel:DWORD src1_sel:WORD_1
	v_and_b32_sdwa v4, v4, v20 dst_sel:DWORD dst_unused:UNUSED_PAD src0_sel:DWORD src1_sel:WORD_1
	v_cndmask_b32_e32 v2, v3, v2, vcc
	v_lshlrev_b32_e32 v2, 2, v2
	ds_write_b32 v2, v37
	v_sub_u32_e32 v2, v8, v44
	v_sub_u32_e32 v3, v21, v2
	v_add_u32_e32 v3, 6, v3
	v_cmp_eq_u32_e32 vcc, 1, v5
	v_and_b32_e32 v5, 1, v48
	v_mov_b32_e32 v7, s31
	v_cndmask_b32_e32 v2, v3, v2, vcc
	v_lshlrev_b32_e32 v2, 2, v2
	ds_write_b32 v2, v34
	v_sub_u32_e32 v2, v9, v44
	v_sub_u32_e32 v3, v21, v2
	v_add_u32_e32 v3, 7, v3
	v_cmp_eq_u32_e32 vcc, 1, v5
	v_and_b32_e32 v5, 1, v20
	v_or_b32_e32 v37, 0xa00, v0
	v_cndmask_b32_e32 v2, v3, v2, vcc
	v_lshlrev_b32_e32 v2, 2, v2
	ds_write_b32 v2, v35
	v_sub_u32_e32 v2, v10, v44
	v_sub_u32_e32 v3, v21, v2
	v_add_u32_e32 v3, 8, v3
	v_cmp_eq_u32_e32 vcc, 1, v5
	v_and_b32_e32 v5, 1, v17
	v_or_b32_e32 v36, 0xc00, v0
	v_cndmask_b32_e32 v2, v3, v2, vcc
	v_lshlrev_b32_e32 v2, 2, v2
	ds_write_b32 v2, v32
	v_sub_u32_e32 v2, v11, v44
	v_sub_u32_e32 v3, v21, v2
	v_add_u32_e32 v3, 9, v3
	v_cmp_eq_u32_e32 vcc, 1, v5
	v_or_b32_e32 v35, 0xe00, v0
	v_or_b32_e32 v34, 0x1000, v0
	v_cndmask_b32_e32 v2, v3, v2, vcc
	v_lshlrev_b32_e32 v2, 2, v2
	ds_write_b32 v2, v33
	v_sub_u32_e32 v2, v12, v44
	v_sub_u32_e32 v3, v21, v2
	v_add_u32_e32 v3, 10, v3
	v_cmp_eq_u32_e32 vcc, 1, v4
	v_and_b32_e32 v4, 1, v46
	v_or_b32_e32 v33, 0x1200, v0
	v_cndmask_b32_e32 v2, v3, v2, vcc
	v_lshlrev_b32_e32 v2, 2, v2
	ds_write_b32 v2, v30
	v_sub_u32_e32 v2, v13, v44
	v_sub_u32_e32 v3, v21, v2
	v_add_u32_e32 v3, 11, v3
	v_cmp_eq_u32_e32 vcc, 1, v4
	v_or_b32_e32 v32, 0x1400, v0
	v_or_b32_e32 v30, 0x1800, v0
	v_cndmask_b32_e32 v2, v3, v2, vcc
	v_lshlrev_b32_e32 v2, 2, v2
	ds_write_b32 v2, v31
	v_sub_u32_e32 v2, v14, v44
	v_sub_u32_e32 v3, v21, v2
	v_add_u32_e32 v3, 12, v3
	v_cmp_eq_u32_e32 vcc, 1, v47
	v_or_b32_e32 v31, 0x1600, v0
	s_nop 0
	v_cndmask_b32_e32 v2, v3, v2, vcc
	v_lshlrev_b32_e32 v2, 2, v2
	ds_write_b32 v2, v28
	v_sub_u32_e32 v2, v15, v44
	v_sub_u32_e32 v3, v21, v2
	v_add_u32_e32 v3, 13, v3
	v_cmp_eq_u32_e32 vcc, 1, v45
	v_mov_b32_e32 v45, 0
	s_waitcnt vmcnt(0)
	v_lshl_add_u64 v[8:9], v[24:25], 0, v[44:45]
	v_cndmask_b32_e32 v2, v3, v2, vcc
	v_lshlrev_b32_e32 v2, 2, v2
	ds_write_b32 v2, v29
	v_sub_u32_e32 v2, v16, v44
	v_sub_u32_e32 v3, v21, v2
	v_add_u32_e32 v3, 14, v3
	v_cmp_eq_u32_e32 vcc, 1, v23
	v_mov_b32_e32 v43, v45
	v_or_b32_e32 v29, 0x1a00, v0
	v_cndmask_b32_e32 v2, v3, v2, vcc
	v_lshlrev_b32_e32 v2, 2, v2
	ds_write_b32 v2, v1
	v_lshl_add_u64 v[2:3], v[8:9], 0, v[42:43]
	s_waitcnt lgkmcnt(0)
	s_barrier
	ds_read2st64_b32 v[20:21], v22 offset1:8
	ds_read2st64_b32 v[18:19], v22 offset0:16 offset1:24
	ds_read2st64_b32 v[16:17], v22 offset0:32 offset1:40
	;; [unrolled: 1-line block ×6, first 2 shown]
	ds_read_b32 v1, v22 offset:28672
	v_sub_co_u32_e32 v6, vcc, s30, v2
	v_lshlrev_b64 v[8:9], 2, v[8:9]
	s_nop 0
	v_subb_co_u32_e32 v7, vcc, v7, v3, vcc
	v_lshlrev_b64 v[6:7], 2, v[6:7]
	v_lshl_add_u64 v[6:7], s[26:27], 0, v[6:7]
	v_or_b32_e32 v28, 0x1c00, v0
	v_lshl_add_u64 v[6:7], v[6:7], 0, v[26:27]
	s_andn2_b64 vcc, exec, s[28:29]
	v_lshl_add_u64 v[8:9], s[24:25], 0, v[8:9]
	s_cbranch_vccnz .LBB618_115
; %bb.114:
	v_cmp_gt_u32_e32 vcc, v42, v0
	v_mov_b32_e32 v23, v45
	v_lshlrev_b32_e32 v44, 2, v40
	v_cndmask_b32_e32 v25, v7, v9, vcc
	v_cndmask_b32_e32 v24, v6, v8, vcc
	v_lshl_add_u64 v[24:25], v[24:25], 0, v[22:23]
	v_cmp_lt_u32_e32 vcc, v41, v42
	s_waitcnt lgkmcnt(7)
	global_store_dword v[24:25], v20, off
	v_cndmask_b32_e32 v25, v7, v9, vcc
	v_cndmask_b32_e32 v24, v6, v8, vcc
	v_lshl_add_u64 v[24:25], v[24:25], 0, v[22:23]
	v_cmp_lt_u32_e32 vcc, v40, v42
	global_store_dword v[24:25], v21, off offset:2048
	s_mov_b64 s[0:1], -1
	v_cndmask_b32_e32 v25, v7, v9, vcc
	v_cndmask_b32_e32 v24, v6, v8, vcc
	v_lshl_add_u64 v[24:25], v[24:25], 0, v[44:45]
	v_cmp_lt_u32_e32 vcc, v39, v42
	s_waitcnt lgkmcnt(6)
	global_store_dword v[24:25], v18, off
	v_lshlrev_b32_e32 v44, 2, v39
	v_cndmask_b32_e32 v25, v7, v9, vcc
	v_cndmask_b32_e32 v24, v6, v8, vcc
	v_lshl_add_u64 v[24:25], v[24:25], 0, v[44:45]
	v_cmp_lt_u32_e32 vcc, v38, v42
	global_store_dword v[24:25], v19, off
	v_lshlrev_b32_e32 v44, 2, v38
	v_cndmask_b32_e32 v25, v7, v9, vcc
	v_cndmask_b32_e32 v24, v6, v8, vcc
	v_lshl_add_u64 v[24:25], v[24:25], 0, v[44:45]
	v_cmp_lt_u32_e32 vcc, v37, v42
	s_waitcnt lgkmcnt(5)
	global_store_dword v[24:25], v16, off
	v_lshlrev_b32_e32 v44, 2, v37
	v_cndmask_b32_e32 v25, v7, v9, vcc
	v_cndmask_b32_e32 v24, v6, v8, vcc
	v_lshl_add_u64 v[24:25], v[24:25], 0, v[44:45]
	v_cmp_lt_u32_e32 vcc, v36, v42
	global_store_dword v[24:25], v17, off
	v_lshlrev_b32_e32 v44, 2, v36
	;; [unrolled: 13-line block ×5, first 2 shown]
	v_cndmask_b32_e32 v25, v7, v9, vcc
	v_cndmask_b32_e32 v24, v6, v8, vcc
	v_lshl_add_u64 v[24:25], v[24:25], 0, v[44:45]
	v_cmp_lt_u32_e32 vcc, v29, v42
	s_waitcnt lgkmcnt(1)
	global_store_dword v[24:25], v4, off
	v_lshlrev_b32_e32 v44, 2, v29
	v_cndmask_b32_e32 v25, v7, v9, vcc
	v_cndmask_b32_e32 v24, v6, v8, vcc
	v_lshl_add_u64 v[24:25], v[24:25], 0, v[44:45]
	global_store_dword v[24:25], v5, off
	s_cbranch_execz .LBB618_116
	s_branch .LBB618_132
.LBB618_115:
	s_mov_b64 s[0:1], 0
.LBB618_116:
	v_cmp_gt_u32_e32 vcc, s33, v0
	s_and_saveexec_b64 s[0:1], vcc
	s_cbranch_execnz .LBB618_137
; %bb.117:
	s_or_b64 exec, exec, s[0:1]
	v_cmp_gt_u32_e32 vcc, s33, v41
	s_and_saveexec_b64 s[0:1], vcc
	s_cbranch_execnz .LBB618_138
.LBB618_118:
	s_or_b64 exec, exec, s[0:1]
	v_cmp_gt_u32_e32 vcc, s33, v40
	s_and_saveexec_b64 s[0:1], vcc
	s_cbranch_execnz .LBB618_139
.LBB618_119:
	s_or_b64 exec, exec, s[0:1]
	v_cmp_gt_u32_e32 vcc, s33, v39
	s_and_saveexec_b64 s[0:1], vcc
	s_cbranch_execnz .LBB618_140
.LBB618_120:
	s_or_b64 exec, exec, s[0:1]
	v_cmp_gt_u32_e32 vcc, s33, v38
	s_and_saveexec_b64 s[0:1], vcc
	s_cbranch_execnz .LBB618_141
.LBB618_121:
	s_or_b64 exec, exec, s[0:1]
	v_cmp_gt_u32_e32 vcc, s33, v37
	s_and_saveexec_b64 s[0:1], vcc
	s_cbranch_execnz .LBB618_142
.LBB618_122:
	s_or_b64 exec, exec, s[0:1]
	v_cmp_gt_u32_e32 vcc, s33, v36
	s_and_saveexec_b64 s[0:1], vcc
	s_cbranch_execnz .LBB618_143
.LBB618_123:
	s_or_b64 exec, exec, s[0:1]
	v_cmp_gt_u32_e32 vcc, s33, v35
	s_and_saveexec_b64 s[0:1], vcc
	s_cbranch_execnz .LBB618_144
.LBB618_124:
	s_or_b64 exec, exec, s[0:1]
	v_cmp_gt_u32_e32 vcc, s33, v34
	s_and_saveexec_b64 s[0:1], vcc
	s_cbranch_execnz .LBB618_145
.LBB618_125:
	s_or_b64 exec, exec, s[0:1]
	v_cmp_gt_u32_e32 vcc, s33, v33
	s_and_saveexec_b64 s[0:1], vcc
	s_cbranch_execnz .LBB618_146
.LBB618_126:
	s_or_b64 exec, exec, s[0:1]
	v_cmp_gt_u32_e32 vcc, s33, v32
	s_and_saveexec_b64 s[0:1], vcc
	s_cbranch_execnz .LBB618_147
.LBB618_127:
	s_or_b64 exec, exec, s[0:1]
	v_cmp_gt_u32_e32 vcc, s33, v31
	s_and_saveexec_b64 s[0:1], vcc
	s_cbranch_execnz .LBB618_148
.LBB618_128:
	s_or_b64 exec, exec, s[0:1]
	v_cmp_gt_u32_e32 vcc, s33, v30
	s_and_saveexec_b64 s[0:1], vcc
	s_cbranch_execnz .LBB618_149
.LBB618_129:
	s_or_b64 exec, exec, s[0:1]
	v_cmp_gt_u32_e32 vcc, s33, v29
	s_and_saveexec_b64 s[0:1], vcc
	s_cbranch_execz .LBB618_131
.LBB618_130:
	v_cmp_lt_u32_e32 vcc, v29, v42
	s_waitcnt lgkmcnt(3)
	v_lshlrev_b32_e32 v12, 2, v29
	v_mov_b32_e32 v13, 0
	s_waitcnt lgkmcnt(2)
	v_cndmask_b32_e32 v11, v7, v9, vcc
	v_cndmask_b32_e32 v10, v6, v8, vcc
	v_lshl_add_u64 v[10:11], v[10:11], 0, v[12:13]
	s_waitcnt lgkmcnt(1)
	global_store_dword v[10:11], v5, off
.LBB618_131:
	s_or_b64 exec, exec, s[0:1]
	v_cmp_gt_u32_e64 s[0:1], s33, v28
.LBB618_132:
	s_and_saveexec_b64 s[2:3], s[0:1]
	s_cbranch_execnz .LBB618_135
; %bb.133:
	s_or_b64 exec, exec, s[2:3]
	s_and_b64 s[0:1], s[18:19], s[22:23]
	s_and_saveexec_b64 s[2:3], s[0:1]
	s_cbranch_execnz .LBB618_136
.LBB618_134:
	s_endpgm
.LBB618_135:
	v_cmp_lt_u32_e32 vcc, v28, v42
	s_waitcnt lgkmcnt(1)
	s_nop 0
	v_cndmask_b32_e32 v5, v7, v9, vcc
	v_cndmask_b32_e32 v4, v6, v8, vcc
	v_lshlrev_b32_e32 v6, 2, v28
	v_mov_b32_e32 v7, 0
	v_lshl_add_u64 v[4:5], v[4:5], 0, v[6:7]
	s_waitcnt lgkmcnt(0)
	global_store_dword v[4:5], v1, off
	s_or_b64 exec, exec, s[2:3]
	s_and_b64 s[0:1], s[18:19], s[22:23]
	s_and_saveexec_b64 s[2:3], s[0:1]
	s_cbranch_execz .LBB618_134
.LBB618_136:
	v_mov_b32_e32 v0, 0
	global_store_dwordx2 v0, v[2:3], s[20:21]
	s_endpgm
.LBB618_137:
	v_cmp_gt_u32_e32 vcc, v42, v0
	v_mov_b32_e32 v23, 0
	s_nop 0
	v_cndmask_b32_e32 v25, v7, v9, vcc
	v_cndmask_b32_e32 v24, v6, v8, vcc
	v_lshl_add_u64 v[24:25], v[24:25], 0, v[22:23]
	s_waitcnt lgkmcnt(7)
	global_store_dword v[24:25], v20, off
	s_or_b64 exec, exec, s[0:1]
	v_cmp_gt_u32_e32 vcc, s33, v41
	s_and_saveexec_b64 s[0:1], vcc
	s_cbranch_execz .LBB618_118
.LBB618_138:
	v_cmp_lt_u32_e32 vcc, v41, v42
	v_mov_b32_e32 v23, 0
	s_nop 0
	v_cndmask_b32_e32 v25, v7, v9, vcc
	v_cndmask_b32_e32 v24, v6, v8, vcc
	v_lshl_add_u64 v[22:23], v[24:25], 0, v[22:23]
	s_waitcnt lgkmcnt(7)
	global_store_dword v[22:23], v21, off offset:2048
	s_or_b64 exec, exec, s[0:1]
	v_cmp_gt_u32_e32 vcc, s33, v40
	s_and_saveexec_b64 s[0:1], vcc
	s_cbranch_execz .LBB618_119
.LBB618_139:
	v_cmp_lt_u32_e32 vcc, v40, v42
	v_lshlrev_b32_e32 v22, 2, v40
	v_mov_b32_e32 v23, 0
	s_waitcnt lgkmcnt(7)
	v_cndmask_b32_e32 v21, v7, v9, vcc
	v_cndmask_b32_e32 v20, v6, v8, vcc
	v_lshl_add_u64 v[20:21], v[20:21], 0, v[22:23]
	s_waitcnt lgkmcnt(6)
	global_store_dword v[20:21], v18, off
	s_or_b64 exec, exec, s[0:1]
	v_cmp_gt_u32_e32 vcc, s33, v39
	s_and_saveexec_b64 s[0:1], vcc
	s_cbranch_execz .LBB618_120
.LBB618_140:
	v_cmp_lt_u32_e32 vcc, v39, v42
	v_lshlrev_b32_e32 v22, 2, v39
	v_mov_b32_e32 v23, 0
	s_waitcnt lgkmcnt(7)
	v_cndmask_b32_e32 v21, v7, v9, vcc
	v_cndmask_b32_e32 v20, v6, v8, vcc
	v_lshl_add_u64 v[20:21], v[20:21], 0, v[22:23]
	s_waitcnt lgkmcnt(6)
	global_store_dword v[20:21], v19, off
	s_or_b64 exec, exec, s[0:1]
	v_cmp_gt_u32_e32 vcc, s33, v38
	s_and_saveexec_b64 s[0:1], vcc
	s_cbranch_execz .LBB618_121
.LBB618_141:
	v_cmp_lt_u32_e32 vcc, v38, v42
	s_waitcnt lgkmcnt(7)
	v_lshlrev_b32_e32 v20, 2, v38
	v_mov_b32_e32 v21, 0
	s_waitcnt lgkmcnt(6)
	v_cndmask_b32_e32 v19, v7, v9, vcc
	v_cndmask_b32_e32 v18, v6, v8, vcc
	v_lshl_add_u64 v[18:19], v[18:19], 0, v[20:21]
	s_waitcnt lgkmcnt(5)
	global_store_dword v[18:19], v16, off
	s_or_b64 exec, exec, s[0:1]
	v_cmp_gt_u32_e32 vcc, s33, v37
	s_and_saveexec_b64 s[0:1], vcc
	s_cbranch_execz .LBB618_122
.LBB618_142:
	v_cmp_lt_u32_e32 vcc, v37, v42
	s_waitcnt lgkmcnt(7)
	v_lshlrev_b32_e32 v20, 2, v37
	v_mov_b32_e32 v21, 0
	s_waitcnt lgkmcnt(6)
	v_cndmask_b32_e32 v19, v7, v9, vcc
	v_cndmask_b32_e32 v18, v6, v8, vcc
	v_lshl_add_u64 v[18:19], v[18:19], 0, v[20:21]
	s_waitcnt lgkmcnt(5)
	global_store_dword v[18:19], v17, off
	s_or_b64 exec, exec, s[0:1]
	v_cmp_gt_u32_e32 vcc, s33, v36
	s_and_saveexec_b64 s[0:1], vcc
	s_cbranch_execz .LBB618_123
.LBB618_143:
	v_cmp_lt_u32_e32 vcc, v36, v42
	s_waitcnt lgkmcnt(6)
	v_lshlrev_b32_e32 v18, 2, v36
	v_mov_b32_e32 v19, 0
	s_waitcnt lgkmcnt(5)
	v_cndmask_b32_e32 v17, v7, v9, vcc
	v_cndmask_b32_e32 v16, v6, v8, vcc
	v_lshl_add_u64 v[16:17], v[16:17], 0, v[18:19]
	s_waitcnt lgkmcnt(4)
	global_store_dword v[16:17], v14, off
	s_or_b64 exec, exec, s[0:1]
	v_cmp_gt_u32_e32 vcc, s33, v35
	s_and_saveexec_b64 s[0:1], vcc
	s_cbranch_execz .LBB618_124
.LBB618_144:
	v_cmp_lt_u32_e32 vcc, v35, v42
	s_waitcnt lgkmcnt(6)
	v_lshlrev_b32_e32 v18, 2, v35
	v_mov_b32_e32 v19, 0
	s_waitcnt lgkmcnt(5)
	v_cndmask_b32_e32 v17, v7, v9, vcc
	v_cndmask_b32_e32 v16, v6, v8, vcc
	v_lshl_add_u64 v[16:17], v[16:17], 0, v[18:19]
	s_waitcnt lgkmcnt(4)
	global_store_dword v[16:17], v15, off
	s_or_b64 exec, exec, s[0:1]
	v_cmp_gt_u32_e32 vcc, s33, v34
	s_and_saveexec_b64 s[0:1], vcc
	s_cbranch_execz .LBB618_125
.LBB618_145:
	v_cmp_lt_u32_e32 vcc, v34, v42
	s_waitcnt lgkmcnt(5)
	v_lshlrev_b32_e32 v16, 2, v34
	v_mov_b32_e32 v17, 0
	s_waitcnt lgkmcnt(4)
	v_cndmask_b32_e32 v15, v7, v9, vcc
	v_cndmask_b32_e32 v14, v6, v8, vcc
	v_lshl_add_u64 v[14:15], v[14:15], 0, v[16:17]
	s_waitcnt lgkmcnt(3)
	global_store_dword v[14:15], v12, off
	s_or_b64 exec, exec, s[0:1]
	v_cmp_gt_u32_e32 vcc, s33, v33
	s_and_saveexec_b64 s[0:1], vcc
	s_cbranch_execz .LBB618_126
.LBB618_146:
	v_cmp_lt_u32_e32 vcc, v33, v42
	s_waitcnt lgkmcnt(5)
	v_lshlrev_b32_e32 v16, 2, v33
	v_mov_b32_e32 v17, 0
	s_waitcnt lgkmcnt(4)
	v_cndmask_b32_e32 v15, v7, v9, vcc
	v_cndmask_b32_e32 v14, v6, v8, vcc
	v_lshl_add_u64 v[14:15], v[14:15], 0, v[16:17]
	s_waitcnt lgkmcnt(3)
	global_store_dword v[14:15], v13, off
	s_or_b64 exec, exec, s[0:1]
	v_cmp_gt_u32_e32 vcc, s33, v32
	s_and_saveexec_b64 s[0:1], vcc
	s_cbranch_execz .LBB618_127
.LBB618_147:
	v_cmp_lt_u32_e32 vcc, v32, v42
	s_waitcnt lgkmcnt(4)
	v_lshlrev_b32_e32 v14, 2, v32
	v_mov_b32_e32 v15, 0
	s_waitcnt lgkmcnt(3)
	v_cndmask_b32_e32 v13, v7, v9, vcc
	v_cndmask_b32_e32 v12, v6, v8, vcc
	v_lshl_add_u64 v[12:13], v[12:13], 0, v[14:15]
	s_waitcnt lgkmcnt(2)
	global_store_dword v[12:13], v10, off
	s_or_b64 exec, exec, s[0:1]
	v_cmp_gt_u32_e32 vcc, s33, v31
	s_and_saveexec_b64 s[0:1], vcc
	s_cbranch_execz .LBB618_128
.LBB618_148:
	v_cmp_lt_u32_e32 vcc, v31, v42
	s_waitcnt lgkmcnt(4)
	v_lshlrev_b32_e32 v14, 2, v31
	v_mov_b32_e32 v15, 0
	s_waitcnt lgkmcnt(3)
	v_cndmask_b32_e32 v13, v7, v9, vcc
	v_cndmask_b32_e32 v12, v6, v8, vcc
	v_lshl_add_u64 v[12:13], v[12:13], 0, v[14:15]
	s_waitcnt lgkmcnt(2)
	global_store_dword v[12:13], v11, off
	s_or_b64 exec, exec, s[0:1]
	v_cmp_gt_u32_e32 vcc, s33, v30
	s_and_saveexec_b64 s[0:1], vcc
	s_cbranch_execz .LBB618_129
.LBB618_149:
	v_cmp_lt_u32_e32 vcc, v30, v42
	s_waitcnt lgkmcnt(3)
	v_lshlrev_b32_e32 v12, 2, v30
	v_mov_b32_e32 v13, 0
	s_waitcnt lgkmcnt(2)
	v_cndmask_b32_e32 v11, v7, v9, vcc
	v_cndmask_b32_e32 v10, v6, v8, vcc
	v_lshl_add_u64 v[10:11], v[10:11], 0, v[12:13]
	s_waitcnt lgkmcnt(1)
	global_store_dword v[10:11], v4, off
	s_or_b64 exec, exec, s[0:1]
	v_cmp_gt_u32_e32 vcc, s33, v29
	s_and_saveexec_b64 s[0:1], vcc
	s_cbranch_execnz .LBB618_130
	s_branch .LBB618_131
	.section	.rodata,"a",@progbits
	.p2align	6, 0x0
	.amdhsa_kernel _ZN7rocprim17ROCPRIM_400000_NS6detail17trampoline_kernelINS0_14default_configENS1_25partition_config_selectorILNS1_17partition_subalgoE1EiNS0_10empty_typeEbEEZZNS1_14partition_implILS5_1ELb0ES3_jN6thrust23THRUST_200600_302600_NS6detail15normal_iteratorINSA_10device_ptrIiEEEEPS6_NSA_18transform_iteratorINSA_8identityIiEESF_NSA_11use_defaultESK_EENS0_5tupleIJSF_SF_EEENSM_IJSG_SG_EEES6_PlJS6_EEE10hipError_tPvRmT3_T4_T5_T6_T7_T9_mT8_P12ihipStream_tbDpT10_ENKUlT_T0_E_clISt17integral_constantIbLb1EES19_EEDaS14_S15_EUlS14_E_NS1_11comp_targetILNS1_3genE5ELNS1_11target_archE942ELNS1_3gpuE9ELNS1_3repE0EEENS1_30default_config_static_selectorELNS0_4arch9wavefront6targetE1EEEvT1_
		.amdhsa_group_segment_fixed_size 30728
		.amdhsa_private_segment_fixed_size 0
		.amdhsa_kernarg_size 144
		.amdhsa_user_sgpr_count 2
		.amdhsa_user_sgpr_dispatch_ptr 0
		.amdhsa_user_sgpr_queue_ptr 0
		.amdhsa_user_sgpr_kernarg_segment_ptr 1
		.amdhsa_user_sgpr_dispatch_id 0
		.amdhsa_user_sgpr_kernarg_preload_length 0
		.amdhsa_user_sgpr_kernarg_preload_offset 0
		.amdhsa_user_sgpr_private_segment_size 0
		.amdhsa_uses_dynamic_stack 0
		.amdhsa_enable_private_segment 0
		.amdhsa_system_sgpr_workgroup_id_x 1
		.amdhsa_system_sgpr_workgroup_id_y 0
		.amdhsa_system_sgpr_workgroup_id_z 0
		.amdhsa_system_sgpr_workgroup_info 0
		.amdhsa_system_vgpr_workitem_id 0
		.amdhsa_next_free_vgpr 69
		.amdhsa_next_free_sgpr 44
		.amdhsa_accum_offset 72
		.amdhsa_reserve_vcc 1
		.amdhsa_float_round_mode_32 0
		.amdhsa_float_round_mode_16_64 0
		.amdhsa_float_denorm_mode_32 3
		.amdhsa_float_denorm_mode_16_64 3
		.amdhsa_dx10_clamp 1
		.amdhsa_ieee_mode 1
		.amdhsa_fp16_overflow 0
		.amdhsa_tg_split 0
		.amdhsa_exception_fp_ieee_invalid_op 0
		.amdhsa_exception_fp_denorm_src 0
		.amdhsa_exception_fp_ieee_div_zero 0
		.amdhsa_exception_fp_ieee_overflow 0
		.amdhsa_exception_fp_ieee_underflow 0
		.amdhsa_exception_fp_ieee_inexact 0
		.amdhsa_exception_int_div_zero 0
	.end_amdhsa_kernel
	.section	.text._ZN7rocprim17ROCPRIM_400000_NS6detail17trampoline_kernelINS0_14default_configENS1_25partition_config_selectorILNS1_17partition_subalgoE1EiNS0_10empty_typeEbEEZZNS1_14partition_implILS5_1ELb0ES3_jN6thrust23THRUST_200600_302600_NS6detail15normal_iteratorINSA_10device_ptrIiEEEEPS6_NSA_18transform_iteratorINSA_8identityIiEESF_NSA_11use_defaultESK_EENS0_5tupleIJSF_SF_EEENSM_IJSG_SG_EEES6_PlJS6_EEE10hipError_tPvRmT3_T4_T5_T6_T7_T9_mT8_P12ihipStream_tbDpT10_ENKUlT_T0_E_clISt17integral_constantIbLb1EES19_EEDaS14_S15_EUlS14_E_NS1_11comp_targetILNS1_3genE5ELNS1_11target_archE942ELNS1_3gpuE9ELNS1_3repE0EEENS1_30default_config_static_selectorELNS0_4arch9wavefront6targetE1EEEvT1_,"axG",@progbits,_ZN7rocprim17ROCPRIM_400000_NS6detail17trampoline_kernelINS0_14default_configENS1_25partition_config_selectorILNS1_17partition_subalgoE1EiNS0_10empty_typeEbEEZZNS1_14partition_implILS5_1ELb0ES3_jN6thrust23THRUST_200600_302600_NS6detail15normal_iteratorINSA_10device_ptrIiEEEEPS6_NSA_18transform_iteratorINSA_8identityIiEESF_NSA_11use_defaultESK_EENS0_5tupleIJSF_SF_EEENSM_IJSG_SG_EEES6_PlJS6_EEE10hipError_tPvRmT3_T4_T5_T6_T7_T9_mT8_P12ihipStream_tbDpT10_ENKUlT_T0_E_clISt17integral_constantIbLb1EES19_EEDaS14_S15_EUlS14_E_NS1_11comp_targetILNS1_3genE5ELNS1_11target_archE942ELNS1_3gpuE9ELNS1_3repE0EEENS1_30default_config_static_selectorELNS0_4arch9wavefront6targetE1EEEvT1_,comdat
.Lfunc_end618:
	.size	_ZN7rocprim17ROCPRIM_400000_NS6detail17trampoline_kernelINS0_14default_configENS1_25partition_config_selectorILNS1_17partition_subalgoE1EiNS0_10empty_typeEbEEZZNS1_14partition_implILS5_1ELb0ES3_jN6thrust23THRUST_200600_302600_NS6detail15normal_iteratorINSA_10device_ptrIiEEEEPS6_NSA_18transform_iteratorINSA_8identityIiEESF_NSA_11use_defaultESK_EENS0_5tupleIJSF_SF_EEENSM_IJSG_SG_EEES6_PlJS6_EEE10hipError_tPvRmT3_T4_T5_T6_T7_T9_mT8_P12ihipStream_tbDpT10_ENKUlT_T0_E_clISt17integral_constantIbLb1EES19_EEDaS14_S15_EUlS14_E_NS1_11comp_targetILNS1_3genE5ELNS1_11target_archE942ELNS1_3gpuE9ELNS1_3repE0EEENS1_30default_config_static_selectorELNS0_4arch9wavefront6targetE1EEEvT1_, .Lfunc_end618-_ZN7rocprim17ROCPRIM_400000_NS6detail17trampoline_kernelINS0_14default_configENS1_25partition_config_selectorILNS1_17partition_subalgoE1EiNS0_10empty_typeEbEEZZNS1_14partition_implILS5_1ELb0ES3_jN6thrust23THRUST_200600_302600_NS6detail15normal_iteratorINSA_10device_ptrIiEEEEPS6_NSA_18transform_iteratorINSA_8identityIiEESF_NSA_11use_defaultESK_EENS0_5tupleIJSF_SF_EEENSM_IJSG_SG_EEES6_PlJS6_EEE10hipError_tPvRmT3_T4_T5_T6_T7_T9_mT8_P12ihipStream_tbDpT10_ENKUlT_T0_E_clISt17integral_constantIbLb1EES19_EEDaS14_S15_EUlS14_E_NS1_11comp_targetILNS1_3genE5ELNS1_11target_archE942ELNS1_3gpuE9ELNS1_3repE0EEENS1_30default_config_static_selectorELNS0_4arch9wavefront6targetE1EEEvT1_
                                        ; -- End function
	.section	.AMDGPU.csdata,"",@progbits
; Kernel info:
; codeLenInByte = 8328
; NumSgprs: 50
; NumVgprs: 69
; NumAgprs: 0
; TotalNumVgprs: 69
; ScratchSize: 0
; MemoryBound: 0
; FloatMode: 240
; IeeeMode: 1
; LDSByteSize: 30728 bytes/workgroup (compile time only)
; SGPRBlocks: 6
; VGPRBlocks: 8
; NumSGPRsForWavesPerEU: 50
; NumVGPRsForWavesPerEU: 69
; AccumOffset: 72
; Occupancy: 4
; WaveLimiterHint : 1
; COMPUTE_PGM_RSRC2:SCRATCH_EN: 0
; COMPUTE_PGM_RSRC2:USER_SGPR: 2
; COMPUTE_PGM_RSRC2:TRAP_HANDLER: 0
; COMPUTE_PGM_RSRC2:TGID_X_EN: 1
; COMPUTE_PGM_RSRC2:TGID_Y_EN: 0
; COMPUTE_PGM_RSRC2:TGID_Z_EN: 0
; COMPUTE_PGM_RSRC2:TIDIG_COMP_CNT: 0
; COMPUTE_PGM_RSRC3_GFX90A:ACCUM_OFFSET: 17
; COMPUTE_PGM_RSRC3_GFX90A:TG_SPLIT: 0
	.section	.text._ZN7rocprim17ROCPRIM_400000_NS6detail17trampoline_kernelINS0_14default_configENS1_25partition_config_selectorILNS1_17partition_subalgoE1EiNS0_10empty_typeEbEEZZNS1_14partition_implILS5_1ELb0ES3_jN6thrust23THRUST_200600_302600_NS6detail15normal_iteratorINSA_10device_ptrIiEEEEPS6_NSA_18transform_iteratorINSA_8identityIiEESF_NSA_11use_defaultESK_EENS0_5tupleIJSF_SF_EEENSM_IJSG_SG_EEES6_PlJS6_EEE10hipError_tPvRmT3_T4_T5_T6_T7_T9_mT8_P12ihipStream_tbDpT10_ENKUlT_T0_E_clISt17integral_constantIbLb1EES19_EEDaS14_S15_EUlS14_E_NS1_11comp_targetILNS1_3genE4ELNS1_11target_archE910ELNS1_3gpuE8ELNS1_3repE0EEENS1_30default_config_static_selectorELNS0_4arch9wavefront6targetE1EEEvT1_,"axG",@progbits,_ZN7rocprim17ROCPRIM_400000_NS6detail17trampoline_kernelINS0_14default_configENS1_25partition_config_selectorILNS1_17partition_subalgoE1EiNS0_10empty_typeEbEEZZNS1_14partition_implILS5_1ELb0ES3_jN6thrust23THRUST_200600_302600_NS6detail15normal_iteratorINSA_10device_ptrIiEEEEPS6_NSA_18transform_iteratorINSA_8identityIiEESF_NSA_11use_defaultESK_EENS0_5tupleIJSF_SF_EEENSM_IJSG_SG_EEES6_PlJS6_EEE10hipError_tPvRmT3_T4_T5_T6_T7_T9_mT8_P12ihipStream_tbDpT10_ENKUlT_T0_E_clISt17integral_constantIbLb1EES19_EEDaS14_S15_EUlS14_E_NS1_11comp_targetILNS1_3genE4ELNS1_11target_archE910ELNS1_3gpuE8ELNS1_3repE0EEENS1_30default_config_static_selectorELNS0_4arch9wavefront6targetE1EEEvT1_,comdat
	.protected	_ZN7rocprim17ROCPRIM_400000_NS6detail17trampoline_kernelINS0_14default_configENS1_25partition_config_selectorILNS1_17partition_subalgoE1EiNS0_10empty_typeEbEEZZNS1_14partition_implILS5_1ELb0ES3_jN6thrust23THRUST_200600_302600_NS6detail15normal_iteratorINSA_10device_ptrIiEEEEPS6_NSA_18transform_iteratorINSA_8identityIiEESF_NSA_11use_defaultESK_EENS0_5tupleIJSF_SF_EEENSM_IJSG_SG_EEES6_PlJS6_EEE10hipError_tPvRmT3_T4_T5_T6_T7_T9_mT8_P12ihipStream_tbDpT10_ENKUlT_T0_E_clISt17integral_constantIbLb1EES19_EEDaS14_S15_EUlS14_E_NS1_11comp_targetILNS1_3genE4ELNS1_11target_archE910ELNS1_3gpuE8ELNS1_3repE0EEENS1_30default_config_static_selectorELNS0_4arch9wavefront6targetE1EEEvT1_ ; -- Begin function _ZN7rocprim17ROCPRIM_400000_NS6detail17trampoline_kernelINS0_14default_configENS1_25partition_config_selectorILNS1_17partition_subalgoE1EiNS0_10empty_typeEbEEZZNS1_14partition_implILS5_1ELb0ES3_jN6thrust23THRUST_200600_302600_NS6detail15normal_iteratorINSA_10device_ptrIiEEEEPS6_NSA_18transform_iteratorINSA_8identityIiEESF_NSA_11use_defaultESK_EENS0_5tupleIJSF_SF_EEENSM_IJSG_SG_EEES6_PlJS6_EEE10hipError_tPvRmT3_T4_T5_T6_T7_T9_mT8_P12ihipStream_tbDpT10_ENKUlT_T0_E_clISt17integral_constantIbLb1EES19_EEDaS14_S15_EUlS14_E_NS1_11comp_targetILNS1_3genE4ELNS1_11target_archE910ELNS1_3gpuE8ELNS1_3repE0EEENS1_30default_config_static_selectorELNS0_4arch9wavefront6targetE1EEEvT1_
	.globl	_ZN7rocprim17ROCPRIM_400000_NS6detail17trampoline_kernelINS0_14default_configENS1_25partition_config_selectorILNS1_17partition_subalgoE1EiNS0_10empty_typeEbEEZZNS1_14partition_implILS5_1ELb0ES3_jN6thrust23THRUST_200600_302600_NS6detail15normal_iteratorINSA_10device_ptrIiEEEEPS6_NSA_18transform_iteratorINSA_8identityIiEESF_NSA_11use_defaultESK_EENS0_5tupleIJSF_SF_EEENSM_IJSG_SG_EEES6_PlJS6_EEE10hipError_tPvRmT3_T4_T5_T6_T7_T9_mT8_P12ihipStream_tbDpT10_ENKUlT_T0_E_clISt17integral_constantIbLb1EES19_EEDaS14_S15_EUlS14_E_NS1_11comp_targetILNS1_3genE4ELNS1_11target_archE910ELNS1_3gpuE8ELNS1_3repE0EEENS1_30default_config_static_selectorELNS0_4arch9wavefront6targetE1EEEvT1_
	.p2align	8
	.type	_ZN7rocprim17ROCPRIM_400000_NS6detail17trampoline_kernelINS0_14default_configENS1_25partition_config_selectorILNS1_17partition_subalgoE1EiNS0_10empty_typeEbEEZZNS1_14partition_implILS5_1ELb0ES3_jN6thrust23THRUST_200600_302600_NS6detail15normal_iteratorINSA_10device_ptrIiEEEEPS6_NSA_18transform_iteratorINSA_8identityIiEESF_NSA_11use_defaultESK_EENS0_5tupleIJSF_SF_EEENSM_IJSG_SG_EEES6_PlJS6_EEE10hipError_tPvRmT3_T4_T5_T6_T7_T9_mT8_P12ihipStream_tbDpT10_ENKUlT_T0_E_clISt17integral_constantIbLb1EES19_EEDaS14_S15_EUlS14_E_NS1_11comp_targetILNS1_3genE4ELNS1_11target_archE910ELNS1_3gpuE8ELNS1_3repE0EEENS1_30default_config_static_selectorELNS0_4arch9wavefront6targetE1EEEvT1_,@function
_ZN7rocprim17ROCPRIM_400000_NS6detail17trampoline_kernelINS0_14default_configENS1_25partition_config_selectorILNS1_17partition_subalgoE1EiNS0_10empty_typeEbEEZZNS1_14partition_implILS5_1ELb0ES3_jN6thrust23THRUST_200600_302600_NS6detail15normal_iteratorINSA_10device_ptrIiEEEEPS6_NSA_18transform_iteratorINSA_8identityIiEESF_NSA_11use_defaultESK_EENS0_5tupleIJSF_SF_EEENSM_IJSG_SG_EEES6_PlJS6_EEE10hipError_tPvRmT3_T4_T5_T6_T7_T9_mT8_P12ihipStream_tbDpT10_ENKUlT_T0_E_clISt17integral_constantIbLb1EES19_EEDaS14_S15_EUlS14_E_NS1_11comp_targetILNS1_3genE4ELNS1_11target_archE910ELNS1_3gpuE8ELNS1_3repE0EEENS1_30default_config_static_selectorELNS0_4arch9wavefront6targetE1EEEvT1_: ; @_ZN7rocprim17ROCPRIM_400000_NS6detail17trampoline_kernelINS0_14default_configENS1_25partition_config_selectorILNS1_17partition_subalgoE1EiNS0_10empty_typeEbEEZZNS1_14partition_implILS5_1ELb0ES3_jN6thrust23THRUST_200600_302600_NS6detail15normal_iteratorINSA_10device_ptrIiEEEEPS6_NSA_18transform_iteratorINSA_8identityIiEESF_NSA_11use_defaultESK_EENS0_5tupleIJSF_SF_EEENSM_IJSG_SG_EEES6_PlJS6_EEE10hipError_tPvRmT3_T4_T5_T6_T7_T9_mT8_P12ihipStream_tbDpT10_ENKUlT_T0_E_clISt17integral_constantIbLb1EES19_EEDaS14_S15_EUlS14_E_NS1_11comp_targetILNS1_3genE4ELNS1_11target_archE910ELNS1_3gpuE8ELNS1_3repE0EEENS1_30default_config_static_selectorELNS0_4arch9wavefront6targetE1EEEvT1_
; %bb.0:
	.section	.rodata,"a",@progbits
	.p2align	6, 0x0
	.amdhsa_kernel _ZN7rocprim17ROCPRIM_400000_NS6detail17trampoline_kernelINS0_14default_configENS1_25partition_config_selectorILNS1_17partition_subalgoE1EiNS0_10empty_typeEbEEZZNS1_14partition_implILS5_1ELb0ES3_jN6thrust23THRUST_200600_302600_NS6detail15normal_iteratorINSA_10device_ptrIiEEEEPS6_NSA_18transform_iteratorINSA_8identityIiEESF_NSA_11use_defaultESK_EENS0_5tupleIJSF_SF_EEENSM_IJSG_SG_EEES6_PlJS6_EEE10hipError_tPvRmT3_T4_T5_T6_T7_T9_mT8_P12ihipStream_tbDpT10_ENKUlT_T0_E_clISt17integral_constantIbLb1EES19_EEDaS14_S15_EUlS14_E_NS1_11comp_targetILNS1_3genE4ELNS1_11target_archE910ELNS1_3gpuE8ELNS1_3repE0EEENS1_30default_config_static_selectorELNS0_4arch9wavefront6targetE1EEEvT1_
		.amdhsa_group_segment_fixed_size 0
		.amdhsa_private_segment_fixed_size 0
		.amdhsa_kernarg_size 144
		.amdhsa_user_sgpr_count 2
		.amdhsa_user_sgpr_dispatch_ptr 0
		.amdhsa_user_sgpr_queue_ptr 0
		.amdhsa_user_sgpr_kernarg_segment_ptr 1
		.amdhsa_user_sgpr_dispatch_id 0
		.amdhsa_user_sgpr_kernarg_preload_length 0
		.amdhsa_user_sgpr_kernarg_preload_offset 0
		.amdhsa_user_sgpr_private_segment_size 0
		.amdhsa_uses_dynamic_stack 0
		.amdhsa_enable_private_segment 0
		.amdhsa_system_sgpr_workgroup_id_x 1
		.amdhsa_system_sgpr_workgroup_id_y 0
		.amdhsa_system_sgpr_workgroup_id_z 0
		.amdhsa_system_sgpr_workgroup_info 0
		.amdhsa_system_vgpr_workitem_id 0
		.amdhsa_next_free_vgpr 1
		.amdhsa_next_free_sgpr 0
		.amdhsa_accum_offset 4
		.amdhsa_reserve_vcc 0
		.amdhsa_float_round_mode_32 0
		.amdhsa_float_round_mode_16_64 0
		.amdhsa_float_denorm_mode_32 3
		.amdhsa_float_denorm_mode_16_64 3
		.amdhsa_dx10_clamp 1
		.amdhsa_ieee_mode 1
		.amdhsa_fp16_overflow 0
		.amdhsa_tg_split 0
		.amdhsa_exception_fp_ieee_invalid_op 0
		.amdhsa_exception_fp_denorm_src 0
		.amdhsa_exception_fp_ieee_div_zero 0
		.amdhsa_exception_fp_ieee_overflow 0
		.amdhsa_exception_fp_ieee_underflow 0
		.amdhsa_exception_fp_ieee_inexact 0
		.amdhsa_exception_int_div_zero 0
	.end_amdhsa_kernel
	.section	.text._ZN7rocprim17ROCPRIM_400000_NS6detail17trampoline_kernelINS0_14default_configENS1_25partition_config_selectorILNS1_17partition_subalgoE1EiNS0_10empty_typeEbEEZZNS1_14partition_implILS5_1ELb0ES3_jN6thrust23THRUST_200600_302600_NS6detail15normal_iteratorINSA_10device_ptrIiEEEEPS6_NSA_18transform_iteratorINSA_8identityIiEESF_NSA_11use_defaultESK_EENS0_5tupleIJSF_SF_EEENSM_IJSG_SG_EEES6_PlJS6_EEE10hipError_tPvRmT3_T4_T5_T6_T7_T9_mT8_P12ihipStream_tbDpT10_ENKUlT_T0_E_clISt17integral_constantIbLb1EES19_EEDaS14_S15_EUlS14_E_NS1_11comp_targetILNS1_3genE4ELNS1_11target_archE910ELNS1_3gpuE8ELNS1_3repE0EEENS1_30default_config_static_selectorELNS0_4arch9wavefront6targetE1EEEvT1_,"axG",@progbits,_ZN7rocprim17ROCPRIM_400000_NS6detail17trampoline_kernelINS0_14default_configENS1_25partition_config_selectorILNS1_17partition_subalgoE1EiNS0_10empty_typeEbEEZZNS1_14partition_implILS5_1ELb0ES3_jN6thrust23THRUST_200600_302600_NS6detail15normal_iteratorINSA_10device_ptrIiEEEEPS6_NSA_18transform_iteratorINSA_8identityIiEESF_NSA_11use_defaultESK_EENS0_5tupleIJSF_SF_EEENSM_IJSG_SG_EEES6_PlJS6_EEE10hipError_tPvRmT3_T4_T5_T6_T7_T9_mT8_P12ihipStream_tbDpT10_ENKUlT_T0_E_clISt17integral_constantIbLb1EES19_EEDaS14_S15_EUlS14_E_NS1_11comp_targetILNS1_3genE4ELNS1_11target_archE910ELNS1_3gpuE8ELNS1_3repE0EEENS1_30default_config_static_selectorELNS0_4arch9wavefront6targetE1EEEvT1_,comdat
.Lfunc_end619:
	.size	_ZN7rocprim17ROCPRIM_400000_NS6detail17trampoline_kernelINS0_14default_configENS1_25partition_config_selectorILNS1_17partition_subalgoE1EiNS0_10empty_typeEbEEZZNS1_14partition_implILS5_1ELb0ES3_jN6thrust23THRUST_200600_302600_NS6detail15normal_iteratorINSA_10device_ptrIiEEEEPS6_NSA_18transform_iteratorINSA_8identityIiEESF_NSA_11use_defaultESK_EENS0_5tupleIJSF_SF_EEENSM_IJSG_SG_EEES6_PlJS6_EEE10hipError_tPvRmT3_T4_T5_T6_T7_T9_mT8_P12ihipStream_tbDpT10_ENKUlT_T0_E_clISt17integral_constantIbLb1EES19_EEDaS14_S15_EUlS14_E_NS1_11comp_targetILNS1_3genE4ELNS1_11target_archE910ELNS1_3gpuE8ELNS1_3repE0EEENS1_30default_config_static_selectorELNS0_4arch9wavefront6targetE1EEEvT1_, .Lfunc_end619-_ZN7rocprim17ROCPRIM_400000_NS6detail17trampoline_kernelINS0_14default_configENS1_25partition_config_selectorILNS1_17partition_subalgoE1EiNS0_10empty_typeEbEEZZNS1_14partition_implILS5_1ELb0ES3_jN6thrust23THRUST_200600_302600_NS6detail15normal_iteratorINSA_10device_ptrIiEEEEPS6_NSA_18transform_iteratorINSA_8identityIiEESF_NSA_11use_defaultESK_EENS0_5tupleIJSF_SF_EEENSM_IJSG_SG_EEES6_PlJS6_EEE10hipError_tPvRmT3_T4_T5_T6_T7_T9_mT8_P12ihipStream_tbDpT10_ENKUlT_T0_E_clISt17integral_constantIbLb1EES19_EEDaS14_S15_EUlS14_E_NS1_11comp_targetILNS1_3genE4ELNS1_11target_archE910ELNS1_3gpuE8ELNS1_3repE0EEENS1_30default_config_static_selectorELNS0_4arch9wavefront6targetE1EEEvT1_
                                        ; -- End function
	.section	.AMDGPU.csdata,"",@progbits
; Kernel info:
; codeLenInByte = 0
; NumSgprs: 6
; NumVgprs: 0
; NumAgprs: 0
; TotalNumVgprs: 0
; ScratchSize: 0
; MemoryBound: 0
; FloatMode: 240
; IeeeMode: 1
; LDSByteSize: 0 bytes/workgroup (compile time only)
; SGPRBlocks: 0
; VGPRBlocks: 0
; NumSGPRsForWavesPerEU: 6
; NumVGPRsForWavesPerEU: 1
; AccumOffset: 4
; Occupancy: 8
; WaveLimiterHint : 0
; COMPUTE_PGM_RSRC2:SCRATCH_EN: 0
; COMPUTE_PGM_RSRC2:USER_SGPR: 2
; COMPUTE_PGM_RSRC2:TRAP_HANDLER: 0
; COMPUTE_PGM_RSRC2:TGID_X_EN: 1
; COMPUTE_PGM_RSRC2:TGID_Y_EN: 0
; COMPUTE_PGM_RSRC2:TGID_Z_EN: 0
; COMPUTE_PGM_RSRC2:TIDIG_COMP_CNT: 0
; COMPUTE_PGM_RSRC3_GFX90A:ACCUM_OFFSET: 0
; COMPUTE_PGM_RSRC3_GFX90A:TG_SPLIT: 0
	.section	.text._ZN7rocprim17ROCPRIM_400000_NS6detail17trampoline_kernelINS0_14default_configENS1_25partition_config_selectorILNS1_17partition_subalgoE1EiNS0_10empty_typeEbEEZZNS1_14partition_implILS5_1ELb0ES3_jN6thrust23THRUST_200600_302600_NS6detail15normal_iteratorINSA_10device_ptrIiEEEEPS6_NSA_18transform_iteratorINSA_8identityIiEESF_NSA_11use_defaultESK_EENS0_5tupleIJSF_SF_EEENSM_IJSG_SG_EEES6_PlJS6_EEE10hipError_tPvRmT3_T4_T5_T6_T7_T9_mT8_P12ihipStream_tbDpT10_ENKUlT_T0_E_clISt17integral_constantIbLb1EES19_EEDaS14_S15_EUlS14_E_NS1_11comp_targetILNS1_3genE3ELNS1_11target_archE908ELNS1_3gpuE7ELNS1_3repE0EEENS1_30default_config_static_selectorELNS0_4arch9wavefront6targetE1EEEvT1_,"axG",@progbits,_ZN7rocprim17ROCPRIM_400000_NS6detail17trampoline_kernelINS0_14default_configENS1_25partition_config_selectorILNS1_17partition_subalgoE1EiNS0_10empty_typeEbEEZZNS1_14partition_implILS5_1ELb0ES3_jN6thrust23THRUST_200600_302600_NS6detail15normal_iteratorINSA_10device_ptrIiEEEEPS6_NSA_18transform_iteratorINSA_8identityIiEESF_NSA_11use_defaultESK_EENS0_5tupleIJSF_SF_EEENSM_IJSG_SG_EEES6_PlJS6_EEE10hipError_tPvRmT3_T4_T5_T6_T7_T9_mT8_P12ihipStream_tbDpT10_ENKUlT_T0_E_clISt17integral_constantIbLb1EES19_EEDaS14_S15_EUlS14_E_NS1_11comp_targetILNS1_3genE3ELNS1_11target_archE908ELNS1_3gpuE7ELNS1_3repE0EEENS1_30default_config_static_selectorELNS0_4arch9wavefront6targetE1EEEvT1_,comdat
	.protected	_ZN7rocprim17ROCPRIM_400000_NS6detail17trampoline_kernelINS0_14default_configENS1_25partition_config_selectorILNS1_17partition_subalgoE1EiNS0_10empty_typeEbEEZZNS1_14partition_implILS5_1ELb0ES3_jN6thrust23THRUST_200600_302600_NS6detail15normal_iteratorINSA_10device_ptrIiEEEEPS6_NSA_18transform_iteratorINSA_8identityIiEESF_NSA_11use_defaultESK_EENS0_5tupleIJSF_SF_EEENSM_IJSG_SG_EEES6_PlJS6_EEE10hipError_tPvRmT3_T4_T5_T6_T7_T9_mT8_P12ihipStream_tbDpT10_ENKUlT_T0_E_clISt17integral_constantIbLb1EES19_EEDaS14_S15_EUlS14_E_NS1_11comp_targetILNS1_3genE3ELNS1_11target_archE908ELNS1_3gpuE7ELNS1_3repE0EEENS1_30default_config_static_selectorELNS0_4arch9wavefront6targetE1EEEvT1_ ; -- Begin function _ZN7rocprim17ROCPRIM_400000_NS6detail17trampoline_kernelINS0_14default_configENS1_25partition_config_selectorILNS1_17partition_subalgoE1EiNS0_10empty_typeEbEEZZNS1_14partition_implILS5_1ELb0ES3_jN6thrust23THRUST_200600_302600_NS6detail15normal_iteratorINSA_10device_ptrIiEEEEPS6_NSA_18transform_iteratorINSA_8identityIiEESF_NSA_11use_defaultESK_EENS0_5tupleIJSF_SF_EEENSM_IJSG_SG_EEES6_PlJS6_EEE10hipError_tPvRmT3_T4_T5_T6_T7_T9_mT8_P12ihipStream_tbDpT10_ENKUlT_T0_E_clISt17integral_constantIbLb1EES19_EEDaS14_S15_EUlS14_E_NS1_11comp_targetILNS1_3genE3ELNS1_11target_archE908ELNS1_3gpuE7ELNS1_3repE0EEENS1_30default_config_static_selectorELNS0_4arch9wavefront6targetE1EEEvT1_
	.globl	_ZN7rocprim17ROCPRIM_400000_NS6detail17trampoline_kernelINS0_14default_configENS1_25partition_config_selectorILNS1_17partition_subalgoE1EiNS0_10empty_typeEbEEZZNS1_14partition_implILS5_1ELb0ES3_jN6thrust23THRUST_200600_302600_NS6detail15normal_iteratorINSA_10device_ptrIiEEEEPS6_NSA_18transform_iteratorINSA_8identityIiEESF_NSA_11use_defaultESK_EENS0_5tupleIJSF_SF_EEENSM_IJSG_SG_EEES6_PlJS6_EEE10hipError_tPvRmT3_T4_T5_T6_T7_T9_mT8_P12ihipStream_tbDpT10_ENKUlT_T0_E_clISt17integral_constantIbLb1EES19_EEDaS14_S15_EUlS14_E_NS1_11comp_targetILNS1_3genE3ELNS1_11target_archE908ELNS1_3gpuE7ELNS1_3repE0EEENS1_30default_config_static_selectorELNS0_4arch9wavefront6targetE1EEEvT1_
	.p2align	8
	.type	_ZN7rocprim17ROCPRIM_400000_NS6detail17trampoline_kernelINS0_14default_configENS1_25partition_config_selectorILNS1_17partition_subalgoE1EiNS0_10empty_typeEbEEZZNS1_14partition_implILS5_1ELb0ES3_jN6thrust23THRUST_200600_302600_NS6detail15normal_iteratorINSA_10device_ptrIiEEEEPS6_NSA_18transform_iteratorINSA_8identityIiEESF_NSA_11use_defaultESK_EENS0_5tupleIJSF_SF_EEENSM_IJSG_SG_EEES6_PlJS6_EEE10hipError_tPvRmT3_T4_T5_T6_T7_T9_mT8_P12ihipStream_tbDpT10_ENKUlT_T0_E_clISt17integral_constantIbLb1EES19_EEDaS14_S15_EUlS14_E_NS1_11comp_targetILNS1_3genE3ELNS1_11target_archE908ELNS1_3gpuE7ELNS1_3repE0EEENS1_30default_config_static_selectorELNS0_4arch9wavefront6targetE1EEEvT1_,@function
_ZN7rocprim17ROCPRIM_400000_NS6detail17trampoline_kernelINS0_14default_configENS1_25partition_config_selectorILNS1_17partition_subalgoE1EiNS0_10empty_typeEbEEZZNS1_14partition_implILS5_1ELb0ES3_jN6thrust23THRUST_200600_302600_NS6detail15normal_iteratorINSA_10device_ptrIiEEEEPS6_NSA_18transform_iteratorINSA_8identityIiEESF_NSA_11use_defaultESK_EENS0_5tupleIJSF_SF_EEENSM_IJSG_SG_EEES6_PlJS6_EEE10hipError_tPvRmT3_T4_T5_T6_T7_T9_mT8_P12ihipStream_tbDpT10_ENKUlT_T0_E_clISt17integral_constantIbLb1EES19_EEDaS14_S15_EUlS14_E_NS1_11comp_targetILNS1_3genE3ELNS1_11target_archE908ELNS1_3gpuE7ELNS1_3repE0EEENS1_30default_config_static_selectorELNS0_4arch9wavefront6targetE1EEEvT1_: ; @_ZN7rocprim17ROCPRIM_400000_NS6detail17trampoline_kernelINS0_14default_configENS1_25partition_config_selectorILNS1_17partition_subalgoE1EiNS0_10empty_typeEbEEZZNS1_14partition_implILS5_1ELb0ES3_jN6thrust23THRUST_200600_302600_NS6detail15normal_iteratorINSA_10device_ptrIiEEEEPS6_NSA_18transform_iteratorINSA_8identityIiEESF_NSA_11use_defaultESK_EENS0_5tupleIJSF_SF_EEENSM_IJSG_SG_EEES6_PlJS6_EEE10hipError_tPvRmT3_T4_T5_T6_T7_T9_mT8_P12ihipStream_tbDpT10_ENKUlT_T0_E_clISt17integral_constantIbLb1EES19_EEDaS14_S15_EUlS14_E_NS1_11comp_targetILNS1_3genE3ELNS1_11target_archE908ELNS1_3gpuE7ELNS1_3repE0EEENS1_30default_config_static_selectorELNS0_4arch9wavefront6targetE1EEEvT1_
; %bb.0:
	.section	.rodata,"a",@progbits
	.p2align	6, 0x0
	.amdhsa_kernel _ZN7rocprim17ROCPRIM_400000_NS6detail17trampoline_kernelINS0_14default_configENS1_25partition_config_selectorILNS1_17partition_subalgoE1EiNS0_10empty_typeEbEEZZNS1_14partition_implILS5_1ELb0ES3_jN6thrust23THRUST_200600_302600_NS6detail15normal_iteratorINSA_10device_ptrIiEEEEPS6_NSA_18transform_iteratorINSA_8identityIiEESF_NSA_11use_defaultESK_EENS0_5tupleIJSF_SF_EEENSM_IJSG_SG_EEES6_PlJS6_EEE10hipError_tPvRmT3_T4_T5_T6_T7_T9_mT8_P12ihipStream_tbDpT10_ENKUlT_T0_E_clISt17integral_constantIbLb1EES19_EEDaS14_S15_EUlS14_E_NS1_11comp_targetILNS1_3genE3ELNS1_11target_archE908ELNS1_3gpuE7ELNS1_3repE0EEENS1_30default_config_static_selectorELNS0_4arch9wavefront6targetE1EEEvT1_
		.amdhsa_group_segment_fixed_size 0
		.amdhsa_private_segment_fixed_size 0
		.amdhsa_kernarg_size 144
		.amdhsa_user_sgpr_count 2
		.amdhsa_user_sgpr_dispatch_ptr 0
		.amdhsa_user_sgpr_queue_ptr 0
		.amdhsa_user_sgpr_kernarg_segment_ptr 1
		.amdhsa_user_sgpr_dispatch_id 0
		.amdhsa_user_sgpr_kernarg_preload_length 0
		.amdhsa_user_sgpr_kernarg_preload_offset 0
		.amdhsa_user_sgpr_private_segment_size 0
		.amdhsa_uses_dynamic_stack 0
		.amdhsa_enable_private_segment 0
		.amdhsa_system_sgpr_workgroup_id_x 1
		.amdhsa_system_sgpr_workgroup_id_y 0
		.amdhsa_system_sgpr_workgroup_id_z 0
		.amdhsa_system_sgpr_workgroup_info 0
		.amdhsa_system_vgpr_workitem_id 0
		.amdhsa_next_free_vgpr 1
		.amdhsa_next_free_sgpr 0
		.amdhsa_accum_offset 4
		.amdhsa_reserve_vcc 0
		.amdhsa_float_round_mode_32 0
		.amdhsa_float_round_mode_16_64 0
		.amdhsa_float_denorm_mode_32 3
		.amdhsa_float_denorm_mode_16_64 3
		.amdhsa_dx10_clamp 1
		.amdhsa_ieee_mode 1
		.amdhsa_fp16_overflow 0
		.amdhsa_tg_split 0
		.amdhsa_exception_fp_ieee_invalid_op 0
		.amdhsa_exception_fp_denorm_src 0
		.amdhsa_exception_fp_ieee_div_zero 0
		.amdhsa_exception_fp_ieee_overflow 0
		.amdhsa_exception_fp_ieee_underflow 0
		.amdhsa_exception_fp_ieee_inexact 0
		.amdhsa_exception_int_div_zero 0
	.end_amdhsa_kernel
	.section	.text._ZN7rocprim17ROCPRIM_400000_NS6detail17trampoline_kernelINS0_14default_configENS1_25partition_config_selectorILNS1_17partition_subalgoE1EiNS0_10empty_typeEbEEZZNS1_14partition_implILS5_1ELb0ES3_jN6thrust23THRUST_200600_302600_NS6detail15normal_iteratorINSA_10device_ptrIiEEEEPS6_NSA_18transform_iteratorINSA_8identityIiEESF_NSA_11use_defaultESK_EENS0_5tupleIJSF_SF_EEENSM_IJSG_SG_EEES6_PlJS6_EEE10hipError_tPvRmT3_T4_T5_T6_T7_T9_mT8_P12ihipStream_tbDpT10_ENKUlT_T0_E_clISt17integral_constantIbLb1EES19_EEDaS14_S15_EUlS14_E_NS1_11comp_targetILNS1_3genE3ELNS1_11target_archE908ELNS1_3gpuE7ELNS1_3repE0EEENS1_30default_config_static_selectorELNS0_4arch9wavefront6targetE1EEEvT1_,"axG",@progbits,_ZN7rocprim17ROCPRIM_400000_NS6detail17trampoline_kernelINS0_14default_configENS1_25partition_config_selectorILNS1_17partition_subalgoE1EiNS0_10empty_typeEbEEZZNS1_14partition_implILS5_1ELb0ES3_jN6thrust23THRUST_200600_302600_NS6detail15normal_iteratorINSA_10device_ptrIiEEEEPS6_NSA_18transform_iteratorINSA_8identityIiEESF_NSA_11use_defaultESK_EENS0_5tupleIJSF_SF_EEENSM_IJSG_SG_EEES6_PlJS6_EEE10hipError_tPvRmT3_T4_T5_T6_T7_T9_mT8_P12ihipStream_tbDpT10_ENKUlT_T0_E_clISt17integral_constantIbLb1EES19_EEDaS14_S15_EUlS14_E_NS1_11comp_targetILNS1_3genE3ELNS1_11target_archE908ELNS1_3gpuE7ELNS1_3repE0EEENS1_30default_config_static_selectorELNS0_4arch9wavefront6targetE1EEEvT1_,comdat
.Lfunc_end620:
	.size	_ZN7rocprim17ROCPRIM_400000_NS6detail17trampoline_kernelINS0_14default_configENS1_25partition_config_selectorILNS1_17partition_subalgoE1EiNS0_10empty_typeEbEEZZNS1_14partition_implILS5_1ELb0ES3_jN6thrust23THRUST_200600_302600_NS6detail15normal_iteratorINSA_10device_ptrIiEEEEPS6_NSA_18transform_iteratorINSA_8identityIiEESF_NSA_11use_defaultESK_EENS0_5tupleIJSF_SF_EEENSM_IJSG_SG_EEES6_PlJS6_EEE10hipError_tPvRmT3_T4_T5_T6_T7_T9_mT8_P12ihipStream_tbDpT10_ENKUlT_T0_E_clISt17integral_constantIbLb1EES19_EEDaS14_S15_EUlS14_E_NS1_11comp_targetILNS1_3genE3ELNS1_11target_archE908ELNS1_3gpuE7ELNS1_3repE0EEENS1_30default_config_static_selectorELNS0_4arch9wavefront6targetE1EEEvT1_, .Lfunc_end620-_ZN7rocprim17ROCPRIM_400000_NS6detail17trampoline_kernelINS0_14default_configENS1_25partition_config_selectorILNS1_17partition_subalgoE1EiNS0_10empty_typeEbEEZZNS1_14partition_implILS5_1ELb0ES3_jN6thrust23THRUST_200600_302600_NS6detail15normal_iteratorINSA_10device_ptrIiEEEEPS6_NSA_18transform_iteratorINSA_8identityIiEESF_NSA_11use_defaultESK_EENS0_5tupleIJSF_SF_EEENSM_IJSG_SG_EEES6_PlJS6_EEE10hipError_tPvRmT3_T4_T5_T6_T7_T9_mT8_P12ihipStream_tbDpT10_ENKUlT_T0_E_clISt17integral_constantIbLb1EES19_EEDaS14_S15_EUlS14_E_NS1_11comp_targetILNS1_3genE3ELNS1_11target_archE908ELNS1_3gpuE7ELNS1_3repE0EEENS1_30default_config_static_selectorELNS0_4arch9wavefront6targetE1EEEvT1_
                                        ; -- End function
	.section	.AMDGPU.csdata,"",@progbits
; Kernel info:
; codeLenInByte = 0
; NumSgprs: 6
; NumVgprs: 0
; NumAgprs: 0
; TotalNumVgprs: 0
; ScratchSize: 0
; MemoryBound: 0
; FloatMode: 240
; IeeeMode: 1
; LDSByteSize: 0 bytes/workgroup (compile time only)
; SGPRBlocks: 0
; VGPRBlocks: 0
; NumSGPRsForWavesPerEU: 6
; NumVGPRsForWavesPerEU: 1
; AccumOffset: 4
; Occupancy: 8
; WaveLimiterHint : 0
; COMPUTE_PGM_RSRC2:SCRATCH_EN: 0
; COMPUTE_PGM_RSRC2:USER_SGPR: 2
; COMPUTE_PGM_RSRC2:TRAP_HANDLER: 0
; COMPUTE_PGM_RSRC2:TGID_X_EN: 1
; COMPUTE_PGM_RSRC2:TGID_Y_EN: 0
; COMPUTE_PGM_RSRC2:TGID_Z_EN: 0
; COMPUTE_PGM_RSRC2:TIDIG_COMP_CNT: 0
; COMPUTE_PGM_RSRC3_GFX90A:ACCUM_OFFSET: 0
; COMPUTE_PGM_RSRC3_GFX90A:TG_SPLIT: 0
	.section	.text._ZN7rocprim17ROCPRIM_400000_NS6detail17trampoline_kernelINS0_14default_configENS1_25partition_config_selectorILNS1_17partition_subalgoE1EiNS0_10empty_typeEbEEZZNS1_14partition_implILS5_1ELb0ES3_jN6thrust23THRUST_200600_302600_NS6detail15normal_iteratorINSA_10device_ptrIiEEEEPS6_NSA_18transform_iteratorINSA_8identityIiEESF_NSA_11use_defaultESK_EENS0_5tupleIJSF_SF_EEENSM_IJSG_SG_EEES6_PlJS6_EEE10hipError_tPvRmT3_T4_T5_T6_T7_T9_mT8_P12ihipStream_tbDpT10_ENKUlT_T0_E_clISt17integral_constantIbLb1EES19_EEDaS14_S15_EUlS14_E_NS1_11comp_targetILNS1_3genE2ELNS1_11target_archE906ELNS1_3gpuE6ELNS1_3repE0EEENS1_30default_config_static_selectorELNS0_4arch9wavefront6targetE1EEEvT1_,"axG",@progbits,_ZN7rocprim17ROCPRIM_400000_NS6detail17trampoline_kernelINS0_14default_configENS1_25partition_config_selectorILNS1_17partition_subalgoE1EiNS0_10empty_typeEbEEZZNS1_14partition_implILS5_1ELb0ES3_jN6thrust23THRUST_200600_302600_NS6detail15normal_iteratorINSA_10device_ptrIiEEEEPS6_NSA_18transform_iteratorINSA_8identityIiEESF_NSA_11use_defaultESK_EENS0_5tupleIJSF_SF_EEENSM_IJSG_SG_EEES6_PlJS6_EEE10hipError_tPvRmT3_T4_T5_T6_T7_T9_mT8_P12ihipStream_tbDpT10_ENKUlT_T0_E_clISt17integral_constantIbLb1EES19_EEDaS14_S15_EUlS14_E_NS1_11comp_targetILNS1_3genE2ELNS1_11target_archE906ELNS1_3gpuE6ELNS1_3repE0EEENS1_30default_config_static_selectorELNS0_4arch9wavefront6targetE1EEEvT1_,comdat
	.protected	_ZN7rocprim17ROCPRIM_400000_NS6detail17trampoline_kernelINS0_14default_configENS1_25partition_config_selectorILNS1_17partition_subalgoE1EiNS0_10empty_typeEbEEZZNS1_14partition_implILS5_1ELb0ES3_jN6thrust23THRUST_200600_302600_NS6detail15normal_iteratorINSA_10device_ptrIiEEEEPS6_NSA_18transform_iteratorINSA_8identityIiEESF_NSA_11use_defaultESK_EENS0_5tupleIJSF_SF_EEENSM_IJSG_SG_EEES6_PlJS6_EEE10hipError_tPvRmT3_T4_T5_T6_T7_T9_mT8_P12ihipStream_tbDpT10_ENKUlT_T0_E_clISt17integral_constantIbLb1EES19_EEDaS14_S15_EUlS14_E_NS1_11comp_targetILNS1_3genE2ELNS1_11target_archE906ELNS1_3gpuE6ELNS1_3repE0EEENS1_30default_config_static_selectorELNS0_4arch9wavefront6targetE1EEEvT1_ ; -- Begin function _ZN7rocprim17ROCPRIM_400000_NS6detail17trampoline_kernelINS0_14default_configENS1_25partition_config_selectorILNS1_17partition_subalgoE1EiNS0_10empty_typeEbEEZZNS1_14partition_implILS5_1ELb0ES3_jN6thrust23THRUST_200600_302600_NS6detail15normal_iteratorINSA_10device_ptrIiEEEEPS6_NSA_18transform_iteratorINSA_8identityIiEESF_NSA_11use_defaultESK_EENS0_5tupleIJSF_SF_EEENSM_IJSG_SG_EEES6_PlJS6_EEE10hipError_tPvRmT3_T4_T5_T6_T7_T9_mT8_P12ihipStream_tbDpT10_ENKUlT_T0_E_clISt17integral_constantIbLb1EES19_EEDaS14_S15_EUlS14_E_NS1_11comp_targetILNS1_3genE2ELNS1_11target_archE906ELNS1_3gpuE6ELNS1_3repE0EEENS1_30default_config_static_selectorELNS0_4arch9wavefront6targetE1EEEvT1_
	.globl	_ZN7rocprim17ROCPRIM_400000_NS6detail17trampoline_kernelINS0_14default_configENS1_25partition_config_selectorILNS1_17partition_subalgoE1EiNS0_10empty_typeEbEEZZNS1_14partition_implILS5_1ELb0ES3_jN6thrust23THRUST_200600_302600_NS6detail15normal_iteratorINSA_10device_ptrIiEEEEPS6_NSA_18transform_iteratorINSA_8identityIiEESF_NSA_11use_defaultESK_EENS0_5tupleIJSF_SF_EEENSM_IJSG_SG_EEES6_PlJS6_EEE10hipError_tPvRmT3_T4_T5_T6_T7_T9_mT8_P12ihipStream_tbDpT10_ENKUlT_T0_E_clISt17integral_constantIbLb1EES19_EEDaS14_S15_EUlS14_E_NS1_11comp_targetILNS1_3genE2ELNS1_11target_archE906ELNS1_3gpuE6ELNS1_3repE0EEENS1_30default_config_static_selectorELNS0_4arch9wavefront6targetE1EEEvT1_
	.p2align	8
	.type	_ZN7rocprim17ROCPRIM_400000_NS6detail17trampoline_kernelINS0_14default_configENS1_25partition_config_selectorILNS1_17partition_subalgoE1EiNS0_10empty_typeEbEEZZNS1_14partition_implILS5_1ELb0ES3_jN6thrust23THRUST_200600_302600_NS6detail15normal_iteratorINSA_10device_ptrIiEEEEPS6_NSA_18transform_iteratorINSA_8identityIiEESF_NSA_11use_defaultESK_EENS0_5tupleIJSF_SF_EEENSM_IJSG_SG_EEES6_PlJS6_EEE10hipError_tPvRmT3_T4_T5_T6_T7_T9_mT8_P12ihipStream_tbDpT10_ENKUlT_T0_E_clISt17integral_constantIbLb1EES19_EEDaS14_S15_EUlS14_E_NS1_11comp_targetILNS1_3genE2ELNS1_11target_archE906ELNS1_3gpuE6ELNS1_3repE0EEENS1_30default_config_static_selectorELNS0_4arch9wavefront6targetE1EEEvT1_,@function
_ZN7rocprim17ROCPRIM_400000_NS6detail17trampoline_kernelINS0_14default_configENS1_25partition_config_selectorILNS1_17partition_subalgoE1EiNS0_10empty_typeEbEEZZNS1_14partition_implILS5_1ELb0ES3_jN6thrust23THRUST_200600_302600_NS6detail15normal_iteratorINSA_10device_ptrIiEEEEPS6_NSA_18transform_iteratorINSA_8identityIiEESF_NSA_11use_defaultESK_EENS0_5tupleIJSF_SF_EEENSM_IJSG_SG_EEES6_PlJS6_EEE10hipError_tPvRmT3_T4_T5_T6_T7_T9_mT8_P12ihipStream_tbDpT10_ENKUlT_T0_E_clISt17integral_constantIbLb1EES19_EEDaS14_S15_EUlS14_E_NS1_11comp_targetILNS1_3genE2ELNS1_11target_archE906ELNS1_3gpuE6ELNS1_3repE0EEENS1_30default_config_static_selectorELNS0_4arch9wavefront6targetE1EEEvT1_: ; @_ZN7rocprim17ROCPRIM_400000_NS6detail17trampoline_kernelINS0_14default_configENS1_25partition_config_selectorILNS1_17partition_subalgoE1EiNS0_10empty_typeEbEEZZNS1_14partition_implILS5_1ELb0ES3_jN6thrust23THRUST_200600_302600_NS6detail15normal_iteratorINSA_10device_ptrIiEEEEPS6_NSA_18transform_iteratorINSA_8identityIiEESF_NSA_11use_defaultESK_EENS0_5tupleIJSF_SF_EEENSM_IJSG_SG_EEES6_PlJS6_EEE10hipError_tPvRmT3_T4_T5_T6_T7_T9_mT8_P12ihipStream_tbDpT10_ENKUlT_T0_E_clISt17integral_constantIbLb1EES19_EEDaS14_S15_EUlS14_E_NS1_11comp_targetILNS1_3genE2ELNS1_11target_archE906ELNS1_3gpuE6ELNS1_3repE0EEENS1_30default_config_static_selectorELNS0_4arch9wavefront6targetE1EEEvT1_
; %bb.0:
	.section	.rodata,"a",@progbits
	.p2align	6, 0x0
	.amdhsa_kernel _ZN7rocprim17ROCPRIM_400000_NS6detail17trampoline_kernelINS0_14default_configENS1_25partition_config_selectorILNS1_17partition_subalgoE1EiNS0_10empty_typeEbEEZZNS1_14partition_implILS5_1ELb0ES3_jN6thrust23THRUST_200600_302600_NS6detail15normal_iteratorINSA_10device_ptrIiEEEEPS6_NSA_18transform_iteratorINSA_8identityIiEESF_NSA_11use_defaultESK_EENS0_5tupleIJSF_SF_EEENSM_IJSG_SG_EEES6_PlJS6_EEE10hipError_tPvRmT3_T4_T5_T6_T7_T9_mT8_P12ihipStream_tbDpT10_ENKUlT_T0_E_clISt17integral_constantIbLb1EES19_EEDaS14_S15_EUlS14_E_NS1_11comp_targetILNS1_3genE2ELNS1_11target_archE906ELNS1_3gpuE6ELNS1_3repE0EEENS1_30default_config_static_selectorELNS0_4arch9wavefront6targetE1EEEvT1_
		.amdhsa_group_segment_fixed_size 0
		.amdhsa_private_segment_fixed_size 0
		.amdhsa_kernarg_size 144
		.amdhsa_user_sgpr_count 2
		.amdhsa_user_sgpr_dispatch_ptr 0
		.amdhsa_user_sgpr_queue_ptr 0
		.amdhsa_user_sgpr_kernarg_segment_ptr 1
		.amdhsa_user_sgpr_dispatch_id 0
		.amdhsa_user_sgpr_kernarg_preload_length 0
		.amdhsa_user_sgpr_kernarg_preload_offset 0
		.amdhsa_user_sgpr_private_segment_size 0
		.amdhsa_uses_dynamic_stack 0
		.amdhsa_enable_private_segment 0
		.amdhsa_system_sgpr_workgroup_id_x 1
		.amdhsa_system_sgpr_workgroup_id_y 0
		.amdhsa_system_sgpr_workgroup_id_z 0
		.amdhsa_system_sgpr_workgroup_info 0
		.amdhsa_system_vgpr_workitem_id 0
		.amdhsa_next_free_vgpr 1
		.amdhsa_next_free_sgpr 0
		.amdhsa_accum_offset 4
		.amdhsa_reserve_vcc 0
		.amdhsa_float_round_mode_32 0
		.amdhsa_float_round_mode_16_64 0
		.amdhsa_float_denorm_mode_32 3
		.amdhsa_float_denorm_mode_16_64 3
		.amdhsa_dx10_clamp 1
		.amdhsa_ieee_mode 1
		.amdhsa_fp16_overflow 0
		.amdhsa_tg_split 0
		.amdhsa_exception_fp_ieee_invalid_op 0
		.amdhsa_exception_fp_denorm_src 0
		.amdhsa_exception_fp_ieee_div_zero 0
		.amdhsa_exception_fp_ieee_overflow 0
		.amdhsa_exception_fp_ieee_underflow 0
		.amdhsa_exception_fp_ieee_inexact 0
		.amdhsa_exception_int_div_zero 0
	.end_amdhsa_kernel
	.section	.text._ZN7rocprim17ROCPRIM_400000_NS6detail17trampoline_kernelINS0_14default_configENS1_25partition_config_selectorILNS1_17partition_subalgoE1EiNS0_10empty_typeEbEEZZNS1_14partition_implILS5_1ELb0ES3_jN6thrust23THRUST_200600_302600_NS6detail15normal_iteratorINSA_10device_ptrIiEEEEPS6_NSA_18transform_iteratorINSA_8identityIiEESF_NSA_11use_defaultESK_EENS0_5tupleIJSF_SF_EEENSM_IJSG_SG_EEES6_PlJS6_EEE10hipError_tPvRmT3_T4_T5_T6_T7_T9_mT8_P12ihipStream_tbDpT10_ENKUlT_T0_E_clISt17integral_constantIbLb1EES19_EEDaS14_S15_EUlS14_E_NS1_11comp_targetILNS1_3genE2ELNS1_11target_archE906ELNS1_3gpuE6ELNS1_3repE0EEENS1_30default_config_static_selectorELNS0_4arch9wavefront6targetE1EEEvT1_,"axG",@progbits,_ZN7rocprim17ROCPRIM_400000_NS6detail17trampoline_kernelINS0_14default_configENS1_25partition_config_selectorILNS1_17partition_subalgoE1EiNS0_10empty_typeEbEEZZNS1_14partition_implILS5_1ELb0ES3_jN6thrust23THRUST_200600_302600_NS6detail15normal_iteratorINSA_10device_ptrIiEEEEPS6_NSA_18transform_iteratorINSA_8identityIiEESF_NSA_11use_defaultESK_EENS0_5tupleIJSF_SF_EEENSM_IJSG_SG_EEES6_PlJS6_EEE10hipError_tPvRmT3_T4_T5_T6_T7_T9_mT8_P12ihipStream_tbDpT10_ENKUlT_T0_E_clISt17integral_constantIbLb1EES19_EEDaS14_S15_EUlS14_E_NS1_11comp_targetILNS1_3genE2ELNS1_11target_archE906ELNS1_3gpuE6ELNS1_3repE0EEENS1_30default_config_static_selectorELNS0_4arch9wavefront6targetE1EEEvT1_,comdat
.Lfunc_end621:
	.size	_ZN7rocprim17ROCPRIM_400000_NS6detail17trampoline_kernelINS0_14default_configENS1_25partition_config_selectorILNS1_17partition_subalgoE1EiNS0_10empty_typeEbEEZZNS1_14partition_implILS5_1ELb0ES3_jN6thrust23THRUST_200600_302600_NS6detail15normal_iteratorINSA_10device_ptrIiEEEEPS6_NSA_18transform_iteratorINSA_8identityIiEESF_NSA_11use_defaultESK_EENS0_5tupleIJSF_SF_EEENSM_IJSG_SG_EEES6_PlJS6_EEE10hipError_tPvRmT3_T4_T5_T6_T7_T9_mT8_P12ihipStream_tbDpT10_ENKUlT_T0_E_clISt17integral_constantIbLb1EES19_EEDaS14_S15_EUlS14_E_NS1_11comp_targetILNS1_3genE2ELNS1_11target_archE906ELNS1_3gpuE6ELNS1_3repE0EEENS1_30default_config_static_selectorELNS0_4arch9wavefront6targetE1EEEvT1_, .Lfunc_end621-_ZN7rocprim17ROCPRIM_400000_NS6detail17trampoline_kernelINS0_14default_configENS1_25partition_config_selectorILNS1_17partition_subalgoE1EiNS0_10empty_typeEbEEZZNS1_14partition_implILS5_1ELb0ES3_jN6thrust23THRUST_200600_302600_NS6detail15normal_iteratorINSA_10device_ptrIiEEEEPS6_NSA_18transform_iteratorINSA_8identityIiEESF_NSA_11use_defaultESK_EENS0_5tupleIJSF_SF_EEENSM_IJSG_SG_EEES6_PlJS6_EEE10hipError_tPvRmT3_T4_T5_T6_T7_T9_mT8_P12ihipStream_tbDpT10_ENKUlT_T0_E_clISt17integral_constantIbLb1EES19_EEDaS14_S15_EUlS14_E_NS1_11comp_targetILNS1_3genE2ELNS1_11target_archE906ELNS1_3gpuE6ELNS1_3repE0EEENS1_30default_config_static_selectorELNS0_4arch9wavefront6targetE1EEEvT1_
                                        ; -- End function
	.section	.AMDGPU.csdata,"",@progbits
; Kernel info:
; codeLenInByte = 0
; NumSgprs: 6
; NumVgprs: 0
; NumAgprs: 0
; TotalNumVgprs: 0
; ScratchSize: 0
; MemoryBound: 0
; FloatMode: 240
; IeeeMode: 1
; LDSByteSize: 0 bytes/workgroup (compile time only)
; SGPRBlocks: 0
; VGPRBlocks: 0
; NumSGPRsForWavesPerEU: 6
; NumVGPRsForWavesPerEU: 1
; AccumOffset: 4
; Occupancy: 8
; WaveLimiterHint : 0
; COMPUTE_PGM_RSRC2:SCRATCH_EN: 0
; COMPUTE_PGM_RSRC2:USER_SGPR: 2
; COMPUTE_PGM_RSRC2:TRAP_HANDLER: 0
; COMPUTE_PGM_RSRC2:TGID_X_EN: 1
; COMPUTE_PGM_RSRC2:TGID_Y_EN: 0
; COMPUTE_PGM_RSRC2:TGID_Z_EN: 0
; COMPUTE_PGM_RSRC2:TIDIG_COMP_CNT: 0
; COMPUTE_PGM_RSRC3_GFX90A:ACCUM_OFFSET: 0
; COMPUTE_PGM_RSRC3_GFX90A:TG_SPLIT: 0
	.section	.text._ZN7rocprim17ROCPRIM_400000_NS6detail17trampoline_kernelINS0_14default_configENS1_25partition_config_selectorILNS1_17partition_subalgoE1EiNS0_10empty_typeEbEEZZNS1_14partition_implILS5_1ELb0ES3_jN6thrust23THRUST_200600_302600_NS6detail15normal_iteratorINSA_10device_ptrIiEEEEPS6_NSA_18transform_iteratorINSA_8identityIiEESF_NSA_11use_defaultESK_EENS0_5tupleIJSF_SF_EEENSM_IJSG_SG_EEES6_PlJS6_EEE10hipError_tPvRmT3_T4_T5_T6_T7_T9_mT8_P12ihipStream_tbDpT10_ENKUlT_T0_E_clISt17integral_constantIbLb1EES19_EEDaS14_S15_EUlS14_E_NS1_11comp_targetILNS1_3genE10ELNS1_11target_archE1200ELNS1_3gpuE4ELNS1_3repE0EEENS1_30default_config_static_selectorELNS0_4arch9wavefront6targetE1EEEvT1_,"axG",@progbits,_ZN7rocprim17ROCPRIM_400000_NS6detail17trampoline_kernelINS0_14default_configENS1_25partition_config_selectorILNS1_17partition_subalgoE1EiNS0_10empty_typeEbEEZZNS1_14partition_implILS5_1ELb0ES3_jN6thrust23THRUST_200600_302600_NS6detail15normal_iteratorINSA_10device_ptrIiEEEEPS6_NSA_18transform_iteratorINSA_8identityIiEESF_NSA_11use_defaultESK_EENS0_5tupleIJSF_SF_EEENSM_IJSG_SG_EEES6_PlJS6_EEE10hipError_tPvRmT3_T4_T5_T6_T7_T9_mT8_P12ihipStream_tbDpT10_ENKUlT_T0_E_clISt17integral_constantIbLb1EES19_EEDaS14_S15_EUlS14_E_NS1_11comp_targetILNS1_3genE10ELNS1_11target_archE1200ELNS1_3gpuE4ELNS1_3repE0EEENS1_30default_config_static_selectorELNS0_4arch9wavefront6targetE1EEEvT1_,comdat
	.protected	_ZN7rocprim17ROCPRIM_400000_NS6detail17trampoline_kernelINS0_14default_configENS1_25partition_config_selectorILNS1_17partition_subalgoE1EiNS0_10empty_typeEbEEZZNS1_14partition_implILS5_1ELb0ES3_jN6thrust23THRUST_200600_302600_NS6detail15normal_iteratorINSA_10device_ptrIiEEEEPS6_NSA_18transform_iteratorINSA_8identityIiEESF_NSA_11use_defaultESK_EENS0_5tupleIJSF_SF_EEENSM_IJSG_SG_EEES6_PlJS6_EEE10hipError_tPvRmT3_T4_T5_T6_T7_T9_mT8_P12ihipStream_tbDpT10_ENKUlT_T0_E_clISt17integral_constantIbLb1EES19_EEDaS14_S15_EUlS14_E_NS1_11comp_targetILNS1_3genE10ELNS1_11target_archE1200ELNS1_3gpuE4ELNS1_3repE0EEENS1_30default_config_static_selectorELNS0_4arch9wavefront6targetE1EEEvT1_ ; -- Begin function _ZN7rocprim17ROCPRIM_400000_NS6detail17trampoline_kernelINS0_14default_configENS1_25partition_config_selectorILNS1_17partition_subalgoE1EiNS0_10empty_typeEbEEZZNS1_14partition_implILS5_1ELb0ES3_jN6thrust23THRUST_200600_302600_NS6detail15normal_iteratorINSA_10device_ptrIiEEEEPS6_NSA_18transform_iteratorINSA_8identityIiEESF_NSA_11use_defaultESK_EENS0_5tupleIJSF_SF_EEENSM_IJSG_SG_EEES6_PlJS6_EEE10hipError_tPvRmT3_T4_T5_T6_T7_T9_mT8_P12ihipStream_tbDpT10_ENKUlT_T0_E_clISt17integral_constantIbLb1EES19_EEDaS14_S15_EUlS14_E_NS1_11comp_targetILNS1_3genE10ELNS1_11target_archE1200ELNS1_3gpuE4ELNS1_3repE0EEENS1_30default_config_static_selectorELNS0_4arch9wavefront6targetE1EEEvT1_
	.globl	_ZN7rocprim17ROCPRIM_400000_NS6detail17trampoline_kernelINS0_14default_configENS1_25partition_config_selectorILNS1_17partition_subalgoE1EiNS0_10empty_typeEbEEZZNS1_14partition_implILS5_1ELb0ES3_jN6thrust23THRUST_200600_302600_NS6detail15normal_iteratorINSA_10device_ptrIiEEEEPS6_NSA_18transform_iteratorINSA_8identityIiEESF_NSA_11use_defaultESK_EENS0_5tupleIJSF_SF_EEENSM_IJSG_SG_EEES6_PlJS6_EEE10hipError_tPvRmT3_T4_T5_T6_T7_T9_mT8_P12ihipStream_tbDpT10_ENKUlT_T0_E_clISt17integral_constantIbLb1EES19_EEDaS14_S15_EUlS14_E_NS1_11comp_targetILNS1_3genE10ELNS1_11target_archE1200ELNS1_3gpuE4ELNS1_3repE0EEENS1_30default_config_static_selectorELNS0_4arch9wavefront6targetE1EEEvT1_
	.p2align	8
	.type	_ZN7rocprim17ROCPRIM_400000_NS6detail17trampoline_kernelINS0_14default_configENS1_25partition_config_selectorILNS1_17partition_subalgoE1EiNS0_10empty_typeEbEEZZNS1_14partition_implILS5_1ELb0ES3_jN6thrust23THRUST_200600_302600_NS6detail15normal_iteratorINSA_10device_ptrIiEEEEPS6_NSA_18transform_iteratorINSA_8identityIiEESF_NSA_11use_defaultESK_EENS0_5tupleIJSF_SF_EEENSM_IJSG_SG_EEES6_PlJS6_EEE10hipError_tPvRmT3_T4_T5_T6_T7_T9_mT8_P12ihipStream_tbDpT10_ENKUlT_T0_E_clISt17integral_constantIbLb1EES19_EEDaS14_S15_EUlS14_E_NS1_11comp_targetILNS1_3genE10ELNS1_11target_archE1200ELNS1_3gpuE4ELNS1_3repE0EEENS1_30default_config_static_selectorELNS0_4arch9wavefront6targetE1EEEvT1_,@function
_ZN7rocprim17ROCPRIM_400000_NS6detail17trampoline_kernelINS0_14default_configENS1_25partition_config_selectorILNS1_17partition_subalgoE1EiNS0_10empty_typeEbEEZZNS1_14partition_implILS5_1ELb0ES3_jN6thrust23THRUST_200600_302600_NS6detail15normal_iteratorINSA_10device_ptrIiEEEEPS6_NSA_18transform_iteratorINSA_8identityIiEESF_NSA_11use_defaultESK_EENS0_5tupleIJSF_SF_EEENSM_IJSG_SG_EEES6_PlJS6_EEE10hipError_tPvRmT3_T4_T5_T6_T7_T9_mT8_P12ihipStream_tbDpT10_ENKUlT_T0_E_clISt17integral_constantIbLb1EES19_EEDaS14_S15_EUlS14_E_NS1_11comp_targetILNS1_3genE10ELNS1_11target_archE1200ELNS1_3gpuE4ELNS1_3repE0EEENS1_30default_config_static_selectorELNS0_4arch9wavefront6targetE1EEEvT1_: ; @_ZN7rocprim17ROCPRIM_400000_NS6detail17trampoline_kernelINS0_14default_configENS1_25partition_config_selectorILNS1_17partition_subalgoE1EiNS0_10empty_typeEbEEZZNS1_14partition_implILS5_1ELb0ES3_jN6thrust23THRUST_200600_302600_NS6detail15normal_iteratorINSA_10device_ptrIiEEEEPS6_NSA_18transform_iteratorINSA_8identityIiEESF_NSA_11use_defaultESK_EENS0_5tupleIJSF_SF_EEENSM_IJSG_SG_EEES6_PlJS6_EEE10hipError_tPvRmT3_T4_T5_T6_T7_T9_mT8_P12ihipStream_tbDpT10_ENKUlT_T0_E_clISt17integral_constantIbLb1EES19_EEDaS14_S15_EUlS14_E_NS1_11comp_targetILNS1_3genE10ELNS1_11target_archE1200ELNS1_3gpuE4ELNS1_3repE0EEENS1_30default_config_static_selectorELNS0_4arch9wavefront6targetE1EEEvT1_
; %bb.0:
	.section	.rodata,"a",@progbits
	.p2align	6, 0x0
	.amdhsa_kernel _ZN7rocprim17ROCPRIM_400000_NS6detail17trampoline_kernelINS0_14default_configENS1_25partition_config_selectorILNS1_17partition_subalgoE1EiNS0_10empty_typeEbEEZZNS1_14partition_implILS5_1ELb0ES3_jN6thrust23THRUST_200600_302600_NS6detail15normal_iteratorINSA_10device_ptrIiEEEEPS6_NSA_18transform_iteratorINSA_8identityIiEESF_NSA_11use_defaultESK_EENS0_5tupleIJSF_SF_EEENSM_IJSG_SG_EEES6_PlJS6_EEE10hipError_tPvRmT3_T4_T5_T6_T7_T9_mT8_P12ihipStream_tbDpT10_ENKUlT_T0_E_clISt17integral_constantIbLb1EES19_EEDaS14_S15_EUlS14_E_NS1_11comp_targetILNS1_3genE10ELNS1_11target_archE1200ELNS1_3gpuE4ELNS1_3repE0EEENS1_30default_config_static_selectorELNS0_4arch9wavefront6targetE1EEEvT1_
		.amdhsa_group_segment_fixed_size 0
		.amdhsa_private_segment_fixed_size 0
		.amdhsa_kernarg_size 144
		.amdhsa_user_sgpr_count 2
		.amdhsa_user_sgpr_dispatch_ptr 0
		.amdhsa_user_sgpr_queue_ptr 0
		.amdhsa_user_sgpr_kernarg_segment_ptr 1
		.amdhsa_user_sgpr_dispatch_id 0
		.amdhsa_user_sgpr_kernarg_preload_length 0
		.amdhsa_user_sgpr_kernarg_preload_offset 0
		.amdhsa_user_sgpr_private_segment_size 0
		.amdhsa_uses_dynamic_stack 0
		.amdhsa_enable_private_segment 0
		.amdhsa_system_sgpr_workgroup_id_x 1
		.amdhsa_system_sgpr_workgroup_id_y 0
		.amdhsa_system_sgpr_workgroup_id_z 0
		.amdhsa_system_sgpr_workgroup_info 0
		.amdhsa_system_vgpr_workitem_id 0
		.amdhsa_next_free_vgpr 1
		.amdhsa_next_free_sgpr 0
		.amdhsa_accum_offset 4
		.amdhsa_reserve_vcc 0
		.amdhsa_float_round_mode_32 0
		.amdhsa_float_round_mode_16_64 0
		.amdhsa_float_denorm_mode_32 3
		.amdhsa_float_denorm_mode_16_64 3
		.amdhsa_dx10_clamp 1
		.amdhsa_ieee_mode 1
		.amdhsa_fp16_overflow 0
		.amdhsa_tg_split 0
		.amdhsa_exception_fp_ieee_invalid_op 0
		.amdhsa_exception_fp_denorm_src 0
		.amdhsa_exception_fp_ieee_div_zero 0
		.amdhsa_exception_fp_ieee_overflow 0
		.amdhsa_exception_fp_ieee_underflow 0
		.amdhsa_exception_fp_ieee_inexact 0
		.amdhsa_exception_int_div_zero 0
	.end_amdhsa_kernel
	.section	.text._ZN7rocprim17ROCPRIM_400000_NS6detail17trampoline_kernelINS0_14default_configENS1_25partition_config_selectorILNS1_17partition_subalgoE1EiNS0_10empty_typeEbEEZZNS1_14partition_implILS5_1ELb0ES3_jN6thrust23THRUST_200600_302600_NS6detail15normal_iteratorINSA_10device_ptrIiEEEEPS6_NSA_18transform_iteratorINSA_8identityIiEESF_NSA_11use_defaultESK_EENS0_5tupleIJSF_SF_EEENSM_IJSG_SG_EEES6_PlJS6_EEE10hipError_tPvRmT3_T4_T5_T6_T7_T9_mT8_P12ihipStream_tbDpT10_ENKUlT_T0_E_clISt17integral_constantIbLb1EES19_EEDaS14_S15_EUlS14_E_NS1_11comp_targetILNS1_3genE10ELNS1_11target_archE1200ELNS1_3gpuE4ELNS1_3repE0EEENS1_30default_config_static_selectorELNS0_4arch9wavefront6targetE1EEEvT1_,"axG",@progbits,_ZN7rocprim17ROCPRIM_400000_NS6detail17trampoline_kernelINS0_14default_configENS1_25partition_config_selectorILNS1_17partition_subalgoE1EiNS0_10empty_typeEbEEZZNS1_14partition_implILS5_1ELb0ES3_jN6thrust23THRUST_200600_302600_NS6detail15normal_iteratorINSA_10device_ptrIiEEEEPS6_NSA_18transform_iteratorINSA_8identityIiEESF_NSA_11use_defaultESK_EENS0_5tupleIJSF_SF_EEENSM_IJSG_SG_EEES6_PlJS6_EEE10hipError_tPvRmT3_T4_T5_T6_T7_T9_mT8_P12ihipStream_tbDpT10_ENKUlT_T0_E_clISt17integral_constantIbLb1EES19_EEDaS14_S15_EUlS14_E_NS1_11comp_targetILNS1_3genE10ELNS1_11target_archE1200ELNS1_3gpuE4ELNS1_3repE0EEENS1_30default_config_static_selectorELNS0_4arch9wavefront6targetE1EEEvT1_,comdat
.Lfunc_end622:
	.size	_ZN7rocprim17ROCPRIM_400000_NS6detail17trampoline_kernelINS0_14default_configENS1_25partition_config_selectorILNS1_17partition_subalgoE1EiNS0_10empty_typeEbEEZZNS1_14partition_implILS5_1ELb0ES3_jN6thrust23THRUST_200600_302600_NS6detail15normal_iteratorINSA_10device_ptrIiEEEEPS6_NSA_18transform_iteratorINSA_8identityIiEESF_NSA_11use_defaultESK_EENS0_5tupleIJSF_SF_EEENSM_IJSG_SG_EEES6_PlJS6_EEE10hipError_tPvRmT3_T4_T5_T6_T7_T9_mT8_P12ihipStream_tbDpT10_ENKUlT_T0_E_clISt17integral_constantIbLb1EES19_EEDaS14_S15_EUlS14_E_NS1_11comp_targetILNS1_3genE10ELNS1_11target_archE1200ELNS1_3gpuE4ELNS1_3repE0EEENS1_30default_config_static_selectorELNS0_4arch9wavefront6targetE1EEEvT1_, .Lfunc_end622-_ZN7rocprim17ROCPRIM_400000_NS6detail17trampoline_kernelINS0_14default_configENS1_25partition_config_selectorILNS1_17partition_subalgoE1EiNS0_10empty_typeEbEEZZNS1_14partition_implILS5_1ELb0ES3_jN6thrust23THRUST_200600_302600_NS6detail15normal_iteratorINSA_10device_ptrIiEEEEPS6_NSA_18transform_iteratorINSA_8identityIiEESF_NSA_11use_defaultESK_EENS0_5tupleIJSF_SF_EEENSM_IJSG_SG_EEES6_PlJS6_EEE10hipError_tPvRmT3_T4_T5_T6_T7_T9_mT8_P12ihipStream_tbDpT10_ENKUlT_T0_E_clISt17integral_constantIbLb1EES19_EEDaS14_S15_EUlS14_E_NS1_11comp_targetILNS1_3genE10ELNS1_11target_archE1200ELNS1_3gpuE4ELNS1_3repE0EEENS1_30default_config_static_selectorELNS0_4arch9wavefront6targetE1EEEvT1_
                                        ; -- End function
	.section	.AMDGPU.csdata,"",@progbits
; Kernel info:
; codeLenInByte = 0
; NumSgprs: 6
; NumVgprs: 0
; NumAgprs: 0
; TotalNumVgprs: 0
; ScratchSize: 0
; MemoryBound: 0
; FloatMode: 240
; IeeeMode: 1
; LDSByteSize: 0 bytes/workgroup (compile time only)
; SGPRBlocks: 0
; VGPRBlocks: 0
; NumSGPRsForWavesPerEU: 6
; NumVGPRsForWavesPerEU: 1
; AccumOffset: 4
; Occupancy: 8
; WaveLimiterHint : 0
; COMPUTE_PGM_RSRC2:SCRATCH_EN: 0
; COMPUTE_PGM_RSRC2:USER_SGPR: 2
; COMPUTE_PGM_RSRC2:TRAP_HANDLER: 0
; COMPUTE_PGM_RSRC2:TGID_X_EN: 1
; COMPUTE_PGM_RSRC2:TGID_Y_EN: 0
; COMPUTE_PGM_RSRC2:TGID_Z_EN: 0
; COMPUTE_PGM_RSRC2:TIDIG_COMP_CNT: 0
; COMPUTE_PGM_RSRC3_GFX90A:ACCUM_OFFSET: 0
; COMPUTE_PGM_RSRC3_GFX90A:TG_SPLIT: 0
	.section	.text._ZN7rocprim17ROCPRIM_400000_NS6detail17trampoline_kernelINS0_14default_configENS1_25partition_config_selectorILNS1_17partition_subalgoE1EiNS0_10empty_typeEbEEZZNS1_14partition_implILS5_1ELb0ES3_jN6thrust23THRUST_200600_302600_NS6detail15normal_iteratorINSA_10device_ptrIiEEEEPS6_NSA_18transform_iteratorINSA_8identityIiEESF_NSA_11use_defaultESK_EENS0_5tupleIJSF_SF_EEENSM_IJSG_SG_EEES6_PlJS6_EEE10hipError_tPvRmT3_T4_T5_T6_T7_T9_mT8_P12ihipStream_tbDpT10_ENKUlT_T0_E_clISt17integral_constantIbLb1EES19_EEDaS14_S15_EUlS14_E_NS1_11comp_targetILNS1_3genE9ELNS1_11target_archE1100ELNS1_3gpuE3ELNS1_3repE0EEENS1_30default_config_static_selectorELNS0_4arch9wavefront6targetE1EEEvT1_,"axG",@progbits,_ZN7rocprim17ROCPRIM_400000_NS6detail17trampoline_kernelINS0_14default_configENS1_25partition_config_selectorILNS1_17partition_subalgoE1EiNS0_10empty_typeEbEEZZNS1_14partition_implILS5_1ELb0ES3_jN6thrust23THRUST_200600_302600_NS6detail15normal_iteratorINSA_10device_ptrIiEEEEPS6_NSA_18transform_iteratorINSA_8identityIiEESF_NSA_11use_defaultESK_EENS0_5tupleIJSF_SF_EEENSM_IJSG_SG_EEES6_PlJS6_EEE10hipError_tPvRmT3_T4_T5_T6_T7_T9_mT8_P12ihipStream_tbDpT10_ENKUlT_T0_E_clISt17integral_constantIbLb1EES19_EEDaS14_S15_EUlS14_E_NS1_11comp_targetILNS1_3genE9ELNS1_11target_archE1100ELNS1_3gpuE3ELNS1_3repE0EEENS1_30default_config_static_selectorELNS0_4arch9wavefront6targetE1EEEvT1_,comdat
	.protected	_ZN7rocprim17ROCPRIM_400000_NS6detail17trampoline_kernelINS0_14default_configENS1_25partition_config_selectorILNS1_17partition_subalgoE1EiNS0_10empty_typeEbEEZZNS1_14partition_implILS5_1ELb0ES3_jN6thrust23THRUST_200600_302600_NS6detail15normal_iteratorINSA_10device_ptrIiEEEEPS6_NSA_18transform_iteratorINSA_8identityIiEESF_NSA_11use_defaultESK_EENS0_5tupleIJSF_SF_EEENSM_IJSG_SG_EEES6_PlJS6_EEE10hipError_tPvRmT3_T4_T5_T6_T7_T9_mT8_P12ihipStream_tbDpT10_ENKUlT_T0_E_clISt17integral_constantIbLb1EES19_EEDaS14_S15_EUlS14_E_NS1_11comp_targetILNS1_3genE9ELNS1_11target_archE1100ELNS1_3gpuE3ELNS1_3repE0EEENS1_30default_config_static_selectorELNS0_4arch9wavefront6targetE1EEEvT1_ ; -- Begin function _ZN7rocprim17ROCPRIM_400000_NS6detail17trampoline_kernelINS0_14default_configENS1_25partition_config_selectorILNS1_17partition_subalgoE1EiNS0_10empty_typeEbEEZZNS1_14partition_implILS5_1ELb0ES3_jN6thrust23THRUST_200600_302600_NS6detail15normal_iteratorINSA_10device_ptrIiEEEEPS6_NSA_18transform_iteratorINSA_8identityIiEESF_NSA_11use_defaultESK_EENS0_5tupleIJSF_SF_EEENSM_IJSG_SG_EEES6_PlJS6_EEE10hipError_tPvRmT3_T4_T5_T6_T7_T9_mT8_P12ihipStream_tbDpT10_ENKUlT_T0_E_clISt17integral_constantIbLb1EES19_EEDaS14_S15_EUlS14_E_NS1_11comp_targetILNS1_3genE9ELNS1_11target_archE1100ELNS1_3gpuE3ELNS1_3repE0EEENS1_30default_config_static_selectorELNS0_4arch9wavefront6targetE1EEEvT1_
	.globl	_ZN7rocprim17ROCPRIM_400000_NS6detail17trampoline_kernelINS0_14default_configENS1_25partition_config_selectorILNS1_17partition_subalgoE1EiNS0_10empty_typeEbEEZZNS1_14partition_implILS5_1ELb0ES3_jN6thrust23THRUST_200600_302600_NS6detail15normal_iteratorINSA_10device_ptrIiEEEEPS6_NSA_18transform_iteratorINSA_8identityIiEESF_NSA_11use_defaultESK_EENS0_5tupleIJSF_SF_EEENSM_IJSG_SG_EEES6_PlJS6_EEE10hipError_tPvRmT3_T4_T5_T6_T7_T9_mT8_P12ihipStream_tbDpT10_ENKUlT_T0_E_clISt17integral_constantIbLb1EES19_EEDaS14_S15_EUlS14_E_NS1_11comp_targetILNS1_3genE9ELNS1_11target_archE1100ELNS1_3gpuE3ELNS1_3repE0EEENS1_30default_config_static_selectorELNS0_4arch9wavefront6targetE1EEEvT1_
	.p2align	8
	.type	_ZN7rocprim17ROCPRIM_400000_NS6detail17trampoline_kernelINS0_14default_configENS1_25partition_config_selectorILNS1_17partition_subalgoE1EiNS0_10empty_typeEbEEZZNS1_14partition_implILS5_1ELb0ES3_jN6thrust23THRUST_200600_302600_NS6detail15normal_iteratorINSA_10device_ptrIiEEEEPS6_NSA_18transform_iteratorINSA_8identityIiEESF_NSA_11use_defaultESK_EENS0_5tupleIJSF_SF_EEENSM_IJSG_SG_EEES6_PlJS6_EEE10hipError_tPvRmT3_T4_T5_T6_T7_T9_mT8_P12ihipStream_tbDpT10_ENKUlT_T0_E_clISt17integral_constantIbLb1EES19_EEDaS14_S15_EUlS14_E_NS1_11comp_targetILNS1_3genE9ELNS1_11target_archE1100ELNS1_3gpuE3ELNS1_3repE0EEENS1_30default_config_static_selectorELNS0_4arch9wavefront6targetE1EEEvT1_,@function
_ZN7rocprim17ROCPRIM_400000_NS6detail17trampoline_kernelINS0_14default_configENS1_25partition_config_selectorILNS1_17partition_subalgoE1EiNS0_10empty_typeEbEEZZNS1_14partition_implILS5_1ELb0ES3_jN6thrust23THRUST_200600_302600_NS6detail15normal_iteratorINSA_10device_ptrIiEEEEPS6_NSA_18transform_iteratorINSA_8identityIiEESF_NSA_11use_defaultESK_EENS0_5tupleIJSF_SF_EEENSM_IJSG_SG_EEES6_PlJS6_EEE10hipError_tPvRmT3_T4_T5_T6_T7_T9_mT8_P12ihipStream_tbDpT10_ENKUlT_T0_E_clISt17integral_constantIbLb1EES19_EEDaS14_S15_EUlS14_E_NS1_11comp_targetILNS1_3genE9ELNS1_11target_archE1100ELNS1_3gpuE3ELNS1_3repE0EEENS1_30default_config_static_selectorELNS0_4arch9wavefront6targetE1EEEvT1_: ; @_ZN7rocprim17ROCPRIM_400000_NS6detail17trampoline_kernelINS0_14default_configENS1_25partition_config_selectorILNS1_17partition_subalgoE1EiNS0_10empty_typeEbEEZZNS1_14partition_implILS5_1ELb0ES3_jN6thrust23THRUST_200600_302600_NS6detail15normal_iteratorINSA_10device_ptrIiEEEEPS6_NSA_18transform_iteratorINSA_8identityIiEESF_NSA_11use_defaultESK_EENS0_5tupleIJSF_SF_EEENSM_IJSG_SG_EEES6_PlJS6_EEE10hipError_tPvRmT3_T4_T5_T6_T7_T9_mT8_P12ihipStream_tbDpT10_ENKUlT_T0_E_clISt17integral_constantIbLb1EES19_EEDaS14_S15_EUlS14_E_NS1_11comp_targetILNS1_3genE9ELNS1_11target_archE1100ELNS1_3gpuE3ELNS1_3repE0EEENS1_30default_config_static_selectorELNS0_4arch9wavefront6targetE1EEEvT1_
; %bb.0:
	.section	.rodata,"a",@progbits
	.p2align	6, 0x0
	.amdhsa_kernel _ZN7rocprim17ROCPRIM_400000_NS6detail17trampoline_kernelINS0_14default_configENS1_25partition_config_selectorILNS1_17partition_subalgoE1EiNS0_10empty_typeEbEEZZNS1_14partition_implILS5_1ELb0ES3_jN6thrust23THRUST_200600_302600_NS6detail15normal_iteratorINSA_10device_ptrIiEEEEPS6_NSA_18transform_iteratorINSA_8identityIiEESF_NSA_11use_defaultESK_EENS0_5tupleIJSF_SF_EEENSM_IJSG_SG_EEES6_PlJS6_EEE10hipError_tPvRmT3_T4_T5_T6_T7_T9_mT8_P12ihipStream_tbDpT10_ENKUlT_T0_E_clISt17integral_constantIbLb1EES19_EEDaS14_S15_EUlS14_E_NS1_11comp_targetILNS1_3genE9ELNS1_11target_archE1100ELNS1_3gpuE3ELNS1_3repE0EEENS1_30default_config_static_selectorELNS0_4arch9wavefront6targetE1EEEvT1_
		.amdhsa_group_segment_fixed_size 0
		.amdhsa_private_segment_fixed_size 0
		.amdhsa_kernarg_size 144
		.amdhsa_user_sgpr_count 2
		.amdhsa_user_sgpr_dispatch_ptr 0
		.amdhsa_user_sgpr_queue_ptr 0
		.amdhsa_user_sgpr_kernarg_segment_ptr 1
		.amdhsa_user_sgpr_dispatch_id 0
		.amdhsa_user_sgpr_kernarg_preload_length 0
		.amdhsa_user_sgpr_kernarg_preload_offset 0
		.amdhsa_user_sgpr_private_segment_size 0
		.amdhsa_uses_dynamic_stack 0
		.amdhsa_enable_private_segment 0
		.amdhsa_system_sgpr_workgroup_id_x 1
		.amdhsa_system_sgpr_workgroup_id_y 0
		.amdhsa_system_sgpr_workgroup_id_z 0
		.amdhsa_system_sgpr_workgroup_info 0
		.amdhsa_system_vgpr_workitem_id 0
		.amdhsa_next_free_vgpr 1
		.amdhsa_next_free_sgpr 0
		.amdhsa_accum_offset 4
		.amdhsa_reserve_vcc 0
		.amdhsa_float_round_mode_32 0
		.amdhsa_float_round_mode_16_64 0
		.amdhsa_float_denorm_mode_32 3
		.amdhsa_float_denorm_mode_16_64 3
		.amdhsa_dx10_clamp 1
		.amdhsa_ieee_mode 1
		.amdhsa_fp16_overflow 0
		.amdhsa_tg_split 0
		.amdhsa_exception_fp_ieee_invalid_op 0
		.amdhsa_exception_fp_denorm_src 0
		.amdhsa_exception_fp_ieee_div_zero 0
		.amdhsa_exception_fp_ieee_overflow 0
		.amdhsa_exception_fp_ieee_underflow 0
		.amdhsa_exception_fp_ieee_inexact 0
		.amdhsa_exception_int_div_zero 0
	.end_amdhsa_kernel
	.section	.text._ZN7rocprim17ROCPRIM_400000_NS6detail17trampoline_kernelINS0_14default_configENS1_25partition_config_selectorILNS1_17partition_subalgoE1EiNS0_10empty_typeEbEEZZNS1_14partition_implILS5_1ELb0ES3_jN6thrust23THRUST_200600_302600_NS6detail15normal_iteratorINSA_10device_ptrIiEEEEPS6_NSA_18transform_iteratorINSA_8identityIiEESF_NSA_11use_defaultESK_EENS0_5tupleIJSF_SF_EEENSM_IJSG_SG_EEES6_PlJS6_EEE10hipError_tPvRmT3_T4_T5_T6_T7_T9_mT8_P12ihipStream_tbDpT10_ENKUlT_T0_E_clISt17integral_constantIbLb1EES19_EEDaS14_S15_EUlS14_E_NS1_11comp_targetILNS1_3genE9ELNS1_11target_archE1100ELNS1_3gpuE3ELNS1_3repE0EEENS1_30default_config_static_selectorELNS0_4arch9wavefront6targetE1EEEvT1_,"axG",@progbits,_ZN7rocprim17ROCPRIM_400000_NS6detail17trampoline_kernelINS0_14default_configENS1_25partition_config_selectorILNS1_17partition_subalgoE1EiNS0_10empty_typeEbEEZZNS1_14partition_implILS5_1ELb0ES3_jN6thrust23THRUST_200600_302600_NS6detail15normal_iteratorINSA_10device_ptrIiEEEEPS6_NSA_18transform_iteratorINSA_8identityIiEESF_NSA_11use_defaultESK_EENS0_5tupleIJSF_SF_EEENSM_IJSG_SG_EEES6_PlJS6_EEE10hipError_tPvRmT3_T4_T5_T6_T7_T9_mT8_P12ihipStream_tbDpT10_ENKUlT_T0_E_clISt17integral_constantIbLb1EES19_EEDaS14_S15_EUlS14_E_NS1_11comp_targetILNS1_3genE9ELNS1_11target_archE1100ELNS1_3gpuE3ELNS1_3repE0EEENS1_30default_config_static_selectorELNS0_4arch9wavefront6targetE1EEEvT1_,comdat
.Lfunc_end623:
	.size	_ZN7rocprim17ROCPRIM_400000_NS6detail17trampoline_kernelINS0_14default_configENS1_25partition_config_selectorILNS1_17partition_subalgoE1EiNS0_10empty_typeEbEEZZNS1_14partition_implILS5_1ELb0ES3_jN6thrust23THRUST_200600_302600_NS6detail15normal_iteratorINSA_10device_ptrIiEEEEPS6_NSA_18transform_iteratorINSA_8identityIiEESF_NSA_11use_defaultESK_EENS0_5tupleIJSF_SF_EEENSM_IJSG_SG_EEES6_PlJS6_EEE10hipError_tPvRmT3_T4_T5_T6_T7_T9_mT8_P12ihipStream_tbDpT10_ENKUlT_T0_E_clISt17integral_constantIbLb1EES19_EEDaS14_S15_EUlS14_E_NS1_11comp_targetILNS1_3genE9ELNS1_11target_archE1100ELNS1_3gpuE3ELNS1_3repE0EEENS1_30default_config_static_selectorELNS0_4arch9wavefront6targetE1EEEvT1_, .Lfunc_end623-_ZN7rocprim17ROCPRIM_400000_NS6detail17trampoline_kernelINS0_14default_configENS1_25partition_config_selectorILNS1_17partition_subalgoE1EiNS0_10empty_typeEbEEZZNS1_14partition_implILS5_1ELb0ES3_jN6thrust23THRUST_200600_302600_NS6detail15normal_iteratorINSA_10device_ptrIiEEEEPS6_NSA_18transform_iteratorINSA_8identityIiEESF_NSA_11use_defaultESK_EENS0_5tupleIJSF_SF_EEENSM_IJSG_SG_EEES6_PlJS6_EEE10hipError_tPvRmT3_T4_T5_T6_T7_T9_mT8_P12ihipStream_tbDpT10_ENKUlT_T0_E_clISt17integral_constantIbLb1EES19_EEDaS14_S15_EUlS14_E_NS1_11comp_targetILNS1_3genE9ELNS1_11target_archE1100ELNS1_3gpuE3ELNS1_3repE0EEENS1_30default_config_static_selectorELNS0_4arch9wavefront6targetE1EEEvT1_
                                        ; -- End function
	.section	.AMDGPU.csdata,"",@progbits
; Kernel info:
; codeLenInByte = 0
; NumSgprs: 6
; NumVgprs: 0
; NumAgprs: 0
; TotalNumVgprs: 0
; ScratchSize: 0
; MemoryBound: 0
; FloatMode: 240
; IeeeMode: 1
; LDSByteSize: 0 bytes/workgroup (compile time only)
; SGPRBlocks: 0
; VGPRBlocks: 0
; NumSGPRsForWavesPerEU: 6
; NumVGPRsForWavesPerEU: 1
; AccumOffset: 4
; Occupancy: 8
; WaveLimiterHint : 0
; COMPUTE_PGM_RSRC2:SCRATCH_EN: 0
; COMPUTE_PGM_RSRC2:USER_SGPR: 2
; COMPUTE_PGM_RSRC2:TRAP_HANDLER: 0
; COMPUTE_PGM_RSRC2:TGID_X_EN: 1
; COMPUTE_PGM_RSRC2:TGID_Y_EN: 0
; COMPUTE_PGM_RSRC2:TGID_Z_EN: 0
; COMPUTE_PGM_RSRC2:TIDIG_COMP_CNT: 0
; COMPUTE_PGM_RSRC3_GFX90A:ACCUM_OFFSET: 0
; COMPUTE_PGM_RSRC3_GFX90A:TG_SPLIT: 0
	.section	.text._ZN7rocprim17ROCPRIM_400000_NS6detail17trampoline_kernelINS0_14default_configENS1_25partition_config_selectorILNS1_17partition_subalgoE1EiNS0_10empty_typeEbEEZZNS1_14partition_implILS5_1ELb0ES3_jN6thrust23THRUST_200600_302600_NS6detail15normal_iteratorINSA_10device_ptrIiEEEEPS6_NSA_18transform_iteratorINSA_8identityIiEESF_NSA_11use_defaultESK_EENS0_5tupleIJSF_SF_EEENSM_IJSG_SG_EEES6_PlJS6_EEE10hipError_tPvRmT3_T4_T5_T6_T7_T9_mT8_P12ihipStream_tbDpT10_ENKUlT_T0_E_clISt17integral_constantIbLb1EES19_EEDaS14_S15_EUlS14_E_NS1_11comp_targetILNS1_3genE8ELNS1_11target_archE1030ELNS1_3gpuE2ELNS1_3repE0EEENS1_30default_config_static_selectorELNS0_4arch9wavefront6targetE1EEEvT1_,"axG",@progbits,_ZN7rocprim17ROCPRIM_400000_NS6detail17trampoline_kernelINS0_14default_configENS1_25partition_config_selectorILNS1_17partition_subalgoE1EiNS0_10empty_typeEbEEZZNS1_14partition_implILS5_1ELb0ES3_jN6thrust23THRUST_200600_302600_NS6detail15normal_iteratorINSA_10device_ptrIiEEEEPS6_NSA_18transform_iteratorINSA_8identityIiEESF_NSA_11use_defaultESK_EENS0_5tupleIJSF_SF_EEENSM_IJSG_SG_EEES6_PlJS6_EEE10hipError_tPvRmT3_T4_T5_T6_T7_T9_mT8_P12ihipStream_tbDpT10_ENKUlT_T0_E_clISt17integral_constantIbLb1EES19_EEDaS14_S15_EUlS14_E_NS1_11comp_targetILNS1_3genE8ELNS1_11target_archE1030ELNS1_3gpuE2ELNS1_3repE0EEENS1_30default_config_static_selectorELNS0_4arch9wavefront6targetE1EEEvT1_,comdat
	.protected	_ZN7rocprim17ROCPRIM_400000_NS6detail17trampoline_kernelINS0_14default_configENS1_25partition_config_selectorILNS1_17partition_subalgoE1EiNS0_10empty_typeEbEEZZNS1_14partition_implILS5_1ELb0ES3_jN6thrust23THRUST_200600_302600_NS6detail15normal_iteratorINSA_10device_ptrIiEEEEPS6_NSA_18transform_iteratorINSA_8identityIiEESF_NSA_11use_defaultESK_EENS0_5tupleIJSF_SF_EEENSM_IJSG_SG_EEES6_PlJS6_EEE10hipError_tPvRmT3_T4_T5_T6_T7_T9_mT8_P12ihipStream_tbDpT10_ENKUlT_T0_E_clISt17integral_constantIbLb1EES19_EEDaS14_S15_EUlS14_E_NS1_11comp_targetILNS1_3genE8ELNS1_11target_archE1030ELNS1_3gpuE2ELNS1_3repE0EEENS1_30default_config_static_selectorELNS0_4arch9wavefront6targetE1EEEvT1_ ; -- Begin function _ZN7rocprim17ROCPRIM_400000_NS6detail17trampoline_kernelINS0_14default_configENS1_25partition_config_selectorILNS1_17partition_subalgoE1EiNS0_10empty_typeEbEEZZNS1_14partition_implILS5_1ELb0ES3_jN6thrust23THRUST_200600_302600_NS6detail15normal_iteratorINSA_10device_ptrIiEEEEPS6_NSA_18transform_iteratorINSA_8identityIiEESF_NSA_11use_defaultESK_EENS0_5tupleIJSF_SF_EEENSM_IJSG_SG_EEES6_PlJS6_EEE10hipError_tPvRmT3_T4_T5_T6_T7_T9_mT8_P12ihipStream_tbDpT10_ENKUlT_T0_E_clISt17integral_constantIbLb1EES19_EEDaS14_S15_EUlS14_E_NS1_11comp_targetILNS1_3genE8ELNS1_11target_archE1030ELNS1_3gpuE2ELNS1_3repE0EEENS1_30default_config_static_selectorELNS0_4arch9wavefront6targetE1EEEvT1_
	.globl	_ZN7rocprim17ROCPRIM_400000_NS6detail17trampoline_kernelINS0_14default_configENS1_25partition_config_selectorILNS1_17partition_subalgoE1EiNS0_10empty_typeEbEEZZNS1_14partition_implILS5_1ELb0ES3_jN6thrust23THRUST_200600_302600_NS6detail15normal_iteratorINSA_10device_ptrIiEEEEPS6_NSA_18transform_iteratorINSA_8identityIiEESF_NSA_11use_defaultESK_EENS0_5tupleIJSF_SF_EEENSM_IJSG_SG_EEES6_PlJS6_EEE10hipError_tPvRmT3_T4_T5_T6_T7_T9_mT8_P12ihipStream_tbDpT10_ENKUlT_T0_E_clISt17integral_constantIbLb1EES19_EEDaS14_S15_EUlS14_E_NS1_11comp_targetILNS1_3genE8ELNS1_11target_archE1030ELNS1_3gpuE2ELNS1_3repE0EEENS1_30default_config_static_selectorELNS0_4arch9wavefront6targetE1EEEvT1_
	.p2align	8
	.type	_ZN7rocprim17ROCPRIM_400000_NS6detail17trampoline_kernelINS0_14default_configENS1_25partition_config_selectorILNS1_17partition_subalgoE1EiNS0_10empty_typeEbEEZZNS1_14partition_implILS5_1ELb0ES3_jN6thrust23THRUST_200600_302600_NS6detail15normal_iteratorINSA_10device_ptrIiEEEEPS6_NSA_18transform_iteratorINSA_8identityIiEESF_NSA_11use_defaultESK_EENS0_5tupleIJSF_SF_EEENSM_IJSG_SG_EEES6_PlJS6_EEE10hipError_tPvRmT3_T4_T5_T6_T7_T9_mT8_P12ihipStream_tbDpT10_ENKUlT_T0_E_clISt17integral_constantIbLb1EES19_EEDaS14_S15_EUlS14_E_NS1_11comp_targetILNS1_3genE8ELNS1_11target_archE1030ELNS1_3gpuE2ELNS1_3repE0EEENS1_30default_config_static_selectorELNS0_4arch9wavefront6targetE1EEEvT1_,@function
_ZN7rocprim17ROCPRIM_400000_NS6detail17trampoline_kernelINS0_14default_configENS1_25partition_config_selectorILNS1_17partition_subalgoE1EiNS0_10empty_typeEbEEZZNS1_14partition_implILS5_1ELb0ES3_jN6thrust23THRUST_200600_302600_NS6detail15normal_iteratorINSA_10device_ptrIiEEEEPS6_NSA_18transform_iteratorINSA_8identityIiEESF_NSA_11use_defaultESK_EENS0_5tupleIJSF_SF_EEENSM_IJSG_SG_EEES6_PlJS6_EEE10hipError_tPvRmT3_T4_T5_T6_T7_T9_mT8_P12ihipStream_tbDpT10_ENKUlT_T0_E_clISt17integral_constantIbLb1EES19_EEDaS14_S15_EUlS14_E_NS1_11comp_targetILNS1_3genE8ELNS1_11target_archE1030ELNS1_3gpuE2ELNS1_3repE0EEENS1_30default_config_static_selectorELNS0_4arch9wavefront6targetE1EEEvT1_: ; @_ZN7rocprim17ROCPRIM_400000_NS6detail17trampoline_kernelINS0_14default_configENS1_25partition_config_selectorILNS1_17partition_subalgoE1EiNS0_10empty_typeEbEEZZNS1_14partition_implILS5_1ELb0ES3_jN6thrust23THRUST_200600_302600_NS6detail15normal_iteratorINSA_10device_ptrIiEEEEPS6_NSA_18transform_iteratorINSA_8identityIiEESF_NSA_11use_defaultESK_EENS0_5tupleIJSF_SF_EEENSM_IJSG_SG_EEES6_PlJS6_EEE10hipError_tPvRmT3_T4_T5_T6_T7_T9_mT8_P12ihipStream_tbDpT10_ENKUlT_T0_E_clISt17integral_constantIbLb1EES19_EEDaS14_S15_EUlS14_E_NS1_11comp_targetILNS1_3genE8ELNS1_11target_archE1030ELNS1_3gpuE2ELNS1_3repE0EEENS1_30default_config_static_selectorELNS0_4arch9wavefront6targetE1EEEvT1_
; %bb.0:
	.section	.rodata,"a",@progbits
	.p2align	6, 0x0
	.amdhsa_kernel _ZN7rocprim17ROCPRIM_400000_NS6detail17trampoline_kernelINS0_14default_configENS1_25partition_config_selectorILNS1_17partition_subalgoE1EiNS0_10empty_typeEbEEZZNS1_14partition_implILS5_1ELb0ES3_jN6thrust23THRUST_200600_302600_NS6detail15normal_iteratorINSA_10device_ptrIiEEEEPS6_NSA_18transform_iteratorINSA_8identityIiEESF_NSA_11use_defaultESK_EENS0_5tupleIJSF_SF_EEENSM_IJSG_SG_EEES6_PlJS6_EEE10hipError_tPvRmT3_T4_T5_T6_T7_T9_mT8_P12ihipStream_tbDpT10_ENKUlT_T0_E_clISt17integral_constantIbLb1EES19_EEDaS14_S15_EUlS14_E_NS1_11comp_targetILNS1_3genE8ELNS1_11target_archE1030ELNS1_3gpuE2ELNS1_3repE0EEENS1_30default_config_static_selectorELNS0_4arch9wavefront6targetE1EEEvT1_
		.amdhsa_group_segment_fixed_size 0
		.amdhsa_private_segment_fixed_size 0
		.amdhsa_kernarg_size 144
		.amdhsa_user_sgpr_count 2
		.amdhsa_user_sgpr_dispatch_ptr 0
		.amdhsa_user_sgpr_queue_ptr 0
		.amdhsa_user_sgpr_kernarg_segment_ptr 1
		.amdhsa_user_sgpr_dispatch_id 0
		.amdhsa_user_sgpr_kernarg_preload_length 0
		.amdhsa_user_sgpr_kernarg_preload_offset 0
		.amdhsa_user_sgpr_private_segment_size 0
		.amdhsa_uses_dynamic_stack 0
		.amdhsa_enable_private_segment 0
		.amdhsa_system_sgpr_workgroup_id_x 1
		.amdhsa_system_sgpr_workgroup_id_y 0
		.amdhsa_system_sgpr_workgroup_id_z 0
		.amdhsa_system_sgpr_workgroup_info 0
		.amdhsa_system_vgpr_workitem_id 0
		.amdhsa_next_free_vgpr 1
		.amdhsa_next_free_sgpr 0
		.amdhsa_accum_offset 4
		.amdhsa_reserve_vcc 0
		.amdhsa_float_round_mode_32 0
		.amdhsa_float_round_mode_16_64 0
		.amdhsa_float_denorm_mode_32 3
		.amdhsa_float_denorm_mode_16_64 3
		.amdhsa_dx10_clamp 1
		.amdhsa_ieee_mode 1
		.amdhsa_fp16_overflow 0
		.amdhsa_tg_split 0
		.amdhsa_exception_fp_ieee_invalid_op 0
		.amdhsa_exception_fp_denorm_src 0
		.amdhsa_exception_fp_ieee_div_zero 0
		.amdhsa_exception_fp_ieee_overflow 0
		.amdhsa_exception_fp_ieee_underflow 0
		.amdhsa_exception_fp_ieee_inexact 0
		.amdhsa_exception_int_div_zero 0
	.end_amdhsa_kernel
	.section	.text._ZN7rocprim17ROCPRIM_400000_NS6detail17trampoline_kernelINS0_14default_configENS1_25partition_config_selectorILNS1_17partition_subalgoE1EiNS0_10empty_typeEbEEZZNS1_14partition_implILS5_1ELb0ES3_jN6thrust23THRUST_200600_302600_NS6detail15normal_iteratorINSA_10device_ptrIiEEEEPS6_NSA_18transform_iteratorINSA_8identityIiEESF_NSA_11use_defaultESK_EENS0_5tupleIJSF_SF_EEENSM_IJSG_SG_EEES6_PlJS6_EEE10hipError_tPvRmT3_T4_T5_T6_T7_T9_mT8_P12ihipStream_tbDpT10_ENKUlT_T0_E_clISt17integral_constantIbLb1EES19_EEDaS14_S15_EUlS14_E_NS1_11comp_targetILNS1_3genE8ELNS1_11target_archE1030ELNS1_3gpuE2ELNS1_3repE0EEENS1_30default_config_static_selectorELNS0_4arch9wavefront6targetE1EEEvT1_,"axG",@progbits,_ZN7rocprim17ROCPRIM_400000_NS6detail17trampoline_kernelINS0_14default_configENS1_25partition_config_selectorILNS1_17partition_subalgoE1EiNS0_10empty_typeEbEEZZNS1_14partition_implILS5_1ELb0ES3_jN6thrust23THRUST_200600_302600_NS6detail15normal_iteratorINSA_10device_ptrIiEEEEPS6_NSA_18transform_iteratorINSA_8identityIiEESF_NSA_11use_defaultESK_EENS0_5tupleIJSF_SF_EEENSM_IJSG_SG_EEES6_PlJS6_EEE10hipError_tPvRmT3_T4_T5_T6_T7_T9_mT8_P12ihipStream_tbDpT10_ENKUlT_T0_E_clISt17integral_constantIbLb1EES19_EEDaS14_S15_EUlS14_E_NS1_11comp_targetILNS1_3genE8ELNS1_11target_archE1030ELNS1_3gpuE2ELNS1_3repE0EEENS1_30default_config_static_selectorELNS0_4arch9wavefront6targetE1EEEvT1_,comdat
.Lfunc_end624:
	.size	_ZN7rocprim17ROCPRIM_400000_NS6detail17trampoline_kernelINS0_14default_configENS1_25partition_config_selectorILNS1_17partition_subalgoE1EiNS0_10empty_typeEbEEZZNS1_14partition_implILS5_1ELb0ES3_jN6thrust23THRUST_200600_302600_NS6detail15normal_iteratorINSA_10device_ptrIiEEEEPS6_NSA_18transform_iteratorINSA_8identityIiEESF_NSA_11use_defaultESK_EENS0_5tupleIJSF_SF_EEENSM_IJSG_SG_EEES6_PlJS6_EEE10hipError_tPvRmT3_T4_T5_T6_T7_T9_mT8_P12ihipStream_tbDpT10_ENKUlT_T0_E_clISt17integral_constantIbLb1EES19_EEDaS14_S15_EUlS14_E_NS1_11comp_targetILNS1_3genE8ELNS1_11target_archE1030ELNS1_3gpuE2ELNS1_3repE0EEENS1_30default_config_static_selectorELNS0_4arch9wavefront6targetE1EEEvT1_, .Lfunc_end624-_ZN7rocprim17ROCPRIM_400000_NS6detail17trampoline_kernelINS0_14default_configENS1_25partition_config_selectorILNS1_17partition_subalgoE1EiNS0_10empty_typeEbEEZZNS1_14partition_implILS5_1ELb0ES3_jN6thrust23THRUST_200600_302600_NS6detail15normal_iteratorINSA_10device_ptrIiEEEEPS6_NSA_18transform_iteratorINSA_8identityIiEESF_NSA_11use_defaultESK_EENS0_5tupleIJSF_SF_EEENSM_IJSG_SG_EEES6_PlJS6_EEE10hipError_tPvRmT3_T4_T5_T6_T7_T9_mT8_P12ihipStream_tbDpT10_ENKUlT_T0_E_clISt17integral_constantIbLb1EES19_EEDaS14_S15_EUlS14_E_NS1_11comp_targetILNS1_3genE8ELNS1_11target_archE1030ELNS1_3gpuE2ELNS1_3repE0EEENS1_30default_config_static_selectorELNS0_4arch9wavefront6targetE1EEEvT1_
                                        ; -- End function
	.section	.AMDGPU.csdata,"",@progbits
; Kernel info:
; codeLenInByte = 0
; NumSgprs: 6
; NumVgprs: 0
; NumAgprs: 0
; TotalNumVgprs: 0
; ScratchSize: 0
; MemoryBound: 0
; FloatMode: 240
; IeeeMode: 1
; LDSByteSize: 0 bytes/workgroup (compile time only)
; SGPRBlocks: 0
; VGPRBlocks: 0
; NumSGPRsForWavesPerEU: 6
; NumVGPRsForWavesPerEU: 1
; AccumOffset: 4
; Occupancy: 8
; WaveLimiterHint : 0
; COMPUTE_PGM_RSRC2:SCRATCH_EN: 0
; COMPUTE_PGM_RSRC2:USER_SGPR: 2
; COMPUTE_PGM_RSRC2:TRAP_HANDLER: 0
; COMPUTE_PGM_RSRC2:TGID_X_EN: 1
; COMPUTE_PGM_RSRC2:TGID_Y_EN: 0
; COMPUTE_PGM_RSRC2:TGID_Z_EN: 0
; COMPUTE_PGM_RSRC2:TIDIG_COMP_CNT: 0
; COMPUTE_PGM_RSRC3_GFX90A:ACCUM_OFFSET: 0
; COMPUTE_PGM_RSRC3_GFX90A:TG_SPLIT: 0
	.section	.text._ZN7rocprim17ROCPRIM_400000_NS6detail17trampoline_kernelINS0_14default_configENS1_25partition_config_selectorILNS1_17partition_subalgoE1EiNS0_10empty_typeEbEEZZNS1_14partition_implILS5_1ELb0ES3_jN6thrust23THRUST_200600_302600_NS6detail15normal_iteratorINSA_10device_ptrIiEEEEPS6_NSA_18transform_iteratorINSA_8identityIiEESF_NSA_11use_defaultESK_EENS0_5tupleIJSF_SF_EEENSM_IJSG_SG_EEES6_PlJS6_EEE10hipError_tPvRmT3_T4_T5_T6_T7_T9_mT8_P12ihipStream_tbDpT10_ENKUlT_T0_E_clISt17integral_constantIbLb1EES18_IbLb0EEEEDaS14_S15_EUlS14_E_NS1_11comp_targetILNS1_3genE0ELNS1_11target_archE4294967295ELNS1_3gpuE0ELNS1_3repE0EEENS1_30default_config_static_selectorELNS0_4arch9wavefront6targetE1EEEvT1_,"axG",@progbits,_ZN7rocprim17ROCPRIM_400000_NS6detail17trampoline_kernelINS0_14default_configENS1_25partition_config_selectorILNS1_17partition_subalgoE1EiNS0_10empty_typeEbEEZZNS1_14partition_implILS5_1ELb0ES3_jN6thrust23THRUST_200600_302600_NS6detail15normal_iteratorINSA_10device_ptrIiEEEEPS6_NSA_18transform_iteratorINSA_8identityIiEESF_NSA_11use_defaultESK_EENS0_5tupleIJSF_SF_EEENSM_IJSG_SG_EEES6_PlJS6_EEE10hipError_tPvRmT3_T4_T5_T6_T7_T9_mT8_P12ihipStream_tbDpT10_ENKUlT_T0_E_clISt17integral_constantIbLb1EES18_IbLb0EEEEDaS14_S15_EUlS14_E_NS1_11comp_targetILNS1_3genE0ELNS1_11target_archE4294967295ELNS1_3gpuE0ELNS1_3repE0EEENS1_30default_config_static_selectorELNS0_4arch9wavefront6targetE1EEEvT1_,comdat
	.protected	_ZN7rocprim17ROCPRIM_400000_NS6detail17trampoline_kernelINS0_14default_configENS1_25partition_config_selectorILNS1_17partition_subalgoE1EiNS0_10empty_typeEbEEZZNS1_14partition_implILS5_1ELb0ES3_jN6thrust23THRUST_200600_302600_NS6detail15normal_iteratorINSA_10device_ptrIiEEEEPS6_NSA_18transform_iteratorINSA_8identityIiEESF_NSA_11use_defaultESK_EENS0_5tupleIJSF_SF_EEENSM_IJSG_SG_EEES6_PlJS6_EEE10hipError_tPvRmT3_T4_T5_T6_T7_T9_mT8_P12ihipStream_tbDpT10_ENKUlT_T0_E_clISt17integral_constantIbLb1EES18_IbLb0EEEEDaS14_S15_EUlS14_E_NS1_11comp_targetILNS1_3genE0ELNS1_11target_archE4294967295ELNS1_3gpuE0ELNS1_3repE0EEENS1_30default_config_static_selectorELNS0_4arch9wavefront6targetE1EEEvT1_ ; -- Begin function _ZN7rocprim17ROCPRIM_400000_NS6detail17trampoline_kernelINS0_14default_configENS1_25partition_config_selectorILNS1_17partition_subalgoE1EiNS0_10empty_typeEbEEZZNS1_14partition_implILS5_1ELb0ES3_jN6thrust23THRUST_200600_302600_NS6detail15normal_iteratorINSA_10device_ptrIiEEEEPS6_NSA_18transform_iteratorINSA_8identityIiEESF_NSA_11use_defaultESK_EENS0_5tupleIJSF_SF_EEENSM_IJSG_SG_EEES6_PlJS6_EEE10hipError_tPvRmT3_T4_T5_T6_T7_T9_mT8_P12ihipStream_tbDpT10_ENKUlT_T0_E_clISt17integral_constantIbLb1EES18_IbLb0EEEEDaS14_S15_EUlS14_E_NS1_11comp_targetILNS1_3genE0ELNS1_11target_archE4294967295ELNS1_3gpuE0ELNS1_3repE0EEENS1_30default_config_static_selectorELNS0_4arch9wavefront6targetE1EEEvT1_
	.globl	_ZN7rocprim17ROCPRIM_400000_NS6detail17trampoline_kernelINS0_14default_configENS1_25partition_config_selectorILNS1_17partition_subalgoE1EiNS0_10empty_typeEbEEZZNS1_14partition_implILS5_1ELb0ES3_jN6thrust23THRUST_200600_302600_NS6detail15normal_iteratorINSA_10device_ptrIiEEEEPS6_NSA_18transform_iteratorINSA_8identityIiEESF_NSA_11use_defaultESK_EENS0_5tupleIJSF_SF_EEENSM_IJSG_SG_EEES6_PlJS6_EEE10hipError_tPvRmT3_T4_T5_T6_T7_T9_mT8_P12ihipStream_tbDpT10_ENKUlT_T0_E_clISt17integral_constantIbLb1EES18_IbLb0EEEEDaS14_S15_EUlS14_E_NS1_11comp_targetILNS1_3genE0ELNS1_11target_archE4294967295ELNS1_3gpuE0ELNS1_3repE0EEENS1_30default_config_static_selectorELNS0_4arch9wavefront6targetE1EEEvT1_
	.p2align	8
	.type	_ZN7rocprim17ROCPRIM_400000_NS6detail17trampoline_kernelINS0_14default_configENS1_25partition_config_selectorILNS1_17partition_subalgoE1EiNS0_10empty_typeEbEEZZNS1_14partition_implILS5_1ELb0ES3_jN6thrust23THRUST_200600_302600_NS6detail15normal_iteratorINSA_10device_ptrIiEEEEPS6_NSA_18transform_iteratorINSA_8identityIiEESF_NSA_11use_defaultESK_EENS0_5tupleIJSF_SF_EEENSM_IJSG_SG_EEES6_PlJS6_EEE10hipError_tPvRmT3_T4_T5_T6_T7_T9_mT8_P12ihipStream_tbDpT10_ENKUlT_T0_E_clISt17integral_constantIbLb1EES18_IbLb0EEEEDaS14_S15_EUlS14_E_NS1_11comp_targetILNS1_3genE0ELNS1_11target_archE4294967295ELNS1_3gpuE0ELNS1_3repE0EEENS1_30default_config_static_selectorELNS0_4arch9wavefront6targetE1EEEvT1_,@function
_ZN7rocprim17ROCPRIM_400000_NS6detail17trampoline_kernelINS0_14default_configENS1_25partition_config_selectorILNS1_17partition_subalgoE1EiNS0_10empty_typeEbEEZZNS1_14partition_implILS5_1ELb0ES3_jN6thrust23THRUST_200600_302600_NS6detail15normal_iteratorINSA_10device_ptrIiEEEEPS6_NSA_18transform_iteratorINSA_8identityIiEESF_NSA_11use_defaultESK_EENS0_5tupleIJSF_SF_EEENSM_IJSG_SG_EEES6_PlJS6_EEE10hipError_tPvRmT3_T4_T5_T6_T7_T9_mT8_P12ihipStream_tbDpT10_ENKUlT_T0_E_clISt17integral_constantIbLb1EES18_IbLb0EEEEDaS14_S15_EUlS14_E_NS1_11comp_targetILNS1_3genE0ELNS1_11target_archE4294967295ELNS1_3gpuE0ELNS1_3repE0EEENS1_30default_config_static_selectorELNS0_4arch9wavefront6targetE1EEEvT1_: ; @_ZN7rocprim17ROCPRIM_400000_NS6detail17trampoline_kernelINS0_14default_configENS1_25partition_config_selectorILNS1_17partition_subalgoE1EiNS0_10empty_typeEbEEZZNS1_14partition_implILS5_1ELb0ES3_jN6thrust23THRUST_200600_302600_NS6detail15normal_iteratorINSA_10device_ptrIiEEEEPS6_NSA_18transform_iteratorINSA_8identityIiEESF_NSA_11use_defaultESK_EENS0_5tupleIJSF_SF_EEENSM_IJSG_SG_EEES6_PlJS6_EEE10hipError_tPvRmT3_T4_T5_T6_T7_T9_mT8_P12ihipStream_tbDpT10_ENKUlT_T0_E_clISt17integral_constantIbLb1EES18_IbLb0EEEEDaS14_S15_EUlS14_E_NS1_11comp_targetILNS1_3genE0ELNS1_11target_archE4294967295ELNS1_3gpuE0ELNS1_3repE0EEENS1_30default_config_static_selectorELNS0_4arch9wavefront6targetE1EEEvT1_
; %bb.0:
	.section	.rodata,"a",@progbits
	.p2align	6, 0x0
	.amdhsa_kernel _ZN7rocprim17ROCPRIM_400000_NS6detail17trampoline_kernelINS0_14default_configENS1_25partition_config_selectorILNS1_17partition_subalgoE1EiNS0_10empty_typeEbEEZZNS1_14partition_implILS5_1ELb0ES3_jN6thrust23THRUST_200600_302600_NS6detail15normal_iteratorINSA_10device_ptrIiEEEEPS6_NSA_18transform_iteratorINSA_8identityIiEESF_NSA_11use_defaultESK_EENS0_5tupleIJSF_SF_EEENSM_IJSG_SG_EEES6_PlJS6_EEE10hipError_tPvRmT3_T4_T5_T6_T7_T9_mT8_P12ihipStream_tbDpT10_ENKUlT_T0_E_clISt17integral_constantIbLb1EES18_IbLb0EEEEDaS14_S15_EUlS14_E_NS1_11comp_targetILNS1_3genE0ELNS1_11target_archE4294967295ELNS1_3gpuE0ELNS1_3repE0EEENS1_30default_config_static_selectorELNS0_4arch9wavefront6targetE1EEEvT1_
		.amdhsa_group_segment_fixed_size 0
		.amdhsa_private_segment_fixed_size 0
		.amdhsa_kernarg_size 128
		.amdhsa_user_sgpr_count 2
		.amdhsa_user_sgpr_dispatch_ptr 0
		.amdhsa_user_sgpr_queue_ptr 0
		.amdhsa_user_sgpr_kernarg_segment_ptr 1
		.amdhsa_user_sgpr_dispatch_id 0
		.amdhsa_user_sgpr_kernarg_preload_length 0
		.amdhsa_user_sgpr_kernarg_preload_offset 0
		.amdhsa_user_sgpr_private_segment_size 0
		.amdhsa_uses_dynamic_stack 0
		.amdhsa_enable_private_segment 0
		.amdhsa_system_sgpr_workgroup_id_x 1
		.amdhsa_system_sgpr_workgroup_id_y 0
		.amdhsa_system_sgpr_workgroup_id_z 0
		.amdhsa_system_sgpr_workgroup_info 0
		.amdhsa_system_vgpr_workitem_id 0
		.amdhsa_next_free_vgpr 1
		.amdhsa_next_free_sgpr 0
		.amdhsa_accum_offset 4
		.amdhsa_reserve_vcc 0
		.amdhsa_float_round_mode_32 0
		.amdhsa_float_round_mode_16_64 0
		.amdhsa_float_denorm_mode_32 3
		.amdhsa_float_denorm_mode_16_64 3
		.amdhsa_dx10_clamp 1
		.amdhsa_ieee_mode 1
		.amdhsa_fp16_overflow 0
		.amdhsa_tg_split 0
		.amdhsa_exception_fp_ieee_invalid_op 0
		.amdhsa_exception_fp_denorm_src 0
		.amdhsa_exception_fp_ieee_div_zero 0
		.amdhsa_exception_fp_ieee_overflow 0
		.amdhsa_exception_fp_ieee_underflow 0
		.amdhsa_exception_fp_ieee_inexact 0
		.amdhsa_exception_int_div_zero 0
	.end_amdhsa_kernel
	.section	.text._ZN7rocprim17ROCPRIM_400000_NS6detail17trampoline_kernelINS0_14default_configENS1_25partition_config_selectorILNS1_17partition_subalgoE1EiNS0_10empty_typeEbEEZZNS1_14partition_implILS5_1ELb0ES3_jN6thrust23THRUST_200600_302600_NS6detail15normal_iteratorINSA_10device_ptrIiEEEEPS6_NSA_18transform_iteratorINSA_8identityIiEESF_NSA_11use_defaultESK_EENS0_5tupleIJSF_SF_EEENSM_IJSG_SG_EEES6_PlJS6_EEE10hipError_tPvRmT3_T4_T5_T6_T7_T9_mT8_P12ihipStream_tbDpT10_ENKUlT_T0_E_clISt17integral_constantIbLb1EES18_IbLb0EEEEDaS14_S15_EUlS14_E_NS1_11comp_targetILNS1_3genE0ELNS1_11target_archE4294967295ELNS1_3gpuE0ELNS1_3repE0EEENS1_30default_config_static_selectorELNS0_4arch9wavefront6targetE1EEEvT1_,"axG",@progbits,_ZN7rocprim17ROCPRIM_400000_NS6detail17trampoline_kernelINS0_14default_configENS1_25partition_config_selectorILNS1_17partition_subalgoE1EiNS0_10empty_typeEbEEZZNS1_14partition_implILS5_1ELb0ES3_jN6thrust23THRUST_200600_302600_NS6detail15normal_iteratorINSA_10device_ptrIiEEEEPS6_NSA_18transform_iteratorINSA_8identityIiEESF_NSA_11use_defaultESK_EENS0_5tupleIJSF_SF_EEENSM_IJSG_SG_EEES6_PlJS6_EEE10hipError_tPvRmT3_T4_T5_T6_T7_T9_mT8_P12ihipStream_tbDpT10_ENKUlT_T0_E_clISt17integral_constantIbLb1EES18_IbLb0EEEEDaS14_S15_EUlS14_E_NS1_11comp_targetILNS1_3genE0ELNS1_11target_archE4294967295ELNS1_3gpuE0ELNS1_3repE0EEENS1_30default_config_static_selectorELNS0_4arch9wavefront6targetE1EEEvT1_,comdat
.Lfunc_end625:
	.size	_ZN7rocprim17ROCPRIM_400000_NS6detail17trampoline_kernelINS0_14default_configENS1_25partition_config_selectorILNS1_17partition_subalgoE1EiNS0_10empty_typeEbEEZZNS1_14partition_implILS5_1ELb0ES3_jN6thrust23THRUST_200600_302600_NS6detail15normal_iteratorINSA_10device_ptrIiEEEEPS6_NSA_18transform_iteratorINSA_8identityIiEESF_NSA_11use_defaultESK_EENS0_5tupleIJSF_SF_EEENSM_IJSG_SG_EEES6_PlJS6_EEE10hipError_tPvRmT3_T4_T5_T6_T7_T9_mT8_P12ihipStream_tbDpT10_ENKUlT_T0_E_clISt17integral_constantIbLb1EES18_IbLb0EEEEDaS14_S15_EUlS14_E_NS1_11comp_targetILNS1_3genE0ELNS1_11target_archE4294967295ELNS1_3gpuE0ELNS1_3repE0EEENS1_30default_config_static_selectorELNS0_4arch9wavefront6targetE1EEEvT1_, .Lfunc_end625-_ZN7rocprim17ROCPRIM_400000_NS6detail17trampoline_kernelINS0_14default_configENS1_25partition_config_selectorILNS1_17partition_subalgoE1EiNS0_10empty_typeEbEEZZNS1_14partition_implILS5_1ELb0ES3_jN6thrust23THRUST_200600_302600_NS6detail15normal_iteratorINSA_10device_ptrIiEEEEPS6_NSA_18transform_iteratorINSA_8identityIiEESF_NSA_11use_defaultESK_EENS0_5tupleIJSF_SF_EEENSM_IJSG_SG_EEES6_PlJS6_EEE10hipError_tPvRmT3_T4_T5_T6_T7_T9_mT8_P12ihipStream_tbDpT10_ENKUlT_T0_E_clISt17integral_constantIbLb1EES18_IbLb0EEEEDaS14_S15_EUlS14_E_NS1_11comp_targetILNS1_3genE0ELNS1_11target_archE4294967295ELNS1_3gpuE0ELNS1_3repE0EEENS1_30default_config_static_selectorELNS0_4arch9wavefront6targetE1EEEvT1_
                                        ; -- End function
	.section	.AMDGPU.csdata,"",@progbits
; Kernel info:
; codeLenInByte = 0
; NumSgprs: 6
; NumVgprs: 0
; NumAgprs: 0
; TotalNumVgprs: 0
; ScratchSize: 0
; MemoryBound: 0
; FloatMode: 240
; IeeeMode: 1
; LDSByteSize: 0 bytes/workgroup (compile time only)
; SGPRBlocks: 0
; VGPRBlocks: 0
; NumSGPRsForWavesPerEU: 6
; NumVGPRsForWavesPerEU: 1
; AccumOffset: 4
; Occupancy: 8
; WaveLimiterHint : 0
; COMPUTE_PGM_RSRC2:SCRATCH_EN: 0
; COMPUTE_PGM_RSRC2:USER_SGPR: 2
; COMPUTE_PGM_RSRC2:TRAP_HANDLER: 0
; COMPUTE_PGM_RSRC2:TGID_X_EN: 1
; COMPUTE_PGM_RSRC2:TGID_Y_EN: 0
; COMPUTE_PGM_RSRC2:TGID_Z_EN: 0
; COMPUTE_PGM_RSRC2:TIDIG_COMP_CNT: 0
; COMPUTE_PGM_RSRC3_GFX90A:ACCUM_OFFSET: 0
; COMPUTE_PGM_RSRC3_GFX90A:TG_SPLIT: 0
	.section	.text._ZN7rocprim17ROCPRIM_400000_NS6detail17trampoline_kernelINS0_14default_configENS1_25partition_config_selectorILNS1_17partition_subalgoE1EiNS0_10empty_typeEbEEZZNS1_14partition_implILS5_1ELb0ES3_jN6thrust23THRUST_200600_302600_NS6detail15normal_iteratorINSA_10device_ptrIiEEEEPS6_NSA_18transform_iteratorINSA_8identityIiEESF_NSA_11use_defaultESK_EENS0_5tupleIJSF_SF_EEENSM_IJSG_SG_EEES6_PlJS6_EEE10hipError_tPvRmT3_T4_T5_T6_T7_T9_mT8_P12ihipStream_tbDpT10_ENKUlT_T0_E_clISt17integral_constantIbLb1EES18_IbLb0EEEEDaS14_S15_EUlS14_E_NS1_11comp_targetILNS1_3genE5ELNS1_11target_archE942ELNS1_3gpuE9ELNS1_3repE0EEENS1_30default_config_static_selectorELNS0_4arch9wavefront6targetE1EEEvT1_,"axG",@progbits,_ZN7rocprim17ROCPRIM_400000_NS6detail17trampoline_kernelINS0_14default_configENS1_25partition_config_selectorILNS1_17partition_subalgoE1EiNS0_10empty_typeEbEEZZNS1_14partition_implILS5_1ELb0ES3_jN6thrust23THRUST_200600_302600_NS6detail15normal_iteratorINSA_10device_ptrIiEEEEPS6_NSA_18transform_iteratorINSA_8identityIiEESF_NSA_11use_defaultESK_EENS0_5tupleIJSF_SF_EEENSM_IJSG_SG_EEES6_PlJS6_EEE10hipError_tPvRmT3_T4_T5_T6_T7_T9_mT8_P12ihipStream_tbDpT10_ENKUlT_T0_E_clISt17integral_constantIbLb1EES18_IbLb0EEEEDaS14_S15_EUlS14_E_NS1_11comp_targetILNS1_3genE5ELNS1_11target_archE942ELNS1_3gpuE9ELNS1_3repE0EEENS1_30default_config_static_selectorELNS0_4arch9wavefront6targetE1EEEvT1_,comdat
	.protected	_ZN7rocprim17ROCPRIM_400000_NS6detail17trampoline_kernelINS0_14default_configENS1_25partition_config_selectorILNS1_17partition_subalgoE1EiNS0_10empty_typeEbEEZZNS1_14partition_implILS5_1ELb0ES3_jN6thrust23THRUST_200600_302600_NS6detail15normal_iteratorINSA_10device_ptrIiEEEEPS6_NSA_18transform_iteratorINSA_8identityIiEESF_NSA_11use_defaultESK_EENS0_5tupleIJSF_SF_EEENSM_IJSG_SG_EEES6_PlJS6_EEE10hipError_tPvRmT3_T4_T5_T6_T7_T9_mT8_P12ihipStream_tbDpT10_ENKUlT_T0_E_clISt17integral_constantIbLb1EES18_IbLb0EEEEDaS14_S15_EUlS14_E_NS1_11comp_targetILNS1_3genE5ELNS1_11target_archE942ELNS1_3gpuE9ELNS1_3repE0EEENS1_30default_config_static_selectorELNS0_4arch9wavefront6targetE1EEEvT1_ ; -- Begin function _ZN7rocprim17ROCPRIM_400000_NS6detail17trampoline_kernelINS0_14default_configENS1_25partition_config_selectorILNS1_17partition_subalgoE1EiNS0_10empty_typeEbEEZZNS1_14partition_implILS5_1ELb0ES3_jN6thrust23THRUST_200600_302600_NS6detail15normal_iteratorINSA_10device_ptrIiEEEEPS6_NSA_18transform_iteratorINSA_8identityIiEESF_NSA_11use_defaultESK_EENS0_5tupleIJSF_SF_EEENSM_IJSG_SG_EEES6_PlJS6_EEE10hipError_tPvRmT3_T4_T5_T6_T7_T9_mT8_P12ihipStream_tbDpT10_ENKUlT_T0_E_clISt17integral_constantIbLb1EES18_IbLb0EEEEDaS14_S15_EUlS14_E_NS1_11comp_targetILNS1_3genE5ELNS1_11target_archE942ELNS1_3gpuE9ELNS1_3repE0EEENS1_30default_config_static_selectorELNS0_4arch9wavefront6targetE1EEEvT1_
	.globl	_ZN7rocprim17ROCPRIM_400000_NS6detail17trampoline_kernelINS0_14default_configENS1_25partition_config_selectorILNS1_17partition_subalgoE1EiNS0_10empty_typeEbEEZZNS1_14partition_implILS5_1ELb0ES3_jN6thrust23THRUST_200600_302600_NS6detail15normal_iteratorINSA_10device_ptrIiEEEEPS6_NSA_18transform_iteratorINSA_8identityIiEESF_NSA_11use_defaultESK_EENS0_5tupleIJSF_SF_EEENSM_IJSG_SG_EEES6_PlJS6_EEE10hipError_tPvRmT3_T4_T5_T6_T7_T9_mT8_P12ihipStream_tbDpT10_ENKUlT_T0_E_clISt17integral_constantIbLb1EES18_IbLb0EEEEDaS14_S15_EUlS14_E_NS1_11comp_targetILNS1_3genE5ELNS1_11target_archE942ELNS1_3gpuE9ELNS1_3repE0EEENS1_30default_config_static_selectorELNS0_4arch9wavefront6targetE1EEEvT1_
	.p2align	8
	.type	_ZN7rocprim17ROCPRIM_400000_NS6detail17trampoline_kernelINS0_14default_configENS1_25partition_config_selectorILNS1_17partition_subalgoE1EiNS0_10empty_typeEbEEZZNS1_14partition_implILS5_1ELb0ES3_jN6thrust23THRUST_200600_302600_NS6detail15normal_iteratorINSA_10device_ptrIiEEEEPS6_NSA_18transform_iteratorINSA_8identityIiEESF_NSA_11use_defaultESK_EENS0_5tupleIJSF_SF_EEENSM_IJSG_SG_EEES6_PlJS6_EEE10hipError_tPvRmT3_T4_T5_T6_T7_T9_mT8_P12ihipStream_tbDpT10_ENKUlT_T0_E_clISt17integral_constantIbLb1EES18_IbLb0EEEEDaS14_S15_EUlS14_E_NS1_11comp_targetILNS1_3genE5ELNS1_11target_archE942ELNS1_3gpuE9ELNS1_3repE0EEENS1_30default_config_static_selectorELNS0_4arch9wavefront6targetE1EEEvT1_,@function
_ZN7rocprim17ROCPRIM_400000_NS6detail17trampoline_kernelINS0_14default_configENS1_25partition_config_selectorILNS1_17partition_subalgoE1EiNS0_10empty_typeEbEEZZNS1_14partition_implILS5_1ELb0ES3_jN6thrust23THRUST_200600_302600_NS6detail15normal_iteratorINSA_10device_ptrIiEEEEPS6_NSA_18transform_iteratorINSA_8identityIiEESF_NSA_11use_defaultESK_EENS0_5tupleIJSF_SF_EEENSM_IJSG_SG_EEES6_PlJS6_EEE10hipError_tPvRmT3_T4_T5_T6_T7_T9_mT8_P12ihipStream_tbDpT10_ENKUlT_T0_E_clISt17integral_constantIbLb1EES18_IbLb0EEEEDaS14_S15_EUlS14_E_NS1_11comp_targetILNS1_3genE5ELNS1_11target_archE942ELNS1_3gpuE9ELNS1_3repE0EEENS1_30default_config_static_selectorELNS0_4arch9wavefront6targetE1EEEvT1_: ; @_ZN7rocprim17ROCPRIM_400000_NS6detail17trampoline_kernelINS0_14default_configENS1_25partition_config_selectorILNS1_17partition_subalgoE1EiNS0_10empty_typeEbEEZZNS1_14partition_implILS5_1ELb0ES3_jN6thrust23THRUST_200600_302600_NS6detail15normal_iteratorINSA_10device_ptrIiEEEEPS6_NSA_18transform_iteratorINSA_8identityIiEESF_NSA_11use_defaultESK_EENS0_5tupleIJSF_SF_EEENSM_IJSG_SG_EEES6_PlJS6_EEE10hipError_tPvRmT3_T4_T5_T6_T7_T9_mT8_P12ihipStream_tbDpT10_ENKUlT_T0_E_clISt17integral_constantIbLb1EES18_IbLb0EEEEDaS14_S15_EUlS14_E_NS1_11comp_targetILNS1_3genE5ELNS1_11target_archE942ELNS1_3gpuE9ELNS1_3repE0EEENS1_30default_config_static_selectorELNS0_4arch9wavefront6targetE1EEEvT1_
; %bb.0:
	s_load_dwordx2 s[4:5], s[0:1], 0x60
	s_load_dwordx4 s[24:27], s[0:1], 0x8
	s_load_dwordx2 s[6:7], s[0:1], 0x20
	s_load_dwordx4 s[20:23], s[0:1], 0x50
	s_load_dword s3, s[0:1], 0x78
	s_waitcnt lgkmcnt(0)
	v_mov_b32_e32 v3, s5
	s_lshl_b64 s[8:9], s[26:27], 2
	s_add_u32 s12, s24, s8
	s_addc_u32 s13, s25, s9
	s_add_i32 s14, s3, -1
	s_mulk_i32 s3, 0x1e00
	s_add_i32 s5, s3, s26
	s_sub_i32 s33, s4, s5
	s_addk_i32 s33, 0x1e00
	v_mov_b32_e32 v2, s4
	s_add_u32 s4, s26, s3
	s_addc_u32 s5, s27, 0
	s_cmp_eq_u32 s2, s14
	s_load_dwordx2 s[28:29], s[22:23], 0x0
	s_cselect_b64 s[22:23], -1, 0
	s_cmp_lg_u32 s2, s14
	s_mul_i32 s10, s2, 0x1e00
	s_mov_b32 s11, 0
	v_cmp_lt_u64_e32 vcc, s[4:5], v[2:3]
	s_cselect_b64 s[4:5], -1, 0
	s_or_b64 s[24:25], s[4:5], vcc
	s_lshl_b64 s[30:31], s[10:11], 2
	s_add_u32 s10, s12, s30
	s_addc_u32 s11, s13, s31
	s_mov_b64 s[4:5], -1
	s_and_b64 vcc, exec, s[24:25]
	v_lshlrev_b32_e32 v22, 2, v0
	s_cbranch_vccz .LBB626_2
; %bb.1:
	v_mov_b32_e32 v23, 0
	v_lshl_add_u64 v[2:3], s[10:11], 0, v[22:23]
	v_add_co_u32_e32 v4, vcc, 0x1000, v2
	s_mov_b64 s[4:5], 0
	s_nop 0
	v_addc_co_u32_e32 v5, vcc, 0, v3, vcc
	v_add_co_u32_e32 v6, vcc, 0x2000, v2
	s_nop 1
	v_addc_co_u32_e32 v7, vcc, 0, v3, vcc
	v_add_co_u32_e32 v8, vcc, 0x3000, v2
	s_nop 1
	v_addc_co_u32_e32 v9, vcc, 0, v3, vcc
	flat_load_dword v1, v[2:3]
	flat_load_dword v10, v[2:3] offset:2048
	flat_load_dword v11, v[4:5]
	flat_load_dword v12, v[4:5] offset:2048
	;; [unrolled: 2-line block ×4, first 2 shown]
	v_add_co_u32_e32 v4, vcc, 0x4000, v2
	s_nop 1
	v_addc_co_u32_e32 v5, vcc, 0, v3, vcc
	v_add_co_u32_e32 v6, vcc, 0x5000, v2
	s_nop 1
	v_addc_co_u32_e32 v7, vcc, 0, v3, vcc
	;; [unrolled: 3-line block ×4, first 2 shown]
	flat_load_dword v17, v[4:5]
	flat_load_dword v18, v[4:5] offset:2048
	flat_load_dword v19, v[6:7]
	flat_load_dword v20, v[6:7] offset:2048
	;; [unrolled: 2-line block ×3, first 2 shown]
	flat_load_dword v24, v[2:3]
	s_waitcnt vmcnt(0) lgkmcnt(0)
	ds_write2st64_b32 v22, v1, v10 offset1:8
	ds_write2st64_b32 v22, v11, v12 offset0:16 offset1:24
	ds_write2st64_b32 v22, v13, v14 offset0:32 offset1:40
	;; [unrolled: 1-line block ×6, first 2 shown]
	ds_write_b32 v22, v24 offset:28672
	s_waitcnt lgkmcnt(0)
	s_barrier
.LBB626_2:
	s_andn2_b64 vcc, exec, s[4:5]
	v_cmp_gt_u32_e64 s[4:5], s33, v0
	s_cbranch_vccnz .LBB626_34
; %bb.3:
                                        ; implicit-def: $vgpr2_vgpr3_vgpr4_vgpr5_vgpr6_vgpr7_vgpr8_vgpr9_vgpr10_vgpr11_vgpr12_vgpr13_vgpr14_vgpr15_vgpr16_vgpr17
	s_and_saveexec_b64 s[12:13], s[4:5]
	s_cbranch_execz .LBB626_5
; %bb.4:
	v_mov_b32_e32 v23, 0
	v_lshl_add_u64 v[2:3], s[10:11], 0, v[22:23]
	flat_load_dword v2, v[2:3]
.LBB626_5:
	s_or_b64 exec, exec, s[12:13]
	v_or_b32_e32 v1, 0x200, v0
	v_cmp_gt_u32_e32 vcc, s33, v1
	s_and_saveexec_b64 s[4:5], vcc
	s_cbranch_execz .LBB626_7
; %bb.6:
	v_mov_b32_e32 v23, 0
	v_lshl_add_u64 v[18:19], s[10:11], 0, v[22:23]
	flat_load_dword v3, v[18:19] offset:2048
.LBB626_7:
	s_or_b64 exec, exec, s[4:5]
	v_or_b32_e32 v1, 0x400, v0
	v_cmp_gt_u32_e32 vcc, s33, v1
	s_and_saveexec_b64 s[4:5], vcc
	s_cbranch_execz .LBB626_9
; %bb.8:
	v_lshlrev_b32_e32 v18, 2, v1
	v_mov_b32_e32 v19, 0
	v_lshl_add_u64 v[18:19], s[10:11], 0, v[18:19]
	flat_load_dword v4, v[18:19]
.LBB626_9:
	s_or_b64 exec, exec, s[4:5]
	v_or_b32_e32 v1, 0x600, v0
	v_cmp_gt_u32_e32 vcc, s33, v1
	s_and_saveexec_b64 s[4:5], vcc
	s_cbranch_execz .LBB626_11
; %bb.10:
	v_lshlrev_b32_e32 v18, 2, v1
	v_mov_b32_e32 v19, 0
	v_lshl_add_u64 v[18:19], s[10:11], 0, v[18:19]
	flat_load_dword v5, v[18:19]
.LBB626_11:
	;; [unrolled: 11-line block ×13, first 2 shown]
	s_or_b64 exec, exec, s[4:5]
	s_waitcnt vmcnt(0) lgkmcnt(0)
	ds_write2st64_b32 v22, v2, v3 offset1:8
	ds_write2st64_b32 v22, v4, v5 offset0:16 offset1:24
	ds_write2st64_b32 v22, v6, v7 offset0:32 offset1:40
	;; [unrolled: 1-line block ×6, first 2 shown]
	ds_write_b32 v22, v16 offset:28672
	s_waitcnt lgkmcnt(0)
	s_barrier
.LBB626_34:
	v_mul_u32_u24_e32 v21, 15, v0
	v_lshlrev_b32_e32 v1, 2, v21
	s_waitcnt lgkmcnt(0)
	ds_read2_b32 v[36:37], v1 offset1:1
	ds_read2_b32 v[34:35], v1 offset0:2 offset1:3
	ds_read2_b32 v[32:33], v1 offset0:4 offset1:5
	;; [unrolled: 1-line block ×6, first 2 shown]
	ds_read_b32 v1, v1 offset:56
	s_add_u32 s3, s6, s8
	s_addc_u32 s5, s7, s9
	s_add_u32 s4, s3, s30
	s_addc_u32 s5, s5, s31
	s_mov_b64 s[6:7], -1
	s_and_b64 vcc, exec, s[24:25]
	s_waitcnt lgkmcnt(0)
	s_barrier
	s_cbranch_vccz .LBB626_36
; %bb.35:
	v_mov_b32_e32 v23, 0
	v_lshl_add_u64 v[2:3], s[4:5], 0, v[22:23]
	v_add_co_u32_e32 v4, vcc, 0x1000, v2
	global_load_dword v8, v22, s[4:5]
	global_load_dword v9, v22, s[4:5] offset:2048
	v_addc_co_u32_e32 v5, vcc, 0, v3, vcc
	v_add_co_u32_e32 v6, vcc, 0x2000, v2
	s_mov_b64 s[6:7], 0
	s_nop 0
	v_addc_co_u32_e32 v7, vcc, 0, v3, vcc
	global_load_dword v10, v[4:5], off
	global_load_dword v11, v[4:5], off offset:2048
	global_load_dword v12, v[6:7], off
	global_load_dword v13, v[6:7], off offset:2048
	v_add_co_u32_e32 v4, vcc, 0x3000, v2
	s_nop 1
	v_addc_co_u32_e32 v5, vcc, 0, v3, vcc
	v_add_co_u32_e32 v6, vcc, 0x4000, v2
	s_nop 1
	v_addc_co_u32_e32 v7, vcc, 0, v3, vcc
	global_load_dword v14, v[4:5], off
	global_load_dword v15, v[4:5], off offset:2048
	global_load_dword v16, v[6:7], off
	global_load_dword v17, v[6:7], off offset:2048
	v_add_co_u32_e32 v4, vcc, 0x5000, v2
	s_nop 1
	v_addc_co_u32_e32 v5, vcc, 0, v3, vcc
	v_add_co_u32_e32 v6, vcc, 0x6000, v2
	s_nop 1
	v_addc_co_u32_e32 v7, vcc, 0, v3, vcc
	v_add_co_u32_e32 v2, vcc, 0x7000, v2
	global_load_dword v18, v[4:5], off
	global_load_dword v19, v[4:5], off offset:2048
	global_load_dword v20, v[6:7], off
	global_load_dword v23, v[6:7], off offset:2048
	v_addc_co_u32_e32 v3, vcc, 0, v3, vcc
	global_load_dword v2, v[2:3], off
	s_waitcnt vmcnt(14)
	v_cmp_ne_u32_e32 vcc, 0, v8
	s_nop 1
	v_cndmask_b32_e64 v3, 0, 1, vcc
	s_waitcnt vmcnt(13)
	v_cmp_ne_u32_e32 vcc, 0, v9
	s_nop 1
	v_cndmask_b32_e64 v4, 0, 1, vcc
	s_waitcnt vmcnt(12)
	v_cmp_ne_u32_e32 vcc, 0, v10
	ds_write_b8 v0, v3
	ds_write_b8 v0, v4 offset:512
	v_cndmask_b32_e64 v3, 0, 1, vcc
	s_waitcnt vmcnt(11)
	v_cmp_ne_u32_e32 vcc, 0, v11
	s_nop 1
	v_cndmask_b32_e64 v4, 0, 1, vcc
	s_waitcnt vmcnt(10)
	v_cmp_ne_u32_e32 vcc, 0, v12
	ds_write_b8 v0, v3 offset:1024
	ds_write_b8 v0, v4 offset:1536
	v_cndmask_b32_e64 v5, 0, 1, vcc
	s_waitcnt vmcnt(9)
	v_cmp_ne_u32_e32 vcc, 0, v13
	s_nop 1
	v_cndmask_b32_e64 v6, 0, 1, vcc
	s_waitcnt vmcnt(8)
	v_cmp_ne_u32_e32 vcc, 0, v14
	ds_write_b8 v0, v5 offset:2048
	;; [unrolled: 9-line block ×3, first 2 shown]
	ds_write_b8 v0, v4 offset:3584
	v_cndmask_b32_e64 v5, 0, 1, vcc
	s_waitcnt vmcnt(5)
	v_cmp_ne_u32_e32 vcc, 0, v17
	ds_write_b8 v0, v5 offset:4096
	s_nop 0
	v_cndmask_b32_e64 v6, 0, 1, vcc
	s_waitcnt vmcnt(4)
	v_cmp_ne_u32_e32 vcc, 0, v18
	s_nop 1
	v_cndmask_b32_e64 v3, 0, 1, vcc
	s_waitcnt vmcnt(3)
	v_cmp_ne_u32_e32 vcc, 0, v19
	;; [unrolled: 4-line block ×5, first 2 shown]
	s_nop 1
	v_cndmask_b32_e64 v2, 0, 1, vcc
	ds_write_b8 v0, v6 offset:4608
	ds_write_b8 v0, v3 offset:5120
	;; [unrolled: 1-line block ×6, first 2 shown]
	s_waitcnt lgkmcnt(0)
	s_barrier
.LBB626_36:
	s_load_dwordx2 s[34:35], s[0:1], 0x70
	s_andn2_b64 vcc, exec, s[6:7]
	s_cbranch_vccnz .LBB626_68
; %bb.37:
	v_cmp_gt_u32_e32 vcc, s33, v0
	v_mov_b32_e32 v2, 0
	v_mov_b32_e32 v3, 0
	s_and_saveexec_b64 s[6:7], vcc
	s_cbranch_execz .LBB626_39
; %bb.38:
	global_load_dword v3, v22, s[4:5]
	s_waitcnt vmcnt(0)
	v_cmp_ne_u32_e32 vcc, 0, v3
	s_nop 1
	v_cndmask_b32_e64 v3, 0, 1, vcc
.LBB626_39:
	s_or_b64 exec, exec, s[6:7]
	v_or_b32_e32 v4, 0x200, v0
	v_cmp_gt_u32_e32 vcc, s33, v4
	s_and_saveexec_b64 s[6:7], vcc
	s_cbranch_execz .LBB626_41
; %bb.40:
	global_load_dword v2, v22, s[4:5] offset:2048
	s_waitcnt vmcnt(0)
	v_cmp_ne_u32_e32 vcc, 0, v2
	s_nop 1
	v_cndmask_b32_e64 v2, 0, 1, vcc
.LBB626_41:
	s_or_b64 exec, exec, s[6:7]
	v_or_b32_e32 v6, 0x400, v0
	v_cmp_gt_u32_e32 vcc, s33, v6
	v_mov_b32_e32 v4, 0
	v_mov_b32_e32 v5, 0
	s_and_saveexec_b64 s[6:7], vcc
	s_cbranch_execz .LBB626_43
; %bb.42:
	v_lshlrev_b32_e32 v5, 2, v6
	global_load_dword v5, v5, s[4:5]
	s_waitcnt vmcnt(0)
	v_cmp_ne_u32_e32 vcc, 0, v5
	s_nop 1
	v_cndmask_b32_e64 v5, 0, 1, vcc
.LBB626_43:
	s_or_b64 exec, exec, s[6:7]
	v_or_b32_e32 v6, 0x600, v0
	v_cmp_gt_u32_e32 vcc, s33, v6
	s_and_saveexec_b64 s[6:7], vcc
	s_cbranch_execz .LBB626_45
; %bb.44:
	v_lshlrev_b32_e32 v4, 2, v6
	global_load_dword v4, v4, s[4:5]
	s_waitcnt vmcnt(0)
	v_cmp_ne_u32_e32 vcc, 0, v4
	s_nop 1
	v_cndmask_b32_e64 v4, 0, 1, vcc
.LBB626_45:
	s_or_b64 exec, exec, s[6:7]
	v_or_b32_e32 v8, 0x800, v0
	v_cmp_gt_u32_e32 vcc, s33, v8
	v_mov_b32_e32 v6, 0
	v_mov_b32_e32 v7, 0
	s_and_saveexec_b64 s[6:7], vcc
	s_cbranch_execz .LBB626_47
; %bb.46:
	v_lshlrev_b32_e32 v7, 2, v8
	global_load_dword v7, v7, s[4:5]
	s_waitcnt vmcnt(0)
	v_cmp_ne_u32_e32 vcc, 0, v7
	s_nop 1
	v_cndmask_b32_e64 v7, 0, 1, vcc
.LBB626_47:
	s_or_b64 exec, exec, s[6:7]
	v_or_b32_e32 v8, 0xa00, v0
	v_cmp_gt_u32_e32 vcc, s33, v8
	s_and_saveexec_b64 s[6:7], vcc
	s_cbranch_execz .LBB626_49
; %bb.48:
	v_lshlrev_b32_e32 v6, 2, v8
	global_load_dword v6, v6, s[4:5]
	s_waitcnt vmcnt(0)
	v_cmp_ne_u32_e32 vcc, 0, v6
	s_nop 1
	v_cndmask_b32_e64 v6, 0, 1, vcc
.LBB626_49:
	;; [unrolled: 28-line block ×6, first 2 shown]
	s_or_b64 exec, exec, s[6:7]
	v_or_b32_e32 v17, 0x1c00, v0
	v_cmp_gt_u32_e32 vcc, s33, v17
	v_mov_b32_e32 v16, 0
	s_and_saveexec_b64 s[6:7], vcc
	s_cbranch_execz .LBB626_67
; %bb.66:
	v_lshlrev_b32_e32 v16, 2, v17
	global_load_dword v16, v16, s[4:5]
	s_waitcnt vmcnt(0)
	v_cmp_ne_u32_e32 vcc, 0, v16
	s_nop 1
	v_cndmask_b32_e64 v16, 0, 1, vcc
.LBB626_67:
	s_or_b64 exec, exec, s[6:7]
	ds_write_b8 v0, v3
	ds_write_b8 v0, v2 offset:512
	ds_write_b8 v0, v5 offset:1024
	;; [unrolled: 1-line block ×14, first 2 shown]
	s_waitcnt lgkmcnt(0)
	s_barrier
.LBB626_68:
	s_waitcnt lgkmcnt(0)
	ds_read_b96 v[18:20], v21
	ds_read_u8 v2, v21 offset:12
	ds_read_u8 v3, v21 offset:13
	;; [unrolled: 1-line block ×3, first 2 shown]
	s_cmp_lg_u32 s2, 0
	v_lshrrev_b32_e32 v56, 6, v0
	s_waitcnt lgkmcnt(2)
	v_and_b32_e32 v43, 1, v2
	v_and_b32_e32 v52, 0xff, v18
	v_bfe_u32 v53, v18, 8, 8
	v_bfe_u32 v54, v18, 16, 8
	v_lshrrev_b32_e32 v45, 24, v18
	v_and_b32_e32 v49, 0xff, v19
	v_add3_u32 v2, v53, v52, v54
	v_bfe_u32 v50, v19, 8, 8
	v_bfe_u32 v51, v19, 16, 8
	v_add3_u32 v2, v2, v45, v49
	v_lshrrev_b32_e32 v44, 24, v19
	v_and_b32_e32 v46, 0xff, v20
	v_add3_u32 v2, v2, v50, v51
	v_bfe_u32 v47, v20, 8, 8
	v_bfe_u32 v48, v20, 16, 8
	v_add3_u32 v2, v2, v44, v46
	v_lshrrev_b32_e32 v42, 24, v20
	v_add3_u32 v2, v2, v47, v48
	s_waitcnt lgkmcnt(1)
	v_and_b32_e32 v41, 1, v3
	s_waitcnt lgkmcnt(0)
	v_and_b32_e32 v23, 1, v4
	v_add3_u32 v2, v2, v42, v43
	v_add3_u32 v57, v2, v41, v23
	v_mbcnt_lo_u32_b32 v2, -1, 0
	v_mbcnt_hi_u32_b32 v55, -1, v2
	v_and_b32_e32 v2, 15, v55
	v_cmp_eq_u32_e64 s[14:15], 0, v2
	v_cmp_lt_u32_e64 s[12:13], 1, v2
	v_cmp_lt_u32_e64 s[10:11], 3, v2
	;; [unrolled: 1-line block ×3, first 2 shown]
	v_and_b32_e32 v2, 16, v55
	v_cmp_eq_u32_e64 s[6:7], 0, v2
	v_or_b32_e32 v2, 63, v0
	v_cmp_lt_u32_e64 s[18:19], 31, v55
	v_cmp_eq_u32_e64 s[4:5], v2, v0
	s_barrier
	s_cbranch_scc0 .LBB626_99
; %bb.69:
	v_mov_b32_dpp v2, v57 row_shr:1 row_mask:0xf bank_mask:0xf
	v_cndmask_b32_e64 v2, v2, 0, s[14:15]
	v_add_u32_e32 v2, v2, v57
	s_nop 1
	v_mov_b32_dpp v3, v2 row_shr:2 row_mask:0xf bank_mask:0xf
	v_cndmask_b32_e64 v3, 0, v3, s[12:13]
	v_add_u32_e32 v2, v2, v3
	s_nop 1
	;; [unrolled: 4-line block ×4, first 2 shown]
	v_mov_b32_dpp v3, v2 row_bcast:15 row_mask:0xf bank_mask:0xf
	v_cndmask_b32_e64 v3, v3, 0, s[6:7]
	v_add_u32_e32 v2, v2, v3
	s_nop 1
	v_mov_b32_dpp v3, v2 row_bcast:31 row_mask:0xf bank_mask:0xf
	v_cndmask_b32_e64 v3, 0, v3, s[18:19]
	v_add_u32_e32 v2, v2, v3
	s_and_saveexec_b64 s[16:17], s[4:5]
	s_cbranch_execz .LBB626_71
; %bb.70:
	v_lshlrev_b32_e32 v3, 2, v56
	ds_write_b32 v3, v2
.LBB626_71:
	s_or_b64 exec, exec, s[16:17]
	v_cmp_gt_u32_e32 vcc, 8, v0
	s_waitcnt lgkmcnt(0)
	s_barrier
	s_and_saveexec_b64 s[16:17], vcc
	s_cbranch_execz .LBB626_73
; %bb.72:
	ds_read_b32 v3, v22
	v_and_b32_e32 v4, 7, v55
	v_cmp_ne_u32_e32 vcc, 0, v4
	s_waitcnt lgkmcnt(0)
	v_mov_b32_dpp v5, v3 row_shr:1 row_mask:0xf bank_mask:0xf
	v_cndmask_b32_e32 v5, 0, v5, vcc
	v_add_u32_e32 v3, v5, v3
	v_cmp_lt_u32_e32 vcc, 1, v4
	s_nop 0
	v_mov_b32_dpp v5, v3 row_shr:2 row_mask:0xf bank_mask:0xf
	v_cndmask_b32_e32 v5, 0, v5, vcc
	v_add_u32_e32 v3, v3, v5
	v_cmp_lt_u32_e32 vcc, 3, v4
	s_nop 0
	v_mov_b32_dpp v5, v3 row_shr:4 row_mask:0xf bank_mask:0xf
	v_cndmask_b32_e32 v4, 0, v5, vcc
	v_add_u32_e32 v3, v3, v4
	ds_write_b32 v22, v3
.LBB626_73:
	s_or_b64 exec, exec, s[16:17]
	v_cmp_gt_u32_e32 vcc, 64, v0
	v_cmp_lt_u32_e64 s[16:17], 63, v0
	s_waitcnt lgkmcnt(0)
	s_barrier
	s_waitcnt lgkmcnt(0)
                                        ; implicit-def: $vgpr12
	s_and_saveexec_b64 s[36:37], s[16:17]
	s_cbranch_execz .LBB626_75
; %bb.74:
	v_lshl_add_u32 v3, v56, 2, -4
	ds_read_b32 v12, v3
	s_waitcnt lgkmcnt(0)
	v_add_u32_e32 v2, v12, v2
.LBB626_75:
	s_or_b64 exec, exec, s[36:37]
	v_add_u32_e32 v3, -1, v55
	v_and_b32_e32 v4, 64, v55
	v_cmp_lt_i32_e64 s[16:17], v3, v4
	s_nop 1
	v_cndmask_b32_e64 v3, v3, v55, s[16:17]
	v_lshlrev_b32_e32 v3, 2, v3
	ds_bpermute_b32 v13, v3, v2
	v_cmp_eq_u32_e64 s[16:17], 0, v55
	s_and_saveexec_b64 s[36:37], vcc
	s_cbranch_execz .LBB626_98
; %bb.76:
	v_mov_b32_e32 v11, 0
	ds_read_b32 v2, v11 offset:28
	s_and_saveexec_b64 s[38:39], s[16:17]
	s_cbranch_execz .LBB626_78
; %bb.77:
	s_add_i32 s40, s2, 64
	s_mov_b32 s41, 0
	s_lshl_b64 s[40:41], s[40:41], 3
	s_add_u32 s40, s34, s40
	v_mov_b32_e32 v3, 1
	s_addc_u32 s41, s35, s41
	s_waitcnt lgkmcnt(0)
	global_store_dwordx2 v11, v[2:3], s[40:41] sc1
.LBB626_78:
	s_or_b64 exec, exec, s[38:39]
	v_xad_u32 v4, v55, -1, s2
	v_add_u32_e32 v10, 64, v4
	v_lshl_add_u64 v[6:7], v[10:11], 3, s[34:35]
	global_load_dwordx2 v[8:9], v[6:7], off sc1
	s_waitcnt vmcnt(0)
	v_cmp_eq_u16_sdwa s[40:41], v9, v11 src0_sel:BYTE_0 src1_sel:DWORD
	s_and_saveexec_b64 s[38:39], s[40:41]
	s_cbranch_execz .LBB626_84
; %bb.79:
	s_mov_b32 s3, 1
	s_mov_b64 s[40:41], 0
	v_mov_b32_e32 v3, 0
.LBB626_80:                             ; =>This Loop Header: Depth=1
                                        ;     Child Loop BB626_81 Depth 2
	s_max_u32 s42, s3, 1
.LBB626_81:                             ;   Parent Loop BB626_80 Depth=1
                                        ; =>  This Inner Loop Header: Depth=2
	s_add_i32 s42, s42, -1
	s_cmp_eq_u32 s42, 0
	s_sleep 1
	s_cbranch_scc0 .LBB626_81
; %bb.82:                               ;   in Loop: Header=BB626_80 Depth=1
	global_load_dwordx2 v[8:9], v[6:7], off sc1
	s_cmp_lt_u32 s3, 32
	s_cselect_b64 s[42:43], -1, 0
	s_cmp_lg_u64 s[42:43], 0
	s_addc_u32 s3, s3, 0
	s_waitcnt vmcnt(0)
	v_cmp_ne_u16_sdwa s[42:43], v9, v3 src0_sel:BYTE_0 src1_sel:DWORD
	s_or_b64 s[40:41], s[42:43], s[40:41]
	s_andn2_b64 exec, exec, s[40:41]
	s_cbranch_execnz .LBB626_80
; %bb.83:
	s_or_b64 exec, exec, s[40:41]
.LBB626_84:
	s_or_b64 exec, exec, s[38:39]
	v_and_b32_e32 v15, 63, v55
	v_mov_b32_e32 v14, 2
	v_cmp_ne_u32_e32 vcc, 63, v15
	v_cmp_eq_u16_sdwa s[38:39], v9, v14 src0_sel:BYTE_0 src1_sel:DWORD
	v_lshlrev_b64 v[6:7], v55, -1
	v_addc_co_u32_e32 v10, vcc, 0, v55, vcc
	v_and_b32_e32 v3, s39, v7
	v_lshlrev_b32_e32 v16, 2, v10
	v_or_b32_e32 v3, 0x80000000, v3
	ds_bpermute_b32 v10, v16, v8
	v_and_b32_e32 v5, s38, v6
	v_ffbl_b32_e32 v3, v3
	v_add_u32_e32 v3, 32, v3
	v_ffbl_b32_e32 v5, v5
	v_min_u32_e32 v3, v5, v3
	v_cmp_lt_u32_e32 vcc, v15, v3
	v_add_u32_e32 v38, 2, v15
	v_add_u32_e32 v40, 4, v15
	s_waitcnt lgkmcnt(0)
	v_cndmask_b32_e32 v5, 0, v10, vcc
	v_cmp_gt_u32_e32 vcc, 62, v15
	v_add_u32_e32 v5, v5, v8
	v_add_u32_e32 v59, 8, v15
	v_cndmask_b32_e64 v8, 0, 1, vcc
	v_lshlrev_b32_e32 v8, 1, v8
	v_add_lshl_u32 v17, v8, v55, 2
	ds_bpermute_b32 v8, v17, v5
	v_cmp_le_u32_e32 vcc, v38, v3
	v_add_u32_e32 v61, 16, v15
	v_add_u32_e32 v63, 32, v15
	s_waitcnt lgkmcnt(0)
	v_cndmask_b32_e32 v8, 0, v8, vcc
	v_cmp_gt_u32_e32 vcc, 60, v15
	v_add_u32_e32 v5, v5, v8
	s_nop 0
	v_cndmask_b32_e64 v8, 0, 1, vcc
	v_lshlrev_b32_e32 v8, 2, v8
	v_add_lshl_u32 v39, v8, v55, 2
	ds_bpermute_b32 v8, v39, v5
	v_cmp_le_u32_e32 vcc, v40, v3
	s_waitcnt lgkmcnt(0)
	s_nop 0
	v_cndmask_b32_e32 v8, 0, v8, vcc
	v_cmp_gt_u32_e32 vcc, 56, v15
	v_add_u32_e32 v5, v5, v8
	s_nop 0
	v_cndmask_b32_e64 v8, 0, 1, vcc
	v_lshlrev_b32_e32 v8, 3, v8
	v_add_lshl_u32 v58, v8, v55, 2
	ds_bpermute_b32 v8, v58, v5
	v_cmp_le_u32_e32 vcc, v59, v3
	s_waitcnt lgkmcnt(0)
	s_nop 0
	;; [unrolled: 11-line block ×4, first 2 shown]
	v_cndmask_b32_e32 v3, 0, v8, vcc
	v_add_u32_e32 v8, v5, v3
	v_mov_b32_e32 v5, 0
	s_branch .LBB626_86
.LBB626_85:                             ;   in Loop: Header=BB626_86 Depth=1
	s_or_b64 exec, exec, s[38:39]
	v_cmp_eq_u16_sdwa s[38:39], v9, v14 src0_sel:BYTE_0 src1_sel:DWORD
	ds_bpermute_b32 v64, v16, v8
	v_subrev_u32_e32 v4, 64, v4
	v_and_b32_e32 v10, s39, v7
	v_or_b32_e32 v10, 0x80000000, v10
	v_and_b32_e32 v11, s38, v6
	v_ffbl_b32_e32 v10, v10
	v_add_u32_e32 v10, 32, v10
	v_ffbl_b32_e32 v11, v11
	v_min_u32_e32 v10, v11, v10
	v_cmp_lt_u32_e32 vcc, v15, v10
	s_waitcnt lgkmcnt(0)
	s_nop 0
	v_cndmask_b32_e32 v11, 0, v64, vcc
	v_add_u32_e32 v8, v11, v8
	ds_bpermute_b32 v11, v17, v8
	v_cmp_le_u32_e32 vcc, v38, v10
	s_waitcnt lgkmcnt(0)
	s_nop 0
	v_cndmask_b32_e32 v11, 0, v11, vcc
	v_add_u32_e32 v8, v8, v11
	ds_bpermute_b32 v11, v39, v8
	v_cmp_le_u32_e32 vcc, v40, v10
	;; [unrolled: 6-line block ×5, first 2 shown]
	s_waitcnt lgkmcnt(0)
	s_nop 0
	v_cndmask_b32_e32 v10, 0, v11, vcc
	v_add3_u32 v8, v10, v3, v8
.LBB626_86:                             ; =>This Loop Header: Depth=1
                                        ;     Child Loop BB626_89 Depth 2
                                        ;       Child Loop BB626_90 Depth 3
	v_cmp_ne_u16_sdwa s[38:39], v9, v14 src0_sel:BYTE_0 src1_sel:DWORD
	s_nop 1
	v_cndmask_b32_e64 v3, 0, 1, s[38:39]
	;;#ASMSTART
	;;#ASMEND
	s_nop 0
	v_cmp_ne_u32_e32 vcc, 0, v3
	s_cmp_lg_u64 vcc, exec
	v_mov_b32_e32 v3, v8
	s_cbranch_scc1 .LBB626_93
; %bb.87:                               ;   in Loop: Header=BB626_86 Depth=1
	v_lshl_add_u64 v[10:11], v[4:5], 3, s[34:35]
	global_load_dwordx2 v[8:9], v[10:11], off sc1
	s_waitcnt vmcnt(0)
	v_cmp_eq_u16_sdwa s[40:41], v9, v5 src0_sel:BYTE_0 src1_sel:DWORD
	s_and_saveexec_b64 s[38:39], s[40:41]
	s_cbranch_execz .LBB626_85
; %bb.88:                               ;   in Loop: Header=BB626_86 Depth=1
	s_mov_b32 s3, 1
	s_mov_b64 s[40:41], 0
.LBB626_89:                             ;   Parent Loop BB626_86 Depth=1
                                        ; =>  This Loop Header: Depth=2
                                        ;       Child Loop BB626_90 Depth 3
	s_max_u32 s42, s3, 1
.LBB626_90:                             ;   Parent Loop BB626_86 Depth=1
                                        ;     Parent Loop BB626_89 Depth=2
                                        ; =>    This Inner Loop Header: Depth=3
	s_add_i32 s42, s42, -1
	s_cmp_eq_u32 s42, 0
	s_sleep 1
	s_cbranch_scc0 .LBB626_90
; %bb.91:                               ;   in Loop: Header=BB626_89 Depth=2
	global_load_dwordx2 v[8:9], v[10:11], off sc1
	s_cmp_lt_u32 s3, 32
	s_cselect_b64 s[42:43], -1, 0
	s_cmp_lg_u64 s[42:43], 0
	s_addc_u32 s3, s3, 0
	s_waitcnt vmcnt(0)
	v_cmp_ne_u16_sdwa s[42:43], v9, v5 src0_sel:BYTE_0 src1_sel:DWORD
	s_or_b64 s[40:41], s[42:43], s[40:41]
	s_andn2_b64 exec, exec, s[40:41]
	s_cbranch_execnz .LBB626_89
; %bb.92:                               ;   in Loop: Header=BB626_86 Depth=1
	s_or_b64 exec, exec, s[40:41]
	s_branch .LBB626_85
.LBB626_93:                             ;   in Loop: Header=BB626_86 Depth=1
                                        ; implicit-def: $vgpr8
                                        ; implicit-def: $vgpr9
	s_cbranch_execz .LBB626_86
; %bb.94:
	s_and_saveexec_b64 s[38:39], s[16:17]
	s_cbranch_execz .LBB626_96
; %bb.95:
	s_add_i32 s2, s2, 64
	s_mov_b32 s3, 0
	s_lshl_b64 s[2:3], s[2:3], 3
	s_add_u32 s2, s34, s2
	v_add_u32_e32 v4, v3, v2
	v_mov_b32_e32 v5, 2
	s_addc_u32 s3, s35, s3
	v_mov_b32_e32 v6, 0
	global_store_dwordx2 v6, v[4:5], s[2:3] sc1
	ds_write_b64 v6, v[2:3] offset:30720
.LBB626_96:
	s_or_b64 exec, exec, s[38:39]
	v_cmp_eq_u32_e32 vcc, 0, v0
	s_and_b64 exec, exec, vcc
	s_cbranch_execz .LBB626_98
; %bb.97:
	v_mov_b32_e32 v2, 0
	ds_write_b32 v2, v3 offset:28
.LBB626_98:
	s_or_b64 exec, exec, s[36:37]
	v_mov_b32_e32 v14, 0
	s_waitcnt lgkmcnt(0)
	s_barrier
	ds_read_b32 v2, v14 offset:28
	v_cndmask_b32_e64 v3, v13, v12, s[16:17]
	v_cmp_ne_u32_e32 vcc, 0, v0
	s_waitcnt lgkmcnt(0)
	s_barrier
	v_cndmask_b32_e32 v3, 0, v3, vcc
	v_add_u32_e32 v2, v2, v3
	v_add_u32_e32 v3, v2, v52
	;; [unrolled: 1-line block ×10, first 2 shown]
	ds_read_b64 v[38:39], v14 offset:30720
	v_add_u32_e32 v12, v11, v47
	v_add_u32_e32 v13, v12, v48
	;; [unrolled: 1-line block ×5, first 2 shown]
	s_waitcnt lgkmcnt(0)
	v_mov_b32_e32 v40, v39
	s_branch .LBB626_109
.LBB626_99:
                                        ; implicit-def: $vgpr40
                                        ; implicit-def: $vgpr38
                                        ; implicit-def: $vgpr2_vgpr3_vgpr4_vgpr5_vgpr6_vgpr7_vgpr8_vgpr9_vgpr10_vgpr11_vgpr12_vgpr13_vgpr14_vgpr15_vgpr16_vgpr17
	s_cbranch_execz .LBB626_109
; %bb.100:
	s_nop 0
	v_mov_b32_dpp v2, v57 row_shr:1 row_mask:0xf bank_mask:0xf
	v_cndmask_b32_e64 v2, v2, 0, s[14:15]
	v_add_u32_e32 v2, v2, v57
	s_nop 1
	v_mov_b32_dpp v3, v2 row_shr:2 row_mask:0xf bank_mask:0xf
	v_cndmask_b32_e64 v3, 0, v3, s[12:13]
	v_add_u32_e32 v2, v2, v3
	;; [unrolled: 4-line block ×4, first 2 shown]
	s_nop 1
	v_mov_b32_dpp v3, v2 row_bcast:15 row_mask:0xf bank_mask:0xf
	v_cndmask_b32_e64 v3, v3, 0, s[6:7]
	v_add_u32_e32 v2, v2, v3
	s_nop 1
	v_mov_b32_dpp v3, v2 row_bcast:31 row_mask:0xf bank_mask:0xf
	v_cndmask_b32_e64 v3, 0, v3, s[18:19]
	v_add_u32_e32 v2, v2, v3
	s_and_saveexec_b64 s[2:3], s[4:5]
	s_cbranch_execz .LBB626_102
; %bb.101:
	v_lshlrev_b32_e32 v3, 2, v56
	ds_write_b32 v3, v2
.LBB626_102:
	s_or_b64 exec, exec, s[2:3]
	v_cmp_gt_u32_e32 vcc, 8, v0
	s_waitcnt lgkmcnt(0)
	s_barrier
	s_and_saveexec_b64 s[2:3], vcc
	s_cbranch_execz .LBB626_104
; %bb.103:
	v_mad_i32_i24 v3, v0, -11, v21
	ds_read_b32 v4, v3
	v_and_b32_e32 v5, 7, v55
	v_cmp_ne_u32_e32 vcc, 0, v5
	s_waitcnt lgkmcnt(0)
	v_mov_b32_dpp v6, v4 row_shr:1 row_mask:0xf bank_mask:0xf
	v_cndmask_b32_e32 v6, 0, v6, vcc
	v_add_u32_e32 v4, v6, v4
	v_cmp_lt_u32_e32 vcc, 1, v5
	s_nop 0
	v_mov_b32_dpp v6, v4 row_shr:2 row_mask:0xf bank_mask:0xf
	v_cndmask_b32_e32 v6, 0, v6, vcc
	v_add_u32_e32 v4, v4, v6
	v_cmp_lt_u32_e32 vcc, 3, v5
	s_nop 0
	v_mov_b32_dpp v6, v4 row_shr:4 row_mask:0xf bank_mask:0xf
	v_cndmask_b32_e32 v5, 0, v6, vcc
	v_add_u32_e32 v4, v4, v5
	ds_write_b32 v3, v4
.LBB626_104:
	s_or_b64 exec, exec, s[2:3]
	v_cmp_lt_u32_e32 vcc, 63, v0
	v_mov_b32_e32 v4, 0
	v_mov_b32_e32 v3, 0
	s_waitcnt lgkmcnt(0)
	s_barrier
	s_and_saveexec_b64 s[2:3], vcc
	s_cbranch_execz .LBB626_106
; %bb.105:
	v_lshl_add_u32 v3, v56, 2, -4
	ds_read_b32 v3, v3
.LBB626_106:
	s_or_b64 exec, exec, s[2:3]
	v_add_u32_e32 v5, -1, v55
	v_and_b32_e32 v6, 64, v55
	v_cmp_lt_i32_e32 vcc, v5, v6
	s_waitcnt lgkmcnt(0)
	v_add_u32_e32 v2, v3, v2
	ds_read_b32 v38, v4 offset:28
	v_cndmask_b32_e32 v5, v5, v55, vcc
	v_lshlrev_b32_e32 v5, 2, v5
	ds_bpermute_b32 v2, v5, v2
	v_cmp_eq_u32_e32 vcc, 0, v0
	s_and_saveexec_b64 s[2:3], vcc
	s_cbranch_execz .LBB626_108
; %bb.107:
	v_mov_b32_e32 v4, 0
	v_mov_b32_e32 v39, 2
	s_waitcnt lgkmcnt(1)
	global_store_dwordx2 v4, v[38:39], s[34:35] offset:512 sc1
.LBB626_108:
	s_or_b64 exec, exec, s[2:3]
	v_cmp_eq_u32_e64 s[2:3], 0, v55
	v_mov_b32_e32 v40, 0
	s_waitcnt lgkmcnt(0)
	v_cndmask_b32_e64 v2, v2, v3, s[2:3]
	v_cndmask_b32_e64 v2, v2, 0, vcc
	v_add_u32_e32 v3, v2, v52
	v_add_u32_e32 v4, v3, v53
	;; [unrolled: 1-line block ×14, first 2 shown]
	s_barrier
.LBB626_109:
	v_add_u32_e32 v21, v38, v21
	v_sub_u32_e32 v2, v2, v40
	v_and_b32_e32 v48, 1, v18
	v_sub_u32_e32 v47, v21, v2
	v_cmp_eq_u32_e32 vcc, 1, v48
	v_lshrrev_b32_e32 v46, 8, v18
	v_lshrrev_b32_e32 v39, 8, v19
	v_cndmask_b32_e32 v2, v47, v2, vcc
	v_lshlrev_b32_e32 v2, 2, v2
	ds_write_b32 v2, v36
	v_sub_u32_e32 v2, v3, v40
	v_sub_u32_e32 v3, v21, v2
	v_and_b32_e32 v36, 1, v46
	v_add_u32_e32 v3, 1, v3
	v_cmp_eq_u32_e32 vcc, 1, v36
	v_lshrrev_b32_e32 v17, 8, v20
	s_load_dwordx4 s[0:3], s[0:1], 0x30
	v_cndmask_b32_e32 v2, v3, v2, vcc
	v_lshlrev_b32_e32 v2, 2, v2
	ds_write_b32 v2, v37
	v_sub_u32_e32 v2, v4, v40
	v_mov_b32_e32 v4, 1
	v_sub_u32_e32 v3, v21, v2
	v_and_b32_sdwa v18, v4, v18 dst_sel:DWORD dst_unused:UNUSED_PAD src0_sel:DWORD src1_sel:WORD_1
	v_add_u32_e32 v3, 2, v3
	v_cmp_eq_u32_e32 vcc, 1, v18
	v_or_b32_e32 v37, 0x200, v0
	v_or_b32_e32 v36, 0x400, v0
	v_cndmask_b32_e32 v2, v3, v2, vcc
	v_lshlrev_b32_e32 v2, 2, v2
	ds_write_b32 v2, v34
	v_sub_u32_e32 v2, v5, v40
	v_sub_u32_e32 v3, v21, v2
	v_and_b32_e32 v5, 1, v45
	v_add_u32_e32 v3, 3, v3
	v_cmp_eq_u32_e32 vcc, 1, v5
	v_and_b32_e32 v5, 1, v19
	v_or_b32_e32 v34, 0x800, v0
	v_cndmask_b32_e32 v2, v3, v2, vcc
	v_lshlrev_b32_e32 v2, 2, v2
	ds_write_b32 v2, v35
	v_sub_u32_e32 v2, v6, v40
	v_sub_u32_e32 v3, v21, v2
	v_add_u32_e32 v3, 4, v3
	v_cmp_eq_u32_e32 vcc, 1, v5
	v_and_b32_e32 v5, 1, v39
	v_or_b32_e32 v35, 0x600, v0
	v_cndmask_b32_e32 v2, v3, v2, vcc
	v_lshlrev_b32_e32 v2, 2, v2
	ds_write_b32 v2, v32
	v_sub_u32_e32 v2, v7, v40
	v_sub_u32_e32 v3, v21, v2
	v_add_u32_e32 v3, 5, v3
	v_cmp_eq_u32_e32 vcc, 1, v5
	v_and_b32_sdwa v5, v4, v19 dst_sel:DWORD dst_unused:UNUSED_PAD src0_sel:DWORD src1_sel:WORD_1
	v_and_b32_sdwa v4, v4, v20 dst_sel:DWORD dst_unused:UNUSED_PAD src0_sel:DWORD src1_sel:WORD_1
	v_cndmask_b32_e32 v2, v3, v2, vcc
	v_lshlrev_b32_e32 v2, 2, v2
	ds_write_b32 v2, v33
	v_sub_u32_e32 v2, v8, v40
	v_sub_u32_e32 v3, v21, v2
	v_add_u32_e32 v3, 6, v3
	v_cmp_eq_u32_e32 vcc, 1, v5
	v_and_b32_e32 v5, 1, v44
	v_mov_b32_e32 v7, s27
	v_cndmask_b32_e32 v2, v3, v2, vcc
	v_lshlrev_b32_e32 v2, 2, v2
	ds_write_b32 v2, v30
	v_sub_u32_e32 v2, v9, v40
	v_sub_u32_e32 v3, v21, v2
	v_add_u32_e32 v3, 7, v3
	v_cmp_eq_u32_e32 vcc, 1, v5
	v_and_b32_e32 v5, 1, v20
	v_or_b32_e32 v33, 0xa00, v0
	v_cndmask_b32_e32 v2, v3, v2, vcc
	v_lshlrev_b32_e32 v2, 2, v2
	ds_write_b32 v2, v31
	v_sub_u32_e32 v2, v10, v40
	v_sub_u32_e32 v3, v21, v2
	v_add_u32_e32 v3, 8, v3
	v_cmp_eq_u32_e32 vcc, 1, v5
	v_and_b32_e32 v5, 1, v17
	v_or_b32_e32 v32, 0xc00, v0
	v_cndmask_b32_e32 v2, v3, v2, vcc
	v_lshlrev_b32_e32 v2, 2, v2
	ds_write_b32 v2, v28
	v_sub_u32_e32 v2, v11, v40
	v_sub_u32_e32 v3, v21, v2
	v_add_u32_e32 v3, 9, v3
	v_cmp_eq_u32_e32 vcc, 1, v5
	v_or_b32_e32 v31, 0xe00, v0
	v_or_b32_e32 v30, 0x1000, v0
	v_cndmask_b32_e32 v2, v3, v2, vcc
	v_lshlrev_b32_e32 v2, 2, v2
	ds_write_b32 v2, v29
	v_sub_u32_e32 v2, v12, v40
	v_sub_u32_e32 v3, v21, v2
	v_add_u32_e32 v3, 10, v3
	v_cmp_eq_u32_e32 vcc, 1, v4
	v_and_b32_e32 v4, 1, v42
	v_or_b32_e32 v29, 0x1200, v0
	v_cndmask_b32_e32 v2, v3, v2, vcc
	v_lshlrev_b32_e32 v2, 2, v2
	ds_write_b32 v2, v26
	v_sub_u32_e32 v2, v13, v40
	v_sub_u32_e32 v3, v21, v2
	v_add_u32_e32 v3, 11, v3
	v_cmp_eq_u32_e32 vcc, 1, v4
	v_or_b32_e32 v28, 0x1400, v0
	v_or_b32_e32 v26, 0x1800, v0
	v_cndmask_b32_e32 v2, v3, v2, vcc
	v_lshlrev_b32_e32 v2, 2, v2
	ds_write_b32 v2, v27
	v_sub_u32_e32 v2, v14, v40
	v_sub_u32_e32 v3, v21, v2
	v_add_u32_e32 v3, 12, v3
	v_cmp_eq_u32_e32 vcc, 1, v43
	v_or_b32_e32 v27, 0x1600, v0
	s_nop 0
	v_cndmask_b32_e32 v2, v3, v2, vcc
	v_lshlrev_b32_e32 v2, 2, v2
	ds_write_b32 v2, v24
	v_sub_u32_e32 v2, v15, v40
	v_sub_u32_e32 v3, v21, v2
	v_add_u32_e32 v3, 13, v3
	v_cmp_eq_u32_e32 vcc, 1, v41
	v_mov_b32_e32 v41, 0
	v_lshl_add_u64 v[8:9], s[28:29], 0, v[40:41]
	v_cndmask_b32_e32 v2, v3, v2, vcc
	v_lshlrev_b32_e32 v2, 2, v2
	ds_write_b32 v2, v25
	v_sub_u32_e32 v2, v16, v40
	v_sub_u32_e32 v3, v21, v2
	v_add_u32_e32 v3, 14, v3
	v_cmp_eq_u32_e32 vcc, 1, v23
	v_mov_b32_e32 v39, v41
	v_or_b32_e32 v25, 0x1a00, v0
	v_cndmask_b32_e32 v2, v3, v2, vcc
	v_lshlrev_b32_e32 v2, 2, v2
	ds_write_b32 v2, v1
	v_lshl_add_u64 v[2:3], v[8:9], 0, v[38:39]
	s_waitcnt lgkmcnt(0)
	s_barrier
	ds_read2st64_b32 v[20:21], v22 offset1:8
	ds_read2st64_b32 v[18:19], v22 offset0:16 offset1:24
	ds_read2st64_b32 v[16:17], v22 offset0:32 offset1:40
	;; [unrolled: 1-line block ×6, first 2 shown]
	ds_read_b32 v1, v22 offset:28672
	v_sub_co_u32_e32 v6, vcc, s26, v2
	v_lshlrev_b64 v[8:9], 2, v[8:9]
	s_nop 0
	v_subb_co_u32_e32 v7, vcc, v7, v3, vcc
	v_lshlrev_b64 v[6:7], 2, v[6:7]
	v_lshl_add_u64 v[6:7], s[2:3], 0, v[6:7]
	v_or_b32_e32 v24, 0x1c00, v0
	v_lshl_add_u64 v[6:7], v[6:7], 0, s[30:31]
	s_andn2_b64 vcc, exec, s[24:25]
	v_lshl_add_u64 v[8:9], s[0:1], 0, v[8:9]
	s_cbranch_vccnz .LBB626_111
; %bb.110:
	v_cmp_gt_u32_e32 vcc, v38, v0
	v_mov_b32_e32 v23, v41
	v_lshlrev_b32_e32 v40, 2, v36
	v_cndmask_b32_e32 v43, v7, v9, vcc
	v_cndmask_b32_e32 v42, v6, v8, vcc
	v_lshl_add_u64 v[42:43], v[42:43], 0, v[22:23]
	v_cmp_lt_u32_e32 vcc, v37, v38
	s_waitcnt lgkmcnt(7)
	global_store_dword v[42:43], v20, off
	v_cndmask_b32_e32 v43, v7, v9, vcc
	v_cndmask_b32_e32 v42, v6, v8, vcc
	v_lshl_add_u64 v[42:43], v[42:43], 0, v[22:23]
	v_cmp_lt_u32_e32 vcc, v36, v38
	global_store_dword v[42:43], v21, off offset:2048
	s_mov_b64 s[0:1], -1
	v_cndmask_b32_e32 v43, v7, v9, vcc
	v_cndmask_b32_e32 v42, v6, v8, vcc
	v_lshl_add_u64 v[42:43], v[42:43], 0, v[40:41]
	v_cmp_lt_u32_e32 vcc, v35, v38
	s_waitcnt lgkmcnt(6)
	global_store_dword v[42:43], v18, off
	v_lshlrev_b32_e32 v40, 2, v35
	v_cndmask_b32_e32 v43, v7, v9, vcc
	v_cndmask_b32_e32 v42, v6, v8, vcc
	v_lshl_add_u64 v[42:43], v[42:43], 0, v[40:41]
	v_cmp_lt_u32_e32 vcc, v34, v38
	global_store_dword v[42:43], v19, off
	v_lshlrev_b32_e32 v40, 2, v34
	v_cndmask_b32_e32 v43, v7, v9, vcc
	v_cndmask_b32_e32 v42, v6, v8, vcc
	v_lshl_add_u64 v[42:43], v[42:43], 0, v[40:41]
	v_cmp_lt_u32_e32 vcc, v33, v38
	s_waitcnt lgkmcnt(5)
	global_store_dword v[42:43], v16, off
	v_lshlrev_b32_e32 v40, 2, v33
	v_cndmask_b32_e32 v43, v7, v9, vcc
	v_cndmask_b32_e32 v42, v6, v8, vcc
	v_lshl_add_u64 v[42:43], v[42:43], 0, v[40:41]
	v_cmp_lt_u32_e32 vcc, v32, v38
	global_store_dword v[42:43], v17, off
	v_lshlrev_b32_e32 v40, 2, v32
	;; [unrolled: 13-line block ×5, first 2 shown]
	v_cndmask_b32_e32 v43, v7, v9, vcc
	v_cndmask_b32_e32 v42, v6, v8, vcc
	v_lshl_add_u64 v[42:43], v[42:43], 0, v[40:41]
	v_cmp_lt_u32_e32 vcc, v25, v38
	s_waitcnt lgkmcnt(1)
	global_store_dword v[42:43], v4, off
	v_lshlrev_b32_e32 v40, 2, v25
	v_cndmask_b32_e32 v43, v7, v9, vcc
	v_cndmask_b32_e32 v42, v6, v8, vcc
	v_lshl_add_u64 v[40:41], v[42:43], 0, v[40:41]
	global_store_dword v[40:41], v5, off
	s_cbranch_execz .LBB626_112
	s_branch .LBB626_128
.LBB626_111:
	s_mov_b64 s[0:1], 0
.LBB626_112:
	v_cmp_gt_u32_e32 vcc, s33, v0
	s_and_saveexec_b64 s[0:1], vcc
	s_cbranch_execnz .LBB626_133
; %bb.113:
	s_or_b64 exec, exec, s[0:1]
	v_cmp_gt_u32_e32 vcc, s33, v37
	s_and_saveexec_b64 s[0:1], vcc
	s_cbranch_execnz .LBB626_134
.LBB626_114:
	s_or_b64 exec, exec, s[0:1]
	v_cmp_gt_u32_e32 vcc, s33, v36
	s_and_saveexec_b64 s[0:1], vcc
	s_cbranch_execnz .LBB626_135
.LBB626_115:
	s_or_b64 exec, exec, s[0:1]
	v_cmp_gt_u32_e32 vcc, s33, v35
	s_and_saveexec_b64 s[0:1], vcc
	s_cbranch_execnz .LBB626_136
.LBB626_116:
	s_or_b64 exec, exec, s[0:1]
	v_cmp_gt_u32_e32 vcc, s33, v34
	s_and_saveexec_b64 s[0:1], vcc
	s_cbranch_execnz .LBB626_137
.LBB626_117:
	s_or_b64 exec, exec, s[0:1]
	v_cmp_gt_u32_e32 vcc, s33, v33
	s_and_saveexec_b64 s[0:1], vcc
	s_cbranch_execnz .LBB626_138
.LBB626_118:
	s_or_b64 exec, exec, s[0:1]
	v_cmp_gt_u32_e32 vcc, s33, v32
	s_and_saveexec_b64 s[0:1], vcc
	s_cbranch_execnz .LBB626_139
.LBB626_119:
	s_or_b64 exec, exec, s[0:1]
	v_cmp_gt_u32_e32 vcc, s33, v31
	s_and_saveexec_b64 s[0:1], vcc
	s_cbranch_execnz .LBB626_140
.LBB626_120:
	s_or_b64 exec, exec, s[0:1]
	v_cmp_gt_u32_e32 vcc, s33, v30
	s_and_saveexec_b64 s[0:1], vcc
	s_cbranch_execnz .LBB626_141
.LBB626_121:
	s_or_b64 exec, exec, s[0:1]
	v_cmp_gt_u32_e32 vcc, s33, v29
	s_and_saveexec_b64 s[0:1], vcc
	s_cbranch_execnz .LBB626_142
.LBB626_122:
	s_or_b64 exec, exec, s[0:1]
	v_cmp_gt_u32_e32 vcc, s33, v28
	s_and_saveexec_b64 s[0:1], vcc
	s_cbranch_execnz .LBB626_143
.LBB626_123:
	s_or_b64 exec, exec, s[0:1]
	v_cmp_gt_u32_e32 vcc, s33, v27
	s_and_saveexec_b64 s[0:1], vcc
	s_cbranch_execnz .LBB626_144
.LBB626_124:
	s_or_b64 exec, exec, s[0:1]
	v_cmp_gt_u32_e32 vcc, s33, v26
	s_and_saveexec_b64 s[0:1], vcc
	s_cbranch_execnz .LBB626_145
.LBB626_125:
	s_or_b64 exec, exec, s[0:1]
	v_cmp_gt_u32_e32 vcc, s33, v25
	s_and_saveexec_b64 s[0:1], vcc
	s_cbranch_execz .LBB626_127
.LBB626_126:
	v_cmp_lt_u32_e32 vcc, v25, v38
	s_waitcnt lgkmcnt(3)
	v_lshlrev_b32_e32 v12, 2, v25
	v_mov_b32_e32 v13, 0
	s_waitcnt lgkmcnt(2)
	v_cndmask_b32_e32 v11, v7, v9, vcc
	v_cndmask_b32_e32 v10, v6, v8, vcc
	v_lshl_add_u64 v[10:11], v[10:11], 0, v[12:13]
	s_waitcnt lgkmcnt(1)
	global_store_dword v[10:11], v5, off
.LBB626_127:
	s_or_b64 exec, exec, s[0:1]
	v_cmp_gt_u32_e64 s[0:1], s33, v24
.LBB626_128:
	s_and_saveexec_b64 s[2:3], s[0:1]
	s_cbranch_execz .LBB626_130
; %bb.129:
	v_cmp_lt_u32_e32 vcc, v24, v38
	s_waitcnt lgkmcnt(1)
	s_nop 0
	v_cndmask_b32_e32 v5, v7, v9, vcc
	v_cndmask_b32_e32 v4, v6, v8, vcc
	v_lshlrev_b32_e32 v6, 2, v24
	v_mov_b32_e32 v7, 0
	v_lshl_add_u64 v[4:5], v[4:5], 0, v[6:7]
	s_waitcnt lgkmcnt(0)
	global_store_dword v[4:5], v1, off
.LBB626_130:
	s_or_b64 exec, exec, s[2:3]
	v_cmp_eq_u32_e32 vcc, 0, v0
	s_and_b64 s[0:1], vcc, s[22:23]
	s_and_saveexec_b64 s[2:3], s[0:1]
	s_cbranch_execz .LBB626_132
; %bb.131:
	v_mov_b32_e32 v0, 0
	global_store_dwordx2 v0, v[2:3], s[20:21]
.LBB626_132:
	s_endpgm
.LBB626_133:
	v_cmp_gt_u32_e32 vcc, v38, v0
	v_mov_b32_e32 v23, 0
	s_nop 0
	v_cndmask_b32_e32 v41, v7, v9, vcc
	v_cndmask_b32_e32 v40, v6, v8, vcc
	v_lshl_add_u64 v[40:41], v[40:41], 0, v[22:23]
	s_waitcnt lgkmcnt(7)
	global_store_dword v[40:41], v20, off
	s_or_b64 exec, exec, s[0:1]
	v_cmp_gt_u32_e32 vcc, s33, v37
	s_and_saveexec_b64 s[0:1], vcc
	s_cbranch_execz .LBB626_114
.LBB626_134:
	v_cmp_lt_u32_e32 vcc, v37, v38
	v_mov_b32_e32 v23, 0
	s_nop 0
	v_cndmask_b32_e32 v41, v7, v9, vcc
	v_cndmask_b32_e32 v40, v6, v8, vcc
	v_lshl_add_u64 v[22:23], v[40:41], 0, v[22:23]
	s_waitcnt lgkmcnt(7)
	global_store_dword v[22:23], v21, off offset:2048
	s_or_b64 exec, exec, s[0:1]
	v_cmp_gt_u32_e32 vcc, s33, v36
	s_and_saveexec_b64 s[0:1], vcc
	s_cbranch_execz .LBB626_115
.LBB626_135:
	v_cmp_lt_u32_e32 vcc, v36, v38
	v_lshlrev_b32_e32 v22, 2, v36
	v_mov_b32_e32 v23, 0
	s_waitcnt lgkmcnt(7)
	v_cndmask_b32_e32 v21, v7, v9, vcc
	v_cndmask_b32_e32 v20, v6, v8, vcc
	v_lshl_add_u64 v[20:21], v[20:21], 0, v[22:23]
	s_waitcnt lgkmcnt(6)
	global_store_dword v[20:21], v18, off
	s_or_b64 exec, exec, s[0:1]
	v_cmp_gt_u32_e32 vcc, s33, v35
	s_and_saveexec_b64 s[0:1], vcc
	s_cbranch_execz .LBB626_116
.LBB626_136:
	v_cmp_lt_u32_e32 vcc, v35, v38
	v_lshlrev_b32_e32 v22, 2, v35
	v_mov_b32_e32 v23, 0
	s_waitcnt lgkmcnt(7)
	v_cndmask_b32_e32 v21, v7, v9, vcc
	v_cndmask_b32_e32 v20, v6, v8, vcc
	v_lshl_add_u64 v[20:21], v[20:21], 0, v[22:23]
	s_waitcnt lgkmcnt(6)
	global_store_dword v[20:21], v19, off
	s_or_b64 exec, exec, s[0:1]
	v_cmp_gt_u32_e32 vcc, s33, v34
	s_and_saveexec_b64 s[0:1], vcc
	s_cbranch_execz .LBB626_117
.LBB626_137:
	v_cmp_lt_u32_e32 vcc, v34, v38
	s_waitcnt lgkmcnt(7)
	v_lshlrev_b32_e32 v20, 2, v34
	v_mov_b32_e32 v21, 0
	s_waitcnt lgkmcnt(6)
	v_cndmask_b32_e32 v19, v7, v9, vcc
	v_cndmask_b32_e32 v18, v6, v8, vcc
	v_lshl_add_u64 v[18:19], v[18:19], 0, v[20:21]
	s_waitcnt lgkmcnt(5)
	global_store_dword v[18:19], v16, off
	s_or_b64 exec, exec, s[0:1]
	v_cmp_gt_u32_e32 vcc, s33, v33
	s_and_saveexec_b64 s[0:1], vcc
	s_cbranch_execz .LBB626_118
.LBB626_138:
	v_cmp_lt_u32_e32 vcc, v33, v38
	s_waitcnt lgkmcnt(7)
	v_lshlrev_b32_e32 v20, 2, v33
	v_mov_b32_e32 v21, 0
	s_waitcnt lgkmcnt(6)
	v_cndmask_b32_e32 v19, v7, v9, vcc
	v_cndmask_b32_e32 v18, v6, v8, vcc
	v_lshl_add_u64 v[18:19], v[18:19], 0, v[20:21]
	s_waitcnt lgkmcnt(5)
	global_store_dword v[18:19], v17, off
	s_or_b64 exec, exec, s[0:1]
	v_cmp_gt_u32_e32 vcc, s33, v32
	s_and_saveexec_b64 s[0:1], vcc
	s_cbranch_execz .LBB626_119
.LBB626_139:
	v_cmp_lt_u32_e32 vcc, v32, v38
	s_waitcnt lgkmcnt(6)
	v_lshlrev_b32_e32 v18, 2, v32
	v_mov_b32_e32 v19, 0
	s_waitcnt lgkmcnt(5)
	v_cndmask_b32_e32 v17, v7, v9, vcc
	v_cndmask_b32_e32 v16, v6, v8, vcc
	v_lshl_add_u64 v[16:17], v[16:17], 0, v[18:19]
	s_waitcnt lgkmcnt(4)
	global_store_dword v[16:17], v14, off
	s_or_b64 exec, exec, s[0:1]
	v_cmp_gt_u32_e32 vcc, s33, v31
	s_and_saveexec_b64 s[0:1], vcc
	s_cbranch_execz .LBB626_120
.LBB626_140:
	v_cmp_lt_u32_e32 vcc, v31, v38
	s_waitcnt lgkmcnt(6)
	v_lshlrev_b32_e32 v18, 2, v31
	v_mov_b32_e32 v19, 0
	s_waitcnt lgkmcnt(5)
	v_cndmask_b32_e32 v17, v7, v9, vcc
	v_cndmask_b32_e32 v16, v6, v8, vcc
	v_lshl_add_u64 v[16:17], v[16:17], 0, v[18:19]
	s_waitcnt lgkmcnt(4)
	global_store_dword v[16:17], v15, off
	s_or_b64 exec, exec, s[0:1]
	v_cmp_gt_u32_e32 vcc, s33, v30
	s_and_saveexec_b64 s[0:1], vcc
	s_cbranch_execz .LBB626_121
.LBB626_141:
	v_cmp_lt_u32_e32 vcc, v30, v38
	s_waitcnt lgkmcnt(5)
	v_lshlrev_b32_e32 v16, 2, v30
	v_mov_b32_e32 v17, 0
	s_waitcnt lgkmcnt(4)
	v_cndmask_b32_e32 v15, v7, v9, vcc
	v_cndmask_b32_e32 v14, v6, v8, vcc
	v_lshl_add_u64 v[14:15], v[14:15], 0, v[16:17]
	s_waitcnt lgkmcnt(3)
	global_store_dword v[14:15], v12, off
	s_or_b64 exec, exec, s[0:1]
	v_cmp_gt_u32_e32 vcc, s33, v29
	s_and_saveexec_b64 s[0:1], vcc
	s_cbranch_execz .LBB626_122
.LBB626_142:
	v_cmp_lt_u32_e32 vcc, v29, v38
	s_waitcnt lgkmcnt(5)
	v_lshlrev_b32_e32 v16, 2, v29
	v_mov_b32_e32 v17, 0
	s_waitcnt lgkmcnt(4)
	v_cndmask_b32_e32 v15, v7, v9, vcc
	v_cndmask_b32_e32 v14, v6, v8, vcc
	v_lshl_add_u64 v[14:15], v[14:15], 0, v[16:17]
	s_waitcnt lgkmcnt(3)
	global_store_dword v[14:15], v13, off
	s_or_b64 exec, exec, s[0:1]
	v_cmp_gt_u32_e32 vcc, s33, v28
	s_and_saveexec_b64 s[0:1], vcc
	s_cbranch_execz .LBB626_123
.LBB626_143:
	v_cmp_lt_u32_e32 vcc, v28, v38
	s_waitcnt lgkmcnt(4)
	v_lshlrev_b32_e32 v14, 2, v28
	v_mov_b32_e32 v15, 0
	s_waitcnt lgkmcnt(3)
	v_cndmask_b32_e32 v13, v7, v9, vcc
	v_cndmask_b32_e32 v12, v6, v8, vcc
	v_lshl_add_u64 v[12:13], v[12:13], 0, v[14:15]
	s_waitcnt lgkmcnt(2)
	global_store_dword v[12:13], v10, off
	s_or_b64 exec, exec, s[0:1]
	v_cmp_gt_u32_e32 vcc, s33, v27
	s_and_saveexec_b64 s[0:1], vcc
	s_cbranch_execz .LBB626_124
.LBB626_144:
	v_cmp_lt_u32_e32 vcc, v27, v38
	s_waitcnt lgkmcnt(4)
	v_lshlrev_b32_e32 v14, 2, v27
	v_mov_b32_e32 v15, 0
	s_waitcnt lgkmcnt(3)
	v_cndmask_b32_e32 v13, v7, v9, vcc
	v_cndmask_b32_e32 v12, v6, v8, vcc
	v_lshl_add_u64 v[12:13], v[12:13], 0, v[14:15]
	s_waitcnt lgkmcnt(2)
	global_store_dword v[12:13], v11, off
	s_or_b64 exec, exec, s[0:1]
	v_cmp_gt_u32_e32 vcc, s33, v26
	s_and_saveexec_b64 s[0:1], vcc
	s_cbranch_execz .LBB626_125
.LBB626_145:
	v_cmp_lt_u32_e32 vcc, v26, v38
	s_waitcnt lgkmcnt(3)
	v_lshlrev_b32_e32 v12, 2, v26
	v_mov_b32_e32 v13, 0
	s_waitcnt lgkmcnt(2)
	v_cndmask_b32_e32 v11, v7, v9, vcc
	v_cndmask_b32_e32 v10, v6, v8, vcc
	v_lshl_add_u64 v[10:11], v[10:11], 0, v[12:13]
	s_waitcnt lgkmcnt(1)
	global_store_dword v[10:11], v4, off
	s_or_b64 exec, exec, s[0:1]
	v_cmp_gt_u32_e32 vcc, s33, v25
	s_and_saveexec_b64 s[0:1], vcc
	s_cbranch_execnz .LBB626_126
	s_branch .LBB626_127
	.section	.rodata,"a",@progbits
	.p2align	6, 0x0
	.amdhsa_kernel _ZN7rocprim17ROCPRIM_400000_NS6detail17trampoline_kernelINS0_14default_configENS1_25partition_config_selectorILNS1_17partition_subalgoE1EiNS0_10empty_typeEbEEZZNS1_14partition_implILS5_1ELb0ES3_jN6thrust23THRUST_200600_302600_NS6detail15normal_iteratorINSA_10device_ptrIiEEEEPS6_NSA_18transform_iteratorINSA_8identityIiEESF_NSA_11use_defaultESK_EENS0_5tupleIJSF_SF_EEENSM_IJSG_SG_EEES6_PlJS6_EEE10hipError_tPvRmT3_T4_T5_T6_T7_T9_mT8_P12ihipStream_tbDpT10_ENKUlT_T0_E_clISt17integral_constantIbLb1EES18_IbLb0EEEEDaS14_S15_EUlS14_E_NS1_11comp_targetILNS1_3genE5ELNS1_11target_archE942ELNS1_3gpuE9ELNS1_3repE0EEENS1_30default_config_static_selectorELNS0_4arch9wavefront6targetE1EEEvT1_
		.amdhsa_group_segment_fixed_size 30728
		.amdhsa_private_segment_fixed_size 0
		.amdhsa_kernarg_size 128
		.amdhsa_user_sgpr_count 2
		.amdhsa_user_sgpr_dispatch_ptr 0
		.amdhsa_user_sgpr_queue_ptr 0
		.amdhsa_user_sgpr_kernarg_segment_ptr 1
		.amdhsa_user_sgpr_dispatch_id 0
		.amdhsa_user_sgpr_kernarg_preload_length 0
		.amdhsa_user_sgpr_kernarg_preload_offset 0
		.amdhsa_user_sgpr_private_segment_size 0
		.amdhsa_uses_dynamic_stack 0
		.amdhsa_enable_private_segment 0
		.amdhsa_system_sgpr_workgroup_id_x 1
		.amdhsa_system_sgpr_workgroup_id_y 0
		.amdhsa_system_sgpr_workgroup_id_z 0
		.amdhsa_system_sgpr_workgroup_info 0
		.amdhsa_system_vgpr_workitem_id 0
		.amdhsa_next_free_vgpr 65
		.amdhsa_next_free_sgpr 44
		.amdhsa_accum_offset 68
		.amdhsa_reserve_vcc 1
		.amdhsa_float_round_mode_32 0
		.amdhsa_float_round_mode_16_64 0
		.amdhsa_float_denorm_mode_32 3
		.amdhsa_float_denorm_mode_16_64 3
		.amdhsa_dx10_clamp 1
		.amdhsa_ieee_mode 1
		.amdhsa_fp16_overflow 0
		.amdhsa_tg_split 0
		.amdhsa_exception_fp_ieee_invalid_op 0
		.amdhsa_exception_fp_denorm_src 0
		.amdhsa_exception_fp_ieee_div_zero 0
		.amdhsa_exception_fp_ieee_overflow 0
		.amdhsa_exception_fp_ieee_underflow 0
		.amdhsa_exception_fp_ieee_inexact 0
		.amdhsa_exception_int_div_zero 0
	.end_amdhsa_kernel
	.section	.text._ZN7rocprim17ROCPRIM_400000_NS6detail17trampoline_kernelINS0_14default_configENS1_25partition_config_selectorILNS1_17partition_subalgoE1EiNS0_10empty_typeEbEEZZNS1_14partition_implILS5_1ELb0ES3_jN6thrust23THRUST_200600_302600_NS6detail15normal_iteratorINSA_10device_ptrIiEEEEPS6_NSA_18transform_iteratorINSA_8identityIiEESF_NSA_11use_defaultESK_EENS0_5tupleIJSF_SF_EEENSM_IJSG_SG_EEES6_PlJS6_EEE10hipError_tPvRmT3_T4_T5_T6_T7_T9_mT8_P12ihipStream_tbDpT10_ENKUlT_T0_E_clISt17integral_constantIbLb1EES18_IbLb0EEEEDaS14_S15_EUlS14_E_NS1_11comp_targetILNS1_3genE5ELNS1_11target_archE942ELNS1_3gpuE9ELNS1_3repE0EEENS1_30default_config_static_selectorELNS0_4arch9wavefront6targetE1EEEvT1_,"axG",@progbits,_ZN7rocprim17ROCPRIM_400000_NS6detail17trampoline_kernelINS0_14default_configENS1_25partition_config_selectorILNS1_17partition_subalgoE1EiNS0_10empty_typeEbEEZZNS1_14partition_implILS5_1ELb0ES3_jN6thrust23THRUST_200600_302600_NS6detail15normal_iteratorINSA_10device_ptrIiEEEEPS6_NSA_18transform_iteratorINSA_8identityIiEESF_NSA_11use_defaultESK_EENS0_5tupleIJSF_SF_EEENSM_IJSG_SG_EEES6_PlJS6_EEE10hipError_tPvRmT3_T4_T5_T6_T7_T9_mT8_P12ihipStream_tbDpT10_ENKUlT_T0_E_clISt17integral_constantIbLb1EES18_IbLb0EEEEDaS14_S15_EUlS14_E_NS1_11comp_targetILNS1_3genE5ELNS1_11target_archE942ELNS1_3gpuE9ELNS1_3repE0EEENS1_30default_config_static_selectorELNS0_4arch9wavefront6targetE1EEEvT1_,comdat
.Lfunc_end626:
	.size	_ZN7rocprim17ROCPRIM_400000_NS6detail17trampoline_kernelINS0_14default_configENS1_25partition_config_selectorILNS1_17partition_subalgoE1EiNS0_10empty_typeEbEEZZNS1_14partition_implILS5_1ELb0ES3_jN6thrust23THRUST_200600_302600_NS6detail15normal_iteratorINSA_10device_ptrIiEEEEPS6_NSA_18transform_iteratorINSA_8identityIiEESF_NSA_11use_defaultESK_EENS0_5tupleIJSF_SF_EEENSM_IJSG_SG_EEES6_PlJS6_EEE10hipError_tPvRmT3_T4_T5_T6_T7_T9_mT8_P12ihipStream_tbDpT10_ENKUlT_T0_E_clISt17integral_constantIbLb1EES18_IbLb0EEEEDaS14_S15_EUlS14_E_NS1_11comp_targetILNS1_3genE5ELNS1_11target_archE942ELNS1_3gpuE9ELNS1_3repE0EEENS1_30default_config_static_selectorELNS0_4arch9wavefront6targetE1EEEvT1_, .Lfunc_end626-_ZN7rocprim17ROCPRIM_400000_NS6detail17trampoline_kernelINS0_14default_configENS1_25partition_config_selectorILNS1_17partition_subalgoE1EiNS0_10empty_typeEbEEZZNS1_14partition_implILS5_1ELb0ES3_jN6thrust23THRUST_200600_302600_NS6detail15normal_iteratorINSA_10device_ptrIiEEEEPS6_NSA_18transform_iteratorINSA_8identityIiEESF_NSA_11use_defaultESK_EENS0_5tupleIJSF_SF_EEENSM_IJSG_SG_EEES6_PlJS6_EEE10hipError_tPvRmT3_T4_T5_T6_T7_T9_mT8_P12ihipStream_tbDpT10_ENKUlT_T0_E_clISt17integral_constantIbLb1EES18_IbLb0EEEEDaS14_S15_EUlS14_E_NS1_11comp_targetILNS1_3genE5ELNS1_11target_archE942ELNS1_3gpuE9ELNS1_3repE0EEENS1_30default_config_static_selectorELNS0_4arch9wavefront6targetE1EEEvT1_
                                        ; -- End function
	.section	.AMDGPU.csdata,"",@progbits
; Kernel info:
; codeLenInByte = 7980
; NumSgprs: 50
; NumVgprs: 65
; NumAgprs: 0
; TotalNumVgprs: 65
; ScratchSize: 0
; MemoryBound: 0
; FloatMode: 240
; IeeeMode: 1
; LDSByteSize: 30728 bytes/workgroup (compile time only)
; SGPRBlocks: 6
; VGPRBlocks: 8
; NumSGPRsForWavesPerEU: 50
; NumVGPRsForWavesPerEU: 65
; AccumOffset: 68
; Occupancy: 4
; WaveLimiterHint : 1
; COMPUTE_PGM_RSRC2:SCRATCH_EN: 0
; COMPUTE_PGM_RSRC2:USER_SGPR: 2
; COMPUTE_PGM_RSRC2:TRAP_HANDLER: 0
; COMPUTE_PGM_RSRC2:TGID_X_EN: 1
; COMPUTE_PGM_RSRC2:TGID_Y_EN: 0
; COMPUTE_PGM_RSRC2:TGID_Z_EN: 0
; COMPUTE_PGM_RSRC2:TIDIG_COMP_CNT: 0
; COMPUTE_PGM_RSRC3_GFX90A:ACCUM_OFFSET: 16
; COMPUTE_PGM_RSRC3_GFX90A:TG_SPLIT: 0
	.section	.text._ZN7rocprim17ROCPRIM_400000_NS6detail17trampoline_kernelINS0_14default_configENS1_25partition_config_selectorILNS1_17partition_subalgoE1EiNS0_10empty_typeEbEEZZNS1_14partition_implILS5_1ELb0ES3_jN6thrust23THRUST_200600_302600_NS6detail15normal_iteratorINSA_10device_ptrIiEEEEPS6_NSA_18transform_iteratorINSA_8identityIiEESF_NSA_11use_defaultESK_EENS0_5tupleIJSF_SF_EEENSM_IJSG_SG_EEES6_PlJS6_EEE10hipError_tPvRmT3_T4_T5_T6_T7_T9_mT8_P12ihipStream_tbDpT10_ENKUlT_T0_E_clISt17integral_constantIbLb1EES18_IbLb0EEEEDaS14_S15_EUlS14_E_NS1_11comp_targetILNS1_3genE4ELNS1_11target_archE910ELNS1_3gpuE8ELNS1_3repE0EEENS1_30default_config_static_selectorELNS0_4arch9wavefront6targetE1EEEvT1_,"axG",@progbits,_ZN7rocprim17ROCPRIM_400000_NS6detail17trampoline_kernelINS0_14default_configENS1_25partition_config_selectorILNS1_17partition_subalgoE1EiNS0_10empty_typeEbEEZZNS1_14partition_implILS5_1ELb0ES3_jN6thrust23THRUST_200600_302600_NS6detail15normal_iteratorINSA_10device_ptrIiEEEEPS6_NSA_18transform_iteratorINSA_8identityIiEESF_NSA_11use_defaultESK_EENS0_5tupleIJSF_SF_EEENSM_IJSG_SG_EEES6_PlJS6_EEE10hipError_tPvRmT3_T4_T5_T6_T7_T9_mT8_P12ihipStream_tbDpT10_ENKUlT_T0_E_clISt17integral_constantIbLb1EES18_IbLb0EEEEDaS14_S15_EUlS14_E_NS1_11comp_targetILNS1_3genE4ELNS1_11target_archE910ELNS1_3gpuE8ELNS1_3repE0EEENS1_30default_config_static_selectorELNS0_4arch9wavefront6targetE1EEEvT1_,comdat
	.protected	_ZN7rocprim17ROCPRIM_400000_NS6detail17trampoline_kernelINS0_14default_configENS1_25partition_config_selectorILNS1_17partition_subalgoE1EiNS0_10empty_typeEbEEZZNS1_14partition_implILS5_1ELb0ES3_jN6thrust23THRUST_200600_302600_NS6detail15normal_iteratorINSA_10device_ptrIiEEEEPS6_NSA_18transform_iteratorINSA_8identityIiEESF_NSA_11use_defaultESK_EENS0_5tupleIJSF_SF_EEENSM_IJSG_SG_EEES6_PlJS6_EEE10hipError_tPvRmT3_T4_T5_T6_T7_T9_mT8_P12ihipStream_tbDpT10_ENKUlT_T0_E_clISt17integral_constantIbLb1EES18_IbLb0EEEEDaS14_S15_EUlS14_E_NS1_11comp_targetILNS1_3genE4ELNS1_11target_archE910ELNS1_3gpuE8ELNS1_3repE0EEENS1_30default_config_static_selectorELNS0_4arch9wavefront6targetE1EEEvT1_ ; -- Begin function _ZN7rocprim17ROCPRIM_400000_NS6detail17trampoline_kernelINS0_14default_configENS1_25partition_config_selectorILNS1_17partition_subalgoE1EiNS0_10empty_typeEbEEZZNS1_14partition_implILS5_1ELb0ES3_jN6thrust23THRUST_200600_302600_NS6detail15normal_iteratorINSA_10device_ptrIiEEEEPS6_NSA_18transform_iteratorINSA_8identityIiEESF_NSA_11use_defaultESK_EENS0_5tupleIJSF_SF_EEENSM_IJSG_SG_EEES6_PlJS6_EEE10hipError_tPvRmT3_T4_T5_T6_T7_T9_mT8_P12ihipStream_tbDpT10_ENKUlT_T0_E_clISt17integral_constantIbLb1EES18_IbLb0EEEEDaS14_S15_EUlS14_E_NS1_11comp_targetILNS1_3genE4ELNS1_11target_archE910ELNS1_3gpuE8ELNS1_3repE0EEENS1_30default_config_static_selectorELNS0_4arch9wavefront6targetE1EEEvT1_
	.globl	_ZN7rocprim17ROCPRIM_400000_NS6detail17trampoline_kernelINS0_14default_configENS1_25partition_config_selectorILNS1_17partition_subalgoE1EiNS0_10empty_typeEbEEZZNS1_14partition_implILS5_1ELb0ES3_jN6thrust23THRUST_200600_302600_NS6detail15normal_iteratorINSA_10device_ptrIiEEEEPS6_NSA_18transform_iteratorINSA_8identityIiEESF_NSA_11use_defaultESK_EENS0_5tupleIJSF_SF_EEENSM_IJSG_SG_EEES6_PlJS6_EEE10hipError_tPvRmT3_T4_T5_T6_T7_T9_mT8_P12ihipStream_tbDpT10_ENKUlT_T0_E_clISt17integral_constantIbLb1EES18_IbLb0EEEEDaS14_S15_EUlS14_E_NS1_11comp_targetILNS1_3genE4ELNS1_11target_archE910ELNS1_3gpuE8ELNS1_3repE0EEENS1_30default_config_static_selectorELNS0_4arch9wavefront6targetE1EEEvT1_
	.p2align	8
	.type	_ZN7rocprim17ROCPRIM_400000_NS6detail17trampoline_kernelINS0_14default_configENS1_25partition_config_selectorILNS1_17partition_subalgoE1EiNS0_10empty_typeEbEEZZNS1_14partition_implILS5_1ELb0ES3_jN6thrust23THRUST_200600_302600_NS6detail15normal_iteratorINSA_10device_ptrIiEEEEPS6_NSA_18transform_iteratorINSA_8identityIiEESF_NSA_11use_defaultESK_EENS0_5tupleIJSF_SF_EEENSM_IJSG_SG_EEES6_PlJS6_EEE10hipError_tPvRmT3_T4_T5_T6_T7_T9_mT8_P12ihipStream_tbDpT10_ENKUlT_T0_E_clISt17integral_constantIbLb1EES18_IbLb0EEEEDaS14_S15_EUlS14_E_NS1_11comp_targetILNS1_3genE4ELNS1_11target_archE910ELNS1_3gpuE8ELNS1_3repE0EEENS1_30default_config_static_selectorELNS0_4arch9wavefront6targetE1EEEvT1_,@function
_ZN7rocprim17ROCPRIM_400000_NS6detail17trampoline_kernelINS0_14default_configENS1_25partition_config_selectorILNS1_17partition_subalgoE1EiNS0_10empty_typeEbEEZZNS1_14partition_implILS5_1ELb0ES3_jN6thrust23THRUST_200600_302600_NS6detail15normal_iteratorINSA_10device_ptrIiEEEEPS6_NSA_18transform_iteratorINSA_8identityIiEESF_NSA_11use_defaultESK_EENS0_5tupleIJSF_SF_EEENSM_IJSG_SG_EEES6_PlJS6_EEE10hipError_tPvRmT3_T4_T5_T6_T7_T9_mT8_P12ihipStream_tbDpT10_ENKUlT_T0_E_clISt17integral_constantIbLb1EES18_IbLb0EEEEDaS14_S15_EUlS14_E_NS1_11comp_targetILNS1_3genE4ELNS1_11target_archE910ELNS1_3gpuE8ELNS1_3repE0EEENS1_30default_config_static_selectorELNS0_4arch9wavefront6targetE1EEEvT1_: ; @_ZN7rocprim17ROCPRIM_400000_NS6detail17trampoline_kernelINS0_14default_configENS1_25partition_config_selectorILNS1_17partition_subalgoE1EiNS0_10empty_typeEbEEZZNS1_14partition_implILS5_1ELb0ES3_jN6thrust23THRUST_200600_302600_NS6detail15normal_iteratorINSA_10device_ptrIiEEEEPS6_NSA_18transform_iteratorINSA_8identityIiEESF_NSA_11use_defaultESK_EENS0_5tupleIJSF_SF_EEENSM_IJSG_SG_EEES6_PlJS6_EEE10hipError_tPvRmT3_T4_T5_T6_T7_T9_mT8_P12ihipStream_tbDpT10_ENKUlT_T0_E_clISt17integral_constantIbLb1EES18_IbLb0EEEEDaS14_S15_EUlS14_E_NS1_11comp_targetILNS1_3genE4ELNS1_11target_archE910ELNS1_3gpuE8ELNS1_3repE0EEENS1_30default_config_static_selectorELNS0_4arch9wavefront6targetE1EEEvT1_
; %bb.0:
	.section	.rodata,"a",@progbits
	.p2align	6, 0x0
	.amdhsa_kernel _ZN7rocprim17ROCPRIM_400000_NS6detail17trampoline_kernelINS0_14default_configENS1_25partition_config_selectorILNS1_17partition_subalgoE1EiNS0_10empty_typeEbEEZZNS1_14partition_implILS5_1ELb0ES3_jN6thrust23THRUST_200600_302600_NS6detail15normal_iteratorINSA_10device_ptrIiEEEEPS6_NSA_18transform_iteratorINSA_8identityIiEESF_NSA_11use_defaultESK_EENS0_5tupleIJSF_SF_EEENSM_IJSG_SG_EEES6_PlJS6_EEE10hipError_tPvRmT3_T4_T5_T6_T7_T9_mT8_P12ihipStream_tbDpT10_ENKUlT_T0_E_clISt17integral_constantIbLb1EES18_IbLb0EEEEDaS14_S15_EUlS14_E_NS1_11comp_targetILNS1_3genE4ELNS1_11target_archE910ELNS1_3gpuE8ELNS1_3repE0EEENS1_30default_config_static_selectorELNS0_4arch9wavefront6targetE1EEEvT1_
		.amdhsa_group_segment_fixed_size 0
		.amdhsa_private_segment_fixed_size 0
		.amdhsa_kernarg_size 128
		.amdhsa_user_sgpr_count 2
		.amdhsa_user_sgpr_dispatch_ptr 0
		.amdhsa_user_sgpr_queue_ptr 0
		.amdhsa_user_sgpr_kernarg_segment_ptr 1
		.amdhsa_user_sgpr_dispatch_id 0
		.amdhsa_user_sgpr_kernarg_preload_length 0
		.amdhsa_user_sgpr_kernarg_preload_offset 0
		.amdhsa_user_sgpr_private_segment_size 0
		.amdhsa_uses_dynamic_stack 0
		.amdhsa_enable_private_segment 0
		.amdhsa_system_sgpr_workgroup_id_x 1
		.amdhsa_system_sgpr_workgroup_id_y 0
		.amdhsa_system_sgpr_workgroup_id_z 0
		.amdhsa_system_sgpr_workgroup_info 0
		.amdhsa_system_vgpr_workitem_id 0
		.amdhsa_next_free_vgpr 1
		.amdhsa_next_free_sgpr 0
		.amdhsa_accum_offset 4
		.amdhsa_reserve_vcc 0
		.amdhsa_float_round_mode_32 0
		.amdhsa_float_round_mode_16_64 0
		.amdhsa_float_denorm_mode_32 3
		.amdhsa_float_denorm_mode_16_64 3
		.amdhsa_dx10_clamp 1
		.amdhsa_ieee_mode 1
		.amdhsa_fp16_overflow 0
		.amdhsa_tg_split 0
		.amdhsa_exception_fp_ieee_invalid_op 0
		.amdhsa_exception_fp_denorm_src 0
		.amdhsa_exception_fp_ieee_div_zero 0
		.amdhsa_exception_fp_ieee_overflow 0
		.amdhsa_exception_fp_ieee_underflow 0
		.amdhsa_exception_fp_ieee_inexact 0
		.amdhsa_exception_int_div_zero 0
	.end_amdhsa_kernel
	.section	.text._ZN7rocprim17ROCPRIM_400000_NS6detail17trampoline_kernelINS0_14default_configENS1_25partition_config_selectorILNS1_17partition_subalgoE1EiNS0_10empty_typeEbEEZZNS1_14partition_implILS5_1ELb0ES3_jN6thrust23THRUST_200600_302600_NS6detail15normal_iteratorINSA_10device_ptrIiEEEEPS6_NSA_18transform_iteratorINSA_8identityIiEESF_NSA_11use_defaultESK_EENS0_5tupleIJSF_SF_EEENSM_IJSG_SG_EEES6_PlJS6_EEE10hipError_tPvRmT3_T4_T5_T6_T7_T9_mT8_P12ihipStream_tbDpT10_ENKUlT_T0_E_clISt17integral_constantIbLb1EES18_IbLb0EEEEDaS14_S15_EUlS14_E_NS1_11comp_targetILNS1_3genE4ELNS1_11target_archE910ELNS1_3gpuE8ELNS1_3repE0EEENS1_30default_config_static_selectorELNS0_4arch9wavefront6targetE1EEEvT1_,"axG",@progbits,_ZN7rocprim17ROCPRIM_400000_NS6detail17trampoline_kernelINS0_14default_configENS1_25partition_config_selectorILNS1_17partition_subalgoE1EiNS0_10empty_typeEbEEZZNS1_14partition_implILS5_1ELb0ES3_jN6thrust23THRUST_200600_302600_NS6detail15normal_iteratorINSA_10device_ptrIiEEEEPS6_NSA_18transform_iteratorINSA_8identityIiEESF_NSA_11use_defaultESK_EENS0_5tupleIJSF_SF_EEENSM_IJSG_SG_EEES6_PlJS6_EEE10hipError_tPvRmT3_T4_T5_T6_T7_T9_mT8_P12ihipStream_tbDpT10_ENKUlT_T0_E_clISt17integral_constantIbLb1EES18_IbLb0EEEEDaS14_S15_EUlS14_E_NS1_11comp_targetILNS1_3genE4ELNS1_11target_archE910ELNS1_3gpuE8ELNS1_3repE0EEENS1_30default_config_static_selectorELNS0_4arch9wavefront6targetE1EEEvT1_,comdat
.Lfunc_end627:
	.size	_ZN7rocprim17ROCPRIM_400000_NS6detail17trampoline_kernelINS0_14default_configENS1_25partition_config_selectorILNS1_17partition_subalgoE1EiNS0_10empty_typeEbEEZZNS1_14partition_implILS5_1ELb0ES3_jN6thrust23THRUST_200600_302600_NS6detail15normal_iteratorINSA_10device_ptrIiEEEEPS6_NSA_18transform_iteratorINSA_8identityIiEESF_NSA_11use_defaultESK_EENS0_5tupleIJSF_SF_EEENSM_IJSG_SG_EEES6_PlJS6_EEE10hipError_tPvRmT3_T4_T5_T6_T7_T9_mT8_P12ihipStream_tbDpT10_ENKUlT_T0_E_clISt17integral_constantIbLb1EES18_IbLb0EEEEDaS14_S15_EUlS14_E_NS1_11comp_targetILNS1_3genE4ELNS1_11target_archE910ELNS1_3gpuE8ELNS1_3repE0EEENS1_30default_config_static_selectorELNS0_4arch9wavefront6targetE1EEEvT1_, .Lfunc_end627-_ZN7rocprim17ROCPRIM_400000_NS6detail17trampoline_kernelINS0_14default_configENS1_25partition_config_selectorILNS1_17partition_subalgoE1EiNS0_10empty_typeEbEEZZNS1_14partition_implILS5_1ELb0ES3_jN6thrust23THRUST_200600_302600_NS6detail15normal_iteratorINSA_10device_ptrIiEEEEPS6_NSA_18transform_iteratorINSA_8identityIiEESF_NSA_11use_defaultESK_EENS0_5tupleIJSF_SF_EEENSM_IJSG_SG_EEES6_PlJS6_EEE10hipError_tPvRmT3_T4_T5_T6_T7_T9_mT8_P12ihipStream_tbDpT10_ENKUlT_T0_E_clISt17integral_constantIbLb1EES18_IbLb0EEEEDaS14_S15_EUlS14_E_NS1_11comp_targetILNS1_3genE4ELNS1_11target_archE910ELNS1_3gpuE8ELNS1_3repE0EEENS1_30default_config_static_selectorELNS0_4arch9wavefront6targetE1EEEvT1_
                                        ; -- End function
	.section	.AMDGPU.csdata,"",@progbits
; Kernel info:
; codeLenInByte = 0
; NumSgprs: 6
; NumVgprs: 0
; NumAgprs: 0
; TotalNumVgprs: 0
; ScratchSize: 0
; MemoryBound: 0
; FloatMode: 240
; IeeeMode: 1
; LDSByteSize: 0 bytes/workgroup (compile time only)
; SGPRBlocks: 0
; VGPRBlocks: 0
; NumSGPRsForWavesPerEU: 6
; NumVGPRsForWavesPerEU: 1
; AccumOffset: 4
; Occupancy: 8
; WaveLimiterHint : 0
; COMPUTE_PGM_RSRC2:SCRATCH_EN: 0
; COMPUTE_PGM_RSRC2:USER_SGPR: 2
; COMPUTE_PGM_RSRC2:TRAP_HANDLER: 0
; COMPUTE_PGM_RSRC2:TGID_X_EN: 1
; COMPUTE_PGM_RSRC2:TGID_Y_EN: 0
; COMPUTE_PGM_RSRC2:TGID_Z_EN: 0
; COMPUTE_PGM_RSRC2:TIDIG_COMP_CNT: 0
; COMPUTE_PGM_RSRC3_GFX90A:ACCUM_OFFSET: 0
; COMPUTE_PGM_RSRC3_GFX90A:TG_SPLIT: 0
	.section	.text._ZN7rocprim17ROCPRIM_400000_NS6detail17trampoline_kernelINS0_14default_configENS1_25partition_config_selectorILNS1_17partition_subalgoE1EiNS0_10empty_typeEbEEZZNS1_14partition_implILS5_1ELb0ES3_jN6thrust23THRUST_200600_302600_NS6detail15normal_iteratorINSA_10device_ptrIiEEEEPS6_NSA_18transform_iteratorINSA_8identityIiEESF_NSA_11use_defaultESK_EENS0_5tupleIJSF_SF_EEENSM_IJSG_SG_EEES6_PlJS6_EEE10hipError_tPvRmT3_T4_T5_T6_T7_T9_mT8_P12ihipStream_tbDpT10_ENKUlT_T0_E_clISt17integral_constantIbLb1EES18_IbLb0EEEEDaS14_S15_EUlS14_E_NS1_11comp_targetILNS1_3genE3ELNS1_11target_archE908ELNS1_3gpuE7ELNS1_3repE0EEENS1_30default_config_static_selectorELNS0_4arch9wavefront6targetE1EEEvT1_,"axG",@progbits,_ZN7rocprim17ROCPRIM_400000_NS6detail17trampoline_kernelINS0_14default_configENS1_25partition_config_selectorILNS1_17partition_subalgoE1EiNS0_10empty_typeEbEEZZNS1_14partition_implILS5_1ELb0ES3_jN6thrust23THRUST_200600_302600_NS6detail15normal_iteratorINSA_10device_ptrIiEEEEPS6_NSA_18transform_iteratorINSA_8identityIiEESF_NSA_11use_defaultESK_EENS0_5tupleIJSF_SF_EEENSM_IJSG_SG_EEES6_PlJS6_EEE10hipError_tPvRmT3_T4_T5_T6_T7_T9_mT8_P12ihipStream_tbDpT10_ENKUlT_T0_E_clISt17integral_constantIbLb1EES18_IbLb0EEEEDaS14_S15_EUlS14_E_NS1_11comp_targetILNS1_3genE3ELNS1_11target_archE908ELNS1_3gpuE7ELNS1_3repE0EEENS1_30default_config_static_selectorELNS0_4arch9wavefront6targetE1EEEvT1_,comdat
	.protected	_ZN7rocprim17ROCPRIM_400000_NS6detail17trampoline_kernelINS0_14default_configENS1_25partition_config_selectorILNS1_17partition_subalgoE1EiNS0_10empty_typeEbEEZZNS1_14partition_implILS5_1ELb0ES3_jN6thrust23THRUST_200600_302600_NS6detail15normal_iteratorINSA_10device_ptrIiEEEEPS6_NSA_18transform_iteratorINSA_8identityIiEESF_NSA_11use_defaultESK_EENS0_5tupleIJSF_SF_EEENSM_IJSG_SG_EEES6_PlJS6_EEE10hipError_tPvRmT3_T4_T5_T6_T7_T9_mT8_P12ihipStream_tbDpT10_ENKUlT_T0_E_clISt17integral_constantIbLb1EES18_IbLb0EEEEDaS14_S15_EUlS14_E_NS1_11comp_targetILNS1_3genE3ELNS1_11target_archE908ELNS1_3gpuE7ELNS1_3repE0EEENS1_30default_config_static_selectorELNS0_4arch9wavefront6targetE1EEEvT1_ ; -- Begin function _ZN7rocprim17ROCPRIM_400000_NS6detail17trampoline_kernelINS0_14default_configENS1_25partition_config_selectorILNS1_17partition_subalgoE1EiNS0_10empty_typeEbEEZZNS1_14partition_implILS5_1ELb0ES3_jN6thrust23THRUST_200600_302600_NS6detail15normal_iteratorINSA_10device_ptrIiEEEEPS6_NSA_18transform_iteratorINSA_8identityIiEESF_NSA_11use_defaultESK_EENS0_5tupleIJSF_SF_EEENSM_IJSG_SG_EEES6_PlJS6_EEE10hipError_tPvRmT3_T4_T5_T6_T7_T9_mT8_P12ihipStream_tbDpT10_ENKUlT_T0_E_clISt17integral_constantIbLb1EES18_IbLb0EEEEDaS14_S15_EUlS14_E_NS1_11comp_targetILNS1_3genE3ELNS1_11target_archE908ELNS1_3gpuE7ELNS1_3repE0EEENS1_30default_config_static_selectorELNS0_4arch9wavefront6targetE1EEEvT1_
	.globl	_ZN7rocprim17ROCPRIM_400000_NS6detail17trampoline_kernelINS0_14default_configENS1_25partition_config_selectorILNS1_17partition_subalgoE1EiNS0_10empty_typeEbEEZZNS1_14partition_implILS5_1ELb0ES3_jN6thrust23THRUST_200600_302600_NS6detail15normal_iteratorINSA_10device_ptrIiEEEEPS6_NSA_18transform_iteratorINSA_8identityIiEESF_NSA_11use_defaultESK_EENS0_5tupleIJSF_SF_EEENSM_IJSG_SG_EEES6_PlJS6_EEE10hipError_tPvRmT3_T4_T5_T6_T7_T9_mT8_P12ihipStream_tbDpT10_ENKUlT_T0_E_clISt17integral_constantIbLb1EES18_IbLb0EEEEDaS14_S15_EUlS14_E_NS1_11comp_targetILNS1_3genE3ELNS1_11target_archE908ELNS1_3gpuE7ELNS1_3repE0EEENS1_30default_config_static_selectorELNS0_4arch9wavefront6targetE1EEEvT1_
	.p2align	8
	.type	_ZN7rocprim17ROCPRIM_400000_NS6detail17trampoline_kernelINS0_14default_configENS1_25partition_config_selectorILNS1_17partition_subalgoE1EiNS0_10empty_typeEbEEZZNS1_14partition_implILS5_1ELb0ES3_jN6thrust23THRUST_200600_302600_NS6detail15normal_iteratorINSA_10device_ptrIiEEEEPS6_NSA_18transform_iteratorINSA_8identityIiEESF_NSA_11use_defaultESK_EENS0_5tupleIJSF_SF_EEENSM_IJSG_SG_EEES6_PlJS6_EEE10hipError_tPvRmT3_T4_T5_T6_T7_T9_mT8_P12ihipStream_tbDpT10_ENKUlT_T0_E_clISt17integral_constantIbLb1EES18_IbLb0EEEEDaS14_S15_EUlS14_E_NS1_11comp_targetILNS1_3genE3ELNS1_11target_archE908ELNS1_3gpuE7ELNS1_3repE0EEENS1_30default_config_static_selectorELNS0_4arch9wavefront6targetE1EEEvT1_,@function
_ZN7rocprim17ROCPRIM_400000_NS6detail17trampoline_kernelINS0_14default_configENS1_25partition_config_selectorILNS1_17partition_subalgoE1EiNS0_10empty_typeEbEEZZNS1_14partition_implILS5_1ELb0ES3_jN6thrust23THRUST_200600_302600_NS6detail15normal_iteratorINSA_10device_ptrIiEEEEPS6_NSA_18transform_iteratorINSA_8identityIiEESF_NSA_11use_defaultESK_EENS0_5tupleIJSF_SF_EEENSM_IJSG_SG_EEES6_PlJS6_EEE10hipError_tPvRmT3_T4_T5_T6_T7_T9_mT8_P12ihipStream_tbDpT10_ENKUlT_T0_E_clISt17integral_constantIbLb1EES18_IbLb0EEEEDaS14_S15_EUlS14_E_NS1_11comp_targetILNS1_3genE3ELNS1_11target_archE908ELNS1_3gpuE7ELNS1_3repE0EEENS1_30default_config_static_selectorELNS0_4arch9wavefront6targetE1EEEvT1_: ; @_ZN7rocprim17ROCPRIM_400000_NS6detail17trampoline_kernelINS0_14default_configENS1_25partition_config_selectorILNS1_17partition_subalgoE1EiNS0_10empty_typeEbEEZZNS1_14partition_implILS5_1ELb0ES3_jN6thrust23THRUST_200600_302600_NS6detail15normal_iteratorINSA_10device_ptrIiEEEEPS6_NSA_18transform_iteratorINSA_8identityIiEESF_NSA_11use_defaultESK_EENS0_5tupleIJSF_SF_EEENSM_IJSG_SG_EEES6_PlJS6_EEE10hipError_tPvRmT3_T4_T5_T6_T7_T9_mT8_P12ihipStream_tbDpT10_ENKUlT_T0_E_clISt17integral_constantIbLb1EES18_IbLb0EEEEDaS14_S15_EUlS14_E_NS1_11comp_targetILNS1_3genE3ELNS1_11target_archE908ELNS1_3gpuE7ELNS1_3repE0EEENS1_30default_config_static_selectorELNS0_4arch9wavefront6targetE1EEEvT1_
; %bb.0:
	.section	.rodata,"a",@progbits
	.p2align	6, 0x0
	.amdhsa_kernel _ZN7rocprim17ROCPRIM_400000_NS6detail17trampoline_kernelINS0_14default_configENS1_25partition_config_selectorILNS1_17partition_subalgoE1EiNS0_10empty_typeEbEEZZNS1_14partition_implILS5_1ELb0ES3_jN6thrust23THRUST_200600_302600_NS6detail15normal_iteratorINSA_10device_ptrIiEEEEPS6_NSA_18transform_iteratorINSA_8identityIiEESF_NSA_11use_defaultESK_EENS0_5tupleIJSF_SF_EEENSM_IJSG_SG_EEES6_PlJS6_EEE10hipError_tPvRmT3_T4_T5_T6_T7_T9_mT8_P12ihipStream_tbDpT10_ENKUlT_T0_E_clISt17integral_constantIbLb1EES18_IbLb0EEEEDaS14_S15_EUlS14_E_NS1_11comp_targetILNS1_3genE3ELNS1_11target_archE908ELNS1_3gpuE7ELNS1_3repE0EEENS1_30default_config_static_selectorELNS0_4arch9wavefront6targetE1EEEvT1_
		.amdhsa_group_segment_fixed_size 0
		.amdhsa_private_segment_fixed_size 0
		.amdhsa_kernarg_size 128
		.amdhsa_user_sgpr_count 2
		.amdhsa_user_sgpr_dispatch_ptr 0
		.amdhsa_user_sgpr_queue_ptr 0
		.amdhsa_user_sgpr_kernarg_segment_ptr 1
		.amdhsa_user_sgpr_dispatch_id 0
		.amdhsa_user_sgpr_kernarg_preload_length 0
		.amdhsa_user_sgpr_kernarg_preload_offset 0
		.amdhsa_user_sgpr_private_segment_size 0
		.amdhsa_uses_dynamic_stack 0
		.amdhsa_enable_private_segment 0
		.amdhsa_system_sgpr_workgroup_id_x 1
		.amdhsa_system_sgpr_workgroup_id_y 0
		.amdhsa_system_sgpr_workgroup_id_z 0
		.amdhsa_system_sgpr_workgroup_info 0
		.amdhsa_system_vgpr_workitem_id 0
		.amdhsa_next_free_vgpr 1
		.amdhsa_next_free_sgpr 0
		.amdhsa_accum_offset 4
		.amdhsa_reserve_vcc 0
		.amdhsa_float_round_mode_32 0
		.amdhsa_float_round_mode_16_64 0
		.amdhsa_float_denorm_mode_32 3
		.amdhsa_float_denorm_mode_16_64 3
		.amdhsa_dx10_clamp 1
		.amdhsa_ieee_mode 1
		.amdhsa_fp16_overflow 0
		.amdhsa_tg_split 0
		.amdhsa_exception_fp_ieee_invalid_op 0
		.amdhsa_exception_fp_denorm_src 0
		.amdhsa_exception_fp_ieee_div_zero 0
		.amdhsa_exception_fp_ieee_overflow 0
		.amdhsa_exception_fp_ieee_underflow 0
		.amdhsa_exception_fp_ieee_inexact 0
		.amdhsa_exception_int_div_zero 0
	.end_amdhsa_kernel
	.section	.text._ZN7rocprim17ROCPRIM_400000_NS6detail17trampoline_kernelINS0_14default_configENS1_25partition_config_selectorILNS1_17partition_subalgoE1EiNS0_10empty_typeEbEEZZNS1_14partition_implILS5_1ELb0ES3_jN6thrust23THRUST_200600_302600_NS6detail15normal_iteratorINSA_10device_ptrIiEEEEPS6_NSA_18transform_iteratorINSA_8identityIiEESF_NSA_11use_defaultESK_EENS0_5tupleIJSF_SF_EEENSM_IJSG_SG_EEES6_PlJS6_EEE10hipError_tPvRmT3_T4_T5_T6_T7_T9_mT8_P12ihipStream_tbDpT10_ENKUlT_T0_E_clISt17integral_constantIbLb1EES18_IbLb0EEEEDaS14_S15_EUlS14_E_NS1_11comp_targetILNS1_3genE3ELNS1_11target_archE908ELNS1_3gpuE7ELNS1_3repE0EEENS1_30default_config_static_selectorELNS0_4arch9wavefront6targetE1EEEvT1_,"axG",@progbits,_ZN7rocprim17ROCPRIM_400000_NS6detail17trampoline_kernelINS0_14default_configENS1_25partition_config_selectorILNS1_17partition_subalgoE1EiNS0_10empty_typeEbEEZZNS1_14partition_implILS5_1ELb0ES3_jN6thrust23THRUST_200600_302600_NS6detail15normal_iteratorINSA_10device_ptrIiEEEEPS6_NSA_18transform_iteratorINSA_8identityIiEESF_NSA_11use_defaultESK_EENS0_5tupleIJSF_SF_EEENSM_IJSG_SG_EEES6_PlJS6_EEE10hipError_tPvRmT3_T4_T5_T6_T7_T9_mT8_P12ihipStream_tbDpT10_ENKUlT_T0_E_clISt17integral_constantIbLb1EES18_IbLb0EEEEDaS14_S15_EUlS14_E_NS1_11comp_targetILNS1_3genE3ELNS1_11target_archE908ELNS1_3gpuE7ELNS1_3repE0EEENS1_30default_config_static_selectorELNS0_4arch9wavefront6targetE1EEEvT1_,comdat
.Lfunc_end628:
	.size	_ZN7rocprim17ROCPRIM_400000_NS6detail17trampoline_kernelINS0_14default_configENS1_25partition_config_selectorILNS1_17partition_subalgoE1EiNS0_10empty_typeEbEEZZNS1_14partition_implILS5_1ELb0ES3_jN6thrust23THRUST_200600_302600_NS6detail15normal_iteratorINSA_10device_ptrIiEEEEPS6_NSA_18transform_iteratorINSA_8identityIiEESF_NSA_11use_defaultESK_EENS0_5tupleIJSF_SF_EEENSM_IJSG_SG_EEES6_PlJS6_EEE10hipError_tPvRmT3_T4_T5_T6_T7_T9_mT8_P12ihipStream_tbDpT10_ENKUlT_T0_E_clISt17integral_constantIbLb1EES18_IbLb0EEEEDaS14_S15_EUlS14_E_NS1_11comp_targetILNS1_3genE3ELNS1_11target_archE908ELNS1_3gpuE7ELNS1_3repE0EEENS1_30default_config_static_selectorELNS0_4arch9wavefront6targetE1EEEvT1_, .Lfunc_end628-_ZN7rocprim17ROCPRIM_400000_NS6detail17trampoline_kernelINS0_14default_configENS1_25partition_config_selectorILNS1_17partition_subalgoE1EiNS0_10empty_typeEbEEZZNS1_14partition_implILS5_1ELb0ES3_jN6thrust23THRUST_200600_302600_NS6detail15normal_iteratorINSA_10device_ptrIiEEEEPS6_NSA_18transform_iteratorINSA_8identityIiEESF_NSA_11use_defaultESK_EENS0_5tupleIJSF_SF_EEENSM_IJSG_SG_EEES6_PlJS6_EEE10hipError_tPvRmT3_T4_T5_T6_T7_T9_mT8_P12ihipStream_tbDpT10_ENKUlT_T0_E_clISt17integral_constantIbLb1EES18_IbLb0EEEEDaS14_S15_EUlS14_E_NS1_11comp_targetILNS1_3genE3ELNS1_11target_archE908ELNS1_3gpuE7ELNS1_3repE0EEENS1_30default_config_static_selectorELNS0_4arch9wavefront6targetE1EEEvT1_
                                        ; -- End function
	.section	.AMDGPU.csdata,"",@progbits
; Kernel info:
; codeLenInByte = 0
; NumSgprs: 6
; NumVgprs: 0
; NumAgprs: 0
; TotalNumVgprs: 0
; ScratchSize: 0
; MemoryBound: 0
; FloatMode: 240
; IeeeMode: 1
; LDSByteSize: 0 bytes/workgroup (compile time only)
; SGPRBlocks: 0
; VGPRBlocks: 0
; NumSGPRsForWavesPerEU: 6
; NumVGPRsForWavesPerEU: 1
; AccumOffset: 4
; Occupancy: 8
; WaveLimiterHint : 0
; COMPUTE_PGM_RSRC2:SCRATCH_EN: 0
; COMPUTE_PGM_RSRC2:USER_SGPR: 2
; COMPUTE_PGM_RSRC2:TRAP_HANDLER: 0
; COMPUTE_PGM_RSRC2:TGID_X_EN: 1
; COMPUTE_PGM_RSRC2:TGID_Y_EN: 0
; COMPUTE_PGM_RSRC2:TGID_Z_EN: 0
; COMPUTE_PGM_RSRC2:TIDIG_COMP_CNT: 0
; COMPUTE_PGM_RSRC3_GFX90A:ACCUM_OFFSET: 0
; COMPUTE_PGM_RSRC3_GFX90A:TG_SPLIT: 0
	.section	.text._ZN7rocprim17ROCPRIM_400000_NS6detail17trampoline_kernelINS0_14default_configENS1_25partition_config_selectorILNS1_17partition_subalgoE1EiNS0_10empty_typeEbEEZZNS1_14partition_implILS5_1ELb0ES3_jN6thrust23THRUST_200600_302600_NS6detail15normal_iteratorINSA_10device_ptrIiEEEEPS6_NSA_18transform_iteratorINSA_8identityIiEESF_NSA_11use_defaultESK_EENS0_5tupleIJSF_SF_EEENSM_IJSG_SG_EEES6_PlJS6_EEE10hipError_tPvRmT3_T4_T5_T6_T7_T9_mT8_P12ihipStream_tbDpT10_ENKUlT_T0_E_clISt17integral_constantIbLb1EES18_IbLb0EEEEDaS14_S15_EUlS14_E_NS1_11comp_targetILNS1_3genE2ELNS1_11target_archE906ELNS1_3gpuE6ELNS1_3repE0EEENS1_30default_config_static_selectorELNS0_4arch9wavefront6targetE1EEEvT1_,"axG",@progbits,_ZN7rocprim17ROCPRIM_400000_NS6detail17trampoline_kernelINS0_14default_configENS1_25partition_config_selectorILNS1_17partition_subalgoE1EiNS0_10empty_typeEbEEZZNS1_14partition_implILS5_1ELb0ES3_jN6thrust23THRUST_200600_302600_NS6detail15normal_iteratorINSA_10device_ptrIiEEEEPS6_NSA_18transform_iteratorINSA_8identityIiEESF_NSA_11use_defaultESK_EENS0_5tupleIJSF_SF_EEENSM_IJSG_SG_EEES6_PlJS6_EEE10hipError_tPvRmT3_T4_T5_T6_T7_T9_mT8_P12ihipStream_tbDpT10_ENKUlT_T0_E_clISt17integral_constantIbLb1EES18_IbLb0EEEEDaS14_S15_EUlS14_E_NS1_11comp_targetILNS1_3genE2ELNS1_11target_archE906ELNS1_3gpuE6ELNS1_3repE0EEENS1_30default_config_static_selectorELNS0_4arch9wavefront6targetE1EEEvT1_,comdat
	.protected	_ZN7rocprim17ROCPRIM_400000_NS6detail17trampoline_kernelINS0_14default_configENS1_25partition_config_selectorILNS1_17partition_subalgoE1EiNS0_10empty_typeEbEEZZNS1_14partition_implILS5_1ELb0ES3_jN6thrust23THRUST_200600_302600_NS6detail15normal_iteratorINSA_10device_ptrIiEEEEPS6_NSA_18transform_iteratorINSA_8identityIiEESF_NSA_11use_defaultESK_EENS0_5tupleIJSF_SF_EEENSM_IJSG_SG_EEES6_PlJS6_EEE10hipError_tPvRmT3_T4_T5_T6_T7_T9_mT8_P12ihipStream_tbDpT10_ENKUlT_T0_E_clISt17integral_constantIbLb1EES18_IbLb0EEEEDaS14_S15_EUlS14_E_NS1_11comp_targetILNS1_3genE2ELNS1_11target_archE906ELNS1_3gpuE6ELNS1_3repE0EEENS1_30default_config_static_selectorELNS0_4arch9wavefront6targetE1EEEvT1_ ; -- Begin function _ZN7rocprim17ROCPRIM_400000_NS6detail17trampoline_kernelINS0_14default_configENS1_25partition_config_selectorILNS1_17partition_subalgoE1EiNS0_10empty_typeEbEEZZNS1_14partition_implILS5_1ELb0ES3_jN6thrust23THRUST_200600_302600_NS6detail15normal_iteratorINSA_10device_ptrIiEEEEPS6_NSA_18transform_iteratorINSA_8identityIiEESF_NSA_11use_defaultESK_EENS0_5tupleIJSF_SF_EEENSM_IJSG_SG_EEES6_PlJS6_EEE10hipError_tPvRmT3_T4_T5_T6_T7_T9_mT8_P12ihipStream_tbDpT10_ENKUlT_T0_E_clISt17integral_constantIbLb1EES18_IbLb0EEEEDaS14_S15_EUlS14_E_NS1_11comp_targetILNS1_3genE2ELNS1_11target_archE906ELNS1_3gpuE6ELNS1_3repE0EEENS1_30default_config_static_selectorELNS0_4arch9wavefront6targetE1EEEvT1_
	.globl	_ZN7rocprim17ROCPRIM_400000_NS6detail17trampoline_kernelINS0_14default_configENS1_25partition_config_selectorILNS1_17partition_subalgoE1EiNS0_10empty_typeEbEEZZNS1_14partition_implILS5_1ELb0ES3_jN6thrust23THRUST_200600_302600_NS6detail15normal_iteratorINSA_10device_ptrIiEEEEPS6_NSA_18transform_iteratorINSA_8identityIiEESF_NSA_11use_defaultESK_EENS0_5tupleIJSF_SF_EEENSM_IJSG_SG_EEES6_PlJS6_EEE10hipError_tPvRmT3_T4_T5_T6_T7_T9_mT8_P12ihipStream_tbDpT10_ENKUlT_T0_E_clISt17integral_constantIbLb1EES18_IbLb0EEEEDaS14_S15_EUlS14_E_NS1_11comp_targetILNS1_3genE2ELNS1_11target_archE906ELNS1_3gpuE6ELNS1_3repE0EEENS1_30default_config_static_selectorELNS0_4arch9wavefront6targetE1EEEvT1_
	.p2align	8
	.type	_ZN7rocprim17ROCPRIM_400000_NS6detail17trampoline_kernelINS0_14default_configENS1_25partition_config_selectorILNS1_17partition_subalgoE1EiNS0_10empty_typeEbEEZZNS1_14partition_implILS5_1ELb0ES3_jN6thrust23THRUST_200600_302600_NS6detail15normal_iteratorINSA_10device_ptrIiEEEEPS6_NSA_18transform_iteratorINSA_8identityIiEESF_NSA_11use_defaultESK_EENS0_5tupleIJSF_SF_EEENSM_IJSG_SG_EEES6_PlJS6_EEE10hipError_tPvRmT3_T4_T5_T6_T7_T9_mT8_P12ihipStream_tbDpT10_ENKUlT_T0_E_clISt17integral_constantIbLb1EES18_IbLb0EEEEDaS14_S15_EUlS14_E_NS1_11comp_targetILNS1_3genE2ELNS1_11target_archE906ELNS1_3gpuE6ELNS1_3repE0EEENS1_30default_config_static_selectorELNS0_4arch9wavefront6targetE1EEEvT1_,@function
_ZN7rocprim17ROCPRIM_400000_NS6detail17trampoline_kernelINS0_14default_configENS1_25partition_config_selectorILNS1_17partition_subalgoE1EiNS0_10empty_typeEbEEZZNS1_14partition_implILS5_1ELb0ES3_jN6thrust23THRUST_200600_302600_NS6detail15normal_iteratorINSA_10device_ptrIiEEEEPS6_NSA_18transform_iteratorINSA_8identityIiEESF_NSA_11use_defaultESK_EENS0_5tupleIJSF_SF_EEENSM_IJSG_SG_EEES6_PlJS6_EEE10hipError_tPvRmT3_T4_T5_T6_T7_T9_mT8_P12ihipStream_tbDpT10_ENKUlT_T0_E_clISt17integral_constantIbLb1EES18_IbLb0EEEEDaS14_S15_EUlS14_E_NS1_11comp_targetILNS1_3genE2ELNS1_11target_archE906ELNS1_3gpuE6ELNS1_3repE0EEENS1_30default_config_static_selectorELNS0_4arch9wavefront6targetE1EEEvT1_: ; @_ZN7rocprim17ROCPRIM_400000_NS6detail17trampoline_kernelINS0_14default_configENS1_25partition_config_selectorILNS1_17partition_subalgoE1EiNS0_10empty_typeEbEEZZNS1_14partition_implILS5_1ELb0ES3_jN6thrust23THRUST_200600_302600_NS6detail15normal_iteratorINSA_10device_ptrIiEEEEPS6_NSA_18transform_iteratorINSA_8identityIiEESF_NSA_11use_defaultESK_EENS0_5tupleIJSF_SF_EEENSM_IJSG_SG_EEES6_PlJS6_EEE10hipError_tPvRmT3_T4_T5_T6_T7_T9_mT8_P12ihipStream_tbDpT10_ENKUlT_T0_E_clISt17integral_constantIbLb1EES18_IbLb0EEEEDaS14_S15_EUlS14_E_NS1_11comp_targetILNS1_3genE2ELNS1_11target_archE906ELNS1_3gpuE6ELNS1_3repE0EEENS1_30default_config_static_selectorELNS0_4arch9wavefront6targetE1EEEvT1_
; %bb.0:
	.section	.rodata,"a",@progbits
	.p2align	6, 0x0
	.amdhsa_kernel _ZN7rocprim17ROCPRIM_400000_NS6detail17trampoline_kernelINS0_14default_configENS1_25partition_config_selectorILNS1_17partition_subalgoE1EiNS0_10empty_typeEbEEZZNS1_14partition_implILS5_1ELb0ES3_jN6thrust23THRUST_200600_302600_NS6detail15normal_iteratorINSA_10device_ptrIiEEEEPS6_NSA_18transform_iteratorINSA_8identityIiEESF_NSA_11use_defaultESK_EENS0_5tupleIJSF_SF_EEENSM_IJSG_SG_EEES6_PlJS6_EEE10hipError_tPvRmT3_T4_T5_T6_T7_T9_mT8_P12ihipStream_tbDpT10_ENKUlT_T0_E_clISt17integral_constantIbLb1EES18_IbLb0EEEEDaS14_S15_EUlS14_E_NS1_11comp_targetILNS1_3genE2ELNS1_11target_archE906ELNS1_3gpuE6ELNS1_3repE0EEENS1_30default_config_static_selectorELNS0_4arch9wavefront6targetE1EEEvT1_
		.amdhsa_group_segment_fixed_size 0
		.amdhsa_private_segment_fixed_size 0
		.amdhsa_kernarg_size 128
		.amdhsa_user_sgpr_count 2
		.amdhsa_user_sgpr_dispatch_ptr 0
		.amdhsa_user_sgpr_queue_ptr 0
		.amdhsa_user_sgpr_kernarg_segment_ptr 1
		.amdhsa_user_sgpr_dispatch_id 0
		.amdhsa_user_sgpr_kernarg_preload_length 0
		.amdhsa_user_sgpr_kernarg_preload_offset 0
		.amdhsa_user_sgpr_private_segment_size 0
		.amdhsa_uses_dynamic_stack 0
		.amdhsa_enable_private_segment 0
		.amdhsa_system_sgpr_workgroup_id_x 1
		.amdhsa_system_sgpr_workgroup_id_y 0
		.amdhsa_system_sgpr_workgroup_id_z 0
		.amdhsa_system_sgpr_workgroup_info 0
		.amdhsa_system_vgpr_workitem_id 0
		.amdhsa_next_free_vgpr 1
		.amdhsa_next_free_sgpr 0
		.amdhsa_accum_offset 4
		.amdhsa_reserve_vcc 0
		.amdhsa_float_round_mode_32 0
		.amdhsa_float_round_mode_16_64 0
		.amdhsa_float_denorm_mode_32 3
		.amdhsa_float_denorm_mode_16_64 3
		.amdhsa_dx10_clamp 1
		.amdhsa_ieee_mode 1
		.amdhsa_fp16_overflow 0
		.amdhsa_tg_split 0
		.amdhsa_exception_fp_ieee_invalid_op 0
		.amdhsa_exception_fp_denorm_src 0
		.amdhsa_exception_fp_ieee_div_zero 0
		.amdhsa_exception_fp_ieee_overflow 0
		.amdhsa_exception_fp_ieee_underflow 0
		.amdhsa_exception_fp_ieee_inexact 0
		.amdhsa_exception_int_div_zero 0
	.end_amdhsa_kernel
	.section	.text._ZN7rocprim17ROCPRIM_400000_NS6detail17trampoline_kernelINS0_14default_configENS1_25partition_config_selectorILNS1_17partition_subalgoE1EiNS0_10empty_typeEbEEZZNS1_14partition_implILS5_1ELb0ES3_jN6thrust23THRUST_200600_302600_NS6detail15normal_iteratorINSA_10device_ptrIiEEEEPS6_NSA_18transform_iteratorINSA_8identityIiEESF_NSA_11use_defaultESK_EENS0_5tupleIJSF_SF_EEENSM_IJSG_SG_EEES6_PlJS6_EEE10hipError_tPvRmT3_T4_T5_T6_T7_T9_mT8_P12ihipStream_tbDpT10_ENKUlT_T0_E_clISt17integral_constantIbLb1EES18_IbLb0EEEEDaS14_S15_EUlS14_E_NS1_11comp_targetILNS1_3genE2ELNS1_11target_archE906ELNS1_3gpuE6ELNS1_3repE0EEENS1_30default_config_static_selectorELNS0_4arch9wavefront6targetE1EEEvT1_,"axG",@progbits,_ZN7rocprim17ROCPRIM_400000_NS6detail17trampoline_kernelINS0_14default_configENS1_25partition_config_selectorILNS1_17partition_subalgoE1EiNS0_10empty_typeEbEEZZNS1_14partition_implILS5_1ELb0ES3_jN6thrust23THRUST_200600_302600_NS6detail15normal_iteratorINSA_10device_ptrIiEEEEPS6_NSA_18transform_iteratorINSA_8identityIiEESF_NSA_11use_defaultESK_EENS0_5tupleIJSF_SF_EEENSM_IJSG_SG_EEES6_PlJS6_EEE10hipError_tPvRmT3_T4_T5_T6_T7_T9_mT8_P12ihipStream_tbDpT10_ENKUlT_T0_E_clISt17integral_constantIbLb1EES18_IbLb0EEEEDaS14_S15_EUlS14_E_NS1_11comp_targetILNS1_3genE2ELNS1_11target_archE906ELNS1_3gpuE6ELNS1_3repE0EEENS1_30default_config_static_selectorELNS0_4arch9wavefront6targetE1EEEvT1_,comdat
.Lfunc_end629:
	.size	_ZN7rocprim17ROCPRIM_400000_NS6detail17trampoline_kernelINS0_14default_configENS1_25partition_config_selectorILNS1_17partition_subalgoE1EiNS0_10empty_typeEbEEZZNS1_14partition_implILS5_1ELb0ES3_jN6thrust23THRUST_200600_302600_NS6detail15normal_iteratorINSA_10device_ptrIiEEEEPS6_NSA_18transform_iteratorINSA_8identityIiEESF_NSA_11use_defaultESK_EENS0_5tupleIJSF_SF_EEENSM_IJSG_SG_EEES6_PlJS6_EEE10hipError_tPvRmT3_T4_T5_T6_T7_T9_mT8_P12ihipStream_tbDpT10_ENKUlT_T0_E_clISt17integral_constantIbLb1EES18_IbLb0EEEEDaS14_S15_EUlS14_E_NS1_11comp_targetILNS1_3genE2ELNS1_11target_archE906ELNS1_3gpuE6ELNS1_3repE0EEENS1_30default_config_static_selectorELNS0_4arch9wavefront6targetE1EEEvT1_, .Lfunc_end629-_ZN7rocprim17ROCPRIM_400000_NS6detail17trampoline_kernelINS0_14default_configENS1_25partition_config_selectorILNS1_17partition_subalgoE1EiNS0_10empty_typeEbEEZZNS1_14partition_implILS5_1ELb0ES3_jN6thrust23THRUST_200600_302600_NS6detail15normal_iteratorINSA_10device_ptrIiEEEEPS6_NSA_18transform_iteratorINSA_8identityIiEESF_NSA_11use_defaultESK_EENS0_5tupleIJSF_SF_EEENSM_IJSG_SG_EEES6_PlJS6_EEE10hipError_tPvRmT3_T4_T5_T6_T7_T9_mT8_P12ihipStream_tbDpT10_ENKUlT_T0_E_clISt17integral_constantIbLb1EES18_IbLb0EEEEDaS14_S15_EUlS14_E_NS1_11comp_targetILNS1_3genE2ELNS1_11target_archE906ELNS1_3gpuE6ELNS1_3repE0EEENS1_30default_config_static_selectorELNS0_4arch9wavefront6targetE1EEEvT1_
                                        ; -- End function
	.section	.AMDGPU.csdata,"",@progbits
; Kernel info:
; codeLenInByte = 0
; NumSgprs: 6
; NumVgprs: 0
; NumAgprs: 0
; TotalNumVgprs: 0
; ScratchSize: 0
; MemoryBound: 0
; FloatMode: 240
; IeeeMode: 1
; LDSByteSize: 0 bytes/workgroup (compile time only)
; SGPRBlocks: 0
; VGPRBlocks: 0
; NumSGPRsForWavesPerEU: 6
; NumVGPRsForWavesPerEU: 1
; AccumOffset: 4
; Occupancy: 8
; WaveLimiterHint : 0
; COMPUTE_PGM_RSRC2:SCRATCH_EN: 0
; COMPUTE_PGM_RSRC2:USER_SGPR: 2
; COMPUTE_PGM_RSRC2:TRAP_HANDLER: 0
; COMPUTE_PGM_RSRC2:TGID_X_EN: 1
; COMPUTE_PGM_RSRC2:TGID_Y_EN: 0
; COMPUTE_PGM_RSRC2:TGID_Z_EN: 0
; COMPUTE_PGM_RSRC2:TIDIG_COMP_CNT: 0
; COMPUTE_PGM_RSRC3_GFX90A:ACCUM_OFFSET: 0
; COMPUTE_PGM_RSRC3_GFX90A:TG_SPLIT: 0
	.section	.text._ZN7rocprim17ROCPRIM_400000_NS6detail17trampoline_kernelINS0_14default_configENS1_25partition_config_selectorILNS1_17partition_subalgoE1EiNS0_10empty_typeEbEEZZNS1_14partition_implILS5_1ELb0ES3_jN6thrust23THRUST_200600_302600_NS6detail15normal_iteratorINSA_10device_ptrIiEEEEPS6_NSA_18transform_iteratorINSA_8identityIiEESF_NSA_11use_defaultESK_EENS0_5tupleIJSF_SF_EEENSM_IJSG_SG_EEES6_PlJS6_EEE10hipError_tPvRmT3_T4_T5_T6_T7_T9_mT8_P12ihipStream_tbDpT10_ENKUlT_T0_E_clISt17integral_constantIbLb1EES18_IbLb0EEEEDaS14_S15_EUlS14_E_NS1_11comp_targetILNS1_3genE10ELNS1_11target_archE1200ELNS1_3gpuE4ELNS1_3repE0EEENS1_30default_config_static_selectorELNS0_4arch9wavefront6targetE1EEEvT1_,"axG",@progbits,_ZN7rocprim17ROCPRIM_400000_NS6detail17trampoline_kernelINS0_14default_configENS1_25partition_config_selectorILNS1_17partition_subalgoE1EiNS0_10empty_typeEbEEZZNS1_14partition_implILS5_1ELb0ES3_jN6thrust23THRUST_200600_302600_NS6detail15normal_iteratorINSA_10device_ptrIiEEEEPS6_NSA_18transform_iteratorINSA_8identityIiEESF_NSA_11use_defaultESK_EENS0_5tupleIJSF_SF_EEENSM_IJSG_SG_EEES6_PlJS6_EEE10hipError_tPvRmT3_T4_T5_T6_T7_T9_mT8_P12ihipStream_tbDpT10_ENKUlT_T0_E_clISt17integral_constantIbLb1EES18_IbLb0EEEEDaS14_S15_EUlS14_E_NS1_11comp_targetILNS1_3genE10ELNS1_11target_archE1200ELNS1_3gpuE4ELNS1_3repE0EEENS1_30default_config_static_selectorELNS0_4arch9wavefront6targetE1EEEvT1_,comdat
	.protected	_ZN7rocprim17ROCPRIM_400000_NS6detail17trampoline_kernelINS0_14default_configENS1_25partition_config_selectorILNS1_17partition_subalgoE1EiNS0_10empty_typeEbEEZZNS1_14partition_implILS5_1ELb0ES3_jN6thrust23THRUST_200600_302600_NS6detail15normal_iteratorINSA_10device_ptrIiEEEEPS6_NSA_18transform_iteratorINSA_8identityIiEESF_NSA_11use_defaultESK_EENS0_5tupleIJSF_SF_EEENSM_IJSG_SG_EEES6_PlJS6_EEE10hipError_tPvRmT3_T4_T5_T6_T7_T9_mT8_P12ihipStream_tbDpT10_ENKUlT_T0_E_clISt17integral_constantIbLb1EES18_IbLb0EEEEDaS14_S15_EUlS14_E_NS1_11comp_targetILNS1_3genE10ELNS1_11target_archE1200ELNS1_3gpuE4ELNS1_3repE0EEENS1_30default_config_static_selectorELNS0_4arch9wavefront6targetE1EEEvT1_ ; -- Begin function _ZN7rocprim17ROCPRIM_400000_NS6detail17trampoline_kernelINS0_14default_configENS1_25partition_config_selectorILNS1_17partition_subalgoE1EiNS0_10empty_typeEbEEZZNS1_14partition_implILS5_1ELb0ES3_jN6thrust23THRUST_200600_302600_NS6detail15normal_iteratorINSA_10device_ptrIiEEEEPS6_NSA_18transform_iteratorINSA_8identityIiEESF_NSA_11use_defaultESK_EENS0_5tupleIJSF_SF_EEENSM_IJSG_SG_EEES6_PlJS6_EEE10hipError_tPvRmT3_T4_T5_T6_T7_T9_mT8_P12ihipStream_tbDpT10_ENKUlT_T0_E_clISt17integral_constantIbLb1EES18_IbLb0EEEEDaS14_S15_EUlS14_E_NS1_11comp_targetILNS1_3genE10ELNS1_11target_archE1200ELNS1_3gpuE4ELNS1_3repE0EEENS1_30default_config_static_selectorELNS0_4arch9wavefront6targetE1EEEvT1_
	.globl	_ZN7rocprim17ROCPRIM_400000_NS6detail17trampoline_kernelINS0_14default_configENS1_25partition_config_selectorILNS1_17partition_subalgoE1EiNS0_10empty_typeEbEEZZNS1_14partition_implILS5_1ELb0ES3_jN6thrust23THRUST_200600_302600_NS6detail15normal_iteratorINSA_10device_ptrIiEEEEPS6_NSA_18transform_iteratorINSA_8identityIiEESF_NSA_11use_defaultESK_EENS0_5tupleIJSF_SF_EEENSM_IJSG_SG_EEES6_PlJS6_EEE10hipError_tPvRmT3_T4_T5_T6_T7_T9_mT8_P12ihipStream_tbDpT10_ENKUlT_T0_E_clISt17integral_constantIbLb1EES18_IbLb0EEEEDaS14_S15_EUlS14_E_NS1_11comp_targetILNS1_3genE10ELNS1_11target_archE1200ELNS1_3gpuE4ELNS1_3repE0EEENS1_30default_config_static_selectorELNS0_4arch9wavefront6targetE1EEEvT1_
	.p2align	8
	.type	_ZN7rocprim17ROCPRIM_400000_NS6detail17trampoline_kernelINS0_14default_configENS1_25partition_config_selectorILNS1_17partition_subalgoE1EiNS0_10empty_typeEbEEZZNS1_14partition_implILS5_1ELb0ES3_jN6thrust23THRUST_200600_302600_NS6detail15normal_iteratorINSA_10device_ptrIiEEEEPS6_NSA_18transform_iteratorINSA_8identityIiEESF_NSA_11use_defaultESK_EENS0_5tupleIJSF_SF_EEENSM_IJSG_SG_EEES6_PlJS6_EEE10hipError_tPvRmT3_T4_T5_T6_T7_T9_mT8_P12ihipStream_tbDpT10_ENKUlT_T0_E_clISt17integral_constantIbLb1EES18_IbLb0EEEEDaS14_S15_EUlS14_E_NS1_11comp_targetILNS1_3genE10ELNS1_11target_archE1200ELNS1_3gpuE4ELNS1_3repE0EEENS1_30default_config_static_selectorELNS0_4arch9wavefront6targetE1EEEvT1_,@function
_ZN7rocprim17ROCPRIM_400000_NS6detail17trampoline_kernelINS0_14default_configENS1_25partition_config_selectorILNS1_17partition_subalgoE1EiNS0_10empty_typeEbEEZZNS1_14partition_implILS5_1ELb0ES3_jN6thrust23THRUST_200600_302600_NS6detail15normal_iteratorINSA_10device_ptrIiEEEEPS6_NSA_18transform_iteratorINSA_8identityIiEESF_NSA_11use_defaultESK_EENS0_5tupleIJSF_SF_EEENSM_IJSG_SG_EEES6_PlJS6_EEE10hipError_tPvRmT3_T4_T5_T6_T7_T9_mT8_P12ihipStream_tbDpT10_ENKUlT_T0_E_clISt17integral_constantIbLb1EES18_IbLb0EEEEDaS14_S15_EUlS14_E_NS1_11comp_targetILNS1_3genE10ELNS1_11target_archE1200ELNS1_3gpuE4ELNS1_3repE0EEENS1_30default_config_static_selectorELNS0_4arch9wavefront6targetE1EEEvT1_: ; @_ZN7rocprim17ROCPRIM_400000_NS6detail17trampoline_kernelINS0_14default_configENS1_25partition_config_selectorILNS1_17partition_subalgoE1EiNS0_10empty_typeEbEEZZNS1_14partition_implILS5_1ELb0ES3_jN6thrust23THRUST_200600_302600_NS6detail15normal_iteratorINSA_10device_ptrIiEEEEPS6_NSA_18transform_iteratorINSA_8identityIiEESF_NSA_11use_defaultESK_EENS0_5tupleIJSF_SF_EEENSM_IJSG_SG_EEES6_PlJS6_EEE10hipError_tPvRmT3_T4_T5_T6_T7_T9_mT8_P12ihipStream_tbDpT10_ENKUlT_T0_E_clISt17integral_constantIbLb1EES18_IbLb0EEEEDaS14_S15_EUlS14_E_NS1_11comp_targetILNS1_3genE10ELNS1_11target_archE1200ELNS1_3gpuE4ELNS1_3repE0EEENS1_30default_config_static_selectorELNS0_4arch9wavefront6targetE1EEEvT1_
; %bb.0:
	.section	.rodata,"a",@progbits
	.p2align	6, 0x0
	.amdhsa_kernel _ZN7rocprim17ROCPRIM_400000_NS6detail17trampoline_kernelINS0_14default_configENS1_25partition_config_selectorILNS1_17partition_subalgoE1EiNS0_10empty_typeEbEEZZNS1_14partition_implILS5_1ELb0ES3_jN6thrust23THRUST_200600_302600_NS6detail15normal_iteratorINSA_10device_ptrIiEEEEPS6_NSA_18transform_iteratorINSA_8identityIiEESF_NSA_11use_defaultESK_EENS0_5tupleIJSF_SF_EEENSM_IJSG_SG_EEES6_PlJS6_EEE10hipError_tPvRmT3_T4_T5_T6_T7_T9_mT8_P12ihipStream_tbDpT10_ENKUlT_T0_E_clISt17integral_constantIbLb1EES18_IbLb0EEEEDaS14_S15_EUlS14_E_NS1_11comp_targetILNS1_3genE10ELNS1_11target_archE1200ELNS1_3gpuE4ELNS1_3repE0EEENS1_30default_config_static_selectorELNS0_4arch9wavefront6targetE1EEEvT1_
		.amdhsa_group_segment_fixed_size 0
		.amdhsa_private_segment_fixed_size 0
		.amdhsa_kernarg_size 128
		.amdhsa_user_sgpr_count 2
		.amdhsa_user_sgpr_dispatch_ptr 0
		.amdhsa_user_sgpr_queue_ptr 0
		.amdhsa_user_sgpr_kernarg_segment_ptr 1
		.amdhsa_user_sgpr_dispatch_id 0
		.amdhsa_user_sgpr_kernarg_preload_length 0
		.amdhsa_user_sgpr_kernarg_preload_offset 0
		.amdhsa_user_sgpr_private_segment_size 0
		.amdhsa_uses_dynamic_stack 0
		.amdhsa_enable_private_segment 0
		.amdhsa_system_sgpr_workgroup_id_x 1
		.amdhsa_system_sgpr_workgroup_id_y 0
		.amdhsa_system_sgpr_workgroup_id_z 0
		.amdhsa_system_sgpr_workgroup_info 0
		.amdhsa_system_vgpr_workitem_id 0
		.amdhsa_next_free_vgpr 1
		.amdhsa_next_free_sgpr 0
		.amdhsa_accum_offset 4
		.amdhsa_reserve_vcc 0
		.amdhsa_float_round_mode_32 0
		.amdhsa_float_round_mode_16_64 0
		.amdhsa_float_denorm_mode_32 3
		.amdhsa_float_denorm_mode_16_64 3
		.amdhsa_dx10_clamp 1
		.amdhsa_ieee_mode 1
		.amdhsa_fp16_overflow 0
		.amdhsa_tg_split 0
		.amdhsa_exception_fp_ieee_invalid_op 0
		.amdhsa_exception_fp_denorm_src 0
		.amdhsa_exception_fp_ieee_div_zero 0
		.amdhsa_exception_fp_ieee_overflow 0
		.amdhsa_exception_fp_ieee_underflow 0
		.amdhsa_exception_fp_ieee_inexact 0
		.amdhsa_exception_int_div_zero 0
	.end_amdhsa_kernel
	.section	.text._ZN7rocprim17ROCPRIM_400000_NS6detail17trampoline_kernelINS0_14default_configENS1_25partition_config_selectorILNS1_17partition_subalgoE1EiNS0_10empty_typeEbEEZZNS1_14partition_implILS5_1ELb0ES3_jN6thrust23THRUST_200600_302600_NS6detail15normal_iteratorINSA_10device_ptrIiEEEEPS6_NSA_18transform_iteratorINSA_8identityIiEESF_NSA_11use_defaultESK_EENS0_5tupleIJSF_SF_EEENSM_IJSG_SG_EEES6_PlJS6_EEE10hipError_tPvRmT3_T4_T5_T6_T7_T9_mT8_P12ihipStream_tbDpT10_ENKUlT_T0_E_clISt17integral_constantIbLb1EES18_IbLb0EEEEDaS14_S15_EUlS14_E_NS1_11comp_targetILNS1_3genE10ELNS1_11target_archE1200ELNS1_3gpuE4ELNS1_3repE0EEENS1_30default_config_static_selectorELNS0_4arch9wavefront6targetE1EEEvT1_,"axG",@progbits,_ZN7rocprim17ROCPRIM_400000_NS6detail17trampoline_kernelINS0_14default_configENS1_25partition_config_selectorILNS1_17partition_subalgoE1EiNS0_10empty_typeEbEEZZNS1_14partition_implILS5_1ELb0ES3_jN6thrust23THRUST_200600_302600_NS6detail15normal_iteratorINSA_10device_ptrIiEEEEPS6_NSA_18transform_iteratorINSA_8identityIiEESF_NSA_11use_defaultESK_EENS0_5tupleIJSF_SF_EEENSM_IJSG_SG_EEES6_PlJS6_EEE10hipError_tPvRmT3_T4_T5_T6_T7_T9_mT8_P12ihipStream_tbDpT10_ENKUlT_T0_E_clISt17integral_constantIbLb1EES18_IbLb0EEEEDaS14_S15_EUlS14_E_NS1_11comp_targetILNS1_3genE10ELNS1_11target_archE1200ELNS1_3gpuE4ELNS1_3repE0EEENS1_30default_config_static_selectorELNS0_4arch9wavefront6targetE1EEEvT1_,comdat
.Lfunc_end630:
	.size	_ZN7rocprim17ROCPRIM_400000_NS6detail17trampoline_kernelINS0_14default_configENS1_25partition_config_selectorILNS1_17partition_subalgoE1EiNS0_10empty_typeEbEEZZNS1_14partition_implILS5_1ELb0ES3_jN6thrust23THRUST_200600_302600_NS6detail15normal_iteratorINSA_10device_ptrIiEEEEPS6_NSA_18transform_iteratorINSA_8identityIiEESF_NSA_11use_defaultESK_EENS0_5tupleIJSF_SF_EEENSM_IJSG_SG_EEES6_PlJS6_EEE10hipError_tPvRmT3_T4_T5_T6_T7_T9_mT8_P12ihipStream_tbDpT10_ENKUlT_T0_E_clISt17integral_constantIbLb1EES18_IbLb0EEEEDaS14_S15_EUlS14_E_NS1_11comp_targetILNS1_3genE10ELNS1_11target_archE1200ELNS1_3gpuE4ELNS1_3repE0EEENS1_30default_config_static_selectorELNS0_4arch9wavefront6targetE1EEEvT1_, .Lfunc_end630-_ZN7rocprim17ROCPRIM_400000_NS6detail17trampoline_kernelINS0_14default_configENS1_25partition_config_selectorILNS1_17partition_subalgoE1EiNS0_10empty_typeEbEEZZNS1_14partition_implILS5_1ELb0ES3_jN6thrust23THRUST_200600_302600_NS6detail15normal_iteratorINSA_10device_ptrIiEEEEPS6_NSA_18transform_iteratorINSA_8identityIiEESF_NSA_11use_defaultESK_EENS0_5tupleIJSF_SF_EEENSM_IJSG_SG_EEES6_PlJS6_EEE10hipError_tPvRmT3_T4_T5_T6_T7_T9_mT8_P12ihipStream_tbDpT10_ENKUlT_T0_E_clISt17integral_constantIbLb1EES18_IbLb0EEEEDaS14_S15_EUlS14_E_NS1_11comp_targetILNS1_3genE10ELNS1_11target_archE1200ELNS1_3gpuE4ELNS1_3repE0EEENS1_30default_config_static_selectorELNS0_4arch9wavefront6targetE1EEEvT1_
                                        ; -- End function
	.section	.AMDGPU.csdata,"",@progbits
; Kernel info:
; codeLenInByte = 0
; NumSgprs: 6
; NumVgprs: 0
; NumAgprs: 0
; TotalNumVgprs: 0
; ScratchSize: 0
; MemoryBound: 0
; FloatMode: 240
; IeeeMode: 1
; LDSByteSize: 0 bytes/workgroup (compile time only)
; SGPRBlocks: 0
; VGPRBlocks: 0
; NumSGPRsForWavesPerEU: 6
; NumVGPRsForWavesPerEU: 1
; AccumOffset: 4
; Occupancy: 8
; WaveLimiterHint : 0
; COMPUTE_PGM_RSRC2:SCRATCH_EN: 0
; COMPUTE_PGM_RSRC2:USER_SGPR: 2
; COMPUTE_PGM_RSRC2:TRAP_HANDLER: 0
; COMPUTE_PGM_RSRC2:TGID_X_EN: 1
; COMPUTE_PGM_RSRC2:TGID_Y_EN: 0
; COMPUTE_PGM_RSRC2:TGID_Z_EN: 0
; COMPUTE_PGM_RSRC2:TIDIG_COMP_CNT: 0
; COMPUTE_PGM_RSRC3_GFX90A:ACCUM_OFFSET: 0
; COMPUTE_PGM_RSRC3_GFX90A:TG_SPLIT: 0
	.section	.text._ZN7rocprim17ROCPRIM_400000_NS6detail17trampoline_kernelINS0_14default_configENS1_25partition_config_selectorILNS1_17partition_subalgoE1EiNS0_10empty_typeEbEEZZNS1_14partition_implILS5_1ELb0ES3_jN6thrust23THRUST_200600_302600_NS6detail15normal_iteratorINSA_10device_ptrIiEEEEPS6_NSA_18transform_iteratorINSA_8identityIiEESF_NSA_11use_defaultESK_EENS0_5tupleIJSF_SF_EEENSM_IJSG_SG_EEES6_PlJS6_EEE10hipError_tPvRmT3_T4_T5_T6_T7_T9_mT8_P12ihipStream_tbDpT10_ENKUlT_T0_E_clISt17integral_constantIbLb1EES18_IbLb0EEEEDaS14_S15_EUlS14_E_NS1_11comp_targetILNS1_3genE9ELNS1_11target_archE1100ELNS1_3gpuE3ELNS1_3repE0EEENS1_30default_config_static_selectorELNS0_4arch9wavefront6targetE1EEEvT1_,"axG",@progbits,_ZN7rocprim17ROCPRIM_400000_NS6detail17trampoline_kernelINS0_14default_configENS1_25partition_config_selectorILNS1_17partition_subalgoE1EiNS0_10empty_typeEbEEZZNS1_14partition_implILS5_1ELb0ES3_jN6thrust23THRUST_200600_302600_NS6detail15normal_iteratorINSA_10device_ptrIiEEEEPS6_NSA_18transform_iteratorINSA_8identityIiEESF_NSA_11use_defaultESK_EENS0_5tupleIJSF_SF_EEENSM_IJSG_SG_EEES6_PlJS6_EEE10hipError_tPvRmT3_T4_T5_T6_T7_T9_mT8_P12ihipStream_tbDpT10_ENKUlT_T0_E_clISt17integral_constantIbLb1EES18_IbLb0EEEEDaS14_S15_EUlS14_E_NS1_11comp_targetILNS1_3genE9ELNS1_11target_archE1100ELNS1_3gpuE3ELNS1_3repE0EEENS1_30default_config_static_selectorELNS0_4arch9wavefront6targetE1EEEvT1_,comdat
	.protected	_ZN7rocprim17ROCPRIM_400000_NS6detail17trampoline_kernelINS0_14default_configENS1_25partition_config_selectorILNS1_17partition_subalgoE1EiNS0_10empty_typeEbEEZZNS1_14partition_implILS5_1ELb0ES3_jN6thrust23THRUST_200600_302600_NS6detail15normal_iteratorINSA_10device_ptrIiEEEEPS6_NSA_18transform_iteratorINSA_8identityIiEESF_NSA_11use_defaultESK_EENS0_5tupleIJSF_SF_EEENSM_IJSG_SG_EEES6_PlJS6_EEE10hipError_tPvRmT3_T4_T5_T6_T7_T9_mT8_P12ihipStream_tbDpT10_ENKUlT_T0_E_clISt17integral_constantIbLb1EES18_IbLb0EEEEDaS14_S15_EUlS14_E_NS1_11comp_targetILNS1_3genE9ELNS1_11target_archE1100ELNS1_3gpuE3ELNS1_3repE0EEENS1_30default_config_static_selectorELNS0_4arch9wavefront6targetE1EEEvT1_ ; -- Begin function _ZN7rocprim17ROCPRIM_400000_NS6detail17trampoline_kernelINS0_14default_configENS1_25partition_config_selectorILNS1_17partition_subalgoE1EiNS0_10empty_typeEbEEZZNS1_14partition_implILS5_1ELb0ES3_jN6thrust23THRUST_200600_302600_NS6detail15normal_iteratorINSA_10device_ptrIiEEEEPS6_NSA_18transform_iteratorINSA_8identityIiEESF_NSA_11use_defaultESK_EENS0_5tupleIJSF_SF_EEENSM_IJSG_SG_EEES6_PlJS6_EEE10hipError_tPvRmT3_T4_T5_T6_T7_T9_mT8_P12ihipStream_tbDpT10_ENKUlT_T0_E_clISt17integral_constantIbLb1EES18_IbLb0EEEEDaS14_S15_EUlS14_E_NS1_11comp_targetILNS1_3genE9ELNS1_11target_archE1100ELNS1_3gpuE3ELNS1_3repE0EEENS1_30default_config_static_selectorELNS0_4arch9wavefront6targetE1EEEvT1_
	.globl	_ZN7rocprim17ROCPRIM_400000_NS6detail17trampoline_kernelINS0_14default_configENS1_25partition_config_selectorILNS1_17partition_subalgoE1EiNS0_10empty_typeEbEEZZNS1_14partition_implILS5_1ELb0ES3_jN6thrust23THRUST_200600_302600_NS6detail15normal_iteratorINSA_10device_ptrIiEEEEPS6_NSA_18transform_iteratorINSA_8identityIiEESF_NSA_11use_defaultESK_EENS0_5tupleIJSF_SF_EEENSM_IJSG_SG_EEES6_PlJS6_EEE10hipError_tPvRmT3_T4_T5_T6_T7_T9_mT8_P12ihipStream_tbDpT10_ENKUlT_T0_E_clISt17integral_constantIbLb1EES18_IbLb0EEEEDaS14_S15_EUlS14_E_NS1_11comp_targetILNS1_3genE9ELNS1_11target_archE1100ELNS1_3gpuE3ELNS1_3repE0EEENS1_30default_config_static_selectorELNS0_4arch9wavefront6targetE1EEEvT1_
	.p2align	8
	.type	_ZN7rocprim17ROCPRIM_400000_NS6detail17trampoline_kernelINS0_14default_configENS1_25partition_config_selectorILNS1_17partition_subalgoE1EiNS0_10empty_typeEbEEZZNS1_14partition_implILS5_1ELb0ES3_jN6thrust23THRUST_200600_302600_NS6detail15normal_iteratorINSA_10device_ptrIiEEEEPS6_NSA_18transform_iteratorINSA_8identityIiEESF_NSA_11use_defaultESK_EENS0_5tupleIJSF_SF_EEENSM_IJSG_SG_EEES6_PlJS6_EEE10hipError_tPvRmT3_T4_T5_T6_T7_T9_mT8_P12ihipStream_tbDpT10_ENKUlT_T0_E_clISt17integral_constantIbLb1EES18_IbLb0EEEEDaS14_S15_EUlS14_E_NS1_11comp_targetILNS1_3genE9ELNS1_11target_archE1100ELNS1_3gpuE3ELNS1_3repE0EEENS1_30default_config_static_selectorELNS0_4arch9wavefront6targetE1EEEvT1_,@function
_ZN7rocprim17ROCPRIM_400000_NS6detail17trampoline_kernelINS0_14default_configENS1_25partition_config_selectorILNS1_17partition_subalgoE1EiNS0_10empty_typeEbEEZZNS1_14partition_implILS5_1ELb0ES3_jN6thrust23THRUST_200600_302600_NS6detail15normal_iteratorINSA_10device_ptrIiEEEEPS6_NSA_18transform_iteratorINSA_8identityIiEESF_NSA_11use_defaultESK_EENS0_5tupleIJSF_SF_EEENSM_IJSG_SG_EEES6_PlJS6_EEE10hipError_tPvRmT3_T4_T5_T6_T7_T9_mT8_P12ihipStream_tbDpT10_ENKUlT_T0_E_clISt17integral_constantIbLb1EES18_IbLb0EEEEDaS14_S15_EUlS14_E_NS1_11comp_targetILNS1_3genE9ELNS1_11target_archE1100ELNS1_3gpuE3ELNS1_3repE0EEENS1_30default_config_static_selectorELNS0_4arch9wavefront6targetE1EEEvT1_: ; @_ZN7rocprim17ROCPRIM_400000_NS6detail17trampoline_kernelINS0_14default_configENS1_25partition_config_selectorILNS1_17partition_subalgoE1EiNS0_10empty_typeEbEEZZNS1_14partition_implILS5_1ELb0ES3_jN6thrust23THRUST_200600_302600_NS6detail15normal_iteratorINSA_10device_ptrIiEEEEPS6_NSA_18transform_iteratorINSA_8identityIiEESF_NSA_11use_defaultESK_EENS0_5tupleIJSF_SF_EEENSM_IJSG_SG_EEES6_PlJS6_EEE10hipError_tPvRmT3_T4_T5_T6_T7_T9_mT8_P12ihipStream_tbDpT10_ENKUlT_T0_E_clISt17integral_constantIbLb1EES18_IbLb0EEEEDaS14_S15_EUlS14_E_NS1_11comp_targetILNS1_3genE9ELNS1_11target_archE1100ELNS1_3gpuE3ELNS1_3repE0EEENS1_30default_config_static_selectorELNS0_4arch9wavefront6targetE1EEEvT1_
; %bb.0:
	.section	.rodata,"a",@progbits
	.p2align	6, 0x0
	.amdhsa_kernel _ZN7rocprim17ROCPRIM_400000_NS6detail17trampoline_kernelINS0_14default_configENS1_25partition_config_selectorILNS1_17partition_subalgoE1EiNS0_10empty_typeEbEEZZNS1_14partition_implILS5_1ELb0ES3_jN6thrust23THRUST_200600_302600_NS6detail15normal_iteratorINSA_10device_ptrIiEEEEPS6_NSA_18transform_iteratorINSA_8identityIiEESF_NSA_11use_defaultESK_EENS0_5tupleIJSF_SF_EEENSM_IJSG_SG_EEES6_PlJS6_EEE10hipError_tPvRmT3_T4_T5_T6_T7_T9_mT8_P12ihipStream_tbDpT10_ENKUlT_T0_E_clISt17integral_constantIbLb1EES18_IbLb0EEEEDaS14_S15_EUlS14_E_NS1_11comp_targetILNS1_3genE9ELNS1_11target_archE1100ELNS1_3gpuE3ELNS1_3repE0EEENS1_30default_config_static_selectorELNS0_4arch9wavefront6targetE1EEEvT1_
		.amdhsa_group_segment_fixed_size 0
		.amdhsa_private_segment_fixed_size 0
		.amdhsa_kernarg_size 128
		.amdhsa_user_sgpr_count 2
		.amdhsa_user_sgpr_dispatch_ptr 0
		.amdhsa_user_sgpr_queue_ptr 0
		.amdhsa_user_sgpr_kernarg_segment_ptr 1
		.amdhsa_user_sgpr_dispatch_id 0
		.amdhsa_user_sgpr_kernarg_preload_length 0
		.amdhsa_user_sgpr_kernarg_preload_offset 0
		.amdhsa_user_sgpr_private_segment_size 0
		.amdhsa_uses_dynamic_stack 0
		.amdhsa_enable_private_segment 0
		.amdhsa_system_sgpr_workgroup_id_x 1
		.amdhsa_system_sgpr_workgroup_id_y 0
		.amdhsa_system_sgpr_workgroup_id_z 0
		.amdhsa_system_sgpr_workgroup_info 0
		.amdhsa_system_vgpr_workitem_id 0
		.amdhsa_next_free_vgpr 1
		.amdhsa_next_free_sgpr 0
		.amdhsa_accum_offset 4
		.amdhsa_reserve_vcc 0
		.amdhsa_float_round_mode_32 0
		.amdhsa_float_round_mode_16_64 0
		.amdhsa_float_denorm_mode_32 3
		.amdhsa_float_denorm_mode_16_64 3
		.amdhsa_dx10_clamp 1
		.amdhsa_ieee_mode 1
		.amdhsa_fp16_overflow 0
		.amdhsa_tg_split 0
		.amdhsa_exception_fp_ieee_invalid_op 0
		.amdhsa_exception_fp_denorm_src 0
		.amdhsa_exception_fp_ieee_div_zero 0
		.amdhsa_exception_fp_ieee_overflow 0
		.amdhsa_exception_fp_ieee_underflow 0
		.amdhsa_exception_fp_ieee_inexact 0
		.amdhsa_exception_int_div_zero 0
	.end_amdhsa_kernel
	.section	.text._ZN7rocprim17ROCPRIM_400000_NS6detail17trampoline_kernelINS0_14default_configENS1_25partition_config_selectorILNS1_17partition_subalgoE1EiNS0_10empty_typeEbEEZZNS1_14partition_implILS5_1ELb0ES3_jN6thrust23THRUST_200600_302600_NS6detail15normal_iteratorINSA_10device_ptrIiEEEEPS6_NSA_18transform_iteratorINSA_8identityIiEESF_NSA_11use_defaultESK_EENS0_5tupleIJSF_SF_EEENSM_IJSG_SG_EEES6_PlJS6_EEE10hipError_tPvRmT3_T4_T5_T6_T7_T9_mT8_P12ihipStream_tbDpT10_ENKUlT_T0_E_clISt17integral_constantIbLb1EES18_IbLb0EEEEDaS14_S15_EUlS14_E_NS1_11comp_targetILNS1_3genE9ELNS1_11target_archE1100ELNS1_3gpuE3ELNS1_3repE0EEENS1_30default_config_static_selectorELNS0_4arch9wavefront6targetE1EEEvT1_,"axG",@progbits,_ZN7rocprim17ROCPRIM_400000_NS6detail17trampoline_kernelINS0_14default_configENS1_25partition_config_selectorILNS1_17partition_subalgoE1EiNS0_10empty_typeEbEEZZNS1_14partition_implILS5_1ELb0ES3_jN6thrust23THRUST_200600_302600_NS6detail15normal_iteratorINSA_10device_ptrIiEEEEPS6_NSA_18transform_iteratorINSA_8identityIiEESF_NSA_11use_defaultESK_EENS0_5tupleIJSF_SF_EEENSM_IJSG_SG_EEES6_PlJS6_EEE10hipError_tPvRmT3_T4_T5_T6_T7_T9_mT8_P12ihipStream_tbDpT10_ENKUlT_T0_E_clISt17integral_constantIbLb1EES18_IbLb0EEEEDaS14_S15_EUlS14_E_NS1_11comp_targetILNS1_3genE9ELNS1_11target_archE1100ELNS1_3gpuE3ELNS1_3repE0EEENS1_30default_config_static_selectorELNS0_4arch9wavefront6targetE1EEEvT1_,comdat
.Lfunc_end631:
	.size	_ZN7rocprim17ROCPRIM_400000_NS6detail17trampoline_kernelINS0_14default_configENS1_25partition_config_selectorILNS1_17partition_subalgoE1EiNS0_10empty_typeEbEEZZNS1_14partition_implILS5_1ELb0ES3_jN6thrust23THRUST_200600_302600_NS6detail15normal_iteratorINSA_10device_ptrIiEEEEPS6_NSA_18transform_iteratorINSA_8identityIiEESF_NSA_11use_defaultESK_EENS0_5tupleIJSF_SF_EEENSM_IJSG_SG_EEES6_PlJS6_EEE10hipError_tPvRmT3_T4_T5_T6_T7_T9_mT8_P12ihipStream_tbDpT10_ENKUlT_T0_E_clISt17integral_constantIbLb1EES18_IbLb0EEEEDaS14_S15_EUlS14_E_NS1_11comp_targetILNS1_3genE9ELNS1_11target_archE1100ELNS1_3gpuE3ELNS1_3repE0EEENS1_30default_config_static_selectorELNS0_4arch9wavefront6targetE1EEEvT1_, .Lfunc_end631-_ZN7rocprim17ROCPRIM_400000_NS6detail17trampoline_kernelINS0_14default_configENS1_25partition_config_selectorILNS1_17partition_subalgoE1EiNS0_10empty_typeEbEEZZNS1_14partition_implILS5_1ELb0ES3_jN6thrust23THRUST_200600_302600_NS6detail15normal_iteratorINSA_10device_ptrIiEEEEPS6_NSA_18transform_iteratorINSA_8identityIiEESF_NSA_11use_defaultESK_EENS0_5tupleIJSF_SF_EEENSM_IJSG_SG_EEES6_PlJS6_EEE10hipError_tPvRmT3_T4_T5_T6_T7_T9_mT8_P12ihipStream_tbDpT10_ENKUlT_T0_E_clISt17integral_constantIbLb1EES18_IbLb0EEEEDaS14_S15_EUlS14_E_NS1_11comp_targetILNS1_3genE9ELNS1_11target_archE1100ELNS1_3gpuE3ELNS1_3repE0EEENS1_30default_config_static_selectorELNS0_4arch9wavefront6targetE1EEEvT1_
                                        ; -- End function
	.section	.AMDGPU.csdata,"",@progbits
; Kernel info:
; codeLenInByte = 0
; NumSgprs: 6
; NumVgprs: 0
; NumAgprs: 0
; TotalNumVgprs: 0
; ScratchSize: 0
; MemoryBound: 0
; FloatMode: 240
; IeeeMode: 1
; LDSByteSize: 0 bytes/workgroup (compile time only)
; SGPRBlocks: 0
; VGPRBlocks: 0
; NumSGPRsForWavesPerEU: 6
; NumVGPRsForWavesPerEU: 1
; AccumOffset: 4
; Occupancy: 8
; WaveLimiterHint : 0
; COMPUTE_PGM_RSRC2:SCRATCH_EN: 0
; COMPUTE_PGM_RSRC2:USER_SGPR: 2
; COMPUTE_PGM_RSRC2:TRAP_HANDLER: 0
; COMPUTE_PGM_RSRC2:TGID_X_EN: 1
; COMPUTE_PGM_RSRC2:TGID_Y_EN: 0
; COMPUTE_PGM_RSRC2:TGID_Z_EN: 0
; COMPUTE_PGM_RSRC2:TIDIG_COMP_CNT: 0
; COMPUTE_PGM_RSRC3_GFX90A:ACCUM_OFFSET: 0
; COMPUTE_PGM_RSRC3_GFX90A:TG_SPLIT: 0
	.section	.text._ZN7rocprim17ROCPRIM_400000_NS6detail17trampoline_kernelINS0_14default_configENS1_25partition_config_selectorILNS1_17partition_subalgoE1EiNS0_10empty_typeEbEEZZNS1_14partition_implILS5_1ELb0ES3_jN6thrust23THRUST_200600_302600_NS6detail15normal_iteratorINSA_10device_ptrIiEEEEPS6_NSA_18transform_iteratorINSA_8identityIiEESF_NSA_11use_defaultESK_EENS0_5tupleIJSF_SF_EEENSM_IJSG_SG_EEES6_PlJS6_EEE10hipError_tPvRmT3_T4_T5_T6_T7_T9_mT8_P12ihipStream_tbDpT10_ENKUlT_T0_E_clISt17integral_constantIbLb1EES18_IbLb0EEEEDaS14_S15_EUlS14_E_NS1_11comp_targetILNS1_3genE8ELNS1_11target_archE1030ELNS1_3gpuE2ELNS1_3repE0EEENS1_30default_config_static_selectorELNS0_4arch9wavefront6targetE1EEEvT1_,"axG",@progbits,_ZN7rocprim17ROCPRIM_400000_NS6detail17trampoline_kernelINS0_14default_configENS1_25partition_config_selectorILNS1_17partition_subalgoE1EiNS0_10empty_typeEbEEZZNS1_14partition_implILS5_1ELb0ES3_jN6thrust23THRUST_200600_302600_NS6detail15normal_iteratorINSA_10device_ptrIiEEEEPS6_NSA_18transform_iteratorINSA_8identityIiEESF_NSA_11use_defaultESK_EENS0_5tupleIJSF_SF_EEENSM_IJSG_SG_EEES6_PlJS6_EEE10hipError_tPvRmT3_T4_T5_T6_T7_T9_mT8_P12ihipStream_tbDpT10_ENKUlT_T0_E_clISt17integral_constantIbLb1EES18_IbLb0EEEEDaS14_S15_EUlS14_E_NS1_11comp_targetILNS1_3genE8ELNS1_11target_archE1030ELNS1_3gpuE2ELNS1_3repE0EEENS1_30default_config_static_selectorELNS0_4arch9wavefront6targetE1EEEvT1_,comdat
	.protected	_ZN7rocprim17ROCPRIM_400000_NS6detail17trampoline_kernelINS0_14default_configENS1_25partition_config_selectorILNS1_17partition_subalgoE1EiNS0_10empty_typeEbEEZZNS1_14partition_implILS5_1ELb0ES3_jN6thrust23THRUST_200600_302600_NS6detail15normal_iteratorINSA_10device_ptrIiEEEEPS6_NSA_18transform_iteratorINSA_8identityIiEESF_NSA_11use_defaultESK_EENS0_5tupleIJSF_SF_EEENSM_IJSG_SG_EEES6_PlJS6_EEE10hipError_tPvRmT3_T4_T5_T6_T7_T9_mT8_P12ihipStream_tbDpT10_ENKUlT_T0_E_clISt17integral_constantIbLb1EES18_IbLb0EEEEDaS14_S15_EUlS14_E_NS1_11comp_targetILNS1_3genE8ELNS1_11target_archE1030ELNS1_3gpuE2ELNS1_3repE0EEENS1_30default_config_static_selectorELNS0_4arch9wavefront6targetE1EEEvT1_ ; -- Begin function _ZN7rocprim17ROCPRIM_400000_NS6detail17trampoline_kernelINS0_14default_configENS1_25partition_config_selectorILNS1_17partition_subalgoE1EiNS0_10empty_typeEbEEZZNS1_14partition_implILS5_1ELb0ES3_jN6thrust23THRUST_200600_302600_NS6detail15normal_iteratorINSA_10device_ptrIiEEEEPS6_NSA_18transform_iteratorINSA_8identityIiEESF_NSA_11use_defaultESK_EENS0_5tupleIJSF_SF_EEENSM_IJSG_SG_EEES6_PlJS6_EEE10hipError_tPvRmT3_T4_T5_T6_T7_T9_mT8_P12ihipStream_tbDpT10_ENKUlT_T0_E_clISt17integral_constantIbLb1EES18_IbLb0EEEEDaS14_S15_EUlS14_E_NS1_11comp_targetILNS1_3genE8ELNS1_11target_archE1030ELNS1_3gpuE2ELNS1_3repE0EEENS1_30default_config_static_selectorELNS0_4arch9wavefront6targetE1EEEvT1_
	.globl	_ZN7rocprim17ROCPRIM_400000_NS6detail17trampoline_kernelINS0_14default_configENS1_25partition_config_selectorILNS1_17partition_subalgoE1EiNS0_10empty_typeEbEEZZNS1_14partition_implILS5_1ELb0ES3_jN6thrust23THRUST_200600_302600_NS6detail15normal_iteratorINSA_10device_ptrIiEEEEPS6_NSA_18transform_iteratorINSA_8identityIiEESF_NSA_11use_defaultESK_EENS0_5tupleIJSF_SF_EEENSM_IJSG_SG_EEES6_PlJS6_EEE10hipError_tPvRmT3_T4_T5_T6_T7_T9_mT8_P12ihipStream_tbDpT10_ENKUlT_T0_E_clISt17integral_constantIbLb1EES18_IbLb0EEEEDaS14_S15_EUlS14_E_NS1_11comp_targetILNS1_3genE8ELNS1_11target_archE1030ELNS1_3gpuE2ELNS1_3repE0EEENS1_30default_config_static_selectorELNS0_4arch9wavefront6targetE1EEEvT1_
	.p2align	8
	.type	_ZN7rocprim17ROCPRIM_400000_NS6detail17trampoline_kernelINS0_14default_configENS1_25partition_config_selectorILNS1_17partition_subalgoE1EiNS0_10empty_typeEbEEZZNS1_14partition_implILS5_1ELb0ES3_jN6thrust23THRUST_200600_302600_NS6detail15normal_iteratorINSA_10device_ptrIiEEEEPS6_NSA_18transform_iteratorINSA_8identityIiEESF_NSA_11use_defaultESK_EENS0_5tupleIJSF_SF_EEENSM_IJSG_SG_EEES6_PlJS6_EEE10hipError_tPvRmT3_T4_T5_T6_T7_T9_mT8_P12ihipStream_tbDpT10_ENKUlT_T0_E_clISt17integral_constantIbLb1EES18_IbLb0EEEEDaS14_S15_EUlS14_E_NS1_11comp_targetILNS1_3genE8ELNS1_11target_archE1030ELNS1_3gpuE2ELNS1_3repE0EEENS1_30default_config_static_selectorELNS0_4arch9wavefront6targetE1EEEvT1_,@function
_ZN7rocprim17ROCPRIM_400000_NS6detail17trampoline_kernelINS0_14default_configENS1_25partition_config_selectorILNS1_17partition_subalgoE1EiNS0_10empty_typeEbEEZZNS1_14partition_implILS5_1ELb0ES3_jN6thrust23THRUST_200600_302600_NS6detail15normal_iteratorINSA_10device_ptrIiEEEEPS6_NSA_18transform_iteratorINSA_8identityIiEESF_NSA_11use_defaultESK_EENS0_5tupleIJSF_SF_EEENSM_IJSG_SG_EEES6_PlJS6_EEE10hipError_tPvRmT3_T4_T5_T6_T7_T9_mT8_P12ihipStream_tbDpT10_ENKUlT_T0_E_clISt17integral_constantIbLb1EES18_IbLb0EEEEDaS14_S15_EUlS14_E_NS1_11comp_targetILNS1_3genE8ELNS1_11target_archE1030ELNS1_3gpuE2ELNS1_3repE0EEENS1_30default_config_static_selectorELNS0_4arch9wavefront6targetE1EEEvT1_: ; @_ZN7rocprim17ROCPRIM_400000_NS6detail17trampoline_kernelINS0_14default_configENS1_25partition_config_selectorILNS1_17partition_subalgoE1EiNS0_10empty_typeEbEEZZNS1_14partition_implILS5_1ELb0ES3_jN6thrust23THRUST_200600_302600_NS6detail15normal_iteratorINSA_10device_ptrIiEEEEPS6_NSA_18transform_iteratorINSA_8identityIiEESF_NSA_11use_defaultESK_EENS0_5tupleIJSF_SF_EEENSM_IJSG_SG_EEES6_PlJS6_EEE10hipError_tPvRmT3_T4_T5_T6_T7_T9_mT8_P12ihipStream_tbDpT10_ENKUlT_T0_E_clISt17integral_constantIbLb1EES18_IbLb0EEEEDaS14_S15_EUlS14_E_NS1_11comp_targetILNS1_3genE8ELNS1_11target_archE1030ELNS1_3gpuE2ELNS1_3repE0EEENS1_30default_config_static_selectorELNS0_4arch9wavefront6targetE1EEEvT1_
; %bb.0:
	.section	.rodata,"a",@progbits
	.p2align	6, 0x0
	.amdhsa_kernel _ZN7rocprim17ROCPRIM_400000_NS6detail17trampoline_kernelINS0_14default_configENS1_25partition_config_selectorILNS1_17partition_subalgoE1EiNS0_10empty_typeEbEEZZNS1_14partition_implILS5_1ELb0ES3_jN6thrust23THRUST_200600_302600_NS6detail15normal_iteratorINSA_10device_ptrIiEEEEPS6_NSA_18transform_iteratorINSA_8identityIiEESF_NSA_11use_defaultESK_EENS0_5tupleIJSF_SF_EEENSM_IJSG_SG_EEES6_PlJS6_EEE10hipError_tPvRmT3_T4_T5_T6_T7_T9_mT8_P12ihipStream_tbDpT10_ENKUlT_T0_E_clISt17integral_constantIbLb1EES18_IbLb0EEEEDaS14_S15_EUlS14_E_NS1_11comp_targetILNS1_3genE8ELNS1_11target_archE1030ELNS1_3gpuE2ELNS1_3repE0EEENS1_30default_config_static_selectorELNS0_4arch9wavefront6targetE1EEEvT1_
		.amdhsa_group_segment_fixed_size 0
		.amdhsa_private_segment_fixed_size 0
		.amdhsa_kernarg_size 128
		.amdhsa_user_sgpr_count 2
		.amdhsa_user_sgpr_dispatch_ptr 0
		.amdhsa_user_sgpr_queue_ptr 0
		.amdhsa_user_sgpr_kernarg_segment_ptr 1
		.amdhsa_user_sgpr_dispatch_id 0
		.amdhsa_user_sgpr_kernarg_preload_length 0
		.amdhsa_user_sgpr_kernarg_preload_offset 0
		.amdhsa_user_sgpr_private_segment_size 0
		.amdhsa_uses_dynamic_stack 0
		.amdhsa_enable_private_segment 0
		.amdhsa_system_sgpr_workgroup_id_x 1
		.amdhsa_system_sgpr_workgroup_id_y 0
		.amdhsa_system_sgpr_workgroup_id_z 0
		.amdhsa_system_sgpr_workgroup_info 0
		.amdhsa_system_vgpr_workitem_id 0
		.amdhsa_next_free_vgpr 1
		.amdhsa_next_free_sgpr 0
		.amdhsa_accum_offset 4
		.amdhsa_reserve_vcc 0
		.amdhsa_float_round_mode_32 0
		.amdhsa_float_round_mode_16_64 0
		.amdhsa_float_denorm_mode_32 3
		.amdhsa_float_denorm_mode_16_64 3
		.amdhsa_dx10_clamp 1
		.amdhsa_ieee_mode 1
		.amdhsa_fp16_overflow 0
		.amdhsa_tg_split 0
		.amdhsa_exception_fp_ieee_invalid_op 0
		.amdhsa_exception_fp_denorm_src 0
		.amdhsa_exception_fp_ieee_div_zero 0
		.amdhsa_exception_fp_ieee_overflow 0
		.amdhsa_exception_fp_ieee_underflow 0
		.amdhsa_exception_fp_ieee_inexact 0
		.amdhsa_exception_int_div_zero 0
	.end_amdhsa_kernel
	.section	.text._ZN7rocprim17ROCPRIM_400000_NS6detail17trampoline_kernelINS0_14default_configENS1_25partition_config_selectorILNS1_17partition_subalgoE1EiNS0_10empty_typeEbEEZZNS1_14partition_implILS5_1ELb0ES3_jN6thrust23THRUST_200600_302600_NS6detail15normal_iteratorINSA_10device_ptrIiEEEEPS6_NSA_18transform_iteratorINSA_8identityIiEESF_NSA_11use_defaultESK_EENS0_5tupleIJSF_SF_EEENSM_IJSG_SG_EEES6_PlJS6_EEE10hipError_tPvRmT3_T4_T5_T6_T7_T9_mT8_P12ihipStream_tbDpT10_ENKUlT_T0_E_clISt17integral_constantIbLb1EES18_IbLb0EEEEDaS14_S15_EUlS14_E_NS1_11comp_targetILNS1_3genE8ELNS1_11target_archE1030ELNS1_3gpuE2ELNS1_3repE0EEENS1_30default_config_static_selectorELNS0_4arch9wavefront6targetE1EEEvT1_,"axG",@progbits,_ZN7rocprim17ROCPRIM_400000_NS6detail17trampoline_kernelINS0_14default_configENS1_25partition_config_selectorILNS1_17partition_subalgoE1EiNS0_10empty_typeEbEEZZNS1_14partition_implILS5_1ELb0ES3_jN6thrust23THRUST_200600_302600_NS6detail15normal_iteratorINSA_10device_ptrIiEEEEPS6_NSA_18transform_iteratorINSA_8identityIiEESF_NSA_11use_defaultESK_EENS0_5tupleIJSF_SF_EEENSM_IJSG_SG_EEES6_PlJS6_EEE10hipError_tPvRmT3_T4_T5_T6_T7_T9_mT8_P12ihipStream_tbDpT10_ENKUlT_T0_E_clISt17integral_constantIbLb1EES18_IbLb0EEEEDaS14_S15_EUlS14_E_NS1_11comp_targetILNS1_3genE8ELNS1_11target_archE1030ELNS1_3gpuE2ELNS1_3repE0EEENS1_30default_config_static_selectorELNS0_4arch9wavefront6targetE1EEEvT1_,comdat
.Lfunc_end632:
	.size	_ZN7rocprim17ROCPRIM_400000_NS6detail17trampoline_kernelINS0_14default_configENS1_25partition_config_selectorILNS1_17partition_subalgoE1EiNS0_10empty_typeEbEEZZNS1_14partition_implILS5_1ELb0ES3_jN6thrust23THRUST_200600_302600_NS6detail15normal_iteratorINSA_10device_ptrIiEEEEPS6_NSA_18transform_iteratorINSA_8identityIiEESF_NSA_11use_defaultESK_EENS0_5tupleIJSF_SF_EEENSM_IJSG_SG_EEES6_PlJS6_EEE10hipError_tPvRmT3_T4_T5_T6_T7_T9_mT8_P12ihipStream_tbDpT10_ENKUlT_T0_E_clISt17integral_constantIbLb1EES18_IbLb0EEEEDaS14_S15_EUlS14_E_NS1_11comp_targetILNS1_3genE8ELNS1_11target_archE1030ELNS1_3gpuE2ELNS1_3repE0EEENS1_30default_config_static_selectorELNS0_4arch9wavefront6targetE1EEEvT1_, .Lfunc_end632-_ZN7rocprim17ROCPRIM_400000_NS6detail17trampoline_kernelINS0_14default_configENS1_25partition_config_selectorILNS1_17partition_subalgoE1EiNS0_10empty_typeEbEEZZNS1_14partition_implILS5_1ELb0ES3_jN6thrust23THRUST_200600_302600_NS6detail15normal_iteratorINSA_10device_ptrIiEEEEPS6_NSA_18transform_iteratorINSA_8identityIiEESF_NSA_11use_defaultESK_EENS0_5tupleIJSF_SF_EEENSM_IJSG_SG_EEES6_PlJS6_EEE10hipError_tPvRmT3_T4_T5_T6_T7_T9_mT8_P12ihipStream_tbDpT10_ENKUlT_T0_E_clISt17integral_constantIbLb1EES18_IbLb0EEEEDaS14_S15_EUlS14_E_NS1_11comp_targetILNS1_3genE8ELNS1_11target_archE1030ELNS1_3gpuE2ELNS1_3repE0EEENS1_30default_config_static_selectorELNS0_4arch9wavefront6targetE1EEEvT1_
                                        ; -- End function
	.section	.AMDGPU.csdata,"",@progbits
; Kernel info:
; codeLenInByte = 0
; NumSgprs: 6
; NumVgprs: 0
; NumAgprs: 0
; TotalNumVgprs: 0
; ScratchSize: 0
; MemoryBound: 0
; FloatMode: 240
; IeeeMode: 1
; LDSByteSize: 0 bytes/workgroup (compile time only)
; SGPRBlocks: 0
; VGPRBlocks: 0
; NumSGPRsForWavesPerEU: 6
; NumVGPRsForWavesPerEU: 1
; AccumOffset: 4
; Occupancy: 8
; WaveLimiterHint : 0
; COMPUTE_PGM_RSRC2:SCRATCH_EN: 0
; COMPUTE_PGM_RSRC2:USER_SGPR: 2
; COMPUTE_PGM_RSRC2:TRAP_HANDLER: 0
; COMPUTE_PGM_RSRC2:TGID_X_EN: 1
; COMPUTE_PGM_RSRC2:TGID_Y_EN: 0
; COMPUTE_PGM_RSRC2:TGID_Z_EN: 0
; COMPUTE_PGM_RSRC2:TIDIG_COMP_CNT: 0
; COMPUTE_PGM_RSRC3_GFX90A:ACCUM_OFFSET: 0
; COMPUTE_PGM_RSRC3_GFX90A:TG_SPLIT: 0
	.section	.text._ZN7rocprim17ROCPRIM_400000_NS6detail17trampoline_kernelINS0_14default_configENS1_25partition_config_selectorILNS1_17partition_subalgoE1EiNS0_10empty_typeEbEEZZNS1_14partition_implILS5_1ELb0ES3_jN6thrust23THRUST_200600_302600_NS6detail15normal_iteratorINSA_10device_ptrIiEEEEPS6_NSA_18transform_iteratorINSA_8identityIiEESF_NSA_11use_defaultESK_EENS0_5tupleIJSF_SF_EEENSM_IJSG_SG_EEES6_PlJS6_EEE10hipError_tPvRmT3_T4_T5_T6_T7_T9_mT8_P12ihipStream_tbDpT10_ENKUlT_T0_E_clISt17integral_constantIbLb0EES18_IbLb1EEEEDaS14_S15_EUlS14_E_NS1_11comp_targetILNS1_3genE0ELNS1_11target_archE4294967295ELNS1_3gpuE0ELNS1_3repE0EEENS1_30default_config_static_selectorELNS0_4arch9wavefront6targetE1EEEvT1_,"axG",@progbits,_ZN7rocprim17ROCPRIM_400000_NS6detail17trampoline_kernelINS0_14default_configENS1_25partition_config_selectorILNS1_17partition_subalgoE1EiNS0_10empty_typeEbEEZZNS1_14partition_implILS5_1ELb0ES3_jN6thrust23THRUST_200600_302600_NS6detail15normal_iteratorINSA_10device_ptrIiEEEEPS6_NSA_18transform_iteratorINSA_8identityIiEESF_NSA_11use_defaultESK_EENS0_5tupleIJSF_SF_EEENSM_IJSG_SG_EEES6_PlJS6_EEE10hipError_tPvRmT3_T4_T5_T6_T7_T9_mT8_P12ihipStream_tbDpT10_ENKUlT_T0_E_clISt17integral_constantIbLb0EES18_IbLb1EEEEDaS14_S15_EUlS14_E_NS1_11comp_targetILNS1_3genE0ELNS1_11target_archE4294967295ELNS1_3gpuE0ELNS1_3repE0EEENS1_30default_config_static_selectorELNS0_4arch9wavefront6targetE1EEEvT1_,comdat
	.protected	_ZN7rocprim17ROCPRIM_400000_NS6detail17trampoline_kernelINS0_14default_configENS1_25partition_config_selectorILNS1_17partition_subalgoE1EiNS0_10empty_typeEbEEZZNS1_14partition_implILS5_1ELb0ES3_jN6thrust23THRUST_200600_302600_NS6detail15normal_iteratorINSA_10device_ptrIiEEEEPS6_NSA_18transform_iteratorINSA_8identityIiEESF_NSA_11use_defaultESK_EENS0_5tupleIJSF_SF_EEENSM_IJSG_SG_EEES6_PlJS6_EEE10hipError_tPvRmT3_T4_T5_T6_T7_T9_mT8_P12ihipStream_tbDpT10_ENKUlT_T0_E_clISt17integral_constantIbLb0EES18_IbLb1EEEEDaS14_S15_EUlS14_E_NS1_11comp_targetILNS1_3genE0ELNS1_11target_archE4294967295ELNS1_3gpuE0ELNS1_3repE0EEENS1_30default_config_static_selectorELNS0_4arch9wavefront6targetE1EEEvT1_ ; -- Begin function _ZN7rocprim17ROCPRIM_400000_NS6detail17trampoline_kernelINS0_14default_configENS1_25partition_config_selectorILNS1_17partition_subalgoE1EiNS0_10empty_typeEbEEZZNS1_14partition_implILS5_1ELb0ES3_jN6thrust23THRUST_200600_302600_NS6detail15normal_iteratorINSA_10device_ptrIiEEEEPS6_NSA_18transform_iteratorINSA_8identityIiEESF_NSA_11use_defaultESK_EENS0_5tupleIJSF_SF_EEENSM_IJSG_SG_EEES6_PlJS6_EEE10hipError_tPvRmT3_T4_T5_T6_T7_T9_mT8_P12ihipStream_tbDpT10_ENKUlT_T0_E_clISt17integral_constantIbLb0EES18_IbLb1EEEEDaS14_S15_EUlS14_E_NS1_11comp_targetILNS1_3genE0ELNS1_11target_archE4294967295ELNS1_3gpuE0ELNS1_3repE0EEENS1_30default_config_static_selectorELNS0_4arch9wavefront6targetE1EEEvT1_
	.globl	_ZN7rocprim17ROCPRIM_400000_NS6detail17trampoline_kernelINS0_14default_configENS1_25partition_config_selectorILNS1_17partition_subalgoE1EiNS0_10empty_typeEbEEZZNS1_14partition_implILS5_1ELb0ES3_jN6thrust23THRUST_200600_302600_NS6detail15normal_iteratorINSA_10device_ptrIiEEEEPS6_NSA_18transform_iteratorINSA_8identityIiEESF_NSA_11use_defaultESK_EENS0_5tupleIJSF_SF_EEENSM_IJSG_SG_EEES6_PlJS6_EEE10hipError_tPvRmT3_T4_T5_T6_T7_T9_mT8_P12ihipStream_tbDpT10_ENKUlT_T0_E_clISt17integral_constantIbLb0EES18_IbLb1EEEEDaS14_S15_EUlS14_E_NS1_11comp_targetILNS1_3genE0ELNS1_11target_archE4294967295ELNS1_3gpuE0ELNS1_3repE0EEENS1_30default_config_static_selectorELNS0_4arch9wavefront6targetE1EEEvT1_
	.p2align	8
	.type	_ZN7rocprim17ROCPRIM_400000_NS6detail17trampoline_kernelINS0_14default_configENS1_25partition_config_selectorILNS1_17partition_subalgoE1EiNS0_10empty_typeEbEEZZNS1_14partition_implILS5_1ELb0ES3_jN6thrust23THRUST_200600_302600_NS6detail15normal_iteratorINSA_10device_ptrIiEEEEPS6_NSA_18transform_iteratorINSA_8identityIiEESF_NSA_11use_defaultESK_EENS0_5tupleIJSF_SF_EEENSM_IJSG_SG_EEES6_PlJS6_EEE10hipError_tPvRmT3_T4_T5_T6_T7_T9_mT8_P12ihipStream_tbDpT10_ENKUlT_T0_E_clISt17integral_constantIbLb0EES18_IbLb1EEEEDaS14_S15_EUlS14_E_NS1_11comp_targetILNS1_3genE0ELNS1_11target_archE4294967295ELNS1_3gpuE0ELNS1_3repE0EEENS1_30default_config_static_selectorELNS0_4arch9wavefront6targetE1EEEvT1_,@function
_ZN7rocprim17ROCPRIM_400000_NS6detail17trampoline_kernelINS0_14default_configENS1_25partition_config_selectorILNS1_17partition_subalgoE1EiNS0_10empty_typeEbEEZZNS1_14partition_implILS5_1ELb0ES3_jN6thrust23THRUST_200600_302600_NS6detail15normal_iteratorINSA_10device_ptrIiEEEEPS6_NSA_18transform_iteratorINSA_8identityIiEESF_NSA_11use_defaultESK_EENS0_5tupleIJSF_SF_EEENSM_IJSG_SG_EEES6_PlJS6_EEE10hipError_tPvRmT3_T4_T5_T6_T7_T9_mT8_P12ihipStream_tbDpT10_ENKUlT_T0_E_clISt17integral_constantIbLb0EES18_IbLb1EEEEDaS14_S15_EUlS14_E_NS1_11comp_targetILNS1_3genE0ELNS1_11target_archE4294967295ELNS1_3gpuE0ELNS1_3repE0EEENS1_30default_config_static_selectorELNS0_4arch9wavefront6targetE1EEEvT1_: ; @_ZN7rocprim17ROCPRIM_400000_NS6detail17trampoline_kernelINS0_14default_configENS1_25partition_config_selectorILNS1_17partition_subalgoE1EiNS0_10empty_typeEbEEZZNS1_14partition_implILS5_1ELb0ES3_jN6thrust23THRUST_200600_302600_NS6detail15normal_iteratorINSA_10device_ptrIiEEEEPS6_NSA_18transform_iteratorINSA_8identityIiEESF_NSA_11use_defaultESK_EENS0_5tupleIJSF_SF_EEENSM_IJSG_SG_EEES6_PlJS6_EEE10hipError_tPvRmT3_T4_T5_T6_T7_T9_mT8_P12ihipStream_tbDpT10_ENKUlT_T0_E_clISt17integral_constantIbLb0EES18_IbLb1EEEEDaS14_S15_EUlS14_E_NS1_11comp_targetILNS1_3genE0ELNS1_11target_archE4294967295ELNS1_3gpuE0ELNS1_3repE0EEENS1_30default_config_static_selectorELNS0_4arch9wavefront6targetE1EEEvT1_
; %bb.0:
	.section	.rodata,"a",@progbits
	.p2align	6, 0x0
	.amdhsa_kernel _ZN7rocprim17ROCPRIM_400000_NS6detail17trampoline_kernelINS0_14default_configENS1_25partition_config_selectorILNS1_17partition_subalgoE1EiNS0_10empty_typeEbEEZZNS1_14partition_implILS5_1ELb0ES3_jN6thrust23THRUST_200600_302600_NS6detail15normal_iteratorINSA_10device_ptrIiEEEEPS6_NSA_18transform_iteratorINSA_8identityIiEESF_NSA_11use_defaultESK_EENS0_5tupleIJSF_SF_EEENSM_IJSG_SG_EEES6_PlJS6_EEE10hipError_tPvRmT3_T4_T5_T6_T7_T9_mT8_P12ihipStream_tbDpT10_ENKUlT_T0_E_clISt17integral_constantIbLb0EES18_IbLb1EEEEDaS14_S15_EUlS14_E_NS1_11comp_targetILNS1_3genE0ELNS1_11target_archE4294967295ELNS1_3gpuE0ELNS1_3repE0EEENS1_30default_config_static_selectorELNS0_4arch9wavefront6targetE1EEEvT1_
		.amdhsa_group_segment_fixed_size 0
		.amdhsa_private_segment_fixed_size 0
		.amdhsa_kernarg_size 144
		.amdhsa_user_sgpr_count 2
		.amdhsa_user_sgpr_dispatch_ptr 0
		.amdhsa_user_sgpr_queue_ptr 0
		.amdhsa_user_sgpr_kernarg_segment_ptr 1
		.amdhsa_user_sgpr_dispatch_id 0
		.amdhsa_user_sgpr_kernarg_preload_length 0
		.amdhsa_user_sgpr_kernarg_preload_offset 0
		.amdhsa_user_sgpr_private_segment_size 0
		.amdhsa_uses_dynamic_stack 0
		.amdhsa_enable_private_segment 0
		.amdhsa_system_sgpr_workgroup_id_x 1
		.amdhsa_system_sgpr_workgroup_id_y 0
		.amdhsa_system_sgpr_workgroup_id_z 0
		.amdhsa_system_sgpr_workgroup_info 0
		.amdhsa_system_vgpr_workitem_id 0
		.amdhsa_next_free_vgpr 1
		.amdhsa_next_free_sgpr 0
		.amdhsa_accum_offset 4
		.amdhsa_reserve_vcc 0
		.amdhsa_float_round_mode_32 0
		.amdhsa_float_round_mode_16_64 0
		.amdhsa_float_denorm_mode_32 3
		.amdhsa_float_denorm_mode_16_64 3
		.amdhsa_dx10_clamp 1
		.amdhsa_ieee_mode 1
		.amdhsa_fp16_overflow 0
		.amdhsa_tg_split 0
		.amdhsa_exception_fp_ieee_invalid_op 0
		.amdhsa_exception_fp_denorm_src 0
		.amdhsa_exception_fp_ieee_div_zero 0
		.amdhsa_exception_fp_ieee_overflow 0
		.amdhsa_exception_fp_ieee_underflow 0
		.amdhsa_exception_fp_ieee_inexact 0
		.amdhsa_exception_int_div_zero 0
	.end_amdhsa_kernel
	.section	.text._ZN7rocprim17ROCPRIM_400000_NS6detail17trampoline_kernelINS0_14default_configENS1_25partition_config_selectorILNS1_17partition_subalgoE1EiNS0_10empty_typeEbEEZZNS1_14partition_implILS5_1ELb0ES3_jN6thrust23THRUST_200600_302600_NS6detail15normal_iteratorINSA_10device_ptrIiEEEEPS6_NSA_18transform_iteratorINSA_8identityIiEESF_NSA_11use_defaultESK_EENS0_5tupleIJSF_SF_EEENSM_IJSG_SG_EEES6_PlJS6_EEE10hipError_tPvRmT3_T4_T5_T6_T7_T9_mT8_P12ihipStream_tbDpT10_ENKUlT_T0_E_clISt17integral_constantIbLb0EES18_IbLb1EEEEDaS14_S15_EUlS14_E_NS1_11comp_targetILNS1_3genE0ELNS1_11target_archE4294967295ELNS1_3gpuE0ELNS1_3repE0EEENS1_30default_config_static_selectorELNS0_4arch9wavefront6targetE1EEEvT1_,"axG",@progbits,_ZN7rocprim17ROCPRIM_400000_NS6detail17trampoline_kernelINS0_14default_configENS1_25partition_config_selectorILNS1_17partition_subalgoE1EiNS0_10empty_typeEbEEZZNS1_14partition_implILS5_1ELb0ES3_jN6thrust23THRUST_200600_302600_NS6detail15normal_iteratorINSA_10device_ptrIiEEEEPS6_NSA_18transform_iteratorINSA_8identityIiEESF_NSA_11use_defaultESK_EENS0_5tupleIJSF_SF_EEENSM_IJSG_SG_EEES6_PlJS6_EEE10hipError_tPvRmT3_T4_T5_T6_T7_T9_mT8_P12ihipStream_tbDpT10_ENKUlT_T0_E_clISt17integral_constantIbLb0EES18_IbLb1EEEEDaS14_S15_EUlS14_E_NS1_11comp_targetILNS1_3genE0ELNS1_11target_archE4294967295ELNS1_3gpuE0ELNS1_3repE0EEENS1_30default_config_static_selectorELNS0_4arch9wavefront6targetE1EEEvT1_,comdat
.Lfunc_end633:
	.size	_ZN7rocprim17ROCPRIM_400000_NS6detail17trampoline_kernelINS0_14default_configENS1_25partition_config_selectorILNS1_17partition_subalgoE1EiNS0_10empty_typeEbEEZZNS1_14partition_implILS5_1ELb0ES3_jN6thrust23THRUST_200600_302600_NS6detail15normal_iteratorINSA_10device_ptrIiEEEEPS6_NSA_18transform_iteratorINSA_8identityIiEESF_NSA_11use_defaultESK_EENS0_5tupleIJSF_SF_EEENSM_IJSG_SG_EEES6_PlJS6_EEE10hipError_tPvRmT3_T4_T5_T6_T7_T9_mT8_P12ihipStream_tbDpT10_ENKUlT_T0_E_clISt17integral_constantIbLb0EES18_IbLb1EEEEDaS14_S15_EUlS14_E_NS1_11comp_targetILNS1_3genE0ELNS1_11target_archE4294967295ELNS1_3gpuE0ELNS1_3repE0EEENS1_30default_config_static_selectorELNS0_4arch9wavefront6targetE1EEEvT1_, .Lfunc_end633-_ZN7rocprim17ROCPRIM_400000_NS6detail17trampoline_kernelINS0_14default_configENS1_25partition_config_selectorILNS1_17partition_subalgoE1EiNS0_10empty_typeEbEEZZNS1_14partition_implILS5_1ELb0ES3_jN6thrust23THRUST_200600_302600_NS6detail15normal_iteratorINSA_10device_ptrIiEEEEPS6_NSA_18transform_iteratorINSA_8identityIiEESF_NSA_11use_defaultESK_EENS0_5tupleIJSF_SF_EEENSM_IJSG_SG_EEES6_PlJS6_EEE10hipError_tPvRmT3_T4_T5_T6_T7_T9_mT8_P12ihipStream_tbDpT10_ENKUlT_T0_E_clISt17integral_constantIbLb0EES18_IbLb1EEEEDaS14_S15_EUlS14_E_NS1_11comp_targetILNS1_3genE0ELNS1_11target_archE4294967295ELNS1_3gpuE0ELNS1_3repE0EEENS1_30default_config_static_selectorELNS0_4arch9wavefront6targetE1EEEvT1_
                                        ; -- End function
	.section	.AMDGPU.csdata,"",@progbits
; Kernel info:
; codeLenInByte = 0
; NumSgprs: 6
; NumVgprs: 0
; NumAgprs: 0
; TotalNumVgprs: 0
; ScratchSize: 0
; MemoryBound: 0
; FloatMode: 240
; IeeeMode: 1
; LDSByteSize: 0 bytes/workgroup (compile time only)
; SGPRBlocks: 0
; VGPRBlocks: 0
; NumSGPRsForWavesPerEU: 6
; NumVGPRsForWavesPerEU: 1
; AccumOffset: 4
; Occupancy: 8
; WaveLimiterHint : 0
; COMPUTE_PGM_RSRC2:SCRATCH_EN: 0
; COMPUTE_PGM_RSRC2:USER_SGPR: 2
; COMPUTE_PGM_RSRC2:TRAP_HANDLER: 0
; COMPUTE_PGM_RSRC2:TGID_X_EN: 1
; COMPUTE_PGM_RSRC2:TGID_Y_EN: 0
; COMPUTE_PGM_RSRC2:TGID_Z_EN: 0
; COMPUTE_PGM_RSRC2:TIDIG_COMP_CNT: 0
; COMPUTE_PGM_RSRC3_GFX90A:ACCUM_OFFSET: 0
; COMPUTE_PGM_RSRC3_GFX90A:TG_SPLIT: 0
	.section	.text._ZN7rocprim17ROCPRIM_400000_NS6detail17trampoline_kernelINS0_14default_configENS1_25partition_config_selectorILNS1_17partition_subalgoE1EiNS0_10empty_typeEbEEZZNS1_14partition_implILS5_1ELb0ES3_jN6thrust23THRUST_200600_302600_NS6detail15normal_iteratorINSA_10device_ptrIiEEEEPS6_NSA_18transform_iteratorINSA_8identityIiEESF_NSA_11use_defaultESK_EENS0_5tupleIJSF_SF_EEENSM_IJSG_SG_EEES6_PlJS6_EEE10hipError_tPvRmT3_T4_T5_T6_T7_T9_mT8_P12ihipStream_tbDpT10_ENKUlT_T0_E_clISt17integral_constantIbLb0EES18_IbLb1EEEEDaS14_S15_EUlS14_E_NS1_11comp_targetILNS1_3genE5ELNS1_11target_archE942ELNS1_3gpuE9ELNS1_3repE0EEENS1_30default_config_static_selectorELNS0_4arch9wavefront6targetE1EEEvT1_,"axG",@progbits,_ZN7rocprim17ROCPRIM_400000_NS6detail17trampoline_kernelINS0_14default_configENS1_25partition_config_selectorILNS1_17partition_subalgoE1EiNS0_10empty_typeEbEEZZNS1_14partition_implILS5_1ELb0ES3_jN6thrust23THRUST_200600_302600_NS6detail15normal_iteratorINSA_10device_ptrIiEEEEPS6_NSA_18transform_iteratorINSA_8identityIiEESF_NSA_11use_defaultESK_EENS0_5tupleIJSF_SF_EEENSM_IJSG_SG_EEES6_PlJS6_EEE10hipError_tPvRmT3_T4_T5_T6_T7_T9_mT8_P12ihipStream_tbDpT10_ENKUlT_T0_E_clISt17integral_constantIbLb0EES18_IbLb1EEEEDaS14_S15_EUlS14_E_NS1_11comp_targetILNS1_3genE5ELNS1_11target_archE942ELNS1_3gpuE9ELNS1_3repE0EEENS1_30default_config_static_selectorELNS0_4arch9wavefront6targetE1EEEvT1_,comdat
	.protected	_ZN7rocprim17ROCPRIM_400000_NS6detail17trampoline_kernelINS0_14default_configENS1_25partition_config_selectorILNS1_17partition_subalgoE1EiNS0_10empty_typeEbEEZZNS1_14partition_implILS5_1ELb0ES3_jN6thrust23THRUST_200600_302600_NS6detail15normal_iteratorINSA_10device_ptrIiEEEEPS6_NSA_18transform_iteratorINSA_8identityIiEESF_NSA_11use_defaultESK_EENS0_5tupleIJSF_SF_EEENSM_IJSG_SG_EEES6_PlJS6_EEE10hipError_tPvRmT3_T4_T5_T6_T7_T9_mT8_P12ihipStream_tbDpT10_ENKUlT_T0_E_clISt17integral_constantIbLb0EES18_IbLb1EEEEDaS14_S15_EUlS14_E_NS1_11comp_targetILNS1_3genE5ELNS1_11target_archE942ELNS1_3gpuE9ELNS1_3repE0EEENS1_30default_config_static_selectorELNS0_4arch9wavefront6targetE1EEEvT1_ ; -- Begin function _ZN7rocprim17ROCPRIM_400000_NS6detail17trampoline_kernelINS0_14default_configENS1_25partition_config_selectorILNS1_17partition_subalgoE1EiNS0_10empty_typeEbEEZZNS1_14partition_implILS5_1ELb0ES3_jN6thrust23THRUST_200600_302600_NS6detail15normal_iteratorINSA_10device_ptrIiEEEEPS6_NSA_18transform_iteratorINSA_8identityIiEESF_NSA_11use_defaultESK_EENS0_5tupleIJSF_SF_EEENSM_IJSG_SG_EEES6_PlJS6_EEE10hipError_tPvRmT3_T4_T5_T6_T7_T9_mT8_P12ihipStream_tbDpT10_ENKUlT_T0_E_clISt17integral_constantIbLb0EES18_IbLb1EEEEDaS14_S15_EUlS14_E_NS1_11comp_targetILNS1_3genE5ELNS1_11target_archE942ELNS1_3gpuE9ELNS1_3repE0EEENS1_30default_config_static_selectorELNS0_4arch9wavefront6targetE1EEEvT1_
	.globl	_ZN7rocprim17ROCPRIM_400000_NS6detail17trampoline_kernelINS0_14default_configENS1_25partition_config_selectorILNS1_17partition_subalgoE1EiNS0_10empty_typeEbEEZZNS1_14partition_implILS5_1ELb0ES3_jN6thrust23THRUST_200600_302600_NS6detail15normal_iteratorINSA_10device_ptrIiEEEEPS6_NSA_18transform_iteratorINSA_8identityIiEESF_NSA_11use_defaultESK_EENS0_5tupleIJSF_SF_EEENSM_IJSG_SG_EEES6_PlJS6_EEE10hipError_tPvRmT3_T4_T5_T6_T7_T9_mT8_P12ihipStream_tbDpT10_ENKUlT_T0_E_clISt17integral_constantIbLb0EES18_IbLb1EEEEDaS14_S15_EUlS14_E_NS1_11comp_targetILNS1_3genE5ELNS1_11target_archE942ELNS1_3gpuE9ELNS1_3repE0EEENS1_30default_config_static_selectorELNS0_4arch9wavefront6targetE1EEEvT1_
	.p2align	8
	.type	_ZN7rocprim17ROCPRIM_400000_NS6detail17trampoline_kernelINS0_14default_configENS1_25partition_config_selectorILNS1_17partition_subalgoE1EiNS0_10empty_typeEbEEZZNS1_14partition_implILS5_1ELb0ES3_jN6thrust23THRUST_200600_302600_NS6detail15normal_iteratorINSA_10device_ptrIiEEEEPS6_NSA_18transform_iteratorINSA_8identityIiEESF_NSA_11use_defaultESK_EENS0_5tupleIJSF_SF_EEENSM_IJSG_SG_EEES6_PlJS6_EEE10hipError_tPvRmT3_T4_T5_T6_T7_T9_mT8_P12ihipStream_tbDpT10_ENKUlT_T0_E_clISt17integral_constantIbLb0EES18_IbLb1EEEEDaS14_S15_EUlS14_E_NS1_11comp_targetILNS1_3genE5ELNS1_11target_archE942ELNS1_3gpuE9ELNS1_3repE0EEENS1_30default_config_static_selectorELNS0_4arch9wavefront6targetE1EEEvT1_,@function
_ZN7rocprim17ROCPRIM_400000_NS6detail17trampoline_kernelINS0_14default_configENS1_25partition_config_selectorILNS1_17partition_subalgoE1EiNS0_10empty_typeEbEEZZNS1_14partition_implILS5_1ELb0ES3_jN6thrust23THRUST_200600_302600_NS6detail15normal_iteratorINSA_10device_ptrIiEEEEPS6_NSA_18transform_iteratorINSA_8identityIiEESF_NSA_11use_defaultESK_EENS0_5tupleIJSF_SF_EEENSM_IJSG_SG_EEES6_PlJS6_EEE10hipError_tPvRmT3_T4_T5_T6_T7_T9_mT8_P12ihipStream_tbDpT10_ENKUlT_T0_E_clISt17integral_constantIbLb0EES18_IbLb1EEEEDaS14_S15_EUlS14_E_NS1_11comp_targetILNS1_3genE5ELNS1_11target_archE942ELNS1_3gpuE9ELNS1_3repE0EEENS1_30default_config_static_selectorELNS0_4arch9wavefront6targetE1EEEvT1_: ; @_ZN7rocprim17ROCPRIM_400000_NS6detail17trampoline_kernelINS0_14default_configENS1_25partition_config_selectorILNS1_17partition_subalgoE1EiNS0_10empty_typeEbEEZZNS1_14partition_implILS5_1ELb0ES3_jN6thrust23THRUST_200600_302600_NS6detail15normal_iteratorINSA_10device_ptrIiEEEEPS6_NSA_18transform_iteratorINSA_8identityIiEESF_NSA_11use_defaultESK_EENS0_5tupleIJSF_SF_EEENSM_IJSG_SG_EEES6_PlJS6_EEE10hipError_tPvRmT3_T4_T5_T6_T7_T9_mT8_P12ihipStream_tbDpT10_ENKUlT_T0_E_clISt17integral_constantIbLb0EES18_IbLb1EEEEDaS14_S15_EUlS14_E_NS1_11comp_targetILNS1_3genE5ELNS1_11target_archE942ELNS1_3gpuE9ELNS1_3repE0EEENS1_30default_config_static_selectorELNS0_4arch9wavefront6targetE1EEEvT1_
; %bb.0:
	s_load_dwordx2 s[2:3], s[0:1], 0x20
	s_load_dwordx4 s[20:23], s[0:1], 0x50
	s_load_dwordx2 s[6:7], s[0:1], 0x60
	s_load_dwordx2 s[34:35], s[0:1], 0x70
	v_cmp_eq_u32_e64 s[18:19], 0, v0
	s_and_saveexec_b64 s[4:5], s[18:19]
	s_cbranch_execz .LBB634_4
; %bb.1:
	s_mov_b64 s[10:11], exec
	v_mbcnt_lo_u32_b32 v1, s10, 0
	v_mbcnt_hi_u32_b32 v1, s11, v1
	v_cmp_eq_u32_e32 vcc, 0, v1
                                        ; implicit-def: $vgpr2
	s_and_saveexec_b64 s[8:9], vcc
	s_cbranch_execz .LBB634_3
; %bb.2:
	s_load_dwordx2 s[12:13], s[0:1], 0x80
	s_bcnt1_i32_b64 s10, s[10:11]
	v_mov_b32_e32 v2, 0
	v_mov_b32_e32 v3, s10
	s_waitcnt lgkmcnt(0)
	global_atomic_add v2, v2, v3, s[12:13] sc0
.LBB634_3:
	s_or_b64 exec, exec, s[8:9]
	s_waitcnt vmcnt(0)
	v_readfirstlane_b32 s8, v2
	v_mov_b32_e32 v2, 0
	s_nop 0
	v_add_u32_e32 v1, s8, v1
	ds_write_b32 v2, v1
.LBB634_4:
	s_or_b64 exec, exec, s[4:5]
	v_mov_b32_e32 v23, 0
	s_load_dwordx4 s[28:31], s[0:1], 0x8
	s_load_dwordx4 s[24:27], s[0:1], 0x30
	s_load_dword s8, s[0:1], 0x78
	s_waitcnt lgkmcnt(0)
	s_barrier
	ds_read_b32 v1, v23
	s_waitcnt lgkmcnt(0)
	s_barrier
	global_load_dwordx2 v[24:25], v23, s[22:23]
	v_mov_b32_e32 v3, s7
	s_lshl_b64 s[4:5], s[30:31], 2
	s_movk_i32 s7, 0x1e00
	s_add_u32 s0, s28, s4
	v_mul_lo_u32 v22, v1, s7
	s_mul_i32 s7, s8, 0x1e00
	s_addc_u32 s1, s29, s5
	s_add_i32 s9, s8, -1
	s_add_i32 s8, s7, s30
	s_sub_i32 s33, s6, s8
	s_addk_i32 s33, 0x1e00
	v_mov_b32_e32 v2, s6
	s_add_u32 s6, s30, s7
	v_readfirstlane_b32 s40, v1
	s_addc_u32 s7, s31, 0
	s_cmp_eq_u32 s40, s9
	s_cselect_b64 s[22:23], -1, 0
	s_cmp_lg_u32 s40, s9
	v_cmp_lt_u64_e32 vcc, s[6:7], v[2:3]
	s_cselect_b64 s[6:7], -1, 0
	s_or_b64 s[28:29], vcc, s[6:7]
	v_lshlrev_b64 v[26:27], 2, v[22:23]
	v_lshl_add_u64 v[18:19], s[0:1], 0, v[26:27]
	s_mov_b64 s[0:1], -1
	s_and_b64 vcc, exec, s[28:29]
	v_lshlrev_b32_e32 v22, 2, v0
	s_cbranch_vccz .LBB634_6
; %bb.5:
	v_lshl_add_u64 v[2:3], v[18:19], 0, v[22:23]
	v_add_co_u32_e32 v4, vcc, 0x1000, v2
	s_mov_b64 s[0:1], 0
	s_nop 0
	v_addc_co_u32_e32 v5, vcc, 0, v3, vcc
	v_add_co_u32_e32 v6, vcc, 0x2000, v2
	s_nop 1
	v_addc_co_u32_e32 v7, vcc, 0, v3, vcc
	v_add_co_u32_e32 v8, vcc, 0x3000, v2
	s_nop 1
	v_addc_co_u32_e32 v9, vcc, 0, v3, vcc
	flat_load_dword v1, v[2:3]
	flat_load_dword v10, v[2:3] offset:2048
	flat_load_dword v11, v[4:5]
	flat_load_dword v12, v[4:5] offset:2048
	flat_load_dword v13, v[6:7]
	flat_load_dword v14, v[6:7] offset:2048
	flat_load_dword v15, v[8:9]
	flat_load_dword v16, v[8:9] offset:2048
	v_add_co_u32_e32 v4, vcc, 0x4000, v2
	s_nop 1
	v_addc_co_u32_e32 v5, vcc, 0, v3, vcc
	v_add_co_u32_e32 v6, vcc, 0x5000, v2
	s_nop 1
	v_addc_co_u32_e32 v7, vcc, 0, v3, vcc
	;; [unrolled: 3-line block ×4, first 2 shown]
	flat_load_dword v17, v[4:5]
	flat_load_dword v20, v[4:5] offset:2048
	flat_load_dword v21, v[6:7]
	flat_load_dword v23, v[6:7] offset:2048
	;; [unrolled: 2-line block ×3, first 2 shown]
	flat_load_dword v30, v[2:3]
	s_waitcnt vmcnt(0) lgkmcnt(0)
	ds_write2st64_b32 v22, v1, v10 offset1:8
	ds_write2st64_b32 v22, v11, v12 offset0:16 offset1:24
	ds_write2st64_b32 v22, v13, v14 offset0:32 offset1:40
	;; [unrolled: 1-line block ×6, first 2 shown]
	ds_write_b32 v22, v30 offset:28672
	s_waitcnt lgkmcnt(0)
	s_barrier
.LBB634_6:
	s_andn2_b64 vcc, exec, s[0:1]
	v_cmp_gt_u32_e64 s[0:1], s33, v0
	s_cbranch_vccnz .LBB634_38
; %bb.7:
                                        ; implicit-def: $vgpr2_vgpr3_vgpr4_vgpr5_vgpr6_vgpr7_vgpr8_vgpr9_vgpr10_vgpr11_vgpr12_vgpr13_vgpr14_vgpr15_vgpr16_vgpr17
	s_and_saveexec_b64 s[6:7], s[0:1]
	s_cbranch_execz .LBB634_9
; %bb.8:
	v_mov_b32_e32 v23, 0
	v_lshl_add_u64 v[2:3], v[18:19], 0, v[22:23]
	flat_load_dword v2, v[2:3]
.LBB634_9:
	s_or_b64 exec, exec, s[6:7]
	v_or_b32_e32 v1, 0x200, v0
	v_cmp_gt_u32_e32 vcc, s33, v1
	s_and_saveexec_b64 s[0:1], vcc
	s_cbranch_execz .LBB634_11
; %bb.10:
	v_mov_b32_e32 v23, 0
	v_lshl_add_u64 v[20:21], v[18:19], 0, v[22:23]
	flat_load_dword v3, v[20:21] offset:2048
.LBB634_11:
	s_or_b64 exec, exec, s[0:1]
	v_or_b32_e32 v1, 0x400, v0
	v_cmp_gt_u32_e32 vcc, s33, v1
	s_and_saveexec_b64 s[0:1], vcc
	s_cbranch_execz .LBB634_13
; %bb.12:
	v_lshlrev_b32_e32 v20, 2, v1
	v_mov_b32_e32 v21, 0
	v_lshl_add_u64 v[20:21], v[18:19], 0, v[20:21]
	flat_load_dword v4, v[20:21]
.LBB634_13:
	s_or_b64 exec, exec, s[0:1]
	v_or_b32_e32 v1, 0x600, v0
	v_cmp_gt_u32_e32 vcc, s33, v1
	s_and_saveexec_b64 s[0:1], vcc
	s_cbranch_execz .LBB634_15
; %bb.14:
	v_lshlrev_b32_e32 v20, 2, v1
	v_mov_b32_e32 v21, 0
	v_lshl_add_u64 v[20:21], v[18:19], 0, v[20:21]
	flat_load_dword v5, v[20:21]
.LBB634_15:
	;; [unrolled: 11-line block ×13, first 2 shown]
	s_or_b64 exec, exec, s[0:1]
	s_waitcnt vmcnt(0) lgkmcnt(0)
	ds_write2st64_b32 v22, v2, v3 offset1:8
	ds_write2st64_b32 v22, v4, v5 offset0:16 offset1:24
	ds_write2st64_b32 v22, v6, v7 offset0:32 offset1:40
	ds_write2st64_b32 v22, v8, v9 offset0:48 offset1:56
	ds_write2st64_b32 v22, v10, v11 offset0:64 offset1:72
	ds_write2st64_b32 v22, v12, v13 offset0:80 offset1:88
	ds_write2st64_b32 v22, v14, v15 offset0:96 offset1:104
	ds_write_b32 v22, v16 offset:28672
	s_waitcnt lgkmcnt(0)
	s_barrier
.LBB634_38:
	v_mul_u32_u24_e32 v21, 15, v0
	v_lshlrev_b32_e32 v1, 2, v21
	ds_read2_b32 v[40:41], v1 offset1:1
	ds_read2_b32 v[38:39], v1 offset0:2 offset1:3
	ds_read2_b32 v[36:37], v1 offset0:4 offset1:5
	;; [unrolled: 1-line block ×6, first 2 shown]
	ds_read_b32 v1, v1 offset:56
	s_add_u32 s0, s2, s4
	s_addc_u32 s1, s3, s5
	v_lshl_add_u64 v[2:3], s[0:1], 0, v[26:27]
	s_mov_b64 s[0:1], -1
	s_and_b64 vcc, exec, s[28:29]
	s_waitcnt lgkmcnt(0)
	s_barrier
	s_cbranch_vccz .LBB634_40
; %bb.39:
	v_mov_b32_e32 v23, 0
	v_lshl_add_u64 v[4:5], v[2:3], 0, v[22:23]
	v_readfirstlane_b32 s0, v2
	v_readfirstlane_b32 s1, v3
	v_add_co_u32_e32 v6, vcc, 0x1000, v4
	s_nop 3
	global_load_dword v12, v22, s[0:1]
	global_load_dword v13, v22, s[0:1] offset:2048
	v_addc_co_u32_e32 v7, vcc, 0, v5, vcc
	global_load_dword v14, v[6:7], off
	global_load_dword v15, v[6:7], off offset:2048
	v_add_co_u32_e32 v6, vcc, 0x2000, v4
	s_mov_b64 s[0:1], 0
	s_nop 0
	v_addc_co_u32_e32 v7, vcc, 0, v5, vcc
	v_add_co_u32_e32 v8, vcc, 0x3000, v4
	s_nop 1
	v_addc_co_u32_e32 v9, vcc, 0, v5, vcc
	v_add_co_u32_e32 v10, vcc, 0x4000, v4
	s_nop 1
	v_addc_co_u32_e32 v11, vcc, 0, v5, vcc
	global_load_dword v16, v[6:7], off
	global_load_dword v17, v[6:7], off offset:2048
	global_load_dword v18, v[8:9], off
	global_load_dword v19, v[8:9], off offset:2048
	;; [unrolled: 2-line block ×3, first 2 shown]
	v_add_co_u32_e32 v6, vcc, 0x5000, v4
	s_nop 1
	v_addc_co_u32_e32 v7, vcc, 0, v5, vcc
	v_add_co_u32_e32 v8, vcc, 0x6000, v4
	s_nop 1
	v_addc_co_u32_e32 v9, vcc, 0, v5, vcc
	v_add_co_u32_e32 v4, vcc, 0x7000, v4
	global_load_dword v10, v[6:7], off
	global_load_dword v11, v[6:7], off offset:2048
	global_load_dword v42, v[8:9], off
	global_load_dword v43, v[8:9], off offset:2048
	v_addc_co_u32_e32 v5, vcc, 0, v5, vcc
	global_load_dword v4, v[4:5], off
	s_waitcnt vmcnt(14)
	v_cmp_ne_u32_e32 vcc, 0, v12
	s_nop 1
	v_cndmask_b32_e64 v5, 0, 1, vcc
	s_waitcnt vmcnt(13)
	v_cmp_ne_u32_e32 vcc, 0, v13
	s_nop 1
	v_cndmask_b32_e64 v6, 0, 1, vcc
	s_waitcnt vmcnt(12)
	v_cmp_ne_u32_e32 vcc, 0, v14
	ds_write_b8 v0, v5
	ds_write_b8 v0, v6 offset:512
	v_cndmask_b32_e64 v5, 0, 1, vcc
	s_waitcnt vmcnt(11)
	v_cmp_ne_u32_e32 vcc, 0, v15
	s_nop 1
	v_cndmask_b32_e64 v6, 0, 1, vcc
	ds_write_b8 v0, v5 offset:1024
	ds_write_b8 v0, v6 offset:1536
	s_waitcnt vmcnt(10)
	v_cmp_ne_u32_e32 vcc, 0, v16
	s_nop 1
	v_cndmask_b32_e64 v7, 0, 1, vcc
	s_waitcnt vmcnt(9)
	v_cmp_ne_u32_e32 vcc, 0, v17
	s_nop 1
	v_cndmask_b32_e64 v8, 0, 1, vcc
	s_waitcnt vmcnt(8)
	v_cmp_ne_u32_e32 vcc, 0, v18
	ds_write_b8 v0, v7 offset:2048
	ds_write_b8 v0, v8 offset:2560
	v_cndmask_b32_e64 v5, 0, 1, vcc
	s_waitcnt vmcnt(7)
	v_cmp_ne_u32_e32 vcc, 0, v19
	ds_write_b8 v0, v5 offset:3072
	s_nop 0
	v_cndmask_b32_e64 v6, 0, 1, vcc
	s_waitcnt vmcnt(6)
	v_cmp_ne_u32_e32 vcc, 0, v20
	s_nop 1
	v_cndmask_b32_e64 v7, 0, 1, vcc
	s_waitcnt vmcnt(5)
	v_cmp_ne_u32_e32 vcc, 0, v23
	;; [unrolled: 4-line block ×7, first 2 shown]
	s_nop 1
	v_cndmask_b32_e64 v4, 0, 1, vcc
	ds_write_b8 v0, v6 offset:3584
	ds_write_b8 v0, v7 offset:4096
	;; [unrolled: 1-line block ×8, first 2 shown]
	s_waitcnt lgkmcnt(0)
	s_barrier
.LBB634_40:
	s_andn2_b64 vcc, exec, s[0:1]
	s_cbranch_vccnz .LBB634_72
; %bb.41:
	v_cmp_gt_u32_e32 vcc, s33, v0
	v_mov_b32_e32 v4, 0
	v_mov_b32_e32 v5, 0
	s_and_saveexec_b64 s[0:1], vcc
	s_cbranch_execz .LBB634_43
; %bb.42:
	v_readfirstlane_b32 s2, v2
	v_readfirstlane_b32 s3, v3
	s_nop 4
	global_load_dword v5, v22, s[2:3]
	s_waitcnt vmcnt(0)
	v_cmp_ne_u32_e32 vcc, 0, v5
	s_nop 1
	v_cndmask_b32_e64 v5, 0, 1, vcc
.LBB634_43:
	s_or_b64 exec, exec, s[0:1]
	v_or_b32_e32 v6, 0x200, v0
	v_cmp_gt_u32_e32 vcc, s33, v6
	s_and_saveexec_b64 s[0:1], vcc
	s_cbranch_execz .LBB634_45
; %bb.44:
	v_readfirstlane_b32 s2, v2
	v_readfirstlane_b32 s3, v3
	s_nop 4
	global_load_dword v4, v22, s[2:3] offset:2048
	s_waitcnt vmcnt(0)
	v_cmp_ne_u32_e32 vcc, 0, v4
	s_nop 1
	v_cndmask_b32_e64 v4, 0, 1, vcc
.LBB634_45:
	s_or_b64 exec, exec, s[0:1]
	v_or_b32_e32 v8, 0x400, v0
	v_cmp_gt_u32_e32 vcc, s33, v8
	v_mov_b32_e32 v6, 0
	v_mov_b32_e32 v7, 0
	s_and_saveexec_b64 s[0:1], vcc
	s_cbranch_execz .LBB634_47
; %bb.46:
	v_lshlrev_b32_e32 v7, 2, v8
	v_readfirstlane_b32 s2, v2
	v_readfirstlane_b32 s3, v3
	s_nop 4
	global_load_dword v7, v7, s[2:3]
	s_waitcnt vmcnt(0)
	v_cmp_ne_u32_e32 vcc, 0, v7
	s_nop 1
	v_cndmask_b32_e64 v7, 0, 1, vcc
.LBB634_47:
	s_or_b64 exec, exec, s[0:1]
	v_or_b32_e32 v8, 0x600, v0
	v_cmp_gt_u32_e32 vcc, s33, v8
	s_and_saveexec_b64 s[0:1], vcc
	s_cbranch_execz .LBB634_49
; %bb.48:
	v_lshlrev_b32_e32 v6, 2, v8
	v_readfirstlane_b32 s2, v2
	v_readfirstlane_b32 s3, v3
	s_nop 4
	global_load_dword v6, v6, s[2:3]
	s_waitcnt vmcnt(0)
	v_cmp_ne_u32_e32 vcc, 0, v6
	s_nop 1
	v_cndmask_b32_e64 v6, 0, 1, vcc
.LBB634_49:
	s_or_b64 exec, exec, s[0:1]
	v_or_b32_e32 v10, 0x800, v0
	v_cmp_gt_u32_e32 vcc, s33, v10
	v_mov_b32_e32 v8, 0
	v_mov_b32_e32 v9, 0
	s_and_saveexec_b64 s[0:1], vcc
	s_cbranch_execz .LBB634_51
; %bb.50:
	v_lshlrev_b32_e32 v9, 2, v10
	v_readfirstlane_b32 s2, v2
	v_readfirstlane_b32 s3, v3
	s_nop 4
	global_load_dword v9, v9, s[2:3]
	s_waitcnt vmcnt(0)
	v_cmp_ne_u32_e32 vcc, 0, v9
	s_nop 1
	v_cndmask_b32_e64 v9, 0, 1, vcc
.LBB634_51:
	s_or_b64 exec, exec, s[0:1]
	v_or_b32_e32 v10, 0xa00, v0
	v_cmp_gt_u32_e32 vcc, s33, v10
	s_and_saveexec_b64 s[0:1], vcc
	s_cbranch_execz .LBB634_53
; %bb.52:
	v_lshlrev_b32_e32 v8, 2, v10
	v_readfirstlane_b32 s2, v2
	v_readfirstlane_b32 s3, v3
	s_nop 4
	global_load_dword v8, v8, s[2:3]
	s_waitcnt vmcnt(0)
	v_cmp_ne_u32_e32 vcc, 0, v8
	s_nop 1
	v_cndmask_b32_e64 v8, 0, 1, vcc
.LBB634_53:
	;; [unrolled: 34-line block ×6, first 2 shown]
	s_or_b64 exec, exec, s[0:1]
	v_or_b32_e32 v19, 0x1c00, v0
	v_cmp_gt_u32_e32 vcc, s33, v19
	v_mov_b32_e32 v18, 0
	s_and_saveexec_b64 s[0:1], vcc
	s_cbranch_execz .LBB634_71
; %bb.70:
	v_lshlrev_b32_e32 v18, 2, v19
	v_readfirstlane_b32 s2, v2
	v_readfirstlane_b32 s3, v3
	s_nop 4
	global_load_dword v2, v18, s[2:3]
	s_waitcnt vmcnt(0)
	v_cmp_ne_u32_e32 vcc, 0, v2
	s_nop 1
	v_cndmask_b32_e64 v18, 0, 1, vcc
.LBB634_71:
	s_or_b64 exec, exec, s[0:1]
	ds_write_b8 v0, v5
	ds_write_b8 v0, v4 offset:512
	ds_write_b8 v0, v7 offset:1024
	;; [unrolled: 1-line block ×14, first 2 shown]
	s_waitcnt lgkmcnt(0)
	s_barrier
.LBB634_72:
	ds_read_b96 v[18:20], v21
	ds_read_u8 v2, v21 offset:12
	ds_read_u8 v3, v21 offset:13
	;; [unrolled: 1-line block ×3, first 2 shown]
	s_cmp_lg_u32 s40, 0
	v_lshrrev_b32_e32 v60, 6, v0
	s_waitcnt lgkmcnt(2)
	v_and_b32_e32 v47, 1, v2
	v_and_b32_e32 v56, 0xff, v18
	v_bfe_u32 v57, v18, 8, 8
	v_bfe_u32 v58, v18, 16, 8
	v_lshrrev_b32_e32 v49, 24, v18
	v_and_b32_e32 v53, 0xff, v19
	v_add3_u32 v2, v57, v56, v58
	v_bfe_u32 v54, v19, 8, 8
	v_bfe_u32 v55, v19, 16, 8
	v_add3_u32 v2, v2, v49, v53
	v_lshrrev_b32_e32 v48, 24, v19
	v_and_b32_e32 v50, 0xff, v20
	v_add3_u32 v2, v2, v54, v55
	v_bfe_u32 v51, v20, 8, 8
	v_bfe_u32 v52, v20, 16, 8
	v_add3_u32 v2, v2, v48, v50
	v_lshrrev_b32_e32 v46, 24, v20
	v_add3_u32 v2, v2, v51, v52
	s_waitcnt lgkmcnt(1)
	v_and_b32_e32 v45, 1, v3
	s_waitcnt lgkmcnt(0)
	v_and_b32_e32 v23, 1, v4
	v_add3_u32 v2, v2, v46, v47
	v_add3_u32 v61, v2, v45, v23
	v_mbcnt_lo_u32_b32 v2, -1, 0
	v_mbcnt_hi_u32_b32 v59, -1, v2
	v_and_b32_e32 v2, 15, v59
	v_cmp_eq_u32_e64 s[14:15], 0, v2
	v_cmp_lt_u32_e64 s[12:13], 1, v2
	v_cmp_lt_u32_e64 s[10:11], 3, v2
	;; [unrolled: 1-line block ×3, first 2 shown]
	v_and_b32_e32 v2, 16, v59
	v_cmp_eq_u32_e64 s[6:7], 0, v2
	v_or_b32_e32 v2, 63, v0
	v_cmp_lt_u32_e64 s[2:3], 31, v59
	v_cmp_eq_u32_e64 s[4:5], v2, v0
	s_barrier
	s_cbranch_scc0 .LBB634_99
; %bb.73:
	v_mov_b32_dpp v2, v61 row_shr:1 row_mask:0xf bank_mask:0xf
	v_cndmask_b32_e64 v2, v2, 0, s[14:15]
	v_add_u32_e32 v2, v2, v61
	s_nop 1
	v_mov_b32_dpp v3, v2 row_shr:2 row_mask:0xf bank_mask:0xf
	v_cndmask_b32_e64 v3, 0, v3, s[12:13]
	v_add_u32_e32 v2, v2, v3
	s_nop 1
	;; [unrolled: 4-line block ×4, first 2 shown]
	v_mov_b32_dpp v3, v2 row_bcast:15 row_mask:0xf bank_mask:0xf
	v_cndmask_b32_e64 v3, v3, 0, s[6:7]
	v_add_u32_e32 v2, v2, v3
	s_nop 1
	v_mov_b32_dpp v3, v2 row_bcast:31 row_mask:0xf bank_mask:0xf
	v_cndmask_b32_e64 v3, 0, v3, s[2:3]
	v_add_u32_e32 v2, v2, v3
	s_and_saveexec_b64 s[0:1], s[4:5]
	s_cbranch_execz .LBB634_75
; %bb.74:
	v_lshlrev_b32_e32 v3, 2, v60
	ds_write_b32 v3, v2
.LBB634_75:
	s_or_b64 exec, exec, s[0:1]
	v_cmp_gt_u32_e32 vcc, 8, v0
	s_waitcnt lgkmcnt(0)
	s_barrier
	s_and_saveexec_b64 s[0:1], vcc
	s_cbranch_execz .LBB634_77
; %bb.76:
	ds_read_b32 v3, v22
	v_and_b32_e32 v4, 7, v59
	v_cmp_ne_u32_e32 vcc, 0, v4
	s_waitcnt lgkmcnt(0)
	v_mov_b32_dpp v5, v3 row_shr:1 row_mask:0xf bank_mask:0xf
	v_cndmask_b32_e32 v5, 0, v5, vcc
	v_add_u32_e32 v3, v5, v3
	v_cmp_lt_u32_e32 vcc, 1, v4
	s_nop 0
	v_mov_b32_dpp v5, v3 row_shr:2 row_mask:0xf bank_mask:0xf
	v_cndmask_b32_e32 v5, 0, v5, vcc
	v_add_u32_e32 v3, v3, v5
	v_cmp_lt_u32_e32 vcc, 3, v4
	s_nop 0
	v_mov_b32_dpp v5, v3 row_shr:4 row_mask:0xf bank_mask:0xf
	v_cndmask_b32_e32 v4, 0, v5, vcc
	v_add_u32_e32 v3, v3, v4
	ds_write_b32 v22, v3
.LBB634_77:
	s_or_b64 exec, exec, s[0:1]
	v_cmp_gt_u32_e32 vcc, 64, v0
	v_cmp_lt_u32_e64 s[0:1], 63, v0
	s_waitcnt lgkmcnt(0)
	s_barrier
	s_waitcnt lgkmcnt(0)
                                        ; implicit-def: $vgpr12
	s_and_saveexec_b64 s[16:17], s[0:1]
	s_cbranch_execz .LBB634_79
; %bb.78:
	v_lshl_add_u32 v3, v60, 2, -4
	ds_read_b32 v12, v3
	s_waitcnt lgkmcnt(0)
	v_add_u32_e32 v2, v12, v2
.LBB634_79:
	s_or_b64 exec, exec, s[16:17]
	v_add_u32_e32 v3, -1, v59
	v_and_b32_e32 v4, 64, v59
	v_cmp_lt_i32_e64 s[0:1], v3, v4
	v_cmp_eq_u32_e64 s[16:17], 0, v59
	s_nop 0
	v_cndmask_b32_e64 v3, v3, v59, s[0:1]
	v_lshlrev_b32_e32 v3, 2, v3
	ds_bpermute_b32 v13, v3, v2
	s_and_saveexec_b64 s[0:1], vcc
	s_cbranch_execz .LBB634_98
; %bb.80:
	v_mov_b32_e32 v9, 0
	ds_read_b32 v2, v9 offset:28
	s_and_saveexec_b64 s[36:37], s[16:17]
	s_cbranch_execz .LBB634_82
; %bb.81:
	s_add_i32 s38, s40, 64
	s_mov_b32 s39, 0
	s_lshl_b64 s[38:39], s[38:39], 3
	s_add_u32 s38, s34, s38
	v_mov_b32_e32 v3, 1
	s_addc_u32 s39, s35, s39
	s_waitcnt lgkmcnt(0)
	global_store_dwordx2 v9, v[2:3], s[38:39] sc1
.LBB634_82:
	s_or_b64 exec, exec, s[36:37]
	v_xad_u32 v4, v59, -1, s40
	v_add_u32_e32 v8, 64, v4
	v_lshl_add_u64 v[10:11], v[8:9], 3, s[34:35]
	global_load_dwordx2 v[6:7], v[10:11], off sc1
	s_waitcnt vmcnt(0)
	v_cmp_eq_u16_sdwa s[38:39], v7, v9 src0_sel:BYTE_0 src1_sel:DWORD
	s_and_saveexec_b64 s[36:37], s[38:39]
	s_cbranch_execz .LBB634_86
; %bb.83:
	s_mov_b64 s[38:39], 0
	v_mov_b32_e32 v3, 0
.LBB634_84:                             ; =>This Inner Loop Header: Depth=1
	global_load_dwordx2 v[6:7], v[10:11], off sc1
	s_waitcnt vmcnt(0)
	v_cmp_ne_u16_sdwa s[42:43], v7, v3 src0_sel:BYTE_0 src1_sel:DWORD
	s_or_b64 s[38:39], s[42:43], s[38:39]
	s_andn2_b64 exec, exec, s[38:39]
	s_cbranch_execnz .LBB634_84
; %bb.85:
	s_or_b64 exec, exec, s[38:39]
.LBB634_86:
	s_or_b64 exec, exec, s[36:37]
	v_and_b32_e32 v15, 63, v59
	v_mov_b32_e32 v14, 2
	v_cmp_ne_u32_e32 vcc, 63, v15
	v_cmp_eq_u16_sdwa s[36:37], v7, v14 src0_sel:BYTE_0 src1_sel:DWORD
	v_lshlrev_b64 v[8:9], v59, -1
	v_addc_co_u32_e32 v10, vcc, 0, v59, vcc
	v_and_b32_e32 v3, s37, v9
	v_lshlrev_b32_e32 v16, 2, v10
	v_or_b32_e32 v3, 0x80000000, v3
	ds_bpermute_b32 v10, v16, v6
	v_and_b32_e32 v5, s36, v8
	v_ffbl_b32_e32 v3, v3
	v_add_u32_e32 v3, 32, v3
	v_ffbl_b32_e32 v5, v5
	v_min_u32_e32 v3, v5, v3
	v_cmp_lt_u32_e32 vcc, v15, v3
	v_add_u32_e32 v42, 2, v15
	v_add_u32_e32 v44, 4, v15
	s_waitcnt lgkmcnt(0)
	v_cndmask_b32_e32 v5, 0, v10, vcc
	v_cmp_gt_u32_e32 vcc, 62, v15
	v_add_u32_e32 v5, v5, v6
	v_add_u32_e32 v63, 8, v15
	v_cndmask_b32_e64 v6, 0, 1, vcc
	v_lshlrev_b32_e32 v6, 1, v6
	v_add_lshl_u32 v17, v6, v59, 2
	ds_bpermute_b32 v6, v17, v5
	v_cmp_le_u32_e32 vcc, v42, v3
	v_add_u32_e32 v65, 16, v15
	v_add_u32_e32 v67, 32, v15
	s_waitcnt lgkmcnt(0)
	v_cndmask_b32_e32 v6, 0, v6, vcc
	v_cmp_gt_u32_e32 vcc, 60, v15
	v_add_u32_e32 v5, v5, v6
	s_nop 0
	v_cndmask_b32_e64 v6, 0, 1, vcc
	v_lshlrev_b32_e32 v6, 2, v6
	v_add_lshl_u32 v43, v6, v59, 2
	ds_bpermute_b32 v6, v43, v5
	v_cmp_le_u32_e32 vcc, v44, v3
	s_waitcnt lgkmcnt(0)
	s_nop 0
	v_cndmask_b32_e32 v6, 0, v6, vcc
	v_cmp_gt_u32_e32 vcc, 56, v15
	v_add_u32_e32 v5, v5, v6
	s_nop 0
	v_cndmask_b32_e64 v6, 0, 1, vcc
	v_lshlrev_b32_e32 v6, 3, v6
	v_add_lshl_u32 v62, v6, v59, 2
	ds_bpermute_b32 v6, v62, v5
	v_cmp_le_u32_e32 vcc, v63, v3
	s_waitcnt lgkmcnt(0)
	s_nop 0
	;; [unrolled: 11-line block ×4, first 2 shown]
	v_cndmask_b32_e32 v3, 0, v6, vcc
	v_add_u32_e32 v6, v5, v3
	v_mov_b32_e32 v5, 0
	s_branch .LBB634_88
.LBB634_87:                             ;   in Loop: Header=BB634_88 Depth=1
	s_or_b64 exec, exec, s[36:37]
	v_cmp_eq_u16_sdwa s[36:37], v7, v14 src0_sel:BYTE_0 src1_sel:DWORD
	ds_bpermute_b32 v68, v16, v6
	v_subrev_u32_e32 v4, 64, v4
	v_and_b32_e32 v10, s37, v9
	v_or_b32_e32 v10, 0x80000000, v10
	v_and_b32_e32 v11, s36, v8
	v_ffbl_b32_e32 v10, v10
	v_add_u32_e32 v10, 32, v10
	v_ffbl_b32_e32 v11, v11
	v_min_u32_e32 v10, v11, v10
	v_cmp_lt_u32_e32 vcc, v15, v10
	s_waitcnt lgkmcnt(0)
	s_nop 0
	v_cndmask_b32_e32 v11, 0, v68, vcc
	v_add_u32_e32 v6, v11, v6
	ds_bpermute_b32 v11, v17, v6
	v_cmp_le_u32_e32 vcc, v42, v10
	s_waitcnt lgkmcnt(0)
	s_nop 0
	v_cndmask_b32_e32 v11, 0, v11, vcc
	v_add_u32_e32 v6, v6, v11
	ds_bpermute_b32 v11, v43, v6
	v_cmp_le_u32_e32 vcc, v44, v10
	;; [unrolled: 6-line block ×5, first 2 shown]
	s_waitcnt lgkmcnt(0)
	s_nop 0
	v_cndmask_b32_e32 v10, 0, v11, vcc
	v_add3_u32 v6, v10, v3, v6
.LBB634_88:                             ; =>This Loop Header: Depth=1
                                        ;     Child Loop BB634_91 Depth 2
	v_cmp_ne_u16_sdwa s[36:37], v7, v14 src0_sel:BYTE_0 src1_sel:DWORD
	s_nop 1
	v_cndmask_b32_e64 v3, 0, 1, s[36:37]
	;;#ASMSTART
	;;#ASMEND
	s_nop 0
	v_cmp_ne_u32_e32 vcc, 0, v3
	s_cmp_lg_u64 vcc, exec
	v_mov_b32_e32 v3, v6
	s_cbranch_scc1 .LBB634_93
; %bb.89:                               ;   in Loop: Header=BB634_88 Depth=1
	v_lshl_add_u64 v[10:11], v[4:5], 3, s[34:35]
	global_load_dwordx2 v[6:7], v[10:11], off sc1
	s_waitcnt vmcnt(0)
	v_cmp_eq_u16_sdwa s[38:39], v7, v5 src0_sel:BYTE_0 src1_sel:DWORD
	s_and_saveexec_b64 s[36:37], s[38:39]
	s_cbranch_execz .LBB634_87
; %bb.90:                               ;   in Loop: Header=BB634_88 Depth=1
	s_mov_b64 s[38:39], 0
.LBB634_91:                             ;   Parent Loop BB634_88 Depth=1
                                        ; =>  This Inner Loop Header: Depth=2
	global_load_dwordx2 v[6:7], v[10:11], off sc1
	s_waitcnt vmcnt(0)
	v_cmp_ne_u16_sdwa s[42:43], v7, v5 src0_sel:BYTE_0 src1_sel:DWORD
	s_or_b64 s[38:39], s[42:43], s[38:39]
	s_andn2_b64 exec, exec, s[38:39]
	s_cbranch_execnz .LBB634_91
; %bb.92:                               ;   in Loop: Header=BB634_88 Depth=1
	s_or_b64 exec, exec, s[38:39]
	s_branch .LBB634_87
.LBB634_93:                             ;   in Loop: Header=BB634_88 Depth=1
                                        ; implicit-def: $vgpr6
                                        ; implicit-def: $vgpr7
	s_cbranch_execz .LBB634_88
; %bb.94:
	s_and_saveexec_b64 s[36:37], s[16:17]
	s_cbranch_execz .LBB634_96
; %bb.95:
	s_add_i32 s38, s40, 64
	s_mov_b32 s39, 0
	s_lshl_b64 s[38:39], s[38:39], 3
	s_add_u32 s38, s34, s38
	v_add_u32_e32 v4, v3, v2
	v_mov_b32_e32 v5, 2
	s_addc_u32 s39, s35, s39
	v_mov_b32_e32 v6, 0
	global_store_dwordx2 v6, v[4:5], s[38:39] sc1
	ds_write_b64 v6, v[2:3] offset:30720
.LBB634_96:
	s_or_b64 exec, exec, s[36:37]
	s_and_b64 exec, exec, s[18:19]
	s_cbranch_execz .LBB634_98
; %bb.97:
	v_mov_b32_e32 v2, 0
	ds_write_b32 v2, v3 offset:28
.LBB634_98:
	s_or_b64 exec, exec, s[0:1]
	v_mov_b32_e32 v14, 0
	s_waitcnt lgkmcnt(0)
	s_barrier
	ds_read_b32 v2, v14 offset:28
	v_cndmask_b32_e64 v3, v13, v12, s[16:17]
	v_cndmask_b32_e64 v3, v3, 0, s[18:19]
	s_waitcnt lgkmcnt(0)
	s_barrier
	v_add_u32_e32 v2, v2, v3
	v_add_u32_e32 v3, v2, v56
	;; [unrolled: 1-line block ×10, first 2 shown]
	ds_read_b64 v[42:43], v14 offset:30720
	v_add_u32_e32 v12, v11, v51
	v_add_u32_e32 v13, v12, v52
	;; [unrolled: 1-line block ×5, first 2 shown]
	s_waitcnt lgkmcnt(0)
	v_mov_b32_e32 v44, v43
	s_branch .LBB634_109
.LBB634_99:
                                        ; implicit-def: $vgpr44
                                        ; implicit-def: $vgpr42
                                        ; implicit-def: $vgpr2_vgpr3_vgpr4_vgpr5_vgpr6_vgpr7_vgpr8_vgpr9_vgpr10_vgpr11_vgpr12_vgpr13_vgpr14_vgpr15_vgpr16_vgpr17
	s_cbranch_execz .LBB634_109
; %bb.100:
	s_nop 0
	v_mov_b32_dpp v2, v61 row_shr:1 row_mask:0xf bank_mask:0xf
	v_cndmask_b32_e64 v2, v2, 0, s[14:15]
	v_add_u32_e32 v2, v2, v61
	s_nop 1
	v_mov_b32_dpp v3, v2 row_shr:2 row_mask:0xf bank_mask:0xf
	v_cndmask_b32_e64 v3, 0, v3, s[12:13]
	v_add_u32_e32 v2, v2, v3
	;; [unrolled: 4-line block ×4, first 2 shown]
	s_nop 1
	v_mov_b32_dpp v3, v2 row_bcast:15 row_mask:0xf bank_mask:0xf
	v_cndmask_b32_e64 v3, v3, 0, s[6:7]
	v_add_u32_e32 v2, v2, v3
	s_nop 1
	v_mov_b32_dpp v3, v2 row_bcast:31 row_mask:0xf bank_mask:0xf
	v_cndmask_b32_e64 v3, 0, v3, s[2:3]
	v_add_u32_e32 v2, v2, v3
	s_and_saveexec_b64 s[0:1], s[4:5]
	s_cbranch_execz .LBB634_102
; %bb.101:
	v_lshlrev_b32_e32 v3, 2, v60
	ds_write_b32 v3, v2
.LBB634_102:
	s_or_b64 exec, exec, s[0:1]
	v_cmp_gt_u32_e32 vcc, 8, v0
	s_waitcnt lgkmcnt(0)
	s_barrier
	s_and_saveexec_b64 s[0:1], vcc
	s_cbranch_execz .LBB634_104
; %bb.103:
	v_mad_i32_i24 v3, v0, -11, v21
	ds_read_b32 v4, v3
	v_and_b32_e32 v5, 7, v59
	v_cmp_ne_u32_e32 vcc, 0, v5
	s_waitcnt lgkmcnt(0)
	v_mov_b32_dpp v6, v4 row_shr:1 row_mask:0xf bank_mask:0xf
	v_cndmask_b32_e32 v6, 0, v6, vcc
	v_add_u32_e32 v4, v6, v4
	v_cmp_lt_u32_e32 vcc, 1, v5
	s_nop 0
	v_mov_b32_dpp v6, v4 row_shr:2 row_mask:0xf bank_mask:0xf
	v_cndmask_b32_e32 v6, 0, v6, vcc
	v_add_u32_e32 v4, v4, v6
	v_cmp_lt_u32_e32 vcc, 3, v5
	s_nop 0
	v_mov_b32_dpp v6, v4 row_shr:4 row_mask:0xf bank_mask:0xf
	v_cndmask_b32_e32 v5, 0, v6, vcc
	v_add_u32_e32 v4, v4, v5
	ds_write_b32 v3, v4
.LBB634_104:
	s_or_b64 exec, exec, s[0:1]
	v_cmp_lt_u32_e32 vcc, 63, v0
	v_mov_b32_e32 v4, 0
	v_mov_b32_e32 v3, 0
	s_waitcnt lgkmcnt(0)
	s_barrier
	s_and_saveexec_b64 s[0:1], vcc
	s_cbranch_execz .LBB634_106
; %bb.105:
	v_lshl_add_u32 v3, v60, 2, -4
	ds_read_b32 v3, v3
.LBB634_106:
	s_or_b64 exec, exec, s[0:1]
	v_add_u32_e32 v5, -1, v59
	v_and_b32_e32 v6, 64, v59
	v_cmp_lt_i32_e32 vcc, v5, v6
	s_waitcnt lgkmcnt(0)
	v_add_u32_e32 v2, v3, v2
	ds_read_b32 v42, v4 offset:28
	v_cndmask_b32_e32 v5, v5, v59, vcc
	v_lshlrev_b32_e32 v5, 2, v5
	ds_bpermute_b32 v2, v5, v2
	s_and_saveexec_b64 s[0:1], s[18:19]
	s_cbranch_execz .LBB634_108
; %bb.107:
	v_mov_b32_e32 v4, 0
	v_mov_b32_e32 v43, 2
	s_waitcnt lgkmcnt(1)
	global_store_dwordx2 v4, v[42:43], s[34:35] offset:512 sc1
.LBB634_108:
	s_or_b64 exec, exec, s[0:1]
	v_cmp_eq_u32_e32 vcc, 0, v59
	v_mov_b32_e32 v44, 0
	s_waitcnt lgkmcnt(0)
	v_cndmask_b32_e32 v2, v2, v3, vcc
	v_cndmask_b32_e64 v2, v2, 0, s[18:19]
	v_add_u32_e32 v3, v2, v56
	v_add_u32_e32 v4, v3, v57
	;; [unrolled: 1-line block ×14, first 2 shown]
	s_barrier
.LBB634_109:
	v_add_u32_e32 v21, v42, v21
	v_sub_u32_e32 v2, v2, v44
	v_and_b32_e32 v52, 1, v18
	v_sub_u32_e32 v51, v21, v2
	v_cmp_eq_u32_e32 vcc, 1, v52
	v_lshrrev_b32_e32 v50, 8, v18
	v_lshrrev_b32_e32 v43, 8, v19
	v_cndmask_b32_e32 v2, v51, v2, vcc
	v_lshlrev_b32_e32 v2, 2, v2
	ds_write_b32 v2, v40
	v_sub_u32_e32 v2, v3, v44
	v_sub_u32_e32 v3, v21, v2
	v_and_b32_e32 v40, 1, v50
	v_add_u32_e32 v3, 1, v3
	v_cmp_eq_u32_e32 vcc, 1, v40
	v_lshrrev_b32_e32 v17, 8, v20
	v_or_b32_e32 v40, 0x400, v0
	v_cndmask_b32_e32 v2, v3, v2, vcc
	v_lshlrev_b32_e32 v2, 2, v2
	ds_write_b32 v2, v41
	v_sub_u32_e32 v2, v4, v44
	v_mov_b32_e32 v4, 1
	v_sub_u32_e32 v3, v21, v2
	v_and_b32_sdwa v18, v4, v18 dst_sel:DWORD dst_unused:UNUSED_PAD src0_sel:DWORD src1_sel:WORD_1
	v_add_u32_e32 v3, 2, v3
	v_cmp_eq_u32_e32 vcc, 1, v18
	v_or_b32_e32 v41, 0x200, v0
	s_nop 0
	v_cndmask_b32_e32 v2, v3, v2, vcc
	v_lshlrev_b32_e32 v2, 2, v2
	ds_write_b32 v2, v38
	v_sub_u32_e32 v2, v5, v44
	v_sub_u32_e32 v3, v21, v2
	v_and_b32_e32 v5, 1, v49
	v_add_u32_e32 v3, 3, v3
	v_cmp_eq_u32_e32 vcc, 1, v5
	v_and_b32_e32 v5, 1, v19
	v_or_b32_e32 v38, 0x800, v0
	v_cndmask_b32_e32 v2, v3, v2, vcc
	v_lshlrev_b32_e32 v2, 2, v2
	ds_write_b32 v2, v39
	v_sub_u32_e32 v2, v6, v44
	v_sub_u32_e32 v3, v21, v2
	v_add_u32_e32 v3, 4, v3
	v_cmp_eq_u32_e32 vcc, 1, v5
	v_and_b32_e32 v5, 1, v43
	v_or_b32_e32 v39, 0x600, v0
	v_cndmask_b32_e32 v2, v3, v2, vcc
	v_lshlrev_b32_e32 v2, 2, v2
	ds_write_b32 v2, v36
	v_sub_u32_e32 v2, v7, v44
	v_sub_u32_e32 v3, v21, v2
	v_add_u32_e32 v3, 5, v3
	v_cmp_eq_u32_e32 vcc, 1, v5
	v_and_b32_sdwa v5, v4, v19 dst_sel:DWORD dst_unused:UNUSED_PAD src0_sel:DWORD src1_sel:WORD_1
	v_and_b32_sdwa v4, v4, v20 dst_sel:DWORD dst_unused:UNUSED_PAD src0_sel:DWORD src1_sel:WORD_1
	v_cndmask_b32_e32 v2, v3, v2, vcc
	v_lshlrev_b32_e32 v2, 2, v2
	ds_write_b32 v2, v37
	v_sub_u32_e32 v2, v8, v44
	v_sub_u32_e32 v3, v21, v2
	v_add_u32_e32 v3, 6, v3
	v_cmp_eq_u32_e32 vcc, 1, v5
	v_and_b32_e32 v5, 1, v48
	v_mov_b32_e32 v7, s31
	v_cndmask_b32_e32 v2, v3, v2, vcc
	v_lshlrev_b32_e32 v2, 2, v2
	ds_write_b32 v2, v34
	v_sub_u32_e32 v2, v9, v44
	v_sub_u32_e32 v3, v21, v2
	v_add_u32_e32 v3, 7, v3
	v_cmp_eq_u32_e32 vcc, 1, v5
	v_and_b32_e32 v5, 1, v20
	v_or_b32_e32 v37, 0xa00, v0
	v_cndmask_b32_e32 v2, v3, v2, vcc
	v_lshlrev_b32_e32 v2, 2, v2
	ds_write_b32 v2, v35
	v_sub_u32_e32 v2, v10, v44
	v_sub_u32_e32 v3, v21, v2
	v_add_u32_e32 v3, 8, v3
	v_cmp_eq_u32_e32 vcc, 1, v5
	v_and_b32_e32 v5, 1, v17
	v_or_b32_e32 v36, 0xc00, v0
	v_cndmask_b32_e32 v2, v3, v2, vcc
	v_lshlrev_b32_e32 v2, 2, v2
	ds_write_b32 v2, v32
	v_sub_u32_e32 v2, v11, v44
	v_sub_u32_e32 v3, v21, v2
	v_add_u32_e32 v3, 9, v3
	v_cmp_eq_u32_e32 vcc, 1, v5
	v_or_b32_e32 v35, 0xe00, v0
	v_or_b32_e32 v34, 0x1000, v0
	v_cndmask_b32_e32 v2, v3, v2, vcc
	v_lshlrev_b32_e32 v2, 2, v2
	ds_write_b32 v2, v33
	v_sub_u32_e32 v2, v12, v44
	v_sub_u32_e32 v3, v21, v2
	v_add_u32_e32 v3, 10, v3
	v_cmp_eq_u32_e32 vcc, 1, v4
	v_and_b32_e32 v4, 1, v46
	v_or_b32_e32 v33, 0x1200, v0
	v_cndmask_b32_e32 v2, v3, v2, vcc
	v_lshlrev_b32_e32 v2, 2, v2
	ds_write_b32 v2, v30
	v_sub_u32_e32 v2, v13, v44
	v_sub_u32_e32 v3, v21, v2
	v_add_u32_e32 v3, 11, v3
	v_cmp_eq_u32_e32 vcc, 1, v4
	v_or_b32_e32 v32, 0x1400, v0
	v_or_b32_e32 v30, 0x1800, v0
	v_cndmask_b32_e32 v2, v3, v2, vcc
	v_lshlrev_b32_e32 v2, 2, v2
	ds_write_b32 v2, v31
	v_sub_u32_e32 v2, v14, v44
	v_sub_u32_e32 v3, v21, v2
	v_add_u32_e32 v3, 12, v3
	v_cmp_eq_u32_e32 vcc, 1, v47
	v_or_b32_e32 v31, 0x1600, v0
	s_nop 0
	v_cndmask_b32_e32 v2, v3, v2, vcc
	v_lshlrev_b32_e32 v2, 2, v2
	ds_write_b32 v2, v28
	v_sub_u32_e32 v2, v15, v44
	v_sub_u32_e32 v3, v21, v2
	v_add_u32_e32 v3, 13, v3
	v_cmp_eq_u32_e32 vcc, 1, v45
	v_mov_b32_e32 v45, 0
	s_waitcnt vmcnt(0)
	v_lshl_add_u64 v[8:9], v[24:25], 0, v[44:45]
	v_cndmask_b32_e32 v2, v3, v2, vcc
	v_lshlrev_b32_e32 v2, 2, v2
	ds_write_b32 v2, v29
	v_sub_u32_e32 v2, v16, v44
	v_sub_u32_e32 v3, v21, v2
	v_add_u32_e32 v3, 14, v3
	v_cmp_eq_u32_e32 vcc, 1, v23
	v_mov_b32_e32 v43, v45
	v_or_b32_e32 v29, 0x1a00, v0
	v_cndmask_b32_e32 v2, v3, v2, vcc
	v_lshlrev_b32_e32 v2, 2, v2
	ds_write_b32 v2, v1
	v_lshl_add_u64 v[2:3], v[8:9], 0, v[42:43]
	s_waitcnt lgkmcnt(0)
	s_barrier
	ds_read2st64_b32 v[20:21], v22 offset1:8
	ds_read2st64_b32 v[18:19], v22 offset0:16 offset1:24
	ds_read2st64_b32 v[16:17], v22 offset0:32 offset1:40
	;; [unrolled: 1-line block ×6, first 2 shown]
	ds_read_b32 v1, v22 offset:28672
	v_sub_co_u32_e32 v6, vcc, s30, v2
	v_lshlrev_b64 v[8:9], 2, v[8:9]
	s_nop 0
	v_subb_co_u32_e32 v7, vcc, v7, v3, vcc
	v_lshlrev_b64 v[6:7], 2, v[6:7]
	v_lshl_add_u64 v[6:7], s[26:27], 0, v[6:7]
	v_or_b32_e32 v28, 0x1c00, v0
	v_lshl_add_u64 v[6:7], v[6:7], 0, v[26:27]
	s_andn2_b64 vcc, exec, s[28:29]
	v_lshl_add_u64 v[8:9], s[24:25], 0, v[8:9]
	s_cbranch_vccnz .LBB634_111
; %bb.110:
	v_cmp_gt_u32_e32 vcc, v42, v0
	v_mov_b32_e32 v23, v45
	v_lshlrev_b32_e32 v44, 2, v40
	v_cndmask_b32_e32 v25, v7, v9, vcc
	v_cndmask_b32_e32 v24, v6, v8, vcc
	v_lshl_add_u64 v[24:25], v[24:25], 0, v[22:23]
	v_cmp_lt_u32_e32 vcc, v41, v42
	s_waitcnt lgkmcnt(7)
	global_store_dword v[24:25], v20, off
	v_cndmask_b32_e32 v25, v7, v9, vcc
	v_cndmask_b32_e32 v24, v6, v8, vcc
	v_lshl_add_u64 v[24:25], v[24:25], 0, v[22:23]
	v_cmp_lt_u32_e32 vcc, v40, v42
	global_store_dword v[24:25], v21, off offset:2048
	s_mov_b64 s[0:1], -1
	v_cndmask_b32_e32 v25, v7, v9, vcc
	v_cndmask_b32_e32 v24, v6, v8, vcc
	v_lshl_add_u64 v[24:25], v[24:25], 0, v[44:45]
	v_cmp_lt_u32_e32 vcc, v39, v42
	s_waitcnt lgkmcnt(6)
	global_store_dword v[24:25], v18, off
	v_lshlrev_b32_e32 v44, 2, v39
	v_cndmask_b32_e32 v25, v7, v9, vcc
	v_cndmask_b32_e32 v24, v6, v8, vcc
	v_lshl_add_u64 v[24:25], v[24:25], 0, v[44:45]
	v_cmp_lt_u32_e32 vcc, v38, v42
	global_store_dword v[24:25], v19, off
	v_lshlrev_b32_e32 v44, 2, v38
	v_cndmask_b32_e32 v25, v7, v9, vcc
	v_cndmask_b32_e32 v24, v6, v8, vcc
	v_lshl_add_u64 v[24:25], v[24:25], 0, v[44:45]
	v_cmp_lt_u32_e32 vcc, v37, v42
	s_waitcnt lgkmcnt(5)
	global_store_dword v[24:25], v16, off
	v_lshlrev_b32_e32 v44, 2, v37
	v_cndmask_b32_e32 v25, v7, v9, vcc
	v_cndmask_b32_e32 v24, v6, v8, vcc
	v_lshl_add_u64 v[24:25], v[24:25], 0, v[44:45]
	v_cmp_lt_u32_e32 vcc, v36, v42
	global_store_dword v[24:25], v17, off
	v_lshlrev_b32_e32 v44, 2, v36
	;; [unrolled: 13-line block ×5, first 2 shown]
	v_cndmask_b32_e32 v25, v7, v9, vcc
	v_cndmask_b32_e32 v24, v6, v8, vcc
	v_lshl_add_u64 v[24:25], v[24:25], 0, v[44:45]
	v_cmp_lt_u32_e32 vcc, v29, v42
	s_waitcnt lgkmcnt(1)
	global_store_dword v[24:25], v4, off
	v_lshlrev_b32_e32 v44, 2, v29
	v_cndmask_b32_e32 v25, v7, v9, vcc
	v_cndmask_b32_e32 v24, v6, v8, vcc
	v_lshl_add_u64 v[24:25], v[24:25], 0, v[44:45]
	global_store_dword v[24:25], v5, off
	s_cbranch_execz .LBB634_112
	s_branch .LBB634_128
.LBB634_111:
	s_mov_b64 s[0:1], 0
.LBB634_112:
	v_cmp_gt_u32_e32 vcc, s33, v0
	s_and_saveexec_b64 s[0:1], vcc
	s_cbranch_execnz .LBB634_133
; %bb.113:
	s_or_b64 exec, exec, s[0:1]
	v_cmp_gt_u32_e32 vcc, s33, v41
	s_and_saveexec_b64 s[0:1], vcc
	s_cbranch_execnz .LBB634_134
.LBB634_114:
	s_or_b64 exec, exec, s[0:1]
	v_cmp_gt_u32_e32 vcc, s33, v40
	s_and_saveexec_b64 s[0:1], vcc
	s_cbranch_execnz .LBB634_135
.LBB634_115:
	s_or_b64 exec, exec, s[0:1]
	v_cmp_gt_u32_e32 vcc, s33, v39
	s_and_saveexec_b64 s[0:1], vcc
	s_cbranch_execnz .LBB634_136
.LBB634_116:
	s_or_b64 exec, exec, s[0:1]
	v_cmp_gt_u32_e32 vcc, s33, v38
	s_and_saveexec_b64 s[0:1], vcc
	s_cbranch_execnz .LBB634_137
.LBB634_117:
	s_or_b64 exec, exec, s[0:1]
	v_cmp_gt_u32_e32 vcc, s33, v37
	s_and_saveexec_b64 s[0:1], vcc
	s_cbranch_execnz .LBB634_138
.LBB634_118:
	s_or_b64 exec, exec, s[0:1]
	v_cmp_gt_u32_e32 vcc, s33, v36
	s_and_saveexec_b64 s[0:1], vcc
	s_cbranch_execnz .LBB634_139
.LBB634_119:
	s_or_b64 exec, exec, s[0:1]
	v_cmp_gt_u32_e32 vcc, s33, v35
	s_and_saveexec_b64 s[0:1], vcc
	s_cbranch_execnz .LBB634_140
.LBB634_120:
	s_or_b64 exec, exec, s[0:1]
	v_cmp_gt_u32_e32 vcc, s33, v34
	s_and_saveexec_b64 s[0:1], vcc
	s_cbranch_execnz .LBB634_141
.LBB634_121:
	s_or_b64 exec, exec, s[0:1]
	v_cmp_gt_u32_e32 vcc, s33, v33
	s_and_saveexec_b64 s[0:1], vcc
	s_cbranch_execnz .LBB634_142
.LBB634_122:
	s_or_b64 exec, exec, s[0:1]
	v_cmp_gt_u32_e32 vcc, s33, v32
	s_and_saveexec_b64 s[0:1], vcc
	s_cbranch_execnz .LBB634_143
.LBB634_123:
	s_or_b64 exec, exec, s[0:1]
	v_cmp_gt_u32_e32 vcc, s33, v31
	s_and_saveexec_b64 s[0:1], vcc
	s_cbranch_execnz .LBB634_144
.LBB634_124:
	s_or_b64 exec, exec, s[0:1]
	v_cmp_gt_u32_e32 vcc, s33, v30
	s_and_saveexec_b64 s[0:1], vcc
	s_cbranch_execnz .LBB634_145
.LBB634_125:
	s_or_b64 exec, exec, s[0:1]
	v_cmp_gt_u32_e32 vcc, s33, v29
	s_and_saveexec_b64 s[0:1], vcc
	s_cbranch_execz .LBB634_127
.LBB634_126:
	v_cmp_lt_u32_e32 vcc, v29, v42
	s_waitcnt lgkmcnt(3)
	v_lshlrev_b32_e32 v12, 2, v29
	v_mov_b32_e32 v13, 0
	s_waitcnt lgkmcnt(2)
	v_cndmask_b32_e32 v11, v7, v9, vcc
	v_cndmask_b32_e32 v10, v6, v8, vcc
	v_lshl_add_u64 v[10:11], v[10:11], 0, v[12:13]
	s_waitcnt lgkmcnt(1)
	global_store_dword v[10:11], v5, off
.LBB634_127:
	s_or_b64 exec, exec, s[0:1]
	v_cmp_gt_u32_e64 s[0:1], s33, v28
.LBB634_128:
	s_and_saveexec_b64 s[2:3], s[0:1]
	s_cbranch_execnz .LBB634_131
; %bb.129:
	s_or_b64 exec, exec, s[2:3]
	s_and_b64 s[0:1], s[18:19], s[22:23]
	s_and_saveexec_b64 s[2:3], s[0:1]
	s_cbranch_execnz .LBB634_132
.LBB634_130:
	s_endpgm
.LBB634_131:
	v_cmp_lt_u32_e32 vcc, v28, v42
	s_waitcnt lgkmcnt(1)
	s_nop 0
	v_cndmask_b32_e32 v5, v7, v9, vcc
	v_cndmask_b32_e32 v4, v6, v8, vcc
	v_lshlrev_b32_e32 v6, 2, v28
	v_mov_b32_e32 v7, 0
	v_lshl_add_u64 v[4:5], v[4:5], 0, v[6:7]
	s_waitcnt lgkmcnt(0)
	global_store_dword v[4:5], v1, off
	s_or_b64 exec, exec, s[2:3]
	s_and_b64 s[0:1], s[18:19], s[22:23]
	s_and_saveexec_b64 s[2:3], s[0:1]
	s_cbranch_execz .LBB634_130
.LBB634_132:
	v_mov_b32_e32 v0, 0
	global_store_dwordx2 v0, v[2:3], s[20:21]
	s_endpgm
.LBB634_133:
	v_cmp_gt_u32_e32 vcc, v42, v0
	v_mov_b32_e32 v23, 0
	s_nop 0
	v_cndmask_b32_e32 v25, v7, v9, vcc
	v_cndmask_b32_e32 v24, v6, v8, vcc
	v_lshl_add_u64 v[24:25], v[24:25], 0, v[22:23]
	s_waitcnt lgkmcnt(7)
	global_store_dword v[24:25], v20, off
	s_or_b64 exec, exec, s[0:1]
	v_cmp_gt_u32_e32 vcc, s33, v41
	s_and_saveexec_b64 s[0:1], vcc
	s_cbranch_execz .LBB634_114
.LBB634_134:
	v_cmp_lt_u32_e32 vcc, v41, v42
	v_mov_b32_e32 v23, 0
	s_nop 0
	v_cndmask_b32_e32 v25, v7, v9, vcc
	v_cndmask_b32_e32 v24, v6, v8, vcc
	v_lshl_add_u64 v[22:23], v[24:25], 0, v[22:23]
	s_waitcnt lgkmcnt(7)
	global_store_dword v[22:23], v21, off offset:2048
	s_or_b64 exec, exec, s[0:1]
	v_cmp_gt_u32_e32 vcc, s33, v40
	s_and_saveexec_b64 s[0:1], vcc
	s_cbranch_execz .LBB634_115
.LBB634_135:
	v_cmp_lt_u32_e32 vcc, v40, v42
	v_lshlrev_b32_e32 v22, 2, v40
	v_mov_b32_e32 v23, 0
	s_waitcnt lgkmcnt(7)
	v_cndmask_b32_e32 v21, v7, v9, vcc
	v_cndmask_b32_e32 v20, v6, v8, vcc
	v_lshl_add_u64 v[20:21], v[20:21], 0, v[22:23]
	s_waitcnt lgkmcnt(6)
	global_store_dword v[20:21], v18, off
	s_or_b64 exec, exec, s[0:1]
	v_cmp_gt_u32_e32 vcc, s33, v39
	s_and_saveexec_b64 s[0:1], vcc
	s_cbranch_execz .LBB634_116
.LBB634_136:
	v_cmp_lt_u32_e32 vcc, v39, v42
	v_lshlrev_b32_e32 v22, 2, v39
	v_mov_b32_e32 v23, 0
	s_waitcnt lgkmcnt(7)
	v_cndmask_b32_e32 v21, v7, v9, vcc
	v_cndmask_b32_e32 v20, v6, v8, vcc
	v_lshl_add_u64 v[20:21], v[20:21], 0, v[22:23]
	s_waitcnt lgkmcnt(6)
	global_store_dword v[20:21], v19, off
	s_or_b64 exec, exec, s[0:1]
	v_cmp_gt_u32_e32 vcc, s33, v38
	s_and_saveexec_b64 s[0:1], vcc
	s_cbranch_execz .LBB634_117
.LBB634_137:
	v_cmp_lt_u32_e32 vcc, v38, v42
	s_waitcnt lgkmcnt(7)
	v_lshlrev_b32_e32 v20, 2, v38
	v_mov_b32_e32 v21, 0
	s_waitcnt lgkmcnt(6)
	v_cndmask_b32_e32 v19, v7, v9, vcc
	v_cndmask_b32_e32 v18, v6, v8, vcc
	v_lshl_add_u64 v[18:19], v[18:19], 0, v[20:21]
	s_waitcnt lgkmcnt(5)
	global_store_dword v[18:19], v16, off
	s_or_b64 exec, exec, s[0:1]
	v_cmp_gt_u32_e32 vcc, s33, v37
	s_and_saveexec_b64 s[0:1], vcc
	s_cbranch_execz .LBB634_118
.LBB634_138:
	v_cmp_lt_u32_e32 vcc, v37, v42
	s_waitcnt lgkmcnt(7)
	v_lshlrev_b32_e32 v20, 2, v37
	v_mov_b32_e32 v21, 0
	s_waitcnt lgkmcnt(6)
	v_cndmask_b32_e32 v19, v7, v9, vcc
	v_cndmask_b32_e32 v18, v6, v8, vcc
	v_lshl_add_u64 v[18:19], v[18:19], 0, v[20:21]
	s_waitcnt lgkmcnt(5)
	global_store_dword v[18:19], v17, off
	s_or_b64 exec, exec, s[0:1]
	v_cmp_gt_u32_e32 vcc, s33, v36
	s_and_saveexec_b64 s[0:1], vcc
	s_cbranch_execz .LBB634_119
.LBB634_139:
	v_cmp_lt_u32_e32 vcc, v36, v42
	s_waitcnt lgkmcnt(6)
	v_lshlrev_b32_e32 v18, 2, v36
	v_mov_b32_e32 v19, 0
	s_waitcnt lgkmcnt(5)
	v_cndmask_b32_e32 v17, v7, v9, vcc
	v_cndmask_b32_e32 v16, v6, v8, vcc
	v_lshl_add_u64 v[16:17], v[16:17], 0, v[18:19]
	s_waitcnt lgkmcnt(4)
	global_store_dword v[16:17], v14, off
	s_or_b64 exec, exec, s[0:1]
	v_cmp_gt_u32_e32 vcc, s33, v35
	s_and_saveexec_b64 s[0:1], vcc
	s_cbranch_execz .LBB634_120
.LBB634_140:
	v_cmp_lt_u32_e32 vcc, v35, v42
	s_waitcnt lgkmcnt(6)
	v_lshlrev_b32_e32 v18, 2, v35
	v_mov_b32_e32 v19, 0
	s_waitcnt lgkmcnt(5)
	v_cndmask_b32_e32 v17, v7, v9, vcc
	v_cndmask_b32_e32 v16, v6, v8, vcc
	v_lshl_add_u64 v[16:17], v[16:17], 0, v[18:19]
	s_waitcnt lgkmcnt(4)
	global_store_dword v[16:17], v15, off
	s_or_b64 exec, exec, s[0:1]
	v_cmp_gt_u32_e32 vcc, s33, v34
	s_and_saveexec_b64 s[0:1], vcc
	s_cbranch_execz .LBB634_121
.LBB634_141:
	v_cmp_lt_u32_e32 vcc, v34, v42
	s_waitcnt lgkmcnt(5)
	v_lshlrev_b32_e32 v16, 2, v34
	v_mov_b32_e32 v17, 0
	s_waitcnt lgkmcnt(4)
	v_cndmask_b32_e32 v15, v7, v9, vcc
	v_cndmask_b32_e32 v14, v6, v8, vcc
	v_lshl_add_u64 v[14:15], v[14:15], 0, v[16:17]
	s_waitcnt lgkmcnt(3)
	global_store_dword v[14:15], v12, off
	s_or_b64 exec, exec, s[0:1]
	v_cmp_gt_u32_e32 vcc, s33, v33
	s_and_saveexec_b64 s[0:1], vcc
	s_cbranch_execz .LBB634_122
.LBB634_142:
	v_cmp_lt_u32_e32 vcc, v33, v42
	s_waitcnt lgkmcnt(5)
	v_lshlrev_b32_e32 v16, 2, v33
	v_mov_b32_e32 v17, 0
	s_waitcnt lgkmcnt(4)
	v_cndmask_b32_e32 v15, v7, v9, vcc
	v_cndmask_b32_e32 v14, v6, v8, vcc
	v_lshl_add_u64 v[14:15], v[14:15], 0, v[16:17]
	s_waitcnt lgkmcnt(3)
	global_store_dword v[14:15], v13, off
	s_or_b64 exec, exec, s[0:1]
	v_cmp_gt_u32_e32 vcc, s33, v32
	s_and_saveexec_b64 s[0:1], vcc
	s_cbranch_execz .LBB634_123
.LBB634_143:
	v_cmp_lt_u32_e32 vcc, v32, v42
	s_waitcnt lgkmcnt(4)
	v_lshlrev_b32_e32 v14, 2, v32
	v_mov_b32_e32 v15, 0
	s_waitcnt lgkmcnt(3)
	v_cndmask_b32_e32 v13, v7, v9, vcc
	v_cndmask_b32_e32 v12, v6, v8, vcc
	v_lshl_add_u64 v[12:13], v[12:13], 0, v[14:15]
	s_waitcnt lgkmcnt(2)
	global_store_dword v[12:13], v10, off
	s_or_b64 exec, exec, s[0:1]
	v_cmp_gt_u32_e32 vcc, s33, v31
	s_and_saveexec_b64 s[0:1], vcc
	s_cbranch_execz .LBB634_124
.LBB634_144:
	v_cmp_lt_u32_e32 vcc, v31, v42
	s_waitcnt lgkmcnt(4)
	v_lshlrev_b32_e32 v14, 2, v31
	v_mov_b32_e32 v15, 0
	s_waitcnt lgkmcnt(3)
	v_cndmask_b32_e32 v13, v7, v9, vcc
	v_cndmask_b32_e32 v12, v6, v8, vcc
	v_lshl_add_u64 v[12:13], v[12:13], 0, v[14:15]
	s_waitcnt lgkmcnt(2)
	global_store_dword v[12:13], v11, off
	s_or_b64 exec, exec, s[0:1]
	v_cmp_gt_u32_e32 vcc, s33, v30
	s_and_saveexec_b64 s[0:1], vcc
	s_cbranch_execz .LBB634_125
.LBB634_145:
	v_cmp_lt_u32_e32 vcc, v30, v42
	s_waitcnt lgkmcnt(3)
	v_lshlrev_b32_e32 v12, 2, v30
	v_mov_b32_e32 v13, 0
	s_waitcnt lgkmcnt(2)
	v_cndmask_b32_e32 v11, v7, v9, vcc
	v_cndmask_b32_e32 v10, v6, v8, vcc
	v_lshl_add_u64 v[10:11], v[10:11], 0, v[12:13]
	s_waitcnt lgkmcnt(1)
	global_store_dword v[10:11], v4, off
	s_or_b64 exec, exec, s[0:1]
	v_cmp_gt_u32_e32 vcc, s33, v29
	s_and_saveexec_b64 s[0:1], vcc
	s_cbranch_execnz .LBB634_126
	s_branch .LBB634_127
	.section	.rodata,"a",@progbits
	.p2align	6, 0x0
	.amdhsa_kernel _ZN7rocprim17ROCPRIM_400000_NS6detail17trampoline_kernelINS0_14default_configENS1_25partition_config_selectorILNS1_17partition_subalgoE1EiNS0_10empty_typeEbEEZZNS1_14partition_implILS5_1ELb0ES3_jN6thrust23THRUST_200600_302600_NS6detail15normal_iteratorINSA_10device_ptrIiEEEEPS6_NSA_18transform_iteratorINSA_8identityIiEESF_NSA_11use_defaultESK_EENS0_5tupleIJSF_SF_EEENSM_IJSG_SG_EEES6_PlJS6_EEE10hipError_tPvRmT3_T4_T5_T6_T7_T9_mT8_P12ihipStream_tbDpT10_ENKUlT_T0_E_clISt17integral_constantIbLb0EES18_IbLb1EEEEDaS14_S15_EUlS14_E_NS1_11comp_targetILNS1_3genE5ELNS1_11target_archE942ELNS1_3gpuE9ELNS1_3repE0EEENS1_30default_config_static_selectorELNS0_4arch9wavefront6targetE1EEEvT1_
		.amdhsa_group_segment_fixed_size 30728
		.amdhsa_private_segment_fixed_size 0
		.amdhsa_kernarg_size 144
		.amdhsa_user_sgpr_count 2
		.amdhsa_user_sgpr_dispatch_ptr 0
		.amdhsa_user_sgpr_queue_ptr 0
		.amdhsa_user_sgpr_kernarg_segment_ptr 1
		.amdhsa_user_sgpr_dispatch_id 0
		.amdhsa_user_sgpr_kernarg_preload_length 0
		.amdhsa_user_sgpr_kernarg_preload_offset 0
		.amdhsa_user_sgpr_private_segment_size 0
		.amdhsa_uses_dynamic_stack 0
		.amdhsa_enable_private_segment 0
		.amdhsa_system_sgpr_workgroup_id_x 1
		.amdhsa_system_sgpr_workgroup_id_y 0
		.amdhsa_system_sgpr_workgroup_id_z 0
		.amdhsa_system_sgpr_workgroup_info 0
		.amdhsa_system_vgpr_workitem_id 0
		.amdhsa_next_free_vgpr 69
		.amdhsa_next_free_sgpr 44
		.amdhsa_accum_offset 72
		.amdhsa_reserve_vcc 1
		.amdhsa_float_round_mode_32 0
		.amdhsa_float_round_mode_16_64 0
		.amdhsa_float_denorm_mode_32 3
		.amdhsa_float_denorm_mode_16_64 3
		.amdhsa_dx10_clamp 1
		.amdhsa_ieee_mode 1
		.amdhsa_fp16_overflow 0
		.amdhsa_tg_split 0
		.amdhsa_exception_fp_ieee_invalid_op 0
		.amdhsa_exception_fp_denorm_src 0
		.amdhsa_exception_fp_ieee_div_zero 0
		.amdhsa_exception_fp_ieee_overflow 0
		.amdhsa_exception_fp_ieee_underflow 0
		.amdhsa_exception_fp_ieee_inexact 0
		.amdhsa_exception_int_div_zero 0
	.end_amdhsa_kernel
	.section	.text._ZN7rocprim17ROCPRIM_400000_NS6detail17trampoline_kernelINS0_14default_configENS1_25partition_config_selectorILNS1_17partition_subalgoE1EiNS0_10empty_typeEbEEZZNS1_14partition_implILS5_1ELb0ES3_jN6thrust23THRUST_200600_302600_NS6detail15normal_iteratorINSA_10device_ptrIiEEEEPS6_NSA_18transform_iteratorINSA_8identityIiEESF_NSA_11use_defaultESK_EENS0_5tupleIJSF_SF_EEENSM_IJSG_SG_EEES6_PlJS6_EEE10hipError_tPvRmT3_T4_T5_T6_T7_T9_mT8_P12ihipStream_tbDpT10_ENKUlT_T0_E_clISt17integral_constantIbLb0EES18_IbLb1EEEEDaS14_S15_EUlS14_E_NS1_11comp_targetILNS1_3genE5ELNS1_11target_archE942ELNS1_3gpuE9ELNS1_3repE0EEENS1_30default_config_static_selectorELNS0_4arch9wavefront6targetE1EEEvT1_,"axG",@progbits,_ZN7rocprim17ROCPRIM_400000_NS6detail17trampoline_kernelINS0_14default_configENS1_25partition_config_selectorILNS1_17partition_subalgoE1EiNS0_10empty_typeEbEEZZNS1_14partition_implILS5_1ELb0ES3_jN6thrust23THRUST_200600_302600_NS6detail15normal_iteratorINSA_10device_ptrIiEEEEPS6_NSA_18transform_iteratorINSA_8identityIiEESF_NSA_11use_defaultESK_EENS0_5tupleIJSF_SF_EEENSM_IJSG_SG_EEES6_PlJS6_EEE10hipError_tPvRmT3_T4_T5_T6_T7_T9_mT8_P12ihipStream_tbDpT10_ENKUlT_T0_E_clISt17integral_constantIbLb0EES18_IbLb1EEEEDaS14_S15_EUlS14_E_NS1_11comp_targetILNS1_3genE5ELNS1_11target_archE942ELNS1_3gpuE9ELNS1_3repE0EEENS1_30default_config_static_selectorELNS0_4arch9wavefront6targetE1EEEvT1_,comdat
.Lfunc_end634:
	.size	_ZN7rocprim17ROCPRIM_400000_NS6detail17trampoline_kernelINS0_14default_configENS1_25partition_config_selectorILNS1_17partition_subalgoE1EiNS0_10empty_typeEbEEZZNS1_14partition_implILS5_1ELb0ES3_jN6thrust23THRUST_200600_302600_NS6detail15normal_iteratorINSA_10device_ptrIiEEEEPS6_NSA_18transform_iteratorINSA_8identityIiEESF_NSA_11use_defaultESK_EENS0_5tupleIJSF_SF_EEENSM_IJSG_SG_EEES6_PlJS6_EEE10hipError_tPvRmT3_T4_T5_T6_T7_T9_mT8_P12ihipStream_tbDpT10_ENKUlT_T0_E_clISt17integral_constantIbLb0EES18_IbLb1EEEEDaS14_S15_EUlS14_E_NS1_11comp_targetILNS1_3genE5ELNS1_11target_archE942ELNS1_3gpuE9ELNS1_3repE0EEENS1_30default_config_static_selectorELNS0_4arch9wavefront6targetE1EEEvT1_, .Lfunc_end634-_ZN7rocprim17ROCPRIM_400000_NS6detail17trampoline_kernelINS0_14default_configENS1_25partition_config_selectorILNS1_17partition_subalgoE1EiNS0_10empty_typeEbEEZZNS1_14partition_implILS5_1ELb0ES3_jN6thrust23THRUST_200600_302600_NS6detail15normal_iteratorINSA_10device_ptrIiEEEEPS6_NSA_18transform_iteratorINSA_8identityIiEESF_NSA_11use_defaultESK_EENS0_5tupleIJSF_SF_EEENSM_IJSG_SG_EEES6_PlJS6_EEE10hipError_tPvRmT3_T4_T5_T6_T7_T9_mT8_P12ihipStream_tbDpT10_ENKUlT_T0_E_clISt17integral_constantIbLb0EES18_IbLb1EEEEDaS14_S15_EUlS14_E_NS1_11comp_targetILNS1_3genE5ELNS1_11target_archE942ELNS1_3gpuE9ELNS1_3repE0EEENS1_30default_config_static_selectorELNS0_4arch9wavefront6targetE1EEEvT1_
                                        ; -- End function
	.section	.AMDGPU.csdata,"",@progbits
; Kernel info:
; codeLenInByte = 8248
; NumSgprs: 50
; NumVgprs: 69
; NumAgprs: 0
; TotalNumVgprs: 69
; ScratchSize: 0
; MemoryBound: 0
; FloatMode: 240
; IeeeMode: 1
; LDSByteSize: 30728 bytes/workgroup (compile time only)
; SGPRBlocks: 6
; VGPRBlocks: 8
; NumSGPRsForWavesPerEU: 50
; NumVGPRsForWavesPerEU: 69
; AccumOffset: 72
; Occupancy: 4
; WaveLimiterHint : 1
; COMPUTE_PGM_RSRC2:SCRATCH_EN: 0
; COMPUTE_PGM_RSRC2:USER_SGPR: 2
; COMPUTE_PGM_RSRC2:TRAP_HANDLER: 0
; COMPUTE_PGM_RSRC2:TGID_X_EN: 1
; COMPUTE_PGM_RSRC2:TGID_Y_EN: 0
; COMPUTE_PGM_RSRC2:TGID_Z_EN: 0
; COMPUTE_PGM_RSRC2:TIDIG_COMP_CNT: 0
; COMPUTE_PGM_RSRC3_GFX90A:ACCUM_OFFSET: 17
; COMPUTE_PGM_RSRC3_GFX90A:TG_SPLIT: 0
	.section	.text._ZN7rocprim17ROCPRIM_400000_NS6detail17trampoline_kernelINS0_14default_configENS1_25partition_config_selectorILNS1_17partition_subalgoE1EiNS0_10empty_typeEbEEZZNS1_14partition_implILS5_1ELb0ES3_jN6thrust23THRUST_200600_302600_NS6detail15normal_iteratorINSA_10device_ptrIiEEEEPS6_NSA_18transform_iteratorINSA_8identityIiEESF_NSA_11use_defaultESK_EENS0_5tupleIJSF_SF_EEENSM_IJSG_SG_EEES6_PlJS6_EEE10hipError_tPvRmT3_T4_T5_T6_T7_T9_mT8_P12ihipStream_tbDpT10_ENKUlT_T0_E_clISt17integral_constantIbLb0EES18_IbLb1EEEEDaS14_S15_EUlS14_E_NS1_11comp_targetILNS1_3genE4ELNS1_11target_archE910ELNS1_3gpuE8ELNS1_3repE0EEENS1_30default_config_static_selectorELNS0_4arch9wavefront6targetE1EEEvT1_,"axG",@progbits,_ZN7rocprim17ROCPRIM_400000_NS6detail17trampoline_kernelINS0_14default_configENS1_25partition_config_selectorILNS1_17partition_subalgoE1EiNS0_10empty_typeEbEEZZNS1_14partition_implILS5_1ELb0ES3_jN6thrust23THRUST_200600_302600_NS6detail15normal_iteratorINSA_10device_ptrIiEEEEPS6_NSA_18transform_iteratorINSA_8identityIiEESF_NSA_11use_defaultESK_EENS0_5tupleIJSF_SF_EEENSM_IJSG_SG_EEES6_PlJS6_EEE10hipError_tPvRmT3_T4_T5_T6_T7_T9_mT8_P12ihipStream_tbDpT10_ENKUlT_T0_E_clISt17integral_constantIbLb0EES18_IbLb1EEEEDaS14_S15_EUlS14_E_NS1_11comp_targetILNS1_3genE4ELNS1_11target_archE910ELNS1_3gpuE8ELNS1_3repE0EEENS1_30default_config_static_selectorELNS0_4arch9wavefront6targetE1EEEvT1_,comdat
	.protected	_ZN7rocprim17ROCPRIM_400000_NS6detail17trampoline_kernelINS0_14default_configENS1_25partition_config_selectorILNS1_17partition_subalgoE1EiNS0_10empty_typeEbEEZZNS1_14partition_implILS5_1ELb0ES3_jN6thrust23THRUST_200600_302600_NS6detail15normal_iteratorINSA_10device_ptrIiEEEEPS6_NSA_18transform_iteratorINSA_8identityIiEESF_NSA_11use_defaultESK_EENS0_5tupleIJSF_SF_EEENSM_IJSG_SG_EEES6_PlJS6_EEE10hipError_tPvRmT3_T4_T5_T6_T7_T9_mT8_P12ihipStream_tbDpT10_ENKUlT_T0_E_clISt17integral_constantIbLb0EES18_IbLb1EEEEDaS14_S15_EUlS14_E_NS1_11comp_targetILNS1_3genE4ELNS1_11target_archE910ELNS1_3gpuE8ELNS1_3repE0EEENS1_30default_config_static_selectorELNS0_4arch9wavefront6targetE1EEEvT1_ ; -- Begin function _ZN7rocprim17ROCPRIM_400000_NS6detail17trampoline_kernelINS0_14default_configENS1_25partition_config_selectorILNS1_17partition_subalgoE1EiNS0_10empty_typeEbEEZZNS1_14partition_implILS5_1ELb0ES3_jN6thrust23THRUST_200600_302600_NS6detail15normal_iteratorINSA_10device_ptrIiEEEEPS6_NSA_18transform_iteratorINSA_8identityIiEESF_NSA_11use_defaultESK_EENS0_5tupleIJSF_SF_EEENSM_IJSG_SG_EEES6_PlJS6_EEE10hipError_tPvRmT3_T4_T5_T6_T7_T9_mT8_P12ihipStream_tbDpT10_ENKUlT_T0_E_clISt17integral_constantIbLb0EES18_IbLb1EEEEDaS14_S15_EUlS14_E_NS1_11comp_targetILNS1_3genE4ELNS1_11target_archE910ELNS1_3gpuE8ELNS1_3repE0EEENS1_30default_config_static_selectorELNS0_4arch9wavefront6targetE1EEEvT1_
	.globl	_ZN7rocprim17ROCPRIM_400000_NS6detail17trampoline_kernelINS0_14default_configENS1_25partition_config_selectorILNS1_17partition_subalgoE1EiNS0_10empty_typeEbEEZZNS1_14partition_implILS5_1ELb0ES3_jN6thrust23THRUST_200600_302600_NS6detail15normal_iteratorINSA_10device_ptrIiEEEEPS6_NSA_18transform_iteratorINSA_8identityIiEESF_NSA_11use_defaultESK_EENS0_5tupleIJSF_SF_EEENSM_IJSG_SG_EEES6_PlJS6_EEE10hipError_tPvRmT3_T4_T5_T6_T7_T9_mT8_P12ihipStream_tbDpT10_ENKUlT_T0_E_clISt17integral_constantIbLb0EES18_IbLb1EEEEDaS14_S15_EUlS14_E_NS1_11comp_targetILNS1_3genE4ELNS1_11target_archE910ELNS1_3gpuE8ELNS1_3repE0EEENS1_30default_config_static_selectorELNS0_4arch9wavefront6targetE1EEEvT1_
	.p2align	8
	.type	_ZN7rocprim17ROCPRIM_400000_NS6detail17trampoline_kernelINS0_14default_configENS1_25partition_config_selectorILNS1_17partition_subalgoE1EiNS0_10empty_typeEbEEZZNS1_14partition_implILS5_1ELb0ES3_jN6thrust23THRUST_200600_302600_NS6detail15normal_iteratorINSA_10device_ptrIiEEEEPS6_NSA_18transform_iteratorINSA_8identityIiEESF_NSA_11use_defaultESK_EENS0_5tupleIJSF_SF_EEENSM_IJSG_SG_EEES6_PlJS6_EEE10hipError_tPvRmT3_T4_T5_T6_T7_T9_mT8_P12ihipStream_tbDpT10_ENKUlT_T0_E_clISt17integral_constantIbLb0EES18_IbLb1EEEEDaS14_S15_EUlS14_E_NS1_11comp_targetILNS1_3genE4ELNS1_11target_archE910ELNS1_3gpuE8ELNS1_3repE0EEENS1_30default_config_static_selectorELNS0_4arch9wavefront6targetE1EEEvT1_,@function
_ZN7rocprim17ROCPRIM_400000_NS6detail17trampoline_kernelINS0_14default_configENS1_25partition_config_selectorILNS1_17partition_subalgoE1EiNS0_10empty_typeEbEEZZNS1_14partition_implILS5_1ELb0ES3_jN6thrust23THRUST_200600_302600_NS6detail15normal_iteratorINSA_10device_ptrIiEEEEPS6_NSA_18transform_iteratorINSA_8identityIiEESF_NSA_11use_defaultESK_EENS0_5tupleIJSF_SF_EEENSM_IJSG_SG_EEES6_PlJS6_EEE10hipError_tPvRmT3_T4_T5_T6_T7_T9_mT8_P12ihipStream_tbDpT10_ENKUlT_T0_E_clISt17integral_constantIbLb0EES18_IbLb1EEEEDaS14_S15_EUlS14_E_NS1_11comp_targetILNS1_3genE4ELNS1_11target_archE910ELNS1_3gpuE8ELNS1_3repE0EEENS1_30default_config_static_selectorELNS0_4arch9wavefront6targetE1EEEvT1_: ; @_ZN7rocprim17ROCPRIM_400000_NS6detail17trampoline_kernelINS0_14default_configENS1_25partition_config_selectorILNS1_17partition_subalgoE1EiNS0_10empty_typeEbEEZZNS1_14partition_implILS5_1ELb0ES3_jN6thrust23THRUST_200600_302600_NS6detail15normal_iteratorINSA_10device_ptrIiEEEEPS6_NSA_18transform_iteratorINSA_8identityIiEESF_NSA_11use_defaultESK_EENS0_5tupleIJSF_SF_EEENSM_IJSG_SG_EEES6_PlJS6_EEE10hipError_tPvRmT3_T4_T5_T6_T7_T9_mT8_P12ihipStream_tbDpT10_ENKUlT_T0_E_clISt17integral_constantIbLb0EES18_IbLb1EEEEDaS14_S15_EUlS14_E_NS1_11comp_targetILNS1_3genE4ELNS1_11target_archE910ELNS1_3gpuE8ELNS1_3repE0EEENS1_30default_config_static_selectorELNS0_4arch9wavefront6targetE1EEEvT1_
; %bb.0:
	.section	.rodata,"a",@progbits
	.p2align	6, 0x0
	.amdhsa_kernel _ZN7rocprim17ROCPRIM_400000_NS6detail17trampoline_kernelINS0_14default_configENS1_25partition_config_selectorILNS1_17partition_subalgoE1EiNS0_10empty_typeEbEEZZNS1_14partition_implILS5_1ELb0ES3_jN6thrust23THRUST_200600_302600_NS6detail15normal_iteratorINSA_10device_ptrIiEEEEPS6_NSA_18transform_iteratorINSA_8identityIiEESF_NSA_11use_defaultESK_EENS0_5tupleIJSF_SF_EEENSM_IJSG_SG_EEES6_PlJS6_EEE10hipError_tPvRmT3_T4_T5_T6_T7_T9_mT8_P12ihipStream_tbDpT10_ENKUlT_T0_E_clISt17integral_constantIbLb0EES18_IbLb1EEEEDaS14_S15_EUlS14_E_NS1_11comp_targetILNS1_3genE4ELNS1_11target_archE910ELNS1_3gpuE8ELNS1_3repE0EEENS1_30default_config_static_selectorELNS0_4arch9wavefront6targetE1EEEvT1_
		.amdhsa_group_segment_fixed_size 0
		.amdhsa_private_segment_fixed_size 0
		.amdhsa_kernarg_size 144
		.amdhsa_user_sgpr_count 2
		.amdhsa_user_sgpr_dispatch_ptr 0
		.amdhsa_user_sgpr_queue_ptr 0
		.amdhsa_user_sgpr_kernarg_segment_ptr 1
		.amdhsa_user_sgpr_dispatch_id 0
		.amdhsa_user_sgpr_kernarg_preload_length 0
		.amdhsa_user_sgpr_kernarg_preload_offset 0
		.amdhsa_user_sgpr_private_segment_size 0
		.amdhsa_uses_dynamic_stack 0
		.amdhsa_enable_private_segment 0
		.amdhsa_system_sgpr_workgroup_id_x 1
		.amdhsa_system_sgpr_workgroup_id_y 0
		.amdhsa_system_sgpr_workgroup_id_z 0
		.amdhsa_system_sgpr_workgroup_info 0
		.amdhsa_system_vgpr_workitem_id 0
		.amdhsa_next_free_vgpr 1
		.amdhsa_next_free_sgpr 0
		.amdhsa_accum_offset 4
		.amdhsa_reserve_vcc 0
		.amdhsa_float_round_mode_32 0
		.amdhsa_float_round_mode_16_64 0
		.amdhsa_float_denorm_mode_32 3
		.amdhsa_float_denorm_mode_16_64 3
		.amdhsa_dx10_clamp 1
		.amdhsa_ieee_mode 1
		.amdhsa_fp16_overflow 0
		.amdhsa_tg_split 0
		.amdhsa_exception_fp_ieee_invalid_op 0
		.amdhsa_exception_fp_denorm_src 0
		.amdhsa_exception_fp_ieee_div_zero 0
		.amdhsa_exception_fp_ieee_overflow 0
		.amdhsa_exception_fp_ieee_underflow 0
		.amdhsa_exception_fp_ieee_inexact 0
		.amdhsa_exception_int_div_zero 0
	.end_amdhsa_kernel
	.section	.text._ZN7rocprim17ROCPRIM_400000_NS6detail17trampoline_kernelINS0_14default_configENS1_25partition_config_selectorILNS1_17partition_subalgoE1EiNS0_10empty_typeEbEEZZNS1_14partition_implILS5_1ELb0ES3_jN6thrust23THRUST_200600_302600_NS6detail15normal_iteratorINSA_10device_ptrIiEEEEPS6_NSA_18transform_iteratorINSA_8identityIiEESF_NSA_11use_defaultESK_EENS0_5tupleIJSF_SF_EEENSM_IJSG_SG_EEES6_PlJS6_EEE10hipError_tPvRmT3_T4_T5_T6_T7_T9_mT8_P12ihipStream_tbDpT10_ENKUlT_T0_E_clISt17integral_constantIbLb0EES18_IbLb1EEEEDaS14_S15_EUlS14_E_NS1_11comp_targetILNS1_3genE4ELNS1_11target_archE910ELNS1_3gpuE8ELNS1_3repE0EEENS1_30default_config_static_selectorELNS0_4arch9wavefront6targetE1EEEvT1_,"axG",@progbits,_ZN7rocprim17ROCPRIM_400000_NS6detail17trampoline_kernelINS0_14default_configENS1_25partition_config_selectorILNS1_17partition_subalgoE1EiNS0_10empty_typeEbEEZZNS1_14partition_implILS5_1ELb0ES3_jN6thrust23THRUST_200600_302600_NS6detail15normal_iteratorINSA_10device_ptrIiEEEEPS6_NSA_18transform_iteratorINSA_8identityIiEESF_NSA_11use_defaultESK_EENS0_5tupleIJSF_SF_EEENSM_IJSG_SG_EEES6_PlJS6_EEE10hipError_tPvRmT3_T4_T5_T6_T7_T9_mT8_P12ihipStream_tbDpT10_ENKUlT_T0_E_clISt17integral_constantIbLb0EES18_IbLb1EEEEDaS14_S15_EUlS14_E_NS1_11comp_targetILNS1_3genE4ELNS1_11target_archE910ELNS1_3gpuE8ELNS1_3repE0EEENS1_30default_config_static_selectorELNS0_4arch9wavefront6targetE1EEEvT1_,comdat
.Lfunc_end635:
	.size	_ZN7rocprim17ROCPRIM_400000_NS6detail17trampoline_kernelINS0_14default_configENS1_25partition_config_selectorILNS1_17partition_subalgoE1EiNS0_10empty_typeEbEEZZNS1_14partition_implILS5_1ELb0ES3_jN6thrust23THRUST_200600_302600_NS6detail15normal_iteratorINSA_10device_ptrIiEEEEPS6_NSA_18transform_iteratorINSA_8identityIiEESF_NSA_11use_defaultESK_EENS0_5tupleIJSF_SF_EEENSM_IJSG_SG_EEES6_PlJS6_EEE10hipError_tPvRmT3_T4_T5_T6_T7_T9_mT8_P12ihipStream_tbDpT10_ENKUlT_T0_E_clISt17integral_constantIbLb0EES18_IbLb1EEEEDaS14_S15_EUlS14_E_NS1_11comp_targetILNS1_3genE4ELNS1_11target_archE910ELNS1_3gpuE8ELNS1_3repE0EEENS1_30default_config_static_selectorELNS0_4arch9wavefront6targetE1EEEvT1_, .Lfunc_end635-_ZN7rocprim17ROCPRIM_400000_NS6detail17trampoline_kernelINS0_14default_configENS1_25partition_config_selectorILNS1_17partition_subalgoE1EiNS0_10empty_typeEbEEZZNS1_14partition_implILS5_1ELb0ES3_jN6thrust23THRUST_200600_302600_NS6detail15normal_iteratorINSA_10device_ptrIiEEEEPS6_NSA_18transform_iteratorINSA_8identityIiEESF_NSA_11use_defaultESK_EENS0_5tupleIJSF_SF_EEENSM_IJSG_SG_EEES6_PlJS6_EEE10hipError_tPvRmT3_T4_T5_T6_T7_T9_mT8_P12ihipStream_tbDpT10_ENKUlT_T0_E_clISt17integral_constantIbLb0EES18_IbLb1EEEEDaS14_S15_EUlS14_E_NS1_11comp_targetILNS1_3genE4ELNS1_11target_archE910ELNS1_3gpuE8ELNS1_3repE0EEENS1_30default_config_static_selectorELNS0_4arch9wavefront6targetE1EEEvT1_
                                        ; -- End function
	.section	.AMDGPU.csdata,"",@progbits
; Kernel info:
; codeLenInByte = 0
; NumSgprs: 6
; NumVgprs: 0
; NumAgprs: 0
; TotalNumVgprs: 0
; ScratchSize: 0
; MemoryBound: 0
; FloatMode: 240
; IeeeMode: 1
; LDSByteSize: 0 bytes/workgroup (compile time only)
; SGPRBlocks: 0
; VGPRBlocks: 0
; NumSGPRsForWavesPerEU: 6
; NumVGPRsForWavesPerEU: 1
; AccumOffset: 4
; Occupancy: 8
; WaveLimiterHint : 0
; COMPUTE_PGM_RSRC2:SCRATCH_EN: 0
; COMPUTE_PGM_RSRC2:USER_SGPR: 2
; COMPUTE_PGM_RSRC2:TRAP_HANDLER: 0
; COMPUTE_PGM_RSRC2:TGID_X_EN: 1
; COMPUTE_PGM_RSRC2:TGID_Y_EN: 0
; COMPUTE_PGM_RSRC2:TGID_Z_EN: 0
; COMPUTE_PGM_RSRC2:TIDIG_COMP_CNT: 0
; COMPUTE_PGM_RSRC3_GFX90A:ACCUM_OFFSET: 0
; COMPUTE_PGM_RSRC3_GFX90A:TG_SPLIT: 0
	.section	.text._ZN7rocprim17ROCPRIM_400000_NS6detail17trampoline_kernelINS0_14default_configENS1_25partition_config_selectorILNS1_17partition_subalgoE1EiNS0_10empty_typeEbEEZZNS1_14partition_implILS5_1ELb0ES3_jN6thrust23THRUST_200600_302600_NS6detail15normal_iteratorINSA_10device_ptrIiEEEEPS6_NSA_18transform_iteratorINSA_8identityIiEESF_NSA_11use_defaultESK_EENS0_5tupleIJSF_SF_EEENSM_IJSG_SG_EEES6_PlJS6_EEE10hipError_tPvRmT3_T4_T5_T6_T7_T9_mT8_P12ihipStream_tbDpT10_ENKUlT_T0_E_clISt17integral_constantIbLb0EES18_IbLb1EEEEDaS14_S15_EUlS14_E_NS1_11comp_targetILNS1_3genE3ELNS1_11target_archE908ELNS1_3gpuE7ELNS1_3repE0EEENS1_30default_config_static_selectorELNS0_4arch9wavefront6targetE1EEEvT1_,"axG",@progbits,_ZN7rocprim17ROCPRIM_400000_NS6detail17trampoline_kernelINS0_14default_configENS1_25partition_config_selectorILNS1_17partition_subalgoE1EiNS0_10empty_typeEbEEZZNS1_14partition_implILS5_1ELb0ES3_jN6thrust23THRUST_200600_302600_NS6detail15normal_iteratorINSA_10device_ptrIiEEEEPS6_NSA_18transform_iteratorINSA_8identityIiEESF_NSA_11use_defaultESK_EENS0_5tupleIJSF_SF_EEENSM_IJSG_SG_EEES6_PlJS6_EEE10hipError_tPvRmT3_T4_T5_T6_T7_T9_mT8_P12ihipStream_tbDpT10_ENKUlT_T0_E_clISt17integral_constantIbLb0EES18_IbLb1EEEEDaS14_S15_EUlS14_E_NS1_11comp_targetILNS1_3genE3ELNS1_11target_archE908ELNS1_3gpuE7ELNS1_3repE0EEENS1_30default_config_static_selectorELNS0_4arch9wavefront6targetE1EEEvT1_,comdat
	.protected	_ZN7rocprim17ROCPRIM_400000_NS6detail17trampoline_kernelINS0_14default_configENS1_25partition_config_selectorILNS1_17partition_subalgoE1EiNS0_10empty_typeEbEEZZNS1_14partition_implILS5_1ELb0ES3_jN6thrust23THRUST_200600_302600_NS6detail15normal_iteratorINSA_10device_ptrIiEEEEPS6_NSA_18transform_iteratorINSA_8identityIiEESF_NSA_11use_defaultESK_EENS0_5tupleIJSF_SF_EEENSM_IJSG_SG_EEES6_PlJS6_EEE10hipError_tPvRmT3_T4_T5_T6_T7_T9_mT8_P12ihipStream_tbDpT10_ENKUlT_T0_E_clISt17integral_constantIbLb0EES18_IbLb1EEEEDaS14_S15_EUlS14_E_NS1_11comp_targetILNS1_3genE3ELNS1_11target_archE908ELNS1_3gpuE7ELNS1_3repE0EEENS1_30default_config_static_selectorELNS0_4arch9wavefront6targetE1EEEvT1_ ; -- Begin function _ZN7rocprim17ROCPRIM_400000_NS6detail17trampoline_kernelINS0_14default_configENS1_25partition_config_selectorILNS1_17partition_subalgoE1EiNS0_10empty_typeEbEEZZNS1_14partition_implILS5_1ELb0ES3_jN6thrust23THRUST_200600_302600_NS6detail15normal_iteratorINSA_10device_ptrIiEEEEPS6_NSA_18transform_iteratorINSA_8identityIiEESF_NSA_11use_defaultESK_EENS0_5tupleIJSF_SF_EEENSM_IJSG_SG_EEES6_PlJS6_EEE10hipError_tPvRmT3_T4_T5_T6_T7_T9_mT8_P12ihipStream_tbDpT10_ENKUlT_T0_E_clISt17integral_constantIbLb0EES18_IbLb1EEEEDaS14_S15_EUlS14_E_NS1_11comp_targetILNS1_3genE3ELNS1_11target_archE908ELNS1_3gpuE7ELNS1_3repE0EEENS1_30default_config_static_selectorELNS0_4arch9wavefront6targetE1EEEvT1_
	.globl	_ZN7rocprim17ROCPRIM_400000_NS6detail17trampoline_kernelINS0_14default_configENS1_25partition_config_selectorILNS1_17partition_subalgoE1EiNS0_10empty_typeEbEEZZNS1_14partition_implILS5_1ELb0ES3_jN6thrust23THRUST_200600_302600_NS6detail15normal_iteratorINSA_10device_ptrIiEEEEPS6_NSA_18transform_iteratorINSA_8identityIiEESF_NSA_11use_defaultESK_EENS0_5tupleIJSF_SF_EEENSM_IJSG_SG_EEES6_PlJS6_EEE10hipError_tPvRmT3_T4_T5_T6_T7_T9_mT8_P12ihipStream_tbDpT10_ENKUlT_T0_E_clISt17integral_constantIbLb0EES18_IbLb1EEEEDaS14_S15_EUlS14_E_NS1_11comp_targetILNS1_3genE3ELNS1_11target_archE908ELNS1_3gpuE7ELNS1_3repE0EEENS1_30default_config_static_selectorELNS0_4arch9wavefront6targetE1EEEvT1_
	.p2align	8
	.type	_ZN7rocprim17ROCPRIM_400000_NS6detail17trampoline_kernelINS0_14default_configENS1_25partition_config_selectorILNS1_17partition_subalgoE1EiNS0_10empty_typeEbEEZZNS1_14partition_implILS5_1ELb0ES3_jN6thrust23THRUST_200600_302600_NS6detail15normal_iteratorINSA_10device_ptrIiEEEEPS6_NSA_18transform_iteratorINSA_8identityIiEESF_NSA_11use_defaultESK_EENS0_5tupleIJSF_SF_EEENSM_IJSG_SG_EEES6_PlJS6_EEE10hipError_tPvRmT3_T4_T5_T6_T7_T9_mT8_P12ihipStream_tbDpT10_ENKUlT_T0_E_clISt17integral_constantIbLb0EES18_IbLb1EEEEDaS14_S15_EUlS14_E_NS1_11comp_targetILNS1_3genE3ELNS1_11target_archE908ELNS1_3gpuE7ELNS1_3repE0EEENS1_30default_config_static_selectorELNS0_4arch9wavefront6targetE1EEEvT1_,@function
_ZN7rocprim17ROCPRIM_400000_NS6detail17trampoline_kernelINS0_14default_configENS1_25partition_config_selectorILNS1_17partition_subalgoE1EiNS0_10empty_typeEbEEZZNS1_14partition_implILS5_1ELb0ES3_jN6thrust23THRUST_200600_302600_NS6detail15normal_iteratorINSA_10device_ptrIiEEEEPS6_NSA_18transform_iteratorINSA_8identityIiEESF_NSA_11use_defaultESK_EENS0_5tupleIJSF_SF_EEENSM_IJSG_SG_EEES6_PlJS6_EEE10hipError_tPvRmT3_T4_T5_T6_T7_T9_mT8_P12ihipStream_tbDpT10_ENKUlT_T0_E_clISt17integral_constantIbLb0EES18_IbLb1EEEEDaS14_S15_EUlS14_E_NS1_11comp_targetILNS1_3genE3ELNS1_11target_archE908ELNS1_3gpuE7ELNS1_3repE0EEENS1_30default_config_static_selectorELNS0_4arch9wavefront6targetE1EEEvT1_: ; @_ZN7rocprim17ROCPRIM_400000_NS6detail17trampoline_kernelINS0_14default_configENS1_25partition_config_selectorILNS1_17partition_subalgoE1EiNS0_10empty_typeEbEEZZNS1_14partition_implILS5_1ELb0ES3_jN6thrust23THRUST_200600_302600_NS6detail15normal_iteratorINSA_10device_ptrIiEEEEPS6_NSA_18transform_iteratorINSA_8identityIiEESF_NSA_11use_defaultESK_EENS0_5tupleIJSF_SF_EEENSM_IJSG_SG_EEES6_PlJS6_EEE10hipError_tPvRmT3_T4_T5_T6_T7_T9_mT8_P12ihipStream_tbDpT10_ENKUlT_T0_E_clISt17integral_constantIbLb0EES18_IbLb1EEEEDaS14_S15_EUlS14_E_NS1_11comp_targetILNS1_3genE3ELNS1_11target_archE908ELNS1_3gpuE7ELNS1_3repE0EEENS1_30default_config_static_selectorELNS0_4arch9wavefront6targetE1EEEvT1_
; %bb.0:
	.section	.rodata,"a",@progbits
	.p2align	6, 0x0
	.amdhsa_kernel _ZN7rocprim17ROCPRIM_400000_NS6detail17trampoline_kernelINS0_14default_configENS1_25partition_config_selectorILNS1_17partition_subalgoE1EiNS0_10empty_typeEbEEZZNS1_14partition_implILS5_1ELb0ES3_jN6thrust23THRUST_200600_302600_NS6detail15normal_iteratorINSA_10device_ptrIiEEEEPS6_NSA_18transform_iteratorINSA_8identityIiEESF_NSA_11use_defaultESK_EENS0_5tupleIJSF_SF_EEENSM_IJSG_SG_EEES6_PlJS6_EEE10hipError_tPvRmT3_T4_T5_T6_T7_T9_mT8_P12ihipStream_tbDpT10_ENKUlT_T0_E_clISt17integral_constantIbLb0EES18_IbLb1EEEEDaS14_S15_EUlS14_E_NS1_11comp_targetILNS1_3genE3ELNS1_11target_archE908ELNS1_3gpuE7ELNS1_3repE0EEENS1_30default_config_static_selectorELNS0_4arch9wavefront6targetE1EEEvT1_
		.amdhsa_group_segment_fixed_size 0
		.amdhsa_private_segment_fixed_size 0
		.amdhsa_kernarg_size 144
		.amdhsa_user_sgpr_count 2
		.amdhsa_user_sgpr_dispatch_ptr 0
		.amdhsa_user_sgpr_queue_ptr 0
		.amdhsa_user_sgpr_kernarg_segment_ptr 1
		.amdhsa_user_sgpr_dispatch_id 0
		.amdhsa_user_sgpr_kernarg_preload_length 0
		.amdhsa_user_sgpr_kernarg_preload_offset 0
		.amdhsa_user_sgpr_private_segment_size 0
		.amdhsa_uses_dynamic_stack 0
		.amdhsa_enable_private_segment 0
		.amdhsa_system_sgpr_workgroup_id_x 1
		.amdhsa_system_sgpr_workgroup_id_y 0
		.amdhsa_system_sgpr_workgroup_id_z 0
		.amdhsa_system_sgpr_workgroup_info 0
		.amdhsa_system_vgpr_workitem_id 0
		.amdhsa_next_free_vgpr 1
		.amdhsa_next_free_sgpr 0
		.amdhsa_accum_offset 4
		.amdhsa_reserve_vcc 0
		.amdhsa_float_round_mode_32 0
		.amdhsa_float_round_mode_16_64 0
		.amdhsa_float_denorm_mode_32 3
		.amdhsa_float_denorm_mode_16_64 3
		.amdhsa_dx10_clamp 1
		.amdhsa_ieee_mode 1
		.amdhsa_fp16_overflow 0
		.amdhsa_tg_split 0
		.amdhsa_exception_fp_ieee_invalid_op 0
		.amdhsa_exception_fp_denorm_src 0
		.amdhsa_exception_fp_ieee_div_zero 0
		.amdhsa_exception_fp_ieee_overflow 0
		.amdhsa_exception_fp_ieee_underflow 0
		.amdhsa_exception_fp_ieee_inexact 0
		.amdhsa_exception_int_div_zero 0
	.end_amdhsa_kernel
	.section	.text._ZN7rocprim17ROCPRIM_400000_NS6detail17trampoline_kernelINS0_14default_configENS1_25partition_config_selectorILNS1_17partition_subalgoE1EiNS0_10empty_typeEbEEZZNS1_14partition_implILS5_1ELb0ES3_jN6thrust23THRUST_200600_302600_NS6detail15normal_iteratorINSA_10device_ptrIiEEEEPS6_NSA_18transform_iteratorINSA_8identityIiEESF_NSA_11use_defaultESK_EENS0_5tupleIJSF_SF_EEENSM_IJSG_SG_EEES6_PlJS6_EEE10hipError_tPvRmT3_T4_T5_T6_T7_T9_mT8_P12ihipStream_tbDpT10_ENKUlT_T0_E_clISt17integral_constantIbLb0EES18_IbLb1EEEEDaS14_S15_EUlS14_E_NS1_11comp_targetILNS1_3genE3ELNS1_11target_archE908ELNS1_3gpuE7ELNS1_3repE0EEENS1_30default_config_static_selectorELNS0_4arch9wavefront6targetE1EEEvT1_,"axG",@progbits,_ZN7rocprim17ROCPRIM_400000_NS6detail17trampoline_kernelINS0_14default_configENS1_25partition_config_selectorILNS1_17partition_subalgoE1EiNS0_10empty_typeEbEEZZNS1_14partition_implILS5_1ELb0ES3_jN6thrust23THRUST_200600_302600_NS6detail15normal_iteratorINSA_10device_ptrIiEEEEPS6_NSA_18transform_iteratorINSA_8identityIiEESF_NSA_11use_defaultESK_EENS0_5tupleIJSF_SF_EEENSM_IJSG_SG_EEES6_PlJS6_EEE10hipError_tPvRmT3_T4_T5_T6_T7_T9_mT8_P12ihipStream_tbDpT10_ENKUlT_T0_E_clISt17integral_constantIbLb0EES18_IbLb1EEEEDaS14_S15_EUlS14_E_NS1_11comp_targetILNS1_3genE3ELNS1_11target_archE908ELNS1_3gpuE7ELNS1_3repE0EEENS1_30default_config_static_selectorELNS0_4arch9wavefront6targetE1EEEvT1_,comdat
.Lfunc_end636:
	.size	_ZN7rocprim17ROCPRIM_400000_NS6detail17trampoline_kernelINS0_14default_configENS1_25partition_config_selectorILNS1_17partition_subalgoE1EiNS0_10empty_typeEbEEZZNS1_14partition_implILS5_1ELb0ES3_jN6thrust23THRUST_200600_302600_NS6detail15normal_iteratorINSA_10device_ptrIiEEEEPS6_NSA_18transform_iteratorINSA_8identityIiEESF_NSA_11use_defaultESK_EENS0_5tupleIJSF_SF_EEENSM_IJSG_SG_EEES6_PlJS6_EEE10hipError_tPvRmT3_T4_T5_T6_T7_T9_mT8_P12ihipStream_tbDpT10_ENKUlT_T0_E_clISt17integral_constantIbLb0EES18_IbLb1EEEEDaS14_S15_EUlS14_E_NS1_11comp_targetILNS1_3genE3ELNS1_11target_archE908ELNS1_3gpuE7ELNS1_3repE0EEENS1_30default_config_static_selectorELNS0_4arch9wavefront6targetE1EEEvT1_, .Lfunc_end636-_ZN7rocprim17ROCPRIM_400000_NS6detail17trampoline_kernelINS0_14default_configENS1_25partition_config_selectorILNS1_17partition_subalgoE1EiNS0_10empty_typeEbEEZZNS1_14partition_implILS5_1ELb0ES3_jN6thrust23THRUST_200600_302600_NS6detail15normal_iteratorINSA_10device_ptrIiEEEEPS6_NSA_18transform_iteratorINSA_8identityIiEESF_NSA_11use_defaultESK_EENS0_5tupleIJSF_SF_EEENSM_IJSG_SG_EEES6_PlJS6_EEE10hipError_tPvRmT3_T4_T5_T6_T7_T9_mT8_P12ihipStream_tbDpT10_ENKUlT_T0_E_clISt17integral_constantIbLb0EES18_IbLb1EEEEDaS14_S15_EUlS14_E_NS1_11comp_targetILNS1_3genE3ELNS1_11target_archE908ELNS1_3gpuE7ELNS1_3repE0EEENS1_30default_config_static_selectorELNS0_4arch9wavefront6targetE1EEEvT1_
                                        ; -- End function
	.section	.AMDGPU.csdata,"",@progbits
; Kernel info:
; codeLenInByte = 0
; NumSgprs: 6
; NumVgprs: 0
; NumAgprs: 0
; TotalNumVgprs: 0
; ScratchSize: 0
; MemoryBound: 0
; FloatMode: 240
; IeeeMode: 1
; LDSByteSize: 0 bytes/workgroup (compile time only)
; SGPRBlocks: 0
; VGPRBlocks: 0
; NumSGPRsForWavesPerEU: 6
; NumVGPRsForWavesPerEU: 1
; AccumOffset: 4
; Occupancy: 8
; WaveLimiterHint : 0
; COMPUTE_PGM_RSRC2:SCRATCH_EN: 0
; COMPUTE_PGM_RSRC2:USER_SGPR: 2
; COMPUTE_PGM_RSRC2:TRAP_HANDLER: 0
; COMPUTE_PGM_RSRC2:TGID_X_EN: 1
; COMPUTE_PGM_RSRC2:TGID_Y_EN: 0
; COMPUTE_PGM_RSRC2:TGID_Z_EN: 0
; COMPUTE_PGM_RSRC2:TIDIG_COMP_CNT: 0
; COMPUTE_PGM_RSRC3_GFX90A:ACCUM_OFFSET: 0
; COMPUTE_PGM_RSRC3_GFX90A:TG_SPLIT: 0
	.section	.text._ZN7rocprim17ROCPRIM_400000_NS6detail17trampoline_kernelINS0_14default_configENS1_25partition_config_selectorILNS1_17partition_subalgoE1EiNS0_10empty_typeEbEEZZNS1_14partition_implILS5_1ELb0ES3_jN6thrust23THRUST_200600_302600_NS6detail15normal_iteratorINSA_10device_ptrIiEEEEPS6_NSA_18transform_iteratorINSA_8identityIiEESF_NSA_11use_defaultESK_EENS0_5tupleIJSF_SF_EEENSM_IJSG_SG_EEES6_PlJS6_EEE10hipError_tPvRmT3_T4_T5_T6_T7_T9_mT8_P12ihipStream_tbDpT10_ENKUlT_T0_E_clISt17integral_constantIbLb0EES18_IbLb1EEEEDaS14_S15_EUlS14_E_NS1_11comp_targetILNS1_3genE2ELNS1_11target_archE906ELNS1_3gpuE6ELNS1_3repE0EEENS1_30default_config_static_selectorELNS0_4arch9wavefront6targetE1EEEvT1_,"axG",@progbits,_ZN7rocprim17ROCPRIM_400000_NS6detail17trampoline_kernelINS0_14default_configENS1_25partition_config_selectorILNS1_17partition_subalgoE1EiNS0_10empty_typeEbEEZZNS1_14partition_implILS5_1ELb0ES3_jN6thrust23THRUST_200600_302600_NS6detail15normal_iteratorINSA_10device_ptrIiEEEEPS6_NSA_18transform_iteratorINSA_8identityIiEESF_NSA_11use_defaultESK_EENS0_5tupleIJSF_SF_EEENSM_IJSG_SG_EEES6_PlJS6_EEE10hipError_tPvRmT3_T4_T5_T6_T7_T9_mT8_P12ihipStream_tbDpT10_ENKUlT_T0_E_clISt17integral_constantIbLb0EES18_IbLb1EEEEDaS14_S15_EUlS14_E_NS1_11comp_targetILNS1_3genE2ELNS1_11target_archE906ELNS1_3gpuE6ELNS1_3repE0EEENS1_30default_config_static_selectorELNS0_4arch9wavefront6targetE1EEEvT1_,comdat
	.protected	_ZN7rocprim17ROCPRIM_400000_NS6detail17trampoline_kernelINS0_14default_configENS1_25partition_config_selectorILNS1_17partition_subalgoE1EiNS0_10empty_typeEbEEZZNS1_14partition_implILS5_1ELb0ES3_jN6thrust23THRUST_200600_302600_NS6detail15normal_iteratorINSA_10device_ptrIiEEEEPS6_NSA_18transform_iteratorINSA_8identityIiEESF_NSA_11use_defaultESK_EENS0_5tupleIJSF_SF_EEENSM_IJSG_SG_EEES6_PlJS6_EEE10hipError_tPvRmT3_T4_T5_T6_T7_T9_mT8_P12ihipStream_tbDpT10_ENKUlT_T0_E_clISt17integral_constantIbLb0EES18_IbLb1EEEEDaS14_S15_EUlS14_E_NS1_11comp_targetILNS1_3genE2ELNS1_11target_archE906ELNS1_3gpuE6ELNS1_3repE0EEENS1_30default_config_static_selectorELNS0_4arch9wavefront6targetE1EEEvT1_ ; -- Begin function _ZN7rocprim17ROCPRIM_400000_NS6detail17trampoline_kernelINS0_14default_configENS1_25partition_config_selectorILNS1_17partition_subalgoE1EiNS0_10empty_typeEbEEZZNS1_14partition_implILS5_1ELb0ES3_jN6thrust23THRUST_200600_302600_NS6detail15normal_iteratorINSA_10device_ptrIiEEEEPS6_NSA_18transform_iteratorINSA_8identityIiEESF_NSA_11use_defaultESK_EENS0_5tupleIJSF_SF_EEENSM_IJSG_SG_EEES6_PlJS6_EEE10hipError_tPvRmT3_T4_T5_T6_T7_T9_mT8_P12ihipStream_tbDpT10_ENKUlT_T0_E_clISt17integral_constantIbLb0EES18_IbLb1EEEEDaS14_S15_EUlS14_E_NS1_11comp_targetILNS1_3genE2ELNS1_11target_archE906ELNS1_3gpuE6ELNS1_3repE0EEENS1_30default_config_static_selectorELNS0_4arch9wavefront6targetE1EEEvT1_
	.globl	_ZN7rocprim17ROCPRIM_400000_NS6detail17trampoline_kernelINS0_14default_configENS1_25partition_config_selectorILNS1_17partition_subalgoE1EiNS0_10empty_typeEbEEZZNS1_14partition_implILS5_1ELb0ES3_jN6thrust23THRUST_200600_302600_NS6detail15normal_iteratorINSA_10device_ptrIiEEEEPS6_NSA_18transform_iteratorINSA_8identityIiEESF_NSA_11use_defaultESK_EENS0_5tupleIJSF_SF_EEENSM_IJSG_SG_EEES6_PlJS6_EEE10hipError_tPvRmT3_T4_T5_T6_T7_T9_mT8_P12ihipStream_tbDpT10_ENKUlT_T0_E_clISt17integral_constantIbLb0EES18_IbLb1EEEEDaS14_S15_EUlS14_E_NS1_11comp_targetILNS1_3genE2ELNS1_11target_archE906ELNS1_3gpuE6ELNS1_3repE0EEENS1_30default_config_static_selectorELNS0_4arch9wavefront6targetE1EEEvT1_
	.p2align	8
	.type	_ZN7rocprim17ROCPRIM_400000_NS6detail17trampoline_kernelINS0_14default_configENS1_25partition_config_selectorILNS1_17partition_subalgoE1EiNS0_10empty_typeEbEEZZNS1_14partition_implILS5_1ELb0ES3_jN6thrust23THRUST_200600_302600_NS6detail15normal_iteratorINSA_10device_ptrIiEEEEPS6_NSA_18transform_iteratorINSA_8identityIiEESF_NSA_11use_defaultESK_EENS0_5tupleIJSF_SF_EEENSM_IJSG_SG_EEES6_PlJS6_EEE10hipError_tPvRmT3_T4_T5_T6_T7_T9_mT8_P12ihipStream_tbDpT10_ENKUlT_T0_E_clISt17integral_constantIbLb0EES18_IbLb1EEEEDaS14_S15_EUlS14_E_NS1_11comp_targetILNS1_3genE2ELNS1_11target_archE906ELNS1_3gpuE6ELNS1_3repE0EEENS1_30default_config_static_selectorELNS0_4arch9wavefront6targetE1EEEvT1_,@function
_ZN7rocprim17ROCPRIM_400000_NS6detail17trampoline_kernelINS0_14default_configENS1_25partition_config_selectorILNS1_17partition_subalgoE1EiNS0_10empty_typeEbEEZZNS1_14partition_implILS5_1ELb0ES3_jN6thrust23THRUST_200600_302600_NS6detail15normal_iteratorINSA_10device_ptrIiEEEEPS6_NSA_18transform_iteratorINSA_8identityIiEESF_NSA_11use_defaultESK_EENS0_5tupleIJSF_SF_EEENSM_IJSG_SG_EEES6_PlJS6_EEE10hipError_tPvRmT3_T4_T5_T6_T7_T9_mT8_P12ihipStream_tbDpT10_ENKUlT_T0_E_clISt17integral_constantIbLb0EES18_IbLb1EEEEDaS14_S15_EUlS14_E_NS1_11comp_targetILNS1_3genE2ELNS1_11target_archE906ELNS1_3gpuE6ELNS1_3repE0EEENS1_30default_config_static_selectorELNS0_4arch9wavefront6targetE1EEEvT1_: ; @_ZN7rocprim17ROCPRIM_400000_NS6detail17trampoline_kernelINS0_14default_configENS1_25partition_config_selectorILNS1_17partition_subalgoE1EiNS0_10empty_typeEbEEZZNS1_14partition_implILS5_1ELb0ES3_jN6thrust23THRUST_200600_302600_NS6detail15normal_iteratorINSA_10device_ptrIiEEEEPS6_NSA_18transform_iteratorINSA_8identityIiEESF_NSA_11use_defaultESK_EENS0_5tupleIJSF_SF_EEENSM_IJSG_SG_EEES6_PlJS6_EEE10hipError_tPvRmT3_T4_T5_T6_T7_T9_mT8_P12ihipStream_tbDpT10_ENKUlT_T0_E_clISt17integral_constantIbLb0EES18_IbLb1EEEEDaS14_S15_EUlS14_E_NS1_11comp_targetILNS1_3genE2ELNS1_11target_archE906ELNS1_3gpuE6ELNS1_3repE0EEENS1_30default_config_static_selectorELNS0_4arch9wavefront6targetE1EEEvT1_
; %bb.0:
	.section	.rodata,"a",@progbits
	.p2align	6, 0x0
	.amdhsa_kernel _ZN7rocprim17ROCPRIM_400000_NS6detail17trampoline_kernelINS0_14default_configENS1_25partition_config_selectorILNS1_17partition_subalgoE1EiNS0_10empty_typeEbEEZZNS1_14partition_implILS5_1ELb0ES3_jN6thrust23THRUST_200600_302600_NS6detail15normal_iteratorINSA_10device_ptrIiEEEEPS6_NSA_18transform_iteratorINSA_8identityIiEESF_NSA_11use_defaultESK_EENS0_5tupleIJSF_SF_EEENSM_IJSG_SG_EEES6_PlJS6_EEE10hipError_tPvRmT3_T4_T5_T6_T7_T9_mT8_P12ihipStream_tbDpT10_ENKUlT_T0_E_clISt17integral_constantIbLb0EES18_IbLb1EEEEDaS14_S15_EUlS14_E_NS1_11comp_targetILNS1_3genE2ELNS1_11target_archE906ELNS1_3gpuE6ELNS1_3repE0EEENS1_30default_config_static_selectorELNS0_4arch9wavefront6targetE1EEEvT1_
		.amdhsa_group_segment_fixed_size 0
		.amdhsa_private_segment_fixed_size 0
		.amdhsa_kernarg_size 144
		.amdhsa_user_sgpr_count 2
		.amdhsa_user_sgpr_dispatch_ptr 0
		.amdhsa_user_sgpr_queue_ptr 0
		.amdhsa_user_sgpr_kernarg_segment_ptr 1
		.amdhsa_user_sgpr_dispatch_id 0
		.amdhsa_user_sgpr_kernarg_preload_length 0
		.amdhsa_user_sgpr_kernarg_preload_offset 0
		.amdhsa_user_sgpr_private_segment_size 0
		.amdhsa_uses_dynamic_stack 0
		.amdhsa_enable_private_segment 0
		.amdhsa_system_sgpr_workgroup_id_x 1
		.amdhsa_system_sgpr_workgroup_id_y 0
		.amdhsa_system_sgpr_workgroup_id_z 0
		.amdhsa_system_sgpr_workgroup_info 0
		.amdhsa_system_vgpr_workitem_id 0
		.amdhsa_next_free_vgpr 1
		.amdhsa_next_free_sgpr 0
		.amdhsa_accum_offset 4
		.amdhsa_reserve_vcc 0
		.amdhsa_float_round_mode_32 0
		.amdhsa_float_round_mode_16_64 0
		.amdhsa_float_denorm_mode_32 3
		.amdhsa_float_denorm_mode_16_64 3
		.amdhsa_dx10_clamp 1
		.amdhsa_ieee_mode 1
		.amdhsa_fp16_overflow 0
		.amdhsa_tg_split 0
		.amdhsa_exception_fp_ieee_invalid_op 0
		.amdhsa_exception_fp_denorm_src 0
		.amdhsa_exception_fp_ieee_div_zero 0
		.amdhsa_exception_fp_ieee_overflow 0
		.amdhsa_exception_fp_ieee_underflow 0
		.amdhsa_exception_fp_ieee_inexact 0
		.amdhsa_exception_int_div_zero 0
	.end_amdhsa_kernel
	.section	.text._ZN7rocprim17ROCPRIM_400000_NS6detail17trampoline_kernelINS0_14default_configENS1_25partition_config_selectorILNS1_17partition_subalgoE1EiNS0_10empty_typeEbEEZZNS1_14partition_implILS5_1ELb0ES3_jN6thrust23THRUST_200600_302600_NS6detail15normal_iteratorINSA_10device_ptrIiEEEEPS6_NSA_18transform_iteratorINSA_8identityIiEESF_NSA_11use_defaultESK_EENS0_5tupleIJSF_SF_EEENSM_IJSG_SG_EEES6_PlJS6_EEE10hipError_tPvRmT3_T4_T5_T6_T7_T9_mT8_P12ihipStream_tbDpT10_ENKUlT_T0_E_clISt17integral_constantIbLb0EES18_IbLb1EEEEDaS14_S15_EUlS14_E_NS1_11comp_targetILNS1_3genE2ELNS1_11target_archE906ELNS1_3gpuE6ELNS1_3repE0EEENS1_30default_config_static_selectorELNS0_4arch9wavefront6targetE1EEEvT1_,"axG",@progbits,_ZN7rocprim17ROCPRIM_400000_NS6detail17trampoline_kernelINS0_14default_configENS1_25partition_config_selectorILNS1_17partition_subalgoE1EiNS0_10empty_typeEbEEZZNS1_14partition_implILS5_1ELb0ES3_jN6thrust23THRUST_200600_302600_NS6detail15normal_iteratorINSA_10device_ptrIiEEEEPS6_NSA_18transform_iteratorINSA_8identityIiEESF_NSA_11use_defaultESK_EENS0_5tupleIJSF_SF_EEENSM_IJSG_SG_EEES6_PlJS6_EEE10hipError_tPvRmT3_T4_T5_T6_T7_T9_mT8_P12ihipStream_tbDpT10_ENKUlT_T0_E_clISt17integral_constantIbLb0EES18_IbLb1EEEEDaS14_S15_EUlS14_E_NS1_11comp_targetILNS1_3genE2ELNS1_11target_archE906ELNS1_3gpuE6ELNS1_3repE0EEENS1_30default_config_static_selectorELNS0_4arch9wavefront6targetE1EEEvT1_,comdat
.Lfunc_end637:
	.size	_ZN7rocprim17ROCPRIM_400000_NS6detail17trampoline_kernelINS0_14default_configENS1_25partition_config_selectorILNS1_17partition_subalgoE1EiNS0_10empty_typeEbEEZZNS1_14partition_implILS5_1ELb0ES3_jN6thrust23THRUST_200600_302600_NS6detail15normal_iteratorINSA_10device_ptrIiEEEEPS6_NSA_18transform_iteratorINSA_8identityIiEESF_NSA_11use_defaultESK_EENS0_5tupleIJSF_SF_EEENSM_IJSG_SG_EEES6_PlJS6_EEE10hipError_tPvRmT3_T4_T5_T6_T7_T9_mT8_P12ihipStream_tbDpT10_ENKUlT_T0_E_clISt17integral_constantIbLb0EES18_IbLb1EEEEDaS14_S15_EUlS14_E_NS1_11comp_targetILNS1_3genE2ELNS1_11target_archE906ELNS1_3gpuE6ELNS1_3repE0EEENS1_30default_config_static_selectorELNS0_4arch9wavefront6targetE1EEEvT1_, .Lfunc_end637-_ZN7rocprim17ROCPRIM_400000_NS6detail17trampoline_kernelINS0_14default_configENS1_25partition_config_selectorILNS1_17partition_subalgoE1EiNS0_10empty_typeEbEEZZNS1_14partition_implILS5_1ELb0ES3_jN6thrust23THRUST_200600_302600_NS6detail15normal_iteratorINSA_10device_ptrIiEEEEPS6_NSA_18transform_iteratorINSA_8identityIiEESF_NSA_11use_defaultESK_EENS0_5tupleIJSF_SF_EEENSM_IJSG_SG_EEES6_PlJS6_EEE10hipError_tPvRmT3_T4_T5_T6_T7_T9_mT8_P12ihipStream_tbDpT10_ENKUlT_T0_E_clISt17integral_constantIbLb0EES18_IbLb1EEEEDaS14_S15_EUlS14_E_NS1_11comp_targetILNS1_3genE2ELNS1_11target_archE906ELNS1_3gpuE6ELNS1_3repE0EEENS1_30default_config_static_selectorELNS0_4arch9wavefront6targetE1EEEvT1_
                                        ; -- End function
	.section	.AMDGPU.csdata,"",@progbits
; Kernel info:
; codeLenInByte = 0
; NumSgprs: 6
; NumVgprs: 0
; NumAgprs: 0
; TotalNumVgprs: 0
; ScratchSize: 0
; MemoryBound: 0
; FloatMode: 240
; IeeeMode: 1
; LDSByteSize: 0 bytes/workgroup (compile time only)
; SGPRBlocks: 0
; VGPRBlocks: 0
; NumSGPRsForWavesPerEU: 6
; NumVGPRsForWavesPerEU: 1
; AccumOffset: 4
; Occupancy: 8
; WaveLimiterHint : 0
; COMPUTE_PGM_RSRC2:SCRATCH_EN: 0
; COMPUTE_PGM_RSRC2:USER_SGPR: 2
; COMPUTE_PGM_RSRC2:TRAP_HANDLER: 0
; COMPUTE_PGM_RSRC2:TGID_X_EN: 1
; COMPUTE_PGM_RSRC2:TGID_Y_EN: 0
; COMPUTE_PGM_RSRC2:TGID_Z_EN: 0
; COMPUTE_PGM_RSRC2:TIDIG_COMP_CNT: 0
; COMPUTE_PGM_RSRC3_GFX90A:ACCUM_OFFSET: 0
; COMPUTE_PGM_RSRC3_GFX90A:TG_SPLIT: 0
	.section	.text._ZN7rocprim17ROCPRIM_400000_NS6detail17trampoline_kernelINS0_14default_configENS1_25partition_config_selectorILNS1_17partition_subalgoE1EiNS0_10empty_typeEbEEZZNS1_14partition_implILS5_1ELb0ES3_jN6thrust23THRUST_200600_302600_NS6detail15normal_iteratorINSA_10device_ptrIiEEEEPS6_NSA_18transform_iteratorINSA_8identityIiEESF_NSA_11use_defaultESK_EENS0_5tupleIJSF_SF_EEENSM_IJSG_SG_EEES6_PlJS6_EEE10hipError_tPvRmT3_T4_T5_T6_T7_T9_mT8_P12ihipStream_tbDpT10_ENKUlT_T0_E_clISt17integral_constantIbLb0EES18_IbLb1EEEEDaS14_S15_EUlS14_E_NS1_11comp_targetILNS1_3genE10ELNS1_11target_archE1200ELNS1_3gpuE4ELNS1_3repE0EEENS1_30default_config_static_selectorELNS0_4arch9wavefront6targetE1EEEvT1_,"axG",@progbits,_ZN7rocprim17ROCPRIM_400000_NS6detail17trampoline_kernelINS0_14default_configENS1_25partition_config_selectorILNS1_17partition_subalgoE1EiNS0_10empty_typeEbEEZZNS1_14partition_implILS5_1ELb0ES3_jN6thrust23THRUST_200600_302600_NS6detail15normal_iteratorINSA_10device_ptrIiEEEEPS6_NSA_18transform_iteratorINSA_8identityIiEESF_NSA_11use_defaultESK_EENS0_5tupleIJSF_SF_EEENSM_IJSG_SG_EEES6_PlJS6_EEE10hipError_tPvRmT3_T4_T5_T6_T7_T9_mT8_P12ihipStream_tbDpT10_ENKUlT_T0_E_clISt17integral_constantIbLb0EES18_IbLb1EEEEDaS14_S15_EUlS14_E_NS1_11comp_targetILNS1_3genE10ELNS1_11target_archE1200ELNS1_3gpuE4ELNS1_3repE0EEENS1_30default_config_static_selectorELNS0_4arch9wavefront6targetE1EEEvT1_,comdat
	.protected	_ZN7rocprim17ROCPRIM_400000_NS6detail17trampoline_kernelINS0_14default_configENS1_25partition_config_selectorILNS1_17partition_subalgoE1EiNS0_10empty_typeEbEEZZNS1_14partition_implILS5_1ELb0ES3_jN6thrust23THRUST_200600_302600_NS6detail15normal_iteratorINSA_10device_ptrIiEEEEPS6_NSA_18transform_iteratorINSA_8identityIiEESF_NSA_11use_defaultESK_EENS0_5tupleIJSF_SF_EEENSM_IJSG_SG_EEES6_PlJS6_EEE10hipError_tPvRmT3_T4_T5_T6_T7_T9_mT8_P12ihipStream_tbDpT10_ENKUlT_T0_E_clISt17integral_constantIbLb0EES18_IbLb1EEEEDaS14_S15_EUlS14_E_NS1_11comp_targetILNS1_3genE10ELNS1_11target_archE1200ELNS1_3gpuE4ELNS1_3repE0EEENS1_30default_config_static_selectorELNS0_4arch9wavefront6targetE1EEEvT1_ ; -- Begin function _ZN7rocprim17ROCPRIM_400000_NS6detail17trampoline_kernelINS0_14default_configENS1_25partition_config_selectorILNS1_17partition_subalgoE1EiNS0_10empty_typeEbEEZZNS1_14partition_implILS5_1ELb0ES3_jN6thrust23THRUST_200600_302600_NS6detail15normal_iteratorINSA_10device_ptrIiEEEEPS6_NSA_18transform_iteratorINSA_8identityIiEESF_NSA_11use_defaultESK_EENS0_5tupleIJSF_SF_EEENSM_IJSG_SG_EEES6_PlJS6_EEE10hipError_tPvRmT3_T4_T5_T6_T7_T9_mT8_P12ihipStream_tbDpT10_ENKUlT_T0_E_clISt17integral_constantIbLb0EES18_IbLb1EEEEDaS14_S15_EUlS14_E_NS1_11comp_targetILNS1_3genE10ELNS1_11target_archE1200ELNS1_3gpuE4ELNS1_3repE0EEENS1_30default_config_static_selectorELNS0_4arch9wavefront6targetE1EEEvT1_
	.globl	_ZN7rocprim17ROCPRIM_400000_NS6detail17trampoline_kernelINS0_14default_configENS1_25partition_config_selectorILNS1_17partition_subalgoE1EiNS0_10empty_typeEbEEZZNS1_14partition_implILS5_1ELb0ES3_jN6thrust23THRUST_200600_302600_NS6detail15normal_iteratorINSA_10device_ptrIiEEEEPS6_NSA_18transform_iteratorINSA_8identityIiEESF_NSA_11use_defaultESK_EENS0_5tupleIJSF_SF_EEENSM_IJSG_SG_EEES6_PlJS6_EEE10hipError_tPvRmT3_T4_T5_T6_T7_T9_mT8_P12ihipStream_tbDpT10_ENKUlT_T0_E_clISt17integral_constantIbLb0EES18_IbLb1EEEEDaS14_S15_EUlS14_E_NS1_11comp_targetILNS1_3genE10ELNS1_11target_archE1200ELNS1_3gpuE4ELNS1_3repE0EEENS1_30default_config_static_selectorELNS0_4arch9wavefront6targetE1EEEvT1_
	.p2align	8
	.type	_ZN7rocprim17ROCPRIM_400000_NS6detail17trampoline_kernelINS0_14default_configENS1_25partition_config_selectorILNS1_17partition_subalgoE1EiNS0_10empty_typeEbEEZZNS1_14partition_implILS5_1ELb0ES3_jN6thrust23THRUST_200600_302600_NS6detail15normal_iteratorINSA_10device_ptrIiEEEEPS6_NSA_18transform_iteratorINSA_8identityIiEESF_NSA_11use_defaultESK_EENS0_5tupleIJSF_SF_EEENSM_IJSG_SG_EEES6_PlJS6_EEE10hipError_tPvRmT3_T4_T5_T6_T7_T9_mT8_P12ihipStream_tbDpT10_ENKUlT_T0_E_clISt17integral_constantIbLb0EES18_IbLb1EEEEDaS14_S15_EUlS14_E_NS1_11comp_targetILNS1_3genE10ELNS1_11target_archE1200ELNS1_3gpuE4ELNS1_3repE0EEENS1_30default_config_static_selectorELNS0_4arch9wavefront6targetE1EEEvT1_,@function
_ZN7rocprim17ROCPRIM_400000_NS6detail17trampoline_kernelINS0_14default_configENS1_25partition_config_selectorILNS1_17partition_subalgoE1EiNS0_10empty_typeEbEEZZNS1_14partition_implILS5_1ELb0ES3_jN6thrust23THRUST_200600_302600_NS6detail15normal_iteratorINSA_10device_ptrIiEEEEPS6_NSA_18transform_iteratorINSA_8identityIiEESF_NSA_11use_defaultESK_EENS0_5tupleIJSF_SF_EEENSM_IJSG_SG_EEES6_PlJS6_EEE10hipError_tPvRmT3_T4_T5_T6_T7_T9_mT8_P12ihipStream_tbDpT10_ENKUlT_T0_E_clISt17integral_constantIbLb0EES18_IbLb1EEEEDaS14_S15_EUlS14_E_NS1_11comp_targetILNS1_3genE10ELNS1_11target_archE1200ELNS1_3gpuE4ELNS1_3repE0EEENS1_30default_config_static_selectorELNS0_4arch9wavefront6targetE1EEEvT1_: ; @_ZN7rocprim17ROCPRIM_400000_NS6detail17trampoline_kernelINS0_14default_configENS1_25partition_config_selectorILNS1_17partition_subalgoE1EiNS0_10empty_typeEbEEZZNS1_14partition_implILS5_1ELb0ES3_jN6thrust23THRUST_200600_302600_NS6detail15normal_iteratorINSA_10device_ptrIiEEEEPS6_NSA_18transform_iteratorINSA_8identityIiEESF_NSA_11use_defaultESK_EENS0_5tupleIJSF_SF_EEENSM_IJSG_SG_EEES6_PlJS6_EEE10hipError_tPvRmT3_T4_T5_T6_T7_T9_mT8_P12ihipStream_tbDpT10_ENKUlT_T0_E_clISt17integral_constantIbLb0EES18_IbLb1EEEEDaS14_S15_EUlS14_E_NS1_11comp_targetILNS1_3genE10ELNS1_11target_archE1200ELNS1_3gpuE4ELNS1_3repE0EEENS1_30default_config_static_selectorELNS0_4arch9wavefront6targetE1EEEvT1_
; %bb.0:
	.section	.rodata,"a",@progbits
	.p2align	6, 0x0
	.amdhsa_kernel _ZN7rocprim17ROCPRIM_400000_NS6detail17trampoline_kernelINS0_14default_configENS1_25partition_config_selectorILNS1_17partition_subalgoE1EiNS0_10empty_typeEbEEZZNS1_14partition_implILS5_1ELb0ES3_jN6thrust23THRUST_200600_302600_NS6detail15normal_iteratorINSA_10device_ptrIiEEEEPS6_NSA_18transform_iteratorINSA_8identityIiEESF_NSA_11use_defaultESK_EENS0_5tupleIJSF_SF_EEENSM_IJSG_SG_EEES6_PlJS6_EEE10hipError_tPvRmT3_T4_T5_T6_T7_T9_mT8_P12ihipStream_tbDpT10_ENKUlT_T0_E_clISt17integral_constantIbLb0EES18_IbLb1EEEEDaS14_S15_EUlS14_E_NS1_11comp_targetILNS1_3genE10ELNS1_11target_archE1200ELNS1_3gpuE4ELNS1_3repE0EEENS1_30default_config_static_selectorELNS0_4arch9wavefront6targetE1EEEvT1_
		.amdhsa_group_segment_fixed_size 0
		.amdhsa_private_segment_fixed_size 0
		.amdhsa_kernarg_size 144
		.amdhsa_user_sgpr_count 2
		.amdhsa_user_sgpr_dispatch_ptr 0
		.amdhsa_user_sgpr_queue_ptr 0
		.amdhsa_user_sgpr_kernarg_segment_ptr 1
		.amdhsa_user_sgpr_dispatch_id 0
		.amdhsa_user_sgpr_kernarg_preload_length 0
		.amdhsa_user_sgpr_kernarg_preload_offset 0
		.amdhsa_user_sgpr_private_segment_size 0
		.amdhsa_uses_dynamic_stack 0
		.amdhsa_enable_private_segment 0
		.amdhsa_system_sgpr_workgroup_id_x 1
		.amdhsa_system_sgpr_workgroup_id_y 0
		.amdhsa_system_sgpr_workgroup_id_z 0
		.amdhsa_system_sgpr_workgroup_info 0
		.amdhsa_system_vgpr_workitem_id 0
		.amdhsa_next_free_vgpr 1
		.amdhsa_next_free_sgpr 0
		.amdhsa_accum_offset 4
		.amdhsa_reserve_vcc 0
		.amdhsa_float_round_mode_32 0
		.amdhsa_float_round_mode_16_64 0
		.amdhsa_float_denorm_mode_32 3
		.amdhsa_float_denorm_mode_16_64 3
		.amdhsa_dx10_clamp 1
		.amdhsa_ieee_mode 1
		.amdhsa_fp16_overflow 0
		.amdhsa_tg_split 0
		.amdhsa_exception_fp_ieee_invalid_op 0
		.amdhsa_exception_fp_denorm_src 0
		.amdhsa_exception_fp_ieee_div_zero 0
		.amdhsa_exception_fp_ieee_overflow 0
		.amdhsa_exception_fp_ieee_underflow 0
		.amdhsa_exception_fp_ieee_inexact 0
		.amdhsa_exception_int_div_zero 0
	.end_amdhsa_kernel
	.section	.text._ZN7rocprim17ROCPRIM_400000_NS6detail17trampoline_kernelINS0_14default_configENS1_25partition_config_selectorILNS1_17partition_subalgoE1EiNS0_10empty_typeEbEEZZNS1_14partition_implILS5_1ELb0ES3_jN6thrust23THRUST_200600_302600_NS6detail15normal_iteratorINSA_10device_ptrIiEEEEPS6_NSA_18transform_iteratorINSA_8identityIiEESF_NSA_11use_defaultESK_EENS0_5tupleIJSF_SF_EEENSM_IJSG_SG_EEES6_PlJS6_EEE10hipError_tPvRmT3_T4_T5_T6_T7_T9_mT8_P12ihipStream_tbDpT10_ENKUlT_T0_E_clISt17integral_constantIbLb0EES18_IbLb1EEEEDaS14_S15_EUlS14_E_NS1_11comp_targetILNS1_3genE10ELNS1_11target_archE1200ELNS1_3gpuE4ELNS1_3repE0EEENS1_30default_config_static_selectorELNS0_4arch9wavefront6targetE1EEEvT1_,"axG",@progbits,_ZN7rocprim17ROCPRIM_400000_NS6detail17trampoline_kernelINS0_14default_configENS1_25partition_config_selectorILNS1_17partition_subalgoE1EiNS0_10empty_typeEbEEZZNS1_14partition_implILS5_1ELb0ES3_jN6thrust23THRUST_200600_302600_NS6detail15normal_iteratorINSA_10device_ptrIiEEEEPS6_NSA_18transform_iteratorINSA_8identityIiEESF_NSA_11use_defaultESK_EENS0_5tupleIJSF_SF_EEENSM_IJSG_SG_EEES6_PlJS6_EEE10hipError_tPvRmT3_T4_T5_T6_T7_T9_mT8_P12ihipStream_tbDpT10_ENKUlT_T0_E_clISt17integral_constantIbLb0EES18_IbLb1EEEEDaS14_S15_EUlS14_E_NS1_11comp_targetILNS1_3genE10ELNS1_11target_archE1200ELNS1_3gpuE4ELNS1_3repE0EEENS1_30default_config_static_selectorELNS0_4arch9wavefront6targetE1EEEvT1_,comdat
.Lfunc_end638:
	.size	_ZN7rocprim17ROCPRIM_400000_NS6detail17trampoline_kernelINS0_14default_configENS1_25partition_config_selectorILNS1_17partition_subalgoE1EiNS0_10empty_typeEbEEZZNS1_14partition_implILS5_1ELb0ES3_jN6thrust23THRUST_200600_302600_NS6detail15normal_iteratorINSA_10device_ptrIiEEEEPS6_NSA_18transform_iteratorINSA_8identityIiEESF_NSA_11use_defaultESK_EENS0_5tupleIJSF_SF_EEENSM_IJSG_SG_EEES6_PlJS6_EEE10hipError_tPvRmT3_T4_T5_T6_T7_T9_mT8_P12ihipStream_tbDpT10_ENKUlT_T0_E_clISt17integral_constantIbLb0EES18_IbLb1EEEEDaS14_S15_EUlS14_E_NS1_11comp_targetILNS1_3genE10ELNS1_11target_archE1200ELNS1_3gpuE4ELNS1_3repE0EEENS1_30default_config_static_selectorELNS0_4arch9wavefront6targetE1EEEvT1_, .Lfunc_end638-_ZN7rocprim17ROCPRIM_400000_NS6detail17trampoline_kernelINS0_14default_configENS1_25partition_config_selectorILNS1_17partition_subalgoE1EiNS0_10empty_typeEbEEZZNS1_14partition_implILS5_1ELb0ES3_jN6thrust23THRUST_200600_302600_NS6detail15normal_iteratorINSA_10device_ptrIiEEEEPS6_NSA_18transform_iteratorINSA_8identityIiEESF_NSA_11use_defaultESK_EENS0_5tupleIJSF_SF_EEENSM_IJSG_SG_EEES6_PlJS6_EEE10hipError_tPvRmT3_T4_T5_T6_T7_T9_mT8_P12ihipStream_tbDpT10_ENKUlT_T0_E_clISt17integral_constantIbLb0EES18_IbLb1EEEEDaS14_S15_EUlS14_E_NS1_11comp_targetILNS1_3genE10ELNS1_11target_archE1200ELNS1_3gpuE4ELNS1_3repE0EEENS1_30default_config_static_selectorELNS0_4arch9wavefront6targetE1EEEvT1_
                                        ; -- End function
	.section	.AMDGPU.csdata,"",@progbits
; Kernel info:
; codeLenInByte = 0
; NumSgprs: 6
; NumVgprs: 0
; NumAgprs: 0
; TotalNumVgprs: 0
; ScratchSize: 0
; MemoryBound: 0
; FloatMode: 240
; IeeeMode: 1
; LDSByteSize: 0 bytes/workgroup (compile time only)
; SGPRBlocks: 0
; VGPRBlocks: 0
; NumSGPRsForWavesPerEU: 6
; NumVGPRsForWavesPerEU: 1
; AccumOffset: 4
; Occupancy: 8
; WaveLimiterHint : 0
; COMPUTE_PGM_RSRC2:SCRATCH_EN: 0
; COMPUTE_PGM_RSRC2:USER_SGPR: 2
; COMPUTE_PGM_RSRC2:TRAP_HANDLER: 0
; COMPUTE_PGM_RSRC2:TGID_X_EN: 1
; COMPUTE_PGM_RSRC2:TGID_Y_EN: 0
; COMPUTE_PGM_RSRC2:TGID_Z_EN: 0
; COMPUTE_PGM_RSRC2:TIDIG_COMP_CNT: 0
; COMPUTE_PGM_RSRC3_GFX90A:ACCUM_OFFSET: 0
; COMPUTE_PGM_RSRC3_GFX90A:TG_SPLIT: 0
	.section	.text._ZN7rocprim17ROCPRIM_400000_NS6detail17trampoline_kernelINS0_14default_configENS1_25partition_config_selectorILNS1_17partition_subalgoE1EiNS0_10empty_typeEbEEZZNS1_14partition_implILS5_1ELb0ES3_jN6thrust23THRUST_200600_302600_NS6detail15normal_iteratorINSA_10device_ptrIiEEEEPS6_NSA_18transform_iteratorINSA_8identityIiEESF_NSA_11use_defaultESK_EENS0_5tupleIJSF_SF_EEENSM_IJSG_SG_EEES6_PlJS6_EEE10hipError_tPvRmT3_T4_T5_T6_T7_T9_mT8_P12ihipStream_tbDpT10_ENKUlT_T0_E_clISt17integral_constantIbLb0EES18_IbLb1EEEEDaS14_S15_EUlS14_E_NS1_11comp_targetILNS1_3genE9ELNS1_11target_archE1100ELNS1_3gpuE3ELNS1_3repE0EEENS1_30default_config_static_selectorELNS0_4arch9wavefront6targetE1EEEvT1_,"axG",@progbits,_ZN7rocprim17ROCPRIM_400000_NS6detail17trampoline_kernelINS0_14default_configENS1_25partition_config_selectorILNS1_17partition_subalgoE1EiNS0_10empty_typeEbEEZZNS1_14partition_implILS5_1ELb0ES3_jN6thrust23THRUST_200600_302600_NS6detail15normal_iteratorINSA_10device_ptrIiEEEEPS6_NSA_18transform_iteratorINSA_8identityIiEESF_NSA_11use_defaultESK_EENS0_5tupleIJSF_SF_EEENSM_IJSG_SG_EEES6_PlJS6_EEE10hipError_tPvRmT3_T4_T5_T6_T7_T9_mT8_P12ihipStream_tbDpT10_ENKUlT_T0_E_clISt17integral_constantIbLb0EES18_IbLb1EEEEDaS14_S15_EUlS14_E_NS1_11comp_targetILNS1_3genE9ELNS1_11target_archE1100ELNS1_3gpuE3ELNS1_3repE0EEENS1_30default_config_static_selectorELNS0_4arch9wavefront6targetE1EEEvT1_,comdat
	.protected	_ZN7rocprim17ROCPRIM_400000_NS6detail17trampoline_kernelINS0_14default_configENS1_25partition_config_selectorILNS1_17partition_subalgoE1EiNS0_10empty_typeEbEEZZNS1_14partition_implILS5_1ELb0ES3_jN6thrust23THRUST_200600_302600_NS6detail15normal_iteratorINSA_10device_ptrIiEEEEPS6_NSA_18transform_iteratorINSA_8identityIiEESF_NSA_11use_defaultESK_EENS0_5tupleIJSF_SF_EEENSM_IJSG_SG_EEES6_PlJS6_EEE10hipError_tPvRmT3_T4_T5_T6_T7_T9_mT8_P12ihipStream_tbDpT10_ENKUlT_T0_E_clISt17integral_constantIbLb0EES18_IbLb1EEEEDaS14_S15_EUlS14_E_NS1_11comp_targetILNS1_3genE9ELNS1_11target_archE1100ELNS1_3gpuE3ELNS1_3repE0EEENS1_30default_config_static_selectorELNS0_4arch9wavefront6targetE1EEEvT1_ ; -- Begin function _ZN7rocprim17ROCPRIM_400000_NS6detail17trampoline_kernelINS0_14default_configENS1_25partition_config_selectorILNS1_17partition_subalgoE1EiNS0_10empty_typeEbEEZZNS1_14partition_implILS5_1ELb0ES3_jN6thrust23THRUST_200600_302600_NS6detail15normal_iteratorINSA_10device_ptrIiEEEEPS6_NSA_18transform_iteratorINSA_8identityIiEESF_NSA_11use_defaultESK_EENS0_5tupleIJSF_SF_EEENSM_IJSG_SG_EEES6_PlJS6_EEE10hipError_tPvRmT3_T4_T5_T6_T7_T9_mT8_P12ihipStream_tbDpT10_ENKUlT_T0_E_clISt17integral_constantIbLb0EES18_IbLb1EEEEDaS14_S15_EUlS14_E_NS1_11comp_targetILNS1_3genE9ELNS1_11target_archE1100ELNS1_3gpuE3ELNS1_3repE0EEENS1_30default_config_static_selectorELNS0_4arch9wavefront6targetE1EEEvT1_
	.globl	_ZN7rocprim17ROCPRIM_400000_NS6detail17trampoline_kernelINS0_14default_configENS1_25partition_config_selectorILNS1_17partition_subalgoE1EiNS0_10empty_typeEbEEZZNS1_14partition_implILS5_1ELb0ES3_jN6thrust23THRUST_200600_302600_NS6detail15normal_iteratorINSA_10device_ptrIiEEEEPS6_NSA_18transform_iteratorINSA_8identityIiEESF_NSA_11use_defaultESK_EENS0_5tupleIJSF_SF_EEENSM_IJSG_SG_EEES6_PlJS6_EEE10hipError_tPvRmT3_T4_T5_T6_T7_T9_mT8_P12ihipStream_tbDpT10_ENKUlT_T0_E_clISt17integral_constantIbLb0EES18_IbLb1EEEEDaS14_S15_EUlS14_E_NS1_11comp_targetILNS1_3genE9ELNS1_11target_archE1100ELNS1_3gpuE3ELNS1_3repE0EEENS1_30default_config_static_selectorELNS0_4arch9wavefront6targetE1EEEvT1_
	.p2align	8
	.type	_ZN7rocprim17ROCPRIM_400000_NS6detail17trampoline_kernelINS0_14default_configENS1_25partition_config_selectorILNS1_17partition_subalgoE1EiNS0_10empty_typeEbEEZZNS1_14partition_implILS5_1ELb0ES3_jN6thrust23THRUST_200600_302600_NS6detail15normal_iteratorINSA_10device_ptrIiEEEEPS6_NSA_18transform_iteratorINSA_8identityIiEESF_NSA_11use_defaultESK_EENS0_5tupleIJSF_SF_EEENSM_IJSG_SG_EEES6_PlJS6_EEE10hipError_tPvRmT3_T4_T5_T6_T7_T9_mT8_P12ihipStream_tbDpT10_ENKUlT_T0_E_clISt17integral_constantIbLb0EES18_IbLb1EEEEDaS14_S15_EUlS14_E_NS1_11comp_targetILNS1_3genE9ELNS1_11target_archE1100ELNS1_3gpuE3ELNS1_3repE0EEENS1_30default_config_static_selectorELNS0_4arch9wavefront6targetE1EEEvT1_,@function
_ZN7rocprim17ROCPRIM_400000_NS6detail17trampoline_kernelINS0_14default_configENS1_25partition_config_selectorILNS1_17partition_subalgoE1EiNS0_10empty_typeEbEEZZNS1_14partition_implILS5_1ELb0ES3_jN6thrust23THRUST_200600_302600_NS6detail15normal_iteratorINSA_10device_ptrIiEEEEPS6_NSA_18transform_iteratorINSA_8identityIiEESF_NSA_11use_defaultESK_EENS0_5tupleIJSF_SF_EEENSM_IJSG_SG_EEES6_PlJS6_EEE10hipError_tPvRmT3_T4_T5_T6_T7_T9_mT8_P12ihipStream_tbDpT10_ENKUlT_T0_E_clISt17integral_constantIbLb0EES18_IbLb1EEEEDaS14_S15_EUlS14_E_NS1_11comp_targetILNS1_3genE9ELNS1_11target_archE1100ELNS1_3gpuE3ELNS1_3repE0EEENS1_30default_config_static_selectorELNS0_4arch9wavefront6targetE1EEEvT1_: ; @_ZN7rocprim17ROCPRIM_400000_NS6detail17trampoline_kernelINS0_14default_configENS1_25partition_config_selectorILNS1_17partition_subalgoE1EiNS0_10empty_typeEbEEZZNS1_14partition_implILS5_1ELb0ES3_jN6thrust23THRUST_200600_302600_NS6detail15normal_iteratorINSA_10device_ptrIiEEEEPS6_NSA_18transform_iteratorINSA_8identityIiEESF_NSA_11use_defaultESK_EENS0_5tupleIJSF_SF_EEENSM_IJSG_SG_EEES6_PlJS6_EEE10hipError_tPvRmT3_T4_T5_T6_T7_T9_mT8_P12ihipStream_tbDpT10_ENKUlT_T0_E_clISt17integral_constantIbLb0EES18_IbLb1EEEEDaS14_S15_EUlS14_E_NS1_11comp_targetILNS1_3genE9ELNS1_11target_archE1100ELNS1_3gpuE3ELNS1_3repE0EEENS1_30default_config_static_selectorELNS0_4arch9wavefront6targetE1EEEvT1_
; %bb.0:
	.section	.rodata,"a",@progbits
	.p2align	6, 0x0
	.amdhsa_kernel _ZN7rocprim17ROCPRIM_400000_NS6detail17trampoline_kernelINS0_14default_configENS1_25partition_config_selectorILNS1_17partition_subalgoE1EiNS0_10empty_typeEbEEZZNS1_14partition_implILS5_1ELb0ES3_jN6thrust23THRUST_200600_302600_NS6detail15normal_iteratorINSA_10device_ptrIiEEEEPS6_NSA_18transform_iteratorINSA_8identityIiEESF_NSA_11use_defaultESK_EENS0_5tupleIJSF_SF_EEENSM_IJSG_SG_EEES6_PlJS6_EEE10hipError_tPvRmT3_T4_T5_T6_T7_T9_mT8_P12ihipStream_tbDpT10_ENKUlT_T0_E_clISt17integral_constantIbLb0EES18_IbLb1EEEEDaS14_S15_EUlS14_E_NS1_11comp_targetILNS1_3genE9ELNS1_11target_archE1100ELNS1_3gpuE3ELNS1_3repE0EEENS1_30default_config_static_selectorELNS0_4arch9wavefront6targetE1EEEvT1_
		.amdhsa_group_segment_fixed_size 0
		.amdhsa_private_segment_fixed_size 0
		.amdhsa_kernarg_size 144
		.amdhsa_user_sgpr_count 2
		.amdhsa_user_sgpr_dispatch_ptr 0
		.amdhsa_user_sgpr_queue_ptr 0
		.amdhsa_user_sgpr_kernarg_segment_ptr 1
		.amdhsa_user_sgpr_dispatch_id 0
		.amdhsa_user_sgpr_kernarg_preload_length 0
		.amdhsa_user_sgpr_kernarg_preload_offset 0
		.amdhsa_user_sgpr_private_segment_size 0
		.amdhsa_uses_dynamic_stack 0
		.amdhsa_enable_private_segment 0
		.amdhsa_system_sgpr_workgroup_id_x 1
		.amdhsa_system_sgpr_workgroup_id_y 0
		.amdhsa_system_sgpr_workgroup_id_z 0
		.amdhsa_system_sgpr_workgroup_info 0
		.amdhsa_system_vgpr_workitem_id 0
		.amdhsa_next_free_vgpr 1
		.amdhsa_next_free_sgpr 0
		.amdhsa_accum_offset 4
		.amdhsa_reserve_vcc 0
		.amdhsa_float_round_mode_32 0
		.amdhsa_float_round_mode_16_64 0
		.amdhsa_float_denorm_mode_32 3
		.amdhsa_float_denorm_mode_16_64 3
		.amdhsa_dx10_clamp 1
		.amdhsa_ieee_mode 1
		.amdhsa_fp16_overflow 0
		.amdhsa_tg_split 0
		.amdhsa_exception_fp_ieee_invalid_op 0
		.amdhsa_exception_fp_denorm_src 0
		.amdhsa_exception_fp_ieee_div_zero 0
		.amdhsa_exception_fp_ieee_overflow 0
		.amdhsa_exception_fp_ieee_underflow 0
		.amdhsa_exception_fp_ieee_inexact 0
		.amdhsa_exception_int_div_zero 0
	.end_amdhsa_kernel
	.section	.text._ZN7rocprim17ROCPRIM_400000_NS6detail17trampoline_kernelINS0_14default_configENS1_25partition_config_selectorILNS1_17partition_subalgoE1EiNS0_10empty_typeEbEEZZNS1_14partition_implILS5_1ELb0ES3_jN6thrust23THRUST_200600_302600_NS6detail15normal_iteratorINSA_10device_ptrIiEEEEPS6_NSA_18transform_iteratorINSA_8identityIiEESF_NSA_11use_defaultESK_EENS0_5tupleIJSF_SF_EEENSM_IJSG_SG_EEES6_PlJS6_EEE10hipError_tPvRmT3_T4_T5_T6_T7_T9_mT8_P12ihipStream_tbDpT10_ENKUlT_T0_E_clISt17integral_constantIbLb0EES18_IbLb1EEEEDaS14_S15_EUlS14_E_NS1_11comp_targetILNS1_3genE9ELNS1_11target_archE1100ELNS1_3gpuE3ELNS1_3repE0EEENS1_30default_config_static_selectorELNS0_4arch9wavefront6targetE1EEEvT1_,"axG",@progbits,_ZN7rocprim17ROCPRIM_400000_NS6detail17trampoline_kernelINS0_14default_configENS1_25partition_config_selectorILNS1_17partition_subalgoE1EiNS0_10empty_typeEbEEZZNS1_14partition_implILS5_1ELb0ES3_jN6thrust23THRUST_200600_302600_NS6detail15normal_iteratorINSA_10device_ptrIiEEEEPS6_NSA_18transform_iteratorINSA_8identityIiEESF_NSA_11use_defaultESK_EENS0_5tupleIJSF_SF_EEENSM_IJSG_SG_EEES6_PlJS6_EEE10hipError_tPvRmT3_T4_T5_T6_T7_T9_mT8_P12ihipStream_tbDpT10_ENKUlT_T0_E_clISt17integral_constantIbLb0EES18_IbLb1EEEEDaS14_S15_EUlS14_E_NS1_11comp_targetILNS1_3genE9ELNS1_11target_archE1100ELNS1_3gpuE3ELNS1_3repE0EEENS1_30default_config_static_selectorELNS0_4arch9wavefront6targetE1EEEvT1_,comdat
.Lfunc_end639:
	.size	_ZN7rocprim17ROCPRIM_400000_NS6detail17trampoline_kernelINS0_14default_configENS1_25partition_config_selectorILNS1_17partition_subalgoE1EiNS0_10empty_typeEbEEZZNS1_14partition_implILS5_1ELb0ES3_jN6thrust23THRUST_200600_302600_NS6detail15normal_iteratorINSA_10device_ptrIiEEEEPS6_NSA_18transform_iteratorINSA_8identityIiEESF_NSA_11use_defaultESK_EENS0_5tupleIJSF_SF_EEENSM_IJSG_SG_EEES6_PlJS6_EEE10hipError_tPvRmT3_T4_T5_T6_T7_T9_mT8_P12ihipStream_tbDpT10_ENKUlT_T0_E_clISt17integral_constantIbLb0EES18_IbLb1EEEEDaS14_S15_EUlS14_E_NS1_11comp_targetILNS1_3genE9ELNS1_11target_archE1100ELNS1_3gpuE3ELNS1_3repE0EEENS1_30default_config_static_selectorELNS0_4arch9wavefront6targetE1EEEvT1_, .Lfunc_end639-_ZN7rocprim17ROCPRIM_400000_NS6detail17trampoline_kernelINS0_14default_configENS1_25partition_config_selectorILNS1_17partition_subalgoE1EiNS0_10empty_typeEbEEZZNS1_14partition_implILS5_1ELb0ES3_jN6thrust23THRUST_200600_302600_NS6detail15normal_iteratorINSA_10device_ptrIiEEEEPS6_NSA_18transform_iteratorINSA_8identityIiEESF_NSA_11use_defaultESK_EENS0_5tupleIJSF_SF_EEENSM_IJSG_SG_EEES6_PlJS6_EEE10hipError_tPvRmT3_T4_T5_T6_T7_T9_mT8_P12ihipStream_tbDpT10_ENKUlT_T0_E_clISt17integral_constantIbLb0EES18_IbLb1EEEEDaS14_S15_EUlS14_E_NS1_11comp_targetILNS1_3genE9ELNS1_11target_archE1100ELNS1_3gpuE3ELNS1_3repE0EEENS1_30default_config_static_selectorELNS0_4arch9wavefront6targetE1EEEvT1_
                                        ; -- End function
	.section	.AMDGPU.csdata,"",@progbits
; Kernel info:
; codeLenInByte = 0
; NumSgprs: 6
; NumVgprs: 0
; NumAgprs: 0
; TotalNumVgprs: 0
; ScratchSize: 0
; MemoryBound: 0
; FloatMode: 240
; IeeeMode: 1
; LDSByteSize: 0 bytes/workgroup (compile time only)
; SGPRBlocks: 0
; VGPRBlocks: 0
; NumSGPRsForWavesPerEU: 6
; NumVGPRsForWavesPerEU: 1
; AccumOffset: 4
; Occupancy: 8
; WaveLimiterHint : 0
; COMPUTE_PGM_RSRC2:SCRATCH_EN: 0
; COMPUTE_PGM_RSRC2:USER_SGPR: 2
; COMPUTE_PGM_RSRC2:TRAP_HANDLER: 0
; COMPUTE_PGM_RSRC2:TGID_X_EN: 1
; COMPUTE_PGM_RSRC2:TGID_Y_EN: 0
; COMPUTE_PGM_RSRC2:TGID_Z_EN: 0
; COMPUTE_PGM_RSRC2:TIDIG_COMP_CNT: 0
; COMPUTE_PGM_RSRC3_GFX90A:ACCUM_OFFSET: 0
; COMPUTE_PGM_RSRC3_GFX90A:TG_SPLIT: 0
	.section	.text._ZN7rocprim17ROCPRIM_400000_NS6detail17trampoline_kernelINS0_14default_configENS1_25partition_config_selectorILNS1_17partition_subalgoE1EiNS0_10empty_typeEbEEZZNS1_14partition_implILS5_1ELb0ES3_jN6thrust23THRUST_200600_302600_NS6detail15normal_iteratorINSA_10device_ptrIiEEEEPS6_NSA_18transform_iteratorINSA_8identityIiEESF_NSA_11use_defaultESK_EENS0_5tupleIJSF_SF_EEENSM_IJSG_SG_EEES6_PlJS6_EEE10hipError_tPvRmT3_T4_T5_T6_T7_T9_mT8_P12ihipStream_tbDpT10_ENKUlT_T0_E_clISt17integral_constantIbLb0EES18_IbLb1EEEEDaS14_S15_EUlS14_E_NS1_11comp_targetILNS1_3genE8ELNS1_11target_archE1030ELNS1_3gpuE2ELNS1_3repE0EEENS1_30default_config_static_selectorELNS0_4arch9wavefront6targetE1EEEvT1_,"axG",@progbits,_ZN7rocprim17ROCPRIM_400000_NS6detail17trampoline_kernelINS0_14default_configENS1_25partition_config_selectorILNS1_17partition_subalgoE1EiNS0_10empty_typeEbEEZZNS1_14partition_implILS5_1ELb0ES3_jN6thrust23THRUST_200600_302600_NS6detail15normal_iteratorINSA_10device_ptrIiEEEEPS6_NSA_18transform_iteratorINSA_8identityIiEESF_NSA_11use_defaultESK_EENS0_5tupleIJSF_SF_EEENSM_IJSG_SG_EEES6_PlJS6_EEE10hipError_tPvRmT3_T4_T5_T6_T7_T9_mT8_P12ihipStream_tbDpT10_ENKUlT_T0_E_clISt17integral_constantIbLb0EES18_IbLb1EEEEDaS14_S15_EUlS14_E_NS1_11comp_targetILNS1_3genE8ELNS1_11target_archE1030ELNS1_3gpuE2ELNS1_3repE0EEENS1_30default_config_static_selectorELNS0_4arch9wavefront6targetE1EEEvT1_,comdat
	.protected	_ZN7rocprim17ROCPRIM_400000_NS6detail17trampoline_kernelINS0_14default_configENS1_25partition_config_selectorILNS1_17partition_subalgoE1EiNS0_10empty_typeEbEEZZNS1_14partition_implILS5_1ELb0ES3_jN6thrust23THRUST_200600_302600_NS6detail15normal_iteratorINSA_10device_ptrIiEEEEPS6_NSA_18transform_iteratorINSA_8identityIiEESF_NSA_11use_defaultESK_EENS0_5tupleIJSF_SF_EEENSM_IJSG_SG_EEES6_PlJS6_EEE10hipError_tPvRmT3_T4_T5_T6_T7_T9_mT8_P12ihipStream_tbDpT10_ENKUlT_T0_E_clISt17integral_constantIbLb0EES18_IbLb1EEEEDaS14_S15_EUlS14_E_NS1_11comp_targetILNS1_3genE8ELNS1_11target_archE1030ELNS1_3gpuE2ELNS1_3repE0EEENS1_30default_config_static_selectorELNS0_4arch9wavefront6targetE1EEEvT1_ ; -- Begin function _ZN7rocprim17ROCPRIM_400000_NS6detail17trampoline_kernelINS0_14default_configENS1_25partition_config_selectorILNS1_17partition_subalgoE1EiNS0_10empty_typeEbEEZZNS1_14partition_implILS5_1ELb0ES3_jN6thrust23THRUST_200600_302600_NS6detail15normal_iteratorINSA_10device_ptrIiEEEEPS6_NSA_18transform_iteratorINSA_8identityIiEESF_NSA_11use_defaultESK_EENS0_5tupleIJSF_SF_EEENSM_IJSG_SG_EEES6_PlJS6_EEE10hipError_tPvRmT3_T4_T5_T6_T7_T9_mT8_P12ihipStream_tbDpT10_ENKUlT_T0_E_clISt17integral_constantIbLb0EES18_IbLb1EEEEDaS14_S15_EUlS14_E_NS1_11comp_targetILNS1_3genE8ELNS1_11target_archE1030ELNS1_3gpuE2ELNS1_3repE0EEENS1_30default_config_static_selectorELNS0_4arch9wavefront6targetE1EEEvT1_
	.globl	_ZN7rocprim17ROCPRIM_400000_NS6detail17trampoline_kernelINS0_14default_configENS1_25partition_config_selectorILNS1_17partition_subalgoE1EiNS0_10empty_typeEbEEZZNS1_14partition_implILS5_1ELb0ES3_jN6thrust23THRUST_200600_302600_NS6detail15normal_iteratorINSA_10device_ptrIiEEEEPS6_NSA_18transform_iteratorINSA_8identityIiEESF_NSA_11use_defaultESK_EENS0_5tupleIJSF_SF_EEENSM_IJSG_SG_EEES6_PlJS6_EEE10hipError_tPvRmT3_T4_T5_T6_T7_T9_mT8_P12ihipStream_tbDpT10_ENKUlT_T0_E_clISt17integral_constantIbLb0EES18_IbLb1EEEEDaS14_S15_EUlS14_E_NS1_11comp_targetILNS1_3genE8ELNS1_11target_archE1030ELNS1_3gpuE2ELNS1_3repE0EEENS1_30default_config_static_selectorELNS0_4arch9wavefront6targetE1EEEvT1_
	.p2align	8
	.type	_ZN7rocprim17ROCPRIM_400000_NS6detail17trampoline_kernelINS0_14default_configENS1_25partition_config_selectorILNS1_17partition_subalgoE1EiNS0_10empty_typeEbEEZZNS1_14partition_implILS5_1ELb0ES3_jN6thrust23THRUST_200600_302600_NS6detail15normal_iteratorINSA_10device_ptrIiEEEEPS6_NSA_18transform_iteratorINSA_8identityIiEESF_NSA_11use_defaultESK_EENS0_5tupleIJSF_SF_EEENSM_IJSG_SG_EEES6_PlJS6_EEE10hipError_tPvRmT3_T4_T5_T6_T7_T9_mT8_P12ihipStream_tbDpT10_ENKUlT_T0_E_clISt17integral_constantIbLb0EES18_IbLb1EEEEDaS14_S15_EUlS14_E_NS1_11comp_targetILNS1_3genE8ELNS1_11target_archE1030ELNS1_3gpuE2ELNS1_3repE0EEENS1_30default_config_static_selectorELNS0_4arch9wavefront6targetE1EEEvT1_,@function
_ZN7rocprim17ROCPRIM_400000_NS6detail17trampoline_kernelINS0_14default_configENS1_25partition_config_selectorILNS1_17partition_subalgoE1EiNS0_10empty_typeEbEEZZNS1_14partition_implILS5_1ELb0ES3_jN6thrust23THRUST_200600_302600_NS6detail15normal_iteratorINSA_10device_ptrIiEEEEPS6_NSA_18transform_iteratorINSA_8identityIiEESF_NSA_11use_defaultESK_EENS0_5tupleIJSF_SF_EEENSM_IJSG_SG_EEES6_PlJS6_EEE10hipError_tPvRmT3_T4_T5_T6_T7_T9_mT8_P12ihipStream_tbDpT10_ENKUlT_T0_E_clISt17integral_constantIbLb0EES18_IbLb1EEEEDaS14_S15_EUlS14_E_NS1_11comp_targetILNS1_3genE8ELNS1_11target_archE1030ELNS1_3gpuE2ELNS1_3repE0EEENS1_30default_config_static_selectorELNS0_4arch9wavefront6targetE1EEEvT1_: ; @_ZN7rocprim17ROCPRIM_400000_NS6detail17trampoline_kernelINS0_14default_configENS1_25partition_config_selectorILNS1_17partition_subalgoE1EiNS0_10empty_typeEbEEZZNS1_14partition_implILS5_1ELb0ES3_jN6thrust23THRUST_200600_302600_NS6detail15normal_iteratorINSA_10device_ptrIiEEEEPS6_NSA_18transform_iteratorINSA_8identityIiEESF_NSA_11use_defaultESK_EENS0_5tupleIJSF_SF_EEENSM_IJSG_SG_EEES6_PlJS6_EEE10hipError_tPvRmT3_T4_T5_T6_T7_T9_mT8_P12ihipStream_tbDpT10_ENKUlT_T0_E_clISt17integral_constantIbLb0EES18_IbLb1EEEEDaS14_S15_EUlS14_E_NS1_11comp_targetILNS1_3genE8ELNS1_11target_archE1030ELNS1_3gpuE2ELNS1_3repE0EEENS1_30default_config_static_selectorELNS0_4arch9wavefront6targetE1EEEvT1_
; %bb.0:
	.section	.rodata,"a",@progbits
	.p2align	6, 0x0
	.amdhsa_kernel _ZN7rocprim17ROCPRIM_400000_NS6detail17trampoline_kernelINS0_14default_configENS1_25partition_config_selectorILNS1_17partition_subalgoE1EiNS0_10empty_typeEbEEZZNS1_14partition_implILS5_1ELb0ES3_jN6thrust23THRUST_200600_302600_NS6detail15normal_iteratorINSA_10device_ptrIiEEEEPS6_NSA_18transform_iteratorINSA_8identityIiEESF_NSA_11use_defaultESK_EENS0_5tupleIJSF_SF_EEENSM_IJSG_SG_EEES6_PlJS6_EEE10hipError_tPvRmT3_T4_T5_T6_T7_T9_mT8_P12ihipStream_tbDpT10_ENKUlT_T0_E_clISt17integral_constantIbLb0EES18_IbLb1EEEEDaS14_S15_EUlS14_E_NS1_11comp_targetILNS1_3genE8ELNS1_11target_archE1030ELNS1_3gpuE2ELNS1_3repE0EEENS1_30default_config_static_selectorELNS0_4arch9wavefront6targetE1EEEvT1_
		.amdhsa_group_segment_fixed_size 0
		.amdhsa_private_segment_fixed_size 0
		.amdhsa_kernarg_size 144
		.amdhsa_user_sgpr_count 2
		.amdhsa_user_sgpr_dispatch_ptr 0
		.amdhsa_user_sgpr_queue_ptr 0
		.amdhsa_user_sgpr_kernarg_segment_ptr 1
		.amdhsa_user_sgpr_dispatch_id 0
		.amdhsa_user_sgpr_kernarg_preload_length 0
		.amdhsa_user_sgpr_kernarg_preload_offset 0
		.amdhsa_user_sgpr_private_segment_size 0
		.amdhsa_uses_dynamic_stack 0
		.amdhsa_enable_private_segment 0
		.amdhsa_system_sgpr_workgroup_id_x 1
		.amdhsa_system_sgpr_workgroup_id_y 0
		.amdhsa_system_sgpr_workgroup_id_z 0
		.amdhsa_system_sgpr_workgroup_info 0
		.amdhsa_system_vgpr_workitem_id 0
		.amdhsa_next_free_vgpr 1
		.amdhsa_next_free_sgpr 0
		.amdhsa_accum_offset 4
		.amdhsa_reserve_vcc 0
		.amdhsa_float_round_mode_32 0
		.amdhsa_float_round_mode_16_64 0
		.amdhsa_float_denorm_mode_32 3
		.amdhsa_float_denorm_mode_16_64 3
		.amdhsa_dx10_clamp 1
		.amdhsa_ieee_mode 1
		.amdhsa_fp16_overflow 0
		.amdhsa_tg_split 0
		.amdhsa_exception_fp_ieee_invalid_op 0
		.amdhsa_exception_fp_denorm_src 0
		.amdhsa_exception_fp_ieee_div_zero 0
		.amdhsa_exception_fp_ieee_overflow 0
		.amdhsa_exception_fp_ieee_underflow 0
		.amdhsa_exception_fp_ieee_inexact 0
		.amdhsa_exception_int_div_zero 0
	.end_amdhsa_kernel
	.section	.text._ZN7rocprim17ROCPRIM_400000_NS6detail17trampoline_kernelINS0_14default_configENS1_25partition_config_selectorILNS1_17partition_subalgoE1EiNS0_10empty_typeEbEEZZNS1_14partition_implILS5_1ELb0ES3_jN6thrust23THRUST_200600_302600_NS6detail15normal_iteratorINSA_10device_ptrIiEEEEPS6_NSA_18transform_iteratorINSA_8identityIiEESF_NSA_11use_defaultESK_EENS0_5tupleIJSF_SF_EEENSM_IJSG_SG_EEES6_PlJS6_EEE10hipError_tPvRmT3_T4_T5_T6_T7_T9_mT8_P12ihipStream_tbDpT10_ENKUlT_T0_E_clISt17integral_constantIbLb0EES18_IbLb1EEEEDaS14_S15_EUlS14_E_NS1_11comp_targetILNS1_3genE8ELNS1_11target_archE1030ELNS1_3gpuE2ELNS1_3repE0EEENS1_30default_config_static_selectorELNS0_4arch9wavefront6targetE1EEEvT1_,"axG",@progbits,_ZN7rocprim17ROCPRIM_400000_NS6detail17trampoline_kernelINS0_14default_configENS1_25partition_config_selectorILNS1_17partition_subalgoE1EiNS0_10empty_typeEbEEZZNS1_14partition_implILS5_1ELb0ES3_jN6thrust23THRUST_200600_302600_NS6detail15normal_iteratorINSA_10device_ptrIiEEEEPS6_NSA_18transform_iteratorINSA_8identityIiEESF_NSA_11use_defaultESK_EENS0_5tupleIJSF_SF_EEENSM_IJSG_SG_EEES6_PlJS6_EEE10hipError_tPvRmT3_T4_T5_T6_T7_T9_mT8_P12ihipStream_tbDpT10_ENKUlT_T0_E_clISt17integral_constantIbLb0EES18_IbLb1EEEEDaS14_S15_EUlS14_E_NS1_11comp_targetILNS1_3genE8ELNS1_11target_archE1030ELNS1_3gpuE2ELNS1_3repE0EEENS1_30default_config_static_selectorELNS0_4arch9wavefront6targetE1EEEvT1_,comdat
.Lfunc_end640:
	.size	_ZN7rocprim17ROCPRIM_400000_NS6detail17trampoline_kernelINS0_14default_configENS1_25partition_config_selectorILNS1_17partition_subalgoE1EiNS0_10empty_typeEbEEZZNS1_14partition_implILS5_1ELb0ES3_jN6thrust23THRUST_200600_302600_NS6detail15normal_iteratorINSA_10device_ptrIiEEEEPS6_NSA_18transform_iteratorINSA_8identityIiEESF_NSA_11use_defaultESK_EENS0_5tupleIJSF_SF_EEENSM_IJSG_SG_EEES6_PlJS6_EEE10hipError_tPvRmT3_T4_T5_T6_T7_T9_mT8_P12ihipStream_tbDpT10_ENKUlT_T0_E_clISt17integral_constantIbLb0EES18_IbLb1EEEEDaS14_S15_EUlS14_E_NS1_11comp_targetILNS1_3genE8ELNS1_11target_archE1030ELNS1_3gpuE2ELNS1_3repE0EEENS1_30default_config_static_selectorELNS0_4arch9wavefront6targetE1EEEvT1_, .Lfunc_end640-_ZN7rocprim17ROCPRIM_400000_NS6detail17trampoline_kernelINS0_14default_configENS1_25partition_config_selectorILNS1_17partition_subalgoE1EiNS0_10empty_typeEbEEZZNS1_14partition_implILS5_1ELb0ES3_jN6thrust23THRUST_200600_302600_NS6detail15normal_iteratorINSA_10device_ptrIiEEEEPS6_NSA_18transform_iteratorINSA_8identityIiEESF_NSA_11use_defaultESK_EENS0_5tupleIJSF_SF_EEENSM_IJSG_SG_EEES6_PlJS6_EEE10hipError_tPvRmT3_T4_T5_T6_T7_T9_mT8_P12ihipStream_tbDpT10_ENKUlT_T0_E_clISt17integral_constantIbLb0EES18_IbLb1EEEEDaS14_S15_EUlS14_E_NS1_11comp_targetILNS1_3genE8ELNS1_11target_archE1030ELNS1_3gpuE2ELNS1_3repE0EEENS1_30default_config_static_selectorELNS0_4arch9wavefront6targetE1EEEvT1_
                                        ; -- End function
	.section	.AMDGPU.csdata,"",@progbits
; Kernel info:
; codeLenInByte = 0
; NumSgprs: 6
; NumVgprs: 0
; NumAgprs: 0
; TotalNumVgprs: 0
; ScratchSize: 0
; MemoryBound: 0
; FloatMode: 240
; IeeeMode: 1
; LDSByteSize: 0 bytes/workgroup (compile time only)
; SGPRBlocks: 0
; VGPRBlocks: 0
; NumSGPRsForWavesPerEU: 6
; NumVGPRsForWavesPerEU: 1
; AccumOffset: 4
; Occupancy: 8
; WaveLimiterHint : 0
; COMPUTE_PGM_RSRC2:SCRATCH_EN: 0
; COMPUTE_PGM_RSRC2:USER_SGPR: 2
; COMPUTE_PGM_RSRC2:TRAP_HANDLER: 0
; COMPUTE_PGM_RSRC2:TGID_X_EN: 1
; COMPUTE_PGM_RSRC2:TGID_Y_EN: 0
; COMPUTE_PGM_RSRC2:TGID_Z_EN: 0
; COMPUTE_PGM_RSRC2:TIDIG_COMP_CNT: 0
; COMPUTE_PGM_RSRC3_GFX90A:ACCUM_OFFSET: 0
; COMPUTE_PGM_RSRC3_GFX90A:TG_SPLIT: 0
	.section	.text._ZN7rocprim17ROCPRIM_400000_NS6detail17trampoline_kernelINS0_14default_configENS1_25partition_config_selectorILNS1_17partition_subalgoE1EsNS0_10empty_typeEbEEZZNS1_14partition_implILS5_1ELb0ES3_jN6thrust23THRUST_200600_302600_NS6detail15normal_iteratorINSA_10device_ptrIsEEEEPS6_NSA_18transform_iteratorINSA_8identityIsEESF_NSA_11use_defaultESK_EENS0_5tupleIJSF_SF_EEENSM_IJSG_SG_EEES6_PlJS6_EEE10hipError_tPvRmT3_T4_T5_T6_T7_T9_mT8_P12ihipStream_tbDpT10_ENKUlT_T0_E_clISt17integral_constantIbLb0EES19_EEDaS14_S15_EUlS14_E_NS1_11comp_targetILNS1_3genE0ELNS1_11target_archE4294967295ELNS1_3gpuE0ELNS1_3repE0EEENS1_30default_config_static_selectorELNS0_4arch9wavefront6targetE1EEEvT1_,"axG",@progbits,_ZN7rocprim17ROCPRIM_400000_NS6detail17trampoline_kernelINS0_14default_configENS1_25partition_config_selectorILNS1_17partition_subalgoE1EsNS0_10empty_typeEbEEZZNS1_14partition_implILS5_1ELb0ES3_jN6thrust23THRUST_200600_302600_NS6detail15normal_iteratorINSA_10device_ptrIsEEEEPS6_NSA_18transform_iteratorINSA_8identityIsEESF_NSA_11use_defaultESK_EENS0_5tupleIJSF_SF_EEENSM_IJSG_SG_EEES6_PlJS6_EEE10hipError_tPvRmT3_T4_T5_T6_T7_T9_mT8_P12ihipStream_tbDpT10_ENKUlT_T0_E_clISt17integral_constantIbLb0EES19_EEDaS14_S15_EUlS14_E_NS1_11comp_targetILNS1_3genE0ELNS1_11target_archE4294967295ELNS1_3gpuE0ELNS1_3repE0EEENS1_30default_config_static_selectorELNS0_4arch9wavefront6targetE1EEEvT1_,comdat
	.protected	_ZN7rocprim17ROCPRIM_400000_NS6detail17trampoline_kernelINS0_14default_configENS1_25partition_config_selectorILNS1_17partition_subalgoE1EsNS0_10empty_typeEbEEZZNS1_14partition_implILS5_1ELb0ES3_jN6thrust23THRUST_200600_302600_NS6detail15normal_iteratorINSA_10device_ptrIsEEEEPS6_NSA_18transform_iteratorINSA_8identityIsEESF_NSA_11use_defaultESK_EENS0_5tupleIJSF_SF_EEENSM_IJSG_SG_EEES6_PlJS6_EEE10hipError_tPvRmT3_T4_T5_T6_T7_T9_mT8_P12ihipStream_tbDpT10_ENKUlT_T0_E_clISt17integral_constantIbLb0EES19_EEDaS14_S15_EUlS14_E_NS1_11comp_targetILNS1_3genE0ELNS1_11target_archE4294967295ELNS1_3gpuE0ELNS1_3repE0EEENS1_30default_config_static_selectorELNS0_4arch9wavefront6targetE1EEEvT1_ ; -- Begin function _ZN7rocprim17ROCPRIM_400000_NS6detail17trampoline_kernelINS0_14default_configENS1_25partition_config_selectorILNS1_17partition_subalgoE1EsNS0_10empty_typeEbEEZZNS1_14partition_implILS5_1ELb0ES3_jN6thrust23THRUST_200600_302600_NS6detail15normal_iteratorINSA_10device_ptrIsEEEEPS6_NSA_18transform_iteratorINSA_8identityIsEESF_NSA_11use_defaultESK_EENS0_5tupleIJSF_SF_EEENSM_IJSG_SG_EEES6_PlJS6_EEE10hipError_tPvRmT3_T4_T5_T6_T7_T9_mT8_P12ihipStream_tbDpT10_ENKUlT_T0_E_clISt17integral_constantIbLb0EES19_EEDaS14_S15_EUlS14_E_NS1_11comp_targetILNS1_3genE0ELNS1_11target_archE4294967295ELNS1_3gpuE0ELNS1_3repE0EEENS1_30default_config_static_selectorELNS0_4arch9wavefront6targetE1EEEvT1_
	.globl	_ZN7rocprim17ROCPRIM_400000_NS6detail17trampoline_kernelINS0_14default_configENS1_25partition_config_selectorILNS1_17partition_subalgoE1EsNS0_10empty_typeEbEEZZNS1_14partition_implILS5_1ELb0ES3_jN6thrust23THRUST_200600_302600_NS6detail15normal_iteratorINSA_10device_ptrIsEEEEPS6_NSA_18transform_iteratorINSA_8identityIsEESF_NSA_11use_defaultESK_EENS0_5tupleIJSF_SF_EEENSM_IJSG_SG_EEES6_PlJS6_EEE10hipError_tPvRmT3_T4_T5_T6_T7_T9_mT8_P12ihipStream_tbDpT10_ENKUlT_T0_E_clISt17integral_constantIbLb0EES19_EEDaS14_S15_EUlS14_E_NS1_11comp_targetILNS1_3genE0ELNS1_11target_archE4294967295ELNS1_3gpuE0ELNS1_3repE0EEENS1_30default_config_static_selectorELNS0_4arch9wavefront6targetE1EEEvT1_
	.p2align	8
	.type	_ZN7rocprim17ROCPRIM_400000_NS6detail17trampoline_kernelINS0_14default_configENS1_25partition_config_selectorILNS1_17partition_subalgoE1EsNS0_10empty_typeEbEEZZNS1_14partition_implILS5_1ELb0ES3_jN6thrust23THRUST_200600_302600_NS6detail15normal_iteratorINSA_10device_ptrIsEEEEPS6_NSA_18transform_iteratorINSA_8identityIsEESF_NSA_11use_defaultESK_EENS0_5tupleIJSF_SF_EEENSM_IJSG_SG_EEES6_PlJS6_EEE10hipError_tPvRmT3_T4_T5_T6_T7_T9_mT8_P12ihipStream_tbDpT10_ENKUlT_T0_E_clISt17integral_constantIbLb0EES19_EEDaS14_S15_EUlS14_E_NS1_11comp_targetILNS1_3genE0ELNS1_11target_archE4294967295ELNS1_3gpuE0ELNS1_3repE0EEENS1_30default_config_static_selectorELNS0_4arch9wavefront6targetE1EEEvT1_,@function
_ZN7rocprim17ROCPRIM_400000_NS6detail17trampoline_kernelINS0_14default_configENS1_25partition_config_selectorILNS1_17partition_subalgoE1EsNS0_10empty_typeEbEEZZNS1_14partition_implILS5_1ELb0ES3_jN6thrust23THRUST_200600_302600_NS6detail15normal_iteratorINSA_10device_ptrIsEEEEPS6_NSA_18transform_iteratorINSA_8identityIsEESF_NSA_11use_defaultESK_EENS0_5tupleIJSF_SF_EEENSM_IJSG_SG_EEES6_PlJS6_EEE10hipError_tPvRmT3_T4_T5_T6_T7_T9_mT8_P12ihipStream_tbDpT10_ENKUlT_T0_E_clISt17integral_constantIbLb0EES19_EEDaS14_S15_EUlS14_E_NS1_11comp_targetILNS1_3genE0ELNS1_11target_archE4294967295ELNS1_3gpuE0ELNS1_3repE0EEENS1_30default_config_static_selectorELNS0_4arch9wavefront6targetE1EEEvT1_: ; @_ZN7rocprim17ROCPRIM_400000_NS6detail17trampoline_kernelINS0_14default_configENS1_25partition_config_selectorILNS1_17partition_subalgoE1EsNS0_10empty_typeEbEEZZNS1_14partition_implILS5_1ELb0ES3_jN6thrust23THRUST_200600_302600_NS6detail15normal_iteratorINSA_10device_ptrIsEEEEPS6_NSA_18transform_iteratorINSA_8identityIsEESF_NSA_11use_defaultESK_EENS0_5tupleIJSF_SF_EEENSM_IJSG_SG_EEES6_PlJS6_EEE10hipError_tPvRmT3_T4_T5_T6_T7_T9_mT8_P12ihipStream_tbDpT10_ENKUlT_T0_E_clISt17integral_constantIbLb0EES19_EEDaS14_S15_EUlS14_E_NS1_11comp_targetILNS1_3genE0ELNS1_11target_archE4294967295ELNS1_3gpuE0ELNS1_3repE0EEENS1_30default_config_static_selectorELNS0_4arch9wavefront6targetE1EEEvT1_
; %bb.0:
	.section	.rodata,"a",@progbits
	.p2align	6, 0x0
	.amdhsa_kernel _ZN7rocprim17ROCPRIM_400000_NS6detail17trampoline_kernelINS0_14default_configENS1_25partition_config_selectorILNS1_17partition_subalgoE1EsNS0_10empty_typeEbEEZZNS1_14partition_implILS5_1ELb0ES3_jN6thrust23THRUST_200600_302600_NS6detail15normal_iteratorINSA_10device_ptrIsEEEEPS6_NSA_18transform_iteratorINSA_8identityIsEESF_NSA_11use_defaultESK_EENS0_5tupleIJSF_SF_EEENSM_IJSG_SG_EEES6_PlJS6_EEE10hipError_tPvRmT3_T4_T5_T6_T7_T9_mT8_P12ihipStream_tbDpT10_ENKUlT_T0_E_clISt17integral_constantIbLb0EES19_EEDaS14_S15_EUlS14_E_NS1_11comp_targetILNS1_3genE0ELNS1_11target_archE4294967295ELNS1_3gpuE0ELNS1_3repE0EEENS1_30default_config_static_selectorELNS0_4arch9wavefront6targetE1EEEvT1_
		.amdhsa_group_segment_fixed_size 0
		.amdhsa_private_segment_fixed_size 0
		.amdhsa_kernarg_size 128
		.amdhsa_user_sgpr_count 2
		.amdhsa_user_sgpr_dispatch_ptr 0
		.amdhsa_user_sgpr_queue_ptr 0
		.amdhsa_user_sgpr_kernarg_segment_ptr 1
		.amdhsa_user_sgpr_dispatch_id 0
		.amdhsa_user_sgpr_kernarg_preload_length 0
		.amdhsa_user_sgpr_kernarg_preload_offset 0
		.amdhsa_user_sgpr_private_segment_size 0
		.amdhsa_uses_dynamic_stack 0
		.amdhsa_enable_private_segment 0
		.amdhsa_system_sgpr_workgroup_id_x 1
		.amdhsa_system_sgpr_workgroup_id_y 0
		.amdhsa_system_sgpr_workgroup_id_z 0
		.amdhsa_system_sgpr_workgroup_info 0
		.amdhsa_system_vgpr_workitem_id 0
		.amdhsa_next_free_vgpr 1
		.amdhsa_next_free_sgpr 0
		.amdhsa_accum_offset 4
		.amdhsa_reserve_vcc 0
		.amdhsa_float_round_mode_32 0
		.amdhsa_float_round_mode_16_64 0
		.amdhsa_float_denorm_mode_32 3
		.amdhsa_float_denorm_mode_16_64 3
		.amdhsa_dx10_clamp 1
		.amdhsa_ieee_mode 1
		.amdhsa_fp16_overflow 0
		.amdhsa_tg_split 0
		.amdhsa_exception_fp_ieee_invalid_op 0
		.amdhsa_exception_fp_denorm_src 0
		.amdhsa_exception_fp_ieee_div_zero 0
		.amdhsa_exception_fp_ieee_overflow 0
		.amdhsa_exception_fp_ieee_underflow 0
		.amdhsa_exception_fp_ieee_inexact 0
		.amdhsa_exception_int_div_zero 0
	.end_amdhsa_kernel
	.section	.text._ZN7rocprim17ROCPRIM_400000_NS6detail17trampoline_kernelINS0_14default_configENS1_25partition_config_selectorILNS1_17partition_subalgoE1EsNS0_10empty_typeEbEEZZNS1_14partition_implILS5_1ELb0ES3_jN6thrust23THRUST_200600_302600_NS6detail15normal_iteratorINSA_10device_ptrIsEEEEPS6_NSA_18transform_iteratorINSA_8identityIsEESF_NSA_11use_defaultESK_EENS0_5tupleIJSF_SF_EEENSM_IJSG_SG_EEES6_PlJS6_EEE10hipError_tPvRmT3_T4_T5_T6_T7_T9_mT8_P12ihipStream_tbDpT10_ENKUlT_T0_E_clISt17integral_constantIbLb0EES19_EEDaS14_S15_EUlS14_E_NS1_11comp_targetILNS1_3genE0ELNS1_11target_archE4294967295ELNS1_3gpuE0ELNS1_3repE0EEENS1_30default_config_static_selectorELNS0_4arch9wavefront6targetE1EEEvT1_,"axG",@progbits,_ZN7rocprim17ROCPRIM_400000_NS6detail17trampoline_kernelINS0_14default_configENS1_25partition_config_selectorILNS1_17partition_subalgoE1EsNS0_10empty_typeEbEEZZNS1_14partition_implILS5_1ELb0ES3_jN6thrust23THRUST_200600_302600_NS6detail15normal_iteratorINSA_10device_ptrIsEEEEPS6_NSA_18transform_iteratorINSA_8identityIsEESF_NSA_11use_defaultESK_EENS0_5tupleIJSF_SF_EEENSM_IJSG_SG_EEES6_PlJS6_EEE10hipError_tPvRmT3_T4_T5_T6_T7_T9_mT8_P12ihipStream_tbDpT10_ENKUlT_T0_E_clISt17integral_constantIbLb0EES19_EEDaS14_S15_EUlS14_E_NS1_11comp_targetILNS1_3genE0ELNS1_11target_archE4294967295ELNS1_3gpuE0ELNS1_3repE0EEENS1_30default_config_static_selectorELNS0_4arch9wavefront6targetE1EEEvT1_,comdat
.Lfunc_end641:
	.size	_ZN7rocprim17ROCPRIM_400000_NS6detail17trampoline_kernelINS0_14default_configENS1_25partition_config_selectorILNS1_17partition_subalgoE1EsNS0_10empty_typeEbEEZZNS1_14partition_implILS5_1ELb0ES3_jN6thrust23THRUST_200600_302600_NS6detail15normal_iteratorINSA_10device_ptrIsEEEEPS6_NSA_18transform_iteratorINSA_8identityIsEESF_NSA_11use_defaultESK_EENS0_5tupleIJSF_SF_EEENSM_IJSG_SG_EEES6_PlJS6_EEE10hipError_tPvRmT3_T4_T5_T6_T7_T9_mT8_P12ihipStream_tbDpT10_ENKUlT_T0_E_clISt17integral_constantIbLb0EES19_EEDaS14_S15_EUlS14_E_NS1_11comp_targetILNS1_3genE0ELNS1_11target_archE4294967295ELNS1_3gpuE0ELNS1_3repE0EEENS1_30default_config_static_selectorELNS0_4arch9wavefront6targetE1EEEvT1_, .Lfunc_end641-_ZN7rocprim17ROCPRIM_400000_NS6detail17trampoline_kernelINS0_14default_configENS1_25partition_config_selectorILNS1_17partition_subalgoE1EsNS0_10empty_typeEbEEZZNS1_14partition_implILS5_1ELb0ES3_jN6thrust23THRUST_200600_302600_NS6detail15normal_iteratorINSA_10device_ptrIsEEEEPS6_NSA_18transform_iteratorINSA_8identityIsEESF_NSA_11use_defaultESK_EENS0_5tupleIJSF_SF_EEENSM_IJSG_SG_EEES6_PlJS6_EEE10hipError_tPvRmT3_T4_T5_T6_T7_T9_mT8_P12ihipStream_tbDpT10_ENKUlT_T0_E_clISt17integral_constantIbLb0EES19_EEDaS14_S15_EUlS14_E_NS1_11comp_targetILNS1_3genE0ELNS1_11target_archE4294967295ELNS1_3gpuE0ELNS1_3repE0EEENS1_30default_config_static_selectorELNS0_4arch9wavefront6targetE1EEEvT1_
                                        ; -- End function
	.section	.AMDGPU.csdata,"",@progbits
; Kernel info:
; codeLenInByte = 0
; NumSgprs: 6
; NumVgprs: 0
; NumAgprs: 0
; TotalNumVgprs: 0
; ScratchSize: 0
; MemoryBound: 0
; FloatMode: 240
; IeeeMode: 1
; LDSByteSize: 0 bytes/workgroup (compile time only)
; SGPRBlocks: 0
; VGPRBlocks: 0
; NumSGPRsForWavesPerEU: 6
; NumVGPRsForWavesPerEU: 1
; AccumOffset: 4
; Occupancy: 8
; WaveLimiterHint : 0
; COMPUTE_PGM_RSRC2:SCRATCH_EN: 0
; COMPUTE_PGM_RSRC2:USER_SGPR: 2
; COMPUTE_PGM_RSRC2:TRAP_HANDLER: 0
; COMPUTE_PGM_RSRC2:TGID_X_EN: 1
; COMPUTE_PGM_RSRC2:TGID_Y_EN: 0
; COMPUTE_PGM_RSRC2:TGID_Z_EN: 0
; COMPUTE_PGM_RSRC2:TIDIG_COMP_CNT: 0
; COMPUTE_PGM_RSRC3_GFX90A:ACCUM_OFFSET: 0
; COMPUTE_PGM_RSRC3_GFX90A:TG_SPLIT: 0
	.section	.text._ZN7rocprim17ROCPRIM_400000_NS6detail17trampoline_kernelINS0_14default_configENS1_25partition_config_selectorILNS1_17partition_subalgoE1EsNS0_10empty_typeEbEEZZNS1_14partition_implILS5_1ELb0ES3_jN6thrust23THRUST_200600_302600_NS6detail15normal_iteratorINSA_10device_ptrIsEEEEPS6_NSA_18transform_iteratorINSA_8identityIsEESF_NSA_11use_defaultESK_EENS0_5tupleIJSF_SF_EEENSM_IJSG_SG_EEES6_PlJS6_EEE10hipError_tPvRmT3_T4_T5_T6_T7_T9_mT8_P12ihipStream_tbDpT10_ENKUlT_T0_E_clISt17integral_constantIbLb0EES19_EEDaS14_S15_EUlS14_E_NS1_11comp_targetILNS1_3genE5ELNS1_11target_archE942ELNS1_3gpuE9ELNS1_3repE0EEENS1_30default_config_static_selectorELNS0_4arch9wavefront6targetE1EEEvT1_,"axG",@progbits,_ZN7rocprim17ROCPRIM_400000_NS6detail17trampoline_kernelINS0_14default_configENS1_25partition_config_selectorILNS1_17partition_subalgoE1EsNS0_10empty_typeEbEEZZNS1_14partition_implILS5_1ELb0ES3_jN6thrust23THRUST_200600_302600_NS6detail15normal_iteratorINSA_10device_ptrIsEEEEPS6_NSA_18transform_iteratorINSA_8identityIsEESF_NSA_11use_defaultESK_EENS0_5tupleIJSF_SF_EEENSM_IJSG_SG_EEES6_PlJS6_EEE10hipError_tPvRmT3_T4_T5_T6_T7_T9_mT8_P12ihipStream_tbDpT10_ENKUlT_T0_E_clISt17integral_constantIbLb0EES19_EEDaS14_S15_EUlS14_E_NS1_11comp_targetILNS1_3genE5ELNS1_11target_archE942ELNS1_3gpuE9ELNS1_3repE0EEENS1_30default_config_static_selectorELNS0_4arch9wavefront6targetE1EEEvT1_,comdat
	.protected	_ZN7rocprim17ROCPRIM_400000_NS6detail17trampoline_kernelINS0_14default_configENS1_25partition_config_selectorILNS1_17partition_subalgoE1EsNS0_10empty_typeEbEEZZNS1_14partition_implILS5_1ELb0ES3_jN6thrust23THRUST_200600_302600_NS6detail15normal_iteratorINSA_10device_ptrIsEEEEPS6_NSA_18transform_iteratorINSA_8identityIsEESF_NSA_11use_defaultESK_EENS0_5tupleIJSF_SF_EEENSM_IJSG_SG_EEES6_PlJS6_EEE10hipError_tPvRmT3_T4_T5_T6_T7_T9_mT8_P12ihipStream_tbDpT10_ENKUlT_T0_E_clISt17integral_constantIbLb0EES19_EEDaS14_S15_EUlS14_E_NS1_11comp_targetILNS1_3genE5ELNS1_11target_archE942ELNS1_3gpuE9ELNS1_3repE0EEENS1_30default_config_static_selectorELNS0_4arch9wavefront6targetE1EEEvT1_ ; -- Begin function _ZN7rocprim17ROCPRIM_400000_NS6detail17trampoline_kernelINS0_14default_configENS1_25partition_config_selectorILNS1_17partition_subalgoE1EsNS0_10empty_typeEbEEZZNS1_14partition_implILS5_1ELb0ES3_jN6thrust23THRUST_200600_302600_NS6detail15normal_iteratorINSA_10device_ptrIsEEEEPS6_NSA_18transform_iteratorINSA_8identityIsEESF_NSA_11use_defaultESK_EENS0_5tupleIJSF_SF_EEENSM_IJSG_SG_EEES6_PlJS6_EEE10hipError_tPvRmT3_T4_T5_T6_T7_T9_mT8_P12ihipStream_tbDpT10_ENKUlT_T0_E_clISt17integral_constantIbLb0EES19_EEDaS14_S15_EUlS14_E_NS1_11comp_targetILNS1_3genE5ELNS1_11target_archE942ELNS1_3gpuE9ELNS1_3repE0EEENS1_30default_config_static_selectorELNS0_4arch9wavefront6targetE1EEEvT1_
	.globl	_ZN7rocprim17ROCPRIM_400000_NS6detail17trampoline_kernelINS0_14default_configENS1_25partition_config_selectorILNS1_17partition_subalgoE1EsNS0_10empty_typeEbEEZZNS1_14partition_implILS5_1ELb0ES3_jN6thrust23THRUST_200600_302600_NS6detail15normal_iteratorINSA_10device_ptrIsEEEEPS6_NSA_18transform_iteratorINSA_8identityIsEESF_NSA_11use_defaultESK_EENS0_5tupleIJSF_SF_EEENSM_IJSG_SG_EEES6_PlJS6_EEE10hipError_tPvRmT3_T4_T5_T6_T7_T9_mT8_P12ihipStream_tbDpT10_ENKUlT_T0_E_clISt17integral_constantIbLb0EES19_EEDaS14_S15_EUlS14_E_NS1_11comp_targetILNS1_3genE5ELNS1_11target_archE942ELNS1_3gpuE9ELNS1_3repE0EEENS1_30default_config_static_selectorELNS0_4arch9wavefront6targetE1EEEvT1_
	.p2align	8
	.type	_ZN7rocprim17ROCPRIM_400000_NS6detail17trampoline_kernelINS0_14default_configENS1_25partition_config_selectorILNS1_17partition_subalgoE1EsNS0_10empty_typeEbEEZZNS1_14partition_implILS5_1ELb0ES3_jN6thrust23THRUST_200600_302600_NS6detail15normal_iteratorINSA_10device_ptrIsEEEEPS6_NSA_18transform_iteratorINSA_8identityIsEESF_NSA_11use_defaultESK_EENS0_5tupleIJSF_SF_EEENSM_IJSG_SG_EEES6_PlJS6_EEE10hipError_tPvRmT3_T4_T5_T6_T7_T9_mT8_P12ihipStream_tbDpT10_ENKUlT_T0_E_clISt17integral_constantIbLb0EES19_EEDaS14_S15_EUlS14_E_NS1_11comp_targetILNS1_3genE5ELNS1_11target_archE942ELNS1_3gpuE9ELNS1_3repE0EEENS1_30default_config_static_selectorELNS0_4arch9wavefront6targetE1EEEvT1_,@function
_ZN7rocprim17ROCPRIM_400000_NS6detail17trampoline_kernelINS0_14default_configENS1_25partition_config_selectorILNS1_17partition_subalgoE1EsNS0_10empty_typeEbEEZZNS1_14partition_implILS5_1ELb0ES3_jN6thrust23THRUST_200600_302600_NS6detail15normal_iteratorINSA_10device_ptrIsEEEEPS6_NSA_18transform_iteratorINSA_8identityIsEESF_NSA_11use_defaultESK_EENS0_5tupleIJSF_SF_EEENSM_IJSG_SG_EEES6_PlJS6_EEE10hipError_tPvRmT3_T4_T5_T6_T7_T9_mT8_P12ihipStream_tbDpT10_ENKUlT_T0_E_clISt17integral_constantIbLb0EES19_EEDaS14_S15_EUlS14_E_NS1_11comp_targetILNS1_3genE5ELNS1_11target_archE942ELNS1_3gpuE9ELNS1_3repE0EEENS1_30default_config_static_selectorELNS0_4arch9wavefront6targetE1EEEvT1_: ; @_ZN7rocprim17ROCPRIM_400000_NS6detail17trampoline_kernelINS0_14default_configENS1_25partition_config_selectorILNS1_17partition_subalgoE1EsNS0_10empty_typeEbEEZZNS1_14partition_implILS5_1ELb0ES3_jN6thrust23THRUST_200600_302600_NS6detail15normal_iteratorINSA_10device_ptrIsEEEEPS6_NSA_18transform_iteratorINSA_8identityIsEESF_NSA_11use_defaultESK_EENS0_5tupleIJSF_SF_EEENSM_IJSG_SG_EEES6_PlJS6_EEE10hipError_tPvRmT3_T4_T5_T6_T7_T9_mT8_P12ihipStream_tbDpT10_ENKUlT_T0_E_clISt17integral_constantIbLb0EES19_EEDaS14_S15_EUlS14_E_NS1_11comp_targetILNS1_3genE5ELNS1_11target_archE942ELNS1_3gpuE9ELNS1_3repE0EEENS1_30default_config_static_selectorELNS0_4arch9wavefront6targetE1EEEvT1_
; %bb.0:
	s_load_dwordx2 s[4:5], s[0:1], 0x60
	s_load_dwordx4 s[24:27], s[0:1], 0x8
	s_load_dwordx2 s[6:7], s[0:1], 0x20
	s_load_dwordx4 s[20:23], s[0:1], 0x50
	s_load_dword s3, s[0:1], 0x78
	s_waitcnt lgkmcnt(0)
	v_mov_b32_e32 v3, s5
	s_lshl_b64 s[8:9], s[26:27], 1
	s_add_u32 s12, s24, s8
	s_addc_u32 s13, s25, s9
	s_add_i32 s14, s3, -1
	s_mulk_i32 s3, 0x3800
	s_add_i32 s5, s3, s26
	s_sub_i32 s33, s4, s5
	s_addk_i32 s33, 0x3800
	v_mov_b32_e32 v2, s4
	s_add_u32 s4, s26, s3
	s_addc_u32 s5, s27, 0
	s_cmp_eq_u32 s2, s14
	s_load_dwordx2 s[28:29], s[22:23], 0x0
	s_cselect_b64 s[22:23], -1, 0
	s_cmp_lg_u32 s2, s14
	s_mul_i32 s10, s2, 0x3800
	s_mov_b32 s11, 0
	v_cmp_lt_u64_e32 vcc, s[4:5], v[2:3]
	s_cselect_b64 s[4:5], -1, 0
	s_or_b64 s[24:25], s[4:5], vcc
	s_lshl_b64 s[30:31], s[10:11], 1
	s_add_u32 s10, s12, s30
	s_addc_u32 s11, s13, s31
	s_mov_b64 s[4:5], -1
	s_and_b64 vcc, exec, s[24:25]
	v_lshlrev_b32_e32 v14, 1, v0
	s_cbranch_vccz .LBB642_2
; %bb.1:
	v_mov_b32_e32 v15, 0
	v_lshl_add_u64 v[2:3], s[10:11], 0, v[14:15]
	v_add_co_u32_e32 v4, vcc, 0x1000, v2
	s_mov_b64 s[4:5], 0
	s_nop 0
	v_addc_co_u32_e32 v5, vcc, 0, v3, vcc
	flat_load_ushort v1, v[2:3]
	flat_load_ushort v8, v[2:3] offset:1024
	flat_load_ushort v9, v[2:3] offset:2048
	;; [unrolled: 1-line block ×3, first 2 shown]
	flat_load_ushort v11, v[4:5]
	flat_load_ushort v12, v[4:5] offset:1024
	flat_load_ushort v13, v[4:5] offset:2048
	;; [unrolled: 1-line block ×3, first 2 shown]
	v_add_co_u32_e32 v4, vcc, 0x2000, v2
	s_nop 1
	v_addc_co_u32_e32 v5, vcc, 0, v3, vcc
	v_add_co_u32_e32 v6, vcc, 0x3000, v2
	s_nop 1
	v_addc_co_u32_e32 v7, vcc, 0, v3, vcc
	flat_load_ushort v16, v[4:5]
	flat_load_ushort v17, v[4:5] offset:1024
	flat_load_ushort v18, v[4:5] offset:2048
	;; [unrolled: 1-line block ×3, first 2 shown]
	flat_load_ushort v20, v[6:7]
	flat_load_ushort v21, v[6:7] offset:1024
	flat_load_ushort v22, v[6:7] offset:2048
	;; [unrolled: 1-line block ×3, first 2 shown]
	v_add_co_u32_e32 v4, vcc, 0x4000, v2
	s_nop 1
	v_addc_co_u32_e32 v5, vcc, 0, v3, vcc
	v_add_co_u32_e32 v6, vcc, 0x5000, v2
	s_nop 1
	v_addc_co_u32_e32 v7, vcc, 0, v3, vcc
	v_add_co_u32_e32 v2, vcc, 0x6000, v2
	flat_load_ushort v24, v[4:5]
	flat_load_ushort v25, v[4:5] offset:1024
	flat_load_ushort v26, v[4:5] offset:2048
	;; [unrolled: 1-line block ×3, first 2 shown]
	flat_load_ushort v28, v[6:7]
	flat_load_ushort v29, v[6:7] offset:1024
	flat_load_ushort v30, v[6:7] offset:2048
	;; [unrolled: 1-line block ×3, first 2 shown]
	v_addc_co_u32_e32 v3, vcc, 0, v3, vcc
	flat_load_ushort v4, v[2:3]
	flat_load_ushort v5, v[2:3] offset:1024
	flat_load_ushort v6, v[2:3] offset:2048
	;; [unrolled: 1-line block ×3, first 2 shown]
	s_waitcnt vmcnt(0) lgkmcnt(0)
	ds_write_b16 v14, v1
	ds_write_b16 v14, v8 offset:1024
	ds_write_b16 v14, v9 offset:2048
	;; [unrolled: 1-line block ×27, first 2 shown]
	s_waitcnt lgkmcnt(0)
	s_barrier
.LBB642_2:
	s_andn2_b64 vcc, exec, s[4:5]
	v_cmp_gt_u32_e64 s[4:5], s33, v0
	s_cbranch_vccnz .LBB642_60
; %bb.3:
                                        ; implicit-def: $vgpr1
	s_and_saveexec_b64 s[12:13], s[4:5]
	s_cbranch_execz .LBB642_5
; %bb.4:
	v_mov_b32_e32 v15, 0
	v_lshl_add_u64 v[2:3], s[10:11], 0, v[14:15]
	flat_load_ushort v1, v[2:3]
.LBB642_5:
	s_or_b64 exec, exec, s[12:13]
	v_or_b32_e32 v2, 0x200, v0
	v_cmp_gt_u32_e32 vcc, s33, v2
                                        ; implicit-def: $vgpr2
	s_and_saveexec_b64 s[4:5], vcc
	s_cbranch_execz .LBB642_7
; %bb.6:
	v_mov_b32_e32 v15, 0
	v_lshl_add_u64 v[2:3], s[10:11], 0, v[14:15]
	flat_load_ushort v2, v[2:3] offset:1024
.LBB642_7:
	s_or_b64 exec, exec, s[4:5]
	v_or_b32_e32 v3, 0x400, v0
	v_cmp_gt_u32_e32 vcc, s33, v3
                                        ; implicit-def: $vgpr3
	s_and_saveexec_b64 s[4:5], vcc
	s_cbranch_execz .LBB642_9
; %bb.8:
	v_mov_b32_e32 v15, 0
	v_lshl_add_u64 v[4:5], s[10:11], 0, v[14:15]
	flat_load_ushort v3, v[4:5] offset:2048
.LBB642_9:
	s_or_b64 exec, exec, s[4:5]
	v_or_b32_e32 v4, 0x600, v0
	v_cmp_gt_u32_e32 vcc, s33, v4
                                        ; implicit-def: $vgpr4
	s_and_saveexec_b64 s[4:5], vcc
	s_cbranch_execz .LBB642_11
; %bb.10:
	v_mov_b32_e32 v15, 0
	v_lshl_add_u64 v[4:5], s[10:11], 0, v[14:15]
	flat_load_ushort v4, v[4:5] offset:3072
.LBB642_11:
	s_or_b64 exec, exec, s[4:5]
	v_or_b32_e32 v6, 0x800, v0
	v_cmp_gt_u32_e32 vcc, s33, v6
                                        ; implicit-def: $vgpr5
	s_and_saveexec_b64 s[4:5], vcc
	s_cbranch_execz .LBB642_13
; %bb.12:
	v_lshlrev_b32_e32 v6, 1, v6
	v_mov_b32_e32 v7, 0
	v_lshl_add_u64 v[6:7], s[10:11], 0, v[6:7]
	flat_load_ushort v5, v[6:7]
.LBB642_13:
	s_or_b64 exec, exec, s[4:5]
	v_or_b32_e32 v7, 0xa00, v0
	v_cmp_gt_u32_e32 vcc, s33, v7
                                        ; implicit-def: $vgpr6
	s_and_saveexec_b64 s[4:5], vcc
	s_cbranch_execz .LBB642_15
; %bb.14:
	v_lshlrev_b32_e32 v6, 1, v7
	v_mov_b32_e32 v7, 0
	v_lshl_add_u64 v[6:7], s[10:11], 0, v[6:7]
	flat_load_ushort v6, v[6:7]
.LBB642_15:
	s_or_b64 exec, exec, s[4:5]
	v_or_b32_e32 v8, 0xc00, v0
	v_cmp_gt_u32_e32 vcc, s33, v8
                                        ; implicit-def: $vgpr7
	s_and_saveexec_b64 s[4:5], vcc
	s_cbranch_execz .LBB642_17
; %bb.16:
	v_lshlrev_b32_e32 v8, 1, v8
	v_mov_b32_e32 v9, 0
	v_lshl_add_u64 v[8:9], s[10:11], 0, v[8:9]
	flat_load_ushort v7, v[8:9]
.LBB642_17:
	s_or_b64 exec, exec, s[4:5]
	v_or_b32_e32 v9, 0xe00, v0
	v_cmp_gt_u32_e32 vcc, s33, v9
                                        ; implicit-def: $vgpr8
	s_and_saveexec_b64 s[4:5], vcc
	s_cbranch_execz .LBB642_19
; %bb.18:
	v_lshlrev_b32_e32 v8, 1, v9
	v_mov_b32_e32 v9, 0
	v_lshl_add_u64 v[8:9], s[10:11], 0, v[8:9]
	flat_load_ushort v8, v[8:9]
.LBB642_19:
	s_or_b64 exec, exec, s[4:5]
	v_or_b32_e32 v10, 0x1000, v0
	v_cmp_gt_u32_e32 vcc, s33, v10
                                        ; implicit-def: $vgpr9
	s_and_saveexec_b64 s[4:5], vcc
	s_cbranch_execz .LBB642_21
; %bb.20:
	v_lshlrev_b32_e32 v10, 1, v10
	v_mov_b32_e32 v11, 0
	v_lshl_add_u64 v[10:11], s[10:11], 0, v[10:11]
	flat_load_ushort v9, v[10:11]
.LBB642_21:
	s_or_b64 exec, exec, s[4:5]
	v_or_b32_e32 v11, 0x1200, v0
	v_cmp_gt_u32_e32 vcc, s33, v11
                                        ; implicit-def: $vgpr10
	s_and_saveexec_b64 s[4:5], vcc
	s_cbranch_execz .LBB642_23
; %bb.22:
	v_lshlrev_b32_e32 v10, 1, v11
	v_mov_b32_e32 v11, 0
	v_lshl_add_u64 v[10:11], s[10:11], 0, v[10:11]
	flat_load_ushort v10, v[10:11]
.LBB642_23:
	s_or_b64 exec, exec, s[4:5]
	v_or_b32_e32 v12, 0x1400, v0
	v_cmp_gt_u32_e32 vcc, s33, v12
                                        ; implicit-def: $vgpr11
	s_and_saveexec_b64 s[4:5], vcc
	s_cbranch_execz .LBB642_25
; %bb.24:
	v_lshlrev_b32_e32 v12, 1, v12
	v_mov_b32_e32 v13, 0
	v_lshl_add_u64 v[12:13], s[10:11], 0, v[12:13]
	flat_load_ushort v11, v[12:13]
.LBB642_25:
	s_or_b64 exec, exec, s[4:5]
	v_or_b32_e32 v13, 0x1600, v0
	v_cmp_gt_u32_e32 vcc, s33, v13
                                        ; implicit-def: $vgpr12
	s_and_saveexec_b64 s[4:5], vcc
	s_cbranch_execz .LBB642_27
; %bb.26:
	v_lshlrev_b32_e32 v12, 1, v13
	v_mov_b32_e32 v13, 0
	v_lshl_add_u64 v[12:13], s[10:11], 0, v[12:13]
	flat_load_ushort v12, v[12:13]
.LBB642_27:
	s_or_b64 exec, exec, s[4:5]
	v_or_b32_e32 v15, 0x1800, v0
	v_cmp_gt_u32_e32 vcc, s33, v15
                                        ; implicit-def: $vgpr13
	s_and_saveexec_b64 s[4:5], vcc
	s_cbranch_execz .LBB642_29
; %bb.28:
	v_lshlrev_b32_e32 v16, 1, v15
	v_mov_b32_e32 v17, 0
	v_lshl_add_u64 v[16:17], s[10:11], 0, v[16:17]
	flat_load_ushort v13, v[16:17]
.LBB642_29:
	s_or_b64 exec, exec, s[4:5]
	v_or_b32_e32 v16, 0x1a00, v0
	v_cmp_gt_u32_e32 vcc, s33, v16
                                        ; implicit-def: $vgpr15
	s_and_saveexec_b64 s[4:5], vcc
	s_cbranch_execz .LBB642_31
; %bb.30:
	v_lshlrev_b32_e32 v16, 1, v16
	v_mov_b32_e32 v17, 0
	v_lshl_add_u64 v[16:17], s[10:11], 0, v[16:17]
	flat_load_ushort v15, v[16:17]
.LBB642_31:
	s_or_b64 exec, exec, s[4:5]
	v_or_b32_e32 v17, 0x1c00, v0
	v_cmp_gt_u32_e32 vcc, s33, v17
                                        ; implicit-def: $vgpr16
	s_and_saveexec_b64 s[4:5], vcc
	s_cbranch_execz .LBB642_33
; %bb.32:
	v_lshlrev_b32_e32 v16, 1, v17
	v_mov_b32_e32 v17, 0
	v_lshl_add_u64 v[16:17], s[10:11], 0, v[16:17]
	flat_load_ushort v16, v[16:17]
.LBB642_33:
	s_or_b64 exec, exec, s[4:5]
	v_or_b32_e32 v18, 0x1e00, v0
	v_cmp_gt_u32_e32 vcc, s33, v18
                                        ; implicit-def: $vgpr17
	s_and_saveexec_b64 s[4:5], vcc
	s_cbranch_execz .LBB642_35
; %bb.34:
	v_lshlrev_b32_e32 v18, 1, v18
	v_mov_b32_e32 v19, 0
	v_lshl_add_u64 v[18:19], s[10:11], 0, v[18:19]
	flat_load_ushort v17, v[18:19]
.LBB642_35:
	s_or_b64 exec, exec, s[4:5]
	v_or_b32_e32 v19, 0x2000, v0
	v_cmp_gt_u32_e32 vcc, s33, v19
                                        ; implicit-def: $vgpr18
	s_and_saveexec_b64 s[4:5], vcc
	s_cbranch_execz .LBB642_37
; %bb.36:
	v_lshlrev_b32_e32 v18, 1, v19
	v_mov_b32_e32 v19, 0
	v_lshl_add_u64 v[18:19], s[10:11], 0, v[18:19]
	flat_load_ushort v18, v[18:19]
.LBB642_37:
	s_or_b64 exec, exec, s[4:5]
	v_or_b32_e32 v20, 0x2200, v0
	v_cmp_gt_u32_e32 vcc, s33, v20
                                        ; implicit-def: $vgpr19
	s_and_saveexec_b64 s[4:5], vcc
	s_cbranch_execz .LBB642_39
; %bb.38:
	v_lshlrev_b32_e32 v20, 1, v20
	v_mov_b32_e32 v21, 0
	v_lshl_add_u64 v[20:21], s[10:11], 0, v[20:21]
	flat_load_ushort v19, v[20:21]
.LBB642_39:
	s_or_b64 exec, exec, s[4:5]
	v_or_b32_e32 v21, 0x2400, v0
	v_cmp_gt_u32_e32 vcc, s33, v21
                                        ; implicit-def: $vgpr20
	s_and_saveexec_b64 s[4:5], vcc
	s_cbranch_execz .LBB642_41
; %bb.40:
	v_lshlrev_b32_e32 v20, 1, v21
	v_mov_b32_e32 v21, 0
	v_lshl_add_u64 v[20:21], s[10:11], 0, v[20:21]
	flat_load_ushort v20, v[20:21]
.LBB642_41:
	s_or_b64 exec, exec, s[4:5]
	v_or_b32_e32 v22, 0x2600, v0
	v_cmp_gt_u32_e32 vcc, s33, v22
                                        ; implicit-def: $vgpr21
	s_and_saveexec_b64 s[4:5], vcc
	s_cbranch_execz .LBB642_43
; %bb.42:
	v_lshlrev_b32_e32 v22, 1, v22
	v_mov_b32_e32 v23, 0
	v_lshl_add_u64 v[22:23], s[10:11], 0, v[22:23]
	flat_load_ushort v21, v[22:23]
.LBB642_43:
	s_or_b64 exec, exec, s[4:5]
	v_or_b32_e32 v23, 0x2800, v0
	v_cmp_gt_u32_e32 vcc, s33, v23
                                        ; implicit-def: $vgpr22
	s_and_saveexec_b64 s[4:5], vcc
	s_cbranch_execz .LBB642_45
; %bb.44:
	v_lshlrev_b32_e32 v22, 1, v23
	v_mov_b32_e32 v23, 0
	v_lshl_add_u64 v[22:23], s[10:11], 0, v[22:23]
	flat_load_ushort v22, v[22:23]
.LBB642_45:
	s_or_b64 exec, exec, s[4:5]
	v_or_b32_e32 v24, 0x2a00, v0
	v_cmp_gt_u32_e32 vcc, s33, v24
                                        ; implicit-def: $vgpr23
	s_and_saveexec_b64 s[4:5], vcc
	s_cbranch_execz .LBB642_47
; %bb.46:
	v_lshlrev_b32_e32 v24, 1, v24
	v_mov_b32_e32 v25, 0
	v_lshl_add_u64 v[24:25], s[10:11], 0, v[24:25]
	flat_load_ushort v23, v[24:25]
.LBB642_47:
	s_or_b64 exec, exec, s[4:5]
	v_or_b32_e32 v25, 0x2c00, v0
	v_cmp_gt_u32_e32 vcc, s33, v25
                                        ; implicit-def: $vgpr24
	s_and_saveexec_b64 s[4:5], vcc
	s_cbranch_execz .LBB642_49
; %bb.48:
	v_lshlrev_b32_e32 v24, 1, v25
	v_mov_b32_e32 v25, 0
	v_lshl_add_u64 v[24:25], s[10:11], 0, v[24:25]
	flat_load_ushort v24, v[24:25]
.LBB642_49:
	s_or_b64 exec, exec, s[4:5]
	v_or_b32_e32 v26, 0x2e00, v0
	v_cmp_gt_u32_e32 vcc, s33, v26
                                        ; implicit-def: $vgpr25
	s_and_saveexec_b64 s[4:5], vcc
	s_cbranch_execz .LBB642_51
; %bb.50:
	v_lshlrev_b32_e32 v26, 1, v26
	v_mov_b32_e32 v27, 0
	v_lshl_add_u64 v[26:27], s[10:11], 0, v[26:27]
	flat_load_ushort v25, v[26:27]
.LBB642_51:
	s_or_b64 exec, exec, s[4:5]
	v_or_b32_e32 v27, 0x3000, v0
	v_cmp_gt_u32_e32 vcc, s33, v27
                                        ; implicit-def: $vgpr26
	s_and_saveexec_b64 s[4:5], vcc
	s_cbranch_execz .LBB642_53
; %bb.52:
	v_lshlrev_b32_e32 v26, 1, v27
	v_mov_b32_e32 v27, 0
	v_lshl_add_u64 v[26:27], s[10:11], 0, v[26:27]
	flat_load_ushort v26, v[26:27]
.LBB642_53:
	s_or_b64 exec, exec, s[4:5]
	v_or_b32_e32 v28, 0x3200, v0
	v_cmp_gt_u32_e32 vcc, s33, v28
                                        ; implicit-def: $vgpr27
	s_and_saveexec_b64 s[4:5], vcc
	s_cbranch_execz .LBB642_55
; %bb.54:
	v_lshlrev_b32_e32 v28, 1, v28
	v_mov_b32_e32 v29, 0
	v_lshl_add_u64 v[28:29], s[10:11], 0, v[28:29]
	flat_load_ushort v27, v[28:29]
.LBB642_55:
	s_or_b64 exec, exec, s[4:5]
	v_or_b32_e32 v29, 0x3400, v0
	v_cmp_gt_u32_e32 vcc, s33, v29
                                        ; implicit-def: $vgpr28
	s_and_saveexec_b64 s[4:5], vcc
	s_cbranch_execz .LBB642_57
; %bb.56:
	v_lshlrev_b32_e32 v28, 1, v29
	v_mov_b32_e32 v29, 0
	v_lshl_add_u64 v[28:29], s[10:11], 0, v[28:29]
	flat_load_ushort v28, v[28:29]
.LBB642_57:
	s_or_b64 exec, exec, s[4:5]
	v_or_b32_e32 v30, 0x3600, v0
	v_cmp_gt_u32_e32 vcc, s33, v30
                                        ; implicit-def: $vgpr29
	s_and_saveexec_b64 s[4:5], vcc
	s_cbranch_execz .LBB642_59
; %bb.58:
	v_lshlrev_b32_e32 v30, 1, v30
	v_mov_b32_e32 v31, 0
	v_lshl_add_u64 v[30:31], s[10:11], 0, v[30:31]
	flat_load_ushort v29, v[30:31]
.LBB642_59:
	s_or_b64 exec, exec, s[4:5]
	s_waitcnt vmcnt(0) lgkmcnt(0)
	ds_write_b16 v14, v1
	ds_write_b16 v14, v2 offset:1024
	ds_write_b16 v14, v3 offset:2048
	;; [unrolled: 1-line block ×27, first 2 shown]
	s_waitcnt lgkmcnt(0)
	s_barrier
.LBB642_60:
	v_mul_u32_u24_e32 v1, 28, v0
	v_lshlrev_b32_e32 v6, 1, v1
	s_waitcnt lgkmcnt(0)
	ds_read_b64 v[16:17], v6 offset:48
	ds_read2_b64 v[2:5], v6 offset0:4 offset1:5
	ds_read2_b64 v[10:13], v6 offset1:1
	ds_read2_b64 v[6:9], v6 offset0:2 offset1:3
	s_add_u32 s3, s6, s8
	s_addc_u32 s5, s7, s9
	s_add_u32 s4, s3, s30
	s_addc_u32 s5, s5, s31
	s_mov_b64 s[6:7], -1
	s_and_b64 vcc, exec, s[24:25]
	s_waitcnt lgkmcnt(0)
	s_barrier
	s_cbranch_vccz .LBB642_62
; %bb.61:
	v_mov_b32_e32 v15, 0
	v_lshl_add_u64 v[18:19], s[4:5], 0, v[14:15]
	global_load_ushort v15, v14, s[4:5]
	global_load_ushort v26, v14, s[4:5] offset:1024
	global_load_ushort v27, v14, s[4:5] offset:2048
	;; [unrolled: 1-line block ×3, first 2 shown]
	s_movk_i32 s3, 0x1000
	v_add_co_u32_e32 v20, vcc, s3, v18
	s_movk_i32 s3, 0x2000
	s_nop 0
	v_addc_co_u32_e32 v21, vcc, 0, v19, vcc
	v_add_co_u32_e32 v22, vcc, s3, v18
	s_movk_i32 s3, 0x3000
	s_nop 0
	v_addc_co_u32_e32 v23, vcc, 0, v19, vcc
	global_load_ushort v29, v[20:21], off offset:1024
	global_load_ushort v30, v[20:21], off offset:2048
	global_load_ushort v31, v[20:21], off offset:3072
	global_load_ushort v32, v[22:23], off offset:-4096
	global_load_ushort v33, v[22:23], off
	global_load_ushort v34, v[22:23], off offset:1024
	global_load_ushort v35, v[22:23], off offset:2048
	v_add_co_u32_e32 v20, vcc, s3, v18
	s_movk_i32 s3, 0x4000
	s_nop 0
	v_addc_co_u32_e32 v21, vcc, 0, v19, vcc
	v_add_co_u32_e32 v24, vcc, s3, v18
	s_movk_i32 s6, 0x6000
	s_nop 0
	v_addc_co_u32_e32 v25, vcc, 0, v19, vcc
	global_load_ushort v36, v[22:23], off offset:3072
	global_load_ushort v37, v[24:25], off offset:-4096
	global_load_ushort v38, v[20:21], off offset:1024
	global_load_ushort v39, v[20:21], off offset:2048
	;; [unrolled: 1-line block ×3, first 2 shown]
	global_load_ushort v41, v[24:25], off
	v_add_co_u32_e32 v20, vcc, s6, v18
	s_movk_i32 s3, 0x5000
	s_nop 0
	v_addc_co_u32_e32 v21, vcc, 0, v19, vcc
	global_load_ushort v22, v[24:25], off offset:1024
	global_load_ushort v23, v[24:25], off offset:2048
	;; [unrolled: 1-line block ×3, first 2 shown]
	global_load_ushort v43, v[20:21], off offset:-4096
	v_add_co_u32_e32 v18, vcc, s3, v18
	s_mov_b64 s[6:7], 0
	s_nop 0
	v_addc_co_u32_e32 v19, vcc, 0, v19, vcc
	global_load_ushort v24, v[18:19], off offset:1024
	global_load_ushort v25, v[18:19], off offset:2048
	;; [unrolled: 1-line block ×3, first 2 shown]
	global_load_ushort v45, v[20:21], off
	global_load_ushort v46, v[20:21], off offset:1024
	global_load_ushort v47, v[20:21], off offset:2048
	;; [unrolled: 1-line block ×3, first 2 shown]
	s_waitcnt vmcnt(27)
	v_cmp_ne_u16_e32 vcc, 0, v15
	s_nop 1
	v_cndmask_b32_e64 v15, 0, 1, vcc
	s_waitcnt vmcnt(26)
	v_cmp_ne_u16_e32 vcc, 0, v26
	s_nop 1
	v_cndmask_b32_e64 v18, 0, 1, vcc
	;; [unrolled: 4-line block ×28, first 2 shown]
	ds_write_b8 v0, v15
	ds_write_b8 v0, v18 offset:512
	ds_write_b8 v0, v19 offset:1024
	;; [unrolled: 1-line block ×27, first 2 shown]
	s_waitcnt lgkmcnt(0)
	s_barrier
.LBB642_62:
	s_load_dwordx2 s[34:35], s[0:1], 0x70
	s_andn2_b64 vcc, exec, s[6:7]
	s_cbranch_vccnz .LBB642_120
; %bb.63:
	v_cmp_gt_u32_e32 vcc, s33, v0
	v_mov_b32_e32 v15, 0
	v_mov_b32_e32 v18, 0
	s_and_saveexec_b64 s[6:7], vcc
	s_cbranch_execz .LBB642_65
; %bb.64:
	global_load_ushort v18, v14, s[4:5]
	s_waitcnt vmcnt(0)
	v_cmp_ne_u16_e32 vcc, 0, v18
	s_nop 1
	v_cndmask_b32_e64 v18, 0, 1, vcc
.LBB642_65:
	s_or_b64 exec, exec, s[6:7]
	v_or_b32_e32 v19, 0x200, v0
	v_cmp_gt_u32_e32 vcc, s33, v19
	s_and_saveexec_b64 s[6:7], vcc
	s_cbranch_execz .LBB642_67
; %bb.66:
	global_load_ushort v15, v14, s[4:5] offset:1024
	s_waitcnt vmcnt(0)
	v_cmp_ne_u16_e32 vcc, 0, v15
	s_nop 1
	v_cndmask_b32_e64 v15, 0, 1, vcc
.LBB642_67:
	s_or_b64 exec, exec, s[6:7]
	v_or_b32_e32 v19, 0x400, v0
	v_cmp_gt_u32_e32 vcc, s33, v19
	v_mov_b32_e32 v19, 0
	v_mov_b32_e32 v20, 0
	s_and_saveexec_b64 s[6:7], vcc
	s_cbranch_execz .LBB642_69
; %bb.68:
	global_load_ushort v20, v14, s[4:5] offset:2048
	s_waitcnt vmcnt(0)
	v_cmp_ne_u16_e32 vcc, 0, v20
	s_nop 1
	v_cndmask_b32_e64 v20, 0, 1, vcc
.LBB642_69:
	s_or_b64 exec, exec, s[6:7]
	v_or_b32_e32 v21, 0x600, v0
	v_cmp_gt_u32_e32 vcc, s33, v21
	s_and_saveexec_b64 s[6:7], vcc
	s_cbranch_execz .LBB642_71
; %bb.70:
	global_load_ushort v19, v14, s[4:5] offset:3072
	s_waitcnt vmcnt(0)
	v_cmp_ne_u16_e32 vcc, 0, v19
	s_nop 1
	v_cndmask_b32_e64 v19, 0, 1, vcc
.LBB642_71:
	s_or_b64 exec, exec, s[6:7]
	v_or_b32_e32 v23, 0x800, v0
	v_cmp_gt_u32_e32 vcc, s33, v23
	v_mov_b32_e32 v21, 0
	v_mov_b32_e32 v22, 0
	s_and_saveexec_b64 s[6:7], vcc
	s_cbranch_execz .LBB642_73
; %bb.72:
	v_lshlrev_b32_e32 v22, 1, v23
	global_load_ushort v22, v22, s[4:5]
	s_waitcnt vmcnt(0)
	v_cmp_ne_u16_e32 vcc, 0, v22
	s_nop 1
	v_cndmask_b32_e64 v22, 0, 1, vcc
.LBB642_73:
	s_or_b64 exec, exec, s[6:7]
	v_or_b32_e32 v23, 0xa00, v0
	v_cmp_gt_u32_e32 vcc, s33, v23
	s_and_saveexec_b64 s[6:7], vcc
	s_cbranch_execz .LBB642_75
; %bb.74:
	v_lshlrev_b32_e32 v21, 1, v23
	global_load_ushort v21, v21, s[4:5]
	s_waitcnt vmcnt(0)
	v_cmp_ne_u16_e32 vcc, 0, v21
	s_nop 1
	v_cndmask_b32_e64 v21, 0, 1, vcc
.LBB642_75:
	s_or_b64 exec, exec, s[6:7]
	v_or_b32_e32 v25, 0xc00, v0
	v_cmp_gt_u32_e32 vcc, s33, v25
	v_mov_b32_e32 v23, 0
	v_mov_b32_e32 v24, 0
	s_and_saveexec_b64 s[6:7], vcc
	s_cbranch_execz .LBB642_77
; %bb.76:
	v_lshlrev_b32_e32 v24, 1, v25
	global_load_ushort v24, v24, s[4:5]
	s_waitcnt vmcnt(0)
	v_cmp_ne_u16_e32 vcc, 0, v24
	s_nop 1
	v_cndmask_b32_e64 v24, 0, 1, vcc
.LBB642_77:
	s_or_b64 exec, exec, s[6:7]
	v_or_b32_e32 v25, 0xe00, v0
	v_cmp_gt_u32_e32 vcc, s33, v25
	s_and_saveexec_b64 s[6:7], vcc
	s_cbranch_execz .LBB642_79
; %bb.78:
	v_lshlrev_b32_e32 v23, 1, v25
	global_load_ushort v23, v23, s[4:5]
	s_waitcnt vmcnt(0)
	v_cmp_ne_u16_e32 vcc, 0, v23
	s_nop 1
	v_cndmask_b32_e64 v23, 0, 1, vcc
.LBB642_79:
	;; [unrolled: 28-line block ×12, first 2 shown]
	s_or_b64 exec, exec, s[6:7]
	ds_write_b8 v0, v18
	ds_write_b8 v0, v15 offset:512
	ds_write_b8 v0, v20 offset:1024
	;; [unrolled: 1-line block ×27, first 2 shown]
	s_waitcnt lgkmcnt(0)
	s_barrier
.LBB642_120:
	s_waitcnt lgkmcnt(0)
	ds_read2_b32 v[24:25], v1 offset1:1
	ds_read2_b32 v[22:23], v1 offset0:2 offset1:3
	ds_read2_b32 v[20:21], v1 offset0:4 offset1:5
	ds_read_b32 v34, v1 offset:24
	s_cmp_lg_u32 s2, 0
	v_lshrrev_b32_e32 v61, 6, v0
	s_waitcnt lgkmcnt(2)
	v_and_b32_e32 v53, 0xff, v22
	v_lshrrev_b32_e32 v41, 24, v24
	v_bfe_u32 v59, v24, 16, 8
	v_add_u32_sdwa v18, v24, v24 dst_sel:DWORD dst_unused:UNUSED_PAD src0_sel:BYTE_1 src1_sel:BYTE_0
	v_and_b32_e32 v56, 0xff, v25
	v_bfe_u32 v57, v25, 8, 8
	v_add3_u32 v18, v18, v59, v41
	v_lshrrev_b32_e32 v40, 24, v25
	v_bfe_u32 v58, v25, 16, 8
	v_add3_u32 v18, v18, v56, v57
	v_bfe_u32 v54, v22, 8, 8
	v_add3_u32 v18, v18, v58, v40
	v_lshrrev_b32_e32 v39, 24, v22
	v_bfe_u32 v55, v22, 16, 8
	v_add3_u32 v18, v18, v53, v54
	v_and_b32_e32 v50, 0xff, v23
	v_bfe_u32 v51, v23, 8, 8
	v_add3_u32 v18, v18, v55, v39
	v_lshrrev_b32_e32 v38, 24, v23
	v_bfe_u32 v52, v23, 16, 8
	v_add3_u32 v18, v18, v50, v51
	s_waitcnt lgkmcnt(1)
	v_and_b32_e32 v47, 0xff, v20
	v_bfe_u32 v48, v20, 8, 8
	v_add3_u32 v18, v18, v52, v38
	v_lshrrev_b32_e32 v37, 24, v20
	v_bfe_u32 v49, v20, 16, 8
	v_add3_u32 v18, v18, v47, v48
	v_and_b32_e32 v44, 0xff, v21
	v_bfe_u32 v45, v21, 8, 8
	v_add3_u32 v18, v18, v49, v37
	v_lshrrev_b32_e32 v36, 24, v21
	v_bfe_u32 v46, v21, 16, 8
	v_add3_u32 v18, v18, v44, v45
	s_waitcnt lgkmcnt(0)
	v_and_b32_e32 v42, 0xff, v34
	v_bfe_u32 v43, v34, 8, 8
	v_add3_u32 v18, v18, v46, v36
	v_lshrrev_b32_e32 v15, 24, v34
	v_bfe_u32 v35, v34, 16, 8
	v_add3_u32 v18, v18, v42, v43
	v_add3_u32 v62, v18, v35, v15
	v_mbcnt_lo_u32_b32 v18, -1, 0
	v_mbcnt_hi_u32_b32 v60, -1, v18
	v_and_b32_e32 v18, 15, v60
	v_cmp_eq_u32_e64 s[14:15], 0, v18
	v_cmp_lt_u32_e64 s[12:13], 1, v18
	v_cmp_lt_u32_e64 s[10:11], 3, v18
	;; [unrolled: 1-line block ×3, first 2 shown]
	v_and_b32_e32 v18, 16, v60
	v_cmp_eq_u32_e64 s[6:7], 0, v18
	v_or_b32_e32 v18, 63, v0
	v_cmp_lt_u32_e64 s[18:19], 31, v60
	v_cmp_eq_u32_e64 s[4:5], v18, v0
	s_barrier
	s_cbranch_scc0 .LBB642_147
; %bb.121:
	v_mov_b32_dpp v18, v62 row_shr:1 row_mask:0xf bank_mask:0xf
	v_cndmask_b32_e64 v18, v18, 0, s[14:15]
	v_add_u32_e32 v18, v18, v62
	s_nop 1
	v_mov_b32_dpp v19, v18 row_shr:2 row_mask:0xf bank_mask:0xf
	v_cndmask_b32_e64 v19, 0, v19, s[12:13]
	v_add_u32_e32 v18, v18, v19
	s_nop 1
	;; [unrolled: 4-line block ×4, first 2 shown]
	v_mov_b32_dpp v19, v18 row_bcast:15 row_mask:0xf bank_mask:0xf
	v_cndmask_b32_e64 v19, v19, 0, s[6:7]
	v_add_u32_e32 v18, v18, v19
	s_nop 1
	v_mov_b32_dpp v19, v18 row_bcast:31 row_mask:0xf bank_mask:0xf
	v_cndmask_b32_e64 v19, 0, v19, s[18:19]
	v_add_u32_e32 v18, v18, v19
	s_and_saveexec_b64 s[16:17], s[4:5]
	s_cbranch_execz .LBB642_123
; %bb.122:
	v_lshlrev_b32_e32 v19, 2, v61
	ds_write_b32 v19, v18
.LBB642_123:
	s_or_b64 exec, exec, s[16:17]
	v_cmp_gt_u32_e32 vcc, 8, v0
	s_waitcnt lgkmcnt(0)
	s_barrier
	s_and_saveexec_b64 s[16:17], vcc
	s_cbranch_execz .LBB642_125
; %bb.124:
	v_lshlrev_b32_e32 v19, 2, v0
	ds_read_b32 v26, v19
	v_and_b32_e32 v27, 7, v60
	v_cmp_ne_u32_e32 vcc, 0, v27
	s_waitcnt lgkmcnt(0)
	v_mov_b32_dpp v28, v26 row_shr:1 row_mask:0xf bank_mask:0xf
	v_cndmask_b32_e32 v28, 0, v28, vcc
	v_add_u32_e32 v26, v28, v26
	v_cmp_lt_u32_e32 vcc, 1, v27
	s_nop 0
	v_mov_b32_dpp v28, v26 row_shr:2 row_mask:0xf bank_mask:0xf
	v_cndmask_b32_e32 v28, 0, v28, vcc
	v_add_u32_e32 v26, v26, v28
	v_cmp_lt_u32_e32 vcc, 3, v27
	s_nop 0
	v_mov_b32_dpp v28, v26 row_shr:4 row_mask:0xf bank_mask:0xf
	v_cndmask_b32_e32 v27, 0, v28, vcc
	v_add_u32_e32 v26, v26, v27
	ds_write_b32 v19, v26
.LBB642_125:
	s_or_b64 exec, exec, s[16:17]
	v_cmp_gt_u32_e32 vcc, 64, v0
	v_cmp_lt_u32_e64 s[16:17], 63, v0
	s_waitcnt lgkmcnt(0)
	s_barrier
	s_waitcnt lgkmcnt(0)
                                        ; implicit-def: $vgpr63
	s_and_saveexec_b64 s[36:37], s[16:17]
	s_cbranch_execz .LBB642_127
; %bb.126:
	v_lshl_add_u32 v19, v61, 2, -4
	ds_read_b32 v63, v19
	s_waitcnt lgkmcnt(0)
	v_add_u32_e32 v18, v63, v18
.LBB642_127:
	s_or_b64 exec, exec, s[36:37]
	v_add_u32_e32 v19, -1, v60
	v_and_b32_e32 v26, 64, v60
	v_cmp_lt_i32_e64 s[16:17], v19, v26
	s_nop 1
	v_cndmask_b32_e64 v19, v19, v60, s[16:17]
	v_lshlrev_b32_e32 v19, 2, v19
	ds_bpermute_b32 v64, v19, v18
	v_cmp_eq_u32_e64 s[16:17], 0, v60
	s_and_saveexec_b64 s[36:37], vcc
	s_cbranch_execz .LBB642_146
; %bb.128:
	v_mov_b32_e32 v31, 0
	ds_read_b32 v18, v31 offset:28
	s_and_saveexec_b64 s[38:39], s[16:17]
	s_cbranch_execz .LBB642_130
; %bb.129:
	s_add_i32 s40, s2, 64
	s_mov_b32 s41, 0
	s_lshl_b64 s[40:41], s[40:41], 3
	s_add_u32 s40, s34, s40
	v_mov_b32_e32 v19, 1
	s_addc_u32 s41, s35, s41
	s_waitcnt lgkmcnt(0)
	global_store_dwordx2 v31, v[18:19], s[40:41] sc1
.LBB642_130:
	s_or_b64 exec, exec, s[38:39]
	v_xad_u32 v26, v60, -1, s2
	v_add_u32_e32 v30, 64, v26
	v_lshl_add_u64 v[32:33], v[30:31], 3, s[34:35]
	global_load_dwordx2 v[28:29], v[32:33], off sc1
	s_waitcnt vmcnt(0)
	v_cmp_eq_u16_sdwa s[40:41], v29, v31 src0_sel:BYTE_0 src1_sel:DWORD
	s_and_saveexec_b64 s[38:39], s[40:41]
	s_cbranch_execz .LBB642_134
; %bb.131:
	s_mov_b64 s[40:41], 0
	v_mov_b32_e32 v19, 0
.LBB642_132:                            ; =>This Inner Loop Header: Depth=1
	global_load_dwordx2 v[28:29], v[32:33], off sc1
	s_waitcnt vmcnt(0)
	v_cmp_ne_u16_sdwa s[42:43], v29, v19 src0_sel:BYTE_0 src1_sel:DWORD
	s_or_b64 s[40:41], s[42:43], s[40:41]
	s_andn2_b64 exec, exec, s[40:41]
	s_cbranch_execnz .LBB642_132
; %bb.133:
	s_or_b64 exec, exec, s[40:41]
.LBB642_134:
	s_or_b64 exec, exec, s[38:39]
	v_and_b32_e32 v66, 63, v60
	v_mov_b32_e32 v65, 2
	v_cmp_ne_u32_e32 vcc, 63, v66
	v_cmp_eq_u16_sdwa s[38:39], v29, v65 src0_sel:BYTE_0 src1_sel:DWORD
	v_lshlrev_b64 v[30:31], v60, -1
	v_addc_co_u32_e32 v32, vcc, 0, v60, vcc
	v_and_b32_e32 v19, s39, v31
	v_lshlrev_b32_e32 v67, 2, v32
	v_or_b32_e32 v19, 0x80000000, v19
	ds_bpermute_b32 v32, v67, v28
	v_and_b32_e32 v27, s38, v30
	v_ffbl_b32_e32 v19, v19
	v_add_u32_e32 v19, 32, v19
	v_ffbl_b32_e32 v27, v27
	v_min_u32_e32 v19, v27, v19
	v_cmp_lt_u32_e32 vcc, v66, v19
	v_add_u32_e32 v69, 2, v66
	v_add_u32_e32 v71, 4, v66
	s_waitcnt lgkmcnt(0)
	v_cndmask_b32_e32 v27, 0, v32, vcc
	v_cmp_gt_u32_e32 vcc, 62, v66
	v_add_u32_e32 v27, v27, v28
	v_add_u32_e32 v73, 8, v66
	v_cndmask_b32_e64 v28, 0, 1, vcc
	v_lshlrev_b32_e32 v28, 1, v28
	v_add_lshl_u32 v68, v28, v60, 2
	ds_bpermute_b32 v28, v68, v27
	v_cmp_le_u32_e32 vcc, v69, v19
	v_add_u32_e32 v75, 16, v66
	v_add_u32_e32 v77, 32, v66
	s_waitcnt lgkmcnt(0)
	v_cndmask_b32_e32 v28, 0, v28, vcc
	v_cmp_gt_u32_e32 vcc, 60, v66
	v_add_u32_e32 v27, v27, v28
	s_nop 0
	v_cndmask_b32_e64 v28, 0, 1, vcc
	v_lshlrev_b32_e32 v28, 2, v28
	v_add_lshl_u32 v70, v28, v60, 2
	ds_bpermute_b32 v28, v70, v27
	v_cmp_le_u32_e32 vcc, v71, v19
	s_waitcnt lgkmcnt(0)
	s_nop 0
	v_cndmask_b32_e32 v28, 0, v28, vcc
	v_cmp_gt_u32_e32 vcc, 56, v66
	v_add_u32_e32 v27, v27, v28
	s_nop 0
	v_cndmask_b32_e64 v28, 0, 1, vcc
	v_lshlrev_b32_e32 v28, 3, v28
	v_add_lshl_u32 v72, v28, v60, 2
	ds_bpermute_b32 v28, v72, v27
	v_cmp_le_u32_e32 vcc, v73, v19
	s_waitcnt lgkmcnt(0)
	s_nop 0
	;; [unrolled: 11-line block ×4, first 2 shown]
	v_cndmask_b32_e32 v19, 0, v28, vcc
	v_add_u32_e32 v28, v27, v19
	v_mov_b32_e32 v27, 0
	s_branch .LBB642_136
.LBB642_135:                            ;   in Loop: Header=BB642_136 Depth=1
	s_or_b64 exec, exec, s[38:39]
	v_cmp_eq_u16_sdwa s[38:39], v29, v65 src0_sel:BYTE_0 src1_sel:DWORD
	ds_bpermute_b32 v78, v67, v28
	v_subrev_u32_e32 v26, 64, v26
	v_and_b32_e32 v32, s39, v31
	v_or_b32_e32 v32, 0x80000000, v32
	v_and_b32_e32 v33, s38, v30
	v_ffbl_b32_e32 v32, v32
	v_add_u32_e32 v32, 32, v32
	v_ffbl_b32_e32 v33, v33
	v_min_u32_e32 v32, v33, v32
	v_cmp_lt_u32_e32 vcc, v66, v32
	s_waitcnt lgkmcnt(0)
	s_nop 0
	v_cndmask_b32_e32 v33, 0, v78, vcc
	v_add_u32_e32 v28, v33, v28
	ds_bpermute_b32 v33, v68, v28
	v_cmp_le_u32_e32 vcc, v69, v32
	s_waitcnt lgkmcnt(0)
	s_nop 0
	v_cndmask_b32_e32 v33, 0, v33, vcc
	v_add_u32_e32 v28, v28, v33
	ds_bpermute_b32 v33, v70, v28
	v_cmp_le_u32_e32 vcc, v71, v32
	;; [unrolled: 6-line block ×5, first 2 shown]
	s_waitcnt lgkmcnt(0)
	s_nop 0
	v_cndmask_b32_e32 v32, 0, v33, vcc
	v_add3_u32 v28, v32, v19, v28
.LBB642_136:                            ; =>This Loop Header: Depth=1
                                        ;     Child Loop BB642_139 Depth 2
	v_cmp_ne_u16_sdwa s[38:39], v29, v65 src0_sel:BYTE_0 src1_sel:DWORD
	s_nop 1
	v_cndmask_b32_e64 v19, 0, 1, s[38:39]
	;;#ASMSTART
	;;#ASMEND
	s_nop 0
	v_cmp_ne_u32_e32 vcc, 0, v19
	s_cmp_lg_u64 vcc, exec
	v_mov_b32_e32 v19, v28
	s_cbranch_scc1 .LBB642_141
; %bb.137:                              ;   in Loop: Header=BB642_136 Depth=1
	v_lshl_add_u64 v[32:33], v[26:27], 3, s[34:35]
	global_load_dwordx2 v[28:29], v[32:33], off sc1
	s_waitcnt vmcnt(0)
	v_cmp_eq_u16_sdwa s[40:41], v29, v27 src0_sel:BYTE_0 src1_sel:DWORD
	s_and_saveexec_b64 s[38:39], s[40:41]
	s_cbranch_execz .LBB642_135
; %bb.138:                              ;   in Loop: Header=BB642_136 Depth=1
	s_mov_b64 s[40:41], 0
.LBB642_139:                            ;   Parent Loop BB642_136 Depth=1
                                        ; =>  This Inner Loop Header: Depth=2
	global_load_dwordx2 v[28:29], v[32:33], off sc1
	s_waitcnt vmcnt(0)
	v_cmp_ne_u16_sdwa s[42:43], v29, v27 src0_sel:BYTE_0 src1_sel:DWORD
	s_or_b64 s[40:41], s[42:43], s[40:41]
	s_andn2_b64 exec, exec, s[40:41]
	s_cbranch_execnz .LBB642_139
; %bb.140:                              ;   in Loop: Header=BB642_136 Depth=1
	s_or_b64 exec, exec, s[40:41]
	s_branch .LBB642_135
.LBB642_141:                            ;   in Loop: Header=BB642_136 Depth=1
                                        ; implicit-def: $vgpr28
                                        ; implicit-def: $vgpr29
	s_cbranch_execz .LBB642_136
; %bb.142:
	s_and_saveexec_b64 s[38:39], s[16:17]
	s_cbranch_execz .LBB642_144
; %bb.143:
	s_add_i32 s2, s2, 64
	s_mov_b32 s3, 0
	s_lshl_b64 s[2:3], s[2:3], 3
	s_add_u32 s2, s34, s2
	v_add_u32_e32 v26, v19, v18
	v_mov_b32_e32 v27, 2
	s_addc_u32 s3, s35, s3
	v_mov_b32_e32 v28, 0
	global_store_dwordx2 v28, v[26:27], s[2:3] sc1
	ds_write_b64 v28, v[18:19] offset:28672
.LBB642_144:
	s_or_b64 exec, exec, s[38:39]
	v_cmp_eq_u32_e32 vcc, 0, v0
	s_and_b64 exec, exec, vcc
	s_cbranch_execz .LBB642_146
; %bb.145:
	v_mov_b32_e32 v18, 0
	ds_write_b32 v18, v19 offset:28
.LBB642_146:
	s_or_b64 exec, exec, s[36:37]
	v_mov_b32_e32 v18, 0
	s_waitcnt lgkmcnt(0)
	s_barrier
	ds_read_b32 v27, v18 offset:28
	s_waitcnt lgkmcnt(0)
	s_barrier
	ds_read_b64 v[18:19], v18 offset:28672
	v_cndmask_b32_e64 v26, v64, v63, s[16:17]
	v_cmp_ne_u32_e32 vcc, 0, v0
	s_nop 1
	v_cndmask_b32_e32 v26, 0, v26, vcc
	v_add_u32_e32 v32, v27, v26
	s_waitcnt lgkmcnt(0)
	v_mov_b32_e32 v26, v19
	s_branch .LBB642_157
.LBB642_147:
                                        ; implicit-def: $vgpr26
                                        ; implicit-def: $vgpr18
                                        ; implicit-def: $vgpr32
	s_cbranch_execz .LBB642_157
; %bb.148:
	s_nop 0
	v_mov_b32_dpp v18, v62 row_shr:1 row_mask:0xf bank_mask:0xf
	v_cndmask_b32_e64 v18, v18, 0, s[14:15]
	v_add_u32_e32 v18, v18, v62
	s_nop 1
	v_mov_b32_dpp v19, v18 row_shr:2 row_mask:0xf bank_mask:0xf
	v_cndmask_b32_e64 v19, 0, v19, s[12:13]
	v_add_u32_e32 v18, v18, v19
	;; [unrolled: 4-line block ×4, first 2 shown]
	s_nop 1
	v_mov_b32_dpp v19, v18 row_bcast:15 row_mask:0xf bank_mask:0xf
	v_cndmask_b32_e64 v19, v19, 0, s[6:7]
	v_add_u32_e32 v18, v18, v19
	s_nop 1
	v_mov_b32_dpp v19, v18 row_bcast:31 row_mask:0xf bank_mask:0xf
	v_cndmask_b32_e64 v19, 0, v19, s[18:19]
	v_add_u32_e32 v18, v18, v19
	s_and_saveexec_b64 s[2:3], s[4:5]
	s_cbranch_execz .LBB642_150
; %bb.149:
	v_lshlrev_b32_e32 v19, 2, v61
	ds_write_b32 v19, v18
.LBB642_150:
	s_or_b64 exec, exec, s[2:3]
	v_cmp_gt_u32_e32 vcc, 8, v0
	s_waitcnt lgkmcnt(0)
	s_barrier
	s_and_saveexec_b64 s[2:3], vcc
	s_cbranch_execz .LBB642_152
; %bb.151:
	v_lshlrev_b32_e32 v19, 2, v0
	ds_read_b32 v26, v19
	v_and_b32_e32 v27, 7, v60
	v_cmp_ne_u32_e32 vcc, 0, v27
	s_waitcnt lgkmcnt(0)
	v_mov_b32_dpp v28, v26 row_shr:1 row_mask:0xf bank_mask:0xf
	v_cndmask_b32_e32 v28, 0, v28, vcc
	v_add_u32_e32 v26, v28, v26
	v_cmp_lt_u32_e32 vcc, 1, v27
	s_nop 0
	v_mov_b32_dpp v28, v26 row_shr:2 row_mask:0xf bank_mask:0xf
	v_cndmask_b32_e32 v28, 0, v28, vcc
	v_add_u32_e32 v26, v26, v28
	v_cmp_lt_u32_e32 vcc, 3, v27
	s_nop 0
	v_mov_b32_dpp v28, v26 row_shr:4 row_mask:0xf bank_mask:0xf
	v_cndmask_b32_e32 v27, 0, v28, vcc
	v_add_u32_e32 v26, v26, v27
	ds_write_b32 v19, v26
.LBB642_152:
	s_or_b64 exec, exec, s[2:3]
	v_cmp_lt_u32_e32 vcc, 63, v0
	v_mov_b32_e32 v19, 0
	v_mov_b32_e32 v26, 0
	s_waitcnt lgkmcnt(0)
	s_barrier
	s_and_saveexec_b64 s[2:3], vcc
	s_cbranch_execz .LBB642_154
; %bb.153:
	v_lshl_add_u32 v26, v61, 2, -4
	ds_read_b32 v26, v26
.LBB642_154:
	s_or_b64 exec, exec, s[2:3]
	v_add_u32_e32 v27, -1, v60
	v_and_b32_e32 v28, 64, v60
	v_cmp_lt_i32_e32 vcc, v27, v28
	s_waitcnt lgkmcnt(0)
	v_add_u32_e32 v18, v26, v18
	v_cndmask_b32_e32 v27, v27, v60, vcc
	v_lshlrev_b32_e32 v27, 2, v27
	ds_bpermute_b32 v27, v27, v18
	ds_read_b32 v18, v19 offset:28
	v_cmp_eq_u32_e32 vcc, 0, v0
	s_and_saveexec_b64 s[2:3], vcc
	s_cbranch_execz .LBB642_156
; %bb.155:
	v_mov_b32_e32 v28, 0
	v_mov_b32_e32 v19, 2
	s_waitcnt lgkmcnt(0)
	global_store_dwordx2 v28, v[18:19], s[34:35] offset:512 sc1
.LBB642_156:
	s_or_b64 exec, exec, s[2:3]
	v_cmp_eq_u32_e64 s[2:3], 0, v60
	s_waitcnt lgkmcnt(0)
	s_barrier
	v_cndmask_b32_e64 v19, v27, v26, s[2:3]
	v_mov_b32_e32 v26, 0
	v_cndmask_b32_e64 v32, v19, 0, vcc
.LBB642_157:
	v_add_u32_sdwa v60, v32, v24 dst_sel:DWORD dst_unused:UNUSED_PAD src0_sel:DWORD src1_sel:BYTE_0
	v_add_u32_e32 v1, v18, v1
	v_sub_u32_e32 v32, v32, v26
	v_and_b32_e32 v69, 1, v24
	v_sub_u32_e32 v68, v1, v32
	v_cmp_eq_u32_e32 vcc, 1, v69
	v_lshrrev_b32_e32 v33, 8, v24
	v_add_u32_sdwa v61, v60, v24 dst_sel:DWORD dst_unused:UNUSED_PAD src0_sel:DWORD src1_sel:BYTE_1
	v_cndmask_b32_e32 v32, v68, v32, vcc
	v_lshlrev_b32_e32 v32, 1, v32
	ds_write_b16 v32, v10
	v_sub_u32_e32 v32, v60, v26
	v_sub_u32_e32 v60, v1, v32
	v_and_b32_e32 v33, 1, v33
	v_add_u32_e32 v60, 1, v60
	v_cmp_eq_u32_e32 vcc, 1, v33
	v_mov_b32_e32 v33, 1
	v_and_b32_sdwa v24, v33, v24 dst_sel:DWORD dst_unused:UNUSED_PAD src0_sel:DWORD src1_sel:WORD_1
	v_cndmask_b32_e32 v32, v60, v32, vcc
	v_lshlrev_b32_e32 v32, 1, v32
	ds_write_b16_d16_hi v32, v10
	v_sub_u32_e32 v10, v61, v26
	v_sub_u32_e32 v32, v1, v10
	v_add_u32_e32 v32, 2, v32
	v_cmp_eq_u32_e32 vcc, 1, v24
	v_add_u32_e32 v59, v61, v59
	v_add_u32_e32 v62, v59, v41
	v_cndmask_b32_e32 v10, v32, v10, vcc
	v_lshlrev_b32_e32 v10, 1, v10
	ds_write_b16 v10, v11
	v_sub_u32_e32 v10, v59, v26
	v_sub_u32_e32 v24, v1, v10
	v_and_b32_e32 v32, 1, v41
	v_add_u32_e32 v24, 3, v24
	v_cmp_eq_u32_e32 vcc, 1, v32
	v_add_u32_e32 v56, v62, v56
	v_lshrrev_b32_e32 v31, 8, v25
	v_cndmask_b32_e32 v10, v24, v10, vcc
	v_lshlrev_b32_e32 v10, 1, v10
	ds_write_b16_d16_hi v10, v11
	v_sub_u32_e32 v10, v62, v26
	v_sub_u32_e32 v11, v1, v10
	v_and_b32_e32 v24, 1, v25
	v_add_u32_e32 v11, 4, v11
	v_cmp_eq_u32_e32 vcc, 1, v24
	v_and_b32_e32 v24, 1, v31
	v_add_u32_e32 v57, v56, v57
	v_cndmask_b32_e32 v10, v11, v10, vcc
	v_lshlrev_b32_e32 v10, 1, v10
	ds_write_b16 v10, v12
	v_sub_u32_e32 v10, v56, v26
	v_sub_u32_e32 v11, v1, v10
	v_add_u32_e32 v11, 5, v11
	v_cmp_eq_u32_e32 vcc, 1, v24
	v_add_u32_e32 v58, v57, v58
	v_add_u32_e32 v63, v58, v40
	v_cndmask_b32_e32 v10, v11, v10, vcc
	v_lshlrev_b32_e32 v10, 1, v10
	ds_write_b16_d16_hi v10, v12
	v_sub_u32_e32 v10, v57, v26
	v_sub_u32_e32 v11, v1, v10
	v_and_b32_sdwa v12, v33, v25 dst_sel:DWORD dst_unused:UNUSED_PAD src0_sel:DWORD src1_sel:WORD_1
	v_add_u32_e32 v11, 6, v11
	v_cmp_eq_u32_e32 vcc, 1, v12
	v_and_b32_e32 v12, 1, v40
	v_add_u32_e32 v53, v63, v53
	v_cndmask_b32_e32 v10, v11, v10, vcc
	v_lshlrev_b32_e32 v10, 1, v10
	ds_write_b16 v10, v13
	v_sub_u32_e32 v10, v58, v26
	v_sub_u32_e32 v11, v1, v10
	v_add_u32_e32 v11, 7, v11
	v_cmp_eq_u32_e32 vcc, 1, v12
	v_and_b32_e32 v12, 1, v22
	v_lshrrev_b32_e32 v30, 8, v22
	v_cndmask_b32_e32 v10, v11, v10, vcc
	v_lshlrev_b32_e32 v10, 1, v10
	ds_write_b16_d16_hi v10, v13
	v_sub_u32_e32 v10, v63, v26
	v_sub_u32_e32 v11, v1, v10
	v_add_u32_e32 v11, 8, v11
	v_cmp_eq_u32_e32 vcc, 1, v12
	v_and_b32_e32 v12, 1, v30
	v_add_u32_e32 v54, v53, v54
	v_cndmask_b32_e32 v10, v11, v10, vcc
	v_lshlrev_b32_e32 v10, 1, v10
	ds_write_b16 v10, v6
	v_sub_u32_e32 v10, v53, v26
	v_sub_u32_e32 v11, v1, v10
	v_add_u32_e32 v11, 9, v11
	v_cmp_eq_u32_e32 vcc, 1, v12
	v_add_u32_e32 v55, v54, v55
	v_add_u32_e32 v64, v55, v39
	v_cndmask_b32_e32 v10, v11, v10, vcc
	v_lshlrev_b32_e32 v10, 1, v10
	ds_write_b16_d16_hi v10, v6
	v_sub_u32_e32 v6, v54, v26
	v_sub_u32_e32 v10, v1, v6
	v_and_b32_sdwa v11, v33, v22 dst_sel:DWORD dst_unused:UNUSED_PAD src0_sel:DWORD src1_sel:WORD_1
	v_add_u32_e32 v10, 10, v10
	v_cmp_eq_u32_e32 vcc, 1, v11
	v_and_b32_e32 v11, 1, v39
	v_add_u32_e32 v50, v64, v50
	v_cndmask_b32_e32 v6, v10, v6, vcc
	v_lshlrev_b32_e32 v6, 1, v6
	ds_write_b16 v6, v7
	v_sub_u32_e32 v6, v55, v26
	v_sub_u32_e32 v10, v1, v6
	v_add_u32_e32 v10, 11, v10
	v_cmp_eq_u32_e32 vcc, 1, v11
	v_lshrrev_b32_e32 v29, 8, v23
	v_add_u32_e32 v51, v50, v51
	v_cndmask_b32_e32 v6, v10, v6, vcc
	v_lshlrev_b32_e32 v6, 1, v6
	ds_write_b16_d16_hi v6, v7
	v_sub_u32_e32 v6, v64, v26
	v_sub_u32_e32 v7, v1, v6
	v_and_b32_e32 v10, 1, v23
	v_add_u32_e32 v7, 12, v7
	v_cmp_eq_u32_e32 vcc, 1, v10
	v_and_b32_e32 v10, 1, v29
	v_add_u32_e32 v52, v51, v52
	v_cndmask_b32_e32 v6, v7, v6, vcc
	v_lshlrev_b32_e32 v6, 1, v6
	ds_write_b16 v6, v8
	v_sub_u32_e32 v6, v50, v26
	v_sub_u32_e32 v7, v1, v6
	v_add_u32_e32 v7, 13, v7
	v_cmp_eq_u32_e32 vcc, 1, v10
	v_add_u32_e32 v65, v52, v38
	v_add_u32_e32 v47, v65, v47
	v_cndmask_b32_e32 v6, v7, v6, vcc
	v_lshlrev_b32_e32 v6, 1, v6
	ds_write_b16_d16_hi v6, v8
	v_sub_u32_e32 v6, v51, v26
	v_sub_u32_e32 v7, v1, v6
	v_and_b32_sdwa v8, v33, v23 dst_sel:DWORD dst_unused:UNUSED_PAD src0_sel:DWORD src1_sel:WORD_1
	v_add_u32_e32 v7, 14, v7
	v_cmp_eq_u32_e32 vcc, 1, v8
	v_and_b32_e32 v8, 1, v38
	v_lshrrev_b32_e32 v28, 8, v20
	v_cndmask_b32_e32 v6, v7, v6, vcc
	v_lshlrev_b32_e32 v6, 1, v6
	ds_write_b16 v6, v9
	v_sub_u32_e32 v6, v52, v26
	v_sub_u32_e32 v7, v1, v6
	v_add_u32_e32 v7, 15, v7
	v_cmp_eq_u32_e32 vcc, 1, v8
	v_and_b32_e32 v8, 1, v20
	v_add_u32_e32 v48, v47, v48
	v_cndmask_b32_e32 v6, v7, v6, vcc
	v_lshlrev_b32_e32 v6, 1, v6
	ds_write_b16_d16_hi v6, v9
	v_sub_u32_e32 v6, v65, v26
	v_sub_u32_e32 v7, v1, v6
	v_add_u32_e32 v7, 16, v7
	v_cmp_eq_u32_e32 vcc, 1, v8
	v_and_b32_e32 v8, 1, v28
	v_add_u32_e32 v49, v48, v49
	v_cndmask_b32_e32 v6, v7, v6, vcc
	v_lshlrev_b32_e32 v6, 1, v6
	ds_write_b16 v6, v2
	v_sub_u32_e32 v6, v47, v26
	v_sub_u32_e32 v7, v1, v6
	v_add_u32_e32 v7, 17, v7
	v_cmp_eq_u32_e32 vcc, 1, v8
	v_add_u32_e32 v66, v49, v37
	v_add_u32_e32 v44, v66, v44
	v_cndmask_b32_e32 v6, v7, v6, vcc
	v_lshlrev_b32_e32 v6, 1, v6
	ds_write_b16_d16_hi v6, v2
	v_sub_u32_e32 v2, v48, v26
	v_sub_u32_e32 v6, v1, v2
	v_and_b32_sdwa v7, v33, v20 dst_sel:DWORD dst_unused:UNUSED_PAD src0_sel:DWORD src1_sel:WORD_1
	v_add_u32_e32 v6, 18, v6
	v_cmp_eq_u32_e32 vcc, 1, v7
	v_and_b32_e32 v7, 1, v37
	v_lshrrev_b32_e32 v27, 8, v21
	v_cndmask_b32_e32 v2, v6, v2, vcc
	v_lshlrev_b32_e32 v2, 1, v2
	ds_write_b16 v2, v3
	v_sub_u32_e32 v2, v49, v26
	v_sub_u32_e32 v6, v1, v2
	v_add_u32_e32 v6, 19, v6
	v_cmp_eq_u32_e32 vcc, 1, v7
	v_add_u32_e32 v45, v44, v45
	v_add_u32_e32 v46, v45, v46
	v_cndmask_b32_e32 v2, v6, v2, vcc
	v_lshlrev_b32_e32 v2, 1, v2
	ds_write_b16_d16_hi v2, v3
	v_sub_u32_e32 v2, v66, v26
	v_sub_u32_e32 v3, v1, v2
	v_and_b32_e32 v6, 1, v21
	v_add_u32_e32 v3, 20, v3
	v_cmp_eq_u32_e32 vcc, 1, v6
	v_and_b32_e32 v6, 1, v27
	v_add_u32_e32 v67, v46, v36
	v_cndmask_b32_e32 v2, v3, v2, vcc
	v_lshlrev_b32_e32 v2, 1, v2
	ds_write_b16 v2, v4
	v_sub_u32_e32 v2, v44, v26
	v_sub_u32_e32 v3, v1, v2
	v_add_u32_e32 v3, 21, v3
	v_cmp_eq_u32_e32 vcc, 1, v6
	v_add_u32_e32 v42, v67, v42
	v_lshrrev_b32_e32 v19, 8, v34
	v_cndmask_b32_e32 v2, v3, v2, vcc
	v_lshlrev_b32_e32 v2, 1, v2
	ds_write_b16_d16_hi v2, v4
	v_sub_u32_e32 v2, v45, v26
	v_sub_u32_e32 v3, v1, v2
	v_and_b32_sdwa v4, v33, v21 dst_sel:DWORD dst_unused:UNUSED_PAD src0_sel:DWORD src1_sel:WORD_1
	v_add_u32_e32 v3, 22, v3
	v_cmp_eq_u32_e32 vcc, 1, v4
	v_and_b32_e32 v4, 1, v36
	v_add_u32_e32 v43, v42, v43
	v_cndmask_b32_e32 v2, v3, v2, vcc
	v_lshlrev_b32_e32 v2, 1, v2
	ds_write_b16 v2, v5
	v_sub_u32_e32 v2, v46, v26
	v_sub_u32_e32 v3, v1, v2
	v_add_u32_e32 v3, 23, v3
	v_cmp_eq_u32_e32 vcc, 1, v4
	v_and_b32_e32 v4, 1, v34
	v_mov_b32_e32 v27, 0
	v_cndmask_b32_e32 v2, v3, v2, vcc
	v_lshlrev_b32_e32 v2, 1, v2
	ds_write_b16_d16_hi v2, v5
	v_sub_u32_e32 v2, v67, v26
	v_sub_u32_e32 v3, v1, v2
	v_add_u32_e32 v3, 24, v3
	v_cmp_eq_u32_e32 vcc, 1, v4
	v_and_b32_e32 v4, 1, v19
	s_load_dwordx4 s[0:3], s[0:1], 0x30
	v_cndmask_b32_e32 v2, v3, v2, vcc
	v_lshlrev_b32_e32 v2, 1, v2
	ds_write_b16 v2, v16
	v_sub_u32_e32 v2, v42, v26
	v_sub_u32_e32 v3, v1, v2
	v_add_u32_e32 v3, 25, v3
	v_cmp_eq_u32_e32 vcc, 1, v4
	v_and_b32_sdwa v4, v33, v34 dst_sel:DWORD dst_unused:UNUSED_PAD src0_sel:DWORD src1_sel:WORD_1
	v_lshl_add_u64 v[6:7], s[28:29], 0, v[26:27]
	v_cndmask_b32_e32 v2, v3, v2, vcc
	v_lshlrev_b32_e32 v2, 1, v2
	ds_write_b16_d16_hi v2, v16
	v_sub_u32_e32 v2, v43, v26
	v_sub_u32_e32 v3, v1, v2
	v_add_u32_e32 v3, 26, v3
	v_cmp_eq_u32_e32 vcc, 1, v4
	v_mov_b32_e32 v19, v27
	v_mov_b32_e32 v5, s27
	v_cndmask_b32_e32 v2, v3, v2, vcc
	v_lshlrev_b32_e32 v2, 1, v2
	ds_write_b16 v2, v17
	v_sub_u32_e32 v2, v35, v26
	v_add_u32_e32 v2, v43, v2
	v_sub_u32_e32 v1, v1, v2
	v_and_b32_e32 v3, 1, v15
	v_add_u32_e32 v1, 27, v1
	v_cmp_eq_u32_e32 vcc, 1, v3
	v_or_b32_e32 v65, 0x200, v0
	v_or_b32_e32 v63, 0x400, v0
	v_cndmask_b32_e32 v1, v1, v2, vcc
	v_lshlrev_b32_e32 v1, 1, v1
	ds_write_b16_d16_hi v1, v17
	s_waitcnt lgkmcnt(0)
	s_barrier
	ds_read_u16 v67, v14
	ds_read_u16 v66, v14 offset:1024
	ds_read_u16 v64, v14 offset:2048
	;; [unrolled: 1-line block ×27, first 2 shown]
	v_lshl_add_u64 v[2:3], v[6:7], 0, v[18:19]
	v_sub_co_u32_e32 v4, vcc, s26, v2
	v_lshlrev_b64 v[6:7], 1, v[6:7]
	s_nop 0
	v_subb_co_u32_e32 v5, vcc, v5, v3, vcc
	v_lshlrev_b64 v[4:5], 1, v[4:5]
	v_lshl_add_u64 v[4:5], s[2:3], 0, v[4:5]
	v_or_b32_e32 v61, 0x600, v0
	v_or_b32_e32 v59, 0x800, v0
	;; [unrolled: 1-line block ×25, first 2 shown]
	v_lshl_add_u64 v[4:5], v[4:5], 0, s[30:31]
	s_andn2_b64 vcc, exec, s[24:25]
	v_lshl_add_u64 v[6:7], s[0:1], 0, v[6:7]
	s_cbranch_vccnz .LBB642_159
; %bb.158:
	v_cmp_lt_u32_e32 vcc, v0, v18
	v_mov_b32_e32 v15, v27
	v_lshlrev_b32_e32 v26, 1, v59
	v_cndmask_b32_e32 v69, v5, v7, vcc
	v_cndmask_b32_e32 v68, v4, v6, vcc
	v_lshl_add_u64 v[68:69], v[68:69], 0, v[14:15]
	v_cmp_lt_u32_e32 vcc, v65, v18
	s_waitcnt lgkmcnt(14)
	global_store_short v[68:69], v67, off
	v_cndmask_b32_e32 v69, v5, v7, vcc
	v_cndmask_b32_e32 v68, v4, v6, vcc
	v_lshl_add_u64 v[68:69], v[68:69], 0, v[14:15]
	v_cmp_lt_u32_e32 vcc, v63, v18
	global_store_short v[68:69], v66, off offset:1024
	s_mov_b64 s[0:1], -1
	v_cndmask_b32_e32 v69, v5, v7, vcc
	v_cndmask_b32_e32 v68, v4, v6, vcc
	v_lshl_add_u64 v[68:69], v[68:69], 0, v[14:15]
	v_cmp_lt_u32_e32 vcc, v61, v18
	global_store_short v[68:69], v64, off offset:2048
	s_nop 0
	v_cndmask_b32_e32 v69, v5, v7, vcc
	v_cndmask_b32_e32 v68, v4, v6, vcc
	v_lshl_add_u64 v[68:69], v[68:69], 0, v[14:15]
	v_cmp_lt_u32_e32 vcc, v59, v18
	global_store_short v[68:69], v62, off offset:3072
	s_nop 0
	v_cndmask_b32_e32 v69, v5, v7, vcc
	v_cndmask_b32_e32 v68, v4, v6, vcc
	v_lshl_add_u64 v[68:69], v[68:69], 0, v[26:27]
	v_cmp_lt_u32_e32 vcc, v57, v18
	global_store_short v[68:69], v60, off
	v_lshlrev_b32_e32 v26, 1, v57
	v_cndmask_b32_e32 v69, v5, v7, vcc
	v_cndmask_b32_e32 v68, v4, v6, vcc
	v_lshl_add_u64 v[68:69], v[68:69], 0, v[26:27]
	v_cmp_lt_u32_e32 vcc, v55, v18
	global_store_short v[68:69], v58, off
	v_lshlrev_b32_e32 v26, 1, v55
	v_cndmask_b32_e32 v69, v5, v7, vcc
	v_cndmask_b32_e32 v68, v4, v6, vcc
	v_lshl_add_u64 v[68:69], v[68:69], 0, v[26:27]
	v_cmp_lt_u32_e32 vcc, v53, v18
	global_store_short v[68:69], v56, off
	v_lshlrev_b32_e32 v26, 1, v53
	v_cndmask_b32_e32 v69, v5, v7, vcc
	v_cndmask_b32_e32 v68, v4, v6, vcc
	v_lshl_add_u64 v[68:69], v[68:69], 0, v[26:27]
	v_cmp_lt_u32_e32 vcc, v51, v18
	global_store_short v[68:69], v54, off
	v_lshlrev_b32_e32 v26, 1, v51
	v_cndmask_b32_e32 v69, v5, v7, vcc
	v_cndmask_b32_e32 v68, v4, v6, vcc
	v_lshl_add_u64 v[68:69], v[68:69], 0, v[26:27]
	v_cmp_lt_u32_e32 vcc, v49, v18
	global_store_short v[68:69], v52, off
	v_lshlrev_b32_e32 v26, 1, v49
	v_cndmask_b32_e32 v69, v5, v7, vcc
	v_cndmask_b32_e32 v68, v4, v6, vcc
	v_lshl_add_u64 v[68:69], v[68:69], 0, v[26:27]
	v_cmp_lt_u32_e32 vcc, v47, v18
	global_store_short v[68:69], v50, off
	v_lshlrev_b32_e32 v26, 1, v47
	v_cndmask_b32_e32 v69, v5, v7, vcc
	v_cndmask_b32_e32 v68, v4, v6, vcc
	v_lshl_add_u64 v[68:69], v[68:69], 0, v[26:27]
	v_cmp_lt_u32_e32 vcc, v45, v18
	global_store_short v[68:69], v48, off
	v_lshlrev_b32_e32 v26, 1, v45
	v_cndmask_b32_e32 v69, v5, v7, vcc
	v_cndmask_b32_e32 v68, v4, v6, vcc
	v_lshl_add_u64 v[68:69], v[68:69], 0, v[26:27]
	v_cmp_lt_u32_e32 vcc, v43, v18
	global_store_short v[68:69], v46, off
	v_lshlrev_b32_e32 v26, 1, v43
	v_cndmask_b32_e32 v69, v5, v7, vcc
	v_cndmask_b32_e32 v68, v4, v6, vcc
	v_lshl_add_u64 v[68:69], v[68:69], 0, v[26:27]
	v_cmp_lt_u32_e32 vcc, v41, v18
	global_store_short v[68:69], v44, off
	v_lshlrev_b32_e32 v26, 1, v41
	v_cndmask_b32_e32 v69, v5, v7, vcc
	v_cndmask_b32_e32 v68, v4, v6, vcc
	v_lshl_add_u64 v[68:69], v[68:69], 0, v[26:27]
	v_cmp_lt_u32_e32 vcc, v39, v18
	global_store_short v[68:69], v42, off
	v_lshlrev_b32_e32 v26, 1, v39
	v_cndmask_b32_e32 v69, v5, v7, vcc
	v_cndmask_b32_e32 v68, v4, v6, vcc
	v_lshl_add_u64 v[68:69], v[68:69], 0, v[26:27]
	v_cmp_lt_u32_e32 vcc, v37, v18
	s_waitcnt lgkmcnt(13)
	global_store_short v[68:69], v40, off
	v_lshlrev_b32_e32 v26, 1, v37
	v_cndmask_b32_e32 v69, v5, v7, vcc
	v_cndmask_b32_e32 v68, v4, v6, vcc
	v_lshl_add_u64 v[68:69], v[68:69], 0, v[26:27]
	v_cmp_lt_u32_e32 vcc, v35, v18
	s_waitcnt lgkmcnt(12)
	global_store_short v[68:69], v38, off
	v_lshlrev_b32_e32 v26, 1, v35
	;; [unrolled: 7-line block ×12, first 2 shown]
	v_cndmask_b32_e32 v69, v5, v7, vcc
	v_cndmask_b32_e32 v68, v4, v6, vcc
	v_lshl_add_u64 v[26:27], v[68:69], 0, v[26:27]
	s_waitcnt lgkmcnt(1)
	global_store_short v[26:27], v9, off
	s_cbranch_execz .LBB642_160
	s_branch .LBB642_189
.LBB642_159:
	s_mov_b64 s[0:1], 0
.LBB642_160:
	v_cmp_gt_u32_e32 vcc, s33, v0
	s_and_saveexec_b64 s[0:1], vcc
	s_cbranch_execnz .LBB642_194
; %bb.161:
	s_or_b64 exec, exec, s[0:1]
	v_cmp_gt_u32_e32 vcc, s33, v65
	s_and_saveexec_b64 s[0:1], vcc
	s_cbranch_execnz .LBB642_195
.LBB642_162:
	s_or_b64 exec, exec, s[0:1]
	v_cmp_gt_u32_e32 vcc, s33, v63
	s_and_saveexec_b64 s[0:1], vcc
	s_cbranch_execnz .LBB642_196
.LBB642_163:
	s_or_b64 exec, exec, s[0:1]
	v_cmp_gt_u32_e32 vcc, s33, v61
	s_and_saveexec_b64 s[0:1], vcc
	s_cbranch_execnz .LBB642_197
.LBB642_164:
	s_or_b64 exec, exec, s[0:1]
	v_cmp_gt_u32_e32 vcc, s33, v59
	s_and_saveexec_b64 s[0:1], vcc
	s_cbranch_execnz .LBB642_198
.LBB642_165:
	s_or_b64 exec, exec, s[0:1]
	v_cmp_gt_u32_e32 vcc, s33, v57
	s_and_saveexec_b64 s[0:1], vcc
	s_cbranch_execnz .LBB642_199
.LBB642_166:
	s_or_b64 exec, exec, s[0:1]
	v_cmp_gt_u32_e32 vcc, s33, v55
	s_and_saveexec_b64 s[0:1], vcc
	s_cbranch_execnz .LBB642_200
.LBB642_167:
	s_or_b64 exec, exec, s[0:1]
	v_cmp_gt_u32_e32 vcc, s33, v53
	s_and_saveexec_b64 s[0:1], vcc
	s_cbranch_execnz .LBB642_201
.LBB642_168:
	s_or_b64 exec, exec, s[0:1]
	v_cmp_gt_u32_e32 vcc, s33, v51
	s_and_saveexec_b64 s[0:1], vcc
	s_cbranch_execnz .LBB642_202
.LBB642_169:
	s_or_b64 exec, exec, s[0:1]
	v_cmp_gt_u32_e32 vcc, s33, v49
	s_and_saveexec_b64 s[0:1], vcc
	s_cbranch_execnz .LBB642_203
.LBB642_170:
	s_or_b64 exec, exec, s[0:1]
	v_cmp_gt_u32_e32 vcc, s33, v47
	s_and_saveexec_b64 s[0:1], vcc
	s_cbranch_execnz .LBB642_204
.LBB642_171:
	s_or_b64 exec, exec, s[0:1]
	v_cmp_gt_u32_e32 vcc, s33, v45
	s_and_saveexec_b64 s[0:1], vcc
	s_cbranch_execnz .LBB642_205
.LBB642_172:
	s_or_b64 exec, exec, s[0:1]
	v_cmp_gt_u32_e32 vcc, s33, v43
	s_and_saveexec_b64 s[0:1], vcc
	s_cbranch_execnz .LBB642_206
.LBB642_173:
	s_or_b64 exec, exec, s[0:1]
	v_cmp_gt_u32_e32 vcc, s33, v41
	s_and_saveexec_b64 s[0:1], vcc
	s_cbranch_execnz .LBB642_207
.LBB642_174:
	s_or_b64 exec, exec, s[0:1]
	v_cmp_gt_u32_e32 vcc, s33, v39
	s_and_saveexec_b64 s[0:1], vcc
	s_cbranch_execnz .LBB642_208
.LBB642_175:
	s_or_b64 exec, exec, s[0:1]
	v_cmp_gt_u32_e32 vcc, s33, v37
	s_and_saveexec_b64 s[0:1], vcc
	s_cbranch_execnz .LBB642_209
.LBB642_176:
	s_or_b64 exec, exec, s[0:1]
	v_cmp_gt_u32_e32 vcc, s33, v35
	s_and_saveexec_b64 s[0:1], vcc
	s_cbranch_execnz .LBB642_210
.LBB642_177:
	s_or_b64 exec, exec, s[0:1]
	v_cmp_gt_u32_e32 vcc, s33, v33
	s_and_saveexec_b64 s[0:1], vcc
	s_cbranch_execnz .LBB642_211
.LBB642_178:
	s_or_b64 exec, exec, s[0:1]
	v_cmp_gt_u32_e32 vcc, s33, v31
	s_and_saveexec_b64 s[0:1], vcc
	s_cbranch_execnz .LBB642_212
.LBB642_179:
	s_or_b64 exec, exec, s[0:1]
	v_cmp_gt_u32_e32 vcc, s33, v29
	s_and_saveexec_b64 s[0:1], vcc
	s_cbranch_execnz .LBB642_213
.LBB642_180:
	s_or_b64 exec, exec, s[0:1]
	v_cmp_gt_u32_e32 vcc, s33, v25
	s_and_saveexec_b64 s[0:1], vcc
	s_cbranch_execnz .LBB642_214
.LBB642_181:
	s_or_b64 exec, exec, s[0:1]
	v_cmp_gt_u32_e32 vcc, s33, v23
	s_and_saveexec_b64 s[0:1], vcc
	s_cbranch_execnz .LBB642_215
.LBB642_182:
	s_or_b64 exec, exec, s[0:1]
	v_cmp_gt_u32_e32 vcc, s33, v21
	s_and_saveexec_b64 s[0:1], vcc
	s_cbranch_execnz .LBB642_216
.LBB642_183:
	s_or_b64 exec, exec, s[0:1]
	v_cmp_gt_u32_e32 vcc, s33, v17
	s_and_saveexec_b64 s[0:1], vcc
	s_cbranch_execnz .LBB642_217
.LBB642_184:
	s_or_b64 exec, exec, s[0:1]
	v_cmp_gt_u32_e32 vcc, s33, v13
	s_and_saveexec_b64 s[0:1], vcc
	s_cbranch_execnz .LBB642_218
.LBB642_185:
	s_or_b64 exec, exec, s[0:1]
	v_cmp_gt_u32_e32 vcc, s33, v11
	s_and_saveexec_b64 s[0:1], vcc
	s_cbranch_execnz .LBB642_219
.LBB642_186:
	s_or_b64 exec, exec, s[0:1]
	v_cmp_gt_u32_e32 vcc, s33, v10
	s_and_saveexec_b64 s[0:1], vcc
	s_cbranch_execz .LBB642_188
.LBB642_187:
	v_cmp_lt_u32_e32 vcc, v10, v18
	v_lshlrev_b32_e32 v10, 1, v10
	v_mov_b32_e32 v11, 0
	v_cndmask_b32_e32 v13, v5, v7, vcc
	s_waitcnt lgkmcnt(2)
	v_cndmask_b32_e32 v12, v4, v6, vcc
	v_lshl_add_u64 v[10:11], v[12:13], 0, v[10:11]
	s_waitcnt lgkmcnt(1)
	global_store_short v[10:11], v9, off
.LBB642_188:
	s_or_b64 exec, exec, s[0:1]
	v_cmp_gt_u32_e64 s[0:1], s33, v8
.LBB642_189:
	s_and_saveexec_b64 s[2:3], s[0:1]
	s_cbranch_execz .LBB642_191
; %bb.190:
	v_cmp_lt_u32_e32 vcc, v8, v18
	s_nop 1
	v_cndmask_b32_e32 v5, v5, v7, vcc
	v_cndmask_b32_e32 v4, v4, v6, vcc
	v_lshlrev_b32_e32 v6, 1, v8
	v_mov_b32_e32 v7, 0
	v_lshl_add_u64 v[4:5], v[4:5], 0, v[6:7]
	s_waitcnt lgkmcnt(0)
	global_store_short v[4:5], v1, off
.LBB642_191:
	s_or_b64 exec, exec, s[2:3]
	v_cmp_eq_u32_e32 vcc, 0, v0
	s_and_b64 s[0:1], vcc, s[22:23]
	s_and_saveexec_b64 s[2:3], s[0:1]
	s_cbranch_execz .LBB642_193
; %bb.192:
	v_mov_b32_e32 v0, 0
	global_store_dwordx2 v0, v[2:3], s[20:21]
.LBB642_193:
	s_endpgm
.LBB642_194:
	v_cmp_lt_u32_e32 vcc, v0, v18
	v_mov_b32_e32 v15, 0
	s_nop 0
	v_cndmask_b32_e32 v27, v5, v7, vcc
	v_cndmask_b32_e32 v26, v4, v6, vcc
	v_lshl_add_u64 v[26:27], v[26:27], 0, v[14:15]
	s_waitcnt lgkmcnt(14)
	global_store_short v[26:27], v67, off
	s_or_b64 exec, exec, s[0:1]
	v_cmp_gt_u32_e32 vcc, s33, v65
	s_and_saveexec_b64 s[0:1], vcc
	s_cbranch_execz .LBB642_162
.LBB642_195:
	v_cmp_lt_u32_e32 vcc, v65, v18
	v_mov_b32_e32 v15, 0
	s_nop 0
	v_cndmask_b32_e32 v27, v5, v7, vcc
	v_cndmask_b32_e32 v26, v4, v6, vcc
	v_lshl_add_u64 v[26:27], v[26:27], 0, v[14:15]
	s_waitcnt lgkmcnt(14)
	global_store_short v[26:27], v66, off offset:1024
	s_or_b64 exec, exec, s[0:1]
	v_cmp_gt_u32_e32 vcc, s33, v63
	s_and_saveexec_b64 s[0:1], vcc
	s_cbranch_execz .LBB642_163
.LBB642_196:
	v_cmp_lt_u32_e32 vcc, v63, v18
	v_mov_b32_e32 v15, 0
	s_nop 0
	v_cndmask_b32_e32 v27, v5, v7, vcc
	v_cndmask_b32_e32 v26, v4, v6, vcc
	v_lshl_add_u64 v[26:27], v[26:27], 0, v[14:15]
	s_waitcnt lgkmcnt(14)
	global_store_short v[26:27], v64, off offset:2048
	s_or_b64 exec, exec, s[0:1]
	v_cmp_gt_u32_e32 vcc, s33, v61
	s_and_saveexec_b64 s[0:1], vcc
	s_cbranch_execz .LBB642_164
.LBB642_197:
	v_cmp_lt_u32_e32 vcc, v61, v18
	v_mov_b32_e32 v15, 0
	s_nop 0
	v_cndmask_b32_e32 v27, v5, v7, vcc
	v_cndmask_b32_e32 v26, v4, v6, vcc
	v_lshl_add_u64 v[14:15], v[26:27], 0, v[14:15]
	s_waitcnt lgkmcnt(14)
	global_store_short v[14:15], v62, off offset:3072
	s_or_b64 exec, exec, s[0:1]
	v_cmp_gt_u32_e32 vcc, s33, v59
	s_and_saveexec_b64 s[0:1], vcc
	s_cbranch_execz .LBB642_165
.LBB642_198:
	v_cmp_lt_u32_e32 vcc, v59, v18
	v_lshlrev_b32_e32 v26, 1, v59
	v_mov_b32_e32 v27, 0
	v_cndmask_b32_e32 v15, v5, v7, vcc
	v_cndmask_b32_e32 v14, v4, v6, vcc
	v_lshl_add_u64 v[14:15], v[14:15], 0, v[26:27]
	s_waitcnt lgkmcnt(14)
	global_store_short v[14:15], v60, off
	s_or_b64 exec, exec, s[0:1]
	v_cmp_gt_u32_e32 vcc, s33, v57
	s_and_saveexec_b64 s[0:1], vcc
	s_cbranch_execz .LBB642_166
.LBB642_199:
	v_cmp_lt_u32_e32 vcc, v57, v18
	v_lshlrev_b32_e32 v26, 1, v57
	v_mov_b32_e32 v27, 0
	v_cndmask_b32_e32 v15, v5, v7, vcc
	v_cndmask_b32_e32 v14, v4, v6, vcc
	v_lshl_add_u64 v[14:15], v[14:15], 0, v[26:27]
	s_waitcnt lgkmcnt(14)
	global_store_short v[14:15], v58, off
	s_or_b64 exec, exec, s[0:1]
	v_cmp_gt_u32_e32 vcc, s33, v55
	s_and_saveexec_b64 s[0:1], vcc
	s_cbranch_execz .LBB642_167
.LBB642_200:
	v_cmp_lt_u32_e32 vcc, v55, v18
	v_lshlrev_b32_e32 v26, 1, v55
	v_mov_b32_e32 v27, 0
	v_cndmask_b32_e32 v15, v5, v7, vcc
	v_cndmask_b32_e32 v14, v4, v6, vcc
	v_lshl_add_u64 v[14:15], v[14:15], 0, v[26:27]
	s_waitcnt lgkmcnt(14)
	global_store_short v[14:15], v56, off
	s_or_b64 exec, exec, s[0:1]
	v_cmp_gt_u32_e32 vcc, s33, v53
	s_and_saveexec_b64 s[0:1], vcc
	s_cbranch_execz .LBB642_168
.LBB642_201:
	v_cmp_lt_u32_e32 vcc, v53, v18
	v_lshlrev_b32_e32 v26, 1, v53
	v_mov_b32_e32 v27, 0
	v_cndmask_b32_e32 v15, v5, v7, vcc
	v_cndmask_b32_e32 v14, v4, v6, vcc
	v_lshl_add_u64 v[14:15], v[14:15], 0, v[26:27]
	s_waitcnt lgkmcnt(14)
	global_store_short v[14:15], v54, off
	s_or_b64 exec, exec, s[0:1]
	v_cmp_gt_u32_e32 vcc, s33, v51
	s_and_saveexec_b64 s[0:1], vcc
	s_cbranch_execz .LBB642_169
.LBB642_202:
	v_cmp_lt_u32_e32 vcc, v51, v18
	v_lshlrev_b32_e32 v26, 1, v51
	v_mov_b32_e32 v27, 0
	v_cndmask_b32_e32 v15, v5, v7, vcc
	v_cndmask_b32_e32 v14, v4, v6, vcc
	v_lshl_add_u64 v[14:15], v[14:15], 0, v[26:27]
	s_waitcnt lgkmcnt(14)
	global_store_short v[14:15], v52, off
	s_or_b64 exec, exec, s[0:1]
	v_cmp_gt_u32_e32 vcc, s33, v49
	s_and_saveexec_b64 s[0:1], vcc
	s_cbranch_execz .LBB642_170
.LBB642_203:
	v_cmp_lt_u32_e32 vcc, v49, v18
	v_lshlrev_b32_e32 v26, 1, v49
	v_mov_b32_e32 v27, 0
	v_cndmask_b32_e32 v15, v5, v7, vcc
	v_cndmask_b32_e32 v14, v4, v6, vcc
	v_lshl_add_u64 v[14:15], v[14:15], 0, v[26:27]
	s_waitcnt lgkmcnt(14)
	global_store_short v[14:15], v50, off
	s_or_b64 exec, exec, s[0:1]
	v_cmp_gt_u32_e32 vcc, s33, v47
	s_and_saveexec_b64 s[0:1], vcc
	s_cbranch_execz .LBB642_171
.LBB642_204:
	v_cmp_lt_u32_e32 vcc, v47, v18
	v_lshlrev_b32_e32 v26, 1, v47
	v_mov_b32_e32 v27, 0
	v_cndmask_b32_e32 v15, v5, v7, vcc
	v_cndmask_b32_e32 v14, v4, v6, vcc
	v_lshl_add_u64 v[14:15], v[14:15], 0, v[26:27]
	s_waitcnt lgkmcnt(14)
	global_store_short v[14:15], v48, off
	s_or_b64 exec, exec, s[0:1]
	v_cmp_gt_u32_e32 vcc, s33, v45
	s_and_saveexec_b64 s[0:1], vcc
	s_cbranch_execz .LBB642_172
.LBB642_205:
	v_cmp_lt_u32_e32 vcc, v45, v18
	v_lshlrev_b32_e32 v26, 1, v45
	v_mov_b32_e32 v27, 0
	v_cndmask_b32_e32 v15, v5, v7, vcc
	v_cndmask_b32_e32 v14, v4, v6, vcc
	v_lshl_add_u64 v[14:15], v[14:15], 0, v[26:27]
	s_waitcnt lgkmcnt(14)
	global_store_short v[14:15], v46, off
	s_or_b64 exec, exec, s[0:1]
	v_cmp_gt_u32_e32 vcc, s33, v43
	s_and_saveexec_b64 s[0:1], vcc
	s_cbranch_execz .LBB642_173
.LBB642_206:
	v_cmp_lt_u32_e32 vcc, v43, v18
	v_lshlrev_b32_e32 v26, 1, v43
	v_mov_b32_e32 v27, 0
	v_cndmask_b32_e32 v15, v5, v7, vcc
	v_cndmask_b32_e32 v14, v4, v6, vcc
	v_lshl_add_u64 v[14:15], v[14:15], 0, v[26:27]
	s_waitcnt lgkmcnt(14)
	global_store_short v[14:15], v44, off
	s_or_b64 exec, exec, s[0:1]
	v_cmp_gt_u32_e32 vcc, s33, v41
	s_and_saveexec_b64 s[0:1], vcc
	s_cbranch_execz .LBB642_174
.LBB642_207:
	v_cmp_lt_u32_e32 vcc, v41, v18
	v_lshlrev_b32_e32 v26, 1, v41
	v_mov_b32_e32 v27, 0
	v_cndmask_b32_e32 v15, v5, v7, vcc
	v_cndmask_b32_e32 v14, v4, v6, vcc
	v_lshl_add_u64 v[14:15], v[14:15], 0, v[26:27]
	s_waitcnt lgkmcnt(14)
	global_store_short v[14:15], v42, off
	s_or_b64 exec, exec, s[0:1]
	v_cmp_gt_u32_e32 vcc, s33, v39
	s_and_saveexec_b64 s[0:1], vcc
	s_cbranch_execz .LBB642_175
.LBB642_208:
	v_cmp_lt_u32_e32 vcc, v39, v18
	v_lshlrev_b32_e32 v26, 1, v39
	v_mov_b32_e32 v27, 0
	v_cndmask_b32_e32 v15, v5, v7, vcc
	v_cndmask_b32_e32 v14, v4, v6, vcc
	v_lshl_add_u64 v[14:15], v[14:15], 0, v[26:27]
	s_waitcnt lgkmcnt(13)
	global_store_short v[14:15], v40, off
	s_or_b64 exec, exec, s[0:1]
	v_cmp_gt_u32_e32 vcc, s33, v37
	s_and_saveexec_b64 s[0:1], vcc
	s_cbranch_execz .LBB642_176
.LBB642_209:
	v_cmp_lt_u32_e32 vcc, v37, v18
	v_lshlrev_b32_e32 v26, 1, v37
	v_mov_b32_e32 v27, 0
	v_cndmask_b32_e32 v15, v5, v7, vcc
	v_cndmask_b32_e32 v14, v4, v6, vcc
	v_lshl_add_u64 v[14:15], v[14:15], 0, v[26:27]
	s_waitcnt lgkmcnt(12)
	global_store_short v[14:15], v38, off
	s_or_b64 exec, exec, s[0:1]
	v_cmp_gt_u32_e32 vcc, s33, v35
	s_and_saveexec_b64 s[0:1], vcc
	s_cbranch_execz .LBB642_177
.LBB642_210:
	v_cmp_lt_u32_e32 vcc, v35, v18
	v_lshlrev_b32_e32 v26, 1, v35
	v_mov_b32_e32 v27, 0
	v_cndmask_b32_e32 v15, v5, v7, vcc
	v_cndmask_b32_e32 v14, v4, v6, vcc
	v_lshl_add_u64 v[14:15], v[14:15], 0, v[26:27]
	s_waitcnt lgkmcnt(11)
	global_store_short v[14:15], v36, off
	s_or_b64 exec, exec, s[0:1]
	v_cmp_gt_u32_e32 vcc, s33, v33
	s_and_saveexec_b64 s[0:1], vcc
	s_cbranch_execz .LBB642_178
.LBB642_211:
	v_cmp_lt_u32_e32 vcc, v33, v18
	v_lshlrev_b32_e32 v26, 1, v33
	v_mov_b32_e32 v27, 0
	v_cndmask_b32_e32 v15, v5, v7, vcc
	v_cndmask_b32_e32 v14, v4, v6, vcc
	v_lshl_add_u64 v[14:15], v[14:15], 0, v[26:27]
	s_waitcnt lgkmcnt(10)
	global_store_short v[14:15], v34, off
	s_or_b64 exec, exec, s[0:1]
	v_cmp_gt_u32_e32 vcc, s33, v31
	s_and_saveexec_b64 s[0:1], vcc
	s_cbranch_execz .LBB642_179
.LBB642_212:
	v_cmp_lt_u32_e32 vcc, v31, v18
	v_lshlrev_b32_e32 v26, 1, v31
	v_mov_b32_e32 v27, 0
	v_cndmask_b32_e32 v15, v5, v7, vcc
	v_cndmask_b32_e32 v14, v4, v6, vcc
	v_lshl_add_u64 v[14:15], v[14:15], 0, v[26:27]
	s_waitcnt lgkmcnt(9)
	global_store_short v[14:15], v32, off
	s_or_b64 exec, exec, s[0:1]
	v_cmp_gt_u32_e32 vcc, s33, v29
	s_and_saveexec_b64 s[0:1], vcc
	s_cbranch_execz .LBB642_180
.LBB642_213:
	v_cmp_lt_u32_e32 vcc, v29, v18
	v_lshlrev_b32_e32 v26, 1, v29
	v_mov_b32_e32 v27, 0
	v_cndmask_b32_e32 v15, v5, v7, vcc
	v_cndmask_b32_e32 v14, v4, v6, vcc
	v_lshl_add_u64 v[14:15], v[14:15], 0, v[26:27]
	s_waitcnt lgkmcnt(8)
	global_store_short v[14:15], v30, off
	s_or_b64 exec, exec, s[0:1]
	v_cmp_gt_u32_e32 vcc, s33, v25
	s_and_saveexec_b64 s[0:1], vcc
	s_cbranch_execz .LBB642_181
.LBB642_214:
	v_cmp_lt_u32_e32 vcc, v25, v18
	v_lshlrev_b32_e32 v26, 1, v25
	v_mov_b32_e32 v27, 0
	v_cndmask_b32_e32 v15, v5, v7, vcc
	v_cndmask_b32_e32 v14, v4, v6, vcc
	v_lshl_add_u64 v[14:15], v[14:15], 0, v[26:27]
	s_waitcnt lgkmcnt(7)
	global_store_short v[14:15], v28, off
	s_or_b64 exec, exec, s[0:1]
	v_cmp_gt_u32_e32 vcc, s33, v23
	s_and_saveexec_b64 s[0:1], vcc
	s_cbranch_execz .LBB642_182
.LBB642_215:
	v_cmp_lt_u32_e32 vcc, v23, v18
	v_lshlrev_b32_e32 v26, 1, v23
	v_mov_b32_e32 v27, 0
	v_cndmask_b32_e32 v15, v5, v7, vcc
	v_cndmask_b32_e32 v14, v4, v6, vcc
	v_lshl_add_u64 v[14:15], v[14:15], 0, v[26:27]
	s_waitcnt lgkmcnt(6)
	global_store_short v[14:15], v24, off
	s_or_b64 exec, exec, s[0:1]
	v_cmp_gt_u32_e32 vcc, s33, v21
	s_and_saveexec_b64 s[0:1], vcc
	s_cbranch_execz .LBB642_183
.LBB642_216:
	v_cmp_lt_u32_e32 vcc, v21, v18
	s_waitcnt lgkmcnt(6)
	v_lshlrev_b32_e32 v24, 1, v21
	v_mov_b32_e32 v25, 0
	v_cndmask_b32_e32 v15, v5, v7, vcc
	v_cndmask_b32_e32 v14, v4, v6, vcc
	v_lshl_add_u64 v[14:15], v[14:15], 0, v[24:25]
	s_waitcnt lgkmcnt(5)
	global_store_short v[14:15], v22, off
	s_or_b64 exec, exec, s[0:1]
	v_cmp_gt_u32_e32 vcc, s33, v17
	s_and_saveexec_b64 s[0:1], vcc
	s_cbranch_execz .LBB642_184
.LBB642_217:
	v_cmp_lt_u32_e32 vcc, v17, v18
	s_waitcnt lgkmcnt(5)
	v_lshlrev_b32_e32 v22, 1, v17
	v_mov_b32_e32 v23, 0
	v_cndmask_b32_e32 v15, v5, v7, vcc
	v_cndmask_b32_e32 v14, v4, v6, vcc
	v_lshl_add_u64 v[14:15], v[14:15], 0, v[22:23]
	s_waitcnt lgkmcnt(4)
	global_store_short v[14:15], v20, off
	s_or_b64 exec, exec, s[0:1]
	v_cmp_gt_u32_e32 vcc, s33, v13
	s_and_saveexec_b64 s[0:1], vcc
	s_cbranch_execz .LBB642_185
.LBB642_218:
	v_cmp_lt_u32_e32 vcc, v13, v18
	s_waitcnt lgkmcnt(4)
	v_lshlrev_b32_e32 v20, 1, v13
	v_mov_b32_e32 v21, 0
	v_cndmask_b32_e32 v15, v5, v7, vcc
	v_cndmask_b32_e32 v14, v4, v6, vcc
	v_lshl_add_u64 v[14:15], v[14:15], 0, v[20:21]
	s_waitcnt lgkmcnt(3)
	global_store_short v[14:15], v16, off
	s_or_b64 exec, exec, s[0:1]
	v_cmp_gt_u32_e32 vcc, s33, v11
	s_and_saveexec_b64 s[0:1], vcc
	s_cbranch_execz .LBB642_186
.LBB642_219:
	v_cmp_lt_u32_e32 vcc, v11, v18
	s_waitcnt lgkmcnt(3)
	v_lshlrev_b32_e32 v16, 1, v11
	v_mov_b32_e32 v17, 0
	v_cndmask_b32_e32 v15, v5, v7, vcc
	v_cndmask_b32_e32 v14, v4, v6, vcc
	v_lshl_add_u64 v[14:15], v[14:15], 0, v[16:17]
	s_waitcnt lgkmcnt(2)
	global_store_short v[14:15], v12, off
	s_or_b64 exec, exec, s[0:1]
	v_cmp_gt_u32_e32 vcc, s33, v10
	s_and_saveexec_b64 s[0:1], vcc
	s_cbranch_execnz .LBB642_187
	s_branch .LBB642_188
	.section	.rodata,"a",@progbits
	.p2align	6, 0x0
	.amdhsa_kernel _ZN7rocprim17ROCPRIM_400000_NS6detail17trampoline_kernelINS0_14default_configENS1_25partition_config_selectorILNS1_17partition_subalgoE1EsNS0_10empty_typeEbEEZZNS1_14partition_implILS5_1ELb0ES3_jN6thrust23THRUST_200600_302600_NS6detail15normal_iteratorINSA_10device_ptrIsEEEEPS6_NSA_18transform_iteratorINSA_8identityIsEESF_NSA_11use_defaultESK_EENS0_5tupleIJSF_SF_EEENSM_IJSG_SG_EEES6_PlJS6_EEE10hipError_tPvRmT3_T4_T5_T6_T7_T9_mT8_P12ihipStream_tbDpT10_ENKUlT_T0_E_clISt17integral_constantIbLb0EES19_EEDaS14_S15_EUlS14_E_NS1_11comp_targetILNS1_3genE5ELNS1_11target_archE942ELNS1_3gpuE9ELNS1_3repE0EEENS1_30default_config_static_selectorELNS0_4arch9wavefront6targetE1EEEvT1_
		.amdhsa_group_segment_fixed_size 28680
		.amdhsa_private_segment_fixed_size 0
		.amdhsa_kernarg_size 128
		.amdhsa_user_sgpr_count 2
		.amdhsa_user_sgpr_dispatch_ptr 0
		.amdhsa_user_sgpr_queue_ptr 0
		.amdhsa_user_sgpr_kernarg_segment_ptr 1
		.amdhsa_user_sgpr_dispatch_id 0
		.amdhsa_user_sgpr_kernarg_preload_length 0
		.amdhsa_user_sgpr_kernarg_preload_offset 0
		.amdhsa_user_sgpr_private_segment_size 0
		.amdhsa_uses_dynamic_stack 0
		.amdhsa_enable_private_segment 0
		.amdhsa_system_sgpr_workgroup_id_x 1
		.amdhsa_system_sgpr_workgroup_id_y 0
		.amdhsa_system_sgpr_workgroup_id_z 0
		.amdhsa_system_sgpr_workgroup_info 0
		.amdhsa_system_vgpr_workitem_id 0
		.amdhsa_next_free_vgpr 79
		.amdhsa_next_free_sgpr 44
		.amdhsa_accum_offset 80
		.amdhsa_reserve_vcc 1
		.amdhsa_float_round_mode_32 0
		.amdhsa_float_round_mode_16_64 0
		.amdhsa_float_denorm_mode_32 3
		.amdhsa_float_denorm_mode_16_64 3
		.amdhsa_dx10_clamp 1
		.amdhsa_ieee_mode 1
		.amdhsa_fp16_overflow 0
		.amdhsa_tg_split 0
		.amdhsa_exception_fp_ieee_invalid_op 0
		.amdhsa_exception_fp_denorm_src 0
		.amdhsa_exception_fp_ieee_div_zero 0
		.amdhsa_exception_fp_ieee_overflow 0
		.amdhsa_exception_fp_ieee_underflow 0
		.amdhsa_exception_fp_ieee_inexact 0
		.amdhsa_exception_int_div_zero 0
	.end_amdhsa_kernel
	.section	.text._ZN7rocprim17ROCPRIM_400000_NS6detail17trampoline_kernelINS0_14default_configENS1_25partition_config_selectorILNS1_17partition_subalgoE1EsNS0_10empty_typeEbEEZZNS1_14partition_implILS5_1ELb0ES3_jN6thrust23THRUST_200600_302600_NS6detail15normal_iteratorINSA_10device_ptrIsEEEEPS6_NSA_18transform_iteratorINSA_8identityIsEESF_NSA_11use_defaultESK_EENS0_5tupleIJSF_SF_EEENSM_IJSG_SG_EEES6_PlJS6_EEE10hipError_tPvRmT3_T4_T5_T6_T7_T9_mT8_P12ihipStream_tbDpT10_ENKUlT_T0_E_clISt17integral_constantIbLb0EES19_EEDaS14_S15_EUlS14_E_NS1_11comp_targetILNS1_3genE5ELNS1_11target_archE942ELNS1_3gpuE9ELNS1_3repE0EEENS1_30default_config_static_selectorELNS0_4arch9wavefront6targetE1EEEvT1_,"axG",@progbits,_ZN7rocprim17ROCPRIM_400000_NS6detail17trampoline_kernelINS0_14default_configENS1_25partition_config_selectorILNS1_17partition_subalgoE1EsNS0_10empty_typeEbEEZZNS1_14partition_implILS5_1ELb0ES3_jN6thrust23THRUST_200600_302600_NS6detail15normal_iteratorINSA_10device_ptrIsEEEEPS6_NSA_18transform_iteratorINSA_8identityIsEESF_NSA_11use_defaultESK_EENS0_5tupleIJSF_SF_EEENSM_IJSG_SG_EEES6_PlJS6_EEE10hipError_tPvRmT3_T4_T5_T6_T7_T9_mT8_P12ihipStream_tbDpT10_ENKUlT_T0_E_clISt17integral_constantIbLb0EES19_EEDaS14_S15_EUlS14_E_NS1_11comp_targetILNS1_3genE5ELNS1_11target_archE942ELNS1_3gpuE9ELNS1_3repE0EEENS1_30default_config_static_selectorELNS0_4arch9wavefront6targetE1EEEvT1_,comdat
.Lfunc_end642:
	.size	_ZN7rocprim17ROCPRIM_400000_NS6detail17trampoline_kernelINS0_14default_configENS1_25partition_config_selectorILNS1_17partition_subalgoE1EsNS0_10empty_typeEbEEZZNS1_14partition_implILS5_1ELb0ES3_jN6thrust23THRUST_200600_302600_NS6detail15normal_iteratorINSA_10device_ptrIsEEEEPS6_NSA_18transform_iteratorINSA_8identityIsEESF_NSA_11use_defaultESK_EENS0_5tupleIJSF_SF_EEENSM_IJSG_SG_EEES6_PlJS6_EEE10hipError_tPvRmT3_T4_T5_T6_T7_T9_mT8_P12ihipStream_tbDpT10_ENKUlT_T0_E_clISt17integral_constantIbLb0EES19_EEDaS14_S15_EUlS14_E_NS1_11comp_targetILNS1_3genE5ELNS1_11target_archE942ELNS1_3gpuE9ELNS1_3repE0EEENS1_30default_config_static_selectorELNS0_4arch9wavefront6targetE1EEEvT1_, .Lfunc_end642-_ZN7rocprim17ROCPRIM_400000_NS6detail17trampoline_kernelINS0_14default_configENS1_25partition_config_selectorILNS1_17partition_subalgoE1EsNS0_10empty_typeEbEEZZNS1_14partition_implILS5_1ELb0ES3_jN6thrust23THRUST_200600_302600_NS6detail15normal_iteratorINSA_10device_ptrIsEEEEPS6_NSA_18transform_iteratorINSA_8identityIsEESF_NSA_11use_defaultESK_EENS0_5tupleIJSF_SF_EEENSM_IJSG_SG_EEES6_PlJS6_EEE10hipError_tPvRmT3_T4_T5_T6_T7_T9_mT8_P12ihipStream_tbDpT10_ENKUlT_T0_E_clISt17integral_constantIbLb0EES19_EEDaS14_S15_EUlS14_E_NS1_11comp_targetILNS1_3genE5ELNS1_11target_archE942ELNS1_3gpuE9ELNS1_3repE0EEENS1_30default_config_static_selectorELNS0_4arch9wavefront6targetE1EEEvT1_
                                        ; -- End function
	.section	.AMDGPU.csdata,"",@progbits
; Kernel info:
; codeLenInByte = 12468
; NumSgprs: 50
; NumVgprs: 79
; NumAgprs: 0
; TotalNumVgprs: 79
; ScratchSize: 0
; MemoryBound: 0
; FloatMode: 240
; IeeeMode: 1
; LDSByteSize: 28680 bytes/workgroup (compile time only)
; SGPRBlocks: 6
; VGPRBlocks: 9
; NumSGPRsForWavesPerEU: 50
; NumVGPRsForWavesPerEU: 79
; AccumOffset: 80
; Occupancy: 4
; WaveLimiterHint : 1
; COMPUTE_PGM_RSRC2:SCRATCH_EN: 0
; COMPUTE_PGM_RSRC2:USER_SGPR: 2
; COMPUTE_PGM_RSRC2:TRAP_HANDLER: 0
; COMPUTE_PGM_RSRC2:TGID_X_EN: 1
; COMPUTE_PGM_RSRC2:TGID_Y_EN: 0
; COMPUTE_PGM_RSRC2:TGID_Z_EN: 0
; COMPUTE_PGM_RSRC2:TIDIG_COMP_CNT: 0
; COMPUTE_PGM_RSRC3_GFX90A:ACCUM_OFFSET: 19
; COMPUTE_PGM_RSRC3_GFX90A:TG_SPLIT: 0
	.section	.text._ZN7rocprim17ROCPRIM_400000_NS6detail17trampoline_kernelINS0_14default_configENS1_25partition_config_selectorILNS1_17partition_subalgoE1EsNS0_10empty_typeEbEEZZNS1_14partition_implILS5_1ELb0ES3_jN6thrust23THRUST_200600_302600_NS6detail15normal_iteratorINSA_10device_ptrIsEEEEPS6_NSA_18transform_iteratorINSA_8identityIsEESF_NSA_11use_defaultESK_EENS0_5tupleIJSF_SF_EEENSM_IJSG_SG_EEES6_PlJS6_EEE10hipError_tPvRmT3_T4_T5_T6_T7_T9_mT8_P12ihipStream_tbDpT10_ENKUlT_T0_E_clISt17integral_constantIbLb0EES19_EEDaS14_S15_EUlS14_E_NS1_11comp_targetILNS1_3genE4ELNS1_11target_archE910ELNS1_3gpuE8ELNS1_3repE0EEENS1_30default_config_static_selectorELNS0_4arch9wavefront6targetE1EEEvT1_,"axG",@progbits,_ZN7rocprim17ROCPRIM_400000_NS6detail17trampoline_kernelINS0_14default_configENS1_25partition_config_selectorILNS1_17partition_subalgoE1EsNS0_10empty_typeEbEEZZNS1_14partition_implILS5_1ELb0ES3_jN6thrust23THRUST_200600_302600_NS6detail15normal_iteratorINSA_10device_ptrIsEEEEPS6_NSA_18transform_iteratorINSA_8identityIsEESF_NSA_11use_defaultESK_EENS0_5tupleIJSF_SF_EEENSM_IJSG_SG_EEES6_PlJS6_EEE10hipError_tPvRmT3_T4_T5_T6_T7_T9_mT8_P12ihipStream_tbDpT10_ENKUlT_T0_E_clISt17integral_constantIbLb0EES19_EEDaS14_S15_EUlS14_E_NS1_11comp_targetILNS1_3genE4ELNS1_11target_archE910ELNS1_3gpuE8ELNS1_3repE0EEENS1_30default_config_static_selectorELNS0_4arch9wavefront6targetE1EEEvT1_,comdat
	.protected	_ZN7rocprim17ROCPRIM_400000_NS6detail17trampoline_kernelINS0_14default_configENS1_25partition_config_selectorILNS1_17partition_subalgoE1EsNS0_10empty_typeEbEEZZNS1_14partition_implILS5_1ELb0ES3_jN6thrust23THRUST_200600_302600_NS6detail15normal_iteratorINSA_10device_ptrIsEEEEPS6_NSA_18transform_iteratorINSA_8identityIsEESF_NSA_11use_defaultESK_EENS0_5tupleIJSF_SF_EEENSM_IJSG_SG_EEES6_PlJS6_EEE10hipError_tPvRmT3_T4_T5_T6_T7_T9_mT8_P12ihipStream_tbDpT10_ENKUlT_T0_E_clISt17integral_constantIbLb0EES19_EEDaS14_S15_EUlS14_E_NS1_11comp_targetILNS1_3genE4ELNS1_11target_archE910ELNS1_3gpuE8ELNS1_3repE0EEENS1_30default_config_static_selectorELNS0_4arch9wavefront6targetE1EEEvT1_ ; -- Begin function _ZN7rocprim17ROCPRIM_400000_NS6detail17trampoline_kernelINS0_14default_configENS1_25partition_config_selectorILNS1_17partition_subalgoE1EsNS0_10empty_typeEbEEZZNS1_14partition_implILS5_1ELb0ES3_jN6thrust23THRUST_200600_302600_NS6detail15normal_iteratorINSA_10device_ptrIsEEEEPS6_NSA_18transform_iteratorINSA_8identityIsEESF_NSA_11use_defaultESK_EENS0_5tupleIJSF_SF_EEENSM_IJSG_SG_EEES6_PlJS6_EEE10hipError_tPvRmT3_T4_T5_T6_T7_T9_mT8_P12ihipStream_tbDpT10_ENKUlT_T0_E_clISt17integral_constantIbLb0EES19_EEDaS14_S15_EUlS14_E_NS1_11comp_targetILNS1_3genE4ELNS1_11target_archE910ELNS1_3gpuE8ELNS1_3repE0EEENS1_30default_config_static_selectorELNS0_4arch9wavefront6targetE1EEEvT1_
	.globl	_ZN7rocprim17ROCPRIM_400000_NS6detail17trampoline_kernelINS0_14default_configENS1_25partition_config_selectorILNS1_17partition_subalgoE1EsNS0_10empty_typeEbEEZZNS1_14partition_implILS5_1ELb0ES3_jN6thrust23THRUST_200600_302600_NS6detail15normal_iteratorINSA_10device_ptrIsEEEEPS6_NSA_18transform_iteratorINSA_8identityIsEESF_NSA_11use_defaultESK_EENS0_5tupleIJSF_SF_EEENSM_IJSG_SG_EEES6_PlJS6_EEE10hipError_tPvRmT3_T4_T5_T6_T7_T9_mT8_P12ihipStream_tbDpT10_ENKUlT_T0_E_clISt17integral_constantIbLb0EES19_EEDaS14_S15_EUlS14_E_NS1_11comp_targetILNS1_3genE4ELNS1_11target_archE910ELNS1_3gpuE8ELNS1_3repE0EEENS1_30default_config_static_selectorELNS0_4arch9wavefront6targetE1EEEvT1_
	.p2align	8
	.type	_ZN7rocprim17ROCPRIM_400000_NS6detail17trampoline_kernelINS0_14default_configENS1_25partition_config_selectorILNS1_17partition_subalgoE1EsNS0_10empty_typeEbEEZZNS1_14partition_implILS5_1ELb0ES3_jN6thrust23THRUST_200600_302600_NS6detail15normal_iteratorINSA_10device_ptrIsEEEEPS6_NSA_18transform_iteratorINSA_8identityIsEESF_NSA_11use_defaultESK_EENS0_5tupleIJSF_SF_EEENSM_IJSG_SG_EEES6_PlJS6_EEE10hipError_tPvRmT3_T4_T5_T6_T7_T9_mT8_P12ihipStream_tbDpT10_ENKUlT_T0_E_clISt17integral_constantIbLb0EES19_EEDaS14_S15_EUlS14_E_NS1_11comp_targetILNS1_3genE4ELNS1_11target_archE910ELNS1_3gpuE8ELNS1_3repE0EEENS1_30default_config_static_selectorELNS0_4arch9wavefront6targetE1EEEvT1_,@function
_ZN7rocprim17ROCPRIM_400000_NS6detail17trampoline_kernelINS0_14default_configENS1_25partition_config_selectorILNS1_17partition_subalgoE1EsNS0_10empty_typeEbEEZZNS1_14partition_implILS5_1ELb0ES3_jN6thrust23THRUST_200600_302600_NS6detail15normal_iteratorINSA_10device_ptrIsEEEEPS6_NSA_18transform_iteratorINSA_8identityIsEESF_NSA_11use_defaultESK_EENS0_5tupleIJSF_SF_EEENSM_IJSG_SG_EEES6_PlJS6_EEE10hipError_tPvRmT3_T4_T5_T6_T7_T9_mT8_P12ihipStream_tbDpT10_ENKUlT_T0_E_clISt17integral_constantIbLb0EES19_EEDaS14_S15_EUlS14_E_NS1_11comp_targetILNS1_3genE4ELNS1_11target_archE910ELNS1_3gpuE8ELNS1_3repE0EEENS1_30default_config_static_selectorELNS0_4arch9wavefront6targetE1EEEvT1_: ; @_ZN7rocprim17ROCPRIM_400000_NS6detail17trampoline_kernelINS0_14default_configENS1_25partition_config_selectorILNS1_17partition_subalgoE1EsNS0_10empty_typeEbEEZZNS1_14partition_implILS5_1ELb0ES3_jN6thrust23THRUST_200600_302600_NS6detail15normal_iteratorINSA_10device_ptrIsEEEEPS6_NSA_18transform_iteratorINSA_8identityIsEESF_NSA_11use_defaultESK_EENS0_5tupleIJSF_SF_EEENSM_IJSG_SG_EEES6_PlJS6_EEE10hipError_tPvRmT3_T4_T5_T6_T7_T9_mT8_P12ihipStream_tbDpT10_ENKUlT_T0_E_clISt17integral_constantIbLb0EES19_EEDaS14_S15_EUlS14_E_NS1_11comp_targetILNS1_3genE4ELNS1_11target_archE910ELNS1_3gpuE8ELNS1_3repE0EEENS1_30default_config_static_selectorELNS0_4arch9wavefront6targetE1EEEvT1_
; %bb.0:
	.section	.rodata,"a",@progbits
	.p2align	6, 0x0
	.amdhsa_kernel _ZN7rocprim17ROCPRIM_400000_NS6detail17trampoline_kernelINS0_14default_configENS1_25partition_config_selectorILNS1_17partition_subalgoE1EsNS0_10empty_typeEbEEZZNS1_14partition_implILS5_1ELb0ES3_jN6thrust23THRUST_200600_302600_NS6detail15normal_iteratorINSA_10device_ptrIsEEEEPS6_NSA_18transform_iteratorINSA_8identityIsEESF_NSA_11use_defaultESK_EENS0_5tupleIJSF_SF_EEENSM_IJSG_SG_EEES6_PlJS6_EEE10hipError_tPvRmT3_T4_T5_T6_T7_T9_mT8_P12ihipStream_tbDpT10_ENKUlT_T0_E_clISt17integral_constantIbLb0EES19_EEDaS14_S15_EUlS14_E_NS1_11comp_targetILNS1_3genE4ELNS1_11target_archE910ELNS1_3gpuE8ELNS1_3repE0EEENS1_30default_config_static_selectorELNS0_4arch9wavefront6targetE1EEEvT1_
		.amdhsa_group_segment_fixed_size 0
		.amdhsa_private_segment_fixed_size 0
		.amdhsa_kernarg_size 128
		.amdhsa_user_sgpr_count 2
		.amdhsa_user_sgpr_dispatch_ptr 0
		.amdhsa_user_sgpr_queue_ptr 0
		.amdhsa_user_sgpr_kernarg_segment_ptr 1
		.amdhsa_user_sgpr_dispatch_id 0
		.amdhsa_user_sgpr_kernarg_preload_length 0
		.amdhsa_user_sgpr_kernarg_preload_offset 0
		.amdhsa_user_sgpr_private_segment_size 0
		.amdhsa_uses_dynamic_stack 0
		.amdhsa_enable_private_segment 0
		.amdhsa_system_sgpr_workgroup_id_x 1
		.amdhsa_system_sgpr_workgroup_id_y 0
		.amdhsa_system_sgpr_workgroup_id_z 0
		.amdhsa_system_sgpr_workgroup_info 0
		.amdhsa_system_vgpr_workitem_id 0
		.amdhsa_next_free_vgpr 1
		.amdhsa_next_free_sgpr 0
		.amdhsa_accum_offset 4
		.amdhsa_reserve_vcc 0
		.amdhsa_float_round_mode_32 0
		.amdhsa_float_round_mode_16_64 0
		.amdhsa_float_denorm_mode_32 3
		.amdhsa_float_denorm_mode_16_64 3
		.amdhsa_dx10_clamp 1
		.amdhsa_ieee_mode 1
		.amdhsa_fp16_overflow 0
		.amdhsa_tg_split 0
		.amdhsa_exception_fp_ieee_invalid_op 0
		.amdhsa_exception_fp_denorm_src 0
		.amdhsa_exception_fp_ieee_div_zero 0
		.amdhsa_exception_fp_ieee_overflow 0
		.amdhsa_exception_fp_ieee_underflow 0
		.amdhsa_exception_fp_ieee_inexact 0
		.amdhsa_exception_int_div_zero 0
	.end_amdhsa_kernel
	.section	.text._ZN7rocprim17ROCPRIM_400000_NS6detail17trampoline_kernelINS0_14default_configENS1_25partition_config_selectorILNS1_17partition_subalgoE1EsNS0_10empty_typeEbEEZZNS1_14partition_implILS5_1ELb0ES3_jN6thrust23THRUST_200600_302600_NS6detail15normal_iteratorINSA_10device_ptrIsEEEEPS6_NSA_18transform_iteratorINSA_8identityIsEESF_NSA_11use_defaultESK_EENS0_5tupleIJSF_SF_EEENSM_IJSG_SG_EEES6_PlJS6_EEE10hipError_tPvRmT3_T4_T5_T6_T7_T9_mT8_P12ihipStream_tbDpT10_ENKUlT_T0_E_clISt17integral_constantIbLb0EES19_EEDaS14_S15_EUlS14_E_NS1_11comp_targetILNS1_3genE4ELNS1_11target_archE910ELNS1_3gpuE8ELNS1_3repE0EEENS1_30default_config_static_selectorELNS0_4arch9wavefront6targetE1EEEvT1_,"axG",@progbits,_ZN7rocprim17ROCPRIM_400000_NS6detail17trampoline_kernelINS0_14default_configENS1_25partition_config_selectorILNS1_17partition_subalgoE1EsNS0_10empty_typeEbEEZZNS1_14partition_implILS5_1ELb0ES3_jN6thrust23THRUST_200600_302600_NS6detail15normal_iteratorINSA_10device_ptrIsEEEEPS6_NSA_18transform_iteratorINSA_8identityIsEESF_NSA_11use_defaultESK_EENS0_5tupleIJSF_SF_EEENSM_IJSG_SG_EEES6_PlJS6_EEE10hipError_tPvRmT3_T4_T5_T6_T7_T9_mT8_P12ihipStream_tbDpT10_ENKUlT_T0_E_clISt17integral_constantIbLb0EES19_EEDaS14_S15_EUlS14_E_NS1_11comp_targetILNS1_3genE4ELNS1_11target_archE910ELNS1_3gpuE8ELNS1_3repE0EEENS1_30default_config_static_selectorELNS0_4arch9wavefront6targetE1EEEvT1_,comdat
.Lfunc_end643:
	.size	_ZN7rocprim17ROCPRIM_400000_NS6detail17trampoline_kernelINS0_14default_configENS1_25partition_config_selectorILNS1_17partition_subalgoE1EsNS0_10empty_typeEbEEZZNS1_14partition_implILS5_1ELb0ES3_jN6thrust23THRUST_200600_302600_NS6detail15normal_iteratorINSA_10device_ptrIsEEEEPS6_NSA_18transform_iteratorINSA_8identityIsEESF_NSA_11use_defaultESK_EENS0_5tupleIJSF_SF_EEENSM_IJSG_SG_EEES6_PlJS6_EEE10hipError_tPvRmT3_T4_T5_T6_T7_T9_mT8_P12ihipStream_tbDpT10_ENKUlT_T0_E_clISt17integral_constantIbLb0EES19_EEDaS14_S15_EUlS14_E_NS1_11comp_targetILNS1_3genE4ELNS1_11target_archE910ELNS1_3gpuE8ELNS1_3repE0EEENS1_30default_config_static_selectorELNS0_4arch9wavefront6targetE1EEEvT1_, .Lfunc_end643-_ZN7rocprim17ROCPRIM_400000_NS6detail17trampoline_kernelINS0_14default_configENS1_25partition_config_selectorILNS1_17partition_subalgoE1EsNS0_10empty_typeEbEEZZNS1_14partition_implILS5_1ELb0ES3_jN6thrust23THRUST_200600_302600_NS6detail15normal_iteratorINSA_10device_ptrIsEEEEPS6_NSA_18transform_iteratorINSA_8identityIsEESF_NSA_11use_defaultESK_EENS0_5tupleIJSF_SF_EEENSM_IJSG_SG_EEES6_PlJS6_EEE10hipError_tPvRmT3_T4_T5_T6_T7_T9_mT8_P12ihipStream_tbDpT10_ENKUlT_T0_E_clISt17integral_constantIbLb0EES19_EEDaS14_S15_EUlS14_E_NS1_11comp_targetILNS1_3genE4ELNS1_11target_archE910ELNS1_3gpuE8ELNS1_3repE0EEENS1_30default_config_static_selectorELNS0_4arch9wavefront6targetE1EEEvT1_
                                        ; -- End function
	.section	.AMDGPU.csdata,"",@progbits
; Kernel info:
; codeLenInByte = 0
; NumSgprs: 6
; NumVgprs: 0
; NumAgprs: 0
; TotalNumVgprs: 0
; ScratchSize: 0
; MemoryBound: 0
; FloatMode: 240
; IeeeMode: 1
; LDSByteSize: 0 bytes/workgroup (compile time only)
; SGPRBlocks: 0
; VGPRBlocks: 0
; NumSGPRsForWavesPerEU: 6
; NumVGPRsForWavesPerEU: 1
; AccumOffset: 4
; Occupancy: 8
; WaveLimiterHint : 0
; COMPUTE_PGM_RSRC2:SCRATCH_EN: 0
; COMPUTE_PGM_RSRC2:USER_SGPR: 2
; COMPUTE_PGM_RSRC2:TRAP_HANDLER: 0
; COMPUTE_PGM_RSRC2:TGID_X_EN: 1
; COMPUTE_PGM_RSRC2:TGID_Y_EN: 0
; COMPUTE_PGM_RSRC2:TGID_Z_EN: 0
; COMPUTE_PGM_RSRC2:TIDIG_COMP_CNT: 0
; COMPUTE_PGM_RSRC3_GFX90A:ACCUM_OFFSET: 0
; COMPUTE_PGM_RSRC3_GFX90A:TG_SPLIT: 0
	.section	.text._ZN7rocprim17ROCPRIM_400000_NS6detail17trampoline_kernelINS0_14default_configENS1_25partition_config_selectorILNS1_17partition_subalgoE1EsNS0_10empty_typeEbEEZZNS1_14partition_implILS5_1ELb0ES3_jN6thrust23THRUST_200600_302600_NS6detail15normal_iteratorINSA_10device_ptrIsEEEEPS6_NSA_18transform_iteratorINSA_8identityIsEESF_NSA_11use_defaultESK_EENS0_5tupleIJSF_SF_EEENSM_IJSG_SG_EEES6_PlJS6_EEE10hipError_tPvRmT3_T4_T5_T6_T7_T9_mT8_P12ihipStream_tbDpT10_ENKUlT_T0_E_clISt17integral_constantIbLb0EES19_EEDaS14_S15_EUlS14_E_NS1_11comp_targetILNS1_3genE3ELNS1_11target_archE908ELNS1_3gpuE7ELNS1_3repE0EEENS1_30default_config_static_selectorELNS0_4arch9wavefront6targetE1EEEvT1_,"axG",@progbits,_ZN7rocprim17ROCPRIM_400000_NS6detail17trampoline_kernelINS0_14default_configENS1_25partition_config_selectorILNS1_17partition_subalgoE1EsNS0_10empty_typeEbEEZZNS1_14partition_implILS5_1ELb0ES3_jN6thrust23THRUST_200600_302600_NS6detail15normal_iteratorINSA_10device_ptrIsEEEEPS6_NSA_18transform_iteratorINSA_8identityIsEESF_NSA_11use_defaultESK_EENS0_5tupleIJSF_SF_EEENSM_IJSG_SG_EEES6_PlJS6_EEE10hipError_tPvRmT3_T4_T5_T6_T7_T9_mT8_P12ihipStream_tbDpT10_ENKUlT_T0_E_clISt17integral_constantIbLb0EES19_EEDaS14_S15_EUlS14_E_NS1_11comp_targetILNS1_3genE3ELNS1_11target_archE908ELNS1_3gpuE7ELNS1_3repE0EEENS1_30default_config_static_selectorELNS0_4arch9wavefront6targetE1EEEvT1_,comdat
	.protected	_ZN7rocprim17ROCPRIM_400000_NS6detail17trampoline_kernelINS0_14default_configENS1_25partition_config_selectorILNS1_17partition_subalgoE1EsNS0_10empty_typeEbEEZZNS1_14partition_implILS5_1ELb0ES3_jN6thrust23THRUST_200600_302600_NS6detail15normal_iteratorINSA_10device_ptrIsEEEEPS6_NSA_18transform_iteratorINSA_8identityIsEESF_NSA_11use_defaultESK_EENS0_5tupleIJSF_SF_EEENSM_IJSG_SG_EEES6_PlJS6_EEE10hipError_tPvRmT3_T4_T5_T6_T7_T9_mT8_P12ihipStream_tbDpT10_ENKUlT_T0_E_clISt17integral_constantIbLb0EES19_EEDaS14_S15_EUlS14_E_NS1_11comp_targetILNS1_3genE3ELNS1_11target_archE908ELNS1_3gpuE7ELNS1_3repE0EEENS1_30default_config_static_selectorELNS0_4arch9wavefront6targetE1EEEvT1_ ; -- Begin function _ZN7rocprim17ROCPRIM_400000_NS6detail17trampoline_kernelINS0_14default_configENS1_25partition_config_selectorILNS1_17partition_subalgoE1EsNS0_10empty_typeEbEEZZNS1_14partition_implILS5_1ELb0ES3_jN6thrust23THRUST_200600_302600_NS6detail15normal_iteratorINSA_10device_ptrIsEEEEPS6_NSA_18transform_iteratorINSA_8identityIsEESF_NSA_11use_defaultESK_EENS0_5tupleIJSF_SF_EEENSM_IJSG_SG_EEES6_PlJS6_EEE10hipError_tPvRmT3_T4_T5_T6_T7_T9_mT8_P12ihipStream_tbDpT10_ENKUlT_T0_E_clISt17integral_constantIbLb0EES19_EEDaS14_S15_EUlS14_E_NS1_11comp_targetILNS1_3genE3ELNS1_11target_archE908ELNS1_3gpuE7ELNS1_3repE0EEENS1_30default_config_static_selectorELNS0_4arch9wavefront6targetE1EEEvT1_
	.globl	_ZN7rocprim17ROCPRIM_400000_NS6detail17trampoline_kernelINS0_14default_configENS1_25partition_config_selectorILNS1_17partition_subalgoE1EsNS0_10empty_typeEbEEZZNS1_14partition_implILS5_1ELb0ES3_jN6thrust23THRUST_200600_302600_NS6detail15normal_iteratorINSA_10device_ptrIsEEEEPS6_NSA_18transform_iteratorINSA_8identityIsEESF_NSA_11use_defaultESK_EENS0_5tupleIJSF_SF_EEENSM_IJSG_SG_EEES6_PlJS6_EEE10hipError_tPvRmT3_T4_T5_T6_T7_T9_mT8_P12ihipStream_tbDpT10_ENKUlT_T0_E_clISt17integral_constantIbLb0EES19_EEDaS14_S15_EUlS14_E_NS1_11comp_targetILNS1_3genE3ELNS1_11target_archE908ELNS1_3gpuE7ELNS1_3repE0EEENS1_30default_config_static_selectorELNS0_4arch9wavefront6targetE1EEEvT1_
	.p2align	8
	.type	_ZN7rocprim17ROCPRIM_400000_NS6detail17trampoline_kernelINS0_14default_configENS1_25partition_config_selectorILNS1_17partition_subalgoE1EsNS0_10empty_typeEbEEZZNS1_14partition_implILS5_1ELb0ES3_jN6thrust23THRUST_200600_302600_NS6detail15normal_iteratorINSA_10device_ptrIsEEEEPS6_NSA_18transform_iteratorINSA_8identityIsEESF_NSA_11use_defaultESK_EENS0_5tupleIJSF_SF_EEENSM_IJSG_SG_EEES6_PlJS6_EEE10hipError_tPvRmT3_T4_T5_T6_T7_T9_mT8_P12ihipStream_tbDpT10_ENKUlT_T0_E_clISt17integral_constantIbLb0EES19_EEDaS14_S15_EUlS14_E_NS1_11comp_targetILNS1_3genE3ELNS1_11target_archE908ELNS1_3gpuE7ELNS1_3repE0EEENS1_30default_config_static_selectorELNS0_4arch9wavefront6targetE1EEEvT1_,@function
_ZN7rocprim17ROCPRIM_400000_NS6detail17trampoline_kernelINS0_14default_configENS1_25partition_config_selectorILNS1_17partition_subalgoE1EsNS0_10empty_typeEbEEZZNS1_14partition_implILS5_1ELb0ES3_jN6thrust23THRUST_200600_302600_NS6detail15normal_iteratorINSA_10device_ptrIsEEEEPS6_NSA_18transform_iteratorINSA_8identityIsEESF_NSA_11use_defaultESK_EENS0_5tupleIJSF_SF_EEENSM_IJSG_SG_EEES6_PlJS6_EEE10hipError_tPvRmT3_T4_T5_T6_T7_T9_mT8_P12ihipStream_tbDpT10_ENKUlT_T0_E_clISt17integral_constantIbLb0EES19_EEDaS14_S15_EUlS14_E_NS1_11comp_targetILNS1_3genE3ELNS1_11target_archE908ELNS1_3gpuE7ELNS1_3repE0EEENS1_30default_config_static_selectorELNS0_4arch9wavefront6targetE1EEEvT1_: ; @_ZN7rocprim17ROCPRIM_400000_NS6detail17trampoline_kernelINS0_14default_configENS1_25partition_config_selectorILNS1_17partition_subalgoE1EsNS0_10empty_typeEbEEZZNS1_14partition_implILS5_1ELb0ES3_jN6thrust23THRUST_200600_302600_NS6detail15normal_iteratorINSA_10device_ptrIsEEEEPS6_NSA_18transform_iteratorINSA_8identityIsEESF_NSA_11use_defaultESK_EENS0_5tupleIJSF_SF_EEENSM_IJSG_SG_EEES6_PlJS6_EEE10hipError_tPvRmT3_T4_T5_T6_T7_T9_mT8_P12ihipStream_tbDpT10_ENKUlT_T0_E_clISt17integral_constantIbLb0EES19_EEDaS14_S15_EUlS14_E_NS1_11comp_targetILNS1_3genE3ELNS1_11target_archE908ELNS1_3gpuE7ELNS1_3repE0EEENS1_30default_config_static_selectorELNS0_4arch9wavefront6targetE1EEEvT1_
; %bb.0:
	.section	.rodata,"a",@progbits
	.p2align	6, 0x0
	.amdhsa_kernel _ZN7rocprim17ROCPRIM_400000_NS6detail17trampoline_kernelINS0_14default_configENS1_25partition_config_selectorILNS1_17partition_subalgoE1EsNS0_10empty_typeEbEEZZNS1_14partition_implILS5_1ELb0ES3_jN6thrust23THRUST_200600_302600_NS6detail15normal_iteratorINSA_10device_ptrIsEEEEPS6_NSA_18transform_iteratorINSA_8identityIsEESF_NSA_11use_defaultESK_EENS0_5tupleIJSF_SF_EEENSM_IJSG_SG_EEES6_PlJS6_EEE10hipError_tPvRmT3_T4_T5_T6_T7_T9_mT8_P12ihipStream_tbDpT10_ENKUlT_T0_E_clISt17integral_constantIbLb0EES19_EEDaS14_S15_EUlS14_E_NS1_11comp_targetILNS1_3genE3ELNS1_11target_archE908ELNS1_3gpuE7ELNS1_3repE0EEENS1_30default_config_static_selectorELNS0_4arch9wavefront6targetE1EEEvT1_
		.amdhsa_group_segment_fixed_size 0
		.amdhsa_private_segment_fixed_size 0
		.amdhsa_kernarg_size 128
		.amdhsa_user_sgpr_count 2
		.amdhsa_user_sgpr_dispatch_ptr 0
		.amdhsa_user_sgpr_queue_ptr 0
		.amdhsa_user_sgpr_kernarg_segment_ptr 1
		.amdhsa_user_sgpr_dispatch_id 0
		.amdhsa_user_sgpr_kernarg_preload_length 0
		.amdhsa_user_sgpr_kernarg_preload_offset 0
		.amdhsa_user_sgpr_private_segment_size 0
		.amdhsa_uses_dynamic_stack 0
		.amdhsa_enable_private_segment 0
		.amdhsa_system_sgpr_workgroup_id_x 1
		.amdhsa_system_sgpr_workgroup_id_y 0
		.amdhsa_system_sgpr_workgroup_id_z 0
		.amdhsa_system_sgpr_workgroup_info 0
		.amdhsa_system_vgpr_workitem_id 0
		.amdhsa_next_free_vgpr 1
		.amdhsa_next_free_sgpr 0
		.amdhsa_accum_offset 4
		.amdhsa_reserve_vcc 0
		.amdhsa_float_round_mode_32 0
		.amdhsa_float_round_mode_16_64 0
		.amdhsa_float_denorm_mode_32 3
		.amdhsa_float_denorm_mode_16_64 3
		.amdhsa_dx10_clamp 1
		.amdhsa_ieee_mode 1
		.amdhsa_fp16_overflow 0
		.amdhsa_tg_split 0
		.amdhsa_exception_fp_ieee_invalid_op 0
		.amdhsa_exception_fp_denorm_src 0
		.amdhsa_exception_fp_ieee_div_zero 0
		.amdhsa_exception_fp_ieee_overflow 0
		.amdhsa_exception_fp_ieee_underflow 0
		.amdhsa_exception_fp_ieee_inexact 0
		.amdhsa_exception_int_div_zero 0
	.end_amdhsa_kernel
	.section	.text._ZN7rocprim17ROCPRIM_400000_NS6detail17trampoline_kernelINS0_14default_configENS1_25partition_config_selectorILNS1_17partition_subalgoE1EsNS0_10empty_typeEbEEZZNS1_14partition_implILS5_1ELb0ES3_jN6thrust23THRUST_200600_302600_NS6detail15normal_iteratorINSA_10device_ptrIsEEEEPS6_NSA_18transform_iteratorINSA_8identityIsEESF_NSA_11use_defaultESK_EENS0_5tupleIJSF_SF_EEENSM_IJSG_SG_EEES6_PlJS6_EEE10hipError_tPvRmT3_T4_T5_T6_T7_T9_mT8_P12ihipStream_tbDpT10_ENKUlT_T0_E_clISt17integral_constantIbLb0EES19_EEDaS14_S15_EUlS14_E_NS1_11comp_targetILNS1_3genE3ELNS1_11target_archE908ELNS1_3gpuE7ELNS1_3repE0EEENS1_30default_config_static_selectorELNS0_4arch9wavefront6targetE1EEEvT1_,"axG",@progbits,_ZN7rocprim17ROCPRIM_400000_NS6detail17trampoline_kernelINS0_14default_configENS1_25partition_config_selectorILNS1_17partition_subalgoE1EsNS0_10empty_typeEbEEZZNS1_14partition_implILS5_1ELb0ES3_jN6thrust23THRUST_200600_302600_NS6detail15normal_iteratorINSA_10device_ptrIsEEEEPS6_NSA_18transform_iteratorINSA_8identityIsEESF_NSA_11use_defaultESK_EENS0_5tupleIJSF_SF_EEENSM_IJSG_SG_EEES6_PlJS6_EEE10hipError_tPvRmT3_T4_T5_T6_T7_T9_mT8_P12ihipStream_tbDpT10_ENKUlT_T0_E_clISt17integral_constantIbLb0EES19_EEDaS14_S15_EUlS14_E_NS1_11comp_targetILNS1_3genE3ELNS1_11target_archE908ELNS1_3gpuE7ELNS1_3repE0EEENS1_30default_config_static_selectorELNS0_4arch9wavefront6targetE1EEEvT1_,comdat
.Lfunc_end644:
	.size	_ZN7rocprim17ROCPRIM_400000_NS6detail17trampoline_kernelINS0_14default_configENS1_25partition_config_selectorILNS1_17partition_subalgoE1EsNS0_10empty_typeEbEEZZNS1_14partition_implILS5_1ELb0ES3_jN6thrust23THRUST_200600_302600_NS6detail15normal_iteratorINSA_10device_ptrIsEEEEPS6_NSA_18transform_iteratorINSA_8identityIsEESF_NSA_11use_defaultESK_EENS0_5tupleIJSF_SF_EEENSM_IJSG_SG_EEES6_PlJS6_EEE10hipError_tPvRmT3_T4_T5_T6_T7_T9_mT8_P12ihipStream_tbDpT10_ENKUlT_T0_E_clISt17integral_constantIbLb0EES19_EEDaS14_S15_EUlS14_E_NS1_11comp_targetILNS1_3genE3ELNS1_11target_archE908ELNS1_3gpuE7ELNS1_3repE0EEENS1_30default_config_static_selectorELNS0_4arch9wavefront6targetE1EEEvT1_, .Lfunc_end644-_ZN7rocprim17ROCPRIM_400000_NS6detail17trampoline_kernelINS0_14default_configENS1_25partition_config_selectorILNS1_17partition_subalgoE1EsNS0_10empty_typeEbEEZZNS1_14partition_implILS5_1ELb0ES3_jN6thrust23THRUST_200600_302600_NS6detail15normal_iteratorINSA_10device_ptrIsEEEEPS6_NSA_18transform_iteratorINSA_8identityIsEESF_NSA_11use_defaultESK_EENS0_5tupleIJSF_SF_EEENSM_IJSG_SG_EEES6_PlJS6_EEE10hipError_tPvRmT3_T4_T5_T6_T7_T9_mT8_P12ihipStream_tbDpT10_ENKUlT_T0_E_clISt17integral_constantIbLb0EES19_EEDaS14_S15_EUlS14_E_NS1_11comp_targetILNS1_3genE3ELNS1_11target_archE908ELNS1_3gpuE7ELNS1_3repE0EEENS1_30default_config_static_selectorELNS0_4arch9wavefront6targetE1EEEvT1_
                                        ; -- End function
	.section	.AMDGPU.csdata,"",@progbits
; Kernel info:
; codeLenInByte = 0
; NumSgprs: 6
; NumVgprs: 0
; NumAgprs: 0
; TotalNumVgprs: 0
; ScratchSize: 0
; MemoryBound: 0
; FloatMode: 240
; IeeeMode: 1
; LDSByteSize: 0 bytes/workgroup (compile time only)
; SGPRBlocks: 0
; VGPRBlocks: 0
; NumSGPRsForWavesPerEU: 6
; NumVGPRsForWavesPerEU: 1
; AccumOffset: 4
; Occupancy: 8
; WaveLimiterHint : 0
; COMPUTE_PGM_RSRC2:SCRATCH_EN: 0
; COMPUTE_PGM_RSRC2:USER_SGPR: 2
; COMPUTE_PGM_RSRC2:TRAP_HANDLER: 0
; COMPUTE_PGM_RSRC2:TGID_X_EN: 1
; COMPUTE_PGM_RSRC2:TGID_Y_EN: 0
; COMPUTE_PGM_RSRC2:TGID_Z_EN: 0
; COMPUTE_PGM_RSRC2:TIDIG_COMP_CNT: 0
; COMPUTE_PGM_RSRC3_GFX90A:ACCUM_OFFSET: 0
; COMPUTE_PGM_RSRC3_GFX90A:TG_SPLIT: 0
	.section	.text._ZN7rocprim17ROCPRIM_400000_NS6detail17trampoline_kernelINS0_14default_configENS1_25partition_config_selectorILNS1_17partition_subalgoE1EsNS0_10empty_typeEbEEZZNS1_14partition_implILS5_1ELb0ES3_jN6thrust23THRUST_200600_302600_NS6detail15normal_iteratorINSA_10device_ptrIsEEEEPS6_NSA_18transform_iteratorINSA_8identityIsEESF_NSA_11use_defaultESK_EENS0_5tupleIJSF_SF_EEENSM_IJSG_SG_EEES6_PlJS6_EEE10hipError_tPvRmT3_T4_T5_T6_T7_T9_mT8_P12ihipStream_tbDpT10_ENKUlT_T0_E_clISt17integral_constantIbLb0EES19_EEDaS14_S15_EUlS14_E_NS1_11comp_targetILNS1_3genE2ELNS1_11target_archE906ELNS1_3gpuE6ELNS1_3repE0EEENS1_30default_config_static_selectorELNS0_4arch9wavefront6targetE1EEEvT1_,"axG",@progbits,_ZN7rocprim17ROCPRIM_400000_NS6detail17trampoline_kernelINS0_14default_configENS1_25partition_config_selectorILNS1_17partition_subalgoE1EsNS0_10empty_typeEbEEZZNS1_14partition_implILS5_1ELb0ES3_jN6thrust23THRUST_200600_302600_NS6detail15normal_iteratorINSA_10device_ptrIsEEEEPS6_NSA_18transform_iteratorINSA_8identityIsEESF_NSA_11use_defaultESK_EENS0_5tupleIJSF_SF_EEENSM_IJSG_SG_EEES6_PlJS6_EEE10hipError_tPvRmT3_T4_T5_T6_T7_T9_mT8_P12ihipStream_tbDpT10_ENKUlT_T0_E_clISt17integral_constantIbLb0EES19_EEDaS14_S15_EUlS14_E_NS1_11comp_targetILNS1_3genE2ELNS1_11target_archE906ELNS1_3gpuE6ELNS1_3repE0EEENS1_30default_config_static_selectorELNS0_4arch9wavefront6targetE1EEEvT1_,comdat
	.protected	_ZN7rocprim17ROCPRIM_400000_NS6detail17trampoline_kernelINS0_14default_configENS1_25partition_config_selectorILNS1_17partition_subalgoE1EsNS0_10empty_typeEbEEZZNS1_14partition_implILS5_1ELb0ES3_jN6thrust23THRUST_200600_302600_NS6detail15normal_iteratorINSA_10device_ptrIsEEEEPS6_NSA_18transform_iteratorINSA_8identityIsEESF_NSA_11use_defaultESK_EENS0_5tupleIJSF_SF_EEENSM_IJSG_SG_EEES6_PlJS6_EEE10hipError_tPvRmT3_T4_T5_T6_T7_T9_mT8_P12ihipStream_tbDpT10_ENKUlT_T0_E_clISt17integral_constantIbLb0EES19_EEDaS14_S15_EUlS14_E_NS1_11comp_targetILNS1_3genE2ELNS1_11target_archE906ELNS1_3gpuE6ELNS1_3repE0EEENS1_30default_config_static_selectorELNS0_4arch9wavefront6targetE1EEEvT1_ ; -- Begin function _ZN7rocprim17ROCPRIM_400000_NS6detail17trampoline_kernelINS0_14default_configENS1_25partition_config_selectorILNS1_17partition_subalgoE1EsNS0_10empty_typeEbEEZZNS1_14partition_implILS5_1ELb0ES3_jN6thrust23THRUST_200600_302600_NS6detail15normal_iteratorINSA_10device_ptrIsEEEEPS6_NSA_18transform_iteratorINSA_8identityIsEESF_NSA_11use_defaultESK_EENS0_5tupleIJSF_SF_EEENSM_IJSG_SG_EEES6_PlJS6_EEE10hipError_tPvRmT3_T4_T5_T6_T7_T9_mT8_P12ihipStream_tbDpT10_ENKUlT_T0_E_clISt17integral_constantIbLb0EES19_EEDaS14_S15_EUlS14_E_NS1_11comp_targetILNS1_3genE2ELNS1_11target_archE906ELNS1_3gpuE6ELNS1_3repE0EEENS1_30default_config_static_selectorELNS0_4arch9wavefront6targetE1EEEvT1_
	.globl	_ZN7rocprim17ROCPRIM_400000_NS6detail17trampoline_kernelINS0_14default_configENS1_25partition_config_selectorILNS1_17partition_subalgoE1EsNS0_10empty_typeEbEEZZNS1_14partition_implILS5_1ELb0ES3_jN6thrust23THRUST_200600_302600_NS6detail15normal_iteratorINSA_10device_ptrIsEEEEPS6_NSA_18transform_iteratorINSA_8identityIsEESF_NSA_11use_defaultESK_EENS0_5tupleIJSF_SF_EEENSM_IJSG_SG_EEES6_PlJS6_EEE10hipError_tPvRmT3_T4_T5_T6_T7_T9_mT8_P12ihipStream_tbDpT10_ENKUlT_T0_E_clISt17integral_constantIbLb0EES19_EEDaS14_S15_EUlS14_E_NS1_11comp_targetILNS1_3genE2ELNS1_11target_archE906ELNS1_3gpuE6ELNS1_3repE0EEENS1_30default_config_static_selectorELNS0_4arch9wavefront6targetE1EEEvT1_
	.p2align	8
	.type	_ZN7rocprim17ROCPRIM_400000_NS6detail17trampoline_kernelINS0_14default_configENS1_25partition_config_selectorILNS1_17partition_subalgoE1EsNS0_10empty_typeEbEEZZNS1_14partition_implILS5_1ELb0ES3_jN6thrust23THRUST_200600_302600_NS6detail15normal_iteratorINSA_10device_ptrIsEEEEPS6_NSA_18transform_iteratorINSA_8identityIsEESF_NSA_11use_defaultESK_EENS0_5tupleIJSF_SF_EEENSM_IJSG_SG_EEES6_PlJS6_EEE10hipError_tPvRmT3_T4_T5_T6_T7_T9_mT8_P12ihipStream_tbDpT10_ENKUlT_T0_E_clISt17integral_constantIbLb0EES19_EEDaS14_S15_EUlS14_E_NS1_11comp_targetILNS1_3genE2ELNS1_11target_archE906ELNS1_3gpuE6ELNS1_3repE0EEENS1_30default_config_static_selectorELNS0_4arch9wavefront6targetE1EEEvT1_,@function
_ZN7rocprim17ROCPRIM_400000_NS6detail17trampoline_kernelINS0_14default_configENS1_25partition_config_selectorILNS1_17partition_subalgoE1EsNS0_10empty_typeEbEEZZNS1_14partition_implILS5_1ELb0ES3_jN6thrust23THRUST_200600_302600_NS6detail15normal_iteratorINSA_10device_ptrIsEEEEPS6_NSA_18transform_iteratorINSA_8identityIsEESF_NSA_11use_defaultESK_EENS0_5tupleIJSF_SF_EEENSM_IJSG_SG_EEES6_PlJS6_EEE10hipError_tPvRmT3_T4_T5_T6_T7_T9_mT8_P12ihipStream_tbDpT10_ENKUlT_T0_E_clISt17integral_constantIbLb0EES19_EEDaS14_S15_EUlS14_E_NS1_11comp_targetILNS1_3genE2ELNS1_11target_archE906ELNS1_3gpuE6ELNS1_3repE0EEENS1_30default_config_static_selectorELNS0_4arch9wavefront6targetE1EEEvT1_: ; @_ZN7rocprim17ROCPRIM_400000_NS6detail17trampoline_kernelINS0_14default_configENS1_25partition_config_selectorILNS1_17partition_subalgoE1EsNS0_10empty_typeEbEEZZNS1_14partition_implILS5_1ELb0ES3_jN6thrust23THRUST_200600_302600_NS6detail15normal_iteratorINSA_10device_ptrIsEEEEPS6_NSA_18transform_iteratorINSA_8identityIsEESF_NSA_11use_defaultESK_EENS0_5tupleIJSF_SF_EEENSM_IJSG_SG_EEES6_PlJS6_EEE10hipError_tPvRmT3_T4_T5_T6_T7_T9_mT8_P12ihipStream_tbDpT10_ENKUlT_T0_E_clISt17integral_constantIbLb0EES19_EEDaS14_S15_EUlS14_E_NS1_11comp_targetILNS1_3genE2ELNS1_11target_archE906ELNS1_3gpuE6ELNS1_3repE0EEENS1_30default_config_static_selectorELNS0_4arch9wavefront6targetE1EEEvT1_
; %bb.0:
	.section	.rodata,"a",@progbits
	.p2align	6, 0x0
	.amdhsa_kernel _ZN7rocprim17ROCPRIM_400000_NS6detail17trampoline_kernelINS0_14default_configENS1_25partition_config_selectorILNS1_17partition_subalgoE1EsNS0_10empty_typeEbEEZZNS1_14partition_implILS5_1ELb0ES3_jN6thrust23THRUST_200600_302600_NS6detail15normal_iteratorINSA_10device_ptrIsEEEEPS6_NSA_18transform_iteratorINSA_8identityIsEESF_NSA_11use_defaultESK_EENS0_5tupleIJSF_SF_EEENSM_IJSG_SG_EEES6_PlJS6_EEE10hipError_tPvRmT3_T4_T5_T6_T7_T9_mT8_P12ihipStream_tbDpT10_ENKUlT_T0_E_clISt17integral_constantIbLb0EES19_EEDaS14_S15_EUlS14_E_NS1_11comp_targetILNS1_3genE2ELNS1_11target_archE906ELNS1_3gpuE6ELNS1_3repE0EEENS1_30default_config_static_selectorELNS0_4arch9wavefront6targetE1EEEvT1_
		.amdhsa_group_segment_fixed_size 0
		.amdhsa_private_segment_fixed_size 0
		.amdhsa_kernarg_size 128
		.amdhsa_user_sgpr_count 2
		.amdhsa_user_sgpr_dispatch_ptr 0
		.amdhsa_user_sgpr_queue_ptr 0
		.amdhsa_user_sgpr_kernarg_segment_ptr 1
		.amdhsa_user_sgpr_dispatch_id 0
		.amdhsa_user_sgpr_kernarg_preload_length 0
		.amdhsa_user_sgpr_kernarg_preload_offset 0
		.amdhsa_user_sgpr_private_segment_size 0
		.amdhsa_uses_dynamic_stack 0
		.amdhsa_enable_private_segment 0
		.amdhsa_system_sgpr_workgroup_id_x 1
		.amdhsa_system_sgpr_workgroup_id_y 0
		.amdhsa_system_sgpr_workgroup_id_z 0
		.amdhsa_system_sgpr_workgroup_info 0
		.amdhsa_system_vgpr_workitem_id 0
		.amdhsa_next_free_vgpr 1
		.amdhsa_next_free_sgpr 0
		.amdhsa_accum_offset 4
		.amdhsa_reserve_vcc 0
		.amdhsa_float_round_mode_32 0
		.amdhsa_float_round_mode_16_64 0
		.amdhsa_float_denorm_mode_32 3
		.amdhsa_float_denorm_mode_16_64 3
		.amdhsa_dx10_clamp 1
		.amdhsa_ieee_mode 1
		.amdhsa_fp16_overflow 0
		.amdhsa_tg_split 0
		.amdhsa_exception_fp_ieee_invalid_op 0
		.amdhsa_exception_fp_denorm_src 0
		.amdhsa_exception_fp_ieee_div_zero 0
		.amdhsa_exception_fp_ieee_overflow 0
		.amdhsa_exception_fp_ieee_underflow 0
		.amdhsa_exception_fp_ieee_inexact 0
		.amdhsa_exception_int_div_zero 0
	.end_amdhsa_kernel
	.section	.text._ZN7rocprim17ROCPRIM_400000_NS6detail17trampoline_kernelINS0_14default_configENS1_25partition_config_selectorILNS1_17partition_subalgoE1EsNS0_10empty_typeEbEEZZNS1_14partition_implILS5_1ELb0ES3_jN6thrust23THRUST_200600_302600_NS6detail15normal_iteratorINSA_10device_ptrIsEEEEPS6_NSA_18transform_iteratorINSA_8identityIsEESF_NSA_11use_defaultESK_EENS0_5tupleIJSF_SF_EEENSM_IJSG_SG_EEES6_PlJS6_EEE10hipError_tPvRmT3_T4_T5_T6_T7_T9_mT8_P12ihipStream_tbDpT10_ENKUlT_T0_E_clISt17integral_constantIbLb0EES19_EEDaS14_S15_EUlS14_E_NS1_11comp_targetILNS1_3genE2ELNS1_11target_archE906ELNS1_3gpuE6ELNS1_3repE0EEENS1_30default_config_static_selectorELNS0_4arch9wavefront6targetE1EEEvT1_,"axG",@progbits,_ZN7rocprim17ROCPRIM_400000_NS6detail17trampoline_kernelINS0_14default_configENS1_25partition_config_selectorILNS1_17partition_subalgoE1EsNS0_10empty_typeEbEEZZNS1_14partition_implILS5_1ELb0ES3_jN6thrust23THRUST_200600_302600_NS6detail15normal_iteratorINSA_10device_ptrIsEEEEPS6_NSA_18transform_iteratorINSA_8identityIsEESF_NSA_11use_defaultESK_EENS0_5tupleIJSF_SF_EEENSM_IJSG_SG_EEES6_PlJS6_EEE10hipError_tPvRmT3_T4_T5_T6_T7_T9_mT8_P12ihipStream_tbDpT10_ENKUlT_T0_E_clISt17integral_constantIbLb0EES19_EEDaS14_S15_EUlS14_E_NS1_11comp_targetILNS1_3genE2ELNS1_11target_archE906ELNS1_3gpuE6ELNS1_3repE0EEENS1_30default_config_static_selectorELNS0_4arch9wavefront6targetE1EEEvT1_,comdat
.Lfunc_end645:
	.size	_ZN7rocprim17ROCPRIM_400000_NS6detail17trampoline_kernelINS0_14default_configENS1_25partition_config_selectorILNS1_17partition_subalgoE1EsNS0_10empty_typeEbEEZZNS1_14partition_implILS5_1ELb0ES3_jN6thrust23THRUST_200600_302600_NS6detail15normal_iteratorINSA_10device_ptrIsEEEEPS6_NSA_18transform_iteratorINSA_8identityIsEESF_NSA_11use_defaultESK_EENS0_5tupleIJSF_SF_EEENSM_IJSG_SG_EEES6_PlJS6_EEE10hipError_tPvRmT3_T4_T5_T6_T7_T9_mT8_P12ihipStream_tbDpT10_ENKUlT_T0_E_clISt17integral_constantIbLb0EES19_EEDaS14_S15_EUlS14_E_NS1_11comp_targetILNS1_3genE2ELNS1_11target_archE906ELNS1_3gpuE6ELNS1_3repE0EEENS1_30default_config_static_selectorELNS0_4arch9wavefront6targetE1EEEvT1_, .Lfunc_end645-_ZN7rocprim17ROCPRIM_400000_NS6detail17trampoline_kernelINS0_14default_configENS1_25partition_config_selectorILNS1_17partition_subalgoE1EsNS0_10empty_typeEbEEZZNS1_14partition_implILS5_1ELb0ES3_jN6thrust23THRUST_200600_302600_NS6detail15normal_iteratorINSA_10device_ptrIsEEEEPS6_NSA_18transform_iteratorINSA_8identityIsEESF_NSA_11use_defaultESK_EENS0_5tupleIJSF_SF_EEENSM_IJSG_SG_EEES6_PlJS6_EEE10hipError_tPvRmT3_T4_T5_T6_T7_T9_mT8_P12ihipStream_tbDpT10_ENKUlT_T0_E_clISt17integral_constantIbLb0EES19_EEDaS14_S15_EUlS14_E_NS1_11comp_targetILNS1_3genE2ELNS1_11target_archE906ELNS1_3gpuE6ELNS1_3repE0EEENS1_30default_config_static_selectorELNS0_4arch9wavefront6targetE1EEEvT1_
                                        ; -- End function
	.section	.AMDGPU.csdata,"",@progbits
; Kernel info:
; codeLenInByte = 0
; NumSgprs: 6
; NumVgprs: 0
; NumAgprs: 0
; TotalNumVgprs: 0
; ScratchSize: 0
; MemoryBound: 0
; FloatMode: 240
; IeeeMode: 1
; LDSByteSize: 0 bytes/workgroup (compile time only)
; SGPRBlocks: 0
; VGPRBlocks: 0
; NumSGPRsForWavesPerEU: 6
; NumVGPRsForWavesPerEU: 1
; AccumOffset: 4
; Occupancy: 8
; WaveLimiterHint : 0
; COMPUTE_PGM_RSRC2:SCRATCH_EN: 0
; COMPUTE_PGM_RSRC2:USER_SGPR: 2
; COMPUTE_PGM_RSRC2:TRAP_HANDLER: 0
; COMPUTE_PGM_RSRC2:TGID_X_EN: 1
; COMPUTE_PGM_RSRC2:TGID_Y_EN: 0
; COMPUTE_PGM_RSRC2:TGID_Z_EN: 0
; COMPUTE_PGM_RSRC2:TIDIG_COMP_CNT: 0
; COMPUTE_PGM_RSRC3_GFX90A:ACCUM_OFFSET: 0
; COMPUTE_PGM_RSRC3_GFX90A:TG_SPLIT: 0
	.section	.text._ZN7rocprim17ROCPRIM_400000_NS6detail17trampoline_kernelINS0_14default_configENS1_25partition_config_selectorILNS1_17partition_subalgoE1EsNS0_10empty_typeEbEEZZNS1_14partition_implILS5_1ELb0ES3_jN6thrust23THRUST_200600_302600_NS6detail15normal_iteratorINSA_10device_ptrIsEEEEPS6_NSA_18transform_iteratorINSA_8identityIsEESF_NSA_11use_defaultESK_EENS0_5tupleIJSF_SF_EEENSM_IJSG_SG_EEES6_PlJS6_EEE10hipError_tPvRmT3_T4_T5_T6_T7_T9_mT8_P12ihipStream_tbDpT10_ENKUlT_T0_E_clISt17integral_constantIbLb0EES19_EEDaS14_S15_EUlS14_E_NS1_11comp_targetILNS1_3genE10ELNS1_11target_archE1200ELNS1_3gpuE4ELNS1_3repE0EEENS1_30default_config_static_selectorELNS0_4arch9wavefront6targetE1EEEvT1_,"axG",@progbits,_ZN7rocprim17ROCPRIM_400000_NS6detail17trampoline_kernelINS0_14default_configENS1_25partition_config_selectorILNS1_17partition_subalgoE1EsNS0_10empty_typeEbEEZZNS1_14partition_implILS5_1ELb0ES3_jN6thrust23THRUST_200600_302600_NS6detail15normal_iteratorINSA_10device_ptrIsEEEEPS6_NSA_18transform_iteratorINSA_8identityIsEESF_NSA_11use_defaultESK_EENS0_5tupleIJSF_SF_EEENSM_IJSG_SG_EEES6_PlJS6_EEE10hipError_tPvRmT3_T4_T5_T6_T7_T9_mT8_P12ihipStream_tbDpT10_ENKUlT_T0_E_clISt17integral_constantIbLb0EES19_EEDaS14_S15_EUlS14_E_NS1_11comp_targetILNS1_3genE10ELNS1_11target_archE1200ELNS1_3gpuE4ELNS1_3repE0EEENS1_30default_config_static_selectorELNS0_4arch9wavefront6targetE1EEEvT1_,comdat
	.protected	_ZN7rocprim17ROCPRIM_400000_NS6detail17trampoline_kernelINS0_14default_configENS1_25partition_config_selectorILNS1_17partition_subalgoE1EsNS0_10empty_typeEbEEZZNS1_14partition_implILS5_1ELb0ES3_jN6thrust23THRUST_200600_302600_NS6detail15normal_iteratorINSA_10device_ptrIsEEEEPS6_NSA_18transform_iteratorINSA_8identityIsEESF_NSA_11use_defaultESK_EENS0_5tupleIJSF_SF_EEENSM_IJSG_SG_EEES6_PlJS6_EEE10hipError_tPvRmT3_T4_T5_T6_T7_T9_mT8_P12ihipStream_tbDpT10_ENKUlT_T0_E_clISt17integral_constantIbLb0EES19_EEDaS14_S15_EUlS14_E_NS1_11comp_targetILNS1_3genE10ELNS1_11target_archE1200ELNS1_3gpuE4ELNS1_3repE0EEENS1_30default_config_static_selectorELNS0_4arch9wavefront6targetE1EEEvT1_ ; -- Begin function _ZN7rocprim17ROCPRIM_400000_NS6detail17trampoline_kernelINS0_14default_configENS1_25partition_config_selectorILNS1_17partition_subalgoE1EsNS0_10empty_typeEbEEZZNS1_14partition_implILS5_1ELb0ES3_jN6thrust23THRUST_200600_302600_NS6detail15normal_iteratorINSA_10device_ptrIsEEEEPS6_NSA_18transform_iteratorINSA_8identityIsEESF_NSA_11use_defaultESK_EENS0_5tupleIJSF_SF_EEENSM_IJSG_SG_EEES6_PlJS6_EEE10hipError_tPvRmT3_T4_T5_T6_T7_T9_mT8_P12ihipStream_tbDpT10_ENKUlT_T0_E_clISt17integral_constantIbLb0EES19_EEDaS14_S15_EUlS14_E_NS1_11comp_targetILNS1_3genE10ELNS1_11target_archE1200ELNS1_3gpuE4ELNS1_3repE0EEENS1_30default_config_static_selectorELNS0_4arch9wavefront6targetE1EEEvT1_
	.globl	_ZN7rocprim17ROCPRIM_400000_NS6detail17trampoline_kernelINS0_14default_configENS1_25partition_config_selectorILNS1_17partition_subalgoE1EsNS0_10empty_typeEbEEZZNS1_14partition_implILS5_1ELb0ES3_jN6thrust23THRUST_200600_302600_NS6detail15normal_iteratorINSA_10device_ptrIsEEEEPS6_NSA_18transform_iteratorINSA_8identityIsEESF_NSA_11use_defaultESK_EENS0_5tupleIJSF_SF_EEENSM_IJSG_SG_EEES6_PlJS6_EEE10hipError_tPvRmT3_T4_T5_T6_T7_T9_mT8_P12ihipStream_tbDpT10_ENKUlT_T0_E_clISt17integral_constantIbLb0EES19_EEDaS14_S15_EUlS14_E_NS1_11comp_targetILNS1_3genE10ELNS1_11target_archE1200ELNS1_3gpuE4ELNS1_3repE0EEENS1_30default_config_static_selectorELNS0_4arch9wavefront6targetE1EEEvT1_
	.p2align	8
	.type	_ZN7rocprim17ROCPRIM_400000_NS6detail17trampoline_kernelINS0_14default_configENS1_25partition_config_selectorILNS1_17partition_subalgoE1EsNS0_10empty_typeEbEEZZNS1_14partition_implILS5_1ELb0ES3_jN6thrust23THRUST_200600_302600_NS6detail15normal_iteratorINSA_10device_ptrIsEEEEPS6_NSA_18transform_iteratorINSA_8identityIsEESF_NSA_11use_defaultESK_EENS0_5tupleIJSF_SF_EEENSM_IJSG_SG_EEES6_PlJS6_EEE10hipError_tPvRmT3_T4_T5_T6_T7_T9_mT8_P12ihipStream_tbDpT10_ENKUlT_T0_E_clISt17integral_constantIbLb0EES19_EEDaS14_S15_EUlS14_E_NS1_11comp_targetILNS1_3genE10ELNS1_11target_archE1200ELNS1_3gpuE4ELNS1_3repE0EEENS1_30default_config_static_selectorELNS0_4arch9wavefront6targetE1EEEvT1_,@function
_ZN7rocprim17ROCPRIM_400000_NS6detail17trampoline_kernelINS0_14default_configENS1_25partition_config_selectorILNS1_17partition_subalgoE1EsNS0_10empty_typeEbEEZZNS1_14partition_implILS5_1ELb0ES3_jN6thrust23THRUST_200600_302600_NS6detail15normal_iteratorINSA_10device_ptrIsEEEEPS6_NSA_18transform_iteratorINSA_8identityIsEESF_NSA_11use_defaultESK_EENS0_5tupleIJSF_SF_EEENSM_IJSG_SG_EEES6_PlJS6_EEE10hipError_tPvRmT3_T4_T5_T6_T7_T9_mT8_P12ihipStream_tbDpT10_ENKUlT_T0_E_clISt17integral_constantIbLb0EES19_EEDaS14_S15_EUlS14_E_NS1_11comp_targetILNS1_3genE10ELNS1_11target_archE1200ELNS1_3gpuE4ELNS1_3repE0EEENS1_30default_config_static_selectorELNS0_4arch9wavefront6targetE1EEEvT1_: ; @_ZN7rocprim17ROCPRIM_400000_NS6detail17trampoline_kernelINS0_14default_configENS1_25partition_config_selectorILNS1_17partition_subalgoE1EsNS0_10empty_typeEbEEZZNS1_14partition_implILS5_1ELb0ES3_jN6thrust23THRUST_200600_302600_NS6detail15normal_iteratorINSA_10device_ptrIsEEEEPS6_NSA_18transform_iteratorINSA_8identityIsEESF_NSA_11use_defaultESK_EENS0_5tupleIJSF_SF_EEENSM_IJSG_SG_EEES6_PlJS6_EEE10hipError_tPvRmT3_T4_T5_T6_T7_T9_mT8_P12ihipStream_tbDpT10_ENKUlT_T0_E_clISt17integral_constantIbLb0EES19_EEDaS14_S15_EUlS14_E_NS1_11comp_targetILNS1_3genE10ELNS1_11target_archE1200ELNS1_3gpuE4ELNS1_3repE0EEENS1_30default_config_static_selectorELNS0_4arch9wavefront6targetE1EEEvT1_
; %bb.0:
	.section	.rodata,"a",@progbits
	.p2align	6, 0x0
	.amdhsa_kernel _ZN7rocprim17ROCPRIM_400000_NS6detail17trampoline_kernelINS0_14default_configENS1_25partition_config_selectorILNS1_17partition_subalgoE1EsNS0_10empty_typeEbEEZZNS1_14partition_implILS5_1ELb0ES3_jN6thrust23THRUST_200600_302600_NS6detail15normal_iteratorINSA_10device_ptrIsEEEEPS6_NSA_18transform_iteratorINSA_8identityIsEESF_NSA_11use_defaultESK_EENS0_5tupleIJSF_SF_EEENSM_IJSG_SG_EEES6_PlJS6_EEE10hipError_tPvRmT3_T4_T5_T6_T7_T9_mT8_P12ihipStream_tbDpT10_ENKUlT_T0_E_clISt17integral_constantIbLb0EES19_EEDaS14_S15_EUlS14_E_NS1_11comp_targetILNS1_3genE10ELNS1_11target_archE1200ELNS1_3gpuE4ELNS1_3repE0EEENS1_30default_config_static_selectorELNS0_4arch9wavefront6targetE1EEEvT1_
		.amdhsa_group_segment_fixed_size 0
		.amdhsa_private_segment_fixed_size 0
		.amdhsa_kernarg_size 128
		.amdhsa_user_sgpr_count 2
		.amdhsa_user_sgpr_dispatch_ptr 0
		.amdhsa_user_sgpr_queue_ptr 0
		.amdhsa_user_sgpr_kernarg_segment_ptr 1
		.amdhsa_user_sgpr_dispatch_id 0
		.amdhsa_user_sgpr_kernarg_preload_length 0
		.amdhsa_user_sgpr_kernarg_preload_offset 0
		.amdhsa_user_sgpr_private_segment_size 0
		.amdhsa_uses_dynamic_stack 0
		.amdhsa_enable_private_segment 0
		.amdhsa_system_sgpr_workgroup_id_x 1
		.amdhsa_system_sgpr_workgroup_id_y 0
		.amdhsa_system_sgpr_workgroup_id_z 0
		.amdhsa_system_sgpr_workgroup_info 0
		.amdhsa_system_vgpr_workitem_id 0
		.amdhsa_next_free_vgpr 1
		.amdhsa_next_free_sgpr 0
		.amdhsa_accum_offset 4
		.amdhsa_reserve_vcc 0
		.amdhsa_float_round_mode_32 0
		.amdhsa_float_round_mode_16_64 0
		.amdhsa_float_denorm_mode_32 3
		.amdhsa_float_denorm_mode_16_64 3
		.amdhsa_dx10_clamp 1
		.amdhsa_ieee_mode 1
		.amdhsa_fp16_overflow 0
		.amdhsa_tg_split 0
		.amdhsa_exception_fp_ieee_invalid_op 0
		.amdhsa_exception_fp_denorm_src 0
		.amdhsa_exception_fp_ieee_div_zero 0
		.amdhsa_exception_fp_ieee_overflow 0
		.amdhsa_exception_fp_ieee_underflow 0
		.amdhsa_exception_fp_ieee_inexact 0
		.amdhsa_exception_int_div_zero 0
	.end_amdhsa_kernel
	.section	.text._ZN7rocprim17ROCPRIM_400000_NS6detail17trampoline_kernelINS0_14default_configENS1_25partition_config_selectorILNS1_17partition_subalgoE1EsNS0_10empty_typeEbEEZZNS1_14partition_implILS5_1ELb0ES3_jN6thrust23THRUST_200600_302600_NS6detail15normal_iteratorINSA_10device_ptrIsEEEEPS6_NSA_18transform_iteratorINSA_8identityIsEESF_NSA_11use_defaultESK_EENS0_5tupleIJSF_SF_EEENSM_IJSG_SG_EEES6_PlJS6_EEE10hipError_tPvRmT3_T4_T5_T6_T7_T9_mT8_P12ihipStream_tbDpT10_ENKUlT_T0_E_clISt17integral_constantIbLb0EES19_EEDaS14_S15_EUlS14_E_NS1_11comp_targetILNS1_3genE10ELNS1_11target_archE1200ELNS1_3gpuE4ELNS1_3repE0EEENS1_30default_config_static_selectorELNS0_4arch9wavefront6targetE1EEEvT1_,"axG",@progbits,_ZN7rocprim17ROCPRIM_400000_NS6detail17trampoline_kernelINS0_14default_configENS1_25partition_config_selectorILNS1_17partition_subalgoE1EsNS0_10empty_typeEbEEZZNS1_14partition_implILS5_1ELb0ES3_jN6thrust23THRUST_200600_302600_NS6detail15normal_iteratorINSA_10device_ptrIsEEEEPS6_NSA_18transform_iteratorINSA_8identityIsEESF_NSA_11use_defaultESK_EENS0_5tupleIJSF_SF_EEENSM_IJSG_SG_EEES6_PlJS6_EEE10hipError_tPvRmT3_T4_T5_T6_T7_T9_mT8_P12ihipStream_tbDpT10_ENKUlT_T0_E_clISt17integral_constantIbLb0EES19_EEDaS14_S15_EUlS14_E_NS1_11comp_targetILNS1_3genE10ELNS1_11target_archE1200ELNS1_3gpuE4ELNS1_3repE0EEENS1_30default_config_static_selectorELNS0_4arch9wavefront6targetE1EEEvT1_,comdat
.Lfunc_end646:
	.size	_ZN7rocprim17ROCPRIM_400000_NS6detail17trampoline_kernelINS0_14default_configENS1_25partition_config_selectorILNS1_17partition_subalgoE1EsNS0_10empty_typeEbEEZZNS1_14partition_implILS5_1ELb0ES3_jN6thrust23THRUST_200600_302600_NS6detail15normal_iteratorINSA_10device_ptrIsEEEEPS6_NSA_18transform_iteratorINSA_8identityIsEESF_NSA_11use_defaultESK_EENS0_5tupleIJSF_SF_EEENSM_IJSG_SG_EEES6_PlJS6_EEE10hipError_tPvRmT3_T4_T5_T6_T7_T9_mT8_P12ihipStream_tbDpT10_ENKUlT_T0_E_clISt17integral_constantIbLb0EES19_EEDaS14_S15_EUlS14_E_NS1_11comp_targetILNS1_3genE10ELNS1_11target_archE1200ELNS1_3gpuE4ELNS1_3repE0EEENS1_30default_config_static_selectorELNS0_4arch9wavefront6targetE1EEEvT1_, .Lfunc_end646-_ZN7rocprim17ROCPRIM_400000_NS6detail17trampoline_kernelINS0_14default_configENS1_25partition_config_selectorILNS1_17partition_subalgoE1EsNS0_10empty_typeEbEEZZNS1_14partition_implILS5_1ELb0ES3_jN6thrust23THRUST_200600_302600_NS6detail15normal_iteratorINSA_10device_ptrIsEEEEPS6_NSA_18transform_iteratorINSA_8identityIsEESF_NSA_11use_defaultESK_EENS0_5tupleIJSF_SF_EEENSM_IJSG_SG_EEES6_PlJS6_EEE10hipError_tPvRmT3_T4_T5_T6_T7_T9_mT8_P12ihipStream_tbDpT10_ENKUlT_T0_E_clISt17integral_constantIbLb0EES19_EEDaS14_S15_EUlS14_E_NS1_11comp_targetILNS1_3genE10ELNS1_11target_archE1200ELNS1_3gpuE4ELNS1_3repE0EEENS1_30default_config_static_selectorELNS0_4arch9wavefront6targetE1EEEvT1_
                                        ; -- End function
	.section	.AMDGPU.csdata,"",@progbits
; Kernel info:
; codeLenInByte = 0
; NumSgprs: 6
; NumVgprs: 0
; NumAgprs: 0
; TotalNumVgprs: 0
; ScratchSize: 0
; MemoryBound: 0
; FloatMode: 240
; IeeeMode: 1
; LDSByteSize: 0 bytes/workgroup (compile time only)
; SGPRBlocks: 0
; VGPRBlocks: 0
; NumSGPRsForWavesPerEU: 6
; NumVGPRsForWavesPerEU: 1
; AccumOffset: 4
; Occupancy: 8
; WaveLimiterHint : 0
; COMPUTE_PGM_RSRC2:SCRATCH_EN: 0
; COMPUTE_PGM_RSRC2:USER_SGPR: 2
; COMPUTE_PGM_RSRC2:TRAP_HANDLER: 0
; COMPUTE_PGM_RSRC2:TGID_X_EN: 1
; COMPUTE_PGM_RSRC2:TGID_Y_EN: 0
; COMPUTE_PGM_RSRC2:TGID_Z_EN: 0
; COMPUTE_PGM_RSRC2:TIDIG_COMP_CNT: 0
; COMPUTE_PGM_RSRC3_GFX90A:ACCUM_OFFSET: 0
; COMPUTE_PGM_RSRC3_GFX90A:TG_SPLIT: 0
	.section	.text._ZN7rocprim17ROCPRIM_400000_NS6detail17trampoline_kernelINS0_14default_configENS1_25partition_config_selectorILNS1_17partition_subalgoE1EsNS0_10empty_typeEbEEZZNS1_14partition_implILS5_1ELb0ES3_jN6thrust23THRUST_200600_302600_NS6detail15normal_iteratorINSA_10device_ptrIsEEEEPS6_NSA_18transform_iteratorINSA_8identityIsEESF_NSA_11use_defaultESK_EENS0_5tupleIJSF_SF_EEENSM_IJSG_SG_EEES6_PlJS6_EEE10hipError_tPvRmT3_T4_T5_T6_T7_T9_mT8_P12ihipStream_tbDpT10_ENKUlT_T0_E_clISt17integral_constantIbLb0EES19_EEDaS14_S15_EUlS14_E_NS1_11comp_targetILNS1_3genE9ELNS1_11target_archE1100ELNS1_3gpuE3ELNS1_3repE0EEENS1_30default_config_static_selectorELNS0_4arch9wavefront6targetE1EEEvT1_,"axG",@progbits,_ZN7rocprim17ROCPRIM_400000_NS6detail17trampoline_kernelINS0_14default_configENS1_25partition_config_selectorILNS1_17partition_subalgoE1EsNS0_10empty_typeEbEEZZNS1_14partition_implILS5_1ELb0ES3_jN6thrust23THRUST_200600_302600_NS6detail15normal_iteratorINSA_10device_ptrIsEEEEPS6_NSA_18transform_iteratorINSA_8identityIsEESF_NSA_11use_defaultESK_EENS0_5tupleIJSF_SF_EEENSM_IJSG_SG_EEES6_PlJS6_EEE10hipError_tPvRmT3_T4_T5_T6_T7_T9_mT8_P12ihipStream_tbDpT10_ENKUlT_T0_E_clISt17integral_constantIbLb0EES19_EEDaS14_S15_EUlS14_E_NS1_11comp_targetILNS1_3genE9ELNS1_11target_archE1100ELNS1_3gpuE3ELNS1_3repE0EEENS1_30default_config_static_selectorELNS0_4arch9wavefront6targetE1EEEvT1_,comdat
	.protected	_ZN7rocprim17ROCPRIM_400000_NS6detail17trampoline_kernelINS0_14default_configENS1_25partition_config_selectorILNS1_17partition_subalgoE1EsNS0_10empty_typeEbEEZZNS1_14partition_implILS5_1ELb0ES3_jN6thrust23THRUST_200600_302600_NS6detail15normal_iteratorINSA_10device_ptrIsEEEEPS6_NSA_18transform_iteratorINSA_8identityIsEESF_NSA_11use_defaultESK_EENS0_5tupleIJSF_SF_EEENSM_IJSG_SG_EEES6_PlJS6_EEE10hipError_tPvRmT3_T4_T5_T6_T7_T9_mT8_P12ihipStream_tbDpT10_ENKUlT_T0_E_clISt17integral_constantIbLb0EES19_EEDaS14_S15_EUlS14_E_NS1_11comp_targetILNS1_3genE9ELNS1_11target_archE1100ELNS1_3gpuE3ELNS1_3repE0EEENS1_30default_config_static_selectorELNS0_4arch9wavefront6targetE1EEEvT1_ ; -- Begin function _ZN7rocprim17ROCPRIM_400000_NS6detail17trampoline_kernelINS0_14default_configENS1_25partition_config_selectorILNS1_17partition_subalgoE1EsNS0_10empty_typeEbEEZZNS1_14partition_implILS5_1ELb0ES3_jN6thrust23THRUST_200600_302600_NS6detail15normal_iteratorINSA_10device_ptrIsEEEEPS6_NSA_18transform_iteratorINSA_8identityIsEESF_NSA_11use_defaultESK_EENS0_5tupleIJSF_SF_EEENSM_IJSG_SG_EEES6_PlJS6_EEE10hipError_tPvRmT3_T4_T5_T6_T7_T9_mT8_P12ihipStream_tbDpT10_ENKUlT_T0_E_clISt17integral_constantIbLb0EES19_EEDaS14_S15_EUlS14_E_NS1_11comp_targetILNS1_3genE9ELNS1_11target_archE1100ELNS1_3gpuE3ELNS1_3repE0EEENS1_30default_config_static_selectorELNS0_4arch9wavefront6targetE1EEEvT1_
	.globl	_ZN7rocprim17ROCPRIM_400000_NS6detail17trampoline_kernelINS0_14default_configENS1_25partition_config_selectorILNS1_17partition_subalgoE1EsNS0_10empty_typeEbEEZZNS1_14partition_implILS5_1ELb0ES3_jN6thrust23THRUST_200600_302600_NS6detail15normal_iteratorINSA_10device_ptrIsEEEEPS6_NSA_18transform_iteratorINSA_8identityIsEESF_NSA_11use_defaultESK_EENS0_5tupleIJSF_SF_EEENSM_IJSG_SG_EEES6_PlJS6_EEE10hipError_tPvRmT3_T4_T5_T6_T7_T9_mT8_P12ihipStream_tbDpT10_ENKUlT_T0_E_clISt17integral_constantIbLb0EES19_EEDaS14_S15_EUlS14_E_NS1_11comp_targetILNS1_3genE9ELNS1_11target_archE1100ELNS1_3gpuE3ELNS1_3repE0EEENS1_30default_config_static_selectorELNS0_4arch9wavefront6targetE1EEEvT1_
	.p2align	8
	.type	_ZN7rocprim17ROCPRIM_400000_NS6detail17trampoline_kernelINS0_14default_configENS1_25partition_config_selectorILNS1_17partition_subalgoE1EsNS0_10empty_typeEbEEZZNS1_14partition_implILS5_1ELb0ES3_jN6thrust23THRUST_200600_302600_NS6detail15normal_iteratorINSA_10device_ptrIsEEEEPS6_NSA_18transform_iteratorINSA_8identityIsEESF_NSA_11use_defaultESK_EENS0_5tupleIJSF_SF_EEENSM_IJSG_SG_EEES6_PlJS6_EEE10hipError_tPvRmT3_T4_T5_T6_T7_T9_mT8_P12ihipStream_tbDpT10_ENKUlT_T0_E_clISt17integral_constantIbLb0EES19_EEDaS14_S15_EUlS14_E_NS1_11comp_targetILNS1_3genE9ELNS1_11target_archE1100ELNS1_3gpuE3ELNS1_3repE0EEENS1_30default_config_static_selectorELNS0_4arch9wavefront6targetE1EEEvT1_,@function
_ZN7rocprim17ROCPRIM_400000_NS6detail17trampoline_kernelINS0_14default_configENS1_25partition_config_selectorILNS1_17partition_subalgoE1EsNS0_10empty_typeEbEEZZNS1_14partition_implILS5_1ELb0ES3_jN6thrust23THRUST_200600_302600_NS6detail15normal_iteratorINSA_10device_ptrIsEEEEPS6_NSA_18transform_iteratorINSA_8identityIsEESF_NSA_11use_defaultESK_EENS0_5tupleIJSF_SF_EEENSM_IJSG_SG_EEES6_PlJS6_EEE10hipError_tPvRmT3_T4_T5_T6_T7_T9_mT8_P12ihipStream_tbDpT10_ENKUlT_T0_E_clISt17integral_constantIbLb0EES19_EEDaS14_S15_EUlS14_E_NS1_11comp_targetILNS1_3genE9ELNS1_11target_archE1100ELNS1_3gpuE3ELNS1_3repE0EEENS1_30default_config_static_selectorELNS0_4arch9wavefront6targetE1EEEvT1_: ; @_ZN7rocprim17ROCPRIM_400000_NS6detail17trampoline_kernelINS0_14default_configENS1_25partition_config_selectorILNS1_17partition_subalgoE1EsNS0_10empty_typeEbEEZZNS1_14partition_implILS5_1ELb0ES3_jN6thrust23THRUST_200600_302600_NS6detail15normal_iteratorINSA_10device_ptrIsEEEEPS6_NSA_18transform_iteratorINSA_8identityIsEESF_NSA_11use_defaultESK_EENS0_5tupleIJSF_SF_EEENSM_IJSG_SG_EEES6_PlJS6_EEE10hipError_tPvRmT3_T4_T5_T6_T7_T9_mT8_P12ihipStream_tbDpT10_ENKUlT_T0_E_clISt17integral_constantIbLb0EES19_EEDaS14_S15_EUlS14_E_NS1_11comp_targetILNS1_3genE9ELNS1_11target_archE1100ELNS1_3gpuE3ELNS1_3repE0EEENS1_30default_config_static_selectorELNS0_4arch9wavefront6targetE1EEEvT1_
; %bb.0:
	.section	.rodata,"a",@progbits
	.p2align	6, 0x0
	.amdhsa_kernel _ZN7rocprim17ROCPRIM_400000_NS6detail17trampoline_kernelINS0_14default_configENS1_25partition_config_selectorILNS1_17partition_subalgoE1EsNS0_10empty_typeEbEEZZNS1_14partition_implILS5_1ELb0ES3_jN6thrust23THRUST_200600_302600_NS6detail15normal_iteratorINSA_10device_ptrIsEEEEPS6_NSA_18transform_iteratorINSA_8identityIsEESF_NSA_11use_defaultESK_EENS0_5tupleIJSF_SF_EEENSM_IJSG_SG_EEES6_PlJS6_EEE10hipError_tPvRmT3_T4_T5_T6_T7_T9_mT8_P12ihipStream_tbDpT10_ENKUlT_T0_E_clISt17integral_constantIbLb0EES19_EEDaS14_S15_EUlS14_E_NS1_11comp_targetILNS1_3genE9ELNS1_11target_archE1100ELNS1_3gpuE3ELNS1_3repE0EEENS1_30default_config_static_selectorELNS0_4arch9wavefront6targetE1EEEvT1_
		.amdhsa_group_segment_fixed_size 0
		.amdhsa_private_segment_fixed_size 0
		.amdhsa_kernarg_size 128
		.amdhsa_user_sgpr_count 2
		.amdhsa_user_sgpr_dispatch_ptr 0
		.amdhsa_user_sgpr_queue_ptr 0
		.amdhsa_user_sgpr_kernarg_segment_ptr 1
		.amdhsa_user_sgpr_dispatch_id 0
		.amdhsa_user_sgpr_kernarg_preload_length 0
		.amdhsa_user_sgpr_kernarg_preload_offset 0
		.amdhsa_user_sgpr_private_segment_size 0
		.amdhsa_uses_dynamic_stack 0
		.amdhsa_enable_private_segment 0
		.amdhsa_system_sgpr_workgroup_id_x 1
		.amdhsa_system_sgpr_workgroup_id_y 0
		.amdhsa_system_sgpr_workgroup_id_z 0
		.amdhsa_system_sgpr_workgroup_info 0
		.amdhsa_system_vgpr_workitem_id 0
		.amdhsa_next_free_vgpr 1
		.amdhsa_next_free_sgpr 0
		.amdhsa_accum_offset 4
		.amdhsa_reserve_vcc 0
		.amdhsa_float_round_mode_32 0
		.amdhsa_float_round_mode_16_64 0
		.amdhsa_float_denorm_mode_32 3
		.amdhsa_float_denorm_mode_16_64 3
		.amdhsa_dx10_clamp 1
		.amdhsa_ieee_mode 1
		.amdhsa_fp16_overflow 0
		.amdhsa_tg_split 0
		.amdhsa_exception_fp_ieee_invalid_op 0
		.amdhsa_exception_fp_denorm_src 0
		.amdhsa_exception_fp_ieee_div_zero 0
		.amdhsa_exception_fp_ieee_overflow 0
		.amdhsa_exception_fp_ieee_underflow 0
		.amdhsa_exception_fp_ieee_inexact 0
		.amdhsa_exception_int_div_zero 0
	.end_amdhsa_kernel
	.section	.text._ZN7rocprim17ROCPRIM_400000_NS6detail17trampoline_kernelINS0_14default_configENS1_25partition_config_selectorILNS1_17partition_subalgoE1EsNS0_10empty_typeEbEEZZNS1_14partition_implILS5_1ELb0ES3_jN6thrust23THRUST_200600_302600_NS6detail15normal_iteratorINSA_10device_ptrIsEEEEPS6_NSA_18transform_iteratorINSA_8identityIsEESF_NSA_11use_defaultESK_EENS0_5tupleIJSF_SF_EEENSM_IJSG_SG_EEES6_PlJS6_EEE10hipError_tPvRmT3_T4_T5_T6_T7_T9_mT8_P12ihipStream_tbDpT10_ENKUlT_T0_E_clISt17integral_constantIbLb0EES19_EEDaS14_S15_EUlS14_E_NS1_11comp_targetILNS1_3genE9ELNS1_11target_archE1100ELNS1_3gpuE3ELNS1_3repE0EEENS1_30default_config_static_selectorELNS0_4arch9wavefront6targetE1EEEvT1_,"axG",@progbits,_ZN7rocprim17ROCPRIM_400000_NS6detail17trampoline_kernelINS0_14default_configENS1_25partition_config_selectorILNS1_17partition_subalgoE1EsNS0_10empty_typeEbEEZZNS1_14partition_implILS5_1ELb0ES3_jN6thrust23THRUST_200600_302600_NS6detail15normal_iteratorINSA_10device_ptrIsEEEEPS6_NSA_18transform_iteratorINSA_8identityIsEESF_NSA_11use_defaultESK_EENS0_5tupleIJSF_SF_EEENSM_IJSG_SG_EEES6_PlJS6_EEE10hipError_tPvRmT3_T4_T5_T6_T7_T9_mT8_P12ihipStream_tbDpT10_ENKUlT_T0_E_clISt17integral_constantIbLb0EES19_EEDaS14_S15_EUlS14_E_NS1_11comp_targetILNS1_3genE9ELNS1_11target_archE1100ELNS1_3gpuE3ELNS1_3repE0EEENS1_30default_config_static_selectorELNS0_4arch9wavefront6targetE1EEEvT1_,comdat
.Lfunc_end647:
	.size	_ZN7rocprim17ROCPRIM_400000_NS6detail17trampoline_kernelINS0_14default_configENS1_25partition_config_selectorILNS1_17partition_subalgoE1EsNS0_10empty_typeEbEEZZNS1_14partition_implILS5_1ELb0ES3_jN6thrust23THRUST_200600_302600_NS6detail15normal_iteratorINSA_10device_ptrIsEEEEPS6_NSA_18transform_iteratorINSA_8identityIsEESF_NSA_11use_defaultESK_EENS0_5tupleIJSF_SF_EEENSM_IJSG_SG_EEES6_PlJS6_EEE10hipError_tPvRmT3_T4_T5_T6_T7_T9_mT8_P12ihipStream_tbDpT10_ENKUlT_T0_E_clISt17integral_constantIbLb0EES19_EEDaS14_S15_EUlS14_E_NS1_11comp_targetILNS1_3genE9ELNS1_11target_archE1100ELNS1_3gpuE3ELNS1_3repE0EEENS1_30default_config_static_selectorELNS0_4arch9wavefront6targetE1EEEvT1_, .Lfunc_end647-_ZN7rocprim17ROCPRIM_400000_NS6detail17trampoline_kernelINS0_14default_configENS1_25partition_config_selectorILNS1_17partition_subalgoE1EsNS0_10empty_typeEbEEZZNS1_14partition_implILS5_1ELb0ES3_jN6thrust23THRUST_200600_302600_NS6detail15normal_iteratorINSA_10device_ptrIsEEEEPS6_NSA_18transform_iteratorINSA_8identityIsEESF_NSA_11use_defaultESK_EENS0_5tupleIJSF_SF_EEENSM_IJSG_SG_EEES6_PlJS6_EEE10hipError_tPvRmT3_T4_T5_T6_T7_T9_mT8_P12ihipStream_tbDpT10_ENKUlT_T0_E_clISt17integral_constantIbLb0EES19_EEDaS14_S15_EUlS14_E_NS1_11comp_targetILNS1_3genE9ELNS1_11target_archE1100ELNS1_3gpuE3ELNS1_3repE0EEENS1_30default_config_static_selectorELNS0_4arch9wavefront6targetE1EEEvT1_
                                        ; -- End function
	.section	.AMDGPU.csdata,"",@progbits
; Kernel info:
; codeLenInByte = 0
; NumSgprs: 6
; NumVgprs: 0
; NumAgprs: 0
; TotalNumVgprs: 0
; ScratchSize: 0
; MemoryBound: 0
; FloatMode: 240
; IeeeMode: 1
; LDSByteSize: 0 bytes/workgroup (compile time only)
; SGPRBlocks: 0
; VGPRBlocks: 0
; NumSGPRsForWavesPerEU: 6
; NumVGPRsForWavesPerEU: 1
; AccumOffset: 4
; Occupancy: 8
; WaveLimiterHint : 0
; COMPUTE_PGM_RSRC2:SCRATCH_EN: 0
; COMPUTE_PGM_RSRC2:USER_SGPR: 2
; COMPUTE_PGM_RSRC2:TRAP_HANDLER: 0
; COMPUTE_PGM_RSRC2:TGID_X_EN: 1
; COMPUTE_PGM_RSRC2:TGID_Y_EN: 0
; COMPUTE_PGM_RSRC2:TGID_Z_EN: 0
; COMPUTE_PGM_RSRC2:TIDIG_COMP_CNT: 0
; COMPUTE_PGM_RSRC3_GFX90A:ACCUM_OFFSET: 0
; COMPUTE_PGM_RSRC3_GFX90A:TG_SPLIT: 0
	.section	.text._ZN7rocprim17ROCPRIM_400000_NS6detail17trampoline_kernelINS0_14default_configENS1_25partition_config_selectorILNS1_17partition_subalgoE1EsNS0_10empty_typeEbEEZZNS1_14partition_implILS5_1ELb0ES3_jN6thrust23THRUST_200600_302600_NS6detail15normal_iteratorINSA_10device_ptrIsEEEEPS6_NSA_18transform_iteratorINSA_8identityIsEESF_NSA_11use_defaultESK_EENS0_5tupleIJSF_SF_EEENSM_IJSG_SG_EEES6_PlJS6_EEE10hipError_tPvRmT3_T4_T5_T6_T7_T9_mT8_P12ihipStream_tbDpT10_ENKUlT_T0_E_clISt17integral_constantIbLb0EES19_EEDaS14_S15_EUlS14_E_NS1_11comp_targetILNS1_3genE8ELNS1_11target_archE1030ELNS1_3gpuE2ELNS1_3repE0EEENS1_30default_config_static_selectorELNS0_4arch9wavefront6targetE1EEEvT1_,"axG",@progbits,_ZN7rocprim17ROCPRIM_400000_NS6detail17trampoline_kernelINS0_14default_configENS1_25partition_config_selectorILNS1_17partition_subalgoE1EsNS0_10empty_typeEbEEZZNS1_14partition_implILS5_1ELb0ES3_jN6thrust23THRUST_200600_302600_NS6detail15normal_iteratorINSA_10device_ptrIsEEEEPS6_NSA_18transform_iteratorINSA_8identityIsEESF_NSA_11use_defaultESK_EENS0_5tupleIJSF_SF_EEENSM_IJSG_SG_EEES6_PlJS6_EEE10hipError_tPvRmT3_T4_T5_T6_T7_T9_mT8_P12ihipStream_tbDpT10_ENKUlT_T0_E_clISt17integral_constantIbLb0EES19_EEDaS14_S15_EUlS14_E_NS1_11comp_targetILNS1_3genE8ELNS1_11target_archE1030ELNS1_3gpuE2ELNS1_3repE0EEENS1_30default_config_static_selectorELNS0_4arch9wavefront6targetE1EEEvT1_,comdat
	.protected	_ZN7rocprim17ROCPRIM_400000_NS6detail17trampoline_kernelINS0_14default_configENS1_25partition_config_selectorILNS1_17partition_subalgoE1EsNS0_10empty_typeEbEEZZNS1_14partition_implILS5_1ELb0ES3_jN6thrust23THRUST_200600_302600_NS6detail15normal_iteratorINSA_10device_ptrIsEEEEPS6_NSA_18transform_iteratorINSA_8identityIsEESF_NSA_11use_defaultESK_EENS0_5tupleIJSF_SF_EEENSM_IJSG_SG_EEES6_PlJS6_EEE10hipError_tPvRmT3_T4_T5_T6_T7_T9_mT8_P12ihipStream_tbDpT10_ENKUlT_T0_E_clISt17integral_constantIbLb0EES19_EEDaS14_S15_EUlS14_E_NS1_11comp_targetILNS1_3genE8ELNS1_11target_archE1030ELNS1_3gpuE2ELNS1_3repE0EEENS1_30default_config_static_selectorELNS0_4arch9wavefront6targetE1EEEvT1_ ; -- Begin function _ZN7rocprim17ROCPRIM_400000_NS6detail17trampoline_kernelINS0_14default_configENS1_25partition_config_selectorILNS1_17partition_subalgoE1EsNS0_10empty_typeEbEEZZNS1_14partition_implILS5_1ELb0ES3_jN6thrust23THRUST_200600_302600_NS6detail15normal_iteratorINSA_10device_ptrIsEEEEPS6_NSA_18transform_iteratorINSA_8identityIsEESF_NSA_11use_defaultESK_EENS0_5tupleIJSF_SF_EEENSM_IJSG_SG_EEES6_PlJS6_EEE10hipError_tPvRmT3_T4_T5_T6_T7_T9_mT8_P12ihipStream_tbDpT10_ENKUlT_T0_E_clISt17integral_constantIbLb0EES19_EEDaS14_S15_EUlS14_E_NS1_11comp_targetILNS1_3genE8ELNS1_11target_archE1030ELNS1_3gpuE2ELNS1_3repE0EEENS1_30default_config_static_selectorELNS0_4arch9wavefront6targetE1EEEvT1_
	.globl	_ZN7rocprim17ROCPRIM_400000_NS6detail17trampoline_kernelINS0_14default_configENS1_25partition_config_selectorILNS1_17partition_subalgoE1EsNS0_10empty_typeEbEEZZNS1_14partition_implILS5_1ELb0ES3_jN6thrust23THRUST_200600_302600_NS6detail15normal_iteratorINSA_10device_ptrIsEEEEPS6_NSA_18transform_iteratorINSA_8identityIsEESF_NSA_11use_defaultESK_EENS0_5tupleIJSF_SF_EEENSM_IJSG_SG_EEES6_PlJS6_EEE10hipError_tPvRmT3_T4_T5_T6_T7_T9_mT8_P12ihipStream_tbDpT10_ENKUlT_T0_E_clISt17integral_constantIbLb0EES19_EEDaS14_S15_EUlS14_E_NS1_11comp_targetILNS1_3genE8ELNS1_11target_archE1030ELNS1_3gpuE2ELNS1_3repE0EEENS1_30default_config_static_selectorELNS0_4arch9wavefront6targetE1EEEvT1_
	.p2align	8
	.type	_ZN7rocprim17ROCPRIM_400000_NS6detail17trampoline_kernelINS0_14default_configENS1_25partition_config_selectorILNS1_17partition_subalgoE1EsNS0_10empty_typeEbEEZZNS1_14partition_implILS5_1ELb0ES3_jN6thrust23THRUST_200600_302600_NS6detail15normal_iteratorINSA_10device_ptrIsEEEEPS6_NSA_18transform_iteratorINSA_8identityIsEESF_NSA_11use_defaultESK_EENS0_5tupleIJSF_SF_EEENSM_IJSG_SG_EEES6_PlJS6_EEE10hipError_tPvRmT3_T4_T5_T6_T7_T9_mT8_P12ihipStream_tbDpT10_ENKUlT_T0_E_clISt17integral_constantIbLb0EES19_EEDaS14_S15_EUlS14_E_NS1_11comp_targetILNS1_3genE8ELNS1_11target_archE1030ELNS1_3gpuE2ELNS1_3repE0EEENS1_30default_config_static_selectorELNS0_4arch9wavefront6targetE1EEEvT1_,@function
_ZN7rocprim17ROCPRIM_400000_NS6detail17trampoline_kernelINS0_14default_configENS1_25partition_config_selectorILNS1_17partition_subalgoE1EsNS0_10empty_typeEbEEZZNS1_14partition_implILS5_1ELb0ES3_jN6thrust23THRUST_200600_302600_NS6detail15normal_iteratorINSA_10device_ptrIsEEEEPS6_NSA_18transform_iteratorINSA_8identityIsEESF_NSA_11use_defaultESK_EENS0_5tupleIJSF_SF_EEENSM_IJSG_SG_EEES6_PlJS6_EEE10hipError_tPvRmT3_T4_T5_T6_T7_T9_mT8_P12ihipStream_tbDpT10_ENKUlT_T0_E_clISt17integral_constantIbLb0EES19_EEDaS14_S15_EUlS14_E_NS1_11comp_targetILNS1_3genE8ELNS1_11target_archE1030ELNS1_3gpuE2ELNS1_3repE0EEENS1_30default_config_static_selectorELNS0_4arch9wavefront6targetE1EEEvT1_: ; @_ZN7rocprim17ROCPRIM_400000_NS6detail17trampoline_kernelINS0_14default_configENS1_25partition_config_selectorILNS1_17partition_subalgoE1EsNS0_10empty_typeEbEEZZNS1_14partition_implILS5_1ELb0ES3_jN6thrust23THRUST_200600_302600_NS6detail15normal_iteratorINSA_10device_ptrIsEEEEPS6_NSA_18transform_iteratorINSA_8identityIsEESF_NSA_11use_defaultESK_EENS0_5tupleIJSF_SF_EEENSM_IJSG_SG_EEES6_PlJS6_EEE10hipError_tPvRmT3_T4_T5_T6_T7_T9_mT8_P12ihipStream_tbDpT10_ENKUlT_T0_E_clISt17integral_constantIbLb0EES19_EEDaS14_S15_EUlS14_E_NS1_11comp_targetILNS1_3genE8ELNS1_11target_archE1030ELNS1_3gpuE2ELNS1_3repE0EEENS1_30default_config_static_selectorELNS0_4arch9wavefront6targetE1EEEvT1_
; %bb.0:
	.section	.rodata,"a",@progbits
	.p2align	6, 0x0
	.amdhsa_kernel _ZN7rocprim17ROCPRIM_400000_NS6detail17trampoline_kernelINS0_14default_configENS1_25partition_config_selectorILNS1_17partition_subalgoE1EsNS0_10empty_typeEbEEZZNS1_14partition_implILS5_1ELb0ES3_jN6thrust23THRUST_200600_302600_NS6detail15normal_iteratorINSA_10device_ptrIsEEEEPS6_NSA_18transform_iteratorINSA_8identityIsEESF_NSA_11use_defaultESK_EENS0_5tupleIJSF_SF_EEENSM_IJSG_SG_EEES6_PlJS6_EEE10hipError_tPvRmT3_T4_T5_T6_T7_T9_mT8_P12ihipStream_tbDpT10_ENKUlT_T0_E_clISt17integral_constantIbLb0EES19_EEDaS14_S15_EUlS14_E_NS1_11comp_targetILNS1_3genE8ELNS1_11target_archE1030ELNS1_3gpuE2ELNS1_3repE0EEENS1_30default_config_static_selectorELNS0_4arch9wavefront6targetE1EEEvT1_
		.amdhsa_group_segment_fixed_size 0
		.amdhsa_private_segment_fixed_size 0
		.amdhsa_kernarg_size 128
		.amdhsa_user_sgpr_count 2
		.amdhsa_user_sgpr_dispatch_ptr 0
		.amdhsa_user_sgpr_queue_ptr 0
		.amdhsa_user_sgpr_kernarg_segment_ptr 1
		.amdhsa_user_sgpr_dispatch_id 0
		.amdhsa_user_sgpr_kernarg_preload_length 0
		.amdhsa_user_sgpr_kernarg_preload_offset 0
		.amdhsa_user_sgpr_private_segment_size 0
		.amdhsa_uses_dynamic_stack 0
		.amdhsa_enable_private_segment 0
		.amdhsa_system_sgpr_workgroup_id_x 1
		.amdhsa_system_sgpr_workgroup_id_y 0
		.amdhsa_system_sgpr_workgroup_id_z 0
		.amdhsa_system_sgpr_workgroup_info 0
		.amdhsa_system_vgpr_workitem_id 0
		.amdhsa_next_free_vgpr 1
		.amdhsa_next_free_sgpr 0
		.amdhsa_accum_offset 4
		.amdhsa_reserve_vcc 0
		.amdhsa_float_round_mode_32 0
		.amdhsa_float_round_mode_16_64 0
		.amdhsa_float_denorm_mode_32 3
		.amdhsa_float_denorm_mode_16_64 3
		.amdhsa_dx10_clamp 1
		.amdhsa_ieee_mode 1
		.amdhsa_fp16_overflow 0
		.amdhsa_tg_split 0
		.amdhsa_exception_fp_ieee_invalid_op 0
		.amdhsa_exception_fp_denorm_src 0
		.amdhsa_exception_fp_ieee_div_zero 0
		.amdhsa_exception_fp_ieee_overflow 0
		.amdhsa_exception_fp_ieee_underflow 0
		.amdhsa_exception_fp_ieee_inexact 0
		.amdhsa_exception_int_div_zero 0
	.end_amdhsa_kernel
	.section	.text._ZN7rocprim17ROCPRIM_400000_NS6detail17trampoline_kernelINS0_14default_configENS1_25partition_config_selectorILNS1_17partition_subalgoE1EsNS0_10empty_typeEbEEZZNS1_14partition_implILS5_1ELb0ES3_jN6thrust23THRUST_200600_302600_NS6detail15normal_iteratorINSA_10device_ptrIsEEEEPS6_NSA_18transform_iteratorINSA_8identityIsEESF_NSA_11use_defaultESK_EENS0_5tupleIJSF_SF_EEENSM_IJSG_SG_EEES6_PlJS6_EEE10hipError_tPvRmT3_T4_T5_T6_T7_T9_mT8_P12ihipStream_tbDpT10_ENKUlT_T0_E_clISt17integral_constantIbLb0EES19_EEDaS14_S15_EUlS14_E_NS1_11comp_targetILNS1_3genE8ELNS1_11target_archE1030ELNS1_3gpuE2ELNS1_3repE0EEENS1_30default_config_static_selectorELNS0_4arch9wavefront6targetE1EEEvT1_,"axG",@progbits,_ZN7rocprim17ROCPRIM_400000_NS6detail17trampoline_kernelINS0_14default_configENS1_25partition_config_selectorILNS1_17partition_subalgoE1EsNS0_10empty_typeEbEEZZNS1_14partition_implILS5_1ELb0ES3_jN6thrust23THRUST_200600_302600_NS6detail15normal_iteratorINSA_10device_ptrIsEEEEPS6_NSA_18transform_iteratorINSA_8identityIsEESF_NSA_11use_defaultESK_EENS0_5tupleIJSF_SF_EEENSM_IJSG_SG_EEES6_PlJS6_EEE10hipError_tPvRmT3_T4_T5_T6_T7_T9_mT8_P12ihipStream_tbDpT10_ENKUlT_T0_E_clISt17integral_constantIbLb0EES19_EEDaS14_S15_EUlS14_E_NS1_11comp_targetILNS1_3genE8ELNS1_11target_archE1030ELNS1_3gpuE2ELNS1_3repE0EEENS1_30default_config_static_selectorELNS0_4arch9wavefront6targetE1EEEvT1_,comdat
.Lfunc_end648:
	.size	_ZN7rocprim17ROCPRIM_400000_NS6detail17trampoline_kernelINS0_14default_configENS1_25partition_config_selectorILNS1_17partition_subalgoE1EsNS0_10empty_typeEbEEZZNS1_14partition_implILS5_1ELb0ES3_jN6thrust23THRUST_200600_302600_NS6detail15normal_iteratorINSA_10device_ptrIsEEEEPS6_NSA_18transform_iteratorINSA_8identityIsEESF_NSA_11use_defaultESK_EENS0_5tupleIJSF_SF_EEENSM_IJSG_SG_EEES6_PlJS6_EEE10hipError_tPvRmT3_T4_T5_T6_T7_T9_mT8_P12ihipStream_tbDpT10_ENKUlT_T0_E_clISt17integral_constantIbLb0EES19_EEDaS14_S15_EUlS14_E_NS1_11comp_targetILNS1_3genE8ELNS1_11target_archE1030ELNS1_3gpuE2ELNS1_3repE0EEENS1_30default_config_static_selectorELNS0_4arch9wavefront6targetE1EEEvT1_, .Lfunc_end648-_ZN7rocprim17ROCPRIM_400000_NS6detail17trampoline_kernelINS0_14default_configENS1_25partition_config_selectorILNS1_17partition_subalgoE1EsNS0_10empty_typeEbEEZZNS1_14partition_implILS5_1ELb0ES3_jN6thrust23THRUST_200600_302600_NS6detail15normal_iteratorINSA_10device_ptrIsEEEEPS6_NSA_18transform_iteratorINSA_8identityIsEESF_NSA_11use_defaultESK_EENS0_5tupleIJSF_SF_EEENSM_IJSG_SG_EEES6_PlJS6_EEE10hipError_tPvRmT3_T4_T5_T6_T7_T9_mT8_P12ihipStream_tbDpT10_ENKUlT_T0_E_clISt17integral_constantIbLb0EES19_EEDaS14_S15_EUlS14_E_NS1_11comp_targetILNS1_3genE8ELNS1_11target_archE1030ELNS1_3gpuE2ELNS1_3repE0EEENS1_30default_config_static_selectorELNS0_4arch9wavefront6targetE1EEEvT1_
                                        ; -- End function
	.section	.AMDGPU.csdata,"",@progbits
; Kernel info:
; codeLenInByte = 0
; NumSgprs: 6
; NumVgprs: 0
; NumAgprs: 0
; TotalNumVgprs: 0
; ScratchSize: 0
; MemoryBound: 0
; FloatMode: 240
; IeeeMode: 1
; LDSByteSize: 0 bytes/workgroup (compile time only)
; SGPRBlocks: 0
; VGPRBlocks: 0
; NumSGPRsForWavesPerEU: 6
; NumVGPRsForWavesPerEU: 1
; AccumOffset: 4
; Occupancy: 8
; WaveLimiterHint : 0
; COMPUTE_PGM_RSRC2:SCRATCH_EN: 0
; COMPUTE_PGM_RSRC2:USER_SGPR: 2
; COMPUTE_PGM_RSRC2:TRAP_HANDLER: 0
; COMPUTE_PGM_RSRC2:TGID_X_EN: 1
; COMPUTE_PGM_RSRC2:TGID_Y_EN: 0
; COMPUTE_PGM_RSRC2:TGID_Z_EN: 0
; COMPUTE_PGM_RSRC2:TIDIG_COMP_CNT: 0
; COMPUTE_PGM_RSRC3_GFX90A:ACCUM_OFFSET: 0
; COMPUTE_PGM_RSRC3_GFX90A:TG_SPLIT: 0
	.section	.text._ZN7rocprim17ROCPRIM_400000_NS6detail17trampoline_kernelINS0_14default_configENS1_25partition_config_selectorILNS1_17partition_subalgoE1EsNS0_10empty_typeEbEEZZNS1_14partition_implILS5_1ELb0ES3_jN6thrust23THRUST_200600_302600_NS6detail15normal_iteratorINSA_10device_ptrIsEEEEPS6_NSA_18transform_iteratorINSA_8identityIsEESF_NSA_11use_defaultESK_EENS0_5tupleIJSF_SF_EEENSM_IJSG_SG_EEES6_PlJS6_EEE10hipError_tPvRmT3_T4_T5_T6_T7_T9_mT8_P12ihipStream_tbDpT10_ENKUlT_T0_E_clISt17integral_constantIbLb1EES19_EEDaS14_S15_EUlS14_E_NS1_11comp_targetILNS1_3genE0ELNS1_11target_archE4294967295ELNS1_3gpuE0ELNS1_3repE0EEENS1_30default_config_static_selectorELNS0_4arch9wavefront6targetE1EEEvT1_,"axG",@progbits,_ZN7rocprim17ROCPRIM_400000_NS6detail17trampoline_kernelINS0_14default_configENS1_25partition_config_selectorILNS1_17partition_subalgoE1EsNS0_10empty_typeEbEEZZNS1_14partition_implILS5_1ELb0ES3_jN6thrust23THRUST_200600_302600_NS6detail15normal_iteratorINSA_10device_ptrIsEEEEPS6_NSA_18transform_iteratorINSA_8identityIsEESF_NSA_11use_defaultESK_EENS0_5tupleIJSF_SF_EEENSM_IJSG_SG_EEES6_PlJS6_EEE10hipError_tPvRmT3_T4_T5_T6_T7_T9_mT8_P12ihipStream_tbDpT10_ENKUlT_T0_E_clISt17integral_constantIbLb1EES19_EEDaS14_S15_EUlS14_E_NS1_11comp_targetILNS1_3genE0ELNS1_11target_archE4294967295ELNS1_3gpuE0ELNS1_3repE0EEENS1_30default_config_static_selectorELNS0_4arch9wavefront6targetE1EEEvT1_,comdat
	.protected	_ZN7rocprim17ROCPRIM_400000_NS6detail17trampoline_kernelINS0_14default_configENS1_25partition_config_selectorILNS1_17partition_subalgoE1EsNS0_10empty_typeEbEEZZNS1_14partition_implILS5_1ELb0ES3_jN6thrust23THRUST_200600_302600_NS6detail15normal_iteratorINSA_10device_ptrIsEEEEPS6_NSA_18transform_iteratorINSA_8identityIsEESF_NSA_11use_defaultESK_EENS0_5tupleIJSF_SF_EEENSM_IJSG_SG_EEES6_PlJS6_EEE10hipError_tPvRmT3_T4_T5_T6_T7_T9_mT8_P12ihipStream_tbDpT10_ENKUlT_T0_E_clISt17integral_constantIbLb1EES19_EEDaS14_S15_EUlS14_E_NS1_11comp_targetILNS1_3genE0ELNS1_11target_archE4294967295ELNS1_3gpuE0ELNS1_3repE0EEENS1_30default_config_static_selectorELNS0_4arch9wavefront6targetE1EEEvT1_ ; -- Begin function _ZN7rocprim17ROCPRIM_400000_NS6detail17trampoline_kernelINS0_14default_configENS1_25partition_config_selectorILNS1_17partition_subalgoE1EsNS0_10empty_typeEbEEZZNS1_14partition_implILS5_1ELb0ES3_jN6thrust23THRUST_200600_302600_NS6detail15normal_iteratorINSA_10device_ptrIsEEEEPS6_NSA_18transform_iteratorINSA_8identityIsEESF_NSA_11use_defaultESK_EENS0_5tupleIJSF_SF_EEENSM_IJSG_SG_EEES6_PlJS6_EEE10hipError_tPvRmT3_T4_T5_T6_T7_T9_mT8_P12ihipStream_tbDpT10_ENKUlT_T0_E_clISt17integral_constantIbLb1EES19_EEDaS14_S15_EUlS14_E_NS1_11comp_targetILNS1_3genE0ELNS1_11target_archE4294967295ELNS1_3gpuE0ELNS1_3repE0EEENS1_30default_config_static_selectorELNS0_4arch9wavefront6targetE1EEEvT1_
	.globl	_ZN7rocprim17ROCPRIM_400000_NS6detail17trampoline_kernelINS0_14default_configENS1_25partition_config_selectorILNS1_17partition_subalgoE1EsNS0_10empty_typeEbEEZZNS1_14partition_implILS5_1ELb0ES3_jN6thrust23THRUST_200600_302600_NS6detail15normal_iteratorINSA_10device_ptrIsEEEEPS6_NSA_18transform_iteratorINSA_8identityIsEESF_NSA_11use_defaultESK_EENS0_5tupleIJSF_SF_EEENSM_IJSG_SG_EEES6_PlJS6_EEE10hipError_tPvRmT3_T4_T5_T6_T7_T9_mT8_P12ihipStream_tbDpT10_ENKUlT_T0_E_clISt17integral_constantIbLb1EES19_EEDaS14_S15_EUlS14_E_NS1_11comp_targetILNS1_3genE0ELNS1_11target_archE4294967295ELNS1_3gpuE0ELNS1_3repE0EEENS1_30default_config_static_selectorELNS0_4arch9wavefront6targetE1EEEvT1_
	.p2align	8
	.type	_ZN7rocprim17ROCPRIM_400000_NS6detail17trampoline_kernelINS0_14default_configENS1_25partition_config_selectorILNS1_17partition_subalgoE1EsNS0_10empty_typeEbEEZZNS1_14partition_implILS5_1ELb0ES3_jN6thrust23THRUST_200600_302600_NS6detail15normal_iteratorINSA_10device_ptrIsEEEEPS6_NSA_18transform_iteratorINSA_8identityIsEESF_NSA_11use_defaultESK_EENS0_5tupleIJSF_SF_EEENSM_IJSG_SG_EEES6_PlJS6_EEE10hipError_tPvRmT3_T4_T5_T6_T7_T9_mT8_P12ihipStream_tbDpT10_ENKUlT_T0_E_clISt17integral_constantIbLb1EES19_EEDaS14_S15_EUlS14_E_NS1_11comp_targetILNS1_3genE0ELNS1_11target_archE4294967295ELNS1_3gpuE0ELNS1_3repE0EEENS1_30default_config_static_selectorELNS0_4arch9wavefront6targetE1EEEvT1_,@function
_ZN7rocprim17ROCPRIM_400000_NS6detail17trampoline_kernelINS0_14default_configENS1_25partition_config_selectorILNS1_17partition_subalgoE1EsNS0_10empty_typeEbEEZZNS1_14partition_implILS5_1ELb0ES3_jN6thrust23THRUST_200600_302600_NS6detail15normal_iteratorINSA_10device_ptrIsEEEEPS6_NSA_18transform_iteratorINSA_8identityIsEESF_NSA_11use_defaultESK_EENS0_5tupleIJSF_SF_EEENSM_IJSG_SG_EEES6_PlJS6_EEE10hipError_tPvRmT3_T4_T5_T6_T7_T9_mT8_P12ihipStream_tbDpT10_ENKUlT_T0_E_clISt17integral_constantIbLb1EES19_EEDaS14_S15_EUlS14_E_NS1_11comp_targetILNS1_3genE0ELNS1_11target_archE4294967295ELNS1_3gpuE0ELNS1_3repE0EEENS1_30default_config_static_selectorELNS0_4arch9wavefront6targetE1EEEvT1_: ; @_ZN7rocprim17ROCPRIM_400000_NS6detail17trampoline_kernelINS0_14default_configENS1_25partition_config_selectorILNS1_17partition_subalgoE1EsNS0_10empty_typeEbEEZZNS1_14partition_implILS5_1ELb0ES3_jN6thrust23THRUST_200600_302600_NS6detail15normal_iteratorINSA_10device_ptrIsEEEEPS6_NSA_18transform_iteratorINSA_8identityIsEESF_NSA_11use_defaultESK_EENS0_5tupleIJSF_SF_EEENSM_IJSG_SG_EEES6_PlJS6_EEE10hipError_tPvRmT3_T4_T5_T6_T7_T9_mT8_P12ihipStream_tbDpT10_ENKUlT_T0_E_clISt17integral_constantIbLb1EES19_EEDaS14_S15_EUlS14_E_NS1_11comp_targetILNS1_3genE0ELNS1_11target_archE4294967295ELNS1_3gpuE0ELNS1_3repE0EEENS1_30default_config_static_selectorELNS0_4arch9wavefront6targetE1EEEvT1_
; %bb.0:
	.section	.rodata,"a",@progbits
	.p2align	6, 0x0
	.amdhsa_kernel _ZN7rocprim17ROCPRIM_400000_NS6detail17trampoline_kernelINS0_14default_configENS1_25partition_config_selectorILNS1_17partition_subalgoE1EsNS0_10empty_typeEbEEZZNS1_14partition_implILS5_1ELb0ES3_jN6thrust23THRUST_200600_302600_NS6detail15normal_iteratorINSA_10device_ptrIsEEEEPS6_NSA_18transform_iteratorINSA_8identityIsEESF_NSA_11use_defaultESK_EENS0_5tupleIJSF_SF_EEENSM_IJSG_SG_EEES6_PlJS6_EEE10hipError_tPvRmT3_T4_T5_T6_T7_T9_mT8_P12ihipStream_tbDpT10_ENKUlT_T0_E_clISt17integral_constantIbLb1EES19_EEDaS14_S15_EUlS14_E_NS1_11comp_targetILNS1_3genE0ELNS1_11target_archE4294967295ELNS1_3gpuE0ELNS1_3repE0EEENS1_30default_config_static_selectorELNS0_4arch9wavefront6targetE1EEEvT1_
		.amdhsa_group_segment_fixed_size 0
		.amdhsa_private_segment_fixed_size 0
		.amdhsa_kernarg_size 144
		.amdhsa_user_sgpr_count 2
		.amdhsa_user_sgpr_dispatch_ptr 0
		.amdhsa_user_sgpr_queue_ptr 0
		.amdhsa_user_sgpr_kernarg_segment_ptr 1
		.amdhsa_user_sgpr_dispatch_id 0
		.amdhsa_user_sgpr_kernarg_preload_length 0
		.amdhsa_user_sgpr_kernarg_preload_offset 0
		.amdhsa_user_sgpr_private_segment_size 0
		.amdhsa_uses_dynamic_stack 0
		.amdhsa_enable_private_segment 0
		.amdhsa_system_sgpr_workgroup_id_x 1
		.amdhsa_system_sgpr_workgroup_id_y 0
		.amdhsa_system_sgpr_workgroup_id_z 0
		.amdhsa_system_sgpr_workgroup_info 0
		.amdhsa_system_vgpr_workitem_id 0
		.amdhsa_next_free_vgpr 1
		.amdhsa_next_free_sgpr 0
		.amdhsa_accum_offset 4
		.amdhsa_reserve_vcc 0
		.amdhsa_float_round_mode_32 0
		.amdhsa_float_round_mode_16_64 0
		.amdhsa_float_denorm_mode_32 3
		.amdhsa_float_denorm_mode_16_64 3
		.amdhsa_dx10_clamp 1
		.amdhsa_ieee_mode 1
		.amdhsa_fp16_overflow 0
		.amdhsa_tg_split 0
		.amdhsa_exception_fp_ieee_invalid_op 0
		.amdhsa_exception_fp_denorm_src 0
		.amdhsa_exception_fp_ieee_div_zero 0
		.amdhsa_exception_fp_ieee_overflow 0
		.amdhsa_exception_fp_ieee_underflow 0
		.amdhsa_exception_fp_ieee_inexact 0
		.amdhsa_exception_int_div_zero 0
	.end_amdhsa_kernel
	.section	.text._ZN7rocprim17ROCPRIM_400000_NS6detail17trampoline_kernelINS0_14default_configENS1_25partition_config_selectorILNS1_17partition_subalgoE1EsNS0_10empty_typeEbEEZZNS1_14partition_implILS5_1ELb0ES3_jN6thrust23THRUST_200600_302600_NS6detail15normal_iteratorINSA_10device_ptrIsEEEEPS6_NSA_18transform_iteratorINSA_8identityIsEESF_NSA_11use_defaultESK_EENS0_5tupleIJSF_SF_EEENSM_IJSG_SG_EEES6_PlJS6_EEE10hipError_tPvRmT3_T4_T5_T6_T7_T9_mT8_P12ihipStream_tbDpT10_ENKUlT_T0_E_clISt17integral_constantIbLb1EES19_EEDaS14_S15_EUlS14_E_NS1_11comp_targetILNS1_3genE0ELNS1_11target_archE4294967295ELNS1_3gpuE0ELNS1_3repE0EEENS1_30default_config_static_selectorELNS0_4arch9wavefront6targetE1EEEvT1_,"axG",@progbits,_ZN7rocprim17ROCPRIM_400000_NS6detail17trampoline_kernelINS0_14default_configENS1_25partition_config_selectorILNS1_17partition_subalgoE1EsNS0_10empty_typeEbEEZZNS1_14partition_implILS5_1ELb0ES3_jN6thrust23THRUST_200600_302600_NS6detail15normal_iteratorINSA_10device_ptrIsEEEEPS6_NSA_18transform_iteratorINSA_8identityIsEESF_NSA_11use_defaultESK_EENS0_5tupleIJSF_SF_EEENSM_IJSG_SG_EEES6_PlJS6_EEE10hipError_tPvRmT3_T4_T5_T6_T7_T9_mT8_P12ihipStream_tbDpT10_ENKUlT_T0_E_clISt17integral_constantIbLb1EES19_EEDaS14_S15_EUlS14_E_NS1_11comp_targetILNS1_3genE0ELNS1_11target_archE4294967295ELNS1_3gpuE0ELNS1_3repE0EEENS1_30default_config_static_selectorELNS0_4arch9wavefront6targetE1EEEvT1_,comdat
.Lfunc_end649:
	.size	_ZN7rocprim17ROCPRIM_400000_NS6detail17trampoline_kernelINS0_14default_configENS1_25partition_config_selectorILNS1_17partition_subalgoE1EsNS0_10empty_typeEbEEZZNS1_14partition_implILS5_1ELb0ES3_jN6thrust23THRUST_200600_302600_NS6detail15normal_iteratorINSA_10device_ptrIsEEEEPS6_NSA_18transform_iteratorINSA_8identityIsEESF_NSA_11use_defaultESK_EENS0_5tupleIJSF_SF_EEENSM_IJSG_SG_EEES6_PlJS6_EEE10hipError_tPvRmT3_T4_T5_T6_T7_T9_mT8_P12ihipStream_tbDpT10_ENKUlT_T0_E_clISt17integral_constantIbLb1EES19_EEDaS14_S15_EUlS14_E_NS1_11comp_targetILNS1_3genE0ELNS1_11target_archE4294967295ELNS1_3gpuE0ELNS1_3repE0EEENS1_30default_config_static_selectorELNS0_4arch9wavefront6targetE1EEEvT1_, .Lfunc_end649-_ZN7rocprim17ROCPRIM_400000_NS6detail17trampoline_kernelINS0_14default_configENS1_25partition_config_selectorILNS1_17partition_subalgoE1EsNS0_10empty_typeEbEEZZNS1_14partition_implILS5_1ELb0ES3_jN6thrust23THRUST_200600_302600_NS6detail15normal_iteratorINSA_10device_ptrIsEEEEPS6_NSA_18transform_iteratorINSA_8identityIsEESF_NSA_11use_defaultESK_EENS0_5tupleIJSF_SF_EEENSM_IJSG_SG_EEES6_PlJS6_EEE10hipError_tPvRmT3_T4_T5_T6_T7_T9_mT8_P12ihipStream_tbDpT10_ENKUlT_T0_E_clISt17integral_constantIbLb1EES19_EEDaS14_S15_EUlS14_E_NS1_11comp_targetILNS1_3genE0ELNS1_11target_archE4294967295ELNS1_3gpuE0ELNS1_3repE0EEENS1_30default_config_static_selectorELNS0_4arch9wavefront6targetE1EEEvT1_
                                        ; -- End function
	.section	.AMDGPU.csdata,"",@progbits
; Kernel info:
; codeLenInByte = 0
; NumSgprs: 6
; NumVgprs: 0
; NumAgprs: 0
; TotalNumVgprs: 0
; ScratchSize: 0
; MemoryBound: 0
; FloatMode: 240
; IeeeMode: 1
; LDSByteSize: 0 bytes/workgroup (compile time only)
; SGPRBlocks: 0
; VGPRBlocks: 0
; NumSGPRsForWavesPerEU: 6
; NumVGPRsForWavesPerEU: 1
; AccumOffset: 4
; Occupancy: 8
; WaveLimiterHint : 0
; COMPUTE_PGM_RSRC2:SCRATCH_EN: 0
; COMPUTE_PGM_RSRC2:USER_SGPR: 2
; COMPUTE_PGM_RSRC2:TRAP_HANDLER: 0
; COMPUTE_PGM_RSRC2:TGID_X_EN: 1
; COMPUTE_PGM_RSRC2:TGID_Y_EN: 0
; COMPUTE_PGM_RSRC2:TGID_Z_EN: 0
; COMPUTE_PGM_RSRC2:TIDIG_COMP_CNT: 0
; COMPUTE_PGM_RSRC3_GFX90A:ACCUM_OFFSET: 0
; COMPUTE_PGM_RSRC3_GFX90A:TG_SPLIT: 0
	.section	.text._ZN7rocprim17ROCPRIM_400000_NS6detail17trampoline_kernelINS0_14default_configENS1_25partition_config_selectorILNS1_17partition_subalgoE1EsNS0_10empty_typeEbEEZZNS1_14partition_implILS5_1ELb0ES3_jN6thrust23THRUST_200600_302600_NS6detail15normal_iteratorINSA_10device_ptrIsEEEEPS6_NSA_18transform_iteratorINSA_8identityIsEESF_NSA_11use_defaultESK_EENS0_5tupleIJSF_SF_EEENSM_IJSG_SG_EEES6_PlJS6_EEE10hipError_tPvRmT3_T4_T5_T6_T7_T9_mT8_P12ihipStream_tbDpT10_ENKUlT_T0_E_clISt17integral_constantIbLb1EES19_EEDaS14_S15_EUlS14_E_NS1_11comp_targetILNS1_3genE5ELNS1_11target_archE942ELNS1_3gpuE9ELNS1_3repE0EEENS1_30default_config_static_selectorELNS0_4arch9wavefront6targetE1EEEvT1_,"axG",@progbits,_ZN7rocprim17ROCPRIM_400000_NS6detail17trampoline_kernelINS0_14default_configENS1_25partition_config_selectorILNS1_17partition_subalgoE1EsNS0_10empty_typeEbEEZZNS1_14partition_implILS5_1ELb0ES3_jN6thrust23THRUST_200600_302600_NS6detail15normal_iteratorINSA_10device_ptrIsEEEEPS6_NSA_18transform_iteratorINSA_8identityIsEESF_NSA_11use_defaultESK_EENS0_5tupleIJSF_SF_EEENSM_IJSG_SG_EEES6_PlJS6_EEE10hipError_tPvRmT3_T4_T5_T6_T7_T9_mT8_P12ihipStream_tbDpT10_ENKUlT_T0_E_clISt17integral_constantIbLb1EES19_EEDaS14_S15_EUlS14_E_NS1_11comp_targetILNS1_3genE5ELNS1_11target_archE942ELNS1_3gpuE9ELNS1_3repE0EEENS1_30default_config_static_selectorELNS0_4arch9wavefront6targetE1EEEvT1_,comdat
	.protected	_ZN7rocprim17ROCPRIM_400000_NS6detail17trampoline_kernelINS0_14default_configENS1_25partition_config_selectorILNS1_17partition_subalgoE1EsNS0_10empty_typeEbEEZZNS1_14partition_implILS5_1ELb0ES3_jN6thrust23THRUST_200600_302600_NS6detail15normal_iteratorINSA_10device_ptrIsEEEEPS6_NSA_18transform_iteratorINSA_8identityIsEESF_NSA_11use_defaultESK_EENS0_5tupleIJSF_SF_EEENSM_IJSG_SG_EEES6_PlJS6_EEE10hipError_tPvRmT3_T4_T5_T6_T7_T9_mT8_P12ihipStream_tbDpT10_ENKUlT_T0_E_clISt17integral_constantIbLb1EES19_EEDaS14_S15_EUlS14_E_NS1_11comp_targetILNS1_3genE5ELNS1_11target_archE942ELNS1_3gpuE9ELNS1_3repE0EEENS1_30default_config_static_selectorELNS0_4arch9wavefront6targetE1EEEvT1_ ; -- Begin function _ZN7rocprim17ROCPRIM_400000_NS6detail17trampoline_kernelINS0_14default_configENS1_25partition_config_selectorILNS1_17partition_subalgoE1EsNS0_10empty_typeEbEEZZNS1_14partition_implILS5_1ELb0ES3_jN6thrust23THRUST_200600_302600_NS6detail15normal_iteratorINSA_10device_ptrIsEEEEPS6_NSA_18transform_iteratorINSA_8identityIsEESF_NSA_11use_defaultESK_EENS0_5tupleIJSF_SF_EEENSM_IJSG_SG_EEES6_PlJS6_EEE10hipError_tPvRmT3_T4_T5_T6_T7_T9_mT8_P12ihipStream_tbDpT10_ENKUlT_T0_E_clISt17integral_constantIbLb1EES19_EEDaS14_S15_EUlS14_E_NS1_11comp_targetILNS1_3genE5ELNS1_11target_archE942ELNS1_3gpuE9ELNS1_3repE0EEENS1_30default_config_static_selectorELNS0_4arch9wavefront6targetE1EEEvT1_
	.globl	_ZN7rocprim17ROCPRIM_400000_NS6detail17trampoline_kernelINS0_14default_configENS1_25partition_config_selectorILNS1_17partition_subalgoE1EsNS0_10empty_typeEbEEZZNS1_14partition_implILS5_1ELb0ES3_jN6thrust23THRUST_200600_302600_NS6detail15normal_iteratorINSA_10device_ptrIsEEEEPS6_NSA_18transform_iteratorINSA_8identityIsEESF_NSA_11use_defaultESK_EENS0_5tupleIJSF_SF_EEENSM_IJSG_SG_EEES6_PlJS6_EEE10hipError_tPvRmT3_T4_T5_T6_T7_T9_mT8_P12ihipStream_tbDpT10_ENKUlT_T0_E_clISt17integral_constantIbLb1EES19_EEDaS14_S15_EUlS14_E_NS1_11comp_targetILNS1_3genE5ELNS1_11target_archE942ELNS1_3gpuE9ELNS1_3repE0EEENS1_30default_config_static_selectorELNS0_4arch9wavefront6targetE1EEEvT1_
	.p2align	8
	.type	_ZN7rocprim17ROCPRIM_400000_NS6detail17trampoline_kernelINS0_14default_configENS1_25partition_config_selectorILNS1_17partition_subalgoE1EsNS0_10empty_typeEbEEZZNS1_14partition_implILS5_1ELb0ES3_jN6thrust23THRUST_200600_302600_NS6detail15normal_iteratorINSA_10device_ptrIsEEEEPS6_NSA_18transform_iteratorINSA_8identityIsEESF_NSA_11use_defaultESK_EENS0_5tupleIJSF_SF_EEENSM_IJSG_SG_EEES6_PlJS6_EEE10hipError_tPvRmT3_T4_T5_T6_T7_T9_mT8_P12ihipStream_tbDpT10_ENKUlT_T0_E_clISt17integral_constantIbLb1EES19_EEDaS14_S15_EUlS14_E_NS1_11comp_targetILNS1_3genE5ELNS1_11target_archE942ELNS1_3gpuE9ELNS1_3repE0EEENS1_30default_config_static_selectorELNS0_4arch9wavefront6targetE1EEEvT1_,@function
_ZN7rocprim17ROCPRIM_400000_NS6detail17trampoline_kernelINS0_14default_configENS1_25partition_config_selectorILNS1_17partition_subalgoE1EsNS0_10empty_typeEbEEZZNS1_14partition_implILS5_1ELb0ES3_jN6thrust23THRUST_200600_302600_NS6detail15normal_iteratorINSA_10device_ptrIsEEEEPS6_NSA_18transform_iteratorINSA_8identityIsEESF_NSA_11use_defaultESK_EENS0_5tupleIJSF_SF_EEENSM_IJSG_SG_EEES6_PlJS6_EEE10hipError_tPvRmT3_T4_T5_T6_T7_T9_mT8_P12ihipStream_tbDpT10_ENKUlT_T0_E_clISt17integral_constantIbLb1EES19_EEDaS14_S15_EUlS14_E_NS1_11comp_targetILNS1_3genE5ELNS1_11target_archE942ELNS1_3gpuE9ELNS1_3repE0EEENS1_30default_config_static_selectorELNS0_4arch9wavefront6targetE1EEEvT1_: ; @_ZN7rocprim17ROCPRIM_400000_NS6detail17trampoline_kernelINS0_14default_configENS1_25partition_config_selectorILNS1_17partition_subalgoE1EsNS0_10empty_typeEbEEZZNS1_14partition_implILS5_1ELb0ES3_jN6thrust23THRUST_200600_302600_NS6detail15normal_iteratorINSA_10device_ptrIsEEEEPS6_NSA_18transform_iteratorINSA_8identityIsEESF_NSA_11use_defaultESK_EENS0_5tupleIJSF_SF_EEENSM_IJSG_SG_EEES6_PlJS6_EEE10hipError_tPvRmT3_T4_T5_T6_T7_T9_mT8_P12ihipStream_tbDpT10_ENKUlT_T0_E_clISt17integral_constantIbLb1EES19_EEDaS14_S15_EUlS14_E_NS1_11comp_targetILNS1_3genE5ELNS1_11target_archE942ELNS1_3gpuE9ELNS1_3repE0EEENS1_30default_config_static_selectorELNS0_4arch9wavefront6targetE1EEEvT1_
; %bb.0:
	s_load_dwordx2 s[2:3], s[0:1], 0x20
	s_load_dwordx4 s[20:23], s[0:1], 0x50
	s_load_dwordx2 s[6:7], s[0:1], 0x60
	s_load_dwordx2 s[34:35], s[0:1], 0x70
	v_cmp_eq_u32_e64 s[18:19], 0, v0
	s_and_saveexec_b64 s[4:5], s[18:19]
	s_cbranch_execz .LBB650_4
; %bb.1:
	s_mov_b64 s[10:11], exec
	v_mbcnt_lo_u32_b32 v1, s10, 0
	v_mbcnt_hi_u32_b32 v1, s11, v1
	v_cmp_eq_u32_e32 vcc, 0, v1
                                        ; implicit-def: $vgpr2
	s_and_saveexec_b64 s[8:9], vcc
	s_cbranch_execz .LBB650_3
; %bb.2:
	s_load_dwordx2 s[12:13], s[0:1], 0x80
	s_bcnt1_i32_b64 s10, s[10:11]
	v_mov_b32_e32 v2, 0
	v_mov_b32_e32 v3, s10
	s_waitcnt lgkmcnt(0)
	global_atomic_add v2, v2, v3, s[12:13] sc0
.LBB650_3:
	s_or_b64 exec, exec, s[8:9]
	s_waitcnt vmcnt(0)
	v_readfirstlane_b32 s8, v2
	v_mov_b32_e32 v2, 0
	s_nop 0
	v_add_u32_e32 v1, s8, v1
	ds_write_b32 v2, v1
.LBB650_4:
	s_or_b64 exec, exec, s[4:5]
	v_mov_b32_e32 v15, 0
	s_load_dwordx4 s[28:31], s[0:1], 0x8
	s_load_dwordx4 s[24:27], s[0:1], 0x30
	s_load_dword s8, s[0:1], 0x78
	s_waitcnt lgkmcnt(0)
	s_barrier
	ds_read_b32 v1, v15
	s_waitcnt lgkmcnt(0)
	s_barrier
	global_load_dwordx2 v[16:17], v15, s[22:23]
	v_mov_b32_e32 v3, s7
	s_lshl_b64 s[4:5], s[30:31], 1
	s_movk_i32 s7, 0x3800
	s_add_u32 s0, s28, s4
	v_mul_lo_u32 v14, v1, s7
	s_mul_i32 s7, s8, 0x3800
	s_addc_u32 s1, s29, s5
	s_add_i32 s9, s8, -1
	s_add_i32 s8, s7, s30
	s_sub_i32 s33, s6, s8
	s_addk_i32 s33, 0x3800
	v_mov_b32_e32 v2, s6
	s_add_u32 s6, s30, s7
	v_readfirstlane_b32 s40, v1
	s_addc_u32 s7, s31, 0
	s_cmp_eq_u32 s40, s9
	s_cselect_b64 s[22:23], -1, 0
	s_cmp_lg_u32 s40, s9
	v_cmp_lt_u64_e32 vcc, s[6:7], v[2:3]
	s_cselect_b64 s[6:7], -1, 0
	s_or_b64 s[28:29], vcc, s[6:7]
	v_lshlrev_b64 v[18:19], 1, v[14:15]
	v_lshl_add_u64 v[2:3], s[0:1], 0, v[18:19]
	s_mov_b64 s[0:1], -1
	s_and_b64 vcc, exec, s[28:29]
	v_lshlrev_b32_e32 v14, 1, v0
	s_cbranch_vccz .LBB650_6
; %bb.5:
	v_lshl_add_u64 v[4:5], v[2:3], 0, v[14:15]
	v_add_co_u32_e32 v6, vcc, 0x1000, v4
	s_mov_b64 s[0:1], 0
	s_nop 0
	v_addc_co_u32_e32 v7, vcc, 0, v5, vcc
	flat_load_ushort v1, v[4:5]
	flat_load_ushort v10, v[4:5] offset:1024
	flat_load_ushort v11, v[4:5] offset:2048
	;; [unrolled: 1-line block ×3, first 2 shown]
	flat_load_ushort v13, v[6:7]
	flat_load_ushort v15, v[6:7] offset:1024
	flat_load_ushort v20, v[6:7] offset:2048
	;; [unrolled: 1-line block ×3, first 2 shown]
	v_add_co_u32_e32 v6, vcc, 0x2000, v4
	s_nop 1
	v_addc_co_u32_e32 v7, vcc, 0, v5, vcc
	v_add_co_u32_e32 v8, vcc, 0x3000, v4
	s_nop 1
	v_addc_co_u32_e32 v9, vcc, 0, v5, vcc
	flat_load_ushort v22, v[6:7]
	flat_load_ushort v23, v[6:7] offset:1024
	flat_load_ushort v24, v[6:7] offset:2048
	;; [unrolled: 1-line block ×3, first 2 shown]
	flat_load_ushort v26, v[8:9]
	flat_load_ushort v27, v[8:9] offset:1024
	flat_load_ushort v28, v[8:9] offset:2048
	;; [unrolled: 1-line block ×3, first 2 shown]
	v_add_co_u32_e32 v6, vcc, 0x4000, v4
	s_nop 1
	v_addc_co_u32_e32 v7, vcc, 0, v5, vcc
	v_add_co_u32_e32 v8, vcc, 0x5000, v4
	s_nop 1
	v_addc_co_u32_e32 v9, vcc, 0, v5, vcc
	v_add_co_u32_e32 v4, vcc, 0x6000, v4
	flat_load_ushort v30, v[6:7]
	flat_load_ushort v31, v[6:7] offset:1024
	flat_load_ushort v32, v[6:7] offset:2048
	;; [unrolled: 1-line block ×3, first 2 shown]
	flat_load_ushort v34, v[8:9]
	flat_load_ushort v35, v[8:9] offset:1024
	flat_load_ushort v36, v[8:9] offset:2048
	;; [unrolled: 1-line block ×3, first 2 shown]
	v_addc_co_u32_e32 v5, vcc, 0, v5, vcc
	flat_load_ushort v6, v[4:5]
	flat_load_ushort v7, v[4:5] offset:1024
	flat_load_ushort v8, v[4:5] offset:2048
	;; [unrolled: 1-line block ×3, first 2 shown]
	s_waitcnt vmcnt(0) lgkmcnt(0)
	ds_write_b16 v14, v1
	ds_write_b16 v14, v10 offset:1024
	ds_write_b16 v14, v11 offset:2048
	;; [unrolled: 1-line block ×27, first 2 shown]
	s_waitcnt lgkmcnt(0)
	s_barrier
.LBB650_6:
	s_andn2_b64 vcc, exec, s[0:1]
	v_cmp_gt_u32_e64 s[0:1], s33, v0
	s_cbranch_vccnz .LBB650_64
; %bb.7:
                                        ; implicit-def: $vgpr1
	s_and_saveexec_b64 s[6:7], s[0:1]
	s_cbranch_execz .LBB650_9
; %bb.8:
	v_mov_b32_e32 v15, 0
	v_lshl_add_u64 v[4:5], v[2:3], 0, v[14:15]
	flat_load_ushort v1, v[4:5]
.LBB650_9:
	s_or_b64 exec, exec, s[6:7]
	v_or_b32_e32 v4, 0x200, v0
	v_cmp_gt_u32_e32 vcc, s33, v4
                                        ; implicit-def: $vgpr4
	s_and_saveexec_b64 s[0:1], vcc
	s_cbranch_execz .LBB650_11
; %bb.10:
	v_mov_b32_e32 v15, 0
	v_lshl_add_u64 v[4:5], v[2:3], 0, v[14:15]
	flat_load_ushort v4, v[4:5] offset:1024
.LBB650_11:
	s_or_b64 exec, exec, s[0:1]
	v_or_b32_e32 v5, 0x400, v0
	v_cmp_gt_u32_e32 vcc, s33, v5
                                        ; implicit-def: $vgpr5
	s_and_saveexec_b64 s[0:1], vcc
	s_cbranch_execz .LBB650_13
; %bb.12:
	v_mov_b32_e32 v15, 0
	v_lshl_add_u64 v[6:7], v[2:3], 0, v[14:15]
	flat_load_ushort v5, v[6:7] offset:2048
.LBB650_13:
	s_or_b64 exec, exec, s[0:1]
	v_or_b32_e32 v6, 0x600, v0
	v_cmp_gt_u32_e32 vcc, s33, v6
                                        ; implicit-def: $vgpr6
	s_and_saveexec_b64 s[0:1], vcc
	s_cbranch_execz .LBB650_15
; %bb.14:
	v_mov_b32_e32 v15, 0
	v_lshl_add_u64 v[6:7], v[2:3], 0, v[14:15]
	flat_load_ushort v6, v[6:7] offset:3072
.LBB650_15:
	s_or_b64 exec, exec, s[0:1]
	v_or_b32_e32 v8, 0x800, v0
	v_cmp_gt_u32_e32 vcc, s33, v8
                                        ; implicit-def: $vgpr7
	s_and_saveexec_b64 s[0:1], vcc
	s_cbranch_execz .LBB650_17
; %bb.16:
	v_lshlrev_b32_e32 v8, 1, v8
	v_mov_b32_e32 v9, 0
	v_lshl_add_u64 v[8:9], v[2:3], 0, v[8:9]
	flat_load_ushort v7, v[8:9]
.LBB650_17:
	s_or_b64 exec, exec, s[0:1]
	v_or_b32_e32 v9, 0xa00, v0
	v_cmp_gt_u32_e32 vcc, s33, v9
                                        ; implicit-def: $vgpr8
	s_and_saveexec_b64 s[0:1], vcc
	s_cbranch_execz .LBB650_19
; %bb.18:
	v_lshlrev_b32_e32 v8, 1, v9
	v_mov_b32_e32 v9, 0
	v_lshl_add_u64 v[8:9], v[2:3], 0, v[8:9]
	flat_load_ushort v8, v[8:9]
.LBB650_19:
	s_or_b64 exec, exec, s[0:1]
	v_or_b32_e32 v10, 0xc00, v0
	v_cmp_gt_u32_e32 vcc, s33, v10
                                        ; implicit-def: $vgpr9
	s_and_saveexec_b64 s[0:1], vcc
	s_cbranch_execz .LBB650_21
; %bb.20:
	v_lshlrev_b32_e32 v10, 1, v10
	v_mov_b32_e32 v11, 0
	v_lshl_add_u64 v[10:11], v[2:3], 0, v[10:11]
	flat_load_ushort v9, v[10:11]
.LBB650_21:
	s_or_b64 exec, exec, s[0:1]
	v_or_b32_e32 v11, 0xe00, v0
	v_cmp_gt_u32_e32 vcc, s33, v11
                                        ; implicit-def: $vgpr10
	s_and_saveexec_b64 s[0:1], vcc
	s_cbranch_execz .LBB650_23
; %bb.22:
	v_lshlrev_b32_e32 v10, 1, v11
	v_mov_b32_e32 v11, 0
	v_lshl_add_u64 v[10:11], v[2:3], 0, v[10:11]
	flat_load_ushort v10, v[10:11]
.LBB650_23:
	s_or_b64 exec, exec, s[0:1]
	v_or_b32_e32 v12, 0x1000, v0
	v_cmp_gt_u32_e32 vcc, s33, v12
                                        ; implicit-def: $vgpr11
	s_and_saveexec_b64 s[0:1], vcc
	s_cbranch_execz .LBB650_25
; %bb.24:
	v_lshlrev_b32_e32 v12, 1, v12
	v_mov_b32_e32 v13, 0
	v_lshl_add_u64 v[12:13], v[2:3], 0, v[12:13]
	flat_load_ushort v11, v[12:13]
.LBB650_25:
	s_or_b64 exec, exec, s[0:1]
	v_or_b32_e32 v13, 0x1200, v0
	v_cmp_gt_u32_e32 vcc, s33, v13
                                        ; implicit-def: $vgpr12
	s_and_saveexec_b64 s[0:1], vcc
	s_cbranch_execz .LBB650_27
; %bb.26:
	v_lshlrev_b32_e32 v12, 1, v13
	v_mov_b32_e32 v13, 0
	v_lshl_add_u64 v[12:13], v[2:3], 0, v[12:13]
	flat_load_ushort v12, v[12:13]
.LBB650_27:
	s_or_b64 exec, exec, s[0:1]
	v_or_b32_e32 v15, 0x1400, v0
	v_cmp_gt_u32_e32 vcc, s33, v15
                                        ; implicit-def: $vgpr13
	s_and_saveexec_b64 s[0:1], vcc
	s_cbranch_execz .LBB650_29
; %bb.28:
	v_lshlrev_b32_e32 v20, 1, v15
	v_mov_b32_e32 v21, 0
	v_lshl_add_u64 v[20:21], v[2:3], 0, v[20:21]
	flat_load_ushort v13, v[20:21]
.LBB650_29:
	s_or_b64 exec, exec, s[0:1]
	v_or_b32_e32 v20, 0x1600, v0
	v_cmp_gt_u32_e32 vcc, s33, v20
                                        ; implicit-def: $vgpr15
	s_and_saveexec_b64 s[0:1], vcc
	s_cbranch_execz .LBB650_31
; %bb.30:
	v_lshlrev_b32_e32 v20, 1, v20
	v_mov_b32_e32 v21, 0
	v_lshl_add_u64 v[20:21], v[2:3], 0, v[20:21]
	flat_load_ushort v15, v[20:21]
.LBB650_31:
	s_or_b64 exec, exec, s[0:1]
	v_or_b32_e32 v21, 0x1800, v0
	v_cmp_gt_u32_e32 vcc, s33, v21
                                        ; implicit-def: $vgpr20
	s_and_saveexec_b64 s[0:1], vcc
	s_cbranch_execz .LBB650_33
; %bb.32:
	v_lshlrev_b32_e32 v20, 1, v21
	v_mov_b32_e32 v21, 0
	v_lshl_add_u64 v[20:21], v[2:3], 0, v[20:21]
	flat_load_ushort v20, v[20:21]
.LBB650_33:
	s_or_b64 exec, exec, s[0:1]
	v_or_b32_e32 v22, 0x1a00, v0
	v_cmp_gt_u32_e32 vcc, s33, v22
                                        ; implicit-def: $vgpr21
	s_and_saveexec_b64 s[0:1], vcc
	s_cbranch_execz .LBB650_35
; %bb.34:
	v_lshlrev_b32_e32 v22, 1, v22
	v_mov_b32_e32 v23, 0
	v_lshl_add_u64 v[22:23], v[2:3], 0, v[22:23]
	flat_load_ushort v21, v[22:23]
.LBB650_35:
	s_or_b64 exec, exec, s[0:1]
	v_or_b32_e32 v23, 0x1c00, v0
	v_cmp_gt_u32_e32 vcc, s33, v23
                                        ; implicit-def: $vgpr22
	s_and_saveexec_b64 s[0:1], vcc
	s_cbranch_execz .LBB650_37
; %bb.36:
	v_lshlrev_b32_e32 v22, 1, v23
	v_mov_b32_e32 v23, 0
	v_lshl_add_u64 v[22:23], v[2:3], 0, v[22:23]
	flat_load_ushort v22, v[22:23]
.LBB650_37:
	s_or_b64 exec, exec, s[0:1]
	v_or_b32_e32 v24, 0x1e00, v0
	v_cmp_gt_u32_e32 vcc, s33, v24
                                        ; implicit-def: $vgpr23
	s_and_saveexec_b64 s[0:1], vcc
	s_cbranch_execz .LBB650_39
; %bb.38:
	v_lshlrev_b32_e32 v24, 1, v24
	v_mov_b32_e32 v25, 0
	v_lshl_add_u64 v[24:25], v[2:3], 0, v[24:25]
	flat_load_ushort v23, v[24:25]
.LBB650_39:
	s_or_b64 exec, exec, s[0:1]
	v_or_b32_e32 v25, 0x2000, v0
	v_cmp_gt_u32_e32 vcc, s33, v25
                                        ; implicit-def: $vgpr24
	s_and_saveexec_b64 s[0:1], vcc
	s_cbranch_execz .LBB650_41
; %bb.40:
	v_lshlrev_b32_e32 v24, 1, v25
	v_mov_b32_e32 v25, 0
	v_lshl_add_u64 v[24:25], v[2:3], 0, v[24:25]
	flat_load_ushort v24, v[24:25]
.LBB650_41:
	s_or_b64 exec, exec, s[0:1]
	v_or_b32_e32 v26, 0x2200, v0
	v_cmp_gt_u32_e32 vcc, s33, v26
                                        ; implicit-def: $vgpr25
	s_and_saveexec_b64 s[0:1], vcc
	s_cbranch_execz .LBB650_43
; %bb.42:
	v_lshlrev_b32_e32 v26, 1, v26
	v_mov_b32_e32 v27, 0
	v_lshl_add_u64 v[26:27], v[2:3], 0, v[26:27]
	flat_load_ushort v25, v[26:27]
.LBB650_43:
	s_or_b64 exec, exec, s[0:1]
	v_or_b32_e32 v27, 0x2400, v0
	v_cmp_gt_u32_e32 vcc, s33, v27
                                        ; implicit-def: $vgpr26
	s_and_saveexec_b64 s[0:1], vcc
	s_cbranch_execz .LBB650_45
; %bb.44:
	v_lshlrev_b32_e32 v26, 1, v27
	v_mov_b32_e32 v27, 0
	v_lshl_add_u64 v[26:27], v[2:3], 0, v[26:27]
	flat_load_ushort v26, v[26:27]
.LBB650_45:
	s_or_b64 exec, exec, s[0:1]
	v_or_b32_e32 v28, 0x2600, v0
	v_cmp_gt_u32_e32 vcc, s33, v28
                                        ; implicit-def: $vgpr27
	s_and_saveexec_b64 s[0:1], vcc
	s_cbranch_execz .LBB650_47
; %bb.46:
	v_lshlrev_b32_e32 v28, 1, v28
	v_mov_b32_e32 v29, 0
	v_lshl_add_u64 v[28:29], v[2:3], 0, v[28:29]
	flat_load_ushort v27, v[28:29]
.LBB650_47:
	s_or_b64 exec, exec, s[0:1]
	v_or_b32_e32 v29, 0x2800, v0
	v_cmp_gt_u32_e32 vcc, s33, v29
                                        ; implicit-def: $vgpr28
	s_and_saveexec_b64 s[0:1], vcc
	s_cbranch_execz .LBB650_49
; %bb.48:
	v_lshlrev_b32_e32 v28, 1, v29
	v_mov_b32_e32 v29, 0
	v_lshl_add_u64 v[28:29], v[2:3], 0, v[28:29]
	flat_load_ushort v28, v[28:29]
.LBB650_49:
	s_or_b64 exec, exec, s[0:1]
	v_or_b32_e32 v30, 0x2a00, v0
	v_cmp_gt_u32_e32 vcc, s33, v30
                                        ; implicit-def: $vgpr29
	s_and_saveexec_b64 s[0:1], vcc
	s_cbranch_execz .LBB650_51
; %bb.50:
	v_lshlrev_b32_e32 v30, 1, v30
	v_mov_b32_e32 v31, 0
	v_lshl_add_u64 v[30:31], v[2:3], 0, v[30:31]
	flat_load_ushort v29, v[30:31]
.LBB650_51:
	s_or_b64 exec, exec, s[0:1]
	v_or_b32_e32 v31, 0x2c00, v0
	v_cmp_gt_u32_e32 vcc, s33, v31
                                        ; implicit-def: $vgpr30
	s_and_saveexec_b64 s[0:1], vcc
	s_cbranch_execz .LBB650_53
; %bb.52:
	v_lshlrev_b32_e32 v30, 1, v31
	v_mov_b32_e32 v31, 0
	v_lshl_add_u64 v[30:31], v[2:3], 0, v[30:31]
	flat_load_ushort v30, v[30:31]
.LBB650_53:
	s_or_b64 exec, exec, s[0:1]
	v_or_b32_e32 v32, 0x2e00, v0
	v_cmp_gt_u32_e32 vcc, s33, v32
                                        ; implicit-def: $vgpr31
	s_and_saveexec_b64 s[0:1], vcc
	s_cbranch_execz .LBB650_55
; %bb.54:
	v_lshlrev_b32_e32 v32, 1, v32
	v_mov_b32_e32 v33, 0
	v_lshl_add_u64 v[32:33], v[2:3], 0, v[32:33]
	flat_load_ushort v31, v[32:33]
.LBB650_55:
	s_or_b64 exec, exec, s[0:1]
	v_or_b32_e32 v33, 0x3000, v0
	v_cmp_gt_u32_e32 vcc, s33, v33
                                        ; implicit-def: $vgpr32
	s_and_saveexec_b64 s[0:1], vcc
	s_cbranch_execz .LBB650_57
; %bb.56:
	v_lshlrev_b32_e32 v32, 1, v33
	v_mov_b32_e32 v33, 0
	v_lshl_add_u64 v[32:33], v[2:3], 0, v[32:33]
	flat_load_ushort v32, v[32:33]
.LBB650_57:
	s_or_b64 exec, exec, s[0:1]
	v_or_b32_e32 v34, 0x3200, v0
	v_cmp_gt_u32_e32 vcc, s33, v34
                                        ; implicit-def: $vgpr33
	s_and_saveexec_b64 s[0:1], vcc
	s_cbranch_execz .LBB650_59
; %bb.58:
	v_lshlrev_b32_e32 v34, 1, v34
	v_mov_b32_e32 v35, 0
	v_lshl_add_u64 v[34:35], v[2:3], 0, v[34:35]
	flat_load_ushort v33, v[34:35]
.LBB650_59:
	s_or_b64 exec, exec, s[0:1]
	v_or_b32_e32 v35, 0x3400, v0
	v_cmp_gt_u32_e32 vcc, s33, v35
                                        ; implicit-def: $vgpr34
	s_and_saveexec_b64 s[0:1], vcc
	s_cbranch_execz .LBB650_61
; %bb.60:
	v_lshlrev_b32_e32 v34, 1, v35
	v_mov_b32_e32 v35, 0
	v_lshl_add_u64 v[34:35], v[2:3], 0, v[34:35]
	flat_load_ushort v34, v[34:35]
.LBB650_61:
	s_or_b64 exec, exec, s[0:1]
	v_or_b32_e32 v36, 0x3600, v0
	v_cmp_gt_u32_e32 vcc, s33, v36
                                        ; implicit-def: $vgpr35
	s_and_saveexec_b64 s[0:1], vcc
	s_cbranch_execz .LBB650_63
; %bb.62:
	v_lshlrev_b32_e32 v36, 1, v36
	v_mov_b32_e32 v37, 0
	v_lshl_add_u64 v[2:3], v[2:3], 0, v[36:37]
	flat_load_ushort v35, v[2:3]
.LBB650_63:
	s_or_b64 exec, exec, s[0:1]
	s_waitcnt vmcnt(0) lgkmcnt(0)
	ds_write_b16 v14, v1
	ds_write_b16 v14, v4 offset:1024
	ds_write_b16 v14, v5 offset:2048
	;; [unrolled: 1-line block ×27, first 2 shown]
	s_waitcnt lgkmcnt(0)
	s_barrier
.LBB650_64:
	v_mul_u32_u24_e32 v1, 28, v0
	v_lshlrev_b32_e32 v6, 1, v1
	ds_read_b64 v[20:21], v6 offset:48
	ds_read2_b64 v[2:5], v6 offset0:4 offset1:5
	ds_read2_b64 v[10:13], v6 offset1:1
	ds_read2_b64 v[6:9], v6 offset0:2 offset1:3
	s_add_u32 s0, s2, s4
	s_addc_u32 s1, s3, s5
	v_lshl_add_u64 v[22:23], s[0:1], 0, v[18:19]
	s_mov_b64 s[0:1], -1
	s_and_b64 vcc, exec, s[28:29]
	s_waitcnt lgkmcnt(0)
	s_barrier
	s_cbranch_vccz .LBB650_66
; %bb.65:
	v_mov_b32_e32 v15, 0
	v_readfirstlane_b32 s0, v22
	v_readfirstlane_b32 s1, v23
	v_lshl_add_u64 v[24:25], v[22:23], 0, v[14:15]
	s_nop 3
	global_load_ushort v15, v14, s[0:1]
	global_load_ushort v32, v14, s[0:1] offset:1024
	global_load_ushort v33, v14, s[0:1] offset:2048
	;; [unrolled: 1-line block ×3, first 2 shown]
	s_movk_i32 s0, 0x1000
	v_add_co_u32_e32 v26, vcc, s0, v24
	s_movk_i32 s0, 0x2000
	s_nop 0
	v_addc_co_u32_e32 v27, vcc, 0, v25, vcc
	v_add_co_u32_e32 v28, vcc, s0, v24
	s_movk_i32 s0, 0x3000
	s_nop 0
	v_addc_co_u32_e32 v29, vcc, 0, v25, vcc
	global_load_ushort v35, v[26:27], off offset:1024
	global_load_ushort v36, v[26:27], off offset:2048
	;; [unrolled: 1-line block ×3, first 2 shown]
	global_load_ushort v38, v[28:29], off offset:-4096
	global_load_ushort v39, v[28:29], off
	global_load_ushort v40, v[28:29], off offset:1024
	global_load_ushort v41, v[28:29], off offset:2048
	v_add_co_u32_e32 v26, vcc, s0, v24
	s_movk_i32 s0, 0x4000
	s_nop 0
	v_addc_co_u32_e32 v27, vcc, 0, v25, vcc
	v_add_co_u32_e32 v30, vcc, s0, v24
	s_movk_i32 s1, 0x6000
	s_nop 0
	v_addc_co_u32_e32 v31, vcc, 0, v25, vcc
	global_load_ushort v42, v[28:29], off offset:3072
	global_load_ushort v43, v[30:31], off offset:-4096
	global_load_ushort v44, v[26:27], off offset:1024
	global_load_ushort v45, v[26:27], off offset:2048
	;; [unrolled: 1-line block ×3, first 2 shown]
	global_load_ushort v47, v[30:31], off
	v_add_co_u32_e32 v26, vcc, s1, v24
	s_movk_i32 s0, 0x5000
	s_nop 0
	v_addc_co_u32_e32 v27, vcc, 0, v25, vcc
	global_load_ushort v28, v[30:31], off offset:1024
	global_load_ushort v29, v[30:31], off offset:2048
	;; [unrolled: 1-line block ×3, first 2 shown]
	global_load_ushort v49, v[26:27], off offset:-4096
	v_add_co_u32_e32 v24, vcc, s0, v24
	s_mov_b64 s[0:1], 0
	s_nop 0
	v_addc_co_u32_e32 v25, vcc, 0, v25, vcc
	global_load_ushort v30, v[24:25], off offset:1024
	global_load_ushort v31, v[24:25], off offset:2048
	;; [unrolled: 1-line block ×3, first 2 shown]
	global_load_ushort v51, v[26:27], off
	global_load_ushort v52, v[26:27], off offset:1024
	global_load_ushort v53, v[26:27], off offset:2048
	;; [unrolled: 1-line block ×3, first 2 shown]
	s_waitcnt vmcnt(27)
	v_cmp_ne_u16_e32 vcc, 0, v15
	s_nop 1
	v_cndmask_b32_e64 v15, 0, 1, vcc
	s_waitcnt vmcnt(26)
	v_cmp_ne_u16_e32 vcc, 0, v32
	s_nop 1
	v_cndmask_b32_e64 v24, 0, 1, vcc
	;; [unrolled: 4-line block ×5, first 2 shown]
	v_cmp_ne_u16_e32 vcc, 0, v35
	s_nop 1
	v_cndmask_b32_e64 v32, 0, 1, vcc
	v_cmp_ne_u16_e32 vcc, 0, v36
	s_nop 1
	v_cndmask_b32_e64 v33, 0, 1, vcc
	;; [unrolled: 3-line block ×3, first 2 shown]
	s_waitcnt vmcnt(19)
	v_cmp_ne_u16_e32 vcc, 0, v39
	s_nop 1
	v_cndmask_b32_e64 v35, 0, 1, vcc
	s_waitcnt vmcnt(18)
	v_cmp_ne_u16_e32 vcc, 0, v40
	s_nop 1
	v_cndmask_b32_e64 v36, 0, 1, vcc
	;; [unrolled: 4-line block ×20, first 2 shown]
	ds_write_b8 v0, v15
	ds_write_b8 v0, v24 offset:512
	ds_write_b8 v0, v25 offset:1024
	;; [unrolled: 1-line block ×27, first 2 shown]
	s_waitcnt lgkmcnt(0)
	s_barrier
.LBB650_66:
	s_andn2_b64 vcc, exec, s[0:1]
	s_cbranch_vccnz .LBB650_124
; %bb.67:
	v_cmp_gt_u32_e32 vcc, s33, v0
	v_mov_b32_e32 v15, 0
	v_mov_b32_e32 v24, 0
	s_and_saveexec_b64 s[0:1], vcc
	s_cbranch_execz .LBB650_69
; %bb.68:
	v_readfirstlane_b32 s2, v22
	v_readfirstlane_b32 s3, v23
	s_nop 4
	global_load_ushort v24, v14, s[2:3]
	s_waitcnt vmcnt(0)
	v_cmp_ne_u16_e32 vcc, 0, v24
	s_nop 1
	v_cndmask_b32_e64 v24, 0, 1, vcc
.LBB650_69:
	s_or_b64 exec, exec, s[0:1]
	v_or_b32_e32 v25, 0x200, v0
	v_cmp_gt_u32_e32 vcc, s33, v25
	s_and_saveexec_b64 s[0:1], vcc
	s_cbranch_execz .LBB650_71
; %bb.70:
	v_readfirstlane_b32 s2, v22
	v_readfirstlane_b32 s3, v23
	s_nop 4
	global_load_ushort v15, v14, s[2:3] offset:1024
	s_waitcnt vmcnt(0)
	v_cmp_ne_u16_e32 vcc, 0, v15
	s_nop 1
	v_cndmask_b32_e64 v15, 0, 1, vcc
.LBB650_71:
	s_or_b64 exec, exec, s[0:1]
	v_or_b32_e32 v25, 0x400, v0
	v_cmp_gt_u32_e32 vcc, s33, v25
	v_mov_b32_e32 v25, 0
	v_mov_b32_e32 v26, 0
	s_and_saveexec_b64 s[0:1], vcc
	s_cbranch_execz .LBB650_73
; %bb.72:
	v_readfirstlane_b32 s2, v22
	v_readfirstlane_b32 s3, v23
	s_nop 4
	global_load_ushort v26, v14, s[2:3] offset:2048
	s_waitcnt vmcnt(0)
	v_cmp_ne_u16_e32 vcc, 0, v26
	s_nop 1
	v_cndmask_b32_e64 v26, 0, 1, vcc
.LBB650_73:
	s_or_b64 exec, exec, s[0:1]
	v_or_b32_e32 v27, 0x600, v0
	v_cmp_gt_u32_e32 vcc, s33, v27
	s_and_saveexec_b64 s[0:1], vcc
	s_cbranch_execz .LBB650_75
; %bb.74:
	v_readfirstlane_b32 s2, v22
	v_readfirstlane_b32 s3, v23
	s_nop 4
	global_load_ushort v25, v14, s[2:3] offset:3072
	s_waitcnt vmcnt(0)
	v_cmp_ne_u16_e32 vcc, 0, v25
	s_nop 1
	v_cndmask_b32_e64 v25, 0, 1, vcc
.LBB650_75:
	s_or_b64 exec, exec, s[0:1]
	v_or_b32_e32 v29, 0x800, v0
	v_cmp_gt_u32_e32 vcc, s33, v29
	v_mov_b32_e32 v27, 0
	v_mov_b32_e32 v28, 0
	s_and_saveexec_b64 s[0:1], vcc
	s_cbranch_execz .LBB650_77
; %bb.76:
	v_lshlrev_b32_e32 v28, 1, v29
	v_readfirstlane_b32 s2, v22
	v_readfirstlane_b32 s3, v23
	s_nop 4
	global_load_ushort v28, v28, s[2:3]
	s_waitcnt vmcnt(0)
	v_cmp_ne_u16_e32 vcc, 0, v28
	s_nop 1
	v_cndmask_b32_e64 v28, 0, 1, vcc
.LBB650_77:
	s_or_b64 exec, exec, s[0:1]
	v_or_b32_e32 v29, 0xa00, v0
	v_cmp_gt_u32_e32 vcc, s33, v29
	s_and_saveexec_b64 s[0:1], vcc
	s_cbranch_execz .LBB650_79
; %bb.78:
	v_lshlrev_b32_e32 v27, 1, v29
	v_readfirstlane_b32 s2, v22
	v_readfirstlane_b32 s3, v23
	s_nop 4
	global_load_ushort v27, v27, s[2:3]
	s_waitcnt vmcnt(0)
	v_cmp_ne_u16_e32 vcc, 0, v27
	s_nop 1
	v_cndmask_b32_e64 v27, 0, 1, vcc
.LBB650_79:
	s_or_b64 exec, exec, s[0:1]
	v_or_b32_e32 v31, 0xc00, v0
	v_cmp_gt_u32_e32 vcc, s33, v31
	v_mov_b32_e32 v29, 0
	v_mov_b32_e32 v30, 0
	s_and_saveexec_b64 s[0:1], vcc
	s_cbranch_execz .LBB650_81
; %bb.80:
	v_lshlrev_b32_e32 v30, 1, v31
	v_readfirstlane_b32 s2, v22
	v_readfirstlane_b32 s3, v23
	s_nop 4
	global_load_ushort v30, v30, s[2:3]
	s_waitcnt vmcnt(0)
	v_cmp_ne_u16_e32 vcc, 0, v30
	s_nop 1
	v_cndmask_b32_e64 v30, 0, 1, vcc
.LBB650_81:
	s_or_b64 exec, exec, s[0:1]
	v_or_b32_e32 v31, 0xe00, v0
	v_cmp_gt_u32_e32 vcc, s33, v31
	s_and_saveexec_b64 s[0:1], vcc
	s_cbranch_execz .LBB650_83
; %bb.82:
	v_lshlrev_b32_e32 v29, 1, v31
	v_readfirstlane_b32 s2, v22
	v_readfirstlane_b32 s3, v23
	s_nop 4
	global_load_ushort v29, v29, s[2:3]
	s_waitcnt vmcnt(0)
	v_cmp_ne_u16_e32 vcc, 0, v29
	s_nop 1
	v_cndmask_b32_e64 v29, 0, 1, vcc
.LBB650_83:
	;; [unrolled: 34-line block ×12, first 2 shown]
	s_or_b64 exec, exec, s[0:1]
	ds_write_b8 v0, v24
	ds_write_b8 v0, v15 offset:512
	ds_write_b8 v0, v26 offset:1024
	;; [unrolled: 1-line block ×27, first 2 shown]
	s_waitcnt lgkmcnt(0)
	s_barrier
.LBB650_124:
	ds_read2_b32 v[28:29], v1 offset1:1
	ds_read2_b32 v[26:27], v1 offset0:2 offset1:3
	ds_read2_b32 v[24:25], v1 offset0:4 offset1:5
	ds_read_b32 v38, v1 offset:24
	s_cmp_lg_u32 s40, 0
	v_lshrrev_b32_e32 v65, 6, v0
	s_waitcnt lgkmcnt(2)
	v_and_b32_e32 v57, 0xff, v26
	v_lshrrev_b32_e32 v45, 24, v28
	v_bfe_u32 v63, v28, 16, 8
	v_add_u32_sdwa v22, v28, v28 dst_sel:DWORD dst_unused:UNUSED_PAD src0_sel:BYTE_1 src1_sel:BYTE_0
	v_and_b32_e32 v60, 0xff, v29
	v_bfe_u32 v61, v29, 8, 8
	v_add3_u32 v22, v22, v63, v45
	v_lshrrev_b32_e32 v44, 24, v29
	v_bfe_u32 v62, v29, 16, 8
	v_add3_u32 v22, v22, v60, v61
	v_bfe_u32 v58, v26, 8, 8
	v_add3_u32 v22, v22, v62, v44
	v_lshrrev_b32_e32 v43, 24, v26
	v_bfe_u32 v59, v26, 16, 8
	v_add3_u32 v22, v22, v57, v58
	v_and_b32_e32 v54, 0xff, v27
	v_bfe_u32 v55, v27, 8, 8
	v_add3_u32 v22, v22, v59, v43
	v_lshrrev_b32_e32 v42, 24, v27
	v_bfe_u32 v56, v27, 16, 8
	v_add3_u32 v22, v22, v54, v55
	s_waitcnt lgkmcnt(1)
	v_and_b32_e32 v51, 0xff, v24
	v_bfe_u32 v52, v24, 8, 8
	v_add3_u32 v22, v22, v56, v42
	v_lshrrev_b32_e32 v41, 24, v24
	v_bfe_u32 v53, v24, 16, 8
	v_add3_u32 v22, v22, v51, v52
	v_and_b32_e32 v48, 0xff, v25
	v_bfe_u32 v49, v25, 8, 8
	v_add3_u32 v22, v22, v53, v41
	v_lshrrev_b32_e32 v40, 24, v25
	v_bfe_u32 v50, v25, 16, 8
	v_add3_u32 v22, v22, v48, v49
	s_waitcnt lgkmcnt(0)
	v_and_b32_e32 v46, 0xff, v38
	v_bfe_u32 v47, v38, 8, 8
	v_add3_u32 v22, v22, v50, v40
	v_lshrrev_b32_e32 v15, 24, v38
	v_bfe_u32 v39, v38, 16, 8
	v_add3_u32 v22, v22, v46, v47
	v_add3_u32 v66, v22, v39, v15
	v_mbcnt_lo_u32_b32 v22, -1, 0
	v_mbcnt_hi_u32_b32 v64, -1, v22
	v_and_b32_e32 v22, 15, v64
	v_cmp_eq_u32_e64 s[14:15], 0, v22
	v_cmp_lt_u32_e64 s[12:13], 1, v22
	v_cmp_lt_u32_e64 s[10:11], 3, v22
	;; [unrolled: 1-line block ×3, first 2 shown]
	v_and_b32_e32 v22, 16, v64
	v_cmp_eq_u32_e64 s[6:7], 0, v22
	v_or_b32_e32 v22, 63, v0
	v_cmp_lt_u32_e64 s[2:3], 31, v64
	v_cmp_eq_u32_e64 s[4:5], v22, v0
	s_barrier
	s_cbranch_scc0 .LBB650_155
; %bb.125:
	v_mov_b32_dpp v22, v66 row_shr:1 row_mask:0xf bank_mask:0xf
	v_cndmask_b32_e64 v22, v22, 0, s[14:15]
	v_add_u32_e32 v22, v22, v66
	s_nop 1
	v_mov_b32_dpp v23, v22 row_shr:2 row_mask:0xf bank_mask:0xf
	v_cndmask_b32_e64 v23, 0, v23, s[12:13]
	v_add_u32_e32 v22, v22, v23
	s_nop 1
	;; [unrolled: 4-line block ×4, first 2 shown]
	v_mov_b32_dpp v23, v22 row_bcast:15 row_mask:0xf bank_mask:0xf
	v_cndmask_b32_e64 v23, v23, 0, s[6:7]
	v_add_u32_e32 v22, v22, v23
	s_nop 1
	v_mov_b32_dpp v23, v22 row_bcast:31 row_mask:0xf bank_mask:0xf
	v_cndmask_b32_e64 v23, 0, v23, s[2:3]
	v_add_u32_e32 v22, v22, v23
	s_and_saveexec_b64 s[0:1], s[4:5]
	s_cbranch_execz .LBB650_127
; %bb.126:
	v_lshlrev_b32_e32 v23, 2, v65
	ds_write_b32 v23, v22
.LBB650_127:
	s_or_b64 exec, exec, s[0:1]
	v_cmp_gt_u32_e32 vcc, 8, v0
	s_waitcnt lgkmcnt(0)
	s_barrier
	s_and_saveexec_b64 s[0:1], vcc
	s_cbranch_execz .LBB650_129
; %bb.128:
	v_lshlrev_b32_e32 v23, 2, v0
	ds_read_b32 v30, v23
	v_and_b32_e32 v31, 7, v64
	v_cmp_ne_u32_e32 vcc, 0, v31
	s_waitcnt lgkmcnt(0)
	v_mov_b32_dpp v32, v30 row_shr:1 row_mask:0xf bank_mask:0xf
	v_cndmask_b32_e32 v32, 0, v32, vcc
	v_add_u32_e32 v30, v32, v30
	v_cmp_lt_u32_e32 vcc, 1, v31
	s_nop 0
	v_mov_b32_dpp v32, v30 row_shr:2 row_mask:0xf bank_mask:0xf
	v_cndmask_b32_e32 v32, 0, v32, vcc
	v_add_u32_e32 v30, v30, v32
	v_cmp_lt_u32_e32 vcc, 3, v31
	s_nop 0
	v_mov_b32_dpp v32, v30 row_shr:4 row_mask:0xf bank_mask:0xf
	v_cndmask_b32_e32 v31, 0, v32, vcc
	v_add_u32_e32 v30, v30, v31
	ds_write_b32 v23, v30
.LBB650_129:
	s_or_b64 exec, exec, s[0:1]
	v_cmp_gt_u32_e32 vcc, 64, v0
	v_cmp_lt_u32_e64 s[0:1], 63, v0
	s_waitcnt lgkmcnt(0)
	s_barrier
	s_waitcnt lgkmcnt(0)
                                        ; implicit-def: $vgpr67
	s_and_saveexec_b64 s[16:17], s[0:1]
	s_cbranch_execz .LBB650_131
; %bb.130:
	v_lshl_add_u32 v23, v65, 2, -4
	ds_read_b32 v67, v23
	s_waitcnt lgkmcnt(0)
	v_add_u32_e32 v22, v67, v22
.LBB650_131:
	s_or_b64 exec, exec, s[16:17]
	v_add_u32_e32 v23, -1, v64
	v_and_b32_e32 v30, 64, v64
	v_cmp_lt_i32_e64 s[0:1], v23, v30
	v_cmp_eq_u32_e64 s[16:17], 0, v64
	s_nop 0
	v_cndmask_b32_e64 v23, v23, v64, s[0:1]
	v_lshlrev_b32_e32 v23, 2, v23
	ds_bpermute_b32 v68, v23, v22
	s_and_saveexec_b64 s[0:1], vcc
	s_cbranch_execz .LBB650_154
; %bb.132:
	v_mov_b32_e32 v37, 0
	ds_read_b32 v22, v37 offset:28
	s_and_saveexec_b64 s[36:37], s[16:17]
	s_cbranch_execz .LBB650_134
; %bb.133:
	s_add_i32 s38, s40, 64
	s_mov_b32 s39, 0
	s_lshl_b64 s[38:39], s[38:39], 3
	s_add_u32 s38, s34, s38
	v_mov_b32_e32 v23, 1
	s_addc_u32 s39, s35, s39
	s_waitcnt lgkmcnt(0)
	global_store_dwordx2 v37, v[22:23], s[38:39] sc1
.LBB650_134:
	s_or_b64 exec, exec, s[36:37]
	v_xad_u32 v30, v64, -1, s40
	v_add_u32_e32 v36, 64, v30
	v_lshl_add_u64 v[32:33], v[36:37], 3, s[34:35]
	global_load_dwordx2 v[34:35], v[32:33], off sc1
	s_waitcnt vmcnt(0)
	v_cmp_eq_u16_sdwa s[38:39], v35, v37 src0_sel:BYTE_0 src1_sel:DWORD
	s_and_saveexec_b64 s[36:37], s[38:39]
	s_cbranch_execz .LBB650_140
; %bb.135:
	s_mov_b32 s41, 1
	s_mov_b64 s[38:39], 0
	v_mov_b32_e32 v23, 0
.LBB650_136:                            ; =>This Loop Header: Depth=1
                                        ;     Child Loop BB650_137 Depth 2
	s_max_u32 s42, s41, 1
.LBB650_137:                            ;   Parent Loop BB650_136 Depth=1
                                        ; =>  This Inner Loop Header: Depth=2
	s_add_i32 s42, s42, -1
	s_cmp_eq_u32 s42, 0
	s_sleep 1
	s_cbranch_scc0 .LBB650_137
; %bb.138:                              ;   in Loop: Header=BB650_136 Depth=1
	global_load_dwordx2 v[34:35], v[32:33], off sc1
	s_cmp_lt_u32 s41, 32
	s_cselect_b64 s[42:43], -1, 0
	s_cmp_lg_u64 s[42:43], 0
	s_addc_u32 s41, s41, 0
	s_waitcnt vmcnt(0)
	v_cmp_ne_u16_sdwa s[42:43], v35, v23 src0_sel:BYTE_0 src1_sel:DWORD
	s_or_b64 s[38:39], s[42:43], s[38:39]
	s_andn2_b64 exec, exec, s[38:39]
	s_cbranch_execnz .LBB650_136
; %bb.139:
	s_or_b64 exec, exec, s[38:39]
.LBB650_140:
	s_or_b64 exec, exec, s[36:37]
	v_and_b32_e32 v70, 63, v64
	v_mov_b32_e32 v69, 2
	v_cmp_ne_u32_e32 vcc, 63, v70
	v_cmp_eq_u16_sdwa s[36:37], v35, v69 src0_sel:BYTE_0 src1_sel:DWORD
	v_lshlrev_b64 v[32:33], v64, -1
	v_addc_co_u32_e32 v36, vcc, 0, v64, vcc
	v_and_b32_e32 v23, s37, v33
	v_lshlrev_b32_e32 v71, 2, v36
	v_or_b32_e32 v23, 0x80000000, v23
	ds_bpermute_b32 v36, v71, v34
	v_and_b32_e32 v31, s36, v32
	v_ffbl_b32_e32 v23, v23
	v_add_u32_e32 v23, 32, v23
	v_ffbl_b32_e32 v31, v31
	v_min_u32_e32 v23, v31, v23
	v_cmp_lt_u32_e32 vcc, v70, v23
	v_add_u32_e32 v73, 2, v70
	v_add_u32_e32 v75, 4, v70
	s_waitcnt lgkmcnt(0)
	v_cndmask_b32_e32 v31, 0, v36, vcc
	v_cmp_gt_u32_e32 vcc, 62, v70
	v_add_u32_e32 v31, v31, v34
	v_add_u32_e32 v77, 8, v70
	v_cndmask_b32_e64 v34, 0, 1, vcc
	v_lshlrev_b32_e32 v34, 1, v34
	v_add_lshl_u32 v72, v34, v64, 2
	ds_bpermute_b32 v34, v72, v31
	v_cmp_le_u32_e32 vcc, v73, v23
	v_add_u32_e32 v79, 16, v70
	v_add_u32_e32 v81, 32, v70
	s_waitcnt lgkmcnt(0)
	v_cndmask_b32_e32 v34, 0, v34, vcc
	v_cmp_gt_u32_e32 vcc, 60, v70
	v_add_u32_e32 v31, v31, v34
	s_nop 0
	v_cndmask_b32_e64 v34, 0, 1, vcc
	v_lshlrev_b32_e32 v34, 2, v34
	v_add_lshl_u32 v74, v34, v64, 2
	ds_bpermute_b32 v34, v74, v31
	v_cmp_le_u32_e32 vcc, v75, v23
	s_waitcnt lgkmcnt(0)
	s_nop 0
	v_cndmask_b32_e32 v34, 0, v34, vcc
	v_cmp_gt_u32_e32 vcc, 56, v70
	v_add_u32_e32 v31, v31, v34
	s_nop 0
	v_cndmask_b32_e64 v34, 0, 1, vcc
	v_lshlrev_b32_e32 v34, 3, v34
	v_add_lshl_u32 v76, v34, v64, 2
	ds_bpermute_b32 v34, v76, v31
	v_cmp_le_u32_e32 vcc, v77, v23
	s_waitcnt lgkmcnt(0)
	s_nop 0
	;; [unrolled: 11-line block ×4, first 2 shown]
	v_cndmask_b32_e32 v23, 0, v34, vcc
	v_add_u32_e32 v34, v31, v23
	v_mov_b32_e32 v31, 0
	s_branch .LBB650_142
.LBB650_141:                            ;   in Loop: Header=BB650_142 Depth=1
	s_or_b64 exec, exec, s[36:37]
	v_cmp_eq_u16_sdwa s[36:37], v35, v69 src0_sel:BYTE_0 src1_sel:DWORD
	ds_bpermute_b32 v82, v71, v34
	v_subrev_u32_e32 v30, 64, v30
	v_and_b32_e32 v36, s37, v33
	v_or_b32_e32 v36, 0x80000000, v36
	v_and_b32_e32 v37, s36, v32
	v_ffbl_b32_e32 v36, v36
	v_add_u32_e32 v36, 32, v36
	v_ffbl_b32_e32 v37, v37
	v_min_u32_e32 v36, v37, v36
	v_cmp_lt_u32_e32 vcc, v70, v36
	s_waitcnt lgkmcnt(0)
	s_nop 0
	v_cndmask_b32_e32 v37, 0, v82, vcc
	v_add_u32_e32 v34, v37, v34
	ds_bpermute_b32 v37, v72, v34
	v_cmp_le_u32_e32 vcc, v73, v36
	s_waitcnt lgkmcnt(0)
	s_nop 0
	v_cndmask_b32_e32 v37, 0, v37, vcc
	v_add_u32_e32 v34, v34, v37
	ds_bpermute_b32 v37, v74, v34
	v_cmp_le_u32_e32 vcc, v75, v36
	;; [unrolled: 6-line block ×5, first 2 shown]
	s_waitcnt lgkmcnt(0)
	s_nop 0
	v_cndmask_b32_e32 v36, 0, v37, vcc
	v_add3_u32 v34, v36, v23, v34
.LBB650_142:                            ; =>This Loop Header: Depth=1
                                        ;     Child Loop BB650_145 Depth 2
                                        ;       Child Loop BB650_146 Depth 3
	v_cmp_ne_u16_sdwa s[36:37], v35, v69 src0_sel:BYTE_0 src1_sel:DWORD
	s_nop 1
	v_cndmask_b32_e64 v23, 0, 1, s[36:37]
	;;#ASMSTART
	;;#ASMEND
	s_nop 0
	v_cmp_ne_u32_e32 vcc, 0, v23
	s_cmp_lg_u64 vcc, exec
	v_mov_b32_e32 v23, v34
	s_cbranch_scc1 .LBB650_149
; %bb.143:                              ;   in Loop: Header=BB650_142 Depth=1
	v_lshl_add_u64 v[36:37], v[30:31], 3, s[34:35]
	global_load_dwordx2 v[34:35], v[36:37], off sc1
	s_waitcnt vmcnt(0)
	v_cmp_eq_u16_sdwa s[38:39], v35, v31 src0_sel:BYTE_0 src1_sel:DWORD
	s_and_saveexec_b64 s[36:37], s[38:39]
	s_cbranch_execz .LBB650_141
; %bb.144:                              ;   in Loop: Header=BB650_142 Depth=1
	s_mov_b32 s41, 1
	s_mov_b64 s[38:39], 0
.LBB650_145:                            ;   Parent Loop BB650_142 Depth=1
                                        ; =>  This Loop Header: Depth=2
                                        ;       Child Loop BB650_146 Depth 3
	s_max_u32 s42, s41, 1
.LBB650_146:                            ;   Parent Loop BB650_142 Depth=1
                                        ;     Parent Loop BB650_145 Depth=2
                                        ; =>    This Inner Loop Header: Depth=3
	s_add_i32 s42, s42, -1
	s_cmp_eq_u32 s42, 0
	s_sleep 1
	s_cbranch_scc0 .LBB650_146
; %bb.147:                              ;   in Loop: Header=BB650_145 Depth=2
	global_load_dwordx2 v[34:35], v[36:37], off sc1
	s_cmp_lt_u32 s41, 32
	s_cselect_b64 s[42:43], -1, 0
	s_cmp_lg_u64 s[42:43], 0
	s_addc_u32 s41, s41, 0
	s_waitcnt vmcnt(0)
	v_cmp_ne_u16_sdwa s[42:43], v35, v31 src0_sel:BYTE_0 src1_sel:DWORD
	s_or_b64 s[38:39], s[42:43], s[38:39]
	s_andn2_b64 exec, exec, s[38:39]
	s_cbranch_execnz .LBB650_145
; %bb.148:                              ;   in Loop: Header=BB650_142 Depth=1
	s_or_b64 exec, exec, s[38:39]
	s_branch .LBB650_141
.LBB650_149:                            ;   in Loop: Header=BB650_142 Depth=1
                                        ; implicit-def: $vgpr34
                                        ; implicit-def: $vgpr35
	s_cbranch_execz .LBB650_142
; %bb.150:
	s_and_saveexec_b64 s[36:37], s[16:17]
	s_cbranch_execz .LBB650_152
; %bb.151:
	s_add_i32 s38, s40, 64
	s_mov_b32 s39, 0
	s_lshl_b64 s[38:39], s[38:39], 3
	s_add_u32 s38, s34, s38
	v_add_u32_e32 v30, v23, v22
	v_mov_b32_e32 v31, 2
	s_addc_u32 s39, s35, s39
	v_mov_b32_e32 v32, 0
	global_store_dwordx2 v32, v[30:31], s[38:39] sc1
	ds_write_b64 v32, v[22:23] offset:28672
.LBB650_152:
	s_or_b64 exec, exec, s[36:37]
	s_and_b64 exec, exec, s[18:19]
	s_cbranch_execz .LBB650_154
; %bb.153:
	v_mov_b32_e32 v22, 0
	ds_write_b32 v22, v23 offset:28
.LBB650_154:
	s_or_b64 exec, exec, s[0:1]
	v_mov_b32_e32 v22, 0
	s_waitcnt lgkmcnt(0)
	s_barrier
	ds_read_b32 v30, v22 offset:28
	s_waitcnt lgkmcnt(0)
	s_barrier
	ds_read_b64 v[22:23], v22 offset:28672
	v_cndmask_b32_e64 v31, v68, v67, s[16:17]
	v_cndmask_b32_e64 v31, v31, 0, s[18:19]
	v_add_u32_e32 v36, v30, v31
	s_waitcnt lgkmcnt(0)
	v_mov_b32_e32 v30, v23
	s_branch .LBB650_165
.LBB650_155:
                                        ; implicit-def: $vgpr30
                                        ; implicit-def: $vgpr22
                                        ; implicit-def: $vgpr36
	s_cbranch_execz .LBB650_165
; %bb.156:
	s_nop 0
	v_mov_b32_dpp v22, v66 row_shr:1 row_mask:0xf bank_mask:0xf
	v_cndmask_b32_e64 v22, v22, 0, s[14:15]
	v_add_u32_e32 v22, v22, v66
	s_nop 1
	v_mov_b32_dpp v23, v22 row_shr:2 row_mask:0xf bank_mask:0xf
	v_cndmask_b32_e64 v23, 0, v23, s[12:13]
	v_add_u32_e32 v22, v22, v23
	;; [unrolled: 4-line block ×4, first 2 shown]
	s_nop 1
	v_mov_b32_dpp v23, v22 row_bcast:15 row_mask:0xf bank_mask:0xf
	v_cndmask_b32_e64 v23, v23, 0, s[6:7]
	v_add_u32_e32 v22, v22, v23
	s_nop 1
	v_mov_b32_dpp v23, v22 row_bcast:31 row_mask:0xf bank_mask:0xf
	v_cndmask_b32_e64 v23, 0, v23, s[2:3]
	v_add_u32_e32 v22, v22, v23
	s_and_saveexec_b64 s[0:1], s[4:5]
	s_cbranch_execz .LBB650_158
; %bb.157:
	v_lshlrev_b32_e32 v23, 2, v65
	ds_write_b32 v23, v22
.LBB650_158:
	s_or_b64 exec, exec, s[0:1]
	v_cmp_gt_u32_e32 vcc, 8, v0
	s_waitcnt lgkmcnt(0)
	s_barrier
	s_and_saveexec_b64 s[0:1], vcc
	s_cbranch_execz .LBB650_160
; %bb.159:
	v_lshlrev_b32_e32 v23, 2, v0
	ds_read_b32 v30, v23
	v_and_b32_e32 v31, 7, v64
	v_cmp_ne_u32_e32 vcc, 0, v31
	s_waitcnt lgkmcnt(0)
	v_mov_b32_dpp v32, v30 row_shr:1 row_mask:0xf bank_mask:0xf
	v_cndmask_b32_e32 v32, 0, v32, vcc
	v_add_u32_e32 v30, v32, v30
	v_cmp_lt_u32_e32 vcc, 1, v31
	s_nop 0
	v_mov_b32_dpp v32, v30 row_shr:2 row_mask:0xf bank_mask:0xf
	v_cndmask_b32_e32 v32, 0, v32, vcc
	v_add_u32_e32 v30, v30, v32
	v_cmp_lt_u32_e32 vcc, 3, v31
	s_nop 0
	v_mov_b32_dpp v32, v30 row_shr:4 row_mask:0xf bank_mask:0xf
	v_cndmask_b32_e32 v31, 0, v32, vcc
	v_add_u32_e32 v30, v30, v31
	ds_write_b32 v23, v30
.LBB650_160:
	s_or_b64 exec, exec, s[0:1]
	v_cmp_lt_u32_e32 vcc, 63, v0
	v_mov_b32_e32 v23, 0
	v_mov_b32_e32 v30, 0
	s_waitcnt lgkmcnt(0)
	s_barrier
	s_and_saveexec_b64 s[0:1], vcc
	s_cbranch_execz .LBB650_162
; %bb.161:
	v_lshl_add_u32 v30, v65, 2, -4
	ds_read_b32 v30, v30
.LBB650_162:
	s_or_b64 exec, exec, s[0:1]
	v_add_u32_e32 v31, -1, v64
	v_and_b32_e32 v32, 64, v64
	v_cmp_lt_i32_e32 vcc, v31, v32
	s_waitcnt lgkmcnt(0)
	v_add_u32_e32 v22, v30, v22
	v_cndmask_b32_e32 v31, v31, v64, vcc
	v_lshlrev_b32_e32 v31, 2, v31
	ds_bpermute_b32 v31, v31, v22
	ds_read_b32 v22, v23 offset:28
	s_and_saveexec_b64 s[0:1], s[18:19]
	s_cbranch_execz .LBB650_164
; %bb.163:
	v_mov_b32_e32 v32, 0
	v_mov_b32_e32 v23, 2
	s_waitcnt lgkmcnt(0)
	global_store_dwordx2 v32, v[22:23], s[34:35] offset:512 sc1
.LBB650_164:
	s_or_b64 exec, exec, s[0:1]
	v_cmp_eq_u32_e32 vcc, 0, v64
	s_waitcnt lgkmcnt(0)
	s_barrier
	v_cndmask_b32_e32 v23, v31, v30, vcc
	v_mov_b32_e32 v30, 0
	v_cndmask_b32_e64 v36, v23, 0, s[18:19]
.LBB650_165:
	v_add_u32_sdwa v64, v36, v28 dst_sel:DWORD dst_unused:UNUSED_PAD src0_sel:DWORD src1_sel:BYTE_0
	v_add_u32_e32 v1, v22, v1
	v_sub_u32_e32 v36, v36, v30
	v_and_b32_e32 v73, 1, v28
	v_sub_u32_e32 v72, v1, v36
	v_cmp_eq_u32_e32 vcc, 1, v73
	v_lshrrev_b32_e32 v37, 8, v28
	v_add_u32_sdwa v65, v64, v28 dst_sel:DWORD dst_unused:UNUSED_PAD src0_sel:DWORD src1_sel:BYTE_1
	v_cndmask_b32_e32 v36, v72, v36, vcc
	v_lshlrev_b32_e32 v36, 1, v36
	ds_write_b16 v36, v10
	v_sub_u32_e32 v36, v64, v30
	v_sub_u32_e32 v64, v1, v36
	v_and_b32_e32 v37, 1, v37
	v_add_u32_e32 v64, 1, v64
	v_cmp_eq_u32_e32 vcc, 1, v37
	v_mov_b32_e32 v37, 1
	v_and_b32_sdwa v28, v37, v28 dst_sel:DWORD dst_unused:UNUSED_PAD src0_sel:DWORD src1_sel:WORD_1
	v_cndmask_b32_e32 v36, v64, v36, vcc
	v_lshlrev_b32_e32 v36, 1, v36
	ds_write_b16_d16_hi v36, v10
	v_sub_u32_e32 v10, v65, v30
	v_sub_u32_e32 v36, v1, v10
	v_add_u32_e32 v36, 2, v36
	v_cmp_eq_u32_e32 vcc, 1, v28
	v_add_u32_e32 v63, v65, v63
	v_add_u32_e32 v66, v63, v45
	v_cndmask_b32_e32 v10, v36, v10, vcc
	v_lshlrev_b32_e32 v10, 1, v10
	ds_write_b16 v10, v11
	v_sub_u32_e32 v10, v63, v30
	v_sub_u32_e32 v28, v1, v10
	v_and_b32_e32 v36, 1, v45
	v_add_u32_e32 v28, 3, v28
	v_cmp_eq_u32_e32 vcc, 1, v36
	v_add_u32_e32 v60, v66, v60
	v_lshrrev_b32_e32 v35, 8, v29
	v_cndmask_b32_e32 v10, v28, v10, vcc
	v_lshlrev_b32_e32 v10, 1, v10
	ds_write_b16_d16_hi v10, v11
	v_sub_u32_e32 v10, v66, v30
	v_sub_u32_e32 v11, v1, v10
	v_and_b32_e32 v28, 1, v29
	v_add_u32_e32 v11, 4, v11
	v_cmp_eq_u32_e32 vcc, 1, v28
	v_and_b32_e32 v28, 1, v35
	v_add_u32_e32 v61, v60, v61
	v_cndmask_b32_e32 v10, v11, v10, vcc
	v_lshlrev_b32_e32 v10, 1, v10
	ds_write_b16 v10, v12
	v_sub_u32_e32 v10, v60, v30
	v_sub_u32_e32 v11, v1, v10
	v_add_u32_e32 v11, 5, v11
	v_cmp_eq_u32_e32 vcc, 1, v28
	v_add_u32_e32 v62, v61, v62
	v_add_u32_e32 v67, v62, v44
	v_cndmask_b32_e32 v10, v11, v10, vcc
	v_lshlrev_b32_e32 v10, 1, v10
	ds_write_b16_d16_hi v10, v12
	v_sub_u32_e32 v10, v61, v30
	v_sub_u32_e32 v11, v1, v10
	v_and_b32_sdwa v12, v37, v29 dst_sel:DWORD dst_unused:UNUSED_PAD src0_sel:DWORD src1_sel:WORD_1
	v_add_u32_e32 v11, 6, v11
	v_cmp_eq_u32_e32 vcc, 1, v12
	v_and_b32_e32 v12, 1, v44
	v_add_u32_e32 v57, v67, v57
	v_cndmask_b32_e32 v10, v11, v10, vcc
	v_lshlrev_b32_e32 v10, 1, v10
	ds_write_b16 v10, v13
	v_sub_u32_e32 v10, v62, v30
	v_sub_u32_e32 v11, v1, v10
	v_add_u32_e32 v11, 7, v11
	v_cmp_eq_u32_e32 vcc, 1, v12
	v_and_b32_e32 v12, 1, v26
	v_lshrrev_b32_e32 v34, 8, v26
	v_cndmask_b32_e32 v10, v11, v10, vcc
	v_lshlrev_b32_e32 v10, 1, v10
	ds_write_b16_d16_hi v10, v13
	v_sub_u32_e32 v10, v67, v30
	v_sub_u32_e32 v11, v1, v10
	v_add_u32_e32 v11, 8, v11
	v_cmp_eq_u32_e32 vcc, 1, v12
	v_and_b32_e32 v12, 1, v34
	v_add_u32_e32 v58, v57, v58
	v_cndmask_b32_e32 v10, v11, v10, vcc
	v_lshlrev_b32_e32 v10, 1, v10
	ds_write_b16 v10, v6
	v_sub_u32_e32 v10, v57, v30
	v_sub_u32_e32 v11, v1, v10
	v_add_u32_e32 v11, 9, v11
	v_cmp_eq_u32_e32 vcc, 1, v12
	v_add_u32_e32 v59, v58, v59
	v_add_u32_e32 v68, v59, v43
	v_cndmask_b32_e32 v10, v11, v10, vcc
	v_lshlrev_b32_e32 v10, 1, v10
	ds_write_b16_d16_hi v10, v6
	v_sub_u32_e32 v6, v58, v30
	v_sub_u32_e32 v10, v1, v6
	v_and_b32_sdwa v11, v37, v26 dst_sel:DWORD dst_unused:UNUSED_PAD src0_sel:DWORD src1_sel:WORD_1
	v_add_u32_e32 v10, 10, v10
	v_cmp_eq_u32_e32 vcc, 1, v11
	v_and_b32_e32 v11, 1, v43
	v_add_u32_e32 v54, v68, v54
	v_cndmask_b32_e32 v6, v10, v6, vcc
	v_lshlrev_b32_e32 v6, 1, v6
	ds_write_b16 v6, v7
	v_sub_u32_e32 v6, v59, v30
	v_sub_u32_e32 v10, v1, v6
	v_add_u32_e32 v10, 11, v10
	v_cmp_eq_u32_e32 vcc, 1, v11
	v_lshrrev_b32_e32 v33, 8, v27
	v_add_u32_e32 v55, v54, v55
	v_cndmask_b32_e32 v6, v10, v6, vcc
	v_lshlrev_b32_e32 v6, 1, v6
	ds_write_b16_d16_hi v6, v7
	v_sub_u32_e32 v6, v68, v30
	v_sub_u32_e32 v7, v1, v6
	v_and_b32_e32 v10, 1, v27
	v_add_u32_e32 v7, 12, v7
	v_cmp_eq_u32_e32 vcc, 1, v10
	v_and_b32_e32 v10, 1, v33
	v_add_u32_e32 v56, v55, v56
	v_cndmask_b32_e32 v6, v7, v6, vcc
	v_lshlrev_b32_e32 v6, 1, v6
	ds_write_b16 v6, v8
	v_sub_u32_e32 v6, v54, v30
	v_sub_u32_e32 v7, v1, v6
	v_add_u32_e32 v7, 13, v7
	v_cmp_eq_u32_e32 vcc, 1, v10
	v_add_u32_e32 v69, v56, v42
	v_add_u32_e32 v51, v69, v51
	v_cndmask_b32_e32 v6, v7, v6, vcc
	v_lshlrev_b32_e32 v6, 1, v6
	ds_write_b16_d16_hi v6, v8
	v_sub_u32_e32 v6, v55, v30
	v_sub_u32_e32 v7, v1, v6
	v_and_b32_sdwa v8, v37, v27 dst_sel:DWORD dst_unused:UNUSED_PAD src0_sel:DWORD src1_sel:WORD_1
	v_add_u32_e32 v7, 14, v7
	v_cmp_eq_u32_e32 vcc, 1, v8
	v_and_b32_e32 v8, 1, v42
	v_lshrrev_b32_e32 v32, 8, v24
	v_cndmask_b32_e32 v6, v7, v6, vcc
	v_lshlrev_b32_e32 v6, 1, v6
	ds_write_b16 v6, v9
	v_sub_u32_e32 v6, v56, v30
	v_sub_u32_e32 v7, v1, v6
	v_add_u32_e32 v7, 15, v7
	v_cmp_eq_u32_e32 vcc, 1, v8
	v_and_b32_e32 v8, 1, v24
	v_add_u32_e32 v52, v51, v52
	v_cndmask_b32_e32 v6, v7, v6, vcc
	v_lshlrev_b32_e32 v6, 1, v6
	ds_write_b16_d16_hi v6, v9
	v_sub_u32_e32 v6, v69, v30
	v_sub_u32_e32 v7, v1, v6
	v_add_u32_e32 v7, 16, v7
	v_cmp_eq_u32_e32 vcc, 1, v8
	v_and_b32_e32 v8, 1, v32
	v_add_u32_e32 v53, v52, v53
	v_cndmask_b32_e32 v6, v7, v6, vcc
	v_lshlrev_b32_e32 v6, 1, v6
	ds_write_b16 v6, v2
	v_sub_u32_e32 v6, v51, v30
	v_sub_u32_e32 v7, v1, v6
	v_add_u32_e32 v7, 17, v7
	v_cmp_eq_u32_e32 vcc, 1, v8
	v_add_u32_e32 v70, v53, v41
	v_add_u32_e32 v48, v70, v48
	v_cndmask_b32_e32 v6, v7, v6, vcc
	v_lshlrev_b32_e32 v6, 1, v6
	ds_write_b16_d16_hi v6, v2
	v_sub_u32_e32 v2, v52, v30
	v_sub_u32_e32 v6, v1, v2
	v_and_b32_sdwa v7, v37, v24 dst_sel:DWORD dst_unused:UNUSED_PAD src0_sel:DWORD src1_sel:WORD_1
	v_add_u32_e32 v6, 18, v6
	v_cmp_eq_u32_e32 vcc, 1, v7
	v_and_b32_e32 v7, 1, v41
	v_lshrrev_b32_e32 v31, 8, v25
	v_cndmask_b32_e32 v2, v6, v2, vcc
	v_lshlrev_b32_e32 v2, 1, v2
	ds_write_b16 v2, v3
	v_sub_u32_e32 v2, v53, v30
	v_sub_u32_e32 v6, v1, v2
	v_add_u32_e32 v6, 19, v6
	v_cmp_eq_u32_e32 vcc, 1, v7
	v_add_u32_e32 v49, v48, v49
	v_add_u32_e32 v50, v49, v50
	v_cndmask_b32_e32 v2, v6, v2, vcc
	v_lshlrev_b32_e32 v2, 1, v2
	ds_write_b16_d16_hi v2, v3
	v_sub_u32_e32 v2, v70, v30
	v_sub_u32_e32 v3, v1, v2
	v_and_b32_e32 v6, 1, v25
	v_add_u32_e32 v3, 20, v3
	v_cmp_eq_u32_e32 vcc, 1, v6
	v_and_b32_e32 v6, 1, v31
	v_add_u32_e32 v71, v50, v40
	v_cndmask_b32_e32 v2, v3, v2, vcc
	v_lshlrev_b32_e32 v2, 1, v2
	ds_write_b16 v2, v4
	v_sub_u32_e32 v2, v48, v30
	v_sub_u32_e32 v3, v1, v2
	v_add_u32_e32 v3, 21, v3
	v_cmp_eq_u32_e32 vcc, 1, v6
	v_add_u32_e32 v46, v71, v46
	v_lshrrev_b32_e32 v23, 8, v38
	v_cndmask_b32_e32 v2, v3, v2, vcc
	v_lshlrev_b32_e32 v2, 1, v2
	ds_write_b16_d16_hi v2, v4
	v_sub_u32_e32 v2, v49, v30
	v_sub_u32_e32 v3, v1, v2
	v_and_b32_sdwa v4, v37, v25 dst_sel:DWORD dst_unused:UNUSED_PAD src0_sel:DWORD src1_sel:WORD_1
	v_add_u32_e32 v3, 22, v3
	v_cmp_eq_u32_e32 vcc, 1, v4
	v_and_b32_e32 v4, 1, v40
	v_add_u32_e32 v47, v46, v47
	v_cndmask_b32_e32 v2, v3, v2, vcc
	v_lshlrev_b32_e32 v2, 1, v2
	ds_write_b16 v2, v5
	v_sub_u32_e32 v2, v50, v30
	v_sub_u32_e32 v3, v1, v2
	v_add_u32_e32 v3, 23, v3
	v_cmp_eq_u32_e32 vcc, 1, v4
	v_and_b32_e32 v4, 1, v38
	v_mov_b32_e32 v31, 0
	v_cndmask_b32_e32 v2, v3, v2, vcc
	v_lshlrev_b32_e32 v2, 1, v2
	ds_write_b16_d16_hi v2, v5
	v_sub_u32_e32 v2, v71, v30
	v_sub_u32_e32 v3, v1, v2
	v_add_u32_e32 v3, 24, v3
	v_cmp_eq_u32_e32 vcc, 1, v4
	v_and_b32_e32 v4, 1, v23
	s_waitcnt vmcnt(0)
	v_lshl_add_u64 v[6:7], v[16:17], 0, v[30:31]
	v_cndmask_b32_e32 v2, v3, v2, vcc
	v_lshlrev_b32_e32 v2, 1, v2
	ds_write_b16 v2, v20
	v_sub_u32_e32 v2, v46, v30
	v_sub_u32_e32 v3, v1, v2
	v_add_u32_e32 v3, 25, v3
	v_cmp_eq_u32_e32 vcc, 1, v4
	v_and_b32_sdwa v4, v37, v38 dst_sel:DWORD dst_unused:UNUSED_PAD src0_sel:DWORD src1_sel:WORD_1
	v_mov_b32_e32 v23, v31
	v_cndmask_b32_e32 v2, v3, v2, vcc
	v_lshlrev_b32_e32 v2, 1, v2
	ds_write_b16_d16_hi v2, v20
	v_sub_u32_e32 v2, v47, v30
	v_sub_u32_e32 v3, v1, v2
	v_add_u32_e32 v3, 26, v3
	v_cmp_eq_u32_e32 vcc, 1, v4
	v_mov_b32_e32 v5, s31
	v_or_b32_e32 v69, 0x200, v0
	v_cndmask_b32_e32 v2, v3, v2, vcc
	v_lshlrev_b32_e32 v2, 1, v2
	ds_write_b16 v2, v21
	v_sub_u32_e32 v2, v39, v30
	v_add_u32_e32 v2, v47, v2
	v_sub_u32_e32 v1, v1, v2
	v_and_b32_e32 v3, 1, v15
	v_add_u32_e32 v1, 27, v1
	v_cmp_eq_u32_e32 vcc, 1, v3
	v_or_b32_e32 v67, 0x400, v0
	v_or_b32_e32 v65, 0x600, v0
	v_cndmask_b32_e32 v1, v1, v2, vcc
	v_lshlrev_b32_e32 v1, 1, v1
	ds_write_b16_d16_hi v1, v21
	s_waitcnt lgkmcnt(0)
	s_barrier
	ds_read_u16 v71, v14
	ds_read_u16 v70, v14 offset:1024
	ds_read_u16 v68, v14 offset:2048
	;; [unrolled: 1-line block ×27, first 2 shown]
	v_lshl_add_u64 v[2:3], v[6:7], 0, v[22:23]
	v_sub_co_u32_e32 v4, vcc, s30, v2
	v_lshlrev_b64 v[6:7], 1, v[6:7]
	s_nop 0
	v_subb_co_u32_e32 v5, vcc, v5, v3, vcc
	v_lshlrev_b64 v[4:5], 1, v[4:5]
	v_lshl_add_u64 v[4:5], s[26:27], 0, v[4:5]
	v_or_b32_e32 v63, 0x800, v0
	v_or_b32_e32 v61, 0xa00, v0
	;; [unrolled: 1-line block ×24, first 2 shown]
	v_lshl_add_u64 v[4:5], v[4:5], 0, v[18:19]
	s_andn2_b64 vcc, exec, s[28:29]
	v_lshl_add_u64 v[6:7], s[24:25], 0, v[6:7]
	s_cbranch_vccnz .LBB650_167
; %bb.166:
	v_cmp_lt_u32_e32 vcc, v0, v22
	v_mov_b32_e32 v15, v31
	v_lshlrev_b32_e32 v30, 1, v63
	v_cndmask_b32_e32 v17, v5, v7, vcc
	v_cndmask_b32_e32 v16, v4, v6, vcc
	v_lshl_add_u64 v[16:17], v[16:17], 0, v[14:15]
	v_cmp_lt_u32_e32 vcc, v69, v22
	s_waitcnt lgkmcnt(14)
	global_store_short v[16:17], v71, off
	v_cndmask_b32_e32 v17, v5, v7, vcc
	v_cndmask_b32_e32 v16, v4, v6, vcc
	v_lshl_add_u64 v[16:17], v[16:17], 0, v[14:15]
	v_cmp_lt_u32_e32 vcc, v67, v22
	global_store_short v[16:17], v70, off offset:1024
	s_mov_b64 s[0:1], -1
	v_cndmask_b32_e32 v17, v5, v7, vcc
	v_cndmask_b32_e32 v16, v4, v6, vcc
	v_lshl_add_u64 v[16:17], v[16:17], 0, v[14:15]
	v_cmp_lt_u32_e32 vcc, v65, v22
	global_store_short v[16:17], v68, off offset:2048
	s_nop 0
	v_cndmask_b32_e32 v17, v5, v7, vcc
	v_cndmask_b32_e32 v16, v4, v6, vcc
	v_lshl_add_u64 v[16:17], v[16:17], 0, v[14:15]
	v_cmp_lt_u32_e32 vcc, v63, v22
	global_store_short v[16:17], v66, off offset:3072
	s_nop 0
	v_cndmask_b32_e32 v17, v5, v7, vcc
	v_cndmask_b32_e32 v16, v4, v6, vcc
	v_lshl_add_u64 v[16:17], v[16:17], 0, v[30:31]
	v_cmp_lt_u32_e32 vcc, v61, v22
	global_store_short v[16:17], v64, off
	v_lshlrev_b32_e32 v30, 1, v61
	v_cndmask_b32_e32 v17, v5, v7, vcc
	v_cndmask_b32_e32 v16, v4, v6, vcc
	v_lshl_add_u64 v[16:17], v[16:17], 0, v[30:31]
	v_cmp_lt_u32_e32 vcc, v59, v22
	global_store_short v[16:17], v62, off
	v_lshlrev_b32_e32 v30, 1, v59
	;; [unrolled: 6-line block ×10, first 2 shown]
	v_cndmask_b32_e32 v17, v5, v7, vcc
	v_cndmask_b32_e32 v16, v4, v6, vcc
	v_lshl_add_u64 v[16:17], v[16:17], 0, v[30:31]
	v_cmp_lt_u32_e32 vcc, v41, v22
	s_waitcnt lgkmcnt(13)
	global_store_short v[16:17], v44, off
	v_lshlrev_b32_e32 v30, 1, v41
	v_cndmask_b32_e32 v17, v5, v7, vcc
	v_cndmask_b32_e32 v16, v4, v6, vcc
	v_lshl_add_u64 v[16:17], v[16:17], 0, v[30:31]
	v_cmp_lt_u32_e32 vcc, v39, v22
	s_waitcnt lgkmcnt(12)
	global_store_short v[16:17], v42, off
	v_lshlrev_b32_e32 v30, 1, v39
	;; [unrolled: 7-line block ×12, first 2 shown]
	v_cndmask_b32_e32 v17, v5, v7, vcc
	v_cndmask_b32_e32 v16, v4, v6, vcc
	v_lshl_add_u64 v[16:17], v[16:17], 0, v[30:31]
	s_waitcnt lgkmcnt(1)
	global_store_short v[16:17], v9, off
	s_cbranch_execz .LBB650_168
	s_branch .LBB650_197
.LBB650_167:
	s_mov_b64 s[0:1], 0
.LBB650_168:
	v_cmp_gt_u32_e32 vcc, s33, v0
	s_and_saveexec_b64 s[0:1], vcc
	s_cbranch_execnz .LBB650_202
; %bb.169:
	s_or_b64 exec, exec, s[0:1]
	v_cmp_gt_u32_e32 vcc, s33, v69
	s_and_saveexec_b64 s[0:1], vcc
	s_cbranch_execnz .LBB650_203
.LBB650_170:
	s_or_b64 exec, exec, s[0:1]
	v_cmp_gt_u32_e32 vcc, s33, v67
	s_and_saveexec_b64 s[0:1], vcc
	s_cbranch_execnz .LBB650_204
.LBB650_171:
	s_or_b64 exec, exec, s[0:1]
	v_cmp_gt_u32_e32 vcc, s33, v65
	s_and_saveexec_b64 s[0:1], vcc
	s_cbranch_execnz .LBB650_205
.LBB650_172:
	s_or_b64 exec, exec, s[0:1]
	v_cmp_gt_u32_e32 vcc, s33, v63
	s_and_saveexec_b64 s[0:1], vcc
	s_cbranch_execnz .LBB650_206
.LBB650_173:
	s_or_b64 exec, exec, s[0:1]
	v_cmp_gt_u32_e32 vcc, s33, v61
	s_and_saveexec_b64 s[0:1], vcc
	s_cbranch_execnz .LBB650_207
.LBB650_174:
	s_or_b64 exec, exec, s[0:1]
	v_cmp_gt_u32_e32 vcc, s33, v59
	s_and_saveexec_b64 s[0:1], vcc
	s_cbranch_execnz .LBB650_208
.LBB650_175:
	s_or_b64 exec, exec, s[0:1]
	v_cmp_gt_u32_e32 vcc, s33, v57
	s_and_saveexec_b64 s[0:1], vcc
	s_cbranch_execnz .LBB650_209
.LBB650_176:
	s_or_b64 exec, exec, s[0:1]
	v_cmp_gt_u32_e32 vcc, s33, v55
	s_and_saveexec_b64 s[0:1], vcc
	s_cbranch_execnz .LBB650_210
.LBB650_177:
	s_or_b64 exec, exec, s[0:1]
	v_cmp_gt_u32_e32 vcc, s33, v53
	s_and_saveexec_b64 s[0:1], vcc
	s_cbranch_execnz .LBB650_211
.LBB650_178:
	s_or_b64 exec, exec, s[0:1]
	v_cmp_gt_u32_e32 vcc, s33, v51
	s_and_saveexec_b64 s[0:1], vcc
	s_cbranch_execnz .LBB650_212
.LBB650_179:
	s_or_b64 exec, exec, s[0:1]
	v_cmp_gt_u32_e32 vcc, s33, v49
	s_and_saveexec_b64 s[0:1], vcc
	s_cbranch_execnz .LBB650_213
.LBB650_180:
	s_or_b64 exec, exec, s[0:1]
	v_cmp_gt_u32_e32 vcc, s33, v47
	s_and_saveexec_b64 s[0:1], vcc
	s_cbranch_execnz .LBB650_214
.LBB650_181:
	s_or_b64 exec, exec, s[0:1]
	v_cmp_gt_u32_e32 vcc, s33, v45
	s_and_saveexec_b64 s[0:1], vcc
	s_cbranch_execnz .LBB650_215
.LBB650_182:
	s_or_b64 exec, exec, s[0:1]
	v_cmp_gt_u32_e32 vcc, s33, v43
	s_and_saveexec_b64 s[0:1], vcc
	s_cbranch_execnz .LBB650_216
.LBB650_183:
	s_or_b64 exec, exec, s[0:1]
	v_cmp_gt_u32_e32 vcc, s33, v41
	s_and_saveexec_b64 s[0:1], vcc
	s_cbranch_execnz .LBB650_217
.LBB650_184:
	s_or_b64 exec, exec, s[0:1]
	v_cmp_gt_u32_e32 vcc, s33, v39
	s_and_saveexec_b64 s[0:1], vcc
	s_cbranch_execnz .LBB650_218
.LBB650_185:
	s_or_b64 exec, exec, s[0:1]
	v_cmp_gt_u32_e32 vcc, s33, v37
	s_and_saveexec_b64 s[0:1], vcc
	s_cbranch_execnz .LBB650_219
.LBB650_186:
	s_or_b64 exec, exec, s[0:1]
	v_cmp_gt_u32_e32 vcc, s33, v35
	s_and_saveexec_b64 s[0:1], vcc
	s_cbranch_execnz .LBB650_220
.LBB650_187:
	s_or_b64 exec, exec, s[0:1]
	v_cmp_gt_u32_e32 vcc, s33, v33
	s_and_saveexec_b64 s[0:1], vcc
	s_cbranch_execnz .LBB650_221
.LBB650_188:
	s_or_b64 exec, exec, s[0:1]
	v_cmp_gt_u32_e32 vcc, s33, v29
	s_and_saveexec_b64 s[0:1], vcc
	s_cbranch_execnz .LBB650_222
.LBB650_189:
	s_or_b64 exec, exec, s[0:1]
	v_cmp_gt_u32_e32 vcc, s33, v27
	s_and_saveexec_b64 s[0:1], vcc
	s_cbranch_execnz .LBB650_223
.LBB650_190:
	s_or_b64 exec, exec, s[0:1]
	v_cmp_gt_u32_e32 vcc, s33, v25
	s_and_saveexec_b64 s[0:1], vcc
	s_cbranch_execnz .LBB650_224
.LBB650_191:
	s_or_b64 exec, exec, s[0:1]
	v_cmp_gt_u32_e32 vcc, s33, v21
	s_and_saveexec_b64 s[0:1], vcc
	s_cbranch_execnz .LBB650_225
.LBB650_192:
	s_or_b64 exec, exec, s[0:1]
	v_cmp_gt_u32_e32 vcc, s33, v13
	s_and_saveexec_b64 s[0:1], vcc
	s_cbranch_execnz .LBB650_226
.LBB650_193:
	s_or_b64 exec, exec, s[0:1]
	v_cmp_gt_u32_e32 vcc, s33, v11
	s_and_saveexec_b64 s[0:1], vcc
	s_cbranch_execnz .LBB650_227
.LBB650_194:
	s_or_b64 exec, exec, s[0:1]
	v_cmp_gt_u32_e32 vcc, s33, v10
	s_and_saveexec_b64 s[0:1], vcc
	s_cbranch_execz .LBB650_196
.LBB650_195:
	v_cmp_lt_u32_e32 vcc, v10, v22
	v_lshlrev_b32_e32 v10, 1, v10
	v_mov_b32_e32 v11, 0
	v_cndmask_b32_e32 v13, v5, v7, vcc
	s_waitcnt lgkmcnt(2)
	v_cndmask_b32_e32 v12, v4, v6, vcc
	v_lshl_add_u64 v[10:11], v[12:13], 0, v[10:11]
	s_waitcnt lgkmcnt(1)
	global_store_short v[10:11], v9, off
.LBB650_196:
	s_or_b64 exec, exec, s[0:1]
	v_cmp_gt_u32_e64 s[0:1], s33, v8
.LBB650_197:
	s_and_saveexec_b64 s[2:3], s[0:1]
	s_cbranch_execnz .LBB650_200
; %bb.198:
	s_or_b64 exec, exec, s[2:3]
	s_and_b64 s[0:1], s[18:19], s[22:23]
	s_and_saveexec_b64 s[2:3], s[0:1]
	s_cbranch_execnz .LBB650_201
.LBB650_199:
	s_endpgm
.LBB650_200:
	v_cmp_lt_u32_e32 vcc, v8, v22
	s_nop 1
	v_cndmask_b32_e32 v5, v5, v7, vcc
	v_cndmask_b32_e32 v4, v4, v6, vcc
	v_lshlrev_b32_e32 v6, 1, v8
	v_mov_b32_e32 v7, 0
	v_lshl_add_u64 v[4:5], v[4:5], 0, v[6:7]
	s_waitcnt lgkmcnt(0)
	global_store_short v[4:5], v1, off
	s_or_b64 exec, exec, s[2:3]
	s_and_b64 s[0:1], s[18:19], s[22:23]
	s_and_saveexec_b64 s[2:3], s[0:1]
	s_cbranch_execz .LBB650_199
.LBB650_201:
	v_mov_b32_e32 v0, 0
	global_store_dwordx2 v0, v[2:3], s[20:21]
	s_endpgm
.LBB650_202:
	v_cmp_lt_u32_e32 vcc, v0, v22
	v_mov_b32_e32 v15, 0
	s_nop 0
	v_cndmask_b32_e32 v17, v5, v7, vcc
	v_cndmask_b32_e32 v16, v4, v6, vcc
	v_lshl_add_u64 v[16:17], v[16:17], 0, v[14:15]
	s_waitcnt lgkmcnt(14)
	global_store_short v[16:17], v71, off
	s_or_b64 exec, exec, s[0:1]
	v_cmp_gt_u32_e32 vcc, s33, v69
	s_and_saveexec_b64 s[0:1], vcc
	s_cbranch_execz .LBB650_170
.LBB650_203:
	v_cmp_lt_u32_e32 vcc, v69, v22
	v_mov_b32_e32 v15, 0
	s_nop 0
	v_cndmask_b32_e32 v17, v5, v7, vcc
	v_cndmask_b32_e32 v16, v4, v6, vcc
	v_lshl_add_u64 v[16:17], v[16:17], 0, v[14:15]
	s_waitcnt lgkmcnt(14)
	global_store_short v[16:17], v70, off offset:1024
	s_or_b64 exec, exec, s[0:1]
	v_cmp_gt_u32_e32 vcc, s33, v67
	s_and_saveexec_b64 s[0:1], vcc
	s_cbranch_execz .LBB650_171
.LBB650_204:
	v_cmp_lt_u32_e32 vcc, v67, v22
	v_mov_b32_e32 v15, 0
	s_nop 0
	v_cndmask_b32_e32 v17, v5, v7, vcc
	v_cndmask_b32_e32 v16, v4, v6, vcc
	v_lshl_add_u64 v[16:17], v[16:17], 0, v[14:15]
	s_waitcnt lgkmcnt(14)
	global_store_short v[16:17], v68, off offset:2048
	s_or_b64 exec, exec, s[0:1]
	v_cmp_gt_u32_e32 vcc, s33, v65
	s_and_saveexec_b64 s[0:1], vcc
	s_cbranch_execz .LBB650_172
.LBB650_205:
	v_cmp_lt_u32_e32 vcc, v65, v22
	v_mov_b32_e32 v15, 0
	s_nop 0
	v_cndmask_b32_e32 v17, v5, v7, vcc
	v_cndmask_b32_e32 v16, v4, v6, vcc
	v_lshl_add_u64 v[14:15], v[16:17], 0, v[14:15]
	s_waitcnt lgkmcnt(14)
	global_store_short v[14:15], v66, off offset:3072
	s_or_b64 exec, exec, s[0:1]
	v_cmp_gt_u32_e32 vcc, s33, v63
	s_and_saveexec_b64 s[0:1], vcc
	s_cbranch_execz .LBB650_173
.LBB650_206:
	v_cmp_lt_u32_e32 vcc, v63, v22
	v_lshlrev_b32_e32 v16, 1, v63
	v_mov_b32_e32 v17, 0
	v_cndmask_b32_e32 v15, v5, v7, vcc
	v_cndmask_b32_e32 v14, v4, v6, vcc
	v_lshl_add_u64 v[14:15], v[14:15], 0, v[16:17]
	s_waitcnt lgkmcnt(14)
	global_store_short v[14:15], v64, off
	s_or_b64 exec, exec, s[0:1]
	v_cmp_gt_u32_e32 vcc, s33, v61
	s_and_saveexec_b64 s[0:1], vcc
	s_cbranch_execz .LBB650_174
.LBB650_207:
	v_cmp_lt_u32_e32 vcc, v61, v22
	v_lshlrev_b32_e32 v16, 1, v61
	v_mov_b32_e32 v17, 0
	v_cndmask_b32_e32 v15, v5, v7, vcc
	v_cndmask_b32_e32 v14, v4, v6, vcc
	v_lshl_add_u64 v[14:15], v[14:15], 0, v[16:17]
	s_waitcnt lgkmcnt(14)
	global_store_short v[14:15], v62, off
	s_or_b64 exec, exec, s[0:1]
	v_cmp_gt_u32_e32 vcc, s33, v59
	s_and_saveexec_b64 s[0:1], vcc
	s_cbranch_execz .LBB650_175
.LBB650_208:
	v_cmp_lt_u32_e32 vcc, v59, v22
	v_lshlrev_b32_e32 v16, 1, v59
	v_mov_b32_e32 v17, 0
	v_cndmask_b32_e32 v15, v5, v7, vcc
	v_cndmask_b32_e32 v14, v4, v6, vcc
	v_lshl_add_u64 v[14:15], v[14:15], 0, v[16:17]
	s_waitcnt lgkmcnt(14)
	global_store_short v[14:15], v60, off
	s_or_b64 exec, exec, s[0:1]
	v_cmp_gt_u32_e32 vcc, s33, v57
	s_and_saveexec_b64 s[0:1], vcc
	s_cbranch_execz .LBB650_176
.LBB650_209:
	v_cmp_lt_u32_e32 vcc, v57, v22
	v_lshlrev_b32_e32 v16, 1, v57
	v_mov_b32_e32 v17, 0
	v_cndmask_b32_e32 v15, v5, v7, vcc
	v_cndmask_b32_e32 v14, v4, v6, vcc
	v_lshl_add_u64 v[14:15], v[14:15], 0, v[16:17]
	s_waitcnt lgkmcnt(14)
	global_store_short v[14:15], v58, off
	s_or_b64 exec, exec, s[0:1]
	v_cmp_gt_u32_e32 vcc, s33, v55
	s_and_saveexec_b64 s[0:1], vcc
	s_cbranch_execz .LBB650_177
.LBB650_210:
	v_cmp_lt_u32_e32 vcc, v55, v22
	v_lshlrev_b32_e32 v16, 1, v55
	v_mov_b32_e32 v17, 0
	v_cndmask_b32_e32 v15, v5, v7, vcc
	v_cndmask_b32_e32 v14, v4, v6, vcc
	v_lshl_add_u64 v[14:15], v[14:15], 0, v[16:17]
	s_waitcnt lgkmcnt(14)
	global_store_short v[14:15], v56, off
	s_or_b64 exec, exec, s[0:1]
	v_cmp_gt_u32_e32 vcc, s33, v53
	s_and_saveexec_b64 s[0:1], vcc
	s_cbranch_execz .LBB650_178
.LBB650_211:
	v_cmp_lt_u32_e32 vcc, v53, v22
	v_lshlrev_b32_e32 v16, 1, v53
	v_mov_b32_e32 v17, 0
	v_cndmask_b32_e32 v15, v5, v7, vcc
	v_cndmask_b32_e32 v14, v4, v6, vcc
	v_lshl_add_u64 v[14:15], v[14:15], 0, v[16:17]
	s_waitcnt lgkmcnt(14)
	global_store_short v[14:15], v54, off
	s_or_b64 exec, exec, s[0:1]
	v_cmp_gt_u32_e32 vcc, s33, v51
	s_and_saveexec_b64 s[0:1], vcc
	s_cbranch_execz .LBB650_179
.LBB650_212:
	v_cmp_lt_u32_e32 vcc, v51, v22
	v_lshlrev_b32_e32 v16, 1, v51
	v_mov_b32_e32 v17, 0
	v_cndmask_b32_e32 v15, v5, v7, vcc
	v_cndmask_b32_e32 v14, v4, v6, vcc
	v_lshl_add_u64 v[14:15], v[14:15], 0, v[16:17]
	s_waitcnt lgkmcnt(14)
	global_store_short v[14:15], v52, off
	s_or_b64 exec, exec, s[0:1]
	v_cmp_gt_u32_e32 vcc, s33, v49
	s_and_saveexec_b64 s[0:1], vcc
	s_cbranch_execz .LBB650_180
.LBB650_213:
	v_cmp_lt_u32_e32 vcc, v49, v22
	v_lshlrev_b32_e32 v16, 1, v49
	v_mov_b32_e32 v17, 0
	v_cndmask_b32_e32 v15, v5, v7, vcc
	v_cndmask_b32_e32 v14, v4, v6, vcc
	v_lshl_add_u64 v[14:15], v[14:15], 0, v[16:17]
	s_waitcnt lgkmcnt(14)
	global_store_short v[14:15], v50, off
	s_or_b64 exec, exec, s[0:1]
	v_cmp_gt_u32_e32 vcc, s33, v47
	s_and_saveexec_b64 s[0:1], vcc
	s_cbranch_execz .LBB650_181
.LBB650_214:
	v_cmp_lt_u32_e32 vcc, v47, v22
	v_lshlrev_b32_e32 v16, 1, v47
	v_mov_b32_e32 v17, 0
	v_cndmask_b32_e32 v15, v5, v7, vcc
	v_cndmask_b32_e32 v14, v4, v6, vcc
	v_lshl_add_u64 v[14:15], v[14:15], 0, v[16:17]
	s_waitcnt lgkmcnt(14)
	global_store_short v[14:15], v48, off
	s_or_b64 exec, exec, s[0:1]
	v_cmp_gt_u32_e32 vcc, s33, v45
	s_and_saveexec_b64 s[0:1], vcc
	s_cbranch_execz .LBB650_182
.LBB650_215:
	v_cmp_lt_u32_e32 vcc, v45, v22
	v_lshlrev_b32_e32 v16, 1, v45
	v_mov_b32_e32 v17, 0
	v_cndmask_b32_e32 v15, v5, v7, vcc
	v_cndmask_b32_e32 v14, v4, v6, vcc
	v_lshl_add_u64 v[14:15], v[14:15], 0, v[16:17]
	s_waitcnt lgkmcnt(14)
	global_store_short v[14:15], v46, off
	s_or_b64 exec, exec, s[0:1]
	v_cmp_gt_u32_e32 vcc, s33, v43
	s_and_saveexec_b64 s[0:1], vcc
	s_cbranch_execz .LBB650_183
.LBB650_216:
	v_cmp_lt_u32_e32 vcc, v43, v22
	v_lshlrev_b32_e32 v16, 1, v43
	v_mov_b32_e32 v17, 0
	v_cndmask_b32_e32 v15, v5, v7, vcc
	v_cndmask_b32_e32 v14, v4, v6, vcc
	v_lshl_add_u64 v[14:15], v[14:15], 0, v[16:17]
	s_waitcnt lgkmcnt(13)
	global_store_short v[14:15], v44, off
	s_or_b64 exec, exec, s[0:1]
	v_cmp_gt_u32_e32 vcc, s33, v41
	s_and_saveexec_b64 s[0:1], vcc
	s_cbranch_execz .LBB650_184
.LBB650_217:
	v_cmp_lt_u32_e32 vcc, v41, v22
	v_lshlrev_b32_e32 v16, 1, v41
	v_mov_b32_e32 v17, 0
	v_cndmask_b32_e32 v15, v5, v7, vcc
	v_cndmask_b32_e32 v14, v4, v6, vcc
	v_lshl_add_u64 v[14:15], v[14:15], 0, v[16:17]
	s_waitcnt lgkmcnt(12)
	global_store_short v[14:15], v42, off
	s_or_b64 exec, exec, s[0:1]
	v_cmp_gt_u32_e32 vcc, s33, v39
	s_and_saveexec_b64 s[0:1], vcc
	s_cbranch_execz .LBB650_185
.LBB650_218:
	v_cmp_lt_u32_e32 vcc, v39, v22
	v_lshlrev_b32_e32 v16, 1, v39
	v_mov_b32_e32 v17, 0
	v_cndmask_b32_e32 v15, v5, v7, vcc
	v_cndmask_b32_e32 v14, v4, v6, vcc
	v_lshl_add_u64 v[14:15], v[14:15], 0, v[16:17]
	s_waitcnt lgkmcnt(11)
	global_store_short v[14:15], v40, off
	s_or_b64 exec, exec, s[0:1]
	v_cmp_gt_u32_e32 vcc, s33, v37
	s_and_saveexec_b64 s[0:1], vcc
	s_cbranch_execz .LBB650_186
.LBB650_219:
	v_cmp_lt_u32_e32 vcc, v37, v22
	v_lshlrev_b32_e32 v16, 1, v37
	v_mov_b32_e32 v17, 0
	v_cndmask_b32_e32 v15, v5, v7, vcc
	v_cndmask_b32_e32 v14, v4, v6, vcc
	v_lshl_add_u64 v[14:15], v[14:15], 0, v[16:17]
	s_waitcnt lgkmcnt(10)
	global_store_short v[14:15], v38, off
	s_or_b64 exec, exec, s[0:1]
	v_cmp_gt_u32_e32 vcc, s33, v35
	s_and_saveexec_b64 s[0:1], vcc
	s_cbranch_execz .LBB650_187
.LBB650_220:
	v_cmp_lt_u32_e32 vcc, v35, v22
	v_lshlrev_b32_e32 v16, 1, v35
	v_mov_b32_e32 v17, 0
	v_cndmask_b32_e32 v15, v5, v7, vcc
	v_cndmask_b32_e32 v14, v4, v6, vcc
	v_lshl_add_u64 v[14:15], v[14:15], 0, v[16:17]
	s_waitcnt lgkmcnt(9)
	global_store_short v[14:15], v36, off
	s_or_b64 exec, exec, s[0:1]
	v_cmp_gt_u32_e32 vcc, s33, v33
	s_and_saveexec_b64 s[0:1], vcc
	s_cbranch_execz .LBB650_188
.LBB650_221:
	v_cmp_lt_u32_e32 vcc, v33, v22
	v_lshlrev_b32_e32 v16, 1, v33
	v_mov_b32_e32 v17, 0
	v_cndmask_b32_e32 v15, v5, v7, vcc
	v_cndmask_b32_e32 v14, v4, v6, vcc
	v_lshl_add_u64 v[14:15], v[14:15], 0, v[16:17]
	s_waitcnt lgkmcnt(8)
	global_store_short v[14:15], v34, off
	s_or_b64 exec, exec, s[0:1]
	v_cmp_gt_u32_e32 vcc, s33, v29
	s_and_saveexec_b64 s[0:1], vcc
	s_cbranch_execz .LBB650_189
.LBB650_222:
	v_cmp_lt_u32_e32 vcc, v29, v22
	v_lshlrev_b32_e32 v16, 1, v29
	v_mov_b32_e32 v17, 0
	v_cndmask_b32_e32 v15, v5, v7, vcc
	v_cndmask_b32_e32 v14, v4, v6, vcc
	v_lshl_add_u64 v[14:15], v[14:15], 0, v[16:17]
	s_waitcnt lgkmcnt(7)
	global_store_short v[14:15], v32, off
	s_or_b64 exec, exec, s[0:1]
	v_cmp_gt_u32_e32 vcc, s33, v27
	s_and_saveexec_b64 s[0:1], vcc
	s_cbranch_execz .LBB650_190
.LBB650_223:
	v_cmp_lt_u32_e32 vcc, v27, v22
	v_lshlrev_b32_e32 v16, 1, v27
	v_mov_b32_e32 v17, 0
	v_cndmask_b32_e32 v15, v5, v7, vcc
	v_cndmask_b32_e32 v14, v4, v6, vcc
	v_lshl_add_u64 v[14:15], v[14:15], 0, v[16:17]
	s_waitcnt lgkmcnt(6)
	global_store_short v[14:15], v28, off
	s_or_b64 exec, exec, s[0:1]
	v_cmp_gt_u32_e32 vcc, s33, v25
	s_and_saveexec_b64 s[0:1], vcc
	s_cbranch_execz .LBB650_191
.LBB650_224:
	v_cmp_lt_u32_e32 vcc, v25, v22
	v_lshlrev_b32_e32 v16, 1, v25
	v_mov_b32_e32 v17, 0
	v_cndmask_b32_e32 v15, v5, v7, vcc
	v_cndmask_b32_e32 v14, v4, v6, vcc
	v_lshl_add_u64 v[14:15], v[14:15], 0, v[16:17]
	s_waitcnt lgkmcnt(5)
	global_store_short v[14:15], v26, off
	s_or_b64 exec, exec, s[0:1]
	v_cmp_gt_u32_e32 vcc, s33, v21
	s_and_saveexec_b64 s[0:1], vcc
	s_cbranch_execz .LBB650_192
.LBB650_225:
	v_cmp_lt_u32_e32 vcc, v21, v22
	v_lshlrev_b32_e32 v16, 1, v21
	v_mov_b32_e32 v17, 0
	v_cndmask_b32_e32 v15, v5, v7, vcc
	v_cndmask_b32_e32 v14, v4, v6, vcc
	v_lshl_add_u64 v[14:15], v[14:15], 0, v[16:17]
	s_waitcnt lgkmcnt(4)
	global_store_short v[14:15], v24, off
	s_or_b64 exec, exec, s[0:1]
	v_cmp_gt_u32_e32 vcc, s33, v13
	s_and_saveexec_b64 s[0:1], vcc
	s_cbranch_execz .LBB650_193
.LBB650_226:
	v_cmp_lt_u32_e32 vcc, v13, v22
	v_lshlrev_b32_e32 v16, 1, v13
	v_mov_b32_e32 v17, 0
	v_cndmask_b32_e32 v15, v5, v7, vcc
	v_cndmask_b32_e32 v14, v4, v6, vcc
	v_lshl_add_u64 v[14:15], v[14:15], 0, v[16:17]
	s_waitcnt lgkmcnt(3)
	global_store_short v[14:15], v20, off
	s_or_b64 exec, exec, s[0:1]
	v_cmp_gt_u32_e32 vcc, s33, v11
	s_and_saveexec_b64 s[0:1], vcc
	s_cbranch_execz .LBB650_194
.LBB650_227:
	v_cmp_lt_u32_e32 vcc, v11, v22
	v_lshlrev_b32_e32 v16, 1, v11
	v_mov_b32_e32 v17, 0
	v_cndmask_b32_e32 v15, v5, v7, vcc
	v_cndmask_b32_e32 v14, v4, v6, vcc
	v_lshl_add_u64 v[14:15], v[14:15], 0, v[16:17]
	s_waitcnt lgkmcnt(2)
	global_store_short v[14:15], v12, off
	s_or_b64 exec, exec, s[0:1]
	v_cmp_gt_u32_e32 vcc, s33, v10
	s_and_saveexec_b64 s[0:1], vcc
	s_cbranch_execnz .LBB650_195
	s_branch .LBB650_196
	.section	.rodata,"a",@progbits
	.p2align	6, 0x0
	.amdhsa_kernel _ZN7rocprim17ROCPRIM_400000_NS6detail17trampoline_kernelINS0_14default_configENS1_25partition_config_selectorILNS1_17partition_subalgoE1EsNS0_10empty_typeEbEEZZNS1_14partition_implILS5_1ELb0ES3_jN6thrust23THRUST_200600_302600_NS6detail15normal_iteratorINSA_10device_ptrIsEEEEPS6_NSA_18transform_iteratorINSA_8identityIsEESF_NSA_11use_defaultESK_EENS0_5tupleIJSF_SF_EEENSM_IJSG_SG_EEES6_PlJS6_EEE10hipError_tPvRmT3_T4_T5_T6_T7_T9_mT8_P12ihipStream_tbDpT10_ENKUlT_T0_E_clISt17integral_constantIbLb1EES19_EEDaS14_S15_EUlS14_E_NS1_11comp_targetILNS1_3genE5ELNS1_11target_archE942ELNS1_3gpuE9ELNS1_3repE0EEENS1_30default_config_static_selectorELNS0_4arch9wavefront6targetE1EEEvT1_
		.amdhsa_group_segment_fixed_size 28680
		.amdhsa_private_segment_fixed_size 0
		.amdhsa_kernarg_size 144
		.amdhsa_user_sgpr_count 2
		.amdhsa_user_sgpr_dispatch_ptr 0
		.amdhsa_user_sgpr_queue_ptr 0
		.amdhsa_user_sgpr_kernarg_segment_ptr 1
		.amdhsa_user_sgpr_dispatch_id 0
		.amdhsa_user_sgpr_kernarg_preload_length 0
		.amdhsa_user_sgpr_kernarg_preload_offset 0
		.amdhsa_user_sgpr_private_segment_size 0
		.amdhsa_uses_dynamic_stack 0
		.amdhsa_enable_private_segment 0
		.amdhsa_system_sgpr_workgroup_id_x 1
		.amdhsa_system_sgpr_workgroup_id_y 0
		.amdhsa_system_sgpr_workgroup_id_z 0
		.amdhsa_system_sgpr_workgroup_info 0
		.amdhsa_system_vgpr_workitem_id 0
		.amdhsa_next_free_vgpr 83
		.amdhsa_next_free_sgpr 44
		.amdhsa_accum_offset 84
		.amdhsa_reserve_vcc 1
		.amdhsa_float_round_mode_32 0
		.amdhsa_float_round_mode_16_64 0
		.amdhsa_float_denorm_mode_32 3
		.amdhsa_float_denorm_mode_16_64 3
		.amdhsa_dx10_clamp 1
		.amdhsa_ieee_mode 1
		.amdhsa_fp16_overflow 0
		.amdhsa_tg_split 0
		.amdhsa_exception_fp_ieee_invalid_op 0
		.amdhsa_exception_fp_denorm_src 0
		.amdhsa_exception_fp_ieee_div_zero 0
		.amdhsa_exception_fp_ieee_overflow 0
		.amdhsa_exception_fp_ieee_underflow 0
		.amdhsa_exception_fp_ieee_inexact 0
		.amdhsa_exception_int_div_zero 0
	.end_amdhsa_kernel
	.section	.text._ZN7rocprim17ROCPRIM_400000_NS6detail17trampoline_kernelINS0_14default_configENS1_25partition_config_selectorILNS1_17partition_subalgoE1EsNS0_10empty_typeEbEEZZNS1_14partition_implILS5_1ELb0ES3_jN6thrust23THRUST_200600_302600_NS6detail15normal_iteratorINSA_10device_ptrIsEEEEPS6_NSA_18transform_iteratorINSA_8identityIsEESF_NSA_11use_defaultESK_EENS0_5tupleIJSF_SF_EEENSM_IJSG_SG_EEES6_PlJS6_EEE10hipError_tPvRmT3_T4_T5_T6_T7_T9_mT8_P12ihipStream_tbDpT10_ENKUlT_T0_E_clISt17integral_constantIbLb1EES19_EEDaS14_S15_EUlS14_E_NS1_11comp_targetILNS1_3genE5ELNS1_11target_archE942ELNS1_3gpuE9ELNS1_3repE0EEENS1_30default_config_static_selectorELNS0_4arch9wavefront6targetE1EEEvT1_,"axG",@progbits,_ZN7rocprim17ROCPRIM_400000_NS6detail17trampoline_kernelINS0_14default_configENS1_25partition_config_selectorILNS1_17partition_subalgoE1EsNS0_10empty_typeEbEEZZNS1_14partition_implILS5_1ELb0ES3_jN6thrust23THRUST_200600_302600_NS6detail15normal_iteratorINSA_10device_ptrIsEEEEPS6_NSA_18transform_iteratorINSA_8identityIsEESF_NSA_11use_defaultESK_EENS0_5tupleIJSF_SF_EEENSM_IJSG_SG_EEES6_PlJS6_EEE10hipError_tPvRmT3_T4_T5_T6_T7_T9_mT8_P12ihipStream_tbDpT10_ENKUlT_T0_E_clISt17integral_constantIbLb1EES19_EEDaS14_S15_EUlS14_E_NS1_11comp_targetILNS1_3genE5ELNS1_11target_archE942ELNS1_3gpuE9ELNS1_3repE0EEENS1_30default_config_static_selectorELNS0_4arch9wavefront6targetE1EEEvT1_,comdat
.Lfunc_end650:
	.size	_ZN7rocprim17ROCPRIM_400000_NS6detail17trampoline_kernelINS0_14default_configENS1_25partition_config_selectorILNS1_17partition_subalgoE1EsNS0_10empty_typeEbEEZZNS1_14partition_implILS5_1ELb0ES3_jN6thrust23THRUST_200600_302600_NS6detail15normal_iteratorINSA_10device_ptrIsEEEEPS6_NSA_18transform_iteratorINSA_8identityIsEESF_NSA_11use_defaultESK_EENS0_5tupleIJSF_SF_EEENSM_IJSG_SG_EEES6_PlJS6_EEE10hipError_tPvRmT3_T4_T5_T6_T7_T9_mT8_P12ihipStream_tbDpT10_ENKUlT_T0_E_clISt17integral_constantIbLb1EES19_EEDaS14_S15_EUlS14_E_NS1_11comp_targetILNS1_3genE5ELNS1_11target_archE942ELNS1_3gpuE9ELNS1_3repE0EEENS1_30default_config_static_selectorELNS0_4arch9wavefront6targetE1EEEvT1_, .Lfunc_end650-_ZN7rocprim17ROCPRIM_400000_NS6detail17trampoline_kernelINS0_14default_configENS1_25partition_config_selectorILNS1_17partition_subalgoE1EsNS0_10empty_typeEbEEZZNS1_14partition_implILS5_1ELb0ES3_jN6thrust23THRUST_200600_302600_NS6detail15normal_iteratorINSA_10device_ptrIsEEEEPS6_NSA_18transform_iteratorINSA_8identityIsEESF_NSA_11use_defaultESK_EENS0_5tupleIJSF_SF_EEENSM_IJSG_SG_EEES6_PlJS6_EEE10hipError_tPvRmT3_T4_T5_T6_T7_T9_mT8_P12ihipStream_tbDpT10_ENKUlT_T0_E_clISt17integral_constantIbLb1EES19_EEDaS14_S15_EUlS14_E_NS1_11comp_targetILNS1_3genE5ELNS1_11target_archE942ELNS1_3gpuE9ELNS1_3repE0EEENS1_30default_config_static_selectorELNS0_4arch9wavefront6targetE1EEEvT1_
                                        ; -- End function
	.section	.AMDGPU.csdata,"",@progbits
; Kernel info:
; codeLenInByte = 13008
; NumSgprs: 50
; NumVgprs: 83
; NumAgprs: 0
; TotalNumVgprs: 83
; ScratchSize: 0
; MemoryBound: 0
; FloatMode: 240
; IeeeMode: 1
; LDSByteSize: 28680 bytes/workgroup (compile time only)
; SGPRBlocks: 6
; VGPRBlocks: 10
; NumSGPRsForWavesPerEU: 50
; NumVGPRsForWavesPerEU: 83
; AccumOffset: 84
; Occupancy: 4
; WaveLimiterHint : 1
; COMPUTE_PGM_RSRC2:SCRATCH_EN: 0
; COMPUTE_PGM_RSRC2:USER_SGPR: 2
; COMPUTE_PGM_RSRC2:TRAP_HANDLER: 0
; COMPUTE_PGM_RSRC2:TGID_X_EN: 1
; COMPUTE_PGM_RSRC2:TGID_Y_EN: 0
; COMPUTE_PGM_RSRC2:TGID_Z_EN: 0
; COMPUTE_PGM_RSRC2:TIDIG_COMP_CNT: 0
; COMPUTE_PGM_RSRC3_GFX90A:ACCUM_OFFSET: 20
; COMPUTE_PGM_RSRC3_GFX90A:TG_SPLIT: 0
	.section	.text._ZN7rocprim17ROCPRIM_400000_NS6detail17trampoline_kernelINS0_14default_configENS1_25partition_config_selectorILNS1_17partition_subalgoE1EsNS0_10empty_typeEbEEZZNS1_14partition_implILS5_1ELb0ES3_jN6thrust23THRUST_200600_302600_NS6detail15normal_iteratorINSA_10device_ptrIsEEEEPS6_NSA_18transform_iteratorINSA_8identityIsEESF_NSA_11use_defaultESK_EENS0_5tupleIJSF_SF_EEENSM_IJSG_SG_EEES6_PlJS6_EEE10hipError_tPvRmT3_T4_T5_T6_T7_T9_mT8_P12ihipStream_tbDpT10_ENKUlT_T0_E_clISt17integral_constantIbLb1EES19_EEDaS14_S15_EUlS14_E_NS1_11comp_targetILNS1_3genE4ELNS1_11target_archE910ELNS1_3gpuE8ELNS1_3repE0EEENS1_30default_config_static_selectorELNS0_4arch9wavefront6targetE1EEEvT1_,"axG",@progbits,_ZN7rocprim17ROCPRIM_400000_NS6detail17trampoline_kernelINS0_14default_configENS1_25partition_config_selectorILNS1_17partition_subalgoE1EsNS0_10empty_typeEbEEZZNS1_14partition_implILS5_1ELb0ES3_jN6thrust23THRUST_200600_302600_NS6detail15normal_iteratorINSA_10device_ptrIsEEEEPS6_NSA_18transform_iteratorINSA_8identityIsEESF_NSA_11use_defaultESK_EENS0_5tupleIJSF_SF_EEENSM_IJSG_SG_EEES6_PlJS6_EEE10hipError_tPvRmT3_T4_T5_T6_T7_T9_mT8_P12ihipStream_tbDpT10_ENKUlT_T0_E_clISt17integral_constantIbLb1EES19_EEDaS14_S15_EUlS14_E_NS1_11comp_targetILNS1_3genE4ELNS1_11target_archE910ELNS1_3gpuE8ELNS1_3repE0EEENS1_30default_config_static_selectorELNS0_4arch9wavefront6targetE1EEEvT1_,comdat
	.protected	_ZN7rocprim17ROCPRIM_400000_NS6detail17trampoline_kernelINS0_14default_configENS1_25partition_config_selectorILNS1_17partition_subalgoE1EsNS0_10empty_typeEbEEZZNS1_14partition_implILS5_1ELb0ES3_jN6thrust23THRUST_200600_302600_NS6detail15normal_iteratorINSA_10device_ptrIsEEEEPS6_NSA_18transform_iteratorINSA_8identityIsEESF_NSA_11use_defaultESK_EENS0_5tupleIJSF_SF_EEENSM_IJSG_SG_EEES6_PlJS6_EEE10hipError_tPvRmT3_T4_T5_T6_T7_T9_mT8_P12ihipStream_tbDpT10_ENKUlT_T0_E_clISt17integral_constantIbLb1EES19_EEDaS14_S15_EUlS14_E_NS1_11comp_targetILNS1_3genE4ELNS1_11target_archE910ELNS1_3gpuE8ELNS1_3repE0EEENS1_30default_config_static_selectorELNS0_4arch9wavefront6targetE1EEEvT1_ ; -- Begin function _ZN7rocprim17ROCPRIM_400000_NS6detail17trampoline_kernelINS0_14default_configENS1_25partition_config_selectorILNS1_17partition_subalgoE1EsNS0_10empty_typeEbEEZZNS1_14partition_implILS5_1ELb0ES3_jN6thrust23THRUST_200600_302600_NS6detail15normal_iteratorINSA_10device_ptrIsEEEEPS6_NSA_18transform_iteratorINSA_8identityIsEESF_NSA_11use_defaultESK_EENS0_5tupleIJSF_SF_EEENSM_IJSG_SG_EEES6_PlJS6_EEE10hipError_tPvRmT3_T4_T5_T6_T7_T9_mT8_P12ihipStream_tbDpT10_ENKUlT_T0_E_clISt17integral_constantIbLb1EES19_EEDaS14_S15_EUlS14_E_NS1_11comp_targetILNS1_3genE4ELNS1_11target_archE910ELNS1_3gpuE8ELNS1_3repE0EEENS1_30default_config_static_selectorELNS0_4arch9wavefront6targetE1EEEvT1_
	.globl	_ZN7rocprim17ROCPRIM_400000_NS6detail17trampoline_kernelINS0_14default_configENS1_25partition_config_selectorILNS1_17partition_subalgoE1EsNS0_10empty_typeEbEEZZNS1_14partition_implILS5_1ELb0ES3_jN6thrust23THRUST_200600_302600_NS6detail15normal_iteratorINSA_10device_ptrIsEEEEPS6_NSA_18transform_iteratorINSA_8identityIsEESF_NSA_11use_defaultESK_EENS0_5tupleIJSF_SF_EEENSM_IJSG_SG_EEES6_PlJS6_EEE10hipError_tPvRmT3_T4_T5_T6_T7_T9_mT8_P12ihipStream_tbDpT10_ENKUlT_T0_E_clISt17integral_constantIbLb1EES19_EEDaS14_S15_EUlS14_E_NS1_11comp_targetILNS1_3genE4ELNS1_11target_archE910ELNS1_3gpuE8ELNS1_3repE0EEENS1_30default_config_static_selectorELNS0_4arch9wavefront6targetE1EEEvT1_
	.p2align	8
	.type	_ZN7rocprim17ROCPRIM_400000_NS6detail17trampoline_kernelINS0_14default_configENS1_25partition_config_selectorILNS1_17partition_subalgoE1EsNS0_10empty_typeEbEEZZNS1_14partition_implILS5_1ELb0ES3_jN6thrust23THRUST_200600_302600_NS6detail15normal_iteratorINSA_10device_ptrIsEEEEPS6_NSA_18transform_iteratorINSA_8identityIsEESF_NSA_11use_defaultESK_EENS0_5tupleIJSF_SF_EEENSM_IJSG_SG_EEES6_PlJS6_EEE10hipError_tPvRmT3_T4_T5_T6_T7_T9_mT8_P12ihipStream_tbDpT10_ENKUlT_T0_E_clISt17integral_constantIbLb1EES19_EEDaS14_S15_EUlS14_E_NS1_11comp_targetILNS1_3genE4ELNS1_11target_archE910ELNS1_3gpuE8ELNS1_3repE0EEENS1_30default_config_static_selectorELNS0_4arch9wavefront6targetE1EEEvT1_,@function
_ZN7rocprim17ROCPRIM_400000_NS6detail17trampoline_kernelINS0_14default_configENS1_25partition_config_selectorILNS1_17partition_subalgoE1EsNS0_10empty_typeEbEEZZNS1_14partition_implILS5_1ELb0ES3_jN6thrust23THRUST_200600_302600_NS6detail15normal_iteratorINSA_10device_ptrIsEEEEPS6_NSA_18transform_iteratorINSA_8identityIsEESF_NSA_11use_defaultESK_EENS0_5tupleIJSF_SF_EEENSM_IJSG_SG_EEES6_PlJS6_EEE10hipError_tPvRmT3_T4_T5_T6_T7_T9_mT8_P12ihipStream_tbDpT10_ENKUlT_T0_E_clISt17integral_constantIbLb1EES19_EEDaS14_S15_EUlS14_E_NS1_11comp_targetILNS1_3genE4ELNS1_11target_archE910ELNS1_3gpuE8ELNS1_3repE0EEENS1_30default_config_static_selectorELNS0_4arch9wavefront6targetE1EEEvT1_: ; @_ZN7rocprim17ROCPRIM_400000_NS6detail17trampoline_kernelINS0_14default_configENS1_25partition_config_selectorILNS1_17partition_subalgoE1EsNS0_10empty_typeEbEEZZNS1_14partition_implILS5_1ELb0ES3_jN6thrust23THRUST_200600_302600_NS6detail15normal_iteratorINSA_10device_ptrIsEEEEPS6_NSA_18transform_iteratorINSA_8identityIsEESF_NSA_11use_defaultESK_EENS0_5tupleIJSF_SF_EEENSM_IJSG_SG_EEES6_PlJS6_EEE10hipError_tPvRmT3_T4_T5_T6_T7_T9_mT8_P12ihipStream_tbDpT10_ENKUlT_T0_E_clISt17integral_constantIbLb1EES19_EEDaS14_S15_EUlS14_E_NS1_11comp_targetILNS1_3genE4ELNS1_11target_archE910ELNS1_3gpuE8ELNS1_3repE0EEENS1_30default_config_static_selectorELNS0_4arch9wavefront6targetE1EEEvT1_
; %bb.0:
	.section	.rodata,"a",@progbits
	.p2align	6, 0x0
	.amdhsa_kernel _ZN7rocprim17ROCPRIM_400000_NS6detail17trampoline_kernelINS0_14default_configENS1_25partition_config_selectorILNS1_17partition_subalgoE1EsNS0_10empty_typeEbEEZZNS1_14partition_implILS5_1ELb0ES3_jN6thrust23THRUST_200600_302600_NS6detail15normal_iteratorINSA_10device_ptrIsEEEEPS6_NSA_18transform_iteratorINSA_8identityIsEESF_NSA_11use_defaultESK_EENS0_5tupleIJSF_SF_EEENSM_IJSG_SG_EEES6_PlJS6_EEE10hipError_tPvRmT3_T4_T5_T6_T7_T9_mT8_P12ihipStream_tbDpT10_ENKUlT_T0_E_clISt17integral_constantIbLb1EES19_EEDaS14_S15_EUlS14_E_NS1_11comp_targetILNS1_3genE4ELNS1_11target_archE910ELNS1_3gpuE8ELNS1_3repE0EEENS1_30default_config_static_selectorELNS0_4arch9wavefront6targetE1EEEvT1_
		.amdhsa_group_segment_fixed_size 0
		.amdhsa_private_segment_fixed_size 0
		.amdhsa_kernarg_size 144
		.amdhsa_user_sgpr_count 2
		.amdhsa_user_sgpr_dispatch_ptr 0
		.amdhsa_user_sgpr_queue_ptr 0
		.amdhsa_user_sgpr_kernarg_segment_ptr 1
		.amdhsa_user_sgpr_dispatch_id 0
		.amdhsa_user_sgpr_kernarg_preload_length 0
		.amdhsa_user_sgpr_kernarg_preload_offset 0
		.amdhsa_user_sgpr_private_segment_size 0
		.amdhsa_uses_dynamic_stack 0
		.amdhsa_enable_private_segment 0
		.amdhsa_system_sgpr_workgroup_id_x 1
		.amdhsa_system_sgpr_workgroup_id_y 0
		.amdhsa_system_sgpr_workgroup_id_z 0
		.amdhsa_system_sgpr_workgroup_info 0
		.amdhsa_system_vgpr_workitem_id 0
		.amdhsa_next_free_vgpr 1
		.amdhsa_next_free_sgpr 0
		.amdhsa_accum_offset 4
		.amdhsa_reserve_vcc 0
		.amdhsa_float_round_mode_32 0
		.amdhsa_float_round_mode_16_64 0
		.amdhsa_float_denorm_mode_32 3
		.amdhsa_float_denorm_mode_16_64 3
		.amdhsa_dx10_clamp 1
		.amdhsa_ieee_mode 1
		.amdhsa_fp16_overflow 0
		.amdhsa_tg_split 0
		.amdhsa_exception_fp_ieee_invalid_op 0
		.amdhsa_exception_fp_denorm_src 0
		.amdhsa_exception_fp_ieee_div_zero 0
		.amdhsa_exception_fp_ieee_overflow 0
		.amdhsa_exception_fp_ieee_underflow 0
		.amdhsa_exception_fp_ieee_inexact 0
		.amdhsa_exception_int_div_zero 0
	.end_amdhsa_kernel
	.section	.text._ZN7rocprim17ROCPRIM_400000_NS6detail17trampoline_kernelINS0_14default_configENS1_25partition_config_selectorILNS1_17partition_subalgoE1EsNS0_10empty_typeEbEEZZNS1_14partition_implILS5_1ELb0ES3_jN6thrust23THRUST_200600_302600_NS6detail15normal_iteratorINSA_10device_ptrIsEEEEPS6_NSA_18transform_iteratorINSA_8identityIsEESF_NSA_11use_defaultESK_EENS0_5tupleIJSF_SF_EEENSM_IJSG_SG_EEES6_PlJS6_EEE10hipError_tPvRmT3_T4_T5_T6_T7_T9_mT8_P12ihipStream_tbDpT10_ENKUlT_T0_E_clISt17integral_constantIbLb1EES19_EEDaS14_S15_EUlS14_E_NS1_11comp_targetILNS1_3genE4ELNS1_11target_archE910ELNS1_3gpuE8ELNS1_3repE0EEENS1_30default_config_static_selectorELNS0_4arch9wavefront6targetE1EEEvT1_,"axG",@progbits,_ZN7rocprim17ROCPRIM_400000_NS6detail17trampoline_kernelINS0_14default_configENS1_25partition_config_selectorILNS1_17partition_subalgoE1EsNS0_10empty_typeEbEEZZNS1_14partition_implILS5_1ELb0ES3_jN6thrust23THRUST_200600_302600_NS6detail15normal_iteratorINSA_10device_ptrIsEEEEPS6_NSA_18transform_iteratorINSA_8identityIsEESF_NSA_11use_defaultESK_EENS0_5tupleIJSF_SF_EEENSM_IJSG_SG_EEES6_PlJS6_EEE10hipError_tPvRmT3_T4_T5_T6_T7_T9_mT8_P12ihipStream_tbDpT10_ENKUlT_T0_E_clISt17integral_constantIbLb1EES19_EEDaS14_S15_EUlS14_E_NS1_11comp_targetILNS1_3genE4ELNS1_11target_archE910ELNS1_3gpuE8ELNS1_3repE0EEENS1_30default_config_static_selectorELNS0_4arch9wavefront6targetE1EEEvT1_,comdat
.Lfunc_end651:
	.size	_ZN7rocprim17ROCPRIM_400000_NS6detail17trampoline_kernelINS0_14default_configENS1_25partition_config_selectorILNS1_17partition_subalgoE1EsNS0_10empty_typeEbEEZZNS1_14partition_implILS5_1ELb0ES3_jN6thrust23THRUST_200600_302600_NS6detail15normal_iteratorINSA_10device_ptrIsEEEEPS6_NSA_18transform_iteratorINSA_8identityIsEESF_NSA_11use_defaultESK_EENS0_5tupleIJSF_SF_EEENSM_IJSG_SG_EEES6_PlJS6_EEE10hipError_tPvRmT3_T4_T5_T6_T7_T9_mT8_P12ihipStream_tbDpT10_ENKUlT_T0_E_clISt17integral_constantIbLb1EES19_EEDaS14_S15_EUlS14_E_NS1_11comp_targetILNS1_3genE4ELNS1_11target_archE910ELNS1_3gpuE8ELNS1_3repE0EEENS1_30default_config_static_selectorELNS0_4arch9wavefront6targetE1EEEvT1_, .Lfunc_end651-_ZN7rocprim17ROCPRIM_400000_NS6detail17trampoline_kernelINS0_14default_configENS1_25partition_config_selectorILNS1_17partition_subalgoE1EsNS0_10empty_typeEbEEZZNS1_14partition_implILS5_1ELb0ES3_jN6thrust23THRUST_200600_302600_NS6detail15normal_iteratorINSA_10device_ptrIsEEEEPS6_NSA_18transform_iteratorINSA_8identityIsEESF_NSA_11use_defaultESK_EENS0_5tupleIJSF_SF_EEENSM_IJSG_SG_EEES6_PlJS6_EEE10hipError_tPvRmT3_T4_T5_T6_T7_T9_mT8_P12ihipStream_tbDpT10_ENKUlT_T0_E_clISt17integral_constantIbLb1EES19_EEDaS14_S15_EUlS14_E_NS1_11comp_targetILNS1_3genE4ELNS1_11target_archE910ELNS1_3gpuE8ELNS1_3repE0EEENS1_30default_config_static_selectorELNS0_4arch9wavefront6targetE1EEEvT1_
                                        ; -- End function
	.section	.AMDGPU.csdata,"",@progbits
; Kernel info:
; codeLenInByte = 0
; NumSgprs: 6
; NumVgprs: 0
; NumAgprs: 0
; TotalNumVgprs: 0
; ScratchSize: 0
; MemoryBound: 0
; FloatMode: 240
; IeeeMode: 1
; LDSByteSize: 0 bytes/workgroup (compile time only)
; SGPRBlocks: 0
; VGPRBlocks: 0
; NumSGPRsForWavesPerEU: 6
; NumVGPRsForWavesPerEU: 1
; AccumOffset: 4
; Occupancy: 8
; WaveLimiterHint : 0
; COMPUTE_PGM_RSRC2:SCRATCH_EN: 0
; COMPUTE_PGM_RSRC2:USER_SGPR: 2
; COMPUTE_PGM_RSRC2:TRAP_HANDLER: 0
; COMPUTE_PGM_RSRC2:TGID_X_EN: 1
; COMPUTE_PGM_RSRC2:TGID_Y_EN: 0
; COMPUTE_PGM_RSRC2:TGID_Z_EN: 0
; COMPUTE_PGM_RSRC2:TIDIG_COMP_CNT: 0
; COMPUTE_PGM_RSRC3_GFX90A:ACCUM_OFFSET: 0
; COMPUTE_PGM_RSRC3_GFX90A:TG_SPLIT: 0
	.section	.text._ZN7rocprim17ROCPRIM_400000_NS6detail17trampoline_kernelINS0_14default_configENS1_25partition_config_selectorILNS1_17partition_subalgoE1EsNS0_10empty_typeEbEEZZNS1_14partition_implILS5_1ELb0ES3_jN6thrust23THRUST_200600_302600_NS6detail15normal_iteratorINSA_10device_ptrIsEEEEPS6_NSA_18transform_iteratorINSA_8identityIsEESF_NSA_11use_defaultESK_EENS0_5tupleIJSF_SF_EEENSM_IJSG_SG_EEES6_PlJS6_EEE10hipError_tPvRmT3_T4_T5_T6_T7_T9_mT8_P12ihipStream_tbDpT10_ENKUlT_T0_E_clISt17integral_constantIbLb1EES19_EEDaS14_S15_EUlS14_E_NS1_11comp_targetILNS1_3genE3ELNS1_11target_archE908ELNS1_3gpuE7ELNS1_3repE0EEENS1_30default_config_static_selectorELNS0_4arch9wavefront6targetE1EEEvT1_,"axG",@progbits,_ZN7rocprim17ROCPRIM_400000_NS6detail17trampoline_kernelINS0_14default_configENS1_25partition_config_selectorILNS1_17partition_subalgoE1EsNS0_10empty_typeEbEEZZNS1_14partition_implILS5_1ELb0ES3_jN6thrust23THRUST_200600_302600_NS6detail15normal_iteratorINSA_10device_ptrIsEEEEPS6_NSA_18transform_iteratorINSA_8identityIsEESF_NSA_11use_defaultESK_EENS0_5tupleIJSF_SF_EEENSM_IJSG_SG_EEES6_PlJS6_EEE10hipError_tPvRmT3_T4_T5_T6_T7_T9_mT8_P12ihipStream_tbDpT10_ENKUlT_T0_E_clISt17integral_constantIbLb1EES19_EEDaS14_S15_EUlS14_E_NS1_11comp_targetILNS1_3genE3ELNS1_11target_archE908ELNS1_3gpuE7ELNS1_3repE0EEENS1_30default_config_static_selectorELNS0_4arch9wavefront6targetE1EEEvT1_,comdat
	.protected	_ZN7rocprim17ROCPRIM_400000_NS6detail17trampoline_kernelINS0_14default_configENS1_25partition_config_selectorILNS1_17partition_subalgoE1EsNS0_10empty_typeEbEEZZNS1_14partition_implILS5_1ELb0ES3_jN6thrust23THRUST_200600_302600_NS6detail15normal_iteratorINSA_10device_ptrIsEEEEPS6_NSA_18transform_iteratorINSA_8identityIsEESF_NSA_11use_defaultESK_EENS0_5tupleIJSF_SF_EEENSM_IJSG_SG_EEES6_PlJS6_EEE10hipError_tPvRmT3_T4_T5_T6_T7_T9_mT8_P12ihipStream_tbDpT10_ENKUlT_T0_E_clISt17integral_constantIbLb1EES19_EEDaS14_S15_EUlS14_E_NS1_11comp_targetILNS1_3genE3ELNS1_11target_archE908ELNS1_3gpuE7ELNS1_3repE0EEENS1_30default_config_static_selectorELNS0_4arch9wavefront6targetE1EEEvT1_ ; -- Begin function _ZN7rocprim17ROCPRIM_400000_NS6detail17trampoline_kernelINS0_14default_configENS1_25partition_config_selectorILNS1_17partition_subalgoE1EsNS0_10empty_typeEbEEZZNS1_14partition_implILS5_1ELb0ES3_jN6thrust23THRUST_200600_302600_NS6detail15normal_iteratorINSA_10device_ptrIsEEEEPS6_NSA_18transform_iteratorINSA_8identityIsEESF_NSA_11use_defaultESK_EENS0_5tupleIJSF_SF_EEENSM_IJSG_SG_EEES6_PlJS6_EEE10hipError_tPvRmT3_T4_T5_T6_T7_T9_mT8_P12ihipStream_tbDpT10_ENKUlT_T0_E_clISt17integral_constantIbLb1EES19_EEDaS14_S15_EUlS14_E_NS1_11comp_targetILNS1_3genE3ELNS1_11target_archE908ELNS1_3gpuE7ELNS1_3repE0EEENS1_30default_config_static_selectorELNS0_4arch9wavefront6targetE1EEEvT1_
	.globl	_ZN7rocprim17ROCPRIM_400000_NS6detail17trampoline_kernelINS0_14default_configENS1_25partition_config_selectorILNS1_17partition_subalgoE1EsNS0_10empty_typeEbEEZZNS1_14partition_implILS5_1ELb0ES3_jN6thrust23THRUST_200600_302600_NS6detail15normal_iteratorINSA_10device_ptrIsEEEEPS6_NSA_18transform_iteratorINSA_8identityIsEESF_NSA_11use_defaultESK_EENS0_5tupleIJSF_SF_EEENSM_IJSG_SG_EEES6_PlJS6_EEE10hipError_tPvRmT3_T4_T5_T6_T7_T9_mT8_P12ihipStream_tbDpT10_ENKUlT_T0_E_clISt17integral_constantIbLb1EES19_EEDaS14_S15_EUlS14_E_NS1_11comp_targetILNS1_3genE3ELNS1_11target_archE908ELNS1_3gpuE7ELNS1_3repE0EEENS1_30default_config_static_selectorELNS0_4arch9wavefront6targetE1EEEvT1_
	.p2align	8
	.type	_ZN7rocprim17ROCPRIM_400000_NS6detail17trampoline_kernelINS0_14default_configENS1_25partition_config_selectorILNS1_17partition_subalgoE1EsNS0_10empty_typeEbEEZZNS1_14partition_implILS5_1ELb0ES3_jN6thrust23THRUST_200600_302600_NS6detail15normal_iteratorINSA_10device_ptrIsEEEEPS6_NSA_18transform_iteratorINSA_8identityIsEESF_NSA_11use_defaultESK_EENS0_5tupleIJSF_SF_EEENSM_IJSG_SG_EEES6_PlJS6_EEE10hipError_tPvRmT3_T4_T5_T6_T7_T9_mT8_P12ihipStream_tbDpT10_ENKUlT_T0_E_clISt17integral_constantIbLb1EES19_EEDaS14_S15_EUlS14_E_NS1_11comp_targetILNS1_3genE3ELNS1_11target_archE908ELNS1_3gpuE7ELNS1_3repE0EEENS1_30default_config_static_selectorELNS0_4arch9wavefront6targetE1EEEvT1_,@function
_ZN7rocprim17ROCPRIM_400000_NS6detail17trampoline_kernelINS0_14default_configENS1_25partition_config_selectorILNS1_17partition_subalgoE1EsNS0_10empty_typeEbEEZZNS1_14partition_implILS5_1ELb0ES3_jN6thrust23THRUST_200600_302600_NS6detail15normal_iteratorINSA_10device_ptrIsEEEEPS6_NSA_18transform_iteratorINSA_8identityIsEESF_NSA_11use_defaultESK_EENS0_5tupleIJSF_SF_EEENSM_IJSG_SG_EEES6_PlJS6_EEE10hipError_tPvRmT3_T4_T5_T6_T7_T9_mT8_P12ihipStream_tbDpT10_ENKUlT_T0_E_clISt17integral_constantIbLb1EES19_EEDaS14_S15_EUlS14_E_NS1_11comp_targetILNS1_3genE3ELNS1_11target_archE908ELNS1_3gpuE7ELNS1_3repE0EEENS1_30default_config_static_selectorELNS0_4arch9wavefront6targetE1EEEvT1_: ; @_ZN7rocprim17ROCPRIM_400000_NS6detail17trampoline_kernelINS0_14default_configENS1_25partition_config_selectorILNS1_17partition_subalgoE1EsNS0_10empty_typeEbEEZZNS1_14partition_implILS5_1ELb0ES3_jN6thrust23THRUST_200600_302600_NS6detail15normal_iteratorINSA_10device_ptrIsEEEEPS6_NSA_18transform_iteratorINSA_8identityIsEESF_NSA_11use_defaultESK_EENS0_5tupleIJSF_SF_EEENSM_IJSG_SG_EEES6_PlJS6_EEE10hipError_tPvRmT3_T4_T5_T6_T7_T9_mT8_P12ihipStream_tbDpT10_ENKUlT_T0_E_clISt17integral_constantIbLb1EES19_EEDaS14_S15_EUlS14_E_NS1_11comp_targetILNS1_3genE3ELNS1_11target_archE908ELNS1_3gpuE7ELNS1_3repE0EEENS1_30default_config_static_selectorELNS0_4arch9wavefront6targetE1EEEvT1_
; %bb.0:
	.section	.rodata,"a",@progbits
	.p2align	6, 0x0
	.amdhsa_kernel _ZN7rocprim17ROCPRIM_400000_NS6detail17trampoline_kernelINS0_14default_configENS1_25partition_config_selectorILNS1_17partition_subalgoE1EsNS0_10empty_typeEbEEZZNS1_14partition_implILS5_1ELb0ES3_jN6thrust23THRUST_200600_302600_NS6detail15normal_iteratorINSA_10device_ptrIsEEEEPS6_NSA_18transform_iteratorINSA_8identityIsEESF_NSA_11use_defaultESK_EENS0_5tupleIJSF_SF_EEENSM_IJSG_SG_EEES6_PlJS6_EEE10hipError_tPvRmT3_T4_T5_T6_T7_T9_mT8_P12ihipStream_tbDpT10_ENKUlT_T0_E_clISt17integral_constantIbLb1EES19_EEDaS14_S15_EUlS14_E_NS1_11comp_targetILNS1_3genE3ELNS1_11target_archE908ELNS1_3gpuE7ELNS1_3repE0EEENS1_30default_config_static_selectorELNS0_4arch9wavefront6targetE1EEEvT1_
		.amdhsa_group_segment_fixed_size 0
		.amdhsa_private_segment_fixed_size 0
		.amdhsa_kernarg_size 144
		.amdhsa_user_sgpr_count 2
		.amdhsa_user_sgpr_dispatch_ptr 0
		.amdhsa_user_sgpr_queue_ptr 0
		.amdhsa_user_sgpr_kernarg_segment_ptr 1
		.amdhsa_user_sgpr_dispatch_id 0
		.amdhsa_user_sgpr_kernarg_preload_length 0
		.amdhsa_user_sgpr_kernarg_preload_offset 0
		.amdhsa_user_sgpr_private_segment_size 0
		.amdhsa_uses_dynamic_stack 0
		.amdhsa_enable_private_segment 0
		.amdhsa_system_sgpr_workgroup_id_x 1
		.amdhsa_system_sgpr_workgroup_id_y 0
		.amdhsa_system_sgpr_workgroup_id_z 0
		.amdhsa_system_sgpr_workgroup_info 0
		.amdhsa_system_vgpr_workitem_id 0
		.amdhsa_next_free_vgpr 1
		.amdhsa_next_free_sgpr 0
		.amdhsa_accum_offset 4
		.amdhsa_reserve_vcc 0
		.amdhsa_float_round_mode_32 0
		.amdhsa_float_round_mode_16_64 0
		.amdhsa_float_denorm_mode_32 3
		.amdhsa_float_denorm_mode_16_64 3
		.amdhsa_dx10_clamp 1
		.amdhsa_ieee_mode 1
		.amdhsa_fp16_overflow 0
		.amdhsa_tg_split 0
		.amdhsa_exception_fp_ieee_invalid_op 0
		.amdhsa_exception_fp_denorm_src 0
		.amdhsa_exception_fp_ieee_div_zero 0
		.amdhsa_exception_fp_ieee_overflow 0
		.amdhsa_exception_fp_ieee_underflow 0
		.amdhsa_exception_fp_ieee_inexact 0
		.amdhsa_exception_int_div_zero 0
	.end_amdhsa_kernel
	.section	.text._ZN7rocprim17ROCPRIM_400000_NS6detail17trampoline_kernelINS0_14default_configENS1_25partition_config_selectorILNS1_17partition_subalgoE1EsNS0_10empty_typeEbEEZZNS1_14partition_implILS5_1ELb0ES3_jN6thrust23THRUST_200600_302600_NS6detail15normal_iteratorINSA_10device_ptrIsEEEEPS6_NSA_18transform_iteratorINSA_8identityIsEESF_NSA_11use_defaultESK_EENS0_5tupleIJSF_SF_EEENSM_IJSG_SG_EEES6_PlJS6_EEE10hipError_tPvRmT3_T4_T5_T6_T7_T9_mT8_P12ihipStream_tbDpT10_ENKUlT_T0_E_clISt17integral_constantIbLb1EES19_EEDaS14_S15_EUlS14_E_NS1_11comp_targetILNS1_3genE3ELNS1_11target_archE908ELNS1_3gpuE7ELNS1_3repE0EEENS1_30default_config_static_selectorELNS0_4arch9wavefront6targetE1EEEvT1_,"axG",@progbits,_ZN7rocprim17ROCPRIM_400000_NS6detail17trampoline_kernelINS0_14default_configENS1_25partition_config_selectorILNS1_17partition_subalgoE1EsNS0_10empty_typeEbEEZZNS1_14partition_implILS5_1ELb0ES3_jN6thrust23THRUST_200600_302600_NS6detail15normal_iteratorINSA_10device_ptrIsEEEEPS6_NSA_18transform_iteratorINSA_8identityIsEESF_NSA_11use_defaultESK_EENS0_5tupleIJSF_SF_EEENSM_IJSG_SG_EEES6_PlJS6_EEE10hipError_tPvRmT3_T4_T5_T6_T7_T9_mT8_P12ihipStream_tbDpT10_ENKUlT_T0_E_clISt17integral_constantIbLb1EES19_EEDaS14_S15_EUlS14_E_NS1_11comp_targetILNS1_3genE3ELNS1_11target_archE908ELNS1_3gpuE7ELNS1_3repE0EEENS1_30default_config_static_selectorELNS0_4arch9wavefront6targetE1EEEvT1_,comdat
.Lfunc_end652:
	.size	_ZN7rocprim17ROCPRIM_400000_NS6detail17trampoline_kernelINS0_14default_configENS1_25partition_config_selectorILNS1_17partition_subalgoE1EsNS0_10empty_typeEbEEZZNS1_14partition_implILS5_1ELb0ES3_jN6thrust23THRUST_200600_302600_NS6detail15normal_iteratorINSA_10device_ptrIsEEEEPS6_NSA_18transform_iteratorINSA_8identityIsEESF_NSA_11use_defaultESK_EENS0_5tupleIJSF_SF_EEENSM_IJSG_SG_EEES6_PlJS6_EEE10hipError_tPvRmT3_T4_T5_T6_T7_T9_mT8_P12ihipStream_tbDpT10_ENKUlT_T0_E_clISt17integral_constantIbLb1EES19_EEDaS14_S15_EUlS14_E_NS1_11comp_targetILNS1_3genE3ELNS1_11target_archE908ELNS1_3gpuE7ELNS1_3repE0EEENS1_30default_config_static_selectorELNS0_4arch9wavefront6targetE1EEEvT1_, .Lfunc_end652-_ZN7rocprim17ROCPRIM_400000_NS6detail17trampoline_kernelINS0_14default_configENS1_25partition_config_selectorILNS1_17partition_subalgoE1EsNS0_10empty_typeEbEEZZNS1_14partition_implILS5_1ELb0ES3_jN6thrust23THRUST_200600_302600_NS6detail15normal_iteratorINSA_10device_ptrIsEEEEPS6_NSA_18transform_iteratorINSA_8identityIsEESF_NSA_11use_defaultESK_EENS0_5tupleIJSF_SF_EEENSM_IJSG_SG_EEES6_PlJS6_EEE10hipError_tPvRmT3_T4_T5_T6_T7_T9_mT8_P12ihipStream_tbDpT10_ENKUlT_T0_E_clISt17integral_constantIbLb1EES19_EEDaS14_S15_EUlS14_E_NS1_11comp_targetILNS1_3genE3ELNS1_11target_archE908ELNS1_3gpuE7ELNS1_3repE0EEENS1_30default_config_static_selectorELNS0_4arch9wavefront6targetE1EEEvT1_
                                        ; -- End function
	.section	.AMDGPU.csdata,"",@progbits
; Kernel info:
; codeLenInByte = 0
; NumSgprs: 6
; NumVgprs: 0
; NumAgprs: 0
; TotalNumVgprs: 0
; ScratchSize: 0
; MemoryBound: 0
; FloatMode: 240
; IeeeMode: 1
; LDSByteSize: 0 bytes/workgroup (compile time only)
; SGPRBlocks: 0
; VGPRBlocks: 0
; NumSGPRsForWavesPerEU: 6
; NumVGPRsForWavesPerEU: 1
; AccumOffset: 4
; Occupancy: 8
; WaveLimiterHint : 0
; COMPUTE_PGM_RSRC2:SCRATCH_EN: 0
; COMPUTE_PGM_RSRC2:USER_SGPR: 2
; COMPUTE_PGM_RSRC2:TRAP_HANDLER: 0
; COMPUTE_PGM_RSRC2:TGID_X_EN: 1
; COMPUTE_PGM_RSRC2:TGID_Y_EN: 0
; COMPUTE_PGM_RSRC2:TGID_Z_EN: 0
; COMPUTE_PGM_RSRC2:TIDIG_COMP_CNT: 0
; COMPUTE_PGM_RSRC3_GFX90A:ACCUM_OFFSET: 0
; COMPUTE_PGM_RSRC3_GFX90A:TG_SPLIT: 0
	.section	.text._ZN7rocprim17ROCPRIM_400000_NS6detail17trampoline_kernelINS0_14default_configENS1_25partition_config_selectorILNS1_17partition_subalgoE1EsNS0_10empty_typeEbEEZZNS1_14partition_implILS5_1ELb0ES3_jN6thrust23THRUST_200600_302600_NS6detail15normal_iteratorINSA_10device_ptrIsEEEEPS6_NSA_18transform_iteratorINSA_8identityIsEESF_NSA_11use_defaultESK_EENS0_5tupleIJSF_SF_EEENSM_IJSG_SG_EEES6_PlJS6_EEE10hipError_tPvRmT3_T4_T5_T6_T7_T9_mT8_P12ihipStream_tbDpT10_ENKUlT_T0_E_clISt17integral_constantIbLb1EES19_EEDaS14_S15_EUlS14_E_NS1_11comp_targetILNS1_3genE2ELNS1_11target_archE906ELNS1_3gpuE6ELNS1_3repE0EEENS1_30default_config_static_selectorELNS0_4arch9wavefront6targetE1EEEvT1_,"axG",@progbits,_ZN7rocprim17ROCPRIM_400000_NS6detail17trampoline_kernelINS0_14default_configENS1_25partition_config_selectorILNS1_17partition_subalgoE1EsNS0_10empty_typeEbEEZZNS1_14partition_implILS5_1ELb0ES3_jN6thrust23THRUST_200600_302600_NS6detail15normal_iteratorINSA_10device_ptrIsEEEEPS6_NSA_18transform_iteratorINSA_8identityIsEESF_NSA_11use_defaultESK_EENS0_5tupleIJSF_SF_EEENSM_IJSG_SG_EEES6_PlJS6_EEE10hipError_tPvRmT3_T4_T5_T6_T7_T9_mT8_P12ihipStream_tbDpT10_ENKUlT_T0_E_clISt17integral_constantIbLb1EES19_EEDaS14_S15_EUlS14_E_NS1_11comp_targetILNS1_3genE2ELNS1_11target_archE906ELNS1_3gpuE6ELNS1_3repE0EEENS1_30default_config_static_selectorELNS0_4arch9wavefront6targetE1EEEvT1_,comdat
	.protected	_ZN7rocprim17ROCPRIM_400000_NS6detail17trampoline_kernelINS0_14default_configENS1_25partition_config_selectorILNS1_17partition_subalgoE1EsNS0_10empty_typeEbEEZZNS1_14partition_implILS5_1ELb0ES3_jN6thrust23THRUST_200600_302600_NS6detail15normal_iteratorINSA_10device_ptrIsEEEEPS6_NSA_18transform_iteratorINSA_8identityIsEESF_NSA_11use_defaultESK_EENS0_5tupleIJSF_SF_EEENSM_IJSG_SG_EEES6_PlJS6_EEE10hipError_tPvRmT3_T4_T5_T6_T7_T9_mT8_P12ihipStream_tbDpT10_ENKUlT_T0_E_clISt17integral_constantIbLb1EES19_EEDaS14_S15_EUlS14_E_NS1_11comp_targetILNS1_3genE2ELNS1_11target_archE906ELNS1_3gpuE6ELNS1_3repE0EEENS1_30default_config_static_selectorELNS0_4arch9wavefront6targetE1EEEvT1_ ; -- Begin function _ZN7rocprim17ROCPRIM_400000_NS6detail17trampoline_kernelINS0_14default_configENS1_25partition_config_selectorILNS1_17partition_subalgoE1EsNS0_10empty_typeEbEEZZNS1_14partition_implILS5_1ELb0ES3_jN6thrust23THRUST_200600_302600_NS6detail15normal_iteratorINSA_10device_ptrIsEEEEPS6_NSA_18transform_iteratorINSA_8identityIsEESF_NSA_11use_defaultESK_EENS0_5tupleIJSF_SF_EEENSM_IJSG_SG_EEES6_PlJS6_EEE10hipError_tPvRmT3_T4_T5_T6_T7_T9_mT8_P12ihipStream_tbDpT10_ENKUlT_T0_E_clISt17integral_constantIbLb1EES19_EEDaS14_S15_EUlS14_E_NS1_11comp_targetILNS1_3genE2ELNS1_11target_archE906ELNS1_3gpuE6ELNS1_3repE0EEENS1_30default_config_static_selectorELNS0_4arch9wavefront6targetE1EEEvT1_
	.globl	_ZN7rocprim17ROCPRIM_400000_NS6detail17trampoline_kernelINS0_14default_configENS1_25partition_config_selectorILNS1_17partition_subalgoE1EsNS0_10empty_typeEbEEZZNS1_14partition_implILS5_1ELb0ES3_jN6thrust23THRUST_200600_302600_NS6detail15normal_iteratorINSA_10device_ptrIsEEEEPS6_NSA_18transform_iteratorINSA_8identityIsEESF_NSA_11use_defaultESK_EENS0_5tupleIJSF_SF_EEENSM_IJSG_SG_EEES6_PlJS6_EEE10hipError_tPvRmT3_T4_T5_T6_T7_T9_mT8_P12ihipStream_tbDpT10_ENKUlT_T0_E_clISt17integral_constantIbLb1EES19_EEDaS14_S15_EUlS14_E_NS1_11comp_targetILNS1_3genE2ELNS1_11target_archE906ELNS1_3gpuE6ELNS1_3repE0EEENS1_30default_config_static_selectorELNS0_4arch9wavefront6targetE1EEEvT1_
	.p2align	8
	.type	_ZN7rocprim17ROCPRIM_400000_NS6detail17trampoline_kernelINS0_14default_configENS1_25partition_config_selectorILNS1_17partition_subalgoE1EsNS0_10empty_typeEbEEZZNS1_14partition_implILS5_1ELb0ES3_jN6thrust23THRUST_200600_302600_NS6detail15normal_iteratorINSA_10device_ptrIsEEEEPS6_NSA_18transform_iteratorINSA_8identityIsEESF_NSA_11use_defaultESK_EENS0_5tupleIJSF_SF_EEENSM_IJSG_SG_EEES6_PlJS6_EEE10hipError_tPvRmT3_T4_T5_T6_T7_T9_mT8_P12ihipStream_tbDpT10_ENKUlT_T0_E_clISt17integral_constantIbLb1EES19_EEDaS14_S15_EUlS14_E_NS1_11comp_targetILNS1_3genE2ELNS1_11target_archE906ELNS1_3gpuE6ELNS1_3repE0EEENS1_30default_config_static_selectorELNS0_4arch9wavefront6targetE1EEEvT1_,@function
_ZN7rocprim17ROCPRIM_400000_NS6detail17trampoline_kernelINS0_14default_configENS1_25partition_config_selectorILNS1_17partition_subalgoE1EsNS0_10empty_typeEbEEZZNS1_14partition_implILS5_1ELb0ES3_jN6thrust23THRUST_200600_302600_NS6detail15normal_iteratorINSA_10device_ptrIsEEEEPS6_NSA_18transform_iteratorINSA_8identityIsEESF_NSA_11use_defaultESK_EENS0_5tupleIJSF_SF_EEENSM_IJSG_SG_EEES6_PlJS6_EEE10hipError_tPvRmT3_T4_T5_T6_T7_T9_mT8_P12ihipStream_tbDpT10_ENKUlT_T0_E_clISt17integral_constantIbLb1EES19_EEDaS14_S15_EUlS14_E_NS1_11comp_targetILNS1_3genE2ELNS1_11target_archE906ELNS1_3gpuE6ELNS1_3repE0EEENS1_30default_config_static_selectorELNS0_4arch9wavefront6targetE1EEEvT1_: ; @_ZN7rocprim17ROCPRIM_400000_NS6detail17trampoline_kernelINS0_14default_configENS1_25partition_config_selectorILNS1_17partition_subalgoE1EsNS0_10empty_typeEbEEZZNS1_14partition_implILS5_1ELb0ES3_jN6thrust23THRUST_200600_302600_NS6detail15normal_iteratorINSA_10device_ptrIsEEEEPS6_NSA_18transform_iteratorINSA_8identityIsEESF_NSA_11use_defaultESK_EENS0_5tupleIJSF_SF_EEENSM_IJSG_SG_EEES6_PlJS6_EEE10hipError_tPvRmT3_T4_T5_T6_T7_T9_mT8_P12ihipStream_tbDpT10_ENKUlT_T0_E_clISt17integral_constantIbLb1EES19_EEDaS14_S15_EUlS14_E_NS1_11comp_targetILNS1_3genE2ELNS1_11target_archE906ELNS1_3gpuE6ELNS1_3repE0EEENS1_30default_config_static_selectorELNS0_4arch9wavefront6targetE1EEEvT1_
; %bb.0:
	.section	.rodata,"a",@progbits
	.p2align	6, 0x0
	.amdhsa_kernel _ZN7rocprim17ROCPRIM_400000_NS6detail17trampoline_kernelINS0_14default_configENS1_25partition_config_selectorILNS1_17partition_subalgoE1EsNS0_10empty_typeEbEEZZNS1_14partition_implILS5_1ELb0ES3_jN6thrust23THRUST_200600_302600_NS6detail15normal_iteratorINSA_10device_ptrIsEEEEPS6_NSA_18transform_iteratorINSA_8identityIsEESF_NSA_11use_defaultESK_EENS0_5tupleIJSF_SF_EEENSM_IJSG_SG_EEES6_PlJS6_EEE10hipError_tPvRmT3_T4_T5_T6_T7_T9_mT8_P12ihipStream_tbDpT10_ENKUlT_T0_E_clISt17integral_constantIbLb1EES19_EEDaS14_S15_EUlS14_E_NS1_11comp_targetILNS1_3genE2ELNS1_11target_archE906ELNS1_3gpuE6ELNS1_3repE0EEENS1_30default_config_static_selectorELNS0_4arch9wavefront6targetE1EEEvT1_
		.amdhsa_group_segment_fixed_size 0
		.amdhsa_private_segment_fixed_size 0
		.amdhsa_kernarg_size 144
		.amdhsa_user_sgpr_count 2
		.amdhsa_user_sgpr_dispatch_ptr 0
		.amdhsa_user_sgpr_queue_ptr 0
		.amdhsa_user_sgpr_kernarg_segment_ptr 1
		.amdhsa_user_sgpr_dispatch_id 0
		.amdhsa_user_sgpr_kernarg_preload_length 0
		.amdhsa_user_sgpr_kernarg_preload_offset 0
		.amdhsa_user_sgpr_private_segment_size 0
		.amdhsa_uses_dynamic_stack 0
		.amdhsa_enable_private_segment 0
		.amdhsa_system_sgpr_workgroup_id_x 1
		.amdhsa_system_sgpr_workgroup_id_y 0
		.amdhsa_system_sgpr_workgroup_id_z 0
		.amdhsa_system_sgpr_workgroup_info 0
		.amdhsa_system_vgpr_workitem_id 0
		.amdhsa_next_free_vgpr 1
		.amdhsa_next_free_sgpr 0
		.amdhsa_accum_offset 4
		.amdhsa_reserve_vcc 0
		.amdhsa_float_round_mode_32 0
		.amdhsa_float_round_mode_16_64 0
		.amdhsa_float_denorm_mode_32 3
		.amdhsa_float_denorm_mode_16_64 3
		.amdhsa_dx10_clamp 1
		.amdhsa_ieee_mode 1
		.amdhsa_fp16_overflow 0
		.amdhsa_tg_split 0
		.amdhsa_exception_fp_ieee_invalid_op 0
		.amdhsa_exception_fp_denorm_src 0
		.amdhsa_exception_fp_ieee_div_zero 0
		.amdhsa_exception_fp_ieee_overflow 0
		.amdhsa_exception_fp_ieee_underflow 0
		.amdhsa_exception_fp_ieee_inexact 0
		.amdhsa_exception_int_div_zero 0
	.end_amdhsa_kernel
	.section	.text._ZN7rocprim17ROCPRIM_400000_NS6detail17trampoline_kernelINS0_14default_configENS1_25partition_config_selectorILNS1_17partition_subalgoE1EsNS0_10empty_typeEbEEZZNS1_14partition_implILS5_1ELb0ES3_jN6thrust23THRUST_200600_302600_NS6detail15normal_iteratorINSA_10device_ptrIsEEEEPS6_NSA_18transform_iteratorINSA_8identityIsEESF_NSA_11use_defaultESK_EENS0_5tupleIJSF_SF_EEENSM_IJSG_SG_EEES6_PlJS6_EEE10hipError_tPvRmT3_T4_T5_T6_T7_T9_mT8_P12ihipStream_tbDpT10_ENKUlT_T0_E_clISt17integral_constantIbLb1EES19_EEDaS14_S15_EUlS14_E_NS1_11comp_targetILNS1_3genE2ELNS1_11target_archE906ELNS1_3gpuE6ELNS1_3repE0EEENS1_30default_config_static_selectorELNS0_4arch9wavefront6targetE1EEEvT1_,"axG",@progbits,_ZN7rocprim17ROCPRIM_400000_NS6detail17trampoline_kernelINS0_14default_configENS1_25partition_config_selectorILNS1_17partition_subalgoE1EsNS0_10empty_typeEbEEZZNS1_14partition_implILS5_1ELb0ES3_jN6thrust23THRUST_200600_302600_NS6detail15normal_iteratorINSA_10device_ptrIsEEEEPS6_NSA_18transform_iteratorINSA_8identityIsEESF_NSA_11use_defaultESK_EENS0_5tupleIJSF_SF_EEENSM_IJSG_SG_EEES6_PlJS6_EEE10hipError_tPvRmT3_T4_T5_T6_T7_T9_mT8_P12ihipStream_tbDpT10_ENKUlT_T0_E_clISt17integral_constantIbLb1EES19_EEDaS14_S15_EUlS14_E_NS1_11comp_targetILNS1_3genE2ELNS1_11target_archE906ELNS1_3gpuE6ELNS1_3repE0EEENS1_30default_config_static_selectorELNS0_4arch9wavefront6targetE1EEEvT1_,comdat
.Lfunc_end653:
	.size	_ZN7rocprim17ROCPRIM_400000_NS6detail17trampoline_kernelINS0_14default_configENS1_25partition_config_selectorILNS1_17partition_subalgoE1EsNS0_10empty_typeEbEEZZNS1_14partition_implILS5_1ELb0ES3_jN6thrust23THRUST_200600_302600_NS6detail15normal_iteratorINSA_10device_ptrIsEEEEPS6_NSA_18transform_iteratorINSA_8identityIsEESF_NSA_11use_defaultESK_EENS0_5tupleIJSF_SF_EEENSM_IJSG_SG_EEES6_PlJS6_EEE10hipError_tPvRmT3_T4_T5_T6_T7_T9_mT8_P12ihipStream_tbDpT10_ENKUlT_T0_E_clISt17integral_constantIbLb1EES19_EEDaS14_S15_EUlS14_E_NS1_11comp_targetILNS1_3genE2ELNS1_11target_archE906ELNS1_3gpuE6ELNS1_3repE0EEENS1_30default_config_static_selectorELNS0_4arch9wavefront6targetE1EEEvT1_, .Lfunc_end653-_ZN7rocprim17ROCPRIM_400000_NS6detail17trampoline_kernelINS0_14default_configENS1_25partition_config_selectorILNS1_17partition_subalgoE1EsNS0_10empty_typeEbEEZZNS1_14partition_implILS5_1ELb0ES3_jN6thrust23THRUST_200600_302600_NS6detail15normal_iteratorINSA_10device_ptrIsEEEEPS6_NSA_18transform_iteratorINSA_8identityIsEESF_NSA_11use_defaultESK_EENS0_5tupleIJSF_SF_EEENSM_IJSG_SG_EEES6_PlJS6_EEE10hipError_tPvRmT3_T4_T5_T6_T7_T9_mT8_P12ihipStream_tbDpT10_ENKUlT_T0_E_clISt17integral_constantIbLb1EES19_EEDaS14_S15_EUlS14_E_NS1_11comp_targetILNS1_3genE2ELNS1_11target_archE906ELNS1_3gpuE6ELNS1_3repE0EEENS1_30default_config_static_selectorELNS0_4arch9wavefront6targetE1EEEvT1_
                                        ; -- End function
	.section	.AMDGPU.csdata,"",@progbits
; Kernel info:
; codeLenInByte = 0
; NumSgprs: 6
; NumVgprs: 0
; NumAgprs: 0
; TotalNumVgprs: 0
; ScratchSize: 0
; MemoryBound: 0
; FloatMode: 240
; IeeeMode: 1
; LDSByteSize: 0 bytes/workgroup (compile time only)
; SGPRBlocks: 0
; VGPRBlocks: 0
; NumSGPRsForWavesPerEU: 6
; NumVGPRsForWavesPerEU: 1
; AccumOffset: 4
; Occupancy: 8
; WaveLimiterHint : 0
; COMPUTE_PGM_RSRC2:SCRATCH_EN: 0
; COMPUTE_PGM_RSRC2:USER_SGPR: 2
; COMPUTE_PGM_RSRC2:TRAP_HANDLER: 0
; COMPUTE_PGM_RSRC2:TGID_X_EN: 1
; COMPUTE_PGM_RSRC2:TGID_Y_EN: 0
; COMPUTE_PGM_RSRC2:TGID_Z_EN: 0
; COMPUTE_PGM_RSRC2:TIDIG_COMP_CNT: 0
; COMPUTE_PGM_RSRC3_GFX90A:ACCUM_OFFSET: 0
; COMPUTE_PGM_RSRC3_GFX90A:TG_SPLIT: 0
	.section	.text._ZN7rocprim17ROCPRIM_400000_NS6detail17trampoline_kernelINS0_14default_configENS1_25partition_config_selectorILNS1_17partition_subalgoE1EsNS0_10empty_typeEbEEZZNS1_14partition_implILS5_1ELb0ES3_jN6thrust23THRUST_200600_302600_NS6detail15normal_iteratorINSA_10device_ptrIsEEEEPS6_NSA_18transform_iteratorINSA_8identityIsEESF_NSA_11use_defaultESK_EENS0_5tupleIJSF_SF_EEENSM_IJSG_SG_EEES6_PlJS6_EEE10hipError_tPvRmT3_T4_T5_T6_T7_T9_mT8_P12ihipStream_tbDpT10_ENKUlT_T0_E_clISt17integral_constantIbLb1EES19_EEDaS14_S15_EUlS14_E_NS1_11comp_targetILNS1_3genE10ELNS1_11target_archE1200ELNS1_3gpuE4ELNS1_3repE0EEENS1_30default_config_static_selectorELNS0_4arch9wavefront6targetE1EEEvT1_,"axG",@progbits,_ZN7rocprim17ROCPRIM_400000_NS6detail17trampoline_kernelINS0_14default_configENS1_25partition_config_selectorILNS1_17partition_subalgoE1EsNS0_10empty_typeEbEEZZNS1_14partition_implILS5_1ELb0ES3_jN6thrust23THRUST_200600_302600_NS6detail15normal_iteratorINSA_10device_ptrIsEEEEPS6_NSA_18transform_iteratorINSA_8identityIsEESF_NSA_11use_defaultESK_EENS0_5tupleIJSF_SF_EEENSM_IJSG_SG_EEES6_PlJS6_EEE10hipError_tPvRmT3_T4_T5_T6_T7_T9_mT8_P12ihipStream_tbDpT10_ENKUlT_T0_E_clISt17integral_constantIbLb1EES19_EEDaS14_S15_EUlS14_E_NS1_11comp_targetILNS1_3genE10ELNS1_11target_archE1200ELNS1_3gpuE4ELNS1_3repE0EEENS1_30default_config_static_selectorELNS0_4arch9wavefront6targetE1EEEvT1_,comdat
	.protected	_ZN7rocprim17ROCPRIM_400000_NS6detail17trampoline_kernelINS0_14default_configENS1_25partition_config_selectorILNS1_17partition_subalgoE1EsNS0_10empty_typeEbEEZZNS1_14partition_implILS5_1ELb0ES3_jN6thrust23THRUST_200600_302600_NS6detail15normal_iteratorINSA_10device_ptrIsEEEEPS6_NSA_18transform_iteratorINSA_8identityIsEESF_NSA_11use_defaultESK_EENS0_5tupleIJSF_SF_EEENSM_IJSG_SG_EEES6_PlJS6_EEE10hipError_tPvRmT3_T4_T5_T6_T7_T9_mT8_P12ihipStream_tbDpT10_ENKUlT_T0_E_clISt17integral_constantIbLb1EES19_EEDaS14_S15_EUlS14_E_NS1_11comp_targetILNS1_3genE10ELNS1_11target_archE1200ELNS1_3gpuE4ELNS1_3repE0EEENS1_30default_config_static_selectorELNS0_4arch9wavefront6targetE1EEEvT1_ ; -- Begin function _ZN7rocprim17ROCPRIM_400000_NS6detail17trampoline_kernelINS0_14default_configENS1_25partition_config_selectorILNS1_17partition_subalgoE1EsNS0_10empty_typeEbEEZZNS1_14partition_implILS5_1ELb0ES3_jN6thrust23THRUST_200600_302600_NS6detail15normal_iteratorINSA_10device_ptrIsEEEEPS6_NSA_18transform_iteratorINSA_8identityIsEESF_NSA_11use_defaultESK_EENS0_5tupleIJSF_SF_EEENSM_IJSG_SG_EEES6_PlJS6_EEE10hipError_tPvRmT3_T4_T5_T6_T7_T9_mT8_P12ihipStream_tbDpT10_ENKUlT_T0_E_clISt17integral_constantIbLb1EES19_EEDaS14_S15_EUlS14_E_NS1_11comp_targetILNS1_3genE10ELNS1_11target_archE1200ELNS1_3gpuE4ELNS1_3repE0EEENS1_30default_config_static_selectorELNS0_4arch9wavefront6targetE1EEEvT1_
	.globl	_ZN7rocprim17ROCPRIM_400000_NS6detail17trampoline_kernelINS0_14default_configENS1_25partition_config_selectorILNS1_17partition_subalgoE1EsNS0_10empty_typeEbEEZZNS1_14partition_implILS5_1ELb0ES3_jN6thrust23THRUST_200600_302600_NS6detail15normal_iteratorINSA_10device_ptrIsEEEEPS6_NSA_18transform_iteratorINSA_8identityIsEESF_NSA_11use_defaultESK_EENS0_5tupleIJSF_SF_EEENSM_IJSG_SG_EEES6_PlJS6_EEE10hipError_tPvRmT3_T4_T5_T6_T7_T9_mT8_P12ihipStream_tbDpT10_ENKUlT_T0_E_clISt17integral_constantIbLb1EES19_EEDaS14_S15_EUlS14_E_NS1_11comp_targetILNS1_3genE10ELNS1_11target_archE1200ELNS1_3gpuE4ELNS1_3repE0EEENS1_30default_config_static_selectorELNS0_4arch9wavefront6targetE1EEEvT1_
	.p2align	8
	.type	_ZN7rocprim17ROCPRIM_400000_NS6detail17trampoline_kernelINS0_14default_configENS1_25partition_config_selectorILNS1_17partition_subalgoE1EsNS0_10empty_typeEbEEZZNS1_14partition_implILS5_1ELb0ES3_jN6thrust23THRUST_200600_302600_NS6detail15normal_iteratorINSA_10device_ptrIsEEEEPS6_NSA_18transform_iteratorINSA_8identityIsEESF_NSA_11use_defaultESK_EENS0_5tupleIJSF_SF_EEENSM_IJSG_SG_EEES6_PlJS6_EEE10hipError_tPvRmT3_T4_T5_T6_T7_T9_mT8_P12ihipStream_tbDpT10_ENKUlT_T0_E_clISt17integral_constantIbLb1EES19_EEDaS14_S15_EUlS14_E_NS1_11comp_targetILNS1_3genE10ELNS1_11target_archE1200ELNS1_3gpuE4ELNS1_3repE0EEENS1_30default_config_static_selectorELNS0_4arch9wavefront6targetE1EEEvT1_,@function
_ZN7rocprim17ROCPRIM_400000_NS6detail17trampoline_kernelINS0_14default_configENS1_25partition_config_selectorILNS1_17partition_subalgoE1EsNS0_10empty_typeEbEEZZNS1_14partition_implILS5_1ELb0ES3_jN6thrust23THRUST_200600_302600_NS6detail15normal_iteratorINSA_10device_ptrIsEEEEPS6_NSA_18transform_iteratorINSA_8identityIsEESF_NSA_11use_defaultESK_EENS0_5tupleIJSF_SF_EEENSM_IJSG_SG_EEES6_PlJS6_EEE10hipError_tPvRmT3_T4_T5_T6_T7_T9_mT8_P12ihipStream_tbDpT10_ENKUlT_T0_E_clISt17integral_constantIbLb1EES19_EEDaS14_S15_EUlS14_E_NS1_11comp_targetILNS1_3genE10ELNS1_11target_archE1200ELNS1_3gpuE4ELNS1_3repE0EEENS1_30default_config_static_selectorELNS0_4arch9wavefront6targetE1EEEvT1_: ; @_ZN7rocprim17ROCPRIM_400000_NS6detail17trampoline_kernelINS0_14default_configENS1_25partition_config_selectorILNS1_17partition_subalgoE1EsNS0_10empty_typeEbEEZZNS1_14partition_implILS5_1ELb0ES3_jN6thrust23THRUST_200600_302600_NS6detail15normal_iteratorINSA_10device_ptrIsEEEEPS6_NSA_18transform_iteratorINSA_8identityIsEESF_NSA_11use_defaultESK_EENS0_5tupleIJSF_SF_EEENSM_IJSG_SG_EEES6_PlJS6_EEE10hipError_tPvRmT3_T4_T5_T6_T7_T9_mT8_P12ihipStream_tbDpT10_ENKUlT_T0_E_clISt17integral_constantIbLb1EES19_EEDaS14_S15_EUlS14_E_NS1_11comp_targetILNS1_3genE10ELNS1_11target_archE1200ELNS1_3gpuE4ELNS1_3repE0EEENS1_30default_config_static_selectorELNS0_4arch9wavefront6targetE1EEEvT1_
; %bb.0:
	.section	.rodata,"a",@progbits
	.p2align	6, 0x0
	.amdhsa_kernel _ZN7rocprim17ROCPRIM_400000_NS6detail17trampoline_kernelINS0_14default_configENS1_25partition_config_selectorILNS1_17partition_subalgoE1EsNS0_10empty_typeEbEEZZNS1_14partition_implILS5_1ELb0ES3_jN6thrust23THRUST_200600_302600_NS6detail15normal_iteratorINSA_10device_ptrIsEEEEPS6_NSA_18transform_iteratorINSA_8identityIsEESF_NSA_11use_defaultESK_EENS0_5tupleIJSF_SF_EEENSM_IJSG_SG_EEES6_PlJS6_EEE10hipError_tPvRmT3_T4_T5_T6_T7_T9_mT8_P12ihipStream_tbDpT10_ENKUlT_T0_E_clISt17integral_constantIbLb1EES19_EEDaS14_S15_EUlS14_E_NS1_11comp_targetILNS1_3genE10ELNS1_11target_archE1200ELNS1_3gpuE4ELNS1_3repE0EEENS1_30default_config_static_selectorELNS0_4arch9wavefront6targetE1EEEvT1_
		.amdhsa_group_segment_fixed_size 0
		.amdhsa_private_segment_fixed_size 0
		.amdhsa_kernarg_size 144
		.amdhsa_user_sgpr_count 2
		.amdhsa_user_sgpr_dispatch_ptr 0
		.amdhsa_user_sgpr_queue_ptr 0
		.amdhsa_user_sgpr_kernarg_segment_ptr 1
		.amdhsa_user_sgpr_dispatch_id 0
		.amdhsa_user_sgpr_kernarg_preload_length 0
		.amdhsa_user_sgpr_kernarg_preload_offset 0
		.amdhsa_user_sgpr_private_segment_size 0
		.amdhsa_uses_dynamic_stack 0
		.amdhsa_enable_private_segment 0
		.amdhsa_system_sgpr_workgroup_id_x 1
		.amdhsa_system_sgpr_workgroup_id_y 0
		.amdhsa_system_sgpr_workgroup_id_z 0
		.amdhsa_system_sgpr_workgroup_info 0
		.amdhsa_system_vgpr_workitem_id 0
		.amdhsa_next_free_vgpr 1
		.amdhsa_next_free_sgpr 0
		.amdhsa_accum_offset 4
		.amdhsa_reserve_vcc 0
		.amdhsa_float_round_mode_32 0
		.amdhsa_float_round_mode_16_64 0
		.amdhsa_float_denorm_mode_32 3
		.amdhsa_float_denorm_mode_16_64 3
		.amdhsa_dx10_clamp 1
		.amdhsa_ieee_mode 1
		.amdhsa_fp16_overflow 0
		.amdhsa_tg_split 0
		.amdhsa_exception_fp_ieee_invalid_op 0
		.amdhsa_exception_fp_denorm_src 0
		.amdhsa_exception_fp_ieee_div_zero 0
		.amdhsa_exception_fp_ieee_overflow 0
		.amdhsa_exception_fp_ieee_underflow 0
		.amdhsa_exception_fp_ieee_inexact 0
		.amdhsa_exception_int_div_zero 0
	.end_amdhsa_kernel
	.section	.text._ZN7rocprim17ROCPRIM_400000_NS6detail17trampoline_kernelINS0_14default_configENS1_25partition_config_selectorILNS1_17partition_subalgoE1EsNS0_10empty_typeEbEEZZNS1_14partition_implILS5_1ELb0ES3_jN6thrust23THRUST_200600_302600_NS6detail15normal_iteratorINSA_10device_ptrIsEEEEPS6_NSA_18transform_iteratorINSA_8identityIsEESF_NSA_11use_defaultESK_EENS0_5tupleIJSF_SF_EEENSM_IJSG_SG_EEES6_PlJS6_EEE10hipError_tPvRmT3_T4_T5_T6_T7_T9_mT8_P12ihipStream_tbDpT10_ENKUlT_T0_E_clISt17integral_constantIbLb1EES19_EEDaS14_S15_EUlS14_E_NS1_11comp_targetILNS1_3genE10ELNS1_11target_archE1200ELNS1_3gpuE4ELNS1_3repE0EEENS1_30default_config_static_selectorELNS0_4arch9wavefront6targetE1EEEvT1_,"axG",@progbits,_ZN7rocprim17ROCPRIM_400000_NS6detail17trampoline_kernelINS0_14default_configENS1_25partition_config_selectorILNS1_17partition_subalgoE1EsNS0_10empty_typeEbEEZZNS1_14partition_implILS5_1ELb0ES3_jN6thrust23THRUST_200600_302600_NS6detail15normal_iteratorINSA_10device_ptrIsEEEEPS6_NSA_18transform_iteratorINSA_8identityIsEESF_NSA_11use_defaultESK_EENS0_5tupleIJSF_SF_EEENSM_IJSG_SG_EEES6_PlJS6_EEE10hipError_tPvRmT3_T4_T5_T6_T7_T9_mT8_P12ihipStream_tbDpT10_ENKUlT_T0_E_clISt17integral_constantIbLb1EES19_EEDaS14_S15_EUlS14_E_NS1_11comp_targetILNS1_3genE10ELNS1_11target_archE1200ELNS1_3gpuE4ELNS1_3repE0EEENS1_30default_config_static_selectorELNS0_4arch9wavefront6targetE1EEEvT1_,comdat
.Lfunc_end654:
	.size	_ZN7rocprim17ROCPRIM_400000_NS6detail17trampoline_kernelINS0_14default_configENS1_25partition_config_selectorILNS1_17partition_subalgoE1EsNS0_10empty_typeEbEEZZNS1_14partition_implILS5_1ELb0ES3_jN6thrust23THRUST_200600_302600_NS6detail15normal_iteratorINSA_10device_ptrIsEEEEPS6_NSA_18transform_iteratorINSA_8identityIsEESF_NSA_11use_defaultESK_EENS0_5tupleIJSF_SF_EEENSM_IJSG_SG_EEES6_PlJS6_EEE10hipError_tPvRmT3_T4_T5_T6_T7_T9_mT8_P12ihipStream_tbDpT10_ENKUlT_T0_E_clISt17integral_constantIbLb1EES19_EEDaS14_S15_EUlS14_E_NS1_11comp_targetILNS1_3genE10ELNS1_11target_archE1200ELNS1_3gpuE4ELNS1_3repE0EEENS1_30default_config_static_selectorELNS0_4arch9wavefront6targetE1EEEvT1_, .Lfunc_end654-_ZN7rocprim17ROCPRIM_400000_NS6detail17trampoline_kernelINS0_14default_configENS1_25partition_config_selectorILNS1_17partition_subalgoE1EsNS0_10empty_typeEbEEZZNS1_14partition_implILS5_1ELb0ES3_jN6thrust23THRUST_200600_302600_NS6detail15normal_iteratorINSA_10device_ptrIsEEEEPS6_NSA_18transform_iteratorINSA_8identityIsEESF_NSA_11use_defaultESK_EENS0_5tupleIJSF_SF_EEENSM_IJSG_SG_EEES6_PlJS6_EEE10hipError_tPvRmT3_T4_T5_T6_T7_T9_mT8_P12ihipStream_tbDpT10_ENKUlT_T0_E_clISt17integral_constantIbLb1EES19_EEDaS14_S15_EUlS14_E_NS1_11comp_targetILNS1_3genE10ELNS1_11target_archE1200ELNS1_3gpuE4ELNS1_3repE0EEENS1_30default_config_static_selectorELNS0_4arch9wavefront6targetE1EEEvT1_
                                        ; -- End function
	.section	.AMDGPU.csdata,"",@progbits
; Kernel info:
; codeLenInByte = 0
; NumSgprs: 6
; NumVgprs: 0
; NumAgprs: 0
; TotalNumVgprs: 0
; ScratchSize: 0
; MemoryBound: 0
; FloatMode: 240
; IeeeMode: 1
; LDSByteSize: 0 bytes/workgroup (compile time only)
; SGPRBlocks: 0
; VGPRBlocks: 0
; NumSGPRsForWavesPerEU: 6
; NumVGPRsForWavesPerEU: 1
; AccumOffset: 4
; Occupancy: 8
; WaveLimiterHint : 0
; COMPUTE_PGM_RSRC2:SCRATCH_EN: 0
; COMPUTE_PGM_RSRC2:USER_SGPR: 2
; COMPUTE_PGM_RSRC2:TRAP_HANDLER: 0
; COMPUTE_PGM_RSRC2:TGID_X_EN: 1
; COMPUTE_PGM_RSRC2:TGID_Y_EN: 0
; COMPUTE_PGM_RSRC2:TGID_Z_EN: 0
; COMPUTE_PGM_RSRC2:TIDIG_COMP_CNT: 0
; COMPUTE_PGM_RSRC3_GFX90A:ACCUM_OFFSET: 0
; COMPUTE_PGM_RSRC3_GFX90A:TG_SPLIT: 0
	.section	.text._ZN7rocprim17ROCPRIM_400000_NS6detail17trampoline_kernelINS0_14default_configENS1_25partition_config_selectorILNS1_17partition_subalgoE1EsNS0_10empty_typeEbEEZZNS1_14partition_implILS5_1ELb0ES3_jN6thrust23THRUST_200600_302600_NS6detail15normal_iteratorINSA_10device_ptrIsEEEEPS6_NSA_18transform_iteratorINSA_8identityIsEESF_NSA_11use_defaultESK_EENS0_5tupleIJSF_SF_EEENSM_IJSG_SG_EEES6_PlJS6_EEE10hipError_tPvRmT3_T4_T5_T6_T7_T9_mT8_P12ihipStream_tbDpT10_ENKUlT_T0_E_clISt17integral_constantIbLb1EES19_EEDaS14_S15_EUlS14_E_NS1_11comp_targetILNS1_3genE9ELNS1_11target_archE1100ELNS1_3gpuE3ELNS1_3repE0EEENS1_30default_config_static_selectorELNS0_4arch9wavefront6targetE1EEEvT1_,"axG",@progbits,_ZN7rocprim17ROCPRIM_400000_NS6detail17trampoline_kernelINS0_14default_configENS1_25partition_config_selectorILNS1_17partition_subalgoE1EsNS0_10empty_typeEbEEZZNS1_14partition_implILS5_1ELb0ES3_jN6thrust23THRUST_200600_302600_NS6detail15normal_iteratorINSA_10device_ptrIsEEEEPS6_NSA_18transform_iteratorINSA_8identityIsEESF_NSA_11use_defaultESK_EENS0_5tupleIJSF_SF_EEENSM_IJSG_SG_EEES6_PlJS6_EEE10hipError_tPvRmT3_T4_T5_T6_T7_T9_mT8_P12ihipStream_tbDpT10_ENKUlT_T0_E_clISt17integral_constantIbLb1EES19_EEDaS14_S15_EUlS14_E_NS1_11comp_targetILNS1_3genE9ELNS1_11target_archE1100ELNS1_3gpuE3ELNS1_3repE0EEENS1_30default_config_static_selectorELNS0_4arch9wavefront6targetE1EEEvT1_,comdat
	.protected	_ZN7rocprim17ROCPRIM_400000_NS6detail17trampoline_kernelINS0_14default_configENS1_25partition_config_selectorILNS1_17partition_subalgoE1EsNS0_10empty_typeEbEEZZNS1_14partition_implILS5_1ELb0ES3_jN6thrust23THRUST_200600_302600_NS6detail15normal_iteratorINSA_10device_ptrIsEEEEPS6_NSA_18transform_iteratorINSA_8identityIsEESF_NSA_11use_defaultESK_EENS0_5tupleIJSF_SF_EEENSM_IJSG_SG_EEES6_PlJS6_EEE10hipError_tPvRmT3_T4_T5_T6_T7_T9_mT8_P12ihipStream_tbDpT10_ENKUlT_T0_E_clISt17integral_constantIbLb1EES19_EEDaS14_S15_EUlS14_E_NS1_11comp_targetILNS1_3genE9ELNS1_11target_archE1100ELNS1_3gpuE3ELNS1_3repE0EEENS1_30default_config_static_selectorELNS0_4arch9wavefront6targetE1EEEvT1_ ; -- Begin function _ZN7rocprim17ROCPRIM_400000_NS6detail17trampoline_kernelINS0_14default_configENS1_25partition_config_selectorILNS1_17partition_subalgoE1EsNS0_10empty_typeEbEEZZNS1_14partition_implILS5_1ELb0ES3_jN6thrust23THRUST_200600_302600_NS6detail15normal_iteratorINSA_10device_ptrIsEEEEPS6_NSA_18transform_iteratorINSA_8identityIsEESF_NSA_11use_defaultESK_EENS0_5tupleIJSF_SF_EEENSM_IJSG_SG_EEES6_PlJS6_EEE10hipError_tPvRmT3_T4_T5_T6_T7_T9_mT8_P12ihipStream_tbDpT10_ENKUlT_T0_E_clISt17integral_constantIbLb1EES19_EEDaS14_S15_EUlS14_E_NS1_11comp_targetILNS1_3genE9ELNS1_11target_archE1100ELNS1_3gpuE3ELNS1_3repE0EEENS1_30default_config_static_selectorELNS0_4arch9wavefront6targetE1EEEvT1_
	.globl	_ZN7rocprim17ROCPRIM_400000_NS6detail17trampoline_kernelINS0_14default_configENS1_25partition_config_selectorILNS1_17partition_subalgoE1EsNS0_10empty_typeEbEEZZNS1_14partition_implILS5_1ELb0ES3_jN6thrust23THRUST_200600_302600_NS6detail15normal_iteratorINSA_10device_ptrIsEEEEPS6_NSA_18transform_iteratorINSA_8identityIsEESF_NSA_11use_defaultESK_EENS0_5tupleIJSF_SF_EEENSM_IJSG_SG_EEES6_PlJS6_EEE10hipError_tPvRmT3_T4_T5_T6_T7_T9_mT8_P12ihipStream_tbDpT10_ENKUlT_T0_E_clISt17integral_constantIbLb1EES19_EEDaS14_S15_EUlS14_E_NS1_11comp_targetILNS1_3genE9ELNS1_11target_archE1100ELNS1_3gpuE3ELNS1_3repE0EEENS1_30default_config_static_selectorELNS0_4arch9wavefront6targetE1EEEvT1_
	.p2align	8
	.type	_ZN7rocprim17ROCPRIM_400000_NS6detail17trampoline_kernelINS0_14default_configENS1_25partition_config_selectorILNS1_17partition_subalgoE1EsNS0_10empty_typeEbEEZZNS1_14partition_implILS5_1ELb0ES3_jN6thrust23THRUST_200600_302600_NS6detail15normal_iteratorINSA_10device_ptrIsEEEEPS6_NSA_18transform_iteratorINSA_8identityIsEESF_NSA_11use_defaultESK_EENS0_5tupleIJSF_SF_EEENSM_IJSG_SG_EEES6_PlJS6_EEE10hipError_tPvRmT3_T4_T5_T6_T7_T9_mT8_P12ihipStream_tbDpT10_ENKUlT_T0_E_clISt17integral_constantIbLb1EES19_EEDaS14_S15_EUlS14_E_NS1_11comp_targetILNS1_3genE9ELNS1_11target_archE1100ELNS1_3gpuE3ELNS1_3repE0EEENS1_30default_config_static_selectorELNS0_4arch9wavefront6targetE1EEEvT1_,@function
_ZN7rocprim17ROCPRIM_400000_NS6detail17trampoline_kernelINS0_14default_configENS1_25partition_config_selectorILNS1_17partition_subalgoE1EsNS0_10empty_typeEbEEZZNS1_14partition_implILS5_1ELb0ES3_jN6thrust23THRUST_200600_302600_NS6detail15normal_iteratorINSA_10device_ptrIsEEEEPS6_NSA_18transform_iteratorINSA_8identityIsEESF_NSA_11use_defaultESK_EENS0_5tupleIJSF_SF_EEENSM_IJSG_SG_EEES6_PlJS6_EEE10hipError_tPvRmT3_T4_T5_T6_T7_T9_mT8_P12ihipStream_tbDpT10_ENKUlT_T0_E_clISt17integral_constantIbLb1EES19_EEDaS14_S15_EUlS14_E_NS1_11comp_targetILNS1_3genE9ELNS1_11target_archE1100ELNS1_3gpuE3ELNS1_3repE0EEENS1_30default_config_static_selectorELNS0_4arch9wavefront6targetE1EEEvT1_: ; @_ZN7rocprim17ROCPRIM_400000_NS6detail17trampoline_kernelINS0_14default_configENS1_25partition_config_selectorILNS1_17partition_subalgoE1EsNS0_10empty_typeEbEEZZNS1_14partition_implILS5_1ELb0ES3_jN6thrust23THRUST_200600_302600_NS6detail15normal_iteratorINSA_10device_ptrIsEEEEPS6_NSA_18transform_iteratorINSA_8identityIsEESF_NSA_11use_defaultESK_EENS0_5tupleIJSF_SF_EEENSM_IJSG_SG_EEES6_PlJS6_EEE10hipError_tPvRmT3_T4_T5_T6_T7_T9_mT8_P12ihipStream_tbDpT10_ENKUlT_T0_E_clISt17integral_constantIbLb1EES19_EEDaS14_S15_EUlS14_E_NS1_11comp_targetILNS1_3genE9ELNS1_11target_archE1100ELNS1_3gpuE3ELNS1_3repE0EEENS1_30default_config_static_selectorELNS0_4arch9wavefront6targetE1EEEvT1_
; %bb.0:
	.section	.rodata,"a",@progbits
	.p2align	6, 0x0
	.amdhsa_kernel _ZN7rocprim17ROCPRIM_400000_NS6detail17trampoline_kernelINS0_14default_configENS1_25partition_config_selectorILNS1_17partition_subalgoE1EsNS0_10empty_typeEbEEZZNS1_14partition_implILS5_1ELb0ES3_jN6thrust23THRUST_200600_302600_NS6detail15normal_iteratorINSA_10device_ptrIsEEEEPS6_NSA_18transform_iteratorINSA_8identityIsEESF_NSA_11use_defaultESK_EENS0_5tupleIJSF_SF_EEENSM_IJSG_SG_EEES6_PlJS6_EEE10hipError_tPvRmT3_T4_T5_T6_T7_T9_mT8_P12ihipStream_tbDpT10_ENKUlT_T0_E_clISt17integral_constantIbLb1EES19_EEDaS14_S15_EUlS14_E_NS1_11comp_targetILNS1_3genE9ELNS1_11target_archE1100ELNS1_3gpuE3ELNS1_3repE0EEENS1_30default_config_static_selectorELNS0_4arch9wavefront6targetE1EEEvT1_
		.amdhsa_group_segment_fixed_size 0
		.amdhsa_private_segment_fixed_size 0
		.amdhsa_kernarg_size 144
		.amdhsa_user_sgpr_count 2
		.amdhsa_user_sgpr_dispatch_ptr 0
		.amdhsa_user_sgpr_queue_ptr 0
		.amdhsa_user_sgpr_kernarg_segment_ptr 1
		.amdhsa_user_sgpr_dispatch_id 0
		.amdhsa_user_sgpr_kernarg_preload_length 0
		.amdhsa_user_sgpr_kernarg_preload_offset 0
		.amdhsa_user_sgpr_private_segment_size 0
		.amdhsa_uses_dynamic_stack 0
		.amdhsa_enable_private_segment 0
		.amdhsa_system_sgpr_workgroup_id_x 1
		.amdhsa_system_sgpr_workgroup_id_y 0
		.amdhsa_system_sgpr_workgroup_id_z 0
		.amdhsa_system_sgpr_workgroup_info 0
		.amdhsa_system_vgpr_workitem_id 0
		.amdhsa_next_free_vgpr 1
		.amdhsa_next_free_sgpr 0
		.amdhsa_accum_offset 4
		.amdhsa_reserve_vcc 0
		.amdhsa_float_round_mode_32 0
		.amdhsa_float_round_mode_16_64 0
		.amdhsa_float_denorm_mode_32 3
		.amdhsa_float_denorm_mode_16_64 3
		.amdhsa_dx10_clamp 1
		.amdhsa_ieee_mode 1
		.amdhsa_fp16_overflow 0
		.amdhsa_tg_split 0
		.amdhsa_exception_fp_ieee_invalid_op 0
		.amdhsa_exception_fp_denorm_src 0
		.amdhsa_exception_fp_ieee_div_zero 0
		.amdhsa_exception_fp_ieee_overflow 0
		.amdhsa_exception_fp_ieee_underflow 0
		.amdhsa_exception_fp_ieee_inexact 0
		.amdhsa_exception_int_div_zero 0
	.end_amdhsa_kernel
	.section	.text._ZN7rocprim17ROCPRIM_400000_NS6detail17trampoline_kernelINS0_14default_configENS1_25partition_config_selectorILNS1_17partition_subalgoE1EsNS0_10empty_typeEbEEZZNS1_14partition_implILS5_1ELb0ES3_jN6thrust23THRUST_200600_302600_NS6detail15normal_iteratorINSA_10device_ptrIsEEEEPS6_NSA_18transform_iteratorINSA_8identityIsEESF_NSA_11use_defaultESK_EENS0_5tupleIJSF_SF_EEENSM_IJSG_SG_EEES6_PlJS6_EEE10hipError_tPvRmT3_T4_T5_T6_T7_T9_mT8_P12ihipStream_tbDpT10_ENKUlT_T0_E_clISt17integral_constantIbLb1EES19_EEDaS14_S15_EUlS14_E_NS1_11comp_targetILNS1_3genE9ELNS1_11target_archE1100ELNS1_3gpuE3ELNS1_3repE0EEENS1_30default_config_static_selectorELNS0_4arch9wavefront6targetE1EEEvT1_,"axG",@progbits,_ZN7rocprim17ROCPRIM_400000_NS6detail17trampoline_kernelINS0_14default_configENS1_25partition_config_selectorILNS1_17partition_subalgoE1EsNS0_10empty_typeEbEEZZNS1_14partition_implILS5_1ELb0ES3_jN6thrust23THRUST_200600_302600_NS6detail15normal_iteratorINSA_10device_ptrIsEEEEPS6_NSA_18transform_iteratorINSA_8identityIsEESF_NSA_11use_defaultESK_EENS0_5tupleIJSF_SF_EEENSM_IJSG_SG_EEES6_PlJS6_EEE10hipError_tPvRmT3_T4_T5_T6_T7_T9_mT8_P12ihipStream_tbDpT10_ENKUlT_T0_E_clISt17integral_constantIbLb1EES19_EEDaS14_S15_EUlS14_E_NS1_11comp_targetILNS1_3genE9ELNS1_11target_archE1100ELNS1_3gpuE3ELNS1_3repE0EEENS1_30default_config_static_selectorELNS0_4arch9wavefront6targetE1EEEvT1_,comdat
.Lfunc_end655:
	.size	_ZN7rocprim17ROCPRIM_400000_NS6detail17trampoline_kernelINS0_14default_configENS1_25partition_config_selectorILNS1_17partition_subalgoE1EsNS0_10empty_typeEbEEZZNS1_14partition_implILS5_1ELb0ES3_jN6thrust23THRUST_200600_302600_NS6detail15normal_iteratorINSA_10device_ptrIsEEEEPS6_NSA_18transform_iteratorINSA_8identityIsEESF_NSA_11use_defaultESK_EENS0_5tupleIJSF_SF_EEENSM_IJSG_SG_EEES6_PlJS6_EEE10hipError_tPvRmT3_T4_T5_T6_T7_T9_mT8_P12ihipStream_tbDpT10_ENKUlT_T0_E_clISt17integral_constantIbLb1EES19_EEDaS14_S15_EUlS14_E_NS1_11comp_targetILNS1_3genE9ELNS1_11target_archE1100ELNS1_3gpuE3ELNS1_3repE0EEENS1_30default_config_static_selectorELNS0_4arch9wavefront6targetE1EEEvT1_, .Lfunc_end655-_ZN7rocprim17ROCPRIM_400000_NS6detail17trampoline_kernelINS0_14default_configENS1_25partition_config_selectorILNS1_17partition_subalgoE1EsNS0_10empty_typeEbEEZZNS1_14partition_implILS5_1ELb0ES3_jN6thrust23THRUST_200600_302600_NS6detail15normal_iteratorINSA_10device_ptrIsEEEEPS6_NSA_18transform_iteratorINSA_8identityIsEESF_NSA_11use_defaultESK_EENS0_5tupleIJSF_SF_EEENSM_IJSG_SG_EEES6_PlJS6_EEE10hipError_tPvRmT3_T4_T5_T6_T7_T9_mT8_P12ihipStream_tbDpT10_ENKUlT_T0_E_clISt17integral_constantIbLb1EES19_EEDaS14_S15_EUlS14_E_NS1_11comp_targetILNS1_3genE9ELNS1_11target_archE1100ELNS1_3gpuE3ELNS1_3repE0EEENS1_30default_config_static_selectorELNS0_4arch9wavefront6targetE1EEEvT1_
                                        ; -- End function
	.section	.AMDGPU.csdata,"",@progbits
; Kernel info:
; codeLenInByte = 0
; NumSgprs: 6
; NumVgprs: 0
; NumAgprs: 0
; TotalNumVgprs: 0
; ScratchSize: 0
; MemoryBound: 0
; FloatMode: 240
; IeeeMode: 1
; LDSByteSize: 0 bytes/workgroup (compile time only)
; SGPRBlocks: 0
; VGPRBlocks: 0
; NumSGPRsForWavesPerEU: 6
; NumVGPRsForWavesPerEU: 1
; AccumOffset: 4
; Occupancy: 8
; WaveLimiterHint : 0
; COMPUTE_PGM_RSRC2:SCRATCH_EN: 0
; COMPUTE_PGM_RSRC2:USER_SGPR: 2
; COMPUTE_PGM_RSRC2:TRAP_HANDLER: 0
; COMPUTE_PGM_RSRC2:TGID_X_EN: 1
; COMPUTE_PGM_RSRC2:TGID_Y_EN: 0
; COMPUTE_PGM_RSRC2:TGID_Z_EN: 0
; COMPUTE_PGM_RSRC2:TIDIG_COMP_CNT: 0
; COMPUTE_PGM_RSRC3_GFX90A:ACCUM_OFFSET: 0
; COMPUTE_PGM_RSRC3_GFX90A:TG_SPLIT: 0
	.section	.text._ZN7rocprim17ROCPRIM_400000_NS6detail17trampoline_kernelINS0_14default_configENS1_25partition_config_selectorILNS1_17partition_subalgoE1EsNS0_10empty_typeEbEEZZNS1_14partition_implILS5_1ELb0ES3_jN6thrust23THRUST_200600_302600_NS6detail15normal_iteratorINSA_10device_ptrIsEEEEPS6_NSA_18transform_iteratorINSA_8identityIsEESF_NSA_11use_defaultESK_EENS0_5tupleIJSF_SF_EEENSM_IJSG_SG_EEES6_PlJS6_EEE10hipError_tPvRmT3_T4_T5_T6_T7_T9_mT8_P12ihipStream_tbDpT10_ENKUlT_T0_E_clISt17integral_constantIbLb1EES19_EEDaS14_S15_EUlS14_E_NS1_11comp_targetILNS1_3genE8ELNS1_11target_archE1030ELNS1_3gpuE2ELNS1_3repE0EEENS1_30default_config_static_selectorELNS0_4arch9wavefront6targetE1EEEvT1_,"axG",@progbits,_ZN7rocprim17ROCPRIM_400000_NS6detail17trampoline_kernelINS0_14default_configENS1_25partition_config_selectorILNS1_17partition_subalgoE1EsNS0_10empty_typeEbEEZZNS1_14partition_implILS5_1ELb0ES3_jN6thrust23THRUST_200600_302600_NS6detail15normal_iteratorINSA_10device_ptrIsEEEEPS6_NSA_18transform_iteratorINSA_8identityIsEESF_NSA_11use_defaultESK_EENS0_5tupleIJSF_SF_EEENSM_IJSG_SG_EEES6_PlJS6_EEE10hipError_tPvRmT3_T4_T5_T6_T7_T9_mT8_P12ihipStream_tbDpT10_ENKUlT_T0_E_clISt17integral_constantIbLb1EES19_EEDaS14_S15_EUlS14_E_NS1_11comp_targetILNS1_3genE8ELNS1_11target_archE1030ELNS1_3gpuE2ELNS1_3repE0EEENS1_30default_config_static_selectorELNS0_4arch9wavefront6targetE1EEEvT1_,comdat
	.protected	_ZN7rocprim17ROCPRIM_400000_NS6detail17trampoline_kernelINS0_14default_configENS1_25partition_config_selectorILNS1_17partition_subalgoE1EsNS0_10empty_typeEbEEZZNS1_14partition_implILS5_1ELb0ES3_jN6thrust23THRUST_200600_302600_NS6detail15normal_iteratorINSA_10device_ptrIsEEEEPS6_NSA_18transform_iteratorINSA_8identityIsEESF_NSA_11use_defaultESK_EENS0_5tupleIJSF_SF_EEENSM_IJSG_SG_EEES6_PlJS6_EEE10hipError_tPvRmT3_T4_T5_T6_T7_T9_mT8_P12ihipStream_tbDpT10_ENKUlT_T0_E_clISt17integral_constantIbLb1EES19_EEDaS14_S15_EUlS14_E_NS1_11comp_targetILNS1_3genE8ELNS1_11target_archE1030ELNS1_3gpuE2ELNS1_3repE0EEENS1_30default_config_static_selectorELNS0_4arch9wavefront6targetE1EEEvT1_ ; -- Begin function _ZN7rocprim17ROCPRIM_400000_NS6detail17trampoline_kernelINS0_14default_configENS1_25partition_config_selectorILNS1_17partition_subalgoE1EsNS0_10empty_typeEbEEZZNS1_14partition_implILS5_1ELb0ES3_jN6thrust23THRUST_200600_302600_NS6detail15normal_iteratorINSA_10device_ptrIsEEEEPS6_NSA_18transform_iteratorINSA_8identityIsEESF_NSA_11use_defaultESK_EENS0_5tupleIJSF_SF_EEENSM_IJSG_SG_EEES6_PlJS6_EEE10hipError_tPvRmT3_T4_T5_T6_T7_T9_mT8_P12ihipStream_tbDpT10_ENKUlT_T0_E_clISt17integral_constantIbLb1EES19_EEDaS14_S15_EUlS14_E_NS1_11comp_targetILNS1_3genE8ELNS1_11target_archE1030ELNS1_3gpuE2ELNS1_3repE0EEENS1_30default_config_static_selectorELNS0_4arch9wavefront6targetE1EEEvT1_
	.globl	_ZN7rocprim17ROCPRIM_400000_NS6detail17trampoline_kernelINS0_14default_configENS1_25partition_config_selectorILNS1_17partition_subalgoE1EsNS0_10empty_typeEbEEZZNS1_14partition_implILS5_1ELb0ES3_jN6thrust23THRUST_200600_302600_NS6detail15normal_iteratorINSA_10device_ptrIsEEEEPS6_NSA_18transform_iteratorINSA_8identityIsEESF_NSA_11use_defaultESK_EENS0_5tupleIJSF_SF_EEENSM_IJSG_SG_EEES6_PlJS6_EEE10hipError_tPvRmT3_T4_T5_T6_T7_T9_mT8_P12ihipStream_tbDpT10_ENKUlT_T0_E_clISt17integral_constantIbLb1EES19_EEDaS14_S15_EUlS14_E_NS1_11comp_targetILNS1_3genE8ELNS1_11target_archE1030ELNS1_3gpuE2ELNS1_3repE0EEENS1_30default_config_static_selectorELNS0_4arch9wavefront6targetE1EEEvT1_
	.p2align	8
	.type	_ZN7rocprim17ROCPRIM_400000_NS6detail17trampoline_kernelINS0_14default_configENS1_25partition_config_selectorILNS1_17partition_subalgoE1EsNS0_10empty_typeEbEEZZNS1_14partition_implILS5_1ELb0ES3_jN6thrust23THRUST_200600_302600_NS6detail15normal_iteratorINSA_10device_ptrIsEEEEPS6_NSA_18transform_iteratorINSA_8identityIsEESF_NSA_11use_defaultESK_EENS0_5tupleIJSF_SF_EEENSM_IJSG_SG_EEES6_PlJS6_EEE10hipError_tPvRmT3_T4_T5_T6_T7_T9_mT8_P12ihipStream_tbDpT10_ENKUlT_T0_E_clISt17integral_constantIbLb1EES19_EEDaS14_S15_EUlS14_E_NS1_11comp_targetILNS1_3genE8ELNS1_11target_archE1030ELNS1_3gpuE2ELNS1_3repE0EEENS1_30default_config_static_selectorELNS0_4arch9wavefront6targetE1EEEvT1_,@function
_ZN7rocprim17ROCPRIM_400000_NS6detail17trampoline_kernelINS0_14default_configENS1_25partition_config_selectorILNS1_17partition_subalgoE1EsNS0_10empty_typeEbEEZZNS1_14partition_implILS5_1ELb0ES3_jN6thrust23THRUST_200600_302600_NS6detail15normal_iteratorINSA_10device_ptrIsEEEEPS6_NSA_18transform_iteratorINSA_8identityIsEESF_NSA_11use_defaultESK_EENS0_5tupleIJSF_SF_EEENSM_IJSG_SG_EEES6_PlJS6_EEE10hipError_tPvRmT3_T4_T5_T6_T7_T9_mT8_P12ihipStream_tbDpT10_ENKUlT_T0_E_clISt17integral_constantIbLb1EES19_EEDaS14_S15_EUlS14_E_NS1_11comp_targetILNS1_3genE8ELNS1_11target_archE1030ELNS1_3gpuE2ELNS1_3repE0EEENS1_30default_config_static_selectorELNS0_4arch9wavefront6targetE1EEEvT1_: ; @_ZN7rocprim17ROCPRIM_400000_NS6detail17trampoline_kernelINS0_14default_configENS1_25partition_config_selectorILNS1_17partition_subalgoE1EsNS0_10empty_typeEbEEZZNS1_14partition_implILS5_1ELb0ES3_jN6thrust23THRUST_200600_302600_NS6detail15normal_iteratorINSA_10device_ptrIsEEEEPS6_NSA_18transform_iteratorINSA_8identityIsEESF_NSA_11use_defaultESK_EENS0_5tupleIJSF_SF_EEENSM_IJSG_SG_EEES6_PlJS6_EEE10hipError_tPvRmT3_T4_T5_T6_T7_T9_mT8_P12ihipStream_tbDpT10_ENKUlT_T0_E_clISt17integral_constantIbLb1EES19_EEDaS14_S15_EUlS14_E_NS1_11comp_targetILNS1_3genE8ELNS1_11target_archE1030ELNS1_3gpuE2ELNS1_3repE0EEENS1_30default_config_static_selectorELNS0_4arch9wavefront6targetE1EEEvT1_
; %bb.0:
	.section	.rodata,"a",@progbits
	.p2align	6, 0x0
	.amdhsa_kernel _ZN7rocprim17ROCPRIM_400000_NS6detail17trampoline_kernelINS0_14default_configENS1_25partition_config_selectorILNS1_17partition_subalgoE1EsNS0_10empty_typeEbEEZZNS1_14partition_implILS5_1ELb0ES3_jN6thrust23THRUST_200600_302600_NS6detail15normal_iteratorINSA_10device_ptrIsEEEEPS6_NSA_18transform_iteratorINSA_8identityIsEESF_NSA_11use_defaultESK_EENS0_5tupleIJSF_SF_EEENSM_IJSG_SG_EEES6_PlJS6_EEE10hipError_tPvRmT3_T4_T5_T6_T7_T9_mT8_P12ihipStream_tbDpT10_ENKUlT_T0_E_clISt17integral_constantIbLb1EES19_EEDaS14_S15_EUlS14_E_NS1_11comp_targetILNS1_3genE8ELNS1_11target_archE1030ELNS1_3gpuE2ELNS1_3repE0EEENS1_30default_config_static_selectorELNS0_4arch9wavefront6targetE1EEEvT1_
		.amdhsa_group_segment_fixed_size 0
		.amdhsa_private_segment_fixed_size 0
		.amdhsa_kernarg_size 144
		.amdhsa_user_sgpr_count 2
		.amdhsa_user_sgpr_dispatch_ptr 0
		.amdhsa_user_sgpr_queue_ptr 0
		.amdhsa_user_sgpr_kernarg_segment_ptr 1
		.amdhsa_user_sgpr_dispatch_id 0
		.amdhsa_user_sgpr_kernarg_preload_length 0
		.amdhsa_user_sgpr_kernarg_preload_offset 0
		.amdhsa_user_sgpr_private_segment_size 0
		.amdhsa_uses_dynamic_stack 0
		.amdhsa_enable_private_segment 0
		.amdhsa_system_sgpr_workgroup_id_x 1
		.amdhsa_system_sgpr_workgroup_id_y 0
		.amdhsa_system_sgpr_workgroup_id_z 0
		.amdhsa_system_sgpr_workgroup_info 0
		.amdhsa_system_vgpr_workitem_id 0
		.amdhsa_next_free_vgpr 1
		.amdhsa_next_free_sgpr 0
		.amdhsa_accum_offset 4
		.amdhsa_reserve_vcc 0
		.amdhsa_float_round_mode_32 0
		.amdhsa_float_round_mode_16_64 0
		.amdhsa_float_denorm_mode_32 3
		.amdhsa_float_denorm_mode_16_64 3
		.amdhsa_dx10_clamp 1
		.amdhsa_ieee_mode 1
		.amdhsa_fp16_overflow 0
		.amdhsa_tg_split 0
		.amdhsa_exception_fp_ieee_invalid_op 0
		.amdhsa_exception_fp_denorm_src 0
		.amdhsa_exception_fp_ieee_div_zero 0
		.amdhsa_exception_fp_ieee_overflow 0
		.amdhsa_exception_fp_ieee_underflow 0
		.amdhsa_exception_fp_ieee_inexact 0
		.amdhsa_exception_int_div_zero 0
	.end_amdhsa_kernel
	.section	.text._ZN7rocprim17ROCPRIM_400000_NS6detail17trampoline_kernelINS0_14default_configENS1_25partition_config_selectorILNS1_17partition_subalgoE1EsNS0_10empty_typeEbEEZZNS1_14partition_implILS5_1ELb0ES3_jN6thrust23THRUST_200600_302600_NS6detail15normal_iteratorINSA_10device_ptrIsEEEEPS6_NSA_18transform_iteratorINSA_8identityIsEESF_NSA_11use_defaultESK_EENS0_5tupleIJSF_SF_EEENSM_IJSG_SG_EEES6_PlJS6_EEE10hipError_tPvRmT3_T4_T5_T6_T7_T9_mT8_P12ihipStream_tbDpT10_ENKUlT_T0_E_clISt17integral_constantIbLb1EES19_EEDaS14_S15_EUlS14_E_NS1_11comp_targetILNS1_3genE8ELNS1_11target_archE1030ELNS1_3gpuE2ELNS1_3repE0EEENS1_30default_config_static_selectorELNS0_4arch9wavefront6targetE1EEEvT1_,"axG",@progbits,_ZN7rocprim17ROCPRIM_400000_NS6detail17trampoline_kernelINS0_14default_configENS1_25partition_config_selectorILNS1_17partition_subalgoE1EsNS0_10empty_typeEbEEZZNS1_14partition_implILS5_1ELb0ES3_jN6thrust23THRUST_200600_302600_NS6detail15normal_iteratorINSA_10device_ptrIsEEEEPS6_NSA_18transform_iteratorINSA_8identityIsEESF_NSA_11use_defaultESK_EENS0_5tupleIJSF_SF_EEENSM_IJSG_SG_EEES6_PlJS6_EEE10hipError_tPvRmT3_T4_T5_T6_T7_T9_mT8_P12ihipStream_tbDpT10_ENKUlT_T0_E_clISt17integral_constantIbLb1EES19_EEDaS14_S15_EUlS14_E_NS1_11comp_targetILNS1_3genE8ELNS1_11target_archE1030ELNS1_3gpuE2ELNS1_3repE0EEENS1_30default_config_static_selectorELNS0_4arch9wavefront6targetE1EEEvT1_,comdat
.Lfunc_end656:
	.size	_ZN7rocprim17ROCPRIM_400000_NS6detail17trampoline_kernelINS0_14default_configENS1_25partition_config_selectorILNS1_17partition_subalgoE1EsNS0_10empty_typeEbEEZZNS1_14partition_implILS5_1ELb0ES3_jN6thrust23THRUST_200600_302600_NS6detail15normal_iteratorINSA_10device_ptrIsEEEEPS6_NSA_18transform_iteratorINSA_8identityIsEESF_NSA_11use_defaultESK_EENS0_5tupleIJSF_SF_EEENSM_IJSG_SG_EEES6_PlJS6_EEE10hipError_tPvRmT3_T4_T5_T6_T7_T9_mT8_P12ihipStream_tbDpT10_ENKUlT_T0_E_clISt17integral_constantIbLb1EES19_EEDaS14_S15_EUlS14_E_NS1_11comp_targetILNS1_3genE8ELNS1_11target_archE1030ELNS1_3gpuE2ELNS1_3repE0EEENS1_30default_config_static_selectorELNS0_4arch9wavefront6targetE1EEEvT1_, .Lfunc_end656-_ZN7rocprim17ROCPRIM_400000_NS6detail17trampoline_kernelINS0_14default_configENS1_25partition_config_selectorILNS1_17partition_subalgoE1EsNS0_10empty_typeEbEEZZNS1_14partition_implILS5_1ELb0ES3_jN6thrust23THRUST_200600_302600_NS6detail15normal_iteratorINSA_10device_ptrIsEEEEPS6_NSA_18transform_iteratorINSA_8identityIsEESF_NSA_11use_defaultESK_EENS0_5tupleIJSF_SF_EEENSM_IJSG_SG_EEES6_PlJS6_EEE10hipError_tPvRmT3_T4_T5_T6_T7_T9_mT8_P12ihipStream_tbDpT10_ENKUlT_T0_E_clISt17integral_constantIbLb1EES19_EEDaS14_S15_EUlS14_E_NS1_11comp_targetILNS1_3genE8ELNS1_11target_archE1030ELNS1_3gpuE2ELNS1_3repE0EEENS1_30default_config_static_selectorELNS0_4arch9wavefront6targetE1EEEvT1_
                                        ; -- End function
	.section	.AMDGPU.csdata,"",@progbits
; Kernel info:
; codeLenInByte = 0
; NumSgprs: 6
; NumVgprs: 0
; NumAgprs: 0
; TotalNumVgprs: 0
; ScratchSize: 0
; MemoryBound: 0
; FloatMode: 240
; IeeeMode: 1
; LDSByteSize: 0 bytes/workgroup (compile time only)
; SGPRBlocks: 0
; VGPRBlocks: 0
; NumSGPRsForWavesPerEU: 6
; NumVGPRsForWavesPerEU: 1
; AccumOffset: 4
; Occupancy: 8
; WaveLimiterHint : 0
; COMPUTE_PGM_RSRC2:SCRATCH_EN: 0
; COMPUTE_PGM_RSRC2:USER_SGPR: 2
; COMPUTE_PGM_RSRC2:TRAP_HANDLER: 0
; COMPUTE_PGM_RSRC2:TGID_X_EN: 1
; COMPUTE_PGM_RSRC2:TGID_Y_EN: 0
; COMPUTE_PGM_RSRC2:TGID_Z_EN: 0
; COMPUTE_PGM_RSRC2:TIDIG_COMP_CNT: 0
; COMPUTE_PGM_RSRC3_GFX90A:ACCUM_OFFSET: 0
; COMPUTE_PGM_RSRC3_GFX90A:TG_SPLIT: 0
	.section	.text._ZN7rocprim17ROCPRIM_400000_NS6detail17trampoline_kernelINS0_14default_configENS1_25partition_config_selectorILNS1_17partition_subalgoE1EsNS0_10empty_typeEbEEZZNS1_14partition_implILS5_1ELb0ES3_jN6thrust23THRUST_200600_302600_NS6detail15normal_iteratorINSA_10device_ptrIsEEEEPS6_NSA_18transform_iteratorINSA_8identityIsEESF_NSA_11use_defaultESK_EENS0_5tupleIJSF_SF_EEENSM_IJSG_SG_EEES6_PlJS6_EEE10hipError_tPvRmT3_T4_T5_T6_T7_T9_mT8_P12ihipStream_tbDpT10_ENKUlT_T0_E_clISt17integral_constantIbLb1EES18_IbLb0EEEEDaS14_S15_EUlS14_E_NS1_11comp_targetILNS1_3genE0ELNS1_11target_archE4294967295ELNS1_3gpuE0ELNS1_3repE0EEENS1_30default_config_static_selectorELNS0_4arch9wavefront6targetE1EEEvT1_,"axG",@progbits,_ZN7rocprim17ROCPRIM_400000_NS6detail17trampoline_kernelINS0_14default_configENS1_25partition_config_selectorILNS1_17partition_subalgoE1EsNS0_10empty_typeEbEEZZNS1_14partition_implILS5_1ELb0ES3_jN6thrust23THRUST_200600_302600_NS6detail15normal_iteratorINSA_10device_ptrIsEEEEPS6_NSA_18transform_iteratorINSA_8identityIsEESF_NSA_11use_defaultESK_EENS0_5tupleIJSF_SF_EEENSM_IJSG_SG_EEES6_PlJS6_EEE10hipError_tPvRmT3_T4_T5_T6_T7_T9_mT8_P12ihipStream_tbDpT10_ENKUlT_T0_E_clISt17integral_constantIbLb1EES18_IbLb0EEEEDaS14_S15_EUlS14_E_NS1_11comp_targetILNS1_3genE0ELNS1_11target_archE4294967295ELNS1_3gpuE0ELNS1_3repE0EEENS1_30default_config_static_selectorELNS0_4arch9wavefront6targetE1EEEvT1_,comdat
	.protected	_ZN7rocprim17ROCPRIM_400000_NS6detail17trampoline_kernelINS0_14default_configENS1_25partition_config_selectorILNS1_17partition_subalgoE1EsNS0_10empty_typeEbEEZZNS1_14partition_implILS5_1ELb0ES3_jN6thrust23THRUST_200600_302600_NS6detail15normal_iteratorINSA_10device_ptrIsEEEEPS6_NSA_18transform_iteratorINSA_8identityIsEESF_NSA_11use_defaultESK_EENS0_5tupleIJSF_SF_EEENSM_IJSG_SG_EEES6_PlJS6_EEE10hipError_tPvRmT3_T4_T5_T6_T7_T9_mT8_P12ihipStream_tbDpT10_ENKUlT_T0_E_clISt17integral_constantIbLb1EES18_IbLb0EEEEDaS14_S15_EUlS14_E_NS1_11comp_targetILNS1_3genE0ELNS1_11target_archE4294967295ELNS1_3gpuE0ELNS1_3repE0EEENS1_30default_config_static_selectorELNS0_4arch9wavefront6targetE1EEEvT1_ ; -- Begin function _ZN7rocprim17ROCPRIM_400000_NS6detail17trampoline_kernelINS0_14default_configENS1_25partition_config_selectorILNS1_17partition_subalgoE1EsNS0_10empty_typeEbEEZZNS1_14partition_implILS5_1ELb0ES3_jN6thrust23THRUST_200600_302600_NS6detail15normal_iteratorINSA_10device_ptrIsEEEEPS6_NSA_18transform_iteratorINSA_8identityIsEESF_NSA_11use_defaultESK_EENS0_5tupleIJSF_SF_EEENSM_IJSG_SG_EEES6_PlJS6_EEE10hipError_tPvRmT3_T4_T5_T6_T7_T9_mT8_P12ihipStream_tbDpT10_ENKUlT_T0_E_clISt17integral_constantIbLb1EES18_IbLb0EEEEDaS14_S15_EUlS14_E_NS1_11comp_targetILNS1_3genE0ELNS1_11target_archE4294967295ELNS1_3gpuE0ELNS1_3repE0EEENS1_30default_config_static_selectorELNS0_4arch9wavefront6targetE1EEEvT1_
	.globl	_ZN7rocprim17ROCPRIM_400000_NS6detail17trampoline_kernelINS0_14default_configENS1_25partition_config_selectorILNS1_17partition_subalgoE1EsNS0_10empty_typeEbEEZZNS1_14partition_implILS5_1ELb0ES3_jN6thrust23THRUST_200600_302600_NS6detail15normal_iteratorINSA_10device_ptrIsEEEEPS6_NSA_18transform_iteratorINSA_8identityIsEESF_NSA_11use_defaultESK_EENS0_5tupleIJSF_SF_EEENSM_IJSG_SG_EEES6_PlJS6_EEE10hipError_tPvRmT3_T4_T5_T6_T7_T9_mT8_P12ihipStream_tbDpT10_ENKUlT_T0_E_clISt17integral_constantIbLb1EES18_IbLb0EEEEDaS14_S15_EUlS14_E_NS1_11comp_targetILNS1_3genE0ELNS1_11target_archE4294967295ELNS1_3gpuE0ELNS1_3repE0EEENS1_30default_config_static_selectorELNS0_4arch9wavefront6targetE1EEEvT1_
	.p2align	8
	.type	_ZN7rocprim17ROCPRIM_400000_NS6detail17trampoline_kernelINS0_14default_configENS1_25partition_config_selectorILNS1_17partition_subalgoE1EsNS0_10empty_typeEbEEZZNS1_14partition_implILS5_1ELb0ES3_jN6thrust23THRUST_200600_302600_NS6detail15normal_iteratorINSA_10device_ptrIsEEEEPS6_NSA_18transform_iteratorINSA_8identityIsEESF_NSA_11use_defaultESK_EENS0_5tupleIJSF_SF_EEENSM_IJSG_SG_EEES6_PlJS6_EEE10hipError_tPvRmT3_T4_T5_T6_T7_T9_mT8_P12ihipStream_tbDpT10_ENKUlT_T0_E_clISt17integral_constantIbLb1EES18_IbLb0EEEEDaS14_S15_EUlS14_E_NS1_11comp_targetILNS1_3genE0ELNS1_11target_archE4294967295ELNS1_3gpuE0ELNS1_3repE0EEENS1_30default_config_static_selectorELNS0_4arch9wavefront6targetE1EEEvT1_,@function
_ZN7rocprim17ROCPRIM_400000_NS6detail17trampoline_kernelINS0_14default_configENS1_25partition_config_selectorILNS1_17partition_subalgoE1EsNS0_10empty_typeEbEEZZNS1_14partition_implILS5_1ELb0ES3_jN6thrust23THRUST_200600_302600_NS6detail15normal_iteratorINSA_10device_ptrIsEEEEPS6_NSA_18transform_iteratorINSA_8identityIsEESF_NSA_11use_defaultESK_EENS0_5tupleIJSF_SF_EEENSM_IJSG_SG_EEES6_PlJS6_EEE10hipError_tPvRmT3_T4_T5_T6_T7_T9_mT8_P12ihipStream_tbDpT10_ENKUlT_T0_E_clISt17integral_constantIbLb1EES18_IbLb0EEEEDaS14_S15_EUlS14_E_NS1_11comp_targetILNS1_3genE0ELNS1_11target_archE4294967295ELNS1_3gpuE0ELNS1_3repE0EEENS1_30default_config_static_selectorELNS0_4arch9wavefront6targetE1EEEvT1_: ; @_ZN7rocprim17ROCPRIM_400000_NS6detail17trampoline_kernelINS0_14default_configENS1_25partition_config_selectorILNS1_17partition_subalgoE1EsNS0_10empty_typeEbEEZZNS1_14partition_implILS5_1ELb0ES3_jN6thrust23THRUST_200600_302600_NS6detail15normal_iteratorINSA_10device_ptrIsEEEEPS6_NSA_18transform_iteratorINSA_8identityIsEESF_NSA_11use_defaultESK_EENS0_5tupleIJSF_SF_EEENSM_IJSG_SG_EEES6_PlJS6_EEE10hipError_tPvRmT3_T4_T5_T6_T7_T9_mT8_P12ihipStream_tbDpT10_ENKUlT_T0_E_clISt17integral_constantIbLb1EES18_IbLb0EEEEDaS14_S15_EUlS14_E_NS1_11comp_targetILNS1_3genE0ELNS1_11target_archE4294967295ELNS1_3gpuE0ELNS1_3repE0EEENS1_30default_config_static_selectorELNS0_4arch9wavefront6targetE1EEEvT1_
; %bb.0:
	.section	.rodata,"a",@progbits
	.p2align	6, 0x0
	.amdhsa_kernel _ZN7rocprim17ROCPRIM_400000_NS6detail17trampoline_kernelINS0_14default_configENS1_25partition_config_selectorILNS1_17partition_subalgoE1EsNS0_10empty_typeEbEEZZNS1_14partition_implILS5_1ELb0ES3_jN6thrust23THRUST_200600_302600_NS6detail15normal_iteratorINSA_10device_ptrIsEEEEPS6_NSA_18transform_iteratorINSA_8identityIsEESF_NSA_11use_defaultESK_EENS0_5tupleIJSF_SF_EEENSM_IJSG_SG_EEES6_PlJS6_EEE10hipError_tPvRmT3_T4_T5_T6_T7_T9_mT8_P12ihipStream_tbDpT10_ENKUlT_T0_E_clISt17integral_constantIbLb1EES18_IbLb0EEEEDaS14_S15_EUlS14_E_NS1_11comp_targetILNS1_3genE0ELNS1_11target_archE4294967295ELNS1_3gpuE0ELNS1_3repE0EEENS1_30default_config_static_selectorELNS0_4arch9wavefront6targetE1EEEvT1_
		.amdhsa_group_segment_fixed_size 0
		.amdhsa_private_segment_fixed_size 0
		.amdhsa_kernarg_size 128
		.amdhsa_user_sgpr_count 2
		.amdhsa_user_sgpr_dispatch_ptr 0
		.amdhsa_user_sgpr_queue_ptr 0
		.amdhsa_user_sgpr_kernarg_segment_ptr 1
		.amdhsa_user_sgpr_dispatch_id 0
		.amdhsa_user_sgpr_kernarg_preload_length 0
		.amdhsa_user_sgpr_kernarg_preload_offset 0
		.amdhsa_user_sgpr_private_segment_size 0
		.amdhsa_uses_dynamic_stack 0
		.amdhsa_enable_private_segment 0
		.amdhsa_system_sgpr_workgroup_id_x 1
		.amdhsa_system_sgpr_workgroup_id_y 0
		.amdhsa_system_sgpr_workgroup_id_z 0
		.amdhsa_system_sgpr_workgroup_info 0
		.amdhsa_system_vgpr_workitem_id 0
		.amdhsa_next_free_vgpr 1
		.amdhsa_next_free_sgpr 0
		.amdhsa_accum_offset 4
		.amdhsa_reserve_vcc 0
		.amdhsa_float_round_mode_32 0
		.amdhsa_float_round_mode_16_64 0
		.amdhsa_float_denorm_mode_32 3
		.amdhsa_float_denorm_mode_16_64 3
		.amdhsa_dx10_clamp 1
		.amdhsa_ieee_mode 1
		.amdhsa_fp16_overflow 0
		.amdhsa_tg_split 0
		.amdhsa_exception_fp_ieee_invalid_op 0
		.amdhsa_exception_fp_denorm_src 0
		.amdhsa_exception_fp_ieee_div_zero 0
		.amdhsa_exception_fp_ieee_overflow 0
		.amdhsa_exception_fp_ieee_underflow 0
		.amdhsa_exception_fp_ieee_inexact 0
		.amdhsa_exception_int_div_zero 0
	.end_amdhsa_kernel
	.section	.text._ZN7rocprim17ROCPRIM_400000_NS6detail17trampoline_kernelINS0_14default_configENS1_25partition_config_selectorILNS1_17partition_subalgoE1EsNS0_10empty_typeEbEEZZNS1_14partition_implILS5_1ELb0ES3_jN6thrust23THRUST_200600_302600_NS6detail15normal_iteratorINSA_10device_ptrIsEEEEPS6_NSA_18transform_iteratorINSA_8identityIsEESF_NSA_11use_defaultESK_EENS0_5tupleIJSF_SF_EEENSM_IJSG_SG_EEES6_PlJS6_EEE10hipError_tPvRmT3_T4_T5_T6_T7_T9_mT8_P12ihipStream_tbDpT10_ENKUlT_T0_E_clISt17integral_constantIbLb1EES18_IbLb0EEEEDaS14_S15_EUlS14_E_NS1_11comp_targetILNS1_3genE0ELNS1_11target_archE4294967295ELNS1_3gpuE0ELNS1_3repE0EEENS1_30default_config_static_selectorELNS0_4arch9wavefront6targetE1EEEvT1_,"axG",@progbits,_ZN7rocprim17ROCPRIM_400000_NS6detail17trampoline_kernelINS0_14default_configENS1_25partition_config_selectorILNS1_17partition_subalgoE1EsNS0_10empty_typeEbEEZZNS1_14partition_implILS5_1ELb0ES3_jN6thrust23THRUST_200600_302600_NS6detail15normal_iteratorINSA_10device_ptrIsEEEEPS6_NSA_18transform_iteratorINSA_8identityIsEESF_NSA_11use_defaultESK_EENS0_5tupleIJSF_SF_EEENSM_IJSG_SG_EEES6_PlJS6_EEE10hipError_tPvRmT3_T4_T5_T6_T7_T9_mT8_P12ihipStream_tbDpT10_ENKUlT_T0_E_clISt17integral_constantIbLb1EES18_IbLb0EEEEDaS14_S15_EUlS14_E_NS1_11comp_targetILNS1_3genE0ELNS1_11target_archE4294967295ELNS1_3gpuE0ELNS1_3repE0EEENS1_30default_config_static_selectorELNS0_4arch9wavefront6targetE1EEEvT1_,comdat
.Lfunc_end657:
	.size	_ZN7rocprim17ROCPRIM_400000_NS6detail17trampoline_kernelINS0_14default_configENS1_25partition_config_selectorILNS1_17partition_subalgoE1EsNS0_10empty_typeEbEEZZNS1_14partition_implILS5_1ELb0ES3_jN6thrust23THRUST_200600_302600_NS6detail15normal_iteratorINSA_10device_ptrIsEEEEPS6_NSA_18transform_iteratorINSA_8identityIsEESF_NSA_11use_defaultESK_EENS0_5tupleIJSF_SF_EEENSM_IJSG_SG_EEES6_PlJS6_EEE10hipError_tPvRmT3_T4_T5_T6_T7_T9_mT8_P12ihipStream_tbDpT10_ENKUlT_T0_E_clISt17integral_constantIbLb1EES18_IbLb0EEEEDaS14_S15_EUlS14_E_NS1_11comp_targetILNS1_3genE0ELNS1_11target_archE4294967295ELNS1_3gpuE0ELNS1_3repE0EEENS1_30default_config_static_selectorELNS0_4arch9wavefront6targetE1EEEvT1_, .Lfunc_end657-_ZN7rocprim17ROCPRIM_400000_NS6detail17trampoline_kernelINS0_14default_configENS1_25partition_config_selectorILNS1_17partition_subalgoE1EsNS0_10empty_typeEbEEZZNS1_14partition_implILS5_1ELb0ES3_jN6thrust23THRUST_200600_302600_NS6detail15normal_iteratorINSA_10device_ptrIsEEEEPS6_NSA_18transform_iteratorINSA_8identityIsEESF_NSA_11use_defaultESK_EENS0_5tupleIJSF_SF_EEENSM_IJSG_SG_EEES6_PlJS6_EEE10hipError_tPvRmT3_T4_T5_T6_T7_T9_mT8_P12ihipStream_tbDpT10_ENKUlT_T0_E_clISt17integral_constantIbLb1EES18_IbLb0EEEEDaS14_S15_EUlS14_E_NS1_11comp_targetILNS1_3genE0ELNS1_11target_archE4294967295ELNS1_3gpuE0ELNS1_3repE0EEENS1_30default_config_static_selectorELNS0_4arch9wavefront6targetE1EEEvT1_
                                        ; -- End function
	.section	.AMDGPU.csdata,"",@progbits
; Kernel info:
; codeLenInByte = 0
; NumSgprs: 6
; NumVgprs: 0
; NumAgprs: 0
; TotalNumVgprs: 0
; ScratchSize: 0
; MemoryBound: 0
; FloatMode: 240
; IeeeMode: 1
; LDSByteSize: 0 bytes/workgroup (compile time only)
; SGPRBlocks: 0
; VGPRBlocks: 0
; NumSGPRsForWavesPerEU: 6
; NumVGPRsForWavesPerEU: 1
; AccumOffset: 4
; Occupancy: 8
; WaveLimiterHint : 0
; COMPUTE_PGM_RSRC2:SCRATCH_EN: 0
; COMPUTE_PGM_RSRC2:USER_SGPR: 2
; COMPUTE_PGM_RSRC2:TRAP_HANDLER: 0
; COMPUTE_PGM_RSRC2:TGID_X_EN: 1
; COMPUTE_PGM_RSRC2:TGID_Y_EN: 0
; COMPUTE_PGM_RSRC2:TGID_Z_EN: 0
; COMPUTE_PGM_RSRC2:TIDIG_COMP_CNT: 0
; COMPUTE_PGM_RSRC3_GFX90A:ACCUM_OFFSET: 0
; COMPUTE_PGM_RSRC3_GFX90A:TG_SPLIT: 0
	.section	.text._ZN7rocprim17ROCPRIM_400000_NS6detail17trampoline_kernelINS0_14default_configENS1_25partition_config_selectorILNS1_17partition_subalgoE1EsNS0_10empty_typeEbEEZZNS1_14partition_implILS5_1ELb0ES3_jN6thrust23THRUST_200600_302600_NS6detail15normal_iteratorINSA_10device_ptrIsEEEEPS6_NSA_18transform_iteratorINSA_8identityIsEESF_NSA_11use_defaultESK_EENS0_5tupleIJSF_SF_EEENSM_IJSG_SG_EEES6_PlJS6_EEE10hipError_tPvRmT3_T4_T5_T6_T7_T9_mT8_P12ihipStream_tbDpT10_ENKUlT_T0_E_clISt17integral_constantIbLb1EES18_IbLb0EEEEDaS14_S15_EUlS14_E_NS1_11comp_targetILNS1_3genE5ELNS1_11target_archE942ELNS1_3gpuE9ELNS1_3repE0EEENS1_30default_config_static_selectorELNS0_4arch9wavefront6targetE1EEEvT1_,"axG",@progbits,_ZN7rocprim17ROCPRIM_400000_NS6detail17trampoline_kernelINS0_14default_configENS1_25partition_config_selectorILNS1_17partition_subalgoE1EsNS0_10empty_typeEbEEZZNS1_14partition_implILS5_1ELb0ES3_jN6thrust23THRUST_200600_302600_NS6detail15normal_iteratorINSA_10device_ptrIsEEEEPS6_NSA_18transform_iteratorINSA_8identityIsEESF_NSA_11use_defaultESK_EENS0_5tupleIJSF_SF_EEENSM_IJSG_SG_EEES6_PlJS6_EEE10hipError_tPvRmT3_T4_T5_T6_T7_T9_mT8_P12ihipStream_tbDpT10_ENKUlT_T0_E_clISt17integral_constantIbLb1EES18_IbLb0EEEEDaS14_S15_EUlS14_E_NS1_11comp_targetILNS1_3genE5ELNS1_11target_archE942ELNS1_3gpuE9ELNS1_3repE0EEENS1_30default_config_static_selectorELNS0_4arch9wavefront6targetE1EEEvT1_,comdat
	.protected	_ZN7rocprim17ROCPRIM_400000_NS6detail17trampoline_kernelINS0_14default_configENS1_25partition_config_selectorILNS1_17partition_subalgoE1EsNS0_10empty_typeEbEEZZNS1_14partition_implILS5_1ELb0ES3_jN6thrust23THRUST_200600_302600_NS6detail15normal_iteratorINSA_10device_ptrIsEEEEPS6_NSA_18transform_iteratorINSA_8identityIsEESF_NSA_11use_defaultESK_EENS0_5tupleIJSF_SF_EEENSM_IJSG_SG_EEES6_PlJS6_EEE10hipError_tPvRmT3_T4_T5_T6_T7_T9_mT8_P12ihipStream_tbDpT10_ENKUlT_T0_E_clISt17integral_constantIbLb1EES18_IbLb0EEEEDaS14_S15_EUlS14_E_NS1_11comp_targetILNS1_3genE5ELNS1_11target_archE942ELNS1_3gpuE9ELNS1_3repE0EEENS1_30default_config_static_selectorELNS0_4arch9wavefront6targetE1EEEvT1_ ; -- Begin function _ZN7rocprim17ROCPRIM_400000_NS6detail17trampoline_kernelINS0_14default_configENS1_25partition_config_selectorILNS1_17partition_subalgoE1EsNS0_10empty_typeEbEEZZNS1_14partition_implILS5_1ELb0ES3_jN6thrust23THRUST_200600_302600_NS6detail15normal_iteratorINSA_10device_ptrIsEEEEPS6_NSA_18transform_iteratorINSA_8identityIsEESF_NSA_11use_defaultESK_EENS0_5tupleIJSF_SF_EEENSM_IJSG_SG_EEES6_PlJS6_EEE10hipError_tPvRmT3_T4_T5_T6_T7_T9_mT8_P12ihipStream_tbDpT10_ENKUlT_T0_E_clISt17integral_constantIbLb1EES18_IbLb0EEEEDaS14_S15_EUlS14_E_NS1_11comp_targetILNS1_3genE5ELNS1_11target_archE942ELNS1_3gpuE9ELNS1_3repE0EEENS1_30default_config_static_selectorELNS0_4arch9wavefront6targetE1EEEvT1_
	.globl	_ZN7rocprim17ROCPRIM_400000_NS6detail17trampoline_kernelINS0_14default_configENS1_25partition_config_selectorILNS1_17partition_subalgoE1EsNS0_10empty_typeEbEEZZNS1_14partition_implILS5_1ELb0ES3_jN6thrust23THRUST_200600_302600_NS6detail15normal_iteratorINSA_10device_ptrIsEEEEPS6_NSA_18transform_iteratorINSA_8identityIsEESF_NSA_11use_defaultESK_EENS0_5tupleIJSF_SF_EEENSM_IJSG_SG_EEES6_PlJS6_EEE10hipError_tPvRmT3_T4_T5_T6_T7_T9_mT8_P12ihipStream_tbDpT10_ENKUlT_T0_E_clISt17integral_constantIbLb1EES18_IbLb0EEEEDaS14_S15_EUlS14_E_NS1_11comp_targetILNS1_3genE5ELNS1_11target_archE942ELNS1_3gpuE9ELNS1_3repE0EEENS1_30default_config_static_selectorELNS0_4arch9wavefront6targetE1EEEvT1_
	.p2align	8
	.type	_ZN7rocprim17ROCPRIM_400000_NS6detail17trampoline_kernelINS0_14default_configENS1_25partition_config_selectorILNS1_17partition_subalgoE1EsNS0_10empty_typeEbEEZZNS1_14partition_implILS5_1ELb0ES3_jN6thrust23THRUST_200600_302600_NS6detail15normal_iteratorINSA_10device_ptrIsEEEEPS6_NSA_18transform_iteratorINSA_8identityIsEESF_NSA_11use_defaultESK_EENS0_5tupleIJSF_SF_EEENSM_IJSG_SG_EEES6_PlJS6_EEE10hipError_tPvRmT3_T4_T5_T6_T7_T9_mT8_P12ihipStream_tbDpT10_ENKUlT_T0_E_clISt17integral_constantIbLb1EES18_IbLb0EEEEDaS14_S15_EUlS14_E_NS1_11comp_targetILNS1_3genE5ELNS1_11target_archE942ELNS1_3gpuE9ELNS1_3repE0EEENS1_30default_config_static_selectorELNS0_4arch9wavefront6targetE1EEEvT1_,@function
_ZN7rocprim17ROCPRIM_400000_NS6detail17trampoline_kernelINS0_14default_configENS1_25partition_config_selectorILNS1_17partition_subalgoE1EsNS0_10empty_typeEbEEZZNS1_14partition_implILS5_1ELb0ES3_jN6thrust23THRUST_200600_302600_NS6detail15normal_iteratorINSA_10device_ptrIsEEEEPS6_NSA_18transform_iteratorINSA_8identityIsEESF_NSA_11use_defaultESK_EENS0_5tupleIJSF_SF_EEENSM_IJSG_SG_EEES6_PlJS6_EEE10hipError_tPvRmT3_T4_T5_T6_T7_T9_mT8_P12ihipStream_tbDpT10_ENKUlT_T0_E_clISt17integral_constantIbLb1EES18_IbLb0EEEEDaS14_S15_EUlS14_E_NS1_11comp_targetILNS1_3genE5ELNS1_11target_archE942ELNS1_3gpuE9ELNS1_3repE0EEENS1_30default_config_static_selectorELNS0_4arch9wavefront6targetE1EEEvT1_: ; @_ZN7rocprim17ROCPRIM_400000_NS6detail17trampoline_kernelINS0_14default_configENS1_25partition_config_selectorILNS1_17partition_subalgoE1EsNS0_10empty_typeEbEEZZNS1_14partition_implILS5_1ELb0ES3_jN6thrust23THRUST_200600_302600_NS6detail15normal_iteratorINSA_10device_ptrIsEEEEPS6_NSA_18transform_iteratorINSA_8identityIsEESF_NSA_11use_defaultESK_EENS0_5tupleIJSF_SF_EEENSM_IJSG_SG_EEES6_PlJS6_EEE10hipError_tPvRmT3_T4_T5_T6_T7_T9_mT8_P12ihipStream_tbDpT10_ENKUlT_T0_E_clISt17integral_constantIbLb1EES18_IbLb0EEEEDaS14_S15_EUlS14_E_NS1_11comp_targetILNS1_3genE5ELNS1_11target_archE942ELNS1_3gpuE9ELNS1_3repE0EEENS1_30default_config_static_selectorELNS0_4arch9wavefront6targetE1EEEvT1_
; %bb.0:
	s_load_dwordx2 s[4:5], s[0:1], 0x60
	s_load_dwordx4 s[24:27], s[0:1], 0x8
	s_load_dwordx2 s[6:7], s[0:1], 0x20
	s_load_dwordx4 s[20:23], s[0:1], 0x50
	s_load_dword s3, s[0:1], 0x78
	s_waitcnt lgkmcnt(0)
	v_mov_b32_e32 v3, s5
	s_lshl_b64 s[8:9], s[26:27], 1
	s_add_u32 s12, s24, s8
	s_addc_u32 s13, s25, s9
	s_add_i32 s14, s3, -1
	s_mulk_i32 s3, 0x3800
	s_add_i32 s5, s3, s26
	s_sub_i32 s33, s4, s5
	s_addk_i32 s33, 0x3800
	v_mov_b32_e32 v2, s4
	s_add_u32 s4, s26, s3
	s_addc_u32 s5, s27, 0
	s_cmp_eq_u32 s2, s14
	s_load_dwordx2 s[28:29], s[22:23], 0x0
	s_cselect_b64 s[22:23], -1, 0
	s_cmp_lg_u32 s2, s14
	s_mul_i32 s10, s2, 0x3800
	s_mov_b32 s11, 0
	v_cmp_lt_u64_e32 vcc, s[4:5], v[2:3]
	s_cselect_b64 s[4:5], -1, 0
	s_or_b64 s[24:25], s[4:5], vcc
	s_lshl_b64 s[30:31], s[10:11], 1
	s_add_u32 s10, s12, s30
	s_addc_u32 s11, s13, s31
	s_mov_b64 s[4:5], -1
	s_and_b64 vcc, exec, s[24:25]
	v_lshlrev_b32_e32 v14, 1, v0
	s_cbranch_vccz .LBB658_2
; %bb.1:
	v_mov_b32_e32 v15, 0
	v_lshl_add_u64 v[2:3], s[10:11], 0, v[14:15]
	v_add_co_u32_e32 v4, vcc, 0x1000, v2
	s_mov_b64 s[4:5], 0
	s_nop 0
	v_addc_co_u32_e32 v5, vcc, 0, v3, vcc
	flat_load_ushort v1, v[2:3]
	flat_load_ushort v8, v[2:3] offset:1024
	flat_load_ushort v9, v[2:3] offset:2048
	flat_load_ushort v10, v[2:3] offset:3072
	flat_load_ushort v11, v[4:5]
	flat_load_ushort v12, v[4:5] offset:1024
	flat_load_ushort v13, v[4:5] offset:2048
	;; [unrolled: 1-line block ×3, first 2 shown]
	v_add_co_u32_e32 v4, vcc, 0x2000, v2
	s_nop 1
	v_addc_co_u32_e32 v5, vcc, 0, v3, vcc
	v_add_co_u32_e32 v6, vcc, 0x3000, v2
	s_nop 1
	v_addc_co_u32_e32 v7, vcc, 0, v3, vcc
	flat_load_ushort v16, v[4:5]
	flat_load_ushort v17, v[4:5] offset:1024
	flat_load_ushort v18, v[4:5] offset:2048
	;; [unrolled: 1-line block ×3, first 2 shown]
	flat_load_ushort v20, v[6:7]
	flat_load_ushort v21, v[6:7] offset:1024
	flat_load_ushort v22, v[6:7] offset:2048
	;; [unrolled: 1-line block ×3, first 2 shown]
	v_add_co_u32_e32 v4, vcc, 0x4000, v2
	s_nop 1
	v_addc_co_u32_e32 v5, vcc, 0, v3, vcc
	v_add_co_u32_e32 v6, vcc, 0x5000, v2
	s_nop 1
	v_addc_co_u32_e32 v7, vcc, 0, v3, vcc
	v_add_co_u32_e32 v2, vcc, 0x6000, v2
	flat_load_ushort v24, v[4:5]
	flat_load_ushort v25, v[4:5] offset:1024
	flat_load_ushort v26, v[4:5] offset:2048
	;; [unrolled: 1-line block ×3, first 2 shown]
	flat_load_ushort v28, v[6:7]
	flat_load_ushort v29, v[6:7] offset:1024
	flat_load_ushort v30, v[6:7] offset:2048
	;; [unrolled: 1-line block ×3, first 2 shown]
	v_addc_co_u32_e32 v3, vcc, 0, v3, vcc
	flat_load_ushort v4, v[2:3]
	flat_load_ushort v5, v[2:3] offset:1024
	flat_load_ushort v6, v[2:3] offset:2048
	;; [unrolled: 1-line block ×3, first 2 shown]
	s_waitcnt vmcnt(0) lgkmcnt(0)
	ds_write_b16 v14, v1
	ds_write_b16 v14, v8 offset:1024
	ds_write_b16 v14, v9 offset:2048
	;; [unrolled: 1-line block ×27, first 2 shown]
	s_waitcnt lgkmcnt(0)
	s_barrier
.LBB658_2:
	s_andn2_b64 vcc, exec, s[4:5]
	v_cmp_gt_u32_e64 s[4:5], s33, v0
	s_cbranch_vccnz .LBB658_60
; %bb.3:
                                        ; implicit-def: $vgpr1
	s_and_saveexec_b64 s[12:13], s[4:5]
	s_cbranch_execz .LBB658_5
; %bb.4:
	v_mov_b32_e32 v15, 0
	v_lshl_add_u64 v[2:3], s[10:11], 0, v[14:15]
	flat_load_ushort v1, v[2:3]
.LBB658_5:
	s_or_b64 exec, exec, s[12:13]
	v_or_b32_e32 v2, 0x200, v0
	v_cmp_gt_u32_e32 vcc, s33, v2
                                        ; implicit-def: $vgpr2
	s_and_saveexec_b64 s[4:5], vcc
	s_cbranch_execz .LBB658_7
; %bb.6:
	v_mov_b32_e32 v15, 0
	v_lshl_add_u64 v[2:3], s[10:11], 0, v[14:15]
	flat_load_ushort v2, v[2:3] offset:1024
.LBB658_7:
	s_or_b64 exec, exec, s[4:5]
	v_or_b32_e32 v3, 0x400, v0
	v_cmp_gt_u32_e32 vcc, s33, v3
                                        ; implicit-def: $vgpr3
	s_and_saveexec_b64 s[4:5], vcc
	s_cbranch_execz .LBB658_9
; %bb.8:
	v_mov_b32_e32 v15, 0
	v_lshl_add_u64 v[4:5], s[10:11], 0, v[14:15]
	flat_load_ushort v3, v[4:5] offset:2048
.LBB658_9:
	s_or_b64 exec, exec, s[4:5]
	v_or_b32_e32 v4, 0x600, v0
	v_cmp_gt_u32_e32 vcc, s33, v4
                                        ; implicit-def: $vgpr4
	s_and_saveexec_b64 s[4:5], vcc
	s_cbranch_execz .LBB658_11
; %bb.10:
	v_mov_b32_e32 v15, 0
	v_lshl_add_u64 v[4:5], s[10:11], 0, v[14:15]
	flat_load_ushort v4, v[4:5] offset:3072
.LBB658_11:
	s_or_b64 exec, exec, s[4:5]
	v_or_b32_e32 v6, 0x800, v0
	v_cmp_gt_u32_e32 vcc, s33, v6
                                        ; implicit-def: $vgpr5
	s_and_saveexec_b64 s[4:5], vcc
	s_cbranch_execz .LBB658_13
; %bb.12:
	v_lshlrev_b32_e32 v6, 1, v6
	v_mov_b32_e32 v7, 0
	v_lshl_add_u64 v[6:7], s[10:11], 0, v[6:7]
	flat_load_ushort v5, v[6:7]
.LBB658_13:
	s_or_b64 exec, exec, s[4:5]
	v_or_b32_e32 v7, 0xa00, v0
	v_cmp_gt_u32_e32 vcc, s33, v7
                                        ; implicit-def: $vgpr6
	s_and_saveexec_b64 s[4:5], vcc
	s_cbranch_execz .LBB658_15
; %bb.14:
	v_lshlrev_b32_e32 v6, 1, v7
	v_mov_b32_e32 v7, 0
	v_lshl_add_u64 v[6:7], s[10:11], 0, v[6:7]
	flat_load_ushort v6, v[6:7]
.LBB658_15:
	s_or_b64 exec, exec, s[4:5]
	v_or_b32_e32 v8, 0xc00, v0
	v_cmp_gt_u32_e32 vcc, s33, v8
                                        ; implicit-def: $vgpr7
	s_and_saveexec_b64 s[4:5], vcc
	s_cbranch_execz .LBB658_17
; %bb.16:
	v_lshlrev_b32_e32 v8, 1, v8
	v_mov_b32_e32 v9, 0
	v_lshl_add_u64 v[8:9], s[10:11], 0, v[8:9]
	flat_load_ushort v7, v[8:9]
.LBB658_17:
	s_or_b64 exec, exec, s[4:5]
	v_or_b32_e32 v9, 0xe00, v0
	v_cmp_gt_u32_e32 vcc, s33, v9
                                        ; implicit-def: $vgpr8
	s_and_saveexec_b64 s[4:5], vcc
	s_cbranch_execz .LBB658_19
; %bb.18:
	v_lshlrev_b32_e32 v8, 1, v9
	v_mov_b32_e32 v9, 0
	v_lshl_add_u64 v[8:9], s[10:11], 0, v[8:9]
	flat_load_ushort v8, v[8:9]
.LBB658_19:
	s_or_b64 exec, exec, s[4:5]
	v_or_b32_e32 v10, 0x1000, v0
	v_cmp_gt_u32_e32 vcc, s33, v10
                                        ; implicit-def: $vgpr9
	s_and_saveexec_b64 s[4:5], vcc
	s_cbranch_execz .LBB658_21
; %bb.20:
	v_lshlrev_b32_e32 v10, 1, v10
	v_mov_b32_e32 v11, 0
	v_lshl_add_u64 v[10:11], s[10:11], 0, v[10:11]
	flat_load_ushort v9, v[10:11]
.LBB658_21:
	s_or_b64 exec, exec, s[4:5]
	v_or_b32_e32 v11, 0x1200, v0
	v_cmp_gt_u32_e32 vcc, s33, v11
                                        ; implicit-def: $vgpr10
	s_and_saveexec_b64 s[4:5], vcc
	s_cbranch_execz .LBB658_23
; %bb.22:
	v_lshlrev_b32_e32 v10, 1, v11
	v_mov_b32_e32 v11, 0
	v_lshl_add_u64 v[10:11], s[10:11], 0, v[10:11]
	flat_load_ushort v10, v[10:11]
.LBB658_23:
	s_or_b64 exec, exec, s[4:5]
	v_or_b32_e32 v12, 0x1400, v0
	v_cmp_gt_u32_e32 vcc, s33, v12
                                        ; implicit-def: $vgpr11
	s_and_saveexec_b64 s[4:5], vcc
	s_cbranch_execz .LBB658_25
; %bb.24:
	v_lshlrev_b32_e32 v12, 1, v12
	v_mov_b32_e32 v13, 0
	v_lshl_add_u64 v[12:13], s[10:11], 0, v[12:13]
	flat_load_ushort v11, v[12:13]
.LBB658_25:
	s_or_b64 exec, exec, s[4:5]
	v_or_b32_e32 v13, 0x1600, v0
	v_cmp_gt_u32_e32 vcc, s33, v13
                                        ; implicit-def: $vgpr12
	s_and_saveexec_b64 s[4:5], vcc
	s_cbranch_execz .LBB658_27
; %bb.26:
	v_lshlrev_b32_e32 v12, 1, v13
	v_mov_b32_e32 v13, 0
	v_lshl_add_u64 v[12:13], s[10:11], 0, v[12:13]
	flat_load_ushort v12, v[12:13]
.LBB658_27:
	s_or_b64 exec, exec, s[4:5]
	v_or_b32_e32 v15, 0x1800, v0
	v_cmp_gt_u32_e32 vcc, s33, v15
                                        ; implicit-def: $vgpr13
	s_and_saveexec_b64 s[4:5], vcc
	s_cbranch_execz .LBB658_29
; %bb.28:
	v_lshlrev_b32_e32 v16, 1, v15
	v_mov_b32_e32 v17, 0
	v_lshl_add_u64 v[16:17], s[10:11], 0, v[16:17]
	flat_load_ushort v13, v[16:17]
.LBB658_29:
	s_or_b64 exec, exec, s[4:5]
	v_or_b32_e32 v16, 0x1a00, v0
	v_cmp_gt_u32_e32 vcc, s33, v16
                                        ; implicit-def: $vgpr15
	s_and_saveexec_b64 s[4:5], vcc
	s_cbranch_execz .LBB658_31
; %bb.30:
	v_lshlrev_b32_e32 v16, 1, v16
	v_mov_b32_e32 v17, 0
	v_lshl_add_u64 v[16:17], s[10:11], 0, v[16:17]
	flat_load_ushort v15, v[16:17]
.LBB658_31:
	s_or_b64 exec, exec, s[4:5]
	v_or_b32_e32 v17, 0x1c00, v0
	v_cmp_gt_u32_e32 vcc, s33, v17
                                        ; implicit-def: $vgpr16
	s_and_saveexec_b64 s[4:5], vcc
	s_cbranch_execz .LBB658_33
; %bb.32:
	v_lshlrev_b32_e32 v16, 1, v17
	v_mov_b32_e32 v17, 0
	v_lshl_add_u64 v[16:17], s[10:11], 0, v[16:17]
	flat_load_ushort v16, v[16:17]
.LBB658_33:
	s_or_b64 exec, exec, s[4:5]
	v_or_b32_e32 v18, 0x1e00, v0
	v_cmp_gt_u32_e32 vcc, s33, v18
                                        ; implicit-def: $vgpr17
	s_and_saveexec_b64 s[4:5], vcc
	s_cbranch_execz .LBB658_35
; %bb.34:
	v_lshlrev_b32_e32 v18, 1, v18
	v_mov_b32_e32 v19, 0
	v_lshl_add_u64 v[18:19], s[10:11], 0, v[18:19]
	flat_load_ushort v17, v[18:19]
.LBB658_35:
	s_or_b64 exec, exec, s[4:5]
	v_or_b32_e32 v19, 0x2000, v0
	v_cmp_gt_u32_e32 vcc, s33, v19
                                        ; implicit-def: $vgpr18
	s_and_saveexec_b64 s[4:5], vcc
	s_cbranch_execz .LBB658_37
; %bb.36:
	v_lshlrev_b32_e32 v18, 1, v19
	v_mov_b32_e32 v19, 0
	v_lshl_add_u64 v[18:19], s[10:11], 0, v[18:19]
	flat_load_ushort v18, v[18:19]
.LBB658_37:
	s_or_b64 exec, exec, s[4:5]
	v_or_b32_e32 v20, 0x2200, v0
	v_cmp_gt_u32_e32 vcc, s33, v20
                                        ; implicit-def: $vgpr19
	s_and_saveexec_b64 s[4:5], vcc
	s_cbranch_execz .LBB658_39
; %bb.38:
	v_lshlrev_b32_e32 v20, 1, v20
	v_mov_b32_e32 v21, 0
	v_lshl_add_u64 v[20:21], s[10:11], 0, v[20:21]
	flat_load_ushort v19, v[20:21]
.LBB658_39:
	s_or_b64 exec, exec, s[4:5]
	v_or_b32_e32 v21, 0x2400, v0
	v_cmp_gt_u32_e32 vcc, s33, v21
                                        ; implicit-def: $vgpr20
	s_and_saveexec_b64 s[4:5], vcc
	s_cbranch_execz .LBB658_41
; %bb.40:
	v_lshlrev_b32_e32 v20, 1, v21
	v_mov_b32_e32 v21, 0
	v_lshl_add_u64 v[20:21], s[10:11], 0, v[20:21]
	flat_load_ushort v20, v[20:21]
.LBB658_41:
	s_or_b64 exec, exec, s[4:5]
	v_or_b32_e32 v22, 0x2600, v0
	v_cmp_gt_u32_e32 vcc, s33, v22
                                        ; implicit-def: $vgpr21
	s_and_saveexec_b64 s[4:5], vcc
	s_cbranch_execz .LBB658_43
; %bb.42:
	v_lshlrev_b32_e32 v22, 1, v22
	v_mov_b32_e32 v23, 0
	v_lshl_add_u64 v[22:23], s[10:11], 0, v[22:23]
	flat_load_ushort v21, v[22:23]
.LBB658_43:
	s_or_b64 exec, exec, s[4:5]
	v_or_b32_e32 v23, 0x2800, v0
	v_cmp_gt_u32_e32 vcc, s33, v23
                                        ; implicit-def: $vgpr22
	s_and_saveexec_b64 s[4:5], vcc
	s_cbranch_execz .LBB658_45
; %bb.44:
	v_lshlrev_b32_e32 v22, 1, v23
	v_mov_b32_e32 v23, 0
	v_lshl_add_u64 v[22:23], s[10:11], 0, v[22:23]
	flat_load_ushort v22, v[22:23]
.LBB658_45:
	s_or_b64 exec, exec, s[4:5]
	v_or_b32_e32 v24, 0x2a00, v0
	v_cmp_gt_u32_e32 vcc, s33, v24
                                        ; implicit-def: $vgpr23
	s_and_saveexec_b64 s[4:5], vcc
	s_cbranch_execz .LBB658_47
; %bb.46:
	v_lshlrev_b32_e32 v24, 1, v24
	v_mov_b32_e32 v25, 0
	v_lshl_add_u64 v[24:25], s[10:11], 0, v[24:25]
	flat_load_ushort v23, v[24:25]
.LBB658_47:
	s_or_b64 exec, exec, s[4:5]
	v_or_b32_e32 v25, 0x2c00, v0
	v_cmp_gt_u32_e32 vcc, s33, v25
                                        ; implicit-def: $vgpr24
	s_and_saveexec_b64 s[4:5], vcc
	s_cbranch_execz .LBB658_49
; %bb.48:
	v_lshlrev_b32_e32 v24, 1, v25
	v_mov_b32_e32 v25, 0
	v_lshl_add_u64 v[24:25], s[10:11], 0, v[24:25]
	flat_load_ushort v24, v[24:25]
.LBB658_49:
	s_or_b64 exec, exec, s[4:5]
	v_or_b32_e32 v26, 0x2e00, v0
	v_cmp_gt_u32_e32 vcc, s33, v26
                                        ; implicit-def: $vgpr25
	s_and_saveexec_b64 s[4:5], vcc
	s_cbranch_execz .LBB658_51
; %bb.50:
	v_lshlrev_b32_e32 v26, 1, v26
	v_mov_b32_e32 v27, 0
	v_lshl_add_u64 v[26:27], s[10:11], 0, v[26:27]
	flat_load_ushort v25, v[26:27]
.LBB658_51:
	s_or_b64 exec, exec, s[4:5]
	v_or_b32_e32 v27, 0x3000, v0
	v_cmp_gt_u32_e32 vcc, s33, v27
                                        ; implicit-def: $vgpr26
	s_and_saveexec_b64 s[4:5], vcc
	s_cbranch_execz .LBB658_53
; %bb.52:
	v_lshlrev_b32_e32 v26, 1, v27
	v_mov_b32_e32 v27, 0
	v_lshl_add_u64 v[26:27], s[10:11], 0, v[26:27]
	flat_load_ushort v26, v[26:27]
.LBB658_53:
	s_or_b64 exec, exec, s[4:5]
	v_or_b32_e32 v28, 0x3200, v0
	v_cmp_gt_u32_e32 vcc, s33, v28
                                        ; implicit-def: $vgpr27
	s_and_saveexec_b64 s[4:5], vcc
	s_cbranch_execz .LBB658_55
; %bb.54:
	v_lshlrev_b32_e32 v28, 1, v28
	v_mov_b32_e32 v29, 0
	v_lshl_add_u64 v[28:29], s[10:11], 0, v[28:29]
	flat_load_ushort v27, v[28:29]
.LBB658_55:
	s_or_b64 exec, exec, s[4:5]
	v_or_b32_e32 v29, 0x3400, v0
	v_cmp_gt_u32_e32 vcc, s33, v29
                                        ; implicit-def: $vgpr28
	s_and_saveexec_b64 s[4:5], vcc
	s_cbranch_execz .LBB658_57
; %bb.56:
	v_lshlrev_b32_e32 v28, 1, v29
	v_mov_b32_e32 v29, 0
	v_lshl_add_u64 v[28:29], s[10:11], 0, v[28:29]
	flat_load_ushort v28, v[28:29]
.LBB658_57:
	s_or_b64 exec, exec, s[4:5]
	v_or_b32_e32 v30, 0x3600, v0
	v_cmp_gt_u32_e32 vcc, s33, v30
                                        ; implicit-def: $vgpr29
	s_and_saveexec_b64 s[4:5], vcc
	s_cbranch_execz .LBB658_59
; %bb.58:
	v_lshlrev_b32_e32 v30, 1, v30
	v_mov_b32_e32 v31, 0
	v_lshl_add_u64 v[30:31], s[10:11], 0, v[30:31]
	flat_load_ushort v29, v[30:31]
.LBB658_59:
	s_or_b64 exec, exec, s[4:5]
	s_waitcnt vmcnt(0) lgkmcnt(0)
	ds_write_b16 v14, v1
	ds_write_b16 v14, v2 offset:1024
	ds_write_b16 v14, v3 offset:2048
	ds_write_b16 v14, v4 offset:3072
	ds_write_b16 v14, v5 offset:4096
	ds_write_b16 v14, v6 offset:5120
	ds_write_b16 v14, v7 offset:6144
	ds_write_b16 v14, v8 offset:7168
	ds_write_b16 v14, v9 offset:8192
	ds_write_b16 v14, v10 offset:9216
	ds_write_b16 v14, v11 offset:10240
	ds_write_b16 v14, v12 offset:11264
	ds_write_b16 v14, v13 offset:12288
	ds_write_b16 v14, v15 offset:13312
	ds_write_b16 v14, v16 offset:14336
	ds_write_b16 v14, v17 offset:15360
	ds_write_b16 v14, v18 offset:16384
	ds_write_b16 v14, v19 offset:17408
	ds_write_b16 v14, v20 offset:18432
	ds_write_b16 v14, v21 offset:19456
	ds_write_b16 v14, v22 offset:20480
	ds_write_b16 v14, v23 offset:21504
	ds_write_b16 v14, v24 offset:22528
	ds_write_b16 v14, v25 offset:23552
	ds_write_b16 v14, v26 offset:24576
	ds_write_b16 v14, v27 offset:25600
	ds_write_b16 v14, v28 offset:26624
	ds_write_b16 v14, v29 offset:27648
	s_waitcnt lgkmcnt(0)
	s_barrier
.LBB658_60:
	v_mul_u32_u24_e32 v1, 28, v0
	v_lshlrev_b32_e32 v6, 1, v1
	s_waitcnt lgkmcnt(0)
	ds_read_b64 v[16:17], v6 offset:48
	ds_read2_b64 v[2:5], v6 offset0:4 offset1:5
	ds_read2_b64 v[10:13], v6 offset1:1
	ds_read2_b64 v[6:9], v6 offset0:2 offset1:3
	s_add_u32 s3, s6, s8
	s_addc_u32 s5, s7, s9
	s_add_u32 s4, s3, s30
	s_addc_u32 s5, s5, s31
	s_mov_b64 s[6:7], -1
	s_and_b64 vcc, exec, s[24:25]
	s_waitcnt lgkmcnt(0)
	s_barrier
	s_cbranch_vccz .LBB658_62
; %bb.61:
	v_mov_b32_e32 v15, 0
	v_lshl_add_u64 v[18:19], s[4:5], 0, v[14:15]
	global_load_ushort v15, v14, s[4:5]
	global_load_ushort v26, v14, s[4:5] offset:1024
	global_load_ushort v27, v14, s[4:5] offset:2048
	;; [unrolled: 1-line block ×3, first 2 shown]
	s_movk_i32 s3, 0x1000
	v_add_co_u32_e32 v20, vcc, s3, v18
	s_movk_i32 s3, 0x2000
	s_nop 0
	v_addc_co_u32_e32 v21, vcc, 0, v19, vcc
	v_add_co_u32_e32 v22, vcc, s3, v18
	s_movk_i32 s3, 0x3000
	s_nop 0
	v_addc_co_u32_e32 v23, vcc, 0, v19, vcc
	global_load_ushort v29, v[20:21], off offset:1024
	global_load_ushort v30, v[20:21], off offset:2048
	;; [unrolled: 1-line block ×3, first 2 shown]
	global_load_ushort v32, v[22:23], off offset:-4096
	global_load_ushort v33, v[22:23], off
	global_load_ushort v34, v[22:23], off offset:1024
	global_load_ushort v35, v[22:23], off offset:2048
	v_add_co_u32_e32 v20, vcc, s3, v18
	s_movk_i32 s3, 0x4000
	s_nop 0
	v_addc_co_u32_e32 v21, vcc, 0, v19, vcc
	v_add_co_u32_e32 v24, vcc, s3, v18
	s_movk_i32 s6, 0x6000
	s_nop 0
	v_addc_co_u32_e32 v25, vcc, 0, v19, vcc
	global_load_ushort v36, v[22:23], off offset:3072
	global_load_ushort v37, v[24:25], off offset:-4096
	global_load_ushort v38, v[20:21], off offset:1024
	global_load_ushort v39, v[20:21], off offset:2048
	;; [unrolled: 1-line block ×3, first 2 shown]
	global_load_ushort v41, v[24:25], off
	v_add_co_u32_e32 v20, vcc, s6, v18
	s_movk_i32 s3, 0x5000
	s_nop 0
	v_addc_co_u32_e32 v21, vcc, 0, v19, vcc
	global_load_ushort v22, v[24:25], off offset:1024
	global_load_ushort v23, v[24:25], off offset:2048
	;; [unrolled: 1-line block ×3, first 2 shown]
	global_load_ushort v43, v[20:21], off offset:-4096
	v_add_co_u32_e32 v18, vcc, s3, v18
	s_mov_b64 s[6:7], 0
	s_nop 0
	v_addc_co_u32_e32 v19, vcc, 0, v19, vcc
	global_load_ushort v24, v[18:19], off offset:1024
	global_load_ushort v25, v[18:19], off offset:2048
	;; [unrolled: 1-line block ×3, first 2 shown]
	global_load_ushort v45, v[20:21], off
	global_load_ushort v46, v[20:21], off offset:1024
	global_load_ushort v47, v[20:21], off offset:2048
	;; [unrolled: 1-line block ×3, first 2 shown]
	s_waitcnt vmcnt(27)
	v_cmp_ne_u16_e32 vcc, 0, v15
	s_nop 1
	v_cndmask_b32_e64 v15, 0, 1, vcc
	s_waitcnt vmcnt(26)
	v_cmp_ne_u16_e32 vcc, 0, v26
	s_nop 1
	v_cndmask_b32_e64 v18, 0, 1, vcc
	;; [unrolled: 4-line block ×28, first 2 shown]
	ds_write_b8 v0, v15
	ds_write_b8 v0, v18 offset:512
	ds_write_b8 v0, v19 offset:1024
	ds_write_b8 v0, v20 offset:1536
	ds_write_b8 v0, v28 offset:2048
	ds_write_b8 v0, v21 offset:2560
	ds_write_b8 v0, v26 offset:3072
	ds_write_b8 v0, v27 offset:3584
	ds_write_b8 v0, v29 offset:4096
	ds_write_b8 v0, v30 offset:4608
	ds_write_b8 v0, v31 offset:5120
	ds_write_b8 v0, v32 offset:5632
	ds_write_b8 v0, v33 offset:6144
	ds_write_b8 v0, v34 offset:6656
	ds_write_b8 v0, v35 offset:7168
	ds_write_b8 v0, v36 offset:7680
	ds_write_b8 v0, v37 offset:8192
	ds_write_b8 v0, v22 offset:8704
	ds_write_b8 v0, v23 offset:9216
	ds_write_b8 v0, v38 offset:9728
	ds_write_b8 v0, v39 offset:10240
	ds_write_b8 v0, v24 offset:10752
	ds_write_b8 v0, v25 offset:11264
	ds_write_b8 v0, v40 offset:11776
	ds_write_b8 v0, v41 offset:12288
	ds_write_b8 v0, v42 offset:12800
	ds_write_b8 v0, v43 offset:13312
	ds_write_b8 v0, v44 offset:13824
	s_waitcnt lgkmcnt(0)
	s_barrier
.LBB658_62:
	s_load_dwordx2 s[34:35], s[0:1], 0x70
	s_andn2_b64 vcc, exec, s[6:7]
	s_cbranch_vccnz .LBB658_120
; %bb.63:
	v_cmp_gt_u32_e32 vcc, s33, v0
	v_mov_b32_e32 v15, 0
	v_mov_b32_e32 v18, 0
	s_and_saveexec_b64 s[6:7], vcc
	s_cbranch_execz .LBB658_65
; %bb.64:
	global_load_ushort v18, v14, s[4:5]
	s_waitcnt vmcnt(0)
	v_cmp_ne_u16_e32 vcc, 0, v18
	s_nop 1
	v_cndmask_b32_e64 v18, 0, 1, vcc
.LBB658_65:
	s_or_b64 exec, exec, s[6:7]
	v_or_b32_e32 v19, 0x200, v0
	v_cmp_gt_u32_e32 vcc, s33, v19
	s_and_saveexec_b64 s[6:7], vcc
	s_cbranch_execz .LBB658_67
; %bb.66:
	global_load_ushort v15, v14, s[4:5] offset:1024
	s_waitcnt vmcnt(0)
	v_cmp_ne_u16_e32 vcc, 0, v15
	s_nop 1
	v_cndmask_b32_e64 v15, 0, 1, vcc
.LBB658_67:
	s_or_b64 exec, exec, s[6:7]
	v_or_b32_e32 v19, 0x400, v0
	v_cmp_gt_u32_e32 vcc, s33, v19
	v_mov_b32_e32 v19, 0
	v_mov_b32_e32 v20, 0
	s_and_saveexec_b64 s[6:7], vcc
	s_cbranch_execz .LBB658_69
; %bb.68:
	global_load_ushort v20, v14, s[4:5] offset:2048
	s_waitcnt vmcnt(0)
	v_cmp_ne_u16_e32 vcc, 0, v20
	s_nop 1
	v_cndmask_b32_e64 v20, 0, 1, vcc
.LBB658_69:
	s_or_b64 exec, exec, s[6:7]
	v_or_b32_e32 v21, 0x600, v0
	v_cmp_gt_u32_e32 vcc, s33, v21
	s_and_saveexec_b64 s[6:7], vcc
	s_cbranch_execz .LBB658_71
; %bb.70:
	global_load_ushort v19, v14, s[4:5] offset:3072
	s_waitcnt vmcnt(0)
	v_cmp_ne_u16_e32 vcc, 0, v19
	s_nop 1
	v_cndmask_b32_e64 v19, 0, 1, vcc
.LBB658_71:
	s_or_b64 exec, exec, s[6:7]
	v_or_b32_e32 v23, 0x800, v0
	v_cmp_gt_u32_e32 vcc, s33, v23
	v_mov_b32_e32 v21, 0
	v_mov_b32_e32 v22, 0
	s_and_saveexec_b64 s[6:7], vcc
	s_cbranch_execz .LBB658_73
; %bb.72:
	v_lshlrev_b32_e32 v22, 1, v23
	global_load_ushort v22, v22, s[4:5]
	s_waitcnt vmcnt(0)
	v_cmp_ne_u16_e32 vcc, 0, v22
	s_nop 1
	v_cndmask_b32_e64 v22, 0, 1, vcc
.LBB658_73:
	s_or_b64 exec, exec, s[6:7]
	v_or_b32_e32 v23, 0xa00, v0
	v_cmp_gt_u32_e32 vcc, s33, v23
	s_and_saveexec_b64 s[6:7], vcc
	s_cbranch_execz .LBB658_75
; %bb.74:
	v_lshlrev_b32_e32 v21, 1, v23
	global_load_ushort v21, v21, s[4:5]
	s_waitcnt vmcnt(0)
	v_cmp_ne_u16_e32 vcc, 0, v21
	s_nop 1
	v_cndmask_b32_e64 v21, 0, 1, vcc
.LBB658_75:
	s_or_b64 exec, exec, s[6:7]
	v_or_b32_e32 v25, 0xc00, v0
	v_cmp_gt_u32_e32 vcc, s33, v25
	v_mov_b32_e32 v23, 0
	v_mov_b32_e32 v24, 0
	s_and_saveexec_b64 s[6:7], vcc
	s_cbranch_execz .LBB658_77
; %bb.76:
	v_lshlrev_b32_e32 v24, 1, v25
	global_load_ushort v24, v24, s[4:5]
	s_waitcnt vmcnt(0)
	v_cmp_ne_u16_e32 vcc, 0, v24
	s_nop 1
	v_cndmask_b32_e64 v24, 0, 1, vcc
.LBB658_77:
	s_or_b64 exec, exec, s[6:7]
	v_or_b32_e32 v25, 0xe00, v0
	v_cmp_gt_u32_e32 vcc, s33, v25
	s_and_saveexec_b64 s[6:7], vcc
	s_cbranch_execz .LBB658_79
; %bb.78:
	v_lshlrev_b32_e32 v23, 1, v25
	global_load_ushort v23, v23, s[4:5]
	s_waitcnt vmcnt(0)
	v_cmp_ne_u16_e32 vcc, 0, v23
	s_nop 1
	v_cndmask_b32_e64 v23, 0, 1, vcc
.LBB658_79:
	;; [unrolled: 28-line block ×12, first 2 shown]
	s_or_b64 exec, exec, s[6:7]
	ds_write_b8 v0, v18
	ds_write_b8 v0, v15 offset:512
	ds_write_b8 v0, v20 offset:1024
	;; [unrolled: 1-line block ×27, first 2 shown]
	s_waitcnt lgkmcnt(0)
	s_barrier
.LBB658_120:
	s_waitcnt lgkmcnt(0)
	ds_read2_b32 v[24:25], v1 offset1:1
	ds_read2_b32 v[22:23], v1 offset0:2 offset1:3
	ds_read2_b32 v[20:21], v1 offset0:4 offset1:5
	ds_read_b32 v34, v1 offset:24
	s_cmp_lg_u32 s2, 0
	v_lshrrev_b32_e32 v61, 6, v0
	s_waitcnt lgkmcnt(2)
	v_and_b32_e32 v53, 0xff, v22
	v_lshrrev_b32_e32 v41, 24, v24
	v_bfe_u32 v59, v24, 16, 8
	v_add_u32_sdwa v18, v24, v24 dst_sel:DWORD dst_unused:UNUSED_PAD src0_sel:BYTE_1 src1_sel:BYTE_0
	v_and_b32_e32 v56, 0xff, v25
	v_bfe_u32 v57, v25, 8, 8
	v_add3_u32 v18, v18, v59, v41
	v_lshrrev_b32_e32 v40, 24, v25
	v_bfe_u32 v58, v25, 16, 8
	v_add3_u32 v18, v18, v56, v57
	v_bfe_u32 v54, v22, 8, 8
	v_add3_u32 v18, v18, v58, v40
	v_lshrrev_b32_e32 v39, 24, v22
	v_bfe_u32 v55, v22, 16, 8
	v_add3_u32 v18, v18, v53, v54
	v_and_b32_e32 v50, 0xff, v23
	v_bfe_u32 v51, v23, 8, 8
	v_add3_u32 v18, v18, v55, v39
	v_lshrrev_b32_e32 v38, 24, v23
	v_bfe_u32 v52, v23, 16, 8
	v_add3_u32 v18, v18, v50, v51
	s_waitcnt lgkmcnt(1)
	v_and_b32_e32 v47, 0xff, v20
	v_bfe_u32 v48, v20, 8, 8
	v_add3_u32 v18, v18, v52, v38
	v_lshrrev_b32_e32 v37, 24, v20
	v_bfe_u32 v49, v20, 16, 8
	v_add3_u32 v18, v18, v47, v48
	v_and_b32_e32 v44, 0xff, v21
	v_bfe_u32 v45, v21, 8, 8
	v_add3_u32 v18, v18, v49, v37
	v_lshrrev_b32_e32 v36, 24, v21
	v_bfe_u32 v46, v21, 16, 8
	v_add3_u32 v18, v18, v44, v45
	s_waitcnt lgkmcnt(0)
	v_and_b32_e32 v42, 0xff, v34
	v_bfe_u32 v43, v34, 8, 8
	v_add3_u32 v18, v18, v46, v36
	v_lshrrev_b32_e32 v15, 24, v34
	v_bfe_u32 v35, v34, 16, 8
	v_add3_u32 v18, v18, v42, v43
	v_add3_u32 v62, v18, v35, v15
	v_mbcnt_lo_u32_b32 v18, -1, 0
	v_mbcnt_hi_u32_b32 v60, -1, v18
	v_and_b32_e32 v18, 15, v60
	v_cmp_eq_u32_e64 s[14:15], 0, v18
	v_cmp_lt_u32_e64 s[12:13], 1, v18
	v_cmp_lt_u32_e64 s[10:11], 3, v18
	v_cmp_lt_u32_e64 s[8:9], 7, v18
	v_and_b32_e32 v18, 16, v60
	v_cmp_eq_u32_e64 s[6:7], 0, v18
	v_or_b32_e32 v18, 63, v0
	v_cmp_lt_u32_e64 s[18:19], 31, v60
	v_cmp_eq_u32_e64 s[4:5], v18, v0
	s_barrier
	s_cbranch_scc0 .LBB658_151
; %bb.121:
	v_mov_b32_dpp v18, v62 row_shr:1 row_mask:0xf bank_mask:0xf
	v_cndmask_b32_e64 v18, v18, 0, s[14:15]
	v_add_u32_e32 v18, v18, v62
	s_nop 1
	v_mov_b32_dpp v19, v18 row_shr:2 row_mask:0xf bank_mask:0xf
	v_cndmask_b32_e64 v19, 0, v19, s[12:13]
	v_add_u32_e32 v18, v18, v19
	s_nop 1
	;; [unrolled: 4-line block ×4, first 2 shown]
	v_mov_b32_dpp v19, v18 row_bcast:15 row_mask:0xf bank_mask:0xf
	v_cndmask_b32_e64 v19, v19, 0, s[6:7]
	v_add_u32_e32 v18, v18, v19
	s_nop 1
	v_mov_b32_dpp v19, v18 row_bcast:31 row_mask:0xf bank_mask:0xf
	v_cndmask_b32_e64 v19, 0, v19, s[18:19]
	v_add_u32_e32 v18, v18, v19
	s_and_saveexec_b64 s[16:17], s[4:5]
	s_cbranch_execz .LBB658_123
; %bb.122:
	v_lshlrev_b32_e32 v19, 2, v61
	ds_write_b32 v19, v18
.LBB658_123:
	s_or_b64 exec, exec, s[16:17]
	v_cmp_gt_u32_e32 vcc, 8, v0
	s_waitcnt lgkmcnt(0)
	s_barrier
	s_and_saveexec_b64 s[16:17], vcc
	s_cbranch_execz .LBB658_125
; %bb.124:
	v_lshlrev_b32_e32 v19, 2, v0
	ds_read_b32 v26, v19
	v_and_b32_e32 v27, 7, v60
	v_cmp_ne_u32_e32 vcc, 0, v27
	s_waitcnt lgkmcnt(0)
	v_mov_b32_dpp v28, v26 row_shr:1 row_mask:0xf bank_mask:0xf
	v_cndmask_b32_e32 v28, 0, v28, vcc
	v_add_u32_e32 v26, v28, v26
	v_cmp_lt_u32_e32 vcc, 1, v27
	s_nop 0
	v_mov_b32_dpp v28, v26 row_shr:2 row_mask:0xf bank_mask:0xf
	v_cndmask_b32_e32 v28, 0, v28, vcc
	v_add_u32_e32 v26, v26, v28
	v_cmp_lt_u32_e32 vcc, 3, v27
	s_nop 0
	v_mov_b32_dpp v28, v26 row_shr:4 row_mask:0xf bank_mask:0xf
	v_cndmask_b32_e32 v27, 0, v28, vcc
	v_add_u32_e32 v26, v26, v27
	ds_write_b32 v19, v26
.LBB658_125:
	s_or_b64 exec, exec, s[16:17]
	v_cmp_gt_u32_e32 vcc, 64, v0
	v_cmp_lt_u32_e64 s[16:17], 63, v0
	s_waitcnt lgkmcnt(0)
	s_barrier
	s_waitcnt lgkmcnt(0)
                                        ; implicit-def: $vgpr63
	s_and_saveexec_b64 s[36:37], s[16:17]
	s_cbranch_execz .LBB658_127
; %bb.126:
	v_lshl_add_u32 v19, v61, 2, -4
	ds_read_b32 v63, v19
	s_waitcnt lgkmcnt(0)
	v_add_u32_e32 v18, v63, v18
.LBB658_127:
	s_or_b64 exec, exec, s[36:37]
	v_add_u32_e32 v19, -1, v60
	v_and_b32_e32 v26, 64, v60
	v_cmp_lt_i32_e64 s[16:17], v19, v26
	s_nop 1
	v_cndmask_b32_e64 v19, v19, v60, s[16:17]
	v_lshlrev_b32_e32 v19, 2, v19
	ds_bpermute_b32 v64, v19, v18
	v_cmp_eq_u32_e64 s[16:17], 0, v60
	s_and_saveexec_b64 s[36:37], vcc
	s_cbranch_execz .LBB658_150
; %bb.128:
	v_mov_b32_e32 v33, 0
	ds_read_b32 v18, v33 offset:28
	s_and_saveexec_b64 s[38:39], s[16:17]
	s_cbranch_execz .LBB658_130
; %bb.129:
	s_add_i32 s40, s2, 64
	s_mov_b32 s41, 0
	s_lshl_b64 s[40:41], s[40:41], 3
	s_add_u32 s40, s34, s40
	v_mov_b32_e32 v19, 1
	s_addc_u32 s41, s35, s41
	s_waitcnt lgkmcnt(0)
	global_store_dwordx2 v33, v[18:19], s[40:41] sc1
.LBB658_130:
	s_or_b64 exec, exec, s[38:39]
	v_xad_u32 v26, v60, -1, s2
	v_add_u32_e32 v32, 64, v26
	v_lshl_add_u64 v[28:29], v[32:33], 3, s[34:35]
	global_load_dwordx2 v[30:31], v[28:29], off sc1
	s_waitcnt vmcnt(0)
	v_cmp_eq_u16_sdwa s[40:41], v31, v33 src0_sel:BYTE_0 src1_sel:DWORD
	s_and_saveexec_b64 s[38:39], s[40:41]
	s_cbranch_execz .LBB658_136
; %bb.131:
	s_mov_b32 s3, 1
	s_mov_b64 s[40:41], 0
	v_mov_b32_e32 v19, 0
.LBB658_132:                            ; =>This Loop Header: Depth=1
                                        ;     Child Loop BB658_133 Depth 2
	s_max_u32 s42, s3, 1
.LBB658_133:                            ;   Parent Loop BB658_132 Depth=1
                                        ; =>  This Inner Loop Header: Depth=2
	s_add_i32 s42, s42, -1
	s_cmp_eq_u32 s42, 0
	s_sleep 1
	s_cbranch_scc0 .LBB658_133
; %bb.134:                              ;   in Loop: Header=BB658_132 Depth=1
	global_load_dwordx2 v[30:31], v[28:29], off sc1
	s_cmp_lt_u32 s3, 32
	s_cselect_b64 s[42:43], -1, 0
	s_cmp_lg_u64 s[42:43], 0
	s_addc_u32 s3, s3, 0
	s_waitcnt vmcnt(0)
	v_cmp_ne_u16_sdwa s[42:43], v31, v19 src0_sel:BYTE_0 src1_sel:DWORD
	s_or_b64 s[40:41], s[42:43], s[40:41]
	s_andn2_b64 exec, exec, s[40:41]
	s_cbranch_execnz .LBB658_132
; %bb.135:
	s_or_b64 exec, exec, s[40:41]
.LBB658_136:
	s_or_b64 exec, exec, s[38:39]
	v_and_b32_e32 v66, 63, v60
	v_mov_b32_e32 v65, 2
	v_cmp_ne_u32_e32 vcc, 63, v66
	v_cmp_eq_u16_sdwa s[38:39], v31, v65 src0_sel:BYTE_0 src1_sel:DWORD
	v_lshlrev_b64 v[28:29], v60, -1
	v_addc_co_u32_e32 v32, vcc, 0, v60, vcc
	v_and_b32_e32 v19, s39, v29
	v_lshlrev_b32_e32 v67, 2, v32
	v_or_b32_e32 v19, 0x80000000, v19
	ds_bpermute_b32 v32, v67, v30
	v_and_b32_e32 v27, s38, v28
	v_ffbl_b32_e32 v19, v19
	v_add_u32_e32 v19, 32, v19
	v_ffbl_b32_e32 v27, v27
	v_min_u32_e32 v19, v27, v19
	v_cmp_lt_u32_e32 vcc, v66, v19
	v_add_u32_e32 v69, 2, v66
	v_add_u32_e32 v71, 4, v66
	s_waitcnt lgkmcnt(0)
	v_cndmask_b32_e32 v27, 0, v32, vcc
	v_cmp_gt_u32_e32 vcc, 62, v66
	v_add_u32_e32 v27, v27, v30
	v_add_u32_e32 v73, 8, v66
	v_cndmask_b32_e64 v30, 0, 1, vcc
	v_lshlrev_b32_e32 v30, 1, v30
	v_add_lshl_u32 v68, v30, v60, 2
	ds_bpermute_b32 v30, v68, v27
	v_cmp_le_u32_e32 vcc, v69, v19
	v_add_u32_e32 v75, 16, v66
	v_add_u32_e32 v77, 32, v66
	s_waitcnt lgkmcnt(0)
	v_cndmask_b32_e32 v30, 0, v30, vcc
	v_cmp_gt_u32_e32 vcc, 60, v66
	v_add_u32_e32 v27, v27, v30
	s_nop 0
	v_cndmask_b32_e64 v30, 0, 1, vcc
	v_lshlrev_b32_e32 v30, 2, v30
	v_add_lshl_u32 v70, v30, v60, 2
	ds_bpermute_b32 v30, v70, v27
	v_cmp_le_u32_e32 vcc, v71, v19
	s_waitcnt lgkmcnt(0)
	s_nop 0
	v_cndmask_b32_e32 v30, 0, v30, vcc
	v_cmp_gt_u32_e32 vcc, 56, v66
	v_add_u32_e32 v27, v27, v30
	s_nop 0
	v_cndmask_b32_e64 v30, 0, 1, vcc
	v_lshlrev_b32_e32 v30, 3, v30
	v_add_lshl_u32 v72, v30, v60, 2
	ds_bpermute_b32 v30, v72, v27
	v_cmp_le_u32_e32 vcc, v73, v19
	s_waitcnt lgkmcnt(0)
	s_nop 0
	;; [unrolled: 11-line block ×4, first 2 shown]
	v_cndmask_b32_e32 v19, 0, v30, vcc
	v_add_u32_e32 v30, v27, v19
	v_mov_b32_e32 v27, 0
	s_branch .LBB658_138
.LBB658_137:                            ;   in Loop: Header=BB658_138 Depth=1
	s_or_b64 exec, exec, s[38:39]
	v_cmp_eq_u16_sdwa s[38:39], v31, v65 src0_sel:BYTE_0 src1_sel:DWORD
	ds_bpermute_b32 v78, v67, v30
	v_subrev_u32_e32 v26, 64, v26
	v_and_b32_e32 v32, s39, v29
	v_or_b32_e32 v32, 0x80000000, v32
	v_and_b32_e32 v33, s38, v28
	v_ffbl_b32_e32 v32, v32
	v_add_u32_e32 v32, 32, v32
	v_ffbl_b32_e32 v33, v33
	v_min_u32_e32 v32, v33, v32
	v_cmp_lt_u32_e32 vcc, v66, v32
	s_waitcnt lgkmcnt(0)
	s_nop 0
	v_cndmask_b32_e32 v33, 0, v78, vcc
	v_add_u32_e32 v30, v33, v30
	ds_bpermute_b32 v33, v68, v30
	v_cmp_le_u32_e32 vcc, v69, v32
	s_waitcnt lgkmcnt(0)
	s_nop 0
	v_cndmask_b32_e32 v33, 0, v33, vcc
	v_add_u32_e32 v30, v30, v33
	ds_bpermute_b32 v33, v70, v30
	v_cmp_le_u32_e32 vcc, v71, v32
	;; [unrolled: 6-line block ×5, first 2 shown]
	s_waitcnt lgkmcnt(0)
	s_nop 0
	v_cndmask_b32_e32 v32, 0, v33, vcc
	v_add3_u32 v30, v32, v19, v30
.LBB658_138:                            ; =>This Loop Header: Depth=1
                                        ;     Child Loop BB658_141 Depth 2
                                        ;       Child Loop BB658_142 Depth 3
	v_cmp_ne_u16_sdwa s[38:39], v31, v65 src0_sel:BYTE_0 src1_sel:DWORD
	s_nop 1
	v_cndmask_b32_e64 v19, 0, 1, s[38:39]
	;;#ASMSTART
	;;#ASMEND
	s_nop 0
	v_cmp_ne_u32_e32 vcc, 0, v19
	s_cmp_lg_u64 vcc, exec
	v_mov_b32_e32 v19, v30
	s_cbranch_scc1 .LBB658_145
; %bb.139:                              ;   in Loop: Header=BB658_138 Depth=1
	v_lshl_add_u64 v[32:33], v[26:27], 3, s[34:35]
	global_load_dwordx2 v[30:31], v[32:33], off sc1
	s_waitcnt vmcnt(0)
	v_cmp_eq_u16_sdwa s[40:41], v31, v27 src0_sel:BYTE_0 src1_sel:DWORD
	s_and_saveexec_b64 s[38:39], s[40:41]
	s_cbranch_execz .LBB658_137
; %bb.140:                              ;   in Loop: Header=BB658_138 Depth=1
	s_mov_b32 s3, 1
	s_mov_b64 s[40:41], 0
.LBB658_141:                            ;   Parent Loop BB658_138 Depth=1
                                        ; =>  This Loop Header: Depth=2
                                        ;       Child Loop BB658_142 Depth 3
	s_max_u32 s42, s3, 1
.LBB658_142:                            ;   Parent Loop BB658_138 Depth=1
                                        ;     Parent Loop BB658_141 Depth=2
                                        ; =>    This Inner Loop Header: Depth=3
	s_add_i32 s42, s42, -1
	s_cmp_eq_u32 s42, 0
	s_sleep 1
	s_cbranch_scc0 .LBB658_142
; %bb.143:                              ;   in Loop: Header=BB658_141 Depth=2
	global_load_dwordx2 v[30:31], v[32:33], off sc1
	s_cmp_lt_u32 s3, 32
	s_cselect_b64 s[42:43], -1, 0
	s_cmp_lg_u64 s[42:43], 0
	s_addc_u32 s3, s3, 0
	s_waitcnt vmcnt(0)
	v_cmp_ne_u16_sdwa s[42:43], v31, v27 src0_sel:BYTE_0 src1_sel:DWORD
	s_or_b64 s[40:41], s[42:43], s[40:41]
	s_andn2_b64 exec, exec, s[40:41]
	s_cbranch_execnz .LBB658_141
; %bb.144:                              ;   in Loop: Header=BB658_138 Depth=1
	s_or_b64 exec, exec, s[40:41]
	s_branch .LBB658_137
.LBB658_145:                            ;   in Loop: Header=BB658_138 Depth=1
                                        ; implicit-def: $vgpr30
                                        ; implicit-def: $vgpr31
	s_cbranch_execz .LBB658_138
; %bb.146:
	s_and_saveexec_b64 s[38:39], s[16:17]
	s_cbranch_execz .LBB658_148
; %bb.147:
	s_add_i32 s2, s2, 64
	s_mov_b32 s3, 0
	s_lshl_b64 s[2:3], s[2:3], 3
	s_add_u32 s2, s34, s2
	v_add_u32_e32 v26, v19, v18
	v_mov_b32_e32 v27, 2
	s_addc_u32 s3, s35, s3
	v_mov_b32_e32 v28, 0
	global_store_dwordx2 v28, v[26:27], s[2:3] sc1
	ds_write_b64 v28, v[18:19] offset:28672
.LBB658_148:
	s_or_b64 exec, exec, s[38:39]
	v_cmp_eq_u32_e32 vcc, 0, v0
	s_and_b64 exec, exec, vcc
	s_cbranch_execz .LBB658_150
; %bb.149:
	v_mov_b32_e32 v18, 0
	ds_write_b32 v18, v19 offset:28
.LBB658_150:
	s_or_b64 exec, exec, s[36:37]
	v_mov_b32_e32 v18, 0
	s_waitcnt lgkmcnt(0)
	s_barrier
	ds_read_b32 v27, v18 offset:28
	s_waitcnt lgkmcnt(0)
	s_barrier
	ds_read_b64 v[18:19], v18 offset:28672
	v_cndmask_b32_e64 v26, v64, v63, s[16:17]
	v_cmp_ne_u32_e32 vcc, 0, v0
	s_nop 1
	v_cndmask_b32_e32 v26, 0, v26, vcc
	v_add_u32_e32 v32, v27, v26
	s_waitcnt lgkmcnt(0)
	v_mov_b32_e32 v26, v19
	s_branch .LBB658_161
.LBB658_151:
                                        ; implicit-def: $vgpr26
                                        ; implicit-def: $vgpr18
                                        ; implicit-def: $vgpr32
	s_cbranch_execz .LBB658_161
; %bb.152:
	s_nop 0
	v_mov_b32_dpp v18, v62 row_shr:1 row_mask:0xf bank_mask:0xf
	v_cndmask_b32_e64 v18, v18, 0, s[14:15]
	v_add_u32_e32 v18, v18, v62
	s_nop 1
	v_mov_b32_dpp v19, v18 row_shr:2 row_mask:0xf bank_mask:0xf
	v_cndmask_b32_e64 v19, 0, v19, s[12:13]
	v_add_u32_e32 v18, v18, v19
	;; [unrolled: 4-line block ×4, first 2 shown]
	s_nop 1
	v_mov_b32_dpp v19, v18 row_bcast:15 row_mask:0xf bank_mask:0xf
	v_cndmask_b32_e64 v19, v19, 0, s[6:7]
	v_add_u32_e32 v18, v18, v19
	s_nop 1
	v_mov_b32_dpp v19, v18 row_bcast:31 row_mask:0xf bank_mask:0xf
	v_cndmask_b32_e64 v19, 0, v19, s[18:19]
	v_add_u32_e32 v18, v18, v19
	s_and_saveexec_b64 s[2:3], s[4:5]
	s_cbranch_execz .LBB658_154
; %bb.153:
	v_lshlrev_b32_e32 v19, 2, v61
	ds_write_b32 v19, v18
.LBB658_154:
	s_or_b64 exec, exec, s[2:3]
	v_cmp_gt_u32_e32 vcc, 8, v0
	s_waitcnt lgkmcnt(0)
	s_barrier
	s_and_saveexec_b64 s[2:3], vcc
	s_cbranch_execz .LBB658_156
; %bb.155:
	v_lshlrev_b32_e32 v19, 2, v0
	ds_read_b32 v26, v19
	v_and_b32_e32 v27, 7, v60
	v_cmp_ne_u32_e32 vcc, 0, v27
	s_waitcnt lgkmcnt(0)
	v_mov_b32_dpp v28, v26 row_shr:1 row_mask:0xf bank_mask:0xf
	v_cndmask_b32_e32 v28, 0, v28, vcc
	v_add_u32_e32 v26, v28, v26
	v_cmp_lt_u32_e32 vcc, 1, v27
	s_nop 0
	v_mov_b32_dpp v28, v26 row_shr:2 row_mask:0xf bank_mask:0xf
	v_cndmask_b32_e32 v28, 0, v28, vcc
	v_add_u32_e32 v26, v26, v28
	v_cmp_lt_u32_e32 vcc, 3, v27
	s_nop 0
	v_mov_b32_dpp v28, v26 row_shr:4 row_mask:0xf bank_mask:0xf
	v_cndmask_b32_e32 v27, 0, v28, vcc
	v_add_u32_e32 v26, v26, v27
	ds_write_b32 v19, v26
.LBB658_156:
	s_or_b64 exec, exec, s[2:3]
	v_cmp_lt_u32_e32 vcc, 63, v0
	v_mov_b32_e32 v19, 0
	v_mov_b32_e32 v26, 0
	s_waitcnt lgkmcnt(0)
	s_barrier
	s_and_saveexec_b64 s[2:3], vcc
	s_cbranch_execz .LBB658_158
; %bb.157:
	v_lshl_add_u32 v26, v61, 2, -4
	ds_read_b32 v26, v26
.LBB658_158:
	s_or_b64 exec, exec, s[2:3]
	v_add_u32_e32 v27, -1, v60
	v_and_b32_e32 v28, 64, v60
	v_cmp_lt_i32_e32 vcc, v27, v28
	s_waitcnt lgkmcnt(0)
	v_add_u32_e32 v18, v26, v18
	v_cndmask_b32_e32 v27, v27, v60, vcc
	v_lshlrev_b32_e32 v27, 2, v27
	ds_bpermute_b32 v27, v27, v18
	ds_read_b32 v18, v19 offset:28
	v_cmp_eq_u32_e32 vcc, 0, v0
	s_and_saveexec_b64 s[2:3], vcc
	s_cbranch_execz .LBB658_160
; %bb.159:
	v_mov_b32_e32 v28, 0
	v_mov_b32_e32 v19, 2
	s_waitcnt lgkmcnt(0)
	global_store_dwordx2 v28, v[18:19], s[34:35] offset:512 sc1
.LBB658_160:
	s_or_b64 exec, exec, s[2:3]
	v_cmp_eq_u32_e64 s[2:3], 0, v60
	s_waitcnt lgkmcnt(0)
	s_barrier
	v_cndmask_b32_e64 v19, v27, v26, s[2:3]
	v_mov_b32_e32 v26, 0
	v_cndmask_b32_e64 v32, v19, 0, vcc
.LBB658_161:
	v_add_u32_sdwa v60, v32, v24 dst_sel:DWORD dst_unused:UNUSED_PAD src0_sel:DWORD src1_sel:BYTE_0
	v_add_u32_e32 v1, v18, v1
	v_sub_u32_e32 v32, v32, v26
	v_and_b32_e32 v69, 1, v24
	v_sub_u32_e32 v68, v1, v32
	v_cmp_eq_u32_e32 vcc, 1, v69
	v_lshrrev_b32_e32 v33, 8, v24
	v_add_u32_sdwa v61, v60, v24 dst_sel:DWORD dst_unused:UNUSED_PAD src0_sel:DWORD src1_sel:BYTE_1
	v_cndmask_b32_e32 v32, v68, v32, vcc
	v_lshlrev_b32_e32 v32, 1, v32
	ds_write_b16 v32, v10
	v_sub_u32_e32 v32, v60, v26
	v_sub_u32_e32 v60, v1, v32
	v_and_b32_e32 v33, 1, v33
	v_add_u32_e32 v60, 1, v60
	v_cmp_eq_u32_e32 vcc, 1, v33
	v_mov_b32_e32 v33, 1
	v_and_b32_sdwa v24, v33, v24 dst_sel:DWORD dst_unused:UNUSED_PAD src0_sel:DWORD src1_sel:WORD_1
	v_cndmask_b32_e32 v32, v60, v32, vcc
	v_lshlrev_b32_e32 v32, 1, v32
	ds_write_b16_d16_hi v32, v10
	v_sub_u32_e32 v10, v61, v26
	v_sub_u32_e32 v32, v1, v10
	v_add_u32_e32 v32, 2, v32
	v_cmp_eq_u32_e32 vcc, 1, v24
	v_add_u32_e32 v59, v61, v59
	v_add_u32_e32 v62, v59, v41
	v_cndmask_b32_e32 v10, v32, v10, vcc
	v_lshlrev_b32_e32 v10, 1, v10
	ds_write_b16 v10, v11
	v_sub_u32_e32 v10, v59, v26
	v_sub_u32_e32 v24, v1, v10
	v_and_b32_e32 v32, 1, v41
	v_add_u32_e32 v24, 3, v24
	v_cmp_eq_u32_e32 vcc, 1, v32
	v_add_u32_e32 v56, v62, v56
	v_lshrrev_b32_e32 v31, 8, v25
	v_cndmask_b32_e32 v10, v24, v10, vcc
	v_lshlrev_b32_e32 v10, 1, v10
	ds_write_b16_d16_hi v10, v11
	v_sub_u32_e32 v10, v62, v26
	v_sub_u32_e32 v11, v1, v10
	v_and_b32_e32 v24, 1, v25
	v_add_u32_e32 v11, 4, v11
	v_cmp_eq_u32_e32 vcc, 1, v24
	v_and_b32_e32 v24, 1, v31
	v_add_u32_e32 v57, v56, v57
	v_cndmask_b32_e32 v10, v11, v10, vcc
	v_lshlrev_b32_e32 v10, 1, v10
	ds_write_b16 v10, v12
	v_sub_u32_e32 v10, v56, v26
	v_sub_u32_e32 v11, v1, v10
	v_add_u32_e32 v11, 5, v11
	v_cmp_eq_u32_e32 vcc, 1, v24
	v_add_u32_e32 v58, v57, v58
	v_add_u32_e32 v63, v58, v40
	v_cndmask_b32_e32 v10, v11, v10, vcc
	v_lshlrev_b32_e32 v10, 1, v10
	ds_write_b16_d16_hi v10, v12
	v_sub_u32_e32 v10, v57, v26
	v_sub_u32_e32 v11, v1, v10
	v_and_b32_sdwa v12, v33, v25 dst_sel:DWORD dst_unused:UNUSED_PAD src0_sel:DWORD src1_sel:WORD_1
	v_add_u32_e32 v11, 6, v11
	v_cmp_eq_u32_e32 vcc, 1, v12
	v_and_b32_e32 v12, 1, v40
	v_add_u32_e32 v53, v63, v53
	v_cndmask_b32_e32 v10, v11, v10, vcc
	v_lshlrev_b32_e32 v10, 1, v10
	ds_write_b16 v10, v13
	v_sub_u32_e32 v10, v58, v26
	v_sub_u32_e32 v11, v1, v10
	v_add_u32_e32 v11, 7, v11
	v_cmp_eq_u32_e32 vcc, 1, v12
	v_and_b32_e32 v12, 1, v22
	v_lshrrev_b32_e32 v30, 8, v22
	v_cndmask_b32_e32 v10, v11, v10, vcc
	v_lshlrev_b32_e32 v10, 1, v10
	ds_write_b16_d16_hi v10, v13
	v_sub_u32_e32 v10, v63, v26
	v_sub_u32_e32 v11, v1, v10
	v_add_u32_e32 v11, 8, v11
	v_cmp_eq_u32_e32 vcc, 1, v12
	v_and_b32_e32 v12, 1, v30
	v_add_u32_e32 v54, v53, v54
	v_cndmask_b32_e32 v10, v11, v10, vcc
	v_lshlrev_b32_e32 v10, 1, v10
	ds_write_b16 v10, v6
	v_sub_u32_e32 v10, v53, v26
	v_sub_u32_e32 v11, v1, v10
	v_add_u32_e32 v11, 9, v11
	v_cmp_eq_u32_e32 vcc, 1, v12
	v_add_u32_e32 v55, v54, v55
	v_add_u32_e32 v64, v55, v39
	v_cndmask_b32_e32 v10, v11, v10, vcc
	v_lshlrev_b32_e32 v10, 1, v10
	ds_write_b16_d16_hi v10, v6
	v_sub_u32_e32 v6, v54, v26
	v_sub_u32_e32 v10, v1, v6
	v_and_b32_sdwa v11, v33, v22 dst_sel:DWORD dst_unused:UNUSED_PAD src0_sel:DWORD src1_sel:WORD_1
	v_add_u32_e32 v10, 10, v10
	v_cmp_eq_u32_e32 vcc, 1, v11
	v_and_b32_e32 v11, 1, v39
	v_add_u32_e32 v50, v64, v50
	v_cndmask_b32_e32 v6, v10, v6, vcc
	v_lshlrev_b32_e32 v6, 1, v6
	ds_write_b16 v6, v7
	v_sub_u32_e32 v6, v55, v26
	v_sub_u32_e32 v10, v1, v6
	v_add_u32_e32 v10, 11, v10
	v_cmp_eq_u32_e32 vcc, 1, v11
	v_lshrrev_b32_e32 v29, 8, v23
	v_add_u32_e32 v51, v50, v51
	v_cndmask_b32_e32 v6, v10, v6, vcc
	v_lshlrev_b32_e32 v6, 1, v6
	ds_write_b16_d16_hi v6, v7
	v_sub_u32_e32 v6, v64, v26
	v_sub_u32_e32 v7, v1, v6
	v_and_b32_e32 v10, 1, v23
	v_add_u32_e32 v7, 12, v7
	v_cmp_eq_u32_e32 vcc, 1, v10
	v_and_b32_e32 v10, 1, v29
	v_add_u32_e32 v52, v51, v52
	v_cndmask_b32_e32 v6, v7, v6, vcc
	v_lshlrev_b32_e32 v6, 1, v6
	ds_write_b16 v6, v8
	v_sub_u32_e32 v6, v50, v26
	v_sub_u32_e32 v7, v1, v6
	v_add_u32_e32 v7, 13, v7
	v_cmp_eq_u32_e32 vcc, 1, v10
	v_add_u32_e32 v65, v52, v38
	v_add_u32_e32 v47, v65, v47
	v_cndmask_b32_e32 v6, v7, v6, vcc
	v_lshlrev_b32_e32 v6, 1, v6
	ds_write_b16_d16_hi v6, v8
	v_sub_u32_e32 v6, v51, v26
	v_sub_u32_e32 v7, v1, v6
	v_and_b32_sdwa v8, v33, v23 dst_sel:DWORD dst_unused:UNUSED_PAD src0_sel:DWORD src1_sel:WORD_1
	v_add_u32_e32 v7, 14, v7
	v_cmp_eq_u32_e32 vcc, 1, v8
	v_and_b32_e32 v8, 1, v38
	v_lshrrev_b32_e32 v28, 8, v20
	v_cndmask_b32_e32 v6, v7, v6, vcc
	v_lshlrev_b32_e32 v6, 1, v6
	ds_write_b16 v6, v9
	v_sub_u32_e32 v6, v52, v26
	v_sub_u32_e32 v7, v1, v6
	v_add_u32_e32 v7, 15, v7
	v_cmp_eq_u32_e32 vcc, 1, v8
	v_and_b32_e32 v8, 1, v20
	v_add_u32_e32 v48, v47, v48
	v_cndmask_b32_e32 v6, v7, v6, vcc
	v_lshlrev_b32_e32 v6, 1, v6
	ds_write_b16_d16_hi v6, v9
	v_sub_u32_e32 v6, v65, v26
	v_sub_u32_e32 v7, v1, v6
	v_add_u32_e32 v7, 16, v7
	v_cmp_eq_u32_e32 vcc, 1, v8
	v_and_b32_e32 v8, 1, v28
	v_add_u32_e32 v49, v48, v49
	v_cndmask_b32_e32 v6, v7, v6, vcc
	v_lshlrev_b32_e32 v6, 1, v6
	ds_write_b16 v6, v2
	v_sub_u32_e32 v6, v47, v26
	v_sub_u32_e32 v7, v1, v6
	v_add_u32_e32 v7, 17, v7
	v_cmp_eq_u32_e32 vcc, 1, v8
	v_add_u32_e32 v66, v49, v37
	v_add_u32_e32 v44, v66, v44
	v_cndmask_b32_e32 v6, v7, v6, vcc
	v_lshlrev_b32_e32 v6, 1, v6
	ds_write_b16_d16_hi v6, v2
	v_sub_u32_e32 v2, v48, v26
	v_sub_u32_e32 v6, v1, v2
	v_and_b32_sdwa v7, v33, v20 dst_sel:DWORD dst_unused:UNUSED_PAD src0_sel:DWORD src1_sel:WORD_1
	v_add_u32_e32 v6, 18, v6
	v_cmp_eq_u32_e32 vcc, 1, v7
	v_and_b32_e32 v7, 1, v37
	v_lshrrev_b32_e32 v27, 8, v21
	v_cndmask_b32_e32 v2, v6, v2, vcc
	v_lshlrev_b32_e32 v2, 1, v2
	ds_write_b16 v2, v3
	v_sub_u32_e32 v2, v49, v26
	v_sub_u32_e32 v6, v1, v2
	v_add_u32_e32 v6, 19, v6
	v_cmp_eq_u32_e32 vcc, 1, v7
	v_add_u32_e32 v45, v44, v45
	v_add_u32_e32 v46, v45, v46
	v_cndmask_b32_e32 v2, v6, v2, vcc
	v_lshlrev_b32_e32 v2, 1, v2
	ds_write_b16_d16_hi v2, v3
	v_sub_u32_e32 v2, v66, v26
	v_sub_u32_e32 v3, v1, v2
	v_and_b32_e32 v6, 1, v21
	v_add_u32_e32 v3, 20, v3
	v_cmp_eq_u32_e32 vcc, 1, v6
	v_and_b32_e32 v6, 1, v27
	v_add_u32_e32 v67, v46, v36
	v_cndmask_b32_e32 v2, v3, v2, vcc
	v_lshlrev_b32_e32 v2, 1, v2
	ds_write_b16 v2, v4
	v_sub_u32_e32 v2, v44, v26
	v_sub_u32_e32 v3, v1, v2
	v_add_u32_e32 v3, 21, v3
	v_cmp_eq_u32_e32 vcc, 1, v6
	v_add_u32_e32 v42, v67, v42
	v_lshrrev_b32_e32 v19, 8, v34
	v_cndmask_b32_e32 v2, v3, v2, vcc
	v_lshlrev_b32_e32 v2, 1, v2
	ds_write_b16_d16_hi v2, v4
	v_sub_u32_e32 v2, v45, v26
	v_sub_u32_e32 v3, v1, v2
	v_and_b32_sdwa v4, v33, v21 dst_sel:DWORD dst_unused:UNUSED_PAD src0_sel:DWORD src1_sel:WORD_1
	v_add_u32_e32 v3, 22, v3
	v_cmp_eq_u32_e32 vcc, 1, v4
	v_and_b32_e32 v4, 1, v36
	v_add_u32_e32 v43, v42, v43
	v_cndmask_b32_e32 v2, v3, v2, vcc
	v_lshlrev_b32_e32 v2, 1, v2
	ds_write_b16 v2, v5
	v_sub_u32_e32 v2, v46, v26
	v_sub_u32_e32 v3, v1, v2
	v_add_u32_e32 v3, 23, v3
	v_cmp_eq_u32_e32 vcc, 1, v4
	v_and_b32_e32 v4, 1, v34
	v_mov_b32_e32 v27, 0
	v_cndmask_b32_e32 v2, v3, v2, vcc
	v_lshlrev_b32_e32 v2, 1, v2
	ds_write_b16_d16_hi v2, v5
	v_sub_u32_e32 v2, v67, v26
	v_sub_u32_e32 v3, v1, v2
	v_add_u32_e32 v3, 24, v3
	v_cmp_eq_u32_e32 vcc, 1, v4
	v_and_b32_e32 v4, 1, v19
	s_load_dwordx4 s[0:3], s[0:1], 0x30
	v_cndmask_b32_e32 v2, v3, v2, vcc
	v_lshlrev_b32_e32 v2, 1, v2
	ds_write_b16 v2, v16
	v_sub_u32_e32 v2, v42, v26
	v_sub_u32_e32 v3, v1, v2
	v_add_u32_e32 v3, 25, v3
	v_cmp_eq_u32_e32 vcc, 1, v4
	v_and_b32_sdwa v4, v33, v34 dst_sel:DWORD dst_unused:UNUSED_PAD src0_sel:DWORD src1_sel:WORD_1
	v_lshl_add_u64 v[6:7], s[28:29], 0, v[26:27]
	v_cndmask_b32_e32 v2, v3, v2, vcc
	v_lshlrev_b32_e32 v2, 1, v2
	ds_write_b16_d16_hi v2, v16
	v_sub_u32_e32 v2, v43, v26
	v_sub_u32_e32 v3, v1, v2
	v_add_u32_e32 v3, 26, v3
	v_cmp_eq_u32_e32 vcc, 1, v4
	v_mov_b32_e32 v19, v27
	v_mov_b32_e32 v5, s27
	v_cndmask_b32_e32 v2, v3, v2, vcc
	v_lshlrev_b32_e32 v2, 1, v2
	ds_write_b16 v2, v17
	v_sub_u32_e32 v2, v35, v26
	v_add_u32_e32 v2, v43, v2
	v_sub_u32_e32 v1, v1, v2
	v_and_b32_e32 v3, 1, v15
	v_add_u32_e32 v1, 27, v1
	v_cmp_eq_u32_e32 vcc, 1, v3
	v_or_b32_e32 v65, 0x200, v0
	v_or_b32_e32 v63, 0x400, v0
	v_cndmask_b32_e32 v1, v1, v2, vcc
	v_lshlrev_b32_e32 v1, 1, v1
	ds_write_b16_d16_hi v1, v17
	s_waitcnt lgkmcnt(0)
	s_barrier
	ds_read_u16 v67, v14
	ds_read_u16 v66, v14 offset:1024
	ds_read_u16 v64, v14 offset:2048
	;; [unrolled: 1-line block ×27, first 2 shown]
	v_lshl_add_u64 v[2:3], v[6:7], 0, v[18:19]
	v_sub_co_u32_e32 v4, vcc, s26, v2
	v_lshlrev_b64 v[6:7], 1, v[6:7]
	s_nop 0
	v_subb_co_u32_e32 v5, vcc, v5, v3, vcc
	v_lshlrev_b64 v[4:5], 1, v[4:5]
	v_lshl_add_u64 v[4:5], s[2:3], 0, v[4:5]
	v_or_b32_e32 v61, 0x600, v0
	v_or_b32_e32 v59, 0x800, v0
	;; [unrolled: 1-line block ×25, first 2 shown]
	v_lshl_add_u64 v[4:5], v[4:5], 0, s[30:31]
	s_andn2_b64 vcc, exec, s[24:25]
	v_lshl_add_u64 v[6:7], s[0:1], 0, v[6:7]
	s_cbranch_vccnz .LBB658_163
; %bb.162:
	v_cmp_lt_u32_e32 vcc, v0, v18
	v_mov_b32_e32 v15, v27
	v_lshlrev_b32_e32 v26, 1, v59
	v_cndmask_b32_e32 v69, v5, v7, vcc
	v_cndmask_b32_e32 v68, v4, v6, vcc
	v_lshl_add_u64 v[68:69], v[68:69], 0, v[14:15]
	v_cmp_lt_u32_e32 vcc, v65, v18
	s_waitcnt lgkmcnt(14)
	global_store_short v[68:69], v67, off
	v_cndmask_b32_e32 v69, v5, v7, vcc
	v_cndmask_b32_e32 v68, v4, v6, vcc
	v_lshl_add_u64 v[68:69], v[68:69], 0, v[14:15]
	v_cmp_lt_u32_e32 vcc, v63, v18
	global_store_short v[68:69], v66, off offset:1024
	s_mov_b64 s[0:1], -1
	v_cndmask_b32_e32 v69, v5, v7, vcc
	v_cndmask_b32_e32 v68, v4, v6, vcc
	v_lshl_add_u64 v[68:69], v[68:69], 0, v[14:15]
	v_cmp_lt_u32_e32 vcc, v61, v18
	global_store_short v[68:69], v64, off offset:2048
	s_nop 0
	v_cndmask_b32_e32 v69, v5, v7, vcc
	v_cndmask_b32_e32 v68, v4, v6, vcc
	v_lshl_add_u64 v[68:69], v[68:69], 0, v[14:15]
	v_cmp_lt_u32_e32 vcc, v59, v18
	global_store_short v[68:69], v62, off offset:3072
	s_nop 0
	v_cndmask_b32_e32 v69, v5, v7, vcc
	v_cndmask_b32_e32 v68, v4, v6, vcc
	v_lshl_add_u64 v[68:69], v[68:69], 0, v[26:27]
	v_cmp_lt_u32_e32 vcc, v57, v18
	global_store_short v[68:69], v60, off
	v_lshlrev_b32_e32 v26, 1, v57
	v_cndmask_b32_e32 v69, v5, v7, vcc
	v_cndmask_b32_e32 v68, v4, v6, vcc
	v_lshl_add_u64 v[68:69], v[68:69], 0, v[26:27]
	v_cmp_lt_u32_e32 vcc, v55, v18
	global_store_short v[68:69], v58, off
	v_lshlrev_b32_e32 v26, 1, v55
	;; [unrolled: 6-line block ×10, first 2 shown]
	v_cndmask_b32_e32 v69, v5, v7, vcc
	v_cndmask_b32_e32 v68, v4, v6, vcc
	v_lshl_add_u64 v[68:69], v[68:69], 0, v[26:27]
	v_cmp_lt_u32_e32 vcc, v37, v18
	s_waitcnt lgkmcnt(13)
	global_store_short v[68:69], v40, off
	v_lshlrev_b32_e32 v26, 1, v37
	v_cndmask_b32_e32 v69, v5, v7, vcc
	v_cndmask_b32_e32 v68, v4, v6, vcc
	v_lshl_add_u64 v[68:69], v[68:69], 0, v[26:27]
	v_cmp_lt_u32_e32 vcc, v35, v18
	s_waitcnt lgkmcnt(12)
	global_store_short v[68:69], v38, off
	v_lshlrev_b32_e32 v26, 1, v35
	v_cndmask_b32_e32 v69, v5, v7, vcc
	v_cndmask_b32_e32 v68, v4, v6, vcc
	v_lshl_add_u64 v[68:69], v[68:69], 0, v[26:27]
	v_cmp_lt_u32_e32 vcc, v33, v18
	s_waitcnt lgkmcnt(11)
	global_store_short v[68:69], v36, off
	v_lshlrev_b32_e32 v26, 1, v33
	v_cndmask_b32_e32 v69, v5, v7, vcc
	v_cndmask_b32_e32 v68, v4, v6, vcc
	v_lshl_add_u64 v[68:69], v[68:69], 0, v[26:27]
	v_cmp_lt_u32_e32 vcc, v31, v18
	s_waitcnt lgkmcnt(10)
	global_store_short v[68:69], v34, off
	v_lshlrev_b32_e32 v26, 1, v31
	v_cndmask_b32_e32 v69, v5, v7, vcc
	v_cndmask_b32_e32 v68, v4, v6, vcc
	v_lshl_add_u64 v[68:69], v[68:69], 0, v[26:27]
	v_cmp_lt_u32_e32 vcc, v29, v18
	s_waitcnt lgkmcnt(9)
	global_store_short v[68:69], v32, off
	v_lshlrev_b32_e32 v26, 1, v29
	v_cndmask_b32_e32 v69, v5, v7, vcc
	v_cndmask_b32_e32 v68, v4, v6, vcc
	v_lshl_add_u64 v[68:69], v[68:69], 0, v[26:27]
	v_cmp_lt_u32_e32 vcc, v25, v18
	s_waitcnt lgkmcnt(8)
	global_store_short v[68:69], v30, off
	v_lshlrev_b32_e32 v26, 1, v25
	v_cndmask_b32_e32 v69, v5, v7, vcc
	v_cndmask_b32_e32 v68, v4, v6, vcc
	v_lshl_add_u64 v[68:69], v[68:69], 0, v[26:27]
	v_cmp_lt_u32_e32 vcc, v23, v18
	s_waitcnt lgkmcnt(7)
	global_store_short v[68:69], v28, off
	v_lshlrev_b32_e32 v26, 1, v23
	v_cndmask_b32_e32 v69, v5, v7, vcc
	v_cndmask_b32_e32 v68, v4, v6, vcc
	v_lshl_add_u64 v[68:69], v[68:69], 0, v[26:27]
	v_cmp_lt_u32_e32 vcc, v21, v18
	s_waitcnt lgkmcnt(6)
	global_store_short v[68:69], v24, off
	v_lshlrev_b32_e32 v26, 1, v21
	v_cndmask_b32_e32 v69, v5, v7, vcc
	v_cndmask_b32_e32 v68, v4, v6, vcc
	v_lshl_add_u64 v[68:69], v[68:69], 0, v[26:27]
	v_cmp_lt_u32_e32 vcc, v17, v18
	s_waitcnt lgkmcnt(5)
	global_store_short v[68:69], v22, off
	v_lshlrev_b32_e32 v26, 1, v17
	v_cndmask_b32_e32 v69, v5, v7, vcc
	v_cndmask_b32_e32 v68, v4, v6, vcc
	v_lshl_add_u64 v[68:69], v[68:69], 0, v[26:27]
	v_cmp_lt_u32_e32 vcc, v13, v18
	s_waitcnt lgkmcnt(4)
	global_store_short v[68:69], v20, off
	v_lshlrev_b32_e32 v26, 1, v13
	v_cndmask_b32_e32 v69, v5, v7, vcc
	v_cndmask_b32_e32 v68, v4, v6, vcc
	v_lshl_add_u64 v[68:69], v[68:69], 0, v[26:27]
	v_cmp_lt_u32_e32 vcc, v11, v18
	s_waitcnt lgkmcnt(3)
	global_store_short v[68:69], v16, off
	v_lshlrev_b32_e32 v26, 1, v11
	v_cndmask_b32_e32 v69, v5, v7, vcc
	v_cndmask_b32_e32 v68, v4, v6, vcc
	v_lshl_add_u64 v[68:69], v[68:69], 0, v[26:27]
	v_cmp_lt_u32_e32 vcc, v10, v18
	s_waitcnt lgkmcnt(2)
	global_store_short v[68:69], v12, off
	v_lshlrev_b32_e32 v26, 1, v10
	v_cndmask_b32_e32 v69, v5, v7, vcc
	v_cndmask_b32_e32 v68, v4, v6, vcc
	v_lshl_add_u64 v[26:27], v[68:69], 0, v[26:27]
	s_waitcnt lgkmcnt(1)
	global_store_short v[26:27], v9, off
	s_cbranch_execz .LBB658_164
	s_branch .LBB658_193
.LBB658_163:
	s_mov_b64 s[0:1], 0
.LBB658_164:
	v_cmp_gt_u32_e32 vcc, s33, v0
	s_and_saveexec_b64 s[0:1], vcc
	s_cbranch_execnz .LBB658_198
; %bb.165:
	s_or_b64 exec, exec, s[0:1]
	v_cmp_gt_u32_e32 vcc, s33, v65
	s_and_saveexec_b64 s[0:1], vcc
	s_cbranch_execnz .LBB658_199
.LBB658_166:
	s_or_b64 exec, exec, s[0:1]
	v_cmp_gt_u32_e32 vcc, s33, v63
	s_and_saveexec_b64 s[0:1], vcc
	s_cbranch_execnz .LBB658_200
.LBB658_167:
	s_or_b64 exec, exec, s[0:1]
	v_cmp_gt_u32_e32 vcc, s33, v61
	s_and_saveexec_b64 s[0:1], vcc
	s_cbranch_execnz .LBB658_201
.LBB658_168:
	s_or_b64 exec, exec, s[0:1]
	v_cmp_gt_u32_e32 vcc, s33, v59
	s_and_saveexec_b64 s[0:1], vcc
	s_cbranch_execnz .LBB658_202
.LBB658_169:
	s_or_b64 exec, exec, s[0:1]
	v_cmp_gt_u32_e32 vcc, s33, v57
	s_and_saveexec_b64 s[0:1], vcc
	s_cbranch_execnz .LBB658_203
.LBB658_170:
	s_or_b64 exec, exec, s[0:1]
	v_cmp_gt_u32_e32 vcc, s33, v55
	s_and_saveexec_b64 s[0:1], vcc
	s_cbranch_execnz .LBB658_204
.LBB658_171:
	s_or_b64 exec, exec, s[0:1]
	v_cmp_gt_u32_e32 vcc, s33, v53
	s_and_saveexec_b64 s[0:1], vcc
	s_cbranch_execnz .LBB658_205
.LBB658_172:
	s_or_b64 exec, exec, s[0:1]
	v_cmp_gt_u32_e32 vcc, s33, v51
	s_and_saveexec_b64 s[0:1], vcc
	s_cbranch_execnz .LBB658_206
.LBB658_173:
	s_or_b64 exec, exec, s[0:1]
	v_cmp_gt_u32_e32 vcc, s33, v49
	s_and_saveexec_b64 s[0:1], vcc
	s_cbranch_execnz .LBB658_207
.LBB658_174:
	s_or_b64 exec, exec, s[0:1]
	v_cmp_gt_u32_e32 vcc, s33, v47
	s_and_saveexec_b64 s[0:1], vcc
	s_cbranch_execnz .LBB658_208
.LBB658_175:
	s_or_b64 exec, exec, s[0:1]
	v_cmp_gt_u32_e32 vcc, s33, v45
	s_and_saveexec_b64 s[0:1], vcc
	s_cbranch_execnz .LBB658_209
.LBB658_176:
	s_or_b64 exec, exec, s[0:1]
	v_cmp_gt_u32_e32 vcc, s33, v43
	s_and_saveexec_b64 s[0:1], vcc
	s_cbranch_execnz .LBB658_210
.LBB658_177:
	s_or_b64 exec, exec, s[0:1]
	v_cmp_gt_u32_e32 vcc, s33, v41
	s_and_saveexec_b64 s[0:1], vcc
	s_cbranch_execnz .LBB658_211
.LBB658_178:
	s_or_b64 exec, exec, s[0:1]
	v_cmp_gt_u32_e32 vcc, s33, v39
	s_and_saveexec_b64 s[0:1], vcc
	s_cbranch_execnz .LBB658_212
.LBB658_179:
	s_or_b64 exec, exec, s[0:1]
	v_cmp_gt_u32_e32 vcc, s33, v37
	s_and_saveexec_b64 s[0:1], vcc
	s_cbranch_execnz .LBB658_213
.LBB658_180:
	s_or_b64 exec, exec, s[0:1]
	v_cmp_gt_u32_e32 vcc, s33, v35
	s_and_saveexec_b64 s[0:1], vcc
	s_cbranch_execnz .LBB658_214
.LBB658_181:
	s_or_b64 exec, exec, s[0:1]
	v_cmp_gt_u32_e32 vcc, s33, v33
	s_and_saveexec_b64 s[0:1], vcc
	s_cbranch_execnz .LBB658_215
.LBB658_182:
	s_or_b64 exec, exec, s[0:1]
	v_cmp_gt_u32_e32 vcc, s33, v31
	s_and_saveexec_b64 s[0:1], vcc
	s_cbranch_execnz .LBB658_216
.LBB658_183:
	s_or_b64 exec, exec, s[0:1]
	v_cmp_gt_u32_e32 vcc, s33, v29
	s_and_saveexec_b64 s[0:1], vcc
	s_cbranch_execnz .LBB658_217
.LBB658_184:
	s_or_b64 exec, exec, s[0:1]
	v_cmp_gt_u32_e32 vcc, s33, v25
	s_and_saveexec_b64 s[0:1], vcc
	s_cbranch_execnz .LBB658_218
.LBB658_185:
	s_or_b64 exec, exec, s[0:1]
	v_cmp_gt_u32_e32 vcc, s33, v23
	s_and_saveexec_b64 s[0:1], vcc
	s_cbranch_execnz .LBB658_219
.LBB658_186:
	s_or_b64 exec, exec, s[0:1]
	v_cmp_gt_u32_e32 vcc, s33, v21
	s_and_saveexec_b64 s[0:1], vcc
	s_cbranch_execnz .LBB658_220
.LBB658_187:
	s_or_b64 exec, exec, s[0:1]
	v_cmp_gt_u32_e32 vcc, s33, v17
	s_and_saveexec_b64 s[0:1], vcc
	s_cbranch_execnz .LBB658_221
.LBB658_188:
	s_or_b64 exec, exec, s[0:1]
	v_cmp_gt_u32_e32 vcc, s33, v13
	s_and_saveexec_b64 s[0:1], vcc
	s_cbranch_execnz .LBB658_222
.LBB658_189:
	s_or_b64 exec, exec, s[0:1]
	v_cmp_gt_u32_e32 vcc, s33, v11
	s_and_saveexec_b64 s[0:1], vcc
	s_cbranch_execnz .LBB658_223
.LBB658_190:
	s_or_b64 exec, exec, s[0:1]
	v_cmp_gt_u32_e32 vcc, s33, v10
	s_and_saveexec_b64 s[0:1], vcc
	s_cbranch_execz .LBB658_192
.LBB658_191:
	v_cmp_lt_u32_e32 vcc, v10, v18
	v_lshlrev_b32_e32 v10, 1, v10
	v_mov_b32_e32 v11, 0
	v_cndmask_b32_e32 v13, v5, v7, vcc
	s_waitcnt lgkmcnt(2)
	v_cndmask_b32_e32 v12, v4, v6, vcc
	v_lshl_add_u64 v[10:11], v[12:13], 0, v[10:11]
	s_waitcnt lgkmcnt(1)
	global_store_short v[10:11], v9, off
.LBB658_192:
	s_or_b64 exec, exec, s[0:1]
	v_cmp_gt_u32_e64 s[0:1], s33, v8
.LBB658_193:
	s_and_saveexec_b64 s[2:3], s[0:1]
	s_cbranch_execz .LBB658_195
; %bb.194:
	v_cmp_lt_u32_e32 vcc, v8, v18
	s_nop 1
	v_cndmask_b32_e32 v5, v5, v7, vcc
	v_cndmask_b32_e32 v4, v4, v6, vcc
	v_lshlrev_b32_e32 v6, 1, v8
	v_mov_b32_e32 v7, 0
	v_lshl_add_u64 v[4:5], v[4:5], 0, v[6:7]
	s_waitcnt lgkmcnt(0)
	global_store_short v[4:5], v1, off
.LBB658_195:
	s_or_b64 exec, exec, s[2:3]
	v_cmp_eq_u32_e32 vcc, 0, v0
	s_and_b64 s[0:1], vcc, s[22:23]
	s_and_saveexec_b64 s[2:3], s[0:1]
	s_cbranch_execz .LBB658_197
; %bb.196:
	v_mov_b32_e32 v0, 0
	global_store_dwordx2 v0, v[2:3], s[20:21]
.LBB658_197:
	s_endpgm
.LBB658_198:
	v_cmp_lt_u32_e32 vcc, v0, v18
	v_mov_b32_e32 v15, 0
	s_nop 0
	v_cndmask_b32_e32 v27, v5, v7, vcc
	v_cndmask_b32_e32 v26, v4, v6, vcc
	v_lshl_add_u64 v[26:27], v[26:27], 0, v[14:15]
	s_waitcnt lgkmcnt(14)
	global_store_short v[26:27], v67, off
	s_or_b64 exec, exec, s[0:1]
	v_cmp_gt_u32_e32 vcc, s33, v65
	s_and_saveexec_b64 s[0:1], vcc
	s_cbranch_execz .LBB658_166
.LBB658_199:
	v_cmp_lt_u32_e32 vcc, v65, v18
	v_mov_b32_e32 v15, 0
	s_nop 0
	v_cndmask_b32_e32 v27, v5, v7, vcc
	v_cndmask_b32_e32 v26, v4, v6, vcc
	v_lshl_add_u64 v[26:27], v[26:27], 0, v[14:15]
	s_waitcnt lgkmcnt(14)
	global_store_short v[26:27], v66, off offset:1024
	s_or_b64 exec, exec, s[0:1]
	v_cmp_gt_u32_e32 vcc, s33, v63
	s_and_saveexec_b64 s[0:1], vcc
	s_cbranch_execz .LBB658_167
.LBB658_200:
	v_cmp_lt_u32_e32 vcc, v63, v18
	v_mov_b32_e32 v15, 0
	s_nop 0
	v_cndmask_b32_e32 v27, v5, v7, vcc
	v_cndmask_b32_e32 v26, v4, v6, vcc
	v_lshl_add_u64 v[26:27], v[26:27], 0, v[14:15]
	s_waitcnt lgkmcnt(14)
	global_store_short v[26:27], v64, off offset:2048
	s_or_b64 exec, exec, s[0:1]
	v_cmp_gt_u32_e32 vcc, s33, v61
	s_and_saveexec_b64 s[0:1], vcc
	s_cbranch_execz .LBB658_168
.LBB658_201:
	v_cmp_lt_u32_e32 vcc, v61, v18
	v_mov_b32_e32 v15, 0
	s_nop 0
	v_cndmask_b32_e32 v27, v5, v7, vcc
	v_cndmask_b32_e32 v26, v4, v6, vcc
	v_lshl_add_u64 v[14:15], v[26:27], 0, v[14:15]
	s_waitcnt lgkmcnt(14)
	global_store_short v[14:15], v62, off offset:3072
	s_or_b64 exec, exec, s[0:1]
	v_cmp_gt_u32_e32 vcc, s33, v59
	s_and_saveexec_b64 s[0:1], vcc
	s_cbranch_execz .LBB658_169
.LBB658_202:
	v_cmp_lt_u32_e32 vcc, v59, v18
	v_lshlrev_b32_e32 v26, 1, v59
	v_mov_b32_e32 v27, 0
	v_cndmask_b32_e32 v15, v5, v7, vcc
	v_cndmask_b32_e32 v14, v4, v6, vcc
	v_lshl_add_u64 v[14:15], v[14:15], 0, v[26:27]
	s_waitcnt lgkmcnt(14)
	global_store_short v[14:15], v60, off
	s_or_b64 exec, exec, s[0:1]
	v_cmp_gt_u32_e32 vcc, s33, v57
	s_and_saveexec_b64 s[0:1], vcc
	s_cbranch_execz .LBB658_170
.LBB658_203:
	v_cmp_lt_u32_e32 vcc, v57, v18
	v_lshlrev_b32_e32 v26, 1, v57
	v_mov_b32_e32 v27, 0
	v_cndmask_b32_e32 v15, v5, v7, vcc
	v_cndmask_b32_e32 v14, v4, v6, vcc
	v_lshl_add_u64 v[14:15], v[14:15], 0, v[26:27]
	s_waitcnt lgkmcnt(14)
	global_store_short v[14:15], v58, off
	s_or_b64 exec, exec, s[0:1]
	v_cmp_gt_u32_e32 vcc, s33, v55
	s_and_saveexec_b64 s[0:1], vcc
	s_cbranch_execz .LBB658_171
.LBB658_204:
	v_cmp_lt_u32_e32 vcc, v55, v18
	v_lshlrev_b32_e32 v26, 1, v55
	v_mov_b32_e32 v27, 0
	v_cndmask_b32_e32 v15, v5, v7, vcc
	v_cndmask_b32_e32 v14, v4, v6, vcc
	v_lshl_add_u64 v[14:15], v[14:15], 0, v[26:27]
	s_waitcnt lgkmcnt(14)
	global_store_short v[14:15], v56, off
	s_or_b64 exec, exec, s[0:1]
	v_cmp_gt_u32_e32 vcc, s33, v53
	s_and_saveexec_b64 s[0:1], vcc
	s_cbranch_execz .LBB658_172
.LBB658_205:
	v_cmp_lt_u32_e32 vcc, v53, v18
	v_lshlrev_b32_e32 v26, 1, v53
	v_mov_b32_e32 v27, 0
	v_cndmask_b32_e32 v15, v5, v7, vcc
	v_cndmask_b32_e32 v14, v4, v6, vcc
	v_lshl_add_u64 v[14:15], v[14:15], 0, v[26:27]
	s_waitcnt lgkmcnt(14)
	global_store_short v[14:15], v54, off
	s_or_b64 exec, exec, s[0:1]
	v_cmp_gt_u32_e32 vcc, s33, v51
	s_and_saveexec_b64 s[0:1], vcc
	s_cbranch_execz .LBB658_173
.LBB658_206:
	v_cmp_lt_u32_e32 vcc, v51, v18
	v_lshlrev_b32_e32 v26, 1, v51
	v_mov_b32_e32 v27, 0
	v_cndmask_b32_e32 v15, v5, v7, vcc
	v_cndmask_b32_e32 v14, v4, v6, vcc
	v_lshl_add_u64 v[14:15], v[14:15], 0, v[26:27]
	s_waitcnt lgkmcnt(14)
	global_store_short v[14:15], v52, off
	s_or_b64 exec, exec, s[0:1]
	v_cmp_gt_u32_e32 vcc, s33, v49
	s_and_saveexec_b64 s[0:1], vcc
	s_cbranch_execz .LBB658_174
.LBB658_207:
	v_cmp_lt_u32_e32 vcc, v49, v18
	v_lshlrev_b32_e32 v26, 1, v49
	v_mov_b32_e32 v27, 0
	v_cndmask_b32_e32 v15, v5, v7, vcc
	v_cndmask_b32_e32 v14, v4, v6, vcc
	v_lshl_add_u64 v[14:15], v[14:15], 0, v[26:27]
	s_waitcnt lgkmcnt(14)
	global_store_short v[14:15], v50, off
	s_or_b64 exec, exec, s[0:1]
	v_cmp_gt_u32_e32 vcc, s33, v47
	s_and_saveexec_b64 s[0:1], vcc
	s_cbranch_execz .LBB658_175
.LBB658_208:
	v_cmp_lt_u32_e32 vcc, v47, v18
	v_lshlrev_b32_e32 v26, 1, v47
	v_mov_b32_e32 v27, 0
	v_cndmask_b32_e32 v15, v5, v7, vcc
	v_cndmask_b32_e32 v14, v4, v6, vcc
	v_lshl_add_u64 v[14:15], v[14:15], 0, v[26:27]
	s_waitcnt lgkmcnt(14)
	global_store_short v[14:15], v48, off
	s_or_b64 exec, exec, s[0:1]
	v_cmp_gt_u32_e32 vcc, s33, v45
	s_and_saveexec_b64 s[0:1], vcc
	s_cbranch_execz .LBB658_176
.LBB658_209:
	v_cmp_lt_u32_e32 vcc, v45, v18
	v_lshlrev_b32_e32 v26, 1, v45
	v_mov_b32_e32 v27, 0
	v_cndmask_b32_e32 v15, v5, v7, vcc
	v_cndmask_b32_e32 v14, v4, v6, vcc
	v_lshl_add_u64 v[14:15], v[14:15], 0, v[26:27]
	s_waitcnt lgkmcnt(14)
	global_store_short v[14:15], v46, off
	s_or_b64 exec, exec, s[0:1]
	v_cmp_gt_u32_e32 vcc, s33, v43
	s_and_saveexec_b64 s[0:1], vcc
	s_cbranch_execz .LBB658_177
.LBB658_210:
	v_cmp_lt_u32_e32 vcc, v43, v18
	v_lshlrev_b32_e32 v26, 1, v43
	v_mov_b32_e32 v27, 0
	v_cndmask_b32_e32 v15, v5, v7, vcc
	v_cndmask_b32_e32 v14, v4, v6, vcc
	v_lshl_add_u64 v[14:15], v[14:15], 0, v[26:27]
	s_waitcnt lgkmcnt(14)
	global_store_short v[14:15], v44, off
	s_or_b64 exec, exec, s[0:1]
	v_cmp_gt_u32_e32 vcc, s33, v41
	s_and_saveexec_b64 s[0:1], vcc
	s_cbranch_execz .LBB658_178
.LBB658_211:
	v_cmp_lt_u32_e32 vcc, v41, v18
	v_lshlrev_b32_e32 v26, 1, v41
	v_mov_b32_e32 v27, 0
	v_cndmask_b32_e32 v15, v5, v7, vcc
	v_cndmask_b32_e32 v14, v4, v6, vcc
	v_lshl_add_u64 v[14:15], v[14:15], 0, v[26:27]
	s_waitcnt lgkmcnt(14)
	global_store_short v[14:15], v42, off
	s_or_b64 exec, exec, s[0:1]
	v_cmp_gt_u32_e32 vcc, s33, v39
	s_and_saveexec_b64 s[0:1], vcc
	s_cbranch_execz .LBB658_179
.LBB658_212:
	v_cmp_lt_u32_e32 vcc, v39, v18
	v_lshlrev_b32_e32 v26, 1, v39
	v_mov_b32_e32 v27, 0
	v_cndmask_b32_e32 v15, v5, v7, vcc
	v_cndmask_b32_e32 v14, v4, v6, vcc
	v_lshl_add_u64 v[14:15], v[14:15], 0, v[26:27]
	s_waitcnt lgkmcnt(13)
	global_store_short v[14:15], v40, off
	s_or_b64 exec, exec, s[0:1]
	v_cmp_gt_u32_e32 vcc, s33, v37
	s_and_saveexec_b64 s[0:1], vcc
	s_cbranch_execz .LBB658_180
.LBB658_213:
	v_cmp_lt_u32_e32 vcc, v37, v18
	v_lshlrev_b32_e32 v26, 1, v37
	v_mov_b32_e32 v27, 0
	v_cndmask_b32_e32 v15, v5, v7, vcc
	v_cndmask_b32_e32 v14, v4, v6, vcc
	v_lshl_add_u64 v[14:15], v[14:15], 0, v[26:27]
	s_waitcnt lgkmcnt(12)
	global_store_short v[14:15], v38, off
	s_or_b64 exec, exec, s[0:1]
	v_cmp_gt_u32_e32 vcc, s33, v35
	s_and_saveexec_b64 s[0:1], vcc
	s_cbranch_execz .LBB658_181
.LBB658_214:
	v_cmp_lt_u32_e32 vcc, v35, v18
	v_lshlrev_b32_e32 v26, 1, v35
	v_mov_b32_e32 v27, 0
	v_cndmask_b32_e32 v15, v5, v7, vcc
	v_cndmask_b32_e32 v14, v4, v6, vcc
	v_lshl_add_u64 v[14:15], v[14:15], 0, v[26:27]
	s_waitcnt lgkmcnt(11)
	global_store_short v[14:15], v36, off
	s_or_b64 exec, exec, s[0:1]
	v_cmp_gt_u32_e32 vcc, s33, v33
	s_and_saveexec_b64 s[0:1], vcc
	s_cbranch_execz .LBB658_182
.LBB658_215:
	v_cmp_lt_u32_e32 vcc, v33, v18
	v_lshlrev_b32_e32 v26, 1, v33
	v_mov_b32_e32 v27, 0
	v_cndmask_b32_e32 v15, v5, v7, vcc
	v_cndmask_b32_e32 v14, v4, v6, vcc
	v_lshl_add_u64 v[14:15], v[14:15], 0, v[26:27]
	s_waitcnt lgkmcnt(10)
	global_store_short v[14:15], v34, off
	s_or_b64 exec, exec, s[0:1]
	v_cmp_gt_u32_e32 vcc, s33, v31
	s_and_saveexec_b64 s[0:1], vcc
	s_cbranch_execz .LBB658_183
.LBB658_216:
	v_cmp_lt_u32_e32 vcc, v31, v18
	v_lshlrev_b32_e32 v26, 1, v31
	v_mov_b32_e32 v27, 0
	v_cndmask_b32_e32 v15, v5, v7, vcc
	v_cndmask_b32_e32 v14, v4, v6, vcc
	v_lshl_add_u64 v[14:15], v[14:15], 0, v[26:27]
	s_waitcnt lgkmcnt(9)
	global_store_short v[14:15], v32, off
	s_or_b64 exec, exec, s[0:1]
	v_cmp_gt_u32_e32 vcc, s33, v29
	s_and_saveexec_b64 s[0:1], vcc
	s_cbranch_execz .LBB658_184
.LBB658_217:
	v_cmp_lt_u32_e32 vcc, v29, v18
	v_lshlrev_b32_e32 v26, 1, v29
	v_mov_b32_e32 v27, 0
	v_cndmask_b32_e32 v15, v5, v7, vcc
	v_cndmask_b32_e32 v14, v4, v6, vcc
	v_lshl_add_u64 v[14:15], v[14:15], 0, v[26:27]
	s_waitcnt lgkmcnt(8)
	global_store_short v[14:15], v30, off
	s_or_b64 exec, exec, s[0:1]
	v_cmp_gt_u32_e32 vcc, s33, v25
	s_and_saveexec_b64 s[0:1], vcc
	s_cbranch_execz .LBB658_185
.LBB658_218:
	v_cmp_lt_u32_e32 vcc, v25, v18
	v_lshlrev_b32_e32 v26, 1, v25
	v_mov_b32_e32 v27, 0
	v_cndmask_b32_e32 v15, v5, v7, vcc
	v_cndmask_b32_e32 v14, v4, v6, vcc
	v_lshl_add_u64 v[14:15], v[14:15], 0, v[26:27]
	s_waitcnt lgkmcnt(7)
	global_store_short v[14:15], v28, off
	s_or_b64 exec, exec, s[0:1]
	v_cmp_gt_u32_e32 vcc, s33, v23
	s_and_saveexec_b64 s[0:1], vcc
	s_cbranch_execz .LBB658_186
.LBB658_219:
	v_cmp_lt_u32_e32 vcc, v23, v18
	v_lshlrev_b32_e32 v26, 1, v23
	v_mov_b32_e32 v27, 0
	v_cndmask_b32_e32 v15, v5, v7, vcc
	v_cndmask_b32_e32 v14, v4, v6, vcc
	v_lshl_add_u64 v[14:15], v[14:15], 0, v[26:27]
	s_waitcnt lgkmcnt(6)
	global_store_short v[14:15], v24, off
	s_or_b64 exec, exec, s[0:1]
	v_cmp_gt_u32_e32 vcc, s33, v21
	s_and_saveexec_b64 s[0:1], vcc
	s_cbranch_execz .LBB658_187
.LBB658_220:
	v_cmp_lt_u32_e32 vcc, v21, v18
	s_waitcnt lgkmcnt(6)
	v_lshlrev_b32_e32 v24, 1, v21
	v_mov_b32_e32 v25, 0
	v_cndmask_b32_e32 v15, v5, v7, vcc
	v_cndmask_b32_e32 v14, v4, v6, vcc
	v_lshl_add_u64 v[14:15], v[14:15], 0, v[24:25]
	s_waitcnt lgkmcnt(5)
	global_store_short v[14:15], v22, off
	s_or_b64 exec, exec, s[0:1]
	v_cmp_gt_u32_e32 vcc, s33, v17
	s_and_saveexec_b64 s[0:1], vcc
	s_cbranch_execz .LBB658_188
.LBB658_221:
	v_cmp_lt_u32_e32 vcc, v17, v18
	s_waitcnt lgkmcnt(5)
	v_lshlrev_b32_e32 v22, 1, v17
	v_mov_b32_e32 v23, 0
	v_cndmask_b32_e32 v15, v5, v7, vcc
	v_cndmask_b32_e32 v14, v4, v6, vcc
	v_lshl_add_u64 v[14:15], v[14:15], 0, v[22:23]
	s_waitcnt lgkmcnt(4)
	global_store_short v[14:15], v20, off
	s_or_b64 exec, exec, s[0:1]
	v_cmp_gt_u32_e32 vcc, s33, v13
	s_and_saveexec_b64 s[0:1], vcc
	s_cbranch_execz .LBB658_189
.LBB658_222:
	v_cmp_lt_u32_e32 vcc, v13, v18
	s_waitcnt lgkmcnt(4)
	v_lshlrev_b32_e32 v20, 1, v13
	v_mov_b32_e32 v21, 0
	v_cndmask_b32_e32 v15, v5, v7, vcc
	v_cndmask_b32_e32 v14, v4, v6, vcc
	v_lshl_add_u64 v[14:15], v[14:15], 0, v[20:21]
	s_waitcnt lgkmcnt(3)
	global_store_short v[14:15], v16, off
	s_or_b64 exec, exec, s[0:1]
	v_cmp_gt_u32_e32 vcc, s33, v11
	s_and_saveexec_b64 s[0:1], vcc
	s_cbranch_execz .LBB658_190
.LBB658_223:
	v_cmp_lt_u32_e32 vcc, v11, v18
	s_waitcnt lgkmcnt(3)
	v_lshlrev_b32_e32 v16, 1, v11
	v_mov_b32_e32 v17, 0
	v_cndmask_b32_e32 v15, v5, v7, vcc
	v_cndmask_b32_e32 v14, v4, v6, vcc
	v_lshl_add_u64 v[14:15], v[14:15], 0, v[16:17]
	s_waitcnt lgkmcnt(2)
	global_store_short v[14:15], v12, off
	s_or_b64 exec, exec, s[0:1]
	v_cmp_gt_u32_e32 vcc, s33, v10
	s_and_saveexec_b64 s[0:1], vcc
	s_cbranch_execnz .LBB658_191
	s_branch .LBB658_192
	.section	.rodata,"a",@progbits
	.p2align	6, 0x0
	.amdhsa_kernel _ZN7rocprim17ROCPRIM_400000_NS6detail17trampoline_kernelINS0_14default_configENS1_25partition_config_selectorILNS1_17partition_subalgoE1EsNS0_10empty_typeEbEEZZNS1_14partition_implILS5_1ELb0ES3_jN6thrust23THRUST_200600_302600_NS6detail15normal_iteratorINSA_10device_ptrIsEEEEPS6_NSA_18transform_iteratorINSA_8identityIsEESF_NSA_11use_defaultESK_EENS0_5tupleIJSF_SF_EEENSM_IJSG_SG_EEES6_PlJS6_EEE10hipError_tPvRmT3_T4_T5_T6_T7_T9_mT8_P12ihipStream_tbDpT10_ENKUlT_T0_E_clISt17integral_constantIbLb1EES18_IbLb0EEEEDaS14_S15_EUlS14_E_NS1_11comp_targetILNS1_3genE5ELNS1_11target_archE942ELNS1_3gpuE9ELNS1_3repE0EEENS1_30default_config_static_selectorELNS0_4arch9wavefront6targetE1EEEvT1_
		.amdhsa_group_segment_fixed_size 28680
		.amdhsa_private_segment_fixed_size 0
		.amdhsa_kernarg_size 128
		.amdhsa_user_sgpr_count 2
		.amdhsa_user_sgpr_dispatch_ptr 0
		.amdhsa_user_sgpr_queue_ptr 0
		.amdhsa_user_sgpr_kernarg_segment_ptr 1
		.amdhsa_user_sgpr_dispatch_id 0
		.amdhsa_user_sgpr_kernarg_preload_length 0
		.amdhsa_user_sgpr_kernarg_preload_offset 0
		.amdhsa_user_sgpr_private_segment_size 0
		.amdhsa_uses_dynamic_stack 0
		.amdhsa_enable_private_segment 0
		.amdhsa_system_sgpr_workgroup_id_x 1
		.amdhsa_system_sgpr_workgroup_id_y 0
		.amdhsa_system_sgpr_workgroup_id_z 0
		.amdhsa_system_sgpr_workgroup_info 0
		.amdhsa_system_vgpr_workitem_id 0
		.amdhsa_next_free_vgpr 79
		.amdhsa_next_free_sgpr 44
		.amdhsa_accum_offset 80
		.amdhsa_reserve_vcc 1
		.amdhsa_float_round_mode_32 0
		.amdhsa_float_round_mode_16_64 0
		.amdhsa_float_denorm_mode_32 3
		.amdhsa_float_denorm_mode_16_64 3
		.amdhsa_dx10_clamp 1
		.amdhsa_ieee_mode 1
		.amdhsa_fp16_overflow 0
		.amdhsa_tg_split 0
		.amdhsa_exception_fp_ieee_invalid_op 0
		.amdhsa_exception_fp_denorm_src 0
		.amdhsa_exception_fp_ieee_div_zero 0
		.amdhsa_exception_fp_ieee_overflow 0
		.amdhsa_exception_fp_ieee_underflow 0
		.amdhsa_exception_fp_ieee_inexact 0
		.amdhsa_exception_int_div_zero 0
	.end_amdhsa_kernel
	.section	.text._ZN7rocprim17ROCPRIM_400000_NS6detail17trampoline_kernelINS0_14default_configENS1_25partition_config_selectorILNS1_17partition_subalgoE1EsNS0_10empty_typeEbEEZZNS1_14partition_implILS5_1ELb0ES3_jN6thrust23THRUST_200600_302600_NS6detail15normal_iteratorINSA_10device_ptrIsEEEEPS6_NSA_18transform_iteratorINSA_8identityIsEESF_NSA_11use_defaultESK_EENS0_5tupleIJSF_SF_EEENSM_IJSG_SG_EEES6_PlJS6_EEE10hipError_tPvRmT3_T4_T5_T6_T7_T9_mT8_P12ihipStream_tbDpT10_ENKUlT_T0_E_clISt17integral_constantIbLb1EES18_IbLb0EEEEDaS14_S15_EUlS14_E_NS1_11comp_targetILNS1_3genE5ELNS1_11target_archE942ELNS1_3gpuE9ELNS1_3repE0EEENS1_30default_config_static_selectorELNS0_4arch9wavefront6targetE1EEEvT1_,"axG",@progbits,_ZN7rocprim17ROCPRIM_400000_NS6detail17trampoline_kernelINS0_14default_configENS1_25partition_config_selectorILNS1_17partition_subalgoE1EsNS0_10empty_typeEbEEZZNS1_14partition_implILS5_1ELb0ES3_jN6thrust23THRUST_200600_302600_NS6detail15normal_iteratorINSA_10device_ptrIsEEEEPS6_NSA_18transform_iteratorINSA_8identityIsEESF_NSA_11use_defaultESK_EENS0_5tupleIJSF_SF_EEENSM_IJSG_SG_EEES6_PlJS6_EEE10hipError_tPvRmT3_T4_T5_T6_T7_T9_mT8_P12ihipStream_tbDpT10_ENKUlT_T0_E_clISt17integral_constantIbLb1EES18_IbLb0EEEEDaS14_S15_EUlS14_E_NS1_11comp_targetILNS1_3genE5ELNS1_11target_archE942ELNS1_3gpuE9ELNS1_3repE0EEENS1_30default_config_static_selectorELNS0_4arch9wavefront6targetE1EEEvT1_,comdat
.Lfunc_end658:
	.size	_ZN7rocprim17ROCPRIM_400000_NS6detail17trampoline_kernelINS0_14default_configENS1_25partition_config_selectorILNS1_17partition_subalgoE1EsNS0_10empty_typeEbEEZZNS1_14partition_implILS5_1ELb0ES3_jN6thrust23THRUST_200600_302600_NS6detail15normal_iteratorINSA_10device_ptrIsEEEEPS6_NSA_18transform_iteratorINSA_8identityIsEESF_NSA_11use_defaultESK_EENS0_5tupleIJSF_SF_EEENSM_IJSG_SG_EEES6_PlJS6_EEE10hipError_tPvRmT3_T4_T5_T6_T7_T9_mT8_P12ihipStream_tbDpT10_ENKUlT_T0_E_clISt17integral_constantIbLb1EES18_IbLb0EEEEDaS14_S15_EUlS14_E_NS1_11comp_targetILNS1_3genE5ELNS1_11target_archE942ELNS1_3gpuE9ELNS1_3repE0EEENS1_30default_config_static_selectorELNS0_4arch9wavefront6targetE1EEEvT1_, .Lfunc_end658-_ZN7rocprim17ROCPRIM_400000_NS6detail17trampoline_kernelINS0_14default_configENS1_25partition_config_selectorILNS1_17partition_subalgoE1EsNS0_10empty_typeEbEEZZNS1_14partition_implILS5_1ELb0ES3_jN6thrust23THRUST_200600_302600_NS6detail15normal_iteratorINSA_10device_ptrIsEEEEPS6_NSA_18transform_iteratorINSA_8identityIsEESF_NSA_11use_defaultESK_EENS0_5tupleIJSF_SF_EEENSM_IJSG_SG_EEES6_PlJS6_EEE10hipError_tPvRmT3_T4_T5_T6_T7_T9_mT8_P12ihipStream_tbDpT10_ENKUlT_T0_E_clISt17integral_constantIbLb1EES18_IbLb0EEEEDaS14_S15_EUlS14_E_NS1_11comp_targetILNS1_3genE5ELNS1_11target_archE942ELNS1_3gpuE9ELNS1_3repE0EEENS1_30default_config_static_selectorELNS0_4arch9wavefront6targetE1EEEvT1_
                                        ; -- End function
	.section	.AMDGPU.csdata,"",@progbits
; Kernel info:
; codeLenInByte = 12548
; NumSgprs: 50
; NumVgprs: 79
; NumAgprs: 0
; TotalNumVgprs: 79
; ScratchSize: 0
; MemoryBound: 0
; FloatMode: 240
; IeeeMode: 1
; LDSByteSize: 28680 bytes/workgroup (compile time only)
; SGPRBlocks: 6
; VGPRBlocks: 9
; NumSGPRsForWavesPerEU: 50
; NumVGPRsForWavesPerEU: 79
; AccumOffset: 80
; Occupancy: 4
; WaveLimiterHint : 1
; COMPUTE_PGM_RSRC2:SCRATCH_EN: 0
; COMPUTE_PGM_RSRC2:USER_SGPR: 2
; COMPUTE_PGM_RSRC2:TRAP_HANDLER: 0
; COMPUTE_PGM_RSRC2:TGID_X_EN: 1
; COMPUTE_PGM_RSRC2:TGID_Y_EN: 0
; COMPUTE_PGM_RSRC2:TGID_Z_EN: 0
; COMPUTE_PGM_RSRC2:TIDIG_COMP_CNT: 0
; COMPUTE_PGM_RSRC3_GFX90A:ACCUM_OFFSET: 19
; COMPUTE_PGM_RSRC3_GFX90A:TG_SPLIT: 0
	.section	.text._ZN7rocprim17ROCPRIM_400000_NS6detail17trampoline_kernelINS0_14default_configENS1_25partition_config_selectorILNS1_17partition_subalgoE1EsNS0_10empty_typeEbEEZZNS1_14partition_implILS5_1ELb0ES3_jN6thrust23THRUST_200600_302600_NS6detail15normal_iteratorINSA_10device_ptrIsEEEEPS6_NSA_18transform_iteratorINSA_8identityIsEESF_NSA_11use_defaultESK_EENS0_5tupleIJSF_SF_EEENSM_IJSG_SG_EEES6_PlJS6_EEE10hipError_tPvRmT3_T4_T5_T6_T7_T9_mT8_P12ihipStream_tbDpT10_ENKUlT_T0_E_clISt17integral_constantIbLb1EES18_IbLb0EEEEDaS14_S15_EUlS14_E_NS1_11comp_targetILNS1_3genE4ELNS1_11target_archE910ELNS1_3gpuE8ELNS1_3repE0EEENS1_30default_config_static_selectorELNS0_4arch9wavefront6targetE1EEEvT1_,"axG",@progbits,_ZN7rocprim17ROCPRIM_400000_NS6detail17trampoline_kernelINS0_14default_configENS1_25partition_config_selectorILNS1_17partition_subalgoE1EsNS0_10empty_typeEbEEZZNS1_14partition_implILS5_1ELb0ES3_jN6thrust23THRUST_200600_302600_NS6detail15normal_iteratorINSA_10device_ptrIsEEEEPS6_NSA_18transform_iteratorINSA_8identityIsEESF_NSA_11use_defaultESK_EENS0_5tupleIJSF_SF_EEENSM_IJSG_SG_EEES6_PlJS6_EEE10hipError_tPvRmT3_T4_T5_T6_T7_T9_mT8_P12ihipStream_tbDpT10_ENKUlT_T0_E_clISt17integral_constantIbLb1EES18_IbLb0EEEEDaS14_S15_EUlS14_E_NS1_11comp_targetILNS1_3genE4ELNS1_11target_archE910ELNS1_3gpuE8ELNS1_3repE0EEENS1_30default_config_static_selectorELNS0_4arch9wavefront6targetE1EEEvT1_,comdat
	.protected	_ZN7rocprim17ROCPRIM_400000_NS6detail17trampoline_kernelINS0_14default_configENS1_25partition_config_selectorILNS1_17partition_subalgoE1EsNS0_10empty_typeEbEEZZNS1_14partition_implILS5_1ELb0ES3_jN6thrust23THRUST_200600_302600_NS6detail15normal_iteratorINSA_10device_ptrIsEEEEPS6_NSA_18transform_iteratorINSA_8identityIsEESF_NSA_11use_defaultESK_EENS0_5tupleIJSF_SF_EEENSM_IJSG_SG_EEES6_PlJS6_EEE10hipError_tPvRmT3_T4_T5_T6_T7_T9_mT8_P12ihipStream_tbDpT10_ENKUlT_T0_E_clISt17integral_constantIbLb1EES18_IbLb0EEEEDaS14_S15_EUlS14_E_NS1_11comp_targetILNS1_3genE4ELNS1_11target_archE910ELNS1_3gpuE8ELNS1_3repE0EEENS1_30default_config_static_selectorELNS0_4arch9wavefront6targetE1EEEvT1_ ; -- Begin function _ZN7rocprim17ROCPRIM_400000_NS6detail17trampoline_kernelINS0_14default_configENS1_25partition_config_selectorILNS1_17partition_subalgoE1EsNS0_10empty_typeEbEEZZNS1_14partition_implILS5_1ELb0ES3_jN6thrust23THRUST_200600_302600_NS6detail15normal_iteratorINSA_10device_ptrIsEEEEPS6_NSA_18transform_iteratorINSA_8identityIsEESF_NSA_11use_defaultESK_EENS0_5tupleIJSF_SF_EEENSM_IJSG_SG_EEES6_PlJS6_EEE10hipError_tPvRmT3_T4_T5_T6_T7_T9_mT8_P12ihipStream_tbDpT10_ENKUlT_T0_E_clISt17integral_constantIbLb1EES18_IbLb0EEEEDaS14_S15_EUlS14_E_NS1_11comp_targetILNS1_3genE4ELNS1_11target_archE910ELNS1_3gpuE8ELNS1_3repE0EEENS1_30default_config_static_selectorELNS0_4arch9wavefront6targetE1EEEvT1_
	.globl	_ZN7rocprim17ROCPRIM_400000_NS6detail17trampoline_kernelINS0_14default_configENS1_25partition_config_selectorILNS1_17partition_subalgoE1EsNS0_10empty_typeEbEEZZNS1_14partition_implILS5_1ELb0ES3_jN6thrust23THRUST_200600_302600_NS6detail15normal_iteratorINSA_10device_ptrIsEEEEPS6_NSA_18transform_iteratorINSA_8identityIsEESF_NSA_11use_defaultESK_EENS0_5tupleIJSF_SF_EEENSM_IJSG_SG_EEES6_PlJS6_EEE10hipError_tPvRmT3_T4_T5_T6_T7_T9_mT8_P12ihipStream_tbDpT10_ENKUlT_T0_E_clISt17integral_constantIbLb1EES18_IbLb0EEEEDaS14_S15_EUlS14_E_NS1_11comp_targetILNS1_3genE4ELNS1_11target_archE910ELNS1_3gpuE8ELNS1_3repE0EEENS1_30default_config_static_selectorELNS0_4arch9wavefront6targetE1EEEvT1_
	.p2align	8
	.type	_ZN7rocprim17ROCPRIM_400000_NS6detail17trampoline_kernelINS0_14default_configENS1_25partition_config_selectorILNS1_17partition_subalgoE1EsNS0_10empty_typeEbEEZZNS1_14partition_implILS5_1ELb0ES3_jN6thrust23THRUST_200600_302600_NS6detail15normal_iteratorINSA_10device_ptrIsEEEEPS6_NSA_18transform_iteratorINSA_8identityIsEESF_NSA_11use_defaultESK_EENS0_5tupleIJSF_SF_EEENSM_IJSG_SG_EEES6_PlJS6_EEE10hipError_tPvRmT3_T4_T5_T6_T7_T9_mT8_P12ihipStream_tbDpT10_ENKUlT_T0_E_clISt17integral_constantIbLb1EES18_IbLb0EEEEDaS14_S15_EUlS14_E_NS1_11comp_targetILNS1_3genE4ELNS1_11target_archE910ELNS1_3gpuE8ELNS1_3repE0EEENS1_30default_config_static_selectorELNS0_4arch9wavefront6targetE1EEEvT1_,@function
_ZN7rocprim17ROCPRIM_400000_NS6detail17trampoline_kernelINS0_14default_configENS1_25partition_config_selectorILNS1_17partition_subalgoE1EsNS0_10empty_typeEbEEZZNS1_14partition_implILS5_1ELb0ES3_jN6thrust23THRUST_200600_302600_NS6detail15normal_iteratorINSA_10device_ptrIsEEEEPS6_NSA_18transform_iteratorINSA_8identityIsEESF_NSA_11use_defaultESK_EENS0_5tupleIJSF_SF_EEENSM_IJSG_SG_EEES6_PlJS6_EEE10hipError_tPvRmT3_T4_T5_T6_T7_T9_mT8_P12ihipStream_tbDpT10_ENKUlT_T0_E_clISt17integral_constantIbLb1EES18_IbLb0EEEEDaS14_S15_EUlS14_E_NS1_11comp_targetILNS1_3genE4ELNS1_11target_archE910ELNS1_3gpuE8ELNS1_3repE0EEENS1_30default_config_static_selectorELNS0_4arch9wavefront6targetE1EEEvT1_: ; @_ZN7rocprim17ROCPRIM_400000_NS6detail17trampoline_kernelINS0_14default_configENS1_25partition_config_selectorILNS1_17partition_subalgoE1EsNS0_10empty_typeEbEEZZNS1_14partition_implILS5_1ELb0ES3_jN6thrust23THRUST_200600_302600_NS6detail15normal_iteratorINSA_10device_ptrIsEEEEPS6_NSA_18transform_iteratorINSA_8identityIsEESF_NSA_11use_defaultESK_EENS0_5tupleIJSF_SF_EEENSM_IJSG_SG_EEES6_PlJS6_EEE10hipError_tPvRmT3_T4_T5_T6_T7_T9_mT8_P12ihipStream_tbDpT10_ENKUlT_T0_E_clISt17integral_constantIbLb1EES18_IbLb0EEEEDaS14_S15_EUlS14_E_NS1_11comp_targetILNS1_3genE4ELNS1_11target_archE910ELNS1_3gpuE8ELNS1_3repE0EEENS1_30default_config_static_selectorELNS0_4arch9wavefront6targetE1EEEvT1_
; %bb.0:
	.section	.rodata,"a",@progbits
	.p2align	6, 0x0
	.amdhsa_kernel _ZN7rocprim17ROCPRIM_400000_NS6detail17trampoline_kernelINS0_14default_configENS1_25partition_config_selectorILNS1_17partition_subalgoE1EsNS0_10empty_typeEbEEZZNS1_14partition_implILS5_1ELb0ES3_jN6thrust23THRUST_200600_302600_NS6detail15normal_iteratorINSA_10device_ptrIsEEEEPS6_NSA_18transform_iteratorINSA_8identityIsEESF_NSA_11use_defaultESK_EENS0_5tupleIJSF_SF_EEENSM_IJSG_SG_EEES6_PlJS6_EEE10hipError_tPvRmT3_T4_T5_T6_T7_T9_mT8_P12ihipStream_tbDpT10_ENKUlT_T0_E_clISt17integral_constantIbLb1EES18_IbLb0EEEEDaS14_S15_EUlS14_E_NS1_11comp_targetILNS1_3genE4ELNS1_11target_archE910ELNS1_3gpuE8ELNS1_3repE0EEENS1_30default_config_static_selectorELNS0_4arch9wavefront6targetE1EEEvT1_
		.amdhsa_group_segment_fixed_size 0
		.amdhsa_private_segment_fixed_size 0
		.amdhsa_kernarg_size 128
		.amdhsa_user_sgpr_count 2
		.amdhsa_user_sgpr_dispatch_ptr 0
		.amdhsa_user_sgpr_queue_ptr 0
		.amdhsa_user_sgpr_kernarg_segment_ptr 1
		.amdhsa_user_sgpr_dispatch_id 0
		.amdhsa_user_sgpr_kernarg_preload_length 0
		.amdhsa_user_sgpr_kernarg_preload_offset 0
		.amdhsa_user_sgpr_private_segment_size 0
		.amdhsa_uses_dynamic_stack 0
		.amdhsa_enable_private_segment 0
		.amdhsa_system_sgpr_workgroup_id_x 1
		.amdhsa_system_sgpr_workgroup_id_y 0
		.amdhsa_system_sgpr_workgroup_id_z 0
		.amdhsa_system_sgpr_workgroup_info 0
		.amdhsa_system_vgpr_workitem_id 0
		.amdhsa_next_free_vgpr 1
		.amdhsa_next_free_sgpr 0
		.amdhsa_accum_offset 4
		.amdhsa_reserve_vcc 0
		.amdhsa_float_round_mode_32 0
		.amdhsa_float_round_mode_16_64 0
		.amdhsa_float_denorm_mode_32 3
		.amdhsa_float_denorm_mode_16_64 3
		.amdhsa_dx10_clamp 1
		.amdhsa_ieee_mode 1
		.amdhsa_fp16_overflow 0
		.amdhsa_tg_split 0
		.amdhsa_exception_fp_ieee_invalid_op 0
		.amdhsa_exception_fp_denorm_src 0
		.amdhsa_exception_fp_ieee_div_zero 0
		.amdhsa_exception_fp_ieee_overflow 0
		.amdhsa_exception_fp_ieee_underflow 0
		.amdhsa_exception_fp_ieee_inexact 0
		.amdhsa_exception_int_div_zero 0
	.end_amdhsa_kernel
	.section	.text._ZN7rocprim17ROCPRIM_400000_NS6detail17trampoline_kernelINS0_14default_configENS1_25partition_config_selectorILNS1_17partition_subalgoE1EsNS0_10empty_typeEbEEZZNS1_14partition_implILS5_1ELb0ES3_jN6thrust23THRUST_200600_302600_NS6detail15normal_iteratorINSA_10device_ptrIsEEEEPS6_NSA_18transform_iteratorINSA_8identityIsEESF_NSA_11use_defaultESK_EENS0_5tupleIJSF_SF_EEENSM_IJSG_SG_EEES6_PlJS6_EEE10hipError_tPvRmT3_T4_T5_T6_T7_T9_mT8_P12ihipStream_tbDpT10_ENKUlT_T0_E_clISt17integral_constantIbLb1EES18_IbLb0EEEEDaS14_S15_EUlS14_E_NS1_11comp_targetILNS1_3genE4ELNS1_11target_archE910ELNS1_3gpuE8ELNS1_3repE0EEENS1_30default_config_static_selectorELNS0_4arch9wavefront6targetE1EEEvT1_,"axG",@progbits,_ZN7rocprim17ROCPRIM_400000_NS6detail17trampoline_kernelINS0_14default_configENS1_25partition_config_selectorILNS1_17partition_subalgoE1EsNS0_10empty_typeEbEEZZNS1_14partition_implILS5_1ELb0ES3_jN6thrust23THRUST_200600_302600_NS6detail15normal_iteratorINSA_10device_ptrIsEEEEPS6_NSA_18transform_iteratorINSA_8identityIsEESF_NSA_11use_defaultESK_EENS0_5tupleIJSF_SF_EEENSM_IJSG_SG_EEES6_PlJS6_EEE10hipError_tPvRmT3_T4_T5_T6_T7_T9_mT8_P12ihipStream_tbDpT10_ENKUlT_T0_E_clISt17integral_constantIbLb1EES18_IbLb0EEEEDaS14_S15_EUlS14_E_NS1_11comp_targetILNS1_3genE4ELNS1_11target_archE910ELNS1_3gpuE8ELNS1_3repE0EEENS1_30default_config_static_selectorELNS0_4arch9wavefront6targetE1EEEvT1_,comdat
.Lfunc_end659:
	.size	_ZN7rocprim17ROCPRIM_400000_NS6detail17trampoline_kernelINS0_14default_configENS1_25partition_config_selectorILNS1_17partition_subalgoE1EsNS0_10empty_typeEbEEZZNS1_14partition_implILS5_1ELb0ES3_jN6thrust23THRUST_200600_302600_NS6detail15normal_iteratorINSA_10device_ptrIsEEEEPS6_NSA_18transform_iteratorINSA_8identityIsEESF_NSA_11use_defaultESK_EENS0_5tupleIJSF_SF_EEENSM_IJSG_SG_EEES6_PlJS6_EEE10hipError_tPvRmT3_T4_T5_T6_T7_T9_mT8_P12ihipStream_tbDpT10_ENKUlT_T0_E_clISt17integral_constantIbLb1EES18_IbLb0EEEEDaS14_S15_EUlS14_E_NS1_11comp_targetILNS1_3genE4ELNS1_11target_archE910ELNS1_3gpuE8ELNS1_3repE0EEENS1_30default_config_static_selectorELNS0_4arch9wavefront6targetE1EEEvT1_, .Lfunc_end659-_ZN7rocprim17ROCPRIM_400000_NS6detail17trampoline_kernelINS0_14default_configENS1_25partition_config_selectorILNS1_17partition_subalgoE1EsNS0_10empty_typeEbEEZZNS1_14partition_implILS5_1ELb0ES3_jN6thrust23THRUST_200600_302600_NS6detail15normal_iteratorINSA_10device_ptrIsEEEEPS6_NSA_18transform_iteratorINSA_8identityIsEESF_NSA_11use_defaultESK_EENS0_5tupleIJSF_SF_EEENSM_IJSG_SG_EEES6_PlJS6_EEE10hipError_tPvRmT3_T4_T5_T6_T7_T9_mT8_P12ihipStream_tbDpT10_ENKUlT_T0_E_clISt17integral_constantIbLb1EES18_IbLb0EEEEDaS14_S15_EUlS14_E_NS1_11comp_targetILNS1_3genE4ELNS1_11target_archE910ELNS1_3gpuE8ELNS1_3repE0EEENS1_30default_config_static_selectorELNS0_4arch9wavefront6targetE1EEEvT1_
                                        ; -- End function
	.section	.AMDGPU.csdata,"",@progbits
; Kernel info:
; codeLenInByte = 0
; NumSgprs: 6
; NumVgprs: 0
; NumAgprs: 0
; TotalNumVgprs: 0
; ScratchSize: 0
; MemoryBound: 0
; FloatMode: 240
; IeeeMode: 1
; LDSByteSize: 0 bytes/workgroup (compile time only)
; SGPRBlocks: 0
; VGPRBlocks: 0
; NumSGPRsForWavesPerEU: 6
; NumVGPRsForWavesPerEU: 1
; AccumOffset: 4
; Occupancy: 8
; WaveLimiterHint : 0
; COMPUTE_PGM_RSRC2:SCRATCH_EN: 0
; COMPUTE_PGM_RSRC2:USER_SGPR: 2
; COMPUTE_PGM_RSRC2:TRAP_HANDLER: 0
; COMPUTE_PGM_RSRC2:TGID_X_EN: 1
; COMPUTE_PGM_RSRC2:TGID_Y_EN: 0
; COMPUTE_PGM_RSRC2:TGID_Z_EN: 0
; COMPUTE_PGM_RSRC2:TIDIG_COMP_CNT: 0
; COMPUTE_PGM_RSRC3_GFX90A:ACCUM_OFFSET: 0
; COMPUTE_PGM_RSRC3_GFX90A:TG_SPLIT: 0
	.section	.text._ZN7rocprim17ROCPRIM_400000_NS6detail17trampoline_kernelINS0_14default_configENS1_25partition_config_selectorILNS1_17partition_subalgoE1EsNS0_10empty_typeEbEEZZNS1_14partition_implILS5_1ELb0ES3_jN6thrust23THRUST_200600_302600_NS6detail15normal_iteratorINSA_10device_ptrIsEEEEPS6_NSA_18transform_iteratorINSA_8identityIsEESF_NSA_11use_defaultESK_EENS0_5tupleIJSF_SF_EEENSM_IJSG_SG_EEES6_PlJS6_EEE10hipError_tPvRmT3_T4_T5_T6_T7_T9_mT8_P12ihipStream_tbDpT10_ENKUlT_T0_E_clISt17integral_constantIbLb1EES18_IbLb0EEEEDaS14_S15_EUlS14_E_NS1_11comp_targetILNS1_3genE3ELNS1_11target_archE908ELNS1_3gpuE7ELNS1_3repE0EEENS1_30default_config_static_selectorELNS0_4arch9wavefront6targetE1EEEvT1_,"axG",@progbits,_ZN7rocprim17ROCPRIM_400000_NS6detail17trampoline_kernelINS0_14default_configENS1_25partition_config_selectorILNS1_17partition_subalgoE1EsNS0_10empty_typeEbEEZZNS1_14partition_implILS5_1ELb0ES3_jN6thrust23THRUST_200600_302600_NS6detail15normal_iteratorINSA_10device_ptrIsEEEEPS6_NSA_18transform_iteratorINSA_8identityIsEESF_NSA_11use_defaultESK_EENS0_5tupleIJSF_SF_EEENSM_IJSG_SG_EEES6_PlJS6_EEE10hipError_tPvRmT3_T4_T5_T6_T7_T9_mT8_P12ihipStream_tbDpT10_ENKUlT_T0_E_clISt17integral_constantIbLb1EES18_IbLb0EEEEDaS14_S15_EUlS14_E_NS1_11comp_targetILNS1_3genE3ELNS1_11target_archE908ELNS1_3gpuE7ELNS1_3repE0EEENS1_30default_config_static_selectorELNS0_4arch9wavefront6targetE1EEEvT1_,comdat
	.protected	_ZN7rocprim17ROCPRIM_400000_NS6detail17trampoline_kernelINS0_14default_configENS1_25partition_config_selectorILNS1_17partition_subalgoE1EsNS0_10empty_typeEbEEZZNS1_14partition_implILS5_1ELb0ES3_jN6thrust23THRUST_200600_302600_NS6detail15normal_iteratorINSA_10device_ptrIsEEEEPS6_NSA_18transform_iteratorINSA_8identityIsEESF_NSA_11use_defaultESK_EENS0_5tupleIJSF_SF_EEENSM_IJSG_SG_EEES6_PlJS6_EEE10hipError_tPvRmT3_T4_T5_T6_T7_T9_mT8_P12ihipStream_tbDpT10_ENKUlT_T0_E_clISt17integral_constantIbLb1EES18_IbLb0EEEEDaS14_S15_EUlS14_E_NS1_11comp_targetILNS1_3genE3ELNS1_11target_archE908ELNS1_3gpuE7ELNS1_3repE0EEENS1_30default_config_static_selectorELNS0_4arch9wavefront6targetE1EEEvT1_ ; -- Begin function _ZN7rocprim17ROCPRIM_400000_NS6detail17trampoline_kernelINS0_14default_configENS1_25partition_config_selectorILNS1_17partition_subalgoE1EsNS0_10empty_typeEbEEZZNS1_14partition_implILS5_1ELb0ES3_jN6thrust23THRUST_200600_302600_NS6detail15normal_iteratorINSA_10device_ptrIsEEEEPS6_NSA_18transform_iteratorINSA_8identityIsEESF_NSA_11use_defaultESK_EENS0_5tupleIJSF_SF_EEENSM_IJSG_SG_EEES6_PlJS6_EEE10hipError_tPvRmT3_T4_T5_T6_T7_T9_mT8_P12ihipStream_tbDpT10_ENKUlT_T0_E_clISt17integral_constantIbLb1EES18_IbLb0EEEEDaS14_S15_EUlS14_E_NS1_11comp_targetILNS1_3genE3ELNS1_11target_archE908ELNS1_3gpuE7ELNS1_3repE0EEENS1_30default_config_static_selectorELNS0_4arch9wavefront6targetE1EEEvT1_
	.globl	_ZN7rocprim17ROCPRIM_400000_NS6detail17trampoline_kernelINS0_14default_configENS1_25partition_config_selectorILNS1_17partition_subalgoE1EsNS0_10empty_typeEbEEZZNS1_14partition_implILS5_1ELb0ES3_jN6thrust23THRUST_200600_302600_NS6detail15normal_iteratorINSA_10device_ptrIsEEEEPS6_NSA_18transform_iteratorINSA_8identityIsEESF_NSA_11use_defaultESK_EENS0_5tupleIJSF_SF_EEENSM_IJSG_SG_EEES6_PlJS6_EEE10hipError_tPvRmT3_T4_T5_T6_T7_T9_mT8_P12ihipStream_tbDpT10_ENKUlT_T0_E_clISt17integral_constantIbLb1EES18_IbLb0EEEEDaS14_S15_EUlS14_E_NS1_11comp_targetILNS1_3genE3ELNS1_11target_archE908ELNS1_3gpuE7ELNS1_3repE0EEENS1_30default_config_static_selectorELNS0_4arch9wavefront6targetE1EEEvT1_
	.p2align	8
	.type	_ZN7rocprim17ROCPRIM_400000_NS6detail17trampoline_kernelINS0_14default_configENS1_25partition_config_selectorILNS1_17partition_subalgoE1EsNS0_10empty_typeEbEEZZNS1_14partition_implILS5_1ELb0ES3_jN6thrust23THRUST_200600_302600_NS6detail15normal_iteratorINSA_10device_ptrIsEEEEPS6_NSA_18transform_iteratorINSA_8identityIsEESF_NSA_11use_defaultESK_EENS0_5tupleIJSF_SF_EEENSM_IJSG_SG_EEES6_PlJS6_EEE10hipError_tPvRmT3_T4_T5_T6_T7_T9_mT8_P12ihipStream_tbDpT10_ENKUlT_T0_E_clISt17integral_constantIbLb1EES18_IbLb0EEEEDaS14_S15_EUlS14_E_NS1_11comp_targetILNS1_3genE3ELNS1_11target_archE908ELNS1_3gpuE7ELNS1_3repE0EEENS1_30default_config_static_selectorELNS0_4arch9wavefront6targetE1EEEvT1_,@function
_ZN7rocprim17ROCPRIM_400000_NS6detail17trampoline_kernelINS0_14default_configENS1_25partition_config_selectorILNS1_17partition_subalgoE1EsNS0_10empty_typeEbEEZZNS1_14partition_implILS5_1ELb0ES3_jN6thrust23THRUST_200600_302600_NS6detail15normal_iteratorINSA_10device_ptrIsEEEEPS6_NSA_18transform_iteratorINSA_8identityIsEESF_NSA_11use_defaultESK_EENS0_5tupleIJSF_SF_EEENSM_IJSG_SG_EEES6_PlJS6_EEE10hipError_tPvRmT3_T4_T5_T6_T7_T9_mT8_P12ihipStream_tbDpT10_ENKUlT_T0_E_clISt17integral_constantIbLb1EES18_IbLb0EEEEDaS14_S15_EUlS14_E_NS1_11comp_targetILNS1_3genE3ELNS1_11target_archE908ELNS1_3gpuE7ELNS1_3repE0EEENS1_30default_config_static_selectorELNS0_4arch9wavefront6targetE1EEEvT1_: ; @_ZN7rocprim17ROCPRIM_400000_NS6detail17trampoline_kernelINS0_14default_configENS1_25partition_config_selectorILNS1_17partition_subalgoE1EsNS0_10empty_typeEbEEZZNS1_14partition_implILS5_1ELb0ES3_jN6thrust23THRUST_200600_302600_NS6detail15normal_iteratorINSA_10device_ptrIsEEEEPS6_NSA_18transform_iteratorINSA_8identityIsEESF_NSA_11use_defaultESK_EENS0_5tupleIJSF_SF_EEENSM_IJSG_SG_EEES6_PlJS6_EEE10hipError_tPvRmT3_T4_T5_T6_T7_T9_mT8_P12ihipStream_tbDpT10_ENKUlT_T0_E_clISt17integral_constantIbLb1EES18_IbLb0EEEEDaS14_S15_EUlS14_E_NS1_11comp_targetILNS1_3genE3ELNS1_11target_archE908ELNS1_3gpuE7ELNS1_3repE0EEENS1_30default_config_static_selectorELNS0_4arch9wavefront6targetE1EEEvT1_
; %bb.0:
	.section	.rodata,"a",@progbits
	.p2align	6, 0x0
	.amdhsa_kernel _ZN7rocprim17ROCPRIM_400000_NS6detail17trampoline_kernelINS0_14default_configENS1_25partition_config_selectorILNS1_17partition_subalgoE1EsNS0_10empty_typeEbEEZZNS1_14partition_implILS5_1ELb0ES3_jN6thrust23THRUST_200600_302600_NS6detail15normal_iteratorINSA_10device_ptrIsEEEEPS6_NSA_18transform_iteratorINSA_8identityIsEESF_NSA_11use_defaultESK_EENS0_5tupleIJSF_SF_EEENSM_IJSG_SG_EEES6_PlJS6_EEE10hipError_tPvRmT3_T4_T5_T6_T7_T9_mT8_P12ihipStream_tbDpT10_ENKUlT_T0_E_clISt17integral_constantIbLb1EES18_IbLb0EEEEDaS14_S15_EUlS14_E_NS1_11comp_targetILNS1_3genE3ELNS1_11target_archE908ELNS1_3gpuE7ELNS1_3repE0EEENS1_30default_config_static_selectorELNS0_4arch9wavefront6targetE1EEEvT1_
		.amdhsa_group_segment_fixed_size 0
		.amdhsa_private_segment_fixed_size 0
		.amdhsa_kernarg_size 128
		.amdhsa_user_sgpr_count 2
		.amdhsa_user_sgpr_dispatch_ptr 0
		.amdhsa_user_sgpr_queue_ptr 0
		.amdhsa_user_sgpr_kernarg_segment_ptr 1
		.amdhsa_user_sgpr_dispatch_id 0
		.amdhsa_user_sgpr_kernarg_preload_length 0
		.amdhsa_user_sgpr_kernarg_preload_offset 0
		.amdhsa_user_sgpr_private_segment_size 0
		.amdhsa_uses_dynamic_stack 0
		.amdhsa_enable_private_segment 0
		.amdhsa_system_sgpr_workgroup_id_x 1
		.amdhsa_system_sgpr_workgroup_id_y 0
		.amdhsa_system_sgpr_workgroup_id_z 0
		.amdhsa_system_sgpr_workgroup_info 0
		.amdhsa_system_vgpr_workitem_id 0
		.amdhsa_next_free_vgpr 1
		.amdhsa_next_free_sgpr 0
		.amdhsa_accum_offset 4
		.amdhsa_reserve_vcc 0
		.amdhsa_float_round_mode_32 0
		.amdhsa_float_round_mode_16_64 0
		.amdhsa_float_denorm_mode_32 3
		.amdhsa_float_denorm_mode_16_64 3
		.amdhsa_dx10_clamp 1
		.amdhsa_ieee_mode 1
		.amdhsa_fp16_overflow 0
		.amdhsa_tg_split 0
		.amdhsa_exception_fp_ieee_invalid_op 0
		.amdhsa_exception_fp_denorm_src 0
		.amdhsa_exception_fp_ieee_div_zero 0
		.amdhsa_exception_fp_ieee_overflow 0
		.amdhsa_exception_fp_ieee_underflow 0
		.amdhsa_exception_fp_ieee_inexact 0
		.amdhsa_exception_int_div_zero 0
	.end_amdhsa_kernel
	.section	.text._ZN7rocprim17ROCPRIM_400000_NS6detail17trampoline_kernelINS0_14default_configENS1_25partition_config_selectorILNS1_17partition_subalgoE1EsNS0_10empty_typeEbEEZZNS1_14partition_implILS5_1ELb0ES3_jN6thrust23THRUST_200600_302600_NS6detail15normal_iteratorINSA_10device_ptrIsEEEEPS6_NSA_18transform_iteratorINSA_8identityIsEESF_NSA_11use_defaultESK_EENS0_5tupleIJSF_SF_EEENSM_IJSG_SG_EEES6_PlJS6_EEE10hipError_tPvRmT3_T4_T5_T6_T7_T9_mT8_P12ihipStream_tbDpT10_ENKUlT_T0_E_clISt17integral_constantIbLb1EES18_IbLb0EEEEDaS14_S15_EUlS14_E_NS1_11comp_targetILNS1_3genE3ELNS1_11target_archE908ELNS1_3gpuE7ELNS1_3repE0EEENS1_30default_config_static_selectorELNS0_4arch9wavefront6targetE1EEEvT1_,"axG",@progbits,_ZN7rocprim17ROCPRIM_400000_NS6detail17trampoline_kernelINS0_14default_configENS1_25partition_config_selectorILNS1_17partition_subalgoE1EsNS0_10empty_typeEbEEZZNS1_14partition_implILS5_1ELb0ES3_jN6thrust23THRUST_200600_302600_NS6detail15normal_iteratorINSA_10device_ptrIsEEEEPS6_NSA_18transform_iteratorINSA_8identityIsEESF_NSA_11use_defaultESK_EENS0_5tupleIJSF_SF_EEENSM_IJSG_SG_EEES6_PlJS6_EEE10hipError_tPvRmT3_T4_T5_T6_T7_T9_mT8_P12ihipStream_tbDpT10_ENKUlT_T0_E_clISt17integral_constantIbLb1EES18_IbLb0EEEEDaS14_S15_EUlS14_E_NS1_11comp_targetILNS1_3genE3ELNS1_11target_archE908ELNS1_3gpuE7ELNS1_3repE0EEENS1_30default_config_static_selectorELNS0_4arch9wavefront6targetE1EEEvT1_,comdat
.Lfunc_end660:
	.size	_ZN7rocprim17ROCPRIM_400000_NS6detail17trampoline_kernelINS0_14default_configENS1_25partition_config_selectorILNS1_17partition_subalgoE1EsNS0_10empty_typeEbEEZZNS1_14partition_implILS5_1ELb0ES3_jN6thrust23THRUST_200600_302600_NS6detail15normal_iteratorINSA_10device_ptrIsEEEEPS6_NSA_18transform_iteratorINSA_8identityIsEESF_NSA_11use_defaultESK_EENS0_5tupleIJSF_SF_EEENSM_IJSG_SG_EEES6_PlJS6_EEE10hipError_tPvRmT3_T4_T5_T6_T7_T9_mT8_P12ihipStream_tbDpT10_ENKUlT_T0_E_clISt17integral_constantIbLb1EES18_IbLb0EEEEDaS14_S15_EUlS14_E_NS1_11comp_targetILNS1_3genE3ELNS1_11target_archE908ELNS1_3gpuE7ELNS1_3repE0EEENS1_30default_config_static_selectorELNS0_4arch9wavefront6targetE1EEEvT1_, .Lfunc_end660-_ZN7rocprim17ROCPRIM_400000_NS6detail17trampoline_kernelINS0_14default_configENS1_25partition_config_selectorILNS1_17partition_subalgoE1EsNS0_10empty_typeEbEEZZNS1_14partition_implILS5_1ELb0ES3_jN6thrust23THRUST_200600_302600_NS6detail15normal_iteratorINSA_10device_ptrIsEEEEPS6_NSA_18transform_iteratorINSA_8identityIsEESF_NSA_11use_defaultESK_EENS0_5tupleIJSF_SF_EEENSM_IJSG_SG_EEES6_PlJS6_EEE10hipError_tPvRmT3_T4_T5_T6_T7_T9_mT8_P12ihipStream_tbDpT10_ENKUlT_T0_E_clISt17integral_constantIbLb1EES18_IbLb0EEEEDaS14_S15_EUlS14_E_NS1_11comp_targetILNS1_3genE3ELNS1_11target_archE908ELNS1_3gpuE7ELNS1_3repE0EEENS1_30default_config_static_selectorELNS0_4arch9wavefront6targetE1EEEvT1_
                                        ; -- End function
	.section	.AMDGPU.csdata,"",@progbits
; Kernel info:
; codeLenInByte = 0
; NumSgprs: 6
; NumVgprs: 0
; NumAgprs: 0
; TotalNumVgprs: 0
; ScratchSize: 0
; MemoryBound: 0
; FloatMode: 240
; IeeeMode: 1
; LDSByteSize: 0 bytes/workgroup (compile time only)
; SGPRBlocks: 0
; VGPRBlocks: 0
; NumSGPRsForWavesPerEU: 6
; NumVGPRsForWavesPerEU: 1
; AccumOffset: 4
; Occupancy: 8
; WaveLimiterHint : 0
; COMPUTE_PGM_RSRC2:SCRATCH_EN: 0
; COMPUTE_PGM_RSRC2:USER_SGPR: 2
; COMPUTE_PGM_RSRC2:TRAP_HANDLER: 0
; COMPUTE_PGM_RSRC2:TGID_X_EN: 1
; COMPUTE_PGM_RSRC2:TGID_Y_EN: 0
; COMPUTE_PGM_RSRC2:TGID_Z_EN: 0
; COMPUTE_PGM_RSRC2:TIDIG_COMP_CNT: 0
; COMPUTE_PGM_RSRC3_GFX90A:ACCUM_OFFSET: 0
; COMPUTE_PGM_RSRC3_GFX90A:TG_SPLIT: 0
	.section	.text._ZN7rocprim17ROCPRIM_400000_NS6detail17trampoline_kernelINS0_14default_configENS1_25partition_config_selectorILNS1_17partition_subalgoE1EsNS0_10empty_typeEbEEZZNS1_14partition_implILS5_1ELb0ES3_jN6thrust23THRUST_200600_302600_NS6detail15normal_iteratorINSA_10device_ptrIsEEEEPS6_NSA_18transform_iteratorINSA_8identityIsEESF_NSA_11use_defaultESK_EENS0_5tupleIJSF_SF_EEENSM_IJSG_SG_EEES6_PlJS6_EEE10hipError_tPvRmT3_T4_T5_T6_T7_T9_mT8_P12ihipStream_tbDpT10_ENKUlT_T0_E_clISt17integral_constantIbLb1EES18_IbLb0EEEEDaS14_S15_EUlS14_E_NS1_11comp_targetILNS1_3genE2ELNS1_11target_archE906ELNS1_3gpuE6ELNS1_3repE0EEENS1_30default_config_static_selectorELNS0_4arch9wavefront6targetE1EEEvT1_,"axG",@progbits,_ZN7rocprim17ROCPRIM_400000_NS6detail17trampoline_kernelINS0_14default_configENS1_25partition_config_selectorILNS1_17partition_subalgoE1EsNS0_10empty_typeEbEEZZNS1_14partition_implILS5_1ELb0ES3_jN6thrust23THRUST_200600_302600_NS6detail15normal_iteratorINSA_10device_ptrIsEEEEPS6_NSA_18transform_iteratorINSA_8identityIsEESF_NSA_11use_defaultESK_EENS0_5tupleIJSF_SF_EEENSM_IJSG_SG_EEES6_PlJS6_EEE10hipError_tPvRmT3_T4_T5_T6_T7_T9_mT8_P12ihipStream_tbDpT10_ENKUlT_T0_E_clISt17integral_constantIbLb1EES18_IbLb0EEEEDaS14_S15_EUlS14_E_NS1_11comp_targetILNS1_3genE2ELNS1_11target_archE906ELNS1_3gpuE6ELNS1_3repE0EEENS1_30default_config_static_selectorELNS0_4arch9wavefront6targetE1EEEvT1_,comdat
	.protected	_ZN7rocprim17ROCPRIM_400000_NS6detail17trampoline_kernelINS0_14default_configENS1_25partition_config_selectorILNS1_17partition_subalgoE1EsNS0_10empty_typeEbEEZZNS1_14partition_implILS5_1ELb0ES3_jN6thrust23THRUST_200600_302600_NS6detail15normal_iteratorINSA_10device_ptrIsEEEEPS6_NSA_18transform_iteratorINSA_8identityIsEESF_NSA_11use_defaultESK_EENS0_5tupleIJSF_SF_EEENSM_IJSG_SG_EEES6_PlJS6_EEE10hipError_tPvRmT3_T4_T5_T6_T7_T9_mT8_P12ihipStream_tbDpT10_ENKUlT_T0_E_clISt17integral_constantIbLb1EES18_IbLb0EEEEDaS14_S15_EUlS14_E_NS1_11comp_targetILNS1_3genE2ELNS1_11target_archE906ELNS1_3gpuE6ELNS1_3repE0EEENS1_30default_config_static_selectorELNS0_4arch9wavefront6targetE1EEEvT1_ ; -- Begin function _ZN7rocprim17ROCPRIM_400000_NS6detail17trampoline_kernelINS0_14default_configENS1_25partition_config_selectorILNS1_17partition_subalgoE1EsNS0_10empty_typeEbEEZZNS1_14partition_implILS5_1ELb0ES3_jN6thrust23THRUST_200600_302600_NS6detail15normal_iteratorINSA_10device_ptrIsEEEEPS6_NSA_18transform_iteratorINSA_8identityIsEESF_NSA_11use_defaultESK_EENS0_5tupleIJSF_SF_EEENSM_IJSG_SG_EEES6_PlJS6_EEE10hipError_tPvRmT3_T4_T5_T6_T7_T9_mT8_P12ihipStream_tbDpT10_ENKUlT_T0_E_clISt17integral_constantIbLb1EES18_IbLb0EEEEDaS14_S15_EUlS14_E_NS1_11comp_targetILNS1_3genE2ELNS1_11target_archE906ELNS1_3gpuE6ELNS1_3repE0EEENS1_30default_config_static_selectorELNS0_4arch9wavefront6targetE1EEEvT1_
	.globl	_ZN7rocprim17ROCPRIM_400000_NS6detail17trampoline_kernelINS0_14default_configENS1_25partition_config_selectorILNS1_17partition_subalgoE1EsNS0_10empty_typeEbEEZZNS1_14partition_implILS5_1ELb0ES3_jN6thrust23THRUST_200600_302600_NS6detail15normal_iteratorINSA_10device_ptrIsEEEEPS6_NSA_18transform_iteratorINSA_8identityIsEESF_NSA_11use_defaultESK_EENS0_5tupleIJSF_SF_EEENSM_IJSG_SG_EEES6_PlJS6_EEE10hipError_tPvRmT3_T4_T5_T6_T7_T9_mT8_P12ihipStream_tbDpT10_ENKUlT_T0_E_clISt17integral_constantIbLb1EES18_IbLb0EEEEDaS14_S15_EUlS14_E_NS1_11comp_targetILNS1_3genE2ELNS1_11target_archE906ELNS1_3gpuE6ELNS1_3repE0EEENS1_30default_config_static_selectorELNS0_4arch9wavefront6targetE1EEEvT1_
	.p2align	8
	.type	_ZN7rocprim17ROCPRIM_400000_NS6detail17trampoline_kernelINS0_14default_configENS1_25partition_config_selectorILNS1_17partition_subalgoE1EsNS0_10empty_typeEbEEZZNS1_14partition_implILS5_1ELb0ES3_jN6thrust23THRUST_200600_302600_NS6detail15normal_iteratorINSA_10device_ptrIsEEEEPS6_NSA_18transform_iteratorINSA_8identityIsEESF_NSA_11use_defaultESK_EENS0_5tupleIJSF_SF_EEENSM_IJSG_SG_EEES6_PlJS6_EEE10hipError_tPvRmT3_T4_T5_T6_T7_T9_mT8_P12ihipStream_tbDpT10_ENKUlT_T0_E_clISt17integral_constantIbLb1EES18_IbLb0EEEEDaS14_S15_EUlS14_E_NS1_11comp_targetILNS1_3genE2ELNS1_11target_archE906ELNS1_3gpuE6ELNS1_3repE0EEENS1_30default_config_static_selectorELNS0_4arch9wavefront6targetE1EEEvT1_,@function
_ZN7rocprim17ROCPRIM_400000_NS6detail17trampoline_kernelINS0_14default_configENS1_25partition_config_selectorILNS1_17partition_subalgoE1EsNS0_10empty_typeEbEEZZNS1_14partition_implILS5_1ELb0ES3_jN6thrust23THRUST_200600_302600_NS6detail15normal_iteratorINSA_10device_ptrIsEEEEPS6_NSA_18transform_iteratorINSA_8identityIsEESF_NSA_11use_defaultESK_EENS0_5tupleIJSF_SF_EEENSM_IJSG_SG_EEES6_PlJS6_EEE10hipError_tPvRmT3_T4_T5_T6_T7_T9_mT8_P12ihipStream_tbDpT10_ENKUlT_T0_E_clISt17integral_constantIbLb1EES18_IbLb0EEEEDaS14_S15_EUlS14_E_NS1_11comp_targetILNS1_3genE2ELNS1_11target_archE906ELNS1_3gpuE6ELNS1_3repE0EEENS1_30default_config_static_selectorELNS0_4arch9wavefront6targetE1EEEvT1_: ; @_ZN7rocprim17ROCPRIM_400000_NS6detail17trampoline_kernelINS0_14default_configENS1_25partition_config_selectorILNS1_17partition_subalgoE1EsNS0_10empty_typeEbEEZZNS1_14partition_implILS5_1ELb0ES3_jN6thrust23THRUST_200600_302600_NS6detail15normal_iteratorINSA_10device_ptrIsEEEEPS6_NSA_18transform_iteratorINSA_8identityIsEESF_NSA_11use_defaultESK_EENS0_5tupleIJSF_SF_EEENSM_IJSG_SG_EEES6_PlJS6_EEE10hipError_tPvRmT3_T4_T5_T6_T7_T9_mT8_P12ihipStream_tbDpT10_ENKUlT_T0_E_clISt17integral_constantIbLb1EES18_IbLb0EEEEDaS14_S15_EUlS14_E_NS1_11comp_targetILNS1_3genE2ELNS1_11target_archE906ELNS1_3gpuE6ELNS1_3repE0EEENS1_30default_config_static_selectorELNS0_4arch9wavefront6targetE1EEEvT1_
; %bb.0:
	.section	.rodata,"a",@progbits
	.p2align	6, 0x0
	.amdhsa_kernel _ZN7rocprim17ROCPRIM_400000_NS6detail17trampoline_kernelINS0_14default_configENS1_25partition_config_selectorILNS1_17partition_subalgoE1EsNS0_10empty_typeEbEEZZNS1_14partition_implILS5_1ELb0ES3_jN6thrust23THRUST_200600_302600_NS6detail15normal_iteratorINSA_10device_ptrIsEEEEPS6_NSA_18transform_iteratorINSA_8identityIsEESF_NSA_11use_defaultESK_EENS0_5tupleIJSF_SF_EEENSM_IJSG_SG_EEES6_PlJS6_EEE10hipError_tPvRmT3_T4_T5_T6_T7_T9_mT8_P12ihipStream_tbDpT10_ENKUlT_T0_E_clISt17integral_constantIbLb1EES18_IbLb0EEEEDaS14_S15_EUlS14_E_NS1_11comp_targetILNS1_3genE2ELNS1_11target_archE906ELNS1_3gpuE6ELNS1_3repE0EEENS1_30default_config_static_selectorELNS0_4arch9wavefront6targetE1EEEvT1_
		.amdhsa_group_segment_fixed_size 0
		.amdhsa_private_segment_fixed_size 0
		.amdhsa_kernarg_size 128
		.amdhsa_user_sgpr_count 2
		.amdhsa_user_sgpr_dispatch_ptr 0
		.amdhsa_user_sgpr_queue_ptr 0
		.amdhsa_user_sgpr_kernarg_segment_ptr 1
		.amdhsa_user_sgpr_dispatch_id 0
		.amdhsa_user_sgpr_kernarg_preload_length 0
		.amdhsa_user_sgpr_kernarg_preload_offset 0
		.amdhsa_user_sgpr_private_segment_size 0
		.amdhsa_uses_dynamic_stack 0
		.amdhsa_enable_private_segment 0
		.amdhsa_system_sgpr_workgroup_id_x 1
		.amdhsa_system_sgpr_workgroup_id_y 0
		.amdhsa_system_sgpr_workgroup_id_z 0
		.amdhsa_system_sgpr_workgroup_info 0
		.amdhsa_system_vgpr_workitem_id 0
		.amdhsa_next_free_vgpr 1
		.amdhsa_next_free_sgpr 0
		.amdhsa_accum_offset 4
		.amdhsa_reserve_vcc 0
		.amdhsa_float_round_mode_32 0
		.amdhsa_float_round_mode_16_64 0
		.amdhsa_float_denorm_mode_32 3
		.amdhsa_float_denorm_mode_16_64 3
		.amdhsa_dx10_clamp 1
		.amdhsa_ieee_mode 1
		.amdhsa_fp16_overflow 0
		.amdhsa_tg_split 0
		.amdhsa_exception_fp_ieee_invalid_op 0
		.amdhsa_exception_fp_denorm_src 0
		.amdhsa_exception_fp_ieee_div_zero 0
		.amdhsa_exception_fp_ieee_overflow 0
		.amdhsa_exception_fp_ieee_underflow 0
		.amdhsa_exception_fp_ieee_inexact 0
		.amdhsa_exception_int_div_zero 0
	.end_amdhsa_kernel
	.section	.text._ZN7rocprim17ROCPRIM_400000_NS6detail17trampoline_kernelINS0_14default_configENS1_25partition_config_selectorILNS1_17partition_subalgoE1EsNS0_10empty_typeEbEEZZNS1_14partition_implILS5_1ELb0ES3_jN6thrust23THRUST_200600_302600_NS6detail15normal_iteratorINSA_10device_ptrIsEEEEPS6_NSA_18transform_iteratorINSA_8identityIsEESF_NSA_11use_defaultESK_EENS0_5tupleIJSF_SF_EEENSM_IJSG_SG_EEES6_PlJS6_EEE10hipError_tPvRmT3_T4_T5_T6_T7_T9_mT8_P12ihipStream_tbDpT10_ENKUlT_T0_E_clISt17integral_constantIbLb1EES18_IbLb0EEEEDaS14_S15_EUlS14_E_NS1_11comp_targetILNS1_3genE2ELNS1_11target_archE906ELNS1_3gpuE6ELNS1_3repE0EEENS1_30default_config_static_selectorELNS0_4arch9wavefront6targetE1EEEvT1_,"axG",@progbits,_ZN7rocprim17ROCPRIM_400000_NS6detail17trampoline_kernelINS0_14default_configENS1_25partition_config_selectorILNS1_17partition_subalgoE1EsNS0_10empty_typeEbEEZZNS1_14partition_implILS5_1ELb0ES3_jN6thrust23THRUST_200600_302600_NS6detail15normal_iteratorINSA_10device_ptrIsEEEEPS6_NSA_18transform_iteratorINSA_8identityIsEESF_NSA_11use_defaultESK_EENS0_5tupleIJSF_SF_EEENSM_IJSG_SG_EEES6_PlJS6_EEE10hipError_tPvRmT3_T4_T5_T6_T7_T9_mT8_P12ihipStream_tbDpT10_ENKUlT_T0_E_clISt17integral_constantIbLb1EES18_IbLb0EEEEDaS14_S15_EUlS14_E_NS1_11comp_targetILNS1_3genE2ELNS1_11target_archE906ELNS1_3gpuE6ELNS1_3repE0EEENS1_30default_config_static_selectorELNS0_4arch9wavefront6targetE1EEEvT1_,comdat
.Lfunc_end661:
	.size	_ZN7rocprim17ROCPRIM_400000_NS6detail17trampoline_kernelINS0_14default_configENS1_25partition_config_selectorILNS1_17partition_subalgoE1EsNS0_10empty_typeEbEEZZNS1_14partition_implILS5_1ELb0ES3_jN6thrust23THRUST_200600_302600_NS6detail15normal_iteratorINSA_10device_ptrIsEEEEPS6_NSA_18transform_iteratorINSA_8identityIsEESF_NSA_11use_defaultESK_EENS0_5tupleIJSF_SF_EEENSM_IJSG_SG_EEES6_PlJS6_EEE10hipError_tPvRmT3_T4_T5_T6_T7_T9_mT8_P12ihipStream_tbDpT10_ENKUlT_T0_E_clISt17integral_constantIbLb1EES18_IbLb0EEEEDaS14_S15_EUlS14_E_NS1_11comp_targetILNS1_3genE2ELNS1_11target_archE906ELNS1_3gpuE6ELNS1_3repE0EEENS1_30default_config_static_selectorELNS0_4arch9wavefront6targetE1EEEvT1_, .Lfunc_end661-_ZN7rocprim17ROCPRIM_400000_NS6detail17trampoline_kernelINS0_14default_configENS1_25partition_config_selectorILNS1_17partition_subalgoE1EsNS0_10empty_typeEbEEZZNS1_14partition_implILS5_1ELb0ES3_jN6thrust23THRUST_200600_302600_NS6detail15normal_iteratorINSA_10device_ptrIsEEEEPS6_NSA_18transform_iteratorINSA_8identityIsEESF_NSA_11use_defaultESK_EENS0_5tupleIJSF_SF_EEENSM_IJSG_SG_EEES6_PlJS6_EEE10hipError_tPvRmT3_T4_T5_T6_T7_T9_mT8_P12ihipStream_tbDpT10_ENKUlT_T0_E_clISt17integral_constantIbLb1EES18_IbLb0EEEEDaS14_S15_EUlS14_E_NS1_11comp_targetILNS1_3genE2ELNS1_11target_archE906ELNS1_3gpuE6ELNS1_3repE0EEENS1_30default_config_static_selectorELNS0_4arch9wavefront6targetE1EEEvT1_
                                        ; -- End function
	.section	.AMDGPU.csdata,"",@progbits
; Kernel info:
; codeLenInByte = 0
; NumSgprs: 6
; NumVgprs: 0
; NumAgprs: 0
; TotalNumVgprs: 0
; ScratchSize: 0
; MemoryBound: 0
; FloatMode: 240
; IeeeMode: 1
; LDSByteSize: 0 bytes/workgroup (compile time only)
; SGPRBlocks: 0
; VGPRBlocks: 0
; NumSGPRsForWavesPerEU: 6
; NumVGPRsForWavesPerEU: 1
; AccumOffset: 4
; Occupancy: 8
; WaveLimiterHint : 0
; COMPUTE_PGM_RSRC2:SCRATCH_EN: 0
; COMPUTE_PGM_RSRC2:USER_SGPR: 2
; COMPUTE_PGM_RSRC2:TRAP_HANDLER: 0
; COMPUTE_PGM_RSRC2:TGID_X_EN: 1
; COMPUTE_PGM_RSRC2:TGID_Y_EN: 0
; COMPUTE_PGM_RSRC2:TGID_Z_EN: 0
; COMPUTE_PGM_RSRC2:TIDIG_COMP_CNT: 0
; COMPUTE_PGM_RSRC3_GFX90A:ACCUM_OFFSET: 0
; COMPUTE_PGM_RSRC3_GFX90A:TG_SPLIT: 0
	.section	.text._ZN7rocprim17ROCPRIM_400000_NS6detail17trampoline_kernelINS0_14default_configENS1_25partition_config_selectorILNS1_17partition_subalgoE1EsNS0_10empty_typeEbEEZZNS1_14partition_implILS5_1ELb0ES3_jN6thrust23THRUST_200600_302600_NS6detail15normal_iteratorINSA_10device_ptrIsEEEEPS6_NSA_18transform_iteratorINSA_8identityIsEESF_NSA_11use_defaultESK_EENS0_5tupleIJSF_SF_EEENSM_IJSG_SG_EEES6_PlJS6_EEE10hipError_tPvRmT3_T4_T5_T6_T7_T9_mT8_P12ihipStream_tbDpT10_ENKUlT_T0_E_clISt17integral_constantIbLb1EES18_IbLb0EEEEDaS14_S15_EUlS14_E_NS1_11comp_targetILNS1_3genE10ELNS1_11target_archE1200ELNS1_3gpuE4ELNS1_3repE0EEENS1_30default_config_static_selectorELNS0_4arch9wavefront6targetE1EEEvT1_,"axG",@progbits,_ZN7rocprim17ROCPRIM_400000_NS6detail17trampoline_kernelINS0_14default_configENS1_25partition_config_selectorILNS1_17partition_subalgoE1EsNS0_10empty_typeEbEEZZNS1_14partition_implILS5_1ELb0ES3_jN6thrust23THRUST_200600_302600_NS6detail15normal_iteratorINSA_10device_ptrIsEEEEPS6_NSA_18transform_iteratorINSA_8identityIsEESF_NSA_11use_defaultESK_EENS0_5tupleIJSF_SF_EEENSM_IJSG_SG_EEES6_PlJS6_EEE10hipError_tPvRmT3_T4_T5_T6_T7_T9_mT8_P12ihipStream_tbDpT10_ENKUlT_T0_E_clISt17integral_constantIbLb1EES18_IbLb0EEEEDaS14_S15_EUlS14_E_NS1_11comp_targetILNS1_3genE10ELNS1_11target_archE1200ELNS1_3gpuE4ELNS1_3repE0EEENS1_30default_config_static_selectorELNS0_4arch9wavefront6targetE1EEEvT1_,comdat
	.protected	_ZN7rocprim17ROCPRIM_400000_NS6detail17trampoline_kernelINS0_14default_configENS1_25partition_config_selectorILNS1_17partition_subalgoE1EsNS0_10empty_typeEbEEZZNS1_14partition_implILS5_1ELb0ES3_jN6thrust23THRUST_200600_302600_NS6detail15normal_iteratorINSA_10device_ptrIsEEEEPS6_NSA_18transform_iteratorINSA_8identityIsEESF_NSA_11use_defaultESK_EENS0_5tupleIJSF_SF_EEENSM_IJSG_SG_EEES6_PlJS6_EEE10hipError_tPvRmT3_T4_T5_T6_T7_T9_mT8_P12ihipStream_tbDpT10_ENKUlT_T0_E_clISt17integral_constantIbLb1EES18_IbLb0EEEEDaS14_S15_EUlS14_E_NS1_11comp_targetILNS1_3genE10ELNS1_11target_archE1200ELNS1_3gpuE4ELNS1_3repE0EEENS1_30default_config_static_selectorELNS0_4arch9wavefront6targetE1EEEvT1_ ; -- Begin function _ZN7rocprim17ROCPRIM_400000_NS6detail17trampoline_kernelINS0_14default_configENS1_25partition_config_selectorILNS1_17partition_subalgoE1EsNS0_10empty_typeEbEEZZNS1_14partition_implILS5_1ELb0ES3_jN6thrust23THRUST_200600_302600_NS6detail15normal_iteratorINSA_10device_ptrIsEEEEPS6_NSA_18transform_iteratorINSA_8identityIsEESF_NSA_11use_defaultESK_EENS0_5tupleIJSF_SF_EEENSM_IJSG_SG_EEES6_PlJS6_EEE10hipError_tPvRmT3_T4_T5_T6_T7_T9_mT8_P12ihipStream_tbDpT10_ENKUlT_T0_E_clISt17integral_constantIbLb1EES18_IbLb0EEEEDaS14_S15_EUlS14_E_NS1_11comp_targetILNS1_3genE10ELNS1_11target_archE1200ELNS1_3gpuE4ELNS1_3repE0EEENS1_30default_config_static_selectorELNS0_4arch9wavefront6targetE1EEEvT1_
	.globl	_ZN7rocprim17ROCPRIM_400000_NS6detail17trampoline_kernelINS0_14default_configENS1_25partition_config_selectorILNS1_17partition_subalgoE1EsNS0_10empty_typeEbEEZZNS1_14partition_implILS5_1ELb0ES3_jN6thrust23THRUST_200600_302600_NS6detail15normal_iteratorINSA_10device_ptrIsEEEEPS6_NSA_18transform_iteratorINSA_8identityIsEESF_NSA_11use_defaultESK_EENS0_5tupleIJSF_SF_EEENSM_IJSG_SG_EEES6_PlJS6_EEE10hipError_tPvRmT3_T4_T5_T6_T7_T9_mT8_P12ihipStream_tbDpT10_ENKUlT_T0_E_clISt17integral_constantIbLb1EES18_IbLb0EEEEDaS14_S15_EUlS14_E_NS1_11comp_targetILNS1_3genE10ELNS1_11target_archE1200ELNS1_3gpuE4ELNS1_3repE0EEENS1_30default_config_static_selectorELNS0_4arch9wavefront6targetE1EEEvT1_
	.p2align	8
	.type	_ZN7rocprim17ROCPRIM_400000_NS6detail17trampoline_kernelINS0_14default_configENS1_25partition_config_selectorILNS1_17partition_subalgoE1EsNS0_10empty_typeEbEEZZNS1_14partition_implILS5_1ELb0ES3_jN6thrust23THRUST_200600_302600_NS6detail15normal_iteratorINSA_10device_ptrIsEEEEPS6_NSA_18transform_iteratorINSA_8identityIsEESF_NSA_11use_defaultESK_EENS0_5tupleIJSF_SF_EEENSM_IJSG_SG_EEES6_PlJS6_EEE10hipError_tPvRmT3_T4_T5_T6_T7_T9_mT8_P12ihipStream_tbDpT10_ENKUlT_T0_E_clISt17integral_constantIbLb1EES18_IbLb0EEEEDaS14_S15_EUlS14_E_NS1_11comp_targetILNS1_3genE10ELNS1_11target_archE1200ELNS1_3gpuE4ELNS1_3repE0EEENS1_30default_config_static_selectorELNS0_4arch9wavefront6targetE1EEEvT1_,@function
_ZN7rocprim17ROCPRIM_400000_NS6detail17trampoline_kernelINS0_14default_configENS1_25partition_config_selectorILNS1_17partition_subalgoE1EsNS0_10empty_typeEbEEZZNS1_14partition_implILS5_1ELb0ES3_jN6thrust23THRUST_200600_302600_NS6detail15normal_iteratorINSA_10device_ptrIsEEEEPS6_NSA_18transform_iteratorINSA_8identityIsEESF_NSA_11use_defaultESK_EENS0_5tupleIJSF_SF_EEENSM_IJSG_SG_EEES6_PlJS6_EEE10hipError_tPvRmT3_T4_T5_T6_T7_T9_mT8_P12ihipStream_tbDpT10_ENKUlT_T0_E_clISt17integral_constantIbLb1EES18_IbLb0EEEEDaS14_S15_EUlS14_E_NS1_11comp_targetILNS1_3genE10ELNS1_11target_archE1200ELNS1_3gpuE4ELNS1_3repE0EEENS1_30default_config_static_selectorELNS0_4arch9wavefront6targetE1EEEvT1_: ; @_ZN7rocprim17ROCPRIM_400000_NS6detail17trampoline_kernelINS0_14default_configENS1_25partition_config_selectorILNS1_17partition_subalgoE1EsNS0_10empty_typeEbEEZZNS1_14partition_implILS5_1ELb0ES3_jN6thrust23THRUST_200600_302600_NS6detail15normal_iteratorINSA_10device_ptrIsEEEEPS6_NSA_18transform_iteratorINSA_8identityIsEESF_NSA_11use_defaultESK_EENS0_5tupleIJSF_SF_EEENSM_IJSG_SG_EEES6_PlJS6_EEE10hipError_tPvRmT3_T4_T5_T6_T7_T9_mT8_P12ihipStream_tbDpT10_ENKUlT_T0_E_clISt17integral_constantIbLb1EES18_IbLb0EEEEDaS14_S15_EUlS14_E_NS1_11comp_targetILNS1_3genE10ELNS1_11target_archE1200ELNS1_3gpuE4ELNS1_3repE0EEENS1_30default_config_static_selectorELNS0_4arch9wavefront6targetE1EEEvT1_
; %bb.0:
	.section	.rodata,"a",@progbits
	.p2align	6, 0x0
	.amdhsa_kernel _ZN7rocprim17ROCPRIM_400000_NS6detail17trampoline_kernelINS0_14default_configENS1_25partition_config_selectorILNS1_17partition_subalgoE1EsNS0_10empty_typeEbEEZZNS1_14partition_implILS5_1ELb0ES3_jN6thrust23THRUST_200600_302600_NS6detail15normal_iteratorINSA_10device_ptrIsEEEEPS6_NSA_18transform_iteratorINSA_8identityIsEESF_NSA_11use_defaultESK_EENS0_5tupleIJSF_SF_EEENSM_IJSG_SG_EEES6_PlJS6_EEE10hipError_tPvRmT3_T4_T5_T6_T7_T9_mT8_P12ihipStream_tbDpT10_ENKUlT_T0_E_clISt17integral_constantIbLb1EES18_IbLb0EEEEDaS14_S15_EUlS14_E_NS1_11comp_targetILNS1_3genE10ELNS1_11target_archE1200ELNS1_3gpuE4ELNS1_3repE0EEENS1_30default_config_static_selectorELNS0_4arch9wavefront6targetE1EEEvT1_
		.amdhsa_group_segment_fixed_size 0
		.amdhsa_private_segment_fixed_size 0
		.amdhsa_kernarg_size 128
		.amdhsa_user_sgpr_count 2
		.amdhsa_user_sgpr_dispatch_ptr 0
		.amdhsa_user_sgpr_queue_ptr 0
		.amdhsa_user_sgpr_kernarg_segment_ptr 1
		.amdhsa_user_sgpr_dispatch_id 0
		.amdhsa_user_sgpr_kernarg_preload_length 0
		.amdhsa_user_sgpr_kernarg_preload_offset 0
		.amdhsa_user_sgpr_private_segment_size 0
		.amdhsa_uses_dynamic_stack 0
		.amdhsa_enable_private_segment 0
		.amdhsa_system_sgpr_workgroup_id_x 1
		.amdhsa_system_sgpr_workgroup_id_y 0
		.amdhsa_system_sgpr_workgroup_id_z 0
		.amdhsa_system_sgpr_workgroup_info 0
		.amdhsa_system_vgpr_workitem_id 0
		.amdhsa_next_free_vgpr 1
		.amdhsa_next_free_sgpr 0
		.amdhsa_accum_offset 4
		.amdhsa_reserve_vcc 0
		.amdhsa_float_round_mode_32 0
		.amdhsa_float_round_mode_16_64 0
		.amdhsa_float_denorm_mode_32 3
		.amdhsa_float_denorm_mode_16_64 3
		.amdhsa_dx10_clamp 1
		.amdhsa_ieee_mode 1
		.amdhsa_fp16_overflow 0
		.amdhsa_tg_split 0
		.amdhsa_exception_fp_ieee_invalid_op 0
		.amdhsa_exception_fp_denorm_src 0
		.amdhsa_exception_fp_ieee_div_zero 0
		.amdhsa_exception_fp_ieee_overflow 0
		.amdhsa_exception_fp_ieee_underflow 0
		.amdhsa_exception_fp_ieee_inexact 0
		.amdhsa_exception_int_div_zero 0
	.end_amdhsa_kernel
	.section	.text._ZN7rocprim17ROCPRIM_400000_NS6detail17trampoline_kernelINS0_14default_configENS1_25partition_config_selectorILNS1_17partition_subalgoE1EsNS0_10empty_typeEbEEZZNS1_14partition_implILS5_1ELb0ES3_jN6thrust23THRUST_200600_302600_NS6detail15normal_iteratorINSA_10device_ptrIsEEEEPS6_NSA_18transform_iteratorINSA_8identityIsEESF_NSA_11use_defaultESK_EENS0_5tupleIJSF_SF_EEENSM_IJSG_SG_EEES6_PlJS6_EEE10hipError_tPvRmT3_T4_T5_T6_T7_T9_mT8_P12ihipStream_tbDpT10_ENKUlT_T0_E_clISt17integral_constantIbLb1EES18_IbLb0EEEEDaS14_S15_EUlS14_E_NS1_11comp_targetILNS1_3genE10ELNS1_11target_archE1200ELNS1_3gpuE4ELNS1_3repE0EEENS1_30default_config_static_selectorELNS0_4arch9wavefront6targetE1EEEvT1_,"axG",@progbits,_ZN7rocprim17ROCPRIM_400000_NS6detail17trampoline_kernelINS0_14default_configENS1_25partition_config_selectorILNS1_17partition_subalgoE1EsNS0_10empty_typeEbEEZZNS1_14partition_implILS5_1ELb0ES3_jN6thrust23THRUST_200600_302600_NS6detail15normal_iteratorINSA_10device_ptrIsEEEEPS6_NSA_18transform_iteratorINSA_8identityIsEESF_NSA_11use_defaultESK_EENS0_5tupleIJSF_SF_EEENSM_IJSG_SG_EEES6_PlJS6_EEE10hipError_tPvRmT3_T4_T5_T6_T7_T9_mT8_P12ihipStream_tbDpT10_ENKUlT_T0_E_clISt17integral_constantIbLb1EES18_IbLb0EEEEDaS14_S15_EUlS14_E_NS1_11comp_targetILNS1_3genE10ELNS1_11target_archE1200ELNS1_3gpuE4ELNS1_3repE0EEENS1_30default_config_static_selectorELNS0_4arch9wavefront6targetE1EEEvT1_,comdat
.Lfunc_end662:
	.size	_ZN7rocprim17ROCPRIM_400000_NS6detail17trampoline_kernelINS0_14default_configENS1_25partition_config_selectorILNS1_17partition_subalgoE1EsNS0_10empty_typeEbEEZZNS1_14partition_implILS5_1ELb0ES3_jN6thrust23THRUST_200600_302600_NS6detail15normal_iteratorINSA_10device_ptrIsEEEEPS6_NSA_18transform_iteratorINSA_8identityIsEESF_NSA_11use_defaultESK_EENS0_5tupleIJSF_SF_EEENSM_IJSG_SG_EEES6_PlJS6_EEE10hipError_tPvRmT3_T4_T5_T6_T7_T9_mT8_P12ihipStream_tbDpT10_ENKUlT_T0_E_clISt17integral_constantIbLb1EES18_IbLb0EEEEDaS14_S15_EUlS14_E_NS1_11comp_targetILNS1_3genE10ELNS1_11target_archE1200ELNS1_3gpuE4ELNS1_3repE0EEENS1_30default_config_static_selectorELNS0_4arch9wavefront6targetE1EEEvT1_, .Lfunc_end662-_ZN7rocprim17ROCPRIM_400000_NS6detail17trampoline_kernelINS0_14default_configENS1_25partition_config_selectorILNS1_17partition_subalgoE1EsNS0_10empty_typeEbEEZZNS1_14partition_implILS5_1ELb0ES3_jN6thrust23THRUST_200600_302600_NS6detail15normal_iteratorINSA_10device_ptrIsEEEEPS6_NSA_18transform_iteratorINSA_8identityIsEESF_NSA_11use_defaultESK_EENS0_5tupleIJSF_SF_EEENSM_IJSG_SG_EEES6_PlJS6_EEE10hipError_tPvRmT3_T4_T5_T6_T7_T9_mT8_P12ihipStream_tbDpT10_ENKUlT_T0_E_clISt17integral_constantIbLb1EES18_IbLb0EEEEDaS14_S15_EUlS14_E_NS1_11comp_targetILNS1_3genE10ELNS1_11target_archE1200ELNS1_3gpuE4ELNS1_3repE0EEENS1_30default_config_static_selectorELNS0_4arch9wavefront6targetE1EEEvT1_
                                        ; -- End function
	.section	.AMDGPU.csdata,"",@progbits
; Kernel info:
; codeLenInByte = 0
; NumSgprs: 6
; NumVgprs: 0
; NumAgprs: 0
; TotalNumVgprs: 0
; ScratchSize: 0
; MemoryBound: 0
; FloatMode: 240
; IeeeMode: 1
; LDSByteSize: 0 bytes/workgroup (compile time only)
; SGPRBlocks: 0
; VGPRBlocks: 0
; NumSGPRsForWavesPerEU: 6
; NumVGPRsForWavesPerEU: 1
; AccumOffset: 4
; Occupancy: 8
; WaveLimiterHint : 0
; COMPUTE_PGM_RSRC2:SCRATCH_EN: 0
; COMPUTE_PGM_RSRC2:USER_SGPR: 2
; COMPUTE_PGM_RSRC2:TRAP_HANDLER: 0
; COMPUTE_PGM_RSRC2:TGID_X_EN: 1
; COMPUTE_PGM_RSRC2:TGID_Y_EN: 0
; COMPUTE_PGM_RSRC2:TGID_Z_EN: 0
; COMPUTE_PGM_RSRC2:TIDIG_COMP_CNT: 0
; COMPUTE_PGM_RSRC3_GFX90A:ACCUM_OFFSET: 0
; COMPUTE_PGM_RSRC3_GFX90A:TG_SPLIT: 0
	.section	.text._ZN7rocprim17ROCPRIM_400000_NS6detail17trampoline_kernelINS0_14default_configENS1_25partition_config_selectorILNS1_17partition_subalgoE1EsNS0_10empty_typeEbEEZZNS1_14partition_implILS5_1ELb0ES3_jN6thrust23THRUST_200600_302600_NS6detail15normal_iteratorINSA_10device_ptrIsEEEEPS6_NSA_18transform_iteratorINSA_8identityIsEESF_NSA_11use_defaultESK_EENS0_5tupleIJSF_SF_EEENSM_IJSG_SG_EEES6_PlJS6_EEE10hipError_tPvRmT3_T4_T5_T6_T7_T9_mT8_P12ihipStream_tbDpT10_ENKUlT_T0_E_clISt17integral_constantIbLb1EES18_IbLb0EEEEDaS14_S15_EUlS14_E_NS1_11comp_targetILNS1_3genE9ELNS1_11target_archE1100ELNS1_3gpuE3ELNS1_3repE0EEENS1_30default_config_static_selectorELNS0_4arch9wavefront6targetE1EEEvT1_,"axG",@progbits,_ZN7rocprim17ROCPRIM_400000_NS6detail17trampoline_kernelINS0_14default_configENS1_25partition_config_selectorILNS1_17partition_subalgoE1EsNS0_10empty_typeEbEEZZNS1_14partition_implILS5_1ELb0ES3_jN6thrust23THRUST_200600_302600_NS6detail15normal_iteratorINSA_10device_ptrIsEEEEPS6_NSA_18transform_iteratorINSA_8identityIsEESF_NSA_11use_defaultESK_EENS0_5tupleIJSF_SF_EEENSM_IJSG_SG_EEES6_PlJS6_EEE10hipError_tPvRmT3_T4_T5_T6_T7_T9_mT8_P12ihipStream_tbDpT10_ENKUlT_T0_E_clISt17integral_constantIbLb1EES18_IbLb0EEEEDaS14_S15_EUlS14_E_NS1_11comp_targetILNS1_3genE9ELNS1_11target_archE1100ELNS1_3gpuE3ELNS1_3repE0EEENS1_30default_config_static_selectorELNS0_4arch9wavefront6targetE1EEEvT1_,comdat
	.protected	_ZN7rocprim17ROCPRIM_400000_NS6detail17trampoline_kernelINS0_14default_configENS1_25partition_config_selectorILNS1_17partition_subalgoE1EsNS0_10empty_typeEbEEZZNS1_14partition_implILS5_1ELb0ES3_jN6thrust23THRUST_200600_302600_NS6detail15normal_iteratorINSA_10device_ptrIsEEEEPS6_NSA_18transform_iteratorINSA_8identityIsEESF_NSA_11use_defaultESK_EENS0_5tupleIJSF_SF_EEENSM_IJSG_SG_EEES6_PlJS6_EEE10hipError_tPvRmT3_T4_T5_T6_T7_T9_mT8_P12ihipStream_tbDpT10_ENKUlT_T0_E_clISt17integral_constantIbLb1EES18_IbLb0EEEEDaS14_S15_EUlS14_E_NS1_11comp_targetILNS1_3genE9ELNS1_11target_archE1100ELNS1_3gpuE3ELNS1_3repE0EEENS1_30default_config_static_selectorELNS0_4arch9wavefront6targetE1EEEvT1_ ; -- Begin function _ZN7rocprim17ROCPRIM_400000_NS6detail17trampoline_kernelINS0_14default_configENS1_25partition_config_selectorILNS1_17partition_subalgoE1EsNS0_10empty_typeEbEEZZNS1_14partition_implILS5_1ELb0ES3_jN6thrust23THRUST_200600_302600_NS6detail15normal_iteratorINSA_10device_ptrIsEEEEPS6_NSA_18transform_iteratorINSA_8identityIsEESF_NSA_11use_defaultESK_EENS0_5tupleIJSF_SF_EEENSM_IJSG_SG_EEES6_PlJS6_EEE10hipError_tPvRmT3_T4_T5_T6_T7_T9_mT8_P12ihipStream_tbDpT10_ENKUlT_T0_E_clISt17integral_constantIbLb1EES18_IbLb0EEEEDaS14_S15_EUlS14_E_NS1_11comp_targetILNS1_3genE9ELNS1_11target_archE1100ELNS1_3gpuE3ELNS1_3repE0EEENS1_30default_config_static_selectorELNS0_4arch9wavefront6targetE1EEEvT1_
	.globl	_ZN7rocprim17ROCPRIM_400000_NS6detail17trampoline_kernelINS0_14default_configENS1_25partition_config_selectorILNS1_17partition_subalgoE1EsNS0_10empty_typeEbEEZZNS1_14partition_implILS5_1ELb0ES3_jN6thrust23THRUST_200600_302600_NS6detail15normal_iteratorINSA_10device_ptrIsEEEEPS6_NSA_18transform_iteratorINSA_8identityIsEESF_NSA_11use_defaultESK_EENS0_5tupleIJSF_SF_EEENSM_IJSG_SG_EEES6_PlJS6_EEE10hipError_tPvRmT3_T4_T5_T6_T7_T9_mT8_P12ihipStream_tbDpT10_ENKUlT_T0_E_clISt17integral_constantIbLb1EES18_IbLb0EEEEDaS14_S15_EUlS14_E_NS1_11comp_targetILNS1_3genE9ELNS1_11target_archE1100ELNS1_3gpuE3ELNS1_3repE0EEENS1_30default_config_static_selectorELNS0_4arch9wavefront6targetE1EEEvT1_
	.p2align	8
	.type	_ZN7rocprim17ROCPRIM_400000_NS6detail17trampoline_kernelINS0_14default_configENS1_25partition_config_selectorILNS1_17partition_subalgoE1EsNS0_10empty_typeEbEEZZNS1_14partition_implILS5_1ELb0ES3_jN6thrust23THRUST_200600_302600_NS6detail15normal_iteratorINSA_10device_ptrIsEEEEPS6_NSA_18transform_iteratorINSA_8identityIsEESF_NSA_11use_defaultESK_EENS0_5tupleIJSF_SF_EEENSM_IJSG_SG_EEES6_PlJS6_EEE10hipError_tPvRmT3_T4_T5_T6_T7_T9_mT8_P12ihipStream_tbDpT10_ENKUlT_T0_E_clISt17integral_constantIbLb1EES18_IbLb0EEEEDaS14_S15_EUlS14_E_NS1_11comp_targetILNS1_3genE9ELNS1_11target_archE1100ELNS1_3gpuE3ELNS1_3repE0EEENS1_30default_config_static_selectorELNS0_4arch9wavefront6targetE1EEEvT1_,@function
_ZN7rocprim17ROCPRIM_400000_NS6detail17trampoline_kernelINS0_14default_configENS1_25partition_config_selectorILNS1_17partition_subalgoE1EsNS0_10empty_typeEbEEZZNS1_14partition_implILS5_1ELb0ES3_jN6thrust23THRUST_200600_302600_NS6detail15normal_iteratorINSA_10device_ptrIsEEEEPS6_NSA_18transform_iteratorINSA_8identityIsEESF_NSA_11use_defaultESK_EENS0_5tupleIJSF_SF_EEENSM_IJSG_SG_EEES6_PlJS6_EEE10hipError_tPvRmT3_T4_T5_T6_T7_T9_mT8_P12ihipStream_tbDpT10_ENKUlT_T0_E_clISt17integral_constantIbLb1EES18_IbLb0EEEEDaS14_S15_EUlS14_E_NS1_11comp_targetILNS1_3genE9ELNS1_11target_archE1100ELNS1_3gpuE3ELNS1_3repE0EEENS1_30default_config_static_selectorELNS0_4arch9wavefront6targetE1EEEvT1_: ; @_ZN7rocprim17ROCPRIM_400000_NS6detail17trampoline_kernelINS0_14default_configENS1_25partition_config_selectorILNS1_17partition_subalgoE1EsNS0_10empty_typeEbEEZZNS1_14partition_implILS5_1ELb0ES3_jN6thrust23THRUST_200600_302600_NS6detail15normal_iteratorINSA_10device_ptrIsEEEEPS6_NSA_18transform_iteratorINSA_8identityIsEESF_NSA_11use_defaultESK_EENS0_5tupleIJSF_SF_EEENSM_IJSG_SG_EEES6_PlJS6_EEE10hipError_tPvRmT3_T4_T5_T6_T7_T9_mT8_P12ihipStream_tbDpT10_ENKUlT_T0_E_clISt17integral_constantIbLb1EES18_IbLb0EEEEDaS14_S15_EUlS14_E_NS1_11comp_targetILNS1_3genE9ELNS1_11target_archE1100ELNS1_3gpuE3ELNS1_3repE0EEENS1_30default_config_static_selectorELNS0_4arch9wavefront6targetE1EEEvT1_
; %bb.0:
	.section	.rodata,"a",@progbits
	.p2align	6, 0x0
	.amdhsa_kernel _ZN7rocprim17ROCPRIM_400000_NS6detail17trampoline_kernelINS0_14default_configENS1_25partition_config_selectorILNS1_17partition_subalgoE1EsNS0_10empty_typeEbEEZZNS1_14partition_implILS5_1ELb0ES3_jN6thrust23THRUST_200600_302600_NS6detail15normal_iteratorINSA_10device_ptrIsEEEEPS6_NSA_18transform_iteratorINSA_8identityIsEESF_NSA_11use_defaultESK_EENS0_5tupleIJSF_SF_EEENSM_IJSG_SG_EEES6_PlJS6_EEE10hipError_tPvRmT3_T4_T5_T6_T7_T9_mT8_P12ihipStream_tbDpT10_ENKUlT_T0_E_clISt17integral_constantIbLb1EES18_IbLb0EEEEDaS14_S15_EUlS14_E_NS1_11comp_targetILNS1_3genE9ELNS1_11target_archE1100ELNS1_3gpuE3ELNS1_3repE0EEENS1_30default_config_static_selectorELNS0_4arch9wavefront6targetE1EEEvT1_
		.amdhsa_group_segment_fixed_size 0
		.amdhsa_private_segment_fixed_size 0
		.amdhsa_kernarg_size 128
		.amdhsa_user_sgpr_count 2
		.amdhsa_user_sgpr_dispatch_ptr 0
		.amdhsa_user_sgpr_queue_ptr 0
		.amdhsa_user_sgpr_kernarg_segment_ptr 1
		.amdhsa_user_sgpr_dispatch_id 0
		.amdhsa_user_sgpr_kernarg_preload_length 0
		.amdhsa_user_sgpr_kernarg_preload_offset 0
		.amdhsa_user_sgpr_private_segment_size 0
		.amdhsa_uses_dynamic_stack 0
		.amdhsa_enable_private_segment 0
		.amdhsa_system_sgpr_workgroup_id_x 1
		.amdhsa_system_sgpr_workgroup_id_y 0
		.amdhsa_system_sgpr_workgroup_id_z 0
		.amdhsa_system_sgpr_workgroup_info 0
		.amdhsa_system_vgpr_workitem_id 0
		.amdhsa_next_free_vgpr 1
		.amdhsa_next_free_sgpr 0
		.amdhsa_accum_offset 4
		.amdhsa_reserve_vcc 0
		.amdhsa_float_round_mode_32 0
		.amdhsa_float_round_mode_16_64 0
		.amdhsa_float_denorm_mode_32 3
		.amdhsa_float_denorm_mode_16_64 3
		.amdhsa_dx10_clamp 1
		.amdhsa_ieee_mode 1
		.amdhsa_fp16_overflow 0
		.amdhsa_tg_split 0
		.amdhsa_exception_fp_ieee_invalid_op 0
		.amdhsa_exception_fp_denorm_src 0
		.amdhsa_exception_fp_ieee_div_zero 0
		.amdhsa_exception_fp_ieee_overflow 0
		.amdhsa_exception_fp_ieee_underflow 0
		.amdhsa_exception_fp_ieee_inexact 0
		.amdhsa_exception_int_div_zero 0
	.end_amdhsa_kernel
	.section	.text._ZN7rocprim17ROCPRIM_400000_NS6detail17trampoline_kernelINS0_14default_configENS1_25partition_config_selectorILNS1_17partition_subalgoE1EsNS0_10empty_typeEbEEZZNS1_14partition_implILS5_1ELb0ES3_jN6thrust23THRUST_200600_302600_NS6detail15normal_iteratorINSA_10device_ptrIsEEEEPS6_NSA_18transform_iteratorINSA_8identityIsEESF_NSA_11use_defaultESK_EENS0_5tupleIJSF_SF_EEENSM_IJSG_SG_EEES6_PlJS6_EEE10hipError_tPvRmT3_T4_T5_T6_T7_T9_mT8_P12ihipStream_tbDpT10_ENKUlT_T0_E_clISt17integral_constantIbLb1EES18_IbLb0EEEEDaS14_S15_EUlS14_E_NS1_11comp_targetILNS1_3genE9ELNS1_11target_archE1100ELNS1_3gpuE3ELNS1_3repE0EEENS1_30default_config_static_selectorELNS0_4arch9wavefront6targetE1EEEvT1_,"axG",@progbits,_ZN7rocprim17ROCPRIM_400000_NS6detail17trampoline_kernelINS0_14default_configENS1_25partition_config_selectorILNS1_17partition_subalgoE1EsNS0_10empty_typeEbEEZZNS1_14partition_implILS5_1ELb0ES3_jN6thrust23THRUST_200600_302600_NS6detail15normal_iteratorINSA_10device_ptrIsEEEEPS6_NSA_18transform_iteratorINSA_8identityIsEESF_NSA_11use_defaultESK_EENS0_5tupleIJSF_SF_EEENSM_IJSG_SG_EEES6_PlJS6_EEE10hipError_tPvRmT3_T4_T5_T6_T7_T9_mT8_P12ihipStream_tbDpT10_ENKUlT_T0_E_clISt17integral_constantIbLb1EES18_IbLb0EEEEDaS14_S15_EUlS14_E_NS1_11comp_targetILNS1_3genE9ELNS1_11target_archE1100ELNS1_3gpuE3ELNS1_3repE0EEENS1_30default_config_static_selectorELNS0_4arch9wavefront6targetE1EEEvT1_,comdat
.Lfunc_end663:
	.size	_ZN7rocprim17ROCPRIM_400000_NS6detail17trampoline_kernelINS0_14default_configENS1_25partition_config_selectorILNS1_17partition_subalgoE1EsNS0_10empty_typeEbEEZZNS1_14partition_implILS5_1ELb0ES3_jN6thrust23THRUST_200600_302600_NS6detail15normal_iteratorINSA_10device_ptrIsEEEEPS6_NSA_18transform_iteratorINSA_8identityIsEESF_NSA_11use_defaultESK_EENS0_5tupleIJSF_SF_EEENSM_IJSG_SG_EEES6_PlJS6_EEE10hipError_tPvRmT3_T4_T5_T6_T7_T9_mT8_P12ihipStream_tbDpT10_ENKUlT_T0_E_clISt17integral_constantIbLb1EES18_IbLb0EEEEDaS14_S15_EUlS14_E_NS1_11comp_targetILNS1_3genE9ELNS1_11target_archE1100ELNS1_3gpuE3ELNS1_3repE0EEENS1_30default_config_static_selectorELNS0_4arch9wavefront6targetE1EEEvT1_, .Lfunc_end663-_ZN7rocprim17ROCPRIM_400000_NS6detail17trampoline_kernelINS0_14default_configENS1_25partition_config_selectorILNS1_17partition_subalgoE1EsNS0_10empty_typeEbEEZZNS1_14partition_implILS5_1ELb0ES3_jN6thrust23THRUST_200600_302600_NS6detail15normal_iteratorINSA_10device_ptrIsEEEEPS6_NSA_18transform_iteratorINSA_8identityIsEESF_NSA_11use_defaultESK_EENS0_5tupleIJSF_SF_EEENSM_IJSG_SG_EEES6_PlJS6_EEE10hipError_tPvRmT3_T4_T5_T6_T7_T9_mT8_P12ihipStream_tbDpT10_ENKUlT_T0_E_clISt17integral_constantIbLb1EES18_IbLb0EEEEDaS14_S15_EUlS14_E_NS1_11comp_targetILNS1_3genE9ELNS1_11target_archE1100ELNS1_3gpuE3ELNS1_3repE0EEENS1_30default_config_static_selectorELNS0_4arch9wavefront6targetE1EEEvT1_
                                        ; -- End function
	.section	.AMDGPU.csdata,"",@progbits
; Kernel info:
; codeLenInByte = 0
; NumSgprs: 6
; NumVgprs: 0
; NumAgprs: 0
; TotalNumVgprs: 0
; ScratchSize: 0
; MemoryBound: 0
; FloatMode: 240
; IeeeMode: 1
; LDSByteSize: 0 bytes/workgroup (compile time only)
; SGPRBlocks: 0
; VGPRBlocks: 0
; NumSGPRsForWavesPerEU: 6
; NumVGPRsForWavesPerEU: 1
; AccumOffset: 4
; Occupancy: 8
; WaveLimiterHint : 0
; COMPUTE_PGM_RSRC2:SCRATCH_EN: 0
; COMPUTE_PGM_RSRC2:USER_SGPR: 2
; COMPUTE_PGM_RSRC2:TRAP_HANDLER: 0
; COMPUTE_PGM_RSRC2:TGID_X_EN: 1
; COMPUTE_PGM_RSRC2:TGID_Y_EN: 0
; COMPUTE_PGM_RSRC2:TGID_Z_EN: 0
; COMPUTE_PGM_RSRC2:TIDIG_COMP_CNT: 0
; COMPUTE_PGM_RSRC3_GFX90A:ACCUM_OFFSET: 0
; COMPUTE_PGM_RSRC3_GFX90A:TG_SPLIT: 0
	.section	.text._ZN7rocprim17ROCPRIM_400000_NS6detail17trampoline_kernelINS0_14default_configENS1_25partition_config_selectorILNS1_17partition_subalgoE1EsNS0_10empty_typeEbEEZZNS1_14partition_implILS5_1ELb0ES3_jN6thrust23THRUST_200600_302600_NS6detail15normal_iteratorINSA_10device_ptrIsEEEEPS6_NSA_18transform_iteratorINSA_8identityIsEESF_NSA_11use_defaultESK_EENS0_5tupleIJSF_SF_EEENSM_IJSG_SG_EEES6_PlJS6_EEE10hipError_tPvRmT3_T4_T5_T6_T7_T9_mT8_P12ihipStream_tbDpT10_ENKUlT_T0_E_clISt17integral_constantIbLb1EES18_IbLb0EEEEDaS14_S15_EUlS14_E_NS1_11comp_targetILNS1_3genE8ELNS1_11target_archE1030ELNS1_3gpuE2ELNS1_3repE0EEENS1_30default_config_static_selectorELNS0_4arch9wavefront6targetE1EEEvT1_,"axG",@progbits,_ZN7rocprim17ROCPRIM_400000_NS6detail17trampoline_kernelINS0_14default_configENS1_25partition_config_selectorILNS1_17partition_subalgoE1EsNS0_10empty_typeEbEEZZNS1_14partition_implILS5_1ELb0ES3_jN6thrust23THRUST_200600_302600_NS6detail15normal_iteratorINSA_10device_ptrIsEEEEPS6_NSA_18transform_iteratorINSA_8identityIsEESF_NSA_11use_defaultESK_EENS0_5tupleIJSF_SF_EEENSM_IJSG_SG_EEES6_PlJS6_EEE10hipError_tPvRmT3_T4_T5_T6_T7_T9_mT8_P12ihipStream_tbDpT10_ENKUlT_T0_E_clISt17integral_constantIbLb1EES18_IbLb0EEEEDaS14_S15_EUlS14_E_NS1_11comp_targetILNS1_3genE8ELNS1_11target_archE1030ELNS1_3gpuE2ELNS1_3repE0EEENS1_30default_config_static_selectorELNS0_4arch9wavefront6targetE1EEEvT1_,comdat
	.protected	_ZN7rocprim17ROCPRIM_400000_NS6detail17trampoline_kernelINS0_14default_configENS1_25partition_config_selectorILNS1_17partition_subalgoE1EsNS0_10empty_typeEbEEZZNS1_14partition_implILS5_1ELb0ES3_jN6thrust23THRUST_200600_302600_NS6detail15normal_iteratorINSA_10device_ptrIsEEEEPS6_NSA_18transform_iteratorINSA_8identityIsEESF_NSA_11use_defaultESK_EENS0_5tupleIJSF_SF_EEENSM_IJSG_SG_EEES6_PlJS6_EEE10hipError_tPvRmT3_T4_T5_T6_T7_T9_mT8_P12ihipStream_tbDpT10_ENKUlT_T0_E_clISt17integral_constantIbLb1EES18_IbLb0EEEEDaS14_S15_EUlS14_E_NS1_11comp_targetILNS1_3genE8ELNS1_11target_archE1030ELNS1_3gpuE2ELNS1_3repE0EEENS1_30default_config_static_selectorELNS0_4arch9wavefront6targetE1EEEvT1_ ; -- Begin function _ZN7rocprim17ROCPRIM_400000_NS6detail17trampoline_kernelINS0_14default_configENS1_25partition_config_selectorILNS1_17partition_subalgoE1EsNS0_10empty_typeEbEEZZNS1_14partition_implILS5_1ELb0ES3_jN6thrust23THRUST_200600_302600_NS6detail15normal_iteratorINSA_10device_ptrIsEEEEPS6_NSA_18transform_iteratorINSA_8identityIsEESF_NSA_11use_defaultESK_EENS0_5tupleIJSF_SF_EEENSM_IJSG_SG_EEES6_PlJS6_EEE10hipError_tPvRmT3_T4_T5_T6_T7_T9_mT8_P12ihipStream_tbDpT10_ENKUlT_T0_E_clISt17integral_constantIbLb1EES18_IbLb0EEEEDaS14_S15_EUlS14_E_NS1_11comp_targetILNS1_3genE8ELNS1_11target_archE1030ELNS1_3gpuE2ELNS1_3repE0EEENS1_30default_config_static_selectorELNS0_4arch9wavefront6targetE1EEEvT1_
	.globl	_ZN7rocprim17ROCPRIM_400000_NS6detail17trampoline_kernelINS0_14default_configENS1_25partition_config_selectorILNS1_17partition_subalgoE1EsNS0_10empty_typeEbEEZZNS1_14partition_implILS5_1ELb0ES3_jN6thrust23THRUST_200600_302600_NS6detail15normal_iteratorINSA_10device_ptrIsEEEEPS6_NSA_18transform_iteratorINSA_8identityIsEESF_NSA_11use_defaultESK_EENS0_5tupleIJSF_SF_EEENSM_IJSG_SG_EEES6_PlJS6_EEE10hipError_tPvRmT3_T4_T5_T6_T7_T9_mT8_P12ihipStream_tbDpT10_ENKUlT_T0_E_clISt17integral_constantIbLb1EES18_IbLb0EEEEDaS14_S15_EUlS14_E_NS1_11comp_targetILNS1_3genE8ELNS1_11target_archE1030ELNS1_3gpuE2ELNS1_3repE0EEENS1_30default_config_static_selectorELNS0_4arch9wavefront6targetE1EEEvT1_
	.p2align	8
	.type	_ZN7rocprim17ROCPRIM_400000_NS6detail17trampoline_kernelINS0_14default_configENS1_25partition_config_selectorILNS1_17partition_subalgoE1EsNS0_10empty_typeEbEEZZNS1_14partition_implILS5_1ELb0ES3_jN6thrust23THRUST_200600_302600_NS6detail15normal_iteratorINSA_10device_ptrIsEEEEPS6_NSA_18transform_iteratorINSA_8identityIsEESF_NSA_11use_defaultESK_EENS0_5tupleIJSF_SF_EEENSM_IJSG_SG_EEES6_PlJS6_EEE10hipError_tPvRmT3_T4_T5_T6_T7_T9_mT8_P12ihipStream_tbDpT10_ENKUlT_T0_E_clISt17integral_constantIbLb1EES18_IbLb0EEEEDaS14_S15_EUlS14_E_NS1_11comp_targetILNS1_3genE8ELNS1_11target_archE1030ELNS1_3gpuE2ELNS1_3repE0EEENS1_30default_config_static_selectorELNS0_4arch9wavefront6targetE1EEEvT1_,@function
_ZN7rocprim17ROCPRIM_400000_NS6detail17trampoline_kernelINS0_14default_configENS1_25partition_config_selectorILNS1_17partition_subalgoE1EsNS0_10empty_typeEbEEZZNS1_14partition_implILS5_1ELb0ES3_jN6thrust23THRUST_200600_302600_NS6detail15normal_iteratorINSA_10device_ptrIsEEEEPS6_NSA_18transform_iteratorINSA_8identityIsEESF_NSA_11use_defaultESK_EENS0_5tupleIJSF_SF_EEENSM_IJSG_SG_EEES6_PlJS6_EEE10hipError_tPvRmT3_T4_T5_T6_T7_T9_mT8_P12ihipStream_tbDpT10_ENKUlT_T0_E_clISt17integral_constantIbLb1EES18_IbLb0EEEEDaS14_S15_EUlS14_E_NS1_11comp_targetILNS1_3genE8ELNS1_11target_archE1030ELNS1_3gpuE2ELNS1_3repE0EEENS1_30default_config_static_selectorELNS0_4arch9wavefront6targetE1EEEvT1_: ; @_ZN7rocprim17ROCPRIM_400000_NS6detail17trampoline_kernelINS0_14default_configENS1_25partition_config_selectorILNS1_17partition_subalgoE1EsNS0_10empty_typeEbEEZZNS1_14partition_implILS5_1ELb0ES3_jN6thrust23THRUST_200600_302600_NS6detail15normal_iteratorINSA_10device_ptrIsEEEEPS6_NSA_18transform_iteratorINSA_8identityIsEESF_NSA_11use_defaultESK_EENS0_5tupleIJSF_SF_EEENSM_IJSG_SG_EEES6_PlJS6_EEE10hipError_tPvRmT3_T4_T5_T6_T7_T9_mT8_P12ihipStream_tbDpT10_ENKUlT_T0_E_clISt17integral_constantIbLb1EES18_IbLb0EEEEDaS14_S15_EUlS14_E_NS1_11comp_targetILNS1_3genE8ELNS1_11target_archE1030ELNS1_3gpuE2ELNS1_3repE0EEENS1_30default_config_static_selectorELNS0_4arch9wavefront6targetE1EEEvT1_
; %bb.0:
	.section	.rodata,"a",@progbits
	.p2align	6, 0x0
	.amdhsa_kernel _ZN7rocprim17ROCPRIM_400000_NS6detail17trampoline_kernelINS0_14default_configENS1_25partition_config_selectorILNS1_17partition_subalgoE1EsNS0_10empty_typeEbEEZZNS1_14partition_implILS5_1ELb0ES3_jN6thrust23THRUST_200600_302600_NS6detail15normal_iteratorINSA_10device_ptrIsEEEEPS6_NSA_18transform_iteratorINSA_8identityIsEESF_NSA_11use_defaultESK_EENS0_5tupleIJSF_SF_EEENSM_IJSG_SG_EEES6_PlJS6_EEE10hipError_tPvRmT3_T4_T5_T6_T7_T9_mT8_P12ihipStream_tbDpT10_ENKUlT_T0_E_clISt17integral_constantIbLb1EES18_IbLb0EEEEDaS14_S15_EUlS14_E_NS1_11comp_targetILNS1_3genE8ELNS1_11target_archE1030ELNS1_3gpuE2ELNS1_3repE0EEENS1_30default_config_static_selectorELNS0_4arch9wavefront6targetE1EEEvT1_
		.amdhsa_group_segment_fixed_size 0
		.amdhsa_private_segment_fixed_size 0
		.amdhsa_kernarg_size 128
		.amdhsa_user_sgpr_count 2
		.amdhsa_user_sgpr_dispatch_ptr 0
		.amdhsa_user_sgpr_queue_ptr 0
		.amdhsa_user_sgpr_kernarg_segment_ptr 1
		.amdhsa_user_sgpr_dispatch_id 0
		.amdhsa_user_sgpr_kernarg_preload_length 0
		.amdhsa_user_sgpr_kernarg_preload_offset 0
		.amdhsa_user_sgpr_private_segment_size 0
		.amdhsa_uses_dynamic_stack 0
		.amdhsa_enable_private_segment 0
		.amdhsa_system_sgpr_workgroup_id_x 1
		.amdhsa_system_sgpr_workgroup_id_y 0
		.amdhsa_system_sgpr_workgroup_id_z 0
		.amdhsa_system_sgpr_workgroup_info 0
		.amdhsa_system_vgpr_workitem_id 0
		.amdhsa_next_free_vgpr 1
		.amdhsa_next_free_sgpr 0
		.amdhsa_accum_offset 4
		.amdhsa_reserve_vcc 0
		.amdhsa_float_round_mode_32 0
		.amdhsa_float_round_mode_16_64 0
		.amdhsa_float_denorm_mode_32 3
		.amdhsa_float_denorm_mode_16_64 3
		.amdhsa_dx10_clamp 1
		.amdhsa_ieee_mode 1
		.amdhsa_fp16_overflow 0
		.amdhsa_tg_split 0
		.amdhsa_exception_fp_ieee_invalid_op 0
		.amdhsa_exception_fp_denorm_src 0
		.amdhsa_exception_fp_ieee_div_zero 0
		.amdhsa_exception_fp_ieee_overflow 0
		.amdhsa_exception_fp_ieee_underflow 0
		.amdhsa_exception_fp_ieee_inexact 0
		.amdhsa_exception_int_div_zero 0
	.end_amdhsa_kernel
	.section	.text._ZN7rocprim17ROCPRIM_400000_NS6detail17trampoline_kernelINS0_14default_configENS1_25partition_config_selectorILNS1_17partition_subalgoE1EsNS0_10empty_typeEbEEZZNS1_14partition_implILS5_1ELb0ES3_jN6thrust23THRUST_200600_302600_NS6detail15normal_iteratorINSA_10device_ptrIsEEEEPS6_NSA_18transform_iteratorINSA_8identityIsEESF_NSA_11use_defaultESK_EENS0_5tupleIJSF_SF_EEENSM_IJSG_SG_EEES6_PlJS6_EEE10hipError_tPvRmT3_T4_T5_T6_T7_T9_mT8_P12ihipStream_tbDpT10_ENKUlT_T0_E_clISt17integral_constantIbLb1EES18_IbLb0EEEEDaS14_S15_EUlS14_E_NS1_11comp_targetILNS1_3genE8ELNS1_11target_archE1030ELNS1_3gpuE2ELNS1_3repE0EEENS1_30default_config_static_selectorELNS0_4arch9wavefront6targetE1EEEvT1_,"axG",@progbits,_ZN7rocprim17ROCPRIM_400000_NS6detail17trampoline_kernelINS0_14default_configENS1_25partition_config_selectorILNS1_17partition_subalgoE1EsNS0_10empty_typeEbEEZZNS1_14partition_implILS5_1ELb0ES3_jN6thrust23THRUST_200600_302600_NS6detail15normal_iteratorINSA_10device_ptrIsEEEEPS6_NSA_18transform_iteratorINSA_8identityIsEESF_NSA_11use_defaultESK_EENS0_5tupleIJSF_SF_EEENSM_IJSG_SG_EEES6_PlJS6_EEE10hipError_tPvRmT3_T4_T5_T6_T7_T9_mT8_P12ihipStream_tbDpT10_ENKUlT_T0_E_clISt17integral_constantIbLb1EES18_IbLb0EEEEDaS14_S15_EUlS14_E_NS1_11comp_targetILNS1_3genE8ELNS1_11target_archE1030ELNS1_3gpuE2ELNS1_3repE0EEENS1_30default_config_static_selectorELNS0_4arch9wavefront6targetE1EEEvT1_,comdat
.Lfunc_end664:
	.size	_ZN7rocprim17ROCPRIM_400000_NS6detail17trampoline_kernelINS0_14default_configENS1_25partition_config_selectorILNS1_17partition_subalgoE1EsNS0_10empty_typeEbEEZZNS1_14partition_implILS5_1ELb0ES3_jN6thrust23THRUST_200600_302600_NS6detail15normal_iteratorINSA_10device_ptrIsEEEEPS6_NSA_18transform_iteratorINSA_8identityIsEESF_NSA_11use_defaultESK_EENS0_5tupleIJSF_SF_EEENSM_IJSG_SG_EEES6_PlJS6_EEE10hipError_tPvRmT3_T4_T5_T6_T7_T9_mT8_P12ihipStream_tbDpT10_ENKUlT_T0_E_clISt17integral_constantIbLb1EES18_IbLb0EEEEDaS14_S15_EUlS14_E_NS1_11comp_targetILNS1_3genE8ELNS1_11target_archE1030ELNS1_3gpuE2ELNS1_3repE0EEENS1_30default_config_static_selectorELNS0_4arch9wavefront6targetE1EEEvT1_, .Lfunc_end664-_ZN7rocprim17ROCPRIM_400000_NS6detail17trampoline_kernelINS0_14default_configENS1_25partition_config_selectorILNS1_17partition_subalgoE1EsNS0_10empty_typeEbEEZZNS1_14partition_implILS5_1ELb0ES3_jN6thrust23THRUST_200600_302600_NS6detail15normal_iteratorINSA_10device_ptrIsEEEEPS6_NSA_18transform_iteratorINSA_8identityIsEESF_NSA_11use_defaultESK_EENS0_5tupleIJSF_SF_EEENSM_IJSG_SG_EEES6_PlJS6_EEE10hipError_tPvRmT3_T4_T5_T6_T7_T9_mT8_P12ihipStream_tbDpT10_ENKUlT_T0_E_clISt17integral_constantIbLb1EES18_IbLb0EEEEDaS14_S15_EUlS14_E_NS1_11comp_targetILNS1_3genE8ELNS1_11target_archE1030ELNS1_3gpuE2ELNS1_3repE0EEENS1_30default_config_static_selectorELNS0_4arch9wavefront6targetE1EEEvT1_
                                        ; -- End function
	.section	.AMDGPU.csdata,"",@progbits
; Kernel info:
; codeLenInByte = 0
; NumSgprs: 6
; NumVgprs: 0
; NumAgprs: 0
; TotalNumVgprs: 0
; ScratchSize: 0
; MemoryBound: 0
; FloatMode: 240
; IeeeMode: 1
; LDSByteSize: 0 bytes/workgroup (compile time only)
; SGPRBlocks: 0
; VGPRBlocks: 0
; NumSGPRsForWavesPerEU: 6
; NumVGPRsForWavesPerEU: 1
; AccumOffset: 4
; Occupancy: 8
; WaveLimiterHint : 0
; COMPUTE_PGM_RSRC2:SCRATCH_EN: 0
; COMPUTE_PGM_RSRC2:USER_SGPR: 2
; COMPUTE_PGM_RSRC2:TRAP_HANDLER: 0
; COMPUTE_PGM_RSRC2:TGID_X_EN: 1
; COMPUTE_PGM_RSRC2:TGID_Y_EN: 0
; COMPUTE_PGM_RSRC2:TGID_Z_EN: 0
; COMPUTE_PGM_RSRC2:TIDIG_COMP_CNT: 0
; COMPUTE_PGM_RSRC3_GFX90A:ACCUM_OFFSET: 0
; COMPUTE_PGM_RSRC3_GFX90A:TG_SPLIT: 0
	.section	.text._ZN7rocprim17ROCPRIM_400000_NS6detail17trampoline_kernelINS0_14default_configENS1_25partition_config_selectorILNS1_17partition_subalgoE1EsNS0_10empty_typeEbEEZZNS1_14partition_implILS5_1ELb0ES3_jN6thrust23THRUST_200600_302600_NS6detail15normal_iteratorINSA_10device_ptrIsEEEEPS6_NSA_18transform_iteratorINSA_8identityIsEESF_NSA_11use_defaultESK_EENS0_5tupleIJSF_SF_EEENSM_IJSG_SG_EEES6_PlJS6_EEE10hipError_tPvRmT3_T4_T5_T6_T7_T9_mT8_P12ihipStream_tbDpT10_ENKUlT_T0_E_clISt17integral_constantIbLb0EES18_IbLb1EEEEDaS14_S15_EUlS14_E_NS1_11comp_targetILNS1_3genE0ELNS1_11target_archE4294967295ELNS1_3gpuE0ELNS1_3repE0EEENS1_30default_config_static_selectorELNS0_4arch9wavefront6targetE1EEEvT1_,"axG",@progbits,_ZN7rocprim17ROCPRIM_400000_NS6detail17trampoline_kernelINS0_14default_configENS1_25partition_config_selectorILNS1_17partition_subalgoE1EsNS0_10empty_typeEbEEZZNS1_14partition_implILS5_1ELb0ES3_jN6thrust23THRUST_200600_302600_NS6detail15normal_iteratorINSA_10device_ptrIsEEEEPS6_NSA_18transform_iteratorINSA_8identityIsEESF_NSA_11use_defaultESK_EENS0_5tupleIJSF_SF_EEENSM_IJSG_SG_EEES6_PlJS6_EEE10hipError_tPvRmT3_T4_T5_T6_T7_T9_mT8_P12ihipStream_tbDpT10_ENKUlT_T0_E_clISt17integral_constantIbLb0EES18_IbLb1EEEEDaS14_S15_EUlS14_E_NS1_11comp_targetILNS1_3genE0ELNS1_11target_archE4294967295ELNS1_3gpuE0ELNS1_3repE0EEENS1_30default_config_static_selectorELNS0_4arch9wavefront6targetE1EEEvT1_,comdat
	.protected	_ZN7rocprim17ROCPRIM_400000_NS6detail17trampoline_kernelINS0_14default_configENS1_25partition_config_selectorILNS1_17partition_subalgoE1EsNS0_10empty_typeEbEEZZNS1_14partition_implILS5_1ELb0ES3_jN6thrust23THRUST_200600_302600_NS6detail15normal_iteratorINSA_10device_ptrIsEEEEPS6_NSA_18transform_iteratorINSA_8identityIsEESF_NSA_11use_defaultESK_EENS0_5tupleIJSF_SF_EEENSM_IJSG_SG_EEES6_PlJS6_EEE10hipError_tPvRmT3_T4_T5_T6_T7_T9_mT8_P12ihipStream_tbDpT10_ENKUlT_T0_E_clISt17integral_constantIbLb0EES18_IbLb1EEEEDaS14_S15_EUlS14_E_NS1_11comp_targetILNS1_3genE0ELNS1_11target_archE4294967295ELNS1_3gpuE0ELNS1_3repE0EEENS1_30default_config_static_selectorELNS0_4arch9wavefront6targetE1EEEvT1_ ; -- Begin function _ZN7rocprim17ROCPRIM_400000_NS6detail17trampoline_kernelINS0_14default_configENS1_25partition_config_selectorILNS1_17partition_subalgoE1EsNS0_10empty_typeEbEEZZNS1_14partition_implILS5_1ELb0ES3_jN6thrust23THRUST_200600_302600_NS6detail15normal_iteratorINSA_10device_ptrIsEEEEPS6_NSA_18transform_iteratorINSA_8identityIsEESF_NSA_11use_defaultESK_EENS0_5tupleIJSF_SF_EEENSM_IJSG_SG_EEES6_PlJS6_EEE10hipError_tPvRmT3_T4_T5_T6_T7_T9_mT8_P12ihipStream_tbDpT10_ENKUlT_T0_E_clISt17integral_constantIbLb0EES18_IbLb1EEEEDaS14_S15_EUlS14_E_NS1_11comp_targetILNS1_3genE0ELNS1_11target_archE4294967295ELNS1_3gpuE0ELNS1_3repE0EEENS1_30default_config_static_selectorELNS0_4arch9wavefront6targetE1EEEvT1_
	.globl	_ZN7rocprim17ROCPRIM_400000_NS6detail17trampoline_kernelINS0_14default_configENS1_25partition_config_selectorILNS1_17partition_subalgoE1EsNS0_10empty_typeEbEEZZNS1_14partition_implILS5_1ELb0ES3_jN6thrust23THRUST_200600_302600_NS6detail15normal_iteratorINSA_10device_ptrIsEEEEPS6_NSA_18transform_iteratorINSA_8identityIsEESF_NSA_11use_defaultESK_EENS0_5tupleIJSF_SF_EEENSM_IJSG_SG_EEES6_PlJS6_EEE10hipError_tPvRmT3_T4_T5_T6_T7_T9_mT8_P12ihipStream_tbDpT10_ENKUlT_T0_E_clISt17integral_constantIbLb0EES18_IbLb1EEEEDaS14_S15_EUlS14_E_NS1_11comp_targetILNS1_3genE0ELNS1_11target_archE4294967295ELNS1_3gpuE0ELNS1_3repE0EEENS1_30default_config_static_selectorELNS0_4arch9wavefront6targetE1EEEvT1_
	.p2align	8
	.type	_ZN7rocprim17ROCPRIM_400000_NS6detail17trampoline_kernelINS0_14default_configENS1_25partition_config_selectorILNS1_17partition_subalgoE1EsNS0_10empty_typeEbEEZZNS1_14partition_implILS5_1ELb0ES3_jN6thrust23THRUST_200600_302600_NS6detail15normal_iteratorINSA_10device_ptrIsEEEEPS6_NSA_18transform_iteratorINSA_8identityIsEESF_NSA_11use_defaultESK_EENS0_5tupleIJSF_SF_EEENSM_IJSG_SG_EEES6_PlJS6_EEE10hipError_tPvRmT3_T4_T5_T6_T7_T9_mT8_P12ihipStream_tbDpT10_ENKUlT_T0_E_clISt17integral_constantIbLb0EES18_IbLb1EEEEDaS14_S15_EUlS14_E_NS1_11comp_targetILNS1_3genE0ELNS1_11target_archE4294967295ELNS1_3gpuE0ELNS1_3repE0EEENS1_30default_config_static_selectorELNS0_4arch9wavefront6targetE1EEEvT1_,@function
_ZN7rocprim17ROCPRIM_400000_NS6detail17trampoline_kernelINS0_14default_configENS1_25partition_config_selectorILNS1_17partition_subalgoE1EsNS0_10empty_typeEbEEZZNS1_14partition_implILS5_1ELb0ES3_jN6thrust23THRUST_200600_302600_NS6detail15normal_iteratorINSA_10device_ptrIsEEEEPS6_NSA_18transform_iteratorINSA_8identityIsEESF_NSA_11use_defaultESK_EENS0_5tupleIJSF_SF_EEENSM_IJSG_SG_EEES6_PlJS6_EEE10hipError_tPvRmT3_T4_T5_T6_T7_T9_mT8_P12ihipStream_tbDpT10_ENKUlT_T0_E_clISt17integral_constantIbLb0EES18_IbLb1EEEEDaS14_S15_EUlS14_E_NS1_11comp_targetILNS1_3genE0ELNS1_11target_archE4294967295ELNS1_3gpuE0ELNS1_3repE0EEENS1_30default_config_static_selectorELNS0_4arch9wavefront6targetE1EEEvT1_: ; @_ZN7rocprim17ROCPRIM_400000_NS6detail17trampoline_kernelINS0_14default_configENS1_25partition_config_selectorILNS1_17partition_subalgoE1EsNS0_10empty_typeEbEEZZNS1_14partition_implILS5_1ELb0ES3_jN6thrust23THRUST_200600_302600_NS6detail15normal_iteratorINSA_10device_ptrIsEEEEPS6_NSA_18transform_iteratorINSA_8identityIsEESF_NSA_11use_defaultESK_EENS0_5tupleIJSF_SF_EEENSM_IJSG_SG_EEES6_PlJS6_EEE10hipError_tPvRmT3_T4_T5_T6_T7_T9_mT8_P12ihipStream_tbDpT10_ENKUlT_T0_E_clISt17integral_constantIbLb0EES18_IbLb1EEEEDaS14_S15_EUlS14_E_NS1_11comp_targetILNS1_3genE0ELNS1_11target_archE4294967295ELNS1_3gpuE0ELNS1_3repE0EEENS1_30default_config_static_selectorELNS0_4arch9wavefront6targetE1EEEvT1_
; %bb.0:
	.section	.rodata,"a",@progbits
	.p2align	6, 0x0
	.amdhsa_kernel _ZN7rocprim17ROCPRIM_400000_NS6detail17trampoline_kernelINS0_14default_configENS1_25partition_config_selectorILNS1_17partition_subalgoE1EsNS0_10empty_typeEbEEZZNS1_14partition_implILS5_1ELb0ES3_jN6thrust23THRUST_200600_302600_NS6detail15normal_iteratorINSA_10device_ptrIsEEEEPS6_NSA_18transform_iteratorINSA_8identityIsEESF_NSA_11use_defaultESK_EENS0_5tupleIJSF_SF_EEENSM_IJSG_SG_EEES6_PlJS6_EEE10hipError_tPvRmT3_T4_T5_T6_T7_T9_mT8_P12ihipStream_tbDpT10_ENKUlT_T0_E_clISt17integral_constantIbLb0EES18_IbLb1EEEEDaS14_S15_EUlS14_E_NS1_11comp_targetILNS1_3genE0ELNS1_11target_archE4294967295ELNS1_3gpuE0ELNS1_3repE0EEENS1_30default_config_static_selectorELNS0_4arch9wavefront6targetE1EEEvT1_
		.amdhsa_group_segment_fixed_size 0
		.amdhsa_private_segment_fixed_size 0
		.amdhsa_kernarg_size 144
		.amdhsa_user_sgpr_count 2
		.amdhsa_user_sgpr_dispatch_ptr 0
		.amdhsa_user_sgpr_queue_ptr 0
		.amdhsa_user_sgpr_kernarg_segment_ptr 1
		.amdhsa_user_sgpr_dispatch_id 0
		.amdhsa_user_sgpr_kernarg_preload_length 0
		.amdhsa_user_sgpr_kernarg_preload_offset 0
		.amdhsa_user_sgpr_private_segment_size 0
		.amdhsa_uses_dynamic_stack 0
		.amdhsa_enable_private_segment 0
		.amdhsa_system_sgpr_workgroup_id_x 1
		.amdhsa_system_sgpr_workgroup_id_y 0
		.amdhsa_system_sgpr_workgroup_id_z 0
		.amdhsa_system_sgpr_workgroup_info 0
		.amdhsa_system_vgpr_workitem_id 0
		.amdhsa_next_free_vgpr 1
		.amdhsa_next_free_sgpr 0
		.amdhsa_accum_offset 4
		.amdhsa_reserve_vcc 0
		.amdhsa_float_round_mode_32 0
		.amdhsa_float_round_mode_16_64 0
		.amdhsa_float_denorm_mode_32 3
		.amdhsa_float_denorm_mode_16_64 3
		.amdhsa_dx10_clamp 1
		.amdhsa_ieee_mode 1
		.amdhsa_fp16_overflow 0
		.amdhsa_tg_split 0
		.amdhsa_exception_fp_ieee_invalid_op 0
		.amdhsa_exception_fp_denorm_src 0
		.amdhsa_exception_fp_ieee_div_zero 0
		.amdhsa_exception_fp_ieee_overflow 0
		.amdhsa_exception_fp_ieee_underflow 0
		.amdhsa_exception_fp_ieee_inexact 0
		.amdhsa_exception_int_div_zero 0
	.end_amdhsa_kernel
	.section	.text._ZN7rocprim17ROCPRIM_400000_NS6detail17trampoline_kernelINS0_14default_configENS1_25partition_config_selectorILNS1_17partition_subalgoE1EsNS0_10empty_typeEbEEZZNS1_14partition_implILS5_1ELb0ES3_jN6thrust23THRUST_200600_302600_NS6detail15normal_iteratorINSA_10device_ptrIsEEEEPS6_NSA_18transform_iteratorINSA_8identityIsEESF_NSA_11use_defaultESK_EENS0_5tupleIJSF_SF_EEENSM_IJSG_SG_EEES6_PlJS6_EEE10hipError_tPvRmT3_T4_T5_T6_T7_T9_mT8_P12ihipStream_tbDpT10_ENKUlT_T0_E_clISt17integral_constantIbLb0EES18_IbLb1EEEEDaS14_S15_EUlS14_E_NS1_11comp_targetILNS1_3genE0ELNS1_11target_archE4294967295ELNS1_3gpuE0ELNS1_3repE0EEENS1_30default_config_static_selectorELNS0_4arch9wavefront6targetE1EEEvT1_,"axG",@progbits,_ZN7rocprim17ROCPRIM_400000_NS6detail17trampoline_kernelINS0_14default_configENS1_25partition_config_selectorILNS1_17partition_subalgoE1EsNS0_10empty_typeEbEEZZNS1_14partition_implILS5_1ELb0ES3_jN6thrust23THRUST_200600_302600_NS6detail15normal_iteratorINSA_10device_ptrIsEEEEPS6_NSA_18transform_iteratorINSA_8identityIsEESF_NSA_11use_defaultESK_EENS0_5tupleIJSF_SF_EEENSM_IJSG_SG_EEES6_PlJS6_EEE10hipError_tPvRmT3_T4_T5_T6_T7_T9_mT8_P12ihipStream_tbDpT10_ENKUlT_T0_E_clISt17integral_constantIbLb0EES18_IbLb1EEEEDaS14_S15_EUlS14_E_NS1_11comp_targetILNS1_3genE0ELNS1_11target_archE4294967295ELNS1_3gpuE0ELNS1_3repE0EEENS1_30default_config_static_selectorELNS0_4arch9wavefront6targetE1EEEvT1_,comdat
.Lfunc_end665:
	.size	_ZN7rocprim17ROCPRIM_400000_NS6detail17trampoline_kernelINS0_14default_configENS1_25partition_config_selectorILNS1_17partition_subalgoE1EsNS0_10empty_typeEbEEZZNS1_14partition_implILS5_1ELb0ES3_jN6thrust23THRUST_200600_302600_NS6detail15normal_iteratorINSA_10device_ptrIsEEEEPS6_NSA_18transform_iteratorINSA_8identityIsEESF_NSA_11use_defaultESK_EENS0_5tupleIJSF_SF_EEENSM_IJSG_SG_EEES6_PlJS6_EEE10hipError_tPvRmT3_T4_T5_T6_T7_T9_mT8_P12ihipStream_tbDpT10_ENKUlT_T0_E_clISt17integral_constantIbLb0EES18_IbLb1EEEEDaS14_S15_EUlS14_E_NS1_11comp_targetILNS1_3genE0ELNS1_11target_archE4294967295ELNS1_3gpuE0ELNS1_3repE0EEENS1_30default_config_static_selectorELNS0_4arch9wavefront6targetE1EEEvT1_, .Lfunc_end665-_ZN7rocprim17ROCPRIM_400000_NS6detail17trampoline_kernelINS0_14default_configENS1_25partition_config_selectorILNS1_17partition_subalgoE1EsNS0_10empty_typeEbEEZZNS1_14partition_implILS5_1ELb0ES3_jN6thrust23THRUST_200600_302600_NS6detail15normal_iteratorINSA_10device_ptrIsEEEEPS6_NSA_18transform_iteratorINSA_8identityIsEESF_NSA_11use_defaultESK_EENS0_5tupleIJSF_SF_EEENSM_IJSG_SG_EEES6_PlJS6_EEE10hipError_tPvRmT3_T4_T5_T6_T7_T9_mT8_P12ihipStream_tbDpT10_ENKUlT_T0_E_clISt17integral_constantIbLb0EES18_IbLb1EEEEDaS14_S15_EUlS14_E_NS1_11comp_targetILNS1_3genE0ELNS1_11target_archE4294967295ELNS1_3gpuE0ELNS1_3repE0EEENS1_30default_config_static_selectorELNS0_4arch9wavefront6targetE1EEEvT1_
                                        ; -- End function
	.section	.AMDGPU.csdata,"",@progbits
; Kernel info:
; codeLenInByte = 0
; NumSgprs: 6
; NumVgprs: 0
; NumAgprs: 0
; TotalNumVgprs: 0
; ScratchSize: 0
; MemoryBound: 0
; FloatMode: 240
; IeeeMode: 1
; LDSByteSize: 0 bytes/workgroup (compile time only)
; SGPRBlocks: 0
; VGPRBlocks: 0
; NumSGPRsForWavesPerEU: 6
; NumVGPRsForWavesPerEU: 1
; AccumOffset: 4
; Occupancy: 8
; WaveLimiterHint : 0
; COMPUTE_PGM_RSRC2:SCRATCH_EN: 0
; COMPUTE_PGM_RSRC2:USER_SGPR: 2
; COMPUTE_PGM_RSRC2:TRAP_HANDLER: 0
; COMPUTE_PGM_RSRC2:TGID_X_EN: 1
; COMPUTE_PGM_RSRC2:TGID_Y_EN: 0
; COMPUTE_PGM_RSRC2:TGID_Z_EN: 0
; COMPUTE_PGM_RSRC2:TIDIG_COMP_CNT: 0
; COMPUTE_PGM_RSRC3_GFX90A:ACCUM_OFFSET: 0
; COMPUTE_PGM_RSRC3_GFX90A:TG_SPLIT: 0
	.section	.text._ZN7rocprim17ROCPRIM_400000_NS6detail17trampoline_kernelINS0_14default_configENS1_25partition_config_selectorILNS1_17partition_subalgoE1EsNS0_10empty_typeEbEEZZNS1_14partition_implILS5_1ELb0ES3_jN6thrust23THRUST_200600_302600_NS6detail15normal_iteratorINSA_10device_ptrIsEEEEPS6_NSA_18transform_iteratorINSA_8identityIsEESF_NSA_11use_defaultESK_EENS0_5tupleIJSF_SF_EEENSM_IJSG_SG_EEES6_PlJS6_EEE10hipError_tPvRmT3_T4_T5_T6_T7_T9_mT8_P12ihipStream_tbDpT10_ENKUlT_T0_E_clISt17integral_constantIbLb0EES18_IbLb1EEEEDaS14_S15_EUlS14_E_NS1_11comp_targetILNS1_3genE5ELNS1_11target_archE942ELNS1_3gpuE9ELNS1_3repE0EEENS1_30default_config_static_selectorELNS0_4arch9wavefront6targetE1EEEvT1_,"axG",@progbits,_ZN7rocprim17ROCPRIM_400000_NS6detail17trampoline_kernelINS0_14default_configENS1_25partition_config_selectorILNS1_17partition_subalgoE1EsNS0_10empty_typeEbEEZZNS1_14partition_implILS5_1ELb0ES3_jN6thrust23THRUST_200600_302600_NS6detail15normal_iteratorINSA_10device_ptrIsEEEEPS6_NSA_18transform_iteratorINSA_8identityIsEESF_NSA_11use_defaultESK_EENS0_5tupleIJSF_SF_EEENSM_IJSG_SG_EEES6_PlJS6_EEE10hipError_tPvRmT3_T4_T5_T6_T7_T9_mT8_P12ihipStream_tbDpT10_ENKUlT_T0_E_clISt17integral_constantIbLb0EES18_IbLb1EEEEDaS14_S15_EUlS14_E_NS1_11comp_targetILNS1_3genE5ELNS1_11target_archE942ELNS1_3gpuE9ELNS1_3repE0EEENS1_30default_config_static_selectorELNS0_4arch9wavefront6targetE1EEEvT1_,comdat
	.protected	_ZN7rocprim17ROCPRIM_400000_NS6detail17trampoline_kernelINS0_14default_configENS1_25partition_config_selectorILNS1_17partition_subalgoE1EsNS0_10empty_typeEbEEZZNS1_14partition_implILS5_1ELb0ES3_jN6thrust23THRUST_200600_302600_NS6detail15normal_iteratorINSA_10device_ptrIsEEEEPS6_NSA_18transform_iteratorINSA_8identityIsEESF_NSA_11use_defaultESK_EENS0_5tupleIJSF_SF_EEENSM_IJSG_SG_EEES6_PlJS6_EEE10hipError_tPvRmT3_T4_T5_T6_T7_T9_mT8_P12ihipStream_tbDpT10_ENKUlT_T0_E_clISt17integral_constantIbLb0EES18_IbLb1EEEEDaS14_S15_EUlS14_E_NS1_11comp_targetILNS1_3genE5ELNS1_11target_archE942ELNS1_3gpuE9ELNS1_3repE0EEENS1_30default_config_static_selectorELNS0_4arch9wavefront6targetE1EEEvT1_ ; -- Begin function _ZN7rocprim17ROCPRIM_400000_NS6detail17trampoline_kernelINS0_14default_configENS1_25partition_config_selectorILNS1_17partition_subalgoE1EsNS0_10empty_typeEbEEZZNS1_14partition_implILS5_1ELb0ES3_jN6thrust23THRUST_200600_302600_NS6detail15normal_iteratorINSA_10device_ptrIsEEEEPS6_NSA_18transform_iteratorINSA_8identityIsEESF_NSA_11use_defaultESK_EENS0_5tupleIJSF_SF_EEENSM_IJSG_SG_EEES6_PlJS6_EEE10hipError_tPvRmT3_T4_T5_T6_T7_T9_mT8_P12ihipStream_tbDpT10_ENKUlT_T0_E_clISt17integral_constantIbLb0EES18_IbLb1EEEEDaS14_S15_EUlS14_E_NS1_11comp_targetILNS1_3genE5ELNS1_11target_archE942ELNS1_3gpuE9ELNS1_3repE0EEENS1_30default_config_static_selectorELNS0_4arch9wavefront6targetE1EEEvT1_
	.globl	_ZN7rocprim17ROCPRIM_400000_NS6detail17trampoline_kernelINS0_14default_configENS1_25partition_config_selectorILNS1_17partition_subalgoE1EsNS0_10empty_typeEbEEZZNS1_14partition_implILS5_1ELb0ES3_jN6thrust23THRUST_200600_302600_NS6detail15normal_iteratorINSA_10device_ptrIsEEEEPS6_NSA_18transform_iteratorINSA_8identityIsEESF_NSA_11use_defaultESK_EENS0_5tupleIJSF_SF_EEENSM_IJSG_SG_EEES6_PlJS6_EEE10hipError_tPvRmT3_T4_T5_T6_T7_T9_mT8_P12ihipStream_tbDpT10_ENKUlT_T0_E_clISt17integral_constantIbLb0EES18_IbLb1EEEEDaS14_S15_EUlS14_E_NS1_11comp_targetILNS1_3genE5ELNS1_11target_archE942ELNS1_3gpuE9ELNS1_3repE0EEENS1_30default_config_static_selectorELNS0_4arch9wavefront6targetE1EEEvT1_
	.p2align	8
	.type	_ZN7rocprim17ROCPRIM_400000_NS6detail17trampoline_kernelINS0_14default_configENS1_25partition_config_selectorILNS1_17partition_subalgoE1EsNS0_10empty_typeEbEEZZNS1_14partition_implILS5_1ELb0ES3_jN6thrust23THRUST_200600_302600_NS6detail15normal_iteratorINSA_10device_ptrIsEEEEPS6_NSA_18transform_iteratorINSA_8identityIsEESF_NSA_11use_defaultESK_EENS0_5tupleIJSF_SF_EEENSM_IJSG_SG_EEES6_PlJS6_EEE10hipError_tPvRmT3_T4_T5_T6_T7_T9_mT8_P12ihipStream_tbDpT10_ENKUlT_T0_E_clISt17integral_constantIbLb0EES18_IbLb1EEEEDaS14_S15_EUlS14_E_NS1_11comp_targetILNS1_3genE5ELNS1_11target_archE942ELNS1_3gpuE9ELNS1_3repE0EEENS1_30default_config_static_selectorELNS0_4arch9wavefront6targetE1EEEvT1_,@function
_ZN7rocprim17ROCPRIM_400000_NS6detail17trampoline_kernelINS0_14default_configENS1_25partition_config_selectorILNS1_17partition_subalgoE1EsNS0_10empty_typeEbEEZZNS1_14partition_implILS5_1ELb0ES3_jN6thrust23THRUST_200600_302600_NS6detail15normal_iteratorINSA_10device_ptrIsEEEEPS6_NSA_18transform_iteratorINSA_8identityIsEESF_NSA_11use_defaultESK_EENS0_5tupleIJSF_SF_EEENSM_IJSG_SG_EEES6_PlJS6_EEE10hipError_tPvRmT3_T4_T5_T6_T7_T9_mT8_P12ihipStream_tbDpT10_ENKUlT_T0_E_clISt17integral_constantIbLb0EES18_IbLb1EEEEDaS14_S15_EUlS14_E_NS1_11comp_targetILNS1_3genE5ELNS1_11target_archE942ELNS1_3gpuE9ELNS1_3repE0EEENS1_30default_config_static_selectorELNS0_4arch9wavefront6targetE1EEEvT1_: ; @_ZN7rocprim17ROCPRIM_400000_NS6detail17trampoline_kernelINS0_14default_configENS1_25partition_config_selectorILNS1_17partition_subalgoE1EsNS0_10empty_typeEbEEZZNS1_14partition_implILS5_1ELb0ES3_jN6thrust23THRUST_200600_302600_NS6detail15normal_iteratorINSA_10device_ptrIsEEEEPS6_NSA_18transform_iteratorINSA_8identityIsEESF_NSA_11use_defaultESK_EENS0_5tupleIJSF_SF_EEENSM_IJSG_SG_EEES6_PlJS6_EEE10hipError_tPvRmT3_T4_T5_T6_T7_T9_mT8_P12ihipStream_tbDpT10_ENKUlT_T0_E_clISt17integral_constantIbLb0EES18_IbLb1EEEEDaS14_S15_EUlS14_E_NS1_11comp_targetILNS1_3genE5ELNS1_11target_archE942ELNS1_3gpuE9ELNS1_3repE0EEENS1_30default_config_static_selectorELNS0_4arch9wavefront6targetE1EEEvT1_
; %bb.0:
	s_load_dwordx2 s[2:3], s[0:1], 0x20
	s_load_dwordx4 s[20:23], s[0:1], 0x50
	s_load_dwordx2 s[6:7], s[0:1], 0x60
	s_load_dwordx2 s[34:35], s[0:1], 0x70
	v_cmp_eq_u32_e64 s[18:19], 0, v0
	s_and_saveexec_b64 s[4:5], s[18:19]
	s_cbranch_execz .LBB666_4
; %bb.1:
	s_mov_b64 s[10:11], exec
	v_mbcnt_lo_u32_b32 v1, s10, 0
	v_mbcnt_hi_u32_b32 v1, s11, v1
	v_cmp_eq_u32_e32 vcc, 0, v1
                                        ; implicit-def: $vgpr2
	s_and_saveexec_b64 s[8:9], vcc
	s_cbranch_execz .LBB666_3
; %bb.2:
	s_load_dwordx2 s[12:13], s[0:1], 0x80
	s_bcnt1_i32_b64 s10, s[10:11]
	v_mov_b32_e32 v2, 0
	v_mov_b32_e32 v3, s10
	s_waitcnt lgkmcnt(0)
	global_atomic_add v2, v2, v3, s[12:13] sc0
.LBB666_3:
	s_or_b64 exec, exec, s[8:9]
	s_waitcnt vmcnt(0)
	v_readfirstlane_b32 s8, v2
	v_mov_b32_e32 v2, 0
	s_nop 0
	v_add_u32_e32 v1, s8, v1
	ds_write_b32 v2, v1
.LBB666_4:
	s_or_b64 exec, exec, s[4:5]
	v_mov_b32_e32 v15, 0
	s_load_dwordx4 s[28:31], s[0:1], 0x8
	s_load_dwordx4 s[24:27], s[0:1], 0x30
	s_load_dword s8, s[0:1], 0x78
	s_waitcnt lgkmcnt(0)
	s_barrier
	ds_read_b32 v1, v15
	s_waitcnt lgkmcnt(0)
	s_barrier
	global_load_dwordx2 v[16:17], v15, s[22:23]
	v_mov_b32_e32 v3, s7
	s_lshl_b64 s[4:5], s[30:31], 1
	s_movk_i32 s7, 0x3800
	s_add_u32 s0, s28, s4
	v_mul_lo_u32 v14, v1, s7
	s_mul_i32 s7, s8, 0x3800
	s_addc_u32 s1, s29, s5
	s_add_i32 s9, s8, -1
	s_add_i32 s8, s7, s30
	s_sub_i32 s33, s6, s8
	s_addk_i32 s33, 0x3800
	v_mov_b32_e32 v2, s6
	s_add_u32 s6, s30, s7
	v_readfirstlane_b32 s40, v1
	s_addc_u32 s7, s31, 0
	s_cmp_eq_u32 s40, s9
	s_cselect_b64 s[22:23], -1, 0
	s_cmp_lg_u32 s40, s9
	v_cmp_lt_u64_e32 vcc, s[6:7], v[2:3]
	s_cselect_b64 s[6:7], -1, 0
	s_or_b64 s[28:29], vcc, s[6:7]
	v_lshlrev_b64 v[18:19], 1, v[14:15]
	v_lshl_add_u64 v[2:3], s[0:1], 0, v[18:19]
	s_mov_b64 s[0:1], -1
	s_and_b64 vcc, exec, s[28:29]
	v_lshlrev_b32_e32 v14, 1, v0
	s_cbranch_vccz .LBB666_6
; %bb.5:
	v_lshl_add_u64 v[4:5], v[2:3], 0, v[14:15]
	v_add_co_u32_e32 v6, vcc, 0x1000, v4
	s_mov_b64 s[0:1], 0
	s_nop 0
	v_addc_co_u32_e32 v7, vcc, 0, v5, vcc
	flat_load_ushort v1, v[4:5]
	flat_load_ushort v10, v[4:5] offset:1024
	flat_load_ushort v11, v[4:5] offset:2048
	flat_load_ushort v12, v[4:5] offset:3072
	flat_load_ushort v13, v[6:7]
	flat_load_ushort v15, v[6:7] offset:1024
	flat_load_ushort v20, v[6:7] offset:2048
	;; [unrolled: 1-line block ×3, first 2 shown]
	v_add_co_u32_e32 v6, vcc, 0x2000, v4
	s_nop 1
	v_addc_co_u32_e32 v7, vcc, 0, v5, vcc
	v_add_co_u32_e32 v8, vcc, 0x3000, v4
	s_nop 1
	v_addc_co_u32_e32 v9, vcc, 0, v5, vcc
	flat_load_ushort v22, v[6:7]
	flat_load_ushort v23, v[6:7] offset:1024
	flat_load_ushort v24, v[6:7] offset:2048
	;; [unrolled: 1-line block ×3, first 2 shown]
	flat_load_ushort v26, v[8:9]
	flat_load_ushort v27, v[8:9] offset:1024
	flat_load_ushort v28, v[8:9] offset:2048
	;; [unrolled: 1-line block ×3, first 2 shown]
	v_add_co_u32_e32 v6, vcc, 0x4000, v4
	s_nop 1
	v_addc_co_u32_e32 v7, vcc, 0, v5, vcc
	v_add_co_u32_e32 v8, vcc, 0x5000, v4
	s_nop 1
	v_addc_co_u32_e32 v9, vcc, 0, v5, vcc
	v_add_co_u32_e32 v4, vcc, 0x6000, v4
	flat_load_ushort v30, v[6:7]
	flat_load_ushort v31, v[6:7] offset:1024
	flat_load_ushort v32, v[6:7] offset:2048
	;; [unrolled: 1-line block ×3, first 2 shown]
	flat_load_ushort v34, v[8:9]
	flat_load_ushort v35, v[8:9] offset:1024
	flat_load_ushort v36, v[8:9] offset:2048
	;; [unrolled: 1-line block ×3, first 2 shown]
	v_addc_co_u32_e32 v5, vcc, 0, v5, vcc
	flat_load_ushort v6, v[4:5]
	flat_load_ushort v7, v[4:5] offset:1024
	flat_load_ushort v8, v[4:5] offset:2048
	;; [unrolled: 1-line block ×3, first 2 shown]
	s_waitcnt vmcnt(0) lgkmcnt(0)
	ds_write_b16 v14, v1
	ds_write_b16 v14, v10 offset:1024
	ds_write_b16 v14, v11 offset:2048
	;; [unrolled: 1-line block ×27, first 2 shown]
	s_waitcnt lgkmcnt(0)
	s_barrier
.LBB666_6:
	s_andn2_b64 vcc, exec, s[0:1]
	v_cmp_gt_u32_e64 s[0:1], s33, v0
	s_cbranch_vccnz .LBB666_64
; %bb.7:
                                        ; implicit-def: $vgpr1
	s_and_saveexec_b64 s[6:7], s[0:1]
	s_cbranch_execz .LBB666_9
; %bb.8:
	v_mov_b32_e32 v15, 0
	v_lshl_add_u64 v[4:5], v[2:3], 0, v[14:15]
	flat_load_ushort v1, v[4:5]
.LBB666_9:
	s_or_b64 exec, exec, s[6:7]
	v_or_b32_e32 v4, 0x200, v0
	v_cmp_gt_u32_e32 vcc, s33, v4
                                        ; implicit-def: $vgpr4
	s_and_saveexec_b64 s[0:1], vcc
	s_cbranch_execz .LBB666_11
; %bb.10:
	v_mov_b32_e32 v15, 0
	v_lshl_add_u64 v[4:5], v[2:3], 0, v[14:15]
	flat_load_ushort v4, v[4:5] offset:1024
.LBB666_11:
	s_or_b64 exec, exec, s[0:1]
	v_or_b32_e32 v5, 0x400, v0
	v_cmp_gt_u32_e32 vcc, s33, v5
                                        ; implicit-def: $vgpr5
	s_and_saveexec_b64 s[0:1], vcc
	s_cbranch_execz .LBB666_13
; %bb.12:
	v_mov_b32_e32 v15, 0
	v_lshl_add_u64 v[6:7], v[2:3], 0, v[14:15]
	flat_load_ushort v5, v[6:7] offset:2048
.LBB666_13:
	s_or_b64 exec, exec, s[0:1]
	v_or_b32_e32 v6, 0x600, v0
	v_cmp_gt_u32_e32 vcc, s33, v6
                                        ; implicit-def: $vgpr6
	s_and_saveexec_b64 s[0:1], vcc
	s_cbranch_execz .LBB666_15
; %bb.14:
	v_mov_b32_e32 v15, 0
	v_lshl_add_u64 v[6:7], v[2:3], 0, v[14:15]
	flat_load_ushort v6, v[6:7] offset:3072
.LBB666_15:
	s_or_b64 exec, exec, s[0:1]
	v_or_b32_e32 v8, 0x800, v0
	v_cmp_gt_u32_e32 vcc, s33, v8
                                        ; implicit-def: $vgpr7
	s_and_saveexec_b64 s[0:1], vcc
	s_cbranch_execz .LBB666_17
; %bb.16:
	v_lshlrev_b32_e32 v8, 1, v8
	v_mov_b32_e32 v9, 0
	v_lshl_add_u64 v[8:9], v[2:3], 0, v[8:9]
	flat_load_ushort v7, v[8:9]
.LBB666_17:
	s_or_b64 exec, exec, s[0:1]
	v_or_b32_e32 v9, 0xa00, v0
	v_cmp_gt_u32_e32 vcc, s33, v9
                                        ; implicit-def: $vgpr8
	s_and_saveexec_b64 s[0:1], vcc
	s_cbranch_execz .LBB666_19
; %bb.18:
	v_lshlrev_b32_e32 v8, 1, v9
	v_mov_b32_e32 v9, 0
	v_lshl_add_u64 v[8:9], v[2:3], 0, v[8:9]
	flat_load_ushort v8, v[8:9]
.LBB666_19:
	s_or_b64 exec, exec, s[0:1]
	v_or_b32_e32 v10, 0xc00, v0
	v_cmp_gt_u32_e32 vcc, s33, v10
                                        ; implicit-def: $vgpr9
	s_and_saveexec_b64 s[0:1], vcc
	s_cbranch_execz .LBB666_21
; %bb.20:
	v_lshlrev_b32_e32 v10, 1, v10
	v_mov_b32_e32 v11, 0
	v_lshl_add_u64 v[10:11], v[2:3], 0, v[10:11]
	flat_load_ushort v9, v[10:11]
.LBB666_21:
	s_or_b64 exec, exec, s[0:1]
	v_or_b32_e32 v11, 0xe00, v0
	v_cmp_gt_u32_e32 vcc, s33, v11
                                        ; implicit-def: $vgpr10
	s_and_saveexec_b64 s[0:1], vcc
	s_cbranch_execz .LBB666_23
; %bb.22:
	v_lshlrev_b32_e32 v10, 1, v11
	v_mov_b32_e32 v11, 0
	v_lshl_add_u64 v[10:11], v[2:3], 0, v[10:11]
	flat_load_ushort v10, v[10:11]
.LBB666_23:
	s_or_b64 exec, exec, s[0:1]
	v_or_b32_e32 v12, 0x1000, v0
	v_cmp_gt_u32_e32 vcc, s33, v12
                                        ; implicit-def: $vgpr11
	s_and_saveexec_b64 s[0:1], vcc
	s_cbranch_execz .LBB666_25
; %bb.24:
	v_lshlrev_b32_e32 v12, 1, v12
	v_mov_b32_e32 v13, 0
	v_lshl_add_u64 v[12:13], v[2:3], 0, v[12:13]
	flat_load_ushort v11, v[12:13]
.LBB666_25:
	s_or_b64 exec, exec, s[0:1]
	v_or_b32_e32 v13, 0x1200, v0
	v_cmp_gt_u32_e32 vcc, s33, v13
                                        ; implicit-def: $vgpr12
	s_and_saveexec_b64 s[0:1], vcc
	s_cbranch_execz .LBB666_27
; %bb.26:
	v_lshlrev_b32_e32 v12, 1, v13
	v_mov_b32_e32 v13, 0
	v_lshl_add_u64 v[12:13], v[2:3], 0, v[12:13]
	flat_load_ushort v12, v[12:13]
.LBB666_27:
	s_or_b64 exec, exec, s[0:1]
	v_or_b32_e32 v15, 0x1400, v0
	v_cmp_gt_u32_e32 vcc, s33, v15
                                        ; implicit-def: $vgpr13
	s_and_saveexec_b64 s[0:1], vcc
	s_cbranch_execz .LBB666_29
; %bb.28:
	v_lshlrev_b32_e32 v20, 1, v15
	v_mov_b32_e32 v21, 0
	v_lshl_add_u64 v[20:21], v[2:3], 0, v[20:21]
	flat_load_ushort v13, v[20:21]
.LBB666_29:
	s_or_b64 exec, exec, s[0:1]
	v_or_b32_e32 v20, 0x1600, v0
	v_cmp_gt_u32_e32 vcc, s33, v20
                                        ; implicit-def: $vgpr15
	s_and_saveexec_b64 s[0:1], vcc
	s_cbranch_execz .LBB666_31
; %bb.30:
	v_lshlrev_b32_e32 v20, 1, v20
	v_mov_b32_e32 v21, 0
	v_lshl_add_u64 v[20:21], v[2:3], 0, v[20:21]
	flat_load_ushort v15, v[20:21]
.LBB666_31:
	s_or_b64 exec, exec, s[0:1]
	v_or_b32_e32 v21, 0x1800, v0
	v_cmp_gt_u32_e32 vcc, s33, v21
                                        ; implicit-def: $vgpr20
	s_and_saveexec_b64 s[0:1], vcc
	s_cbranch_execz .LBB666_33
; %bb.32:
	v_lshlrev_b32_e32 v20, 1, v21
	v_mov_b32_e32 v21, 0
	v_lshl_add_u64 v[20:21], v[2:3], 0, v[20:21]
	flat_load_ushort v20, v[20:21]
.LBB666_33:
	s_or_b64 exec, exec, s[0:1]
	v_or_b32_e32 v22, 0x1a00, v0
	v_cmp_gt_u32_e32 vcc, s33, v22
                                        ; implicit-def: $vgpr21
	s_and_saveexec_b64 s[0:1], vcc
	s_cbranch_execz .LBB666_35
; %bb.34:
	v_lshlrev_b32_e32 v22, 1, v22
	v_mov_b32_e32 v23, 0
	v_lshl_add_u64 v[22:23], v[2:3], 0, v[22:23]
	flat_load_ushort v21, v[22:23]
.LBB666_35:
	s_or_b64 exec, exec, s[0:1]
	v_or_b32_e32 v23, 0x1c00, v0
	v_cmp_gt_u32_e32 vcc, s33, v23
                                        ; implicit-def: $vgpr22
	s_and_saveexec_b64 s[0:1], vcc
	s_cbranch_execz .LBB666_37
; %bb.36:
	v_lshlrev_b32_e32 v22, 1, v23
	v_mov_b32_e32 v23, 0
	v_lshl_add_u64 v[22:23], v[2:3], 0, v[22:23]
	flat_load_ushort v22, v[22:23]
.LBB666_37:
	s_or_b64 exec, exec, s[0:1]
	v_or_b32_e32 v24, 0x1e00, v0
	v_cmp_gt_u32_e32 vcc, s33, v24
                                        ; implicit-def: $vgpr23
	s_and_saveexec_b64 s[0:1], vcc
	s_cbranch_execz .LBB666_39
; %bb.38:
	v_lshlrev_b32_e32 v24, 1, v24
	v_mov_b32_e32 v25, 0
	v_lshl_add_u64 v[24:25], v[2:3], 0, v[24:25]
	flat_load_ushort v23, v[24:25]
.LBB666_39:
	s_or_b64 exec, exec, s[0:1]
	v_or_b32_e32 v25, 0x2000, v0
	v_cmp_gt_u32_e32 vcc, s33, v25
                                        ; implicit-def: $vgpr24
	s_and_saveexec_b64 s[0:1], vcc
	s_cbranch_execz .LBB666_41
; %bb.40:
	v_lshlrev_b32_e32 v24, 1, v25
	v_mov_b32_e32 v25, 0
	v_lshl_add_u64 v[24:25], v[2:3], 0, v[24:25]
	flat_load_ushort v24, v[24:25]
.LBB666_41:
	s_or_b64 exec, exec, s[0:1]
	v_or_b32_e32 v26, 0x2200, v0
	v_cmp_gt_u32_e32 vcc, s33, v26
                                        ; implicit-def: $vgpr25
	s_and_saveexec_b64 s[0:1], vcc
	s_cbranch_execz .LBB666_43
; %bb.42:
	v_lshlrev_b32_e32 v26, 1, v26
	v_mov_b32_e32 v27, 0
	v_lshl_add_u64 v[26:27], v[2:3], 0, v[26:27]
	flat_load_ushort v25, v[26:27]
.LBB666_43:
	s_or_b64 exec, exec, s[0:1]
	v_or_b32_e32 v27, 0x2400, v0
	v_cmp_gt_u32_e32 vcc, s33, v27
                                        ; implicit-def: $vgpr26
	s_and_saveexec_b64 s[0:1], vcc
	s_cbranch_execz .LBB666_45
; %bb.44:
	v_lshlrev_b32_e32 v26, 1, v27
	v_mov_b32_e32 v27, 0
	v_lshl_add_u64 v[26:27], v[2:3], 0, v[26:27]
	flat_load_ushort v26, v[26:27]
.LBB666_45:
	s_or_b64 exec, exec, s[0:1]
	v_or_b32_e32 v28, 0x2600, v0
	v_cmp_gt_u32_e32 vcc, s33, v28
                                        ; implicit-def: $vgpr27
	s_and_saveexec_b64 s[0:1], vcc
	s_cbranch_execz .LBB666_47
; %bb.46:
	v_lshlrev_b32_e32 v28, 1, v28
	v_mov_b32_e32 v29, 0
	v_lshl_add_u64 v[28:29], v[2:3], 0, v[28:29]
	flat_load_ushort v27, v[28:29]
.LBB666_47:
	s_or_b64 exec, exec, s[0:1]
	v_or_b32_e32 v29, 0x2800, v0
	v_cmp_gt_u32_e32 vcc, s33, v29
                                        ; implicit-def: $vgpr28
	s_and_saveexec_b64 s[0:1], vcc
	s_cbranch_execz .LBB666_49
; %bb.48:
	v_lshlrev_b32_e32 v28, 1, v29
	v_mov_b32_e32 v29, 0
	v_lshl_add_u64 v[28:29], v[2:3], 0, v[28:29]
	flat_load_ushort v28, v[28:29]
.LBB666_49:
	s_or_b64 exec, exec, s[0:1]
	v_or_b32_e32 v30, 0x2a00, v0
	v_cmp_gt_u32_e32 vcc, s33, v30
                                        ; implicit-def: $vgpr29
	s_and_saveexec_b64 s[0:1], vcc
	s_cbranch_execz .LBB666_51
; %bb.50:
	v_lshlrev_b32_e32 v30, 1, v30
	v_mov_b32_e32 v31, 0
	v_lshl_add_u64 v[30:31], v[2:3], 0, v[30:31]
	flat_load_ushort v29, v[30:31]
.LBB666_51:
	s_or_b64 exec, exec, s[0:1]
	v_or_b32_e32 v31, 0x2c00, v0
	v_cmp_gt_u32_e32 vcc, s33, v31
                                        ; implicit-def: $vgpr30
	s_and_saveexec_b64 s[0:1], vcc
	s_cbranch_execz .LBB666_53
; %bb.52:
	v_lshlrev_b32_e32 v30, 1, v31
	v_mov_b32_e32 v31, 0
	v_lshl_add_u64 v[30:31], v[2:3], 0, v[30:31]
	flat_load_ushort v30, v[30:31]
.LBB666_53:
	s_or_b64 exec, exec, s[0:1]
	v_or_b32_e32 v32, 0x2e00, v0
	v_cmp_gt_u32_e32 vcc, s33, v32
                                        ; implicit-def: $vgpr31
	s_and_saveexec_b64 s[0:1], vcc
	s_cbranch_execz .LBB666_55
; %bb.54:
	v_lshlrev_b32_e32 v32, 1, v32
	v_mov_b32_e32 v33, 0
	v_lshl_add_u64 v[32:33], v[2:3], 0, v[32:33]
	flat_load_ushort v31, v[32:33]
.LBB666_55:
	s_or_b64 exec, exec, s[0:1]
	v_or_b32_e32 v33, 0x3000, v0
	v_cmp_gt_u32_e32 vcc, s33, v33
                                        ; implicit-def: $vgpr32
	s_and_saveexec_b64 s[0:1], vcc
	s_cbranch_execz .LBB666_57
; %bb.56:
	v_lshlrev_b32_e32 v32, 1, v33
	v_mov_b32_e32 v33, 0
	v_lshl_add_u64 v[32:33], v[2:3], 0, v[32:33]
	flat_load_ushort v32, v[32:33]
.LBB666_57:
	s_or_b64 exec, exec, s[0:1]
	v_or_b32_e32 v34, 0x3200, v0
	v_cmp_gt_u32_e32 vcc, s33, v34
                                        ; implicit-def: $vgpr33
	s_and_saveexec_b64 s[0:1], vcc
	s_cbranch_execz .LBB666_59
; %bb.58:
	v_lshlrev_b32_e32 v34, 1, v34
	v_mov_b32_e32 v35, 0
	v_lshl_add_u64 v[34:35], v[2:3], 0, v[34:35]
	flat_load_ushort v33, v[34:35]
.LBB666_59:
	s_or_b64 exec, exec, s[0:1]
	v_or_b32_e32 v35, 0x3400, v0
	v_cmp_gt_u32_e32 vcc, s33, v35
                                        ; implicit-def: $vgpr34
	s_and_saveexec_b64 s[0:1], vcc
	s_cbranch_execz .LBB666_61
; %bb.60:
	v_lshlrev_b32_e32 v34, 1, v35
	v_mov_b32_e32 v35, 0
	v_lshl_add_u64 v[34:35], v[2:3], 0, v[34:35]
	flat_load_ushort v34, v[34:35]
.LBB666_61:
	s_or_b64 exec, exec, s[0:1]
	v_or_b32_e32 v36, 0x3600, v0
	v_cmp_gt_u32_e32 vcc, s33, v36
                                        ; implicit-def: $vgpr35
	s_and_saveexec_b64 s[0:1], vcc
	s_cbranch_execz .LBB666_63
; %bb.62:
	v_lshlrev_b32_e32 v36, 1, v36
	v_mov_b32_e32 v37, 0
	v_lshl_add_u64 v[2:3], v[2:3], 0, v[36:37]
	flat_load_ushort v35, v[2:3]
.LBB666_63:
	s_or_b64 exec, exec, s[0:1]
	s_waitcnt vmcnt(0) lgkmcnt(0)
	ds_write_b16 v14, v1
	ds_write_b16 v14, v4 offset:1024
	ds_write_b16 v14, v5 offset:2048
	;; [unrolled: 1-line block ×27, first 2 shown]
	s_waitcnt lgkmcnt(0)
	s_barrier
.LBB666_64:
	v_mul_u32_u24_e32 v1, 28, v0
	v_lshlrev_b32_e32 v6, 1, v1
	ds_read_b64 v[20:21], v6 offset:48
	ds_read2_b64 v[2:5], v6 offset0:4 offset1:5
	ds_read2_b64 v[10:13], v6 offset1:1
	ds_read2_b64 v[6:9], v6 offset0:2 offset1:3
	s_add_u32 s0, s2, s4
	s_addc_u32 s1, s3, s5
	v_lshl_add_u64 v[22:23], s[0:1], 0, v[18:19]
	s_mov_b64 s[0:1], -1
	s_and_b64 vcc, exec, s[28:29]
	s_waitcnt lgkmcnt(0)
	s_barrier
	s_cbranch_vccz .LBB666_66
; %bb.65:
	v_mov_b32_e32 v15, 0
	v_readfirstlane_b32 s0, v22
	v_readfirstlane_b32 s1, v23
	v_lshl_add_u64 v[24:25], v[22:23], 0, v[14:15]
	s_nop 3
	global_load_ushort v15, v14, s[0:1]
	global_load_ushort v32, v14, s[0:1] offset:1024
	global_load_ushort v33, v14, s[0:1] offset:2048
	;; [unrolled: 1-line block ×3, first 2 shown]
	s_movk_i32 s0, 0x1000
	v_add_co_u32_e32 v26, vcc, s0, v24
	s_movk_i32 s0, 0x2000
	s_nop 0
	v_addc_co_u32_e32 v27, vcc, 0, v25, vcc
	v_add_co_u32_e32 v28, vcc, s0, v24
	s_movk_i32 s0, 0x3000
	s_nop 0
	v_addc_co_u32_e32 v29, vcc, 0, v25, vcc
	global_load_ushort v35, v[26:27], off offset:1024
	global_load_ushort v36, v[26:27], off offset:2048
	;; [unrolled: 1-line block ×3, first 2 shown]
	global_load_ushort v38, v[28:29], off offset:-4096
	global_load_ushort v39, v[28:29], off
	global_load_ushort v40, v[28:29], off offset:1024
	global_load_ushort v41, v[28:29], off offset:2048
	v_add_co_u32_e32 v26, vcc, s0, v24
	s_movk_i32 s0, 0x4000
	s_nop 0
	v_addc_co_u32_e32 v27, vcc, 0, v25, vcc
	v_add_co_u32_e32 v30, vcc, s0, v24
	s_movk_i32 s1, 0x6000
	s_nop 0
	v_addc_co_u32_e32 v31, vcc, 0, v25, vcc
	global_load_ushort v42, v[28:29], off offset:3072
	global_load_ushort v43, v[30:31], off offset:-4096
	global_load_ushort v44, v[26:27], off offset:1024
	global_load_ushort v45, v[26:27], off offset:2048
	;; [unrolled: 1-line block ×3, first 2 shown]
	global_load_ushort v47, v[30:31], off
	v_add_co_u32_e32 v26, vcc, s1, v24
	s_movk_i32 s0, 0x5000
	s_nop 0
	v_addc_co_u32_e32 v27, vcc, 0, v25, vcc
	global_load_ushort v28, v[30:31], off offset:1024
	global_load_ushort v29, v[30:31], off offset:2048
	;; [unrolled: 1-line block ×3, first 2 shown]
	global_load_ushort v49, v[26:27], off offset:-4096
	v_add_co_u32_e32 v24, vcc, s0, v24
	s_mov_b64 s[0:1], 0
	s_nop 0
	v_addc_co_u32_e32 v25, vcc, 0, v25, vcc
	global_load_ushort v30, v[24:25], off offset:1024
	global_load_ushort v31, v[24:25], off offset:2048
	;; [unrolled: 1-line block ×3, first 2 shown]
	global_load_ushort v51, v[26:27], off
	global_load_ushort v52, v[26:27], off offset:1024
	global_load_ushort v53, v[26:27], off offset:2048
	;; [unrolled: 1-line block ×3, first 2 shown]
	s_waitcnt vmcnt(27)
	v_cmp_ne_u16_e32 vcc, 0, v15
	s_nop 1
	v_cndmask_b32_e64 v15, 0, 1, vcc
	s_waitcnt vmcnt(26)
	v_cmp_ne_u16_e32 vcc, 0, v32
	s_nop 1
	v_cndmask_b32_e64 v24, 0, 1, vcc
	;; [unrolled: 4-line block ×5, first 2 shown]
	v_cmp_ne_u16_e32 vcc, 0, v35
	s_nop 1
	v_cndmask_b32_e64 v32, 0, 1, vcc
	v_cmp_ne_u16_e32 vcc, 0, v36
	s_nop 1
	v_cndmask_b32_e64 v33, 0, 1, vcc
	;; [unrolled: 3-line block ×3, first 2 shown]
	s_waitcnt vmcnt(19)
	v_cmp_ne_u16_e32 vcc, 0, v39
	s_nop 1
	v_cndmask_b32_e64 v35, 0, 1, vcc
	s_waitcnt vmcnt(18)
	v_cmp_ne_u16_e32 vcc, 0, v40
	s_nop 1
	v_cndmask_b32_e64 v36, 0, 1, vcc
	;; [unrolled: 4-line block ×20, first 2 shown]
	ds_write_b8 v0, v15
	ds_write_b8 v0, v24 offset:512
	ds_write_b8 v0, v25 offset:1024
	;; [unrolled: 1-line block ×27, first 2 shown]
	s_waitcnt lgkmcnt(0)
	s_barrier
.LBB666_66:
	s_andn2_b64 vcc, exec, s[0:1]
	s_cbranch_vccnz .LBB666_124
; %bb.67:
	v_cmp_gt_u32_e32 vcc, s33, v0
	v_mov_b32_e32 v15, 0
	v_mov_b32_e32 v24, 0
	s_and_saveexec_b64 s[0:1], vcc
	s_cbranch_execz .LBB666_69
; %bb.68:
	v_readfirstlane_b32 s2, v22
	v_readfirstlane_b32 s3, v23
	s_nop 4
	global_load_ushort v24, v14, s[2:3]
	s_waitcnt vmcnt(0)
	v_cmp_ne_u16_e32 vcc, 0, v24
	s_nop 1
	v_cndmask_b32_e64 v24, 0, 1, vcc
.LBB666_69:
	s_or_b64 exec, exec, s[0:1]
	v_or_b32_e32 v25, 0x200, v0
	v_cmp_gt_u32_e32 vcc, s33, v25
	s_and_saveexec_b64 s[0:1], vcc
	s_cbranch_execz .LBB666_71
; %bb.70:
	v_readfirstlane_b32 s2, v22
	v_readfirstlane_b32 s3, v23
	s_nop 4
	global_load_ushort v15, v14, s[2:3] offset:1024
	s_waitcnt vmcnt(0)
	v_cmp_ne_u16_e32 vcc, 0, v15
	s_nop 1
	v_cndmask_b32_e64 v15, 0, 1, vcc
.LBB666_71:
	s_or_b64 exec, exec, s[0:1]
	v_or_b32_e32 v25, 0x400, v0
	v_cmp_gt_u32_e32 vcc, s33, v25
	v_mov_b32_e32 v25, 0
	v_mov_b32_e32 v26, 0
	s_and_saveexec_b64 s[0:1], vcc
	s_cbranch_execz .LBB666_73
; %bb.72:
	v_readfirstlane_b32 s2, v22
	v_readfirstlane_b32 s3, v23
	s_nop 4
	global_load_ushort v26, v14, s[2:3] offset:2048
	s_waitcnt vmcnt(0)
	v_cmp_ne_u16_e32 vcc, 0, v26
	s_nop 1
	v_cndmask_b32_e64 v26, 0, 1, vcc
.LBB666_73:
	s_or_b64 exec, exec, s[0:1]
	v_or_b32_e32 v27, 0x600, v0
	v_cmp_gt_u32_e32 vcc, s33, v27
	s_and_saveexec_b64 s[0:1], vcc
	s_cbranch_execz .LBB666_75
; %bb.74:
	v_readfirstlane_b32 s2, v22
	v_readfirstlane_b32 s3, v23
	s_nop 4
	global_load_ushort v25, v14, s[2:3] offset:3072
	s_waitcnt vmcnt(0)
	v_cmp_ne_u16_e32 vcc, 0, v25
	s_nop 1
	v_cndmask_b32_e64 v25, 0, 1, vcc
.LBB666_75:
	s_or_b64 exec, exec, s[0:1]
	v_or_b32_e32 v29, 0x800, v0
	v_cmp_gt_u32_e32 vcc, s33, v29
	v_mov_b32_e32 v27, 0
	v_mov_b32_e32 v28, 0
	s_and_saveexec_b64 s[0:1], vcc
	s_cbranch_execz .LBB666_77
; %bb.76:
	v_lshlrev_b32_e32 v28, 1, v29
	v_readfirstlane_b32 s2, v22
	v_readfirstlane_b32 s3, v23
	s_nop 4
	global_load_ushort v28, v28, s[2:3]
	s_waitcnt vmcnt(0)
	v_cmp_ne_u16_e32 vcc, 0, v28
	s_nop 1
	v_cndmask_b32_e64 v28, 0, 1, vcc
.LBB666_77:
	s_or_b64 exec, exec, s[0:1]
	v_or_b32_e32 v29, 0xa00, v0
	v_cmp_gt_u32_e32 vcc, s33, v29
	s_and_saveexec_b64 s[0:1], vcc
	s_cbranch_execz .LBB666_79
; %bb.78:
	v_lshlrev_b32_e32 v27, 1, v29
	v_readfirstlane_b32 s2, v22
	v_readfirstlane_b32 s3, v23
	s_nop 4
	global_load_ushort v27, v27, s[2:3]
	s_waitcnt vmcnt(0)
	v_cmp_ne_u16_e32 vcc, 0, v27
	s_nop 1
	v_cndmask_b32_e64 v27, 0, 1, vcc
.LBB666_79:
	s_or_b64 exec, exec, s[0:1]
	v_or_b32_e32 v31, 0xc00, v0
	v_cmp_gt_u32_e32 vcc, s33, v31
	v_mov_b32_e32 v29, 0
	v_mov_b32_e32 v30, 0
	s_and_saveexec_b64 s[0:1], vcc
	s_cbranch_execz .LBB666_81
; %bb.80:
	v_lshlrev_b32_e32 v30, 1, v31
	v_readfirstlane_b32 s2, v22
	v_readfirstlane_b32 s3, v23
	s_nop 4
	global_load_ushort v30, v30, s[2:3]
	s_waitcnt vmcnt(0)
	v_cmp_ne_u16_e32 vcc, 0, v30
	s_nop 1
	v_cndmask_b32_e64 v30, 0, 1, vcc
.LBB666_81:
	s_or_b64 exec, exec, s[0:1]
	v_or_b32_e32 v31, 0xe00, v0
	v_cmp_gt_u32_e32 vcc, s33, v31
	s_and_saveexec_b64 s[0:1], vcc
	s_cbranch_execz .LBB666_83
; %bb.82:
	v_lshlrev_b32_e32 v29, 1, v31
	v_readfirstlane_b32 s2, v22
	v_readfirstlane_b32 s3, v23
	s_nop 4
	global_load_ushort v29, v29, s[2:3]
	s_waitcnt vmcnt(0)
	v_cmp_ne_u16_e32 vcc, 0, v29
	s_nop 1
	v_cndmask_b32_e64 v29, 0, 1, vcc
.LBB666_83:
	;; [unrolled: 34-line block ×12, first 2 shown]
	s_or_b64 exec, exec, s[0:1]
	ds_write_b8 v0, v24
	ds_write_b8 v0, v15 offset:512
	ds_write_b8 v0, v26 offset:1024
	;; [unrolled: 1-line block ×27, first 2 shown]
	s_waitcnt lgkmcnt(0)
	s_barrier
.LBB666_124:
	ds_read2_b32 v[28:29], v1 offset1:1
	ds_read2_b32 v[26:27], v1 offset0:2 offset1:3
	ds_read2_b32 v[24:25], v1 offset0:4 offset1:5
	ds_read_b32 v38, v1 offset:24
	s_cmp_lg_u32 s40, 0
	v_lshrrev_b32_e32 v65, 6, v0
	s_waitcnt lgkmcnt(2)
	v_and_b32_e32 v57, 0xff, v26
	v_lshrrev_b32_e32 v45, 24, v28
	v_bfe_u32 v63, v28, 16, 8
	v_add_u32_sdwa v22, v28, v28 dst_sel:DWORD dst_unused:UNUSED_PAD src0_sel:BYTE_1 src1_sel:BYTE_0
	v_and_b32_e32 v60, 0xff, v29
	v_bfe_u32 v61, v29, 8, 8
	v_add3_u32 v22, v22, v63, v45
	v_lshrrev_b32_e32 v44, 24, v29
	v_bfe_u32 v62, v29, 16, 8
	v_add3_u32 v22, v22, v60, v61
	v_bfe_u32 v58, v26, 8, 8
	v_add3_u32 v22, v22, v62, v44
	v_lshrrev_b32_e32 v43, 24, v26
	v_bfe_u32 v59, v26, 16, 8
	v_add3_u32 v22, v22, v57, v58
	v_and_b32_e32 v54, 0xff, v27
	v_bfe_u32 v55, v27, 8, 8
	v_add3_u32 v22, v22, v59, v43
	v_lshrrev_b32_e32 v42, 24, v27
	v_bfe_u32 v56, v27, 16, 8
	v_add3_u32 v22, v22, v54, v55
	s_waitcnt lgkmcnt(1)
	v_and_b32_e32 v51, 0xff, v24
	v_bfe_u32 v52, v24, 8, 8
	v_add3_u32 v22, v22, v56, v42
	v_lshrrev_b32_e32 v41, 24, v24
	v_bfe_u32 v53, v24, 16, 8
	v_add3_u32 v22, v22, v51, v52
	v_and_b32_e32 v48, 0xff, v25
	v_bfe_u32 v49, v25, 8, 8
	v_add3_u32 v22, v22, v53, v41
	v_lshrrev_b32_e32 v40, 24, v25
	v_bfe_u32 v50, v25, 16, 8
	v_add3_u32 v22, v22, v48, v49
	s_waitcnt lgkmcnt(0)
	v_and_b32_e32 v46, 0xff, v38
	v_bfe_u32 v47, v38, 8, 8
	v_add3_u32 v22, v22, v50, v40
	v_lshrrev_b32_e32 v15, 24, v38
	v_bfe_u32 v39, v38, 16, 8
	v_add3_u32 v22, v22, v46, v47
	v_add3_u32 v66, v22, v39, v15
	v_mbcnt_lo_u32_b32 v22, -1, 0
	v_mbcnt_hi_u32_b32 v64, -1, v22
	v_and_b32_e32 v22, 15, v64
	v_cmp_eq_u32_e64 s[14:15], 0, v22
	v_cmp_lt_u32_e64 s[12:13], 1, v22
	v_cmp_lt_u32_e64 s[10:11], 3, v22
	;; [unrolled: 1-line block ×3, first 2 shown]
	v_and_b32_e32 v22, 16, v64
	v_cmp_eq_u32_e64 s[6:7], 0, v22
	v_or_b32_e32 v22, 63, v0
	v_cmp_lt_u32_e64 s[2:3], 31, v64
	v_cmp_eq_u32_e64 s[4:5], v22, v0
	s_barrier
	s_cbranch_scc0 .LBB666_151
; %bb.125:
	v_mov_b32_dpp v22, v66 row_shr:1 row_mask:0xf bank_mask:0xf
	v_cndmask_b32_e64 v22, v22, 0, s[14:15]
	v_add_u32_e32 v22, v22, v66
	s_nop 1
	v_mov_b32_dpp v23, v22 row_shr:2 row_mask:0xf bank_mask:0xf
	v_cndmask_b32_e64 v23, 0, v23, s[12:13]
	v_add_u32_e32 v22, v22, v23
	s_nop 1
	v_mov_b32_dpp v23, v22 row_shr:4 row_mask:0xf bank_mask:0xf
	v_cndmask_b32_e64 v23, 0, v23, s[10:11]
	v_add_u32_e32 v22, v22, v23
	s_nop 1
	v_mov_b32_dpp v23, v22 row_shr:8 row_mask:0xf bank_mask:0xf
	v_cndmask_b32_e64 v23, 0, v23, s[8:9]
	v_add_u32_e32 v22, v22, v23
	s_nop 1
	v_mov_b32_dpp v23, v22 row_bcast:15 row_mask:0xf bank_mask:0xf
	v_cndmask_b32_e64 v23, v23, 0, s[6:7]
	v_add_u32_e32 v22, v22, v23
	s_nop 1
	v_mov_b32_dpp v23, v22 row_bcast:31 row_mask:0xf bank_mask:0xf
	v_cndmask_b32_e64 v23, 0, v23, s[2:3]
	v_add_u32_e32 v22, v22, v23
	s_and_saveexec_b64 s[0:1], s[4:5]
	s_cbranch_execz .LBB666_127
; %bb.126:
	v_lshlrev_b32_e32 v23, 2, v65
	ds_write_b32 v23, v22
.LBB666_127:
	s_or_b64 exec, exec, s[0:1]
	v_cmp_gt_u32_e32 vcc, 8, v0
	s_waitcnt lgkmcnt(0)
	s_barrier
	s_and_saveexec_b64 s[0:1], vcc
	s_cbranch_execz .LBB666_129
; %bb.128:
	v_lshlrev_b32_e32 v23, 2, v0
	ds_read_b32 v30, v23
	v_and_b32_e32 v31, 7, v64
	v_cmp_ne_u32_e32 vcc, 0, v31
	s_waitcnt lgkmcnt(0)
	v_mov_b32_dpp v32, v30 row_shr:1 row_mask:0xf bank_mask:0xf
	v_cndmask_b32_e32 v32, 0, v32, vcc
	v_add_u32_e32 v30, v32, v30
	v_cmp_lt_u32_e32 vcc, 1, v31
	s_nop 0
	v_mov_b32_dpp v32, v30 row_shr:2 row_mask:0xf bank_mask:0xf
	v_cndmask_b32_e32 v32, 0, v32, vcc
	v_add_u32_e32 v30, v30, v32
	v_cmp_lt_u32_e32 vcc, 3, v31
	s_nop 0
	v_mov_b32_dpp v32, v30 row_shr:4 row_mask:0xf bank_mask:0xf
	v_cndmask_b32_e32 v31, 0, v32, vcc
	v_add_u32_e32 v30, v30, v31
	ds_write_b32 v23, v30
.LBB666_129:
	s_or_b64 exec, exec, s[0:1]
	v_cmp_gt_u32_e32 vcc, 64, v0
	v_cmp_lt_u32_e64 s[0:1], 63, v0
	s_waitcnt lgkmcnt(0)
	s_barrier
	s_waitcnt lgkmcnt(0)
                                        ; implicit-def: $vgpr67
	s_and_saveexec_b64 s[16:17], s[0:1]
	s_cbranch_execz .LBB666_131
; %bb.130:
	v_lshl_add_u32 v23, v65, 2, -4
	ds_read_b32 v67, v23
	s_waitcnt lgkmcnt(0)
	v_add_u32_e32 v22, v67, v22
.LBB666_131:
	s_or_b64 exec, exec, s[16:17]
	v_add_u32_e32 v23, -1, v64
	v_and_b32_e32 v30, 64, v64
	v_cmp_lt_i32_e64 s[0:1], v23, v30
	v_cmp_eq_u32_e64 s[16:17], 0, v64
	s_nop 0
	v_cndmask_b32_e64 v23, v23, v64, s[0:1]
	v_lshlrev_b32_e32 v23, 2, v23
	ds_bpermute_b32 v68, v23, v22
	s_and_saveexec_b64 s[0:1], vcc
	s_cbranch_execz .LBB666_150
; %bb.132:
	v_mov_b32_e32 v35, 0
	ds_read_b32 v22, v35 offset:28
	s_and_saveexec_b64 s[36:37], s[16:17]
	s_cbranch_execz .LBB666_134
; %bb.133:
	s_add_i32 s38, s40, 64
	s_mov_b32 s39, 0
	s_lshl_b64 s[38:39], s[38:39], 3
	s_add_u32 s38, s34, s38
	v_mov_b32_e32 v23, 1
	s_addc_u32 s39, s35, s39
	s_waitcnt lgkmcnt(0)
	global_store_dwordx2 v35, v[22:23], s[38:39] sc1
.LBB666_134:
	s_or_b64 exec, exec, s[36:37]
	v_xad_u32 v30, v64, -1, s40
	v_add_u32_e32 v34, 64, v30
	v_lshl_add_u64 v[36:37], v[34:35], 3, s[34:35]
	global_load_dwordx2 v[32:33], v[36:37], off sc1
	s_waitcnt vmcnt(0)
	v_cmp_eq_u16_sdwa s[38:39], v33, v35 src0_sel:BYTE_0 src1_sel:DWORD
	s_and_saveexec_b64 s[36:37], s[38:39]
	s_cbranch_execz .LBB666_138
; %bb.135:
	s_mov_b64 s[38:39], 0
	v_mov_b32_e32 v23, 0
.LBB666_136:                            ; =>This Inner Loop Header: Depth=1
	global_load_dwordx2 v[32:33], v[36:37], off sc1
	s_waitcnt vmcnt(0)
	v_cmp_ne_u16_sdwa s[42:43], v33, v23 src0_sel:BYTE_0 src1_sel:DWORD
	s_or_b64 s[38:39], s[42:43], s[38:39]
	s_andn2_b64 exec, exec, s[38:39]
	s_cbranch_execnz .LBB666_136
; %bb.137:
	s_or_b64 exec, exec, s[38:39]
.LBB666_138:
	s_or_b64 exec, exec, s[36:37]
	v_and_b32_e32 v70, 63, v64
	v_mov_b32_e32 v69, 2
	v_cmp_ne_u32_e32 vcc, 63, v70
	v_cmp_eq_u16_sdwa s[36:37], v33, v69 src0_sel:BYTE_0 src1_sel:DWORD
	v_lshlrev_b64 v[34:35], v64, -1
	v_addc_co_u32_e32 v36, vcc, 0, v64, vcc
	v_and_b32_e32 v23, s37, v35
	v_lshlrev_b32_e32 v71, 2, v36
	v_or_b32_e32 v23, 0x80000000, v23
	ds_bpermute_b32 v36, v71, v32
	v_and_b32_e32 v31, s36, v34
	v_ffbl_b32_e32 v23, v23
	v_add_u32_e32 v23, 32, v23
	v_ffbl_b32_e32 v31, v31
	v_min_u32_e32 v23, v31, v23
	v_cmp_lt_u32_e32 vcc, v70, v23
	v_add_u32_e32 v73, 2, v70
	v_add_u32_e32 v75, 4, v70
	s_waitcnt lgkmcnt(0)
	v_cndmask_b32_e32 v31, 0, v36, vcc
	v_cmp_gt_u32_e32 vcc, 62, v70
	v_add_u32_e32 v31, v31, v32
	v_add_u32_e32 v77, 8, v70
	v_cndmask_b32_e64 v32, 0, 1, vcc
	v_lshlrev_b32_e32 v32, 1, v32
	v_add_lshl_u32 v72, v32, v64, 2
	ds_bpermute_b32 v32, v72, v31
	v_cmp_le_u32_e32 vcc, v73, v23
	v_add_u32_e32 v79, 16, v70
	v_add_u32_e32 v81, 32, v70
	s_waitcnt lgkmcnt(0)
	v_cndmask_b32_e32 v32, 0, v32, vcc
	v_cmp_gt_u32_e32 vcc, 60, v70
	v_add_u32_e32 v31, v31, v32
	s_nop 0
	v_cndmask_b32_e64 v32, 0, 1, vcc
	v_lshlrev_b32_e32 v32, 2, v32
	v_add_lshl_u32 v74, v32, v64, 2
	ds_bpermute_b32 v32, v74, v31
	v_cmp_le_u32_e32 vcc, v75, v23
	s_waitcnt lgkmcnt(0)
	s_nop 0
	v_cndmask_b32_e32 v32, 0, v32, vcc
	v_cmp_gt_u32_e32 vcc, 56, v70
	v_add_u32_e32 v31, v31, v32
	s_nop 0
	v_cndmask_b32_e64 v32, 0, 1, vcc
	v_lshlrev_b32_e32 v32, 3, v32
	v_add_lshl_u32 v76, v32, v64, 2
	ds_bpermute_b32 v32, v76, v31
	v_cmp_le_u32_e32 vcc, v77, v23
	s_waitcnt lgkmcnt(0)
	s_nop 0
	;; [unrolled: 11-line block ×4, first 2 shown]
	v_cndmask_b32_e32 v23, 0, v32, vcc
	v_add_u32_e32 v32, v31, v23
	v_mov_b32_e32 v31, 0
	s_branch .LBB666_140
.LBB666_139:                            ;   in Loop: Header=BB666_140 Depth=1
	s_or_b64 exec, exec, s[36:37]
	v_cmp_eq_u16_sdwa s[36:37], v33, v69 src0_sel:BYTE_0 src1_sel:DWORD
	ds_bpermute_b32 v82, v71, v32
	v_subrev_u32_e32 v30, 64, v30
	v_and_b32_e32 v36, s37, v35
	v_or_b32_e32 v36, 0x80000000, v36
	v_and_b32_e32 v37, s36, v34
	v_ffbl_b32_e32 v36, v36
	v_add_u32_e32 v36, 32, v36
	v_ffbl_b32_e32 v37, v37
	v_min_u32_e32 v36, v37, v36
	v_cmp_lt_u32_e32 vcc, v70, v36
	s_waitcnt lgkmcnt(0)
	s_nop 0
	v_cndmask_b32_e32 v37, 0, v82, vcc
	v_add_u32_e32 v32, v37, v32
	ds_bpermute_b32 v37, v72, v32
	v_cmp_le_u32_e32 vcc, v73, v36
	s_waitcnt lgkmcnt(0)
	s_nop 0
	v_cndmask_b32_e32 v37, 0, v37, vcc
	v_add_u32_e32 v32, v32, v37
	ds_bpermute_b32 v37, v74, v32
	v_cmp_le_u32_e32 vcc, v75, v36
	;; [unrolled: 6-line block ×5, first 2 shown]
	s_waitcnt lgkmcnt(0)
	s_nop 0
	v_cndmask_b32_e32 v36, 0, v37, vcc
	v_add3_u32 v32, v36, v23, v32
.LBB666_140:                            ; =>This Loop Header: Depth=1
                                        ;     Child Loop BB666_143 Depth 2
	v_cmp_ne_u16_sdwa s[36:37], v33, v69 src0_sel:BYTE_0 src1_sel:DWORD
	s_nop 1
	v_cndmask_b32_e64 v23, 0, 1, s[36:37]
	;;#ASMSTART
	;;#ASMEND
	s_nop 0
	v_cmp_ne_u32_e32 vcc, 0, v23
	s_cmp_lg_u64 vcc, exec
	v_mov_b32_e32 v23, v32
	s_cbranch_scc1 .LBB666_145
; %bb.141:                              ;   in Loop: Header=BB666_140 Depth=1
	v_lshl_add_u64 v[36:37], v[30:31], 3, s[34:35]
	global_load_dwordx2 v[32:33], v[36:37], off sc1
	s_waitcnt vmcnt(0)
	v_cmp_eq_u16_sdwa s[38:39], v33, v31 src0_sel:BYTE_0 src1_sel:DWORD
	s_and_saveexec_b64 s[36:37], s[38:39]
	s_cbranch_execz .LBB666_139
; %bb.142:                              ;   in Loop: Header=BB666_140 Depth=1
	s_mov_b64 s[38:39], 0
.LBB666_143:                            ;   Parent Loop BB666_140 Depth=1
                                        ; =>  This Inner Loop Header: Depth=2
	global_load_dwordx2 v[32:33], v[36:37], off sc1
	s_waitcnt vmcnt(0)
	v_cmp_ne_u16_sdwa s[42:43], v33, v31 src0_sel:BYTE_0 src1_sel:DWORD
	s_or_b64 s[38:39], s[42:43], s[38:39]
	s_andn2_b64 exec, exec, s[38:39]
	s_cbranch_execnz .LBB666_143
; %bb.144:                              ;   in Loop: Header=BB666_140 Depth=1
	s_or_b64 exec, exec, s[38:39]
	s_branch .LBB666_139
.LBB666_145:                            ;   in Loop: Header=BB666_140 Depth=1
                                        ; implicit-def: $vgpr32
                                        ; implicit-def: $vgpr33
	s_cbranch_execz .LBB666_140
; %bb.146:
	s_and_saveexec_b64 s[36:37], s[16:17]
	s_cbranch_execz .LBB666_148
; %bb.147:
	s_add_i32 s38, s40, 64
	s_mov_b32 s39, 0
	s_lshl_b64 s[38:39], s[38:39], 3
	s_add_u32 s38, s34, s38
	v_add_u32_e32 v30, v23, v22
	v_mov_b32_e32 v31, 2
	s_addc_u32 s39, s35, s39
	v_mov_b32_e32 v32, 0
	global_store_dwordx2 v32, v[30:31], s[38:39] sc1
	ds_write_b64 v32, v[22:23] offset:28672
.LBB666_148:
	s_or_b64 exec, exec, s[36:37]
	s_and_b64 exec, exec, s[18:19]
	s_cbranch_execz .LBB666_150
; %bb.149:
	v_mov_b32_e32 v22, 0
	ds_write_b32 v22, v23 offset:28
.LBB666_150:
	s_or_b64 exec, exec, s[0:1]
	v_mov_b32_e32 v22, 0
	s_waitcnt lgkmcnt(0)
	s_barrier
	ds_read_b32 v30, v22 offset:28
	s_waitcnt lgkmcnt(0)
	s_barrier
	ds_read_b64 v[22:23], v22 offset:28672
	v_cndmask_b32_e64 v31, v68, v67, s[16:17]
	v_cndmask_b32_e64 v31, v31, 0, s[18:19]
	v_add_u32_e32 v36, v30, v31
	s_waitcnt lgkmcnt(0)
	v_mov_b32_e32 v30, v23
	s_branch .LBB666_161
.LBB666_151:
                                        ; implicit-def: $vgpr30
                                        ; implicit-def: $vgpr22
                                        ; implicit-def: $vgpr36
	s_cbranch_execz .LBB666_161
; %bb.152:
	s_nop 0
	v_mov_b32_dpp v22, v66 row_shr:1 row_mask:0xf bank_mask:0xf
	v_cndmask_b32_e64 v22, v22, 0, s[14:15]
	v_add_u32_e32 v22, v22, v66
	s_nop 1
	v_mov_b32_dpp v23, v22 row_shr:2 row_mask:0xf bank_mask:0xf
	v_cndmask_b32_e64 v23, 0, v23, s[12:13]
	v_add_u32_e32 v22, v22, v23
	;; [unrolled: 4-line block ×4, first 2 shown]
	s_nop 1
	v_mov_b32_dpp v23, v22 row_bcast:15 row_mask:0xf bank_mask:0xf
	v_cndmask_b32_e64 v23, v23, 0, s[6:7]
	v_add_u32_e32 v22, v22, v23
	s_nop 1
	v_mov_b32_dpp v23, v22 row_bcast:31 row_mask:0xf bank_mask:0xf
	v_cndmask_b32_e64 v23, 0, v23, s[2:3]
	v_add_u32_e32 v22, v22, v23
	s_and_saveexec_b64 s[0:1], s[4:5]
	s_cbranch_execz .LBB666_154
; %bb.153:
	v_lshlrev_b32_e32 v23, 2, v65
	ds_write_b32 v23, v22
.LBB666_154:
	s_or_b64 exec, exec, s[0:1]
	v_cmp_gt_u32_e32 vcc, 8, v0
	s_waitcnt lgkmcnt(0)
	s_barrier
	s_and_saveexec_b64 s[0:1], vcc
	s_cbranch_execz .LBB666_156
; %bb.155:
	v_lshlrev_b32_e32 v23, 2, v0
	ds_read_b32 v30, v23
	v_and_b32_e32 v31, 7, v64
	v_cmp_ne_u32_e32 vcc, 0, v31
	s_waitcnt lgkmcnt(0)
	v_mov_b32_dpp v32, v30 row_shr:1 row_mask:0xf bank_mask:0xf
	v_cndmask_b32_e32 v32, 0, v32, vcc
	v_add_u32_e32 v30, v32, v30
	v_cmp_lt_u32_e32 vcc, 1, v31
	s_nop 0
	v_mov_b32_dpp v32, v30 row_shr:2 row_mask:0xf bank_mask:0xf
	v_cndmask_b32_e32 v32, 0, v32, vcc
	v_add_u32_e32 v30, v30, v32
	v_cmp_lt_u32_e32 vcc, 3, v31
	s_nop 0
	v_mov_b32_dpp v32, v30 row_shr:4 row_mask:0xf bank_mask:0xf
	v_cndmask_b32_e32 v31, 0, v32, vcc
	v_add_u32_e32 v30, v30, v31
	ds_write_b32 v23, v30
.LBB666_156:
	s_or_b64 exec, exec, s[0:1]
	v_cmp_lt_u32_e32 vcc, 63, v0
	v_mov_b32_e32 v23, 0
	v_mov_b32_e32 v30, 0
	s_waitcnt lgkmcnt(0)
	s_barrier
	s_and_saveexec_b64 s[0:1], vcc
	s_cbranch_execz .LBB666_158
; %bb.157:
	v_lshl_add_u32 v30, v65, 2, -4
	ds_read_b32 v30, v30
.LBB666_158:
	s_or_b64 exec, exec, s[0:1]
	v_add_u32_e32 v31, -1, v64
	v_and_b32_e32 v32, 64, v64
	v_cmp_lt_i32_e32 vcc, v31, v32
	s_waitcnt lgkmcnt(0)
	v_add_u32_e32 v22, v30, v22
	v_cndmask_b32_e32 v31, v31, v64, vcc
	v_lshlrev_b32_e32 v31, 2, v31
	ds_bpermute_b32 v31, v31, v22
	ds_read_b32 v22, v23 offset:28
	s_and_saveexec_b64 s[0:1], s[18:19]
	s_cbranch_execz .LBB666_160
; %bb.159:
	v_mov_b32_e32 v32, 0
	v_mov_b32_e32 v23, 2
	s_waitcnt lgkmcnt(0)
	global_store_dwordx2 v32, v[22:23], s[34:35] offset:512 sc1
.LBB666_160:
	s_or_b64 exec, exec, s[0:1]
	v_cmp_eq_u32_e32 vcc, 0, v64
	s_waitcnt lgkmcnt(0)
	s_barrier
	v_cndmask_b32_e32 v23, v31, v30, vcc
	v_mov_b32_e32 v30, 0
	v_cndmask_b32_e64 v36, v23, 0, s[18:19]
.LBB666_161:
	v_add_u32_sdwa v64, v36, v28 dst_sel:DWORD dst_unused:UNUSED_PAD src0_sel:DWORD src1_sel:BYTE_0
	v_add_u32_e32 v1, v22, v1
	v_sub_u32_e32 v36, v36, v30
	v_and_b32_e32 v73, 1, v28
	v_sub_u32_e32 v72, v1, v36
	v_cmp_eq_u32_e32 vcc, 1, v73
	v_lshrrev_b32_e32 v37, 8, v28
	v_add_u32_sdwa v65, v64, v28 dst_sel:DWORD dst_unused:UNUSED_PAD src0_sel:DWORD src1_sel:BYTE_1
	v_cndmask_b32_e32 v36, v72, v36, vcc
	v_lshlrev_b32_e32 v36, 1, v36
	ds_write_b16 v36, v10
	v_sub_u32_e32 v36, v64, v30
	v_sub_u32_e32 v64, v1, v36
	v_and_b32_e32 v37, 1, v37
	v_add_u32_e32 v64, 1, v64
	v_cmp_eq_u32_e32 vcc, 1, v37
	v_mov_b32_e32 v37, 1
	v_and_b32_sdwa v28, v37, v28 dst_sel:DWORD dst_unused:UNUSED_PAD src0_sel:DWORD src1_sel:WORD_1
	v_cndmask_b32_e32 v36, v64, v36, vcc
	v_lshlrev_b32_e32 v36, 1, v36
	ds_write_b16_d16_hi v36, v10
	v_sub_u32_e32 v10, v65, v30
	v_sub_u32_e32 v36, v1, v10
	v_add_u32_e32 v36, 2, v36
	v_cmp_eq_u32_e32 vcc, 1, v28
	v_add_u32_e32 v63, v65, v63
	v_add_u32_e32 v66, v63, v45
	v_cndmask_b32_e32 v10, v36, v10, vcc
	v_lshlrev_b32_e32 v10, 1, v10
	ds_write_b16 v10, v11
	v_sub_u32_e32 v10, v63, v30
	v_sub_u32_e32 v28, v1, v10
	v_and_b32_e32 v36, 1, v45
	v_add_u32_e32 v28, 3, v28
	v_cmp_eq_u32_e32 vcc, 1, v36
	v_add_u32_e32 v60, v66, v60
	v_lshrrev_b32_e32 v35, 8, v29
	v_cndmask_b32_e32 v10, v28, v10, vcc
	v_lshlrev_b32_e32 v10, 1, v10
	ds_write_b16_d16_hi v10, v11
	v_sub_u32_e32 v10, v66, v30
	v_sub_u32_e32 v11, v1, v10
	v_and_b32_e32 v28, 1, v29
	v_add_u32_e32 v11, 4, v11
	v_cmp_eq_u32_e32 vcc, 1, v28
	v_and_b32_e32 v28, 1, v35
	v_add_u32_e32 v61, v60, v61
	v_cndmask_b32_e32 v10, v11, v10, vcc
	v_lshlrev_b32_e32 v10, 1, v10
	ds_write_b16 v10, v12
	v_sub_u32_e32 v10, v60, v30
	v_sub_u32_e32 v11, v1, v10
	v_add_u32_e32 v11, 5, v11
	v_cmp_eq_u32_e32 vcc, 1, v28
	v_add_u32_e32 v62, v61, v62
	v_add_u32_e32 v67, v62, v44
	v_cndmask_b32_e32 v10, v11, v10, vcc
	v_lshlrev_b32_e32 v10, 1, v10
	ds_write_b16_d16_hi v10, v12
	v_sub_u32_e32 v10, v61, v30
	v_sub_u32_e32 v11, v1, v10
	v_and_b32_sdwa v12, v37, v29 dst_sel:DWORD dst_unused:UNUSED_PAD src0_sel:DWORD src1_sel:WORD_1
	v_add_u32_e32 v11, 6, v11
	v_cmp_eq_u32_e32 vcc, 1, v12
	v_and_b32_e32 v12, 1, v44
	v_add_u32_e32 v57, v67, v57
	v_cndmask_b32_e32 v10, v11, v10, vcc
	v_lshlrev_b32_e32 v10, 1, v10
	ds_write_b16 v10, v13
	v_sub_u32_e32 v10, v62, v30
	v_sub_u32_e32 v11, v1, v10
	v_add_u32_e32 v11, 7, v11
	v_cmp_eq_u32_e32 vcc, 1, v12
	v_and_b32_e32 v12, 1, v26
	v_lshrrev_b32_e32 v34, 8, v26
	v_cndmask_b32_e32 v10, v11, v10, vcc
	v_lshlrev_b32_e32 v10, 1, v10
	ds_write_b16_d16_hi v10, v13
	v_sub_u32_e32 v10, v67, v30
	v_sub_u32_e32 v11, v1, v10
	v_add_u32_e32 v11, 8, v11
	v_cmp_eq_u32_e32 vcc, 1, v12
	v_and_b32_e32 v12, 1, v34
	v_add_u32_e32 v58, v57, v58
	v_cndmask_b32_e32 v10, v11, v10, vcc
	v_lshlrev_b32_e32 v10, 1, v10
	ds_write_b16 v10, v6
	v_sub_u32_e32 v10, v57, v30
	v_sub_u32_e32 v11, v1, v10
	v_add_u32_e32 v11, 9, v11
	v_cmp_eq_u32_e32 vcc, 1, v12
	v_add_u32_e32 v59, v58, v59
	v_add_u32_e32 v68, v59, v43
	v_cndmask_b32_e32 v10, v11, v10, vcc
	v_lshlrev_b32_e32 v10, 1, v10
	ds_write_b16_d16_hi v10, v6
	v_sub_u32_e32 v6, v58, v30
	v_sub_u32_e32 v10, v1, v6
	v_and_b32_sdwa v11, v37, v26 dst_sel:DWORD dst_unused:UNUSED_PAD src0_sel:DWORD src1_sel:WORD_1
	v_add_u32_e32 v10, 10, v10
	v_cmp_eq_u32_e32 vcc, 1, v11
	v_and_b32_e32 v11, 1, v43
	v_add_u32_e32 v54, v68, v54
	v_cndmask_b32_e32 v6, v10, v6, vcc
	v_lshlrev_b32_e32 v6, 1, v6
	ds_write_b16 v6, v7
	v_sub_u32_e32 v6, v59, v30
	v_sub_u32_e32 v10, v1, v6
	v_add_u32_e32 v10, 11, v10
	v_cmp_eq_u32_e32 vcc, 1, v11
	v_lshrrev_b32_e32 v33, 8, v27
	v_add_u32_e32 v55, v54, v55
	v_cndmask_b32_e32 v6, v10, v6, vcc
	v_lshlrev_b32_e32 v6, 1, v6
	ds_write_b16_d16_hi v6, v7
	v_sub_u32_e32 v6, v68, v30
	v_sub_u32_e32 v7, v1, v6
	v_and_b32_e32 v10, 1, v27
	v_add_u32_e32 v7, 12, v7
	v_cmp_eq_u32_e32 vcc, 1, v10
	v_and_b32_e32 v10, 1, v33
	v_add_u32_e32 v56, v55, v56
	v_cndmask_b32_e32 v6, v7, v6, vcc
	v_lshlrev_b32_e32 v6, 1, v6
	ds_write_b16 v6, v8
	v_sub_u32_e32 v6, v54, v30
	v_sub_u32_e32 v7, v1, v6
	v_add_u32_e32 v7, 13, v7
	v_cmp_eq_u32_e32 vcc, 1, v10
	v_add_u32_e32 v69, v56, v42
	v_add_u32_e32 v51, v69, v51
	v_cndmask_b32_e32 v6, v7, v6, vcc
	v_lshlrev_b32_e32 v6, 1, v6
	ds_write_b16_d16_hi v6, v8
	v_sub_u32_e32 v6, v55, v30
	v_sub_u32_e32 v7, v1, v6
	v_and_b32_sdwa v8, v37, v27 dst_sel:DWORD dst_unused:UNUSED_PAD src0_sel:DWORD src1_sel:WORD_1
	v_add_u32_e32 v7, 14, v7
	v_cmp_eq_u32_e32 vcc, 1, v8
	v_and_b32_e32 v8, 1, v42
	v_lshrrev_b32_e32 v32, 8, v24
	v_cndmask_b32_e32 v6, v7, v6, vcc
	v_lshlrev_b32_e32 v6, 1, v6
	ds_write_b16 v6, v9
	v_sub_u32_e32 v6, v56, v30
	v_sub_u32_e32 v7, v1, v6
	v_add_u32_e32 v7, 15, v7
	v_cmp_eq_u32_e32 vcc, 1, v8
	v_and_b32_e32 v8, 1, v24
	v_add_u32_e32 v52, v51, v52
	v_cndmask_b32_e32 v6, v7, v6, vcc
	v_lshlrev_b32_e32 v6, 1, v6
	ds_write_b16_d16_hi v6, v9
	v_sub_u32_e32 v6, v69, v30
	v_sub_u32_e32 v7, v1, v6
	v_add_u32_e32 v7, 16, v7
	v_cmp_eq_u32_e32 vcc, 1, v8
	v_and_b32_e32 v8, 1, v32
	v_add_u32_e32 v53, v52, v53
	v_cndmask_b32_e32 v6, v7, v6, vcc
	v_lshlrev_b32_e32 v6, 1, v6
	ds_write_b16 v6, v2
	v_sub_u32_e32 v6, v51, v30
	v_sub_u32_e32 v7, v1, v6
	v_add_u32_e32 v7, 17, v7
	v_cmp_eq_u32_e32 vcc, 1, v8
	v_add_u32_e32 v70, v53, v41
	v_add_u32_e32 v48, v70, v48
	v_cndmask_b32_e32 v6, v7, v6, vcc
	v_lshlrev_b32_e32 v6, 1, v6
	ds_write_b16_d16_hi v6, v2
	v_sub_u32_e32 v2, v52, v30
	v_sub_u32_e32 v6, v1, v2
	v_and_b32_sdwa v7, v37, v24 dst_sel:DWORD dst_unused:UNUSED_PAD src0_sel:DWORD src1_sel:WORD_1
	v_add_u32_e32 v6, 18, v6
	v_cmp_eq_u32_e32 vcc, 1, v7
	v_and_b32_e32 v7, 1, v41
	v_lshrrev_b32_e32 v31, 8, v25
	v_cndmask_b32_e32 v2, v6, v2, vcc
	v_lshlrev_b32_e32 v2, 1, v2
	ds_write_b16 v2, v3
	v_sub_u32_e32 v2, v53, v30
	v_sub_u32_e32 v6, v1, v2
	v_add_u32_e32 v6, 19, v6
	v_cmp_eq_u32_e32 vcc, 1, v7
	v_add_u32_e32 v49, v48, v49
	v_add_u32_e32 v50, v49, v50
	v_cndmask_b32_e32 v2, v6, v2, vcc
	v_lshlrev_b32_e32 v2, 1, v2
	ds_write_b16_d16_hi v2, v3
	v_sub_u32_e32 v2, v70, v30
	v_sub_u32_e32 v3, v1, v2
	v_and_b32_e32 v6, 1, v25
	v_add_u32_e32 v3, 20, v3
	v_cmp_eq_u32_e32 vcc, 1, v6
	v_and_b32_e32 v6, 1, v31
	v_add_u32_e32 v71, v50, v40
	v_cndmask_b32_e32 v2, v3, v2, vcc
	v_lshlrev_b32_e32 v2, 1, v2
	ds_write_b16 v2, v4
	v_sub_u32_e32 v2, v48, v30
	v_sub_u32_e32 v3, v1, v2
	v_add_u32_e32 v3, 21, v3
	v_cmp_eq_u32_e32 vcc, 1, v6
	v_add_u32_e32 v46, v71, v46
	v_lshrrev_b32_e32 v23, 8, v38
	v_cndmask_b32_e32 v2, v3, v2, vcc
	v_lshlrev_b32_e32 v2, 1, v2
	ds_write_b16_d16_hi v2, v4
	v_sub_u32_e32 v2, v49, v30
	v_sub_u32_e32 v3, v1, v2
	v_and_b32_sdwa v4, v37, v25 dst_sel:DWORD dst_unused:UNUSED_PAD src0_sel:DWORD src1_sel:WORD_1
	v_add_u32_e32 v3, 22, v3
	v_cmp_eq_u32_e32 vcc, 1, v4
	v_and_b32_e32 v4, 1, v40
	v_add_u32_e32 v47, v46, v47
	v_cndmask_b32_e32 v2, v3, v2, vcc
	v_lshlrev_b32_e32 v2, 1, v2
	ds_write_b16 v2, v5
	v_sub_u32_e32 v2, v50, v30
	v_sub_u32_e32 v3, v1, v2
	v_add_u32_e32 v3, 23, v3
	v_cmp_eq_u32_e32 vcc, 1, v4
	v_and_b32_e32 v4, 1, v38
	v_mov_b32_e32 v31, 0
	v_cndmask_b32_e32 v2, v3, v2, vcc
	v_lshlrev_b32_e32 v2, 1, v2
	ds_write_b16_d16_hi v2, v5
	v_sub_u32_e32 v2, v71, v30
	v_sub_u32_e32 v3, v1, v2
	v_add_u32_e32 v3, 24, v3
	v_cmp_eq_u32_e32 vcc, 1, v4
	v_and_b32_e32 v4, 1, v23
	s_waitcnt vmcnt(0)
	v_lshl_add_u64 v[6:7], v[16:17], 0, v[30:31]
	v_cndmask_b32_e32 v2, v3, v2, vcc
	v_lshlrev_b32_e32 v2, 1, v2
	ds_write_b16 v2, v20
	v_sub_u32_e32 v2, v46, v30
	v_sub_u32_e32 v3, v1, v2
	v_add_u32_e32 v3, 25, v3
	v_cmp_eq_u32_e32 vcc, 1, v4
	v_and_b32_sdwa v4, v37, v38 dst_sel:DWORD dst_unused:UNUSED_PAD src0_sel:DWORD src1_sel:WORD_1
	v_mov_b32_e32 v23, v31
	v_cndmask_b32_e32 v2, v3, v2, vcc
	v_lshlrev_b32_e32 v2, 1, v2
	ds_write_b16_d16_hi v2, v20
	v_sub_u32_e32 v2, v47, v30
	v_sub_u32_e32 v3, v1, v2
	v_add_u32_e32 v3, 26, v3
	v_cmp_eq_u32_e32 vcc, 1, v4
	v_mov_b32_e32 v5, s31
	v_or_b32_e32 v69, 0x200, v0
	v_cndmask_b32_e32 v2, v3, v2, vcc
	v_lshlrev_b32_e32 v2, 1, v2
	ds_write_b16 v2, v21
	v_sub_u32_e32 v2, v39, v30
	v_add_u32_e32 v2, v47, v2
	v_sub_u32_e32 v1, v1, v2
	v_and_b32_e32 v3, 1, v15
	v_add_u32_e32 v1, 27, v1
	v_cmp_eq_u32_e32 vcc, 1, v3
	v_or_b32_e32 v67, 0x400, v0
	v_or_b32_e32 v65, 0x600, v0
	v_cndmask_b32_e32 v1, v1, v2, vcc
	v_lshlrev_b32_e32 v1, 1, v1
	ds_write_b16_d16_hi v1, v21
	s_waitcnt lgkmcnt(0)
	s_barrier
	ds_read_u16 v71, v14
	ds_read_u16 v70, v14 offset:1024
	ds_read_u16 v68, v14 offset:2048
	ds_read_u16 v66, v14 offset:3072
	ds_read_u16 v64, v14 offset:4096
	ds_read_u16 v62, v14 offset:5120
	ds_read_u16 v60, v14 offset:6144
	ds_read_u16 v58, v14 offset:7168
	ds_read_u16 v56, v14 offset:8192
	ds_read_u16 v54, v14 offset:9216
	ds_read_u16 v52, v14 offset:10240
	ds_read_u16 v50, v14 offset:11264
	ds_read_u16 v48, v14 offset:12288
	ds_read_u16 v46, v14 offset:13312
	ds_read_u16 v44, v14 offset:14336
	ds_read_u16 v42, v14 offset:15360
	ds_read_u16 v40, v14 offset:16384
	ds_read_u16 v38, v14 offset:17408
	ds_read_u16 v36, v14 offset:18432
	ds_read_u16 v34, v14 offset:19456
	ds_read_u16 v32, v14 offset:20480
	ds_read_u16 v28, v14 offset:21504
	ds_read_u16 v26, v14 offset:22528
	ds_read_u16 v24, v14 offset:23552
	ds_read_u16 v20, v14 offset:24576
	ds_read_u16 v12, v14 offset:25600
	ds_read_u16 v9, v14 offset:26624
	ds_read_u16 v1, v14 offset:27648
	v_lshl_add_u64 v[2:3], v[6:7], 0, v[22:23]
	v_sub_co_u32_e32 v4, vcc, s30, v2
	v_lshlrev_b64 v[6:7], 1, v[6:7]
	s_nop 0
	v_subb_co_u32_e32 v5, vcc, v5, v3, vcc
	v_lshlrev_b64 v[4:5], 1, v[4:5]
	v_lshl_add_u64 v[4:5], s[26:27], 0, v[4:5]
	v_or_b32_e32 v63, 0x800, v0
	v_or_b32_e32 v61, 0xa00, v0
	;; [unrolled: 1-line block ×24, first 2 shown]
	v_lshl_add_u64 v[4:5], v[4:5], 0, v[18:19]
	s_andn2_b64 vcc, exec, s[28:29]
	v_lshl_add_u64 v[6:7], s[24:25], 0, v[6:7]
	s_cbranch_vccnz .LBB666_163
; %bb.162:
	v_cmp_lt_u32_e32 vcc, v0, v22
	v_mov_b32_e32 v15, v31
	v_lshlrev_b32_e32 v30, 1, v63
	v_cndmask_b32_e32 v17, v5, v7, vcc
	v_cndmask_b32_e32 v16, v4, v6, vcc
	v_lshl_add_u64 v[16:17], v[16:17], 0, v[14:15]
	v_cmp_lt_u32_e32 vcc, v69, v22
	s_waitcnt lgkmcnt(14)
	global_store_short v[16:17], v71, off
	v_cndmask_b32_e32 v17, v5, v7, vcc
	v_cndmask_b32_e32 v16, v4, v6, vcc
	v_lshl_add_u64 v[16:17], v[16:17], 0, v[14:15]
	v_cmp_lt_u32_e32 vcc, v67, v22
	global_store_short v[16:17], v70, off offset:1024
	s_mov_b64 s[0:1], -1
	v_cndmask_b32_e32 v17, v5, v7, vcc
	v_cndmask_b32_e32 v16, v4, v6, vcc
	v_lshl_add_u64 v[16:17], v[16:17], 0, v[14:15]
	v_cmp_lt_u32_e32 vcc, v65, v22
	global_store_short v[16:17], v68, off offset:2048
	s_nop 0
	v_cndmask_b32_e32 v17, v5, v7, vcc
	v_cndmask_b32_e32 v16, v4, v6, vcc
	v_lshl_add_u64 v[16:17], v[16:17], 0, v[14:15]
	v_cmp_lt_u32_e32 vcc, v63, v22
	global_store_short v[16:17], v66, off offset:3072
	s_nop 0
	v_cndmask_b32_e32 v17, v5, v7, vcc
	v_cndmask_b32_e32 v16, v4, v6, vcc
	v_lshl_add_u64 v[16:17], v[16:17], 0, v[30:31]
	v_cmp_lt_u32_e32 vcc, v61, v22
	global_store_short v[16:17], v64, off
	v_lshlrev_b32_e32 v30, 1, v61
	v_cndmask_b32_e32 v17, v5, v7, vcc
	v_cndmask_b32_e32 v16, v4, v6, vcc
	v_lshl_add_u64 v[16:17], v[16:17], 0, v[30:31]
	v_cmp_lt_u32_e32 vcc, v59, v22
	global_store_short v[16:17], v62, off
	v_lshlrev_b32_e32 v30, 1, v59
	;; [unrolled: 6-line block ×10, first 2 shown]
	v_cndmask_b32_e32 v17, v5, v7, vcc
	v_cndmask_b32_e32 v16, v4, v6, vcc
	v_lshl_add_u64 v[16:17], v[16:17], 0, v[30:31]
	v_cmp_lt_u32_e32 vcc, v41, v22
	s_waitcnt lgkmcnt(13)
	global_store_short v[16:17], v44, off
	v_lshlrev_b32_e32 v30, 1, v41
	v_cndmask_b32_e32 v17, v5, v7, vcc
	v_cndmask_b32_e32 v16, v4, v6, vcc
	v_lshl_add_u64 v[16:17], v[16:17], 0, v[30:31]
	v_cmp_lt_u32_e32 vcc, v39, v22
	s_waitcnt lgkmcnt(12)
	global_store_short v[16:17], v42, off
	v_lshlrev_b32_e32 v30, 1, v39
	;; [unrolled: 7-line block ×12, first 2 shown]
	v_cndmask_b32_e32 v17, v5, v7, vcc
	v_cndmask_b32_e32 v16, v4, v6, vcc
	v_lshl_add_u64 v[16:17], v[16:17], 0, v[30:31]
	s_waitcnt lgkmcnt(1)
	global_store_short v[16:17], v9, off
	s_cbranch_execz .LBB666_164
	s_branch .LBB666_193
.LBB666_163:
	s_mov_b64 s[0:1], 0
.LBB666_164:
	v_cmp_gt_u32_e32 vcc, s33, v0
	s_and_saveexec_b64 s[0:1], vcc
	s_cbranch_execnz .LBB666_198
; %bb.165:
	s_or_b64 exec, exec, s[0:1]
	v_cmp_gt_u32_e32 vcc, s33, v69
	s_and_saveexec_b64 s[0:1], vcc
	s_cbranch_execnz .LBB666_199
.LBB666_166:
	s_or_b64 exec, exec, s[0:1]
	v_cmp_gt_u32_e32 vcc, s33, v67
	s_and_saveexec_b64 s[0:1], vcc
	s_cbranch_execnz .LBB666_200
.LBB666_167:
	s_or_b64 exec, exec, s[0:1]
	v_cmp_gt_u32_e32 vcc, s33, v65
	s_and_saveexec_b64 s[0:1], vcc
	s_cbranch_execnz .LBB666_201
.LBB666_168:
	s_or_b64 exec, exec, s[0:1]
	v_cmp_gt_u32_e32 vcc, s33, v63
	s_and_saveexec_b64 s[0:1], vcc
	s_cbranch_execnz .LBB666_202
.LBB666_169:
	s_or_b64 exec, exec, s[0:1]
	v_cmp_gt_u32_e32 vcc, s33, v61
	s_and_saveexec_b64 s[0:1], vcc
	s_cbranch_execnz .LBB666_203
.LBB666_170:
	s_or_b64 exec, exec, s[0:1]
	v_cmp_gt_u32_e32 vcc, s33, v59
	s_and_saveexec_b64 s[0:1], vcc
	s_cbranch_execnz .LBB666_204
.LBB666_171:
	s_or_b64 exec, exec, s[0:1]
	v_cmp_gt_u32_e32 vcc, s33, v57
	s_and_saveexec_b64 s[0:1], vcc
	s_cbranch_execnz .LBB666_205
.LBB666_172:
	s_or_b64 exec, exec, s[0:1]
	v_cmp_gt_u32_e32 vcc, s33, v55
	s_and_saveexec_b64 s[0:1], vcc
	s_cbranch_execnz .LBB666_206
.LBB666_173:
	s_or_b64 exec, exec, s[0:1]
	v_cmp_gt_u32_e32 vcc, s33, v53
	s_and_saveexec_b64 s[0:1], vcc
	s_cbranch_execnz .LBB666_207
.LBB666_174:
	s_or_b64 exec, exec, s[0:1]
	v_cmp_gt_u32_e32 vcc, s33, v51
	s_and_saveexec_b64 s[0:1], vcc
	s_cbranch_execnz .LBB666_208
.LBB666_175:
	s_or_b64 exec, exec, s[0:1]
	v_cmp_gt_u32_e32 vcc, s33, v49
	s_and_saveexec_b64 s[0:1], vcc
	s_cbranch_execnz .LBB666_209
.LBB666_176:
	s_or_b64 exec, exec, s[0:1]
	v_cmp_gt_u32_e32 vcc, s33, v47
	s_and_saveexec_b64 s[0:1], vcc
	s_cbranch_execnz .LBB666_210
.LBB666_177:
	s_or_b64 exec, exec, s[0:1]
	v_cmp_gt_u32_e32 vcc, s33, v45
	s_and_saveexec_b64 s[0:1], vcc
	s_cbranch_execnz .LBB666_211
.LBB666_178:
	s_or_b64 exec, exec, s[0:1]
	v_cmp_gt_u32_e32 vcc, s33, v43
	s_and_saveexec_b64 s[0:1], vcc
	s_cbranch_execnz .LBB666_212
.LBB666_179:
	s_or_b64 exec, exec, s[0:1]
	v_cmp_gt_u32_e32 vcc, s33, v41
	s_and_saveexec_b64 s[0:1], vcc
	s_cbranch_execnz .LBB666_213
.LBB666_180:
	s_or_b64 exec, exec, s[0:1]
	v_cmp_gt_u32_e32 vcc, s33, v39
	s_and_saveexec_b64 s[0:1], vcc
	s_cbranch_execnz .LBB666_214
.LBB666_181:
	s_or_b64 exec, exec, s[0:1]
	v_cmp_gt_u32_e32 vcc, s33, v37
	s_and_saveexec_b64 s[0:1], vcc
	s_cbranch_execnz .LBB666_215
.LBB666_182:
	s_or_b64 exec, exec, s[0:1]
	v_cmp_gt_u32_e32 vcc, s33, v35
	s_and_saveexec_b64 s[0:1], vcc
	s_cbranch_execnz .LBB666_216
.LBB666_183:
	s_or_b64 exec, exec, s[0:1]
	v_cmp_gt_u32_e32 vcc, s33, v33
	s_and_saveexec_b64 s[0:1], vcc
	s_cbranch_execnz .LBB666_217
.LBB666_184:
	s_or_b64 exec, exec, s[0:1]
	v_cmp_gt_u32_e32 vcc, s33, v29
	s_and_saveexec_b64 s[0:1], vcc
	s_cbranch_execnz .LBB666_218
.LBB666_185:
	s_or_b64 exec, exec, s[0:1]
	v_cmp_gt_u32_e32 vcc, s33, v27
	s_and_saveexec_b64 s[0:1], vcc
	s_cbranch_execnz .LBB666_219
.LBB666_186:
	s_or_b64 exec, exec, s[0:1]
	v_cmp_gt_u32_e32 vcc, s33, v25
	s_and_saveexec_b64 s[0:1], vcc
	s_cbranch_execnz .LBB666_220
.LBB666_187:
	s_or_b64 exec, exec, s[0:1]
	v_cmp_gt_u32_e32 vcc, s33, v21
	s_and_saveexec_b64 s[0:1], vcc
	s_cbranch_execnz .LBB666_221
.LBB666_188:
	s_or_b64 exec, exec, s[0:1]
	v_cmp_gt_u32_e32 vcc, s33, v13
	s_and_saveexec_b64 s[0:1], vcc
	s_cbranch_execnz .LBB666_222
.LBB666_189:
	s_or_b64 exec, exec, s[0:1]
	v_cmp_gt_u32_e32 vcc, s33, v11
	s_and_saveexec_b64 s[0:1], vcc
	s_cbranch_execnz .LBB666_223
.LBB666_190:
	s_or_b64 exec, exec, s[0:1]
	v_cmp_gt_u32_e32 vcc, s33, v10
	s_and_saveexec_b64 s[0:1], vcc
	s_cbranch_execz .LBB666_192
.LBB666_191:
	v_cmp_lt_u32_e32 vcc, v10, v22
	v_lshlrev_b32_e32 v10, 1, v10
	v_mov_b32_e32 v11, 0
	v_cndmask_b32_e32 v13, v5, v7, vcc
	s_waitcnt lgkmcnt(2)
	v_cndmask_b32_e32 v12, v4, v6, vcc
	v_lshl_add_u64 v[10:11], v[12:13], 0, v[10:11]
	s_waitcnt lgkmcnt(1)
	global_store_short v[10:11], v9, off
.LBB666_192:
	s_or_b64 exec, exec, s[0:1]
	v_cmp_gt_u32_e64 s[0:1], s33, v8
.LBB666_193:
	s_and_saveexec_b64 s[2:3], s[0:1]
	s_cbranch_execnz .LBB666_196
; %bb.194:
	s_or_b64 exec, exec, s[2:3]
	s_and_b64 s[0:1], s[18:19], s[22:23]
	s_and_saveexec_b64 s[2:3], s[0:1]
	s_cbranch_execnz .LBB666_197
.LBB666_195:
	s_endpgm
.LBB666_196:
	v_cmp_lt_u32_e32 vcc, v8, v22
	s_nop 1
	v_cndmask_b32_e32 v5, v5, v7, vcc
	v_cndmask_b32_e32 v4, v4, v6, vcc
	v_lshlrev_b32_e32 v6, 1, v8
	v_mov_b32_e32 v7, 0
	v_lshl_add_u64 v[4:5], v[4:5], 0, v[6:7]
	s_waitcnt lgkmcnt(0)
	global_store_short v[4:5], v1, off
	s_or_b64 exec, exec, s[2:3]
	s_and_b64 s[0:1], s[18:19], s[22:23]
	s_and_saveexec_b64 s[2:3], s[0:1]
	s_cbranch_execz .LBB666_195
.LBB666_197:
	v_mov_b32_e32 v0, 0
	global_store_dwordx2 v0, v[2:3], s[20:21]
	s_endpgm
.LBB666_198:
	v_cmp_lt_u32_e32 vcc, v0, v22
	v_mov_b32_e32 v15, 0
	s_nop 0
	v_cndmask_b32_e32 v17, v5, v7, vcc
	v_cndmask_b32_e32 v16, v4, v6, vcc
	v_lshl_add_u64 v[16:17], v[16:17], 0, v[14:15]
	s_waitcnt lgkmcnt(14)
	global_store_short v[16:17], v71, off
	s_or_b64 exec, exec, s[0:1]
	v_cmp_gt_u32_e32 vcc, s33, v69
	s_and_saveexec_b64 s[0:1], vcc
	s_cbranch_execz .LBB666_166
.LBB666_199:
	v_cmp_lt_u32_e32 vcc, v69, v22
	v_mov_b32_e32 v15, 0
	s_nop 0
	v_cndmask_b32_e32 v17, v5, v7, vcc
	v_cndmask_b32_e32 v16, v4, v6, vcc
	v_lshl_add_u64 v[16:17], v[16:17], 0, v[14:15]
	s_waitcnt lgkmcnt(14)
	global_store_short v[16:17], v70, off offset:1024
	s_or_b64 exec, exec, s[0:1]
	v_cmp_gt_u32_e32 vcc, s33, v67
	s_and_saveexec_b64 s[0:1], vcc
	s_cbranch_execz .LBB666_167
.LBB666_200:
	v_cmp_lt_u32_e32 vcc, v67, v22
	v_mov_b32_e32 v15, 0
	s_nop 0
	v_cndmask_b32_e32 v17, v5, v7, vcc
	v_cndmask_b32_e32 v16, v4, v6, vcc
	v_lshl_add_u64 v[16:17], v[16:17], 0, v[14:15]
	s_waitcnt lgkmcnt(14)
	global_store_short v[16:17], v68, off offset:2048
	s_or_b64 exec, exec, s[0:1]
	v_cmp_gt_u32_e32 vcc, s33, v65
	s_and_saveexec_b64 s[0:1], vcc
	s_cbranch_execz .LBB666_168
.LBB666_201:
	v_cmp_lt_u32_e32 vcc, v65, v22
	v_mov_b32_e32 v15, 0
	s_nop 0
	v_cndmask_b32_e32 v17, v5, v7, vcc
	v_cndmask_b32_e32 v16, v4, v6, vcc
	v_lshl_add_u64 v[14:15], v[16:17], 0, v[14:15]
	s_waitcnt lgkmcnt(14)
	global_store_short v[14:15], v66, off offset:3072
	s_or_b64 exec, exec, s[0:1]
	v_cmp_gt_u32_e32 vcc, s33, v63
	s_and_saveexec_b64 s[0:1], vcc
	s_cbranch_execz .LBB666_169
.LBB666_202:
	v_cmp_lt_u32_e32 vcc, v63, v22
	v_lshlrev_b32_e32 v16, 1, v63
	v_mov_b32_e32 v17, 0
	v_cndmask_b32_e32 v15, v5, v7, vcc
	v_cndmask_b32_e32 v14, v4, v6, vcc
	v_lshl_add_u64 v[14:15], v[14:15], 0, v[16:17]
	s_waitcnt lgkmcnt(14)
	global_store_short v[14:15], v64, off
	s_or_b64 exec, exec, s[0:1]
	v_cmp_gt_u32_e32 vcc, s33, v61
	s_and_saveexec_b64 s[0:1], vcc
	s_cbranch_execz .LBB666_170
.LBB666_203:
	v_cmp_lt_u32_e32 vcc, v61, v22
	v_lshlrev_b32_e32 v16, 1, v61
	v_mov_b32_e32 v17, 0
	v_cndmask_b32_e32 v15, v5, v7, vcc
	v_cndmask_b32_e32 v14, v4, v6, vcc
	v_lshl_add_u64 v[14:15], v[14:15], 0, v[16:17]
	s_waitcnt lgkmcnt(14)
	global_store_short v[14:15], v62, off
	s_or_b64 exec, exec, s[0:1]
	v_cmp_gt_u32_e32 vcc, s33, v59
	s_and_saveexec_b64 s[0:1], vcc
	s_cbranch_execz .LBB666_171
.LBB666_204:
	v_cmp_lt_u32_e32 vcc, v59, v22
	v_lshlrev_b32_e32 v16, 1, v59
	v_mov_b32_e32 v17, 0
	v_cndmask_b32_e32 v15, v5, v7, vcc
	v_cndmask_b32_e32 v14, v4, v6, vcc
	v_lshl_add_u64 v[14:15], v[14:15], 0, v[16:17]
	s_waitcnt lgkmcnt(14)
	global_store_short v[14:15], v60, off
	s_or_b64 exec, exec, s[0:1]
	v_cmp_gt_u32_e32 vcc, s33, v57
	s_and_saveexec_b64 s[0:1], vcc
	s_cbranch_execz .LBB666_172
.LBB666_205:
	v_cmp_lt_u32_e32 vcc, v57, v22
	v_lshlrev_b32_e32 v16, 1, v57
	v_mov_b32_e32 v17, 0
	v_cndmask_b32_e32 v15, v5, v7, vcc
	v_cndmask_b32_e32 v14, v4, v6, vcc
	v_lshl_add_u64 v[14:15], v[14:15], 0, v[16:17]
	s_waitcnt lgkmcnt(14)
	global_store_short v[14:15], v58, off
	s_or_b64 exec, exec, s[0:1]
	v_cmp_gt_u32_e32 vcc, s33, v55
	s_and_saveexec_b64 s[0:1], vcc
	s_cbranch_execz .LBB666_173
.LBB666_206:
	v_cmp_lt_u32_e32 vcc, v55, v22
	v_lshlrev_b32_e32 v16, 1, v55
	v_mov_b32_e32 v17, 0
	v_cndmask_b32_e32 v15, v5, v7, vcc
	v_cndmask_b32_e32 v14, v4, v6, vcc
	v_lshl_add_u64 v[14:15], v[14:15], 0, v[16:17]
	s_waitcnt lgkmcnt(14)
	global_store_short v[14:15], v56, off
	s_or_b64 exec, exec, s[0:1]
	v_cmp_gt_u32_e32 vcc, s33, v53
	s_and_saveexec_b64 s[0:1], vcc
	s_cbranch_execz .LBB666_174
.LBB666_207:
	v_cmp_lt_u32_e32 vcc, v53, v22
	v_lshlrev_b32_e32 v16, 1, v53
	v_mov_b32_e32 v17, 0
	v_cndmask_b32_e32 v15, v5, v7, vcc
	v_cndmask_b32_e32 v14, v4, v6, vcc
	v_lshl_add_u64 v[14:15], v[14:15], 0, v[16:17]
	s_waitcnt lgkmcnt(14)
	global_store_short v[14:15], v54, off
	s_or_b64 exec, exec, s[0:1]
	v_cmp_gt_u32_e32 vcc, s33, v51
	s_and_saveexec_b64 s[0:1], vcc
	s_cbranch_execz .LBB666_175
.LBB666_208:
	v_cmp_lt_u32_e32 vcc, v51, v22
	v_lshlrev_b32_e32 v16, 1, v51
	v_mov_b32_e32 v17, 0
	v_cndmask_b32_e32 v15, v5, v7, vcc
	v_cndmask_b32_e32 v14, v4, v6, vcc
	v_lshl_add_u64 v[14:15], v[14:15], 0, v[16:17]
	s_waitcnt lgkmcnt(14)
	global_store_short v[14:15], v52, off
	s_or_b64 exec, exec, s[0:1]
	v_cmp_gt_u32_e32 vcc, s33, v49
	s_and_saveexec_b64 s[0:1], vcc
	s_cbranch_execz .LBB666_176
.LBB666_209:
	v_cmp_lt_u32_e32 vcc, v49, v22
	v_lshlrev_b32_e32 v16, 1, v49
	v_mov_b32_e32 v17, 0
	v_cndmask_b32_e32 v15, v5, v7, vcc
	v_cndmask_b32_e32 v14, v4, v6, vcc
	v_lshl_add_u64 v[14:15], v[14:15], 0, v[16:17]
	s_waitcnt lgkmcnt(14)
	global_store_short v[14:15], v50, off
	s_or_b64 exec, exec, s[0:1]
	v_cmp_gt_u32_e32 vcc, s33, v47
	s_and_saveexec_b64 s[0:1], vcc
	s_cbranch_execz .LBB666_177
.LBB666_210:
	v_cmp_lt_u32_e32 vcc, v47, v22
	v_lshlrev_b32_e32 v16, 1, v47
	v_mov_b32_e32 v17, 0
	v_cndmask_b32_e32 v15, v5, v7, vcc
	v_cndmask_b32_e32 v14, v4, v6, vcc
	v_lshl_add_u64 v[14:15], v[14:15], 0, v[16:17]
	s_waitcnt lgkmcnt(14)
	global_store_short v[14:15], v48, off
	s_or_b64 exec, exec, s[0:1]
	v_cmp_gt_u32_e32 vcc, s33, v45
	s_and_saveexec_b64 s[0:1], vcc
	s_cbranch_execz .LBB666_178
.LBB666_211:
	v_cmp_lt_u32_e32 vcc, v45, v22
	v_lshlrev_b32_e32 v16, 1, v45
	v_mov_b32_e32 v17, 0
	v_cndmask_b32_e32 v15, v5, v7, vcc
	v_cndmask_b32_e32 v14, v4, v6, vcc
	v_lshl_add_u64 v[14:15], v[14:15], 0, v[16:17]
	s_waitcnt lgkmcnt(14)
	global_store_short v[14:15], v46, off
	s_or_b64 exec, exec, s[0:1]
	v_cmp_gt_u32_e32 vcc, s33, v43
	s_and_saveexec_b64 s[0:1], vcc
	s_cbranch_execz .LBB666_179
.LBB666_212:
	v_cmp_lt_u32_e32 vcc, v43, v22
	v_lshlrev_b32_e32 v16, 1, v43
	v_mov_b32_e32 v17, 0
	v_cndmask_b32_e32 v15, v5, v7, vcc
	v_cndmask_b32_e32 v14, v4, v6, vcc
	v_lshl_add_u64 v[14:15], v[14:15], 0, v[16:17]
	s_waitcnt lgkmcnt(13)
	global_store_short v[14:15], v44, off
	s_or_b64 exec, exec, s[0:1]
	v_cmp_gt_u32_e32 vcc, s33, v41
	s_and_saveexec_b64 s[0:1], vcc
	s_cbranch_execz .LBB666_180
.LBB666_213:
	v_cmp_lt_u32_e32 vcc, v41, v22
	v_lshlrev_b32_e32 v16, 1, v41
	v_mov_b32_e32 v17, 0
	v_cndmask_b32_e32 v15, v5, v7, vcc
	v_cndmask_b32_e32 v14, v4, v6, vcc
	v_lshl_add_u64 v[14:15], v[14:15], 0, v[16:17]
	s_waitcnt lgkmcnt(12)
	global_store_short v[14:15], v42, off
	s_or_b64 exec, exec, s[0:1]
	v_cmp_gt_u32_e32 vcc, s33, v39
	s_and_saveexec_b64 s[0:1], vcc
	s_cbranch_execz .LBB666_181
.LBB666_214:
	v_cmp_lt_u32_e32 vcc, v39, v22
	v_lshlrev_b32_e32 v16, 1, v39
	v_mov_b32_e32 v17, 0
	v_cndmask_b32_e32 v15, v5, v7, vcc
	v_cndmask_b32_e32 v14, v4, v6, vcc
	v_lshl_add_u64 v[14:15], v[14:15], 0, v[16:17]
	s_waitcnt lgkmcnt(11)
	global_store_short v[14:15], v40, off
	s_or_b64 exec, exec, s[0:1]
	v_cmp_gt_u32_e32 vcc, s33, v37
	s_and_saveexec_b64 s[0:1], vcc
	s_cbranch_execz .LBB666_182
.LBB666_215:
	v_cmp_lt_u32_e32 vcc, v37, v22
	v_lshlrev_b32_e32 v16, 1, v37
	v_mov_b32_e32 v17, 0
	v_cndmask_b32_e32 v15, v5, v7, vcc
	v_cndmask_b32_e32 v14, v4, v6, vcc
	v_lshl_add_u64 v[14:15], v[14:15], 0, v[16:17]
	s_waitcnt lgkmcnt(10)
	global_store_short v[14:15], v38, off
	s_or_b64 exec, exec, s[0:1]
	v_cmp_gt_u32_e32 vcc, s33, v35
	s_and_saveexec_b64 s[0:1], vcc
	s_cbranch_execz .LBB666_183
.LBB666_216:
	v_cmp_lt_u32_e32 vcc, v35, v22
	v_lshlrev_b32_e32 v16, 1, v35
	v_mov_b32_e32 v17, 0
	v_cndmask_b32_e32 v15, v5, v7, vcc
	v_cndmask_b32_e32 v14, v4, v6, vcc
	v_lshl_add_u64 v[14:15], v[14:15], 0, v[16:17]
	s_waitcnt lgkmcnt(9)
	global_store_short v[14:15], v36, off
	s_or_b64 exec, exec, s[0:1]
	v_cmp_gt_u32_e32 vcc, s33, v33
	s_and_saveexec_b64 s[0:1], vcc
	s_cbranch_execz .LBB666_184
.LBB666_217:
	v_cmp_lt_u32_e32 vcc, v33, v22
	v_lshlrev_b32_e32 v16, 1, v33
	v_mov_b32_e32 v17, 0
	v_cndmask_b32_e32 v15, v5, v7, vcc
	v_cndmask_b32_e32 v14, v4, v6, vcc
	v_lshl_add_u64 v[14:15], v[14:15], 0, v[16:17]
	s_waitcnt lgkmcnt(8)
	global_store_short v[14:15], v34, off
	s_or_b64 exec, exec, s[0:1]
	v_cmp_gt_u32_e32 vcc, s33, v29
	s_and_saveexec_b64 s[0:1], vcc
	s_cbranch_execz .LBB666_185
.LBB666_218:
	v_cmp_lt_u32_e32 vcc, v29, v22
	v_lshlrev_b32_e32 v16, 1, v29
	v_mov_b32_e32 v17, 0
	v_cndmask_b32_e32 v15, v5, v7, vcc
	v_cndmask_b32_e32 v14, v4, v6, vcc
	v_lshl_add_u64 v[14:15], v[14:15], 0, v[16:17]
	s_waitcnt lgkmcnt(7)
	global_store_short v[14:15], v32, off
	s_or_b64 exec, exec, s[0:1]
	v_cmp_gt_u32_e32 vcc, s33, v27
	s_and_saveexec_b64 s[0:1], vcc
	s_cbranch_execz .LBB666_186
.LBB666_219:
	v_cmp_lt_u32_e32 vcc, v27, v22
	v_lshlrev_b32_e32 v16, 1, v27
	v_mov_b32_e32 v17, 0
	v_cndmask_b32_e32 v15, v5, v7, vcc
	v_cndmask_b32_e32 v14, v4, v6, vcc
	v_lshl_add_u64 v[14:15], v[14:15], 0, v[16:17]
	s_waitcnt lgkmcnt(6)
	global_store_short v[14:15], v28, off
	s_or_b64 exec, exec, s[0:1]
	v_cmp_gt_u32_e32 vcc, s33, v25
	s_and_saveexec_b64 s[0:1], vcc
	s_cbranch_execz .LBB666_187
.LBB666_220:
	v_cmp_lt_u32_e32 vcc, v25, v22
	v_lshlrev_b32_e32 v16, 1, v25
	v_mov_b32_e32 v17, 0
	v_cndmask_b32_e32 v15, v5, v7, vcc
	v_cndmask_b32_e32 v14, v4, v6, vcc
	v_lshl_add_u64 v[14:15], v[14:15], 0, v[16:17]
	s_waitcnt lgkmcnt(5)
	global_store_short v[14:15], v26, off
	s_or_b64 exec, exec, s[0:1]
	v_cmp_gt_u32_e32 vcc, s33, v21
	s_and_saveexec_b64 s[0:1], vcc
	s_cbranch_execz .LBB666_188
.LBB666_221:
	v_cmp_lt_u32_e32 vcc, v21, v22
	v_lshlrev_b32_e32 v16, 1, v21
	v_mov_b32_e32 v17, 0
	v_cndmask_b32_e32 v15, v5, v7, vcc
	v_cndmask_b32_e32 v14, v4, v6, vcc
	v_lshl_add_u64 v[14:15], v[14:15], 0, v[16:17]
	s_waitcnt lgkmcnt(4)
	global_store_short v[14:15], v24, off
	s_or_b64 exec, exec, s[0:1]
	v_cmp_gt_u32_e32 vcc, s33, v13
	s_and_saveexec_b64 s[0:1], vcc
	s_cbranch_execz .LBB666_189
.LBB666_222:
	v_cmp_lt_u32_e32 vcc, v13, v22
	v_lshlrev_b32_e32 v16, 1, v13
	v_mov_b32_e32 v17, 0
	v_cndmask_b32_e32 v15, v5, v7, vcc
	v_cndmask_b32_e32 v14, v4, v6, vcc
	v_lshl_add_u64 v[14:15], v[14:15], 0, v[16:17]
	s_waitcnt lgkmcnt(3)
	global_store_short v[14:15], v20, off
	s_or_b64 exec, exec, s[0:1]
	v_cmp_gt_u32_e32 vcc, s33, v11
	s_and_saveexec_b64 s[0:1], vcc
	s_cbranch_execz .LBB666_190
.LBB666_223:
	v_cmp_lt_u32_e32 vcc, v11, v22
	v_lshlrev_b32_e32 v16, 1, v11
	v_mov_b32_e32 v17, 0
	v_cndmask_b32_e32 v15, v5, v7, vcc
	v_cndmask_b32_e32 v14, v4, v6, vcc
	v_lshl_add_u64 v[14:15], v[14:15], 0, v[16:17]
	s_waitcnt lgkmcnt(2)
	global_store_short v[14:15], v12, off
	s_or_b64 exec, exec, s[0:1]
	v_cmp_gt_u32_e32 vcc, s33, v10
	s_and_saveexec_b64 s[0:1], vcc
	s_cbranch_execnz .LBB666_191
	s_branch .LBB666_192
	.section	.rodata,"a",@progbits
	.p2align	6, 0x0
	.amdhsa_kernel _ZN7rocprim17ROCPRIM_400000_NS6detail17trampoline_kernelINS0_14default_configENS1_25partition_config_selectorILNS1_17partition_subalgoE1EsNS0_10empty_typeEbEEZZNS1_14partition_implILS5_1ELb0ES3_jN6thrust23THRUST_200600_302600_NS6detail15normal_iteratorINSA_10device_ptrIsEEEEPS6_NSA_18transform_iteratorINSA_8identityIsEESF_NSA_11use_defaultESK_EENS0_5tupleIJSF_SF_EEENSM_IJSG_SG_EEES6_PlJS6_EEE10hipError_tPvRmT3_T4_T5_T6_T7_T9_mT8_P12ihipStream_tbDpT10_ENKUlT_T0_E_clISt17integral_constantIbLb0EES18_IbLb1EEEEDaS14_S15_EUlS14_E_NS1_11comp_targetILNS1_3genE5ELNS1_11target_archE942ELNS1_3gpuE9ELNS1_3repE0EEENS1_30default_config_static_selectorELNS0_4arch9wavefront6targetE1EEEvT1_
		.amdhsa_group_segment_fixed_size 28680
		.amdhsa_private_segment_fixed_size 0
		.amdhsa_kernarg_size 144
		.amdhsa_user_sgpr_count 2
		.amdhsa_user_sgpr_dispatch_ptr 0
		.amdhsa_user_sgpr_queue_ptr 0
		.amdhsa_user_sgpr_kernarg_segment_ptr 1
		.amdhsa_user_sgpr_dispatch_id 0
		.amdhsa_user_sgpr_kernarg_preload_length 0
		.amdhsa_user_sgpr_kernarg_preload_offset 0
		.amdhsa_user_sgpr_private_segment_size 0
		.amdhsa_uses_dynamic_stack 0
		.amdhsa_enable_private_segment 0
		.amdhsa_system_sgpr_workgroup_id_x 1
		.amdhsa_system_sgpr_workgroup_id_y 0
		.amdhsa_system_sgpr_workgroup_id_z 0
		.amdhsa_system_sgpr_workgroup_info 0
		.amdhsa_system_vgpr_workitem_id 0
		.amdhsa_next_free_vgpr 83
		.amdhsa_next_free_sgpr 44
		.amdhsa_accum_offset 84
		.amdhsa_reserve_vcc 1
		.amdhsa_float_round_mode_32 0
		.amdhsa_float_round_mode_16_64 0
		.amdhsa_float_denorm_mode_32 3
		.amdhsa_float_denorm_mode_16_64 3
		.amdhsa_dx10_clamp 1
		.amdhsa_ieee_mode 1
		.amdhsa_fp16_overflow 0
		.amdhsa_tg_split 0
		.amdhsa_exception_fp_ieee_invalid_op 0
		.amdhsa_exception_fp_denorm_src 0
		.amdhsa_exception_fp_ieee_div_zero 0
		.amdhsa_exception_fp_ieee_overflow 0
		.amdhsa_exception_fp_ieee_underflow 0
		.amdhsa_exception_fp_ieee_inexact 0
		.amdhsa_exception_int_div_zero 0
	.end_amdhsa_kernel
	.section	.text._ZN7rocprim17ROCPRIM_400000_NS6detail17trampoline_kernelINS0_14default_configENS1_25partition_config_selectorILNS1_17partition_subalgoE1EsNS0_10empty_typeEbEEZZNS1_14partition_implILS5_1ELb0ES3_jN6thrust23THRUST_200600_302600_NS6detail15normal_iteratorINSA_10device_ptrIsEEEEPS6_NSA_18transform_iteratorINSA_8identityIsEESF_NSA_11use_defaultESK_EENS0_5tupleIJSF_SF_EEENSM_IJSG_SG_EEES6_PlJS6_EEE10hipError_tPvRmT3_T4_T5_T6_T7_T9_mT8_P12ihipStream_tbDpT10_ENKUlT_T0_E_clISt17integral_constantIbLb0EES18_IbLb1EEEEDaS14_S15_EUlS14_E_NS1_11comp_targetILNS1_3genE5ELNS1_11target_archE942ELNS1_3gpuE9ELNS1_3repE0EEENS1_30default_config_static_selectorELNS0_4arch9wavefront6targetE1EEEvT1_,"axG",@progbits,_ZN7rocprim17ROCPRIM_400000_NS6detail17trampoline_kernelINS0_14default_configENS1_25partition_config_selectorILNS1_17partition_subalgoE1EsNS0_10empty_typeEbEEZZNS1_14partition_implILS5_1ELb0ES3_jN6thrust23THRUST_200600_302600_NS6detail15normal_iteratorINSA_10device_ptrIsEEEEPS6_NSA_18transform_iteratorINSA_8identityIsEESF_NSA_11use_defaultESK_EENS0_5tupleIJSF_SF_EEENSM_IJSG_SG_EEES6_PlJS6_EEE10hipError_tPvRmT3_T4_T5_T6_T7_T9_mT8_P12ihipStream_tbDpT10_ENKUlT_T0_E_clISt17integral_constantIbLb0EES18_IbLb1EEEEDaS14_S15_EUlS14_E_NS1_11comp_targetILNS1_3genE5ELNS1_11target_archE942ELNS1_3gpuE9ELNS1_3repE0EEENS1_30default_config_static_selectorELNS0_4arch9wavefront6targetE1EEEvT1_,comdat
.Lfunc_end666:
	.size	_ZN7rocprim17ROCPRIM_400000_NS6detail17trampoline_kernelINS0_14default_configENS1_25partition_config_selectorILNS1_17partition_subalgoE1EsNS0_10empty_typeEbEEZZNS1_14partition_implILS5_1ELb0ES3_jN6thrust23THRUST_200600_302600_NS6detail15normal_iteratorINSA_10device_ptrIsEEEEPS6_NSA_18transform_iteratorINSA_8identityIsEESF_NSA_11use_defaultESK_EENS0_5tupleIJSF_SF_EEENSM_IJSG_SG_EEES6_PlJS6_EEE10hipError_tPvRmT3_T4_T5_T6_T7_T9_mT8_P12ihipStream_tbDpT10_ENKUlT_T0_E_clISt17integral_constantIbLb0EES18_IbLb1EEEEDaS14_S15_EUlS14_E_NS1_11comp_targetILNS1_3genE5ELNS1_11target_archE942ELNS1_3gpuE9ELNS1_3repE0EEENS1_30default_config_static_selectorELNS0_4arch9wavefront6targetE1EEEvT1_, .Lfunc_end666-_ZN7rocprim17ROCPRIM_400000_NS6detail17trampoline_kernelINS0_14default_configENS1_25partition_config_selectorILNS1_17partition_subalgoE1EsNS0_10empty_typeEbEEZZNS1_14partition_implILS5_1ELb0ES3_jN6thrust23THRUST_200600_302600_NS6detail15normal_iteratorINSA_10device_ptrIsEEEEPS6_NSA_18transform_iteratorINSA_8identityIsEESF_NSA_11use_defaultESK_EENS0_5tupleIJSF_SF_EEENSM_IJSG_SG_EEES6_PlJS6_EEE10hipError_tPvRmT3_T4_T5_T6_T7_T9_mT8_P12ihipStream_tbDpT10_ENKUlT_T0_E_clISt17integral_constantIbLb0EES18_IbLb1EEEEDaS14_S15_EUlS14_E_NS1_11comp_targetILNS1_3genE5ELNS1_11target_archE942ELNS1_3gpuE9ELNS1_3repE0EEENS1_30default_config_static_selectorELNS0_4arch9wavefront6targetE1EEEvT1_
                                        ; -- End function
	.section	.AMDGPU.csdata,"",@progbits
; Kernel info:
; codeLenInByte = 12928
; NumSgprs: 50
; NumVgprs: 83
; NumAgprs: 0
; TotalNumVgprs: 83
; ScratchSize: 0
; MemoryBound: 0
; FloatMode: 240
; IeeeMode: 1
; LDSByteSize: 28680 bytes/workgroup (compile time only)
; SGPRBlocks: 6
; VGPRBlocks: 10
; NumSGPRsForWavesPerEU: 50
; NumVGPRsForWavesPerEU: 83
; AccumOffset: 84
; Occupancy: 4
; WaveLimiterHint : 1
; COMPUTE_PGM_RSRC2:SCRATCH_EN: 0
; COMPUTE_PGM_RSRC2:USER_SGPR: 2
; COMPUTE_PGM_RSRC2:TRAP_HANDLER: 0
; COMPUTE_PGM_RSRC2:TGID_X_EN: 1
; COMPUTE_PGM_RSRC2:TGID_Y_EN: 0
; COMPUTE_PGM_RSRC2:TGID_Z_EN: 0
; COMPUTE_PGM_RSRC2:TIDIG_COMP_CNT: 0
; COMPUTE_PGM_RSRC3_GFX90A:ACCUM_OFFSET: 20
; COMPUTE_PGM_RSRC3_GFX90A:TG_SPLIT: 0
	.section	.text._ZN7rocprim17ROCPRIM_400000_NS6detail17trampoline_kernelINS0_14default_configENS1_25partition_config_selectorILNS1_17partition_subalgoE1EsNS0_10empty_typeEbEEZZNS1_14partition_implILS5_1ELb0ES3_jN6thrust23THRUST_200600_302600_NS6detail15normal_iteratorINSA_10device_ptrIsEEEEPS6_NSA_18transform_iteratorINSA_8identityIsEESF_NSA_11use_defaultESK_EENS0_5tupleIJSF_SF_EEENSM_IJSG_SG_EEES6_PlJS6_EEE10hipError_tPvRmT3_T4_T5_T6_T7_T9_mT8_P12ihipStream_tbDpT10_ENKUlT_T0_E_clISt17integral_constantIbLb0EES18_IbLb1EEEEDaS14_S15_EUlS14_E_NS1_11comp_targetILNS1_3genE4ELNS1_11target_archE910ELNS1_3gpuE8ELNS1_3repE0EEENS1_30default_config_static_selectorELNS0_4arch9wavefront6targetE1EEEvT1_,"axG",@progbits,_ZN7rocprim17ROCPRIM_400000_NS6detail17trampoline_kernelINS0_14default_configENS1_25partition_config_selectorILNS1_17partition_subalgoE1EsNS0_10empty_typeEbEEZZNS1_14partition_implILS5_1ELb0ES3_jN6thrust23THRUST_200600_302600_NS6detail15normal_iteratorINSA_10device_ptrIsEEEEPS6_NSA_18transform_iteratorINSA_8identityIsEESF_NSA_11use_defaultESK_EENS0_5tupleIJSF_SF_EEENSM_IJSG_SG_EEES6_PlJS6_EEE10hipError_tPvRmT3_T4_T5_T6_T7_T9_mT8_P12ihipStream_tbDpT10_ENKUlT_T0_E_clISt17integral_constantIbLb0EES18_IbLb1EEEEDaS14_S15_EUlS14_E_NS1_11comp_targetILNS1_3genE4ELNS1_11target_archE910ELNS1_3gpuE8ELNS1_3repE0EEENS1_30default_config_static_selectorELNS0_4arch9wavefront6targetE1EEEvT1_,comdat
	.protected	_ZN7rocprim17ROCPRIM_400000_NS6detail17trampoline_kernelINS0_14default_configENS1_25partition_config_selectorILNS1_17partition_subalgoE1EsNS0_10empty_typeEbEEZZNS1_14partition_implILS5_1ELb0ES3_jN6thrust23THRUST_200600_302600_NS6detail15normal_iteratorINSA_10device_ptrIsEEEEPS6_NSA_18transform_iteratorINSA_8identityIsEESF_NSA_11use_defaultESK_EENS0_5tupleIJSF_SF_EEENSM_IJSG_SG_EEES6_PlJS6_EEE10hipError_tPvRmT3_T4_T5_T6_T7_T9_mT8_P12ihipStream_tbDpT10_ENKUlT_T0_E_clISt17integral_constantIbLb0EES18_IbLb1EEEEDaS14_S15_EUlS14_E_NS1_11comp_targetILNS1_3genE4ELNS1_11target_archE910ELNS1_3gpuE8ELNS1_3repE0EEENS1_30default_config_static_selectorELNS0_4arch9wavefront6targetE1EEEvT1_ ; -- Begin function _ZN7rocprim17ROCPRIM_400000_NS6detail17trampoline_kernelINS0_14default_configENS1_25partition_config_selectorILNS1_17partition_subalgoE1EsNS0_10empty_typeEbEEZZNS1_14partition_implILS5_1ELb0ES3_jN6thrust23THRUST_200600_302600_NS6detail15normal_iteratorINSA_10device_ptrIsEEEEPS6_NSA_18transform_iteratorINSA_8identityIsEESF_NSA_11use_defaultESK_EENS0_5tupleIJSF_SF_EEENSM_IJSG_SG_EEES6_PlJS6_EEE10hipError_tPvRmT3_T4_T5_T6_T7_T9_mT8_P12ihipStream_tbDpT10_ENKUlT_T0_E_clISt17integral_constantIbLb0EES18_IbLb1EEEEDaS14_S15_EUlS14_E_NS1_11comp_targetILNS1_3genE4ELNS1_11target_archE910ELNS1_3gpuE8ELNS1_3repE0EEENS1_30default_config_static_selectorELNS0_4arch9wavefront6targetE1EEEvT1_
	.globl	_ZN7rocprim17ROCPRIM_400000_NS6detail17trampoline_kernelINS0_14default_configENS1_25partition_config_selectorILNS1_17partition_subalgoE1EsNS0_10empty_typeEbEEZZNS1_14partition_implILS5_1ELb0ES3_jN6thrust23THRUST_200600_302600_NS6detail15normal_iteratorINSA_10device_ptrIsEEEEPS6_NSA_18transform_iteratorINSA_8identityIsEESF_NSA_11use_defaultESK_EENS0_5tupleIJSF_SF_EEENSM_IJSG_SG_EEES6_PlJS6_EEE10hipError_tPvRmT3_T4_T5_T6_T7_T9_mT8_P12ihipStream_tbDpT10_ENKUlT_T0_E_clISt17integral_constantIbLb0EES18_IbLb1EEEEDaS14_S15_EUlS14_E_NS1_11comp_targetILNS1_3genE4ELNS1_11target_archE910ELNS1_3gpuE8ELNS1_3repE0EEENS1_30default_config_static_selectorELNS0_4arch9wavefront6targetE1EEEvT1_
	.p2align	8
	.type	_ZN7rocprim17ROCPRIM_400000_NS6detail17trampoline_kernelINS0_14default_configENS1_25partition_config_selectorILNS1_17partition_subalgoE1EsNS0_10empty_typeEbEEZZNS1_14partition_implILS5_1ELb0ES3_jN6thrust23THRUST_200600_302600_NS6detail15normal_iteratorINSA_10device_ptrIsEEEEPS6_NSA_18transform_iteratorINSA_8identityIsEESF_NSA_11use_defaultESK_EENS0_5tupleIJSF_SF_EEENSM_IJSG_SG_EEES6_PlJS6_EEE10hipError_tPvRmT3_T4_T5_T6_T7_T9_mT8_P12ihipStream_tbDpT10_ENKUlT_T0_E_clISt17integral_constantIbLb0EES18_IbLb1EEEEDaS14_S15_EUlS14_E_NS1_11comp_targetILNS1_3genE4ELNS1_11target_archE910ELNS1_3gpuE8ELNS1_3repE0EEENS1_30default_config_static_selectorELNS0_4arch9wavefront6targetE1EEEvT1_,@function
_ZN7rocprim17ROCPRIM_400000_NS6detail17trampoline_kernelINS0_14default_configENS1_25partition_config_selectorILNS1_17partition_subalgoE1EsNS0_10empty_typeEbEEZZNS1_14partition_implILS5_1ELb0ES3_jN6thrust23THRUST_200600_302600_NS6detail15normal_iteratorINSA_10device_ptrIsEEEEPS6_NSA_18transform_iteratorINSA_8identityIsEESF_NSA_11use_defaultESK_EENS0_5tupleIJSF_SF_EEENSM_IJSG_SG_EEES6_PlJS6_EEE10hipError_tPvRmT3_T4_T5_T6_T7_T9_mT8_P12ihipStream_tbDpT10_ENKUlT_T0_E_clISt17integral_constantIbLb0EES18_IbLb1EEEEDaS14_S15_EUlS14_E_NS1_11comp_targetILNS1_3genE4ELNS1_11target_archE910ELNS1_3gpuE8ELNS1_3repE0EEENS1_30default_config_static_selectorELNS0_4arch9wavefront6targetE1EEEvT1_: ; @_ZN7rocprim17ROCPRIM_400000_NS6detail17trampoline_kernelINS0_14default_configENS1_25partition_config_selectorILNS1_17partition_subalgoE1EsNS0_10empty_typeEbEEZZNS1_14partition_implILS5_1ELb0ES3_jN6thrust23THRUST_200600_302600_NS6detail15normal_iteratorINSA_10device_ptrIsEEEEPS6_NSA_18transform_iteratorINSA_8identityIsEESF_NSA_11use_defaultESK_EENS0_5tupleIJSF_SF_EEENSM_IJSG_SG_EEES6_PlJS6_EEE10hipError_tPvRmT3_T4_T5_T6_T7_T9_mT8_P12ihipStream_tbDpT10_ENKUlT_T0_E_clISt17integral_constantIbLb0EES18_IbLb1EEEEDaS14_S15_EUlS14_E_NS1_11comp_targetILNS1_3genE4ELNS1_11target_archE910ELNS1_3gpuE8ELNS1_3repE0EEENS1_30default_config_static_selectorELNS0_4arch9wavefront6targetE1EEEvT1_
; %bb.0:
	.section	.rodata,"a",@progbits
	.p2align	6, 0x0
	.amdhsa_kernel _ZN7rocprim17ROCPRIM_400000_NS6detail17trampoline_kernelINS0_14default_configENS1_25partition_config_selectorILNS1_17partition_subalgoE1EsNS0_10empty_typeEbEEZZNS1_14partition_implILS5_1ELb0ES3_jN6thrust23THRUST_200600_302600_NS6detail15normal_iteratorINSA_10device_ptrIsEEEEPS6_NSA_18transform_iteratorINSA_8identityIsEESF_NSA_11use_defaultESK_EENS0_5tupleIJSF_SF_EEENSM_IJSG_SG_EEES6_PlJS6_EEE10hipError_tPvRmT3_T4_T5_T6_T7_T9_mT8_P12ihipStream_tbDpT10_ENKUlT_T0_E_clISt17integral_constantIbLb0EES18_IbLb1EEEEDaS14_S15_EUlS14_E_NS1_11comp_targetILNS1_3genE4ELNS1_11target_archE910ELNS1_3gpuE8ELNS1_3repE0EEENS1_30default_config_static_selectorELNS0_4arch9wavefront6targetE1EEEvT1_
		.amdhsa_group_segment_fixed_size 0
		.amdhsa_private_segment_fixed_size 0
		.amdhsa_kernarg_size 144
		.amdhsa_user_sgpr_count 2
		.amdhsa_user_sgpr_dispatch_ptr 0
		.amdhsa_user_sgpr_queue_ptr 0
		.amdhsa_user_sgpr_kernarg_segment_ptr 1
		.amdhsa_user_sgpr_dispatch_id 0
		.amdhsa_user_sgpr_kernarg_preload_length 0
		.amdhsa_user_sgpr_kernarg_preload_offset 0
		.amdhsa_user_sgpr_private_segment_size 0
		.amdhsa_uses_dynamic_stack 0
		.amdhsa_enable_private_segment 0
		.amdhsa_system_sgpr_workgroup_id_x 1
		.amdhsa_system_sgpr_workgroup_id_y 0
		.amdhsa_system_sgpr_workgroup_id_z 0
		.amdhsa_system_sgpr_workgroup_info 0
		.amdhsa_system_vgpr_workitem_id 0
		.amdhsa_next_free_vgpr 1
		.amdhsa_next_free_sgpr 0
		.amdhsa_accum_offset 4
		.amdhsa_reserve_vcc 0
		.amdhsa_float_round_mode_32 0
		.amdhsa_float_round_mode_16_64 0
		.amdhsa_float_denorm_mode_32 3
		.amdhsa_float_denorm_mode_16_64 3
		.amdhsa_dx10_clamp 1
		.amdhsa_ieee_mode 1
		.amdhsa_fp16_overflow 0
		.amdhsa_tg_split 0
		.amdhsa_exception_fp_ieee_invalid_op 0
		.amdhsa_exception_fp_denorm_src 0
		.amdhsa_exception_fp_ieee_div_zero 0
		.amdhsa_exception_fp_ieee_overflow 0
		.amdhsa_exception_fp_ieee_underflow 0
		.amdhsa_exception_fp_ieee_inexact 0
		.amdhsa_exception_int_div_zero 0
	.end_amdhsa_kernel
	.section	.text._ZN7rocprim17ROCPRIM_400000_NS6detail17trampoline_kernelINS0_14default_configENS1_25partition_config_selectorILNS1_17partition_subalgoE1EsNS0_10empty_typeEbEEZZNS1_14partition_implILS5_1ELb0ES3_jN6thrust23THRUST_200600_302600_NS6detail15normal_iteratorINSA_10device_ptrIsEEEEPS6_NSA_18transform_iteratorINSA_8identityIsEESF_NSA_11use_defaultESK_EENS0_5tupleIJSF_SF_EEENSM_IJSG_SG_EEES6_PlJS6_EEE10hipError_tPvRmT3_T4_T5_T6_T7_T9_mT8_P12ihipStream_tbDpT10_ENKUlT_T0_E_clISt17integral_constantIbLb0EES18_IbLb1EEEEDaS14_S15_EUlS14_E_NS1_11comp_targetILNS1_3genE4ELNS1_11target_archE910ELNS1_3gpuE8ELNS1_3repE0EEENS1_30default_config_static_selectorELNS0_4arch9wavefront6targetE1EEEvT1_,"axG",@progbits,_ZN7rocprim17ROCPRIM_400000_NS6detail17trampoline_kernelINS0_14default_configENS1_25partition_config_selectorILNS1_17partition_subalgoE1EsNS0_10empty_typeEbEEZZNS1_14partition_implILS5_1ELb0ES3_jN6thrust23THRUST_200600_302600_NS6detail15normal_iteratorINSA_10device_ptrIsEEEEPS6_NSA_18transform_iteratorINSA_8identityIsEESF_NSA_11use_defaultESK_EENS0_5tupleIJSF_SF_EEENSM_IJSG_SG_EEES6_PlJS6_EEE10hipError_tPvRmT3_T4_T5_T6_T7_T9_mT8_P12ihipStream_tbDpT10_ENKUlT_T0_E_clISt17integral_constantIbLb0EES18_IbLb1EEEEDaS14_S15_EUlS14_E_NS1_11comp_targetILNS1_3genE4ELNS1_11target_archE910ELNS1_3gpuE8ELNS1_3repE0EEENS1_30default_config_static_selectorELNS0_4arch9wavefront6targetE1EEEvT1_,comdat
.Lfunc_end667:
	.size	_ZN7rocprim17ROCPRIM_400000_NS6detail17trampoline_kernelINS0_14default_configENS1_25partition_config_selectorILNS1_17partition_subalgoE1EsNS0_10empty_typeEbEEZZNS1_14partition_implILS5_1ELb0ES3_jN6thrust23THRUST_200600_302600_NS6detail15normal_iteratorINSA_10device_ptrIsEEEEPS6_NSA_18transform_iteratorINSA_8identityIsEESF_NSA_11use_defaultESK_EENS0_5tupleIJSF_SF_EEENSM_IJSG_SG_EEES6_PlJS6_EEE10hipError_tPvRmT3_T4_T5_T6_T7_T9_mT8_P12ihipStream_tbDpT10_ENKUlT_T0_E_clISt17integral_constantIbLb0EES18_IbLb1EEEEDaS14_S15_EUlS14_E_NS1_11comp_targetILNS1_3genE4ELNS1_11target_archE910ELNS1_3gpuE8ELNS1_3repE0EEENS1_30default_config_static_selectorELNS0_4arch9wavefront6targetE1EEEvT1_, .Lfunc_end667-_ZN7rocprim17ROCPRIM_400000_NS6detail17trampoline_kernelINS0_14default_configENS1_25partition_config_selectorILNS1_17partition_subalgoE1EsNS0_10empty_typeEbEEZZNS1_14partition_implILS5_1ELb0ES3_jN6thrust23THRUST_200600_302600_NS6detail15normal_iteratorINSA_10device_ptrIsEEEEPS6_NSA_18transform_iteratorINSA_8identityIsEESF_NSA_11use_defaultESK_EENS0_5tupleIJSF_SF_EEENSM_IJSG_SG_EEES6_PlJS6_EEE10hipError_tPvRmT3_T4_T5_T6_T7_T9_mT8_P12ihipStream_tbDpT10_ENKUlT_T0_E_clISt17integral_constantIbLb0EES18_IbLb1EEEEDaS14_S15_EUlS14_E_NS1_11comp_targetILNS1_3genE4ELNS1_11target_archE910ELNS1_3gpuE8ELNS1_3repE0EEENS1_30default_config_static_selectorELNS0_4arch9wavefront6targetE1EEEvT1_
                                        ; -- End function
	.section	.AMDGPU.csdata,"",@progbits
; Kernel info:
; codeLenInByte = 0
; NumSgprs: 6
; NumVgprs: 0
; NumAgprs: 0
; TotalNumVgprs: 0
; ScratchSize: 0
; MemoryBound: 0
; FloatMode: 240
; IeeeMode: 1
; LDSByteSize: 0 bytes/workgroup (compile time only)
; SGPRBlocks: 0
; VGPRBlocks: 0
; NumSGPRsForWavesPerEU: 6
; NumVGPRsForWavesPerEU: 1
; AccumOffset: 4
; Occupancy: 8
; WaveLimiterHint : 0
; COMPUTE_PGM_RSRC2:SCRATCH_EN: 0
; COMPUTE_PGM_RSRC2:USER_SGPR: 2
; COMPUTE_PGM_RSRC2:TRAP_HANDLER: 0
; COMPUTE_PGM_RSRC2:TGID_X_EN: 1
; COMPUTE_PGM_RSRC2:TGID_Y_EN: 0
; COMPUTE_PGM_RSRC2:TGID_Z_EN: 0
; COMPUTE_PGM_RSRC2:TIDIG_COMP_CNT: 0
; COMPUTE_PGM_RSRC3_GFX90A:ACCUM_OFFSET: 0
; COMPUTE_PGM_RSRC3_GFX90A:TG_SPLIT: 0
	.section	.text._ZN7rocprim17ROCPRIM_400000_NS6detail17trampoline_kernelINS0_14default_configENS1_25partition_config_selectorILNS1_17partition_subalgoE1EsNS0_10empty_typeEbEEZZNS1_14partition_implILS5_1ELb0ES3_jN6thrust23THRUST_200600_302600_NS6detail15normal_iteratorINSA_10device_ptrIsEEEEPS6_NSA_18transform_iteratorINSA_8identityIsEESF_NSA_11use_defaultESK_EENS0_5tupleIJSF_SF_EEENSM_IJSG_SG_EEES6_PlJS6_EEE10hipError_tPvRmT3_T4_T5_T6_T7_T9_mT8_P12ihipStream_tbDpT10_ENKUlT_T0_E_clISt17integral_constantIbLb0EES18_IbLb1EEEEDaS14_S15_EUlS14_E_NS1_11comp_targetILNS1_3genE3ELNS1_11target_archE908ELNS1_3gpuE7ELNS1_3repE0EEENS1_30default_config_static_selectorELNS0_4arch9wavefront6targetE1EEEvT1_,"axG",@progbits,_ZN7rocprim17ROCPRIM_400000_NS6detail17trampoline_kernelINS0_14default_configENS1_25partition_config_selectorILNS1_17partition_subalgoE1EsNS0_10empty_typeEbEEZZNS1_14partition_implILS5_1ELb0ES3_jN6thrust23THRUST_200600_302600_NS6detail15normal_iteratorINSA_10device_ptrIsEEEEPS6_NSA_18transform_iteratorINSA_8identityIsEESF_NSA_11use_defaultESK_EENS0_5tupleIJSF_SF_EEENSM_IJSG_SG_EEES6_PlJS6_EEE10hipError_tPvRmT3_T4_T5_T6_T7_T9_mT8_P12ihipStream_tbDpT10_ENKUlT_T0_E_clISt17integral_constantIbLb0EES18_IbLb1EEEEDaS14_S15_EUlS14_E_NS1_11comp_targetILNS1_3genE3ELNS1_11target_archE908ELNS1_3gpuE7ELNS1_3repE0EEENS1_30default_config_static_selectorELNS0_4arch9wavefront6targetE1EEEvT1_,comdat
	.protected	_ZN7rocprim17ROCPRIM_400000_NS6detail17trampoline_kernelINS0_14default_configENS1_25partition_config_selectorILNS1_17partition_subalgoE1EsNS0_10empty_typeEbEEZZNS1_14partition_implILS5_1ELb0ES3_jN6thrust23THRUST_200600_302600_NS6detail15normal_iteratorINSA_10device_ptrIsEEEEPS6_NSA_18transform_iteratorINSA_8identityIsEESF_NSA_11use_defaultESK_EENS0_5tupleIJSF_SF_EEENSM_IJSG_SG_EEES6_PlJS6_EEE10hipError_tPvRmT3_T4_T5_T6_T7_T9_mT8_P12ihipStream_tbDpT10_ENKUlT_T0_E_clISt17integral_constantIbLb0EES18_IbLb1EEEEDaS14_S15_EUlS14_E_NS1_11comp_targetILNS1_3genE3ELNS1_11target_archE908ELNS1_3gpuE7ELNS1_3repE0EEENS1_30default_config_static_selectorELNS0_4arch9wavefront6targetE1EEEvT1_ ; -- Begin function _ZN7rocprim17ROCPRIM_400000_NS6detail17trampoline_kernelINS0_14default_configENS1_25partition_config_selectorILNS1_17partition_subalgoE1EsNS0_10empty_typeEbEEZZNS1_14partition_implILS5_1ELb0ES3_jN6thrust23THRUST_200600_302600_NS6detail15normal_iteratorINSA_10device_ptrIsEEEEPS6_NSA_18transform_iteratorINSA_8identityIsEESF_NSA_11use_defaultESK_EENS0_5tupleIJSF_SF_EEENSM_IJSG_SG_EEES6_PlJS6_EEE10hipError_tPvRmT3_T4_T5_T6_T7_T9_mT8_P12ihipStream_tbDpT10_ENKUlT_T0_E_clISt17integral_constantIbLb0EES18_IbLb1EEEEDaS14_S15_EUlS14_E_NS1_11comp_targetILNS1_3genE3ELNS1_11target_archE908ELNS1_3gpuE7ELNS1_3repE0EEENS1_30default_config_static_selectorELNS0_4arch9wavefront6targetE1EEEvT1_
	.globl	_ZN7rocprim17ROCPRIM_400000_NS6detail17trampoline_kernelINS0_14default_configENS1_25partition_config_selectorILNS1_17partition_subalgoE1EsNS0_10empty_typeEbEEZZNS1_14partition_implILS5_1ELb0ES3_jN6thrust23THRUST_200600_302600_NS6detail15normal_iteratorINSA_10device_ptrIsEEEEPS6_NSA_18transform_iteratorINSA_8identityIsEESF_NSA_11use_defaultESK_EENS0_5tupleIJSF_SF_EEENSM_IJSG_SG_EEES6_PlJS6_EEE10hipError_tPvRmT3_T4_T5_T6_T7_T9_mT8_P12ihipStream_tbDpT10_ENKUlT_T0_E_clISt17integral_constantIbLb0EES18_IbLb1EEEEDaS14_S15_EUlS14_E_NS1_11comp_targetILNS1_3genE3ELNS1_11target_archE908ELNS1_3gpuE7ELNS1_3repE0EEENS1_30default_config_static_selectorELNS0_4arch9wavefront6targetE1EEEvT1_
	.p2align	8
	.type	_ZN7rocprim17ROCPRIM_400000_NS6detail17trampoline_kernelINS0_14default_configENS1_25partition_config_selectorILNS1_17partition_subalgoE1EsNS0_10empty_typeEbEEZZNS1_14partition_implILS5_1ELb0ES3_jN6thrust23THRUST_200600_302600_NS6detail15normal_iteratorINSA_10device_ptrIsEEEEPS6_NSA_18transform_iteratorINSA_8identityIsEESF_NSA_11use_defaultESK_EENS0_5tupleIJSF_SF_EEENSM_IJSG_SG_EEES6_PlJS6_EEE10hipError_tPvRmT3_T4_T5_T6_T7_T9_mT8_P12ihipStream_tbDpT10_ENKUlT_T0_E_clISt17integral_constantIbLb0EES18_IbLb1EEEEDaS14_S15_EUlS14_E_NS1_11comp_targetILNS1_3genE3ELNS1_11target_archE908ELNS1_3gpuE7ELNS1_3repE0EEENS1_30default_config_static_selectorELNS0_4arch9wavefront6targetE1EEEvT1_,@function
_ZN7rocprim17ROCPRIM_400000_NS6detail17trampoline_kernelINS0_14default_configENS1_25partition_config_selectorILNS1_17partition_subalgoE1EsNS0_10empty_typeEbEEZZNS1_14partition_implILS5_1ELb0ES3_jN6thrust23THRUST_200600_302600_NS6detail15normal_iteratorINSA_10device_ptrIsEEEEPS6_NSA_18transform_iteratorINSA_8identityIsEESF_NSA_11use_defaultESK_EENS0_5tupleIJSF_SF_EEENSM_IJSG_SG_EEES6_PlJS6_EEE10hipError_tPvRmT3_T4_T5_T6_T7_T9_mT8_P12ihipStream_tbDpT10_ENKUlT_T0_E_clISt17integral_constantIbLb0EES18_IbLb1EEEEDaS14_S15_EUlS14_E_NS1_11comp_targetILNS1_3genE3ELNS1_11target_archE908ELNS1_3gpuE7ELNS1_3repE0EEENS1_30default_config_static_selectorELNS0_4arch9wavefront6targetE1EEEvT1_: ; @_ZN7rocprim17ROCPRIM_400000_NS6detail17trampoline_kernelINS0_14default_configENS1_25partition_config_selectorILNS1_17partition_subalgoE1EsNS0_10empty_typeEbEEZZNS1_14partition_implILS5_1ELb0ES3_jN6thrust23THRUST_200600_302600_NS6detail15normal_iteratorINSA_10device_ptrIsEEEEPS6_NSA_18transform_iteratorINSA_8identityIsEESF_NSA_11use_defaultESK_EENS0_5tupleIJSF_SF_EEENSM_IJSG_SG_EEES6_PlJS6_EEE10hipError_tPvRmT3_T4_T5_T6_T7_T9_mT8_P12ihipStream_tbDpT10_ENKUlT_T0_E_clISt17integral_constantIbLb0EES18_IbLb1EEEEDaS14_S15_EUlS14_E_NS1_11comp_targetILNS1_3genE3ELNS1_11target_archE908ELNS1_3gpuE7ELNS1_3repE0EEENS1_30default_config_static_selectorELNS0_4arch9wavefront6targetE1EEEvT1_
; %bb.0:
	.section	.rodata,"a",@progbits
	.p2align	6, 0x0
	.amdhsa_kernel _ZN7rocprim17ROCPRIM_400000_NS6detail17trampoline_kernelINS0_14default_configENS1_25partition_config_selectorILNS1_17partition_subalgoE1EsNS0_10empty_typeEbEEZZNS1_14partition_implILS5_1ELb0ES3_jN6thrust23THRUST_200600_302600_NS6detail15normal_iteratorINSA_10device_ptrIsEEEEPS6_NSA_18transform_iteratorINSA_8identityIsEESF_NSA_11use_defaultESK_EENS0_5tupleIJSF_SF_EEENSM_IJSG_SG_EEES6_PlJS6_EEE10hipError_tPvRmT3_T4_T5_T6_T7_T9_mT8_P12ihipStream_tbDpT10_ENKUlT_T0_E_clISt17integral_constantIbLb0EES18_IbLb1EEEEDaS14_S15_EUlS14_E_NS1_11comp_targetILNS1_3genE3ELNS1_11target_archE908ELNS1_3gpuE7ELNS1_3repE0EEENS1_30default_config_static_selectorELNS0_4arch9wavefront6targetE1EEEvT1_
		.amdhsa_group_segment_fixed_size 0
		.amdhsa_private_segment_fixed_size 0
		.amdhsa_kernarg_size 144
		.amdhsa_user_sgpr_count 2
		.amdhsa_user_sgpr_dispatch_ptr 0
		.amdhsa_user_sgpr_queue_ptr 0
		.amdhsa_user_sgpr_kernarg_segment_ptr 1
		.amdhsa_user_sgpr_dispatch_id 0
		.amdhsa_user_sgpr_kernarg_preload_length 0
		.amdhsa_user_sgpr_kernarg_preload_offset 0
		.amdhsa_user_sgpr_private_segment_size 0
		.amdhsa_uses_dynamic_stack 0
		.amdhsa_enable_private_segment 0
		.amdhsa_system_sgpr_workgroup_id_x 1
		.amdhsa_system_sgpr_workgroup_id_y 0
		.amdhsa_system_sgpr_workgroup_id_z 0
		.amdhsa_system_sgpr_workgroup_info 0
		.amdhsa_system_vgpr_workitem_id 0
		.amdhsa_next_free_vgpr 1
		.amdhsa_next_free_sgpr 0
		.amdhsa_accum_offset 4
		.amdhsa_reserve_vcc 0
		.amdhsa_float_round_mode_32 0
		.amdhsa_float_round_mode_16_64 0
		.amdhsa_float_denorm_mode_32 3
		.amdhsa_float_denorm_mode_16_64 3
		.amdhsa_dx10_clamp 1
		.amdhsa_ieee_mode 1
		.amdhsa_fp16_overflow 0
		.amdhsa_tg_split 0
		.amdhsa_exception_fp_ieee_invalid_op 0
		.amdhsa_exception_fp_denorm_src 0
		.amdhsa_exception_fp_ieee_div_zero 0
		.amdhsa_exception_fp_ieee_overflow 0
		.amdhsa_exception_fp_ieee_underflow 0
		.amdhsa_exception_fp_ieee_inexact 0
		.amdhsa_exception_int_div_zero 0
	.end_amdhsa_kernel
	.section	.text._ZN7rocprim17ROCPRIM_400000_NS6detail17trampoline_kernelINS0_14default_configENS1_25partition_config_selectorILNS1_17partition_subalgoE1EsNS0_10empty_typeEbEEZZNS1_14partition_implILS5_1ELb0ES3_jN6thrust23THRUST_200600_302600_NS6detail15normal_iteratorINSA_10device_ptrIsEEEEPS6_NSA_18transform_iteratorINSA_8identityIsEESF_NSA_11use_defaultESK_EENS0_5tupleIJSF_SF_EEENSM_IJSG_SG_EEES6_PlJS6_EEE10hipError_tPvRmT3_T4_T5_T6_T7_T9_mT8_P12ihipStream_tbDpT10_ENKUlT_T0_E_clISt17integral_constantIbLb0EES18_IbLb1EEEEDaS14_S15_EUlS14_E_NS1_11comp_targetILNS1_3genE3ELNS1_11target_archE908ELNS1_3gpuE7ELNS1_3repE0EEENS1_30default_config_static_selectorELNS0_4arch9wavefront6targetE1EEEvT1_,"axG",@progbits,_ZN7rocprim17ROCPRIM_400000_NS6detail17trampoline_kernelINS0_14default_configENS1_25partition_config_selectorILNS1_17partition_subalgoE1EsNS0_10empty_typeEbEEZZNS1_14partition_implILS5_1ELb0ES3_jN6thrust23THRUST_200600_302600_NS6detail15normal_iteratorINSA_10device_ptrIsEEEEPS6_NSA_18transform_iteratorINSA_8identityIsEESF_NSA_11use_defaultESK_EENS0_5tupleIJSF_SF_EEENSM_IJSG_SG_EEES6_PlJS6_EEE10hipError_tPvRmT3_T4_T5_T6_T7_T9_mT8_P12ihipStream_tbDpT10_ENKUlT_T0_E_clISt17integral_constantIbLb0EES18_IbLb1EEEEDaS14_S15_EUlS14_E_NS1_11comp_targetILNS1_3genE3ELNS1_11target_archE908ELNS1_3gpuE7ELNS1_3repE0EEENS1_30default_config_static_selectorELNS0_4arch9wavefront6targetE1EEEvT1_,comdat
.Lfunc_end668:
	.size	_ZN7rocprim17ROCPRIM_400000_NS6detail17trampoline_kernelINS0_14default_configENS1_25partition_config_selectorILNS1_17partition_subalgoE1EsNS0_10empty_typeEbEEZZNS1_14partition_implILS5_1ELb0ES3_jN6thrust23THRUST_200600_302600_NS6detail15normal_iteratorINSA_10device_ptrIsEEEEPS6_NSA_18transform_iteratorINSA_8identityIsEESF_NSA_11use_defaultESK_EENS0_5tupleIJSF_SF_EEENSM_IJSG_SG_EEES6_PlJS6_EEE10hipError_tPvRmT3_T4_T5_T6_T7_T9_mT8_P12ihipStream_tbDpT10_ENKUlT_T0_E_clISt17integral_constantIbLb0EES18_IbLb1EEEEDaS14_S15_EUlS14_E_NS1_11comp_targetILNS1_3genE3ELNS1_11target_archE908ELNS1_3gpuE7ELNS1_3repE0EEENS1_30default_config_static_selectorELNS0_4arch9wavefront6targetE1EEEvT1_, .Lfunc_end668-_ZN7rocprim17ROCPRIM_400000_NS6detail17trampoline_kernelINS0_14default_configENS1_25partition_config_selectorILNS1_17partition_subalgoE1EsNS0_10empty_typeEbEEZZNS1_14partition_implILS5_1ELb0ES3_jN6thrust23THRUST_200600_302600_NS6detail15normal_iteratorINSA_10device_ptrIsEEEEPS6_NSA_18transform_iteratorINSA_8identityIsEESF_NSA_11use_defaultESK_EENS0_5tupleIJSF_SF_EEENSM_IJSG_SG_EEES6_PlJS6_EEE10hipError_tPvRmT3_T4_T5_T6_T7_T9_mT8_P12ihipStream_tbDpT10_ENKUlT_T0_E_clISt17integral_constantIbLb0EES18_IbLb1EEEEDaS14_S15_EUlS14_E_NS1_11comp_targetILNS1_3genE3ELNS1_11target_archE908ELNS1_3gpuE7ELNS1_3repE0EEENS1_30default_config_static_selectorELNS0_4arch9wavefront6targetE1EEEvT1_
                                        ; -- End function
	.section	.AMDGPU.csdata,"",@progbits
; Kernel info:
; codeLenInByte = 0
; NumSgprs: 6
; NumVgprs: 0
; NumAgprs: 0
; TotalNumVgprs: 0
; ScratchSize: 0
; MemoryBound: 0
; FloatMode: 240
; IeeeMode: 1
; LDSByteSize: 0 bytes/workgroup (compile time only)
; SGPRBlocks: 0
; VGPRBlocks: 0
; NumSGPRsForWavesPerEU: 6
; NumVGPRsForWavesPerEU: 1
; AccumOffset: 4
; Occupancy: 8
; WaveLimiterHint : 0
; COMPUTE_PGM_RSRC2:SCRATCH_EN: 0
; COMPUTE_PGM_RSRC2:USER_SGPR: 2
; COMPUTE_PGM_RSRC2:TRAP_HANDLER: 0
; COMPUTE_PGM_RSRC2:TGID_X_EN: 1
; COMPUTE_PGM_RSRC2:TGID_Y_EN: 0
; COMPUTE_PGM_RSRC2:TGID_Z_EN: 0
; COMPUTE_PGM_RSRC2:TIDIG_COMP_CNT: 0
; COMPUTE_PGM_RSRC3_GFX90A:ACCUM_OFFSET: 0
; COMPUTE_PGM_RSRC3_GFX90A:TG_SPLIT: 0
	.section	.text._ZN7rocprim17ROCPRIM_400000_NS6detail17trampoline_kernelINS0_14default_configENS1_25partition_config_selectorILNS1_17partition_subalgoE1EsNS0_10empty_typeEbEEZZNS1_14partition_implILS5_1ELb0ES3_jN6thrust23THRUST_200600_302600_NS6detail15normal_iteratorINSA_10device_ptrIsEEEEPS6_NSA_18transform_iteratorINSA_8identityIsEESF_NSA_11use_defaultESK_EENS0_5tupleIJSF_SF_EEENSM_IJSG_SG_EEES6_PlJS6_EEE10hipError_tPvRmT3_T4_T5_T6_T7_T9_mT8_P12ihipStream_tbDpT10_ENKUlT_T0_E_clISt17integral_constantIbLb0EES18_IbLb1EEEEDaS14_S15_EUlS14_E_NS1_11comp_targetILNS1_3genE2ELNS1_11target_archE906ELNS1_3gpuE6ELNS1_3repE0EEENS1_30default_config_static_selectorELNS0_4arch9wavefront6targetE1EEEvT1_,"axG",@progbits,_ZN7rocprim17ROCPRIM_400000_NS6detail17trampoline_kernelINS0_14default_configENS1_25partition_config_selectorILNS1_17partition_subalgoE1EsNS0_10empty_typeEbEEZZNS1_14partition_implILS5_1ELb0ES3_jN6thrust23THRUST_200600_302600_NS6detail15normal_iteratorINSA_10device_ptrIsEEEEPS6_NSA_18transform_iteratorINSA_8identityIsEESF_NSA_11use_defaultESK_EENS0_5tupleIJSF_SF_EEENSM_IJSG_SG_EEES6_PlJS6_EEE10hipError_tPvRmT3_T4_T5_T6_T7_T9_mT8_P12ihipStream_tbDpT10_ENKUlT_T0_E_clISt17integral_constantIbLb0EES18_IbLb1EEEEDaS14_S15_EUlS14_E_NS1_11comp_targetILNS1_3genE2ELNS1_11target_archE906ELNS1_3gpuE6ELNS1_3repE0EEENS1_30default_config_static_selectorELNS0_4arch9wavefront6targetE1EEEvT1_,comdat
	.protected	_ZN7rocprim17ROCPRIM_400000_NS6detail17trampoline_kernelINS0_14default_configENS1_25partition_config_selectorILNS1_17partition_subalgoE1EsNS0_10empty_typeEbEEZZNS1_14partition_implILS5_1ELb0ES3_jN6thrust23THRUST_200600_302600_NS6detail15normal_iteratorINSA_10device_ptrIsEEEEPS6_NSA_18transform_iteratorINSA_8identityIsEESF_NSA_11use_defaultESK_EENS0_5tupleIJSF_SF_EEENSM_IJSG_SG_EEES6_PlJS6_EEE10hipError_tPvRmT3_T4_T5_T6_T7_T9_mT8_P12ihipStream_tbDpT10_ENKUlT_T0_E_clISt17integral_constantIbLb0EES18_IbLb1EEEEDaS14_S15_EUlS14_E_NS1_11comp_targetILNS1_3genE2ELNS1_11target_archE906ELNS1_3gpuE6ELNS1_3repE0EEENS1_30default_config_static_selectorELNS0_4arch9wavefront6targetE1EEEvT1_ ; -- Begin function _ZN7rocprim17ROCPRIM_400000_NS6detail17trampoline_kernelINS0_14default_configENS1_25partition_config_selectorILNS1_17partition_subalgoE1EsNS0_10empty_typeEbEEZZNS1_14partition_implILS5_1ELb0ES3_jN6thrust23THRUST_200600_302600_NS6detail15normal_iteratorINSA_10device_ptrIsEEEEPS6_NSA_18transform_iteratorINSA_8identityIsEESF_NSA_11use_defaultESK_EENS0_5tupleIJSF_SF_EEENSM_IJSG_SG_EEES6_PlJS6_EEE10hipError_tPvRmT3_T4_T5_T6_T7_T9_mT8_P12ihipStream_tbDpT10_ENKUlT_T0_E_clISt17integral_constantIbLb0EES18_IbLb1EEEEDaS14_S15_EUlS14_E_NS1_11comp_targetILNS1_3genE2ELNS1_11target_archE906ELNS1_3gpuE6ELNS1_3repE0EEENS1_30default_config_static_selectorELNS0_4arch9wavefront6targetE1EEEvT1_
	.globl	_ZN7rocprim17ROCPRIM_400000_NS6detail17trampoline_kernelINS0_14default_configENS1_25partition_config_selectorILNS1_17partition_subalgoE1EsNS0_10empty_typeEbEEZZNS1_14partition_implILS5_1ELb0ES3_jN6thrust23THRUST_200600_302600_NS6detail15normal_iteratorINSA_10device_ptrIsEEEEPS6_NSA_18transform_iteratorINSA_8identityIsEESF_NSA_11use_defaultESK_EENS0_5tupleIJSF_SF_EEENSM_IJSG_SG_EEES6_PlJS6_EEE10hipError_tPvRmT3_T4_T5_T6_T7_T9_mT8_P12ihipStream_tbDpT10_ENKUlT_T0_E_clISt17integral_constantIbLb0EES18_IbLb1EEEEDaS14_S15_EUlS14_E_NS1_11comp_targetILNS1_3genE2ELNS1_11target_archE906ELNS1_3gpuE6ELNS1_3repE0EEENS1_30default_config_static_selectorELNS0_4arch9wavefront6targetE1EEEvT1_
	.p2align	8
	.type	_ZN7rocprim17ROCPRIM_400000_NS6detail17trampoline_kernelINS0_14default_configENS1_25partition_config_selectorILNS1_17partition_subalgoE1EsNS0_10empty_typeEbEEZZNS1_14partition_implILS5_1ELb0ES3_jN6thrust23THRUST_200600_302600_NS6detail15normal_iteratorINSA_10device_ptrIsEEEEPS6_NSA_18transform_iteratorINSA_8identityIsEESF_NSA_11use_defaultESK_EENS0_5tupleIJSF_SF_EEENSM_IJSG_SG_EEES6_PlJS6_EEE10hipError_tPvRmT3_T4_T5_T6_T7_T9_mT8_P12ihipStream_tbDpT10_ENKUlT_T0_E_clISt17integral_constantIbLb0EES18_IbLb1EEEEDaS14_S15_EUlS14_E_NS1_11comp_targetILNS1_3genE2ELNS1_11target_archE906ELNS1_3gpuE6ELNS1_3repE0EEENS1_30default_config_static_selectorELNS0_4arch9wavefront6targetE1EEEvT1_,@function
_ZN7rocprim17ROCPRIM_400000_NS6detail17trampoline_kernelINS0_14default_configENS1_25partition_config_selectorILNS1_17partition_subalgoE1EsNS0_10empty_typeEbEEZZNS1_14partition_implILS5_1ELb0ES3_jN6thrust23THRUST_200600_302600_NS6detail15normal_iteratorINSA_10device_ptrIsEEEEPS6_NSA_18transform_iteratorINSA_8identityIsEESF_NSA_11use_defaultESK_EENS0_5tupleIJSF_SF_EEENSM_IJSG_SG_EEES6_PlJS6_EEE10hipError_tPvRmT3_T4_T5_T6_T7_T9_mT8_P12ihipStream_tbDpT10_ENKUlT_T0_E_clISt17integral_constantIbLb0EES18_IbLb1EEEEDaS14_S15_EUlS14_E_NS1_11comp_targetILNS1_3genE2ELNS1_11target_archE906ELNS1_3gpuE6ELNS1_3repE0EEENS1_30default_config_static_selectorELNS0_4arch9wavefront6targetE1EEEvT1_: ; @_ZN7rocprim17ROCPRIM_400000_NS6detail17trampoline_kernelINS0_14default_configENS1_25partition_config_selectorILNS1_17partition_subalgoE1EsNS0_10empty_typeEbEEZZNS1_14partition_implILS5_1ELb0ES3_jN6thrust23THRUST_200600_302600_NS6detail15normal_iteratorINSA_10device_ptrIsEEEEPS6_NSA_18transform_iteratorINSA_8identityIsEESF_NSA_11use_defaultESK_EENS0_5tupleIJSF_SF_EEENSM_IJSG_SG_EEES6_PlJS6_EEE10hipError_tPvRmT3_T4_T5_T6_T7_T9_mT8_P12ihipStream_tbDpT10_ENKUlT_T0_E_clISt17integral_constantIbLb0EES18_IbLb1EEEEDaS14_S15_EUlS14_E_NS1_11comp_targetILNS1_3genE2ELNS1_11target_archE906ELNS1_3gpuE6ELNS1_3repE0EEENS1_30default_config_static_selectorELNS0_4arch9wavefront6targetE1EEEvT1_
; %bb.0:
	.section	.rodata,"a",@progbits
	.p2align	6, 0x0
	.amdhsa_kernel _ZN7rocprim17ROCPRIM_400000_NS6detail17trampoline_kernelINS0_14default_configENS1_25partition_config_selectorILNS1_17partition_subalgoE1EsNS0_10empty_typeEbEEZZNS1_14partition_implILS5_1ELb0ES3_jN6thrust23THRUST_200600_302600_NS6detail15normal_iteratorINSA_10device_ptrIsEEEEPS6_NSA_18transform_iteratorINSA_8identityIsEESF_NSA_11use_defaultESK_EENS0_5tupleIJSF_SF_EEENSM_IJSG_SG_EEES6_PlJS6_EEE10hipError_tPvRmT3_T4_T5_T6_T7_T9_mT8_P12ihipStream_tbDpT10_ENKUlT_T0_E_clISt17integral_constantIbLb0EES18_IbLb1EEEEDaS14_S15_EUlS14_E_NS1_11comp_targetILNS1_3genE2ELNS1_11target_archE906ELNS1_3gpuE6ELNS1_3repE0EEENS1_30default_config_static_selectorELNS0_4arch9wavefront6targetE1EEEvT1_
		.amdhsa_group_segment_fixed_size 0
		.amdhsa_private_segment_fixed_size 0
		.amdhsa_kernarg_size 144
		.amdhsa_user_sgpr_count 2
		.amdhsa_user_sgpr_dispatch_ptr 0
		.amdhsa_user_sgpr_queue_ptr 0
		.amdhsa_user_sgpr_kernarg_segment_ptr 1
		.amdhsa_user_sgpr_dispatch_id 0
		.amdhsa_user_sgpr_kernarg_preload_length 0
		.amdhsa_user_sgpr_kernarg_preload_offset 0
		.amdhsa_user_sgpr_private_segment_size 0
		.amdhsa_uses_dynamic_stack 0
		.amdhsa_enable_private_segment 0
		.amdhsa_system_sgpr_workgroup_id_x 1
		.amdhsa_system_sgpr_workgroup_id_y 0
		.amdhsa_system_sgpr_workgroup_id_z 0
		.amdhsa_system_sgpr_workgroup_info 0
		.amdhsa_system_vgpr_workitem_id 0
		.amdhsa_next_free_vgpr 1
		.amdhsa_next_free_sgpr 0
		.amdhsa_accum_offset 4
		.amdhsa_reserve_vcc 0
		.amdhsa_float_round_mode_32 0
		.amdhsa_float_round_mode_16_64 0
		.amdhsa_float_denorm_mode_32 3
		.amdhsa_float_denorm_mode_16_64 3
		.amdhsa_dx10_clamp 1
		.amdhsa_ieee_mode 1
		.amdhsa_fp16_overflow 0
		.amdhsa_tg_split 0
		.amdhsa_exception_fp_ieee_invalid_op 0
		.amdhsa_exception_fp_denorm_src 0
		.amdhsa_exception_fp_ieee_div_zero 0
		.amdhsa_exception_fp_ieee_overflow 0
		.amdhsa_exception_fp_ieee_underflow 0
		.amdhsa_exception_fp_ieee_inexact 0
		.amdhsa_exception_int_div_zero 0
	.end_amdhsa_kernel
	.section	.text._ZN7rocprim17ROCPRIM_400000_NS6detail17trampoline_kernelINS0_14default_configENS1_25partition_config_selectorILNS1_17partition_subalgoE1EsNS0_10empty_typeEbEEZZNS1_14partition_implILS5_1ELb0ES3_jN6thrust23THRUST_200600_302600_NS6detail15normal_iteratorINSA_10device_ptrIsEEEEPS6_NSA_18transform_iteratorINSA_8identityIsEESF_NSA_11use_defaultESK_EENS0_5tupleIJSF_SF_EEENSM_IJSG_SG_EEES6_PlJS6_EEE10hipError_tPvRmT3_T4_T5_T6_T7_T9_mT8_P12ihipStream_tbDpT10_ENKUlT_T0_E_clISt17integral_constantIbLb0EES18_IbLb1EEEEDaS14_S15_EUlS14_E_NS1_11comp_targetILNS1_3genE2ELNS1_11target_archE906ELNS1_3gpuE6ELNS1_3repE0EEENS1_30default_config_static_selectorELNS0_4arch9wavefront6targetE1EEEvT1_,"axG",@progbits,_ZN7rocprim17ROCPRIM_400000_NS6detail17trampoline_kernelINS0_14default_configENS1_25partition_config_selectorILNS1_17partition_subalgoE1EsNS0_10empty_typeEbEEZZNS1_14partition_implILS5_1ELb0ES3_jN6thrust23THRUST_200600_302600_NS6detail15normal_iteratorINSA_10device_ptrIsEEEEPS6_NSA_18transform_iteratorINSA_8identityIsEESF_NSA_11use_defaultESK_EENS0_5tupleIJSF_SF_EEENSM_IJSG_SG_EEES6_PlJS6_EEE10hipError_tPvRmT3_T4_T5_T6_T7_T9_mT8_P12ihipStream_tbDpT10_ENKUlT_T0_E_clISt17integral_constantIbLb0EES18_IbLb1EEEEDaS14_S15_EUlS14_E_NS1_11comp_targetILNS1_3genE2ELNS1_11target_archE906ELNS1_3gpuE6ELNS1_3repE0EEENS1_30default_config_static_selectorELNS0_4arch9wavefront6targetE1EEEvT1_,comdat
.Lfunc_end669:
	.size	_ZN7rocprim17ROCPRIM_400000_NS6detail17trampoline_kernelINS0_14default_configENS1_25partition_config_selectorILNS1_17partition_subalgoE1EsNS0_10empty_typeEbEEZZNS1_14partition_implILS5_1ELb0ES3_jN6thrust23THRUST_200600_302600_NS6detail15normal_iteratorINSA_10device_ptrIsEEEEPS6_NSA_18transform_iteratorINSA_8identityIsEESF_NSA_11use_defaultESK_EENS0_5tupleIJSF_SF_EEENSM_IJSG_SG_EEES6_PlJS6_EEE10hipError_tPvRmT3_T4_T5_T6_T7_T9_mT8_P12ihipStream_tbDpT10_ENKUlT_T0_E_clISt17integral_constantIbLb0EES18_IbLb1EEEEDaS14_S15_EUlS14_E_NS1_11comp_targetILNS1_3genE2ELNS1_11target_archE906ELNS1_3gpuE6ELNS1_3repE0EEENS1_30default_config_static_selectorELNS0_4arch9wavefront6targetE1EEEvT1_, .Lfunc_end669-_ZN7rocprim17ROCPRIM_400000_NS6detail17trampoline_kernelINS0_14default_configENS1_25partition_config_selectorILNS1_17partition_subalgoE1EsNS0_10empty_typeEbEEZZNS1_14partition_implILS5_1ELb0ES3_jN6thrust23THRUST_200600_302600_NS6detail15normal_iteratorINSA_10device_ptrIsEEEEPS6_NSA_18transform_iteratorINSA_8identityIsEESF_NSA_11use_defaultESK_EENS0_5tupleIJSF_SF_EEENSM_IJSG_SG_EEES6_PlJS6_EEE10hipError_tPvRmT3_T4_T5_T6_T7_T9_mT8_P12ihipStream_tbDpT10_ENKUlT_T0_E_clISt17integral_constantIbLb0EES18_IbLb1EEEEDaS14_S15_EUlS14_E_NS1_11comp_targetILNS1_3genE2ELNS1_11target_archE906ELNS1_3gpuE6ELNS1_3repE0EEENS1_30default_config_static_selectorELNS0_4arch9wavefront6targetE1EEEvT1_
                                        ; -- End function
	.section	.AMDGPU.csdata,"",@progbits
; Kernel info:
; codeLenInByte = 0
; NumSgprs: 6
; NumVgprs: 0
; NumAgprs: 0
; TotalNumVgprs: 0
; ScratchSize: 0
; MemoryBound: 0
; FloatMode: 240
; IeeeMode: 1
; LDSByteSize: 0 bytes/workgroup (compile time only)
; SGPRBlocks: 0
; VGPRBlocks: 0
; NumSGPRsForWavesPerEU: 6
; NumVGPRsForWavesPerEU: 1
; AccumOffset: 4
; Occupancy: 8
; WaveLimiterHint : 0
; COMPUTE_PGM_RSRC2:SCRATCH_EN: 0
; COMPUTE_PGM_RSRC2:USER_SGPR: 2
; COMPUTE_PGM_RSRC2:TRAP_HANDLER: 0
; COMPUTE_PGM_RSRC2:TGID_X_EN: 1
; COMPUTE_PGM_RSRC2:TGID_Y_EN: 0
; COMPUTE_PGM_RSRC2:TGID_Z_EN: 0
; COMPUTE_PGM_RSRC2:TIDIG_COMP_CNT: 0
; COMPUTE_PGM_RSRC3_GFX90A:ACCUM_OFFSET: 0
; COMPUTE_PGM_RSRC3_GFX90A:TG_SPLIT: 0
	.section	.text._ZN7rocprim17ROCPRIM_400000_NS6detail17trampoline_kernelINS0_14default_configENS1_25partition_config_selectorILNS1_17partition_subalgoE1EsNS0_10empty_typeEbEEZZNS1_14partition_implILS5_1ELb0ES3_jN6thrust23THRUST_200600_302600_NS6detail15normal_iteratorINSA_10device_ptrIsEEEEPS6_NSA_18transform_iteratorINSA_8identityIsEESF_NSA_11use_defaultESK_EENS0_5tupleIJSF_SF_EEENSM_IJSG_SG_EEES6_PlJS6_EEE10hipError_tPvRmT3_T4_T5_T6_T7_T9_mT8_P12ihipStream_tbDpT10_ENKUlT_T0_E_clISt17integral_constantIbLb0EES18_IbLb1EEEEDaS14_S15_EUlS14_E_NS1_11comp_targetILNS1_3genE10ELNS1_11target_archE1200ELNS1_3gpuE4ELNS1_3repE0EEENS1_30default_config_static_selectorELNS0_4arch9wavefront6targetE1EEEvT1_,"axG",@progbits,_ZN7rocprim17ROCPRIM_400000_NS6detail17trampoline_kernelINS0_14default_configENS1_25partition_config_selectorILNS1_17partition_subalgoE1EsNS0_10empty_typeEbEEZZNS1_14partition_implILS5_1ELb0ES3_jN6thrust23THRUST_200600_302600_NS6detail15normal_iteratorINSA_10device_ptrIsEEEEPS6_NSA_18transform_iteratorINSA_8identityIsEESF_NSA_11use_defaultESK_EENS0_5tupleIJSF_SF_EEENSM_IJSG_SG_EEES6_PlJS6_EEE10hipError_tPvRmT3_T4_T5_T6_T7_T9_mT8_P12ihipStream_tbDpT10_ENKUlT_T0_E_clISt17integral_constantIbLb0EES18_IbLb1EEEEDaS14_S15_EUlS14_E_NS1_11comp_targetILNS1_3genE10ELNS1_11target_archE1200ELNS1_3gpuE4ELNS1_3repE0EEENS1_30default_config_static_selectorELNS0_4arch9wavefront6targetE1EEEvT1_,comdat
	.protected	_ZN7rocprim17ROCPRIM_400000_NS6detail17trampoline_kernelINS0_14default_configENS1_25partition_config_selectorILNS1_17partition_subalgoE1EsNS0_10empty_typeEbEEZZNS1_14partition_implILS5_1ELb0ES3_jN6thrust23THRUST_200600_302600_NS6detail15normal_iteratorINSA_10device_ptrIsEEEEPS6_NSA_18transform_iteratorINSA_8identityIsEESF_NSA_11use_defaultESK_EENS0_5tupleIJSF_SF_EEENSM_IJSG_SG_EEES6_PlJS6_EEE10hipError_tPvRmT3_T4_T5_T6_T7_T9_mT8_P12ihipStream_tbDpT10_ENKUlT_T0_E_clISt17integral_constantIbLb0EES18_IbLb1EEEEDaS14_S15_EUlS14_E_NS1_11comp_targetILNS1_3genE10ELNS1_11target_archE1200ELNS1_3gpuE4ELNS1_3repE0EEENS1_30default_config_static_selectorELNS0_4arch9wavefront6targetE1EEEvT1_ ; -- Begin function _ZN7rocprim17ROCPRIM_400000_NS6detail17trampoline_kernelINS0_14default_configENS1_25partition_config_selectorILNS1_17partition_subalgoE1EsNS0_10empty_typeEbEEZZNS1_14partition_implILS5_1ELb0ES3_jN6thrust23THRUST_200600_302600_NS6detail15normal_iteratorINSA_10device_ptrIsEEEEPS6_NSA_18transform_iteratorINSA_8identityIsEESF_NSA_11use_defaultESK_EENS0_5tupleIJSF_SF_EEENSM_IJSG_SG_EEES6_PlJS6_EEE10hipError_tPvRmT3_T4_T5_T6_T7_T9_mT8_P12ihipStream_tbDpT10_ENKUlT_T0_E_clISt17integral_constantIbLb0EES18_IbLb1EEEEDaS14_S15_EUlS14_E_NS1_11comp_targetILNS1_3genE10ELNS1_11target_archE1200ELNS1_3gpuE4ELNS1_3repE0EEENS1_30default_config_static_selectorELNS0_4arch9wavefront6targetE1EEEvT1_
	.globl	_ZN7rocprim17ROCPRIM_400000_NS6detail17trampoline_kernelINS0_14default_configENS1_25partition_config_selectorILNS1_17partition_subalgoE1EsNS0_10empty_typeEbEEZZNS1_14partition_implILS5_1ELb0ES3_jN6thrust23THRUST_200600_302600_NS6detail15normal_iteratorINSA_10device_ptrIsEEEEPS6_NSA_18transform_iteratorINSA_8identityIsEESF_NSA_11use_defaultESK_EENS0_5tupleIJSF_SF_EEENSM_IJSG_SG_EEES6_PlJS6_EEE10hipError_tPvRmT3_T4_T5_T6_T7_T9_mT8_P12ihipStream_tbDpT10_ENKUlT_T0_E_clISt17integral_constantIbLb0EES18_IbLb1EEEEDaS14_S15_EUlS14_E_NS1_11comp_targetILNS1_3genE10ELNS1_11target_archE1200ELNS1_3gpuE4ELNS1_3repE0EEENS1_30default_config_static_selectorELNS0_4arch9wavefront6targetE1EEEvT1_
	.p2align	8
	.type	_ZN7rocprim17ROCPRIM_400000_NS6detail17trampoline_kernelINS0_14default_configENS1_25partition_config_selectorILNS1_17partition_subalgoE1EsNS0_10empty_typeEbEEZZNS1_14partition_implILS5_1ELb0ES3_jN6thrust23THRUST_200600_302600_NS6detail15normal_iteratorINSA_10device_ptrIsEEEEPS6_NSA_18transform_iteratorINSA_8identityIsEESF_NSA_11use_defaultESK_EENS0_5tupleIJSF_SF_EEENSM_IJSG_SG_EEES6_PlJS6_EEE10hipError_tPvRmT3_T4_T5_T6_T7_T9_mT8_P12ihipStream_tbDpT10_ENKUlT_T0_E_clISt17integral_constantIbLb0EES18_IbLb1EEEEDaS14_S15_EUlS14_E_NS1_11comp_targetILNS1_3genE10ELNS1_11target_archE1200ELNS1_3gpuE4ELNS1_3repE0EEENS1_30default_config_static_selectorELNS0_4arch9wavefront6targetE1EEEvT1_,@function
_ZN7rocprim17ROCPRIM_400000_NS6detail17trampoline_kernelINS0_14default_configENS1_25partition_config_selectorILNS1_17partition_subalgoE1EsNS0_10empty_typeEbEEZZNS1_14partition_implILS5_1ELb0ES3_jN6thrust23THRUST_200600_302600_NS6detail15normal_iteratorINSA_10device_ptrIsEEEEPS6_NSA_18transform_iteratorINSA_8identityIsEESF_NSA_11use_defaultESK_EENS0_5tupleIJSF_SF_EEENSM_IJSG_SG_EEES6_PlJS6_EEE10hipError_tPvRmT3_T4_T5_T6_T7_T9_mT8_P12ihipStream_tbDpT10_ENKUlT_T0_E_clISt17integral_constantIbLb0EES18_IbLb1EEEEDaS14_S15_EUlS14_E_NS1_11comp_targetILNS1_3genE10ELNS1_11target_archE1200ELNS1_3gpuE4ELNS1_3repE0EEENS1_30default_config_static_selectorELNS0_4arch9wavefront6targetE1EEEvT1_: ; @_ZN7rocprim17ROCPRIM_400000_NS6detail17trampoline_kernelINS0_14default_configENS1_25partition_config_selectorILNS1_17partition_subalgoE1EsNS0_10empty_typeEbEEZZNS1_14partition_implILS5_1ELb0ES3_jN6thrust23THRUST_200600_302600_NS6detail15normal_iteratorINSA_10device_ptrIsEEEEPS6_NSA_18transform_iteratorINSA_8identityIsEESF_NSA_11use_defaultESK_EENS0_5tupleIJSF_SF_EEENSM_IJSG_SG_EEES6_PlJS6_EEE10hipError_tPvRmT3_T4_T5_T6_T7_T9_mT8_P12ihipStream_tbDpT10_ENKUlT_T0_E_clISt17integral_constantIbLb0EES18_IbLb1EEEEDaS14_S15_EUlS14_E_NS1_11comp_targetILNS1_3genE10ELNS1_11target_archE1200ELNS1_3gpuE4ELNS1_3repE0EEENS1_30default_config_static_selectorELNS0_4arch9wavefront6targetE1EEEvT1_
; %bb.0:
	.section	.rodata,"a",@progbits
	.p2align	6, 0x0
	.amdhsa_kernel _ZN7rocprim17ROCPRIM_400000_NS6detail17trampoline_kernelINS0_14default_configENS1_25partition_config_selectorILNS1_17partition_subalgoE1EsNS0_10empty_typeEbEEZZNS1_14partition_implILS5_1ELb0ES3_jN6thrust23THRUST_200600_302600_NS6detail15normal_iteratorINSA_10device_ptrIsEEEEPS6_NSA_18transform_iteratorINSA_8identityIsEESF_NSA_11use_defaultESK_EENS0_5tupleIJSF_SF_EEENSM_IJSG_SG_EEES6_PlJS6_EEE10hipError_tPvRmT3_T4_T5_T6_T7_T9_mT8_P12ihipStream_tbDpT10_ENKUlT_T0_E_clISt17integral_constantIbLb0EES18_IbLb1EEEEDaS14_S15_EUlS14_E_NS1_11comp_targetILNS1_3genE10ELNS1_11target_archE1200ELNS1_3gpuE4ELNS1_3repE0EEENS1_30default_config_static_selectorELNS0_4arch9wavefront6targetE1EEEvT1_
		.amdhsa_group_segment_fixed_size 0
		.amdhsa_private_segment_fixed_size 0
		.amdhsa_kernarg_size 144
		.amdhsa_user_sgpr_count 2
		.amdhsa_user_sgpr_dispatch_ptr 0
		.amdhsa_user_sgpr_queue_ptr 0
		.amdhsa_user_sgpr_kernarg_segment_ptr 1
		.amdhsa_user_sgpr_dispatch_id 0
		.amdhsa_user_sgpr_kernarg_preload_length 0
		.amdhsa_user_sgpr_kernarg_preload_offset 0
		.amdhsa_user_sgpr_private_segment_size 0
		.amdhsa_uses_dynamic_stack 0
		.amdhsa_enable_private_segment 0
		.amdhsa_system_sgpr_workgroup_id_x 1
		.amdhsa_system_sgpr_workgroup_id_y 0
		.amdhsa_system_sgpr_workgroup_id_z 0
		.amdhsa_system_sgpr_workgroup_info 0
		.amdhsa_system_vgpr_workitem_id 0
		.amdhsa_next_free_vgpr 1
		.amdhsa_next_free_sgpr 0
		.amdhsa_accum_offset 4
		.amdhsa_reserve_vcc 0
		.amdhsa_float_round_mode_32 0
		.amdhsa_float_round_mode_16_64 0
		.amdhsa_float_denorm_mode_32 3
		.amdhsa_float_denorm_mode_16_64 3
		.amdhsa_dx10_clamp 1
		.amdhsa_ieee_mode 1
		.amdhsa_fp16_overflow 0
		.amdhsa_tg_split 0
		.amdhsa_exception_fp_ieee_invalid_op 0
		.amdhsa_exception_fp_denorm_src 0
		.amdhsa_exception_fp_ieee_div_zero 0
		.amdhsa_exception_fp_ieee_overflow 0
		.amdhsa_exception_fp_ieee_underflow 0
		.amdhsa_exception_fp_ieee_inexact 0
		.amdhsa_exception_int_div_zero 0
	.end_amdhsa_kernel
	.section	.text._ZN7rocprim17ROCPRIM_400000_NS6detail17trampoline_kernelINS0_14default_configENS1_25partition_config_selectorILNS1_17partition_subalgoE1EsNS0_10empty_typeEbEEZZNS1_14partition_implILS5_1ELb0ES3_jN6thrust23THRUST_200600_302600_NS6detail15normal_iteratorINSA_10device_ptrIsEEEEPS6_NSA_18transform_iteratorINSA_8identityIsEESF_NSA_11use_defaultESK_EENS0_5tupleIJSF_SF_EEENSM_IJSG_SG_EEES6_PlJS6_EEE10hipError_tPvRmT3_T4_T5_T6_T7_T9_mT8_P12ihipStream_tbDpT10_ENKUlT_T0_E_clISt17integral_constantIbLb0EES18_IbLb1EEEEDaS14_S15_EUlS14_E_NS1_11comp_targetILNS1_3genE10ELNS1_11target_archE1200ELNS1_3gpuE4ELNS1_3repE0EEENS1_30default_config_static_selectorELNS0_4arch9wavefront6targetE1EEEvT1_,"axG",@progbits,_ZN7rocprim17ROCPRIM_400000_NS6detail17trampoline_kernelINS0_14default_configENS1_25partition_config_selectorILNS1_17partition_subalgoE1EsNS0_10empty_typeEbEEZZNS1_14partition_implILS5_1ELb0ES3_jN6thrust23THRUST_200600_302600_NS6detail15normal_iteratorINSA_10device_ptrIsEEEEPS6_NSA_18transform_iteratorINSA_8identityIsEESF_NSA_11use_defaultESK_EENS0_5tupleIJSF_SF_EEENSM_IJSG_SG_EEES6_PlJS6_EEE10hipError_tPvRmT3_T4_T5_T6_T7_T9_mT8_P12ihipStream_tbDpT10_ENKUlT_T0_E_clISt17integral_constantIbLb0EES18_IbLb1EEEEDaS14_S15_EUlS14_E_NS1_11comp_targetILNS1_3genE10ELNS1_11target_archE1200ELNS1_3gpuE4ELNS1_3repE0EEENS1_30default_config_static_selectorELNS0_4arch9wavefront6targetE1EEEvT1_,comdat
.Lfunc_end670:
	.size	_ZN7rocprim17ROCPRIM_400000_NS6detail17trampoline_kernelINS0_14default_configENS1_25partition_config_selectorILNS1_17partition_subalgoE1EsNS0_10empty_typeEbEEZZNS1_14partition_implILS5_1ELb0ES3_jN6thrust23THRUST_200600_302600_NS6detail15normal_iteratorINSA_10device_ptrIsEEEEPS6_NSA_18transform_iteratorINSA_8identityIsEESF_NSA_11use_defaultESK_EENS0_5tupleIJSF_SF_EEENSM_IJSG_SG_EEES6_PlJS6_EEE10hipError_tPvRmT3_T4_T5_T6_T7_T9_mT8_P12ihipStream_tbDpT10_ENKUlT_T0_E_clISt17integral_constantIbLb0EES18_IbLb1EEEEDaS14_S15_EUlS14_E_NS1_11comp_targetILNS1_3genE10ELNS1_11target_archE1200ELNS1_3gpuE4ELNS1_3repE0EEENS1_30default_config_static_selectorELNS0_4arch9wavefront6targetE1EEEvT1_, .Lfunc_end670-_ZN7rocprim17ROCPRIM_400000_NS6detail17trampoline_kernelINS0_14default_configENS1_25partition_config_selectorILNS1_17partition_subalgoE1EsNS0_10empty_typeEbEEZZNS1_14partition_implILS5_1ELb0ES3_jN6thrust23THRUST_200600_302600_NS6detail15normal_iteratorINSA_10device_ptrIsEEEEPS6_NSA_18transform_iteratorINSA_8identityIsEESF_NSA_11use_defaultESK_EENS0_5tupleIJSF_SF_EEENSM_IJSG_SG_EEES6_PlJS6_EEE10hipError_tPvRmT3_T4_T5_T6_T7_T9_mT8_P12ihipStream_tbDpT10_ENKUlT_T0_E_clISt17integral_constantIbLb0EES18_IbLb1EEEEDaS14_S15_EUlS14_E_NS1_11comp_targetILNS1_3genE10ELNS1_11target_archE1200ELNS1_3gpuE4ELNS1_3repE0EEENS1_30default_config_static_selectorELNS0_4arch9wavefront6targetE1EEEvT1_
                                        ; -- End function
	.section	.AMDGPU.csdata,"",@progbits
; Kernel info:
; codeLenInByte = 0
; NumSgprs: 6
; NumVgprs: 0
; NumAgprs: 0
; TotalNumVgprs: 0
; ScratchSize: 0
; MemoryBound: 0
; FloatMode: 240
; IeeeMode: 1
; LDSByteSize: 0 bytes/workgroup (compile time only)
; SGPRBlocks: 0
; VGPRBlocks: 0
; NumSGPRsForWavesPerEU: 6
; NumVGPRsForWavesPerEU: 1
; AccumOffset: 4
; Occupancy: 8
; WaveLimiterHint : 0
; COMPUTE_PGM_RSRC2:SCRATCH_EN: 0
; COMPUTE_PGM_RSRC2:USER_SGPR: 2
; COMPUTE_PGM_RSRC2:TRAP_HANDLER: 0
; COMPUTE_PGM_RSRC2:TGID_X_EN: 1
; COMPUTE_PGM_RSRC2:TGID_Y_EN: 0
; COMPUTE_PGM_RSRC2:TGID_Z_EN: 0
; COMPUTE_PGM_RSRC2:TIDIG_COMP_CNT: 0
; COMPUTE_PGM_RSRC3_GFX90A:ACCUM_OFFSET: 0
; COMPUTE_PGM_RSRC3_GFX90A:TG_SPLIT: 0
	.section	.text._ZN7rocprim17ROCPRIM_400000_NS6detail17trampoline_kernelINS0_14default_configENS1_25partition_config_selectorILNS1_17partition_subalgoE1EsNS0_10empty_typeEbEEZZNS1_14partition_implILS5_1ELb0ES3_jN6thrust23THRUST_200600_302600_NS6detail15normal_iteratorINSA_10device_ptrIsEEEEPS6_NSA_18transform_iteratorINSA_8identityIsEESF_NSA_11use_defaultESK_EENS0_5tupleIJSF_SF_EEENSM_IJSG_SG_EEES6_PlJS6_EEE10hipError_tPvRmT3_T4_T5_T6_T7_T9_mT8_P12ihipStream_tbDpT10_ENKUlT_T0_E_clISt17integral_constantIbLb0EES18_IbLb1EEEEDaS14_S15_EUlS14_E_NS1_11comp_targetILNS1_3genE9ELNS1_11target_archE1100ELNS1_3gpuE3ELNS1_3repE0EEENS1_30default_config_static_selectorELNS0_4arch9wavefront6targetE1EEEvT1_,"axG",@progbits,_ZN7rocprim17ROCPRIM_400000_NS6detail17trampoline_kernelINS0_14default_configENS1_25partition_config_selectorILNS1_17partition_subalgoE1EsNS0_10empty_typeEbEEZZNS1_14partition_implILS5_1ELb0ES3_jN6thrust23THRUST_200600_302600_NS6detail15normal_iteratorINSA_10device_ptrIsEEEEPS6_NSA_18transform_iteratorINSA_8identityIsEESF_NSA_11use_defaultESK_EENS0_5tupleIJSF_SF_EEENSM_IJSG_SG_EEES6_PlJS6_EEE10hipError_tPvRmT3_T4_T5_T6_T7_T9_mT8_P12ihipStream_tbDpT10_ENKUlT_T0_E_clISt17integral_constantIbLb0EES18_IbLb1EEEEDaS14_S15_EUlS14_E_NS1_11comp_targetILNS1_3genE9ELNS1_11target_archE1100ELNS1_3gpuE3ELNS1_3repE0EEENS1_30default_config_static_selectorELNS0_4arch9wavefront6targetE1EEEvT1_,comdat
	.protected	_ZN7rocprim17ROCPRIM_400000_NS6detail17trampoline_kernelINS0_14default_configENS1_25partition_config_selectorILNS1_17partition_subalgoE1EsNS0_10empty_typeEbEEZZNS1_14partition_implILS5_1ELb0ES3_jN6thrust23THRUST_200600_302600_NS6detail15normal_iteratorINSA_10device_ptrIsEEEEPS6_NSA_18transform_iteratorINSA_8identityIsEESF_NSA_11use_defaultESK_EENS0_5tupleIJSF_SF_EEENSM_IJSG_SG_EEES6_PlJS6_EEE10hipError_tPvRmT3_T4_T5_T6_T7_T9_mT8_P12ihipStream_tbDpT10_ENKUlT_T0_E_clISt17integral_constantIbLb0EES18_IbLb1EEEEDaS14_S15_EUlS14_E_NS1_11comp_targetILNS1_3genE9ELNS1_11target_archE1100ELNS1_3gpuE3ELNS1_3repE0EEENS1_30default_config_static_selectorELNS0_4arch9wavefront6targetE1EEEvT1_ ; -- Begin function _ZN7rocprim17ROCPRIM_400000_NS6detail17trampoline_kernelINS0_14default_configENS1_25partition_config_selectorILNS1_17partition_subalgoE1EsNS0_10empty_typeEbEEZZNS1_14partition_implILS5_1ELb0ES3_jN6thrust23THRUST_200600_302600_NS6detail15normal_iteratorINSA_10device_ptrIsEEEEPS6_NSA_18transform_iteratorINSA_8identityIsEESF_NSA_11use_defaultESK_EENS0_5tupleIJSF_SF_EEENSM_IJSG_SG_EEES6_PlJS6_EEE10hipError_tPvRmT3_T4_T5_T6_T7_T9_mT8_P12ihipStream_tbDpT10_ENKUlT_T0_E_clISt17integral_constantIbLb0EES18_IbLb1EEEEDaS14_S15_EUlS14_E_NS1_11comp_targetILNS1_3genE9ELNS1_11target_archE1100ELNS1_3gpuE3ELNS1_3repE0EEENS1_30default_config_static_selectorELNS0_4arch9wavefront6targetE1EEEvT1_
	.globl	_ZN7rocprim17ROCPRIM_400000_NS6detail17trampoline_kernelINS0_14default_configENS1_25partition_config_selectorILNS1_17partition_subalgoE1EsNS0_10empty_typeEbEEZZNS1_14partition_implILS5_1ELb0ES3_jN6thrust23THRUST_200600_302600_NS6detail15normal_iteratorINSA_10device_ptrIsEEEEPS6_NSA_18transform_iteratorINSA_8identityIsEESF_NSA_11use_defaultESK_EENS0_5tupleIJSF_SF_EEENSM_IJSG_SG_EEES6_PlJS6_EEE10hipError_tPvRmT3_T4_T5_T6_T7_T9_mT8_P12ihipStream_tbDpT10_ENKUlT_T0_E_clISt17integral_constantIbLb0EES18_IbLb1EEEEDaS14_S15_EUlS14_E_NS1_11comp_targetILNS1_3genE9ELNS1_11target_archE1100ELNS1_3gpuE3ELNS1_3repE0EEENS1_30default_config_static_selectorELNS0_4arch9wavefront6targetE1EEEvT1_
	.p2align	8
	.type	_ZN7rocprim17ROCPRIM_400000_NS6detail17trampoline_kernelINS0_14default_configENS1_25partition_config_selectorILNS1_17partition_subalgoE1EsNS0_10empty_typeEbEEZZNS1_14partition_implILS5_1ELb0ES3_jN6thrust23THRUST_200600_302600_NS6detail15normal_iteratorINSA_10device_ptrIsEEEEPS6_NSA_18transform_iteratorINSA_8identityIsEESF_NSA_11use_defaultESK_EENS0_5tupleIJSF_SF_EEENSM_IJSG_SG_EEES6_PlJS6_EEE10hipError_tPvRmT3_T4_T5_T6_T7_T9_mT8_P12ihipStream_tbDpT10_ENKUlT_T0_E_clISt17integral_constantIbLb0EES18_IbLb1EEEEDaS14_S15_EUlS14_E_NS1_11comp_targetILNS1_3genE9ELNS1_11target_archE1100ELNS1_3gpuE3ELNS1_3repE0EEENS1_30default_config_static_selectorELNS0_4arch9wavefront6targetE1EEEvT1_,@function
_ZN7rocprim17ROCPRIM_400000_NS6detail17trampoline_kernelINS0_14default_configENS1_25partition_config_selectorILNS1_17partition_subalgoE1EsNS0_10empty_typeEbEEZZNS1_14partition_implILS5_1ELb0ES3_jN6thrust23THRUST_200600_302600_NS6detail15normal_iteratorINSA_10device_ptrIsEEEEPS6_NSA_18transform_iteratorINSA_8identityIsEESF_NSA_11use_defaultESK_EENS0_5tupleIJSF_SF_EEENSM_IJSG_SG_EEES6_PlJS6_EEE10hipError_tPvRmT3_T4_T5_T6_T7_T9_mT8_P12ihipStream_tbDpT10_ENKUlT_T0_E_clISt17integral_constantIbLb0EES18_IbLb1EEEEDaS14_S15_EUlS14_E_NS1_11comp_targetILNS1_3genE9ELNS1_11target_archE1100ELNS1_3gpuE3ELNS1_3repE0EEENS1_30default_config_static_selectorELNS0_4arch9wavefront6targetE1EEEvT1_: ; @_ZN7rocprim17ROCPRIM_400000_NS6detail17trampoline_kernelINS0_14default_configENS1_25partition_config_selectorILNS1_17partition_subalgoE1EsNS0_10empty_typeEbEEZZNS1_14partition_implILS5_1ELb0ES3_jN6thrust23THRUST_200600_302600_NS6detail15normal_iteratorINSA_10device_ptrIsEEEEPS6_NSA_18transform_iteratorINSA_8identityIsEESF_NSA_11use_defaultESK_EENS0_5tupleIJSF_SF_EEENSM_IJSG_SG_EEES6_PlJS6_EEE10hipError_tPvRmT3_T4_T5_T6_T7_T9_mT8_P12ihipStream_tbDpT10_ENKUlT_T0_E_clISt17integral_constantIbLb0EES18_IbLb1EEEEDaS14_S15_EUlS14_E_NS1_11comp_targetILNS1_3genE9ELNS1_11target_archE1100ELNS1_3gpuE3ELNS1_3repE0EEENS1_30default_config_static_selectorELNS0_4arch9wavefront6targetE1EEEvT1_
; %bb.0:
	.section	.rodata,"a",@progbits
	.p2align	6, 0x0
	.amdhsa_kernel _ZN7rocprim17ROCPRIM_400000_NS6detail17trampoline_kernelINS0_14default_configENS1_25partition_config_selectorILNS1_17partition_subalgoE1EsNS0_10empty_typeEbEEZZNS1_14partition_implILS5_1ELb0ES3_jN6thrust23THRUST_200600_302600_NS6detail15normal_iteratorINSA_10device_ptrIsEEEEPS6_NSA_18transform_iteratorINSA_8identityIsEESF_NSA_11use_defaultESK_EENS0_5tupleIJSF_SF_EEENSM_IJSG_SG_EEES6_PlJS6_EEE10hipError_tPvRmT3_T4_T5_T6_T7_T9_mT8_P12ihipStream_tbDpT10_ENKUlT_T0_E_clISt17integral_constantIbLb0EES18_IbLb1EEEEDaS14_S15_EUlS14_E_NS1_11comp_targetILNS1_3genE9ELNS1_11target_archE1100ELNS1_3gpuE3ELNS1_3repE0EEENS1_30default_config_static_selectorELNS0_4arch9wavefront6targetE1EEEvT1_
		.amdhsa_group_segment_fixed_size 0
		.amdhsa_private_segment_fixed_size 0
		.amdhsa_kernarg_size 144
		.amdhsa_user_sgpr_count 2
		.amdhsa_user_sgpr_dispatch_ptr 0
		.amdhsa_user_sgpr_queue_ptr 0
		.amdhsa_user_sgpr_kernarg_segment_ptr 1
		.amdhsa_user_sgpr_dispatch_id 0
		.amdhsa_user_sgpr_kernarg_preload_length 0
		.amdhsa_user_sgpr_kernarg_preload_offset 0
		.amdhsa_user_sgpr_private_segment_size 0
		.amdhsa_uses_dynamic_stack 0
		.amdhsa_enable_private_segment 0
		.amdhsa_system_sgpr_workgroup_id_x 1
		.amdhsa_system_sgpr_workgroup_id_y 0
		.amdhsa_system_sgpr_workgroup_id_z 0
		.amdhsa_system_sgpr_workgroup_info 0
		.amdhsa_system_vgpr_workitem_id 0
		.amdhsa_next_free_vgpr 1
		.amdhsa_next_free_sgpr 0
		.amdhsa_accum_offset 4
		.amdhsa_reserve_vcc 0
		.amdhsa_float_round_mode_32 0
		.amdhsa_float_round_mode_16_64 0
		.amdhsa_float_denorm_mode_32 3
		.amdhsa_float_denorm_mode_16_64 3
		.amdhsa_dx10_clamp 1
		.amdhsa_ieee_mode 1
		.amdhsa_fp16_overflow 0
		.amdhsa_tg_split 0
		.amdhsa_exception_fp_ieee_invalid_op 0
		.amdhsa_exception_fp_denorm_src 0
		.amdhsa_exception_fp_ieee_div_zero 0
		.amdhsa_exception_fp_ieee_overflow 0
		.amdhsa_exception_fp_ieee_underflow 0
		.amdhsa_exception_fp_ieee_inexact 0
		.amdhsa_exception_int_div_zero 0
	.end_amdhsa_kernel
	.section	.text._ZN7rocprim17ROCPRIM_400000_NS6detail17trampoline_kernelINS0_14default_configENS1_25partition_config_selectorILNS1_17partition_subalgoE1EsNS0_10empty_typeEbEEZZNS1_14partition_implILS5_1ELb0ES3_jN6thrust23THRUST_200600_302600_NS6detail15normal_iteratorINSA_10device_ptrIsEEEEPS6_NSA_18transform_iteratorINSA_8identityIsEESF_NSA_11use_defaultESK_EENS0_5tupleIJSF_SF_EEENSM_IJSG_SG_EEES6_PlJS6_EEE10hipError_tPvRmT3_T4_T5_T6_T7_T9_mT8_P12ihipStream_tbDpT10_ENKUlT_T0_E_clISt17integral_constantIbLb0EES18_IbLb1EEEEDaS14_S15_EUlS14_E_NS1_11comp_targetILNS1_3genE9ELNS1_11target_archE1100ELNS1_3gpuE3ELNS1_3repE0EEENS1_30default_config_static_selectorELNS0_4arch9wavefront6targetE1EEEvT1_,"axG",@progbits,_ZN7rocprim17ROCPRIM_400000_NS6detail17trampoline_kernelINS0_14default_configENS1_25partition_config_selectorILNS1_17partition_subalgoE1EsNS0_10empty_typeEbEEZZNS1_14partition_implILS5_1ELb0ES3_jN6thrust23THRUST_200600_302600_NS6detail15normal_iteratorINSA_10device_ptrIsEEEEPS6_NSA_18transform_iteratorINSA_8identityIsEESF_NSA_11use_defaultESK_EENS0_5tupleIJSF_SF_EEENSM_IJSG_SG_EEES6_PlJS6_EEE10hipError_tPvRmT3_T4_T5_T6_T7_T9_mT8_P12ihipStream_tbDpT10_ENKUlT_T0_E_clISt17integral_constantIbLb0EES18_IbLb1EEEEDaS14_S15_EUlS14_E_NS1_11comp_targetILNS1_3genE9ELNS1_11target_archE1100ELNS1_3gpuE3ELNS1_3repE0EEENS1_30default_config_static_selectorELNS0_4arch9wavefront6targetE1EEEvT1_,comdat
.Lfunc_end671:
	.size	_ZN7rocprim17ROCPRIM_400000_NS6detail17trampoline_kernelINS0_14default_configENS1_25partition_config_selectorILNS1_17partition_subalgoE1EsNS0_10empty_typeEbEEZZNS1_14partition_implILS5_1ELb0ES3_jN6thrust23THRUST_200600_302600_NS6detail15normal_iteratorINSA_10device_ptrIsEEEEPS6_NSA_18transform_iteratorINSA_8identityIsEESF_NSA_11use_defaultESK_EENS0_5tupleIJSF_SF_EEENSM_IJSG_SG_EEES6_PlJS6_EEE10hipError_tPvRmT3_T4_T5_T6_T7_T9_mT8_P12ihipStream_tbDpT10_ENKUlT_T0_E_clISt17integral_constantIbLb0EES18_IbLb1EEEEDaS14_S15_EUlS14_E_NS1_11comp_targetILNS1_3genE9ELNS1_11target_archE1100ELNS1_3gpuE3ELNS1_3repE0EEENS1_30default_config_static_selectorELNS0_4arch9wavefront6targetE1EEEvT1_, .Lfunc_end671-_ZN7rocprim17ROCPRIM_400000_NS6detail17trampoline_kernelINS0_14default_configENS1_25partition_config_selectorILNS1_17partition_subalgoE1EsNS0_10empty_typeEbEEZZNS1_14partition_implILS5_1ELb0ES3_jN6thrust23THRUST_200600_302600_NS6detail15normal_iteratorINSA_10device_ptrIsEEEEPS6_NSA_18transform_iteratorINSA_8identityIsEESF_NSA_11use_defaultESK_EENS0_5tupleIJSF_SF_EEENSM_IJSG_SG_EEES6_PlJS6_EEE10hipError_tPvRmT3_T4_T5_T6_T7_T9_mT8_P12ihipStream_tbDpT10_ENKUlT_T0_E_clISt17integral_constantIbLb0EES18_IbLb1EEEEDaS14_S15_EUlS14_E_NS1_11comp_targetILNS1_3genE9ELNS1_11target_archE1100ELNS1_3gpuE3ELNS1_3repE0EEENS1_30default_config_static_selectorELNS0_4arch9wavefront6targetE1EEEvT1_
                                        ; -- End function
	.section	.AMDGPU.csdata,"",@progbits
; Kernel info:
; codeLenInByte = 0
; NumSgprs: 6
; NumVgprs: 0
; NumAgprs: 0
; TotalNumVgprs: 0
; ScratchSize: 0
; MemoryBound: 0
; FloatMode: 240
; IeeeMode: 1
; LDSByteSize: 0 bytes/workgroup (compile time only)
; SGPRBlocks: 0
; VGPRBlocks: 0
; NumSGPRsForWavesPerEU: 6
; NumVGPRsForWavesPerEU: 1
; AccumOffset: 4
; Occupancy: 8
; WaveLimiterHint : 0
; COMPUTE_PGM_RSRC2:SCRATCH_EN: 0
; COMPUTE_PGM_RSRC2:USER_SGPR: 2
; COMPUTE_PGM_RSRC2:TRAP_HANDLER: 0
; COMPUTE_PGM_RSRC2:TGID_X_EN: 1
; COMPUTE_PGM_RSRC2:TGID_Y_EN: 0
; COMPUTE_PGM_RSRC2:TGID_Z_EN: 0
; COMPUTE_PGM_RSRC2:TIDIG_COMP_CNT: 0
; COMPUTE_PGM_RSRC3_GFX90A:ACCUM_OFFSET: 0
; COMPUTE_PGM_RSRC3_GFX90A:TG_SPLIT: 0
	.section	.text._ZN7rocprim17ROCPRIM_400000_NS6detail17trampoline_kernelINS0_14default_configENS1_25partition_config_selectorILNS1_17partition_subalgoE1EsNS0_10empty_typeEbEEZZNS1_14partition_implILS5_1ELb0ES3_jN6thrust23THRUST_200600_302600_NS6detail15normal_iteratorINSA_10device_ptrIsEEEEPS6_NSA_18transform_iteratorINSA_8identityIsEESF_NSA_11use_defaultESK_EENS0_5tupleIJSF_SF_EEENSM_IJSG_SG_EEES6_PlJS6_EEE10hipError_tPvRmT3_T4_T5_T6_T7_T9_mT8_P12ihipStream_tbDpT10_ENKUlT_T0_E_clISt17integral_constantIbLb0EES18_IbLb1EEEEDaS14_S15_EUlS14_E_NS1_11comp_targetILNS1_3genE8ELNS1_11target_archE1030ELNS1_3gpuE2ELNS1_3repE0EEENS1_30default_config_static_selectorELNS0_4arch9wavefront6targetE1EEEvT1_,"axG",@progbits,_ZN7rocprim17ROCPRIM_400000_NS6detail17trampoline_kernelINS0_14default_configENS1_25partition_config_selectorILNS1_17partition_subalgoE1EsNS0_10empty_typeEbEEZZNS1_14partition_implILS5_1ELb0ES3_jN6thrust23THRUST_200600_302600_NS6detail15normal_iteratorINSA_10device_ptrIsEEEEPS6_NSA_18transform_iteratorINSA_8identityIsEESF_NSA_11use_defaultESK_EENS0_5tupleIJSF_SF_EEENSM_IJSG_SG_EEES6_PlJS6_EEE10hipError_tPvRmT3_T4_T5_T6_T7_T9_mT8_P12ihipStream_tbDpT10_ENKUlT_T0_E_clISt17integral_constantIbLb0EES18_IbLb1EEEEDaS14_S15_EUlS14_E_NS1_11comp_targetILNS1_3genE8ELNS1_11target_archE1030ELNS1_3gpuE2ELNS1_3repE0EEENS1_30default_config_static_selectorELNS0_4arch9wavefront6targetE1EEEvT1_,comdat
	.protected	_ZN7rocprim17ROCPRIM_400000_NS6detail17trampoline_kernelINS0_14default_configENS1_25partition_config_selectorILNS1_17partition_subalgoE1EsNS0_10empty_typeEbEEZZNS1_14partition_implILS5_1ELb0ES3_jN6thrust23THRUST_200600_302600_NS6detail15normal_iteratorINSA_10device_ptrIsEEEEPS6_NSA_18transform_iteratorINSA_8identityIsEESF_NSA_11use_defaultESK_EENS0_5tupleIJSF_SF_EEENSM_IJSG_SG_EEES6_PlJS6_EEE10hipError_tPvRmT3_T4_T5_T6_T7_T9_mT8_P12ihipStream_tbDpT10_ENKUlT_T0_E_clISt17integral_constantIbLb0EES18_IbLb1EEEEDaS14_S15_EUlS14_E_NS1_11comp_targetILNS1_3genE8ELNS1_11target_archE1030ELNS1_3gpuE2ELNS1_3repE0EEENS1_30default_config_static_selectorELNS0_4arch9wavefront6targetE1EEEvT1_ ; -- Begin function _ZN7rocprim17ROCPRIM_400000_NS6detail17trampoline_kernelINS0_14default_configENS1_25partition_config_selectorILNS1_17partition_subalgoE1EsNS0_10empty_typeEbEEZZNS1_14partition_implILS5_1ELb0ES3_jN6thrust23THRUST_200600_302600_NS6detail15normal_iteratorINSA_10device_ptrIsEEEEPS6_NSA_18transform_iteratorINSA_8identityIsEESF_NSA_11use_defaultESK_EENS0_5tupleIJSF_SF_EEENSM_IJSG_SG_EEES6_PlJS6_EEE10hipError_tPvRmT3_T4_T5_T6_T7_T9_mT8_P12ihipStream_tbDpT10_ENKUlT_T0_E_clISt17integral_constantIbLb0EES18_IbLb1EEEEDaS14_S15_EUlS14_E_NS1_11comp_targetILNS1_3genE8ELNS1_11target_archE1030ELNS1_3gpuE2ELNS1_3repE0EEENS1_30default_config_static_selectorELNS0_4arch9wavefront6targetE1EEEvT1_
	.globl	_ZN7rocprim17ROCPRIM_400000_NS6detail17trampoline_kernelINS0_14default_configENS1_25partition_config_selectorILNS1_17partition_subalgoE1EsNS0_10empty_typeEbEEZZNS1_14partition_implILS5_1ELb0ES3_jN6thrust23THRUST_200600_302600_NS6detail15normal_iteratorINSA_10device_ptrIsEEEEPS6_NSA_18transform_iteratorINSA_8identityIsEESF_NSA_11use_defaultESK_EENS0_5tupleIJSF_SF_EEENSM_IJSG_SG_EEES6_PlJS6_EEE10hipError_tPvRmT3_T4_T5_T6_T7_T9_mT8_P12ihipStream_tbDpT10_ENKUlT_T0_E_clISt17integral_constantIbLb0EES18_IbLb1EEEEDaS14_S15_EUlS14_E_NS1_11comp_targetILNS1_3genE8ELNS1_11target_archE1030ELNS1_3gpuE2ELNS1_3repE0EEENS1_30default_config_static_selectorELNS0_4arch9wavefront6targetE1EEEvT1_
	.p2align	8
	.type	_ZN7rocprim17ROCPRIM_400000_NS6detail17trampoline_kernelINS0_14default_configENS1_25partition_config_selectorILNS1_17partition_subalgoE1EsNS0_10empty_typeEbEEZZNS1_14partition_implILS5_1ELb0ES3_jN6thrust23THRUST_200600_302600_NS6detail15normal_iteratorINSA_10device_ptrIsEEEEPS6_NSA_18transform_iteratorINSA_8identityIsEESF_NSA_11use_defaultESK_EENS0_5tupleIJSF_SF_EEENSM_IJSG_SG_EEES6_PlJS6_EEE10hipError_tPvRmT3_T4_T5_T6_T7_T9_mT8_P12ihipStream_tbDpT10_ENKUlT_T0_E_clISt17integral_constantIbLb0EES18_IbLb1EEEEDaS14_S15_EUlS14_E_NS1_11comp_targetILNS1_3genE8ELNS1_11target_archE1030ELNS1_3gpuE2ELNS1_3repE0EEENS1_30default_config_static_selectorELNS0_4arch9wavefront6targetE1EEEvT1_,@function
_ZN7rocprim17ROCPRIM_400000_NS6detail17trampoline_kernelINS0_14default_configENS1_25partition_config_selectorILNS1_17partition_subalgoE1EsNS0_10empty_typeEbEEZZNS1_14partition_implILS5_1ELb0ES3_jN6thrust23THRUST_200600_302600_NS6detail15normal_iteratorINSA_10device_ptrIsEEEEPS6_NSA_18transform_iteratorINSA_8identityIsEESF_NSA_11use_defaultESK_EENS0_5tupleIJSF_SF_EEENSM_IJSG_SG_EEES6_PlJS6_EEE10hipError_tPvRmT3_T4_T5_T6_T7_T9_mT8_P12ihipStream_tbDpT10_ENKUlT_T0_E_clISt17integral_constantIbLb0EES18_IbLb1EEEEDaS14_S15_EUlS14_E_NS1_11comp_targetILNS1_3genE8ELNS1_11target_archE1030ELNS1_3gpuE2ELNS1_3repE0EEENS1_30default_config_static_selectorELNS0_4arch9wavefront6targetE1EEEvT1_: ; @_ZN7rocprim17ROCPRIM_400000_NS6detail17trampoline_kernelINS0_14default_configENS1_25partition_config_selectorILNS1_17partition_subalgoE1EsNS0_10empty_typeEbEEZZNS1_14partition_implILS5_1ELb0ES3_jN6thrust23THRUST_200600_302600_NS6detail15normal_iteratorINSA_10device_ptrIsEEEEPS6_NSA_18transform_iteratorINSA_8identityIsEESF_NSA_11use_defaultESK_EENS0_5tupleIJSF_SF_EEENSM_IJSG_SG_EEES6_PlJS6_EEE10hipError_tPvRmT3_T4_T5_T6_T7_T9_mT8_P12ihipStream_tbDpT10_ENKUlT_T0_E_clISt17integral_constantIbLb0EES18_IbLb1EEEEDaS14_S15_EUlS14_E_NS1_11comp_targetILNS1_3genE8ELNS1_11target_archE1030ELNS1_3gpuE2ELNS1_3repE0EEENS1_30default_config_static_selectorELNS0_4arch9wavefront6targetE1EEEvT1_
; %bb.0:
	.section	.rodata,"a",@progbits
	.p2align	6, 0x0
	.amdhsa_kernel _ZN7rocprim17ROCPRIM_400000_NS6detail17trampoline_kernelINS0_14default_configENS1_25partition_config_selectorILNS1_17partition_subalgoE1EsNS0_10empty_typeEbEEZZNS1_14partition_implILS5_1ELb0ES3_jN6thrust23THRUST_200600_302600_NS6detail15normal_iteratorINSA_10device_ptrIsEEEEPS6_NSA_18transform_iteratorINSA_8identityIsEESF_NSA_11use_defaultESK_EENS0_5tupleIJSF_SF_EEENSM_IJSG_SG_EEES6_PlJS6_EEE10hipError_tPvRmT3_T4_T5_T6_T7_T9_mT8_P12ihipStream_tbDpT10_ENKUlT_T0_E_clISt17integral_constantIbLb0EES18_IbLb1EEEEDaS14_S15_EUlS14_E_NS1_11comp_targetILNS1_3genE8ELNS1_11target_archE1030ELNS1_3gpuE2ELNS1_3repE0EEENS1_30default_config_static_selectorELNS0_4arch9wavefront6targetE1EEEvT1_
		.amdhsa_group_segment_fixed_size 0
		.amdhsa_private_segment_fixed_size 0
		.amdhsa_kernarg_size 144
		.amdhsa_user_sgpr_count 2
		.amdhsa_user_sgpr_dispatch_ptr 0
		.amdhsa_user_sgpr_queue_ptr 0
		.amdhsa_user_sgpr_kernarg_segment_ptr 1
		.amdhsa_user_sgpr_dispatch_id 0
		.amdhsa_user_sgpr_kernarg_preload_length 0
		.amdhsa_user_sgpr_kernarg_preload_offset 0
		.amdhsa_user_sgpr_private_segment_size 0
		.amdhsa_uses_dynamic_stack 0
		.amdhsa_enable_private_segment 0
		.amdhsa_system_sgpr_workgroup_id_x 1
		.amdhsa_system_sgpr_workgroup_id_y 0
		.amdhsa_system_sgpr_workgroup_id_z 0
		.amdhsa_system_sgpr_workgroup_info 0
		.amdhsa_system_vgpr_workitem_id 0
		.amdhsa_next_free_vgpr 1
		.amdhsa_next_free_sgpr 0
		.amdhsa_accum_offset 4
		.amdhsa_reserve_vcc 0
		.amdhsa_float_round_mode_32 0
		.amdhsa_float_round_mode_16_64 0
		.amdhsa_float_denorm_mode_32 3
		.amdhsa_float_denorm_mode_16_64 3
		.amdhsa_dx10_clamp 1
		.amdhsa_ieee_mode 1
		.amdhsa_fp16_overflow 0
		.amdhsa_tg_split 0
		.amdhsa_exception_fp_ieee_invalid_op 0
		.amdhsa_exception_fp_denorm_src 0
		.amdhsa_exception_fp_ieee_div_zero 0
		.amdhsa_exception_fp_ieee_overflow 0
		.amdhsa_exception_fp_ieee_underflow 0
		.amdhsa_exception_fp_ieee_inexact 0
		.amdhsa_exception_int_div_zero 0
	.end_amdhsa_kernel
	.section	.text._ZN7rocprim17ROCPRIM_400000_NS6detail17trampoline_kernelINS0_14default_configENS1_25partition_config_selectorILNS1_17partition_subalgoE1EsNS0_10empty_typeEbEEZZNS1_14partition_implILS5_1ELb0ES3_jN6thrust23THRUST_200600_302600_NS6detail15normal_iteratorINSA_10device_ptrIsEEEEPS6_NSA_18transform_iteratorINSA_8identityIsEESF_NSA_11use_defaultESK_EENS0_5tupleIJSF_SF_EEENSM_IJSG_SG_EEES6_PlJS6_EEE10hipError_tPvRmT3_T4_T5_T6_T7_T9_mT8_P12ihipStream_tbDpT10_ENKUlT_T0_E_clISt17integral_constantIbLb0EES18_IbLb1EEEEDaS14_S15_EUlS14_E_NS1_11comp_targetILNS1_3genE8ELNS1_11target_archE1030ELNS1_3gpuE2ELNS1_3repE0EEENS1_30default_config_static_selectorELNS0_4arch9wavefront6targetE1EEEvT1_,"axG",@progbits,_ZN7rocprim17ROCPRIM_400000_NS6detail17trampoline_kernelINS0_14default_configENS1_25partition_config_selectorILNS1_17partition_subalgoE1EsNS0_10empty_typeEbEEZZNS1_14partition_implILS5_1ELb0ES3_jN6thrust23THRUST_200600_302600_NS6detail15normal_iteratorINSA_10device_ptrIsEEEEPS6_NSA_18transform_iteratorINSA_8identityIsEESF_NSA_11use_defaultESK_EENS0_5tupleIJSF_SF_EEENSM_IJSG_SG_EEES6_PlJS6_EEE10hipError_tPvRmT3_T4_T5_T6_T7_T9_mT8_P12ihipStream_tbDpT10_ENKUlT_T0_E_clISt17integral_constantIbLb0EES18_IbLb1EEEEDaS14_S15_EUlS14_E_NS1_11comp_targetILNS1_3genE8ELNS1_11target_archE1030ELNS1_3gpuE2ELNS1_3repE0EEENS1_30default_config_static_selectorELNS0_4arch9wavefront6targetE1EEEvT1_,comdat
.Lfunc_end672:
	.size	_ZN7rocprim17ROCPRIM_400000_NS6detail17trampoline_kernelINS0_14default_configENS1_25partition_config_selectorILNS1_17partition_subalgoE1EsNS0_10empty_typeEbEEZZNS1_14partition_implILS5_1ELb0ES3_jN6thrust23THRUST_200600_302600_NS6detail15normal_iteratorINSA_10device_ptrIsEEEEPS6_NSA_18transform_iteratorINSA_8identityIsEESF_NSA_11use_defaultESK_EENS0_5tupleIJSF_SF_EEENSM_IJSG_SG_EEES6_PlJS6_EEE10hipError_tPvRmT3_T4_T5_T6_T7_T9_mT8_P12ihipStream_tbDpT10_ENKUlT_T0_E_clISt17integral_constantIbLb0EES18_IbLb1EEEEDaS14_S15_EUlS14_E_NS1_11comp_targetILNS1_3genE8ELNS1_11target_archE1030ELNS1_3gpuE2ELNS1_3repE0EEENS1_30default_config_static_selectorELNS0_4arch9wavefront6targetE1EEEvT1_, .Lfunc_end672-_ZN7rocprim17ROCPRIM_400000_NS6detail17trampoline_kernelINS0_14default_configENS1_25partition_config_selectorILNS1_17partition_subalgoE1EsNS0_10empty_typeEbEEZZNS1_14partition_implILS5_1ELb0ES3_jN6thrust23THRUST_200600_302600_NS6detail15normal_iteratorINSA_10device_ptrIsEEEEPS6_NSA_18transform_iteratorINSA_8identityIsEESF_NSA_11use_defaultESK_EENS0_5tupleIJSF_SF_EEENSM_IJSG_SG_EEES6_PlJS6_EEE10hipError_tPvRmT3_T4_T5_T6_T7_T9_mT8_P12ihipStream_tbDpT10_ENKUlT_T0_E_clISt17integral_constantIbLb0EES18_IbLb1EEEEDaS14_S15_EUlS14_E_NS1_11comp_targetILNS1_3genE8ELNS1_11target_archE1030ELNS1_3gpuE2ELNS1_3repE0EEENS1_30default_config_static_selectorELNS0_4arch9wavefront6targetE1EEEvT1_
                                        ; -- End function
	.section	.AMDGPU.csdata,"",@progbits
; Kernel info:
; codeLenInByte = 0
; NumSgprs: 6
; NumVgprs: 0
; NumAgprs: 0
; TotalNumVgprs: 0
; ScratchSize: 0
; MemoryBound: 0
; FloatMode: 240
; IeeeMode: 1
; LDSByteSize: 0 bytes/workgroup (compile time only)
; SGPRBlocks: 0
; VGPRBlocks: 0
; NumSGPRsForWavesPerEU: 6
; NumVGPRsForWavesPerEU: 1
; AccumOffset: 4
; Occupancy: 8
; WaveLimiterHint : 0
; COMPUTE_PGM_RSRC2:SCRATCH_EN: 0
; COMPUTE_PGM_RSRC2:USER_SGPR: 2
; COMPUTE_PGM_RSRC2:TRAP_HANDLER: 0
; COMPUTE_PGM_RSRC2:TGID_X_EN: 1
; COMPUTE_PGM_RSRC2:TGID_Y_EN: 0
; COMPUTE_PGM_RSRC2:TGID_Z_EN: 0
; COMPUTE_PGM_RSRC2:TIDIG_COMP_CNT: 0
; COMPUTE_PGM_RSRC3_GFX90A:ACCUM_OFFSET: 0
; COMPUTE_PGM_RSRC3_GFX90A:TG_SPLIT: 0
	.section	.text._ZN6thrust23THRUST_200600_302600_NS11hip_rocprim14__parallel_for6kernelILj256ENS1_20__uninitialized_copy7functorINS0_6detail15normal_iteratorINS0_10device_ptrIyEEEENS7_INS0_7pointerIyNS1_3tagENS0_11use_defaultESD_EEEEEElLj1EEEvT0_T1_SI_,"axG",@progbits,_ZN6thrust23THRUST_200600_302600_NS11hip_rocprim14__parallel_for6kernelILj256ENS1_20__uninitialized_copy7functorINS0_6detail15normal_iteratorINS0_10device_ptrIyEEEENS7_INS0_7pointerIyNS1_3tagENS0_11use_defaultESD_EEEEEElLj1EEEvT0_T1_SI_,comdat
	.protected	_ZN6thrust23THRUST_200600_302600_NS11hip_rocprim14__parallel_for6kernelILj256ENS1_20__uninitialized_copy7functorINS0_6detail15normal_iteratorINS0_10device_ptrIyEEEENS7_INS0_7pointerIyNS1_3tagENS0_11use_defaultESD_EEEEEElLj1EEEvT0_T1_SI_ ; -- Begin function _ZN6thrust23THRUST_200600_302600_NS11hip_rocprim14__parallel_for6kernelILj256ENS1_20__uninitialized_copy7functorINS0_6detail15normal_iteratorINS0_10device_ptrIyEEEENS7_INS0_7pointerIyNS1_3tagENS0_11use_defaultESD_EEEEEElLj1EEEvT0_T1_SI_
	.globl	_ZN6thrust23THRUST_200600_302600_NS11hip_rocprim14__parallel_for6kernelILj256ENS1_20__uninitialized_copy7functorINS0_6detail15normal_iteratorINS0_10device_ptrIyEEEENS7_INS0_7pointerIyNS1_3tagENS0_11use_defaultESD_EEEEEElLj1EEEvT0_T1_SI_
	.p2align	8
	.type	_ZN6thrust23THRUST_200600_302600_NS11hip_rocprim14__parallel_for6kernelILj256ENS1_20__uninitialized_copy7functorINS0_6detail15normal_iteratorINS0_10device_ptrIyEEEENS7_INS0_7pointerIyNS1_3tagENS0_11use_defaultESD_EEEEEElLj1EEEvT0_T1_SI_,@function
_ZN6thrust23THRUST_200600_302600_NS11hip_rocprim14__parallel_for6kernelILj256ENS1_20__uninitialized_copy7functorINS0_6detail15normal_iteratorINS0_10device_ptrIyEEEENS7_INS0_7pointerIyNS1_3tagENS0_11use_defaultESD_EEEEEElLj1EEEvT0_T1_SI_: ; @_ZN6thrust23THRUST_200600_302600_NS11hip_rocprim14__parallel_for6kernelILj256ENS1_20__uninitialized_copy7functorINS0_6detail15normal_iteratorINS0_10device_ptrIyEEEENS7_INS0_7pointerIyNS1_3tagENS0_11use_defaultESD_EEEEEElLj1EEEvT0_T1_SI_
; %bb.0:
	s_load_dwordx8 s[4:11], s[0:1], 0x0
	s_lshl_b32 s0, s2, 8
	v_mov_b64_e32 v[2:3], 0x100
	s_waitcnt lgkmcnt(0)
	s_add_u32 s0, s0, s10
	s_addc_u32 s1, 0, s11
	s_sub_u32 s2, s8, s0
	s_subb_u32 s3, s9, s1
	v_cmp_lt_i64_e32 vcc, s[2:3], v[2:3]
	s_and_b64 s[8:9], vcc, exec
	s_cselect_b32 s2, s2, 0x100
	s_cmpk_lg_i32 s2, 0x100
	s_cbranch_scc0 .LBB673_4
; %bb.1:
	v_cmp_gt_u32_e32 vcc, s2, v0
	s_mov_b64 s[8:9], 0
	s_mov_b64 s[2:3], 0
                                        ; implicit-def: $vgpr2_vgpr3
                                        ; implicit-def: $vgpr4_vgpr5
	s_and_saveexec_b64 s[10:11], vcc
	s_xor_b64 s[10:11], exec, s[10:11]
; %bb.2:
	v_mov_b32_e32 v1, 0
	v_lshl_add_u64 v[2:3], s[0:1], 0, v[0:1]
	v_lshlrev_b64 v[4:5], 3, v[2:3]
	s_mov_b64 s[2:3], exec
	v_lshl_add_u64 v[2:3], s[6:7], 0, v[4:5]
	v_lshl_add_u64 v[4:5], s[4:5], 0, v[4:5]
; %bb.3:
	s_or_b64 exec, exec, s[10:11]
	s_and_b64 vcc, exec, s[8:9]
	s_cbranch_vccnz .LBB673_5
	s_branch .LBB673_6
.LBB673_4:
	s_mov_b64 s[2:3], 0
                                        ; implicit-def: $vgpr2_vgpr3
                                        ; implicit-def: $vgpr4_vgpr5
	s_cbranch_execz .LBB673_6
.LBB673_5:
	v_mov_b32_e32 v1, 0
	v_lshl_add_u64 v[0:1], s[0:1], 0, v[0:1]
	v_lshlrev_b64 v[0:1], 3, v[0:1]
	v_lshl_add_u64 v[4:5], s[4:5], 0, v[0:1]
	v_lshl_add_u64 v[2:3], s[6:7], 0, v[0:1]
	s_or_b64 s[2:3], s[2:3], exec
.LBB673_6:
	s_and_saveexec_b64 s[0:1], s[2:3]
	s_cbranch_execnz .LBB673_8
; %bb.7:
	s_endpgm
.LBB673_8:
	flat_load_dwordx2 v[0:1], v[4:5]
	s_waitcnt vmcnt(0) lgkmcnt(0)
	flat_store_dwordx2 v[2:3], v[0:1]
	s_endpgm
	.section	.rodata,"a",@progbits
	.p2align	6, 0x0
	.amdhsa_kernel _ZN6thrust23THRUST_200600_302600_NS11hip_rocprim14__parallel_for6kernelILj256ENS1_20__uninitialized_copy7functorINS0_6detail15normal_iteratorINS0_10device_ptrIyEEEENS7_INS0_7pointerIyNS1_3tagENS0_11use_defaultESD_EEEEEElLj1EEEvT0_T1_SI_
		.amdhsa_group_segment_fixed_size 0
		.amdhsa_private_segment_fixed_size 0
		.amdhsa_kernarg_size 32
		.amdhsa_user_sgpr_count 2
		.amdhsa_user_sgpr_dispatch_ptr 0
		.amdhsa_user_sgpr_queue_ptr 0
		.amdhsa_user_sgpr_kernarg_segment_ptr 1
		.amdhsa_user_sgpr_dispatch_id 0
		.amdhsa_user_sgpr_kernarg_preload_length 0
		.amdhsa_user_sgpr_kernarg_preload_offset 0
		.amdhsa_user_sgpr_private_segment_size 0
		.amdhsa_uses_dynamic_stack 0
		.amdhsa_enable_private_segment 0
		.amdhsa_system_sgpr_workgroup_id_x 1
		.amdhsa_system_sgpr_workgroup_id_y 0
		.amdhsa_system_sgpr_workgroup_id_z 0
		.amdhsa_system_sgpr_workgroup_info 0
		.amdhsa_system_vgpr_workitem_id 0
		.amdhsa_next_free_vgpr 6
		.amdhsa_next_free_sgpr 12
		.amdhsa_accum_offset 8
		.amdhsa_reserve_vcc 1
		.amdhsa_float_round_mode_32 0
		.amdhsa_float_round_mode_16_64 0
		.amdhsa_float_denorm_mode_32 3
		.amdhsa_float_denorm_mode_16_64 3
		.amdhsa_dx10_clamp 1
		.amdhsa_ieee_mode 1
		.amdhsa_fp16_overflow 0
		.amdhsa_tg_split 0
		.amdhsa_exception_fp_ieee_invalid_op 0
		.amdhsa_exception_fp_denorm_src 0
		.amdhsa_exception_fp_ieee_div_zero 0
		.amdhsa_exception_fp_ieee_overflow 0
		.amdhsa_exception_fp_ieee_underflow 0
		.amdhsa_exception_fp_ieee_inexact 0
		.amdhsa_exception_int_div_zero 0
	.end_amdhsa_kernel
	.section	.text._ZN6thrust23THRUST_200600_302600_NS11hip_rocprim14__parallel_for6kernelILj256ENS1_20__uninitialized_copy7functorINS0_6detail15normal_iteratorINS0_10device_ptrIyEEEENS7_INS0_7pointerIyNS1_3tagENS0_11use_defaultESD_EEEEEElLj1EEEvT0_T1_SI_,"axG",@progbits,_ZN6thrust23THRUST_200600_302600_NS11hip_rocprim14__parallel_for6kernelILj256ENS1_20__uninitialized_copy7functorINS0_6detail15normal_iteratorINS0_10device_ptrIyEEEENS7_INS0_7pointerIyNS1_3tagENS0_11use_defaultESD_EEEEEElLj1EEEvT0_T1_SI_,comdat
.Lfunc_end673:
	.size	_ZN6thrust23THRUST_200600_302600_NS11hip_rocprim14__parallel_for6kernelILj256ENS1_20__uninitialized_copy7functorINS0_6detail15normal_iteratorINS0_10device_ptrIyEEEENS7_INS0_7pointerIyNS1_3tagENS0_11use_defaultESD_EEEEEElLj1EEEvT0_T1_SI_, .Lfunc_end673-_ZN6thrust23THRUST_200600_302600_NS11hip_rocprim14__parallel_for6kernelILj256ENS1_20__uninitialized_copy7functorINS0_6detail15normal_iteratorINS0_10device_ptrIyEEEENS7_INS0_7pointerIyNS1_3tagENS0_11use_defaultESD_EEEEEElLj1EEEvT0_T1_SI_
                                        ; -- End function
	.section	.AMDGPU.csdata,"",@progbits
; Kernel info:
; codeLenInByte = 224
; NumSgprs: 18
; NumVgprs: 6
; NumAgprs: 0
; TotalNumVgprs: 6
; ScratchSize: 0
; MemoryBound: 1
; FloatMode: 240
; IeeeMode: 1
; LDSByteSize: 0 bytes/workgroup (compile time only)
; SGPRBlocks: 2
; VGPRBlocks: 0
; NumSGPRsForWavesPerEU: 18
; NumVGPRsForWavesPerEU: 6
; AccumOffset: 8
; Occupancy: 8
; WaveLimiterHint : 0
; COMPUTE_PGM_RSRC2:SCRATCH_EN: 0
; COMPUTE_PGM_RSRC2:USER_SGPR: 2
; COMPUTE_PGM_RSRC2:TRAP_HANDLER: 0
; COMPUTE_PGM_RSRC2:TGID_X_EN: 1
; COMPUTE_PGM_RSRC2:TGID_Y_EN: 0
; COMPUTE_PGM_RSRC2:TGID_Z_EN: 0
; COMPUTE_PGM_RSRC2:TIDIG_COMP_CNT: 0
; COMPUTE_PGM_RSRC3_GFX90A:ACCUM_OFFSET: 1
; COMPUTE_PGM_RSRC3_GFX90A:TG_SPLIT: 0
	.section	.text._ZN7rocprim17ROCPRIM_400000_NS6detail17trampoline_kernelINS0_14default_configENS1_25partition_config_selectorILNS1_17partition_subalgoE3EyNS0_10empty_typeEbEEZZNS1_14partition_implILS5_3ELb0ES3_jN6thrust23THRUST_200600_302600_NS6detail15normal_iteratorINSA_7pointerIyNSA_11hip_rocprim3tagENSA_11use_defaultESG_EEEEPS6_SJ_NS0_5tupleIJPySJ_EEENSK_IJSJ_SJ_EEES6_PlJ7is_evenIyEEEE10hipError_tPvRmT3_T4_T5_T6_T7_T9_mT8_P12ihipStream_tbDpT10_ENKUlT_T0_E_clISt17integral_constantIbLb0EES1A_EEDaS15_S16_EUlS15_E_NS1_11comp_targetILNS1_3genE0ELNS1_11target_archE4294967295ELNS1_3gpuE0ELNS1_3repE0EEENS1_30default_config_static_selectorELNS0_4arch9wavefront6targetE1EEEvT1_,"axG",@progbits,_ZN7rocprim17ROCPRIM_400000_NS6detail17trampoline_kernelINS0_14default_configENS1_25partition_config_selectorILNS1_17partition_subalgoE3EyNS0_10empty_typeEbEEZZNS1_14partition_implILS5_3ELb0ES3_jN6thrust23THRUST_200600_302600_NS6detail15normal_iteratorINSA_7pointerIyNSA_11hip_rocprim3tagENSA_11use_defaultESG_EEEEPS6_SJ_NS0_5tupleIJPySJ_EEENSK_IJSJ_SJ_EEES6_PlJ7is_evenIyEEEE10hipError_tPvRmT3_T4_T5_T6_T7_T9_mT8_P12ihipStream_tbDpT10_ENKUlT_T0_E_clISt17integral_constantIbLb0EES1A_EEDaS15_S16_EUlS15_E_NS1_11comp_targetILNS1_3genE0ELNS1_11target_archE4294967295ELNS1_3gpuE0ELNS1_3repE0EEENS1_30default_config_static_selectorELNS0_4arch9wavefront6targetE1EEEvT1_,comdat
	.protected	_ZN7rocprim17ROCPRIM_400000_NS6detail17trampoline_kernelINS0_14default_configENS1_25partition_config_selectorILNS1_17partition_subalgoE3EyNS0_10empty_typeEbEEZZNS1_14partition_implILS5_3ELb0ES3_jN6thrust23THRUST_200600_302600_NS6detail15normal_iteratorINSA_7pointerIyNSA_11hip_rocprim3tagENSA_11use_defaultESG_EEEEPS6_SJ_NS0_5tupleIJPySJ_EEENSK_IJSJ_SJ_EEES6_PlJ7is_evenIyEEEE10hipError_tPvRmT3_T4_T5_T6_T7_T9_mT8_P12ihipStream_tbDpT10_ENKUlT_T0_E_clISt17integral_constantIbLb0EES1A_EEDaS15_S16_EUlS15_E_NS1_11comp_targetILNS1_3genE0ELNS1_11target_archE4294967295ELNS1_3gpuE0ELNS1_3repE0EEENS1_30default_config_static_selectorELNS0_4arch9wavefront6targetE1EEEvT1_ ; -- Begin function _ZN7rocprim17ROCPRIM_400000_NS6detail17trampoline_kernelINS0_14default_configENS1_25partition_config_selectorILNS1_17partition_subalgoE3EyNS0_10empty_typeEbEEZZNS1_14partition_implILS5_3ELb0ES3_jN6thrust23THRUST_200600_302600_NS6detail15normal_iteratorINSA_7pointerIyNSA_11hip_rocprim3tagENSA_11use_defaultESG_EEEEPS6_SJ_NS0_5tupleIJPySJ_EEENSK_IJSJ_SJ_EEES6_PlJ7is_evenIyEEEE10hipError_tPvRmT3_T4_T5_T6_T7_T9_mT8_P12ihipStream_tbDpT10_ENKUlT_T0_E_clISt17integral_constantIbLb0EES1A_EEDaS15_S16_EUlS15_E_NS1_11comp_targetILNS1_3genE0ELNS1_11target_archE4294967295ELNS1_3gpuE0ELNS1_3repE0EEENS1_30default_config_static_selectorELNS0_4arch9wavefront6targetE1EEEvT1_
	.globl	_ZN7rocprim17ROCPRIM_400000_NS6detail17trampoline_kernelINS0_14default_configENS1_25partition_config_selectorILNS1_17partition_subalgoE3EyNS0_10empty_typeEbEEZZNS1_14partition_implILS5_3ELb0ES3_jN6thrust23THRUST_200600_302600_NS6detail15normal_iteratorINSA_7pointerIyNSA_11hip_rocprim3tagENSA_11use_defaultESG_EEEEPS6_SJ_NS0_5tupleIJPySJ_EEENSK_IJSJ_SJ_EEES6_PlJ7is_evenIyEEEE10hipError_tPvRmT3_T4_T5_T6_T7_T9_mT8_P12ihipStream_tbDpT10_ENKUlT_T0_E_clISt17integral_constantIbLb0EES1A_EEDaS15_S16_EUlS15_E_NS1_11comp_targetILNS1_3genE0ELNS1_11target_archE4294967295ELNS1_3gpuE0ELNS1_3repE0EEENS1_30default_config_static_selectorELNS0_4arch9wavefront6targetE1EEEvT1_
	.p2align	8
	.type	_ZN7rocprim17ROCPRIM_400000_NS6detail17trampoline_kernelINS0_14default_configENS1_25partition_config_selectorILNS1_17partition_subalgoE3EyNS0_10empty_typeEbEEZZNS1_14partition_implILS5_3ELb0ES3_jN6thrust23THRUST_200600_302600_NS6detail15normal_iteratorINSA_7pointerIyNSA_11hip_rocprim3tagENSA_11use_defaultESG_EEEEPS6_SJ_NS0_5tupleIJPySJ_EEENSK_IJSJ_SJ_EEES6_PlJ7is_evenIyEEEE10hipError_tPvRmT3_T4_T5_T6_T7_T9_mT8_P12ihipStream_tbDpT10_ENKUlT_T0_E_clISt17integral_constantIbLb0EES1A_EEDaS15_S16_EUlS15_E_NS1_11comp_targetILNS1_3genE0ELNS1_11target_archE4294967295ELNS1_3gpuE0ELNS1_3repE0EEENS1_30default_config_static_selectorELNS0_4arch9wavefront6targetE1EEEvT1_,@function
_ZN7rocprim17ROCPRIM_400000_NS6detail17trampoline_kernelINS0_14default_configENS1_25partition_config_selectorILNS1_17partition_subalgoE3EyNS0_10empty_typeEbEEZZNS1_14partition_implILS5_3ELb0ES3_jN6thrust23THRUST_200600_302600_NS6detail15normal_iteratorINSA_7pointerIyNSA_11hip_rocprim3tagENSA_11use_defaultESG_EEEEPS6_SJ_NS0_5tupleIJPySJ_EEENSK_IJSJ_SJ_EEES6_PlJ7is_evenIyEEEE10hipError_tPvRmT3_T4_T5_T6_T7_T9_mT8_P12ihipStream_tbDpT10_ENKUlT_T0_E_clISt17integral_constantIbLb0EES1A_EEDaS15_S16_EUlS15_E_NS1_11comp_targetILNS1_3genE0ELNS1_11target_archE4294967295ELNS1_3gpuE0ELNS1_3repE0EEENS1_30default_config_static_selectorELNS0_4arch9wavefront6targetE1EEEvT1_: ; @_ZN7rocprim17ROCPRIM_400000_NS6detail17trampoline_kernelINS0_14default_configENS1_25partition_config_selectorILNS1_17partition_subalgoE3EyNS0_10empty_typeEbEEZZNS1_14partition_implILS5_3ELb0ES3_jN6thrust23THRUST_200600_302600_NS6detail15normal_iteratorINSA_7pointerIyNSA_11hip_rocprim3tagENSA_11use_defaultESG_EEEEPS6_SJ_NS0_5tupleIJPySJ_EEENSK_IJSJ_SJ_EEES6_PlJ7is_evenIyEEEE10hipError_tPvRmT3_T4_T5_T6_T7_T9_mT8_P12ihipStream_tbDpT10_ENKUlT_T0_E_clISt17integral_constantIbLb0EES1A_EEDaS15_S16_EUlS15_E_NS1_11comp_targetILNS1_3genE0ELNS1_11target_archE4294967295ELNS1_3gpuE0ELNS1_3repE0EEENS1_30default_config_static_selectorELNS0_4arch9wavefront6targetE1EEEvT1_
; %bb.0:
	.section	.rodata,"a",@progbits
	.p2align	6, 0x0
	.amdhsa_kernel _ZN7rocprim17ROCPRIM_400000_NS6detail17trampoline_kernelINS0_14default_configENS1_25partition_config_selectorILNS1_17partition_subalgoE3EyNS0_10empty_typeEbEEZZNS1_14partition_implILS5_3ELb0ES3_jN6thrust23THRUST_200600_302600_NS6detail15normal_iteratorINSA_7pointerIyNSA_11hip_rocprim3tagENSA_11use_defaultESG_EEEEPS6_SJ_NS0_5tupleIJPySJ_EEENSK_IJSJ_SJ_EEES6_PlJ7is_evenIyEEEE10hipError_tPvRmT3_T4_T5_T6_T7_T9_mT8_P12ihipStream_tbDpT10_ENKUlT_T0_E_clISt17integral_constantIbLb0EES1A_EEDaS15_S16_EUlS15_E_NS1_11comp_targetILNS1_3genE0ELNS1_11target_archE4294967295ELNS1_3gpuE0ELNS1_3repE0EEENS1_30default_config_static_selectorELNS0_4arch9wavefront6targetE1EEEvT1_
		.amdhsa_group_segment_fixed_size 0
		.amdhsa_private_segment_fixed_size 0
		.amdhsa_kernarg_size 120
		.amdhsa_user_sgpr_count 2
		.amdhsa_user_sgpr_dispatch_ptr 0
		.amdhsa_user_sgpr_queue_ptr 0
		.amdhsa_user_sgpr_kernarg_segment_ptr 1
		.amdhsa_user_sgpr_dispatch_id 0
		.amdhsa_user_sgpr_kernarg_preload_length 0
		.amdhsa_user_sgpr_kernarg_preload_offset 0
		.amdhsa_user_sgpr_private_segment_size 0
		.amdhsa_uses_dynamic_stack 0
		.amdhsa_enable_private_segment 0
		.amdhsa_system_sgpr_workgroup_id_x 1
		.amdhsa_system_sgpr_workgroup_id_y 0
		.amdhsa_system_sgpr_workgroup_id_z 0
		.amdhsa_system_sgpr_workgroup_info 0
		.amdhsa_system_vgpr_workitem_id 0
		.amdhsa_next_free_vgpr 1
		.amdhsa_next_free_sgpr 0
		.amdhsa_accum_offset 4
		.amdhsa_reserve_vcc 0
		.amdhsa_float_round_mode_32 0
		.amdhsa_float_round_mode_16_64 0
		.amdhsa_float_denorm_mode_32 3
		.amdhsa_float_denorm_mode_16_64 3
		.amdhsa_dx10_clamp 1
		.amdhsa_ieee_mode 1
		.amdhsa_fp16_overflow 0
		.amdhsa_tg_split 0
		.amdhsa_exception_fp_ieee_invalid_op 0
		.amdhsa_exception_fp_denorm_src 0
		.amdhsa_exception_fp_ieee_div_zero 0
		.amdhsa_exception_fp_ieee_overflow 0
		.amdhsa_exception_fp_ieee_underflow 0
		.amdhsa_exception_fp_ieee_inexact 0
		.amdhsa_exception_int_div_zero 0
	.end_amdhsa_kernel
	.section	.text._ZN7rocprim17ROCPRIM_400000_NS6detail17trampoline_kernelINS0_14default_configENS1_25partition_config_selectorILNS1_17partition_subalgoE3EyNS0_10empty_typeEbEEZZNS1_14partition_implILS5_3ELb0ES3_jN6thrust23THRUST_200600_302600_NS6detail15normal_iteratorINSA_7pointerIyNSA_11hip_rocprim3tagENSA_11use_defaultESG_EEEEPS6_SJ_NS0_5tupleIJPySJ_EEENSK_IJSJ_SJ_EEES6_PlJ7is_evenIyEEEE10hipError_tPvRmT3_T4_T5_T6_T7_T9_mT8_P12ihipStream_tbDpT10_ENKUlT_T0_E_clISt17integral_constantIbLb0EES1A_EEDaS15_S16_EUlS15_E_NS1_11comp_targetILNS1_3genE0ELNS1_11target_archE4294967295ELNS1_3gpuE0ELNS1_3repE0EEENS1_30default_config_static_selectorELNS0_4arch9wavefront6targetE1EEEvT1_,"axG",@progbits,_ZN7rocprim17ROCPRIM_400000_NS6detail17trampoline_kernelINS0_14default_configENS1_25partition_config_selectorILNS1_17partition_subalgoE3EyNS0_10empty_typeEbEEZZNS1_14partition_implILS5_3ELb0ES3_jN6thrust23THRUST_200600_302600_NS6detail15normal_iteratorINSA_7pointerIyNSA_11hip_rocprim3tagENSA_11use_defaultESG_EEEEPS6_SJ_NS0_5tupleIJPySJ_EEENSK_IJSJ_SJ_EEES6_PlJ7is_evenIyEEEE10hipError_tPvRmT3_T4_T5_T6_T7_T9_mT8_P12ihipStream_tbDpT10_ENKUlT_T0_E_clISt17integral_constantIbLb0EES1A_EEDaS15_S16_EUlS15_E_NS1_11comp_targetILNS1_3genE0ELNS1_11target_archE4294967295ELNS1_3gpuE0ELNS1_3repE0EEENS1_30default_config_static_selectorELNS0_4arch9wavefront6targetE1EEEvT1_,comdat
.Lfunc_end674:
	.size	_ZN7rocprim17ROCPRIM_400000_NS6detail17trampoline_kernelINS0_14default_configENS1_25partition_config_selectorILNS1_17partition_subalgoE3EyNS0_10empty_typeEbEEZZNS1_14partition_implILS5_3ELb0ES3_jN6thrust23THRUST_200600_302600_NS6detail15normal_iteratorINSA_7pointerIyNSA_11hip_rocprim3tagENSA_11use_defaultESG_EEEEPS6_SJ_NS0_5tupleIJPySJ_EEENSK_IJSJ_SJ_EEES6_PlJ7is_evenIyEEEE10hipError_tPvRmT3_T4_T5_T6_T7_T9_mT8_P12ihipStream_tbDpT10_ENKUlT_T0_E_clISt17integral_constantIbLb0EES1A_EEDaS15_S16_EUlS15_E_NS1_11comp_targetILNS1_3genE0ELNS1_11target_archE4294967295ELNS1_3gpuE0ELNS1_3repE0EEENS1_30default_config_static_selectorELNS0_4arch9wavefront6targetE1EEEvT1_, .Lfunc_end674-_ZN7rocprim17ROCPRIM_400000_NS6detail17trampoline_kernelINS0_14default_configENS1_25partition_config_selectorILNS1_17partition_subalgoE3EyNS0_10empty_typeEbEEZZNS1_14partition_implILS5_3ELb0ES3_jN6thrust23THRUST_200600_302600_NS6detail15normal_iteratorINSA_7pointerIyNSA_11hip_rocprim3tagENSA_11use_defaultESG_EEEEPS6_SJ_NS0_5tupleIJPySJ_EEENSK_IJSJ_SJ_EEES6_PlJ7is_evenIyEEEE10hipError_tPvRmT3_T4_T5_T6_T7_T9_mT8_P12ihipStream_tbDpT10_ENKUlT_T0_E_clISt17integral_constantIbLb0EES1A_EEDaS15_S16_EUlS15_E_NS1_11comp_targetILNS1_3genE0ELNS1_11target_archE4294967295ELNS1_3gpuE0ELNS1_3repE0EEENS1_30default_config_static_selectorELNS0_4arch9wavefront6targetE1EEEvT1_
                                        ; -- End function
	.section	.AMDGPU.csdata,"",@progbits
; Kernel info:
; codeLenInByte = 0
; NumSgprs: 6
; NumVgprs: 0
; NumAgprs: 0
; TotalNumVgprs: 0
; ScratchSize: 0
; MemoryBound: 0
; FloatMode: 240
; IeeeMode: 1
; LDSByteSize: 0 bytes/workgroup (compile time only)
; SGPRBlocks: 0
; VGPRBlocks: 0
; NumSGPRsForWavesPerEU: 6
; NumVGPRsForWavesPerEU: 1
; AccumOffset: 4
; Occupancy: 8
; WaveLimiterHint : 0
; COMPUTE_PGM_RSRC2:SCRATCH_EN: 0
; COMPUTE_PGM_RSRC2:USER_SGPR: 2
; COMPUTE_PGM_RSRC2:TRAP_HANDLER: 0
; COMPUTE_PGM_RSRC2:TGID_X_EN: 1
; COMPUTE_PGM_RSRC2:TGID_Y_EN: 0
; COMPUTE_PGM_RSRC2:TGID_Z_EN: 0
; COMPUTE_PGM_RSRC2:TIDIG_COMP_CNT: 0
; COMPUTE_PGM_RSRC3_GFX90A:ACCUM_OFFSET: 0
; COMPUTE_PGM_RSRC3_GFX90A:TG_SPLIT: 0
	.section	.text._ZN7rocprim17ROCPRIM_400000_NS6detail17trampoline_kernelINS0_14default_configENS1_25partition_config_selectorILNS1_17partition_subalgoE3EyNS0_10empty_typeEbEEZZNS1_14partition_implILS5_3ELb0ES3_jN6thrust23THRUST_200600_302600_NS6detail15normal_iteratorINSA_7pointerIyNSA_11hip_rocprim3tagENSA_11use_defaultESG_EEEEPS6_SJ_NS0_5tupleIJPySJ_EEENSK_IJSJ_SJ_EEES6_PlJ7is_evenIyEEEE10hipError_tPvRmT3_T4_T5_T6_T7_T9_mT8_P12ihipStream_tbDpT10_ENKUlT_T0_E_clISt17integral_constantIbLb0EES1A_EEDaS15_S16_EUlS15_E_NS1_11comp_targetILNS1_3genE5ELNS1_11target_archE942ELNS1_3gpuE9ELNS1_3repE0EEENS1_30default_config_static_selectorELNS0_4arch9wavefront6targetE1EEEvT1_,"axG",@progbits,_ZN7rocprim17ROCPRIM_400000_NS6detail17trampoline_kernelINS0_14default_configENS1_25partition_config_selectorILNS1_17partition_subalgoE3EyNS0_10empty_typeEbEEZZNS1_14partition_implILS5_3ELb0ES3_jN6thrust23THRUST_200600_302600_NS6detail15normal_iteratorINSA_7pointerIyNSA_11hip_rocprim3tagENSA_11use_defaultESG_EEEEPS6_SJ_NS0_5tupleIJPySJ_EEENSK_IJSJ_SJ_EEES6_PlJ7is_evenIyEEEE10hipError_tPvRmT3_T4_T5_T6_T7_T9_mT8_P12ihipStream_tbDpT10_ENKUlT_T0_E_clISt17integral_constantIbLb0EES1A_EEDaS15_S16_EUlS15_E_NS1_11comp_targetILNS1_3genE5ELNS1_11target_archE942ELNS1_3gpuE9ELNS1_3repE0EEENS1_30default_config_static_selectorELNS0_4arch9wavefront6targetE1EEEvT1_,comdat
	.protected	_ZN7rocprim17ROCPRIM_400000_NS6detail17trampoline_kernelINS0_14default_configENS1_25partition_config_selectorILNS1_17partition_subalgoE3EyNS0_10empty_typeEbEEZZNS1_14partition_implILS5_3ELb0ES3_jN6thrust23THRUST_200600_302600_NS6detail15normal_iteratorINSA_7pointerIyNSA_11hip_rocprim3tagENSA_11use_defaultESG_EEEEPS6_SJ_NS0_5tupleIJPySJ_EEENSK_IJSJ_SJ_EEES6_PlJ7is_evenIyEEEE10hipError_tPvRmT3_T4_T5_T6_T7_T9_mT8_P12ihipStream_tbDpT10_ENKUlT_T0_E_clISt17integral_constantIbLb0EES1A_EEDaS15_S16_EUlS15_E_NS1_11comp_targetILNS1_3genE5ELNS1_11target_archE942ELNS1_3gpuE9ELNS1_3repE0EEENS1_30default_config_static_selectorELNS0_4arch9wavefront6targetE1EEEvT1_ ; -- Begin function _ZN7rocprim17ROCPRIM_400000_NS6detail17trampoline_kernelINS0_14default_configENS1_25partition_config_selectorILNS1_17partition_subalgoE3EyNS0_10empty_typeEbEEZZNS1_14partition_implILS5_3ELb0ES3_jN6thrust23THRUST_200600_302600_NS6detail15normal_iteratorINSA_7pointerIyNSA_11hip_rocprim3tagENSA_11use_defaultESG_EEEEPS6_SJ_NS0_5tupleIJPySJ_EEENSK_IJSJ_SJ_EEES6_PlJ7is_evenIyEEEE10hipError_tPvRmT3_T4_T5_T6_T7_T9_mT8_P12ihipStream_tbDpT10_ENKUlT_T0_E_clISt17integral_constantIbLb0EES1A_EEDaS15_S16_EUlS15_E_NS1_11comp_targetILNS1_3genE5ELNS1_11target_archE942ELNS1_3gpuE9ELNS1_3repE0EEENS1_30default_config_static_selectorELNS0_4arch9wavefront6targetE1EEEvT1_
	.globl	_ZN7rocprim17ROCPRIM_400000_NS6detail17trampoline_kernelINS0_14default_configENS1_25partition_config_selectorILNS1_17partition_subalgoE3EyNS0_10empty_typeEbEEZZNS1_14partition_implILS5_3ELb0ES3_jN6thrust23THRUST_200600_302600_NS6detail15normal_iteratorINSA_7pointerIyNSA_11hip_rocprim3tagENSA_11use_defaultESG_EEEEPS6_SJ_NS0_5tupleIJPySJ_EEENSK_IJSJ_SJ_EEES6_PlJ7is_evenIyEEEE10hipError_tPvRmT3_T4_T5_T6_T7_T9_mT8_P12ihipStream_tbDpT10_ENKUlT_T0_E_clISt17integral_constantIbLb0EES1A_EEDaS15_S16_EUlS15_E_NS1_11comp_targetILNS1_3genE5ELNS1_11target_archE942ELNS1_3gpuE9ELNS1_3repE0EEENS1_30default_config_static_selectorELNS0_4arch9wavefront6targetE1EEEvT1_
	.p2align	8
	.type	_ZN7rocprim17ROCPRIM_400000_NS6detail17trampoline_kernelINS0_14default_configENS1_25partition_config_selectorILNS1_17partition_subalgoE3EyNS0_10empty_typeEbEEZZNS1_14partition_implILS5_3ELb0ES3_jN6thrust23THRUST_200600_302600_NS6detail15normal_iteratorINSA_7pointerIyNSA_11hip_rocprim3tagENSA_11use_defaultESG_EEEEPS6_SJ_NS0_5tupleIJPySJ_EEENSK_IJSJ_SJ_EEES6_PlJ7is_evenIyEEEE10hipError_tPvRmT3_T4_T5_T6_T7_T9_mT8_P12ihipStream_tbDpT10_ENKUlT_T0_E_clISt17integral_constantIbLb0EES1A_EEDaS15_S16_EUlS15_E_NS1_11comp_targetILNS1_3genE5ELNS1_11target_archE942ELNS1_3gpuE9ELNS1_3repE0EEENS1_30default_config_static_selectorELNS0_4arch9wavefront6targetE1EEEvT1_,@function
_ZN7rocprim17ROCPRIM_400000_NS6detail17trampoline_kernelINS0_14default_configENS1_25partition_config_selectorILNS1_17partition_subalgoE3EyNS0_10empty_typeEbEEZZNS1_14partition_implILS5_3ELb0ES3_jN6thrust23THRUST_200600_302600_NS6detail15normal_iteratorINSA_7pointerIyNSA_11hip_rocprim3tagENSA_11use_defaultESG_EEEEPS6_SJ_NS0_5tupleIJPySJ_EEENSK_IJSJ_SJ_EEES6_PlJ7is_evenIyEEEE10hipError_tPvRmT3_T4_T5_T6_T7_T9_mT8_P12ihipStream_tbDpT10_ENKUlT_T0_E_clISt17integral_constantIbLb0EES1A_EEDaS15_S16_EUlS15_E_NS1_11comp_targetILNS1_3genE5ELNS1_11target_archE942ELNS1_3gpuE9ELNS1_3repE0EEENS1_30default_config_static_selectorELNS0_4arch9wavefront6targetE1EEEvT1_: ; @_ZN7rocprim17ROCPRIM_400000_NS6detail17trampoline_kernelINS0_14default_configENS1_25partition_config_selectorILNS1_17partition_subalgoE3EyNS0_10empty_typeEbEEZZNS1_14partition_implILS5_3ELb0ES3_jN6thrust23THRUST_200600_302600_NS6detail15normal_iteratorINSA_7pointerIyNSA_11hip_rocprim3tagENSA_11use_defaultESG_EEEEPS6_SJ_NS0_5tupleIJPySJ_EEENSK_IJSJ_SJ_EEES6_PlJ7is_evenIyEEEE10hipError_tPvRmT3_T4_T5_T6_T7_T9_mT8_P12ihipStream_tbDpT10_ENKUlT_T0_E_clISt17integral_constantIbLb0EES1A_EEDaS15_S16_EUlS15_E_NS1_11comp_targetILNS1_3genE5ELNS1_11target_archE942ELNS1_3gpuE9ELNS1_3repE0EEENS1_30default_config_static_selectorELNS0_4arch9wavefront6targetE1EEEvT1_
; %bb.0:
	s_load_dwordx4 s[20:23], s[0:1], 0x8
	s_load_dwordx4 s[24:27], s[0:1], 0x48
	s_load_dwordx2 s[28:29], s[0:1], 0x58
	s_load_dword s3, s[0:1], 0x70
	s_mul_i32 s30, s2, 0xe00
	s_waitcnt lgkmcnt(0)
	s_lshl_b64 s[4:5], s[22:23], 3
	s_add_u32 s8, s20, s4
	s_addc_u32 s9, s21, s5
	s_add_i32 s6, s3, -1
	s_mulk_i32 s3, 0xe00
	s_add_i32 s4, s3, s22
	s_sub_i32 s33, s28, s4
	s_addk_i32 s33, 0xe00
	s_add_u32 s4, s22, s3
	s_addc_u32 s5, s23, 0
	s_cmp_eq_u32 s2, s6
	s_load_dwordx2 s[34:35], s[26:27], 0x0
	v_mov_b64_e32 v[2:3], s[28:29]
	s_cselect_b64 s[26:27], -1, 0
	s_cmp_lg_u32 s2, s6
	s_mov_b32 s31, 0
	v_cmp_lt_u64_e32 vcc, s[4:5], v[2:3]
	s_cselect_b64 s[4:5], -1, 0
	s_or_b64 s[6:7], s[4:5], vcc
	s_lshl_b64 s[4:5], s[30:31], 3
	s_add_u32 s8, s8, s4
	s_addc_u32 s9, s9, s5
	s_mov_b64 s[4:5], -1
	s_and_b64 vcc, exec, s[6:7]
	v_lshlrev_b32_e32 v18, 3, v0
	s_cbranch_vccz .LBB675_2
; %bb.1:
	v_mov_b32_e32 v19, 0
	v_lshl_add_u64 v[2:3], s[8:9], 0, v[18:19]
	v_add_co_u32_e32 v4, vcc, 0x1000, v2
	s_mov_b64 s[4:5], 0
	s_nop 0
	v_addc_co_u32_e32 v5, vcc, 0, v3, vcc
	v_add_co_u32_e32 v6, vcc, 0x2000, v2
	s_nop 1
	v_addc_co_u32_e32 v7, vcc, 0, v3, vcc
	v_add_co_u32_e32 v8, vcc, 0x3000, v2
	s_nop 1
	v_addc_co_u32_e32 v9, vcc, 0, v3, vcc
	flat_load_dwordx2 v[10:11], v[2:3]
	flat_load_dwordx2 v[12:13], v[4:5]
	;; [unrolled: 1-line block ×4, first 2 shown]
	v_add_co_u32_e32 v4, vcc, 0x4000, v2
	s_nop 1
	v_addc_co_u32_e32 v5, vcc, 0, v3, vcc
	v_add_co_u32_e32 v6, vcc, 0x5000, v2
	s_nop 1
	v_addc_co_u32_e32 v7, vcc, 0, v3, vcc
	;; [unrolled: 3-line block ×3, first 2 shown]
	flat_load_dwordx2 v[8:9], v[4:5]
	flat_load_dwordx2 v[20:21], v[6:7]
	;; [unrolled: 1-line block ×3, first 2 shown]
	s_waitcnt vmcnt(0) lgkmcnt(0)
	ds_write2st64_b64 v18, v[10:11], v[12:13] offset1:8
	ds_write2st64_b64 v18, v[14:15], v[16:17] offset0:16 offset1:24
	ds_write2st64_b64 v18, v[8:9], v[20:21] offset0:32 offset1:40
	ds_write_b64 v18, v[22:23] offset:24576
	s_waitcnt lgkmcnt(0)
	s_barrier
.LBB675_2:
	s_andn2_b64 vcc, exec, s[4:5]
	v_cmp_gt_u32_e64 s[4:5], s33, v0
	s_cbranch_vccnz .LBB675_18
; %bb.3:
                                        ; implicit-def: $vgpr2_vgpr3_vgpr4_vgpr5_vgpr6_vgpr7_vgpr8_vgpr9_vgpr10_vgpr11_vgpr12_vgpr13_vgpr14_vgpr15_vgpr16_vgpr17
	s_and_saveexec_b64 s[10:11], s[4:5]
	s_cbranch_execz .LBB675_5
; %bb.4:
	v_mov_b32_e32 v19, 0
	v_lshl_add_u64 v[2:3], s[8:9], 0, v[18:19]
	flat_load_dwordx2 v[2:3], v[2:3]
.LBB675_5:
	s_or_b64 exec, exec, s[10:11]
	v_or_b32_e32 v1, 0x200, v0
	v_cmp_gt_u32_e32 vcc, s33, v1
	s_and_saveexec_b64 s[4:5], vcc
	s_cbranch_execz .LBB675_7
; %bb.6:
	v_lshlrev_b32_e32 v4, 3, v1
	v_mov_b32_e32 v5, 0
	v_lshl_add_u64 v[4:5], s[8:9], 0, v[4:5]
	flat_load_dwordx2 v[4:5], v[4:5]
.LBB675_7:
	s_or_b64 exec, exec, s[4:5]
	v_or_b32_e32 v1, 0x400, v0
	v_cmp_gt_u32_e32 vcc, s33, v1
	s_and_saveexec_b64 s[4:5], vcc
	s_cbranch_execz .LBB675_9
; %bb.8:
	v_lshlrev_b32_e32 v6, 3, v1
	v_mov_b32_e32 v7, 0
	v_lshl_add_u64 v[6:7], s[8:9], 0, v[6:7]
	flat_load_dwordx2 v[6:7], v[6:7]
.LBB675_9:
	;; [unrolled: 11-line block ×6, first 2 shown]
	s_or_b64 exec, exec, s[4:5]
	s_waitcnt vmcnt(0) lgkmcnt(0)
	ds_write2st64_b64 v18, v[2:3], v[4:5] offset1:8
	ds_write2st64_b64 v18, v[6:7], v[8:9] offset0:16 offset1:24
	ds_write2st64_b64 v18, v[10:11], v[12:13] offset0:32 offset1:40
	ds_write_b64 v18, v[14:15] offset:24576
	s_waitcnt lgkmcnt(0)
	s_barrier
.LBB675_18:
	v_mul_u32_u24_e32 v1, 7, v0
	v_lshlrev_b32_e32 v32, 3, v1
	s_waitcnt lgkmcnt(0)
	ds_read2_b64 v[10:13], v32 offset1:1
	ds_read2_b64 v[6:9], v32 offset0:2 offset1:3
	ds_read2_b64 v[2:5], v32 offset0:4 offset1:5
	ds_read_b64 v[16:17], v32 offset:48
	v_cndmask_b32_e64 v14, 0, 1, s[6:7]
	v_cmp_ne_u32_e64 s[20:21], 1, v14
	s_andn2_b64 vcc, exec, s[6:7]
	s_waitcnt lgkmcnt(3)
	v_xor_b32_e32 v24, -1, v10
	v_xor_b32_e32 v23, -1, v12
	s_waitcnt lgkmcnt(2)
	v_xor_b32_e32 v22, -1, v6
	v_xor_b32_e32 v21, -1, v8
	;; [unrolled: 3-line block ×3, first 2 shown]
	s_waitcnt lgkmcnt(0)
	v_xor_b32_e32 v14, -1, v16
	s_barrier
	s_cbranch_vccnz .LBB675_20
; %bb.19:
	v_mov_b32_e32 v19, 1
	v_and_b32_e32 v25, 1, v24
	v_and_b32_sdwa v26, v23, v19 dst_sel:BYTE_1 dst_unused:UNUSED_PAD src0_sel:DWORD src1_sel:DWORD
	v_and_b32_e32 v27, 1, v22
	v_and_b32_sdwa v30, v21, v19 dst_sel:BYTE_1 dst_unused:UNUSED_PAD src0_sel:DWORD src1_sel:DWORD
	v_or_b32_e32 v25, v25, v26
	v_or_b32_sdwa v26, v27, v30 dst_sel:WORD_1 dst_unused:UNUSED_PAD src0_sel:DWORD src1_sel:DWORD
	v_and_b32_e32 v29, 1, v20
	v_and_b32_e32 v28, 1, v15
	;; [unrolled: 1-line block ×3, first 2 shown]
	v_or_b32_sdwa v30, v25, v26 dst_sel:DWORD dst_unused:UNUSED_PAD src0_sel:WORD_0 src1_sel:DWORD
	s_load_dwordx2 s[36:37], s[0:1], 0x68
	s_cbranch_execz .LBB675_21
	s_branch .LBB675_22
.LBB675_20:
                                        ; implicit-def: $vgpr19
                                        ; implicit-def: $vgpr28
                                        ; implicit-def: $vgpr29
                                        ; implicit-def: $vgpr30
	s_load_dwordx2 s[36:37], s[0:1], 0x68
.LBB675_21:
	v_add_u32_e32 v19, 1, v1
	v_cmp_gt_u32_e32 vcc, s33, v1
	v_add_u32_e32 v25, 2, v1
	v_add_u32_e32 v26, 3, v1
	v_cndmask_b32_e64 v29, 0, 1, vcc
	v_cmp_gt_u32_e32 vcc, s33, v19
	v_add_u32_e32 v27, 4, v1
	v_add_u32_e32 v28, 5, v1
	v_cndmask_b32_e64 v19, 0, 1, vcc
	v_cmp_gt_u32_e32 vcc, s33, v25
	v_and_b32_sdwa v23, v19, v23 dst_sel:BYTE_1 dst_unused:UNUSED_PAD src0_sel:DWORD src1_sel:DWORD
	v_add_u32_e32 v30, 6, v1
	v_cndmask_b32_e64 v19, 0, 1, vcc
	v_cmp_gt_u32_e32 vcc, s33, v26
	v_and_b32_e32 v22, v19, v22
	v_and_b32_e32 v24, v29, v24
	v_cndmask_b32_e64 v19, 0, 1, vcc
	v_cmp_gt_u32_e32 vcc, s33, v27
	v_and_b32_sdwa v21, v19, v21 dst_sel:BYTE_1 dst_unused:UNUSED_PAD src0_sel:DWORD src1_sel:DWORD
	s_nop 0
	v_cndmask_b32_e64 v19, 0, 1, vcc
	v_cmp_gt_u32_e32 vcc, s33, v28
	v_and_b32_e32 v29, v19, v20
	s_nop 0
	v_cndmask_b32_e64 v19, 0, 1, vcc
	v_cmp_gt_u32_e32 vcc, s33, v30
	v_and_b32_e32 v28, v19, v15
	s_nop 0
	v_cndmask_b32_e64 v15, 0, 1, vcc
	v_and_b32_e32 v19, v15, v14
	v_or_b32_e32 v14, v24, v23
	v_or_b32_sdwa v15, v22, v21 dst_sel:WORD_1 dst_unused:UNUSED_PAD src0_sel:DWORD src1_sel:DWORD
	s_nop 0
	v_or_b32_sdwa v30, v14, v15 dst_sel:DWORD dst_unused:UNUSED_PAD src0_sel:WORD_0 src1_sel:DWORD
.LBB675_22:
	v_and_b32_e32 v33, 0xff, v30
	v_bfe_u32 v34, v30, 8, 8
	v_bfe_u32 v35, v30, 16, 8
	v_lshrrev_b32_e32 v31, 24, v30
	v_and_b32_e32 v36, 0xff, v29
	v_add3_u32 v15, v34, v33, v35
	v_and_b32_e32 v37, 0xff, v28
	v_and_b32_e32 v14, 0xff, v19
	v_add3_u32 v15, v15, v31, v36
	v_add3_u32 v40, v15, v37, v14
	v_mbcnt_lo_u32_b32 v14, -1, 0
	v_mbcnt_hi_u32_b32 v38, -1, v14
	v_and_b32_e32 v14, 15, v38
	v_cmp_eq_u32_e64 s[16:17], 0, v14
	v_cmp_lt_u32_e64 s[14:15], 1, v14
	v_cmp_lt_u32_e64 s[12:13], 3, v14
	;; [unrolled: 1-line block ×3, first 2 shown]
	v_and_b32_e32 v14, 16, v38
	v_cmp_eq_u32_e64 s[8:9], 0, v14
	v_or_b32_e32 v14, 63, v0
	s_cmp_lg_u32 s2, 0
	v_cmp_lt_u32_e64 s[4:5], 31, v38
	v_lshrrev_b32_e32 v39, 6, v0
	v_cmp_eq_u32_e64 s[6:7], v14, v0
	s_cbranch_scc0 .LBB675_49
; %bb.23:
	v_mov_b32_dpp v14, v40 row_shr:1 row_mask:0xf bank_mask:0xf
	v_cndmask_b32_e64 v14, v14, 0, s[16:17]
	v_add_u32_e32 v14, v14, v40
	s_nop 1
	v_mov_b32_dpp v15, v14 row_shr:2 row_mask:0xf bank_mask:0xf
	v_cndmask_b32_e64 v15, 0, v15, s[14:15]
	v_add_u32_e32 v14, v14, v15
	s_nop 1
	;; [unrolled: 4-line block ×4, first 2 shown]
	v_mov_b32_dpp v15, v14 row_bcast:15 row_mask:0xf bank_mask:0xf
	v_cndmask_b32_e64 v15, v15, 0, s[8:9]
	v_add_u32_e32 v14, v14, v15
	s_nop 1
	v_mov_b32_dpp v15, v14 row_bcast:31 row_mask:0xf bank_mask:0xf
	v_cndmask_b32_e64 v15, 0, v15, s[4:5]
	v_add_u32_e32 v14, v14, v15
	s_and_saveexec_b64 s[18:19], s[6:7]
	s_cbranch_execz .LBB675_25
; %bb.24:
	v_lshlrev_b32_e32 v15, 2, v39
	ds_write_b32 v15, v14
.LBB675_25:
	s_or_b64 exec, exec, s[18:19]
	v_cmp_gt_u32_e32 vcc, 8, v0
	s_waitcnt lgkmcnt(0)
	s_barrier
	s_and_saveexec_b64 s[18:19], vcc
	s_cbranch_execz .LBB675_27
; %bb.26:
	v_lshlrev_b32_e32 v15, 2, v0
	ds_read_b32 v20, v15
	v_and_b32_e32 v21, 7, v38
	v_cmp_ne_u32_e32 vcc, 0, v21
	s_waitcnt lgkmcnt(0)
	v_mov_b32_dpp v22, v20 row_shr:1 row_mask:0xf bank_mask:0xf
	v_cndmask_b32_e32 v22, 0, v22, vcc
	v_add_u32_e32 v20, v22, v20
	v_cmp_lt_u32_e32 vcc, 1, v21
	s_nop 0
	v_mov_b32_dpp v22, v20 row_shr:2 row_mask:0xf bank_mask:0xf
	v_cndmask_b32_e32 v22, 0, v22, vcc
	v_add_u32_e32 v20, v20, v22
	v_cmp_lt_u32_e32 vcc, 3, v21
	s_nop 0
	v_mov_b32_dpp v22, v20 row_shr:4 row_mask:0xf bank_mask:0xf
	v_cndmask_b32_e32 v21, 0, v22, vcc
	v_add_u32_e32 v20, v20, v21
	ds_write_b32 v15, v20
.LBB675_27:
	s_or_b64 exec, exec, s[18:19]
	v_cmp_gt_u32_e32 vcc, 64, v0
	v_cmp_lt_u32_e64 s[18:19], 63, v0
	s_waitcnt lgkmcnt(0)
	s_barrier
	s_waitcnt lgkmcnt(0)
                                        ; implicit-def: $vgpr41
	s_and_saveexec_b64 s[38:39], s[18:19]
	s_cbranch_execz .LBB675_29
; %bb.28:
	v_lshl_add_u32 v15, v39, 2, -4
	ds_read_b32 v41, v15
	s_waitcnt lgkmcnt(0)
	v_add_u32_e32 v14, v41, v14
.LBB675_29:
	s_or_b64 exec, exec, s[38:39]
	v_add_u32_e32 v15, -1, v38
	v_and_b32_e32 v20, 64, v38
	v_cmp_lt_i32_e64 s[18:19], v15, v20
	s_nop 1
	v_cndmask_b32_e64 v15, v15, v38, s[18:19]
	v_lshlrev_b32_e32 v15, 2, v15
	ds_bpermute_b32 v42, v15, v14
	v_cmp_eq_u32_e64 s[18:19], 0, v38
	s_and_saveexec_b64 s[38:39], vcc
	s_cbranch_execz .LBB675_48
; %bb.30:
	v_mov_b32_e32 v25, 0
	ds_read_b32 v14, v25 offset:28
	s_and_saveexec_b64 s[40:41], s[18:19]
	s_cbranch_execz .LBB675_32
; %bb.31:
	s_add_i32 s42, s2, 64
	s_mov_b32 s43, 0
	s_lshl_b64 s[42:43], s[42:43], 3
	s_add_u32 s42, s36, s42
	v_mov_b32_e32 v15, 1
	s_addc_u32 s43, s37, s43
	s_waitcnt lgkmcnt(0)
	global_store_dwordx2 v25, v[14:15], s[42:43] sc1
.LBB675_32:
	s_or_b64 exec, exec, s[40:41]
	v_xad_u32 v20, v38, -1, s2
	v_add_u32_e32 v24, 64, v20
	v_lshl_add_u64 v[26:27], v[24:25], 3, s[36:37]
	global_load_dwordx2 v[22:23], v[26:27], off sc1
	s_waitcnt vmcnt(0)
	v_cmp_eq_u16_sdwa s[42:43], v23, v25 src0_sel:BYTE_0 src1_sel:DWORD
	s_and_saveexec_b64 s[40:41], s[42:43]
	s_cbranch_execz .LBB675_36
; %bb.33:
	s_mov_b64 s[42:43], 0
	v_mov_b32_e32 v15, 0
.LBB675_34:                             ; =>This Inner Loop Header: Depth=1
	global_load_dwordx2 v[22:23], v[26:27], off sc1
	s_waitcnt vmcnt(0)
	v_cmp_ne_u16_sdwa s[44:45], v23, v15 src0_sel:BYTE_0 src1_sel:DWORD
	s_or_b64 s[42:43], s[44:45], s[42:43]
	s_andn2_b64 exec, exec, s[42:43]
	s_cbranch_execnz .LBB675_34
; %bb.35:
	s_or_b64 exec, exec, s[42:43]
.LBB675_36:
	s_or_b64 exec, exec, s[40:41]
	v_and_b32_e32 v44, 63, v38
	v_mov_b32_e32 v43, 2
	v_cmp_ne_u32_e32 vcc, 63, v44
	v_cmp_eq_u16_sdwa s[40:41], v23, v43 src0_sel:BYTE_0 src1_sel:DWORD
	v_lshlrev_b64 v[24:25], v38, -1
	v_addc_co_u32_e32 v26, vcc, 0, v38, vcc
	v_and_b32_e32 v15, s41, v25
	v_lshlrev_b32_e32 v45, 2, v26
	v_or_b32_e32 v15, 0x80000000, v15
	ds_bpermute_b32 v26, v45, v22
	v_and_b32_e32 v21, s40, v24
	v_ffbl_b32_e32 v15, v15
	v_add_u32_e32 v15, 32, v15
	v_ffbl_b32_e32 v21, v21
	v_min_u32_e32 v15, v21, v15
	v_cmp_lt_u32_e32 vcc, v44, v15
	v_add_u32_e32 v47, 2, v44
	v_add_u32_e32 v49, 4, v44
	s_waitcnt lgkmcnt(0)
	v_cndmask_b32_e32 v21, 0, v26, vcc
	v_cmp_gt_u32_e32 vcc, 62, v44
	v_add_u32_e32 v21, v21, v22
	v_add_u32_e32 v51, 8, v44
	v_cndmask_b32_e64 v22, 0, 1, vcc
	v_lshlrev_b32_e32 v22, 1, v22
	v_add_lshl_u32 v46, v22, v38, 2
	ds_bpermute_b32 v22, v46, v21
	v_cmp_le_u32_e32 vcc, v47, v15
	v_add_u32_e32 v53, 16, v44
	v_add_u32_e32 v55, 32, v44
	s_waitcnt lgkmcnt(0)
	v_cndmask_b32_e32 v22, 0, v22, vcc
	v_cmp_gt_u32_e32 vcc, 60, v44
	v_add_u32_e32 v21, v21, v22
	s_nop 0
	v_cndmask_b32_e64 v22, 0, 1, vcc
	v_lshlrev_b32_e32 v22, 2, v22
	v_add_lshl_u32 v48, v22, v38, 2
	ds_bpermute_b32 v22, v48, v21
	v_cmp_le_u32_e32 vcc, v49, v15
	s_waitcnt lgkmcnt(0)
	s_nop 0
	v_cndmask_b32_e32 v22, 0, v22, vcc
	v_cmp_gt_u32_e32 vcc, 56, v44
	v_add_u32_e32 v21, v21, v22
	s_nop 0
	v_cndmask_b32_e64 v22, 0, 1, vcc
	v_lshlrev_b32_e32 v22, 3, v22
	v_add_lshl_u32 v50, v22, v38, 2
	ds_bpermute_b32 v22, v50, v21
	v_cmp_le_u32_e32 vcc, v51, v15
	s_waitcnt lgkmcnt(0)
	s_nop 0
	;; [unrolled: 11-line block ×4, first 2 shown]
	v_cndmask_b32_e32 v15, 0, v22, vcc
	v_add_u32_e32 v22, v21, v15
	v_mov_b32_e32 v21, 0
	s_branch .LBB675_38
.LBB675_37:                             ;   in Loop: Header=BB675_38 Depth=1
	s_or_b64 exec, exec, s[40:41]
	v_cmp_eq_u16_sdwa s[40:41], v23, v43 src0_sel:BYTE_0 src1_sel:DWORD
	ds_bpermute_b32 v56, v45, v22
	v_subrev_u32_e32 v20, 64, v20
	v_and_b32_e32 v26, s41, v25
	v_or_b32_e32 v26, 0x80000000, v26
	v_and_b32_e32 v27, s40, v24
	v_ffbl_b32_e32 v26, v26
	v_add_u32_e32 v26, 32, v26
	v_ffbl_b32_e32 v27, v27
	v_min_u32_e32 v26, v27, v26
	v_cmp_lt_u32_e32 vcc, v44, v26
	s_waitcnt lgkmcnt(0)
	s_nop 0
	v_cndmask_b32_e32 v27, 0, v56, vcc
	v_add_u32_e32 v22, v27, v22
	ds_bpermute_b32 v27, v46, v22
	v_cmp_le_u32_e32 vcc, v47, v26
	s_waitcnt lgkmcnt(0)
	s_nop 0
	v_cndmask_b32_e32 v27, 0, v27, vcc
	v_add_u32_e32 v22, v22, v27
	ds_bpermute_b32 v27, v48, v22
	v_cmp_le_u32_e32 vcc, v49, v26
	;; [unrolled: 6-line block ×5, first 2 shown]
	s_waitcnt lgkmcnt(0)
	s_nop 0
	v_cndmask_b32_e32 v26, 0, v27, vcc
	v_add3_u32 v22, v26, v15, v22
.LBB675_38:                             ; =>This Loop Header: Depth=1
                                        ;     Child Loop BB675_41 Depth 2
	v_cmp_ne_u16_sdwa s[40:41], v23, v43 src0_sel:BYTE_0 src1_sel:DWORD
	s_nop 1
	v_cndmask_b32_e64 v15, 0, 1, s[40:41]
	;;#ASMSTART
	;;#ASMEND
	s_nop 0
	v_cmp_ne_u32_e32 vcc, 0, v15
	s_cmp_lg_u64 vcc, exec
	v_mov_b32_e32 v15, v22
	s_cbranch_scc1 .LBB675_43
; %bb.39:                               ;   in Loop: Header=BB675_38 Depth=1
	v_lshl_add_u64 v[26:27], v[20:21], 3, s[36:37]
	global_load_dwordx2 v[22:23], v[26:27], off sc1
	s_waitcnt vmcnt(0)
	v_cmp_eq_u16_sdwa s[42:43], v23, v21 src0_sel:BYTE_0 src1_sel:DWORD
	s_and_saveexec_b64 s[40:41], s[42:43]
	s_cbranch_execz .LBB675_37
; %bb.40:                               ;   in Loop: Header=BB675_38 Depth=1
	s_mov_b64 s[42:43], 0
.LBB675_41:                             ;   Parent Loop BB675_38 Depth=1
                                        ; =>  This Inner Loop Header: Depth=2
	global_load_dwordx2 v[22:23], v[26:27], off sc1
	s_waitcnt vmcnt(0)
	v_cmp_ne_u16_sdwa s[44:45], v23, v21 src0_sel:BYTE_0 src1_sel:DWORD
	s_or_b64 s[42:43], s[44:45], s[42:43]
	s_andn2_b64 exec, exec, s[42:43]
	s_cbranch_execnz .LBB675_41
; %bb.42:                               ;   in Loop: Header=BB675_38 Depth=1
	s_or_b64 exec, exec, s[42:43]
	s_branch .LBB675_37
.LBB675_43:                             ;   in Loop: Header=BB675_38 Depth=1
                                        ; implicit-def: $vgpr22
                                        ; implicit-def: $vgpr23
	s_cbranch_execz .LBB675_38
; %bb.44:
	s_and_saveexec_b64 s[40:41], s[18:19]
	s_cbranch_execz .LBB675_46
; %bb.45:
	s_add_i32 s2, s2, 64
	s_mov_b32 s3, 0
	s_lshl_b64 s[2:3], s[2:3], 3
	s_add_u32 s2, s36, s2
	v_add_u32_e32 v20, v15, v14
	v_mov_b32_e32 v21, 2
	s_addc_u32 s3, s37, s3
	v_mov_b32_e32 v22, 0
	global_store_dwordx2 v22, v[20:21], s[2:3] sc1
	ds_write_b64 v22, v[14:15] offset:28672
.LBB675_46:
	s_or_b64 exec, exec, s[40:41]
	v_cmp_eq_u32_e32 vcc, 0, v0
	s_and_b64 exec, exec, vcc
	s_cbranch_execz .LBB675_48
; %bb.47:
	v_mov_b32_e32 v14, 0
	ds_write_b32 v14, v15 offset:28
.LBB675_48:
	s_or_b64 exec, exec, s[38:39]
	v_mov_b32_e32 v14, 0
	s_waitcnt lgkmcnt(0)
	s_barrier
	ds_read_b32 v15, v14 offset:28
	v_cndmask_b32_e64 v20, v42, v41, s[18:19]
	v_cmp_ne_u32_e32 vcc, 0, v0
	s_waitcnt lgkmcnt(0)
	s_barrier
	v_cndmask_b32_e32 v20, 0, v20, vcc
	v_add_u32_e32 v27, v15, v20
	v_add_u32_e32 v26, v27, v33
	ds_read_b64 v[14:15], v14 offset:28672
	v_add_u32_e32 v25, v26, v34
	v_add_u32_e32 v24, v25, v35
	;; [unrolled: 1-line block ×5, first 2 shown]
	s_waitcnt lgkmcnt(0)
	v_mov_b32_e32 v22, v15
	s_load_dwordx2 s[2:3], s[0:1], 0x28
	s_branch .LBB675_59
.LBB675_49:
                                        ; implicit-def: $vgpr22
                                        ; implicit-def: $vgpr14
                                        ; implicit-def: $vgpr20
                                        ; implicit-def: $vgpr21
                                        ; implicit-def: $vgpr23
                                        ; implicit-def: $vgpr24
                                        ; implicit-def: $vgpr25
                                        ; implicit-def: $vgpr26
                                        ; implicit-def: $vgpr27
	s_load_dwordx2 s[2:3], s[0:1], 0x28
	s_cbranch_execz .LBB675_59
; %bb.50:
	v_mov_b32_dpp v14, v40 row_shr:1 row_mask:0xf bank_mask:0xf
	v_cndmask_b32_e64 v14, v14, 0, s[16:17]
	v_add_u32_e32 v14, v14, v40
	s_nop 1
	v_mov_b32_dpp v15, v14 row_shr:2 row_mask:0xf bank_mask:0xf
	v_cndmask_b32_e64 v15, 0, v15, s[14:15]
	v_add_u32_e32 v14, v14, v15
	s_nop 1
	;; [unrolled: 4-line block ×4, first 2 shown]
	v_mov_b32_dpp v15, v14 row_bcast:15 row_mask:0xf bank_mask:0xf
	v_cndmask_b32_e64 v15, v15, 0, s[8:9]
	v_add_u32_e32 v14, v14, v15
	s_nop 1
	v_mov_b32_dpp v15, v14 row_bcast:31 row_mask:0xf bank_mask:0xf
	v_cndmask_b32_e64 v15, 0, v15, s[4:5]
	v_add_u32_e32 v14, v14, v15
	s_and_saveexec_b64 s[0:1], s[6:7]
	s_cbranch_execz .LBB675_52
; %bb.51:
	v_lshlrev_b32_e32 v15, 2, v39
	ds_write_b32 v15, v14
.LBB675_52:
	s_or_b64 exec, exec, s[0:1]
	v_cmp_gt_u32_e32 vcc, 8, v0
	s_waitcnt lgkmcnt(0)
	s_barrier
	s_and_saveexec_b64 s[0:1], vcc
	s_cbranch_execz .LBB675_54
; %bb.53:
	s_movk_i32 s4, 0xffcc
	v_mad_i32_i24 v15, v0, s4, v32
	ds_read_b32 v20, v15
	v_and_b32_e32 v21, 7, v38
	v_cmp_ne_u32_e32 vcc, 0, v21
	s_waitcnt lgkmcnt(0)
	v_mov_b32_dpp v22, v20 row_shr:1 row_mask:0xf bank_mask:0xf
	v_cndmask_b32_e32 v22, 0, v22, vcc
	v_add_u32_e32 v20, v22, v20
	v_cmp_lt_u32_e32 vcc, 1, v21
	s_nop 0
	v_mov_b32_dpp v22, v20 row_shr:2 row_mask:0xf bank_mask:0xf
	v_cndmask_b32_e32 v22, 0, v22, vcc
	v_add_u32_e32 v20, v20, v22
	v_cmp_lt_u32_e32 vcc, 3, v21
	s_nop 0
	v_mov_b32_dpp v22, v20 row_shr:4 row_mask:0xf bank_mask:0xf
	v_cndmask_b32_e32 v21, 0, v22, vcc
	v_add_u32_e32 v20, v20, v21
	ds_write_b32 v15, v20
.LBB675_54:
	s_or_b64 exec, exec, s[0:1]
	v_cmp_lt_u32_e32 vcc, 63, v0
	v_mov_b32_e32 v15, 0
	v_mov_b32_e32 v20, 0
	s_waitcnt lgkmcnt(0)
	s_barrier
	s_and_saveexec_b64 s[0:1], vcc
	s_cbranch_execz .LBB675_56
; %bb.55:
	v_lshl_add_u32 v20, v39, 2, -4
	ds_read_b32 v20, v20
.LBB675_56:
	s_or_b64 exec, exec, s[0:1]
	v_add_u32_e32 v21, -1, v38
	v_and_b32_e32 v22, 64, v38
	v_cmp_lt_i32_e32 vcc, v21, v22
	s_waitcnt lgkmcnt(0)
	v_add_u32_e32 v14, v20, v14
	v_cndmask_b32_e32 v21, v21, v38, vcc
	v_lshlrev_b32_e32 v21, 2, v21
	ds_bpermute_b32 v21, v21, v14
	ds_read_b32 v14, v15 offset:28
	v_cmp_eq_u32_e32 vcc, 0, v0
	s_and_saveexec_b64 s[0:1], vcc
	s_cbranch_execz .LBB675_58
; %bb.57:
	v_mov_b32_e32 v22, 0
	v_mov_b32_e32 v15, 2
	s_waitcnt lgkmcnt(0)
	global_store_dwordx2 v22, v[14:15], s[36:37] offset:512 sc1
.LBB675_58:
	s_or_b64 exec, exec, s[0:1]
	v_cmp_eq_u32_e64 s[0:1], 0, v38
	v_mov_b32_e32 v22, 0
	s_waitcnt lgkmcnt(0)
	v_cndmask_b32_e64 v15, v21, v20, s[0:1]
	v_cndmask_b32_e64 v27, v15, 0, vcc
	v_add_u32_e32 v26, v27, v33
	v_add_u32_e32 v25, v26, v34
	;; [unrolled: 1-line block ×6, first 2 shown]
	s_barrier
.LBB675_59:
	v_add_u32_e32 v1, v14, v1
	v_sub_u32_e32 v27, v27, v22
	v_and_b32_e32 v33, 1, v30
	v_sub_u32_e32 v32, v1, v27
	v_cmp_eq_u32_e32 vcc, 1, v33
	v_lshrrev_b32_e32 v15, 8, v30
	v_and_b32_e32 v15, 1, v15
	v_cndmask_b32_e32 v27, v32, v27, vcc
	v_lshlrev_b32_e32 v27, 3, v27
	ds_write_b64 v27, v[10:11]
	v_sub_u32_e32 v10, v26, v22
	v_sub_u32_e32 v11, v1, v10
	v_add_u32_e32 v11, 1, v11
	v_cmp_eq_u32_e32 vcc, 1, v15
	s_add_u32 s0, s22, s30
	s_addc_u32 s1, s23, 0
	v_cndmask_b32_e32 v10, v11, v10, vcc
	v_lshlrev_b32_e32 v10, 3, v10
	ds_write_b64 v10, v[12:13]
	v_sub_u32_e32 v10, v25, v22
	v_mov_b32_e32 v12, 1
	v_sub_u32_e32 v11, v1, v10
	v_and_b32_sdwa v12, v12, v30 dst_sel:DWORD dst_unused:UNUSED_PAD src0_sel:DWORD src1_sel:WORD_1
	v_add_u32_e32 v11, 2, v11
	v_cmp_eq_u32_e32 vcc, 1, v12
	s_sub_u32 s0, s28, s0
	s_subb_u32 s1, s29, s1
	v_cndmask_b32_e32 v10, v11, v10, vcc
	v_lshlrev_b32_e32 v10, 3, v10
	ds_write_b64 v10, v[6:7]
	v_sub_u32_e32 v6, v24, v22
	v_sub_u32_e32 v7, v1, v6
	v_and_b32_e32 v10, 1, v31
	v_add_u32_e32 v7, 3, v7
	v_cmp_eq_u32_e32 vcc, 1, v10
	v_or_b32_e32 v32, 0x200, v0
	v_or_b32_e32 v30, 0x400, v0
	v_cndmask_b32_e32 v6, v7, v6, vcc
	v_lshlrev_b32_e32 v6, 3, v6
	ds_write_b64 v6, v[8:9]
	v_sub_u32_e32 v6, v23, v22
	v_sub_u32_e32 v7, v1, v6
	v_and_b32_e32 v8, 1, v29
	v_add_u32_e32 v7, 4, v7
	v_cmp_eq_u32_e32 vcc, 1, v8
	v_or_b32_e32 v26, 0x800, v0
	v_or_b32_e32 v24, 0xa00, v0
	v_cndmask_b32_e32 v6, v7, v6, vcc
	v_lshlrev_b32_e32 v6, 3, v6
	ds_write_b64 v6, v[2:3]
	v_sub_u32_e32 v2, v21, v22
	v_sub_u32_e32 v3, v1, v2
	v_and_b32_e32 v6, 1, v28
	v_add_u32_e32 v3, 5, v3
	v_cmp_eq_u32_e32 vcc, 1, v6
	v_or_b32_e32 v28, 0x600, v0
	s_nop 0
	v_cndmask_b32_e32 v2, v3, v2, vcc
	v_lshlrev_b32_e32 v2, 3, v2
	ds_write_b64 v2, v[4:5]
	v_sub_u32_e32 v2, v20, v22
	v_sub_u32_e32 v1, v1, v2
	v_and_b32_e32 v3, 1, v19
	v_add_u32_e32 v1, 6, v1
	v_cmp_eq_u32_e32 vcc, 1, v3
	v_or_b32_e32 v20, 0xc00, v0
	s_nop 0
	v_cndmask_b32_e32 v1, v1, v2, vcc
	v_lshlrev_b32_e32 v1, 3, v1
	ds_write_b64 v1, v[16:17]
	s_waitcnt lgkmcnt(0)
	s_barrier
	ds_read2st64_b64 v[10:13], v18 offset1:8
	ds_read2st64_b64 v[6:9], v18 offset0:16 offset1:24
	ds_read2st64_b64 v[2:5], v18 offset0:32 offset1:40
	ds_read_b64 v[18:19], v18 offset:24576
	v_mov_b32_e32 v1, 0
	v_mov_b32_e32 v23, v1
	;; [unrolled: 1-line block ×3, first 2 shown]
	v_lshl_add_u64 v[16:17], s[34:35], 0, v[22:23]
	v_lshl_add_u64 v[22:23], s[0:1], 0, v[14:15]
	v_mov_b32_e32 v33, v1
	v_mov_b32_e32 v31, v1
	;; [unrolled: 1-line block ×6, first 2 shown]
	s_and_b64 vcc, exec, s[20:21]
	v_lshl_add_u64 v[22:23], v[22:23], 0, v[16:17]
	s_cbranch_vccnz .LBB675_89
; %bb.60:
	v_cmp_ge_u32_e32 vcc, v0, v14
                                        ; implicit-def: $vgpr34_vgpr35
	s_and_saveexec_b64 s[0:1], vcc
	s_xor_b64 s[0:1], exec, s[0:1]
; %bb.61:
	v_not_b32_e32 v34, v0
	v_ashrrev_i32_e32 v35, 31, v34
	v_lshl_add_u64 v[34:35], v[22:23], 0, v[34:35]
; %bb.62:
	s_andn2_saveexec_b64 s[0:1], s[0:1]
; %bb.63:
	v_lshl_add_u64 v[34:35], v[16:17], 0, v[0:1]
; %bb.64:
	s_or_b64 exec, exec, s[0:1]
	v_lshl_add_u64 v[34:35], v[34:35], 3, s[2:3]
	v_cmp_ge_u32_e32 vcc, v32, v14
	s_waitcnt lgkmcnt(3)
	global_store_dwordx2 v[34:35], v[10:11], off
                                        ; implicit-def: $vgpr34_vgpr35
	s_and_saveexec_b64 s[0:1], vcc
	s_xor_b64 s[0:1], exec, s[0:1]
; %bb.65:
	v_xor_b32_e32 v34, 0xfffffdff, v0
	v_ashrrev_i32_e32 v35, 31, v34
	v_lshl_add_u64 v[34:35], v[22:23], 0, v[34:35]
; %bb.66:
	s_andn2_saveexec_b64 s[0:1], s[0:1]
; %bb.67:
	v_lshl_add_u64 v[34:35], v[16:17], 0, v[32:33]
; %bb.68:
	s_or_b64 exec, exec, s[0:1]
	v_lshl_add_u64 v[34:35], v[34:35], 3, s[2:3]
	v_cmp_ge_u32_e32 vcc, v30, v14
	global_store_dwordx2 v[34:35], v[12:13], off
                                        ; implicit-def: $vgpr34_vgpr35
	s_and_saveexec_b64 s[0:1], vcc
	s_xor_b64 s[0:1], exec, s[0:1]
; %bb.69:
	v_xor_b32_e32 v34, 0xfffffbff, v0
	v_ashrrev_i32_e32 v35, 31, v34
	v_lshl_add_u64 v[34:35], v[22:23], 0, v[34:35]
; %bb.70:
	s_andn2_saveexec_b64 s[0:1], s[0:1]
; %bb.71:
	v_lshl_add_u64 v[34:35], v[16:17], 0, v[30:31]
; %bb.72:
	s_or_b64 exec, exec, s[0:1]
	v_lshl_add_u64 v[34:35], v[34:35], 3, s[2:3]
	v_cmp_ge_u32_e32 vcc, v28, v14
	s_waitcnt lgkmcnt(2)
	global_store_dwordx2 v[34:35], v[6:7], off
                                        ; implicit-def: $vgpr34_vgpr35
	s_and_saveexec_b64 s[0:1], vcc
	s_xor_b64 s[0:1], exec, s[0:1]
; %bb.73:
	v_xor_b32_e32 v34, 0xfffff9ff, v0
	v_ashrrev_i32_e32 v35, 31, v34
	v_lshl_add_u64 v[34:35], v[22:23], 0, v[34:35]
; %bb.74:
	s_andn2_saveexec_b64 s[0:1], s[0:1]
; %bb.75:
	v_lshl_add_u64 v[34:35], v[16:17], 0, v[28:29]
; %bb.76:
	s_or_b64 exec, exec, s[0:1]
	v_lshl_add_u64 v[34:35], v[34:35], 3, s[2:3]
	v_cmp_ge_u32_e32 vcc, v26, v14
	global_store_dwordx2 v[34:35], v[8:9], off
                                        ; implicit-def: $vgpr34_vgpr35
	s_and_saveexec_b64 s[0:1], vcc
	s_xor_b64 s[0:1], exec, s[0:1]
; %bb.77:
	v_xor_b32_e32 v34, 0xfffff7ff, v0
	;; [unrolled: 33-line block ×3, first 2 shown]
	v_ashrrev_i32_e32 v35, 31, v34
	v_lshl_add_u64 v[34:35], v[22:23], 0, v[34:35]
; %bb.86:
	s_andn2_saveexec_b64 s[0:1], s[0:1]
; %bb.87:
	v_lshl_add_u64 v[34:35], v[16:17], 0, v[20:21]
; %bb.88:
	s_or_b64 exec, exec, s[0:1]
	s_mov_b64 s[0:1], -1
	s_branch .LBB675_133
.LBB675_89:
	s_mov_b64 s[0:1], 0
                                        ; implicit-def: $vgpr34_vgpr35
	s_cbranch_execz .LBB675_133
; %bb.90:
	v_cmp_gt_u32_e32 vcc, s33, v0
	s_and_saveexec_b64 s[4:5], vcc
	s_cbranch_execz .LBB675_108
; %bb.91:
	v_cmp_ge_u32_e32 vcc, v0, v14
                                        ; implicit-def: $vgpr34_vgpr35
	s_and_saveexec_b64 s[6:7], vcc
	s_xor_b64 s[6:7], exec, s[6:7]
; %bb.92:
	v_not_b32_e32 v34, v0
	v_ashrrev_i32_e32 v35, 31, v34
	v_lshl_add_u64 v[34:35], v[22:23], 0, v[34:35]
; %bb.93:
	s_andn2_saveexec_b64 s[6:7], s[6:7]
; %bb.94:
	v_lshl_add_u64 v[34:35], v[16:17], 0, v[0:1]
; %bb.95:
	s_or_b64 exec, exec, s[6:7]
	v_lshl_add_u64 v[34:35], v[34:35], 3, s[2:3]
	s_waitcnt lgkmcnt(3)
	global_store_dwordx2 v[34:35], v[10:11], off
	s_or_b64 exec, exec, s[4:5]
	v_cmp_gt_u32_e32 vcc, s33, v32
	s_and_saveexec_b64 s[4:5], vcc
	s_cbranch_execnz .LBB675_109
.LBB675_96:
	s_or_b64 exec, exec, s[4:5]
	v_cmp_gt_u32_e32 vcc, s33, v30
	s_and_saveexec_b64 s[4:5], vcc
	s_cbranch_execz .LBB675_114
.LBB675_97:
	v_cmp_ge_u32_e32 vcc, v30, v14
                                        ; implicit-def: $vgpr10_vgpr11
	s_and_saveexec_b64 s[6:7], vcc
	s_xor_b64 s[6:7], exec, s[6:7]
	s_cbranch_execz .LBB675_99
; %bb.98:
	s_waitcnt lgkmcnt(3)
	v_xor_b32_e32 v10, 0xfffffbff, v0
	v_ashrrev_i32_e32 v11, 31, v10
	v_lshl_add_u64 v[10:11], v[22:23], 0, v[10:11]
                                        ; implicit-def: $vgpr30_vgpr31
.LBB675_99:
	s_andn2_saveexec_b64 s[6:7], s[6:7]
	s_cbranch_execz .LBB675_101
; %bb.100:
	s_waitcnt lgkmcnt(3)
	v_lshl_add_u64 v[10:11], v[16:17], 0, v[30:31]
.LBB675_101:
	s_or_b64 exec, exec, s[6:7]
	s_waitcnt lgkmcnt(3)
	v_lshl_add_u64 v[10:11], v[10:11], 3, s[2:3]
	s_waitcnt lgkmcnt(2)
	global_store_dwordx2 v[10:11], v[6:7], off
	s_or_b64 exec, exec, s[4:5]
	v_cmp_gt_u32_e32 vcc, s33, v28
	s_and_saveexec_b64 s[4:5], vcc
	s_cbranch_execnz .LBB675_115
.LBB675_102:
	s_or_b64 exec, exec, s[4:5]
	v_cmp_gt_u32_e32 vcc, s33, v26
	s_and_saveexec_b64 s[4:5], vcc
	s_cbranch_execz .LBB675_120
.LBB675_103:
	v_cmp_ge_u32_e32 vcc, v26, v14
                                        ; implicit-def: $vgpr6_vgpr7
	s_and_saveexec_b64 s[6:7], vcc
	s_xor_b64 s[6:7], exec, s[6:7]
	s_cbranch_execz .LBB675_105
; %bb.104:
	s_waitcnt lgkmcnt(2)
	v_xor_b32_e32 v6, 0xfffff7ff, v0
	v_ashrrev_i32_e32 v7, 31, v6
	v_lshl_add_u64 v[6:7], v[22:23], 0, v[6:7]
                                        ; implicit-def: $vgpr26_vgpr27
.LBB675_105:
	s_andn2_saveexec_b64 s[6:7], s[6:7]
	s_cbranch_execz .LBB675_107
; %bb.106:
	s_waitcnt lgkmcnt(2)
	v_lshl_add_u64 v[6:7], v[16:17], 0, v[26:27]
.LBB675_107:
	s_or_b64 exec, exec, s[6:7]
	s_waitcnt lgkmcnt(2)
	v_lshl_add_u64 v[6:7], v[6:7], 3, s[2:3]
	s_waitcnt lgkmcnt(1)
	global_store_dwordx2 v[6:7], v[2:3], off
	s_or_b64 exec, exec, s[4:5]
	v_cmp_gt_u32_e32 vcc, s33, v24
	s_and_saveexec_b64 s[4:5], vcc
	s_cbranch_execz .LBB675_126
	s_branch .LBB675_121
.LBB675_108:
	s_or_b64 exec, exec, s[4:5]
	v_cmp_gt_u32_e32 vcc, s33, v32
	s_and_saveexec_b64 s[4:5], vcc
	s_cbranch_execz .LBB675_96
.LBB675_109:
	v_cmp_ge_u32_e32 vcc, v32, v14
                                        ; implicit-def: $vgpr10_vgpr11
	s_and_saveexec_b64 s[6:7], vcc
	s_xor_b64 s[6:7], exec, s[6:7]
	s_cbranch_execz .LBB675_111
; %bb.110:
	s_waitcnt lgkmcnt(3)
	v_xor_b32_e32 v10, 0xfffffdff, v0
	v_ashrrev_i32_e32 v11, 31, v10
	v_lshl_add_u64 v[10:11], v[22:23], 0, v[10:11]
                                        ; implicit-def: $vgpr32_vgpr33
.LBB675_111:
	s_andn2_saveexec_b64 s[6:7], s[6:7]
	s_cbranch_execz .LBB675_113
; %bb.112:
	s_waitcnt lgkmcnt(3)
	v_lshl_add_u64 v[10:11], v[16:17], 0, v[32:33]
.LBB675_113:
	s_or_b64 exec, exec, s[6:7]
	s_waitcnt lgkmcnt(3)
	v_lshl_add_u64 v[10:11], v[10:11], 3, s[2:3]
	global_store_dwordx2 v[10:11], v[12:13], off
	s_or_b64 exec, exec, s[4:5]
	v_cmp_gt_u32_e32 vcc, s33, v30
	s_and_saveexec_b64 s[4:5], vcc
	s_cbranch_execnz .LBB675_97
.LBB675_114:
	s_or_b64 exec, exec, s[4:5]
	v_cmp_gt_u32_e32 vcc, s33, v28
	s_and_saveexec_b64 s[4:5], vcc
	s_cbranch_execz .LBB675_102
.LBB675_115:
	v_cmp_ge_u32_e32 vcc, v28, v14
                                        ; implicit-def: $vgpr6_vgpr7
	s_and_saveexec_b64 s[6:7], vcc
	s_xor_b64 s[6:7], exec, s[6:7]
	s_cbranch_execz .LBB675_117
; %bb.116:
	s_waitcnt lgkmcnt(2)
	v_xor_b32_e32 v6, 0xfffff9ff, v0
	v_ashrrev_i32_e32 v7, 31, v6
	v_lshl_add_u64 v[6:7], v[22:23], 0, v[6:7]
                                        ; implicit-def: $vgpr28_vgpr29
.LBB675_117:
	s_andn2_saveexec_b64 s[6:7], s[6:7]
	s_cbranch_execz .LBB675_119
; %bb.118:
	s_waitcnt lgkmcnt(2)
	v_lshl_add_u64 v[6:7], v[16:17], 0, v[28:29]
.LBB675_119:
	s_or_b64 exec, exec, s[6:7]
	s_waitcnt lgkmcnt(2)
	v_lshl_add_u64 v[6:7], v[6:7], 3, s[2:3]
	global_store_dwordx2 v[6:7], v[8:9], off
	s_or_b64 exec, exec, s[4:5]
	v_cmp_gt_u32_e32 vcc, s33, v26
	s_and_saveexec_b64 s[4:5], vcc
	s_cbranch_execnz .LBB675_103
.LBB675_120:
	s_or_b64 exec, exec, s[4:5]
	v_cmp_gt_u32_e32 vcc, s33, v24
	s_and_saveexec_b64 s[4:5], vcc
	s_cbranch_execz .LBB675_126
.LBB675_121:
	v_cmp_ge_u32_e32 vcc, v24, v14
                                        ; implicit-def: $vgpr2_vgpr3
	s_and_saveexec_b64 s[6:7], vcc
	s_xor_b64 s[6:7], exec, s[6:7]
	s_cbranch_execz .LBB675_123
; %bb.122:
	s_waitcnt lgkmcnt(1)
	v_xor_b32_e32 v2, 0xfffff5ff, v0
	v_ashrrev_i32_e32 v3, 31, v2
	v_lshl_add_u64 v[2:3], v[22:23], 0, v[2:3]
                                        ; implicit-def: $vgpr24_vgpr25
.LBB675_123:
	s_andn2_saveexec_b64 s[6:7], s[6:7]
	s_cbranch_execz .LBB675_125
; %bb.124:
	s_waitcnt lgkmcnt(1)
	v_lshl_add_u64 v[2:3], v[16:17], 0, v[24:25]
.LBB675_125:
	s_or_b64 exec, exec, s[6:7]
	s_waitcnt lgkmcnt(1)
	v_lshl_add_u64 v[2:3], v[2:3], 3, s[2:3]
	global_store_dwordx2 v[2:3], v[4:5], off
.LBB675_126:
	s_or_b64 exec, exec, s[4:5]
	v_cmp_gt_u32_e32 vcc, s33, v20
                                        ; implicit-def: $vgpr34_vgpr35
	s_and_saveexec_b64 s[4:5], vcc
	s_cbranch_execz .LBB675_132
; %bb.127:
	v_cmp_ge_u32_e32 vcc, v20, v14
                                        ; implicit-def: $vgpr34_vgpr35
	s_and_saveexec_b64 s[6:7], vcc
	s_xor_b64 s[6:7], exec, s[6:7]
	s_cbranch_execz .LBB675_129
; %bb.128:
	s_waitcnt lgkmcnt(1)
	v_xor_b32_e32 v2, 0xfffff3ff, v0
	v_ashrrev_i32_e32 v3, 31, v2
	v_lshl_add_u64 v[34:35], v[22:23], 0, v[2:3]
                                        ; implicit-def: $vgpr20_vgpr21
.LBB675_129:
	s_andn2_saveexec_b64 s[6:7], s[6:7]
; %bb.130:
	v_lshl_add_u64 v[34:35], v[16:17], 0, v[20:21]
; %bb.131:
	s_or_b64 exec, exec, s[6:7]
	s_or_b64 s[0:1], s[0:1], exec
.LBB675_132:
	s_or_b64 exec, exec, s[4:5]
.LBB675_133:
	s_and_saveexec_b64 s[4:5], s[0:1]
	s_cbranch_execz .LBB675_135
; %bb.134:
	s_waitcnt lgkmcnt(1)
	v_lshl_add_u64 v[2:3], v[34:35], 3, s[2:3]
	s_waitcnt lgkmcnt(0)
	global_store_dwordx2 v[2:3], v[18:19], off
.LBB675_135:
	s_or_b64 exec, exec, s[4:5]
	v_cmp_eq_u32_e32 vcc, 0, v0
	s_and_b64 s[0:1], vcc, s[26:27]
	s_and_saveexec_b64 s[2:3], s[0:1]
	s_cbranch_execz .LBB675_137
; %bb.136:
	s_waitcnt lgkmcnt(1)
	v_mov_b32_e32 v2, 0
	v_lshl_add_u64 v[0:1], v[16:17], 0, v[14:15]
	global_store_dwordx2 v2, v[0:1], s[24:25]
.LBB675_137:
	s_endpgm
	.section	.rodata,"a",@progbits
	.p2align	6, 0x0
	.amdhsa_kernel _ZN7rocprim17ROCPRIM_400000_NS6detail17trampoline_kernelINS0_14default_configENS1_25partition_config_selectorILNS1_17partition_subalgoE3EyNS0_10empty_typeEbEEZZNS1_14partition_implILS5_3ELb0ES3_jN6thrust23THRUST_200600_302600_NS6detail15normal_iteratorINSA_7pointerIyNSA_11hip_rocprim3tagENSA_11use_defaultESG_EEEEPS6_SJ_NS0_5tupleIJPySJ_EEENSK_IJSJ_SJ_EEES6_PlJ7is_evenIyEEEE10hipError_tPvRmT3_T4_T5_T6_T7_T9_mT8_P12ihipStream_tbDpT10_ENKUlT_T0_E_clISt17integral_constantIbLb0EES1A_EEDaS15_S16_EUlS15_E_NS1_11comp_targetILNS1_3genE5ELNS1_11target_archE942ELNS1_3gpuE9ELNS1_3repE0EEENS1_30default_config_static_selectorELNS0_4arch9wavefront6targetE1EEEvT1_
		.amdhsa_group_segment_fixed_size 28680
		.amdhsa_private_segment_fixed_size 0
		.amdhsa_kernarg_size 120
		.amdhsa_user_sgpr_count 2
		.amdhsa_user_sgpr_dispatch_ptr 0
		.amdhsa_user_sgpr_queue_ptr 0
		.amdhsa_user_sgpr_kernarg_segment_ptr 1
		.amdhsa_user_sgpr_dispatch_id 0
		.amdhsa_user_sgpr_kernarg_preload_length 0
		.amdhsa_user_sgpr_kernarg_preload_offset 0
		.amdhsa_user_sgpr_private_segment_size 0
		.amdhsa_uses_dynamic_stack 0
		.amdhsa_enable_private_segment 0
		.amdhsa_system_sgpr_workgroup_id_x 1
		.amdhsa_system_sgpr_workgroup_id_y 0
		.amdhsa_system_sgpr_workgroup_id_z 0
		.amdhsa_system_sgpr_workgroup_info 0
		.amdhsa_system_vgpr_workitem_id 0
		.amdhsa_next_free_vgpr 57
		.amdhsa_next_free_sgpr 46
		.amdhsa_accum_offset 60
		.amdhsa_reserve_vcc 1
		.amdhsa_float_round_mode_32 0
		.amdhsa_float_round_mode_16_64 0
		.amdhsa_float_denorm_mode_32 3
		.amdhsa_float_denorm_mode_16_64 3
		.amdhsa_dx10_clamp 1
		.amdhsa_ieee_mode 1
		.amdhsa_fp16_overflow 0
		.amdhsa_tg_split 0
		.amdhsa_exception_fp_ieee_invalid_op 0
		.amdhsa_exception_fp_denorm_src 0
		.amdhsa_exception_fp_ieee_div_zero 0
		.amdhsa_exception_fp_ieee_overflow 0
		.amdhsa_exception_fp_ieee_underflow 0
		.amdhsa_exception_fp_ieee_inexact 0
		.amdhsa_exception_int_div_zero 0
	.end_amdhsa_kernel
	.section	.text._ZN7rocprim17ROCPRIM_400000_NS6detail17trampoline_kernelINS0_14default_configENS1_25partition_config_selectorILNS1_17partition_subalgoE3EyNS0_10empty_typeEbEEZZNS1_14partition_implILS5_3ELb0ES3_jN6thrust23THRUST_200600_302600_NS6detail15normal_iteratorINSA_7pointerIyNSA_11hip_rocprim3tagENSA_11use_defaultESG_EEEEPS6_SJ_NS0_5tupleIJPySJ_EEENSK_IJSJ_SJ_EEES6_PlJ7is_evenIyEEEE10hipError_tPvRmT3_T4_T5_T6_T7_T9_mT8_P12ihipStream_tbDpT10_ENKUlT_T0_E_clISt17integral_constantIbLb0EES1A_EEDaS15_S16_EUlS15_E_NS1_11comp_targetILNS1_3genE5ELNS1_11target_archE942ELNS1_3gpuE9ELNS1_3repE0EEENS1_30default_config_static_selectorELNS0_4arch9wavefront6targetE1EEEvT1_,"axG",@progbits,_ZN7rocprim17ROCPRIM_400000_NS6detail17trampoline_kernelINS0_14default_configENS1_25partition_config_selectorILNS1_17partition_subalgoE3EyNS0_10empty_typeEbEEZZNS1_14partition_implILS5_3ELb0ES3_jN6thrust23THRUST_200600_302600_NS6detail15normal_iteratorINSA_7pointerIyNSA_11hip_rocprim3tagENSA_11use_defaultESG_EEEEPS6_SJ_NS0_5tupleIJPySJ_EEENSK_IJSJ_SJ_EEES6_PlJ7is_evenIyEEEE10hipError_tPvRmT3_T4_T5_T6_T7_T9_mT8_P12ihipStream_tbDpT10_ENKUlT_T0_E_clISt17integral_constantIbLb0EES1A_EEDaS15_S16_EUlS15_E_NS1_11comp_targetILNS1_3genE5ELNS1_11target_archE942ELNS1_3gpuE9ELNS1_3repE0EEENS1_30default_config_static_selectorELNS0_4arch9wavefront6targetE1EEEvT1_,comdat
.Lfunc_end675:
	.size	_ZN7rocprim17ROCPRIM_400000_NS6detail17trampoline_kernelINS0_14default_configENS1_25partition_config_selectorILNS1_17partition_subalgoE3EyNS0_10empty_typeEbEEZZNS1_14partition_implILS5_3ELb0ES3_jN6thrust23THRUST_200600_302600_NS6detail15normal_iteratorINSA_7pointerIyNSA_11hip_rocprim3tagENSA_11use_defaultESG_EEEEPS6_SJ_NS0_5tupleIJPySJ_EEENSK_IJSJ_SJ_EEES6_PlJ7is_evenIyEEEE10hipError_tPvRmT3_T4_T5_T6_T7_T9_mT8_P12ihipStream_tbDpT10_ENKUlT_T0_E_clISt17integral_constantIbLb0EES1A_EEDaS15_S16_EUlS15_E_NS1_11comp_targetILNS1_3genE5ELNS1_11target_archE942ELNS1_3gpuE9ELNS1_3repE0EEENS1_30default_config_static_selectorELNS0_4arch9wavefront6targetE1EEEvT1_, .Lfunc_end675-_ZN7rocprim17ROCPRIM_400000_NS6detail17trampoline_kernelINS0_14default_configENS1_25partition_config_selectorILNS1_17partition_subalgoE3EyNS0_10empty_typeEbEEZZNS1_14partition_implILS5_3ELb0ES3_jN6thrust23THRUST_200600_302600_NS6detail15normal_iteratorINSA_7pointerIyNSA_11hip_rocprim3tagENSA_11use_defaultESG_EEEEPS6_SJ_NS0_5tupleIJPySJ_EEENSK_IJSJ_SJ_EEES6_PlJ7is_evenIyEEEE10hipError_tPvRmT3_T4_T5_T6_T7_T9_mT8_P12ihipStream_tbDpT10_ENKUlT_T0_E_clISt17integral_constantIbLb0EES1A_EEDaS15_S16_EUlS15_E_NS1_11comp_targetILNS1_3genE5ELNS1_11target_archE942ELNS1_3gpuE9ELNS1_3repE0EEENS1_30default_config_static_selectorELNS0_4arch9wavefront6targetE1EEEvT1_
                                        ; -- End function
	.section	.AMDGPU.csdata,"",@progbits
; Kernel info:
; codeLenInByte = 4996
; NumSgprs: 52
; NumVgprs: 57
; NumAgprs: 0
; TotalNumVgprs: 57
; ScratchSize: 0
; MemoryBound: 0
; FloatMode: 240
; IeeeMode: 1
; LDSByteSize: 28680 bytes/workgroup (compile time only)
; SGPRBlocks: 6
; VGPRBlocks: 7
; NumSGPRsForWavesPerEU: 52
; NumVGPRsForWavesPerEU: 57
; AccumOffset: 60
; Occupancy: 4
; WaveLimiterHint : 1
; COMPUTE_PGM_RSRC2:SCRATCH_EN: 0
; COMPUTE_PGM_RSRC2:USER_SGPR: 2
; COMPUTE_PGM_RSRC2:TRAP_HANDLER: 0
; COMPUTE_PGM_RSRC2:TGID_X_EN: 1
; COMPUTE_PGM_RSRC2:TGID_Y_EN: 0
; COMPUTE_PGM_RSRC2:TGID_Z_EN: 0
; COMPUTE_PGM_RSRC2:TIDIG_COMP_CNT: 0
; COMPUTE_PGM_RSRC3_GFX90A:ACCUM_OFFSET: 14
; COMPUTE_PGM_RSRC3_GFX90A:TG_SPLIT: 0
	.section	.text._ZN7rocprim17ROCPRIM_400000_NS6detail17trampoline_kernelINS0_14default_configENS1_25partition_config_selectorILNS1_17partition_subalgoE3EyNS0_10empty_typeEbEEZZNS1_14partition_implILS5_3ELb0ES3_jN6thrust23THRUST_200600_302600_NS6detail15normal_iteratorINSA_7pointerIyNSA_11hip_rocprim3tagENSA_11use_defaultESG_EEEEPS6_SJ_NS0_5tupleIJPySJ_EEENSK_IJSJ_SJ_EEES6_PlJ7is_evenIyEEEE10hipError_tPvRmT3_T4_T5_T6_T7_T9_mT8_P12ihipStream_tbDpT10_ENKUlT_T0_E_clISt17integral_constantIbLb0EES1A_EEDaS15_S16_EUlS15_E_NS1_11comp_targetILNS1_3genE4ELNS1_11target_archE910ELNS1_3gpuE8ELNS1_3repE0EEENS1_30default_config_static_selectorELNS0_4arch9wavefront6targetE1EEEvT1_,"axG",@progbits,_ZN7rocprim17ROCPRIM_400000_NS6detail17trampoline_kernelINS0_14default_configENS1_25partition_config_selectorILNS1_17partition_subalgoE3EyNS0_10empty_typeEbEEZZNS1_14partition_implILS5_3ELb0ES3_jN6thrust23THRUST_200600_302600_NS6detail15normal_iteratorINSA_7pointerIyNSA_11hip_rocprim3tagENSA_11use_defaultESG_EEEEPS6_SJ_NS0_5tupleIJPySJ_EEENSK_IJSJ_SJ_EEES6_PlJ7is_evenIyEEEE10hipError_tPvRmT3_T4_T5_T6_T7_T9_mT8_P12ihipStream_tbDpT10_ENKUlT_T0_E_clISt17integral_constantIbLb0EES1A_EEDaS15_S16_EUlS15_E_NS1_11comp_targetILNS1_3genE4ELNS1_11target_archE910ELNS1_3gpuE8ELNS1_3repE0EEENS1_30default_config_static_selectorELNS0_4arch9wavefront6targetE1EEEvT1_,comdat
	.protected	_ZN7rocprim17ROCPRIM_400000_NS6detail17trampoline_kernelINS0_14default_configENS1_25partition_config_selectorILNS1_17partition_subalgoE3EyNS0_10empty_typeEbEEZZNS1_14partition_implILS5_3ELb0ES3_jN6thrust23THRUST_200600_302600_NS6detail15normal_iteratorINSA_7pointerIyNSA_11hip_rocprim3tagENSA_11use_defaultESG_EEEEPS6_SJ_NS0_5tupleIJPySJ_EEENSK_IJSJ_SJ_EEES6_PlJ7is_evenIyEEEE10hipError_tPvRmT3_T4_T5_T6_T7_T9_mT8_P12ihipStream_tbDpT10_ENKUlT_T0_E_clISt17integral_constantIbLb0EES1A_EEDaS15_S16_EUlS15_E_NS1_11comp_targetILNS1_3genE4ELNS1_11target_archE910ELNS1_3gpuE8ELNS1_3repE0EEENS1_30default_config_static_selectorELNS0_4arch9wavefront6targetE1EEEvT1_ ; -- Begin function _ZN7rocprim17ROCPRIM_400000_NS6detail17trampoline_kernelINS0_14default_configENS1_25partition_config_selectorILNS1_17partition_subalgoE3EyNS0_10empty_typeEbEEZZNS1_14partition_implILS5_3ELb0ES3_jN6thrust23THRUST_200600_302600_NS6detail15normal_iteratorINSA_7pointerIyNSA_11hip_rocprim3tagENSA_11use_defaultESG_EEEEPS6_SJ_NS0_5tupleIJPySJ_EEENSK_IJSJ_SJ_EEES6_PlJ7is_evenIyEEEE10hipError_tPvRmT3_T4_T5_T6_T7_T9_mT8_P12ihipStream_tbDpT10_ENKUlT_T0_E_clISt17integral_constantIbLb0EES1A_EEDaS15_S16_EUlS15_E_NS1_11comp_targetILNS1_3genE4ELNS1_11target_archE910ELNS1_3gpuE8ELNS1_3repE0EEENS1_30default_config_static_selectorELNS0_4arch9wavefront6targetE1EEEvT1_
	.globl	_ZN7rocprim17ROCPRIM_400000_NS6detail17trampoline_kernelINS0_14default_configENS1_25partition_config_selectorILNS1_17partition_subalgoE3EyNS0_10empty_typeEbEEZZNS1_14partition_implILS5_3ELb0ES3_jN6thrust23THRUST_200600_302600_NS6detail15normal_iteratorINSA_7pointerIyNSA_11hip_rocprim3tagENSA_11use_defaultESG_EEEEPS6_SJ_NS0_5tupleIJPySJ_EEENSK_IJSJ_SJ_EEES6_PlJ7is_evenIyEEEE10hipError_tPvRmT3_T4_T5_T6_T7_T9_mT8_P12ihipStream_tbDpT10_ENKUlT_T0_E_clISt17integral_constantIbLb0EES1A_EEDaS15_S16_EUlS15_E_NS1_11comp_targetILNS1_3genE4ELNS1_11target_archE910ELNS1_3gpuE8ELNS1_3repE0EEENS1_30default_config_static_selectorELNS0_4arch9wavefront6targetE1EEEvT1_
	.p2align	8
	.type	_ZN7rocprim17ROCPRIM_400000_NS6detail17trampoline_kernelINS0_14default_configENS1_25partition_config_selectorILNS1_17partition_subalgoE3EyNS0_10empty_typeEbEEZZNS1_14partition_implILS5_3ELb0ES3_jN6thrust23THRUST_200600_302600_NS6detail15normal_iteratorINSA_7pointerIyNSA_11hip_rocprim3tagENSA_11use_defaultESG_EEEEPS6_SJ_NS0_5tupleIJPySJ_EEENSK_IJSJ_SJ_EEES6_PlJ7is_evenIyEEEE10hipError_tPvRmT3_T4_T5_T6_T7_T9_mT8_P12ihipStream_tbDpT10_ENKUlT_T0_E_clISt17integral_constantIbLb0EES1A_EEDaS15_S16_EUlS15_E_NS1_11comp_targetILNS1_3genE4ELNS1_11target_archE910ELNS1_3gpuE8ELNS1_3repE0EEENS1_30default_config_static_selectorELNS0_4arch9wavefront6targetE1EEEvT1_,@function
_ZN7rocprim17ROCPRIM_400000_NS6detail17trampoline_kernelINS0_14default_configENS1_25partition_config_selectorILNS1_17partition_subalgoE3EyNS0_10empty_typeEbEEZZNS1_14partition_implILS5_3ELb0ES3_jN6thrust23THRUST_200600_302600_NS6detail15normal_iteratorINSA_7pointerIyNSA_11hip_rocprim3tagENSA_11use_defaultESG_EEEEPS6_SJ_NS0_5tupleIJPySJ_EEENSK_IJSJ_SJ_EEES6_PlJ7is_evenIyEEEE10hipError_tPvRmT3_T4_T5_T6_T7_T9_mT8_P12ihipStream_tbDpT10_ENKUlT_T0_E_clISt17integral_constantIbLb0EES1A_EEDaS15_S16_EUlS15_E_NS1_11comp_targetILNS1_3genE4ELNS1_11target_archE910ELNS1_3gpuE8ELNS1_3repE0EEENS1_30default_config_static_selectorELNS0_4arch9wavefront6targetE1EEEvT1_: ; @_ZN7rocprim17ROCPRIM_400000_NS6detail17trampoline_kernelINS0_14default_configENS1_25partition_config_selectorILNS1_17partition_subalgoE3EyNS0_10empty_typeEbEEZZNS1_14partition_implILS5_3ELb0ES3_jN6thrust23THRUST_200600_302600_NS6detail15normal_iteratorINSA_7pointerIyNSA_11hip_rocprim3tagENSA_11use_defaultESG_EEEEPS6_SJ_NS0_5tupleIJPySJ_EEENSK_IJSJ_SJ_EEES6_PlJ7is_evenIyEEEE10hipError_tPvRmT3_T4_T5_T6_T7_T9_mT8_P12ihipStream_tbDpT10_ENKUlT_T0_E_clISt17integral_constantIbLb0EES1A_EEDaS15_S16_EUlS15_E_NS1_11comp_targetILNS1_3genE4ELNS1_11target_archE910ELNS1_3gpuE8ELNS1_3repE0EEENS1_30default_config_static_selectorELNS0_4arch9wavefront6targetE1EEEvT1_
; %bb.0:
	.section	.rodata,"a",@progbits
	.p2align	6, 0x0
	.amdhsa_kernel _ZN7rocprim17ROCPRIM_400000_NS6detail17trampoline_kernelINS0_14default_configENS1_25partition_config_selectorILNS1_17partition_subalgoE3EyNS0_10empty_typeEbEEZZNS1_14partition_implILS5_3ELb0ES3_jN6thrust23THRUST_200600_302600_NS6detail15normal_iteratorINSA_7pointerIyNSA_11hip_rocprim3tagENSA_11use_defaultESG_EEEEPS6_SJ_NS0_5tupleIJPySJ_EEENSK_IJSJ_SJ_EEES6_PlJ7is_evenIyEEEE10hipError_tPvRmT3_T4_T5_T6_T7_T9_mT8_P12ihipStream_tbDpT10_ENKUlT_T0_E_clISt17integral_constantIbLb0EES1A_EEDaS15_S16_EUlS15_E_NS1_11comp_targetILNS1_3genE4ELNS1_11target_archE910ELNS1_3gpuE8ELNS1_3repE0EEENS1_30default_config_static_selectorELNS0_4arch9wavefront6targetE1EEEvT1_
		.amdhsa_group_segment_fixed_size 0
		.amdhsa_private_segment_fixed_size 0
		.amdhsa_kernarg_size 120
		.amdhsa_user_sgpr_count 2
		.amdhsa_user_sgpr_dispatch_ptr 0
		.amdhsa_user_sgpr_queue_ptr 0
		.amdhsa_user_sgpr_kernarg_segment_ptr 1
		.amdhsa_user_sgpr_dispatch_id 0
		.amdhsa_user_sgpr_kernarg_preload_length 0
		.amdhsa_user_sgpr_kernarg_preload_offset 0
		.amdhsa_user_sgpr_private_segment_size 0
		.amdhsa_uses_dynamic_stack 0
		.amdhsa_enable_private_segment 0
		.amdhsa_system_sgpr_workgroup_id_x 1
		.amdhsa_system_sgpr_workgroup_id_y 0
		.amdhsa_system_sgpr_workgroup_id_z 0
		.amdhsa_system_sgpr_workgroup_info 0
		.amdhsa_system_vgpr_workitem_id 0
		.amdhsa_next_free_vgpr 1
		.amdhsa_next_free_sgpr 0
		.amdhsa_accum_offset 4
		.amdhsa_reserve_vcc 0
		.amdhsa_float_round_mode_32 0
		.amdhsa_float_round_mode_16_64 0
		.amdhsa_float_denorm_mode_32 3
		.amdhsa_float_denorm_mode_16_64 3
		.amdhsa_dx10_clamp 1
		.amdhsa_ieee_mode 1
		.amdhsa_fp16_overflow 0
		.amdhsa_tg_split 0
		.amdhsa_exception_fp_ieee_invalid_op 0
		.amdhsa_exception_fp_denorm_src 0
		.amdhsa_exception_fp_ieee_div_zero 0
		.amdhsa_exception_fp_ieee_overflow 0
		.amdhsa_exception_fp_ieee_underflow 0
		.amdhsa_exception_fp_ieee_inexact 0
		.amdhsa_exception_int_div_zero 0
	.end_amdhsa_kernel
	.section	.text._ZN7rocprim17ROCPRIM_400000_NS6detail17trampoline_kernelINS0_14default_configENS1_25partition_config_selectorILNS1_17partition_subalgoE3EyNS0_10empty_typeEbEEZZNS1_14partition_implILS5_3ELb0ES3_jN6thrust23THRUST_200600_302600_NS6detail15normal_iteratorINSA_7pointerIyNSA_11hip_rocprim3tagENSA_11use_defaultESG_EEEEPS6_SJ_NS0_5tupleIJPySJ_EEENSK_IJSJ_SJ_EEES6_PlJ7is_evenIyEEEE10hipError_tPvRmT3_T4_T5_T6_T7_T9_mT8_P12ihipStream_tbDpT10_ENKUlT_T0_E_clISt17integral_constantIbLb0EES1A_EEDaS15_S16_EUlS15_E_NS1_11comp_targetILNS1_3genE4ELNS1_11target_archE910ELNS1_3gpuE8ELNS1_3repE0EEENS1_30default_config_static_selectorELNS0_4arch9wavefront6targetE1EEEvT1_,"axG",@progbits,_ZN7rocprim17ROCPRIM_400000_NS6detail17trampoline_kernelINS0_14default_configENS1_25partition_config_selectorILNS1_17partition_subalgoE3EyNS0_10empty_typeEbEEZZNS1_14partition_implILS5_3ELb0ES3_jN6thrust23THRUST_200600_302600_NS6detail15normal_iteratorINSA_7pointerIyNSA_11hip_rocprim3tagENSA_11use_defaultESG_EEEEPS6_SJ_NS0_5tupleIJPySJ_EEENSK_IJSJ_SJ_EEES6_PlJ7is_evenIyEEEE10hipError_tPvRmT3_T4_T5_T6_T7_T9_mT8_P12ihipStream_tbDpT10_ENKUlT_T0_E_clISt17integral_constantIbLb0EES1A_EEDaS15_S16_EUlS15_E_NS1_11comp_targetILNS1_3genE4ELNS1_11target_archE910ELNS1_3gpuE8ELNS1_3repE0EEENS1_30default_config_static_selectorELNS0_4arch9wavefront6targetE1EEEvT1_,comdat
.Lfunc_end676:
	.size	_ZN7rocprim17ROCPRIM_400000_NS6detail17trampoline_kernelINS0_14default_configENS1_25partition_config_selectorILNS1_17partition_subalgoE3EyNS0_10empty_typeEbEEZZNS1_14partition_implILS5_3ELb0ES3_jN6thrust23THRUST_200600_302600_NS6detail15normal_iteratorINSA_7pointerIyNSA_11hip_rocprim3tagENSA_11use_defaultESG_EEEEPS6_SJ_NS0_5tupleIJPySJ_EEENSK_IJSJ_SJ_EEES6_PlJ7is_evenIyEEEE10hipError_tPvRmT3_T4_T5_T6_T7_T9_mT8_P12ihipStream_tbDpT10_ENKUlT_T0_E_clISt17integral_constantIbLb0EES1A_EEDaS15_S16_EUlS15_E_NS1_11comp_targetILNS1_3genE4ELNS1_11target_archE910ELNS1_3gpuE8ELNS1_3repE0EEENS1_30default_config_static_selectorELNS0_4arch9wavefront6targetE1EEEvT1_, .Lfunc_end676-_ZN7rocprim17ROCPRIM_400000_NS6detail17trampoline_kernelINS0_14default_configENS1_25partition_config_selectorILNS1_17partition_subalgoE3EyNS0_10empty_typeEbEEZZNS1_14partition_implILS5_3ELb0ES3_jN6thrust23THRUST_200600_302600_NS6detail15normal_iteratorINSA_7pointerIyNSA_11hip_rocprim3tagENSA_11use_defaultESG_EEEEPS6_SJ_NS0_5tupleIJPySJ_EEENSK_IJSJ_SJ_EEES6_PlJ7is_evenIyEEEE10hipError_tPvRmT3_T4_T5_T6_T7_T9_mT8_P12ihipStream_tbDpT10_ENKUlT_T0_E_clISt17integral_constantIbLb0EES1A_EEDaS15_S16_EUlS15_E_NS1_11comp_targetILNS1_3genE4ELNS1_11target_archE910ELNS1_3gpuE8ELNS1_3repE0EEENS1_30default_config_static_selectorELNS0_4arch9wavefront6targetE1EEEvT1_
                                        ; -- End function
	.section	.AMDGPU.csdata,"",@progbits
; Kernel info:
; codeLenInByte = 0
; NumSgprs: 6
; NumVgprs: 0
; NumAgprs: 0
; TotalNumVgprs: 0
; ScratchSize: 0
; MemoryBound: 0
; FloatMode: 240
; IeeeMode: 1
; LDSByteSize: 0 bytes/workgroup (compile time only)
; SGPRBlocks: 0
; VGPRBlocks: 0
; NumSGPRsForWavesPerEU: 6
; NumVGPRsForWavesPerEU: 1
; AccumOffset: 4
; Occupancy: 8
; WaveLimiterHint : 0
; COMPUTE_PGM_RSRC2:SCRATCH_EN: 0
; COMPUTE_PGM_RSRC2:USER_SGPR: 2
; COMPUTE_PGM_RSRC2:TRAP_HANDLER: 0
; COMPUTE_PGM_RSRC2:TGID_X_EN: 1
; COMPUTE_PGM_RSRC2:TGID_Y_EN: 0
; COMPUTE_PGM_RSRC2:TGID_Z_EN: 0
; COMPUTE_PGM_RSRC2:TIDIG_COMP_CNT: 0
; COMPUTE_PGM_RSRC3_GFX90A:ACCUM_OFFSET: 0
; COMPUTE_PGM_RSRC3_GFX90A:TG_SPLIT: 0
	.section	.text._ZN7rocprim17ROCPRIM_400000_NS6detail17trampoline_kernelINS0_14default_configENS1_25partition_config_selectorILNS1_17partition_subalgoE3EyNS0_10empty_typeEbEEZZNS1_14partition_implILS5_3ELb0ES3_jN6thrust23THRUST_200600_302600_NS6detail15normal_iteratorINSA_7pointerIyNSA_11hip_rocprim3tagENSA_11use_defaultESG_EEEEPS6_SJ_NS0_5tupleIJPySJ_EEENSK_IJSJ_SJ_EEES6_PlJ7is_evenIyEEEE10hipError_tPvRmT3_T4_T5_T6_T7_T9_mT8_P12ihipStream_tbDpT10_ENKUlT_T0_E_clISt17integral_constantIbLb0EES1A_EEDaS15_S16_EUlS15_E_NS1_11comp_targetILNS1_3genE3ELNS1_11target_archE908ELNS1_3gpuE7ELNS1_3repE0EEENS1_30default_config_static_selectorELNS0_4arch9wavefront6targetE1EEEvT1_,"axG",@progbits,_ZN7rocprim17ROCPRIM_400000_NS6detail17trampoline_kernelINS0_14default_configENS1_25partition_config_selectorILNS1_17partition_subalgoE3EyNS0_10empty_typeEbEEZZNS1_14partition_implILS5_3ELb0ES3_jN6thrust23THRUST_200600_302600_NS6detail15normal_iteratorINSA_7pointerIyNSA_11hip_rocprim3tagENSA_11use_defaultESG_EEEEPS6_SJ_NS0_5tupleIJPySJ_EEENSK_IJSJ_SJ_EEES6_PlJ7is_evenIyEEEE10hipError_tPvRmT3_T4_T5_T6_T7_T9_mT8_P12ihipStream_tbDpT10_ENKUlT_T0_E_clISt17integral_constantIbLb0EES1A_EEDaS15_S16_EUlS15_E_NS1_11comp_targetILNS1_3genE3ELNS1_11target_archE908ELNS1_3gpuE7ELNS1_3repE0EEENS1_30default_config_static_selectorELNS0_4arch9wavefront6targetE1EEEvT1_,comdat
	.protected	_ZN7rocprim17ROCPRIM_400000_NS6detail17trampoline_kernelINS0_14default_configENS1_25partition_config_selectorILNS1_17partition_subalgoE3EyNS0_10empty_typeEbEEZZNS1_14partition_implILS5_3ELb0ES3_jN6thrust23THRUST_200600_302600_NS6detail15normal_iteratorINSA_7pointerIyNSA_11hip_rocprim3tagENSA_11use_defaultESG_EEEEPS6_SJ_NS0_5tupleIJPySJ_EEENSK_IJSJ_SJ_EEES6_PlJ7is_evenIyEEEE10hipError_tPvRmT3_T4_T5_T6_T7_T9_mT8_P12ihipStream_tbDpT10_ENKUlT_T0_E_clISt17integral_constantIbLb0EES1A_EEDaS15_S16_EUlS15_E_NS1_11comp_targetILNS1_3genE3ELNS1_11target_archE908ELNS1_3gpuE7ELNS1_3repE0EEENS1_30default_config_static_selectorELNS0_4arch9wavefront6targetE1EEEvT1_ ; -- Begin function _ZN7rocprim17ROCPRIM_400000_NS6detail17trampoline_kernelINS0_14default_configENS1_25partition_config_selectorILNS1_17partition_subalgoE3EyNS0_10empty_typeEbEEZZNS1_14partition_implILS5_3ELb0ES3_jN6thrust23THRUST_200600_302600_NS6detail15normal_iteratorINSA_7pointerIyNSA_11hip_rocprim3tagENSA_11use_defaultESG_EEEEPS6_SJ_NS0_5tupleIJPySJ_EEENSK_IJSJ_SJ_EEES6_PlJ7is_evenIyEEEE10hipError_tPvRmT3_T4_T5_T6_T7_T9_mT8_P12ihipStream_tbDpT10_ENKUlT_T0_E_clISt17integral_constantIbLb0EES1A_EEDaS15_S16_EUlS15_E_NS1_11comp_targetILNS1_3genE3ELNS1_11target_archE908ELNS1_3gpuE7ELNS1_3repE0EEENS1_30default_config_static_selectorELNS0_4arch9wavefront6targetE1EEEvT1_
	.globl	_ZN7rocprim17ROCPRIM_400000_NS6detail17trampoline_kernelINS0_14default_configENS1_25partition_config_selectorILNS1_17partition_subalgoE3EyNS0_10empty_typeEbEEZZNS1_14partition_implILS5_3ELb0ES3_jN6thrust23THRUST_200600_302600_NS6detail15normal_iteratorINSA_7pointerIyNSA_11hip_rocprim3tagENSA_11use_defaultESG_EEEEPS6_SJ_NS0_5tupleIJPySJ_EEENSK_IJSJ_SJ_EEES6_PlJ7is_evenIyEEEE10hipError_tPvRmT3_T4_T5_T6_T7_T9_mT8_P12ihipStream_tbDpT10_ENKUlT_T0_E_clISt17integral_constantIbLb0EES1A_EEDaS15_S16_EUlS15_E_NS1_11comp_targetILNS1_3genE3ELNS1_11target_archE908ELNS1_3gpuE7ELNS1_3repE0EEENS1_30default_config_static_selectorELNS0_4arch9wavefront6targetE1EEEvT1_
	.p2align	8
	.type	_ZN7rocprim17ROCPRIM_400000_NS6detail17trampoline_kernelINS0_14default_configENS1_25partition_config_selectorILNS1_17partition_subalgoE3EyNS0_10empty_typeEbEEZZNS1_14partition_implILS5_3ELb0ES3_jN6thrust23THRUST_200600_302600_NS6detail15normal_iteratorINSA_7pointerIyNSA_11hip_rocprim3tagENSA_11use_defaultESG_EEEEPS6_SJ_NS0_5tupleIJPySJ_EEENSK_IJSJ_SJ_EEES6_PlJ7is_evenIyEEEE10hipError_tPvRmT3_T4_T5_T6_T7_T9_mT8_P12ihipStream_tbDpT10_ENKUlT_T0_E_clISt17integral_constantIbLb0EES1A_EEDaS15_S16_EUlS15_E_NS1_11comp_targetILNS1_3genE3ELNS1_11target_archE908ELNS1_3gpuE7ELNS1_3repE0EEENS1_30default_config_static_selectorELNS0_4arch9wavefront6targetE1EEEvT1_,@function
_ZN7rocprim17ROCPRIM_400000_NS6detail17trampoline_kernelINS0_14default_configENS1_25partition_config_selectorILNS1_17partition_subalgoE3EyNS0_10empty_typeEbEEZZNS1_14partition_implILS5_3ELb0ES3_jN6thrust23THRUST_200600_302600_NS6detail15normal_iteratorINSA_7pointerIyNSA_11hip_rocprim3tagENSA_11use_defaultESG_EEEEPS6_SJ_NS0_5tupleIJPySJ_EEENSK_IJSJ_SJ_EEES6_PlJ7is_evenIyEEEE10hipError_tPvRmT3_T4_T5_T6_T7_T9_mT8_P12ihipStream_tbDpT10_ENKUlT_T0_E_clISt17integral_constantIbLb0EES1A_EEDaS15_S16_EUlS15_E_NS1_11comp_targetILNS1_3genE3ELNS1_11target_archE908ELNS1_3gpuE7ELNS1_3repE0EEENS1_30default_config_static_selectorELNS0_4arch9wavefront6targetE1EEEvT1_: ; @_ZN7rocprim17ROCPRIM_400000_NS6detail17trampoline_kernelINS0_14default_configENS1_25partition_config_selectorILNS1_17partition_subalgoE3EyNS0_10empty_typeEbEEZZNS1_14partition_implILS5_3ELb0ES3_jN6thrust23THRUST_200600_302600_NS6detail15normal_iteratorINSA_7pointerIyNSA_11hip_rocprim3tagENSA_11use_defaultESG_EEEEPS6_SJ_NS0_5tupleIJPySJ_EEENSK_IJSJ_SJ_EEES6_PlJ7is_evenIyEEEE10hipError_tPvRmT3_T4_T5_T6_T7_T9_mT8_P12ihipStream_tbDpT10_ENKUlT_T0_E_clISt17integral_constantIbLb0EES1A_EEDaS15_S16_EUlS15_E_NS1_11comp_targetILNS1_3genE3ELNS1_11target_archE908ELNS1_3gpuE7ELNS1_3repE0EEENS1_30default_config_static_selectorELNS0_4arch9wavefront6targetE1EEEvT1_
; %bb.0:
	.section	.rodata,"a",@progbits
	.p2align	6, 0x0
	.amdhsa_kernel _ZN7rocprim17ROCPRIM_400000_NS6detail17trampoline_kernelINS0_14default_configENS1_25partition_config_selectorILNS1_17partition_subalgoE3EyNS0_10empty_typeEbEEZZNS1_14partition_implILS5_3ELb0ES3_jN6thrust23THRUST_200600_302600_NS6detail15normal_iteratorINSA_7pointerIyNSA_11hip_rocprim3tagENSA_11use_defaultESG_EEEEPS6_SJ_NS0_5tupleIJPySJ_EEENSK_IJSJ_SJ_EEES6_PlJ7is_evenIyEEEE10hipError_tPvRmT3_T4_T5_T6_T7_T9_mT8_P12ihipStream_tbDpT10_ENKUlT_T0_E_clISt17integral_constantIbLb0EES1A_EEDaS15_S16_EUlS15_E_NS1_11comp_targetILNS1_3genE3ELNS1_11target_archE908ELNS1_3gpuE7ELNS1_3repE0EEENS1_30default_config_static_selectorELNS0_4arch9wavefront6targetE1EEEvT1_
		.amdhsa_group_segment_fixed_size 0
		.amdhsa_private_segment_fixed_size 0
		.amdhsa_kernarg_size 120
		.amdhsa_user_sgpr_count 2
		.amdhsa_user_sgpr_dispatch_ptr 0
		.amdhsa_user_sgpr_queue_ptr 0
		.amdhsa_user_sgpr_kernarg_segment_ptr 1
		.amdhsa_user_sgpr_dispatch_id 0
		.amdhsa_user_sgpr_kernarg_preload_length 0
		.amdhsa_user_sgpr_kernarg_preload_offset 0
		.amdhsa_user_sgpr_private_segment_size 0
		.amdhsa_uses_dynamic_stack 0
		.amdhsa_enable_private_segment 0
		.amdhsa_system_sgpr_workgroup_id_x 1
		.amdhsa_system_sgpr_workgroup_id_y 0
		.amdhsa_system_sgpr_workgroup_id_z 0
		.amdhsa_system_sgpr_workgroup_info 0
		.amdhsa_system_vgpr_workitem_id 0
		.amdhsa_next_free_vgpr 1
		.amdhsa_next_free_sgpr 0
		.amdhsa_accum_offset 4
		.amdhsa_reserve_vcc 0
		.amdhsa_float_round_mode_32 0
		.amdhsa_float_round_mode_16_64 0
		.amdhsa_float_denorm_mode_32 3
		.amdhsa_float_denorm_mode_16_64 3
		.amdhsa_dx10_clamp 1
		.amdhsa_ieee_mode 1
		.amdhsa_fp16_overflow 0
		.amdhsa_tg_split 0
		.amdhsa_exception_fp_ieee_invalid_op 0
		.amdhsa_exception_fp_denorm_src 0
		.amdhsa_exception_fp_ieee_div_zero 0
		.amdhsa_exception_fp_ieee_overflow 0
		.amdhsa_exception_fp_ieee_underflow 0
		.amdhsa_exception_fp_ieee_inexact 0
		.amdhsa_exception_int_div_zero 0
	.end_amdhsa_kernel
	.section	.text._ZN7rocprim17ROCPRIM_400000_NS6detail17trampoline_kernelINS0_14default_configENS1_25partition_config_selectorILNS1_17partition_subalgoE3EyNS0_10empty_typeEbEEZZNS1_14partition_implILS5_3ELb0ES3_jN6thrust23THRUST_200600_302600_NS6detail15normal_iteratorINSA_7pointerIyNSA_11hip_rocprim3tagENSA_11use_defaultESG_EEEEPS6_SJ_NS0_5tupleIJPySJ_EEENSK_IJSJ_SJ_EEES6_PlJ7is_evenIyEEEE10hipError_tPvRmT3_T4_T5_T6_T7_T9_mT8_P12ihipStream_tbDpT10_ENKUlT_T0_E_clISt17integral_constantIbLb0EES1A_EEDaS15_S16_EUlS15_E_NS1_11comp_targetILNS1_3genE3ELNS1_11target_archE908ELNS1_3gpuE7ELNS1_3repE0EEENS1_30default_config_static_selectorELNS0_4arch9wavefront6targetE1EEEvT1_,"axG",@progbits,_ZN7rocprim17ROCPRIM_400000_NS6detail17trampoline_kernelINS0_14default_configENS1_25partition_config_selectorILNS1_17partition_subalgoE3EyNS0_10empty_typeEbEEZZNS1_14partition_implILS5_3ELb0ES3_jN6thrust23THRUST_200600_302600_NS6detail15normal_iteratorINSA_7pointerIyNSA_11hip_rocprim3tagENSA_11use_defaultESG_EEEEPS6_SJ_NS0_5tupleIJPySJ_EEENSK_IJSJ_SJ_EEES6_PlJ7is_evenIyEEEE10hipError_tPvRmT3_T4_T5_T6_T7_T9_mT8_P12ihipStream_tbDpT10_ENKUlT_T0_E_clISt17integral_constantIbLb0EES1A_EEDaS15_S16_EUlS15_E_NS1_11comp_targetILNS1_3genE3ELNS1_11target_archE908ELNS1_3gpuE7ELNS1_3repE0EEENS1_30default_config_static_selectorELNS0_4arch9wavefront6targetE1EEEvT1_,comdat
.Lfunc_end677:
	.size	_ZN7rocprim17ROCPRIM_400000_NS6detail17trampoline_kernelINS0_14default_configENS1_25partition_config_selectorILNS1_17partition_subalgoE3EyNS0_10empty_typeEbEEZZNS1_14partition_implILS5_3ELb0ES3_jN6thrust23THRUST_200600_302600_NS6detail15normal_iteratorINSA_7pointerIyNSA_11hip_rocprim3tagENSA_11use_defaultESG_EEEEPS6_SJ_NS0_5tupleIJPySJ_EEENSK_IJSJ_SJ_EEES6_PlJ7is_evenIyEEEE10hipError_tPvRmT3_T4_T5_T6_T7_T9_mT8_P12ihipStream_tbDpT10_ENKUlT_T0_E_clISt17integral_constantIbLb0EES1A_EEDaS15_S16_EUlS15_E_NS1_11comp_targetILNS1_3genE3ELNS1_11target_archE908ELNS1_3gpuE7ELNS1_3repE0EEENS1_30default_config_static_selectorELNS0_4arch9wavefront6targetE1EEEvT1_, .Lfunc_end677-_ZN7rocprim17ROCPRIM_400000_NS6detail17trampoline_kernelINS0_14default_configENS1_25partition_config_selectorILNS1_17partition_subalgoE3EyNS0_10empty_typeEbEEZZNS1_14partition_implILS5_3ELb0ES3_jN6thrust23THRUST_200600_302600_NS6detail15normal_iteratorINSA_7pointerIyNSA_11hip_rocprim3tagENSA_11use_defaultESG_EEEEPS6_SJ_NS0_5tupleIJPySJ_EEENSK_IJSJ_SJ_EEES6_PlJ7is_evenIyEEEE10hipError_tPvRmT3_T4_T5_T6_T7_T9_mT8_P12ihipStream_tbDpT10_ENKUlT_T0_E_clISt17integral_constantIbLb0EES1A_EEDaS15_S16_EUlS15_E_NS1_11comp_targetILNS1_3genE3ELNS1_11target_archE908ELNS1_3gpuE7ELNS1_3repE0EEENS1_30default_config_static_selectorELNS0_4arch9wavefront6targetE1EEEvT1_
                                        ; -- End function
	.section	.AMDGPU.csdata,"",@progbits
; Kernel info:
; codeLenInByte = 0
; NumSgprs: 6
; NumVgprs: 0
; NumAgprs: 0
; TotalNumVgprs: 0
; ScratchSize: 0
; MemoryBound: 0
; FloatMode: 240
; IeeeMode: 1
; LDSByteSize: 0 bytes/workgroup (compile time only)
; SGPRBlocks: 0
; VGPRBlocks: 0
; NumSGPRsForWavesPerEU: 6
; NumVGPRsForWavesPerEU: 1
; AccumOffset: 4
; Occupancy: 8
; WaveLimiterHint : 0
; COMPUTE_PGM_RSRC2:SCRATCH_EN: 0
; COMPUTE_PGM_RSRC2:USER_SGPR: 2
; COMPUTE_PGM_RSRC2:TRAP_HANDLER: 0
; COMPUTE_PGM_RSRC2:TGID_X_EN: 1
; COMPUTE_PGM_RSRC2:TGID_Y_EN: 0
; COMPUTE_PGM_RSRC2:TGID_Z_EN: 0
; COMPUTE_PGM_RSRC2:TIDIG_COMP_CNT: 0
; COMPUTE_PGM_RSRC3_GFX90A:ACCUM_OFFSET: 0
; COMPUTE_PGM_RSRC3_GFX90A:TG_SPLIT: 0
	.section	.text._ZN7rocprim17ROCPRIM_400000_NS6detail17trampoline_kernelINS0_14default_configENS1_25partition_config_selectorILNS1_17partition_subalgoE3EyNS0_10empty_typeEbEEZZNS1_14partition_implILS5_3ELb0ES3_jN6thrust23THRUST_200600_302600_NS6detail15normal_iteratorINSA_7pointerIyNSA_11hip_rocprim3tagENSA_11use_defaultESG_EEEEPS6_SJ_NS0_5tupleIJPySJ_EEENSK_IJSJ_SJ_EEES6_PlJ7is_evenIyEEEE10hipError_tPvRmT3_T4_T5_T6_T7_T9_mT8_P12ihipStream_tbDpT10_ENKUlT_T0_E_clISt17integral_constantIbLb0EES1A_EEDaS15_S16_EUlS15_E_NS1_11comp_targetILNS1_3genE2ELNS1_11target_archE906ELNS1_3gpuE6ELNS1_3repE0EEENS1_30default_config_static_selectorELNS0_4arch9wavefront6targetE1EEEvT1_,"axG",@progbits,_ZN7rocprim17ROCPRIM_400000_NS6detail17trampoline_kernelINS0_14default_configENS1_25partition_config_selectorILNS1_17partition_subalgoE3EyNS0_10empty_typeEbEEZZNS1_14partition_implILS5_3ELb0ES3_jN6thrust23THRUST_200600_302600_NS6detail15normal_iteratorINSA_7pointerIyNSA_11hip_rocprim3tagENSA_11use_defaultESG_EEEEPS6_SJ_NS0_5tupleIJPySJ_EEENSK_IJSJ_SJ_EEES6_PlJ7is_evenIyEEEE10hipError_tPvRmT3_T4_T5_T6_T7_T9_mT8_P12ihipStream_tbDpT10_ENKUlT_T0_E_clISt17integral_constantIbLb0EES1A_EEDaS15_S16_EUlS15_E_NS1_11comp_targetILNS1_3genE2ELNS1_11target_archE906ELNS1_3gpuE6ELNS1_3repE0EEENS1_30default_config_static_selectorELNS0_4arch9wavefront6targetE1EEEvT1_,comdat
	.protected	_ZN7rocprim17ROCPRIM_400000_NS6detail17trampoline_kernelINS0_14default_configENS1_25partition_config_selectorILNS1_17partition_subalgoE3EyNS0_10empty_typeEbEEZZNS1_14partition_implILS5_3ELb0ES3_jN6thrust23THRUST_200600_302600_NS6detail15normal_iteratorINSA_7pointerIyNSA_11hip_rocprim3tagENSA_11use_defaultESG_EEEEPS6_SJ_NS0_5tupleIJPySJ_EEENSK_IJSJ_SJ_EEES6_PlJ7is_evenIyEEEE10hipError_tPvRmT3_T4_T5_T6_T7_T9_mT8_P12ihipStream_tbDpT10_ENKUlT_T0_E_clISt17integral_constantIbLb0EES1A_EEDaS15_S16_EUlS15_E_NS1_11comp_targetILNS1_3genE2ELNS1_11target_archE906ELNS1_3gpuE6ELNS1_3repE0EEENS1_30default_config_static_selectorELNS0_4arch9wavefront6targetE1EEEvT1_ ; -- Begin function _ZN7rocprim17ROCPRIM_400000_NS6detail17trampoline_kernelINS0_14default_configENS1_25partition_config_selectorILNS1_17partition_subalgoE3EyNS0_10empty_typeEbEEZZNS1_14partition_implILS5_3ELb0ES3_jN6thrust23THRUST_200600_302600_NS6detail15normal_iteratorINSA_7pointerIyNSA_11hip_rocprim3tagENSA_11use_defaultESG_EEEEPS6_SJ_NS0_5tupleIJPySJ_EEENSK_IJSJ_SJ_EEES6_PlJ7is_evenIyEEEE10hipError_tPvRmT3_T4_T5_T6_T7_T9_mT8_P12ihipStream_tbDpT10_ENKUlT_T0_E_clISt17integral_constantIbLb0EES1A_EEDaS15_S16_EUlS15_E_NS1_11comp_targetILNS1_3genE2ELNS1_11target_archE906ELNS1_3gpuE6ELNS1_3repE0EEENS1_30default_config_static_selectorELNS0_4arch9wavefront6targetE1EEEvT1_
	.globl	_ZN7rocprim17ROCPRIM_400000_NS6detail17trampoline_kernelINS0_14default_configENS1_25partition_config_selectorILNS1_17partition_subalgoE3EyNS0_10empty_typeEbEEZZNS1_14partition_implILS5_3ELb0ES3_jN6thrust23THRUST_200600_302600_NS6detail15normal_iteratorINSA_7pointerIyNSA_11hip_rocprim3tagENSA_11use_defaultESG_EEEEPS6_SJ_NS0_5tupleIJPySJ_EEENSK_IJSJ_SJ_EEES6_PlJ7is_evenIyEEEE10hipError_tPvRmT3_T4_T5_T6_T7_T9_mT8_P12ihipStream_tbDpT10_ENKUlT_T0_E_clISt17integral_constantIbLb0EES1A_EEDaS15_S16_EUlS15_E_NS1_11comp_targetILNS1_3genE2ELNS1_11target_archE906ELNS1_3gpuE6ELNS1_3repE0EEENS1_30default_config_static_selectorELNS0_4arch9wavefront6targetE1EEEvT1_
	.p2align	8
	.type	_ZN7rocprim17ROCPRIM_400000_NS6detail17trampoline_kernelINS0_14default_configENS1_25partition_config_selectorILNS1_17partition_subalgoE3EyNS0_10empty_typeEbEEZZNS1_14partition_implILS5_3ELb0ES3_jN6thrust23THRUST_200600_302600_NS6detail15normal_iteratorINSA_7pointerIyNSA_11hip_rocprim3tagENSA_11use_defaultESG_EEEEPS6_SJ_NS0_5tupleIJPySJ_EEENSK_IJSJ_SJ_EEES6_PlJ7is_evenIyEEEE10hipError_tPvRmT3_T4_T5_T6_T7_T9_mT8_P12ihipStream_tbDpT10_ENKUlT_T0_E_clISt17integral_constantIbLb0EES1A_EEDaS15_S16_EUlS15_E_NS1_11comp_targetILNS1_3genE2ELNS1_11target_archE906ELNS1_3gpuE6ELNS1_3repE0EEENS1_30default_config_static_selectorELNS0_4arch9wavefront6targetE1EEEvT1_,@function
_ZN7rocprim17ROCPRIM_400000_NS6detail17trampoline_kernelINS0_14default_configENS1_25partition_config_selectorILNS1_17partition_subalgoE3EyNS0_10empty_typeEbEEZZNS1_14partition_implILS5_3ELb0ES3_jN6thrust23THRUST_200600_302600_NS6detail15normal_iteratorINSA_7pointerIyNSA_11hip_rocprim3tagENSA_11use_defaultESG_EEEEPS6_SJ_NS0_5tupleIJPySJ_EEENSK_IJSJ_SJ_EEES6_PlJ7is_evenIyEEEE10hipError_tPvRmT3_T4_T5_T6_T7_T9_mT8_P12ihipStream_tbDpT10_ENKUlT_T0_E_clISt17integral_constantIbLb0EES1A_EEDaS15_S16_EUlS15_E_NS1_11comp_targetILNS1_3genE2ELNS1_11target_archE906ELNS1_3gpuE6ELNS1_3repE0EEENS1_30default_config_static_selectorELNS0_4arch9wavefront6targetE1EEEvT1_: ; @_ZN7rocprim17ROCPRIM_400000_NS6detail17trampoline_kernelINS0_14default_configENS1_25partition_config_selectorILNS1_17partition_subalgoE3EyNS0_10empty_typeEbEEZZNS1_14partition_implILS5_3ELb0ES3_jN6thrust23THRUST_200600_302600_NS6detail15normal_iteratorINSA_7pointerIyNSA_11hip_rocprim3tagENSA_11use_defaultESG_EEEEPS6_SJ_NS0_5tupleIJPySJ_EEENSK_IJSJ_SJ_EEES6_PlJ7is_evenIyEEEE10hipError_tPvRmT3_T4_T5_T6_T7_T9_mT8_P12ihipStream_tbDpT10_ENKUlT_T0_E_clISt17integral_constantIbLb0EES1A_EEDaS15_S16_EUlS15_E_NS1_11comp_targetILNS1_3genE2ELNS1_11target_archE906ELNS1_3gpuE6ELNS1_3repE0EEENS1_30default_config_static_selectorELNS0_4arch9wavefront6targetE1EEEvT1_
; %bb.0:
	.section	.rodata,"a",@progbits
	.p2align	6, 0x0
	.amdhsa_kernel _ZN7rocprim17ROCPRIM_400000_NS6detail17trampoline_kernelINS0_14default_configENS1_25partition_config_selectorILNS1_17partition_subalgoE3EyNS0_10empty_typeEbEEZZNS1_14partition_implILS5_3ELb0ES3_jN6thrust23THRUST_200600_302600_NS6detail15normal_iteratorINSA_7pointerIyNSA_11hip_rocprim3tagENSA_11use_defaultESG_EEEEPS6_SJ_NS0_5tupleIJPySJ_EEENSK_IJSJ_SJ_EEES6_PlJ7is_evenIyEEEE10hipError_tPvRmT3_T4_T5_T6_T7_T9_mT8_P12ihipStream_tbDpT10_ENKUlT_T0_E_clISt17integral_constantIbLb0EES1A_EEDaS15_S16_EUlS15_E_NS1_11comp_targetILNS1_3genE2ELNS1_11target_archE906ELNS1_3gpuE6ELNS1_3repE0EEENS1_30default_config_static_selectorELNS0_4arch9wavefront6targetE1EEEvT1_
		.amdhsa_group_segment_fixed_size 0
		.amdhsa_private_segment_fixed_size 0
		.amdhsa_kernarg_size 120
		.amdhsa_user_sgpr_count 2
		.amdhsa_user_sgpr_dispatch_ptr 0
		.amdhsa_user_sgpr_queue_ptr 0
		.amdhsa_user_sgpr_kernarg_segment_ptr 1
		.amdhsa_user_sgpr_dispatch_id 0
		.amdhsa_user_sgpr_kernarg_preload_length 0
		.amdhsa_user_sgpr_kernarg_preload_offset 0
		.amdhsa_user_sgpr_private_segment_size 0
		.amdhsa_uses_dynamic_stack 0
		.amdhsa_enable_private_segment 0
		.amdhsa_system_sgpr_workgroup_id_x 1
		.amdhsa_system_sgpr_workgroup_id_y 0
		.amdhsa_system_sgpr_workgroup_id_z 0
		.amdhsa_system_sgpr_workgroup_info 0
		.amdhsa_system_vgpr_workitem_id 0
		.amdhsa_next_free_vgpr 1
		.amdhsa_next_free_sgpr 0
		.amdhsa_accum_offset 4
		.amdhsa_reserve_vcc 0
		.amdhsa_float_round_mode_32 0
		.amdhsa_float_round_mode_16_64 0
		.amdhsa_float_denorm_mode_32 3
		.amdhsa_float_denorm_mode_16_64 3
		.amdhsa_dx10_clamp 1
		.amdhsa_ieee_mode 1
		.amdhsa_fp16_overflow 0
		.amdhsa_tg_split 0
		.amdhsa_exception_fp_ieee_invalid_op 0
		.amdhsa_exception_fp_denorm_src 0
		.amdhsa_exception_fp_ieee_div_zero 0
		.amdhsa_exception_fp_ieee_overflow 0
		.amdhsa_exception_fp_ieee_underflow 0
		.amdhsa_exception_fp_ieee_inexact 0
		.amdhsa_exception_int_div_zero 0
	.end_amdhsa_kernel
	.section	.text._ZN7rocprim17ROCPRIM_400000_NS6detail17trampoline_kernelINS0_14default_configENS1_25partition_config_selectorILNS1_17partition_subalgoE3EyNS0_10empty_typeEbEEZZNS1_14partition_implILS5_3ELb0ES3_jN6thrust23THRUST_200600_302600_NS6detail15normal_iteratorINSA_7pointerIyNSA_11hip_rocprim3tagENSA_11use_defaultESG_EEEEPS6_SJ_NS0_5tupleIJPySJ_EEENSK_IJSJ_SJ_EEES6_PlJ7is_evenIyEEEE10hipError_tPvRmT3_T4_T5_T6_T7_T9_mT8_P12ihipStream_tbDpT10_ENKUlT_T0_E_clISt17integral_constantIbLb0EES1A_EEDaS15_S16_EUlS15_E_NS1_11comp_targetILNS1_3genE2ELNS1_11target_archE906ELNS1_3gpuE6ELNS1_3repE0EEENS1_30default_config_static_selectorELNS0_4arch9wavefront6targetE1EEEvT1_,"axG",@progbits,_ZN7rocprim17ROCPRIM_400000_NS6detail17trampoline_kernelINS0_14default_configENS1_25partition_config_selectorILNS1_17partition_subalgoE3EyNS0_10empty_typeEbEEZZNS1_14partition_implILS5_3ELb0ES3_jN6thrust23THRUST_200600_302600_NS6detail15normal_iteratorINSA_7pointerIyNSA_11hip_rocprim3tagENSA_11use_defaultESG_EEEEPS6_SJ_NS0_5tupleIJPySJ_EEENSK_IJSJ_SJ_EEES6_PlJ7is_evenIyEEEE10hipError_tPvRmT3_T4_T5_T6_T7_T9_mT8_P12ihipStream_tbDpT10_ENKUlT_T0_E_clISt17integral_constantIbLb0EES1A_EEDaS15_S16_EUlS15_E_NS1_11comp_targetILNS1_3genE2ELNS1_11target_archE906ELNS1_3gpuE6ELNS1_3repE0EEENS1_30default_config_static_selectorELNS0_4arch9wavefront6targetE1EEEvT1_,comdat
.Lfunc_end678:
	.size	_ZN7rocprim17ROCPRIM_400000_NS6detail17trampoline_kernelINS0_14default_configENS1_25partition_config_selectorILNS1_17partition_subalgoE3EyNS0_10empty_typeEbEEZZNS1_14partition_implILS5_3ELb0ES3_jN6thrust23THRUST_200600_302600_NS6detail15normal_iteratorINSA_7pointerIyNSA_11hip_rocprim3tagENSA_11use_defaultESG_EEEEPS6_SJ_NS0_5tupleIJPySJ_EEENSK_IJSJ_SJ_EEES6_PlJ7is_evenIyEEEE10hipError_tPvRmT3_T4_T5_T6_T7_T9_mT8_P12ihipStream_tbDpT10_ENKUlT_T0_E_clISt17integral_constantIbLb0EES1A_EEDaS15_S16_EUlS15_E_NS1_11comp_targetILNS1_3genE2ELNS1_11target_archE906ELNS1_3gpuE6ELNS1_3repE0EEENS1_30default_config_static_selectorELNS0_4arch9wavefront6targetE1EEEvT1_, .Lfunc_end678-_ZN7rocprim17ROCPRIM_400000_NS6detail17trampoline_kernelINS0_14default_configENS1_25partition_config_selectorILNS1_17partition_subalgoE3EyNS0_10empty_typeEbEEZZNS1_14partition_implILS5_3ELb0ES3_jN6thrust23THRUST_200600_302600_NS6detail15normal_iteratorINSA_7pointerIyNSA_11hip_rocprim3tagENSA_11use_defaultESG_EEEEPS6_SJ_NS0_5tupleIJPySJ_EEENSK_IJSJ_SJ_EEES6_PlJ7is_evenIyEEEE10hipError_tPvRmT3_T4_T5_T6_T7_T9_mT8_P12ihipStream_tbDpT10_ENKUlT_T0_E_clISt17integral_constantIbLb0EES1A_EEDaS15_S16_EUlS15_E_NS1_11comp_targetILNS1_3genE2ELNS1_11target_archE906ELNS1_3gpuE6ELNS1_3repE0EEENS1_30default_config_static_selectorELNS0_4arch9wavefront6targetE1EEEvT1_
                                        ; -- End function
	.section	.AMDGPU.csdata,"",@progbits
; Kernel info:
; codeLenInByte = 0
; NumSgprs: 6
; NumVgprs: 0
; NumAgprs: 0
; TotalNumVgprs: 0
; ScratchSize: 0
; MemoryBound: 0
; FloatMode: 240
; IeeeMode: 1
; LDSByteSize: 0 bytes/workgroup (compile time only)
; SGPRBlocks: 0
; VGPRBlocks: 0
; NumSGPRsForWavesPerEU: 6
; NumVGPRsForWavesPerEU: 1
; AccumOffset: 4
; Occupancy: 8
; WaveLimiterHint : 0
; COMPUTE_PGM_RSRC2:SCRATCH_EN: 0
; COMPUTE_PGM_RSRC2:USER_SGPR: 2
; COMPUTE_PGM_RSRC2:TRAP_HANDLER: 0
; COMPUTE_PGM_RSRC2:TGID_X_EN: 1
; COMPUTE_PGM_RSRC2:TGID_Y_EN: 0
; COMPUTE_PGM_RSRC2:TGID_Z_EN: 0
; COMPUTE_PGM_RSRC2:TIDIG_COMP_CNT: 0
; COMPUTE_PGM_RSRC3_GFX90A:ACCUM_OFFSET: 0
; COMPUTE_PGM_RSRC3_GFX90A:TG_SPLIT: 0
	.section	.text._ZN7rocprim17ROCPRIM_400000_NS6detail17trampoline_kernelINS0_14default_configENS1_25partition_config_selectorILNS1_17partition_subalgoE3EyNS0_10empty_typeEbEEZZNS1_14partition_implILS5_3ELb0ES3_jN6thrust23THRUST_200600_302600_NS6detail15normal_iteratorINSA_7pointerIyNSA_11hip_rocprim3tagENSA_11use_defaultESG_EEEEPS6_SJ_NS0_5tupleIJPySJ_EEENSK_IJSJ_SJ_EEES6_PlJ7is_evenIyEEEE10hipError_tPvRmT3_T4_T5_T6_T7_T9_mT8_P12ihipStream_tbDpT10_ENKUlT_T0_E_clISt17integral_constantIbLb0EES1A_EEDaS15_S16_EUlS15_E_NS1_11comp_targetILNS1_3genE10ELNS1_11target_archE1200ELNS1_3gpuE4ELNS1_3repE0EEENS1_30default_config_static_selectorELNS0_4arch9wavefront6targetE1EEEvT1_,"axG",@progbits,_ZN7rocprim17ROCPRIM_400000_NS6detail17trampoline_kernelINS0_14default_configENS1_25partition_config_selectorILNS1_17partition_subalgoE3EyNS0_10empty_typeEbEEZZNS1_14partition_implILS5_3ELb0ES3_jN6thrust23THRUST_200600_302600_NS6detail15normal_iteratorINSA_7pointerIyNSA_11hip_rocprim3tagENSA_11use_defaultESG_EEEEPS6_SJ_NS0_5tupleIJPySJ_EEENSK_IJSJ_SJ_EEES6_PlJ7is_evenIyEEEE10hipError_tPvRmT3_T4_T5_T6_T7_T9_mT8_P12ihipStream_tbDpT10_ENKUlT_T0_E_clISt17integral_constantIbLb0EES1A_EEDaS15_S16_EUlS15_E_NS1_11comp_targetILNS1_3genE10ELNS1_11target_archE1200ELNS1_3gpuE4ELNS1_3repE0EEENS1_30default_config_static_selectorELNS0_4arch9wavefront6targetE1EEEvT1_,comdat
	.protected	_ZN7rocprim17ROCPRIM_400000_NS6detail17trampoline_kernelINS0_14default_configENS1_25partition_config_selectorILNS1_17partition_subalgoE3EyNS0_10empty_typeEbEEZZNS1_14partition_implILS5_3ELb0ES3_jN6thrust23THRUST_200600_302600_NS6detail15normal_iteratorINSA_7pointerIyNSA_11hip_rocprim3tagENSA_11use_defaultESG_EEEEPS6_SJ_NS0_5tupleIJPySJ_EEENSK_IJSJ_SJ_EEES6_PlJ7is_evenIyEEEE10hipError_tPvRmT3_T4_T5_T6_T7_T9_mT8_P12ihipStream_tbDpT10_ENKUlT_T0_E_clISt17integral_constantIbLb0EES1A_EEDaS15_S16_EUlS15_E_NS1_11comp_targetILNS1_3genE10ELNS1_11target_archE1200ELNS1_3gpuE4ELNS1_3repE0EEENS1_30default_config_static_selectorELNS0_4arch9wavefront6targetE1EEEvT1_ ; -- Begin function _ZN7rocprim17ROCPRIM_400000_NS6detail17trampoline_kernelINS0_14default_configENS1_25partition_config_selectorILNS1_17partition_subalgoE3EyNS0_10empty_typeEbEEZZNS1_14partition_implILS5_3ELb0ES3_jN6thrust23THRUST_200600_302600_NS6detail15normal_iteratorINSA_7pointerIyNSA_11hip_rocprim3tagENSA_11use_defaultESG_EEEEPS6_SJ_NS0_5tupleIJPySJ_EEENSK_IJSJ_SJ_EEES6_PlJ7is_evenIyEEEE10hipError_tPvRmT3_T4_T5_T6_T7_T9_mT8_P12ihipStream_tbDpT10_ENKUlT_T0_E_clISt17integral_constantIbLb0EES1A_EEDaS15_S16_EUlS15_E_NS1_11comp_targetILNS1_3genE10ELNS1_11target_archE1200ELNS1_3gpuE4ELNS1_3repE0EEENS1_30default_config_static_selectorELNS0_4arch9wavefront6targetE1EEEvT1_
	.globl	_ZN7rocprim17ROCPRIM_400000_NS6detail17trampoline_kernelINS0_14default_configENS1_25partition_config_selectorILNS1_17partition_subalgoE3EyNS0_10empty_typeEbEEZZNS1_14partition_implILS5_3ELb0ES3_jN6thrust23THRUST_200600_302600_NS6detail15normal_iteratorINSA_7pointerIyNSA_11hip_rocprim3tagENSA_11use_defaultESG_EEEEPS6_SJ_NS0_5tupleIJPySJ_EEENSK_IJSJ_SJ_EEES6_PlJ7is_evenIyEEEE10hipError_tPvRmT3_T4_T5_T6_T7_T9_mT8_P12ihipStream_tbDpT10_ENKUlT_T0_E_clISt17integral_constantIbLb0EES1A_EEDaS15_S16_EUlS15_E_NS1_11comp_targetILNS1_3genE10ELNS1_11target_archE1200ELNS1_3gpuE4ELNS1_3repE0EEENS1_30default_config_static_selectorELNS0_4arch9wavefront6targetE1EEEvT1_
	.p2align	8
	.type	_ZN7rocprim17ROCPRIM_400000_NS6detail17trampoline_kernelINS0_14default_configENS1_25partition_config_selectorILNS1_17partition_subalgoE3EyNS0_10empty_typeEbEEZZNS1_14partition_implILS5_3ELb0ES3_jN6thrust23THRUST_200600_302600_NS6detail15normal_iteratorINSA_7pointerIyNSA_11hip_rocprim3tagENSA_11use_defaultESG_EEEEPS6_SJ_NS0_5tupleIJPySJ_EEENSK_IJSJ_SJ_EEES6_PlJ7is_evenIyEEEE10hipError_tPvRmT3_T4_T5_T6_T7_T9_mT8_P12ihipStream_tbDpT10_ENKUlT_T0_E_clISt17integral_constantIbLb0EES1A_EEDaS15_S16_EUlS15_E_NS1_11comp_targetILNS1_3genE10ELNS1_11target_archE1200ELNS1_3gpuE4ELNS1_3repE0EEENS1_30default_config_static_selectorELNS0_4arch9wavefront6targetE1EEEvT1_,@function
_ZN7rocprim17ROCPRIM_400000_NS6detail17trampoline_kernelINS0_14default_configENS1_25partition_config_selectorILNS1_17partition_subalgoE3EyNS0_10empty_typeEbEEZZNS1_14partition_implILS5_3ELb0ES3_jN6thrust23THRUST_200600_302600_NS6detail15normal_iteratorINSA_7pointerIyNSA_11hip_rocprim3tagENSA_11use_defaultESG_EEEEPS6_SJ_NS0_5tupleIJPySJ_EEENSK_IJSJ_SJ_EEES6_PlJ7is_evenIyEEEE10hipError_tPvRmT3_T4_T5_T6_T7_T9_mT8_P12ihipStream_tbDpT10_ENKUlT_T0_E_clISt17integral_constantIbLb0EES1A_EEDaS15_S16_EUlS15_E_NS1_11comp_targetILNS1_3genE10ELNS1_11target_archE1200ELNS1_3gpuE4ELNS1_3repE0EEENS1_30default_config_static_selectorELNS0_4arch9wavefront6targetE1EEEvT1_: ; @_ZN7rocprim17ROCPRIM_400000_NS6detail17trampoline_kernelINS0_14default_configENS1_25partition_config_selectorILNS1_17partition_subalgoE3EyNS0_10empty_typeEbEEZZNS1_14partition_implILS5_3ELb0ES3_jN6thrust23THRUST_200600_302600_NS6detail15normal_iteratorINSA_7pointerIyNSA_11hip_rocprim3tagENSA_11use_defaultESG_EEEEPS6_SJ_NS0_5tupleIJPySJ_EEENSK_IJSJ_SJ_EEES6_PlJ7is_evenIyEEEE10hipError_tPvRmT3_T4_T5_T6_T7_T9_mT8_P12ihipStream_tbDpT10_ENKUlT_T0_E_clISt17integral_constantIbLb0EES1A_EEDaS15_S16_EUlS15_E_NS1_11comp_targetILNS1_3genE10ELNS1_11target_archE1200ELNS1_3gpuE4ELNS1_3repE0EEENS1_30default_config_static_selectorELNS0_4arch9wavefront6targetE1EEEvT1_
; %bb.0:
	.section	.rodata,"a",@progbits
	.p2align	6, 0x0
	.amdhsa_kernel _ZN7rocprim17ROCPRIM_400000_NS6detail17trampoline_kernelINS0_14default_configENS1_25partition_config_selectorILNS1_17partition_subalgoE3EyNS0_10empty_typeEbEEZZNS1_14partition_implILS5_3ELb0ES3_jN6thrust23THRUST_200600_302600_NS6detail15normal_iteratorINSA_7pointerIyNSA_11hip_rocprim3tagENSA_11use_defaultESG_EEEEPS6_SJ_NS0_5tupleIJPySJ_EEENSK_IJSJ_SJ_EEES6_PlJ7is_evenIyEEEE10hipError_tPvRmT3_T4_T5_T6_T7_T9_mT8_P12ihipStream_tbDpT10_ENKUlT_T0_E_clISt17integral_constantIbLb0EES1A_EEDaS15_S16_EUlS15_E_NS1_11comp_targetILNS1_3genE10ELNS1_11target_archE1200ELNS1_3gpuE4ELNS1_3repE0EEENS1_30default_config_static_selectorELNS0_4arch9wavefront6targetE1EEEvT1_
		.amdhsa_group_segment_fixed_size 0
		.amdhsa_private_segment_fixed_size 0
		.amdhsa_kernarg_size 120
		.amdhsa_user_sgpr_count 2
		.amdhsa_user_sgpr_dispatch_ptr 0
		.amdhsa_user_sgpr_queue_ptr 0
		.amdhsa_user_sgpr_kernarg_segment_ptr 1
		.amdhsa_user_sgpr_dispatch_id 0
		.amdhsa_user_sgpr_kernarg_preload_length 0
		.amdhsa_user_sgpr_kernarg_preload_offset 0
		.amdhsa_user_sgpr_private_segment_size 0
		.amdhsa_uses_dynamic_stack 0
		.amdhsa_enable_private_segment 0
		.amdhsa_system_sgpr_workgroup_id_x 1
		.amdhsa_system_sgpr_workgroup_id_y 0
		.amdhsa_system_sgpr_workgroup_id_z 0
		.amdhsa_system_sgpr_workgroup_info 0
		.amdhsa_system_vgpr_workitem_id 0
		.amdhsa_next_free_vgpr 1
		.amdhsa_next_free_sgpr 0
		.amdhsa_accum_offset 4
		.amdhsa_reserve_vcc 0
		.amdhsa_float_round_mode_32 0
		.amdhsa_float_round_mode_16_64 0
		.amdhsa_float_denorm_mode_32 3
		.amdhsa_float_denorm_mode_16_64 3
		.amdhsa_dx10_clamp 1
		.amdhsa_ieee_mode 1
		.amdhsa_fp16_overflow 0
		.amdhsa_tg_split 0
		.amdhsa_exception_fp_ieee_invalid_op 0
		.amdhsa_exception_fp_denorm_src 0
		.amdhsa_exception_fp_ieee_div_zero 0
		.amdhsa_exception_fp_ieee_overflow 0
		.amdhsa_exception_fp_ieee_underflow 0
		.amdhsa_exception_fp_ieee_inexact 0
		.amdhsa_exception_int_div_zero 0
	.end_amdhsa_kernel
	.section	.text._ZN7rocprim17ROCPRIM_400000_NS6detail17trampoline_kernelINS0_14default_configENS1_25partition_config_selectorILNS1_17partition_subalgoE3EyNS0_10empty_typeEbEEZZNS1_14partition_implILS5_3ELb0ES3_jN6thrust23THRUST_200600_302600_NS6detail15normal_iteratorINSA_7pointerIyNSA_11hip_rocprim3tagENSA_11use_defaultESG_EEEEPS6_SJ_NS0_5tupleIJPySJ_EEENSK_IJSJ_SJ_EEES6_PlJ7is_evenIyEEEE10hipError_tPvRmT3_T4_T5_T6_T7_T9_mT8_P12ihipStream_tbDpT10_ENKUlT_T0_E_clISt17integral_constantIbLb0EES1A_EEDaS15_S16_EUlS15_E_NS1_11comp_targetILNS1_3genE10ELNS1_11target_archE1200ELNS1_3gpuE4ELNS1_3repE0EEENS1_30default_config_static_selectorELNS0_4arch9wavefront6targetE1EEEvT1_,"axG",@progbits,_ZN7rocprim17ROCPRIM_400000_NS6detail17trampoline_kernelINS0_14default_configENS1_25partition_config_selectorILNS1_17partition_subalgoE3EyNS0_10empty_typeEbEEZZNS1_14partition_implILS5_3ELb0ES3_jN6thrust23THRUST_200600_302600_NS6detail15normal_iteratorINSA_7pointerIyNSA_11hip_rocprim3tagENSA_11use_defaultESG_EEEEPS6_SJ_NS0_5tupleIJPySJ_EEENSK_IJSJ_SJ_EEES6_PlJ7is_evenIyEEEE10hipError_tPvRmT3_T4_T5_T6_T7_T9_mT8_P12ihipStream_tbDpT10_ENKUlT_T0_E_clISt17integral_constantIbLb0EES1A_EEDaS15_S16_EUlS15_E_NS1_11comp_targetILNS1_3genE10ELNS1_11target_archE1200ELNS1_3gpuE4ELNS1_3repE0EEENS1_30default_config_static_selectorELNS0_4arch9wavefront6targetE1EEEvT1_,comdat
.Lfunc_end679:
	.size	_ZN7rocprim17ROCPRIM_400000_NS6detail17trampoline_kernelINS0_14default_configENS1_25partition_config_selectorILNS1_17partition_subalgoE3EyNS0_10empty_typeEbEEZZNS1_14partition_implILS5_3ELb0ES3_jN6thrust23THRUST_200600_302600_NS6detail15normal_iteratorINSA_7pointerIyNSA_11hip_rocprim3tagENSA_11use_defaultESG_EEEEPS6_SJ_NS0_5tupleIJPySJ_EEENSK_IJSJ_SJ_EEES6_PlJ7is_evenIyEEEE10hipError_tPvRmT3_T4_T5_T6_T7_T9_mT8_P12ihipStream_tbDpT10_ENKUlT_T0_E_clISt17integral_constantIbLb0EES1A_EEDaS15_S16_EUlS15_E_NS1_11comp_targetILNS1_3genE10ELNS1_11target_archE1200ELNS1_3gpuE4ELNS1_3repE0EEENS1_30default_config_static_selectorELNS0_4arch9wavefront6targetE1EEEvT1_, .Lfunc_end679-_ZN7rocprim17ROCPRIM_400000_NS6detail17trampoline_kernelINS0_14default_configENS1_25partition_config_selectorILNS1_17partition_subalgoE3EyNS0_10empty_typeEbEEZZNS1_14partition_implILS5_3ELb0ES3_jN6thrust23THRUST_200600_302600_NS6detail15normal_iteratorINSA_7pointerIyNSA_11hip_rocprim3tagENSA_11use_defaultESG_EEEEPS6_SJ_NS0_5tupleIJPySJ_EEENSK_IJSJ_SJ_EEES6_PlJ7is_evenIyEEEE10hipError_tPvRmT3_T4_T5_T6_T7_T9_mT8_P12ihipStream_tbDpT10_ENKUlT_T0_E_clISt17integral_constantIbLb0EES1A_EEDaS15_S16_EUlS15_E_NS1_11comp_targetILNS1_3genE10ELNS1_11target_archE1200ELNS1_3gpuE4ELNS1_3repE0EEENS1_30default_config_static_selectorELNS0_4arch9wavefront6targetE1EEEvT1_
                                        ; -- End function
	.section	.AMDGPU.csdata,"",@progbits
; Kernel info:
; codeLenInByte = 0
; NumSgprs: 6
; NumVgprs: 0
; NumAgprs: 0
; TotalNumVgprs: 0
; ScratchSize: 0
; MemoryBound: 0
; FloatMode: 240
; IeeeMode: 1
; LDSByteSize: 0 bytes/workgroup (compile time only)
; SGPRBlocks: 0
; VGPRBlocks: 0
; NumSGPRsForWavesPerEU: 6
; NumVGPRsForWavesPerEU: 1
; AccumOffset: 4
; Occupancy: 8
; WaveLimiterHint : 0
; COMPUTE_PGM_RSRC2:SCRATCH_EN: 0
; COMPUTE_PGM_RSRC2:USER_SGPR: 2
; COMPUTE_PGM_RSRC2:TRAP_HANDLER: 0
; COMPUTE_PGM_RSRC2:TGID_X_EN: 1
; COMPUTE_PGM_RSRC2:TGID_Y_EN: 0
; COMPUTE_PGM_RSRC2:TGID_Z_EN: 0
; COMPUTE_PGM_RSRC2:TIDIG_COMP_CNT: 0
; COMPUTE_PGM_RSRC3_GFX90A:ACCUM_OFFSET: 0
; COMPUTE_PGM_RSRC3_GFX90A:TG_SPLIT: 0
	.section	.text._ZN7rocprim17ROCPRIM_400000_NS6detail17trampoline_kernelINS0_14default_configENS1_25partition_config_selectorILNS1_17partition_subalgoE3EyNS0_10empty_typeEbEEZZNS1_14partition_implILS5_3ELb0ES3_jN6thrust23THRUST_200600_302600_NS6detail15normal_iteratorINSA_7pointerIyNSA_11hip_rocprim3tagENSA_11use_defaultESG_EEEEPS6_SJ_NS0_5tupleIJPySJ_EEENSK_IJSJ_SJ_EEES6_PlJ7is_evenIyEEEE10hipError_tPvRmT3_T4_T5_T6_T7_T9_mT8_P12ihipStream_tbDpT10_ENKUlT_T0_E_clISt17integral_constantIbLb0EES1A_EEDaS15_S16_EUlS15_E_NS1_11comp_targetILNS1_3genE9ELNS1_11target_archE1100ELNS1_3gpuE3ELNS1_3repE0EEENS1_30default_config_static_selectorELNS0_4arch9wavefront6targetE1EEEvT1_,"axG",@progbits,_ZN7rocprim17ROCPRIM_400000_NS6detail17trampoline_kernelINS0_14default_configENS1_25partition_config_selectorILNS1_17partition_subalgoE3EyNS0_10empty_typeEbEEZZNS1_14partition_implILS5_3ELb0ES3_jN6thrust23THRUST_200600_302600_NS6detail15normal_iteratorINSA_7pointerIyNSA_11hip_rocprim3tagENSA_11use_defaultESG_EEEEPS6_SJ_NS0_5tupleIJPySJ_EEENSK_IJSJ_SJ_EEES6_PlJ7is_evenIyEEEE10hipError_tPvRmT3_T4_T5_T6_T7_T9_mT8_P12ihipStream_tbDpT10_ENKUlT_T0_E_clISt17integral_constantIbLb0EES1A_EEDaS15_S16_EUlS15_E_NS1_11comp_targetILNS1_3genE9ELNS1_11target_archE1100ELNS1_3gpuE3ELNS1_3repE0EEENS1_30default_config_static_selectorELNS0_4arch9wavefront6targetE1EEEvT1_,comdat
	.protected	_ZN7rocprim17ROCPRIM_400000_NS6detail17trampoline_kernelINS0_14default_configENS1_25partition_config_selectorILNS1_17partition_subalgoE3EyNS0_10empty_typeEbEEZZNS1_14partition_implILS5_3ELb0ES3_jN6thrust23THRUST_200600_302600_NS6detail15normal_iteratorINSA_7pointerIyNSA_11hip_rocprim3tagENSA_11use_defaultESG_EEEEPS6_SJ_NS0_5tupleIJPySJ_EEENSK_IJSJ_SJ_EEES6_PlJ7is_evenIyEEEE10hipError_tPvRmT3_T4_T5_T6_T7_T9_mT8_P12ihipStream_tbDpT10_ENKUlT_T0_E_clISt17integral_constantIbLb0EES1A_EEDaS15_S16_EUlS15_E_NS1_11comp_targetILNS1_3genE9ELNS1_11target_archE1100ELNS1_3gpuE3ELNS1_3repE0EEENS1_30default_config_static_selectorELNS0_4arch9wavefront6targetE1EEEvT1_ ; -- Begin function _ZN7rocprim17ROCPRIM_400000_NS6detail17trampoline_kernelINS0_14default_configENS1_25partition_config_selectorILNS1_17partition_subalgoE3EyNS0_10empty_typeEbEEZZNS1_14partition_implILS5_3ELb0ES3_jN6thrust23THRUST_200600_302600_NS6detail15normal_iteratorINSA_7pointerIyNSA_11hip_rocprim3tagENSA_11use_defaultESG_EEEEPS6_SJ_NS0_5tupleIJPySJ_EEENSK_IJSJ_SJ_EEES6_PlJ7is_evenIyEEEE10hipError_tPvRmT3_T4_T5_T6_T7_T9_mT8_P12ihipStream_tbDpT10_ENKUlT_T0_E_clISt17integral_constantIbLb0EES1A_EEDaS15_S16_EUlS15_E_NS1_11comp_targetILNS1_3genE9ELNS1_11target_archE1100ELNS1_3gpuE3ELNS1_3repE0EEENS1_30default_config_static_selectorELNS0_4arch9wavefront6targetE1EEEvT1_
	.globl	_ZN7rocprim17ROCPRIM_400000_NS6detail17trampoline_kernelINS0_14default_configENS1_25partition_config_selectorILNS1_17partition_subalgoE3EyNS0_10empty_typeEbEEZZNS1_14partition_implILS5_3ELb0ES3_jN6thrust23THRUST_200600_302600_NS6detail15normal_iteratorINSA_7pointerIyNSA_11hip_rocprim3tagENSA_11use_defaultESG_EEEEPS6_SJ_NS0_5tupleIJPySJ_EEENSK_IJSJ_SJ_EEES6_PlJ7is_evenIyEEEE10hipError_tPvRmT3_T4_T5_T6_T7_T9_mT8_P12ihipStream_tbDpT10_ENKUlT_T0_E_clISt17integral_constantIbLb0EES1A_EEDaS15_S16_EUlS15_E_NS1_11comp_targetILNS1_3genE9ELNS1_11target_archE1100ELNS1_3gpuE3ELNS1_3repE0EEENS1_30default_config_static_selectorELNS0_4arch9wavefront6targetE1EEEvT1_
	.p2align	8
	.type	_ZN7rocprim17ROCPRIM_400000_NS6detail17trampoline_kernelINS0_14default_configENS1_25partition_config_selectorILNS1_17partition_subalgoE3EyNS0_10empty_typeEbEEZZNS1_14partition_implILS5_3ELb0ES3_jN6thrust23THRUST_200600_302600_NS6detail15normal_iteratorINSA_7pointerIyNSA_11hip_rocprim3tagENSA_11use_defaultESG_EEEEPS6_SJ_NS0_5tupleIJPySJ_EEENSK_IJSJ_SJ_EEES6_PlJ7is_evenIyEEEE10hipError_tPvRmT3_T4_T5_T6_T7_T9_mT8_P12ihipStream_tbDpT10_ENKUlT_T0_E_clISt17integral_constantIbLb0EES1A_EEDaS15_S16_EUlS15_E_NS1_11comp_targetILNS1_3genE9ELNS1_11target_archE1100ELNS1_3gpuE3ELNS1_3repE0EEENS1_30default_config_static_selectorELNS0_4arch9wavefront6targetE1EEEvT1_,@function
_ZN7rocprim17ROCPRIM_400000_NS6detail17trampoline_kernelINS0_14default_configENS1_25partition_config_selectorILNS1_17partition_subalgoE3EyNS0_10empty_typeEbEEZZNS1_14partition_implILS5_3ELb0ES3_jN6thrust23THRUST_200600_302600_NS6detail15normal_iteratorINSA_7pointerIyNSA_11hip_rocprim3tagENSA_11use_defaultESG_EEEEPS6_SJ_NS0_5tupleIJPySJ_EEENSK_IJSJ_SJ_EEES6_PlJ7is_evenIyEEEE10hipError_tPvRmT3_T4_T5_T6_T7_T9_mT8_P12ihipStream_tbDpT10_ENKUlT_T0_E_clISt17integral_constantIbLb0EES1A_EEDaS15_S16_EUlS15_E_NS1_11comp_targetILNS1_3genE9ELNS1_11target_archE1100ELNS1_3gpuE3ELNS1_3repE0EEENS1_30default_config_static_selectorELNS0_4arch9wavefront6targetE1EEEvT1_: ; @_ZN7rocprim17ROCPRIM_400000_NS6detail17trampoline_kernelINS0_14default_configENS1_25partition_config_selectorILNS1_17partition_subalgoE3EyNS0_10empty_typeEbEEZZNS1_14partition_implILS5_3ELb0ES3_jN6thrust23THRUST_200600_302600_NS6detail15normal_iteratorINSA_7pointerIyNSA_11hip_rocprim3tagENSA_11use_defaultESG_EEEEPS6_SJ_NS0_5tupleIJPySJ_EEENSK_IJSJ_SJ_EEES6_PlJ7is_evenIyEEEE10hipError_tPvRmT3_T4_T5_T6_T7_T9_mT8_P12ihipStream_tbDpT10_ENKUlT_T0_E_clISt17integral_constantIbLb0EES1A_EEDaS15_S16_EUlS15_E_NS1_11comp_targetILNS1_3genE9ELNS1_11target_archE1100ELNS1_3gpuE3ELNS1_3repE0EEENS1_30default_config_static_selectorELNS0_4arch9wavefront6targetE1EEEvT1_
; %bb.0:
	.section	.rodata,"a",@progbits
	.p2align	6, 0x0
	.amdhsa_kernel _ZN7rocprim17ROCPRIM_400000_NS6detail17trampoline_kernelINS0_14default_configENS1_25partition_config_selectorILNS1_17partition_subalgoE3EyNS0_10empty_typeEbEEZZNS1_14partition_implILS5_3ELb0ES3_jN6thrust23THRUST_200600_302600_NS6detail15normal_iteratorINSA_7pointerIyNSA_11hip_rocprim3tagENSA_11use_defaultESG_EEEEPS6_SJ_NS0_5tupleIJPySJ_EEENSK_IJSJ_SJ_EEES6_PlJ7is_evenIyEEEE10hipError_tPvRmT3_T4_T5_T6_T7_T9_mT8_P12ihipStream_tbDpT10_ENKUlT_T0_E_clISt17integral_constantIbLb0EES1A_EEDaS15_S16_EUlS15_E_NS1_11comp_targetILNS1_3genE9ELNS1_11target_archE1100ELNS1_3gpuE3ELNS1_3repE0EEENS1_30default_config_static_selectorELNS0_4arch9wavefront6targetE1EEEvT1_
		.amdhsa_group_segment_fixed_size 0
		.amdhsa_private_segment_fixed_size 0
		.amdhsa_kernarg_size 120
		.amdhsa_user_sgpr_count 2
		.amdhsa_user_sgpr_dispatch_ptr 0
		.amdhsa_user_sgpr_queue_ptr 0
		.amdhsa_user_sgpr_kernarg_segment_ptr 1
		.amdhsa_user_sgpr_dispatch_id 0
		.amdhsa_user_sgpr_kernarg_preload_length 0
		.amdhsa_user_sgpr_kernarg_preload_offset 0
		.amdhsa_user_sgpr_private_segment_size 0
		.amdhsa_uses_dynamic_stack 0
		.amdhsa_enable_private_segment 0
		.amdhsa_system_sgpr_workgroup_id_x 1
		.amdhsa_system_sgpr_workgroup_id_y 0
		.amdhsa_system_sgpr_workgroup_id_z 0
		.amdhsa_system_sgpr_workgroup_info 0
		.amdhsa_system_vgpr_workitem_id 0
		.amdhsa_next_free_vgpr 1
		.amdhsa_next_free_sgpr 0
		.amdhsa_accum_offset 4
		.amdhsa_reserve_vcc 0
		.amdhsa_float_round_mode_32 0
		.amdhsa_float_round_mode_16_64 0
		.amdhsa_float_denorm_mode_32 3
		.amdhsa_float_denorm_mode_16_64 3
		.amdhsa_dx10_clamp 1
		.amdhsa_ieee_mode 1
		.amdhsa_fp16_overflow 0
		.amdhsa_tg_split 0
		.amdhsa_exception_fp_ieee_invalid_op 0
		.amdhsa_exception_fp_denorm_src 0
		.amdhsa_exception_fp_ieee_div_zero 0
		.amdhsa_exception_fp_ieee_overflow 0
		.amdhsa_exception_fp_ieee_underflow 0
		.amdhsa_exception_fp_ieee_inexact 0
		.amdhsa_exception_int_div_zero 0
	.end_amdhsa_kernel
	.section	.text._ZN7rocprim17ROCPRIM_400000_NS6detail17trampoline_kernelINS0_14default_configENS1_25partition_config_selectorILNS1_17partition_subalgoE3EyNS0_10empty_typeEbEEZZNS1_14partition_implILS5_3ELb0ES3_jN6thrust23THRUST_200600_302600_NS6detail15normal_iteratorINSA_7pointerIyNSA_11hip_rocprim3tagENSA_11use_defaultESG_EEEEPS6_SJ_NS0_5tupleIJPySJ_EEENSK_IJSJ_SJ_EEES6_PlJ7is_evenIyEEEE10hipError_tPvRmT3_T4_T5_T6_T7_T9_mT8_P12ihipStream_tbDpT10_ENKUlT_T0_E_clISt17integral_constantIbLb0EES1A_EEDaS15_S16_EUlS15_E_NS1_11comp_targetILNS1_3genE9ELNS1_11target_archE1100ELNS1_3gpuE3ELNS1_3repE0EEENS1_30default_config_static_selectorELNS0_4arch9wavefront6targetE1EEEvT1_,"axG",@progbits,_ZN7rocprim17ROCPRIM_400000_NS6detail17trampoline_kernelINS0_14default_configENS1_25partition_config_selectorILNS1_17partition_subalgoE3EyNS0_10empty_typeEbEEZZNS1_14partition_implILS5_3ELb0ES3_jN6thrust23THRUST_200600_302600_NS6detail15normal_iteratorINSA_7pointerIyNSA_11hip_rocprim3tagENSA_11use_defaultESG_EEEEPS6_SJ_NS0_5tupleIJPySJ_EEENSK_IJSJ_SJ_EEES6_PlJ7is_evenIyEEEE10hipError_tPvRmT3_T4_T5_T6_T7_T9_mT8_P12ihipStream_tbDpT10_ENKUlT_T0_E_clISt17integral_constantIbLb0EES1A_EEDaS15_S16_EUlS15_E_NS1_11comp_targetILNS1_3genE9ELNS1_11target_archE1100ELNS1_3gpuE3ELNS1_3repE0EEENS1_30default_config_static_selectorELNS0_4arch9wavefront6targetE1EEEvT1_,comdat
.Lfunc_end680:
	.size	_ZN7rocprim17ROCPRIM_400000_NS6detail17trampoline_kernelINS0_14default_configENS1_25partition_config_selectorILNS1_17partition_subalgoE3EyNS0_10empty_typeEbEEZZNS1_14partition_implILS5_3ELb0ES3_jN6thrust23THRUST_200600_302600_NS6detail15normal_iteratorINSA_7pointerIyNSA_11hip_rocprim3tagENSA_11use_defaultESG_EEEEPS6_SJ_NS0_5tupleIJPySJ_EEENSK_IJSJ_SJ_EEES6_PlJ7is_evenIyEEEE10hipError_tPvRmT3_T4_T5_T6_T7_T9_mT8_P12ihipStream_tbDpT10_ENKUlT_T0_E_clISt17integral_constantIbLb0EES1A_EEDaS15_S16_EUlS15_E_NS1_11comp_targetILNS1_3genE9ELNS1_11target_archE1100ELNS1_3gpuE3ELNS1_3repE0EEENS1_30default_config_static_selectorELNS0_4arch9wavefront6targetE1EEEvT1_, .Lfunc_end680-_ZN7rocprim17ROCPRIM_400000_NS6detail17trampoline_kernelINS0_14default_configENS1_25partition_config_selectorILNS1_17partition_subalgoE3EyNS0_10empty_typeEbEEZZNS1_14partition_implILS5_3ELb0ES3_jN6thrust23THRUST_200600_302600_NS6detail15normal_iteratorINSA_7pointerIyNSA_11hip_rocprim3tagENSA_11use_defaultESG_EEEEPS6_SJ_NS0_5tupleIJPySJ_EEENSK_IJSJ_SJ_EEES6_PlJ7is_evenIyEEEE10hipError_tPvRmT3_T4_T5_T6_T7_T9_mT8_P12ihipStream_tbDpT10_ENKUlT_T0_E_clISt17integral_constantIbLb0EES1A_EEDaS15_S16_EUlS15_E_NS1_11comp_targetILNS1_3genE9ELNS1_11target_archE1100ELNS1_3gpuE3ELNS1_3repE0EEENS1_30default_config_static_selectorELNS0_4arch9wavefront6targetE1EEEvT1_
                                        ; -- End function
	.section	.AMDGPU.csdata,"",@progbits
; Kernel info:
; codeLenInByte = 0
; NumSgprs: 6
; NumVgprs: 0
; NumAgprs: 0
; TotalNumVgprs: 0
; ScratchSize: 0
; MemoryBound: 0
; FloatMode: 240
; IeeeMode: 1
; LDSByteSize: 0 bytes/workgroup (compile time only)
; SGPRBlocks: 0
; VGPRBlocks: 0
; NumSGPRsForWavesPerEU: 6
; NumVGPRsForWavesPerEU: 1
; AccumOffset: 4
; Occupancy: 8
; WaveLimiterHint : 0
; COMPUTE_PGM_RSRC2:SCRATCH_EN: 0
; COMPUTE_PGM_RSRC2:USER_SGPR: 2
; COMPUTE_PGM_RSRC2:TRAP_HANDLER: 0
; COMPUTE_PGM_RSRC2:TGID_X_EN: 1
; COMPUTE_PGM_RSRC2:TGID_Y_EN: 0
; COMPUTE_PGM_RSRC2:TGID_Z_EN: 0
; COMPUTE_PGM_RSRC2:TIDIG_COMP_CNT: 0
; COMPUTE_PGM_RSRC3_GFX90A:ACCUM_OFFSET: 0
; COMPUTE_PGM_RSRC3_GFX90A:TG_SPLIT: 0
	.section	.text._ZN7rocprim17ROCPRIM_400000_NS6detail17trampoline_kernelINS0_14default_configENS1_25partition_config_selectorILNS1_17partition_subalgoE3EyNS0_10empty_typeEbEEZZNS1_14partition_implILS5_3ELb0ES3_jN6thrust23THRUST_200600_302600_NS6detail15normal_iteratorINSA_7pointerIyNSA_11hip_rocprim3tagENSA_11use_defaultESG_EEEEPS6_SJ_NS0_5tupleIJPySJ_EEENSK_IJSJ_SJ_EEES6_PlJ7is_evenIyEEEE10hipError_tPvRmT3_T4_T5_T6_T7_T9_mT8_P12ihipStream_tbDpT10_ENKUlT_T0_E_clISt17integral_constantIbLb0EES1A_EEDaS15_S16_EUlS15_E_NS1_11comp_targetILNS1_3genE8ELNS1_11target_archE1030ELNS1_3gpuE2ELNS1_3repE0EEENS1_30default_config_static_selectorELNS0_4arch9wavefront6targetE1EEEvT1_,"axG",@progbits,_ZN7rocprim17ROCPRIM_400000_NS6detail17trampoline_kernelINS0_14default_configENS1_25partition_config_selectorILNS1_17partition_subalgoE3EyNS0_10empty_typeEbEEZZNS1_14partition_implILS5_3ELb0ES3_jN6thrust23THRUST_200600_302600_NS6detail15normal_iteratorINSA_7pointerIyNSA_11hip_rocprim3tagENSA_11use_defaultESG_EEEEPS6_SJ_NS0_5tupleIJPySJ_EEENSK_IJSJ_SJ_EEES6_PlJ7is_evenIyEEEE10hipError_tPvRmT3_T4_T5_T6_T7_T9_mT8_P12ihipStream_tbDpT10_ENKUlT_T0_E_clISt17integral_constantIbLb0EES1A_EEDaS15_S16_EUlS15_E_NS1_11comp_targetILNS1_3genE8ELNS1_11target_archE1030ELNS1_3gpuE2ELNS1_3repE0EEENS1_30default_config_static_selectorELNS0_4arch9wavefront6targetE1EEEvT1_,comdat
	.protected	_ZN7rocprim17ROCPRIM_400000_NS6detail17trampoline_kernelINS0_14default_configENS1_25partition_config_selectorILNS1_17partition_subalgoE3EyNS0_10empty_typeEbEEZZNS1_14partition_implILS5_3ELb0ES3_jN6thrust23THRUST_200600_302600_NS6detail15normal_iteratorINSA_7pointerIyNSA_11hip_rocprim3tagENSA_11use_defaultESG_EEEEPS6_SJ_NS0_5tupleIJPySJ_EEENSK_IJSJ_SJ_EEES6_PlJ7is_evenIyEEEE10hipError_tPvRmT3_T4_T5_T6_T7_T9_mT8_P12ihipStream_tbDpT10_ENKUlT_T0_E_clISt17integral_constantIbLb0EES1A_EEDaS15_S16_EUlS15_E_NS1_11comp_targetILNS1_3genE8ELNS1_11target_archE1030ELNS1_3gpuE2ELNS1_3repE0EEENS1_30default_config_static_selectorELNS0_4arch9wavefront6targetE1EEEvT1_ ; -- Begin function _ZN7rocprim17ROCPRIM_400000_NS6detail17trampoline_kernelINS0_14default_configENS1_25partition_config_selectorILNS1_17partition_subalgoE3EyNS0_10empty_typeEbEEZZNS1_14partition_implILS5_3ELb0ES3_jN6thrust23THRUST_200600_302600_NS6detail15normal_iteratorINSA_7pointerIyNSA_11hip_rocprim3tagENSA_11use_defaultESG_EEEEPS6_SJ_NS0_5tupleIJPySJ_EEENSK_IJSJ_SJ_EEES6_PlJ7is_evenIyEEEE10hipError_tPvRmT3_T4_T5_T6_T7_T9_mT8_P12ihipStream_tbDpT10_ENKUlT_T0_E_clISt17integral_constantIbLb0EES1A_EEDaS15_S16_EUlS15_E_NS1_11comp_targetILNS1_3genE8ELNS1_11target_archE1030ELNS1_3gpuE2ELNS1_3repE0EEENS1_30default_config_static_selectorELNS0_4arch9wavefront6targetE1EEEvT1_
	.globl	_ZN7rocprim17ROCPRIM_400000_NS6detail17trampoline_kernelINS0_14default_configENS1_25partition_config_selectorILNS1_17partition_subalgoE3EyNS0_10empty_typeEbEEZZNS1_14partition_implILS5_3ELb0ES3_jN6thrust23THRUST_200600_302600_NS6detail15normal_iteratorINSA_7pointerIyNSA_11hip_rocprim3tagENSA_11use_defaultESG_EEEEPS6_SJ_NS0_5tupleIJPySJ_EEENSK_IJSJ_SJ_EEES6_PlJ7is_evenIyEEEE10hipError_tPvRmT3_T4_T5_T6_T7_T9_mT8_P12ihipStream_tbDpT10_ENKUlT_T0_E_clISt17integral_constantIbLb0EES1A_EEDaS15_S16_EUlS15_E_NS1_11comp_targetILNS1_3genE8ELNS1_11target_archE1030ELNS1_3gpuE2ELNS1_3repE0EEENS1_30default_config_static_selectorELNS0_4arch9wavefront6targetE1EEEvT1_
	.p2align	8
	.type	_ZN7rocprim17ROCPRIM_400000_NS6detail17trampoline_kernelINS0_14default_configENS1_25partition_config_selectorILNS1_17partition_subalgoE3EyNS0_10empty_typeEbEEZZNS1_14partition_implILS5_3ELb0ES3_jN6thrust23THRUST_200600_302600_NS6detail15normal_iteratorINSA_7pointerIyNSA_11hip_rocprim3tagENSA_11use_defaultESG_EEEEPS6_SJ_NS0_5tupleIJPySJ_EEENSK_IJSJ_SJ_EEES6_PlJ7is_evenIyEEEE10hipError_tPvRmT3_T4_T5_T6_T7_T9_mT8_P12ihipStream_tbDpT10_ENKUlT_T0_E_clISt17integral_constantIbLb0EES1A_EEDaS15_S16_EUlS15_E_NS1_11comp_targetILNS1_3genE8ELNS1_11target_archE1030ELNS1_3gpuE2ELNS1_3repE0EEENS1_30default_config_static_selectorELNS0_4arch9wavefront6targetE1EEEvT1_,@function
_ZN7rocprim17ROCPRIM_400000_NS6detail17trampoline_kernelINS0_14default_configENS1_25partition_config_selectorILNS1_17partition_subalgoE3EyNS0_10empty_typeEbEEZZNS1_14partition_implILS5_3ELb0ES3_jN6thrust23THRUST_200600_302600_NS6detail15normal_iteratorINSA_7pointerIyNSA_11hip_rocprim3tagENSA_11use_defaultESG_EEEEPS6_SJ_NS0_5tupleIJPySJ_EEENSK_IJSJ_SJ_EEES6_PlJ7is_evenIyEEEE10hipError_tPvRmT3_T4_T5_T6_T7_T9_mT8_P12ihipStream_tbDpT10_ENKUlT_T0_E_clISt17integral_constantIbLb0EES1A_EEDaS15_S16_EUlS15_E_NS1_11comp_targetILNS1_3genE8ELNS1_11target_archE1030ELNS1_3gpuE2ELNS1_3repE0EEENS1_30default_config_static_selectorELNS0_4arch9wavefront6targetE1EEEvT1_: ; @_ZN7rocprim17ROCPRIM_400000_NS6detail17trampoline_kernelINS0_14default_configENS1_25partition_config_selectorILNS1_17partition_subalgoE3EyNS0_10empty_typeEbEEZZNS1_14partition_implILS5_3ELb0ES3_jN6thrust23THRUST_200600_302600_NS6detail15normal_iteratorINSA_7pointerIyNSA_11hip_rocprim3tagENSA_11use_defaultESG_EEEEPS6_SJ_NS0_5tupleIJPySJ_EEENSK_IJSJ_SJ_EEES6_PlJ7is_evenIyEEEE10hipError_tPvRmT3_T4_T5_T6_T7_T9_mT8_P12ihipStream_tbDpT10_ENKUlT_T0_E_clISt17integral_constantIbLb0EES1A_EEDaS15_S16_EUlS15_E_NS1_11comp_targetILNS1_3genE8ELNS1_11target_archE1030ELNS1_3gpuE2ELNS1_3repE0EEENS1_30default_config_static_selectorELNS0_4arch9wavefront6targetE1EEEvT1_
; %bb.0:
	.section	.rodata,"a",@progbits
	.p2align	6, 0x0
	.amdhsa_kernel _ZN7rocprim17ROCPRIM_400000_NS6detail17trampoline_kernelINS0_14default_configENS1_25partition_config_selectorILNS1_17partition_subalgoE3EyNS0_10empty_typeEbEEZZNS1_14partition_implILS5_3ELb0ES3_jN6thrust23THRUST_200600_302600_NS6detail15normal_iteratorINSA_7pointerIyNSA_11hip_rocprim3tagENSA_11use_defaultESG_EEEEPS6_SJ_NS0_5tupleIJPySJ_EEENSK_IJSJ_SJ_EEES6_PlJ7is_evenIyEEEE10hipError_tPvRmT3_T4_T5_T6_T7_T9_mT8_P12ihipStream_tbDpT10_ENKUlT_T0_E_clISt17integral_constantIbLb0EES1A_EEDaS15_S16_EUlS15_E_NS1_11comp_targetILNS1_3genE8ELNS1_11target_archE1030ELNS1_3gpuE2ELNS1_3repE0EEENS1_30default_config_static_selectorELNS0_4arch9wavefront6targetE1EEEvT1_
		.amdhsa_group_segment_fixed_size 0
		.amdhsa_private_segment_fixed_size 0
		.amdhsa_kernarg_size 120
		.amdhsa_user_sgpr_count 2
		.amdhsa_user_sgpr_dispatch_ptr 0
		.amdhsa_user_sgpr_queue_ptr 0
		.amdhsa_user_sgpr_kernarg_segment_ptr 1
		.amdhsa_user_sgpr_dispatch_id 0
		.amdhsa_user_sgpr_kernarg_preload_length 0
		.amdhsa_user_sgpr_kernarg_preload_offset 0
		.amdhsa_user_sgpr_private_segment_size 0
		.amdhsa_uses_dynamic_stack 0
		.amdhsa_enable_private_segment 0
		.amdhsa_system_sgpr_workgroup_id_x 1
		.amdhsa_system_sgpr_workgroup_id_y 0
		.amdhsa_system_sgpr_workgroup_id_z 0
		.amdhsa_system_sgpr_workgroup_info 0
		.amdhsa_system_vgpr_workitem_id 0
		.amdhsa_next_free_vgpr 1
		.amdhsa_next_free_sgpr 0
		.amdhsa_accum_offset 4
		.amdhsa_reserve_vcc 0
		.amdhsa_float_round_mode_32 0
		.amdhsa_float_round_mode_16_64 0
		.amdhsa_float_denorm_mode_32 3
		.amdhsa_float_denorm_mode_16_64 3
		.amdhsa_dx10_clamp 1
		.amdhsa_ieee_mode 1
		.amdhsa_fp16_overflow 0
		.amdhsa_tg_split 0
		.amdhsa_exception_fp_ieee_invalid_op 0
		.amdhsa_exception_fp_denorm_src 0
		.amdhsa_exception_fp_ieee_div_zero 0
		.amdhsa_exception_fp_ieee_overflow 0
		.amdhsa_exception_fp_ieee_underflow 0
		.amdhsa_exception_fp_ieee_inexact 0
		.amdhsa_exception_int_div_zero 0
	.end_amdhsa_kernel
	.section	.text._ZN7rocprim17ROCPRIM_400000_NS6detail17trampoline_kernelINS0_14default_configENS1_25partition_config_selectorILNS1_17partition_subalgoE3EyNS0_10empty_typeEbEEZZNS1_14partition_implILS5_3ELb0ES3_jN6thrust23THRUST_200600_302600_NS6detail15normal_iteratorINSA_7pointerIyNSA_11hip_rocprim3tagENSA_11use_defaultESG_EEEEPS6_SJ_NS0_5tupleIJPySJ_EEENSK_IJSJ_SJ_EEES6_PlJ7is_evenIyEEEE10hipError_tPvRmT3_T4_T5_T6_T7_T9_mT8_P12ihipStream_tbDpT10_ENKUlT_T0_E_clISt17integral_constantIbLb0EES1A_EEDaS15_S16_EUlS15_E_NS1_11comp_targetILNS1_3genE8ELNS1_11target_archE1030ELNS1_3gpuE2ELNS1_3repE0EEENS1_30default_config_static_selectorELNS0_4arch9wavefront6targetE1EEEvT1_,"axG",@progbits,_ZN7rocprim17ROCPRIM_400000_NS6detail17trampoline_kernelINS0_14default_configENS1_25partition_config_selectorILNS1_17partition_subalgoE3EyNS0_10empty_typeEbEEZZNS1_14partition_implILS5_3ELb0ES3_jN6thrust23THRUST_200600_302600_NS6detail15normal_iteratorINSA_7pointerIyNSA_11hip_rocprim3tagENSA_11use_defaultESG_EEEEPS6_SJ_NS0_5tupleIJPySJ_EEENSK_IJSJ_SJ_EEES6_PlJ7is_evenIyEEEE10hipError_tPvRmT3_T4_T5_T6_T7_T9_mT8_P12ihipStream_tbDpT10_ENKUlT_T0_E_clISt17integral_constantIbLb0EES1A_EEDaS15_S16_EUlS15_E_NS1_11comp_targetILNS1_3genE8ELNS1_11target_archE1030ELNS1_3gpuE2ELNS1_3repE0EEENS1_30default_config_static_selectorELNS0_4arch9wavefront6targetE1EEEvT1_,comdat
.Lfunc_end681:
	.size	_ZN7rocprim17ROCPRIM_400000_NS6detail17trampoline_kernelINS0_14default_configENS1_25partition_config_selectorILNS1_17partition_subalgoE3EyNS0_10empty_typeEbEEZZNS1_14partition_implILS5_3ELb0ES3_jN6thrust23THRUST_200600_302600_NS6detail15normal_iteratorINSA_7pointerIyNSA_11hip_rocprim3tagENSA_11use_defaultESG_EEEEPS6_SJ_NS0_5tupleIJPySJ_EEENSK_IJSJ_SJ_EEES6_PlJ7is_evenIyEEEE10hipError_tPvRmT3_T4_T5_T6_T7_T9_mT8_P12ihipStream_tbDpT10_ENKUlT_T0_E_clISt17integral_constantIbLb0EES1A_EEDaS15_S16_EUlS15_E_NS1_11comp_targetILNS1_3genE8ELNS1_11target_archE1030ELNS1_3gpuE2ELNS1_3repE0EEENS1_30default_config_static_selectorELNS0_4arch9wavefront6targetE1EEEvT1_, .Lfunc_end681-_ZN7rocprim17ROCPRIM_400000_NS6detail17trampoline_kernelINS0_14default_configENS1_25partition_config_selectorILNS1_17partition_subalgoE3EyNS0_10empty_typeEbEEZZNS1_14partition_implILS5_3ELb0ES3_jN6thrust23THRUST_200600_302600_NS6detail15normal_iteratorINSA_7pointerIyNSA_11hip_rocprim3tagENSA_11use_defaultESG_EEEEPS6_SJ_NS0_5tupleIJPySJ_EEENSK_IJSJ_SJ_EEES6_PlJ7is_evenIyEEEE10hipError_tPvRmT3_T4_T5_T6_T7_T9_mT8_P12ihipStream_tbDpT10_ENKUlT_T0_E_clISt17integral_constantIbLb0EES1A_EEDaS15_S16_EUlS15_E_NS1_11comp_targetILNS1_3genE8ELNS1_11target_archE1030ELNS1_3gpuE2ELNS1_3repE0EEENS1_30default_config_static_selectorELNS0_4arch9wavefront6targetE1EEEvT1_
                                        ; -- End function
	.section	.AMDGPU.csdata,"",@progbits
; Kernel info:
; codeLenInByte = 0
; NumSgprs: 6
; NumVgprs: 0
; NumAgprs: 0
; TotalNumVgprs: 0
; ScratchSize: 0
; MemoryBound: 0
; FloatMode: 240
; IeeeMode: 1
; LDSByteSize: 0 bytes/workgroup (compile time only)
; SGPRBlocks: 0
; VGPRBlocks: 0
; NumSGPRsForWavesPerEU: 6
; NumVGPRsForWavesPerEU: 1
; AccumOffset: 4
; Occupancy: 8
; WaveLimiterHint : 0
; COMPUTE_PGM_RSRC2:SCRATCH_EN: 0
; COMPUTE_PGM_RSRC2:USER_SGPR: 2
; COMPUTE_PGM_RSRC2:TRAP_HANDLER: 0
; COMPUTE_PGM_RSRC2:TGID_X_EN: 1
; COMPUTE_PGM_RSRC2:TGID_Y_EN: 0
; COMPUTE_PGM_RSRC2:TGID_Z_EN: 0
; COMPUTE_PGM_RSRC2:TIDIG_COMP_CNT: 0
; COMPUTE_PGM_RSRC3_GFX90A:ACCUM_OFFSET: 0
; COMPUTE_PGM_RSRC3_GFX90A:TG_SPLIT: 0
	.section	.text._ZN7rocprim17ROCPRIM_400000_NS6detail17trampoline_kernelINS0_14default_configENS1_25partition_config_selectorILNS1_17partition_subalgoE3EyNS0_10empty_typeEbEEZZNS1_14partition_implILS5_3ELb0ES3_jN6thrust23THRUST_200600_302600_NS6detail15normal_iteratorINSA_7pointerIyNSA_11hip_rocprim3tagENSA_11use_defaultESG_EEEEPS6_SJ_NS0_5tupleIJPySJ_EEENSK_IJSJ_SJ_EEES6_PlJ7is_evenIyEEEE10hipError_tPvRmT3_T4_T5_T6_T7_T9_mT8_P12ihipStream_tbDpT10_ENKUlT_T0_E_clISt17integral_constantIbLb1EES1A_EEDaS15_S16_EUlS15_E_NS1_11comp_targetILNS1_3genE0ELNS1_11target_archE4294967295ELNS1_3gpuE0ELNS1_3repE0EEENS1_30default_config_static_selectorELNS0_4arch9wavefront6targetE1EEEvT1_,"axG",@progbits,_ZN7rocprim17ROCPRIM_400000_NS6detail17trampoline_kernelINS0_14default_configENS1_25partition_config_selectorILNS1_17partition_subalgoE3EyNS0_10empty_typeEbEEZZNS1_14partition_implILS5_3ELb0ES3_jN6thrust23THRUST_200600_302600_NS6detail15normal_iteratorINSA_7pointerIyNSA_11hip_rocprim3tagENSA_11use_defaultESG_EEEEPS6_SJ_NS0_5tupleIJPySJ_EEENSK_IJSJ_SJ_EEES6_PlJ7is_evenIyEEEE10hipError_tPvRmT3_T4_T5_T6_T7_T9_mT8_P12ihipStream_tbDpT10_ENKUlT_T0_E_clISt17integral_constantIbLb1EES1A_EEDaS15_S16_EUlS15_E_NS1_11comp_targetILNS1_3genE0ELNS1_11target_archE4294967295ELNS1_3gpuE0ELNS1_3repE0EEENS1_30default_config_static_selectorELNS0_4arch9wavefront6targetE1EEEvT1_,comdat
	.protected	_ZN7rocprim17ROCPRIM_400000_NS6detail17trampoline_kernelINS0_14default_configENS1_25partition_config_selectorILNS1_17partition_subalgoE3EyNS0_10empty_typeEbEEZZNS1_14partition_implILS5_3ELb0ES3_jN6thrust23THRUST_200600_302600_NS6detail15normal_iteratorINSA_7pointerIyNSA_11hip_rocprim3tagENSA_11use_defaultESG_EEEEPS6_SJ_NS0_5tupleIJPySJ_EEENSK_IJSJ_SJ_EEES6_PlJ7is_evenIyEEEE10hipError_tPvRmT3_T4_T5_T6_T7_T9_mT8_P12ihipStream_tbDpT10_ENKUlT_T0_E_clISt17integral_constantIbLb1EES1A_EEDaS15_S16_EUlS15_E_NS1_11comp_targetILNS1_3genE0ELNS1_11target_archE4294967295ELNS1_3gpuE0ELNS1_3repE0EEENS1_30default_config_static_selectorELNS0_4arch9wavefront6targetE1EEEvT1_ ; -- Begin function _ZN7rocprim17ROCPRIM_400000_NS6detail17trampoline_kernelINS0_14default_configENS1_25partition_config_selectorILNS1_17partition_subalgoE3EyNS0_10empty_typeEbEEZZNS1_14partition_implILS5_3ELb0ES3_jN6thrust23THRUST_200600_302600_NS6detail15normal_iteratorINSA_7pointerIyNSA_11hip_rocprim3tagENSA_11use_defaultESG_EEEEPS6_SJ_NS0_5tupleIJPySJ_EEENSK_IJSJ_SJ_EEES6_PlJ7is_evenIyEEEE10hipError_tPvRmT3_T4_T5_T6_T7_T9_mT8_P12ihipStream_tbDpT10_ENKUlT_T0_E_clISt17integral_constantIbLb1EES1A_EEDaS15_S16_EUlS15_E_NS1_11comp_targetILNS1_3genE0ELNS1_11target_archE4294967295ELNS1_3gpuE0ELNS1_3repE0EEENS1_30default_config_static_selectorELNS0_4arch9wavefront6targetE1EEEvT1_
	.globl	_ZN7rocprim17ROCPRIM_400000_NS6detail17trampoline_kernelINS0_14default_configENS1_25partition_config_selectorILNS1_17partition_subalgoE3EyNS0_10empty_typeEbEEZZNS1_14partition_implILS5_3ELb0ES3_jN6thrust23THRUST_200600_302600_NS6detail15normal_iteratorINSA_7pointerIyNSA_11hip_rocprim3tagENSA_11use_defaultESG_EEEEPS6_SJ_NS0_5tupleIJPySJ_EEENSK_IJSJ_SJ_EEES6_PlJ7is_evenIyEEEE10hipError_tPvRmT3_T4_T5_T6_T7_T9_mT8_P12ihipStream_tbDpT10_ENKUlT_T0_E_clISt17integral_constantIbLb1EES1A_EEDaS15_S16_EUlS15_E_NS1_11comp_targetILNS1_3genE0ELNS1_11target_archE4294967295ELNS1_3gpuE0ELNS1_3repE0EEENS1_30default_config_static_selectorELNS0_4arch9wavefront6targetE1EEEvT1_
	.p2align	8
	.type	_ZN7rocprim17ROCPRIM_400000_NS6detail17trampoline_kernelINS0_14default_configENS1_25partition_config_selectorILNS1_17partition_subalgoE3EyNS0_10empty_typeEbEEZZNS1_14partition_implILS5_3ELb0ES3_jN6thrust23THRUST_200600_302600_NS6detail15normal_iteratorINSA_7pointerIyNSA_11hip_rocprim3tagENSA_11use_defaultESG_EEEEPS6_SJ_NS0_5tupleIJPySJ_EEENSK_IJSJ_SJ_EEES6_PlJ7is_evenIyEEEE10hipError_tPvRmT3_T4_T5_T6_T7_T9_mT8_P12ihipStream_tbDpT10_ENKUlT_T0_E_clISt17integral_constantIbLb1EES1A_EEDaS15_S16_EUlS15_E_NS1_11comp_targetILNS1_3genE0ELNS1_11target_archE4294967295ELNS1_3gpuE0ELNS1_3repE0EEENS1_30default_config_static_selectorELNS0_4arch9wavefront6targetE1EEEvT1_,@function
_ZN7rocprim17ROCPRIM_400000_NS6detail17trampoline_kernelINS0_14default_configENS1_25partition_config_selectorILNS1_17partition_subalgoE3EyNS0_10empty_typeEbEEZZNS1_14partition_implILS5_3ELb0ES3_jN6thrust23THRUST_200600_302600_NS6detail15normal_iteratorINSA_7pointerIyNSA_11hip_rocprim3tagENSA_11use_defaultESG_EEEEPS6_SJ_NS0_5tupleIJPySJ_EEENSK_IJSJ_SJ_EEES6_PlJ7is_evenIyEEEE10hipError_tPvRmT3_T4_T5_T6_T7_T9_mT8_P12ihipStream_tbDpT10_ENKUlT_T0_E_clISt17integral_constantIbLb1EES1A_EEDaS15_S16_EUlS15_E_NS1_11comp_targetILNS1_3genE0ELNS1_11target_archE4294967295ELNS1_3gpuE0ELNS1_3repE0EEENS1_30default_config_static_selectorELNS0_4arch9wavefront6targetE1EEEvT1_: ; @_ZN7rocprim17ROCPRIM_400000_NS6detail17trampoline_kernelINS0_14default_configENS1_25partition_config_selectorILNS1_17partition_subalgoE3EyNS0_10empty_typeEbEEZZNS1_14partition_implILS5_3ELb0ES3_jN6thrust23THRUST_200600_302600_NS6detail15normal_iteratorINSA_7pointerIyNSA_11hip_rocprim3tagENSA_11use_defaultESG_EEEEPS6_SJ_NS0_5tupleIJPySJ_EEENSK_IJSJ_SJ_EEES6_PlJ7is_evenIyEEEE10hipError_tPvRmT3_T4_T5_T6_T7_T9_mT8_P12ihipStream_tbDpT10_ENKUlT_T0_E_clISt17integral_constantIbLb1EES1A_EEDaS15_S16_EUlS15_E_NS1_11comp_targetILNS1_3genE0ELNS1_11target_archE4294967295ELNS1_3gpuE0ELNS1_3repE0EEENS1_30default_config_static_selectorELNS0_4arch9wavefront6targetE1EEEvT1_
; %bb.0:
	.section	.rodata,"a",@progbits
	.p2align	6, 0x0
	.amdhsa_kernel _ZN7rocprim17ROCPRIM_400000_NS6detail17trampoline_kernelINS0_14default_configENS1_25partition_config_selectorILNS1_17partition_subalgoE3EyNS0_10empty_typeEbEEZZNS1_14partition_implILS5_3ELb0ES3_jN6thrust23THRUST_200600_302600_NS6detail15normal_iteratorINSA_7pointerIyNSA_11hip_rocprim3tagENSA_11use_defaultESG_EEEEPS6_SJ_NS0_5tupleIJPySJ_EEENSK_IJSJ_SJ_EEES6_PlJ7is_evenIyEEEE10hipError_tPvRmT3_T4_T5_T6_T7_T9_mT8_P12ihipStream_tbDpT10_ENKUlT_T0_E_clISt17integral_constantIbLb1EES1A_EEDaS15_S16_EUlS15_E_NS1_11comp_targetILNS1_3genE0ELNS1_11target_archE4294967295ELNS1_3gpuE0ELNS1_3repE0EEENS1_30default_config_static_selectorELNS0_4arch9wavefront6targetE1EEEvT1_
		.amdhsa_group_segment_fixed_size 0
		.amdhsa_private_segment_fixed_size 0
		.amdhsa_kernarg_size 136
		.amdhsa_user_sgpr_count 2
		.amdhsa_user_sgpr_dispatch_ptr 0
		.amdhsa_user_sgpr_queue_ptr 0
		.amdhsa_user_sgpr_kernarg_segment_ptr 1
		.amdhsa_user_sgpr_dispatch_id 0
		.amdhsa_user_sgpr_kernarg_preload_length 0
		.amdhsa_user_sgpr_kernarg_preload_offset 0
		.amdhsa_user_sgpr_private_segment_size 0
		.amdhsa_uses_dynamic_stack 0
		.amdhsa_enable_private_segment 0
		.amdhsa_system_sgpr_workgroup_id_x 1
		.amdhsa_system_sgpr_workgroup_id_y 0
		.amdhsa_system_sgpr_workgroup_id_z 0
		.amdhsa_system_sgpr_workgroup_info 0
		.amdhsa_system_vgpr_workitem_id 0
		.amdhsa_next_free_vgpr 1
		.amdhsa_next_free_sgpr 0
		.amdhsa_accum_offset 4
		.amdhsa_reserve_vcc 0
		.amdhsa_float_round_mode_32 0
		.amdhsa_float_round_mode_16_64 0
		.amdhsa_float_denorm_mode_32 3
		.amdhsa_float_denorm_mode_16_64 3
		.amdhsa_dx10_clamp 1
		.amdhsa_ieee_mode 1
		.amdhsa_fp16_overflow 0
		.amdhsa_tg_split 0
		.amdhsa_exception_fp_ieee_invalid_op 0
		.amdhsa_exception_fp_denorm_src 0
		.amdhsa_exception_fp_ieee_div_zero 0
		.amdhsa_exception_fp_ieee_overflow 0
		.amdhsa_exception_fp_ieee_underflow 0
		.amdhsa_exception_fp_ieee_inexact 0
		.amdhsa_exception_int_div_zero 0
	.end_amdhsa_kernel
	.section	.text._ZN7rocprim17ROCPRIM_400000_NS6detail17trampoline_kernelINS0_14default_configENS1_25partition_config_selectorILNS1_17partition_subalgoE3EyNS0_10empty_typeEbEEZZNS1_14partition_implILS5_3ELb0ES3_jN6thrust23THRUST_200600_302600_NS6detail15normal_iteratorINSA_7pointerIyNSA_11hip_rocprim3tagENSA_11use_defaultESG_EEEEPS6_SJ_NS0_5tupleIJPySJ_EEENSK_IJSJ_SJ_EEES6_PlJ7is_evenIyEEEE10hipError_tPvRmT3_T4_T5_T6_T7_T9_mT8_P12ihipStream_tbDpT10_ENKUlT_T0_E_clISt17integral_constantIbLb1EES1A_EEDaS15_S16_EUlS15_E_NS1_11comp_targetILNS1_3genE0ELNS1_11target_archE4294967295ELNS1_3gpuE0ELNS1_3repE0EEENS1_30default_config_static_selectorELNS0_4arch9wavefront6targetE1EEEvT1_,"axG",@progbits,_ZN7rocprim17ROCPRIM_400000_NS6detail17trampoline_kernelINS0_14default_configENS1_25partition_config_selectorILNS1_17partition_subalgoE3EyNS0_10empty_typeEbEEZZNS1_14partition_implILS5_3ELb0ES3_jN6thrust23THRUST_200600_302600_NS6detail15normal_iteratorINSA_7pointerIyNSA_11hip_rocprim3tagENSA_11use_defaultESG_EEEEPS6_SJ_NS0_5tupleIJPySJ_EEENSK_IJSJ_SJ_EEES6_PlJ7is_evenIyEEEE10hipError_tPvRmT3_T4_T5_T6_T7_T9_mT8_P12ihipStream_tbDpT10_ENKUlT_T0_E_clISt17integral_constantIbLb1EES1A_EEDaS15_S16_EUlS15_E_NS1_11comp_targetILNS1_3genE0ELNS1_11target_archE4294967295ELNS1_3gpuE0ELNS1_3repE0EEENS1_30default_config_static_selectorELNS0_4arch9wavefront6targetE1EEEvT1_,comdat
.Lfunc_end682:
	.size	_ZN7rocprim17ROCPRIM_400000_NS6detail17trampoline_kernelINS0_14default_configENS1_25partition_config_selectorILNS1_17partition_subalgoE3EyNS0_10empty_typeEbEEZZNS1_14partition_implILS5_3ELb0ES3_jN6thrust23THRUST_200600_302600_NS6detail15normal_iteratorINSA_7pointerIyNSA_11hip_rocprim3tagENSA_11use_defaultESG_EEEEPS6_SJ_NS0_5tupleIJPySJ_EEENSK_IJSJ_SJ_EEES6_PlJ7is_evenIyEEEE10hipError_tPvRmT3_T4_T5_T6_T7_T9_mT8_P12ihipStream_tbDpT10_ENKUlT_T0_E_clISt17integral_constantIbLb1EES1A_EEDaS15_S16_EUlS15_E_NS1_11comp_targetILNS1_3genE0ELNS1_11target_archE4294967295ELNS1_3gpuE0ELNS1_3repE0EEENS1_30default_config_static_selectorELNS0_4arch9wavefront6targetE1EEEvT1_, .Lfunc_end682-_ZN7rocprim17ROCPRIM_400000_NS6detail17trampoline_kernelINS0_14default_configENS1_25partition_config_selectorILNS1_17partition_subalgoE3EyNS0_10empty_typeEbEEZZNS1_14partition_implILS5_3ELb0ES3_jN6thrust23THRUST_200600_302600_NS6detail15normal_iteratorINSA_7pointerIyNSA_11hip_rocprim3tagENSA_11use_defaultESG_EEEEPS6_SJ_NS0_5tupleIJPySJ_EEENSK_IJSJ_SJ_EEES6_PlJ7is_evenIyEEEE10hipError_tPvRmT3_T4_T5_T6_T7_T9_mT8_P12ihipStream_tbDpT10_ENKUlT_T0_E_clISt17integral_constantIbLb1EES1A_EEDaS15_S16_EUlS15_E_NS1_11comp_targetILNS1_3genE0ELNS1_11target_archE4294967295ELNS1_3gpuE0ELNS1_3repE0EEENS1_30default_config_static_selectorELNS0_4arch9wavefront6targetE1EEEvT1_
                                        ; -- End function
	.section	.AMDGPU.csdata,"",@progbits
; Kernel info:
; codeLenInByte = 0
; NumSgprs: 6
; NumVgprs: 0
; NumAgprs: 0
; TotalNumVgprs: 0
; ScratchSize: 0
; MemoryBound: 0
; FloatMode: 240
; IeeeMode: 1
; LDSByteSize: 0 bytes/workgroup (compile time only)
; SGPRBlocks: 0
; VGPRBlocks: 0
; NumSGPRsForWavesPerEU: 6
; NumVGPRsForWavesPerEU: 1
; AccumOffset: 4
; Occupancy: 8
; WaveLimiterHint : 0
; COMPUTE_PGM_RSRC2:SCRATCH_EN: 0
; COMPUTE_PGM_RSRC2:USER_SGPR: 2
; COMPUTE_PGM_RSRC2:TRAP_HANDLER: 0
; COMPUTE_PGM_RSRC2:TGID_X_EN: 1
; COMPUTE_PGM_RSRC2:TGID_Y_EN: 0
; COMPUTE_PGM_RSRC2:TGID_Z_EN: 0
; COMPUTE_PGM_RSRC2:TIDIG_COMP_CNT: 0
; COMPUTE_PGM_RSRC3_GFX90A:ACCUM_OFFSET: 0
; COMPUTE_PGM_RSRC3_GFX90A:TG_SPLIT: 0
	.section	.text._ZN7rocprim17ROCPRIM_400000_NS6detail17trampoline_kernelINS0_14default_configENS1_25partition_config_selectorILNS1_17partition_subalgoE3EyNS0_10empty_typeEbEEZZNS1_14partition_implILS5_3ELb0ES3_jN6thrust23THRUST_200600_302600_NS6detail15normal_iteratorINSA_7pointerIyNSA_11hip_rocprim3tagENSA_11use_defaultESG_EEEEPS6_SJ_NS0_5tupleIJPySJ_EEENSK_IJSJ_SJ_EEES6_PlJ7is_evenIyEEEE10hipError_tPvRmT3_T4_T5_T6_T7_T9_mT8_P12ihipStream_tbDpT10_ENKUlT_T0_E_clISt17integral_constantIbLb1EES1A_EEDaS15_S16_EUlS15_E_NS1_11comp_targetILNS1_3genE5ELNS1_11target_archE942ELNS1_3gpuE9ELNS1_3repE0EEENS1_30default_config_static_selectorELNS0_4arch9wavefront6targetE1EEEvT1_,"axG",@progbits,_ZN7rocprim17ROCPRIM_400000_NS6detail17trampoline_kernelINS0_14default_configENS1_25partition_config_selectorILNS1_17partition_subalgoE3EyNS0_10empty_typeEbEEZZNS1_14partition_implILS5_3ELb0ES3_jN6thrust23THRUST_200600_302600_NS6detail15normal_iteratorINSA_7pointerIyNSA_11hip_rocprim3tagENSA_11use_defaultESG_EEEEPS6_SJ_NS0_5tupleIJPySJ_EEENSK_IJSJ_SJ_EEES6_PlJ7is_evenIyEEEE10hipError_tPvRmT3_T4_T5_T6_T7_T9_mT8_P12ihipStream_tbDpT10_ENKUlT_T0_E_clISt17integral_constantIbLb1EES1A_EEDaS15_S16_EUlS15_E_NS1_11comp_targetILNS1_3genE5ELNS1_11target_archE942ELNS1_3gpuE9ELNS1_3repE0EEENS1_30default_config_static_selectorELNS0_4arch9wavefront6targetE1EEEvT1_,comdat
	.protected	_ZN7rocprim17ROCPRIM_400000_NS6detail17trampoline_kernelINS0_14default_configENS1_25partition_config_selectorILNS1_17partition_subalgoE3EyNS0_10empty_typeEbEEZZNS1_14partition_implILS5_3ELb0ES3_jN6thrust23THRUST_200600_302600_NS6detail15normal_iteratorINSA_7pointerIyNSA_11hip_rocprim3tagENSA_11use_defaultESG_EEEEPS6_SJ_NS0_5tupleIJPySJ_EEENSK_IJSJ_SJ_EEES6_PlJ7is_evenIyEEEE10hipError_tPvRmT3_T4_T5_T6_T7_T9_mT8_P12ihipStream_tbDpT10_ENKUlT_T0_E_clISt17integral_constantIbLb1EES1A_EEDaS15_S16_EUlS15_E_NS1_11comp_targetILNS1_3genE5ELNS1_11target_archE942ELNS1_3gpuE9ELNS1_3repE0EEENS1_30default_config_static_selectorELNS0_4arch9wavefront6targetE1EEEvT1_ ; -- Begin function _ZN7rocprim17ROCPRIM_400000_NS6detail17trampoline_kernelINS0_14default_configENS1_25partition_config_selectorILNS1_17partition_subalgoE3EyNS0_10empty_typeEbEEZZNS1_14partition_implILS5_3ELb0ES3_jN6thrust23THRUST_200600_302600_NS6detail15normal_iteratorINSA_7pointerIyNSA_11hip_rocprim3tagENSA_11use_defaultESG_EEEEPS6_SJ_NS0_5tupleIJPySJ_EEENSK_IJSJ_SJ_EEES6_PlJ7is_evenIyEEEE10hipError_tPvRmT3_T4_T5_T6_T7_T9_mT8_P12ihipStream_tbDpT10_ENKUlT_T0_E_clISt17integral_constantIbLb1EES1A_EEDaS15_S16_EUlS15_E_NS1_11comp_targetILNS1_3genE5ELNS1_11target_archE942ELNS1_3gpuE9ELNS1_3repE0EEENS1_30default_config_static_selectorELNS0_4arch9wavefront6targetE1EEEvT1_
	.globl	_ZN7rocprim17ROCPRIM_400000_NS6detail17trampoline_kernelINS0_14default_configENS1_25partition_config_selectorILNS1_17partition_subalgoE3EyNS0_10empty_typeEbEEZZNS1_14partition_implILS5_3ELb0ES3_jN6thrust23THRUST_200600_302600_NS6detail15normal_iteratorINSA_7pointerIyNSA_11hip_rocprim3tagENSA_11use_defaultESG_EEEEPS6_SJ_NS0_5tupleIJPySJ_EEENSK_IJSJ_SJ_EEES6_PlJ7is_evenIyEEEE10hipError_tPvRmT3_T4_T5_T6_T7_T9_mT8_P12ihipStream_tbDpT10_ENKUlT_T0_E_clISt17integral_constantIbLb1EES1A_EEDaS15_S16_EUlS15_E_NS1_11comp_targetILNS1_3genE5ELNS1_11target_archE942ELNS1_3gpuE9ELNS1_3repE0EEENS1_30default_config_static_selectorELNS0_4arch9wavefront6targetE1EEEvT1_
	.p2align	8
	.type	_ZN7rocprim17ROCPRIM_400000_NS6detail17trampoline_kernelINS0_14default_configENS1_25partition_config_selectorILNS1_17partition_subalgoE3EyNS0_10empty_typeEbEEZZNS1_14partition_implILS5_3ELb0ES3_jN6thrust23THRUST_200600_302600_NS6detail15normal_iteratorINSA_7pointerIyNSA_11hip_rocprim3tagENSA_11use_defaultESG_EEEEPS6_SJ_NS0_5tupleIJPySJ_EEENSK_IJSJ_SJ_EEES6_PlJ7is_evenIyEEEE10hipError_tPvRmT3_T4_T5_T6_T7_T9_mT8_P12ihipStream_tbDpT10_ENKUlT_T0_E_clISt17integral_constantIbLb1EES1A_EEDaS15_S16_EUlS15_E_NS1_11comp_targetILNS1_3genE5ELNS1_11target_archE942ELNS1_3gpuE9ELNS1_3repE0EEENS1_30default_config_static_selectorELNS0_4arch9wavefront6targetE1EEEvT1_,@function
_ZN7rocprim17ROCPRIM_400000_NS6detail17trampoline_kernelINS0_14default_configENS1_25partition_config_selectorILNS1_17partition_subalgoE3EyNS0_10empty_typeEbEEZZNS1_14partition_implILS5_3ELb0ES3_jN6thrust23THRUST_200600_302600_NS6detail15normal_iteratorINSA_7pointerIyNSA_11hip_rocprim3tagENSA_11use_defaultESG_EEEEPS6_SJ_NS0_5tupleIJPySJ_EEENSK_IJSJ_SJ_EEES6_PlJ7is_evenIyEEEE10hipError_tPvRmT3_T4_T5_T6_T7_T9_mT8_P12ihipStream_tbDpT10_ENKUlT_T0_E_clISt17integral_constantIbLb1EES1A_EEDaS15_S16_EUlS15_E_NS1_11comp_targetILNS1_3genE5ELNS1_11target_archE942ELNS1_3gpuE9ELNS1_3repE0EEENS1_30default_config_static_selectorELNS0_4arch9wavefront6targetE1EEEvT1_: ; @_ZN7rocprim17ROCPRIM_400000_NS6detail17trampoline_kernelINS0_14default_configENS1_25partition_config_selectorILNS1_17partition_subalgoE3EyNS0_10empty_typeEbEEZZNS1_14partition_implILS5_3ELb0ES3_jN6thrust23THRUST_200600_302600_NS6detail15normal_iteratorINSA_7pointerIyNSA_11hip_rocprim3tagENSA_11use_defaultESG_EEEEPS6_SJ_NS0_5tupleIJPySJ_EEENSK_IJSJ_SJ_EEES6_PlJ7is_evenIyEEEE10hipError_tPvRmT3_T4_T5_T6_T7_T9_mT8_P12ihipStream_tbDpT10_ENKUlT_T0_E_clISt17integral_constantIbLb1EES1A_EEDaS15_S16_EUlS15_E_NS1_11comp_targetILNS1_3genE5ELNS1_11target_archE942ELNS1_3gpuE9ELNS1_3repE0EEENS1_30default_config_static_selectorELNS0_4arch9wavefront6targetE1EEEvT1_
; %bb.0:
	s_load_dwordx2 s[22:23], s[0:1], 0x28
	s_load_dwordx4 s[24:27], s[0:1], 0x48
	s_load_dwordx2 s[34:35], s[0:1], 0x58
	s_load_dwordx2 s[36:37], s[0:1], 0x68
	v_cmp_eq_u32_e64 s[20:21], 0, v0
	s_and_saveexec_b64 s[2:3], s[20:21]
	s_cbranch_execz .LBB683_4
; %bb.1:
	s_mov_b64 s[6:7], exec
	v_mbcnt_lo_u32_b32 v1, s6, 0
	v_mbcnt_hi_u32_b32 v1, s7, v1
	v_cmp_eq_u32_e32 vcc, 0, v1
                                        ; implicit-def: $vgpr2
	s_and_saveexec_b64 s[4:5], vcc
	s_cbranch_execz .LBB683_3
; %bb.2:
	s_load_dwordx2 s[8:9], s[0:1], 0x78
	s_bcnt1_i32_b64 s6, s[6:7]
	v_mov_b32_e32 v2, 0
	v_mov_b32_e32 v3, s6
	s_waitcnt lgkmcnt(0)
	global_atomic_add v2, v2, v3, s[8:9] sc0
.LBB683_3:
	s_or_b64 exec, exec, s[4:5]
	s_waitcnt vmcnt(0)
	v_readfirstlane_b32 s4, v2
	v_mov_b32_e32 v2, 0
	s_nop 0
	v_add_u32_e32 v1, s4, v1
	ds_write_b32 v2, v1
.LBB683_4:
	s_or_b64 exec, exec, s[2:3]
	v_mov_b32_e32 v19, 0
	s_load_dwordx4 s[28:31], s[0:1], 0x8
	s_load_dword s2, s[0:1], 0x70
	s_waitcnt lgkmcnt(0)
	s_barrier
	ds_read_b32 v1, v19
	s_waitcnt lgkmcnt(0)
	s_barrier
	global_load_dwordx2 v[20:21], v19, s[26:27]
	s_lshl_b64 s[0:1], s[30:31], 3
	s_add_u32 s0, s28, s0
	s_addc_u32 s1, s29, s1
	s_movk_i32 s3, 0xe00
	s_add_i32 s4, s2, -1
	s_mulk_i32 s2, 0xe00
	v_mul_lo_u32 v18, v1, s3
	s_add_i32 s3, s2, s30
	s_sub_i32 s33, s34, s3
	s_addk_i32 s33, 0xe00
	s_add_u32 s2, s30, s2
	v_readfirstlane_b32 s40, v1
	s_addc_u32 s3, s31, 0
	s_cmp_eq_u32 s40, s4
	v_mov_b64_e32 v[2:3], s[34:35]
	s_cselect_b64 s[26:27], -1, 0
	s_cmp_lg_u32 s40, s4
	v_cmp_lt_u64_e32 vcc, s[2:3], v[2:3]
	s_cselect_b64 s[2:3], -1, 0
	s_or_b64 s[4:5], vcc, s[2:3]
	v_lshlrev_b64 v[2:3], 3, v[18:19]
	v_lshl_add_u64 v[24:25], s[0:1], 0, v[2:3]
	s_mov_b64 s[0:1], -1
	s_and_b64 vcc, exec, s[4:5]
	v_lshlrev_b32_e32 v22, 3, v0
	s_cbranch_vccz .LBB683_6
; %bb.5:
	v_mov_b32_e32 v23, v19
	v_lshl_add_u64 v[2:3], v[24:25], 0, v[22:23]
	v_add_co_u32_e32 v4, vcc, 0x1000, v2
	s_mov_b64 s[0:1], 0
	s_nop 0
	v_addc_co_u32_e32 v5, vcc, 0, v3, vcc
	v_add_co_u32_e32 v6, vcc, 0x2000, v2
	s_nop 1
	v_addc_co_u32_e32 v7, vcc, 0, v3, vcc
	v_add_co_u32_e32 v8, vcc, 0x3000, v2
	s_nop 1
	v_addc_co_u32_e32 v9, vcc, 0, v3, vcc
	flat_load_dwordx2 v[10:11], v[2:3]
	flat_load_dwordx2 v[12:13], v[4:5]
	;; [unrolled: 1-line block ×4, first 2 shown]
	v_add_co_u32_e32 v4, vcc, 0x4000, v2
	s_nop 1
	v_addc_co_u32_e32 v5, vcc, 0, v3, vcc
	v_add_co_u32_e32 v6, vcc, 0x5000, v2
	s_nop 1
	v_addc_co_u32_e32 v7, vcc, 0, v3, vcc
	;; [unrolled: 3-line block ×3, first 2 shown]
	flat_load_dwordx2 v[8:9], v[4:5]
	flat_load_dwordx2 v[26:27], v[6:7]
	;; [unrolled: 1-line block ×3, first 2 shown]
	s_waitcnt vmcnt(0) lgkmcnt(0)
	ds_write2st64_b64 v22, v[10:11], v[12:13] offset1:8
	ds_write2st64_b64 v22, v[14:15], v[16:17] offset0:16 offset1:24
	ds_write2st64_b64 v22, v[8:9], v[26:27] offset0:32 offset1:40
	ds_write_b64 v22, v[28:29] offset:24576
	s_waitcnt lgkmcnt(0)
	s_barrier
.LBB683_6:
	s_andn2_b64 vcc, exec, s[0:1]
	v_cmp_gt_u32_e64 s[0:1], s33, v0
	s_cbranch_vccnz .LBB683_22
; %bb.7:
                                        ; implicit-def: $vgpr2_vgpr3_vgpr4_vgpr5_vgpr6_vgpr7_vgpr8_vgpr9_vgpr10_vgpr11_vgpr12_vgpr13_vgpr14_vgpr15_vgpr16_vgpr17
	s_and_saveexec_b64 s[2:3], s[0:1]
	s_cbranch_execz .LBB683_9
; %bb.8:
	v_mov_b32_e32 v23, 0
	v_lshl_add_u64 v[2:3], v[24:25], 0, v[22:23]
	flat_load_dwordx2 v[2:3], v[2:3]
.LBB683_9:
	s_or_b64 exec, exec, s[2:3]
	v_or_b32_e32 v1, 0x200, v0
	v_cmp_gt_u32_e32 vcc, s33, v1
	s_and_saveexec_b64 s[0:1], vcc
	s_cbranch_execz .LBB683_11
; %bb.10:
	v_lshlrev_b32_e32 v4, 3, v1
	v_mov_b32_e32 v5, 0
	v_lshl_add_u64 v[4:5], v[24:25], 0, v[4:5]
	flat_load_dwordx2 v[4:5], v[4:5]
.LBB683_11:
	s_or_b64 exec, exec, s[0:1]
	v_or_b32_e32 v1, 0x400, v0
	v_cmp_gt_u32_e32 vcc, s33, v1
	s_and_saveexec_b64 s[0:1], vcc
	s_cbranch_execz .LBB683_13
; %bb.12:
	v_lshlrev_b32_e32 v6, 3, v1
	v_mov_b32_e32 v7, 0
	v_lshl_add_u64 v[6:7], v[24:25], 0, v[6:7]
	flat_load_dwordx2 v[6:7], v[6:7]
.LBB683_13:
	s_or_b64 exec, exec, s[0:1]
	v_or_b32_e32 v1, 0x600, v0
	v_cmp_gt_u32_e32 vcc, s33, v1
	s_and_saveexec_b64 s[0:1], vcc
	s_cbranch_execz .LBB683_15
; %bb.14:
	v_lshlrev_b32_e32 v8, 3, v1
	v_mov_b32_e32 v9, 0
	v_lshl_add_u64 v[8:9], v[24:25], 0, v[8:9]
	flat_load_dwordx2 v[8:9], v[8:9]
.LBB683_15:
	s_or_b64 exec, exec, s[0:1]
	v_or_b32_e32 v1, 0x800, v0
	v_cmp_gt_u32_e32 vcc, s33, v1
	s_and_saveexec_b64 s[0:1], vcc
	s_cbranch_execz .LBB683_17
; %bb.16:
	v_lshlrev_b32_e32 v10, 3, v1
	v_mov_b32_e32 v11, 0
	v_lshl_add_u64 v[10:11], v[24:25], 0, v[10:11]
	flat_load_dwordx2 v[10:11], v[10:11]
.LBB683_17:
	s_or_b64 exec, exec, s[0:1]
	v_or_b32_e32 v1, 0xa00, v0
	v_cmp_gt_u32_e32 vcc, s33, v1
	s_and_saveexec_b64 s[0:1], vcc
	s_cbranch_execz .LBB683_19
; %bb.18:
	v_lshlrev_b32_e32 v12, 3, v1
	v_mov_b32_e32 v13, 0
	v_lshl_add_u64 v[12:13], v[24:25], 0, v[12:13]
	flat_load_dwordx2 v[12:13], v[12:13]
.LBB683_19:
	s_or_b64 exec, exec, s[0:1]
	v_or_b32_e32 v1, 0xc00, v0
	v_cmp_gt_u32_e32 vcc, s33, v1
	s_and_saveexec_b64 s[0:1], vcc
	s_cbranch_execz .LBB683_21
; %bb.20:
	v_lshlrev_b32_e32 v14, 3, v1
	v_mov_b32_e32 v15, 0
	v_lshl_add_u64 v[14:15], v[24:25], 0, v[14:15]
	flat_load_dwordx2 v[14:15], v[14:15]
.LBB683_21:
	s_or_b64 exec, exec, s[0:1]
	s_waitcnt vmcnt(0) lgkmcnt(0)
	ds_write2st64_b64 v22, v[2:3], v[4:5] offset1:8
	ds_write2st64_b64 v22, v[6:7], v[8:9] offset0:16 offset1:24
	ds_write2st64_b64 v22, v[10:11], v[12:13] offset0:32 offset1:40
	ds_write_b64 v22, v[14:15] offset:24576
	s_waitcnt lgkmcnt(0)
	s_barrier
.LBB683_22:
	v_mul_u32_u24_e32 v1, 7, v0
	v_lshlrev_b32_e32 v37, 3, v1
	ds_read2_b64 v[10:13], v37 offset1:1
	ds_read2_b64 v[6:9], v37 offset0:2 offset1:3
	ds_read2_b64 v[2:5], v37 offset0:4 offset1:5
	ds_read_b64 v[14:15], v37 offset:48
	v_cndmask_b32_e64 v16, 0, 1, s[4:5]
	v_cmp_ne_u32_e64 s[2:3], 1, v16
	s_andn2_b64 vcc, exec, s[4:5]
	s_waitcnt lgkmcnt(3)
	v_xor_b32_e32 v28, -1, v10
	v_xor_b32_e32 v27, -1, v12
	s_waitcnt lgkmcnt(2)
	v_xor_b32_e32 v26, -1, v6
	v_xor_b32_e32 v25, -1, v8
	;; [unrolled: 3-line block ×3, first 2 shown]
	s_waitcnt lgkmcnt(0)
	v_xor_b32_e32 v16, -1, v14
	s_barrier
	s_cbranch_vccnz .LBB683_24
; %bb.23:
	v_mov_b32_e32 v23, 1
	v_and_b32_e32 v29, 1, v28
	v_and_b32_sdwa v30, v27, v23 dst_sel:BYTE_1 dst_unused:UNUSED_PAD src0_sel:DWORD src1_sel:DWORD
	v_and_b32_e32 v31, 1, v26
	v_and_b32_sdwa v34, v25, v23 dst_sel:BYTE_1 dst_unused:UNUSED_PAD src0_sel:DWORD src1_sel:DWORD
	v_or_b32_e32 v29, v29, v30
	v_or_b32_sdwa v30, v31, v34 dst_sel:WORD_1 dst_unused:UNUSED_PAD src0_sel:DWORD src1_sel:DWORD
	v_and_b32_e32 v33, 1, v24
	v_and_b32_e32 v32, 1, v17
	;; [unrolled: 1-line block ×3, first 2 shown]
	v_or_b32_sdwa v34, v29, v30 dst_sel:DWORD dst_unused:UNUSED_PAD src0_sel:WORD_0 src1_sel:DWORD
	s_cbranch_execz .LBB683_25
	s_branch .LBB683_26
.LBB683_24:
                                        ; implicit-def: $vgpr23
                                        ; implicit-def: $vgpr32
                                        ; implicit-def: $vgpr33
                                        ; implicit-def: $vgpr34
.LBB683_25:
	v_add_u32_e32 v23, 1, v1
	v_cmp_gt_u32_e32 vcc, s33, v1
	v_add_u32_e32 v29, 2, v1
	v_add_u32_e32 v30, 3, v1
	v_cndmask_b32_e64 v33, 0, 1, vcc
	v_cmp_gt_u32_e32 vcc, s33, v23
	v_add_u32_e32 v31, 4, v1
	v_add_u32_e32 v32, 5, v1
	v_cndmask_b32_e64 v23, 0, 1, vcc
	v_cmp_gt_u32_e32 vcc, s33, v29
	v_and_b32_sdwa v27, v23, v27 dst_sel:BYTE_1 dst_unused:UNUSED_PAD src0_sel:DWORD src1_sel:DWORD
	v_add_u32_e32 v34, 6, v1
	v_cndmask_b32_e64 v23, 0, 1, vcc
	v_cmp_gt_u32_e32 vcc, s33, v30
	v_and_b32_e32 v26, v23, v26
	v_and_b32_e32 v28, v33, v28
	v_cndmask_b32_e64 v23, 0, 1, vcc
	v_cmp_gt_u32_e32 vcc, s33, v31
	v_and_b32_sdwa v25, v23, v25 dst_sel:BYTE_1 dst_unused:UNUSED_PAD src0_sel:DWORD src1_sel:DWORD
	s_nop 0
	v_cndmask_b32_e64 v23, 0, 1, vcc
	v_cmp_gt_u32_e32 vcc, s33, v32
	v_and_b32_e32 v33, v23, v24
	s_nop 0
	v_cndmask_b32_e64 v23, 0, 1, vcc
	v_cmp_gt_u32_e32 vcc, s33, v34
	v_and_b32_e32 v32, v23, v17
	s_nop 0
	v_cndmask_b32_e64 v17, 0, 1, vcc
	v_and_b32_e32 v23, v17, v16
	v_or_b32_e32 v16, v28, v27
	v_or_b32_sdwa v17, v26, v25 dst_sel:WORD_1 dst_unused:UNUSED_PAD src0_sel:DWORD src1_sel:DWORD
	s_nop 0
	v_or_b32_sdwa v34, v16, v17 dst_sel:DWORD dst_unused:UNUSED_PAD src0_sel:WORD_0 src1_sel:DWORD
.LBB683_26:
	v_and_b32_e32 v38, 0xff, v34
	v_bfe_u32 v39, v34, 8, 8
	v_bfe_u32 v40, v34, 16, 8
	v_lshrrev_b32_e32 v35, 24, v34
	v_and_b32_e32 v41, 0xff, v33
	v_add3_u32 v17, v39, v38, v40
	v_and_b32_e32 v42, 0xff, v32
	v_and_b32_e32 v16, 0xff, v23
	v_add3_u32 v17, v17, v35, v41
	v_add3_u32 v45, v17, v42, v16
	v_mbcnt_lo_u32_b32 v16, -1, 0
	v_mbcnt_hi_u32_b32 v43, -1, v16
	v_and_b32_e32 v16, 15, v43
	v_cmp_eq_u32_e64 s[16:17], 0, v16
	v_cmp_lt_u32_e64 s[14:15], 1, v16
	v_cmp_lt_u32_e64 s[12:13], 3, v16
	;; [unrolled: 1-line block ×3, first 2 shown]
	v_and_b32_e32 v16, 16, v43
	v_cmp_eq_u32_e64 s[8:9], 0, v16
	v_or_b32_e32 v16, 63, v0
	s_cmp_lg_u32 s40, 0
	v_cmp_lt_u32_e64 s[4:5], 31, v43
	v_lshrrev_b32_e32 v44, 6, v0
	v_cmp_eq_u32_e64 s[6:7], v16, v0
	s_cbranch_scc0 .LBB683_57
; %bb.27:
	v_mov_b32_dpp v16, v45 row_shr:1 row_mask:0xf bank_mask:0xf
	v_cndmask_b32_e64 v16, v16, 0, s[16:17]
	v_add_u32_e32 v16, v16, v45
	s_nop 1
	v_mov_b32_dpp v17, v16 row_shr:2 row_mask:0xf bank_mask:0xf
	v_cndmask_b32_e64 v17, 0, v17, s[14:15]
	v_add_u32_e32 v16, v16, v17
	s_nop 1
	v_mov_b32_dpp v17, v16 row_shr:4 row_mask:0xf bank_mask:0xf
	v_cndmask_b32_e64 v17, 0, v17, s[12:13]
	v_add_u32_e32 v16, v16, v17
	s_nop 1
	v_mov_b32_dpp v17, v16 row_shr:8 row_mask:0xf bank_mask:0xf
	v_cndmask_b32_e64 v17, 0, v17, s[10:11]
	v_add_u32_e32 v16, v16, v17
	s_nop 1
	v_mov_b32_dpp v17, v16 row_bcast:15 row_mask:0xf bank_mask:0xf
	v_cndmask_b32_e64 v17, v17, 0, s[8:9]
	v_add_u32_e32 v16, v16, v17
	s_nop 1
	v_mov_b32_dpp v17, v16 row_bcast:31 row_mask:0xf bank_mask:0xf
	v_cndmask_b32_e64 v17, 0, v17, s[4:5]
	v_add_u32_e32 v16, v16, v17
	s_and_saveexec_b64 s[0:1], s[6:7]
	s_cbranch_execz .LBB683_29
; %bb.28:
	v_lshlrev_b32_e32 v17, 2, v44
	ds_write_b32 v17, v16
.LBB683_29:
	s_or_b64 exec, exec, s[0:1]
	v_cmp_gt_u32_e32 vcc, 8, v0
	s_waitcnt lgkmcnt(0)
	s_barrier
	s_and_saveexec_b64 s[0:1], vcc
	s_cbranch_execz .LBB683_31
; %bb.30:
	v_lshlrev_b32_e32 v17, 2, v0
	ds_read_b32 v24, v17
	v_and_b32_e32 v25, 7, v43
	v_cmp_ne_u32_e32 vcc, 0, v25
	s_waitcnt lgkmcnt(0)
	v_mov_b32_dpp v26, v24 row_shr:1 row_mask:0xf bank_mask:0xf
	v_cndmask_b32_e32 v26, 0, v26, vcc
	v_add_u32_e32 v24, v26, v24
	v_cmp_lt_u32_e32 vcc, 1, v25
	s_nop 0
	v_mov_b32_dpp v26, v24 row_shr:2 row_mask:0xf bank_mask:0xf
	v_cndmask_b32_e32 v26, 0, v26, vcc
	v_add_u32_e32 v24, v24, v26
	v_cmp_lt_u32_e32 vcc, 3, v25
	s_nop 0
	v_mov_b32_dpp v26, v24 row_shr:4 row_mask:0xf bank_mask:0xf
	v_cndmask_b32_e32 v25, 0, v26, vcc
	v_add_u32_e32 v24, v24, v25
	ds_write_b32 v17, v24
.LBB683_31:
	s_or_b64 exec, exec, s[0:1]
	v_cmp_gt_u32_e32 vcc, 64, v0
	v_cmp_lt_u32_e64 s[0:1], 63, v0
	s_waitcnt lgkmcnt(0)
	s_barrier
	s_waitcnt lgkmcnt(0)
                                        ; implicit-def: $vgpr36
	s_and_saveexec_b64 s[18:19], s[0:1]
	s_cbranch_execz .LBB683_33
; %bb.32:
	v_lshl_add_u32 v17, v44, 2, -4
	ds_read_b32 v36, v17
	s_waitcnt lgkmcnt(0)
	v_add_u32_e32 v16, v36, v16
.LBB683_33:
	s_or_b64 exec, exec, s[18:19]
	v_add_u32_e32 v17, -1, v43
	v_and_b32_e32 v24, 64, v43
	v_cmp_lt_i32_e64 s[0:1], v17, v24
	v_cmp_eq_u32_e64 s[18:19], 0, v43
	s_nop 0
	v_cndmask_b32_e64 v17, v17, v43, s[0:1]
	v_lshlrev_b32_e32 v17, 2, v17
	ds_bpermute_b32 v46, v17, v16
	s_and_saveexec_b64 s[0:1], vcc
	s_cbranch_execz .LBB683_56
; %bb.34:
	v_mov_b32_e32 v31, 0
	ds_read_b32 v16, v31 offset:28
	s_and_saveexec_b64 s[28:29], s[18:19]
	s_cbranch_execz .LBB683_36
; %bb.35:
	s_add_i32 s38, s40, 64
	s_mov_b32 s39, 0
	s_lshl_b64 s[38:39], s[38:39], 3
	s_add_u32 s38, s36, s38
	v_mov_b32_e32 v17, 1
	s_addc_u32 s39, s37, s39
	s_waitcnt lgkmcnt(0)
	global_store_dwordx2 v31, v[16:17], s[38:39] sc1
.LBB683_36:
	s_or_b64 exec, exec, s[28:29]
	v_xad_u32 v24, v43, -1, s40
	v_add_u32_e32 v30, 64, v24
	v_lshl_add_u64 v[26:27], v[30:31], 3, s[36:37]
	global_load_dwordx2 v[28:29], v[26:27], off sc1
	s_waitcnt vmcnt(0)
	v_cmp_eq_u16_sdwa s[38:39], v29, v31 src0_sel:BYTE_0 src1_sel:DWORD
	s_and_saveexec_b64 s[28:29], s[38:39]
	s_cbranch_execz .LBB683_42
; %bb.37:
	s_mov_b32 s41, 1
	s_mov_b64 s[38:39], 0
	v_mov_b32_e32 v17, 0
.LBB683_38:                             ; =>This Loop Header: Depth=1
                                        ;     Child Loop BB683_39 Depth 2
	s_max_u32 s42, s41, 1
.LBB683_39:                             ;   Parent Loop BB683_38 Depth=1
                                        ; =>  This Inner Loop Header: Depth=2
	s_add_i32 s42, s42, -1
	s_cmp_eq_u32 s42, 0
	s_sleep 1
	s_cbranch_scc0 .LBB683_39
; %bb.40:                               ;   in Loop: Header=BB683_38 Depth=1
	global_load_dwordx2 v[28:29], v[26:27], off sc1
	s_cmp_lt_u32 s41, 32
	s_cselect_b64 s[42:43], -1, 0
	s_cmp_lg_u64 s[42:43], 0
	s_addc_u32 s41, s41, 0
	s_waitcnt vmcnt(0)
	v_cmp_ne_u16_sdwa s[42:43], v29, v17 src0_sel:BYTE_0 src1_sel:DWORD
	s_or_b64 s[38:39], s[42:43], s[38:39]
	s_andn2_b64 exec, exec, s[38:39]
	s_cbranch_execnz .LBB683_38
; %bb.41:
	s_or_b64 exec, exec, s[38:39]
.LBB683_42:
	s_or_b64 exec, exec, s[28:29]
	v_and_b32_e32 v48, 63, v43
	v_mov_b32_e32 v47, 2
	v_cmp_ne_u32_e32 vcc, 63, v48
	v_cmp_eq_u16_sdwa s[28:29], v29, v47 src0_sel:BYTE_0 src1_sel:DWORD
	v_lshlrev_b64 v[26:27], v43, -1
	v_addc_co_u32_e32 v30, vcc, 0, v43, vcc
	v_and_b32_e32 v17, s29, v27
	v_lshlrev_b32_e32 v49, 2, v30
	v_or_b32_e32 v17, 0x80000000, v17
	ds_bpermute_b32 v30, v49, v28
	v_and_b32_e32 v25, s28, v26
	v_ffbl_b32_e32 v17, v17
	v_add_u32_e32 v17, 32, v17
	v_ffbl_b32_e32 v25, v25
	v_min_u32_e32 v17, v25, v17
	v_cmp_lt_u32_e32 vcc, v48, v17
	v_add_u32_e32 v51, 2, v48
	v_add_u32_e32 v53, 4, v48
	s_waitcnt lgkmcnt(0)
	v_cndmask_b32_e32 v25, 0, v30, vcc
	v_cmp_gt_u32_e32 vcc, 62, v48
	v_add_u32_e32 v25, v25, v28
	v_add_u32_e32 v55, 8, v48
	v_cndmask_b32_e64 v28, 0, 1, vcc
	v_lshlrev_b32_e32 v28, 1, v28
	v_add_lshl_u32 v50, v28, v43, 2
	ds_bpermute_b32 v28, v50, v25
	v_cmp_le_u32_e32 vcc, v51, v17
	v_add_u32_e32 v57, 16, v48
	v_add_u32_e32 v59, 32, v48
	s_waitcnt lgkmcnt(0)
	v_cndmask_b32_e32 v28, 0, v28, vcc
	v_cmp_gt_u32_e32 vcc, 60, v48
	v_add_u32_e32 v25, v25, v28
	s_nop 0
	v_cndmask_b32_e64 v28, 0, 1, vcc
	v_lshlrev_b32_e32 v28, 2, v28
	v_add_lshl_u32 v52, v28, v43, 2
	ds_bpermute_b32 v28, v52, v25
	v_cmp_le_u32_e32 vcc, v53, v17
	s_waitcnt lgkmcnt(0)
	s_nop 0
	v_cndmask_b32_e32 v28, 0, v28, vcc
	v_cmp_gt_u32_e32 vcc, 56, v48
	v_add_u32_e32 v25, v25, v28
	s_nop 0
	v_cndmask_b32_e64 v28, 0, 1, vcc
	v_lshlrev_b32_e32 v28, 3, v28
	v_add_lshl_u32 v54, v28, v43, 2
	ds_bpermute_b32 v28, v54, v25
	v_cmp_le_u32_e32 vcc, v55, v17
	s_waitcnt lgkmcnt(0)
	s_nop 0
	;; [unrolled: 11-line block ×4, first 2 shown]
	v_cndmask_b32_e32 v17, 0, v28, vcc
	v_add_u32_e32 v28, v25, v17
	v_mov_b32_e32 v25, 0
	s_branch .LBB683_44
.LBB683_43:                             ;   in Loop: Header=BB683_44 Depth=1
	s_or_b64 exec, exec, s[28:29]
	v_cmp_eq_u16_sdwa s[28:29], v29, v47 src0_sel:BYTE_0 src1_sel:DWORD
	ds_bpermute_b32 v60, v49, v28
	v_subrev_u32_e32 v24, 64, v24
	v_and_b32_e32 v30, s29, v27
	v_or_b32_e32 v30, 0x80000000, v30
	v_and_b32_e32 v31, s28, v26
	v_ffbl_b32_e32 v30, v30
	v_add_u32_e32 v30, 32, v30
	v_ffbl_b32_e32 v31, v31
	v_min_u32_e32 v30, v31, v30
	v_cmp_lt_u32_e32 vcc, v48, v30
	s_waitcnt lgkmcnt(0)
	s_nop 0
	v_cndmask_b32_e32 v31, 0, v60, vcc
	v_add_u32_e32 v28, v31, v28
	ds_bpermute_b32 v31, v50, v28
	v_cmp_le_u32_e32 vcc, v51, v30
	s_waitcnt lgkmcnt(0)
	s_nop 0
	v_cndmask_b32_e32 v31, 0, v31, vcc
	v_add_u32_e32 v28, v28, v31
	ds_bpermute_b32 v31, v52, v28
	v_cmp_le_u32_e32 vcc, v53, v30
	;; [unrolled: 6-line block ×5, first 2 shown]
	s_waitcnt lgkmcnt(0)
	s_nop 0
	v_cndmask_b32_e32 v30, 0, v31, vcc
	v_add3_u32 v28, v30, v17, v28
.LBB683_44:                             ; =>This Loop Header: Depth=1
                                        ;     Child Loop BB683_47 Depth 2
                                        ;       Child Loop BB683_48 Depth 3
	v_cmp_ne_u16_sdwa s[28:29], v29, v47 src0_sel:BYTE_0 src1_sel:DWORD
	s_nop 1
	v_cndmask_b32_e64 v17, 0, 1, s[28:29]
	;;#ASMSTART
	;;#ASMEND
	s_nop 0
	v_cmp_ne_u32_e32 vcc, 0, v17
	s_cmp_lg_u64 vcc, exec
	v_mov_b32_e32 v17, v28
	s_cbranch_scc1 .LBB683_51
; %bb.45:                               ;   in Loop: Header=BB683_44 Depth=1
	v_lshl_add_u64 v[30:31], v[24:25], 3, s[36:37]
	global_load_dwordx2 v[28:29], v[30:31], off sc1
	s_waitcnt vmcnt(0)
	v_cmp_eq_u16_sdwa s[38:39], v29, v25 src0_sel:BYTE_0 src1_sel:DWORD
	s_and_saveexec_b64 s[28:29], s[38:39]
	s_cbranch_execz .LBB683_43
; %bb.46:                               ;   in Loop: Header=BB683_44 Depth=1
	s_mov_b32 s41, 1
	s_mov_b64 s[38:39], 0
.LBB683_47:                             ;   Parent Loop BB683_44 Depth=1
                                        ; =>  This Loop Header: Depth=2
                                        ;       Child Loop BB683_48 Depth 3
	s_max_u32 s42, s41, 1
.LBB683_48:                             ;   Parent Loop BB683_44 Depth=1
                                        ;     Parent Loop BB683_47 Depth=2
                                        ; =>    This Inner Loop Header: Depth=3
	s_add_i32 s42, s42, -1
	s_cmp_eq_u32 s42, 0
	s_sleep 1
	s_cbranch_scc0 .LBB683_48
; %bb.49:                               ;   in Loop: Header=BB683_47 Depth=2
	global_load_dwordx2 v[28:29], v[30:31], off sc1
	s_cmp_lt_u32 s41, 32
	s_cselect_b64 s[42:43], -1, 0
	s_cmp_lg_u64 s[42:43], 0
	s_addc_u32 s41, s41, 0
	s_waitcnt vmcnt(0)
	v_cmp_ne_u16_sdwa s[42:43], v29, v25 src0_sel:BYTE_0 src1_sel:DWORD
	s_or_b64 s[38:39], s[42:43], s[38:39]
	s_andn2_b64 exec, exec, s[38:39]
	s_cbranch_execnz .LBB683_47
; %bb.50:                               ;   in Loop: Header=BB683_44 Depth=1
	s_or_b64 exec, exec, s[38:39]
	s_branch .LBB683_43
.LBB683_51:                             ;   in Loop: Header=BB683_44 Depth=1
                                        ; implicit-def: $vgpr28
                                        ; implicit-def: $vgpr29
	s_cbranch_execz .LBB683_44
; %bb.52:
	s_and_saveexec_b64 s[28:29], s[18:19]
	s_cbranch_execz .LBB683_54
; %bb.53:
	s_add_i32 s38, s40, 64
	s_mov_b32 s39, 0
	s_lshl_b64 s[38:39], s[38:39], 3
	s_add_u32 s38, s36, s38
	v_add_u32_e32 v24, v17, v16
	v_mov_b32_e32 v25, 2
	s_addc_u32 s39, s37, s39
	v_mov_b32_e32 v26, 0
	global_store_dwordx2 v26, v[24:25], s[38:39] sc1
	ds_write_b64 v26, v[16:17] offset:28672
.LBB683_54:
	s_or_b64 exec, exec, s[28:29]
	s_and_b64 exec, exec, s[20:21]
	s_cbranch_execz .LBB683_56
; %bb.55:
	v_mov_b32_e32 v16, 0
	ds_write_b32 v16, v17 offset:28
.LBB683_56:
	s_or_b64 exec, exec, s[0:1]
	v_mov_b32_e32 v16, 0
	s_waitcnt lgkmcnt(0)
	s_barrier
	ds_read_b32 v17, v16 offset:28
	v_cndmask_b32_e64 v24, v46, v36, s[18:19]
	v_cndmask_b32_e64 v24, v24, 0, s[20:21]
	s_waitcnt lgkmcnt(0)
	s_barrier
	v_add_u32_e32 v30, v17, v24
	v_add_u32_e32 v29, v30, v38
	ds_read_b64 v[16:17], v16 offset:28672
	v_add_u32_e32 v28, v29, v39
	v_add_u32_e32 v27, v28, v40
	;; [unrolled: 1-line block ×5, first 2 shown]
	s_waitcnt lgkmcnt(0)
	v_mov_b32_e32 v36, v17
	s_branch .LBB683_67
.LBB683_57:
                                        ; implicit-def: $vgpr36
                                        ; implicit-def: $vgpr16
                                        ; implicit-def: $vgpr24
                                        ; implicit-def: $vgpr25
                                        ; implicit-def: $vgpr26
                                        ; implicit-def: $vgpr27
                                        ; implicit-def: $vgpr28
                                        ; implicit-def: $vgpr29
                                        ; implicit-def: $vgpr30
	s_cbranch_execz .LBB683_67
; %bb.58:
	s_nop 0
	v_mov_b32_dpp v16, v45 row_shr:1 row_mask:0xf bank_mask:0xf
	v_cndmask_b32_e64 v16, v16, 0, s[16:17]
	v_add_u32_e32 v16, v16, v45
	s_nop 1
	v_mov_b32_dpp v17, v16 row_shr:2 row_mask:0xf bank_mask:0xf
	v_cndmask_b32_e64 v17, 0, v17, s[14:15]
	v_add_u32_e32 v16, v16, v17
	;; [unrolled: 4-line block ×4, first 2 shown]
	s_nop 1
	v_mov_b32_dpp v17, v16 row_bcast:15 row_mask:0xf bank_mask:0xf
	v_cndmask_b32_e64 v17, v17, 0, s[8:9]
	v_add_u32_e32 v16, v16, v17
	s_nop 1
	v_mov_b32_dpp v17, v16 row_bcast:31 row_mask:0xf bank_mask:0xf
	v_cndmask_b32_e64 v17, 0, v17, s[4:5]
	v_add_u32_e32 v16, v16, v17
	s_and_saveexec_b64 s[0:1], s[6:7]
	s_cbranch_execz .LBB683_60
; %bb.59:
	v_lshlrev_b32_e32 v17, 2, v44
	ds_write_b32 v17, v16
.LBB683_60:
	s_or_b64 exec, exec, s[0:1]
	v_cmp_gt_u32_e32 vcc, 8, v0
	s_waitcnt lgkmcnt(0)
	s_barrier
	s_and_saveexec_b64 s[0:1], vcc
	s_cbranch_execz .LBB683_62
; %bb.61:
	s_movk_i32 s4, 0xffcc
	v_mad_i32_i24 v17, v0, s4, v37
	ds_read_b32 v24, v17
	v_and_b32_e32 v25, 7, v43
	v_cmp_ne_u32_e32 vcc, 0, v25
	s_waitcnt lgkmcnt(0)
	v_mov_b32_dpp v26, v24 row_shr:1 row_mask:0xf bank_mask:0xf
	v_cndmask_b32_e32 v26, 0, v26, vcc
	v_add_u32_e32 v24, v26, v24
	v_cmp_lt_u32_e32 vcc, 1, v25
	s_nop 0
	v_mov_b32_dpp v26, v24 row_shr:2 row_mask:0xf bank_mask:0xf
	v_cndmask_b32_e32 v26, 0, v26, vcc
	v_add_u32_e32 v24, v24, v26
	v_cmp_lt_u32_e32 vcc, 3, v25
	s_nop 0
	v_mov_b32_dpp v26, v24 row_shr:4 row_mask:0xf bank_mask:0xf
	v_cndmask_b32_e32 v25, 0, v26, vcc
	v_add_u32_e32 v24, v24, v25
	ds_write_b32 v17, v24
.LBB683_62:
	s_or_b64 exec, exec, s[0:1]
	v_cmp_lt_u32_e32 vcc, 63, v0
	v_mov_b32_e32 v17, 0
	v_mov_b32_e32 v24, 0
	s_waitcnt lgkmcnt(0)
	s_barrier
	s_and_saveexec_b64 s[0:1], vcc
	s_cbranch_execz .LBB683_64
; %bb.63:
	v_lshl_add_u32 v24, v44, 2, -4
	ds_read_b32 v24, v24
.LBB683_64:
	s_or_b64 exec, exec, s[0:1]
	v_add_u32_e32 v25, -1, v43
	v_and_b32_e32 v26, 64, v43
	v_cmp_lt_i32_e32 vcc, v25, v26
	s_waitcnt lgkmcnt(0)
	v_add_u32_e32 v16, v24, v16
	v_cndmask_b32_e32 v25, v25, v43, vcc
	v_lshlrev_b32_e32 v25, 2, v25
	ds_bpermute_b32 v25, v25, v16
	ds_read_b32 v16, v17 offset:28
	s_and_saveexec_b64 s[0:1], s[20:21]
	s_cbranch_execz .LBB683_66
; %bb.65:
	v_mov_b32_e32 v26, 0
	v_mov_b32_e32 v17, 2
	s_waitcnt lgkmcnt(0)
	global_store_dwordx2 v26, v[16:17], s[36:37] offset:512 sc1
.LBB683_66:
	s_or_b64 exec, exec, s[0:1]
	v_cmp_eq_u32_e32 vcc, 0, v43
	v_mov_b32_e32 v36, 0
	s_waitcnt lgkmcnt(0)
	v_cndmask_b32_e32 v17, v25, v24, vcc
	v_cndmask_b32_e64 v30, v17, 0, s[20:21]
	v_add_u32_e32 v29, v30, v38
	v_add_u32_e32 v28, v29, v39
	;; [unrolled: 1-line block ×6, first 2 shown]
	s_barrier
.LBB683_67:
	v_add_u32_e32 v1, v16, v1
	v_sub_u32_e32 v30, v30, v36
	v_and_b32_e32 v37, 1, v34
	v_sub_u32_e32 v31, v1, v30
	v_cmp_eq_u32_e32 vcc, 1, v37
	v_lshrrev_b32_e32 v17, 8, v34
	v_and_b32_e32 v17, 1, v17
	v_cndmask_b32_e32 v30, v31, v30, vcc
	v_lshlrev_b32_e32 v30, 3, v30
	ds_write_b64 v30, v[10:11]
	v_sub_u32_e32 v10, v29, v36
	v_sub_u32_e32 v11, v1, v10
	v_add_u32_e32 v11, 1, v11
	v_cmp_eq_u32_e32 vcc, 1, v17
	v_lshl_add_u64 v[18:19], s[30:31], 0, v[18:19]
	v_or_b32_e32 v30, 0x600, v0
	v_cndmask_b32_e32 v10, v11, v10, vcc
	v_lshlrev_b32_e32 v10, 3, v10
	ds_write_b64 v10, v[12:13]
	v_sub_u32_e32 v10, v28, v36
	v_mov_b32_e32 v12, 1
	v_sub_u32_e32 v11, v1, v10
	v_and_b32_sdwa v12, v12, v34 dst_sel:DWORD dst_unused:UNUSED_PAD src0_sel:DWORD src1_sel:WORD_1
	v_add_u32_e32 v11, 2, v11
	v_cmp_eq_u32_e32 vcc, 1, v12
	v_or_b32_e32 v34, 0x200, v0
	v_or_b32_e32 v28, 0x800, v0
	v_cndmask_b32_e32 v10, v11, v10, vcc
	v_lshlrev_b32_e32 v10, 3, v10
	ds_write_b64 v10, v[6:7]
	v_sub_u32_e32 v6, v27, v36
	v_sub_u32_e32 v7, v1, v6
	v_and_b32_e32 v10, 1, v35
	v_add_u32_e32 v7, 3, v7
	v_cmp_eq_u32_e32 vcc, 1, v10
	s_nop 1
	v_cndmask_b32_e32 v6, v7, v6, vcc
	v_lshlrev_b32_e32 v6, 3, v6
	ds_write_b64 v6, v[8:9]
	v_sub_u32_e32 v6, v26, v36
	v_sub_u32_e32 v7, v1, v6
	v_and_b32_e32 v8, 1, v33
	v_add_u32_e32 v7, 4, v7
	v_cmp_eq_u32_e32 vcc, 1, v8
	v_or_b32_e32 v26, 0xa00, v0
	s_nop 0
	v_cndmask_b32_e32 v6, v7, v6, vcc
	v_lshlrev_b32_e32 v6, 3, v6
	ds_write_b64 v6, v[2:3]
	v_sub_u32_e32 v2, v25, v36
	v_sub_u32_e32 v3, v1, v2
	v_and_b32_e32 v6, 1, v32
	v_add_u32_e32 v3, 5, v3
	v_cmp_eq_u32_e32 vcc, 1, v6
	v_or_b32_e32 v32, 0x400, v0
	;; [unrolled: 10-line block ×3, first 2 shown]
	s_nop 0
	v_cndmask_b32_e32 v1, v1, v2, vcc
	v_lshlrev_b32_e32 v1, 3, v1
	ds_write_b64 v1, v[14:15]
	v_mov_b32_e32 v1, 0
	s_waitcnt lgkmcnt(0)
	s_barrier
	ds_read2st64_b64 v[10:13], v22 offset1:8
	ds_read2st64_b64 v[6:9], v22 offset0:16 offset1:24
	ds_read2st64_b64 v[2:5], v22 offset0:32 offset1:40
	ds_read_b64 v[22:23], v22 offset:24576
	v_mov_b32_e32 v37, v1
	s_waitcnt vmcnt(0)
	v_lshl_add_u64 v[14:15], v[20:21], 0, v[36:37]
	v_mov_b32_e32 v20, s35
	v_sub_co_u32_e32 v18, vcc, s34, v18
	v_mov_b32_e32 v17, v1
	s_nop 0
	v_subb_co_u32_e32 v19, vcc, v20, v19, vcc
	v_lshl_add_u64 v[18:19], v[18:19], 0, v[16:17]
	v_mov_b32_e32 v35, v1
	v_mov_b32_e32 v33, v1
	;; [unrolled: 1-line block ×6, first 2 shown]
	s_and_b64 vcc, exec, s[2:3]
	v_lshl_add_u64 v[18:19], v[18:19], 0, v[14:15]
	s_cbranch_vccnz .LBB683_100
; %bb.68:
	v_cmp_ge_u32_e32 vcc, v0, v16
                                        ; implicit-def: $vgpr20_vgpr21
	s_and_saveexec_b64 s[0:1], vcc
	s_xor_b64 s[0:1], exec, s[0:1]
; %bb.69:
	v_not_b32_e32 v20, v0
	v_ashrrev_i32_e32 v21, 31, v20
	v_lshl_add_u64 v[20:21], v[18:19], 0, v[20:21]
; %bb.70:
	s_andn2_saveexec_b64 s[0:1], s[0:1]
; %bb.71:
	v_lshl_add_u64 v[20:21], v[14:15], 0, v[0:1]
; %bb.72:
	s_or_b64 exec, exec, s[0:1]
	v_lshl_add_u64 v[20:21], v[20:21], 3, s[22:23]
	v_cmp_ge_u32_e32 vcc, v34, v16
	s_waitcnt lgkmcnt(3)
	global_store_dwordx2 v[20:21], v[10:11], off
                                        ; implicit-def: $vgpr20_vgpr21
	s_and_saveexec_b64 s[0:1], vcc
	s_xor_b64 s[0:1], exec, s[0:1]
; %bb.73:
	v_xor_b32_e32 v20, 0xfffffdff, v0
	v_ashrrev_i32_e32 v21, 31, v20
	v_lshl_add_u64 v[20:21], v[18:19], 0, v[20:21]
; %bb.74:
	s_andn2_saveexec_b64 s[0:1], s[0:1]
; %bb.75:
	v_lshl_add_u64 v[20:21], v[14:15], 0, v[34:35]
; %bb.76:
	s_or_b64 exec, exec, s[0:1]
	v_lshl_add_u64 v[20:21], v[20:21], 3, s[22:23]
	v_cmp_ge_u32_e32 vcc, v32, v16
	global_store_dwordx2 v[20:21], v[12:13], off
                                        ; implicit-def: $vgpr20_vgpr21
	s_and_saveexec_b64 s[0:1], vcc
	s_xor_b64 s[0:1], exec, s[0:1]
; %bb.77:
	v_xor_b32_e32 v20, 0xfffffbff, v0
	v_ashrrev_i32_e32 v21, 31, v20
	v_lshl_add_u64 v[20:21], v[18:19], 0, v[20:21]
; %bb.78:
	s_andn2_saveexec_b64 s[0:1], s[0:1]
; %bb.79:
	v_lshl_add_u64 v[20:21], v[14:15], 0, v[32:33]
; %bb.80:
	s_or_b64 exec, exec, s[0:1]
	v_lshl_add_u64 v[20:21], v[20:21], 3, s[22:23]
	v_cmp_ge_u32_e32 vcc, v30, v16
	s_waitcnt lgkmcnt(2)
	global_store_dwordx2 v[20:21], v[6:7], off
                                        ; implicit-def: $vgpr20_vgpr21
	s_and_saveexec_b64 s[0:1], vcc
	s_xor_b64 s[0:1], exec, s[0:1]
; %bb.81:
	v_xor_b32_e32 v20, 0xfffff9ff, v0
	v_ashrrev_i32_e32 v21, 31, v20
	v_lshl_add_u64 v[20:21], v[18:19], 0, v[20:21]
; %bb.82:
	s_andn2_saveexec_b64 s[0:1], s[0:1]
; %bb.83:
	v_lshl_add_u64 v[20:21], v[14:15], 0, v[30:31]
; %bb.84:
	s_or_b64 exec, exec, s[0:1]
	v_lshl_add_u64 v[20:21], v[20:21], 3, s[22:23]
	v_cmp_ge_u32_e32 vcc, v28, v16
	global_store_dwordx2 v[20:21], v[8:9], off
                                        ; implicit-def: $vgpr20_vgpr21
	s_and_saveexec_b64 s[0:1], vcc
	s_xor_b64 s[0:1], exec, s[0:1]
; %bb.85:
	v_xor_b32_e32 v20, 0xfffff7ff, v0
	;; [unrolled: 33-line block ×3, first 2 shown]
	v_ashrrev_i32_e32 v21, 31, v20
	v_lshl_add_u64 v[20:21], v[18:19], 0, v[20:21]
; %bb.94:
	s_andn2_saveexec_b64 s[0:1], s[0:1]
; %bb.95:
	v_lshl_add_u64 v[20:21], v[14:15], 0, v[24:25]
; %bb.96:
	s_or_b64 exec, exec, s[0:1]
	s_mov_b64 s[0:1], -1
.LBB683_97:
	s_and_saveexec_b64 s[2:3], s[0:1]
	s_cbranch_execz .LBB683_144
.LBB683_98:
	v_lshl_add_u64 v[0:1], v[20:21], 3, s[22:23]
	s_waitcnt lgkmcnt(0)
	global_store_dwordx2 v[0:1], v[22:23], off
	s_or_b64 exec, exec, s[2:3]
	s_and_b64 s[0:1], s[20:21], s[26:27]
	s_and_saveexec_b64 s[2:3], s[0:1]
	s_cbranch_execnz .LBB683_145
.LBB683_99:
	s_endpgm
.LBB683_100:
	s_mov_b64 s[0:1], 0
                                        ; implicit-def: $vgpr20_vgpr21
	s_cbranch_execz .LBB683_97
; %bb.101:
	v_cmp_gt_u32_e32 vcc, s33, v0
	s_and_saveexec_b64 s[2:3], vcc
	s_cbranch_execz .LBB683_119
; %bb.102:
	v_cmp_ge_u32_e32 vcc, v0, v16
                                        ; implicit-def: $vgpr20_vgpr21
	s_and_saveexec_b64 s[4:5], vcc
	s_xor_b64 s[4:5], exec, s[4:5]
; %bb.103:
	v_not_b32_e32 v20, v0
	v_ashrrev_i32_e32 v21, 31, v20
	v_lshl_add_u64 v[20:21], v[18:19], 0, v[20:21]
; %bb.104:
	s_andn2_saveexec_b64 s[4:5], s[4:5]
; %bb.105:
	v_lshl_add_u64 v[20:21], v[14:15], 0, v[0:1]
; %bb.106:
	s_or_b64 exec, exec, s[4:5]
	v_lshl_add_u64 v[20:21], v[20:21], 3, s[22:23]
	s_waitcnt lgkmcnt(3)
	global_store_dwordx2 v[20:21], v[10:11], off
	s_or_b64 exec, exec, s[2:3]
	v_cmp_gt_u32_e32 vcc, s33, v34
	s_and_saveexec_b64 s[2:3], vcc
	s_cbranch_execnz .LBB683_120
.LBB683_107:
	s_or_b64 exec, exec, s[2:3]
	v_cmp_gt_u32_e32 vcc, s33, v32
	s_and_saveexec_b64 s[2:3], vcc
	s_cbranch_execz .LBB683_125
.LBB683_108:
	v_cmp_ge_u32_e32 vcc, v32, v16
                                        ; implicit-def: $vgpr10_vgpr11
	s_and_saveexec_b64 s[4:5], vcc
	s_xor_b64 s[4:5], exec, s[4:5]
	s_cbranch_execz .LBB683_110
; %bb.109:
	s_waitcnt lgkmcnt(3)
	v_xor_b32_e32 v10, 0xfffffbff, v0
	v_ashrrev_i32_e32 v11, 31, v10
	v_lshl_add_u64 v[10:11], v[18:19], 0, v[10:11]
                                        ; implicit-def: $vgpr32_vgpr33
.LBB683_110:
	s_andn2_saveexec_b64 s[4:5], s[4:5]
	s_cbranch_execz .LBB683_112
; %bb.111:
	s_waitcnt lgkmcnt(3)
	v_lshl_add_u64 v[10:11], v[14:15], 0, v[32:33]
.LBB683_112:
	s_or_b64 exec, exec, s[4:5]
	s_waitcnt lgkmcnt(3)
	v_lshl_add_u64 v[10:11], v[10:11], 3, s[22:23]
	s_waitcnt lgkmcnt(2)
	global_store_dwordx2 v[10:11], v[6:7], off
	s_or_b64 exec, exec, s[2:3]
	v_cmp_gt_u32_e32 vcc, s33, v30
	s_and_saveexec_b64 s[2:3], vcc
	s_cbranch_execnz .LBB683_126
.LBB683_113:
	s_or_b64 exec, exec, s[2:3]
	v_cmp_gt_u32_e32 vcc, s33, v28
	s_and_saveexec_b64 s[2:3], vcc
	s_cbranch_execz .LBB683_131
.LBB683_114:
	v_cmp_ge_u32_e32 vcc, v28, v16
                                        ; implicit-def: $vgpr6_vgpr7
	s_and_saveexec_b64 s[4:5], vcc
	s_xor_b64 s[4:5], exec, s[4:5]
	s_cbranch_execz .LBB683_116
; %bb.115:
	s_waitcnt lgkmcnt(2)
	v_xor_b32_e32 v6, 0xfffff7ff, v0
	v_ashrrev_i32_e32 v7, 31, v6
	v_lshl_add_u64 v[6:7], v[18:19], 0, v[6:7]
                                        ; implicit-def: $vgpr28_vgpr29
.LBB683_116:
	s_andn2_saveexec_b64 s[4:5], s[4:5]
	s_cbranch_execz .LBB683_118
; %bb.117:
	s_waitcnt lgkmcnt(2)
	v_lshl_add_u64 v[6:7], v[14:15], 0, v[28:29]
.LBB683_118:
	s_or_b64 exec, exec, s[4:5]
	s_waitcnt lgkmcnt(2)
	v_lshl_add_u64 v[6:7], v[6:7], 3, s[22:23]
	s_waitcnt lgkmcnt(1)
	global_store_dwordx2 v[6:7], v[2:3], off
	s_or_b64 exec, exec, s[2:3]
	v_cmp_gt_u32_e32 vcc, s33, v26
	s_and_saveexec_b64 s[2:3], vcc
	s_cbranch_execz .LBB683_137
	s_branch .LBB683_132
.LBB683_119:
	s_or_b64 exec, exec, s[2:3]
	v_cmp_gt_u32_e32 vcc, s33, v34
	s_and_saveexec_b64 s[2:3], vcc
	s_cbranch_execz .LBB683_107
.LBB683_120:
	v_cmp_ge_u32_e32 vcc, v34, v16
                                        ; implicit-def: $vgpr10_vgpr11
	s_and_saveexec_b64 s[4:5], vcc
	s_xor_b64 s[4:5], exec, s[4:5]
	s_cbranch_execz .LBB683_122
; %bb.121:
	s_waitcnt lgkmcnt(3)
	v_xor_b32_e32 v10, 0xfffffdff, v0
	v_ashrrev_i32_e32 v11, 31, v10
	v_lshl_add_u64 v[10:11], v[18:19], 0, v[10:11]
                                        ; implicit-def: $vgpr34_vgpr35
.LBB683_122:
	s_andn2_saveexec_b64 s[4:5], s[4:5]
	s_cbranch_execz .LBB683_124
; %bb.123:
	s_waitcnt lgkmcnt(3)
	v_lshl_add_u64 v[10:11], v[14:15], 0, v[34:35]
.LBB683_124:
	s_or_b64 exec, exec, s[4:5]
	s_waitcnt lgkmcnt(3)
	v_lshl_add_u64 v[10:11], v[10:11], 3, s[22:23]
	global_store_dwordx2 v[10:11], v[12:13], off
	s_or_b64 exec, exec, s[2:3]
	v_cmp_gt_u32_e32 vcc, s33, v32
	s_and_saveexec_b64 s[2:3], vcc
	s_cbranch_execnz .LBB683_108
.LBB683_125:
	s_or_b64 exec, exec, s[2:3]
	v_cmp_gt_u32_e32 vcc, s33, v30
	s_and_saveexec_b64 s[2:3], vcc
	s_cbranch_execz .LBB683_113
.LBB683_126:
	v_cmp_ge_u32_e32 vcc, v30, v16
                                        ; implicit-def: $vgpr6_vgpr7
	s_and_saveexec_b64 s[4:5], vcc
	s_xor_b64 s[4:5], exec, s[4:5]
	s_cbranch_execz .LBB683_128
; %bb.127:
	s_waitcnt lgkmcnt(2)
	v_xor_b32_e32 v6, 0xfffff9ff, v0
	v_ashrrev_i32_e32 v7, 31, v6
	v_lshl_add_u64 v[6:7], v[18:19], 0, v[6:7]
                                        ; implicit-def: $vgpr30_vgpr31
.LBB683_128:
	s_andn2_saveexec_b64 s[4:5], s[4:5]
	s_cbranch_execz .LBB683_130
; %bb.129:
	s_waitcnt lgkmcnt(2)
	v_lshl_add_u64 v[6:7], v[14:15], 0, v[30:31]
.LBB683_130:
	s_or_b64 exec, exec, s[4:5]
	s_waitcnt lgkmcnt(2)
	v_lshl_add_u64 v[6:7], v[6:7], 3, s[22:23]
	global_store_dwordx2 v[6:7], v[8:9], off
	s_or_b64 exec, exec, s[2:3]
	v_cmp_gt_u32_e32 vcc, s33, v28
	s_and_saveexec_b64 s[2:3], vcc
	s_cbranch_execnz .LBB683_114
.LBB683_131:
	s_or_b64 exec, exec, s[2:3]
	v_cmp_gt_u32_e32 vcc, s33, v26
	s_and_saveexec_b64 s[2:3], vcc
	s_cbranch_execz .LBB683_137
.LBB683_132:
	v_cmp_ge_u32_e32 vcc, v26, v16
                                        ; implicit-def: $vgpr2_vgpr3
	s_and_saveexec_b64 s[4:5], vcc
	s_xor_b64 s[4:5], exec, s[4:5]
	s_cbranch_execz .LBB683_134
; %bb.133:
	s_waitcnt lgkmcnt(1)
	v_xor_b32_e32 v2, 0xfffff5ff, v0
	v_ashrrev_i32_e32 v3, 31, v2
	v_lshl_add_u64 v[2:3], v[18:19], 0, v[2:3]
                                        ; implicit-def: $vgpr26_vgpr27
.LBB683_134:
	s_andn2_saveexec_b64 s[4:5], s[4:5]
	s_cbranch_execz .LBB683_136
; %bb.135:
	s_waitcnt lgkmcnt(1)
	v_lshl_add_u64 v[2:3], v[14:15], 0, v[26:27]
.LBB683_136:
	s_or_b64 exec, exec, s[4:5]
	s_waitcnt lgkmcnt(1)
	v_lshl_add_u64 v[2:3], v[2:3], 3, s[22:23]
	global_store_dwordx2 v[2:3], v[4:5], off
.LBB683_137:
	s_or_b64 exec, exec, s[2:3]
	v_cmp_gt_u32_e32 vcc, s33, v24
                                        ; implicit-def: $vgpr20_vgpr21
	s_and_saveexec_b64 s[2:3], vcc
	s_cbranch_execz .LBB683_143
; %bb.138:
	v_cmp_ge_u32_e32 vcc, v24, v16
                                        ; implicit-def: $vgpr20_vgpr21
	s_and_saveexec_b64 s[4:5], vcc
	s_xor_b64 s[4:5], exec, s[4:5]
; %bb.139:
	v_xor_b32_e32 v0, 0xfffff3ff, v0
	v_ashrrev_i32_e32 v1, 31, v0
	v_lshl_add_u64 v[20:21], v[18:19], 0, v[0:1]
                                        ; implicit-def: $vgpr24_vgpr25
; %bb.140:
	s_andn2_saveexec_b64 s[4:5], s[4:5]
; %bb.141:
	v_lshl_add_u64 v[20:21], v[14:15], 0, v[24:25]
; %bb.142:
	s_or_b64 exec, exec, s[4:5]
	s_or_b64 s[0:1], s[0:1], exec
.LBB683_143:
	s_or_b64 exec, exec, s[2:3]
	s_and_saveexec_b64 s[2:3], s[0:1]
	s_cbranch_execnz .LBB683_98
.LBB683_144:
	s_or_b64 exec, exec, s[2:3]
	s_and_b64 s[0:1], s[20:21], s[26:27]
	s_and_saveexec_b64 s[2:3], s[0:1]
	s_cbranch_execz .LBB683_99
.LBB683_145:
	s_waitcnt lgkmcnt(1)
	v_mov_b32_e32 v2, 0
	v_lshl_add_u64 v[0:1], v[14:15], 0, v[16:17]
	global_store_dwordx2 v2, v[0:1], s[24:25]
	s_endpgm
	.section	.rodata,"a",@progbits
	.p2align	6, 0x0
	.amdhsa_kernel _ZN7rocprim17ROCPRIM_400000_NS6detail17trampoline_kernelINS0_14default_configENS1_25partition_config_selectorILNS1_17partition_subalgoE3EyNS0_10empty_typeEbEEZZNS1_14partition_implILS5_3ELb0ES3_jN6thrust23THRUST_200600_302600_NS6detail15normal_iteratorINSA_7pointerIyNSA_11hip_rocprim3tagENSA_11use_defaultESG_EEEEPS6_SJ_NS0_5tupleIJPySJ_EEENSK_IJSJ_SJ_EEES6_PlJ7is_evenIyEEEE10hipError_tPvRmT3_T4_T5_T6_T7_T9_mT8_P12ihipStream_tbDpT10_ENKUlT_T0_E_clISt17integral_constantIbLb1EES1A_EEDaS15_S16_EUlS15_E_NS1_11comp_targetILNS1_3genE5ELNS1_11target_archE942ELNS1_3gpuE9ELNS1_3repE0EEENS1_30default_config_static_selectorELNS0_4arch9wavefront6targetE1EEEvT1_
		.amdhsa_group_segment_fixed_size 28680
		.amdhsa_private_segment_fixed_size 0
		.amdhsa_kernarg_size 136
		.amdhsa_user_sgpr_count 2
		.amdhsa_user_sgpr_dispatch_ptr 0
		.amdhsa_user_sgpr_queue_ptr 0
		.amdhsa_user_sgpr_kernarg_segment_ptr 1
		.amdhsa_user_sgpr_dispatch_id 0
		.amdhsa_user_sgpr_kernarg_preload_length 0
		.amdhsa_user_sgpr_kernarg_preload_offset 0
		.amdhsa_user_sgpr_private_segment_size 0
		.amdhsa_uses_dynamic_stack 0
		.amdhsa_enable_private_segment 0
		.amdhsa_system_sgpr_workgroup_id_x 1
		.amdhsa_system_sgpr_workgroup_id_y 0
		.amdhsa_system_sgpr_workgroup_id_z 0
		.amdhsa_system_sgpr_workgroup_info 0
		.amdhsa_system_vgpr_workitem_id 0
		.amdhsa_next_free_vgpr 61
		.amdhsa_next_free_sgpr 44
		.amdhsa_accum_offset 64
		.amdhsa_reserve_vcc 1
		.amdhsa_float_round_mode_32 0
		.amdhsa_float_round_mode_16_64 0
		.amdhsa_float_denorm_mode_32 3
		.amdhsa_float_denorm_mode_16_64 3
		.amdhsa_dx10_clamp 1
		.amdhsa_ieee_mode 1
		.amdhsa_fp16_overflow 0
		.amdhsa_tg_split 0
		.amdhsa_exception_fp_ieee_invalid_op 0
		.amdhsa_exception_fp_denorm_src 0
		.amdhsa_exception_fp_ieee_div_zero 0
		.amdhsa_exception_fp_ieee_overflow 0
		.amdhsa_exception_fp_ieee_underflow 0
		.amdhsa_exception_fp_ieee_inexact 0
		.amdhsa_exception_int_div_zero 0
	.end_amdhsa_kernel
	.section	.text._ZN7rocprim17ROCPRIM_400000_NS6detail17trampoline_kernelINS0_14default_configENS1_25partition_config_selectorILNS1_17partition_subalgoE3EyNS0_10empty_typeEbEEZZNS1_14partition_implILS5_3ELb0ES3_jN6thrust23THRUST_200600_302600_NS6detail15normal_iteratorINSA_7pointerIyNSA_11hip_rocprim3tagENSA_11use_defaultESG_EEEEPS6_SJ_NS0_5tupleIJPySJ_EEENSK_IJSJ_SJ_EEES6_PlJ7is_evenIyEEEE10hipError_tPvRmT3_T4_T5_T6_T7_T9_mT8_P12ihipStream_tbDpT10_ENKUlT_T0_E_clISt17integral_constantIbLb1EES1A_EEDaS15_S16_EUlS15_E_NS1_11comp_targetILNS1_3genE5ELNS1_11target_archE942ELNS1_3gpuE9ELNS1_3repE0EEENS1_30default_config_static_selectorELNS0_4arch9wavefront6targetE1EEEvT1_,"axG",@progbits,_ZN7rocprim17ROCPRIM_400000_NS6detail17trampoline_kernelINS0_14default_configENS1_25partition_config_selectorILNS1_17partition_subalgoE3EyNS0_10empty_typeEbEEZZNS1_14partition_implILS5_3ELb0ES3_jN6thrust23THRUST_200600_302600_NS6detail15normal_iteratorINSA_7pointerIyNSA_11hip_rocprim3tagENSA_11use_defaultESG_EEEEPS6_SJ_NS0_5tupleIJPySJ_EEENSK_IJSJ_SJ_EEES6_PlJ7is_evenIyEEEE10hipError_tPvRmT3_T4_T5_T6_T7_T9_mT8_P12ihipStream_tbDpT10_ENKUlT_T0_E_clISt17integral_constantIbLb1EES1A_EEDaS15_S16_EUlS15_E_NS1_11comp_targetILNS1_3genE5ELNS1_11target_archE942ELNS1_3gpuE9ELNS1_3repE0EEENS1_30default_config_static_selectorELNS0_4arch9wavefront6targetE1EEEvT1_,comdat
.Lfunc_end683:
	.size	_ZN7rocprim17ROCPRIM_400000_NS6detail17trampoline_kernelINS0_14default_configENS1_25partition_config_selectorILNS1_17partition_subalgoE3EyNS0_10empty_typeEbEEZZNS1_14partition_implILS5_3ELb0ES3_jN6thrust23THRUST_200600_302600_NS6detail15normal_iteratorINSA_7pointerIyNSA_11hip_rocprim3tagENSA_11use_defaultESG_EEEEPS6_SJ_NS0_5tupleIJPySJ_EEENSK_IJSJ_SJ_EEES6_PlJ7is_evenIyEEEE10hipError_tPvRmT3_T4_T5_T6_T7_T9_mT8_P12ihipStream_tbDpT10_ENKUlT_T0_E_clISt17integral_constantIbLb1EES1A_EEDaS15_S16_EUlS15_E_NS1_11comp_targetILNS1_3genE5ELNS1_11target_archE942ELNS1_3gpuE9ELNS1_3repE0EEENS1_30default_config_static_selectorELNS0_4arch9wavefront6targetE1EEEvT1_, .Lfunc_end683-_ZN7rocprim17ROCPRIM_400000_NS6detail17trampoline_kernelINS0_14default_configENS1_25partition_config_selectorILNS1_17partition_subalgoE3EyNS0_10empty_typeEbEEZZNS1_14partition_implILS5_3ELb0ES3_jN6thrust23THRUST_200600_302600_NS6detail15normal_iteratorINSA_7pointerIyNSA_11hip_rocprim3tagENSA_11use_defaultESG_EEEEPS6_SJ_NS0_5tupleIJPySJ_EEENSK_IJSJ_SJ_EEES6_PlJ7is_evenIyEEEE10hipError_tPvRmT3_T4_T5_T6_T7_T9_mT8_P12ihipStream_tbDpT10_ENKUlT_T0_E_clISt17integral_constantIbLb1EES1A_EEDaS15_S16_EUlS15_E_NS1_11comp_targetILNS1_3genE5ELNS1_11target_archE942ELNS1_3gpuE9ELNS1_3repE0EEENS1_30default_config_static_selectorELNS0_4arch9wavefront6targetE1EEEvT1_
                                        ; -- End function
	.section	.AMDGPU.csdata,"",@progbits
; Kernel info:
; codeLenInByte = 5220
; NumSgprs: 50
; NumVgprs: 61
; NumAgprs: 0
; TotalNumVgprs: 61
; ScratchSize: 0
; MemoryBound: 0
; FloatMode: 240
; IeeeMode: 1
; LDSByteSize: 28680 bytes/workgroup (compile time only)
; SGPRBlocks: 6
; VGPRBlocks: 7
; NumSGPRsForWavesPerEU: 50
; NumVGPRsForWavesPerEU: 61
; AccumOffset: 64
; Occupancy: 4
; WaveLimiterHint : 1
; COMPUTE_PGM_RSRC2:SCRATCH_EN: 0
; COMPUTE_PGM_RSRC2:USER_SGPR: 2
; COMPUTE_PGM_RSRC2:TRAP_HANDLER: 0
; COMPUTE_PGM_RSRC2:TGID_X_EN: 1
; COMPUTE_PGM_RSRC2:TGID_Y_EN: 0
; COMPUTE_PGM_RSRC2:TGID_Z_EN: 0
; COMPUTE_PGM_RSRC2:TIDIG_COMP_CNT: 0
; COMPUTE_PGM_RSRC3_GFX90A:ACCUM_OFFSET: 15
; COMPUTE_PGM_RSRC3_GFX90A:TG_SPLIT: 0
	.section	.text._ZN7rocprim17ROCPRIM_400000_NS6detail17trampoline_kernelINS0_14default_configENS1_25partition_config_selectorILNS1_17partition_subalgoE3EyNS0_10empty_typeEbEEZZNS1_14partition_implILS5_3ELb0ES3_jN6thrust23THRUST_200600_302600_NS6detail15normal_iteratorINSA_7pointerIyNSA_11hip_rocprim3tagENSA_11use_defaultESG_EEEEPS6_SJ_NS0_5tupleIJPySJ_EEENSK_IJSJ_SJ_EEES6_PlJ7is_evenIyEEEE10hipError_tPvRmT3_T4_T5_T6_T7_T9_mT8_P12ihipStream_tbDpT10_ENKUlT_T0_E_clISt17integral_constantIbLb1EES1A_EEDaS15_S16_EUlS15_E_NS1_11comp_targetILNS1_3genE4ELNS1_11target_archE910ELNS1_3gpuE8ELNS1_3repE0EEENS1_30default_config_static_selectorELNS0_4arch9wavefront6targetE1EEEvT1_,"axG",@progbits,_ZN7rocprim17ROCPRIM_400000_NS6detail17trampoline_kernelINS0_14default_configENS1_25partition_config_selectorILNS1_17partition_subalgoE3EyNS0_10empty_typeEbEEZZNS1_14partition_implILS5_3ELb0ES3_jN6thrust23THRUST_200600_302600_NS6detail15normal_iteratorINSA_7pointerIyNSA_11hip_rocprim3tagENSA_11use_defaultESG_EEEEPS6_SJ_NS0_5tupleIJPySJ_EEENSK_IJSJ_SJ_EEES6_PlJ7is_evenIyEEEE10hipError_tPvRmT3_T4_T5_T6_T7_T9_mT8_P12ihipStream_tbDpT10_ENKUlT_T0_E_clISt17integral_constantIbLb1EES1A_EEDaS15_S16_EUlS15_E_NS1_11comp_targetILNS1_3genE4ELNS1_11target_archE910ELNS1_3gpuE8ELNS1_3repE0EEENS1_30default_config_static_selectorELNS0_4arch9wavefront6targetE1EEEvT1_,comdat
	.protected	_ZN7rocprim17ROCPRIM_400000_NS6detail17trampoline_kernelINS0_14default_configENS1_25partition_config_selectorILNS1_17partition_subalgoE3EyNS0_10empty_typeEbEEZZNS1_14partition_implILS5_3ELb0ES3_jN6thrust23THRUST_200600_302600_NS6detail15normal_iteratorINSA_7pointerIyNSA_11hip_rocprim3tagENSA_11use_defaultESG_EEEEPS6_SJ_NS0_5tupleIJPySJ_EEENSK_IJSJ_SJ_EEES6_PlJ7is_evenIyEEEE10hipError_tPvRmT3_T4_T5_T6_T7_T9_mT8_P12ihipStream_tbDpT10_ENKUlT_T0_E_clISt17integral_constantIbLb1EES1A_EEDaS15_S16_EUlS15_E_NS1_11comp_targetILNS1_3genE4ELNS1_11target_archE910ELNS1_3gpuE8ELNS1_3repE0EEENS1_30default_config_static_selectorELNS0_4arch9wavefront6targetE1EEEvT1_ ; -- Begin function _ZN7rocprim17ROCPRIM_400000_NS6detail17trampoline_kernelINS0_14default_configENS1_25partition_config_selectorILNS1_17partition_subalgoE3EyNS0_10empty_typeEbEEZZNS1_14partition_implILS5_3ELb0ES3_jN6thrust23THRUST_200600_302600_NS6detail15normal_iteratorINSA_7pointerIyNSA_11hip_rocprim3tagENSA_11use_defaultESG_EEEEPS6_SJ_NS0_5tupleIJPySJ_EEENSK_IJSJ_SJ_EEES6_PlJ7is_evenIyEEEE10hipError_tPvRmT3_T4_T5_T6_T7_T9_mT8_P12ihipStream_tbDpT10_ENKUlT_T0_E_clISt17integral_constantIbLb1EES1A_EEDaS15_S16_EUlS15_E_NS1_11comp_targetILNS1_3genE4ELNS1_11target_archE910ELNS1_3gpuE8ELNS1_3repE0EEENS1_30default_config_static_selectorELNS0_4arch9wavefront6targetE1EEEvT1_
	.globl	_ZN7rocprim17ROCPRIM_400000_NS6detail17trampoline_kernelINS0_14default_configENS1_25partition_config_selectorILNS1_17partition_subalgoE3EyNS0_10empty_typeEbEEZZNS1_14partition_implILS5_3ELb0ES3_jN6thrust23THRUST_200600_302600_NS6detail15normal_iteratorINSA_7pointerIyNSA_11hip_rocprim3tagENSA_11use_defaultESG_EEEEPS6_SJ_NS0_5tupleIJPySJ_EEENSK_IJSJ_SJ_EEES6_PlJ7is_evenIyEEEE10hipError_tPvRmT3_T4_T5_T6_T7_T9_mT8_P12ihipStream_tbDpT10_ENKUlT_T0_E_clISt17integral_constantIbLb1EES1A_EEDaS15_S16_EUlS15_E_NS1_11comp_targetILNS1_3genE4ELNS1_11target_archE910ELNS1_3gpuE8ELNS1_3repE0EEENS1_30default_config_static_selectorELNS0_4arch9wavefront6targetE1EEEvT1_
	.p2align	8
	.type	_ZN7rocprim17ROCPRIM_400000_NS6detail17trampoline_kernelINS0_14default_configENS1_25partition_config_selectorILNS1_17partition_subalgoE3EyNS0_10empty_typeEbEEZZNS1_14partition_implILS5_3ELb0ES3_jN6thrust23THRUST_200600_302600_NS6detail15normal_iteratorINSA_7pointerIyNSA_11hip_rocprim3tagENSA_11use_defaultESG_EEEEPS6_SJ_NS0_5tupleIJPySJ_EEENSK_IJSJ_SJ_EEES6_PlJ7is_evenIyEEEE10hipError_tPvRmT3_T4_T5_T6_T7_T9_mT8_P12ihipStream_tbDpT10_ENKUlT_T0_E_clISt17integral_constantIbLb1EES1A_EEDaS15_S16_EUlS15_E_NS1_11comp_targetILNS1_3genE4ELNS1_11target_archE910ELNS1_3gpuE8ELNS1_3repE0EEENS1_30default_config_static_selectorELNS0_4arch9wavefront6targetE1EEEvT1_,@function
_ZN7rocprim17ROCPRIM_400000_NS6detail17trampoline_kernelINS0_14default_configENS1_25partition_config_selectorILNS1_17partition_subalgoE3EyNS0_10empty_typeEbEEZZNS1_14partition_implILS5_3ELb0ES3_jN6thrust23THRUST_200600_302600_NS6detail15normal_iteratorINSA_7pointerIyNSA_11hip_rocprim3tagENSA_11use_defaultESG_EEEEPS6_SJ_NS0_5tupleIJPySJ_EEENSK_IJSJ_SJ_EEES6_PlJ7is_evenIyEEEE10hipError_tPvRmT3_T4_T5_T6_T7_T9_mT8_P12ihipStream_tbDpT10_ENKUlT_T0_E_clISt17integral_constantIbLb1EES1A_EEDaS15_S16_EUlS15_E_NS1_11comp_targetILNS1_3genE4ELNS1_11target_archE910ELNS1_3gpuE8ELNS1_3repE0EEENS1_30default_config_static_selectorELNS0_4arch9wavefront6targetE1EEEvT1_: ; @_ZN7rocprim17ROCPRIM_400000_NS6detail17trampoline_kernelINS0_14default_configENS1_25partition_config_selectorILNS1_17partition_subalgoE3EyNS0_10empty_typeEbEEZZNS1_14partition_implILS5_3ELb0ES3_jN6thrust23THRUST_200600_302600_NS6detail15normal_iteratorINSA_7pointerIyNSA_11hip_rocprim3tagENSA_11use_defaultESG_EEEEPS6_SJ_NS0_5tupleIJPySJ_EEENSK_IJSJ_SJ_EEES6_PlJ7is_evenIyEEEE10hipError_tPvRmT3_T4_T5_T6_T7_T9_mT8_P12ihipStream_tbDpT10_ENKUlT_T0_E_clISt17integral_constantIbLb1EES1A_EEDaS15_S16_EUlS15_E_NS1_11comp_targetILNS1_3genE4ELNS1_11target_archE910ELNS1_3gpuE8ELNS1_3repE0EEENS1_30default_config_static_selectorELNS0_4arch9wavefront6targetE1EEEvT1_
; %bb.0:
	.section	.rodata,"a",@progbits
	.p2align	6, 0x0
	.amdhsa_kernel _ZN7rocprim17ROCPRIM_400000_NS6detail17trampoline_kernelINS0_14default_configENS1_25partition_config_selectorILNS1_17partition_subalgoE3EyNS0_10empty_typeEbEEZZNS1_14partition_implILS5_3ELb0ES3_jN6thrust23THRUST_200600_302600_NS6detail15normal_iteratorINSA_7pointerIyNSA_11hip_rocprim3tagENSA_11use_defaultESG_EEEEPS6_SJ_NS0_5tupleIJPySJ_EEENSK_IJSJ_SJ_EEES6_PlJ7is_evenIyEEEE10hipError_tPvRmT3_T4_T5_T6_T7_T9_mT8_P12ihipStream_tbDpT10_ENKUlT_T0_E_clISt17integral_constantIbLb1EES1A_EEDaS15_S16_EUlS15_E_NS1_11comp_targetILNS1_3genE4ELNS1_11target_archE910ELNS1_3gpuE8ELNS1_3repE0EEENS1_30default_config_static_selectorELNS0_4arch9wavefront6targetE1EEEvT1_
		.amdhsa_group_segment_fixed_size 0
		.amdhsa_private_segment_fixed_size 0
		.amdhsa_kernarg_size 136
		.amdhsa_user_sgpr_count 2
		.amdhsa_user_sgpr_dispatch_ptr 0
		.amdhsa_user_sgpr_queue_ptr 0
		.amdhsa_user_sgpr_kernarg_segment_ptr 1
		.amdhsa_user_sgpr_dispatch_id 0
		.amdhsa_user_sgpr_kernarg_preload_length 0
		.amdhsa_user_sgpr_kernarg_preload_offset 0
		.amdhsa_user_sgpr_private_segment_size 0
		.amdhsa_uses_dynamic_stack 0
		.amdhsa_enable_private_segment 0
		.amdhsa_system_sgpr_workgroup_id_x 1
		.amdhsa_system_sgpr_workgroup_id_y 0
		.amdhsa_system_sgpr_workgroup_id_z 0
		.amdhsa_system_sgpr_workgroup_info 0
		.amdhsa_system_vgpr_workitem_id 0
		.amdhsa_next_free_vgpr 1
		.amdhsa_next_free_sgpr 0
		.amdhsa_accum_offset 4
		.amdhsa_reserve_vcc 0
		.amdhsa_float_round_mode_32 0
		.amdhsa_float_round_mode_16_64 0
		.amdhsa_float_denorm_mode_32 3
		.amdhsa_float_denorm_mode_16_64 3
		.amdhsa_dx10_clamp 1
		.amdhsa_ieee_mode 1
		.amdhsa_fp16_overflow 0
		.amdhsa_tg_split 0
		.amdhsa_exception_fp_ieee_invalid_op 0
		.amdhsa_exception_fp_denorm_src 0
		.amdhsa_exception_fp_ieee_div_zero 0
		.amdhsa_exception_fp_ieee_overflow 0
		.amdhsa_exception_fp_ieee_underflow 0
		.amdhsa_exception_fp_ieee_inexact 0
		.amdhsa_exception_int_div_zero 0
	.end_amdhsa_kernel
	.section	.text._ZN7rocprim17ROCPRIM_400000_NS6detail17trampoline_kernelINS0_14default_configENS1_25partition_config_selectorILNS1_17partition_subalgoE3EyNS0_10empty_typeEbEEZZNS1_14partition_implILS5_3ELb0ES3_jN6thrust23THRUST_200600_302600_NS6detail15normal_iteratorINSA_7pointerIyNSA_11hip_rocprim3tagENSA_11use_defaultESG_EEEEPS6_SJ_NS0_5tupleIJPySJ_EEENSK_IJSJ_SJ_EEES6_PlJ7is_evenIyEEEE10hipError_tPvRmT3_T4_T5_T6_T7_T9_mT8_P12ihipStream_tbDpT10_ENKUlT_T0_E_clISt17integral_constantIbLb1EES1A_EEDaS15_S16_EUlS15_E_NS1_11comp_targetILNS1_3genE4ELNS1_11target_archE910ELNS1_3gpuE8ELNS1_3repE0EEENS1_30default_config_static_selectorELNS0_4arch9wavefront6targetE1EEEvT1_,"axG",@progbits,_ZN7rocprim17ROCPRIM_400000_NS6detail17trampoline_kernelINS0_14default_configENS1_25partition_config_selectorILNS1_17partition_subalgoE3EyNS0_10empty_typeEbEEZZNS1_14partition_implILS5_3ELb0ES3_jN6thrust23THRUST_200600_302600_NS6detail15normal_iteratorINSA_7pointerIyNSA_11hip_rocprim3tagENSA_11use_defaultESG_EEEEPS6_SJ_NS0_5tupleIJPySJ_EEENSK_IJSJ_SJ_EEES6_PlJ7is_evenIyEEEE10hipError_tPvRmT3_T4_T5_T6_T7_T9_mT8_P12ihipStream_tbDpT10_ENKUlT_T0_E_clISt17integral_constantIbLb1EES1A_EEDaS15_S16_EUlS15_E_NS1_11comp_targetILNS1_3genE4ELNS1_11target_archE910ELNS1_3gpuE8ELNS1_3repE0EEENS1_30default_config_static_selectorELNS0_4arch9wavefront6targetE1EEEvT1_,comdat
.Lfunc_end684:
	.size	_ZN7rocprim17ROCPRIM_400000_NS6detail17trampoline_kernelINS0_14default_configENS1_25partition_config_selectorILNS1_17partition_subalgoE3EyNS0_10empty_typeEbEEZZNS1_14partition_implILS5_3ELb0ES3_jN6thrust23THRUST_200600_302600_NS6detail15normal_iteratorINSA_7pointerIyNSA_11hip_rocprim3tagENSA_11use_defaultESG_EEEEPS6_SJ_NS0_5tupleIJPySJ_EEENSK_IJSJ_SJ_EEES6_PlJ7is_evenIyEEEE10hipError_tPvRmT3_T4_T5_T6_T7_T9_mT8_P12ihipStream_tbDpT10_ENKUlT_T0_E_clISt17integral_constantIbLb1EES1A_EEDaS15_S16_EUlS15_E_NS1_11comp_targetILNS1_3genE4ELNS1_11target_archE910ELNS1_3gpuE8ELNS1_3repE0EEENS1_30default_config_static_selectorELNS0_4arch9wavefront6targetE1EEEvT1_, .Lfunc_end684-_ZN7rocprim17ROCPRIM_400000_NS6detail17trampoline_kernelINS0_14default_configENS1_25partition_config_selectorILNS1_17partition_subalgoE3EyNS0_10empty_typeEbEEZZNS1_14partition_implILS5_3ELb0ES3_jN6thrust23THRUST_200600_302600_NS6detail15normal_iteratorINSA_7pointerIyNSA_11hip_rocprim3tagENSA_11use_defaultESG_EEEEPS6_SJ_NS0_5tupleIJPySJ_EEENSK_IJSJ_SJ_EEES6_PlJ7is_evenIyEEEE10hipError_tPvRmT3_T4_T5_T6_T7_T9_mT8_P12ihipStream_tbDpT10_ENKUlT_T0_E_clISt17integral_constantIbLb1EES1A_EEDaS15_S16_EUlS15_E_NS1_11comp_targetILNS1_3genE4ELNS1_11target_archE910ELNS1_3gpuE8ELNS1_3repE0EEENS1_30default_config_static_selectorELNS0_4arch9wavefront6targetE1EEEvT1_
                                        ; -- End function
	.section	.AMDGPU.csdata,"",@progbits
; Kernel info:
; codeLenInByte = 0
; NumSgprs: 6
; NumVgprs: 0
; NumAgprs: 0
; TotalNumVgprs: 0
; ScratchSize: 0
; MemoryBound: 0
; FloatMode: 240
; IeeeMode: 1
; LDSByteSize: 0 bytes/workgroup (compile time only)
; SGPRBlocks: 0
; VGPRBlocks: 0
; NumSGPRsForWavesPerEU: 6
; NumVGPRsForWavesPerEU: 1
; AccumOffset: 4
; Occupancy: 8
; WaveLimiterHint : 0
; COMPUTE_PGM_RSRC2:SCRATCH_EN: 0
; COMPUTE_PGM_RSRC2:USER_SGPR: 2
; COMPUTE_PGM_RSRC2:TRAP_HANDLER: 0
; COMPUTE_PGM_RSRC2:TGID_X_EN: 1
; COMPUTE_PGM_RSRC2:TGID_Y_EN: 0
; COMPUTE_PGM_RSRC2:TGID_Z_EN: 0
; COMPUTE_PGM_RSRC2:TIDIG_COMP_CNT: 0
; COMPUTE_PGM_RSRC3_GFX90A:ACCUM_OFFSET: 0
; COMPUTE_PGM_RSRC3_GFX90A:TG_SPLIT: 0
	.section	.text._ZN7rocprim17ROCPRIM_400000_NS6detail17trampoline_kernelINS0_14default_configENS1_25partition_config_selectorILNS1_17partition_subalgoE3EyNS0_10empty_typeEbEEZZNS1_14partition_implILS5_3ELb0ES3_jN6thrust23THRUST_200600_302600_NS6detail15normal_iteratorINSA_7pointerIyNSA_11hip_rocprim3tagENSA_11use_defaultESG_EEEEPS6_SJ_NS0_5tupleIJPySJ_EEENSK_IJSJ_SJ_EEES6_PlJ7is_evenIyEEEE10hipError_tPvRmT3_T4_T5_T6_T7_T9_mT8_P12ihipStream_tbDpT10_ENKUlT_T0_E_clISt17integral_constantIbLb1EES1A_EEDaS15_S16_EUlS15_E_NS1_11comp_targetILNS1_3genE3ELNS1_11target_archE908ELNS1_3gpuE7ELNS1_3repE0EEENS1_30default_config_static_selectorELNS0_4arch9wavefront6targetE1EEEvT1_,"axG",@progbits,_ZN7rocprim17ROCPRIM_400000_NS6detail17trampoline_kernelINS0_14default_configENS1_25partition_config_selectorILNS1_17partition_subalgoE3EyNS0_10empty_typeEbEEZZNS1_14partition_implILS5_3ELb0ES3_jN6thrust23THRUST_200600_302600_NS6detail15normal_iteratorINSA_7pointerIyNSA_11hip_rocprim3tagENSA_11use_defaultESG_EEEEPS6_SJ_NS0_5tupleIJPySJ_EEENSK_IJSJ_SJ_EEES6_PlJ7is_evenIyEEEE10hipError_tPvRmT3_T4_T5_T6_T7_T9_mT8_P12ihipStream_tbDpT10_ENKUlT_T0_E_clISt17integral_constantIbLb1EES1A_EEDaS15_S16_EUlS15_E_NS1_11comp_targetILNS1_3genE3ELNS1_11target_archE908ELNS1_3gpuE7ELNS1_3repE0EEENS1_30default_config_static_selectorELNS0_4arch9wavefront6targetE1EEEvT1_,comdat
	.protected	_ZN7rocprim17ROCPRIM_400000_NS6detail17trampoline_kernelINS0_14default_configENS1_25partition_config_selectorILNS1_17partition_subalgoE3EyNS0_10empty_typeEbEEZZNS1_14partition_implILS5_3ELb0ES3_jN6thrust23THRUST_200600_302600_NS6detail15normal_iteratorINSA_7pointerIyNSA_11hip_rocprim3tagENSA_11use_defaultESG_EEEEPS6_SJ_NS0_5tupleIJPySJ_EEENSK_IJSJ_SJ_EEES6_PlJ7is_evenIyEEEE10hipError_tPvRmT3_T4_T5_T6_T7_T9_mT8_P12ihipStream_tbDpT10_ENKUlT_T0_E_clISt17integral_constantIbLb1EES1A_EEDaS15_S16_EUlS15_E_NS1_11comp_targetILNS1_3genE3ELNS1_11target_archE908ELNS1_3gpuE7ELNS1_3repE0EEENS1_30default_config_static_selectorELNS0_4arch9wavefront6targetE1EEEvT1_ ; -- Begin function _ZN7rocprim17ROCPRIM_400000_NS6detail17trampoline_kernelINS0_14default_configENS1_25partition_config_selectorILNS1_17partition_subalgoE3EyNS0_10empty_typeEbEEZZNS1_14partition_implILS5_3ELb0ES3_jN6thrust23THRUST_200600_302600_NS6detail15normal_iteratorINSA_7pointerIyNSA_11hip_rocprim3tagENSA_11use_defaultESG_EEEEPS6_SJ_NS0_5tupleIJPySJ_EEENSK_IJSJ_SJ_EEES6_PlJ7is_evenIyEEEE10hipError_tPvRmT3_T4_T5_T6_T7_T9_mT8_P12ihipStream_tbDpT10_ENKUlT_T0_E_clISt17integral_constantIbLb1EES1A_EEDaS15_S16_EUlS15_E_NS1_11comp_targetILNS1_3genE3ELNS1_11target_archE908ELNS1_3gpuE7ELNS1_3repE0EEENS1_30default_config_static_selectorELNS0_4arch9wavefront6targetE1EEEvT1_
	.globl	_ZN7rocprim17ROCPRIM_400000_NS6detail17trampoline_kernelINS0_14default_configENS1_25partition_config_selectorILNS1_17partition_subalgoE3EyNS0_10empty_typeEbEEZZNS1_14partition_implILS5_3ELb0ES3_jN6thrust23THRUST_200600_302600_NS6detail15normal_iteratorINSA_7pointerIyNSA_11hip_rocprim3tagENSA_11use_defaultESG_EEEEPS6_SJ_NS0_5tupleIJPySJ_EEENSK_IJSJ_SJ_EEES6_PlJ7is_evenIyEEEE10hipError_tPvRmT3_T4_T5_T6_T7_T9_mT8_P12ihipStream_tbDpT10_ENKUlT_T0_E_clISt17integral_constantIbLb1EES1A_EEDaS15_S16_EUlS15_E_NS1_11comp_targetILNS1_3genE3ELNS1_11target_archE908ELNS1_3gpuE7ELNS1_3repE0EEENS1_30default_config_static_selectorELNS0_4arch9wavefront6targetE1EEEvT1_
	.p2align	8
	.type	_ZN7rocprim17ROCPRIM_400000_NS6detail17trampoline_kernelINS0_14default_configENS1_25partition_config_selectorILNS1_17partition_subalgoE3EyNS0_10empty_typeEbEEZZNS1_14partition_implILS5_3ELb0ES3_jN6thrust23THRUST_200600_302600_NS6detail15normal_iteratorINSA_7pointerIyNSA_11hip_rocprim3tagENSA_11use_defaultESG_EEEEPS6_SJ_NS0_5tupleIJPySJ_EEENSK_IJSJ_SJ_EEES6_PlJ7is_evenIyEEEE10hipError_tPvRmT3_T4_T5_T6_T7_T9_mT8_P12ihipStream_tbDpT10_ENKUlT_T0_E_clISt17integral_constantIbLb1EES1A_EEDaS15_S16_EUlS15_E_NS1_11comp_targetILNS1_3genE3ELNS1_11target_archE908ELNS1_3gpuE7ELNS1_3repE0EEENS1_30default_config_static_selectorELNS0_4arch9wavefront6targetE1EEEvT1_,@function
_ZN7rocprim17ROCPRIM_400000_NS6detail17trampoline_kernelINS0_14default_configENS1_25partition_config_selectorILNS1_17partition_subalgoE3EyNS0_10empty_typeEbEEZZNS1_14partition_implILS5_3ELb0ES3_jN6thrust23THRUST_200600_302600_NS6detail15normal_iteratorINSA_7pointerIyNSA_11hip_rocprim3tagENSA_11use_defaultESG_EEEEPS6_SJ_NS0_5tupleIJPySJ_EEENSK_IJSJ_SJ_EEES6_PlJ7is_evenIyEEEE10hipError_tPvRmT3_T4_T5_T6_T7_T9_mT8_P12ihipStream_tbDpT10_ENKUlT_T0_E_clISt17integral_constantIbLb1EES1A_EEDaS15_S16_EUlS15_E_NS1_11comp_targetILNS1_3genE3ELNS1_11target_archE908ELNS1_3gpuE7ELNS1_3repE0EEENS1_30default_config_static_selectorELNS0_4arch9wavefront6targetE1EEEvT1_: ; @_ZN7rocprim17ROCPRIM_400000_NS6detail17trampoline_kernelINS0_14default_configENS1_25partition_config_selectorILNS1_17partition_subalgoE3EyNS0_10empty_typeEbEEZZNS1_14partition_implILS5_3ELb0ES3_jN6thrust23THRUST_200600_302600_NS6detail15normal_iteratorINSA_7pointerIyNSA_11hip_rocprim3tagENSA_11use_defaultESG_EEEEPS6_SJ_NS0_5tupleIJPySJ_EEENSK_IJSJ_SJ_EEES6_PlJ7is_evenIyEEEE10hipError_tPvRmT3_T4_T5_T6_T7_T9_mT8_P12ihipStream_tbDpT10_ENKUlT_T0_E_clISt17integral_constantIbLb1EES1A_EEDaS15_S16_EUlS15_E_NS1_11comp_targetILNS1_3genE3ELNS1_11target_archE908ELNS1_3gpuE7ELNS1_3repE0EEENS1_30default_config_static_selectorELNS0_4arch9wavefront6targetE1EEEvT1_
; %bb.0:
	.section	.rodata,"a",@progbits
	.p2align	6, 0x0
	.amdhsa_kernel _ZN7rocprim17ROCPRIM_400000_NS6detail17trampoline_kernelINS0_14default_configENS1_25partition_config_selectorILNS1_17partition_subalgoE3EyNS0_10empty_typeEbEEZZNS1_14partition_implILS5_3ELb0ES3_jN6thrust23THRUST_200600_302600_NS6detail15normal_iteratorINSA_7pointerIyNSA_11hip_rocprim3tagENSA_11use_defaultESG_EEEEPS6_SJ_NS0_5tupleIJPySJ_EEENSK_IJSJ_SJ_EEES6_PlJ7is_evenIyEEEE10hipError_tPvRmT3_T4_T5_T6_T7_T9_mT8_P12ihipStream_tbDpT10_ENKUlT_T0_E_clISt17integral_constantIbLb1EES1A_EEDaS15_S16_EUlS15_E_NS1_11comp_targetILNS1_3genE3ELNS1_11target_archE908ELNS1_3gpuE7ELNS1_3repE0EEENS1_30default_config_static_selectorELNS0_4arch9wavefront6targetE1EEEvT1_
		.amdhsa_group_segment_fixed_size 0
		.amdhsa_private_segment_fixed_size 0
		.amdhsa_kernarg_size 136
		.amdhsa_user_sgpr_count 2
		.amdhsa_user_sgpr_dispatch_ptr 0
		.amdhsa_user_sgpr_queue_ptr 0
		.amdhsa_user_sgpr_kernarg_segment_ptr 1
		.amdhsa_user_sgpr_dispatch_id 0
		.amdhsa_user_sgpr_kernarg_preload_length 0
		.amdhsa_user_sgpr_kernarg_preload_offset 0
		.amdhsa_user_sgpr_private_segment_size 0
		.amdhsa_uses_dynamic_stack 0
		.amdhsa_enable_private_segment 0
		.amdhsa_system_sgpr_workgroup_id_x 1
		.amdhsa_system_sgpr_workgroup_id_y 0
		.amdhsa_system_sgpr_workgroup_id_z 0
		.amdhsa_system_sgpr_workgroup_info 0
		.amdhsa_system_vgpr_workitem_id 0
		.amdhsa_next_free_vgpr 1
		.amdhsa_next_free_sgpr 0
		.amdhsa_accum_offset 4
		.amdhsa_reserve_vcc 0
		.amdhsa_float_round_mode_32 0
		.amdhsa_float_round_mode_16_64 0
		.amdhsa_float_denorm_mode_32 3
		.amdhsa_float_denorm_mode_16_64 3
		.amdhsa_dx10_clamp 1
		.amdhsa_ieee_mode 1
		.amdhsa_fp16_overflow 0
		.amdhsa_tg_split 0
		.amdhsa_exception_fp_ieee_invalid_op 0
		.amdhsa_exception_fp_denorm_src 0
		.amdhsa_exception_fp_ieee_div_zero 0
		.amdhsa_exception_fp_ieee_overflow 0
		.amdhsa_exception_fp_ieee_underflow 0
		.amdhsa_exception_fp_ieee_inexact 0
		.amdhsa_exception_int_div_zero 0
	.end_amdhsa_kernel
	.section	.text._ZN7rocprim17ROCPRIM_400000_NS6detail17trampoline_kernelINS0_14default_configENS1_25partition_config_selectorILNS1_17partition_subalgoE3EyNS0_10empty_typeEbEEZZNS1_14partition_implILS5_3ELb0ES3_jN6thrust23THRUST_200600_302600_NS6detail15normal_iteratorINSA_7pointerIyNSA_11hip_rocprim3tagENSA_11use_defaultESG_EEEEPS6_SJ_NS0_5tupleIJPySJ_EEENSK_IJSJ_SJ_EEES6_PlJ7is_evenIyEEEE10hipError_tPvRmT3_T4_T5_T6_T7_T9_mT8_P12ihipStream_tbDpT10_ENKUlT_T0_E_clISt17integral_constantIbLb1EES1A_EEDaS15_S16_EUlS15_E_NS1_11comp_targetILNS1_3genE3ELNS1_11target_archE908ELNS1_3gpuE7ELNS1_3repE0EEENS1_30default_config_static_selectorELNS0_4arch9wavefront6targetE1EEEvT1_,"axG",@progbits,_ZN7rocprim17ROCPRIM_400000_NS6detail17trampoline_kernelINS0_14default_configENS1_25partition_config_selectorILNS1_17partition_subalgoE3EyNS0_10empty_typeEbEEZZNS1_14partition_implILS5_3ELb0ES3_jN6thrust23THRUST_200600_302600_NS6detail15normal_iteratorINSA_7pointerIyNSA_11hip_rocprim3tagENSA_11use_defaultESG_EEEEPS6_SJ_NS0_5tupleIJPySJ_EEENSK_IJSJ_SJ_EEES6_PlJ7is_evenIyEEEE10hipError_tPvRmT3_T4_T5_T6_T7_T9_mT8_P12ihipStream_tbDpT10_ENKUlT_T0_E_clISt17integral_constantIbLb1EES1A_EEDaS15_S16_EUlS15_E_NS1_11comp_targetILNS1_3genE3ELNS1_11target_archE908ELNS1_3gpuE7ELNS1_3repE0EEENS1_30default_config_static_selectorELNS0_4arch9wavefront6targetE1EEEvT1_,comdat
.Lfunc_end685:
	.size	_ZN7rocprim17ROCPRIM_400000_NS6detail17trampoline_kernelINS0_14default_configENS1_25partition_config_selectorILNS1_17partition_subalgoE3EyNS0_10empty_typeEbEEZZNS1_14partition_implILS5_3ELb0ES3_jN6thrust23THRUST_200600_302600_NS6detail15normal_iteratorINSA_7pointerIyNSA_11hip_rocprim3tagENSA_11use_defaultESG_EEEEPS6_SJ_NS0_5tupleIJPySJ_EEENSK_IJSJ_SJ_EEES6_PlJ7is_evenIyEEEE10hipError_tPvRmT3_T4_T5_T6_T7_T9_mT8_P12ihipStream_tbDpT10_ENKUlT_T0_E_clISt17integral_constantIbLb1EES1A_EEDaS15_S16_EUlS15_E_NS1_11comp_targetILNS1_3genE3ELNS1_11target_archE908ELNS1_3gpuE7ELNS1_3repE0EEENS1_30default_config_static_selectorELNS0_4arch9wavefront6targetE1EEEvT1_, .Lfunc_end685-_ZN7rocprim17ROCPRIM_400000_NS6detail17trampoline_kernelINS0_14default_configENS1_25partition_config_selectorILNS1_17partition_subalgoE3EyNS0_10empty_typeEbEEZZNS1_14partition_implILS5_3ELb0ES3_jN6thrust23THRUST_200600_302600_NS6detail15normal_iteratorINSA_7pointerIyNSA_11hip_rocprim3tagENSA_11use_defaultESG_EEEEPS6_SJ_NS0_5tupleIJPySJ_EEENSK_IJSJ_SJ_EEES6_PlJ7is_evenIyEEEE10hipError_tPvRmT3_T4_T5_T6_T7_T9_mT8_P12ihipStream_tbDpT10_ENKUlT_T0_E_clISt17integral_constantIbLb1EES1A_EEDaS15_S16_EUlS15_E_NS1_11comp_targetILNS1_3genE3ELNS1_11target_archE908ELNS1_3gpuE7ELNS1_3repE0EEENS1_30default_config_static_selectorELNS0_4arch9wavefront6targetE1EEEvT1_
                                        ; -- End function
	.section	.AMDGPU.csdata,"",@progbits
; Kernel info:
; codeLenInByte = 0
; NumSgprs: 6
; NumVgprs: 0
; NumAgprs: 0
; TotalNumVgprs: 0
; ScratchSize: 0
; MemoryBound: 0
; FloatMode: 240
; IeeeMode: 1
; LDSByteSize: 0 bytes/workgroup (compile time only)
; SGPRBlocks: 0
; VGPRBlocks: 0
; NumSGPRsForWavesPerEU: 6
; NumVGPRsForWavesPerEU: 1
; AccumOffset: 4
; Occupancy: 8
; WaveLimiterHint : 0
; COMPUTE_PGM_RSRC2:SCRATCH_EN: 0
; COMPUTE_PGM_RSRC2:USER_SGPR: 2
; COMPUTE_PGM_RSRC2:TRAP_HANDLER: 0
; COMPUTE_PGM_RSRC2:TGID_X_EN: 1
; COMPUTE_PGM_RSRC2:TGID_Y_EN: 0
; COMPUTE_PGM_RSRC2:TGID_Z_EN: 0
; COMPUTE_PGM_RSRC2:TIDIG_COMP_CNT: 0
; COMPUTE_PGM_RSRC3_GFX90A:ACCUM_OFFSET: 0
; COMPUTE_PGM_RSRC3_GFX90A:TG_SPLIT: 0
	.section	.text._ZN7rocprim17ROCPRIM_400000_NS6detail17trampoline_kernelINS0_14default_configENS1_25partition_config_selectorILNS1_17partition_subalgoE3EyNS0_10empty_typeEbEEZZNS1_14partition_implILS5_3ELb0ES3_jN6thrust23THRUST_200600_302600_NS6detail15normal_iteratorINSA_7pointerIyNSA_11hip_rocprim3tagENSA_11use_defaultESG_EEEEPS6_SJ_NS0_5tupleIJPySJ_EEENSK_IJSJ_SJ_EEES6_PlJ7is_evenIyEEEE10hipError_tPvRmT3_T4_T5_T6_T7_T9_mT8_P12ihipStream_tbDpT10_ENKUlT_T0_E_clISt17integral_constantIbLb1EES1A_EEDaS15_S16_EUlS15_E_NS1_11comp_targetILNS1_3genE2ELNS1_11target_archE906ELNS1_3gpuE6ELNS1_3repE0EEENS1_30default_config_static_selectorELNS0_4arch9wavefront6targetE1EEEvT1_,"axG",@progbits,_ZN7rocprim17ROCPRIM_400000_NS6detail17trampoline_kernelINS0_14default_configENS1_25partition_config_selectorILNS1_17partition_subalgoE3EyNS0_10empty_typeEbEEZZNS1_14partition_implILS5_3ELb0ES3_jN6thrust23THRUST_200600_302600_NS6detail15normal_iteratorINSA_7pointerIyNSA_11hip_rocprim3tagENSA_11use_defaultESG_EEEEPS6_SJ_NS0_5tupleIJPySJ_EEENSK_IJSJ_SJ_EEES6_PlJ7is_evenIyEEEE10hipError_tPvRmT3_T4_T5_T6_T7_T9_mT8_P12ihipStream_tbDpT10_ENKUlT_T0_E_clISt17integral_constantIbLb1EES1A_EEDaS15_S16_EUlS15_E_NS1_11comp_targetILNS1_3genE2ELNS1_11target_archE906ELNS1_3gpuE6ELNS1_3repE0EEENS1_30default_config_static_selectorELNS0_4arch9wavefront6targetE1EEEvT1_,comdat
	.protected	_ZN7rocprim17ROCPRIM_400000_NS6detail17trampoline_kernelINS0_14default_configENS1_25partition_config_selectorILNS1_17partition_subalgoE3EyNS0_10empty_typeEbEEZZNS1_14partition_implILS5_3ELb0ES3_jN6thrust23THRUST_200600_302600_NS6detail15normal_iteratorINSA_7pointerIyNSA_11hip_rocprim3tagENSA_11use_defaultESG_EEEEPS6_SJ_NS0_5tupleIJPySJ_EEENSK_IJSJ_SJ_EEES6_PlJ7is_evenIyEEEE10hipError_tPvRmT3_T4_T5_T6_T7_T9_mT8_P12ihipStream_tbDpT10_ENKUlT_T0_E_clISt17integral_constantIbLb1EES1A_EEDaS15_S16_EUlS15_E_NS1_11comp_targetILNS1_3genE2ELNS1_11target_archE906ELNS1_3gpuE6ELNS1_3repE0EEENS1_30default_config_static_selectorELNS0_4arch9wavefront6targetE1EEEvT1_ ; -- Begin function _ZN7rocprim17ROCPRIM_400000_NS6detail17trampoline_kernelINS0_14default_configENS1_25partition_config_selectorILNS1_17partition_subalgoE3EyNS0_10empty_typeEbEEZZNS1_14partition_implILS5_3ELb0ES3_jN6thrust23THRUST_200600_302600_NS6detail15normal_iteratorINSA_7pointerIyNSA_11hip_rocprim3tagENSA_11use_defaultESG_EEEEPS6_SJ_NS0_5tupleIJPySJ_EEENSK_IJSJ_SJ_EEES6_PlJ7is_evenIyEEEE10hipError_tPvRmT3_T4_T5_T6_T7_T9_mT8_P12ihipStream_tbDpT10_ENKUlT_T0_E_clISt17integral_constantIbLb1EES1A_EEDaS15_S16_EUlS15_E_NS1_11comp_targetILNS1_3genE2ELNS1_11target_archE906ELNS1_3gpuE6ELNS1_3repE0EEENS1_30default_config_static_selectorELNS0_4arch9wavefront6targetE1EEEvT1_
	.globl	_ZN7rocprim17ROCPRIM_400000_NS6detail17trampoline_kernelINS0_14default_configENS1_25partition_config_selectorILNS1_17partition_subalgoE3EyNS0_10empty_typeEbEEZZNS1_14partition_implILS5_3ELb0ES3_jN6thrust23THRUST_200600_302600_NS6detail15normal_iteratorINSA_7pointerIyNSA_11hip_rocprim3tagENSA_11use_defaultESG_EEEEPS6_SJ_NS0_5tupleIJPySJ_EEENSK_IJSJ_SJ_EEES6_PlJ7is_evenIyEEEE10hipError_tPvRmT3_T4_T5_T6_T7_T9_mT8_P12ihipStream_tbDpT10_ENKUlT_T0_E_clISt17integral_constantIbLb1EES1A_EEDaS15_S16_EUlS15_E_NS1_11comp_targetILNS1_3genE2ELNS1_11target_archE906ELNS1_3gpuE6ELNS1_3repE0EEENS1_30default_config_static_selectorELNS0_4arch9wavefront6targetE1EEEvT1_
	.p2align	8
	.type	_ZN7rocprim17ROCPRIM_400000_NS6detail17trampoline_kernelINS0_14default_configENS1_25partition_config_selectorILNS1_17partition_subalgoE3EyNS0_10empty_typeEbEEZZNS1_14partition_implILS5_3ELb0ES3_jN6thrust23THRUST_200600_302600_NS6detail15normal_iteratorINSA_7pointerIyNSA_11hip_rocprim3tagENSA_11use_defaultESG_EEEEPS6_SJ_NS0_5tupleIJPySJ_EEENSK_IJSJ_SJ_EEES6_PlJ7is_evenIyEEEE10hipError_tPvRmT3_T4_T5_T6_T7_T9_mT8_P12ihipStream_tbDpT10_ENKUlT_T0_E_clISt17integral_constantIbLb1EES1A_EEDaS15_S16_EUlS15_E_NS1_11comp_targetILNS1_3genE2ELNS1_11target_archE906ELNS1_3gpuE6ELNS1_3repE0EEENS1_30default_config_static_selectorELNS0_4arch9wavefront6targetE1EEEvT1_,@function
_ZN7rocprim17ROCPRIM_400000_NS6detail17trampoline_kernelINS0_14default_configENS1_25partition_config_selectorILNS1_17partition_subalgoE3EyNS0_10empty_typeEbEEZZNS1_14partition_implILS5_3ELb0ES3_jN6thrust23THRUST_200600_302600_NS6detail15normal_iteratorINSA_7pointerIyNSA_11hip_rocprim3tagENSA_11use_defaultESG_EEEEPS6_SJ_NS0_5tupleIJPySJ_EEENSK_IJSJ_SJ_EEES6_PlJ7is_evenIyEEEE10hipError_tPvRmT3_T4_T5_T6_T7_T9_mT8_P12ihipStream_tbDpT10_ENKUlT_T0_E_clISt17integral_constantIbLb1EES1A_EEDaS15_S16_EUlS15_E_NS1_11comp_targetILNS1_3genE2ELNS1_11target_archE906ELNS1_3gpuE6ELNS1_3repE0EEENS1_30default_config_static_selectorELNS0_4arch9wavefront6targetE1EEEvT1_: ; @_ZN7rocprim17ROCPRIM_400000_NS6detail17trampoline_kernelINS0_14default_configENS1_25partition_config_selectorILNS1_17partition_subalgoE3EyNS0_10empty_typeEbEEZZNS1_14partition_implILS5_3ELb0ES3_jN6thrust23THRUST_200600_302600_NS6detail15normal_iteratorINSA_7pointerIyNSA_11hip_rocprim3tagENSA_11use_defaultESG_EEEEPS6_SJ_NS0_5tupleIJPySJ_EEENSK_IJSJ_SJ_EEES6_PlJ7is_evenIyEEEE10hipError_tPvRmT3_T4_T5_T6_T7_T9_mT8_P12ihipStream_tbDpT10_ENKUlT_T0_E_clISt17integral_constantIbLb1EES1A_EEDaS15_S16_EUlS15_E_NS1_11comp_targetILNS1_3genE2ELNS1_11target_archE906ELNS1_3gpuE6ELNS1_3repE0EEENS1_30default_config_static_selectorELNS0_4arch9wavefront6targetE1EEEvT1_
; %bb.0:
	.section	.rodata,"a",@progbits
	.p2align	6, 0x0
	.amdhsa_kernel _ZN7rocprim17ROCPRIM_400000_NS6detail17trampoline_kernelINS0_14default_configENS1_25partition_config_selectorILNS1_17partition_subalgoE3EyNS0_10empty_typeEbEEZZNS1_14partition_implILS5_3ELb0ES3_jN6thrust23THRUST_200600_302600_NS6detail15normal_iteratorINSA_7pointerIyNSA_11hip_rocprim3tagENSA_11use_defaultESG_EEEEPS6_SJ_NS0_5tupleIJPySJ_EEENSK_IJSJ_SJ_EEES6_PlJ7is_evenIyEEEE10hipError_tPvRmT3_T4_T5_T6_T7_T9_mT8_P12ihipStream_tbDpT10_ENKUlT_T0_E_clISt17integral_constantIbLb1EES1A_EEDaS15_S16_EUlS15_E_NS1_11comp_targetILNS1_3genE2ELNS1_11target_archE906ELNS1_3gpuE6ELNS1_3repE0EEENS1_30default_config_static_selectorELNS0_4arch9wavefront6targetE1EEEvT1_
		.amdhsa_group_segment_fixed_size 0
		.amdhsa_private_segment_fixed_size 0
		.amdhsa_kernarg_size 136
		.amdhsa_user_sgpr_count 2
		.amdhsa_user_sgpr_dispatch_ptr 0
		.amdhsa_user_sgpr_queue_ptr 0
		.amdhsa_user_sgpr_kernarg_segment_ptr 1
		.amdhsa_user_sgpr_dispatch_id 0
		.amdhsa_user_sgpr_kernarg_preload_length 0
		.amdhsa_user_sgpr_kernarg_preload_offset 0
		.amdhsa_user_sgpr_private_segment_size 0
		.amdhsa_uses_dynamic_stack 0
		.amdhsa_enable_private_segment 0
		.amdhsa_system_sgpr_workgroup_id_x 1
		.amdhsa_system_sgpr_workgroup_id_y 0
		.amdhsa_system_sgpr_workgroup_id_z 0
		.amdhsa_system_sgpr_workgroup_info 0
		.amdhsa_system_vgpr_workitem_id 0
		.amdhsa_next_free_vgpr 1
		.amdhsa_next_free_sgpr 0
		.amdhsa_accum_offset 4
		.amdhsa_reserve_vcc 0
		.amdhsa_float_round_mode_32 0
		.amdhsa_float_round_mode_16_64 0
		.amdhsa_float_denorm_mode_32 3
		.amdhsa_float_denorm_mode_16_64 3
		.amdhsa_dx10_clamp 1
		.amdhsa_ieee_mode 1
		.amdhsa_fp16_overflow 0
		.amdhsa_tg_split 0
		.amdhsa_exception_fp_ieee_invalid_op 0
		.amdhsa_exception_fp_denorm_src 0
		.amdhsa_exception_fp_ieee_div_zero 0
		.amdhsa_exception_fp_ieee_overflow 0
		.amdhsa_exception_fp_ieee_underflow 0
		.amdhsa_exception_fp_ieee_inexact 0
		.amdhsa_exception_int_div_zero 0
	.end_amdhsa_kernel
	.section	.text._ZN7rocprim17ROCPRIM_400000_NS6detail17trampoline_kernelINS0_14default_configENS1_25partition_config_selectorILNS1_17partition_subalgoE3EyNS0_10empty_typeEbEEZZNS1_14partition_implILS5_3ELb0ES3_jN6thrust23THRUST_200600_302600_NS6detail15normal_iteratorINSA_7pointerIyNSA_11hip_rocprim3tagENSA_11use_defaultESG_EEEEPS6_SJ_NS0_5tupleIJPySJ_EEENSK_IJSJ_SJ_EEES6_PlJ7is_evenIyEEEE10hipError_tPvRmT3_T4_T5_T6_T7_T9_mT8_P12ihipStream_tbDpT10_ENKUlT_T0_E_clISt17integral_constantIbLb1EES1A_EEDaS15_S16_EUlS15_E_NS1_11comp_targetILNS1_3genE2ELNS1_11target_archE906ELNS1_3gpuE6ELNS1_3repE0EEENS1_30default_config_static_selectorELNS0_4arch9wavefront6targetE1EEEvT1_,"axG",@progbits,_ZN7rocprim17ROCPRIM_400000_NS6detail17trampoline_kernelINS0_14default_configENS1_25partition_config_selectorILNS1_17partition_subalgoE3EyNS0_10empty_typeEbEEZZNS1_14partition_implILS5_3ELb0ES3_jN6thrust23THRUST_200600_302600_NS6detail15normal_iteratorINSA_7pointerIyNSA_11hip_rocprim3tagENSA_11use_defaultESG_EEEEPS6_SJ_NS0_5tupleIJPySJ_EEENSK_IJSJ_SJ_EEES6_PlJ7is_evenIyEEEE10hipError_tPvRmT3_T4_T5_T6_T7_T9_mT8_P12ihipStream_tbDpT10_ENKUlT_T0_E_clISt17integral_constantIbLb1EES1A_EEDaS15_S16_EUlS15_E_NS1_11comp_targetILNS1_3genE2ELNS1_11target_archE906ELNS1_3gpuE6ELNS1_3repE0EEENS1_30default_config_static_selectorELNS0_4arch9wavefront6targetE1EEEvT1_,comdat
.Lfunc_end686:
	.size	_ZN7rocprim17ROCPRIM_400000_NS6detail17trampoline_kernelINS0_14default_configENS1_25partition_config_selectorILNS1_17partition_subalgoE3EyNS0_10empty_typeEbEEZZNS1_14partition_implILS5_3ELb0ES3_jN6thrust23THRUST_200600_302600_NS6detail15normal_iteratorINSA_7pointerIyNSA_11hip_rocprim3tagENSA_11use_defaultESG_EEEEPS6_SJ_NS0_5tupleIJPySJ_EEENSK_IJSJ_SJ_EEES6_PlJ7is_evenIyEEEE10hipError_tPvRmT3_T4_T5_T6_T7_T9_mT8_P12ihipStream_tbDpT10_ENKUlT_T0_E_clISt17integral_constantIbLb1EES1A_EEDaS15_S16_EUlS15_E_NS1_11comp_targetILNS1_3genE2ELNS1_11target_archE906ELNS1_3gpuE6ELNS1_3repE0EEENS1_30default_config_static_selectorELNS0_4arch9wavefront6targetE1EEEvT1_, .Lfunc_end686-_ZN7rocprim17ROCPRIM_400000_NS6detail17trampoline_kernelINS0_14default_configENS1_25partition_config_selectorILNS1_17partition_subalgoE3EyNS0_10empty_typeEbEEZZNS1_14partition_implILS5_3ELb0ES3_jN6thrust23THRUST_200600_302600_NS6detail15normal_iteratorINSA_7pointerIyNSA_11hip_rocprim3tagENSA_11use_defaultESG_EEEEPS6_SJ_NS0_5tupleIJPySJ_EEENSK_IJSJ_SJ_EEES6_PlJ7is_evenIyEEEE10hipError_tPvRmT3_T4_T5_T6_T7_T9_mT8_P12ihipStream_tbDpT10_ENKUlT_T0_E_clISt17integral_constantIbLb1EES1A_EEDaS15_S16_EUlS15_E_NS1_11comp_targetILNS1_3genE2ELNS1_11target_archE906ELNS1_3gpuE6ELNS1_3repE0EEENS1_30default_config_static_selectorELNS0_4arch9wavefront6targetE1EEEvT1_
                                        ; -- End function
	.section	.AMDGPU.csdata,"",@progbits
; Kernel info:
; codeLenInByte = 0
; NumSgprs: 6
; NumVgprs: 0
; NumAgprs: 0
; TotalNumVgprs: 0
; ScratchSize: 0
; MemoryBound: 0
; FloatMode: 240
; IeeeMode: 1
; LDSByteSize: 0 bytes/workgroup (compile time only)
; SGPRBlocks: 0
; VGPRBlocks: 0
; NumSGPRsForWavesPerEU: 6
; NumVGPRsForWavesPerEU: 1
; AccumOffset: 4
; Occupancy: 8
; WaveLimiterHint : 0
; COMPUTE_PGM_RSRC2:SCRATCH_EN: 0
; COMPUTE_PGM_RSRC2:USER_SGPR: 2
; COMPUTE_PGM_RSRC2:TRAP_HANDLER: 0
; COMPUTE_PGM_RSRC2:TGID_X_EN: 1
; COMPUTE_PGM_RSRC2:TGID_Y_EN: 0
; COMPUTE_PGM_RSRC2:TGID_Z_EN: 0
; COMPUTE_PGM_RSRC2:TIDIG_COMP_CNT: 0
; COMPUTE_PGM_RSRC3_GFX90A:ACCUM_OFFSET: 0
; COMPUTE_PGM_RSRC3_GFX90A:TG_SPLIT: 0
	.section	.text._ZN7rocprim17ROCPRIM_400000_NS6detail17trampoline_kernelINS0_14default_configENS1_25partition_config_selectorILNS1_17partition_subalgoE3EyNS0_10empty_typeEbEEZZNS1_14partition_implILS5_3ELb0ES3_jN6thrust23THRUST_200600_302600_NS6detail15normal_iteratorINSA_7pointerIyNSA_11hip_rocprim3tagENSA_11use_defaultESG_EEEEPS6_SJ_NS0_5tupleIJPySJ_EEENSK_IJSJ_SJ_EEES6_PlJ7is_evenIyEEEE10hipError_tPvRmT3_T4_T5_T6_T7_T9_mT8_P12ihipStream_tbDpT10_ENKUlT_T0_E_clISt17integral_constantIbLb1EES1A_EEDaS15_S16_EUlS15_E_NS1_11comp_targetILNS1_3genE10ELNS1_11target_archE1200ELNS1_3gpuE4ELNS1_3repE0EEENS1_30default_config_static_selectorELNS0_4arch9wavefront6targetE1EEEvT1_,"axG",@progbits,_ZN7rocprim17ROCPRIM_400000_NS6detail17trampoline_kernelINS0_14default_configENS1_25partition_config_selectorILNS1_17partition_subalgoE3EyNS0_10empty_typeEbEEZZNS1_14partition_implILS5_3ELb0ES3_jN6thrust23THRUST_200600_302600_NS6detail15normal_iteratorINSA_7pointerIyNSA_11hip_rocprim3tagENSA_11use_defaultESG_EEEEPS6_SJ_NS0_5tupleIJPySJ_EEENSK_IJSJ_SJ_EEES6_PlJ7is_evenIyEEEE10hipError_tPvRmT3_T4_T5_T6_T7_T9_mT8_P12ihipStream_tbDpT10_ENKUlT_T0_E_clISt17integral_constantIbLb1EES1A_EEDaS15_S16_EUlS15_E_NS1_11comp_targetILNS1_3genE10ELNS1_11target_archE1200ELNS1_3gpuE4ELNS1_3repE0EEENS1_30default_config_static_selectorELNS0_4arch9wavefront6targetE1EEEvT1_,comdat
	.protected	_ZN7rocprim17ROCPRIM_400000_NS6detail17trampoline_kernelINS0_14default_configENS1_25partition_config_selectorILNS1_17partition_subalgoE3EyNS0_10empty_typeEbEEZZNS1_14partition_implILS5_3ELb0ES3_jN6thrust23THRUST_200600_302600_NS6detail15normal_iteratorINSA_7pointerIyNSA_11hip_rocprim3tagENSA_11use_defaultESG_EEEEPS6_SJ_NS0_5tupleIJPySJ_EEENSK_IJSJ_SJ_EEES6_PlJ7is_evenIyEEEE10hipError_tPvRmT3_T4_T5_T6_T7_T9_mT8_P12ihipStream_tbDpT10_ENKUlT_T0_E_clISt17integral_constantIbLb1EES1A_EEDaS15_S16_EUlS15_E_NS1_11comp_targetILNS1_3genE10ELNS1_11target_archE1200ELNS1_3gpuE4ELNS1_3repE0EEENS1_30default_config_static_selectorELNS0_4arch9wavefront6targetE1EEEvT1_ ; -- Begin function _ZN7rocprim17ROCPRIM_400000_NS6detail17trampoline_kernelINS0_14default_configENS1_25partition_config_selectorILNS1_17partition_subalgoE3EyNS0_10empty_typeEbEEZZNS1_14partition_implILS5_3ELb0ES3_jN6thrust23THRUST_200600_302600_NS6detail15normal_iteratorINSA_7pointerIyNSA_11hip_rocprim3tagENSA_11use_defaultESG_EEEEPS6_SJ_NS0_5tupleIJPySJ_EEENSK_IJSJ_SJ_EEES6_PlJ7is_evenIyEEEE10hipError_tPvRmT3_T4_T5_T6_T7_T9_mT8_P12ihipStream_tbDpT10_ENKUlT_T0_E_clISt17integral_constantIbLb1EES1A_EEDaS15_S16_EUlS15_E_NS1_11comp_targetILNS1_3genE10ELNS1_11target_archE1200ELNS1_3gpuE4ELNS1_3repE0EEENS1_30default_config_static_selectorELNS0_4arch9wavefront6targetE1EEEvT1_
	.globl	_ZN7rocprim17ROCPRIM_400000_NS6detail17trampoline_kernelINS0_14default_configENS1_25partition_config_selectorILNS1_17partition_subalgoE3EyNS0_10empty_typeEbEEZZNS1_14partition_implILS5_3ELb0ES3_jN6thrust23THRUST_200600_302600_NS6detail15normal_iteratorINSA_7pointerIyNSA_11hip_rocprim3tagENSA_11use_defaultESG_EEEEPS6_SJ_NS0_5tupleIJPySJ_EEENSK_IJSJ_SJ_EEES6_PlJ7is_evenIyEEEE10hipError_tPvRmT3_T4_T5_T6_T7_T9_mT8_P12ihipStream_tbDpT10_ENKUlT_T0_E_clISt17integral_constantIbLb1EES1A_EEDaS15_S16_EUlS15_E_NS1_11comp_targetILNS1_3genE10ELNS1_11target_archE1200ELNS1_3gpuE4ELNS1_3repE0EEENS1_30default_config_static_selectorELNS0_4arch9wavefront6targetE1EEEvT1_
	.p2align	8
	.type	_ZN7rocprim17ROCPRIM_400000_NS6detail17trampoline_kernelINS0_14default_configENS1_25partition_config_selectorILNS1_17partition_subalgoE3EyNS0_10empty_typeEbEEZZNS1_14partition_implILS5_3ELb0ES3_jN6thrust23THRUST_200600_302600_NS6detail15normal_iteratorINSA_7pointerIyNSA_11hip_rocprim3tagENSA_11use_defaultESG_EEEEPS6_SJ_NS0_5tupleIJPySJ_EEENSK_IJSJ_SJ_EEES6_PlJ7is_evenIyEEEE10hipError_tPvRmT3_T4_T5_T6_T7_T9_mT8_P12ihipStream_tbDpT10_ENKUlT_T0_E_clISt17integral_constantIbLb1EES1A_EEDaS15_S16_EUlS15_E_NS1_11comp_targetILNS1_3genE10ELNS1_11target_archE1200ELNS1_3gpuE4ELNS1_3repE0EEENS1_30default_config_static_selectorELNS0_4arch9wavefront6targetE1EEEvT1_,@function
_ZN7rocprim17ROCPRIM_400000_NS6detail17trampoline_kernelINS0_14default_configENS1_25partition_config_selectorILNS1_17partition_subalgoE3EyNS0_10empty_typeEbEEZZNS1_14partition_implILS5_3ELb0ES3_jN6thrust23THRUST_200600_302600_NS6detail15normal_iteratorINSA_7pointerIyNSA_11hip_rocprim3tagENSA_11use_defaultESG_EEEEPS6_SJ_NS0_5tupleIJPySJ_EEENSK_IJSJ_SJ_EEES6_PlJ7is_evenIyEEEE10hipError_tPvRmT3_T4_T5_T6_T7_T9_mT8_P12ihipStream_tbDpT10_ENKUlT_T0_E_clISt17integral_constantIbLb1EES1A_EEDaS15_S16_EUlS15_E_NS1_11comp_targetILNS1_3genE10ELNS1_11target_archE1200ELNS1_3gpuE4ELNS1_3repE0EEENS1_30default_config_static_selectorELNS0_4arch9wavefront6targetE1EEEvT1_: ; @_ZN7rocprim17ROCPRIM_400000_NS6detail17trampoline_kernelINS0_14default_configENS1_25partition_config_selectorILNS1_17partition_subalgoE3EyNS0_10empty_typeEbEEZZNS1_14partition_implILS5_3ELb0ES3_jN6thrust23THRUST_200600_302600_NS6detail15normal_iteratorINSA_7pointerIyNSA_11hip_rocprim3tagENSA_11use_defaultESG_EEEEPS6_SJ_NS0_5tupleIJPySJ_EEENSK_IJSJ_SJ_EEES6_PlJ7is_evenIyEEEE10hipError_tPvRmT3_T4_T5_T6_T7_T9_mT8_P12ihipStream_tbDpT10_ENKUlT_T0_E_clISt17integral_constantIbLb1EES1A_EEDaS15_S16_EUlS15_E_NS1_11comp_targetILNS1_3genE10ELNS1_11target_archE1200ELNS1_3gpuE4ELNS1_3repE0EEENS1_30default_config_static_selectorELNS0_4arch9wavefront6targetE1EEEvT1_
; %bb.0:
	.section	.rodata,"a",@progbits
	.p2align	6, 0x0
	.amdhsa_kernel _ZN7rocprim17ROCPRIM_400000_NS6detail17trampoline_kernelINS0_14default_configENS1_25partition_config_selectorILNS1_17partition_subalgoE3EyNS0_10empty_typeEbEEZZNS1_14partition_implILS5_3ELb0ES3_jN6thrust23THRUST_200600_302600_NS6detail15normal_iteratorINSA_7pointerIyNSA_11hip_rocprim3tagENSA_11use_defaultESG_EEEEPS6_SJ_NS0_5tupleIJPySJ_EEENSK_IJSJ_SJ_EEES6_PlJ7is_evenIyEEEE10hipError_tPvRmT3_T4_T5_T6_T7_T9_mT8_P12ihipStream_tbDpT10_ENKUlT_T0_E_clISt17integral_constantIbLb1EES1A_EEDaS15_S16_EUlS15_E_NS1_11comp_targetILNS1_3genE10ELNS1_11target_archE1200ELNS1_3gpuE4ELNS1_3repE0EEENS1_30default_config_static_selectorELNS0_4arch9wavefront6targetE1EEEvT1_
		.amdhsa_group_segment_fixed_size 0
		.amdhsa_private_segment_fixed_size 0
		.amdhsa_kernarg_size 136
		.amdhsa_user_sgpr_count 2
		.amdhsa_user_sgpr_dispatch_ptr 0
		.amdhsa_user_sgpr_queue_ptr 0
		.amdhsa_user_sgpr_kernarg_segment_ptr 1
		.amdhsa_user_sgpr_dispatch_id 0
		.amdhsa_user_sgpr_kernarg_preload_length 0
		.amdhsa_user_sgpr_kernarg_preload_offset 0
		.amdhsa_user_sgpr_private_segment_size 0
		.amdhsa_uses_dynamic_stack 0
		.amdhsa_enable_private_segment 0
		.amdhsa_system_sgpr_workgroup_id_x 1
		.amdhsa_system_sgpr_workgroup_id_y 0
		.amdhsa_system_sgpr_workgroup_id_z 0
		.amdhsa_system_sgpr_workgroup_info 0
		.amdhsa_system_vgpr_workitem_id 0
		.amdhsa_next_free_vgpr 1
		.amdhsa_next_free_sgpr 0
		.amdhsa_accum_offset 4
		.amdhsa_reserve_vcc 0
		.amdhsa_float_round_mode_32 0
		.amdhsa_float_round_mode_16_64 0
		.amdhsa_float_denorm_mode_32 3
		.amdhsa_float_denorm_mode_16_64 3
		.amdhsa_dx10_clamp 1
		.amdhsa_ieee_mode 1
		.amdhsa_fp16_overflow 0
		.amdhsa_tg_split 0
		.amdhsa_exception_fp_ieee_invalid_op 0
		.amdhsa_exception_fp_denorm_src 0
		.amdhsa_exception_fp_ieee_div_zero 0
		.amdhsa_exception_fp_ieee_overflow 0
		.amdhsa_exception_fp_ieee_underflow 0
		.amdhsa_exception_fp_ieee_inexact 0
		.amdhsa_exception_int_div_zero 0
	.end_amdhsa_kernel
	.section	.text._ZN7rocprim17ROCPRIM_400000_NS6detail17trampoline_kernelINS0_14default_configENS1_25partition_config_selectorILNS1_17partition_subalgoE3EyNS0_10empty_typeEbEEZZNS1_14partition_implILS5_3ELb0ES3_jN6thrust23THRUST_200600_302600_NS6detail15normal_iteratorINSA_7pointerIyNSA_11hip_rocprim3tagENSA_11use_defaultESG_EEEEPS6_SJ_NS0_5tupleIJPySJ_EEENSK_IJSJ_SJ_EEES6_PlJ7is_evenIyEEEE10hipError_tPvRmT3_T4_T5_T6_T7_T9_mT8_P12ihipStream_tbDpT10_ENKUlT_T0_E_clISt17integral_constantIbLb1EES1A_EEDaS15_S16_EUlS15_E_NS1_11comp_targetILNS1_3genE10ELNS1_11target_archE1200ELNS1_3gpuE4ELNS1_3repE0EEENS1_30default_config_static_selectorELNS0_4arch9wavefront6targetE1EEEvT1_,"axG",@progbits,_ZN7rocprim17ROCPRIM_400000_NS6detail17trampoline_kernelINS0_14default_configENS1_25partition_config_selectorILNS1_17partition_subalgoE3EyNS0_10empty_typeEbEEZZNS1_14partition_implILS5_3ELb0ES3_jN6thrust23THRUST_200600_302600_NS6detail15normal_iteratorINSA_7pointerIyNSA_11hip_rocprim3tagENSA_11use_defaultESG_EEEEPS6_SJ_NS0_5tupleIJPySJ_EEENSK_IJSJ_SJ_EEES6_PlJ7is_evenIyEEEE10hipError_tPvRmT3_T4_T5_T6_T7_T9_mT8_P12ihipStream_tbDpT10_ENKUlT_T0_E_clISt17integral_constantIbLb1EES1A_EEDaS15_S16_EUlS15_E_NS1_11comp_targetILNS1_3genE10ELNS1_11target_archE1200ELNS1_3gpuE4ELNS1_3repE0EEENS1_30default_config_static_selectorELNS0_4arch9wavefront6targetE1EEEvT1_,comdat
.Lfunc_end687:
	.size	_ZN7rocprim17ROCPRIM_400000_NS6detail17trampoline_kernelINS0_14default_configENS1_25partition_config_selectorILNS1_17partition_subalgoE3EyNS0_10empty_typeEbEEZZNS1_14partition_implILS5_3ELb0ES3_jN6thrust23THRUST_200600_302600_NS6detail15normal_iteratorINSA_7pointerIyNSA_11hip_rocprim3tagENSA_11use_defaultESG_EEEEPS6_SJ_NS0_5tupleIJPySJ_EEENSK_IJSJ_SJ_EEES6_PlJ7is_evenIyEEEE10hipError_tPvRmT3_T4_T5_T6_T7_T9_mT8_P12ihipStream_tbDpT10_ENKUlT_T0_E_clISt17integral_constantIbLb1EES1A_EEDaS15_S16_EUlS15_E_NS1_11comp_targetILNS1_3genE10ELNS1_11target_archE1200ELNS1_3gpuE4ELNS1_3repE0EEENS1_30default_config_static_selectorELNS0_4arch9wavefront6targetE1EEEvT1_, .Lfunc_end687-_ZN7rocprim17ROCPRIM_400000_NS6detail17trampoline_kernelINS0_14default_configENS1_25partition_config_selectorILNS1_17partition_subalgoE3EyNS0_10empty_typeEbEEZZNS1_14partition_implILS5_3ELb0ES3_jN6thrust23THRUST_200600_302600_NS6detail15normal_iteratorINSA_7pointerIyNSA_11hip_rocprim3tagENSA_11use_defaultESG_EEEEPS6_SJ_NS0_5tupleIJPySJ_EEENSK_IJSJ_SJ_EEES6_PlJ7is_evenIyEEEE10hipError_tPvRmT3_T4_T5_T6_T7_T9_mT8_P12ihipStream_tbDpT10_ENKUlT_T0_E_clISt17integral_constantIbLb1EES1A_EEDaS15_S16_EUlS15_E_NS1_11comp_targetILNS1_3genE10ELNS1_11target_archE1200ELNS1_3gpuE4ELNS1_3repE0EEENS1_30default_config_static_selectorELNS0_4arch9wavefront6targetE1EEEvT1_
                                        ; -- End function
	.section	.AMDGPU.csdata,"",@progbits
; Kernel info:
; codeLenInByte = 0
; NumSgprs: 6
; NumVgprs: 0
; NumAgprs: 0
; TotalNumVgprs: 0
; ScratchSize: 0
; MemoryBound: 0
; FloatMode: 240
; IeeeMode: 1
; LDSByteSize: 0 bytes/workgroup (compile time only)
; SGPRBlocks: 0
; VGPRBlocks: 0
; NumSGPRsForWavesPerEU: 6
; NumVGPRsForWavesPerEU: 1
; AccumOffset: 4
; Occupancy: 8
; WaveLimiterHint : 0
; COMPUTE_PGM_RSRC2:SCRATCH_EN: 0
; COMPUTE_PGM_RSRC2:USER_SGPR: 2
; COMPUTE_PGM_RSRC2:TRAP_HANDLER: 0
; COMPUTE_PGM_RSRC2:TGID_X_EN: 1
; COMPUTE_PGM_RSRC2:TGID_Y_EN: 0
; COMPUTE_PGM_RSRC2:TGID_Z_EN: 0
; COMPUTE_PGM_RSRC2:TIDIG_COMP_CNT: 0
; COMPUTE_PGM_RSRC3_GFX90A:ACCUM_OFFSET: 0
; COMPUTE_PGM_RSRC3_GFX90A:TG_SPLIT: 0
	.section	.text._ZN7rocprim17ROCPRIM_400000_NS6detail17trampoline_kernelINS0_14default_configENS1_25partition_config_selectorILNS1_17partition_subalgoE3EyNS0_10empty_typeEbEEZZNS1_14partition_implILS5_3ELb0ES3_jN6thrust23THRUST_200600_302600_NS6detail15normal_iteratorINSA_7pointerIyNSA_11hip_rocprim3tagENSA_11use_defaultESG_EEEEPS6_SJ_NS0_5tupleIJPySJ_EEENSK_IJSJ_SJ_EEES6_PlJ7is_evenIyEEEE10hipError_tPvRmT3_T4_T5_T6_T7_T9_mT8_P12ihipStream_tbDpT10_ENKUlT_T0_E_clISt17integral_constantIbLb1EES1A_EEDaS15_S16_EUlS15_E_NS1_11comp_targetILNS1_3genE9ELNS1_11target_archE1100ELNS1_3gpuE3ELNS1_3repE0EEENS1_30default_config_static_selectorELNS0_4arch9wavefront6targetE1EEEvT1_,"axG",@progbits,_ZN7rocprim17ROCPRIM_400000_NS6detail17trampoline_kernelINS0_14default_configENS1_25partition_config_selectorILNS1_17partition_subalgoE3EyNS0_10empty_typeEbEEZZNS1_14partition_implILS5_3ELb0ES3_jN6thrust23THRUST_200600_302600_NS6detail15normal_iteratorINSA_7pointerIyNSA_11hip_rocprim3tagENSA_11use_defaultESG_EEEEPS6_SJ_NS0_5tupleIJPySJ_EEENSK_IJSJ_SJ_EEES6_PlJ7is_evenIyEEEE10hipError_tPvRmT3_T4_T5_T6_T7_T9_mT8_P12ihipStream_tbDpT10_ENKUlT_T0_E_clISt17integral_constantIbLb1EES1A_EEDaS15_S16_EUlS15_E_NS1_11comp_targetILNS1_3genE9ELNS1_11target_archE1100ELNS1_3gpuE3ELNS1_3repE0EEENS1_30default_config_static_selectorELNS0_4arch9wavefront6targetE1EEEvT1_,comdat
	.protected	_ZN7rocprim17ROCPRIM_400000_NS6detail17trampoline_kernelINS0_14default_configENS1_25partition_config_selectorILNS1_17partition_subalgoE3EyNS0_10empty_typeEbEEZZNS1_14partition_implILS5_3ELb0ES3_jN6thrust23THRUST_200600_302600_NS6detail15normal_iteratorINSA_7pointerIyNSA_11hip_rocprim3tagENSA_11use_defaultESG_EEEEPS6_SJ_NS0_5tupleIJPySJ_EEENSK_IJSJ_SJ_EEES6_PlJ7is_evenIyEEEE10hipError_tPvRmT3_T4_T5_T6_T7_T9_mT8_P12ihipStream_tbDpT10_ENKUlT_T0_E_clISt17integral_constantIbLb1EES1A_EEDaS15_S16_EUlS15_E_NS1_11comp_targetILNS1_3genE9ELNS1_11target_archE1100ELNS1_3gpuE3ELNS1_3repE0EEENS1_30default_config_static_selectorELNS0_4arch9wavefront6targetE1EEEvT1_ ; -- Begin function _ZN7rocprim17ROCPRIM_400000_NS6detail17trampoline_kernelINS0_14default_configENS1_25partition_config_selectorILNS1_17partition_subalgoE3EyNS0_10empty_typeEbEEZZNS1_14partition_implILS5_3ELb0ES3_jN6thrust23THRUST_200600_302600_NS6detail15normal_iteratorINSA_7pointerIyNSA_11hip_rocprim3tagENSA_11use_defaultESG_EEEEPS6_SJ_NS0_5tupleIJPySJ_EEENSK_IJSJ_SJ_EEES6_PlJ7is_evenIyEEEE10hipError_tPvRmT3_T4_T5_T6_T7_T9_mT8_P12ihipStream_tbDpT10_ENKUlT_T0_E_clISt17integral_constantIbLb1EES1A_EEDaS15_S16_EUlS15_E_NS1_11comp_targetILNS1_3genE9ELNS1_11target_archE1100ELNS1_3gpuE3ELNS1_3repE0EEENS1_30default_config_static_selectorELNS0_4arch9wavefront6targetE1EEEvT1_
	.globl	_ZN7rocprim17ROCPRIM_400000_NS6detail17trampoline_kernelINS0_14default_configENS1_25partition_config_selectorILNS1_17partition_subalgoE3EyNS0_10empty_typeEbEEZZNS1_14partition_implILS5_3ELb0ES3_jN6thrust23THRUST_200600_302600_NS6detail15normal_iteratorINSA_7pointerIyNSA_11hip_rocprim3tagENSA_11use_defaultESG_EEEEPS6_SJ_NS0_5tupleIJPySJ_EEENSK_IJSJ_SJ_EEES6_PlJ7is_evenIyEEEE10hipError_tPvRmT3_T4_T5_T6_T7_T9_mT8_P12ihipStream_tbDpT10_ENKUlT_T0_E_clISt17integral_constantIbLb1EES1A_EEDaS15_S16_EUlS15_E_NS1_11comp_targetILNS1_3genE9ELNS1_11target_archE1100ELNS1_3gpuE3ELNS1_3repE0EEENS1_30default_config_static_selectorELNS0_4arch9wavefront6targetE1EEEvT1_
	.p2align	8
	.type	_ZN7rocprim17ROCPRIM_400000_NS6detail17trampoline_kernelINS0_14default_configENS1_25partition_config_selectorILNS1_17partition_subalgoE3EyNS0_10empty_typeEbEEZZNS1_14partition_implILS5_3ELb0ES3_jN6thrust23THRUST_200600_302600_NS6detail15normal_iteratorINSA_7pointerIyNSA_11hip_rocprim3tagENSA_11use_defaultESG_EEEEPS6_SJ_NS0_5tupleIJPySJ_EEENSK_IJSJ_SJ_EEES6_PlJ7is_evenIyEEEE10hipError_tPvRmT3_T4_T5_T6_T7_T9_mT8_P12ihipStream_tbDpT10_ENKUlT_T0_E_clISt17integral_constantIbLb1EES1A_EEDaS15_S16_EUlS15_E_NS1_11comp_targetILNS1_3genE9ELNS1_11target_archE1100ELNS1_3gpuE3ELNS1_3repE0EEENS1_30default_config_static_selectorELNS0_4arch9wavefront6targetE1EEEvT1_,@function
_ZN7rocprim17ROCPRIM_400000_NS6detail17trampoline_kernelINS0_14default_configENS1_25partition_config_selectorILNS1_17partition_subalgoE3EyNS0_10empty_typeEbEEZZNS1_14partition_implILS5_3ELb0ES3_jN6thrust23THRUST_200600_302600_NS6detail15normal_iteratorINSA_7pointerIyNSA_11hip_rocprim3tagENSA_11use_defaultESG_EEEEPS6_SJ_NS0_5tupleIJPySJ_EEENSK_IJSJ_SJ_EEES6_PlJ7is_evenIyEEEE10hipError_tPvRmT3_T4_T5_T6_T7_T9_mT8_P12ihipStream_tbDpT10_ENKUlT_T0_E_clISt17integral_constantIbLb1EES1A_EEDaS15_S16_EUlS15_E_NS1_11comp_targetILNS1_3genE9ELNS1_11target_archE1100ELNS1_3gpuE3ELNS1_3repE0EEENS1_30default_config_static_selectorELNS0_4arch9wavefront6targetE1EEEvT1_: ; @_ZN7rocprim17ROCPRIM_400000_NS6detail17trampoline_kernelINS0_14default_configENS1_25partition_config_selectorILNS1_17partition_subalgoE3EyNS0_10empty_typeEbEEZZNS1_14partition_implILS5_3ELb0ES3_jN6thrust23THRUST_200600_302600_NS6detail15normal_iteratorINSA_7pointerIyNSA_11hip_rocprim3tagENSA_11use_defaultESG_EEEEPS6_SJ_NS0_5tupleIJPySJ_EEENSK_IJSJ_SJ_EEES6_PlJ7is_evenIyEEEE10hipError_tPvRmT3_T4_T5_T6_T7_T9_mT8_P12ihipStream_tbDpT10_ENKUlT_T0_E_clISt17integral_constantIbLb1EES1A_EEDaS15_S16_EUlS15_E_NS1_11comp_targetILNS1_3genE9ELNS1_11target_archE1100ELNS1_3gpuE3ELNS1_3repE0EEENS1_30default_config_static_selectorELNS0_4arch9wavefront6targetE1EEEvT1_
; %bb.0:
	.section	.rodata,"a",@progbits
	.p2align	6, 0x0
	.amdhsa_kernel _ZN7rocprim17ROCPRIM_400000_NS6detail17trampoline_kernelINS0_14default_configENS1_25partition_config_selectorILNS1_17partition_subalgoE3EyNS0_10empty_typeEbEEZZNS1_14partition_implILS5_3ELb0ES3_jN6thrust23THRUST_200600_302600_NS6detail15normal_iteratorINSA_7pointerIyNSA_11hip_rocprim3tagENSA_11use_defaultESG_EEEEPS6_SJ_NS0_5tupleIJPySJ_EEENSK_IJSJ_SJ_EEES6_PlJ7is_evenIyEEEE10hipError_tPvRmT3_T4_T5_T6_T7_T9_mT8_P12ihipStream_tbDpT10_ENKUlT_T0_E_clISt17integral_constantIbLb1EES1A_EEDaS15_S16_EUlS15_E_NS1_11comp_targetILNS1_3genE9ELNS1_11target_archE1100ELNS1_3gpuE3ELNS1_3repE0EEENS1_30default_config_static_selectorELNS0_4arch9wavefront6targetE1EEEvT1_
		.amdhsa_group_segment_fixed_size 0
		.amdhsa_private_segment_fixed_size 0
		.amdhsa_kernarg_size 136
		.amdhsa_user_sgpr_count 2
		.amdhsa_user_sgpr_dispatch_ptr 0
		.amdhsa_user_sgpr_queue_ptr 0
		.amdhsa_user_sgpr_kernarg_segment_ptr 1
		.amdhsa_user_sgpr_dispatch_id 0
		.amdhsa_user_sgpr_kernarg_preload_length 0
		.amdhsa_user_sgpr_kernarg_preload_offset 0
		.amdhsa_user_sgpr_private_segment_size 0
		.amdhsa_uses_dynamic_stack 0
		.amdhsa_enable_private_segment 0
		.amdhsa_system_sgpr_workgroup_id_x 1
		.amdhsa_system_sgpr_workgroup_id_y 0
		.amdhsa_system_sgpr_workgroup_id_z 0
		.amdhsa_system_sgpr_workgroup_info 0
		.amdhsa_system_vgpr_workitem_id 0
		.amdhsa_next_free_vgpr 1
		.amdhsa_next_free_sgpr 0
		.amdhsa_accum_offset 4
		.amdhsa_reserve_vcc 0
		.amdhsa_float_round_mode_32 0
		.amdhsa_float_round_mode_16_64 0
		.amdhsa_float_denorm_mode_32 3
		.amdhsa_float_denorm_mode_16_64 3
		.amdhsa_dx10_clamp 1
		.amdhsa_ieee_mode 1
		.amdhsa_fp16_overflow 0
		.amdhsa_tg_split 0
		.amdhsa_exception_fp_ieee_invalid_op 0
		.amdhsa_exception_fp_denorm_src 0
		.amdhsa_exception_fp_ieee_div_zero 0
		.amdhsa_exception_fp_ieee_overflow 0
		.amdhsa_exception_fp_ieee_underflow 0
		.amdhsa_exception_fp_ieee_inexact 0
		.amdhsa_exception_int_div_zero 0
	.end_amdhsa_kernel
	.section	.text._ZN7rocprim17ROCPRIM_400000_NS6detail17trampoline_kernelINS0_14default_configENS1_25partition_config_selectorILNS1_17partition_subalgoE3EyNS0_10empty_typeEbEEZZNS1_14partition_implILS5_3ELb0ES3_jN6thrust23THRUST_200600_302600_NS6detail15normal_iteratorINSA_7pointerIyNSA_11hip_rocprim3tagENSA_11use_defaultESG_EEEEPS6_SJ_NS0_5tupleIJPySJ_EEENSK_IJSJ_SJ_EEES6_PlJ7is_evenIyEEEE10hipError_tPvRmT3_T4_T5_T6_T7_T9_mT8_P12ihipStream_tbDpT10_ENKUlT_T0_E_clISt17integral_constantIbLb1EES1A_EEDaS15_S16_EUlS15_E_NS1_11comp_targetILNS1_3genE9ELNS1_11target_archE1100ELNS1_3gpuE3ELNS1_3repE0EEENS1_30default_config_static_selectorELNS0_4arch9wavefront6targetE1EEEvT1_,"axG",@progbits,_ZN7rocprim17ROCPRIM_400000_NS6detail17trampoline_kernelINS0_14default_configENS1_25partition_config_selectorILNS1_17partition_subalgoE3EyNS0_10empty_typeEbEEZZNS1_14partition_implILS5_3ELb0ES3_jN6thrust23THRUST_200600_302600_NS6detail15normal_iteratorINSA_7pointerIyNSA_11hip_rocprim3tagENSA_11use_defaultESG_EEEEPS6_SJ_NS0_5tupleIJPySJ_EEENSK_IJSJ_SJ_EEES6_PlJ7is_evenIyEEEE10hipError_tPvRmT3_T4_T5_T6_T7_T9_mT8_P12ihipStream_tbDpT10_ENKUlT_T0_E_clISt17integral_constantIbLb1EES1A_EEDaS15_S16_EUlS15_E_NS1_11comp_targetILNS1_3genE9ELNS1_11target_archE1100ELNS1_3gpuE3ELNS1_3repE0EEENS1_30default_config_static_selectorELNS0_4arch9wavefront6targetE1EEEvT1_,comdat
.Lfunc_end688:
	.size	_ZN7rocprim17ROCPRIM_400000_NS6detail17trampoline_kernelINS0_14default_configENS1_25partition_config_selectorILNS1_17partition_subalgoE3EyNS0_10empty_typeEbEEZZNS1_14partition_implILS5_3ELb0ES3_jN6thrust23THRUST_200600_302600_NS6detail15normal_iteratorINSA_7pointerIyNSA_11hip_rocprim3tagENSA_11use_defaultESG_EEEEPS6_SJ_NS0_5tupleIJPySJ_EEENSK_IJSJ_SJ_EEES6_PlJ7is_evenIyEEEE10hipError_tPvRmT3_T4_T5_T6_T7_T9_mT8_P12ihipStream_tbDpT10_ENKUlT_T0_E_clISt17integral_constantIbLb1EES1A_EEDaS15_S16_EUlS15_E_NS1_11comp_targetILNS1_3genE9ELNS1_11target_archE1100ELNS1_3gpuE3ELNS1_3repE0EEENS1_30default_config_static_selectorELNS0_4arch9wavefront6targetE1EEEvT1_, .Lfunc_end688-_ZN7rocprim17ROCPRIM_400000_NS6detail17trampoline_kernelINS0_14default_configENS1_25partition_config_selectorILNS1_17partition_subalgoE3EyNS0_10empty_typeEbEEZZNS1_14partition_implILS5_3ELb0ES3_jN6thrust23THRUST_200600_302600_NS6detail15normal_iteratorINSA_7pointerIyNSA_11hip_rocprim3tagENSA_11use_defaultESG_EEEEPS6_SJ_NS0_5tupleIJPySJ_EEENSK_IJSJ_SJ_EEES6_PlJ7is_evenIyEEEE10hipError_tPvRmT3_T4_T5_T6_T7_T9_mT8_P12ihipStream_tbDpT10_ENKUlT_T0_E_clISt17integral_constantIbLb1EES1A_EEDaS15_S16_EUlS15_E_NS1_11comp_targetILNS1_3genE9ELNS1_11target_archE1100ELNS1_3gpuE3ELNS1_3repE0EEENS1_30default_config_static_selectorELNS0_4arch9wavefront6targetE1EEEvT1_
                                        ; -- End function
	.section	.AMDGPU.csdata,"",@progbits
; Kernel info:
; codeLenInByte = 0
; NumSgprs: 6
; NumVgprs: 0
; NumAgprs: 0
; TotalNumVgprs: 0
; ScratchSize: 0
; MemoryBound: 0
; FloatMode: 240
; IeeeMode: 1
; LDSByteSize: 0 bytes/workgroup (compile time only)
; SGPRBlocks: 0
; VGPRBlocks: 0
; NumSGPRsForWavesPerEU: 6
; NumVGPRsForWavesPerEU: 1
; AccumOffset: 4
; Occupancy: 8
; WaveLimiterHint : 0
; COMPUTE_PGM_RSRC2:SCRATCH_EN: 0
; COMPUTE_PGM_RSRC2:USER_SGPR: 2
; COMPUTE_PGM_RSRC2:TRAP_HANDLER: 0
; COMPUTE_PGM_RSRC2:TGID_X_EN: 1
; COMPUTE_PGM_RSRC2:TGID_Y_EN: 0
; COMPUTE_PGM_RSRC2:TGID_Z_EN: 0
; COMPUTE_PGM_RSRC2:TIDIG_COMP_CNT: 0
; COMPUTE_PGM_RSRC3_GFX90A:ACCUM_OFFSET: 0
; COMPUTE_PGM_RSRC3_GFX90A:TG_SPLIT: 0
	.section	.text._ZN7rocprim17ROCPRIM_400000_NS6detail17trampoline_kernelINS0_14default_configENS1_25partition_config_selectorILNS1_17partition_subalgoE3EyNS0_10empty_typeEbEEZZNS1_14partition_implILS5_3ELb0ES3_jN6thrust23THRUST_200600_302600_NS6detail15normal_iteratorINSA_7pointerIyNSA_11hip_rocprim3tagENSA_11use_defaultESG_EEEEPS6_SJ_NS0_5tupleIJPySJ_EEENSK_IJSJ_SJ_EEES6_PlJ7is_evenIyEEEE10hipError_tPvRmT3_T4_T5_T6_T7_T9_mT8_P12ihipStream_tbDpT10_ENKUlT_T0_E_clISt17integral_constantIbLb1EES1A_EEDaS15_S16_EUlS15_E_NS1_11comp_targetILNS1_3genE8ELNS1_11target_archE1030ELNS1_3gpuE2ELNS1_3repE0EEENS1_30default_config_static_selectorELNS0_4arch9wavefront6targetE1EEEvT1_,"axG",@progbits,_ZN7rocprim17ROCPRIM_400000_NS6detail17trampoline_kernelINS0_14default_configENS1_25partition_config_selectorILNS1_17partition_subalgoE3EyNS0_10empty_typeEbEEZZNS1_14partition_implILS5_3ELb0ES3_jN6thrust23THRUST_200600_302600_NS6detail15normal_iteratorINSA_7pointerIyNSA_11hip_rocprim3tagENSA_11use_defaultESG_EEEEPS6_SJ_NS0_5tupleIJPySJ_EEENSK_IJSJ_SJ_EEES6_PlJ7is_evenIyEEEE10hipError_tPvRmT3_T4_T5_T6_T7_T9_mT8_P12ihipStream_tbDpT10_ENKUlT_T0_E_clISt17integral_constantIbLb1EES1A_EEDaS15_S16_EUlS15_E_NS1_11comp_targetILNS1_3genE8ELNS1_11target_archE1030ELNS1_3gpuE2ELNS1_3repE0EEENS1_30default_config_static_selectorELNS0_4arch9wavefront6targetE1EEEvT1_,comdat
	.protected	_ZN7rocprim17ROCPRIM_400000_NS6detail17trampoline_kernelINS0_14default_configENS1_25partition_config_selectorILNS1_17partition_subalgoE3EyNS0_10empty_typeEbEEZZNS1_14partition_implILS5_3ELb0ES3_jN6thrust23THRUST_200600_302600_NS6detail15normal_iteratorINSA_7pointerIyNSA_11hip_rocprim3tagENSA_11use_defaultESG_EEEEPS6_SJ_NS0_5tupleIJPySJ_EEENSK_IJSJ_SJ_EEES6_PlJ7is_evenIyEEEE10hipError_tPvRmT3_T4_T5_T6_T7_T9_mT8_P12ihipStream_tbDpT10_ENKUlT_T0_E_clISt17integral_constantIbLb1EES1A_EEDaS15_S16_EUlS15_E_NS1_11comp_targetILNS1_3genE8ELNS1_11target_archE1030ELNS1_3gpuE2ELNS1_3repE0EEENS1_30default_config_static_selectorELNS0_4arch9wavefront6targetE1EEEvT1_ ; -- Begin function _ZN7rocprim17ROCPRIM_400000_NS6detail17trampoline_kernelINS0_14default_configENS1_25partition_config_selectorILNS1_17partition_subalgoE3EyNS0_10empty_typeEbEEZZNS1_14partition_implILS5_3ELb0ES3_jN6thrust23THRUST_200600_302600_NS6detail15normal_iteratorINSA_7pointerIyNSA_11hip_rocprim3tagENSA_11use_defaultESG_EEEEPS6_SJ_NS0_5tupleIJPySJ_EEENSK_IJSJ_SJ_EEES6_PlJ7is_evenIyEEEE10hipError_tPvRmT3_T4_T5_T6_T7_T9_mT8_P12ihipStream_tbDpT10_ENKUlT_T0_E_clISt17integral_constantIbLb1EES1A_EEDaS15_S16_EUlS15_E_NS1_11comp_targetILNS1_3genE8ELNS1_11target_archE1030ELNS1_3gpuE2ELNS1_3repE0EEENS1_30default_config_static_selectorELNS0_4arch9wavefront6targetE1EEEvT1_
	.globl	_ZN7rocprim17ROCPRIM_400000_NS6detail17trampoline_kernelINS0_14default_configENS1_25partition_config_selectorILNS1_17partition_subalgoE3EyNS0_10empty_typeEbEEZZNS1_14partition_implILS5_3ELb0ES3_jN6thrust23THRUST_200600_302600_NS6detail15normal_iteratorINSA_7pointerIyNSA_11hip_rocprim3tagENSA_11use_defaultESG_EEEEPS6_SJ_NS0_5tupleIJPySJ_EEENSK_IJSJ_SJ_EEES6_PlJ7is_evenIyEEEE10hipError_tPvRmT3_T4_T5_T6_T7_T9_mT8_P12ihipStream_tbDpT10_ENKUlT_T0_E_clISt17integral_constantIbLb1EES1A_EEDaS15_S16_EUlS15_E_NS1_11comp_targetILNS1_3genE8ELNS1_11target_archE1030ELNS1_3gpuE2ELNS1_3repE0EEENS1_30default_config_static_selectorELNS0_4arch9wavefront6targetE1EEEvT1_
	.p2align	8
	.type	_ZN7rocprim17ROCPRIM_400000_NS6detail17trampoline_kernelINS0_14default_configENS1_25partition_config_selectorILNS1_17partition_subalgoE3EyNS0_10empty_typeEbEEZZNS1_14partition_implILS5_3ELb0ES3_jN6thrust23THRUST_200600_302600_NS6detail15normal_iteratorINSA_7pointerIyNSA_11hip_rocprim3tagENSA_11use_defaultESG_EEEEPS6_SJ_NS0_5tupleIJPySJ_EEENSK_IJSJ_SJ_EEES6_PlJ7is_evenIyEEEE10hipError_tPvRmT3_T4_T5_T6_T7_T9_mT8_P12ihipStream_tbDpT10_ENKUlT_T0_E_clISt17integral_constantIbLb1EES1A_EEDaS15_S16_EUlS15_E_NS1_11comp_targetILNS1_3genE8ELNS1_11target_archE1030ELNS1_3gpuE2ELNS1_3repE0EEENS1_30default_config_static_selectorELNS0_4arch9wavefront6targetE1EEEvT1_,@function
_ZN7rocprim17ROCPRIM_400000_NS6detail17trampoline_kernelINS0_14default_configENS1_25partition_config_selectorILNS1_17partition_subalgoE3EyNS0_10empty_typeEbEEZZNS1_14partition_implILS5_3ELb0ES3_jN6thrust23THRUST_200600_302600_NS6detail15normal_iteratorINSA_7pointerIyNSA_11hip_rocprim3tagENSA_11use_defaultESG_EEEEPS6_SJ_NS0_5tupleIJPySJ_EEENSK_IJSJ_SJ_EEES6_PlJ7is_evenIyEEEE10hipError_tPvRmT3_T4_T5_T6_T7_T9_mT8_P12ihipStream_tbDpT10_ENKUlT_T0_E_clISt17integral_constantIbLb1EES1A_EEDaS15_S16_EUlS15_E_NS1_11comp_targetILNS1_3genE8ELNS1_11target_archE1030ELNS1_3gpuE2ELNS1_3repE0EEENS1_30default_config_static_selectorELNS0_4arch9wavefront6targetE1EEEvT1_: ; @_ZN7rocprim17ROCPRIM_400000_NS6detail17trampoline_kernelINS0_14default_configENS1_25partition_config_selectorILNS1_17partition_subalgoE3EyNS0_10empty_typeEbEEZZNS1_14partition_implILS5_3ELb0ES3_jN6thrust23THRUST_200600_302600_NS6detail15normal_iteratorINSA_7pointerIyNSA_11hip_rocprim3tagENSA_11use_defaultESG_EEEEPS6_SJ_NS0_5tupleIJPySJ_EEENSK_IJSJ_SJ_EEES6_PlJ7is_evenIyEEEE10hipError_tPvRmT3_T4_T5_T6_T7_T9_mT8_P12ihipStream_tbDpT10_ENKUlT_T0_E_clISt17integral_constantIbLb1EES1A_EEDaS15_S16_EUlS15_E_NS1_11comp_targetILNS1_3genE8ELNS1_11target_archE1030ELNS1_3gpuE2ELNS1_3repE0EEENS1_30default_config_static_selectorELNS0_4arch9wavefront6targetE1EEEvT1_
; %bb.0:
	.section	.rodata,"a",@progbits
	.p2align	6, 0x0
	.amdhsa_kernel _ZN7rocprim17ROCPRIM_400000_NS6detail17trampoline_kernelINS0_14default_configENS1_25partition_config_selectorILNS1_17partition_subalgoE3EyNS0_10empty_typeEbEEZZNS1_14partition_implILS5_3ELb0ES3_jN6thrust23THRUST_200600_302600_NS6detail15normal_iteratorINSA_7pointerIyNSA_11hip_rocprim3tagENSA_11use_defaultESG_EEEEPS6_SJ_NS0_5tupleIJPySJ_EEENSK_IJSJ_SJ_EEES6_PlJ7is_evenIyEEEE10hipError_tPvRmT3_T4_T5_T6_T7_T9_mT8_P12ihipStream_tbDpT10_ENKUlT_T0_E_clISt17integral_constantIbLb1EES1A_EEDaS15_S16_EUlS15_E_NS1_11comp_targetILNS1_3genE8ELNS1_11target_archE1030ELNS1_3gpuE2ELNS1_3repE0EEENS1_30default_config_static_selectorELNS0_4arch9wavefront6targetE1EEEvT1_
		.amdhsa_group_segment_fixed_size 0
		.amdhsa_private_segment_fixed_size 0
		.amdhsa_kernarg_size 136
		.amdhsa_user_sgpr_count 2
		.amdhsa_user_sgpr_dispatch_ptr 0
		.amdhsa_user_sgpr_queue_ptr 0
		.amdhsa_user_sgpr_kernarg_segment_ptr 1
		.amdhsa_user_sgpr_dispatch_id 0
		.amdhsa_user_sgpr_kernarg_preload_length 0
		.amdhsa_user_sgpr_kernarg_preload_offset 0
		.amdhsa_user_sgpr_private_segment_size 0
		.amdhsa_uses_dynamic_stack 0
		.amdhsa_enable_private_segment 0
		.amdhsa_system_sgpr_workgroup_id_x 1
		.amdhsa_system_sgpr_workgroup_id_y 0
		.amdhsa_system_sgpr_workgroup_id_z 0
		.amdhsa_system_sgpr_workgroup_info 0
		.amdhsa_system_vgpr_workitem_id 0
		.amdhsa_next_free_vgpr 1
		.amdhsa_next_free_sgpr 0
		.amdhsa_accum_offset 4
		.amdhsa_reserve_vcc 0
		.amdhsa_float_round_mode_32 0
		.amdhsa_float_round_mode_16_64 0
		.amdhsa_float_denorm_mode_32 3
		.amdhsa_float_denorm_mode_16_64 3
		.amdhsa_dx10_clamp 1
		.amdhsa_ieee_mode 1
		.amdhsa_fp16_overflow 0
		.amdhsa_tg_split 0
		.amdhsa_exception_fp_ieee_invalid_op 0
		.amdhsa_exception_fp_denorm_src 0
		.amdhsa_exception_fp_ieee_div_zero 0
		.amdhsa_exception_fp_ieee_overflow 0
		.amdhsa_exception_fp_ieee_underflow 0
		.amdhsa_exception_fp_ieee_inexact 0
		.amdhsa_exception_int_div_zero 0
	.end_amdhsa_kernel
	.section	.text._ZN7rocprim17ROCPRIM_400000_NS6detail17trampoline_kernelINS0_14default_configENS1_25partition_config_selectorILNS1_17partition_subalgoE3EyNS0_10empty_typeEbEEZZNS1_14partition_implILS5_3ELb0ES3_jN6thrust23THRUST_200600_302600_NS6detail15normal_iteratorINSA_7pointerIyNSA_11hip_rocprim3tagENSA_11use_defaultESG_EEEEPS6_SJ_NS0_5tupleIJPySJ_EEENSK_IJSJ_SJ_EEES6_PlJ7is_evenIyEEEE10hipError_tPvRmT3_T4_T5_T6_T7_T9_mT8_P12ihipStream_tbDpT10_ENKUlT_T0_E_clISt17integral_constantIbLb1EES1A_EEDaS15_S16_EUlS15_E_NS1_11comp_targetILNS1_3genE8ELNS1_11target_archE1030ELNS1_3gpuE2ELNS1_3repE0EEENS1_30default_config_static_selectorELNS0_4arch9wavefront6targetE1EEEvT1_,"axG",@progbits,_ZN7rocprim17ROCPRIM_400000_NS6detail17trampoline_kernelINS0_14default_configENS1_25partition_config_selectorILNS1_17partition_subalgoE3EyNS0_10empty_typeEbEEZZNS1_14partition_implILS5_3ELb0ES3_jN6thrust23THRUST_200600_302600_NS6detail15normal_iteratorINSA_7pointerIyNSA_11hip_rocprim3tagENSA_11use_defaultESG_EEEEPS6_SJ_NS0_5tupleIJPySJ_EEENSK_IJSJ_SJ_EEES6_PlJ7is_evenIyEEEE10hipError_tPvRmT3_T4_T5_T6_T7_T9_mT8_P12ihipStream_tbDpT10_ENKUlT_T0_E_clISt17integral_constantIbLb1EES1A_EEDaS15_S16_EUlS15_E_NS1_11comp_targetILNS1_3genE8ELNS1_11target_archE1030ELNS1_3gpuE2ELNS1_3repE0EEENS1_30default_config_static_selectorELNS0_4arch9wavefront6targetE1EEEvT1_,comdat
.Lfunc_end689:
	.size	_ZN7rocprim17ROCPRIM_400000_NS6detail17trampoline_kernelINS0_14default_configENS1_25partition_config_selectorILNS1_17partition_subalgoE3EyNS0_10empty_typeEbEEZZNS1_14partition_implILS5_3ELb0ES3_jN6thrust23THRUST_200600_302600_NS6detail15normal_iteratorINSA_7pointerIyNSA_11hip_rocprim3tagENSA_11use_defaultESG_EEEEPS6_SJ_NS0_5tupleIJPySJ_EEENSK_IJSJ_SJ_EEES6_PlJ7is_evenIyEEEE10hipError_tPvRmT3_T4_T5_T6_T7_T9_mT8_P12ihipStream_tbDpT10_ENKUlT_T0_E_clISt17integral_constantIbLb1EES1A_EEDaS15_S16_EUlS15_E_NS1_11comp_targetILNS1_3genE8ELNS1_11target_archE1030ELNS1_3gpuE2ELNS1_3repE0EEENS1_30default_config_static_selectorELNS0_4arch9wavefront6targetE1EEEvT1_, .Lfunc_end689-_ZN7rocprim17ROCPRIM_400000_NS6detail17trampoline_kernelINS0_14default_configENS1_25partition_config_selectorILNS1_17partition_subalgoE3EyNS0_10empty_typeEbEEZZNS1_14partition_implILS5_3ELb0ES3_jN6thrust23THRUST_200600_302600_NS6detail15normal_iteratorINSA_7pointerIyNSA_11hip_rocprim3tagENSA_11use_defaultESG_EEEEPS6_SJ_NS0_5tupleIJPySJ_EEENSK_IJSJ_SJ_EEES6_PlJ7is_evenIyEEEE10hipError_tPvRmT3_T4_T5_T6_T7_T9_mT8_P12ihipStream_tbDpT10_ENKUlT_T0_E_clISt17integral_constantIbLb1EES1A_EEDaS15_S16_EUlS15_E_NS1_11comp_targetILNS1_3genE8ELNS1_11target_archE1030ELNS1_3gpuE2ELNS1_3repE0EEENS1_30default_config_static_selectorELNS0_4arch9wavefront6targetE1EEEvT1_
                                        ; -- End function
	.section	.AMDGPU.csdata,"",@progbits
; Kernel info:
; codeLenInByte = 0
; NumSgprs: 6
; NumVgprs: 0
; NumAgprs: 0
; TotalNumVgprs: 0
; ScratchSize: 0
; MemoryBound: 0
; FloatMode: 240
; IeeeMode: 1
; LDSByteSize: 0 bytes/workgroup (compile time only)
; SGPRBlocks: 0
; VGPRBlocks: 0
; NumSGPRsForWavesPerEU: 6
; NumVGPRsForWavesPerEU: 1
; AccumOffset: 4
; Occupancy: 8
; WaveLimiterHint : 0
; COMPUTE_PGM_RSRC2:SCRATCH_EN: 0
; COMPUTE_PGM_RSRC2:USER_SGPR: 2
; COMPUTE_PGM_RSRC2:TRAP_HANDLER: 0
; COMPUTE_PGM_RSRC2:TGID_X_EN: 1
; COMPUTE_PGM_RSRC2:TGID_Y_EN: 0
; COMPUTE_PGM_RSRC2:TGID_Z_EN: 0
; COMPUTE_PGM_RSRC2:TIDIG_COMP_CNT: 0
; COMPUTE_PGM_RSRC3_GFX90A:ACCUM_OFFSET: 0
; COMPUTE_PGM_RSRC3_GFX90A:TG_SPLIT: 0
	.section	.text._ZN7rocprim17ROCPRIM_400000_NS6detail17trampoline_kernelINS0_14default_configENS1_25partition_config_selectorILNS1_17partition_subalgoE3EyNS0_10empty_typeEbEEZZNS1_14partition_implILS5_3ELb0ES3_jN6thrust23THRUST_200600_302600_NS6detail15normal_iteratorINSA_7pointerIyNSA_11hip_rocprim3tagENSA_11use_defaultESG_EEEEPS6_SJ_NS0_5tupleIJPySJ_EEENSK_IJSJ_SJ_EEES6_PlJ7is_evenIyEEEE10hipError_tPvRmT3_T4_T5_T6_T7_T9_mT8_P12ihipStream_tbDpT10_ENKUlT_T0_E_clISt17integral_constantIbLb1EES19_IbLb0EEEEDaS15_S16_EUlS15_E_NS1_11comp_targetILNS1_3genE0ELNS1_11target_archE4294967295ELNS1_3gpuE0ELNS1_3repE0EEENS1_30default_config_static_selectorELNS0_4arch9wavefront6targetE1EEEvT1_,"axG",@progbits,_ZN7rocprim17ROCPRIM_400000_NS6detail17trampoline_kernelINS0_14default_configENS1_25partition_config_selectorILNS1_17partition_subalgoE3EyNS0_10empty_typeEbEEZZNS1_14partition_implILS5_3ELb0ES3_jN6thrust23THRUST_200600_302600_NS6detail15normal_iteratorINSA_7pointerIyNSA_11hip_rocprim3tagENSA_11use_defaultESG_EEEEPS6_SJ_NS0_5tupleIJPySJ_EEENSK_IJSJ_SJ_EEES6_PlJ7is_evenIyEEEE10hipError_tPvRmT3_T4_T5_T6_T7_T9_mT8_P12ihipStream_tbDpT10_ENKUlT_T0_E_clISt17integral_constantIbLb1EES19_IbLb0EEEEDaS15_S16_EUlS15_E_NS1_11comp_targetILNS1_3genE0ELNS1_11target_archE4294967295ELNS1_3gpuE0ELNS1_3repE0EEENS1_30default_config_static_selectorELNS0_4arch9wavefront6targetE1EEEvT1_,comdat
	.protected	_ZN7rocprim17ROCPRIM_400000_NS6detail17trampoline_kernelINS0_14default_configENS1_25partition_config_selectorILNS1_17partition_subalgoE3EyNS0_10empty_typeEbEEZZNS1_14partition_implILS5_3ELb0ES3_jN6thrust23THRUST_200600_302600_NS6detail15normal_iteratorINSA_7pointerIyNSA_11hip_rocprim3tagENSA_11use_defaultESG_EEEEPS6_SJ_NS0_5tupleIJPySJ_EEENSK_IJSJ_SJ_EEES6_PlJ7is_evenIyEEEE10hipError_tPvRmT3_T4_T5_T6_T7_T9_mT8_P12ihipStream_tbDpT10_ENKUlT_T0_E_clISt17integral_constantIbLb1EES19_IbLb0EEEEDaS15_S16_EUlS15_E_NS1_11comp_targetILNS1_3genE0ELNS1_11target_archE4294967295ELNS1_3gpuE0ELNS1_3repE0EEENS1_30default_config_static_selectorELNS0_4arch9wavefront6targetE1EEEvT1_ ; -- Begin function _ZN7rocprim17ROCPRIM_400000_NS6detail17trampoline_kernelINS0_14default_configENS1_25partition_config_selectorILNS1_17partition_subalgoE3EyNS0_10empty_typeEbEEZZNS1_14partition_implILS5_3ELb0ES3_jN6thrust23THRUST_200600_302600_NS6detail15normal_iteratorINSA_7pointerIyNSA_11hip_rocprim3tagENSA_11use_defaultESG_EEEEPS6_SJ_NS0_5tupleIJPySJ_EEENSK_IJSJ_SJ_EEES6_PlJ7is_evenIyEEEE10hipError_tPvRmT3_T4_T5_T6_T7_T9_mT8_P12ihipStream_tbDpT10_ENKUlT_T0_E_clISt17integral_constantIbLb1EES19_IbLb0EEEEDaS15_S16_EUlS15_E_NS1_11comp_targetILNS1_3genE0ELNS1_11target_archE4294967295ELNS1_3gpuE0ELNS1_3repE0EEENS1_30default_config_static_selectorELNS0_4arch9wavefront6targetE1EEEvT1_
	.globl	_ZN7rocprim17ROCPRIM_400000_NS6detail17trampoline_kernelINS0_14default_configENS1_25partition_config_selectorILNS1_17partition_subalgoE3EyNS0_10empty_typeEbEEZZNS1_14partition_implILS5_3ELb0ES3_jN6thrust23THRUST_200600_302600_NS6detail15normal_iteratorINSA_7pointerIyNSA_11hip_rocprim3tagENSA_11use_defaultESG_EEEEPS6_SJ_NS0_5tupleIJPySJ_EEENSK_IJSJ_SJ_EEES6_PlJ7is_evenIyEEEE10hipError_tPvRmT3_T4_T5_T6_T7_T9_mT8_P12ihipStream_tbDpT10_ENKUlT_T0_E_clISt17integral_constantIbLb1EES19_IbLb0EEEEDaS15_S16_EUlS15_E_NS1_11comp_targetILNS1_3genE0ELNS1_11target_archE4294967295ELNS1_3gpuE0ELNS1_3repE0EEENS1_30default_config_static_selectorELNS0_4arch9wavefront6targetE1EEEvT1_
	.p2align	8
	.type	_ZN7rocprim17ROCPRIM_400000_NS6detail17trampoline_kernelINS0_14default_configENS1_25partition_config_selectorILNS1_17partition_subalgoE3EyNS0_10empty_typeEbEEZZNS1_14partition_implILS5_3ELb0ES3_jN6thrust23THRUST_200600_302600_NS6detail15normal_iteratorINSA_7pointerIyNSA_11hip_rocprim3tagENSA_11use_defaultESG_EEEEPS6_SJ_NS0_5tupleIJPySJ_EEENSK_IJSJ_SJ_EEES6_PlJ7is_evenIyEEEE10hipError_tPvRmT3_T4_T5_T6_T7_T9_mT8_P12ihipStream_tbDpT10_ENKUlT_T0_E_clISt17integral_constantIbLb1EES19_IbLb0EEEEDaS15_S16_EUlS15_E_NS1_11comp_targetILNS1_3genE0ELNS1_11target_archE4294967295ELNS1_3gpuE0ELNS1_3repE0EEENS1_30default_config_static_selectorELNS0_4arch9wavefront6targetE1EEEvT1_,@function
_ZN7rocprim17ROCPRIM_400000_NS6detail17trampoline_kernelINS0_14default_configENS1_25partition_config_selectorILNS1_17partition_subalgoE3EyNS0_10empty_typeEbEEZZNS1_14partition_implILS5_3ELb0ES3_jN6thrust23THRUST_200600_302600_NS6detail15normal_iteratorINSA_7pointerIyNSA_11hip_rocprim3tagENSA_11use_defaultESG_EEEEPS6_SJ_NS0_5tupleIJPySJ_EEENSK_IJSJ_SJ_EEES6_PlJ7is_evenIyEEEE10hipError_tPvRmT3_T4_T5_T6_T7_T9_mT8_P12ihipStream_tbDpT10_ENKUlT_T0_E_clISt17integral_constantIbLb1EES19_IbLb0EEEEDaS15_S16_EUlS15_E_NS1_11comp_targetILNS1_3genE0ELNS1_11target_archE4294967295ELNS1_3gpuE0ELNS1_3repE0EEENS1_30default_config_static_selectorELNS0_4arch9wavefront6targetE1EEEvT1_: ; @_ZN7rocprim17ROCPRIM_400000_NS6detail17trampoline_kernelINS0_14default_configENS1_25partition_config_selectorILNS1_17partition_subalgoE3EyNS0_10empty_typeEbEEZZNS1_14partition_implILS5_3ELb0ES3_jN6thrust23THRUST_200600_302600_NS6detail15normal_iteratorINSA_7pointerIyNSA_11hip_rocprim3tagENSA_11use_defaultESG_EEEEPS6_SJ_NS0_5tupleIJPySJ_EEENSK_IJSJ_SJ_EEES6_PlJ7is_evenIyEEEE10hipError_tPvRmT3_T4_T5_T6_T7_T9_mT8_P12ihipStream_tbDpT10_ENKUlT_T0_E_clISt17integral_constantIbLb1EES19_IbLb0EEEEDaS15_S16_EUlS15_E_NS1_11comp_targetILNS1_3genE0ELNS1_11target_archE4294967295ELNS1_3gpuE0ELNS1_3repE0EEENS1_30default_config_static_selectorELNS0_4arch9wavefront6targetE1EEEvT1_
; %bb.0:
	.section	.rodata,"a",@progbits
	.p2align	6, 0x0
	.amdhsa_kernel _ZN7rocprim17ROCPRIM_400000_NS6detail17trampoline_kernelINS0_14default_configENS1_25partition_config_selectorILNS1_17partition_subalgoE3EyNS0_10empty_typeEbEEZZNS1_14partition_implILS5_3ELb0ES3_jN6thrust23THRUST_200600_302600_NS6detail15normal_iteratorINSA_7pointerIyNSA_11hip_rocprim3tagENSA_11use_defaultESG_EEEEPS6_SJ_NS0_5tupleIJPySJ_EEENSK_IJSJ_SJ_EEES6_PlJ7is_evenIyEEEE10hipError_tPvRmT3_T4_T5_T6_T7_T9_mT8_P12ihipStream_tbDpT10_ENKUlT_T0_E_clISt17integral_constantIbLb1EES19_IbLb0EEEEDaS15_S16_EUlS15_E_NS1_11comp_targetILNS1_3genE0ELNS1_11target_archE4294967295ELNS1_3gpuE0ELNS1_3repE0EEENS1_30default_config_static_selectorELNS0_4arch9wavefront6targetE1EEEvT1_
		.amdhsa_group_segment_fixed_size 0
		.amdhsa_private_segment_fixed_size 0
		.amdhsa_kernarg_size 120
		.amdhsa_user_sgpr_count 2
		.amdhsa_user_sgpr_dispatch_ptr 0
		.amdhsa_user_sgpr_queue_ptr 0
		.amdhsa_user_sgpr_kernarg_segment_ptr 1
		.amdhsa_user_sgpr_dispatch_id 0
		.amdhsa_user_sgpr_kernarg_preload_length 0
		.amdhsa_user_sgpr_kernarg_preload_offset 0
		.amdhsa_user_sgpr_private_segment_size 0
		.amdhsa_uses_dynamic_stack 0
		.amdhsa_enable_private_segment 0
		.amdhsa_system_sgpr_workgroup_id_x 1
		.amdhsa_system_sgpr_workgroup_id_y 0
		.amdhsa_system_sgpr_workgroup_id_z 0
		.amdhsa_system_sgpr_workgroup_info 0
		.amdhsa_system_vgpr_workitem_id 0
		.amdhsa_next_free_vgpr 1
		.amdhsa_next_free_sgpr 0
		.amdhsa_accum_offset 4
		.amdhsa_reserve_vcc 0
		.amdhsa_float_round_mode_32 0
		.amdhsa_float_round_mode_16_64 0
		.amdhsa_float_denorm_mode_32 3
		.amdhsa_float_denorm_mode_16_64 3
		.amdhsa_dx10_clamp 1
		.amdhsa_ieee_mode 1
		.amdhsa_fp16_overflow 0
		.amdhsa_tg_split 0
		.amdhsa_exception_fp_ieee_invalid_op 0
		.amdhsa_exception_fp_denorm_src 0
		.amdhsa_exception_fp_ieee_div_zero 0
		.amdhsa_exception_fp_ieee_overflow 0
		.amdhsa_exception_fp_ieee_underflow 0
		.amdhsa_exception_fp_ieee_inexact 0
		.amdhsa_exception_int_div_zero 0
	.end_amdhsa_kernel
	.section	.text._ZN7rocprim17ROCPRIM_400000_NS6detail17trampoline_kernelINS0_14default_configENS1_25partition_config_selectorILNS1_17partition_subalgoE3EyNS0_10empty_typeEbEEZZNS1_14partition_implILS5_3ELb0ES3_jN6thrust23THRUST_200600_302600_NS6detail15normal_iteratorINSA_7pointerIyNSA_11hip_rocprim3tagENSA_11use_defaultESG_EEEEPS6_SJ_NS0_5tupleIJPySJ_EEENSK_IJSJ_SJ_EEES6_PlJ7is_evenIyEEEE10hipError_tPvRmT3_T4_T5_T6_T7_T9_mT8_P12ihipStream_tbDpT10_ENKUlT_T0_E_clISt17integral_constantIbLb1EES19_IbLb0EEEEDaS15_S16_EUlS15_E_NS1_11comp_targetILNS1_3genE0ELNS1_11target_archE4294967295ELNS1_3gpuE0ELNS1_3repE0EEENS1_30default_config_static_selectorELNS0_4arch9wavefront6targetE1EEEvT1_,"axG",@progbits,_ZN7rocprim17ROCPRIM_400000_NS6detail17trampoline_kernelINS0_14default_configENS1_25partition_config_selectorILNS1_17partition_subalgoE3EyNS0_10empty_typeEbEEZZNS1_14partition_implILS5_3ELb0ES3_jN6thrust23THRUST_200600_302600_NS6detail15normal_iteratorINSA_7pointerIyNSA_11hip_rocprim3tagENSA_11use_defaultESG_EEEEPS6_SJ_NS0_5tupleIJPySJ_EEENSK_IJSJ_SJ_EEES6_PlJ7is_evenIyEEEE10hipError_tPvRmT3_T4_T5_T6_T7_T9_mT8_P12ihipStream_tbDpT10_ENKUlT_T0_E_clISt17integral_constantIbLb1EES19_IbLb0EEEEDaS15_S16_EUlS15_E_NS1_11comp_targetILNS1_3genE0ELNS1_11target_archE4294967295ELNS1_3gpuE0ELNS1_3repE0EEENS1_30default_config_static_selectorELNS0_4arch9wavefront6targetE1EEEvT1_,comdat
.Lfunc_end690:
	.size	_ZN7rocprim17ROCPRIM_400000_NS6detail17trampoline_kernelINS0_14default_configENS1_25partition_config_selectorILNS1_17partition_subalgoE3EyNS0_10empty_typeEbEEZZNS1_14partition_implILS5_3ELb0ES3_jN6thrust23THRUST_200600_302600_NS6detail15normal_iteratorINSA_7pointerIyNSA_11hip_rocprim3tagENSA_11use_defaultESG_EEEEPS6_SJ_NS0_5tupleIJPySJ_EEENSK_IJSJ_SJ_EEES6_PlJ7is_evenIyEEEE10hipError_tPvRmT3_T4_T5_T6_T7_T9_mT8_P12ihipStream_tbDpT10_ENKUlT_T0_E_clISt17integral_constantIbLb1EES19_IbLb0EEEEDaS15_S16_EUlS15_E_NS1_11comp_targetILNS1_3genE0ELNS1_11target_archE4294967295ELNS1_3gpuE0ELNS1_3repE0EEENS1_30default_config_static_selectorELNS0_4arch9wavefront6targetE1EEEvT1_, .Lfunc_end690-_ZN7rocprim17ROCPRIM_400000_NS6detail17trampoline_kernelINS0_14default_configENS1_25partition_config_selectorILNS1_17partition_subalgoE3EyNS0_10empty_typeEbEEZZNS1_14partition_implILS5_3ELb0ES3_jN6thrust23THRUST_200600_302600_NS6detail15normal_iteratorINSA_7pointerIyNSA_11hip_rocprim3tagENSA_11use_defaultESG_EEEEPS6_SJ_NS0_5tupleIJPySJ_EEENSK_IJSJ_SJ_EEES6_PlJ7is_evenIyEEEE10hipError_tPvRmT3_T4_T5_T6_T7_T9_mT8_P12ihipStream_tbDpT10_ENKUlT_T0_E_clISt17integral_constantIbLb1EES19_IbLb0EEEEDaS15_S16_EUlS15_E_NS1_11comp_targetILNS1_3genE0ELNS1_11target_archE4294967295ELNS1_3gpuE0ELNS1_3repE0EEENS1_30default_config_static_selectorELNS0_4arch9wavefront6targetE1EEEvT1_
                                        ; -- End function
	.section	.AMDGPU.csdata,"",@progbits
; Kernel info:
; codeLenInByte = 0
; NumSgprs: 6
; NumVgprs: 0
; NumAgprs: 0
; TotalNumVgprs: 0
; ScratchSize: 0
; MemoryBound: 0
; FloatMode: 240
; IeeeMode: 1
; LDSByteSize: 0 bytes/workgroup (compile time only)
; SGPRBlocks: 0
; VGPRBlocks: 0
; NumSGPRsForWavesPerEU: 6
; NumVGPRsForWavesPerEU: 1
; AccumOffset: 4
; Occupancy: 8
; WaveLimiterHint : 0
; COMPUTE_PGM_RSRC2:SCRATCH_EN: 0
; COMPUTE_PGM_RSRC2:USER_SGPR: 2
; COMPUTE_PGM_RSRC2:TRAP_HANDLER: 0
; COMPUTE_PGM_RSRC2:TGID_X_EN: 1
; COMPUTE_PGM_RSRC2:TGID_Y_EN: 0
; COMPUTE_PGM_RSRC2:TGID_Z_EN: 0
; COMPUTE_PGM_RSRC2:TIDIG_COMP_CNT: 0
; COMPUTE_PGM_RSRC3_GFX90A:ACCUM_OFFSET: 0
; COMPUTE_PGM_RSRC3_GFX90A:TG_SPLIT: 0
	.section	.text._ZN7rocprim17ROCPRIM_400000_NS6detail17trampoline_kernelINS0_14default_configENS1_25partition_config_selectorILNS1_17partition_subalgoE3EyNS0_10empty_typeEbEEZZNS1_14partition_implILS5_3ELb0ES3_jN6thrust23THRUST_200600_302600_NS6detail15normal_iteratorINSA_7pointerIyNSA_11hip_rocprim3tagENSA_11use_defaultESG_EEEEPS6_SJ_NS0_5tupleIJPySJ_EEENSK_IJSJ_SJ_EEES6_PlJ7is_evenIyEEEE10hipError_tPvRmT3_T4_T5_T6_T7_T9_mT8_P12ihipStream_tbDpT10_ENKUlT_T0_E_clISt17integral_constantIbLb1EES19_IbLb0EEEEDaS15_S16_EUlS15_E_NS1_11comp_targetILNS1_3genE5ELNS1_11target_archE942ELNS1_3gpuE9ELNS1_3repE0EEENS1_30default_config_static_selectorELNS0_4arch9wavefront6targetE1EEEvT1_,"axG",@progbits,_ZN7rocprim17ROCPRIM_400000_NS6detail17trampoline_kernelINS0_14default_configENS1_25partition_config_selectorILNS1_17partition_subalgoE3EyNS0_10empty_typeEbEEZZNS1_14partition_implILS5_3ELb0ES3_jN6thrust23THRUST_200600_302600_NS6detail15normal_iteratorINSA_7pointerIyNSA_11hip_rocprim3tagENSA_11use_defaultESG_EEEEPS6_SJ_NS0_5tupleIJPySJ_EEENSK_IJSJ_SJ_EEES6_PlJ7is_evenIyEEEE10hipError_tPvRmT3_T4_T5_T6_T7_T9_mT8_P12ihipStream_tbDpT10_ENKUlT_T0_E_clISt17integral_constantIbLb1EES19_IbLb0EEEEDaS15_S16_EUlS15_E_NS1_11comp_targetILNS1_3genE5ELNS1_11target_archE942ELNS1_3gpuE9ELNS1_3repE0EEENS1_30default_config_static_selectorELNS0_4arch9wavefront6targetE1EEEvT1_,comdat
	.protected	_ZN7rocprim17ROCPRIM_400000_NS6detail17trampoline_kernelINS0_14default_configENS1_25partition_config_selectorILNS1_17partition_subalgoE3EyNS0_10empty_typeEbEEZZNS1_14partition_implILS5_3ELb0ES3_jN6thrust23THRUST_200600_302600_NS6detail15normal_iteratorINSA_7pointerIyNSA_11hip_rocprim3tagENSA_11use_defaultESG_EEEEPS6_SJ_NS0_5tupleIJPySJ_EEENSK_IJSJ_SJ_EEES6_PlJ7is_evenIyEEEE10hipError_tPvRmT3_T4_T5_T6_T7_T9_mT8_P12ihipStream_tbDpT10_ENKUlT_T0_E_clISt17integral_constantIbLb1EES19_IbLb0EEEEDaS15_S16_EUlS15_E_NS1_11comp_targetILNS1_3genE5ELNS1_11target_archE942ELNS1_3gpuE9ELNS1_3repE0EEENS1_30default_config_static_selectorELNS0_4arch9wavefront6targetE1EEEvT1_ ; -- Begin function _ZN7rocprim17ROCPRIM_400000_NS6detail17trampoline_kernelINS0_14default_configENS1_25partition_config_selectorILNS1_17partition_subalgoE3EyNS0_10empty_typeEbEEZZNS1_14partition_implILS5_3ELb0ES3_jN6thrust23THRUST_200600_302600_NS6detail15normal_iteratorINSA_7pointerIyNSA_11hip_rocprim3tagENSA_11use_defaultESG_EEEEPS6_SJ_NS0_5tupleIJPySJ_EEENSK_IJSJ_SJ_EEES6_PlJ7is_evenIyEEEE10hipError_tPvRmT3_T4_T5_T6_T7_T9_mT8_P12ihipStream_tbDpT10_ENKUlT_T0_E_clISt17integral_constantIbLb1EES19_IbLb0EEEEDaS15_S16_EUlS15_E_NS1_11comp_targetILNS1_3genE5ELNS1_11target_archE942ELNS1_3gpuE9ELNS1_3repE0EEENS1_30default_config_static_selectorELNS0_4arch9wavefront6targetE1EEEvT1_
	.globl	_ZN7rocprim17ROCPRIM_400000_NS6detail17trampoline_kernelINS0_14default_configENS1_25partition_config_selectorILNS1_17partition_subalgoE3EyNS0_10empty_typeEbEEZZNS1_14partition_implILS5_3ELb0ES3_jN6thrust23THRUST_200600_302600_NS6detail15normal_iteratorINSA_7pointerIyNSA_11hip_rocprim3tagENSA_11use_defaultESG_EEEEPS6_SJ_NS0_5tupleIJPySJ_EEENSK_IJSJ_SJ_EEES6_PlJ7is_evenIyEEEE10hipError_tPvRmT3_T4_T5_T6_T7_T9_mT8_P12ihipStream_tbDpT10_ENKUlT_T0_E_clISt17integral_constantIbLb1EES19_IbLb0EEEEDaS15_S16_EUlS15_E_NS1_11comp_targetILNS1_3genE5ELNS1_11target_archE942ELNS1_3gpuE9ELNS1_3repE0EEENS1_30default_config_static_selectorELNS0_4arch9wavefront6targetE1EEEvT1_
	.p2align	8
	.type	_ZN7rocprim17ROCPRIM_400000_NS6detail17trampoline_kernelINS0_14default_configENS1_25partition_config_selectorILNS1_17partition_subalgoE3EyNS0_10empty_typeEbEEZZNS1_14partition_implILS5_3ELb0ES3_jN6thrust23THRUST_200600_302600_NS6detail15normal_iteratorINSA_7pointerIyNSA_11hip_rocprim3tagENSA_11use_defaultESG_EEEEPS6_SJ_NS0_5tupleIJPySJ_EEENSK_IJSJ_SJ_EEES6_PlJ7is_evenIyEEEE10hipError_tPvRmT3_T4_T5_T6_T7_T9_mT8_P12ihipStream_tbDpT10_ENKUlT_T0_E_clISt17integral_constantIbLb1EES19_IbLb0EEEEDaS15_S16_EUlS15_E_NS1_11comp_targetILNS1_3genE5ELNS1_11target_archE942ELNS1_3gpuE9ELNS1_3repE0EEENS1_30default_config_static_selectorELNS0_4arch9wavefront6targetE1EEEvT1_,@function
_ZN7rocprim17ROCPRIM_400000_NS6detail17trampoline_kernelINS0_14default_configENS1_25partition_config_selectorILNS1_17partition_subalgoE3EyNS0_10empty_typeEbEEZZNS1_14partition_implILS5_3ELb0ES3_jN6thrust23THRUST_200600_302600_NS6detail15normal_iteratorINSA_7pointerIyNSA_11hip_rocprim3tagENSA_11use_defaultESG_EEEEPS6_SJ_NS0_5tupleIJPySJ_EEENSK_IJSJ_SJ_EEES6_PlJ7is_evenIyEEEE10hipError_tPvRmT3_T4_T5_T6_T7_T9_mT8_P12ihipStream_tbDpT10_ENKUlT_T0_E_clISt17integral_constantIbLb1EES19_IbLb0EEEEDaS15_S16_EUlS15_E_NS1_11comp_targetILNS1_3genE5ELNS1_11target_archE942ELNS1_3gpuE9ELNS1_3repE0EEENS1_30default_config_static_selectorELNS0_4arch9wavefront6targetE1EEEvT1_: ; @_ZN7rocprim17ROCPRIM_400000_NS6detail17trampoline_kernelINS0_14default_configENS1_25partition_config_selectorILNS1_17partition_subalgoE3EyNS0_10empty_typeEbEEZZNS1_14partition_implILS5_3ELb0ES3_jN6thrust23THRUST_200600_302600_NS6detail15normal_iteratorINSA_7pointerIyNSA_11hip_rocprim3tagENSA_11use_defaultESG_EEEEPS6_SJ_NS0_5tupleIJPySJ_EEENSK_IJSJ_SJ_EEES6_PlJ7is_evenIyEEEE10hipError_tPvRmT3_T4_T5_T6_T7_T9_mT8_P12ihipStream_tbDpT10_ENKUlT_T0_E_clISt17integral_constantIbLb1EES19_IbLb0EEEEDaS15_S16_EUlS15_E_NS1_11comp_targetILNS1_3genE5ELNS1_11target_archE942ELNS1_3gpuE9ELNS1_3repE0EEENS1_30default_config_static_selectorELNS0_4arch9wavefront6targetE1EEEvT1_
; %bb.0:
	s_load_dwordx4 s[20:23], s[0:1], 0x8
	s_load_dwordx4 s[24:27], s[0:1], 0x48
	s_load_dwordx2 s[28:29], s[0:1], 0x58
	s_load_dword s3, s[0:1], 0x70
	s_mul_i32 s30, s2, 0xe00
	s_waitcnt lgkmcnt(0)
	s_lshl_b64 s[4:5], s[22:23], 3
	s_add_u32 s8, s20, s4
	s_addc_u32 s9, s21, s5
	s_add_i32 s6, s3, -1
	s_mulk_i32 s3, 0xe00
	s_add_i32 s4, s3, s22
	s_sub_i32 s33, s28, s4
	s_addk_i32 s33, 0xe00
	s_add_u32 s4, s22, s3
	s_addc_u32 s5, s23, 0
	s_cmp_eq_u32 s2, s6
	s_load_dwordx2 s[34:35], s[26:27], 0x0
	v_mov_b64_e32 v[2:3], s[28:29]
	s_cselect_b64 s[26:27], -1, 0
	s_cmp_lg_u32 s2, s6
	s_mov_b32 s31, 0
	v_cmp_lt_u64_e32 vcc, s[4:5], v[2:3]
	s_cselect_b64 s[4:5], -1, 0
	s_or_b64 s[6:7], s[4:5], vcc
	s_lshl_b64 s[4:5], s[30:31], 3
	s_add_u32 s8, s8, s4
	s_addc_u32 s9, s9, s5
	s_mov_b64 s[4:5], -1
	s_and_b64 vcc, exec, s[6:7]
	v_lshlrev_b32_e32 v18, 3, v0
	s_cbranch_vccz .LBB691_2
; %bb.1:
	v_mov_b32_e32 v19, 0
	v_lshl_add_u64 v[2:3], s[8:9], 0, v[18:19]
	v_add_co_u32_e32 v4, vcc, 0x1000, v2
	s_mov_b64 s[4:5], 0
	s_nop 0
	v_addc_co_u32_e32 v5, vcc, 0, v3, vcc
	v_add_co_u32_e32 v6, vcc, 0x2000, v2
	s_nop 1
	v_addc_co_u32_e32 v7, vcc, 0, v3, vcc
	v_add_co_u32_e32 v8, vcc, 0x3000, v2
	s_nop 1
	v_addc_co_u32_e32 v9, vcc, 0, v3, vcc
	flat_load_dwordx2 v[10:11], v[2:3]
	flat_load_dwordx2 v[12:13], v[4:5]
	;; [unrolled: 1-line block ×4, first 2 shown]
	v_add_co_u32_e32 v4, vcc, 0x4000, v2
	s_nop 1
	v_addc_co_u32_e32 v5, vcc, 0, v3, vcc
	v_add_co_u32_e32 v6, vcc, 0x5000, v2
	s_nop 1
	v_addc_co_u32_e32 v7, vcc, 0, v3, vcc
	;; [unrolled: 3-line block ×3, first 2 shown]
	flat_load_dwordx2 v[8:9], v[4:5]
	flat_load_dwordx2 v[20:21], v[6:7]
	;; [unrolled: 1-line block ×3, first 2 shown]
	s_waitcnt vmcnt(0) lgkmcnt(0)
	ds_write2st64_b64 v18, v[10:11], v[12:13] offset1:8
	ds_write2st64_b64 v18, v[14:15], v[16:17] offset0:16 offset1:24
	ds_write2st64_b64 v18, v[8:9], v[20:21] offset0:32 offset1:40
	ds_write_b64 v18, v[22:23] offset:24576
	s_waitcnt lgkmcnt(0)
	s_barrier
.LBB691_2:
	s_andn2_b64 vcc, exec, s[4:5]
	v_cmp_gt_u32_e64 s[4:5], s33, v0
	s_cbranch_vccnz .LBB691_18
; %bb.3:
                                        ; implicit-def: $vgpr2_vgpr3_vgpr4_vgpr5_vgpr6_vgpr7_vgpr8_vgpr9_vgpr10_vgpr11_vgpr12_vgpr13_vgpr14_vgpr15_vgpr16_vgpr17
	s_and_saveexec_b64 s[10:11], s[4:5]
	s_cbranch_execz .LBB691_5
; %bb.4:
	v_mov_b32_e32 v19, 0
	v_lshl_add_u64 v[2:3], s[8:9], 0, v[18:19]
	flat_load_dwordx2 v[2:3], v[2:3]
.LBB691_5:
	s_or_b64 exec, exec, s[10:11]
	v_or_b32_e32 v1, 0x200, v0
	v_cmp_gt_u32_e32 vcc, s33, v1
	s_and_saveexec_b64 s[4:5], vcc
	s_cbranch_execz .LBB691_7
; %bb.6:
	v_lshlrev_b32_e32 v4, 3, v1
	v_mov_b32_e32 v5, 0
	v_lshl_add_u64 v[4:5], s[8:9], 0, v[4:5]
	flat_load_dwordx2 v[4:5], v[4:5]
.LBB691_7:
	s_or_b64 exec, exec, s[4:5]
	v_or_b32_e32 v1, 0x400, v0
	v_cmp_gt_u32_e32 vcc, s33, v1
	s_and_saveexec_b64 s[4:5], vcc
	s_cbranch_execz .LBB691_9
; %bb.8:
	v_lshlrev_b32_e32 v6, 3, v1
	v_mov_b32_e32 v7, 0
	v_lshl_add_u64 v[6:7], s[8:9], 0, v[6:7]
	flat_load_dwordx2 v[6:7], v[6:7]
.LBB691_9:
	;; [unrolled: 11-line block ×6, first 2 shown]
	s_or_b64 exec, exec, s[4:5]
	s_waitcnt vmcnt(0) lgkmcnt(0)
	ds_write2st64_b64 v18, v[2:3], v[4:5] offset1:8
	ds_write2st64_b64 v18, v[6:7], v[8:9] offset0:16 offset1:24
	ds_write2st64_b64 v18, v[10:11], v[12:13] offset0:32 offset1:40
	ds_write_b64 v18, v[14:15] offset:24576
	s_waitcnt lgkmcnt(0)
	s_barrier
.LBB691_18:
	v_mul_u32_u24_e32 v1, 7, v0
	v_lshlrev_b32_e32 v32, 3, v1
	s_waitcnt lgkmcnt(0)
	ds_read2_b64 v[10:13], v32 offset1:1
	ds_read2_b64 v[6:9], v32 offset0:2 offset1:3
	ds_read2_b64 v[2:5], v32 offset0:4 offset1:5
	ds_read_b64 v[14:15], v32 offset:48
	v_cndmask_b32_e64 v16, 0, 1, s[6:7]
	v_cmp_ne_u32_e64 s[20:21], 1, v16
	s_andn2_b64 vcc, exec, s[6:7]
	s_waitcnt lgkmcnt(3)
	v_xor_b32_e32 v24, -1, v10
	v_xor_b32_e32 v23, -1, v12
	s_waitcnt lgkmcnt(2)
	v_xor_b32_e32 v22, -1, v6
	v_xor_b32_e32 v21, -1, v8
	;; [unrolled: 3-line block ×3, first 2 shown]
	s_waitcnt lgkmcnt(0)
	v_xor_b32_e32 v16, -1, v14
	s_barrier
	s_cbranch_vccnz .LBB691_20
; %bb.19:
	v_mov_b32_e32 v19, 1
	v_and_b32_e32 v25, 1, v24
	v_and_b32_sdwa v26, v23, v19 dst_sel:BYTE_1 dst_unused:UNUSED_PAD src0_sel:DWORD src1_sel:DWORD
	v_and_b32_e32 v27, 1, v22
	v_and_b32_sdwa v30, v21, v19 dst_sel:BYTE_1 dst_unused:UNUSED_PAD src0_sel:DWORD src1_sel:DWORD
	v_or_b32_e32 v25, v25, v26
	v_or_b32_sdwa v26, v27, v30 dst_sel:WORD_1 dst_unused:UNUSED_PAD src0_sel:DWORD src1_sel:DWORD
	v_and_b32_e32 v29, 1, v20
	v_and_b32_e32 v28, 1, v17
	;; [unrolled: 1-line block ×3, first 2 shown]
	v_or_b32_sdwa v30, v25, v26 dst_sel:DWORD dst_unused:UNUSED_PAD src0_sel:WORD_0 src1_sel:DWORD
	s_load_dwordx2 s[36:37], s[0:1], 0x68
	s_cbranch_execz .LBB691_21
	s_branch .LBB691_22
.LBB691_20:
                                        ; implicit-def: $vgpr19
                                        ; implicit-def: $vgpr28
                                        ; implicit-def: $vgpr29
                                        ; implicit-def: $vgpr30
	s_load_dwordx2 s[36:37], s[0:1], 0x68
.LBB691_21:
	v_add_u32_e32 v19, 1, v1
	v_cmp_gt_u32_e32 vcc, s33, v1
	v_add_u32_e32 v25, 2, v1
	v_add_u32_e32 v26, 3, v1
	v_cndmask_b32_e64 v29, 0, 1, vcc
	v_cmp_gt_u32_e32 vcc, s33, v19
	v_add_u32_e32 v27, 4, v1
	v_add_u32_e32 v28, 5, v1
	v_cndmask_b32_e64 v19, 0, 1, vcc
	v_cmp_gt_u32_e32 vcc, s33, v25
	v_and_b32_sdwa v23, v19, v23 dst_sel:BYTE_1 dst_unused:UNUSED_PAD src0_sel:DWORD src1_sel:DWORD
	v_add_u32_e32 v30, 6, v1
	v_cndmask_b32_e64 v19, 0, 1, vcc
	v_cmp_gt_u32_e32 vcc, s33, v26
	v_and_b32_e32 v22, v19, v22
	v_and_b32_e32 v24, v29, v24
	v_cndmask_b32_e64 v19, 0, 1, vcc
	v_cmp_gt_u32_e32 vcc, s33, v27
	v_and_b32_sdwa v21, v19, v21 dst_sel:BYTE_1 dst_unused:UNUSED_PAD src0_sel:DWORD src1_sel:DWORD
	s_nop 0
	v_cndmask_b32_e64 v19, 0, 1, vcc
	v_cmp_gt_u32_e32 vcc, s33, v28
	v_and_b32_e32 v29, v19, v20
	s_nop 0
	v_cndmask_b32_e64 v19, 0, 1, vcc
	v_cmp_gt_u32_e32 vcc, s33, v30
	v_and_b32_e32 v28, v19, v17
	s_nop 0
	v_cndmask_b32_e64 v17, 0, 1, vcc
	v_and_b32_e32 v19, v17, v16
	v_or_b32_e32 v16, v24, v23
	v_or_b32_sdwa v17, v22, v21 dst_sel:WORD_1 dst_unused:UNUSED_PAD src0_sel:DWORD src1_sel:DWORD
	s_nop 0
	v_or_b32_sdwa v30, v16, v17 dst_sel:DWORD dst_unused:UNUSED_PAD src0_sel:WORD_0 src1_sel:DWORD
.LBB691_22:
	v_and_b32_e32 v33, 0xff, v30
	v_bfe_u32 v34, v30, 8, 8
	v_bfe_u32 v35, v30, 16, 8
	v_lshrrev_b32_e32 v31, 24, v30
	v_and_b32_e32 v36, 0xff, v29
	v_add3_u32 v17, v34, v33, v35
	v_and_b32_e32 v37, 0xff, v28
	v_and_b32_e32 v16, 0xff, v19
	v_add3_u32 v17, v17, v31, v36
	v_add3_u32 v40, v17, v37, v16
	v_mbcnt_lo_u32_b32 v16, -1, 0
	v_mbcnt_hi_u32_b32 v38, -1, v16
	v_and_b32_e32 v16, 15, v38
	v_cmp_eq_u32_e64 s[16:17], 0, v16
	v_cmp_lt_u32_e64 s[14:15], 1, v16
	v_cmp_lt_u32_e64 s[12:13], 3, v16
	;; [unrolled: 1-line block ×3, first 2 shown]
	v_and_b32_e32 v16, 16, v38
	v_cmp_eq_u32_e64 s[8:9], 0, v16
	v_or_b32_e32 v16, 63, v0
	s_cmp_lg_u32 s2, 0
	v_cmp_lt_u32_e64 s[4:5], 31, v38
	v_lshrrev_b32_e32 v39, 6, v0
	v_cmp_eq_u32_e64 s[6:7], v16, v0
	s_cbranch_scc0 .LBB691_53
; %bb.23:
	v_mov_b32_dpp v16, v40 row_shr:1 row_mask:0xf bank_mask:0xf
	v_cndmask_b32_e64 v16, v16, 0, s[16:17]
	v_add_u32_e32 v16, v16, v40
	s_nop 1
	v_mov_b32_dpp v17, v16 row_shr:2 row_mask:0xf bank_mask:0xf
	v_cndmask_b32_e64 v17, 0, v17, s[14:15]
	v_add_u32_e32 v16, v16, v17
	s_nop 1
	;; [unrolled: 4-line block ×4, first 2 shown]
	v_mov_b32_dpp v17, v16 row_bcast:15 row_mask:0xf bank_mask:0xf
	v_cndmask_b32_e64 v17, v17, 0, s[8:9]
	v_add_u32_e32 v16, v16, v17
	s_nop 1
	v_mov_b32_dpp v17, v16 row_bcast:31 row_mask:0xf bank_mask:0xf
	v_cndmask_b32_e64 v17, 0, v17, s[4:5]
	v_add_u32_e32 v16, v16, v17
	s_and_saveexec_b64 s[18:19], s[6:7]
	s_cbranch_execz .LBB691_25
; %bb.24:
	v_lshlrev_b32_e32 v17, 2, v39
	ds_write_b32 v17, v16
.LBB691_25:
	s_or_b64 exec, exec, s[18:19]
	v_cmp_gt_u32_e32 vcc, 8, v0
	s_waitcnt lgkmcnt(0)
	s_barrier
	s_and_saveexec_b64 s[18:19], vcc
	s_cbranch_execz .LBB691_27
; %bb.26:
	v_lshlrev_b32_e32 v17, 2, v0
	ds_read_b32 v20, v17
	v_and_b32_e32 v21, 7, v38
	v_cmp_ne_u32_e32 vcc, 0, v21
	s_waitcnt lgkmcnt(0)
	v_mov_b32_dpp v22, v20 row_shr:1 row_mask:0xf bank_mask:0xf
	v_cndmask_b32_e32 v22, 0, v22, vcc
	v_add_u32_e32 v20, v22, v20
	v_cmp_lt_u32_e32 vcc, 1, v21
	s_nop 0
	v_mov_b32_dpp v22, v20 row_shr:2 row_mask:0xf bank_mask:0xf
	v_cndmask_b32_e32 v22, 0, v22, vcc
	v_add_u32_e32 v20, v20, v22
	v_cmp_lt_u32_e32 vcc, 3, v21
	s_nop 0
	v_mov_b32_dpp v22, v20 row_shr:4 row_mask:0xf bank_mask:0xf
	v_cndmask_b32_e32 v21, 0, v22, vcc
	v_add_u32_e32 v20, v20, v21
	ds_write_b32 v17, v20
.LBB691_27:
	s_or_b64 exec, exec, s[18:19]
	v_cmp_gt_u32_e32 vcc, 64, v0
	v_cmp_lt_u32_e64 s[18:19], 63, v0
	s_waitcnt lgkmcnt(0)
	s_barrier
	s_waitcnt lgkmcnt(0)
                                        ; implicit-def: $vgpr41
	s_and_saveexec_b64 s[38:39], s[18:19]
	s_cbranch_execz .LBB691_29
; %bb.28:
	v_lshl_add_u32 v17, v39, 2, -4
	ds_read_b32 v41, v17
	s_waitcnt lgkmcnt(0)
	v_add_u32_e32 v16, v41, v16
.LBB691_29:
	s_or_b64 exec, exec, s[38:39]
	v_add_u32_e32 v17, -1, v38
	v_and_b32_e32 v20, 64, v38
	v_cmp_lt_i32_e64 s[18:19], v17, v20
	s_nop 1
	v_cndmask_b32_e64 v17, v17, v38, s[18:19]
	v_lshlrev_b32_e32 v17, 2, v17
	ds_bpermute_b32 v42, v17, v16
	v_cmp_eq_u32_e64 s[18:19], 0, v38
	s_and_saveexec_b64 s[38:39], vcc
	s_cbranch_execz .LBB691_52
; %bb.30:
	v_mov_b32_e32 v27, 0
	ds_read_b32 v16, v27 offset:28
	s_and_saveexec_b64 s[40:41], s[18:19]
	s_cbranch_execz .LBB691_32
; %bb.31:
	s_add_i32 s42, s2, 64
	s_mov_b32 s43, 0
	s_lshl_b64 s[42:43], s[42:43], 3
	s_add_u32 s42, s36, s42
	v_mov_b32_e32 v17, 1
	s_addc_u32 s43, s37, s43
	s_waitcnt lgkmcnt(0)
	global_store_dwordx2 v27, v[16:17], s[42:43] sc1
.LBB691_32:
	s_or_b64 exec, exec, s[40:41]
	v_xad_u32 v20, v38, -1, s2
	v_add_u32_e32 v26, 64, v20
	v_lshl_add_u64 v[22:23], v[26:27], 3, s[36:37]
	global_load_dwordx2 v[24:25], v[22:23], off sc1
	s_waitcnt vmcnt(0)
	v_cmp_eq_u16_sdwa s[42:43], v25, v27 src0_sel:BYTE_0 src1_sel:DWORD
	s_and_saveexec_b64 s[40:41], s[42:43]
	s_cbranch_execz .LBB691_38
; %bb.33:
	s_mov_b32 s3, 1
	s_mov_b64 s[42:43], 0
	v_mov_b32_e32 v17, 0
.LBB691_34:                             ; =>This Loop Header: Depth=1
                                        ;     Child Loop BB691_35 Depth 2
	s_max_u32 s31, s3, 1
.LBB691_35:                             ;   Parent Loop BB691_34 Depth=1
                                        ; =>  This Inner Loop Header: Depth=2
	s_add_i32 s31, s31, -1
	s_cmp_eq_u32 s31, 0
	s_sleep 1
	s_cbranch_scc0 .LBB691_35
; %bb.36:                               ;   in Loop: Header=BB691_34 Depth=1
	global_load_dwordx2 v[24:25], v[22:23], off sc1
	s_cmp_lt_u32 s3, 32
	s_cselect_b64 s[44:45], -1, 0
	s_cmp_lg_u64 s[44:45], 0
	s_addc_u32 s3, s3, 0
	s_waitcnt vmcnt(0)
	v_cmp_ne_u16_sdwa s[44:45], v25, v17 src0_sel:BYTE_0 src1_sel:DWORD
	s_or_b64 s[42:43], s[44:45], s[42:43]
	s_andn2_b64 exec, exec, s[42:43]
	s_cbranch_execnz .LBB691_34
; %bb.37:
	s_or_b64 exec, exec, s[42:43]
.LBB691_38:
	s_or_b64 exec, exec, s[40:41]
	v_and_b32_e32 v44, 63, v38
	v_mov_b32_e32 v43, 2
	v_cmp_ne_u32_e32 vcc, 63, v44
	v_cmp_eq_u16_sdwa s[40:41], v25, v43 src0_sel:BYTE_0 src1_sel:DWORD
	v_lshlrev_b64 v[22:23], v38, -1
	v_addc_co_u32_e32 v26, vcc, 0, v38, vcc
	v_and_b32_e32 v17, s41, v23
	v_lshlrev_b32_e32 v45, 2, v26
	v_or_b32_e32 v17, 0x80000000, v17
	ds_bpermute_b32 v26, v45, v24
	v_and_b32_e32 v21, s40, v22
	v_ffbl_b32_e32 v17, v17
	v_add_u32_e32 v17, 32, v17
	v_ffbl_b32_e32 v21, v21
	v_min_u32_e32 v17, v21, v17
	v_cmp_lt_u32_e32 vcc, v44, v17
	v_add_u32_e32 v47, 2, v44
	v_add_u32_e32 v49, 4, v44
	s_waitcnt lgkmcnt(0)
	v_cndmask_b32_e32 v21, 0, v26, vcc
	v_cmp_gt_u32_e32 vcc, 62, v44
	v_add_u32_e32 v21, v21, v24
	v_add_u32_e32 v51, 8, v44
	v_cndmask_b32_e64 v24, 0, 1, vcc
	v_lshlrev_b32_e32 v24, 1, v24
	v_add_lshl_u32 v46, v24, v38, 2
	ds_bpermute_b32 v24, v46, v21
	v_cmp_le_u32_e32 vcc, v47, v17
	v_add_u32_e32 v53, 16, v44
	v_add_u32_e32 v55, 32, v44
	s_waitcnt lgkmcnt(0)
	v_cndmask_b32_e32 v24, 0, v24, vcc
	v_cmp_gt_u32_e32 vcc, 60, v44
	v_add_u32_e32 v21, v21, v24
	s_nop 0
	v_cndmask_b32_e64 v24, 0, 1, vcc
	v_lshlrev_b32_e32 v24, 2, v24
	v_add_lshl_u32 v48, v24, v38, 2
	ds_bpermute_b32 v24, v48, v21
	v_cmp_le_u32_e32 vcc, v49, v17
	s_waitcnt lgkmcnt(0)
	s_nop 0
	v_cndmask_b32_e32 v24, 0, v24, vcc
	v_cmp_gt_u32_e32 vcc, 56, v44
	v_add_u32_e32 v21, v21, v24
	s_nop 0
	v_cndmask_b32_e64 v24, 0, 1, vcc
	v_lshlrev_b32_e32 v24, 3, v24
	v_add_lshl_u32 v50, v24, v38, 2
	ds_bpermute_b32 v24, v50, v21
	v_cmp_le_u32_e32 vcc, v51, v17
	s_waitcnt lgkmcnt(0)
	s_nop 0
	;; [unrolled: 11-line block ×4, first 2 shown]
	v_cndmask_b32_e32 v17, 0, v24, vcc
	v_add_u32_e32 v24, v21, v17
	v_mov_b32_e32 v21, 0
	s_branch .LBB691_40
.LBB691_39:                             ;   in Loop: Header=BB691_40 Depth=1
	s_or_b64 exec, exec, s[40:41]
	v_cmp_eq_u16_sdwa s[40:41], v25, v43 src0_sel:BYTE_0 src1_sel:DWORD
	ds_bpermute_b32 v56, v45, v24
	v_subrev_u32_e32 v20, 64, v20
	v_and_b32_e32 v26, s41, v23
	v_or_b32_e32 v26, 0x80000000, v26
	v_and_b32_e32 v27, s40, v22
	v_ffbl_b32_e32 v26, v26
	v_add_u32_e32 v26, 32, v26
	v_ffbl_b32_e32 v27, v27
	v_min_u32_e32 v26, v27, v26
	v_cmp_lt_u32_e32 vcc, v44, v26
	s_waitcnt lgkmcnt(0)
	s_nop 0
	v_cndmask_b32_e32 v27, 0, v56, vcc
	v_add_u32_e32 v24, v27, v24
	ds_bpermute_b32 v27, v46, v24
	v_cmp_le_u32_e32 vcc, v47, v26
	s_waitcnt lgkmcnt(0)
	s_nop 0
	v_cndmask_b32_e32 v27, 0, v27, vcc
	v_add_u32_e32 v24, v24, v27
	ds_bpermute_b32 v27, v48, v24
	v_cmp_le_u32_e32 vcc, v49, v26
	;; [unrolled: 6-line block ×5, first 2 shown]
	s_waitcnt lgkmcnt(0)
	s_nop 0
	v_cndmask_b32_e32 v26, 0, v27, vcc
	v_add3_u32 v24, v26, v17, v24
.LBB691_40:                             ; =>This Loop Header: Depth=1
                                        ;     Child Loop BB691_43 Depth 2
                                        ;       Child Loop BB691_44 Depth 3
	v_cmp_ne_u16_sdwa s[40:41], v25, v43 src0_sel:BYTE_0 src1_sel:DWORD
	s_nop 1
	v_cndmask_b32_e64 v17, 0, 1, s[40:41]
	;;#ASMSTART
	;;#ASMEND
	s_nop 0
	v_cmp_ne_u32_e32 vcc, 0, v17
	s_cmp_lg_u64 vcc, exec
	v_mov_b32_e32 v17, v24
	s_cbranch_scc1 .LBB691_47
; %bb.41:                               ;   in Loop: Header=BB691_40 Depth=1
	v_lshl_add_u64 v[26:27], v[20:21], 3, s[36:37]
	global_load_dwordx2 v[24:25], v[26:27], off sc1
	s_waitcnt vmcnt(0)
	v_cmp_eq_u16_sdwa s[42:43], v25, v21 src0_sel:BYTE_0 src1_sel:DWORD
	s_and_saveexec_b64 s[40:41], s[42:43]
	s_cbranch_execz .LBB691_39
; %bb.42:                               ;   in Loop: Header=BB691_40 Depth=1
	s_mov_b32 s3, 1
	s_mov_b64 s[42:43], 0
.LBB691_43:                             ;   Parent Loop BB691_40 Depth=1
                                        ; =>  This Loop Header: Depth=2
                                        ;       Child Loop BB691_44 Depth 3
	s_max_u32 s31, s3, 1
.LBB691_44:                             ;   Parent Loop BB691_40 Depth=1
                                        ;     Parent Loop BB691_43 Depth=2
                                        ; =>    This Inner Loop Header: Depth=3
	s_add_i32 s31, s31, -1
	s_cmp_eq_u32 s31, 0
	s_sleep 1
	s_cbranch_scc0 .LBB691_44
; %bb.45:                               ;   in Loop: Header=BB691_43 Depth=2
	global_load_dwordx2 v[24:25], v[26:27], off sc1
	s_cmp_lt_u32 s3, 32
	s_cselect_b64 s[44:45], -1, 0
	s_cmp_lg_u64 s[44:45], 0
	s_addc_u32 s3, s3, 0
	s_waitcnt vmcnt(0)
	v_cmp_ne_u16_sdwa s[44:45], v25, v21 src0_sel:BYTE_0 src1_sel:DWORD
	s_or_b64 s[42:43], s[44:45], s[42:43]
	s_andn2_b64 exec, exec, s[42:43]
	s_cbranch_execnz .LBB691_43
; %bb.46:                               ;   in Loop: Header=BB691_40 Depth=1
	s_or_b64 exec, exec, s[42:43]
	s_branch .LBB691_39
.LBB691_47:                             ;   in Loop: Header=BB691_40 Depth=1
                                        ; implicit-def: $vgpr24
                                        ; implicit-def: $vgpr25
	s_cbranch_execz .LBB691_40
; %bb.48:
	s_and_saveexec_b64 s[40:41], s[18:19]
	s_cbranch_execz .LBB691_50
; %bb.49:
	s_add_i32 s2, s2, 64
	s_mov_b32 s3, 0
	s_lshl_b64 s[2:3], s[2:3], 3
	s_add_u32 s2, s36, s2
	v_add_u32_e32 v20, v17, v16
	v_mov_b32_e32 v21, 2
	s_addc_u32 s3, s37, s3
	v_mov_b32_e32 v22, 0
	global_store_dwordx2 v22, v[20:21], s[2:3] sc1
	ds_write_b64 v22, v[16:17] offset:28672
.LBB691_50:
	s_or_b64 exec, exec, s[40:41]
	v_cmp_eq_u32_e32 vcc, 0, v0
	s_and_b64 exec, exec, vcc
	s_cbranch_execz .LBB691_52
; %bb.51:
	v_mov_b32_e32 v16, 0
	ds_write_b32 v16, v17 offset:28
.LBB691_52:
	s_or_b64 exec, exec, s[38:39]
	v_mov_b32_e32 v16, 0
	s_waitcnt lgkmcnt(0)
	s_barrier
	ds_read_b32 v17, v16 offset:28
	v_cndmask_b32_e64 v20, v42, v41, s[18:19]
	v_cmp_ne_u32_e32 vcc, 0, v0
	s_waitcnt lgkmcnt(0)
	s_barrier
	v_cndmask_b32_e32 v20, 0, v20, vcc
	v_add_u32_e32 v27, v17, v20
	v_add_u32_e32 v26, v27, v33
	ds_read_b64 v[16:17], v16 offset:28672
	v_add_u32_e32 v25, v26, v34
	v_add_u32_e32 v24, v25, v35
	;; [unrolled: 1-line block ×5, first 2 shown]
	s_waitcnt lgkmcnt(0)
	v_mov_b32_e32 v22, v17
	s_load_dwordx2 s[2:3], s[0:1], 0x28
	s_branch .LBB691_63
.LBB691_53:
                                        ; implicit-def: $vgpr22
                                        ; implicit-def: $vgpr16
                                        ; implicit-def: $vgpr20
                                        ; implicit-def: $vgpr21
                                        ; implicit-def: $vgpr23
                                        ; implicit-def: $vgpr24
                                        ; implicit-def: $vgpr25
                                        ; implicit-def: $vgpr26
                                        ; implicit-def: $vgpr27
	s_load_dwordx2 s[2:3], s[0:1], 0x28
	s_cbranch_execz .LBB691_63
; %bb.54:
	v_mov_b32_dpp v16, v40 row_shr:1 row_mask:0xf bank_mask:0xf
	v_cndmask_b32_e64 v16, v16, 0, s[16:17]
	v_add_u32_e32 v16, v16, v40
	s_nop 1
	v_mov_b32_dpp v17, v16 row_shr:2 row_mask:0xf bank_mask:0xf
	v_cndmask_b32_e64 v17, 0, v17, s[14:15]
	v_add_u32_e32 v16, v16, v17
	s_nop 1
	;; [unrolled: 4-line block ×4, first 2 shown]
	v_mov_b32_dpp v17, v16 row_bcast:15 row_mask:0xf bank_mask:0xf
	v_cndmask_b32_e64 v17, v17, 0, s[8:9]
	v_add_u32_e32 v16, v16, v17
	s_nop 1
	v_mov_b32_dpp v17, v16 row_bcast:31 row_mask:0xf bank_mask:0xf
	v_cndmask_b32_e64 v17, 0, v17, s[4:5]
	v_add_u32_e32 v16, v16, v17
	s_and_saveexec_b64 s[0:1], s[6:7]
	s_cbranch_execz .LBB691_56
; %bb.55:
	v_lshlrev_b32_e32 v17, 2, v39
	ds_write_b32 v17, v16
.LBB691_56:
	s_or_b64 exec, exec, s[0:1]
	v_cmp_gt_u32_e32 vcc, 8, v0
	s_waitcnt lgkmcnt(0)
	s_barrier
	s_and_saveexec_b64 s[0:1], vcc
	s_cbranch_execz .LBB691_58
; %bb.57:
	s_movk_i32 s4, 0xffcc
	v_mad_i32_i24 v17, v0, s4, v32
	ds_read_b32 v20, v17
	v_and_b32_e32 v21, 7, v38
	v_cmp_ne_u32_e32 vcc, 0, v21
	s_waitcnt lgkmcnt(0)
	v_mov_b32_dpp v22, v20 row_shr:1 row_mask:0xf bank_mask:0xf
	v_cndmask_b32_e32 v22, 0, v22, vcc
	v_add_u32_e32 v20, v22, v20
	v_cmp_lt_u32_e32 vcc, 1, v21
	s_nop 0
	v_mov_b32_dpp v22, v20 row_shr:2 row_mask:0xf bank_mask:0xf
	v_cndmask_b32_e32 v22, 0, v22, vcc
	v_add_u32_e32 v20, v20, v22
	v_cmp_lt_u32_e32 vcc, 3, v21
	s_nop 0
	v_mov_b32_dpp v22, v20 row_shr:4 row_mask:0xf bank_mask:0xf
	v_cndmask_b32_e32 v21, 0, v22, vcc
	v_add_u32_e32 v20, v20, v21
	ds_write_b32 v17, v20
.LBB691_58:
	s_or_b64 exec, exec, s[0:1]
	v_cmp_lt_u32_e32 vcc, 63, v0
	v_mov_b32_e32 v17, 0
	v_mov_b32_e32 v20, 0
	s_waitcnt lgkmcnt(0)
	s_barrier
	s_and_saveexec_b64 s[0:1], vcc
	s_cbranch_execz .LBB691_60
; %bb.59:
	v_lshl_add_u32 v20, v39, 2, -4
	ds_read_b32 v20, v20
.LBB691_60:
	s_or_b64 exec, exec, s[0:1]
	v_add_u32_e32 v21, -1, v38
	v_and_b32_e32 v22, 64, v38
	v_cmp_lt_i32_e32 vcc, v21, v22
	s_waitcnt lgkmcnt(0)
	v_add_u32_e32 v16, v20, v16
	v_cndmask_b32_e32 v21, v21, v38, vcc
	v_lshlrev_b32_e32 v21, 2, v21
	ds_bpermute_b32 v21, v21, v16
	ds_read_b32 v16, v17 offset:28
	v_cmp_eq_u32_e32 vcc, 0, v0
	s_and_saveexec_b64 s[0:1], vcc
	s_cbranch_execz .LBB691_62
; %bb.61:
	v_mov_b32_e32 v22, 0
	v_mov_b32_e32 v17, 2
	s_waitcnt lgkmcnt(0)
	global_store_dwordx2 v22, v[16:17], s[36:37] offset:512 sc1
.LBB691_62:
	s_or_b64 exec, exec, s[0:1]
	v_cmp_eq_u32_e64 s[0:1], 0, v38
	v_mov_b32_e32 v22, 0
	s_waitcnt lgkmcnt(0)
	v_cndmask_b32_e64 v17, v21, v20, s[0:1]
	v_cndmask_b32_e64 v27, v17, 0, vcc
	v_add_u32_e32 v26, v27, v33
	v_add_u32_e32 v25, v26, v34
	;; [unrolled: 1-line block ×6, first 2 shown]
	s_barrier
.LBB691_63:
	v_add_u32_e32 v1, v16, v1
	v_sub_u32_e32 v27, v27, v22
	v_and_b32_e32 v33, 1, v30
	v_sub_u32_e32 v32, v1, v27
	v_cmp_eq_u32_e32 vcc, 1, v33
	v_lshrrev_b32_e32 v17, 8, v30
	v_and_b32_e32 v17, 1, v17
	v_cndmask_b32_e32 v27, v32, v27, vcc
	v_lshlrev_b32_e32 v27, 3, v27
	ds_write_b64 v27, v[10:11]
	v_sub_u32_e32 v10, v26, v22
	v_sub_u32_e32 v11, v1, v10
	v_add_u32_e32 v11, 1, v11
	v_cmp_eq_u32_e32 vcc, 1, v17
	s_add_u32 s0, s22, s30
	s_addc_u32 s1, s23, 0
	v_cndmask_b32_e32 v10, v11, v10, vcc
	v_lshlrev_b32_e32 v10, 3, v10
	ds_write_b64 v10, v[12:13]
	v_sub_u32_e32 v10, v25, v22
	v_mov_b32_e32 v12, 1
	v_sub_u32_e32 v11, v1, v10
	v_and_b32_sdwa v12, v12, v30 dst_sel:DWORD dst_unused:UNUSED_PAD src0_sel:DWORD src1_sel:WORD_1
	v_add_u32_e32 v11, 2, v11
	v_cmp_eq_u32_e32 vcc, 1, v12
	s_sub_u32 s0, s28, s0
	s_subb_u32 s1, s29, s1
	v_cndmask_b32_e32 v10, v11, v10, vcc
	v_lshlrev_b32_e32 v10, 3, v10
	ds_write_b64 v10, v[6:7]
	v_sub_u32_e32 v6, v24, v22
	v_sub_u32_e32 v7, v1, v6
	v_and_b32_e32 v10, 1, v31
	v_add_u32_e32 v7, 3, v7
	v_cmp_eq_u32_e32 vcc, 1, v10
	v_or_b32_e32 v32, 0x200, v0
	v_or_b32_e32 v30, 0x400, v0
	v_cndmask_b32_e32 v6, v7, v6, vcc
	v_lshlrev_b32_e32 v6, 3, v6
	ds_write_b64 v6, v[8:9]
	v_sub_u32_e32 v6, v23, v22
	v_sub_u32_e32 v7, v1, v6
	v_and_b32_e32 v8, 1, v29
	v_add_u32_e32 v7, 4, v7
	v_cmp_eq_u32_e32 vcc, 1, v8
	v_or_b32_e32 v26, 0x800, v0
	v_or_b32_e32 v24, 0xa00, v0
	v_cndmask_b32_e32 v6, v7, v6, vcc
	v_lshlrev_b32_e32 v6, 3, v6
	ds_write_b64 v6, v[2:3]
	v_sub_u32_e32 v2, v21, v22
	v_sub_u32_e32 v3, v1, v2
	v_and_b32_e32 v6, 1, v28
	v_add_u32_e32 v3, 5, v3
	v_cmp_eq_u32_e32 vcc, 1, v6
	v_or_b32_e32 v28, 0x600, v0
	s_nop 0
	v_cndmask_b32_e32 v2, v3, v2, vcc
	v_lshlrev_b32_e32 v2, 3, v2
	ds_write_b64 v2, v[4:5]
	v_sub_u32_e32 v2, v20, v22
	v_sub_u32_e32 v1, v1, v2
	v_and_b32_e32 v3, 1, v19
	v_add_u32_e32 v1, 6, v1
	v_cmp_eq_u32_e32 vcc, 1, v3
	v_or_b32_e32 v20, 0xc00, v0
	s_nop 0
	v_cndmask_b32_e32 v1, v1, v2, vcc
	v_lshlrev_b32_e32 v1, 3, v1
	ds_write_b64 v1, v[14:15]
	s_waitcnt lgkmcnt(0)
	s_barrier
	ds_read2st64_b64 v[10:13], v18 offset1:8
	ds_read2st64_b64 v[6:9], v18 offset0:16 offset1:24
	ds_read2st64_b64 v[2:5], v18 offset0:32 offset1:40
	ds_read_b64 v[18:19], v18 offset:24576
	v_mov_b32_e32 v1, 0
	v_mov_b32_e32 v23, v1
	;; [unrolled: 1-line block ×3, first 2 shown]
	v_lshl_add_u64 v[14:15], s[34:35], 0, v[22:23]
	v_lshl_add_u64 v[22:23], s[0:1], 0, v[16:17]
	v_mov_b32_e32 v33, v1
	v_mov_b32_e32 v31, v1
	;; [unrolled: 1-line block ×6, first 2 shown]
	s_and_b64 vcc, exec, s[20:21]
	v_lshl_add_u64 v[22:23], v[22:23], 0, v[14:15]
	s_cbranch_vccnz .LBB691_93
; %bb.64:
	v_cmp_ge_u32_e32 vcc, v0, v16
                                        ; implicit-def: $vgpr34_vgpr35
	s_and_saveexec_b64 s[0:1], vcc
	s_xor_b64 s[0:1], exec, s[0:1]
; %bb.65:
	v_not_b32_e32 v34, v0
	v_ashrrev_i32_e32 v35, 31, v34
	v_lshl_add_u64 v[34:35], v[22:23], 0, v[34:35]
; %bb.66:
	s_andn2_saveexec_b64 s[0:1], s[0:1]
; %bb.67:
	v_lshl_add_u64 v[34:35], v[14:15], 0, v[0:1]
; %bb.68:
	s_or_b64 exec, exec, s[0:1]
	v_lshl_add_u64 v[34:35], v[34:35], 3, s[2:3]
	v_cmp_ge_u32_e32 vcc, v32, v16
	s_waitcnt lgkmcnt(3)
	global_store_dwordx2 v[34:35], v[10:11], off
                                        ; implicit-def: $vgpr34_vgpr35
	s_and_saveexec_b64 s[0:1], vcc
	s_xor_b64 s[0:1], exec, s[0:1]
; %bb.69:
	v_xor_b32_e32 v34, 0xfffffdff, v0
	v_ashrrev_i32_e32 v35, 31, v34
	v_lshl_add_u64 v[34:35], v[22:23], 0, v[34:35]
; %bb.70:
	s_andn2_saveexec_b64 s[0:1], s[0:1]
; %bb.71:
	v_lshl_add_u64 v[34:35], v[14:15], 0, v[32:33]
; %bb.72:
	s_or_b64 exec, exec, s[0:1]
	v_lshl_add_u64 v[34:35], v[34:35], 3, s[2:3]
	v_cmp_ge_u32_e32 vcc, v30, v16
	global_store_dwordx2 v[34:35], v[12:13], off
                                        ; implicit-def: $vgpr34_vgpr35
	s_and_saveexec_b64 s[0:1], vcc
	s_xor_b64 s[0:1], exec, s[0:1]
; %bb.73:
	v_xor_b32_e32 v34, 0xfffffbff, v0
	v_ashrrev_i32_e32 v35, 31, v34
	v_lshl_add_u64 v[34:35], v[22:23], 0, v[34:35]
; %bb.74:
	s_andn2_saveexec_b64 s[0:1], s[0:1]
; %bb.75:
	v_lshl_add_u64 v[34:35], v[14:15], 0, v[30:31]
; %bb.76:
	s_or_b64 exec, exec, s[0:1]
	v_lshl_add_u64 v[34:35], v[34:35], 3, s[2:3]
	v_cmp_ge_u32_e32 vcc, v28, v16
	s_waitcnt lgkmcnt(2)
	global_store_dwordx2 v[34:35], v[6:7], off
                                        ; implicit-def: $vgpr34_vgpr35
	s_and_saveexec_b64 s[0:1], vcc
	s_xor_b64 s[0:1], exec, s[0:1]
; %bb.77:
	v_xor_b32_e32 v34, 0xfffff9ff, v0
	v_ashrrev_i32_e32 v35, 31, v34
	v_lshl_add_u64 v[34:35], v[22:23], 0, v[34:35]
; %bb.78:
	s_andn2_saveexec_b64 s[0:1], s[0:1]
; %bb.79:
	v_lshl_add_u64 v[34:35], v[14:15], 0, v[28:29]
; %bb.80:
	s_or_b64 exec, exec, s[0:1]
	v_lshl_add_u64 v[34:35], v[34:35], 3, s[2:3]
	v_cmp_ge_u32_e32 vcc, v26, v16
	global_store_dwordx2 v[34:35], v[8:9], off
                                        ; implicit-def: $vgpr34_vgpr35
	s_and_saveexec_b64 s[0:1], vcc
	s_xor_b64 s[0:1], exec, s[0:1]
; %bb.81:
	v_xor_b32_e32 v34, 0xfffff7ff, v0
	;; [unrolled: 33-line block ×3, first 2 shown]
	v_ashrrev_i32_e32 v35, 31, v34
	v_lshl_add_u64 v[34:35], v[22:23], 0, v[34:35]
; %bb.90:
	s_andn2_saveexec_b64 s[0:1], s[0:1]
; %bb.91:
	v_lshl_add_u64 v[34:35], v[14:15], 0, v[20:21]
; %bb.92:
	s_or_b64 exec, exec, s[0:1]
	s_mov_b64 s[0:1], -1
	s_branch .LBB691_137
.LBB691_93:
	s_mov_b64 s[0:1], 0
                                        ; implicit-def: $vgpr34_vgpr35
	s_cbranch_execz .LBB691_137
; %bb.94:
	v_cmp_gt_u32_e32 vcc, s33, v0
	s_and_saveexec_b64 s[4:5], vcc
	s_cbranch_execz .LBB691_112
; %bb.95:
	v_cmp_ge_u32_e32 vcc, v0, v16
                                        ; implicit-def: $vgpr34_vgpr35
	s_and_saveexec_b64 s[6:7], vcc
	s_xor_b64 s[6:7], exec, s[6:7]
; %bb.96:
	v_not_b32_e32 v34, v0
	v_ashrrev_i32_e32 v35, 31, v34
	v_lshl_add_u64 v[34:35], v[22:23], 0, v[34:35]
; %bb.97:
	s_andn2_saveexec_b64 s[6:7], s[6:7]
; %bb.98:
	v_lshl_add_u64 v[34:35], v[14:15], 0, v[0:1]
; %bb.99:
	s_or_b64 exec, exec, s[6:7]
	v_lshl_add_u64 v[34:35], v[34:35], 3, s[2:3]
	s_waitcnt lgkmcnt(3)
	global_store_dwordx2 v[34:35], v[10:11], off
	s_or_b64 exec, exec, s[4:5]
	v_cmp_gt_u32_e32 vcc, s33, v32
	s_and_saveexec_b64 s[4:5], vcc
	s_cbranch_execnz .LBB691_113
.LBB691_100:
	s_or_b64 exec, exec, s[4:5]
	v_cmp_gt_u32_e32 vcc, s33, v30
	s_and_saveexec_b64 s[4:5], vcc
	s_cbranch_execz .LBB691_118
.LBB691_101:
	v_cmp_ge_u32_e32 vcc, v30, v16
                                        ; implicit-def: $vgpr10_vgpr11
	s_and_saveexec_b64 s[6:7], vcc
	s_xor_b64 s[6:7], exec, s[6:7]
	s_cbranch_execz .LBB691_103
; %bb.102:
	s_waitcnt lgkmcnt(3)
	v_xor_b32_e32 v10, 0xfffffbff, v0
	v_ashrrev_i32_e32 v11, 31, v10
	v_lshl_add_u64 v[10:11], v[22:23], 0, v[10:11]
                                        ; implicit-def: $vgpr30_vgpr31
.LBB691_103:
	s_andn2_saveexec_b64 s[6:7], s[6:7]
	s_cbranch_execz .LBB691_105
; %bb.104:
	s_waitcnt lgkmcnt(3)
	v_lshl_add_u64 v[10:11], v[14:15], 0, v[30:31]
.LBB691_105:
	s_or_b64 exec, exec, s[6:7]
	s_waitcnt lgkmcnt(3)
	v_lshl_add_u64 v[10:11], v[10:11], 3, s[2:3]
	s_waitcnt lgkmcnt(2)
	global_store_dwordx2 v[10:11], v[6:7], off
	s_or_b64 exec, exec, s[4:5]
	v_cmp_gt_u32_e32 vcc, s33, v28
	s_and_saveexec_b64 s[4:5], vcc
	s_cbranch_execnz .LBB691_119
.LBB691_106:
	s_or_b64 exec, exec, s[4:5]
	v_cmp_gt_u32_e32 vcc, s33, v26
	s_and_saveexec_b64 s[4:5], vcc
	s_cbranch_execz .LBB691_124
.LBB691_107:
	v_cmp_ge_u32_e32 vcc, v26, v16
                                        ; implicit-def: $vgpr6_vgpr7
	s_and_saveexec_b64 s[6:7], vcc
	s_xor_b64 s[6:7], exec, s[6:7]
	s_cbranch_execz .LBB691_109
; %bb.108:
	s_waitcnt lgkmcnt(2)
	v_xor_b32_e32 v6, 0xfffff7ff, v0
	v_ashrrev_i32_e32 v7, 31, v6
	v_lshl_add_u64 v[6:7], v[22:23], 0, v[6:7]
                                        ; implicit-def: $vgpr26_vgpr27
.LBB691_109:
	s_andn2_saveexec_b64 s[6:7], s[6:7]
	s_cbranch_execz .LBB691_111
; %bb.110:
	s_waitcnt lgkmcnt(2)
	v_lshl_add_u64 v[6:7], v[14:15], 0, v[26:27]
.LBB691_111:
	s_or_b64 exec, exec, s[6:7]
	s_waitcnt lgkmcnt(2)
	v_lshl_add_u64 v[6:7], v[6:7], 3, s[2:3]
	s_waitcnt lgkmcnt(1)
	global_store_dwordx2 v[6:7], v[2:3], off
	s_or_b64 exec, exec, s[4:5]
	v_cmp_gt_u32_e32 vcc, s33, v24
	s_and_saveexec_b64 s[4:5], vcc
	s_cbranch_execz .LBB691_130
	s_branch .LBB691_125
.LBB691_112:
	s_or_b64 exec, exec, s[4:5]
	v_cmp_gt_u32_e32 vcc, s33, v32
	s_and_saveexec_b64 s[4:5], vcc
	s_cbranch_execz .LBB691_100
.LBB691_113:
	v_cmp_ge_u32_e32 vcc, v32, v16
                                        ; implicit-def: $vgpr10_vgpr11
	s_and_saveexec_b64 s[6:7], vcc
	s_xor_b64 s[6:7], exec, s[6:7]
	s_cbranch_execz .LBB691_115
; %bb.114:
	s_waitcnt lgkmcnt(3)
	v_xor_b32_e32 v10, 0xfffffdff, v0
	v_ashrrev_i32_e32 v11, 31, v10
	v_lshl_add_u64 v[10:11], v[22:23], 0, v[10:11]
                                        ; implicit-def: $vgpr32_vgpr33
.LBB691_115:
	s_andn2_saveexec_b64 s[6:7], s[6:7]
	s_cbranch_execz .LBB691_117
; %bb.116:
	s_waitcnt lgkmcnt(3)
	v_lshl_add_u64 v[10:11], v[14:15], 0, v[32:33]
.LBB691_117:
	s_or_b64 exec, exec, s[6:7]
	s_waitcnt lgkmcnt(3)
	v_lshl_add_u64 v[10:11], v[10:11], 3, s[2:3]
	global_store_dwordx2 v[10:11], v[12:13], off
	s_or_b64 exec, exec, s[4:5]
	v_cmp_gt_u32_e32 vcc, s33, v30
	s_and_saveexec_b64 s[4:5], vcc
	s_cbranch_execnz .LBB691_101
.LBB691_118:
	s_or_b64 exec, exec, s[4:5]
	v_cmp_gt_u32_e32 vcc, s33, v28
	s_and_saveexec_b64 s[4:5], vcc
	s_cbranch_execz .LBB691_106
.LBB691_119:
	v_cmp_ge_u32_e32 vcc, v28, v16
                                        ; implicit-def: $vgpr6_vgpr7
	s_and_saveexec_b64 s[6:7], vcc
	s_xor_b64 s[6:7], exec, s[6:7]
	s_cbranch_execz .LBB691_121
; %bb.120:
	s_waitcnt lgkmcnt(2)
	v_xor_b32_e32 v6, 0xfffff9ff, v0
	v_ashrrev_i32_e32 v7, 31, v6
	v_lshl_add_u64 v[6:7], v[22:23], 0, v[6:7]
                                        ; implicit-def: $vgpr28_vgpr29
.LBB691_121:
	s_andn2_saveexec_b64 s[6:7], s[6:7]
	s_cbranch_execz .LBB691_123
; %bb.122:
	s_waitcnt lgkmcnt(2)
	v_lshl_add_u64 v[6:7], v[14:15], 0, v[28:29]
.LBB691_123:
	s_or_b64 exec, exec, s[6:7]
	s_waitcnt lgkmcnt(2)
	v_lshl_add_u64 v[6:7], v[6:7], 3, s[2:3]
	global_store_dwordx2 v[6:7], v[8:9], off
	s_or_b64 exec, exec, s[4:5]
	v_cmp_gt_u32_e32 vcc, s33, v26
	s_and_saveexec_b64 s[4:5], vcc
	s_cbranch_execnz .LBB691_107
.LBB691_124:
	s_or_b64 exec, exec, s[4:5]
	v_cmp_gt_u32_e32 vcc, s33, v24
	s_and_saveexec_b64 s[4:5], vcc
	s_cbranch_execz .LBB691_130
.LBB691_125:
	v_cmp_ge_u32_e32 vcc, v24, v16
                                        ; implicit-def: $vgpr2_vgpr3
	s_and_saveexec_b64 s[6:7], vcc
	s_xor_b64 s[6:7], exec, s[6:7]
	s_cbranch_execz .LBB691_127
; %bb.126:
	s_waitcnt lgkmcnt(1)
	v_xor_b32_e32 v2, 0xfffff5ff, v0
	v_ashrrev_i32_e32 v3, 31, v2
	v_lshl_add_u64 v[2:3], v[22:23], 0, v[2:3]
                                        ; implicit-def: $vgpr24_vgpr25
.LBB691_127:
	s_andn2_saveexec_b64 s[6:7], s[6:7]
	s_cbranch_execz .LBB691_129
; %bb.128:
	s_waitcnt lgkmcnt(1)
	v_lshl_add_u64 v[2:3], v[14:15], 0, v[24:25]
.LBB691_129:
	s_or_b64 exec, exec, s[6:7]
	s_waitcnt lgkmcnt(1)
	v_lshl_add_u64 v[2:3], v[2:3], 3, s[2:3]
	global_store_dwordx2 v[2:3], v[4:5], off
.LBB691_130:
	s_or_b64 exec, exec, s[4:5]
	v_cmp_gt_u32_e32 vcc, s33, v20
                                        ; implicit-def: $vgpr34_vgpr35
	s_and_saveexec_b64 s[4:5], vcc
	s_cbranch_execz .LBB691_136
; %bb.131:
	v_cmp_ge_u32_e32 vcc, v20, v16
                                        ; implicit-def: $vgpr34_vgpr35
	s_and_saveexec_b64 s[6:7], vcc
	s_xor_b64 s[6:7], exec, s[6:7]
	s_cbranch_execz .LBB691_133
; %bb.132:
	s_waitcnt lgkmcnt(1)
	v_xor_b32_e32 v2, 0xfffff3ff, v0
	v_ashrrev_i32_e32 v3, 31, v2
	v_lshl_add_u64 v[34:35], v[22:23], 0, v[2:3]
                                        ; implicit-def: $vgpr20_vgpr21
.LBB691_133:
	s_andn2_saveexec_b64 s[6:7], s[6:7]
; %bb.134:
	v_lshl_add_u64 v[34:35], v[14:15], 0, v[20:21]
; %bb.135:
	s_or_b64 exec, exec, s[6:7]
	s_or_b64 s[0:1], s[0:1], exec
.LBB691_136:
	s_or_b64 exec, exec, s[4:5]
.LBB691_137:
	s_and_saveexec_b64 s[4:5], s[0:1]
	s_cbranch_execz .LBB691_139
; %bb.138:
	s_waitcnt lgkmcnt(1)
	v_lshl_add_u64 v[2:3], v[34:35], 3, s[2:3]
	s_waitcnt lgkmcnt(0)
	global_store_dwordx2 v[2:3], v[18:19], off
.LBB691_139:
	s_or_b64 exec, exec, s[4:5]
	v_cmp_eq_u32_e32 vcc, 0, v0
	s_and_b64 s[0:1], vcc, s[26:27]
	s_and_saveexec_b64 s[2:3], s[0:1]
	s_cbranch_execz .LBB691_141
; %bb.140:
	s_waitcnt lgkmcnt(1)
	v_mov_b32_e32 v2, 0
	v_lshl_add_u64 v[0:1], v[14:15], 0, v[16:17]
	global_store_dwordx2 v2, v[0:1], s[24:25]
.LBB691_141:
	s_endpgm
	.section	.rodata,"a",@progbits
	.p2align	6, 0x0
	.amdhsa_kernel _ZN7rocprim17ROCPRIM_400000_NS6detail17trampoline_kernelINS0_14default_configENS1_25partition_config_selectorILNS1_17partition_subalgoE3EyNS0_10empty_typeEbEEZZNS1_14partition_implILS5_3ELb0ES3_jN6thrust23THRUST_200600_302600_NS6detail15normal_iteratorINSA_7pointerIyNSA_11hip_rocprim3tagENSA_11use_defaultESG_EEEEPS6_SJ_NS0_5tupleIJPySJ_EEENSK_IJSJ_SJ_EEES6_PlJ7is_evenIyEEEE10hipError_tPvRmT3_T4_T5_T6_T7_T9_mT8_P12ihipStream_tbDpT10_ENKUlT_T0_E_clISt17integral_constantIbLb1EES19_IbLb0EEEEDaS15_S16_EUlS15_E_NS1_11comp_targetILNS1_3genE5ELNS1_11target_archE942ELNS1_3gpuE9ELNS1_3repE0EEENS1_30default_config_static_selectorELNS0_4arch9wavefront6targetE1EEEvT1_
		.amdhsa_group_segment_fixed_size 28680
		.amdhsa_private_segment_fixed_size 0
		.amdhsa_kernarg_size 120
		.amdhsa_user_sgpr_count 2
		.amdhsa_user_sgpr_dispatch_ptr 0
		.amdhsa_user_sgpr_queue_ptr 0
		.amdhsa_user_sgpr_kernarg_segment_ptr 1
		.amdhsa_user_sgpr_dispatch_id 0
		.amdhsa_user_sgpr_kernarg_preload_length 0
		.amdhsa_user_sgpr_kernarg_preload_offset 0
		.amdhsa_user_sgpr_private_segment_size 0
		.amdhsa_uses_dynamic_stack 0
		.amdhsa_enable_private_segment 0
		.amdhsa_system_sgpr_workgroup_id_x 1
		.amdhsa_system_sgpr_workgroup_id_y 0
		.amdhsa_system_sgpr_workgroup_id_z 0
		.amdhsa_system_sgpr_workgroup_info 0
		.amdhsa_system_vgpr_workitem_id 0
		.amdhsa_next_free_vgpr 57
		.amdhsa_next_free_sgpr 46
		.amdhsa_accum_offset 60
		.amdhsa_reserve_vcc 1
		.amdhsa_float_round_mode_32 0
		.amdhsa_float_round_mode_16_64 0
		.amdhsa_float_denorm_mode_32 3
		.amdhsa_float_denorm_mode_16_64 3
		.amdhsa_dx10_clamp 1
		.amdhsa_ieee_mode 1
		.amdhsa_fp16_overflow 0
		.amdhsa_tg_split 0
		.amdhsa_exception_fp_ieee_invalid_op 0
		.amdhsa_exception_fp_denorm_src 0
		.amdhsa_exception_fp_ieee_div_zero 0
		.amdhsa_exception_fp_ieee_overflow 0
		.amdhsa_exception_fp_ieee_underflow 0
		.amdhsa_exception_fp_ieee_inexact 0
		.amdhsa_exception_int_div_zero 0
	.end_amdhsa_kernel
	.section	.text._ZN7rocprim17ROCPRIM_400000_NS6detail17trampoline_kernelINS0_14default_configENS1_25partition_config_selectorILNS1_17partition_subalgoE3EyNS0_10empty_typeEbEEZZNS1_14partition_implILS5_3ELb0ES3_jN6thrust23THRUST_200600_302600_NS6detail15normal_iteratorINSA_7pointerIyNSA_11hip_rocprim3tagENSA_11use_defaultESG_EEEEPS6_SJ_NS0_5tupleIJPySJ_EEENSK_IJSJ_SJ_EEES6_PlJ7is_evenIyEEEE10hipError_tPvRmT3_T4_T5_T6_T7_T9_mT8_P12ihipStream_tbDpT10_ENKUlT_T0_E_clISt17integral_constantIbLb1EES19_IbLb0EEEEDaS15_S16_EUlS15_E_NS1_11comp_targetILNS1_3genE5ELNS1_11target_archE942ELNS1_3gpuE9ELNS1_3repE0EEENS1_30default_config_static_selectorELNS0_4arch9wavefront6targetE1EEEvT1_,"axG",@progbits,_ZN7rocprim17ROCPRIM_400000_NS6detail17trampoline_kernelINS0_14default_configENS1_25partition_config_selectorILNS1_17partition_subalgoE3EyNS0_10empty_typeEbEEZZNS1_14partition_implILS5_3ELb0ES3_jN6thrust23THRUST_200600_302600_NS6detail15normal_iteratorINSA_7pointerIyNSA_11hip_rocprim3tagENSA_11use_defaultESG_EEEEPS6_SJ_NS0_5tupleIJPySJ_EEENSK_IJSJ_SJ_EEES6_PlJ7is_evenIyEEEE10hipError_tPvRmT3_T4_T5_T6_T7_T9_mT8_P12ihipStream_tbDpT10_ENKUlT_T0_E_clISt17integral_constantIbLb1EES19_IbLb0EEEEDaS15_S16_EUlS15_E_NS1_11comp_targetILNS1_3genE5ELNS1_11target_archE942ELNS1_3gpuE9ELNS1_3repE0EEENS1_30default_config_static_selectorELNS0_4arch9wavefront6targetE1EEEvT1_,comdat
.Lfunc_end691:
	.size	_ZN7rocprim17ROCPRIM_400000_NS6detail17trampoline_kernelINS0_14default_configENS1_25partition_config_selectorILNS1_17partition_subalgoE3EyNS0_10empty_typeEbEEZZNS1_14partition_implILS5_3ELb0ES3_jN6thrust23THRUST_200600_302600_NS6detail15normal_iteratorINSA_7pointerIyNSA_11hip_rocprim3tagENSA_11use_defaultESG_EEEEPS6_SJ_NS0_5tupleIJPySJ_EEENSK_IJSJ_SJ_EEES6_PlJ7is_evenIyEEEE10hipError_tPvRmT3_T4_T5_T6_T7_T9_mT8_P12ihipStream_tbDpT10_ENKUlT_T0_E_clISt17integral_constantIbLb1EES19_IbLb0EEEEDaS15_S16_EUlS15_E_NS1_11comp_targetILNS1_3genE5ELNS1_11target_archE942ELNS1_3gpuE9ELNS1_3repE0EEENS1_30default_config_static_selectorELNS0_4arch9wavefront6targetE1EEEvT1_, .Lfunc_end691-_ZN7rocprim17ROCPRIM_400000_NS6detail17trampoline_kernelINS0_14default_configENS1_25partition_config_selectorILNS1_17partition_subalgoE3EyNS0_10empty_typeEbEEZZNS1_14partition_implILS5_3ELb0ES3_jN6thrust23THRUST_200600_302600_NS6detail15normal_iteratorINSA_7pointerIyNSA_11hip_rocprim3tagENSA_11use_defaultESG_EEEEPS6_SJ_NS0_5tupleIJPySJ_EEENSK_IJSJ_SJ_EEES6_PlJ7is_evenIyEEEE10hipError_tPvRmT3_T4_T5_T6_T7_T9_mT8_P12ihipStream_tbDpT10_ENKUlT_T0_E_clISt17integral_constantIbLb1EES19_IbLb0EEEEDaS15_S16_EUlS15_E_NS1_11comp_targetILNS1_3genE5ELNS1_11target_archE942ELNS1_3gpuE9ELNS1_3repE0EEENS1_30default_config_static_selectorELNS0_4arch9wavefront6targetE1EEEvT1_
                                        ; -- End function
	.section	.AMDGPU.csdata,"",@progbits
; Kernel info:
; codeLenInByte = 5076
; NumSgprs: 52
; NumVgprs: 57
; NumAgprs: 0
; TotalNumVgprs: 57
; ScratchSize: 0
; MemoryBound: 0
; FloatMode: 240
; IeeeMode: 1
; LDSByteSize: 28680 bytes/workgroup (compile time only)
; SGPRBlocks: 6
; VGPRBlocks: 7
; NumSGPRsForWavesPerEU: 52
; NumVGPRsForWavesPerEU: 57
; AccumOffset: 60
; Occupancy: 4
; WaveLimiterHint : 1
; COMPUTE_PGM_RSRC2:SCRATCH_EN: 0
; COMPUTE_PGM_RSRC2:USER_SGPR: 2
; COMPUTE_PGM_RSRC2:TRAP_HANDLER: 0
; COMPUTE_PGM_RSRC2:TGID_X_EN: 1
; COMPUTE_PGM_RSRC2:TGID_Y_EN: 0
; COMPUTE_PGM_RSRC2:TGID_Z_EN: 0
; COMPUTE_PGM_RSRC2:TIDIG_COMP_CNT: 0
; COMPUTE_PGM_RSRC3_GFX90A:ACCUM_OFFSET: 14
; COMPUTE_PGM_RSRC3_GFX90A:TG_SPLIT: 0
	.section	.text._ZN7rocprim17ROCPRIM_400000_NS6detail17trampoline_kernelINS0_14default_configENS1_25partition_config_selectorILNS1_17partition_subalgoE3EyNS0_10empty_typeEbEEZZNS1_14partition_implILS5_3ELb0ES3_jN6thrust23THRUST_200600_302600_NS6detail15normal_iteratorINSA_7pointerIyNSA_11hip_rocprim3tagENSA_11use_defaultESG_EEEEPS6_SJ_NS0_5tupleIJPySJ_EEENSK_IJSJ_SJ_EEES6_PlJ7is_evenIyEEEE10hipError_tPvRmT3_T4_T5_T6_T7_T9_mT8_P12ihipStream_tbDpT10_ENKUlT_T0_E_clISt17integral_constantIbLb1EES19_IbLb0EEEEDaS15_S16_EUlS15_E_NS1_11comp_targetILNS1_3genE4ELNS1_11target_archE910ELNS1_3gpuE8ELNS1_3repE0EEENS1_30default_config_static_selectorELNS0_4arch9wavefront6targetE1EEEvT1_,"axG",@progbits,_ZN7rocprim17ROCPRIM_400000_NS6detail17trampoline_kernelINS0_14default_configENS1_25partition_config_selectorILNS1_17partition_subalgoE3EyNS0_10empty_typeEbEEZZNS1_14partition_implILS5_3ELb0ES3_jN6thrust23THRUST_200600_302600_NS6detail15normal_iteratorINSA_7pointerIyNSA_11hip_rocprim3tagENSA_11use_defaultESG_EEEEPS6_SJ_NS0_5tupleIJPySJ_EEENSK_IJSJ_SJ_EEES6_PlJ7is_evenIyEEEE10hipError_tPvRmT3_T4_T5_T6_T7_T9_mT8_P12ihipStream_tbDpT10_ENKUlT_T0_E_clISt17integral_constantIbLb1EES19_IbLb0EEEEDaS15_S16_EUlS15_E_NS1_11comp_targetILNS1_3genE4ELNS1_11target_archE910ELNS1_3gpuE8ELNS1_3repE0EEENS1_30default_config_static_selectorELNS0_4arch9wavefront6targetE1EEEvT1_,comdat
	.protected	_ZN7rocprim17ROCPRIM_400000_NS6detail17trampoline_kernelINS0_14default_configENS1_25partition_config_selectorILNS1_17partition_subalgoE3EyNS0_10empty_typeEbEEZZNS1_14partition_implILS5_3ELb0ES3_jN6thrust23THRUST_200600_302600_NS6detail15normal_iteratorINSA_7pointerIyNSA_11hip_rocprim3tagENSA_11use_defaultESG_EEEEPS6_SJ_NS0_5tupleIJPySJ_EEENSK_IJSJ_SJ_EEES6_PlJ7is_evenIyEEEE10hipError_tPvRmT3_T4_T5_T6_T7_T9_mT8_P12ihipStream_tbDpT10_ENKUlT_T0_E_clISt17integral_constantIbLb1EES19_IbLb0EEEEDaS15_S16_EUlS15_E_NS1_11comp_targetILNS1_3genE4ELNS1_11target_archE910ELNS1_3gpuE8ELNS1_3repE0EEENS1_30default_config_static_selectorELNS0_4arch9wavefront6targetE1EEEvT1_ ; -- Begin function _ZN7rocprim17ROCPRIM_400000_NS6detail17trampoline_kernelINS0_14default_configENS1_25partition_config_selectorILNS1_17partition_subalgoE3EyNS0_10empty_typeEbEEZZNS1_14partition_implILS5_3ELb0ES3_jN6thrust23THRUST_200600_302600_NS6detail15normal_iteratorINSA_7pointerIyNSA_11hip_rocprim3tagENSA_11use_defaultESG_EEEEPS6_SJ_NS0_5tupleIJPySJ_EEENSK_IJSJ_SJ_EEES6_PlJ7is_evenIyEEEE10hipError_tPvRmT3_T4_T5_T6_T7_T9_mT8_P12ihipStream_tbDpT10_ENKUlT_T0_E_clISt17integral_constantIbLb1EES19_IbLb0EEEEDaS15_S16_EUlS15_E_NS1_11comp_targetILNS1_3genE4ELNS1_11target_archE910ELNS1_3gpuE8ELNS1_3repE0EEENS1_30default_config_static_selectorELNS0_4arch9wavefront6targetE1EEEvT1_
	.globl	_ZN7rocprim17ROCPRIM_400000_NS6detail17trampoline_kernelINS0_14default_configENS1_25partition_config_selectorILNS1_17partition_subalgoE3EyNS0_10empty_typeEbEEZZNS1_14partition_implILS5_3ELb0ES3_jN6thrust23THRUST_200600_302600_NS6detail15normal_iteratorINSA_7pointerIyNSA_11hip_rocprim3tagENSA_11use_defaultESG_EEEEPS6_SJ_NS0_5tupleIJPySJ_EEENSK_IJSJ_SJ_EEES6_PlJ7is_evenIyEEEE10hipError_tPvRmT3_T4_T5_T6_T7_T9_mT8_P12ihipStream_tbDpT10_ENKUlT_T0_E_clISt17integral_constantIbLb1EES19_IbLb0EEEEDaS15_S16_EUlS15_E_NS1_11comp_targetILNS1_3genE4ELNS1_11target_archE910ELNS1_3gpuE8ELNS1_3repE0EEENS1_30default_config_static_selectorELNS0_4arch9wavefront6targetE1EEEvT1_
	.p2align	8
	.type	_ZN7rocprim17ROCPRIM_400000_NS6detail17trampoline_kernelINS0_14default_configENS1_25partition_config_selectorILNS1_17partition_subalgoE3EyNS0_10empty_typeEbEEZZNS1_14partition_implILS5_3ELb0ES3_jN6thrust23THRUST_200600_302600_NS6detail15normal_iteratorINSA_7pointerIyNSA_11hip_rocprim3tagENSA_11use_defaultESG_EEEEPS6_SJ_NS0_5tupleIJPySJ_EEENSK_IJSJ_SJ_EEES6_PlJ7is_evenIyEEEE10hipError_tPvRmT3_T4_T5_T6_T7_T9_mT8_P12ihipStream_tbDpT10_ENKUlT_T0_E_clISt17integral_constantIbLb1EES19_IbLb0EEEEDaS15_S16_EUlS15_E_NS1_11comp_targetILNS1_3genE4ELNS1_11target_archE910ELNS1_3gpuE8ELNS1_3repE0EEENS1_30default_config_static_selectorELNS0_4arch9wavefront6targetE1EEEvT1_,@function
_ZN7rocprim17ROCPRIM_400000_NS6detail17trampoline_kernelINS0_14default_configENS1_25partition_config_selectorILNS1_17partition_subalgoE3EyNS0_10empty_typeEbEEZZNS1_14partition_implILS5_3ELb0ES3_jN6thrust23THRUST_200600_302600_NS6detail15normal_iteratorINSA_7pointerIyNSA_11hip_rocprim3tagENSA_11use_defaultESG_EEEEPS6_SJ_NS0_5tupleIJPySJ_EEENSK_IJSJ_SJ_EEES6_PlJ7is_evenIyEEEE10hipError_tPvRmT3_T4_T5_T6_T7_T9_mT8_P12ihipStream_tbDpT10_ENKUlT_T0_E_clISt17integral_constantIbLb1EES19_IbLb0EEEEDaS15_S16_EUlS15_E_NS1_11comp_targetILNS1_3genE4ELNS1_11target_archE910ELNS1_3gpuE8ELNS1_3repE0EEENS1_30default_config_static_selectorELNS0_4arch9wavefront6targetE1EEEvT1_: ; @_ZN7rocprim17ROCPRIM_400000_NS6detail17trampoline_kernelINS0_14default_configENS1_25partition_config_selectorILNS1_17partition_subalgoE3EyNS0_10empty_typeEbEEZZNS1_14partition_implILS5_3ELb0ES3_jN6thrust23THRUST_200600_302600_NS6detail15normal_iteratorINSA_7pointerIyNSA_11hip_rocprim3tagENSA_11use_defaultESG_EEEEPS6_SJ_NS0_5tupleIJPySJ_EEENSK_IJSJ_SJ_EEES6_PlJ7is_evenIyEEEE10hipError_tPvRmT3_T4_T5_T6_T7_T9_mT8_P12ihipStream_tbDpT10_ENKUlT_T0_E_clISt17integral_constantIbLb1EES19_IbLb0EEEEDaS15_S16_EUlS15_E_NS1_11comp_targetILNS1_3genE4ELNS1_11target_archE910ELNS1_3gpuE8ELNS1_3repE0EEENS1_30default_config_static_selectorELNS0_4arch9wavefront6targetE1EEEvT1_
; %bb.0:
	.section	.rodata,"a",@progbits
	.p2align	6, 0x0
	.amdhsa_kernel _ZN7rocprim17ROCPRIM_400000_NS6detail17trampoline_kernelINS0_14default_configENS1_25partition_config_selectorILNS1_17partition_subalgoE3EyNS0_10empty_typeEbEEZZNS1_14partition_implILS5_3ELb0ES3_jN6thrust23THRUST_200600_302600_NS6detail15normal_iteratorINSA_7pointerIyNSA_11hip_rocprim3tagENSA_11use_defaultESG_EEEEPS6_SJ_NS0_5tupleIJPySJ_EEENSK_IJSJ_SJ_EEES6_PlJ7is_evenIyEEEE10hipError_tPvRmT3_T4_T5_T6_T7_T9_mT8_P12ihipStream_tbDpT10_ENKUlT_T0_E_clISt17integral_constantIbLb1EES19_IbLb0EEEEDaS15_S16_EUlS15_E_NS1_11comp_targetILNS1_3genE4ELNS1_11target_archE910ELNS1_3gpuE8ELNS1_3repE0EEENS1_30default_config_static_selectorELNS0_4arch9wavefront6targetE1EEEvT1_
		.amdhsa_group_segment_fixed_size 0
		.amdhsa_private_segment_fixed_size 0
		.amdhsa_kernarg_size 120
		.amdhsa_user_sgpr_count 2
		.amdhsa_user_sgpr_dispatch_ptr 0
		.amdhsa_user_sgpr_queue_ptr 0
		.amdhsa_user_sgpr_kernarg_segment_ptr 1
		.amdhsa_user_sgpr_dispatch_id 0
		.amdhsa_user_sgpr_kernarg_preload_length 0
		.amdhsa_user_sgpr_kernarg_preload_offset 0
		.amdhsa_user_sgpr_private_segment_size 0
		.amdhsa_uses_dynamic_stack 0
		.amdhsa_enable_private_segment 0
		.amdhsa_system_sgpr_workgroup_id_x 1
		.amdhsa_system_sgpr_workgroup_id_y 0
		.amdhsa_system_sgpr_workgroup_id_z 0
		.amdhsa_system_sgpr_workgroup_info 0
		.amdhsa_system_vgpr_workitem_id 0
		.amdhsa_next_free_vgpr 1
		.amdhsa_next_free_sgpr 0
		.amdhsa_accum_offset 4
		.amdhsa_reserve_vcc 0
		.amdhsa_float_round_mode_32 0
		.amdhsa_float_round_mode_16_64 0
		.amdhsa_float_denorm_mode_32 3
		.amdhsa_float_denorm_mode_16_64 3
		.amdhsa_dx10_clamp 1
		.amdhsa_ieee_mode 1
		.amdhsa_fp16_overflow 0
		.amdhsa_tg_split 0
		.amdhsa_exception_fp_ieee_invalid_op 0
		.amdhsa_exception_fp_denorm_src 0
		.amdhsa_exception_fp_ieee_div_zero 0
		.amdhsa_exception_fp_ieee_overflow 0
		.amdhsa_exception_fp_ieee_underflow 0
		.amdhsa_exception_fp_ieee_inexact 0
		.amdhsa_exception_int_div_zero 0
	.end_amdhsa_kernel
	.section	.text._ZN7rocprim17ROCPRIM_400000_NS6detail17trampoline_kernelINS0_14default_configENS1_25partition_config_selectorILNS1_17partition_subalgoE3EyNS0_10empty_typeEbEEZZNS1_14partition_implILS5_3ELb0ES3_jN6thrust23THRUST_200600_302600_NS6detail15normal_iteratorINSA_7pointerIyNSA_11hip_rocprim3tagENSA_11use_defaultESG_EEEEPS6_SJ_NS0_5tupleIJPySJ_EEENSK_IJSJ_SJ_EEES6_PlJ7is_evenIyEEEE10hipError_tPvRmT3_T4_T5_T6_T7_T9_mT8_P12ihipStream_tbDpT10_ENKUlT_T0_E_clISt17integral_constantIbLb1EES19_IbLb0EEEEDaS15_S16_EUlS15_E_NS1_11comp_targetILNS1_3genE4ELNS1_11target_archE910ELNS1_3gpuE8ELNS1_3repE0EEENS1_30default_config_static_selectorELNS0_4arch9wavefront6targetE1EEEvT1_,"axG",@progbits,_ZN7rocprim17ROCPRIM_400000_NS6detail17trampoline_kernelINS0_14default_configENS1_25partition_config_selectorILNS1_17partition_subalgoE3EyNS0_10empty_typeEbEEZZNS1_14partition_implILS5_3ELb0ES3_jN6thrust23THRUST_200600_302600_NS6detail15normal_iteratorINSA_7pointerIyNSA_11hip_rocprim3tagENSA_11use_defaultESG_EEEEPS6_SJ_NS0_5tupleIJPySJ_EEENSK_IJSJ_SJ_EEES6_PlJ7is_evenIyEEEE10hipError_tPvRmT3_T4_T5_T6_T7_T9_mT8_P12ihipStream_tbDpT10_ENKUlT_T0_E_clISt17integral_constantIbLb1EES19_IbLb0EEEEDaS15_S16_EUlS15_E_NS1_11comp_targetILNS1_3genE4ELNS1_11target_archE910ELNS1_3gpuE8ELNS1_3repE0EEENS1_30default_config_static_selectorELNS0_4arch9wavefront6targetE1EEEvT1_,comdat
.Lfunc_end692:
	.size	_ZN7rocprim17ROCPRIM_400000_NS6detail17trampoline_kernelINS0_14default_configENS1_25partition_config_selectorILNS1_17partition_subalgoE3EyNS0_10empty_typeEbEEZZNS1_14partition_implILS5_3ELb0ES3_jN6thrust23THRUST_200600_302600_NS6detail15normal_iteratorINSA_7pointerIyNSA_11hip_rocprim3tagENSA_11use_defaultESG_EEEEPS6_SJ_NS0_5tupleIJPySJ_EEENSK_IJSJ_SJ_EEES6_PlJ7is_evenIyEEEE10hipError_tPvRmT3_T4_T5_T6_T7_T9_mT8_P12ihipStream_tbDpT10_ENKUlT_T0_E_clISt17integral_constantIbLb1EES19_IbLb0EEEEDaS15_S16_EUlS15_E_NS1_11comp_targetILNS1_3genE4ELNS1_11target_archE910ELNS1_3gpuE8ELNS1_3repE0EEENS1_30default_config_static_selectorELNS0_4arch9wavefront6targetE1EEEvT1_, .Lfunc_end692-_ZN7rocprim17ROCPRIM_400000_NS6detail17trampoline_kernelINS0_14default_configENS1_25partition_config_selectorILNS1_17partition_subalgoE3EyNS0_10empty_typeEbEEZZNS1_14partition_implILS5_3ELb0ES3_jN6thrust23THRUST_200600_302600_NS6detail15normal_iteratorINSA_7pointerIyNSA_11hip_rocprim3tagENSA_11use_defaultESG_EEEEPS6_SJ_NS0_5tupleIJPySJ_EEENSK_IJSJ_SJ_EEES6_PlJ7is_evenIyEEEE10hipError_tPvRmT3_T4_T5_T6_T7_T9_mT8_P12ihipStream_tbDpT10_ENKUlT_T0_E_clISt17integral_constantIbLb1EES19_IbLb0EEEEDaS15_S16_EUlS15_E_NS1_11comp_targetILNS1_3genE4ELNS1_11target_archE910ELNS1_3gpuE8ELNS1_3repE0EEENS1_30default_config_static_selectorELNS0_4arch9wavefront6targetE1EEEvT1_
                                        ; -- End function
	.section	.AMDGPU.csdata,"",@progbits
; Kernel info:
; codeLenInByte = 0
; NumSgprs: 6
; NumVgprs: 0
; NumAgprs: 0
; TotalNumVgprs: 0
; ScratchSize: 0
; MemoryBound: 0
; FloatMode: 240
; IeeeMode: 1
; LDSByteSize: 0 bytes/workgroup (compile time only)
; SGPRBlocks: 0
; VGPRBlocks: 0
; NumSGPRsForWavesPerEU: 6
; NumVGPRsForWavesPerEU: 1
; AccumOffset: 4
; Occupancy: 8
; WaveLimiterHint : 0
; COMPUTE_PGM_RSRC2:SCRATCH_EN: 0
; COMPUTE_PGM_RSRC2:USER_SGPR: 2
; COMPUTE_PGM_RSRC2:TRAP_HANDLER: 0
; COMPUTE_PGM_RSRC2:TGID_X_EN: 1
; COMPUTE_PGM_RSRC2:TGID_Y_EN: 0
; COMPUTE_PGM_RSRC2:TGID_Z_EN: 0
; COMPUTE_PGM_RSRC2:TIDIG_COMP_CNT: 0
; COMPUTE_PGM_RSRC3_GFX90A:ACCUM_OFFSET: 0
; COMPUTE_PGM_RSRC3_GFX90A:TG_SPLIT: 0
	.section	.text._ZN7rocprim17ROCPRIM_400000_NS6detail17trampoline_kernelINS0_14default_configENS1_25partition_config_selectorILNS1_17partition_subalgoE3EyNS0_10empty_typeEbEEZZNS1_14partition_implILS5_3ELb0ES3_jN6thrust23THRUST_200600_302600_NS6detail15normal_iteratorINSA_7pointerIyNSA_11hip_rocprim3tagENSA_11use_defaultESG_EEEEPS6_SJ_NS0_5tupleIJPySJ_EEENSK_IJSJ_SJ_EEES6_PlJ7is_evenIyEEEE10hipError_tPvRmT3_T4_T5_T6_T7_T9_mT8_P12ihipStream_tbDpT10_ENKUlT_T0_E_clISt17integral_constantIbLb1EES19_IbLb0EEEEDaS15_S16_EUlS15_E_NS1_11comp_targetILNS1_3genE3ELNS1_11target_archE908ELNS1_3gpuE7ELNS1_3repE0EEENS1_30default_config_static_selectorELNS0_4arch9wavefront6targetE1EEEvT1_,"axG",@progbits,_ZN7rocprim17ROCPRIM_400000_NS6detail17trampoline_kernelINS0_14default_configENS1_25partition_config_selectorILNS1_17partition_subalgoE3EyNS0_10empty_typeEbEEZZNS1_14partition_implILS5_3ELb0ES3_jN6thrust23THRUST_200600_302600_NS6detail15normal_iteratorINSA_7pointerIyNSA_11hip_rocprim3tagENSA_11use_defaultESG_EEEEPS6_SJ_NS0_5tupleIJPySJ_EEENSK_IJSJ_SJ_EEES6_PlJ7is_evenIyEEEE10hipError_tPvRmT3_T4_T5_T6_T7_T9_mT8_P12ihipStream_tbDpT10_ENKUlT_T0_E_clISt17integral_constantIbLb1EES19_IbLb0EEEEDaS15_S16_EUlS15_E_NS1_11comp_targetILNS1_3genE3ELNS1_11target_archE908ELNS1_3gpuE7ELNS1_3repE0EEENS1_30default_config_static_selectorELNS0_4arch9wavefront6targetE1EEEvT1_,comdat
	.protected	_ZN7rocprim17ROCPRIM_400000_NS6detail17trampoline_kernelINS0_14default_configENS1_25partition_config_selectorILNS1_17partition_subalgoE3EyNS0_10empty_typeEbEEZZNS1_14partition_implILS5_3ELb0ES3_jN6thrust23THRUST_200600_302600_NS6detail15normal_iteratorINSA_7pointerIyNSA_11hip_rocprim3tagENSA_11use_defaultESG_EEEEPS6_SJ_NS0_5tupleIJPySJ_EEENSK_IJSJ_SJ_EEES6_PlJ7is_evenIyEEEE10hipError_tPvRmT3_T4_T5_T6_T7_T9_mT8_P12ihipStream_tbDpT10_ENKUlT_T0_E_clISt17integral_constantIbLb1EES19_IbLb0EEEEDaS15_S16_EUlS15_E_NS1_11comp_targetILNS1_3genE3ELNS1_11target_archE908ELNS1_3gpuE7ELNS1_3repE0EEENS1_30default_config_static_selectorELNS0_4arch9wavefront6targetE1EEEvT1_ ; -- Begin function _ZN7rocprim17ROCPRIM_400000_NS6detail17trampoline_kernelINS0_14default_configENS1_25partition_config_selectorILNS1_17partition_subalgoE3EyNS0_10empty_typeEbEEZZNS1_14partition_implILS5_3ELb0ES3_jN6thrust23THRUST_200600_302600_NS6detail15normal_iteratorINSA_7pointerIyNSA_11hip_rocprim3tagENSA_11use_defaultESG_EEEEPS6_SJ_NS0_5tupleIJPySJ_EEENSK_IJSJ_SJ_EEES6_PlJ7is_evenIyEEEE10hipError_tPvRmT3_T4_T5_T6_T7_T9_mT8_P12ihipStream_tbDpT10_ENKUlT_T0_E_clISt17integral_constantIbLb1EES19_IbLb0EEEEDaS15_S16_EUlS15_E_NS1_11comp_targetILNS1_3genE3ELNS1_11target_archE908ELNS1_3gpuE7ELNS1_3repE0EEENS1_30default_config_static_selectorELNS0_4arch9wavefront6targetE1EEEvT1_
	.globl	_ZN7rocprim17ROCPRIM_400000_NS6detail17trampoline_kernelINS0_14default_configENS1_25partition_config_selectorILNS1_17partition_subalgoE3EyNS0_10empty_typeEbEEZZNS1_14partition_implILS5_3ELb0ES3_jN6thrust23THRUST_200600_302600_NS6detail15normal_iteratorINSA_7pointerIyNSA_11hip_rocprim3tagENSA_11use_defaultESG_EEEEPS6_SJ_NS0_5tupleIJPySJ_EEENSK_IJSJ_SJ_EEES6_PlJ7is_evenIyEEEE10hipError_tPvRmT3_T4_T5_T6_T7_T9_mT8_P12ihipStream_tbDpT10_ENKUlT_T0_E_clISt17integral_constantIbLb1EES19_IbLb0EEEEDaS15_S16_EUlS15_E_NS1_11comp_targetILNS1_3genE3ELNS1_11target_archE908ELNS1_3gpuE7ELNS1_3repE0EEENS1_30default_config_static_selectorELNS0_4arch9wavefront6targetE1EEEvT1_
	.p2align	8
	.type	_ZN7rocprim17ROCPRIM_400000_NS6detail17trampoline_kernelINS0_14default_configENS1_25partition_config_selectorILNS1_17partition_subalgoE3EyNS0_10empty_typeEbEEZZNS1_14partition_implILS5_3ELb0ES3_jN6thrust23THRUST_200600_302600_NS6detail15normal_iteratorINSA_7pointerIyNSA_11hip_rocprim3tagENSA_11use_defaultESG_EEEEPS6_SJ_NS0_5tupleIJPySJ_EEENSK_IJSJ_SJ_EEES6_PlJ7is_evenIyEEEE10hipError_tPvRmT3_T4_T5_T6_T7_T9_mT8_P12ihipStream_tbDpT10_ENKUlT_T0_E_clISt17integral_constantIbLb1EES19_IbLb0EEEEDaS15_S16_EUlS15_E_NS1_11comp_targetILNS1_3genE3ELNS1_11target_archE908ELNS1_3gpuE7ELNS1_3repE0EEENS1_30default_config_static_selectorELNS0_4arch9wavefront6targetE1EEEvT1_,@function
_ZN7rocprim17ROCPRIM_400000_NS6detail17trampoline_kernelINS0_14default_configENS1_25partition_config_selectorILNS1_17partition_subalgoE3EyNS0_10empty_typeEbEEZZNS1_14partition_implILS5_3ELb0ES3_jN6thrust23THRUST_200600_302600_NS6detail15normal_iteratorINSA_7pointerIyNSA_11hip_rocprim3tagENSA_11use_defaultESG_EEEEPS6_SJ_NS0_5tupleIJPySJ_EEENSK_IJSJ_SJ_EEES6_PlJ7is_evenIyEEEE10hipError_tPvRmT3_T4_T5_T6_T7_T9_mT8_P12ihipStream_tbDpT10_ENKUlT_T0_E_clISt17integral_constantIbLb1EES19_IbLb0EEEEDaS15_S16_EUlS15_E_NS1_11comp_targetILNS1_3genE3ELNS1_11target_archE908ELNS1_3gpuE7ELNS1_3repE0EEENS1_30default_config_static_selectorELNS0_4arch9wavefront6targetE1EEEvT1_: ; @_ZN7rocprim17ROCPRIM_400000_NS6detail17trampoline_kernelINS0_14default_configENS1_25partition_config_selectorILNS1_17partition_subalgoE3EyNS0_10empty_typeEbEEZZNS1_14partition_implILS5_3ELb0ES3_jN6thrust23THRUST_200600_302600_NS6detail15normal_iteratorINSA_7pointerIyNSA_11hip_rocprim3tagENSA_11use_defaultESG_EEEEPS6_SJ_NS0_5tupleIJPySJ_EEENSK_IJSJ_SJ_EEES6_PlJ7is_evenIyEEEE10hipError_tPvRmT3_T4_T5_T6_T7_T9_mT8_P12ihipStream_tbDpT10_ENKUlT_T0_E_clISt17integral_constantIbLb1EES19_IbLb0EEEEDaS15_S16_EUlS15_E_NS1_11comp_targetILNS1_3genE3ELNS1_11target_archE908ELNS1_3gpuE7ELNS1_3repE0EEENS1_30default_config_static_selectorELNS0_4arch9wavefront6targetE1EEEvT1_
; %bb.0:
	.section	.rodata,"a",@progbits
	.p2align	6, 0x0
	.amdhsa_kernel _ZN7rocprim17ROCPRIM_400000_NS6detail17trampoline_kernelINS0_14default_configENS1_25partition_config_selectorILNS1_17partition_subalgoE3EyNS0_10empty_typeEbEEZZNS1_14partition_implILS5_3ELb0ES3_jN6thrust23THRUST_200600_302600_NS6detail15normal_iteratorINSA_7pointerIyNSA_11hip_rocprim3tagENSA_11use_defaultESG_EEEEPS6_SJ_NS0_5tupleIJPySJ_EEENSK_IJSJ_SJ_EEES6_PlJ7is_evenIyEEEE10hipError_tPvRmT3_T4_T5_T6_T7_T9_mT8_P12ihipStream_tbDpT10_ENKUlT_T0_E_clISt17integral_constantIbLb1EES19_IbLb0EEEEDaS15_S16_EUlS15_E_NS1_11comp_targetILNS1_3genE3ELNS1_11target_archE908ELNS1_3gpuE7ELNS1_3repE0EEENS1_30default_config_static_selectorELNS0_4arch9wavefront6targetE1EEEvT1_
		.amdhsa_group_segment_fixed_size 0
		.amdhsa_private_segment_fixed_size 0
		.amdhsa_kernarg_size 120
		.amdhsa_user_sgpr_count 2
		.amdhsa_user_sgpr_dispatch_ptr 0
		.amdhsa_user_sgpr_queue_ptr 0
		.amdhsa_user_sgpr_kernarg_segment_ptr 1
		.amdhsa_user_sgpr_dispatch_id 0
		.amdhsa_user_sgpr_kernarg_preload_length 0
		.amdhsa_user_sgpr_kernarg_preload_offset 0
		.amdhsa_user_sgpr_private_segment_size 0
		.amdhsa_uses_dynamic_stack 0
		.amdhsa_enable_private_segment 0
		.amdhsa_system_sgpr_workgroup_id_x 1
		.amdhsa_system_sgpr_workgroup_id_y 0
		.amdhsa_system_sgpr_workgroup_id_z 0
		.amdhsa_system_sgpr_workgroup_info 0
		.amdhsa_system_vgpr_workitem_id 0
		.amdhsa_next_free_vgpr 1
		.amdhsa_next_free_sgpr 0
		.amdhsa_accum_offset 4
		.amdhsa_reserve_vcc 0
		.amdhsa_float_round_mode_32 0
		.amdhsa_float_round_mode_16_64 0
		.amdhsa_float_denorm_mode_32 3
		.amdhsa_float_denorm_mode_16_64 3
		.amdhsa_dx10_clamp 1
		.amdhsa_ieee_mode 1
		.amdhsa_fp16_overflow 0
		.amdhsa_tg_split 0
		.amdhsa_exception_fp_ieee_invalid_op 0
		.amdhsa_exception_fp_denorm_src 0
		.amdhsa_exception_fp_ieee_div_zero 0
		.amdhsa_exception_fp_ieee_overflow 0
		.amdhsa_exception_fp_ieee_underflow 0
		.amdhsa_exception_fp_ieee_inexact 0
		.amdhsa_exception_int_div_zero 0
	.end_amdhsa_kernel
	.section	.text._ZN7rocprim17ROCPRIM_400000_NS6detail17trampoline_kernelINS0_14default_configENS1_25partition_config_selectorILNS1_17partition_subalgoE3EyNS0_10empty_typeEbEEZZNS1_14partition_implILS5_3ELb0ES3_jN6thrust23THRUST_200600_302600_NS6detail15normal_iteratorINSA_7pointerIyNSA_11hip_rocprim3tagENSA_11use_defaultESG_EEEEPS6_SJ_NS0_5tupleIJPySJ_EEENSK_IJSJ_SJ_EEES6_PlJ7is_evenIyEEEE10hipError_tPvRmT3_T4_T5_T6_T7_T9_mT8_P12ihipStream_tbDpT10_ENKUlT_T0_E_clISt17integral_constantIbLb1EES19_IbLb0EEEEDaS15_S16_EUlS15_E_NS1_11comp_targetILNS1_3genE3ELNS1_11target_archE908ELNS1_3gpuE7ELNS1_3repE0EEENS1_30default_config_static_selectorELNS0_4arch9wavefront6targetE1EEEvT1_,"axG",@progbits,_ZN7rocprim17ROCPRIM_400000_NS6detail17trampoline_kernelINS0_14default_configENS1_25partition_config_selectorILNS1_17partition_subalgoE3EyNS0_10empty_typeEbEEZZNS1_14partition_implILS5_3ELb0ES3_jN6thrust23THRUST_200600_302600_NS6detail15normal_iteratorINSA_7pointerIyNSA_11hip_rocprim3tagENSA_11use_defaultESG_EEEEPS6_SJ_NS0_5tupleIJPySJ_EEENSK_IJSJ_SJ_EEES6_PlJ7is_evenIyEEEE10hipError_tPvRmT3_T4_T5_T6_T7_T9_mT8_P12ihipStream_tbDpT10_ENKUlT_T0_E_clISt17integral_constantIbLb1EES19_IbLb0EEEEDaS15_S16_EUlS15_E_NS1_11comp_targetILNS1_3genE3ELNS1_11target_archE908ELNS1_3gpuE7ELNS1_3repE0EEENS1_30default_config_static_selectorELNS0_4arch9wavefront6targetE1EEEvT1_,comdat
.Lfunc_end693:
	.size	_ZN7rocprim17ROCPRIM_400000_NS6detail17trampoline_kernelINS0_14default_configENS1_25partition_config_selectorILNS1_17partition_subalgoE3EyNS0_10empty_typeEbEEZZNS1_14partition_implILS5_3ELb0ES3_jN6thrust23THRUST_200600_302600_NS6detail15normal_iteratorINSA_7pointerIyNSA_11hip_rocprim3tagENSA_11use_defaultESG_EEEEPS6_SJ_NS0_5tupleIJPySJ_EEENSK_IJSJ_SJ_EEES6_PlJ7is_evenIyEEEE10hipError_tPvRmT3_T4_T5_T6_T7_T9_mT8_P12ihipStream_tbDpT10_ENKUlT_T0_E_clISt17integral_constantIbLb1EES19_IbLb0EEEEDaS15_S16_EUlS15_E_NS1_11comp_targetILNS1_3genE3ELNS1_11target_archE908ELNS1_3gpuE7ELNS1_3repE0EEENS1_30default_config_static_selectorELNS0_4arch9wavefront6targetE1EEEvT1_, .Lfunc_end693-_ZN7rocprim17ROCPRIM_400000_NS6detail17trampoline_kernelINS0_14default_configENS1_25partition_config_selectorILNS1_17partition_subalgoE3EyNS0_10empty_typeEbEEZZNS1_14partition_implILS5_3ELb0ES3_jN6thrust23THRUST_200600_302600_NS6detail15normal_iteratorINSA_7pointerIyNSA_11hip_rocprim3tagENSA_11use_defaultESG_EEEEPS6_SJ_NS0_5tupleIJPySJ_EEENSK_IJSJ_SJ_EEES6_PlJ7is_evenIyEEEE10hipError_tPvRmT3_T4_T5_T6_T7_T9_mT8_P12ihipStream_tbDpT10_ENKUlT_T0_E_clISt17integral_constantIbLb1EES19_IbLb0EEEEDaS15_S16_EUlS15_E_NS1_11comp_targetILNS1_3genE3ELNS1_11target_archE908ELNS1_3gpuE7ELNS1_3repE0EEENS1_30default_config_static_selectorELNS0_4arch9wavefront6targetE1EEEvT1_
                                        ; -- End function
	.section	.AMDGPU.csdata,"",@progbits
; Kernel info:
; codeLenInByte = 0
; NumSgprs: 6
; NumVgprs: 0
; NumAgprs: 0
; TotalNumVgprs: 0
; ScratchSize: 0
; MemoryBound: 0
; FloatMode: 240
; IeeeMode: 1
; LDSByteSize: 0 bytes/workgroup (compile time only)
; SGPRBlocks: 0
; VGPRBlocks: 0
; NumSGPRsForWavesPerEU: 6
; NumVGPRsForWavesPerEU: 1
; AccumOffset: 4
; Occupancy: 8
; WaveLimiterHint : 0
; COMPUTE_PGM_RSRC2:SCRATCH_EN: 0
; COMPUTE_PGM_RSRC2:USER_SGPR: 2
; COMPUTE_PGM_RSRC2:TRAP_HANDLER: 0
; COMPUTE_PGM_RSRC2:TGID_X_EN: 1
; COMPUTE_PGM_RSRC2:TGID_Y_EN: 0
; COMPUTE_PGM_RSRC2:TGID_Z_EN: 0
; COMPUTE_PGM_RSRC2:TIDIG_COMP_CNT: 0
; COMPUTE_PGM_RSRC3_GFX90A:ACCUM_OFFSET: 0
; COMPUTE_PGM_RSRC3_GFX90A:TG_SPLIT: 0
	.section	.text._ZN7rocprim17ROCPRIM_400000_NS6detail17trampoline_kernelINS0_14default_configENS1_25partition_config_selectorILNS1_17partition_subalgoE3EyNS0_10empty_typeEbEEZZNS1_14partition_implILS5_3ELb0ES3_jN6thrust23THRUST_200600_302600_NS6detail15normal_iteratorINSA_7pointerIyNSA_11hip_rocprim3tagENSA_11use_defaultESG_EEEEPS6_SJ_NS0_5tupleIJPySJ_EEENSK_IJSJ_SJ_EEES6_PlJ7is_evenIyEEEE10hipError_tPvRmT3_T4_T5_T6_T7_T9_mT8_P12ihipStream_tbDpT10_ENKUlT_T0_E_clISt17integral_constantIbLb1EES19_IbLb0EEEEDaS15_S16_EUlS15_E_NS1_11comp_targetILNS1_3genE2ELNS1_11target_archE906ELNS1_3gpuE6ELNS1_3repE0EEENS1_30default_config_static_selectorELNS0_4arch9wavefront6targetE1EEEvT1_,"axG",@progbits,_ZN7rocprim17ROCPRIM_400000_NS6detail17trampoline_kernelINS0_14default_configENS1_25partition_config_selectorILNS1_17partition_subalgoE3EyNS0_10empty_typeEbEEZZNS1_14partition_implILS5_3ELb0ES3_jN6thrust23THRUST_200600_302600_NS6detail15normal_iteratorINSA_7pointerIyNSA_11hip_rocprim3tagENSA_11use_defaultESG_EEEEPS6_SJ_NS0_5tupleIJPySJ_EEENSK_IJSJ_SJ_EEES6_PlJ7is_evenIyEEEE10hipError_tPvRmT3_T4_T5_T6_T7_T9_mT8_P12ihipStream_tbDpT10_ENKUlT_T0_E_clISt17integral_constantIbLb1EES19_IbLb0EEEEDaS15_S16_EUlS15_E_NS1_11comp_targetILNS1_3genE2ELNS1_11target_archE906ELNS1_3gpuE6ELNS1_3repE0EEENS1_30default_config_static_selectorELNS0_4arch9wavefront6targetE1EEEvT1_,comdat
	.protected	_ZN7rocprim17ROCPRIM_400000_NS6detail17trampoline_kernelINS0_14default_configENS1_25partition_config_selectorILNS1_17partition_subalgoE3EyNS0_10empty_typeEbEEZZNS1_14partition_implILS5_3ELb0ES3_jN6thrust23THRUST_200600_302600_NS6detail15normal_iteratorINSA_7pointerIyNSA_11hip_rocprim3tagENSA_11use_defaultESG_EEEEPS6_SJ_NS0_5tupleIJPySJ_EEENSK_IJSJ_SJ_EEES6_PlJ7is_evenIyEEEE10hipError_tPvRmT3_T4_T5_T6_T7_T9_mT8_P12ihipStream_tbDpT10_ENKUlT_T0_E_clISt17integral_constantIbLb1EES19_IbLb0EEEEDaS15_S16_EUlS15_E_NS1_11comp_targetILNS1_3genE2ELNS1_11target_archE906ELNS1_3gpuE6ELNS1_3repE0EEENS1_30default_config_static_selectorELNS0_4arch9wavefront6targetE1EEEvT1_ ; -- Begin function _ZN7rocprim17ROCPRIM_400000_NS6detail17trampoline_kernelINS0_14default_configENS1_25partition_config_selectorILNS1_17partition_subalgoE3EyNS0_10empty_typeEbEEZZNS1_14partition_implILS5_3ELb0ES3_jN6thrust23THRUST_200600_302600_NS6detail15normal_iteratorINSA_7pointerIyNSA_11hip_rocprim3tagENSA_11use_defaultESG_EEEEPS6_SJ_NS0_5tupleIJPySJ_EEENSK_IJSJ_SJ_EEES6_PlJ7is_evenIyEEEE10hipError_tPvRmT3_T4_T5_T6_T7_T9_mT8_P12ihipStream_tbDpT10_ENKUlT_T0_E_clISt17integral_constantIbLb1EES19_IbLb0EEEEDaS15_S16_EUlS15_E_NS1_11comp_targetILNS1_3genE2ELNS1_11target_archE906ELNS1_3gpuE6ELNS1_3repE0EEENS1_30default_config_static_selectorELNS0_4arch9wavefront6targetE1EEEvT1_
	.globl	_ZN7rocprim17ROCPRIM_400000_NS6detail17trampoline_kernelINS0_14default_configENS1_25partition_config_selectorILNS1_17partition_subalgoE3EyNS0_10empty_typeEbEEZZNS1_14partition_implILS5_3ELb0ES3_jN6thrust23THRUST_200600_302600_NS6detail15normal_iteratorINSA_7pointerIyNSA_11hip_rocprim3tagENSA_11use_defaultESG_EEEEPS6_SJ_NS0_5tupleIJPySJ_EEENSK_IJSJ_SJ_EEES6_PlJ7is_evenIyEEEE10hipError_tPvRmT3_T4_T5_T6_T7_T9_mT8_P12ihipStream_tbDpT10_ENKUlT_T0_E_clISt17integral_constantIbLb1EES19_IbLb0EEEEDaS15_S16_EUlS15_E_NS1_11comp_targetILNS1_3genE2ELNS1_11target_archE906ELNS1_3gpuE6ELNS1_3repE0EEENS1_30default_config_static_selectorELNS0_4arch9wavefront6targetE1EEEvT1_
	.p2align	8
	.type	_ZN7rocprim17ROCPRIM_400000_NS6detail17trampoline_kernelINS0_14default_configENS1_25partition_config_selectorILNS1_17partition_subalgoE3EyNS0_10empty_typeEbEEZZNS1_14partition_implILS5_3ELb0ES3_jN6thrust23THRUST_200600_302600_NS6detail15normal_iteratorINSA_7pointerIyNSA_11hip_rocprim3tagENSA_11use_defaultESG_EEEEPS6_SJ_NS0_5tupleIJPySJ_EEENSK_IJSJ_SJ_EEES6_PlJ7is_evenIyEEEE10hipError_tPvRmT3_T4_T5_T6_T7_T9_mT8_P12ihipStream_tbDpT10_ENKUlT_T0_E_clISt17integral_constantIbLb1EES19_IbLb0EEEEDaS15_S16_EUlS15_E_NS1_11comp_targetILNS1_3genE2ELNS1_11target_archE906ELNS1_3gpuE6ELNS1_3repE0EEENS1_30default_config_static_selectorELNS0_4arch9wavefront6targetE1EEEvT1_,@function
_ZN7rocprim17ROCPRIM_400000_NS6detail17trampoline_kernelINS0_14default_configENS1_25partition_config_selectorILNS1_17partition_subalgoE3EyNS0_10empty_typeEbEEZZNS1_14partition_implILS5_3ELb0ES3_jN6thrust23THRUST_200600_302600_NS6detail15normal_iteratorINSA_7pointerIyNSA_11hip_rocprim3tagENSA_11use_defaultESG_EEEEPS6_SJ_NS0_5tupleIJPySJ_EEENSK_IJSJ_SJ_EEES6_PlJ7is_evenIyEEEE10hipError_tPvRmT3_T4_T5_T6_T7_T9_mT8_P12ihipStream_tbDpT10_ENKUlT_T0_E_clISt17integral_constantIbLb1EES19_IbLb0EEEEDaS15_S16_EUlS15_E_NS1_11comp_targetILNS1_3genE2ELNS1_11target_archE906ELNS1_3gpuE6ELNS1_3repE0EEENS1_30default_config_static_selectorELNS0_4arch9wavefront6targetE1EEEvT1_: ; @_ZN7rocprim17ROCPRIM_400000_NS6detail17trampoline_kernelINS0_14default_configENS1_25partition_config_selectorILNS1_17partition_subalgoE3EyNS0_10empty_typeEbEEZZNS1_14partition_implILS5_3ELb0ES3_jN6thrust23THRUST_200600_302600_NS6detail15normal_iteratorINSA_7pointerIyNSA_11hip_rocprim3tagENSA_11use_defaultESG_EEEEPS6_SJ_NS0_5tupleIJPySJ_EEENSK_IJSJ_SJ_EEES6_PlJ7is_evenIyEEEE10hipError_tPvRmT3_T4_T5_T6_T7_T9_mT8_P12ihipStream_tbDpT10_ENKUlT_T0_E_clISt17integral_constantIbLb1EES19_IbLb0EEEEDaS15_S16_EUlS15_E_NS1_11comp_targetILNS1_3genE2ELNS1_11target_archE906ELNS1_3gpuE6ELNS1_3repE0EEENS1_30default_config_static_selectorELNS0_4arch9wavefront6targetE1EEEvT1_
; %bb.0:
	.section	.rodata,"a",@progbits
	.p2align	6, 0x0
	.amdhsa_kernel _ZN7rocprim17ROCPRIM_400000_NS6detail17trampoline_kernelINS0_14default_configENS1_25partition_config_selectorILNS1_17partition_subalgoE3EyNS0_10empty_typeEbEEZZNS1_14partition_implILS5_3ELb0ES3_jN6thrust23THRUST_200600_302600_NS6detail15normal_iteratorINSA_7pointerIyNSA_11hip_rocprim3tagENSA_11use_defaultESG_EEEEPS6_SJ_NS0_5tupleIJPySJ_EEENSK_IJSJ_SJ_EEES6_PlJ7is_evenIyEEEE10hipError_tPvRmT3_T4_T5_T6_T7_T9_mT8_P12ihipStream_tbDpT10_ENKUlT_T0_E_clISt17integral_constantIbLb1EES19_IbLb0EEEEDaS15_S16_EUlS15_E_NS1_11comp_targetILNS1_3genE2ELNS1_11target_archE906ELNS1_3gpuE6ELNS1_3repE0EEENS1_30default_config_static_selectorELNS0_4arch9wavefront6targetE1EEEvT1_
		.amdhsa_group_segment_fixed_size 0
		.amdhsa_private_segment_fixed_size 0
		.amdhsa_kernarg_size 120
		.amdhsa_user_sgpr_count 2
		.amdhsa_user_sgpr_dispatch_ptr 0
		.amdhsa_user_sgpr_queue_ptr 0
		.amdhsa_user_sgpr_kernarg_segment_ptr 1
		.amdhsa_user_sgpr_dispatch_id 0
		.amdhsa_user_sgpr_kernarg_preload_length 0
		.amdhsa_user_sgpr_kernarg_preload_offset 0
		.amdhsa_user_sgpr_private_segment_size 0
		.amdhsa_uses_dynamic_stack 0
		.amdhsa_enable_private_segment 0
		.amdhsa_system_sgpr_workgroup_id_x 1
		.amdhsa_system_sgpr_workgroup_id_y 0
		.amdhsa_system_sgpr_workgroup_id_z 0
		.amdhsa_system_sgpr_workgroup_info 0
		.amdhsa_system_vgpr_workitem_id 0
		.amdhsa_next_free_vgpr 1
		.amdhsa_next_free_sgpr 0
		.amdhsa_accum_offset 4
		.amdhsa_reserve_vcc 0
		.amdhsa_float_round_mode_32 0
		.amdhsa_float_round_mode_16_64 0
		.amdhsa_float_denorm_mode_32 3
		.amdhsa_float_denorm_mode_16_64 3
		.amdhsa_dx10_clamp 1
		.amdhsa_ieee_mode 1
		.amdhsa_fp16_overflow 0
		.amdhsa_tg_split 0
		.amdhsa_exception_fp_ieee_invalid_op 0
		.amdhsa_exception_fp_denorm_src 0
		.amdhsa_exception_fp_ieee_div_zero 0
		.amdhsa_exception_fp_ieee_overflow 0
		.amdhsa_exception_fp_ieee_underflow 0
		.amdhsa_exception_fp_ieee_inexact 0
		.amdhsa_exception_int_div_zero 0
	.end_amdhsa_kernel
	.section	.text._ZN7rocprim17ROCPRIM_400000_NS6detail17trampoline_kernelINS0_14default_configENS1_25partition_config_selectorILNS1_17partition_subalgoE3EyNS0_10empty_typeEbEEZZNS1_14partition_implILS5_3ELb0ES3_jN6thrust23THRUST_200600_302600_NS6detail15normal_iteratorINSA_7pointerIyNSA_11hip_rocprim3tagENSA_11use_defaultESG_EEEEPS6_SJ_NS0_5tupleIJPySJ_EEENSK_IJSJ_SJ_EEES6_PlJ7is_evenIyEEEE10hipError_tPvRmT3_T4_T5_T6_T7_T9_mT8_P12ihipStream_tbDpT10_ENKUlT_T0_E_clISt17integral_constantIbLb1EES19_IbLb0EEEEDaS15_S16_EUlS15_E_NS1_11comp_targetILNS1_3genE2ELNS1_11target_archE906ELNS1_3gpuE6ELNS1_3repE0EEENS1_30default_config_static_selectorELNS0_4arch9wavefront6targetE1EEEvT1_,"axG",@progbits,_ZN7rocprim17ROCPRIM_400000_NS6detail17trampoline_kernelINS0_14default_configENS1_25partition_config_selectorILNS1_17partition_subalgoE3EyNS0_10empty_typeEbEEZZNS1_14partition_implILS5_3ELb0ES3_jN6thrust23THRUST_200600_302600_NS6detail15normal_iteratorINSA_7pointerIyNSA_11hip_rocprim3tagENSA_11use_defaultESG_EEEEPS6_SJ_NS0_5tupleIJPySJ_EEENSK_IJSJ_SJ_EEES6_PlJ7is_evenIyEEEE10hipError_tPvRmT3_T4_T5_T6_T7_T9_mT8_P12ihipStream_tbDpT10_ENKUlT_T0_E_clISt17integral_constantIbLb1EES19_IbLb0EEEEDaS15_S16_EUlS15_E_NS1_11comp_targetILNS1_3genE2ELNS1_11target_archE906ELNS1_3gpuE6ELNS1_3repE0EEENS1_30default_config_static_selectorELNS0_4arch9wavefront6targetE1EEEvT1_,comdat
.Lfunc_end694:
	.size	_ZN7rocprim17ROCPRIM_400000_NS6detail17trampoline_kernelINS0_14default_configENS1_25partition_config_selectorILNS1_17partition_subalgoE3EyNS0_10empty_typeEbEEZZNS1_14partition_implILS5_3ELb0ES3_jN6thrust23THRUST_200600_302600_NS6detail15normal_iteratorINSA_7pointerIyNSA_11hip_rocprim3tagENSA_11use_defaultESG_EEEEPS6_SJ_NS0_5tupleIJPySJ_EEENSK_IJSJ_SJ_EEES6_PlJ7is_evenIyEEEE10hipError_tPvRmT3_T4_T5_T6_T7_T9_mT8_P12ihipStream_tbDpT10_ENKUlT_T0_E_clISt17integral_constantIbLb1EES19_IbLb0EEEEDaS15_S16_EUlS15_E_NS1_11comp_targetILNS1_3genE2ELNS1_11target_archE906ELNS1_3gpuE6ELNS1_3repE0EEENS1_30default_config_static_selectorELNS0_4arch9wavefront6targetE1EEEvT1_, .Lfunc_end694-_ZN7rocprim17ROCPRIM_400000_NS6detail17trampoline_kernelINS0_14default_configENS1_25partition_config_selectorILNS1_17partition_subalgoE3EyNS0_10empty_typeEbEEZZNS1_14partition_implILS5_3ELb0ES3_jN6thrust23THRUST_200600_302600_NS6detail15normal_iteratorINSA_7pointerIyNSA_11hip_rocprim3tagENSA_11use_defaultESG_EEEEPS6_SJ_NS0_5tupleIJPySJ_EEENSK_IJSJ_SJ_EEES6_PlJ7is_evenIyEEEE10hipError_tPvRmT3_T4_T5_T6_T7_T9_mT8_P12ihipStream_tbDpT10_ENKUlT_T0_E_clISt17integral_constantIbLb1EES19_IbLb0EEEEDaS15_S16_EUlS15_E_NS1_11comp_targetILNS1_3genE2ELNS1_11target_archE906ELNS1_3gpuE6ELNS1_3repE0EEENS1_30default_config_static_selectorELNS0_4arch9wavefront6targetE1EEEvT1_
                                        ; -- End function
	.section	.AMDGPU.csdata,"",@progbits
; Kernel info:
; codeLenInByte = 0
; NumSgprs: 6
; NumVgprs: 0
; NumAgprs: 0
; TotalNumVgprs: 0
; ScratchSize: 0
; MemoryBound: 0
; FloatMode: 240
; IeeeMode: 1
; LDSByteSize: 0 bytes/workgroup (compile time only)
; SGPRBlocks: 0
; VGPRBlocks: 0
; NumSGPRsForWavesPerEU: 6
; NumVGPRsForWavesPerEU: 1
; AccumOffset: 4
; Occupancy: 8
; WaveLimiterHint : 0
; COMPUTE_PGM_RSRC2:SCRATCH_EN: 0
; COMPUTE_PGM_RSRC2:USER_SGPR: 2
; COMPUTE_PGM_RSRC2:TRAP_HANDLER: 0
; COMPUTE_PGM_RSRC2:TGID_X_EN: 1
; COMPUTE_PGM_RSRC2:TGID_Y_EN: 0
; COMPUTE_PGM_RSRC2:TGID_Z_EN: 0
; COMPUTE_PGM_RSRC2:TIDIG_COMP_CNT: 0
; COMPUTE_PGM_RSRC3_GFX90A:ACCUM_OFFSET: 0
; COMPUTE_PGM_RSRC3_GFX90A:TG_SPLIT: 0
	.section	.text._ZN7rocprim17ROCPRIM_400000_NS6detail17trampoline_kernelINS0_14default_configENS1_25partition_config_selectorILNS1_17partition_subalgoE3EyNS0_10empty_typeEbEEZZNS1_14partition_implILS5_3ELb0ES3_jN6thrust23THRUST_200600_302600_NS6detail15normal_iteratorINSA_7pointerIyNSA_11hip_rocprim3tagENSA_11use_defaultESG_EEEEPS6_SJ_NS0_5tupleIJPySJ_EEENSK_IJSJ_SJ_EEES6_PlJ7is_evenIyEEEE10hipError_tPvRmT3_T4_T5_T6_T7_T9_mT8_P12ihipStream_tbDpT10_ENKUlT_T0_E_clISt17integral_constantIbLb1EES19_IbLb0EEEEDaS15_S16_EUlS15_E_NS1_11comp_targetILNS1_3genE10ELNS1_11target_archE1200ELNS1_3gpuE4ELNS1_3repE0EEENS1_30default_config_static_selectorELNS0_4arch9wavefront6targetE1EEEvT1_,"axG",@progbits,_ZN7rocprim17ROCPRIM_400000_NS6detail17trampoline_kernelINS0_14default_configENS1_25partition_config_selectorILNS1_17partition_subalgoE3EyNS0_10empty_typeEbEEZZNS1_14partition_implILS5_3ELb0ES3_jN6thrust23THRUST_200600_302600_NS6detail15normal_iteratorINSA_7pointerIyNSA_11hip_rocprim3tagENSA_11use_defaultESG_EEEEPS6_SJ_NS0_5tupleIJPySJ_EEENSK_IJSJ_SJ_EEES6_PlJ7is_evenIyEEEE10hipError_tPvRmT3_T4_T5_T6_T7_T9_mT8_P12ihipStream_tbDpT10_ENKUlT_T0_E_clISt17integral_constantIbLb1EES19_IbLb0EEEEDaS15_S16_EUlS15_E_NS1_11comp_targetILNS1_3genE10ELNS1_11target_archE1200ELNS1_3gpuE4ELNS1_3repE0EEENS1_30default_config_static_selectorELNS0_4arch9wavefront6targetE1EEEvT1_,comdat
	.protected	_ZN7rocprim17ROCPRIM_400000_NS6detail17trampoline_kernelINS0_14default_configENS1_25partition_config_selectorILNS1_17partition_subalgoE3EyNS0_10empty_typeEbEEZZNS1_14partition_implILS5_3ELb0ES3_jN6thrust23THRUST_200600_302600_NS6detail15normal_iteratorINSA_7pointerIyNSA_11hip_rocprim3tagENSA_11use_defaultESG_EEEEPS6_SJ_NS0_5tupleIJPySJ_EEENSK_IJSJ_SJ_EEES6_PlJ7is_evenIyEEEE10hipError_tPvRmT3_T4_T5_T6_T7_T9_mT8_P12ihipStream_tbDpT10_ENKUlT_T0_E_clISt17integral_constantIbLb1EES19_IbLb0EEEEDaS15_S16_EUlS15_E_NS1_11comp_targetILNS1_3genE10ELNS1_11target_archE1200ELNS1_3gpuE4ELNS1_3repE0EEENS1_30default_config_static_selectorELNS0_4arch9wavefront6targetE1EEEvT1_ ; -- Begin function _ZN7rocprim17ROCPRIM_400000_NS6detail17trampoline_kernelINS0_14default_configENS1_25partition_config_selectorILNS1_17partition_subalgoE3EyNS0_10empty_typeEbEEZZNS1_14partition_implILS5_3ELb0ES3_jN6thrust23THRUST_200600_302600_NS6detail15normal_iteratorINSA_7pointerIyNSA_11hip_rocprim3tagENSA_11use_defaultESG_EEEEPS6_SJ_NS0_5tupleIJPySJ_EEENSK_IJSJ_SJ_EEES6_PlJ7is_evenIyEEEE10hipError_tPvRmT3_T4_T5_T6_T7_T9_mT8_P12ihipStream_tbDpT10_ENKUlT_T0_E_clISt17integral_constantIbLb1EES19_IbLb0EEEEDaS15_S16_EUlS15_E_NS1_11comp_targetILNS1_3genE10ELNS1_11target_archE1200ELNS1_3gpuE4ELNS1_3repE0EEENS1_30default_config_static_selectorELNS0_4arch9wavefront6targetE1EEEvT1_
	.globl	_ZN7rocprim17ROCPRIM_400000_NS6detail17trampoline_kernelINS0_14default_configENS1_25partition_config_selectorILNS1_17partition_subalgoE3EyNS0_10empty_typeEbEEZZNS1_14partition_implILS5_3ELb0ES3_jN6thrust23THRUST_200600_302600_NS6detail15normal_iteratorINSA_7pointerIyNSA_11hip_rocprim3tagENSA_11use_defaultESG_EEEEPS6_SJ_NS0_5tupleIJPySJ_EEENSK_IJSJ_SJ_EEES6_PlJ7is_evenIyEEEE10hipError_tPvRmT3_T4_T5_T6_T7_T9_mT8_P12ihipStream_tbDpT10_ENKUlT_T0_E_clISt17integral_constantIbLb1EES19_IbLb0EEEEDaS15_S16_EUlS15_E_NS1_11comp_targetILNS1_3genE10ELNS1_11target_archE1200ELNS1_3gpuE4ELNS1_3repE0EEENS1_30default_config_static_selectorELNS0_4arch9wavefront6targetE1EEEvT1_
	.p2align	8
	.type	_ZN7rocprim17ROCPRIM_400000_NS6detail17trampoline_kernelINS0_14default_configENS1_25partition_config_selectorILNS1_17partition_subalgoE3EyNS0_10empty_typeEbEEZZNS1_14partition_implILS5_3ELb0ES3_jN6thrust23THRUST_200600_302600_NS6detail15normal_iteratorINSA_7pointerIyNSA_11hip_rocprim3tagENSA_11use_defaultESG_EEEEPS6_SJ_NS0_5tupleIJPySJ_EEENSK_IJSJ_SJ_EEES6_PlJ7is_evenIyEEEE10hipError_tPvRmT3_T4_T5_T6_T7_T9_mT8_P12ihipStream_tbDpT10_ENKUlT_T0_E_clISt17integral_constantIbLb1EES19_IbLb0EEEEDaS15_S16_EUlS15_E_NS1_11comp_targetILNS1_3genE10ELNS1_11target_archE1200ELNS1_3gpuE4ELNS1_3repE0EEENS1_30default_config_static_selectorELNS0_4arch9wavefront6targetE1EEEvT1_,@function
_ZN7rocprim17ROCPRIM_400000_NS6detail17trampoline_kernelINS0_14default_configENS1_25partition_config_selectorILNS1_17partition_subalgoE3EyNS0_10empty_typeEbEEZZNS1_14partition_implILS5_3ELb0ES3_jN6thrust23THRUST_200600_302600_NS6detail15normal_iteratorINSA_7pointerIyNSA_11hip_rocprim3tagENSA_11use_defaultESG_EEEEPS6_SJ_NS0_5tupleIJPySJ_EEENSK_IJSJ_SJ_EEES6_PlJ7is_evenIyEEEE10hipError_tPvRmT3_T4_T5_T6_T7_T9_mT8_P12ihipStream_tbDpT10_ENKUlT_T0_E_clISt17integral_constantIbLb1EES19_IbLb0EEEEDaS15_S16_EUlS15_E_NS1_11comp_targetILNS1_3genE10ELNS1_11target_archE1200ELNS1_3gpuE4ELNS1_3repE0EEENS1_30default_config_static_selectorELNS0_4arch9wavefront6targetE1EEEvT1_: ; @_ZN7rocprim17ROCPRIM_400000_NS6detail17trampoline_kernelINS0_14default_configENS1_25partition_config_selectorILNS1_17partition_subalgoE3EyNS0_10empty_typeEbEEZZNS1_14partition_implILS5_3ELb0ES3_jN6thrust23THRUST_200600_302600_NS6detail15normal_iteratorINSA_7pointerIyNSA_11hip_rocprim3tagENSA_11use_defaultESG_EEEEPS6_SJ_NS0_5tupleIJPySJ_EEENSK_IJSJ_SJ_EEES6_PlJ7is_evenIyEEEE10hipError_tPvRmT3_T4_T5_T6_T7_T9_mT8_P12ihipStream_tbDpT10_ENKUlT_T0_E_clISt17integral_constantIbLb1EES19_IbLb0EEEEDaS15_S16_EUlS15_E_NS1_11comp_targetILNS1_3genE10ELNS1_11target_archE1200ELNS1_3gpuE4ELNS1_3repE0EEENS1_30default_config_static_selectorELNS0_4arch9wavefront6targetE1EEEvT1_
; %bb.0:
	.section	.rodata,"a",@progbits
	.p2align	6, 0x0
	.amdhsa_kernel _ZN7rocprim17ROCPRIM_400000_NS6detail17trampoline_kernelINS0_14default_configENS1_25partition_config_selectorILNS1_17partition_subalgoE3EyNS0_10empty_typeEbEEZZNS1_14partition_implILS5_3ELb0ES3_jN6thrust23THRUST_200600_302600_NS6detail15normal_iteratorINSA_7pointerIyNSA_11hip_rocprim3tagENSA_11use_defaultESG_EEEEPS6_SJ_NS0_5tupleIJPySJ_EEENSK_IJSJ_SJ_EEES6_PlJ7is_evenIyEEEE10hipError_tPvRmT3_T4_T5_T6_T7_T9_mT8_P12ihipStream_tbDpT10_ENKUlT_T0_E_clISt17integral_constantIbLb1EES19_IbLb0EEEEDaS15_S16_EUlS15_E_NS1_11comp_targetILNS1_3genE10ELNS1_11target_archE1200ELNS1_3gpuE4ELNS1_3repE0EEENS1_30default_config_static_selectorELNS0_4arch9wavefront6targetE1EEEvT1_
		.amdhsa_group_segment_fixed_size 0
		.amdhsa_private_segment_fixed_size 0
		.amdhsa_kernarg_size 120
		.amdhsa_user_sgpr_count 2
		.amdhsa_user_sgpr_dispatch_ptr 0
		.amdhsa_user_sgpr_queue_ptr 0
		.amdhsa_user_sgpr_kernarg_segment_ptr 1
		.amdhsa_user_sgpr_dispatch_id 0
		.amdhsa_user_sgpr_kernarg_preload_length 0
		.amdhsa_user_sgpr_kernarg_preload_offset 0
		.amdhsa_user_sgpr_private_segment_size 0
		.amdhsa_uses_dynamic_stack 0
		.amdhsa_enable_private_segment 0
		.amdhsa_system_sgpr_workgroup_id_x 1
		.amdhsa_system_sgpr_workgroup_id_y 0
		.amdhsa_system_sgpr_workgroup_id_z 0
		.amdhsa_system_sgpr_workgroup_info 0
		.amdhsa_system_vgpr_workitem_id 0
		.amdhsa_next_free_vgpr 1
		.amdhsa_next_free_sgpr 0
		.amdhsa_accum_offset 4
		.amdhsa_reserve_vcc 0
		.amdhsa_float_round_mode_32 0
		.amdhsa_float_round_mode_16_64 0
		.amdhsa_float_denorm_mode_32 3
		.amdhsa_float_denorm_mode_16_64 3
		.amdhsa_dx10_clamp 1
		.amdhsa_ieee_mode 1
		.amdhsa_fp16_overflow 0
		.amdhsa_tg_split 0
		.amdhsa_exception_fp_ieee_invalid_op 0
		.amdhsa_exception_fp_denorm_src 0
		.amdhsa_exception_fp_ieee_div_zero 0
		.amdhsa_exception_fp_ieee_overflow 0
		.amdhsa_exception_fp_ieee_underflow 0
		.amdhsa_exception_fp_ieee_inexact 0
		.amdhsa_exception_int_div_zero 0
	.end_amdhsa_kernel
	.section	.text._ZN7rocprim17ROCPRIM_400000_NS6detail17trampoline_kernelINS0_14default_configENS1_25partition_config_selectorILNS1_17partition_subalgoE3EyNS0_10empty_typeEbEEZZNS1_14partition_implILS5_3ELb0ES3_jN6thrust23THRUST_200600_302600_NS6detail15normal_iteratorINSA_7pointerIyNSA_11hip_rocprim3tagENSA_11use_defaultESG_EEEEPS6_SJ_NS0_5tupleIJPySJ_EEENSK_IJSJ_SJ_EEES6_PlJ7is_evenIyEEEE10hipError_tPvRmT3_T4_T5_T6_T7_T9_mT8_P12ihipStream_tbDpT10_ENKUlT_T0_E_clISt17integral_constantIbLb1EES19_IbLb0EEEEDaS15_S16_EUlS15_E_NS1_11comp_targetILNS1_3genE10ELNS1_11target_archE1200ELNS1_3gpuE4ELNS1_3repE0EEENS1_30default_config_static_selectorELNS0_4arch9wavefront6targetE1EEEvT1_,"axG",@progbits,_ZN7rocprim17ROCPRIM_400000_NS6detail17trampoline_kernelINS0_14default_configENS1_25partition_config_selectorILNS1_17partition_subalgoE3EyNS0_10empty_typeEbEEZZNS1_14partition_implILS5_3ELb0ES3_jN6thrust23THRUST_200600_302600_NS6detail15normal_iteratorINSA_7pointerIyNSA_11hip_rocprim3tagENSA_11use_defaultESG_EEEEPS6_SJ_NS0_5tupleIJPySJ_EEENSK_IJSJ_SJ_EEES6_PlJ7is_evenIyEEEE10hipError_tPvRmT3_T4_T5_T6_T7_T9_mT8_P12ihipStream_tbDpT10_ENKUlT_T0_E_clISt17integral_constantIbLb1EES19_IbLb0EEEEDaS15_S16_EUlS15_E_NS1_11comp_targetILNS1_3genE10ELNS1_11target_archE1200ELNS1_3gpuE4ELNS1_3repE0EEENS1_30default_config_static_selectorELNS0_4arch9wavefront6targetE1EEEvT1_,comdat
.Lfunc_end695:
	.size	_ZN7rocprim17ROCPRIM_400000_NS6detail17trampoline_kernelINS0_14default_configENS1_25partition_config_selectorILNS1_17partition_subalgoE3EyNS0_10empty_typeEbEEZZNS1_14partition_implILS5_3ELb0ES3_jN6thrust23THRUST_200600_302600_NS6detail15normal_iteratorINSA_7pointerIyNSA_11hip_rocprim3tagENSA_11use_defaultESG_EEEEPS6_SJ_NS0_5tupleIJPySJ_EEENSK_IJSJ_SJ_EEES6_PlJ7is_evenIyEEEE10hipError_tPvRmT3_T4_T5_T6_T7_T9_mT8_P12ihipStream_tbDpT10_ENKUlT_T0_E_clISt17integral_constantIbLb1EES19_IbLb0EEEEDaS15_S16_EUlS15_E_NS1_11comp_targetILNS1_3genE10ELNS1_11target_archE1200ELNS1_3gpuE4ELNS1_3repE0EEENS1_30default_config_static_selectorELNS0_4arch9wavefront6targetE1EEEvT1_, .Lfunc_end695-_ZN7rocprim17ROCPRIM_400000_NS6detail17trampoline_kernelINS0_14default_configENS1_25partition_config_selectorILNS1_17partition_subalgoE3EyNS0_10empty_typeEbEEZZNS1_14partition_implILS5_3ELb0ES3_jN6thrust23THRUST_200600_302600_NS6detail15normal_iteratorINSA_7pointerIyNSA_11hip_rocprim3tagENSA_11use_defaultESG_EEEEPS6_SJ_NS0_5tupleIJPySJ_EEENSK_IJSJ_SJ_EEES6_PlJ7is_evenIyEEEE10hipError_tPvRmT3_T4_T5_T6_T7_T9_mT8_P12ihipStream_tbDpT10_ENKUlT_T0_E_clISt17integral_constantIbLb1EES19_IbLb0EEEEDaS15_S16_EUlS15_E_NS1_11comp_targetILNS1_3genE10ELNS1_11target_archE1200ELNS1_3gpuE4ELNS1_3repE0EEENS1_30default_config_static_selectorELNS0_4arch9wavefront6targetE1EEEvT1_
                                        ; -- End function
	.section	.AMDGPU.csdata,"",@progbits
; Kernel info:
; codeLenInByte = 0
; NumSgprs: 6
; NumVgprs: 0
; NumAgprs: 0
; TotalNumVgprs: 0
; ScratchSize: 0
; MemoryBound: 0
; FloatMode: 240
; IeeeMode: 1
; LDSByteSize: 0 bytes/workgroup (compile time only)
; SGPRBlocks: 0
; VGPRBlocks: 0
; NumSGPRsForWavesPerEU: 6
; NumVGPRsForWavesPerEU: 1
; AccumOffset: 4
; Occupancy: 8
; WaveLimiterHint : 0
; COMPUTE_PGM_RSRC2:SCRATCH_EN: 0
; COMPUTE_PGM_RSRC2:USER_SGPR: 2
; COMPUTE_PGM_RSRC2:TRAP_HANDLER: 0
; COMPUTE_PGM_RSRC2:TGID_X_EN: 1
; COMPUTE_PGM_RSRC2:TGID_Y_EN: 0
; COMPUTE_PGM_RSRC2:TGID_Z_EN: 0
; COMPUTE_PGM_RSRC2:TIDIG_COMP_CNT: 0
; COMPUTE_PGM_RSRC3_GFX90A:ACCUM_OFFSET: 0
; COMPUTE_PGM_RSRC3_GFX90A:TG_SPLIT: 0
	.section	.text._ZN7rocprim17ROCPRIM_400000_NS6detail17trampoline_kernelINS0_14default_configENS1_25partition_config_selectorILNS1_17partition_subalgoE3EyNS0_10empty_typeEbEEZZNS1_14partition_implILS5_3ELb0ES3_jN6thrust23THRUST_200600_302600_NS6detail15normal_iteratorINSA_7pointerIyNSA_11hip_rocprim3tagENSA_11use_defaultESG_EEEEPS6_SJ_NS0_5tupleIJPySJ_EEENSK_IJSJ_SJ_EEES6_PlJ7is_evenIyEEEE10hipError_tPvRmT3_T4_T5_T6_T7_T9_mT8_P12ihipStream_tbDpT10_ENKUlT_T0_E_clISt17integral_constantIbLb1EES19_IbLb0EEEEDaS15_S16_EUlS15_E_NS1_11comp_targetILNS1_3genE9ELNS1_11target_archE1100ELNS1_3gpuE3ELNS1_3repE0EEENS1_30default_config_static_selectorELNS0_4arch9wavefront6targetE1EEEvT1_,"axG",@progbits,_ZN7rocprim17ROCPRIM_400000_NS6detail17trampoline_kernelINS0_14default_configENS1_25partition_config_selectorILNS1_17partition_subalgoE3EyNS0_10empty_typeEbEEZZNS1_14partition_implILS5_3ELb0ES3_jN6thrust23THRUST_200600_302600_NS6detail15normal_iteratorINSA_7pointerIyNSA_11hip_rocprim3tagENSA_11use_defaultESG_EEEEPS6_SJ_NS0_5tupleIJPySJ_EEENSK_IJSJ_SJ_EEES6_PlJ7is_evenIyEEEE10hipError_tPvRmT3_T4_T5_T6_T7_T9_mT8_P12ihipStream_tbDpT10_ENKUlT_T0_E_clISt17integral_constantIbLb1EES19_IbLb0EEEEDaS15_S16_EUlS15_E_NS1_11comp_targetILNS1_3genE9ELNS1_11target_archE1100ELNS1_3gpuE3ELNS1_3repE0EEENS1_30default_config_static_selectorELNS0_4arch9wavefront6targetE1EEEvT1_,comdat
	.protected	_ZN7rocprim17ROCPRIM_400000_NS6detail17trampoline_kernelINS0_14default_configENS1_25partition_config_selectorILNS1_17partition_subalgoE3EyNS0_10empty_typeEbEEZZNS1_14partition_implILS5_3ELb0ES3_jN6thrust23THRUST_200600_302600_NS6detail15normal_iteratorINSA_7pointerIyNSA_11hip_rocprim3tagENSA_11use_defaultESG_EEEEPS6_SJ_NS0_5tupleIJPySJ_EEENSK_IJSJ_SJ_EEES6_PlJ7is_evenIyEEEE10hipError_tPvRmT3_T4_T5_T6_T7_T9_mT8_P12ihipStream_tbDpT10_ENKUlT_T0_E_clISt17integral_constantIbLb1EES19_IbLb0EEEEDaS15_S16_EUlS15_E_NS1_11comp_targetILNS1_3genE9ELNS1_11target_archE1100ELNS1_3gpuE3ELNS1_3repE0EEENS1_30default_config_static_selectorELNS0_4arch9wavefront6targetE1EEEvT1_ ; -- Begin function _ZN7rocprim17ROCPRIM_400000_NS6detail17trampoline_kernelINS0_14default_configENS1_25partition_config_selectorILNS1_17partition_subalgoE3EyNS0_10empty_typeEbEEZZNS1_14partition_implILS5_3ELb0ES3_jN6thrust23THRUST_200600_302600_NS6detail15normal_iteratorINSA_7pointerIyNSA_11hip_rocprim3tagENSA_11use_defaultESG_EEEEPS6_SJ_NS0_5tupleIJPySJ_EEENSK_IJSJ_SJ_EEES6_PlJ7is_evenIyEEEE10hipError_tPvRmT3_T4_T5_T6_T7_T9_mT8_P12ihipStream_tbDpT10_ENKUlT_T0_E_clISt17integral_constantIbLb1EES19_IbLb0EEEEDaS15_S16_EUlS15_E_NS1_11comp_targetILNS1_3genE9ELNS1_11target_archE1100ELNS1_3gpuE3ELNS1_3repE0EEENS1_30default_config_static_selectorELNS0_4arch9wavefront6targetE1EEEvT1_
	.globl	_ZN7rocprim17ROCPRIM_400000_NS6detail17trampoline_kernelINS0_14default_configENS1_25partition_config_selectorILNS1_17partition_subalgoE3EyNS0_10empty_typeEbEEZZNS1_14partition_implILS5_3ELb0ES3_jN6thrust23THRUST_200600_302600_NS6detail15normal_iteratorINSA_7pointerIyNSA_11hip_rocprim3tagENSA_11use_defaultESG_EEEEPS6_SJ_NS0_5tupleIJPySJ_EEENSK_IJSJ_SJ_EEES6_PlJ7is_evenIyEEEE10hipError_tPvRmT3_T4_T5_T6_T7_T9_mT8_P12ihipStream_tbDpT10_ENKUlT_T0_E_clISt17integral_constantIbLb1EES19_IbLb0EEEEDaS15_S16_EUlS15_E_NS1_11comp_targetILNS1_3genE9ELNS1_11target_archE1100ELNS1_3gpuE3ELNS1_3repE0EEENS1_30default_config_static_selectorELNS0_4arch9wavefront6targetE1EEEvT1_
	.p2align	8
	.type	_ZN7rocprim17ROCPRIM_400000_NS6detail17trampoline_kernelINS0_14default_configENS1_25partition_config_selectorILNS1_17partition_subalgoE3EyNS0_10empty_typeEbEEZZNS1_14partition_implILS5_3ELb0ES3_jN6thrust23THRUST_200600_302600_NS6detail15normal_iteratorINSA_7pointerIyNSA_11hip_rocprim3tagENSA_11use_defaultESG_EEEEPS6_SJ_NS0_5tupleIJPySJ_EEENSK_IJSJ_SJ_EEES6_PlJ7is_evenIyEEEE10hipError_tPvRmT3_T4_T5_T6_T7_T9_mT8_P12ihipStream_tbDpT10_ENKUlT_T0_E_clISt17integral_constantIbLb1EES19_IbLb0EEEEDaS15_S16_EUlS15_E_NS1_11comp_targetILNS1_3genE9ELNS1_11target_archE1100ELNS1_3gpuE3ELNS1_3repE0EEENS1_30default_config_static_selectorELNS0_4arch9wavefront6targetE1EEEvT1_,@function
_ZN7rocprim17ROCPRIM_400000_NS6detail17trampoline_kernelINS0_14default_configENS1_25partition_config_selectorILNS1_17partition_subalgoE3EyNS0_10empty_typeEbEEZZNS1_14partition_implILS5_3ELb0ES3_jN6thrust23THRUST_200600_302600_NS6detail15normal_iteratorINSA_7pointerIyNSA_11hip_rocprim3tagENSA_11use_defaultESG_EEEEPS6_SJ_NS0_5tupleIJPySJ_EEENSK_IJSJ_SJ_EEES6_PlJ7is_evenIyEEEE10hipError_tPvRmT3_T4_T5_T6_T7_T9_mT8_P12ihipStream_tbDpT10_ENKUlT_T0_E_clISt17integral_constantIbLb1EES19_IbLb0EEEEDaS15_S16_EUlS15_E_NS1_11comp_targetILNS1_3genE9ELNS1_11target_archE1100ELNS1_3gpuE3ELNS1_3repE0EEENS1_30default_config_static_selectorELNS0_4arch9wavefront6targetE1EEEvT1_: ; @_ZN7rocprim17ROCPRIM_400000_NS6detail17trampoline_kernelINS0_14default_configENS1_25partition_config_selectorILNS1_17partition_subalgoE3EyNS0_10empty_typeEbEEZZNS1_14partition_implILS5_3ELb0ES3_jN6thrust23THRUST_200600_302600_NS6detail15normal_iteratorINSA_7pointerIyNSA_11hip_rocprim3tagENSA_11use_defaultESG_EEEEPS6_SJ_NS0_5tupleIJPySJ_EEENSK_IJSJ_SJ_EEES6_PlJ7is_evenIyEEEE10hipError_tPvRmT3_T4_T5_T6_T7_T9_mT8_P12ihipStream_tbDpT10_ENKUlT_T0_E_clISt17integral_constantIbLb1EES19_IbLb0EEEEDaS15_S16_EUlS15_E_NS1_11comp_targetILNS1_3genE9ELNS1_11target_archE1100ELNS1_3gpuE3ELNS1_3repE0EEENS1_30default_config_static_selectorELNS0_4arch9wavefront6targetE1EEEvT1_
; %bb.0:
	.section	.rodata,"a",@progbits
	.p2align	6, 0x0
	.amdhsa_kernel _ZN7rocprim17ROCPRIM_400000_NS6detail17trampoline_kernelINS0_14default_configENS1_25partition_config_selectorILNS1_17partition_subalgoE3EyNS0_10empty_typeEbEEZZNS1_14partition_implILS5_3ELb0ES3_jN6thrust23THRUST_200600_302600_NS6detail15normal_iteratorINSA_7pointerIyNSA_11hip_rocprim3tagENSA_11use_defaultESG_EEEEPS6_SJ_NS0_5tupleIJPySJ_EEENSK_IJSJ_SJ_EEES6_PlJ7is_evenIyEEEE10hipError_tPvRmT3_T4_T5_T6_T7_T9_mT8_P12ihipStream_tbDpT10_ENKUlT_T0_E_clISt17integral_constantIbLb1EES19_IbLb0EEEEDaS15_S16_EUlS15_E_NS1_11comp_targetILNS1_3genE9ELNS1_11target_archE1100ELNS1_3gpuE3ELNS1_3repE0EEENS1_30default_config_static_selectorELNS0_4arch9wavefront6targetE1EEEvT1_
		.amdhsa_group_segment_fixed_size 0
		.amdhsa_private_segment_fixed_size 0
		.amdhsa_kernarg_size 120
		.amdhsa_user_sgpr_count 2
		.amdhsa_user_sgpr_dispatch_ptr 0
		.amdhsa_user_sgpr_queue_ptr 0
		.amdhsa_user_sgpr_kernarg_segment_ptr 1
		.amdhsa_user_sgpr_dispatch_id 0
		.amdhsa_user_sgpr_kernarg_preload_length 0
		.amdhsa_user_sgpr_kernarg_preload_offset 0
		.amdhsa_user_sgpr_private_segment_size 0
		.amdhsa_uses_dynamic_stack 0
		.amdhsa_enable_private_segment 0
		.amdhsa_system_sgpr_workgroup_id_x 1
		.amdhsa_system_sgpr_workgroup_id_y 0
		.amdhsa_system_sgpr_workgroup_id_z 0
		.amdhsa_system_sgpr_workgroup_info 0
		.amdhsa_system_vgpr_workitem_id 0
		.amdhsa_next_free_vgpr 1
		.amdhsa_next_free_sgpr 0
		.amdhsa_accum_offset 4
		.amdhsa_reserve_vcc 0
		.amdhsa_float_round_mode_32 0
		.amdhsa_float_round_mode_16_64 0
		.amdhsa_float_denorm_mode_32 3
		.amdhsa_float_denorm_mode_16_64 3
		.amdhsa_dx10_clamp 1
		.amdhsa_ieee_mode 1
		.amdhsa_fp16_overflow 0
		.amdhsa_tg_split 0
		.amdhsa_exception_fp_ieee_invalid_op 0
		.amdhsa_exception_fp_denorm_src 0
		.amdhsa_exception_fp_ieee_div_zero 0
		.amdhsa_exception_fp_ieee_overflow 0
		.amdhsa_exception_fp_ieee_underflow 0
		.amdhsa_exception_fp_ieee_inexact 0
		.amdhsa_exception_int_div_zero 0
	.end_amdhsa_kernel
	.section	.text._ZN7rocprim17ROCPRIM_400000_NS6detail17trampoline_kernelINS0_14default_configENS1_25partition_config_selectorILNS1_17partition_subalgoE3EyNS0_10empty_typeEbEEZZNS1_14partition_implILS5_3ELb0ES3_jN6thrust23THRUST_200600_302600_NS6detail15normal_iteratorINSA_7pointerIyNSA_11hip_rocprim3tagENSA_11use_defaultESG_EEEEPS6_SJ_NS0_5tupleIJPySJ_EEENSK_IJSJ_SJ_EEES6_PlJ7is_evenIyEEEE10hipError_tPvRmT3_T4_T5_T6_T7_T9_mT8_P12ihipStream_tbDpT10_ENKUlT_T0_E_clISt17integral_constantIbLb1EES19_IbLb0EEEEDaS15_S16_EUlS15_E_NS1_11comp_targetILNS1_3genE9ELNS1_11target_archE1100ELNS1_3gpuE3ELNS1_3repE0EEENS1_30default_config_static_selectorELNS0_4arch9wavefront6targetE1EEEvT1_,"axG",@progbits,_ZN7rocprim17ROCPRIM_400000_NS6detail17trampoline_kernelINS0_14default_configENS1_25partition_config_selectorILNS1_17partition_subalgoE3EyNS0_10empty_typeEbEEZZNS1_14partition_implILS5_3ELb0ES3_jN6thrust23THRUST_200600_302600_NS6detail15normal_iteratorINSA_7pointerIyNSA_11hip_rocprim3tagENSA_11use_defaultESG_EEEEPS6_SJ_NS0_5tupleIJPySJ_EEENSK_IJSJ_SJ_EEES6_PlJ7is_evenIyEEEE10hipError_tPvRmT3_T4_T5_T6_T7_T9_mT8_P12ihipStream_tbDpT10_ENKUlT_T0_E_clISt17integral_constantIbLb1EES19_IbLb0EEEEDaS15_S16_EUlS15_E_NS1_11comp_targetILNS1_3genE9ELNS1_11target_archE1100ELNS1_3gpuE3ELNS1_3repE0EEENS1_30default_config_static_selectorELNS0_4arch9wavefront6targetE1EEEvT1_,comdat
.Lfunc_end696:
	.size	_ZN7rocprim17ROCPRIM_400000_NS6detail17trampoline_kernelINS0_14default_configENS1_25partition_config_selectorILNS1_17partition_subalgoE3EyNS0_10empty_typeEbEEZZNS1_14partition_implILS5_3ELb0ES3_jN6thrust23THRUST_200600_302600_NS6detail15normal_iteratorINSA_7pointerIyNSA_11hip_rocprim3tagENSA_11use_defaultESG_EEEEPS6_SJ_NS0_5tupleIJPySJ_EEENSK_IJSJ_SJ_EEES6_PlJ7is_evenIyEEEE10hipError_tPvRmT3_T4_T5_T6_T7_T9_mT8_P12ihipStream_tbDpT10_ENKUlT_T0_E_clISt17integral_constantIbLb1EES19_IbLb0EEEEDaS15_S16_EUlS15_E_NS1_11comp_targetILNS1_3genE9ELNS1_11target_archE1100ELNS1_3gpuE3ELNS1_3repE0EEENS1_30default_config_static_selectorELNS0_4arch9wavefront6targetE1EEEvT1_, .Lfunc_end696-_ZN7rocprim17ROCPRIM_400000_NS6detail17trampoline_kernelINS0_14default_configENS1_25partition_config_selectorILNS1_17partition_subalgoE3EyNS0_10empty_typeEbEEZZNS1_14partition_implILS5_3ELb0ES3_jN6thrust23THRUST_200600_302600_NS6detail15normal_iteratorINSA_7pointerIyNSA_11hip_rocprim3tagENSA_11use_defaultESG_EEEEPS6_SJ_NS0_5tupleIJPySJ_EEENSK_IJSJ_SJ_EEES6_PlJ7is_evenIyEEEE10hipError_tPvRmT3_T4_T5_T6_T7_T9_mT8_P12ihipStream_tbDpT10_ENKUlT_T0_E_clISt17integral_constantIbLb1EES19_IbLb0EEEEDaS15_S16_EUlS15_E_NS1_11comp_targetILNS1_3genE9ELNS1_11target_archE1100ELNS1_3gpuE3ELNS1_3repE0EEENS1_30default_config_static_selectorELNS0_4arch9wavefront6targetE1EEEvT1_
                                        ; -- End function
	.section	.AMDGPU.csdata,"",@progbits
; Kernel info:
; codeLenInByte = 0
; NumSgprs: 6
; NumVgprs: 0
; NumAgprs: 0
; TotalNumVgprs: 0
; ScratchSize: 0
; MemoryBound: 0
; FloatMode: 240
; IeeeMode: 1
; LDSByteSize: 0 bytes/workgroup (compile time only)
; SGPRBlocks: 0
; VGPRBlocks: 0
; NumSGPRsForWavesPerEU: 6
; NumVGPRsForWavesPerEU: 1
; AccumOffset: 4
; Occupancy: 8
; WaveLimiterHint : 0
; COMPUTE_PGM_RSRC2:SCRATCH_EN: 0
; COMPUTE_PGM_RSRC2:USER_SGPR: 2
; COMPUTE_PGM_RSRC2:TRAP_HANDLER: 0
; COMPUTE_PGM_RSRC2:TGID_X_EN: 1
; COMPUTE_PGM_RSRC2:TGID_Y_EN: 0
; COMPUTE_PGM_RSRC2:TGID_Z_EN: 0
; COMPUTE_PGM_RSRC2:TIDIG_COMP_CNT: 0
; COMPUTE_PGM_RSRC3_GFX90A:ACCUM_OFFSET: 0
; COMPUTE_PGM_RSRC3_GFX90A:TG_SPLIT: 0
	.section	.text._ZN7rocprim17ROCPRIM_400000_NS6detail17trampoline_kernelINS0_14default_configENS1_25partition_config_selectorILNS1_17partition_subalgoE3EyNS0_10empty_typeEbEEZZNS1_14partition_implILS5_3ELb0ES3_jN6thrust23THRUST_200600_302600_NS6detail15normal_iteratorINSA_7pointerIyNSA_11hip_rocprim3tagENSA_11use_defaultESG_EEEEPS6_SJ_NS0_5tupleIJPySJ_EEENSK_IJSJ_SJ_EEES6_PlJ7is_evenIyEEEE10hipError_tPvRmT3_T4_T5_T6_T7_T9_mT8_P12ihipStream_tbDpT10_ENKUlT_T0_E_clISt17integral_constantIbLb1EES19_IbLb0EEEEDaS15_S16_EUlS15_E_NS1_11comp_targetILNS1_3genE8ELNS1_11target_archE1030ELNS1_3gpuE2ELNS1_3repE0EEENS1_30default_config_static_selectorELNS0_4arch9wavefront6targetE1EEEvT1_,"axG",@progbits,_ZN7rocprim17ROCPRIM_400000_NS6detail17trampoline_kernelINS0_14default_configENS1_25partition_config_selectorILNS1_17partition_subalgoE3EyNS0_10empty_typeEbEEZZNS1_14partition_implILS5_3ELb0ES3_jN6thrust23THRUST_200600_302600_NS6detail15normal_iteratorINSA_7pointerIyNSA_11hip_rocprim3tagENSA_11use_defaultESG_EEEEPS6_SJ_NS0_5tupleIJPySJ_EEENSK_IJSJ_SJ_EEES6_PlJ7is_evenIyEEEE10hipError_tPvRmT3_T4_T5_T6_T7_T9_mT8_P12ihipStream_tbDpT10_ENKUlT_T0_E_clISt17integral_constantIbLb1EES19_IbLb0EEEEDaS15_S16_EUlS15_E_NS1_11comp_targetILNS1_3genE8ELNS1_11target_archE1030ELNS1_3gpuE2ELNS1_3repE0EEENS1_30default_config_static_selectorELNS0_4arch9wavefront6targetE1EEEvT1_,comdat
	.protected	_ZN7rocprim17ROCPRIM_400000_NS6detail17trampoline_kernelINS0_14default_configENS1_25partition_config_selectorILNS1_17partition_subalgoE3EyNS0_10empty_typeEbEEZZNS1_14partition_implILS5_3ELb0ES3_jN6thrust23THRUST_200600_302600_NS6detail15normal_iteratorINSA_7pointerIyNSA_11hip_rocprim3tagENSA_11use_defaultESG_EEEEPS6_SJ_NS0_5tupleIJPySJ_EEENSK_IJSJ_SJ_EEES6_PlJ7is_evenIyEEEE10hipError_tPvRmT3_T4_T5_T6_T7_T9_mT8_P12ihipStream_tbDpT10_ENKUlT_T0_E_clISt17integral_constantIbLb1EES19_IbLb0EEEEDaS15_S16_EUlS15_E_NS1_11comp_targetILNS1_3genE8ELNS1_11target_archE1030ELNS1_3gpuE2ELNS1_3repE0EEENS1_30default_config_static_selectorELNS0_4arch9wavefront6targetE1EEEvT1_ ; -- Begin function _ZN7rocprim17ROCPRIM_400000_NS6detail17trampoline_kernelINS0_14default_configENS1_25partition_config_selectorILNS1_17partition_subalgoE3EyNS0_10empty_typeEbEEZZNS1_14partition_implILS5_3ELb0ES3_jN6thrust23THRUST_200600_302600_NS6detail15normal_iteratorINSA_7pointerIyNSA_11hip_rocprim3tagENSA_11use_defaultESG_EEEEPS6_SJ_NS0_5tupleIJPySJ_EEENSK_IJSJ_SJ_EEES6_PlJ7is_evenIyEEEE10hipError_tPvRmT3_T4_T5_T6_T7_T9_mT8_P12ihipStream_tbDpT10_ENKUlT_T0_E_clISt17integral_constantIbLb1EES19_IbLb0EEEEDaS15_S16_EUlS15_E_NS1_11comp_targetILNS1_3genE8ELNS1_11target_archE1030ELNS1_3gpuE2ELNS1_3repE0EEENS1_30default_config_static_selectorELNS0_4arch9wavefront6targetE1EEEvT1_
	.globl	_ZN7rocprim17ROCPRIM_400000_NS6detail17trampoline_kernelINS0_14default_configENS1_25partition_config_selectorILNS1_17partition_subalgoE3EyNS0_10empty_typeEbEEZZNS1_14partition_implILS5_3ELb0ES3_jN6thrust23THRUST_200600_302600_NS6detail15normal_iteratorINSA_7pointerIyNSA_11hip_rocprim3tagENSA_11use_defaultESG_EEEEPS6_SJ_NS0_5tupleIJPySJ_EEENSK_IJSJ_SJ_EEES6_PlJ7is_evenIyEEEE10hipError_tPvRmT3_T4_T5_T6_T7_T9_mT8_P12ihipStream_tbDpT10_ENKUlT_T0_E_clISt17integral_constantIbLb1EES19_IbLb0EEEEDaS15_S16_EUlS15_E_NS1_11comp_targetILNS1_3genE8ELNS1_11target_archE1030ELNS1_3gpuE2ELNS1_3repE0EEENS1_30default_config_static_selectorELNS0_4arch9wavefront6targetE1EEEvT1_
	.p2align	8
	.type	_ZN7rocprim17ROCPRIM_400000_NS6detail17trampoline_kernelINS0_14default_configENS1_25partition_config_selectorILNS1_17partition_subalgoE3EyNS0_10empty_typeEbEEZZNS1_14partition_implILS5_3ELb0ES3_jN6thrust23THRUST_200600_302600_NS6detail15normal_iteratorINSA_7pointerIyNSA_11hip_rocprim3tagENSA_11use_defaultESG_EEEEPS6_SJ_NS0_5tupleIJPySJ_EEENSK_IJSJ_SJ_EEES6_PlJ7is_evenIyEEEE10hipError_tPvRmT3_T4_T5_T6_T7_T9_mT8_P12ihipStream_tbDpT10_ENKUlT_T0_E_clISt17integral_constantIbLb1EES19_IbLb0EEEEDaS15_S16_EUlS15_E_NS1_11comp_targetILNS1_3genE8ELNS1_11target_archE1030ELNS1_3gpuE2ELNS1_3repE0EEENS1_30default_config_static_selectorELNS0_4arch9wavefront6targetE1EEEvT1_,@function
_ZN7rocprim17ROCPRIM_400000_NS6detail17trampoline_kernelINS0_14default_configENS1_25partition_config_selectorILNS1_17partition_subalgoE3EyNS0_10empty_typeEbEEZZNS1_14partition_implILS5_3ELb0ES3_jN6thrust23THRUST_200600_302600_NS6detail15normal_iteratorINSA_7pointerIyNSA_11hip_rocprim3tagENSA_11use_defaultESG_EEEEPS6_SJ_NS0_5tupleIJPySJ_EEENSK_IJSJ_SJ_EEES6_PlJ7is_evenIyEEEE10hipError_tPvRmT3_T4_T5_T6_T7_T9_mT8_P12ihipStream_tbDpT10_ENKUlT_T0_E_clISt17integral_constantIbLb1EES19_IbLb0EEEEDaS15_S16_EUlS15_E_NS1_11comp_targetILNS1_3genE8ELNS1_11target_archE1030ELNS1_3gpuE2ELNS1_3repE0EEENS1_30default_config_static_selectorELNS0_4arch9wavefront6targetE1EEEvT1_: ; @_ZN7rocprim17ROCPRIM_400000_NS6detail17trampoline_kernelINS0_14default_configENS1_25partition_config_selectorILNS1_17partition_subalgoE3EyNS0_10empty_typeEbEEZZNS1_14partition_implILS5_3ELb0ES3_jN6thrust23THRUST_200600_302600_NS6detail15normal_iteratorINSA_7pointerIyNSA_11hip_rocprim3tagENSA_11use_defaultESG_EEEEPS6_SJ_NS0_5tupleIJPySJ_EEENSK_IJSJ_SJ_EEES6_PlJ7is_evenIyEEEE10hipError_tPvRmT3_T4_T5_T6_T7_T9_mT8_P12ihipStream_tbDpT10_ENKUlT_T0_E_clISt17integral_constantIbLb1EES19_IbLb0EEEEDaS15_S16_EUlS15_E_NS1_11comp_targetILNS1_3genE8ELNS1_11target_archE1030ELNS1_3gpuE2ELNS1_3repE0EEENS1_30default_config_static_selectorELNS0_4arch9wavefront6targetE1EEEvT1_
; %bb.0:
	.section	.rodata,"a",@progbits
	.p2align	6, 0x0
	.amdhsa_kernel _ZN7rocprim17ROCPRIM_400000_NS6detail17trampoline_kernelINS0_14default_configENS1_25partition_config_selectorILNS1_17partition_subalgoE3EyNS0_10empty_typeEbEEZZNS1_14partition_implILS5_3ELb0ES3_jN6thrust23THRUST_200600_302600_NS6detail15normal_iteratorINSA_7pointerIyNSA_11hip_rocprim3tagENSA_11use_defaultESG_EEEEPS6_SJ_NS0_5tupleIJPySJ_EEENSK_IJSJ_SJ_EEES6_PlJ7is_evenIyEEEE10hipError_tPvRmT3_T4_T5_T6_T7_T9_mT8_P12ihipStream_tbDpT10_ENKUlT_T0_E_clISt17integral_constantIbLb1EES19_IbLb0EEEEDaS15_S16_EUlS15_E_NS1_11comp_targetILNS1_3genE8ELNS1_11target_archE1030ELNS1_3gpuE2ELNS1_3repE0EEENS1_30default_config_static_selectorELNS0_4arch9wavefront6targetE1EEEvT1_
		.amdhsa_group_segment_fixed_size 0
		.amdhsa_private_segment_fixed_size 0
		.amdhsa_kernarg_size 120
		.amdhsa_user_sgpr_count 2
		.amdhsa_user_sgpr_dispatch_ptr 0
		.amdhsa_user_sgpr_queue_ptr 0
		.amdhsa_user_sgpr_kernarg_segment_ptr 1
		.amdhsa_user_sgpr_dispatch_id 0
		.amdhsa_user_sgpr_kernarg_preload_length 0
		.amdhsa_user_sgpr_kernarg_preload_offset 0
		.amdhsa_user_sgpr_private_segment_size 0
		.amdhsa_uses_dynamic_stack 0
		.amdhsa_enable_private_segment 0
		.amdhsa_system_sgpr_workgroup_id_x 1
		.amdhsa_system_sgpr_workgroup_id_y 0
		.amdhsa_system_sgpr_workgroup_id_z 0
		.amdhsa_system_sgpr_workgroup_info 0
		.amdhsa_system_vgpr_workitem_id 0
		.amdhsa_next_free_vgpr 1
		.amdhsa_next_free_sgpr 0
		.amdhsa_accum_offset 4
		.amdhsa_reserve_vcc 0
		.amdhsa_float_round_mode_32 0
		.amdhsa_float_round_mode_16_64 0
		.amdhsa_float_denorm_mode_32 3
		.amdhsa_float_denorm_mode_16_64 3
		.amdhsa_dx10_clamp 1
		.amdhsa_ieee_mode 1
		.amdhsa_fp16_overflow 0
		.amdhsa_tg_split 0
		.amdhsa_exception_fp_ieee_invalid_op 0
		.amdhsa_exception_fp_denorm_src 0
		.amdhsa_exception_fp_ieee_div_zero 0
		.amdhsa_exception_fp_ieee_overflow 0
		.amdhsa_exception_fp_ieee_underflow 0
		.amdhsa_exception_fp_ieee_inexact 0
		.amdhsa_exception_int_div_zero 0
	.end_amdhsa_kernel
	.section	.text._ZN7rocprim17ROCPRIM_400000_NS6detail17trampoline_kernelINS0_14default_configENS1_25partition_config_selectorILNS1_17partition_subalgoE3EyNS0_10empty_typeEbEEZZNS1_14partition_implILS5_3ELb0ES3_jN6thrust23THRUST_200600_302600_NS6detail15normal_iteratorINSA_7pointerIyNSA_11hip_rocprim3tagENSA_11use_defaultESG_EEEEPS6_SJ_NS0_5tupleIJPySJ_EEENSK_IJSJ_SJ_EEES6_PlJ7is_evenIyEEEE10hipError_tPvRmT3_T4_T5_T6_T7_T9_mT8_P12ihipStream_tbDpT10_ENKUlT_T0_E_clISt17integral_constantIbLb1EES19_IbLb0EEEEDaS15_S16_EUlS15_E_NS1_11comp_targetILNS1_3genE8ELNS1_11target_archE1030ELNS1_3gpuE2ELNS1_3repE0EEENS1_30default_config_static_selectorELNS0_4arch9wavefront6targetE1EEEvT1_,"axG",@progbits,_ZN7rocprim17ROCPRIM_400000_NS6detail17trampoline_kernelINS0_14default_configENS1_25partition_config_selectorILNS1_17partition_subalgoE3EyNS0_10empty_typeEbEEZZNS1_14partition_implILS5_3ELb0ES3_jN6thrust23THRUST_200600_302600_NS6detail15normal_iteratorINSA_7pointerIyNSA_11hip_rocprim3tagENSA_11use_defaultESG_EEEEPS6_SJ_NS0_5tupleIJPySJ_EEENSK_IJSJ_SJ_EEES6_PlJ7is_evenIyEEEE10hipError_tPvRmT3_T4_T5_T6_T7_T9_mT8_P12ihipStream_tbDpT10_ENKUlT_T0_E_clISt17integral_constantIbLb1EES19_IbLb0EEEEDaS15_S16_EUlS15_E_NS1_11comp_targetILNS1_3genE8ELNS1_11target_archE1030ELNS1_3gpuE2ELNS1_3repE0EEENS1_30default_config_static_selectorELNS0_4arch9wavefront6targetE1EEEvT1_,comdat
.Lfunc_end697:
	.size	_ZN7rocprim17ROCPRIM_400000_NS6detail17trampoline_kernelINS0_14default_configENS1_25partition_config_selectorILNS1_17partition_subalgoE3EyNS0_10empty_typeEbEEZZNS1_14partition_implILS5_3ELb0ES3_jN6thrust23THRUST_200600_302600_NS6detail15normal_iteratorINSA_7pointerIyNSA_11hip_rocprim3tagENSA_11use_defaultESG_EEEEPS6_SJ_NS0_5tupleIJPySJ_EEENSK_IJSJ_SJ_EEES6_PlJ7is_evenIyEEEE10hipError_tPvRmT3_T4_T5_T6_T7_T9_mT8_P12ihipStream_tbDpT10_ENKUlT_T0_E_clISt17integral_constantIbLb1EES19_IbLb0EEEEDaS15_S16_EUlS15_E_NS1_11comp_targetILNS1_3genE8ELNS1_11target_archE1030ELNS1_3gpuE2ELNS1_3repE0EEENS1_30default_config_static_selectorELNS0_4arch9wavefront6targetE1EEEvT1_, .Lfunc_end697-_ZN7rocprim17ROCPRIM_400000_NS6detail17trampoline_kernelINS0_14default_configENS1_25partition_config_selectorILNS1_17partition_subalgoE3EyNS0_10empty_typeEbEEZZNS1_14partition_implILS5_3ELb0ES3_jN6thrust23THRUST_200600_302600_NS6detail15normal_iteratorINSA_7pointerIyNSA_11hip_rocprim3tagENSA_11use_defaultESG_EEEEPS6_SJ_NS0_5tupleIJPySJ_EEENSK_IJSJ_SJ_EEES6_PlJ7is_evenIyEEEE10hipError_tPvRmT3_T4_T5_T6_T7_T9_mT8_P12ihipStream_tbDpT10_ENKUlT_T0_E_clISt17integral_constantIbLb1EES19_IbLb0EEEEDaS15_S16_EUlS15_E_NS1_11comp_targetILNS1_3genE8ELNS1_11target_archE1030ELNS1_3gpuE2ELNS1_3repE0EEENS1_30default_config_static_selectorELNS0_4arch9wavefront6targetE1EEEvT1_
                                        ; -- End function
	.section	.AMDGPU.csdata,"",@progbits
; Kernel info:
; codeLenInByte = 0
; NumSgprs: 6
; NumVgprs: 0
; NumAgprs: 0
; TotalNumVgprs: 0
; ScratchSize: 0
; MemoryBound: 0
; FloatMode: 240
; IeeeMode: 1
; LDSByteSize: 0 bytes/workgroup (compile time only)
; SGPRBlocks: 0
; VGPRBlocks: 0
; NumSGPRsForWavesPerEU: 6
; NumVGPRsForWavesPerEU: 1
; AccumOffset: 4
; Occupancy: 8
; WaveLimiterHint : 0
; COMPUTE_PGM_RSRC2:SCRATCH_EN: 0
; COMPUTE_PGM_RSRC2:USER_SGPR: 2
; COMPUTE_PGM_RSRC2:TRAP_HANDLER: 0
; COMPUTE_PGM_RSRC2:TGID_X_EN: 1
; COMPUTE_PGM_RSRC2:TGID_Y_EN: 0
; COMPUTE_PGM_RSRC2:TGID_Z_EN: 0
; COMPUTE_PGM_RSRC2:TIDIG_COMP_CNT: 0
; COMPUTE_PGM_RSRC3_GFX90A:ACCUM_OFFSET: 0
; COMPUTE_PGM_RSRC3_GFX90A:TG_SPLIT: 0
	.section	.text._ZN7rocprim17ROCPRIM_400000_NS6detail17trampoline_kernelINS0_14default_configENS1_25partition_config_selectorILNS1_17partition_subalgoE3EyNS0_10empty_typeEbEEZZNS1_14partition_implILS5_3ELb0ES3_jN6thrust23THRUST_200600_302600_NS6detail15normal_iteratorINSA_7pointerIyNSA_11hip_rocprim3tagENSA_11use_defaultESG_EEEEPS6_SJ_NS0_5tupleIJPySJ_EEENSK_IJSJ_SJ_EEES6_PlJ7is_evenIyEEEE10hipError_tPvRmT3_T4_T5_T6_T7_T9_mT8_P12ihipStream_tbDpT10_ENKUlT_T0_E_clISt17integral_constantIbLb0EES19_IbLb1EEEEDaS15_S16_EUlS15_E_NS1_11comp_targetILNS1_3genE0ELNS1_11target_archE4294967295ELNS1_3gpuE0ELNS1_3repE0EEENS1_30default_config_static_selectorELNS0_4arch9wavefront6targetE1EEEvT1_,"axG",@progbits,_ZN7rocprim17ROCPRIM_400000_NS6detail17trampoline_kernelINS0_14default_configENS1_25partition_config_selectorILNS1_17partition_subalgoE3EyNS0_10empty_typeEbEEZZNS1_14partition_implILS5_3ELb0ES3_jN6thrust23THRUST_200600_302600_NS6detail15normal_iteratorINSA_7pointerIyNSA_11hip_rocprim3tagENSA_11use_defaultESG_EEEEPS6_SJ_NS0_5tupleIJPySJ_EEENSK_IJSJ_SJ_EEES6_PlJ7is_evenIyEEEE10hipError_tPvRmT3_T4_T5_T6_T7_T9_mT8_P12ihipStream_tbDpT10_ENKUlT_T0_E_clISt17integral_constantIbLb0EES19_IbLb1EEEEDaS15_S16_EUlS15_E_NS1_11comp_targetILNS1_3genE0ELNS1_11target_archE4294967295ELNS1_3gpuE0ELNS1_3repE0EEENS1_30default_config_static_selectorELNS0_4arch9wavefront6targetE1EEEvT1_,comdat
	.protected	_ZN7rocprim17ROCPRIM_400000_NS6detail17trampoline_kernelINS0_14default_configENS1_25partition_config_selectorILNS1_17partition_subalgoE3EyNS0_10empty_typeEbEEZZNS1_14partition_implILS5_3ELb0ES3_jN6thrust23THRUST_200600_302600_NS6detail15normal_iteratorINSA_7pointerIyNSA_11hip_rocprim3tagENSA_11use_defaultESG_EEEEPS6_SJ_NS0_5tupleIJPySJ_EEENSK_IJSJ_SJ_EEES6_PlJ7is_evenIyEEEE10hipError_tPvRmT3_T4_T5_T6_T7_T9_mT8_P12ihipStream_tbDpT10_ENKUlT_T0_E_clISt17integral_constantIbLb0EES19_IbLb1EEEEDaS15_S16_EUlS15_E_NS1_11comp_targetILNS1_3genE0ELNS1_11target_archE4294967295ELNS1_3gpuE0ELNS1_3repE0EEENS1_30default_config_static_selectorELNS0_4arch9wavefront6targetE1EEEvT1_ ; -- Begin function _ZN7rocprim17ROCPRIM_400000_NS6detail17trampoline_kernelINS0_14default_configENS1_25partition_config_selectorILNS1_17partition_subalgoE3EyNS0_10empty_typeEbEEZZNS1_14partition_implILS5_3ELb0ES3_jN6thrust23THRUST_200600_302600_NS6detail15normal_iteratorINSA_7pointerIyNSA_11hip_rocprim3tagENSA_11use_defaultESG_EEEEPS6_SJ_NS0_5tupleIJPySJ_EEENSK_IJSJ_SJ_EEES6_PlJ7is_evenIyEEEE10hipError_tPvRmT3_T4_T5_T6_T7_T9_mT8_P12ihipStream_tbDpT10_ENKUlT_T0_E_clISt17integral_constantIbLb0EES19_IbLb1EEEEDaS15_S16_EUlS15_E_NS1_11comp_targetILNS1_3genE0ELNS1_11target_archE4294967295ELNS1_3gpuE0ELNS1_3repE0EEENS1_30default_config_static_selectorELNS0_4arch9wavefront6targetE1EEEvT1_
	.globl	_ZN7rocprim17ROCPRIM_400000_NS6detail17trampoline_kernelINS0_14default_configENS1_25partition_config_selectorILNS1_17partition_subalgoE3EyNS0_10empty_typeEbEEZZNS1_14partition_implILS5_3ELb0ES3_jN6thrust23THRUST_200600_302600_NS6detail15normal_iteratorINSA_7pointerIyNSA_11hip_rocprim3tagENSA_11use_defaultESG_EEEEPS6_SJ_NS0_5tupleIJPySJ_EEENSK_IJSJ_SJ_EEES6_PlJ7is_evenIyEEEE10hipError_tPvRmT3_T4_T5_T6_T7_T9_mT8_P12ihipStream_tbDpT10_ENKUlT_T0_E_clISt17integral_constantIbLb0EES19_IbLb1EEEEDaS15_S16_EUlS15_E_NS1_11comp_targetILNS1_3genE0ELNS1_11target_archE4294967295ELNS1_3gpuE0ELNS1_3repE0EEENS1_30default_config_static_selectorELNS0_4arch9wavefront6targetE1EEEvT1_
	.p2align	8
	.type	_ZN7rocprim17ROCPRIM_400000_NS6detail17trampoline_kernelINS0_14default_configENS1_25partition_config_selectorILNS1_17partition_subalgoE3EyNS0_10empty_typeEbEEZZNS1_14partition_implILS5_3ELb0ES3_jN6thrust23THRUST_200600_302600_NS6detail15normal_iteratorINSA_7pointerIyNSA_11hip_rocprim3tagENSA_11use_defaultESG_EEEEPS6_SJ_NS0_5tupleIJPySJ_EEENSK_IJSJ_SJ_EEES6_PlJ7is_evenIyEEEE10hipError_tPvRmT3_T4_T5_T6_T7_T9_mT8_P12ihipStream_tbDpT10_ENKUlT_T0_E_clISt17integral_constantIbLb0EES19_IbLb1EEEEDaS15_S16_EUlS15_E_NS1_11comp_targetILNS1_3genE0ELNS1_11target_archE4294967295ELNS1_3gpuE0ELNS1_3repE0EEENS1_30default_config_static_selectorELNS0_4arch9wavefront6targetE1EEEvT1_,@function
_ZN7rocprim17ROCPRIM_400000_NS6detail17trampoline_kernelINS0_14default_configENS1_25partition_config_selectorILNS1_17partition_subalgoE3EyNS0_10empty_typeEbEEZZNS1_14partition_implILS5_3ELb0ES3_jN6thrust23THRUST_200600_302600_NS6detail15normal_iteratorINSA_7pointerIyNSA_11hip_rocprim3tagENSA_11use_defaultESG_EEEEPS6_SJ_NS0_5tupleIJPySJ_EEENSK_IJSJ_SJ_EEES6_PlJ7is_evenIyEEEE10hipError_tPvRmT3_T4_T5_T6_T7_T9_mT8_P12ihipStream_tbDpT10_ENKUlT_T0_E_clISt17integral_constantIbLb0EES19_IbLb1EEEEDaS15_S16_EUlS15_E_NS1_11comp_targetILNS1_3genE0ELNS1_11target_archE4294967295ELNS1_3gpuE0ELNS1_3repE0EEENS1_30default_config_static_selectorELNS0_4arch9wavefront6targetE1EEEvT1_: ; @_ZN7rocprim17ROCPRIM_400000_NS6detail17trampoline_kernelINS0_14default_configENS1_25partition_config_selectorILNS1_17partition_subalgoE3EyNS0_10empty_typeEbEEZZNS1_14partition_implILS5_3ELb0ES3_jN6thrust23THRUST_200600_302600_NS6detail15normal_iteratorINSA_7pointerIyNSA_11hip_rocprim3tagENSA_11use_defaultESG_EEEEPS6_SJ_NS0_5tupleIJPySJ_EEENSK_IJSJ_SJ_EEES6_PlJ7is_evenIyEEEE10hipError_tPvRmT3_T4_T5_T6_T7_T9_mT8_P12ihipStream_tbDpT10_ENKUlT_T0_E_clISt17integral_constantIbLb0EES19_IbLb1EEEEDaS15_S16_EUlS15_E_NS1_11comp_targetILNS1_3genE0ELNS1_11target_archE4294967295ELNS1_3gpuE0ELNS1_3repE0EEENS1_30default_config_static_selectorELNS0_4arch9wavefront6targetE1EEEvT1_
; %bb.0:
	.section	.rodata,"a",@progbits
	.p2align	6, 0x0
	.amdhsa_kernel _ZN7rocprim17ROCPRIM_400000_NS6detail17trampoline_kernelINS0_14default_configENS1_25partition_config_selectorILNS1_17partition_subalgoE3EyNS0_10empty_typeEbEEZZNS1_14partition_implILS5_3ELb0ES3_jN6thrust23THRUST_200600_302600_NS6detail15normal_iteratorINSA_7pointerIyNSA_11hip_rocprim3tagENSA_11use_defaultESG_EEEEPS6_SJ_NS0_5tupleIJPySJ_EEENSK_IJSJ_SJ_EEES6_PlJ7is_evenIyEEEE10hipError_tPvRmT3_T4_T5_T6_T7_T9_mT8_P12ihipStream_tbDpT10_ENKUlT_T0_E_clISt17integral_constantIbLb0EES19_IbLb1EEEEDaS15_S16_EUlS15_E_NS1_11comp_targetILNS1_3genE0ELNS1_11target_archE4294967295ELNS1_3gpuE0ELNS1_3repE0EEENS1_30default_config_static_selectorELNS0_4arch9wavefront6targetE1EEEvT1_
		.amdhsa_group_segment_fixed_size 0
		.amdhsa_private_segment_fixed_size 0
		.amdhsa_kernarg_size 136
		.amdhsa_user_sgpr_count 2
		.amdhsa_user_sgpr_dispatch_ptr 0
		.amdhsa_user_sgpr_queue_ptr 0
		.amdhsa_user_sgpr_kernarg_segment_ptr 1
		.amdhsa_user_sgpr_dispatch_id 0
		.amdhsa_user_sgpr_kernarg_preload_length 0
		.amdhsa_user_sgpr_kernarg_preload_offset 0
		.amdhsa_user_sgpr_private_segment_size 0
		.amdhsa_uses_dynamic_stack 0
		.amdhsa_enable_private_segment 0
		.amdhsa_system_sgpr_workgroup_id_x 1
		.amdhsa_system_sgpr_workgroup_id_y 0
		.amdhsa_system_sgpr_workgroup_id_z 0
		.amdhsa_system_sgpr_workgroup_info 0
		.amdhsa_system_vgpr_workitem_id 0
		.amdhsa_next_free_vgpr 1
		.amdhsa_next_free_sgpr 0
		.amdhsa_accum_offset 4
		.amdhsa_reserve_vcc 0
		.amdhsa_float_round_mode_32 0
		.amdhsa_float_round_mode_16_64 0
		.amdhsa_float_denorm_mode_32 3
		.amdhsa_float_denorm_mode_16_64 3
		.amdhsa_dx10_clamp 1
		.amdhsa_ieee_mode 1
		.amdhsa_fp16_overflow 0
		.amdhsa_tg_split 0
		.amdhsa_exception_fp_ieee_invalid_op 0
		.amdhsa_exception_fp_denorm_src 0
		.amdhsa_exception_fp_ieee_div_zero 0
		.amdhsa_exception_fp_ieee_overflow 0
		.amdhsa_exception_fp_ieee_underflow 0
		.amdhsa_exception_fp_ieee_inexact 0
		.amdhsa_exception_int_div_zero 0
	.end_amdhsa_kernel
	.section	.text._ZN7rocprim17ROCPRIM_400000_NS6detail17trampoline_kernelINS0_14default_configENS1_25partition_config_selectorILNS1_17partition_subalgoE3EyNS0_10empty_typeEbEEZZNS1_14partition_implILS5_3ELb0ES3_jN6thrust23THRUST_200600_302600_NS6detail15normal_iteratorINSA_7pointerIyNSA_11hip_rocprim3tagENSA_11use_defaultESG_EEEEPS6_SJ_NS0_5tupleIJPySJ_EEENSK_IJSJ_SJ_EEES6_PlJ7is_evenIyEEEE10hipError_tPvRmT3_T4_T5_T6_T7_T9_mT8_P12ihipStream_tbDpT10_ENKUlT_T0_E_clISt17integral_constantIbLb0EES19_IbLb1EEEEDaS15_S16_EUlS15_E_NS1_11comp_targetILNS1_3genE0ELNS1_11target_archE4294967295ELNS1_3gpuE0ELNS1_3repE0EEENS1_30default_config_static_selectorELNS0_4arch9wavefront6targetE1EEEvT1_,"axG",@progbits,_ZN7rocprim17ROCPRIM_400000_NS6detail17trampoline_kernelINS0_14default_configENS1_25partition_config_selectorILNS1_17partition_subalgoE3EyNS0_10empty_typeEbEEZZNS1_14partition_implILS5_3ELb0ES3_jN6thrust23THRUST_200600_302600_NS6detail15normal_iteratorINSA_7pointerIyNSA_11hip_rocprim3tagENSA_11use_defaultESG_EEEEPS6_SJ_NS0_5tupleIJPySJ_EEENSK_IJSJ_SJ_EEES6_PlJ7is_evenIyEEEE10hipError_tPvRmT3_T4_T5_T6_T7_T9_mT8_P12ihipStream_tbDpT10_ENKUlT_T0_E_clISt17integral_constantIbLb0EES19_IbLb1EEEEDaS15_S16_EUlS15_E_NS1_11comp_targetILNS1_3genE0ELNS1_11target_archE4294967295ELNS1_3gpuE0ELNS1_3repE0EEENS1_30default_config_static_selectorELNS0_4arch9wavefront6targetE1EEEvT1_,comdat
.Lfunc_end698:
	.size	_ZN7rocprim17ROCPRIM_400000_NS6detail17trampoline_kernelINS0_14default_configENS1_25partition_config_selectorILNS1_17partition_subalgoE3EyNS0_10empty_typeEbEEZZNS1_14partition_implILS5_3ELb0ES3_jN6thrust23THRUST_200600_302600_NS6detail15normal_iteratorINSA_7pointerIyNSA_11hip_rocprim3tagENSA_11use_defaultESG_EEEEPS6_SJ_NS0_5tupleIJPySJ_EEENSK_IJSJ_SJ_EEES6_PlJ7is_evenIyEEEE10hipError_tPvRmT3_T4_T5_T6_T7_T9_mT8_P12ihipStream_tbDpT10_ENKUlT_T0_E_clISt17integral_constantIbLb0EES19_IbLb1EEEEDaS15_S16_EUlS15_E_NS1_11comp_targetILNS1_3genE0ELNS1_11target_archE4294967295ELNS1_3gpuE0ELNS1_3repE0EEENS1_30default_config_static_selectorELNS0_4arch9wavefront6targetE1EEEvT1_, .Lfunc_end698-_ZN7rocprim17ROCPRIM_400000_NS6detail17trampoline_kernelINS0_14default_configENS1_25partition_config_selectorILNS1_17partition_subalgoE3EyNS0_10empty_typeEbEEZZNS1_14partition_implILS5_3ELb0ES3_jN6thrust23THRUST_200600_302600_NS6detail15normal_iteratorINSA_7pointerIyNSA_11hip_rocprim3tagENSA_11use_defaultESG_EEEEPS6_SJ_NS0_5tupleIJPySJ_EEENSK_IJSJ_SJ_EEES6_PlJ7is_evenIyEEEE10hipError_tPvRmT3_T4_T5_T6_T7_T9_mT8_P12ihipStream_tbDpT10_ENKUlT_T0_E_clISt17integral_constantIbLb0EES19_IbLb1EEEEDaS15_S16_EUlS15_E_NS1_11comp_targetILNS1_3genE0ELNS1_11target_archE4294967295ELNS1_3gpuE0ELNS1_3repE0EEENS1_30default_config_static_selectorELNS0_4arch9wavefront6targetE1EEEvT1_
                                        ; -- End function
	.section	.AMDGPU.csdata,"",@progbits
; Kernel info:
; codeLenInByte = 0
; NumSgprs: 6
; NumVgprs: 0
; NumAgprs: 0
; TotalNumVgprs: 0
; ScratchSize: 0
; MemoryBound: 0
; FloatMode: 240
; IeeeMode: 1
; LDSByteSize: 0 bytes/workgroup (compile time only)
; SGPRBlocks: 0
; VGPRBlocks: 0
; NumSGPRsForWavesPerEU: 6
; NumVGPRsForWavesPerEU: 1
; AccumOffset: 4
; Occupancy: 8
; WaveLimiterHint : 0
; COMPUTE_PGM_RSRC2:SCRATCH_EN: 0
; COMPUTE_PGM_RSRC2:USER_SGPR: 2
; COMPUTE_PGM_RSRC2:TRAP_HANDLER: 0
; COMPUTE_PGM_RSRC2:TGID_X_EN: 1
; COMPUTE_PGM_RSRC2:TGID_Y_EN: 0
; COMPUTE_PGM_RSRC2:TGID_Z_EN: 0
; COMPUTE_PGM_RSRC2:TIDIG_COMP_CNT: 0
; COMPUTE_PGM_RSRC3_GFX90A:ACCUM_OFFSET: 0
; COMPUTE_PGM_RSRC3_GFX90A:TG_SPLIT: 0
	.section	.text._ZN7rocprim17ROCPRIM_400000_NS6detail17trampoline_kernelINS0_14default_configENS1_25partition_config_selectorILNS1_17partition_subalgoE3EyNS0_10empty_typeEbEEZZNS1_14partition_implILS5_3ELb0ES3_jN6thrust23THRUST_200600_302600_NS6detail15normal_iteratorINSA_7pointerIyNSA_11hip_rocprim3tagENSA_11use_defaultESG_EEEEPS6_SJ_NS0_5tupleIJPySJ_EEENSK_IJSJ_SJ_EEES6_PlJ7is_evenIyEEEE10hipError_tPvRmT3_T4_T5_T6_T7_T9_mT8_P12ihipStream_tbDpT10_ENKUlT_T0_E_clISt17integral_constantIbLb0EES19_IbLb1EEEEDaS15_S16_EUlS15_E_NS1_11comp_targetILNS1_3genE5ELNS1_11target_archE942ELNS1_3gpuE9ELNS1_3repE0EEENS1_30default_config_static_selectorELNS0_4arch9wavefront6targetE1EEEvT1_,"axG",@progbits,_ZN7rocprim17ROCPRIM_400000_NS6detail17trampoline_kernelINS0_14default_configENS1_25partition_config_selectorILNS1_17partition_subalgoE3EyNS0_10empty_typeEbEEZZNS1_14partition_implILS5_3ELb0ES3_jN6thrust23THRUST_200600_302600_NS6detail15normal_iteratorINSA_7pointerIyNSA_11hip_rocprim3tagENSA_11use_defaultESG_EEEEPS6_SJ_NS0_5tupleIJPySJ_EEENSK_IJSJ_SJ_EEES6_PlJ7is_evenIyEEEE10hipError_tPvRmT3_T4_T5_T6_T7_T9_mT8_P12ihipStream_tbDpT10_ENKUlT_T0_E_clISt17integral_constantIbLb0EES19_IbLb1EEEEDaS15_S16_EUlS15_E_NS1_11comp_targetILNS1_3genE5ELNS1_11target_archE942ELNS1_3gpuE9ELNS1_3repE0EEENS1_30default_config_static_selectorELNS0_4arch9wavefront6targetE1EEEvT1_,comdat
	.protected	_ZN7rocprim17ROCPRIM_400000_NS6detail17trampoline_kernelINS0_14default_configENS1_25partition_config_selectorILNS1_17partition_subalgoE3EyNS0_10empty_typeEbEEZZNS1_14partition_implILS5_3ELb0ES3_jN6thrust23THRUST_200600_302600_NS6detail15normal_iteratorINSA_7pointerIyNSA_11hip_rocprim3tagENSA_11use_defaultESG_EEEEPS6_SJ_NS0_5tupleIJPySJ_EEENSK_IJSJ_SJ_EEES6_PlJ7is_evenIyEEEE10hipError_tPvRmT3_T4_T5_T6_T7_T9_mT8_P12ihipStream_tbDpT10_ENKUlT_T0_E_clISt17integral_constantIbLb0EES19_IbLb1EEEEDaS15_S16_EUlS15_E_NS1_11comp_targetILNS1_3genE5ELNS1_11target_archE942ELNS1_3gpuE9ELNS1_3repE0EEENS1_30default_config_static_selectorELNS0_4arch9wavefront6targetE1EEEvT1_ ; -- Begin function _ZN7rocprim17ROCPRIM_400000_NS6detail17trampoline_kernelINS0_14default_configENS1_25partition_config_selectorILNS1_17partition_subalgoE3EyNS0_10empty_typeEbEEZZNS1_14partition_implILS5_3ELb0ES3_jN6thrust23THRUST_200600_302600_NS6detail15normal_iteratorINSA_7pointerIyNSA_11hip_rocprim3tagENSA_11use_defaultESG_EEEEPS6_SJ_NS0_5tupleIJPySJ_EEENSK_IJSJ_SJ_EEES6_PlJ7is_evenIyEEEE10hipError_tPvRmT3_T4_T5_T6_T7_T9_mT8_P12ihipStream_tbDpT10_ENKUlT_T0_E_clISt17integral_constantIbLb0EES19_IbLb1EEEEDaS15_S16_EUlS15_E_NS1_11comp_targetILNS1_3genE5ELNS1_11target_archE942ELNS1_3gpuE9ELNS1_3repE0EEENS1_30default_config_static_selectorELNS0_4arch9wavefront6targetE1EEEvT1_
	.globl	_ZN7rocprim17ROCPRIM_400000_NS6detail17trampoline_kernelINS0_14default_configENS1_25partition_config_selectorILNS1_17partition_subalgoE3EyNS0_10empty_typeEbEEZZNS1_14partition_implILS5_3ELb0ES3_jN6thrust23THRUST_200600_302600_NS6detail15normal_iteratorINSA_7pointerIyNSA_11hip_rocprim3tagENSA_11use_defaultESG_EEEEPS6_SJ_NS0_5tupleIJPySJ_EEENSK_IJSJ_SJ_EEES6_PlJ7is_evenIyEEEE10hipError_tPvRmT3_T4_T5_T6_T7_T9_mT8_P12ihipStream_tbDpT10_ENKUlT_T0_E_clISt17integral_constantIbLb0EES19_IbLb1EEEEDaS15_S16_EUlS15_E_NS1_11comp_targetILNS1_3genE5ELNS1_11target_archE942ELNS1_3gpuE9ELNS1_3repE0EEENS1_30default_config_static_selectorELNS0_4arch9wavefront6targetE1EEEvT1_
	.p2align	8
	.type	_ZN7rocprim17ROCPRIM_400000_NS6detail17trampoline_kernelINS0_14default_configENS1_25partition_config_selectorILNS1_17partition_subalgoE3EyNS0_10empty_typeEbEEZZNS1_14partition_implILS5_3ELb0ES3_jN6thrust23THRUST_200600_302600_NS6detail15normal_iteratorINSA_7pointerIyNSA_11hip_rocprim3tagENSA_11use_defaultESG_EEEEPS6_SJ_NS0_5tupleIJPySJ_EEENSK_IJSJ_SJ_EEES6_PlJ7is_evenIyEEEE10hipError_tPvRmT3_T4_T5_T6_T7_T9_mT8_P12ihipStream_tbDpT10_ENKUlT_T0_E_clISt17integral_constantIbLb0EES19_IbLb1EEEEDaS15_S16_EUlS15_E_NS1_11comp_targetILNS1_3genE5ELNS1_11target_archE942ELNS1_3gpuE9ELNS1_3repE0EEENS1_30default_config_static_selectorELNS0_4arch9wavefront6targetE1EEEvT1_,@function
_ZN7rocprim17ROCPRIM_400000_NS6detail17trampoline_kernelINS0_14default_configENS1_25partition_config_selectorILNS1_17partition_subalgoE3EyNS0_10empty_typeEbEEZZNS1_14partition_implILS5_3ELb0ES3_jN6thrust23THRUST_200600_302600_NS6detail15normal_iteratorINSA_7pointerIyNSA_11hip_rocprim3tagENSA_11use_defaultESG_EEEEPS6_SJ_NS0_5tupleIJPySJ_EEENSK_IJSJ_SJ_EEES6_PlJ7is_evenIyEEEE10hipError_tPvRmT3_T4_T5_T6_T7_T9_mT8_P12ihipStream_tbDpT10_ENKUlT_T0_E_clISt17integral_constantIbLb0EES19_IbLb1EEEEDaS15_S16_EUlS15_E_NS1_11comp_targetILNS1_3genE5ELNS1_11target_archE942ELNS1_3gpuE9ELNS1_3repE0EEENS1_30default_config_static_selectorELNS0_4arch9wavefront6targetE1EEEvT1_: ; @_ZN7rocprim17ROCPRIM_400000_NS6detail17trampoline_kernelINS0_14default_configENS1_25partition_config_selectorILNS1_17partition_subalgoE3EyNS0_10empty_typeEbEEZZNS1_14partition_implILS5_3ELb0ES3_jN6thrust23THRUST_200600_302600_NS6detail15normal_iteratorINSA_7pointerIyNSA_11hip_rocprim3tagENSA_11use_defaultESG_EEEEPS6_SJ_NS0_5tupleIJPySJ_EEENSK_IJSJ_SJ_EEES6_PlJ7is_evenIyEEEE10hipError_tPvRmT3_T4_T5_T6_T7_T9_mT8_P12ihipStream_tbDpT10_ENKUlT_T0_E_clISt17integral_constantIbLb0EES19_IbLb1EEEEDaS15_S16_EUlS15_E_NS1_11comp_targetILNS1_3genE5ELNS1_11target_archE942ELNS1_3gpuE9ELNS1_3repE0EEENS1_30default_config_static_selectorELNS0_4arch9wavefront6targetE1EEEvT1_
; %bb.0:
	s_load_dwordx2 s[22:23], s[0:1], 0x28
	s_load_dwordx4 s[24:27], s[0:1], 0x48
	s_load_dwordx2 s[34:35], s[0:1], 0x58
	s_load_dwordx2 s[36:37], s[0:1], 0x68
	v_cmp_eq_u32_e64 s[20:21], 0, v0
	s_and_saveexec_b64 s[2:3], s[20:21]
	s_cbranch_execz .LBB699_4
; %bb.1:
	s_mov_b64 s[6:7], exec
	v_mbcnt_lo_u32_b32 v1, s6, 0
	v_mbcnt_hi_u32_b32 v1, s7, v1
	v_cmp_eq_u32_e32 vcc, 0, v1
                                        ; implicit-def: $vgpr2
	s_and_saveexec_b64 s[4:5], vcc
	s_cbranch_execz .LBB699_3
; %bb.2:
	s_load_dwordx2 s[8:9], s[0:1], 0x78
	s_bcnt1_i32_b64 s6, s[6:7]
	v_mov_b32_e32 v2, 0
	v_mov_b32_e32 v3, s6
	s_waitcnt lgkmcnt(0)
	global_atomic_add v2, v2, v3, s[8:9] sc0
.LBB699_3:
	s_or_b64 exec, exec, s[4:5]
	s_waitcnt vmcnt(0)
	v_readfirstlane_b32 s4, v2
	v_mov_b32_e32 v2, 0
	s_nop 0
	v_add_u32_e32 v1, s4, v1
	ds_write_b32 v2, v1
.LBB699_4:
	s_or_b64 exec, exec, s[2:3]
	v_mov_b32_e32 v19, 0
	s_load_dwordx4 s[28:31], s[0:1], 0x8
	s_load_dword s2, s[0:1], 0x70
	s_waitcnt lgkmcnt(0)
	s_barrier
	ds_read_b32 v1, v19
	s_waitcnt lgkmcnt(0)
	s_barrier
	global_load_dwordx2 v[20:21], v19, s[26:27]
	s_lshl_b64 s[0:1], s[30:31], 3
	s_add_u32 s0, s28, s0
	s_addc_u32 s1, s29, s1
	s_movk_i32 s3, 0xe00
	s_add_i32 s4, s2, -1
	s_mulk_i32 s2, 0xe00
	v_mul_lo_u32 v18, v1, s3
	s_add_i32 s3, s2, s30
	s_sub_i32 s33, s34, s3
	s_addk_i32 s33, 0xe00
	s_add_u32 s2, s30, s2
	v_readfirstlane_b32 s40, v1
	s_addc_u32 s3, s31, 0
	s_cmp_eq_u32 s40, s4
	v_mov_b64_e32 v[2:3], s[34:35]
	s_cselect_b64 s[26:27], -1, 0
	s_cmp_lg_u32 s40, s4
	v_cmp_lt_u64_e32 vcc, s[2:3], v[2:3]
	s_cselect_b64 s[2:3], -1, 0
	s_or_b64 s[4:5], vcc, s[2:3]
	v_lshlrev_b64 v[2:3], 3, v[18:19]
	v_lshl_add_u64 v[24:25], s[0:1], 0, v[2:3]
	s_mov_b64 s[0:1], -1
	s_and_b64 vcc, exec, s[4:5]
	v_lshlrev_b32_e32 v22, 3, v0
	s_cbranch_vccz .LBB699_6
; %bb.5:
	v_mov_b32_e32 v23, v19
	v_lshl_add_u64 v[2:3], v[24:25], 0, v[22:23]
	v_add_co_u32_e32 v4, vcc, 0x1000, v2
	s_mov_b64 s[0:1], 0
	s_nop 0
	v_addc_co_u32_e32 v5, vcc, 0, v3, vcc
	v_add_co_u32_e32 v6, vcc, 0x2000, v2
	s_nop 1
	v_addc_co_u32_e32 v7, vcc, 0, v3, vcc
	v_add_co_u32_e32 v8, vcc, 0x3000, v2
	s_nop 1
	v_addc_co_u32_e32 v9, vcc, 0, v3, vcc
	flat_load_dwordx2 v[10:11], v[2:3]
	flat_load_dwordx2 v[12:13], v[4:5]
	;; [unrolled: 1-line block ×4, first 2 shown]
	v_add_co_u32_e32 v4, vcc, 0x4000, v2
	s_nop 1
	v_addc_co_u32_e32 v5, vcc, 0, v3, vcc
	v_add_co_u32_e32 v6, vcc, 0x5000, v2
	s_nop 1
	v_addc_co_u32_e32 v7, vcc, 0, v3, vcc
	;; [unrolled: 3-line block ×3, first 2 shown]
	flat_load_dwordx2 v[8:9], v[4:5]
	flat_load_dwordx2 v[26:27], v[6:7]
	;; [unrolled: 1-line block ×3, first 2 shown]
	s_waitcnt vmcnt(0) lgkmcnt(0)
	ds_write2st64_b64 v22, v[10:11], v[12:13] offset1:8
	ds_write2st64_b64 v22, v[14:15], v[16:17] offset0:16 offset1:24
	ds_write2st64_b64 v22, v[8:9], v[26:27] offset0:32 offset1:40
	ds_write_b64 v22, v[28:29] offset:24576
	s_waitcnt lgkmcnt(0)
	s_barrier
.LBB699_6:
	s_andn2_b64 vcc, exec, s[0:1]
	v_cmp_gt_u32_e64 s[0:1], s33, v0
	s_cbranch_vccnz .LBB699_22
; %bb.7:
                                        ; implicit-def: $vgpr2_vgpr3_vgpr4_vgpr5_vgpr6_vgpr7_vgpr8_vgpr9_vgpr10_vgpr11_vgpr12_vgpr13_vgpr14_vgpr15_vgpr16_vgpr17
	s_and_saveexec_b64 s[2:3], s[0:1]
	s_cbranch_execz .LBB699_9
; %bb.8:
	v_mov_b32_e32 v23, 0
	v_lshl_add_u64 v[2:3], v[24:25], 0, v[22:23]
	flat_load_dwordx2 v[2:3], v[2:3]
.LBB699_9:
	s_or_b64 exec, exec, s[2:3]
	v_or_b32_e32 v1, 0x200, v0
	v_cmp_gt_u32_e32 vcc, s33, v1
	s_and_saveexec_b64 s[0:1], vcc
	s_cbranch_execz .LBB699_11
; %bb.10:
	v_lshlrev_b32_e32 v4, 3, v1
	v_mov_b32_e32 v5, 0
	v_lshl_add_u64 v[4:5], v[24:25], 0, v[4:5]
	flat_load_dwordx2 v[4:5], v[4:5]
.LBB699_11:
	s_or_b64 exec, exec, s[0:1]
	v_or_b32_e32 v1, 0x400, v0
	v_cmp_gt_u32_e32 vcc, s33, v1
	s_and_saveexec_b64 s[0:1], vcc
	s_cbranch_execz .LBB699_13
; %bb.12:
	v_lshlrev_b32_e32 v6, 3, v1
	v_mov_b32_e32 v7, 0
	v_lshl_add_u64 v[6:7], v[24:25], 0, v[6:7]
	flat_load_dwordx2 v[6:7], v[6:7]
.LBB699_13:
	;; [unrolled: 11-line block ×6, first 2 shown]
	s_or_b64 exec, exec, s[0:1]
	s_waitcnt vmcnt(0) lgkmcnt(0)
	ds_write2st64_b64 v22, v[2:3], v[4:5] offset1:8
	ds_write2st64_b64 v22, v[6:7], v[8:9] offset0:16 offset1:24
	ds_write2st64_b64 v22, v[10:11], v[12:13] offset0:32 offset1:40
	ds_write_b64 v22, v[14:15] offset:24576
	s_waitcnt lgkmcnt(0)
	s_barrier
.LBB699_22:
	v_mul_u32_u24_e32 v1, 7, v0
	v_lshlrev_b32_e32 v37, 3, v1
	ds_read2_b64 v[10:13], v37 offset1:1
	ds_read2_b64 v[6:9], v37 offset0:2 offset1:3
	ds_read2_b64 v[2:5], v37 offset0:4 offset1:5
	ds_read_b64 v[16:17], v37 offset:48
	v_cndmask_b32_e64 v14, 0, 1, s[4:5]
	v_cmp_ne_u32_e64 s[2:3], 1, v14
	s_andn2_b64 vcc, exec, s[4:5]
	s_waitcnt lgkmcnt(3)
	v_xor_b32_e32 v28, -1, v10
	v_xor_b32_e32 v27, -1, v12
	s_waitcnt lgkmcnt(2)
	v_xor_b32_e32 v26, -1, v6
	v_xor_b32_e32 v25, -1, v8
	;; [unrolled: 3-line block ×3, first 2 shown]
	s_waitcnt lgkmcnt(0)
	v_xor_b32_e32 v14, -1, v16
	s_barrier
	s_cbranch_vccnz .LBB699_24
; %bb.23:
	v_mov_b32_e32 v23, 1
	v_and_b32_e32 v29, 1, v28
	v_and_b32_sdwa v30, v27, v23 dst_sel:BYTE_1 dst_unused:UNUSED_PAD src0_sel:DWORD src1_sel:DWORD
	v_and_b32_e32 v31, 1, v26
	v_and_b32_sdwa v34, v25, v23 dst_sel:BYTE_1 dst_unused:UNUSED_PAD src0_sel:DWORD src1_sel:DWORD
	v_or_b32_e32 v29, v29, v30
	v_or_b32_sdwa v30, v31, v34 dst_sel:WORD_1 dst_unused:UNUSED_PAD src0_sel:DWORD src1_sel:DWORD
	v_and_b32_e32 v33, 1, v24
	v_and_b32_e32 v32, 1, v15
	v_and_b32_e32 v23, 1, v14
	v_or_b32_sdwa v34, v29, v30 dst_sel:DWORD dst_unused:UNUSED_PAD src0_sel:WORD_0 src1_sel:DWORD
	s_cbranch_execz .LBB699_25
	s_branch .LBB699_26
.LBB699_24:
                                        ; implicit-def: $vgpr23
                                        ; implicit-def: $vgpr32
                                        ; implicit-def: $vgpr33
                                        ; implicit-def: $vgpr34
.LBB699_25:
	v_add_u32_e32 v23, 1, v1
	v_cmp_gt_u32_e32 vcc, s33, v1
	v_add_u32_e32 v29, 2, v1
	v_add_u32_e32 v30, 3, v1
	v_cndmask_b32_e64 v33, 0, 1, vcc
	v_cmp_gt_u32_e32 vcc, s33, v23
	v_add_u32_e32 v31, 4, v1
	v_add_u32_e32 v32, 5, v1
	v_cndmask_b32_e64 v23, 0, 1, vcc
	v_cmp_gt_u32_e32 vcc, s33, v29
	v_and_b32_sdwa v27, v23, v27 dst_sel:BYTE_1 dst_unused:UNUSED_PAD src0_sel:DWORD src1_sel:DWORD
	v_add_u32_e32 v34, 6, v1
	v_cndmask_b32_e64 v23, 0, 1, vcc
	v_cmp_gt_u32_e32 vcc, s33, v30
	v_and_b32_e32 v26, v23, v26
	v_and_b32_e32 v28, v33, v28
	v_cndmask_b32_e64 v23, 0, 1, vcc
	v_cmp_gt_u32_e32 vcc, s33, v31
	v_and_b32_sdwa v25, v23, v25 dst_sel:BYTE_1 dst_unused:UNUSED_PAD src0_sel:DWORD src1_sel:DWORD
	s_nop 0
	v_cndmask_b32_e64 v23, 0, 1, vcc
	v_cmp_gt_u32_e32 vcc, s33, v32
	v_and_b32_e32 v33, v23, v24
	s_nop 0
	v_cndmask_b32_e64 v23, 0, 1, vcc
	v_cmp_gt_u32_e32 vcc, s33, v34
	v_and_b32_e32 v32, v23, v15
	s_nop 0
	v_cndmask_b32_e64 v15, 0, 1, vcc
	v_and_b32_e32 v23, v15, v14
	v_or_b32_e32 v14, v28, v27
	v_or_b32_sdwa v15, v26, v25 dst_sel:WORD_1 dst_unused:UNUSED_PAD src0_sel:DWORD src1_sel:DWORD
	s_nop 0
	v_or_b32_sdwa v34, v14, v15 dst_sel:DWORD dst_unused:UNUSED_PAD src0_sel:WORD_0 src1_sel:DWORD
.LBB699_26:
	v_and_b32_e32 v38, 0xff, v34
	v_bfe_u32 v39, v34, 8, 8
	v_bfe_u32 v40, v34, 16, 8
	v_lshrrev_b32_e32 v35, 24, v34
	v_and_b32_e32 v41, 0xff, v33
	v_add3_u32 v15, v39, v38, v40
	v_and_b32_e32 v42, 0xff, v32
	v_and_b32_e32 v14, 0xff, v23
	v_add3_u32 v15, v15, v35, v41
	v_add3_u32 v45, v15, v42, v14
	v_mbcnt_lo_u32_b32 v14, -1, 0
	v_mbcnt_hi_u32_b32 v43, -1, v14
	v_and_b32_e32 v14, 15, v43
	v_cmp_eq_u32_e64 s[16:17], 0, v14
	v_cmp_lt_u32_e64 s[14:15], 1, v14
	v_cmp_lt_u32_e64 s[12:13], 3, v14
	;; [unrolled: 1-line block ×3, first 2 shown]
	v_and_b32_e32 v14, 16, v43
	v_cmp_eq_u32_e64 s[8:9], 0, v14
	v_or_b32_e32 v14, 63, v0
	s_cmp_lg_u32 s40, 0
	v_cmp_lt_u32_e64 s[4:5], 31, v43
	v_lshrrev_b32_e32 v44, 6, v0
	v_cmp_eq_u32_e64 s[6:7], v14, v0
	s_cbranch_scc0 .LBB699_53
; %bb.27:
	v_mov_b32_dpp v14, v45 row_shr:1 row_mask:0xf bank_mask:0xf
	v_cndmask_b32_e64 v14, v14, 0, s[16:17]
	v_add_u32_e32 v14, v14, v45
	s_nop 1
	v_mov_b32_dpp v15, v14 row_shr:2 row_mask:0xf bank_mask:0xf
	v_cndmask_b32_e64 v15, 0, v15, s[14:15]
	v_add_u32_e32 v14, v14, v15
	s_nop 1
	;; [unrolled: 4-line block ×4, first 2 shown]
	v_mov_b32_dpp v15, v14 row_bcast:15 row_mask:0xf bank_mask:0xf
	v_cndmask_b32_e64 v15, v15, 0, s[8:9]
	v_add_u32_e32 v14, v14, v15
	s_nop 1
	v_mov_b32_dpp v15, v14 row_bcast:31 row_mask:0xf bank_mask:0xf
	v_cndmask_b32_e64 v15, 0, v15, s[4:5]
	v_add_u32_e32 v14, v14, v15
	s_and_saveexec_b64 s[0:1], s[6:7]
	s_cbranch_execz .LBB699_29
; %bb.28:
	v_lshlrev_b32_e32 v15, 2, v44
	ds_write_b32 v15, v14
.LBB699_29:
	s_or_b64 exec, exec, s[0:1]
	v_cmp_gt_u32_e32 vcc, 8, v0
	s_waitcnt lgkmcnt(0)
	s_barrier
	s_and_saveexec_b64 s[0:1], vcc
	s_cbranch_execz .LBB699_31
; %bb.30:
	v_lshlrev_b32_e32 v15, 2, v0
	ds_read_b32 v24, v15
	v_and_b32_e32 v25, 7, v43
	v_cmp_ne_u32_e32 vcc, 0, v25
	s_waitcnt lgkmcnt(0)
	v_mov_b32_dpp v26, v24 row_shr:1 row_mask:0xf bank_mask:0xf
	v_cndmask_b32_e32 v26, 0, v26, vcc
	v_add_u32_e32 v24, v26, v24
	v_cmp_lt_u32_e32 vcc, 1, v25
	s_nop 0
	v_mov_b32_dpp v26, v24 row_shr:2 row_mask:0xf bank_mask:0xf
	v_cndmask_b32_e32 v26, 0, v26, vcc
	v_add_u32_e32 v24, v24, v26
	v_cmp_lt_u32_e32 vcc, 3, v25
	s_nop 0
	v_mov_b32_dpp v26, v24 row_shr:4 row_mask:0xf bank_mask:0xf
	v_cndmask_b32_e32 v25, 0, v26, vcc
	v_add_u32_e32 v24, v24, v25
	ds_write_b32 v15, v24
.LBB699_31:
	s_or_b64 exec, exec, s[0:1]
	v_cmp_gt_u32_e32 vcc, 64, v0
	v_cmp_lt_u32_e64 s[0:1], 63, v0
	s_waitcnt lgkmcnt(0)
	s_barrier
	s_waitcnt lgkmcnt(0)
                                        ; implicit-def: $vgpr36
	s_and_saveexec_b64 s[18:19], s[0:1]
	s_cbranch_execz .LBB699_33
; %bb.32:
	v_lshl_add_u32 v15, v44, 2, -4
	ds_read_b32 v36, v15
	s_waitcnt lgkmcnt(0)
	v_add_u32_e32 v14, v36, v14
.LBB699_33:
	s_or_b64 exec, exec, s[18:19]
	v_add_u32_e32 v15, -1, v43
	v_and_b32_e32 v24, 64, v43
	v_cmp_lt_i32_e64 s[0:1], v15, v24
	v_cmp_eq_u32_e64 s[18:19], 0, v43
	s_nop 0
	v_cndmask_b32_e64 v15, v15, v43, s[0:1]
	v_lshlrev_b32_e32 v15, 2, v15
	ds_bpermute_b32 v46, v15, v14
	s_and_saveexec_b64 s[0:1], vcc
	s_cbranch_execz .LBB699_52
; %bb.34:
	v_mov_b32_e32 v29, 0
	ds_read_b32 v14, v29 offset:28
	s_and_saveexec_b64 s[28:29], s[18:19]
	s_cbranch_execz .LBB699_36
; %bb.35:
	s_add_i32 s38, s40, 64
	s_mov_b32 s39, 0
	s_lshl_b64 s[38:39], s[38:39], 3
	s_add_u32 s38, s36, s38
	v_mov_b32_e32 v15, 1
	s_addc_u32 s39, s37, s39
	s_waitcnt lgkmcnt(0)
	global_store_dwordx2 v29, v[14:15], s[38:39] sc1
.LBB699_36:
	s_or_b64 exec, exec, s[28:29]
	v_xad_u32 v24, v43, -1, s40
	v_add_u32_e32 v28, 64, v24
	v_lshl_add_u64 v[30:31], v[28:29], 3, s[36:37]
	global_load_dwordx2 v[26:27], v[30:31], off sc1
	s_waitcnt vmcnt(0)
	v_cmp_eq_u16_sdwa s[38:39], v27, v29 src0_sel:BYTE_0 src1_sel:DWORD
	s_and_saveexec_b64 s[28:29], s[38:39]
	s_cbranch_execz .LBB699_40
; %bb.37:
	s_mov_b64 s[38:39], 0
	v_mov_b32_e32 v15, 0
.LBB699_38:                             ; =>This Inner Loop Header: Depth=1
	global_load_dwordx2 v[26:27], v[30:31], off sc1
	s_waitcnt vmcnt(0)
	v_cmp_ne_u16_sdwa s[42:43], v27, v15 src0_sel:BYTE_0 src1_sel:DWORD
	s_or_b64 s[38:39], s[42:43], s[38:39]
	s_andn2_b64 exec, exec, s[38:39]
	s_cbranch_execnz .LBB699_38
; %bb.39:
	s_or_b64 exec, exec, s[38:39]
.LBB699_40:
	s_or_b64 exec, exec, s[28:29]
	v_and_b32_e32 v48, 63, v43
	v_mov_b32_e32 v47, 2
	v_cmp_ne_u32_e32 vcc, 63, v48
	v_cmp_eq_u16_sdwa s[28:29], v27, v47 src0_sel:BYTE_0 src1_sel:DWORD
	v_lshlrev_b64 v[28:29], v43, -1
	v_addc_co_u32_e32 v30, vcc, 0, v43, vcc
	v_and_b32_e32 v15, s29, v29
	v_lshlrev_b32_e32 v49, 2, v30
	v_or_b32_e32 v15, 0x80000000, v15
	ds_bpermute_b32 v30, v49, v26
	v_and_b32_e32 v25, s28, v28
	v_ffbl_b32_e32 v15, v15
	v_add_u32_e32 v15, 32, v15
	v_ffbl_b32_e32 v25, v25
	v_min_u32_e32 v15, v25, v15
	v_cmp_lt_u32_e32 vcc, v48, v15
	v_add_u32_e32 v51, 2, v48
	v_add_u32_e32 v53, 4, v48
	s_waitcnt lgkmcnt(0)
	v_cndmask_b32_e32 v25, 0, v30, vcc
	v_cmp_gt_u32_e32 vcc, 62, v48
	v_add_u32_e32 v25, v25, v26
	v_add_u32_e32 v55, 8, v48
	v_cndmask_b32_e64 v26, 0, 1, vcc
	v_lshlrev_b32_e32 v26, 1, v26
	v_add_lshl_u32 v50, v26, v43, 2
	ds_bpermute_b32 v26, v50, v25
	v_cmp_le_u32_e32 vcc, v51, v15
	v_add_u32_e32 v57, 16, v48
	v_add_u32_e32 v59, 32, v48
	s_waitcnt lgkmcnt(0)
	v_cndmask_b32_e32 v26, 0, v26, vcc
	v_cmp_gt_u32_e32 vcc, 60, v48
	v_add_u32_e32 v25, v25, v26
	s_nop 0
	v_cndmask_b32_e64 v26, 0, 1, vcc
	v_lshlrev_b32_e32 v26, 2, v26
	v_add_lshl_u32 v52, v26, v43, 2
	ds_bpermute_b32 v26, v52, v25
	v_cmp_le_u32_e32 vcc, v53, v15
	s_waitcnt lgkmcnt(0)
	s_nop 0
	v_cndmask_b32_e32 v26, 0, v26, vcc
	v_cmp_gt_u32_e32 vcc, 56, v48
	v_add_u32_e32 v25, v25, v26
	s_nop 0
	v_cndmask_b32_e64 v26, 0, 1, vcc
	v_lshlrev_b32_e32 v26, 3, v26
	v_add_lshl_u32 v54, v26, v43, 2
	ds_bpermute_b32 v26, v54, v25
	v_cmp_le_u32_e32 vcc, v55, v15
	s_waitcnt lgkmcnt(0)
	s_nop 0
	;; [unrolled: 11-line block ×4, first 2 shown]
	v_cndmask_b32_e32 v15, 0, v26, vcc
	v_add_u32_e32 v26, v25, v15
	v_mov_b32_e32 v25, 0
	s_branch .LBB699_42
.LBB699_41:                             ;   in Loop: Header=BB699_42 Depth=1
	s_or_b64 exec, exec, s[28:29]
	v_cmp_eq_u16_sdwa s[28:29], v27, v47 src0_sel:BYTE_0 src1_sel:DWORD
	ds_bpermute_b32 v60, v49, v26
	v_subrev_u32_e32 v24, 64, v24
	v_and_b32_e32 v30, s29, v29
	v_or_b32_e32 v30, 0x80000000, v30
	v_and_b32_e32 v31, s28, v28
	v_ffbl_b32_e32 v30, v30
	v_add_u32_e32 v30, 32, v30
	v_ffbl_b32_e32 v31, v31
	v_min_u32_e32 v30, v31, v30
	v_cmp_lt_u32_e32 vcc, v48, v30
	s_waitcnt lgkmcnt(0)
	s_nop 0
	v_cndmask_b32_e32 v31, 0, v60, vcc
	v_add_u32_e32 v26, v31, v26
	ds_bpermute_b32 v31, v50, v26
	v_cmp_le_u32_e32 vcc, v51, v30
	s_waitcnt lgkmcnt(0)
	s_nop 0
	v_cndmask_b32_e32 v31, 0, v31, vcc
	v_add_u32_e32 v26, v26, v31
	ds_bpermute_b32 v31, v52, v26
	v_cmp_le_u32_e32 vcc, v53, v30
	;; [unrolled: 6-line block ×5, first 2 shown]
	s_waitcnt lgkmcnt(0)
	s_nop 0
	v_cndmask_b32_e32 v30, 0, v31, vcc
	v_add3_u32 v26, v30, v15, v26
.LBB699_42:                             ; =>This Loop Header: Depth=1
                                        ;     Child Loop BB699_45 Depth 2
	v_cmp_ne_u16_sdwa s[28:29], v27, v47 src0_sel:BYTE_0 src1_sel:DWORD
	s_nop 1
	v_cndmask_b32_e64 v15, 0, 1, s[28:29]
	;;#ASMSTART
	;;#ASMEND
	s_nop 0
	v_cmp_ne_u32_e32 vcc, 0, v15
	s_cmp_lg_u64 vcc, exec
	v_mov_b32_e32 v15, v26
	s_cbranch_scc1 .LBB699_47
; %bb.43:                               ;   in Loop: Header=BB699_42 Depth=1
	v_lshl_add_u64 v[30:31], v[24:25], 3, s[36:37]
	global_load_dwordx2 v[26:27], v[30:31], off sc1
	s_waitcnt vmcnt(0)
	v_cmp_eq_u16_sdwa s[38:39], v27, v25 src0_sel:BYTE_0 src1_sel:DWORD
	s_and_saveexec_b64 s[28:29], s[38:39]
	s_cbranch_execz .LBB699_41
; %bb.44:                               ;   in Loop: Header=BB699_42 Depth=1
	s_mov_b64 s[38:39], 0
.LBB699_45:                             ;   Parent Loop BB699_42 Depth=1
                                        ; =>  This Inner Loop Header: Depth=2
	global_load_dwordx2 v[26:27], v[30:31], off sc1
	s_waitcnt vmcnt(0)
	v_cmp_ne_u16_sdwa s[42:43], v27, v25 src0_sel:BYTE_0 src1_sel:DWORD
	s_or_b64 s[38:39], s[42:43], s[38:39]
	s_andn2_b64 exec, exec, s[38:39]
	s_cbranch_execnz .LBB699_45
; %bb.46:                               ;   in Loop: Header=BB699_42 Depth=1
	s_or_b64 exec, exec, s[38:39]
	s_branch .LBB699_41
.LBB699_47:                             ;   in Loop: Header=BB699_42 Depth=1
                                        ; implicit-def: $vgpr26
                                        ; implicit-def: $vgpr27
	s_cbranch_execz .LBB699_42
; %bb.48:
	s_and_saveexec_b64 s[28:29], s[18:19]
	s_cbranch_execz .LBB699_50
; %bb.49:
	s_add_i32 s38, s40, 64
	s_mov_b32 s39, 0
	s_lshl_b64 s[38:39], s[38:39], 3
	s_add_u32 s38, s36, s38
	v_add_u32_e32 v24, v15, v14
	v_mov_b32_e32 v25, 2
	s_addc_u32 s39, s37, s39
	v_mov_b32_e32 v26, 0
	global_store_dwordx2 v26, v[24:25], s[38:39] sc1
	ds_write_b64 v26, v[14:15] offset:28672
.LBB699_50:
	s_or_b64 exec, exec, s[28:29]
	s_and_b64 exec, exec, s[20:21]
	s_cbranch_execz .LBB699_52
; %bb.51:
	v_mov_b32_e32 v14, 0
	ds_write_b32 v14, v15 offset:28
.LBB699_52:
	s_or_b64 exec, exec, s[0:1]
	v_mov_b32_e32 v14, 0
	s_waitcnt lgkmcnt(0)
	s_barrier
	ds_read_b32 v15, v14 offset:28
	v_cndmask_b32_e64 v24, v46, v36, s[18:19]
	v_cndmask_b32_e64 v24, v24, 0, s[20:21]
	s_waitcnt lgkmcnt(0)
	s_barrier
	v_add_u32_e32 v30, v15, v24
	v_add_u32_e32 v29, v30, v38
	ds_read_b64 v[14:15], v14 offset:28672
	v_add_u32_e32 v28, v29, v39
	v_add_u32_e32 v27, v28, v40
	;; [unrolled: 1-line block ×5, first 2 shown]
	s_waitcnt lgkmcnt(0)
	v_mov_b32_e32 v36, v15
	s_branch .LBB699_63
.LBB699_53:
                                        ; implicit-def: $vgpr36
                                        ; implicit-def: $vgpr14
                                        ; implicit-def: $vgpr24
                                        ; implicit-def: $vgpr25
                                        ; implicit-def: $vgpr26
                                        ; implicit-def: $vgpr27
                                        ; implicit-def: $vgpr28
                                        ; implicit-def: $vgpr29
                                        ; implicit-def: $vgpr30
	s_cbranch_execz .LBB699_63
; %bb.54:
	s_nop 0
	v_mov_b32_dpp v14, v45 row_shr:1 row_mask:0xf bank_mask:0xf
	v_cndmask_b32_e64 v14, v14, 0, s[16:17]
	v_add_u32_e32 v14, v14, v45
	s_nop 1
	v_mov_b32_dpp v15, v14 row_shr:2 row_mask:0xf bank_mask:0xf
	v_cndmask_b32_e64 v15, 0, v15, s[14:15]
	v_add_u32_e32 v14, v14, v15
	;; [unrolled: 4-line block ×4, first 2 shown]
	s_nop 1
	v_mov_b32_dpp v15, v14 row_bcast:15 row_mask:0xf bank_mask:0xf
	v_cndmask_b32_e64 v15, v15, 0, s[8:9]
	v_add_u32_e32 v14, v14, v15
	s_nop 1
	v_mov_b32_dpp v15, v14 row_bcast:31 row_mask:0xf bank_mask:0xf
	v_cndmask_b32_e64 v15, 0, v15, s[4:5]
	v_add_u32_e32 v14, v14, v15
	s_and_saveexec_b64 s[0:1], s[6:7]
	s_cbranch_execz .LBB699_56
; %bb.55:
	v_lshlrev_b32_e32 v15, 2, v44
	ds_write_b32 v15, v14
.LBB699_56:
	s_or_b64 exec, exec, s[0:1]
	v_cmp_gt_u32_e32 vcc, 8, v0
	s_waitcnt lgkmcnt(0)
	s_barrier
	s_and_saveexec_b64 s[0:1], vcc
	s_cbranch_execz .LBB699_58
; %bb.57:
	s_movk_i32 s4, 0xffcc
	v_mad_i32_i24 v15, v0, s4, v37
	ds_read_b32 v24, v15
	v_and_b32_e32 v25, 7, v43
	v_cmp_ne_u32_e32 vcc, 0, v25
	s_waitcnt lgkmcnt(0)
	v_mov_b32_dpp v26, v24 row_shr:1 row_mask:0xf bank_mask:0xf
	v_cndmask_b32_e32 v26, 0, v26, vcc
	v_add_u32_e32 v24, v26, v24
	v_cmp_lt_u32_e32 vcc, 1, v25
	s_nop 0
	v_mov_b32_dpp v26, v24 row_shr:2 row_mask:0xf bank_mask:0xf
	v_cndmask_b32_e32 v26, 0, v26, vcc
	v_add_u32_e32 v24, v24, v26
	v_cmp_lt_u32_e32 vcc, 3, v25
	s_nop 0
	v_mov_b32_dpp v26, v24 row_shr:4 row_mask:0xf bank_mask:0xf
	v_cndmask_b32_e32 v25, 0, v26, vcc
	v_add_u32_e32 v24, v24, v25
	ds_write_b32 v15, v24
.LBB699_58:
	s_or_b64 exec, exec, s[0:1]
	v_cmp_lt_u32_e32 vcc, 63, v0
	v_mov_b32_e32 v15, 0
	v_mov_b32_e32 v24, 0
	s_waitcnt lgkmcnt(0)
	s_barrier
	s_and_saveexec_b64 s[0:1], vcc
	s_cbranch_execz .LBB699_60
; %bb.59:
	v_lshl_add_u32 v24, v44, 2, -4
	ds_read_b32 v24, v24
.LBB699_60:
	s_or_b64 exec, exec, s[0:1]
	v_add_u32_e32 v25, -1, v43
	v_and_b32_e32 v26, 64, v43
	v_cmp_lt_i32_e32 vcc, v25, v26
	s_waitcnt lgkmcnt(0)
	v_add_u32_e32 v14, v24, v14
	v_cndmask_b32_e32 v25, v25, v43, vcc
	v_lshlrev_b32_e32 v25, 2, v25
	ds_bpermute_b32 v25, v25, v14
	ds_read_b32 v14, v15 offset:28
	s_and_saveexec_b64 s[0:1], s[20:21]
	s_cbranch_execz .LBB699_62
; %bb.61:
	v_mov_b32_e32 v26, 0
	v_mov_b32_e32 v15, 2
	s_waitcnt lgkmcnt(0)
	global_store_dwordx2 v26, v[14:15], s[36:37] offset:512 sc1
.LBB699_62:
	s_or_b64 exec, exec, s[0:1]
	v_cmp_eq_u32_e32 vcc, 0, v43
	v_mov_b32_e32 v36, 0
	s_waitcnt lgkmcnt(0)
	v_cndmask_b32_e32 v15, v25, v24, vcc
	v_cndmask_b32_e64 v30, v15, 0, s[20:21]
	v_add_u32_e32 v29, v30, v38
	v_add_u32_e32 v28, v29, v39
	;; [unrolled: 1-line block ×6, first 2 shown]
	s_barrier
.LBB699_63:
	v_add_u32_e32 v1, v14, v1
	v_sub_u32_e32 v30, v30, v36
	v_and_b32_e32 v37, 1, v34
	v_sub_u32_e32 v31, v1, v30
	v_cmp_eq_u32_e32 vcc, 1, v37
	v_lshrrev_b32_e32 v15, 8, v34
	v_and_b32_e32 v15, 1, v15
	v_cndmask_b32_e32 v30, v31, v30, vcc
	v_lshlrev_b32_e32 v30, 3, v30
	ds_write_b64 v30, v[10:11]
	v_sub_u32_e32 v10, v29, v36
	v_sub_u32_e32 v11, v1, v10
	v_add_u32_e32 v11, 1, v11
	v_cmp_eq_u32_e32 vcc, 1, v15
	v_lshl_add_u64 v[18:19], s[30:31], 0, v[18:19]
	v_or_b32_e32 v30, 0x600, v0
	v_cndmask_b32_e32 v10, v11, v10, vcc
	v_lshlrev_b32_e32 v10, 3, v10
	ds_write_b64 v10, v[12:13]
	v_sub_u32_e32 v10, v28, v36
	v_mov_b32_e32 v12, 1
	v_sub_u32_e32 v11, v1, v10
	v_and_b32_sdwa v12, v12, v34 dst_sel:DWORD dst_unused:UNUSED_PAD src0_sel:DWORD src1_sel:WORD_1
	v_add_u32_e32 v11, 2, v11
	v_cmp_eq_u32_e32 vcc, 1, v12
	v_or_b32_e32 v34, 0x200, v0
	v_or_b32_e32 v28, 0x800, v0
	v_cndmask_b32_e32 v10, v11, v10, vcc
	v_lshlrev_b32_e32 v10, 3, v10
	ds_write_b64 v10, v[6:7]
	v_sub_u32_e32 v6, v27, v36
	v_sub_u32_e32 v7, v1, v6
	v_and_b32_e32 v10, 1, v35
	v_add_u32_e32 v7, 3, v7
	v_cmp_eq_u32_e32 vcc, 1, v10
	s_nop 1
	v_cndmask_b32_e32 v6, v7, v6, vcc
	v_lshlrev_b32_e32 v6, 3, v6
	ds_write_b64 v6, v[8:9]
	v_sub_u32_e32 v6, v26, v36
	v_sub_u32_e32 v7, v1, v6
	v_and_b32_e32 v8, 1, v33
	v_add_u32_e32 v7, 4, v7
	v_cmp_eq_u32_e32 vcc, 1, v8
	v_or_b32_e32 v26, 0xa00, v0
	s_nop 0
	v_cndmask_b32_e32 v6, v7, v6, vcc
	v_lshlrev_b32_e32 v6, 3, v6
	ds_write_b64 v6, v[2:3]
	v_sub_u32_e32 v2, v25, v36
	v_sub_u32_e32 v3, v1, v2
	v_and_b32_e32 v6, 1, v32
	v_add_u32_e32 v3, 5, v3
	v_cmp_eq_u32_e32 vcc, 1, v6
	v_or_b32_e32 v32, 0x400, v0
	;; [unrolled: 10-line block ×3, first 2 shown]
	s_nop 0
	v_cndmask_b32_e32 v1, v1, v2, vcc
	v_lshlrev_b32_e32 v1, 3, v1
	ds_write_b64 v1, v[16:17]
	v_mov_b32_e32 v1, 0
	s_waitcnt lgkmcnt(0)
	s_barrier
	ds_read2st64_b64 v[10:13], v22 offset1:8
	ds_read2st64_b64 v[6:9], v22 offset0:16 offset1:24
	ds_read2st64_b64 v[2:5], v22 offset0:32 offset1:40
	ds_read_b64 v[22:23], v22 offset:24576
	v_mov_b32_e32 v37, v1
	s_waitcnt vmcnt(0)
	v_lshl_add_u64 v[16:17], v[20:21], 0, v[36:37]
	v_mov_b32_e32 v20, s35
	v_sub_co_u32_e32 v18, vcc, s34, v18
	v_mov_b32_e32 v15, v1
	s_nop 0
	v_subb_co_u32_e32 v19, vcc, v20, v19, vcc
	v_lshl_add_u64 v[18:19], v[18:19], 0, v[14:15]
	v_mov_b32_e32 v35, v1
	v_mov_b32_e32 v33, v1
	;; [unrolled: 1-line block ×6, first 2 shown]
	s_and_b64 vcc, exec, s[2:3]
	v_lshl_add_u64 v[18:19], v[18:19], 0, v[16:17]
	s_cbranch_vccnz .LBB699_96
; %bb.64:
	v_cmp_ge_u32_e32 vcc, v0, v14
                                        ; implicit-def: $vgpr20_vgpr21
	s_and_saveexec_b64 s[0:1], vcc
	s_xor_b64 s[0:1], exec, s[0:1]
; %bb.65:
	v_not_b32_e32 v20, v0
	v_ashrrev_i32_e32 v21, 31, v20
	v_lshl_add_u64 v[20:21], v[18:19], 0, v[20:21]
; %bb.66:
	s_andn2_saveexec_b64 s[0:1], s[0:1]
; %bb.67:
	v_lshl_add_u64 v[20:21], v[16:17], 0, v[0:1]
; %bb.68:
	s_or_b64 exec, exec, s[0:1]
	v_lshl_add_u64 v[20:21], v[20:21], 3, s[22:23]
	v_cmp_ge_u32_e32 vcc, v34, v14
	s_waitcnt lgkmcnt(3)
	global_store_dwordx2 v[20:21], v[10:11], off
                                        ; implicit-def: $vgpr20_vgpr21
	s_and_saveexec_b64 s[0:1], vcc
	s_xor_b64 s[0:1], exec, s[0:1]
; %bb.69:
	v_xor_b32_e32 v20, 0xfffffdff, v0
	v_ashrrev_i32_e32 v21, 31, v20
	v_lshl_add_u64 v[20:21], v[18:19], 0, v[20:21]
; %bb.70:
	s_andn2_saveexec_b64 s[0:1], s[0:1]
; %bb.71:
	v_lshl_add_u64 v[20:21], v[16:17], 0, v[34:35]
; %bb.72:
	s_or_b64 exec, exec, s[0:1]
	v_lshl_add_u64 v[20:21], v[20:21], 3, s[22:23]
	v_cmp_ge_u32_e32 vcc, v32, v14
	global_store_dwordx2 v[20:21], v[12:13], off
                                        ; implicit-def: $vgpr20_vgpr21
	s_and_saveexec_b64 s[0:1], vcc
	s_xor_b64 s[0:1], exec, s[0:1]
; %bb.73:
	v_xor_b32_e32 v20, 0xfffffbff, v0
	v_ashrrev_i32_e32 v21, 31, v20
	v_lshl_add_u64 v[20:21], v[18:19], 0, v[20:21]
; %bb.74:
	s_andn2_saveexec_b64 s[0:1], s[0:1]
; %bb.75:
	v_lshl_add_u64 v[20:21], v[16:17], 0, v[32:33]
; %bb.76:
	s_or_b64 exec, exec, s[0:1]
	v_lshl_add_u64 v[20:21], v[20:21], 3, s[22:23]
	v_cmp_ge_u32_e32 vcc, v30, v14
	s_waitcnt lgkmcnt(2)
	global_store_dwordx2 v[20:21], v[6:7], off
                                        ; implicit-def: $vgpr20_vgpr21
	s_and_saveexec_b64 s[0:1], vcc
	s_xor_b64 s[0:1], exec, s[0:1]
; %bb.77:
	v_xor_b32_e32 v20, 0xfffff9ff, v0
	v_ashrrev_i32_e32 v21, 31, v20
	v_lshl_add_u64 v[20:21], v[18:19], 0, v[20:21]
; %bb.78:
	s_andn2_saveexec_b64 s[0:1], s[0:1]
; %bb.79:
	v_lshl_add_u64 v[20:21], v[16:17], 0, v[30:31]
; %bb.80:
	s_or_b64 exec, exec, s[0:1]
	v_lshl_add_u64 v[20:21], v[20:21], 3, s[22:23]
	v_cmp_ge_u32_e32 vcc, v28, v14
	global_store_dwordx2 v[20:21], v[8:9], off
                                        ; implicit-def: $vgpr20_vgpr21
	s_and_saveexec_b64 s[0:1], vcc
	s_xor_b64 s[0:1], exec, s[0:1]
; %bb.81:
	v_xor_b32_e32 v20, 0xfffff7ff, v0
	;; [unrolled: 33-line block ×3, first 2 shown]
	v_ashrrev_i32_e32 v21, 31, v20
	v_lshl_add_u64 v[20:21], v[18:19], 0, v[20:21]
; %bb.90:
	s_andn2_saveexec_b64 s[0:1], s[0:1]
; %bb.91:
	v_lshl_add_u64 v[20:21], v[16:17], 0, v[24:25]
; %bb.92:
	s_or_b64 exec, exec, s[0:1]
	s_mov_b64 s[0:1], -1
.LBB699_93:
	s_and_saveexec_b64 s[2:3], s[0:1]
	s_cbranch_execz .LBB699_140
.LBB699_94:
	v_lshl_add_u64 v[0:1], v[20:21], 3, s[22:23]
	s_waitcnt lgkmcnt(0)
	global_store_dwordx2 v[0:1], v[22:23], off
	s_or_b64 exec, exec, s[2:3]
	s_and_b64 s[0:1], s[20:21], s[26:27]
	s_and_saveexec_b64 s[2:3], s[0:1]
	s_cbranch_execnz .LBB699_141
.LBB699_95:
	s_endpgm
.LBB699_96:
	s_mov_b64 s[0:1], 0
                                        ; implicit-def: $vgpr20_vgpr21
	s_cbranch_execz .LBB699_93
; %bb.97:
	v_cmp_gt_u32_e32 vcc, s33, v0
	s_and_saveexec_b64 s[2:3], vcc
	s_cbranch_execz .LBB699_115
; %bb.98:
	v_cmp_ge_u32_e32 vcc, v0, v14
                                        ; implicit-def: $vgpr20_vgpr21
	s_and_saveexec_b64 s[4:5], vcc
	s_xor_b64 s[4:5], exec, s[4:5]
; %bb.99:
	v_not_b32_e32 v20, v0
	v_ashrrev_i32_e32 v21, 31, v20
	v_lshl_add_u64 v[20:21], v[18:19], 0, v[20:21]
; %bb.100:
	s_andn2_saveexec_b64 s[4:5], s[4:5]
; %bb.101:
	v_lshl_add_u64 v[20:21], v[16:17], 0, v[0:1]
; %bb.102:
	s_or_b64 exec, exec, s[4:5]
	v_lshl_add_u64 v[20:21], v[20:21], 3, s[22:23]
	s_waitcnt lgkmcnt(3)
	global_store_dwordx2 v[20:21], v[10:11], off
	s_or_b64 exec, exec, s[2:3]
	v_cmp_gt_u32_e32 vcc, s33, v34
	s_and_saveexec_b64 s[2:3], vcc
	s_cbranch_execnz .LBB699_116
.LBB699_103:
	s_or_b64 exec, exec, s[2:3]
	v_cmp_gt_u32_e32 vcc, s33, v32
	s_and_saveexec_b64 s[2:3], vcc
	s_cbranch_execz .LBB699_121
.LBB699_104:
	v_cmp_ge_u32_e32 vcc, v32, v14
                                        ; implicit-def: $vgpr10_vgpr11
	s_and_saveexec_b64 s[4:5], vcc
	s_xor_b64 s[4:5], exec, s[4:5]
	s_cbranch_execz .LBB699_106
; %bb.105:
	s_waitcnt lgkmcnt(3)
	v_xor_b32_e32 v10, 0xfffffbff, v0
	v_ashrrev_i32_e32 v11, 31, v10
	v_lshl_add_u64 v[10:11], v[18:19], 0, v[10:11]
                                        ; implicit-def: $vgpr32_vgpr33
.LBB699_106:
	s_andn2_saveexec_b64 s[4:5], s[4:5]
	s_cbranch_execz .LBB699_108
; %bb.107:
	s_waitcnt lgkmcnt(3)
	v_lshl_add_u64 v[10:11], v[16:17], 0, v[32:33]
.LBB699_108:
	s_or_b64 exec, exec, s[4:5]
	s_waitcnt lgkmcnt(3)
	v_lshl_add_u64 v[10:11], v[10:11], 3, s[22:23]
	s_waitcnt lgkmcnt(2)
	global_store_dwordx2 v[10:11], v[6:7], off
	s_or_b64 exec, exec, s[2:3]
	v_cmp_gt_u32_e32 vcc, s33, v30
	s_and_saveexec_b64 s[2:3], vcc
	s_cbranch_execnz .LBB699_122
.LBB699_109:
	s_or_b64 exec, exec, s[2:3]
	v_cmp_gt_u32_e32 vcc, s33, v28
	s_and_saveexec_b64 s[2:3], vcc
	s_cbranch_execz .LBB699_127
.LBB699_110:
	v_cmp_ge_u32_e32 vcc, v28, v14
                                        ; implicit-def: $vgpr6_vgpr7
	s_and_saveexec_b64 s[4:5], vcc
	s_xor_b64 s[4:5], exec, s[4:5]
	s_cbranch_execz .LBB699_112
; %bb.111:
	s_waitcnt lgkmcnt(2)
	v_xor_b32_e32 v6, 0xfffff7ff, v0
	v_ashrrev_i32_e32 v7, 31, v6
	v_lshl_add_u64 v[6:7], v[18:19], 0, v[6:7]
                                        ; implicit-def: $vgpr28_vgpr29
.LBB699_112:
	s_andn2_saveexec_b64 s[4:5], s[4:5]
	s_cbranch_execz .LBB699_114
; %bb.113:
	s_waitcnt lgkmcnt(2)
	v_lshl_add_u64 v[6:7], v[16:17], 0, v[28:29]
.LBB699_114:
	s_or_b64 exec, exec, s[4:5]
	s_waitcnt lgkmcnt(2)
	v_lshl_add_u64 v[6:7], v[6:7], 3, s[22:23]
	s_waitcnt lgkmcnt(1)
	global_store_dwordx2 v[6:7], v[2:3], off
	s_or_b64 exec, exec, s[2:3]
	v_cmp_gt_u32_e32 vcc, s33, v26
	s_and_saveexec_b64 s[2:3], vcc
	s_cbranch_execz .LBB699_133
	s_branch .LBB699_128
.LBB699_115:
	s_or_b64 exec, exec, s[2:3]
	v_cmp_gt_u32_e32 vcc, s33, v34
	s_and_saveexec_b64 s[2:3], vcc
	s_cbranch_execz .LBB699_103
.LBB699_116:
	v_cmp_ge_u32_e32 vcc, v34, v14
                                        ; implicit-def: $vgpr10_vgpr11
	s_and_saveexec_b64 s[4:5], vcc
	s_xor_b64 s[4:5], exec, s[4:5]
	s_cbranch_execz .LBB699_118
; %bb.117:
	s_waitcnt lgkmcnt(3)
	v_xor_b32_e32 v10, 0xfffffdff, v0
	v_ashrrev_i32_e32 v11, 31, v10
	v_lshl_add_u64 v[10:11], v[18:19], 0, v[10:11]
                                        ; implicit-def: $vgpr34_vgpr35
.LBB699_118:
	s_andn2_saveexec_b64 s[4:5], s[4:5]
	s_cbranch_execz .LBB699_120
; %bb.119:
	s_waitcnt lgkmcnt(3)
	v_lshl_add_u64 v[10:11], v[16:17], 0, v[34:35]
.LBB699_120:
	s_or_b64 exec, exec, s[4:5]
	s_waitcnt lgkmcnt(3)
	v_lshl_add_u64 v[10:11], v[10:11], 3, s[22:23]
	global_store_dwordx2 v[10:11], v[12:13], off
	s_or_b64 exec, exec, s[2:3]
	v_cmp_gt_u32_e32 vcc, s33, v32
	s_and_saveexec_b64 s[2:3], vcc
	s_cbranch_execnz .LBB699_104
.LBB699_121:
	s_or_b64 exec, exec, s[2:3]
	v_cmp_gt_u32_e32 vcc, s33, v30
	s_and_saveexec_b64 s[2:3], vcc
	s_cbranch_execz .LBB699_109
.LBB699_122:
	v_cmp_ge_u32_e32 vcc, v30, v14
                                        ; implicit-def: $vgpr6_vgpr7
	s_and_saveexec_b64 s[4:5], vcc
	s_xor_b64 s[4:5], exec, s[4:5]
	s_cbranch_execz .LBB699_124
; %bb.123:
	s_waitcnt lgkmcnt(2)
	v_xor_b32_e32 v6, 0xfffff9ff, v0
	v_ashrrev_i32_e32 v7, 31, v6
	v_lshl_add_u64 v[6:7], v[18:19], 0, v[6:7]
                                        ; implicit-def: $vgpr30_vgpr31
.LBB699_124:
	s_andn2_saveexec_b64 s[4:5], s[4:5]
	s_cbranch_execz .LBB699_126
; %bb.125:
	s_waitcnt lgkmcnt(2)
	v_lshl_add_u64 v[6:7], v[16:17], 0, v[30:31]
.LBB699_126:
	s_or_b64 exec, exec, s[4:5]
	s_waitcnt lgkmcnt(2)
	v_lshl_add_u64 v[6:7], v[6:7], 3, s[22:23]
	global_store_dwordx2 v[6:7], v[8:9], off
	s_or_b64 exec, exec, s[2:3]
	v_cmp_gt_u32_e32 vcc, s33, v28
	s_and_saveexec_b64 s[2:3], vcc
	s_cbranch_execnz .LBB699_110
.LBB699_127:
	s_or_b64 exec, exec, s[2:3]
	v_cmp_gt_u32_e32 vcc, s33, v26
	s_and_saveexec_b64 s[2:3], vcc
	s_cbranch_execz .LBB699_133
.LBB699_128:
	v_cmp_ge_u32_e32 vcc, v26, v14
                                        ; implicit-def: $vgpr2_vgpr3
	s_and_saveexec_b64 s[4:5], vcc
	s_xor_b64 s[4:5], exec, s[4:5]
	s_cbranch_execz .LBB699_130
; %bb.129:
	s_waitcnt lgkmcnt(1)
	v_xor_b32_e32 v2, 0xfffff5ff, v0
	v_ashrrev_i32_e32 v3, 31, v2
	v_lshl_add_u64 v[2:3], v[18:19], 0, v[2:3]
                                        ; implicit-def: $vgpr26_vgpr27
.LBB699_130:
	s_andn2_saveexec_b64 s[4:5], s[4:5]
	s_cbranch_execz .LBB699_132
; %bb.131:
	s_waitcnt lgkmcnt(1)
	v_lshl_add_u64 v[2:3], v[16:17], 0, v[26:27]
.LBB699_132:
	s_or_b64 exec, exec, s[4:5]
	s_waitcnt lgkmcnt(1)
	v_lshl_add_u64 v[2:3], v[2:3], 3, s[22:23]
	global_store_dwordx2 v[2:3], v[4:5], off
.LBB699_133:
	s_or_b64 exec, exec, s[2:3]
	v_cmp_gt_u32_e32 vcc, s33, v24
                                        ; implicit-def: $vgpr20_vgpr21
	s_and_saveexec_b64 s[2:3], vcc
	s_cbranch_execz .LBB699_139
; %bb.134:
	v_cmp_ge_u32_e32 vcc, v24, v14
                                        ; implicit-def: $vgpr20_vgpr21
	s_and_saveexec_b64 s[4:5], vcc
	s_xor_b64 s[4:5], exec, s[4:5]
; %bb.135:
	v_xor_b32_e32 v0, 0xfffff3ff, v0
	v_ashrrev_i32_e32 v1, 31, v0
	v_lshl_add_u64 v[20:21], v[18:19], 0, v[0:1]
                                        ; implicit-def: $vgpr24_vgpr25
; %bb.136:
	s_andn2_saveexec_b64 s[4:5], s[4:5]
; %bb.137:
	v_lshl_add_u64 v[20:21], v[16:17], 0, v[24:25]
; %bb.138:
	s_or_b64 exec, exec, s[4:5]
	s_or_b64 s[0:1], s[0:1], exec
.LBB699_139:
	s_or_b64 exec, exec, s[2:3]
	s_and_saveexec_b64 s[2:3], s[0:1]
	s_cbranch_execnz .LBB699_94
.LBB699_140:
	s_or_b64 exec, exec, s[2:3]
	s_and_b64 s[0:1], s[20:21], s[26:27]
	s_and_saveexec_b64 s[2:3], s[0:1]
	s_cbranch_execz .LBB699_95
.LBB699_141:
	s_waitcnt lgkmcnt(1)
	v_mov_b32_e32 v2, 0
	v_lshl_add_u64 v[0:1], v[16:17], 0, v[14:15]
	global_store_dwordx2 v2, v[0:1], s[24:25]
	s_endpgm
	.section	.rodata,"a",@progbits
	.p2align	6, 0x0
	.amdhsa_kernel _ZN7rocprim17ROCPRIM_400000_NS6detail17trampoline_kernelINS0_14default_configENS1_25partition_config_selectorILNS1_17partition_subalgoE3EyNS0_10empty_typeEbEEZZNS1_14partition_implILS5_3ELb0ES3_jN6thrust23THRUST_200600_302600_NS6detail15normal_iteratorINSA_7pointerIyNSA_11hip_rocprim3tagENSA_11use_defaultESG_EEEEPS6_SJ_NS0_5tupleIJPySJ_EEENSK_IJSJ_SJ_EEES6_PlJ7is_evenIyEEEE10hipError_tPvRmT3_T4_T5_T6_T7_T9_mT8_P12ihipStream_tbDpT10_ENKUlT_T0_E_clISt17integral_constantIbLb0EES19_IbLb1EEEEDaS15_S16_EUlS15_E_NS1_11comp_targetILNS1_3genE5ELNS1_11target_archE942ELNS1_3gpuE9ELNS1_3repE0EEENS1_30default_config_static_selectorELNS0_4arch9wavefront6targetE1EEEvT1_
		.amdhsa_group_segment_fixed_size 28680
		.amdhsa_private_segment_fixed_size 0
		.amdhsa_kernarg_size 136
		.amdhsa_user_sgpr_count 2
		.amdhsa_user_sgpr_dispatch_ptr 0
		.amdhsa_user_sgpr_queue_ptr 0
		.amdhsa_user_sgpr_kernarg_segment_ptr 1
		.amdhsa_user_sgpr_dispatch_id 0
		.amdhsa_user_sgpr_kernarg_preload_length 0
		.amdhsa_user_sgpr_kernarg_preload_offset 0
		.amdhsa_user_sgpr_private_segment_size 0
		.amdhsa_uses_dynamic_stack 0
		.amdhsa_enable_private_segment 0
		.amdhsa_system_sgpr_workgroup_id_x 1
		.amdhsa_system_sgpr_workgroup_id_y 0
		.amdhsa_system_sgpr_workgroup_id_z 0
		.amdhsa_system_sgpr_workgroup_info 0
		.amdhsa_system_vgpr_workitem_id 0
		.amdhsa_next_free_vgpr 61
		.amdhsa_next_free_sgpr 44
		.amdhsa_accum_offset 64
		.amdhsa_reserve_vcc 1
		.amdhsa_float_round_mode_32 0
		.amdhsa_float_round_mode_16_64 0
		.amdhsa_float_denorm_mode_32 3
		.amdhsa_float_denorm_mode_16_64 3
		.amdhsa_dx10_clamp 1
		.amdhsa_ieee_mode 1
		.amdhsa_fp16_overflow 0
		.amdhsa_tg_split 0
		.amdhsa_exception_fp_ieee_invalid_op 0
		.amdhsa_exception_fp_denorm_src 0
		.amdhsa_exception_fp_ieee_div_zero 0
		.amdhsa_exception_fp_ieee_overflow 0
		.amdhsa_exception_fp_ieee_underflow 0
		.amdhsa_exception_fp_ieee_inexact 0
		.amdhsa_exception_int_div_zero 0
	.end_amdhsa_kernel
	.section	.text._ZN7rocprim17ROCPRIM_400000_NS6detail17trampoline_kernelINS0_14default_configENS1_25partition_config_selectorILNS1_17partition_subalgoE3EyNS0_10empty_typeEbEEZZNS1_14partition_implILS5_3ELb0ES3_jN6thrust23THRUST_200600_302600_NS6detail15normal_iteratorINSA_7pointerIyNSA_11hip_rocprim3tagENSA_11use_defaultESG_EEEEPS6_SJ_NS0_5tupleIJPySJ_EEENSK_IJSJ_SJ_EEES6_PlJ7is_evenIyEEEE10hipError_tPvRmT3_T4_T5_T6_T7_T9_mT8_P12ihipStream_tbDpT10_ENKUlT_T0_E_clISt17integral_constantIbLb0EES19_IbLb1EEEEDaS15_S16_EUlS15_E_NS1_11comp_targetILNS1_3genE5ELNS1_11target_archE942ELNS1_3gpuE9ELNS1_3repE0EEENS1_30default_config_static_selectorELNS0_4arch9wavefront6targetE1EEEvT1_,"axG",@progbits,_ZN7rocprim17ROCPRIM_400000_NS6detail17trampoline_kernelINS0_14default_configENS1_25partition_config_selectorILNS1_17partition_subalgoE3EyNS0_10empty_typeEbEEZZNS1_14partition_implILS5_3ELb0ES3_jN6thrust23THRUST_200600_302600_NS6detail15normal_iteratorINSA_7pointerIyNSA_11hip_rocprim3tagENSA_11use_defaultESG_EEEEPS6_SJ_NS0_5tupleIJPySJ_EEENSK_IJSJ_SJ_EEES6_PlJ7is_evenIyEEEE10hipError_tPvRmT3_T4_T5_T6_T7_T9_mT8_P12ihipStream_tbDpT10_ENKUlT_T0_E_clISt17integral_constantIbLb0EES19_IbLb1EEEEDaS15_S16_EUlS15_E_NS1_11comp_targetILNS1_3genE5ELNS1_11target_archE942ELNS1_3gpuE9ELNS1_3repE0EEENS1_30default_config_static_selectorELNS0_4arch9wavefront6targetE1EEEvT1_,comdat
.Lfunc_end699:
	.size	_ZN7rocprim17ROCPRIM_400000_NS6detail17trampoline_kernelINS0_14default_configENS1_25partition_config_selectorILNS1_17partition_subalgoE3EyNS0_10empty_typeEbEEZZNS1_14partition_implILS5_3ELb0ES3_jN6thrust23THRUST_200600_302600_NS6detail15normal_iteratorINSA_7pointerIyNSA_11hip_rocprim3tagENSA_11use_defaultESG_EEEEPS6_SJ_NS0_5tupleIJPySJ_EEENSK_IJSJ_SJ_EEES6_PlJ7is_evenIyEEEE10hipError_tPvRmT3_T4_T5_T6_T7_T9_mT8_P12ihipStream_tbDpT10_ENKUlT_T0_E_clISt17integral_constantIbLb0EES19_IbLb1EEEEDaS15_S16_EUlS15_E_NS1_11comp_targetILNS1_3genE5ELNS1_11target_archE942ELNS1_3gpuE9ELNS1_3repE0EEENS1_30default_config_static_selectorELNS0_4arch9wavefront6targetE1EEEvT1_, .Lfunc_end699-_ZN7rocprim17ROCPRIM_400000_NS6detail17trampoline_kernelINS0_14default_configENS1_25partition_config_selectorILNS1_17partition_subalgoE3EyNS0_10empty_typeEbEEZZNS1_14partition_implILS5_3ELb0ES3_jN6thrust23THRUST_200600_302600_NS6detail15normal_iteratorINSA_7pointerIyNSA_11hip_rocprim3tagENSA_11use_defaultESG_EEEEPS6_SJ_NS0_5tupleIJPySJ_EEENSK_IJSJ_SJ_EEES6_PlJ7is_evenIyEEEE10hipError_tPvRmT3_T4_T5_T6_T7_T9_mT8_P12ihipStream_tbDpT10_ENKUlT_T0_E_clISt17integral_constantIbLb0EES19_IbLb1EEEEDaS15_S16_EUlS15_E_NS1_11comp_targetILNS1_3genE5ELNS1_11target_archE942ELNS1_3gpuE9ELNS1_3repE0EEENS1_30default_config_static_selectorELNS0_4arch9wavefront6targetE1EEEvT1_
                                        ; -- End function
	.section	.AMDGPU.csdata,"",@progbits
; Kernel info:
; codeLenInByte = 5140
; NumSgprs: 50
; NumVgprs: 61
; NumAgprs: 0
; TotalNumVgprs: 61
; ScratchSize: 0
; MemoryBound: 0
; FloatMode: 240
; IeeeMode: 1
; LDSByteSize: 28680 bytes/workgroup (compile time only)
; SGPRBlocks: 6
; VGPRBlocks: 7
; NumSGPRsForWavesPerEU: 50
; NumVGPRsForWavesPerEU: 61
; AccumOffset: 64
; Occupancy: 4
; WaveLimiterHint : 1
; COMPUTE_PGM_RSRC2:SCRATCH_EN: 0
; COMPUTE_PGM_RSRC2:USER_SGPR: 2
; COMPUTE_PGM_RSRC2:TRAP_HANDLER: 0
; COMPUTE_PGM_RSRC2:TGID_X_EN: 1
; COMPUTE_PGM_RSRC2:TGID_Y_EN: 0
; COMPUTE_PGM_RSRC2:TGID_Z_EN: 0
; COMPUTE_PGM_RSRC2:TIDIG_COMP_CNT: 0
; COMPUTE_PGM_RSRC3_GFX90A:ACCUM_OFFSET: 15
; COMPUTE_PGM_RSRC3_GFX90A:TG_SPLIT: 0
	.section	.text._ZN7rocprim17ROCPRIM_400000_NS6detail17trampoline_kernelINS0_14default_configENS1_25partition_config_selectorILNS1_17partition_subalgoE3EyNS0_10empty_typeEbEEZZNS1_14partition_implILS5_3ELb0ES3_jN6thrust23THRUST_200600_302600_NS6detail15normal_iteratorINSA_7pointerIyNSA_11hip_rocprim3tagENSA_11use_defaultESG_EEEEPS6_SJ_NS0_5tupleIJPySJ_EEENSK_IJSJ_SJ_EEES6_PlJ7is_evenIyEEEE10hipError_tPvRmT3_T4_T5_T6_T7_T9_mT8_P12ihipStream_tbDpT10_ENKUlT_T0_E_clISt17integral_constantIbLb0EES19_IbLb1EEEEDaS15_S16_EUlS15_E_NS1_11comp_targetILNS1_3genE4ELNS1_11target_archE910ELNS1_3gpuE8ELNS1_3repE0EEENS1_30default_config_static_selectorELNS0_4arch9wavefront6targetE1EEEvT1_,"axG",@progbits,_ZN7rocprim17ROCPRIM_400000_NS6detail17trampoline_kernelINS0_14default_configENS1_25partition_config_selectorILNS1_17partition_subalgoE3EyNS0_10empty_typeEbEEZZNS1_14partition_implILS5_3ELb0ES3_jN6thrust23THRUST_200600_302600_NS6detail15normal_iteratorINSA_7pointerIyNSA_11hip_rocprim3tagENSA_11use_defaultESG_EEEEPS6_SJ_NS0_5tupleIJPySJ_EEENSK_IJSJ_SJ_EEES6_PlJ7is_evenIyEEEE10hipError_tPvRmT3_T4_T5_T6_T7_T9_mT8_P12ihipStream_tbDpT10_ENKUlT_T0_E_clISt17integral_constantIbLb0EES19_IbLb1EEEEDaS15_S16_EUlS15_E_NS1_11comp_targetILNS1_3genE4ELNS1_11target_archE910ELNS1_3gpuE8ELNS1_3repE0EEENS1_30default_config_static_selectorELNS0_4arch9wavefront6targetE1EEEvT1_,comdat
	.protected	_ZN7rocprim17ROCPRIM_400000_NS6detail17trampoline_kernelINS0_14default_configENS1_25partition_config_selectorILNS1_17partition_subalgoE3EyNS0_10empty_typeEbEEZZNS1_14partition_implILS5_3ELb0ES3_jN6thrust23THRUST_200600_302600_NS6detail15normal_iteratorINSA_7pointerIyNSA_11hip_rocprim3tagENSA_11use_defaultESG_EEEEPS6_SJ_NS0_5tupleIJPySJ_EEENSK_IJSJ_SJ_EEES6_PlJ7is_evenIyEEEE10hipError_tPvRmT3_T4_T5_T6_T7_T9_mT8_P12ihipStream_tbDpT10_ENKUlT_T0_E_clISt17integral_constantIbLb0EES19_IbLb1EEEEDaS15_S16_EUlS15_E_NS1_11comp_targetILNS1_3genE4ELNS1_11target_archE910ELNS1_3gpuE8ELNS1_3repE0EEENS1_30default_config_static_selectorELNS0_4arch9wavefront6targetE1EEEvT1_ ; -- Begin function _ZN7rocprim17ROCPRIM_400000_NS6detail17trampoline_kernelINS0_14default_configENS1_25partition_config_selectorILNS1_17partition_subalgoE3EyNS0_10empty_typeEbEEZZNS1_14partition_implILS5_3ELb0ES3_jN6thrust23THRUST_200600_302600_NS6detail15normal_iteratorINSA_7pointerIyNSA_11hip_rocprim3tagENSA_11use_defaultESG_EEEEPS6_SJ_NS0_5tupleIJPySJ_EEENSK_IJSJ_SJ_EEES6_PlJ7is_evenIyEEEE10hipError_tPvRmT3_T4_T5_T6_T7_T9_mT8_P12ihipStream_tbDpT10_ENKUlT_T0_E_clISt17integral_constantIbLb0EES19_IbLb1EEEEDaS15_S16_EUlS15_E_NS1_11comp_targetILNS1_3genE4ELNS1_11target_archE910ELNS1_3gpuE8ELNS1_3repE0EEENS1_30default_config_static_selectorELNS0_4arch9wavefront6targetE1EEEvT1_
	.globl	_ZN7rocprim17ROCPRIM_400000_NS6detail17trampoline_kernelINS0_14default_configENS1_25partition_config_selectorILNS1_17partition_subalgoE3EyNS0_10empty_typeEbEEZZNS1_14partition_implILS5_3ELb0ES3_jN6thrust23THRUST_200600_302600_NS6detail15normal_iteratorINSA_7pointerIyNSA_11hip_rocprim3tagENSA_11use_defaultESG_EEEEPS6_SJ_NS0_5tupleIJPySJ_EEENSK_IJSJ_SJ_EEES6_PlJ7is_evenIyEEEE10hipError_tPvRmT3_T4_T5_T6_T7_T9_mT8_P12ihipStream_tbDpT10_ENKUlT_T0_E_clISt17integral_constantIbLb0EES19_IbLb1EEEEDaS15_S16_EUlS15_E_NS1_11comp_targetILNS1_3genE4ELNS1_11target_archE910ELNS1_3gpuE8ELNS1_3repE0EEENS1_30default_config_static_selectorELNS0_4arch9wavefront6targetE1EEEvT1_
	.p2align	8
	.type	_ZN7rocprim17ROCPRIM_400000_NS6detail17trampoline_kernelINS0_14default_configENS1_25partition_config_selectorILNS1_17partition_subalgoE3EyNS0_10empty_typeEbEEZZNS1_14partition_implILS5_3ELb0ES3_jN6thrust23THRUST_200600_302600_NS6detail15normal_iteratorINSA_7pointerIyNSA_11hip_rocprim3tagENSA_11use_defaultESG_EEEEPS6_SJ_NS0_5tupleIJPySJ_EEENSK_IJSJ_SJ_EEES6_PlJ7is_evenIyEEEE10hipError_tPvRmT3_T4_T5_T6_T7_T9_mT8_P12ihipStream_tbDpT10_ENKUlT_T0_E_clISt17integral_constantIbLb0EES19_IbLb1EEEEDaS15_S16_EUlS15_E_NS1_11comp_targetILNS1_3genE4ELNS1_11target_archE910ELNS1_3gpuE8ELNS1_3repE0EEENS1_30default_config_static_selectorELNS0_4arch9wavefront6targetE1EEEvT1_,@function
_ZN7rocprim17ROCPRIM_400000_NS6detail17trampoline_kernelINS0_14default_configENS1_25partition_config_selectorILNS1_17partition_subalgoE3EyNS0_10empty_typeEbEEZZNS1_14partition_implILS5_3ELb0ES3_jN6thrust23THRUST_200600_302600_NS6detail15normal_iteratorINSA_7pointerIyNSA_11hip_rocprim3tagENSA_11use_defaultESG_EEEEPS6_SJ_NS0_5tupleIJPySJ_EEENSK_IJSJ_SJ_EEES6_PlJ7is_evenIyEEEE10hipError_tPvRmT3_T4_T5_T6_T7_T9_mT8_P12ihipStream_tbDpT10_ENKUlT_T0_E_clISt17integral_constantIbLb0EES19_IbLb1EEEEDaS15_S16_EUlS15_E_NS1_11comp_targetILNS1_3genE4ELNS1_11target_archE910ELNS1_3gpuE8ELNS1_3repE0EEENS1_30default_config_static_selectorELNS0_4arch9wavefront6targetE1EEEvT1_: ; @_ZN7rocprim17ROCPRIM_400000_NS6detail17trampoline_kernelINS0_14default_configENS1_25partition_config_selectorILNS1_17partition_subalgoE3EyNS0_10empty_typeEbEEZZNS1_14partition_implILS5_3ELb0ES3_jN6thrust23THRUST_200600_302600_NS6detail15normal_iteratorINSA_7pointerIyNSA_11hip_rocprim3tagENSA_11use_defaultESG_EEEEPS6_SJ_NS0_5tupleIJPySJ_EEENSK_IJSJ_SJ_EEES6_PlJ7is_evenIyEEEE10hipError_tPvRmT3_T4_T5_T6_T7_T9_mT8_P12ihipStream_tbDpT10_ENKUlT_T0_E_clISt17integral_constantIbLb0EES19_IbLb1EEEEDaS15_S16_EUlS15_E_NS1_11comp_targetILNS1_3genE4ELNS1_11target_archE910ELNS1_3gpuE8ELNS1_3repE0EEENS1_30default_config_static_selectorELNS0_4arch9wavefront6targetE1EEEvT1_
; %bb.0:
	.section	.rodata,"a",@progbits
	.p2align	6, 0x0
	.amdhsa_kernel _ZN7rocprim17ROCPRIM_400000_NS6detail17trampoline_kernelINS0_14default_configENS1_25partition_config_selectorILNS1_17partition_subalgoE3EyNS0_10empty_typeEbEEZZNS1_14partition_implILS5_3ELb0ES3_jN6thrust23THRUST_200600_302600_NS6detail15normal_iteratorINSA_7pointerIyNSA_11hip_rocprim3tagENSA_11use_defaultESG_EEEEPS6_SJ_NS0_5tupleIJPySJ_EEENSK_IJSJ_SJ_EEES6_PlJ7is_evenIyEEEE10hipError_tPvRmT3_T4_T5_T6_T7_T9_mT8_P12ihipStream_tbDpT10_ENKUlT_T0_E_clISt17integral_constantIbLb0EES19_IbLb1EEEEDaS15_S16_EUlS15_E_NS1_11comp_targetILNS1_3genE4ELNS1_11target_archE910ELNS1_3gpuE8ELNS1_3repE0EEENS1_30default_config_static_selectorELNS0_4arch9wavefront6targetE1EEEvT1_
		.amdhsa_group_segment_fixed_size 0
		.amdhsa_private_segment_fixed_size 0
		.amdhsa_kernarg_size 136
		.amdhsa_user_sgpr_count 2
		.amdhsa_user_sgpr_dispatch_ptr 0
		.amdhsa_user_sgpr_queue_ptr 0
		.amdhsa_user_sgpr_kernarg_segment_ptr 1
		.amdhsa_user_sgpr_dispatch_id 0
		.amdhsa_user_sgpr_kernarg_preload_length 0
		.amdhsa_user_sgpr_kernarg_preload_offset 0
		.amdhsa_user_sgpr_private_segment_size 0
		.amdhsa_uses_dynamic_stack 0
		.amdhsa_enable_private_segment 0
		.amdhsa_system_sgpr_workgroup_id_x 1
		.amdhsa_system_sgpr_workgroup_id_y 0
		.amdhsa_system_sgpr_workgroup_id_z 0
		.amdhsa_system_sgpr_workgroup_info 0
		.amdhsa_system_vgpr_workitem_id 0
		.amdhsa_next_free_vgpr 1
		.amdhsa_next_free_sgpr 0
		.amdhsa_accum_offset 4
		.amdhsa_reserve_vcc 0
		.amdhsa_float_round_mode_32 0
		.amdhsa_float_round_mode_16_64 0
		.amdhsa_float_denorm_mode_32 3
		.amdhsa_float_denorm_mode_16_64 3
		.amdhsa_dx10_clamp 1
		.amdhsa_ieee_mode 1
		.amdhsa_fp16_overflow 0
		.amdhsa_tg_split 0
		.amdhsa_exception_fp_ieee_invalid_op 0
		.amdhsa_exception_fp_denorm_src 0
		.amdhsa_exception_fp_ieee_div_zero 0
		.amdhsa_exception_fp_ieee_overflow 0
		.amdhsa_exception_fp_ieee_underflow 0
		.amdhsa_exception_fp_ieee_inexact 0
		.amdhsa_exception_int_div_zero 0
	.end_amdhsa_kernel
	.section	.text._ZN7rocprim17ROCPRIM_400000_NS6detail17trampoline_kernelINS0_14default_configENS1_25partition_config_selectorILNS1_17partition_subalgoE3EyNS0_10empty_typeEbEEZZNS1_14partition_implILS5_3ELb0ES3_jN6thrust23THRUST_200600_302600_NS6detail15normal_iteratorINSA_7pointerIyNSA_11hip_rocprim3tagENSA_11use_defaultESG_EEEEPS6_SJ_NS0_5tupleIJPySJ_EEENSK_IJSJ_SJ_EEES6_PlJ7is_evenIyEEEE10hipError_tPvRmT3_T4_T5_T6_T7_T9_mT8_P12ihipStream_tbDpT10_ENKUlT_T0_E_clISt17integral_constantIbLb0EES19_IbLb1EEEEDaS15_S16_EUlS15_E_NS1_11comp_targetILNS1_3genE4ELNS1_11target_archE910ELNS1_3gpuE8ELNS1_3repE0EEENS1_30default_config_static_selectorELNS0_4arch9wavefront6targetE1EEEvT1_,"axG",@progbits,_ZN7rocprim17ROCPRIM_400000_NS6detail17trampoline_kernelINS0_14default_configENS1_25partition_config_selectorILNS1_17partition_subalgoE3EyNS0_10empty_typeEbEEZZNS1_14partition_implILS5_3ELb0ES3_jN6thrust23THRUST_200600_302600_NS6detail15normal_iteratorINSA_7pointerIyNSA_11hip_rocprim3tagENSA_11use_defaultESG_EEEEPS6_SJ_NS0_5tupleIJPySJ_EEENSK_IJSJ_SJ_EEES6_PlJ7is_evenIyEEEE10hipError_tPvRmT3_T4_T5_T6_T7_T9_mT8_P12ihipStream_tbDpT10_ENKUlT_T0_E_clISt17integral_constantIbLb0EES19_IbLb1EEEEDaS15_S16_EUlS15_E_NS1_11comp_targetILNS1_3genE4ELNS1_11target_archE910ELNS1_3gpuE8ELNS1_3repE0EEENS1_30default_config_static_selectorELNS0_4arch9wavefront6targetE1EEEvT1_,comdat
.Lfunc_end700:
	.size	_ZN7rocprim17ROCPRIM_400000_NS6detail17trampoline_kernelINS0_14default_configENS1_25partition_config_selectorILNS1_17partition_subalgoE3EyNS0_10empty_typeEbEEZZNS1_14partition_implILS5_3ELb0ES3_jN6thrust23THRUST_200600_302600_NS6detail15normal_iteratorINSA_7pointerIyNSA_11hip_rocprim3tagENSA_11use_defaultESG_EEEEPS6_SJ_NS0_5tupleIJPySJ_EEENSK_IJSJ_SJ_EEES6_PlJ7is_evenIyEEEE10hipError_tPvRmT3_T4_T5_T6_T7_T9_mT8_P12ihipStream_tbDpT10_ENKUlT_T0_E_clISt17integral_constantIbLb0EES19_IbLb1EEEEDaS15_S16_EUlS15_E_NS1_11comp_targetILNS1_3genE4ELNS1_11target_archE910ELNS1_3gpuE8ELNS1_3repE0EEENS1_30default_config_static_selectorELNS0_4arch9wavefront6targetE1EEEvT1_, .Lfunc_end700-_ZN7rocprim17ROCPRIM_400000_NS6detail17trampoline_kernelINS0_14default_configENS1_25partition_config_selectorILNS1_17partition_subalgoE3EyNS0_10empty_typeEbEEZZNS1_14partition_implILS5_3ELb0ES3_jN6thrust23THRUST_200600_302600_NS6detail15normal_iteratorINSA_7pointerIyNSA_11hip_rocprim3tagENSA_11use_defaultESG_EEEEPS6_SJ_NS0_5tupleIJPySJ_EEENSK_IJSJ_SJ_EEES6_PlJ7is_evenIyEEEE10hipError_tPvRmT3_T4_T5_T6_T7_T9_mT8_P12ihipStream_tbDpT10_ENKUlT_T0_E_clISt17integral_constantIbLb0EES19_IbLb1EEEEDaS15_S16_EUlS15_E_NS1_11comp_targetILNS1_3genE4ELNS1_11target_archE910ELNS1_3gpuE8ELNS1_3repE0EEENS1_30default_config_static_selectorELNS0_4arch9wavefront6targetE1EEEvT1_
                                        ; -- End function
	.section	.AMDGPU.csdata,"",@progbits
; Kernel info:
; codeLenInByte = 0
; NumSgprs: 6
; NumVgprs: 0
; NumAgprs: 0
; TotalNumVgprs: 0
; ScratchSize: 0
; MemoryBound: 0
; FloatMode: 240
; IeeeMode: 1
; LDSByteSize: 0 bytes/workgroup (compile time only)
; SGPRBlocks: 0
; VGPRBlocks: 0
; NumSGPRsForWavesPerEU: 6
; NumVGPRsForWavesPerEU: 1
; AccumOffset: 4
; Occupancy: 8
; WaveLimiterHint : 0
; COMPUTE_PGM_RSRC2:SCRATCH_EN: 0
; COMPUTE_PGM_RSRC2:USER_SGPR: 2
; COMPUTE_PGM_RSRC2:TRAP_HANDLER: 0
; COMPUTE_PGM_RSRC2:TGID_X_EN: 1
; COMPUTE_PGM_RSRC2:TGID_Y_EN: 0
; COMPUTE_PGM_RSRC2:TGID_Z_EN: 0
; COMPUTE_PGM_RSRC2:TIDIG_COMP_CNT: 0
; COMPUTE_PGM_RSRC3_GFX90A:ACCUM_OFFSET: 0
; COMPUTE_PGM_RSRC3_GFX90A:TG_SPLIT: 0
	.section	.text._ZN7rocprim17ROCPRIM_400000_NS6detail17trampoline_kernelINS0_14default_configENS1_25partition_config_selectorILNS1_17partition_subalgoE3EyNS0_10empty_typeEbEEZZNS1_14partition_implILS5_3ELb0ES3_jN6thrust23THRUST_200600_302600_NS6detail15normal_iteratorINSA_7pointerIyNSA_11hip_rocprim3tagENSA_11use_defaultESG_EEEEPS6_SJ_NS0_5tupleIJPySJ_EEENSK_IJSJ_SJ_EEES6_PlJ7is_evenIyEEEE10hipError_tPvRmT3_T4_T5_T6_T7_T9_mT8_P12ihipStream_tbDpT10_ENKUlT_T0_E_clISt17integral_constantIbLb0EES19_IbLb1EEEEDaS15_S16_EUlS15_E_NS1_11comp_targetILNS1_3genE3ELNS1_11target_archE908ELNS1_3gpuE7ELNS1_3repE0EEENS1_30default_config_static_selectorELNS0_4arch9wavefront6targetE1EEEvT1_,"axG",@progbits,_ZN7rocprim17ROCPRIM_400000_NS6detail17trampoline_kernelINS0_14default_configENS1_25partition_config_selectorILNS1_17partition_subalgoE3EyNS0_10empty_typeEbEEZZNS1_14partition_implILS5_3ELb0ES3_jN6thrust23THRUST_200600_302600_NS6detail15normal_iteratorINSA_7pointerIyNSA_11hip_rocprim3tagENSA_11use_defaultESG_EEEEPS6_SJ_NS0_5tupleIJPySJ_EEENSK_IJSJ_SJ_EEES6_PlJ7is_evenIyEEEE10hipError_tPvRmT3_T4_T5_T6_T7_T9_mT8_P12ihipStream_tbDpT10_ENKUlT_T0_E_clISt17integral_constantIbLb0EES19_IbLb1EEEEDaS15_S16_EUlS15_E_NS1_11comp_targetILNS1_3genE3ELNS1_11target_archE908ELNS1_3gpuE7ELNS1_3repE0EEENS1_30default_config_static_selectorELNS0_4arch9wavefront6targetE1EEEvT1_,comdat
	.protected	_ZN7rocprim17ROCPRIM_400000_NS6detail17trampoline_kernelINS0_14default_configENS1_25partition_config_selectorILNS1_17partition_subalgoE3EyNS0_10empty_typeEbEEZZNS1_14partition_implILS5_3ELb0ES3_jN6thrust23THRUST_200600_302600_NS6detail15normal_iteratorINSA_7pointerIyNSA_11hip_rocprim3tagENSA_11use_defaultESG_EEEEPS6_SJ_NS0_5tupleIJPySJ_EEENSK_IJSJ_SJ_EEES6_PlJ7is_evenIyEEEE10hipError_tPvRmT3_T4_T5_T6_T7_T9_mT8_P12ihipStream_tbDpT10_ENKUlT_T0_E_clISt17integral_constantIbLb0EES19_IbLb1EEEEDaS15_S16_EUlS15_E_NS1_11comp_targetILNS1_3genE3ELNS1_11target_archE908ELNS1_3gpuE7ELNS1_3repE0EEENS1_30default_config_static_selectorELNS0_4arch9wavefront6targetE1EEEvT1_ ; -- Begin function _ZN7rocprim17ROCPRIM_400000_NS6detail17trampoline_kernelINS0_14default_configENS1_25partition_config_selectorILNS1_17partition_subalgoE3EyNS0_10empty_typeEbEEZZNS1_14partition_implILS5_3ELb0ES3_jN6thrust23THRUST_200600_302600_NS6detail15normal_iteratorINSA_7pointerIyNSA_11hip_rocprim3tagENSA_11use_defaultESG_EEEEPS6_SJ_NS0_5tupleIJPySJ_EEENSK_IJSJ_SJ_EEES6_PlJ7is_evenIyEEEE10hipError_tPvRmT3_T4_T5_T6_T7_T9_mT8_P12ihipStream_tbDpT10_ENKUlT_T0_E_clISt17integral_constantIbLb0EES19_IbLb1EEEEDaS15_S16_EUlS15_E_NS1_11comp_targetILNS1_3genE3ELNS1_11target_archE908ELNS1_3gpuE7ELNS1_3repE0EEENS1_30default_config_static_selectorELNS0_4arch9wavefront6targetE1EEEvT1_
	.globl	_ZN7rocprim17ROCPRIM_400000_NS6detail17trampoline_kernelINS0_14default_configENS1_25partition_config_selectorILNS1_17partition_subalgoE3EyNS0_10empty_typeEbEEZZNS1_14partition_implILS5_3ELb0ES3_jN6thrust23THRUST_200600_302600_NS6detail15normal_iteratorINSA_7pointerIyNSA_11hip_rocprim3tagENSA_11use_defaultESG_EEEEPS6_SJ_NS0_5tupleIJPySJ_EEENSK_IJSJ_SJ_EEES6_PlJ7is_evenIyEEEE10hipError_tPvRmT3_T4_T5_T6_T7_T9_mT8_P12ihipStream_tbDpT10_ENKUlT_T0_E_clISt17integral_constantIbLb0EES19_IbLb1EEEEDaS15_S16_EUlS15_E_NS1_11comp_targetILNS1_3genE3ELNS1_11target_archE908ELNS1_3gpuE7ELNS1_3repE0EEENS1_30default_config_static_selectorELNS0_4arch9wavefront6targetE1EEEvT1_
	.p2align	8
	.type	_ZN7rocprim17ROCPRIM_400000_NS6detail17trampoline_kernelINS0_14default_configENS1_25partition_config_selectorILNS1_17partition_subalgoE3EyNS0_10empty_typeEbEEZZNS1_14partition_implILS5_3ELb0ES3_jN6thrust23THRUST_200600_302600_NS6detail15normal_iteratorINSA_7pointerIyNSA_11hip_rocprim3tagENSA_11use_defaultESG_EEEEPS6_SJ_NS0_5tupleIJPySJ_EEENSK_IJSJ_SJ_EEES6_PlJ7is_evenIyEEEE10hipError_tPvRmT3_T4_T5_T6_T7_T9_mT8_P12ihipStream_tbDpT10_ENKUlT_T0_E_clISt17integral_constantIbLb0EES19_IbLb1EEEEDaS15_S16_EUlS15_E_NS1_11comp_targetILNS1_3genE3ELNS1_11target_archE908ELNS1_3gpuE7ELNS1_3repE0EEENS1_30default_config_static_selectorELNS0_4arch9wavefront6targetE1EEEvT1_,@function
_ZN7rocprim17ROCPRIM_400000_NS6detail17trampoline_kernelINS0_14default_configENS1_25partition_config_selectorILNS1_17partition_subalgoE3EyNS0_10empty_typeEbEEZZNS1_14partition_implILS5_3ELb0ES3_jN6thrust23THRUST_200600_302600_NS6detail15normal_iteratorINSA_7pointerIyNSA_11hip_rocprim3tagENSA_11use_defaultESG_EEEEPS6_SJ_NS0_5tupleIJPySJ_EEENSK_IJSJ_SJ_EEES6_PlJ7is_evenIyEEEE10hipError_tPvRmT3_T4_T5_T6_T7_T9_mT8_P12ihipStream_tbDpT10_ENKUlT_T0_E_clISt17integral_constantIbLb0EES19_IbLb1EEEEDaS15_S16_EUlS15_E_NS1_11comp_targetILNS1_3genE3ELNS1_11target_archE908ELNS1_3gpuE7ELNS1_3repE0EEENS1_30default_config_static_selectorELNS0_4arch9wavefront6targetE1EEEvT1_: ; @_ZN7rocprim17ROCPRIM_400000_NS6detail17trampoline_kernelINS0_14default_configENS1_25partition_config_selectorILNS1_17partition_subalgoE3EyNS0_10empty_typeEbEEZZNS1_14partition_implILS5_3ELb0ES3_jN6thrust23THRUST_200600_302600_NS6detail15normal_iteratorINSA_7pointerIyNSA_11hip_rocprim3tagENSA_11use_defaultESG_EEEEPS6_SJ_NS0_5tupleIJPySJ_EEENSK_IJSJ_SJ_EEES6_PlJ7is_evenIyEEEE10hipError_tPvRmT3_T4_T5_T6_T7_T9_mT8_P12ihipStream_tbDpT10_ENKUlT_T0_E_clISt17integral_constantIbLb0EES19_IbLb1EEEEDaS15_S16_EUlS15_E_NS1_11comp_targetILNS1_3genE3ELNS1_11target_archE908ELNS1_3gpuE7ELNS1_3repE0EEENS1_30default_config_static_selectorELNS0_4arch9wavefront6targetE1EEEvT1_
; %bb.0:
	.section	.rodata,"a",@progbits
	.p2align	6, 0x0
	.amdhsa_kernel _ZN7rocprim17ROCPRIM_400000_NS6detail17trampoline_kernelINS0_14default_configENS1_25partition_config_selectorILNS1_17partition_subalgoE3EyNS0_10empty_typeEbEEZZNS1_14partition_implILS5_3ELb0ES3_jN6thrust23THRUST_200600_302600_NS6detail15normal_iteratorINSA_7pointerIyNSA_11hip_rocprim3tagENSA_11use_defaultESG_EEEEPS6_SJ_NS0_5tupleIJPySJ_EEENSK_IJSJ_SJ_EEES6_PlJ7is_evenIyEEEE10hipError_tPvRmT3_T4_T5_T6_T7_T9_mT8_P12ihipStream_tbDpT10_ENKUlT_T0_E_clISt17integral_constantIbLb0EES19_IbLb1EEEEDaS15_S16_EUlS15_E_NS1_11comp_targetILNS1_3genE3ELNS1_11target_archE908ELNS1_3gpuE7ELNS1_3repE0EEENS1_30default_config_static_selectorELNS0_4arch9wavefront6targetE1EEEvT1_
		.amdhsa_group_segment_fixed_size 0
		.amdhsa_private_segment_fixed_size 0
		.amdhsa_kernarg_size 136
		.amdhsa_user_sgpr_count 2
		.amdhsa_user_sgpr_dispatch_ptr 0
		.amdhsa_user_sgpr_queue_ptr 0
		.amdhsa_user_sgpr_kernarg_segment_ptr 1
		.amdhsa_user_sgpr_dispatch_id 0
		.amdhsa_user_sgpr_kernarg_preload_length 0
		.amdhsa_user_sgpr_kernarg_preload_offset 0
		.amdhsa_user_sgpr_private_segment_size 0
		.amdhsa_uses_dynamic_stack 0
		.amdhsa_enable_private_segment 0
		.amdhsa_system_sgpr_workgroup_id_x 1
		.amdhsa_system_sgpr_workgroup_id_y 0
		.amdhsa_system_sgpr_workgroup_id_z 0
		.amdhsa_system_sgpr_workgroup_info 0
		.amdhsa_system_vgpr_workitem_id 0
		.amdhsa_next_free_vgpr 1
		.amdhsa_next_free_sgpr 0
		.amdhsa_accum_offset 4
		.amdhsa_reserve_vcc 0
		.amdhsa_float_round_mode_32 0
		.amdhsa_float_round_mode_16_64 0
		.amdhsa_float_denorm_mode_32 3
		.amdhsa_float_denorm_mode_16_64 3
		.amdhsa_dx10_clamp 1
		.amdhsa_ieee_mode 1
		.amdhsa_fp16_overflow 0
		.amdhsa_tg_split 0
		.amdhsa_exception_fp_ieee_invalid_op 0
		.amdhsa_exception_fp_denorm_src 0
		.amdhsa_exception_fp_ieee_div_zero 0
		.amdhsa_exception_fp_ieee_overflow 0
		.amdhsa_exception_fp_ieee_underflow 0
		.amdhsa_exception_fp_ieee_inexact 0
		.amdhsa_exception_int_div_zero 0
	.end_amdhsa_kernel
	.section	.text._ZN7rocprim17ROCPRIM_400000_NS6detail17trampoline_kernelINS0_14default_configENS1_25partition_config_selectorILNS1_17partition_subalgoE3EyNS0_10empty_typeEbEEZZNS1_14partition_implILS5_3ELb0ES3_jN6thrust23THRUST_200600_302600_NS6detail15normal_iteratorINSA_7pointerIyNSA_11hip_rocprim3tagENSA_11use_defaultESG_EEEEPS6_SJ_NS0_5tupleIJPySJ_EEENSK_IJSJ_SJ_EEES6_PlJ7is_evenIyEEEE10hipError_tPvRmT3_T4_T5_T6_T7_T9_mT8_P12ihipStream_tbDpT10_ENKUlT_T0_E_clISt17integral_constantIbLb0EES19_IbLb1EEEEDaS15_S16_EUlS15_E_NS1_11comp_targetILNS1_3genE3ELNS1_11target_archE908ELNS1_3gpuE7ELNS1_3repE0EEENS1_30default_config_static_selectorELNS0_4arch9wavefront6targetE1EEEvT1_,"axG",@progbits,_ZN7rocprim17ROCPRIM_400000_NS6detail17trampoline_kernelINS0_14default_configENS1_25partition_config_selectorILNS1_17partition_subalgoE3EyNS0_10empty_typeEbEEZZNS1_14partition_implILS5_3ELb0ES3_jN6thrust23THRUST_200600_302600_NS6detail15normal_iteratorINSA_7pointerIyNSA_11hip_rocprim3tagENSA_11use_defaultESG_EEEEPS6_SJ_NS0_5tupleIJPySJ_EEENSK_IJSJ_SJ_EEES6_PlJ7is_evenIyEEEE10hipError_tPvRmT3_T4_T5_T6_T7_T9_mT8_P12ihipStream_tbDpT10_ENKUlT_T0_E_clISt17integral_constantIbLb0EES19_IbLb1EEEEDaS15_S16_EUlS15_E_NS1_11comp_targetILNS1_3genE3ELNS1_11target_archE908ELNS1_3gpuE7ELNS1_3repE0EEENS1_30default_config_static_selectorELNS0_4arch9wavefront6targetE1EEEvT1_,comdat
.Lfunc_end701:
	.size	_ZN7rocprim17ROCPRIM_400000_NS6detail17trampoline_kernelINS0_14default_configENS1_25partition_config_selectorILNS1_17partition_subalgoE3EyNS0_10empty_typeEbEEZZNS1_14partition_implILS5_3ELb0ES3_jN6thrust23THRUST_200600_302600_NS6detail15normal_iteratorINSA_7pointerIyNSA_11hip_rocprim3tagENSA_11use_defaultESG_EEEEPS6_SJ_NS0_5tupleIJPySJ_EEENSK_IJSJ_SJ_EEES6_PlJ7is_evenIyEEEE10hipError_tPvRmT3_T4_T5_T6_T7_T9_mT8_P12ihipStream_tbDpT10_ENKUlT_T0_E_clISt17integral_constantIbLb0EES19_IbLb1EEEEDaS15_S16_EUlS15_E_NS1_11comp_targetILNS1_3genE3ELNS1_11target_archE908ELNS1_3gpuE7ELNS1_3repE0EEENS1_30default_config_static_selectorELNS0_4arch9wavefront6targetE1EEEvT1_, .Lfunc_end701-_ZN7rocprim17ROCPRIM_400000_NS6detail17trampoline_kernelINS0_14default_configENS1_25partition_config_selectorILNS1_17partition_subalgoE3EyNS0_10empty_typeEbEEZZNS1_14partition_implILS5_3ELb0ES3_jN6thrust23THRUST_200600_302600_NS6detail15normal_iteratorINSA_7pointerIyNSA_11hip_rocprim3tagENSA_11use_defaultESG_EEEEPS6_SJ_NS0_5tupleIJPySJ_EEENSK_IJSJ_SJ_EEES6_PlJ7is_evenIyEEEE10hipError_tPvRmT3_T4_T5_T6_T7_T9_mT8_P12ihipStream_tbDpT10_ENKUlT_T0_E_clISt17integral_constantIbLb0EES19_IbLb1EEEEDaS15_S16_EUlS15_E_NS1_11comp_targetILNS1_3genE3ELNS1_11target_archE908ELNS1_3gpuE7ELNS1_3repE0EEENS1_30default_config_static_selectorELNS0_4arch9wavefront6targetE1EEEvT1_
                                        ; -- End function
	.section	.AMDGPU.csdata,"",@progbits
; Kernel info:
; codeLenInByte = 0
; NumSgprs: 6
; NumVgprs: 0
; NumAgprs: 0
; TotalNumVgprs: 0
; ScratchSize: 0
; MemoryBound: 0
; FloatMode: 240
; IeeeMode: 1
; LDSByteSize: 0 bytes/workgroup (compile time only)
; SGPRBlocks: 0
; VGPRBlocks: 0
; NumSGPRsForWavesPerEU: 6
; NumVGPRsForWavesPerEU: 1
; AccumOffset: 4
; Occupancy: 8
; WaveLimiterHint : 0
; COMPUTE_PGM_RSRC2:SCRATCH_EN: 0
; COMPUTE_PGM_RSRC2:USER_SGPR: 2
; COMPUTE_PGM_RSRC2:TRAP_HANDLER: 0
; COMPUTE_PGM_RSRC2:TGID_X_EN: 1
; COMPUTE_PGM_RSRC2:TGID_Y_EN: 0
; COMPUTE_PGM_RSRC2:TGID_Z_EN: 0
; COMPUTE_PGM_RSRC2:TIDIG_COMP_CNT: 0
; COMPUTE_PGM_RSRC3_GFX90A:ACCUM_OFFSET: 0
; COMPUTE_PGM_RSRC3_GFX90A:TG_SPLIT: 0
	.section	.text._ZN7rocprim17ROCPRIM_400000_NS6detail17trampoline_kernelINS0_14default_configENS1_25partition_config_selectorILNS1_17partition_subalgoE3EyNS0_10empty_typeEbEEZZNS1_14partition_implILS5_3ELb0ES3_jN6thrust23THRUST_200600_302600_NS6detail15normal_iteratorINSA_7pointerIyNSA_11hip_rocprim3tagENSA_11use_defaultESG_EEEEPS6_SJ_NS0_5tupleIJPySJ_EEENSK_IJSJ_SJ_EEES6_PlJ7is_evenIyEEEE10hipError_tPvRmT3_T4_T5_T6_T7_T9_mT8_P12ihipStream_tbDpT10_ENKUlT_T0_E_clISt17integral_constantIbLb0EES19_IbLb1EEEEDaS15_S16_EUlS15_E_NS1_11comp_targetILNS1_3genE2ELNS1_11target_archE906ELNS1_3gpuE6ELNS1_3repE0EEENS1_30default_config_static_selectorELNS0_4arch9wavefront6targetE1EEEvT1_,"axG",@progbits,_ZN7rocprim17ROCPRIM_400000_NS6detail17trampoline_kernelINS0_14default_configENS1_25partition_config_selectorILNS1_17partition_subalgoE3EyNS0_10empty_typeEbEEZZNS1_14partition_implILS5_3ELb0ES3_jN6thrust23THRUST_200600_302600_NS6detail15normal_iteratorINSA_7pointerIyNSA_11hip_rocprim3tagENSA_11use_defaultESG_EEEEPS6_SJ_NS0_5tupleIJPySJ_EEENSK_IJSJ_SJ_EEES6_PlJ7is_evenIyEEEE10hipError_tPvRmT3_T4_T5_T6_T7_T9_mT8_P12ihipStream_tbDpT10_ENKUlT_T0_E_clISt17integral_constantIbLb0EES19_IbLb1EEEEDaS15_S16_EUlS15_E_NS1_11comp_targetILNS1_3genE2ELNS1_11target_archE906ELNS1_3gpuE6ELNS1_3repE0EEENS1_30default_config_static_selectorELNS0_4arch9wavefront6targetE1EEEvT1_,comdat
	.protected	_ZN7rocprim17ROCPRIM_400000_NS6detail17trampoline_kernelINS0_14default_configENS1_25partition_config_selectorILNS1_17partition_subalgoE3EyNS0_10empty_typeEbEEZZNS1_14partition_implILS5_3ELb0ES3_jN6thrust23THRUST_200600_302600_NS6detail15normal_iteratorINSA_7pointerIyNSA_11hip_rocprim3tagENSA_11use_defaultESG_EEEEPS6_SJ_NS0_5tupleIJPySJ_EEENSK_IJSJ_SJ_EEES6_PlJ7is_evenIyEEEE10hipError_tPvRmT3_T4_T5_T6_T7_T9_mT8_P12ihipStream_tbDpT10_ENKUlT_T0_E_clISt17integral_constantIbLb0EES19_IbLb1EEEEDaS15_S16_EUlS15_E_NS1_11comp_targetILNS1_3genE2ELNS1_11target_archE906ELNS1_3gpuE6ELNS1_3repE0EEENS1_30default_config_static_selectorELNS0_4arch9wavefront6targetE1EEEvT1_ ; -- Begin function _ZN7rocprim17ROCPRIM_400000_NS6detail17trampoline_kernelINS0_14default_configENS1_25partition_config_selectorILNS1_17partition_subalgoE3EyNS0_10empty_typeEbEEZZNS1_14partition_implILS5_3ELb0ES3_jN6thrust23THRUST_200600_302600_NS6detail15normal_iteratorINSA_7pointerIyNSA_11hip_rocprim3tagENSA_11use_defaultESG_EEEEPS6_SJ_NS0_5tupleIJPySJ_EEENSK_IJSJ_SJ_EEES6_PlJ7is_evenIyEEEE10hipError_tPvRmT3_T4_T5_T6_T7_T9_mT8_P12ihipStream_tbDpT10_ENKUlT_T0_E_clISt17integral_constantIbLb0EES19_IbLb1EEEEDaS15_S16_EUlS15_E_NS1_11comp_targetILNS1_3genE2ELNS1_11target_archE906ELNS1_3gpuE6ELNS1_3repE0EEENS1_30default_config_static_selectorELNS0_4arch9wavefront6targetE1EEEvT1_
	.globl	_ZN7rocprim17ROCPRIM_400000_NS6detail17trampoline_kernelINS0_14default_configENS1_25partition_config_selectorILNS1_17partition_subalgoE3EyNS0_10empty_typeEbEEZZNS1_14partition_implILS5_3ELb0ES3_jN6thrust23THRUST_200600_302600_NS6detail15normal_iteratorINSA_7pointerIyNSA_11hip_rocprim3tagENSA_11use_defaultESG_EEEEPS6_SJ_NS0_5tupleIJPySJ_EEENSK_IJSJ_SJ_EEES6_PlJ7is_evenIyEEEE10hipError_tPvRmT3_T4_T5_T6_T7_T9_mT8_P12ihipStream_tbDpT10_ENKUlT_T0_E_clISt17integral_constantIbLb0EES19_IbLb1EEEEDaS15_S16_EUlS15_E_NS1_11comp_targetILNS1_3genE2ELNS1_11target_archE906ELNS1_3gpuE6ELNS1_3repE0EEENS1_30default_config_static_selectorELNS0_4arch9wavefront6targetE1EEEvT1_
	.p2align	8
	.type	_ZN7rocprim17ROCPRIM_400000_NS6detail17trampoline_kernelINS0_14default_configENS1_25partition_config_selectorILNS1_17partition_subalgoE3EyNS0_10empty_typeEbEEZZNS1_14partition_implILS5_3ELb0ES3_jN6thrust23THRUST_200600_302600_NS6detail15normal_iteratorINSA_7pointerIyNSA_11hip_rocprim3tagENSA_11use_defaultESG_EEEEPS6_SJ_NS0_5tupleIJPySJ_EEENSK_IJSJ_SJ_EEES6_PlJ7is_evenIyEEEE10hipError_tPvRmT3_T4_T5_T6_T7_T9_mT8_P12ihipStream_tbDpT10_ENKUlT_T0_E_clISt17integral_constantIbLb0EES19_IbLb1EEEEDaS15_S16_EUlS15_E_NS1_11comp_targetILNS1_3genE2ELNS1_11target_archE906ELNS1_3gpuE6ELNS1_3repE0EEENS1_30default_config_static_selectorELNS0_4arch9wavefront6targetE1EEEvT1_,@function
_ZN7rocprim17ROCPRIM_400000_NS6detail17trampoline_kernelINS0_14default_configENS1_25partition_config_selectorILNS1_17partition_subalgoE3EyNS0_10empty_typeEbEEZZNS1_14partition_implILS5_3ELb0ES3_jN6thrust23THRUST_200600_302600_NS6detail15normal_iteratorINSA_7pointerIyNSA_11hip_rocprim3tagENSA_11use_defaultESG_EEEEPS6_SJ_NS0_5tupleIJPySJ_EEENSK_IJSJ_SJ_EEES6_PlJ7is_evenIyEEEE10hipError_tPvRmT3_T4_T5_T6_T7_T9_mT8_P12ihipStream_tbDpT10_ENKUlT_T0_E_clISt17integral_constantIbLb0EES19_IbLb1EEEEDaS15_S16_EUlS15_E_NS1_11comp_targetILNS1_3genE2ELNS1_11target_archE906ELNS1_3gpuE6ELNS1_3repE0EEENS1_30default_config_static_selectorELNS0_4arch9wavefront6targetE1EEEvT1_: ; @_ZN7rocprim17ROCPRIM_400000_NS6detail17trampoline_kernelINS0_14default_configENS1_25partition_config_selectorILNS1_17partition_subalgoE3EyNS0_10empty_typeEbEEZZNS1_14partition_implILS5_3ELb0ES3_jN6thrust23THRUST_200600_302600_NS6detail15normal_iteratorINSA_7pointerIyNSA_11hip_rocprim3tagENSA_11use_defaultESG_EEEEPS6_SJ_NS0_5tupleIJPySJ_EEENSK_IJSJ_SJ_EEES6_PlJ7is_evenIyEEEE10hipError_tPvRmT3_T4_T5_T6_T7_T9_mT8_P12ihipStream_tbDpT10_ENKUlT_T0_E_clISt17integral_constantIbLb0EES19_IbLb1EEEEDaS15_S16_EUlS15_E_NS1_11comp_targetILNS1_3genE2ELNS1_11target_archE906ELNS1_3gpuE6ELNS1_3repE0EEENS1_30default_config_static_selectorELNS0_4arch9wavefront6targetE1EEEvT1_
; %bb.0:
	.section	.rodata,"a",@progbits
	.p2align	6, 0x0
	.amdhsa_kernel _ZN7rocprim17ROCPRIM_400000_NS6detail17trampoline_kernelINS0_14default_configENS1_25partition_config_selectorILNS1_17partition_subalgoE3EyNS0_10empty_typeEbEEZZNS1_14partition_implILS5_3ELb0ES3_jN6thrust23THRUST_200600_302600_NS6detail15normal_iteratorINSA_7pointerIyNSA_11hip_rocprim3tagENSA_11use_defaultESG_EEEEPS6_SJ_NS0_5tupleIJPySJ_EEENSK_IJSJ_SJ_EEES6_PlJ7is_evenIyEEEE10hipError_tPvRmT3_T4_T5_T6_T7_T9_mT8_P12ihipStream_tbDpT10_ENKUlT_T0_E_clISt17integral_constantIbLb0EES19_IbLb1EEEEDaS15_S16_EUlS15_E_NS1_11comp_targetILNS1_3genE2ELNS1_11target_archE906ELNS1_3gpuE6ELNS1_3repE0EEENS1_30default_config_static_selectorELNS0_4arch9wavefront6targetE1EEEvT1_
		.amdhsa_group_segment_fixed_size 0
		.amdhsa_private_segment_fixed_size 0
		.amdhsa_kernarg_size 136
		.amdhsa_user_sgpr_count 2
		.amdhsa_user_sgpr_dispatch_ptr 0
		.amdhsa_user_sgpr_queue_ptr 0
		.amdhsa_user_sgpr_kernarg_segment_ptr 1
		.amdhsa_user_sgpr_dispatch_id 0
		.amdhsa_user_sgpr_kernarg_preload_length 0
		.amdhsa_user_sgpr_kernarg_preload_offset 0
		.amdhsa_user_sgpr_private_segment_size 0
		.amdhsa_uses_dynamic_stack 0
		.amdhsa_enable_private_segment 0
		.amdhsa_system_sgpr_workgroup_id_x 1
		.amdhsa_system_sgpr_workgroup_id_y 0
		.amdhsa_system_sgpr_workgroup_id_z 0
		.amdhsa_system_sgpr_workgroup_info 0
		.amdhsa_system_vgpr_workitem_id 0
		.amdhsa_next_free_vgpr 1
		.amdhsa_next_free_sgpr 0
		.amdhsa_accum_offset 4
		.amdhsa_reserve_vcc 0
		.amdhsa_float_round_mode_32 0
		.amdhsa_float_round_mode_16_64 0
		.amdhsa_float_denorm_mode_32 3
		.amdhsa_float_denorm_mode_16_64 3
		.amdhsa_dx10_clamp 1
		.amdhsa_ieee_mode 1
		.amdhsa_fp16_overflow 0
		.amdhsa_tg_split 0
		.amdhsa_exception_fp_ieee_invalid_op 0
		.amdhsa_exception_fp_denorm_src 0
		.amdhsa_exception_fp_ieee_div_zero 0
		.amdhsa_exception_fp_ieee_overflow 0
		.amdhsa_exception_fp_ieee_underflow 0
		.amdhsa_exception_fp_ieee_inexact 0
		.amdhsa_exception_int_div_zero 0
	.end_amdhsa_kernel
	.section	.text._ZN7rocprim17ROCPRIM_400000_NS6detail17trampoline_kernelINS0_14default_configENS1_25partition_config_selectorILNS1_17partition_subalgoE3EyNS0_10empty_typeEbEEZZNS1_14partition_implILS5_3ELb0ES3_jN6thrust23THRUST_200600_302600_NS6detail15normal_iteratorINSA_7pointerIyNSA_11hip_rocprim3tagENSA_11use_defaultESG_EEEEPS6_SJ_NS0_5tupleIJPySJ_EEENSK_IJSJ_SJ_EEES6_PlJ7is_evenIyEEEE10hipError_tPvRmT3_T4_T5_T6_T7_T9_mT8_P12ihipStream_tbDpT10_ENKUlT_T0_E_clISt17integral_constantIbLb0EES19_IbLb1EEEEDaS15_S16_EUlS15_E_NS1_11comp_targetILNS1_3genE2ELNS1_11target_archE906ELNS1_3gpuE6ELNS1_3repE0EEENS1_30default_config_static_selectorELNS0_4arch9wavefront6targetE1EEEvT1_,"axG",@progbits,_ZN7rocprim17ROCPRIM_400000_NS6detail17trampoline_kernelINS0_14default_configENS1_25partition_config_selectorILNS1_17partition_subalgoE3EyNS0_10empty_typeEbEEZZNS1_14partition_implILS5_3ELb0ES3_jN6thrust23THRUST_200600_302600_NS6detail15normal_iteratorINSA_7pointerIyNSA_11hip_rocprim3tagENSA_11use_defaultESG_EEEEPS6_SJ_NS0_5tupleIJPySJ_EEENSK_IJSJ_SJ_EEES6_PlJ7is_evenIyEEEE10hipError_tPvRmT3_T4_T5_T6_T7_T9_mT8_P12ihipStream_tbDpT10_ENKUlT_T0_E_clISt17integral_constantIbLb0EES19_IbLb1EEEEDaS15_S16_EUlS15_E_NS1_11comp_targetILNS1_3genE2ELNS1_11target_archE906ELNS1_3gpuE6ELNS1_3repE0EEENS1_30default_config_static_selectorELNS0_4arch9wavefront6targetE1EEEvT1_,comdat
.Lfunc_end702:
	.size	_ZN7rocprim17ROCPRIM_400000_NS6detail17trampoline_kernelINS0_14default_configENS1_25partition_config_selectorILNS1_17partition_subalgoE3EyNS0_10empty_typeEbEEZZNS1_14partition_implILS5_3ELb0ES3_jN6thrust23THRUST_200600_302600_NS6detail15normal_iteratorINSA_7pointerIyNSA_11hip_rocprim3tagENSA_11use_defaultESG_EEEEPS6_SJ_NS0_5tupleIJPySJ_EEENSK_IJSJ_SJ_EEES6_PlJ7is_evenIyEEEE10hipError_tPvRmT3_T4_T5_T6_T7_T9_mT8_P12ihipStream_tbDpT10_ENKUlT_T0_E_clISt17integral_constantIbLb0EES19_IbLb1EEEEDaS15_S16_EUlS15_E_NS1_11comp_targetILNS1_3genE2ELNS1_11target_archE906ELNS1_3gpuE6ELNS1_3repE0EEENS1_30default_config_static_selectorELNS0_4arch9wavefront6targetE1EEEvT1_, .Lfunc_end702-_ZN7rocprim17ROCPRIM_400000_NS6detail17trampoline_kernelINS0_14default_configENS1_25partition_config_selectorILNS1_17partition_subalgoE3EyNS0_10empty_typeEbEEZZNS1_14partition_implILS5_3ELb0ES3_jN6thrust23THRUST_200600_302600_NS6detail15normal_iteratorINSA_7pointerIyNSA_11hip_rocprim3tagENSA_11use_defaultESG_EEEEPS6_SJ_NS0_5tupleIJPySJ_EEENSK_IJSJ_SJ_EEES6_PlJ7is_evenIyEEEE10hipError_tPvRmT3_T4_T5_T6_T7_T9_mT8_P12ihipStream_tbDpT10_ENKUlT_T0_E_clISt17integral_constantIbLb0EES19_IbLb1EEEEDaS15_S16_EUlS15_E_NS1_11comp_targetILNS1_3genE2ELNS1_11target_archE906ELNS1_3gpuE6ELNS1_3repE0EEENS1_30default_config_static_selectorELNS0_4arch9wavefront6targetE1EEEvT1_
                                        ; -- End function
	.section	.AMDGPU.csdata,"",@progbits
; Kernel info:
; codeLenInByte = 0
; NumSgprs: 6
; NumVgprs: 0
; NumAgprs: 0
; TotalNumVgprs: 0
; ScratchSize: 0
; MemoryBound: 0
; FloatMode: 240
; IeeeMode: 1
; LDSByteSize: 0 bytes/workgroup (compile time only)
; SGPRBlocks: 0
; VGPRBlocks: 0
; NumSGPRsForWavesPerEU: 6
; NumVGPRsForWavesPerEU: 1
; AccumOffset: 4
; Occupancy: 8
; WaveLimiterHint : 0
; COMPUTE_PGM_RSRC2:SCRATCH_EN: 0
; COMPUTE_PGM_RSRC2:USER_SGPR: 2
; COMPUTE_PGM_RSRC2:TRAP_HANDLER: 0
; COMPUTE_PGM_RSRC2:TGID_X_EN: 1
; COMPUTE_PGM_RSRC2:TGID_Y_EN: 0
; COMPUTE_PGM_RSRC2:TGID_Z_EN: 0
; COMPUTE_PGM_RSRC2:TIDIG_COMP_CNT: 0
; COMPUTE_PGM_RSRC3_GFX90A:ACCUM_OFFSET: 0
; COMPUTE_PGM_RSRC3_GFX90A:TG_SPLIT: 0
	.section	.text._ZN7rocprim17ROCPRIM_400000_NS6detail17trampoline_kernelINS0_14default_configENS1_25partition_config_selectorILNS1_17partition_subalgoE3EyNS0_10empty_typeEbEEZZNS1_14partition_implILS5_3ELb0ES3_jN6thrust23THRUST_200600_302600_NS6detail15normal_iteratorINSA_7pointerIyNSA_11hip_rocprim3tagENSA_11use_defaultESG_EEEEPS6_SJ_NS0_5tupleIJPySJ_EEENSK_IJSJ_SJ_EEES6_PlJ7is_evenIyEEEE10hipError_tPvRmT3_T4_T5_T6_T7_T9_mT8_P12ihipStream_tbDpT10_ENKUlT_T0_E_clISt17integral_constantIbLb0EES19_IbLb1EEEEDaS15_S16_EUlS15_E_NS1_11comp_targetILNS1_3genE10ELNS1_11target_archE1200ELNS1_3gpuE4ELNS1_3repE0EEENS1_30default_config_static_selectorELNS0_4arch9wavefront6targetE1EEEvT1_,"axG",@progbits,_ZN7rocprim17ROCPRIM_400000_NS6detail17trampoline_kernelINS0_14default_configENS1_25partition_config_selectorILNS1_17partition_subalgoE3EyNS0_10empty_typeEbEEZZNS1_14partition_implILS5_3ELb0ES3_jN6thrust23THRUST_200600_302600_NS6detail15normal_iteratorINSA_7pointerIyNSA_11hip_rocprim3tagENSA_11use_defaultESG_EEEEPS6_SJ_NS0_5tupleIJPySJ_EEENSK_IJSJ_SJ_EEES6_PlJ7is_evenIyEEEE10hipError_tPvRmT3_T4_T5_T6_T7_T9_mT8_P12ihipStream_tbDpT10_ENKUlT_T0_E_clISt17integral_constantIbLb0EES19_IbLb1EEEEDaS15_S16_EUlS15_E_NS1_11comp_targetILNS1_3genE10ELNS1_11target_archE1200ELNS1_3gpuE4ELNS1_3repE0EEENS1_30default_config_static_selectorELNS0_4arch9wavefront6targetE1EEEvT1_,comdat
	.protected	_ZN7rocprim17ROCPRIM_400000_NS6detail17trampoline_kernelINS0_14default_configENS1_25partition_config_selectorILNS1_17partition_subalgoE3EyNS0_10empty_typeEbEEZZNS1_14partition_implILS5_3ELb0ES3_jN6thrust23THRUST_200600_302600_NS6detail15normal_iteratorINSA_7pointerIyNSA_11hip_rocprim3tagENSA_11use_defaultESG_EEEEPS6_SJ_NS0_5tupleIJPySJ_EEENSK_IJSJ_SJ_EEES6_PlJ7is_evenIyEEEE10hipError_tPvRmT3_T4_T5_T6_T7_T9_mT8_P12ihipStream_tbDpT10_ENKUlT_T0_E_clISt17integral_constantIbLb0EES19_IbLb1EEEEDaS15_S16_EUlS15_E_NS1_11comp_targetILNS1_3genE10ELNS1_11target_archE1200ELNS1_3gpuE4ELNS1_3repE0EEENS1_30default_config_static_selectorELNS0_4arch9wavefront6targetE1EEEvT1_ ; -- Begin function _ZN7rocprim17ROCPRIM_400000_NS6detail17trampoline_kernelINS0_14default_configENS1_25partition_config_selectorILNS1_17partition_subalgoE3EyNS0_10empty_typeEbEEZZNS1_14partition_implILS5_3ELb0ES3_jN6thrust23THRUST_200600_302600_NS6detail15normal_iteratorINSA_7pointerIyNSA_11hip_rocprim3tagENSA_11use_defaultESG_EEEEPS6_SJ_NS0_5tupleIJPySJ_EEENSK_IJSJ_SJ_EEES6_PlJ7is_evenIyEEEE10hipError_tPvRmT3_T4_T5_T6_T7_T9_mT8_P12ihipStream_tbDpT10_ENKUlT_T0_E_clISt17integral_constantIbLb0EES19_IbLb1EEEEDaS15_S16_EUlS15_E_NS1_11comp_targetILNS1_3genE10ELNS1_11target_archE1200ELNS1_3gpuE4ELNS1_3repE0EEENS1_30default_config_static_selectorELNS0_4arch9wavefront6targetE1EEEvT1_
	.globl	_ZN7rocprim17ROCPRIM_400000_NS6detail17trampoline_kernelINS0_14default_configENS1_25partition_config_selectorILNS1_17partition_subalgoE3EyNS0_10empty_typeEbEEZZNS1_14partition_implILS5_3ELb0ES3_jN6thrust23THRUST_200600_302600_NS6detail15normal_iteratorINSA_7pointerIyNSA_11hip_rocprim3tagENSA_11use_defaultESG_EEEEPS6_SJ_NS0_5tupleIJPySJ_EEENSK_IJSJ_SJ_EEES6_PlJ7is_evenIyEEEE10hipError_tPvRmT3_T4_T5_T6_T7_T9_mT8_P12ihipStream_tbDpT10_ENKUlT_T0_E_clISt17integral_constantIbLb0EES19_IbLb1EEEEDaS15_S16_EUlS15_E_NS1_11comp_targetILNS1_3genE10ELNS1_11target_archE1200ELNS1_3gpuE4ELNS1_3repE0EEENS1_30default_config_static_selectorELNS0_4arch9wavefront6targetE1EEEvT1_
	.p2align	8
	.type	_ZN7rocprim17ROCPRIM_400000_NS6detail17trampoline_kernelINS0_14default_configENS1_25partition_config_selectorILNS1_17partition_subalgoE3EyNS0_10empty_typeEbEEZZNS1_14partition_implILS5_3ELb0ES3_jN6thrust23THRUST_200600_302600_NS6detail15normal_iteratorINSA_7pointerIyNSA_11hip_rocprim3tagENSA_11use_defaultESG_EEEEPS6_SJ_NS0_5tupleIJPySJ_EEENSK_IJSJ_SJ_EEES6_PlJ7is_evenIyEEEE10hipError_tPvRmT3_T4_T5_T6_T7_T9_mT8_P12ihipStream_tbDpT10_ENKUlT_T0_E_clISt17integral_constantIbLb0EES19_IbLb1EEEEDaS15_S16_EUlS15_E_NS1_11comp_targetILNS1_3genE10ELNS1_11target_archE1200ELNS1_3gpuE4ELNS1_3repE0EEENS1_30default_config_static_selectorELNS0_4arch9wavefront6targetE1EEEvT1_,@function
_ZN7rocprim17ROCPRIM_400000_NS6detail17trampoline_kernelINS0_14default_configENS1_25partition_config_selectorILNS1_17partition_subalgoE3EyNS0_10empty_typeEbEEZZNS1_14partition_implILS5_3ELb0ES3_jN6thrust23THRUST_200600_302600_NS6detail15normal_iteratorINSA_7pointerIyNSA_11hip_rocprim3tagENSA_11use_defaultESG_EEEEPS6_SJ_NS0_5tupleIJPySJ_EEENSK_IJSJ_SJ_EEES6_PlJ7is_evenIyEEEE10hipError_tPvRmT3_T4_T5_T6_T7_T9_mT8_P12ihipStream_tbDpT10_ENKUlT_T0_E_clISt17integral_constantIbLb0EES19_IbLb1EEEEDaS15_S16_EUlS15_E_NS1_11comp_targetILNS1_3genE10ELNS1_11target_archE1200ELNS1_3gpuE4ELNS1_3repE0EEENS1_30default_config_static_selectorELNS0_4arch9wavefront6targetE1EEEvT1_: ; @_ZN7rocprim17ROCPRIM_400000_NS6detail17trampoline_kernelINS0_14default_configENS1_25partition_config_selectorILNS1_17partition_subalgoE3EyNS0_10empty_typeEbEEZZNS1_14partition_implILS5_3ELb0ES3_jN6thrust23THRUST_200600_302600_NS6detail15normal_iteratorINSA_7pointerIyNSA_11hip_rocprim3tagENSA_11use_defaultESG_EEEEPS6_SJ_NS0_5tupleIJPySJ_EEENSK_IJSJ_SJ_EEES6_PlJ7is_evenIyEEEE10hipError_tPvRmT3_T4_T5_T6_T7_T9_mT8_P12ihipStream_tbDpT10_ENKUlT_T0_E_clISt17integral_constantIbLb0EES19_IbLb1EEEEDaS15_S16_EUlS15_E_NS1_11comp_targetILNS1_3genE10ELNS1_11target_archE1200ELNS1_3gpuE4ELNS1_3repE0EEENS1_30default_config_static_selectorELNS0_4arch9wavefront6targetE1EEEvT1_
; %bb.0:
	.section	.rodata,"a",@progbits
	.p2align	6, 0x0
	.amdhsa_kernel _ZN7rocprim17ROCPRIM_400000_NS6detail17trampoline_kernelINS0_14default_configENS1_25partition_config_selectorILNS1_17partition_subalgoE3EyNS0_10empty_typeEbEEZZNS1_14partition_implILS5_3ELb0ES3_jN6thrust23THRUST_200600_302600_NS6detail15normal_iteratorINSA_7pointerIyNSA_11hip_rocprim3tagENSA_11use_defaultESG_EEEEPS6_SJ_NS0_5tupleIJPySJ_EEENSK_IJSJ_SJ_EEES6_PlJ7is_evenIyEEEE10hipError_tPvRmT3_T4_T5_T6_T7_T9_mT8_P12ihipStream_tbDpT10_ENKUlT_T0_E_clISt17integral_constantIbLb0EES19_IbLb1EEEEDaS15_S16_EUlS15_E_NS1_11comp_targetILNS1_3genE10ELNS1_11target_archE1200ELNS1_3gpuE4ELNS1_3repE0EEENS1_30default_config_static_selectorELNS0_4arch9wavefront6targetE1EEEvT1_
		.amdhsa_group_segment_fixed_size 0
		.amdhsa_private_segment_fixed_size 0
		.amdhsa_kernarg_size 136
		.amdhsa_user_sgpr_count 2
		.amdhsa_user_sgpr_dispatch_ptr 0
		.amdhsa_user_sgpr_queue_ptr 0
		.amdhsa_user_sgpr_kernarg_segment_ptr 1
		.amdhsa_user_sgpr_dispatch_id 0
		.amdhsa_user_sgpr_kernarg_preload_length 0
		.amdhsa_user_sgpr_kernarg_preload_offset 0
		.amdhsa_user_sgpr_private_segment_size 0
		.amdhsa_uses_dynamic_stack 0
		.amdhsa_enable_private_segment 0
		.amdhsa_system_sgpr_workgroup_id_x 1
		.amdhsa_system_sgpr_workgroup_id_y 0
		.amdhsa_system_sgpr_workgroup_id_z 0
		.amdhsa_system_sgpr_workgroup_info 0
		.amdhsa_system_vgpr_workitem_id 0
		.amdhsa_next_free_vgpr 1
		.amdhsa_next_free_sgpr 0
		.amdhsa_accum_offset 4
		.amdhsa_reserve_vcc 0
		.amdhsa_float_round_mode_32 0
		.amdhsa_float_round_mode_16_64 0
		.amdhsa_float_denorm_mode_32 3
		.amdhsa_float_denorm_mode_16_64 3
		.amdhsa_dx10_clamp 1
		.amdhsa_ieee_mode 1
		.amdhsa_fp16_overflow 0
		.amdhsa_tg_split 0
		.amdhsa_exception_fp_ieee_invalid_op 0
		.amdhsa_exception_fp_denorm_src 0
		.amdhsa_exception_fp_ieee_div_zero 0
		.amdhsa_exception_fp_ieee_overflow 0
		.amdhsa_exception_fp_ieee_underflow 0
		.amdhsa_exception_fp_ieee_inexact 0
		.amdhsa_exception_int_div_zero 0
	.end_amdhsa_kernel
	.section	.text._ZN7rocprim17ROCPRIM_400000_NS6detail17trampoline_kernelINS0_14default_configENS1_25partition_config_selectorILNS1_17partition_subalgoE3EyNS0_10empty_typeEbEEZZNS1_14partition_implILS5_3ELb0ES3_jN6thrust23THRUST_200600_302600_NS6detail15normal_iteratorINSA_7pointerIyNSA_11hip_rocprim3tagENSA_11use_defaultESG_EEEEPS6_SJ_NS0_5tupleIJPySJ_EEENSK_IJSJ_SJ_EEES6_PlJ7is_evenIyEEEE10hipError_tPvRmT3_T4_T5_T6_T7_T9_mT8_P12ihipStream_tbDpT10_ENKUlT_T0_E_clISt17integral_constantIbLb0EES19_IbLb1EEEEDaS15_S16_EUlS15_E_NS1_11comp_targetILNS1_3genE10ELNS1_11target_archE1200ELNS1_3gpuE4ELNS1_3repE0EEENS1_30default_config_static_selectorELNS0_4arch9wavefront6targetE1EEEvT1_,"axG",@progbits,_ZN7rocprim17ROCPRIM_400000_NS6detail17trampoline_kernelINS0_14default_configENS1_25partition_config_selectorILNS1_17partition_subalgoE3EyNS0_10empty_typeEbEEZZNS1_14partition_implILS5_3ELb0ES3_jN6thrust23THRUST_200600_302600_NS6detail15normal_iteratorINSA_7pointerIyNSA_11hip_rocprim3tagENSA_11use_defaultESG_EEEEPS6_SJ_NS0_5tupleIJPySJ_EEENSK_IJSJ_SJ_EEES6_PlJ7is_evenIyEEEE10hipError_tPvRmT3_T4_T5_T6_T7_T9_mT8_P12ihipStream_tbDpT10_ENKUlT_T0_E_clISt17integral_constantIbLb0EES19_IbLb1EEEEDaS15_S16_EUlS15_E_NS1_11comp_targetILNS1_3genE10ELNS1_11target_archE1200ELNS1_3gpuE4ELNS1_3repE0EEENS1_30default_config_static_selectorELNS0_4arch9wavefront6targetE1EEEvT1_,comdat
.Lfunc_end703:
	.size	_ZN7rocprim17ROCPRIM_400000_NS6detail17trampoline_kernelINS0_14default_configENS1_25partition_config_selectorILNS1_17partition_subalgoE3EyNS0_10empty_typeEbEEZZNS1_14partition_implILS5_3ELb0ES3_jN6thrust23THRUST_200600_302600_NS6detail15normal_iteratorINSA_7pointerIyNSA_11hip_rocprim3tagENSA_11use_defaultESG_EEEEPS6_SJ_NS0_5tupleIJPySJ_EEENSK_IJSJ_SJ_EEES6_PlJ7is_evenIyEEEE10hipError_tPvRmT3_T4_T5_T6_T7_T9_mT8_P12ihipStream_tbDpT10_ENKUlT_T0_E_clISt17integral_constantIbLb0EES19_IbLb1EEEEDaS15_S16_EUlS15_E_NS1_11comp_targetILNS1_3genE10ELNS1_11target_archE1200ELNS1_3gpuE4ELNS1_3repE0EEENS1_30default_config_static_selectorELNS0_4arch9wavefront6targetE1EEEvT1_, .Lfunc_end703-_ZN7rocprim17ROCPRIM_400000_NS6detail17trampoline_kernelINS0_14default_configENS1_25partition_config_selectorILNS1_17partition_subalgoE3EyNS0_10empty_typeEbEEZZNS1_14partition_implILS5_3ELb0ES3_jN6thrust23THRUST_200600_302600_NS6detail15normal_iteratorINSA_7pointerIyNSA_11hip_rocprim3tagENSA_11use_defaultESG_EEEEPS6_SJ_NS0_5tupleIJPySJ_EEENSK_IJSJ_SJ_EEES6_PlJ7is_evenIyEEEE10hipError_tPvRmT3_T4_T5_T6_T7_T9_mT8_P12ihipStream_tbDpT10_ENKUlT_T0_E_clISt17integral_constantIbLb0EES19_IbLb1EEEEDaS15_S16_EUlS15_E_NS1_11comp_targetILNS1_3genE10ELNS1_11target_archE1200ELNS1_3gpuE4ELNS1_3repE0EEENS1_30default_config_static_selectorELNS0_4arch9wavefront6targetE1EEEvT1_
                                        ; -- End function
	.section	.AMDGPU.csdata,"",@progbits
; Kernel info:
; codeLenInByte = 0
; NumSgprs: 6
; NumVgprs: 0
; NumAgprs: 0
; TotalNumVgprs: 0
; ScratchSize: 0
; MemoryBound: 0
; FloatMode: 240
; IeeeMode: 1
; LDSByteSize: 0 bytes/workgroup (compile time only)
; SGPRBlocks: 0
; VGPRBlocks: 0
; NumSGPRsForWavesPerEU: 6
; NumVGPRsForWavesPerEU: 1
; AccumOffset: 4
; Occupancy: 8
; WaveLimiterHint : 0
; COMPUTE_PGM_RSRC2:SCRATCH_EN: 0
; COMPUTE_PGM_RSRC2:USER_SGPR: 2
; COMPUTE_PGM_RSRC2:TRAP_HANDLER: 0
; COMPUTE_PGM_RSRC2:TGID_X_EN: 1
; COMPUTE_PGM_RSRC2:TGID_Y_EN: 0
; COMPUTE_PGM_RSRC2:TGID_Z_EN: 0
; COMPUTE_PGM_RSRC2:TIDIG_COMP_CNT: 0
; COMPUTE_PGM_RSRC3_GFX90A:ACCUM_OFFSET: 0
; COMPUTE_PGM_RSRC3_GFX90A:TG_SPLIT: 0
	.section	.text._ZN7rocprim17ROCPRIM_400000_NS6detail17trampoline_kernelINS0_14default_configENS1_25partition_config_selectorILNS1_17partition_subalgoE3EyNS0_10empty_typeEbEEZZNS1_14partition_implILS5_3ELb0ES3_jN6thrust23THRUST_200600_302600_NS6detail15normal_iteratorINSA_7pointerIyNSA_11hip_rocprim3tagENSA_11use_defaultESG_EEEEPS6_SJ_NS0_5tupleIJPySJ_EEENSK_IJSJ_SJ_EEES6_PlJ7is_evenIyEEEE10hipError_tPvRmT3_T4_T5_T6_T7_T9_mT8_P12ihipStream_tbDpT10_ENKUlT_T0_E_clISt17integral_constantIbLb0EES19_IbLb1EEEEDaS15_S16_EUlS15_E_NS1_11comp_targetILNS1_3genE9ELNS1_11target_archE1100ELNS1_3gpuE3ELNS1_3repE0EEENS1_30default_config_static_selectorELNS0_4arch9wavefront6targetE1EEEvT1_,"axG",@progbits,_ZN7rocprim17ROCPRIM_400000_NS6detail17trampoline_kernelINS0_14default_configENS1_25partition_config_selectorILNS1_17partition_subalgoE3EyNS0_10empty_typeEbEEZZNS1_14partition_implILS5_3ELb0ES3_jN6thrust23THRUST_200600_302600_NS6detail15normal_iteratorINSA_7pointerIyNSA_11hip_rocprim3tagENSA_11use_defaultESG_EEEEPS6_SJ_NS0_5tupleIJPySJ_EEENSK_IJSJ_SJ_EEES6_PlJ7is_evenIyEEEE10hipError_tPvRmT3_T4_T5_T6_T7_T9_mT8_P12ihipStream_tbDpT10_ENKUlT_T0_E_clISt17integral_constantIbLb0EES19_IbLb1EEEEDaS15_S16_EUlS15_E_NS1_11comp_targetILNS1_3genE9ELNS1_11target_archE1100ELNS1_3gpuE3ELNS1_3repE0EEENS1_30default_config_static_selectorELNS0_4arch9wavefront6targetE1EEEvT1_,comdat
	.protected	_ZN7rocprim17ROCPRIM_400000_NS6detail17trampoline_kernelINS0_14default_configENS1_25partition_config_selectorILNS1_17partition_subalgoE3EyNS0_10empty_typeEbEEZZNS1_14partition_implILS5_3ELb0ES3_jN6thrust23THRUST_200600_302600_NS6detail15normal_iteratorINSA_7pointerIyNSA_11hip_rocprim3tagENSA_11use_defaultESG_EEEEPS6_SJ_NS0_5tupleIJPySJ_EEENSK_IJSJ_SJ_EEES6_PlJ7is_evenIyEEEE10hipError_tPvRmT3_T4_T5_T6_T7_T9_mT8_P12ihipStream_tbDpT10_ENKUlT_T0_E_clISt17integral_constantIbLb0EES19_IbLb1EEEEDaS15_S16_EUlS15_E_NS1_11comp_targetILNS1_3genE9ELNS1_11target_archE1100ELNS1_3gpuE3ELNS1_3repE0EEENS1_30default_config_static_selectorELNS0_4arch9wavefront6targetE1EEEvT1_ ; -- Begin function _ZN7rocprim17ROCPRIM_400000_NS6detail17trampoline_kernelINS0_14default_configENS1_25partition_config_selectorILNS1_17partition_subalgoE3EyNS0_10empty_typeEbEEZZNS1_14partition_implILS5_3ELb0ES3_jN6thrust23THRUST_200600_302600_NS6detail15normal_iteratorINSA_7pointerIyNSA_11hip_rocprim3tagENSA_11use_defaultESG_EEEEPS6_SJ_NS0_5tupleIJPySJ_EEENSK_IJSJ_SJ_EEES6_PlJ7is_evenIyEEEE10hipError_tPvRmT3_T4_T5_T6_T7_T9_mT8_P12ihipStream_tbDpT10_ENKUlT_T0_E_clISt17integral_constantIbLb0EES19_IbLb1EEEEDaS15_S16_EUlS15_E_NS1_11comp_targetILNS1_3genE9ELNS1_11target_archE1100ELNS1_3gpuE3ELNS1_3repE0EEENS1_30default_config_static_selectorELNS0_4arch9wavefront6targetE1EEEvT1_
	.globl	_ZN7rocprim17ROCPRIM_400000_NS6detail17trampoline_kernelINS0_14default_configENS1_25partition_config_selectorILNS1_17partition_subalgoE3EyNS0_10empty_typeEbEEZZNS1_14partition_implILS5_3ELb0ES3_jN6thrust23THRUST_200600_302600_NS6detail15normal_iteratorINSA_7pointerIyNSA_11hip_rocprim3tagENSA_11use_defaultESG_EEEEPS6_SJ_NS0_5tupleIJPySJ_EEENSK_IJSJ_SJ_EEES6_PlJ7is_evenIyEEEE10hipError_tPvRmT3_T4_T5_T6_T7_T9_mT8_P12ihipStream_tbDpT10_ENKUlT_T0_E_clISt17integral_constantIbLb0EES19_IbLb1EEEEDaS15_S16_EUlS15_E_NS1_11comp_targetILNS1_3genE9ELNS1_11target_archE1100ELNS1_3gpuE3ELNS1_3repE0EEENS1_30default_config_static_selectorELNS0_4arch9wavefront6targetE1EEEvT1_
	.p2align	8
	.type	_ZN7rocprim17ROCPRIM_400000_NS6detail17trampoline_kernelINS0_14default_configENS1_25partition_config_selectorILNS1_17partition_subalgoE3EyNS0_10empty_typeEbEEZZNS1_14partition_implILS5_3ELb0ES3_jN6thrust23THRUST_200600_302600_NS6detail15normal_iteratorINSA_7pointerIyNSA_11hip_rocprim3tagENSA_11use_defaultESG_EEEEPS6_SJ_NS0_5tupleIJPySJ_EEENSK_IJSJ_SJ_EEES6_PlJ7is_evenIyEEEE10hipError_tPvRmT3_T4_T5_T6_T7_T9_mT8_P12ihipStream_tbDpT10_ENKUlT_T0_E_clISt17integral_constantIbLb0EES19_IbLb1EEEEDaS15_S16_EUlS15_E_NS1_11comp_targetILNS1_3genE9ELNS1_11target_archE1100ELNS1_3gpuE3ELNS1_3repE0EEENS1_30default_config_static_selectorELNS0_4arch9wavefront6targetE1EEEvT1_,@function
_ZN7rocprim17ROCPRIM_400000_NS6detail17trampoline_kernelINS0_14default_configENS1_25partition_config_selectorILNS1_17partition_subalgoE3EyNS0_10empty_typeEbEEZZNS1_14partition_implILS5_3ELb0ES3_jN6thrust23THRUST_200600_302600_NS6detail15normal_iteratorINSA_7pointerIyNSA_11hip_rocprim3tagENSA_11use_defaultESG_EEEEPS6_SJ_NS0_5tupleIJPySJ_EEENSK_IJSJ_SJ_EEES6_PlJ7is_evenIyEEEE10hipError_tPvRmT3_T4_T5_T6_T7_T9_mT8_P12ihipStream_tbDpT10_ENKUlT_T0_E_clISt17integral_constantIbLb0EES19_IbLb1EEEEDaS15_S16_EUlS15_E_NS1_11comp_targetILNS1_3genE9ELNS1_11target_archE1100ELNS1_3gpuE3ELNS1_3repE0EEENS1_30default_config_static_selectorELNS0_4arch9wavefront6targetE1EEEvT1_: ; @_ZN7rocprim17ROCPRIM_400000_NS6detail17trampoline_kernelINS0_14default_configENS1_25partition_config_selectorILNS1_17partition_subalgoE3EyNS0_10empty_typeEbEEZZNS1_14partition_implILS5_3ELb0ES3_jN6thrust23THRUST_200600_302600_NS6detail15normal_iteratorINSA_7pointerIyNSA_11hip_rocprim3tagENSA_11use_defaultESG_EEEEPS6_SJ_NS0_5tupleIJPySJ_EEENSK_IJSJ_SJ_EEES6_PlJ7is_evenIyEEEE10hipError_tPvRmT3_T4_T5_T6_T7_T9_mT8_P12ihipStream_tbDpT10_ENKUlT_T0_E_clISt17integral_constantIbLb0EES19_IbLb1EEEEDaS15_S16_EUlS15_E_NS1_11comp_targetILNS1_3genE9ELNS1_11target_archE1100ELNS1_3gpuE3ELNS1_3repE0EEENS1_30default_config_static_selectorELNS0_4arch9wavefront6targetE1EEEvT1_
; %bb.0:
	.section	.rodata,"a",@progbits
	.p2align	6, 0x0
	.amdhsa_kernel _ZN7rocprim17ROCPRIM_400000_NS6detail17trampoline_kernelINS0_14default_configENS1_25partition_config_selectorILNS1_17partition_subalgoE3EyNS0_10empty_typeEbEEZZNS1_14partition_implILS5_3ELb0ES3_jN6thrust23THRUST_200600_302600_NS6detail15normal_iteratorINSA_7pointerIyNSA_11hip_rocprim3tagENSA_11use_defaultESG_EEEEPS6_SJ_NS0_5tupleIJPySJ_EEENSK_IJSJ_SJ_EEES6_PlJ7is_evenIyEEEE10hipError_tPvRmT3_T4_T5_T6_T7_T9_mT8_P12ihipStream_tbDpT10_ENKUlT_T0_E_clISt17integral_constantIbLb0EES19_IbLb1EEEEDaS15_S16_EUlS15_E_NS1_11comp_targetILNS1_3genE9ELNS1_11target_archE1100ELNS1_3gpuE3ELNS1_3repE0EEENS1_30default_config_static_selectorELNS0_4arch9wavefront6targetE1EEEvT1_
		.amdhsa_group_segment_fixed_size 0
		.amdhsa_private_segment_fixed_size 0
		.amdhsa_kernarg_size 136
		.amdhsa_user_sgpr_count 2
		.amdhsa_user_sgpr_dispatch_ptr 0
		.amdhsa_user_sgpr_queue_ptr 0
		.amdhsa_user_sgpr_kernarg_segment_ptr 1
		.amdhsa_user_sgpr_dispatch_id 0
		.amdhsa_user_sgpr_kernarg_preload_length 0
		.amdhsa_user_sgpr_kernarg_preload_offset 0
		.amdhsa_user_sgpr_private_segment_size 0
		.amdhsa_uses_dynamic_stack 0
		.amdhsa_enable_private_segment 0
		.amdhsa_system_sgpr_workgroup_id_x 1
		.amdhsa_system_sgpr_workgroup_id_y 0
		.amdhsa_system_sgpr_workgroup_id_z 0
		.amdhsa_system_sgpr_workgroup_info 0
		.amdhsa_system_vgpr_workitem_id 0
		.amdhsa_next_free_vgpr 1
		.amdhsa_next_free_sgpr 0
		.amdhsa_accum_offset 4
		.amdhsa_reserve_vcc 0
		.amdhsa_float_round_mode_32 0
		.amdhsa_float_round_mode_16_64 0
		.amdhsa_float_denorm_mode_32 3
		.amdhsa_float_denorm_mode_16_64 3
		.amdhsa_dx10_clamp 1
		.amdhsa_ieee_mode 1
		.amdhsa_fp16_overflow 0
		.amdhsa_tg_split 0
		.amdhsa_exception_fp_ieee_invalid_op 0
		.amdhsa_exception_fp_denorm_src 0
		.amdhsa_exception_fp_ieee_div_zero 0
		.amdhsa_exception_fp_ieee_overflow 0
		.amdhsa_exception_fp_ieee_underflow 0
		.amdhsa_exception_fp_ieee_inexact 0
		.amdhsa_exception_int_div_zero 0
	.end_amdhsa_kernel
	.section	.text._ZN7rocprim17ROCPRIM_400000_NS6detail17trampoline_kernelINS0_14default_configENS1_25partition_config_selectorILNS1_17partition_subalgoE3EyNS0_10empty_typeEbEEZZNS1_14partition_implILS5_3ELb0ES3_jN6thrust23THRUST_200600_302600_NS6detail15normal_iteratorINSA_7pointerIyNSA_11hip_rocprim3tagENSA_11use_defaultESG_EEEEPS6_SJ_NS0_5tupleIJPySJ_EEENSK_IJSJ_SJ_EEES6_PlJ7is_evenIyEEEE10hipError_tPvRmT3_T4_T5_T6_T7_T9_mT8_P12ihipStream_tbDpT10_ENKUlT_T0_E_clISt17integral_constantIbLb0EES19_IbLb1EEEEDaS15_S16_EUlS15_E_NS1_11comp_targetILNS1_3genE9ELNS1_11target_archE1100ELNS1_3gpuE3ELNS1_3repE0EEENS1_30default_config_static_selectorELNS0_4arch9wavefront6targetE1EEEvT1_,"axG",@progbits,_ZN7rocprim17ROCPRIM_400000_NS6detail17trampoline_kernelINS0_14default_configENS1_25partition_config_selectorILNS1_17partition_subalgoE3EyNS0_10empty_typeEbEEZZNS1_14partition_implILS5_3ELb0ES3_jN6thrust23THRUST_200600_302600_NS6detail15normal_iteratorINSA_7pointerIyNSA_11hip_rocprim3tagENSA_11use_defaultESG_EEEEPS6_SJ_NS0_5tupleIJPySJ_EEENSK_IJSJ_SJ_EEES6_PlJ7is_evenIyEEEE10hipError_tPvRmT3_T4_T5_T6_T7_T9_mT8_P12ihipStream_tbDpT10_ENKUlT_T0_E_clISt17integral_constantIbLb0EES19_IbLb1EEEEDaS15_S16_EUlS15_E_NS1_11comp_targetILNS1_3genE9ELNS1_11target_archE1100ELNS1_3gpuE3ELNS1_3repE0EEENS1_30default_config_static_selectorELNS0_4arch9wavefront6targetE1EEEvT1_,comdat
.Lfunc_end704:
	.size	_ZN7rocprim17ROCPRIM_400000_NS6detail17trampoline_kernelINS0_14default_configENS1_25partition_config_selectorILNS1_17partition_subalgoE3EyNS0_10empty_typeEbEEZZNS1_14partition_implILS5_3ELb0ES3_jN6thrust23THRUST_200600_302600_NS6detail15normal_iteratorINSA_7pointerIyNSA_11hip_rocprim3tagENSA_11use_defaultESG_EEEEPS6_SJ_NS0_5tupleIJPySJ_EEENSK_IJSJ_SJ_EEES6_PlJ7is_evenIyEEEE10hipError_tPvRmT3_T4_T5_T6_T7_T9_mT8_P12ihipStream_tbDpT10_ENKUlT_T0_E_clISt17integral_constantIbLb0EES19_IbLb1EEEEDaS15_S16_EUlS15_E_NS1_11comp_targetILNS1_3genE9ELNS1_11target_archE1100ELNS1_3gpuE3ELNS1_3repE0EEENS1_30default_config_static_selectorELNS0_4arch9wavefront6targetE1EEEvT1_, .Lfunc_end704-_ZN7rocprim17ROCPRIM_400000_NS6detail17trampoline_kernelINS0_14default_configENS1_25partition_config_selectorILNS1_17partition_subalgoE3EyNS0_10empty_typeEbEEZZNS1_14partition_implILS5_3ELb0ES3_jN6thrust23THRUST_200600_302600_NS6detail15normal_iteratorINSA_7pointerIyNSA_11hip_rocprim3tagENSA_11use_defaultESG_EEEEPS6_SJ_NS0_5tupleIJPySJ_EEENSK_IJSJ_SJ_EEES6_PlJ7is_evenIyEEEE10hipError_tPvRmT3_T4_T5_T6_T7_T9_mT8_P12ihipStream_tbDpT10_ENKUlT_T0_E_clISt17integral_constantIbLb0EES19_IbLb1EEEEDaS15_S16_EUlS15_E_NS1_11comp_targetILNS1_3genE9ELNS1_11target_archE1100ELNS1_3gpuE3ELNS1_3repE0EEENS1_30default_config_static_selectorELNS0_4arch9wavefront6targetE1EEEvT1_
                                        ; -- End function
	.section	.AMDGPU.csdata,"",@progbits
; Kernel info:
; codeLenInByte = 0
; NumSgprs: 6
; NumVgprs: 0
; NumAgprs: 0
; TotalNumVgprs: 0
; ScratchSize: 0
; MemoryBound: 0
; FloatMode: 240
; IeeeMode: 1
; LDSByteSize: 0 bytes/workgroup (compile time only)
; SGPRBlocks: 0
; VGPRBlocks: 0
; NumSGPRsForWavesPerEU: 6
; NumVGPRsForWavesPerEU: 1
; AccumOffset: 4
; Occupancy: 8
; WaveLimiterHint : 0
; COMPUTE_PGM_RSRC2:SCRATCH_EN: 0
; COMPUTE_PGM_RSRC2:USER_SGPR: 2
; COMPUTE_PGM_RSRC2:TRAP_HANDLER: 0
; COMPUTE_PGM_RSRC2:TGID_X_EN: 1
; COMPUTE_PGM_RSRC2:TGID_Y_EN: 0
; COMPUTE_PGM_RSRC2:TGID_Z_EN: 0
; COMPUTE_PGM_RSRC2:TIDIG_COMP_CNT: 0
; COMPUTE_PGM_RSRC3_GFX90A:ACCUM_OFFSET: 0
; COMPUTE_PGM_RSRC3_GFX90A:TG_SPLIT: 0
	.section	.text._ZN7rocprim17ROCPRIM_400000_NS6detail17trampoline_kernelINS0_14default_configENS1_25partition_config_selectorILNS1_17partition_subalgoE3EyNS0_10empty_typeEbEEZZNS1_14partition_implILS5_3ELb0ES3_jN6thrust23THRUST_200600_302600_NS6detail15normal_iteratorINSA_7pointerIyNSA_11hip_rocprim3tagENSA_11use_defaultESG_EEEEPS6_SJ_NS0_5tupleIJPySJ_EEENSK_IJSJ_SJ_EEES6_PlJ7is_evenIyEEEE10hipError_tPvRmT3_T4_T5_T6_T7_T9_mT8_P12ihipStream_tbDpT10_ENKUlT_T0_E_clISt17integral_constantIbLb0EES19_IbLb1EEEEDaS15_S16_EUlS15_E_NS1_11comp_targetILNS1_3genE8ELNS1_11target_archE1030ELNS1_3gpuE2ELNS1_3repE0EEENS1_30default_config_static_selectorELNS0_4arch9wavefront6targetE1EEEvT1_,"axG",@progbits,_ZN7rocprim17ROCPRIM_400000_NS6detail17trampoline_kernelINS0_14default_configENS1_25partition_config_selectorILNS1_17partition_subalgoE3EyNS0_10empty_typeEbEEZZNS1_14partition_implILS5_3ELb0ES3_jN6thrust23THRUST_200600_302600_NS6detail15normal_iteratorINSA_7pointerIyNSA_11hip_rocprim3tagENSA_11use_defaultESG_EEEEPS6_SJ_NS0_5tupleIJPySJ_EEENSK_IJSJ_SJ_EEES6_PlJ7is_evenIyEEEE10hipError_tPvRmT3_T4_T5_T6_T7_T9_mT8_P12ihipStream_tbDpT10_ENKUlT_T0_E_clISt17integral_constantIbLb0EES19_IbLb1EEEEDaS15_S16_EUlS15_E_NS1_11comp_targetILNS1_3genE8ELNS1_11target_archE1030ELNS1_3gpuE2ELNS1_3repE0EEENS1_30default_config_static_selectorELNS0_4arch9wavefront6targetE1EEEvT1_,comdat
	.protected	_ZN7rocprim17ROCPRIM_400000_NS6detail17trampoline_kernelINS0_14default_configENS1_25partition_config_selectorILNS1_17partition_subalgoE3EyNS0_10empty_typeEbEEZZNS1_14partition_implILS5_3ELb0ES3_jN6thrust23THRUST_200600_302600_NS6detail15normal_iteratorINSA_7pointerIyNSA_11hip_rocprim3tagENSA_11use_defaultESG_EEEEPS6_SJ_NS0_5tupleIJPySJ_EEENSK_IJSJ_SJ_EEES6_PlJ7is_evenIyEEEE10hipError_tPvRmT3_T4_T5_T6_T7_T9_mT8_P12ihipStream_tbDpT10_ENKUlT_T0_E_clISt17integral_constantIbLb0EES19_IbLb1EEEEDaS15_S16_EUlS15_E_NS1_11comp_targetILNS1_3genE8ELNS1_11target_archE1030ELNS1_3gpuE2ELNS1_3repE0EEENS1_30default_config_static_selectorELNS0_4arch9wavefront6targetE1EEEvT1_ ; -- Begin function _ZN7rocprim17ROCPRIM_400000_NS6detail17trampoline_kernelINS0_14default_configENS1_25partition_config_selectorILNS1_17partition_subalgoE3EyNS0_10empty_typeEbEEZZNS1_14partition_implILS5_3ELb0ES3_jN6thrust23THRUST_200600_302600_NS6detail15normal_iteratorINSA_7pointerIyNSA_11hip_rocprim3tagENSA_11use_defaultESG_EEEEPS6_SJ_NS0_5tupleIJPySJ_EEENSK_IJSJ_SJ_EEES6_PlJ7is_evenIyEEEE10hipError_tPvRmT3_T4_T5_T6_T7_T9_mT8_P12ihipStream_tbDpT10_ENKUlT_T0_E_clISt17integral_constantIbLb0EES19_IbLb1EEEEDaS15_S16_EUlS15_E_NS1_11comp_targetILNS1_3genE8ELNS1_11target_archE1030ELNS1_3gpuE2ELNS1_3repE0EEENS1_30default_config_static_selectorELNS0_4arch9wavefront6targetE1EEEvT1_
	.globl	_ZN7rocprim17ROCPRIM_400000_NS6detail17trampoline_kernelINS0_14default_configENS1_25partition_config_selectorILNS1_17partition_subalgoE3EyNS0_10empty_typeEbEEZZNS1_14partition_implILS5_3ELb0ES3_jN6thrust23THRUST_200600_302600_NS6detail15normal_iteratorINSA_7pointerIyNSA_11hip_rocprim3tagENSA_11use_defaultESG_EEEEPS6_SJ_NS0_5tupleIJPySJ_EEENSK_IJSJ_SJ_EEES6_PlJ7is_evenIyEEEE10hipError_tPvRmT3_T4_T5_T6_T7_T9_mT8_P12ihipStream_tbDpT10_ENKUlT_T0_E_clISt17integral_constantIbLb0EES19_IbLb1EEEEDaS15_S16_EUlS15_E_NS1_11comp_targetILNS1_3genE8ELNS1_11target_archE1030ELNS1_3gpuE2ELNS1_3repE0EEENS1_30default_config_static_selectorELNS0_4arch9wavefront6targetE1EEEvT1_
	.p2align	8
	.type	_ZN7rocprim17ROCPRIM_400000_NS6detail17trampoline_kernelINS0_14default_configENS1_25partition_config_selectorILNS1_17partition_subalgoE3EyNS0_10empty_typeEbEEZZNS1_14partition_implILS5_3ELb0ES3_jN6thrust23THRUST_200600_302600_NS6detail15normal_iteratorINSA_7pointerIyNSA_11hip_rocprim3tagENSA_11use_defaultESG_EEEEPS6_SJ_NS0_5tupleIJPySJ_EEENSK_IJSJ_SJ_EEES6_PlJ7is_evenIyEEEE10hipError_tPvRmT3_T4_T5_T6_T7_T9_mT8_P12ihipStream_tbDpT10_ENKUlT_T0_E_clISt17integral_constantIbLb0EES19_IbLb1EEEEDaS15_S16_EUlS15_E_NS1_11comp_targetILNS1_3genE8ELNS1_11target_archE1030ELNS1_3gpuE2ELNS1_3repE0EEENS1_30default_config_static_selectorELNS0_4arch9wavefront6targetE1EEEvT1_,@function
_ZN7rocprim17ROCPRIM_400000_NS6detail17trampoline_kernelINS0_14default_configENS1_25partition_config_selectorILNS1_17partition_subalgoE3EyNS0_10empty_typeEbEEZZNS1_14partition_implILS5_3ELb0ES3_jN6thrust23THRUST_200600_302600_NS6detail15normal_iteratorINSA_7pointerIyNSA_11hip_rocprim3tagENSA_11use_defaultESG_EEEEPS6_SJ_NS0_5tupleIJPySJ_EEENSK_IJSJ_SJ_EEES6_PlJ7is_evenIyEEEE10hipError_tPvRmT3_T4_T5_T6_T7_T9_mT8_P12ihipStream_tbDpT10_ENKUlT_T0_E_clISt17integral_constantIbLb0EES19_IbLb1EEEEDaS15_S16_EUlS15_E_NS1_11comp_targetILNS1_3genE8ELNS1_11target_archE1030ELNS1_3gpuE2ELNS1_3repE0EEENS1_30default_config_static_selectorELNS0_4arch9wavefront6targetE1EEEvT1_: ; @_ZN7rocprim17ROCPRIM_400000_NS6detail17trampoline_kernelINS0_14default_configENS1_25partition_config_selectorILNS1_17partition_subalgoE3EyNS0_10empty_typeEbEEZZNS1_14partition_implILS5_3ELb0ES3_jN6thrust23THRUST_200600_302600_NS6detail15normal_iteratorINSA_7pointerIyNSA_11hip_rocprim3tagENSA_11use_defaultESG_EEEEPS6_SJ_NS0_5tupleIJPySJ_EEENSK_IJSJ_SJ_EEES6_PlJ7is_evenIyEEEE10hipError_tPvRmT3_T4_T5_T6_T7_T9_mT8_P12ihipStream_tbDpT10_ENKUlT_T0_E_clISt17integral_constantIbLb0EES19_IbLb1EEEEDaS15_S16_EUlS15_E_NS1_11comp_targetILNS1_3genE8ELNS1_11target_archE1030ELNS1_3gpuE2ELNS1_3repE0EEENS1_30default_config_static_selectorELNS0_4arch9wavefront6targetE1EEEvT1_
; %bb.0:
	.section	.rodata,"a",@progbits
	.p2align	6, 0x0
	.amdhsa_kernel _ZN7rocprim17ROCPRIM_400000_NS6detail17trampoline_kernelINS0_14default_configENS1_25partition_config_selectorILNS1_17partition_subalgoE3EyNS0_10empty_typeEbEEZZNS1_14partition_implILS5_3ELb0ES3_jN6thrust23THRUST_200600_302600_NS6detail15normal_iteratorINSA_7pointerIyNSA_11hip_rocprim3tagENSA_11use_defaultESG_EEEEPS6_SJ_NS0_5tupleIJPySJ_EEENSK_IJSJ_SJ_EEES6_PlJ7is_evenIyEEEE10hipError_tPvRmT3_T4_T5_T6_T7_T9_mT8_P12ihipStream_tbDpT10_ENKUlT_T0_E_clISt17integral_constantIbLb0EES19_IbLb1EEEEDaS15_S16_EUlS15_E_NS1_11comp_targetILNS1_3genE8ELNS1_11target_archE1030ELNS1_3gpuE2ELNS1_3repE0EEENS1_30default_config_static_selectorELNS0_4arch9wavefront6targetE1EEEvT1_
		.amdhsa_group_segment_fixed_size 0
		.amdhsa_private_segment_fixed_size 0
		.amdhsa_kernarg_size 136
		.amdhsa_user_sgpr_count 2
		.amdhsa_user_sgpr_dispatch_ptr 0
		.amdhsa_user_sgpr_queue_ptr 0
		.amdhsa_user_sgpr_kernarg_segment_ptr 1
		.amdhsa_user_sgpr_dispatch_id 0
		.amdhsa_user_sgpr_kernarg_preload_length 0
		.amdhsa_user_sgpr_kernarg_preload_offset 0
		.amdhsa_user_sgpr_private_segment_size 0
		.amdhsa_uses_dynamic_stack 0
		.amdhsa_enable_private_segment 0
		.amdhsa_system_sgpr_workgroup_id_x 1
		.amdhsa_system_sgpr_workgroup_id_y 0
		.amdhsa_system_sgpr_workgroup_id_z 0
		.amdhsa_system_sgpr_workgroup_info 0
		.amdhsa_system_vgpr_workitem_id 0
		.amdhsa_next_free_vgpr 1
		.amdhsa_next_free_sgpr 0
		.amdhsa_accum_offset 4
		.amdhsa_reserve_vcc 0
		.amdhsa_float_round_mode_32 0
		.amdhsa_float_round_mode_16_64 0
		.amdhsa_float_denorm_mode_32 3
		.amdhsa_float_denorm_mode_16_64 3
		.amdhsa_dx10_clamp 1
		.amdhsa_ieee_mode 1
		.amdhsa_fp16_overflow 0
		.amdhsa_tg_split 0
		.amdhsa_exception_fp_ieee_invalid_op 0
		.amdhsa_exception_fp_denorm_src 0
		.amdhsa_exception_fp_ieee_div_zero 0
		.amdhsa_exception_fp_ieee_overflow 0
		.amdhsa_exception_fp_ieee_underflow 0
		.amdhsa_exception_fp_ieee_inexact 0
		.amdhsa_exception_int_div_zero 0
	.end_amdhsa_kernel
	.section	.text._ZN7rocprim17ROCPRIM_400000_NS6detail17trampoline_kernelINS0_14default_configENS1_25partition_config_selectorILNS1_17partition_subalgoE3EyNS0_10empty_typeEbEEZZNS1_14partition_implILS5_3ELb0ES3_jN6thrust23THRUST_200600_302600_NS6detail15normal_iteratorINSA_7pointerIyNSA_11hip_rocprim3tagENSA_11use_defaultESG_EEEEPS6_SJ_NS0_5tupleIJPySJ_EEENSK_IJSJ_SJ_EEES6_PlJ7is_evenIyEEEE10hipError_tPvRmT3_T4_T5_T6_T7_T9_mT8_P12ihipStream_tbDpT10_ENKUlT_T0_E_clISt17integral_constantIbLb0EES19_IbLb1EEEEDaS15_S16_EUlS15_E_NS1_11comp_targetILNS1_3genE8ELNS1_11target_archE1030ELNS1_3gpuE2ELNS1_3repE0EEENS1_30default_config_static_selectorELNS0_4arch9wavefront6targetE1EEEvT1_,"axG",@progbits,_ZN7rocprim17ROCPRIM_400000_NS6detail17trampoline_kernelINS0_14default_configENS1_25partition_config_selectorILNS1_17partition_subalgoE3EyNS0_10empty_typeEbEEZZNS1_14partition_implILS5_3ELb0ES3_jN6thrust23THRUST_200600_302600_NS6detail15normal_iteratorINSA_7pointerIyNSA_11hip_rocprim3tagENSA_11use_defaultESG_EEEEPS6_SJ_NS0_5tupleIJPySJ_EEENSK_IJSJ_SJ_EEES6_PlJ7is_evenIyEEEE10hipError_tPvRmT3_T4_T5_T6_T7_T9_mT8_P12ihipStream_tbDpT10_ENKUlT_T0_E_clISt17integral_constantIbLb0EES19_IbLb1EEEEDaS15_S16_EUlS15_E_NS1_11comp_targetILNS1_3genE8ELNS1_11target_archE1030ELNS1_3gpuE2ELNS1_3repE0EEENS1_30default_config_static_selectorELNS0_4arch9wavefront6targetE1EEEvT1_,comdat
.Lfunc_end705:
	.size	_ZN7rocprim17ROCPRIM_400000_NS6detail17trampoline_kernelINS0_14default_configENS1_25partition_config_selectorILNS1_17partition_subalgoE3EyNS0_10empty_typeEbEEZZNS1_14partition_implILS5_3ELb0ES3_jN6thrust23THRUST_200600_302600_NS6detail15normal_iteratorINSA_7pointerIyNSA_11hip_rocprim3tagENSA_11use_defaultESG_EEEEPS6_SJ_NS0_5tupleIJPySJ_EEENSK_IJSJ_SJ_EEES6_PlJ7is_evenIyEEEE10hipError_tPvRmT3_T4_T5_T6_T7_T9_mT8_P12ihipStream_tbDpT10_ENKUlT_T0_E_clISt17integral_constantIbLb0EES19_IbLb1EEEEDaS15_S16_EUlS15_E_NS1_11comp_targetILNS1_3genE8ELNS1_11target_archE1030ELNS1_3gpuE2ELNS1_3repE0EEENS1_30default_config_static_selectorELNS0_4arch9wavefront6targetE1EEEvT1_, .Lfunc_end705-_ZN7rocprim17ROCPRIM_400000_NS6detail17trampoline_kernelINS0_14default_configENS1_25partition_config_selectorILNS1_17partition_subalgoE3EyNS0_10empty_typeEbEEZZNS1_14partition_implILS5_3ELb0ES3_jN6thrust23THRUST_200600_302600_NS6detail15normal_iteratorINSA_7pointerIyNSA_11hip_rocprim3tagENSA_11use_defaultESG_EEEEPS6_SJ_NS0_5tupleIJPySJ_EEENSK_IJSJ_SJ_EEES6_PlJ7is_evenIyEEEE10hipError_tPvRmT3_T4_T5_T6_T7_T9_mT8_P12ihipStream_tbDpT10_ENKUlT_T0_E_clISt17integral_constantIbLb0EES19_IbLb1EEEEDaS15_S16_EUlS15_E_NS1_11comp_targetILNS1_3genE8ELNS1_11target_archE1030ELNS1_3gpuE2ELNS1_3repE0EEENS1_30default_config_static_selectorELNS0_4arch9wavefront6targetE1EEEvT1_
                                        ; -- End function
	.section	.AMDGPU.csdata,"",@progbits
; Kernel info:
; codeLenInByte = 0
; NumSgprs: 6
; NumVgprs: 0
; NumAgprs: 0
; TotalNumVgprs: 0
; ScratchSize: 0
; MemoryBound: 0
; FloatMode: 240
; IeeeMode: 1
; LDSByteSize: 0 bytes/workgroup (compile time only)
; SGPRBlocks: 0
; VGPRBlocks: 0
; NumSGPRsForWavesPerEU: 6
; NumVGPRsForWavesPerEU: 1
; AccumOffset: 4
; Occupancy: 8
; WaveLimiterHint : 0
; COMPUTE_PGM_RSRC2:SCRATCH_EN: 0
; COMPUTE_PGM_RSRC2:USER_SGPR: 2
; COMPUTE_PGM_RSRC2:TRAP_HANDLER: 0
; COMPUTE_PGM_RSRC2:TGID_X_EN: 1
; COMPUTE_PGM_RSRC2:TGID_Y_EN: 0
; COMPUTE_PGM_RSRC2:TGID_Z_EN: 0
; COMPUTE_PGM_RSRC2:TIDIG_COMP_CNT: 0
; COMPUTE_PGM_RSRC3_GFX90A:ACCUM_OFFSET: 0
; COMPUTE_PGM_RSRC3_GFX90A:TG_SPLIT: 0
	.section	.text._ZN7rocprim17ROCPRIM_400000_NS6detail17trampoline_kernelINS0_13kernel_configILj256ELj4ELj4294967295EEENS1_37radix_sort_block_sort_config_selectorIyNS0_10empty_typeEEEZNS1_21radix_sort_block_sortIS4_Lb0EN6thrust23THRUST_200600_302600_NS6detail15normal_iteratorINSA_10device_ptrIyEEEESF_PS6_SG_NS0_19identity_decomposerEEE10hipError_tT1_T2_T3_T4_jRjT5_jjP12ihipStream_tbEUlT_E_NS1_11comp_targetILNS1_3genE0ELNS1_11target_archE4294967295ELNS1_3gpuE0ELNS1_3repE0EEENS1_44radix_sort_block_sort_config_static_selectorELNS0_4arch9wavefront6targetE1EEEvSJ_,"axG",@progbits,_ZN7rocprim17ROCPRIM_400000_NS6detail17trampoline_kernelINS0_13kernel_configILj256ELj4ELj4294967295EEENS1_37radix_sort_block_sort_config_selectorIyNS0_10empty_typeEEEZNS1_21radix_sort_block_sortIS4_Lb0EN6thrust23THRUST_200600_302600_NS6detail15normal_iteratorINSA_10device_ptrIyEEEESF_PS6_SG_NS0_19identity_decomposerEEE10hipError_tT1_T2_T3_T4_jRjT5_jjP12ihipStream_tbEUlT_E_NS1_11comp_targetILNS1_3genE0ELNS1_11target_archE4294967295ELNS1_3gpuE0ELNS1_3repE0EEENS1_44radix_sort_block_sort_config_static_selectorELNS0_4arch9wavefront6targetE1EEEvSJ_,comdat
	.protected	_ZN7rocprim17ROCPRIM_400000_NS6detail17trampoline_kernelINS0_13kernel_configILj256ELj4ELj4294967295EEENS1_37radix_sort_block_sort_config_selectorIyNS0_10empty_typeEEEZNS1_21radix_sort_block_sortIS4_Lb0EN6thrust23THRUST_200600_302600_NS6detail15normal_iteratorINSA_10device_ptrIyEEEESF_PS6_SG_NS0_19identity_decomposerEEE10hipError_tT1_T2_T3_T4_jRjT5_jjP12ihipStream_tbEUlT_E_NS1_11comp_targetILNS1_3genE0ELNS1_11target_archE4294967295ELNS1_3gpuE0ELNS1_3repE0EEENS1_44radix_sort_block_sort_config_static_selectorELNS0_4arch9wavefront6targetE1EEEvSJ_ ; -- Begin function _ZN7rocprim17ROCPRIM_400000_NS6detail17trampoline_kernelINS0_13kernel_configILj256ELj4ELj4294967295EEENS1_37radix_sort_block_sort_config_selectorIyNS0_10empty_typeEEEZNS1_21radix_sort_block_sortIS4_Lb0EN6thrust23THRUST_200600_302600_NS6detail15normal_iteratorINSA_10device_ptrIyEEEESF_PS6_SG_NS0_19identity_decomposerEEE10hipError_tT1_T2_T3_T4_jRjT5_jjP12ihipStream_tbEUlT_E_NS1_11comp_targetILNS1_3genE0ELNS1_11target_archE4294967295ELNS1_3gpuE0ELNS1_3repE0EEENS1_44radix_sort_block_sort_config_static_selectorELNS0_4arch9wavefront6targetE1EEEvSJ_
	.globl	_ZN7rocprim17ROCPRIM_400000_NS6detail17trampoline_kernelINS0_13kernel_configILj256ELj4ELj4294967295EEENS1_37radix_sort_block_sort_config_selectorIyNS0_10empty_typeEEEZNS1_21radix_sort_block_sortIS4_Lb0EN6thrust23THRUST_200600_302600_NS6detail15normal_iteratorINSA_10device_ptrIyEEEESF_PS6_SG_NS0_19identity_decomposerEEE10hipError_tT1_T2_T3_T4_jRjT5_jjP12ihipStream_tbEUlT_E_NS1_11comp_targetILNS1_3genE0ELNS1_11target_archE4294967295ELNS1_3gpuE0ELNS1_3repE0EEENS1_44radix_sort_block_sort_config_static_selectorELNS0_4arch9wavefront6targetE1EEEvSJ_
	.p2align	8
	.type	_ZN7rocprim17ROCPRIM_400000_NS6detail17trampoline_kernelINS0_13kernel_configILj256ELj4ELj4294967295EEENS1_37radix_sort_block_sort_config_selectorIyNS0_10empty_typeEEEZNS1_21radix_sort_block_sortIS4_Lb0EN6thrust23THRUST_200600_302600_NS6detail15normal_iteratorINSA_10device_ptrIyEEEESF_PS6_SG_NS0_19identity_decomposerEEE10hipError_tT1_T2_T3_T4_jRjT5_jjP12ihipStream_tbEUlT_E_NS1_11comp_targetILNS1_3genE0ELNS1_11target_archE4294967295ELNS1_3gpuE0ELNS1_3repE0EEENS1_44radix_sort_block_sort_config_static_selectorELNS0_4arch9wavefront6targetE1EEEvSJ_,@function
_ZN7rocprim17ROCPRIM_400000_NS6detail17trampoline_kernelINS0_13kernel_configILj256ELj4ELj4294967295EEENS1_37radix_sort_block_sort_config_selectorIyNS0_10empty_typeEEEZNS1_21radix_sort_block_sortIS4_Lb0EN6thrust23THRUST_200600_302600_NS6detail15normal_iteratorINSA_10device_ptrIyEEEESF_PS6_SG_NS0_19identity_decomposerEEE10hipError_tT1_T2_T3_T4_jRjT5_jjP12ihipStream_tbEUlT_E_NS1_11comp_targetILNS1_3genE0ELNS1_11target_archE4294967295ELNS1_3gpuE0ELNS1_3repE0EEENS1_44radix_sort_block_sort_config_static_selectorELNS0_4arch9wavefront6targetE1EEEvSJ_: ; @_ZN7rocprim17ROCPRIM_400000_NS6detail17trampoline_kernelINS0_13kernel_configILj256ELj4ELj4294967295EEENS1_37radix_sort_block_sort_config_selectorIyNS0_10empty_typeEEEZNS1_21radix_sort_block_sortIS4_Lb0EN6thrust23THRUST_200600_302600_NS6detail15normal_iteratorINSA_10device_ptrIyEEEESF_PS6_SG_NS0_19identity_decomposerEEE10hipError_tT1_T2_T3_T4_jRjT5_jjP12ihipStream_tbEUlT_E_NS1_11comp_targetILNS1_3genE0ELNS1_11target_archE4294967295ELNS1_3gpuE0ELNS1_3repE0EEENS1_44radix_sort_block_sort_config_static_selectorELNS0_4arch9wavefront6targetE1EEEvSJ_
; %bb.0:
	.section	.rodata,"a",@progbits
	.p2align	6, 0x0
	.amdhsa_kernel _ZN7rocprim17ROCPRIM_400000_NS6detail17trampoline_kernelINS0_13kernel_configILj256ELj4ELj4294967295EEENS1_37radix_sort_block_sort_config_selectorIyNS0_10empty_typeEEEZNS1_21radix_sort_block_sortIS4_Lb0EN6thrust23THRUST_200600_302600_NS6detail15normal_iteratorINSA_10device_ptrIyEEEESF_PS6_SG_NS0_19identity_decomposerEEE10hipError_tT1_T2_T3_T4_jRjT5_jjP12ihipStream_tbEUlT_E_NS1_11comp_targetILNS1_3genE0ELNS1_11target_archE4294967295ELNS1_3gpuE0ELNS1_3repE0EEENS1_44radix_sort_block_sort_config_static_selectorELNS0_4arch9wavefront6targetE1EEEvSJ_
		.amdhsa_group_segment_fixed_size 0
		.amdhsa_private_segment_fixed_size 0
		.amdhsa_kernarg_size 48
		.amdhsa_user_sgpr_count 2
		.amdhsa_user_sgpr_dispatch_ptr 0
		.amdhsa_user_sgpr_queue_ptr 0
		.amdhsa_user_sgpr_kernarg_segment_ptr 1
		.amdhsa_user_sgpr_dispatch_id 0
		.amdhsa_user_sgpr_kernarg_preload_length 0
		.amdhsa_user_sgpr_kernarg_preload_offset 0
		.amdhsa_user_sgpr_private_segment_size 0
		.amdhsa_uses_dynamic_stack 0
		.amdhsa_enable_private_segment 0
		.amdhsa_system_sgpr_workgroup_id_x 1
		.amdhsa_system_sgpr_workgroup_id_y 0
		.amdhsa_system_sgpr_workgroup_id_z 0
		.amdhsa_system_sgpr_workgroup_info 0
		.amdhsa_system_vgpr_workitem_id 0
		.amdhsa_next_free_vgpr 1
		.amdhsa_next_free_sgpr 0
		.amdhsa_accum_offset 4
		.amdhsa_reserve_vcc 0
		.amdhsa_float_round_mode_32 0
		.amdhsa_float_round_mode_16_64 0
		.amdhsa_float_denorm_mode_32 3
		.amdhsa_float_denorm_mode_16_64 3
		.amdhsa_dx10_clamp 1
		.amdhsa_ieee_mode 1
		.amdhsa_fp16_overflow 0
		.amdhsa_tg_split 0
		.amdhsa_exception_fp_ieee_invalid_op 0
		.amdhsa_exception_fp_denorm_src 0
		.amdhsa_exception_fp_ieee_div_zero 0
		.amdhsa_exception_fp_ieee_overflow 0
		.amdhsa_exception_fp_ieee_underflow 0
		.amdhsa_exception_fp_ieee_inexact 0
		.amdhsa_exception_int_div_zero 0
	.end_amdhsa_kernel
	.section	.text._ZN7rocprim17ROCPRIM_400000_NS6detail17trampoline_kernelINS0_13kernel_configILj256ELj4ELj4294967295EEENS1_37radix_sort_block_sort_config_selectorIyNS0_10empty_typeEEEZNS1_21radix_sort_block_sortIS4_Lb0EN6thrust23THRUST_200600_302600_NS6detail15normal_iteratorINSA_10device_ptrIyEEEESF_PS6_SG_NS0_19identity_decomposerEEE10hipError_tT1_T2_T3_T4_jRjT5_jjP12ihipStream_tbEUlT_E_NS1_11comp_targetILNS1_3genE0ELNS1_11target_archE4294967295ELNS1_3gpuE0ELNS1_3repE0EEENS1_44radix_sort_block_sort_config_static_selectorELNS0_4arch9wavefront6targetE1EEEvSJ_,"axG",@progbits,_ZN7rocprim17ROCPRIM_400000_NS6detail17trampoline_kernelINS0_13kernel_configILj256ELj4ELj4294967295EEENS1_37radix_sort_block_sort_config_selectorIyNS0_10empty_typeEEEZNS1_21radix_sort_block_sortIS4_Lb0EN6thrust23THRUST_200600_302600_NS6detail15normal_iteratorINSA_10device_ptrIyEEEESF_PS6_SG_NS0_19identity_decomposerEEE10hipError_tT1_T2_T3_T4_jRjT5_jjP12ihipStream_tbEUlT_E_NS1_11comp_targetILNS1_3genE0ELNS1_11target_archE4294967295ELNS1_3gpuE0ELNS1_3repE0EEENS1_44radix_sort_block_sort_config_static_selectorELNS0_4arch9wavefront6targetE1EEEvSJ_,comdat
.Lfunc_end706:
	.size	_ZN7rocprim17ROCPRIM_400000_NS6detail17trampoline_kernelINS0_13kernel_configILj256ELj4ELj4294967295EEENS1_37radix_sort_block_sort_config_selectorIyNS0_10empty_typeEEEZNS1_21radix_sort_block_sortIS4_Lb0EN6thrust23THRUST_200600_302600_NS6detail15normal_iteratorINSA_10device_ptrIyEEEESF_PS6_SG_NS0_19identity_decomposerEEE10hipError_tT1_T2_T3_T4_jRjT5_jjP12ihipStream_tbEUlT_E_NS1_11comp_targetILNS1_3genE0ELNS1_11target_archE4294967295ELNS1_3gpuE0ELNS1_3repE0EEENS1_44radix_sort_block_sort_config_static_selectorELNS0_4arch9wavefront6targetE1EEEvSJ_, .Lfunc_end706-_ZN7rocprim17ROCPRIM_400000_NS6detail17trampoline_kernelINS0_13kernel_configILj256ELj4ELj4294967295EEENS1_37radix_sort_block_sort_config_selectorIyNS0_10empty_typeEEEZNS1_21radix_sort_block_sortIS4_Lb0EN6thrust23THRUST_200600_302600_NS6detail15normal_iteratorINSA_10device_ptrIyEEEESF_PS6_SG_NS0_19identity_decomposerEEE10hipError_tT1_T2_T3_T4_jRjT5_jjP12ihipStream_tbEUlT_E_NS1_11comp_targetILNS1_3genE0ELNS1_11target_archE4294967295ELNS1_3gpuE0ELNS1_3repE0EEENS1_44radix_sort_block_sort_config_static_selectorELNS0_4arch9wavefront6targetE1EEEvSJ_
                                        ; -- End function
	.section	.AMDGPU.csdata,"",@progbits
; Kernel info:
; codeLenInByte = 0
; NumSgprs: 6
; NumVgprs: 0
; NumAgprs: 0
; TotalNumVgprs: 0
; ScratchSize: 0
; MemoryBound: 0
; FloatMode: 240
; IeeeMode: 1
; LDSByteSize: 0 bytes/workgroup (compile time only)
; SGPRBlocks: 0
; VGPRBlocks: 0
; NumSGPRsForWavesPerEU: 6
; NumVGPRsForWavesPerEU: 1
; AccumOffset: 4
; Occupancy: 8
; WaveLimiterHint : 0
; COMPUTE_PGM_RSRC2:SCRATCH_EN: 0
; COMPUTE_PGM_RSRC2:USER_SGPR: 2
; COMPUTE_PGM_RSRC2:TRAP_HANDLER: 0
; COMPUTE_PGM_RSRC2:TGID_X_EN: 1
; COMPUTE_PGM_RSRC2:TGID_Y_EN: 0
; COMPUTE_PGM_RSRC2:TGID_Z_EN: 0
; COMPUTE_PGM_RSRC2:TIDIG_COMP_CNT: 0
; COMPUTE_PGM_RSRC3_GFX90A:ACCUM_OFFSET: 0
; COMPUTE_PGM_RSRC3_GFX90A:TG_SPLIT: 0
	.section	.text._ZN7rocprim17ROCPRIM_400000_NS6detail17trampoline_kernelINS0_13kernel_configILj256ELj4ELj4294967295EEENS1_37radix_sort_block_sort_config_selectorIyNS0_10empty_typeEEEZNS1_21radix_sort_block_sortIS4_Lb0EN6thrust23THRUST_200600_302600_NS6detail15normal_iteratorINSA_10device_ptrIyEEEESF_PS6_SG_NS0_19identity_decomposerEEE10hipError_tT1_T2_T3_T4_jRjT5_jjP12ihipStream_tbEUlT_E_NS1_11comp_targetILNS1_3genE5ELNS1_11target_archE942ELNS1_3gpuE9ELNS1_3repE0EEENS1_44radix_sort_block_sort_config_static_selectorELNS0_4arch9wavefront6targetE1EEEvSJ_,"axG",@progbits,_ZN7rocprim17ROCPRIM_400000_NS6detail17trampoline_kernelINS0_13kernel_configILj256ELj4ELj4294967295EEENS1_37radix_sort_block_sort_config_selectorIyNS0_10empty_typeEEEZNS1_21radix_sort_block_sortIS4_Lb0EN6thrust23THRUST_200600_302600_NS6detail15normal_iteratorINSA_10device_ptrIyEEEESF_PS6_SG_NS0_19identity_decomposerEEE10hipError_tT1_T2_T3_T4_jRjT5_jjP12ihipStream_tbEUlT_E_NS1_11comp_targetILNS1_3genE5ELNS1_11target_archE942ELNS1_3gpuE9ELNS1_3repE0EEENS1_44radix_sort_block_sort_config_static_selectorELNS0_4arch9wavefront6targetE1EEEvSJ_,comdat
	.protected	_ZN7rocprim17ROCPRIM_400000_NS6detail17trampoline_kernelINS0_13kernel_configILj256ELj4ELj4294967295EEENS1_37radix_sort_block_sort_config_selectorIyNS0_10empty_typeEEEZNS1_21radix_sort_block_sortIS4_Lb0EN6thrust23THRUST_200600_302600_NS6detail15normal_iteratorINSA_10device_ptrIyEEEESF_PS6_SG_NS0_19identity_decomposerEEE10hipError_tT1_T2_T3_T4_jRjT5_jjP12ihipStream_tbEUlT_E_NS1_11comp_targetILNS1_3genE5ELNS1_11target_archE942ELNS1_3gpuE9ELNS1_3repE0EEENS1_44radix_sort_block_sort_config_static_selectorELNS0_4arch9wavefront6targetE1EEEvSJ_ ; -- Begin function _ZN7rocprim17ROCPRIM_400000_NS6detail17trampoline_kernelINS0_13kernel_configILj256ELj4ELj4294967295EEENS1_37radix_sort_block_sort_config_selectorIyNS0_10empty_typeEEEZNS1_21radix_sort_block_sortIS4_Lb0EN6thrust23THRUST_200600_302600_NS6detail15normal_iteratorINSA_10device_ptrIyEEEESF_PS6_SG_NS0_19identity_decomposerEEE10hipError_tT1_T2_T3_T4_jRjT5_jjP12ihipStream_tbEUlT_E_NS1_11comp_targetILNS1_3genE5ELNS1_11target_archE942ELNS1_3gpuE9ELNS1_3repE0EEENS1_44radix_sort_block_sort_config_static_selectorELNS0_4arch9wavefront6targetE1EEEvSJ_
	.globl	_ZN7rocprim17ROCPRIM_400000_NS6detail17trampoline_kernelINS0_13kernel_configILj256ELj4ELj4294967295EEENS1_37radix_sort_block_sort_config_selectorIyNS0_10empty_typeEEEZNS1_21radix_sort_block_sortIS4_Lb0EN6thrust23THRUST_200600_302600_NS6detail15normal_iteratorINSA_10device_ptrIyEEEESF_PS6_SG_NS0_19identity_decomposerEEE10hipError_tT1_T2_T3_T4_jRjT5_jjP12ihipStream_tbEUlT_E_NS1_11comp_targetILNS1_3genE5ELNS1_11target_archE942ELNS1_3gpuE9ELNS1_3repE0EEENS1_44radix_sort_block_sort_config_static_selectorELNS0_4arch9wavefront6targetE1EEEvSJ_
	.p2align	8
	.type	_ZN7rocprim17ROCPRIM_400000_NS6detail17trampoline_kernelINS0_13kernel_configILj256ELj4ELj4294967295EEENS1_37radix_sort_block_sort_config_selectorIyNS0_10empty_typeEEEZNS1_21radix_sort_block_sortIS4_Lb0EN6thrust23THRUST_200600_302600_NS6detail15normal_iteratorINSA_10device_ptrIyEEEESF_PS6_SG_NS0_19identity_decomposerEEE10hipError_tT1_T2_T3_T4_jRjT5_jjP12ihipStream_tbEUlT_E_NS1_11comp_targetILNS1_3genE5ELNS1_11target_archE942ELNS1_3gpuE9ELNS1_3repE0EEENS1_44radix_sort_block_sort_config_static_selectorELNS0_4arch9wavefront6targetE1EEEvSJ_,@function
_ZN7rocprim17ROCPRIM_400000_NS6detail17trampoline_kernelINS0_13kernel_configILj256ELj4ELj4294967295EEENS1_37radix_sort_block_sort_config_selectorIyNS0_10empty_typeEEEZNS1_21radix_sort_block_sortIS4_Lb0EN6thrust23THRUST_200600_302600_NS6detail15normal_iteratorINSA_10device_ptrIyEEEESF_PS6_SG_NS0_19identity_decomposerEEE10hipError_tT1_T2_T3_T4_jRjT5_jjP12ihipStream_tbEUlT_E_NS1_11comp_targetILNS1_3genE5ELNS1_11target_archE942ELNS1_3gpuE9ELNS1_3repE0EEENS1_44radix_sort_block_sort_config_static_selectorELNS0_4arch9wavefront6targetE1EEEvSJ_: ; @_ZN7rocprim17ROCPRIM_400000_NS6detail17trampoline_kernelINS0_13kernel_configILj256ELj4ELj4294967295EEENS1_37radix_sort_block_sort_config_selectorIyNS0_10empty_typeEEEZNS1_21radix_sort_block_sortIS4_Lb0EN6thrust23THRUST_200600_302600_NS6detail15normal_iteratorINSA_10device_ptrIyEEEESF_PS6_SG_NS0_19identity_decomposerEEE10hipError_tT1_T2_T3_T4_jRjT5_jjP12ihipStream_tbEUlT_E_NS1_11comp_targetILNS1_3genE5ELNS1_11target_archE942ELNS1_3gpuE9ELNS1_3repE0EEENS1_44radix_sort_block_sort_config_static_selectorELNS0_4arch9wavefront6targetE1EEEvSJ_
; %bb.0:
	s_load_dword s6, s[0:1], 0x20
	s_load_dwordx4 s[28:31], s[0:1], 0x0
	s_lshl_b32 s4, s2, 10
	s_mov_b32 s5, 0
	v_mbcnt_lo_u32_b32 v1, -1, 0
	s_waitcnt lgkmcnt(0)
	s_lshr_b32 s3, s6, 10
	s_cmp_lg_u32 s2, s3
	v_and_b32_e32 v10, 0x3ff, v0
	s_cselect_b64 s[34:35], -1, 0
	s_lshl_b64 s[36:37], s[4:5], 3
	v_mbcnt_hi_u32_b32 v1, -1, v1
	s_add_u32 s8, s28, s36
	v_and_b32_e32 v15, 63, v1
	v_lshlrev_b32_e32 v11, 2, v10
	s_addc_u32 s9, s29, s37
	v_and_b32_e32 v16, 0x300, v11
	v_lshlrev_b32_e32 v2, 3, v15
	v_mov_b32_e32 v3, 0
	v_lshl_add_u64 v[4:5], s[8:9], 0, v[2:3]
	v_lshlrev_b32_e32 v2, 3, v16
	s_cmp_eq_u32 s2, s3
	v_lshl_add_u64 v[12:13], v[4:5], 0, v[2:3]
	v_or_b32_e32 v14, v15, v16
	s_cbranch_scc1 .LBB707_2
; %bb.1:
	global_load_dwordx2 v[2:3], v[12:13], off
	global_load_dwordx2 v[4:5], v[12:13], off offset:512
	global_load_dwordx2 v[6:7], v[12:13], off offset:1024
	;; [unrolled: 1-line block ×3, first 2 shown]
	v_or_b32_e32 v18, v15, v16
	v_or_b32_e32 v15, 64, v18
	;; [unrolled: 1-line block ×4, first 2 shown]
	s_load_dwordx2 s[28:29], s[0:1], 0x28
	s_sub_i32 s33, s6, s4
	s_cbranch_execz .LBB707_3
	s_branch .LBB707_12
.LBB707_2:
                                        ; implicit-def: $vgpr2_vgpr3_vgpr4_vgpr5_vgpr6_vgpr7_vgpr8_vgpr9
                                        ; implicit-def: $vgpr18
                                        ; implicit-def: $vgpr15
                                        ; implicit-def: $vgpr16
                                        ; implicit-def: $vgpr17
	s_load_dwordx2 s[28:29], s[0:1], 0x28
	s_sub_i32 s33, s6, s4
.LBB707_3:
	s_mov_b32 s4, -1
	s_mov_b32 s5, s4
	s_mov_b32 s6, s4
	;; [unrolled: 1-line block ×7, first 2 shown]
	s_waitcnt vmcnt(0)
	v_mov_b64_e32 v[2:3], s[4:5]
	v_cmp_gt_u32_e32 vcc, s33, v14
	v_mov_b64_e32 v[4:5], s[6:7]
	v_mov_b64_e32 v[6:7], s[8:9]
	;; [unrolled: 1-line block ×3, first 2 shown]
	s_and_saveexec_b64 s[2:3], vcc
	s_cbranch_execz .LBB707_5
; %bb.4:
	global_load_dwordx2 v[2:3], v[12:13], off
	v_mov_b32_e32 v4, -1
	v_mov_b32_e32 v5, v4
	v_mov_b32_e32 v6, v4
	;; [unrolled: 1-line block ×5, first 2 shown]
.LBB707_5:
	s_or_b64 exec, exec, s[2:3]
	v_or_b32_e32 v15, 64, v14
	v_cmp_gt_u32_e32 vcc, s33, v15
	s_and_saveexec_b64 s[2:3], vcc
	s_cbranch_execz .LBB707_7
; %bb.6:
	global_load_dwordx2 v[4:5], v[12:13], off offset:512
.LBB707_7:
	s_or_b64 exec, exec, s[2:3]
	v_or_b32_e32 v16, 0x80, v14
	v_cmp_gt_u32_e32 vcc, s33, v16
	s_and_saveexec_b64 s[2:3], vcc
	s_cbranch_execz .LBB707_9
; %bb.8:
	global_load_dwordx2 v[6:7], v[12:13], off offset:1024
.LBB707_9:
	;; [unrolled: 8-line block ×3, first 2 shown]
	s_or_b64 exec, exec, s[2:3]
	v_mov_b32_e32 v18, v14
.LBB707_12:
	s_load_dword s2, s[0:1], 0x3c
	s_waitcnt lgkmcnt(0)
	s_add_i32 s38, s29, s28
	s_getpc_b64 s[0:1]
	s_add_u32 s0, s0, _ZN7rocprim17ROCPRIM_400000_NS16block_radix_sortIyLj256ELj4ENS0_10empty_typeELj1ELj1ELj0ELNS0_26block_radix_rank_algorithmE1ELNS0_18block_padding_hintE2ELNS0_4arch9wavefront6targetE1EE19radix_bits_per_passE@rel32@lo+4
	s_addc_u32 s1, s1, _ZN7rocprim17ROCPRIM_400000_NS16block_radix_sortIyLj256ELj4ENS0_10empty_typeELj1ELj1ELj0ELNS0_26block_radix_rank_algorithmE1ELNS0_18block_padding_hintE2ELNS0_4arch9wavefront6targetE1EE19radix_bits_per_passE@rel32@hi+12
	s_load_dword s39, s[0:1], 0x0
	v_bfe_u32 v12, v0, 10, 10
	s_lshr_b32 s0, s2, 16
	v_bfe_u32 v0, v0, 20, 10
	s_and_b32 s1, s2, 0xffff
	v_mad_u32_u24 v0, v0, s0, v12
	v_mad_u64_u32 v[12:13], s[0:1], v0, s1, v[10:11]
	v_and_b32_e32 v0, 15, v1
	v_cmp_eq_u32_e64 s[0:1], 0, v0
	v_cmp_lt_u32_e64 s[2:3], 1, v0
	v_cmp_lt_u32_e64 s[4:5], 3, v0
	;; [unrolled: 1-line block ×3, first 2 shown]
	v_and_b32_e32 v0, 16, v1
	v_cmp_eq_u32_e64 s[8:9], 0, v0
	v_and_b32_e32 v0, 0x3c0, v10
	v_min_u32_e32 v0, 0xc0, v0
	v_or_b32_e32 v0, 63, v0
	v_lshrrev_b32_e32 v26, 6, v12
	v_cmp_eq_u32_e64 s[12:13], v0, v10
	v_add_u32_e32 v0, -1, v1
	v_and_b32_e32 v12, 64, v1
	v_cmp_lt_i32_e32 vcc, v0, v12
	s_mov_b32 s26, 0
	v_lshlrev_b32_e32 v11, 2, v11
	v_cndmask_b32_e32 v0, v0, v1, vcc
	v_lshlrev_b32_e32 v27, 2, v0
	v_lshrrev_b32_e32 v0, 4, v10
	v_cmp_lt_u32_e64 s[10:11], 31, v1
	v_cmp_eq_u32_e64 s[18:19], 0, v1
	v_and_b32_e32 v28, 60, v0
	v_mul_i32_i24_e32 v0, -12, v10
	v_and_b32_e32 v1, 3, v1
	s_mov_b32 s27, s26
	s_mov_b32 s40, s26
	;; [unrolled: 1-line block ×3, first 2 shown]
	v_cmp_gt_u32_e64 s[14:15], 4, v10
	v_cmp_lt_u32_e64 s[16:17], 63, v10
	v_cmp_eq_u32_e64 s[20:21], 0, v10
	v_cmp_eq_u32_e64 s[22:23], 0, v1
	v_cmp_lt_u32_e64 s[24:25], 1, v1
	v_add_u32_e32 v29, -4, v28
	v_lshlrev_b32_e32 v30, 3, v18
	v_lshlrev_b32_e32 v31, 3, v15
	;; [unrolled: 1-line block ×4, first 2 shown]
	v_mov_b64_e32 v[12:13], s[26:27]
	v_mov_b64_e32 v[14:15], s[40:41]
	v_add_u32_e32 v34, v11, v0
	v_mov_b32_e32 v17, 0
	s_branch .LBB707_14
.LBB707_13:                             ;   in Loop: Header=BB707_14 Depth=1
	s_barrier
	ds_write_b64 v0, v[18:19]
	ds_write_b64 v1, v[20:21]
	;; [unrolled: 1-line block ×4, first 2 shown]
	s_waitcnt lgkmcnt(0)
	s_barrier
	ds_read_b64 v[2:3], v30
	ds_read_b64 v[4:5], v31
	;; [unrolled: 1-line block ×4, first 2 shown]
	s_add_i32 s29, s29, -8
	s_waitcnt lgkmcnt(0)
	s_barrier
	s_cbranch_execz .LBB707_30
.LBB707_14:                             ; =>This Inner Loop Header: Depth=1
	s_waitcnt lgkmcnt(0)
	s_min_u32 s26, s39, s29
	s_lshl_b32 s26, -1, s26
	s_waitcnt vmcnt(0)
	v_mov_b32_e32 v18, v2
	v_mov_b32_e32 v19, v3
	s_not_b32 s40, s26
	v_lshrrev_b64 v[0:1], s28, v[18:19]
	v_and_b32_e32 v2, s40, v0
	v_lshl_add_u32 v0, v2, 2, v26
	v_and_b32_e32 v16, 1, v2
	v_lshl_add_u32 v35, v0, 2, 16
	v_lshl_add_u64 v[0:1], v[16:17], 0, -1
	v_cmp_ne_u32_e32 vcc, 0, v16
	ds_write2_b64 v11, v[12:13], v[14:15] offset0:2 offset1:3
	s_waitcnt lgkmcnt(0)
	v_xor_b32_e32 v1, vcc_hi, v1
	v_xor_b32_e32 v0, vcc_lo, v0
	v_and_b32_e32 v3, exec_hi, v1
	v_and_b32_e32 v16, exec_lo, v0
	v_lshlrev_b32_e32 v1, 30, v2
	v_mov_b32_e32 v0, v17
	v_cmp_gt_i64_e32 vcc, 0, v[0:1]
	v_not_b32_e32 v0, v1
	v_ashrrev_i32_e32 v0, 31, v0
	v_xor_b32_e32 v1, vcc_hi, v0
	v_xor_b32_e32 v0, vcc_lo, v0
	v_and_b32_e32 v3, v3, v1
	v_and_b32_e32 v16, v16, v0
	v_lshlrev_b32_e32 v1, 29, v2
	v_mov_b32_e32 v0, v17
	v_cmp_gt_i64_e32 vcc, 0, v[0:1]
	v_not_b32_e32 v0, v1
	v_ashrrev_i32_e32 v0, 31, v0
	v_xor_b32_e32 v1, vcc_hi, v0
	v_xor_b32_e32 v0, vcc_lo, v0
	v_and_b32_e32 v3, v3, v1
	v_and_b32_e32 v16, v16, v0
	;; [unrolled: 9-line block ×7, first 2 shown]
	v_mbcnt_lo_u32_b32 v2, v0, 0
	v_mbcnt_hi_u32_b32 v36, v1, v2
	v_cmp_eq_u32_e32 vcc, 0, v36
	v_cmp_ne_u64_e64 s[26:27], 0, v[0:1]
	s_and_b64 s[42:43], s[26:27], vcc
	s_barrier
	s_waitcnt lgkmcnt(0)
	; wave barrier
	s_and_saveexec_b64 s[26:27], s[42:43]
	s_cbranch_execz .LBB707_16
; %bb.15:                               ;   in Loop: Header=BB707_14 Depth=1
	v_bcnt_u32_b32 v0, v0, 0
	v_bcnt_u32_b32 v0, v1, v0
	ds_write_b32 v35, v0
.LBB707_16:                             ;   in Loop: Header=BB707_14 Depth=1
	s_or_b64 exec, exec, s[26:27]
	v_mov_b32_e32 v20, v4
	v_mov_b32_e32 v21, v5
	v_lshrrev_b64 v[0:1], s28, v[20:21]
	v_and_b32_e32 v2, s40, v0
	v_lshlrev_b32_e32 v0, 2, v2
	v_add_lshl_u32 v0, v0, v26, 2
	v_and_b32_e32 v16, 1, v2
	; wave barrier
	v_add_u32_e32 v5, 16, v0
	ds_read_b32 v4, v0 offset:16
	v_lshl_add_u64 v[0:1], v[16:17], 0, -1
	v_cmp_ne_u32_e32 vcc, 0, v16
	; wave barrier
	s_nop 1
	v_xor_b32_e32 v1, vcc_hi, v1
	v_xor_b32_e32 v0, vcc_lo, v0
	v_and_b32_e32 v3, exec_hi, v1
	v_and_b32_e32 v16, exec_lo, v0
	v_lshlrev_b32_e32 v1, 30, v2
	v_mov_b32_e32 v0, v17
	v_cmp_gt_i64_e32 vcc, 0, v[0:1]
	v_not_b32_e32 v0, v1
	v_ashrrev_i32_e32 v0, 31, v0
	v_xor_b32_e32 v1, vcc_hi, v0
	v_xor_b32_e32 v0, vcc_lo, v0
	v_and_b32_e32 v3, v3, v1
	v_and_b32_e32 v16, v16, v0
	v_lshlrev_b32_e32 v1, 29, v2
	v_mov_b32_e32 v0, v17
	v_cmp_gt_i64_e32 vcc, 0, v[0:1]
	v_not_b32_e32 v0, v1
	v_ashrrev_i32_e32 v0, 31, v0
	v_xor_b32_e32 v1, vcc_hi, v0
	v_xor_b32_e32 v0, vcc_lo, v0
	v_and_b32_e32 v3, v3, v1
	v_and_b32_e32 v16, v16, v0
	;; [unrolled: 9-line block ×7, first 2 shown]
	v_mbcnt_lo_u32_b32 v2, v0, 0
	v_mbcnt_hi_u32_b32 v37, v1, v2
	v_cmp_eq_u32_e32 vcc, 0, v37
	v_cmp_ne_u64_e64 s[26:27], 0, v[0:1]
	s_and_b64 s[42:43], s[26:27], vcc
	s_and_saveexec_b64 s[26:27], s[42:43]
	s_cbranch_execz .LBB707_18
; %bb.17:                               ;   in Loop: Header=BB707_14 Depth=1
	v_bcnt_u32_b32 v0, v0, 0
	v_bcnt_u32_b32 v0, v1, v0
	s_waitcnt lgkmcnt(0)
	v_add_u32_e32 v0, v4, v0
	ds_write_b32 v5, v0
.LBB707_18:                             ;   in Loop: Header=BB707_14 Depth=1
	s_or_b64 exec, exec, s[26:27]
	v_mov_b32_e32 v22, v6
	v_mov_b32_e32 v23, v7
	v_lshrrev_b64 v[0:1], s28, v[22:23]
	v_and_b32_e32 v2, s40, v0
	v_lshlrev_b32_e32 v0, 2, v2
	v_add_lshl_u32 v0, v0, v26, 2
	v_and_b32_e32 v16, 1, v2
	; wave barrier
	v_add_u32_e32 v7, 16, v0
	ds_read_b32 v6, v0 offset:16
	v_lshl_add_u64 v[0:1], v[16:17], 0, -1
	v_cmp_ne_u32_e32 vcc, 0, v16
	; wave barrier
	s_nop 1
	v_xor_b32_e32 v1, vcc_hi, v1
	v_xor_b32_e32 v0, vcc_lo, v0
	v_and_b32_e32 v3, exec_hi, v1
	v_and_b32_e32 v16, exec_lo, v0
	v_lshlrev_b32_e32 v1, 30, v2
	v_mov_b32_e32 v0, v17
	v_cmp_gt_i64_e32 vcc, 0, v[0:1]
	v_not_b32_e32 v0, v1
	v_ashrrev_i32_e32 v0, 31, v0
	v_xor_b32_e32 v1, vcc_hi, v0
	v_xor_b32_e32 v0, vcc_lo, v0
	v_and_b32_e32 v3, v3, v1
	v_and_b32_e32 v16, v16, v0
	v_lshlrev_b32_e32 v1, 29, v2
	v_mov_b32_e32 v0, v17
	v_cmp_gt_i64_e32 vcc, 0, v[0:1]
	v_not_b32_e32 v0, v1
	v_ashrrev_i32_e32 v0, 31, v0
	v_xor_b32_e32 v1, vcc_hi, v0
	v_xor_b32_e32 v0, vcc_lo, v0
	v_and_b32_e32 v3, v3, v1
	v_and_b32_e32 v16, v16, v0
	;; [unrolled: 9-line block ×7, first 2 shown]
	v_mbcnt_lo_u32_b32 v2, v0, 0
	v_mbcnt_hi_u32_b32 v38, v1, v2
	v_cmp_eq_u32_e32 vcc, 0, v38
	v_cmp_ne_u64_e64 s[26:27], 0, v[0:1]
	s_and_b64 s[42:43], s[26:27], vcc
	s_and_saveexec_b64 s[26:27], s[42:43]
	s_cbranch_execz .LBB707_20
; %bb.19:                               ;   in Loop: Header=BB707_14 Depth=1
	v_bcnt_u32_b32 v0, v0, 0
	v_bcnt_u32_b32 v0, v1, v0
	s_waitcnt lgkmcnt(0)
	v_add_u32_e32 v0, v6, v0
	ds_write_b32 v7, v0
.LBB707_20:                             ;   in Loop: Header=BB707_14 Depth=1
	s_or_b64 exec, exec, s[26:27]
	v_mov_b32_e32 v24, v8
	v_mov_b32_e32 v25, v9
	v_lshrrev_b64 v[0:1], s28, v[24:25]
	v_and_b32_e32 v2, s40, v0
	v_lshlrev_b32_e32 v0, 2, v2
	v_add_lshl_u32 v0, v0, v26, 2
	v_and_b32_e32 v16, 1, v2
	; wave barrier
	v_add_u32_e32 v9, 16, v0
	ds_read_b32 v8, v0 offset:16
	v_lshl_add_u64 v[0:1], v[16:17], 0, -1
	v_cmp_ne_u32_e32 vcc, 0, v16
	; wave barrier
	s_nop 1
	v_xor_b32_e32 v1, vcc_hi, v1
	v_xor_b32_e32 v0, vcc_lo, v0
	v_and_b32_e32 v3, exec_hi, v1
	v_and_b32_e32 v16, exec_lo, v0
	v_lshlrev_b32_e32 v1, 30, v2
	v_mov_b32_e32 v0, v17
	v_cmp_gt_i64_e32 vcc, 0, v[0:1]
	v_not_b32_e32 v0, v1
	v_ashrrev_i32_e32 v0, 31, v0
	v_xor_b32_e32 v1, vcc_hi, v0
	v_xor_b32_e32 v0, vcc_lo, v0
	v_and_b32_e32 v3, v3, v1
	v_and_b32_e32 v16, v16, v0
	v_lshlrev_b32_e32 v1, 29, v2
	v_mov_b32_e32 v0, v17
	v_cmp_gt_i64_e32 vcc, 0, v[0:1]
	v_not_b32_e32 v0, v1
	v_ashrrev_i32_e32 v0, 31, v0
	v_xor_b32_e32 v1, vcc_hi, v0
	v_xor_b32_e32 v0, vcc_lo, v0
	v_and_b32_e32 v3, v3, v1
	v_and_b32_e32 v16, v16, v0
	;; [unrolled: 9-line block ×7, first 2 shown]
	v_mbcnt_lo_u32_b32 v2, v0, 0
	v_mbcnt_hi_u32_b32 v16, v1, v2
	v_cmp_eq_u32_e32 vcc, 0, v16
	v_cmp_ne_u64_e64 s[26:27], 0, v[0:1]
	s_and_b64 s[40:41], s[26:27], vcc
	s_and_saveexec_b64 s[26:27], s[40:41]
	s_cbranch_execz .LBB707_22
; %bb.21:                               ;   in Loop: Header=BB707_14 Depth=1
	v_bcnt_u32_b32 v0, v0, 0
	v_bcnt_u32_b32 v0, v1, v0
	s_waitcnt lgkmcnt(0)
	v_add_u32_e32 v0, v8, v0
	ds_write_b32 v9, v0
.LBB707_22:                             ;   in Loop: Header=BB707_14 Depth=1
	s_or_b64 exec, exec, s[26:27]
	; wave barrier
	s_waitcnt lgkmcnt(0)
	s_barrier
	ds_read2_b64 v[0:3], v11 offset0:2 offset1:3
	s_waitcnt lgkmcnt(0)
	v_add_u32_e32 v39, v1, v0
	v_add3_u32 v3, v39, v2, v3
	s_nop 1
	v_mov_b32_dpp v39, v3 row_shr:1 row_mask:0xf bank_mask:0xf
	v_cndmask_b32_e64 v39, v39, 0, s[0:1]
	v_add_u32_e32 v3, v39, v3
	s_nop 1
	v_mov_b32_dpp v39, v3 row_shr:2 row_mask:0xf bank_mask:0xf
	v_cndmask_b32_e64 v39, 0, v39, s[2:3]
	v_add_u32_e32 v3, v3, v39
	;; [unrolled: 4-line block ×4, first 2 shown]
	s_nop 1
	v_mov_b32_dpp v39, v3 row_bcast:15 row_mask:0xf bank_mask:0xf
	v_cndmask_b32_e64 v39, v39, 0, s[8:9]
	v_add_u32_e32 v3, v3, v39
	s_nop 1
	v_mov_b32_dpp v39, v3 row_bcast:31 row_mask:0xf bank_mask:0xf
	v_cndmask_b32_e64 v39, 0, v39, s[10:11]
	v_add_u32_e32 v3, v3, v39
	s_and_saveexec_b64 s[26:27], s[12:13]
	s_cbranch_execz .LBB707_24
; %bb.23:                               ;   in Loop: Header=BB707_14 Depth=1
	ds_write_b32 v28, v3
.LBB707_24:                             ;   in Loop: Header=BB707_14 Depth=1
	s_or_b64 exec, exec, s[26:27]
	s_waitcnt lgkmcnt(0)
	s_barrier
	s_and_saveexec_b64 s[26:27], s[14:15]
	s_cbranch_execz .LBB707_26
; %bb.25:                               ;   in Loop: Header=BB707_14 Depth=1
	ds_read_b32 v39, v34
	s_waitcnt lgkmcnt(0)
	s_nop 0
	v_mov_b32_dpp v40, v39 row_shr:1 row_mask:0xf bank_mask:0xf
	v_cndmask_b32_e64 v40, v40, 0, s[22:23]
	v_add_u32_e32 v39, v40, v39
	s_nop 1
	v_mov_b32_dpp v40, v39 row_shr:2 row_mask:0xf bank_mask:0xf
	v_cndmask_b32_e64 v40, 0, v40, s[24:25]
	v_add_u32_e32 v39, v39, v40
	ds_write_b32 v34, v39
.LBB707_26:                             ;   in Loop: Header=BB707_14 Depth=1
	s_or_b64 exec, exec, s[26:27]
	v_mov_b32_e32 v39, 0
	s_waitcnt lgkmcnt(0)
	s_barrier
	s_and_saveexec_b64 s[26:27], s[16:17]
	s_cbranch_execz .LBB707_28
; %bb.27:                               ;   in Loop: Header=BB707_14 Depth=1
	ds_read_b32 v39, v29
.LBB707_28:                             ;   in Loop: Header=BB707_14 Depth=1
	s_or_b64 exec, exec, s[26:27]
	s_waitcnt lgkmcnt(0)
	v_add_u32_e32 v3, v39, v3
	ds_bpermute_b32 v3, v27, v3
	v_lshlrev_b32_e32 v4, 3, v4
	s_add_i32 s28, s28, 8
	s_cmp_ge_u32 s28, s38
	s_waitcnt lgkmcnt(0)
	v_cndmask_b32_e64 v3, v3, v39, s[18:19]
	v_cndmask_b32_e64 v40, v3, 0, s[20:21]
	v_add_u32_e32 v41, v40, v0
	v_add_u32_e32 v0, v41, v1
	;; [unrolled: 1-line block ×3, first 2 shown]
	ds_write2_b64 v11, v[40:41], v[0:1] offset0:2 offset1:3
	s_waitcnt lgkmcnt(0)
	s_barrier
	ds_read_b32 v0, v35
	ds_read_b32 v1, v5
	;; [unrolled: 1-line block ×4, first 2 shown]
	v_lshlrev_b32_e32 v5, 3, v36
	s_waitcnt lgkmcnt(3)
	v_lshl_add_u32 v0, v0, 3, v5
	v_lshlrev_b32_e32 v5, 3, v37
	s_waitcnt lgkmcnt(2)
	v_lshlrev_b32_e32 v1, 3, v1
	v_add3_u32 v1, v5, v4, v1
	v_lshlrev_b32_e32 v4, 3, v38
	v_lshlrev_b32_e32 v5, 3, v6
	s_waitcnt lgkmcnt(1)
	v_lshlrev_b32_e32 v2, 3, v2
	v_add3_u32 v35, v4, v5, v2
	v_lshlrev_b32_e32 v2, 3, v16
	v_lshlrev_b32_e32 v4, 3, v8
	s_waitcnt lgkmcnt(0)
	v_lshlrev_b32_e32 v3, 3, v3
	v_add3_u32 v16, v2, v4, v3
	s_cbranch_scc0 .LBB707_13
; %bb.29:
                                        ; implicit-def: $sgpr28
                                        ; implicit-def: $vgpr2_vgpr3_vgpr4_vgpr5_vgpr6_vgpr7_vgpr8_vgpr9
.LBB707_30:
	v_lshlrev_b32_e32 v8, 3, v10
	s_barrier
	ds_write_b64 v0, v[18:19]
	ds_write_b64 v1, v[20:21]
	;; [unrolled: 1-line block ×4, first 2 shown]
	s_waitcnt lgkmcnt(0)
	s_barrier
	ds_read2st64_b64 v[4:7], v8 offset1:4
	ds_read2st64_b64 v[0:3], v8 offset0:8 offset1:12
	s_add_u32 s0, s30, s36
	s_addc_u32 s1, s31, s37
	v_mov_b32_e32 v9, 0
	s_andn2_b64 vcc, exec, s[34:35]
	v_lshl_add_u64 v[8:9], s[0:1], 0, v[8:9]
	s_cbranch_vccnz .LBB707_32
; %bb.31:
	v_add_co_u32_e32 v12, vcc, 0x1000, v8
	s_nop 1
	v_addc_co_u32_e32 v13, vcc, 0, v9, vcc
	s_mov_b64 s[0:1], -1
	s_waitcnt lgkmcnt(1)
	global_store_dwordx2 v[8:9], v[4:5], off
	global_store_dwordx2 v[8:9], v[6:7], off offset:2048
	s_waitcnt lgkmcnt(0)
	global_store_dwordx2 v[12:13], v[0:1], off
	s_cbranch_execz .LBB707_33
	s_branch .LBB707_40
.LBB707_32:
	s_mov_b64 s[0:1], 0
.LBB707_33:
	v_cmp_gt_u32_e32 vcc, s33, v10
	s_and_saveexec_b64 s[0:1], vcc
	s_cbranch_execz .LBB707_35
; %bb.34:
	s_waitcnt lgkmcnt(1)
	global_store_dwordx2 v[8:9], v[4:5], off
.LBB707_35:
	s_or_b64 exec, exec, s[0:1]
	s_waitcnt lgkmcnt(1)
	v_add_u32_e32 v4, 0x100, v10
	v_cmp_gt_u32_e32 vcc, s33, v4
	s_and_saveexec_b64 s[0:1], vcc
	s_cbranch_execz .LBB707_37
; %bb.36:
	global_store_dwordx2 v[8:9], v[6:7], off offset:2048
.LBB707_37:
	s_or_b64 exec, exec, s[0:1]
	v_add_u32_e32 v4, 0x200, v10
	v_cmp_gt_u32_e32 vcc, s33, v4
	s_and_saveexec_b64 s[0:1], vcc
	s_cbranch_execz .LBB707_39
; %bb.38:
	v_add_co_u32_e32 v4, vcc, 0x1000, v8
	s_nop 1
	v_addc_co_u32_e32 v5, vcc, 0, v9, vcc
	s_waitcnt lgkmcnt(0)
	global_store_dwordx2 v[4:5], v[0:1], off
.LBB707_39:
	s_or_b64 exec, exec, s[0:1]
	s_waitcnt lgkmcnt(0)
	v_add_u32_e32 v0, 0x300, v10
	v_cmp_gt_u32_e64 s[0:1], s33, v0
.LBB707_40:
	s_and_saveexec_b64 s[2:3], s[0:1]
	s_cbranch_execnz .LBB707_42
; %bb.41:
	s_endpgm
.LBB707_42:
	s_waitcnt lgkmcnt(0)
	v_add_co_u32_e32 v0, vcc, 0x1000, v8
	s_nop 1
	v_addc_co_u32_e32 v1, vcc, 0, v9, vcc
	global_store_dwordx2 v[0:1], v[2:3], off offset:2048
	s_endpgm
	.section	.rodata,"a",@progbits
	.p2align	6, 0x0
	.amdhsa_kernel _ZN7rocprim17ROCPRIM_400000_NS6detail17trampoline_kernelINS0_13kernel_configILj256ELj4ELj4294967295EEENS1_37radix_sort_block_sort_config_selectorIyNS0_10empty_typeEEEZNS1_21radix_sort_block_sortIS4_Lb0EN6thrust23THRUST_200600_302600_NS6detail15normal_iteratorINSA_10device_ptrIyEEEESF_PS6_SG_NS0_19identity_decomposerEEE10hipError_tT1_T2_T3_T4_jRjT5_jjP12ihipStream_tbEUlT_E_NS1_11comp_targetILNS1_3genE5ELNS1_11target_archE942ELNS1_3gpuE9ELNS1_3repE0EEENS1_44radix_sort_block_sort_config_static_selectorELNS0_4arch9wavefront6targetE1EEEvSJ_
		.amdhsa_group_segment_fixed_size 8192
		.amdhsa_private_segment_fixed_size 0
		.amdhsa_kernarg_size 304
		.amdhsa_user_sgpr_count 2
		.amdhsa_user_sgpr_dispatch_ptr 0
		.amdhsa_user_sgpr_queue_ptr 0
		.amdhsa_user_sgpr_kernarg_segment_ptr 1
		.amdhsa_user_sgpr_dispatch_id 0
		.amdhsa_user_sgpr_kernarg_preload_length 0
		.amdhsa_user_sgpr_kernarg_preload_offset 0
		.amdhsa_user_sgpr_private_segment_size 0
		.amdhsa_uses_dynamic_stack 0
		.amdhsa_enable_private_segment 0
		.amdhsa_system_sgpr_workgroup_id_x 1
		.amdhsa_system_sgpr_workgroup_id_y 0
		.amdhsa_system_sgpr_workgroup_id_z 0
		.amdhsa_system_sgpr_workgroup_info 0
		.amdhsa_system_vgpr_workitem_id 2
		.amdhsa_next_free_vgpr 42
		.amdhsa_next_free_sgpr 44
		.amdhsa_accum_offset 44
		.amdhsa_reserve_vcc 1
		.amdhsa_float_round_mode_32 0
		.amdhsa_float_round_mode_16_64 0
		.amdhsa_float_denorm_mode_32 3
		.amdhsa_float_denorm_mode_16_64 3
		.amdhsa_dx10_clamp 1
		.amdhsa_ieee_mode 1
		.amdhsa_fp16_overflow 0
		.amdhsa_tg_split 0
		.amdhsa_exception_fp_ieee_invalid_op 0
		.amdhsa_exception_fp_denorm_src 0
		.amdhsa_exception_fp_ieee_div_zero 0
		.amdhsa_exception_fp_ieee_overflow 0
		.amdhsa_exception_fp_ieee_underflow 0
		.amdhsa_exception_fp_ieee_inexact 0
		.amdhsa_exception_int_div_zero 0
	.end_amdhsa_kernel
	.section	.text._ZN7rocprim17ROCPRIM_400000_NS6detail17trampoline_kernelINS0_13kernel_configILj256ELj4ELj4294967295EEENS1_37radix_sort_block_sort_config_selectorIyNS0_10empty_typeEEEZNS1_21radix_sort_block_sortIS4_Lb0EN6thrust23THRUST_200600_302600_NS6detail15normal_iteratorINSA_10device_ptrIyEEEESF_PS6_SG_NS0_19identity_decomposerEEE10hipError_tT1_T2_T3_T4_jRjT5_jjP12ihipStream_tbEUlT_E_NS1_11comp_targetILNS1_3genE5ELNS1_11target_archE942ELNS1_3gpuE9ELNS1_3repE0EEENS1_44radix_sort_block_sort_config_static_selectorELNS0_4arch9wavefront6targetE1EEEvSJ_,"axG",@progbits,_ZN7rocprim17ROCPRIM_400000_NS6detail17trampoline_kernelINS0_13kernel_configILj256ELj4ELj4294967295EEENS1_37radix_sort_block_sort_config_selectorIyNS0_10empty_typeEEEZNS1_21radix_sort_block_sortIS4_Lb0EN6thrust23THRUST_200600_302600_NS6detail15normal_iteratorINSA_10device_ptrIyEEEESF_PS6_SG_NS0_19identity_decomposerEEE10hipError_tT1_T2_T3_T4_jRjT5_jjP12ihipStream_tbEUlT_E_NS1_11comp_targetILNS1_3genE5ELNS1_11target_archE942ELNS1_3gpuE9ELNS1_3repE0EEENS1_44radix_sort_block_sort_config_static_selectorELNS0_4arch9wavefront6targetE1EEEvSJ_,comdat
.Lfunc_end707:
	.size	_ZN7rocprim17ROCPRIM_400000_NS6detail17trampoline_kernelINS0_13kernel_configILj256ELj4ELj4294967295EEENS1_37radix_sort_block_sort_config_selectorIyNS0_10empty_typeEEEZNS1_21radix_sort_block_sortIS4_Lb0EN6thrust23THRUST_200600_302600_NS6detail15normal_iteratorINSA_10device_ptrIyEEEESF_PS6_SG_NS0_19identity_decomposerEEE10hipError_tT1_T2_T3_T4_jRjT5_jjP12ihipStream_tbEUlT_E_NS1_11comp_targetILNS1_3genE5ELNS1_11target_archE942ELNS1_3gpuE9ELNS1_3repE0EEENS1_44radix_sort_block_sort_config_static_selectorELNS0_4arch9wavefront6targetE1EEEvSJ_, .Lfunc_end707-_ZN7rocprim17ROCPRIM_400000_NS6detail17trampoline_kernelINS0_13kernel_configILj256ELj4ELj4294967295EEENS1_37radix_sort_block_sort_config_selectorIyNS0_10empty_typeEEEZNS1_21radix_sort_block_sortIS4_Lb0EN6thrust23THRUST_200600_302600_NS6detail15normal_iteratorINSA_10device_ptrIyEEEESF_PS6_SG_NS0_19identity_decomposerEEE10hipError_tT1_T2_T3_T4_jRjT5_jjP12ihipStream_tbEUlT_E_NS1_11comp_targetILNS1_3genE5ELNS1_11target_archE942ELNS1_3gpuE9ELNS1_3repE0EEENS1_44radix_sort_block_sort_config_static_selectorELNS0_4arch9wavefront6targetE1EEEvSJ_
                                        ; -- End function
	.section	.AMDGPU.csdata,"",@progbits
; Kernel info:
; codeLenInByte = 3328
; NumSgprs: 50
; NumVgprs: 42
; NumAgprs: 0
; TotalNumVgprs: 42
; ScratchSize: 0
; MemoryBound: 1
; FloatMode: 240
; IeeeMode: 1
; LDSByteSize: 8192 bytes/workgroup (compile time only)
; SGPRBlocks: 6
; VGPRBlocks: 5
; NumSGPRsForWavesPerEU: 50
; NumVGPRsForWavesPerEU: 42
; AccumOffset: 44
; Occupancy: 8
; WaveLimiterHint : 1
; COMPUTE_PGM_RSRC2:SCRATCH_EN: 0
; COMPUTE_PGM_RSRC2:USER_SGPR: 2
; COMPUTE_PGM_RSRC2:TRAP_HANDLER: 0
; COMPUTE_PGM_RSRC2:TGID_X_EN: 1
; COMPUTE_PGM_RSRC2:TGID_Y_EN: 0
; COMPUTE_PGM_RSRC2:TGID_Z_EN: 0
; COMPUTE_PGM_RSRC2:TIDIG_COMP_CNT: 2
; COMPUTE_PGM_RSRC3_GFX90A:ACCUM_OFFSET: 10
; COMPUTE_PGM_RSRC3_GFX90A:TG_SPLIT: 0
	.section	.text._ZN7rocprim17ROCPRIM_400000_NS6detail17trampoline_kernelINS0_13kernel_configILj256ELj4ELj4294967295EEENS1_37radix_sort_block_sort_config_selectorIyNS0_10empty_typeEEEZNS1_21radix_sort_block_sortIS4_Lb0EN6thrust23THRUST_200600_302600_NS6detail15normal_iteratorINSA_10device_ptrIyEEEESF_PS6_SG_NS0_19identity_decomposerEEE10hipError_tT1_T2_T3_T4_jRjT5_jjP12ihipStream_tbEUlT_E_NS1_11comp_targetILNS1_3genE4ELNS1_11target_archE910ELNS1_3gpuE8ELNS1_3repE0EEENS1_44radix_sort_block_sort_config_static_selectorELNS0_4arch9wavefront6targetE1EEEvSJ_,"axG",@progbits,_ZN7rocprim17ROCPRIM_400000_NS6detail17trampoline_kernelINS0_13kernel_configILj256ELj4ELj4294967295EEENS1_37radix_sort_block_sort_config_selectorIyNS0_10empty_typeEEEZNS1_21radix_sort_block_sortIS4_Lb0EN6thrust23THRUST_200600_302600_NS6detail15normal_iteratorINSA_10device_ptrIyEEEESF_PS6_SG_NS0_19identity_decomposerEEE10hipError_tT1_T2_T3_T4_jRjT5_jjP12ihipStream_tbEUlT_E_NS1_11comp_targetILNS1_3genE4ELNS1_11target_archE910ELNS1_3gpuE8ELNS1_3repE0EEENS1_44radix_sort_block_sort_config_static_selectorELNS0_4arch9wavefront6targetE1EEEvSJ_,comdat
	.protected	_ZN7rocprim17ROCPRIM_400000_NS6detail17trampoline_kernelINS0_13kernel_configILj256ELj4ELj4294967295EEENS1_37radix_sort_block_sort_config_selectorIyNS0_10empty_typeEEEZNS1_21radix_sort_block_sortIS4_Lb0EN6thrust23THRUST_200600_302600_NS6detail15normal_iteratorINSA_10device_ptrIyEEEESF_PS6_SG_NS0_19identity_decomposerEEE10hipError_tT1_T2_T3_T4_jRjT5_jjP12ihipStream_tbEUlT_E_NS1_11comp_targetILNS1_3genE4ELNS1_11target_archE910ELNS1_3gpuE8ELNS1_3repE0EEENS1_44radix_sort_block_sort_config_static_selectorELNS0_4arch9wavefront6targetE1EEEvSJ_ ; -- Begin function _ZN7rocprim17ROCPRIM_400000_NS6detail17trampoline_kernelINS0_13kernel_configILj256ELj4ELj4294967295EEENS1_37radix_sort_block_sort_config_selectorIyNS0_10empty_typeEEEZNS1_21radix_sort_block_sortIS4_Lb0EN6thrust23THRUST_200600_302600_NS6detail15normal_iteratorINSA_10device_ptrIyEEEESF_PS6_SG_NS0_19identity_decomposerEEE10hipError_tT1_T2_T3_T4_jRjT5_jjP12ihipStream_tbEUlT_E_NS1_11comp_targetILNS1_3genE4ELNS1_11target_archE910ELNS1_3gpuE8ELNS1_3repE0EEENS1_44radix_sort_block_sort_config_static_selectorELNS0_4arch9wavefront6targetE1EEEvSJ_
	.globl	_ZN7rocprim17ROCPRIM_400000_NS6detail17trampoline_kernelINS0_13kernel_configILj256ELj4ELj4294967295EEENS1_37radix_sort_block_sort_config_selectorIyNS0_10empty_typeEEEZNS1_21radix_sort_block_sortIS4_Lb0EN6thrust23THRUST_200600_302600_NS6detail15normal_iteratorINSA_10device_ptrIyEEEESF_PS6_SG_NS0_19identity_decomposerEEE10hipError_tT1_T2_T3_T4_jRjT5_jjP12ihipStream_tbEUlT_E_NS1_11comp_targetILNS1_3genE4ELNS1_11target_archE910ELNS1_3gpuE8ELNS1_3repE0EEENS1_44radix_sort_block_sort_config_static_selectorELNS0_4arch9wavefront6targetE1EEEvSJ_
	.p2align	8
	.type	_ZN7rocprim17ROCPRIM_400000_NS6detail17trampoline_kernelINS0_13kernel_configILj256ELj4ELj4294967295EEENS1_37radix_sort_block_sort_config_selectorIyNS0_10empty_typeEEEZNS1_21radix_sort_block_sortIS4_Lb0EN6thrust23THRUST_200600_302600_NS6detail15normal_iteratorINSA_10device_ptrIyEEEESF_PS6_SG_NS0_19identity_decomposerEEE10hipError_tT1_T2_T3_T4_jRjT5_jjP12ihipStream_tbEUlT_E_NS1_11comp_targetILNS1_3genE4ELNS1_11target_archE910ELNS1_3gpuE8ELNS1_3repE0EEENS1_44radix_sort_block_sort_config_static_selectorELNS0_4arch9wavefront6targetE1EEEvSJ_,@function
_ZN7rocprim17ROCPRIM_400000_NS6detail17trampoline_kernelINS0_13kernel_configILj256ELj4ELj4294967295EEENS1_37radix_sort_block_sort_config_selectorIyNS0_10empty_typeEEEZNS1_21radix_sort_block_sortIS4_Lb0EN6thrust23THRUST_200600_302600_NS6detail15normal_iteratorINSA_10device_ptrIyEEEESF_PS6_SG_NS0_19identity_decomposerEEE10hipError_tT1_T2_T3_T4_jRjT5_jjP12ihipStream_tbEUlT_E_NS1_11comp_targetILNS1_3genE4ELNS1_11target_archE910ELNS1_3gpuE8ELNS1_3repE0EEENS1_44radix_sort_block_sort_config_static_selectorELNS0_4arch9wavefront6targetE1EEEvSJ_: ; @_ZN7rocprim17ROCPRIM_400000_NS6detail17trampoline_kernelINS0_13kernel_configILj256ELj4ELj4294967295EEENS1_37radix_sort_block_sort_config_selectorIyNS0_10empty_typeEEEZNS1_21radix_sort_block_sortIS4_Lb0EN6thrust23THRUST_200600_302600_NS6detail15normal_iteratorINSA_10device_ptrIyEEEESF_PS6_SG_NS0_19identity_decomposerEEE10hipError_tT1_T2_T3_T4_jRjT5_jjP12ihipStream_tbEUlT_E_NS1_11comp_targetILNS1_3genE4ELNS1_11target_archE910ELNS1_3gpuE8ELNS1_3repE0EEENS1_44radix_sort_block_sort_config_static_selectorELNS0_4arch9wavefront6targetE1EEEvSJ_
; %bb.0:
	.section	.rodata,"a",@progbits
	.p2align	6, 0x0
	.amdhsa_kernel _ZN7rocprim17ROCPRIM_400000_NS6detail17trampoline_kernelINS0_13kernel_configILj256ELj4ELj4294967295EEENS1_37radix_sort_block_sort_config_selectorIyNS0_10empty_typeEEEZNS1_21radix_sort_block_sortIS4_Lb0EN6thrust23THRUST_200600_302600_NS6detail15normal_iteratorINSA_10device_ptrIyEEEESF_PS6_SG_NS0_19identity_decomposerEEE10hipError_tT1_T2_T3_T4_jRjT5_jjP12ihipStream_tbEUlT_E_NS1_11comp_targetILNS1_3genE4ELNS1_11target_archE910ELNS1_3gpuE8ELNS1_3repE0EEENS1_44radix_sort_block_sort_config_static_selectorELNS0_4arch9wavefront6targetE1EEEvSJ_
		.amdhsa_group_segment_fixed_size 0
		.amdhsa_private_segment_fixed_size 0
		.amdhsa_kernarg_size 48
		.amdhsa_user_sgpr_count 2
		.amdhsa_user_sgpr_dispatch_ptr 0
		.amdhsa_user_sgpr_queue_ptr 0
		.amdhsa_user_sgpr_kernarg_segment_ptr 1
		.amdhsa_user_sgpr_dispatch_id 0
		.amdhsa_user_sgpr_kernarg_preload_length 0
		.amdhsa_user_sgpr_kernarg_preload_offset 0
		.amdhsa_user_sgpr_private_segment_size 0
		.amdhsa_uses_dynamic_stack 0
		.amdhsa_enable_private_segment 0
		.amdhsa_system_sgpr_workgroup_id_x 1
		.amdhsa_system_sgpr_workgroup_id_y 0
		.amdhsa_system_sgpr_workgroup_id_z 0
		.amdhsa_system_sgpr_workgroup_info 0
		.amdhsa_system_vgpr_workitem_id 0
		.amdhsa_next_free_vgpr 1
		.amdhsa_next_free_sgpr 0
		.amdhsa_accum_offset 4
		.amdhsa_reserve_vcc 0
		.amdhsa_float_round_mode_32 0
		.amdhsa_float_round_mode_16_64 0
		.amdhsa_float_denorm_mode_32 3
		.amdhsa_float_denorm_mode_16_64 3
		.amdhsa_dx10_clamp 1
		.amdhsa_ieee_mode 1
		.amdhsa_fp16_overflow 0
		.amdhsa_tg_split 0
		.amdhsa_exception_fp_ieee_invalid_op 0
		.amdhsa_exception_fp_denorm_src 0
		.amdhsa_exception_fp_ieee_div_zero 0
		.amdhsa_exception_fp_ieee_overflow 0
		.amdhsa_exception_fp_ieee_underflow 0
		.amdhsa_exception_fp_ieee_inexact 0
		.amdhsa_exception_int_div_zero 0
	.end_amdhsa_kernel
	.section	.text._ZN7rocprim17ROCPRIM_400000_NS6detail17trampoline_kernelINS0_13kernel_configILj256ELj4ELj4294967295EEENS1_37radix_sort_block_sort_config_selectorIyNS0_10empty_typeEEEZNS1_21radix_sort_block_sortIS4_Lb0EN6thrust23THRUST_200600_302600_NS6detail15normal_iteratorINSA_10device_ptrIyEEEESF_PS6_SG_NS0_19identity_decomposerEEE10hipError_tT1_T2_T3_T4_jRjT5_jjP12ihipStream_tbEUlT_E_NS1_11comp_targetILNS1_3genE4ELNS1_11target_archE910ELNS1_3gpuE8ELNS1_3repE0EEENS1_44radix_sort_block_sort_config_static_selectorELNS0_4arch9wavefront6targetE1EEEvSJ_,"axG",@progbits,_ZN7rocprim17ROCPRIM_400000_NS6detail17trampoline_kernelINS0_13kernel_configILj256ELj4ELj4294967295EEENS1_37radix_sort_block_sort_config_selectorIyNS0_10empty_typeEEEZNS1_21radix_sort_block_sortIS4_Lb0EN6thrust23THRUST_200600_302600_NS6detail15normal_iteratorINSA_10device_ptrIyEEEESF_PS6_SG_NS0_19identity_decomposerEEE10hipError_tT1_T2_T3_T4_jRjT5_jjP12ihipStream_tbEUlT_E_NS1_11comp_targetILNS1_3genE4ELNS1_11target_archE910ELNS1_3gpuE8ELNS1_3repE0EEENS1_44radix_sort_block_sort_config_static_selectorELNS0_4arch9wavefront6targetE1EEEvSJ_,comdat
.Lfunc_end708:
	.size	_ZN7rocprim17ROCPRIM_400000_NS6detail17trampoline_kernelINS0_13kernel_configILj256ELj4ELj4294967295EEENS1_37radix_sort_block_sort_config_selectorIyNS0_10empty_typeEEEZNS1_21radix_sort_block_sortIS4_Lb0EN6thrust23THRUST_200600_302600_NS6detail15normal_iteratorINSA_10device_ptrIyEEEESF_PS6_SG_NS0_19identity_decomposerEEE10hipError_tT1_T2_T3_T4_jRjT5_jjP12ihipStream_tbEUlT_E_NS1_11comp_targetILNS1_3genE4ELNS1_11target_archE910ELNS1_3gpuE8ELNS1_3repE0EEENS1_44radix_sort_block_sort_config_static_selectorELNS0_4arch9wavefront6targetE1EEEvSJ_, .Lfunc_end708-_ZN7rocprim17ROCPRIM_400000_NS6detail17trampoline_kernelINS0_13kernel_configILj256ELj4ELj4294967295EEENS1_37radix_sort_block_sort_config_selectorIyNS0_10empty_typeEEEZNS1_21radix_sort_block_sortIS4_Lb0EN6thrust23THRUST_200600_302600_NS6detail15normal_iteratorINSA_10device_ptrIyEEEESF_PS6_SG_NS0_19identity_decomposerEEE10hipError_tT1_T2_T3_T4_jRjT5_jjP12ihipStream_tbEUlT_E_NS1_11comp_targetILNS1_3genE4ELNS1_11target_archE910ELNS1_3gpuE8ELNS1_3repE0EEENS1_44radix_sort_block_sort_config_static_selectorELNS0_4arch9wavefront6targetE1EEEvSJ_
                                        ; -- End function
	.section	.AMDGPU.csdata,"",@progbits
; Kernel info:
; codeLenInByte = 0
; NumSgprs: 6
; NumVgprs: 0
; NumAgprs: 0
; TotalNumVgprs: 0
; ScratchSize: 0
; MemoryBound: 0
; FloatMode: 240
; IeeeMode: 1
; LDSByteSize: 0 bytes/workgroup (compile time only)
; SGPRBlocks: 0
; VGPRBlocks: 0
; NumSGPRsForWavesPerEU: 6
; NumVGPRsForWavesPerEU: 1
; AccumOffset: 4
; Occupancy: 8
; WaveLimiterHint : 0
; COMPUTE_PGM_RSRC2:SCRATCH_EN: 0
; COMPUTE_PGM_RSRC2:USER_SGPR: 2
; COMPUTE_PGM_RSRC2:TRAP_HANDLER: 0
; COMPUTE_PGM_RSRC2:TGID_X_EN: 1
; COMPUTE_PGM_RSRC2:TGID_Y_EN: 0
; COMPUTE_PGM_RSRC2:TGID_Z_EN: 0
; COMPUTE_PGM_RSRC2:TIDIG_COMP_CNT: 0
; COMPUTE_PGM_RSRC3_GFX90A:ACCUM_OFFSET: 0
; COMPUTE_PGM_RSRC3_GFX90A:TG_SPLIT: 0
	.section	.text._ZN7rocprim17ROCPRIM_400000_NS6detail17trampoline_kernelINS0_13kernel_configILj256ELj4ELj4294967295EEENS1_37radix_sort_block_sort_config_selectorIyNS0_10empty_typeEEEZNS1_21radix_sort_block_sortIS4_Lb0EN6thrust23THRUST_200600_302600_NS6detail15normal_iteratorINSA_10device_ptrIyEEEESF_PS6_SG_NS0_19identity_decomposerEEE10hipError_tT1_T2_T3_T4_jRjT5_jjP12ihipStream_tbEUlT_E_NS1_11comp_targetILNS1_3genE3ELNS1_11target_archE908ELNS1_3gpuE7ELNS1_3repE0EEENS1_44radix_sort_block_sort_config_static_selectorELNS0_4arch9wavefront6targetE1EEEvSJ_,"axG",@progbits,_ZN7rocprim17ROCPRIM_400000_NS6detail17trampoline_kernelINS0_13kernel_configILj256ELj4ELj4294967295EEENS1_37radix_sort_block_sort_config_selectorIyNS0_10empty_typeEEEZNS1_21radix_sort_block_sortIS4_Lb0EN6thrust23THRUST_200600_302600_NS6detail15normal_iteratorINSA_10device_ptrIyEEEESF_PS6_SG_NS0_19identity_decomposerEEE10hipError_tT1_T2_T3_T4_jRjT5_jjP12ihipStream_tbEUlT_E_NS1_11comp_targetILNS1_3genE3ELNS1_11target_archE908ELNS1_3gpuE7ELNS1_3repE0EEENS1_44radix_sort_block_sort_config_static_selectorELNS0_4arch9wavefront6targetE1EEEvSJ_,comdat
	.protected	_ZN7rocprim17ROCPRIM_400000_NS6detail17trampoline_kernelINS0_13kernel_configILj256ELj4ELj4294967295EEENS1_37radix_sort_block_sort_config_selectorIyNS0_10empty_typeEEEZNS1_21radix_sort_block_sortIS4_Lb0EN6thrust23THRUST_200600_302600_NS6detail15normal_iteratorINSA_10device_ptrIyEEEESF_PS6_SG_NS0_19identity_decomposerEEE10hipError_tT1_T2_T3_T4_jRjT5_jjP12ihipStream_tbEUlT_E_NS1_11comp_targetILNS1_3genE3ELNS1_11target_archE908ELNS1_3gpuE7ELNS1_3repE0EEENS1_44radix_sort_block_sort_config_static_selectorELNS0_4arch9wavefront6targetE1EEEvSJ_ ; -- Begin function _ZN7rocprim17ROCPRIM_400000_NS6detail17trampoline_kernelINS0_13kernel_configILj256ELj4ELj4294967295EEENS1_37radix_sort_block_sort_config_selectorIyNS0_10empty_typeEEEZNS1_21radix_sort_block_sortIS4_Lb0EN6thrust23THRUST_200600_302600_NS6detail15normal_iteratorINSA_10device_ptrIyEEEESF_PS6_SG_NS0_19identity_decomposerEEE10hipError_tT1_T2_T3_T4_jRjT5_jjP12ihipStream_tbEUlT_E_NS1_11comp_targetILNS1_3genE3ELNS1_11target_archE908ELNS1_3gpuE7ELNS1_3repE0EEENS1_44radix_sort_block_sort_config_static_selectorELNS0_4arch9wavefront6targetE1EEEvSJ_
	.globl	_ZN7rocprim17ROCPRIM_400000_NS6detail17trampoline_kernelINS0_13kernel_configILj256ELj4ELj4294967295EEENS1_37radix_sort_block_sort_config_selectorIyNS0_10empty_typeEEEZNS1_21radix_sort_block_sortIS4_Lb0EN6thrust23THRUST_200600_302600_NS6detail15normal_iteratorINSA_10device_ptrIyEEEESF_PS6_SG_NS0_19identity_decomposerEEE10hipError_tT1_T2_T3_T4_jRjT5_jjP12ihipStream_tbEUlT_E_NS1_11comp_targetILNS1_3genE3ELNS1_11target_archE908ELNS1_3gpuE7ELNS1_3repE0EEENS1_44radix_sort_block_sort_config_static_selectorELNS0_4arch9wavefront6targetE1EEEvSJ_
	.p2align	8
	.type	_ZN7rocprim17ROCPRIM_400000_NS6detail17trampoline_kernelINS0_13kernel_configILj256ELj4ELj4294967295EEENS1_37radix_sort_block_sort_config_selectorIyNS0_10empty_typeEEEZNS1_21radix_sort_block_sortIS4_Lb0EN6thrust23THRUST_200600_302600_NS6detail15normal_iteratorINSA_10device_ptrIyEEEESF_PS6_SG_NS0_19identity_decomposerEEE10hipError_tT1_T2_T3_T4_jRjT5_jjP12ihipStream_tbEUlT_E_NS1_11comp_targetILNS1_3genE3ELNS1_11target_archE908ELNS1_3gpuE7ELNS1_3repE0EEENS1_44radix_sort_block_sort_config_static_selectorELNS0_4arch9wavefront6targetE1EEEvSJ_,@function
_ZN7rocprim17ROCPRIM_400000_NS6detail17trampoline_kernelINS0_13kernel_configILj256ELj4ELj4294967295EEENS1_37radix_sort_block_sort_config_selectorIyNS0_10empty_typeEEEZNS1_21radix_sort_block_sortIS4_Lb0EN6thrust23THRUST_200600_302600_NS6detail15normal_iteratorINSA_10device_ptrIyEEEESF_PS6_SG_NS0_19identity_decomposerEEE10hipError_tT1_T2_T3_T4_jRjT5_jjP12ihipStream_tbEUlT_E_NS1_11comp_targetILNS1_3genE3ELNS1_11target_archE908ELNS1_3gpuE7ELNS1_3repE0EEENS1_44radix_sort_block_sort_config_static_selectorELNS0_4arch9wavefront6targetE1EEEvSJ_: ; @_ZN7rocprim17ROCPRIM_400000_NS6detail17trampoline_kernelINS0_13kernel_configILj256ELj4ELj4294967295EEENS1_37radix_sort_block_sort_config_selectorIyNS0_10empty_typeEEEZNS1_21radix_sort_block_sortIS4_Lb0EN6thrust23THRUST_200600_302600_NS6detail15normal_iteratorINSA_10device_ptrIyEEEESF_PS6_SG_NS0_19identity_decomposerEEE10hipError_tT1_T2_T3_T4_jRjT5_jjP12ihipStream_tbEUlT_E_NS1_11comp_targetILNS1_3genE3ELNS1_11target_archE908ELNS1_3gpuE7ELNS1_3repE0EEENS1_44radix_sort_block_sort_config_static_selectorELNS0_4arch9wavefront6targetE1EEEvSJ_
; %bb.0:
	.section	.rodata,"a",@progbits
	.p2align	6, 0x0
	.amdhsa_kernel _ZN7rocprim17ROCPRIM_400000_NS6detail17trampoline_kernelINS0_13kernel_configILj256ELj4ELj4294967295EEENS1_37radix_sort_block_sort_config_selectorIyNS0_10empty_typeEEEZNS1_21radix_sort_block_sortIS4_Lb0EN6thrust23THRUST_200600_302600_NS6detail15normal_iteratorINSA_10device_ptrIyEEEESF_PS6_SG_NS0_19identity_decomposerEEE10hipError_tT1_T2_T3_T4_jRjT5_jjP12ihipStream_tbEUlT_E_NS1_11comp_targetILNS1_3genE3ELNS1_11target_archE908ELNS1_3gpuE7ELNS1_3repE0EEENS1_44radix_sort_block_sort_config_static_selectorELNS0_4arch9wavefront6targetE1EEEvSJ_
		.amdhsa_group_segment_fixed_size 0
		.amdhsa_private_segment_fixed_size 0
		.amdhsa_kernarg_size 48
		.amdhsa_user_sgpr_count 2
		.amdhsa_user_sgpr_dispatch_ptr 0
		.amdhsa_user_sgpr_queue_ptr 0
		.amdhsa_user_sgpr_kernarg_segment_ptr 1
		.amdhsa_user_sgpr_dispatch_id 0
		.amdhsa_user_sgpr_kernarg_preload_length 0
		.amdhsa_user_sgpr_kernarg_preload_offset 0
		.amdhsa_user_sgpr_private_segment_size 0
		.amdhsa_uses_dynamic_stack 0
		.amdhsa_enable_private_segment 0
		.amdhsa_system_sgpr_workgroup_id_x 1
		.amdhsa_system_sgpr_workgroup_id_y 0
		.amdhsa_system_sgpr_workgroup_id_z 0
		.amdhsa_system_sgpr_workgroup_info 0
		.amdhsa_system_vgpr_workitem_id 0
		.amdhsa_next_free_vgpr 1
		.amdhsa_next_free_sgpr 0
		.amdhsa_accum_offset 4
		.amdhsa_reserve_vcc 0
		.amdhsa_float_round_mode_32 0
		.amdhsa_float_round_mode_16_64 0
		.amdhsa_float_denorm_mode_32 3
		.amdhsa_float_denorm_mode_16_64 3
		.amdhsa_dx10_clamp 1
		.amdhsa_ieee_mode 1
		.amdhsa_fp16_overflow 0
		.amdhsa_tg_split 0
		.amdhsa_exception_fp_ieee_invalid_op 0
		.amdhsa_exception_fp_denorm_src 0
		.amdhsa_exception_fp_ieee_div_zero 0
		.amdhsa_exception_fp_ieee_overflow 0
		.amdhsa_exception_fp_ieee_underflow 0
		.amdhsa_exception_fp_ieee_inexact 0
		.amdhsa_exception_int_div_zero 0
	.end_amdhsa_kernel
	.section	.text._ZN7rocprim17ROCPRIM_400000_NS6detail17trampoline_kernelINS0_13kernel_configILj256ELj4ELj4294967295EEENS1_37radix_sort_block_sort_config_selectorIyNS0_10empty_typeEEEZNS1_21radix_sort_block_sortIS4_Lb0EN6thrust23THRUST_200600_302600_NS6detail15normal_iteratorINSA_10device_ptrIyEEEESF_PS6_SG_NS0_19identity_decomposerEEE10hipError_tT1_T2_T3_T4_jRjT5_jjP12ihipStream_tbEUlT_E_NS1_11comp_targetILNS1_3genE3ELNS1_11target_archE908ELNS1_3gpuE7ELNS1_3repE0EEENS1_44radix_sort_block_sort_config_static_selectorELNS0_4arch9wavefront6targetE1EEEvSJ_,"axG",@progbits,_ZN7rocprim17ROCPRIM_400000_NS6detail17trampoline_kernelINS0_13kernel_configILj256ELj4ELj4294967295EEENS1_37radix_sort_block_sort_config_selectorIyNS0_10empty_typeEEEZNS1_21radix_sort_block_sortIS4_Lb0EN6thrust23THRUST_200600_302600_NS6detail15normal_iteratorINSA_10device_ptrIyEEEESF_PS6_SG_NS0_19identity_decomposerEEE10hipError_tT1_T2_T3_T4_jRjT5_jjP12ihipStream_tbEUlT_E_NS1_11comp_targetILNS1_3genE3ELNS1_11target_archE908ELNS1_3gpuE7ELNS1_3repE0EEENS1_44radix_sort_block_sort_config_static_selectorELNS0_4arch9wavefront6targetE1EEEvSJ_,comdat
.Lfunc_end709:
	.size	_ZN7rocprim17ROCPRIM_400000_NS6detail17trampoline_kernelINS0_13kernel_configILj256ELj4ELj4294967295EEENS1_37radix_sort_block_sort_config_selectorIyNS0_10empty_typeEEEZNS1_21radix_sort_block_sortIS4_Lb0EN6thrust23THRUST_200600_302600_NS6detail15normal_iteratorINSA_10device_ptrIyEEEESF_PS6_SG_NS0_19identity_decomposerEEE10hipError_tT1_T2_T3_T4_jRjT5_jjP12ihipStream_tbEUlT_E_NS1_11comp_targetILNS1_3genE3ELNS1_11target_archE908ELNS1_3gpuE7ELNS1_3repE0EEENS1_44radix_sort_block_sort_config_static_selectorELNS0_4arch9wavefront6targetE1EEEvSJ_, .Lfunc_end709-_ZN7rocprim17ROCPRIM_400000_NS6detail17trampoline_kernelINS0_13kernel_configILj256ELj4ELj4294967295EEENS1_37radix_sort_block_sort_config_selectorIyNS0_10empty_typeEEEZNS1_21radix_sort_block_sortIS4_Lb0EN6thrust23THRUST_200600_302600_NS6detail15normal_iteratorINSA_10device_ptrIyEEEESF_PS6_SG_NS0_19identity_decomposerEEE10hipError_tT1_T2_T3_T4_jRjT5_jjP12ihipStream_tbEUlT_E_NS1_11comp_targetILNS1_3genE3ELNS1_11target_archE908ELNS1_3gpuE7ELNS1_3repE0EEENS1_44radix_sort_block_sort_config_static_selectorELNS0_4arch9wavefront6targetE1EEEvSJ_
                                        ; -- End function
	.section	.AMDGPU.csdata,"",@progbits
; Kernel info:
; codeLenInByte = 0
; NumSgprs: 6
; NumVgprs: 0
; NumAgprs: 0
; TotalNumVgprs: 0
; ScratchSize: 0
; MemoryBound: 0
; FloatMode: 240
; IeeeMode: 1
; LDSByteSize: 0 bytes/workgroup (compile time only)
; SGPRBlocks: 0
; VGPRBlocks: 0
; NumSGPRsForWavesPerEU: 6
; NumVGPRsForWavesPerEU: 1
; AccumOffset: 4
; Occupancy: 8
; WaveLimiterHint : 0
; COMPUTE_PGM_RSRC2:SCRATCH_EN: 0
; COMPUTE_PGM_RSRC2:USER_SGPR: 2
; COMPUTE_PGM_RSRC2:TRAP_HANDLER: 0
; COMPUTE_PGM_RSRC2:TGID_X_EN: 1
; COMPUTE_PGM_RSRC2:TGID_Y_EN: 0
; COMPUTE_PGM_RSRC2:TGID_Z_EN: 0
; COMPUTE_PGM_RSRC2:TIDIG_COMP_CNT: 0
; COMPUTE_PGM_RSRC3_GFX90A:ACCUM_OFFSET: 0
; COMPUTE_PGM_RSRC3_GFX90A:TG_SPLIT: 0
	.section	.text._ZN7rocprim17ROCPRIM_400000_NS6detail17trampoline_kernelINS0_13kernel_configILj256ELj4ELj4294967295EEENS1_37radix_sort_block_sort_config_selectorIyNS0_10empty_typeEEEZNS1_21radix_sort_block_sortIS4_Lb0EN6thrust23THRUST_200600_302600_NS6detail15normal_iteratorINSA_10device_ptrIyEEEESF_PS6_SG_NS0_19identity_decomposerEEE10hipError_tT1_T2_T3_T4_jRjT5_jjP12ihipStream_tbEUlT_E_NS1_11comp_targetILNS1_3genE2ELNS1_11target_archE906ELNS1_3gpuE6ELNS1_3repE0EEENS1_44radix_sort_block_sort_config_static_selectorELNS0_4arch9wavefront6targetE1EEEvSJ_,"axG",@progbits,_ZN7rocprim17ROCPRIM_400000_NS6detail17trampoline_kernelINS0_13kernel_configILj256ELj4ELj4294967295EEENS1_37radix_sort_block_sort_config_selectorIyNS0_10empty_typeEEEZNS1_21radix_sort_block_sortIS4_Lb0EN6thrust23THRUST_200600_302600_NS6detail15normal_iteratorINSA_10device_ptrIyEEEESF_PS6_SG_NS0_19identity_decomposerEEE10hipError_tT1_T2_T3_T4_jRjT5_jjP12ihipStream_tbEUlT_E_NS1_11comp_targetILNS1_3genE2ELNS1_11target_archE906ELNS1_3gpuE6ELNS1_3repE0EEENS1_44radix_sort_block_sort_config_static_selectorELNS0_4arch9wavefront6targetE1EEEvSJ_,comdat
	.protected	_ZN7rocprim17ROCPRIM_400000_NS6detail17trampoline_kernelINS0_13kernel_configILj256ELj4ELj4294967295EEENS1_37radix_sort_block_sort_config_selectorIyNS0_10empty_typeEEEZNS1_21radix_sort_block_sortIS4_Lb0EN6thrust23THRUST_200600_302600_NS6detail15normal_iteratorINSA_10device_ptrIyEEEESF_PS6_SG_NS0_19identity_decomposerEEE10hipError_tT1_T2_T3_T4_jRjT5_jjP12ihipStream_tbEUlT_E_NS1_11comp_targetILNS1_3genE2ELNS1_11target_archE906ELNS1_3gpuE6ELNS1_3repE0EEENS1_44radix_sort_block_sort_config_static_selectorELNS0_4arch9wavefront6targetE1EEEvSJ_ ; -- Begin function _ZN7rocprim17ROCPRIM_400000_NS6detail17trampoline_kernelINS0_13kernel_configILj256ELj4ELj4294967295EEENS1_37radix_sort_block_sort_config_selectorIyNS0_10empty_typeEEEZNS1_21radix_sort_block_sortIS4_Lb0EN6thrust23THRUST_200600_302600_NS6detail15normal_iteratorINSA_10device_ptrIyEEEESF_PS6_SG_NS0_19identity_decomposerEEE10hipError_tT1_T2_T3_T4_jRjT5_jjP12ihipStream_tbEUlT_E_NS1_11comp_targetILNS1_3genE2ELNS1_11target_archE906ELNS1_3gpuE6ELNS1_3repE0EEENS1_44radix_sort_block_sort_config_static_selectorELNS0_4arch9wavefront6targetE1EEEvSJ_
	.globl	_ZN7rocprim17ROCPRIM_400000_NS6detail17trampoline_kernelINS0_13kernel_configILj256ELj4ELj4294967295EEENS1_37radix_sort_block_sort_config_selectorIyNS0_10empty_typeEEEZNS1_21radix_sort_block_sortIS4_Lb0EN6thrust23THRUST_200600_302600_NS6detail15normal_iteratorINSA_10device_ptrIyEEEESF_PS6_SG_NS0_19identity_decomposerEEE10hipError_tT1_T2_T3_T4_jRjT5_jjP12ihipStream_tbEUlT_E_NS1_11comp_targetILNS1_3genE2ELNS1_11target_archE906ELNS1_3gpuE6ELNS1_3repE0EEENS1_44radix_sort_block_sort_config_static_selectorELNS0_4arch9wavefront6targetE1EEEvSJ_
	.p2align	8
	.type	_ZN7rocprim17ROCPRIM_400000_NS6detail17trampoline_kernelINS0_13kernel_configILj256ELj4ELj4294967295EEENS1_37radix_sort_block_sort_config_selectorIyNS0_10empty_typeEEEZNS1_21radix_sort_block_sortIS4_Lb0EN6thrust23THRUST_200600_302600_NS6detail15normal_iteratorINSA_10device_ptrIyEEEESF_PS6_SG_NS0_19identity_decomposerEEE10hipError_tT1_T2_T3_T4_jRjT5_jjP12ihipStream_tbEUlT_E_NS1_11comp_targetILNS1_3genE2ELNS1_11target_archE906ELNS1_3gpuE6ELNS1_3repE0EEENS1_44radix_sort_block_sort_config_static_selectorELNS0_4arch9wavefront6targetE1EEEvSJ_,@function
_ZN7rocprim17ROCPRIM_400000_NS6detail17trampoline_kernelINS0_13kernel_configILj256ELj4ELj4294967295EEENS1_37radix_sort_block_sort_config_selectorIyNS0_10empty_typeEEEZNS1_21radix_sort_block_sortIS4_Lb0EN6thrust23THRUST_200600_302600_NS6detail15normal_iteratorINSA_10device_ptrIyEEEESF_PS6_SG_NS0_19identity_decomposerEEE10hipError_tT1_T2_T3_T4_jRjT5_jjP12ihipStream_tbEUlT_E_NS1_11comp_targetILNS1_3genE2ELNS1_11target_archE906ELNS1_3gpuE6ELNS1_3repE0EEENS1_44radix_sort_block_sort_config_static_selectorELNS0_4arch9wavefront6targetE1EEEvSJ_: ; @_ZN7rocprim17ROCPRIM_400000_NS6detail17trampoline_kernelINS0_13kernel_configILj256ELj4ELj4294967295EEENS1_37radix_sort_block_sort_config_selectorIyNS0_10empty_typeEEEZNS1_21radix_sort_block_sortIS4_Lb0EN6thrust23THRUST_200600_302600_NS6detail15normal_iteratorINSA_10device_ptrIyEEEESF_PS6_SG_NS0_19identity_decomposerEEE10hipError_tT1_T2_T3_T4_jRjT5_jjP12ihipStream_tbEUlT_E_NS1_11comp_targetILNS1_3genE2ELNS1_11target_archE906ELNS1_3gpuE6ELNS1_3repE0EEENS1_44radix_sort_block_sort_config_static_selectorELNS0_4arch9wavefront6targetE1EEEvSJ_
; %bb.0:
	.section	.rodata,"a",@progbits
	.p2align	6, 0x0
	.amdhsa_kernel _ZN7rocprim17ROCPRIM_400000_NS6detail17trampoline_kernelINS0_13kernel_configILj256ELj4ELj4294967295EEENS1_37radix_sort_block_sort_config_selectorIyNS0_10empty_typeEEEZNS1_21radix_sort_block_sortIS4_Lb0EN6thrust23THRUST_200600_302600_NS6detail15normal_iteratorINSA_10device_ptrIyEEEESF_PS6_SG_NS0_19identity_decomposerEEE10hipError_tT1_T2_T3_T4_jRjT5_jjP12ihipStream_tbEUlT_E_NS1_11comp_targetILNS1_3genE2ELNS1_11target_archE906ELNS1_3gpuE6ELNS1_3repE0EEENS1_44radix_sort_block_sort_config_static_selectorELNS0_4arch9wavefront6targetE1EEEvSJ_
		.amdhsa_group_segment_fixed_size 0
		.amdhsa_private_segment_fixed_size 0
		.amdhsa_kernarg_size 48
		.amdhsa_user_sgpr_count 2
		.amdhsa_user_sgpr_dispatch_ptr 0
		.amdhsa_user_sgpr_queue_ptr 0
		.amdhsa_user_sgpr_kernarg_segment_ptr 1
		.amdhsa_user_sgpr_dispatch_id 0
		.amdhsa_user_sgpr_kernarg_preload_length 0
		.amdhsa_user_sgpr_kernarg_preload_offset 0
		.amdhsa_user_sgpr_private_segment_size 0
		.amdhsa_uses_dynamic_stack 0
		.amdhsa_enable_private_segment 0
		.amdhsa_system_sgpr_workgroup_id_x 1
		.amdhsa_system_sgpr_workgroup_id_y 0
		.amdhsa_system_sgpr_workgroup_id_z 0
		.amdhsa_system_sgpr_workgroup_info 0
		.amdhsa_system_vgpr_workitem_id 0
		.amdhsa_next_free_vgpr 1
		.amdhsa_next_free_sgpr 0
		.amdhsa_accum_offset 4
		.amdhsa_reserve_vcc 0
		.amdhsa_float_round_mode_32 0
		.amdhsa_float_round_mode_16_64 0
		.amdhsa_float_denorm_mode_32 3
		.amdhsa_float_denorm_mode_16_64 3
		.amdhsa_dx10_clamp 1
		.amdhsa_ieee_mode 1
		.amdhsa_fp16_overflow 0
		.amdhsa_tg_split 0
		.amdhsa_exception_fp_ieee_invalid_op 0
		.amdhsa_exception_fp_denorm_src 0
		.amdhsa_exception_fp_ieee_div_zero 0
		.amdhsa_exception_fp_ieee_overflow 0
		.amdhsa_exception_fp_ieee_underflow 0
		.amdhsa_exception_fp_ieee_inexact 0
		.amdhsa_exception_int_div_zero 0
	.end_amdhsa_kernel
	.section	.text._ZN7rocprim17ROCPRIM_400000_NS6detail17trampoline_kernelINS0_13kernel_configILj256ELj4ELj4294967295EEENS1_37radix_sort_block_sort_config_selectorIyNS0_10empty_typeEEEZNS1_21radix_sort_block_sortIS4_Lb0EN6thrust23THRUST_200600_302600_NS6detail15normal_iteratorINSA_10device_ptrIyEEEESF_PS6_SG_NS0_19identity_decomposerEEE10hipError_tT1_T2_T3_T4_jRjT5_jjP12ihipStream_tbEUlT_E_NS1_11comp_targetILNS1_3genE2ELNS1_11target_archE906ELNS1_3gpuE6ELNS1_3repE0EEENS1_44radix_sort_block_sort_config_static_selectorELNS0_4arch9wavefront6targetE1EEEvSJ_,"axG",@progbits,_ZN7rocprim17ROCPRIM_400000_NS6detail17trampoline_kernelINS0_13kernel_configILj256ELj4ELj4294967295EEENS1_37radix_sort_block_sort_config_selectorIyNS0_10empty_typeEEEZNS1_21radix_sort_block_sortIS4_Lb0EN6thrust23THRUST_200600_302600_NS6detail15normal_iteratorINSA_10device_ptrIyEEEESF_PS6_SG_NS0_19identity_decomposerEEE10hipError_tT1_T2_T3_T4_jRjT5_jjP12ihipStream_tbEUlT_E_NS1_11comp_targetILNS1_3genE2ELNS1_11target_archE906ELNS1_3gpuE6ELNS1_3repE0EEENS1_44radix_sort_block_sort_config_static_selectorELNS0_4arch9wavefront6targetE1EEEvSJ_,comdat
.Lfunc_end710:
	.size	_ZN7rocprim17ROCPRIM_400000_NS6detail17trampoline_kernelINS0_13kernel_configILj256ELj4ELj4294967295EEENS1_37radix_sort_block_sort_config_selectorIyNS0_10empty_typeEEEZNS1_21radix_sort_block_sortIS4_Lb0EN6thrust23THRUST_200600_302600_NS6detail15normal_iteratorINSA_10device_ptrIyEEEESF_PS6_SG_NS0_19identity_decomposerEEE10hipError_tT1_T2_T3_T4_jRjT5_jjP12ihipStream_tbEUlT_E_NS1_11comp_targetILNS1_3genE2ELNS1_11target_archE906ELNS1_3gpuE6ELNS1_3repE0EEENS1_44radix_sort_block_sort_config_static_selectorELNS0_4arch9wavefront6targetE1EEEvSJ_, .Lfunc_end710-_ZN7rocprim17ROCPRIM_400000_NS6detail17trampoline_kernelINS0_13kernel_configILj256ELj4ELj4294967295EEENS1_37radix_sort_block_sort_config_selectorIyNS0_10empty_typeEEEZNS1_21radix_sort_block_sortIS4_Lb0EN6thrust23THRUST_200600_302600_NS6detail15normal_iteratorINSA_10device_ptrIyEEEESF_PS6_SG_NS0_19identity_decomposerEEE10hipError_tT1_T2_T3_T4_jRjT5_jjP12ihipStream_tbEUlT_E_NS1_11comp_targetILNS1_3genE2ELNS1_11target_archE906ELNS1_3gpuE6ELNS1_3repE0EEENS1_44radix_sort_block_sort_config_static_selectorELNS0_4arch9wavefront6targetE1EEEvSJ_
                                        ; -- End function
	.section	.AMDGPU.csdata,"",@progbits
; Kernel info:
; codeLenInByte = 0
; NumSgprs: 6
; NumVgprs: 0
; NumAgprs: 0
; TotalNumVgprs: 0
; ScratchSize: 0
; MemoryBound: 0
; FloatMode: 240
; IeeeMode: 1
; LDSByteSize: 0 bytes/workgroup (compile time only)
; SGPRBlocks: 0
; VGPRBlocks: 0
; NumSGPRsForWavesPerEU: 6
; NumVGPRsForWavesPerEU: 1
; AccumOffset: 4
; Occupancy: 8
; WaveLimiterHint : 0
; COMPUTE_PGM_RSRC2:SCRATCH_EN: 0
; COMPUTE_PGM_RSRC2:USER_SGPR: 2
; COMPUTE_PGM_RSRC2:TRAP_HANDLER: 0
; COMPUTE_PGM_RSRC2:TGID_X_EN: 1
; COMPUTE_PGM_RSRC2:TGID_Y_EN: 0
; COMPUTE_PGM_RSRC2:TGID_Z_EN: 0
; COMPUTE_PGM_RSRC2:TIDIG_COMP_CNT: 0
; COMPUTE_PGM_RSRC3_GFX90A:ACCUM_OFFSET: 0
; COMPUTE_PGM_RSRC3_GFX90A:TG_SPLIT: 0
	.section	.text._ZN7rocprim17ROCPRIM_400000_NS6detail17trampoline_kernelINS0_13kernel_configILj256ELj4ELj4294967295EEENS1_37radix_sort_block_sort_config_selectorIyNS0_10empty_typeEEEZNS1_21radix_sort_block_sortIS4_Lb0EN6thrust23THRUST_200600_302600_NS6detail15normal_iteratorINSA_10device_ptrIyEEEESF_PS6_SG_NS0_19identity_decomposerEEE10hipError_tT1_T2_T3_T4_jRjT5_jjP12ihipStream_tbEUlT_E_NS1_11comp_targetILNS1_3genE10ELNS1_11target_archE1201ELNS1_3gpuE5ELNS1_3repE0EEENS1_44radix_sort_block_sort_config_static_selectorELNS0_4arch9wavefront6targetE1EEEvSJ_,"axG",@progbits,_ZN7rocprim17ROCPRIM_400000_NS6detail17trampoline_kernelINS0_13kernel_configILj256ELj4ELj4294967295EEENS1_37radix_sort_block_sort_config_selectorIyNS0_10empty_typeEEEZNS1_21radix_sort_block_sortIS4_Lb0EN6thrust23THRUST_200600_302600_NS6detail15normal_iteratorINSA_10device_ptrIyEEEESF_PS6_SG_NS0_19identity_decomposerEEE10hipError_tT1_T2_T3_T4_jRjT5_jjP12ihipStream_tbEUlT_E_NS1_11comp_targetILNS1_3genE10ELNS1_11target_archE1201ELNS1_3gpuE5ELNS1_3repE0EEENS1_44radix_sort_block_sort_config_static_selectorELNS0_4arch9wavefront6targetE1EEEvSJ_,comdat
	.protected	_ZN7rocprim17ROCPRIM_400000_NS6detail17trampoline_kernelINS0_13kernel_configILj256ELj4ELj4294967295EEENS1_37radix_sort_block_sort_config_selectorIyNS0_10empty_typeEEEZNS1_21radix_sort_block_sortIS4_Lb0EN6thrust23THRUST_200600_302600_NS6detail15normal_iteratorINSA_10device_ptrIyEEEESF_PS6_SG_NS0_19identity_decomposerEEE10hipError_tT1_T2_T3_T4_jRjT5_jjP12ihipStream_tbEUlT_E_NS1_11comp_targetILNS1_3genE10ELNS1_11target_archE1201ELNS1_3gpuE5ELNS1_3repE0EEENS1_44radix_sort_block_sort_config_static_selectorELNS0_4arch9wavefront6targetE1EEEvSJ_ ; -- Begin function _ZN7rocprim17ROCPRIM_400000_NS6detail17trampoline_kernelINS0_13kernel_configILj256ELj4ELj4294967295EEENS1_37radix_sort_block_sort_config_selectorIyNS0_10empty_typeEEEZNS1_21radix_sort_block_sortIS4_Lb0EN6thrust23THRUST_200600_302600_NS6detail15normal_iteratorINSA_10device_ptrIyEEEESF_PS6_SG_NS0_19identity_decomposerEEE10hipError_tT1_T2_T3_T4_jRjT5_jjP12ihipStream_tbEUlT_E_NS1_11comp_targetILNS1_3genE10ELNS1_11target_archE1201ELNS1_3gpuE5ELNS1_3repE0EEENS1_44radix_sort_block_sort_config_static_selectorELNS0_4arch9wavefront6targetE1EEEvSJ_
	.globl	_ZN7rocprim17ROCPRIM_400000_NS6detail17trampoline_kernelINS0_13kernel_configILj256ELj4ELj4294967295EEENS1_37radix_sort_block_sort_config_selectorIyNS0_10empty_typeEEEZNS1_21radix_sort_block_sortIS4_Lb0EN6thrust23THRUST_200600_302600_NS6detail15normal_iteratorINSA_10device_ptrIyEEEESF_PS6_SG_NS0_19identity_decomposerEEE10hipError_tT1_T2_T3_T4_jRjT5_jjP12ihipStream_tbEUlT_E_NS1_11comp_targetILNS1_3genE10ELNS1_11target_archE1201ELNS1_3gpuE5ELNS1_3repE0EEENS1_44radix_sort_block_sort_config_static_selectorELNS0_4arch9wavefront6targetE1EEEvSJ_
	.p2align	8
	.type	_ZN7rocprim17ROCPRIM_400000_NS6detail17trampoline_kernelINS0_13kernel_configILj256ELj4ELj4294967295EEENS1_37radix_sort_block_sort_config_selectorIyNS0_10empty_typeEEEZNS1_21radix_sort_block_sortIS4_Lb0EN6thrust23THRUST_200600_302600_NS6detail15normal_iteratorINSA_10device_ptrIyEEEESF_PS6_SG_NS0_19identity_decomposerEEE10hipError_tT1_T2_T3_T4_jRjT5_jjP12ihipStream_tbEUlT_E_NS1_11comp_targetILNS1_3genE10ELNS1_11target_archE1201ELNS1_3gpuE5ELNS1_3repE0EEENS1_44radix_sort_block_sort_config_static_selectorELNS0_4arch9wavefront6targetE1EEEvSJ_,@function
_ZN7rocprim17ROCPRIM_400000_NS6detail17trampoline_kernelINS0_13kernel_configILj256ELj4ELj4294967295EEENS1_37radix_sort_block_sort_config_selectorIyNS0_10empty_typeEEEZNS1_21radix_sort_block_sortIS4_Lb0EN6thrust23THRUST_200600_302600_NS6detail15normal_iteratorINSA_10device_ptrIyEEEESF_PS6_SG_NS0_19identity_decomposerEEE10hipError_tT1_T2_T3_T4_jRjT5_jjP12ihipStream_tbEUlT_E_NS1_11comp_targetILNS1_3genE10ELNS1_11target_archE1201ELNS1_3gpuE5ELNS1_3repE0EEENS1_44radix_sort_block_sort_config_static_selectorELNS0_4arch9wavefront6targetE1EEEvSJ_: ; @_ZN7rocprim17ROCPRIM_400000_NS6detail17trampoline_kernelINS0_13kernel_configILj256ELj4ELj4294967295EEENS1_37radix_sort_block_sort_config_selectorIyNS0_10empty_typeEEEZNS1_21radix_sort_block_sortIS4_Lb0EN6thrust23THRUST_200600_302600_NS6detail15normal_iteratorINSA_10device_ptrIyEEEESF_PS6_SG_NS0_19identity_decomposerEEE10hipError_tT1_T2_T3_T4_jRjT5_jjP12ihipStream_tbEUlT_E_NS1_11comp_targetILNS1_3genE10ELNS1_11target_archE1201ELNS1_3gpuE5ELNS1_3repE0EEENS1_44radix_sort_block_sort_config_static_selectorELNS0_4arch9wavefront6targetE1EEEvSJ_
; %bb.0:
	.section	.rodata,"a",@progbits
	.p2align	6, 0x0
	.amdhsa_kernel _ZN7rocprim17ROCPRIM_400000_NS6detail17trampoline_kernelINS0_13kernel_configILj256ELj4ELj4294967295EEENS1_37radix_sort_block_sort_config_selectorIyNS0_10empty_typeEEEZNS1_21radix_sort_block_sortIS4_Lb0EN6thrust23THRUST_200600_302600_NS6detail15normal_iteratorINSA_10device_ptrIyEEEESF_PS6_SG_NS0_19identity_decomposerEEE10hipError_tT1_T2_T3_T4_jRjT5_jjP12ihipStream_tbEUlT_E_NS1_11comp_targetILNS1_3genE10ELNS1_11target_archE1201ELNS1_3gpuE5ELNS1_3repE0EEENS1_44radix_sort_block_sort_config_static_selectorELNS0_4arch9wavefront6targetE1EEEvSJ_
		.amdhsa_group_segment_fixed_size 0
		.amdhsa_private_segment_fixed_size 0
		.amdhsa_kernarg_size 48
		.amdhsa_user_sgpr_count 2
		.amdhsa_user_sgpr_dispatch_ptr 0
		.amdhsa_user_sgpr_queue_ptr 0
		.amdhsa_user_sgpr_kernarg_segment_ptr 1
		.amdhsa_user_sgpr_dispatch_id 0
		.amdhsa_user_sgpr_kernarg_preload_length 0
		.amdhsa_user_sgpr_kernarg_preload_offset 0
		.amdhsa_user_sgpr_private_segment_size 0
		.amdhsa_uses_dynamic_stack 0
		.amdhsa_enable_private_segment 0
		.amdhsa_system_sgpr_workgroup_id_x 1
		.amdhsa_system_sgpr_workgroup_id_y 0
		.amdhsa_system_sgpr_workgroup_id_z 0
		.amdhsa_system_sgpr_workgroup_info 0
		.amdhsa_system_vgpr_workitem_id 0
		.amdhsa_next_free_vgpr 1
		.amdhsa_next_free_sgpr 0
		.amdhsa_accum_offset 4
		.amdhsa_reserve_vcc 0
		.amdhsa_float_round_mode_32 0
		.amdhsa_float_round_mode_16_64 0
		.amdhsa_float_denorm_mode_32 3
		.amdhsa_float_denorm_mode_16_64 3
		.amdhsa_dx10_clamp 1
		.amdhsa_ieee_mode 1
		.amdhsa_fp16_overflow 0
		.amdhsa_tg_split 0
		.amdhsa_exception_fp_ieee_invalid_op 0
		.amdhsa_exception_fp_denorm_src 0
		.amdhsa_exception_fp_ieee_div_zero 0
		.amdhsa_exception_fp_ieee_overflow 0
		.amdhsa_exception_fp_ieee_underflow 0
		.amdhsa_exception_fp_ieee_inexact 0
		.amdhsa_exception_int_div_zero 0
	.end_amdhsa_kernel
	.section	.text._ZN7rocprim17ROCPRIM_400000_NS6detail17trampoline_kernelINS0_13kernel_configILj256ELj4ELj4294967295EEENS1_37radix_sort_block_sort_config_selectorIyNS0_10empty_typeEEEZNS1_21radix_sort_block_sortIS4_Lb0EN6thrust23THRUST_200600_302600_NS6detail15normal_iteratorINSA_10device_ptrIyEEEESF_PS6_SG_NS0_19identity_decomposerEEE10hipError_tT1_T2_T3_T4_jRjT5_jjP12ihipStream_tbEUlT_E_NS1_11comp_targetILNS1_3genE10ELNS1_11target_archE1201ELNS1_3gpuE5ELNS1_3repE0EEENS1_44radix_sort_block_sort_config_static_selectorELNS0_4arch9wavefront6targetE1EEEvSJ_,"axG",@progbits,_ZN7rocprim17ROCPRIM_400000_NS6detail17trampoline_kernelINS0_13kernel_configILj256ELj4ELj4294967295EEENS1_37radix_sort_block_sort_config_selectorIyNS0_10empty_typeEEEZNS1_21radix_sort_block_sortIS4_Lb0EN6thrust23THRUST_200600_302600_NS6detail15normal_iteratorINSA_10device_ptrIyEEEESF_PS6_SG_NS0_19identity_decomposerEEE10hipError_tT1_T2_T3_T4_jRjT5_jjP12ihipStream_tbEUlT_E_NS1_11comp_targetILNS1_3genE10ELNS1_11target_archE1201ELNS1_3gpuE5ELNS1_3repE0EEENS1_44radix_sort_block_sort_config_static_selectorELNS0_4arch9wavefront6targetE1EEEvSJ_,comdat
.Lfunc_end711:
	.size	_ZN7rocprim17ROCPRIM_400000_NS6detail17trampoline_kernelINS0_13kernel_configILj256ELj4ELj4294967295EEENS1_37radix_sort_block_sort_config_selectorIyNS0_10empty_typeEEEZNS1_21radix_sort_block_sortIS4_Lb0EN6thrust23THRUST_200600_302600_NS6detail15normal_iteratorINSA_10device_ptrIyEEEESF_PS6_SG_NS0_19identity_decomposerEEE10hipError_tT1_T2_T3_T4_jRjT5_jjP12ihipStream_tbEUlT_E_NS1_11comp_targetILNS1_3genE10ELNS1_11target_archE1201ELNS1_3gpuE5ELNS1_3repE0EEENS1_44radix_sort_block_sort_config_static_selectorELNS0_4arch9wavefront6targetE1EEEvSJ_, .Lfunc_end711-_ZN7rocprim17ROCPRIM_400000_NS6detail17trampoline_kernelINS0_13kernel_configILj256ELj4ELj4294967295EEENS1_37radix_sort_block_sort_config_selectorIyNS0_10empty_typeEEEZNS1_21radix_sort_block_sortIS4_Lb0EN6thrust23THRUST_200600_302600_NS6detail15normal_iteratorINSA_10device_ptrIyEEEESF_PS6_SG_NS0_19identity_decomposerEEE10hipError_tT1_T2_T3_T4_jRjT5_jjP12ihipStream_tbEUlT_E_NS1_11comp_targetILNS1_3genE10ELNS1_11target_archE1201ELNS1_3gpuE5ELNS1_3repE0EEENS1_44radix_sort_block_sort_config_static_selectorELNS0_4arch9wavefront6targetE1EEEvSJ_
                                        ; -- End function
	.section	.AMDGPU.csdata,"",@progbits
; Kernel info:
; codeLenInByte = 0
; NumSgprs: 6
; NumVgprs: 0
; NumAgprs: 0
; TotalNumVgprs: 0
; ScratchSize: 0
; MemoryBound: 0
; FloatMode: 240
; IeeeMode: 1
; LDSByteSize: 0 bytes/workgroup (compile time only)
; SGPRBlocks: 0
; VGPRBlocks: 0
; NumSGPRsForWavesPerEU: 6
; NumVGPRsForWavesPerEU: 1
; AccumOffset: 4
; Occupancy: 8
; WaveLimiterHint : 0
; COMPUTE_PGM_RSRC2:SCRATCH_EN: 0
; COMPUTE_PGM_RSRC2:USER_SGPR: 2
; COMPUTE_PGM_RSRC2:TRAP_HANDLER: 0
; COMPUTE_PGM_RSRC2:TGID_X_EN: 1
; COMPUTE_PGM_RSRC2:TGID_Y_EN: 0
; COMPUTE_PGM_RSRC2:TGID_Z_EN: 0
; COMPUTE_PGM_RSRC2:TIDIG_COMP_CNT: 0
; COMPUTE_PGM_RSRC3_GFX90A:ACCUM_OFFSET: 0
; COMPUTE_PGM_RSRC3_GFX90A:TG_SPLIT: 0
	.section	.text._ZN7rocprim17ROCPRIM_400000_NS6detail17trampoline_kernelINS0_13kernel_configILj256ELj4ELj4294967295EEENS1_37radix_sort_block_sort_config_selectorIyNS0_10empty_typeEEEZNS1_21radix_sort_block_sortIS4_Lb0EN6thrust23THRUST_200600_302600_NS6detail15normal_iteratorINSA_10device_ptrIyEEEESF_PS6_SG_NS0_19identity_decomposerEEE10hipError_tT1_T2_T3_T4_jRjT5_jjP12ihipStream_tbEUlT_E_NS1_11comp_targetILNS1_3genE10ELNS1_11target_archE1200ELNS1_3gpuE4ELNS1_3repE0EEENS1_44radix_sort_block_sort_config_static_selectorELNS0_4arch9wavefront6targetE1EEEvSJ_,"axG",@progbits,_ZN7rocprim17ROCPRIM_400000_NS6detail17trampoline_kernelINS0_13kernel_configILj256ELj4ELj4294967295EEENS1_37radix_sort_block_sort_config_selectorIyNS0_10empty_typeEEEZNS1_21radix_sort_block_sortIS4_Lb0EN6thrust23THRUST_200600_302600_NS6detail15normal_iteratorINSA_10device_ptrIyEEEESF_PS6_SG_NS0_19identity_decomposerEEE10hipError_tT1_T2_T3_T4_jRjT5_jjP12ihipStream_tbEUlT_E_NS1_11comp_targetILNS1_3genE10ELNS1_11target_archE1200ELNS1_3gpuE4ELNS1_3repE0EEENS1_44radix_sort_block_sort_config_static_selectorELNS0_4arch9wavefront6targetE1EEEvSJ_,comdat
	.protected	_ZN7rocprim17ROCPRIM_400000_NS6detail17trampoline_kernelINS0_13kernel_configILj256ELj4ELj4294967295EEENS1_37radix_sort_block_sort_config_selectorIyNS0_10empty_typeEEEZNS1_21radix_sort_block_sortIS4_Lb0EN6thrust23THRUST_200600_302600_NS6detail15normal_iteratorINSA_10device_ptrIyEEEESF_PS6_SG_NS0_19identity_decomposerEEE10hipError_tT1_T2_T3_T4_jRjT5_jjP12ihipStream_tbEUlT_E_NS1_11comp_targetILNS1_3genE10ELNS1_11target_archE1200ELNS1_3gpuE4ELNS1_3repE0EEENS1_44radix_sort_block_sort_config_static_selectorELNS0_4arch9wavefront6targetE1EEEvSJ_ ; -- Begin function _ZN7rocprim17ROCPRIM_400000_NS6detail17trampoline_kernelINS0_13kernel_configILj256ELj4ELj4294967295EEENS1_37radix_sort_block_sort_config_selectorIyNS0_10empty_typeEEEZNS1_21radix_sort_block_sortIS4_Lb0EN6thrust23THRUST_200600_302600_NS6detail15normal_iteratorINSA_10device_ptrIyEEEESF_PS6_SG_NS0_19identity_decomposerEEE10hipError_tT1_T2_T3_T4_jRjT5_jjP12ihipStream_tbEUlT_E_NS1_11comp_targetILNS1_3genE10ELNS1_11target_archE1200ELNS1_3gpuE4ELNS1_3repE0EEENS1_44radix_sort_block_sort_config_static_selectorELNS0_4arch9wavefront6targetE1EEEvSJ_
	.globl	_ZN7rocprim17ROCPRIM_400000_NS6detail17trampoline_kernelINS0_13kernel_configILj256ELj4ELj4294967295EEENS1_37radix_sort_block_sort_config_selectorIyNS0_10empty_typeEEEZNS1_21radix_sort_block_sortIS4_Lb0EN6thrust23THRUST_200600_302600_NS6detail15normal_iteratorINSA_10device_ptrIyEEEESF_PS6_SG_NS0_19identity_decomposerEEE10hipError_tT1_T2_T3_T4_jRjT5_jjP12ihipStream_tbEUlT_E_NS1_11comp_targetILNS1_3genE10ELNS1_11target_archE1200ELNS1_3gpuE4ELNS1_3repE0EEENS1_44radix_sort_block_sort_config_static_selectorELNS0_4arch9wavefront6targetE1EEEvSJ_
	.p2align	8
	.type	_ZN7rocprim17ROCPRIM_400000_NS6detail17trampoline_kernelINS0_13kernel_configILj256ELj4ELj4294967295EEENS1_37radix_sort_block_sort_config_selectorIyNS0_10empty_typeEEEZNS1_21radix_sort_block_sortIS4_Lb0EN6thrust23THRUST_200600_302600_NS6detail15normal_iteratorINSA_10device_ptrIyEEEESF_PS6_SG_NS0_19identity_decomposerEEE10hipError_tT1_T2_T3_T4_jRjT5_jjP12ihipStream_tbEUlT_E_NS1_11comp_targetILNS1_3genE10ELNS1_11target_archE1200ELNS1_3gpuE4ELNS1_3repE0EEENS1_44radix_sort_block_sort_config_static_selectorELNS0_4arch9wavefront6targetE1EEEvSJ_,@function
_ZN7rocprim17ROCPRIM_400000_NS6detail17trampoline_kernelINS0_13kernel_configILj256ELj4ELj4294967295EEENS1_37radix_sort_block_sort_config_selectorIyNS0_10empty_typeEEEZNS1_21radix_sort_block_sortIS4_Lb0EN6thrust23THRUST_200600_302600_NS6detail15normal_iteratorINSA_10device_ptrIyEEEESF_PS6_SG_NS0_19identity_decomposerEEE10hipError_tT1_T2_T3_T4_jRjT5_jjP12ihipStream_tbEUlT_E_NS1_11comp_targetILNS1_3genE10ELNS1_11target_archE1200ELNS1_3gpuE4ELNS1_3repE0EEENS1_44radix_sort_block_sort_config_static_selectorELNS0_4arch9wavefront6targetE1EEEvSJ_: ; @_ZN7rocprim17ROCPRIM_400000_NS6detail17trampoline_kernelINS0_13kernel_configILj256ELj4ELj4294967295EEENS1_37radix_sort_block_sort_config_selectorIyNS0_10empty_typeEEEZNS1_21radix_sort_block_sortIS4_Lb0EN6thrust23THRUST_200600_302600_NS6detail15normal_iteratorINSA_10device_ptrIyEEEESF_PS6_SG_NS0_19identity_decomposerEEE10hipError_tT1_T2_T3_T4_jRjT5_jjP12ihipStream_tbEUlT_E_NS1_11comp_targetILNS1_3genE10ELNS1_11target_archE1200ELNS1_3gpuE4ELNS1_3repE0EEENS1_44radix_sort_block_sort_config_static_selectorELNS0_4arch9wavefront6targetE1EEEvSJ_
; %bb.0:
	.section	.rodata,"a",@progbits
	.p2align	6, 0x0
	.amdhsa_kernel _ZN7rocprim17ROCPRIM_400000_NS6detail17trampoline_kernelINS0_13kernel_configILj256ELj4ELj4294967295EEENS1_37radix_sort_block_sort_config_selectorIyNS0_10empty_typeEEEZNS1_21radix_sort_block_sortIS4_Lb0EN6thrust23THRUST_200600_302600_NS6detail15normal_iteratorINSA_10device_ptrIyEEEESF_PS6_SG_NS0_19identity_decomposerEEE10hipError_tT1_T2_T3_T4_jRjT5_jjP12ihipStream_tbEUlT_E_NS1_11comp_targetILNS1_3genE10ELNS1_11target_archE1200ELNS1_3gpuE4ELNS1_3repE0EEENS1_44radix_sort_block_sort_config_static_selectorELNS0_4arch9wavefront6targetE1EEEvSJ_
		.amdhsa_group_segment_fixed_size 0
		.amdhsa_private_segment_fixed_size 0
		.amdhsa_kernarg_size 48
		.amdhsa_user_sgpr_count 2
		.amdhsa_user_sgpr_dispatch_ptr 0
		.amdhsa_user_sgpr_queue_ptr 0
		.amdhsa_user_sgpr_kernarg_segment_ptr 1
		.amdhsa_user_sgpr_dispatch_id 0
		.amdhsa_user_sgpr_kernarg_preload_length 0
		.amdhsa_user_sgpr_kernarg_preload_offset 0
		.amdhsa_user_sgpr_private_segment_size 0
		.amdhsa_uses_dynamic_stack 0
		.amdhsa_enable_private_segment 0
		.amdhsa_system_sgpr_workgroup_id_x 1
		.amdhsa_system_sgpr_workgroup_id_y 0
		.amdhsa_system_sgpr_workgroup_id_z 0
		.amdhsa_system_sgpr_workgroup_info 0
		.amdhsa_system_vgpr_workitem_id 0
		.amdhsa_next_free_vgpr 1
		.amdhsa_next_free_sgpr 0
		.amdhsa_accum_offset 4
		.amdhsa_reserve_vcc 0
		.amdhsa_float_round_mode_32 0
		.amdhsa_float_round_mode_16_64 0
		.amdhsa_float_denorm_mode_32 3
		.amdhsa_float_denorm_mode_16_64 3
		.amdhsa_dx10_clamp 1
		.amdhsa_ieee_mode 1
		.amdhsa_fp16_overflow 0
		.amdhsa_tg_split 0
		.amdhsa_exception_fp_ieee_invalid_op 0
		.amdhsa_exception_fp_denorm_src 0
		.amdhsa_exception_fp_ieee_div_zero 0
		.amdhsa_exception_fp_ieee_overflow 0
		.amdhsa_exception_fp_ieee_underflow 0
		.amdhsa_exception_fp_ieee_inexact 0
		.amdhsa_exception_int_div_zero 0
	.end_amdhsa_kernel
	.section	.text._ZN7rocprim17ROCPRIM_400000_NS6detail17trampoline_kernelINS0_13kernel_configILj256ELj4ELj4294967295EEENS1_37radix_sort_block_sort_config_selectorIyNS0_10empty_typeEEEZNS1_21radix_sort_block_sortIS4_Lb0EN6thrust23THRUST_200600_302600_NS6detail15normal_iteratorINSA_10device_ptrIyEEEESF_PS6_SG_NS0_19identity_decomposerEEE10hipError_tT1_T2_T3_T4_jRjT5_jjP12ihipStream_tbEUlT_E_NS1_11comp_targetILNS1_3genE10ELNS1_11target_archE1200ELNS1_3gpuE4ELNS1_3repE0EEENS1_44radix_sort_block_sort_config_static_selectorELNS0_4arch9wavefront6targetE1EEEvSJ_,"axG",@progbits,_ZN7rocprim17ROCPRIM_400000_NS6detail17trampoline_kernelINS0_13kernel_configILj256ELj4ELj4294967295EEENS1_37radix_sort_block_sort_config_selectorIyNS0_10empty_typeEEEZNS1_21radix_sort_block_sortIS4_Lb0EN6thrust23THRUST_200600_302600_NS6detail15normal_iteratorINSA_10device_ptrIyEEEESF_PS6_SG_NS0_19identity_decomposerEEE10hipError_tT1_T2_T3_T4_jRjT5_jjP12ihipStream_tbEUlT_E_NS1_11comp_targetILNS1_3genE10ELNS1_11target_archE1200ELNS1_3gpuE4ELNS1_3repE0EEENS1_44radix_sort_block_sort_config_static_selectorELNS0_4arch9wavefront6targetE1EEEvSJ_,comdat
.Lfunc_end712:
	.size	_ZN7rocprim17ROCPRIM_400000_NS6detail17trampoline_kernelINS0_13kernel_configILj256ELj4ELj4294967295EEENS1_37radix_sort_block_sort_config_selectorIyNS0_10empty_typeEEEZNS1_21radix_sort_block_sortIS4_Lb0EN6thrust23THRUST_200600_302600_NS6detail15normal_iteratorINSA_10device_ptrIyEEEESF_PS6_SG_NS0_19identity_decomposerEEE10hipError_tT1_T2_T3_T4_jRjT5_jjP12ihipStream_tbEUlT_E_NS1_11comp_targetILNS1_3genE10ELNS1_11target_archE1200ELNS1_3gpuE4ELNS1_3repE0EEENS1_44radix_sort_block_sort_config_static_selectorELNS0_4arch9wavefront6targetE1EEEvSJ_, .Lfunc_end712-_ZN7rocprim17ROCPRIM_400000_NS6detail17trampoline_kernelINS0_13kernel_configILj256ELj4ELj4294967295EEENS1_37radix_sort_block_sort_config_selectorIyNS0_10empty_typeEEEZNS1_21radix_sort_block_sortIS4_Lb0EN6thrust23THRUST_200600_302600_NS6detail15normal_iteratorINSA_10device_ptrIyEEEESF_PS6_SG_NS0_19identity_decomposerEEE10hipError_tT1_T2_T3_T4_jRjT5_jjP12ihipStream_tbEUlT_E_NS1_11comp_targetILNS1_3genE10ELNS1_11target_archE1200ELNS1_3gpuE4ELNS1_3repE0EEENS1_44radix_sort_block_sort_config_static_selectorELNS0_4arch9wavefront6targetE1EEEvSJ_
                                        ; -- End function
	.section	.AMDGPU.csdata,"",@progbits
; Kernel info:
; codeLenInByte = 0
; NumSgprs: 6
; NumVgprs: 0
; NumAgprs: 0
; TotalNumVgprs: 0
; ScratchSize: 0
; MemoryBound: 0
; FloatMode: 240
; IeeeMode: 1
; LDSByteSize: 0 bytes/workgroup (compile time only)
; SGPRBlocks: 0
; VGPRBlocks: 0
; NumSGPRsForWavesPerEU: 6
; NumVGPRsForWavesPerEU: 1
; AccumOffset: 4
; Occupancy: 8
; WaveLimiterHint : 0
; COMPUTE_PGM_RSRC2:SCRATCH_EN: 0
; COMPUTE_PGM_RSRC2:USER_SGPR: 2
; COMPUTE_PGM_RSRC2:TRAP_HANDLER: 0
; COMPUTE_PGM_RSRC2:TGID_X_EN: 1
; COMPUTE_PGM_RSRC2:TGID_Y_EN: 0
; COMPUTE_PGM_RSRC2:TGID_Z_EN: 0
; COMPUTE_PGM_RSRC2:TIDIG_COMP_CNT: 0
; COMPUTE_PGM_RSRC3_GFX90A:ACCUM_OFFSET: 0
; COMPUTE_PGM_RSRC3_GFX90A:TG_SPLIT: 0
	.section	.text._ZN7rocprim17ROCPRIM_400000_NS6detail17trampoline_kernelINS0_13kernel_configILj256ELj4ELj4294967295EEENS1_37radix_sort_block_sort_config_selectorIyNS0_10empty_typeEEEZNS1_21radix_sort_block_sortIS4_Lb0EN6thrust23THRUST_200600_302600_NS6detail15normal_iteratorINSA_10device_ptrIyEEEESF_PS6_SG_NS0_19identity_decomposerEEE10hipError_tT1_T2_T3_T4_jRjT5_jjP12ihipStream_tbEUlT_E_NS1_11comp_targetILNS1_3genE9ELNS1_11target_archE1100ELNS1_3gpuE3ELNS1_3repE0EEENS1_44radix_sort_block_sort_config_static_selectorELNS0_4arch9wavefront6targetE1EEEvSJ_,"axG",@progbits,_ZN7rocprim17ROCPRIM_400000_NS6detail17trampoline_kernelINS0_13kernel_configILj256ELj4ELj4294967295EEENS1_37radix_sort_block_sort_config_selectorIyNS0_10empty_typeEEEZNS1_21radix_sort_block_sortIS4_Lb0EN6thrust23THRUST_200600_302600_NS6detail15normal_iteratorINSA_10device_ptrIyEEEESF_PS6_SG_NS0_19identity_decomposerEEE10hipError_tT1_T2_T3_T4_jRjT5_jjP12ihipStream_tbEUlT_E_NS1_11comp_targetILNS1_3genE9ELNS1_11target_archE1100ELNS1_3gpuE3ELNS1_3repE0EEENS1_44radix_sort_block_sort_config_static_selectorELNS0_4arch9wavefront6targetE1EEEvSJ_,comdat
	.protected	_ZN7rocprim17ROCPRIM_400000_NS6detail17trampoline_kernelINS0_13kernel_configILj256ELj4ELj4294967295EEENS1_37radix_sort_block_sort_config_selectorIyNS0_10empty_typeEEEZNS1_21radix_sort_block_sortIS4_Lb0EN6thrust23THRUST_200600_302600_NS6detail15normal_iteratorINSA_10device_ptrIyEEEESF_PS6_SG_NS0_19identity_decomposerEEE10hipError_tT1_T2_T3_T4_jRjT5_jjP12ihipStream_tbEUlT_E_NS1_11comp_targetILNS1_3genE9ELNS1_11target_archE1100ELNS1_3gpuE3ELNS1_3repE0EEENS1_44radix_sort_block_sort_config_static_selectorELNS0_4arch9wavefront6targetE1EEEvSJ_ ; -- Begin function _ZN7rocprim17ROCPRIM_400000_NS6detail17trampoline_kernelINS0_13kernel_configILj256ELj4ELj4294967295EEENS1_37radix_sort_block_sort_config_selectorIyNS0_10empty_typeEEEZNS1_21radix_sort_block_sortIS4_Lb0EN6thrust23THRUST_200600_302600_NS6detail15normal_iteratorINSA_10device_ptrIyEEEESF_PS6_SG_NS0_19identity_decomposerEEE10hipError_tT1_T2_T3_T4_jRjT5_jjP12ihipStream_tbEUlT_E_NS1_11comp_targetILNS1_3genE9ELNS1_11target_archE1100ELNS1_3gpuE3ELNS1_3repE0EEENS1_44radix_sort_block_sort_config_static_selectorELNS0_4arch9wavefront6targetE1EEEvSJ_
	.globl	_ZN7rocprim17ROCPRIM_400000_NS6detail17trampoline_kernelINS0_13kernel_configILj256ELj4ELj4294967295EEENS1_37radix_sort_block_sort_config_selectorIyNS0_10empty_typeEEEZNS1_21radix_sort_block_sortIS4_Lb0EN6thrust23THRUST_200600_302600_NS6detail15normal_iteratorINSA_10device_ptrIyEEEESF_PS6_SG_NS0_19identity_decomposerEEE10hipError_tT1_T2_T3_T4_jRjT5_jjP12ihipStream_tbEUlT_E_NS1_11comp_targetILNS1_3genE9ELNS1_11target_archE1100ELNS1_3gpuE3ELNS1_3repE0EEENS1_44radix_sort_block_sort_config_static_selectorELNS0_4arch9wavefront6targetE1EEEvSJ_
	.p2align	8
	.type	_ZN7rocprim17ROCPRIM_400000_NS6detail17trampoline_kernelINS0_13kernel_configILj256ELj4ELj4294967295EEENS1_37radix_sort_block_sort_config_selectorIyNS0_10empty_typeEEEZNS1_21radix_sort_block_sortIS4_Lb0EN6thrust23THRUST_200600_302600_NS6detail15normal_iteratorINSA_10device_ptrIyEEEESF_PS6_SG_NS0_19identity_decomposerEEE10hipError_tT1_T2_T3_T4_jRjT5_jjP12ihipStream_tbEUlT_E_NS1_11comp_targetILNS1_3genE9ELNS1_11target_archE1100ELNS1_3gpuE3ELNS1_3repE0EEENS1_44radix_sort_block_sort_config_static_selectorELNS0_4arch9wavefront6targetE1EEEvSJ_,@function
_ZN7rocprim17ROCPRIM_400000_NS6detail17trampoline_kernelINS0_13kernel_configILj256ELj4ELj4294967295EEENS1_37radix_sort_block_sort_config_selectorIyNS0_10empty_typeEEEZNS1_21radix_sort_block_sortIS4_Lb0EN6thrust23THRUST_200600_302600_NS6detail15normal_iteratorINSA_10device_ptrIyEEEESF_PS6_SG_NS0_19identity_decomposerEEE10hipError_tT1_T2_T3_T4_jRjT5_jjP12ihipStream_tbEUlT_E_NS1_11comp_targetILNS1_3genE9ELNS1_11target_archE1100ELNS1_3gpuE3ELNS1_3repE0EEENS1_44radix_sort_block_sort_config_static_selectorELNS0_4arch9wavefront6targetE1EEEvSJ_: ; @_ZN7rocprim17ROCPRIM_400000_NS6detail17trampoline_kernelINS0_13kernel_configILj256ELj4ELj4294967295EEENS1_37radix_sort_block_sort_config_selectorIyNS0_10empty_typeEEEZNS1_21radix_sort_block_sortIS4_Lb0EN6thrust23THRUST_200600_302600_NS6detail15normal_iteratorINSA_10device_ptrIyEEEESF_PS6_SG_NS0_19identity_decomposerEEE10hipError_tT1_T2_T3_T4_jRjT5_jjP12ihipStream_tbEUlT_E_NS1_11comp_targetILNS1_3genE9ELNS1_11target_archE1100ELNS1_3gpuE3ELNS1_3repE0EEENS1_44radix_sort_block_sort_config_static_selectorELNS0_4arch9wavefront6targetE1EEEvSJ_
; %bb.0:
	.section	.rodata,"a",@progbits
	.p2align	6, 0x0
	.amdhsa_kernel _ZN7rocprim17ROCPRIM_400000_NS6detail17trampoline_kernelINS0_13kernel_configILj256ELj4ELj4294967295EEENS1_37radix_sort_block_sort_config_selectorIyNS0_10empty_typeEEEZNS1_21radix_sort_block_sortIS4_Lb0EN6thrust23THRUST_200600_302600_NS6detail15normal_iteratorINSA_10device_ptrIyEEEESF_PS6_SG_NS0_19identity_decomposerEEE10hipError_tT1_T2_T3_T4_jRjT5_jjP12ihipStream_tbEUlT_E_NS1_11comp_targetILNS1_3genE9ELNS1_11target_archE1100ELNS1_3gpuE3ELNS1_3repE0EEENS1_44radix_sort_block_sort_config_static_selectorELNS0_4arch9wavefront6targetE1EEEvSJ_
		.amdhsa_group_segment_fixed_size 0
		.amdhsa_private_segment_fixed_size 0
		.amdhsa_kernarg_size 48
		.amdhsa_user_sgpr_count 2
		.amdhsa_user_sgpr_dispatch_ptr 0
		.amdhsa_user_sgpr_queue_ptr 0
		.amdhsa_user_sgpr_kernarg_segment_ptr 1
		.amdhsa_user_sgpr_dispatch_id 0
		.amdhsa_user_sgpr_kernarg_preload_length 0
		.amdhsa_user_sgpr_kernarg_preload_offset 0
		.amdhsa_user_sgpr_private_segment_size 0
		.amdhsa_uses_dynamic_stack 0
		.amdhsa_enable_private_segment 0
		.amdhsa_system_sgpr_workgroup_id_x 1
		.amdhsa_system_sgpr_workgroup_id_y 0
		.amdhsa_system_sgpr_workgroup_id_z 0
		.amdhsa_system_sgpr_workgroup_info 0
		.amdhsa_system_vgpr_workitem_id 0
		.amdhsa_next_free_vgpr 1
		.amdhsa_next_free_sgpr 0
		.amdhsa_accum_offset 4
		.amdhsa_reserve_vcc 0
		.amdhsa_float_round_mode_32 0
		.amdhsa_float_round_mode_16_64 0
		.amdhsa_float_denorm_mode_32 3
		.amdhsa_float_denorm_mode_16_64 3
		.amdhsa_dx10_clamp 1
		.amdhsa_ieee_mode 1
		.amdhsa_fp16_overflow 0
		.amdhsa_tg_split 0
		.amdhsa_exception_fp_ieee_invalid_op 0
		.amdhsa_exception_fp_denorm_src 0
		.amdhsa_exception_fp_ieee_div_zero 0
		.amdhsa_exception_fp_ieee_overflow 0
		.amdhsa_exception_fp_ieee_underflow 0
		.amdhsa_exception_fp_ieee_inexact 0
		.amdhsa_exception_int_div_zero 0
	.end_amdhsa_kernel
	.section	.text._ZN7rocprim17ROCPRIM_400000_NS6detail17trampoline_kernelINS0_13kernel_configILj256ELj4ELj4294967295EEENS1_37radix_sort_block_sort_config_selectorIyNS0_10empty_typeEEEZNS1_21radix_sort_block_sortIS4_Lb0EN6thrust23THRUST_200600_302600_NS6detail15normal_iteratorINSA_10device_ptrIyEEEESF_PS6_SG_NS0_19identity_decomposerEEE10hipError_tT1_T2_T3_T4_jRjT5_jjP12ihipStream_tbEUlT_E_NS1_11comp_targetILNS1_3genE9ELNS1_11target_archE1100ELNS1_3gpuE3ELNS1_3repE0EEENS1_44radix_sort_block_sort_config_static_selectorELNS0_4arch9wavefront6targetE1EEEvSJ_,"axG",@progbits,_ZN7rocprim17ROCPRIM_400000_NS6detail17trampoline_kernelINS0_13kernel_configILj256ELj4ELj4294967295EEENS1_37radix_sort_block_sort_config_selectorIyNS0_10empty_typeEEEZNS1_21radix_sort_block_sortIS4_Lb0EN6thrust23THRUST_200600_302600_NS6detail15normal_iteratorINSA_10device_ptrIyEEEESF_PS6_SG_NS0_19identity_decomposerEEE10hipError_tT1_T2_T3_T4_jRjT5_jjP12ihipStream_tbEUlT_E_NS1_11comp_targetILNS1_3genE9ELNS1_11target_archE1100ELNS1_3gpuE3ELNS1_3repE0EEENS1_44radix_sort_block_sort_config_static_selectorELNS0_4arch9wavefront6targetE1EEEvSJ_,comdat
.Lfunc_end713:
	.size	_ZN7rocprim17ROCPRIM_400000_NS6detail17trampoline_kernelINS0_13kernel_configILj256ELj4ELj4294967295EEENS1_37radix_sort_block_sort_config_selectorIyNS0_10empty_typeEEEZNS1_21radix_sort_block_sortIS4_Lb0EN6thrust23THRUST_200600_302600_NS6detail15normal_iteratorINSA_10device_ptrIyEEEESF_PS6_SG_NS0_19identity_decomposerEEE10hipError_tT1_T2_T3_T4_jRjT5_jjP12ihipStream_tbEUlT_E_NS1_11comp_targetILNS1_3genE9ELNS1_11target_archE1100ELNS1_3gpuE3ELNS1_3repE0EEENS1_44radix_sort_block_sort_config_static_selectorELNS0_4arch9wavefront6targetE1EEEvSJ_, .Lfunc_end713-_ZN7rocprim17ROCPRIM_400000_NS6detail17trampoline_kernelINS0_13kernel_configILj256ELj4ELj4294967295EEENS1_37radix_sort_block_sort_config_selectorIyNS0_10empty_typeEEEZNS1_21radix_sort_block_sortIS4_Lb0EN6thrust23THRUST_200600_302600_NS6detail15normal_iteratorINSA_10device_ptrIyEEEESF_PS6_SG_NS0_19identity_decomposerEEE10hipError_tT1_T2_T3_T4_jRjT5_jjP12ihipStream_tbEUlT_E_NS1_11comp_targetILNS1_3genE9ELNS1_11target_archE1100ELNS1_3gpuE3ELNS1_3repE0EEENS1_44radix_sort_block_sort_config_static_selectorELNS0_4arch9wavefront6targetE1EEEvSJ_
                                        ; -- End function
	.section	.AMDGPU.csdata,"",@progbits
; Kernel info:
; codeLenInByte = 0
; NumSgprs: 6
; NumVgprs: 0
; NumAgprs: 0
; TotalNumVgprs: 0
; ScratchSize: 0
; MemoryBound: 0
; FloatMode: 240
; IeeeMode: 1
; LDSByteSize: 0 bytes/workgroup (compile time only)
; SGPRBlocks: 0
; VGPRBlocks: 0
; NumSGPRsForWavesPerEU: 6
; NumVGPRsForWavesPerEU: 1
; AccumOffset: 4
; Occupancy: 8
; WaveLimiterHint : 0
; COMPUTE_PGM_RSRC2:SCRATCH_EN: 0
; COMPUTE_PGM_RSRC2:USER_SGPR: 2
; COMPUTE_PGM_RSRC2:TRAP_HANDLER: 0
; COMPUTE_PGM_RSRC2:TGID_X_EN: 1
; COMPUTE_PGM_RSRC2:TGID_Y_EN: 0
; COMPUTE_PGM_RSRC2:TGID_Z_EN: 0
; COMPUTE_PGM_RSRC2:TIDIG_COMP_CNT: 0
; COMPUTE_PGM_RSRC3_GFX90A:ACCUM_OFFSET: 0
; COMPUTE_PGM_RSRC3_GFX90A:TG_SPLIT: 0
	.section	.text._ZN7rocprim17ROCPRIM_400000_NS6detail17trampoline_kernelINS0_13kernel_configILj256ELj4ELj4294967295EEENS1_37radix_sort_block_sort_config_selectorIyNS0_10empty_typeEEEZNS1_21radix_sort_block_sortIS4_Lb0EN6thrust23THRUST_200600_302600_NS6detail15normal_iteratorINSA_10device_ptrIyEEEESF_PS6_SG_NS0_19identity_decomposerEEE10hipError_tT1_T2_T3_T4_jRjT5_jjP12ihipStream_tbEUlT_E_NS1_11comp_targetILNS1_3genE8ELNS1_11target_archE1030ELNS1_3gpuE2ELNS1_3repE0EEENS1_44radix_sort_block_sort_config_static_selectorELNS0_4arch9wavefront6targetE1EEEvSJ_,"axG",@progbits,_ZN7rocprim17ROCPRIM_400000_NS6detail17trampoline_kernelINS0_13kernel_configILj256ELj4ELj4294967295EEENS1_37radix_sort_block_sort_config_selectorIyNS0_10empty_typeEEEZNS1_21radix_sort_block_sortIS4_Lb0EN6thrust23THRUST_200600_302600_NS6detail15normal_iteratorINSA_10device_ptrIyEEEESF_PS6_SG_NS0_19identity_decomposerEEE10hipError_tT1_T2_T3_T4_jRjT5_jjP12ihipStream_tbEUlT_E_NS1_11comp_targetILNS1_3genE8ELNS1_11target_archE1030ELNS1_3gpuE2ELNS1_3repE0EEENS1_44radix_sort_block_sort_config_static_selectorELNS0_4arch9wavefront6targetE1EEEvSJ_,comdat
	.protected	_ZN7rocprim17ROCPRIM_400000_NS6detail17trampoline_kernelINS0_13kernel_configILj256ELj4ELj4294967295EEENS1_37radix_sort_block_sort_config_selectorIyNS0_10empty_typeEEEZNS1_21radix_sort_block_sortIS4_Lb0EN6thrust23THRUST_200600_302600_NS6detail15normal_iteratorINSA_10device_ptrIyEEEESF_PS6_SG_NS0_19identity_decomposerEEE10hipError_tT1_T2_T3_T4_jRjT5_jjP12ihipStream_tbEUlT_E_NS1_11comp_targetILNS1_3genE8ELNS1_11target_archE1030ELNS1_3gpuE2ELNS1_3repE0EEENS1_44radix_sort_block_sort_config_static_selectorELNS0_4arch9wavefront6targetE1EEEvSJ_ ; -- Begin function _ZN7rocprim17ROCPRIM_400000_NS6detail17trampoline_kernelINS0_13kernel_configILj256ELj4ELj4294967295EEENS1_37radix_sort_block_sort_config_selectorIyNS0_10empty_typeEEEZNS1_21radix_sort_block_sortIS4_Lb0EN6thrust23THRUST_200600_302600_NS6detail15normal_iteratorINSA_10device_ptrIyEEEESF_PS6_SG_NS0_19identity_decomposerEEE10hipError_tT1_T2_T3_T4_jRjT5_jjP12ihipStream_tbEUlT_E_NS1_11comp_targetILNS1_3genE8ELNS1_11target_archE1030ELNS1_3gpuE2ELNS1_3repE0EEENS1_44radix_sort_block_sort_config_static_selectorELNS0_4arch9wavefront6targetE1EEEvSJ_
	.globl	_ZN7rocprim17ROCPRIM_400000_NS6detail17trampoline_kernelINS0_13kernel_configILj256ELj4ELj4294967295EEENS1_37radix_sort_block_sort_config_selectorIyNS0_10empty_typeEEEZNS1_21radix_sort_block_sortIS4_Lb0EN6thrust23THRUST_200600_302600_NS6detail15normal_iteratorINSA_10device_ptrIyEEEESF_PS6_SG_NS0_19identity_decomposerEEE10hipError_tT1_T2_T3_T4_jRjT5_jjP12ihipStream_tbEUlT_E_NS1_11comp_targetILNS1_3genE8ELNS1_11target_archE1030ELNS1_3gpuE2ELNS1_3repE0EEENS1_44radix_sort_block_sort_config_static_selectorELNS0_4arch9wavefront6targetE1EEEvSJ_
	.p2align	8
	.type	_ZN7rocprim17ROCPRIM_400000_NS6detail17trampoline_kernelINS0_13kernel_configILj256ELj4ELj4294967295EEENS1_37radix_sort_block_sort_config_selectorIyNS0_10empty_typeEEEZNS1_21radix_sort_block_sortIS4_Lb0EN6thrust23THRUST_200600_302600_NS6detail15normal_iteratorINSA_10device_ptrIyEEEESF_PS6_SG_NS0_19identity_decomposerEEE10hipError_tT1_T2_T3_T4_jRjT5_jjP12ihipStream_tbEUlT_E_NS1_11comp_targetILNS1_3genE8ELNS1_11target_archE1030ELNS1_3gpuE2ELNS1_3repE0EEENS1_44radix_sort_block_sort_config_static_selectorELNS0_4arch9wavefront6targetE1EEEvSJ_,@function
_ZN7rocprim17ROCPRIM_400000_NS6detail17trampoline_kernelINS0_13kernel_configILj256ELj4ELj4294967295EEENS1_37radix_sort_block_sort_config_selectorIyNS0_10empty_typeEEEZNS1_21radix_sort_block_sortIS4_Lb0EN6thrust23THRUST_200600_302600_NS6detail15normal_iteratorINSA_10device_ptrIyEEEESF_PS6_SG_NS0_19identity_decomposerEEE10hipError_tT1_T2_T3_T4_jRjT5_jjP12ihipStream_tbEUlT_E_NS1_11comp_targetILNS1_3genE8ELNS1_11target_archE1030ELNS1_3gpuE2ELNS1_3repE0EEENS1_44radix_sort_block_sort_config_static_selectorELNS0_4arch9wavefront6targetE1EEEvSJ_: ; @_ZN7rocprim17ROCPRIM_400000_NS6detail17trampoline_kernelINS0_13kernel_configILj256ELj4ELj4294967295EEENS1_37radix_sort_block_sort_config_selectorIyNS0_10empty_typeEEEZNS1_21radix_sort_block_sortIS4_Lb0EN6thrust23THRUST_200600_302600_NS6detail15normal_iteratorINSA_10device_ptrIyEEEESF_PS6_SG_NS0_19identity_decomposerEEE10hipError_tT1_T2_T3_T4_jRjT5_jjP12ihipStream_tbEUlT_E_NS1_11comp_targetILNS1_3genE8ELNS1_11target_archE1030ELNS1_3gpuE2ELNS1_3repE0EEENS1_44radix_sort_block_sort_config_static_selectorELNS0_4arch9wavefront6targetE1EEEvSJ_
; %bb.0:
	.section	.rodata,"a",@progbits
	.p2align	6, 0x0
	.amdhsa_kernel _ZN7rocprim17ROCPRIM_400000_NS6detail17trampoline_kernelINS0_13kernel_configILj256ELj4ELj4294967295EEENS1_37radix_sort_block_sort_config_selectorIyNS0_10empty_typeEEEZNS1_21radix_sort_block_sortIS4_Lb0EN6thrust23THRUST_200600_302600_NS6detail15normal_iteratorINSA_10device_ptrIyEEEESF_PS6_SG_NS0_19identity_decomposerEEE10hipError_tT1_T2_T3_T4_jRjT5_jjP12ihipStream_tbEUlT_E_NS1_11comp_targetILNS1_3genE8ELNS1_11target_archE1030ELNS1_3gpuE2ELNS1_3repE0EEENS1_44radix_sort_block_sort_config_static_selectorELNS0_4arch9wavefront6targetE1EEEvSJ_
		.amdhsa_group_segment_fixed_size 0
		.amdhsa_private_segment_fixed_size 0
		.amdhsa_kernarg_size 48
		.amdhsa_user_sgpr_count 2
		.amdhsa_user_sgpr_dispatch_ptr 0
		.amdhsa_user_sgpr_queue_ptr 0
		.amdhsa_user_sgpr_kernarg_segment_ptr 1
		.amdhsa_user_sgpr_dispatch_id 0
		.amdhsa_user_sgpr_kernarg_preload_length 0
		.amdhsa_user_sgpr_kernarg_preload_offset 0
		.amdhsa_user_sgpr_private_segment_size 0
		.amdhsa_uses_dynamic_stack 0
		.amdhsa_enable_private_segment 0
		.amdhsa_system_sgpr_workgroup_id_x 1
		.amdhsa_system_sgpr_workgroup_id_y 0
		.amdhsa_system_sgpr_workgroup_id_z 0
		.amdhsa_system_sgpr_workgroup_info 0
		.amdhsa_system_vgpr_workitem_id 0
		.amdhsa_next_free_vgpr 1
		.amdhsa_next_free_sgpr 0
		.amdhsa_accum_offset 4
		.amdhsa_reserve_vcc 0
		.amdhsa_float_round_mode_32 0
		.amdhsa_float_round_mode_16_64 0
		.amdhsa_float_denorm_mode_32 3
		.amdhsa_float_denorm_mode_16_64 3
		.amdhsa_dx10_clamp 1
		.amdhsa_ieee_mode 1
		.amdhsa_fp16_overflow 0
		.amdhsa_tg_split 0
		.amdhsa_exception_fp_ieee_invalid_op 0
		.amdhsa_exception_fp_denorm_src 0
		.amdhsa_exception_fp_ieee_div_zero 0
		.amdhsa_exception_fp_ieee_overflow 0
		.amdhsa_exception_fp_ieee_underflow 0
		.amdhsa_exception_fp_ieee_inexact 0
		.amdhsa_exception_int_div_zero 0
	.end_amdhsa_kernel
	.section	.text._ZN7rocprim17ROCPRIM_400000_NS6detail17trampoline_kernelINS0_13kernel_configILj256ELj4ELj4294967295EEENS1_37radix_sort_block_sort_config_selectorIyNS0_10empty_typeEEEZNS1_21radix_sort_block_sortIS4_Lb0EN6thrust23THRUST_200600_302600_NS6detail15normal_iteratorINSA_10device_ptrIyEEEESF_PS6_SG_NS0_19identity_decomposerEEE10hipError_tT1_T2_T3_T4_jRjT5_jjP12ihipStream_tbEUlT_E_NS1_11comp_targetILNS1_3genE8ELNS1_11target_archE1030ELNS1_3gpuE2ELNS1_3repE0EEENS1_44radix_sort_block_sort_config_static_selectorELNS0_4arch9wavefront6targetE1EEEvSJ_,"axG",@progbits,_ZN7rocprim17ROCPRIM_400000_NS6detail17trampoline_kernelINS0_13kernel_configILj256ELj4ELj4294967295EEENS1_37radix_sort_block_sort_config_selectorIyNS0_10empty_typeEEEZNS1_21radix_sort_block_sortIS4_Lb0EN6thrust23THRUST_200600_302600_NS6detail15normal_iteratorINSA_10device_ptrIyEEEESF_PS6_SG_NS0_19identity_decomposerEEE10hipError_tT1_T2_T3_T4_jRjT5_jjP12ihipStream_tbEUlT_E_NS1_11comp_targetILNS1_3genE8ELNS1_11target_archE1030ELNS1_3gpuE2ELNS1_3repE0EEENS1_44radix_sort_block_sort_config_static_selectorELNS0_4arch9wavefront6targetE1EEEvSJ_,comdat
.Lfunc_end714:
	.size	_ZN7rocprim17ROCPRIM_400000_NS6detail17trampoline_kernelINS0_13kernel_configILj256ELj4ELj4294967295EEENS1_37radix_sort_block_sort_config_selectorIyNS0_10empty_typeEEEZNS1_21radix_sort_block_sortIS4_Lb0EN6thrust23THRUST_200600_302600_NS6detail15normal_iteratorINSA_10device_ptrIyEEEESF_PS6_SG_NS0_19identity_decomposerEEE10hipError_tT1_T2_T3_T4_jRjT5_jjP12ihipStream_tbEUlT_E_NS1_11comp_targetILNS1_3genE8ELNS1_11target_archE1030ELNS1_3gpuE2ELNS1_3repE0EEENS1_44radix_sort_block_sort_config_static_selectorELNS0_4arch9wavefront6targetE1EEEvSJ_, .Lfunc_end714-_ZN7rocprim17ROCPRIM_400000_NS6detail17trampoline_kernelINS0_13kernel_configILj256ELj4ELj4294967295EEENS1_37radix_sort_block_sort_config_selectorIyNS0_10empty_typeEEEZNS1_21radix_sort_block_sortIS4_Lb0EN6thrust23THRUST_200600_302600_NS6detail15normal_iteratorINSA_10device_ptrIyEEEESF_PS6_SG_NS0_19identity_decomposerEEE10hipError_tT1_T2_T3_T4_jRjT5_jjP12ihipStream_tbEUlT_E_NS1_11comp_targetILNS1_3genE8ELNS1_11target_archE1030ELNS1_3gpuE2ELNS1_3repE0EEENS1_44radix_sort_block_sort_config_static_selectorELNS0_4arch9wavefront6targetE1EEEvSJ_
                                        ; -- End function
	.section	.AMDGPU.csdata,"",@progbits
; Kernel info:
; codeLenInByte = 0
; NumSgprs: 6
; NumVgprs: 0
; NumAgprs: 0
; TotalNumVgprs: 0
; ScratchSize: 0
; MemoryBound: 0
; FloatMode: 240
; IeeeMode: 1
; LDSByteSize: 0 bytes/workgroup (compile time only)
; SGPRBlocks: 0
; VGPRBlocks: 0
; NumSGPRsForWavesPerEU: 6
; NumVGPRsForWavesPerEU: 1
; AccumOffset: 4
; Occupancy: 8
; WaveLimiterHint : 0
; COMPUTE_PGM_RSRC2:SCRATCH_EN: 0
; COMPUTE_PGM_RSRC2:USER_SGPR: 2
; COMPUTE_PGM_RSRC2:TRAP_HANDLER: 0
; COMPUTE_PGM_RSRC2:TGID_X_EN: 1
; COMPUTE_PGM_RSRC2:TGID_Y_EN: 0
; COMPUTE_PGM_RSRC2:TGID_Z_EN: 0
; COMPUTE_PGM_RSRC2:TIDIG_COMP_CNT: 0
; COMPUTE_PGM_RSRC3_GFX90A:ACCUM_OFFSET: 0
; COMPUTE_PGM_RSRC3_GFX90A:TG_SPLIT: 0
	.section	.text._ZN7rocprim17ROCPRIM_400000_NS6detail44device_merge_sort_compile_time_verifier_archINS1_11comp_targetILNS1_3genE0ELNS1_11target_archE4294967295ELNS1_3gpuE0ELNS1_3repE0EEES8_NS1_28merge_sort_block_sort_configILj256ELj4ELNS0_20block_sort_algorithmE0EEENS0_14default_configENS1_37merge_sort_block_sort_config_selectorIyNS0_10empty_typeEEENS1_38merge_sort_block_merge_config_selectorIySE_EEEEvv,"axG",@progbits,_ZN7rocprim17ROCPRIM_400000_NS6detail44device_merge_sort_compile_time_verifier_archINS1_11comp_targetILNS1_3genE0ELNS1_11target_archE4294967295ELNS1_3gpuE0ELNS1_3repE0EEES8_NS1_28merge_sort_block_sort_configILj256ELj4ELNS0_20block_sort_algorithmE0EEENS0_14default_configENS1_37merge_sort_block_sort_config_selectorIyNS0_10empty_typeEEENS1_38merge_sort_block_merge_config_selectorIySE_EEEEvv,comdat
	.protected	_ZN7rocprim17ROCPRIM_400000_NS6detail44device_merge_sort_compile_time_verifier_archINS1_11comp_targetILNS1_3genE0ELNS1_11target_archE4294967295ELNS1_3gpuE0ELNS1_3repE0EEES8_NS1_28merge_sort_block_sort_configILj256ELj4ELNS0_20block_sort_algorithmE0EEENS0_14default_configENS1_37merge_sort_block_sort_config_selectorIyNS0_10empty_typeEEENS1_38merge_sort_block_merge_config_selectorIySE_EEEEvv ; -- Begin function _ZN7rocprim17ROCPRIM_400000_NS6detail44device_merge_sort_compile_time_verifier_archINS1_11comp_targetILNS1_3genE0ELNS1_11target_archE4294967295ELNS1_3gpuE0ELNS1_3repE0EEES8_NS1_28merge_sort_block_sort_configILj256ELj4ELNS0_20block_sort_algorithmE0EEENS0_14default_configENS1_37merge_sort_block_sort_config_selectorIyNS0_10empty_typeEEENS1_38merge_sort_block_merge_config_selectorIySE_EEEEvv
	.globl	_ZN7rocprim17ROCPRIM_400000_NS6detail44device_merge_sort_compile_time_verifier_archINS1_11comp_targetILNS1_3genE0ELNS1_11target_archE4294967295ELNS1_3gpuE0ELNS1_3repE0EEES8_NS1_28merge_sort_block_sort_configILj256ELj4ELNS0_20block_sort_algorithmE0EEENS0_14default_configENS1_37merge_sort_block_sort_config_selectorIyNS0_10empty_typeEEENS1_38merge_sort_block_merge_config_selectorIySE_EEEEvv
	.p2align	8
	.type	_ZN7rocprim17ROCPRIM_400000_NS6detail44device_merge_sort_compile_time_verifier_archINS1_11comp_targetILNS1_3genE0ELNS1_11target_archE4294967295ELNS1_3gpuE0ELNS1_3repE0EEES8_NS1_28merge_sort_block_sort_configILj256ELj4ELNS0_20block_sort_algorithmE0EEENS0_14default_configENS1_37merge_sort_block_sort_config_selectorIyNS0_10empty_typeEEENS1_38merge_sort_block_merge_config_selectorIySE_EEEEvv,@function
_ZN7rocprim17ROCPRIM_400000_NS6detail44device_merge_sort_compile_time_verifier_archINS1_11comp_targetILNS1_3genE0ELNS1_11target_archE4294967295ELNS1_3gpuE0ELNS1_3repE0EEES8_NS1_28merge_sort_block_sort_configILj256ELj4ELNS0_20block_sort_algorithmE0EEENS0_14default_configENS1_37merge_sort_block_sort_config_selectorIyNS0_10empty_typeEEENS1_38merge_sort_block_merge_config_selectorIySE_EEEEvv: ; @_ZN7rocprim17ROCPRIM_400000_NS6detail44device_merge_sort_compile_time_verifier_archINS1_11comp_targetILNS1_3genE0ELNS1_11target_archE4294967295ELNS1_3gpuE0ELNS1_3repE0EEES8_NS1_28merge_sort_block_sort_configILj256ELj4ELNS0_20block_sort_algorithmE0EEENS0_14default_configENS1_37merge_sort_block_sort_config_selectorIyNS0_10empty_typeEEENS1_38merge_sort_block_merge_config_selectorIySE_EEEEvv
; %bb.0:
	s_endpgm
	.section	.rodata,"a",@progbits
	.p2align	6, 0x0
	.amdhsa_kernel _ZN7rocprim17ROCPRIM_400000_NS6detail44device_merge_sort_compile_time_verifier_archINS1_11comp_targetILNS1_3genE0ELNS1_11target_archE4294967295ELNS1_3gpuE0ELNS1_3repE0EEES8_NS1_28merge_sort_block_sort_configILj256ELj4ELNS0_20block_sort_algorithmE0EEENS0_14default_configENS1_37merge_sort_block_sort_config_selectorIyNS0_10empty_typeEEENS1_38merge_sort_block_merge_config_selectorIySE_EEEEvv
		.amdhsa_group_segment_fixed_size 0
		.amdhsa_private_segment_fixed_size 0
		.amdhsa_kernarg_size 0
		.amdhsa_user_sgpr_count 0
		.amdhsa_user_sgpr_dispatch_ptr 0
		.amdhsa_user_sgpr_queue_ptr 0
		.amdhsa_user_sgpr_kernarg_segment_ptr 0
		.amdhsa_user_sgpr_dispatch_id 0
		.amdhsa_user_sgpr_kernarg_preload_length 0
		.amdhsa_user_sgpr_kernarg_preload_offset 0
		.amdhsa_user_sgpr_private_segment_size 0
		.amdhsa_uses_dynamic_stack 0
		.amdhsa_enable_private_segment 0
		.amdhsa_system_sgpr_workgroup_id_x 1
		.amdhsa_system_sgpr_workgroup_id_y 0
		.amdhsa_system_sgpr_workgroup_id_z 0
		.amdhsa_system_sgpr_workgroup_info 0
		.amdhsa_system_vgpr_workitem_id 0
		.amdhsa_next_free_vgpr 1
		.amdhsa_next_free_sgpr 0
		.amdhsa_accum_offset 4
		.amdhsa_reserve_vcc 0
		.amdhsa_float_round_mode_32 0
		.amdhsa_float_round_mode_16_64 0
		.amdhsa_float_denorm_mode_32 3
		.amdhsa_float_denorm_mode_16_64 3
		.amdhsa_dx10_clamp 1
		.amdhsa_ieee_mode 1
		.amdhsa_fp16_overflow 0
		.amdhsa_tg_split 0
		.amdhsa_exception_fp_ieee_invalid_op 0
		.amdhsa_exception_fp_denorm_src 0
		.amdhsa_exception_fp_ieee_div_zero 0
		.amdhsa_exception_fp_ieee_overflow 0
		.amdhsa_exception_fp_ieee_underflow 0
		.amdhsa_exception_fp_ieee_inexact 0
		.amdhsa_exception_int_div_zero 0
	.end_amdhsa_kernel
	.section	.text._ZN7rocprim17ROCPRIM_400000_NS6detail44device_merge_sort_compile_time_verifier_archINS1_11comp_targetILNS1_3genE0ELNS1_11target_archE4294967295ELNS1_3gpuE0ELNS1_3repE0EEES8_NS1_28merge_sort_block_sort_configILj256ELj4ELNS0_20block_sort_algorithmE0EEENS0_14default_configENS1_37merge_sort_block_sort_config_selectorIyNS0_10empty_typeEEENS1_38merge_sort_block_merge_config_selectorIySE_EEEEvv,"axG",@progbits,_ZN7rocprim17ROCPRIM_400000_NS6detail44device_merge_sort_compile_time_verifier_archINS1_11comp_targetILNS1_3genE0ELNS1_11target_archE4294967295ELNS1_3gpuE0ELNS1_3repE0EEES8_NS1_28merge_sort_block_sort_configILj256ELj4ELNS0_20block_sort_algorithmE0EEENS0_14default_configENS1_37merge_sort_block_sort_config_selectorIyNS0_10empty_typeEEENS1_38merge_sort_block_merge_config_selectorIySE_EEEEvv,comdat
.Lfunc_end715:
	.size	_ZN7rocprim17ROCPRIM_400000_NS6detail44device_merge_sort_compile_time_verifier_archINS1_11comp_targetILNS1_3genE0ELNS1_11target_archE4294967295ELNS1_3gpuE0ELNS1_3repE0EEES8_NS1_28merge_sort_block_sort_configILj256ELj4ELNS0_20block_sort_algorithmE0EEENS0_14default_configENS1_37merge_sort_block_sort_config_selectorIyNS0_10empty_typeEEENS1_38merge_sort_block_merge_config_selectorIySE_EEEEvv, .Lfunc_end715-_ZN7rocprim17ROCPRIM_400000_NS6detail44device_merge_sort_compile_time_verifier_archINS1_11comp_targetILNS1_3genE0ELNS1_11target_archE4294967295ELNS1_3gpuE0ELNS1_3repE0EEES8_NS1_28merge_sort_block_sort_configILj256ELj4ELNS0_20block_sort_algorithmE0EEENS0_14default_configENS1_37merge_sort_block_sort_config_selectorIyNS0_10empty_typeEEENS1_38merge_sort_block_merge_config_selectorIySE_EEEEvv
                                        ; -- End function
	.section	.AMDGPU.csdata,"",@progbits
; Kernel info:
; codeLenInByte = 4
; NumSgprs: 6
; NumVgprs: 0
; NumAgprs: 0
; TotalNumVgprs: 0
; ScratchSize: 0
; MemoryBound: 0
; FloatMode: 240
; IeeeMode: 1
; LDSByteSize: 0 bytes/workgroup (compile time only)
; SGPRBlocks: 0
; VGPRBlocks: 0
; NumSGPRsForWavesPerEU: 6
; NumVGPRsForWavesPerEU: 1
; AccumOffset: 4
; Occupancy: 8
; WaveLimiterHint : 0
; COMPUTE_PGM_RSRC2:SCRATCH_EN: 0
; COMPUTE_PGM_RSRC2:USER_SGPR: 0
; COMPUTE_PGM_RSRC2:TRAP_HANDLER: 0
; COMPUTE_PGM_RSRC2:TGID_X_EN: 1
; COMPUTE_PGM_RSRC2:TGID_Y_EN: 0
; COMPUTE_PGM_RSRC2:TGID_Z_EN: 0
; COMPUTE_PGM_RSRC2:TIDIG_COMP_CNT: 0
; COMPUTE_PGM_RSRC3_GFX90A:ACCUM_OFFSET: 0
; COMPUTE_PGM_RSRC3_GFX90A:TG_SPLIT: 0
	.section	.text._ZN7rocprim17ROCPRIM_400000_NS6detail44device_merge_sort_compile_time_verifier_archINS1_11comp_targetILNS1_3genE5ELNS1_11target_archE942ELNS1_3gpuE9ELNS1_3repE0EEES8_NS1_28merge_sort_block_sort_configILj256ELj4ELNS0_20block_sort_algorithmE0EEENS0_14default_configENS1_37merge_sort_block_sort_config_selectorIyNS0_10empty_typeEEENS1_38merge_sort_block_merge_config_selectorIySE_EEEEvv,"axG",@progbits,_ZN7rocprim17ROCPRIM_400000_NS6detail44device_merge_sort_compile_time_verifier_archINS1_11comp_targetILNS1_3genE5ELNS1_11target_archE942ELNS1_3gpuE9ELNS1_3repE0EEES8_NS1_28merge_sort_block_sort_configILj256ELj4ELNS0_20block_sort_algorithmE0EEENS0_14default_configENS1_37merge_sort_block_sort_config_selectorIyNS0_10empty_typeEEENS1_38merge_sort_block_merge_config_selectorIySE_EEEEvv,comdat
	.protected	_ZN7rocprim17ROCPRIM_400000_NS6detail44device_merge_sort_compile_time_verifier_archINS1_11comp_targetILNS1_3genE5ELNS1_11target_archE942ELNS1_3gpuE9ELNS1_3repE0EEES8_NS1_28merge_sort_block_sort_configILj256ELj4ELNS0_20block_sort_algorithmE0EEENS0_14default_configENS1_37merge_sort_block_sort_config_selectorIyNS0_10empty_typeEEENS1_38merge_sort_block_merge_config_selectorIySE_EEEEvv ; -- Begin function _ZN7rocprim17ROCPRIM_400000_NS6detail44device_merge_sort_compile_time_verifier_archINS1_11comp_targetILNS1_3genE5ELNS1_11target_archE942ELNS1_3gpuE9ELNS1_3repE0EEES8_NS1_28merge_sort_block_sort_configILj256ELj4ELNS0_20block_sort_algorithmE0EEENS0_14default_configENS1_37merge_sort_block_sort_config_selectorIyNS0_10empty_typeEEENS1_38merge_sort_block_merge_config_selectorIySE_EEEEvv
	.globl	_ZN7rocprim17ROCPRIM_400000_NS6detail44device_merge_sort_compile_time_verifier_archINS1_11comp_targetILNS1_3genE5ELNS1_11target_archE942ELNS1_3gpuE9ELNS1_3repE0EEES8_NS1_28merge_sort_block_sort_configILj256ELj4ELNS0_20block_sort_algorithmE0EEENS0_14default_configENS1_37merge_sort_block_sort_config_selectorIyNS0_10empty_typeEEENS1_38merge_sort_block_merge_config_selectorIySE_EEEEvv
	.p2align	8
	.type	_ZN7rocprim17ROCPRIM_400000_NS6detail44device_merge_sort_compile_time_verifier_archINS1_11comp_targetILNS1_3genE5ELNS1_11target_archE942ELNS1_3gpuE9ELNS1_3repE0EEES8_NS1_28merge_sort_block_sort_configILj256ELj4ELNS0_20block_sort_algorithmE0EEENS0_14default_configENS1_37merge_sort_block_sort_config_selectorIyNS0_10empty_typeEEENS1_38merge_sort_block_merge_config_selectorIySE_EEEEvv,@function
_ZN7rocprim17ROCPRIM_400000_NS6detail44device_merge_sort_compile_time_verifier_archINS1_11comp_targetILNS1_3genE5ELNS1_11target_archE942ELNS1_3gpuE9ELNS1_3repE0EEES8_NS1_28merge_sort_block_sort_configILj256ELj4ELNS0_20block_sort_algorithmE0EEENS0_14default_configENS1_37merge_sort_block_sort_config_selectorIyNS0_10empty_typeEEENS1_38merge_sort_block_merge_config_selectorIySE_EEEEvv: ; @_ZN7rocprim17ROCPRIM_400000_NS6detail44device_merge_sort_compile_time_verifier_archINS1_11comp_targetILNS1_3genE5ELNS1_11target_archE942ELNS1_3gpuE9ELNS1_3repE0EEES8_NS1_28merge_sort_block_sort_configILj256ELj4ELNS0_20block_sort_algorithmE0EEENS0_14default_configENS1_37merge_sort_block_sort_config_selectorIyNS0_10empty_typeEEENS1_38merge_sort_block_merge_config_selectorIySE_EEEEvv
; %bb.0:
	s_endpgm
	.section	.rodata,"a",@progbits
	.p2align	6, 0x0
	.amdhsa_kernel _ZN7rocprim17ROCPRIM_400000_NS6detail44device_merge_sort_compile_time_verifier_archINS1_11comp_targetILNS1_3genE5ELNS1_11target_archE942ELNS1_3gpuE9ELNS1_3repE0EEES8_NS1_28merge_sort_block_sort_configILj256ELj4ELNS0_20block_sort_algorithmE0EEENS0_14default_configENS1_37merge_sort_block_sort_config_selectorIyNS0_10empty_typeEEENS1_38merge_sort_block_merge_config_selectorIySE_EEEEvv
		.amdhsa_group_segment_fixed_size 0
		.amdhsa_private_segment_fixed_size 0
		.amdhsa_kernarg_size 0
		.amdhsa_user_sgpr_count 0
		.amdhsa_user_sgpr_dispatch_ptr 0
		.amdhsa_user_sgpr_queue_ptr 0
		.amdhsa_user_sgpr_kernarg_segment_ptr 0
		.amdhsa_user_sgpr_dispatch_id 0
		.amdhsa_user_sgpr_kernarg_preload_length 0
		.amdhsa_user_sgpr_kernarg_preload_offset 0
		.amdhsa_user_sgpr_private_segment_size 0
		.amdhsa_uses_dynamic_stack 0
		.amdhsa_enable_private_segment 0
		.amdhsa_system_sgpr_workgroup_id_x 1
		.amdhsa_system_sgpr_workgroup_id_y 0
		.amdhsa_system_sgpr_workgroup_id_z 0
		.amdhsa_system_sgpr_workgroup_info 0
		.amdhsa_system_vgpr_workitem_id 0
		.amdhsa_next_free_vgpr 1
		.amdhsa_next_free_sgpr 0
		.amdhsa_accum_offset 4
		.amdhsa_reserve_vcc 0
		.amdhsa_float_round_mode_32 0
		.amdhsa_float_round_mode_16_64 0
		.amdhsa_float_denorm_mode_32 3
		.amdhsa_float_denorm_mode_16_64 3
		.amdhsa_dx10_clamp 1
		.amdhsa_ieee_mode 1
		.amdhsa_fp16_overflow 0
		.amdhsa_tg_split 0
		.amdhsa_exception_fp_ieee_invalid_op 0
		.amdhsa_exception_fp_denorm_src 0
		.amdhsa_exception_fp_ieee_div_zero 0
		.amdhsa_exception_fp_ieee_overflow 0
		.amdhsa_exception_fp_ieee_underflow 0
		.amdhsa_exception_fp_ieee_inexact 0
		.amdhsa_exception_int_div_zero 0
	.end_amdhsa_kernel
	.section	.text._ZN7rocprim17ROCPRIM_400000_NS6detail44device_merge_sort_compile_time_verifier_archINS1_11comp_targetILNS1_3genE5ELNS1_11target_archE942ELNS1_3gpuE9ELNS1_3repE0EEES8_NS1_28merge_sort_block_sort_configILj256ELj4ELNS0_20block_sort_algorithmE0EEENS0_14default_configENS1_37merge_sort_block_sort_config_selectorIyNS0_10empty_typeEEENS1_38merge_sort_block_merge_config_selectorIySE_EEEEvv,"axG",@progbits,_ZN7rocprim17ROCPRIM_400000_NS6detail44device_merge_sort_compile_time_verifier_archINS1_11comp_targetILNS1_3genE5ELNS1_11target_archE942ELNS1_3gpuE9ELNS1_3repE0EEES8_NS1_28merge_sort_block_sort_configILj256ELj4ELNS0_20block_sort_algorithmE0EEENS0_14default_configENS1_37merge_sort_block_sort_config_selectorIyNS0_10empty_typeEEENS1_38merge_sort_block_merge_config_selectorIySE_EEEEvv,comdat
.Lfunc_end716:
	.size	_ZN7rocprim17ROCPRIM_400000_NS6detail44device_merge_sort_compile_time_verifier_archINS1_11comp_targetILNS1_3genE5ELNS1_11target_archE942ELNS1_3gpuE9ELNS1_3repE0EEES8_NS1_28merge_sort_block_sort_configILj256ELj4ELNS0_20block_sort_algorithmE0EEENS0_14default_configENS1_37merge_sort_block_sort_config_selectorIyNS0_10empty_typeEEENS1_38merge_sort_block_merge_config_selectorIySE_EEEEvv, .Lfunc_end716-_ZN7rocprim17ROCPRIM_400000_NS6detail44device_merge_sort_compile_time_verifier_archINS1_11comp_targetILNS1_3genE5ELNS1_11target_archE942ELNS1_3gpuE9ELNS1_3repE0EEES8_NS1_28merge_sort_block_sort_configILj256ELj4ELNS0_20block_sort_algorithmE0EEENS0_14default_configENS1_37merge_sort_block_sort_config_selectorIyNS0_10empty_typeEEENS1_38merge_sort_block_merge_config_selectorIySE_EEEEvv
                                        ; -- End function
	.section	.AMDGPU.csdata,"",@progbits
; Kernel info:
; codeLenInByte = 4
; NumSgprs: 6
; NumVgprs: 0
; NumAgprs: 0
; TotalNumVgprs: 0
; ScratchSize: 0
; MemoryBound: 0
; FloatMode: 240
; IeeeMode: 1
; LDSByteSize: 0 bytes/workgroup (compile time only)
; SGPRBlocks: 0
; VGPRBlocks: 0
; NumSGPRsForWavesPerEU: 6
; NumVGPRsForWavesPerEU: 1
; AccumOffset: 4
; Occupancy: 8
; WaveLimiterHint : 0
; COMPUTE_PGM_RSRC2:SCRATCH_EN: 0
; COMPUTE_PGM_RSRC2:USER_SGPR: 0
; COMPUTE_PGM_RSRC2:TRAP_HANDLER: 0
; COMPUTE_PGM_RSRC2:TGID_X_EN: 1
; COMPUTE_PGM_RSRC2:TGID_Y_EN: 0
; COMPUTE_PGM_RSRC2:TGID_Z_EN: 0
; COMPUTE_PGM_RSRC2:TIDIG_COMP_CNT: 0
; COMPUTE_PGM_RSRC3_GFX90A:ACCUM_OFFSET: 0
; COMPUTE_PGM_RSRC3_GFX90A:TG_SPLIT: 0
	.section	.text._ZN7rocprim17ROCPRIM_400000_NS6detail44device_merge_sort_compile_time_verifier_archINS1_11comp_targetILNS1_3genE4ELNS1_11target_archE910ELNS1_3gpuE8ELNS1_3repE0EEES8_NS1_28merge_sort_block_sort_configILj256ELj4ELNS0_20block_sort_algorithmE0EEENS0_14default_configENS1_37merge_sort_block_sort_config_selectorIyNS0_10empty_typeEEENS1_38merge_sort_block_merge_config_selectorIySE_EEEEvv,"axG",@progbits,_ZN7rocprim17ROCPRIM_400000_NS6detail44device_merge_sort_compile_time_verifier_archINS1_11comp_targetILNS1_3genE4ELNS1_11target_archE910ELNS1_3gpuE8ELNS1_3repE0EEES8_NS1_28merge_sort_block_sort_configILj256ELj4ELNS0_20block_sort_algorithmE0EEENS0_14default_configENS1_37merge_sort_block_sort_config_selectorIyNS0_10empty_typeEEENS1_38merge_sort_block_merge_config_selectorIySE_EEEEvv,comdat
	.protected	_ZN7rocprim17ROCPRIM_400000_NS6detail44device_merge_sort_compile_time_verifier_archINS1_11comp_targetILNS1_3genE4ELNS1_11target_archE910ELNS1_3gpuE8ELNS1_3repE0EEES8_NS1_28merge_sort_block_sort_configILj256ELj4ELNS0_20block_sort_algorithmE0EEENS0_14default_configENS1_37merge_sort_block_sort_config_selectorIyNS0_10empty_typeEEENS1_38merge_sort_block_merge_config_selectorIySE_EEEEvv ; -- Begin function _ZN7rocprim17ROCPRIM_400000_NS6detail44device_merge_sort_compile_time_verifier_archINS1_11comp_targetILNS1_3genE4ELNS1_11target_archE910ELNS1_3gpuE8ELNS1_3repE0EEES8_NS1_28merge_sort_block_sort_configILj256ELj4ELNS0_20block_sort_algorithmE0EEENS0_14default_configENS1_37merge_sort_block_sort_config_selectorIyNS0_10empty_typeEEENS1_38merge_sort_block_merge_config_selectorIySE_EEEEvv
	.globl	_ZN7rocprim17ROCPRIM_400000_NS6detail44device_merge_sort_compile_time_verifier_archINS1_11comp_targetILNS1_3genE4ELNS1_11target_archE910ELNS1_3gpuE8ELNS1_3repE0EEES8_NS1_28merge_sort_block_sort_configILj256ELj4ELNS0_20block_sort_algorithmE0EEENS0_14default_configENS1_37merge_sort_block_sort_config_selectorIyNS0_10empty_typeEEENS1_38merge_sort_block_merge_config_selectorIySE_EEEEvv
	.p2align	8
	.type	_ZN7rocprim17ROCPRIM_400000_NS6detail44device_merge_sort_compile_time_verifier_archINS1_11comp_targetILNS1_3genE4ELNS1_11target_archE910ELNS1_3gpuE8ELNS1_3repE0EEES8_NS1_28merge_sort_block_sort_configILj256ELj4ELNS0_20block_sort_algorithmE0EEENS0_14default_configENS1_37merge_sort_block_sort_config_selectorIyNS0_10empty_typeEEENS1_38merge_sort_block_merge_config_selectorIySE_EEEEvv,@function
_ZN7rocprim17ROCPRIM_400000_NS6detail44device_merge_sort_compile_time_verifier_archINS1_11comp_targetILNS1_3genE4ELNS1_11target_archE910ELNS1_3gpuE8ELNS1_3repE0EEES8_NS1_28merge_sort_block_sort_configILj256ELj4ELNS0_20block_sort_algorithmE0EEENS0_14default_configENS1_37merge_sort_block_sort_config_selectorIyNS0_10empty_typeEEENS1_38merge_sort_block_merge_config_selectorIySE_EEEEvv: ; @_ZN7rocprim17ROCPRIM_400000_NS6detail44device_merge_sort_compile_time_verifier_archINS1_11comp_targetILNS1_3genE4ELNS1_11target_archE910ELNS1_3gpuE8ELNS1_3repE0EEES8_NS1_28merge_sort_block_sort_configILj256ELj4ELNS0_20block_sort_algorithmE0EEENS0_14default_configENS1_37merge_sort_block_sort_config_selectorIyNS0_10empty_typeEEENS1_38merge_sort_block_merge_config_selectorIySE_EEEEvv
; %bb.0:
	s_endpgm
	.section	.rodata,"a",@progbits
	.p2align	6, 0x0
	.amdhsa_kernel _ZN7rocprim17ROCPRIM_400000_NS6detail44device_merge_sort_compile_time_verifier_archINS1_11comp_targetILNS1_3genE4ELNS1_11target_archE910ELNS1_3gpuE8ELNS1_3repE0EEES8_NS1_28merge_sort_block_sort_configILj256ELj4ELNS0_20block_sort_algorithmE0EEENS0_14default_configENS1_37merge_sort_block_sort_config_selectorIyNS0_10empty_typeEEENS1_38merge_sort_block_merge_config_selectorIySE_EEEEvv
		.amdhsa_group_segment_fixed_size 0
		.amdhsa_private_segment_fixed_size 0
		.amdhsa_kernarg_size 0
		.amdhsa_user_sgpr_count 0
		.amdhsa_user_sgpr_dispatch_ptr 0
		.amdhsa_user_sgpr_queue_ptr 0
		.amdhsa_user_sgpr_kernarg_segment_ptr 0
		.amdhsa_user_sgpr_dispatch_id 0
		.amdhsa_user_sgpr_kernarg_preload_length 0
		.amdhsa_user_sgpr_kernarg_preload_offset 0
		.amdhsa_user_sgpr_private_segment_size 0
		.amdhsa_uses_dynamic_stack 0
		.amdhsa_enable_private_segment 0
		.amdhsa_system_sgpr_workgroup_id_x 1
		.amdhsa_system_sgpr_workgroup_id_y 0
		.amdhsa_system_sgpr_workgroup_id_z 0
		.amdhsa_system_sgpr_workgroup_info 0
		.amdhsa_system_vgpr_workitem_id 0
		.amdhsa_next_free_vgpr 1
		.amdhsa_next_free_sgpr 0
		.amdhsa_accum_offset 4
		.amdhsa_reserve_vcc 0
		.amdhsa_float_round_mode_32 0
		.amdhsa_float_round_mode_16_64 0
		.amdhsa_float_denorm_mode_32 3
		.amdhsa_float_denorm_mode_16_64 3
		.amdhsa_dx10_clamp 1
		.amdhsa_ieee_mode 1
		.amdhsa_fp16_overflow 0
		.amdhsa_tg_split 0
		.amdhsa_exception_fp_ieee_invalid_op 0
		.amdhsa_exception_fp_denorm_src 0
		.amdhsa_exception_fp_ieee_div_zero 0
		.amdhsa_exception_fp_ieee_overflow 0
		.amdhsa_exception_fp_ieee_underflow 0
		.amdhsa_exception_fp_ieee_inexact 0
		.amdhsa_exception_int_div_zero 0
	.end_amdhsa_kernel
	.section	.text._ZN7rocprim17ROCPRIM_400000_NS6detail44device_merge_sort_compile_time_verifier_archINS1_11comp_targetILNS1_3genE4ELNS1_11target_archE910ELNS1_3gpuE8ELNS1_3repE0EEES8_NS1_28merge_sort_block_sort_configILj256ELj4ELNS0_20block_sort_algorithmE0EEENS0_14default_configENS1_37merge_sort_block_sort_config_selectorIyNS0_10empty_typeEEENS1_38merge_sort_block_merge_config_selectorIySE_EEEEvv,"axG",@progbits,_ZN7rocprim17ROCPRIM_400000_NS6detail44device_merge_sort_compile_time_verifier_archINS1_11comp_targetILNS1_3genE4ELNS1_11target_archE910ELNS1_3gpuE8ELNS1_3repE0EEES8_NS1_28merge_sort_block_sort_configILj256ELj4ELNS0_20block_sort_algorithmE0EEENS0_14default_configENS1_37merge_sort_block_sort_config_selectorIyNS0_10empty_typeEEENS1_38merge_sort_block_merge_config_selectorIySE_EEEEvv,comdat
.Lfunc_end717:
	.size	_ZN7rocprim17ROCPRIM_400000_NS6detail44device_merge_sort_compile_time_verifier_archINS1_11comp_targetILNS1_3genE4ELNS1_11target_archE910ELNS1_3gpuE8ELNS1_3repE0EEES8_NS1_28merge_sort_block_sort_configILj256ELj4ELNS0_20block_sort_algorithmE0EEENS0_14default_configENS1_37merge_sort_block_sort_config_selectorIyNS0_10empty_typeEEENS1_38merge_sort_block_merge_config_selectorIySE_EEEEvv, .Lfunc_end717-_ZN7rocprim17ROCPRIM_400000_NS6detail44device_merge_sort_compile_time_verifier_archINS1_11comp_targetILNS1_3genE4ELNS1_11target_archE910ELNS1_3gpuE8ELNS1_3repE0EEES8_NS1_28merge_sort_block_sort_configILj256ELj4ELNS0_20block_sort_algorithmE0EEENS0_14default_configENS1_37merge_sort_block_sort_config_selectorIyNS0_10empty_typeEEENS1_38merge_sort_block_merge_config_selectorIySE_EEEEvv
                                        ; -- End function
	.section	.AMDGPU.csdata,"",@progbits
; Kernel info:
; codeLenInByte = 4
; NumSgprs: 6
; NumVgprs: 0
; NumAgprs: 0
; TotalNumVgprs: 0
; ScratchSize: 0
; MemoryBound: 0
; FloatMode: 240
; IeeeMode: 1
; LDSByteSize: 0 bytes/workgroup (compile time only)
; SGPRBlocks: 0
; VGPRBlocks: 0
; NumSGPRsForWavesPerEU: 6
; NumVGPRsForWavesPerEU: 1
; AccumOffset: 4
; Occupancy: 8
; WaveLimiterHint : 0
; COMPUTE_PGM_RSRC2:SCRATCH_EN: 0
; COMPUTE_PGM_RSRC2:USER_SGPR: 0
; COMPUTE_PGM_RSRC2:TRAP_HANDLER: 0
; COMPUTE_PGM_RSRC2:TGID_X_EN: 1
; COMPUTE_PGM_RSRC2:TGID_Y_EN: 0
; COMPUTE_PGM_RSRC2:TGID_Z_EN: 0
; COMPUTE_PGM_RSRC2:TIDIG_COMP_CNT: 0
; COMPUTE_PGM_RSRC3_GFX90A:ACCUM_OFFSET: 0
; COMPUTE_PGM_RSRC3_GFX90A:TG_SPLIT: 0
	.section	.text._ZN7rocprim17ROCPRIM_400000_NS6detail44device_merge_sort_compile_time_verifier_archINS1_11comp_targetILNS1_3genE3ELNS1_11target_archE908ELNS1_3gpuE7ELNS1_3repE0EEES8_NS1_28merge_sort_block_sort_configILj256ELj4ELNS0_20block_sort_algorithmE0EEENS0_14default_configENS1_37merge_sort_block_sort_config_selectorIyNS0_10empty_typeEEENS1_38merge_sort_block_merge_config_selectorIySE_EEEEvv,"axG",@progbits,_ZN7rocprim17ROCPRIM_400000_NS6detail44device_merge_sort_compile_time_verifier_archINS1_11comp_targetILNS1_3genE3ELNS1_11target_archE908ELNS1_3gpuE7ELNS1_3repE0EEES8_NS1_28merge_sort_block_sort_configILj256ELj4ELNS0_20block_sort_algorithmE0EEENS0_14default_configENS1_37merge_sort_block_sort_config_selectorIyNS0_10empty_typeEEENS1_38merge_sort_block_merge_config_selectorIySE_EEEEvv,comdat
	.protected	_ZN7rocprim17ROCPRIM_400000_NS6detail44device_merge_sort_compile_time_verifier_archINS1_11comp_targetILNS1_3genE3ELNS1_11target_archE908ELNS1_3gpuE7ELNS1_3repE0EEES8_NS1_28merge_sort_block_sort_configILj256ELj4ELNS0_20block_sort_algorithmE0EEENS0_14default_configENS1_37merge_sort_block_sort_config_selectorIyNS0_10empty_typeEEENS1_38merge_sort_block_merge_config_selectorIySE_EEEEvv ; -- Begin function _ZN7rocprim17ROCPRIM_400000_NS6detail44device_merge_sort_compile_time_verifier_archINS1_11comp_targetILNS1_3genE3ELNS1_11target_archE908ELNS1_3gpuE7ELNS1_3repE0EEES8_NS1_28merge_sort_block_sort_configILj256ELj4ELNS0_20block_sort_algorithmE0EEENS0_14default_configENS1_37merge_sort_block_sort_config_selectorIyNS0_10empty_typeEEENS1_38merge_sort_block_merge_config_selectorIySE_EEEEvv
	.globl	_ZN7rocprim17ROCPRIM_400000_NS6detail44device_merge_sort_compile_time_verifier_archINS1_11comp_targetILNS1_3genE3ELNS1_11target_archE908ELNS1_3gpuE7ELNS1_3repE0EEES8_NS1_28merge_sort_block_sort_configILj256ELj4ELNS0_20block_sort_algorithmE0EEENS0_14default_configENS1_37merge_sort_block_sort_config_selectorIyNS0_10empty_typeEEENS1_38merge_sort_block_merge_config_selectorIySE_EEEEvv
	.p2align	8
	.type	_ZN7rocprim17ROCPRIM_400000_NS6detail44device_merge_sort_compile_time_verifier_archINS1_11comp_targetILNS1_3genE3ELNS1_11target_archE908ELNS1_3gpuE7ELNS1_3repE0EEES8_NS1_28merge_sort_block_sort_configILj256ELj4ELNS0_20block_sort_algorithmE0EEENS0_14default_configENS1_37merge_sort_block_sort_config_selectorIyNS0_10empty_typeEEENS1_38merge_sort_block_merge_config_selectorIySE_EEEEvv,@function
_ZN7rocprim17ROCPRIM_400000_NS6detail44device_merge_sort_compile_time_verifier_archINS1_11comp_targetILNS1_3genE3ELNS1_11target_archE908ELNS1_3gpuE7ELNS1_3repE0EEES8_NS1_28merge_sort_block_sort_configILj256ELj4ELNS0_20block_sort_algorithmE0EEENS0_14default_configENS1_37merge_sort_block_sort_config_selectorIyNS0_10empty_typeEEENS1_38merge_sort_block_merge_config_selectorIySE_EEEEvv: ; @_ZN7rocprim17ROCPRIM_400000_NS6detail44device_merge_sort_compile_time_verifier_archINS1_11comp_targetILNS1_3genE3ELNS1_11target_archE908ELNS1_3gpuE7ELNS1_3repE0EEES8_NS1_28merge_sort_block_sort_configILj256ELj4ELNS0_20block_sort_algorithmE0EEENS0_14default_configENS1_37merge_sort_block_sort_config_selectorIyNS0_10empty_typeEEENS1_38merge_sort_block_merge_config_selectorIySE_EEEEvv
; %bb.0:
	s_endpgm
	.section	.rodata,"a",@progbits
	.p2align	6, 0x0
	.amdhsa_kernel _ZN7rocprim17ROCPRIM_400000_NS6detail44device_merge_sort_compile_time_verifier_archINS1_11comp_targetILNS1_3genE3ELNS1_11target_archE908ELNS1_3gpuE7ELNS1_3repE0EEES8_NS1_28merge_sort_block_sort_configILj256ELj4ELNS0_20block_sort_algorithmE0EEENS0_14default_configENS1_37merge_sort_block_sort_config_selectorIyNS0_10empty_typeEEENS1_38merge_sort_block_merge_config_selectorIySE_EEEEvv
		.amdhsa_group_segment_fixed_size 0
		.amdhsa_private_segment_fixed_size 0
		.amdhsa_kernarg_size 0
		.amdhsa_user_sgpr_count 0
		.amdhsa_user_sgpr_dispatch_ptr 0
		.amdhsa_user_sgpr_queue_ptr 0
		.amdhsa_user_sgpr_kernarg_segment_ptr 0
		.amdhsa_user_sgpr_dispatch_id 0
		.amdhsa_user_sgpr_kernarg_preload_length 0
		.amdhsa_user_sgpr_kernarg_preload_offset 0
		.amdhsa_user_sgpr_private_segment_size 0
		.amdhsa_uses_dynamic_stack 0
		.amdhsa_enable_private_segment 0
		.amdhsa_system_sgpr_workgroup_id_x 1
		.amdhsa_system_sgpr_workgroup_id_y 0
		.amdhsa_system_sgpr_workgroup_id_z 0
		.amdhsa_system_sgpr_workgroup_info 0
		.amdhsa_system_vgpr_workitem_id 0
		.amdhsa_next_free_vgpr 1
		.amdhsa_next_free_sgpr 0
		.amdhsa_accum_offset 4
		.amdhsa_reserve_vcc 0
		.amdhsa_float_round_mode_32 0
		.amdhsa_float_round_mode_16_64 0
		.amdhsa_float_denorm_mode_32 3
		.amdhsa_float_denorm_mode_16_64 3
		.amdhsa_dx10_clamp 1
		.amdhsa_ieee_mode 1
		.amdhsa_fp16_overflow 0
		.amdhsa_tg_split 0
		.amdhsa_exception_fp_ieee_invalid_op 0
		.amdhsa_exception_fp_denorm_src 0
		.amdhsa_exception_fp_ieee_div_zero 0
		.amdhsa_exception_fp_ieee_overflow 0
		.amdhsa_exception_fp_ieee_underflow 0
		.amdhsa_exception_fp_ieee_inexact 0
		.amdhsa_exception_int_div_zero 0
	.end_amdhsa_kernel
	.section	.text._ZN7rocprim17ROCPRIM_400000_NS6detail44device_merge_sort_compile_time_verifier_archINS1_11comp_targetILNS1_3genE3ELNS1_11target_archE908ELNS1_3gpuE7ELNS1_3repE0EEES8_NS1_28merge_sort_block_sort_configILj256ELj4ELNS0_20block_sort_algorithmE0EEENS0_14default_configENS1_37merge_sort_block_sort_config_selectorIyNS0_10empty_typeEEENS1_38merge_sort_block_merge_config_selectorIySE_EEEEvv,"axG",@progbits,_ZN7rocprim17ROCPRIM_400000_NS6detail44device_merge_sort_compile_time_verifier_archINS1_11comp_targetILNS1_3genE3ELNS1_11target_archE908ELNS1_3gpuE7ELNS1_3repE0EEES8_NS1_28merge_sort_block_sort_configILj256ELj4ELNS0_20block_sort_algorithmE0EEENS0_14default_configENS1_37merge_sort_block_sort_config_selectorIyNS0_10empty_typeEEENS1_38merge_sort_block_merge_config_selectorIySE_EEEEvv,comdat
.Lfunc_end718:
	.size	_ZN7rocprim17ROCPRIM_400000_NS6detail44device_merge_sort_compile_time_verifier_archINS1_11comp_targetILNS1_3genE3ELNS1_11target_archE908ELNS1_3gpuE7ELNS1_3repE0EEES8_NS1_28merge_sort_block_sort_configILj256ELj4ELNS0_20block_sort_algorithmE0EEENS0_14default_configENS1_37merge_sort_block_sort_config_selectorIyNS0_10empty_typeEEENS1_38merge_sort_block_merge_config_selectorIySE_EEEEvv, .Lfunc_end718-_ZN7rocprim17ROCPRIM_400000_NS6detail44device_merge_sort_compile_time_verifier_archINS1_11comp_targetILNS1_3genE3ELNS1_11target_archE908ELNS1_3gpuE7ELNS1_3repE0EEES8_NS1_28merge_sort_block_sort_configILj256ELj4ELNS0_20block_sort_algorithmE0EEENS0_14default_configENS1_37merge_sort_block_sort_config_selectorIyNS0_10empty_typeEEENS1_38merge_sort_block_merge_config_selectorIySE_EEEEvv
                                        ; -- End function
	.section	.AMDGPU.csdata,"",@progbits
; Kernel info:
; codeLenInByte = 4
; NumSgprs: 6
; NumVgprs: 0
; NumAgprs: 0
; TotalNumVgprs: 0
; ScratchSize: 0
; MemoryBound: 0
; FloatMode: 240
; IeeeMode: 1
; LDSByteSize: 0 bytes/workgroup (compile time only)
; SGPRBlocks: 0
; VGPRBlocks: 0
; NumSGPRsForWavesPerEU: 6
; NumVGPRsForWavesPerEU: 1
; AccumOffset: 4
; Occupancy: 8
; WaveLimiterHint : 0
; COMPUTE_PGM_RSRC2:SCRATCH_EN: 0
; COMPUTE_PGM_RSRC2:USER_SGPR: 0
; COMPUTE_PGM_RSRC2:TRAP_HANDLER: 0
; COMPUTE_PGM_RSRC2:TGID_X_EN: 1
; COMPUTE_PGM_RSRC2:TGID_Y_EN: 0
; COMPUTE_PGM_RSRC2:TGID_Z_EN: 0
; COMPUTE_PGM_RSRC2:TIDIG_COMP_CNT: 0
; COMPUTE_PGM_RSRC3_GFX90A:ACCUM_OFFSET: 0
; COMPUTE_PGM_RSRC3_GFX90A:TG_SPLIT: 0
	.section	.text._ZN7rocprim17ROCPRIM_400000_NS6detail44device_merge_sort_compile_time_verifier_archINS1_11comp_targetILNS1_3genE2ELNS1_11target_archE906ELNS1_3gpuE6ELNS1_3repE0EEES8_NS1_28merge_sort_block_sort_configILj256ELj4ELNS0_20block_sort_algorithmE0EEENS0_14default_configENS1_37merge_sort_block_sort_config_selectorIyNS0_10empty_typeEEENS1_38merge_sort_block_merge_config_selectorIySE_EEEEvv,"axG",@progbits,_ZN7rocprim17ROCPRIM_400000_NS6detail44device_merge_sort_compile_time_verifier_archINS1_11comp_targetILNS1_3genE2ELNS1_11target_archE906ELNS1_3gpuE6ELNS1_3repE0EEES8_NS1_28merge_sort_block_sort_configILj256ELj4ELNS0_20block_sort_algorithmE0EEENS0_14default_configENS1_37merge_sort_block_sort_config_selectorIyNS0_10empty_typeEEENS1_38merge_sort_block_merge_config_selectorIySE_EEEEvv,comdat
	.protected	_ZN7rocprim17ROCPRIM_400000_NS6detail44device_merge_sort_compile_time_verifier_archINS1_11comp_targetILNS1_3genE2ELNS1_11target_archE906ELNS1_3gpuE6ELNS1_3repE0EEES8_NS1_28merge_sort_block_sort_configILj256ELj4ELNS0_20block_sort_algorithmE0EEENS0_14default_configENS1_37merge_sort_block_sort_config_selectorIyNS0_10empty_typeEEENS1_38merge_sort_block_merge_config_selectorIySE_EEEEvv ; -- Begin function _ZN7rocprim17ROCPRIM_400000_NS6detail44device_merge_sort_compile_time_verifier_archINS1_11comp_targetILNS1_3genE2ELNS1_11target_archE906ELNS1_3gpuE6ELNS1_3repE0EEES8_NS1_28merge_sort_block_sort_configILj256ELj4ELNS0_20block_sort_algorithmE0EEENS0_14default_configENS1_37merge_sort_block_sort_config_selectorIyNS0_10empty_typeEEENS1_38merge_sort_block_merge_config_selectorIySE_EEEEvv
	.globl	_ZN7rocprim17ROCPRIM_400000_NS6detail44device_merge_sort_compile_time_verifier_archINS1_11comp_targetILNS1_3genE2ELNS1_11target_archE906ELNS1_3gpuE6ELNS1_3repE0EEES8_NS1_28merge_sort_block_sort_configILj256ELj4ELNS0_20block_sort_algorithmE0EEENS0_14default_configENS1_37merge_sort_block_sort_config_selectorIyNS0_10empty_typeEEENS1_38merge_sort_block_merge_config_selectorIySE_EEEEvv
	.p2align	8
	.type	_ZN7rocprim17ROCPRIM_400000_NS6detail44device_merge_sort_compile_time_verifier_archINS1_11comp_targetILNS1_3genE2ELNS1_11target_archE906ELNS1_3gpuE6ELNS1_3repE0EEES8_NS1_28merge_sort_block_sort_configILj256ELj4ELNS0_20block_sort_algorithmE0EEENS0_14default_configENS1_37merge_sort_block_sort_config_selectorIyNS0_10empty_typeEEENS1_38merge_sort_block_merge_config_selectorIySE_EEEEvv,@function
_ZN7rocprim17ROCPRIM_400000_NS6detail44device_merge_sort_compile_time_verifier_archINS1_11comp_targetILNS1_3genE2ELNS1_11target_archE906ELNS1_3gpuE6ELNS1_3repE0EEES8_NS1_28merge_sort_block_sort_configILj256ELj4ELNS0_20block_sort_algorithmE0EEENS0_14default_configENS1_37merge_sort_block_sort_config_selectorIyNS0_10empty_typeEEENS1_38merge_sort_block_merge_config_selectorIySE_EEEEvv: ; @_ZN7rocprim17ROCPRIM_400000_NS6detail44device_merge_sort_compile_time_verifier_archINS1_11comp_targetILNS1_3genE2ELNS1_11target_archE906ELNS1_3gpuE6ELNS1_3repE0EEES8_NS1_28merge_sort_block_sort_configILj256ELj4ELNS0_20block_sort_algorithmE0EEENS0_14default_configENS1_37merge_sort_block_sort_config_selectorIyNS0_10empty_typeEEENS1_38merge_sort_block_merge_config_selectorIySE_EEEEvv
; %bb.0:
	s_endpgm
	.section	.rodata,"a",@progbits
	.p2align	6, 0x0
	.amdhsa_kernel _ZN7rocprim17ROCPRIM_400000_NS6detail44device_merge_sort_compile_time_verifier_archINS1_11comp_targetILNS1_3genE2ELNS1_11target_archE906ELNS1_3gpuE6ELNS1_3repE0EEES8_NS1_28merge_sort_block_sort_configILj256ELj4ELNS0_20block_sort_algorithmE0EEENS0_14default_configENS1_37merge_sort_block_sort_config_selectorIyNS0_10empty_typeEEENS1_38merge_sort_block_merge_config_selectorIySE_EEEEvv
		.amdhsa_group_segment_fixed_size 0
		.amdhsa_private_segment_fixed_size 0
		.amdhsa_kernarg_size 0
		.amdhsa_user_sgpr_count 0
		.amdhsa_user_sgpr_dispatch_ptr 0
		.amdhsa_user_sgpr_queue_ptr 0
		.amdhsa_user_sgpr_kernarg_segment_ptr 0
		.amdhsa_user_sgpr_dispatch_id 0
		.amdhsa_user_sgpr_kernarg_preload_length 0
		.amdhsa_user_sgpr_kernarg_preload_offset 0
		.amdhsa_user_sgpr_private_segment_size 0
		.amdhsa_uses_dynamic_stack 0
		.amdhsa_enable_private_segment 0
		.amdhsa_system_sgpr_workgroup_id_x 1
		.amdhsa_system_sgpr_workgroup_id_y 0
		.amdhsa_system_sgpr_workgroup_id_z 0
		.amdhsa_system_sgpr_workgroup_info 0
		.amdhsa_system_vgpr_workitem_id 0
		.amdhsa_next_free_vgpr 1
		.amdhsa_next_free_sgpr 0
		.amdhsa_accum_offset 4
		.amdhsa_reserve_vcc 0
		.amdhsa_float_round_mode_32 0
		.amdhsa_float_round_mode_16_64 0
		.amdhsa_float_denorm_mode_32 3
		.amdhsa_float_denorm_mode_16_64 3
		.amdhsa_dx10_clamp 1
		.amdhsa_ieee_mode 1
		.amdhsa_fp16_overflow 0
		.amdhsa_tg_split 0
		.amdhsa_exception_fp_ieee_invalid_op 0
		.amdhsa_exception_fp_denorm_src 0
		.amdhsa_exception_fp_ieee_div_zero 0
		.amdhsa_exception_fp_ieee_overflow 0
		.amdhsa_exception_fp_ieee_underflow 0
		.amdhsa_exception_fp_ieee_inexact 0
		.amdhsa_exception_int_div_zero 0
	.end_amdhsa_kernel
	.section	.text._ZN7rocprim17ROCPRIM_400000_NS6detail44device_merge_sort_compile_time_verifier_archINS1_11comp_targetILNS1_3genE2ELNS1_11target_archE906ELNS1_3gpuE6ELNS1_3repE0EEES8_NS1_28merge_sort_block_sort_configILj256ELj4ELNS0_20block_sort_algorithmE0EEENS0_14default_configENS1_37merge_sort_block_sort_config_selectorIyNS0_10empty_typeEEENS1_38merge_sort_block_merge_config_selectorIySE_EEEEvv,"axG",@progbits,_ZN7rocprim17ROCPRIM_400000_NS6detail44device_merge_sort_compile_time_verifier_archINS1_11comp_targetILNS1_3genE2ELNS1_11target_archE906ELNS1_3gpuE6ELNS1_3repE0EEES8_NS1_28merge_sort_block_sort_configILj256ELj4ELNS0_20block_sort_algorithmE0EEENS0_14default_configENS1_37merge_sort_block_sort_config_selectorIyNS0_10empty_typeEEENS1_38merge_sort_block_merge_config_selectorIySE_EEEEvv,comdat
.Lfunc_end719:
	.size	_ZN7rocprim17ROCPRIM_400000_NS6detail44device_merge_sort_compile_time_verifier_archINS1_11comp_targetILNS1_3genE2ELNS1_11target_archE906ELNS1_3gpuE6ELNS1_3repE0EEES8_NS1_28merge_sort_block_sort_configILj256ELj4ELNS0_20block_sort_algorithmE0EEENS0_14default_configENS1_37merge_sort_block_sort_config_selectorIyNS0_10empty_typeEEENS1_38merge_sort_block_merge_config_selectorIySE_EEEEvv, .Lfunc_end719-_ZN7rocprim17ROCPRIM_400000_NS6detail44device_merge_sort_compile_time_verifier_archINS1_11comp_targetILNS1_3genE2ELNS1_11target_archE906ELNS1_3gpuE6ELNS1_3repE0EEES8_NS1_28merge_sort_block_sort_configILj256ELj4ELNS0_20block_sort_algorithmE0EEENS0_14default_configENS1_37merge_sort_block_sort_config_selectorIyNS0_10empty_typeEEENS1_38merge_sort_block_merge_config_selectorIySE_EEEEvv
                                        ; -- End function
	.section	.AMDGPU.csdata,"",@progbits
; Kernel info:
; codeLenInByte = 4
; NumSgprs: 6
; NumVgprs: 0
; NumAgprs: 0
; TotalNumVgprs: 0
; ScratchSize: 0
; MemoryBound: 0
; FloatMode: 240
; IeeeMode: 1
; LDSByteSize: 0 bytes/workgroup (compile time only)
; SGPRBlocks: 0
; VGPRBlocks: 0
; NumSGPRsForWavesPerEU: 6
; NumVGPRsForWavesPerEU: 1
; AccumOffset: 4
; Occupancy: 8
; WaveLimiterHint : 0
; COMPUTE_PGM_RSRC2:SCRATCH_EN: 0
; COMPUTE_PGM_RSRC2:USER_SGPR: 0
; COMPUTE_PGM_RSRC2:TRAP_HANDLER: 0
; COMPUTE_PGM_RSRC2:TGID_X_EN: 1
; COMPUTE_PGM_RSRC2:TGID_Y_EN: 0
; COMPUTE_PGM_RSRC2:TGID_Z_EN: 0
; COMPUTE_PGM_RSRC2:TIDIG_COMP_CNT: 0
; COMPUTE_PGM_RSRC3_GFX90A:ACCUM_OFFSET: 0
; COMPUTE_PGM_RSRC3_GFX90A:TG_SPLIT: 0
	.section	.text._ZN7rocprim17ROCPRIM_400000_NS6detail44device_merge_sort_compile_time_verifier_archINS1_11comp_targetILNS1_3genE10ELNS1_11target_archE1201ELNS1_3gpuE5ELNS1_3repE0EEES8_NS1_28merge_sort_block_sort_configILj256ELj4ELNS0_20block_sort_algorithmE0EEENS0_14default_configENS1_37merge_sort_block_sort_config_selectorIyNS0_10empty_typeEEENS1_38merge_sort_block_merge_config_selectorIySE_EEEEvv,"axG",@progbits,_ZN7rocprim17ROCPRIM_400000_NS6detail44device_merge_sort_compile_time_verifier_archINS1_11comp_targetILNS1_3genE10ELNS1_11target_archE1201ELNS1_3gpuE5ELNS1_3repE0EEES8_NS1_28merge_sort_block_sort_configILj256ELj4ELNS0_20block_sort_algorithmE0EEENS0_14default_configENS1_37merge_sort_block_sort_config_selectorIyNS0_10empty_typeEEENS1_38merge_sort_block_merge_config_selectorIySE_EEEEvv,comdat
	.protected	_ZN7rocprim17ROCPRIM_400000_NS6detail44device_merge_sort_compile_time_verifier_archINS1_11comp_targetILNS1_3genE10ELNS1_11target_archE1201ELNS1_3gpuE5ELNS1_3repE0EEES8_NS1_28merge_sort_block_sort_configILj256ELj4ELNS0_20block_sort_algorithmE0EEENS0_14default_configENS1_37merge_sort_block_sort_config_selectorIyNS0_10empty_typeEEENS1_38merge_sort_block_merge_config_selectorIySE_EEEEvv ; -- Begin function _ZN7rocprim17ROCPRIM_400000_NS6detail44device_merge_sort_compile_time_verifier_archINS1_11comp_targetILNS1_3genE10ELNS1_11target_archE1201ELNS1_3gpuE5ELNS1_3repE0EEES8_NS1_28merge_sort_block_sort_configILj256ELj4ELNS0_20block_sort_algorithmE0EEENS0_14default_configENS1_37merge_sort_block_sort_config_selectorIyNS0_10empty_typeEEENS1_38merge_sort_block_merge_config_selectorIySE_EEEEvv
	.globl	_ZN7rocprim17ROCPRIM_400000_NS6detail44device_merge_sort_compile_time_verifier_archINS1_11comp_targetILNS1_3genE10ELNS1_11target_archE1201ELNS1_3gpuE5ELNS1_3repE0EEES8_NS1_28merge_sort_block_sort_configILj256ELj4ELNS0_20block_sort_algorithmE0EEENS0_14default_configENS1_37merge_sort_block_sort_config_selectorIyNS0_10empty_typeEEENS1_38merge_sort_block_merge_config_selectorIySE_EEEEvv
	.p2align	8
	.type	_ZN7rocprim17ROCPRIM_400000_NS6detail44device_merge_sort_compile_time_verifier_archINS1_11comp_targetILNS1_3genE10ELNS1_11target_archE1201ELNS1_3gpuE5ELNS1_3repE0EEES8_NS1_28merge_sort_block_sort_configILj256ELj4ELNS0_20block_sort_algorithmE0EEENS0_14default_configENS1_37merge_sort_block_sort_config_selectorIyNS0_10empty_typeEEENS1_38merge_sort_block_merge_config_selectorIySE_EEEEvv,@function
_ZN7rocprim17ROCPRIM_400000_NS6detail44device_merge_sort_compile_time_verifier_archINS1_11comp_targetILNS1_3genE10ELNS1_11target_archE1201ELNS1_3gpuE5ELNS1_3repE0EEES8_NS1_28merge_sort_block_sort_configILj256ELj4ELNS0_20block_sort_algorithmE0EEENS0_14default_configENS1_37merge_sort_block_sort_config_selectorIyNS0_10empty_typeEEENS1_38merge_sort_block_merge_config_selectorIySE_EEEEvv: ; @_ZN7rocprim17ROCPRIM_400000_NS6detail44device_merge_sort_compile_time_verifier_archINS1_11comp_targetILNS1_3genE10ELNS1_11target_archE1201ELNS1_3gpuE5ELNS1_3repE0EEES8_NS1_28merge_sort_block_sort_configILj256ELj4ELNS0_20block_sort_algorithmE0EEENS0_14default_configENS1_37merge_sort_block_sort_config_selectorIyNS0_10empty_typeEEENS1_38merge_sort_block_merge_config_selectorIySE_EEEEvv
; %bb.0:
	s_endpgm
	.section	.rodata,"a",@progbits
	.p2align	6, 0x0
	.amdhsa_kernel _ZN7rocprim17ROCPRIM_400000_NS6detail44device_merge_sort_compile_time_verifier_archINS1_11comp_targetILNS1_3genE10ELNS1_11target_archE1201ELNS1_3gpuE5ELNS1_3repE0EEES8_NS1_28merge_sort_block_sort_configILj256ELj4ELNS0_20block_sort_algorithmE0EEENS0_14default_configENS1_37merge_sort_block_sort_config_selectorIyNS0_10empty_typeEEENS1_38merge_sort_block_merge_config_selectorIySE_EEEEvv
		.amdhsa_group_segment_fixed_size 0
		.amdhsa_private_segment_fixed_size 0
		.amdhsa_kernarg_size 0
		.amdhsa_user_sgpr_count 0
		.amdhsa_user_sgpr_dispatch_ptr 0
		.amdhsa_user_sgpr_queue_ptr 0
		.amdhsa_user_sgpr_kernarg_segment_ptr 0
		.amdhsa_user_sgpr_dispatch_id 0
		.amdhsa_user_sgpr_kernarg_preload_length 0
		.amdhsa_user_sgpr_kernarg_preload_offset 0
		.amdhsa_user_sgpr_private_segment_size 0
		.amdhsa_uses_dynamic_stack 0
		.amdhsa_enable_private_segment 0
		.amdhsa_system_sgpr_workgroup_id_x 1
		.amdhsa_system_sgpr_workgroup_id_y 0
		.amdhsa_system_sgpr_workgroup_id_z 0
		.amdhsa_system_sgpr_workgroup_info 0
		.amdhsa_system_vgpr_workitem_id 0
		.amdhsa_next_free_vgpr 1
		.amdhsa_next_free_sgpr 0
		.amdhsa_accum_offset 4
		.amdhsa_reserve_vcc 0
		.amdhsa_float_round_mode_32 0
		.amdhsa_float_round_mode_16_64 0
		.amdhsa_float_denorm_mode_32 3
		.amdhsa_float_denorm_mode_16_64 3
		.amdhsa_dx10_clamp 1
		.amdhsa_ieee_mode 1
		.amdhsa_fp16_overflow 0
		.amdhsa_tg_split 0
		.amdhsa_exception_fp_ieee_invalid_op 0
		.amdhsa_exception_fp_denorm_src 0
		.amdhsa_exception_fp_ieee_div_zero 0
		.amdhsa_exception_fp_ieee_overflow 0
		.amdhsa_exception_fp_ieee_underflow 0
		.amdhsa_exception_fp_ieee_inexact 0
		.amdhsa_exception_int_div_zero 0
	.end_amdhsa_kernel
	.section	.text._ZN7rocprim17ROCPRIM_400000_NS6detail44device_merge_sort_compile_time_verifier_archINS1_11comp_targetILNS1_3genE10ELNS1_11target_archE1201ELNS1_3gpuE5ELNS1_3repE0EEES8_NS1_28merge_sort_block_sort_configILj256ELj4ELNS0_20block_sort_algorithmE0EEENS0_14default_configENS1_37merge_sort_block_sort_config_selectorIyNS0_10empty_typeEEENS1_38merge_sort_block_merge_config_selectorIySE_EEEEvv,"axG",@progbits,_ZN7rocprim17ROCPRIM_400000_NS6detail44device_merge_sort_compile_time_verifier_archINS1_11comp_targetILNS1_3genE10ELNS1_11target_archE1201ELNS1_3gpuE5ELNS1_3repE0EEES8_NS1_28merge_sort_block_sort_configILj256ELj4ELNS0_20block_sort_algorithmE0EEENS0_14default_configENS1_37merge_sort_block_sort_config_selectorIyNS0_10empty_typeEEENS1_38merge_sort_block_merge_config_selectorIySE_EEEEvv,comdat
.Lfunc_end720:
	.size	_ZN7rocprim17ROCPRIM_400000_NS6detail44device_merge_sort_compile_time_verifier_archINS1_11comp_targetILNS1_3genE10ELNS1_11target_archE1201ELNS1_3gpuE5ELNS1_3repE0EEES8_NS1_28merge_sort_block_sort_configILj256ELj4ELNS0_20block_sort_algorithmE0EEENS0_14default_configENS1_37merge_sort_block_sort_config_selectorIyNS0_10empty_typeEEENS1_38merge_sort_block_merge_config_selectorIySE_EEEEvv, .Lfunc_end720-_ZN7rocprim17ROCPRIM_400000_NS6detail44device_merge_sort_compile_time_verifier_archINS1_11comp_targetILNS1_3genE10ELNS1_11target_archE1201ELNS1_3gpuE5ELNS1_3repE0EEES8_NS1_28merge_sort_block_sort_configILj256ELj4ELNS0_20block_sort_algorithmE0EEENS0_14default_configENS1_37merge_sort_block_sort_config_selectorIyNS0_10empty_typeEEENS1_38merge_sort_block_merge_config_selectorIySE_EEEEvv
                                        ; -- End function
	.section	.AMDGPU.csdata,"",@progbits
; Kernel info:
; codeLenInByte = 4
; NumSgprs: 6
; NumVgprs: 0
; NumAgprs: 0
; TotalNumVgprs: 0
; ScratchSize: 0
; MemoryBound: 0
; FloatMode: 240
; IeeeMode: 1
; LDSByteSize: 0 bytes/workgroup (compile time only)
; SGPRBlocks: 0
; VGPRBlocks: 0
; NumSGPRsForWavesPerEU: 6
; NumVGPRsForWavesPerEU: 1
; AccumOffset: 4
; Occupancy: 8
; WaveLimiterHint : 0
; COMPUTE_PGM_RSRC2:SCRATCH_EN: 0
; COMPUTE_PGM_RSRC2:USER_SGPR: 0
; COMPUTE_PGM_RSRC2:TRAP_HANDLER: 0
; COMPUTE_PGM_RSRC2:TGID_X_EN: 1
; COMPUTE_PGM_RSRC2:TGID_Y_EN: 0
; COMPUTE_PGM_RSRC2:TGID_Z_EN: 0
; COMPUTE_PGM_RSRC2:TIDIG_COMP_CNT: 0
; COMPUTE_PGM_RSRC3_GFX90A:ACCUM_OFFSET: 0
; COMPUTE_PGM_RSRC3_GFX90A:TG_SPLIT: 0
	.section	.text._ZN7rocprim17ROCPRIM_400000_NS6detail44device_merge_sort_compile_time_verifier_archINS1_11comp_targetILNS1_3genE10ELNS1_11target_archE1200ELNS1_3gpuE4ELNS1_3repE0EEENS3_ILS4_10ELS5_1201ELS6_5ELS7_0EEENS1_28merge_sort_block_sort_configILj256ELj4ELNS0_20block_sort_algorithmE0EEENS0_14default_configENS1_37merge_sort_block_sort_config_selectorIyNS0_10empty_typeEEENS1_38merge_sort_block_merge_config_selectorIySF_EEEEvv,"axG",@progbits,_ZN7rocprim17ROCPRIM_400000_NS6detail44device_merge_sort_compile_time_verifier_archINS1_11comp_targetILNS1_3genE10ELNS1_11target_archE1200ELNS1_3gpuE4ELNS1_3repE0EEENS3_ILS4_10ELS5_1201ELS6_5ELS7_0EEENS1_28merge_sort_block_sort_configILj256ELj4ELNS0_20block_sort_algorithmE0EEENS0_14default_configENS1_37merge_sort_block_sort_config_selectorIyNS0_10empty_typeEEENS1_38merge_sort_block_merge_config_selectorIySF_EEEEvv,comdat
	.protected	_ZN7rocprim17ROCPRIM_400000_NS6detail44device_merge_sort_compile_time_verifier_archINS1_11comp_targetILNS1_3genE10ELNS1_11target_archE1200ELNS1_3gpuE4ELNS1_3repE0EEENS3_ILS4_10ELS5_1201ELS6_5ELS7_0EEENS1_28merge_sort_block_sort_configILj256ELj4ELNS0_20block_sort_algorithmE0EEENS0_14default_configENS1_37merge_sort_block_sort_config_selectorIyNS0_10empty_typeEEENS1_38merge_sort_block_merge_config_selectorIySF_EEEEvv ; -- Begin function _ZN7rocprim17ROCPRIM_400000_NS6detail44device_merge_sort_compile_time_verifier_archINS1_11comp_targetILNS1_3genE10ELNS1_11target_archE1200ELNS1_3gpuE4ELNS1_3repE0EEENS3_ILS4_10ELS5_1201ELS6_5ELS7_0EEENS1_28merge_sort_block_sort_configILj256ELj4ELNS0_20block_sort_algorithmE0EEENS0_14default_configENS1_37merge_sort_block_sort_config_selectorIyNS0_10empty_typeEEENS1_38merge_sort_block_merge_config_selectorIySF_EEEEvv
	.globl	_ZN7rocprim17ROCPRIM_400000_NS6detail44device_merge_sort_compile_time_verifier_archINS1_11comp_targetILNS1_3genE10ELNS1_11target_archE1200ELNS1_3gpuE4ELNS1_3repE0EEENS3_ILS4_10ELS5_1201ELS6_5ELS7_0EEENS1_28merge_sort_block_sort_configILj256ELj4ELNS0_20block_sort_algorithmE0EEENS0_14default_configENS1_37merge_sort_block_sort_config_selectorIyNS0_10empty_typeEEENS1_38merge_sort_block_merge_config_selectorIySF_EEEEvv
	.p2align	8
	.type	_ZN7rocprim17ROCPRIM_400000_NS6detail44device_merge_sort_compile_time_verifier_archINS1_11comp_targetILNS1_3genE10ELNS1_11target_archE1200ELNS1_3gpuE4ELNS1_3repE0EEENS3_ILS4_10ELS5_1201ELS6_5ELS7_0EEENS1_28merge_sort_block_sort_configILj256ELj4ELNS0_20block_sort_algorithmE0EEENS0_14default_configENS1_37merge_sort_block_sort_config_selectorIyNS0_10empty_typeEEENS1_38merge_sort_block_merge_config_selectorIySF_EEEEvv,@function
_ZN7rocprim17ROCPRIM_400000_NS6detail44device_merge_sort_compile_time_verifier_archINS1_11comp_targetILNS1_3genE10ELNS1_11target_archE1200ELNS1_3gpuE4ELNS1_3repE0EEENS3_ILS4_10ELS5_1201ELS6_5ELS7_0EEENS1_28merge_sort_block_sort_configILj256ELj4ELNS0_20block_sort_algorithmE0EEENS0_14default_configENS1_37merge_sort_block_sort_config_selectorIyNS0_10empty_typeEEENS1_38merge_sort_block_merge_config_selectorIySF_EEEEvv: ; @_ZN7rocprim17ROCPRIM_400000_NS6detail44device_merge_sort_compile_time_verifier_archINS1_11comp_targetILNS1_3genE10ELNS1_11target_archE1200ELNS1_3gpuE4ELNS1_3repE0EEENS3_ILS4_10ELS5_1201ELS6_5ELS7_0EEENS1_28merge_sort_block_sort_configILj256ELj4ELNS0_20block_sort_algorithmE0EEENS0_14default_configENS1_37merge_sort_block_sort_config_selectorIyNS0_10empty_typeEEENS1_38merge_sort_block_merge_config_selectorIySF_EEEEvv
; %bb.0:
	s_endpgm
	.section	.rodata,"a",@progbits
	.p2align	6, 0x0
	.amdhsa_kernel _ZN7rocprim17ROCPRIM_400000_NS6detail44device_merge_sort_compile_time_verifier_archINS1_11comp_targetILNS1_3genE10ELNS1_11target_archE1200ELNS1_3gpuE4ELNS1_3repE0EEENS3_ILS4_10ELS5_1201ELS6_5ELS7_0EEENS1_28merge_sort_block_sort_configILj256ELj4ELNS0_20block_sort_algorithmE0EEENS0_14default_configENS1_37merge_sort_block_sort_config_selectorIyNS0_10empty_typeEEENS1_38merge_sort_block_merge_config_selectorIySF_EEEEvv
		.amdhsa_group_segment_fixed_size 0
		.amdhsa_private_segment_fixed_size 0
		.amdhsa_kernarg_size 0
		.amdhsa_user_sgpr_count 0
		.amdhsa_user_sgpr_dispatch_ptr 0
		.amdhsa_user_sgpr_queue_ptr 0
		.amdhsa_user_sgpr_kernarg_segment_ptr 0
		.amdhsa_user_sgpr_dispatch_id 0
		.amdhsa_user_sgpr_kernarg_preload_length 0
		.amdhsa_user_sgpr_kernarg_preload_offset 0
		.amdhsa_user_sgpr_private_segment_size 0
		.amdhsa_uses_dynamic_stack 0
		.amdhsa_enable_private_segment 0
		.amdhsa_system_sgpr_workgroup_id_x 1
		.amdhsa_system_sgpr_workgroup_id_y 0
		.amdhsa_system_sgpr_workgroup_id_z 0
		.amdhsa_system_sgpr_workgroup_info 0
		.amdhsa_system_vgpr_workitem_id 0
		.amdhsa_next_free_vgpr 1
		.amdhsa_next_free_sgpr 0
		.amdhsa_accum_offset 4
		.amdhsa_reserve_vcc 0
		.amdhsa_float_round_mode_32 0
		.amdhsa_float_round_mode_16_64 0
		.amdhsa_float_denorm_mode_32 3
		.amdhsa_float_denorm_mode_16_64 3
		.amdhsa_dx10_clamp 1
		.amdhsa_ieee_mode 1
		.amdhsa_fp16_overflow 0
		.amdhsa_tg_split 0
		.amdhsa_exception_fp_ieee_invalid_op 0
		.amdhsa_exception_fp_denorm_src 0
		.amdhsa_exception_fp_ieee_div_zero 0
		.amdhsa_exception_fp_ieee_overflow 0
		.amdhsa_exception_fp_ieee_underflow 0
		.amdhsa_exception_fp_ieee_inexact 0
		.amdhsa_exception_int_div_zero 0
	.end_amdhsa_kernel
	.section	.text._ZN7rocprim17ROCPRIM_400000_NS6detail44device_merge_sort_compile_time_verifier_archINS1_11comp_targetILNS1_3genE10ELNS1_11target_archE1200ELNS1_3gpuE4ELNS1_3repE0EEENS3_ILS4_10ELS5_1201ELS6_5ELS7_0EEENS1_28merge_sort_block_sort_configILj256ELj4ELNS0_20block_sort_algorithmE0EEENS0_14default_configENS1_37merge_sort_block_sort_config_selectorIyNS0_10empty_typeEEENS1_38merge_sort_block_merge_config_selectorIySF_EEEEvv,"axG",@progbits,_ZN7rocprim17ROCPRIM_400000_NS6detail44device_merge_sort_compile_time_verifier_archINS1_11comp_targetILNS1_3genE10ELNS1_11target_archE1200ELNS1_3gpuE4ELNS1_3repE0EEENS3_ILS4_10ELS5_1201ELS6_5ELS7_0EEENS1_28merge_sort_block_sort_configILj256ELj4ELNS0_20block_sort_algorithmE0EEENS0_14default_configENS1_37merge_sort_block_sort_config_selectorIyNS0_10empty_typeEEENS1_38merge_sort_block_merge_config_selectorIySF_EEEEvv,comdat
.Lfunc_end721:
	.size	_ZN7rocprim17ROCPRIM_400000_NS6detail44device_merge_sort_compile_time_verifier_archINS1_11comp_targetILNS1_3genE10ELNS1_11target_archE1200ELNS1_3gpuE4ELNS1_3repE0EEENS3_ILS4_10ELS5_1201ELS6_5ELS7_0EEENS1_28merge_sort_block_sort_configILj256ELj4ELNS0_20block_sort_algorithmE0EEENS0_14default_configENS1_37merge_sort_block_sort_config_selectorIyNS0_10empty_typeEEENS1_38merge_sort_block_merge_config_selectorIySF_EEEEvv, .Lfunc_end721-_ZN7rocprim17ROCPRIM_400000_NS6detail44device_merge_sort_compile_time_verifier_archINS1_11comp_targetILNS1_3genE10ELNS1_11target_archE1200ELNS1_3gpuE4ELNS1_3repE0EEENS3_ILS4_10ELS5_1201ELS6_5ELS7_0EEENS1_28merge_sort_block_sort_configILj256ELj4ELNS0_20block_sort_algorithmE0EEENS0_14default_configENS1_37merge_sort_block_sort_config_selectorIyNS0_10empty_typeEEENS1_38merge_sort_block_merge_config_selectorIySF_EEEEvv
                                        ; -- End function
	.section	.AMDGPU.csdata,"",@progbits
; Kernel info:
; codeLenInByte = 4
; NumSgprs: 6
; NumVgprs: 0
; NumAgprs: 0
; TotalNumVgprs: 0
; ScratchSize: 0
; MemoryBound: 0
; FloatMode: 240
; IeeeMode: 1
; LDSByteSize: 0 bytes/workgroup (compile time only)
; SGPRBlocks: 0
; VGPRBlocks: 0
; NumSGPRsForWavesPerEU: 6
; NumVGPRsForWavesPerEU: 1
; AccumOffset: 4
; Occupancy: 8
; WaveLimiterHint : 0
; COMPUTE_PGM_RSRC2:SCRATCH_EN: 0
; COMPUTE_PGM_RSRC2:USER_SGPR: 0
; COMPUTE_PGM_RSRC2:TRAP_HANDLER: 0
; COMPUTE_PGM_RSRC2:TGID_X_EN: 1
; COMPUTE_PGM_RSRC2:TGID_Y_EN: 0
; COMPUTE_PGM_RSRC2:TGID_Z_EN: 0
; COMPUTE_PGM_RSRC2:TIDIG_COMP_CNT: 0
; COMPUTE_PGM_RSRC3_GFX90A:ACCUM_OFFSET: 0
; COMPUTE_PGM_RSRC3_GFX90A:TG_SPLIT: 0
	.section	.text._ZN7rocprim17ROCPRIM_400000_NS6detail44device_merge_sort_compile_time_verifier_archINS1_11comp_targetILNS1_3genE9ELNS1_11target_archE1100ELNS1_3gpuE3ELNS1_3repE0EEES8_NS1_28merge_sort_block_sort_configILj256ELj4ELNS0_20block_sort_algorithmE0EEENS0_14default_configENS1_37merge_sort_block_sort_config_selectorIyNS0_10empty_typeEEENS1_38merge_sort_block_merge_config_selectorIySE_EEEEvv,"axG",@progbits,_ZN7rocprim17ROCPRIM_400000_NS6detail44device_merge_sort_compile_time_verifier_archINS1_11comp_targetILNS1_3genE9ELNS1_11target_archE1100ELNS1_3gpuE3ELNS1_3repE0EEES8_NS1_28merge_sort_block_sort_configILj256ELj4ELNS0_20block_sort_algorithmE0EEENS0_14default_configENS1_37merge_sort_block_sort_config_selectorIyNS0_10empty_typeEEENS1_38merge_sort_block_merge_config_selectorIySE_EEEEvv,comdat
	.protected	_ZN7rocprim17ROCPRIM_400000_NS6detail44device_merge_sort_compile_time_verifier_archINS1_11comp_targetILNS1_3genE9ELNS1_11target_archE1100ELNS1_3gpuE3ELNS1_3repE0EEES8_NS1_28merge_sort_block_sort_configILj256ELj4ELNS0_20block_sort_algorithmE0EEENS0_14default_configENS1_37merge_sort_block_sort_config_selectorIyNS0_10empty_typeEEENS1_38merge_sort_block_merge_config_selectorIySE_EEEEvv ; -- Begin function _ZN7rocprim17ROCPRIM_400000_NS6detail44device_merge_sort_compile_time_verifier_archINS1_11comp_targetILNS1_3genE9ELNS1_11target_archE1100ELNS1_3gpuE3ELNS1_3repE0EEES8_NS1_28merge_sort_block_sort_configILj256ELj4ELNS0_20block_sort_algorithmE0EEENS0_14default_configENS1_37merge_sort_block_sort_config_selectorIyNS0_10empty_typeEEENS1_38merge_sort_block_merge_config_selectorIySE_EEEEvv
	.globl	_ZN7rocprim17ROCPRIM_400000_NS6detail44device_merge_sort_compile_time_verifier_archINS1_11comp_targetILNS1_3genE9ELNS1_11target_archE1100ELNS1_3gpuE3ELNS1_3repE0EEES8_NS1_28merge_sort_block_sort_configILj256ELj4ELNS0_20block_sort_algorithmE0EEENS0_14default_configENS1_37merge_sort_block_sort_config_selectorIyNS0_10empty_typeEEENS1_38merge_sort_block_merge_config_selectorIySE_EEEEvv
	.p2align	8
	.type	_ZN7rocprim17ROCPRIM_400000_NS6detail44device_merge_sort_compile_time_verifier_archINS1_11comp_targetILNS1_3genE9ELNS1_11target_archE1100ELNS1_3gpuE3ELNS1_3repE0EEES8_NS1_28merge_sort_block_sort_configILj256ELj4ELNS0_20block_sort_algorithmE0EEENS0_14default_configENS1_37merge_sort_block_sort_config_selectorIyNS0_10empty_typeEEENS1_38merge_sort_block_merge_config_selectorIySE_EEEEvv,@function
_ZN7rocprim17ROCPRIM_400000_NS6detail44device_merge_sort_compile_time_verifier_archINS1_11comp_targetILNS1_3genE9ELNS1_11target_archE1100ELNS1_3gpuE3ELNS1_3repE0EEES8_NS1_28merge_sort_block_sort_configILj256ELj4ELNS0_20block_sort_algorithmE0EEENS0_14default_configENS1_37merge_sort_block_sort_config_selectorIyNS0_10empty_typeEEENS1_38merge_sort_block_merge_config_selectorIySE_EEEEvv: ; @_ZN7rocprim17ROCPRIM_400000_NS6detail44device_merge_sort_compile_time_verifier_archINS1_11comp_targetILNS1_3genE9ELNS1_11target_archE1100ELNS1_3gpuE3ELNS1_3repE0EEES8_NS1_28merge_sort_block_sort_configILj256ELj4ELNS0_20block_sort_algorithmE0EEENS0_14default_configENS1_37merge_sort_block_sort_config_selectorIyNS0_10empty_typeEEENS1_38merge_sort_block_merge_config_selectorIySE_EEEEvv
; %bb.0:
	s_endpgm
	.section	.rodata,"a",@progbits
	.p2align	6, 0x0
	.amdhsa_kernel _ZN7rocprim17ROCPRIM_400000_NS6detail44device_merge_sort_compile_time_verifier_archINS1_11comp_targetILNS1_3genE9ELNS1_11target_archE1100ELNS1_3gpuE3ELNS1_3repE0EEES8_NS1_28merge_sort_block_sort_configILj256ELj4ELNS0_20block_sort_algorithmE0EEENS0_14default_configENS1_37merge_sort_block_sort_config_selectorIyNS0_10empty_typeEEENS1_38merge_sort_block_merge_config_selectorIySE_EEEEvv
		.amdhsa_group_segment_fixed_size 0
		.amdhsa_private_segment_fixed_size 0
		.amdhsa_kernarg_size 0
		.amdhsa_user_sgpr_count 0
		.amdhsa_user_sgpr_dispatch_ptr 0
		.amdhsa_user_sgpr_queue_ptr 0
		.amdhsa_user_sgpr_kernarg_segment_ptr 0
		.amdhsa_user_sgpr_dispatch_id 0
		.amdhsa_user_sgpr_kernarg_preload_length 0
		.amdhsa_user_sgpr_kernarg_preload_offset 0
		.amdhsa_user_sgpr_private_segment_size 0
		.amdhsa_uses_dynamic_stack 0
		.amdhsa_enable_private_segment 0
		.amdhsa_system_sgpr_workgroup_id_x 1
		.amdhsa_system_sgpr_workgroup_id_y 0
		.amdhsa_system_sgpr_workgroup_id_z 0
		.amdhsa_system_sgpr_workgroup_info 0
		.amdhsa_system_vgpr_workitem_id 0
		.amdhsa_next_free_vgpr 1
		.amdhsa_next_free_sgpr 0
		.amdhsa_accum_offset 4
		.amdhsa_reserve_vcc 0
		.amdhsa_float_round_mode_32 0
		.amdhsa_float_round_mode_16_64 0
		.amdhsa_float_denorm_mode_32 3
		.amdhsa_float_denorm_mode_16_64 3
		.amdhsa_dx10_clamp 1
		.amdhsa_ieee_mode 1
		.amdhsa_fp16_overflow 0
		.amdhsa_tg_split 0
		.amdhsa_exception_fp_ieee_invalid_op 0
		.amdhsa_exception_fp_denorm_src 0
		.amdhsa_exception_fp_ieee_div_zero 0
		.amdhsa_exception_fp_ieee_overflow 0
		.amdhsa_exception_fp_ieee_underflow 0
		.amdhsa_exception_fp_ieee_inexact 0
		.amdhsa_exception_int_div_zero 0
	.end_amdhsa_kernel
	.section	.text._ZN7rocprim17ROCPRIM_400000_NS6detail44device_merge_sort_compile_time_verifier_archINS1_11comp_targetILNS1_3genE9ELNS1_11target_archE1100ELNS1_3gpuE3ELNS1_3repE0EEES8_NS1_28merge_sort_block_sort_configILj256ELj4ELNS0_20block_sort_algorithmE0EEENS0_14default_configENS1_37merge_sort_block_sort_config_selectorIyNS0_10empty_typeEEENS1_38merge_sort_block_merge_config_selectorIySE_EEEEvv,"axG",@progbits,_ZN7rocprim17ROCPRIM_400000_NS6detail44device_merge_sort_compile_time_verifier_archINS1_11comp_targetILNS1_3genE9ELNS1_11target_archE1100ELNS1_3gpuE3ELNS1_3repE0EEES8_NS1_28merge_sort_block_sort_configILj256ELj4ELNS0_20block_sort_algorithmE0EEENS0_14default_configENS1_37merge_sort_block_sort_config_selectorIyNS0_10empty_typeEEENS1_38merge_sort_block_merge_config_selectorIySE_EEEEvv,comdat
.Lfunc_end722:
	.size	_ZN7rocprim17ROCPRIM_400000_NS6detail44device_merge_sort_compile_time_verifier_archINS1_11comp_targetILNS1_3genE9ELNS1_11target_archE1100ELNS1_3gpuE3ELNS1_3repE0EEES8_NS1_28merge_sort_block_sort_configILj256ELj4ELNS0_20block_sort_algorithmE0EEENS0_14default_configENS1_37merge_sort_block_sort_config_selectorIyNS0_10empty_typeEEENS1_38merge_sort_block_merge_config_selectorIySE_EEEEvv, .Lfunc_end722-_ZN7rocprim17ROCPRIM_400000_NS6detail44device_merge_sort_compile_time_verifier_archINS1_11comp_targetILNS1_3genE9ELNS1_11target_archE1100ELNS1_3gpuE3ELNS1_3repE0EEES8_NS1_28merge_sort_block_sort_configILj256ELj4ELNS0_20block_sort_algorithmE0EEENS0_14default_configENS1_37merge_sort_block_sort_config_selectorIyNS0_10empty_typeEEENS1_38merge_sort_block_merge_config_selectorIySE_EEEEvv
                                        ; -- End function
	.section	.AMDGPU.csdata,"",@progbits
; Kernel info:
; codeLenInByte = 4
; NumSgprs: 6
; NumVgprs: 0
; NumAgprs: 0
; TotalNumVgprs: 0
; ScratchSize: 0
; MemoryBound: 0
; FloatMode: 240
; IeeeMode: 1
; LDSByteSize: 0 bytes/workgroup (compile time only)
; SGPRBlocks: 0
; VGPRBlocks: 0
; NumSGPRsForWavesPerEU: 6
; NumVGPRsForWavesPerEU: 1
; AccumOffset: 4
; Occupancy: 8
; WaveLimiterHint : 0
; COMPUTE_PGM_RSRC2:SCRATCH_EN: 0
; COMPUTE_PGM_RSRC2:USER_SGPR: 0
; COMPUTE_PGM_RSRC2:TRAP_HANDLER: 0
; COMPUTE_PGM_RSRC2:TGID_X_EN: 1
; COMPUTE_PGM_RSRC2:TGID_Y_EN: 0
; COMPUTE_PGM_RSRC2:TGID_Z_EN: 0
; COMPUTE_PGM_RSRC2:TIDIG_COMP_CNT: 0
; COMPUTE_PGM_RSRC3_GFX90A:ACCUM_OFFSET: 0
; COMPUTE_PGM_RSRC3_GFX90A:TG_SPLIT: 0
	.section	.text._ZN7rocprim17ROCPRIM_400000_NS6detail44device_merge_sort_compile_time_verifier_archINS1_11comp_targetILNS1_3genE8ELNS1_11target_archE1030ELNS1_3gpuE2ELNS1_3repE0EEES8_NS1_28merge_sort_block_sort_configILj256ELj4ELNS0_20block_sort_algorithmE0EEENS0_14default_configENS1_37merge_sort_block_sort_config_selectorIyNS0_10empty_typeEEENS1_38merge_sort_block_merge_config_selectorIySE_EEEEvv,"axG",@progbits,_ZN7rocprim17ROCPRIM_400000_NS6detail44device_merge_sort_compile_time_verifier_archINS1_11comp_targetILNS1_3genE8ELNS1_11target_archE1030ELNS1_3gpuE2ELNS1_3repE0EEES8_NS1_28merge_sort_block_sort_configILj256ELj4ELNS0_20block_sort_algorithmE0EEENS0_14default_configENS1_37merge_sort_block_sort_config_selectorIyNS0_10empty_typeEEENS1_38merge_sort_block_merge_config_selectorIySE_EEEEvv,comdat
	.protected	_ZN7rocprim17ROCPRIM_400000_NS6detail44device_merge_sort_compile_time_verifier_archINS1_11comp_targetILNS1_3genE8ELNS1_11target_archE1030ELNS1_3gpuE2ELNS1_3repE0EEES8_NS1_28merge_sort_block_sort_configILj256ELj4ELNS0_20block_sort_algorithmE0EEENS0_14default_configENS1_37merge_sort_block_sort_config_selectorIyNS0_10empty_typeEEENS1_38merge_sort_block_merge_config_selectorIySE_EEEEvv ; -- Begin function _ZN7rocprim17ROCPRIM_400000_NS6detail44device_merge_sort_compile_time_verifier_archINS1_11comp_targetILNS1_3genE8ELNS1_11target_archE1030ELNS1_3gpuE2ELNS1_3repE0EEES8_NS1_28merge_sort_block_sort_configILj256ELj4ELNS0_20block_sort_algorithmE0EEENS0_14default_configENS1_37merge_sort_block_sort_config_selectorIyNS0_10empty_typeEEENS1_38merge_sort_block_merge_config_selectorIySE_EEEEvv
	.globl	_ZN7rocprim17ROCPRIM_400000_NS6detail44device_merge_sort_compile_time_verifier_archINS1_11comp_targetILNS1_3genE8ELNS1_11target_archE1030ELNS1_3gpuE2ELNS1_3repE0EEES8_NS1_28merge_sort_block_sort_configILj256ELj4ELNS0_20block_sort_algorithmE0EEENS0_14default_configENS1_37merge_sort_block_sort_config_selectorIyNS0_10empty_typeEEENS1_38merge_sort_block_merge_config_selectorIySE_EEEEvv
	.p2align	8
	.type	_ZN7rocprim17ROCPRIM_400000_NS6detail44device_merge_sort_compile_time_verifier_archINS1_11comp_targetILNS1_3genE8ELNS1_11target_archE1030ELNS1_3gpuE2ELNS1_3repE0EEES8_NS1_28merge_sort_block_sort_configILj256ELj4ELNS0_20block_sort_algorithmE0EEENS0_14default_configENS1_37merge_sort_block_sort_config_selectorIyNS0_10empty_typeEEENS1_38merge_sort_block_merge_config_selectorIySE_EEEEvv,@function
_ZN7rocprim17ROCPRIM_400000_NS6detail44device_merge_sort_compile_time_verifier_archINS1_11comp_targetILNS1_3genE8ELNS1_11target_archE1030ELNS1_3gpuE2ELNS1_3repE0EEES8_NS1_28merge_sort_block_sort_configILj256ELj4ELNS0_20block_sort_algorithmE0EEENS0_14default_configENS1_37merge_sort_block_sort_config_selectorIyNS0_10empty_typeEEENS1_38merge_sort_block_merge_config_selectorIySE_EEEEvv: ; @_ZN7rocprim17ROCPRIM_400000_NS6detail44device_merge_sort_compile_time_verifier_archINS1_11comp_targetILNS1_3genE8ELNS1_11target_archE1030ELNS1_3gpuE2ELNS1_3repE0EEES8_NS1_28merge_sort_block_sort_configILj256ELj4ELNS0_20block_sort_algorithmE0EEENS0_14default_configENS1_37merge_sort_block_sort_config_selectorIyNS0_10empty_typeEEENS1_38merge_sort_block_merge_config_selectorIySE_EEEEvv
; %bb.0:
	s_endpgm
	.section	.rodata,"a",@progbits
	.p2align	6, 0x0
	.amdhsa_kernel _ZN7rocprim17ROCPRIM_400000_NS6detail44device_merge_sort_compile_time_verifier_archINS1_11comp_targetILNS1_3genE8ELNS1_11target_archE1030ELNS1_3gpuE2ELNS1_3repE0EEES8_NS1_28merge_sort_block_sort_configILj256ELj4ELNS0_20block_sort_algorithmE0EEENS0_14default_configENS1_37merge_sort_block_sort_config_selectorIyNS0_10empty_typeEEENS1_38merge_sort_block_merge_config_selectorIySE_EEEEvv
		.amdhsa_group_segment_fixed_size 0
		.amdhsa_private_segment_fixed_size 0
		.amdhsa_kernarg_size 0
		.amdhsa_user_sgpr_count 0
		.amdhsa_user_sgpr_dispatch_ptr 0
		.amdhsa_user_sgpr_queue_ptr 0
		.amdhsa_user_sgpr_kernarg_segment_ptr 0
		.amdhsa_user_sgpr_dispatch_id 0
		.amdhsa_user_sgpr_kernarg_preload_length 0
		.amdhsa_user_sgpr_kernarg_preload_offset 0
		.amdhsa_user_sgpr_private_segment_size 0
		.amdhsa_uses_dynamic_stack 0
		.amdhsa_enable_private_segment 0
		.amdhsa_system_sgpr_workgroup_id_x 1
		.amdhsa_system_sgpr_workgroup_id_y 0
		.amdhsa_system_sgpr_workgroup_id_z 0
		.amdhsa_system_sgpr_workgroup_info 0
		.amdhsa_system_vgpr_workitem_id 0
		.amdhsa_next_free_vgpr 1
		.amdhsa_next_free_sgpr 0
		.amdhsa_accum_offset 4
		.amdhsa_reserve_vcc 0
		.amdhsa_float_round_mode_32 0
		.amdhsa_float_round_mode_16_64 0
		.amdhsa_float_denorm_mode_32 3
		.amdhsa_float_denorm_mode_16_64 3
		.amdhsa_dx10_clamp 1
		.amdhsa_ieee_mode 1
		.amdhsa_fp16_overflow 0
		.amdhsa_tg_split 0
		.amdhsa_exception_fp_ieee_invalid_op 0
		.amdhsa_exception_fp_denorm_src 0
		.amdhsa_exception_fp_ieee_div_zero 0
		.amdhsa_exception_fp_ieee_overflow 0
		.amdhsa_exception_fp_ieee_underflow 0
		.amdhsa_exception_fp_ieee_inexact 0
		.amdhsa_exception_int_div_zero 0
	.end_amdhsa_kernel
	.section	.text._ZN7rocprim17ROCPRIM_400000_NS6detail44device_merge_sort_compile_time_verifier_archINS1_11comp_targetILNS1_3genE8ELNS1_11target_archE1030ELNS1_3gpuE2ELNS1_3repE0EEES8_NS1_28merge_sort_block_sort_configILj256ELj4ELNS0_20block_sort_algorithmE0EEENS0_14default_configENS1_37merge_sort_block_sort_config_selectorIyNS0_10empty_typeEEENS1_38merge_sort_block_merge_config_selectorIySE_EEEEvv,"axG",@progbits,_ZN7rocprim17ROCPRIM_400000_NS6detail44device_merge_sort_compile_time_verifier_archINS1_11comp_targetILNS1_3genE8ELNS1_11target_archE1030ELNS1_3gpuE2ELNS1_3repE0EEES8_NS1_28merge_sort_block_sort_configILj256ELj4ELNS0_20block_sort_algorithmE0EEENS0_14default_configENS1_37merge_sort_block_sort_config_selectorIyNS0_10empty_typeEEENS1_38merge_sort_block_merge_config_selectorIySE_EEEEvv,comdat
.Lfunc_end723:
	.size	_ZN7rocprim17ROCPRIM_400000_NS6detail44device_merge_sort_compile_time_verifier_archINS1_11comp_targetILNS1_3genE8ELNS1_11target_archE1030ELNS1_3gpuE2ELNS1_3repE0EEES8_NS1_28merge_sort_block_sort_configILj256ELj4ELNS0_20block_sort_algorithmE0EEENS0_14default_configENS1_37merge_sort_block_sort_config_selectorIyNS0_10empty_typeEEENS1_38merge_sort_block_merge_config_selectorIySE_EEEEvv, .Lfunc_end723-_ZN7rocprim17ROCPRIM_400000_NS6detail44device_merge_sort_compile_time_verifier_archINS1_11comp_targetILNS1_3genE8ELNS1_11target_archE1030ELNS1_3gpuE2ELNS1_3repE0EEES8_NS1_28merge_sort_block_sort_configILj256ELj4ELNS0_20block_sort_algorithmE0EEENS0_14default_configENS1_37merge_sort_block_sort_config_selectorIyNS0_10empty_typeEEENS1_38merge_sort_block_merge_config_selectorIySE_EEEEvv
                                        ; -- End function
	.section	.AMDGPU.csdata,"",@progbits
; Kernel info:
; codeLenInByte = 4
; NumSgprs: 6
; NumVgprs: 0
; NumAgprs: 0
; TotalNumVgprs: 0
; ScratchSize: 0
; MemoryBound: 0
; FloatMode: 240
; IeeeMode: 1
; LDSByteSize: 0 bytes/workgroup (compile time only)
; SGPRBlocks: 0
; VGPRBlocks: 0
; NumSGPRsForWavesPerEU: 6
; NumVGPRsForWavesPerEU: 1
; AccumOffset: 4
; Occupancy: 8
; WaveLimiterHint : 0
; COMPUTE_PGM_RSRC2:SCRATCH_EN: 0
; COMPUTE_PGM_RSRC2:USER_SGPR: 0
; COMPUTE_PGM_RSRC2:TRAP_HANDLER: 0
; COMPUTE_PGM_RSRC2:TGID_X_EN: 1
; COMPUTE_PGM_RSRC2:TGID_Y_EN: 0
; COMPUTE_PGM_RSRC2:TGID_Z_EN: 0
; COMPUTE_PGM_RSRC2:TIDIG_COMP_CNT: 0
; COMPUTE_PGM_RSRC3_GFX90A:ACCUM_OFFSET: 0
; COMPUTE_PGM_RSRC3_GFX90A:TG_SPLIT: 0
	.section	.text._ZN7rocprim17ROCPRIM_400000_NS6detail17trampoline_kernelINS0_14default_configENS1_38merge_sort_block_merge_config_selectorIyNS0_10empty_typeEEEZZNS1_27merge_sort_block_merge_implIS3_N6thrust23THRUST_200600_302600_NS6detail15normal_iteratorINS9_10device_ptrIyEEEEPS5_jNS1_19radix_merge_compareILb0ELb0EyNS0_19identity_decomposerEEEEE10hipError_tT0_T1_T2_jT3_P12ihipStream_tbPNSt15iterator_traitsISK_E10value_typeEPNSQ_ISL_E10value_typeEPSM_NS1_7vsmem_tEENKUlT_SK_SL_SM_E_clIPySE_SF_SF_EESJ_SZ_SK_SL_SM_EUlSZ_E_NS1_11comp_targetILNS1_3genE0ELNS1_11target_archE4294967295ELNS1_3gpuE0ELNS1_3repE0EEENS1_48merge_mergepath_partition_config_static_selectorELNS0_4arch9wavefront6targetE1EEEvSL_,"axG",@progbits,_ZN7rocprim17ROCPRIM_400000_NS6detail17trampoline_kernelINS0_14default_configENS1_38merge_sort_block_merge_config_selectorIyNS0_10empty_typeEEEZZNS1_27merge_sort_block_merge_implIS3_N6thrust23THRUST_200600_302600_NS6detail15normal_iteratorINS9_10device_ptrIyEEEEPS5_jNS1_19radix_merge_compareILb0ELb0EyNS0_19identity_decomposerEEEEE10hipError_tT0_T1_T2_jT3_P12ihipStream_tbPNSt15iterator_traitsISK_E10value_typeEPNSQ_ISL_E10value_typeEPSM_NS1_7vsmem_tEENKUlT_SK_SL_SM_E_clIPySE_SF_SF_EESJ_SZ_SK_SL_SM_EUlSZ_E_NS1_11comp_targetILNS1_3genE0ELNS1_11target_archE4294967295ELNS1_3gpuE0ELNS1_3repE0EEENS1_48merge_mergepath_partition_config_static_selectorELNS0_4arch9wavefront6targetE1EEEvSL_,comdat
	.protected	_ZN7rocprim17ROCPRIM_400000_NS6detail17trampoline_kernelINS0_14default_configENS1_38merge_sort_block_merge_config_selectorIyNS0_10empty_typeEEEZZNS1_27merge_sort_block_merge_implIS3_N6thrust23THRUST_200600_302600_NS6detail15normal_iteratorINS9_10device_ptrIyEEEEPS5_jNS1_19radix_merge_compareILb0ELb0EyNS0_19identity_decomposerEEEEE10hipError_tT0_T1_T2_jT3_P12ihipStream_tbPNSt15iterator_traitsISK_E10value_typeEPNSQ_ISL_E10value_typeEPSM_NS1_7vsmem_tEENKUlT_SK_SL_SM_E_clIPySE_SF_SF_EESJ_SZ_SK_SL_SM_EUlSZ_E_NS1_11comp_targetILNS1_3genE0ELNS1_11target_archE4294967295ELNS1_3gpuE0ELNS1_3repE0EEENS1_48merge_mergepath_partition_config_static_selectorELNS0_4arch9wavefront6targetE1EEEvSL_ ; -- Begin function _ZN7rocprim17ROCPRIM_400000_NS6detail17trampoline_kernelINS0_14default_configENS1_38merge_sort_block_merge_config_selectorIyNS0_10empty_typeEEEZZNS1_27merge_sort_block_merge_implIS3_N6thrust23THRUST_200600_302600_NS6detail15normal_iteratorINS9_10device_ptrIyEEEEPS5_jNS1_19radix_merge_compareILb0ELb0EyNS0_19identity_decomposerEEEEE10hipError_tT0_T1_T2_jT3_P12ihipStream_tbPNSt15iterator_traitsISK_E10value_typeEPNSQ_ISL_E10value_typeEPSM_NS1_7vsmem_tEENKUlT_SK_SL_SM_E_clIPySE_SF_SF_EESJ_SZ_SK_SL_SM_EUlSZ_E_NS1_11comp_targetILNS1_3genE0ELNS1_11target_archE4294967295ELNS1_3gpuE0ELNS1_3repE0EEENS1_48merge_mergepath_partition_config_static_selectorELNS0_4arch9wavefront6targetE1EEEvSL_
	.globl	_ZN7rocprim17ROCPRIM_400000_NS6detail17trampoline_kernelINS0_14default_configENS1_38merge_sort_block_merge_config_selectorIyNS0_10empty_typeEEEZZNS1_27merge_sort_block_merge_implIS3_N6thrust23THRUST_200600_302600_NS6detail15normal_iteratorINS9_10device_ptrIyEEEEPS5_jNS1_19radix_merge_compareILb0ELb0EyNS0_19identity_decomposerEEEEE10hipError_tT0_T1_T2_jT3_P12ihipStream_tbPNSt15iterator_traitsISK_E10value_typeEPNSQ_ISL_E10value_typeEPSM_NS1_7vsmem_tEENKUlT_SK_SL_SM_E_clIPySE_SF_SF_EESJ_SZ_SK_SL_SM_EUlSZ_E_NS1_11comp_targetILNS1_3genE0ELNS1_11target_archE4294967295ELNS1_3gpuE0ELNS1_3repE0EEENS1_48merge_mergepath_partition_config_static_selectorELNS0_4arch9wavefront6targetE1EEEvSL_
	.p2align	8
	.type	_ZN7rocprim17ROCPRIM_400000_NS6detail17trampoline_kernelINS0_14default_configENS1_38merge_sort_block_merge_config_selectorIyNS0_10empty_typeEEEZZNS1_27merge_sort_block_merge_implIS3_N6thrust23THRUST_200600_302600_NS6detail15normal_iteratorINS9_10device_ptrIyEEEEPS5_jNS1_19radix_merge_compareILb0ELb0EyNS0_19identity_decomposerEEEEE10hipError_tT0_T1_T2_jT3_P12ihipStream_tbPNSt15iterator_traitsISK_E10value_typeEPNSQ_ISL_E10value_typeEPSM_NS1_7vsmem_tEENKUlT_SK_SL_SM_E_clIPySE_SF_SF_EESJ_SZ_SK_SL_SM_EUlSZ_E_NS1_11comp_targetILNS1_3genE0ELNS1_11target_archE4294967295ELNS1_3gpuE0ELNS1_3repE0EEENS1_48merge_mergepath_partition_config_static_selectorELNS0_4arch9wavefront6targetE1EEEvSL_,@function
_ZN7rocprim17ROCPRIM_400000_NS6detail17trampoline_kernelINS0_14default_configENS1_38merge_sort_block_merge_config_selectorIyNS0_10empty_typeEEEZZNS1_27merge_sort_block_merge_implIS3_N6thrust23THRUST_200600_302600_NS6detail15normal_iteratorINS9_10device_ptrIyEEEEPS5_jNS1_19radix_merge_compareILb0ELb0EyNS0_19identity_decomposerEEEEE10hipError_tT0_T1_T2_jT3_P12ihipStream_tbPNSt15iterator_traitsISK_E10value_typeEPNSQ_ISL_E10value_typeEPSM_NS1_7vsmem_tEENKUlT_SK_SL_SM_E_clIPySE_SF_SF_EESJ_SZ_SK_SL_SM_EUlSZ_E_NS1_11comp_targetILNS1_3genE0ELNS1_11target_archE4294967295ELNS1_3gpuE0ELNS1_3repE0EEENS1_48merge_mergepath_partition_config_static_selectorELNS0_4arch9wavefront6targetE1EEEvSL_: ; @_ZN7rocprim17ROCPRIM_400000_NS6detail17trampoline_kernelINS0_14default_configENS1_38merge_sort_block_merge_config_selectorIyNS0_10empty_typeEEEZZNS1_27merge_sort_block_merge_implIS3_N6thrust23THRUST_200600_302600_NS6detail15normal_iteratorINS9_10device_ptrIyEEEEPS5_jNS1_19radix_merge_compareILb0ELb0EyNS0_19identity_decomposerEEEEE10hipError_tT0_T1_T2_jT3_P12ihipStream_tbPNSt15iterator_traitsISK_E10value_typeEPNSQ_ISL_E10value_typeEPSM_NS1_7vsmem_tEENKUlT_SK_SL_SM_E_clIPySE_SF_SF_EESJ_SZ_SK_SL_SM_EUlSZ_E_NS1_11comp_targetILNS1_3genE0ELNS1_11target_archE4294967295ELNS1_3gpuE0ELNS1_3repE0EEENS1_48merge_mergepath_partition_config_static_selectorELNS0_4arch9wavefront6targetE1EEEvSL_
; %bb.0:
	.section	.rodata,"a",@progbits
	.p2align	6, 0x0
	.amdhsa_kernel _ZN7rocprim17ROCPRIM_400000_NS6detail17trampoline_kernelINS0_14default_configENS1_38merge_sort_block_merge_config_selectorIyNS0_10empty_typeEEEZZNS1_27merge_sort_block_merge_implIS3_N6thrust23THRUST_200600_302600_NS6detail15normal_iteratorINS9_10device_ptrIyEEEEPS5_jNS1_19radix_merge_compareILb0ELb0EyNS0_19identity_decomposerEEEEE10hipError_tT0_T1_T2_jT3_P12ihipStream_tbPNSt15iterator_traitsISK_E10value_typeEPNSQ_ISL_E10value_typeEPSM_NS1_7vsmem_tEENKUlT_SK_SL_SM_E_clIPySE_SF_SF_EESJ_SZ_SK_SL_SM_EUlSZ_E_NS1_11comp_targetILNS1_3genE0ELNS1_11target_archE4294967295ELNS1_3gpuE0ELNS1_3repE0EEENS1_48merge_mergepath_partition_config_static_selectorELNS0_4arch9wavefront6targetE1EEEvSL_
		.amdhsa_group_segment_fixed_size 0
		.amdhsa_private_segment_fixed_size 0
		.amdhsa_kernarg_size 40
		.amdhsa_user_sgpr_count 2
		.amdhsa_user_sgpr_dispatch_ptr 0
		.amdhsa_user_sgpr_queue_ptr 0
		.amdhsa_user_sgpr_kernarg_segment_ptr 1
		.amdhsa_user_sgpr_dispatch_id 0
		.amdhsa_user_sgpr_kernarg_preload_length 0
		.amdhsa_user_sgpr_kernarg_preload_offset 0
		.amdhsa_user_sgpr_private_segment_size 0
		.amdhsa_uses_dynamic_stack 0
		.amdhsa_enable_private_segment 0
		.amdhsa_system_sgpr_workgroup_id_x 1
		.amdhsa_system_sgpr_workgroup_id_y 0
		.amdhsa_system_sgpr_workgroup_id_z 0
		.amdhsa_system_sgpr_workgroup_info 0
		.amdhsa_system_vgpr_workitem_id 0
		.amdhsa_next_free_vgpr 1
		.amdhsa_next_free_sgpr 0
		.amdhsa_accum_offset 4
		.amdhsa_reserve_vcc 0
		.amdhsa_float_round_mode_32 0
		.amdhsa_float_round_mode_16_64 0
		.amdhsa_float_denorm_mode_32 3
		.amdhsa_float_denorm_mode_16_64 3
		.amdhsa_dx10_clamp 1
		.amdhsa_ieee_mode 1
		.amdhsa_fp16_overflow 0
		.amdhsa_tg_split 0
		.amdhsa_exception_fp_ieee_invalid_op 0
		.amdhsa_exception_fp_denorm_src 0
		.amdhsa_exception_fp_ieee_div_zero 0
		.amdhsa_exception_fp_ieee_overflow 0
		.amdhsa_exception_fp_ieee_underflow 0
		.amdhsa_exception_fp_ieee_inexact 0
		.amdhsa_exception_int_div_zero 0
	.end_amdhsa_kernel
	.section	.text._ZN7rocprim17ROCPRIM_400000_NS6detail17trampoline_kernelINS0_14default_configENS1_38merge_sort_block_merge_config_selectorIyNS0_10empty_typeEEEZZNS1_27merge_sort_block_merge_implIS3_N6thrust23THRUST_200600_302600_NS6detail15normal_iteratorINS9_10device_ptrIyEEEEPS5_jNS1_19radix_merge_compareILb0ELb0EyNS0_19identity_decomposerEEEEE10hipError_tT0_T1_T2_jT3_P12ihipStream_tbPNSt15iterator_traitsISK_E10value_typeEPNSQ_ISL_E10value_typeEPSM_NS1_7vsmem_tEENKUlT_SK_SL_SM_E_clIPySE_SF_SF_EESJ_SZ_SK_SL_SM_EUlSZ_E_NS1_11comp_targetILNS1_3genE0ELNS1_11target_archE4294967295ELNS1_3gpuE0ELNS1_3repE0EEENS1_48merge_mergepath_partition_config_static_selectorELNS0_4arch9wavefront6targetE1EEEvSL_,"axG",@progbits,_ZN7rocprim17ROCPRIM_400000_NS6detail17trampoline_kernelINS0_14default_configENS1_38merge_sort_block_merge_config_selectorIyNS0_10empty_typeEEEZZNS1_27merge_sort_block_merge_implIS3_N6thrust23THRUST_200600_302600_NS6detail15normal_iteratorINS9_10device_ptrIyEEEEPS5_jNS1_19radix_merge_compareILb0ELb0EyNS0_19identity_decomposerEEEEE10hipError_tT0_T1_T2_jT3_P12ihipStream_tbPNSt15iterator_traitsISK_E10value_typeEPNSQ_ISL_E10value_typeEPSM_NS1_7vsmem_tEENKUlT_SK_SL_SM_E_clIPySE_SF_SF_EESJ_SZ_SK_SL_SM_EUlSZ_E_NS1_11comp_targetILNS1_3genE0ELNS1_11target_archE4294967295ELNS1_3gpuE0ELNS1_3repE0EEENS1_48merge_mergepath_partition_config_static_selectorELNS0_4arch9wavefront6targetE1EEEvSL_,comdat
.Lfunc_end724:
	.size	_ZN7rocprim17ROCPRIM_400000_NS6detail17trampoline_kernelINS0_14default_configENS1_38merge_sort_block_merge_config_selectorIyNS0_10empty_typeEEEZZNS1_27merge_sort_block_merge_implIS3_N6thrust23THRUST_200600_302600_NS6detail15normal_iteratorINS9_10device_ptrIyEEEEPS5_jNS1_19radix_merge_compareILb0ELb0EyNS0_19identity_decomposerEEEEE10hipError_tT0_T1_T2_jT3_P12ihipStream_tbPNSt15iterator_traitsISK_E10value_typeEPNSQ_ISL_E10value_typeEPSM_NS1_7vsmem_tEENKUlT_SK_SL_SM_E_clIPySE_SF_SF_EESJ_SZ_SK_SL_SM_EUlSZ_E_NS1_11comp_targetILNS1_3genE0ELNS1_11target_archE4294967295ELNS1_3gpuE0ELNS1_3repE0EEENS1_48merge_mergepath_partition_config_static_selectorELNS0_4arch9wavefront6targetE1EEEvSL_, .Lfunc_end724-_ZN7rocprim17ROCPRIM_400000_NS6detail17trampoline_kernelINS0_14default_configENS1_38merge_sort_block_merge_config_selectorIyNS0_10empty_typeEEEZZNS1_27merge_sort_block_merge_implIS3_N6thrust23THRUST_200600_302600_NS6detail15normal_iteratorINS9_10device_ptrIyEEEEPS5_jNS1_19radix_merge_compareILb0ELb0EyNS0_19identity_decomposerEEEEE10hipError_tT0_T1_T2_jT3_P12ihipStream_tbPNSt15iterator_traitsISK_E10value_typeEPNSQ_ISL_E10value_typeEPSM_NS1_7vsmem_tEENKUlT_SK_SL_SM_E_clIPySE_SF_SF_EESJ_SZ_SK_SL_SM_EUlSZ_E_NS1_11comp_targetILNS1_3genE0ELNS1_11target_archE4294967295ELNS1_3gpuE0ELNS1_3repE0EEENS1_48merge_mergepath_partition_config_static_selectorELNS0_4arch9wavefront6targetE1EEEvSL_
                                        ; -- End function
	.section	.AMDGPU.csdata,"",@progbits
; Kernel info:
; codeLenInByte = 0
; NumSgprs: 6
; NumVgprs: 0
; NumAgprs: 0
; TotalNumVgprs: 0
; ScratchSize: 0
; MemoryBound: 0
; FloatMode: 240
; IeeeMode: 1
; LDSByteSize: 0 bytes/workgroup (compile time only)
; SGPRBlocks: 0
; VGPRBlocks: 0
; NumSGPRsForWavesPerEU: 6
; NumVGPRsForWavesPerEU: 1
; AccumOffset: 4
; Occupancy: 8
; WaveLimiterHint : 0
; COMPUTE_PGM_RSRC2:SCRATCH_EN: 0
; COMPUTE_PGM_RSRC2:USER_SGPR: 2
; COMPUTE_PGM_RSRC2:TRAP_HANDLER: 0
; COMPUTE_PGM_RSRC2:TGID_X_EN: 1
; COMPUTE_PGM_RSRC2:TGID_Y_EN: 0
; COMPUTE_PGM_RSRC2:TGID_Z_EN: 0
; COMPUTE_PGM_RSRC2:TIDIG_COMP_CNT: 0
; COMPUTE_PGM_RSRC3_GFX90A:ACCUM_OFFSET: 0
; COMPUTE_PGM_RSRC3_GFX90A:TG_SPLIT: 0
	.section	.text._ZN7rocprim17ROCPRIM_400000_NS6detail17trampoline_kernelINS0_14default_configENS1_38merge_sort_block_merge_config_selectorIyNS0_10empty_typeEEEZZNS1_27merge_sort_block_merge_implIS3_N6thrust23THRUST_200600_302600_NS6detail15normal_iteratorINS9_10device_ptrIyEEEEPS5_jNS1_19radix_merge_compareILb0ELb0EyNS0_19identity_decomposerEEEEE10hipError_tT0_T1_T2_jT3_P12ihipStream_tbPNSt15iterator_traitsISK_E10value_typeEPNSQ_ISL_E10value_typeEPSM_NS1_7vsmem_tEENKUlT_SK_SL_SM_E_clIPySE_SF_SF_EESJ_SZ_SK_SL_SM_EUlSZ_E_NS1_11comp_targetILNS1_3genE10ELNS1_11target_archE1201ELNS1_3gpuE5ELNS1_3repE0EEENS1_48merge_mergepath_partition_config_static_selectorELNS0_4arch9wavefront6targetE1EEEvSL_,"axG",@progbits,_ZN7rocprim17ROCPRIM_400000_NS6detail17trampoline_kernelINS0_14default_configENS1_38merge_sort_block_merge_config_selectorIyNS0_10empty_typeEEEZZNS1_27merge_sort_block_merge_implIS3_N6thrust23THRUST_200600_302600_NS6detail15normal_iteratorINS9_10device_ptrIyEEEEPS5_jNS1_19radix_merge_compareILb0ELb0EyNS0_19identity_decomposerEEEEE10hipError_tT0_T1_T2_jT3_P12ihipStream_tbPNSt15iterator_traitsISK_E10value_typeEPNSQ_ISL_E10value_typeEPSM_NS1_7vsmem_tEENKUlT_SK_SL_SM_E_clIPySE_SF_SF_EESJ_SZ_SK_SL_SM_EUlSZ_E_NS1_11comp_targetILNS1_3genE10ELNS1_11target_archE1201ELNS1_3gpuE5ELNS1_3repE0EEENS1_48merge_mergepath_partition_config_static_selectorELNS0_4arch9wavefront6targetE1EEEvSL_,comdat
	.protected	_ZN7rocprim17ROCPRIM_400000_NS6detail17trampoline_kernelINS0_14default_configENS1_38merge_sort_block_merge_config_selectorIyNS0_10empty_typeEEEZZNS1_27merge_sort_block_merge_implIS3_N6thrust23THRUST_200600_302600_NS6detail15normal_iteratorINS9_10device_ptrIyEEEEPS5_jNS1_19radix_merge_compareILb0ELb0EyNS0_19identity_decomposerEEEEE10hipError_tT0_T1_T2_jT3_P12ihipStream_tbPNSt15iterator_traitsISK_E10value_typeEPNSQ_ISL_E10value_typeEPSM_NS1_7vsmem_tEENKUlT_SK_SL_SM_E_clIPySE_SF_SF_EESJ_SZ_SK_SL_SM_EUlSZ_E_NS1_11comp_targetILNS1_3genE10ELNS1_11target_archE1201ELNS1_3gpuE5ELNS1_3repE0EEENS1_48merge_mergepath_partition_config_static_selectorELNS0_4arch9wavefront6targetE1EEEvSL_ ; -- Begin function _ZN7rocprim17ROCPRIM_400000_NS6detail17trampoline_kernelINS0_14default_configENS1_38merge_sort_block_merge_config_selectorIyNS0_10empty_typeEEEZZNS1_27merge_sort_block_merge_implIS3_N6thrust23THRUST_200600_302600_NS6detail15normal_iteratorINS9_10device_ptrIyEEEEPS5_jNS1_19radix_merge_compareILb0ELb0EyNS0_19identity_decomposerEEEEE10hipError_tT0_T1_T2_jT3_P12ihipStream_tbPNSt15iterator_traitsISK_E10value_typeEPNSQ_ISL_E10value_typeEPSM_NS1_7vsmem_tEENKUlT_SK_SL_SM_E_clIPySE_SF_SF_EESJ_SZ_SK_SL_SM_EUlSZ_E_NS1_11comp_targetILNS1_3genE10ELNS1_11target_archE1201ELNS1_3gpuE5ELNS1_3repE0EEENS1_48merge_mergepath_partition_config_static_selectorELNS0_4arch9wavefront6targetE1EEEvSL_
	.globl	_ZN7rocprim17ROCPRIM_400000_NS6detail17trampoline_kernelINS0_14default_configENS1_38merge_sort_block_merge_config_selectorIyNS0_10empty_typeEEEZZNS1_27merge_sort_block_merge_implIS3_N6thrust23THRUST_200600_302600_NS6detail15normal_iteratorINS9_10device_ptrIyEEEEPS5_jNS1_19radix_merge_compareILb0ELb0EyNS0_19identity_decomposerEEEEE10hipError_tT0_T1_T2_jT3_P12ihipStream_tbPNSt15iterator_traitsISK_E10value_typeEPNSQ_ISL_E10value_typeEPSM_NS1_7vsmem_tEENKUlT_SK_SL_SM_E_clIPySE_SF_SF_EESJ_SZ_SK_SL_SM_EUlSZ_E_NS1_11comp_targetILNS1_3genE10ELNS1_11target_archE1201ELNS1_3gpuE5ELNS1_3repE0EEENS1_48merge_mergepath_partition_config_static_selectorELNS0_4arch9wavefront6targetE1EEEvSL_
	.p2align	8
	.type	_ZN7rocprim17ROCPRIM_400000_NS6detail17trampoline_kernelINS0_14default_configENS1_38merge_sort_block_merge_config_selectorIyNS0_10empty_typeEEEZZNS1_27merge_sort_block_merge_implIS3_N6thrust23THRUST_200600_302600_NS6detail15normal_iteratorINS9_10device_ptrIyEEEEPS5_jNS1_19radix_merge_compareILb0ELb0EyNS0_19identity_decomposerEEEEE10hipError_tT0_T1_T2_jT3_P12ihipStream_tbPNSt15iterator_traitsISK_E10value_typeEPNSQ_ISL_E10value_typeEPSM_NS1_7vsmem_tEENKUlT_SK_SL_SM_E_clIPySE_SF_SF_EESJ_SZ_SK_SL_SM_EUlSZ_E_NS1_11comp_targetILNS1_3genE10ELNS1_11target_archE1201ELNS1_3gpuE5ELNS1_3repE0EEENS1_48merge_mergepath_partition_config_static_selectorELNS0_4arch9wavefront6targetE1EEEvSL_,@function
_ZN7rocprim17ROCPRIM_400000_NS6detail17trampoline_kernelINS0_14default_configENS1_38merge_sort_block_merge_config_selectorIyNS0_10empty_typeEEEZZNS1_27merge_sort_block_merge_implIS3_N6thrust23THRUST_200600_302600_NS6detail15normal_iteratorINS9_10device_ptrIyEEEEPS5_jNS1_19radix_merge_compareILb0ELb0EyNS0_19identity_decomposerEEEEE10hipError_tT0_T1_T2_jT3_P12ihipStream_tbPNSt15iterator_traitsISK_E10value_typeEPNSQ_ISL_E10value_typeEPSM_NS1_7vsmem_tEENKUlT_SK_SL_SM_E_clIPySE_SF_SF_EESJ_SZ_SK_SL_SM_EUlSZ_E_NS1_11comp_targetILNS1_3genE10ELNS1_11target_archE1201ELNS1_3gpuE5ELNS1_3repE0EEENS1_48merge_mergepath_partition_config_static_selectorELNS0_4arch9wavefront6targetE1EEEvSL_: ; @_ZN7rocprim17ROCPRIM_400000_NS6detail17trampoline_kernelINS0_14default_configENS1_38merge_sort_block_merge_config_selectorIyNS0_10empty_typeEEEZZNS1_27merge_sort_block_merge_implIS3_N6thrust23THRUST_200600_302600_NS6detail15normal_iteratorINS9_10device_ptrIyEEEEPS5_jNS1_19radix_merge_compareILb0ELb0EyNS0_19identity_decomposerEEEEE10hipError_tT0_T1_T2_jT3_P12ihipStream_tbPNSt15iterator_traitsISK_E10value_typeEPNSQ_ISL_E10value_typeEPSM_NS1_7vsmem_tEENKUlT_SK_SL_SM_E_clIPySE_SF_SF_EESJ_SZ_SK_SL_SM_EUlSZ_E_NS1_11comp_targetILNS1_3genE10ELNS1_11target_archE1201ELNS1_3gpuE5ELNS1_3repE0EEENS1_48merge_mergepath_partition_config_static_selectorELNS0_4arch9wavefront6targetE1EEEvSL_
; %bb.0:
	.section	.rodata,"a",@progbits
	.p2align	6, 0x0
	.amdhsa_kernel _ZN7rocprim17ROCPRIM_400000_NS6detail17trampoline_kernelINS0_14default_configENS1_38merge_sort_block_merge_config_selectorIyNS0_10empty_typeEEEZZNS1_27merge_sort_block_merge_implIS3_N6thrust23THRUST_200600_302600_NS6detail15normal_iteratorINS9_10device_ptrIyEEEEPS5_jNS1_19radix_merge_compareILb0ELb0EyNS0_19identity_decomposerEEEEE10hipError_tT0_T1_T2_jT3_P12ihipStream_tbPNSt15iterator_traitsISK_E10value_typeEPNSQ_ISL_E10value_typeEPSM_NS1_7vsmem_tEENKUlT_SK_SL_SM_E_clIPySE_SF_SF_EESJ_SZ_SK_SL_SM_EUlSZ_E_NS1_11comp_targetILNS1_3genE10ELNS1_11target_archE1201ELNS1_3gpuE5ELNS1_3repE0EEENS1_48merge_mergepath_partition_config_static_selectorELNS0_4arch9wavefront6targetE1EEEvSL_
		.amdhsa_group_segment_fixed_size 0
		.amdhsa_private_segment_fixed_size 0
		.amdhsa_kernarg_size 40
		.amdhsa_user_sgpr_count 2
		.amdhsa_user_sgpr_dispatch_ptr 0
		.amdhsa_user_sgpr_queue_ptr 0
		.amdhsa_user_sgpr_kernarg_segment_ptr 1
		.amdhsa_user_sgpr_dispatch_id 0
		.amdhsa_user_sgpr_kernarg_preload_length 0
		.amdhsa_user_sgpr_kernarg_preload_offset 0
		.amdhsa_user_sgpr_private_segment_size 0
		.amdhsa_uses_dynamic_stack 0
		.amdhsa_enable_private_segment 0
		.amdhsa_system_sgpr_workgroup_id_x 1
		.amdhsa_system_sgpr_workgroup_id_y 0
		.amdhsa_system_sgpr_workgroup_id_z 0
		.amdhsa_system_sgpr_workgroup_info 0
		.amdhsa_system_vgpr_workitem_id 0
		.amdhsa_next_free_vgpr 1
		.amdhsa_next_free_sgpr 0
		.amdhsa_accum_offset 4
		.amdhsa_reserve_vcc 0
		.amdhsa_float_round_mode_32 0
		.amdhsa_float_round_mode_16_64 0
		.amdhsa_float_denorm_mode_32 3
		.amdhsa_float_denorm_mode_16_64 3
		.amdhsa_dx10_clamp 1
		.amdhsa_ieee_mode 1
		.amdhsa_fp16_overflow 0
		.amdhsa_tg_split 0
		.amdhsa_exception_fp_ieee_invalid_op 0
		.amdhsa_exception_fp_denorm_src 0
		.amdhsa_exception_fp_ieee_div_zero 0
		.amdhsa_exception_fp_ieee_overflow 0
		.amdhsa_exception_fp_ieee_underflow 0
		.amdhsa_exception_fp_ieee_inexact 0
		.amdhsa_exception_int_div_zero 0
	.end_amdhsa_kernel
	.section	.text._ZN7rocprim17ROCPRIM_400000_NS6detail17trampoline_kernelINS0_14default_configENS1_38merge_sort_block_merge_config_selectorIyNS0_10empty_typeEEEZZNS1_27merge_sort_block_merge_implIS3_N6thrust23THRUST_200600_302600_NS6detail15normal_iteratorINS9_10device_ptrIyEEEEPS5_jNS1_19radix_merge_compareILb0ELb0EyNS0_19identity_decomposerEEEEE10hipError_tT0_T1_T2_jT3_P12ihipStream_tbPNSt15iterator_traitsISK_E10value_typeEPNSQ_ISL_E10value_typeEPSM_NS1_7vsmem_tEENKUlT_SK_SL_SM_E_clIPySE_SF_SF_EESJ_SZ_SK_SL_SM_EUlSZ_E_NS1_11comp_targetILNS1_3genE10ELNS1_11target_archE1201ELNS1_3gpuE5ELNS1_3repE0EEENS1_48merge_mergepath_partition_config_static_selectorELNS0_4arch9wavefront6targetE1EEEvSL_,"axG",@progbits,_ZN7rocprim17ROCPRIM_400000_NS6detail17trampoline_kernelINS0_14default_configENS1_38merge_sort_block_merge_config_selectorIyNS0_10empty_typeEEEZZNS1_27merge_sort_block_merge_implIS3_N6thrust23THRUST_200600_302600_NS6detail15normal_iteratorINS9_10device_ptrIyEEEEPS5_jNS1_19radix_merge_compareILb0ELb0EyNS0_19identity_decomposerEEEEE10hipError_tT0_T1_T2_jT3_P12ihipStream_tbPNSt15iterator_traitsISK_E10value_typeEPNSQ_ISL_E10value_typeEPSM_NS1_7vsmem_tEENKUlT_SK_SL_SM_E_clIPySE_SF_SF_EESJ_SZ_SK_SL_SM_EUlSZ_E_NS1_11comp_targetILNS1_3genE10ELNS1_11target_archE1201ELNS1_3gpuE5ELNS1_3repE0EEENS1_48merge_mergepath_partition_config_static_selectorELNS0_4arch9wavefront6targetE1EEEvSL_,comdat
.Lfunc_end725:
	.size	_ZN7rocprim17ROCPRIM_400000_NS6detail17trampoline_kernelINS0_14default_configENS1_38merge_sort_block_merge_config_selectorIyNS0_10empty_typeEEEZZNS1_27merge_sort_block_merge_implIS3_N6thrust23THRUST_200600_302600_NS6detail15normal_iteratorINS9_10device_ptrIyEEEEPS5_jNS1_19radix_merge_compareILb0ELb0EyNS0_19identity_decomposerEEEEE10hipError_tT0_T1_T2_jT3_P12ihipStream_tbPNSt15iterator_traitsISK_E10value_typeEPNSQ_ISL_E10value_typeEPSM_NS1_7vsmem_tEENKUlT_SK_SL_SM_E_clIPySE_SF_SF_EESJ_SZ_SK_SL_SM_EUlSZ_E_NS1_11comp_targetILNS1_3genE10ELNS1_11target_archE1201ELNS1_3gpuE5ELNS1_3repE0EEENS1_48merge_mergepath_partition_config_static_selectorELNS0_4arch9wavefront6targetE1EEEvSL_, .Lfunc_end725-_ZN7rocprim17ROCPRIM_400000_NS6detail17trampoline_kernelINS0_14default_configENS1_38merge_sort_block_merge_config_selectorIyNS0_10empty_typeEEEZZNS1_27merge_sort_block_merge_implIS3_N6thrust23THRUST_200600_302600_NS6detail15normal_iteratorINS9_10device_ptrIyEEEEPS5_jNS1_19radix_merge_compareILb0ELb0EyNS0_19identity_decomposerEEEEE10hipError_tT0_T1_T2_jT3_P12ihipStream_tbPNSt15iterator_traitsISK_E10value_typeEPNSQ_ISL_E10value_typeEPSM_NS1_7vsmem_tEENKUlT_SK_SL_SM_E_clIPySE_SF_SF_EESJ_SZ_SK_SL_SM_EUlSZ_E_NS1_11comp_targetILNS1_3genE10ELNS1_11target_archE1201ELNS1_3gpuE5ELNS1_3repE0EEENS1_48merge_mergepath_partition_config_static_selectorELNS0_4arch9wavefront6targetE1EEEvSL_
                                        ; -- End function
	.section	.AMDGPU.csdata,"",@progbits
; Kernel info:
; codeLenInByte = 0
; NumSgprs: 6
; NumVgprs: 0
; NumAgprs: 0
; TotalNumVgprs: 0
; ScratchSize: 0
; MemoryBound: 0
; FloatMode: 240
; IeeeMode: 1
; LDSByteSize: 0 bytes/workgroup (compile time only)
; SGPRBlocks: 0
; VGPRBlocks: 0
; NumSGPRsForWavesPerEU: 6
; NumVGPRsForWavesPerEU: 1
; AccumOffset: 4
; Occupancy: 8
; WaveLimiterHint : 0
; COMPUTE_PGM_RSRC2:SCRATCH_EN: 0
; COMPUTE_PGM_RSRC2:USER_SGPR: 2
; COMPUTE_PGM_RSRC2:TRAP_HANDLER: 0
; COMPUTE_PGM_RSRC2:TGID_X_EN: 1
; COMPUTE_PGM_RSRC2:TGID_Y_EN: 0
; COMPUTE_PGM_RSRC2:TGID_Z_EN: 0
; COMPUTE_PGM_RSRC2:TIDIG_COMP_CNT: 0
; COMPUTE_PGM_RSRC3_GFX90A:ACCUM_OFFSET: 0
; COMPUTE_PGM_RSRC3_GFX90A:TG_SPLIT: 0
	.section	.text._ZN7rocprim17ROCPRIM_400000_NS6detail17trampoline_kernelINS0_14default_configENS1_38merge_sort_block_merge_config_selectorIyNS0_10empty_typeEEEZZNS1_27merge_sort_block_merge_implIS3_N6thrust23THRUST_200600_302600_NS6detail15normal_iteratorINS9_10device_ptrIyEEEEPS5_jNS1_19radix_merge_compareILb0ELb0EyNS0_19identity_decomposerEEEEE10hipError_tT0_T1_T2_jT3_P12ihipStream_tbPNSt15iterator_traitsISK_E10value_typeEPNSQ_ISL_E10value_typeEPSM_NS1_7vsmem_tEENKUlT_SK_SL_SM_E_clIPySE_SF_SF_EESJ_SZ_SK_SL_SM_EUlSZ_E_NS1_11comp_targetILNS1_3genE5ELNS1_11target_archE942ELNS1_3gpuE9ELNS1_3repE0EEENS1_48merge_mergepath_partition_config_static_selectorELNS0_4arch9wavefront6targetE1EEEvSL_,"axG",@progbits,_ZN7rocprim17ROCPRIM_400000_NS6detail17trampoline_kernelINS0_14default_configENS1_38merge_sort_block_merge_config_selectorIyNS0_10empty_typeEEEZZNS1_27merge_sort_block_merge_implIS3_N6thrust23THRUST_200600_302600_NS6detail15normal_iteratorINS9_10device_ptrIyEEEEPS5_jNS1_19radix_merge_compareILb0ELb0EyNS0_19identity_decomposerEEEEE10hipError_tT0_T1_T2_jT3_P12ihipStream_tbPNSt15iterator_traitsISK_E10value_typeEPNSQ_ISL_E10value_typeEPSM_NS1_7vsmem_tEENKUlT_SK_SL_SM_E_clIPySE_SF_SF_EESJ_SZ_SK_SL_SM_EUlSZ_E_NS1_11comp_targetILNS1_3genE5ELNS1_11target_archE942ELNS1_3gpuE9ELNS1_3repE0EEENS1_48merge_mergepath_partition_config_static_selectorELNS0_4arch9wavefront6targetE1EEEvSL_,comdat
	.protected	_ZN7rocprim17ROCPRIM_400000_NS6detail17trampoline_kernelINS0_14default_configENS1_38merge_sort_block_merge_config_selectorIyNS0_10empty_typeEEEZZNS1_27merge_sort_block_merge_implIS3_N6thrust23THRUST_200600_302600_NS6detail15normal_iteratorINS9_10device_ptrIyEEEEPS5_jNS1_19radix_merge_compareILb0ELb0EyNS0_19identity_decomposerEEEEE10hipError_tT0_T1_T2_jT3_P12ihipStream_tbPNSt15iterator_traitsISK_E10value_typeEPNSQ_ISL_E10value_typeEPSM_NS1_7vsmem_tEENKUlT_SK_SL_SM_E_clIPySE_SF_SF_EESJ_SZ_SK_SL_SM_EUlSZ_E_NS1_11comp_targetILNS1_3genE5ELNS1_11target_archE942ELNS1_3gpuE9ELNS1_3repE0EEENS1_48merge_mergepath_partition_config_static_selectorELNS0_4arch9wavefront6targetE1EEEvSL_ ; -- Begin function _ZN7rocprim17ROCPRIM_400000_NS6detail17trampoline_kernelINS0_14default_configENS1_38merge_sort_block_merge_config_selectorIyNS0_10empty_typeEEEZZNS1_27merge_sort_block_merge_implIS3_N6thrust23THRUST_200600_302600_NS6detail15normal_iteratorINS9_10device_ptrIyEEEEPS5_jNS1_19radix_merge_compareILb0ELb0EyNS0_19identity_decomposerEEEEE10hipError_tT0_T1_T2_jT3_P12ihipStream_tbPNSt15iterator_traitsISK_E10value_typeEPNSQ_ISL_E10value_typeEPSM_NS1_7vsmem_tEENKUlT_SK_SL_SM_E_clIPySE_SF_SF_EESJ_SZ_SK_SL_SM_EUlSZ_E_NS1_11comp_targetILNS1_3genE5ELNS1_11target_archE942ELNS1_3gpuE9ELNS1_3repE0EEENS1_48merge_mergepath_partition_config_static_selectorELNS0_4arch9wavefront6targetE1EEEvSL_
	.globl	_ZN7rocprim17ROCPRIM_400000_NS6detail17trampoline_kernelINS0_14default_configENS1_38merge_sort_block_merge_config_selectorIyNS0_10empty_typeEEEZZNS1_27merge_sort_block_merge_implIS3_N6thrust23THRUST_200600_302600_NS6detail15normal_iteratorINS9_10device_ptrIyEEEEPS5_jNS1_19radix_merge_compareILb0ELb0EyNS0_19identity_decomposerEEEEE10hipError_tT0_T1_T2_jT3_P12ihipStream_tbPNSt15iterator_traitsISK_E10value_typeEPNSQ_ISL_E10value_typeEPSM_NS1_7vsmem_tEENKUlT_SK_SL_SM_E_clIPySE_SF_SF_EESJ_SZ_SK_SL_SM_EUlSZ_E_NS1_11comp_targetILNS1_3genE5ELNS1_11target_archE942ELNS1_3gpuE9ELNS1_3repE0EEENS1_48merge_mergepath_partition_config_static_selectorELNS0_4arch9wavefront6targetE1EEEvSL_
	.p2align	8
	.type	_ZN7rocprim17ROCPRIM_400000_NS6detail17trampoline_kernelINS0_14default_configENS1_38merge_sort_block_merge_config_selectorIyNS0_10empty_typeEEEZZNS1_27merge_sort_block_merge_implIS3_N6thrust23THRUST_200600_302600_NS6detail15normal_iteratorINS9_10device_ptrIyEEEEPS5_jNS1_19radix_merge_compareILb0ELb0EyNS0_19identity_decomposerEEEEE10hipError_tT0_T1_T2_jT3_P12ihipStream_tbPNSt15iterator_traitsISK_E10value_typeEPNSQ_ISL_E10value_typeEPSM_NS1_7vsmem_tEENKUlT_SK_SL_SM_E_clIPySE_SF_SF_EESJ_SZ_SK_SL_SM_EUlSZ_E_NS1_11comp_targetILNS1_3genE5ELNS1_11target_archE942ELNS1_3gpuE9ELNS1_3repE0EEENS1_48merge_mergepath_partition_config_static_selectorELNS0_4arch9wavefront6targetE1EEEvSL_,@function
_ZN7rocprim17ROCPRIM_400000_NS6detail17trampoline_kernelINS0_14default_configENS1_38merge_sort_block_merge_config_selectorIyNS0_10empty_typeEEEZZNS1_27merge_sort_block_merge_implIS3_N6thrust23THRUST_200600_302600_NS6detail15normal_iteratorINS9_10device_ptrIyEEEEPS5_jNS1_19radix_merge_compareILb0ELb0EyNS0_19identity_decomposerEEEEE10hipError_tT0_T1_T2_jT3_P12ihipStream_tbPNSt15iterator_traitsISK_E10value_typeEPNSQ_ISL_E10value_typeEPSM_NS1_7vsmem_tEENKUlT_SK_SL_SM_E_clIPySE_SF_SF_EESJ_SZ_SK_SL_SM_EUlSZ_E_NS1_11comp_targetILNS1_3genE5ELNS1_11target_archE942ELNS1_3gpuE9ELNS1_3repE0EEENS1_48merge_mergepath_partition_config_static_selectorELNS0_4arch9wavefront6targetE1EEEvSL_: ; @_ZN7rocprim17ROCPRIM_400000_NS6detail17trampoline_kernelINS0_14default_configENS1_38merge_sort_block_merge_config_selectorIyNS0_10empty_typeEEEZZNS1_27merge_sort_block_merge_implIS3_N6thrust23THRUST_200600_302600_NS6detail15normal_iteratorINS9_10device_ptrIyEEEEPS5_jNS1_19radix_merge_compareILb0ELb0EyNS0_19identity_decomposerEEEEE10hipError_tT0_T1_T2_jT3_P12ihipStream_tbPNSt15iterator_traitsISK_E10value_typeEPNSQ_ISL_E10value_typeEPSM_NS1_7vsmem_tEENKUlT_SK_SL_SM_E_clIPySE_SF_SF_EESJ_SZ_SK_SL_SM_EUlSZ_E_NS1_11comp_targetILNS1_3genE5ELNS1_11target_archE942ELNS1_3gpuE9ELNS1_3repE0EEENS1_48merge_mergepath_partition_config_static_selectorELNS0_4arch9wavefront6targetE1EEEvSL_
; %bb.0:
	s_load_dword s3, s[0:1], 0x0
	v_lshl_or_b32 v0, s2, 7, v0
	s_waitcnt lgkmcnt(0)
	v_cmp_gt_u32_e32 vcc, s3, v0
	s_and_saveexec_b64 s[2:3], vcc
	s_cbranch_execz .LBB726_6
; %bb.1:
	s_load_dwordx2 s[4:5], s[0:1], 0x4
	s_load_dwordx2 s[2:3], s[0:1], 0x20
	s_waitcnt lgkmcnt(0)
	s_lshr_b32 s6, s4, 9
	s_and_b32 s6, s6, 0x7ffffe
	s_add_i32 s7, s6, -1
	s_sub_i32 s6, 0, s6
	v_and_b32_e32 v1, s6, v0
	v_lshlrev_b32_e32 v1, 10, v1
	v_min_u32_e32 v2, s5, v1
	v_add_u32_e32 v1, s4, v1
	v_min_u32_e32 v4, s5, v1
	v_add_u32_e32 v1, s4, v4
	v_and_b32_e32 v3, s7, v0
	v_min_u32_e32 v1, s5, v1
	v_sub_u32_e32 v5, v1, v2
	v_lshlrev_b32_e32 v3, 10, v3
	v_min_u32_e32 v10, v5, v3
	v_sub_u32_e32 v3, v4, v2
	v_sub_u32_e32 v1, v1, v4
	v_sub_u32_e64 v1, v10, v1 clamp
	v_min_u32_e32 v11, v10, v3
	v_cmp_lt_u32_e32 vcc, v1, v11
	s_and_saveexec_b64 s[4:5], vcc
	s_cbranch_execz .LBB726_5
; %bb.2:
	s_load_dwordx2 s[0:1], s[0:1], 0x10
	v_mov_b32_e32 v5, 0
	v_mov_b32_e32 v3, v5
	s_waitcnt lgkmcnt(0)
	v_lshl_add_u64 v[6:7], v[2:3], 3, s[0:1]
	v_lshl_add_u64 v[8:9], v[4:5], 3, s[0:1]
	s_mov_b64 s[0:1], 0
.LBB726_3:                              ; =>This Inner Loop Header: Depth=1
	v_add_u32_e32 v3, v11, v1
	v_lshrrev_b32_e32 v4, 1, v3
	v_mov_b32_e32 v13, v5
	v_xad_u32 v12, v4, -1, v10
	v_lshl_add_u64 v[14:15], v[4:5], 3, v[6:7]
	v_lshl_add_u64 v[12:13], v[12:13], 3, v[8:9]
	global_load_dwordx2 v[16:17], v[14:15], off
	global_load_dwordx2 v[18:19], v[12:13], off
	v_add_u32_e32 v3, 1, v4
	s_waitcnt vmcnt(0)
	v_cmp_gt_u64_e32 vcc, v[16:17], v[18:19]
	s_nop 1
	v_cndmask_b32_e32 v11, v11, v4, vcc
	v_cndmask_b32_e32 v1, v3, v1, vcc
	v_cmp_ge_u32_e32 vcc, v1, v11
	s_or_b64 s[0:1], vcc, s[0:1]
	s_andn2_b64 exec, exec, s[0:1]
	s_cbranch_execnz .LBB726_3
; %bb.4:
	s_or_b64 exec, exec, s[0:1]
.LBB726_5:
	s_or_b64 exec, exec, s[4:5]
	v_add_u32_e32 v2, v1, v2
	v_mov_b32_e32 v1, 0
	v_lshl_add_u64 v[0:1], v[0:1], 2, s[2:3]
	global_store_dword v[0:1], v2, off
.LBB726_6:
	s_endpgm
	.section	.rodata,"a",@progbits
	.p2align	6, 0x0
	.amdhsa_kernel _ZN7rocprim17ROCPRIM_400000_NS6detail17trampoline_kernelINS0_14default_configENS1_38merge_sort_block_merge_config_selectorIyNS0_10empty_typeEEEZZNS1_27merge_sort_block_merge_implIS3_N6thrust23THRUST_200600_302600_NS6detail15normal_iteratorINS9_10device_ptrIyEEEEPS5_jNS1_19radix_merge_compareILb0ELb0EyNS0_19identity_decomposerEEEEE10hipError_tT0_T1_T2_jT3_P12ihipStream_tbPNSt15iterator_traitsISK_E10value_typeEPNSQ_ISL_E10value_typeEPSM_NS1_7vsmem_tEENKUlT_SK_SL_SM_E_clIPySE_SF_SF_EESJ_SZ_SK_SL_SM_EUlSZ_E_NS1_11comp_targetILNS1_3genE5ELNS1_11target_archE942ELNS1_3gpuE9ELNS1_3repE0EEENS1_48merge_mergepath_partition_config_static_selectorELNS0_4arch9wavefront6targetE1EEEvSL_
		.amdhsa_group_segment_fixed_size 0
		.amdhsa_private_segment_fixed_size 0
		.amdhsa_kernarg_size 40
		.amdhsa_user_sgpr_count 2
		.amdhsa_user_sgpr_dispatch_ptr 0
		.amdhsa_user_sgpr_queue_ptr 0
		.amdhsa_user_sgpr_kernarg_segment_ptr 1
		.amdhsa_user_sgpr_dispatch_id 0
		.amdhsa_user_sgpr_kernarg_preload_length 0
		.amdhsa_user_sgpr_kernarg_preload_offset 0
		.amdhsa_user_sgpr_private_segment_size 0
		.amdhsa_uses_dynamic_stack 0
		.amdhsa_enable_private_segment 0
		.amdhsa_system_sgpr_workgroup_id_x 1
		.amdhsa_system_sgpr_workgroup_id_y 0
		.amdhsa_system_sgpr_workgroup_id_z 0
		.amdhsa_system_sgpr_workgroup_info 0
		.amdhsa_system_vgpr_workitem_id 0
		.amdhsa_next_free_vgpr 20
		.amdhsa_next_free_sgpr 8
		.amdhsa_accum_offset 20
		.amdhsa_reserve_vcc 1
		.amdhsa_float_round_mode_32 0
		.amdhsa_float_round_mode_16_64 0
		.amdhsa_float_denorm_mode_32 3
		.amdhsa_float_denorm_mode_16_64 3
		.amdhsa_dx10_clamp 1
		.amdhsa_ieee_mode 1
		.amdhsa_fp16_overflow 0
		.amdhsa_tg_split 0
		.amdhsa_exception_fp_ieee_invalid_op 0
		.amdhsa_exception_fp_denorm_src 0
		.amdhsa_exception_fp_ieee_div_zero 0
		.amdhsa_exception_fp_ieee_overflow 0
		.amdhsa_exception_fp_ieee_underflow 0
		.amdhsa_exception_fp_ieee_inexact 0
		.amdhsa_exception_int_div_zero 0
	.end_amdhsa_kernel
	.section	.text._ZN7rocprim17ROCPRIM_400000_NS6detail17trampoline_kernelINS0_14default_configENS1_38merge_sort_block_merge_config_selectorIyNS0_10empty_typeEEEZZNS1_27merge_sort_block_merge_implIS3_N6thrust23THRUST_200600_302600_NS6detail15normal_iteratorINS9_10device_ptrIyEEEEPS5_jNS1_19radix_merge_compareILb0ELb0EyNS0_19identity_decomposerEEEEE10hipError_tT0_T1_T2_jT3_P12ihipStream_tbPNSt15iterator_traitsISK_E10value_typeEPNSQ_ISL_E10value_typeEPSM_NS1_7vsmem_tEENKUlT_SK_SL_SM_E_clIPySE_SF_SF_EESJ_SZ_SK_SL_SM_EUlSZ_E_NS1_11comp_targetILNS1_3genE5ELNS1_11target_archE942ELNS1_3gpuE9ELNS1_3repE0EEENS1_48merge_mergepath_partition_config_static_selectorELNS0_4arch9wavefront6targetE1EEEvSL_,"axG",@progbits,_ZN7rocprim17ROCPRIM_400000_NS6detail17trampoline_kernelINS0_14default_configENS1_38merge_sort_block_merge_config_selectorIyNS0_10empty_typeEEEZZNS1_27merge_sort_block_merge_implIS3_N6thrust23THRUST_200600_302600_NS6detail15normal_iteratorINS9_10device_ptrIyEEEEPS5_jNS1_19radix_merge_compareILb0ELb0EyNS0_19identity_decomposerEEEEE10hipError_tT0_T1_T2_jT3_P12ihipStream_tbPNSt15iterator_traitsISK_E10value_typeEPNSQ_ISL_E10value_typeEPSM_NS1_7vsmem_tEENKUlT_SK_SL_SM_E_clIPySE_SF_SF_EESJ_SZ_SK_SL_SM_EUlSZ_E_NS1_11comp_targetILNS1_3genE5ELNS1_11target_archE942ELNS1_3gpuE9ELNS1_3repE0EEENS1_48merge_mergepath_partition_config_static_selectorELNS0_4arch9wavefront6targetE1EEEvSL_,comdat
.Lfunc_end726:
	.size	_ZN7rocprim17ROCPRIM_400000_NS6detail17trampoline_kernelINS0_14default_configENS1_38merge_sort_block_merge_config_selectorIyNS0_10empty_typeEEEZZNS1_27merge_sort_block_merge_implIS3_N6thrust23THRUST_200600_302600_NS6detail15normal_iteratorINS9_10device_ptrIyEEEEPS5_jNS1_19radix_merge_compareILb0ELb0EyNS0_19identity_decomposerEEEEE10hipError_tT0_T1_T2_jT3_P12ihipStream_tbPNSt15iterator_traitsISK_E10value_typeEPNSQ_ISL_E10value_typeEPSM_NS1_7vsmem_tEENKUlT_SK_SL_SM_E_clIPySE_SF_SF_EESJ_SZ_SK_SL_SM_EUlSZ_E_NS1_11comp_targetILNS1_3genE5ELNS1_11target_archE942ELNS1_3gpuE9ELNS1_3repE0EEENS1_48merge_mergepath_partition_config_static_selectorELNS0_4arch9wavefront6targetE1EEEvSL_, .Lfunc_end726-_ZN7rocprim17ROCPRIM_400000_NS6detail17trampoline_kernelINS0_14default_configENS1_38merge_sort_block_merge_config_selectorIyNS0_10empty_typeEEEZZNS1_27merge_sort_block_merge_implIS3_N6thrust23THRUST_200600_302600_NS6detail15normal_iteratorINS9_10device_ptrIyEEEEPS5_jNS1_19radix_merge_compareILb0ELb0EyNS0_19identity_decomposerEEEEE10hipError_tT0_T1_T2_jT3_P12ihipStream_tbPNSt15iterator_traitsISK_E10value_typeEPNSQ_ISL_E10value_typeEPSM_NS1_7vsmem_tEENKUlT_SK_SL_SM_E_clIPySE_SF_SF_EESJ_SZ_SK_SL_SM_EUlSZ_E_NS1_11comp_targetILNS1_3genE5ELNS1_11target_archE942ELNS1_3gpuE9ELNS1_3repE0EEENS1_48merge_mergepath_partition_config_static_selectorELNS0_4arch9wavefront6targetE1EEEvSL_
                                        ; -- End function
	.section	.AMDGPU.csdata,"",@progbits
; Kernel info:
; codeLenInByte = 316
; NumSgprs: 14
; NumVgprs: 20
; NumAgprs: 0
; TotalNumVgprs: 20
; ScratchSize: 0
; MemoryBound: 0
; FloatMode: 240
; IeeeMode: 1
; LDSByteSize: 0 bytes/workgroup (compile time only)
; SGPRBlocks: 1
; VGPRBlocks: 2
; NumSGPRsForWavesPerEU: 14
; NumVGPRsForWavesPerEU: 20
; AccumOffset: 20
; Occupancy: 8
; WaveLimiterHint : 0
; COMPUTE_PGM_RSRC2:SCRATCH_EN: 0
; COMPUTE_PGM_RSRC2:USER_SGPR: 2
; COMPUTE_PGM_RSRC2:TRAP_HANDLER: 0
; COMPUTE_PGM_RSRC2:TGID_X_EN: 1
; COMPUTE_PGM_RSRC2:TGID_Y_EN: 0
; COMPUTE_PGM_RSRC2:TGID_Z_EN: 0
; COMPUTE_PGM_RSRC2:TIDIG_COMP_CNT: 0
; COMPUTE_PGM_RSRC3_GFX90A:ACCUM_OFFSET: 4
; COMPUTE_PGM_RSRC3_GFX90A:TG_SPLIT: 0
	.section	.text._ZN7rocprim17ROCPRIM_400000_NS6detail17trampoline_kernelINS0_14default_configENS1_38merge_sort_block_merge_config_selectorIyNS0_10empty_typeEEEZZNS1_27merge_sort_block_merge_implIS3_N6thrust23THRUST_200600_302600_NS6detail15normal_iteratorINS9_10device_ptrIyEEEEPS5_jNS1_19radix_merge_compareILb0ELb0EyNS0_19identity_decomposerEEEEE10hipError_tT0_T1_T2_jT3_P12ihipStream_tbPNSt15iterator_traitsISK_E10value_typeEPNSQ_ISL_E10value_typeEPSM_NS1_7vsmem_tEENKUlT_SK_SL_SM_E_clIPySE_SF_SF_EESJ_SZ_SK_SL_SM_EUlSZ_E_NS1_11comp_targetILNS1_3genE4ELNS1_11target_archE910ELNS1_3gpuE8ELNS1_3repE0EEENS1_48merge_mergepath_partition_config_static_selectorELNS0_4arch9wavefront6targetE1EEEvSL_,"axG",@progbits,_ZN7rocprim17ROCPRIM_400000_NS6detail17trampoline_kernelINS0_14default_configENS1_38merge_sort_block_merge_config_selectorIyNS0_10empty_typeEEEZZNS1_27merge_sort_block_merge_implIS3_N6thrust23THRUST_200600_302600_NS6detail15normal_iteratorINS9_10device_ptrIyEEEEPS5_jNS1_19radix_merge_compareILb0ELb0EyNS0_19identity_decomposerEEEEE10hipError_tT0_T1_T2_jT3_P12ihipStream_tbPNSt15iterator_traitsISK_E10value_typeEPNSQ_ISL_E10value_typeEPSM_NS1_7vsmem_tEENKUlT_SK_SL_SM_E_clIPySE_SF_SF_EESJ_SZ_SK_SL_SM_EUlSZ_E_NS1_11comp_targetILNS1_3genE4ELNS1_11target_archE910ELNS1_3gpuE8ELNS1_3repE0EEENS1_48merge_mergepath_partition_config_static_selectorELNS0_4arch9wavefront6targetE1EEEvSL_,comdat
	.protected	_ZN7rocprim17ROCPRIM_400000_NS6detail17trampoline_kernelINS0_14default_configENS1_38merge_sort_block_merge_config_selectorIyNS0_10empty_typeEEEZZNS1_27merge_sort_block_merge_implIS3_N6thrust23THRUST_200600_302600_NS6detail15normal_iteratorINS9_10device_ptrIyEEEEPS5_jNS1_19radix_merge_compareILb0ELb0EyNS0_19identity_decomposerEEEEE10hipError_tT0_T1_T2_jT3_P12ihipStream_tbPNSt15iterator_traitsISK_E10value_typeEPNSQ_ISL_E10value_typeEPSM_NS1_7vsmem_tEENKUlT_SK_SL_SM_E_clIPySE_SF_SF_EESJ_SZ_SK_SL_SM_EUlSZ_E_NS1_11comp_targetILNS1_3genE4ELNS1_11target_archE910ELNS1_3gpuE8ELNS1_3repE0EEENS1_48merge_mergepath_partition_config_static_selectorELNS0_4arch9wavefront6targetE1EEEvSL_ ; -- Begin function _ZN7rocprim17ROCPRIM_400000_NS6detail17trampoline_kernelINS0_14default_configENS1_38merge_sort_block_merge_config_selectorIyNS0_10empty_typeEEEZZNS1_27merge_sort_block_merge_implIS3_N6thrust23THRUST_200600_302600_NS6detail15normal_iteratorINS9_10device_ptrIyEEEEPS5_jNS1_19radix_merge_compareILb0ELb0EyNS0_19identity_decomposerEEEEE10hipError_tT0_T1_T2_jT3_P12ihipStream_tbPNSt15iterator_traitsISK_E10value_typeEPNSQ_ISL_E10value_typeEPSM_NS1_7vsmem_tEENKUlT_SK_SL_SM_E_clIPySE_SF_SF_EESJ_SZ_SK_SL_SM_EUlSZ_E_NS1_11comp_targetILNS1_3genE4ELNS1_11target_archE910ELNS1_3gpuE8ELNS1_3repE0EEENS1_48merge_mergepath_partition_config_static_selectorELNS0_4arch9wavefront6targetE1EEEvSL_
	.globl	_ZN7rocprim17ROCPRIM_400000_NS6detail17trampoline_kernelINS0_14default_configENS1_38merge_sort_block_merge_config_selectorIyNS0_10empty_typeEEEZZNS1_27merge_sort_block_merge_implIS3_N6thrust23THRUST_200600_302600_NS6detail15normal_iteratorINS9_10device_ptrIyEEEEPS5_jNS1_19radix_merge_compareILb0ELb0EyNS0_19identity_decomposerEEEEE10hipError_tT0_T1_T2_jT3_P12ihipStream_tbPNSt15iterator_traitsISK_E10value_typeEPNSQ_ISL_E10value_typeEPSM_NS1_7vsmem_tEENKUlT_SK_SL_SM_E_clIPySE_SF_SF_EESJ_SZ_SK_SL_SM_EUlSZ_E_NS1_11comp_targetILNS1_3genE4ELNS1_11target_archE910ELNS1_3gpuE8ELNS1_3repE0EEENS1_48merge_mergepath_partition_config_static_selectorELNS0_4arch9wavefront6targetE1EEEvSL_
	.p2align	8
	.type	_ZN7rocprim17ROCPRIM_400000_NS6detail17trampoline_kernelINS0_14default_configENS1_38merge_sort_block_merge_config_selectorIyNS0_10empty_typeEEEZZNS1_27merge_sort_block_merge_implIS3_N6thrust23THRUST_200600_302600_NS6detail15normal_iteratorINS9_10device_ptrIyEEEEPS5_jNS1_19radix_merge_compareILb0ELb0EyNS0_19identity_decomposerEEEEE10hipError_tT0_T1_T2_jT3_P12ihipStream_tbPNSt15iterator_traitsISK_E10value_typeEPNSQ_ISL_E10value_typeEPSM_NS1_7vsmem_tEENKUlT_SK_SL_SM_E_clIPySE_SF_SF_EESJ_SZ_SK_SL_SM_EUlSZ_E_NS1_11comp_targetILNS1_3genE4ELNS1_11target_archE910ELNS1_3gpuE8ELNS1_3repE0EEENS1_48merge_mergepath_partition_config_static_selectorELNS0_4arch9wavefront6targetE1EEEvSL_,@function
_ZN7rocprim17ROCPRIM_400000_NS6detail17trampoline_kernelINS0_14default_configENS1_38merge_sort_block_merge_config_selectorIyNS0_10empty_typeEEEZZNS1_27merge_sort_block_merge_implIS3_N6thrust23THRUST_200600_302600_NS6detail15normal_iteratorINS9_10device_ptrIyEEEEPS5_jNS1_19radix_merge_compareILb0ELb0EyNS0_19identity_decomposerEEEEE10hipError_tT0_T1_T2_jT3_P12ihipStream_tbPNSt15iterator_traitsISK_E10value_typeEPNSQ_ISL_E10value_typeEPSM_NS1_7vsmem_tEENKUlT_SK_SL_SM_E_clIPySE_SF_SF_EESJ_SZ_SK_SL_SM_EUlSZ_E_NS1_11comp_targetILNS1_3genE4ELNS1_11target_archE910ELNS1_3gpuE8ELNS1_3repE0EEENS1_48merge_mergepath_partition_config_static_selectorELNS0_4arch9wavefront6targetE1EEEvSL_: ; @_ZN7rocprim17ROCPRIM_400000_NS6detail17trampoline_kernelINS0_14default_configENS1_38merge_sort_block_merge_config_selectorIyNS0_10empty_typeEEEZZNS1_27merge_sort_block_merge_implIS3_N6thrust23THRUST_200600_302600_NS6detail15normal_iteratorINS9_10device_ptrIyEEEEPS5_jNS1_19radix_merge_compareILb0ELb0EyNS0_19identity_decomposerEEEEE10hipError_tT0_T1_T2_jT3_P12ihipStream_tbPNSt15iterator_traitsISK_E10value_typeEPNSQ_ISL_E10value_typeEPSM_NS1_7vsmem_tEENKUlT_SK_SL_SM_E_clIPySE_SF_SF_EESJ_SZ_SK_SL_SM_EUlSZ_E_NS1_11comp_targetILNS1_3genE4ELNS1_11target_archE910ELNS1_3gpuE8ELNS1_3repE0EEENS1_48merge_mergepath_partition_config_static_selectorELNS0_4arch9wavefront6targetE1EEEvSL_
; %bb.0:
	.section	.rodata,"a",@progbits
	.p2align	6, 0x0
	.amdhsa_kernel _ZN7rocprim17ROCPRIM_400000_NS6detail17trampoline_kernelINS0_14default_configENS1_38merge_sort_block_merge_config_selectorIyNS0_10empty_typeEEEZZNS1_27merge_sort_block_merge_implIS3_N6thrust23THRUST_200600_302600_NS6detail15normal_iteratorINS9_10device_ptrIyEEEEPS5_jNS1_19radix_merge_compareILb0ELb0EyNS0_19identity_decomposerEEEEE10hipError_tT0_T1_T2_jT3_P12ihipStream_tbPNSt15iterator_traitsISK_E10value_typeEPNSQ_ISL_E10value_typeEPSM_NS1_7vsmem_tEENKUlT_SK_SL_SM_E_clIPySE_SF_SF_EESJ_SZ_SK_SL_SM_EUlSZ_E_NS1_11comp_targetILNS1_3genE4ELNS1_11target_archE910ELNS1_3gpuE8ELNS1_3repE0EEENS1_48merge_mergepath_partition_config_static_selectorELNS0_4arch9wavefront6targetE1EEEvSL_
		.amdhsa_group_segment_fixed_size 0
		.amdhsa_private_segment_fixed_size 0
		.amdhsa_kernarg_size 40
		.amdhsa_user_sgpr_count 2
		.amdhsa_user_sgpr_dispatch_ptr 0
		.amdhsa_user_sgpr_queue_ptr 0
		.amdhsa_user_sgpr_kernarg_segment_ptr 1
		.amdhsa_user_sgpr_dispatch_id 0
		.amdhsa_user_sgpr_kernarg_preload_length 0
		.amdhsa_user_sgpr_kernarg_preload_offset 0
		.amdhsa_user_sgpr_private_segment_size 0
		.amdhsa_uses_dynamic_stack 0
		.amdhsa_enable_private_segment 0
		.amdhsa_system_sgpr_workgroup_id_x 1
		.amdhsa_system_sgpr_workgroup_id_y 0
		.amdhsa_system_sgpr_workgroup_id_z 0
		.amdhsa_system_sgpr_workgroup_info 0
		.amdhsa_system_vgpr_workitem_id 0
		.amdhsa_next_free_vgpr 1
		.amdhsa_next_free_sgpr 0
		.amdhsa_accum_offset 4
		.amdhsa_reserve_vcc 0
		.amdhsa_float_round_mode_32 0
		.amdhsa_float_round_mode_16_64 0
		.amdhsa_float_denorm_mode_32 3
		.amdhsa_float_denorm_mode_16_64 3
		.amdhsa_dx10_clamp 1
		.amdhsa_ieee_mode 1
		.amdhsa_fp16_overflow 0
		.amdhsa_tg_split 0
		.amdhsa_exception_fp_ieee_invalid_op 0
		.amdhsa_exception_fp_denorm_src 0
		.amdhsa_exception_fp_ieee_div_zero 0
		.amdhsa_exception_fp_ieee_overflow 0
		.amdhsa_exception_fp_ieee_underflow 0
		.amdhsa_exception_fp_ieee_inexact 0
		.amdhsa_exception_int_div_zero 0
	.end_amdhsa_kernel
	.section	.text._ZN7rocprim17ROCPRIM_400000_NS6detail17trampoline_kernelINS0_14default_configENS1_38merge_sort_block_merge_config_selectorIyNS0_10empty_typeEEEZZNS1_27merge_sort_block_merge_implIS3_N6thrust23THRUST_200600_302600_NS6detail15normal_iteratorINS9_10device_ptrIyEEEEPS5_jNS1_19radix_merge_compareILb0ELb0EyNS0_19identity_decomposerEEEEE10hipError_tT0_T1_T2_jT3_P12ihipStream_tbPNSt15iterator_traitsISK_E10value_typeEPNSQ_ISL_E10value_typeEPSM_NS1_7vsmem_tEENKUlT_SK_SL_SM_E_clIPySE_SF_SF_EESJ_SZ_SK_SL_SM_EUlSZ_E_NS1_11comp_targetILNS1_3genE4ELNS1_11target_archE910ELNS1_3gpuE8ELNS1_3repE0EEENS1_48merge_mergepath_partition_config_static_selectorELNS0_4arch9wavefront6targetE1EEEvSL_,"axG",@progbits,_ZN7rocprim17ROCPRIM_400000_NS6detail17trampoline_kernelINS0_14default_configENS1_38merge_sort_block_merge_config_selectorIyNS0_10empty_typeEEEZZNS1_27merge_sort_block_merge_implIS3_N6thrust23THRUST_200600_302600_NS6detail15normal_iteratorINS9_10device_ptrIyEEEEPS5_jNS1_19radix_merge_compareILb0ELb0EyNS0_19identity_decomposerEEEEE10hipError_tT0_T1_T2_jT3_P12ihipStream_tbPNSt15iterator_traitsISK_E10value_typeEPNSQ_ISL_E10value_typeEPSM_NS1_7vsmem_tEENKUlT_SK_SL_SM_E_clIPySE_SF_SF_EESJ_SZ_SK_SL_SM_EUlSZ_E_NS1_11comp_targetILNS1_3genE4ELNS1_11target_archE910ELNS1_3gpuE8ELNS1_3repE0EEENS1_48merge_mergepath_partition_config_static_selectorELNS0_4arch9wavefront6targetE1EEEvSL_,comdat
.Lfunc_end727:
	.size	_ZN7rocprim17ROCPRIM_400000_NS6detail17trampoline_kernelINS0_14default_configENS1_38merge_sort_block_merge_config_selectorIyNS0_10empty_typeEEEZZNS1_27merge_sort_block_merge_implIS3_N6thrust23THRUST_200600_302600_NS6detail15normal_iteratorINS9_10device_ptrIyEEEEPS5_jNS1_19radix_merge_compareILb0ELb0EyNS0_19identity_decomposerEEEEE10hipError_tT0_T1_T2_jT3_P12ihipStream_tbPNSt15iterator_traitsISK_E10value_typeEPNSQ_ISL_E10value_typeEPSM_NS1_7vsmem_tEENKUlT_SK_SL_SM_E_clIPySE_SF_SF_EESJ_SZ_SK_SL_SM_EUlSZ_E_NS1_11comp_targetILNS1_3genE4ELNS1_11target_archE910ELNS1_3gpuE8ELNS1_3repE0EEENS1_48merge_mergepath_partition_config_static_selectorELNS0_4arch9wavefront6targetE1EEEvSL_, .Lfunc_end727-_ZN7rocprim17ROCPRIM_400000_NS6detail17trampoline_kernelINS0_14default_configENS1_38merge_sort_block_merge_config_selectorIyNS0_10empty_typeEEEZZNS1_27merge_sort_block_merge_implIS3_N6thrust23THRUST_200600_302600_NS6detail15normal_iteratorINS9_10device_ptrIyEEEEPS5_jNS1_19radix_merge_compareILb0ELb0EyNS0_19identity_decomposerEEEEE10hipError_tT0_T1_T2_jT3_P12ihipStream_tbPNSt15iterator_traitsISK_E10value_typeEPNSQ_ISL_E10value_typeEPSM_NS1_7vsmem_tEENKUlT_SK_SL_SM_E_clIPySE_SF_SF_EESJ_SZ_SK_SL_SM_EUlSZ_E_NS1_11comp_targetILNS1_3genE4ELNS1_11target_archE910ELNS1_3gpuE8ELNS1_3repE0EEENS1_48merge_mergepath_partition_config_static_selectorELNS0_4arch9wavefront6targetE1EEEvSL_
                                        ; -- End function
	.section	.AMDGPU.csdata,"",@progbits
; Kernel info:
; codeLenInByte = 0
; NumSgprs: 6
; NumVgprs: 0
; NumAgprs: 0
; TotalNumVgprs: 0
; ScratchSize: 0
; MemoryBound: 0
; FloatMode: 240
; IeeeMode: 1
; LDSByteSize: 0 bytes/workgroup (compile time only)
; SGPRBlocks: 0
; VGPRBlocks: 0
; NumSGPRsForWavesPerEU: 6
; NumVGPRsForWavesPerEU: 1
; AccumOffset: 4
; Occupancy: 8
; WaveLimiterHint : 0
; COMPUTE_PGM_RSRC2:SCRATCH_EN: 0
; COMPUTE_PGM_RSRC2:USER_SGPR: 2
; COMPUTE_PGM_RSRC2:TRAP_HANDLER: 0
; COMPUTE_PGM_RSRC2:TGID_X_EN: 1
; COMPUTE_PGM_RSRC2:TGID_Y_EN: 0
; COMPUTE_PGM_RSRC2:TGID_Z_EN: 0
; COMPUTE_PGM_RSRC2:TIDIG_COMP_CNT: 0
; COMPUTE_PGM_RSRC3_GFX90A:ACCUM_OFFSET: 0
; COMPUTE_PGM_RSRC3_GFX90A:TG_SPLIT: 0
	.section	.text._ZN7rocprim17ROCPRIM_400000_NS6detail17trampoline_kernelINS0_14default_configENS1_38merge_sort_block_merge_config_selectorIyNS0_10empty_typeEEEZZNS1_27merge_sort_block_merge_implIS3_N6thrust23THRUST_200600_302600_NS6detail15normal_iteratorINS9_10device_ptrIyEEEEPS5_jNS1_19radix_merge_compareILb0ELb0EyNS0_19identity_decomposerEEEEE10hipError_tT0_T1_T2_jT3_P12ihipStream_tbPNSt15iterator_traitsISK_E10value_typeEPNSQ_ISL_E10value_typeEPSM_NS1_7vsmem_tEENKUlT_SK_SL_SM_E_clIPySE_SF_SF_EESJ_SZ_SK_SL_SM_EUlSZ_E_NS1_11comp_targetILNS1_3genE3ELNS1_11target_archE908ELNS1_3gpuE7ELNS1_3repE0EEENS1_48merge_mergepath_partition_config_static_selectorELNS0_4arch9wavefront6targetE1EEEvSL_,"axG",@progbits,_ZN7rocprim17ROCPRIM_400000_NS6detail17trampoline_kernelINS0_14default_configENS1_38merge_sort_block_merge_config_selectorIyNS0_10empty_typeEEEZZNS1_27merge_sort_block_merge_implIS3_N6thrust23THRUST_200600_302600_NS6detail15normal_iteratorINS9_10device_ptrIyEEEEPS5_jNS1_19radix_merge_compareILb0ELb0EyNS0_19identity_decomposerEEEEE10hipError_tT0_T1_T2_jT3_P12ihipStream_tbPNSt15iterator_traitsISK_E10value_typeEPNSQ_ISL_E10value_typeEPSM_NS1_7vsmem_tEENKUlT_SK_SL_SM_E_clIPySE_SF_SF_EESJ_SZ_SK_SL_SM_EUlSZ_E_NS1_11comp_targetILNS1_3genE3ELNS1_11target_archE908ELNS1_3gpuE7ELNS1_3repE0EEENS1_48merge_mergepath_partition_config_static_selectorELNS0_4arch9wavefront6targetE1EEEvSL_,comdat
	.protected	_ZN7rocprim17ROCPRIM_400000_NS6detail17trampoline_kernelINS0_14default_configENS1_38merge_sort_block_merge_config_selectorIyNS0_10empty_typeEEEZZNS1_27merge_sort_block_merge_implIS3_N6thrust23THRUST_200600_302600_NS6detail15normal_iteratorINS9_10device_ptrIyEEEEPS5_jNS1_19radix_merge_compareILb0ELb0EyNS0_19identity_decomposerEEEEE10hipError_tT0_T1_T2_jT3_P12ihipStream_tbPNSt15iterator_traitsISK_E10value_typeEPNSQ_ISL_E10value_typeEPSM_NS1_7vsmem_tEENKUlT_SK_SL_SM_E_clIPySE_SF_SF_EESJ_SZ_SK_SL_SM_EUlSZ_E_NS1_11comp_targetILNS1_3genE3ELNS1_11target_archE908ELNS1_3gpuE7ELNS1_3repE0EEENS1_48merge_mergepath_partition_config_static_selectorELNS0_4arch9wavefront6targetE1EEEvSL_ ; -- Begin function _ZN7rocprim17ROCPRIM_400000_NS6detail17trampoline_kernelINS0_14default_configENS1_38merge_sort_block_merge_config_selectorIyNS0_10empty_typeEEEZZNS1_27merge_sort_block_merge_implIS3_N6thrust23THRUST_200600_302600_NS6detail15normal_iteratorINS9_10device_ptrIyEEEEPS5_jNS1_19radix_merge_compareILb0ELb0EyNS0_19identity_decomposerEEEEE10hipError_tT0_T1_T2_jT3_P12ihipStream_tbPNSt15iterator_traitsISK_E10value_typeEPNSQ_ISL_E10value_typeEPSM_NS1_7vsmem_tEENKUlT_SK_SL_SM_E_clIPySE_SF_SF_EESJ_SZ_SK_SL_SM_EUlSZ_E_NS1_11comp_targetILNS1_3genE3ELNS1_11target_archE908ELNS1_3gpuE7ELNS1_3repE0EEENS1_48merge_mergepath_partition_config_static_selectorELNS0_4arch9wavefront6targetE1EEEvSL_
	.globl	_ZN7rocprim17ROCPRIM_400000_NS6detail17trampoline_kernelINS0_14default_configENS1_38merge_sort_block_merge_config_selectorIyNS0_10empty_typeEEEZZNS1_27merge_sort_block_merge_implIS3_N6thrust23THRUST_200600_302600_NS6detail15normal_iteratorINS9_10device_ptrIyEEEEPS5_jNS1_19radix_merge_compareILb0ELb0EyNS0_19identity_decomposerEEEEE10hipError_tT0_T1_T2_jT3_P12ihipStream_tbPNSt15iterator_traitsISK_E10value_typeEPNSQ_ISL_E10value_typeEPSM_NS1_7vsmem_tEENKUlT_SK_SL_SM_E_clIPySE_SF_SF_EESJ_SZ_SK_SL_SM_EUlSZ_E_NS1_11comp_targetILNS1_3genE3ELNS1_11target_archE908ELNS1_3gpuE7ELNS1_3repE0EEENS1_48merge_mergepath_partition_config_static_selectorELNS0_4arch9wavefront6targetE1EEEvSL_
	.p2align	8
	.type	_ZN7rocprim17ROCPRIM_400000_NS6detail17trampoline_kernelINS0_14default_configENS1_38merge_sort_block_merge_config_selectorIyNS0_10empty_typeEEEZZNS1_27merge_sort_block_merge_implIS3_N6thrust23THRUST_200600_302600_NS6detail15normal_iteratorINS9_10device_ptrIyEEEEPS5_jNS1_19radix_merge_compareILb0ELb0EyNS0_19identity_decomposerEEEEE10hipError_tT0_T1_T2_jT3_P12ihipStream_tbPNSt15iterator_traitsISK_E10value_typeEPNSQ_ISL_E10value_typeEPSM_NS1_7vsmem_tEENKUlT_SK_SL_SM_E_clIPySE_SF_SF_EESJ_SZ_SK_SL_SM_EUlSZ_E_NS1_11comp_targetILNS1_3genE3ELNS1_11target_archE908ELNS1_3gpuE7ELNS1_3repE0EEENS1_48merge_mergepath_partition_config_static_selectorELNS0_4arch9wavefront6targetE1EEEvSL_,@function
_ZN7rocprim17ROCPRIM_400000_NS6detail17trampoline_kernelINS0_14default_configENS1_38merge_sort_block_merge_config_selectorIyNS0_10empty_typeEEEZZNS1_27merge_sort_block_merge_implIS3_N6thrust23THRUST_200600_302600_NS6detail15normal_iteratorINS9_10device_ptrIyEEEEPS5_jNS1_19radix_merge_compareILb0ELb0EyNS0_19identity_decomposerEEEEE10hipError_tT0_T1_T2_jT3_P12ihipStream_tbPNSt15iterator_traitsISK_E10value_typeEPNSQ_ISL_E10value_typeEPSM_NS1_7vsmem_tEENKUlT_SK_SL_SM_E_clIPySE_SF_SF_EESJ_SZ_SK_SL_SM_EUlSZ_E_NS1_11comp_targetILNS1_3genE3ELNS1_11target_archE908ELNS1_3gpuE7ELNS1_3repE0EEENS1_48merge_mergepath_partition_config_static_selectorELNS0_4arch9wavefront6targetE1EEEvSL_: ; @_ZN7rocprim17ROCPRIM_400000_NS6detail17trampoline_kernelINS0_14default_configENS1_38merge_sort_block_merge_config_selectorIyNS0_10empty_typeEEEZZNS1_27merge_sort_block_merge_implIS3_N6thrust23THRUST_200600_302600_NS6detail15normal_iteratorINS9_10device_ptrIyEEEEPS5_jNS1_19radix_merge_compareILb0ELb0EyNS0_19identity_decomposerEEEEE10hipError_tT0_T1_T2_jT3_P12ihipStream_tbPNSt15iterator_traitsISK_E10value_typeEPNSQ_ISL_E10value_typeEPSM_NS1_7vsmem_tEENKUlT_SK_SL_SM_E_clIPySE_SF_SF_EESJ_SZ_SK_SL_SM_EUlSZ_E_NS1_11comp_targetILNS1_3genE3ELNS1_11target_archE908ELNS1_3gpuE7ELNS1_3repE0EEENS1_48merge_mergepath_partition_config_static_selectorELNS0_4arch9wavefront6targetE1EEEvSL_
; %bb.0:
	.section	.rodata,"a",@progbits
	.p2align	6, 0x0
	.amdhsa_kernel _ZN7rocprim17ROCPRIM_400000_NS6detail17trampoline_kernelINS0_14default_configENS1_38merge_sort_block_merge_config_selectorIyNS0_10empty_typeEEEZZNS1_27merge_sort_block_merge_implIS3_N6thrust23THRUST_200600_302600_NS6detail15normal_iteratorINS9_10device_ptrIyEEEEPS5_jNS1_19radix_merge_compareILb0ELb0EyNS0_19identity_decomposerEEEEE10hipError_tT0_T1_T2_jT3_P12ihipStream_tbPNSt15iterator_traitsISK_E10value_typeEPNSQ_ISL_E10value_typeEPSM_NS1_7vsmem_tEENKUlT_SK_SL_SM_E_clIPySE_SF_SF_EESJ_SZ_SK_SL_SM_EUlSZ_E_NS1_11comp_targetILNS1_3genE3ELNS1_11target_archE908ELNS1_3gpuE7ELNS1_3repE0EEENS1_48merge_mergepath_partition_config_static_selectorELNS0_4arch9wavefront6targetE1EEEvSL_
		.amdhsa_group_segment_fixed_size 0
		.amdhsa_private_segment_fixed_size 0
		.amdhsa_kernarg_size 40
		.amdhsa_user_sgpr_count 2
		.amdhsa_user_sgpr_dispatch_ptr 0
		.amdhsa_user_sgpr_queue_ptr 0
		.amdhsa_user_sgpr_kernarg_segment_ptr 1
		.amdhsa_user_sgpr_dispatch_id 0
		.amdhsa_user_sgpr_kernarg_preload_length 0
		.amdhsa_user_sgpr_kernarg_preload_offset 0
		.amdhsa_user_sgpr_private_segment_size 0
		.amdhsa_uses_dynamic_stack 0
		.amdhsa_enable_private_segment 0
		.amdhsa_system_sgpr_workgroup_id_x 1
		.amdhsa_system_sgpr_workgroup_id_y 0
		.amdhsa_system_sgpr_workgroup_id_z 0
		.amdhsa_system_sgpr_workgroup_info 0
		.amdhsa_system_vgpr_workitem_id 0
		.amdhsa_next_free_vgpr 1
		.amdhsa_next_free_sgpr 0
		.amdhsa_accum_offset 4
		.amdhsa_reserve_vcc 0
		.amdhsa_float_round_mode_32 0
		.amdhsa_float_round_mode_16_64 0
		.amdhsa_float_denorm_mode_32 3
		.amdhsa_float_denorm_mode_16_64 3
		.amdhsa_dx10_clamp 1
		.amdhsa_ieee_mode 1
		.amdhsa_fp16_overflow 0
		.amdhsa_tg_split 0
		.amdhsa_exception_fp_ieee_invalid_op 0
		.amdhsa_exception_fp_denorm_src 0
		.amdhsa_exception_fp_ieee_div_zero 0
		.amdhsa_exception_fp_ieee_overflow 0
		.amdhsa_exception_fp_ieee_underflow 0
		.amdhsa_exception_fp_ieee_inexact 0
		.amdhsa_exception_int_div_zero 0
	.end_amdhsa_kernel
	.section	.text._ZN7rocprim17ROCPRIM_400000_NS6detail17trampoline_kernelINS0_14default_configENS1_38merge_sort_block_merge_config_selectorIyNS0_10empty_typeEEEZZNS1_27merge_sort_block_merge_implIS3_N6thrust23THRUST_200600_302600_NS6detail15normal_iteratorINS9_10device_ptrIyEEEEPS5_jNS1_19radix_merge_compareILb0ELb0EyNS0_19identity_decomposerEEEEE10hipError_tT0_T1_T2_jT3_P12ihipStream_tbPNSt15iterator_traitsISK_E10value_typeEPNSQ_ISL_E10value_typeEPSM_NS1_7vsmem_tEENKUlT_SK_SL_SM_E_clIPySE_SF_SF_EESJ_SZ_SK_SL_SM_EUlSZ_E_NS1_11comp_targetILNS1_3genE3ELNS1_11target_archE908ELNS1_3gpuE7ELNS1_3repE0EEENS1_48merge_mergepath_partition_config_static_selectorELNS0_4arch9wavefront6targetE1EEEvSL_,"axG",@progbits,_ZN7rocprim17ROCPRIM_400000_NS6detail17trampoline_kernelINS0_14default_configENS1_38merge_sort_block_merge_config_selectorIyNS0_10empty_typeEEEZZNS1_27merge_sort_block_merge_implIS3_N6thrust23THRUST_200600_302600_NS6detail15normal_iteratorINS9_10device_ptrIyEEEEPS5_jNS1_19radix_merge_compareILb0ELb0EyNS0_19identity_decomposerEEEEE10hipError_tT0_T1_T2_jT3_P12ihipStream_tbPNSt15iterator_traitsISK_E10value_typeEPNSQ_ISL_E10value_typeEPSM_NS1_7vsmem_tEENKUlT_SK_SL_SM_E_clIPySE_SF_SF_EESJ_SZ_SK_SL_SM_EUlSZ_E_NS1_11comp_targetILNS1_3genE3ELNS1_11target_archE908ELNS1_3gpuE7ELNS1_3repE0EEENS1_48merge_mergepath_partition_config_static_selectorELNS0_4arch9wavefront6targetE1EEEvSL_,comdat
.Lfunc_end728:
	.size	_ZN7rocprim17ROCPRIM_400000_NS6detail17trampoline_kernelINS0_14default_configENS1_38merge_sort_block_merge_config_selectorIyNS0_10empty_typeEEEZZNS1_27merge_sort_block_merge_implIS3_N6thrust23THRUST_200600_302600_NS6detail15normal_iteratorINS9_10device_ptrIyEEEEPS5_jNS1_19radix_merge_compareILb0ELb0EyNS0_19identity_decomposerEEEEE10hipError_tT0_T1_T2_jT3_P12ihipStream_tbPNSt15iterator_traitsISK_E10value_typeEPNSQ_ISL_E10value_typeEPSM_NS1_7vsmem_tEENKUlT_SK_SL_SM_E_clIPySE_SF_SF_EESJ_SZ_SK_SL_SM_EUlSZ_E_NS1_11comp_targetILNS1_3genE3ELNS1_11target_archE908ELNS1_3gpuE7ELNS1_3repE0EEENS1_48merge_mergepath_partition_config_static_selectorELNS0_4arch9wavefront6targetE1EEEvSL_, .Lfunc_end728-_ZN7rocprim17ROCPRIM_400000_NS6detail17trampoline_kernelINS0_14default_configENS1_38merge_sort_block_merge_config_selectorIyNS0_10empty_typeEEEZZNS1_27merge_sort_block_merge_implIS3_N6thrust23THRUST_200600_302600_NS6detail15normal_iteratorINS9_10device_ptrIyEEEEPS5_jNS1_19radix_merge_compareILb0ELb0EyNS0_19identity_decomposerEEEEE10hipError_tT0_T1_T2_jT3_P12ihipStream_tbPNSt15iterator_traitsISK_E10value_typeEPNSQ_ISL_E10value_typeEPSM_NS1_7vsmem_tEENKUlT_SK_SL_SM_E_clIPySE_SF_SF_EESJ_SZ_SK_SL_SM_EUlSZ_E_NS1_11comp_targetILNS1_3genE3ELNS1_11target_archE908ELNS1_3gpuE7ELNS1_3repE0EEENS1_48merge_mergepath_partition_config_static_selectorELNS0_4arch9wavefront6targetE1EEEvSL_
                                        ; -- End function
	.section	.AMDGPU.csdata,"",@progbits
; Kernel info:
; codeLenInByte = 0
; NumSgprs: 6
; NumVgprs: 0
; NumAgprs: 0
; TotalNumVgprs: 0
; ScratchSize: 0
; MemoryBound: 0
; FloatMode: 240
; IeeeMode: 1
; LDSByteSize: 0 bytes/workgroup (compile time only)
; SGPRBlocks: 0
; VGPRBlocks: 0
; NumSGPRsForWavesPerEU: 6
; NumVGPRsForWavesPerEU: 1
; AccumOffset: 4
; Occupancy: 8
; WaveLimiterHint : 0
; COMPUTE_PGM_RSRC2:SCRATCH_EN: 0
; COMPUTE_PGM_RSRC2:USER_SGPR: 2
; COMPUTE_PGM_RSRC2:TRAP_HANDLER: 0
; COMPUTE_PGM_RSRC2:TGID_X_EN: 1
; COMPUTE_PGM_RSRC2:TGID_Y_EN: 0
; COMPUTE_PGM_RSRC2:TGID_Z_EN: 0
; COMPUTE_PGM_RSRC2:TIDIG_COMP_CNT: 0
; COMPUTE_PGM_RSRC3_GFX90A:ACCUM_OFFSET: 0
; COMPUTE_PGM_RSRC3_GFX90A:TG_SPLIT: 0
	.section	.text._ZN7rocprim17ROCPRIM_400000_NS6detail17trampoline_kernelINS0_14default_configENS1_38merge_sort_block_merge_config_selectorIyNS0_10empty_typeEEEZZNS1_27merge_sort_block_merge_implIS3_N6thrust23THRUST_200600_302600_NS6detail15normal_iteratorINS9_10device_ptrIyEEEEPS5_jNS1_19radix_merge_compareILb0ELb0EyNS0_19identity_decomposerEEEEE10hipError_tT0_T1_T2_jT3_P12ihipStream_tbPNSt15iterator_traitsISK_E10value_typeEPNSQ_ISL_E10value_typeEPSM_NS1_7vsmem_tEENKUlT_SK_SL_SM_E_clIPySE_SF_SF_EESJ_SZ_SK_SL_SM_EUlSZ_E_NS1_11comp_targetILNS1_3genE2ELNS1_11target_archE906ELNS1_3gpuE6ELNS1_3repE0EEENS1_48merge_mergepath_partition_config_static_selectorELNS0_4arch9wavefront6targetE1EEEvSL_,"axG",@progbits,_ZN7rocprim17ROCPRIM_400000_NS6detail17trampoline_kernelINS0_14default_configENS1_38merge_sort_block_merge_config_selectorIyNS0_10empty_typeEEEZZNS1_27merge_sort_block_merge_implIS3_N6thrust23THRUST_200600_302600_NS6detail15normal_iteratorINS9_10device_ptrIyEEEEPS5_jNS1_19radix_merge_compareILb0ELb0EyNS0_19identity_decomposerEEEEE10hipError_tT0_T1_T2_jT3_P12ihipStream_tbPNSt15iterator_traitsISK_E10value_typeEPNSQ_ISL_E10value_typeEPSM_NS1_7vsmem_tEENKUlT_SK_SL_SM_E_clIPySE_SF_SF_EESJ_SZ_SK_SL_SM_EUlSZ_E_NS1_11comp_targetILNS1_3genE2ELNS1_11target_archE906ELNS1_3gpuE6ELNS1_3repE0EEENS1_48merge_mergepath_partition_config_static_selectorELNS0_4arch9wavefront6targetE1EEEvSL_,comdat
	.protected	_ZN7rocprim17ROCPRIM_400000_NS6detail17trampoline_kernelINS0_14default_configENS1_38merge_sort_block_merge_config_selectorIyNS0_10empty_typeEEEZZNS1_27merge_sort_block_merge_implIS3_N6thrust23THRUST_200600_302600_NS6detail15normal_iteratorINS9_10device_ptrIyEEEEPS5_jNS1_19radix_merge_compareILb0ELb0EyNS0_19identity_decomposerEEEEE10hipError_tT0_T1_T2_jT3_P12ihipStream_tbPNSt15iterator_traitsISK_E10value_typeEPNSQ_ISL_E10value_typeEPSM_NS1_7vsmem_tEENKUlT_SK_SL_SM_E_clIPySE_SF_SF_EESJ_SZ_SK_SL_SM_EUlSZ_E_NS1_11comp_targetILNS1_3genE2ELNS1_11target_archE906ELNS1_3gpuE6ELNS1_3repE0EEENS1_48merge_mergepath_partition_config_static_selectorELNS0_4arch9wavefront6targetE1EEEvSL_ ; -- Begin function _ZN7rocprim17ROCPRIM_400000_NS6detail17trampoline_kernelINS0_14default_configENS1_38merge_sort_block_merge_config_selectorIyNS0_10empty_typeEEEZZNS1_27merge_sort_block_merge_implIS3_N6thrust23THRUST_200600_302600_NS6detail15normal_iteratorINS9_10device_ptrIyEEEEPS5_jNS1_19radix_merge_compareILb0ELb0EyNS0_19identity_decomposerEEEEE10hipError_tT0_T1_T2_jT3_P12ihipStream_tbPNSt15iterator_traitsISK_E10value_typeEPNSQ_ISL_E10value_typeEPSM_NS1_7vsmem_tEENKUlT_SK_SL_SM_E_clIPySE_SF_SF_EESJ_SZ_SK_SL_SM_EUlSZ_E_NS1_11comp_targetILNS1_3genE2ELNS1_11target_archE906ELNS1_3gpuE6ELNS1_3repE0EEENS1_48merge_mergepath_partition_config_static_selectorELNS0_4arch9wavefront6targetE1EEEvSL_
	.globl	_ZN7rocprim17ROCPRIM_400000_NS6detail17trampoline_kernelINS0_14default_configENS1_38merge_sort_block_merge_config_selectorIyNS0_10empty_typeEEEZZNS1_27merge_sort_block_merge_implIS3_N6thrust23THRUST_200600_302600_NS6detail15normal_iteratorINS9_10device_ptrIyEEEEPS5_jNS1_19radix_merge_compareILb0ELb0EyNS0_19identity_decomposerEEEEE10hipError_tT0_T1_T2_jT3_P12ihipStream_tbPNSt15iterator_traitsISK_E10value_typeEPNSQ_ISL_E10value_typeEPSM_NS1_7vsmem_tEENKUlT_SK_SL_SM_E_clIPySE_SF_SF_EESJ_SZ_SK_SL_SM_EUlSZ_E_NS1_11comp_targetILNS1_3genE2ELNS1_11target_archE906ELNS1_3gpuE6ELNS1_3repE0EEENS1_48merge_mergepath_partition_config_static_selectorELNS0_4arch9wavefront6targetE1EEEvSL_
	.p2align	8
	.type	_ZN7rocprim17ROCPRIM_400000_NS6detail17trampoline_kernelINS0_14default_configENS1_38merge_sort_block_merge_config_selectorIyNS0_10empty_typeEEEZZNS1_27merge_sort_block_merge_implIS3_N6thrust23THRUST_200600_302600_NS6detail15normal_iteratorINS9_10device_ptrIyEEEEPS5_jNS1_19radix_merge_compareILb0ELb0EyNS0_19identity_decomposerEEEEE10hipError_tT0_T1_T2_jT3_P12ihipStream_tbPNSt15iterator_traitsISK_E10value_typeEPNSQ_ISL_E10value_typeEPSM_NS1_7vsmem_tEENKUlT_SK_SL_SM_E_clIPySE_SF_SF_EESJ_SZ_SK_SL_SM_EUlSZ_E_NS1_11comp_targetILNS1_3genE2ELNS1_11target_archE906ELNS1_3gpuE6ELNS1_3repE0EEENS1_48merge_mergepath_partition_config_static_selectorELNS0_4arch9wavefront6targetE1EEEvSL_,@function
_ZN7rocprim17ROCPRIM_400000_NS6detail17trampoline_kernelINS0_14default_configENS1_38merge_sort_block_merge_config_selectorIyNS0_10empty_typeEEEZZNS1_27merge_sort_block_merge_implIS3_N6thrust23THRUST_200600_302600_NS6detail15normal_iteratorINS9_10device_ptrIyEEEEPS5_jNS1_19radix_merge_compareILb0ELb0EyNS0_19identity_decomposerEEEEE10hipError_tT0_T1_T2_jT3_P12ihipStream_tbPNSt15iterator_traitsISK_E10value_typeEPNSQ_ISL_E10value_typeEPSM_NS1_7vsmem_tEENKUlT_SK_SL_SM_E_clIPySE_SF_SF_EESJ_SZ_SK_SL_SM_EUlSZ_E_NS1_11comp_targetILNS1_3genE2ELNS1_11target_archE906ELNS1_3gpuE6ELNS1_3repE0EEENS1_48merge_mergepath_partition_config_static_selectorELNS0_4arch9wavefront6targetE1EEEvSL_: ; @_ZN7rocprim17ROCPRIM_400000_NS6detail17trampoline_kernelINS0_14default_configENS1_38merge_sort_block_merge_config_selectorIyNS0_10empty_typeEEEZZNS1_27merge_sort_block_merge_implIS3_N6thrust23THRUST_200600_302600_NS6detail15normal_iteratorINS9_10device_ptrIyEEEEPS5_jNS1_19radix_merge_compareILb0ELb0EyNS0_19identity_decomposerEEEEE10hipError_tT0_T1_T2_jT3_P12ihipStream_tbPNSt15iterator_traitsISK_E10value_typeEPNSQ_ISL_E10value_typeEPSM_NS1_7vsmem_tEENKUlT_SK_SL_SM_E_clIPySE_SF_SF_EESJ_SZ_SK_SL_SM_EUlSZ_E_NS1_11comp_targetILNS1_3genE2ELNS1_11target_archE906ELNS1_3gpuE6ELNS1_3repE0EEENS1_48merge_mergepath_partition_config_static_selectorELNS0_4arch9wavefront6targetE1EEEvSL_
; %bb.0:
	.section	.rodata,"a",@progbits
	.p2align	6, 0x0
	.amdhsa_kernel _ZN7rocprim17ROCPRIM_400000_NS6detail17trampoline_kernelINS0_14default_configENS1_38merge_sort_block_merge_config_selectorIyNS0_10empty_typeEEEZZNS1_27merge_sort_block_merge_implIS3_N6thrust23THRUST_200600_302600_NS6detail15normal_iteratorINS9_10device_ptrIyEEEEPS5_jNS1_19radix_merge_compareILb0ELb0EyNS0_19identity_decomposerEEEEE10hipError_tT0_T1_T2_jT3_P12ihipStream_tbPNSt15iterator_traitsISK_E10value_typeEPNSQ_ISL_E10value_typeEPSM_NS1_7vsmem_tEENKUlT_SK_SL_SM_E_clIPySE_SF_SF_EESJ_SZ_SK_SL_SM_EUlSZ_E_NS1_11comp_targetILNS1_3genE2ELNS1_11target_archE906ELNS1_3gpuE6ELNS1_3repE0EEENS1_48merge_mergepath_partition_config_static_selectorELNS0_4arch9wavefront6targetE1EEEvSL_
		.amdhsa_group_segment_fixed_size 0
		.amdhsa_private_segment_fixed_size 0
		.amdhsa_kernarg_size 40
		.amdhsa_user_sgpr_count 2
		.amdhsa_user_sgpr_dispatch_ptr 0
		.amdhsa_user_sgpr_queue_ptr 0
		.amdhsa_user_sgpr_kernarg_segment_ptr 1
		.amdhsa_user_sgpr_dispatch_id 0
		.amdhsa_user_sgpr_kernarg_preload_length 0
		.amdhsa_user_sgpr_kernarg_preload_offset 0
		.amdhsa_user_sgpr_private_segment_size 0
		.amdhsa_uses_dynamic_stack 0
		.amdhsa_enable_private_segment 0
		.amdhsa_system_sgpr_workgroup_id_x 1
		.amdhsa_system_sgpr_workgroup_id_y 0
		.amdhsa_system_sgpr_workgroup_id_z 0
		.amdhsa_system_sgpr_workgroup_info 0
		.amdhsa_system_vgpr_workitem_id 0
		.amdhsa_next_free_vgpr 1
		.amdhsa_next_free_sgpr 0
		.amdhsa_accum_offset 4
		.amdhsa_reserve_vcc 0
		.amdhsa_float_round_mode_32 0
		.amdhsa_float_round_mode_16_64 0
		.amdhsa_float_denorm_mode_32 3
		.amdhsa_float_denorm_mode_16_64 3
		.amdhsa_dx10_clamp 1
		.amdhsa_ieee_mode 1
		.amdhsa_fp16_overflow 0
		.amdhsa_tg_split 0
		.amdhsa_exception_fp_ieee_invalid_op 0
		.amdhsa_exception_fp_denorm_src 0
		.amdhsa_exception_fp_ieee_div_zero 0
		.amdhsa_exception_fp_ieee_overflow 0
		.amdhsa_exception_fp_ieee_underflow 0
		.amdhsa_exception_fp_ieee_inexact 0
		.amdhsa_exception_int_div_zero 0
	.end_amdhsa_kernel
	.section	.text._ZN7rocprim17ROCPRIM_400000_NS6detail17trampoline_kernelINS0_14default_configENS1_38merge_sort_block_merge_config_selectorIyNS0_10empty_typeEEEZZNS1_27merge_sort_block_merge_implIS3_N6thrust23THRUST_200600_302600_NS6detail15normal_iteratorINS9_10device_ptrIyEEEEPS5_jNS1_19radix_merge_compareILb0ELb0EyNS0_19identity_decomposerEEEEE10hipError_tT0_T1_T2_jT3_P12ihipStream_tbPNSt15iterator_traitsISK_E10value_typeEPNSQ_ISL_E10value_typeEPSM_NS1_7vsmem_tEENKUlT_SK_SL_SM_E_clIPySE_SF_SF_EESJ_SZ_SK_SL_SM_EUlSZ_E_NS1_11comp_targetILNS1_3genE2ELNS1_11target_archE906ELNS1_3gpuE6ELNS1_3repE0EEENS1_48merge_mergepath_partition_config_static_selectorELNS0_4arch9wavefront6targetE1EEEvSL_,"axG",@progbits,_ZN7rocprim17ROCPRIM_400000_NS6detail17trampoline_kernelINS0_14default_configENS1_38merge_sort_block_merge_config_selectorIyNS0_10empty_typeEEEZZNS1_27merge_sort_block_merge_implIS3_N6thrust23THRUST_200600_302600_NS6detail15normal_iteratorINS9_10device_ptrIyEEEEPS5_jNS1_19radix_merge_compareILb0ELb0EyNS0_19identity_decomposerEEEEE10hipError_tT0_T1_T2_jT3_P12ihipStream_tbPNSt15iterator_traitsISK_E10value_typeEPNSQ_ISL_E10value_typeEPSM_NS1_7vsmem_tEENKUlT_SK_SL_SM_E_clIPySE_SF_SF_EESJ_SZ_SK_SL_SM_EUlSZ_E_NS1_11comp_targetILNS1_3genE2ELNS1_11target_archE906ELNS1_3gpuE6ELNS1_3repE0EEENS1_48merge_mergepath_partition_config_static_selectorELNS0_4arch9wavefront6targetE1EEEvSL_,comdat
.Lfunc_end729:
	.size	_ZN7rocprim17ROCPRIM_400000_NS6detail17trampoline_kernelINS0_14default_configENS1_38merge_sort_block_merge_config_selectorIyNS0_10empty_typeEEEZZNS1_27merge_sort_block_merge_implIS3_N6thrust23THRUST_200600_302600_NS6detail15normal_iteratorINS9_10device_ptrIyEEEEPS5_jNS1_19radix_merge_compareILb0ELb0EyNS0_19identity_decomposerEEEEE10hipError_tT0_T1_T2_jT3_P12ihipStream_tbPNSt15iterator_traitsISK_E10value_typeEPNSQ_ISL_E10value_typeEPSM_NS1_7vsmem_tEENKUlT_SK_SL_SM_E_clIPySE_SF_SF_EESJ_SZ_SK_SL_SM_EUlSZ_E_NS1_11comp_targetILNS1_3genE2ELNS1_11target_archE906ELNS1_3gpuE6ELNS1_3repE0EEENS1_48merge_mergepath_partition_config_static_selectorELNS0_4arch9wavefront6targetE1EEEvSL_, .Lfunc_end729-_ZN7rocprim17ROCPRIM_400000_NS6detail17trampoline_kernelINS0_14default_configENS1_38merge_sort_block_merge_config_selectorIyNS0_10empty_typeEEEZZNS1_27merge_sort_block_merge_implIS3_N6thrust23THRUST_200600_302600_NS6detail15normal_iteratorINS9_10device_ptrIyEEEEPS5_jNS1_19radix_merge_compareILb0ELb0EyNS0_19identity_decomposerEEEEE10hipError_tT0_T1_T2_jT3_P12ihipStream_tbPNSt15iterator_traitsISK_E10value_typeEPNSQ_ISL_E10value_typeEPSM_NS1_7vsmem_tEENKUlT_SK_SL_SM_E_clIPySE_SF_SF_EESJ_SZ_SK_SL_SM_EUlSZ_E_NS1_11comp_targetILNS1_3genE2ELNS1_11target_archE906ELNS1_3gpuE6ELNS1_3repE0EEENS1_48merge_mergepath_partition_config_static_selectorELNS0_4arch9wavefront6targetE1EEEvSL_
                                        ; -- End function
	.section	.AMDGPU.csdata,"",@progbits
; Kernel info:
; codeLenInByte = 0
; NumSgprs: 6
; NumVgprs: 0
; NumAgprs: 0
; TotalNumVgprs: 0
; ScratchSize: 0
; MemoryBound: 0
; FloatMode: 240
; IeeeMode: 1
; LDSByteSize: 0 bytes/workgroup (compile time only)
; SGPRBlocks: 0
; VGPRBlocks: 0
; NumSGPRsForWavesPerEU: 6
; NumVGPRsForWavesPerEU: 1
; AccumOffset: 4
; Occupancy: 8
; WaveLimiterHint : 0
; COMPUTE_PGM_RSRC2:SCRATCH_EN: 0
; COMPUTE_PGM_RSRC2:USER_SGPR: 2
; COMPUTE_PGM_RSRC2:TRAP_HANDLER: 0
; COMPUTE_PGM_RSRC2:TGID_X_EN: 1
; COMPUTE_PGM_RSRC2:TGID_Y_EN: 0
; COMPUTE_PGM_RSRC2:TGID_Z_EN: 0
; COMPUTE_PGM_RSRC2:TIDIG_COMP_CNT: 0
; COMPUTE_PGM_RSRC3_GFX90A:ACCUM_OFFSET: 0
; COMPUTE_PGM_RSRC3_GFX90A:TG_SPLIT: 0
	.section	.text._ZN7rocprim17ROCPRIM_400000_NS6detail17trampoline_kernelINS0_14default_configENS1_38merge_sort_block_merge_config_selectorIyNS0_10empty_typeEEEZZNS1_27merge_sort_block_merge_implIS3_N6thrust23THRUST_200600_302600_NS6detail15normal_iteratorINS9_10device_ptrIyEEEEPS5_jNS1_19radix_merge_compareILb0ELb0EyNS0_19identity_decomposerEEEEE10hipError_tT0_T1_T2_jT3_P12ihipStream_tbPNSt15iterator_traitsISK_E10value_typeEPNSQ_ISL_E10value_typeEPSM_NS1_7vsmem_tEENKUlT_SK_SL_SM_E_clIPySE_SF_SF_EESJ_SZ_SK_SL_SM_EUlSZ_E_NS1_11comp_targetILNS1_3genE9ELNS1_11target_archE1100ELNS1_3gpuE3ELNS1_3repE0EEENS1_48merge_mergepath_partition_config_static_selectorELNS0_4arch9wavefront6targetE1EEEvSL_,"axG",@progbits,_ZN7rocprim17ROCPRIM_400000_NS6detail17trampoline_kernelINS0_14default_configENS1_38merge_sort_block_merge_config_selectorIyNS0_10empty_typeEEEZZNS1_27merge_sort_block_merge_implIS3_N6thrust23THRUST_200600_302600_NS6detail15normal_iteratorINS9_10device_ptrIyEEEEPS5_jNS1_19radix_merge_compareILb0ELb0EyNS0_19identity_decomposerEEEEE10hipError_tT0_T1_T2_jT3_P12ihipStream_tbPNSt15iterator_traitsISK_E10value_typeEPNSQ_ISL_E10value_typeEPSM_NS1_7vsmem_tEENKUlT_SK_SL_SM_E_clIPySE_SF_SF_EESJ_SZ_SK_SL_SM_EUlSZ_E_NS1_11comp_targetILNS1_3genE9ELNS1_11target_archE1100ELNS1_3gpuE3ELNS1_3repE0EEENS1_48merge_mergepath_partition_config_static_selectorELNS0_4arch9wavefront6targetE1EEEvSL_,comdat
	.protected	_ZN7rocprim17ROCPRIM_400000_NS6detail17trampoline_kernelINS0_14default_configENS1_38merge_sort_block_merge_config_selectorIyNS0_10empty_typeEEEZZNS1_27merge_sort_block_merge_implIS3_N6thrust23THRUST_200600_302600_NS6detail15normal_iteratorINS9_10device_ptrIyEEEEPS5_jNS1_19radix_merge_compareILb0ELb0EyNS0_19identity_decomposerEEEEE10hipError_tT0_T1_T2_jT3_P12ihipStream_tbPNSt15iterator_traitsISK_E10value_typeEPNSQ_ISL_E10value_typeEPSM_NS1_7vsmem_tEENKUlT_SK_SL_SM_E_clIPySE_SF_SF_EESJ_SZ_SK_SL_SM_EUlSZ_E_NS1_11comp_targetILNS1_3genE9ELNS1_11target_archE1100ELNS1_3gpuE3ELNS1_3repE0EEENS1_48merge_mergepath_partition_config_static_selectorELNS0_4arch9wavefront6targetE1EEEvSL_ ; -- Begin function _ZN7rocprim17ROCPRIM_400000_NS6detail17trampoline_kernelINS0_14default_configENS1_38merge_sort_block_merge_config_selectorIyNS0_10empty_typeEEEZZNS1_27merge_sort_block_merge_implIS3_N6thrust23THRUST_200600_302600_NS6detail15normal_iteratorINS9_10device_ptrIyEEEEPS5_jNS1_19radix_merge_compareILb0ELb0EyNS0_19identity_decomposerEEEEE10hipError_tT0_T1_T2_jT3_P12ihipStream_tbPNSt15iterator_traitsISK_E10value_typeEPNSQ_ISL_E10value_typeEPSM_NS1_7vsmem_tEENKUlT_SK_SL_SM_E_clIPySE_SF_SF_EESJ_SZ_SK_SL_SM_EUlSZ_E_NS1_11comp_targetILNS1_3genE9ELNS1_11target_archE1100ELNS1_3gpuE3ELNS1_3repE0EEENS1_48merge_mergepath_partition_config_static_selectorELNS0_4arch9wavefront6targetE1EEEvSL_
	.globl	_ZN7rocprim17ROCPRIM_400000_NS6detail17trampoline_kernelINS0_14default_configENS1_38merge_sort_block_merge_config_selectorIyNS0_10empty_typeEEEZZNS1_27merge_sort_block_merge_implIS3_N6thrust23THRUST_200600_302600_NS6detail15normal_iteratorINS9_10device_ptrIyEEEEPS5_jNS1_19radix_merge_compareILb0ELb0EyNS0_19identity_decomposerEEEEE10hipError_tT0_T1_T2_jT3_P12ihipStream_tbPNSt15iterator_traitsISK_E10value_typeEPNSQ_ISL_E10value_typeEPSM_NS1_7vsmem_tEENKUlT_SK_SL_SM_E_clIPySE_SF_SF_EESJ_SZ_SK_SL_SM_EUlSZ_E_NS1_11comp_targetILNS1_3genE9ELNS1_11target_archE1100ELNS1_3gpuE3ELNS1_3repE0EEENS1_48merge_mergepath_partition_config_static_selectorELNS0_4arch9wavefront6targetE1EEEvSL_
	.p2align	8
	.type	_ZN7rocprim17ROCPRIM_400000_NS6detail17trampoline_kernelINS0_14default_configENS1_38merge_sort_block_merge_config_selectorIyNS0_10empty_typeEEEZZNS1_27merge_sort_block_merge_implIS3_N6thrust23THRUST_200600_302600_NS6detail15normal_iteratorINS9_10device_ptrIyEEEEPS5_jNS1_19radix_merge_compareILb0ELb0EyNS0_19identity_decomposerEEEEE10hipError_tT0_T1_T2_jT3_P12ihipStream_tbPNSt15iterator_traitsISK_E10value_typeEPNSQ_ISL_E10value_typeEPSM_NS1_7vsmem_tEENKUlT_SK_SL_SM_E_clIPySE_SF_SF_EESJ_SZ_SK_SL_SM_EUlSZ_E_NS1_11comp_targetILNS1_3genE9ELNS1_11target_archE1100ELNS1_3gpuE3ELNS1_3repE0EEENS1_48merge_mergepath_partition_config_static_selectorELNS0_4arch9wavefront6targetE1EEEvSL_,@function
_ZN7rocprim17ROCPRIM_400000_NS6detail17trampoline_kernelINS0_14default_configENS1_38merge_sort_block_merge_config_selectorIyNS0_10empty_typeEEEZZNS1_27merge_sort_block_merge_implIS3_N6thrust23THRUST_200600_302600_NS6detail15normal_iteratorINS9_10device_ptrIyEEEEPS5_jNS1_19radix_merge_compareILb0ELb0EyNS0_19identity_decomposerEEEEE10hipError_tT0_T1_T2_jT3_P12ihipStream_tbPNSt15iterator_traitsISK_E10value_typeEPNSQ_ISL_E10value_typeEPSM_NS1_7vsmem_tEENKUlT_SK_SL_SM_E_clIPySE_SF_SF_EESJ_SZ_SK_SL_SM_EUlSZ_E_NS1_11comp_targetILNS1_3genE9ELNS1_11target_archE1100ELNS1_3gpuE3ELNS1_3repE0EEENS1_48merge_mergepath_partition_config_static_selectorELNS0_4arch9wavefront6targetE1EEEvSL_: ; @_ZN7rocprim17ROCPRIM_400000_NS6detail17trampoline_kernelINS0_14default_configENS1_38merge_sort_block_merge_config_selectorIyNS0_10empty_typeEEEZZNS1_27merge_sort_block_merge_implIS3_N6thrust23THRUST_200600_302600_NS6detail15normal_iteratorINS9_10device_ptrIyEEEEPS5_jNS1_19radix_merge_compareILb0ELb0EyNS0_19identity_decomposerEEEEE10hipError_tT0_T1_T2_jT3_P12ihipStream_tbPNSt15iterator_traitsISK_E10value_typeEPNSQ_ISL_E10value_typeEPSM_NS1_7vsmem_tEENKUlT_SK_SL_SM_E_clIPySE_SF_SF_EESJ_SZ_SK_SL_SM_EUlSZ_E_NS1_11comp_targetILNS1_3genE9ELNS1_11target_archE1100ELNS1_3gpuE3ELNS1_3repE0EEENS1_48merge_mergepath_partition_config_static_selectorELNS0_4arch9wavefront6targetE1EEEvSL_
; %bb.0:
	.section	.rodata,"a",@progbits
	.p2align	6, 0x0
	.amdhsa_kernel _ZN7rocprim17ROCPRIM_400000_NS6detail17trampoline_kernelINS0_14default_configENS1_38merge_sort_block_merge_config_selectorIyNS0_10empty_typeEEEZZNS1_27merge_sort_block_merge_implIS3_N6thrust23THRUST_200600_302600_NS6detail15normal_iteratorINS9_10device_ptrIyEEEEPS5_jNS1_19radix_merge_compareILb0ELb0EyNS0_19identity_decomposerEEEEE10hipError_tT0_T1_T2_jT3_P12ihipStream_tbPNSt15iterator_traitsISK_E10value_typeEPNSQ_ISL_E10value_typeEPSM_NS1_7vsmem_tEENKUlT_SK_SL_SM_E_clIPySE_SF_SF_EESJ_SZ_SK_SL_SM_EUlSZ_E_NS1_11comp_targetILNS1_3genE9ELNS1_11target_archE1100ELNS1_3gpuE3ELNS1_3repE0EEENS1_48merge_mergepath_partition_config_static_selectorELNS0_4arch9wavefront6targetE1EEEvSL_
		.amdhsa_group_segment_fixed_size 0
		.amdhsa_private_segment_fixed_size 0
		.amdhsa_kernarg_size 40
		.amdhsa_user_sgpr_count 2
		.amdhsa_user_sgpr_dispatch_ptr 0
		.amdhsa_user_sgpr_queue_ptr 0
		.amdhsa_user_sgpr_kernarg_segment_ptr 1
		.amdhsa_user_sgpr_dispatch_id 0
		.amdhsa_user_sgpr_kernarg_preload_length 0
		.amdhsa_user_sgpr_kernarg_preload_offset 0
		.amdhsa_user_sgpr_private_segment_size 0
		.amdhsa_uses_dynamic_stack 0
		.amdhsa_enable_private_segment 0
		.amdhsa_system_sgpr_workgroup_id_x 1
		.amdhsa_system_sgpr_workgroup_id_y 0
		.amdhsa_system_sgpr_workgroup_id_z 0
		.amdhsa_system_sgpr_workgroup_info 0
		.amdhsa_system_vgpr_workitem_id 0
		.amdhsa_next_free_vgpr 1
		.amdhsa_next_free_sgpr 0
		.amdhsa_accum_offset 4
		.amdhsa_reserve_vcc 0
		.amdhsa_float_round_mode_32 0
		.amdhsa_float_round_mode_16_64 0
		.amdhsa_float_denorm_mode_32 3
		.amdhsa_float_denorm_mode_16_64 3
		.amdhsa_dx10_clamp 1
		.amdhsa_ieee_mode 1
		.amdhsa_fp16_overflow 0
		.amdhsa_tg_split 0
		.amdhsa_exception_fp_ieee_invalid_op 0
		.amdhsa_exception_fp_denorm_src 0
		.amdhsa_exception_fp_ieee_div_zero 0
		.amdhsa_exception_fp_ieee_overflow 0
		.amdhsa_exception_fp_ieee_underflow 0
		.amdhsa_exception_fp_ieee_inexact 0
		.amdhsa_exception_int_div_zero 0
	.end_amdhsa_kernel
	.section	.text._ZN7rocprim17ROCPRIM_400000_NS6detail17trampoline_kernelINS0_14default_configENS1_38merge_sort_block_merge_config_selectorIyNS0_10empty_typeEEEZZNS1_27merge_sort_block_merge_implIS3_N6thrust23THRUST_200600_302600_NS6detail15normal_iteratorINS9_10device_ptrIyEEEEPS5_jNS1_19radix_merge_compareILb0ELb0EyNS0_19identity_decomposerEEEEE10hipError_tT0_T1_T2_jT3_P12ihipStream_tbPNSt15iterator_traitsISK_E10value_typeEPNSQ_ISL_E10value_typeEPSM_NS1_7vsmem_tEENKUlT_SK_SL_SM_E_clIPySE_SF_SF_EESJ_SZ_SK_SL_SM_EUlSZ_E_NS1_11comp_targetILNS1_3genE9ELNS1_11target_archE1100ELNS1_3gpuE3ELNS1_3repE0EEENS1_48merge_mergepath_partition_config_static_selectorELNS0_4arch9wavefront6targetE1EEEvSL_,"axG",@progbits,_ZN7rocprim17ROCPRIM_400000_NS6detail17trampoline_kernelINS0_14default_configENS1_38merge_sort_block_merge_config_selectorIyNS0_10empty_typeEEEZZNS1_27merge_sort_block_merge_implIS3_N6thrust23THRUST_200600_302600_NS6detail15normal_iteratorINS9_10device_ptrIyEEEEPS5_jNS1_19radix_merge_compareILb0ELb0EyNS0_19identity_decomposerEEEEE10hipError_tT0_T1_T2_jT3_P12ihipStream_tbPNSt15iterator_traitsISK_E10value_typeEPNSQ_ISL_E10value_typeEPSM_NS1_7vsmem_tEENKUlT_SK_SL_SM_E_clIPySE_SF_SF_EESJ_SZ_SK_SL_SM_EUlSZ_E_NS1_11comp_targetILNS1_3genE9ELNS1_11target_archE1100ELNS1_3gpuE3ELNS1_3repE0EEENS1_48merge_mergepath_partition_config_static_selectorELNS0_4arch9wavefront6targetE1EEEvSL_,comdat
.Lfunc_end730:
	.size	_ZN7rocprim17ROCPRIM_400000_NS6detail17trampoline_kernelINS0_14default_configENS1_38merge_sort_block_merge_config_selectorIyNS0_10empty_typeEEEZZNS1_27merge_sort_block_merge_implIS3_N6thrust23THRUST_200600_302600_NS6detail15normal_iteratorINS9_10device_ptrIyEEEEPS5_jNS1_19radix_merge_compareILb0ELb0EyNS0_19identity_decomposerEEEEE10hipError_tT0_T1_T2_jT3_P12ihipStream_tbPNSt15iterator_traitsISK_E10value_typeEPNSQ_ISL_E10value_typeEPSM_NS1_7vsmem_tEENKUlT_SK_SL_SM_E_clIPySE_SF_SF_EESJ_SZ_SK_SL_SM_EUlSZ_E_NS1_11comp_targetILNS1_3genE9ELNS1_11target_archE1100ELNS1_3gpuE3ELNS1_3repE0EEENS1_48merge_mergepath_partition_config_static_selectorELNS0_4arch9wavefront6targetE1EEEvSL_, .Lfunc_end730-_ZN7rocprim17ROCPRIM_400000_NS6detail17trampoline_kernelINS0_14default_configENS1_38merge_sort_block_merge_config_selectorIyNS0_10empty_typeEEEZZNS1_27merge_sort_block_merge_implIS3_N6thrust23THRUST_200600_302600_NS6detail15normal_iteratorINS9_10device_ptrIyEEEEPS5_jNS1_19radix_merge_compareILb0ELb0EyNS0_19identity_decomposerEEEEE10hipError_tT0_T1_T2_jT3_P12ihipStream_tbPNSt15iterator_traitsISK_E10value_typeEPNSQ_ISL_E10value_typeEPSM_NS1_7vsmem_tEENKUlT_SK_SL_SM_E_clIPySE_SF_SF_EESJ_SZ_SK_SL_SM_EUlSZ_E_NS1_11comp_targetILNS1_3genE9ELNS1_11target_archE1100ELNS1_3gpuE3ELNS1_3repE0EEENS1_48merge_mergepath_partition_config_static_selectorELNS0_4arch9wavefront6targetE1EEEvSL_
                                        ; -- End function
	.section	.AMDGPU.csdata,"",@progbits
; Kernel info:
; codeLenInByte = 0
; NumSgprs: 6
; NumVgprs: 0
; NumAgprs: 0
; TotalNumVgprs: 0
; ScratchSize: 0
; MemoryBound: 0
; FloatMode: 240
; IeeeMode: 1
; LDSByteSize: 0 bytes/workgroup (compile time only)
; SGPRBlocks: 0
; VGPRBlocks: 0
; NumSGPRsForWavesPerEU: 6
; NumVGPRsForWavesPerEU: 1
; AccumOffset: 4
; Occupancy: 8
; WaveLimiterHint : 0
; COMPUTE_PGM_RSRC2:SCRATCH_EN: 0
; COMPUTE_PGM_RSRC2:USER_SGPR: 2
; COMPUTE_PGM_RSRC2:TRAP_HANDLER: 0
; COMPUTE_PGM_RSRC2:TGID_X_EN: 1
; COMPUTE_PGM_RSRC2:TGID_Y_EN: 0
; COMPUTE_PGM_RSRC2:TGID_Z_EN: 0
; COMPUTE_PGM_RSRC2:TIDIG_COMP_CNT: 0
; COMPUTE_PGM_RSRC3_GFX90A:ACCUM_OFFSET: 0
; COMPUTE_PGM_RSRC3_GFX90A:TG_SPLIT: 0
	.section	.text._ZN7rocprim17ROCPRIM_400000_NS6detail17trampoline_kernelINS0_14default_configENS1_38merge_sort_block_merge_config_selectorIyNS0_10empty_typeEEEZZNS1_27merge_sort_block_merge_implIS3_N6thrust23THRUST_200600_302600_NS6detail15normal_iteratorINS9_10device_ptrIyEEEEPS5_jNS1_19radix_merge_compareILb0ELb0EyNS0_19identity_decomposerEEEEE10hipError_tT0_T1_T2_jT3_P12ihipStream_tbPNSt15iterator_traitsISK_E10value_typeEPNSQ_ISL_E10value_typeEPSM_NS1_7vsmem_tEENKUlT_SK_SL_SM_E_clIPySE_SF_SF_EESJ_SZ_SK_SL_SM_EUlSZ_E_NS1_11comp_targetILNS1_3genE8ELNS1_11target_archE1030ELNS1_3gpuE2ELNS1_3repE0EEENS1_48merge_mergepath_partition_config_static_selectorELNS0_4arch9wavefront6targetE1EEEvSL_,"axG",@progbits,_ZN7rocprim17ROCPRIM_400000_NS6detail17trampoline_kernelINS0_14default_configENS1_38merge_sort_block_merge_config_selectorIyNS0_10empty_typeEEEZZNS1_27merge_sort_block_merge_implIS3_N6thrust23THRUST_200600_302600_NS6detail15normal_iteratorINS9_10device_ptrIyEEEEPS5_jNS1_19radix_merge_compareILb0ELb0EyNS0_19identity_decomposerEEEEE10hipError_tT0_T1_T2_jT3_P12ihipStream_tbPNSt15iterator_traitsISK_E10value_typeEPNSQ_ISL_E10value_typeEPSM_NS1_7vsmem_tEENKUlT_SK_SL_SM_E_clIPySE_SF_SF_EESJ_SZ_SK_SL_SM_EUlSZ_E_NS1_11comp_targetILNS1_3genE8ELNS1_11target_archE1030ELNS1_3gpuE2ELNS1_3repE0EEENS1_48merge_mergepath_partition_config_static_selectorELNS0_4arch9wavefront6targetE1EEEvSL_,comdat
	.protected	_ZN7rocprim17ROCPRIM_400000_NS6detail17trampoline_kernelINS0_14default_configENS1_38merge_sort_block_merge_config_selectorIyNS0_10empty_typeEEEZZNS1_27merge_sort_block_merge_implIS3_N6thrust23THRUST_200600_302600_NS6detail15normal_iteratorINS9_10device_ptrIyEEEEPS5_jNS1_19radix_merge_compareILb0ELb0EyNS0_19identity_decomposerEEEEE10hipError_tT0_T1_T2_jT3_P12ihipStream_tbPNSt15iterator_traitsISK_E10value_typeEPNSQ_ISL_E10value_typeEPSM_NS1_7vsmem_tEENKUlT_SK_SL_SM_E_clIPySE_SF_SF_EESJ_SZ_SK_SL_SM_EUlSZ_E_NS1_11comp_targetILNS1_3genE8ELNS1_11target_archE1030ELNS1_3gpuE2ELNS1_3repE0EEENS1_48merge_mergepath_partition_config_static_selectorELNS0_4arch9wavefront6targetE1EEEvSL_ ; -- Begin function _ZN7rocprim17ROCPRIM_400000_NS6detail17trampoline_kernelINS0_14default_configENS1_38merge_sort_block_merge_config_selectorIyNS0_10empty_typeEEEZZNS1_27merge_sort_block_merge_implIS3_N6thrust23THRUST_200600_302600_NS6detail15normal_iteratorINS9_10device_ptrIyEEEEPS5_jNS1_19radix_merge_compareILb0ELb0EyNS0_19identity_decomposerEEEEE10hipError_tT0_T1_T2_jT3_P12ihipStream_tbPNSt15iterator_traitsISK_E10value_typeEPNSQ_ISL_E10value_typeEPSM_NS1_7vsmem_tEENKUlT_SK_SL_SM_E_clIPySE_SF_SF_EESJ_SZ_SK_SL_SM_EUlSZ_E_NS1_11comp_targetILNS1_3genE8ELNS1_11target_archE1030ELNS1_3gpuE2ELNS1_3repE0EEENS1_48merge_mergepath_partition_config_static_selectorELNS0_4arch9wavefront6targetE1EEEvSL_
	.globl	_ZN7rocprim17ROCPRIM_400000_NS6detail17trampoline_kernelINS0_14default_configENS1_38merge_sort_block_merge_config_selectorIyNS0_10empty_typeEEEZZNS1_27merge_sort_block_merge_implIS3_N6thrust23THRUST_200600_302600_NS6detail15normal_iteratorINS9_10device_ptrIyEEEEPS5_jNS1_19radix_merge_compareILb0ELb0EyNS0_19identity_decomposerEEEEE10hipError_tT0_T1_T2_jT3_P12ihipStream_tbPNSt15iterator_traitsISK_E10value_typeEPNSQ_ISL_E10value_typeEPSM_NS1_7vsmem_tEENKUlT_SK_SL_SM_E_clIPySE_SF_SF_EESJ_SZ_SK_SL_SM_EUlSZ_E_NS1_11comp_targetILNS1_3genE8ELNS1_11target_archE1030ELNS1_3gpuE2ELNS1_3repE0EEENS1_48merge_mergepath_partition_config_static_selectorELNS0_4arch9wavefront6targetE1EEEvSL_
	.p2align	8
	.type	_ZN7rocprim17ROCPRIM_400000_NS6detail17trampoline_kernelINS0_14default_configENS1_38merge_sort_block_merge_config_selectorIyNS0_10empty_typeEEEZZNS1_27merge_sort_block_merge_implIS3_N6thrust23THRUST_200600_302600_NS6detail15normal_iteratorINS9_10device_ptrIyEEEEPS5_jNS1_19radix_merge_compareILb0ELb0EyNS0_19identity_decomposerEEEEE10hipError_tT0_T1_T2_jT3_P12ihipStream_tbPNSt15iterator_traitsISK_E10value_typeEPNSQ_ISL_E10value_typeEPSM_NS1_7vsmem_tEENKUlT_SK_SL_SM_E_clIPySE_SF_SF_EESJ_SZ_SK_SL_SM_EUlSZ_E_NS1_11comp_targetILNS1_3genE8ELNS1_11target_archE1030ELNS1_3gpuE2ELNS1_3repE0EEENS1_48merge_mergepath_partition_config_static_selectorELNS0_4arch9wavefront6targetE1EEEvSL_,@function
_ZN7rocprim17ROCPRIM_400000_NS6detail17trampoline_kernelINS0_14default_configENS1_38merge_sort_block_merge_config_selectorIyNS0_10empty_typeEEEZZNS1_27merge_sort_block_merge_implIS3_N6thrust23THRUST_200600_302600_NS6detail15normal_iteratorINS9_10device_ptrIyEEEEPS5_jNS1_19radix_merge_compareILb0ELb0EyNS0_19identity_decomposerEEEEE10hipError_tT0_T1_T2_jT3_P12ihipStream_tbPNSt15iterator_traitsISK_E10value_typeEPNSQ_ISL_E10value_typeEPSM_NS1_7vsmem_tEENKUlT_SK_SL_SM_E_clIPySE_SF_SF_EESJ_SZ_SK_SL_SM_EUlSZ_E_NS1_11comp_targetILNS1_3genE8ELNS1_11target_archE1030ELNS1_3gpuE2ELNS1_3repE0EEENS1_48merge_mergepath_partition_config_static_selectorELNS0_4arch9wavefront6targetE1EEEvSL_: ; @_ZN7rocprim17ROCPRIM_400000_NS6detail17trampoline_kernelINS0_14default_configENS1_38merge_sort_block_merge_config_selectorIyNS0_10empty_typeEEEZZNS1_27merge_sort_block_merge_implIS3_N6thrust23THRUST_200600_302600_NS6detail15normal_iteratorINS9_10device_ptrIyEEEEPS5_jNS1_19radix_merge_compareILb0ELb0EyNS0_19identity_decomposerEEEEE10hipError_tT0_T1_T2_jT3_P12ihipStream_tbPNSt15iterator_traitsISK_E10value_typeEPNSQ_ISL_E10value_typeEPSM_NS1_7vsmem_tEENKUlT_SK_SL_SM_E_clIPySE_SF_SF_EESJ_SZ_SK_SL_SM_EUlSZ_E_NS1_11comp_targetILNS1_3genE8ELNS1_11target_archE1030ELNS1_3gpuE2ELNS1_3repE0EEENS1_48merge_mergepath_partition_config_static_selectorELNS0_4arch9wavefront6targetE1EEEvSL_
; %bb.0:
	.section	.rodata,"a",@progbits
	.p2align	6, 0x0
	.amdhsa_kernel _ZN7rocprim17ROCPRIM_400000_NS6detail17trampoline_kernelINS0_14default_configENS1_38merge_sort_block_merge_config_selectorIyNS0_10empty_typeEEEZZNS1_27merge_sort_block_merge_implIS3_N6thrust23THRUST_200600_302600_NS6detail15normal_iteratorINS9_10device_ptrIyEEEEPS5_jNS1_19radix_merge_compareILb0ELb0EyNS0_19identity_decomposerEEEEE10hipError_tT0_T1_T2_jT3_P12ihipStream_tbPNSt15iterator_traitsISK_E10value_typeEPNSQ_ISL_E10value_typeEPSM_NS1_7vsmem_tEENKUlT_SK_SL_SM_E_clIPySE_SF_SF_EESJ_SZ_SK_SL_SM_EUlSZ_E_NS1_11comp_targetILNS1_3genE8ELNS1_11target_archE1030ELNS1_3gpuE2ELNS1_3repE0EEENS1_48merge_mergepath_partition_config_static_selectorELNS0_4arch9wavefront6targetE1EEEvSL_
		.amdhsa_group_segment_fixed_size 0
		.amdhsa_private_segment_fixed_size 0
		.amdhsa_kernarg_size 40
		.amdhsa_user_sgpr_count 2
		.amdhsa_user_sgpr_dispatch_ptr 0
		.amdhsa_user_sgpr_queue_ptr 0
		.amdhsa_user_sgpr_kernarg_segment_ptr 1
		.amdhsa_user_sgpr_dispatch_id 0
		.amdhsa_user_sgpr_kernarg_preload_length 0
		.amdhsa_user_sgpr_kernarg_preload_offset 0
		.amdhsa_user_sgpr_private_segment_size 0
		.amdhsa_uses_dynamic_stack 0
		.amdhsa_enable_private_segment 0
		.amdhsa_system_sgpr_workgroup_id_x 1
		.amdhsa_system_sgpr_workgroup_id_y 0
		.amdhsa_system_sgpr_workgroup_id_z 0
		.amdhsa_system_sgpr_workgroup_info 0
		.amdhsa_system_vgpr_workitem_id 0
		.amdhsa_next_free_vgpr 1
		.amdhsa_next_free_sgpr 0
		.amdhsa_accum_offset 4
		.amdhsa_reserve_vcc 0
		.amdhsa_float_round_mode_32 0
		.amdhsa_float_round_mode_16_64 0
		.amdhsa_float_denorm_mode_32 3
		.amdhsa_float_denorm_mode_16_64 3
		.amdhsa_dx10_clamp 1
		.amdhsa_ieee_mode 1
		.amdhsa_fp16_overflow 0
		.amdhsa_tg_split 0
		.amdhsa_exception_fp_ieee_invalid_op 0
		.amdhsa_exception_fp_denorm_src 0
		.amdhsa_exception_fp_ieee_div_zero 0
		.amdhsa_exception_fp_ieee_overflow 0
		.amdhsa_exception_fp_ieee_underflow 0
		.amdhsa_exception_fp_ieee_inexact 0
		.amdhsa_exception_int_div_zero 0
	.end_amdhsa_kernel
	.section	.text._ZN7rocprim17ROCPRIM_400000_NS6detail17trampoline_kernelINS0_14default_configENS1_38merge_sort_block_merge_config_selectorIyNS0_10empty_typeEEEZZNS1_27merge_sort_block_merge_implIS3_N6thrust23THRUST_200600_302600_NS6detail15normal_iteratorINS9_10device_ptrIyEEEEPS5_jNS1_19radix_merge_compareILb0ELb0EyNS0_19identity_decomposerEEEEE10hipError_tT0_T1_T2_jT3_P12ihipStream_tbPNSt15iterator_traitsISK_E10value_typeEPNSQ_ISL_E10value_typeEPSM_NS1_7vsmem_tEENKUlT_SK_SL_SM_E_clIPySE_SF_SF_EESJ_SZ_SK_SL_SM_EUlSZ_E_NS1_11comp_targetILNS1_3genE8ELNS1_11target_archE1030ELNS1_3gpuE2ELNS1_3repE0EEENS1_48merge_mergepath_partition_config_static_selectorELNS0_4arch9wavefront6targetE1EEEvSL_,"axG",@progbits,_ZN7rocprim17ROCPRIM_400000_NS6detail17trampoline_kernelINS0_14default_configENS1_38merge_sort_block_merge_config_selectorIyNS0_10empty_typeEEEZZNS1_27merge_sort_block_merge_implIS3_N6thrust23THRUST_200600_302600_NS6detail15normal_iteratorINS9_10device_ptrIyEEEEPS5_jNS1_19radix_merge_compareILb0ELb0EyNS0_19identity_decomposerEEEEE10hipError_tT0_T1_T2_jT3_P12ihipStream_tbPNSt15iterator_traitsISK_E10value_typeEPNSQ_ISL_E10value_typeEPSM_NS1_7vsmem_tEENKUlT_SK_SL_SM_E_clIPySE_SF_SF_EESJ_SZ_SK_SL_SM_EUlSZ_E_NS1_11comp_targetILNS1_3genE8ELNS1_11target_archE1030ELNS1_3gpuE2ELNS1_3repE0EEENS1_48merge_mergepath_partition_config_static_selectorELNS0_4arch9wavefront6targetE1EEEvSL_,comdat
.Lfunc_end731:
	.size	_ZN7rocprim17ROCPRIM_400000_NS6detail17trampoline_kernelINS0_14default_configENS1_38merge_sort_block_merge_config_selectorIyNS0_10empty_typeEEEZZNS1_27merge_sort_block_merge_implIS3_N6thrust23THRUST_200600_302600_NS6detail15normal_iteratorINS9_10device_ptrIyEEEEPS5_jNS1_19radix_merge_compareILb0ELb0EyNS0_19identity_decomposerEEEEE10hipError_tT0_T1_T2_jT3_P12ihipStream_tbPNSt15iterator_traitsISK_E10value_typeEPNSQ_ISL_E10value_typeEPSM_NS1_7vsmem_tEENKUlT_SK_SL_SM_E_clIPySE_SF_SF_EESJ_SZ_SK_SL_SM_EUlSZ_E_NS1_11comp_targetILNS1_3genE8ELNS1_11target_archE1030ELNS1_3gpuE2ELNS1_3repE0EEENS1_48merge_mergepath_partition_config_static_selectorELNS0_4arch9wavefront6targetE1EEEvSL_, .Lfunc_end731-_ZN7rocprim17ROCPRIM_400000_NS6detail17trampoline_kernelINS0_14default_configENS1_38merge_sort_block_merge_config_selectorIyNS0_10empty_typeEEEZZNS1_27merge_sort_block_merge_implIS3_N6thrust23THRUST_200600_302600_NS6detail15normal_iteratorINS9_10device_ptrIyEEEEPS5_jNS1_19radix_merge_compareILb0ELb0EyNS0_19identity_decomposerEEEEE10hipError_tT0_T1_T2_jT3_P12ihipStream_tbPNSt15iterator_traitsISK_E10value_typeEPNSQ_ISL_E10value_typeEPSM_NS1_7vsmem_tEENKUlT_SK_SL_SM_E_clIPySE_SF_SF_EESJ_SZ_SK_SL_SM_EUlSZ_E_NS1_11comp_targetILNS1_3genE8ELNS1_11target_archE1030ELNS1_3gpuE2ELNS1_3repE0EEENS1_48merge_mergepath_partition_config_static_selectorELNS0_4arch9wavefront6targetE1EEEvSL_
                                        ; -- End function
	.section	.AMDGPU.csdata,"",@progbits
; Kernel info:
; codeLenInByte = 0
; NumSgprs: 6
; NumVgprs: 0
; NumAgprs: 0
; TotalNumVgprs: 0
; ScratchSize: 0
; MemoryBound: 0
; FloatMode: 240
; IeeeMode: 1
; LDSByteSize: 0 bytes/workgroup (compile time only)
; SGPRBlocks: 0
; VGPRBlocks: 0
; NumSGPRsForWavesPerEU: 6
; NumVGPRsForWavesPerEU: 1
; AccumOffset: 4
; Occupancy: 8
; WaveLimiterHint : 0
; COMPUTE_PGM_RSRC2:SCRATCH_EN: 0
; COMPUTE_PGM_RSRC2:USER_SGPR: 2
; COMPUTE_PGM_RSRC2:TRAP_HANDLER: 0
; COMPUTE_PGM_RSRC2:TGID_X_EN: 1
; COMPUTE_PGM_RSRC2:TGID_Y_EN: 0
; COMPUTE_PGM_RSRC2:TGID_Z_EN: 0
; COMPUTE_PGM_RSRC2:TIDIG_COMP_CNT: 0
; COMPUTE_PGM_RSRC3_GFX90A:ACCUM_OFFSET: 0
; COMPUTE_PGM_RSRC3_GFX90A:TG_SPLIT: 0
	.section	.text._ZN7rocprim17ROCPRIM_400000_NS6detail17trampoline_kernelINS0_14default_configENS1_38merge_sort_block_merge_config_selectorIyNS0_10empty_typeEEEZZNS1_27merge_sort_block_merge_implIS3_N6thrust23THRUST_200600_302600_NS6detail15normal_iteratorINS9_10device_ptrIyEEEEPS5_jNS1_19radix_merge_compareILb0ELb0EyNS0_19identity_decomposerEEEEE10hipError_tT0_T1_T2_jT3_P12ihipStream_tbPNSt15iterator_traitsISK_E10value_typeEPNSQ_ISL_E10value_typeEPSM_NS1_7vsmem_tEENKUlT_SK_SL_SM_E_clIPySE_SF_SF_EESJ_SZ_SK_SL_SM_EUlSZ_E0_NS1_11comp_targetILNS1_3genE0ELNS1_11target_archE4294967295ELNS1_3gpuE0ELNS1_3repE0EEENS1_38merge_mergepath_config_static_selectorELNS0_4arch9wavefront6targetE1EEEvSL_,"axG",@progbits,_ZN7rocprim17ROCPRIM_400000_NS6detail17trampoline_kernelINS0_14default_configENS1_38merge_sort_block_merge_config_selectorIyNS0_10empty_typeEEEZZNS1_27merge_sort_block_merge_implIS3_N6thrust23THRUST_200600_302600_NS6detail15normal_iteratorINS9_10device_ptrIyEEEEPS5_jNS1_19radix_merge_compareILb0ELb0EyNS0_19identity_decomposerEEEEE10hipError_tT0_T1_T2_jT3_P12ihipStream_tbPNSt15iterator_traitsISK_E10value_typeEPNSQ_ISL_E10value_typeEPSM_NS1_7vsmem_tEENKUlT_SK_SL_SM_E_clIPySE_SF_SF_EESJ_SZ_SK_SL_SM_EUlSZ_E0_NS1_11comp_targetILNS1_3genE0ELNS1_11target_archE4294967295ELNS1_3gpuE0ELNS1_3repE0EEENS1_38merge_mergepath_config_static_selectorELNS0_4arch9wavefront6targetE1EEEvSL_,comdat
	.protected	_ZN7rocprim17ROCPRIM_400000_NS6detail17trampoline_kernelINS0_14default_configENS1_38merge_sort_block_merge_config_selectorIyNS0_10empty_typeEEEZZNS1_27merge_sort_block_merge_implIS3_N6thrust23THRUST_200600_302600_NS6detail15normal_iteratorINS9_10device_ptrIyEEEEPS5_jNS1_19radix_merge_compareILb0ELb0EyNS0_19identity_decomposerEEEEE10hipError_tT0_T1_T2_jT3_P12ihipStream_tbPNSt15iterator_traitsISK_E10value_typeEPNSQ_ISL_E10value_typeEPSM_NS1_7vsmem_tEENKUlT_SK_SL_SM_E_clIPySE_SF_SF_EESJ_SZ_SK_SL_SM_EUlSZ_E0_NS1_11comp_targetILNS1_3genE0ELNS1_11target_archE4294967295ELNS1_3gpuE0ELNS1_3repE0EEENS1_38merge_mergepath_config_static_selectorELNS0_4arch9wavefront6targetE1EEEvSL_ ; -- Begin function _ZN7rocprim17ROCPRIM_400000_NS6detail17trampoline_kernelINS0_14default_configENS1_38merge_sort_block_merge_config_selectorIyNS0_10empty_typeEEEZZNS1_27merge_sort_block_merge_implIS3_N6thrust23THRUST_200600_302600_NS6detail15normal_iteratorINS9_10device_ptrIyEEEEPS5_jNS1_19radix_merge_compareILb0ELb0EyNS0_19identity_decomposerEEEEE10hipError_tT0_T1_T2_jT3_P12ihipStream_tbPNSt15iterator_traitsISK_E10value_typeEPNSQ_ISL_E10value_typeEPSM_NS1_7vsmem_tEENKUlT_SK_SL_SM_E_clIPySE_SF_SF_EESJ_SZ_SK_SL_SM_EUlSZ_E0_NS1_11comp_targetILNS1_3genE0ELNS1_11target_archE4294967295ELNS1_3gpuE0ELNS1_3repE0EEENS1_38merge_mergepath_config_static_selectorELNS0_4arch9wavefront6targetE1EEEvSL_
	.globl	_ZN7rocprim17ROCPRIM_400000_NS6detail17trampoline_kernelINS0_14default_configENS1_38merge_sort_block_merge_config_selectorIyNS0_10empty_typeEEEZZNS1_27merge_sort_block_merge_implIS3_N6thrust23THRUST_200600_302600_NS6detail15normal_iteratorINS9_10device_ptrIyEEEEPS5_jNS1_19radix_merge_compareILb0ELb0EyNS0_19identity_decomposerEEEEE10hipError_tT0_T1_T2_jT3_P12ihipStream_tbPNSt15iterator_traitsISK_E10value_typeEPNSQ_ISL_E10value_typeEPSM_NS1_7vsmem_tEENKUlT_SK_SL_SM_E_clIPySE_SF_SF_EESJ_SZ_SK_SL_SM_EUlSZ_E0_NS1_11comp_targetILNS1_3genE0ELNS1_11target_archE4294967295ELNS1_3gpuE0ELNS1_3repE0EEENS1_38merge_mergepath_config_static_selectorELNS0_4arch9wavefront6targetE1EEEvSL_
	.p2align	8
	.type	_ZN7rocprim17ROCPRIM_400000_NS6detail17trampoline_kernelINS0_14default_configENS1_38merge_sort_block_merge_config_selectorIyNS0_10empty_typeEEEZZNS1_27merge_sort_block_merge_implIS3_N6thrust23THRUST_200600_302600_NS6detail15normal_iteratorINS9_10device_ptrIyEEEEPS5_jNS1_19radix_merge_compareILb0ELb0EyNS0_19identity_decomposerEEEEE10hipError_tT0_T1_T2_jT3_P12ihipStream_tbPNSt15iterator_traitsISK_E10value_typeEPNSQ_ISL_E10value_typeEPSM_NS1_7vsmem_tEENKUlT_SK_SL_SM_E_clIPySE_SF_SF_EESJ_SZ_SK_SL_SM_EUlSZ_E0_NS1_11comp_targetILNS1_3genE0ELNS1_11target_archE4294967295ELNS1_3gpuE0ELNS1_3repE0EEENS1_38merge_mergepath_config_static_selectorELNS0_4arch9wavefront6targetE1EEEvSL_,@function
_ZN7rocprim17ROCPRIM_400000_NS6detail17trampoline_kernelINS0_14default_configENS1_38merge_sort_block_merge_config_selectorIyNS0_10empty_typeEEEZZNS1_27merge_sort_block_merge_implIS3_N6thrust23THRUST_200600_302600_NS6detail15normal_iteratorINS9_10device_ptrIyEEEEPS5_jNS1_19radix_merge_compareILb0ELb0EyNS0_19identity_decomposerEEEEE10hipError_tT0_T1_T2_jT3_P12ihipStream_tbPNSt15iterator_traitsISK_E10value_typeEPNSQ_ISL_E10value_typeEPSM_NS1_7vsmem_tEENKUlT_SK_SL_SM_E_clIPySE_SF_SF_EESJ_SZ_SK_SL_SM_EUlSZ_E0_NS1_11comp_targetILNS1_3genE0ELNS1_11target_archE4294967295ELNS1_3gpuE0ELNS1_3repE0EEENS1_38merge_mergepath_config_static_selectorELNS0_4arch9wavefront6targetE1EEEvSL_: ; @_ZN7rocprim17ROCPRIM_400000_NS6detail17trampoline_kernelINS0_14default_configENS1_38merge_sort_block_merge_config_selectorIyNS0_10empty_typeEEEZZNS1_27merge_sort_block_merge_implIS3_N6thrust23THRUST_200600_302600_NS6detail15normal_iteratorINS9_10device_ptrIyEEEEPS5_jNS1_19radix_merge_compareILb0ELb0EyNS0_19identity_decomposerEEEEE10hipError_tT0_T1_T2_jT3_P12ihipStream_tbPNSt15iterator_traitsISK_E10value_typeEPNSQ_ISL_E10value_typeEPSM_NS1_7vsmem_tEENKUlT_SK_SL_SM_E_clIPySE_SF_SF_EESJ_SZ_SK_SL_SM_EUlSZ_E0_NS1_11comp_targetILNS1_3genE0ELNS1_11target_archE4294967295ELNS1_3gpuE0ELNS1_3repE0EEENS1_38merge_mergepath_config_static_selectorELNS0_4arch9wavefront6targetE1EEEvSL_
; %bb.0:
	.section	.rodata,"a",@progbits
	.p2align	6, 0x0
	.amdhsa_kernel _ZN7rocprim17ROCPRIM_400000_NS6detail17trampoline_kernelINS0_14default_configENS1_38merge_sort_block_merge_config_selectorIyNS0_10empty_typeEEEZZNS1_27merge_sort_block_merge_implIS3_N6thrust23THRUST_200600_302600_NS6detail15normal_iteratorINS9_10device_ptrIyEEEEPS5_jNS1_19radix_merge_compareILb0ELb0EyNS0_19identity_decomposerEEEEE10hipError_tT0_T1_T2_jT3_P12ihipStream_tbPNSt15iterator_traitsISK_E10value_typeEPNSQ_ISL_E10value_typeEPSM_NS1_7vsmem_tEENKUlT_SK_SL_SM_E_clIPySE_SF_SF_EESJ_SZ_SK_SL_SM_EUlSZ_E0_NS1_11comp_targetILNS1_3genE0ELNS1_11target_archE4294967295ELNS1_3gpuE0ELNS1_3repE0EEENS1_38merge_mergepath_config_static_selectorELNS0_4arch9wavefront6targetE1EEEvSL_
		.amdhsa_group_segment_fixed_size 0
		.amdhsa_private_segment_fixed_size 0
		.amdhsa_kernarg_size 64
		.amdhsa_user_sgpr_count 2
		.amdhsa_user_sgpr_dispatch_ptr 0
		.amdhsa_user_sgpr_queue_ptr 0
		.amdhsa_user_sgpr_kernarg_segment_ptr 1
		.amdhsa_user_sgpr_dispatch_id 0
		.amdhsa_user_sgpr_kernarg_preload_length 0
		.amdhsa_user_sgpr_kernarg_preload_offset 0
		.amdhsa_user_sgpr_private_segment_size 0
		.amdhsa_uses_dynamic_stack 0
		.amdhsa_enable_private_segment 0
		.amdhsa_system_sgpr_workgroup_id_x 1
		.amdhsa_system_sgpr_workgroup_id_y 0
		.amdhsa_system_sgpr_workgroup_id_z 0
		.amdhsa_system_sgpr_workgroup_info 0
		.amdhsa_system_vgpr_workitem_id 0
		.amdhsa_next_free_vgpr 1
		.amdhsa_next_free_sgpr 0
		.amdhsa_accum_offset 4
		.amdhsa_reserve_vcc 0
		.amdhsa_float_round_mode_32 0
		.amdhsa_float_round_mode_16_64 0
		.amdhsa_float_denorm_mode_32 3
		.amdhsa_float_denorm_mode_16_64 3
		.amdhsa_dx10_clamp 1
		.amdhsa_ieee_mode 1
		.amdhsa_fp16_overflow 0
		.amdhsa_tg_split 0
		.amdhsa_exception_fp_ieee_invalid_op 0
		.amdhsa_exception_fp_denorm_src 0
		.amdhsa_exception_fp_ieee_div_zero 0
		.amdhsa_exception_fp_ieee_overflow 0
		.amdhsa_exception_fp_ieee_underflow 0
		.amdhsa_exception_fp_ieee_inexact 0
		.amdhsa_exception_int_div_zero 0
	.end_amdhsa_kernel
	.section	.text._ZN7rocprim17ROCPRIM_400000_NS6detail17trampoline_kernelINS0_14default_configENS1_38merge_sort_block_merge_config_selectorIyNS0_10empty_typeEEEZZNS1_27merge_sort_block_merge_implIS3_N6thrust23THRUST_200600_302600_NS6detail15normal_iteratorINS9_10device_ptrIyEEEEPS5_jNS1_19radix_merge_compareILb0ELb0EyNS0_19identity_decomposerEEEEE10hipError_tT0_T1_T2_jT3_P12ihipStream_tbPNSt15iterator_traitsISK_E10value_typeEPNSQ_ISL_E10value_typeEPSM_NS1_7vsmem_tEENKUlT_SK_SL_SM_E_clIPySE_SF_SF_EESJ_SZ_SK_SL_SM_EUlSZ_E0_NS1_11comp_targetILNS1_3genE0ELNS1_11target_archE4294967295ELNS1_3gpuE0ELNS1_3repE0EEENS1_38merge_mergepath_config_static_selectorELNS0_4arch9wavefront6targetE1EEEvSL_,"axG",@progbits,_ZN7rocprim17ROCPRIM_400000_NS6detail17trampoline_kernelINS0_14default_configENS1_38merge_sort_block_merge_config_selectorIyNS0_10empty_typeEEEZZNS1_27merge_sort_block_merge_implIS3_N6thrust23THRUST_200600_302600_NS6detail15normal_iteratorINS9_10device_ptrIyEEEEPS5_jNS1_19radix_merge_compareILb0ELb0EyNS0_19identity_decomposerEEEEE10hipError_tT0_T1_T2_jT3_P12ihipStream_tbPNSt15iterator_traitsISK_E10value_typeEPNSQ_ISL_E10value_typeEPSM_NS1_7vsmem_tEENKUlT_SK_SL_SM_E_clIPySE_SF_SF_EESJ_SZ_SK_SL_SM_EUlSZ_E0_NS1_11comp_targetILNS1_3genE0ELNS1_11target_archE4294967295ELNS1_3gpuE0ELNS1_3repE0EEENS1_38merge_mergepath_config_static_selectorELNS0_4arch9wavefront6targetE1EEEvSL_,comdat
.Lfunc_end732:
	.size	_ZN7rocprim17ROCPRIM_400000_NS6detail17trampoline_kernelINS0_14default_configENS1_38merge_sort_block_merge_config_selectorIyNS0_10empty_typeEEEZZNS1_27merge_sort_block_merge_implIS3_N6thrust23THRUST_200600_302600_NS6detail15normal_iteratorINS9_10device_ptrIyEEEEPS5_jNS1_19radix_merge_compareILb0ELb0EyNS0_19identity_decomposerEEEEE10hipError_tT0_T1_T2_jT3_P12ihipStream_tbPNSt15iterator_traitsISK_E10value_typeEPNSQ_ISL_E10value_typeEPSM_NS1_7vsmem_tEENKUlT_SK_SL_SM_E_clIPySE_SF_SF_EESJ_SZ_SK_SL_SM_EUlSZ_E0_NS1_11comp_targetILNS1_3genE0ELNS1_11target_archE4294967295ELNS1_3gpuE0ELNS1_3repE0EEENS1_38merge_mergepath_config_static_selectorELNS0_4arch9wavefront6targetE1EEEvSL_, .Lfunc_end732-_ZN7rocprim17ROCPRIM_400000_NS6detail17trampoline_kernelINS0_14default_configENS1_38merge_sort_block_merge_config_selectorIyNS0_10empty_typeEEEZZNS1_27merge_sort_block_merge_implIS3_N6thrust23THRUST_200600_302600_NS6detail15normal_iteratorINS9_10device_ptrIyEEEEPS5_jNS1_19radix_merge_compareILb0ELb0EyNS0_19identity_decomposerEEEEE10hipError_tT0_T1_T2_jT3_P12ihipStream_tbPNSt15iterator_traitsISK_E10value_typeEPNSQ_ISL_E10value_typeEPSM_NS1_7vsmem_tEENKUlT_SK_SL_SM_E_clIPySE_SF_SF_EESJ_SZ_SK_SL_SM_EUlSZ_E0_NS1_11comp_targetILNS1_3genE0ELNS1_11target_archE4294967295ELNS1_3gpuE0ELNS1_3repE0EEENS1_38merge_mergepath_config_static_selectorELNS0_4arch9wavefront6targetE1EEEvSL_
                                        ; -- End function
	.section	.AMDGPU.csdata,"",@progbits
; Kernel info:
; codeLenInByte = 0
; NumSgprs: 6
; NumVgprs: 0
; NumAgprs: 0
; TotalNumVgprs: 0
; ScratchSize: 0
; MemoryBound: 0
; FloatMode: 240
; IeeeMode: 1
; LDSByteSize: 0 bytes/workgroup (compile time only)
; SGPRBlocks: 0
; VGPRBlocks: 0
; NumSGPRsForWavesPerEU: 6
; NumVGPRsForWavesPerEU: 1
; AccumOffset: 4
; Occupancy: 8
; WaveLimiterHint : 0
; COMPUTE_PGM_RSRC2:SCRATCH_EN: 0
; COMPUTE_PGM_RSRC2:USER_SGPR: 2
; COMPUTE_PGM_RSRC2:TRAP_HANDLER: 0
; COMPUTE_PGM_RSRC2:TGID_X_EN: 1
; COMPUTE_PGM_RSRC2:TGID_Y_EN: 0
; COMPUTE_PGM_RSRC2:TGID_Z_EN: 0
; COMPUTE_PGM_RSRC2:TIDIG_COMP_CNT: 0
; COMPUTE_PGM_RSRC3_GFX90A:ACCUM_OFFSET: 0
; COMPUTE_PGM_RSRC3_GFX90A:TG_SPLIT: 0
	.section	.text._ZN7rocprim17ROCPRIM_400000_NS6detail17trampoline_kernelINS0_14default_configENS1_38merge_sort_block_merge_config_selectorIyNS0_10empty_typeEEEZZNS1_27merge_sort_block_merge_implIS3_N6thrust23THRUST_200600_302600_NS6detail15normal_iteratorINS9_10device_ptrIyEEEEPS5_jNS1_19radix_merge_compareILb0ELb0EyNS0_19identity_decomposerEEEEE10hipError_tT0_T1_T2_jT3_P12ihipStream_tbPNSt15iterator_traitsISK_E10value_typeEPNSQ_ISL_E10value_typeEPSM_NS1_7vsmem_tEENKUlT_SK_SL_SM_E_clIPySE_SF_SF_EESJ_SZ_SK_SL_SM_EUlSZ_E0_NS1_11comp_targetILNS1_3genE10ELNS1_11target_archE1201ELNS1_3gpuE5ELNS1_3repE0EEENS1_38merge_mergepath_config_static_selectorELNS0_4arch9wavefront6targetE1EEEvSL_,"axG",@progbits,_ZN7rocprim17ROCPRIM_400000_NS6detail17trampoline_kernelINS0_14default_configENS1_38merge_sort_block_merge_config_selectorIyNS0_10empty_typeEEEZZNS1_27merge_sort_block_merge_implIS3_N6thrust23THRUST_200600_302600_NS6detail15normal_iteratorINS9_10device_ptrIyEEEEPS5_jNS1_19radix_merge_compareILb0ELb0EyNS0_19identity_decomposerEEEEE10hipError_tT0_T1_T2_jT3_P12ihipStream_tbPNSt15iterator_traitsISK_E10value_typeEPNSQ_ISL_E10value_typeEPSM_NS1_7vsmem_tEENKUlT_SK_SL_SM_E_clIPySE_SF_SF_EESJ_SZ_SK_SL_SM_EUlSZ_E0_NS1_11comp_targetILNS1_3genE10ELNS1_11target_archE1201ELNS1_3gpuE5ELNS1_3repE0EEENS1_38merge_mergepath_config_static_selectorELNS0_4arch9wavefront6targetE1EEEvSL_,comdat
	.protected	_ZN7rocprim17ROCPRIM_400000_NS6detail17trampoline_kernelINS0_14default_configENS1_38merge_sort_block_merge_config_selectorIyNS0_10empty_typeEEEZZNS1_27merge_sort_block_merge_implIS3_N6thrust23THRUST_200600_302600_NS6detail15normal_iteratorINS9_10device_ptrIyEEEEPS5_jNS1_19radix_merge_compareILb0ELb0EyNS0_19identity_decomposerEEEEE10hipError_tT0_T1_T2_jT3_P12ihipStream_tbPNSt15iterator_traitsISK_E10value_typeEPNSQ_ISL_E10value_typeEPSM_NS1_7vsmem_tEENKUlT_SK_SL_SM_E_clIPySE_SF_SF_EESJ_SZ_SK_SL_SM_EUlSZ_E0_NS1_11comp_targetILNS1_3genE10ELNS1_11target_archE1201ELNS1_3gpuE5ELNS1_3repE0EEENS1_38merge_mergepath_config_static_selectorELNS0_4arch9wavefront6targetE1EEEvSL_ ; -- Begin function _ZN7rocprim17ROCPRIM_400000_NS6detail17trampoline_kernelINS0_14default_configENS1_38merge_sort_block_merge_config_selectorIyNS0_10empty_typeEEEZZNS1_27merge_sort_block_merge_implIS3_N6thrust23THRUST_200600_302600_NS6detail15normal_iteratorINS9_10device_ptrIyEEEEPS5_jNS1_19radix_merge_compareILb0ELb0EyNS0_19identity_decomposerEEEEE10hipError_tT0_T1_T2_jT3_P12ihipStream_tbPNSt15iterator_traitsISK_E10value_typeEPNSQ_ISL_E10value_typeEPSM_NS1_7vsmem_tEENKUlT_SK_SL_SM_E_clIPySE_SF_SF_EESJ_SZ_SK_SL_SM_EUlSZ_E0_NS1_11comp_targetILNS1_3genE10ELNS1_11target_archE1201ELNS1_3gpuE5ELNS1_3repE0EEENS1_38merge_mergepath_config_static_selectorELNS0_4arch9wavefront6targetE1EEEvSL_
	.globl	_ZN7rocprim17ROCPRIM_400000_NS6detail17trampoline_kernelINS0_14default_configENS1_38merge_sort_block_merge_config_selectorIyNS0_10empty_typeEEEZZNS1_27merge_sort_block_merge_implIS3_N6thrust23THRUST_200600_302600_NS6detail15normal_iteratorINS9_10device_ptrIyEEEEPS5_jNS1_19radix_merge_compareILb0ELb0EyNS0_19identity_decomposerEEEEE10hipError_tT0_T1_T2_jT3_P12ihipStream_tbPNSt15iterator_traitsISK_E10value_typeEPNSQ_ISL_E10value_typeEPSM_NS1_7vsmem_tEENKUlT_SK_SL_SM_E_clIPySE_SF_SF_EESJ_SZ_SK_SL_SM_EUlSZ_E0_NS1_11comp_targetILNS1_3genE10ELNS1_11target_archE1201ELNS1_3gpuE5ELNS1_3repE0EEENS1_38merge_mergepath_config_static_selectorELNS0_4arch9wavefront6targetE1EEEvSL_
	.p2align	8
	.type	_ZN7rocprim17ROCPRIM_400000_NS6detail17trampoline_kernelINS0_14default_configENS1_38merge_sort_block_merge_config_selectorIyNS0_10empty_typeEEEZZNS1_27merge_sort_block_merge_implIS3_N6thrust23THRUST_200600_302600_NS6detail15normal_iteratorINS9_10device_ptrIyEEEEPS5_jNS1_19radix_merge_compareILb0ELb0EyNS0_19identity_decomposerEEEEE10hipError_tT0_T1_T2_jT3_P12ihipStream_tbPNSt15iterator_traitsISK_E10value_typeEPNSQ_ISL_E10value_typeEPSM_NS1_7vsmem_tEENKUlT_SK_SL_SM_E_clIPySE_SF_SF_EESJ_SZ_SK_SL_SM_EUlSZ_E0_NS1_11comp_targetILNS1_3genE10ELNS1_11target_archE1201ELNS1_3gpuE5ELNS1_3repE0EEENS1_38merge_mergepath_config_static_selectorELNS0_4arch9wavefront6targetE1EEEvSL_,@function
_ZN7rocprim17ROCPRIM_400000_NS6detail17trampoline_kernelINS0_14default_configENS1_38merge_sort_block_merge_config_selectorIyNS0_10empty_typeEEEZZNS1_27merge_sort_block_merge_implIS3_N6thrust23THRUST_200600_302600_NS6detail15normal_iteratorINS9_10device_ptrIyEEEEPS5_jNS1_19radix_merge_compareILb0ELb0EyNS0_19identity_decomposerEEEEE10hipError_tT0_T1_T2_jT3_P12ihipStream_tbPNSt15iterator_traitsISK_E10value_typeEPNSQ_ISL_E10value_typeEPSM_NS1_7vsmem_tEENKUlT_SK_SL_SM_E_clIPySE_SF_SF_EESJ_SZ_SK_SL_SM_EUlSZ_E0_NS1_11comp_targetILNS1_3genE10ELNS1_11target_archE1201ELNS1_3gpuE5ELNS1_3repE0EEENS1_38merge_mergepath_config_static_selectorELNS0_4arch9wavefront6targetE1EEEvSL_: ; @_ZN7rocprim17ROCPRIM_400000_NS6detail17trampoline_kernelINS0_14default_configENS1_38merge_sort_block_merge_config_selectorIyNS0_10empty_typeEEEZZNS1_27merge_sort_block_merge_implIS3_N6thrust23THRUST_200600_302600_NS6detail15normal_iteratorINS9_10device_ptrIyEEEEPS5_jNS1_19radix_merge_compareILb0ELb0EyNS0_19identity_decomposerEEEEE10hipError_tT0_T1_T2_jT3_P12ihipStream_tbPNSt15iterator_traitsISK_E10value_typeEPNSQ_ISL_E10value_typeEPSM_NS1_7vsmem_tEENKUlT_SK_SL_SM_E_clIPySE_SF_SF_EESJ_SZ_SK_SL_SM_EUlSZ_E0_NS1_11comp_targetILNS1_3genE10ELNS1_11target_archE1201ELNS1_3gpuE5ELNS1_3repE0EEENS1_38merge_mergepath_config_static_selectorELNS0_4arch9wavefront6targetE1EEEvSL_
; %bb.0:
	.section	.rodata,"a",@progbits
	.p2align	6, 0x0
	.amdhsa_kernel _ZN7rocprim17ROCPRIM_400000_NS6detail17trampoline_kernelINS0_14default_configENS1_38merge_sort_block_merge_config_selectorIyNS0_10empty_typeEEEZZNS1_27merge_sort_block_merge_implIS3_N6thrust23THRUST_200600_302600_NS6detail15normal_iteratorINS9_10device_ptrIyEEEEPS5_jNS1_19radix_merge_compareILb0ELb0EyNS0_19identity_decomposerEEEEE10hipError_tT0_T1_T2_jT3_P12ihipStream_tbPNSt15iterator_traitsISK_E10value_typeEPNSQ_ISL_E10value_typeEPSM_NS1_7vsmem_tEENKUlT_SK_SL_SM_E_clIPySE_SF_SF_EESJ_SZ_SK_SL_SM_EUlSZ_E0_NS1_11comp_targetILNS1_3genE10ELNS1_11target_archE1201ELNS1_3gpuE5ELNS1_3repE0EEENS1_38merge_mergepath_config_static_selectorELNS0_4arch9wavefront6targetE1EEEvSL_
		.amdhsa_group_segment_fixed_size 0
		.amdhsa_private_segment_fixed_size 0
		.amdhsa_kernarg_size 64
		.amdhsa_user_sgpr_count 2
		.amdhsa_user_sgpr_dispatch_ptr 0
		.amdhsa_user_sgpr_queue_ptr 0
		.amdhsa_user_sgpr_kernarg_segment_ptr 1
		.amdhsa_user_sgpr_dispatch_id 0
		.amdhsa_user_sgpr_kernarg_preload_length 0
		.amdhsa_user_sgpr_kernarg_preload_offset 0
		.amdhsa_user_sgpr_private_segment_size 0
		.amdhsa_uses_dynamic_stack 0
		.amdhsa_enable_private_segment 0
		.amdhsa_system_sgpr_workgroup_id_x 1
		.amdhsa_system_sgpr_workgroup_id_y 0
		.amdhsa_system_sgpr_workgroup_id_z 0
		.amdhsa_system_sgpr_workgroup_info 0
		.amdhsa_system_vgpr_workitem_id 0
		.amdhsa_next_free_vgpr 1
		.amdhsa_next_free_sgpr 0
		.amdhsa_accum_offset 4
		.amdhsa_reserve_vcc 0
		.amdhsa_float_round_mode_32 0
		.amdhsa_float_round_mode_16_64 0
		.amdhsa_float_denorm_mode_32 3
		.amdhsa_float_denorm_mode_16_64 3
		.amdhsa_dx10_clamp 1
		.amdhsa_ieee_mode 1
		.amdhsa_fp16_overflow 0
		.amdhsa_tg_split 0
		.amdhsa_exception_fp_ieee_invalid_op 0
		.amdhsa_exception_fp_denorm_src 0
		.amdhsa_exception_fp_ieee_div_zero 0
		.amdhsa_exception_fp_ieee_overflow 0
		.amdhsa_exception_fp_ieee_underflow 0
		.amdhsa_exception_fp_ieee_inexact 0
		.amdhsa_exception_int_div_zero 0
	.end_amdhsa_kernel
	.section	.text._ZN7rocprim17ROCPRIM_400000_NS6detail17trampoline_kernelINS0_14default_configENS1_38merge_sort_block_merge_config_selectorIyNS0_10empty_typeEEEZZNS1_27merge_sort_block_merge_implIS3_N6thrust23THRUST_200600_302600_NS6detail15normal_iteratorINS9_10device_ptrIyEEEEPS5_jNS1_19radix_merge_compareILb0ELb0EyNS0_19identity_decomposerEEEEE10hipError_tT0_T1_T2_jT3_P12ihipStream_tbPNSt15iterator_traitsISK_E10value_typeEPNSQ_ISL_E10value_typeEPSM_NS1_7vsmem_tEENKUlT_SK_SL_SM_E_clIPySE_SF_SF_EESJ_SZ_SK_SL_SM_EUlSZ_E0_NS1_11comp_targetILNS1_3genE10ELNS1_11target_archE1201ELNS1_3gpuE5ELNS1_3repE0EEENS1_38merge_mergepath_config_static_selectorELNS0_4arch9wavefront6targetE1EEEvSL_,"axG",@progbits,_ZN7rocprim17ROCPRIM_400000_NS6detail17trampoline_kernelINS0_14default_configENS1_38merge_sort_block_merge_config_selectorIyNS0_10empty_typeEEEZZNS1_27merge_sort_block_merge_implIS3_N6thrust23THRUST_200600_302600_NS6detail15normal_iteratorINS9_10device_ptrIyEEEEPS5_jNS1_19radix_merge_compareILb0ELb0EyNS0_19identity_decomposerEEEEE10hipError_tT0_T1_T2_jT3_P12ihipStream_tbPNSt15iterator_traitsISK_E10value_typeEPNSQ_ISL_E10value_typeEPSM_NS1_7vsmem_tEENKUlT_SK_SL_SM_E_clIPySE_SF_SF_EESJ_SZ_SK_SL_SM_EUlSZ_E0_NS1_11comp_targetILNS1_3genE10ELNS1_11target_archE1201ELNS1_3gpuE5ELNS1_3repE0EEENS1_38merge_mergepath_config_static_selectorELNS0_4arch9wavefront6targetE1EEEvSL_,comdat
.Lfunc_end733:
	.size	_ZN7rocprim17ROCPRIM_400000_NS6detail17trampoline_kernelINS0_14default_configENS1_38merge_sort_block_merge_config_selectorIyNS0_10empty_typeEEEZZNS1_27merge_sort_block_merge_implIS3_N6thrust23THRUST_200600_302600_NS6detail15normal_iteratorINS9_10device_ptrIyEEEEPS5_jNS1_19radix_merge_compareILb0ELb0EyNS0_19identity_decomposerEEEEE10hipError_tT0_T1_T2_jT3_P12ihipStream_tbPNSt15iterator_traitsISK_E10value_typeEPNSQ_ISL_E10value_typeEPSM_NS1_7vsmem_tEENKUlT_SK_SL_SM_E_clIPySE_SF_SF_EESJ_SZ_SK_SL_SM_EUlSZ_E0_NS1_11comp_targetILNS1_3genE10ELNS1_11target_archE1201ELNS1_3gpuE5ELNS1_3repE0EEENS1_38merge_mergepath_config_static_selectorELNS0_4arch9wavefront6targetE1EEEvSL_, .Lfunc_end733-_ZN7rocprim17ROCPRIM_400000_NS6detail17trampoline_kernelINS0_14default_configENS1_38merge_sort_block_merge_config_selectorIyNS0_10empty_typeEEEZZNS1_27merge_sort_block_merge_implIS3_N6thrust23THRUST_200600_302600_NS6detail15normal_iteratorINS9_10device_ptrIyEEEEPS5_jNS1_19radix_merge_compareILb0ELb0EyNS0_19identity_decomposerEEEEE10hipError_tT0_T1_T2_jT3_P12ihipStream_tbPNSt15iterator_traitsISK_E10value_typeEPNSQ_ISL_E10value_typeEPSM_NS1_7vsmem_tEENKUlT_SK_SL_SM_E_clIPySE_SF_SF_EESJ_SZ_SK_SL_SM_EUlSZ_E0_NS1_11comp_targetILNS1_3genE10ELNS1_11target_archE1201ELNS1_3gpuE5ELNS1_3repE0EEENS1_38merge_mergepath_config_static_selectorELNS0_4arch9wavefront6targetE1EEEvSL_
                                        ; -- End function
	.section	.AMDGPU.csdata,"",@progbits
; Kernel info:
; codeLenInByte = 0
; NumSgprs: 6
; NumVgprs: 0
; NumAgprs: 0
; TotalNumVgprs: 0
; ScratchSize: 0
; MemoryBound: 0
; FloatMode: 240
; IeeeMode: 1
; LDSByteSize: 0 bytes/workgroup (compile time only)
; SGPRBlocks: 0
; VGPRBlocks: 0
; NumSGPRsForWavesPerEU: 6
; NumVGPRsForWavesPerEU: 1
; AccumOffset: 4
; Occupancy: 8
; WaveLimiterHint : 0
; COMPUTE_PGM_RSRC2:SCRATCH_EN: 0
; COMPUTE_PGM_RSRC2:USER_SGPR: 2
; COMPUTE_PGM_RSRC2:TRAP_HANDLER: 0
; COMPUTE_PGM_RSRC2:TGID_X_EN: 1
; COMPUTE_PGM_RSRC2:TGID_Y_EN: 0
; COMPUTE_PGM_RSRC2:TGID_Z_EN: 0
; COMPUTE_PGM_RSRC2:TIDIG_COMP_CNT: 0
; COMPUTE_PGM_RSRC3_GFX90A:ACCUM_OFFSET: 0
; COMPUTE_PGM_RSRC3_GFX90A:TG_SPLIT: 0
	.section	.text._ZN7rocprim17ROCPRIM_400000_NS6detail17trampoline_kernelINS0_14default_configENS1_38merge_sort_block_merge_config_selectorIyNS0_10empty_typeEEEZZNS1_27merge_sort_block_merge_implIS3_N6thrust23THRUST_200600_302600_NS6detail15normal_iteratorINS9_10device_ptrIyEEEEPS5_jNS1_19radix_merge_compareILb0ELb0EyNS0_19identity_decomposerEEEEE10hipError_tT0_T1_T2_jT3_P12ihipStream_tbPNSt15iterator_traitsISK_E10value_typeEPNSQ_ISL_E10value_typeEPSM_NS1_7vsmem_tEENKUlT_SK_SL_SM_E_clIPySE_SF_SF_EESJ_SZ_SK_SL_SM_EUlSZ_E0_NS1_11comp_targetILNS1_3genE5ELNS1_11target_archE942ELNS1_3gpuE9ELNS1_3repE0EEENS1_38merge_mergepath_config_static_selectorELNS0_4arch9wavefront6targetE1EEEvSL_,"axG",@progbits,_ZN7rocprim17ROCPRIM_400000_NS6detail17trampoline_kernelINS0_14default_configENS1_38merge_sort_block_merge_config_selectorIyNS0_10empty_typeEEEZZNS1_27merge_sort_block_merge_implIS3_N6thrust23THRUST_200600_302600_NS6detail15normal_iteratorINS9_10device_ptrIyEEEEPS5_jNS1_19radix_merge_compareILb0ELb0EyNS0_19identity_decomposerEEEEE10hipError_tT0_T1_T2_jT3_P12ihipStream_tbPNSt15iterator_traitsISK_E10value_typeEPNSQ_ISL_E10value_typeEPSM_NS1_7vsmem_tEENKUlT_SK_SL_SM_E_clIPySE_SF_SF_EESJ_SZ_SK_SL_SM_EUlSZ_E0_NS1_11comp_targetILNS1_3genE5ELNS1_11target_archE942ELNS1_3gpuE9ELNS1_3repE0EEENS1_38merge_mergepath_config_static_selectorELNS0_4arch9wavefront6targetE1EEEvSL_,comdat
	.protected	_ZN7rocprim17ROCPRIM_400000_NS6detail17trampoline_kernelINS0_14default_configENS1_38merge_sort_block_merge_config_selectorIyNS0_10empty_typeEEEZZNS1_27merge_sort_block_merge_implIS3_N6thrust23THRUST_200600_302600_NS6detail15normal_iteratorINS9_10device_ptrIyEEEEPS5_jNS1_19radix_merge_compareILb0ELb0EyNS0_19identity_decomposerEEEEE10hipError_tT0_T1_T2_jT3_P12ihipStream_tbPNSt15iterator_traitsISK_E10value_typeEPNSQ_ISL_E10value_typeEPSM_NS1_7vsmem_tEENKUlT_SK_SL_SM_E_clIPySE_SF_SF_EESJ_SZ_SK_SL_SM_EUlSZ_E0_NS1_11comp_targetILNS1_3genE5ELNS1_11target_archE942ELNS1_3gpuE9ELNS1_3repE0EEENS1_38merge_mergepath_config_static_selectorELNS0_4arch9wavefront6targetE1EEEvSL_ ; -- Begin function _ZN7rocprim17ROCPRIM_400000_NS6detail17trampoline_kernelINS0_14default_configENS1_38merge_sort_block_merge_config_selectorIyNS0_10empty_typeEEEZZNS1_27merge_sort_block_merge_implIS3_N6thrust23THRUST_200600_302600_NS6detail15normal_iteratorINS9_10device_ptrIyEEEEPS5_jNS1_19radix_merge_compareILb0ELb0EyNS0_19identity_decomposerEEEEE10hipError_tT0_T1_T2_jT3_P12ihipStream_tbPNSt15iterator_traitsISK_E10value_typeEPNSQ_ISL_E10value_typeEPSM_NS1_7vsmem_tEENKUlT_SK_SL_SM_E_clIPySE_SF_SF_EESJ_SZ_SK_SL_SM_EUlSZ_E0_NS1_11comp_targetILNS1_3genE5ELNS1_11target_archE942ELNS1_3gpuE9ELNS1_3repE0EEENS1_38merge_mergepath_config_static_selectorELNS0_4arch9wavefront6targetE1EEEvSL_
	.globl	_ZN7rocprim17ROCPRIM_400000_NS6detail17trampoline_kernelINS0_14default_configENS1_38merge_sort_block_merge_config_selectorIyNS0_10empty_typeEEEZZNS1_27merge_sort_block_merge_implIS3_N6thrust23THRUST_200600_302600_NS6detail15normal_iteratorINS9_10device_ptrIyEEEEPS5_jNS1_19radix_merge_compareILb0ELb0EyNS0_19identity_decomposerEEEEE10hipError_tT0_T1_T2_jT3_P12ihipStream_tbPNSt15iterator_traitsISK_E10value_typeEPNSQ_ISL_E10value_typeEPSM_NS1_7vsmem_tEENKUlT_SK_SL_SM_E_clIPySE_SF_SF_EESJ_SZ_SK_SL_SM_EUlSZ_E0_NS1_11comp_targetILNS1_3genE5ELNS1_11target_archE942ELNS1_3gpuE9ELNS1_3repE0EEENS1_38merge_mergepath_config_static_selectorELNS0_4arch9wavefront6targetE1EEEvSL_
	.p2align	8
	.type	_ZN7rocprim17ROCPRIM_400000_NS6detail17trampoline_kernelINS0_14default_configENS1_38merge_sort_block_merge_config_selectorIyNS0_10empty_typeEEEZZNS1_27merge_sort_block_merge_implIS3_N6thrust23THRUST_200600_302600_NS6detail15normal_iteratorINS9_10device_ptrIyEEEEPS5_jNS1_19radix_merge_compareILb0ELb0EyNS0_19identity_decomposerEEEEE10hipError_tT0_T1_T2_jT3_P12ihipStream_tbPNSt15iterator_traitsISK_E10value_typeEPNSQ_ISL_E10value_typeEPSM_NS1_7vsmem_tEENKUlT_SK_SL_SM_E_clIPySE_SF_SF_EESJ_SZ_SK_SL_SM_EUlSZ_E0_NS1_11comp_targetILNS1_3genE5ELNS1_11target_archE942ELNS1_3gpuE9ELNS1_3repE0EEENS1_38merge_mergepath_config_static_selectorELNS0_4arch9wavefront6targetE1EEEvSL_,@function
_ZN7rocprim17ROCPRIM_400000_NS6detail17trampoline_kernelINS0_14default_configENS1_38merge_sort_block_merge_config_selectorIyNS0_10empty_typeEEEZZNS1_27merge_sort_block_merge_implIS3_N6thrust23THRUST_200600_302600_NS6detail15normal_iteratorINS9_10device_ptrIyEEEEPS5_jNS1_19radix_merge_compareILb0ELb0EyNS0_19identity_decomposerEEEEE10hipError_tT0_T1_T2_jT3_P12ihipStream_tbPNSt15iterator_traitsISK_E10value_typeEPNSQ_ISL_E10value_typeEPSM_NS1_7vsmem_tEENKUlT_SK_SL_SM_E_clIPySE_SF_SF_EESJ_SZ_SK_SL_SM_EUlSZ_E0_NS1_11comp_targetILNS1_3genE5ELNS1_11target_archE942ELNS1_3gpuE9ELNS1_3repE0EEENS1_38merge_mergepath_config_static_selectorELNS0_4arch9wavefront6targetE1EEEvSL_: ; @_ZN7rocprim17ROCPRIM_400000_NS6detail17trampoline_kernelINS0_14default_configENS1_38merge_sort_block_merge_config_selectorIyNS0_10empty_typeEEEZZNS1_27merge_sort_block_merge_implIS3_N6thrust23THRUST_200600_302600_NS6detail15normal_iteratorINS9_10device_ptrIyEEEEPS5_jNS1_19radix_merge_compareILb0ELb0EyNS0_19identity_decomposerEEEEE10hipError_tT0_T1_T2_jT3_P12ihipStream_tbPNSt15iterator_traitsISK_E10value_typeEPNSQ_ISL_E10value_typeEPSM_NS1_7vsmem_tEENKUlT_SK_SL_SM_E_clIPySE_SF_SF_EESJ_SZ_SK_SL_SM_EUlSZ_E0_NS1_11comp_targetILNS1_3genE5ELNS1_11target_archE942ELNS1_3gpuE9ELNS1_3repE0EEENS1_38merge_mergepath_config_static_selectorELNS0_4arch9wavefront6targetE1EEEvSL_
; %bb.0:
	s_load_dwordx2 s[18:19], s[0:1], 0x40
	s_load_dword s5, s[0:1], 0x30
	s_add_u32 s8, s0, 64
	s_addc_u32 s9, s1, 0
	s_waitcnt lgkmcnt(0)
	s_mul_i32 s4, s19, s4
	s_add_i32 s3, s4, s3
	s_mul_i32 s3, s3, s18
	s_add_i32 s16, s3, s2
	s_cmp_ge_u32 s16, s5
	s_cbranch_scc1 .LBB734_43
; %bb.1:
	s_load_dwordx2 s[10:11], s[0:1], 0x28
	s_load_dwordx2 s[4:5], s[0:1], 0x38
	;; [unrolled: 1-line block ×3, first 2 shown]
	s_mov_b32 s17, 0
	v_mov_b32_e32 v19, 0
	s_waitcnt lgkmcnt(0)
	s_lshr_b32 s22, s10, 10
	s_cmp_lg_u32 s16, s22
	s_cselect_b64 s[14:15], -1, 0
	s_lshl_b64 s[12:13], s[16:17], 2
	s_add_u32 s4, s4, s12
	s_addc_u32 s5, s5, s13
	s_lshr_b32 s3, s11, 9
	s_and_b32 s3, s3, 0x7ffffe
	s_load_dwordx2 s[4:5], s[4:5], 0x0
	s_sub_i32 s3, 0, s3
	s_and_b32 s13, s16, s3
	s_lshl_b32 s19, s13, 10
	s_lshl_b32 s12, s16, 10
	;; [unrolled: 1-line block ×3, first 2 shown]
	s_sub_i32 s20, s12, s19
	s_add_i32 s13, s13, s11
	s_add_i32 s21, s13, s20
	s_waitcnt lgkmcnt(0)
	s_sub_i32 s20, s21, s4
	s_sub_i32 s21, s21, s5
	;; [unrolled: 1-line block ×3, first 2 shown]
	s_min_u32 s20, s10, s20
	s_addk_i32 s21, 0x400
	s_or_b32 s3, s16, s3
	s_min_u32 s19, s10, s13
	s_add_i32 s13, s13, s11
	s_cmp_eq_u32 s3, -1
	s_cselect_b32 s3, s13, s21
	s_cselect_b32 s5, s19, s5
	s_min_u32 s3, s3, s10
	s_sub_i32 s11, s5, s4
	s_mov_b32 s5, s17
	s_sub_i32 s19, s3, s20
	s_lshl_b64 s[4:5], s[4:5], 3
	s_add_u32 s4, s6, s4
	s_mov_b32 s21, s17
	s_addc_u32 s5, s7, s5
	s_lshl_b64 s[20:21], s[20:21], 3
	s_add_u32 s6, s6, s20
	s_addc_u32 s7, s7, s21
	s_cmp_lt_u32 s2, s18
	s_cselect_b32 s2, 12, 18
	global_load_dword v1, v19, s[8:9] offset:14
	s_add_u32 s2, s8, s2
	s_addc_u32 s3, s9, 0
	global_load_ushort v2, v19, s[2:3]
	s_cmp_eq_u32 s16, s22
	v_lshlrev_b32_e32 v18, 3, v0
	s_waitcnt vmcnt(1)
	v_lshrrev_b32_e32 v3, 16, v1
	v_and_b32_e32 v1, 0xffff, v1
	v_mul_lo_u32 v1, v1, v3
	s_waitcnt vmcnt(0)
	v_mul_lo_u32 v1, v1, v2
	v_add_u32_e32 v22, v1, v0
	v_add_u32_e32 v20, v22, v1
	s_cbranch_scc1 .LBB734_3
; %bb.2:
	v_subrev_u32_e32 v4, s11, v0
	v_mov_b32_e32 v5, v19
	v_lshl_add_u64 v[2:3], s[4:5], 0, v[18:19]
	v_lshl_add_u64 v[4:5], v[4:5], 3, s[6:7]
	v_cmp_gt_u32_e32 vcc, s11, v0
	v_mov_b32_e32 v23, v19
	v_subrev_u32_e32 v6, s11, v22
	v_mov_b32_e32 v7, v19
	v_cndmask_b32_e32 v3, v5, v3, vcc
	v_cndmask_b32_e32 v2, v4, v2, vcc
	v_lshl_add_u64 v[4:5], v[22:23], 3, s[4:5]
	v_lshl_add_u64 v[6:7], v[6:7], 3, s[6:7]
	v_cmp_gt_u32_e32 vcc, s11, v22
	v_mov_b32_e32 v21, v19
	v_subrev_u32_e32 v8, s11, v20
	v_mov_b32_e32 v9, v19
	v_add_u32_e32 v10, v20, v1
	v_cndmask_b32_e32 v5, v7, v5, vcc
	v_cndmask_b32_e32 v4, v6, v4, vcc
	v_lshl_add_u64 v[6:7], v[20:21], 3, s[4:5]
	v_lshl_add_u64 v[8:9], v[8:9], 3, s[6:7]
	v_cmp_gt_u32_e32 vcc, s11, v20
	v_mov_b32_e32 v11, v19
	v_subrev_u32_e32 v12, s11, v10
	v_mov_b32_e32 v13, v19
	v_cndmask_b32_e32 v7, v9, v7, vcc
	v_cndmask_b32_e32 v6, v8, v6, vcc
	v_lshl_add_u64 v[8:9], v[10:11], 3, s[4:5]
	v_lshl_add_u64 v[12:13], v[12:13], 3, s[6:7]
	v_cmp_gt_u32_e32 vcc, s11, v10
	v_mov_b32_e32 v15, v19
	v_mov_b32_e32 v17, v19
	v_cndmask_b32_e32 v8, v12, v8, vcc
	v_add_u32_e32 v12, v10, v1
	v_cndmask_b32_e32 v9, v13, v9, vcc
	v_mov_b32_e32 v13, v19
	v_subrev_u32_e32 v14, s11, v12
	v_lshl_add_u64 v[10:11], v[12:13], 3, s[4:5]
	v_lshl_add_u64 v[14:15], v[14:15], 3, s[6:7]
	v_cmp_gt_u32_e32 vcc, s11, v12
	v_mov_b32_e32 v25, v19
	v_mov_b32_e32 v27, v19
	v_cndmask_b32_e32 v10, v14, v10, vcc
	v_add_u32_e32 v14, v12, v1
	v_cndmask_b32_e32 v11, v15, v11, vcc
	v_mov_b32_e32 v15, v19
	v_subrev_u32_e32 v16, s11, v14
	v_lshl_add_u64 v[12:13], v[14:15], 3, s[4:5]
	v_lshl_add_u64 v[16:17], v[16:17], 3, s[6:7]
	v_cmp_gt_u32_e32 vcc, s11, v14
	global_load_dwordx2 v[2:3], v[2:3], off
	s_add_i32 s13, s19, s11
	v_cndmask_b32_e32 v13, v17, v13, vcc
	v_cndmask_b32_e32 v12, v16, v12, vcc
	v_add_u32_e32 v16, v14, v1
	v_mov_b32_e32 v17, v19
	v_lshl_add_u64 v[14:15], v[16:17], 3, s[4:5]
	v_subrev_u32_e32 v24, s11, v16
	v_cmp_gt_u32_e32 vcc, s11, v16
	v_add_u32_e32 v16, v16, v1
	v_lshl_add_u64 v[24:25], v[24:25], 3, s[6:7]
	v_subrev_u32_e32 v26, s11, v16
	v_cndmask_b32_e32 v15, v25, v15, vcc
	v_cndmask_b32_e32 v14, v24, v14, vcc
	v_lshl_add_u64 v[24:25], v[16:17], 3, s[4:5]
	v_lshl_add_u64 v[26:27], v[26:27], 3, s[6:7]
	v_cmp_gt_u32_e32 vcc, s11, v16
	global_load_dwordx2 v[4:5], v[4:5], off
	s_nop 0
	v_cndmask_b32_e32 v17, v27, v25, vcc
	v_cndmask_b32_e32 v16, v26, v24, vcc
	global_load_dwordx2 v[6:7], v[6:7], off
	s_nop 0
	global_load_dwordx2 v[8:9], v[8:9], off
	s_nop 0
	;; [unrolled: 2-line block ×5, first 2 shown]
	global_load_dwordx2 v[16:17], v[16:17], off
	s_load_dwordx2 s[16:17], s[0:1], 0x10
	s_cbranch_execz .LBB734_4
	s_branch .LBB734_19
.LBB734_3:
                                        ; implicit-def: $vgpr2_vgpr3_vgpr4_vgpr5_vgpr6_vgpr7_vgpr8_vgpr9_vgpr10_vgpr11_vgpr12_vgpr13_vgpr14_vgpr15_vgpr16_vgpr17
                                        ; implicit-def: $sgpr13
	s_load_dwordx2 s[16:17], s[0:1], 0x10
.LBB734_4:
	s_add_i32 s13, s19, s11
	v_cmp_gt_u32_e32 vcc, s13, v0
                                        ; implicit-def: $vgpr2_vgpr3_vgpr4_vgpr5_vgpr6_vgpr7_vgpr8_vgpr9_vgpr10_vgpr11_vgpr12_vgpr13_vgpr14_vgpr15_vgpr16_vgpr17
	s_and_saveexec_b64 s[0:1], vcc
	s_cbranch_execnz .LBB734_44
; %bb.5:
	s_or_b64 exec, exec, s[0:1]
	v_cmp_gt_u32_e32 vcc, s13, v22
	s_and_saveexec_b64 s[0:1], vcc
	s_cbranch_execnz .LBB734_45
.LBB734_6:
	s_or_b64 exec, exec, s[0:1]
	v_cmp_gt_u32_e32 vcc, s13, v20
	s_and_saveexec_b64 s[0:1], vcc
	s_cbranch_execz .LBB734_8
.LBB734_7:
	v_mov_b32_e32 v21, 0
	v_subrev_u32_e32 v22, s11, v20
	v_mov_b32_e32 v23, v21
	s_waitcnt vmcnt(5)
	v_lshl_add_u64 v[6:7], v[20:21], 3, s[4:5]
	v_lshl_add_u64 v[22:23], v[22:23], 3, s[6:7]
	v_cmp_gt_u32_e32 vcc, s11, v20
	s_nop 1
	v_cndmask_b32_e32 v7, v23, v7, vcc
	v_cndmask_b32_e32 v6, v22, v6, vcc
	global_load_dwordx2 v[6:7], v[6:7], off
.LBB734_8:
	s_or_b64 exec, exec, s[0:1]
	v_add_u32_e32 v20, v20, v1
	v_cmp_gt_u32_e32 vcc, s13, v20
	s_and_saveexec_b64 s[0:1], vcc
	s_cbranch_execz .LBB734_10
; %bb.9:
	v_mov_b32_e32 v21, 0
	v_subrev_u32_e32 v22, s11, v20
	v_mov_b32_e32 v23, v21
	s_waitcnt vmcnt(4)
	v_lshl_add_u64 v[8:9], v[20:21], 3, s[4:5]
	v_lshl_add_u64 v[22:23], v[22:23], 3, s[6:7]
	v_cmp_gt_u32_e32 vcc, s11, v20
	s_nop 1
	v_cndmask_b32_e32 v9, v23, v9, vcc
	v_cndmask_b32_e32 v8, v22, v8, vcc
	global_load_dwordx2 v[8:9], v[8:9], off
.LBB734_10:
	s_or_b64 exec, exec, s[0:1]
	v_add_u32_e32 v20, v20, v1
	v_cmp_gt_u32_e32 vcc, s13, v20
	s_and_saveexec_b64 s[0:1], vcc
	s_cbranch_execz .LBB734_12
; %bb.11:
	v_mov_b32_e32 v21, 0
	v_subrev_u32_e32 v22, s11, v20
	v_mov_b32_e32 v23, v21
	s_waitcnt vmcnt(3)
	v_lshl_add_u64 v[10:11], v[20:21], 3, s[4:5]
	v_lshl_add_u64 v[22:23], v[22:23], 3, s[6:7]
	v_cmp_gt_u32_e32 vcc, s11, v20
	s_nop 1
	v_cndmask_b32_e32 v11, v23, v11, vcc
	v_cndmask_b32_e32 v10, v22, v10, vcc
	global_load_dwordx2 v[10:11], v[10:11], off
.LBB734_12:
	;; [unrolled: 18-line block ×4, first 2 shown]
	s_or_b64 exec, exec, s[0:1]
	v_add_u32_e32 v20, v20, v1
	v_cmp_gt_u32_e32 vcc, s13, v20
	s_and_saveexec_b64 s[0:1], vcc
	s_cbranch_execz .LBB734_18
; %bb.17:
	v_mov_b32_e32 v21, 0
	s_waitcnt vmcnt(0)
	v_lshl_add_u64 v[16:17], v[20:21], 3, s[4:5]
	v_cmp_gt_u32_e32 vcc, s11, v20
	v_subrev_u32_e32 v20, s11, v20
	v_lshl_add_u64 v[20:21], v[20:21], 3, s[6:7]
	v_cndmask_b32_e32 v17, v21, v17, vcc
	v_cndmask_b32_e32 v16, v20, v16, vcc
	global_load_dwordx2 v[16:17], v[16:17], off
.LBB734_18:
	s_or_b64 exec, exec, s[0:1]
.LBB734_19:
	v_min_u32_e32 v19, s13, v18
	v_sub_u32_e64 v1, v19, s19 clamp
	v_min_u32_e32 v20, s11, v19
	v_cmp_lt_u32_e32 vcc, v1, v20
	s_waitcnt vmcnt(0)
	ds_write2st64_b64 v18, v[2:3], v[4:5] offset1:2
	ds_write2st64_b64 v18, v[6:7], v[8:9] offset0:4 offset1:6
	ds_write2st64_b64 v18, v[10:11], v[12:13] offset0:8 offset1:10
	;; [unrolled: 1-line block ×3, first 2 shown]
	s_waitcnt lgkmcnt(0)
	s_barrier
	s_and_saveexec_b64 s[0:1], vcc
	s_cbranch_execz .LBB734_23
; %bb.20:
	v_lshlrev_b32_e32 v21, 3, v19
	v_lshl_add_u32 v21, s11, 3, v21
	s_mov_b64 s[2:3], 0
.LBB734_21:                             ; =>This Inner Loop Header: Depth=1
	v_add_u32_e32 v22, v20, v1
	v_lshrrev_b32_e32 v26, 1, v22
	v_not_b32_e32 v22, v26
	v_lshlrev_b32_e32 v23, 3, v26
	v_lshl_add_u32 v24, v22, 3, v21
	ds_read_b64 v[22:23], v23
	ds_read_b64 v[24:25], v24
	v_add_u32_e32 v27, 1, v26
	s_waitcnt lgkmcnt(0)
	v_cmp_gt_u64_e32 vcc, v[22:23], v[24:25]
	s_nop 1
	v_cndmask_b32_e32 v20, v20, v26, vcc
	v_cndmask_b32_e32 v1, v27, v1, vcc
	v_cmp_ge_u32_e32 vcc, v1, v20
	s_or_b64 s[2:3], vcc, s[2:3]
	s_andn2_b64 exec, exec, s[2:3]
	s_cbranch_execnz .LBB734_21
; %bb.22:
	s_or_b64 exec, exec, s[2:3]
.LBB734_23:
	s_or_b64 exec, exec, s[0:1]
	v_sub_u32_e32 v19, v19, v1
	v_add_u32_e32 v19, s11, v19
	v_cmp_ge_u32_e32 vcc, s11, v1
	v_cmp_ge_u32_e64 s[0:1], s13, v19
	s_or_b64 s[0:1], vcc, s[0:1]
	s_and_saveexec_b64 s[18:19], s[0:1]
	s_cbranch_execz .LBB734_29
; %bb.24:
	v_cmp_gt_u32_e32 vcc, s11, v1
                                        ; implicit-def: $vgpr2_vgpr3
	s_and_saveexec_b64 s[0:1], vcc
	s_cbranch_execz .LBB734_26
; %bb.25:
	v_lshlrev_b32_e32 v2, 3, v1
	ds_read_b64 v[2:3], v2
.LBB734_26:
	s_or_b64 exec, exec, s[0:1]
	v_cmp_le_u32_e64 s[0:1], s13, v19
	v_cmp_gt_u32_e64 s[2:3], s13, v19
                                        ; implicit-def: $vgpr4_vgpr5
	s_and_saveexec_b64 s[4:5], s[2:3]
	s_cbranch_execz .LBB734_28
; %bb.27:
	v_lshlrev_b32_e32 v4, 3, v19
	ds_read_b64 v[4:5], v4
.LBB734_28:
	s_or_b64 exec, exec, s[4:5]
	s_waitcnt lgkmcnt(0)
	v_cmp_le_u64_e64 s[2:3], v[2:3], v[4:5]
	s_and_b64 s[2:3], vcc, s[2:3]
	s_or_b64 vcc, s[0:1], s[2:3]
	v_mov_b32_e32 v28, s13
	v_mov_b32_e32 v29, s11
	v_cndmask_b32_e32 v6, v19, v1, vcc
	v_cndmask_b32_e32 v7, v28, v29, vcc
	v_add_u32_e32 v10, 1, v6
	v_add_u32_e32 v6, -1, v7
	v_min_u32_e32 v6, v10, v6
	v_lshlrev_b32_e32 v6, 3, v6
	ds_read_b64 v[6:7], v6
	v_cndmask_b32_e32 v1, v1, v10, vcc
	v_cndmask_b32_e32 v14, v10, v19, vcc
	v_cmp_gt_u32_e64 s[2:3], s11, v1
	v_cmp_le_u32_e64 s[0:1], s13, v14
	s_waitcnt lgkmcnt(0)
	v_cndmask_b32_e32 v9, v7, v5, vcc
	v_cndmask_b32_e32 v8, v6, v4, vcc
	;; [unrolled: 1-line block ×4, first 2 shown]
	v_cmp_le_u64_e64 s[4:5], v[6:7], v[8:9]
	s_and_b64 s[2:3], s[2:3], s[4:5]
	s_or_b64 s[0:1], s[0:1], s[2:3]
	v_cndmask_b32_e64 v10, v14, v1, s[0:1]
	v_cndmask_b32_e64 v11, v28, v29, s[0:1]
	v_add_u32_e32 v15, 1, v10
	v_add_u32_e32 v10, -1, v11
	v_min_u32_e32 v10, v15, v10
	v_lshlrev_b32_e32 v10, 3, v10
	ds_read_b64 v[10:11], v10
	v_cndmask_b32_e64 v1, v1, v15, s[0:1]
	v_cndmask_b32_e64 v19, v15, v14, s[0:1]
	v_cmp_gt_u32_e64 s[4:5], s11, v1
	v_cmp_le_u32_e64 s[2:3], s13, v19
	s_waitcnt lgkmcnt(0)
	v_cndmask_b32_e64 v13, v11, v9, s[0:1]
	v_cndmask_b32_e64 v12, v10, v8, s[0:1]
	;; [unrolled: 1-line block ×4, first 2 shown]
	v_cmp_le_u64_e64 s[6:7], v[10:11], v[12:13]
	s_and_b64 s[4:5], s[4:5], s[6:7]
	s_or_b64 s[2:3], s[2:3], s[4:5]
	v_cndmask_b32_e64 v14, v19, v1, s[2:3]
	v_cndmask_b32_e64 v15, v28, v29, s[2:3]
	v_add_u32_e32 v20, 1, v14
	v_add_u32_e32 v14, -1, v15
	v_min_u32_e32 v14, v20, v14
	v_lshlrev_b32_e32 v14, 3, v14
	ds_read_b64 v[14:15], v14
	v_cndmask_b32_e64 v1, v1, v20, s[2:3]
	v_cndmask_b32_e64 v19, v20, v19, s[2:3]
	v_cmp_gt_u32_e64 s[6:7], s11, v1
	v_cmp_le_u32_e64 s[4:5], s13, v19
	s_waitcnt lgkmcnt(0)
	v_cndmask_b32_e64 v17, v15, v13, s[2:3]
	v_cndmask_b32_e64 v16, v14, v12, s[2:3]
	;; [unrolled: 1-line block ×4, first 2 shown]
	v_cmp_le_u64_e64 s[8:9], v[14:15], v[16:17]
	s_and_b64 s[6:7], s[6:7], s[8:9]
	s_or_b64 s[4:5], s[4:5], s[6:7]
	v_cndmask_b32_e64 v20, v19, v1, s[4:5]
	v_cndmask_b32_e64 v21, v28, v29, s[4:5]
	v_add_u32_e32 v24, 1, v20
	v_add_u32_e32 v20, -1, v21
	v_min_u32_e32 v20, v24, v20
	v_lshlrev_b32_e32 v20, 3, v20
	ds_read_b64 v[20:21], v20
	v_cndmask_b32_e64 v1, v1, v24, s[4:5]
	v_cndmask_b32_e64 v19, v24, v19, s[4:5]
	v_cmp_gt_u32_e64 s[6:7], s11, v1
	v_cndmask_b32_e32 v3, v5, v3, vcc
	s_waitcnt lgkmcnt(0)
	v_cndmask_b32_e64 v23, v21, v17, s[4:5]
	v_cndmask_b32_e64 v22, v20, v16, s[4:5]
	;; [unrolled: 1-line block ×4, first 2 shown]
	v_cmp_le_u64_e64 s[8:9], v[20:21], v[22:23]
	v_cndmask_b32_e32 v2, v4, v2, vcc
	v_cmp_le_u32_e32 vcc, s13, v19
	s_and_b64 s[6:7], s[6:7], s[8:9]
	s_or_b64 vcc, vcc, s[6:7]
	v_cndmask_b32_e32 v4, v19, v1, vcc
	v_cndmask_b32_e32 v5, v28, v29, vcc
	v_add_u32_e32 v26, 1, v4
	v_add_u32_e32 v4, -1, v5
	v_min_u32_e32 v4, v26, v4
	v_lshlrev_b32_e32 v4, 3, v4
	ds_read_b64 v[24:25], v4
	v_cndmask_b32_e64 v5, v9, v7, s[0:1]
	v_cndmask_b32_e64 v4, v8, v6, s[0:1]
	;; [unrolled: 1-line block ×4, first 2 shown]
	s_waitcnt lgkmcnt(0)
	v_cndmask_b32_e32 v13, v25, v23, vcc
	v_cndmask_b32_e32 v12, v24, v22, vcc
	;; [unrolled: 1-line block ×6, first 2 shown]
	v_cmp_gt_u32_e64 s[2:3], s11, v1
	v_cmp_le_u64_e64 s[6:7], v[24:25], v[12:13]
	v_cmp_le_u32_e64 s[0:1], s13, v19
	s_and_b64 s[2:3], s[2:3], s[6:7]
	s_or_b64 s[0:1], s[0:1], s[2:3]
	v_cndmask_b32_e64 v8, v19, v1, s[0:1]
	v_cndmask_b32_e64 v9, v28, v29, s[0:1]
	v_add_u32_e32 v30, 1, v8
	v_add_u32_e32 v8, -1, v9
	v_min_u32_e32 v8, v30, v8
	v_lshlrev_b32_e32 v8, 3, v8
	ds_read_b64 v[26:27], v8
	v_cndmask_b32_e64 v9, v17, v15, s[4:5]
	v_cndmask_b32_e64 v8, v16, v14, s[4:5]
	v_cndmask_b32_e32 v11, v23, v21, vcc
	v_cndmask_b32_e32 v10, v22, v20, vcc
	s_waitcnt lgkmcnt(0)
	v_cndmask_b32_e64 v17, v27, v13, s[0:1]
	v_cndmask_b32_e64 v16, v26, v12, s[0:1]
	v_cndmask_b32_e64 v21, v25, v27, s[0:1]
	v_cndmask_b32_e64 v20, v24, v26, s[0:1]
	v_cndmask_b32_e64 v1, v1, v30, s[0:1]
	v_cndmask_b32_e64 v19, v30, v19, s[0:1]
	v_cmp_gt_u32_e64 s[2:3], s11, v1
	v_cmp_le_u64_e64 s[4:5], v[20:21], v[16:17]
	v_cmp_le_u32_e32 vcc, s13, v19
	s_and_b64 s[2:3], s[2:3], s[4:5]
	s_or_b64 vcc, vcc, s[2:3]
	v_cndmask_b32_e32 v14, v19, v1, vcc
	v_cndmask_b32_e32 v15, v28, v29, vcc
	v_add_u32_e32 v26, 1, v14
	v_add_u32_e32 v14, -1, v15
	v_min_u32_e32 v14, v26, v14
	v_lshlrev_b32_e32 v14, 3, v14
	ds_read_b64 v[22:23], v14
	v_cndmask_b32_e32 v15, v17, v21, vcc
	v_cndmask_b32_e32 v14, v16, v20, vcc
	;; [unrolled: 1-line block ×3, first 2 shown]
	v_cndmask_b32_e64 v13, v13, v25, s[0:1]
	s_waitcnt lgkmcnt(0)
	v_cndmask_b32_e32 v17, v23, v17, vcc
	v_cndmask_b32_e32 v16, v22, v16, vcc
	;; [unrolled: 1-line block ×4, first 2 shown]
	v_cndmask_b32_e64 v12, v12, v24, s[0:1]
	v_cndmask_b32_e32 v19, v26, v19, vcc
	v_cmp_gt_u32_e64 s[0:1], s11, v1
	v_cmp_le_u64_e64 s[2:3], v[20:21], v[16:17]
	v_cmp_le_u32_e32 vcc, s13, v19
	s_and_b64 s[0:1], s[0:1], s[2:3]
	s_or_b64 vcc, vcc, s[0:1]
	v_cndmask_b32_e32 v17, v17, v21, vcc
	v_cndmask_b32_e32 v16, v16, v20, vcc
.LBB734_29:
	s_or_b64 exec, exec, s[18:19]
	v_lshrrev_b32_e32 v1, 2, v0
	v_lshlrev_b32_e32 v19, 3, v18
	v_lshl_add_u32 v19, v1, 3, v19
	v_and_b32_e32 v1, 24, v1
	v_or_b32_e32 v25, 0x80, v0
	v_add_u32_e32 v26, v18, v1
	v_lshrrev_b32_e32 v1, 2, v25
	v_and_b32_e32 v1, 56, v1
	v_or_b32_e32 v24, 0x100, v0
	s_barrier
	s_barrier
	ds_write2_b64 v19, v[2:3], v[4:5] offset1:1
	ds_write2_b64 v19, v[6:7], v[8:9] offset0:2 offset1:3
	ds_write2_b64 v19, v[10:11], v[12:13] offset0:4 offset1:5
	;; [unrolled: 1-line block ×3, first 2 shown]
	v_add_u32_e32 v6, v18, v1
	v_lshrrev_b32_e32 v1, 2, v24
	v_and_b32_e32 v1, 0x58, v1
	v_or_b32_e32 v23, 0x180, v0
	v_add_u32_e32 v7, v18, v1
	v_lshrrev_b32_e32 v1, 2, v23
	v_and_b32_e32 v1, 0x78, v1
	v_or_b32_e32 v22, 0x200, v0
	;; [unrolled: 4-line block ×4, first 2 shown]
	v_add_u32_e32 v27, v18, v1
	v_lshrrev_b32_e32 v1, 2, v20
	s_mov_b32 s13, 0
	v_and_b32_e32 v1, 0xd8, v1
	s_lshl_b64 s[0:1], s[12:13], 3
	v_add_u32_e32 v28, v18, v1
	v_or_b32_e32 v1, 0x380, v0
	s_add_u32 s0, s16, s0
	v_lshrrev_b32_e32 v2, 2, v1
	s_addc_u32 s1, s17, s1
	v_and_b32_e32 v2, 0xf8, v2
	v_mov_b32_e32 v19, 0
	v_add_u32_e32 v29, v18, v2
	v_lshl_add_u64 v[2:3], s[0:1], 0, v[18:19]
	s_and_b64 vcc, exec, s[14:15]
	s_waitcnt lgkmcnt(0)
	s_cbranch_vccz .LBB734_31
; %bb.30:
	s_barrier
	ds_read_b64 v[10:11], v26
	ds_read_b64 v[12:13], v6 offset:1024
	ds_read_b64 v[14:15], v7 offset:2048
	;; [unrolled: 1-line block ×7, first 2 shown]
	s_waitcnt lgkmcnt(7)
	global_store_dwordx2 v[2:3], v[10:11], off
	s_waitcnt lgkmcnt(6)
	global_store_dwordx2 v[2:3], v[12:13], off offset:1024
	s_waitcnt lgkmcnt(5)
	global_store_dwordx2 v[2:3], v[14:15], off offset:2048
	;; [unrolled: 2-line block ×3, first 2 shown]
	v_add_co_u32_e32 v10, vcc, 0x1000, v2
	s_nop 1
	v_addc_co_u32_e32 v11, vcc, 0, v3, vcc
	s_waitcnt lgkmcnt(3)
	global_store_dwordx2 v[10:11], v[18:19], off
	s_waitcnt lgkmcnt(2)
	global_store_dwordx2 v[10:11], v[30:31], off offset:1024
	s_waitcnt lgkmcnt(1)
	global_store_dwordx2 v[10:11], v[32:33], off offset:2048
	s_mov_b64 s[0:1], -1
	s_cbranch_execz .LBB734_32
	s_branch .LBB734_41
.LBB734_31:
	s_mov_b64 s[0:1], 0
                                        ; implicit-def: $vgpr4_vgpr5
.LBB734_32:
	s_barrier
	s_waitcnt lgkmcnt(0)
	ds_read_b64 v[16:17], v6 offset:1024
	ds_read_b64 v[14:15], v7 offset:2048
	;; [unrolled: 1-line block ×7, first 2 shown]
	s_sub_i32 s2, s10, s12
	v_cmp_gt_u32_e32 vcc, s2, v0
	s_and_saveexec_b64 s[0:1], vcc
	s_cbranch_execnz .LBB734_46
; %bb.33:
	s_or_b64 exec, exec, s[0:1]
	v_cmp_gt_u32_e32 vcc, s2, v25
	s_and_saveexec_b64 s[0:1], vcc
	s_cbranch_execnz .LBB734_47
.LBB734_34:
	s_or_b64 exec, exec, s[0:1]
	v_cmp_gt_u32_e32 vcc, s2, v24
	s_and_saveexec_b64 s[0:1], vcc
	s_cbranch_execnz .LBB734_48
.LBB734_35:
	s_or_b64 exec, exec, s[0:1]
	v_cmp_gt_u32_e32 vcc, s2, v23
	s_and_saveexec_b64 s[0:1], vcc
	s_cbranch_execnz .LBB734_49
.LBB734_36:
	s_or_b64 exec, exec, s[0:1]
	v_cmp_gt_u32_e32 vcc, s2, v22
	s_and_saveexec_b64 s[0:1], vcc
	s_cbranch_execnz .LBB734_50
.LBB734_37:
	s_or_b64 exec, exec, s[0:1]
	v_cmp_gt_u32_e32 vcc, s2, v21
	s_and_saveexec_b64 s[0:1], vcc
	s_cbranch_execnz .LBB734_51
.LBB734_38:
	s_or_b64 exec, exec, s[0:1]
	v_cmp_gt_u32_e32 vcc, s2, v20
	s_and_saveexec_b64 s[0:1], vcc
	s_cbranch_execz .LBB734_40
.LBB734_39:
	s_waitcnt lgkmcnt(2)
	v_add_co_u32_e32 v8, vcc, 0x1000, v2
	s_nop 1
	v_addc_co_u32_e32 v9, vcc, 0, v3, vcc
	s_waitcnt lgkmcnt(1)
	global_store_dwordx2 v[8:9], v[6:7], off offset:2048
.LBB734_40:
	s_or_b64 exec, exec, s[0:1]
	v_cmp_gt_u32_e64 s[0:1], s2, v1
.LBB734_41:
	s_and_saveexec_b64 s[2:3], s[0:1]
	s_cbranch_execz .LBB734_43
; %bb.42:
	v_add_co_u32_e32 v0, vcc, 0x1000, v2
	s_nop 1
	v_addc_co_u32_e32 v1, vcc, 0, v3, vcc
	s_waitcnt lgkmcnt(0)
	global_store_dwordx2 v[0:1], v[4:5], off offset:3072
.LBB734_43:
	s_endpgm
.LBB734_44:
	v_mov_b32_e32 v19, 0
	s_waitcnt vmcnt(6)
	v_subrev_u32_e32 v4, s11, v0
	v_mov_b32_e32 v5, v19
	v_lshl_add_u64 v[2:3], s[4:5], 0, v[18:19]
	v_lshl_add_u64 v[4:5], v[4:5], 3, s[6:7]
	v_cmp_gt_u32_e32 vcc, s11, v0
	s_nop 1
	v_cndmask_b32_e32 v3, v5, v3, vcc
	v_cndmask_b32_e32 v2, v4, v2, vcc
	global_load_dwordx2 v[2:3], v[2:3], off
	s_or_b64 exec, exec, s[0:1]
	v_cmp_gt_u32_e32 vcc, s13, v22
	s_and_saveexec_b64 s[0:1], vcc
	s_cbranch_execz .LBB734_6
.LBB734_45:
	v_mov_b32_e32 v23, 0
	s_waitcnt vmcnt(6)
	v_lshl_add_u64 v[4:5], v[22:23], 3, s[4:5]
	v_cmp_gt_u32_e32 vcc, s11, v22
	v_subrev_u32_e32 v22, s11, v22
	v_lshl_add_u64 v[22:23], v[22:23], 3, s[6:7]
	v_cndmask_b32_e32 v5, v23, v5, vcc
	v_cndmask_b32_e32 v4, v22, v4, vcc
	global_load_dwordx2 v[4:5], v[4:5], off
	s_or_b64 exec, exec, s[0:1]
	v_cmp_gt_u32_e32 vcc, s13, v20
	s_and_saveexec_b64 s[0:1], vcc
	s_cbranch_execnz .LBB734_7
	s_branch .LBB734_8
.LBB734_46:
	ds_read_b64 v[18:19], v26
	s_waitcnt lgkmcnt(0)
	global_store_dwordx2 v[2:3], v[18:19], off
	s_or_b64 exec, exec, s[0:1]
	v_cmp_gt_u32_e32 vcc, s2, v25
	s_and_saveexec_b64 s[0:1], vcc
	s_cbranch_execz .LBB734_34
.LBB734_47:
	s_waitcnt lgkmcnt(6)
	global_store_dwordx2 v[2:3], v[16:17], off offset:1024
	s_or_b64 exec, exec, s[0:1]
	v_cmp_gt_u32_e32 vcc, s2, v24
	s_and_saveexec_b64 s[0:1], vcc
	s_cbranch_execz .LBB734_35
.LBB734_48:
	s_waitcnt lgkmcnt(5)
	global_store_dwordx2 v[2:3], v[14:15], off offset:2048
	s_or_b64 exec, exec, s[0:1]
	v_cmp_gt_u32_e32 vcc, s2, v23
	s_and_saveexec_b64 s[0:1], vcc
	s_cbranch_execz .LBB734_36
.LBB734_49:
	s_waitcnt lgkmcnt(4)
	global_store_dwordx2 v[2:3], v[12:13], off offset:3072
	s_or_b64 exec, exec, s[0:1]
	v_cmp_gt_u32_e32 vcc, s2, v22
	s_and_saveexec_b64 s[0:1], vcc
	s_cbranch_execz .LBB734_37
.LBB734_50:
	s_waitcnt lgkmcnt(4)
	v_add_co_u32_e32 v12, vcc, 0x1000, v2
	s_nop 1
	v_addc_co_u32_e32 v13, vcc, 0, v3, vcc
	s_waitcnt lgkmcnt(3)
	global_store_dwordx2 v[12:13], v[10:11], off
	s_or_b64 exec, exec, s[0:1]
	v_cmp_gt_u32_e32 vcc, s2, v21
	s_and_saveexec_b64 s[0:1], vcc
	s_cbranch_execz .LBB734_38
.LBB734_51:
	s_waitcnt lgkmcnt(3)
	v_add_co_u32_e32 v10, vcc, 0x1000, v2
	s_nop 1
	v_addc_co_u32_e32 v11, vcc, 0, v3, vcc
	s_waitcnt lgkmcnt(2)
	global_store_dwordx2 v[10:11], v[8:9], off offset:1024
	s_or_b64 exec, exec, s[0:1]
	v_cmp_gt_u32_e32 vcc, s2, v20
	s_and_saveexec_b64 s[0:1], vcc
	s_cbranch_execnz .LBB734_39
	s_branch .LBB734_40
	.section	.rodata,"a",@progbits
	.p2align	6, 0x0
	.amdhsa_kernel _ZN7rocprim17ROCPRIM_400000_NS6detail17trampoline_kernelINS0_14default_configENS1_38merge_sort_block_merge_config_selectorIyNS0_10empty_typeEEEZZNS1_27merge_sort_block_merge_implIS3_N6thrust23THRUST_200600_302600_NS6detail15normal_iteratorINS9_10device_ptrIyEEEEPS5_jNS1_19radix_merge_compareILb0ELb0EyNS0_19identity_decomposerEEEEE10hipError_tT0_T1_T2_jT3_P12ihipStream_tbPNSt15iterator_traitsISK_E10value_typeEPNSQ_ISL_E10value_typeEPSM_NS1_7vsmem_tEENKUlT_SK_SL_SM_E_clIPySE_SF_SF_EESJ_SZ_SK_SL_SM_EUlSZ_E0_NS1_11comp_targetILNS1_3genE5ELNS1_11target_archE942ELNS1_3gpuE9ELNS1_3repE0EEENS1_38merge_mergepath_config_static_selectorELNS0_4arch9wavefront6targetE1EEEvSL_
		.amdhsa_group_segment_fixed_size 8448
		.amdhsa_private_segment_fixed_size 0
		.amdhsa_kernarg_size 320
		.amdhsa_user_sgpr_count 2
		.amdhsa_user_sgpr_dispatch_ptr 0
		.amdhsa_user_sgpr_queue_ptr 0
		.amdhsa_user_sgpr_kernarg_segment_ptr 1
		.amdhsa_user_sgpr_dispatch_id 0
		.amdhsa_user_sgpr_kernarg_preload_length 0
		.amdhsa_user_sgpr_kernarg_preload_offset 0
		.amdhsa_user_sgpr_private_segment_size 0
		.amdhsa_uses_dynamic_stack 0
		.amdhsa_enable_private_segment 0
		.amdhsa_system_sgpr_workgroup_id_x 1
		.amdhsa_system_sgpr_workgroup_id_y 1
		.amdhsa_system_sgpr_workgroup_id_z 1
		.amdhsa_system_sgpr_workgroup_info 0
		.amdhsa_system_vgpr_workitem_id 0
		.amdhsa_next_free_vgpr 34
		.amdhsa_next_free_sgpr 23
		.amdhsa_accum_offset 36
		.amdhsa_reserve_vcc 1
		.amdhsa_float_round_mode_32 0
		.amdhsa_float_round_mode_16_64 0
		.amdhsa_float_denorm_mode_32 3
		.amdhsa_float_denorm_mode_16_64 3
		.amdhsa_dx10_clamp 1
		.amdhsa_ieee_mode 1
		.amdhsa_fp16_overflow 0
		.amdhsa_tg_split 0
		.amdhsa_exception_fp_ieee_invalid_op 0
		.amdhsa_exception_fp_denorm_src 0
		.amdhsa_exception_fp_ieee_div_zero 0
		.amdhsa_exception_fp_ieee_overflow 0
		.amdhsa_exception_fp_ieee_underflow 0
		.amdhsa_exception_fp_ieee_inexact 0
		.amdhsa_exception_int_div_zero 0
	.end_amdhsa_kernel
	.section	.text._ZN7rocprim17ROCPRIM_400000_NS6detail17trampoline_kernelINS0_14default_configENS1_38merge_sort_block_merge_config_selectorIyNS0_10empty_typeEEEZZNS1_27merge_sort_block_merge_implIS3_N6thrust23THRUST_200600_302600_NS6detail15normal_iteratorINS9_10device_ptrIyEEEEPS5_jNS1_19radix_merge_compareILb0ELb0EyNS0_19identity_decomposerEEEEE10hipError_tT0_T1_T2_jT3_P12ihipStream_tbPNSt15iterator_traitsISK_E10value_typeEPNSQ_ISL_E10value_typeEPSM_NS1_7vsmem_tEENKUlT_SK_SL_SM_E_clIPySE_SF_SF_EESJ_SZ_SK_SL_SM_EUlSZ_E0_NS1_11comp_targetILNS1_3genE5ELNS1_11target_archE942ELNS1_3gpuE9ELNS1_3repE0EEENS1_38merge_mergepath_config_static_selectorELNS0_4arch9wavefront6targetE1EEEvSL_,"axG",@progbits,_ZN7rocprim17ROCPRIM_400000_NS6detail17trampoline_kernelINS0_14default_configENS1_38merge_sort_block_merge_config_selectorIyNS0_10empty_typeEEEZZNS1_27merge_sort_block_merge_implIS3_N6thrust23THRUST_200600_302600_NS6detail15normal_iteratorINS9_10device_ptrIyEEEEPS5_jNS1_19radix_merge_compareILb0ELb0EyNS0_19identity_decomposerEEEEE10hipError_tT0_T1_T2_jT3_P12ihipStream_tbPNSt15iterator_traitsISK_E10value_typeEPNSQ_ISL_E10value_typeEPSM_NS1_7vsmem_tEENKUlT_SK_SL_SM_E_clIPySE_SF_SF_EESJ_SZ_SK_SL_SM_EUlSZ_E0_NS1_11comp_targetILNS1_3genE5ELNS1_11target_archE942ELNS1_3gpuE9ELNS1_3repE0EEENS1_38merge_mergepath_config_static_selectorELNS0_4arch9wavefront6targetE1EEEvSL_,comdat
.Lfunc_end734:
	.size	_ZN7rocprim17ROCPRIM_400000_NS6detail17trampoline_kernelINS0_14default_configENS1_38merge_sort_block_merge_config_selectorIyNS0_10empty_typeEEEZZNS1_27merge_sort_block_merge_implIS3_N6thrust23THRUST_200600_302600_NS6detail15normal_iteratorINS9_10device_ptrIyEEEEPS5_jNS1_19radix_merge_compareILb0ELb0EyNS0_19identity_decomposerEEEEE10hipError_tT0_T1_T2_jT3_P12ihipStream_tbPNSt15iterator_traitsISK_E10value_typeEPNSQ_ISL_E10value_typeEPSM_NS1_7vsmem_tEENKUlT_SK_SL_SM_E_clIPySE_SF_SF_EESJ_SZ_SK_SL_SM_EUlSZ_E0_NS1_11comp_targetILNS1_3genE5ELNS1_11target_archE942ELNS1_3gpuE9ELNS1_3repE0EEENS1_38merge_mergepath_config_static_selectorELNS0_4arch9wavefront6targetE1EEEvSL_, .Lfunc_end734-_ZN7rocprim17ROCPRIM_400000_NS6detail17trampoline_kernelINS0_14default_configENS1_38merge_sort_block_merge_config_selectorIyNS0_10empty_typeEEEZZNS1_27merge_sort_block_merge_implIS3_N6thrust23THRUST_200600_302600_NS6detail15normal_iteratorINS9_10device_ptrIyEEEEPS5_jNS1_19radix_merge_compareILb0ELb0EyNS0_19identity_decomposerEEEEE10hipError_tT0_T1_T2_jT3_P12ihipStream_tbPNSt15iterator_traitsISK_E10value_typeEPNSQ_ISL_E10value_typeEPSM_NS1_7vsmem_tEENKUlT_SK_SL_SM_E_clIPySE_SF_SF_EESJ_SZ_SK_SL_SM_EUlSZ_E0_NS1_11comp_targetILNS1_3genE5ELNS1_11target_archE942ELNS1_3gpuE9ELNS1_3repE0EEENS1_38merge_mergepath_config_static_selectorELNS0_4arch9wavefront6targetE1EEEvSL_
                                        ; -- End function
	.section	.AMDGPU.csdata,"",@progbits
; Kernel info:
; codeLenInByte = 3508
; NumSgprs: 29
; NumVgprs: 34
; NumAgprs: 0
; TotalNumVgprs: 34
; ScratchSize: 0
; MemoryBound: 0
; FloatMode: 240
; IeeeMode: 1
; LDSByteSize: 8448 bytes/workgroup (compile time only)
; SGPRBlocks: 3
; VGPRBlocks: 4
; NumSGPRsForWavesPerEU: 29
; NumVGPRsForWavesPerEU: 34
; AccumOffset: 36
; Occupancy: 4
; WaveLimiterHint : 1
; COMPUTE_PGM_RSRC2:SCRATCH_EN: 0
; COMPUTE_PGM_RSRC2:USER_SGPR: 2
; COMPUTE_PGM_RSRC2:TRAP_HANDLER: 0
; COMPUTE_PGM_RSRC2:TGID_X_EN: 1
; COMPUTE_PGM_RSRC2:TGID_Y_EN: 1
; COMPUTE_PGM_RSRC2:TGID_Z_EN: 1
; COMPUTE_PGM_RSRC2:TIDIG_COMP_CNT: 0
; COMPUTE_PGM_RSRC3_GFX90A:ACCUM_OFFSET: 8
; COMPUTE_PGM_RSRC3_GFX90A:TG_SPLIT: 0
	.section	.text._ZN7rocprim17ROCPRIM_400000_NS6detail17trampoline_kernelINS0_14default_configENS1_38merge_sort_block_merge_config_selectorIyNS0_10empty_typeEEEZZNS1_27merge_sort_block_merge_implIS3_N6thrust23THRUST_200600_302600_NS6detail15normal_iteratorINS9_10device_ptrIyEEEEPS5_jNS1_19radix_merge_compareILb0ELb0EyNS0_19identity_decomposerEEEEE10hipError_tT0_T1_T2_jT3_P12ihipStream_tbPNSt15iterator_traitsISK_E10value_typeEPNSQ_ISL_E10value_typeEPSM_NS1_7vsmem_tEENKUlT_SK_SL_SM_E_clIPySE_SF_SF_EESJ_SZ_SK_SL_SM_EUlSZ_E0_NS1_11comp_targetILNS1_3genE4ELNS1_11target_archE910ELNS1_3gpuE8ELNS1_3repE0EEENS1_38merge_mergepath_config_static_selectorELNS0_4arch9wavefront6targetE1EEEvSL_,"axG",@progbits,_ZN7rocprim17ROCPRIM_400000_NS6detail17trampoline_kernelINS0_14default_configENS1_38merge_sort_block_merge_config_selectorIyNS0_10empty_typeEEEZZNS1_27merge_sort_block_merge_implIS3_N6thrust23THRUST_200600_302600_NS6detail15normal_iteratorINS9_10device_ptrIyEEEEPS5_jNS1_19radix_merge_compareILb0ELb0EyNS0_19identity_decomposerEEEEE10hipError_tT0_T1_T2_jT3_P12ihipStream_tbPNSt15iterator_traitsISK_E10value_typeEPNSQ_ISL_E10value_typeEPSM_NS1_7vsmem_tEENKUlT_SK_SL_SM_E_clIPySE_SF_SF_EESJ_SZ_SK_SL_SM_EUlSZ_E0_NS1_11comp_targetILNS1_3genE4ELNS1_11target_archE910ELNS1_3gpuE8ELNS1_3repE0EEENS1_38merge_mergepath_config_static_selectorELNS0_4arch9wavefront6targetE1EEEvSL_,comdat
	.protected	_ZN7rocprim17ROCPRIM_400000_NS6detail17trampoline_kernelINS0_14default_configENS1_38merge_sort_block_merge_config_selectorIyNS0_10empty_typeEEEZZNS1_27merge_sort_block_merge_implIS3_N6thrust23THRUST_200600_302600_NS6detail15normal_iteratorINS9_10device_ptrIyEEEEPS5_jNS1_19radix_merge_compareILb0ELb0EyNS0_19identity_decomposerEEEEE10hipError_tT0_T1_T2_jT3_P12ihipStream_tbPNSt15iterator_traitsISK_E10value_typeEPNSQ_ISL_E10value_typeEPSM_NS1_7vsmem_tEENKUlT_SK_SL_SM_E_clIPySE_SF_SF_EESJ_SZ_SK_SL_SM_EUlSZ_E0_NS1_11comp_targetILNS1_3genE4ELNS1_11target_archE910ELNS1_3gpuE8ELNS1_3repE0EEENS1_38merge_mergepath_config_static_selectorELNS0_4arch9wavefront6targetE1EEEvSL_ ; -- Begin function _ZN7rocprim17ROCPRIM_400000_NS6detail17trampoline_kernelINS0_14default_configENS1_38merge_sort_block_merge_config_selectorIyNS0_10empty_typeEEEZZNS1_27merge_sort_block_merge_implIS3_N6thrust23THRUST_200600_302600_NS6detail15normal_iteratorINS9_10device_ptrIyEEEEPS5_jNS1_19radix_merge_compareILb0ELb0EyNS0_19identity_decomposerEEEEE10hipError_tT0_T1_T2_jT3_P12ihipStream_tbPNSt15iterator_traitsISK_E10value_typeEPNSQ_ISL_E10value_typeEPSM_NS1_7vsmem_tEENKUlT_SK_SL_SM_E_clIPySE_SF_SF_EESJ_SZ_SK_SL_SM_EUlSZ_E0_NS1_11comp_targetILNS1_3genE4ELNS1_11target_archE910ELNS1_3gpuE8ELNS1_3repE0EEENS1_38merge_mergepath_config_static_selectorELNS0_4arch9wavefront6targetE1EEEvSL_
	.globl	_ZN7rocprim17ROCPRIM_400000_NS6detail17trampoline_kernelINS0_14default_configENS1_38merge_sort_block_merge_config_selectorIyNS0_10empty_typeEEEZZNS1_27merge_sort_block_merge_implIS3_N6thrust23THRUST_200600_302600_NS6detail15normal_iteratorINS9_10device_ptrIyEEEEPS5_jNS1_19radix_merge_compareILb0ELb0EyNS0_19identity_decomposerEEEEE10hipError_tT0_T1_T2_jT3_P12ihipStream_tbPNSt15iterator_traitsISK_E10value_typeEPNSQ_ISL_E10value_typeEPSM_NS1_7vsmem_tEENKUlT_SK_SL_SM_E_clIPySE_SF_SF_EESJ_SZ_SK_SL_SM_EUlSZ_E0_NS1_11comp_targetILNS1_3genE4ELNS1_11target_archE910ELNS1_3gpuE8ELNS1_3repE0EEENS1_38merge_mergepath_config_static_selectorELNS0_4arch9wavefront6targetE1EEEvSL_
	.p2align	8
	.type	_ZN7rocprim17ROCPRIM_400000_NS6detail17trampoline_kernelINS0_14default_configENS1_38merge_sort_block_merge_config_selectorIyNS0_10empty_typeEEEZZNS1_27merge_sort_block_merge_implIS3_N6thrust23THRUST_200600_302600_NS6detail15normal_iteratorINS9_10device_ptrIyEEEEPS5_jNS1_19radix_merge_compareILb0ELb0EyNS0_19identity_decomposerEEEEE10hipError_tT0_T1_T2_jT3_P12ihipStream_tbPNSt15iterator_traitsISK_E10value_typeEPNSQ_ISL_E10value_typeEPSM_NS1_7vsmem_tEENKUlT_SK_SL_SM_E_clIPySE_SF_SF_EESJ_SZ_SK_SL_SM_EUlSZ_E0_NS1_11comp_targetILNS1_3genE4ELNS1_11target_archE910ELNS1_3gpuE8ELNS1_3repE0EEENS1_38merge_mergepath_config_static_selectorELNS0_4arch9wavefront6targetE1EEEvSL_,@function
_ZN7rocprim17ROCPRIM_400000_NS6detail17trampoline_kernelINS0_14default_configENS1_38merge_sort_block_merge_config_selectorIyNS0_10empty_typeEEEZZNS1_27merge_sort_block_merge_implIS3_N6thrust23THRUST_200600_302600_NS6detail15normal_iteratorINS9_10device_ptrIyEEEEPS5_jNS1_19radix_merge_compareILb0ELb0EyNS0_19identity_decomposerEEEEE10hipError_tT0_T1_T2_jT3_P12ihipStream_tbPNSt15iterator_traitsISK_E10value_typeEPNSQ_ISL_E10value_typeEPSM_NS1_7vsmem_tEENKUlT_SK_SL_SM_E_clIPySE_SF_SF_EESJ_SZ_SK_SL_SM_EUlSZ_E0_NS1_11comp_targetILNS1_3genE4ELNS1_11target_archE910ELNS1_3gpuE8ELNS1_3repE0EEENS1_38merge_mergepath_config_static_selectorELNS0_4arch9wavefront6targetE1EEEvSL_: ; @_ZN7rocprim17ROCPRIM_400000_NS6detail17trampoline_kernelINS0_14default_configENS1_38merge_sort_block_merge_config_selectorIyNS0_10empty_typeEEEZZNS1_27merge_sort_block_merge_implIS3_N6thrust23THRUST_200600_302600_NS6detail15normal_iteratorINS9_10device_ptrIyEEEEPS5_jNS1_19radix_merge_compareILb0ELb0EyNS0_19identity_decomposerEEEEE10hipError_tT0_T1_T2_jT3_P12ihipStream_tbPNSt15iterator_traitsISK_E10value_typeEPNSQ_ISL_E10value_typeEPSM_NS1_7vsmem_tEENKUlT_SK_SL_SM_E_clIPySE_SF_SF_EESJ_SZ_SK_SL_SM_EUlSZ_E0_NS1_11comp_targetILNS1_3genE4ELNS1_11target_archE910ELNS1_3gpuE8ELNS1_3repE0EEENS1_38merge_mergepath_config_static_selectorELNS0_4arch9wavefront6targetE1EEEvSL_
; %bb.0:
	.section	.rodata,"a",@progbits
	.p2align	6, 0x0
	.amdhsa_kernel _ZN7rocprim17ROCPRIM_400000_NS6detail17trampoline_kernelINS0_14default_configENS1_38merge_sort_block_merge_config_selectorIyNS0_10empty_typeEEEZZNS1_27merge_sort_block_merge_implIS3_N6thrust23THRUST_200600_302600_NS6detail15normal_iteratorINS9_10device_ptrIyEEEEPS5_jNS1_19radix_merge_compareILb0ELb0EyNS0_19identity_decomposerEEEEE10hipError_tT0_T1_T2_jT3_P12ihipStream_tbPNSt15iterator_traitsISK_E10value_typeEPNSQ_ISL_E10value_typeEPSM_NS1_7vsmem_tEENKUlT_SK_SL_SM_E_clIPySE_SF_SF_EESJ_SZ_SK_SL_SM_EUlSZ_E0_NS1_11comp_targetILNS1_3genE4ELNS1_11target_archE910ELNS1_3gpuE8ELNS1_3repE0EEENS1_38merge_mergepath_config_static_selectorELNS0_4arch9wavefront6targetE1EEEvSL_
		.amdhsa_group_segment_fixed_size 0
		.amdhsa_private_segment_fixed_size 0
		.amdhsa_kernarg_size 64
		.amdhsa_user_sgpr_count 2
		.amdhsa_user_sgpr_dispatch_ptr 0
		.amdhsa_user_sgpr_queue_ptr 0
		.amdhsa_user_sgpr_kernarg_segment_ptr 1
		.amdhsa_user_sgpr_dispatch_id 0
		.amdhsa_user_sgpr_kernarg_preload_length 0
		.amdhsa_user_sgpr_kernarg_preload_offset 0
		.amdhsa_user_sgpr_private_segment_size 0
		.amdhsa_uses_dynamic_stack 0
		.amdhsa_enable_private_segment 0
		.amdhsa_system_sgpr_workgroup_id_x 1
		.amdhsa_system_sgpr_workgroup_id_y 0
		.amdhsa_system_sgpr_workgroup_id_z 0
		.amdhsa_system_sgpr_workgroup_info 0
		.amdhsa_system_vgpr_workitem_id 0
		.amdhsa_next_free_vgpr 1
		.amdhsa_next_free_sgpr 0
		.amdhsa_accum_offset 4
		.amdhsa_reserve_vcc 0
		.amdhsa_float_round_mode_32 0
		.amdhsa_float_round_mode_16_64 0
		.amdhsa_float_denorm_mode_32 3
		.amdhsa_float_denorm_mode_16_64 3
		.amdhsa_dx10_clamp 1
		.amdhsa_ieee_mode 1
		.amdhsa_fp16_overflow 0
		.amdhsa_tg_split 0
		.amdhsa_exception_fp_ieee_invalid_op 0
		.amdhsa_exception_fp_denorm_src 0
		.amdhsa_exception_fp_ieee_div_zero 0
		.amdhsa_exception_fp_ieee_overflow 0
		.amdhsa_exception_fp_ieee_underflow 0
		.amdhsa_exception_fp_ieee_inexact 0
		.amdhsa_exception_int_div_zero 0
	.end_amdhsa_kernel
	.section	.text._ZN7rocprim17ROCPRIM_400000_NS6detail17trampoline_kernelINS0_14default_configENS1_38merge_sort_block_merge_config_selectorIyNS0_10empty_typeEEEZZNS1_27merge_sort_block_merge_implIS3_N6thrust23THRUST_200600_302600_NS6detail15normal_iteratorINS9_10device_ptrIyEEEEPS5_jNS1_19radix_merge_compareILb0ELb0EyNS0_19identity_decomposerEEEEE10hipError_tT0_T1_T2_jT3_P12ihipStream_tbPNSt15iterator_traitsISK_E10value_typeEPNSQ_ISL_E10value_typeEPSM_NS1_7vsmem_tEENKUlT_SK_SL_SM_E_clIPySE_SF_SF_EESJ_SZ_SK_SL_SM_EUlSZ_E0_NS1_11comp_targetILNS1_3genE4ELNS1_11target_archE910ELNS1_3gpuE8ELNS1_3repE0EEENS1_38merge_mergepath_config_static_selectorELNS0_4arch9wavefront6targetE1EEEvSL_,"axG",@progbits,_ZN7rocprim17ROCPRIM_400000_NS6detail17trampoline_kernelINS0_14default_configENS1_38merge_sort_block_merge_config_selectorIyNS0_10empty_typeEEEZZNS1_27merge_sort_block_merge_implIS3_N6thrust23THRUST_200600_302600_NS6detail15normal_iteratorINS9_10device_ptrIyEEEEPS5_jNS1_19radix_merge_compareILb0ELb0EyNS0_19identity_decomposerEEEEE10hipError_tT0_T1_T2_jT3_P12ihipStream_tbPNSt15iterator_traitsISK_E10value_typeEPNSQ_ISL_E10value_typeEPSM_NS1_7vsmem_tEENKUlT_SK_SL_SM_E_clIPySE_SF_SF_EESJ_SZ_SK_SL_SM_EUlSZ_E0_NS1_11comp_targetILNS1_3genE4ELNS1_11target_archE910ELNS1_3gpuE8ELNS1_3repE0EEENS1_38merge_mergepath_config_static_selectorELNS0_4arch9wavefront6targetE1EEEvSL_,comdat
.Lfunc_end735:
	.size	_ZN7rocprim17ROCPRIM_400000_NS6detail17trampoline_kernelINS0_14default_configENS1_38merge_sort_block_merge_config_selectorIyNS0_10empty_typeEEEZZNS1_27merge_sort_block_merge_implIS3_N6thrust23THRUST_200600_302600_NS6detail15normal_iteratorINS9_10device_ptrIyEEEEPS5_jNS1_19radix_merge_compareILb0ELb0EyNS0_19identity_decomposerEEEEE10hipError_tT0_T1_T2_jT3_P12ihipStream_tbPNSt15iterator_traitsISK_E10value_typeEPNSQ_ISL_E10value_typeEPSM_NS1_7vsmem_tEENKUlT_SK_SL_SM_E_clIPySE_SF_SF_EESJ_SZ_SK_SL_SM_EUlSZ_E0_NS1_11comp_targetILNS1_3genE4ELNS1_11target_archE910ELNS1_3gpuE8ELNS1_3repE0EEENS1_38merge_mergepath_config_static_selectorELNS0_4arch9wavefront6targetE1EEEvSL_, .Lfunc_end735-_ZN7rocprim17ROCPRIM_400000_NS6detail17trampoline_kernelINS0_14default_configENS1_38merge_sort_block_merge_config_selectorIyNS0_10empty_typeEEEZZNS1_27merge_sort_block_merge_implIS3_N6thrust23THRUST_200600_302600_NS6detail15normal_iteratorINS9_10device_ptrIyEEEEPS5_jNS1_19radix_merge_compareILb0ELb0EyNS0_19identity_decomposerEEEEE10hipError_tT0_T1_T2_jT3_P12ihipStream_tbPNSt15iterator_traitsISK_E10value_typeEPNSQ_ISL_E10value_typeEPSM_NS1_7vsmem_tEENKUlT_SK_SL_SM_E_clIPySE_SF_SF_EESJ_SZ_SK_SL_SM_EUlSZ_E0_NS1_11comp_targetILNS1_3genE4ELNS1_11target_archE910ELNS1_3gpuE8ELNS1_3repE0EEENS1_38merge_mergepath_config_static_selectorELNS0_4arch9wavefront6targetE1EEEvSL_
                                        ; -- End function
	.section	.AMDGPU.csdata,"",@progbits
; Kernel info:
; codeLenInByte = 0
; NumSgprs: 6
; NumVgprs: 0
; NumAgprs: 0
; TotalNumVgprs: 0
; ScratchSize: 0
; MemoryBound: 0
; FloatMode: 240
; IeeeMode: 1
; LDSByteSize: 0 bytes/workgroup (compile time only)
; SGPRBlocks: 0
; VGPRBlocks: 0
; NumSGPRsForWavesPerEU: 6
; NumVGPRsForWavesPerEU: 1
; AccumOffset: 4
; Occupancy: 8
; WaveLimiterHint : 0
; COMPUTE_PGM_RSRC2:SCRATCH_EN: 0
; COMPUTE_PGM_RSRC2:USER_SGPR: 2
; COMPUTE_PGM_RSRC2:TRAP_HANDLER: 0
; COMPUTE_PGM_RSRC2:TGID_X_EN: 1
; COMPUTE_PGM_RSRC2:TGID_Y_EN: 0
; COMPUTE_PGM_RSRC2:TGID_Z_EN: 0
; COMPUTE_PGM_RSRC2:TIDIG_COMP_CNT: 0
; COMPUTE_PGM_RSRC3_GFX90A:ACCUM_OFFSET: 0
; COMPUTE_PGM_RSRC3_GFX90A:TG_SPLIT: 0
	.section	.text._ZN7rocprim17ROCPRIM_400000_NS6detail17trampoline_kernelINS0_14default_configENS1_38merge_sort_block_merge_config_selectorIyNS0_10empty_typeEEEZZNS1_27merge_sort_block_merge_implIS3_N6thrust23THRUST_200600_302600_NS6detail15normal_iteratorINS9_10device_ptrIyEEEEPS5_jNS1_19radix_merge_compareILb0ELb0EyNS0_19identity_decomposerEEEEE10hipError_tT0_T1_T2_jT3_P12ihipStream_tbPNSt15iterator_traitsISK_E10value_typeEPNSQ_ISL_E10value_typeEPSM_NS1_7vsmem_tEENKUlT_SK_SL_SM_E_clIPySE_SF_SF_EESJ_SZ_SK_SL_SM_EUlSZ_E0_NS1_11comp_targetILNS1_3genE3ELNS1_11target_archE908ELNS1_3gpuE7ELNS1_3repE0EEENS1_38merge_mergepath_config_static_selectorELNS0_4arch9wavefront6targetE1EEEvSL_,"axG",@progbits,_ZN7rocprim17ROCPRIM_400000_NS6detail17trampoline_kernelINS0_14default_configENS1_38merge_sort_block_merge_config_selectorIyNS0_10empty_typeEEEZZNS1_27merge_sort_block_merge_implIS3_N6thrust23THRUST_200600_302600_NS6detail15normal_iteratorINS9_10device_ptrIyEEEEPS5_jNS1_19radix_merge_compareILb0ELb0EyNS0_19identity_decomposerEEEEE10hipError_tT0_T1_T2_jT3_P12ihipStream_tbPNSt15iterator_traitsISK_E10value_typeEPNSQ_ISL_E10value_typeEPSM_NS1_7vsmem_tEENKUlT_SK_SL_SM_E_clIPySE_SF_SF_EESJ_SZ_SK_SL_SM_EUlSZ_E0_NS1_11comp_targetILNS1_3genE3ELNS1_11target_archE908ELNS1_3gpuE7ELNS1_3repE0EEENS1_38merge_mergepath_config_static_selectorELNS0_4arch9wavefront6targetE1EEEvSL_,comdat
	.protected	_ZN7rocprim17ROCPRIM_400000_NS6detail17trampoline_kernelINS0_14default_configENS1_38merge_sort_block_merge_config_selectorIyNS0_10empty_typeEEEZZNS1_27merge_sort_block_merge_implIS3_N6thrust23THRUST_200600_302600_NS6detail15normal_iteratorINS9_10device_ptrIyEEEEPS5_jNS1_19radix_merge_compareILb0ELb0EyNS0_19identity_decomposerEEEEE10hipError_tT0_T1_T2_jT3_P12ihipStream_tbPNSt15iterator_traitsISK_E10value_typeEPNSQ_ISL_E10value_typeEPSM_NS1_7vsmem_tEENKUlT_SK_SL_SM_E_clIPySE_SF_SF_EESJ_SZ_SK_SL_SM_EUlSZ_E0_NS1_11comp_targetILNS1_3genE3ELNS1_11target_archE908ELNS1_3gpuE7ELNS1_3repE0EEENS1_38merge_mergepath_config_static_selectorELNS0_4arch9wavefront6targetE1EEEvSL_ ; -- Begin function _ZN7rocprim17ROCPRIM_400000_NS6detail17trampoline_kernelINS0_14default_configENS1_38merge_sort_block_merge_config_selectorIyNS0_10empty_typeEEEZZNS1_27merge_sort_block_merge_implIS3_N6thrust23THRUST_200600_302600_NS6detail15normal_iteratorINS9_10device_ptrIyEEEEPS5_jNS1_19radix_merge_compareILb0ELb0EyNS0_19identity_decomposerEEEEE10hipError_tT0_T1_T2_jT3_P12ihipStream_tbPNSt15iterator_traitsISK_E10value_typeEPNSQ_ISL_E10value_typeEPSM_NS1_7vsmem_tEENKUlT_SK_SL_SM_E_clIPySE_SF_SF_EESJ_SZ_SK_SL_SM_EUlSZ_E0_NS1_11comp_targetILNS1_3genE3ELNS1_11target_archE908ELNS1_3gpuE7ELNS1_3repE0EEENS1_38merge_mergepath_config_static_selectorELNS0_4arch9wavefront6targetE1EEEvSL_
	.globl	_ZN7rocprim17ROCPRIM_400000_NS6detail17trampoline_kernelINS0_14default_configENS1_38merge_sort_block_merge_config_selectorIyNS0_10empty_typeEEEZZNS1_27merge_sort_block_merge_implIS3_N6thrust23THRUST_200600_302600_NS6detail15normal_iteratorINS9_10device_ptrIyEEEEPS5_jNS1_19radix_merge_compareILb0ELb0EyNS0_19identity_decomposerEEEEE10hipError_tT0_T1_T2_jT3_P12ihipStream_tbPNSt15iterator_traitsISK_E10value_typeEPNSQ_ISL_E10value_typeEPSM_NS1_7vsmem_tEENKUlT_SK_SL_SM_E_clIPySE_SF_SF_EESJ_SZ_SK_SL_SM_EUlSZ_E0_NS1_11comp_targetILNS1_3genE3ELNS1_11target_archE908ELNS1_3gpuE7ELNS1_3repE0EEENS1_38merge_mergepath_config_static_selectorELNS0_4arch9wavefront6targetE1EEEvSL_
	.p2align	8
	.type	_ZN7rocprim17ROCPRIM_400000_NS6detail17trampoline_kernelINS0_14default_configENS1_38merge_sort_block_merge_config_selectorIyNS0_10empty_typeEEEZZNS1_27merge_sort_block_merge_implIS3_N6thrust23THRUST_200600_302600_NS6detail15normal_iteratorINS9_10device_ptrIyEEEEPS5_jNS1_19radix_merge_compareILb0ELb0EyNS0_19identity_decomposerEEEEE10hipError_tT0_T1_T2_jT3_P12ihipStream_tbPNSt15iterator_traitsISK_E10value_typeEPNSQ_ISL_E10value_typeEPSM_NS1_7vsmem_tEENKUlT_SK_SL_SM_E_clIPySE_SF_SF_EESJ_SZ_SK_SL_SM_EUlSZ_E0_NS1_11comp_targetILNS1_3genE3ELNS1_11target_archE908ELNS1_3gpuE7ELNS1_3repE0EEENS1_38merge_mergepath_config_static_selectorELNS0_4arch9wavefront6targetE1EEEvSL_,@function
_ZN7rocprim17ROCPRIM_400000_NS6detail17trampoline_kernelINS0_14default_configENS1_38merge_sort_block_merge_config_selectorIyNS0_10empty_typeEEEZZNS1_27merge_sort_block_merge_implIS3_N6thrust23THRUST_200600_302600_NS6detail15normal_iteratorINS9_10device_ptrIyEEEEPS5_jNS1_19radix_merge_compareILb0ELb0EyNS0_19identity_decomposerEEEEE10hipError_tT0_T1_T2_jT3_P12ihipStream_tbPNSt15iterator_traitsISK_E10value_typeEPNSQ_ISL_E10value_typeEPSM_NS1_7vsmem_tEENKUlT_SK_SL_SM_E_clIPySE_SF_SF_EESJ_SZ_SK_SL_SM_EUlSZ_E0_NS1_11comp_targetILNS1_3genE3ELNS1_11target_archE908ELNS1_3gpuE7ELNS1_3repE0EEENS1_38merge_mergepath_config_static_selectorELNS0_4arch9wavefront6targetE1EEEvSL_: ; @_ZN7rocprim17ROCPRIM_400000_NS6detail17trampoline_kernelINS0_14default_configENS1_38merge_sort_block_merge_config_selectorIyNS0_10empty_typeEEEZZNS1_27merge_sort_block_merge_implIS3_N6thrust23THRUST_200600_302600_NS6detail15normal_iteratorINS9_10device_ptrIyEEEEPS5_jNS1_19radix_merge_compareILb0ELb0EyNS0_19identity_decomposerEEEEE10hipError_tT0_T1_T2_jT3_P12ihipStream_tbPNSt15iterator_traitsISK_E10value_typeEPNSQ_ISL_E10value_typeEPSM_NS1_7vsmem_tEENKUlT_SK_SL_SM_E_clIPySE_SF_SF_EESJ_SZ_SK_SL_SM_EUlSZ_E0_NS1_11comp_targetILNS1_3genE3ELNS1_11target_archE908ELNS1_3gpuE7ELNS1_3repE0EEENS1_38merge_mergepath_config_static_selectorELNS0_4arch9wavefront6targetE1EEEvSL_
; %bb.0:
	.section	.rodata,"a",@progbits
	.p2align	6, 0x0
	.amdhsa_kernel _ZN7rocprim17ROCPRIM_400000_NS6detail17trampoline_kernelINS0_14default_configENS1_38merge_sort_block_merge_config_selectorIyNS0_10empty_typeEEEZZNS1_27merge_sort_block_merge_implIS3_N6thrust23THRUST_200600_302600_NS6detail15normal_iteratorINS9_10device_ptrIyEEEEPS5_jNS1_19radix_merge_compareILb0ELb0EyNS0_19identity_decomposerEEEEE10hipError_tT0_T1_T2_jT3_P12ihipStream_tbPNSt15iterator_traitsISK_E10value_typeEPNSQ_ISL_E10value_typeEPSM_NS1_7vsmem_tEENKUlT_SK_SL_SM_E_clIPySE_SF_SF_EESJ_SZ_SK_SL_SM_EUlSZ_E0_NS1_11comp_targetILNS1_3genE3ELNS1_11target_archE908ELNS1_3gpuE7ELNS1_3repE0EEENS1_38merge_mergepath_config_static_selectorELNS0_4arch9wavefront6targetE1EEEvSL_
		.amdhsa_group_segment_fixed_size 0
		.amdhsa_private_segment_fixed_size 0
		.amdhsa_kernarg_size 64
		.amdhsa_user_sgpr_count 2
		.amdhsa_user_sgpr_dispatch_ptr 0
		.amdhsa_user_sgpr_queue_ptr 0
		.amdhsa_user_sgpr_kernarg_segment_ptr 1
		.amdhsa_user_sgpr_dispatch_id 0
		.amdhsa_user_sgpr_kernarg_preload_length 0
		.amdhsa_user_sgpr_kernarg_preload_offset 0
		.amdhsa_user_sgpr_private_segment_size 0
		.amdhsa_uses_dynamic_stack 0
		.amdhsa_enable_private_segment 0
		.amdhsa_system_sgpr_workgroup_id_x 1
		.amdhsa_system_sgpr_workgroup_id_y 0
		.amdhsa_system_sgpr_workgroup_id_z 0
		.amdhsa_system_sgpr_workgroup_info 0
		.amdhsa_system_vgpr_workitem_id 0
		.amdhsa_next_free_vgpr 1
		.amdhsa_next_free_sgpr 0
		.amdhsa_accum_offset 4
		.amdhsa_reserve_vcc 0
		.amdhsa_float_round_mode_32 0
		.amdhsa_float_round_mode_16_64 0
		.amdhsa_float_denorm_mode_32 3
		.amdhsa_float_denorm_mode_16_64 3
		.amdhsa_dx10_clamp 1
		.amdhsa_ieee_mode 1
		.amdhsa_fp16_overflow 0
		.amdhsa_tg_split 0
		.amdhsa_exception_fp_ieee_invalid_op 0
		.amdhsa_exception_fp_denorm_src 0
		.amdhsa_exception_fp_ieee_div_zero 0
		.amdhsa_exception_fp_ieee_overflow 0
		.amdhsa_exception_fp_ieee_underflow 0
		.amdhsa_exception_fp_ieee_inexact 0
		.amdhsa_exception_int_div_zero 0
	.end_amdhsa_kernel
	.section	.text._ZN7rocprim17ROCPRIM_400000_NS6detail17trampoline_kernelINS0_14default_configENS1_38merge_sort_block_merge_config_selectorIyNS0_10empty_typeEEEZZNS1_27merge_sort_block_merge_implIS3_N6thrust23THRUST_200600_302600_NS6detail15normal_iteratorINS9_10device_ptrIyEEEEPS5_jNS1_19radix_merge_compareILb0ELb0EyNS0_19identity_decomposerEEEEE10hipError_tT0_T1_T2_jT3_P12ihipStream_tbPNSt15iterator_traitsISK_E10value_typeEPNSQ_ISL_E10value_typeEPSM_NS1_7vsmem_tEENKUlT_SK_SL_SM_E_clIPySE_SF_SF_EESJ_SZ_SK_SL_SM_EUlSZ_E0_NS1_11comp_targetILNS1_3genE3ELNS1_11target_archE908ELNS1_3gpuE7ELNS1_3repE0EEENS1_38merge_mergepath_config_static_selectorELNS0_4arch9wavefront6targetE1EEEvSL_,"axG",@progbits,_ZN7rocprim17ROCPRIM_400000_NS6detail17trampoline_kernelINS0_14default_configENS1_38merge_sort_block_merge_config_selectorIyNS0_10empty_typeEEEZZNS1_27merge_sort_block_merge_implIS3_N6thrust23THRUST_200600_302600_NS6detail15normal_iteratorINS9_10device_ptrIyEEEEPS5_jNS1_19radix_merge_compareILb0ELb0EyNS0_19identity_decomposerEEEEE10hipError_tT0_T1_T2_jT3_P12ihipStream_tbPNSt15iterator_traitsISK_E10value_typeEPNSQ_ISL_E10value_typeEPSM_NS1_7vsmem_tEENKUlT_SK_SL_SM_E_clIPySE_SF_SF_EESJ_SZ_SK_SL_SM_EUlSZ_E0_NS1_11comp_targetILNS1_3genE3ELNS1_11target_archE908ELNS1_3gpuE7ELNS1_3repE0EEENS1_38merge_mergepath_config_static_selectorELNS0_4arch9wavefront6targetE1EEEvSL_,comdat
.Lfunc_end736:
	.size	_ZN7rocprim17ROCPRIM_400000_NS6detail17trampoline_kernelINS0_14default_configENS1_38merge_sort_block_merge_config_selectorIyNS0_10empty_typeEEEZZNS1_27merge_sort_block_merge_implIS3_N6thrust23THRUST_200600_302600_NS6detail15normal_iteratorINS9_10device_ptrIyEEEEPS5_jNS1_19radix_merge_compareILb0ELb0EyNS0_19identity_decomposerEEEEE10hipError_tT0_T1_T2_jT3_P12ihipStream_tbPNSt15iterator_traitsISK_E10value_typeEPNSQ_ISL_E10value_typeEPSM_NS1_7vsmem_tEENKUlT_SK_SL_SM_E_clIPySE_SF_SF_EESJ_SZ_SK_SL_SM_EUlSZ_E0_NS1_11comp_targetILNS1_3genE3ELNS1_11target_archE908ELNS1_3gpuE7ELNS1_3repE0EEENS1_38merge_mergepath_config_static_selectorELNS0_4arch9wavefront6targetE1EEEvSL_, .Lfunc_end736-_ZN7rocprim17ROCPRIM_400000_NS6detail17trampoline_kernelINS0_14default_configENS1_38merge_sort_block_merge_config_selectorIyNS0_10empty_typeEEEZZNS1_27merge_sort_block_merge_implIS3_N6thrust23THRUST_200600_302600_NS6detail15normal_iteratorINS9_10device_ptrIyEEEEPS5_jNS1_19radix_merge_compareILb0ELb0EyNS0_19identity_decomposerEEEEE10hipError_tT0_T1_T2_jT3_P12ihipStream_tbPNSt15iterator_traitsISK_E10value_typeEPNSQ_ISL_E10value_typeEPSM_NS1_7vsmem_tEENKUlT_SK_SL_SM_E_clIPySE_SF_SF_EESJ_SZ_SK_SL_SM_EUlSZ_E0_NS1_11comp_targetILNS1_3genE3ELNS1_11target_archE908ELNS1_3gpuE7ELNS1_3repE0EEENS1_38merge_mergepath_config_static_selectorELNS0_4arch9wavefront6targetE1EEEvSL_
                                        ; -- End function
	.section	.AMDGPU.csdata,"",@progbits
; Kernel info:
; codeLenInByte = 0
; NumSgprs: 6
; NumVgprs: 0
; NumAgprs: 0
; TotalNumVgprs: 0
; ScratchSize: 0
; MemoryBound: 0
; FloatMode: 240
; IeeeMode: 1
; LDSByteSize: 0 bytes/workgroup (compile time only)
; SGPRBlocks: 0
; VGPRBlocks: 0
; NumSGPRsForWavesPerEU: 6
; NumVGPRsForWavesPerEU: 1
; AccumOffset: 4
; Occupancy: 8
; WaveLimiterHint : 0
; COMPUTE_PGM_RSRC2:SCRATCH_EN: 0
; COMPUTE_PGM_RSRC2:USER_SGPR: 2
; COMPUTE_PGM_RSRC2:TRAP_HANDLER: 0
; COMPUTE_PGM_RSRC2:TGID_X_EN: 1
; COMPUTE_PGM_RSRC2:TGID_Y_EN: 0
; COMPUTE_PGM_RSRC2:TGID_Z_EN: 0
; COMPUTE_PGM_RSRC2:TIDIG_COMP_CNT: 0
; COMPUTE_PGM_RSRC3_GFX90A:ACCUM_OFFSET: 0
; COMPUTE_PGM_RSRC3_GFX90A:TG_SPLIT: 0
	.section	.text._ZN7rocprim17ROCPRIM_400000_NS6detail17trampoline_kernelINS0_14default_configENS1_38merge_sort_block_merge_config_selectorIyNS0_10empty_typeEEEZZNS1_27merge_sort_block_merge_implIS3_N6thrust23THRUST_200600_302600_NS6detail15normal_iteratorINS9_10device_ptrIyEEEEPS5_jNS1_19radix_merge_compareILb0ELb0EyNS0_19identity_decomposerEEEEE10hipError_tT0_T1_T2_jT3_P12ihipStream_tbPNSt15iterator_traitsISK_E10value_typeEPNSQ_ISL_E10value_typeEPSM_NS1_7vsmem_tEENKUlT_SK_SL_SM_E_clIPySE_SF_SF_EESJ_SZ_SK_SL_SM_EUlSZ_E0_NS1_11comp_targetILNS1_3genE2ELNS1_11target_archE906ELNS1_3gpuE6ELNS1_3repE0EEENS1_38merge_mergepath_config_static_selectorELNS0_4arch9wavefront6targetE1EEEvSL_,"axG",@progbits,_ZN7rocprim17ROCPRIM_400000_NS6detail17trampoline_kernelINS0_14default_configENS1_38merge_sort_block_merge_config_selectorIyNS0_10empty_typeEEEZZNS1_27merge_sort_block_merge_implIS3_N6thrust23THRUST_200600_302600_NS6detail15normal_iteratorINS9_10device_ptrIyEEEEPS5_jNS1_19radix_merge_compareILb0ELb0EyNS0_19identity_decomposerEEEEE10hipError_tT0_T1_T2_jT3_P12ihipStream_tbPNSt15iterator_traitsISK_E10value_typeEPNSQ_ISL_E10value_typeEPSM_NS1_7vsmem_tEENKUlT_SK_SL_SM_E_clIPySE_SF_SF_EESJ_SZ_SK_SL_SM_EUlSZ_E0_NS1_11comp_targetILNS1_3genE2ELNS1_11target_archE906ELNS1_3gpuE6ELNS1_3repE0EEENS1_38merge_mergepath_config_static_selectorELNS0_4arch9wavefront6targetE1EEEvSL_,comdat
	.protected	_ZN7rocprim17ROCPRIM_400000_NS6detail17trampoline_kernelINS0_14default_configENS1_38merge_sort_block_merge_config_selectorIyNS0_10empty_typeEEEZZNS1_27merge_sort_block_merge_implIS3_N6thrust23THRUST_200600_302600_NS6detail15normal_iteratorINS9_10device_ptrIyEEEEPS5_jNS1_19radix_merge_compareILb0ELb0EyNS0_19identity_decomposerEEEEE10hipError_tT0_T1_T2_jT3_P12ihipStream_tbPNSt15iterator_traitsISK_E10value_typeEPNSQ_ISL_E10value_typeEPSM_NS1_7vsmem_tEENKUlT_SK_SL_SM_E_clIPySE_SF_SF_EESJ_SZ_SK_SL_SM_EUlSZ_E0_NS1_11comp_targetILNS1_3genE2ELNS1_11target_archE906ELNS1_3gpuE6ELNS1_3repE0EEENS1_38merge_mergepath_config_static_selectorELNS0_4arch9wavefront6targetE1EEEvSL_ ; -- Begin function _ZN7rocprim17ROCPRIM_400000_NS6detail17trampoline_kernelINS0_14default_configENS1_38merge_sort_block_merge_config_selectorIyNS0_10empty_typeEEEZZNS1_27merge_sort_block_merge_implIS3_N6thrust23THRUST_200600_302600_NS6detail15normal_iteratorINS9_10device_ptrIyEEEEPS5_jNS1_19radix_merge_compareILb0ELb0EyNS0_19identity_decomposerEEEEE10hipError_tT0_T1_T2_jT3_P12ihipStream_tbPNSt15iterator_traitsISK_E10value_typeEPNSQ_ISL_E10value_typeEPSM_NS1_7vsmem_tEENKUlT_SK_SL_SM_E_clIPySE_SF_SF_EESJ_SZ_SK_SL_SM_EUlSZ_E0_NS1_11comp_targetILNS1_3genE2ELNS1_11target_archE906ELNS1_3gpuE6ELNS1_3repE0EEENS1_38merge_mergepath_config_static_selectorELNS0_4arch9wavefront6targetE1EEEvSL_
	.globl	_ZN7rocprim17ROCPRIM_400000_NS6detail17trampoline_kernelINS0_14default_configENS1_38merge_sort_block_merge_config_selectorIyNS0_10empty_typeEEEZZNS1_27merge_sort_block_merge_implIS3_N6thrust23THRUST_200600_302600_NS6detail15normal_iteratorINS9_10device_ptrIyEEEEPS5_jNS1_19radix_merge_compareILb0ELb0EyNS0_19identity_decomposerEEEEE10hipError_tT0_T1_T2_jT3_P12ihipStream_tbPNSt15iterator_traitsISK_E10value_typeEPNSQ_ISL_E10value_typeEPSM_NS1_7vsmem_tEENKUlT_SK_SL_SM_E_clIPySE_SF_SF_EESJ_SZ_SK_SL_SM_EUlSZ_E0_NS1_11comp_targetILNS1_3genE2ELNS1_11target_archE906ELNS1_3gpuE6ELNS1_3repE0EEENS1_38merge_mergepath_config_static_selectorELNS0_4arch9wavefront6targetE1EEEvSL_
	.p2align	8
	.type	_ZN7rocprim17ROCPRIM_400000_NS6detail17trampoline_kernelINS0_14default_configENS1_38merge_sort_block_merge_config_selectorIyNS0_10empty_typeEEEZZNS1_27merge_sort_block_merge_implIS3_N6thrust23THRUST_200600_302600_NS6detail15normal_iteratorINS9_10device_ptrIyEEEEPS5_jNS1_19radix_merge_compareILb0ELb0EyNS0_19identity_decomposerEEEEE10hipError_tT0_T1_T2_jT3_P12ihipStream_tbPNSt15iterator_traitsISK_E10value_typeEPNSQ_ISL_E10value_typeEPSM_NS1_7vsmem_tEENKUlT_SK_SL_SM_E_clIPySE_SF_SF_EESJ_SZ_SK_SL_SM_EUlSZ_E0_NS1_11comp_targetILNS1_3genE2ELNS1_11target_archE906ELNS1_3gpuE6ELNS1_3repE0EEENS1_38merge_mergepath_config_static_selectorELNS0_4arch9wavefront6targetE1EEEvSL_,@function
_ZN7rocprim17ROCPRIM_400000_NS6detail17trampoline_kernelINS0_14default_configENS1_38merge_sort_block_merge_config_selectorIyNS0_10empty_typeEEEZZNS1_27merge_sort_block_merge_implIS3_N6thrust23THRUST_200600_302600_NS6detail15normal_iteratorINS9_10device_ptrIyEEEEPS5_jNS1_19radix_merge_compareILb0ELb0EyNS0_19identity_decomposerEEEEE10hipError_tT0_T1_T2_jT3_P12ihipStream_tbPNSt15iterator_traitsISK_E10value_typeEPNSQ_ISL_E10value_typeEPSM_NS1_7vsmem_tEENKUlT_SK_SL_SM_E_clIPySE_SF_SF_EESJ_SZ_SK_SL_SM_EUlSZ_E0_NS1_11comp_targetILNS1_3genE2ELNS1_11target_archE906ELNS1_3gpuE6ELNS1_3repE0EEENS1_38merge_mergepath_config_static_selectorELNS0_4arch9wavefront6targetE1EEEvSL_: ; @_ZN7rocprim17ROCPRIM_400000_NS6detail17trampoline_kernelINS0_14default_configENS1_38merge_sort_block_merge_config_selectorIyNS0_10empty_typeEEEZZNS1_27merge_sort_block_merge_implIS3_N6thrust23THRUST_200600_302600_NS6detail15normal_iteratorINS9_10device_ptrIyEEEEPS5_jNS1_19radix_merge_compareILb0ELb0EyNS0_19identity_decomposerEEEEE10hipError_tT0_T1_T2_jT3_P12ihipStream_tbPNSt15iterator_traitsISK_E10value_typeEPNSQ_ISL_E10value_typeEPSM_NS1_7vsmem_tEENKUlT_SK_SL_SM_E_clIPySE_SF_SF_EESJ_SZ_SK_SL_SM_EUlSZ_E0_NS1_11comp_targetILNS1_3genE2ELNS1_11target_archE906ELNS1_3gpuE6ELNS1_3repE0EEENS1_38merge_mergepath_config_static_selectorELNS0_4arch9wavefront6targetE1EEEvSL_
; %bb.0:
	.section	.rodata,"a",@progbits
	.p2align	6, 0x0
	.amdhsa_kernel _ZN7rocprim17ROCPRIM_400000_NS6detail17trampoline_kernelINS0_14default_configENS1_38merge_sort_block_merge_config_selectorIyNS0_10empty_typeEEEZZNS1_27merge_sort_block_merge_implIS3_N6thrust23THRUST_200600_302600_NS6detail15normal_iteratorINS9_10device_ptrIyEEEEPS5_jNS1_19radix_merge_compareILb0ELb0EyNS0_19identity_decomposerEEEEE10hipError_tT0_T1_T2_jT3_P12ihipStream_tbPNSt15iterator_traitsISK_E10value_typeEPNSQ_ISL_E10value_typeEPSM_NS1_7vsmem_tEENKUlT_SK_SL_SM_E_clIPySE_SF_SF_EESJ_SZ_SK_SL_SM_EUlSZ_E0_NS1_11comp_targetILNS1_3genE2ELNS1_11target_archE906ELNS1_3gpuE6ELNS1_3repE0EEENS1_38merge_mergepath_config_static_selectorELNS0_4arch9wavefront6targetE1EEEvSL_
		.amdhsa_group_segment_fixed_size 0
		.amdhsa_private_segment_fixed_size 0
		.amdhsa_kernarg_size 64
		.amdhsa_user_sgpr_count 2
		.amdhsa_user_sgpr_dispatch_ptr 0
		.amdhsa_user_sgpr_queue_ptr 0
		.amdhsa_user_sgpr_kernarg_segment_ptr 1
		.amdhsa_user_sgpr_dispatch_id 0
		.amdhsa_user_sgpr_kernarg_preload_length 0
		.amdhsa_user_sgpr_kernarg_preload_offset 0
		.amdhsa_user_sgpr_private_segment_size 0
		.amdhsa_uses_dynamic_stack 0
		.amdhsa_enable_private_segment 0
		.amdhsa_system_sgpr_workgroup_id_x 1
		.amdhsa_system_sgpr_workgroup_id_y 0
		.amdhsa_system_sgpr_workgroup_id_z 0
		.amdhsa_system_sgpr_workgroup_info 0
		.amdhsa_system_vgpr_workitem_id 0
		.amdhsa_next_free_vgpr 1
		.amdhsa_next_free_sgpr 0
		.amdhsa_accum_offset 4
		.amdhsa_reserve_vcc 0
		.amdhsa_float_round_mode_32 0
		.amdhsa_float_round_mode_16_64 0
		.amdhsa_float_denorm_mode_32 3
		.amdhsa_float_denorm_mode_16_64 3
		.amdhsa_dx10_clamp 1
		.amdhsa_ieee_mode 1
		.amdhsa_fp16_overflow 0
		.amdhsa_tg_split 0
		.amdhsa_exception_fp_ieee_invalid_op 0
		.amdhsa_exception_fp_denorm_src 0
		.amdhsa_exception_fp_ieee_div_zero 0
		.amdhsa_exception_fp_ieee_overflow 0
		.amdhsa_exception_fp_ieee_underflow 0
		.amdhsa_exception_fp_ieee_inexact 0
		.amdhsa_exception_int_div_zero 0
	.end_amdhsa_kernel
	.section	.text._ZN7rocprim17ROCPRIM_400000_NS6detail17trampoline_kernelINS0_14default_configENS1_38merge_sort_block_merge_config_selectorIyNS0_10empty_typeEEEZZNS1_27merge_sort_block_merge_implIS3_N6thrust23THRUST_200600_302600_NS6detail15normal_iteratorINS9_10device_ptrIyEEEEPS5_jNS1_19radix_merge_compareILb0ELb0EyNS0_19identity_decomposerEEEEE10hipError_tT0_T1_T2_jT3_P12ihipStream_tbPNSt15iterator_traitsISK_E10value_typeEPNSQ_ISL_E10value_typeEPSM_NS1_7vsmem_tEENKUlT_SK_SL_SM_E_clIPySE_SF_SF_EESJ_SZ_SK_SL_SM_EUlSZ_E0_NS1_11comp_targetILNS1_3genE2ELNS1_11target_archE906ELNS1_3gpuE6ELNS1_3repE0EEENS1_38merge_mergepath_config_static_selectorELNS0_4arch9wavefront6targetE1EEEvSL_,"axG",@progbits,_ZN7rocprim17ROCPRIM_400000_NS6detail17trampoline_kernelINS0_14default_configENS1_38merge_sort_block_merge_config_selectorIyNS0_10empty_typeEEEZZNS1_27merge_sort_block_merge_implIS3_N6thrust23THRUST_200600_302600_NS6detail15normal_iteratorINS9_10device_ptrIyEEEEPS5_jNS1_19radix_merge_compareILb0ELb0EyNS0_19identity_decomposerEEEEE10hipError_tT0_T1_T2_jT3_P12ihipStream_tbPNSt15iterator_traitsISK_E10value_typeEPNSQ_ISL_E10value_typeEPSM_NS1_7vsmem_tEENKUlT_SK_SL_SM_E_clIPySE_SF_SF_EESJ_SZ_SK_SL_SM_EUlSZ_E0_NS1_11comp_targetILNS1_3genE2ELNS1_11target_archE906ELNS1_3gpuE6ELNS1_3repE0EEENS1_38merge_mergepath_config_static_selectorELNS0_4arch9wavefront6targetE1EEEvSL_,comdat
.Lfunc_end737:
	.size	_ZN7rocprim17ROCPRIM_400000_NS6detail17trampoline_kernelINS0_14default_configENS1_38merge_sort_block_merge_config_selectorIyNS0_10empty_typeEEEZZNS1_27merge_sort_block_merge_implIS3_N6thrust23THRUST_200600_302600_NS6detail15normal_iteratorINS9_10device_ptrIyEEEEPS5_jNS1_19radix_merge_compareILb0ELb0EyNS0_19identity_decomposerEEEEE10hipError_tT0_T1_T2_jT3_P12ihipStream_tbPNSt15iterator_traitsISK_E10value_typeEPNSQ_ISL_E10value_typeEPSM_NS1_7vsmem_tEENKUlT_SK_SL_SM_E_clIPySE_SF_SF_EESJ_SZ_SK_SL_SM_EUlSZ_E0_NS1_11comp_targetILNS1_3genE2ELNS1_11target_archE906ELNS1_3gpuE6ELNS1_3repE0EEENS1_38merge_mergepath_config_static_selectorELNS0_4arch9wavefront6targetE1EEEvSL_, .Lfunc_end737-_ZN7rocprim17ROCPRIM_400000_NS6detail17trampoline_kernelINS0_14default_configENS1_38merge_sort_block_merge_config_selectorIyNS0_10empty_typeEEEZZNS1_27merge_sort_block_merge_implIS3_N6thrust23THRUST_200600_302600_NS6detail15normal_iteratorINS9_10device_ptrIyEEEEPS5_jNS1_19radix_merge_compareILb0ELb0EyNS0_19identity_decomposerEEEEE10hipError_tT0_T1_T2_jT3_P12ihipStream_tbPNSt15iterator_traitsISK_E10value_typeEPNSQ_ISL_E10value_typeEPSM_NS1_7vsmem_tEENKUlT_SK_SL_SM_E_clIPySE_SF_SF_EESJ_SZ_SK_SL_SM_EUlSZ_E0_NS1_11comp_targetILNS1_3genE2ELNS1_11target_archE906ELNS1_3gpuE6ELNS1_3repE0EEENS1_38merge_mergepath_config_static_selectorELNS0_4arch9wavefront6targetE1EEEvSL_
                                        ; -- End function
	.section	.AMDGPU.csdata,"",@progbits
; Kernel info:
; codeLenInByte = 0
; NumSgprs: 6
; NumVgprs: 0
; NumAgprs: 0
; TotalNumVgprs: 0
; ScratchSize: 0
; MemoryBound: 0
; FloatMode: 240
; IeeeMode: 1
; LDSByteSize: 0 bytes/workgroup (compile time only)
; SGPRBlocks: 0
; VGPRBlocks: 0
; NumSGPRsForWavesPerEU: 6
; NumVGPRsForWavesPerEU: 1
; AccumOffset: 4
; Occupancy: 8
; WaveLimiterHint : 0
; COMPUTE_PGM_RSRC2:SCRATCH_EN: 0
; COMPUTE_PGM_RSRC2:USER_SGPR: 2
; COMPUTE_PGM_RSRC2:TRAP_HANDLER: 0
; COMPUTE_PGM_RSRC2:TGID_X_EN: 1
; COMPUTE_PGM_RSRC2:TGID_Y_EN: 0
; COMPUTE_PGM_RSRC2:TGID_Z_EN: 0
; COMPUTE_PGM_RSRC2:TIDIG_COMP_CNT: 0
; COMPUTE_PGM_RSRC3_GFX90A:ACCUM_OFFSET: 0
; COMPUTE_PGM_RSRC3_GFX90A:TG_SPLIT: 0
	.section	.text._ZN7rocprim17ROCPRIM_400000_NS6detail17trampoline_kernelINS0_14default_configENS1_38merge_sort_block_merge_config_selectorIyNS0_10empty_typeEEEZZNS1_27merge_sort_block_merge_implIS3_N6thrust23THRUST_200600_302600_NS6detail15normal_iteratorINS9_10device_ptrIyEEEEPS5_jNS1_19radix_merge_compareILb0ELb0EyNS0_19identity_decomposerEEEEE10hipError_tT0_T1_T2_jT3_P12ihipStream_tbPNSt15iterator_traitsISK_E10value_typeEPNSQ_ISL_E10value_typeEPSM_NS1_7vsmem_tEENKUlT_SK_SL_SM_E_clIPySE_SF_SF_EESJ_SZ_SK_SL_SM_EUlSZ_E0_NS1_11comp_targetILNS1_3genE9ELNS1_11target_archE1100ELNS1_3gpuE3ELNS1_3repE0EEENS1_38merge_mergepath_config_static_selectorELNS0_4arch9wavefront6targetE1EEEvSL_,"axG",@progbits,_ZN7rocprim17ROCPRIM_400000_NS6detail17trampoline_kernelINS0_14default_configENS1_38merge_sort_block_merge_config_selectorIyNS0_10empty_typeEEEZZNS1_27merge_sort_block_merge_implIS3_N6thrust23THRUST_200600_302600_NS6detail15normal_iteratorINS9_10device_ptrIyEEEEPS5_jNS1_19radix_merge_compareILb0ELb0EyNS0_19identity_decomposerEEEEE10hipError_tT0_T1_T2_jT3_P12ihipStream_tbPNSt15iterator_traitsISK_E10value_typeEPNSQ_ISL_E10value_typeEPSM_NS1_7vsmem_tEENKUlT_SK_SL_SM_E_clIPySE_SF_SF_EESJ_SZ_SK_SL_SM_EUlSZ_E0_NS1_11comp_targetILNS1_3genE9ELNS1_11target_archE1100ELNS1_3gpuE3ELNS1_3repE0EEENS1_38merge_mergepath_config_static_selectorELNS0_4arch9wavefront6targetE1EEEvSL_,comdat
	.protected	_ZN7rocprim17ROCPRIM_400000_NS6detail17trampoline_kernelINS0_14default_configENS1_38merge_sort_block_merge_config_selectorIyNS0_10empty_typeEEEZZNS1_27merge_sort_block_merge_implIS3_N6thrust23THRUST_200600_302600_NS6detail15normal_iteratorINS9_10device_ptrIyEEEEPS5_jNS1_19radix_merge_compareILb0ELb0EyNS0_19identity_decomposerEEEEE10hipError_tT0_T1_T2_jT3_P12ihipStream_tbPNSt15iterator_traitsISK_E10value_typeEPNSQ_ISL_E10value_typeEPSM_NS1_7vsmem_tEENKUlT_SK_SL_SM_E_clIPySE_SF_SF_EESJ_SZ_SK_SL_SM_EUlSZ_E0_NS1_11comp_targetILNS1_3genE9ELNS1_11target_archE1100ELNS1_3gpuE3ELNS1_3repE0EEENS1_38merge_mergepath_config_static_selectorELNS0_4arch9wavefront6targetE1EEEvSL_ ; -- Begin function _ZN7rocprim17ROCPRIM_400000_NS6detail17trampoline_kernelINS0_14default_configENS1_38merge_sort_block_merge_config_selectorIyNS0_10empty_typeEEEZZNS1_27merge_sort_block_merge_implIS3_N6thrust23THRUST_200600_302600_NS6detail15normal_iteratorINS9_10device_ptrIyEEEEPS5_jNS1_19radix_merge_compareILb0ELb0EyNS0_19identity_decomposerEEEEE10hipError_tT0_T1_T2_jT3_P12ihipStream_tbPNSt15iterator_traitsISK_E10value_typeEPNSQ_ISL_E10value_typeEPSM_NS1_7vsmem_tEENKUlT_SK_SL_SM_E_clIPySE_SF_SF_EESJ_SZ_SK_SL_SM_EUlSZ_E0_NS1_11comp_targetILNS1_3genE9ELNS1_11target_archE1100ELNS1_3gpuE3ELNS1_3repE0EEENS1_38merge_mergepath_config_static_selectorELNS0_4arch9wavefront6targetE1EEEvSL_
	.globl	_ZN7rocprim17ROCPRIM_400000_NS6detail17trampoline_kernelINS0_14default_configENS1_38merge_sort_block_merge_config_selectorIyNS0_10empty_typeEEEZZNS1_27merge_sort_block_merge_implIS3_N6thrust23THRUST_200600_302600_NS6detail15normal_iteratorINS9_10device_ptrIyEEEEPS5_jNS1_19radix_merge_compareILb0ELb0EyNS0_19identity_decomposerEEEEE10hipError_tT0_T1_T2_jT3_P12ihipStream_tbPNSt15iterator_traitsISK_E10value_typeEPNSQ_ISL_E10value_typeEPSM_NS1_7vsmem_tEENKUlT_SK_SL_SM_E_clIPySE_SF_SF_EESJ_SZ_SK_SL_SM_EUlSZ_E0_NS1_11comp_targetILNS1_3genE9ELNS1_11target_archE1100ELNS1_3gpuE3ELNS1_3repE0EEENS1_38merge_mergepath_config_static_selectorELNS0_4arch9wavefront6targetE1EEEvSL_
	.p2align	8
	.type	_ZN7rocprim17ROCPRIM_400000_NS6detail17trampoline_kernelINS0_14default_configENS1_38merge_sort_block_merge_config_selectorIyNS0_10empty_typeEEEZZNS1_27merge_sort_block_merge_implIS3_N6thrust23THRUST_200600_302600_NS6detail15normal_iteratorINS9_10device_ptrIyEEEEPS5_jNS1_19radix_merge_compareILb0ELb0EyNS0_19identity_decomposerEEEEE10hipError_tT0_T1_T2_jT3_P12ihipStream_tbPNSt15iterator_traitsISK_E10value_typeEPNSQ_ISL_E10value_typeEPSM_NS1_7vsmem_tEENKUlT_SK_SL_SM_E_clIPySE_SF_SF_EESJ_SZ_SK_SL_SM_EUlSZ_E0_NS1_11comp_targetILNS1_3genE9ELNS1_11target_archE1100ELNS1_3gpuE3ELNS1_3repE0EEENS1_38merge_mergepath_config_static_selectorELNS0_4arch9wavefront6targetE1EEEvSL_,@function
_ZN7rocprim17ROCPRIM_400000_NS6detail17trampoline_kernelINS0_14default_configENS1_38merge_sort_block_merge_config_selectorIyNS0_10empty_typeEEEZZNS1_27merge_sort_block_merge_implIS3_N6thrust23THRUST_200600_302600_NS6detail15normal_iteratorINS9_10device_ptrIyEEEEPS5_jNS1_19radix_merge_compareILb0ELb0EyNS0_19identity_decomposerEEEEE10hipError_tT0_T1_T2_jT3_P12ihipStream_tbPNSt15iterator_traitsISK_E10value_typeEPNSQ_ISL_E10value_typeEPSM_NS1_7vsmem_tEENKUlT_SK_SL_SM_E_clIPySE_SF_SF_EESJ_SZ_SK_SL_SM_EUlSZ_E0_NS1_11comp_targetILNS1_3genE9ELNS1_11target_archE1100ELNS1_3gpuE3ELNS1_3repE0EEENS1_38merge_mergepath_config_static_selectorELNS0_4arch9wavefront6targetE1EEEvSL_: ; @_ZN7rocprim17ROCPRIM_400000_NS6detail17trampoline_kernelINS0_14default_configENS1_38merge_sort_block_merge_config_selectorIyNS0_10empty_typeEEEZZNS1_27merge_sort_block_merge_implIS3_N6thrust23THRUST_200600_302600_NS6detail15normal_iteratorINS9_10device_ptrIyEEEEPS5_jNS1_19radix_merge_compareILb0ELb0EyNS0_19identity_decomposerEEEEE10hipError_tT0_T1_T2_jT3_P12ihipStream_tbPNSt15iterator_traitsISK_E10value_typeEPNSQ_ISL_E10value_typeEPSM_NS1_7vsmem_tEENKUlT_SK_SL_SM_E_clIPySE_SF_SF_EESJ_SZ_SK_SL_SM_EUlSZ_E0_NS1_11comp_targetILNS1_3genE9ELNS1_11target_archE1100ELNS1_3gpuE3ELNS1_3repE0EEENS1_38merge_mergepath_config_static_selectorELNS0_4arch9wavefront6targetE1EEEvSL_
; %bb.0:
	.section	.rodata,"a",@progbits
	.p2align	6, 0x0
	.amdhsa_kernel _ZN7rocprim17ROCPRIM_400000_NS6detail17trampoline_kernelINS0_14default_configENS1_38merge_sort_block_merge_config_selectorIyNS0_10empty_typeEEEZZNS1_27merge_sort_block_merge_implIS3_N6thrust23THRUST_200600_302600_NS6detail15normal_iteratorINS9_10device_ptrIyEEEEPS5_jNS1_19radix_merge_compareILb0ELb0EyNS0_19identity_decomposerEEEEE10hipError_tT0_T1_T2_jT3_P12ihipStream_tbPNSt15iterator_traitsISK_E10value_typeEPNSQ_ISL_E10value_typeEPSM_NS1_7vsmem_tEENKUlT_SK_SL_SM_E_clIPySE_SF_SF_EESJ_SZ_SK_SL_SM_EUlSZ_E0_NS1_11comp_targetILNS1_3genE9ELNS1_11target_archE1100ELNS1_3gpuE3ELNS1_3repE0EEENS1_38merge_mergepath_config_static_selectorELNS0_4arch9wavefront6targetE1EEEvSL_
		.amdhsa_group_segment_fixed_size 0
		.amdhsa_private_segment_fixed_size 0
		.amdhsa_kernarg_size 64
		.amdhsa_user_sgpr_count 2
		.amdhsa_user_sgpr_dispatch_ptr 0
		.amdhsa_user_sgpr_queue_ptr 0
		.amdhsa_user_sgpr_kernarg_segment_ptr 1
		.amdhsa_user_sgpr_dispatch_id 0
		.amdhsa_user_sgpr_kernarg_preload_length 0
		.amdhsa_user_sgpr_kernarg_preload_offset 0
		.amdhsa_user_sgpr_private_segment_size 0
		.amdhsa_uses_dynamic_stack 0
		.amdhsa_enable_private_segment 0
		.amdhsa_system_sgpr_workgroup_id_x 1
		.amdhsa_system_sgpr_workgroup_id_y 0
		.amdhsa_system_sgpr_workgroup_id_z 0
		.amdhsa_system_sgpr_workgroup_info 0
		.amdhsa_system_vgpr_workitem_id 0
		.amdhsa_next_free_vgpr 1
		.amdhsa_next_free_sgpr 0
		.amdhsa_accum_offset 4
		.amdhsa_reserve_vcc 0
		.amdhsa_float_round_mode_32 0
		.amdhsa_float_round_mode_16_64 0
		.amdhsa_float_denorm_mode_32 3
		.amdhsa_float_denorm_mode_16_64 3
		.amdhsa_dx10_clamp 1
		.amdhsa_ieee_mode 1
		.amdhsa_fp16_overflow 0
		.amdhsa_tg_split 0
		.amdhsa_exception_fp_ieee_invalid_op 0
		.amdhsa_exception_fp_denorm_src 0
		.amdhsa_exception_fp_ieee_div_zero 0
		.amdhsa_exception_fp_ieee_overflow 0
		.amdhsa_exception_fp_ieee_underflow 0
		.amdhsa_exception_fp_ieee_inexact 0
		.amdhsa_exception_int_div_zero 0
	.end_amdhsa_kernel
	.section	.text._ZN7rocprim17ROCPRIM_400000_NS6detail17trampoline_kernelINS0_14default_configENS1_38merge_sort_block_merge_config_selectorIyNS0_10empty_typeEEEZZNS1_27merge_sort_block_merge_implIS3_N6thrust23THRUST_200600_302600_NS6detail15normal_iteratorINS9_10device_ptrIyEEEEPS5_jNS1_19radix_merge_compareILb0ELb0EyNS0_19identity_decomposerEEEEE10hipError_tT0_T1_T2_jT3_P12ihipStream_tbPNSt15iterator_traitsISK_E10value_typeEPNSQ_ISL_E10value_typeEPSM_NS1_7vsmem_tEENKUlT_SK_SL_SM_E_clIPySE_SF_SF_EESJ_SZ_SK_SL_SM_EUlSZ_E0_NS1_11comp_targetILNS1_3genE9ELNS1_11target_archE1100ELNS1_3gpuE3ELNS1_3repE0EEENS1_38merge_mergepath_config_static_selectorELNS0_4arch9wavefront6targetE1EEEvSL_,"axG",@progbits,_ZN7rocprim17ROCPRIM_400000_NS6detail17trampoline_kernelINS0_14default_configENS1_38merge_sort_block_merge_config_selectorIyNS0_10empty_typeEEEZZNS1_27merge_sort_block_merge_implIS3_N6thrust23THRUST_200600_302600_NS6detail15normal_iteratorINS9_10device_ptrIyEEEEPS5_jNS1_19radix_merge_compareILb0ELb0EyNS0_19identity_decomposerEEEEE10hipError_tT0_T1_T2_jT3_P12ihipStream_tbPNSt15iterator_traitsISK_E10value_typeEPNSQ_ISL_E10value_typeEPSM_NS1_7vsmem_tEENKUlT_SK_SL_SM_E_clIPySE_SF_SF_EESJ_SZ_SK_SL_SM_EUlSZ_E0_NS1_11comp_targetILNS1_3genE9ELNS1_11target_archE1100ELNS1_3gpuE3ELNS1_3repE0EEENS1_38merge_mergepath_config_static_selectorELNS0_4arch9wavefront6targetE1EEEvSL_,comdat
.Lfunc_end738:
	.size	_ZN7rocprim17ROCPRIM_400000_NS6detail17trampoline_kernelINS0_14default_configENS1_38merge_sort_block_merge_config_selectorIyNS0_10empty_typeEEEZZNS1_27merge_sort_block_merge_implIS3_N6thrust23THRUST_200600_302600_NS6detail15normal_iteratorINS9_10device_ptrIyEEEEPS5_jNS1_19radix_merge_compareILb0ELb0EyNS0_19identity_decomposerEEEEE10hipError_tT0_T1_T2_jT3_P12ihipStream_tbPNSt15iterator_traitsISK_E10value_typeEPNSQ_ISL_E10value_typeEPSM_NS1_7vsmem_tEENKUlT_SK_SL_SM_E_clIPySE_SF_SF_EESJ_SZ_SK_SL_SM_EUlSZ_E0_NS1_11comp_targetILNS1_3genE9ELNS1_11target_archE1100ELNS1_3gpuE3ELNS1_3repE0EEENS1_38merge_mergepath_config_static_selectorELNS0_4arch9wavefront6targetE1EEEvSL_, .Lfunc_end738-_ZN7rocprim17ROCPRIM_400000_NS6detail17trampoline_kernelINS0_14default_configENS1_38merge_sort_block_merge_config_selectorIyNS0_10empty_typeEEEZZNS1_27merge_sort_block_merge_implIS3_N6thrust23THRUST_200600_302600_NS6detail15normal_iteratorINS9_10device_ptrIyEEEEPS5_jNS1_19radix_merge_compareILb0ELb0EyNS0_19identity_decomposerEEEEE10hipError_tT0_T1_T2_jT3_P12ihipStream_tbPNSt15iterator_traitsISK_E10value_typeEPNSQ_ISL_E10value_typeEPSM_NS1_7vsmem_tEENKUlT_SK_SL_SM_E_clIPySE_SF_SF_EESJ_SZ_SK_SL_SM_EUlSZ_E0_NS1_11comp_targetILNS1_3genE9ELNS1_11target_archE1100ELNS1_3gpuE3ELNS1_3repE0EEENS1_38merge_mergepath_config_static_selectorELNS0_4arch9wavefront6targetE1EEEvSL_
                                        ; -- End function
	.section	.AMDGPU.csdata,"",@progbits
; Kernel info:
; codeLenInByte = 0
; NumSgprs: 6
; NumVgprs: 0
; NumAgprs: 0
; TotalNumVgprs: 0
; ScratchSize: 0
; MemoryBound: 0
; FloatMode: 240
; IeeeMode: 1
; LDSByteSize: 0 bytes/workgroup (compile time only)
; SGPRBlocks: 0
; VGPRBlocks: 0
; NumSGPRsForWavesPerEU: 6
; NumVGPRsForWavesPerEU: 1
; AccumOffset: 4
; Occupancy: 8
; WaveLimiterHint : 0
; COMPUTE_PGM_RSRC2:SCRATCH_EN: 0
; COMPUTE_PGM_RSRC2:USER_SGPR: 2
; COMPUTE_PGM_RSRC2:TRAP_HANDLER: 0
; COMPUTE_PGM_RSRC2:TGID_X_EN: 1
; COMPUTE_PGM_RSRC2:TGID_Y_EN: 0
; COMPUTE_PGM_RSRC2:TGID_Z_EN: 0
; COMPUTE_PGM_RSRC2:TIDIG_COMP_CNT: 0
; COMPUTE_PGM_RSRC3_GFX90A:ACCUM_OFFSET: 0
; COMPUTE_PGM_RSRC3_GFX90A:TG_SPLIT: 0
	.section	.text._ZN7rocprim17ROCPRIM_400000_NS6detail17trampoline_kernelINS0_14default_configENS1_38merge_sort_block_merge_config_selectorIyNS0_10empty_typeEEEZZNS1_27merge_sort_block_merge_implIS3_N6thrust23THRUST_200600_302600_NS6detail15normal_iteratorINS9_10device_ptrIyEEEEPS5_jNS1_19radix_merge_compareILb0ELb0EyNS0_19identity_decomposerEEEEE10hipError_tT0_T1_T2_jT3_P12ihipStream_tbPNSt15iterator_traitsISK_E10value_typeEPNSQ_ISL_E10value_typeEPSM_NS1_7vsmem_tEENKUlT_SK_SL_SM_E_clIPySE_SF_SF_EESJ_SZ_SK_SL_SM_EUlSZ_E0_NS1_11comp_targetILNS1_3genE8ELNS1_11target_archE1030ELNS1_3gpuE2ELNS1_3repE0EEENS1_38merge_mergepath_config_static_selectorELNS0_4arch9wavefront6targetE1EEEvSL_,"axG",@progbits,_ZN7rocprim17ROCPRIM_400000_NS6detail17trampoline_kernelINS0_14default_configENS1_38merge_sort_block_merge_config_selectorIyNS0_10empty_typeEEEZZNS1_27merge_sort_block_merge_implIS3_N6thrust23THRUST_200600_302600_NS6detail15normal_iteratorINS9_10device_ptrIyEEEEPS5_jNS1_19radix_merge_compareILb0ELb0EyNS0_19identity_decomposerEEEEE10hipError_tT0_T1_T2_jT3_P12ihipStream_tbPNSt15iterator_traitsISK_E10value_typeEPNSQ_ISL_E10value_typeEPSM_NS1_7vsmem_tEENKUlT_SK_SL_SM_E_clIPySE_SF_SF_EESJ_SZ_SK_SL_SM_EUlSZ_E0_NS1_11comp_targetILNS1_3genE8ELNS1_11target_archE1030ELNS1_3gpuE2ELNS1_3repE0EEENS1_38merge_mergepath_config_static_selectorELNS0_4arch9wavefront6targetE1EEEvSL_,comdat
	.protected	_ZN7rocprim17ROCPRIM_400000_NS6detail17trampoline_kernelINS0_14default_configENS1_38merge_sort_block_merge_config_selectorIyNS0_10empty_typeEEEZZNS1_27merge_sort_block_merge_implIS3_N6thrust23THRUST_200600_302600_NS6detail15normal_iteratorINS9_10device_ptrIyEEEEPS5_jNS1_19radix_merge_compareILb0ELb0EyNS0_19identity_decomposerEEEEE10hipError_tT0_T1_T2_jT3_P12ihipStream_tbPNSt15iterator_traitsISK_E10value_typeEPNSQ_ISL_E10value_typeEPSM_NS1_7vsmem_tEENKUlT_SK_SL_SM_E_clIPySE_SF_SF_EESJ_SZ_SK_SL_SM_EUlSZ_E0_NS1_11comp_targetILNS1_3genE8ELNS1_11target_archE1030ELNS1_3gpuE2ELNS1_3repE0EEENS1_38merge_mergepath_config_static_selectorELNS0_4arch9wavefront6targetE1EEEvSL_ ; -- Begin function _ZN7rocprim17ROCPRIM_400000_NS6detail17trampoline_kernelINS0_14default_configENS1_38merge_sort_block_merge_config_selectorIyNS0_10empty_typeEEEZZNS1_27merge_sort_block_merge_implIS3_N6thrust23THRUST_200600_302600_NS6detail15normal_iteratorINS9_10device_ptrIyEEEEPS5_jNS1_19radix_merge_compareILb0ELb0EyNS0_19identity_decomposerEEEEE10hipError_tT0_T1_T2_jT3_P12ihipStream_tbPNSt15iterator_traitsISK_E10value_typeEPNSQ_ISL_E10value_typeEPSM_NS1_7vsmem_tEENKUlT_SK_SL_SM_E_clIPySE_SF_SF_EESJ_SZ_SK_SL_SM_EUlSZ_E0_NS1_11comp_targetILNS1_3genE8ELNS1_11target_archE1030ELNS1_3gpuE2ELNS1_3repE0EEENS1_38merge_mergepath_config_static_selectorELNS0_4arch9wavefront6targetE1EEEvSL_
	.globl	_ZN7rocprim17ROCPRIM_400000_NS6detail17trampoline_kernelINS0_14default_configENS1_38merge_sort_block_merge_config_selectorIyNS0_10empty_typeEEEZZNS1_27merge_sort_block_merge_implIS3_N6thrust23THRUST_200600_302600_NS6detail15normal_iteratorINS9_10device_ptrIyEEEEPS5_jNS1_19radix_merge_compareILb0ELb0EyNS0_19identity_decomposerEEEEE10hipError_tT0_T1_T2_jT3_P12ihipStream_tbPNSt15iterator_traitsISK_E10value_typeEPNSQ_ISL_E10value_typeEPSM_NS1_7vsmem_tEENKUlT_SK_SL_SM_E_clIPySE_SF_SF_EESJ_SZ_SK_SL_SM_EUlSZ_E0_NS1_11comp_targetILNS1_3genE8ELNS1_11target_archE1030ELNS1_3gpuE2ELNS1_3repE0EEENS1_38merge_mergepath_config_static_selectorELNS0_4arch9wavefront6targetE1EEEvSL_
	.p2align	8
	.type	_ZN7rocprim17ROCPRIM_400000_NS6detail17trampoline_kernelINS0_14default_configENS1_38merge_sort_block_merge_config_selectorIyNS0_10empty_typeEEEZZNS1_27merge_sort_block_merge_implIS3_N6thrust23THRUST_200600_302600_NS6detail15normal_iteratorINS9_10device_ptrIyEEEEPS5_jNS1_19radix_merge_compareILb0ELb0EyNS0_19identity_decomposerEEEEE10hipError_tT0_T1_T2_jT3_P12ihipStream_tbPNSt15iterator_traitsISK_E10value_typeEPNSQ_ISL_E10value_typeEPSM_NS1_7vsmem_tEENKUlT_SK_SL_SM_E_clIPySE_SF_SF_EESJ_SZ_SK_SL_SM_EUlSZ_E0_NS1_11comp_targetILNS1_3genE8ELNS1_11target_archE1030ELNS1_3gpuE2ELNS1_3repE0EEENS1_38merge_mergepath_config_static_selectorELNS0_4arch9wavefront6targetE1EEEvSL_,@function
_ZN7rocprim17ROCPRIM_400000_NS6detail17trampoline_kernelINS0_14default_configENS1_38merge_sort_block_merge_config_selectorIyNS0_10empty_typeEEEZZNS1_27merge_sort_block_merge_implIS3_N6thrust23THRUST_200600_302600_NS6detail15normal_iteratorINS9_10device_ptrIyEEEEPS5_jNS1_19radix_merge_compareILb0ELb0EyNS0_19identity_decomposerEEEEE10hipError_tT0_T1_T2_jT3_P12ihipStream_tbPNSt15iterator_traitsISK_E10value_typeEPNSQ_ISL_E10value_typeEPSM_NS1_7vsmem_tEENKUlT_SK_SL_SM_E_clIPySE_SF_SF_EESJ_SZ_SK_SL_SM_EUlSZ_E0_NS1_11comp_targetILNS1_3genE8ELNS1_11target_archE1030ELNS1_3gpuE2ELNS1_3repE0EEENS1_38merge_mergepath_config_static_selectorELNS0_4arch9wavefront6targetE1EEEvSL_: ; @_ZN7rocprim17ROCPRIM_400000_NS6detail17trampoline_kernelINS0_14default_configENS1_38merge_sort_block_merge_config_selectorIyNS0_10empty_typeEEEZZNS1_27merge_sort_block_merge_implIS3_N6thrust23THRUST_200600_302600_NS6detail15normal_iteratorINS9_10device_ptrIyEEEEPS5_jNS1_19radix_merge_compareILb0ELb0EyNS0_19identity_decomposerEEEEE10hipError_tT0_T1_T2_jT3_P12ihipStream_tbPNSt15iterator_traitsISK_E10value_typeEPNSQ_ISL_E10value_typeEPSM_NS1_7vsmem_tEENKUlT_SK_SL_SM_E_clIPySE_SF_SF_EESJ_SZ_SK_SL_SM_EUlSZ_E0_NS1_11comp_targetILNS1_3genE8ELNS1_11target_archE1030ELNS1_3gpuE2ELNS1_3repE0EEENS1_38merge_mergepath_config_static_selectorELNS0_4arch9wavefront6targetE1EEEvSL_
; %bb.0:
	.section	.rodata,"a",@progbits
	.p2align	6, 0x0
	.amdhsa_kernel _ZN7rocprim17ROCPRIM_400000_NS6detail17trampoline_kernelINS0_14default_configENS1_38merge_sort_block_merge_config_selectorIyNS0_10empty_typeEEEZZNS1_27merge_sort_block_merge_implIS3_N6thrust23THRUST_200600_302600_NS6detail15normal_iteratorINS9_10device_ptrIyEEEEPS5_jNS1_19radix_merge_compareILb0ELb0EyNS0_19identity_decomposerEEEEE10hipError_tT0_T1_T2_jT3_P12ihipStream_tbPNSt15iterator_traitsISK_E10value_typeEPNSQ_ISL_E10value_typeEPSM_NS1_7vsmem_tEENKUlT_SK_SL_SM_E_clIPySE_SF_SF_EESJ_SZ_SK_SL_SM_EUlSZ_E0_NS1_11comp_targetILNS1_3genE8ELNS1_11target_archE1030ELNS1_3gpuE2ELNS1_3repE0EEENS1_38merge_mergepath_config_static_selectorELNS0_4arch9wavefront6targetE1EEEvSL_
		.amdhsa_group_segment_fixed_size 0
		.amdhsa_private_segment_fixed_size 0
		.amdhsa_kernarg_size 64
		.amdhsa_user_sgpr_count 2
		.amdhsa_user_sgpr_dispatch_ptr 0
		.amdhsa_user_sgpr_queue_ptr 0
		.amdhsa_user_sgpr_kernarg_segment_ptr 1
		.amdhsa_user_sgpr_dispatch_id 0
		.amdhsa_user_sgpr_kernarg_preload_length 0
		.amdhsa_user_sgpr_kernarg_preload_offset 0
		.amdhsa_user_sgpr_private_segment_size 0
		.amdhsa_uses_dynamic_stack 0
		.amdhsa_enable_private_segment 0
		.amdhsa_system_sgpr_workgroup_id_x 1
		.amdhsa_system_sgpr_workgroup_id_y 0
		.amdhsa_system_sgpr_workgroup_id_z 0
		.amdhsa_system_sgpr_workgroup_info 0
		.amdhsa_system_vgpr_workitem_id 0
		.amdhsa_next_free_vgpr 1
		.amdhsa_next_free_sgpr 0
		.amdhsa_accum_offset 4
		.amdhsa_reserve_vcc 0
		.amdhsa_float_round_mode_32 0
		.amdhsa_float_round_mode_16_64 0
		.amdhsa_float_denorm_mode_32 3
		.amdhsa_float_denorm_mode_16_64 3
		.amdhsa_dx10_clamp 1
		.amdhsa_ieee_mode 1
		.amdhsa_fp16_overflow 0
		.amdhsa_tg_split 0
		.amdhsa_exception_fp_ieee_invalid_op 0
		.amdhsa_exception_fp_denorm_src 0
		.amdhsa_exception_fp_ieee_div_zero 0
		.amdhsa_exception_fp_ieee_overflow 0
		.amdhsa_exception_fp_ieee_underflow 0
		.amdhsa_exception_fp_ieee_inexact 0
		.amdhsa_exception_int_div_zero 0
	.end_amdhsa_kernel
	.section	.text._ZN7rocprim17ROCPRIM_400000_NS6detail17trampoline_kernelINS0_14default_configENS1_38merge_sort_block_merge_config_selectorIyNS0_10empty_typeEEEZZNS1_27merge_sort_block_merge_implIS3_N6thrust23THRUST_200600_302600_NS6detail15normal_iteratorINS9_10device_ptrIyEEEEPS5_jNS1_19radix_merge_compareILb0ELb0EyNS0_19identity_decomposerEEEEE10hipError_tT0_T1_T2_jT3_P12ihipStream_tbPNSt15iterator_traitsISK_E10value_typeEPNSQ_ISL_E10value_typeEPSM_NS1_7vsmem_tEENKUlT_SK_SL_SM_E_clIPySE_SF_SF_EESJ_SZ_SK_SL_SM_EUlSZ_E0_NS1_11comp_targetILNS1_3genE8ELNS1_11target_archE1030ELNS1_3gpuE2ELNS1_3repE0EEENS1_38merge_mergepath_config_static_selectorELNS0_4arch9wavefront6targetE1EEEvSL_,"axG",@progbits,_ZN7rocprim17ROCPRIM_400000_NS6detail17trampoline_kernelINS0_14default_configENS1_38merge_sort_block_merge_config_selectorIyNS0_10empty_typeEEEZZNS1_27merge_sort_block_merge_implIS3_N6thrust23THRUST_200600_302600_NS6detail15normal_iteratorINS9_10device_ptrIyEEEEPS5_jNS1_19radix_merge_compareILb0ELb0EyNS0_19identity_decomposerEEEEE10hipError_tT0_T1_T2_jT3_P12ihipStream_tbPNSt15iterator_traitsISK_E10value_typeEPNSQ_ISL_E10value_typeEPSM_NS1_7vsmem_tEENKUlT_SK_SL_SM_E_clIPySE_SF_SF_EESJ_SZ_SK_SL_SM_EUlSZ_E0_NS1_11comp_targetILNS1_3genE8ELNS1_11target_archE1030ELNS1_3gpuE2ELNS1_3repE0EEENS1_38merge_mergepath_config_static_selectorELNS0_4arch9wavefront6targetE1EEEvSL_,comdat
.Lfunc_end739:
	.size	_ZN7rocprim17ROCPRIM_400000_NS6detail17trampoline_kernelINS0_14default_configENS1_38merge_sort_block_merge_config_selectorIyNS0_10empty_typeEEEZZNS1_27merge_sort_block_merge_implIS3_N6thrust23THRUST_200600_302600_NS6detail15normal_iteratorINS9_10device_ptrIyEEEEPS5_jNS1_19radix_merge_compareILb0ELb0EyNS0_19identity_decomposerEEEEE10hipError_tT0_T1_T2_jT3_P12ihipStream_tbPNSt15iterator_traitsISK_E10value_typeEPNSQ_ISL_E10value_typeEPSM_NS1_7vsmem_tEENKUlT_SK_SL_SM_E_clIPySE_SF_SF_EESJ_SZ_SK_SL_SM_EUlSZ_E0_NS1_11comp_targetILNS1_3genE8ELNS1_11target_archE1030ELNS1_3gpuE2ELNS1_3repE0EEENS1_38merge_mergepath_config_static_selectorELNS0_4arch9wavefront6targetE1EEEvSL_, .Lfunc_end739-_ZN7rocprim17ROCPRIM_400000_NS6detail17trampoline_kernelINS0_14default_configENS1_38merge_sort_block_merge_config_selectorIyNS0_10empty_typeEEEZZNS1_27merge_sort_block_merge_implIS3_N6thrust23THRUST_200600_302600_NS6detail15normal_iteratorINS9_10device_ptrIyEEEEPS5_jNS1_19radix_merge_compareILb0ELb0EyNS0_19identity_decomposerEEEEE10hipError_tT0_T1_T2_jT3_P12ihipStream_tbPNSt15iterator_traitsISK_E10value_typeEPNSQ_ISL_E10value_typeEPSM_NS1_7vsmem_tEENKUlT_SK_SL_SM_E_clIPySE_SF_SF_EESJ_SZ_SK_SL_SM_EUlSZ_E0_NS1_11comp_targetILNS1_3genE8ELNS1_11target_archE1030ELNS1_3gpuE2ELNS1_3repE0EEENS1_38merge_mergepath_config_static_selectorELNS0_4arch9wavefront6targetE1EEEvSL_
                                        ; -- End function
	.section	.AMDGPU.csdata,"",@progbits
; Kernel info:
; codeLenInByte = 0
; NumSgprs: 6
; NumVgprs: 0
; NumAgprs: 0
; TotalNumVgprs: 0
; ScratchSize: 0
; MemoryBound: 0
; FloatMode: 240
; IeeeMode: 1
; LDSByteSize: 0 bytes/workgroup (compile time only)
; SGPRBlocks: 0
; VGPRBlocks: 0
; NumSGPRsForWavesPerEU: 6
; NumVGPRsForWavesPerEU: 1
; AccumOffset: 4
; Occupancy: 8
; WaveLimiterHint : 0
; COMPUTE_PGM_RSRC2:SCRATCH_EN: 0
; COMPUTE_PGM_RSRC2:USER_SGPR: 2
; COMPUTE_PGM_RSRC2:TRAP_HANDLER: 0
; COMPUTE_PGM_RSRC2:TGID_X_EN: 1
; COMPUTE_PGM_RSRC2:TGID_Y_EN: 0
; COMPUTE_PGM_RSRC2:TGID_Z_EN: 0
; COMPUTE_PGM_RSRC2:TIDIG_COMP_CNT: 0
; COMPUTE_PGM_RSRC3_GFX90A:ACCUM_OFFSET: 0
; COMPUTE_PGM_RSRC3_GFX90A:TG_SPLIT: 0
	.section	.text._ZN7rocprim17ROCPRIM_400000_NS6detail17trampoline_kernelINS0_14default_configENS1_38merge_sort_block_merge_config_selectorIyNS0_10empty_typeEEEZZNS1_27merge_sort_block_merge_implIS3_N6thrust23THRUST_200600_302600_NS6detail15normal_iteratorINS9_10device_ptrIyEEEEPS5_jNS1_19radix_merge_compareILb0ELb0EyNS0_19identity_decomposerEEEEE10hipError_tT0_T1_T2_jT3_P12ihipStream_tbPNSt15iterator_traitsISK_E10value_typeEPNSQ_ISL_E10value_typeEPSM_NS1_7vsmem_tEENKUlT_SK_SL_SM_E_clIPySE_SF_SF_EESJ_SZ_SK_SL_SM_EUlSZ_E1_NS1_11comp_targetILNS1_3genE0ELNS1_11target_archE4294967295ELNS1_3gpuE0ELNS1_3repE0EEENS1_36merge_oddeven_config_static_selectorELNS0_4arch9wavefront6targetE1EEEvSL_,"axG",@progbits,_ZN7rocprim17ROCPRIM_400000_NS6detail17trampoline_kernelINS0_14default_configENS1_38merge_sort_block_merge_config_selectorIyNS0_10empty_typeEEEZZNS1_27merge_sort_block_merge_implIS3_N6thrust23THRUST_200600_302600_NS6detail15normal_iteratorINS9_10device_ptrIyEEEEPS5_jNS1_19radix_merge_compareILb0ELb0EyNS0_19identity_decomposerEEEEE10hipError_tT0_T1_T2_jT3_P12ihipStream_tbPNSt15iterator_traitsISK_E10value_typeEPNSQ_ISL_E10value_typeEPSM_NS1_7vsmem_tEENKUlT_SK_SL_SM_E_clIPySE_SF_SF_EESJ_SZ_SK_SL_SM_EUlSZ_E1_NS1_11comp_targetILNS1_3genE0ELNS1_11target_archE4294967295ELNS1_3gpuE0ELNS1_3repE0EEENS1_36merge_oddeven_config_static_selectorELNS0_4arch9wavefront6targetE1EEEvSL_,comdat
	.protected	_ZN7rocprim17ROCPRIM_400000_NS6detail17trampoline_kernelINS0_14default_configENS1_38merge_sort_block_merge_config_selectorIyNS0_10empty_typeEEEZZNS1_27merge_sort_block_merge_implIS3_N6thrust23THRUST_200600_302600_NS6detail15normal_iteratorINS9_10device_ptrIyEEEEPS5_jNS1_19radix_merge_compareILb0ELb0EyNS0_19identity_decomposerEEEEE10hipError_tT0_T1_T2_jT3_P12ihipStream_tbPNSt15iterator_traitsISK_E10value_typeEPNSQ_ISL_E10value_typeEPSM_NS1_7vsmem_tEENKUlT_SK_SL_SM_E_clIPySE_SF_SF_EESJ_SZ_SK_SL_SM_EUlSZ_E1_NS1_11comp_targetILNS1_3genE0ELNS1_11target_archE4294967295ELNS1_3gpuE0ELNS1_3repE0EEENS1_36merge_oddeven_config_static_selectorELNS0_4arch9wavefront6targetE1EEEvSL_ ; -- Begin function _ZN7rocprim17ROCPRIM_400000_NS6detail17trampoline_kernelINS0_14default_configENS1_38merge_sort_block_merge_config_selectorIyNS0_10empty_typeEEEZZNS1_27merge_sort_block_merge_implIS3_N6thrust23THRUST_200600_302600_NS6detail15normal_iteratorINS9_10device_ptrIyEEEEPS5_jNS1_19radix_merge_compareILb0ELb0EyNS0_19identity_decomposerEEEEE10hipError_tT0_T1_T2_jT3_P12ihipStream_tbPNSt15iterator_traitsISK_E10value_typeEPNSQ_ISL_E10value_typeEPSM_NS1_7vsmem_tEENKUlT_SK_SL_SM_E_clIPySE_SF_SF_EESJ_SZ_SK_SL_SM_EUlSZ_E1_NS1_11comp_targetILNS1_3genE0ELNS1_11target_archE4294967295ELNS1_3gpuE0ELNS1_3repE0EEENS1_36merge_oddeven_config_static_selectorELNS0_4arch9wavefront6targetE1EEEvSL_
	.globl	_ZN7rocprim17ROCPRIM_400000_NS6detail17trampoline_kernelINS0_14default_configENS1_38merge_sort_block_merge_config_selectorIyNS0_10empty_typeEEEZZNS1_27merge_sort_block_merge_implIS3_N6thrust23THRUST_200600_302600_NS6detail15normal_iteratorINS9_10device_ptrIyEEEEPS5_jNS1_19radix_merge_compareILb0ELb0EyNS0_19identity_decomposerEEEEE10hipError_tT0_T1_T2_jT3_P12ihipStream_tbPNSt15iterator_traitsISK_E10value_typeEPNSQ_ISL_E10value_typeEPSM_NS1_7vsmem_tEENKUlT_SK_SL_SM_E_clIPySE_SF_SF_EESJ_SZ_SK_SL_SM_EUlSZ_E1_NS1_11comp_targetILNS1_3genE0ELNS1_11target_archE4294967295ELNS1_3gpuE0ELNS1_3repE0EEENS1_36merge_oddeven_config_static_selectorELNS0_4arch9wavefront6targetE1EEEvSL_
	.p2align	8
	.type	_ZN7rocprim17ROCPRIM_400000_NS6detail17trampoline_kernelINS0_14default_configENS1_38merge_sort_block_merge_config_selectorIyNS0_10empty_typeEEEZZNS1_27merge_sort_block_merge_implIS3_N6thrust23THRUST_200600_302600_NS6detail15normal_iteratorINS9_10device_ptrIyEEEEPS5_jNS1_19radix_merge_compareILb0ELb0EyNS0_19identity_decomposerEEEEE10hipError_tT0_T1_T2_jT3_P12ihipStream_tbPNSt15iterator_traitsISK_E10value_typeEPNSQ_ISL_E10value_typeEPSM_NS1_7vsmem_tEENKUlT_SK_SL_SM_E_clIPySE_SF_SF_EESJ_SZ_SK_SL_SM_EUlSZ_E1_NS1_11comp_targetILNS1_3genE0ELNS1_11target_archE4294967295ELNS1_3gpuE0ELNS1_3repE0EEENS1_36merge_oddeven_config_static_selectorELNS0_4arch9wavefront6targetE1EEEvSL_,@function
_ZN7rocprim17ROCPRIM_400000_NS6detail17trampoline_kernelINS0_14default_configENS1_38merge_sort_block_merge_config_selectorIyNS0_10empty_typeEEEZZNS1_27merge_sort_block_merge_implIS3_N6thrust23THRUST_200600_302600_NS6detail15normal_iteratorINS9_10device_ptrIyEEEEPS5_jNS1_19radix_merge_compareILb0ELb0EyNS0_19identity_decomposerEEEEE10hipError_tT0_T1_T2_jT3_P12ihipStream_tbPNSt15iterator_traitsISK_E10value_typeEPNSQ_ISL_E10value_typeEPSM_NS1_7vsmem_tEENKUlT_SK_SL_SM_E_clIPySE_SF_SF_EESJ_SZ_SK_SL_SM_EUlSZ_E1_NS1_11comp_targetILNS1_3genE0ELNS1_11target_archE4294967295ELNS1_3gpuE0ELNS1_3repE0EEENS1_36merge_oddeven_config_static_selectorELNS0_4arch9wavefront6targetE1EEEvSL_: ; @_ZN7rocprim17ROCPRIM_400000_NS6detail17trampoline_kernelINS0_14default_configENS1_38merge_sort_block_merge_config_selectorIyNS0_10empty_typeEEEZZNS1_27merge_sort_block_merge_implIS3_N6thrust23THRUST_200600_302600_NS6detail15normal_iteratorINS9_10device_ptrIyEEEEPS5_jNS1_19radix_merge_compareILb0ELb0EyNS0_19identity_decomposerEEEEE10hipError_tT0_T1_T2_jT3_P12ihipStream_tbPNSt15iterator_traitsISK_E10value_typeEPNSQ_ISL_E10value_typeEPSM_NS1_7vsmem_tEENKUlT_SK_SL_SM_E_clIPySE_SF_SF_EESJ_SZ_SK_SL_SM_EUlSZ_E1_NS1_11comp_targetILNS1_3genE0ELNS1_11target_archE4294967295ELNS1_3gpuE0ELNS1_3repE0EEENS1_36merge_oddeven_config_static_selectorELNS0_4arch9wavefront6targetE1EEEvSL_
; %bb.0:
	.section	.rodata,"a",@progbits
	.p2align	6, 0x0
	.amdhsa_kernel _ZN7rocprim17ROCPRIM_400000_NS6detail17trampoline_kernelINS0_14default_configENS1_38merge_sort_block_merge_config_selectorIyNS0_10empty_typeEEEZZNS1_27merge_sort_block_merge_implIS3_N6thrust23THRUST_200600_302600_NS6detail15normal_iteratorINS9_10device_ptrIyEEEEPS5_jNS1_19radix_merge_compareILb0ELb0EyNS0_19identity_decomposerEEEEE10hipError_tT0_T1_T2_jT3_P12ihipStream_tbPNSt15iterator_traitsISK_E10value_typeEPNSQ_ISL_E10value_typeEPSM_NS1_7vsmem_tEENKUlT_SK_SL_SM_E_clIPySE_SF_SF_EESJ_SZ_SK_SL_SM_EUlSZ_E1_NS1_11comp_targetILNS1_3genE0ELNS1_11target_archE4294967295ELNS1_3gpuE0ELNS1_3repE0EEENS1_36merge_oddeven_config_static_selectorELNS0_4arch9wavefront6targetE1EEEvSL_
		.amdhsa_group_segment_fixed_size 0
		.amdhsa_private_segment_fixed_size 0
		.amdhsa_kernarg_size 48
		.amdhsa_user_sgpr_count 2
		.amdhsa_user_sgpr_dispatch_ptr 0
		.amdhsa_user_sgpr_queue_ptr 0
		.amdhsa_user_sgpr_kernarg_segment_ptr 1
		.amdhsa_user_sgpr_dispatch_id 0
		.amdhsa_user_sgpr_kernarg_preload_length 0
		.amdhsa_user_sgpr_kernarg_preload_offset 0
		.amdhsa_user_sgpr_private_segment_size 0
		.amdhsa_uses_dynamic_stack 0
		.amdhsa_enable_private_segment 0
		.amdhsa_system_sgpr_workgroup_id_x 1
		.amdhsa_system_sgpr_workgroup_id_y 0
		.amdhsa_system_sgpr_workgroup_id_z 0
		.amdhsa_system_sgpr_workgroup_info 0
		.amdhsa_system_vgpr_workitem_id 0
		.amdhsa_next_free_vgpr 1
		.amdhsa_next_free_sgpr 0
		.amdhsa_accum_offset 4
		.amdhsa_reserve_vcc 0
		.amdhsa_float_round_mode_32 0
		.amdhsa_float_round_mode_16_64 0
		.amdhsa_float_denorm_mode_32 3
		.amdhsa_float_denorm_mode_16_64 3
		.amdhsa_dx10_clamp 1
		.amdhsa_ieee_mode 1
		.amdhsa_fp16_overflow 0
		.amdhsa_tg_split 0
		.amdhsa_exception_fp_ieee_invalid_op 0
		.amdhsa_exception_fp_denorm_src 0
		.amdhsa_exception_fp_ieee_div_zero 0
		.amdhsa_exception_fp_ieee_overflow 0
		.amdhsa_exception_fp_ieee_underflow 0
		.amdhsa_exception_fp_ieee_inexact 0
		.amdhsa_exception_int_div_zero 0
	.end_amdhsa_kernel
	.section	.text._ZN7rocprim17ROCPRIM_400000_NS6detail17trampoline_kernelINS0_14default_configENS1_38merge_sort_block_merge_config_selectorIyNS0_10empty_typeEEEZZNS1_27merge_sort_block_merge_implIS3_N6thrust23THRUST_200600_302600_NS6detail15normal_iteratorINS9_10device_ptrIyEEEEPS5_jNS1_19radix_merge_compareILb0ELb0EyNS0_19identity_decomposerEEEEE10hipError_tT0_T1_T2_jT3_P12ihipStream_tbPNSt15iterator_traitsISK_E10value_typeEPNSQ_ISL_E10value_typeEPSM_NS1_7vsmem_tEENKUlT_SK_SL_SM_E_clIPySE_SF_SF_EESJ_SZ_SK_SL_SM_EUlSZ_E1_NS1_11comp_targetILNS1_3genE0ELNS1_11target_archE4294967295ELNS1_3gpuE0ELNS1_3repE0EEENS1_36merge_oddeven_config_static_selectorELNS0_4arch9wavefront6targetE1EEEvSL_,"axG",@progbits,_ZN7rocprim17ROCPRIM_400000_NS6detail17trampoline_kernelINS0_14default_configENS1_38merge_sort_block_merge_config_selectorIyNS0_10empty_typeEEEZZNS1_27merge_sort_block_merge_implIS3_N6thrust23THRUST_200600_302600_NS6detail15normal_iteratorINS9_10device_ptrIyEEEEPS5_jNS1_19radix_merge_compareILb0ELb0EyNS0_19identity_decomposerEEEEE10hipError_tT0_T1_T2_jT3_P12ihipStream_tbPNSt15iterator_traitsISK_E10value_typeEPNSQ_ISL_E10value_typeEPSM_NS1_7vsmem_tEENKUlT_SK_SL_SM_E_clIPySE_SF_SF_EESJ_SZ_SK_SL_SM_EUlSZ_E1_NS1_11comp_targetILNS1_3genE0ELNS1_11target_archE4294967295ELNS1_3gpuE0ELNS1_3repE0EEENS1_36merge_oddeven_config_static_selectorELNS0_4arch9wavefront6targetE1EEEvSL_,comdat
.Lfunc_end740:
	.size	_ZN7rocprim17ROCPRIM_400000_NS6detail17trampoline_kernelINS0_14default_configENS1_38merge_sort_block_merge_config_selectorIyNS0_10empty_typeEEEZZNS1_27merge_sort_block_merge_implIS3_N6thrust23THRUST_200600_302600_NS6detail15normal_iteratorINS9_10device_ptrIyEEEEPS5_jNS1_19radix_merge_compareILb0ELb0EyNS0_19identity_decomposerEEEEE10hipError_tT0_T1_T2_jT3_P12ihipStream_tbPNSt15iterator_traitsISK_E10value_typeEPNSQ_ISL_E10value_typeEPSM_NS1_7vsmem_tEENKUlT_SK_SL_SM_E_clIPySE_SF_SF_EESJ_SZ_SK_SL_SM_EUlSZ_E1_NS1_11comp_targetILNS1_3genE0ELNS1_11target_archE4294967295ELNS1_3gpuE0ELNS1_3repE0EEENS1_36merge_oddeven_config_static_selectorELNS0_4arch9wavefront6targetE1EEEvSL_, .Lfunc_end740-_ZN7rocprim17ROCPRIM_400000_NS6detail17trampoline_kernelINS0_14default_configENS1_38merge_sort_block_merge_config_selectorIyNS0_10empty_typeEEEZZNS1_27merge_sort_block_merge_implIS3_N6thrust23THRUST_200600_302600_NS6detail15normal_iteratorINS9_10device_ptrIyEEEEPS5_jNS1_19radix_merge_compareILb0ELb0EyNS0_19identity_decomposerEEEEE10hipError_tT0_T1_T2_jT3_P12ihipStream_tbPNSt15iterator_traitsISK_E10value_typeEPNSQ_ISL_E10value_typeEPSM_NS1_7vsmem_tEENKUlT_SK_SL_SM_E_clIPySE_SF_SF_EESJ_SZ_SK_SL_SM_EUlSZ_E1_NS1_11comp_targetILNS1_3genE0ELNS1_11target_archE4294967295ELNS1_3gpuE0ELNS1_3repE0EEENS1_36merge_oddeven_config_static_selectorELNS0_4arch9wavefront6targetE1EEEvSL_
                                        ; -- End function
	.section	.AMDGPU.csdata,"",@progbits
; Kernel info:
; codeLenInByte = 0
; NumSgprs: 6
; NumVgprs: 0
; NumAgprs: 0
; TotalNumVgprs: 0
; ScratchSize: 0
; MemoryBound: 0
; FloatMode: 240
; IeeeMode: 1
; LDSByteSize: 0 bytes/workgroup (compile time only)
; SGPRBlocks: 0
; VGPRBlocks: 0
; NumSGPRsForWavesPerEU: 6
; NumVGPRsForWavesPerEU: 1
; AccumOffset: 4
; Occupancy: 8
; WaveLimiterHint : 0
; COMPUTE_PGM_RSRC2:SCRATCH_EN: 0
; COMPUTE_PGM_RSRC2:USER_SGPR: 2
; COMPUTE_PGM_RSRC2:TRAP_HANDLER: 0
; COMPUTE_PGM_RSRC2:TGID_X_EN: 1
; COMPUTE_PGM_RSRC2:TGID_Y_EN: 0
; COMPUTE_PGM_RSRC2:TGID_Z_EN: 0
; COMPUTE_PGM_RSRC2:TIDIG_COMP_CNT: 0
; COMPUTE_PGM_RSRC3_GFX90A:ACCUM_OFFSET: 0
; COMPUTE_PGM_RSRC3_GFX90A:TG_SPLIT: 0
	.section	.text._ZN7rocprim17ROCPRIM_400000_NS6detail17trampoline_kernelINS0_14default_configENS1_38merge_sort_block_merge_config_selectorIyNS0_10empty_typeEEEZZNS1_27merge_sort_block_merge_implIS3_N6thrust23THRUST_200600_302600_NS6detail15normal_iteratorINS9_10device_ptrIyEEEEPS5_jNS1_19radix_merge_compareILb0ELb0EyNS0_19identity_decomposerEEEEE10hipError_tT0_T1_T2_jT3_P12ihipStream_tbPNSt15iterator_traitsISK_E10value_typeEPNSQ_ISL_E10value_typeEPSM_NS1_7vsmem_tEENKUlT_SK_SL_SM_E_clIPySE_SF_SF_EESJ_SZ_SK_SL_SM_EUlSZ_E1_NS1_11comp_targetILNS1_3genE10ELNS1_11target_archE1201ELNS1_3gpuE5ELNS1_3repE0EEENS1_36merge_oddeven_config_static_selectorELNS0_4arch9wavefront6targetE1EEEvSL_,"axG",@progbits,_ZN7rocprim17ROCPRIM_400000_NS6detail17trampoline_kernelINS0_14default_configENS1_38merge_sort_block_merge_config_selectorIyNS0_10empty_typeEEEZZNS1_27merge_sort_block_merge_implIS3_N6thrust23THRUST_200600_302600_NS6detail15normal_iteratorINS9_10device_ptrIyEEEEPS5_jNS1_19radix_merge_compareILb0ELb0EyNS0_19identity_decomposerEEEEE10hipError_tT0_T1_T2_jT3_P12ihipStream_tbPNSt15iterator_traitsISK_E10value_typeEPNSQ_ISL_E10value_typeEPSM_NS1_7vsmem_tEENKUlT_SK_SL_SM_E_clIPySE_SF_SF_EESJ_SZ_SK_SL_SM_EUlSZ_E1_NS1_11comp_targetILNS1_3genE10ELNS1_11target_archE1201ELNS1_3gpuE5ELNS1_3repE0EEENS1_36merge_oddeven_config_static_selectorELNS0_4arch9wavefront6targetE1EEEvSL_,comdat
	.protected	_ZN7rocprim17ROCPRIM_400000_NS6detail17trampoline_kernelINS0_14default_configENS1_38merge_sort_block_merge_config_selectorIyNS0_10empty_typeEEEZZNS1_27merge_sort_block_merge_implIS3_N6thrust23THRUST_200600_302600_NS6detail15normal_iteratorINS9_10device_ptrIyEEEEPS5_jNS1_19radix_merge_compareILb0ELb0EyNS0_19identity_decomposerEEEEE10hipError_tT0_T1_T2_jT3_P12ihipStream_tbPNSt15iterator_traitsISK_E10value_typeEPNSQ_ISL_E10value_typeEPSM_NS1_7vsmem_tEENKUlT_SK_SL_SM_E_clIPySE_SF_SF_EESJ_SZ_SK_SL_SM_EUlSZ_E1_NS1_11comp_targetILNS1_3genE10ELNS1_11target_archE1201ELNS1_3gpuE5ELNS1_3repE0EEENS1_36merge_oddeven_config_static_selectorELNS0_4arch9wavefront6targetE1EEEvSL_ ; -- Begin function _ZN7rocprim17ROCPRIM_400000_NS6detail17trampoline_kernelINS0_14default_configENS1_38merge_sort_block_merge_config_selectorIyNS0_10empty_typeEEEZZNS1_27merge_sort_block_merge_implIS3_N6thrust23THRUST_200600_302600_NS6detail15normal_iteratorINS9_10device_ptrIyEEEEPS5_jNS1_19radix_merge_compareILb0ELb0EyNS0_19identity_decomposerEEEEE10hipError_tT0_T1_T2_jT3_P12ihipStream_tbPNSt15iterator_traitsISK_E10value_typeEPNSQ_ISL_E10value_typeEPSM_NS1_7vsmem_tEENKUlT_SK_SL_SM_E_clIPySE_SF_SF_EESJ_SZ_SK_SL_SM_EUlSZ_E1_NS1_11comp_targetILNS1_3genE10ELNS1_11target_archE1201ELNS1_3gpuE5ELNS1_3repE0EEENS1_36merge_oddeven_config_static_selectorELNS0_4arch9wavefront6targetE1EEEvSL_
	.globl	_ZN7rocprim17ROCPRIM_400000_NS6detail17trampoline_kernelINS0_14default_configENS1_38merge_sort_block_merge_config_selectorIyNS0_10empty_typeEEEZZNS1_27merge_sort_block_merge_implIS3_N6thrust23THRUST_200600_302600_NS6detail15normal_iteratorINS9_10device_ptrIyEEEEPS5_jNS1_19radix_merge_compareILb0ELb0EyNS0_19identity_decomposerEEEEE10hipError_tT0_T1_T2_jT3_P12ihipStream_tbPNSt15iterator_traitsISK_E10value_typeEPNSQ_ISL_E10value_typeEPSM_NS1_7vsmem_tEENKUlT_SK_SL_SM_E_clIPySE_SF_SF_EESJ_SZ_SK_SL_SM_EUlSZ_E1_NS1_11comp_targetILNS1_3genE10ELNS1_11target_archE1201ELNS1_3gpuE5ELNS1_3repE0EEENS1_36merge_oddeven_config_static_selectorELNS0_4arch9wavefront6targetE1EEEvSL_
	.p2align	8
	.type	_ZN7rocprim17ROCPRIM_400000_NS6detail17trampoline_kernelINS0_14default_configENS1_38merge_sort_block_merge_config_selectorIyNS0_10empty_typeEEEZZNS1_27merge_sort_block_merge_implIS3_N6thrust23THRUST_200600_302600_NS6detail15normal_iteratorINS9_10device_ptrIyEEEEPS5_jNS1_19radix_merge_compareILb0ELb0EyNS0_19identity_decomposerEEEEE10hipError_tT0_T1_T2_jT3_P12ihipStream_tbPNSt15iterator_traitsISK_E10value_typeEPNSQ_ISL_E10value_typeEPSM_NS1_7vsmem_tEENKUlT_SK_SL_SM_E_clIPySE_SF_SF_EESJ_SZ_SK_SL_SM_EUlSZ_E1_NS1_11comp_targetILNS1_3genE10ELNS1_11target_archE1201ELNS1_3gpuE5ELNS1_3repE0EEENS1_36merge_oddeven_config_static_selectorELNS0_4arch9wavefront6targetE1EEEvSL_,@function
_ZN7rocprim17ROCPRIM_400000_NS6detail17trampoline_kernelINS0_14default_configENS1_38merge_sort_block_merge_config_selectorIyNS0_10empty_typeEEEZZNS1_27merge_sort_block_merge_implIS3_N6thrust23THRUST_200600_302600_NS6detail15normal_iteratorINS9_10device_ptrIyEEEEPS5_jNS1_19radix_merge_compareILb0ELb0EyNS0_19identity_decomposerEEEEE10hipError_tT0_T1_T2_jT3_P12ihipStream_tbPNSt15iterator_traitsISK_E10value_typeEPNSQ_ISL_E10value_typeEPSM_NS1_7vsmem_tEENKUlT_SK_SL_SM_E_clIPySE_SF_SF_EESJ_SZ_SK_SL_SM_EUlSZ_E1_NS1_11comp_targetILNS1_3genE10ELNS1_11target_archE1201ELNS1_3gpuE5ELNS1_3repE0EEENS1_36merge_oddeven_config_static_selectorELNS0_4arch9wavefront6targetE1EEEvSL_: ; @_ZN7rocprim17ROCPRIM_400000_NS6detail17trampoline_kernelINS0_14default_configENS1_38merge_sort_block_merge_config_selectorIyNS0_10empty_typeEEEZZNS1_27merge_sort_block_merge_implIS3_N6thrust23THRUST_200600_302600_NS6detail15normal_iteratorINS9_10device_ptrIyEEEEPS5_jNS1_19radix_merge_compareILb0ELb0EyNS0_19identity_decomposerEEEEE10hipError_tT0_T1_T2_jT3_P12ihipStream_tbPNSt15iterator_traitsISK_E10value_typeEPNSQ_ISL_E10value_typeEPSM_NS1_7vsmem_tEENKUlT_SK_SL_SM_E_clIPySE_SF_SF_EESJ_SZ_SK_SL_SM_EUlSZ_E1_NS1_11comp_targetILNS1_3genE10ELNS1_11target_archE1201ELNS1_3gpuE5ELNS1_3repE0EEENS1_36merge_oddeven_config_static_selectorELNS0_4arch9wavefront6targetE1EEEvSL_
; %bb.0:
	.section	.rodata,"a",@progbits
	.p2align	6, 0x0
	.amdhsa_kernel _ZN7rocprim17ROCPRIM_400000_NS6detail17trampoline_kernelINS0_14default_configENS1_38merge_sort_block_merge_config_selectorIyNS0_10empty_typeEEEZZNS1_27merge_sort_block_merge_implIS3_N6thrust23THRUST_200600_302600_NS6detail15normal_iteratorINS9_10device_ptrIyEEEEPS5_jNS1_19radix_merge_compareILb0ELb0EyNS0_19identity_decomposerEEEEE10hipError_tT0_T1_T2_jT3_P12ihipStream_tbPNSt15iterator_traitsISK_E10value_typeEPNSQ_ISL_E10value_typeEPSM_NS1_7vsmem_tEENKUlT_SK_SL_SM_E_clIPySE_SF_SF_EESJ_SZ_SK_SL_SM_EUlSZ_E1_NS1_11comp_targetILNS1_3genE10ELNS1_11target_archE1201ELNS1_3gpuE5ELNS1_3repE0EEENS1_36merge_oddeven_config_static_selectorELNS0_4arch9wavefront6targetE1EEEvSL_
		.amdhsa_group_segment_fixed_size 0
		.amdhsa_private_segment_fixed_size 0
		.amdhsa_kernarg_size 48
		.amdhsa_user_sgpr_count 2
		.amdhsa_user_sgpr_dispatch_ptr 0
		.amdhsa_user_sgpr_queue_ptr 0
		.amdhsa_user_sgpr_kernarg_segment_ptr 1
		.amdhsa_user_sgpr_dispatch_id 0
		.amdhsa_user_sgpr_kernarg_preload_length 0
		.amdhsa_user_sgpr_kernarg_preload_offset 0
		.amdhsa_user_sgpr_private_segment_size 0
		.amdhsa_uses_dynamic_stack 0
		.amdhsa_enable_private_segment 0
		.amdhsa_system_sgpr_workgroup_id_x 1
		.amdhsa_system_sgpr_workgroup_id_y 0
		.amdhsa_system_sgpr_workgroup_id_z 0
		.amdhsa_system_sgpr_workgroup_info 0
		.amdhsa_system_vgpr_workitem_id 0
		.amdhsa_next_free_vgpr 1
		.amdhsa_next_free_sgpr 0
		.amdhsa_accum_offset 4
		.amdhsa_reserve_vcc 0
		.amdhsa_float_round_mode_32 0
		.amdhsa_float_round_mode_16_64 0
		.amdhsa_float_denorm_mode_32 3
		.amdhsa_float_denorm_mode_16_64 3
		.amdhsa_dx10_clamp 1
		.amdhsa_ieee_mode 1
		.amdhsa_fp16_overflow 0
		.amdhsa_tg_split 0
		.amdhsa_exception_fp_ieee_invalid_op 0
		.amdhsa_exception_fp_denorm_src 0
		.amdhsa_exception_fp_ieee_div_zero 0
		.amdhsa_exception_fp_ieee_overflow 0
		.amdhsa_exception_fp_ieee_underflow 0
		.amdhsa_exception_fp_ieee_inexact 0
		.amdhsa_exception_int_div_zero 0
	.end_amdhsa_kernel
	.section	.text._ZN7rocprim17ROCPRIM_400000_NS6detail17trampoline_kernelINS0_14default_configENS1_38merge_sort_block_merge_config_selectorIyNS0_10empty_typeEEEZZNS1_27merge_sort_block_merge_implIS3_N6thrust23THRUST_200600_302600_NS6detail15normal_iteratorINS9_10device_ptrIyEEEEPS5_jNS1_19radix_merge_compareILb0ELb0EyNS0_19identity_decomposerEEEEE10hipError_tT0_T1_T2_jT3_P12ihipStream_tbPNSt15iterator_traitsISK_E10value_typeEPNSQ_ISL_E10value_typeEPSM_NS1_7vsmem_tEENKUlT_SK_SL_SM_E_clIPySE_SF_SF_EESJ_SZ_SK_SL_SM_EUlSZ_E1_NS1_11comp_targetILNS1_3genE10ELNS1_11target_archE1201ELNS1_3gpuE5ELNS1_3repE0EEENS1_36merge_oddeven_config_static_selectorELNS0_4arch9wavefront6targetE1EEEvSL_,"axG",@progbits,_ZN7rocprim17ROCPRIM_400000_NS6detail17trampoline_kernelINS0_14default_configENS1_38merge_sort_block_merge_config_selectorIyNS0_10empty_typeEEEZZNS1_27merge_sort_block_merge_implIS3_N6thrust23THRUST_200600_302600_NS6detail15normal_iteratorINS9_10device_ptrIyEEEEPS5_jNS1_19radix_merge_compareILb0ELb0EyNS0_19identity_decomposerEEEEE10hipError_tT0_T1_T2_jT3_P12ihipStream_tbPNSt15iterator_traitsISK_E10value_typeEPNSQ_ISL_E10value_typeEPSM_NS1_7vsmem_tEENKUlT_SK_SL_SM_E_clIPySE_SF_SF_EESJ_SZ_SK_SL_SM_EUlSZ_E1_NS1_11comp_targetILNS1_3genE10ELNS1_11target_archE1201ELNS1_3gpuE5ELNS1_3repE0EEENS1_36merge_oddeven_config_static_selectorELNS0_4arch9wavefront6targetE1EEEvSL_,comdat
.Lfunc_end741:
	.size	_ZN7rocprim17ROCPRIM_400000_NS6detail17trampoline_kernelINS0_14default_configENS1_38merge_sort_block_merge_config_selectorIyNS0_10empty_typeEEEZZNS1_27merge_sort_block_merge_implIS3_N6thrust23THRUST_200600_302600_NS6detail15normal_iteratorINS9_10device_ptrIyEEEEPS5_jNS1_19radix_merge_compareILb0ELb0EyNS0_19identity_decomposerEEEEE10hipError_tT0_T1_T2_jT3_P12ihipStream_tbPNSt15iterator_traitsISK_E10value_typeEPNSQ_ISL_E10value_typeEPSM_NS1_7vsmem_tEENKUlT_SK_SL_SM_E_clIPySE_SF_SF_EESJ_SZ_SK_SL_SM_EUlSZ_E1_NS1_11comp_targetILNS1_3genE10ELNS1_11target_archE1201ELNS1_3gpuE5ELNS1_3repE0EEENS1_36merge_oddeven_config_static_selectorELNS0_4arch9wavefront6targetE1EEEvSL_, .Lfunc_end741-_ZN7rocprim17ROCPRIM_400000_NS6detail17trampoline_kernelINS0_14default_configENS1_38merge_sort_block_merge_config_selectorIyNS0_10empty_typeEEEZZNS1_27merge_sort_block_merge_implIS3_N6thrust23THRUST_200600_302600_NS6detail15normal_iteratorINS9_10device_ptrIyEEEEPS5_jNS1_19radix_merge_compareILb0ELb0EyNS0_19identity_decomposerEEEEE10hipError_tT0_T1_T2_jT3_P12ihipStream_tbPNSt15iterator_traitsISK_E10value_typeEPNSQ_ISL_E10value_typeEPSM_NS1_7vsmem_tEENKUlT_SK_SL_SM_E_clIPySE_SF_SF_EESJ_SZ_SK_SL_SM_EUlSZ_E1_NS1_11comp_targetILNS1_3genE10ELNS1_11target_archE1201ELNS1_3gpuE5ELNS1_3repE0EEENS1_36merge_oddeven_config_static_selectorELNS0_4arch9wavefront6targetE1EEEvSL_
                                        ; -- End function
	.section	.AMDGPU.csdata,"",@progbits
; Kernel info:
; codeLenInByte = 0
; NumSgprs: 6
; NumVgprs: 0
; NumAgprs: 0
; TotalNumVgprs: 0
; ScratchSize: 0
; MemoryBound: 0
; FloatMode: 240
; IeeeMode: 1
; LDSByteSize: 0 bytes/workgroup (compile time only)
; SGPRBlocks: 0
; VGPRBlocks: 0
; NumSGPRsForWavesPerEU: 6
; NumVGPRsForWavesPerEU: 1
; AccumOffset: 4
; Occupancy: 8
; WaveLimiterHint : 0
; COMPUTE_PGM_RSRC2:SCRATCH_EN: 0
; COMPUTE_PGM_RSRC2:USER_SGPR: 2
; COMPUTE_PGM_RSRC2:TRAP_HANDLER: 0
; COMPUTE_PGM_RSRC2:TGID_X_EN: 1
; COMPUTE_PGM_RSRC2:TGID_Y_EN: 0
; COMPUTE_PGM_RSRC2:TGID_Z_EN: 0
; COMPUTE_PGM_RSRC2:TIDIG_COMP_CNT: 0
; COMPUTE_PGM_RSRC3_GFX90A:ACCUM_OFFSET: 0
; COMPUTE_PGM_RSRC3_GFX90A:TG_SPLIT: 0
	.section	.text._ZN7rocprim17ROCPRIM_400000_NS6detail17trampoline_kernelINS0_14default_configENS1_38merge_sort_block_merge_config_selectorIyNS0_10empty_typeEEEZZNS1_27merge_sort_block_merge_implIS3_N6thrust23THRUST_200600_302600_NS6detail15normal_iteratorINS9_10device_ptrIyEEEEPS5_jNS1_19radix_merge_compareILb0ELb0EyNS0_19identity_decomposerEEEEE10hipError_tT0_T1_T2_jT3_P12ihipStream_tbPNSt15iterator_traitsISK_E10value_typeEPNSQ_ISL_E10value_typeEPSM_NS1_7vsmem_tEENKUlT_SK_SL_SM_E_clIPySE_SF_SF_EESJ_SZ_SK_SL_SM_EUlSZ_E1_NS1_11comp_targetILNS1_3genE5ELNS1_11target_archE942ELNS1_3gpuE9ELNS1_3repE0EEENS1_36merge_oddeven_config_static_selectorELNS0_4arch9wavefront6targetE1EEEvSL_,"axG",@progbits,_ZN7rocprim17ROCPRIM_400000_NS6detail17trampoline_kernelINS0_14default_configENS1_38merge_sort_block_merge_config_selectorIyNS0_10empty_typeEEEZZNS1_27merge_sort_block_merge_implIS3_N6thrust23THRUST_200600_302600_NS6detail15normal_iteratorINS9_10device_ptrIyEEEEPS5_jNS1_19radix_merge_compareILb0ELb0EyNS0_19identity_decomposerEEEEE10hipError_tT0_T1_T2_jT3_P12ihipStream_tbPNSt15iterator_traitsISK_E10value_typeEPNSQ_ISL_E10value_typeEPSM_NS1_7vsmem_tEENKUlT_SK_SL_SM_E_clIPySE_SF_SF_EESJ_SZ_SK_SL_SM_EUlSZ_E1_NS1_11comp_targetILNS1_3genE5ELNS1_11target_archE942ELNS1_3gpuE9ELNS1_3repE0EEENS1_36merge_oddeven_config_static_selectorELNS0_4arch9wavefront6targetE1EEEvSL_,comdat
	.protected	_ZN7rocprim17ROCPRIM_400000_NS6detail17trampoline_kernelINS0_14default_configENS1_38merge_sort_block_merge_config_selectorIyNS0_10empty_typeEEEZZNS1_27merge_sort_block_merge_implIS3_N6thrust23THRUST_200600_302600_NS6detail15normal_iteratorINS9_10device_ptrIyEEEEPS5_jNS1_19radix_merge_compareILb0ELb0EyNS0_19identity_decomposerEEEEE10hipError_tT0_T1_T2_jT3_P12ihipStream_tbPNSt15iterator_traitsISK_E10value_typeEPNSQ_ISL_E10value_typeEPSM_NS1_7vsmem_tEENKUlT_SK_SL_SM_E_clIPySE_SF_SF_EESJ_SZ_SK_SL_SM_EUlSZ_E1_NS1_11comp_targetILNS1_3genE5ELNS1_11target_archE942ELNS1_3gpuE9ELNS1_3repE0EEENS1_36merge_oddeven_config_static_selectorELNS0_4arch9wavefront6targetE1EEEvSL_ ; -- Begin function _ZN7rocprim17ROCPRIM_400000_NS6detail17trampoline_kernelINS0_14default_configENS1_38merge_sort_block_merge_config_selectorIyNS0_10empty_typeEEEZZNS1_27merge_sort_block_merge_implIS3_N6thrust23THRUST_200600_302600_NS6detail15normal_iteratorINS9_10device_ptrIyEEEEPS5_jNS1_19radix_merge_compareILb0ELb0EyNS0_19identity_decomposerEEEEE10hipError_tT0_T1_T2_jT3_P12ihipStream_tbPNSt15iterator_traitsISK_E10value_typeEPNSQ_ISL_E10value_typeEPSM_NS1_7vsmem_tEENKUlT_SK_SL_SM_E_clIPySE_SF_SF_EESJ_SZ_SK_SL_SM_EUlSZ_E1_NS1_11comp_targetILNS1_3genE5ELNS1_11target_archE942ELNS1_3gpuE9ELNS1_3repE0EEENS1_36merge_oddeven_config_static_selectorELNS0_4arch9wavefront6targetE1EEEvSL_
	.globl	_ZN7rocprim17ROCPRIM_400000_NS6detail17trampoline_kernelINS0_14default_configENS1_38merge_sort_block_merge_config_selectorIyNS0_10empty_typeEEEZZNS1_27merge_sort_block_merge_implIS3_N6thrust23THRUST_200600_302600_NS6detail15normal_iteratorINS9_10device_ptrIyEEEEPS5_jNS1_19radix_merge_compareILb0ELb0EyNS0_19identity_decomposerEEEEE10hipError_tT0_T1_T2_jT3_P12ihipStream_tbPNSt15iterator_traitsISK_E10value_typeEPNSQ_ISL_E10value_typeEPSM_NS1_7vsmem_tEENKUlT_SK_SL_SM_E_clIPySE_SF_SF_EESJ_SZ_SK_SL_SM_EUlSZ_E1_NS1_11comp_targetILNS1_3genE5ELNS1_11target_archE942ELNS1_3gpuE9ELNS1_3repE0EEENS1_36merge_oddeven_config_static_selectorELNS0_4arch9wavefront6targetE1EEEvSL_
	.p2align	8
	.type	_ZN7rocprim17ROCPRIM_400000_NS6detail17trampoline_kernelINS0_14default_configENS1_38merge_sort_block_merge_config_selectorIyNS0_10empty_typeEEEZZNS1_27merge_sort_block_merge_implIS3_N6thrust23THRUST_200600_302600_NS6detail15normal_iteratorINS9_10device_ptrIyEEEEPS5_jNS1_19radix_merge_compareILb0ELb0EyNS0_19identity_decomposerEEEEE10hipError_tT0_T1_T2_jT3_P12ihipStream_tbPNSt15iterator_traitsISK_E10value_typeEPNSQ_ISL_E10value_typeEPSM_NS1_7vsmem_tEENKUlT_SK_SL_SM_E_clIPySE_SF_SF_EESJ_SZ_SK_SL_SM_EUlSZ_E1_NS1_11comp_targetILNS1_3genE5ELNS1_11target_archE942ELNS1_3gpuE9ELNS1_3repE0EEENS1_36merge_oddeven_config_static_selectorELNS0_4arch9wavefront6targetE1EEEvSL_,@function
_ZN7rocprim17ROCPRIM_400000_NS6detail17trampoline_kernelINS0_14default_configENS1_38merge_sort_block_merge_config_selectorIyNS0_10empty_typeEEEZZNS1_27merge_sort_block_merge_implIS3_N6thrust23THRUST_200600_302600_NS6detail15normal_iteratorINS9_10device_ptrIyEEEEPS5_jNS1_19radix_merge_compareILb0ELb0EyNS0_19identity_decomposerEEEEE10hipError_tT0_T1_T2_jT3_P12ihipStream_tbPNSt15iterator_traitsISK_E10value_typeEPNSQ_ISL_E10value_typeEPSM_NS1_7vsmem_tEENKUlT_SK_SL_SM_E_clIPySE_SF_SF_EESJ_SZ_SK_SL_SM_EUlSZ_E1_NS1_11comp_targetILNS1_3genE5ELNS1_11target_archE942ELNS1_3gpuE9ELNS1_3repE0EEENS1_36merge_oddeven_config_static_selectorELNS0_4arch9wavefront6targetE1EEEvSL_: ; @_ZN7rocprim17ROCPRIM_400000_NS6detail17trampoline_kernelINS0_14default_configENS1_38merge_sort_block_merge_config_selectorIyNS0_10empty_typeEEEZZNS1_27merge_sort_block_merge_implIS3_N6thrust23THRUST_200600_302600_NS6detail15normal_iteratorINS9_10device_ptrIyEEEEPS5_jNS1_19radix_merge_compareILb0ELb0EyNS0_19identity_decomposerEEEEE10hipError_tT0_T1_T2_jT3_P12ihipStream_tbPNSt15iterator_traitsISK_E10value_typeEPNSQ_ISL_E10value_typeEPSM_NS1_7vsmem_tEENKUlT_SK_SL_SM_E_clIPySE_SF_SF_EESJ_SZ_SK_SL_SM_EUlSZ_E1_NS1_11comp_targetILNS1_3genE5ELNS1_11target_archE942ELNS1_3gpuE9ELNS1_3repE0EEENS1_36merge_oddeven_config_static_selectorELNS0_4arch9wavefront6targetE1EEEvSL_
; %bb.0:
	s_load_dword s16, s[0:1], 0x20
	s_waitcnt lgkmcnt(0)
	s_lshr_b32 s3, s16, 8
	s_cmp_lg_u32 s2, s3
	s_cselect_b64 s[12:13], -1, 0
	s_cmp_eq_u32 s2, s3
	s_cselect_b64 s[6:7], -1, 0
	s_lshl_b32 s14, s2, 8
	s_sub_i32 s3, s16, s14
	v_cmp_gt_u32_e64 s[4:5], s3, v0
	s_or_b64 s[8:9], s[12:13], s[4:5]
	s_and_saveexec_b64 s[10:11], s[8:9]
	s_cbranch_execz .LBB742_20
; %bb.1:
	s_load_dwordx4 s[8:11], s[0:1], 0x0
	s_load_dword s17, s[0:1], 0x24
	s_mov_b32 s15, 0
	s_lshl_b64 s[0:1], s[14:15], 3
	v_lshlrev_b32_e32 v1, 3, v0
	s_waitcnt lgkmcnt(0)
	s_add_u32 s0, s8, s0
	s_addc_u32 s1, s9, s1
	global_load_dwordx2 v[2:3], v1, s[0:1]
	s_lshr_b32 s0, s17, 8
	s_sub_i32 s1, 0, s0
	s_and_b32 s1, s2, s1
	s_and_b32 s0, s1, s0
	s_lshl_b32 s18, s1, 8
	s_sub_i32 s15, 0, s17
	s_cmp_eq_u32 s0, 0
	s_cselect_b64 s[0:1], -1, 0
	s_and_b64 s[2:3], s[0:1], exec
	s_cselect_b32 s15, s17, s15
	s_add_i32 s15, s15, s18
	s_cmp_lt_u32 s15, s16
	v_add_u32_e32 v0, s14, v0
	s_cbranch_scc1 .LBB742_3
; %bb.2:
	v_cmp_gt_u32_e32 vcc, s16, v0
	s_or_b64 s[2:3], vcc, s[12:13]
	s_and_b64 s[2:3], s[2:3], exec
	s_cbranch_execz .LBB742_4
	s_branch .LBB742_18
.LBB742_3:
	s_mov_b64 s[2:3], 0
.LBB742_4:
	s_min_u32 s12, s15, s16
	s_min_u32 s14, s18, s12
	s_add_i32 s18, s18, s12
	s_add_i32 s13, s12, s17
	v_subrev_u32_e32 v0, s18, v0
	s_min_u32 s13, s13, s16
	v_add_u32_e32 v4, s14, v0
	s_and_b64 vcc, exec, s[6:7]
	s_cbranch_vccz .LBB742_12
; %bb.5:
                                        ; implicit-def: $vgpr0
	s_and_saveexec_b64 s[6:7], s[4:5]
	s_cbranch_execz .LBB742_11
; %bb.6:
	s_cmp_ge_u32 s15, s13
	v_mov_b32_e32 v5, s12
	s_cbranch_scc1 .LBB742_10
; %bb.7:
	s_mov_b64 s[4:5], 0
	v_mov_b32_e32 v6, s13
	v_mov_b32_e32 v5, s12
	;; [unrolled: 1-line block ×3, first 2 shown]
.LBB742_8:                              ; =>This Inner Loop Header: Depth=1
	v_add_u32_e32 v0, v5, v6
	v_lshrrev_b32_e32 v0, 1, v0
	v_lshl_add_u64 v[8:9], v[0:1], 3, s[8:9]
	global_load_dwordx2 v[8:9], v[8:9], off
	v_add_u32_e32 v7, 1, v0
	s_waitcnt vmcnt(0)
	v_cmp_gt_u64_e32 vcc, v[2:3], v[8:9]
	s_nop 1
	v_cndmask_b32_e64 v10, 0, 1, vcc
	v_cmp_le_u64_e32 vcc, v[8:9], v[2:3]
	s_nop 1
	v_cndmask_b32_e64 v8, 0, 1, vcc
	v_cndmask_b32_e64 v8, v8, v10, s[0:1]
	v_and_b32_e32 v8, 1, v8
	v_cmp_eq_u32_e32 vcc, 1, v8
	s_nop 1
	v_cndmask_b32_e32 v6, v0, v6, vcc
	v_cndmask_b32_e32 v5, v5, v7, vcc
	v_cmp_ge_u32_e32 vcc, v5, v6
	s_or_b64 s[4:5], vcc, s[4:5]
	s_andn2_b64 exec, exec, s[4:5]
	s_cbranch_execnz .LBB742_8
; %bb.9:
	s_or_b64 exec, exec, s[4:5]
.LBB742_10:
	v_add_u32_e32 v0, v5, v4
	s_or_b64 s[2:3], s[2:3], exec
.LBB742_11:
	s_or_b64 exec, exec, s[6:7]
	s_branch .LBB742_18
.LBB742_12:
                                        ; implicit-def: $vgpr0
	s_cbranch_execz .LBB742_18
; %bb.13:
	s_cmp_ge_u32 s15, s13
	v_mov_b32_e32 v5, s12
	s_cbranch_scc1 .LBB742_17
; %bb.14:
	s_mov_b64 s[2:3], 0
	v_mov_b32_e32 v6, s13
	v_mov_b32_e32 v5, s12
	;; [unrolled: 1-line block ×3, first 2 shown]
.LBB742_15:                             ; =>This Inner Loop Header: Depth=1
	v_add_u32_e32 v0, v5, v6
	v_lshrrev_b32_e32 v0, 1, v0
	v_lshl_add_u64 v[8:9], v[0:1], 3, s[8:9]
	global_load_dwordx2 v[8:9], v[8:9], off
	v_add_u32_e32 v7, 1, v0
	s_waitcnt vmcnt(0)
	v_cmp_gt_u64_e32 vcc, v[2:3], v[8:9]
	s_nop 1
	v_cndmask_b32_e64 v10, 0, 1, vcc
	v_cmp_le_u64_e32 vcc, v[8:9], v[2:3]
	s_nop 1
	v_cndmask_b32_e64 v8, 0, 1, vcc
	v_cndmask_b32_e64 v8, v8, v10, s[0:1]
	v_and_b32_e32 v8, 1, v8
	v_cmp_eq_u32_e32 vcc, 1, v8
	s_nop 1
	v_cndmask_b32_e32 v6, v0, v6, vcc
	v_cndmask_b32_e32 v5, v5, v7, vcc
	v_cmp_ge_u32_e32 vcc, v5, v6
	s_or_b64 s[2:3], vcc, s[2:3]
	s_andn2_b64 exec, exec, s[2:3]
	s_cbranch_execnz .LBB742_15
; %bb.16:
	s_or_b64 exec, exec, s[2:3]
.LBB742_17:
	v_add_u32_e32 v0, v5, v4
	s_mov_b64 s[2:3], -1
.LBB742_18:
	s_and_b64 exec, exec, s[2:3]
	s_cbranch_execz .LBB742_20
; %bb.19:
	v_mov_b32_e32 v4, s10
	v_mov_b32_e32 v5, s11
	v_mov_b32_e32 v1, 0
	v_lshl_add_u64 v[0:1], v[0:1], 3, v[4:5]
	s_waitcnt vmcnt(0)
	global_store_dwordx2 v[0:1], v[2:3], off
.LBB742_20:
	s_endpgm
	.section	.rodata,"a",@progbits
	.p2align	6, 0x0
	.amdhsa_kernel _ZN7rocprim17ROCPRIM_400000_NS6detail17trampoline_kernelINS0_14default_configENS1_38merge_sort_block_merge_config_selectorIyNS0_10empty_typeEEEZZNS1_27merge_sort_block_merge_implIS3_N6thrust23THRUST_200600_302600_NS6detail15normal_iteratorINS9_10device_ptrIyEEEEPS5_jNS1_19radix_merge_compareILb0ELb0EyNS0_19identity_decomposerEEEEE10hipError_tT0_T1_T2_jT3_P12ihipStream_tbPNSt15iterator_traitsISK_E10value_typeEPNSQ_ISL_E10value_typeEPSM_NS1_7vsmem_tEENKUlT_SK_SL_SM_E_clIPySE_SF_SF_EESJ_SZ_SK_SL_SM_EUlSZ_E1_NS1_11comp_targetILNS1_3genE5ELNS1_11target_archE942ELNS1_3gpuE9ELNS1_3repE0EEENS1_36merge_oddeven_config_static_selectorELNS0_4arch9wavefront6targetE1EEEvSL_
		.amdhsa_group_segment_fixed_size 0
		.amdhsa_private_segment_fixed_size 0
		.amdhsa_kernarg_size 48
		.amdhsa_user_sgpr_count 2
		.amdhsa_user_sgpr_dispatch_ptr 0
		.amdhsa_user_sgpr_queue_ptr 0
		.amdhsa_user_sgpr_kernarg_segment_ptr 1
		.amdhsa_user_sgpr_dispatch_id 0
		.amdhsa_user_sgpr_kernarg_preload_length 0
		.amdhsa_user_sgpr_kernarg_preload_offset 0
		.amdhsa_user_sgpr_private_segment_size 0
		.amdhsa_uses_dynamic_stack 0
		.amdhsa_enable_private_segment 0
		.amdhsa_system_sgpr_workgroup_id_x 1
		.amdhsa_system_sgpr_workgroup_id_y 0
		.amdhsa_system_sgpr_workgroup_id_z 0
		.amdhsa_system_sgpr_workgroup_info 0
		.amdhsa_system_vgpr_workitem_id 0
		.amdhsa_next_free_vgpr 11
		.amdhsa_next_free_sgpr 19
		.amdhsa_accum_offset 12
		.amdhsa_reserve_vcc 1
		.amdhsa_float_round_mode_32 0
		.amdhsa_float_round_mode_16_64 0
		.amdhsa_float_denorm_mode_32 3
		.amdhsa_float_denorm_mode_16_64 3
		.amdhsa_dx10_clamp 1
		.amdhsa_ieee_mode 1
		.amdhsa_fp16_overflow 0
		.amdhsa_tg_split 0
		.amdhsa_exception_fp_ieee_invalid_op 0
		.amdhsa_exception_fp_denorm_src 0
		.amdhsa_exception_fp_ieee_div_zero 0
		.amdhsa_exception_fp_ieee_overflow 0
		.amdhsa_exception_fp_ieee_underflow 0
		.amdhsa_exception_fp_ieee_inexact 0
		.amdhsa_exception_int_div_zero 0
	.end_amdhsa_kernel
	.section	.text._ZN7rocprim17ROCPRIM_400000_NS6detail17trampoline_kernelINS0_14default_configENS1_38merge_sort_block_merge_config_selectorIyNS0_10empty_typeEEEZZNS1_27merge_sort_block_merge_implIS3_N6thrust23THRUST_200600_302600_NS6detail15normal_iteratorINS9_10device_ptrIyEEEEPS5_jNS1_19radix_merge_compareILb0ELb0EyNS0_19identity_decomposerEEEEE10hipError_tT0_T1_T2_jT3_P12ihipStream_tbPNSt15iterator_traitsISK_E10value_typeEPNSQ_ISL_E10value_typeEPSM_NS1_7vsmem_tEENKUlT_SK_SL_SM_E_clIPySE_SF_SF_EESJ_SZ_SK_SL_SM_EUlSZ_E1_NS1_11comp_targetILNS1_3genE5ELNS1_11target_archE942ELNS1_3gpuE9ELNS1_3repE0EEENS1_36merge_oddeven_config_static_selectorELNS0_4arch9wavefront6targetE1EEEvSL_,"axG",@progbits,_ZN7rocprim17ROCPRIM_400000_NS6detail17trampoline_kernelINS0_14default_configENS1_38merge_sort_block_merge_config_selectorIyNS0_10empty_typeEEEZZNS1_27merge_sort_block_merge_implIS3_N6thrust23THRUST_200600_302600_NS6detail15normal_iteratorINS9_10device_ptrIyEEEEPS5_jNS1_19radix_merge_compareILb0ELb0EyNS0_19identity_decomposerEEEEE10hipError_tT0_T1_T2_jT3_P12ihipStream_tbPNSt15iterator_traitsISK_E10value_typeEPNSQ_ISL_E10value_typeEPSM_NS1_7vsmem_tEENKUlT_SK_SL_SM_E_clIPySE_SF_SF_EESJ_SZ_SK_SL_SM_EUlSZ_E1_NS1_11comp_targetILNS1_3genE5ELNS1_11target_archE942ELNS1_3gpuE9ELNS1_3repE0EEENS1_36merge_oddeven_config_static_selectorELNS0_4arch9wavefront6targetE1EEEvSL_,comdat
.Lfunc_end742:
	.size	_ZN7rocprim17ROCPRIM_400000_NS6detail17trampoline_kernelINS0_14default_configENS1_38merge_sort_block_merge_config_selectorIyNS0_10empty_typeEEEZZNS1_27merge_sort_block_merge_implIS3_N6thrust23THRUST_200600_302600_NS6detail15normal_iteratorINS9_10device_ptrIyEEEEPS5_jNS1_19radix_merge_compareILb0ELb0EyNS0_19identity_decomposerEEEEE10hipError_tT0_T1_T2_jT3_P12ihipStream_tbPNSt15iterator_traitsISK_E10value_typeEPNSQ_ISL_E10value_typeEPSM_NS1_7vsmem_tEENKUlT_SK_SL_SM_E_clIPySE_SF_SF_EESJ_SZ_SK_SL_SM_EUlSZ_E1_NS1_11comp_targetILNS1_3genE5ELNS1_11target_archE942ELNS1_3gpuE9ELNS1_3repE0EEENS1_36merge_oddeven_config_static_selectorELNS0_4arch9wavefront6targetE1EEEvSL_, .Lfunc_end742-_ZN7rocprim17ROCPRIM_400000_NS6detail17trampoline_kernelINS0_14default_configENS1_38merge_sort_block_merge_config_selectorIyNS0_10empty_typeEEEZZNS1_27merge_sort_block_merge_implIS3_N6thrust23THRUST_200600_302600_NS6detail15normal_iteratorINS9_10device_ptrIyEEEEPS5_jNS1_19radix_merge_compareILb0ELb0EyNS0_19identity_decomposerEEEEE10hipError_tT0_T1_T2_jT3_P12ihipStream_tbPNSt15iterator_traitsISK_E10value_typeEPNSQ_ISL_E10value_typeEPSM_NS1_7vsmem_tEENKUlT_SK_SL_SM_E_clIPySE_SF_SF_EESJ_SZ_SK_SL_SM_EUlSZ_E1_NS1_11comp_targetILNS1_3genE5ELNS1_11target_archE942ELNS1_3gpuE9ELNS1_3repE0EEENS1_36merge_oddeven_config_static_selectorELNS0_4arch9wavefront6targetE1EEEvSL_
                                        ; -- End function
	.section	.AMDGPU.csdata,"",@progbits
; Kernel info:
; codeLenInByte = 584
; NumSgprs: 25
; NumVgprs: 11
; NumAgprs: 0
; TotalNumVgprs: 11
; ScratchSize: 0
; MemoryBound: 0
; FloatMode: 240
; IeeeMode: 1
; LDSByteSize: 0 bytes/workgroup (compile time only)
; SGPRBlocks: 3
; VGPRBlocks: 1
; NumSGPRsForWavesPerEU: 25
; NumVGPRsForWavesPerEU: 11
; AccumOffset: 12
; Occupancy: 8
; WaveLimiterHint : 0
; COMPUTE_PGM_RSRC2:SCRATCH_EN: 0
; COMPUTE_PGM_RSRC2:USER_SGPR: 2
; COMPUTE_PGM_RSRC2:TRAP_HANDLER: 0
; COMPUTE_PGM_RSRC2:TGID_X_EN: 1
; COMPUTE_PGM_RSRC2:TGID_Y_EN: 0
; COMPUTE_PGM_RSRC2:TGID_Z_EN: 0
; COMPUTE_PGM_RSRC2:TIDIG_COMP_CNT: 0
; COMPUTE_PGM_RSRC3_GFX90A:ACCUM_OFFSET: 2
; COMPUTE_PGM_RSRC3_GFX90A:TG_SPLIT: 0
	.section	.text._ZN7rocprim17ROCPRIM_400000_NS6detail17trampoline_kernelINS0_14default_configENS1_38merge_sort_block_merge_config_selectorIyNS0_10empty_typeEEEZZNS1_27merge_sort_block_merge_implIS3_N6thrust23THRUST_200600_302600_NS6detail15normal_iteratorINS9_10device_ptrIyEEEEPS5_jNS1_19radix_merge_compareILb0ELb0EyNS0_19identity_decomposerEEEEE10hipError_tT0_T1_T2_jT3_P12ihipStream_tbPNSt15iterator_traitsISK_E10value_typeEPNSQ_ISL_E10value_typeEPSM_NS1_7vsmem_tEENKUlT_SK_SL_SM_E_clIPySE_SF_SF_EESJ_SZ_SK_SL_SM_EUlSZ_E1_NS1_11comp_targetILNS1_3genE4ELNS1_11target_archE910ELNS1_3gpuE8ELNS1_3repE0EEENS1_36merge_oddeven_config_static_selectorELNS0_4arch9wavefront6targetE1EEEvSL_,"axG",@progbits,_ZN7rocprim17ROCPRIM_400000_NS6detail17trampoline_kernelINS0_14default_configENS1_38merge_sort_block_merge_config_selectorIyNS0_10empty_typeEEEZZNS1_27merge_sort_block_merge_implIS3_N6thrust23THRUST_200600_302600_NS6detail15normal_iteratorINS9_10device_ptrIyEEEEPS5_jNS1_19radix_merge_compareILb0ELb0EyNS0_19identity_decomposerEEEEE10hipError_tT0_T1_T2_jT3_P12ihipStream_tbPNSt15iterator_traitsISK_E10value_typeEPNSQ_ISL_E10value_typeEPSM_NS1_7vsmem_tEENKUlT_SK_SL_SM_E_clIPySE_SF_SF_EESJ_SZ_SK_SL_SM_EUlSZ_E1_NS1_11comp_targetILNS1_3genE4ELNS1_11target_archE910ELNS1_3gpuE8ELNS1_3repE0EEENS1_36merge_oddeven_config_static_selectorELNS0_4arch9wavefront6targetE1EEEvSL_,comdat
	.protected	_ZN7rocprim17ROCPRIM_400000_NS6detail17trampoline_kernelINS0_14default_configENS1_38merge_sort_block_merge_config_selectorIyNS0_10empty_typeEEEZZNS1_27merge_sort_block_merge_implIS3_N6thrust23THRUST_200600_302600_NS6detail15normal_iteratorINS9_10device_ptrIyEEEEPS5_jNS1_19radix_merge_compareILb0ELb0EyNS0_19identity_decomposerEEEEE10hipError_tT0_T1_T2_jT3_P12ihipStream_tbPNSt15iterator_traitsISK_E10value_typeEPNSQ_ISL_E10value_typeEPSM_NS1_7vsmem_tEENKUlT_SK_SL_SM_E_clIPySE_SF_SF_EESJ_SZ_SK_SL_SM_EUlSZ_E1_NS1_11comp_targetILNS1_3genE4ELNS1_11target_archE910ELNS1_3gpuE8ELNS1_3repE0EEENS1_36merge_oddeven_config_static_selectorELNS0_4arch9wavefront6targetE1EEEvSL_ ; -- Begin function _ZN7rocprim17ROCPRIM_400000_NS6detail17trampoline_kernelINS0_14default_configENS1_38merge_sort_block_merge_config_selectorIyNS0_10empty_typeEEEZZNS1_27merge_sort_block_merge_implIS3_N6thrust23THRUST_200600_302600_NS6detail15normal_iteratorINS9_10device_ptrIyEEEEPS5_jNS1_19radix_merge_compareILb0ELb0EyNS0_19identity_decomposerEEEEE10hipError_tT0_T1_T2_jT3_P12ihipStream_tbPNSt15iterator_traitsISK_E10value_typeEPNSQ_ISL_E10value_typeEPSM_NS1_7vsmem_tEENKUlT_SK_SL_SM_E_clIPySE_SF_SF_EESJ_SZ_SK_SL_SM_EUlSZ_E1_NS1_11comp_targetILNS1_3genE4ELNS1_11target_archE910ELNS1_3gpuE8ELNS1_3repE0EEENS1_36merge_oddeven_config_static_selectorELNS0_4arch9wavefront6targetE1EEEvSL_
	.globl	_ZN7rocprim17ROCPRIM_400000_NS6detail17trampoline_kernelINS0_14default_configENS1_38merge_sort_block_merge_config_selectorIyNS0_10empty_typeEEEZZNS1_27merge_sort_block_merge_implIS3_N6thrust23THRUST_200600_302600_NS6detail15normal_iteratorINS9_10device_ptrIyEEEEPS5_jNS1_19radix_merge_compareILb0ELb0EyNS0_19identity_decomposerEEEEE10hipError_tT0_T1_T2_jT3_P12ihipStream_tbPNSt15iterator_traitsISK_E10value_typeEPNSQ_ISL_E10value_typeEPSM_NS1_7vsmem_tEENKUlT_SK_SL_SM_E_clIPySE_SF_SF_EESJ_SZ_SK_SL_SM_EUlSZ_E1_NS1_11comp_targetILNS1_3genE4ELNS1_11target_archE910ELNS1_3gpuE8ELNS1_3repE0EEENS1_36merge_oddeven_config_static_selectorELNS0_4arch9wavefront6targetE1EEEvSL_
	.p2align	8
	.type	_ZN7rocprim17ROCPRIM_400000_NS6detail17trampoline_kernelINS0_14default_configENS1_38merge_sort_block_merge_config_selectorIyNS0_10empty_typeEEEZZNS1_27merge_sort_block_merge_implIS3_N6thrust23THRUST_200600_302600_NS6detail15normal_iteratorINS9_10device_ptrIyEEEEPS5_jNS1_19radix_merge_compareILb0ELb0EyNS0_19identity_decomposerEEEEE10hipError_tT0_T1_T2_jT3_P12ihipStream_tbPNSt15iterator_traitsISK_E10value_typeEPNSQ_ISL_E10value_typeEPSM_NS1_7vsmem_tEENKUlT_SK_SL_SM_E_clIPySE_SF_SF_EESJ_SZ_SK_SL_SM_EUlSZ_E1_NS1_11comp_targetILNS1_3genE4ELNS1_11target_archE910ELNS1_3gpuE8ELNS1_3repE0EEENS1_36merge_oddeven_config_static_selectorELNS0_4arch9wavefront6targetE1EEEvSL_,@function
_ZN7rocprim17ROCPRIM_400000_NS6detail17trampoline_kernelINS0_14default_configENS1_38merge_sort_block_merge_config_selectorIyNS0_10empty_typeEEEZZNS1_27merge_sort_block_merge_implIS3_N6thrust23THRUST_200600_302600_NS6detail15normal_iteratorINS9_10device_ptrIyEEEEPS5_jNS1_19radix_merge_compareILb0ELb0EyNS0_19identity_decomposerEEEEE10hipError_tT0_T1_T2_jT3_P12ihipStream_tbPNSt15iterator_traitsISK_E10value_typeEPNSQ_ISL_E10value_typeEPSM_NS1_7vsmem_tEENKUlT_SK_SL_SM_E_clIPySE_SF_SF_EESJ_SZ_SK_SL_SM_EUlSZ_E1_NS1_11comp_targetILNS1_3genE4ELNS1_11target_archE910ELNS1_3gpuE8ELNS1_3repE0EEENS1_36merge_oddeven_config_static_selectorELNS0_4arch9wavefront6targetE1EEEvSL_: ; @_ZN7rocprim17ROCPRIM_400000_NS6detail17trampoline_kernelINS0_14default_configENS1_38merge_sort_block_merge_config_selectorIyNS0_10empty_typeEEEZZNS1_27merge_sort_block_merge_implIS3_N6thrust23THRUST_200600_302600_NS6detail15normal_iteratorINS9_10device_ptrIyEEEEPS5_jNS1_19radix_merge_compareILb0ELb0EyNS0_19identity_decomposerEEEEE10hipError_tT0_T1_T2_jT3_P12ihipStream_tbPNSt15iterator_traitsISK_E10value_typeEPNSQ_ISL_E10value_typeEPSM_NS1_7vsmem_tEENKUlT_SK_SL_SM_E_clIPySE_SF_SF_EESJ_SZ_SK_SL_SM_EUlSZ_E1_NS1_11comp_targetILNS1_3genE4ELNS1_11target_archE910ELNS1_3gpuE8ELNS1_3repE0EEENS1_36merge_oddeven_config_static_selectorELNS0_4arch9wavefront6targetE1EEEvSL_
; %bb.0:
	.section	.rodata,"a",@progbits
	.p2align	6, 0x0
	.amdhsa_kernel _ZN7rocprim17ROCPRIM_400000_NS6detail17trampoline_kernelINS0_14default_configENS1_38merge_sort_block_merge_config_selectorIyNS0_10empty_typeEEEZZNS1_27merge_sort_block_merge_implIS3_N6thrust23THRUST_200600_302600_NS6detail15normal_iteratorINS9_10device_ptrIyEEEEPS5_jNS1_19radix_merge_compareILb0ELb0EyNS0_19identity_decomposerEEEEE10hipError_tT0_T1_T2_jT3_P12ihipStream_tbPNSt15iterator_traitsISK_E10value_typeEPNSQ_ISL_E10value_typeEPSM_NS1_7vsmem_tEENKUlT_SK_SL_SM_E_clIPySE_SF_SF_EESJ_SZ_SK_SL_SM_EUlSZ_E1_NS1_11comp_targetILNS1_3genE4ELNS1_11target_archE910ELNS1_3gpuE8ELNS1_3repE0EEENS1_36merge_oddeven_config_static_selectorELNS0_4arch9wavefront6targetE1EEEvSL_
		.amdhsa_group_segment_fixed_size 0
		.amdhsa_private_segment_fixed_size 0
		.amdhsa_kernarg_size 48
		.amdhsa_user_sgpr_count 2
		.amdhsa_user_sgpr_dispatch_ptr 0
		.amdhsa_user_sgpr_queue_ptr 0
		.amdhsa_user_sgpr_kernarg_segment_ptr 1
		.amdhsa_user_sgpr_dispatch_id 0
		.amdhsa_user_sgpr_kernarg_preload_length 0
		.amdhsa_user_sgpr_kernarg_preload_offset 0
		.amdhsa_user_sgpr_private_segment_size 0
		.amdhsa_uses_dynamic_stack 0
		.amdhsa_enable_private_segment 0
		.amdhsa_system_sgpr_workgroup_id_x 1
		.amdhsa_system_sgpr_workgroup_id_y 0
		.amdhsa_system_sgpr_workgroup_id_z 0
		.amdhsa_system_sgpr_workgroup_info 0
		.amdhsa_system_vgpr_workitem_id 0
		.amdhsa_next_free_vgpr 1
		.amdhsa_next_free_sgpr 0
		.amdhsa_accum_offset 4
		.amdhsa_reserve_vcc 0
		.amdhsa_float_round_mode_32 0
		.amdhsa_float_round_mode_16_64 0
		.amdhsa_float_denorm_mode_32 3
		.amdhsa_float_denorm_mode_16_64 3
		.amdhsa_dx10_clamp 1
		.amdhsa_ieee_mode 1
		.amdhsa_fp16_overflow 0
		.amdhsa_tg_split 0
		.amdhsa_exception_fp_ieee_invalid_op 0
		.amdhsa_exception_fp_denorm_src 0
		.amdhsa_exception_fp_ieee_div_zero 0
		.amdhsa_exception_fp_ieee_overflow 0
		.amdhsa_exception_fp_ieee_underflow 0
		.amdhsa_exception_fp_ieee_inexact 0
		.amdhsa_exception_int_div_zero 0
	.end_amdhsa_kernel
	.section	.text._ZN7rocprim17ROCPRIM_400000_NS6detail17trampoline_kernelINS0_14default_configENS1_38merge_sort_block_merge_config_selectorIyNS0_10empty_typeEEEZZNS1_27merge_sort_block_merge_implIS3_N6thrust23THRUST_200600_302600_NS6detail15normal_iteratorINS9_10device_ptrIyEEEEPS5_jNS1_19radix_merge_compareILb0ELb0EyNS0_19identity_decomposerEEEEE10hipError_tT0_T1_T2_jT3_P12ihipStream_tbPNSt15iterator_traitsISK_E10value_typeEPNSQ_ISL_E10value_typeEPSM_NS1_7vsmem_tEENKUlT_SK_SL_SM_E_clIPySE_SF_SF_EESJ_SZ_SK_SL_SM_EUlSZ_E1_NS1_11comp_targetILNS1_3genE4ELNS1_11target_archE910ELNS1_3gpuE8ELNS1_3repE0EEENS1_36merge_oddeven_config_static_selectorELNS0_4arch9wavefront6targetE1EEEvSL_,"axG",@progbits,_ZN7rocprim17ROCPRIM_400000_NS6detail17trampoline_kernelINS0_14default_configENS1_38merge_sort_block_merge_config_selectorIyNS0_10empty_typeEEEZZNS1_27merge_sort_block_merge_implIS3_N6thrust23THRUST_200600_302600_NS6detail15normal_iteratorINS9_10device_ptrIyEEEEPS5_jNS1_19radix_merge_compareILb0ELb0EyNS0_19identity_decomposerEEEEE10hipError_tT0_T1_T2_jT3_P12ihipStream_tbPNSt15iterator_traitsISK_E10value_typeEPNSQ_ISL_E10value_typeEPSM_NS1_7vsmem_tEENKUlT_SK_SL_SM_E_clIPySE_SF_SF_EESJ_SZ_SK_SL_SM_EUlSZ_E1_NS1_11comp_targetILNS1_3genE4ELNS1_11target_archE910ELNS1_3gpuE8ELNS1_3repE0EEENS1_36merge_oddeven_config_static_selectorELNS0_4arch9wavefront6targetE1EEEvSL_,comdat
.Lfunc_end743:
	.size	_ZN7rocprim17ROCPRIM_400000_NS6detail17trampoline_kernelINS0_14default_configENS1_38merge_sort_block_merge_config_selectorIyNS0_10empty_typeEEEZZNS1_27merge_sort_block_merge_implIS3_N6thrust23THRUST_200600_302600_NS6detail15normal_iteratorINS9_10device_ptrIyEEEEPS5_jNS1_19radix_merge_compareILb0ELb0EyNS0_19identity_decomposerEEEEE10hipError_tT0_T1_T2_jT3_P12ihipStream_tbPNSt15iterator_traitsISK_E10value_typeEPNSQ_ISL_E10value_typeEPSM_NS1_7vsmem_tEENKUlT_SK_SL_SM_E_clIPySE_SF_SF_EESJ_SZ_SK_SL_SM_EUlSZ_E1_NS1_11comp_targetILNS1_3genE4ELNS1_11target_archE910ELNS1_3gpuE8ELNS1_3repE0EEENS1_36merge_oddeven_config_static_selectorELNS0_4arch9wavefront6targetE1EEEvSL_, .Lfunc_end743-_ZN7rocprim17ROCPRIM_400000_NS6detail17trampoline_kernelINS0_14default_configENS1_38merge_sort_block_merge_config_selectorIyNS0_10empty_typeEEEZZNS1_27merge_sort_block_merge_implIS3_N6thrust23THRUST_200600_302600_NS6detail15normal_iteratorINS9_10device_ptrIyEEEEPS5_jNS1_19radix_merge_compareILb0ELb0EyNS0_19identity_decomposerEEEEE10hipError_tT0_T1_T2_jT3_P12ihipStream_tbPNSt15iterator_traitsISK_E10value_typeEPNSQ_ISL_E10value_typeEPSM_NS1_7vsmem_tEENKUlT_SK_SL_SM_E_clIPySE_SF_SF_EESJ_SZ_SK_SL_SM_EUlSZ_E1_NS1_11comp_targetILNS1_3genE4ELNS1_11target_archE910ELNS1_3gpuE8ELNS1_3repE0EEENS1_36merge_oddeven_config_static_selectorELNS0_4arch9wavefront6targetE1EEEvSL_
                                        ; -- End function
	.section	.AMDGPU.csdata,"",@progbits
; Kernel info:
; codeLenInByte = 0
; NumSgprs: 6
; NumVgprs: 0
; NumAgprs: 0
; TotalNumVgprs: 0
; ScratchSize: 0
; MemoryBound: 0
; FloatMode: 240
; IeeeMode: 1
; LDSByteSize: 0 bytes/workgroup (compile time only)
; SGPRBlocks: 0
; VGPRBlocks: 0
; NumSGPRsForWavesPerEU: 6
; NumVGPRsForWavesPerEU: 1
; AccumOffset: 4
; Occupancy: 8
; WaveLimiterHint : 0
; COMPUTE_PGM_RSRC2:SCRATCH_EN: 0
; COMPUTE_PGM_RSRC2:USER_SGPR: 2
; COMPUTE_PGM_RSRC2:TRAP_HANDLER: 0
; COMPUTE_PGM_RSRC2:TGID_X_EN: 1
; COMPUTE_PGM_RSRC2:TGID_Y_EN: 0
; COMPUTE_PGM_RSRC2:TGID_Z_EN: 0
; COMPUTE_PGM_RSRC2:TIDIG_COMP_CNT: 0
; COMPUTE_PGM_RSRC3_GFX90A:ACCUM_OFFSET: 0
; COMPUTE_PGM_RSRC3_GFX90A:TG_SPLIT: 0
	.section	.text._ZN7rocprim17ROCPRIM_400000_NS6detail17trampoline_kernelINS0_14default_configENS1_38merge_sort_block_merge_config_selectorIyNS0_10empty_typeEEEZZNS1_27merge_sort_block_merge_implIS3_N6thrust23THRUST_200600_302600_NS6detail15normal_iteratorINS9_10device_ptrIyEEEEPS5_jNS1_19radix_merge_compareILb0ELb0EyNS0_19identity_decomposerEEEEE10hipError_tT0_T1_T2_jT3_P12ihipStream_tbPNSt15iterator_traitsISK_E10value_typeEPNSQ_ISL_E10value_typeEPSM_NS1_7vsmem_tEENKUlT_SK_SL_SM_E_clIPySE_SF_SF_EESJ_SZ_SK_SL_SM_EUlSZ_E1_NS1_11comp_targetILNS1_3genE3ELNS1_11target_archE908ELNS1_3gpuE7ELNS1_3repE0EEENS1_36merge_oddeven_config_static_selectorELNS0_4arch9wavefront6targetE1EEEvSL_,"axG",@progbits,_ZN7rocprim17ROCPRIM_400000_NS6detail17trampoline_kernelINS0_14default_configENS1_38merge_sort_block_merge_config_selectorIyNS0_10empty_typeEEEZZNS1_27merge_sort_block_merge_implIS3_N6thrust23THRUST_200600_302600_NS6detail15normal_iteratorINS9_10device_ptrIyEEEEPS5_jNS1_19radix_merge_compareILb0ELb0EyNS0_19identity_decomposerEEEEE10hipError_tT0_T1_T2_jT3_P12ihipStream_tbPNSt15iterator_traitsISK_E10value_typeEPNSQ_ISL_E10value_typeEPSM_NS1_7vsmem_tEENKUlT_SK_SL_SM_E_clIPySE_SF_SF_EESJ_SZ_SK_SL_SM_EUlSZ_E1_NS1_11comp_targetILNS1_3genE3ELNS1_11target_archE908ELNS1_3gpuE7ELNS1_3repE0EEENS1_36merge_oddeven_config_static_selectorELNS0_4arch9wavefront6targetE1EEEvSL_,comdat
	.protected	_ZN7rocprim17ROCPRIM_400000_NS6detail17trampoline_kernelINS0_14default_configENS1_38merge_sort_block_merge_config_selectorIyNS0_10empty_typeEEEZZNS1_27merge_sort_block_merge_implIS3_N6thrust23THRUST_200600_302600_NS6detail15normal_iteratorINS9_10device_ptrIyEEEEPS5_jNS1_19radix_merge_compareILb0ELb0EyNS0_19identity_decomposerEEEEE10hipError_tT0_T1_T2_jT3_P12ihipStream_tbPNSt15iterator_traitsISK_E10value_typeEPNSQ_ISL_E10value_typeEPSM_NS1_7vsmem_tEENKUlT_SK_SL_SM_E_clIPySE_SF_SF_EESJ_SZ_SK_SL_SM_EUlSZ_E1_NS1_11comp_targetILNS1_3genE3ELNS1_11target_archE908ELNS1_3gpuE7ELNS1_3repE0EEENS1_36merge_oddeven_config_static_selectorELNS0_4arch9wavefront6targetE1EEEvSL_ ; -- Begin function _ZN7rocprim17ROCPRIM_400000_NS6detail17trampoline_kernelINS0_14default_configENS1_38merge_sort_block_merge_config_selectorIyNS0_10empty_typeEEEZZNS1_27merge_sort_block_merge_implIS3_N6thrust23THRUST_200600_302600_NS6detail15normal_iteratorINS9_10device_ptrIyEEEEPS5_jNS1_19radix_merge_compareILb0ELb0EyNS0_19identity_decomposerEEEEE10hipError_tT0_T1_T2_jT3_P12ihipStream_tbPNSt15iterator_traitsISK_E10value_typeEPNSQ_ISL_E10value_typeEPSM_NS1_7vsmem_tEENKUlT_SK_SL_SM_E_clIPySE_SF_SF_EESJ_SZ_SK_SL_SM_EUlSZ_E1_NS1_11comp_targetILNS1_3genE3ELNS1_11target_archE908ELNS1_3gpuE7ELNS1_3repE0EEENS1_36merge_oddeven_config_static_selectorELNS0_4arch9wavefront6targetE1EEEvSL_
	.globl	_ZN7rocprim17ROCPRIM_400000_NS6detail17trampoline_kernelINS0_14default_configENS1_38merge_sort_block_merge_config_selectorIyNS0_10empty_typeEEEZZNS1_27merge_sort_block_merge_implIS3_N6thrust23THRUST_200600_302600_NS6detail15normal_iteratorINS9_10device_ptrIyEEEEPS5_jNS1_19radix_merge_compareILb0ELb0EyNS0_19identity_decomposerEEEEE10hipError_tT0_T1_T2_jT3_P12ihipStream_tbPNSt15iterator_traitsISK_E10value_typeEPNSQ_ISL_E10value_typeEPSM_NS1_7vsmem_tEENKUlT_SK_SL_SM_E_clIPySE_SF_SF_EESJ_SZ_SK_SL_SM_EUlSZ_E1_NS1_11comp_targetILNS1_3genE3ELNS1_11target_archE908ELNS1_3gpuE7ELNS1_3repE0EEENS1_36merge_oddeven_config_static_selectorELNS0_4arch9wavefront6targetE1EEEvSL_
	.p2align	8
	.type	_ZN7rocprim17ROCPRIM_400000_NS6detail17trampoline_kernelINS0_14default_configENS1_38merge_sort_block_merge_config_selectorIyNS0_10empty_typeEEEZZNS1_27merge_sort_block_merge_implIS3_N6thrust23THRUST_200600_302600_NS6detail15normal_iteratorINS9_10device_ptrIyEEEEPS5_jNS1_19radix_merge_compareILb0ELb0EyNS0_19identity_decomposerEEEEE10hipError_tT0_T1_T2_jT3_P12ihipStream_tbPNSt15iterator_traitsISK_E10value_typeEPNSQ_ISL_E10value_typeEPSM_NS1_7vsmem_tEENKUlT_SK_SL_SM_E_clIPySE_SF_SF_EESJ_SZ_SK_SL_SM_EUlSZ_E1_NS1_11comp_targetILNS1_3genE3ELNS1_11target_archE908ELNS1_3gpuE7ELNS1_3repE0EEENS1_36merge_oddeven_config_static_selectorELNS0_4arch9wavefront6targetE1EEEvSL_,@function
_ZN7rocprim17ROCPRIM_400000_NS6detail17trampoline_kernelINS0_14default_configENS1_38merge_sort_block_merge_config_selectorIyNS0_10empty_typeEEEZZNS1_27merge_sort_block_merge_implIS3_N6thrust23THRUST_200600_302600_NS6detail15normal_iteratorINS9_10device_ptrIyEEEEPS5_jNS1_19radix_merge_compareILb0ELb0EyNS0_19identity_decomposerEEEEE10hipError_tT0_T1_T2_jT3_P12ihipStream_tbPNSt15iterator_traitsISK_E10value_typeEPNSQ_ISL_E10value_typeEPSM_NS1_7vsmem_tEENKUlT_SK_SL_SM_E_clIPySE_SF_SF_EESJ_SZ_SK_SL_SM_EUlSZ_E1_NS1_11comp_targetILNS1_3genE3ELNS1_11target_archE908ELNS1_3gpuE7ELNS1_3repE0EEENS1_36merge_oddeven_config_static_selectorELNS0_4arch9wavefront6targetE1EEEvSL_: ; @_ZN7rocprim17ROCPRIM_400000_NS6detail17trampoline_kernelINS0_14default_configENS1_38merge_sort_block_merge_config_selectorIyNS0_10empty_typeEEEZZNS1_27merge_sort_block_merge_implIS3_N6thrust23THRUST_200600_302600_NS6detail15normal_iteratorINS9_10device_ptrIyEEEEPS5_jNS1_19radix_merge_compareILb0ELb0EyNS0_19identity_decomposerEEEEE10hipError_tT0_T1_T2_jT3_P12ihipStream_tbPNSt15iterator_traitsISK_E10value_typeEPNSQ_ISL_E10value_typeEPSM_NS1_7vsmem_tEENKUlT_SK_SL_SM_E_clIPySE_SF_SF_EESJ_SZ_SK_SL_SM_EUlSZ_E1_NS1_11comp_targetILNS1_3genE3ELNS1_11target_archE908ELNS1_3gpuE7ELNS1_3repE0EEENS1_36merge_oddeven_config_static_selectorELNS0_4arch9wavefront6targetE1EEEvSL_
; %bb.0:
	.section	.rodata,"a",@progbits
	.p2align	6, 0x0
	.amdhsa_kernel _ZN7rocprim17ROCPRIM_400000_NS6detail17trampoline_kernelINS0_14default_configENS1_38merge_sort_block_merge_config_selectorIyNS0_10empty_typeEEEZZNS1_27merge_sort_block_merge_implIS3_N6thrust23THRUST_200600_302600_NS6detail15normal_iteratorINS9_10device_ptrIyEEEEPS5_jNS1_19radix_merge_compareILb0ELb0EyNS0_19identity_decomposerEEEEE10hipError_tT0_T1_T2_jT3_P12ihipStream_tbPNSt15iterator_traitsISK_E10value_typeEPNSQ_ISL_E10value_typeEPSM_NS1_7vsmem_tEENKUlT_SK_SL_SM_E_clIPySE_SF_SF_EESJ_SZ_SK_SL_SM_EUlSZ_E1_NS1_11comp_targetILNS1_3genE3ELNS1_11target_archE908ELNS1_3gpuE7ELNS1_3repE0EEENS1_36merge_oddeven_config_static_selectorELNS0_4arch9wavefront6targetE1EEEvSL_
		.amdhsa_group_segment_fixed_size 0
		.amdhsa_private_segment_fixed_size 0
		.amdhsa_kernarg_size 48
		.amdhsa_user_sgpr_count 2
		.amdhsa_user_sgpr_dispatch_ptr 0
		.amdhsa_user_sgpr_queue_ptr 0
		.amdhsa_user_sgpr_kernarg_segment_ptr 1
		.amdhsa_user_sgpr_dispatch_id 0
		.amdhsa_user_sgpr_kernarg_preload_length 0
		.amdhsa_user_sgpr_kernarg_preload_offset 0
		.amdhsa_user_sgpr_private_segment_size 0
		.amdhsa_uses_dynamic_stack 0
		.amdhsa_enable_private_segment 0
		.amdhsa_system_sgpr_workgroup_id_x 1
		.amdhsa_system_sgpr_workgroup_id_y 0
		.amdhsa_system_sgpr_workgroup_id_z 0
		.amdhsa_system_sgpr_workgroup_info 0
		.amdhsa_system_vgpr_workitem_id 0
		.amdhsa_next_free_vgpr 1
		.amdhsa_next_free_sgpr 0
		.amdhsa_accum_offset 4
		.amdhsa_reserve_vcc 0
		.amdhsa_float_round_mode_32 0
		.amdhsa_float_round_mode_16_64 0
		.amdhsa_float_denorm_mode_32 3
		.amdhsa_float_denorm_mode_16_64 3
		.amdhsa_dx10_clamp 1
		.amdhsa_ieee_mode 1
		.amdhsa_fp16_overflow 0
		.amdhsa_tg_split 0
		.amdhsa_exception_fp_ieee_invalid_op 0
		.amdhsa_exception_fp_denorm_src 0
		.amdhsa_exception_fp_ieee_div_zero 0
		.amdhsa_exception_fp_ieee_overflow 0
		.amdhsa_exception_fp_ieee_underflow 0
		.amdhsa_exception_fp_ieee_inexact 0
		.amdhsa_exception_int_div_zero 0
	.end_amdhsa_kernel
	.section	.text._ZN7rocprim17ROCPRIM_400000_NS6detail17trampoline_kernelINS0_14default_configENS1_38merge_sort_block_merge_config_selectorIyNS0_10empty_typeEEEZZNS1_27merge_sort_block_merge_implIS3_N6thrust23THRUST_200600_302600_NS6detail15normal_iteratorINS9_10device_ptrIyEEEEPS5_jNS1_19radix_merge_compareILb0ELb0EyNS0_19identity_decomposerEEEEE10hipError_tT0_T1_T2_jT3_P12ihipStream_tbPNSt15iterator_traitsISK_E10value_typeEPNSQ_ISL_E10value_typeEPSM_NS1_7vsmem_tEENKUlT_SK_SL_SM_E_clIPySE_SF_SF_EESJ_SZ_SK_SL_SM_EUlSZ_E1_NS1_11comp_targetILNS1_3genE3ELNS1_11target_archE908ELNS1_3gpuE7ELNS1_3repE0EEENS1_36merge_oddeven_config_static_selectorELNS0_4arch9wavefront6targetE1EEEvSL_,"axG",@progbits,_ZN7rocprim17ROCPRIM_400000_NS6detail17trampoline_kernelINS0_14default_configENS1_38merge_sort_block_merge_config_selectorIyNS0_10empty_typeEEEZZNS1_27merge_sort_block_merge_implIS3_N6thrust23THRUST_200600_302600_NS6detail15normal_iteratorINS9_10device_ptrIyEEEEPS5_jNS1_19radix_merge_compareILb0ELb0EyNS0_19identity_decomposerEEEEE10hipError_tT0_T1_T2_jT3_P12ihipStream_tbPNSt15iterator_traitsISK_E10value_typeEPNSQ_ISL_E10value_typeEPSM_NS1_7vsmem_tEENKUlT_SK_SL_SM_E_clIPySE_SF_SF_EESJ_SZ_SK_SL_SM_EUlSZ_E1_NS1_11comp_targetILNS1_3genE3ELNS1_11target_archE908ELNS1_3gpuE7ELNS1_3repE0EEENS1_36merge_oddeven_config_static_selectorELNS0_4arch9wavefront6targetE1EEEvSL_,comdat
.Lfunc_end744:
	.size	_ZN7rocprim17ROCPRIM_400000_NS6detail17trampoline_kernelINS0_14default_configENS1_38merge_sort_block_merge_config_selectorIyNS0_10empty_typeEEEZZNS1_27merge_sort_block_merge_implIS3_N6thrust23THRUST_200600_302600_NS6detail15normal_iteratorINS9_10device_ptrIyEEEEPS5_jNS1_19radix_merge_compareILb0ELb0EyNS0_19identity_decomposerEEEEE10hipError_tT0_T1_T2_jT3_P12ihipStream_tbPNSt15iterator_traitsISK_E10value_typeEPNSQ_ISL_E10value_typeEPSM_NS1_7vsmem_tEENKUlT_SK_SL_SM_E_clIPySE_SF_SF_EESJ_SZ_SK_SL_SM_EUlSZ_E1_NS1_11comp_targetILNS1_3genE3ELNS1_11target_archE908ELNS1_3gpuE7ELNS1_3repE0EEENS1_36merge_oddeven_config_static_selectorELNS0_4arch9wavefront6targetE1EEEvSL_, .Lfunc_end744-_ZN7rocprim17ROCPRIM_400000_NS6detail17trampoline_kernelINS0_14default_configENS1_38merge_sort_block_merge_config_selectorIyNS0_10empty_typeEEEZZNS1_27merge_sort_block_merge_implIS3_N6thrust23THRUST_200600_302600_NS6detail15normal_iteratorINS9_10device_ptrIyEEEEPS5_jNS1_19radix_merge_compareILb0ELb0EyNS0_19identity_decomposerEEEEE10hipError_tT0_T1_T2_jT3_P12ihipStream_tbPNSt15iterator_traitsISK_E10value_typeEPNSQ_ISL_E10value_typeEPSM_NS1_7vsmem_tEENKUlT_SK_SL_SM_E_clIPySE_SF_SF_EESJ_SZ_SK_SL_SM_EUlSZ_E1_NS1_11comp_targetILNS1_3genE3ELNS1_11target_archE908ELNS1_3gpuE7ELNS1_3repE0EEENS1_36merge_oddeven_config_static_selectorELNS0_4arch9wavefront6targetE1EEEvSL_
                                        ; -- End function
	.section	.AMDGPU.csdata,"",@progbits
; Kernel info:
; codeLenInByte = 0
; NumSgprs: 6
; NumVgprs: 0
; NumAgprs: 0
; TotalNumVgprs: 0
; ScratchSize: 0
; MemoryBound: 0
; FloatMode: 240
; IeeeMode: 1
; LDSByteSize: 0 bytes/workgroup (compile time only)
; SGPRBlocks: 0
; VGPRBlocks: 0
; NumSGPRsForWavesPerEU: 6
; NumVGPRsForWavesPerEU: 1
; AccumOffset: 4
; Occupancy: 8
; WaveLimiterHint : 0
; COMPUTE_PGM_RSRC2:SCRATCH_EN: 0
; COMPUTE_PGM_RSRC2:USER_SGPR: 2
; COMPUTE_PGM_RSRC2:TRAP_HANDLER: 0
; COMPUTE_PGM_RSRC2:TGID_X_EN: 1
; COMPUTE_PGM_RSRC2:TGID_Y_EN: 0
; COMPUTE_PGM_RSRC2:TGID_Z_EN: 0
; COMPUTE_PGM_RSRC2:TIDIG_COMP_CNT: 0
; COMPUTE_PGM_RSRC3_GFX90A:ACCUM_OFFSET: 0
; COMPUTE_PGM_RSRC3_GFX90A:TG_SPLIT: 0
	.section	.text._ZN7rocprim17ROCPRIM_400000_NS6detail17trampoline_kernelINS0_14default_configENS1_38merge_sort_block_merge_config_selectorIyNS0_10empty_typeEEEZZNS1_27merge_sort_block_merge_implIS3_N6thrust23THRUST_200600_302600_NS6detail15normal_iteratorINS9_10device_ptrIyEEEEPS5_jNS1_19radix_merge_compareILb0ELb0EyNS0_19identity_decomposerEEEEE10hipError_tT0_T1_T2_jT3_P12ihipStream_tbPNSt15iterator_traitsISK_E10value_typeEPNSQ_ISL_E10value_typeEPSM_NS1_7vsmem_tEENKUlT_SK_SL_SM_E_clIPySE_SF_SF_EESJ_SZ_SK_SL_SM_EUlSZ_E1_NS1_11comp_targetILNS1_3genE2ELNS1_11target_archE906ELNS1_3gpuE6ELNS1_3repE0EEENS1_36merge_oddeven_config_static_selectorELNS0_4arch9wavefront6targetE1EEEvSL_,"axG",@progbits,_ZN7rocprim17ROCPRIM_400000_NS6detail17trampoline_kernelINS0_14default_configENS1_38merge_sort_block_merge_config_selectorIyNS0_10empty_typeEEEZZNS1_27merge_sort_block_merge_implIS3_N6thrust23THRUST_200600_302600_NS6detail15normal_iteratorINS9_10device_ptrIyEEEEPS5_jNS1_19radix_merge_compareILb0ELb0EyNS0_19identity_decomposerEEEEE10hipError_tT0_T1_T2_jT3_P12ihipStream_tbPNSt15iterator_traitsISK_E10value_typeEPNSQ_ISL_E10value_typeEPSM_NS1_7vsmem_tEENKUlT_SK_SL_SM_E_clIPySE_SF_SF_EESJ_SZ_SK_SL_SM_EUlSZ_E1_NS1_11comp_targetILNS1_3genE2ELNS1_11target_archE906ELNS1_3gpuE6ELNS1_3repE0EEENS1_36merge_oddeven_config_static_selectorELNS0_4arch9wavefront6targetE1EEEvSL_,comdat
	.protected	_ZN7rocprim17ROCPRIM_400000_NS6detail17trampoline_kernelINS0_14default_configENS1_38merge_sort_block_merge_config_selectorIyNS0_10empty_typeEEEZZNS1_27merge_sort_block_merge_implIS3_N6thrust23THRUST_200600_302600_NS6detail15normal_iteratorINS9_10device_ptrIyEEEEPS5_jNS1_19radix_merge_compareILb0ELb0EyNS0_19identity_decomposerEEEEE10hipError_tT0_T1_T2_jT3_P12ihipStream_tbPNSt15iterator_traitsISK_E10value_typeEPNSQ_ISL_E10value_typeEPSM_NS1_7vsmem_tEENKUlT_SK_SL_SM_E_clIPySE_SF_SF_EESJ_SZ_SK_SL_SM_EUlSZ_E1_NS1_11comp_targetILNS1_3genE2ELNS1_11target_archE906ELNS1_3gpuE6ELNS1_3repE0EEENS1_36merge_oddeven_config_static_selectorELNS0_4arch9wavefront6targetE1EEEvSL_ ; -- Begin function _ZN7rocprim17ROCPRIM_400000_NS6detail17trampoline_kernelINS0_14default_configENS1_38merge_sort_block_merge_config_selectorIyNS0_10empty_typeEEEZZNS1_27merge_sort_block_merge_implIS3_N6thrust23THRUST_200600_302600_NS6detail15normal_iteratorINS9_10device_ptrIyEEEEPS5_jNS1_19radix_merge_compareILb0ELb0EyNS0_19identity_decomposerEEEEE10hipError_tT0_T1_T2_jT3_P12ihipStream_tbPNSt15iterator_traitsISK_E10value_typeEPNSQ_ISL_E10value_typeEPSM_NS1_7vsmem_tEENKUlT_SK_SL_SM_E_clIPySE_SF_SF_EESJ_SZ_SK_SL_SM_EUlSZ_E1_NS1_11comp_targetILNS1_3genE2ELNS1_11target_archE906ELNS1_3gpuE6ELNS1_3repE0EEENS1_36merge_oddeven_config_static_selectorELNS0_4arch9wavefront6targetE1EEEvSL_
	.globl	_ZN7rocprim17ROCPRIM_400000_NS6detail17trampoline_kernelINS0_14default_configENS1_38merge_sort_block_merge_config_selectorIyNS0_10empty_typeEEEZZNS1_27merge_sort_block_merge_implIS3_N6thrust23THRUST_200600_302600_NS6detail15normal_iteratorINS9_10device_ptrIyEEEEPS5_jNS1_19radix_merge_compareILb0ELb0EyNS0_19identity_decomposerEEEEE10hipError_tT0_T1_T2_jT3_P12ihipStream_tbPNSt15iterator_traitsISK_E10value_typeEPNSQ_ISL_E10value_typeEPSM_NS1_7vsmem_tEENKUlT_SK_SL_SM_E_clIPySE_SF_SF_EESJ_SZ_SK_SL_SM_EUlSZ_E1_NS1_11comp_targetILNS1_3genE2ELNS1_11target_archE906ELNS1_3gpuE6ELNS1_3repE0EEENS1_36merge_oddeven_config_static_selectorELNS0_4arch9wavefront6targetE1EEEvSL_
	.p2align	8
	.type	_ZN7rocprim17ROCPRIM_400000_NS6detail17trampoline_kernelINS0_14default_configENS1_38merge_sort_block_merge_config_selectorIyNS0_10empty_typeEEEZZNS1_27merge_sort_block_merge_implIS3_N6thrust23THRUST_200600_302600_NS6detail15normal_iteratorINS9_10device_ptrIyEEEEPS5_jNS1_19radix_merge_compareILb0ELb0EyNS0_19identity_decomposerEEEEE10hipError_tT0_T1_T2_jT3_P12ihipStream_tbPNSt15iterator_traitsISK_E10value_typeEPNSQ_ISL_E10value_typeEPSM_NS1_7vsmem_tEENKUlT_SK_SL_SM_E_clIPySE_SF_SF_EESJ_SZ_SK_SL_SM_EUlSZ_E1_NS1_11comp_targetILNS1_3genE2ELNS1_11target_archE906ELNS1_3gpuE6ELNS1_3repE0EEENS1_36merge_oddeven_config_static_selectorELNS0_4arch9wavefront6targetE1EEEvSL_,@function
_ZN7rocprim17ROCPRIM_400000_NS6detail17trampoline_kernelINS0_14default_configENS1_38merge_sort_block_merge_config_selectorIyNS0_10empty_typeEEEZZNS1_27merge_sort_block_merge_implIS3_N6thrust23THRUST_200600_302600_NS6detail15normal_iteratorINS9_10device_ptrIyEEEEPS5_jNS1_19radix_merge_compareILb0ELb0EyNS0_19identity_decomposerEEEEE10hipError_tT0_T1_T2_jT3_P12ihipStream_tbPNSt15iterator_traitsISK_E10value_typeEPNSQ_ISL_E10value_typeEPSM_NS1_7vsmem_tEENKUlT_SK_SL_SM_E_clIPySE_SF_SF_EESJ_SZ_SK_SL_SM_EUlSZ_E1_NS1_11comp_targetILNS1_3genE2ELNS1_11target_archE906ELNS1_3gpuE6ELNS1_3repE0EEENS1_36merge_oddeven_config_static_selectorELNS0_4arch9wavefront6targetE1EEEvSL_: ; @_ZN7rocprim17ROCPRIM_400000_NS6detail17trampoline_kernelINS0_14default_configENS1_38merge_sort_block_merge_config_selectorIyNS0_10empty_typeEEEZZNS1_27merge_sort_block_merge_implIS3_N6thrust23THRUST_200600_302600_NS6detail15normal_iteratorINS9_10device_ptrIyEEEEPS5_jNS1_19radix_merge_compareILb0ELb0EyNS0_19identity_decomposerEEEEE10hipError_tT0_T1_T2_jT3_P12ihipStream_tbPNSt15iterator_traitsISK_E10value_typeEPNSQ_ISL_E10value_typeEPSM_NS1_7vsmem_tEENKUlT_SK_SL_SM_E_clIPySE_SF_SF_EESJ_SZ_SK_SL_SM_EUlSZ_E1_NS1_11comp_targetILNS1_3genE2ELNS1_11target_archE906ELNS1_3gpuE6ELNS1_3repE0EEENS1_36merge_oddeven_config_static_selectorELNS0_4arch9wavefront6targetE1EEEvSL_
; %bb.0:
	.section	.rodata,"a",@progbits
	.p2align	6, 0x0
	.amdhsa_kernel _ZN7rocprim17ROCPRIM_400000_NS6detail17trampoline_kernelINS0_14default_configENS1_38merge_sort_block_merge_config_selectorIyNS0_10empty_typeEEEZZNS1_27merge_sort_block_merge_implIS3_N6thrust23THRUST_200600_302600_NS6detail15normal_iteratorINS9_10device_ptrIyEEEEPS5_jNS1_19radix_merge_compareILb0ELb0EyNS0_19identity_decomposerEEEEE10hipError_tT0_T1_T2_jT3_P12ihipStream_tbPNSt15iterator_traitsISK_E10value_typeEPNSQ_ISL_E10value_typeEPSM_NS1_7vsmem_tEENKUlT_SK_SL_SM_E_clIPySE_SF_SF_EESJ_SZ_SK_SL_SM_EUlSZ_E1_NS1_11comp_targetILNS1_3genE2ELNS1_11target_archE906ELNS1_3gpuE6ELNS1_3repE0EEENS1_36merge_oddeven_config_static_selectorELNS0_4arch9wavefront6targetE1EEEvSL_
		.amdhsa_group_segment_fixed_size 0
		.amdhsa_private_segment_fixed_size 0
		.amdhsa_kernarg_size 48
		.amdhsa_user_sgpr_count 2
		.amdhsa_user_sgpr_dispatch_ptr 0
		.amdhsa_user_sgpr_queue_ptr 0
		.amdhsa_user_sgpr_kernarg_segment_ptr 1
		.amdhsa_user_sgpr_dispatch_id 0
		.amdhsa_user_sgpr_kernarg_preload_length 0
		.amdhsa_user_sgpr_kernarg_preload_offset 0
		.amdhsa_user_sgpr_private_segment_size 0
		.amdhsa_uses_dynamic_stack 0
		.amdhsa_enable_private_segment 0
		.amdhsa_system_sgpr_workgroup_id_x 1
		.amdhsa_system_sgpr_workgroup_id_y 0
		.amdhsa_system_sgpr_workgroup_id_z 0
		.amdhsa_system_sgpr_workgroup_info 0
		.amdhsa_system_vgpr_workitem_id 0
		.amdhsa_next_free_vgpr 1
		.amdhsa_next_free_sgpr 0
		.amdhsa_accum_offset 4
		.amdhsa_reserve_vcc 0
		.amdhsa_float_round_mode_32 0
		.amdhsa_float_round_mode_16_64 0
		.amdhsa_float_denorm_mode_32 3
		.amdhsa_float_denorm_mode_16_64 3
		.amdhsa_dx10_clamp 1
		.amdhsa_ieee_mode 1
		.amdhsa_fp16_overflow 0
		.amdhsa_tg_split 0
		.amdhsa_exception_fp_ieee_invalid_op 0
		.amdhsa_exception_fp_denorm_src 0
		.amdhsa_exception_fp_ieee_div_zero 0
		.amdhsa_exception_fp_ieee_overflow 0
		.amdhsa_exception_fp_ieee_underflow 0
		.amdhsa_exception_fp_ieee_inexact 0
		.amdhsa_exception_int_div_zero 0
	.end_amdhsa_kernel
	.section	.text._ZN7rocprim17ROCPRIM_400000_NS6detail17trampoline_kernelINS0_14default_configENS1_38merge_sort_block_merge_config_selectorIyNS0_10empty_typeEEEZZNS1_27merge_sort_block_merge_implIS3_N6thrust23THRUST_200600_302600_NS6detail15normal_iteratorINS9_10device_ptrIyEEEEPS5_jNS1_19radix_merge_compareILb0ELb0EyNS0_19identity_decomposerEEEEE10hipError_tT0_T1_T2_jT3_P12ihipStream_tbPNSt15iterator_traitsISK_E10value_typeEPNSQ_ISL_E10value_typeEPSM_NS1_7vsmem_tEENKUlT_SK_SL_SM_E_clIPySE_SF_SF_EESJ_SZ_SK_SL_SM_EUlSZ_E1_NS1_11comp_targetILNS1_3genE2ELNS1_11target_archE906ELNS1_3gpuE6ELNS1_3repE0EEENS1_36merge_oddeven_config_static_selectorELNS0_4arch9wavefront6targetE1EEEvSL_,"axG",@progbits,_ZN7rocprim17ROCPRIM_400000_NS6detail17trampoline_kernelINS0_14default_configENS1_38merge_sort_block_merge_config_selectorIyNS0_10empty_typeEEEZZNS1_27merge_sort_block_merge_implIS3_N6thrust23THRUST_200600_302600_NS6detail15normal_iteratorINS9_10device_ptrIyEEEEPS5_jNS1_19radix_merge_compareILb0ELb0EyNS0_19identity_decomposerEEEEE10hipError_tT0_T1_T2_jT3_P12ihipStream_tbPNSt15iterator_traitsISK_E10value_typeEPNSQ_ISL_E10value_typeEPSM_NS1_7vsmem_tEENKUlT_SK_SL_SM_E_clIPySE_SF_SF_EESJ_SZ_SK_SL_SM_EUlSZ_E1_NS1_11comp_targetILNS1_3genE2ELNS1_11target_archE906ELNS1_3gpuE6ELNS1_3repE0EEENS1_36merge_oddeven_config_static_selectorELNS0_4arch9wavefront6targetE1EEEvSL_,comdat
.Lfunc_end745:
	.size	_ZN7rocprim17ROCPRIM_400000_NS6detail17trampoline_kernelINS0_14default_configENS1_38merge_sort_block_merge_config_selectorIyNS0_10empty_typeEEEZZNS1_27merge_sort_block_merge_implIS3_N6thrust23THRUST_200600_302600_NS6detail15normal_iteratorINS9_10device_ptrIyEEEEPS5_jNS1_19radix_merge_compareILb0ELb0EyNS0_19identity_decomposerEEEEE10hipError_tT0_T1_T2_jT3_P12ihipStream_tbPNSt15iterator_traitsISK_E10value_typeEPNSQ_ISL_E10value_typeEPSM_NS1_7vsmem_tEENKUlT_SK_SL_SM_E_clIPySE_SF_SF_EESJ_SZ_SK_SL_SM_EUlSZ_E1_NS1_11comp_targetILNS1_3genE2ELNS1_11target_archE906ELNS1_3gpuE6ELNS1_3repE0EEENS1_36merge_oddeven_config_static_selectorELNS0_4arch9wavefront6targetE1EEEvSL_, .Lfunc_end745-_ZN7rocprim17ROCPRIM_400000_NS6detail17trampoline_kernelINS0_14default_configENS1_38merge_sort_block_merge_config_selectorIyNS0_10empty_typeEEEZZNS1_27merge_sort_block_merge_implIS3_N6thrust23THRUST_200600_302600_NS6detail15normal_iteratorINS9_10device_ptrIyEEEEPS5_jNS1_19radix_merge_compareILb0ELb0EyNS0_19identity_decomposerEEEEE10hipError_tT0_T1_T2_jT3_P12ihipStream_tbPNSt15iterator_traitsISK_E10value_typeEPNSQ_ISL_E10value_typeEPSM_NS1_7vsmem_tEENKUlT_SK_SL_SM_E_clIPySE_SF_SF_EESJ_SZ_SK_SL_SM_EUlSZ_E1_NS1_11comp_targetILNS1_3genE2ELNS1_11target_archE906ELNS1_3gpuE6ELNS1_3repE0EEENS1_36merge_oddeven_config_static_selectorELNS0_4arch9wavefront6targetE1EEEvSL_
                                        ; -- End function
	.section	.AMDGPU.csdata,"",@progbits
; Kernel info:
; codeLenInByte = 0
; NumSgprs: 6
; NumVgprs: 0
; NumAgprs: 0
; TotalNumVgprs: 0
; ScratchSize: 0
; MemoryBound: 0
; FloatMode: 240
; IeeeMode: 1
; LDSByteSize: 0 bytes/workgroup (compile time only)
; SGPRBlocks: 0
; VGPRBlocks: 0
; NumSGPRsForWavesPerEU: 6
; NumVGPRsForWavesPerEU: 1
; AccumOffset: 4
; Occupancy: 8
; WaveLimiterHint : 0
; COMPUTE_PGM_RSRC2:SCRATCH_EN: 0
; COMPUTE_PGM_RSRC2:USER_SGPR: 2
; COMPUTE_PGM_RSRC2:TRAP_HANDLER: 0
; COMPUTE_PGM_RSRC2:TGID_X_EN: 1
; COMPUTE_PGM_RSRC2:TGID_Y_EN: 0
; COMPUTE_PGM_RSRC2:TGID_Z_EN: 0
; COMPUTE_PGM_RSRC2:TIDIG_COMP_CNT: 0
; COMPUTE_PGM_RSRC3_GFX90A:ACCUM_OFFSET: 0
; COMPUTE_PGM_RSRC3_GFX90A:TG_SPLIT: 0
	.section	.text._ZN7rocprim17ROCPRIM_400000_NS6detail17trampoline_kernelINS0_14default_configENS1_38merge_sort_block_merge_config_selectorIyNS0_10empty_typeEEEZZNS1_27merge_sort_block_merge_implIS3_N6thrust23THRUST_200600_302600_NS6detail15normal_iteratorINS9_10device_ptrIyEEEEPS5_jNS1_19radix_merge_compareILb0ELb0EyNS0_19identity_decomposerEEEEE10hipError_tT0_T1_T2_jT3_P12ihipStream_tbPNSt15iterator_traitsISK_E10value_typeEPNSQ_ISL_E10value_typeEPSM_NS1_7vsmem_tEENKUlT_SK_SL_SM_E_clIPySE_SF_SF_EESJ_SZ_SK_SL_SM_EUlSZ_E1_NS1_11comp_targetILNS1_3genE9ELNS1_11target_archE1100ELNS1_3gpuE3ELNS1_3repE0EEENS1_36merge_oddeven_config_static_selectorELNS0_4arch9wavefront6targetE1EEEvSL_,"axG",@progbits,_ZN7rocprim17ROCPRIM_400000_NS6detail17trampoline_kernelINS0_14default_configENS1_38merge_sort_block_merge_config_selectorIyNS0_10empty_typeEEEZZNS1_27merge_sort_block_merge_implIS3_N6thrust23THRUST_200600_302600_NS6detail15normal_iteratorINS9_10device_ptrIyEEEEPS5_jNS1_19radix_merge_compareILb0ELb0EyNS0_19identity_decomposerEEEEE10hipError_tT0_T1_T2_jT3_P12ihipStream_tbPNSt15iterator_traitsISK_E10value_typeEPNSQ_ISL_E10value_typeEPSM_NS1_7vsmem_tEENKUlT_SK_SL_SM_E_clIPySE_SF_SF_EESJ_SZ_SK_SL_SM_EUlSZ_E1_NS1_11comp_targetILNS1_3genE9ELNS1_11target_archE1100ELNS1_3gpuE3ELNS1_3repE0EEENS1_36merge_oddeven_config_static_selectorELNS0_4arch9wavefront6targetE1EEEvSL_,comdat
	.protected	_ZN7rocprim17ROCPRIM_400000_NS6detail17trampoline_kernelINS0_14default_configENS1_38merge_sort_block_merge_config_selectorIyNS0_10empty_typeEEEZZNS1_27merge_sort_block_merge_implIS3_N6thrust23THRUST_200600_302600_NS6detail15normal_iteratorINS9_10device_ptrIyEEEEPS5_jNS1_19radix_merge_compareILb0ELb0EyNS0_19identity_decomposerEEEEE10hipError_tT0_T1_T2_jT3_P12ihipStream_tbPNSt15iterator_traitsISK_E10value_typeEPNSQ_ISL_E10value_typeEPSM_NS1_7vsmem_tEENKUlT_SK_SL_SM_E_clIPySE_SF_SF_EESJ_SZ_SK_SL_SM_EUlSZ_E1_NS1_11comp_targetILNS1_3genE9ELNS1_11target_archE1100ELNS1_3gpuE3ELNS1_3repE0EEENS1_36merge_oddeven_config_static_selectorELNS0_4arch9wavefront6targetE1EEEvSL_ ; -- Begin function _ZN7rocprim17ROCPRIM_400000_NS6detail17trampoline_kernelINS0_14default_configENS1_38merge_sort_block_merge_config_selectorIyNS0_10empty_typeEEEZZNS1_27merge_sort_block_merge_implIS3_N6thrust23THRUST_200600_302600_NS6detail15normal_iteratorINS9_10device_ptrIyEEEEPS5_jNS1_19radix_merge_compareILb0ELb0EyNS0_19identity_decomposerEEEEE10hipError_tT0_T1_T2_jT3_P12ihipStream_tbPNSt15iterator_traitsISK_E10value_typeEPNSQ_ISL_E10value_typeEPSM_NS1_7vsmem_tEENKUlT_SK_SL_SM_E_clIPySE_SF_SF_EESJ_SZ_SK_SL_SM_EUlSZ_E1_NS1_11comp_targetILNS1_3genE9ELNS1_11target_archE1100ELNS1_3gpuE3ELNS1_3repE0EEENS1_36merge_oddeven_config_static_selectorELNS0_4arch9wavefront6targetE1EEEvSL_
	.globl	_ZN7rocprim17ROCPRIM_400000_NS6detail17trampoline_kernelINS0_14default_configENS1_38merge_sort_block_merge_config_selectorIyNS0_10empty_typeEEEZZNS1_27merge_sort_block_merge_implIS3_N6thrust23THRUST_200600_302600_NS6detail15normal_iteratorINS9_10device_ptrIyEEEEPS5_jNS1_19radix_merge_compareILb0ELb0EyNS0_19identity_decomposerEEEEE10hipError_tT0_T1_T2_jT3_P12ihipStream_tbPNSt15iterator_traitsISK_E10value_typeEPNSQ_ISL_E10value_typeEPSM_NS1_7vsmem_tEENKUlT_SK_SL_SM_E_clIPySE_SF_SF_EESJ_SZ_SK_SL_SM_EUlSZ_E1_NS1_11comp_targetILNS1_3genE9ELNS1_11target_archE1100ELNS1_3gpuE3ELNS1_3repE0EEENS1_36merge_oddeven_config_static_selectorELNS0_4arch9wavefront6targetE1EEEvSL_
	.p2align	8
	.type	_ZN7rocprim17ROCPRIM_400000_NS6detail17trampoline_kernelINS0_14default_configENS1_38merge_sort_block_merge_config_selectorIyNS0_10empty_typeEEEZZNS1_27merge_sort_block_merge_implIS3_N6thrust23THRUST_200600_302600_NS6detail15normal_iteratorINS9_10device_ptrIyEEEEPS5_jNS1_19radix_merge_compareILb0ELb0EyNS0_19identity_decomposerEEEEE10hipError_tT0_T1_T2_jT3_P12ihipStream_tbPNSt15iterator_traitsISK_E10value_typeEPNSQ_ISL_E10value_typeEPSM_NS1_7vsmem_tEENKUlT_SK_SL_SM_E_clIPySE_SF_SF_EESJ_SZ_SK_SL_SM_EUlSZ_E1_NS1_11comp_targetILNS1_3genE9ELNS1_11target_archE1100ELNS1_3gpuE3ELNS1_3repE0EEENS1_36merge_oddeven_config_static_selectorELNS0_4arch9wavefront6targetE1EEEvSL_,@function
_ZN7rocprim17ROCPRIM_400000_NS6detail17trampoline_kernelINS0_14default_configENS1_38merge_sort_block_merge_config_selectorIyNS0_10empty_typeEEEZZNS1_27merge_sort_block_merge_implIS3_N6thrust23THRUST_200600_302600_NS6detail15normal_iteratorINS9_10device_ptrIyEEEEPS5_jNS1_19radix_merge_compareILb0ELb0EyNS0_19identity_decomposerEEEEE10hipError_tT0_T1_T2_jT3_P12ihipStream_tbPNSt15iterator_traitsISK_E10value_typeEPNSQ_ISL_E10value_typeEPSM_NS1_7vsmem_tEENKUlT_SK_SL_SM_E_clIPySE_SF_SF_EESJ_SZ_SK_SL_SM_EUlSZ_E1_NS1_11comp_targetILNS1_3genE9ELNS1_11target_archE1100ELNS1_3gpuE3ELNS1_3repE0EEENS1_36merge_oddeven_config_static_selectorELNS0_4arch9wavefront6targetE1EEEvSL_: ; @_ZN7rocprim17ROCPRIM_400000_NS6detail17trampoline_kernelINS0_14default_configENS1_38merge_sort_block_merge_config_selectorIyNS0_10empty_typeEEEZZNS1_27merge_sort_block_merge_implIS3_N6thrust23THRUST_200600_302600_NS6detail15normal_iteratorINS9_10device_ptrIyEEEEPS5_jNS1_19radix_merge_compareILb0ELb0EyNS0_19identity_decomposerEEEEE10hipError_tT0_T1_T2_jT3_P12ihipStream_tbPNSt15iterator_traitsISK_E10value_typeEPNSQ_ISL_E10value_typeEPSM_NS1_7vsmem_tEENKUlT_SK_SL_SM_E_clIPySE_SF_SF_EESJ_SZ_SK_SL_SM_EUlSZ_E1_NS1_11comp_targetILNS1_3genE9ELNS1_11target_archE1100ELNS1_3gpuE3ELNS1_3repE0EEENS1_36merge_oddeven_config_static_selectorELNS0_4arch9wavefront6targetE1EEEvSL_
; %bb.0:
	.section	.rodata,"a",@progbits
	.p2align	6, 0x0
	.amdhsa_kernel _ZN7rocprim17ROCPRIM_400000_NS6detail17trampoline_kernelINS0_14default_configENS1_38merge_sort_block_merge_config_selectorIyNS0_10empty_typeEEEZZNS1_27merge_sort_block_merge_implIS3_N6thrust23THRUST_200600_302600_NS6detail15normal_iteratorINS9_10device_ptrIyEEEEPS5_jNS1_19radix_merge_compareILb0ELb0EyNS0_19identity_decomposerEEEEE10hipError_tT0_T1_T2_jT3_P12ihipStream_tbPNSt15iterator_traitsISK_E10value_typeEPNSQ_ISL_E10value_typeEPSM_NS1_7vsmem_tEENKUlT_SK_SL_SM_E_clIPySE_SF_SF_EESJ_SZ_SK_SL_SM_EUlSZ_E1_NS1_11comp_targetILNS1_3genE9ELNS1_11target_archE1100ELNS1_3gpuE3ELNS1_3repE0EEENS1_36merge_oddeven_config_static_selectorELNS0_4arch9wavefront6targetE1EEEvSL_
		.amdhsa_group_segment_fixed_size 0
		.amdhsa_private_segment_fixed_size 0
		.amdhsa_kernarg_size 48
		.amdhsa_user_sgpr_count 2
		.amdhsa_user_sgpr_dispatch_ptr 0
		.amdhsa_user_sgpr_queue_ptr 0
		.amdhsa_user_sgpr_kernarg_segment_ptr 1
		.amdhsa_user_sgpr_dispatch_id 0
		.amdhsa_user_sgpr_kernarg_preload_length 0
		.amdhsa_user_sgpr_kernarg_preload_offset 0
		.amdhsa_user_sgpr_private_segment_size 0
		.amdhsa_uses_dynamic_stack 0
		.amdhsa_enable_private_segment 0
		.amdhsa_system_sgpr_workgroup_id_x 1
		.amdhsa_system_sgpr_workgroup_id_y 0
		.amdhsa_system_sgpr_workgroup_id_z 0
		.amdhsa_system_sgpr_workgroup_info 0
		.amdhsa_system_vgpr_workitem_id 0
		.amdhsa_next_free_vgpr 1
		.amdhsa_next_free_sgpr 0
		.amdhsa_accum_offset 4
		.amdhsa_reserve_vcc 0
		.amdhsa_float_round_mode_32 0
		.amdhsa_float_round_mode_16_64 0
		.amdhsa_float_denorm_mode_32 3
		.amdhsa_float_denorm_mode_16_64 3
		.amdhsa_dx10_clamp 1
		.amdhsa_ieee_mode 1
		.amdhsa_fp16_overflow 0
		.amdhsa_tg_split 0
		.amdhsa_exception_fp_ieee_invalid_op 0
		.amdhsa_exception_fp_denorm_src 0
		.amdhsa_exception_fp_ieee_div_zero 0
		.amdhsa_exception_fp_ieee_overflow 0
		.amdhsa_exception_fp_ieee_underflow 0
		.amdhsa_exception_fp_ieee_inexact 0
		.amdhsa_exception_int_div_zero 0
	.end_amdhsa_kernel
	.section	.text._ZN7rocprim17ROCPRIM_400000_NS6detail17trampoline_kernelINS0_14default_configENS1_38merge_sort_block_merge_config_selectorIyNS0_10empty_typeEEEZZNS1_27merge_sort_block_merge_implIS3_N6thrust23THRUST_200600_302600_NS6detail15normal_iteratorINS9_10device_ptrIyEEEEPS5_jNS1_19radix_merge_compareILb0ELb0EyNS0_19identity_decomposerEEEEE10hipError_tT0_T1_T2_jT3_P12ihipStream_tbPNSt15iterator_traitsISK_E10value_typeEPNSQ_ISL_E10value_typeEPSM_NS1_7vsmem_tEENKUlT_SK_SL_SM_E_clIPySE_SF_SF_EESJ_SZ_SK_SL_SM_EUlSZ_E1_NS1_11comp_targetILNS1_3genE9ELNS1_11target_archE1100ELNS1_3gpuE3ELNS1_3repE0EEENS1_36merge_oddeven_config_static_selectorELNS0_4arch9wavefront6targetE1EEEvSL_,"axG",@progbits,_ZN7rocprim17ROCPRIM_400000_NS6detail17trampoline_kernelINS0_14default_configENS1_38merge_sort_block_merge_config_selectorIyNS0_10empty_typeEEEZZNS1_27merge_sort_block_merge_implIS3_N6thrust23THRUST_200600_302600_NS6detail15normal_iteratorINS9_10device_ptrIyEEEEPS5_jNS1_19radix_merge_compareILb0ELb0EyNS0_19identity_decomposerEEEEE10hipError_tT0_T1_T2_jT3_P12ihipStream_tbPNSt15iterator_traitsISK_E10value_typeEPNSQ_ISL_E10value_typeEPSM_NS1_7vsmem_tEENKUlT_SK_SL_SM_E_clIPySE_SF_SF_EESJ_SZ_SK_SL_SM_EUlSZ_E1_NS1_11comp_targetILNS1_3genE9ELNS1_11target_archE1100ELNS1_3gpuE3ELNS1_3repE0EEENS1_36merge_oddeven_config_static_selectorELNS0_4arch9wavefront6targetE1EEEvSL_,comdat
.Lfunc_end746:
	.size	_ZN7rocprim17ROCPRIM_400000_NS6detail17trampoline_kernelINS0_14default_configENS1_38merge_sort_block_merge_config_selectorIyNS0_10empty_typeEEEZZNS1_27merge_sort_block_merge_implIS3_N6thrust23THRUST_200600_302600_NS6detail15normal_iteratorINS9_10device_ptrIyEEEEPS5_jNS1_19radix_merge_compareILb0ELb0EyNS0_19identity_decomposerEEEEE10hipError_tT0_T1_T2_jT3_P12ihipStream_tbPNSt15iterator_traitsISK_E10value_typeEPNSQ_ISL_E10value_typeEPSM_NS1_7vsmem_tEENKUlT_SK_SL_SM_E_clIPySE_SF_SF_EESJ_SZ_SK_SL_SM_EUlSZ_E1_NS1_11comp_targetILNS1_3genE9ELNS1_11target_archE1100ELNS1_3gpuE3ELNS1_3repE0EEENS1_36merge_oddeven_config_static_selectorELNS0_4arch9wavefront6targetE1EEEvSL_, .Lfunc_end746-_ZN7rocprim17ROCPRIM_400000_NS6detail17trampoline_kernelINS0_14default_configENS1_38merge_sort_block_merge_config_selectorIyNS0_10empty_typeEEEZZNS1_27merge_sort_block_merge_implIS3_N6thrust23THRUST_200600_302600_NS6detail15normal_iteratorINS9_10device_ptrIyEEEEPS5_jNS1_19radix_merge_compareILb0ELb0EyNS0_19identity_decomposerEEEEE10hipError_tT0_T1_T2_jT3_P12ihipStream_tbPNSt15iterator_traitsISK_E10value_typeEPNSQ_ISL_E10value_typeEPSM_NS1_7vsmem_tEENKUlT_SK_SL_SM_E_clIPySE_SF_SF_EESJ_SZ_SK_SL_SM_EUlSZ_E1_NS1_11comp_targetILNS1_3genE9ELNS1_11target_archE1100ELNS1_3gpuE3ELNS1_3repE0EEENS1_36merge_oddeven_config_static_selectorELNS0_4arch9wavefront6targetE1EEEvSL_
                                        ; -- End function
	.section	.AMDGPU.csdata,"",@progbits
; Kernel info:
; codeLenInByte = 0
; NumSgprs: 6
; NumVgprs: 0
; NumAgprs: 0
; TotalNumVgprs: 0
; ScratchSize: 0
; MemoryBound: 0
; FloatMode: 240
; IeeeMode: 1
; LDSByteSize: 0 bytes/workgroup (compile time only)
; SGPRBlocks: 0
; VGPRBlocks: 0
; NumSGPRsForWavesPerEU: 6
; NumVGPRsForWavesPerEU: 1
; AccumOffset: 4
; Occupancy: 8
; WaveLimiterHint : 0
; COMPUTE_PGM_RSRC2:SCRATCH_EN: 0
; COMPUTE_PGM_RSRC2:USER_SGPR: 2
; COMPUTE_PGM_RSRC2:TRAP_HANDLER: 0
; COMPUTE_PGM_RSRC2:TGID_X_EN: 1
; COMPUTE_PGM_RSRC2:TGID_Y_EN: 0
; COMPUTE_PGM_RSRC2:TGID_Z_EN: 0
; COMPUTE_PGM_RSRC2:TIDIG_COMP_CNT: 0
; COMPUTE_PGM_RSRC3_GFX90A:ACCUM_OFFSET: 0
; COMPUTE_PGM_RSRC3_GFX90A:TG_SPLIT: 0
	.section	.text._ZN7rocprim17ROCPRIM_400000_NS6detail17trampoline_kernelINS0_14default_configENS1_38merge_sort_block_merge_config_selectorIyNS0_10empty_typeEEEZZNS1_27merge_sort_block_merge_implIS3_N6thrust23THRUST_200600_302600_NS6detail15normal_iteratorINS9_10device_ptrIyEEEEPS5_jNS1_19radix_merge_compareILb0ELb0EyNS0_19identity_decomposerEEEEE10hipError_tT0_T1_T2_jT3_P12ihipStream_tbPNSt15iterator_traitsISK_E10value_typeEPNSQ_ISL_E10value_typeEPSM_NS1_7vsmem_tEENKUlT_SK_SL_SM_E_clIPySE_SF_SF_EESJ_SZ_SK_SL_SM_EUlSZ_E1_NS1_11comp_targetILNS1_3genE8ELNS1_11target_archE1030ELNS1_3gpuE2ELNS1_3repE0EEENS1_36merge_oddeven_config_static_selectorELNS0_4arch9wavefront6targetE1EEEvSL_,"axG",@progbits,_ZN7rocprim17ROCPRIM_400000_NS6detail17trampoline_kernelINS0_14default_configENS1_38merge_sort_block_merge_config_selectorIyNS0_10empty_typeEEEZZNS1_27merge_sort_block_merge_implIS3_N6thrust23THRUST_200600_302600_NS6detail15normal_iteratorINS9_10device_ptrIyEEEEPS5_jNS1_19radix_merge_compareILb0ELb0EyNS0_19identity_decomposerEEEEE10hipError_tT0_T1_T2_jT3_P12ihipStream_tbPNSt15iterator_traitsISK_E10value_typeEPNSQ_ISL_E10value_typeEPSM_NS1_7vsmem_tEENKUlT_SK_SL_SM_E_clIPySE_SF_SF_EESJ_SZ_SK_SL_SM_EUlSZ_E1_NS1_11comp_targetILNS1_3genE8ELNS1_11target_archE1030ELNS1_3gpuE2ELNS1_3repE0EEENS1_36merge_oddeven_config_static_selectorELNS0_4arch9wavefront6targetE1EEEvSL_,comdat
	.protected	_ZN7rocprim17ROCPRIM_400000_NS6detail17trampoline_kernelINS0_14default_configENS1_38merge_sort_block_merge_config_selectorIyNS0_10empty_typeEEEZZNS1_27merge_sort_block_merge_implIS3_N6thrust23THRUST_200600_302600_NS6detail15normal_iteratorINS9_10device_ptrIyEEEEPS5_jNS1_19radix_merge_compareILb0ELb0EyNS0_19identity_decomposerEEEEE10hipError_tT0_T1_T2_jT3_P12ihipStream_tbPNSt15iterator_traitsISK_E10value_typeEPNSQ_ISL_E10value_typeEPSM_NS1_7vsmem_tEENKUlT_SK_SL_SM_E_clIPySE_SF_SF_EESJ_SZ_SK_SL_SM_EUlSZ_E1_NS1_11comp_targetILNS1_3genE8ELNS1_11target_archE1030ELNS1_3gpuE2ELNS1_3repE0EEENS1_36merge_oddeven_config_static_selectorELNS0_4arch9wavefront6targetE1EEEvSL_ ; -- Begin function _ZN7rocprim17ROCPRIM_400000_NS6detail17trampoline_kernelINS0_14default_configENS1_38merge_sort_block_merge_config_selectorIyNS0_10empty_typeEEEZZNS1_27merge_sort_block_merge_implIS3_N6thrust23THRUST_200600_302600_NS6detail15normal_iteratorINS9_10device_ptrIyEEEEPS5_jNS1_19radix_merge_compareILb0ELb0EyNS0_19identity_decomposerEEEEE10hipError_tT0_T1_T2_jT3_P12ihipStream_tbPNSt15iterator_traitsISK_E10value_typeEPNSQ_ISL_E10value_typeEPSM_NS1_7vsmem_tEENKUlT_SK_SL_SM_E_clIPySE_SF_SF_EESJ_SZ_SK_SL_SM_EUlSZ_E1_NS1_11comp_targetILNS1_3genE8ELNS1_11target_archE1030ELNS1_3gpuE2ELNS1_3repE0EEENS1_36merge_oddeven_config_static_selectorELNS0_4arch9wavefront6targetE1EEEvSL_
	.globl	_ZN7rocprim17ROCPRIM_400000_NS6detail17trampoline_kernelINS0_14default_configENS1_38merge_sort_block_merge_config_selectorIyNS0_10empty_typeEEEZZNS1_27merge_sort_block_merge_implIS3_N6thrust23THRUST_200600_302600_NS6detail15normal_iteratorINS9_10device_ptrIyEEEEPS5_jNS1_19radix_merge_compareILb0ELb0EyNS0_19identity_decomposerEEEEE10hipError_tT0_T1_T2_jT3_P12ihipStream_tbPNSt15iterator_traitsISK_E10value_typeEPNSQ_ISL_E10value_typeEPSM_NS1_7vsmem_tEENKUlT_SK_SL_SM_E_clIPySE_SF_SF_EESJ_SZ_SK_SL_SM_EUlSZ_E1_NS1_11comp_targetILNS1_3genE8ELNS1_11target_archE1030ELNS1_3gpuE2ELNS1_3repE0EEENS1_36merge_oddeven_config_static_selectorELNS0_4arch9wavefront6targetE1EEEvSL_
	.p2align	8
	.type	_ZN7rocprim17ROCPRIM_400000_NS6detail17trampoline_kernelINS0_14default_configENS1_38merge_sort_block_merge_config_selectorIyNS0_10empty_typeEEEZZNS1_27merge_sort_block_merge_implIS3_N6thrust23THRUST_200600_302600_NS6detail15normal_iteratorINS9_10device_ptrIyEEEEPS5_jNS1_19radix_merge_compareILb0ELb0EyNS0_19identity_decomposerEEEEE10hipError_tT0_T1_T2_jT3_P12ihipStream_tbPNSt15iterator_traitsISK_E10value_typeEPNSQ_ISL_E10value_typeEPSM_NS1_7vsmem_tEENKUlT_SK_SL_SM_E_clIPySE_SF_SF_EESJ_SZ_SK_SL_SM_EUlSZ_E1_NS1_11comp_targetILNS1_3genE8ELNS1_11target_archE1030ELNS1_3gpuE2ELNS1_3repE0EEENS1_36merge_oddeven_config_static_selectorELNS0_4arch9wavefront6targetE1EEEvSL_,@function
_ZN7rocprim17ROCPRIM_400000_NS6detail17trampoline_kernelINS0_14default_configENS1_38merge_sort_block_merge_config_selectorIyNS0_10empty_typeEEEZZNS1_27merge_sort_block_merge_implIS3_N6thrust23THRUST_200600_302600_NS6detail15normal_iteratorINS9_10device_ptrIyEEEEPS5_jNS1_19radix_merge_compareILb0ELb0EyNS0_19identity_decomposerEEEEE10hipError_tT0_T1_T2_jT3_P12ihipStream_tbPNSt15iterator_traitsISK_E10value_typeEPNSQ_ISL_E10value_typeEPSM_NS1_7vsmem_tEENKUlT_SK_SL_SM_E_clIPySE_SF_SF_EESJ_SZ_SK_SL_SM_EUlSZ_E1_NS1_11comp_targetILNS1_3genE8ELNS1_11target_archE1030ELNS1_3gpuE2ELNS1_3repE0EEENS1_36merge_oddeven_config_static_selectorELNS0_4arch9wavefront6targetE1EEEvSL_: ; @_ZN7rocprim17ROCPRIM_400000_NS6detail17trampoline_kernelINS0_14default_configENS1_38merge_sort_block_merge_config_selectorIyNS0_10empty_typeEEEZZNS1_27merge_sort_block_merge_implIS3_N6thrust23THRUST_200600_302600_NS6detail15normal_iteratorINS9_10device_ptrIyEEEEPS5_jNS1_19radix_merge_compareILb0ELb0EyNS0_19identity_decomposerEEEEE10hipError_tT0_T1_T2_jT3_P12ihipStream_tbPNSt15iterator_traitsISK_E10value_typeEPNSQ_ISL_E10value_typeEPSM_NS1_7vsmem_tEENKUlT_SK_SL_SM_E_clIPySE_SF_SF_EESJ_SZ_SK_SL_SM_EUlSZ_E1_NS1_11comp_targetILNS1_3genE8ELNS1_11target_archE1030ELNS1_3gpuE2ELNS1_3repE0EEENS1_36merge_oddeven_config_static_selectorELNS0_4arch9wavefront6targetE1EEEvSL_
; %bb.0:
	.section	.rodata,"a",@progbits
	.p2align	6, 0x0
	.amdhsa_kernel _ZN7rocprim17ROCPRIM_400000_NS6detail17trampoline_kernelINS0_14default_configENS1_38merge_sort_block_merge_config_selectorIyNS0_10empty_typeEEEZZNS1_27merge_sort_block_merge_implIS3_N6thrust23THRUST_200600_302600_NS6detail15normal_iteratorINS9_10device_ptrIyEEEEPS5_jNS1_19radix_merge_compareILb0ELb0EyNS0_19identity_decomposerEEEEE10hipError_tT0_T1_T2_jT3_P12ihipStream_tbPNSt15iterator_traitsISK_E10value_typeEPNSQ_ISL_E10value_typeEPSM_NS1_7vsmem_tEENKUlT_SK_SL_SM_E_clIPySE_SF_SF_EESJ_SZ_SK_SL_SM_EUlSZ_E1_NS1_11comp_targetILNS1_3genE8ELNS1_11target_archE1030ELNS1_3gpuE2ELNS1_3repE0EEENS1_36merge_oddeven_config_static_selectorELNS0_4arch9wavefront6targetE1EEEvSL_
		.amdhsa_group_segment_fixed_size 0
		.amdhsa_private_segment_fixed_size 0
		.amdhsa_kernarg_size 48
		.amdhsa_user_sgpr_count 2
		.amdhsa_user_sgpr_dispatch_ptr 0
		.amdhsa_user_sgpr_queue_ptr 0
		.amdhsa_user_sgpr_kernarg_segment_ptr 1
		.amdhsa_user_sgpr_dispatch_id 0
		.amdhsa_user_sgpr_kernarg_preload_length 0
		.amdhsa_user_sgpr_kernarg_preload_offset 0
		.amdhsa_user_sgpr_private_segment_size 0
		.amdhsa_uses_dynamic_stack 0
		.amdhsa_enable_private_segment 0
		.amdhsa_system_sgpr_workgroup_id_x 1
		.amdhsa_system_sgpr_workgroup_id_y 0
		.amdhsa_system_sgpr_workgroup_id_z 0
		.amdhsa_system_sgpr_workgroup_info 0
		.amdhsa_system_vgpr_workitem_id 0
		.amdhsa_next_free_vgpr 1
		.amdhsa_next_free_sgpr 0
		.amdhsa_accum_offset 4
		.amdhsa_reserve_vcc 0
		.amdhsa_float_round_mode_32 0
		.amdhsa_float_round_mode_16_64 0
		.amdhsa_float_denorm_mode_32 3
		.amdhsa_float_denorm_mode_16_64 3
		.amdhsa_dx10_clamp 1
		.amdhsa_ieee_mode 1
		.amdhsa_fp16_overflow 0
		.amdhsa_tg_split 0
		.amdhsa_exception_fp_ieee_invalid_op 0
		.amdhsa_exception_fp_denorm_src 0
		.amdhsa_exception_fp_ieee_div_zero 0
		.amdhsa_exception_fp_ieee_overflow 0
		.amdhsa_exception_fp_ieee_underflow 0
		.amdhsa_exception_fp_ieee_inexact 0
		.amdhsa_exception_int_div_zero 0
	.end_amdhsa_kernel
	.section	.text._ZN7rocprim17ROCPRIM_400000_NS6detail17trampoline_kernelINS0_14default_configENS1_38merge_sort_block_merge_config_selectorIyNS0_10empty_typeEEEZZNS1_27merge_sort_block_merge_implIS3_N6thrust23THRUST_200600_302600_NS6detail15normal_iteratorINS9_10device_ptrIyEEEEPS5_jNS1_19radix_merge_compareILb0ELb0EyNS0_19identity_decomposerEEEEE10hipError_tT0_T1_T2_jT3_P12ihipStream_tbPNSt15iterator_traitsISK_E10value_typeEPNSQ_ISL_E10value_typeEPSM_NS1_7vsmem_tEENKUlT_SK_SL_SM_E_clIPySE_SF_SF_EESJ_SZ_SK_SL_SM_EUlSZ_E1_NS1_11comp_targetILNS1_3genE8ELNS1_11target_archE1030ELNS1_3gpuE2ELNS1_3repE0EEENS1_36merge_oddeven_config_static_selectorELNS0_4arch9wavefront6targetE1EEEvSL_,"axG",@progbits,_ZN7rocprim17ROCPRIM_400000_NS6detail17trampoline_kernelINS0_14default_configENS1_38merge_sort_block_merge_config_selectorIyNS0_10empty_typeEEEZZNS1_27merge_sort_block_merge_implIS3_N6thrust23THRUST_200600_302600_NS6detail15normal_iteratorINS9_10device_ptrIyEEEEPS5_jNS1_19radix_merge_compareILb0ELb0EyNS0_19identity_decomposerEEEEE10hipError_tT0_T1_T2_jT3_P12ihipStream_tbPNSt15iterator_traitsISK_E10value_typeEPNSQ_ISL_E10value_typeEPSM_NS1_7vsmem_tEENKUlT_SK_SL_SM_E_clIPySE_SF_SF_EESJ_SZ_SK_SL_SM_EUlSZ_E1_NS1_11comp_targetILNS1_3genE8ELNS1_11target_archE1030ELNS1_3gpuE2ELNS1_3repE0EEENS1_36merge_oddeven_config_static_selectorELNS0_4arch9wavefront6targetE1EEEvSL_,comdat
.Lfunc_end747:
	.size	_ZN7rocprim17ROCPRIM_400000_NS6detail17trampoline_kernelINS0_14default_configENS1_38merge_sort_block_merge_config_selectorIyNS0_10empty_typeEEEZZNS1_27merge_sort_block_merge_implIS3_N6thrust23THRUST_200600_302600_NS6detail15normal_iteratorINS9_10device_ptrIyEEEEPS5_jNS1_19radix_merge_compareILb0ELb0EyNS0_19identity_decomposerEEEEE10hipError_tT0_T1_T2_jT3_P12ihipStream_tbPNSt15iterator_traitsISK_E10value_typeEPNSQ_ISL_E10value_typeEPSM_NS1_7vsmem_tEENKUlT_SK_SL_SM_E_clIPySE_SF_SF_EESJ_SZ_SK_SL_SM_EUlSZ_E1_NS1_11comp_targetILNS1_3genE8ELNS1_11target_archE1030ELNS1_3gpuE2ELNS1_3repE0EEENS1_36merge_oddeven_config_static_selectorELNS0_4arch9wavefront6targetE1EEEvSL_, .Lfunc_end747-_ZN7rocprim17ROCPRIM_400000_NS6detail17trampoline_kernelINS0_14default_configENS1_38merge_sort_block_merge_config_selectorIyNS0_10empty_typeEEEZZNS1_27merge_sort_block_merge_implIS3_N6thrust23THRUST_200600_302600_NS6detail15normal_iteratorINS9_10device_ptrIyEEEEPS5_jNS1_19radix_merge_compareILb0ELb0EyNS0_19identity_decomposerEEEEE10hipError_tT0_T1_T2_jT3_P12ihipStream_tbPNSt15iterator_traitsISK_E10value_typeEPNSQ_ISL_E10value_typeEPSM_NS1_7vsmem_tEENKUlT_SK_SL_SM_E_clIPySE_SF_SF_EESJ_SZ_SK_SL_SM_EUlSZ_E1_NS1_11comp_targetILNS1_3genE8ELNS1_11target_archE1030ELNS1_3gpuE2ELNS1_3repE0EEENS1_36merge_oddeven_config_static_selectorELNS0_4arch9wavefront6targetE1EEEvSL_
                                        ; -- End function
	.section	.AMDGPU.csdata,"",@progbits
; Kernel info:
; codeLenInByte = 0
; NumSgprs: 6
; NumVgprs: 0
; NumAgprs: 0
; TotalNumVgprs: 0
; ScratchSize: 0
; MemoryBound: 0
; FloatMode: 240
; IeeeMode: 1
; LDSByteSize: 0 bytes/workgroup (compile time only)
; SGPRBlocks: 0
; VGPRBlocks: 0
; NumSGPRsForWavesPerEU: 6
; NumVGPRsForWavesPerEU: 1
; AccumOffset: 4
; Occupancy: 8
; WaveLimiterHint : 0
; COMPUTE_PGM_RSRC2:SCRATCH_EN: 0
; COMPUTE_PGM_RSRC2:USER_SGPR: 2
; COMPUTE_PGM_RSRC2:TRAP_HANDLER: 0
; COMPUTE_PGM_RSRC2:TGID_X_EN: 1
; COMPUTE_PGM_RSRC2:TGID_Y_EN: 0
; COMPUTE_PGM_RSRC2:TGID_Z_EN: 0
; COMPUTE_PGM_RSRC2:TIDIG_COMP_CNT: 0
; COMPUTE_PGM_RSRC3_GFX90A:ACCUM_OFFSET: 0
; COMPUTE_PGM_RSRC3_GFX90A:TG_SPLIT: 0
	.section	.text._ZN7rocprim17ROCPRIM_400000_NS6detail17trampoline_kernelINS0_14default_configENS1_38merge_sort_block_merge_config_selectorIyNS0_10empty_typeEEEZZNS1_27merge_sort_block_merge_implIS3_N6thrust23THRUST_200600_302600_NS6detail15normal_iteratorINS9_10device_ptrIyEEEEPS5_jNS1_19radix_merge_compareILb0ELb0EyNS0_19identity_decomposerEEEEE10hipError_tT0_T1_T2_jT3_P12ihipStream_tbPNSt15iterator_traitsISK_E10value_typeEPNSQ_ISL_E10value_typeEPSM_NS1_7vsmem_tEENKUlT_SK_SL_SM_E_clISE_PySF_SF_EESJ_SZ_SK_SL_SM_EUlSZ_E_NS1_11comp_targetILNS1_3genE0ELNS1_11target_archE4294967295ELNS1_3gpuE0ELNS1_3repE0EEENS1_48merge_mergepath_partition_config_static_selectorELNS0_4arch9wavefront6targetE1EEEvSL_,"axG",@progbits,_ZN7rocprim17ROCPRIM_400000_NS6detail17trampoline_kernelINS0_14default_configENS1_38merge_sort_block_merge_config_selectorIyNS0_10empty_typeEEEZZNS1_27merge_sort_block_merge_implIS3_N6thrust23THRUST_200600_302600_NS6detail15normal_iteratorINS9_10device_ptrIyEEEEPS5_jNS1_19radix_merge_compareILb0ELb0EyNS0_19identity_decomposerEEEEE10hipError_tT0_T1_T2_jT3_P12ihipStream_tbPNSt15iterator_traitsISK_E10value_typeEPNSQ_ISL_E10value_typeEPSM_NS1_7vsmem_tEENKUlT_SK_SL_SM_E_clISE_PySF_SF_EESJ_SZ_SK_SL_SM_EUlSZ_E_NS1_11comp_targetILNS1_3genE0ELNS1_11target_archE4294967295ELNS1_3gpuE0ELNS1_3repE0EEENS1_48merge_mergepath_partition_config_static_selectorELNS0_4arch9wavefront6targetE1EEEvSL_,comdat
	.protected	_ZN7rocprim17ROCPRIM_400000_NS6detail17trampoline_kernelINS0_14default_configENS1_38merge_sort_block_merge_config_selectorIyNS0_10empty_typeEEEZZNS1_27merge_sort_block_merge_implIS3_N6thrust23THRUST_200600_302600_NS6detail15normal_iteratorINS9_10device_ptrIyEEEEPS5_jNS1_19radix_merge_compareILb0ELb0EyNS0_19identity_decomposerEEEEE10hipError_tT0_T1_T2_jT3_P12ihipStream_tbPNSt15iterator_traitsISK_E10value_typeEPNSQ_ISL_E10value_typeEPSM_NS1_7vsmem_tEENKUlT_SK_SL_SM_E_clISE_PySF_SF_EESJ_SZ_SK_SL_SM_EUlSZ_E_NS1_11comp_targetILNS1_3genE0ELNS1_11target_archE4294967295ELNS1_3gpuE0ELNS1_3repE0EEENS1_48merge_mergepath_partition_config_static_selectorELNS0_4arch9wavefront6targetE1EEEvSL_ ; -- Begin function _ZN7rocprim17ROCPRIM_400000_NS6detail17trampoline_kernelINS0_14default_configENS1_38merge_sort_block_merge_config_selectorIyNS0_10empty_typeEEEZZNS1_27merge_sort_block_merge_implIS3_N6thrust23THRUST_200600_302600_NS6detail15normal_iteratorINS9_10device_ptrIyEEEEPS5_jNS1_19radix_merge_compareILb0ELb0EyNS0_19identity_decomposerEEEEE10hipError_tT0_T1_T2_jT3_P12ihipStream_tbPNSt15iterator_traitsISK_E10value_typeEPNSQ_ISL_E10value_typeEPSM_NS1_7vsmem_tEENKUlT_SK_SL_SM_E_clISE_PySF_SF_EESJ_SZ_SK_SL_SM_EUlSZ_E_NS1_11comp_targetILNS1_3genE0ELNS1_11target_archE4294967295ELNS1_3gpuE0ELNS1_3repE0EEENS1_48merge_mergepath_partition_config_static_selectorELNS0_4arch9wavefront6targetE1EEEvSL_
	.globl	_ZN7rocprim17ROCPRIM_400000_NS6detail17trampoline_kernelINS0_14default_configENS1_38merge_sort_block_merge_config_selectorIyNS0_10empty_typeEEEZZNS1_27merge_sort_block_merge_implIS3_N6thrust23THRUST_200600_302600_NS6detail15normal_iteratorINS9_10device_ptrIyEEEEPS5_jNS1_19radix_merge_compareILb0ELb0EyNS0_19identity_decomposerEEEEE10hipError_tT0_T1_T2_jT3_P12ihipStream_tbPNSt15iterator_traitsISK_E10value_typeEPNSQ_ISL_E10value_typeEPSM_NS1_7vsmem_tEENKUlT_SK_SL_SM_E_clISE_PySF_SF_EESJ_SZ_SK_SL_SM_EUlSZ_E_NS1_11comp_targetILNS1_3genE0ELNS1_11target_archE4294967295ELNS1_3gpuE0ELNS1_3repE0EEENS1_48merge_mergepath_partition_config_static_selectorELNS0_4arch9wavefront6targetE1EEEvSL_
	.p2align	8
	.type	_ZN7rocprim17ROCPRIM_400000_NS6detail17trampoline_kernelINS0_14default_configENS1_38merge_sort_block_merge_config_selectorIyNS0_10empty_typeEEEZZNS1_27merge_sort_block_merge_implIS3_N6thrust23THRUST_200600_302600_NS6detail15normal_iteratorINS9_10device_ptrIyEEEEPS5_jNS1_19radix_merge_compareILb0ELb0EyNS0_19identity_decomposerEEEEE10hipError_tT0_T1_T2_jT3_P12ihipStream_tbPNSt15iterator_traitsISK_E10value_typeEPNSQ_ISL_E10value_typeEPSM_NS1_7vsmem_tEENKUlT_SK_SL_SM_E_clISE_PySF_SF_EESJ_SZ_SK_SL_SM_EUlSZ_E_NS1_11comp_targetILNS1_3genE0ELNS1_11target_archE4294967295ELNS1_3gpuE0ELNS1_3repE0EEENS1_48merge_mergepath_partition_config_static_selectorELNS0_4arch9wavefront6targetE1EEEvSL_,@function
_ZN7rocprim17ROCPRIM_400000_NS6detail17trampoline_kernelINS0_14default_configENS1_38merge_sort_block_merge_config_selectorIyNS0_10empty_typeEEEZZNS1_27merge_sort_block_merge_implIS3_N6thrust23THRUST_200600_302600_NS6detail15normal_iteratorINS9_10device_ptrIyEEEEPS5_jNS1_19radix_merge_compareILb0ELb0EyNS0_19identity_decomposerEEEEE10hipError_tT0_T1_T2_jT3_P12ihipStream_tbPNSt15iterator_traitsISK_E10value_typeEPNSQ_ISL_E10value_typeEPSM_NS1_7vsmem_tEENKUlT_SK_SL_SM_E_clISE_PySF_SF_EESJ_SZ_SK_SL_SM_EUlSZ_E_NS1_11comp_targetILNS1_3genE0ELNS1_11target_archE4294967295ELNS1_3gpuE0ELNS1_3repE0EEENS1_48merge_mergepath_partition_config_static_selectorELNS0_4arch9wavefront6targetE1EEEvSL_: ; @_ZN7rocprim17ROCPRIM_400000_NS6detail17trampoline_kernelINS0_14default_configENS1_38merge_sort_block_merge_config_selectorIyNS0_10empty_typeEEEZZNS1_27merge_sort_block_merge_implIS3_N6thrust23THRUST_200600_302600_NS6detail15normal_iteratorINS9_10device_ptrIyEEEEPS5_jNS1_19radix_merge_compareILb0ELb0EyNS0_19identity_decomposerEEEEE10hipError_tT0_T1_T2_jT3_P12ihipStream_tbPNSt15iterator_traitsISK_E10value_typeEPNSQ_ISL_E10value_typeEPSM_NS1_7vsmem_tEENKUlT_SK_SL_SM_E_clISE_PySF_SF_EESJ_SZ_SK_SL_SM_EUlSZ_E_NS1_11comp_targetILNS1_3genE0ELNS1_11target_archE4294967295ELNS1_3gpuE0ELNS1_3repE0EEENS1_48merge_mergepath_partition_config_static_selectorELNS0_4arch9wavefront6targetE1EEEvSL_
; %bb.0:
	.section	.rodata,"a",@progbits
	.p2align	6, 0x0
	.amdhsa_kernel _ZN7rocprim17ROCPRIM_400000_NS6detail17trampoline_kernelINS0_14default_configENS1_38merge_sort_block_merge_config_selectorIyNS0_10empty_typeEEEZZNS1_27merge_sort_block_merge_implIS3_N6thrust23THRUST_200600_302600_NS6detail15normal_iteratorINS9_10device_ptrIyEEEEPS5_jNS1_19radix_merge_compareILb0ELb0EyNS0_19identity_decomposerEEEEE10hipError_tT0_T1_T2_jT3_P12ihipStream_tbPNSt15iterator_traitsISK_E10value_typeEPNSQ_ISL_E10value_typeEPSM_NS1_7vsmem_tEENKUlT_SK_SL_SM_E_clISE_PySF_SF_EESJ_SZ_SK_SL_SM_EUlSZ_E_NS1_11comp_targetILNS1_3genE0ELNS1_11target_archE4294967295ELNS1_3gpuE0ELNS1_3repE0EEENS1_48merge_mergepath_partition_config_static_selectorELNS0_4arch9wavefront6targetE1EEEvSL_
		.amdhsa_group_segment_fixed_size 0
		.amdhsa_private_segment_fixed_size 0
		.amdhsa_kernarg_size 40
		.amdhsa_user_sgpr_count 2
		.amdhsa_user_sgpr_dispatch_ptr 0
		.amdhsa_user_sgpr_queue_ptr 0
		.amdhsa_user_sgpr_kernarg_segment_ptr 1
		.amdhsa_user_sgpr_dispatch_id 0
		.amdhsa_user_sgpr_kernarg_preload_length 0
		.amdhsa_user_sgpr_kernarg_preload_offset 0
		.amdhsa_user_sgpr_private_segment_size 0
		.amdhsa_uses_dynamic_stack 0
		.amdhsa_enable_private_segment 0
		.amdhsa_system_sgpr_workgroup_id_x 1
		.amdhsa_system_sgpr_workgroup_id_y 0
		.amdhsa_system_sgpr_workgroup_id_z 0
		.amdhsa_system_sgpr_workgroup_info 0
		.amdhsa_system_vgpr_workitem_id 0
		.amdhsa_next_free_vgpr 1
		.amdhsa_next_free_sgpr 0
		.amdhsa_accum_offset 4
		.amdhsa_reserve_vcc 0
		.amdhsa_float_round_mode_32 0
		.amdhsa_float_round_mode_16_64 0
		.amdhsa_float_denorm_mode_32 3
		.amdhsa_float_denorm_mode_16_64 3
		.amdhsa_dx10_clamp 1
		.amdhsa_ieee_mode 1
		.amdhsa_fp16_overflow 0
		.amdhsa_tg_split 0
		.amdhsa_exception_fp_ieee_invalid_op 0
		.amdhsa_exception_fp_denorm_src 0
		.amdhsa_exception_fp_ieee_div_zero 0
		.amdhsa_exception_fp_ieee_overflow 0
		.amdhsa_exception_fp_ieee_underflow 0
		.amdhsa_exception_fp_ieee_inexact 0
		.amdhsa_exception_int_div_zero 0
	.end_amdhsa_kernel
	.section	.text._ZN7rocprim17ROCPRIM_400000_NS6detail17trampoline_kernelINS0_14default_configENS1_38merge_sort_block_merge_config_selectorIyNS0_10empty_typeEEEZZNS1_27merge_sort_block_merge_implIS3_N6thrust23THRUST_200600_302600_NS6detail15normal_iteratorINS9_10device_ptrIyEEEEPS5_jNS1_19radix_merge_compareILb0ELb0EyNS0_19identity_decomposerEEEEE10hipError_tT0_T1_T2_jT3_P12ihipStream_tbPNSt15iterator_traitsISK_E10value_typeEPNSQ_ISL_E10value_typeEPSM_NS1_7vsmem_tEENKUlT_SK_SL_SM_E_clISE_PySF_SF_EESJ_SZ_SK_SL_SM_EUlSZ_E_NS1_11comp_targetILNS1_3genE0ELNS1_11target_archE4294967295ELNS1_3gpuE0ELNS1_3repE0EEENS1_48merge_mergepath_partition_config_static_selectorELNS0_4arch9wavefront6targetE1EEEvSL_,"axG",@progbits,_ZN7rocprim17ROCPRIM_400000_NS6detail17trampoline_kernelINS0_14default_configENS1_38merge_sort_block_merge_config_selectorIyNS0_10empty_typeEEEZZNS1_27merge_sort_block_merge_implIS3_N6thrust23THRUST_200600_302600_NS6detail15normal_iteratorINS9_10device_ptrIyEEEEPS5_jNS1_19radix_merge_compareILb0ELb0EyNS0_19identity_decomposerEEEEE10hipError_tT0_T1_T2_jT3_P12ihipStream_tbPNSt15iterator_traitsISK_E10value_typeEPNSQ_ISL_E10value_typeEPSM_NS1_7vsmem_tEENKUlT_SK_SL_SM_E_clISE_PySF_SF_EESJ_SZ_SK_SL_SM_EUlSZ_E_NS1_11comp_targetILNS1_3genE0ELNS1_11target_archE4294967295ELNS1_3gpuE0ELNS1_3repE0EEENS1_48merge_mergepath_partition_config_static_selectorELNS0_4arch9wavefront6targetE1EEEvSL_,comdat
.Lfunc_end748:
	.size	_ZN7rocprim17ROCPRIM_400000_NS6detail17trampoline_kernelINS0_14default_configENS1_38merge_sort_block_merge_config_selectorIyNS0_10empty_typeEEEZZNS1_27merge_sort_block_merge_implIS3_N6thrust23THRUST_200600_302600_NS6detail15normal_iteratorINS9_10device_ptrIyEEEEPS5_jNS1_19radix_merge_compareILb0ELb0EyNS0_19identity_decomposerEEEEE10hipError_tT0_T1_T2_jT3_P12ihipStream_tbPNSt15iterator_traitsISK_E10value_typeEPNSQ_ISL_E10value_typeEPSM_NS1_7vsmem_tEENKUlT_SK_SL_SM_E_clISE_PySF_SF_EESJ_SZ_SK_SL_SM_EUlSZ_E_NS1_11comp_targetILNS1_3genE0ELNS1_11target_archE4294967295ELNS1_3gpuE0ELNS1_3repE0EEENS1_48merge_mergepath_partition_config_static_selectorELNS0_4arch9wavefront6targetE1EEEvSL_, .Lfunc_end748-_ZN7rocprim17ROCPRIM_400000_NS6detail17trampoline_kernelINS0_14default_configENS1_38merge_sort_block_merge_config_selectorIyNS0_10empty_typeEEEZZNS1_27merge_sort_block_merge_implIS3_N6thrust23THRUST_200600_302600_NS6detail15normal_iteratorINS9_10device_ptrIyEEEEPS5_jNS1_19radix_merge_compareILb0ELb0EyNS0_19identity_decomposerEEEEE10hipError_tT0_T1_T2_jT3_P12ihipStream_tbPNSt15iterator_traitsISK_E10value_typeEPNSQ_ISL_E10value_typeEPSM_NS1_7vsmem_tEENKUlT_SK_SL_SM_E_clISE_PySF_SF_EESJ_SZ_SK_SL_SM_EUlSZ_E_NS1_11comp_targetILNS1_3genE0ELNS1_11target_archE4294967295ELNS1_3gpuE0ELNS1_3repE0EEENS1_48merge_mergepath_partition_config_static_selectorELNS0_4arch9wavefront6targetE1EEEvSL_
                                        ; -- End function
	.section	.AMDGPU.csdata,"",@progbits
; Kernel info:
; codeLenInByte = 0
; NumSgprs: 6
; NumVgprs: 0
; NumAgprs: 0
; TotalNumVgprs: 0
; ScratchSize: 0
; MemoryBound: 0
; FloatMode: 240
; IeeeMode: 1
; LDSByteSize: 0 bytes/workgroup (compile time only)
; SGPRBlocks: 0
; VGPRBlocks: 0
; NumSGPRsForWavesPerEU: 6
; NumVGPRsForWavesPerEU: 1
; AccumOffset: 4
; Occupancy: 8
; WaveLimiterHint : 0
; COMPUTE_PGM_RSRC2:SCRATCH_EN: 0
; COMPUTE_PGM_RSRC2:USER_SGPR: 2
; COMPUTE_PGM_RSRC2:TRAP_HANDLER: 0
; COMPUTE_PGM_RSRC2:TGID_X_EN: 1
; COMPUTE_PGM_RSRC2:TGID_Y_EN: 0
; COMPUTE_PGM_RSRC2:TGID_Z_EN: 0
; COMPUTE_PGM_RSRC2:TIDIG_COMP_CNT: 0
; COMPUTE_PGM_RSRC3_GFX90A:ACCUM_OFFSET: 0
; COMPUTE_PGM_RSRC3_GFX90A:TG_SPLIT: 0
	.section	.text._ZN7rocprim17ROCPRIM_400000_NS6detail17trampoline_kernelINS0_14default_configENS1_38merge_sort_block_merge_config_selectorIyNS0_10empty_typeEEEZZNS1_27merge_sort_block_merge_implIS3_N6thrust23THRUST_200600_302600_NS6detail15normal_iteratorINS9_10device_ptrIyEEEEPS5_jNS1_19radix_merge_compareILb0ELb0EyNS0_19identity_decomposerEEEEE10hipError_tT0_T1_T2_jT3_P12ihipStream_tbPNSt15iterator_traitsISK_E10value_typeEPNSQ_ISL_E10value_typeEPSM_NS1_7vsmem_tEENKUlT_SK_SL_SM_E_clISE_PySF_SF_EESJ_SZ_SK_SL_SM_EUlSZ_E_NS1_11comp_targetILNS1_3genE10ELNS1_11target_archE1201ELNS1_3gpuE5ELNS1_3repE0EEENS1_48merge_mergepath_partition_config_static_selectorELNS0_4arch9wavefront6targetE1EEEvSL_,"axG",@progbits,_ZN7rocprim17ROCPRIM_400000_NS6detail17trampoline_kernelINS0_14default_configENS1_38merge_sort_block_merge_config_selectorIyNS0_10empty_typeEEEZZNS1_27merge_sort_block_merge_implIS3_N6thrust23THRUST_200600_302600_NS6detail15normal_iteratorINS9_10device_ptrIyEEEEPS5_jNS1_19radix_merge_compareILb0ELb0EyNS0_19identity_decomposerEEEEE10hipError_tT0_T1_T2_jT3_P12ihipStream_tbPNSt15iterator_traitsISK_E10value_typeEPNSQ_ISL_E10value_typeEPSM_NS1_7vsmem_tEENKUlT_SK_SL_SM_E_clISE_PySF_SF_EESJ_SZ_SK_SL_SM_EUlSZ_E_NS1_11comp_targetILNS1_3genE10ELNS1_11target_archE1201ELNS1_3gpuE5ELNS1_3repE0EEENS1_48merge_mergepath_partition_config_static_selectorELNS0_4arch9wavefront6targetE1EEEvSL_,comdat
	.protected	_ZN7rocprim17ROCPRIM_400000_NS6detail17trampoline_kernelINS0_14default_configENS1_38merge_sort_block_merge_config_selectorIyNS0_10empty_typeEEEZZNS1_27merge_sort_block_merge_implIS3_N6thrust23THRUST_200600_302600_NS6detail15normal_iteratorINS9_10device_ptrIyEEEEPS5_jNS1_19radix_merge_compareILb0ELb0EyNS0_19identity_decomposerEEEEE10hipError_tT0_T1_T2_jT3_P12ihipStream_tbPNSt15iterator_traitsISK_E10value_typeEPNSQ_ISL_E10value_typeEPSM_NS1_7vsmem_tEENKUlT_SK_SL_SM_E_clISE_PySF_SF_EESJ_SZ_SK_SL_SM_EUlSZ_E_NS1_11comp_targetILNS1_3genE10ELNS1_11target_archE1201ELNS1_3gpuE5ELNS1_3repE0EEENS1_48merge_mergepath_partition_config_static_selectorELNS0_4arch9wavefront6targetE1EEEvSL_ ; -- Begin function _ZN7rocprim17ROCPRIM_400000_NS6detail17trampoline_kernelINS0_14default_configENS1_38merge_sort_block_merge_config_selectorIyNS0_10empty_typeEEEZZNS1_27merge_sort_block_merge_implIS3_N6thrust23THRUST_200600_302600_NS6detail15normal_iteratorINS9_10device_ptrIyEEEEPS5_jNS1_19radix_merge_compareILb0ELb0EyNS0_19identity_decomposerEEEEE10hipError_tT0_T1_T2_jT3_P12ihipStream_tbPNSt15iterator_traitsISK_E10value_typeEPNSQ_ISL_E10value_typeEPSM_NS1_7vsmem_tEENKUlT_SK_SL_SM_E_clISE_PySF_SF_EESJ_SZ_SK_SL_SM_EUlSZ_E_NS1_11comp_targetILNS1_3genE10ELNS1_11target_archE1201ELNS1_3gpuE5ELNS1_3repE0EEENS1_48merge_mergepath_partition_config_static_selectorELNS0_4arch9wavefront6targetE1EEEvSL_
	.globl	_ZN7rocprim17ROCPRIM_400000_NS6detail17trampoline_kernelINS0_14default_configENS1_38merge_sort_block_merge_config_selectorIyNS0_10empty_typeEEEZZNS1_27merge_sort_block_merge_implIS3_N6thrust23THRUST_200600_302600_NS6detail15normal_iteratorINS9_10device_ptrIyEEEEPS5_jNS1_19radix_merge_compareILb0ELb0EyNS0_19identity_decomposerEEEEE10hipError_tT0_T1_T2_jT3_P12ihipStream_tbPNSt15iterator_traitsISK_E10value_typeEPNSQ_ISL_E10value_typeEPSM_NS1_7vsmem_tEENKUlT_SK_SL_SM_E_clISE_PySF_SF_EESJ_SZ_SK_SL_SM_EUlSZ_E_NS1_11comp_targetILNS1_3genE10ELNS1_11target_archE1201ELNS1_3gpuE5ELNS1_3repE0EEENS1_48merge_mergepath_partition_config_static_selectorELNS0_4arch9wavefront6targetE1EEEvSL_
	.p2align	8
	.type	_ZN7rocprim17ROCPRIM_400000_NS6detail17trampoline_kernelINS0_14default_configENS1_38merge_sort_block_merge_config_selectorIyNS0_10empty_typeEEEZZNS1_27merge_sort_block_merge_implIS3_N6thrust23THRUST_200600_302600_NS6detail15normal_iteratorINS9_10device_ptrIyEEEEPS5_jNS1_19radix_merge_compareILb0ELb0EyNS0_19identity_decomposerEEEEE10hipError_tT0_T1_T2_jT3_P12ihipStream_tbPNSt15iterator_traitsISK_E10value_typeEPNSQ_ISL_E10value_typeEPSM_NS1_7vsmem_tEENKUlT_SK_SL_SM_E_clISE_PySF_SF_EESJ_SZ_SK_SL_SM_EUlSZ_E_NS1_11comp_targetILNS1_3genE10ELNS1_11target_archE1201ELNS1_3gpuE5ELNS1_3repE0EEENS1_48merge_mergepath_partition_config_static_selectorELNS0_4arch9wavefront6targetE1EEEvSL_,@function
_ZN7rocprim17ROCPRIM_400000_NS6detail17trampoline_kernelINS0_14default_configENS1_38merge_sort_block_merge_config_selectorIyNS0_10empty_typeEEEZZNS1_27merge_sort_block_merge_implIS3_N6thrust23THRUST_200600_302600_NS6detail15normal_iteratorINS9_10device_ptrIyEEEEPS5_jNS1_19radix_merge_compareILb0ELb0EyNS0_19identity_decomposerEEEEE10hipError_tT0_T1_T2_jT3_P12ihipStream_tbPNSt15iterator_traitsISK_E10value_typeEPNSQ_ISL_E10value_typeEPSM_NS1_7vsmem_tEENKUlT_SK_SL_SM_E_clISE_PySF_SF_EESJ_SZ_SK_SL_SM_EUlSZ_E_NS1_11comp_targetILNS1_3genE10ELNS1_11target_archE1201ELNS1_3gpuE5ELNS1_3repE0EEENS1_48merge_mergepath_partition_config_static_selectorELNS0_4arch9wavefront6targetE1EEEvSL_: ; @_ZN7rocprim17ROCPRIM_400000_NS6detail17trampoline_kernelINS0_14default_configENS1_38merge_sort_block_merge_config_selectorIyNS0_10empty_typeEEEZZNS1_27merge_sort_block_merge_implIS3_N6thrust23THRUST_200600_302600_NS6detail15normal_iteratorINS9_10device_ptrIyEEEEPS5_jNS1_19radix_merge_compareILb0ELb0EyNS0_19identity_decomposerEEEEE10hipError_tT0_T1_T2_jT3_P12ihipStream_tbPNSt15iterator_traitsISK_E10value_typeEPNSQ_ISL_E10value_typeEPSM_NS1_7vsmem_tEENKUlT_SK_SL_SM_E_clISE_PySF_SF_EESJ_SZ_SK_SL_SM_EUlSZ_E_NS1_11comp_targetILNS1_3genE10ELNS1_11target_archE1201ELNS1_3gpuE5ELNS1_3repE0EEENS1_48merge_mergepath_partition_config_static_selectorELNS0_4arch9wavefront6targetE1EEEvSL_
; %bb.0:
	.section	.rodata,"a",@progbits
	.p2align	6, 0x0
	.amdhsa_kernel _ZN7rocprim17ROCPRIM_400000_NS6detail17trampoline_kernelINS0_14default_configENS1_38merge_sort_block_merge_config_selectorIyNS0_10empty_typeEEEZZNS1_27merge_sort_block_merge_implIS3_N6thrust23THRUST_200600_302600_NS6detail15normal_iteratorINS9_10device_ptrIyEEEEPS5_jNS1_19radix_merge_compareILb0ELb0EyNS0_19identity_decomposerEEEEE10hipError_tT0_T1_T2_jT3_P12ihipStream_tbPNSt15iterator_traitsISK_E10value_typeEPNSQ_ISL_E10value_typeEPSM_NS1_7vsmem_tEENKUlT_SK_SL_SM_E_clISE_PySF_SF_EESJ_SZ_SK_SL_SM_EUlSZ_E_NS1_11comp_targetILNS1_3genE10ELNS1_11target_archE1201ELNS1_3gpuE5ELNS1_3repE0EEENS1_48merge_mergepath_partition_config_static_selectorELNS0_4arch9wavefront6targetE1EEEvSL_
		.amdhsa_group_segment_fixed_size 0
		.amdhsa_private_segment_fixed_size 0
		.amdhsa_kernarg_size 40
		.amdhsa_user_sgpr_count 2
		.amdhsa_user_sgpr_dispatch_ptr 0
		.amdhsa_user_sgpr_queue_ptr 0
		.amdhsa_user_sgpr_kernarg_segment_ptr 1
		.amdhsa_user_sgpr_dispatch_id 0
		.amdhsa_user_sgpr_kernarg_preload_length 0
		.amdhsa_user_sgpr_kernarg_preload_offset 0
		.amdhsa_user_sgpr_private_segment_size 0
		.amdhsa_uses_dynamic_stack 0
		.amdhsa_enable_private_segment 0
		.amdhsa_system_sgpr_workgroup_id_x 1
		.amdhsa_system_sgpr_workgroup_id_y 0
		.amdhsa_system_sgpr_workgroup_id_z 0
		.amdhsa_system_sgpr_workgroup_info 0
		.amdhsa_system_vgpr_workitem_id 0
		.amdhsa_next_free_vgpr 1
		.amdhsa_next_free_sgpr 0
		.amdhsa_accum_offset 4
		.amdhsa_reserve_vcc 0
		.amdhsa_float_round_mode_32 0
		.amdhsa_float_round_mode_16_64 0
		.amdhsa_float_denorm_mode_32 3
		.amdhsa_float_denorm_mode_16_64 3
		.amdhsa_dx10_clamp 1
		.amdhsa_ieee_mode 1
		.amdhsa_fp16_overflow 0
		.amdhsa_tg_split 0
		.amdhsa_exception_fp_ieee_invalid_op 0
		.amdhsa_exception_fp_denorm_src 0
		.amdhsa_exception_fp_ieee_div_zero 0
		.amdhsa_exception_fp_ieee_overflow 0
		.amdhsa_exception_fp_ieee_underflow 0
		.amdhsa_exception_fp_ieee_inexact 0
		.amdhsa_exception_int_div_zero 0
	.end_amdhsa_kernel
	.section	.text._ZN7rocprim17ROCPRIM_400000_NS6detail17trampoline_kernelINS0_14default_configENS1_38merge_sort_block_merge_config_selectorIyNS0_10empty_typeEEEZZNS1_27merge_sort_block_merge_implIS3_N6thrust23THRUST_200600_302600_NS6detail15normal_iteratorINS9_10device_ptrIyEEEEPS5_jNS1_19radix_merge_compareILb0ELb0EyNS0_19identity_decomposerEEEEE10hipError_tT0_T1_T2_jT3_P12ihipStream_tbPNSt15iterator_traitsISK_E10value_typeEPNSQ_ISL_E10value_typeEPSM_NS1_7vsmem_tEENKUlT_SK_SL_SM_E_clISE_PySF_SF_EESJ_SZ_SK_SL_SM_EUlSZ_E_NS1_11comp_targetILNS1_3genE10ELNS1_11target_archE1201ELNS1_3gpuE5ELNS1_3repE0EEENS1_48merge_mergepath_partition_config_static_selectorELNS0_4arch9wavefront6targetE1EEEvSL_,"axG",@progbits,_ZN7rocprim17ROCPRIM_400000_NS6detail17trampoline_kernelINS0_14default_configENS1_38merge_sort_block_merge_config_selectorIyNS0_10empty_typeEEEZZNS1_27merge_sort_block_merge_implIS3_N6thrust23THRUST_200600_302600_NS6detail15normal_iteratorINS9_10device_ptrIyEEEEPS5_jNS1_19radix_merge_compareILb0ELb0EyNS0_19identity_decomposerEEEEE10hipError_tT0_T1_T2_jT3_P12ihipStream_tbPNSt15iterator_traitsISK_E10value_typeEPNSQ_ISL_E10value_typeEPSM_NS1_7vsmem_tEENKUlT_SK_SL_SM_E_clISE_PySF_SF_EESJ_SZ_SK_SL_SM_EUlSZ_E_NS1_11comp_targetILNS1_3genE10ELNS1_11target_archE1201ELNS1_3gpuE5ELNS1_3repE0EEENS1_48merge_mergepath_partition_config_static_selectorELNS0_4arch9wavefront6targetE1EEEvSL_,comdat
.Lfunc_end749:
	.size	_ZN7rocprim17ROCPRIM_400000_NS6detail17trampoline_kernelINS0_14default_configENS1_38merge_sort_block_merge_config_selectorIyNS0_10empty_typeEEEZZNS1_27merge_sort_block_merge_implIS3_N6thrust23THRUST_200600_302600_NS6detail15normal_iteratorINS9_10device_ptrIyEEEEPS5_jNS1_19radix_merge_compareILb0ELb0EyNS0_19identity_decomposerEEEEE10hipError_tT0_T1_T2_jT3_P12ihipStream_tbPNSt15iterator_traitsISK_E10value_typeEPNSQ_ISL_E10value_typeEPSM_NS1_7vsmem_tEENKUlT_SK_SL_SM_E_clISE_PySF_SF_EESJ_SZ_SK_SL_SM_EUlSZ_E_NS1_11comp_targetILNS1_3genE10ELNS1_11target_archE1201ELNS1_3gpuE5ELNS1_3repE0EEENS1_48merge_mergepath_partition_config_static_selectorELNS0_4arch9wavefront6targetE1EEEvSL_, .Lfunc_end749-_ZN7rocprim17ROCPRIM_400000_NS6detail17trampoline_kernelINS0_14default_configENS1_38merge_sort_block_merge_config_selectorIyNS0_10empty_typeEEEZZNS1_27merge_sort_block_merge_implIS3_N6thrust23THRUST_200600_302600_NS6detail15normal_iteratorINS9_10device_ptrIyEEEEPS5_jNS1_19radix_merge_compareILb0ELb0EyNS0_19identity_decomposerEEEEE10hipError_tT0_T1_T2_jT3_P12ihipStream_tbPNSt15iterator_traitsISK_E10value_typeEPNSQ_ISL_E10value_typeEPSM_NS1_7vsmem_tEENKUlT_SK_SL_SM_E_clISE_PySF_SF_EESJ_SZ_SK_SL_SM_EUlSZ_E_NS1_11comp_targetILNS1_3genE10ELNS1_11target_archE1201ELNS1_3gpuE5ELNS1_3repE0EEENS1_48merge_mergepath_partition_config_static_selectorELNS0_4arch9wavefront6targetE1EEEvSL_
                                        ; -- End function
	.section	.AMDGPU.csdata,"",@progbits
; Kernel info:
; codeLenInByte = 0
; NumSgprs: 6
; NumVgprs: 0
; NumAgprs: 0
; TotalNumVgprs: 0
; ScratchSize: 0
; MemoryBound: 0
; FloatMode: 240
; IeeeMode: 1
; LDSByteSize: 0 bytes/workgroup (compile time only)
; SGPRBlocks: 0
; VGPRBlocks: 0
; NumSGPRsForWavesPerEU: 6
; NumVGPRsForWavesPerEU: 1
; AccumOffset: 4
; Occupancy: 8
; WaveLimiterHint : 0
; COMPUTE_PGM_RSRC2:SCRATCH_EN: 0
; COMPUTE_PGM_RSRC2:USER_SGPR: 2
; COMPUTE_PGM_RSRC2:TRAP_HANDLER: 0
; COMPUTE_PGM_RSRC2:TGID_X_EN: 1
; COMPUTE_PGM_RSRC2:TGID_Y_EN: 0
; COMPUTE_PGM_RSRC2:TGID_Z_EN: 0
; COMPUTE_PGM_RSRC2:TIDIG_COMP_CNT: 0
; COMPUTE_PGM_RSRC3_GFX90A:ACCUM_OFFSET: 0
; COMPUTE_PGM_RSRC3_GFX90A:TG_SPLIT: 0
	.section	.text._ZN7rocprim17ROCPRIM_400000_NS6detail17trampoline_kernelINS0_14default_configENS1_38merge_sort_block_merge_config_selectorIyNS0_10empty_typeEEEZZNS1_27merge_sort_block_merge_implIS3_N6thrust23THRUST_200600_302600_NS6detail15normal_iteratorINS9_10device_ptrIyEEEEPS5_jNS1_19radix_merge_compareILb0ELb0EyNS0_19identity_decomposerEEEEE10hipError_tT0_T1_T2_jT3_P12ihipStream_tbPNSt15iterator_traitsISK_E10value_typeEPNSQ_ISL_E10value_typeEPSM_NS1_7vsmem_tEENKUlT_SK_SL_SM_E_clISE_PySF_SF_EESJ_SZ_SK_SL_SM_EUlSZ_E_NS1_11comp_targetILNS1_3genE5ELNS1_11target_archE942ELNS1_3gpuE9ELNS1_3repE0EEENS1_48merge_mergepath_partition_config_static_selectorELNS0_4arch9wavefront6targetE1EEEvSL_,"axG",@progbits,_ZN7rocprim17ROCPRIM_400000_NS6detail17trampoline_kernelINS0_14default_configENS1_38merge_sort_block_merge_config_selectorIyNS0_10empty_typeEEEZZNS1_27merge_sort_block_merge_implIS3_N6thrust23THRUST_200600_302600_NS6detail15normal_iteratorINS9_10device_ptrIyEEEEPS5_jNS1_19radix_merge_compareILb0ELb0EyNS0_19identity_decomposerEEEEE10hipError_tT0_T1_T2_jT3_P12ihipStream_tbPNSt15iterator_traitsISK_E10value_typeEPNSQ_ISL_E10value_typeEPSM_NS1_7vsmem_tEENKUlT_SK_SL_SM_E_clISE_PySF_SF_EESJ_SZ_SK_SL_SM_EUlSZ_E_NS1_11comp_targetILNS1_3genE5ELNS1_11target_archE942ELNS1_3gpuE9ELNS1_3repE0EEENS1_48merge_mergepath_partition_config_static_selectorELNS0_4arch9wavefront6targetE1EEEvSL_,comdat
	.protected	_ZN7rocprim17ROCPRIM_400000_NS6detail17trampoline_kernelINS0_14default_configENS1_38merge_sort_block_merge_config_selectorIyNS0_10empty_typeEEEZZNS1_27merge_sort_block_merge_implIS3_N6thrust23THRUST_200600_302600_NS6detail15normal_iteratorINS9_10device_ptrIyEEEEPS5_jNS1_19radix_merge_compareILb0ELb0EyNS0_19identity_decomposerEEEEE10hipError_tT0_T1_T2_jT3_P12ihipStream_tbPNSt15iterator_traitsISK_E10value_typeEPNSQ_ISL_E10value_typeEPSM_NS1_7vsmem_tEENKUlT_SK_SL_SM_E_clISE_PySF_SF_EESJ_SZ_SK_SL_SM_EUlSZ_E_NS1_11comp_targetILNS1_3genE5ELNS1_11target_archE942ELNS1_3gpuE9ELNS1_3repE0EEENS1_48merge_mergepath_partition_config_static_selectorELNS0_4arch9wavefront6targetE1EEEvSL_ ; -- Begin function _ZN7rocprim17ROCPRIM_400000_NS6detail17trampoline_kernelINS0_14default_configENS1_38merge_sort_block_merge_config_selectorIyNS0_10empty_typeEEEZZNS1_27merge_sort_block_merge_implIS3_N6thrust23THRUST_200600_302600_NS6detail15normal_iteratorINS9_10device_ptrIyEEEEPS5_jNS1_19radix_merge_compareILb0ELb0EyNS0_19identity_decomposerEEEEE10hipError_tT0_T1_T2_jT3_P12ihipStream_tbPNSt15iterator_traitsISK_E10value_typeEPNSQ_ISL_E10value_typeEPSM_NS1_7vsmem_tEENKUlT_SK_SL_SM_E_clISE_PySF_SF_EESJ_SZ_SK_SL_SM_EUlSZ_E_NS1_11comp_targetILNS1_3genE5ELNS1_11target_archE942ELNS1_3gpuE9ELNS1_3repE0EEENS1_48merge_mergepath_partition_config_static_selectorELNS0_4arch9wavefront6targetE1EEEvSL_
	.globl	_ZN7rocprim17ROCPRIM_400000_NS6detail17trampoline_kernelINS0_14default_configENS1_38merge_sort_block_merge_config_selectorIyNS0_10empty_typeEEEZZNS1_27merge_sort_block_merge_implIS3_N6thrust23THRUST_200600_302600_NS6detail15normal_iteratorINS9_10device_ptrIyEEEEPS5_jNS1_19radix_merge_compareILb0ELb0EyNS0_19identity_decomposerEEEEE10hipError_tT0_T1_T2_jT3_P12ihipStream_tbPNSt15iterator_traitsISK_E10value_typeEPNSQ_ISL_E10value_typeEPSM_NS1_7vsmem_tEENKUlT_SK_SL_SM_E_clISE_PySF_SF_EESJ_SZ_SK_SL_SM_EUlSZ_E_NS1_11comp_targetILNS1_3genE5ELNS1_11target_archE942ELNS1_3gpuE9ELNS1_3repE0EEENS1_48merge_mergepath_partition_config_static_selectorELNS0_4arch9wavefront6targetE1EEEvSL_
	.p2align	8
	.type	_ZN7rocprim17ROCPRIM_400000_NS6detail17trampoline_kernelINS0_14default_configENS1_38merge_sort_block_merge_config_selectorIyNS0_10empty_typeEEEZZNS1_27merge_sort_block_merge_implIS3_N6thrust23THRUST_200600_302600_NS6detail15normal_iteratorINS9_10device_ptrIyEEEEPS5_jNS1_19radix_merge_compareILb0ELb0EyNS0_19identity_decomposerEEEEE10hipError_tT0_T1_T2_jT3_P12ihipStream_tbPNSt15iterator_traitsISK_E10value_typeEPNSQ_ISL_E10value_typeEPSM_NS1_7vsmem_tEENKUlT_SK_SL_SM_E_clISE_PySF_SF_EESJ_SZ_SK_SL_SM_EUlSZ_E_NS1_11comp_targetILNS1_3genE5ELNS1_11target_archE942ELNS1_3gpuE9ELNS1_3repE0EEENS1_48merge_mergepath_partition_config_static_selectorELNS0_4arch9wavefront6targetE1EEEvSL_,@function
_ZN7rocprim17ROCPRIM_400000_NS6detail17trampoline_kernelINS0_14default_configENS1_38merge_sort_block_merge_config_selectorIyNS0_10empty_typeEEEZZNS1_27merge_sort_block_merge_implIS3_N6thrust23THRUST_200600_302600_NS6detail15normal_iteratorINS9_10device_ptrIyEEEEPS5_jNS1_19radix_merge_compareILb0ELb0EyNS0_19identity_decomposerEEEEE10hipError_tT0_T1_T2_jT3_P12ihipStream_tbPNSt15iterator_traitsISK_E10value_typeEPNSQ_ISL_E10value_typeEPSM_NS1_7vsmem_tEENKUlT_SK_SL_SM_E_clISE_PySF_SF_EESJ_SZ_SK_SL_SM_EUlSZ_E_NS1_11comp_targetILNS1_3genE5ELNS1_11target_archE942ELNS1_3gpuE9ELNS1_3repE0EEENS1_48merge_mergepath_partition_config_static_selectorELNS0_4arch9wavefront6targetE1EEEvSL_: ; @_ZN7rocprim17ROCPRIM_400000_NS6detail17trampoline_kernelINS0_14default_configENS1_38merge_sort_block_merge_config_selectorIyNS0_10empty_typeEEEZZNS1_27merge_sort_block_merge_implIS3_N6thrust23THRUST_200600_302600_NS6detail15normal_iteratorINS9_10device_ptrIyEEEEPS5_jNS1_19radix_merge_compareILb0ELb0EyNS0_19identity_decomposerEEEEE10hipError_tT0_T1_T2_jT3_P12ihipStream_tbPNSt15iterator_traitsISK_E10value_typeEPNSQ_ISL_E10value_typeEPSM_NS1_7vsmem_tEENKUlT_SK_SL_SM_E_clISE_PySF_SF_EESJ_SZ_SK_SL_SM_EUlSZ_E_NS1_11comp_targetILNS1_3genE5ELNS1_11target_archE942ELNS1_3gpuE9ELNS1_3repE0EEENS1_48merge_mergepath_partition_config_static_selectorELNS0_4arch9wavefront6targetE1EEEvSL_
; %bb.0:
	s_load_dword s3, s[0:1], 0x0
	v_lshl_or_b32 v0, s2, 7, v0
	s_waitcnt lgkmcnt(0)
	v_cmp_gt_u32_e32 vcc, s3, v0
	s_and_saveexec_b64 s[2:3], vcc
	s_cbranch_execz .LBB750_6
; %bb.1:
	s_load_dwordx2 s[4:5], s[0:1], 0x4
	s_load_dwordx2 s[2:3], s[0:1], 0x20
	s_waitcnt lgkmcnt(0)
	s_lshr_b32 s6, s4, 9
	s_and_b32 s6, s6, 0x7ffffe
	s_add_i32 s7, s6, -1
	s_sub_i32 s6, 0, s6
	v_and_b32_e32 v1, s6, v0
	v_lshlrev_b32_e32 v1, 10, v1
	v_min_u32_e32 v2, s5, v1
	v_add_u32_e32 v1, s4, v1
	v_min_u32_e32 v4, s5, v1
	v_add_u32_e32 v1, s4, v4
	v_and_b32_e32 v3, s7, v0
	v_min_u32_e32 v1, s5, v1
	v_sub_u32_e32 v5, v1, v2
	v_lshlrev_b32_e32 v3, 10, v3
	v_min_u32_e32 v10, v5, v3
	v_sub_u32_e32 v3, v4, v2
	v_sub_u32_e32 v1, v1, v4
	v_sub_u32_e64 v1, v10, v1 clamp
	v_min_u32_e32 v11, v10, v3
	v_cmp_lt_u32_e32 vcc, v1, v11
	s_and_saveexec_b64 s[4:5], vcc
	s_cbranch_execz .LBB750_5
; %bb.2:
	s_load_dwordx2 s[0:1], s[0:1], 0x10
	v_mov_b32_e32 v5, 0
	v_mov_b32_e32 v3, v5
	s_waitcnt lgkmcnt(0)
	v_lshl_add_u64 v[6:7], v[2:3], 3, s[0:1]
	v_lshl_add_u64 v[8:9], v[4:5], 3, s[0:1]
	s_mov_b64 s[0:1], 0
.LBB750_3:                              ; =>This Inner Loop Header: Depth=1
	v_add_u32_e32 v3, v11, v1
	v_lshrrev_b32_e32 v4, 1, v3
	v_mov_b32_e32 v13, v5
	v_xad_u32 v12, v4, -1, v10
	v_lshl_add_u64 v[14:15], v[4:5], 3, v[6:7]
	v_lshl_add_u64 v[12:13], v[12:13], 3, v[8:9]
	flat_load_dwordx2 v[16:17], v[14:15]
	flat_load_dwordx2 v[18:19], v[12:13]
	v_add_u32_e32 v3, 1, v4
	s_waitcnt vmcnt(0) lgkmcnt(0)
	v_cmp_gt_u64_e32 vcc, v[16:17], v[18:19]
	s_nop 1
	v_cndmask_b32_e32 v11, v11, v4, vcc
	v_cndmask_b32_e32 v1, v3, v1, vcc
	v_cmp_ge_u32_e32 vcc, v1, v11
	s_or_b64 s[0:1], vcc, s[0:1]
	s_andn2_b64 exec, exec, s[0:1]
	s_cbranch_execnz .LBB750_3
; %bb.4:
	s_or_b64 exec, exec, s[0:1]
.LBB750_5:
	s_or_b64 exec, exec, s[4:5]
	v_add_u32_e32 v2, v1, v2
	v_mov_b32_e32 v1, 0
	v_lshl_add_u64 v[0:1], v[0:1], 2, s[2:3]
	global_store_dword v[0:1], v2, off
.LBB750_6:
	s_endpgm
	.section	.rodata,"a",@progbits
	.p2align	6, 0x0
	.amdhsa_kernel _ZN7rocprim17ROCPRIM_400000_NS6detail17trampoline_kernelINS0_14default_configENS1_38merge_sort_block_merge_config_selectorIyNS0_10empty_typeEEEZZNS1_27merge_sort_block_merge_implIS3_N6thrust23THRUST_200600_302600_NS6detail15normal_iteratorINS9_10device_ptrIyEEEEPS5_jNS1_19radix_merge_compareILb0ELb0EyNS0_19identity_decomposerEEEEE10hipError_tT0_T1_T2_jT3_P12ihipStream_tbPNSt15iterator_traitsISK_E10value_typeEPNSQ_ISL_E10value_typeEPSM_NS1_7vsmem_tEENKUlT_SK_SL_SM_E_clISE_PySF_SF_EESJ_SZ_SK_SL_SM_EUlSZ_E_NS1_11comp_targetILNS1_3genE5ELNS1_11target_archE942ELNS1_3gpuE9ELNS1_3repE0EEENS1_48merge_mergepath_partition_config_static_selectorELNS0_4arch9wavefront6targetE1EEEvSL_
		.amdhsa_group_segment_fixed_size 0
		.amdhsa_private_segment_fixed_size 0
		.amdhsa_kernarg_size 40
		.amdhsa_user_sgpr_count 2
		.amdhsa_user_sgpr_dispatch_ptr 0
		.amdhsa_user_sgpr_queue_ptr 0
		.amdhsa_user_sgpr_kernarg_segment_ptr 1
		.amdhsa_user_sgpr_dispatch_id 0
		.amdhsa_user_sgpr_kernarg_preload_length 0
		.amdhsa_user_sgpr_kernarg_preload_offset 0
		.amdhsa_user_sgpr_private_segment_size 0
		.amdhsa_uses_dynamic_stack 0
		.amdhsa_enable_private_segment 0
		.amdhsa_system_sgpr_workgroup_id_x 1
		.amdhsa_system_sgpr_workgroup_id_y 0
		.amdhsa_system_sgpr_workgroup_id_z 0
		.amdhsa_system_sgpr_workgroup_info 0
		.amdhsa_system_vgpr_workitem_id 0
		.amdhsa_next_free_vgpr 20
		.amdhsa_next_free_sgpr 8
		.amdhsa_accum_offset 20
		.amdhsa_reserve_vcc 1
		.amdhsa_float_round_mode_32 0
		.amdhsa_float_round_mode_16_64 0
		.amdhsa_float_denorm_mode_32 3
		.amdhsa_float_denorm_mode_16_64 3
		.amdhsa_dx10_clamp 1
		.amdhsa_ieee_mode 1
		.amdhsa_fp16_overflow 0
		.amdhsa_tg_split 0
		.amdhsa_exception_fp_ieee_invalid_op 0
		.amdhsa_exception_fp_denorm_src 0
		.amdhsa_exception_fp_ieee_div_zero 0
		.amdhsa_exception_fp_ieee_overflow 0
		.amdhsa_exception_fp_ieee_underflow 0
		.amdhsa_exception_fp_ieee_inexact 0
		.amdhsa_exception_int_div_zero 0
	.end_amdhsa_kernel
	.section	.text._ZN7rocprim17ROCPRIM_400000_NS6detail17trampoline_kernelINS0_14default_configENS1_38merge_sort_block_merge_config_selectorIyNS0_10empty_typeEEEZZNS1_27merge_sort_block_merge_implIS3_N6thrust23THRUST_200600_302600_NS6detail15normal_iteratorINS9_10device_ptrIyEEEEPS5_jNS1_19radix_merge_compareILb0ELb0EyNS0_19identity_decomposerEEEEE10hipError_tT0_T1_T2_jT3_P12ihipStream_tbPNSt15iterator_traitsISK_E10value_typeEPNSQ_ISL_E10value_typeEPSM_NS1_7vsmem_tEENKUlT_SK_SL_SM_E_clISE_PySF_SF_EESJ_SZ_SK_SL_SM_EUlSZ_E_NS1_11comp_targetILNS1_3genE5ELNS1_11target_archE942ELNS1_3gpuE9ELNS1_3repE0EEENS1_48merge_mergepath_partition_config_static_selectorELNS0_4arch9wavefront6targetE1EEEvSL_,"axG",@progbits,_ZN7rocprim17ROCPRIM_400000_NS6detail17trampoline_kernelINS0_14default_configENS1_38merge_sort_block_merge_config_selectorIyNS0_10empty_typeEEEZZNS1_27merge_sort_block_merge_implIS3_N6thrust23THRUST_200600_302600_NS6detail15normal_iteratorINS9_10device_ptrIyEEEEPS5_jNS1_19radix_merge_compareILb0ELb0EyNS0_19identity_decomposerEEEEE10hipError_tT0_T1_T2_jT3_P12ihipStream_tbPNSt15iterator_traitsISK_E10value_typeEPNSQ_ISL_E10value_typeEPSM_NS1_7vsmem_tEENKUlT_SK_SL_SM_E_clISE_PySF_SF_EESJ_SZ_SK_SL_SM_EUlSZ_E_NS1_11comp_targetILNS1_3genE5ELNS1_11target_archE942ELNS1_3gpuE9ELNS1_3repE0EEENS1_48merge_mergepath_partition_config_static_selectorELNS0_4arch9wavefront6targetE1EEEvSL_,comdat
.Lfunc_end750:
	.size	_ZN7rocprim17ROCPRIM_400000_NS6detail17trampoline_kernelINS0_14default_configENS1_38merge_sort_block_merge_config_selectorIyNS0_10empty_typeEEEZZNS1_27merge_sort_block_merge_implIS3_N6thrust23THRUST_200600_302600_NS6detail15normal_iteratorINS9_10device_ptrIyEEEEPS5_jNS1_19radix_merge_compareILb0ELb0EyNS0_19identity_decomposerEEEEE10hipError_tT0_T1_T2_jT3_P12ihipStream_tbPNSt15iterator_traitsISK_E10value_typeEPNSQ_ISL_E10value_typeEPSM_NS1_7vsmem_tEENKUlT_SK_SL_SM_E_clISE_PySF_SF_EESJ_SZ_SK_SL_SM_EUlSZ_E_NS1_11comp_targetILNS1_3genE5ELNS1_11target_archE942ELNS1_3gpuE9ELNS1_3repE0EEENS1_48merge_mergepath_partition_config_static_selectorELNS0_4arch9wavefront6targetE1EEEvSL_, .Lfunc_end750-_ZN7rocprim17ROCPRIM_400000_NS6detail17trampoline_kernelINS0_14default_configENS1_38merge_sort_block_merge_config_selectorIyNS0_10empty_typeEEEZZNS1_27merge_sort_block_merge_implIS3_N6thrust23THRUST_200600_302600_NS6detail15normal_iteratorINS9_10device_ptrIyEEEEPS5_jNS1_19radix_merge_compareILb0ELb0EyNS0_19identity_decomposerEEEEE10hipError_tT0_T1_T2_jT3_P12ihipStream_tbPNSt15iterator_traitsISK_E10value_typeEPNSQ_ISL_E10value_typeEPSM_NS1_7vsmem_tEENKUlT_SK_SL_SM_E_clISE_PySF_SF_EESJ_SZ_SK_SL_SM_EUlSZ_E_NS1_11comp_targetILNS1_3genE5ELNS1_11target_archE942ELNS1_3gpuE9ELNS1_3repE0EEENS1_48merge_mergepath_partition_config_static_selectorELNS0_4arch9wavefront6targetE1EEEvSL_
                                        ; -- End function
	.section	.AMDGPU.csdata,"",@progbits
; Kernel info:
; codeLenInByte = 316
; NumSgprs: 14
; NumVgprs: 20
; NumAgprs: 0
; TotalNumVgprs: 20
; ScratchSize: 0
; MemoryBound: 0
; FloatMode: 240
; IeeeMode: 1
; LDSByteSize: 0 bytes/workgroup (compile time only)
; SGPRBlocks: 1
; VGPRBlocks: 2
; NumSGPRsForWavesPerEU: 14
; NumVGPRsForWavesPerEU: 20
; AccumOffset: 20
; Occupancy: 8
; WaveLimiterHint : 0
; COMPUTE_PGM_RSRC2:SCRATCH_EN: 0
; COMPUTE_PGM_RSRC2:USER_SGPR: 2
; COMPUTE_PGM_RSRC2:TRAP_HANDLER: 0
; COMPUTE_PGM_RSRC2:TGID_X_EN: 1
; COMPUTE_PGM_RSRC2:TGID_Y_EN: 0
; COMPUTE_PGM_RSRC2:TGID_Z_EN: 0
; COMPUTE_PGM_RSRC2:TIDIG_COMP_CNT: 0
; COMPUTE_PGM_RSRC3_GFX90A:ACCUM_OFFSET: 4
; COMPUTE_PGM_RSRC3_GFX90A:TG_SPLIT: 0
	.section	.text._ZN7rocprim17ROCPRIM_400000_NS6detail17trampoline_kernelINS0_14default_configENS1_38merge_sort_block_merge_config_selectorIyNS0_10empty_typeEEEZZNS1_27merge_sort_block_merge_implIS3_N6thrust23THRUST_200600_302600_NS6detail15normal_iteratorINS9_10device_ptrIyEEEEPS5_jNS1_19radix_merge_compareILb0ELb0EyNS0_19identity_decomposerEEEEE10hipError_tT0_T1_T2_jT3_P12ihipStream_tbPNSt15iterator_traitsISK_E10value_typeEPNSQ_ISL_E10value_typeEPSM_NS1_7vsmem_tEENKUlT_SK_SL_SM_E_clISE_PySF_SF_EESJ_SZ_SK_SL_SM_EUlSZ_E_NS1_11comp_targetILNS1_3genE4ELNS1_11target_archE910ELNS1_3gpuE8ELNS1_3repE0EEENS1_48merge_mergepath_partition_config_static_selectorELNS0_4arch9wavefront6targetE1EEEvSL_,"axG",@progbits,_ZN7rocprim17ROCPRIM_400000_NS6detail17trampoline_kernelINS0_14default_configENS1_38merge_sort_block_merge_config_selectorIyNS0_10empty_typeEEEZZNS1_27merge_sort_block_merge_implIS3_N6thrust23THRUST_200600_302600_NS6detail15normal_iteratorINS9_10device_ptrIyEEEEPS5_jNS1_19radix_merge_compareILb0ELb0EyNS0_19identity_decomposerEEEEE10hipError_tT0_T1_T2_jT3_P12ihipStream_tbPNSt15iterator_traitsISK_E10value_typeEPNSQ_ISL_E10value_typeEPSM_NS1_7vsmem_tEENKUlT_SK_SL_SM_E_clISE_PySF_SF_EESJ_SZ_SK_SL_SM_EUlSZ_E_NS1_11comp_targetILNS1_3genE4ELNS1_11target_archE910ELNS1_3gpuE8ELNS1_3repE0EEENS1_48merge_mergepath_partition_config_static_selectorELNS0_4arch9wavefront6targetE1EEEvSL_,comdat
	.protected	_ZN7rocprim17ROCPRIM_400000_NS6detail17trampoline_kernelINS0_14default_configENS1_38merge_sort_block_merge_config_selectorIyNS0_10empty_typeEEEZZNS1_27merge_sort_block_merge_implIS3_N6thrust23THRUST_200600_302600_NS6detail15normal_iteratorINS9_10device_ptrIyEEEEPS5_jNS1_19radix_merge_compareILb0ELb0EyNS0_19identity_decomposerEEEEE10hipError_tT0_T1_T2_jT3_P12ihipStream_tbPNSt15iterator_traitsISK_E10value_typeEPNSQ_ISL_E10value_typeEPSM_NS1_7vsmem_tEENKUlT_SK_SL_SM_E_clISE_PySF_SF_EESJ_SZ_SK_SL_SM_EUlSZ_E_NS1_11comp_targetILNS1_3genE4ELNS1_11target_archE910ELNS1_3gpuE8ELNS1_3repE0EEENS1_48merge_mergepath_partition_config_static_selectorELNS0_4arch9wavefront6targetE1EEEvSL_ ; -- Begin function _ZN7rocprim17ROCPRIM_400000_NS6detail17trampoline_kernelINS0_14default_configENS1_38merge_sort_block_merge_config_selectorIyNS0_10empty_typeEEEZZNS1_27merge_sort_block_merge_implIS3_N6thrust23THRUST_200600_302600_NS6detail15normal_iteratorINS9_10device_ptrIyEEEEPS5_jNS1_19radix_merge_compareILb0ELb0EyNS0_19identity_decomposerEEEEE10hipError_tT0_T1_T2_jT3_P12ihipStream_tbPNSt15iterator_traitsISK_E10value_typeEPNSQ_ISL_E10value_typeEPSM_NS1_7vsmem_tEENKUlT_SK_SL_SM_E_clISE_PySF_SF_EESJ_SZ_SK_SL_SM_EUlSZ_E_NS1_11comp_targetILNS1_3genE4ELNS1_11target_archE910ELNS1_3gpuE8ELNS1_3repE0EEENS1_48merge_mergepath_partition_config_static_selectorELNS0_4arch9wavefront6targetE1EEEvSL_
	.globl	_ZN7rocprim17ROCPRIM_400000_NS6detail17trampoline_kernelINS0_14default_configENS1_38merge_sort_block_merge_config_selectorIyNS0_10empty_typeEEEZZNS1_27merge_sort_block_merge_implIS3_N6thrust23THRUST_200600_302600_NS6detail15normal_iteratorINS9_10device_ptrIyEEEEPS5_jNS1_19radix_merge_compareILb0ELb0EyNS0_19identity_decomposerEEEEE10hipError_tT0_T1_T2_jT3_P12ihipStream_tbPNSt15iterator_traitsISK_E10value_typeEPNSQ_ISL_E10value_typeEPSM_NS1_7vsmem_tEENKUlT_SK_SL_SM_E_clISE_PySF_SF_EESJ_SZ_SK_SL_SM_EUlSZ_E_NS1_11comp_targetILNS1_3genE4ELNS1_11target_archE910ELNS1_3gpuE8ELNS1_3repE0EEENS1_48merge_mergepath_partition_config_static_selectorELNS0_4arch9wavefront6targetE1EEEvSL_
	.p2align	8
	.type	_ZN7rocprim17ROCPRIM_400000_NS6detail17trampoline_kernelINS0_14default_configENS1_38merge_sort_block_merge_config_selectorIyNS0_10empty_typeEEEZZNS1_27merge_sort_block_merge_implIS3_N6thrust23THRUST_200600_302600_NS6detail15normal_iteratorINS9_10device_ptrIyEEEEPS5_jNS1_19radix_merge_compareILb0ELb0EyNS0_19identity_decomposerEEEEE10hipError_tT0_T1_T2_jT3_P12ihipStream_tbPNSt15iterator_traitsISK_E10value_typeEPNSQ_ISL_E10value_typeEPSM_NS1_7vsmem_tEENKUlT_SK_SL_SM_E_clISE_PySF_SF_EESJ_SZ_SK_SL_SM_EUlSZ_E_NS1_11comp_targetILNS1_3genE4ELNS1_11target_archE910ELNS1_3gpuE8ELNS1_3repE0EEENS1_48merge_mergepath_partition_config_static_selectorELNS0_4arch9wavefront6targetE1EEEvSL_,@function
_ZN7rocprim17ROCPRIM_400000_NS6detail17trampoline_kernelINS0_14default_configENS1_38merge_sort_block_merge_config_selectorIyNS0_10empty_typeEEEZZNS1_27merge_sort_block_merge_implIS3_N6thrust23THRUST_200600_302600_NS6detail15normal_iteratorINS9_10device_ptrIyEEEEPS5_jNS1_19radix_merge_compareILb0ELb0EyNS0_19identity_decomposerEEEEE10hipError_tT0_T1_T2_jT3_P12ihipStream_tbPNSt15iterator_traitsISK_E10value_typeEPNSQ_ISL_E10value_typeEPSM_NS1_7vsmem_tEENKUlT_SK_SL_SM_E_clISE_PySF_SF_EESJ_SZ_SK_SL_SM_EUlSZ_E_NS1_11comp_targetILNS1_3genE4ELNS1_11target_archE910ELNS1_3gpuE8ELNS1_3repE0EEENS1_48merge_mergepath_partition_config_static_selectorELNS0_4arch9wavefront6targetE1EEEvSL_: ; @_ZN7rocprim17ROCPRIM_400000_NS6detail17trampoline_kernelINS0_14default_configENS1_38merge_sort_block_merge_config_selectorIyNS0_10empty_typeEEEZZNS1_27merge_sort_block_merge_implIS3_N6thrust23THRUST_200600_302600_NS6detail15normal_iteratorINS9_10device_ptrIyEEEEPS5_jNS1_19radix_merge_compareILb0ELb0EyNS0_19identity_decomposerEEEEE10hipError_tT0_T1_T2_jT3_P12ihipStream_tbPNSt15iterator_traitsISK_E10value_typeEPNSQ_ISL_E10value_typeEPSM_NS1_7vsmem_tEENKUlT_SK_SL_SM_E_clISE_PySF_SF_EESJ_SZ_SK_SL_SM_EUlSZ_E_NS1_11comp_targetILNS1_3genE4ELNS1_11target_archE910ELNS1_3gpuE8ELNS1_3repE0EEENS1_48merge_mergepath_partition_config_static_selectorELNS0_4arch9wavefront6targetE1EEEvSL_
; %bb.0:
	.section	.rodata,"a",@progbits
	.p2align	6, 0x0
	.amdhsa_kernel _ZN7rocprim17ROCPRIM_400000_NS6detail17trampoline_kernelINS0_14default_configENS1_38merge_sort_block_merge_config_selectorIyNS0_10empty_typeEEEZZNS1_27merge_sort_block_merge_implIS3_N6thrust23THRUST_200600_302600_NS6detail15normal_iteratorINS9_10device_ptrIyEEEEPS5_jNS1_19radix_merge_compareILb0ELb0EyNS0_19identity_decomposerEEEEE10hipError_tT0_T1_T2_jT3_P12ihipStream_tbPNSt15iterator_traitsISK_E10value_typeEPNSQ_ISL_E10value_typeEPSM_NS1_7vsmem_tEENKUlT_SK_SL_SM_E_clISE_PySF_SF_EESJ_SZ_SK_SL_SM_EUlSZ_E_NS1_11comp_targetILNS1_3genE4ELNS1_11target_archE910ELNS1_3gpuE8ELNS1_3repE0EEENS1_48merge_mergepath_partition_config_static_selectorELNS0_4arch9wavefront6targetE1EEEvSL_
		.amdhsa_group_segment_fixed_size 0
		.amdhsa_private_segment_fixed_size 0
		.amdhsa_kernarg_size 40
		.amdhsa_user_sgpr_count 2
		.amdhsa_user_sgpr_dispatch_ptr 0
		.amdhsa_user_sgpr_queue_ptr 0
		.amdhsa_user_sgpr_kernarg_segment_ptr 1
		.amdhsa_user_sgpr_dispatch_id 0
		.amdhsa_user_sgpr_kernarg_preload_length 0
		.amdhsa_user_sgpr_kernarg_preload_offset 0
		.amdhsa_user_sgpr_private_segment_size 0
		.amdhsa_uses_dynamic_stack 0
		.amdhsa_enable_private_segment 0
		.amdhsa_system_sgpr_workgroup_id_x 1
		.amdhsa_system_sgpr_workgroup_id_y 0
		.amdhsa_system_sgpr_workgroup_id_z 0
		.amdhsa_system_sgpr_workgroup_info 0
		.amdhsa_system_vgpr_workitem_id 0
		.amdhsa_next_free_vgpr 1
		.amdhsa_next_free_sgpr 0
		.amdhsa_accum_offset 4
		.amdhsa_reserve_vcc 0
		.amdhsa_float_round_mode_32 0
		.amdhsa_float_round_mode_16_64 0
		.amdhsa_float_denorm_mode_32 3
		.amdhsa_float_denorm_mode_16_64 3
		.amdhsa_dx10_clamp 1
		.amdhsa_ieee_mode 1
		.amdhsa_fp16_overflow 0
		.amdhsa_tg_split 0
		.amdhsa_exception_fp_ieee_invalid_op 0
		.amdhsa_exception_fp_denorm_src 0
		.amdhsa_exception_fp_ieee_div_zero 0
		.amdhsa_exception_fp_ieee_overflow 0
		.amdhsa_exception_fp_ieee_underflow 0
		.amdhsa_exception_fp_ieee_inexact 0
		.amdhsa_exception_int_div_zero 0
	.end_amdhsa_kernel
	.section	.text._ZN7rocprim17ROCPRIM_400000_NS6detail17trampoline_kernelINS0_14default_configENS1_38merge_sort_block_merge_config_selectorIyNS0_10empty_typeEEEZZNS1_27merge_sort_block_merge_implIS3_N6thrust23THRUST_200600_302600_NS6detail15normal_iteratorINS9_10device_ptrIyEEEEPS5_jNS1_19radix_merge_compareILb0ELb0EyNS0_19identity_decomposerEEEEE10hipError_tT0_T1_T2_jT3_P12ihipStream_tbPNSt15iterator_traitsISK_E10value_typeEPNSQ_ISL_E10value_typeEPSM_NS1_7vsmem_tEENKUlT_SK_SL_SM_E_clISE_PySF_SF_EESJ_SZ_SK_SL_SM_EUlSZ_E_NS1_11comp_targetILNS1_3genE4ELNS1_11target_archE910ELNS1_3gpuE8ELNS1_3repE0EEENS1_48merge_mergepath_partition_config_static_selectorELNS0_4arch9wavefront6targetE1EEEvSL_,"axG",@progbits,_ZN7rocprim17ROCPRIM_400000_NS6detail17trampoline_kernelINS0_14default_configENS1_38merge_sort_block_merge_config_selectorIyNS0_10empty_typeEEEZZNS1_27merge_sort_block_merge_implIS3_N6thrust23THRUST_200600_302600_NS6detail15normal_iteratorINS9_10device_ptrIyEEEEPS5_jNS1_19radix_merge_compareILb0ELb0EyNS0_19identity_decomposerEEEEE10hipError_tT0_T1_T2_jT3_P12ihipStream_tbPNSt15iterator_traitsISK_E10value_typeEPNSQ_ISL_E10value_typeEPSM_NS1_7vsmem_tEENKUlT_SK_SL_SM_E_clISE_PySF_SF_EESJ_SZ_SK_SL_SM_EUlSZ_E_NS1_11comp_targetILNS1_3genE4ELNS1_11target_archE910ELNS1_3gpuE8ELNS1_3repE0EEENS1_48merge_mergepath_partition_config_static_selectorELNS0_4arch9wavefront6targetE1EEEvSL_,comdat
.Lfunc_end751:
	.size	_ZN7rocprim17ROCPRIM_400000_NS6detail17trampoline_kernelINS0_14default_configENS1_38merge_sort_block_merge_config_selectorIyNS0_10empty_typeEEEZZNS1_27merge_sort_block_merge_implIS3_N6thrust23THRUST_200600_302600_NS6detail15normal_iteratorINS9_10device_ptrIyEEEEPS5_jNS1_19radix_merge_compareILb0ELb0EyNS0_19identity_decomposerEEEEE10hipError_tT0_T1_T2_jT3_P12ihipStream_tbPNSt15iterator_traitsISK_E10value_typeEPNSQ_ISL_E10value_typeEPSM_NS1_7vsmem_tEENKUlT_SK_SL_SM_E_clISE_PySF_SF_EESJ_SZ_SK_SL_SM_EUlSZ_E_NS1_11comp_targetILNS1_3genE4ELNS1_11target_archE910ELNS1_3gpuE8ELNS1_3repE0EEENS1_48merge_mergepath_partition_config_static_selectorELNS0_4arch9wavefront6targetE1EEEvSL_, .Lfunc_end751-_ZN7rocprim17ROCPRIM_400000_NS6detail17trampoline_kernelINS0_14default_configENS1_38merge_sort_block_merge_config_selectorIyNS0_10empty_typeEEEZZNS1_27merge_sort_block_merge_implIS3_N6thrust23THRUST_200600_302600_NS6detail15normal_iteratorINS9_10device_ptrIyEEEEPS5_jNS1_19radix_merge_compareILb0ELb0EyNS0_19identity_decomposerEEEEE10hipError_tT0_T1_T2_jT3_P12ihipStream_tbPNSt15iterator_traitsISK_E10value_typeEPNSQ_ISL_E10value_typeEPSM_NS1_7vsmem_tEENKUlT_SK_SL_SM_E_clISE_PySF_SF_EESJ_SZ_SK_SL_SM_EUlSZ_E_NS1_11comp_targetILNS1_3genE4ELNS1_11target_archE910ELNS1_3gpuE8ELNS1_3repE0EEENS1_48merge_mergepath_partition_config_static_selectorELNS0_4arch9wavefront6targetE1EEEvSL_
                                        ; -- End function
	.section	.AMDGPU.csdata,"",@progbits
; Kernel info:
; codeLenInByte = 0
; NumSgprs: 6
; NumVgprs: 0
; NumAgprs: 0
; TotalNumVgprs: 0
; ScratchSize: 0
; MemoryBound: 0
; FloatMode: 240
; IeeeMode: 1
; LDSByteSize: 0 bytes/workgroup (compile time only)
; SGPRBlocks: 0
; VGPRBlocks: 0
; NumSGPRsForWavesPerEU: 6
; NumVGPRsForWavesPerEU: 1
; AccumOffset: 4
; Occupancy: 8
; WaveLimiterHint : 0
; COMPUTE_PGM_RSRC2:SCRATCH_EN: 0
; COMPUTE_PGM_RSRC2:USER_SGPR: 2
; COMPUTE_PGM_RSRC2:TRAP_HANDLER: 0
; COMPUTE_PGM_RSRC2:TGID_X_EN: 1
; COMPUTE_PGM_RSRC2:TGID_Y_EN: 0
; COMPUTE_PGM_RSRC2:TGID_Z_EN: 0
; COMPUTE_PGM_RSRC2:TIDIG_COMP_CNT: 0
; COMPUTE_PGM_RSRC3_GFX90A:ACCUM_OFFSET: 0
; COMPUTE_PGM_RSRC3_GFX90A:TG_SPLIT: 0
	.section	.text._ZN7rocprim17ROCPRIM_400000_NS6detail17trampoline_kernelINS0_14default_configENS1_38merge_sort_block_merge_config_selectorIyNS0_10empty_typeEEEZZNS1_27merge_sort_block_merge_implIS3_N6thrust23THRUST_200600_302600_NS6detail15normal_iteratorINS9_10device_ptrIyEEEEPS5_jNS1_19radix_merge_compareILb0ELb0EyNS0_19identity_decomposerEEEEE10hipError_tT0_T1_T2_jT3_P12ihipStream_tbPNSt15iterator_traitsISK_E10value_typeEPNSQ_ISL_E10value_typeEPSM_NS1_7vsmem_tEENKUlT_SK_SL_SM_E_clISE_PySF_SF_EESJ_SZ_SK_SL_SM_EUlSZ_E_NS1_11comp_targetILNS1_3genE3ELNS1_11target_archE908ELNS1_3gpuE7ELNS1_3repE0EEENS1_48merge_mergepath_partition_config_static_selectorELNS0_4arch9wavefront6targetE1EEEvSL_,"axG",@progbits,_ZN7rocprim17ROCPRIM_400000_NS6detail17trampoline_kernelINS0_14default_configENS1_38merge_sort_block_merge_config_selectorIyNS0_10empty_typeEEEZZNS1_27merge_sort_block_merge_implIS3_N6thrust23THRUST_200600_302600_NS6detail15normal_iteratorINS9_10device_ptrIyEEEEPS5_jNS1_19radix_merge_compareILb0ELb0EyNS0_19identity_decomposerEEEEE10hipError_tT0_T1_T2_jT3_P12ihipStream_tbPNSt15iterator_traitsISK_E10value_typeEPNSQ_ISL_E10value_typeEPSM_NS1_7vsmem_tEENKUlT_SK_SL_SM_E_clISE_PySF_SF_EESJ_SZ_SK_SL_SM_EUlSZ_E_NS1_11comp_targetILNS1_3genE3ELNS1_11target_archE908ELNS1_3gpuE7ELNS1_3repE0EEENS1_48merge_mergepath_partition_config_static_selectorELNS0_4arch9wavefront6targetE1EEEvSL_,comdat
	.protected	_ZN7rocprim17ROCPRIM_400000_NS6detail17trampoline_kernelINS0_14default_configENS1_38merge_sort_block_merge_config_selectorIyNS0_10empty_typeEEEZZNS1_27merge_sort_block_merge_implIS3_N6thrust23THRUST_200600_302600_NS6detail15normal_iteratorINS9_10device_ptrIyEEEEPS5_jNS1_19radix_merge_compareILb0ELb0EyNS0_19identity_decomposerEEEEE10hipError_tT0_T1_T2_jT3_P12ihipStream_tbPNSt15iterator_traitsISK_E10value_typeEPNSQ_ISL_E10value_typeEPSM_NS1_7vsmem_tEENKUlT_SK_SL_SM_E_clISE_PySF_SF_EESJ_SZ_SK_SL_SM_EUlSZ_E_NS1_11comp_targetILNS1_3genE3ELNS1_11target_archE908ELNS1_3gpuE7ELNS1_3repE0EEENS1_48merge_mergepath_partition_config_static_selectorELNS0_4arch9wavefront6targetE1EEEvSL_ ; -- Begin function _ZN7rocprim17ROCPRIM_400000_NS6detail17trampoline_kernelINS0_14default_configENS1_38merge_sort_block_merge_config_selectorIyNS0_10empty_typeEEEZZNS1_27merge_sort_block_merge_implIS3_N6thrust23THRUST_200600_302600_NS6detail15normal_iteratorINS9_10device_ptrIyEEEEPS5_jNS1_19radix_merge_compareILb0ELb0EyNS0_19identity_decomposerEEEEE10hipError_tT0_T1_T2_jT3_P12ihipStream_tbPNSt15iterator_traitsISK_E10value_typeEPNSQ_ISL_E10value_typeEPSM_NS1_7vsmem_tEENKUlT_SK_SL_SM_E_clISE_PySF_SF_EESJ_SZ_SK_SL_SM_EUlSZ_E_NS1_11comp_targetILNS1_3genE3ELNS1_11target_archE908ELNS1_3gpuE7ELNS1_3repE0EEENS1_48merge_mergepath_partition_config_static_selectorELNS0_4arch9wavefront6targetE1EEEvSL_
	.globl	_ZN7rocprim17ROCPRIM_400000_NS6detail17trampoline_kernelINS0_14default_configENS1_38merge_sort_block_merge_config_selectorIyNS0_10empty_typeEEEZZNS1_27merge_sort_block_merge_implIS3_N6thrust23THRUST_200600_302600_NS6detail15normal_iteratorINS9_10device_ptrIyEEEEPS5_jNS1_19radix_merge_compareILb0ELb0EyNS0_19identity_decomposerEEEEE10hipError_tT0_T1_T2_jT3_P12ihipStream_tbPNSt15iterator_traitsISK_E10value_typeEPNSQ_ISL_E10value_typeEPSM_NS1_7vsmem_tEENKUlT_SK_SL_SM_E_clISE_PySF_SF_EESJ_SZ_SK_SL_SM_EUlSZ_E_NS1_11comp_targetILNS1_3genE3ELNS1_11target_archE908ELNS1_3gpuE7ELNS1_3repE0EEENS1_48merge_mergepath_partition_config_static_selectorELNS0_4arch9wavefront6targetE1EEEvSL_
	.p2align	8
	.type	_ZN7rocprim17ROCPRIM_400000_NS6detail17trampoline_kernelINS0_14default_configENS1_38merge_sort_block_merge_config_selectorIyNS0_10empty_typeEEEZZNS1_27merge_sort_block_merge_implIS3_N6thrust23THRUST_200600_302600_NS6detail15normal_iteratorINS9_10device_ptrIyEEEEPS5_jNS1_19radix_merge_compareILb0ELb0EyNS0_19identity_decomposerEEEEE10hipError_tT0_T1_T2_jT3_P12ihipStream_tbPNSt15iterator_traitsISK_E10value_typeEPNSQ_ISL_E10value_typeEPSM_NS1_7vsmem_tEENKUlT_SK_SL_SM_E_clISE_PySF_SF_EESJ_SZ_SK_SL_SM_EUlSZ_E_NS1_11comp_targetILNS1_3genE3ELNS1_11target_archE908ELNS1_3gpuE7ELNS1_3repE0EEENS1_48merge_mergepath_partition_config_static_selectorELNS0_4arch9wavefront6targetE1EEEvSL_,@function
_ZN7rocprim17ROCPRIM_400000_NS6detail17trampoline_kernelINS0_14default_configENS1_38merge_sort_block_merge_config_selectorIyNS0_10empty_typeEEEZZNS1_27merge_sort_block_merge_implIS3_N6thrust23THRUST_200600_302600_NS6detail15normal_iteratorINS9_10device_ptrIyEEEEPS5_jNS1_19radix_merge_compareILb0ELb0EyNS0_19identity_decomposerEEEEE10hipError_tT0_T1_T2_jT3_P12ihipStream_tbPNSt15iterator_traitsISK_E10value_typeEPNSQ_ISL_E10value_typeEPSM_NS1_7vsmem_tEENKUlT_SK_SL_SM_E_clISE_PySF_SF_EESJ_SZ_SK_SL_SM_EUlSZ_E_NS1_11comp_targetILNS1_3genE3ELNS1_11target_archE908ELNS1_3gpuE7ELNS1_3repE0EEENS1_48merge_mergepath_partition_config_static_selectorELNS0_4arch9wavefront6targetE1EEEvSL_: ; @_ZN7rocprim17ROCPRIM_400000_NS6detail17trampoline_kernelINS0_14default_configENS1_38merge_sort_block_merge_config_selectorIyNS0_10empty_typeEEEZZNS1_27merge_sort_block_merge_implIS3_N6thrust23THRUST_200600_302600_NS6detail15normal_iteratorINS9_10device_ptrIyEEEEPS5_jNS1_19radix_merge_compareILb0ELb0EyNS0_19identity_decomposerEEEEE10hipError_tT0_T1_T2_jT3_P12ihipStream_tbPNSt15iterator_traitsISK_E10value_typeEPNSQ_ISL_E10value_typeEPSM_NS1_7vsmem_tEENKUlT_SK_SL_SM_E_clISE_PySF_SF_EESJ_SZ_SK_SL_SM_EUlSZ_E_NS1_11comp_targetILNS1_3genE3ELNS1_11target_archE908ELNS1_3gpuE7ELNS1_3repE0EEENS1_48merge_mergepath_partition_config_static_selectorELNS0_4arch9wavefront6targetE1EEEvSL_
; %bb.0:
	.section	.rodata,"a",@progbits
	.p2align	6, 0x0
	.amdhsa_kernel _ZN7rocprim17ROCPRIM_400000_NS6detail17trampoline_kernelINS0_14default_configENS1_38merge_sort_block_merge_config_selectorIyNS0_10empty_typeEEEZZNS1_27merge_sort_block_merge_implIS3_N6thrust23THRUST_200600_302600_NS6detail15normal_iteratorINS9_10device_ptrIyEEEEPS5_jNS1_19radix_merge_compareILb0ELb0EyNS0_19identity_decomposerEEEEE10hipError_tT0_T1_T2_jT3_P12ihipStream_tbPNSt15iterator_traitsISK_E10value_typeEPNSQ_ISL_E10value_typeEPSM_NS1_7vsmem_tEENKUlT_SK_SL_SM_E_clISE_PySF_SF_EESJ_SZ_SK_SL_SM_EUlSZ_E_NS1_11comp_targetILNS1_3genE3ELNS1_11target_archE908ELNS1_3gpuE7ELNS1_3repE0EEENS1_48merge_mergepath_partition_config_static_selectorELNS0_4arch9wavefront6targetE1EEEvSL_
		.amdhsa_group_segment_fixed_size 0
		.amdhsa_private_segment_fixed_size 0
		.amdhsa_kernarg_size 40
		.amdhsa_user_sgpr_count 2
		.amdhsa_user_sgpr_dispatch_ptr 0
		.amdhsa_user_sgpr_queue_ptr 0
		.amdhsa_user_sgpr_kernarg_segment_ptr 1
		.amdhsa_user_sgpr_dispatch_id 0
		.amdhsa_user_sgpr_kernarg_preload_length 0
		.amdhsa_user_sgpr_kernarg_preload_offset 0
		.amdhsa_user_sgpr_private_segment_size 0
		.amdhsa_uses_dynamic_stack 0
		.amdhsa_enable_private_segment 0
		.amdhsa_system_sgpr_workgroup_id_x 1
		.amdhsa_system_sgpr_workgroup_id_y 0
		.amdhsa_system_sgpr_workgroup_id_z 0
		.amdhsa_system_sgpr_workgroup_info 0
		.amdhsa_system_vgpr_workitem_id 0
		.amdhsa_next_free_vgpr 1
		.amdhsa_next_free_sgpr 0
		.amdhsa_accum_offset 4
		.amdhsa_reserve_vcc 0
		.amdhsa_float_round_mode_32 0
		.amdhsa_float_round_mode_16_64 0
		.amdhsa_float_denorm_mode_32 3
		.amdhsa_float_denorm_mode_16_64 3
		.amdhsa_dx10_clamp 1
		.amdhsa_ieee_mode 1
		.amdhsa_fp16_overflow 0
		.amdhsa_tg_split 0
		.amdhsa_exception_fp_ieee_invalid_op 0
		.amdhsa_exception_fp_denorm_src 0
		.amdhsa_exception_fp_ieee_div_zero 0
		.amdhsa_exception_fp_ieee_overflow 0
		.amdhsa_exception_fp_ieee_underflow 0
		.amdhsa_exception_fp_ieee_inexact 0
		.amdhsa_exception_int_div_zero 0
	.end_amdhsa_kernel
	.section	.text._ZN7rocprim17ROCPRIM_400000_NS6detail17trampoline_kernelINS0_14default_configENS1_38merge_sort_block_merge_config_selectorIyNS0_10empty_typeEEEZZNS1_27merge_sort_block_merge_implIS3_N6thrust23THRUST_200600_302600_NS6detail15normal_iteratorINS9_10device_ptrIyEEEEPS5_jNS1_19radix_merge_compareILb0ELb0EyNS0_19identity_decomposerEEEEE10hipError_tT0_T1_T2_jT3_P12ihipStream_tbPNSt15iterator_traitsISK_E10value_typeEPNSQ_ISL_E10value_typeEPSM_NS1_7vsmem_tEENKUlT_SK_SL_SM_E_clISE_PySF_SF_EESJ_SZ_SK_SL_SM_EUlSZ_E_NS1_11comp_targetILNS1_3genE3ELNS1_11target_archE908ELNS1_3gpuE7ELNS1_3repE0EEENS1_48merge_mergepath_partition_config_static_selectorELNS0_4arch9wavefront6targetE1EEEvSL_,"axG",@progbits,_ZN7rocprim17ROCPRIM_400000_NS6detail17trampoline_kernelINS0_14default_configENS1_38merge_sort_block_merge_config_selectorIyNS0_10empty_typeEEEZZNS1_27merge_sort_block_merge_implIS3_N6thrust23THRUST_200600_302600_NS6detail15normal_iteratorINS9_10device_ptrIyEEEEPS5_jNS1_19radix_merge_compareILb0ELb0EyNS0_19identity_decomposerEEEEE10hipError_tT0_T1_T2_jT3_P12ihipStream_tbPNSt15iterator_traitsISK_E10value_typeEPNSQ_ISL_E10value_typeEPSM_NS1_7vsmem_tEENKUlT_SK_SL_SM_E_clISE_PySF_SF_EESJ_SZ_SK_SL_SM_EUlSZ_E_NS1_11comp_targetILNS1_3genE3ELNS1_11target_archE908ELNS1_3gpuE7ELNS1_3repE0EEENS1_48merge_mergepath_partition_config_static_selectorELNS0_4arch9wavefront6targetE1EEEvSL_,comdat
.Lfunc_end752:
	.size	_ZN7rocprim17ROCPRIM_400000_NS6detail17trampoline_kernelINS0_14default_configENS1_38merge_sort_block_merge_config_selectorIyNS0_10empty_typeEEEZZNS1_27merge_sort_block_merge_implIS3_N6thrust23THRUST_200600_302600_NS6detail15normal_iteratorINS9_10device_ptrIyEEEEPS5_jNS1_19radix_merge_compareILb0ELb0EyNS0_19identity_decomposerEEEEE10hipError_tT0_T1_T2_jT3_P12ihipStream_tbPNSt15iterator_traitsISK_E10value_typeEPNSQ_ISL_E10value_typeEPSM_NS1_7vsmem_tEENKUlT_SK_SL_SM_E_clISE_PySF_SF_EESJ_SZ_SK_SL_SM_EUlSZ_E_NS1_11comp_targetILNS1_3genE3ELNS1_11target_archE908ELNS1_3gpuE7ELNS1_3repE0EEENS1_48merge_mergepath_partition_config_static_selectorELNS0_4arch9wavefront6targetE1EEEvSL_, .Lfunc_end752-_ZN7rocprim17ROCPRIM_400000_NS6detail17trampoline_kernelINS0_14default_configENS1_38merge_sort_block_merge_config_selectorIyNS0_10empty_typeEEEZZNS1_27merge_sort_block_merge_implIS3_N6thrust23THRUST_200600_302600_NS6detail15normal_iteratorINS9_10device_ptrIyEEEEPS5_jNS1_19radix_merge_compareILb0ELb0EyNS0_19identity_decomposerEEEEE10hipError_tT0_T1_T2_jT3_P12ihipStream_tbPNSt15iterator_traitsISK_E10value_typeEPNSQ_ISL_E10value_typeEPSM_NS1_7vsmem_tEENKUlT_SK_SL_SM_E_clISE_PySF_SF_EESJ_SZ_SK_SL_SM_EUlSZ_E_NS1_11comp_targetILNS1_3genE3ELNS1_11target_archE908ELNS1_3gpuE7ELNS1_3repE0EEENS1_48merge_mergepath_partition_config_static_selectorELNS0_4arch9wavefront6targetE1EEEvSL_
                                        ; -- End function
	.section	.AMDGPU.csdata,"",@progbits
; Kernel info:
; codeLenInByte = 0
; NumSgprs: 6
; NumVgprs: 0
; NumAgprs: 0
; TotalNumVgprs: 0
; ScratchSize: 0
; MemoryBound: 0
; FloatMode: 240
; IeeeMode: 1
; LDSByteSize: 0 bytes/workgroup (compile time only)
; SGPRBlocks: 0
; VGPRBlocks: 0
; NumSGPRsForWavesPerEU: 6
; NumVGPRsForWavesPerEU: 1
; AccumOffset: 4
; Occupancy: 8
; WaveLimiterHint : 0
; COMPUTE_PGM_RSRC2:SCRATCH_EN: 0
; COMPUTE_PGM_RSRC2:USER_SGPR: 2
; COMPUTE_PGM_RSRC2:TRAP_HANDLER: 0
; COMPUTE_PGM_RSRC2:TGID_X_EN: 1
; COMPUTE_PGM_RSRC2:TGID_Y_EN: 0
; COMPUTE_PGM_RSRC2:TGID_Z_EN: 0
; COMPUTE_PGM_RSRC2:TIDIG_COMP_CNT: 0
; COMPUTE_PGM_RSRC3_GFX90A:ACCUM_OFFSET: 0
; COMPUTE_PGM_RSRC3_GFX90A:TG_SPLIT: 0
	.section	.text._ZN7rocprim17ROCPRIM_400000_NS6detail17trampoline_kernelINS0_14default_configENS1_38merge_sort_block_merge_config_selectorIyNS0_10empty_typeEEEZZNS1_27merge_sort_block_merge_implIS3_N6thrust23THRUST_200600_302600_NS6detail15normal_iteratorINS9_10device_ptrIyEEEEPS5_jNS1_19radix_merge_compareILb0ELb0EyNS0_19identity_decomposerEEEEE10hipError_tT0_T1_T2_jT3_P12ihipStream_tbPNSt15iterator_traitsISK_E10value_typeEPNSQ_ISL_E10value_typeEPSM_NS1_7vsmem_tEENKUlT_SK_SL_SM_E_clISE_PySF_SF_EESJ_SZ_SK_SL_SM_EUlSZ_E_NS1_11comp_targetILNS1_3genE2ELNS1_11target_archE906ELNS1_3gpuE6ELNS1_3repE0EEENS1_48merge_mergepath_partition_config_static_selectorELNS0_4arch9wavefront6targetE1EEEvSL_,"axG",@progbits,_ZN7rocprim17ROCPRIM_400000_NS6detail17trampoline_kernelINS0_14default_configENS1_38merge_sort_block_merge_config_selectorIyNS0_10empty_typeEEEZZNS1_27merge_sort_block_merge_implIS3_N6thrust23THRUST_200600_302600_NS6detail15normal_iteratorINS9_10device_ptrIyEEEEPS5_jNS1_19radix_merge_compareILb0ELb0EyNS0_19identity_decomposerEEEEE10hipError_tT0_T1_T2_jT3_P12ihipStream_tbPNSt15iterator_traitsISK_E10value_typeEPNSQ_ISL_E10value_typeEPSM_NS1_7vsmem_tEENKUlT_SK_SL_SM_E_clISE_PySF_SF_EESJ_SZ_SK_SL_SM_EUlSZ_E_NS1_11comp_targetILNS1_3genE2ELNS1_11target_archE906ELNS1_3gpuE6ELNS1_3repE0EEENS1_48merge_mergepath_partition_config_static_selectorELNS0_4arch9wavefront6targetE1EEEvSL_,comdat
	.protected	_ZN7rocprim17ROCPRIM_400000_NS6detail17trampoline_kernelINS0_14default_configENS1_38merge_sort_block_merge_config_selectorIyNS0_10empty_typeEEEZZNS1_27merge_sort_block_merge_implIS3_N6thrust23THRUST_200600_302600_NS6detail15normal_iteratorINS9_10device_ptrIyEEEEPS5_jNS1_19radix_merge_compareILb0ELb0EyNS0_19identity_decomposerEEEEE10hipError_tT0_T1_T2_jT3_P12ihipStream_tbPNSt15iterator_traitsISK_E10value_typeEPNSQ_ISL_E10value_typeEPSM_NS1_7vsmem_tEENKUlT_SK_SL_SM_E_clISE_PySF_SF_EESJ_SZ_SK_SL_SM_EUlSZ_E_NS1_11comp_targetILNS1_3genE2ELNS1_11target_archE906ELNS1_3gpuE6ELNS1_3repE0EEENS1_48merge_mergepath_partition_config_static_selectorELNS0_4arch9wavefront6targetE1EEEvSL_ ; -- Begin function _ZN7rocprim17ROCPRIM_400000_NS6detail17trampoline_kernelINS0_14default_configENS1_38merge_sort_block_merge_config_selectorIyNS0_10empty_typeEEEZZNS1_27merge_sort_block_merge_implIS3_N6thrust23THRUST_200600_302600_NS6detail15normal_iteratorINS9_10device_ptrIyEEEEPS5_jNS1_19radix_merge_compareILb0ELb0EyNS0_19identity_decomposerEEEEE10hipError_tT0_T1_T2_jT3_P12ihipStream_tbPNSt15iterator_traitsISK_E10value_typeEPNSQ_ISL_E10value_typeEPSM_NS1_7vsmem_tEENKUlT_SK_SL_SM_E_clISE_PySF_SF_EESJ_SZ_SK_SL_SM_EUlSZ_E_NS1_11comp_targetILNS1_3genE2ELNS1_11target_archE906ELNS1_3gpuE6ELNS1_3repE0EEENS1_48merge_mergepath_partition_config_static_selectorELNS0_4arch9wavefront6targetE1EEEvSL_
	.globl	_ZN7rocprim17ROCPRIM_400000_NS6detail17trampoline_kernelINS0_14default_configENS1_38merge_sort_block_merge_config_selectorIyNS0_10empty_typeEEEZZNS1_27merge_sort_block_merge_implIS3_N6thrust23THRUST_200600_302600_NS6detail15normal_iteratorINS9_10device_ptrIyEEEEPS5_jNS1_19radix_merge_compareILb0ELb0EyNS0_19identity_decomposerEEEEE10hipError_tT0_T1_T2_jT3_P12ihipStream_tbPNSt15iterator_traitsISK_E10value_typeEPNSQ_ISL_E10value_typeEPSM_NS1_7vsmem_tEENKUlT_SK_SL_SM_E_clISE_PySF_SF_EESJ_SZ_SK_SL_SM_EUlSZ_E_NS1_11comp_targetILNS1_3genE2ELNS1_11target_archE906ELNS1_3gpuE6ELNS1_3repE0EEENS1_48merge_mergepath_partition_config_static_selectorELNS0_4arch9wavefront6targetE1EEEvSL_
	.p2align	8
	.type	_ZN7rocprim17ROCPRIM_400000_NS6detail17trampoline_kernelINS0_14default_configENS1_38merge_sort_block_merge_config_selectorIyNS0_10empty_typeEEEZZNS1_27merge_sort_block_merge_implIS3_N6thrust23THRUST_200600_302600_NS6detail15normal_iteratorINS9_10device_ptrIyEEEEPS5_jNS1_19radix_merge_compareILb0ELb0EyNS0_19identity_decomposerEEEEE10hipError_tT0_T1_T2_jT3_P12ihipStream_tbPNSt15iterator_traitsISK_E10value_typeEPNSQ_ISL_E10value_typeEPSM_NS1_7vsmem_tEENKUlT_SK_SL_SM_E_clISE_PySF_SF_EESJ_SZ_SK_SL_SM_EUlSZ_E_NS1_11comp_targetILNS1_3genE2ELNS1_11target_archE906ELNS1_3gpuE6ELNS1_3repE0EEENS1_48merge_mergepath_partition_config_static_selectorELNS0_4arch9wavefront6targetE1EEEvSL_,@function
_ZN7rocprim17ROCPRIM_400000_NS6detail17trampoline_kernelINS0_14default_configENS1_38merge_sort_block_merge_config_selectorIyNS0_10empty_typeEEEZZNS1_27merge_sort_block_merge_implIS3_N6thrust23THRUST_200600_302600_NS6detail15normal_iteratorINS9_10device_ptrIyEEEEPS5_jNS1_19radix_merge_compareILb0ELb0EyNS0_19identity_decomposerEEEEE10hipError_tT0_T1_T2_jT3_P12ihipStream_tbPNSt15iterator_traitsISK_E10value_typeEPNSQ_ISL_E10value_typeEPSM_NS1_7vsmem_tEENKUlT_SK_SL_SM_E_clISE_PySF_SF_EESJ_SZ_SK_SL_SM_EUlSZ_E_NS1_11comp_targetILNS1_3genE2ELNS1_11target_archE906ELNS1_3gpuE6ELNS1_3repE0EEENS1_48merge_mergepath_partition_config_static_selectorELNS0_4arch9wavefront6targetE1EEEvSL_: ; @_ZN7rocprim17ROCPRIM_400000_NS6detail17trampoline_kernelINS0_14default_configENS1_38merge_sort_block_merge_config_selectorIyNS0_10empty_typeEEEZZNS1_27merge_sort_block_merge_implIS3_N6thrust23THRUST_200600_302600_NS6detail15normal_iteratorINS9_10device_ptrIyEEEEPS5_jNS1_19radix_merge_compareILb0ELb0EyNS0_19identity_decomposerEEEEE10hipError_tT0_T1_T2_jT3_P12ihipStream_tbPNSt15iterator_traitsISK_E10value_typeEPNSQ_ISL_E10value_typeEPSM_NS1_7vsmem_tEENKUlT_SK_SL_SM_E_clISE_PySF_SF_EESJ_SZ_SK_SL_SM_EUlSZ_E_NS1_11comp_targetILNS1_3genE2ELNS1_11target_archE906ELNS1_3gpuE6ELNS1_3repE0EEENS1_48merge_mergepath_partition_config_static_selectorELNS0_4arch9wavefront6targetE1EEEvSL_
; %bb.0:
	.section	.rodata,"a",@progbits
	.p2align	6, 0x0
	.amdhsa_kernel _ZN7rocprim17ROCPRIM_400000_NS6detail17trampoline_kernelINS0_14default_configENS1_38merge_sort_block_merge_config_selectorIyNS0_10empty_typeEEEZZNS1_27merge_sort_block_merge_implIS3_N6thrust23THRUST_200600_302600_NS6detail15normal_iteratorINS9_10device_ptrIyEEEEPS5_jNS1_19radix_merge_compareILb0ELb0EyNS0_19identity_decomposerEEEEE10hipError_tT0_T1_T2_jT3_P12ihipStream_tbPNSt15iterator_traitsISK_E10value_typeEPNSQ_ISL_E10value_typeEPSM_NS1_7vsmem_tEENKUlT_SK_SL_SM_E_clISE_PySF_SF_EESJ_SZ_SK_SL_SM_EUlSZ_E_NS1_11comp_targetILNS1_3genE2ELNS1_11target_archE906ELNS1_3gpuE6ELNS1_3repE0EEENS1_48merge_mergepath_partition_config_static_selectorELNS0_4arch9wavefront6targetE1EEEvSL_
		.amdhsa_group_segment_fixed_size 0
		.amdhsa_private_segment_fixed_size 0
		.amdhsa_kernarg_size 40
		.amdhsa_user_sgpr_count 2
		.amdhsa_user_sgpr_dispatch_ptr 0
		.amdhsa_user_sgpr_queue_ptr 0
		.amdhsa_user_sgpr_kernarg_segment_ptr 1
		.amdhsa_user_sgpr_dispatch_id 0
		.amdhsa_user_sgpr_kernarg_preload_length 0
		.amdhsa_user_sgpr_kernarg_preload_offset 0
		.amdhsa_user_sgpr_private_segment_size 0
		.amdhsa_uses_dynamic_stack 0
		.amdhsa_enable_private_segment 0
		.amdhsa_system_sgpr_workgroup_id_x 1
		.amdhsa_system_sgpr_workgroup_id_y 0
		.amdhsa_system_sgpr_workgroup_id_z 0
		.amdhsa_system_sgpr_workgroup_info 0
		.amdhsa_system_vgpr_workitem_id 0
		.amdhsa_next_free_vgpr 1
		.amdhsa_next_free_sgpr 0
		.amdhsa_accum_offset 4
		.amdhsa_reserve_vcc 0
		.amdhsa_float_round_mode_32 0
		.amdhsa_float_round_mode_16_64 0
		.amdhsa_float_denorm_mode_32 3
		.amdhsa_float_denorm_mode_16_64 3
		.amdhsa_dx10_clamp 1
		.amdhsa_ieee_mode 1
		.amdhsa_fp16_overflow 0
		.amdhsa_tg_split 0
		.amdhsa_exception_fp_ieee_invalid_op 0
		.amdhsa_exception_fp_denorm_src 0
		.amdhsa_exception_fp_ieee_div_zero 0
		.amdhsa_exception_fp_ieee_overflow 0
		.amdhsa_exception_fp_ieee_underflow 0
		.amdhsa_exception_fp_ieee_inexact 0
		.amdhsa_exception_int_div_zero 0
	.end_amdhsa_kernel
	.section	.text._ZN7rocprim17ROCPRIM_400000_NS6detail17trampoline_kernelINS0_14default_configENS1_38merge_sort_block_merge_config_selectorIyNS0_10empty_typeEEEZZNS1_27merge_sort_block_merge_implIS3_N6thrust23THRUST_200600_302600_NS6detail15normal_iteratorINS9_10device_ptrIyEEEEPS5_jNS1_19radix_merge_compareILb0ELb0EyNS0_19identity_decomposerEEEEE10hipError_tT0_T1_T2_jT3_P12ihipStream_tbPNSt15iterator_traitsISK_E10value_typeEPNSQ_ISL_E10value_typeEPSM_NS1_7vsmem_tEENKUlT_SK_SL_SM_E_clISE_PySF_SF_EESJ_SZ_SK_SL_SM_EUlSZ_E_NS1_11comp_targetILNS1_3genE2ELNS1_11target_archE906ELNS1_3gpuE6ELNS1_3repE0EEENS1_48merge_mergepath_partition_config_static_selectorELNS0_4arch9wavefront6targetE1EEEvSL_,"axG",@progbits,_ZN7rocprim17ROCPRIM_400000_NS6detail17trampoline_kernelINS0_14default_configENS1_38merge_sort_block_merge_config_selectorIyNS0_10empty_typeEEEZZNS1_27merge_sort_block_merge_implIS3_N6thrust23THRUST_200600_302600_NS6detail15normal_iteratorINS9_10device_ptrIyEEEEPS5_jNS1_19radix_merge_compareILb0ELb0EyNS0_19identity_decomposerEEEEE10hipError_tT0_T1_T2_jT3_P12ihipStream_tbPNSt15iterator_traitsISK_E10value_typeEPNSQ_ISL_E10value_typeEPSM_NS1_7vsmem_tEENKUlT_SK_SL_SM_E_clISE_PySF_SF_EESJ_SZ_SK_SL_SM_EUlSZ_E_NS1_11comp_targetILNS1_3genE2ELNS1_11target_archE906ELNS1_3gpuE6ELNS1_3repE0EEENS1_48merge_mergepath_partition_config_static_selectorELNS0_4arch9wavefront6targetE1EEEvSL_,comdat
.Lfunc_end753:
	.size	_ZN7rocprim17ROCPRIM_400000_NS6detail17trampoline_kernelINS0_14default_configENS1_38merge_sort_block_merge_config_selectorIyNS0_10empty_typeEEEZZNS1_27merge_sort_block_merge_implIS3_N6thrust23THRUST_200600_302600_NS6detail15normal_iteratorINS9_10device_ptrIyEEEEPS5_jNS1_19radix_merge_compareILb0ELb0EyNS0_19identity_decomposerEEEEE10hipError_tT0_T1_T2_jT3_P12ihipStream_tbPNSt15iterator_traitsISK_E10value_typeEPNSQ_ISL_E10value_typeEPSM_NS1_7vsmem_tEENKUlT_SK_SL_SM_E_clISE_PySF_SF_EESJ_SZ_SK_SL_SM_EUlSZ_E_NS1_11comp_targetILNS1_3genE2ELNS1_11target_archE906ELNS1_3gpuE6ELNS1_3repE0EEENS1_48merge_mergepath_partition_config_static_selectorELNS0_4arch9wavefront6targetE1EEEvSL_, .Lfunc_end753-_ZN7rocprim17ROCPRIM_400000_NS6detail17trampoline_kernelINS0_14default_configENS1_38merge_sort_block_merge_config_selectorIyNS0_10empty_typeEEEZZNS1_27merge_sort_block_merge_implIS3_N6thrust23THRUST_200600_302600_NS6detail15normal_iteratorINS9_10device_ptrIyEEEEPS5_jNS1_19radix_merge_compareILb0ELb0EyNS0_19identity_decomposerEEEEE10hipError_tT0_T1_T2_jT3_P12ihipStream_tbPNSt15iterator_traitsISK_E10value_typeEPNSQ_ISL_E10value_typeEPSM_NS1_7vsmem_tEENKUlT_SK_SL_SM_E_clISE_PySF_SF_EESJ_SZ_SK_SL_SM_EUlSZ_E_NS1_11comp_targetILNS1_3genE2ELNS1_11target_archE906ELNS1_3gpuE6ELNS1_3repE0EEENS1_48merge_mergepath_partition_config_static_selectorELNS0_4arch9wavefront6targetE1EEEvSL_
                                        ; -- End function
	.section	.AMDGPU.csdata,"",@progbits
; Kernel info:
; codeLenInByte = 0
; NumSgprs: 6
; NumVgprs: 0
; NumAgprs: 0
; TotalNumVgprs: 0
; ScratchSize: 0
; MemoryBound: 0
; FloatMode: 240
; IeeeMode: 1
; LDSByteSize: 0 bytes/workgroup (compile time only)
; SGPRBlocks: 0
; VGPRBlocks: 0
; NumSGPRsForWavesPerEU: 6
; NumVGPRsForWavesPerEU: 1
; AccumOffset: 4
; Occupancy: 8
; WaveLimiterHint : 0
; COMPUTE_PGM_RSRC2:SCRATCH_EN: 0
; COMPUTE_PGM_RSRC2:USER_SGPR: 2
; COMPUTE_PGM_RSRC2:TRAP_HANDLER: 0
; COMPUTE_PGM_RSRC2:TGID_X_EN: 1
; COMPUTE_PGM_RSRC2:TGID_Y_EN: 0
; COMPUTE_PGM_RSRC2:TGID_Z_EN: 0
; COMPUTE_PGM_RSRC2:TIDIG_COMP_CNT: 0
; COMPUTE_PGM_RSRC3_GFX90A:ACCUM_OFFSET: 0
; COMPUTE_PGM_RSRC3_GFX90A:TG_SPLIT: 0
	.section	.text._ZN7rocprim17ROCPRIM_400000_NS6detail17trampoline_kernelINS0_14default_configENS1_38merge_sort_block_merge_config_selectorIyNS0_10empty_typeEEEZZNS1_27merge_sort_block_merge_implIS3_N6thrust23THRUST_200600_302600_NS6detail15normal_iteratorINS9_10device_ptrIyEEEEPS5_jNS1_19radix_merge_compareILb0ELb0EyNS0_19identity_decomposerEEEEE10hipError_tT0_T1_T2_jT3_P12ihipStream_tbPNSt15iterator_traitsISK_E10value_typeEPNSQ_ISL_E10value_typeEPSM_NS1_7vsmem_tEENKUlT_SK_SL_SM_E_clISE_PySF_SF_EESJ_SZ_SK_SL_SM_EUlSZ_E_NS1_11comp_targetILNS1_3genE9ELNS1_11target_archE1100ELNS1_3gpuE3ELNS1_3repE0EEENS1_48merge_mergepath_partition_config_static_selectorELNS0_4arch9wavefront6targetE1EEEvSL_,"axG",@progbits,_ZN7rocprim17ROCPRIM_400000_NS6detail17trampoline_kernelINS0_14default_configENS1_38merge_sort_block_merge_config_selectorIyNS0_10empty_typeEEEZZNS1_27merge_sort_block_merge_implIS3_N6thrust23THRUST_200600_302600_NS6detail15normal_iteratorINS9_10device_ptrIyEEEEPS5_jNS1_19radix_merge_compareILb0ELb0EyNS0_19identity_decomposerEEEEE10hipError_tT0_T1_T2_jT3_P12ihipStream_tbPNSt15iterator_traitsISK_E10value_typeEPNSQ_ISL_E10value_typeEPSM_NS1_7vsmem_tEENKUlT_SK_SL_SM_E_clISE_PySF_SF_EESJ_SZ_SK_SL_SM_EUlSZ_E_NS1_11comp_targetILNS1_3genE9ELNS1_11target_archE1100ELNS1_3gpuE3ELNS1_3repE0EEENS1_48merge_mergepath_partition_config_static_selectorELNS0_4arch9wavefront6targetE1EEEvSL_,comdat
	.protected	_ZN7rocprim17ROCPRIM_400000_NS6detail17trampoline_kernelINS0_14default_configENS1_38merge_sort_block_merge_config_selectorIyNS0_10empty_typeEEEZZNS1_27merge_sort_block_merge_implIS3_N6thrust23THRUST_200600_302600_NS6detail15normal_iteratorINS9_10device_ptrIyEEEEPS5_jNS1_19radix_merge_compareILb0ELb0EyNS0_19identity_decomposerEEEEE10hipError_tT0_T1_T2_jT3_P12ihipStream_tbPNSt15iterator_traitsISK_E10value_typeEPNSQ_ISL_E10value_typeEPSM_NS1_7vsmem_tEENKUlT_SK_SL_SM_E_clISE_PySF_SF_EESJ_SZ_SK_SL_SM_EUlSZ_E_NS1_11comp_targetILNS1_3genE9ELNS1_11target_archE1100ELNS1_3gpuE3ELNS1_3repE0EEENS1_48merge_mergepath_partition_config_static_selectorELNS0_4arch9wavefront6targetE1EEEvSL_ ; -- Begin function _ZN7rocprim17ROCPRIM_400000_NS6detail17trampoline_kernelINS0_14default_configENS1_38merge_sort_block_merge_config_selectorIyNS0_10empty_typeEEEZZNS1_27merge_sort_block_merge_implIS3_N6thrust23THRUST_200600_302600_NS6detail15normal_iteratorINS9_10device_ptrIyEEEEPS5_jNS1_19radix_merge_compareILb0ELb0EyNS0_19identity_decomposerEEEEE10hipError_tT0_T1_T2_jT3_P12ihipStream_tbPNSt15iterator_traitsISK_E10value_typeEPNSQ_ISL_E10value_typeEPSM_NS1_7vsmem_tEENKUlT_SK_SL_SM_E_clISE_PySF_SF_EESJ_SZ_SK_SL_SM_EUlSZ_E_NS1_11comp_targetILNS1_3genE9ELNS1_11target_archE1100ELNS1_3gpuE3ELNS1_3repE0EEENS1_48merge_mergepath_partition_config_static_selectorELNS0_4arch9wavefront6targetE1EEEvSL_
	.globl	_ZN7rocprim17ROCPRIM_400000_NS6detail17trampoline_kernelINS0_14default_configENS1_38merge_sort_block_merge_config_selectorIyNS0_10empty_typeEEEZZNS1_27merge_sort_block_merge_implIS3_N6thrust23THRUST_200600_302600_NS6detail15normal_iteratorINS9_10device_ptrIyEEEEPS5_jNS1_19radix_merge_compareILb0ELb0EyNS0_19identity_decomposerEEEEE10hipError_tT0_T1_T2_jT3_P12ihipStream_tbPNSt15iterator_traitsISK_E10value_typeEPNSQ_ISL_E10value_typeEPSM_NS1_7vsmem_tEENKUlT_SK_SL_SM_E_clISE_PySF_SF_EESJ_SZ_SK_SL_SM_EUlSZ_E_NS1_11comp_targetILNS1_3genE9ELNS1_11target_archE1100ELNS1_3gpuE3ELNS1_3repE0EEENS1_48merge_mergepath_partition_config_static_selectorELNS0_4arch9wavefront6targetE1EEEvSL_
	.p2align	8
	.type	_ZN7rocprim17ROCPRIM_400000_NS6detail17trampoline_kernelINS0_14default_configENS1_38merge_sort_block_merge_config_selectorIyNS0_10empty_typeEEEZZNS1_27merge_sort_block_merge_implIS3_N6thrust23THRUST_200600_302600_NS6detail15normal_iteratorINS9_10device_ptrIyEEEEPS5_jNS1_19radix_merge_compareILb0ELb0EyNS0_19identity_decomposerEEEEE10hipError_tT0_T1_T2_jT3_P12ihipStream_tbPNSt15iterator_traitsISK_E10value_typeEPNSQ_ISL_E10value_typeEPSM_NS1_7vsmem_tEENKUlT_SK_SL_SM_E_clISE_PySF_SF_EESJ_SZ_SK_SL_SM_EUlSZ_E_NS1_11comp_targetILNS1_3genE9ELNS1_11target_archE1100ELNS1_3gpuE3ELNS1_3repE0EEENS1_48merge_mergepath_partition_config_static_selectorELNS0_4arch9wavefront6targetE1EEEvSL_,@function
_ZN7rocprim17ROCPRIM_400000_NS6detail17trampoline_kernelINS0_14default_configENS1_38merge_sort_block_merge_config_selectorIyNS0_10empty_typeEEEZZNS1_27merge_sort_block_merge_implIS3_N6thrust23THRUST_200600_302600_NS6detail15normal_iteratorINS9_10device_ptrIyEEEEPS5_jNS1_19radix_merge_compareILb0ELb0EyNS0_19identity_decomposerEEEEE10hipError_tT0_T1_T2_jT3_P12ihipStream_tbPNSt15iterator_traitsISK_E10value_typeEPNSQ_ISL_E10value_typeEPSM_NS1_7vsmem_tEENKUlT_SK_SL_SM_E_clISE_PySF_SF_EESJ_SZ_SK_SL_SM_EUlSZ_E_NS1_11comp_targetILNS1_3genE9ELNS1_11target_archE1100ELNS1_3gpuE3ELNS1_3repE0EEENS1_48merge_mergepath_partition_config_static_selectorELNS0_4arch9wavefront6targetE1EEEvSL_: ; @_ZN7rocprim17ROCPRIM_400000_NS6detail17trampoline_kernelINS0_14default_configENS1_38merge_sort_block_merge_config_selectorIyNS0_10empty_typeEEEZZNS1_27merge_sort_block_merge_implIS3_N6thrust23THRUST_200600_302600_NS6detail15normal_iteratorINS9_10device_ptrIyEEEEPS5_jNS1_19radix_merge_compareILb0ELb0EyNS0_19identity_decomposerEEEEE10hipError_tT0_T1_T2_jT3_P12ihipStream_tbPNSt15iterator_traitsISK_E10value_typeEPNSQ_ISL_E10value_typeEPSM_NS1_7vsmem_tEENKUlT_SK_SL_SM_E_clISE_PySF_SF_EESJ_SZ_SK_SL_SM_EUlSZ_E_NS1_11comp_targetILNS1_3genE9ELNS1_11target_archE1100ELNS1_3gpuE3ELNS1_3repE0EEENS1_48merge_mergepath_partition_config_static_selectorELNS0_4arch9wavefront6targetE1EEEvSL_
; %bb.0:
	.section	.rodata,"a",@progbits
	.p2align	6, 0x0
	.amdhsa_kernel _ZN7rocprim17ROCPRIM_400000_NS6detail17trampoline_kernelINS0_14default_configENS1_38merge_sort_block_merge_config_selectorIyNS0_10empty_typeEEEZZNS1_27merge_sort_block_merge_implIS3_N6thrust23THRUST_200600_302600_NS6detail15normal_iteratorINS9_10device_ptrIyEEEEPS5_jNS1_19radix_merge_compareILb0ELb0EyNS0_19identity_decomposerEEEEE10hipError_tT0_T1_T2_jT3_P12ihipStream_tbPNSt15iterator_traitsISK_E10value_typeEPNSQ_ISL_E10value_typeEPSM_NS1_7vsmem_tEENKUlT_SK_SL_SM_E_clISE_PySF_SF_EESJ_SZ_SK_SL_SM_EUlSZ_E_NS1_11comp_targetILNS1_3genE9ELNS1_11target_archE1100ELNS1_3gpuE3ELNS1_3repE0EEENS1_48merge_mergepath_partition_config_static_selectorELNS0_4arch9wavefront6targetE1EEEvSL_
		.amdhsa_group_segment_fixed_size 0
		.amdhsa_private_segment_fixed_size 0
		.amdhsa_kernarg_size 40
		.amdhsa_user_sgpr_count 2
		.amdhsa_user_sgpr_dispatch_ptr 0
		.amdhsa_user_sgpr_queue_ptr 0
		.amdhsa_user_sgpr_kernarg_segment_ptr 1
		.amdhsa_user_sgpr_dispatch_id 0
		.amdhsa_user_sgpr_kernarg_preload_length 0
		.amdhsa_user_sgpr_kernarg_preload_offset 0
		.amdhsa_user_sgpr_private_segment_size 0
		.amdhsa_uses_dynamic_stack 0
		.amdhsa_enable_private_segment 0
		.amdhsa_system_sgpr_workgroup_id_x 1
		.amdhsa_system_sgpr_workgroup_id_y 0
		.amdhsa_system_sgpr_workgroup_id_z 0
		.amdhsa_system_sgpr_workgroup_info 0
		.amdhsa_system_vgpr_workitem_id 0
		.amdhsa_next_free_vgpr 1
		.amdhsa_next_free_sgpr 0
		.amdhsa_accum_offset 4
		.amdhsa_reserve_vcc 0
		.amdhsa_float_round_mode_32 0
		.amdhsa_float_round_mode_16_64 0
		.amdhsa_float_denorm_mode_32 3
		.amdhsa_float_denorm_mode_16_64 3
		.amdhsa_dx10_clamp 1
		.amdhsa_ieee_mode 1
		.amdhsa_fp16_overflow 0
		.amdhsa_tg_split 0
		.amdhsa_exception_fp_ieee_invalid_op 0
		.amdhsa_exception_fp_denorm_src 0
		.amdhsa_exception_fp_ieee_div_zero 0
		.amdhsa_exception_fp_ieee_overflow 0
		.amdhsa_exception_fp_ieee_underflow 0
		.amdhsa_exception_fp_ieee_inexact 0
		.amdhsa_exception_int_div_zero 0
	.end_amdhsa_kernel
	.section	.text._ZN7rocprim17ROCPRIM_400000_NS6detail17trampoline_kernelINS0_14default_configENS1_38merge_sort_block_merge_config_selectorIyNS0_10empty_typeEEEZZNS1_27merge_sort_block_merge_implIS3_N6thrust23THRUST_200600_302600_NS6detail15normal_iteratorINS9_10device_ptrIyEEEEPS5_jNS1_19radix_merge_compareILb0ELb0EyNS0_19identity_decomposerEEEEE10hipError_tT0_T1_T2_jT3_P12ihipStream_tbPNSt15iterator_traitsISK_E10value_typeEPNSQ_ISL_E10value_typeEPSM_NS1_7vsmem_tEENKUlT_SK_SL_SM_E_clISE_PySF_SF_EESJ_SZ_SK_SL_SM_EUlSZ_E_NS1_11comp_targetILNS1_3genE9ELNS1_11target_archE1100ELNS1_3gpuE3ELNS1_3repE0EEENS1_48merge_mergepath_partition_config_static_selectorELNS0_4arch9wavefront6targetE1EEEvSL_,"axG",@progbits,_ZN7rocprim17ROCPRIM_400000_NS6detail17trampoline_kernelINS0_14default_configENS1_38merge_sort_block_merge_config_selectorIyNS0_10empty_typeEEEZZNS1_27merge_sort_block_merge_implIS3_N6thrust23THRUST_200600_302600_NS6detail15normal_iteratorINS9_10device_ptrIyEEEEPS5_jNS1_19radix_merge_compareILb0ELb0EyNS0_19identity_decomposerEEEEE10hipError_tT0_T1_T2_jT3_P12ihipStream_tbPNSt15iterator_traitsISK_E10value_typeEPNSQ_ISL_E10value_typeEPSM_NS1_7vsmem_tEENKUlT_SK_SL_SM_E_clISE_PySF_SF_EESJ_SZ_SK_SL_SM_EUlSZ_E_NS1_11comp_targetILNS1_3genE9ELNS1_11target_archE1100ELNS1_3gpuE3ELNS1_3repE0EEENS1_48merge_mergepath_partition_config_static_selectorELNS0_4arch9wavefront6targetE1EEEvSL_,comdat
.Lfunc_end754:
	.size	_ZN7rocprim17ROCPRIM_400000_NS6detail17trampoline_kernelINS0_14default_configENS1_38merge_sort_block_merge_config_selectorIyNS0_10empty_typeEEEZZNS1_27merge_sort_block_merge_implIS3_N6thrust23THRUST_200600_302600_NS6detail15normal_iteratorINS9_10device_ptrIyEEEEPS5_jNS1_19radix_merge_compareILb0ELb0EyNS0_19identity_decomposerEEEEE10hipError_tT0_T1_T2_jT3_P12ihipStream_tbPNSt15iterator_traitsISK_E10value_typeEPNSQ_ISL_E10value_typeEPSM_NS1_7vsmem_tEENKUlT_SK_SL_SM_E_clISE_PySF_SF_EESJ_SZ_SK_SL_SM_EUlSZ_E_NS1_11comp_targetILNS1_3genE9ELNS1_11target_archE1100ELNS1_3gpuE3ELNS1_3repE0EEENS1_48merge_mergepath_partition_config_static_selectorELNS0_4arch9wavefront6targetE1EEEvSL_, .Lfunc_end754-_ZN7rocprim17ROCPRIM_400000_NS6detail17trampoline_kernelINS0_14default_configENS1_38merge_sort_block_merge_config_selectorIyNS0_10empty_typeEEEZZNS1_27merge_sort_block_merge_implIS3_N6thrust23THRUST_200600_302600_NS6detail15normal_iteratorINS9_10device_ptrIyEEEEPS5_jNS1_19radix_merge_compareILb0ELb0EyNS0_19identity_decomposerEEEEE10hipError_tT0_T1_T2_jT3_P12ihipStream_tbPNSt15iterator_traitsISK_E10value_typeEPNSQ_ISL_E10value_typeEPSM_NS1_7vsmem_tEENKUlT_SK_SL_SM_E_clISE_PySF_SF_EESJ_SZ_SK_SL_SM_EUlSZ_E_NS1_11comp_targetILNS1_3genE9ELNS1_11target_archE1100ELNS1_3gpuE3ELNS1_3repE0EEENS1_48merge_mergepath_partition_config_static_selectorELNS0_4arch9wavefront6targetE1EEEvSL_
                                        ; -- End function
	.section	.AMDGPU.csdata,"",@progbits
; Kernel info:
; codeLenInByte = 0
; NumSgprs: 6
; NumVgprs: 0
; NumAgprs: 0
; TotalNumVgprs: 0
; ScratchSize: 0
; MemoryBound: 0
; FloatMode: 240
; IeeeMode: 1
; LDSByteSize: 0 bytes/workgroup (compile time only)
; SGPRBlocks: 0
; VGPRBlocks: 0
; NumSGPRsForWavesPerEU: 6
; NumVGPRsForWavesPerEU: 1
; AccumOffset: 4
; Occupancy: 8
; WaveLimiterHint : 0
; COMPUTE_PGM_RSRC2:SCRATCH_EN: 0
; COMPUTE_PGM_RSRC2:USER_SGPR: 2
; COMPUTE_PGM_RSRC2:TRAP_HANDLER: 0
; COMPUTE_PGM_RSRC2:TGID_X_EN: 1
; COMPUTE_PGM_RSRC2:TGID_Y_EN: 0
; COMPUTE_PGM_RSRC2:TGID_Z_EN: 0
; COMPUTE_PGM_RSRC2:TIDIG_COMP_CNT: 0
; COMPUTE_PGM_RSRC3_GFX90A:ACCUM_OFFSET: 0
; COMPUTE_PGM_RSRC3_GFX90A:TG_SPLIT: 0
	.section	.text._ZN7rocprim17ROCPRIM_400000_NS6detail17trampoline_kernelINS0_14default_configENS1_38merge_sort_block_merge_config_selectorIyNS0_10empty_typeEEEZZNS1_27merge_sort_block_merge_implIS3_N6thrust23THRUST_200600_302600_NS6detail15normal_iteratorINS9_10device_ptrIyEEEEPS5_jNS1_19radix_merge_compareILb0ELb0EyNS0_19identity_decomposerEEEEE10hipError_tT0_T1_T2_jT3_P12ihipStream_tbPNSt15iterator_traitsISK_E10value_typeEPNSQ_ISL_E10value_typeEPSM_NS1_7vsmem_tEENKUlT_SK_SL_SM_E_clISE_PySF_SF_EESJ_SZ_SK_SL_SM_EUlSZ_E_NS1_11comp_targetILNS1_3genE8ELNS1_11target_archE1030ELNS1_3gpuE2ELNS1_3repE0EEENS1_48merge_mergepath_partition_config_static_selectorELNS0_4arch9wavefront6targetE1EEEvSL_,"axG",@progbits,_ZN7rocprim17ROCPRIM_400000_NS6detail17trampoline_kernelINS0_14default_configENS1_38merge_sort_block_merge_config_selectorIyNS0_10empty_typeEEEZZNS1_27merge_sort_block_merge_implIS3_N6thrust23THRUST_200600_302600_NS6detail15normal_iteratorINS9_10device_ptrIyEEEEPS5_jNS1_19radix_merge_compareILb0ELb0EyNS0_19identity_decomposerEEEEE10hipError_tT0_T1_T2_jT3_P12ihipStream_tbPNSt15iterator_traitsISK_E10value_typeEPNSQ_ISL_E10value_typeEPSM_NS1_7vsmem_tEENKUlT_SK_SL_SM_E_clISE_PySF_SF_EESJ_SZ_SK_SL_SM_EUlSZ_E_NS1_11comp_targetILNS1_3genE8ELNS1_11target_archE1030ELNS1_3gpuE2ELNS1_3repE0EEENS1_48merge_mergepath_partition_config_static_selectorELNS0_4arch9wavefront6targetE1EEEvSL_,comdat
	.protected	_ZN7rocprim17ROCPRIM_400000_NS6detail17trampoline_kernelINS0_14default_configENS1_38merge_sort_block_merge_config_selectorIyNS0_10empty_typeEEEZZNS1_27merge_sort_block_merge_implIS3_N6thrust23THRUST_200600_302600_NS6detail15normal_iteratorINS9_10device_ptrIyEEEEPS5_jNS1_19radix_merge_compareILb0ELb0EyNS0_19identity_decomposerEEEEE10hipError_tT0_T1_T2_jT3_P12ihipStream_tbPNSt15iterator_traitsISK_E10value_typeEPNSQ_ISL_E10value_typeEPSM_NS1_7vsmem_tEENKUlT_SK_SL_SM_E_clISE_PySF_SF_EESJ_SZ_SK_SL_SM_EUlSZ_E_NS1_11comp_targetILNS1_3genE8ELNS1_11target_archE1030ELNS1_3gpuE2ELNS1_3repE0EEENS1_48merge_mergepath_partition_config_static_selectorELNS0_4arch9wavefront6targetE1EEEvSL_ ; -- Begin function _ZN7rocprim17ROCPRIM_400000_NS6detail17trampoline_kernelINS0_14default_configENS1_38merge_sort_block_merge_config_selectorIyNS0_10empty_typeEEEZZNS1_27merge_sort_block_merge_implIS3_N6thrust23THRUST_200600_302600_NS6detail15normal_iteratorINS9_10device_ptrIyEEEEPS5_jNS1_19radix_merge_compareILb0ELb0EyNS0_19identity_decomposerEEEEE10hipError_tT0_T1_T2_jT3_P12ihipStream_tbPNSt15iterator_traitsISK_E10value_typeEPNSQ_ISL_E10value_typeEPSM_NS1_7vsmem_tEENKUlT_SK_SL_SM_E_clISE_PySF_SF_EESJ_SZ_SK_SL_SM_EUlSZ_E_NS1_11comp_targetILNS1_3genE8ELNS1_11target_archE1030ELNS1_3gpuE2ELNS1_3repE0EEENS1_48merge_mergepath_partition_config_static_selectorELNS0_4arch9wavefront6targetE1EEEvSL_
	.globl	_ZN7rocprim17ROCPRIM_400000_NS6detail17trampoline_kernelINS0_14default_configENS1_38merge_sort_block_merge_config_selectorIyNS0_10empty_typeEEEZZNS1_27merge_sort_block_merge_implIS3_N6thrust23THRUST_200600_302600_NS6detail15normal_iteratorINS9_10device_ptrIyEEEEPS5_jNS1_19radix_merge_compareILb0ELb0EyNS0_19identity_decomposerEEEEE10hipError_tT0_T1_T2_jT3_P12ihipStream_tbPNSt15iterator_traitsISK_E10value_typeEPNSQ_ISL_E10value_typeEPSM_NS1_7vsmem_tEENKUlT_SK_SL_SM_E_clISE_PySF_SF_EESJ_SZ_SK_SL_SM_EUlSZ_E_NS1_11comp_targetILNS1_3genE8ELNS1_11target_archE1030ELNS1_3gpuE2ELNS1_3repE0EEENS1_48merge_mergepath_partition_config_static_selectorELNS0_4arch9wavefront6targetE1EEEvSL_
	.p2align	8
	.type	_ZN7rocprim17ROCPRIM_400000_NS6detail17trampoline_kernelINS0_14default_configENS1_38merge_sort_block_merge_config_selectorIyNS0_10empty_typeEEEZZNS1_27merge_sort_block_merge_implIS3_N6thrust23THRUST_200600_302600_NS6detail15normal_iteratorINS9_10device_ptrIyEEEEPS5_jNS1_19radix_merge_compareILb0ELb0EyNS0_19identity_decomposerEEEEE10hipError_tT0_T1_T2_jT3_P12ihipStream_tbPNSt15iterator_traitsISK_E10value_typeEPNSQ_ISL_E10value_typeEPSM_NS1_7vsmem_tEENKUlT_SK_SL_SM_E_clISE_PySF_SF_EESJ_SZ_SK_SL_SM_EUlSZ_E_NS1_11comp_targetILNS1_3genE8ELNS1_11target_archE1030ELNS1_3gpuE2ELNS1_3repE0EEENS1_48merge_mergepath_partition_config_static_selectorELNS0_4arch9wavefront6targetE1EEEvSL_,@function
_ZN7rocprim17ROCPRIM_400000_NS6detail17trampoline_kernelINS0_14default_configENS1_38merge_sort_block_merge_config_selectorIyNS0_10empty_typeEEEZZNS1_27merge_sort_block_merge_implIS3_N6thrust23THRUST_200600_302600_NS6detail15normal_iteratorINS9_10device_ptrIyEEEEPS5_jNS1_19radix_merge_compareILb0ELb0EyNS0_19identity_decomposerEEEEE10hipError_tT0_T1_T2_jT3_P12ihipStream_tbPNSt15iterator_traitsISK_E10value_typeEPNSQ_ISL_E10value_typeEPSM_NS1_7vsmem_tEENKUlT_SK_SL_SM_E_clISE_PySF_SF_EESJ_SZ_SK_SL_SM_EUlSZ_E_NS1_11comp_targetILNS1_3genE8ELNS1_11target_archE1030ELNS1_3gpuE2ELNS1_3repE0EEENS1_48merge_mergepath_partition_config_static_selectorELNS0_4arch9wavefront6targetE1EEEvSL_: ; @_ZN7rocprim17ROCPRIM_400000_NS6detail17trampoline_kernelINS0_14default_configENS1_38merge_sort_block_merge_config_selectorIyNS0_10empty_typeEEEZZNS1_27merge_sort_block_merge_implIS3_N6thrust23THRUST_200600_302600_NS6detail15normal_iteratorINS9_10device_ptrIyEEEEPS5_jNS1_19radix_merge_compareILb0ELb0EyNS0_19identity_decomposerEEEEE10hipError_tT0_T1_T2_jT3_P12ihipStream_tbPNSt15iterator_traitsISK_E10value_typeEPNSQ_ISL_E10value_typeEPSM_NS1_7vsmem_tEENKUlT_SK_SL_SM_E_clISE_PySF_SF_EESJ_SZ_SK_SL_SM_EUlSZ_E_NS1_11comp_targetILNS1_3genE8ELNS1_11target_archE1030ELNS1_3gpuE2ELNS1_3repE0EEENS1_48merge_mergepath_partition_config_static_selectorELNS0_4arch9wavefront6targetE1EEEvSL_
; %bb.0:
	.section	.rodata,"a",@progbits
	.p2align	6, 0x0
	.amdhsa_kernel _ZN7rocprim17ROCPRIM_400000_NS6detail17trampoline_kernelINS0_14default_configENS1_38merge_sort_block_merge_config_selectorIyNS0_10empty_typeEEEZZNS1_27merge_sort_block_merge_implIS3_N6thrust23THRUST_200600_302600_NS6detail15normal_iteratorINS9_10device_ptrIyEEEEPS5_jNS1_19radix_merge_compareILb0ELb0EyNS0_19identity_decomposerEEEEE10hipError_tT0_T1_T2_jT3_P12ihipStream_tbPNSt15iterator_traitsISK_E10value_typeEPNSQ_ISL_E10value_typeEPSM_NS1_7vsmem_tEENKUlT_SK_SL_SM_E_clISE_PySF_SF_EESJ_SZ_SK_SL_SM_EUlSZ_E_NS1_11comp_targetILNS1_3genE8ELNS1_11target_archE1030ELNS1_3gpuE2ELNS1_3repE0EEENS1_48merge_mergepath_partition_config_static_selectorELNS0_4arch9wavefront6targetE1EEEvSL_
		.amdhsa_group_segment_fixed_size 0
		.amdhsa_private_segment_fixed_size 0
		.amdhsa_kernarg_size 40
		.amdhsa_user_sgpr_count 2
		.amdhsa_user_sgpr_dispatch_ptr 0
		.amdhsa_user_sgpr_queue_ptr 0
		.amdhsa_user_sgpr_kernarg_segment_ptr 1
		.amdhsa_user_sgpr_dispatch_id 0
		.amdhsa_user_sgpr_kernarg_preload_length 0
		.amdhsa_user_sgpr_kernarg_preload_offset 0
		.amdhsa_user_sgpr_private_segment_size 0
		.amdhsa_uses_dynamic_stack 0
		.amdhsa_enable_private_segment 0
		.amdhsa_system_sgpr_workgroup_id_x 1
		.amdhsa_system_sgpr_workgroup_id_y 0
		.amdhsa_system_sgpr_workgroup_id_z 0
		.amdhsa_system_sgpr_workgroup_info 0
		.amdhsa_system_vgpr_workitem_id 0
		.amdhsa_next_free_vgpr 1
		.amdhsa_next_free_sgpr 0
		.amdhsa_accum_offset 4
		.amdhsa_reserve_vcc 0
		.amdhsa_float_round_mode_32 0
		.amdhsa_float_round_mode_16_64 0
		.amdhsa_float_denorm_mode_32 3
		.amdhsa_float_denorm_mode_16_64 3
		.amdhsa_dx10_clamp 1
		.amdhsa_ieee_mode 1
		.amdhsa_fp16_overflow 0
		.amdhsa_tg_split 0
		.amdhsa_exception_fp_ieee_invalid_op 0
		.amdhsa_exception_fp_denorm_src 0
		.amdhsa_exception_fp_ieee_div_zero 0
		.amdhsa_exception_fp_ieee_overflow 0
		.amdhsa_exception_fp_ieee_underflow 0
		.amdhsa_exception_fp_ieee_inexact 0
		.amdhsa_exception_int_div_zero 0
	.end_amdhsa_kernel
	.section	.text._ZN7rocprim17ROCPRIM_400000_NS6detail17trampoline_kernelINS0_14default_configENS1_38merge_sort_block_merge_config_selectorIyNS0_10empty_typeEEEZZNS1_27merge_sort_block_merge_implIS3_N6thrust23THRUST_200600_302600_NS6detail15normal_iteratorINS9_10device_ptrIyEEEEPS5_jNS1_19radix_merge_compareILb0ELb0EyNS0_19identity_decomposerEEEEE10hipError_tT0_T1_T2_jT3_P12ihipStream_tbPNSt15iterator_traitsISK_E10value_typeEPNSQ_ISL_E10value_typeEPSM_NS1_7vsmem_tEENKUlT_SK_SL_SM_E_clISE_PySF_SF_EESJ_SZ_SK_SL_SM_EUlSZ_E_NS1_11comp_targetILNS1_3genE8ELNS1_11target_archE1030ELNS1_3gpuE2ELNS1_3repE0EEENS1_48merge_mergepath_partition_config_static_selectorELNS0_4arch9wavefront6targetE1EEEvSL_,"axG",@progbits,_ZN7rocprim17ROCPRIM_400000_NS6detail17trampoline_kernelINS0_14default_configENS1_38merge_sort_block_merge_config_selectorIyNS0_10empty_typeEEEZZNS1_27merge_sort_block_merge_implIS3_N6thrust23THRUST_200600_302600_NS6detail15normal_iteratorINS9_10device_ptrIyEEEEPS5_jNS1_19radix_merge_compareILb0ELb0EyNS0_19identity_decomposerEEEEE10hipError_tT0_T1_T2_jT3_P12ihipStream_tbPNSt15iterator_traitsISK_E10value_typeEPNSQ_ISL_E10value_typeEPSM_NS1_7vsmem_tEENKUlT_SK_SL_SM_E_clISE_PySF_SF_EESJ_SZ_SK_SL_SM_EUlSZ_E_NS1_11comp_targetILNS1_3genE8ELNS1_11target_archE1030ELNS1_3gpuE2ELNS1_3repE0EEENS1_48merge_mergepath_partition_config_static_selectorELNS0_4arch9wavefront6targetE1EEEvSL_,comdat
.Lfunc_end755:
	.size	_ZN7rocprim17ROCPRIM_400000_NS6detail17trampoline_kernelINS0_14default_configENS1_38merge_sort_block_merge_config_selectorIyNS0_10empty_typeEEEZZNS1_27merge_sort_block_merge_implIS3_N6thrust23THRUST_200600_302600_NS6detail15normal_iteratorINS9_10device_ptrIyEEEEPS5_jNS1_19radix_merge_compareILb0ELb0EyNS0_19identity_decomposerEEEEE10hipError_tT0_T1_T2_jT3_P12ihipStream_tbPNSt15iterator_traitsISK_E10value_typeEPNSQ_ISL_E10value_typeEPSM_NS1_7vsmem_tEENKUlT_SK_SL_SM_E_clISE_PySF_SF_EESJ_SZ_SK_SL_SM_EUlSZ_E_NS1_11comp_targetILNS1_3genE8ELNS1_11target_archE1030ELNS1_3gpuE2ELNS1_3repE0EEENS1_48merge_mergepath_partition_config_static_selectorELNS0_4arch9wavefront6targetE1EEEvSL_, .Lfunc_end755-_ZN7rocprim17ROCPRIM_400000_NS6detail17trampoline_kernelINS0_14default_configENS1_38merge_sort_block_merge_config_selectorIyNS0_10empty_typeEEEZZNS1_27merge_sort_block_merge_implIS3_N6thrust23THRUST_200600_302600_NS6detail15normal_iteratorINS9_10device_ptrIyEEEEPS5_jNS1_19radix_merge_compareILb0ELb0EyNS0_19identity_decomposerEEEEE10hipError_tT0_T1_T2_jT3_P12ihipStream_tbPNSt15iterator_traitsISK_E10value_typeEPNSQ_ISL_E10value_typeEPSM_NS1_7vsmem_tEENKUlT_SK_SL_SM_E_clISE_PySF_SF_EESJ_SZ_SK_SL_SM_EUlSZ_E_NS1_11comp_targetILNS1_3genE8ELNS1_11target_archE1030ELNS1_3gpuE2ELNS1_3repE0EEENS1_48merge_mergepath_partition_config_static_selectorELNS0_4arch9wavefront6targetE1EEEvSL_
                                        ; -- End function
	.section	.AMDGPU.csdata,"",@progbits
; Kernel info:
; codeLenInByte = 0
; NumSgprs: 6
; NumVgprs: 0
; NumAgprs: 0
; TotalNumVgprs: 0
; ScratchSize: 0
; MemoryBound: 0
; FloatMode: 240
; IeeeMode: 1
; LDSByteSize: 0 bytes/workgroup (compile time only)
; SGPRBlocks: 0
; VGPRBlocks: 0
; NumSGPRsForWavesPerEU: 6
; NumVGPRsForWavesPerEU: 1
; AccumOffset: 4
; Occupancy: 8
; WaveLimiterHint : 0
; COMPUTE_PGM_RSRC2:SCRATCH_EN: 0
; COMPUTE_PGM_RSRC2:USER_SGPR: 2
; COMPUTE_PGM_RSRC2:TRAP_HANDLER: 0
; COMPUTE_PGM_RSRC2:TGID_X_EN: 1
; COMPUTE_PGM_RSRC2:TGID_Y_EN: 0
; COMPUTE_PGM_RSRC2:TGID_Z_EN: 0
; COMPUTE_PGM_RSRC2:TIDIG_COMP_CNT: 0
; COMPUTE_PGM_RSRC3_GFX90A:ACCUM_OFFSET: 0
; COMPUTE_PGM_RSRC3_GFX90A:TG_SPLIT: 0
	.section	.text._ZN7rocprim17ROCPRIM_400000_NS6detail17trampoline_kernelINS0_14default_configENS1_38merge_sort_block_merge_config_selectorIyNS0_10empty_typeEEEZZNS1_27merge_sort_block_merge_implIS3_N6thrust23THRUST_200600_302600_NS6detail15normal_iteratorINS9_10device_ptrIyEEEEPS5_jNS1_19radix_merge_compareILb0ELb0EyNS0_19identity_decomposerEEEEE10hipError_tT0_T1_T2_jT3_P12ihipStream_tbPNSt15iterator_traitsISK_E10value_typeEPNSQ_ISL_E10value_typeEPSM_NS1_7vsmem_tEENKUlT_SK_SL_SM_E_clISE_PySF_SF_EESJ_SZ_SK_SL_SM_EUlSZ_E0_NS1_11comp_targetILNS1_3genE0ELNS1_11target_archE4294967295ELNS1_3gpuE0ELNS1_3repE0EEENS1_38merge_mergepath_config_static_selectorELNS0_4arch9wavefront6targetE1EEEvSL_,"axG",@progbits,_ZN7rocprim17ROCPRIM_400000_NS6detail17trampoline_kernelINS0_14default_configENS1_38merge_sort_block_merge_config_selectorIyNS0_10empty_typeEEEZZNS1_27merge_sort_block_merge_implIS3_N6thrust23THRUST_200600_302600_NS6detail15normal_iteratorINS9_10device_ptrIyEEEEPS5_jNS1_19radix_merge_compareILb0ELb0EyNS0_19identity_decomposerEEEEE10hipError_tT0_T1_T2_jT3_P12ihipStream_tbPNSt15iterator_traitsISK_E10value_typeEPNSQ_ISL_E10value_typeEPSM_NS1_7vsmem_tEENKUlT_SK_SL_SM_E_clISE_PySF_SF_EESJ_SZ_SK_SL_SM_EUlSZ_E0_NS1_11comp_targetILNS1_3genE0ELNS1_11target_archE4294967295ELNS1_3gpuE0ELNS1_3repE0EEENS1_38merge_mergepath_config_static_selectorELNS0_4arch9wavefront6targetE1EEEvSL_,comdat
	.protected	_ZN7rocprim17ROCPRIM_400000_NS6detail17trampoline_kernelINS0_14default_configENS1_38merge_sort_block_merge_config_selectorIyNS0_10empty_typeEEEZZNS1_27merge_sort_block_merge_implIS3_N6thrust23THRUST_200600_302600_NS6detail15normal_iteratorINS9_10device_ptrIyEEEEPS5_jNS1_19radix_merge_compareILb0ELb0EyNS0_19identity_decomposerEEEEE10hipError_tT0_T1_T2_jT3_P12ihipStream_tbPNSt15iterator_traitsISK_E10value_typeEPNSQ_ISL_E10value_typeEPSM_NS1_7vsmem_tEENKUlT_SK_SL_SM_E_clISE_PySF_SF_EESJ_SZ_SK_SL_SM_EUlSZ_E0_NS1_11comp_targetILNS1_3genE0ELNS1_11target_archE4294967295ELNS1_3gpuE0ELNS1_3repE0EEENS1_38merge_mergepath_config_static_selectorELNS0_4arch9wavefront6targetE1EEEvSL_ ; -- Begin function _ZN7rocprim17ROCPRIM_400000_NS6detail17trampoline_kernelINS0_14default_configENS1_38merge_sort_block_merge_config_selectorIyNS0_10empty_typeEEEZZNS1_27merge_sort_block_merge_implIS3_N6thrust23THRUST_200600_302600_NS6detail15normal_iteratorINS9_10device_ptrIyEEEEPS5_jNS1_19radix_merge_compareILb0ELb0EyNS0_19identity_decomposerEEEEE10hipError_tT0_T1_T2_jT3_P12ihipStream_tbPNSt15iterator_traitsISK_E10value_typeEPNSQ_ISL_E10value_typeEPSM_NS1_7vsmem_tEENKUlT_SK_SL_SM_E_clISE_PySF_SF_EESJ_SZ_SK_SL_SM_EUlSZ_E0_NS1_11comp_targetILNS1_3genE0ELNS1_11target_archE4294967295ELNS1_3gpuE0ELNS1_3repE0EEENS1_38merge_mergepath_config_static_selectorELNS0_4arch9wavefront6targetE1EEEvSL_
	.globl	_ZN7rocprim17ROCPRIM_400000_NS6detail17trampoline_kernelINS0_14default_configENS1_38merge_sort_block_merge_config_selectorIyNS0_10empty_typeEEEZZNS1_27merge_sort_block_merge_implIS3_N6thrust23THRUST_200600_302600_NS6detail15normal_iteratorINS9_10device_ptrIyEEEEPS5_jNS1_19radix_merge_compareILb0ELb0EyNS0_19identity_decomposerEEEEE10hipError_tT0_T1_T2_jT3_P12ihipStream_tbPNSt15iterator_traitsISK_E10value_typeEPNSQ_ISL_E10value_typeEPSM_NS1_7vsmem_tEENKUlT_SK_SL_SM_E_clISE_PySF_SF_EESJ_SZ_SK_SL_SM_EUlSZ_E0_NS1_11comp_targetILNS1_3genE0ELNS1_11target_archE4294967295ELNS1_3gpuE0ELNS1_3repE0EEENS1_38merge_mergepath_config_static_selectorELNS0_4arch9wavefront6targetE1EEEvSL_
	.p2align	8
	.type	_ZN7rocprim17ROCPRIM_400000_NS6detail17trampoline_kernelINS0_14default_configENS1_38merge_sort_block_merge_config_selectorIyNS0_10empty_typeEEEZZNS1_27merge_sort_block_merge_implIS3_N6thrust23THRUST_200600_302600_NS6detail15normal_iteratorINS9_10device_ptrIyEEEEPS5_jNS1_19radix_merge_compareILb0ELb0EyNS0_19identity_decomposerEEEEE10hipError_tT0_T1_T2_jT3_P12ihipStream_tbPNSt15iterator_traitsISK_E10value_typeEPNSQ_ISL_E10value_typeEPSM_NS1_7vsmem_tEENKUlT_SK_SL_SM_E_clISE_PySF_SF_EESJ_SZ_SK_SL_SM_EUlSZ_E0_NS1_11comp_targetILNS1_3genE0ELNS1_11target_archE4294967295ELNS1_3gpuE0ELNS1_3repE0EEENS1_38merge_mergepath_config_static_selectorELNS0_4arch9wavefront6targetE1EEEvSL_,@function
_ZN7rocprim17ROCPRIM_400000_NS6detail17trampoline_kernelINS0_14default_configENS1_38merge_sort_block_merge_config_selectorIyNS0_10empty_typeEEEZZNS1_27merge_sort_block_merge_implIS3_N6thrust23THRUST_200600_302600_NS6detail15normal_iteratorINS9_10device_ptrIyEEEEPS5_jNS1_19radix_merge_compareILb0ELb0EyNS0_19identity_decomposerEEEEE10hipError_tT0_T1_T2_jT3_P12ihipStream_tbPNSt15iterator_traitsISK_E10value_typeEPNSQ_ISL_E10value_typeEPSM_NS1_7vsmem_tEENKUlT_SK_SL_SM_E_clISE_PySF_SF_EESJ_SZ_SK_SL_SM_EUlSZ_E0_NS1_11comp_targetILNS1_3genE0ELNS1_11target_archE4294967295ELNS1_3gpuE0ELNS1_3repE0EEENS1_38merge_mergepath_config_static_selectorELNS0_4arch9wavefront6targetE1EEEvSL_: ; @_ZN7rocprim17ROCPRIM_400000_NS6detail17trampoline_kernelINS0_14default_configENS1_38merge_sort_block_merge_config_selectorIyNS0_10empty_typeEEEZZNS1_27merge_sort_block_merge_implIS3_N6thrust23THRUST_200600_302600_NS6detail15normal_iteratorINS9_10device_ptrIyEEEEPS5_jNS1_19radix_merge_compareILb0ELb0EyNS0_19identity_decomposerEEEEE10hipError_tT0_T1_T2_jT3_P12ihipStream_tbPNSt15iterator_traitsISK_E10value_typeEPNSQ_ISL_E10value_typeEPSM_NS1_7vsmem_tEENKUlT_SK_SL_SM_E_clISE_PySF_SF_EESJ_SZ_SK_SL_SM_EUlSZ_E0_NS1_11comp_targetILNS1_3genE0ELNS1_11target_archE4294967295ELNS1_3gpuE0ELNS1_3repE0EEENS1_38merge_mergepath_config_static_selectorELNS0_4arch9wavefront6targetE1EEEvSL_
; %bb.0:
	.section	.rodata,"a",@progbits
	.p2align	6, 0x0
	.amdhsa_kernel _ZN7rocprim17ROCPRIM_400000_NS6detail17trampoline_kernelINS0_14default_configENS1_38merge_sort_block_merge_config_selectorIyNS0_10empty_typeEEEZZNS1_27merge_sort_block_merge_implIS3_N6thrust23THRUST_200600_302600_NS6detail15normal_iteratorINS9_10device_ptrIyEEEEPS5_jNS1_19radix_merge_compareILb0ELb0EyNS0_19identity_decomposerEEEEE10hipError_tT0_T1_T2_jT3_P12ihipStream_tbPNSt15iterator_traitsISK_E10value_typeEPNSQ_ISL_E10value_typeEPSM_NS1_7vsmem_tEENKUlT_SK_SL_SM_E_clISE_PySF_SF_EESJ_SZ_SK_SL_SM_EUlSZ_E0_NS1_11comp_targetILNS1_3genE0ELNS1_11target_archE4294967295ELNS1_3gpuE0ELNS1_3repE0EEENS1_38merge_mergepath_config_static_selectorELNS0_4arch9wavefront6targetE1EEEvSL_
		.amdhsa_group_segment_fixed_size 0
		.amdhsa_private_segment_fixed_size 0
		.amdhsa_kernarg_size 64
		.amdhsa_user_sgpr_count 2
		.amdhsa_user_sgpr_dispatch_ptr 0
		.amdhsa_user_sgpr_queue_ptr 0
		.amdhsa_user_sgpr_kernarg_segment_ptr 1
		.amdhsa_user_sgpr_dispatch_id 0
		.amdhsa_user_sgpr_kernarg_preload_length 0
		.amdhsa_user_sgpr_kernarg_preload_offset 0
		.amdhsa_user_sgpr_private_segment_size 0
		.amdhsa_uses_dynamic_stack 0
		.amdhsa_enable_private_segment 0
		.amdhsa_system_sgpr_workgroup_id_x 1
		.amdhsa_system_sgpr_workgroup_id_y 0
		.amdhsa_system_sgpr_workgroup_id_z 0
		.amdhsa_system_sgpr_workgroup_info 0
		.amdhsa_system_vgpr_workitem_id 0
		.amdhsa_next_free_vgpr 1
		.amdhsa_next_free_sgpr 0
		.amdhsa_accum_offset 4
		.amdhsa_reserve_vcc 0
		.amdhsa_float_round_mode_32 0
		.amdhsa_float_round_mode_16_64 0
		.amdhsa_float_denorm_mode_32 3
		.amdhsa_float_denorm_mode_16_64 3
		.amdhsa_dx10_clamp 1
		.amdhsa_ieee_mode 1
		.amdhsa_fp16_overflow 0
		.amdhsa_tg_split 0
		.amdhsa_exception_fp_ieee_invalid_op 0
		.amdhsa_exception_fp_denorm_src 0
		.amdhsa_exception_fp_ieee_div_zero 0
		.amdhsa_exception_fp_ieee_overflow 0
		.amdhsa_exception_fp_ieee_underflow 0
		.amdhsa_exception_fp_ieee_inexact 0
		.amdhsa_exception_int_div_zero 0
	.end_amdhsa_kernel
	.section	.text._ZN7rocprim17ROCPRIM_400000_NS6detail17trampoline_kernelINS0_14default_configENS1_38merge_sort_block_merge_config_selectorIyNS0_10empty_typeEEEZZNS1_27merge_sort_block_merge_implIS3_N6thrust23THRUST_200600_302600_NS6detail15normal_iteratorINS9_10device_ptrIyEEEEPS5_jNS1_19radix_merge_compareILb0ELb0EyNS0_19identity_decomposerEEEEE10hipError_tT0_T1_T2_jT3_P12ihipStream_tbPNSt15iterator_traitsISK_E10value_typeEPNSQ_ISL_E10value_typeEPSM_NS1_7vsmem_tEENKUlT_SK_SL_SM_E_clISE_PySF_SF_EESJ_SZ_SK_SL_SM_EUlSZ_E0_NS1_11comp_targetILNS1_3genE0ELNS1_11target_archE4294967295ELNS1_3gpuE0ELNS1_3repE0EEENS1_38merge_mergepath_config_static_selectorELNS0_4arch9wavefront6targetE1EEEvSL_,"axG",@progbits,_ZN7rocprim17ROCPRIM_400000_NS6detail17trampoline_kernelINS0_14default_configENS1_38merge_sort_block_merge_config_selectorIyNS0_10empty_typeEEEZZNS1_27merge_sort_block_merge_implIS3_N6thrust23THRUST_200600_302600_NS6detail15normal_iteratorINS9_10device_ptrIyEEEEPS5_jNS1_19radix_merge_compareILb0ELb0EyNS0_19identity_decomposerEEEEE10hipError_tT0_T1_T2_jT3_P12ihipStream_tbPNSt15iterator_traitsISK_E10value_typeEPNSQ_ISL_E10value_typeEPSM_NS1_7vsmem_tEENKUlT_SK_SL_SM_E_clISE_PySF_SF_EESJ_SZ_SK_SL_SM_EUlSZ_E0_NS1_11comp_targetILNS1_3genE0ELNS1_11target_archE4294967295ELNS1_3gpuE0ELNS1_3repE0EEENS1_38merge_mergepath_config_static_selectorELNS0_4arch9wavefront6targetE1EEEvSL_,comdat
.Lfunc_end756:
	.size	_ZN7rocprim17ROCPRIM_400000_NS6detail17trampoline_kernelINS0_14default_configENS1_38merge_sort_block_merge_config_selectorIyNS0_10empty_typeEEEZZNS1_27merge_sort_block_merge_implIS3_N6thrust23THRUST_200600_302600_NS6detail15normal_iteratorINS9_10device_ptrIyEEEEPS5_jNS1_19radix_merge_compareILb0ELb0EyNS0_19identity_decomposerEEEEE10hipError_tT0_T1_T2_jT3_P12ihipStream_tbPNSt15iterator_traitsISK_E10value_typeEPNSQ_ISL_E10value_typeEPSM_NS1_7vsmem_tEENKUlT_SK_SL_SM_E_clISE_PySF_SF_EESJ_SZ_SK_SL_SM_EUlSZ_E0_NS1_11comp_targetILNS1_3genE0ELNS1_11target_archE4294967295ELNS1_3gpuE0ELNS1_3repE0EEENS1_38merge_mergepath_config_static_selectorELNS0_4arch9wavefront6targetE1EEEvSL_, .Lfunc_end756-_ZN7rocprim17ROCPRIM_400000_NS6detail17trampoline_kernelINS0_14default_configENS1_38merge_sort_block_merge_config_selectorIyNS0_10empty_typeEEEZZNS1_27merge_sort_block_merge_implIS3_N6thrust23THRUST_200600_302600_NS6detail15normal_iteratorINS9_10device_ptrIyEEEEPS5_jNS1_19radix_merge_compareILb0ELb0EyNS0_19identity_decomposerEEEEE10hipError_tT0_T1_T2_jT3_P12ihipStream_tbPNSt15iterator_traitsISK_E10value_typeEPNSQ_ISL_E10value_typeEPSM_NS1_7vsmem_tEENKUlT_SK_SL_SM_E_clISE_PySF_SF_EESJ_SZ_SK_SL_SM_EUlSZ_E0_NS1_11comp_targetILNS1_3genE0ELNS1_11target_archE4294967295ELNS1_3gpuE0ELNS1_3repE0EEENS1_38merge_mergepath_config_static_selectorELNS0_4arch9wavefront6targetE1EEEvSL_
                                        ; -- End function
	.section	.AMDGPU.csdata,"",@progbits
; Kernel info:
; codeLenInByte = 0
; NumSgprs: 6
; NumVgprs: 0
; NumAgprs: 0
; TotalNumVgprs: 0
; ScratchSize: 0
; MemoryBound: 0
; FloatMode: 240
; IeeeMode: 1
; LDSByteSize: 0 bytes/workgroup (compile time only)
; SGPRBlocks: 0
; VGPRBlocks: 0
; NumSGPRsForWavesPerEU: 6
; NumVGPRsForWavesPerEU: 1
; AccumOffset: 4
; Occupancy: 8
; WaveLimiterHint : 0
; COMPUTE_PGM_RSRC2:SCRATCH_EN: 0
; COMPUTE_PGM_RSRC2:USER_SGPR: 2
; COMPUTE_PGM_RSRC2:TRAP_HANDLER: 0
; COMPUTE_PGM_RSRC2:TGID_X_EN: 1
; COMPUTE_PGM_RSRC2:TGID_Y_EN: 0
; COMPUTE_PGM_RSRC2:TGID_Z_EN: 0
; COMPUTE_PGM_RSRC2:TIDIG_COMP_CNT: 0
; COMPUTE_PGM_RSRC3_GFX90A:ACCUM_OFFSET: 0
; COMPUTE_PGM_RSRC3_GFX90A:TG_SPLIT: 0
	.section	.text._ZN7rocprim17ROCPRIM_400000_NS6detail17trampoline_kernelINS0_14default_configENS1_38merge_sort_block_merge_config_selectorIyNS0_10empty_typeEEEZZNS1_27merge_sort_block_merge_implIS3_N6thrust23THRUST_200600_302600_NS6detail15normal_iteratorINS9_10device_ptrIyEEEEPS5_jNS1_19radix_merge_compareILb0ELb0EyNS0_19identity_decomposerEEEEE10hipError_tT0_T1_T2_jT3_P12ihipStream_tbPNSt15iterator_traitsISK_E10value_typeEPNSQ_ISL_E10value_typeEPSM_NS1_7vsmem_tEENKUlT_SK_SL_SM_E_clISE_PySF_SF_EESJ_SZ_SK_SL_SM_EUlSZ_E0_NS1_11comp_targetILNS1_3genE10ELNS1_11target_archE1201ELNS1_3gpuE5ELNS1_3repE0EEENS1_38merge_mergepath_config_static_selectorELNS0_4arch9wavefront6targetE1EEEvSL_,"axG",@progbits,_ZN7rocprim17ROCPRIM_400000_NS6detail17trampoline_kernelINS0_14default_configENS1_38merge_sort_block_merge_config_selectorIyNS0_10empty_typeEEEZZNS1_27merge_sort_block_merge_implIS3_N6thrust23THRUST_200600_302600_NS6detail15normal_iteratorINS9_10device_ptrIyEEEEPS5_jNS1_19radix_merge_compareILb0ELb0EyNS0_19identity_decomposerEEEEE10hipError_tT0_T1_T2_jT3_P12ihipStream_tbPNSt15iterator_traitsISK_E10value_typeEPNSQ_ISL_E10value_typeEPSM_NS1_7vsmem_tEENKUlT_SK_SL_SM_E_clISE_PySF_SF_EESJ_SZ_SK_SL_SM_EUlSZ_E0_NS1_11comp_targetILNS1_3genE10ELNS1_11target_archE1201ELNS1_3gpuE5ELNS1_3repE0EEENS1_38merge_mergepath_config_static_selectorELNS0_4arch9wavefront6targetE1EEEvSL_,comdat
	.protected	_ZN7rocprim17ROCPRIM_400000_NS6detail17trampoline_kernelINS0_14default_configENS1_38merge_sort_block_merge_config_selectorIyNS0_10empty_typeEEEZZNS1_27merge_sort_block_merge_implIS3_N6thrust23THRUST_200600_302600_NS6detail15normal_iteratorINS9_10device_ptrIyEEEEPS5_jNS1_19radix_merge_compareILb0ELb0EyNS0_19identity_decomposerEEEEE10hipError_tT0_T1_T2_jT3_P12ihipStream_tbPNSt15iterator_traitsISK_E10value_typeEPNSQ_ISL_E10value_typeEPSM_NS1_7vsmem_tEENKUlT_SK_SL_SM_E_clISE_PySF_SF_EESJ_SZ_SK_SL_SM_EUlSZ_E0_NS1_11comp_targetILNS1_3genE10ELNS1_11target_archE1201ELNS1_3gpuE5ELNS1_3repE0EEENS1_38merge_mergepath_config_static_selectorELNS0_4arch9wavefront6targetE1EEEvSL_ ; -- Begin function _ZN7rocprim17ROCPRIM_400000_NS6detail17trampoline_kernelINS0_14default_configENS1_38merge_sort_block_merge_config_selectorIyNS0_10empty_typeEEEZZNS1_27merge_sort_block_merge_implIS3_N6thrust23THRUST_200600_302600_NS6detail15normal_iteratorINS9_10device_ptrIyEEEEPS5_jNS1_19radix_merge_compareILb0ELb0EyNS0_19identity_decomposerEEEEE10hipError_tT0_T1_T2_jT3_P12ihipStream_tbPNSt15iterator_traitsISK_E10value_typeEPNSQ_ISL_E10value_typeEPSM_NS1_7vsmem_tEENKUlT_SK_SL_SM_E_clISE_PySF_SF_EESJ_SZ_SK_SL_SM_EUlSZ_E0_NS1_11comp_targetILNS1_3genE10ELNS1_11target_archE1201ELNS1_3gpuE5ELNS1_3repE0EEENS1_38merge_mergepath_config_static_selectorELNS0_4arch9wavefront6targetE1EEEvSL_
	.globl	_ZN7rocprim17ROCPRIM_400000_NS6detail17trampoline_kernelINS0_14default_configENS1_38merge_sort_block_merge_config_selectorIyNS0_10empty_typeEEEZZNS1_27merge_sort_block_merge_implIS3_N6thrust23THRUST_200600_302600_NS6detail15normal_iteratorINS9_10device_ptrIyEEEEPS5_jNS1_19radix_merge_compareILb0ELb0EyNS0_19identity_decomposerEEEEE10hipError_tT0_T1_T2_jT3_P12ihipStream_tbPNSt15iterator_traitsISK_E10value_typeEPNSQ_ISL_E10value_typeEPSM_NS1_7vsmem_tEENKUlT_SK_SL_SM_E_clISE_PySF_SF_EESJ_SZ_SK_SL_SM_EUlSZ_E0_NS1_11comp_targetILNS1_3genE10ELNS1_11target_archE1201ELNS1_3gpuE5ELNS1_3repE0EEENS1_38merge_mergepath_config_static_selectorELNS0_4arch9wavefront6targetE1EEEvSL_
	.p2align	8
	.type	_ZN7rocprim17ROCPRIM_400000_NS6detail17trampoline_kernelINS0_14default_configENS1_38merge_sort_block_merge_config_selectorIyNS0_10empty_typeEEEZZNS1_27merge_sort_block_merge_implIS3_N6thrust23THRUST_200600_302600_NS6detail15normal_iteratorINS9_10device_ptrIyEEEEPS5_jNS1_19radix_merge_compareILb0ELb0EyNS0_19identity_decomposerEEEEE10hipError_tT0_T1_T2_jT3_P12ihipStream_tbPNSt15iterator_traitsISK_E10value_typeEPNSQ_ISL_E10value_typeEPSM_NS1_7vsmem_tEENKUlT_SK_SL_SM_E_clISE_PySF_SF_EESJ_SZ_SK_SL_SM_EUlSZ_E0_NS1_11comp_targetILNS1_3genE10ELNS1_11target_archE1201ELNS1_3gpuE5ELNS1_3repE0EEENS1_38merge_mergepath_config_static_selectorELNS0_4arch9wavefront6targetE1EEEvSL_,@function
_ZN7rocprim17ROCPRIM_400000_NS6detail17trampoline_kernelINS0_14default_configENS1_38merge_sort_block_merge_config_selectorIyNS0_10empty_typeEEEZZNS1_27merge_sort_block_merge_implIS3_N6thrust23THRUST_200600_302600_NS6detail15normal_iteratorINS9_10device_ptrIyEEEEPS5_jNS1_19radix_merge_compareILb0ELb0EyNS0_19identity_decomposerEEEEE10hipError_tT0_T1_T2_jT3_P12ihipStream_tbPNSt15iterator_traitsISK_E10value_typeEPNSQ_ISL_E10value_typeEPSM_NS1_7vsmem_tEENKUlT_SK_SL_SM_E_clISE_PySF_SF_EESJ_SZ_SK_SL_SM_EUlSZ_E0_NS1_11comp_targetILNS1_3genE10ELNS1_11target_archE1201ELNS1_3gpuE5ELNS1_3repE0EEENS1_38merge_mergepath_config_static_selectorELNS0_4arch9wavefront6targetE1EEEvSL_: ; @_ZN7rocprim17ROCPRIM_400000_NS6detail17trampoline_kernelINS0_14default_configENS1_38merge_sort_block_merge_config_selectorIyNS0_10empty_typeEEEZZNS1_27merge_sort_block_merge_implIS3_N6thrust23THRUST_200600_302600_NS6detail15normal_iteratorINS9_10device_ptrIyEEEEPS5_jNS1_19radix_merge_compareILb0ELb0EyNS0_19identity_decomposerEEEEE10hipError_tT0_T1_T2_jT3_P12ihipStream_tbPNSt15iterator_traitsISK_E10value_typeEPNSQ_ISL_E10value_typeEPSM_NS1_7vsmem_tEENKUlT_SK_SL_SM_E_clISE_PySF_SF_EESJ_SZ_SK_SL_SM_EUlSZ_E0_NS1_11comp_targetILNS1_3genE10ELNS1_11target_archE1201ELNS1_3gpuE5ELNS1_3repE0EEENS1_38merge_mergepath_config_static_selectorELNS0_4arch9wavefront6targetE1EEEvSL_
; %bb.0:
	.section	.rodata,"a",@progbits
	.p2align	6, 0x0
	.amdhsa_kernel _ZN7rocprim17ROCPRIM_400000_NS6detail17trampoline_kernelINS0_14default_configENS1_38merge_sort_block_merge_config_selectorIyNS0_10empty_typeEEEZZNS1_27merge_sort_block_merge_implIS3_N6thrust23THRUST_200600_302600_NS6detail15normal_iteratorINS9_10device_ptrIyEEEEPS5_jNS1_19radix_merge_compareILb0ELb0EyNS0_19identity_decomposerEEEEE10hipError_tT0_T1_T2_jT3_P12ihipStream_tbPNSt15iterator_traitsISK_E10value_typeEPNSQ_ISL_E10value_typeEPSM_NS1_7vsmem_tEENKUlT_SK_SL_SM_E_clISE_PySF_SF_EESJ_SZ_SK_SL_SM_EUlSZ_E0_NS1_11comp_targetILNS1_3genE10ELNS1_11target_archE1201ELNS1_3gpuE5ELNS1_3repE0EEENS1_38merge_mergepath_config_static_selectorELNS0_4arch9wavefront6targetE1EEEvSL_
		.amdhsa_group_segment_fixed_size 0
		.amdhsa_private_segment_fixed_size 0
		.amdhsa_kernarg_size 64
		.amdhsa_user_sgpr_count 2
		.amdhsa_user_sgpr_dispatch_ptr 0
		.amdhsa_user_sgpr_queue_ptr 0
		.amdhsa_user_sgpr_kernarg_segment_ptr 1
		.amdhsa_user_sgpr_dispatch_id 0
		.amdhsa_user_sgpr_kernarg_preload_length 0
		.amdhsa_user_sgpr_kernarg_preload_offset 0
		.amdhsa_user_sgpr_private_segment_size 0
		.amdhsa_uses_dynamic_stack 0
		.amdhsa_enable_private_segment 0
		.amdhsa_system_sgpr_workgroup_id_x 1
		.amdhsa_system_sgpr_workgroup_id_y 0
		.amdhsa_system_sgpr_workgroup_id_z 0
		.amdhsa_system_sgpr_workgroup_info 0
		.amdhsa_system_vgpr_workitem_id 0
		.amdhsa_next_free_vgpr 1
		.amdhsa_next_free_sgpr 0
		.amdhsa_accum_offset 4
		.amdhsa_reserve_vcc 0
		.amdhsa_float_round_mode_32 0
		.amdhsa_float_round_mode_16_64 0
		.amdhsa_float_denorm_mode_32 3
		.amdhsa_float_denorm_mode_16_64 3
		.amdhsa_dx10_clamp 1
		.amdhsa_ieee_mode 1
		.amdhsa_fp16_overflow 0
		.amdhsa_tg_split 0
		.amdhsa_exception_fp_ieee_invalid_op 0
		.amdhsa_exception_fp_denorm_src 0
		.amdhsa_exception_fp_ieee_div_zero 0
		.amdhsa_exception_fp_ieee_overflow 0
		.amdhsa_exception_fp_ieee_underflow 0
		.amdhsa_exception_fp_ieee_inexact 0
		.amdhsa_exception_int_div_zero 0
	.end_amdhsa_kernel
	.section	.text._ZN7rocprim17ROCPRIM_400000_NS6detail17trampoline_kernelINS0_14default_configENS1_38merge_sort_block_merge_config_selectorIyNS0_10empty_typeEEEZZNS1_27merge_sort_block_merge_implIS3_N6thrust23THRUST_200600_302600_NS6detail15normal_iteratorINS9_10device_ptrIyEEEEPS5_jNS1_19radix_merge_compareILb0ELb0EyNS0_19identity_decomposerEEEEE10hipError_tT0_T1_T2_jT3_P12ihipStream_tbPNSt15iterator_traitsISK_E10value_typeEPNSQ_ISL_E10value_typeEPSM_NS1_7vsmem_tEENKUlT_SK_SL_SM_E_clISE_PySF_SF_EESJ_SZ_SK_SL_SM_EUlSZ_E0_NS1_11comp_targetILNS1_3genE10ELNS1_11target_archE1201ELNS1_3gpuE5ELNS1_3repE0EEENS1_38merge_mergepath_config_static_selectorELNS0_4arch9wavefront6targetE1EEEvSL_,"axG",@progbits,_ZN7rocprim17ROCPRIM_400000_NS6detail17trampoline_kernelINS0_14default_configENS1_38merge_sort_block_merge_config_selectorIyNS0_10empty_typeEEEZZNS1_27merge_sort_block_merge_implIS3_N6thrust23THRUST_200600_302600_NS6detail15normal_iteratorINS9_10device_ptrIyEEEEPS5_jNS1_19radix_merge_compareILb0ELb0EyNS0_19identity_decomposerEEEEE10hipError_tT0_T1_T2_jT3_P12ihipStream_tbPNSt15iterator_traitsISK_E10value_typeEPNSQ_ISL_E10value_typeEPSM_NS1_7vsmem_tEENKUlT_SK_SL_SM_E_clISE_PySF_SF_EESJ_SZ_SK_SL_SM_EUlSZ_E0_NS1_11comp_targetILNS1_3genE10ELNS1_11target_archE1201ELNS1_3gpuE5ELNS1_3repE0EEENS1_38merge_mergepath_config_static_selectorELNS0_4arch9wavefront6targetE1EEEvSL_,comdat
.Lfunc_end757:
	.size	_ZN7rocprim17ROCPRIM_400000_NS6detail17trampoline_kernelINS0_14default_configENS1_38merge_sort_block_merge_config_selectorIyNS0_10empty_typeEEEZZNS1_27merge_sort_block_merge_implIS3_N6thrust23THRUST_200600_302600_NS6detail15normal_iteratorINS9_10device_ptrIyEEEEPS5_jNS1_19radix_merge_compareILb0ELb0EyNS0_19identity_decomposerEEEEE10hipError_tT0_T1_T2_jT3_P12ihipStream_tbPNSt15iterator_traitsISK_E10value_typeEPNSQ_ISL_E10value_typeEPSM_NS1_7vsmem_tEENKUlT_SK_SL_SM_E_clISE_PySF_SF_EESJ_SZ_SK_SL_SM_EUlSZ_E0_NS1_11comp_targetILNS1_3genE10ELNS1_11target_archE1201ELNS1_3gpuE5ELNS1_3repE0EEENS1_38merge_mergepath_config_static_selectorELNS0_4arch9wavefront6targetE1EEEvSL_, .Lfunc_end757-_ZN7rocprim17ROCPRIM_400000_NS6detail17trampoline_kernelINS0_14default_configENS1_38merge_sort_block_merge_config_selectorIyNS0_10empty_typeEEEZZNS1_27merge_sort_block_merge_implIS3_N6thrust23THRUST_200600_302600_NS6detail15normal_iteratorINS9_10device_ptrIyEEEEPS5_jNS1_19radix_merge_compareILb0ELb0EyNS0_19identity_decomposerEEEEE10hipError_tT0_T1_T2_jT3_P12ihipStream_tbPNSt15iterator_traitsISK_E10value_typeEPNSQ_ISL_E10value_typeEPSM_NS1_7vsmem_tEENKUlT_SK_SL_SM_E_clISE_PySF_SF_EESJ_SZ_SK_SL_SM_EUlSZ_E0_NS1_11comp_targetILNS1_3genE10ELNS1_11target_archE1201ELNS1_3gpuE5ELNS1_3repE0EEENS1_38merge_mergepath_config_static_selectorELNS0_4arch9wavefront6targetE1EEEvSL_
                                        ; -- End function
	.section	.AMDGPU.csdata,"",@progbits
; Kernel info:
; codeLenInByte = 0
; NumSgprs: 6
; NumVgprs: 0
; NumAgprs: 0
; TotalNumVgprs: 0
; ScratchSize: 0
; MemoryBound: 0
; FloatMode: 240
; IeeeMode: 1
; LDSByteSize: 0 bytes/workgroup (compile time only)
; SGPRBlocks: 0
; VGPRBlocks: 0
; NumSGPRsForWavesPerEU: 6
; NumVGPRsForWavesPerEU: 1
; AccumOffset: 4
; Occupancy: 8
; WaveLimiterHint : 0
; COMPUTE_PGM_RSRC2:SCRATCH_EN: 0
; COMPUTE_PGM_RSRC2:USER_SGPR: 2
; COMPUTE_PGM_RSRC2:TRAP_HANDLER: 0
; COMPUTE_PGM_RSRC2:TGID_X_EN: 1
; COMPUTE_PGM_RSRC2:TGID_Y_EN: 0
; COMPUTE_PGM_RSRC2:TGID_Z_EN: 0
; COMPUTE_PGM_RSRC2:TIDIG_COMP_CNT: 0
; COMPUTE_PGM_RSRC3_GFX90A:ACCUM_OFFSET: 0
; COMPUTE_PGM_RSRC3_GFX90A:TG_SPLIT: 0
	.section	.text._ZN7rocprim17ROCPRIM_400000_NS6detail17trampoline_kernelINS0_14default_configENS1_38merge_sort_block_merge_config_selectorIyNS0_10empty_typeEEEZZNS1_27merge_sort_block_merge_implIS3_N6thrust23THRUST_200600_302600_NS6detail15normal_iteratorINS9_10device_ptrIyEEEEPS5_jNS1_19radix_merge_compareILb0ELb0EyNS0_19identity_decomposerEEEEE10hipError_tT0_T1_T2_jT3_P12ihipStream_tbPNSt15iterator_traitsISK_E10value_typeEPNSQ_ISL_E10value_typeEPSM_NS1_7vsmem_tEENKUlT_SK_SL_SM_E_clISE_PySF_SF_EESJ_SZ_SK_SL_SM_EUlSZ_E0_NS1_11comp_targetILNS1_3genE5ELNS1_11target_archE942ELNS1_3gpuE9ELNS1_3repE0EEENS1_38merge_mergepath_config_static_selectorELNS0_4arch9wavefront6targetE1EEEvSL_,"axG",@progbits,_ZN7rocprim17ROCPRIM_400000_NS6detail17trampoline_kernelINS0_14default_configENS1_38merge_sort_block_merge_config_selectorIyNS0_10empty_typeEEEZZNS1_27merge_sort_block_merge_implIS3_N6thrust23THRUST_200600_302600_NS6detail15normal_iteratorINS9_10device_ptrIyEEEEPS5_jNS1_19radix_merge_compareILb0ELb0EyNS0_19identity_decomposerEEEEE10hipError_tT0_T1_T2_jT3_P12ihipStream_tbPNSt15iterator_traitsISK_E10value_typeEPNSQ_ISL_E10value_typeEPSM_NS1_7vsmem_tEENKUlT_SK_SL_SM_E_clISE_PySF_SF_EESJ_SZ_SK_SL_SM_EUlSZ_E0_NS1_11comp_targetILNS1_3genE5ELNS1_11target_archE942ELNS1_3gpuE9ELNS1_3repE0EEENS1_38merge_mergepath_config_static_selectorELNS0_4arch9wavefront6targetE1EEEvSL_,comdat
	.protected	_ZN7rocprim17ROCPRIM_400000_NS6detail17trampoline_kernelINS0_14default_configENS1_38merge_sort_block_merge_config_selectorIyNS0_10empty_typeEEEZZNS1_27merge_sort_block_merge_implIS3_N6thrust23THRUST_200600_302600_NS6detail15normal_iteratorINS9_10device_ptrIyEEEEPS5_jNS1_19radix_merge_compareILb0ELb0EyNS0_19identity_decomposerEEEEE10hipError_tT0_T1_T2_jT3_P12ihipStream_tbPNSt15iterator_traitsISK_E10value_typeEPNSQ_ISL_E10value_typeEPSM_NS1_7vsmem_tEENKUlT_SK_SL_SM_E_clISE_PySF_SF_EESJ_SZ_SK_SL_SM_EUlSZ_E0_NS1_11comp_targetILNS1_3genE5ELNS1_11target_archE942ELNS1_3gpuE9ELNS1_3repE0EEENS1_38merge_mergepath_config_static_selectorELNS0_4arch9wavefront6targetE1EEEvSL_ ; -- Begin function _ZN7rocprim17ROCPRIM_400000_NS6detail17trampoline_kernelINS0_14default_configENS1_38merge_sort_block_merge_config_selectorIyNS0_10empty_typeEEEZZNS1_27merge_sort_block_merge_implIS3_N6thrust23THRUST_200600_302600_NS6detail15normal_iteratorINS9_10device_ptrIyEEEEPS5_jNS1_19radix_merge_compareILb0ELb0EyNS0_19identity_decomposerEEEEE10hipError_tT0_T1_T2_jT3_P12ihipStream_tbPNSt15iterator_traitsISK_E10value_typeEPNSQ_ISL_E10value_typeEPSM_NS1_7vsmem_tEENKUlT_SK_SL_SM_E_clISE_PySF_SF_EESJ_SZ_SK_SL_SM_EUlSZ_E0_NS1_11comp_targetILNS1_3genE5ELNS1_11target_archE942ELNS1_3gpuE9ELNS1_3repE0EEENS1_38merge_mergepath_config_static_selectorELNS0_4arch9wavefront6targetE1EEEvSL_
	.globl	_ZN7rocprim17ROCPRIM_400000_NS6detail17trampoline_kernelINS0_14default_configENS1_38merge_sort_block_merge_config_selectorIyNS0_10empty_typeEEEZZNS1_27merge_sort_block_merge_implIS3_N6thrust23THRUST_200600_302600_NS6detail15normal_iteratorINS9_10device_ptrIyEEEEPS5_jNS1_19radix_merge_compareILb0ELb0EyNS0_19identity_decomposerEEEEE10hipError_tT0_T1_T2_jT3_P12ihipStream_tbPNSt15iterator_traitsISK_E10value_typeEPNSQ_ISL_E10value_typeEPSM_NS1_7vsmem_tEENKUlT_SK_SL_SM_E_clISE_PySF_SF_EESJ_SZ_SK_SL_SM_EUlSZ_E0_NS1_11comp_targetILNS1_3genE5ELNS1_11target_archE942ELNS1_3gpuE9ELNS1_3repE0EEENS1_38merge_mergepath_config_static_selectorELNS0_4arch9wavefront6targetE1EEEvSL_
	.p2align	8
	.type	_ZN7rocprim17ROCPRIM_400000_NS6detail17trampoline_kernelINS0_14default_configENS1_38merge_sort_block_merge_config_selectorIyNS0_10empty_typeEEEZZNS1_27merge_sort_block_merge_implIS3_N6thrust23THRUST_200600_302600_NS6detail15normal_iteratorINS9_10device_ptrIyEEEEPS5_jNS1_19radix_merge_compareILb0ELb0EyNS0_19identity_decomposerEEEEE10hipError_tT0_T1_T2_jT3_P12ihipStream_tbPNSt15iterator_traitsISK_E10value_typeEPNSQ_ISL_E10value_typeEPSM_NS1_7vsmem_tEENKUlT_SK_SL_SM_E_clISE_PySF_SF_EESJ_SZ_SK_SL_SM_EUlSZ_E0_NS1_11comp_targetILNS1_3genE5ELNS1_11target_archE942ELNS1_3gpuE9ELNS1_3repE0EEENS1_38merge_mergepath_config_static_selectorELNS0_4arch9wavefront6targetE1EEEvSL_,@function
_ZN7rocprim17ROCPRIM_400000_NS6detail17trampoline_kernelINS0_14default_configENS1_38merge_sort_block_merge_config_selectorIyNS0_10empty_typeEEEZZNS1_27merge_sort_block_merge_implIS3_N6thrust23THRUST_200600_302600_NS6detail15normal_iteratorINS9_10device_ptrIyEEEEPS5_jNS1_19radix_merge_compareILb0ELb0EyNS0_19identity_decomposerEEEEE10hipError_tT0_T1_T2_jT3_P12ihipStream_tbPNSt15iterator_traitsISK_E10value_typeEPNSQ_ISL_E10value_typeEPSM_NS1_7vsmem_tEENKUlT_SK_SL_SM_E_clISE_PySF_SF_EESJ_SZ_SK_SL_SM_EUlSZ_E0_NS1_11comp_targetILNS1_3genE5ELNS1_11target_archE942ELNS1_3gpuE9ELNS1_3repE0EEENS1_38merge_mergepath_config_static_selectorELNS0_4arch9wavefront6targetE1EEEvSL_: ; @_ZN7rocprim17ROCPRIM_400000_NS6detail17trampoline_kernelINS0_14default_configENS1_38merge_sort_block_merge_config_selectorIyNS0_10empty_typeEEEZZNS1_27merge_sort_block_merge_implIS3_N6thrust23THRUST_200600_302600_NS6detail15normal_iteratorINS9_10device_ptrIyEEEEPS5_jNS1_19radix_merge_compareILb0ELb0EyNS0_19identity_decomposerEEEEE10hipError_tT0_T1_T2_jT3_P12ihipStream_tbPNSt15iterator_traitsISK_E10value_typeEPNSQ_ISL_E10value_typeEPSM_NS1_7vsmem_tEENKUlT_SK_SL_SM_E_clISE_PySF_SF_EESJ_SZ_SK_SL_SM_EUlSZ_E0_NS1_11comp_targetILNS1_3genE5ELNS1_11target_archE942ELNS1_3gpuE9ELNS1_3repE0EEENS1_38merge_mergepath_config_static_selectorELNS0_4arch9wavefront6targetE1EEEvSL_
; %bb.0:
	s_load_dwordx2 s[18:19], s[0:1], 0x40
	s_load_dword s5, s[0:1], 0x30
	s_add_u32 s8, s0, 64
	s_addc_u32 s9, s1, 0
	s_waitcnt lgkmcnt(0)
	s_mul_i32 s4, s19, s4
	s_add_i32 s3, s4, s3
	s_mul_i32 s3, s3, s18
	s_add_i32 s16, s3, s2
	s_cmp_ge_u32 s16, s5
	s_cbranch_scc1 .LBB758_43
; %bb.1:
	s_load_dwordx2 s[10:11], s[0:1], 0x28
	s_load_dwordx2 s[4:5], s[0:1], 0x38
	;; [unrolled: 1-line block ×3, first 2 shown]
	s_mov_b32 s17, 0
	v_mov_b32_e32 v15, 0
	s_waitcnt lgkmcnt(0)
	s_lshr_b32 s19, s10, 10
	s_cmp_lg_u32 s16, s19
	s_cselect_b64 s[14:15], -1, 0
	s_lshl_b64 s[12:13], s[16:17], 2
	s_add_u32 s4, s4, s12
	s_addc_u32 s5, s5, s13
	s_lshr_b32 s3, s11, 9
	s_and_b32 s3, s3, 0x7ffffe
	s_load_dwordx2 s[4:5], s[4:5], 0x0
	s_sub_i32 s3, 0, s3
	s_and_b32 s13, s16, s3
	s_lshl_b32 s21, s13, 10
	s_lshl_b32 s12, s16, 10
	;; [unrolled: 1-line block ×3, first 2 shown]
	s_sub_i32 s20, s12, s21
	s_add_i32 s13, s13, s11
	s_add_i32 s22, s13, s20
	s_waitcnt lgkmcnt(0)
	s_sub_i32 s20, s22, s4
	s_sub_i32 s22, s22, s5
	;; [unrolled: 1-line block ×3, first 2 shown]
	s_min_u32 s20, s10, s20
	s_addk_i32 s22, 0x400
	s_or_b32 s3, s16, s3
	s_min_u32 s21, s10, s13
	s_add_i32 s13, s13, s11
	s_cmp_eq_u32 s3, -1
	s_cselect_b32 s3, s13, s22
	s_cselect_b32 s5, s21, s5
	s_min_u32 s3, s3, s10
	s_sub_i32 s11, s5, s4
	s_mov_b32 s5, s17
	s_sub_i32 s13, s3, s20
	s_lshl_b64 s[4:5], s[4:5], 3
	s_add_u32 s4, s6, s4
	s_mov_b32 s21, s17
	s_addc_u32 s5, s7, s5
	s_lshl_b64 s[20:21], s[20:21], 3
	s_add_u32 s6, s6, s20
	s_addc_u32 s7, s7, s21
	s_cmp_lt_u32 s2, s18
	s_cselect_b32 s2, 12, 18
	global_load_dword v1, v15, s[8:9] offset:14
	s_add_u32 s2, s8, s2
	s_addc_u32 s3, s9, 0
	global_load_ushort v2, v15, s[2:3]
	s_cmp_eq_u32 s16, s19
	v_lshlrev_b32_e32 v18, 3, v0
	s_waitcnt vmcnt(1)
	v_lshrrev_b32_e32 v3, 16, v1
	v_and_b32_e32 v1, 0xffff, v1
	v_mul_lo_u32 v1, v1, v3
	s_waitcnt vmcnt(0)
	v_mul_lo_u32 v1, v1, v2
	v_add_u32_e32 v22, v1, v0
	v_add_u32_e32 v20, v22, v1
	s_cbranch_scc1 .LBB758_3
; %bb.2:
	v_subrev_u32_e32 v14, s11, v0
	v_mov_b32_e32 v19, v15
	v_lshl_add_u64 v[2:3], v[14:15], 3, s[6:7]
	v_lshl_add_u64 v[4:5], s[4:5], 0, v[18:19]
	v_cmp_gt_u32_e32 vcc, s11, v0
	v_subrev_u32_e32 v14, s11, v22
	v_mov_b32_e32 v23, v15
	v_cndmask_b32_e32 v3, v3, v5, vcc
	v_cndmask_b32_e32 v2, v2, v4, vcc
	v_lshl_add_u64 v[4:5], v[14:15], 3, s[6:7]
	v_lshl_add_u64 v[6:7], v[22:23], 3, s[4:5]
	v_cmp_gt_u32_e32 vcc, s11, v22
	v_subrev_u32_e32 v14, s11, v20
	v_mov_b32_e32 v21, v15
	v_add_u32_e32 v10, v20, v1
	v_cndmask_b32_e32 v5, v5, v7, vcc
	v_cndmask_b32_e32 v4, v4, v6, vcc
	v_lshl_add_u64 v[6:7], v[14:15], 3, s[6:7]
	v_lshl_add_u64 v[8:9], v[20:21], 3, s[4:5]
	v_cmp_gt_u32_e32 vcc, s11, v20
	v_subrev_u32_e32 v14, s11, v10
	v_mov_b32_e32 v11, v15
	v_cndmask_b32_e32 v7, v7, v9, vcc
	v_cndmask_b32_e32 v6, v6, v8, vcc
	v_lshl_add_u64 v[8:9], v[14:15], 3, s[6:7]
	v_lshl_add_u64 v[12:13], v[10:11], 3, s[4:5]
	v_cmp_gt_u32_e32 vcc, s11, v10
	global_load_dwordx2 v[2:3], v[2:3], off
	s_add_i32 s16, s13, s11
	v_cndmask_b32_e32 v8, v8, v12, vcc
	v_add_u32_e32 v12, v10, v1
	v_cndmask_b32_e32 v9, v9, v13, vcc
	v_subrev_u32_e32 v14, s11, v12
	v_mov_b32_e32 v13, v15
	v_lshl_add_u64 v[10:11], v[14:15], 3, s[6:7]
	v_lshl_add_u64 v[16:17], v[12:13], 3, s[4:5]
	v_cmp_gt_u32_e32 vcc, s11, v12
	global_load_dwordx2 v[4:5], v[4:5], off
	s_nop 0
	v_cndmask_b32_e32 v11, v11, v17, vcc
	v_cndmask_b32_e32 v10, v10, v16, vcc
	v_add_u32_e32 v16, v12, v1
	v_mov_b32_e32 v17, v15
	v_subrev_u32_e32 v14, s11, v16
	v_lshl_add_u64 v[24:25], v[16:17], 3, s[4:5]
	v_cmp_gt_u32_e32 vcc, s11, v16
	v_add_u32_e32 v16, v16, v1
	v_lshl_add_u64 v[12:13], v[14:15], 3, s[6:7]
	v_subrev_u32_e32 v14, s11, v16
	v_cndmask_b32_e32 v13, v13, v25, vcc
	v_cndmask_b32_e32 v12, v12, v24, vcc
	v_lshl_add_u64 v[24:25], v[14:15], 3, s[6:7]
	v_lshl_add_u64 v[14:15], v[16:17], 3, s[4:5]
	v_cmp_gt_u32_e32 vcc, s11, v16
	global_load_dwordx2 v[6:7], v[6:7], off
	s_mov_b64 s[2:3], -1
	v_cndmask_b32_e32 v15, v25, v15, vcc
	v_cndmask_b32_e32 v14, v24, v14, vcc
	global_load_dwordx2 v[8:9], v[8:9], off
	v_add_u32_e32 v24, v16, v1
	global_load_dwordx2 v[10:11], v[10:11], off
	s_nop 0
	global_load_dwordx2 v[12:13], v[12:13], off
	s_nop 0
	global_load_dwordx2 v[14:15], v[14:15], off
	s_cbranch_execz .LBB758_4
	s_branch .LBB758_17
.LBB758_3:
	s_mov_b64 s[2:3], 0
                                        ; implicit-def: $vgpr24
                                        ; implicit-def: $vgpr2_vgpr3_vgpr4_vgpr5_vgpr6_vgpr7_vgpr8_vgpr9_vgpr10_vgpr11_vgpr12_vgpr13_vgpr14_vgpr15_vgpr16_vgpr17
                                        ; implicit-def: $sgpr16
.LBB758_4:
	s_add_i32 s16, s13, s11
	v_cmp_gt_u32_e32 vcc, s16, v0
                                        ; implicit-def: $vgpr2_vgpr3_vgpr4_vgpr5_vgpr6_vgpr7_vgpr8_vgpr9_vgpr10_vgpr11_vgpr12_vgpr13_vgpr14_vgpr15_vgpr16_vgpr17
	s_and_saveexec_b64 s[2:3], vcc
	s_cbranch_execnz .LBB758_44
; %bb.5:
	s_or_b64 exec, exec, s[2:3]
	v_cmp_gt_u32_e32 vcc, s16, v22
	s_and_saveexec_b64 s[2:3], vcc
	s_cbranch_execnz .LBB758_45
.LBB758_6:
	s_or_b64 exec, exec, s[2:3]
	v_cmp_gt_u32_e32 vcc, s16, v20
	s_and_saveexec_b64 s[2:3], vcc
	s_cbranch_execz .LBB758_8
.LBB758_7:
	v_mov_b32_e32 v21, 0
	v_subrev_u32_e32 v22, s11, v20
	v_mov_b32_e32 v23, v21
	s_waitcnt vmcnt(4)
	v_lshl_add_u64 v[6:7], v[20:21], 3, s[4:5]
	v_lshl_add_u64 v[22:23], v[22:23], 3, s[6:7]
	v_cmp_gt_u32_e32 vcc, s11, v20
	s_nop 1
	v_cndmask_b32_e32 v7, v23, v7, vcc
	v_cndmask_b32_e32 v6, v22, v6, vcc
	global_load_dwordx2 v[6:7], v[6:7], off
.LBB758_8:
	s_or_b64 exec, exec, s[2:3]
	v_add_u32_e32 v20, v20, v1
	v_cmp_gt_u32_e32 vcc, s16, v20
	s_and_saveexec_b64 s[2:3], vcc
	s_cbranch_execz .LBB758_10
; %bb.9:
	v_mov_b32_e32 v21, 0
	v_subrev_u32_e32 v22, s11, v20
	v_mov_b32_e32 v23, v21
	s_waitcnt vmcnt(3)
	v_lshl_add_u64 v[8:9], v[20:21], 3, s[4:5]
	v_lshl_add_u64 v[22:23], v[22:23], 3, s[6:7]
	v_cmp_gt_u32_e32 vcc, s11, v20
	s_nop 1
	v_cndmask_b32_e32 v9, v23, v9, vcc
	v_cndmask_b32_e32 v8, v22, v8, vcc
	global_load_dwordx2 v[8:9], v[8:9], off
.LBB758_10:
	s_or_b64 exec, exec, s[2:3]
	v_add_u32_e32 v20, v20, v1
	v_cmp_gt_u32_e32 vcc, s16, v20
	s_and_saveexec_b64 s[2:3], vcc
	s_cbranch_execz .LBB758_12
; %bb.11:
	v_mov_b32_e32 v21, 0
	v_subrev_u32_e32 v22, s11, v20
	v_mov_b32_e32 v23, v21
	s_waitcnt vmcnt(2)
	v_lshl_add_u64 v[10:11], v[20:21], 3, s[4:5]
	v_lshl_add_u64 v[22:23], v[22:23], 3, s[6:7]
	v_cmp_gt_u32_e32 vcc, s11, v20
	s_nop 1
	v_cndmask_b32_e32 v11, v23, v11, vcc
	v_cndmask_b32_e32 v10, v22, v10, vcc
	global_load_dwordx2 v[10:11], v[10:11], off
.LBB758_12:
	;; [unrolled: 18-line block ×4, first 2 shown]
	s_or_b64 exec, exec, s[2:3]
	v_add_u32_e32 v24, v20, v1
	v_cmp_gt_u32_e64 s[2:3], s16, v24
.LBB758_17:
	v_mov_b32_e32 v1, s16
	s_and_saveexec_b64 s[8:9], s[2:3]
	s_cbranch_execz .LBB758_19
; %bb.18:
	v_mov_b32_e32 v17, 0
	v_subrev_u32_e32 v16, s11, v24
	v_mov_b32_e32 v25, v17
	v_lshl_add_u64 v[20:21], v[16:17], 3, s[6:7]
	v_lshl_add_u64 v[16:17], v[24:25], 3, s[4:5]
	v_cmp_gt_u32_e32 vcc, s11, v24
	v_mov_b32_e32 v1, s16
	s_nop 0
	v_cndmask_b32_e32 v17, v21, v17, vcc
	v_cndmask_b32_e32 v16, v20, v16, vcc
	global_load_dwordx2 v[16:17], v[16:17], off
.LBB758_19:
	s_or_b64 exec, exec, s[8:9]
	s_load_dwordx2 s[16:17], s[0:1], 0x10
	v_min_u32_e32 v20, v1, v18
	v_sub_u32_e64 v19, v20, s13 clamp
	v_min_u32_e32 v21, s11, v20
	v_cmp_lt_u32_e32 vcc, v19, v21
	s_waitcnt vmcnt(0)
	ds_write2st64_b64 v18, v[2:3], v[4:5] offset1:2
	ds_write2st64_b64 v18, v[6:7], v[8:9] offset0:4 offset1:6
	ds_write2st64_b64 v18, v[10:11], v[12:13] offset0:8 offset1:10
	;; [unrolled: 1-line block ×3, first 2 shown]
	s_waitcnt lgkmcnt(0)
	s_barrier
	s_and_saveexec_b64 s[0:1], vcc
	s_cbranch_execz .LBB758_23
; %bb.20:
	v_lshlrev_b32_e32 v22, 3, v20
	v_lshl_add_u32 v22, s11, 3, v22
	s_mov_b64 s[2:3], 0
.LBB758_21:                             ; =>This Inner Loop Header: Depth=1
	v_add_u32_e32 v23, v21, v19
	v_lshrrev_b32_e32 v23, 1, v23
	v_not_b32_e32 v24, v23
	v_lshlrev_b32_e32 v25, 3, v23
	v_lshl_add_u32 v26, v24, 3, v22
	ds_read_b64 v[24:25], v25
	ds_read_b64 v[26:27], v26
	v_add_u32_e32 v28, 1, v23
	s_waitcnt lgkmcnt(0)
	v_cmp_gt_u64_e32 vcc, v[24:25], v[26:27]
	s_nop 1
	v_cndmask_b32_e32 v21, v21, v23, vcc
	v_cndmask_b32_e32 v19, v28, v19, vcc
	v_cmp_ge_u32_e32 vcc, v19, v21
	s_or_b64 s[2:3], vcc, s[2:3]
	s_andn2_b64 exec, exec, s[2:3]
	s_cbranch_execnz .LBB758_21
; %bb.22:
	s_or_b64 exec, exec, s[2:3]
.LBB758_23:
	s_or_b64 exec, exec, s[0:1]
	v_sub_u32_e32 v20, v20, v19
	v_add_u32_e32 v20, s11, v20
	v_cmp_ge_u32_e32 vcc, s11, v19
	v_cmp_le_u32_e64 s[0:1], v20, v1
	s_or_b64 s[0:1], vcc, s[0:1]
	s_and_saveexec_b64 s[18:19], s[0:1]
	s_cbranch_execz .LBB758_29
; %bb.24:
	v_cmp_gt_u32_e32 vcc, s11, v19
                                        ; implicit-def: $vgpr2_vgpr3
	s_and_saveexec_b64 s[0:1], vcc
	s_cbranch_execz .LBB758_26
; %bb.25:
	v_lshlrev_b32_e32 v2, 3, v19
	ds_read_b64 v[2:3], v2
.LBB758_26:
	s_or_b64 exec, exec, s[0:1]
	v_cmp_ge_u32_e64 s[0:1], v20, v1
	v_cmp_lt_u32_e64 s[2:3], v20, v1
                                        ; implicit-def: $vgpr4_vgpr5
	s_and_saveexec_b64 s[4:5], s[2:3]
	s_cbranch_execz .LBB758_28
; %bb.27:
	v_lshlrev_b32_e32 v4, 3, v20
	ds_read_b64 v[4:5], v4
.LBB758_28:
	s_or_b64 exec, exec, s[4:5]
	s_waitcnt lgkmcnt(0)
	v_cmp_le_u64_e64 s[2:3], v[2:3], v[4:5]
	s_and_b64 s[2:3], vcc, s[2:3]
	s_or_b64 vcc, s[0:1], s[2:3]
	v_mov_b32_e32 v28, s11
	v_cndmask_b32_e32 v6, v20, v19, vcc
	v_cndmask_b32_e32 v7, v1, v28, vcc
	v_add_u32_e32 v10, 1, v6
	v_add_u32_e32 v6, -1, v7
	v_min_u32_e32 v6, v10, v6
	v_lshlrev_b32_e32 v6, 3, v6
	ds_read_b64 v[6:7], v6
	v_cndmask_b32_e32 v15, v19, v10, vcc
	v_cndmask_b32_e32 v14, v10, v20, vcc
	v_cmp_gt_u32_e64 s[2:3], s11, v15
	v_cmp_ge_u32_e64 s[0:1], v14, v1
	s_waitcnt lgkmcnt(0)
	v_cndmask_b32_e32 v9, v7, v5, vcc
	v_cndmask_b32_e32 v8, v6, v4, vcc
	;; [unrolled: 1-line block ×4, first 2 shown]
	v_cmp_le_u64_e64 s[4:5], v[6:7], v[8:9]
	s_and_b64 s[2:3], s[2:3], s[4:5]
	s_or_b64 s[0:1], s[0:1], s[2:3]
	v_cndmask_b32_e64 v10, v14, v15, s[0:1]
	v_cndmask_b32_e64 v11, v1, v28, s[0:1]
	v_add_u32_e32 v16, 1, v10
	v_add_u32_e32 v10, -1, v11
	v_min_u32_e32 v10, v16, v10
	v_lshlrev_b32_e32 v10, 3, v10
	ds_read_b64 v[10:11], v10
	v_cndmask_b32_e64 v20, v15, v16, s[0:1]
	v_cndmask_b32_e64 v19, v16, v14, s[0:1]
	v_cmp_gt_u32_e64 s[4:5], s11, v20
	v_cmp_ge_u32_e64 s[2:3], v19, v1
	s_waitcnt lgkmcnt(0)
	v_cndmask_b32_e64 v13, v11, v9, s[0:1]
	v_cndmask_b32_e64 v12, v10, v8, s[0:1]
	;; [unrolled: 1-line block ×4, first 2 shown]
	v_cmp_le_u64_e64 s[6:7], v[10:11], v[12:13]
	s_and_b64 s[4:5], s[4:5], s[6:7]
	s_or_b64 s[2:3], s[2:3], s[4:5]
	v_cndmask_b32_e64 v14, v19, v20, s[2:3]
	v_cndmask_b32_e64 v15, v1, v28, s[2:3]
	v_add_u32_e32 v21, 1, v14
	v_add_u32_e32 v14, -1, v15
	v_min_u32_e32 v14, v21, v14
	v_lshlrev_b32_e32 v14, 3, v14
	ds_read_b64 v[14:15], v14
	v_cndmask_b32_e64 v24, v20, v21, s[2:3]
	v_cndmask_b32_e64 v19, v21, v19, s[2:3]
	v_cmp_gt_u32_e64 s[6:7], s11, v24
	v_cmp_ge_u32_e64 s[4:5], v19, v1
	s_waitcnt lgkmcnt(0)
	v_cndmask_b32_e64 v17, v15, v13, s[2:3]
	v_cndmask_b32_e64 v16, v14, v12, s[2:3]
	;; [unrolled: 1-line block ×4, first 2 shown]
	v_cmp_le_u64_e64 s[8:9], v[14:15], v[16:17]
	s_and_b64 s[6:7], s[6:7], s[8:9]
	s_or_b64 s[4:5], s[4:5], s[6:7]
	v_cndmask_b32_e64 v20, v19, v24, s[4:5]
	v_cndmask_b32_e64 v21, v1, v28, s[4:5]
	v_add_u32_e32 v25, 1, v20
	v_add_u32_e32 v20, -1, v21
	v_min_u32_e32 v20, v25, v20
	v_lshlrev_b32_e32 v20, 3, v20
	ds_read_b64 v[20:21], v20
	v_cndmask_b32_e64 v26, v24, v25, s[4:5]
	v_cndmask_b32_e64 v19, v25, v19, s[4:5]
	v_cmp_gt_u32_e64 s[6:7], s11, v26
	v_cndmask_b32_e32 v3, v5, v3, vcc
	s_waitcnt lgkmcnt(0)
	v_cndmask_b32_e64 v23, v21, v17, s[4:5]
	v_cndmask_b32_e64 v22, v20, v16, s[4:5]
	;; [unrolled: 1-line block ×4, first 2 shown]
	v_cmp_le_u64_e64 s[8:9], v[20:21], v[22:23]
	v_cndmask_b32_e32 v2, v4, v2, vcc
	v_cmp_ge_u32_e32 vcc, v19, v1
	s_and_b64 s[6:7], s[6:7], s[8:9]
	s_or_b64 vcc, vcc, s[6:7]
	v_cndmask_b32_e32 v4, v19, v26, vcc
	v_cndmask_b32_e32 v5, v1, v28, vcc
	v_add_u32_e32 v27, 1, v4
	v_add_u32_e32 v4, -1, v5
	v_min_u32_e32 v4, v27, v4
	v_lshlrev_b32_e32 v4, 3, v4
	ds_read_b64 v[24:25], v4
	v_cndmask_b32_e64 v5, v9, v7, s[0:1]
	v_cndmask_b32_e64 v4, v8, v6, s[0:1]
	;; [unrolled: 1-line block ×4, first 2 shown]
	s_waitcnt lgkmcnt(0)
	v_cndmask_b32_e32 v13, v25, v23, vcc
	v_cndmask_b32_e32 v12, v24, v22, vcc
	;; [unrolled: 1-line block ×6, first 2 shown]
	v_cmp_gt_u32_e64 s[2:3], s11, v29
	v_cmp_le_u64_e64 s[6:7], v[24:25], v[12:13]
	v_cmp_ge_u32_e64 s[0:1], v19, v1
	s_and_b64 s[2:3], s[2:3], s[6:7]
	s_or_b64 s[0:1], s[0:1], s[2:3]
	v_cndmask_b32_e64 v8, v19, v29, s[0:1]
	v_cndmask_b32_e64 v9, v1, v28, s[0:1]
	v_add_u32_e32 v30, 1, v8
	v_add_u32_e32 v8, -1, v9
	v_min_u32_e32 v8, v30, v8
	v_lshlrev_b32_e32 v8, 3, v8
	ds_read_b64 v[26:27], v8
	v_cndmask_b32_e64 v9, v17, v15, s[4:5]
	v_cndmask_b32_e64 v8, v16, v14, s[4:5]
	v_cndmask_b32_e32 v11, v23, v21, vcc
	v_cndmask_b32_e32 v10, v22, v20, vcc
	s_waitcnt lgkmcnt(0)
	v_cndmask_b32_e64 v17, v27, v13, s[0:1]
	v_cndmask_b32_e64 v16, v26, v12, s[0:1]
	;; [unrolled: 1-line block ×6, first 2 shown]
	v_cmp_gt_u32_e64 s[2:3], s11, v26
	v_cmp_le_u64_e64 s[4:5], v[20:21], v[16:17]
	v_cmp_ge_u32_e32 vcc, v19, v1
	s_and_b64 s[2:3], s[2:3], s[4:5]
	s_or_b64 vcc, vcc, s[2:3]
	v_cndmask_b32_e32 v14, v19, v26, vcc
	v_cndmask_b32_e32 v15, v1, v28, vcc
	v_add_u32_e32 v27, 1, v14
	v_add_u32_e32 v14, -1, v15
	v_min_u32_e32 v14, v27, v14
	v_lshlrev_b32_e32 v14, 3, v14
	ds_read_b64 v[22:23], v14
	v_cndmask_b32_e32 v15, v17, v21, vcc
	v_cndmask_b32_e32 v14, v16, v20, vcc
	v_cndmask_b32_e64 v13, v13, v25, s[0:1]
	v_cndmask_b32_e64 v12, v12, v24, s[0:1]
	s_waitcnt lgkmcnt(0)
	v_cndmask_b32_e32 v17, v23, v17, vcc
	v_cndmask_b32_e32 v16, v22, v16, vcc
	;; [unrolled: 1-line block ×6, first 2 shown]
	v_cmp_gt_u32_e64 s[0:1], s11, v22
	v_cmp_le_u64_e64 s[2:3], v[20:21], v[16:17]
	v_cmp_ge_u32_e32 vcc, v19, v1
	s_and_b64 s[0:1], s[0:1], s[2:3]
	s_or_b64 vcc, vcc, s[0:1]
	v_cndmask_b32_e32 v17, v17, v21, vcc
	v_cndmask_b32_e32 v16, v16, v20, vcc
.LBB758_29:
	s_or_b64 exec, exec, s[18:19]
	v_lshrrev_b32_e32 v1, 2, v0
	v_lshlrev_b32_e32 v19, 3, v18
	v_lshl_add_u32 v19, v1, 3, v19
	v_and_b32_e32 v1, 24, v1
	v_or_b32_e32 v25, 0x80, v0
	v_add_u32_e32 v26, v18, v1
	v_lshrrev_b32_e32 v1, 2, v25
	v_and_b32_e32 v1, 56, v1
	v_or_b32_e32 v24, 0x100, v0
	s_barrier
	s_barrier
	ds_write2_b64 v19, v[2:3], v[4:5] offset1:1
	ds_write2_b64 v19, v[6:7], v[8:9] offset0:2 offset1:3
	ds_write2_b64 v19, v[10:11], v[12:13] offset0:4 offset1:5
	;; [unrolled: 1-line block ×3, first 2 shown]
	v_add_u32_e32 v6, v18, v1
	v_lshrrev_b32_e32 v1, 2, v24
	v_and_b32_e32 v1, 0x58, v1
	v_or_b32_e32 v23, 0x180, v0
	v_add_u32_e32 v7, v18, v1
	v_lshrrev_b32_e32 v1, 2, v23
	v_and_b32_e32 v1, 0x78, v1
	v_or_b32_e32 v22, 0x200, v0
	v_add_u32_e32 v8, v18, v1
	v_lshrrev_b32_e32 v1, 2, v22
	v_and_b32_e32 v1, 0x98, v1
	v_or_b32_e32 v21, 0x280, v0
	v_add_u32_e32 v9, v18, v1
	v_lshrrev_b32_e32 v1, 2, v21
	v_and_b32_e32 v1, 0xb8, v1
	v_or_b32_e32 v20, 0x300, v0
	v_add_u32_e32 v27, v18, v1
	v_lshrrev_b32_e32 v1, 2, v20
	s_mov_b32 s13, 0
	v_and_b32_e32 v1, 0xd8, v1
	s_lshl_b64 s[0:1], s[12:13], 3
	v_add_u32_e32 v28, v18, v1
	v_or_b32_e32 v1, 0x380, v0
	s_add_u32 s0, s16, s0
	v_lshrrev_b32_e32 v2, 2, v1
	s_addc_u32 s1, s17, s1
	v_and_b32_e32 v2, 0xf8, v2
	v_mov_b32_e32 v19, 0
	v_add_u32_e32 v29, v18, v2
	v_lshl_add_u64 v[2:3], s[0:1], 0, v[18:19]
	s_and_b64 vcc, exec, s[14:15]
	s_waitcnt lgkmcnt(0)
	s_cbranch_vccz .LBB758_31
; %bb.30:
	s_barrier
	ds_read_b64 v[10:11], v26
	ds_read_b64 v[12:13], v6 offset:1024
	ds_read_b64 v[14:15], v7 offset:2048
	;; [unrolled: 1-line block ×7, first 2 shown]
	s_waitcnt lgkmcnt(7)
	global_store_dwordx2 v[2:3], v[10:11], off
	s_waitcnt lgkmcnt(6)
	global_store_dwordx2 v[2:3], v[12:13], off offset:1024
	s_waitcnt lgkmcnt(5)
	global_store_dwordx2 v[2:3], v[14:15], off offset:2048
	;; [unrolled: 2-line block ×3, first 2 shown]
	v_add_co_u32_e32 v10, vcc, 0x1000, v2
	s_nop 1
	v_addc_co_u32_e32 v11, vcc, 0, v3, vcc
	s_waitcnt lgkmcnt(3)
	global_store_dwordx2 v[10:11], v[18:19], off
	s_waitcnt lgkmcnt(2)
	global_store_dwordx2 v[10:11], v[30:31], off offset:1024
	s_waitcnt lgkmcnt(1)
	global_store_dwordx2 v[10:11], v[32:33], off offset:2048
	s_mov_b64 s[0:1], -1
	s_cbranch_execz .LBB758_32
	s_branch .LBB758_41
.LBB758_31:
	s_mov_b64 s[0:1], 0
                                        ; implicit-def: $vgpr4_vgpr5
.LBB758_32:
	s_barrier
	s_waitcnt lgkmcnt(0)
	ds_read_b64 v[16:17], v6 offset:1024
	ds_read_b64 v[14:15], v7 offset:2048
	ds_read_b64 v[12:13], v8 offset:3072
	ds_read_b64 v[10:11], v9 offset:4096
	ds_read_b64 v[8:9], v27 offset:5120
	ds_read_b64 v[6:7], v28 offset:6144
	ds_read_b64 v[4:5], v29 offset:7168
	s_sub_i32 s2, s10, s12
	v_cmp_gt_u32_e32 vcc, s2, v0
	s_and_saveexec_b64 s[0:1], vcc
	s_cbranch_execnz .LBB758_46
; %bb.33:
	s_or_b64 exec, exec, s[0:1]
	v_cmp_gt_u32_e32 vcc, s2, v25
	s_and_saveexec_b64 s[0:1], vcc
	s_cbranch_execnz .LBB758_47
.LBB758_34:
	s_or_b64 exec, exec, s[0:1]
	v_cmp_gt_u32_e32 vcc, s2, v24
	s_and_saveexec_b64 s[0:1], vcc
	s_cbranch_execnz .LBB758_48
.LBB758_35:
	s_or_b64 exec, exec, s[0:1]
	v_cmp_gt_u32_e32 vcc, s2, v23
	s_and_saveexec_b64 s[0:1], vcc
	s_cbranch_execnz .LBB758_49
.LBB758_36:
	s_or_b64 exec, exec, s[0:1]
	v_cmp_gt_u32_e32 vcc, s2, v22
	s_and_saveexec_b64 s[0:1], vcc
	s_cbranch_execnz .LBB758_50
.LBB758_37:
	s_or_b64 exec, exec, s[0:1]
	v_cmp_gt_u32_e32 vcc, s2, v21
	s_and_saveexec_b64 s[0:1], vcc
	s_cbranch_execnz .LBB758_51
.LBB758_38:
	s_or_b64 exec, exec, s[0:1]
	v_cmp_gt_u32_e32 vcc, s2, v20
	s_and_saveexec_b64 s[0:1], vcc
	s_cbranch_execz .LBB758_40
.LBB758_39:
	s_waitcnt lgkmcnt(2)
	v_add_co_u32_e32 v8, vcc, 0x1000, v2
	s_nop 1
	v_addc_co_u32_e32 v9, vcc, 0, v3, vcc
	s_waitcnt lgkmcnt(1)
	global_store_dwordx2 v[8:9], v[6:7], off offset:2048
.LBB758_40:
	s_or_b64 exec, exec, s[0:1]
	v_cmp_gt_u32_e64 s[0:1], s2, v1
.LBB758_41:
	s_and_saveexec_b64 s[2:3], s[0:1]
	s_cbranch_execz .LBB758_43
; %bb.42:
	v_add_co_u32_e32 v0, vcc, 0x1000, v2
	s_nop 1
	v_addc_co_u32_e32 v1, vcc, 0, v3, vcc
	s_waitcnt lgkmcnt(0)
	global_store_dwordx2 v[0:1], v[4:5], off offset:3072
.LBB758_43:
	s_endpgm
.LBB758_44:
	v_mov_b32_e32 v19, 0
	s_waitcnt vmcnt(5)
	v_subrev_u32_e32 v4, s11, v0
	v_mov_b32_e32 v5, v19
	v_lshl_add_u64 v[2:3], s[4:5], 0, v[18:19]
	v_lshl_add_u64 v[4:5], v[4:5], 3, s[6:7]
	v_cmp_gt_u32_e32 vcc, s11, v0
	s_nop 1
	v_cndmask_b32_e32 v3, v5, v3, vcc
	v_cndmask_b32_e32 v2, v4, v2, vcc
	global_load_dwordx2 v[2:3], v[2:3], off
	s_or_b64 exec, exec, s[2:3]
	v_cmp_gt_u32_e32 vcc, s16, v22
	s_and_saveexec_b64 s[2:3], vcc
	s_cbranch_execz .LBB758_6
.LBB758_45:
	v_mov_b32_e32 v23, 0
	s_waitcnt vmcnt(5)
	v_lshl_add_u64 v[4:5], v[22:23], 3, s[4:5]
	v_cmp_gt_u32_e32 vcc, s11, v22
	v_subrev_u32_e32 v22, s11, v22
	v_lshl_add_u64 v[22:23], v[22:23], 3, s[6:7]
	v_cndmask_b32_e32 v5, v23, v5, vcc
	v_cndmask_b32_e32 v4, v22, v4, vcc
	global_load_dwordx2 v[4:5], v[4:5], off
	s_or_b64 exec, exec, s[2:3]
	v_cmp_gt_u32_e32 vcc, s16, v20
	s_and_saveexec_b64 s[2:3], vcc
	s_cbranch_execnz .LBB758_7
	s_branch .LBB758_8
.LBB758_46:
	ds_read_b64 v[18:19], v26
	s_waitcnt lgkmcnt(0)
	global_store_dwordx2 v[2:3], v[18:19], off
	s_or_b64 exec, exec, s[0:1]
	v_cmp_gt_u32_e32 vcc, s2, v25
	s_and_saveexec_b64 s[0:1], vcc
	s_cbranch_execz .LBB758_34
.LBB758_47:
	s_waitcnt lgkmcnt(6)
	global_store_dwordx2 v[2:3], v[16:17], off offset:1024
	s_or_b64 exec, exec, s[0:1]
	v_cmp_gt_u32_e32 vcc, s2, v24
	s_and_saveexec_b64 s[0:1], vcc
	s_cbranch_execz .LBB758_35
.LBB758_48:
	s_waitcnt lgkmcnt(5)
	global_store_dwordx2 v[2:3], v[14:15], off offset:2048
	s_or_b64 exec, exec, s[0:1]
	v_cmp_gt_u32_e32 vcc, s2, v23
	s_and_saveexec_b64 s[0:1], vcc
	s_cbranch_execz .LBB758_36
.LBB758_49:
	s_waitcnt lgkmcnt(4)
	global_store_dwordx2 v[2:3], v[12:13], off offset:3072
	s_or_b64 exec, exec, s[0:1]
	v_cmp_gt_u32_e32 vcc, s2, v22
	s_and_saveexec_b64 s[0:1], vcc
	s_cbranch_execz .LBB758_37
.LBB758_50:
	s_waitcnt lgkmcnt(4)
	v_add_co_u32_e32 v12, vcc, 0x1000, v2
	s_nop 1
	v_addc_co_u32_e32 v13, vcc, 0, v3, vcc
	s_waitcnt lgkmcnt(3)
	global_store_dwordx2 v[12:13], v[10:11], off
	s_or_b64 exec, exec, s[0:1]
	v_cmp_gt_u32_e32 vcc, s2, v21
	s_and_saveexec_b64 s[0:1], vcc
	s_cbranch_execz .LBB758_38
.LBB758_51:
	s_waitcnt lgkmcnt(3)
	v_add_co_u32_e32 v10, vcc, 0x1000, v2
	s_nop 1
	v_addc_co_u32_e32 v11, vcc, 0, v3, vcc
	s_waitcnt lgkmcnt(2)
	global_store_dwordx2 v[10:11], v[8:9], off offset:1024
	s_or_b64 exec, exec, s[0:1]
	v_cmp_gt_u32_e32 vcc, s2, v20
	s_and_saveexec_b64 s[0:1], vcc
	s_cbranch_execnz .LBB758_39
	s_branch .LBB758_40
	.section	.rodata,"a",@progbits
	.p2align	6, 0x0
	.amdhsa_kernel _ZN7rocprim17ROCPRIM_400000_NS6detail17trampoline_kernelINS0_14default_configENS1_38merge_sort_block_merge_config_selectorIyNS0_10empty_typeEEEZZNS1_27merge_sort_block_merge_implIS3_N6thrust23THRUST_200600_302600_NS6detail15normal_iteratorINS9_10device_ptrIyEEEEPS5_jNS1_19radix_merge_compareILb0ELb0EyNS0_19identity_decomposerEEEEE10hipError_tT0_T1_T2_jT3_P12ihipStream_tbPNSt15iterator_traitsISK_E10value_typeEPNSQ_ISL_E10value_typeEPSM_NS1_7vsmem_tEENKUlT_SK_SL_SM_E_clISE_PySF_SF_EESJ_SZ_SK_SL_SM_EUlSZ_E0_NS1_11comp_targetILNS1_3genE5ELNS1_11target_archE942ELNS1_3gpuE9ELNS1_3repE0EEENS1_38merge_mergepath_config_static_selectorELNS0_4arch9wavefront6targetE1EEEvSL_
		.amdhsa_group_segment_fixed_size 8448
		.amdhsa_private_segment_fixed_size 0
		.amdhsa_kernarg_size 320
		.amdhsa_user_sgpr_count 2
		.amdhsa_user_sgpr_dispatch_ptr 0
		.amdhsa_user_sgpr_queue_ptr 0
		.amdhsa_user_sgpr_kernarg_segment_ptr 1
		.amdhsa_user_sgpr_dispatch_id 0
		.amdhsa_user_sgpr_kernarg_preload_length 0
		.amdhsa_user_sgpr_kernarg_preload_offset 0
		.amdhsa_user_sgpr_private_segment_size 0
		.amdhsa_uses_dynamic_stack 0
		.amdhsa_enable_private_segment 0
		.amdhsa_system_sgpr_workgroup_id_x 1
		.amdhsa_system_sgpr_workgroup_id_y 1
		.amdhsa_system_sgpr_workgroup_id_z 1
		.amdhsa_system_sgpr_workgroup_info 0
		.amdhsa_system_vgpr_workitem_id 0
		.amdhsa_next_free_vgpr 34
		.amdhsa_next_free_sgpr 23
		.amdhsa_accum_offset 36
		.amdhsa_reserve_vcc 1
		.amdhsa_float_round_mode_32 0
		.amdhsa_float_round_mode_16_64 0
		.amdhsa_float_denorm_mode_32 3
		.amdhsa_float_denorm_mode_16_64 3
		.amdhsa_dx10_clamp 1
		.amdhsa_ieee_mode 1
		.amdhsa_fp16_overflow 0
		.amdhsa_tg_split 0
		.amdhsa_exception_fp_ieee_invalid_op 0
		.amdhsa_exception_fp_denorm_src 0
		.amdhsa_exception_fp_ieee_div_zero 0
		.amdhsa_exception_fp_ieee_overflow 0
		.amdhsa_exception_fp_ieee_underflow 0
		.amdhsa_exception_fp_ieee_inexact 0
		.amdhsa_exception_int_div_zero 0
	.end_amdhsa_kernel
	.section	.text._ZN7rocprim17ROCPRIM_400000_NS6detail17trampoline_kernelINS0_14default_configENS1_38merge_sort_block_merge_config_selectorIyNS0_10empty_typeEEEZZNS1_27merge_sort_block_merge_implIS3_N6thrust23THRUST_200600_302600_NS6detail15normal_iteratorINS9_10device_ptrIyEEEEPS5_jNS1_19radix_merge_compareILb0ELb0EyNS0_19identity_decomposerEEEEE10hipError_tT0_T1_T2_jT3_P12ihipStream_tbPNSt15iterator_traitsISK_E10value_typeEPNSQ_ISL_E10value_typeEPSM_NS1_7vsmem_tEENKUlT_SK_SL_SM_E_clISE_PySF_SF_EESJ_SZ_SK_SL_SM_EUlSZ_E0_NS1_11comp_targetILNS1_3genE5ELNS1_11target_archE942ELNS1_3gpuE9ELNS1_3repE0EEENS1_38merge_mergepath_config_static_selectorELNS0_4arch9wavefront6targetE1EEEvSL_,"axG",@progbits,_ZN7rocprim17ROCPRIM_400000_NS6detail17trampoline_kernelINS0_14default_configENS1_38merge_sort_block_merge_config_selectorIyNS0_10empty_typeEEEZZNS1_27merge_sort_block_merge_implIS3_N6thrust23THRUST_200600_302600_NS6detail15normal_iteratorINS9_10device_ptrIyEEEEPS5_jNS1_19radix_merge_compareILb0ELb0EyNS0_19identity_decomposerEEEEE10hipError_tT0_T1_T2_jT3_P12ihipStream_tbPNSt15iterator_traitsISK_E10value_typeEPNSQ_ISL_E10value_typeEPSM_NS1_7vsmem_tEENKUlT_SK_SL_SM_E_clISE_PySF_SF_EESJ_SZ_SK_SL_SM_EUlSZ_E0_NS1_11comp_targetILNS1_3genE5ELNS1_11target_archE942ELNS1_3gpuE9ELNS1_3repE0EEENS1_38merge_mergepath_config_static_selectorELNS0_4arch9wavefront6targetE1EEEvSL_,comdat
.Lfunc_end758:
	.size	_ZN7rocprim17ROCPRIM_400000_NS6detail17trampoline_kernelINS0_14default_configENS1_38merge_sort_block_merge_config_selectorIyNS0_10empty_typeEEEZZNS1_27merge_sort_block_merge_implIS3_N6thrust23THRUST_200600_302600_NS6detail15normal_iteratorINS9_10device_ptrIyEEEEPS5_jNS1_19radix_merge_compareILb0ELb0EyNS0_19identity_decomposerEEEEE10hipError_tT0_T1_T2_jT3_P12ihipStream_tbPNSt15iterator_traitsISK_E10value_typeEPNSQ_ISL_E10value_typeEPSM_NS1_7vsmem_tEENKUlT_SK_SL_SM_E_clISE_PySF_SF_EESJ_SZ_SK_SL_SM_EUlSZ_E0_NS1_11comp_targetILNS1_3genE5ELNS1_11target_archE942ELNS1_3gpuE9ELNS1_3repE0EEENS1_38merge_mergepath_config_static_selectorELNS0_4arch9wavefront6targetE1EEEvSL_, .Lfunc_end758-_ZN7rocprim17ROCPRIM_400000_NS6detail17trampoline_kernelINS0_14default_configENS1_38merge_sort_block_merge_config_selectorIyNS0_10empty_typeEEEZZNS1_27merge_sort_block_merge_implIS3_N6thrust23THRUST_200600_302600_NS6detail15normal_iteratorINS9_10device_ptrIyEEEEPS5_jNS1_19radix_merge_compareILb0ELb0EyNS0_19identity_decomposerEEEEE10hipError_tT0_T1_T2_jT3_P12ihipStream_tbPNSt15iterator_traitsISK_E10value_typeEPNSQ_ISL_E10value_typeEPSM_NS1_7vsmem_tEENKUlT_SK_SL_SM_E_clISE_PySF_SF_EESJ_SZ_SK_SL_SM_EUlSZ_E0_NS1_11comp_targetILNS1_3genE5ELNS1_11target_archE942ELNS1_3gpuE9ELNS1_3repE0EEENS1_38merge_mergepath_config_static_selectorELNS0_4arch9wavefront6targetE1EEEvSL_
                                        ; -- End function
	.section	.AMDGPU.csdata,"",@progbits
; Kernel info:
; codeLenInByte = 3436
; NumSgprs: 29
; NumVgprs: 34
; NumAgprs: 0
; TotalNumVgprs: 34
; ScratchSize: 0
; MemoryBound: 0
; FloatMode: 240
; IeeeMode: 1
; LDSByteSize: 8448 bytes/workgroup (compile time only)
; SGPRBlocks: 3
; VGPRBlocks: 4
; NumSGPRsForWavesPerEU: 29
; NumVGPRsForWavesPerEU: 34
; AccumOffset: 36
; Occupancy: 4
; WaveLimiterHint : 1
; COMPUTE_PGM_RSRC2:SCRATCH_EN: 0
; COMPUTE_PGM_RSRC2:USER_SGPR: 2
; COMPUTE_PGM_RSRC2:TRAP_HANDLER: 0
; COMPUTE_PGM_RSRC2:TGID_X_EN: 1
; COMPUTE_PGM_RSRC2:TGID_Y_EN: 1
; COMPUTE_PGM_RSRC2:TGID_Z_EN: 1
; COMPUTE_PGM_RSRC2:TIDIG_COMP_CNT: 0
; COMPUTE_PGM_RSRC3_GFX90A:ACCUM_OFFSET: 8
; COMPUTE_PGM_RSRC3_GFX90A:TG_SPLIT: 0
	.section	.text._ZN7rocprim17ROCPRIM_400000_NS6detail17trampoline_kernelINS0_14default_configENS1_38merge_sort_block_merge_config_selectorIyNS0_10empty_typeEEEZZNS1_27merge_sort_block_merge_implIS3_N6thrust23THRUST_200600_302600_NS6detail15normal_iteratorINS9_10device_ptrIyEEEEPS5_jNS1_19radix_merge_compareILb0ELb0EyNS0_19identity_decomposerEEEEE10hipError_tT0_T1_T2_jT3_P12ihipStream_tbPNSt15iterator_traitsISK_E10value_typeEPNSQ_ISL_E10value_typeEPSM_NS1_7vsmem_tEENKUlT_SK_SL_SM_E_clISE_PySF_SF_EESJ_SZ_SK_SL_SM_EUlSZ_E0_NS1_11comp_targetILNS1_3genE4ELNS1_11target_archE910ELNS1_3gpuE8ELNS1_3repE0EEENS1_38merge_mergepath_config_static_selectorELNS0_4arch9wavefront6targetE1EEEvSL_,"axG",@progbits,_ZN7rocprim17ROCPRIM_400000_NS6detail17trampoline_kernelINS0_14default_configENS1_38merge_sort_block_merge_config_selectorIyNS0_10empty_typeEEEZZNS1_27merge_sort_block_merge_implIS3_N6thrust23THRUST_200600_302600_NS6detail15normal_iteratorINS9_10device_ptrIyEEEEPS5_jNS1_19radix_merge_compareILb0ELb0EyNS0_19identity_decomposerEEEEE10hipError_tT0_T1_T2_jT3_P12ihipStream_tbPNSt15iterator_traitsISK_E10value_typeEPNSQ_ISL_E10value_typeEPSM_NS1_7vsmem_tEENKUlT_SK_SL_SM_E_clISE_PySF_SF_EESJ_SZ_SK_SL_SM_EUlSZ_E0_NS1_11comp_targetILNS1_3genE4ELNS1_11target_archE910ELNS1_3gpuE8ELNS1_3repE0EEENS1_38merge_mergepath_config_static_selectorELNS0_4arch9wavefront6targetE1EEEvSL_,comdat
	.protected	_ZN7rocprim17ROCPRIM_400000_NS6detail17trampoline_kernelINS0_14default_configENS1_38merge_sort_block_merge_config_selectorIyNS0_10empty_typeEEEZZNS1_27merge_sort_block_merge_implIS3_N6thrust23THRUST_200600_302600_NS6detail15normal_iteratorINS9_10device_ptrIyEEEEPS5_jNS1_19radix_merge_compareILb0ELb0EyNS0_19identity_decomposerEEEEE10hipError_tT0_T1_T2_jT3_P12ihipStream_tbPNSt15iterator_traitsISK_E10value_typeEPNSQ_ISL_E10value_typeEPSM_NS1_7vsmem_tEENKUlT_SK_SL_SM_E_clISE_PySF_SF_EESJ_SZ_SK_SL_SM_EUlSZ_E0_NS1_11comp_targetILNS1_3genE4ELNS1_11target_archE910ELNS1_3gpuE8ELNS1_3repE0EEENS1_38merge_mergepath_config_static_selectorELNS0_4arch9wavefront6targetE1EEEvSL_ ; -- Begin function _ZN7rocprim17ROCPRIM_400000_NS6detail17trampoline_kernelINS0_14default_configENS1_38merge_sort_block_merge_config_selectorIyNS0_10empty_typeEEEZZNS1_27merge_sort_block_merge_implIS3_N6thrust23THRUST_200600_302600_NS6detail15normal_iteratorINS9_10device_ptrIyEEEEPS5_jNS1_19radix_merge_compareILb0ELb0EyNS0_19identity_decomposerEEEEE10hipError_tT0_T1_T2_jT3_P12ihipStream_tbPNSt15iterator_traitsISK_E10value_typeEPNSQ_ISL_E10value_typeEPSM_NS1_7vsmem_tEENKUlT_SK_SL_SM_E_clISE_PySF_SF_EESJ_SZ_SK_SL_SM_EUlSZ_E0_NS1_11comp_targetILNS1_3genE4ELNS1_11target_archE910ELNS1_3gpuE8ELNS1_3repE0EEENS1_38merge_mergepath_config_static_selectorELNS0_4arch9wavefront6targetE1EEEvSL_
	.globl	_ZN7rocprim17ROCPRIM_400000_NS6detail17trampoline_kernelINS0_14default_configENS1_38merge_sort_block_merge_config_selectorIyNS0_10empty_typeEEEZZNS1_27merge_sort_block_merge_implIS3_N6thrust23THRUST_200600_302600_NS6detail15normal_iteratorINS9_10device_ptrIyEEEEPS5_jNS1_19radix_merge_compareILb0ELb0EyNS0_19identity_decomposerEEEEE10hipError_tT0_T1_T2_jT3_P12ihipStream_tbPNSt15iterator_traitsISK_E10value_typeEPNSQ_ISL_E10value_typeEPSM_NS1_7vsmem_tEENKUlT_SK_SL_SM_E_clISE_PySF_SF_EESJ_SZ_SK_SL_SM_EUlSZ_E0_NS1_11comp_targetILNS1_3genE4ELNS1_11target_archE910ELNS1_3gpuE8ELNS1_3repE0EEENS1_38merge_mergepath_config_static_selectorELNS0_4arch9wavefront6targetE1EEEvSL_
	.p2align	8
	.type	_ZN7rocprim17ROCPRIM_400000_NS6detail17trampoline_kernelINS0_14default_configENS1_38merge_sort_block_merge_config_selectorIyNS0_10empty_typeEEEZZNS1_27merge_sort_block_merge_implIS3_N6thrust23THRUST_200600_302600_NS6detail15normal_iteratorINS9_10device_ptrIyEEEEPS5_jNS1_19radix_merge_compareILb0ELb0EyNS0_19identity_decomposerEEEEE10hipError_tT0_T1_T2_jT3_P12ihipStream_tbPNSt15iterator_traitsISK_E10value_typeEPNSQ_ISL_E10value_typeEPSM_NS1_7vsmem_tEENKUlT_SK_SL_SM_E_clISE_PySF_SF_EESJ_SZ_SK_SL_SM_EUlSZ_E0_NS1_11comp_targetILNS1_3genE4ELNS1_11target_archE910ELNS1_3gpuE8ELNS1_3repE0EEENS1_38merge_mergepath_config_static_selectorELNS0_4arch9wavefront6targetE1EEEvSL_,@function
_ZN7rocprim17ROCPRIM_400000_NS6detail17trampoline_kernelINS0_14default_configENS1_38merge_sort_block_merge_config_selectorIyNS0_10empty_typeEEEZZNS1_27merge_sort_block_merge_implIS3_N6thrust23THRUST_200600_302600_NS6detail15normal_iteratorINS9_10device_ptrIyEEEEPS5_jNS1_19radix_merge_compareILb0ELb0EyNS0_19identity_decomposerEEEEE10hipError_tT0_T1_T2_jT3_P12ihipStream_tbPNSt15iterator_traitsISK_E10value_typeEPNSQ_ISL_E10value_typeEPSM_NS1_7vsmem_tEENKUlT_SK_SL_SM_E_clISE_PySF_SF_EESJ_SZ_SK_SL_SM_EUlSZ_E0_NS1_11comp_targetILNS1_3genE4ELNS1_11target_archE910ELNS1_3gpuE8ELNS1_3repE0EEENS1_38merge_mergepath_config_static_selectorELNS0_4arch9wavefront6targetE1EEEvSL_: ; @_ZN7rocprim17ROCPRIM_400000_NS6detail17trampoline_kernelINS0_14default_configENS1_38merge_sort_block_merge_config_selectorIyNS0_10empty_typeEEEZZNS1_27merge_sort_block_merge_implIS3_N6thrust23THRUST_200600_302600_NS6detail15normal_iteratorINS9_10device_ptrIyEEEEPS5_jNS1_19radix_merge_compareILb0ELb0EyNS0_19identity_decomposerEEEEE10hipError_tT0_T1_T2_jT3_P12ihipStream_tbPNSt15iterator_traitsISK_E10value_typeEPNSQ_ISL_E10value_typeEPSM_NS1_7vsmem_tEENKUlT_SK_SL_SM_E_clISE_PySF_SF_EESJ_SZ_SK_SL_SM_EUlSZ_E0_NS1_11comp_targetILNS1_3genE4ELNS1_11target_archE910ELNS1_3gpuE8ELNS1_3repE0EEENS1_38merge_mergepath_config_static_selectorELNS0_4arch9wavefront6targetE1EEEvSL_
; %bb.0:
	.section	.rodata,"a",@progbits
	.p2align	6, 0x0
	.amdhsa_kernel _ZN7rocprim17ROCPRIM_400000_NS6detail17trampoline_kernelINS0_14default_configENS1_38merge_sort_block_merge_config_selectorIyNS0_10empty_typeEEEZZNS1_27merge_sort_block_merge_implIS3_N6thrust23THRUST_200600_302600_NS6detail15normal_iteratorINS9_10device_ptrIyEEEEPS5_jNS1_19radix_merge_compareILb0ELb0EyNS0_19identity_decomposerEEEEE10hipError_tT0_T1_T2_jT3_P12ihipStream_tbPNSt15iterator_traitsISK_E10value_typeEPNSQ_ISL_E10value_typeEPSM_NS1_7vsmem_tEENKUlT_SK_SL_SM_E_clISE_PySF_SF_EESJ_SZ_SK_SL_SM_EUlSZ_E0_NS1_11comp_targetILNS1_3genE4ELNS1_11target_archE910ELNS1_3gpuE8ELNS1_3repE0EEENS1_38merge_mergepath_config_static_selectorELNS0_4arch9wavefront6targetE1EEEvSL_
		.amdhsa_group_segment_fixed_size 0
		.amdhsa_private_segment_fixed_size 0
		.amdhsa_kernarg_size 64
		.amdhsa_user_sgpr_count 2
		.amdhsa_user_sgpr_dispatch_ptr 0
		.amdhsa_user_sgpr_queue_ptr 0
		.amdhsa_user_sgpr_kernarg_segment_ptr 1
		.amdhsa_user_sgpr_dispatch_id 0
		.amdhsa_user_sgpr_kernarg_preload_length 0
		.amdhsa_user_sgpr_kernarg_preload_offset 0
		.amdhsa_user_sgpr_private_segment_size 0
		.amdhsa_uses_dynamic_stack 0
		.amdhsa_enable_private_segment 0
		.amdhsa_system_sgpr_workgroup_id_x 1
		.amdhsa_system_sgpr_workgroup_id_y 0
		.amdhsa_system_sgpr_workgroup_id_z 0
		.amdhsa_system_sgpr_workgroup_info 0
		.amdhsa_system_vgpr_workitem_id 0
		.amdhsa_next_free_vgpr 1
		.amdhsa_next_free_sgpr 0
		.amdhsa_accum_offset 4
		.amdhsa_reserve_vcc 0
		.amdhsa_float_round_mode_32 0
		.amdhsa_float_round_mode_16_64 0
		.amdhsa_float_denorm_mode_32 3
		.amdhsa_float_denorm_mode_16_64 3
		.amdhsa_dx10_clamp 1
		.amdhsa_ieee_mode 1
		.amdhsa_fp16_overflow 0
		.amdhsa_tg_split 0
		.amdhsa_exception_fp_ieee_invalid_op 0
		.amdhsa_exception_fp_denorm_src 0
		.amdhsa_exception_fp_ieee_div_zero 0
		.amdhsa_exception_fp_ieee_overflow 0
		.amdhsa_exception_fp_ieee_underflow 0
		.amdhsa_exception_fp_ieee_inexact 0
		.amdhsa_exception_int_div_zero 0
	.end_amdhsa_kernel
	.section	.text._ZN7rocprim17ROCPRIM_400000_NS6detail17trampoline_kernelINS0_14default_configENS1_38merge_sort_block_merge_config_selectorIyNS0_10empty_typeEEEZZNS1_27merge_sort_block_merge_implIS3_N6thrust23THRUST_200600_302600_NS6detail15normal_iteratorINS9_10device_ptrIyEEEEPS5_jNS1_19radix_merge_compareILb0ELb0EyNS0_19identity_decomposerEEEEE10hipError_tT0_T1_T2_jT3_P12ihipStream_tbPNSt15iterator_traitsISK_E10value_typeEPNSQ_ISL_E10value_typeEPSM_NS1_7vsmem_tEENKUlT_SK_SL_SM_E_clISE_PySF_SF_EESJ_SZ_SK_SL_SM_EUlSZ_E0_NS1_11comp_targetILNS1_3genE4ELNS1_11target_archE910ELNS1_3gpuE8ELNS1_3repE0EEENS1_38merge_mergepath_config_static_selectorELNS0_4arch9wavefront6targetE1EEEvSL_,"axG",@progbits,_ZN7rocprim17ROCPRIM_400000_NS6detail17trampoline_kernelINS0_14default_configENS1_38merge_sort_block_merge_config_selectorIyNS0_10empty_typeEEEZZNS1_27merge_sort_block_merge_implIS3_N6thrust23THRUST_200600_302600_NS6detail15normal_iteratorINS9_10device_ptrIyEEEEPS5_jNS1_19radix_merge_compareILb0ELb0EyNS0_19identity_decomposerEEEEE10hipError_tT0_T1_T2_jT3_P12ihipStream_tbPNSt15iterator_traitsISK_E10value_typeEPNSQ_ISL_E10value_typeEPSM_NS1_7vsmem_tEENKUlT_SK_SL_SM_E_clISE_PySF_SF_EESJ_SZ_SK_SL_SM_EUlSZ_E0_NS1_11comp_targetILNS1_3genE4ELNS1_11target_archE910ELNS1_3gpuE8ELNS1_3repE0EEENS1_38merge_mergepath_config_static_selectorELNS0_4arch9wavefront6targetE1EEEvSL_,comdat
.Lfunc_end759:
	.size	_ZN7rocprim17ROCPRIM_400000_NS6detail17trampoline_kernelINS0_14default_configENS1_38merge_sort_block_merge_config_selectorIyNS0_10empty_typeEEEZZNS1_27merge_sort_block_merge_implIS3_N6thrust23THRUST_200600_302600_NS6detail15normal_iteratorINS9_10device_ptrIyEEEEPS5_jNS1_19radix_merge_compareILb0ELb0EyNS0_19identity_decomposerEEEEE10hipError_tT0_T1_T2_jT3_P12ihipStream_tbPNSt15iterator_traitsISK_E10value_typeEPNSQ_ISL_E10value_typeEPSM_NS1_7vsmem_tEENKUlT_SK_SL_SM_E_clISE_PySF_SF_EESJ_SZ_SK_SL_SM_EUlSZ_E0_NS1_11comp_targetILNS1_3genE4ELNS1_11target_archE910ELNS1_3gpuE8ELNS1_3repE0EEENS1_38merge_mergepath_config_static_selectorELNS0_4arch9wavefront6targetE1EEEvSL_, .Lfunc_end759-_ZN7rocprim17ROCPRIM_400000_NS6detail17trampoline_kernelINS0_14default_configENS1_38merge_sort_block_merge_config_selectorIyNS0_10empty_typeEEEZZNS1_27merge_sort_block_merge_implIS3_N6thrust23THRUST_200600_302600_NS6detail15normal_iteratorINS9_10device_ptrIyEEEEPS5_jNS1_19radix_merge_compareILb0ELb0EyNS0_19identity_decomposerEEEEE10hipError_tT0_T1_T2_jT3_P12ihipStream_tbPNSt15iterator_traitsISK_E10value_typeEPNSQ_ISL_E10value_typeEPSM_NS1_7vsmem_tEENKUlT_SK_SL_SM_E_clISE_PySF_SF_EESJ_SZ_SK_SL_SM_EUlSZ_E0_NS1_11comp_targetILNS1_3genE4ELNS1_11target_archE910ELNS1_3gpuE8ELNS1_3repE0EEENS1_38merge_mergepath_config_static_selectorELNS0_4arch9wavefront6targetE1EEEvSL_
                                        ; -- End function
	.section	.AMDGPU.csdata,"",@progbits
; Kernel info:
; codeLenInByte = 0
; NumSgprs: 6
; NumVgprs: 0
; NumAgprs: 0
; TotalNumVgprs: 0
; ScratchSize: 0
; MemoryBound: 0
; FloatMode: 240
; IeeeMode: 1
; LDSByteSize: 0 bytes/workgroup (compile time only)
; SGPRBlocks: 0
; VGPRBlocks: 0
; NumSGPRsForWavesPerEU: 6
; NumVGPRsForWavesPerEU: 1
; AccumOffset: 4
; Occupancy: 8
; WaveLimiterHint : 0
; COMPUTE_PGM_RSRC2:SCRATCH_EN: 0
; COMPUTE_PGM_RSRC2:USER_SGPR: 2
; COMPUTE_PGM_RSRC2:TRAP_HANDLER: 0
; COMPUTE_PGM_RSRC2:TGID_X_EN: 1
; COMPUTE_PGM_RSRC2:TGID_Y_EN: 0
; COMPUTE_PGM_RSRC2:TGID_Z_EN: 0
; COMPUTE_PGM_RSRC2:TIDIG_COMP_CNT: 0
; COMPUTE_PGM_RSRC3_GFX90A:ACCUM_OFFSET: 0
; COMPUTE_PGM_RSRC3_GFX90A:TG_SPLIT: 0
	.section	.text._ZN7rocprim17ROCPRIM_400000_NS6detail17trampoline_kernelINS0_14default_configENS1_38merge_sort_block_merge_config_selectorIyNS0_10empty_typeEEEZZNS1_27merge_sort_block_merge_implIS3_N6thrust23THRUST_200600_302600_NS6detail15normal_iteratorINS9_10device_ptrIyEEEEPS5_jNS1_19radix_merge_compareILb0ELb0EyNS0_19identity_decomposerEEEEE10hipError_tT0_T1_T2_jT3_P12ihipStream_tbPNSt15iterator_traitsISK_E10value_typeEPNSQ_ISL_E10value_typeEPSM_NS1_7vsmem_tEENKUlT_SK_SL_SM_E_clISE_PySF_SF_EESJ_SZ_SK_SL_SM_EUlSZ_E0_NS1_11comp_targetILNS1_3genE3ELNS1_11target_archE908ELNS1_3gpuE7ELNS1_3repE0EEENS1_38merge_mergepath_config_static_selectorELNS0_4arch9wavefront6targetE1EEEvSL_,"axG",@progbits,_ZN7rocprim17ROCPRIM_400000_NS6detail17trampoline_kernelINS0_14default_configENS1_38merge_sort_block_merge_config_selectorIyNS0_10empty_typeEEEZZNS1_27merge_sort_block_merge_implIS3_N6thrust23THRUST_200600_302600_NS6detail15normal_iteratorINS9_10device_ptrIyEEEEPS5_jNS1_19radix_merge_compareILb0ELb0EyNS0_19identity_decomposerEEEEE10hipError_tT0_T1_T2_jT3_P12ihipStream_tbPNSt15iterator_traitsISK_E10value_typeEPNSQ_ISL_E10value_typeEPSM_NS1_7vsmem_tEENKUlT_SK_SL_SM_E_clISE_PySF_SF_EESJ_SZ_SK_SL_SM_EUlSZ_E0_NS1_11comp_targetILNS1_3genE3ELNS1_11target_archE908ELNS1_3gpuE7ELNS1_3repE0EEENS1_38merge_mergepath_config_static_selectorELNS0_4arch9wavefront6targetE1EEEvSL_,comdat
	.protected	_ZN7rocprim17ROCPRIM_400000_NS6detail17trampoline_kernelINS0_14default_configENS1_38merge_sort_block_merge_config_selectorIyNS0_10empty_typeEEEZZNS1_27merge_sort_block_merge_implIS3_N6thrust23THRUST_200600_302600_NS6detail15normal_iteratorINS9_10device_ptrIyEEEEPS5_jNS1_19radix_merge_compareILb0ELb0EyNS0_19identity_decomposerEEEEE10hipError_tT0_T1_T2_jT3_P12ihipStream_tbPNSt15iterator_traitsISK_E10value_typeEPNSQ_ISL_E10value_typeEPSM_NS1_7vsmem_tEENKUlT_SK_SL_SM_E_clISE_PySF_SF_EESJ_SZ_SK_SL_SM_EUlSZ_E0_NS1_11comp_targetILNS1_3genE3ELNS1_11target_archE908ELNS1_3gpuE7ELNS1_3repE0EEENS1_38merge_mergepath_config_static_selectorELNS0_4arch9wavefront6targetE1EEEvSL_ ; -- Begin function _ZN7rocprim17ROCPRIM_400000_NS6detail17trampoline_kernelINS0_14default_configENS1_38merge_sort_block_merge_config_selectorIyNS0_10empty_typeEEEZZNS1_27merge_sort_block_merge_implIS3_N6thrust23THRUST_200600_302600_NS6detail15normal_iteratorINS9_10device_ptrIyEEEEPS5_jNS1_19radix_merge_compareILb0ELb0EyNS0_19identity_decomposerEEEEE10hipError_tT0_T1_T2_jT3_P12ihipStream_tbPNSt15iterator_traitsISK_E10value_typeEPNSQ_ISL_E10value_typeEPSM_NS1_7vsmem_tEENKUlT_SK_SL_SM_E_clISE_PySF_SF_EESJ_SZ_SK_SL_SM_EUlSZ_E0_NS1_11comp_targetILNS1_3genE3ELNS1_11target_archE908ELNS1_3gpuE7ELNS1_3repE0EEENS1_38merge_mergepath_config_static_selectorELNS0_4arch9wavefront6targetE1EEEvSL_
	.globl	_ZN7rocprim17ROCPRIM_400000_NS6detail17trampoline_kernelINS0_14default_configENS1_38merge_sort_block_merge_config_selectorIyNS0_10empty_typeEEEZZNS1_27merge_sort_block_merge_implIS3_N6thrust23THRUST_200600_302600_NS6detail15normal_iteratorINS9_10device_ptrIyEEEEPS5_jNS1_19radix_merge_compareILb0ELb0EyNS0_19identity_decomposerEEEEE10hipError_tT0_T1_T2_jT3_P12ihipStream_tbPNSt15iterator_traitsISK_E10value_typeEPNSQ_ISL_E10value_typeEPSM_NS1_7vsmem_tEENKUlT_SK_SL_SM_E_clISE_PySF_SF_EESJ_SZ_SK_SL_SM_EUlSZ_E0_NS1_11comp_targetILNS1_3genE3ELNS1_11target_archE908ELNS1_3gpuE7ELNS1_3repE0EEENS1_38merge_mergepath_config_static_selectorELNS0_4arch9wavefront6targetE1EEEvSL_
	.p2align	8
	.type	_ZN7rocprim17ROCPRIM_400000_NS6detail17trampoline_kernelINS0_14default_configENS1_38merge_sort_block_merge_config_selectorIyNS0_10empty_typeEEEZZNS1_27merge_sort_block_merge_implIS3_N6thrust23THRUST_200600_302600_NS6detail15normal_iteratorINS9_10device_ptrIyEEEEPS5_jNS1_19radix_merge_compareILb0ELb0EyNS0_19identity_decomposerEEEEE10hipError_tT0_T1_T2_jT3_P12ihipStream_tbPNSt15iterator_traitsISK_E10value_typeEPNSQ_ISL_E10value_typeEPSM_NS1_7vsmem_tEENKUlT_SK_SL_SM_E_clISE_PySF_SF_EESJ_SZ_SK_SL_SM_EUlSZ_E0_NS1_11comp_targetILNS1_3genE3ELNS1_11target_archE908ELNS1_3gpuE7ELNS1_3repE0EEENS1_38merge_mergepath_config_static_selectorELNS0_4arch9wavefront6targetE1EEEvSL_,@function
_ZN7rocprim17ROCPRIM_400000_NS6detail17trampoline_kernelINS0_14default_configENS1_38merge_sort_block_merge_config_selectorIyNS0_10empty_typeEEEZZNS1_27merge_sort_block_merge_implIS3_N6thrust23THRUST_200600_302600_NS6detail15normal_iteratorINS9_10device_ptrIyEEEEPS5_jNS1_19radix_merge_compareILb0ELb0EyNS0_19identity_decomposerEEEEE10hipError_tT0_T1_T2_jT3_P12ihipStream_tbPNSt15iterator_traitsISK_E10value_typeEPNSQ_ISL_E10value_typeEPSM_NS1_7vsmem_tEENKUlT_SK_SL_SM_E_clISE_PySF_SF_EESJ_SZ_SK_SL_SM_EUlSZ_E0_NS1_11comp_targetILNS1_3genE3ELNS1_11target_archE908ELNS1_3gpuE7ELNS1_3repE0EEENS1_38merge_mergepath_config_static_selectorELNS0_4arch9wavefront6targetE1EEEvSL_: ; @_ZN7rocprim17ROCPRIM_400000_NS6detail17trampoline_kernelINS0_14default_configENS1_38merge_sort_block_merge_config_selectorIyNS0_10empty_typeEEEZZNS1_27merge_sort_block_merge_implIS3_N6thrust23THRUST_200600_302600_NS6detail15normal_iteratorINS9_10device_ptrIyEEEEPS5_jNS1_19radix_merge_compareILb0ELb0EyNS0_19identity_decomposerEEEEE10hipError_tT0_T1_T2_jT3_P12ihipStream_tbPNSt15iterator_traitsISK_E10value_typeEPNSQ_ISL_E10value_typeEPSM_NS1_7vsmem_tEENKUlT_SK_SL_SM_E_clISE_PySF_SF_EESJ_SZ_SK_SL_SM_EUlSZ_E0_NS1_11comp_targetILNS1_3genE3ELNS1_11target_archE908ELNS1_3gpuE7ELNS1_3repE0EEENS1_38merge_mergepath_config_static_selectorELNS0_4arch9wavefront6targetE1EEEvSL_
; %bb.0:
	.section	.rodata,"a",@progbits
	.p2align	6, 0x0
	.amdhsa_kernel _ZN7rocprim17ROCPRIM_400000_NS6detail17trampoline_kernelINS0_14default_configENS1_38merge_sort_block_merge_config_selectorIyNS0_10empty_typeEEEZZNS1_27merge_sort_block_merge_implIS3_N6thrust23THRUST_200600_302600_NS6detail15normal_iteratorINS9_10device_ptrIyEEEEPS5_jNS1_19radix_merge_compareILb0ELb0EyNS0_19identity_decomposerEEEEE10hipError_tT0_T1_T2_jT3_P12ihipStream_tbPNSt15iterator_traitsISK_E10value_typeEPNSQ_ISL_E10value_typeEPSM_NS1_7vsmem_tEENKUlT_SK_SL_SM_E_clISE_PySF_SF_EESJ_SZ_SK_SL_SM_EUlSZ_E0_NS1_11comp_targetILNS1_3genE3ELNS1_11target_archE908ELNS1_3gpuE7ELNS1_3repE0EEENS1_38merge_mergepath_config_static_selectorELNS0_4arch9wavefront6targetE1EEEvSL_
		.amdhsa_group_segment_fixed_size 0
		.amdhsa_private_segment_fixed_size 0
		.amdhsa_kernarg_size 64
		.amdhsa_user_sgpr_count 2
		.amdhsa_user_sgpr_dispatch_ptr 0
		.amdhsa_user_sgpr_queue_ptr 0
		.amdhsa_user_sgpr_kernarg_segment_ptr 1
		.amdhsa_user_sgpr_dispatch_id 0
		.amdhsa_user_sgpr_kernarg_preload_length 0
		.amdhsa_user_sgpr_kernarg_preload_offset 0
		.amdhsa_user_sgpr_private_segment_size 0
		.amdhsa_uses_dynamic_stack 0
		.amdhsa_enable_private_segment 0
		.amdhsa_system_sgpr_workgroup_id_x 1
		.amdhsa_system_sgpr_workgroup_id_y 0
		.amdhsa_system_sgpr_workgroup_id_z 0
		.amdhsa_system_sgpr_workgroup_info 0
		.amdhsa_system_vgpr_workitem_id 0
		.amdhsa_next_free_vgpr 1
		.amdhsa_next_free_sgpr 0
		.amdhsa_accum_offset 4
		.amdhsa_reserve_vcc 0
		.amdhsa_float_round_mode_32 0
		.amdhsa_float_round_mode_16_64 0
		.amdhsa_float_denorm_mode_32 3
		.amdhsa_float_denorm_mode_16_64 3
		.amdhsa_dx10_clamp 1
		.amdhsa_ieee_mode 1
		.amdhsa_fp16_overflow 0
		.amdhsa_tg_split 0
		.amdhsa_exception_fp_ieee_invalid_op 0
		.amdhsa_exception_fp_denorm_src 0
		.amdhsa_exception_fp_ieee_div_zero 0
		.amdhsa_exception_fp_ieee_overflow 0
		.amdhsa_exception_fp_ieee_underflow 0
		.amdhsa_exception_fp_ieee_inexact 0
		.amdhsa_exception_int_div_zero 0
	.end_amdhsa_kernel
	.section	.text._ZN7rocprim17ROCPRIM_400000_NS6detail17trampoline_kernelINS0_14default_configENS1_38merge_sort_block_merge_config_selectorIyNS0_10empty_typeEEEZZNS1_27merge_sort_block_merge_implIS3_N6thrust23THRUST_200600_302600_NS6detail15normal_iteratorINS9_10device_ptrIyEEEEPS5_jNS1_19radix_merge_compareILb0ELb0EyNS0_19identity_decomposerEEEEE10hipError_tT0_T1_T2_jT3_P12ihipStream_tbPNSt15iterator_traitsISK_E10value_typeEPNSQ_ISL_E10value_typeEPSM_NS1_7vsmem_tEENKUlT_SK_SL_SM_E_clISE_PySF_SF_EESJ_SZ_SK_SL_SM_EUlSZ_E0_NS1_11comp_targetILNS1_3genE3ELNS1_11target_archE908ELNS1_3gpuE7ELNS1_3repE0EEENS1_38merge_mergepath_config_static_selectorELNS0_4arch9wavefront6targetE1EEEvSL_,"axG",@progbits,_ZN7rocprim17ROCPRIM_400000_NS6detail17trampoline_kernelINS0_14default_configENS1_38merge_sort_block_merge_config_selectorIyNS0_10empty_typeEEEZZNS1_27merge_sort_block_merge_implIS3_N6thrust23THRUST_200600_302600_NS6detail15normal_iteratorINS9_10device_ptrIyEEEEPS5_jNS1_19radix_merge_compareILb0ELb0EyNS0_19identity_decomposerEEEEE10hipError_tT0_T1_T2_jT3_P12ihipStream_tbPNSt15iterator_traitsISK_E10value_typeEPNSQ_ISL_E10value_typeEPSM_NS1_7vsmem_tEENKUlT_SK_SL_SM_E_clISE_PySF_SF_EESJ_SZ_SK_SL_SM_EUlSZ_E0_NS1_11comp_targetILNS1_3genE3ELNS1_11target_archE908ELNS1_3gpuE7ELNS1_3repE0EEENS1_38merge_mergepath_config_static_selectorELNS0_4arch9wavefront6targetE1EEEvSL_,comdat
.Lfunc_end760:
	.size	_ZN7rocprim17ROCPRIM_400000_NS6detail17trampoline_kernelINS0_14default_configENS1_38merge_sort_block_merge_config_selectorIyNS0_10empty_typeEEEZZNS1_27merge_sort_block_merge_implIS3_N6thrust23THRUST_200600_302600_NS6detail15normal_iteratorINS9_10device_ptrIyEEEEPS5_jNS1_19radix_merge_compareILb0ELb0EyNS0_19identity_decomposerEEEEE10hipError_tT0_T1_T2_jT3_P12ihipStream_tbPNSt15iterator_traitsISK_E10value_typeEPNSQ_ISL_E10value_typeEPSM_NS1_7vsmem_tEENKUlT_SK_SL_SM_E_clISE_PySF_SF_EESJ_SZ_SK_SL_SM_EUlSZ_E0_NS1_11comp_targetILNS1_3genE3ELNS1_11target_archE908ELNS1_3gpuE7ELNS1_3repE0EEENS1_38merge_mergepath_config_static_selectorELNS0_4arch9wavefront6targetE1EEEvSL_, .Lfunc_end760-_ZN7rocprim17ROCPRIM_400000_NS6detail17trampoline_kernelINS0_14default_configENS1_38merge_sort_block_merge_config_selectorIyNS0_10empty_typeEEEZZNS1_27merge_sort_block_merge_implIS3_N6thrust23THRUST_200600_302600_NS6detail15normal_iteratorINS9_10device_ptrIyEEEEPS5_jNS1_19radix_merge_compareILb0ELb0EyNS0_19identity_decomposerEEEEE10hipError_tT0_T1_T2_jT3_P12ihipStream_tbPNSt15iterator_traitsISK_E10value_typeEPNSQ_ISL_E10value_typeEPSM_NS1_7vsmem_tEENKUlT_SK_SL_SM_E_clISE_PySF_SF_EESJ_SZ_SK_SL_SM_EUlSZ_E0_NS1_11comp_targetILNS1_3genE3ELNS1_11target_archE908ELNS1_3gpuE7ELNS1_3repE0EEENS1_38merge_mergepath_config_static_selectorELNS0_4arch9wavefront6targetE1EEEvSL_
                                        ; -- End function
	.section	.AMDGPU.csdata,"",@progbits
; Kernel info:
; codeLenInByte = 0
; NumSgprs: 6
; NumVgprs: 0
; NumAgprs: 0
; TotalNumVgprs: 0
; ScratchSize: 0
; MemoryBound: 0
; FloatMode: 240
; IeeeMode: 1
; LDSByteSize: 0 bytes/workgroup (compile time only)
; SGPRBlocks: 0
; VGPRBlocks: 0
; NumSGPRsForWavesPerEU: 6
; NumVGPRsForWavesPerEU: 1
; AccumOffset: 4
; Occupancy: 8
; WaveLimiterHint : 0
; COMPUTE_PGM_RSRC2:SCRATCH_EN: 0
; COMPUTE_PGM_RSRC2:USER_SGPR: 2
; COMPUTE_PGM_RSRC2:TRAP_HANDLER: 0
; COMPUTE_PGM_RSRC2:TGID_X_EN: 1
; COMPUTE_PGM_RSRC2:TGID_Y_EN: 0
; COMPUTE_PGM_RSRC2:TGID_Z_EN: 0
; COMPUTE_PGM_RSRC2:TIDIG_COMP_CNT: 0
; COMPUTE_PGM_RSRC3_GFX90A:ACCUM_OFFSET: 0
; COMPUTE_PGM_RSRC3_GFX90A:TG_SPLIT: 0
	.section	.text._ZN7rocprim17ROCPRIM_400000_NS6detail17trampoline_kernelINS0_14default_configENS1_38merge_sort_block_merge_config_selectorIyNS0_10empty_typeEEEZZNS1_27merge_sort_block_merge_implIS3_N6thrust23THRUST_200600_302600_NS6detail15normal_iteratorINS9_10device_ptrIyEEEEPS5_jNS1_19radix_merge_compareILb0ELb0EyNS0_19identity_decomposerEEEEE10hipError_tT0_T1_T2_jT3_P12ihipStream_tbPNSt15iterator_traitsISK_E10value_typeEPNSQ_ISL_E10value_typeEPSM_NS1_7vsmem_tEENKUlT_SK_SL_SM_E_clISE_PySF_SF_EESJ_SZ_SK_SL_SM_EUlSZ_E0_NS1_11comp_targetILNS1_3genE2ELNS1_11target_archE906ELNS1_3gpuE6ELNS1_3repE0EEENS1_38merge_mergepath_config_static_selectorELNS0_4arch9wavefront6targetE1EEEvSL_,"axG",@progbits,_ZN7rocprim17ROCPRIM_400000_NS6detail17trampoline_kernelINS0_14default_configENS1_38merge_sort_block_merge_config_selectorIyNS0_10empty_typeEEEZZNS1_27merge_sort_block_merge_implIS3_N6thrust23THRUST_200600_302600_NS6detail15normal_iteratorINS9_10device_ptrIyEEEEPS5_jNS1_19radix_merge_compareILb0ELb0EyNS0_19identity_decomposerEEEEE10hipError_tT0_T1_T2_jT3_P12ihipStream_tbPNSt15iterator_traitsISK_E10value_typeEPNSQ_ISL_E10value_typeEPSM_NS1_7vsmem_tEENKUlT_SK_SL_SM_E_clISE_PySF_SF_EESJ_SZ_SK_SL_SM_EUlSZ_E0_NS1_11comp_targetILNS1_3genE2ELNS1_11target_archE906ELNS1_3gpuE6ELNS1_3repE0EEENS1_38merge_mergepath_config_static_selectorELNS0_4arch9wavefront6targetE1EEEvSL_,comdat
	.protected	_ZN7rocprim17ROCPRIM_400000_NS6detail17trampoline_kernelINS0_14default_configENS1_38merge_sort_block_merge_config_selectorIyNS0_10empty_typeEEEZZNS1_27merge_sort_block_merge_implIS3_N6thrust23THRUST_200600_302600_NS6detail15normal_iteratorINS9_10device_ptrIyEEEEPS5_jNS1_19radix_merge_compareILb0ELb0EyNS0_19identity_decomposerEEEEE10hipError_tT0_T1_T2_jT3_P12ihipStream_tbPNSt15iterator_traitsISK_E10value_typeEPNSQ_ISL_E10value_typeEPSM_NS1_7vsmem_tEENKUlT_SK_SL_SM_E_clISE_PySF_SF_EESJ_SZ_SK_SL_SM_EUlSZ_E0_NS1_11comp_targetILNS1_3genE2ELNS1_11target_archE906ELNS1_3gpuE6ELNS1_3repE0EEENS1_38merge_mergepath_config_static_selectorELNS0_4arch9wavefront6targetE1EEEvSL_ ; -- Begin function _ZN7rocprim17ROCPRIM_400000_NS6detail17trampoline_kernelINS0_14default_configENS1_38merge_sort_block_merge_config_selectorIyNS0_10empty_typeEEEZZNS1_27merge_sort_block_merge_implIS3_N6thrust23THRUST_200600_302600_NS6detail15normal_iteratorINS9_10device_ptrIyEEEEPS5_jNS1_19radix_merge_compareILb0ELb0EyNS0_19identity_decomposerEEEEE10hipError_tT0_T1_T2_jT3_P12ihipStream_tbPNSt15iterator_traitsISK_E10value_typeEPNSQ_ISL_E10value_typeEPSM_NS1_7vsmem_tEENKUlT_SK_SL_SM_E_clISE_PySF_SF_EESJ_SZ_SK_SL_SM_EUlSZ_E0_NS1_11comp_targetILNS1_3genE2ELNS1_11target_archE906ELNS1_3gpuE6ELNS1_3repE0EEENS1_38merge_mergepath_config_static_selectorELNS0_4arch9wavefront6targetE1EEEvSL_
	.globl	_ZN7rocprim17ROCPRIM_400000_NS6detail17trampoline_kernelINS0_14default_configENS1_38merge_sort_block_merge_config_selectorIyNS0_10empty_typeEEEZZNS1_27merge_sort_block_merge_implIS3_N6thrust23THRUST_200600_302600_NS6detail15normal_iteratorINS9_10device_ptrIyEEEEPS5_jNS1_19radix_merge_compareILb0ELb0EyNS0_19identity_decomposerEEEEE10hipError_tT0_T1_T2_jT3_P12ihipStream_tbPNSt15iterator_traitsISK_E10value_typeEPNSQ_ISL_E10value_typeEPSM_NS1_7vsmem_tEENKUlT_SK_SL_SM_E_clISE_PySF_SF_EESJ_SZ_SK_SL_SM_EUlSZ_E0_NS1_11comp_targetILNS1_3genE2ELNS1_11target_archE906ELNS1_3gpuE6ELNS1_3repE0EEENS1_38merge_mergepath_config_static_selectorELNS0_4arch9wavefront6targetE1EEEvSL_
	.p2align	8
	.type	_ZN7rocprim17ROCPRIM_400000_NS6detail17trampoline_kernelINS0_14default_configENS1_38merge_sort_block_merge_config_selectorIyNS0_10empty_typeEEEZZNS1_27merge_sort_block_merge_implIS3_N6thrust23THRUST_200600_302600_NS6detail15normal_iteratorINS9_10device_ptrIyEEEEPS5_jNS1_19radix_merge_compareILb0ELb0EyNS0_19identity_decomposerEEEEE10hipError_tT0_T1_T2_jT3_P12ihipStream_tbPNSt15iterator_traitsISK_E10value_typeEPNSQ_ISL_E10value_typeEPSM_NS1_7vsmem_tEENKUlT_SK_SL_SM_E_clISE_PySF_SF_EESJ_SZ_SK_SL_SM_EUlSZ_E0_NS1_11comp_targetILNS1_3genE2ELNS1_11target_archE906ELNS1_3gpuE6ELNS1_3repE0EEENS1_38merge_mergepath_config_static_selectorELNS0_4arch9wavefront6targetE1EEEvSL_,@function
_ZN7rocprim17ROCPRIM_400000_NS6detail17trampoline_kernelINS0_14default_configENS1_38merge_sort_block_merge_config_selectorIyNS0_10empty_typeEEEZZNS1_27merge_sort_block_merge_implIS3_N6thrust23THRUST_200600_302600_NS6detail15normal_iteratorINS9_10device_ptrIyEEEEPS5_jNS1_19radix_merge_compareILb0ELb0EyNS0_19identity_decomposerEEEEE10hipError_tT0_T1_T2_jT3_P12ihipStream_tbPNSt15iterator_traitsISK_E10value_typeEPNSQ_ISL_E10value_typeEPSM_NS1_7vsmem_tEENKUlT_SK_SL_SM_E_clISE_PySF_SF_EESJ_SZ_SK_SL_SM_EUlSZ_E0_NS1_11comp_targetILNS1_3genE2ELNS1_11target_archE906ELNS1_3gpuE6ELNS1_3repE0EEENS1_38merge_mergepath_config_static_selectorELNS0_4arch9wavefront6targetE1EEEvSL_: ; @_ZN7rocprim17ROCPRIM_400000_NS6detail17trampoline_kernelINS0_14default_configENS1_38merge_sort_block_merge_config_selectorIyNS0_10empty_typeEEEZZNS1_27merge_sort_block_merge_implIS3_N6thrust23THRUST_200600_302600_NS6detail15normal_iteratorINS9_10device_ptrIyEEEEPS5_jNS1_19radix_merge_compareILb0ELb0EyNS0_19identity_decomposerEEEEE10hipError_tT0_T1_T2_jT3_P12ihipStream_tbPNSt15iterator_traitsISK_E10value_typeEPNSQ_ISL_E10value_typeEPSM_NS1_7vsmem_tEENKUlT_SK_SL_SM_E_clISE_PySF_SF_EESJ_SZ_SK_SL_SM_EUlSZ_E0_NS1_11comp_targetILNS1_3genE2ELNS1_11target_archE906ELNS1_3gpuE6ELNS1_3repE0EEENS1_38merge_mergepath_config_static_selectorELNS0_4arch9wavefront6targetE1EEEvSL_
; %bb.0:
	.section	.rodata,"a",@progbits
	.p2align	6, 0x0
	.amdhsa_kernel _ZN7rocprim17ROCPRIM_400000_NS6detail17trampoline_kernelINS0_14default_configENS1_38merge_sort_block_merge_config_selectorIyNS0_10empty_typeEEEZZNS1_27merge_sort_block_merge_implIS3_N6thrust23THRUST_200600_302600_NS6detail15normal_iteratorINS9_10device_ptrIyEEEEPS5_jNS1_19radix_merge_compareILb0ELb0EyNS0_19identity_decomposerEEEEE10hipError_tT0_T1_T2_jT3_P12ihipStream_tbPNSt15iterator_traitsISK_E10value_typeEPNSQ_ISL_E10value_typeEPSM_NS1_7vsmem_tEENKUlT_SK_SL_SM_E_clISE_PySF_SF_EESJ_SZ_SK_SL_SM_EUlSZ_E0_NS1_11comp_targetILNS1_3genE2ELNS1_11target_archE906ELNS1_3gpuE6ELNS1_3repE0EEENS1_38merge_mergepath_config_static_selectorELNS0_4arch9wavefront6targetE1EEEvSL_
		.amdhsa_group_segment_fixed_size 0
		.amdhsa_private_segment_fixed_size 0
		.amdhsa_kernarg_size 64
		.amdhsa_user_sgpr_count 2
		.amdhsa_user_sgpr_dispatch_ptr 0
		.amdhsa_user_sgpr_queue_ptr 0
		.amdhsa_user_sgpr_kernarg_segment_ptr 1
		.amdhsa_user_sgpr_dispatch_id 0
		.amdhsa_user_sgpr_kernarg_preload_length 0
		.amdhsa_user_sgpr_kernarg_preload_offset 0
		.amdhsa_user_sgpr_private_segment_size 0
		.amdhsa_uses_dynamic_stack 0
		.amdhsa_enable_private_segment 0
		.amdhsa_system_sgpr_workgroup_id_x 1
		.amdhsa_system_sgpr_workgroup_id_y 0
		.amdhsa_system_sgpr_workgroup_id_z 0
		.amdhsa_system_sgpr_workgroup_info 0
		.amdhsa_system_vgpr_workitem_id 0
		.amdhsa_next_free_vgpr 1
		.amdhsa_next_free_sgpr 0
		.amdhsa_accum_offset 4
		.amdhsa_reserve_vcc 0
		.amdhsa_float_round_mode_32 0
		.amdhsa_float_round_mode_16_64 0
		.amdhsa_float_denorm_mode_32 3
		.amdhsa_float_denorm_mode_16_64 3
		.amdhsa_dx10_clamp 1
		.amdhsa_ieee_mode 1
		.amdhsa_fp16_overflow 0
		.amdhsa_tg_split 0
		.amdhsa_exception_fp_ieee_invalid_op 0
		.amdhsa_exception_fp_denorm_src 0
		.amdhsa_exception_fp_ieee_div_zero 0
		.amdhsa_exception_fp_ieee_overflow 0
		.amdhsa_exception_fp_ieee_underflow 0
		.amdhsa_exception_fp_ieee_inexact 0
		.amdhsa_exception_int_div_zero 0
	.end_amdhsa_kernel
	.section	.text._ZN7rocprim17ROCPRIM_400000_NS6detail17trampoline_kernelINS0_14default_configENS1_38merge_sort_block_merge_config_selectorIyNS0_10empty_typeEEEZZNS1_27merge_sort_block_merge_implIS3_N6thrust23THRUST_200600_302600_NS6detail15normal_iteratorINS9_10device_ptrIyEEEEPS5_jNS1_19radix_merge_compareILb0ELb0EyNS0_19identity_decomposerEEEEE10hipError_tT0_T1_T2_jT3_P12ihipStream_tbPNSt15iterator_traitsISK_E10value_typeEPNSQ_ISL_E10value_typeEPSM_NS1_7vsmem_tEENKUlT_SK_SL_SM_E_clISE_PySF_SF_EESJ_SZ_SK_SL_SM_EUlSZ_E0_NS1_11comp_targetILNS1_3genE2ELNS1_11target_archE906ELNS1_3gpuE6ELNS1_3repE0EEENS1_38merge_mergepath_config_static_selectorELNS0_4arch9wavefront6targetE1EEEvSL_,"axG",@progbits,_ZN7rocprim17ROCPRIM_400000_NS6detail17trampoline_kernelINS0_14default_configENS1_38merge_sort_block_merge_config_selectorIyNS0_10empty_typeEEEZZNS1_27merge_sort_block_merge_implIS3_N6thrust23THRUST_200600_302600_NS6detail15normal_iteratorINS9_10device_ptrIyEEEEPS5_jNS1_19radix_merge_compareILb0ELb0EyNS0_19identity_decomposerEEEEE10hipError_tT0_T1_T2_jT3_P12ihipStream_tbPNSt15iterator_traitsISK_E10value_typeEPNSQ_ISL_E10value_typeEPSM_NS1_7vsmem_tEENKUlT_SK_SL_SM_E_clISE_PySF_SF_EESJ_SZ_SK_SL_SM_EUlSZ_E0_NS1_11comp_targetILNS1_3genE2ELNS1_11target_archE906ELNS1_3gpuE6ELNS1_3repE0EEENS1_38merge_mergepath_config_static_selectorELNS0_4arch9wavefront6targetE1EEEvSL_,comdat
.Lfunc_end761:
	.size	_ZN7rocprim17ROCPRIM_400000_NS6detail17trampoline_kernelINS0_14default_configENS1_38merge_sort_block_merge_config_selectorIyNS0_10empty_typeEEEZZNS1_27merge_sort_block_merge_implIS3_N6thrust23THRUST_200600_302600_NS6detail15normal_iteratorINS9_10device_ptrIyEEEEPS5_jNS1_19radix_merge_compareILb0ELb0EyNS0_19identity_decomposerEEEEE10hipError_tT0_T1_T2_jT3_P12ihipStream_tbPNSt15iterator_traitsISK_E10value_typeEPNSQ_ISL_E10value_typeEPSM_NS1_7vsmem_tEENKUlT_SK_SL_SM_E_clISE_PySF_SF_EESJ_SZ_SK_SL_SM_EUlSZ_E0_NS1_11comp_targetILNS1_3genE2ELNS1_11target_archE906ELNS1_3gpuE6ELNS1_3repE0EEENS1_38merge_mergepath_config_static_selectorELNS0_4arch9wavefront6targetE1EEEvSL_, .Lfunc_end761-_ZN7rocprim17ROCPRIM_400000_NS6detail17trampoline_kernelINS0_14default_configENS1_38merge_sort_block_merge_config_selectorIyNS0_10empty_typeEEEZZNS1_27merge_sort_block_merge_implIS3_N6thrust23THRUST_200600_302600_NS6detail15normal_iteratorINS9_10device_ptrIyEEEEPS5_jNS1_19radix_merge_compareILb0ELb0EyNS0_19identity_decomposerEEEEE10hipError_tT0_T1_T2_jT3_P12ihipStream_tbPNSt15iterator_traitsISK_E10value_typeEPNSQ_ISL_E10value_typeEPSM_NS1_7vsmem_tEENKUlT_SK_SL_SM_E_clISE_PySF_SF_EESJ_SZ_SK_SL_SM_EUlSZ_E0_NS1_11comp_targetILNS1_3genE2ELNS1_11target_archE906ELNS1_3gpuE6ELNS1_3repE0EEENS1_38merge_mergepath_config_static_selectorELNS0_4arch9wavefront6targetE1EEEvSL_
                                        ; -- End function
	.section	.AMDGPU.csdata,"",@progbits
; Kernel info:
; codeLenInByte = 0
; NumSgprs: 6
; NumVgprs: 0
; NumAgprs: 0
; TotalNumVgprs: 0
; ScratchSize: 0
; MemoryBound: 0
; FloatMode: 240
; IeeeMode: 1
; LDSByteSize: 0 bytes/workgroup (compile time only)
; SGPRBlocks: 0
; VGPRBlocks: 0
; NumSGPRsForWavesPerEU: 6
; NumVGPRsForWavesPerEU: 1
; AccumOffset: 4
; Occupancy: 8
; WaveLimiterHint : 0
; COMPUTE_PGM_RSRC2:SCRATCH_EN: 0
; COMPUTE_PGM_RSRC2:USER_SGPR: 2
; COMPUTE_PGM_RSRC2:TRAP_HANDLER: 0
; COMPUTE_PGM_RSRC2:TGID_X_EN: 1
; COMPUTE_PGM_RSRC2:TGID_Y_EN: 0
; COMPUTE_PGM_RSRC2:TGID_Z_EN: 0
; COMPUTE_PGM_RSRC2:TIDIG_COMP_CNT: 0
; COMPUTE_PGM_RSRC3_GFX90A:ACCUM_OFFSET: 0
; COMPUTE_PGM_RSRC3_GFX90A:TG_SPLIT: 0
	.section	.text._ZN7rocprim17ROCPRIM_400000_NS6detail17trampoline_kernelINS0_14default_configENS1_38merge_sort_block_merge_config_selectorIyNS0_10empty_typeEEEZZNS1_27merge_sort_block_merge_implIS3_N6thrust23THRUST_200600_302600_NS6detail15normal_iteratorINS9_10device_ptrIyEEEEPS5_jNS1_19radix_merge_compareILb0ELb0EyNS0_19identity_decomposerEEEEE10hipError_tT0_T1_T2_jT3_P12ihipStream_tbPNSt15iterator_traitsISK_E10value_typeEPNSQ_ISL_E10value_typeEPSM_NS1_7vsmem_tEENKUlT_SK_SL_SM_E_clISE_PySF_SF_EESJ_SZ_SK_SL_SM_EUlSZ_E0_NS1_11comp_targetILNS1_3genE9ELNS1_11target_archE1100ELNS1_3gpuE3ELNS1_3repE0EEENS1_38merge_mergepath_config_static_selectorELNS0_4arch9wavefront6targetE1EEEvSL_,"axG",@progbits,_ZN7rocprim17ROCPRIM_400000_NS6detail17trampoline_kernelINS0_14default_configENS1_38merge_sort_block_merge_config_selectorIyNS0_10empty_typeEEEZZNS1_27merge_sort_block_merge_implIS3_N6thrust23THRUST_200600_302600_NS6detail15normal_iteratorINS9_10device_ptrIyEEEEPS5_jNS1_19radix_merge_compareILb0ELb0EyNS0_19identity_decomposerEEEEE10hipError_tT0_T1_T2_jT3_P12ihipStream_tbPNSt15iterator_traitsISK_E10value_typeEPNSQ_ISL_E10value_typeEPSM_NS1_7vsmem_tEENKUlT_SK_SL_SM_E_clISE_PySF_SF_EESJ_SZ_SK_SL_SM_EUlSZ_E0_NS1_11comp_targetILNS1_3genE9ELNS1_11target_archE1100ELNS1_3gpuE3ELNS1_3repE0EEENS1_38merge_mergepath_config_static_selectorELNS0_4arch9wavefront6targetE1EEEvSL_,comdat
	.protected	_ZN7rocprim17ROCPRIM_400000_NS6detail17trampoline_kernelINS0_14default_configENS1_38merge_sort_block_merge_config_selectorIyNS0_10empty_typeEEEZZNS1_27merge_sort_block_merge_implIS3_N6thrust23THRUST_200600_302600_NS6detail15normal_iteratorINS9_10device_ptrIyEEEEPS5_jNS1_19radix_merge_compareILb0ELb0EyNS0_19identity_decomposerEEEEE10hipError_tT0_T1_T2_jT3_P12ihipStream_tbPNSt15iterator_traitsISK_E10value_typeEPNSQ_ISL_E10value_typeEPSM_NS1_7vsmem_tEENKUlT_SK_SL_SM_E_clISE_PySF_SF_EESJ_SZ_SK_SL_SM_EUlSZ_E0_NS1_11comp_targetILNS1_3genE9ELNS1_11target_archE1100ELNS1_3gpuE3ELNS1_3repE0EEENS1_38merge_mergepath_config_static_selectorELNS0_4arch9wavefront6targetE1EEEvSL_ ; -- Begin function _ZN7rocprim17ROCPRIM_400000_NS6detail17trampoline_kernelINS0_14default_configENS1_38merge_sort_block_merge_config_selectorIyNS0_10empty_typeEEEZZNS1_27merge_sort_block_merge_implIS3_N6thrust23THRUST_200600_302600_NS6detail15normal_iteratorINS9_10device_ptrIyEEEEPS5_jNS1_19radix_merge_compareILb0ELb0EyNS0_19identity_decomposerEEEEE10hipError_tT0_T1_T2_jT3_P12ihipStream_tbPNSt15iterator_traitsISK_E10value_typeEPNSQ_ISL_E10value_typeEPSM_NS1_7vsmem_tEENKUlT_SK_SL_SM_E_clISE_PySF_SF_EESJ_SZ_SK_SL_SM_EUlSZ_E0_NS1_11comp_targetILNS1_3genE9ELNS1_11target_archE1100ELNS1_3gpuE3ELNS1_3repE0EEENS1_38merge_mergepath_config_static_selectorELNS0_4arch9wavefront6targetE1EEEvSL_
	.globl	_ZN7rocprim17ROCPRIM_400000_NS6detail17trampoline_kernelINS0_14default_configENS1_38merge_sort_block_merge_config_selectorIyNS0_10empty_typeEEEZZNS1_27merge_sort_block_merge_implIS3_N6thrust23THRUST_200600_302600_NS6detail15normal_iteratorINS9_10device_ptrIyEEEEPS5_jNS1_19radix_merge_compareILb0ELb0EyNS0_19identity_decomposerEEEEE10hipError_tT0_T1_T2_jT3_P12ihipStream_tbPNSt15iterator_traitsISK_E10value_typeEPNSQ_ISL_E10value_typeEPSM_NS1_7vsmem_tEENKUlT_SK_SL_SM_E_clISE_PySF_SF_EESJ_SZ_SK_SL_SM_EUlSZ_E0_NS1_11comp_targetILNS1_3genE9ELNS1_11target_archE1100ELNS1_3gpuE3ELNS1_3repE0EEENS1_38merge_mergepath_config_static_selectorELNS0_4arch9wavefront6targetE1EEEvSL_
	.p2align	8
	.type	_ZN7rocprim17ROCPRIM_400000_NS6detail17trampoline_kernelINS0_14default_configENS1_38merge_sort_block_merge_config_selectorIyNS0_10empty_typeEEEZZNS1_27merge_sort_block_merge_implIS3_N6thrust23THRUST_200600_302600_NS6detail15normal_iteratorINS9_10device_ptrIyEEEEPS5_jNS1_19radix_merge_compareILb0ELb0EyNS0_19identity_decomposerEEEEE10hipError_tT0_T1_T2_jT3_P12ihipStream_tbPNSt15iterator_traitsISK_E10value_typeEPNSQ_ISL_E10value_typeEPSM_NS1_7vsmem_tEENKUlT_SK_SL_SM_E_clISE_PySF_SF_EESJ_SZ_SK_SL_SM_EUlSZ_E0_NS1_11comp_targetILNS1_3genE9ELNS1_11target_archE1100ELNS1_3gpuE3ELNS1_3repE0EEENS1_38merge_mergepath_config_static_selectorELNS0_4arch9wavefront6targetE1EEEvSL_,@function
_ZN7rocprim17ROCPRIM_400000_NS6detail17trampoline_kernelINS0_14default_configENS1_38merge_sort_block_merge_config_selectorIyNS0_10empty_typeEEEZZNS1_27merge_sort_block_merge_implIS3_N6thrust23THRUST_200600_302600_NS6detail15normal_iteratorINS9_10device_ptrIyEEEEPS5_jNS1_19radix_merge_compareILb0ELb0EyNS0_19identity_decomposerEEEEE10hipError_tT0_T1_T2_jT3_P12ihipStream_tbPNSt15iterator_traitsISK_E10value_typeEPNSQ_ISL_E10value_typeEPSM_NS1_7vsmem_tEENKUlT_SK_SL_SM_E_clISE_PySF_SF_EESJ_SZ_SK_SL_SM_EUlSZ_E0_NS1_11comp_targetILNS1_3genE9ELNS1_11target_archE1100ELNS1_3gpuE3ELNS1_3repE0EEENS1_38merge_mergepath_config_static_selectorELNS0_4arch9wavefront6targetE1EEEvSL_: ; @_ZN7rocprim17ROCPRIM_400000_NS6detail17trampoline_kernelINS0_14default_configENS1_38merge_sort_block_merge_config_selectorIyNS0_10empty_typeEEEZZNS1_27merge_sort_block_merge_implIS3_N6thrust23THRUST_200600_302600_NS6detail15normal_iteratorINS9_10device_ptrIyEEEEPS5_jNS1_19radix_merge_compareILb0ELb0EyNS0_19identity_decomposerEEEEE10hipError_tT0_T1_T2_jT3_P12ihipStream_tbPNSt15iterator_traitsISK_E10value_typeEPNSQ_ISL_E10value_typeEPSM_NS1_7vsmem_tEENKUlT_SK_SL_SM_E_clISE_PySF_SF_EESJ_SZ_SK_SL_SM_EUlSZ_E0_NS1_11comp_targetILNS1_3genE9ELNS1_11target_archE1100ELNS1_3gpuE3ELNS1_3repE0EEENS1_38merge_mergepath_config_static_selectorELNS0_4arch9wavefront6targetE1EEEvSL_
; %bb.0:
	.section	.rodata,"a",@progbits
	.p2align	6, 0x0
	.amdhsa_kernel _ZN7rocprim17ROCPRIM_400000_NS6detail17trampoline_kernelINS0_14default_configENS1_38merge_sort_block_merge_config_selectorIyNS0_10empty_typeEEEZZNS1_27merge_sort_block_merge_implIS3_N6thrust23THRUST_200600_302600_NS6detail15normal_iteratorINS9_10device_ptrIyEEEEPS5_jNS1_19radix_merge_compareILb0ELb0EyNS0_19identity_decomposerEEEEE10hipError_tT0_T1_T2_jT3_P12ihipStream_tbPNSt15iterator_traitsISK_E10value_typeEPNSQ_ISL_E10value_typeEPSM_NS1_7vsmem_tEENKUlT_SK_SL_SM_E_clISE_PySF_SF_EESJ_SZ_SK_SL_SM_EUlSZ_E0_NS1_11comp_targetILNS1_3genE9ELNS1_11target_archE1100ELNS1_3gpuE3ELNS1_3repE0EEENS1_38merge_mergepath_config_static_selectorELNS0_4arch9wavefront6targetE1EEEvSL_
		.amdhsa_group_segment_fixed_size 0
		.amdhsa_private_segment_fixed_size 0
		.amdhsa_kernarg_size 64
		.amdhsa_user_sgpr_count 2
		.amdhsa_user_sgpr_dispatch_ptr 0
		.amdhsa_user_sgpr_queue_ptr 0
		.amdhsa_user_sgpr_kernarg_segment_ptr 1
		.amdhsa_user_sgpr_dispatch_id 0
		.amdhsa_user_sgpr_kernarg_preload_length 0
		.amdhsa_user_sgpr_kernarg_preload_offset 0
		.amdhsa_user_sgpr_private_segment_size 0
		.amdhsa_uses_dynamic_stack 0
		.amdhsa_enable_private_segment 0
		.amdhsa_system_sgpr_workgroup_id_x 1
		.amdhsa_system_sgpr_workgroup_id_y 0
		.amdhsa_system_sgpr_workgroup_id_z 0
		.amdhsa_system_sgpr_workgroup_info 0
		.amdhsa_system_vgpr_workitem_id 0
		.amdhsa_next_free_vgpr 1
		.amdhsa_next_free_sgpr 0
		.amdhsa_accum_offset 4
		.amdhsa_reserve_vcc 0
		.amdhsa_float_round_mode_32 0
		.amdhsa_float_round_mode_16_64 0
		.amdhsa_float_denorm_mode_32 3
		.amdhsa_float_denorm_mode_16_64 3
		.amdhsa_dx10_clamp 1
		.amdhsa_ieee_mode 1
		.amdhsa_fp16_overflow 0
		.amdhsa_tg_split 0
		.amdhsa_exception_fp_ieee_invalid_op 0
		.amdhsa_exception_fp_denorm_src 0
		.amdhsa_exception_fp_ieee_div_zero 0
		.amdhsa_exception_fp_ieee_overflow 0
		.amdhsa_exception_fp_ieee_underflow 0
		.amdhsa_exception_fp_ieee_inexact 0
		.amdhsa_exception_int_div_zero 0
	.end_amdhsa_kernel
	.section	.text._ZN7rocprim17ROCPRIM_400000_NS6detail17trampoline_kernelINS0_14default_configENS1_38merge_sort_block_merge_config_selectorIyNS0_10empty_typeEEEZZNS1_27merge_sort_block_merge_implIS3_N6thrust23THRUST_200600_302600_NS6detail15normal_iteratorINS9_10device_ptrIyEEEEPS5_jNS1_19radix_merge_compareILb0ELb0EyNS0_19identity_decomposerEEEEE10hipError_tT0_T1_T2_jT3_P12ihipStream_tbPNSt15iterator_traitsISK_E10value_typeEPNSQ_ISL_E10value_typeEPSM_NS1_7vsmem_tEENKUlT_SK_SL_SM_E_clISE_PySF_SF_EESJ_SZ_SK_SL_SM_EUlSZ_E0_NS1_11comp_targetILNS1_3genE9ELNS1_11target_archE1100ELNS1_3gpuE3ELNS1_3repE0EEENS1_38merge_mergepath_config_static_selectorELNS0_4arch9wavefront6targetE1EEEvSL_,"axG",@progbits,_ZN7rocprim17ROCPRIM_400000_NS6detail17trampoline_kernelINS0_14default_configENS1_38merge_sort_block_merge_config_selectorIyNS0_10empty_typeEEEZZNS1_27merge_sort_block_merge_implIS3_N6thrust23THRUST_200600_302600_NS6detail15normal_iteratorINS9_10device_ptrIyEEEEPS5_jNS1_19radix_merge_compareILb0ELb0EyNS0_19identity_decomposerEEEEE10hipError_tT0_T1_T2_jT3_P12ihipStream_tbPNSt15iterator_traitsISK_E10value_typeEPNSQ_ISL_E10value_typeEPSM_NS1_7vsmem_tEENKUlT_SK_SL_SM_E_clISE_PySF_SF_EESJ_SZ_SK_SL_SM_EUlSZ_E0_NS1_11comp_targetILNS1_3genE9ELNS1_11target_archE1100ELNS1_3gpuE3ELNS1_3repE0EEENS1_38merge_mergepath_config_static_selectorELNS0_4arch9wavefront6targetE1EEEvSL_,comdat
.Lfunc_end762:
	.size	_ZN7rocprim17ROCPRIM_400000_NS6detail17trampoline_kernelINS0_14default_configENS1_38merge_sort_block_merge_config_selectorIyNS0_10empty_typeEEEZZNS1_27merge_sort_block_merge_implIS3_N6thrust23THRUST_200600_302600_NS6detail15normal_iteratorINS9_10device_ptrIyEEEEPS5_jNS1_19radix_merge_compareILb0ELb0EyNS0_19identity_decomposerEEEEE10hipError_tT0_T1_T2_jT3_P12ihipStream_tbPNSt15iterator_traitsISK_E10value_typeEPNSQ_ISL_E10value_typeEPSM_NS1_7vsmem_tEENKUlT_SK_SL_SM_E_clISE_PySF_SF_EESJ_SZ_SK_SL_SM_EUlSZ_E0_NS1_11comp_targetILNS1_3genE9ELNS1_11target_archE1100ELNS1_3gpuE3ELNS1_3repE0EEENS1_38merge_mergepath_config_static_selectorELNS0_4arch9wavefront6targetE1EEEvSL_, .Lfunc_end762-_ZN7rocprim17ROCPRIM_400000_NS6detail17trampoline_kernelINS0_14default_configENS1_38merge_sort_block_merge_config_selectorIyNS0_10empty_typeEEEZZNS1_27merge_sort_block_merge_implIS3_N6thrust23THRUST_200600_302600_NS6detail15normal_iteratorINS9_10device_ptrIyEEEEPS5_jNS1_19radix_merge_compareILb0ELb0EyNS0_19identity_decomposerEEEEE10hipError_tT0_T1_T2_jT3_P12ihipStream_tbPNSt15iterator_traitsISK_E10value_typeEPNSQ_ISL_E10value_typeEPSM_NS1_7vsmem_tEENKUlT_SK_SL_SM_E_clISE_PySF_SF_EESJ_SZ_SK_SL_SM_EUlSZ_E0_NS1_11comp_targetILNS1_3genE9ELNS1_11target_archE1100ELNS1_3gpuE3ELNS1_3repE0EEENS1_38merge_mergepath_config_static_selectorELNS0_4arch9wavefront6targetE1EEEvSL_
                                        ; -- End function
	.section	.AMDGPU.csdata,"",@progbits
; Kernel info:
; codeLenInByte = 0
; NumSgprs: 6
; NumVgprs: 0
; NumAgprs: 0
; TotalNumVgprs: 0
; ScratchSize: 0
; MemoryBound: 0
; FloatMode: 240
; IeeeMode: 1
; LDSByteSize: 0 bytes/workgroup (compile time only)
; SGPRBlocks: 0
; VGPRBlocks: 0
; NumSGPRsForWavesPerEU: 6
; NumVGPRsForWavesPerEU: 1
; AccumOffset: 4
; Occupancy: 8
; WaveLimiterHint : 0
; COMPUTE_PGM_RSRC2:SCRATCH_EN: 0
; COMPUTE_PGM_RSRC2:USER_SGPR: 2
; COMPUTE_PGM_RSRC2:TRAP_HANDLER: 0
; COMPUTE_PGM_RSRC2:TGID_X_EN: 1
; COMPUTE_PGM_RSRC2:TGID_Y_EN: 0
; COMPUTE_PGM_RSRC2:TGID_Z_EN: 0
; COMPUTE_PGM_RSRC2:TIDIG_COMP_CNT: 0
; COMPUTE_PGM_RSRC3_GFX90A:ACCUM_OFFSET: 0
; COMPUTE_PGM_RSRC3_GFX90A:TG_SPLIT: 0
	.section	.text._ZN7rocprim17ROCPRIM_400000_NS6detail17trampoline_kernelINS0_14default_configENS1_38merge_sort_block_merge_config_selectorIyNS0_10empty_typeEEEZZNS1_27merge_sort_block_merge_implIS3_N6thrust23THRUST_200600_302600_NS6detail15normal_iteratorINS9_10device_ptrIyEEEEPS5_jNS1_19radix_merge_compareILb0ELb0EyNS0_19identity_decomposerEEEEE10hipError_tT0_T1_T2_jT3_P12ihipStream_tbPNSt15iterator_traitsISK_E10value_typeEPNSQ_ISL_E10value_typeEPSM_NS1_7vsmem_tEENKUlT_SK_SL_SM_E_clISE_PySF_SF_EESJ_SZ_SK_SL_SM_EUlSZ_E0_NS1_11comp_targetILNS1_3genE8ELNS1_11target_archE1030ELNS1_3gpuE2ELNS1_3repE0EEENS1_38merge_mergepath_config_static_selectorELNS0_4arch9wavefront6targetE1EEEvSL_,"axG",@progbits,_ZN7rocprim17ROCPRIM_400000_NS6detail17trampoline_kernelINS0_14default_configENS1_38merge_sort_block_merge_config_selectorIyNS0_10empty_typeEEEZZNS1_27merge_sort_block_merge_implIS3_N6thrust23THRUST_200600_302600_NS6detail15normal_iteratorINS9_10device_ptrIyEEEEPS5_jNS1_19radix_merge_compareILb0ELb0EyNS0_19identity_decomposerEEEEE10hipError_tT0_T1_T2_jT3_P12ihipStream_tbPNSt15iterator_traitsISK_E10value_typeEPNSQ_ISL_E10value_typeEPSM_NS1_7vsmem_tEENKUlT_SK_SL_SM_E_clISE_PySF_SF_EESJ_SZ_SK_SL_SM_EUlSZ_E0_NS1_11comp_targetILNS1_3genE8ELNS1_11target_archE1030ELNS1_3gpuE2ELNS1_3repE0EEENS1_38merge_mergepath_config_static_selectorELNS0_4arch9wavefront6targetE1EEEvSL_,comdat
	.protected	_ZN7rocprim17ROCPRIM_400000_NS6detail17trampoline_kernelINS0_14default_configENS1_38merge_sort_block_merge_config_selectorIyNS0_10empty_typeEEEZZNS1_27merge_sort_block_merge_implIS3_N6thrust23THRUST_200600_302600_NS6detail15normal_iteratorINS9_10device_ptrIyEEEEPS5_jNS1_19radix_merge_compareILb0ELb0EyNS0_19identity_decomposerEEEEE10hipError_tT0_T1_T2_jT3_P12ihipStream_tbPNSt15iterator_traitsISK_E10value_typeEPNSQ_ISL_E10value_typeEPSM_NS1_7vsmem_tEENKUlT_SK_SL_SM_E_clISE_PySF_SF_EESJ_SZ_SK_SL_SM_EUlSZ_E0_NS1_11comp_targetILNS1_3genE8ELNS1_11target_archE1030ELNS1_3gpuE2ELNS1_3repE0EEENS1_38merge_mergepath_config_static_selectorELNS0_4arch9wavefront6targetE1EEEvSL_ ; -- Begin function _ZN7rocprim17ROCPRIM_400000_NS6detail17trampoline_kernelINS0_14default_configENS1_38merge_sort_block_merge_config_selectorIyNS0_10empty_typeEEEZZNS1_27merge_sort_block_merge_implIS3_N6thrust23THRUST_200600_302600_NS6detail15normal_iteratorINS9_10device_ptrIyEEEEPS5_jNS1_19radix_merge_compareILb0ELb0EyNS0_19identity_decomposerEEEEE10hipError_tT0_T1_T2_jT3_P12ihipStream_tbPNSt15iterator_traitsISK_E10value_typeEPNSQ_ISL_E10value_typeEPSM_NS1_7vsmem_tEENKUlT_SK_SL_SM_E_clISE_PySF_SF_EESJ_SZ_SK_SL_SM_EUlSZ_E0_NS1_11comp_targetILNS1_3genE8ELNS1_11target_archE1030ELNS1_3gpuE2ELNS1_3repE0EEENS1_38merge_mergepath_config_static_selectorELNS0_4arch9wavefront6targetE1EEEvSL_
	.globl	_ZN7rocprim17ROCPRIM_400000_NS6detail17trampoline_kernelINS0_14default_configENS1_38merge_sort_block_merge_config_selectorIyNS0_10empty_typeEEEZZNS1_27merge_sort_block_merge_implIS3_N6thrust23THRUST_200600_302600_NS6detail15normal_iteratorINS9_10device_ptrIyEEEEPS5_jNS1_19radix_merge_compareILb0ELb0EyNS0_19identity_decomposerEEEEE10hipError_tT0_T1_T2_jT3_P12ihipStream_tbPNSt15iterator_traitsISK_E10value_typeEPNSQ_ISL_E10value_typeEPSM_NS1_7vsmem_tEENKUlT_SK_SL_SM_E_clISE_PySF_SF_EESJ_SZ_SK_SL_SM_EUlSZ_E0_NS1_11comp_targetILNS1_3genE8ELNS1_11target_archE1030ELNS1_3gpuE2ELNS1_3repE0EEENS1_38merge_mergepath_config_static_selectorELNS0_4arch9wavefront6targetE1EEEvSL_
	.p2align	8
	.type	_ZN7rocprim17ROCPRIM_400000_NS6detail17trampoline_kernelINS0_14default_configENS1_38merge_sort_block_merge_config_selectorIyNS0_10empty_typeEEEZZNS1_27merge_sort_block_merge_implIS3_N6thrust23THRUST_200600_302600_NS6detail15normal_iteratorINS9_10device_ptrIyEEEEPS5_jNS1_19radix_merge_compareILb0ELb0EyNS0_19identity_decomposerEEEEE10hipError_tT0_T1_T2_jT3_P12ihipStream_tbPNSt15iterator_traitsISK_E10value_typeEPNSQ_ISL_E10value_typeEPSM_NS1_7vsmem_tEENKUlT_SK_SL_SM_E_clISE_PySF_SF_EESJ_SZ_SK_SL_SM_EUlSZ_E0_NS1_11comp_targetILNS1_3genE8ELNS1_11target_archE1030ELNS1_3gpuE2ELNS1_3repE0EEENS1_38merge_mergepath_config_static_selectorELNS0_4arch9wavefront6targetE1EEEvSL_,@function
_ZN7rocprim17ROCPRIM_400000_NS6detail17trampoline_kernelINS0_14default_configENS1_38merge_sort_block_merge_config_selectorIyNS0_10empty_typeEEEZZNS1_27merge_sort_block_merge_implIS3_N6thrust23THRUST_200600_302600_NS6detail15normal_iteratorINS9_10device_ptrIyEEEEPS5_jNS1_19radix_merge_compareILb0ELb0EyNS0_19identity_decomposerEEEEE10hipError_tT0_T1_T2_jT3_P12ihipStream_tbPNSt15iterator_traitsISK_E10value_typeEPNSQ_ISL_E10value_typeEPSM_NS1_7vsmem_tEENKUlT_SK_SL_SM_E_clISE_PySF_SF_EESJ_SZ_SK_SL_SM_EUlSZ_E0_NS1_11comp_targetILNS1_3genE8ELNS1_11target_archE1030ELNS1_3gpuE2ELNS1_3repE0EEENS1_38merge_mergepath_config_static_selectorELNS0_4arch9wavefront6targetE1EEEvSL_: ; @_ZN7rocprim17ROCPRIM_400000_NS6detail17trampoline_kernelINS0_14default_configENS1_38merge_sort_block_merge_config_selectorIyNS0_10empty_typeEEEZZNS1_27merge_sort_block_merge_implIS3_N6thrust23THRUST_200600_302600_NS6detail15normal_iteratorINS9_10device_ptrIyEEEEPS5_jNS1_19radix_merge_compareILb0ELb0EyNS0_19identity_decomposerEEEEE10hipError_tT0_T1_T2_jT3_P12ihipStream_tbPNSt15iterator_traitsISK_E10value_typeEPNSQ_ISL_E10value_typeEPSM_NS1_7vsmem_tEENKUlT_SK_SL_SM_E_clISE_PySF_SF_EESJ_SZ_SK_SL_SM_EUlSZ_E0_NS1_11comp_targetILNS1_3genE8ELNS1_11target_archE1030ELNS1_3gpuE2ELNS1_3repE0EEENS1_38merge_mergepath_config_static_selectorELNS0_4arch9wavefront6targetE1EEEvSL_
; %bb.0:
	.section	.rodata,"a",@progbits
	.p2align	6, 0x0
	.amdhsa_kernel _ZN7rocprim17ROCPRIM_400000_NS6detail17trampoline_kernelINS0_14default_configENS1_38merge_sort_block_merge_config_selectorIyNS0_10empty_typeEEEZZNS1_27merge_sort_block_merge_implIS3_N6thrust23THRUST_200600_302600_NS6detail15normal_iteratorINS9_10device_ptrIyEEEEPS5_jNS1_19radix_merge_compareILb0ELb0EyNS0_19identity_decomposerEEEEE10hipError_tT0_T1_T2_jT3_P12ihipStream_tbPNSt15iterator_traitsISK_E10value_typeEPNSQ_ISL_E10value_typeEPSM_NS1_7vsmem_tEENKUlT_SK_SL_SM_E_clISE_PySF_SF_EESJ_SZ_SK_SL_SM_EUlSZ_E0_NS1_11comp_targetILNS1_3genE8ELNS1_11target_archE1030ELNS1_3gpuE2ELNS1_3repE0EEENS1_38merge_mergepath_config_static_selectorELNS0_4arch9wavefront6targetE1EEEvSL_
		.amdhsa_group_segment_fixed_size 0
		.amdhsa_private_segment_fixed_size 0
		.amdhsa_kernarg_size 64
		.amdhsa_user_sgpr_count 2
		.amdhsa_user_sgpr_dispatch_ptr 0
		.amdhsa_user_sgpr_queue_ptr 0
		.amdhsa_user_sgpr_kernarg_segment_ptr 1
		.amdhsa_user_sgpr_dispatch_id 0
		.amdhsa_user_sgpr_kernarg_preload_length 0
		.amdhsa_user_sgpr_kernarg_preload_offset 0
		.amdhsa_user_sgpr_private_segment_size 0
		.amdhsa_uses_dynamic_stack 0
		.amdhsa_enable_private_segment 0
		.amdhsa_system_sgpr_workgroup_id_x 1
		.amdhsa_system_sgpr_workgroup_id_y 0
		.amdhsa_system_sgpr_workgroup_id_z 0
		.amdhsa_system_sgpr_workgroup_info 0
		.amdhsa_system_vgpr_workitem_id 0
		.amdhsa_next_free_vgpr 1
		.amdhsa_next_free_sgpr 0
		.amdhsa_accum_offset 4
		.amdhsa_reserve_vcc 0
		.amdhsa_float_round_mode_32 0
		.amdhsa_float_round_mode_16_64 0
		.amdhsa_float_denorm_mode_32 3
		.amdhsa_float_denorm_mode_16_64 3
		.amdhsa_dx10_clamp 1
		.amdhsa_ieee_mode 1
		.amdhsa_fp16_overflow 0
		.amdhsa_tg_split 0
		.amdhsa_exception_fp_ieee_invalid_op 0
		.amdhsa_exception_fp_denorm_src 0
		.amdhsa_exception_fp_ieee_div_zero 0
		.amdhsa_exception_fp_ieee_overflow 0
		.amdhsa_exception_fp_ieee_underflow 0
		.amdhsa_exception_fp_ieee_inexact 0
		.amdhsa_exception_int_div_zero 0
	.end_amdhsa_kernel
	.section	.text._ZN7rocprim17ROCPRIM_400000_NS6detail17trampoline_kernelINS0_14default_configENS1_38merge_sort_block_merge_config_selectorIyNS0_10empty_typeEEEZZNS1_27merge_sort_block_merge_implIS3_N6thrust23THRUST_200600_302600_NS6detail15normal_iteratorINS9_10device_ptrIyEEEEPS5_jNS1_19radix_merge_compareILb0ELb0EyNS0_19identity_decomposerEEEEE10hipError_tT0_T1_T2_jT3_P12ihipStream_tbPNSt15iterator_traitsISK_E10value_typeEPNSQ_ISL_E10value_typeEPSM_NS1_7vsmem_tEENKUlT_SK_SL_SM_E_clISE_PySF_SF_EESJ_SZ_SK_SL_SM_EUlSZ_E0_NS1_11comp_targetILNS1_3genE8ELNS1_11target_archE1030ELNS1_3gpuE2ELNS1_3repE0EEENS1_38merge_mergepath_config_static_selectorELNS0_4arch9wavefront6targetE1EEEvSL_,"axG",@progbits,_ZN7rocprim17ROCPRIM_400000_NS6detail17trampoline_kernelINS0_14default_configENS1_38merge_sort_block_merge_config_selectorIyNS0_10empty_typeEEEZZNS1_27merge_sort_block_merge_implIS3_N6thrust23THRUST_200600_302600_NS6detail15normal_iteratorINS9_10device_ptrIyEEEEPS5_jNS1_19radix_merge_compareILb0ELb0EyNS0_19identity_decomposerEEEEE10hipError_tT0_T1_T2_jT3_P12ihipStream_tbPNSt15iterator_traitsISK_E10value_typeEPNSQ_ISL_E10value_typeEPSM_NS1_7vsmem_tEENKUlT_SK_SL_SM_E_clISE_PySF_SF_EESJ_SZ_SK_SL_SM_EUlSZ_E0_NS1_11comp_targetILNS1_3genE8ELNS1_11target_archE1030ELNS1_3gpuE2ELNS1_3repE0EEENS1_38merge_mergepath_config_static_selectorELNS0_4arch9wavefront6targetE1EEEvSL_,comdat
.Lfunc_end763:
	.size	_ZN7rocprim17ROCPRIM_400000_NS6detail17trampoline_kernelINS0_14default_configENS1_38merge_sort_block_merge_config_selectorIyNS0_10empty_typeEEEZZNS1_27merge_sort_block_merge_implIS3_N6thrust23THRUST_200600_302600_NS6detail15normal_iteratorINS9_10device_ptrIyEEEEPS5_jNS1_19radix_merge_compareILb0ELb0EyNS0_19identity_decomposerEEEEE10hipError_tT0_T1_T2_jT3_P12ihipStream_tbPNSt15iterator_traitsISK_E10value_typeEPNSQ_ISL_E10value_typeEPSM_NS1_7vsmem_tEENKUlT_SK_SL_SM_E_clISE_PySF_SF_EESJ_SZ_SK_SL_SM_EUlSZ_E0_NS1_11comp_targetILNS1_3genE8ELNS1_11target_archE1030ELNS1_3gpuE2ELNS1_3repE0EEENS1_38merge_mergepath_config_static_selectorELNS0_4arch9wavefront6targetE1EEEvSL_, .Lfunc_end763-_ZN7rocprim17ROCPRIM_400000_NS6detail17trampoline_kernelINS0_14default_configENS1_38merge_sort_block_merge_config_selectorIyNS0_10empty_typeEEEZZNS1_27merge_sort_block_merge_implIS3_N6thrust23THRUST_200600_302600_NS6detail15normal_iteratorINS9_10device_ptrIyEEEEPS5_jNS1_19radix_merge_compareILb0ELb0EyNS0_19identity_decomposerEEEEE10hipError_tT0_T1_T2_jT3_P12ihipStream_tbPNSt15iterator_traitsISK_E10value_typeEPNSQ_ISL_E10value_typeEPSM_NS1_7vsmem_tEENKUlT_SK_SL_SM_E_clISE_PySF_SF_EESJ_SZ_SK_SL_SM_EUlSZ_E0_NS1_11comp_targetILNS1_3genE8ELNS1_11target_archE1030ELNS1_3gpuE2ELNS1_3repE0EEENS1_38merge_mergepath_config_static_selectorELNS0_4arch9wavefront6targetE1EEEvSL_
                                        ; -- End function
	.section	.AMDGPU.csdata,"",@progbits
; Kernel info:
; codeLenInByte = 0
; NumSgprs: 6
; NumVgprs: 0
; NumAgprs: 0
; TotalNumVgprs: 0
; ScratchSize: 0
; MemoryBound: 0
; FloatMode: 240
; IeeeMode: 1
; LDSByteSize: 0 bytes/workgroup (compile time only)
; SGPRBlocks: 0
; VGPRBlocks: 0
; NumSGPRsForWavesPerEU: 6
; NumVGPRsForWavesPerEU: 1
; AccumOffset: 4
; Occupancy: 8
; WaveLimiterHint : 0
; COMPUTE_PGM_RSRC2:SCRATCH_EN: 0
; COMPUTE_PGM_RSRC2:USER_SGPR: 2
; COMPUTE_PGM_RSRC2:TRAP_HANDLER: 0
; COMPUTE_PGM_RSRC2:TGID_X_EN: 1
; COMPUTE_PGM_RSRC2:TGID_Y_EN: 0
; COMPUTE_PGM_RSRC2:TGID_Z_EN: 0
; COMPUTE_PGM_RSRC2:TIDIG_COMP_CNT: 0
; COMPUTE_PGM_RSRC3_GFX90A:ACCUM_OFFSET: 0
; COMPUTE_PGM_RSRC3_GFX90A:TG_SPLIT: 0
	.section	.text._ZN7rocprim17ROCPRIM_400000_NS6detail17trampoline_kernelINS0_14default_configENS1_38merge_sort_block_merge_config_selectorIyNS0_10empty_typeEEEZZNS1_27merge_sort_block_merge_implIS3_N6thrust23THRUST_200600_302600_NS6detail15normal_iteratorINS9_10device_ptrIyEEEEPS5_jNS1_19radix_merge_compareILb0ELb0EyNS0_19identity_decomposerEEEEE10hipError_tT0_T1_T2_jT3_P12ihipStream_tbPNSt15iterator_traitsISK_E10value_typeEPNSQ_ISL_E10value_typeEPSM_NS1_7vsmem_tEENKUlT_SK_SL_SM_E_clISE_PySF_SF_EESJ_SZ_SK_SL_SM_EUlSZ_E1_NS1_11comp_targetILNS1_3genE0ELNS1_11target_archE4294967295ELNS1_3gpuE0ELNS1_3repE0EEENS1_36merge_oddeven_config_static_selectorELNS0_4arch9wavefront6targetE1EEEvSL_,"axG",@progbits,_ZN7rocprim17ROCPRIM_400000_NS6detail17trampoline_kernelINS0_14default_configENS1_38merge_sort_block_merge_config_selectorIyNS0_10empty_typeEEEZZNS1_27merge_sort_block_merge_implIS3_N6thrust23THRUST_200600_302600_NS6detail15normal_iteratorINS9_10device_ptrIyEEEEPS5_jNS1_19radix_merge_compareILb0ELb0EyNS0_19identity_decomposerEEEEE10hipError_tT0_T1_T2_jT3_P12ihipStream_tbPNSt15iterator_traitsISK_E10value_typeEPNSQ_ISL_E10value_typeEPSM_NS1_7vsmem_tEENKUlT_SK_SL_SM_E_clISE_PySF_SF_EESJ_SZ_SK_SL_SM_EUlSZ_E1_NS1_11comp_targetILNS1_3genE0ELNS1_11target_archE4294967295ELNS1_3gpuE0ELNS1_3repE0EEENS1_36merge_oddeven_config_static_selectorELNS0_4arch9wavefront6targetE1EEEvSL_,comdat
	.protected	_ZN7rocprim17ROCPRIM_400000_NS6detail17trampoline_kernelINS0_14default_configENS1_38merge_sort_block_merge_config_selectorIyNS0_10empty_typeEEEZZNS1_27merge_sort_block_merge_implIS3_N6thrust23THRUST_200600_302600_NS6detail15normal_iteratorINS9_10device_ptrIyEEEEPS5_jNS1_19radix_merge_compareILb0ELb0EyNS0_19identity_decomposerEEEEE10hipError_tT0_T1_T2_jT3_P12ihipStream_tbPNSt15iterator_traitsISK_E10value_typeEPNSQ_ISL_E10value_typeEPSM_NS1_7vsmem_tEENKUlT_SK_SL_SM_E_clISE_PySF_SF_EESJ_SZ_SK_SL_SM_EUlSZ_E1_NS1_11comp_targetILNS1_3genE0ELNS1_11target_archE4294967295ELNS1_3gpuE0ELNS1_3repE0EEENS1_36merge_oddeven_config_static_selectorELNS0_4arch9wavefront6targetE1EEEvSL_ ; -- Begin function _ZN7rocprim17ROCPRIM_400000_NS6detail17trampoline_kernelINS0_14default_configENS1_38merge_sort_block_merge_config_selectorIyNS0_10empty_typeEEEZZNS1_27merge_sort_block_merge_implIS3_N6thrust23THRUST_200600_302600_NS6detail15normal_iteratorINS9_10device_ptrIyEEEEPS5_jNS1_19radix_merge_compareILb0ELb0EyNS0_19identity_decomposerEEEEE10hipError_tT0_T1_T2_jT3_P12ihipStream_tbPNSt15iterator_traitsISK_E10value_typeEPNSQ_ISL_E10value_typeEPSM_NS1_7vsmem_tEENKUlT_SK_SL_SM_E_clISE_PySF_SF_EESJ_SZ_SK_SL_SM_EUlSZ_E1_NS1_11comp_targetILNS1_3genE0ELNS1_11target_archE4294967295ELNS1_3gpuE0ELNS1_3repE0EEENS1_36merge_oddeven_config_static_selectorELNS0_4arch9wavefront6targetE1EEEvSL_
	.globl	_ZN7rocprim17ROCPRIM_400000_NS6detail17trampoline_kernelINS0_14default_configENS1_38merge_sort_block_merge_config_selectorIyNS0_10empty_typeEEEZZNS1_27merge_sort_block_merge_implIS3_N6thrust23THRUST_200600_302600_NS6detail15normal_iteratorINS9_10device_ptrIyEEEEPS5_jNS1_19radix_merge_compareILb0ELb0EyNS0_19identity_decomposerEEEEE10hipError_tT0_T1_T2_jT3_P12ihipStream_tbPNSt15iterator_traitsISK_E10value_typeEPNSQ_ISL_E10value_typeEPSM_NS1_7vsmem_tEENKUlT_SK_SL_SM_E_clISE_PySF_SF_EESJ_SZ_SK_SL_SM_EUlSZ_E1_NS1_11comp_targetILNS1_3genE0ELNS1_11target_archE4294967295ELNS1_3gpuE0ELNS1_3repE0EEENS1_36merge_oddeven_config_static_selectorELNS0_4arch9wavefront6targetE1EEEvSL_
	.p2align	8
	.type	_ZN7rocprim17ROCPRIM_400000_NS6detail17trampoline_kernelINS0_14default_configENS1_38merge_sort_block_merge_config_selectorIyNS0_10empty_typeEEEZZNS1_27merge_sort_block_merge_implIS3_N6thrust23THRUST_200600_302600_NS6detail15normal_iteratorINS9_10device_ptrIyEEEEPS5_jNS1_19radix_merge_compareILb0ELb0EyNS0_19identity_decomposerEEEEE10hipError_tT0_T1_T2_jT3_P12ihipStream_tbPNSt15iterator_traitsISK_E10value_typeEPNSQ_ISL_E10value_typeEPSM_NS1_7vsmem_tEENKUlT_SK_SL_SM_E_clISE_PySF_SF_EESJ_SZ_SK_SL_SM_EUlSZ_E1_NS1_11comp_targetILNS1_3genE0ELNS1_11target_archE4294967295ELNS1_3gpuE0ELNS1_3repE0EEENS1_36merge_oddeven_config_static_selectorELNS0_4arch9wavefront6targetE1EEEvSL_,@function
_ZN7rocprim17ROCPRIM_400000_NS6detail17trampoline_kernelINS0_14default_configENS1_38merge_sort_block_merge_config_selectorIyNS0_10empty_typeEEEZZNS1_27merge_sort_block_merge_implIS3_N6thrust23THRUST_200600_302600_NS6detail15normal_iteratorINS9_10device_ptrIyEEEEPS5_jNS1_19radix_merge_compareILb0ELb0EyNS0_19identity_decomposerEEEEE10hipError_tT0_T1_T2_jT3_P12ihipStream_tbPNSt15iterator_traitsISK_E10value_typeEPNSQ_ISL_E10value_typeEPSM_NS1_7vsmem_tEENKUlT_SK_SL_SM_E_clISE_PySF_SF_EESJ_SZ_SK_SL_SM_EUlSZ_E1_NS1_11comp_targetILNS1_3genE0ELNS1_11target_archE4294967295ELNS1_3gpuE0ELNS1_3repE0EEENS1_36merge_oddeven_config_static_selectorELNS0_4arch9wavefront6targetE1EEEvSL_: ; @_ZN7rocprim17ROCPRIM_400000_NS6detail17trampoline_kernelINS0_14default_configENS1_38merge_sort_block_merge_config_selectorIyNS0_10empty_typeEEEZZNS1_27merge_sort_block_merge_implIS3_N6thrust23THRUST_200600_302600_NS6detail15normal_iteratorINS9_10device_ptrIyEEEEPS5_jNS1_19radix_merge_compareILb0ELb0EyNS0_19identity_decomposerEEEEE10hipError_tT0_T1_T2_jT3_P12ihipStream_tbPNSt15iterator_traitsISK_E10value_typeEPNSQ_ISL_E10value_typeEPSM_NS1_7vsmem_tEENKUlT_SK_SL_SM_E_clISE_PySF_SF_EESJ_SZ_SK_SL_SM_EUlSZ_E1_NS1_11comp_targetILNS1_3genE0ELNS1_11target_archE4294967295ELNS1_3gpuE0ELNS1_3repE0EEENS1_36merge_oddeven_config_static_selectorELNS0_4arch9wavefront6targetE1EEEvSL_
; %bb.0:
	.section	.rodata,"a",@progbits
	.p2align	6, 0x0
	.amdhsa_kernel _ZN7rocprim17ROCPRIM_400000_NS6detail17trampoline_kernelINS0_14default_configENS1_38merge_sort_block_merge_config_selectorIyNS0_10empty_typeEEEZZNS1_27merge_sort_block_merge_implIS3_N6thrust23THRUST_200600_302600_NS6detail15normal_iteratorINS9_10device_ptrIyEEEEPS5_jNS1_19radix_merge_compareILb0ELb0EyNS0_19identity_decomposerEEEEE10hipError_tT0_T1_T2_jT3_P12ihipStream_tbPNSt15iterator_traitsISK_E10value_typeEPNSQ_ISL_E10value_typeEPSM_NS1_7vsmem_tEENKUlT_SK_SL_SM_E_clISE_PySF_SF_EESJ_SZ_SK_SL_SM_EUlSZ_E1_NS1_11comp_targetILNS1_3genE0ELNS1_11target_archE4294967295ELNS1_3gpuE0ELNS1_3repE0EEENS1_36merge_oddeven_config_static_selectorELNS0_4arch9wavefront6targetE1EEEvSL_
		.amdhsa_group_segment_fixed_size 0
		.amdhsa_private_segment_fixed_size 0
		.amdhsa_kernarg_size 48
		.amdhsa_user_sgpr_count 2
		.amdhsa_user_sgpr_dispatch_ptr 0
		.amdhsa_user_sgpr_queue_ptr 0
		.amdhsa_user_sgpr_kernarg_segment_ptr 1
		.amdhsa_user_sgpr_dispatch_id 0
		.amdhsa_user_sgpr_kernarg_preload_length 0
		.amdhsa_user_sgpr_kernarg_preload_offset 0
		.amdhsa_user_sgpr_private_segment_size 0
		.amdhsa_uses_dynamic_stack 0
		.amdhsa_enable_private_segment 0
		.amdhsa_system_sgpr_workgroup_id_x 1
		.amdhsa_system_sgpr_workgroup_id_y 0
		.amdhsa_system_sgpr_workgroup_id_z 0
		.amdhsa_system_sgpr_workgroup_info 0
		.amdhsa_system_vgpr_workitem_id 0
		.amdhsa_next_free_vgpr 1
		.amdhsa_next_free_sgpr 0
		.amdhsa_accum_offset 4
		.amdhsa_reserve_vcc 0
		.amdhsa_float_round_mode_32 0
		.amdhsa_float_round_mode_16_64 0
		.amdhsa_float_denorm_mode_32 3
		.amdhsa_float_denorm_mode_16_64 3
		.amdhsa_dx10_clamp 1
		.amdhsa_ieee_mode 1
		.amdhsa_fp16_overflow 0
		.amdhsa_tg_split 0
		.amdhsa_exception_fp_ieee_invalid_op 0
		.amdhsa_exception_fp_denorm_src 0
		.amdhsa_exception_fp_ieee_div_zero 0
		.amdhsa_exception_fp_ieee_overflow 0
		.amdhsa_exception_fp_ieee_underflow 0
		.amdhsa_exception_fp_ieee_inexact 0
		.amdhsa_exception_int_div_zero 0
	.end_amdhsa_kernel
	.section	.text._ZN7rocprim17ROCPRIM_400000_NS6detail17trampoline_kernelINS0_14default_configENS1_38merge_sort_block_merge_config_selectorIyNS0_10empty_typeEEEZZNS1_27merge_sort_block_merge_implIS3_N6thrust23THRUST_200600_302600_NS6detail15normal_iteratorINS9_10device_ptrIyEEEEPS5_jNS1_19radix_merge_compareILb0ELb0EyNS0_19identity_decomposerEEEEE10hipError_tT0_T1_T2_jT3_P12ihipStream_tbPNSt15iterator_traitsISK_E10value_typeEPNSQ_ISL_E10value_typeEPSM_NS1_7vsmem_tEENKUlT_SK_SL_SM_E_clISE_PySF_SF_EESJ_SZ_SK_SL_SM_EUlSZ_E1_NS1_11comp_targetILNS1_3genE0ELNS1_11target_archE4294967295ELNS1_3gpuE0ELNS1_3repE0EEENS1_36merge_oddeven_config_static_selectorELNS0_4arch9wavefront6targetE1EEEvSL_,"axG",@progbits,_ZN7rocprim17ROCPRIM_400000_NS6detail17trampoline_kernelINS0_14default_configENS1_38merge_sort_block_merge_config_selectorIyNS0_10empty_typeEEEZZNS1_27merge_sort_block_merge_implIS3_N6thrust23THRUST_200600_302600_NS6detail15normal_iteratorINS9_10device_ptrIyEEEEPS5_jNS1_19radix_merge_compareILb0ELb0EyNS0_19identity_decomposerEEEEE10hipError_tT0_T1_T2_jT3_P12ihipStream_tbPNSt15iterator_traitsISK_E10value_typeEPNSQ_ISL_E10value_typeEPSM_NS1_7vsmem_tEENKUlT_SK_SL_SM_E_clISE_PySF_SF_EESJ_SZ_SK_SL_SM_EUlSZ_E1_NS1_11comp_targetILNS1_3genE0ELNS1_11target_archE4294967295ELNS1_3gpuE0ELNS1_3repE0EEENS1_36merge_oddeven_config_static_selectorELNS0_4arch9wavefront6targetE1EEEvSL_,comdat
.Lfunc_end764:
	.size	_ZN7rocprim17ROCPRIM_400000_NS6detail17trampoline_kernelINS0_14default_configENS1_38merge_sort_block_merge_config_selectorIyNS0_10empty_typeEEEZZNS1_27merge_sort_block_merge_implIS3_N6thrust23THRUST_200600_302600_NS6detail15normal_iteratorINS9_10device_ptrIyEEEEPS5_jNS1_19radix_merge_compareILb0ELb0EyNS0_19identity_decomposerEEEEE10hipError_tT0_T1_T2_jT3_P12ihipStream_tbPNSt15iterator_traitsISK_E10value_typeEPNSQ_ISL_E10value_typeEPSM_NS1_7vsmem_tEENKUlT_SK_SL_SM_E_clISE_PySF_SF_EESJ_SZ_SK_SL_SM_EUlSZ_E1_NS1_11comp_targetILNS1_3genE0ELNS1_11target_archE4294967295ELNS1_3gpuE0ELNS1_3repE0EEENS1_36merge_oddeven_config_static_selectorELNS0_4arch9wavefront6targetE1EEEvSL_, .Lfunc_end764-_ZN7rocprim17ROCPRIM_400000_NS6detail17trampoline_kernelINS0_14default_configENS1_38merge_sort_block_merge_config_selectorIyNS0_10empty_typeEEEZZNS1_27merge_sort_block_merge_implIS3_N6thrust23THRUST_200600_302600_NS6detail15normal_iteratorINS9_10device_ptrIyEEEEPS5_jNS1_19radix_merge_compareILb0ELb0EyNS0_19identity_decomposerEEEEE10hipError_tT0_T1_T2_jT3_P12ihipStream_tbPNSt15iterator_traitsISK_E10value_typeEPNSQ_ISL_E10value_typeEPSM_NS1_7vsmem_tEENKUlT_SK_SL_SM_E_clISE_PySF_SF_EESJ_SZ_SK_SL_SM_EUlSZ_E1_NS1_11comp_targetILNS1_3genE0ELNS1_11target_archE4294967295ELNS1_3gpuE0ELNS1_3repE0EEENS1_36merge_oddeven_config_static_selectorELNS0_4arch9wavefront6targetE1EEEvSL_
                                        ; -- End function
	.section	.AMDGPU.csdata,"",@progbits
; Kernel info:
; codeLenInByte = 0
; NumSgprs: 6
; NumVgprs: 0
; NumAgprs: 0
; TotalNumVgprs: 0
; ScratchSize: 0
; MemoryBound: 0
; FloatMode: 240
; IeeeMode: 1
; LDSByteSize: 0 bytes/workgroup (compile time only)
; SGPRBlocks: 0
; VGPRBlocks: 0
; NumSGPRsForWavesPerEU: 6
; NumVGPRsForWavesPerEU: 1
; AccumOffset: 4
; Occupancy: 8
; WaveLimiterHint : 0
; COMPUTE_PGM_RSRC2:SCRATCH_EN: 0
; COMPUTE_PGM_RSRC2:USER_SGPR: 2
; COMPUTE_PGM_RSRC2:TRAP_HANDLER: 0
; COMPUTE_PGM_RSRC2:TGID_X_EN: 1
; COMPUTE_PGM_RSRC2:TGID_Y_EN: 0
; COMPUTE_PGM_RSRC2:TGID_Z_EN: 0
; COMPUTE_PGM_RSRC2:TIDIG_COMP_CNT: 0
; COMPUTE_PGM_RSRC3_GFX90A:ACCUM_OFFSET: 0
; COMPUTE_PGM_RSRC3_GFX90A:TG_SPLIT: 0
	.section	.text._ZN7rocprim17ROCPRIM_400000_NS6detail17trampoline_kernelINS0_14default_configENS1_38merge_sort_block_merge_config_selectorIyNS0_10empty_typeEEEZZNS1_27merge_sort_block_merge_implIS3_N6thrust23THRUST_200600_302600_NS6detail15normal_iteratorINS9_10device_ptrIyEEEEPS5_jNS1_19radix_merge_compareILb0ELb0EyNS0_19identity_decomposerEEEEE10hipError_tT0_T1_T2_jT3_P12ihipStream_tbPNSt15iterator_traitsISK_E10value_typeEPNSQ_ISL_E10value_typeEPSM_NS1_7vsmem_tEENKUlT_SK_SL_SM_E_clISE_PySF_SF_EESJ_SZ_SK_SL_SM_EUlSZ_E1_NS1_11comp_targetILNS1_3genE10ELNS1_11target_archE1201ELNS1_3gpuE5ELNS1_3repE0EEENS1_36merge_oddeven_config_static_selectorELNS0_4arch9wavefront6targetE1EEEvSL_,"axG",@progbits,_ZN7rocprim17ROCPRIM_400000_NS6detail17trampoline_kernelINS0_14default_configENS1_38merge_sort_block_merge_config_selectorIyNS0_10empty_typeEEEZZNS1_27merge_sort_block_merge_implIS3_N6thrust23THRUST_200600_302600_NS6detail15normal_iteratorINS9_10device_ptrIyEEEEPS5_jNS1_19radix_merge_compareILb0ELb0EyNS0_19identity_decomposerEEEEE10hipError_tT0_T1_T2_jT3_P12ihipStream_tbPNSt15iterator_traitsISK_E10value_typeEPNSQ_ISL_E10value_typeEPSM_NS1_7vsmem_tEENKUlT_SK_SL_SM_E_clISE_PySF_SF_EESJ_SZ_SK_SL_SM_EUlSZ_E1_NS1_11comp_targetILNS1_3genE10ELNS1_11target_archE1201ELNS1_3gpuE5ELNS1_3repE0EEENS1_36merge_oddeven_config_static_selectorELNS0_4arch9wavefront6targetE1EEEvSL_,comdat
	.protected	_ZN7rocprim17ROCPRIM_400000_NS6detail17trampoline_kernelINS0_14default_configENS1_38merge_sort_block_merge_config_selectorIyNS0_10empty_typeEEEZZNS1_27merge_sort_block_merge_implIS3_N6thrust23THRUST_200600_302600_NS6detail15normal_iteratorINS9_10device_ptrIyEEEEPS5_jNS1_19radix_merge_compareILb0ELb0EyNS0_19identity_decomposerEEEEE10hipError_tT0_T1_T2_jT3_P12ihipStream_tbPNSt15iterator_traitsISK_E10value_typeEPNSQ_ISL_E10value_typeEPSM_NS1_7vsmem_tEENKUlT_SK_SL_SM_E_clISE_PySF_SF_EESJ_SZ_SK_SL_SM_EUlSZ_E1_NS1_11comp_targetILNS1_3genE10ELNS1_11target_archE1201ELNS1_3gpuE5ELNS1_3repE0EEENS1_36merge_oddeven_config_static_selectorELNS0_4arch9wavefront6targetE1EEEvSL_ ; -- Begin function _ZN7rocprim17ROCPRIM_400000_NS6detail17trampoline_kernelINS0_14default_configENS1_38merge_sort_block_merge_config_selectorIyNS0_10empty_typeEEEZZNS1_27merge_sort_block_merge_implIS3_N6thrust23THRUST_200600_302600_NS6detail15normal_iteratorINS9_10device_ptrIyEEEEPS5_jNS1_19radix_merge_compareILb0ELb0EyNS0_19identity_decomposerEEEEE10hipError_tT0_T1_T2_jT3_P12ihipStream_tbPNSt15iterator_traitsISK_E10value_typeEPNSQ_ISL_E10value_typeEPSM_NS1_7vsmem_tEENKUlT_SK_SL_SM_E_clISE_PySF_SF_EESJ_SZ_SK_SL_SM_EUlSZ_E1_NS1_11comp_targetILNS1_3genE10ELNS1_11target_archE1201ELNS1_3gpuE5ELNS1_3repE0EEENS1_36merge_oddeven_config_static_selectorELNS0_4arch9wavefront6targetE1EEEvSL_
	.globl	_ZN7rocprim17ROCPRIM_400000_NS6detail17trampoline_kernelINS0_14default_configENS1_38merge_sort_block_merge_config_selectorIyNS0_10empty_typeEEEZZNS1_27merge_sort_block_merge_implIS3_N6thrust23THRUST_200600_302600_NS6detail15normal_iteratorINS9_10device_ptrIyEEEEPS5_jNS1_19radix_merge_compareILb0ELb0EyNS0_19identity_decomposerEEEEE10hipError_tT0_T1_T2_jT3_P12ihipStream_tbPNSt15iterator_traitsISK_E10value_typeEPNSQ_ISL_E10value_typeEPSM_NS1_7vsmem_tEENKUlT_SK_SL_SM_E_clISE_PySF_SF_EESJ_SZ_SK_SL_SM_EUlSZ_E1_NS1_11comp_targetILNS1_3genE10ELNS1_11target_archE1201ELNS1_3gpuE5ELNS1_3repE0EEENS1_36merge_oddeven_config_static_selectorELNS0_4arch9wavefront6targetE1EEEvSL_
	.p2align	8
	.type	_ZN7rocprim17ROCPRIM_400000_NS6detail17trampoline_kernelINS0_14default_configENS1_38merge_sort_block_merge_config_selectorIyNS0_10empty_typeEEEZZNS1_27merge_sort_block_merge_implIS3_N6thrust23THRUST_200600_302600_NS6detail15normal_iteratorINS9_10device_ptrIyEEEEPS5_jNS1_19radix_merge_compareILb0ELb0EyNS0_19identity_decomposerEEEEE10hipError_tT0_T1_T2_jT3_P12ihipStream_tbPNSt15iterator_traitsISK_E10value_typeEPNSQ_ISL_E10value_typeEPSM_NS1_7vsmem_tEENKUlT_SK_SL_SM_E_clISE_PySF_SF_EESJ_SZ_SK_SL_SM_EUlSZ_E1_NS1_11comp_targetILNS1_3genE10ELNS1_11target_archE1201ELNS1_3gpuE5ELNS1_3repE0EEENS1_36merge_oddeven_config_static_selectorELNS0_4arch9wavefront6targetE1EEEvSL_,@function
_ZN7rocprim17ROCPRIM_400000_NS6detail17trampoline_kernelINS0_14default_configENS1_38merge_sort_block_merge_config_selectorIyNS0_10empty_typeEEEZZNS1_27merge_sort_block_merge_implIS3_N6thrust23THRUST_200600_302600_NS6detail15normal_iteratorINS9_10device_ptrIyEEEEPS5_jNS1_19radix_merge_compareILb0ELb0EyNS0_19identity_decomposerEEEEE10hipError_tT0_T1_T2_jT3_P12ihipStream_tbPNSt15iterator_traitsISK_E10value_typeEPNSQ_ISL_E10value_typeEPSM_NS1_7vsmem_tEENKUlT_SK_SL_SM_E_clISE_PySF_SF_EESJ_SZ_SK_SL_SM_EUlSZ_E1_NS1_11comp_targetILNS1_3genE10ELNS1_11target_archE1201ELNS1_3gpuE5ELNS1_3repE0EEENS1_36merge_oddeven_config_static_selectorELNS0_4arch9wavefront6targetE1EEEvSL_: ; @_ZN7rocprim17ROCPRIM_400000_NS6detail17trampoline_kernelINS0_14default_configENS1_38merge_sort_block_merge_config_selectorIyNS0_10empty_typeEEEZZNS1_27merge_sort_block_merge_implIS3_N6thrust23THRUST_200600_302600_NS6detail15normal_iteratorINS9_10device_ptrIyEEEEPS5_jNS1_19radix_merge_compareILb0ELb0EyNS0_19identity_decomposerEEEEE10hipError_tT0_T1_T2_jT3_P12ihipStream_tbPNSt15iterator_traitsISK_E10value_typeEPNSQ_ISL_E10value_typeEPSM_NS1_7vsmem_tEENKUlT_SK_SL_SM_E_clISE_PySF_SF_EESJ_SZ_SK_SL_SM_EUlSZ_E1_NS1_11comp_targetILNS1_3genE10ELNS1_11target_archE1201ELNS1_3gpuE5ELNS1_3repE0EEENS1_36merge_oddeven_config_static_selectorELNS0_4arch9wavefront6targetE1EEEvSL_
; %bb.0:
	.section	.rodata,"a",@progbits
	.p2align	6, 0x0
	.amdhsa_kernel _ZN7rocprim17ROCPRIM_400000_NS6detail17trampoline_kernelINS0_14default_configENS1_38merge_sort_block_merge_config_selectorIyNS0_10empty_typeEEEZZNS1_27merge_sort_block_merge_implIS3_N6thrust23THRUST_200600_302600_NS6detail15normal_iteratorINS9_10device_ptrIyEEEEPS5_jNS1_19radix_merge_compareILb0ELb0EyNS0_19identity_decomposerEEEEE10hipError_tT0_T1_T2_jT3_P12ihipStream_tbPNSt15iterator_traitsISK_E10value_typeEPNSQ_ISL_E10value_typeEPSM_NS1_7vsmem_tEENKUlT_SK_SL_SM_E_clISE_PySF_SF_EESJ_SZ_SK_SL_SM_EUlSZ_E1_NS1_11comp_targetILNS1_3genE10ELNS1_11target_archE1201ELNS1_3gpuE5ELNS1_3repE0EEENS1_36merge_oddeven_config_static_selectorELNS0_4arch9wavefront6targetE1EEEvSL_
		.amdhsa_group_segment_fixed_size 0
		.amdhsa_private_segment_fixed_size 0
		.amdhsa_kernarg_size 48
		.amdhsa_user_sgpr_count 2
		.amdhsa_user_sgpr_dispatch_ptr 0
		.amdhsa_user_sgpr_queue_ptr 0
		.amdhsa_user_sgpr_kernarg_segment_ptr 1
		.amdhsa_user_sgpr_dispatch_id 0
		.amdhsa_user_sgpr_kernarg_preload_length 0
		.amdhsa_user_sgpr_kernarg_preload_offset 0
		.amdhsa_user_sgpr_private_segment_size 0
		.amdhsa_uses_dynamic_stack 0
		.amdhsa_enable_private_segment 0
		.amdhsa_system_sgpr_workgroup_id_x 1
		.amdhsa_system_sgpr_workgroup_id_y 0
		.amdhsa_system_sgpr_workgroup_id_z 0
		.amdhsa_system_sgpr_workgroup_info 0
		.amdhsa_system_vgpr_workitem_id 0
		.amdhsa_next_free_vgpr 1
		.amdhsa_next_free_sgpr 0
		.amdhsa_accum_offset 4
		.amdhsa_reserve_vcc 0
		.amdhsa_float_round_mode_32 0
		.amdhsa_float_round_mode_16_64 0
		.amdhsa_float_denorm_mode_32 3
		.amdhsa_float_denorm_mode_16_64 3
		.amdhsa_dx10_clamp 1
		.amdhsa_ieee_mode 1
		.amdhsa_fp16_overflow 0
		.amdhsa_tg_split 0
		.amdhsa_exception_fp_ieee_invalid_op 0
		.amdhsa_exception_fp_denorm_src 0
		.amdhsa_exception_fp_ieee_div_zero 0
		.amdhsa_exception_fp_ieee_overflow 0
		.amdhsa_exception_fp_ieee_underflow 0
		.amdhsa_exception_fp_ieee_inexact 0
		.amdhsa_exception_int_div_zero 0
	.end_amdhsa_kernel
	.section	.text._ZN7rocprim17ROCPRIM_400000_NS6detail17trampoline_kernelINS0_14default_configENS1_38merge_sort_block_merge_config_selectorIyNS0_10empty_typeEEEZZNS1_27merge_sort_block_merge_implIS3_N6thrust23THRUST_200600_302600_NS6detail15normal_iteratorINS9_10device_ptrIyEEEEPS5_jNS1_19radix_merge_compareILb0ELb0EyNS0_19identity_decomposerEEEEE10hipError_tT0_T1_T2_jT3_P12ihipStream_tbPNSt15iterator_traitsISK_E10value_typeEPNSQ_ISL_E10value_typeEPSM_NS1_7vsmem_tEENKUlT_SK_SL_SM_E_clISE_PySF_SF_EESJ_SZ_SK_SL_SM_EUlSZ_E1_NS1_11comp_targetILNS1_3genE10ELNS1_11target_archE1201ELNS1_3gpuE5ELNS1_3repE0EEENS1_36merge_oddeven_config_static_selectorELNS0_4arch9wavefront6targetE1EEEvSL_,"axG",@progbits,_ZN7rocprim17ROCPRIM_400000_NS6detail17trampoline_kernelINS0_14default_configENS1_38merge_sort_block_merge_config_selectorIyNS0_10empty_typeEEEZZNS1_27merge_sort_block_merge_implIS3_N6thrust23THRUST_200600_302600_NS6detail15normal_iteratorINS9_10device_ptrIyEEEEPS5_jNS1_19radix_merge_compareILb0ELb0EyNS0_19identity_decomposerEEEEE10hipError_tT0_T1_T2_jT3_P12ihipStream_tbPNSt15iterator_traitsISK_E10value_typeEPNSQ_ISL_E10value_typeEPSM_NS1_7vsmem_tEENKUlT_SK_SL_SM_E_clISE_PySF_SF_EESJ_SZ_SK_SL_SM_EUlSZ_E1_NS1_11comp_targetILNS1_3genE10ELNS1_11target_archE1201ELNS1_3gpuE5ELNS1_3repE0EEENS1_36merge_oddeven_config_static_selectorELNS0_4arch9wavefront6targetE1EEEvSL_,comdat
.Lfunc_end765:
	.size	_ZN7rocprim17ROCPRIM_400000_NS6detail17trampoline_kernelINS0_14default_configENS1_38merge_sort_block_merge_config_selectorIyNS0_10empty_typeEEEZZNS1_27merge_sort_block_merge_implIS3_N6thrust23THRUST_200600_302600_NS6detail15normal_iteratorINS9_10device_ptrIyEEEEPS5_jNS1_19radix_merge_compareILb0ELb0EyNS0_19identity_decomposerEEEEE10hipError_tT0_T1_T2_jT3_P12ihipStream_tbPNSt15iterator_traitsISK_E10value_typeEPNSQ_ISL_E10value_typeEPSM_NS1_7vsmem_tEENKUlT_SK_SL_SM_E_clISE_PySF_SF_EESJ_SZ_SK_SL_SM_EUlSZ_E1_NS1_11comp_targetILNS1_3genE10ELNS1_11target_archE1201ELNS1_3gpuE5ELNS1_3repE0EEENS1_36merge_oddeven_config_static_selectorELNS0_4arch9wavefront6targetE1EEEvSL_, .Lfunc_end765-_ZN7rocprim17ROCPRIM_400000_NS6detail17trampoline_kernelINS0_14default_configENS1_38merge_sort_block_merge_config_selectorIyNS0_10empty_typeEEEZZNS1_27merge_sort_block_merge_implIS3_N6thrust23THRUST_200600_302600_NS6detail15normal_iteratorINS9_10device_ptrIyEEEEPS5_jNS1_19radix_merge_compareILb0ELb0EyNS0_19identity_decomposerEEEEE10hipError_tT0_T1_T2_jT3_P12ihipStream_tbPNSt15iterator_traitsISK_E10value_typeEPNSQ_ISL_E10value_typeEPSM_NS1_7vsmem_tEENKUlT_SK_SL_SM_E_clISE_PySF_SF_EESJ_SZ_SK_SL_SM_EUlSZ_E1_NS1_11comp_targetILNS1_3genE10ELNS1_11target_archE1201ELNS1_3gpuE5ELNS1_3repE0EEENS1_36merge_oddeven_config_static_selectorELNS0_4arch9wavefront6targetE1EEEvSL_
                                        ; -- End function
	.section	.AMDGPU.csdata,"",@progbits
; Kernel info:
; codeLenInByte = 0
; NumSgprs: 6
; NumVgprs: 0
; NumAgprs: 0
; TotalNumVgprs: 0
; ScratchSize: 0
; MemoryBound: 0
; FloatMode: 240
; IeeeMode: 1
; LDSByteSize: 0 bytes/workgroup (compile time only)
; SGPRBlocks: 0
; VGPRBlocks: 0
; NumSGPRsForWavesPerEU: 6
; NumVGPRsForWavesPerEU: 1
; AccumOffset: 4
; Occupancy: 8
; WaveLimiterHint : 0
; COMPUTE_PGM_RSRC2:SCRATCH_EN: 0
; COMPUTE_PGM_RSRC2:USER_SGPR: 2
; COMPUTE_PGM_RSRC2:TRAP_HANDLER: 0
; COMPUTE_PGM_RSRC2:TGID_X_EN: 1
; COMPUTE_PGM_RSRC2:TGID_Y_EN: 0
; COMPUTE_PGM_RSRC2:TGID_Z_EN: 0
; COMPUTE_PGM_RSRC2:TIDIG_COMP_CNT: 0
; COMPUTE_PGM_RSRC3_GFX90A:ACCUM_OFFSET: 0
; COMPUTE_PGM_RSRC3_GFX90A:TG_SPLIT: 0
	.section	.text._ZN7rocprim17ROCPRIM_400000_NS6detail17trampoline_kernelINS0_14default_configENS1_38merge_sort_block_merge_config_selectorIyNS0_10empty_typeEEEZZNS1_27merge_sort_block_merge_implIS3_N6thrust23THRUST_200600_302600_NS6detail15normal_iteratorINS9_10device_ptrIyEEEEPS5_jNS1_19radix_merge_compareILb0ELb0EyNS0_19identity_decomposerEEEEE10hipError_tT0_T1_T2_jT3_P12ihipStream_tbPNSt15iterator_traitsISK_E10value_typeEPNSQ_ISL_E10value_typeEPSM_NS1_7vsmem_tEENKUlT_SK_SL_SM_E_clISE_PySF_SF_EESJ_SZ_SK_SL_SM_EUlSZ_E1_NS1_11comp_targetILNS1_3genE5ELNS1_11target_archE942ELNS1_3gpuE9ELNS1_3repE0EEENS1_36merge_oddeven_config_static_selectorELNS0_4arch9wavefront6targetE1EEEvSL_,"axG",@progbits,_ZN7rocprim17ROCPRIM_400000_NS6detail17trampoline_kernelINS0_14default_configENS1_38merge_sort_block_merge_config_selectorIyNS0_10empty_typeEEEZZNS1_27merge_sort_block_merge_implIS3_N6thrust23THRUST_200600_302600_NS6detail15normal_iteratorINS9_10device_ptrIyEEEEPS5_jNS1_19radix_merge_compareILb0ELb0EyNS0_19identity_decomposerEEEEE10hipError_tT0_T1_T2_jT3_P12ihipStream_tbPNSt15iterator_traitsISK_E10value_typeEPNSQ_ISL_E10value_typeEPSM_NS1_7vsmem_tEENKUlT_SK_SL_SM_E_clISE_PySF_SF_EESJ_SZ_SK_SL_SM_EUlSZ_E1_NS1_11comp_targetILNS1_3genE5ELNS1_11target_archE942ELNS1_3gpuE9ELNS1_3repE0EEENS1_36merge_oddeven_config_static_selectorELNS0_4arch9wavefront6targetE1EEEvSL_,comdat
	.protected	_ZN7rocprim17ROCPRIM_400000_NS6detail17trampoline_kernelINS0_14default_configENS1_38merge_sort_block_merge_config_selectorIyNS0_10empty_typeEEEZZNS1_27merge_sort_block_merge_implIS3_N6thrust23THRUST_200600_302600_NS6detail15normal_iteratorINS9_10device_ptrIyEEEEPS5_jNS1_19radix_merge_compareILb0ELb0EyNS0_19identity_decomposerEEEEE10hipError_tT0_T1_T2_jT3_P12ihipStream_tbPNSt15iterator_traitsISK_E10value_typeEPNSQ_ISL_E10value_typeEPSM_NS1_7vsmem_tEENKUlT_SK_SL_SM_E_clISE_PySF_SF_EESJ_SZ_SK_SL_SM_EUlSZ_E1_NS1_11comp_targetILNS1_3genE5ELNS1_11target_archE942ELNS1_3gpuE9ELNS1_3repE0EEENS1_36merge_oddeven_config_static_selectorELNS0_4arch9wavefront6targetE1EEEvSL_ ; -- Begin function _ZN7rocprim17ROCPRIM_400000_NS6detail17trampoline_kernelINS0_14default_configENS1_38merge_sort_block_merge_config_selectorIyNS0_10empty_typeEEEZZNS1_27merge_sort_block_merge_implIS3_N6thrust23THRUST_200600_302600_NS6detail15normal_iteratorINS9_10device_ptrIyEEEEPS5_jNS1_19radix_merge_compareILb0ELb0EyNS0_19identity_decomposerEEEEE10hipError_tT0_T1_T2_jT3_P12ihipStream_tbPNSt15iterator_traitsISK_E10value_typeEPNSQ_ISL_E10value_typeEPSM_NS1_7vsmem_tEENKUlT_SK_SL_SM_E_clISE_PySF_SF_EESJ_SZ_SK_SL_SM_EUlSZ_E1_NS1_11comp_targetILNS1_3genE5ELNS1_11target_archE942ELNS1_3gpuE9ELNS1_3repE0EEENS1_36merge_oddeven_config_static_selectorELNS0_4arch9wavefront6targetE1EEEvSL_
	.globl	_ZN7rocprim17ROCPRIM_400000_NS6detail17trampoline_kernelINS0_14default_configENS1_38merge_sort_block_merge_config_selectorIyNS0_10empty_typeEEEZZNS1_27merge_sort_block_merge_implIS3_N6thrust23THRUST_200600_302600_NS6detail15normal_iteratorINS9_10device_ptrIyEEEEPS5_jNS1_19radix_merge_compareILb0ELb0EyNS0_19identity_decomposerEEEEE10hipError_tT0_T1_T2_jT3_P12ihipStream_tbPNSt15iterator_traitsISK_E10value_typeEPNSQ_ISL_E10value_typeEPSM_NS1_7vsmem_tEENKUlT_SK_SL_SM_E_clISE_PySF_SF_EESJ_SZ_SK_SL_SM_EUlSZ_E1_NS1_11comp_targetILNS1_3genE5ELNS1_11target_archE942ELNS1_3gpuE9ELNS1_3repE0EEENS1_36merge_oddeven_config_static_selectorELNS0_4arch9wavefront6targetE1EEEvSL_
	.p2align	8
	.type	_ZN7rocprim17ROCPRIM_400000_NS6detail17trampoline_kernelINS0_14default_configENS1_38merge_sort_block_merge_config_selectorIyNS0_10empty_typeEEEZZNS1_27merge_sort_block_merge_implIS3_N6thrust23THRUST_200600_302600_NS6detail15normal_iteratorINS9_10device_ptrIyEEEEPS5_jNS1_19radix_merge_compareILb0ELb0EyNS0_19identity_decomposerEEEEE10hipError_tT0_T1_T2_jT3_P12ihipStream_tbPNSt15iterator_traitsISK_E10value_typeEPNSQ_ISL_E10value_typeEPSM_NS1_7vsmem_tEENKUlT_SK_SL_SM_E_clISE_PySF_SF_EESJ_SZ_SK_SL_SM_EUlSZ_E1_NS1_11comp_targetILNS1_3genE5ELNS1_11target_archE942ELNS1_3gpuE9ELNS1_3repE0EEENS1_36merge_oddeven_config_static_selectorELNS0_4arch9wavefront6targetE1EEEvSL_,@function
_ZN7rocprim17ROCPRIM_400000_NS6detail17trampoline_kernelINS0_14default_configENS1_38merge_sort_block_merge_config_selectorIyNS0_10empty_typeEEEZZNS1_27merge_sort_block_merge_implIS3_N6thrust23THRUST_200600_302600_NS6detail15normal_iteratorINS9_10device_ptrIyEEEEPS5_jNS1_19radix_merge_compareILb0ELb0EyNS0_19identity_decomposerEEEEE10hipError_tT0_T1_T2_jT3_P12ihipStream_tbPNSt15iterator_traitsISK_E10value_typeEPNSQ_ISL_E10value_typeEPSM_NS1_7vsmem_tEENKUlT_SK_SL_SM_E_clISE_PySF_SF_EESJ_SZ_SK_SL_SM_EUlSZ_E1_NS1_11comp_targetILNS1_3genE5ELNS1_11target_archE942ELNS1_3gpuE9ELNS1_3repE0EEENS1_36merge_oddeven_config_static_selectorELNS0_4arch9wavefront6targetE1EEEvSL_: ; @_ZN7rocprim17ROCPRIM_400000_NS6detail17trampoline_kernelINS0_14default_configENS1_38merge_sort_block_merge_config_selectorIyNS0_10empty_typeEEEZZNS1_27merge_sort_block_merge_implIS3_N6thrust23THRUST_200600_302600_NS6detail15normal_iteratorINS9_10device_ptrIyEEEEPS5_jNS1_19radix_merge_compareILb0ELb0EyNS0_19identity_decomposerEEEEE10hipError_tT0_T1_T2_jT3_P12ihipStream_tbPNSt15iterator_traitsISK_E10value_typeEPNSQ_ISL_E10value_typeEPSM_NS1_7vsmem_tEENKUlT_SK_SL_SM_E_clISE_PySF_SF_EESJ_SZ_SK_SL_SM_EUlSZ_E1_NS1_11comp_targetILNS1_3genE5ELNS1_11target_archE942ELNS1_3gpuE9ELNS1_3repE0EEENS1_36merge_oddeven_config_static_selectorELNS0_4arch9wavefront6targetE1EEEvSL_
; %bb.0:
	s_load_dword s16, s[0:1], 0x20
	s_waitcnt lgkmcnt(0)
	s_lshr_b32 s3, s16, 8
	s_cmp_lg_u32 s2, s3
	s_cselect_b64 s[12:13], -1, 0
	s_cmp_eq_u32 s2, s3
	s_cselect_b64 s[6:7], -1, 0
	s_lshl_b32 s14, s2, 8
	s_sub_i32 s3, s16, s14
	v_cmp_gt_u32_e64 s[4:5], s3, v0
	s_or_b64 s[8:9], s[12:13], s[4:5]
	s_and_saveexec_b64 s[10:11], s[8:9]
	s_cbranch_execz .LBB766_20
; %bb.1:
	s_load_dwordx4 s[8:11], s[0:1], 0x0
	s_load_dword s17, s[0:1], 0x24
	s_mov_b32 s15, 0
	s_lshl_b64 s[0:1], s[14:15], 3
	v_lshlrev_b32_e32 v1, 3, v0
	s_waitcnt lgkmcnt(0)
	s_add_u32 s0, s8, s0
	s_addc_u32 s1, s9, s1
	global_load_dwordx2 v[2:3], v1, s[0:1]
	s_lshr_b32 s0, s17, 8
	s_sub_i32 s1, 0, s0
	s_and_b32 s1, s2, s1
	s_and_b32 s0, s1, s0
	s_lshl_b32 s18, s1, 8
	s_sub_i32 s15, 0, s17
	s_cmp_eq_u32 s0, 0
	s_cselect_b64 s[0:1], -1, 0
	s_and_b64 s[2:3], s[0:1], exec
	s_cselect_b32 s15, s17, s15
	s_add_i32 s15, s15, s18
	s_cmp_lt_u32 s15, s16
	v_add_u32_e32 v0, s14, v0
	s_cbranch_scc1 .LBB766_3
; %bb.2:
	v_cmp_gt_u32_e32 vcc, s16, v0
	s_or_b64 s[2:3], vcc, s[12:13]
	s_and_b64 s[2:3], s[2:3], exec
	s_cbranch_execz .LBB766_4
	s_branch .LBB766_18
.LBB766_3:
	s_mov_b64 s[2:3], 0
.LBB766_4:
	s_min_u32 s12, s15, s16
	s_min_u32 s14, s18, s12
	s_add_i32 s18, s18, s12
	s_add_i32 s13, s12, s17
	v_subrev_u32_e32 v0, s18, v0
	s_min_u32 s13, s13, s16
	v_add_u32_e32 v4, s14, v0
	s_and_b64 vcc, exec, s[6:7]
	s_cbranch_vccz .LBB766_12
; %bb.5:
                                        ; implicit-def: $vgpr0
	s_and_saveexec_b64 s[6:7], s[4:5]
	s_cbranch_execz .LBB766_11
; %bb.6:
	s_cmp_ge_u32 s15, s13
	v_mov_b32_e32 v5, s12
	s_cbranch_scc1 .LBB766_10
; %bb.7:
	s_mov_b64 s[4:5], 0
	v_mov_b32_e32 v6, s13
	v_mov_b32_e32 v5, s12
	;; [unrolled: 1-line block ×3, first 2 shown]
.LBB766_8:                              ; =>This Inner Loop Header: Depth=1
	v_add_u32_e32 v0, v5, v6
	v_lshrrev_b32_e32 v0, 1, v0
	v_lshl_add_u64 v[8:9], v[0:1], 3, s[8:9]
	global_load_dwordx2 v[8:9], v[8:9], off
	v_add_u32_e32 v7, 1, v0
	s_waitcnt vmcnt(0)
	v_cmp_gt_u64_e32 vcc, v[2:3], v[8:9]
	s_nop 1
	v_cndmask_b32_e64 v10, 0, 1, vcc
	v_cmp_le_u64_e32 vcc, v[8:9], v[2:3]
	s_nop 1
	v_cndmask_b32_e64 v8, 0, 1, vcc
	v_cndmask_b32_e64 v8, v8, v10, s[0:1]
	v_and_b32_e32 v8, 1, v8
	v_cmp_eq_u32_e32 vcc, 1, v8
	s_nop 1
	v_cndmask_b32_e32 v6, v0, v6, vcc
	v_cndmask_b32_e32 v5, v5, v7, vcc
	v_cmp_ge_u32_e32 vcc, v5, v6
	s_or_b64 s[4:5], vcc, s[4:5]
	s_andn2_b64 exec, exec, s[4:5]
	s_cbranch_execnz .LBB766_8
; %bb.9:
	s_or_b64 exec, exec, s[4:5]
.LBB766_10:
	v_add_u32_e32 v0, v5, v4
	s_or_b64 s[2:3], s[2:3], exec
.LBB766_11:
	s_or_b64 exec, exec, s[6:7]
	s_branch .LBB766_18
.LBB766_12:
                                        ; implicit-def: $vgpr0
	s_cbranch_execz .LBB766_18
; %bb.13:
	s_cmp_ge_u32 s15, s13
	v_mov_b32_e32 v5, s12
	s_cbranch_scc1 .LBB766_17
; %bb.14:
	s_mov_b64 s[2:3], 0
	v_mov_b32_e32 v6, s13
	v_mov_b32_e32 v5, s12
	;; [unrolled: 1-line block ×3, first 2 shown]
.LBB766_15:                             ; =>This Inner Loop Header: Depth=1
	v_add_u32_e32 v0, v5, v6
	v_lshrrev_b32_e32 v0, 1, v0
	v_lshl_add_u64 v[8:9], v[0:1], 3, s[8:9]
	global_load_dwordx2 v[8:9], v[8:9], off
	v_add_u32_e32 v7, 1, v0
	s_waitcnt vmcnt(0)
	v_cmp_gt_u64_e32 vcc, v[2:3], v[8:9]
	s_nop 1
	v_cndmask_b32_e64 v10, 0, 1, vcc
	v_cmp_le_u64_e32 vcc, v[8:9], v[2:3]
	s_nop 1
	v_cndmask_b32_e64 v8, 0, 1, vcc
	v_cndmask_b32_e64 v8, v8, v10, s[0:1]
	v_and_b32_e32 v8, 1, v8
	v_cmp_eq_u32_e32 vcc, 1, v8
	s_nop 1
	v_cndmask_b32_e32 v6, v0, v6, vcc
	v_cndmask_b32_e32 v5, v5, v7, vcc
	v_cmp_ge_u32_e32 vcc, v5, v6
	s_or_b64 s[2:3], vcc, s[2:3]
	s_andn2_b64 exec, exec, s[2:3]
	s_cbranch_execnz .LBB766_15
; %bb.16:
	s_or_b64 exec, exec, s[2:3]
.LBB766_17:
	v_add_u32_e32 v0, v5, v4
	s_mov_b64 s[2:3], -1
.LBB766_18:
	s_and_b64 exec, exec, s[2:3]
	s_cbranch_execz .LBB766_20
; %bb.19:
	v_mov_b32_e32 v4, s10
	v_mov_b32_e32 v5, s11
	;; [unrolled: 1-line block ×3, first 2 shown]
	v_lshl_add_u64 v[0:1], v[0:1], 3, v[4:5]
	s_waitcnt vmcnt(0)
	global_store_dwordx2 v[0:1], v[2:3], off
.LBB766_20:
	s_endpgm
	.section	.rodata,"a",@progbits
	.p2align	6, 0x0
	.amdhsa_kernel _ZN7rocprim17ROCPRIM_400000_NS6detail17trampoline_kernelINS0_14default_configENS1_38merge_sort_block_merge_config_selectorIyNS0_10empty_typeEEEZZNS1_27merge_sort_block_merge_implIS3_N6thrust23THRUST_200600_302600_NS6detail15normal_iteratorINS9_10device_ptrIyEEEEPS5_jNS1_19radix_merge_compareILb0ELb0EyNS0_19identity_decomposerEEEEE10hipError_tT0_T1_T2_jT3_P12ihipStream_tbPNSt15iterator_traitsISK_E10value_typeEPNSQ_ISL_E10value_typeEPSM_NS1_7vsmem_tEENKUlT_SK_SL_SM_E_clISE_PySF_SF_EESJ_SZ_SK_SL_SM_EUlSZ_E1_NS1_11comp_targetILNS1_3genE5ELNS1_11target_archE942ELNS1_3gpuE9ELNS1_3repE0EEENS1_36merge_oddeven_config_static_selectorELNS0_4arch9wavefront6targetE1EEEvSL_
		.amdhsa_group_segment_fixed_size 0
		.amdhsa_private_segment_fixed_size 0
		.amdhsa_kernarg_size 48
		.amdhsa_user_sgpr_count 2
		.amdhsa_user_sgpr_dispatch_ptr 0
		.amdhsa_user_sgpr_queue_ptr 0
		.amdhsa_user_sgpr_kernarg_segment_ptr 1
		.amdhsa_user_sgpr_dispatch_id 0
		.amdhsa_user_sgpr_kernarg_preload_length 0
		.amdhsa_user_sgpr_kernarg_preload_offset 0
		.amdhsa_user_sgpr_private_segment_size 0
		.amdhsa_uses_dynamic_stack 0
		.amdhsa_enable_private_segment 0
		.amdhsa_system_sgpr_workgroup_id_x 1
		.amdhsa_system_sgpr_workgroup_id_y 0
		.amdhsa_system_sgpr_workgroup_id_z 0
		.amdhsa_system_sgpr_workgroup_info 0
		.amdhsa_system_vgpr_workitem_id 0
		.amdhsa_next_free_vgpr 11
		.amdhsa_next_free_sgpr 19
		.amdhsa_accum_offset 12
		.amdhsa_reserve_vcc 1
		.amdhsa_float_round_mode_32 0
		.amdhsa_float_round_mode_16_64 0
		.amdhsa_float_denorm_mode_32 3
		.amdhsa_float_denorm_mode_16_64 3
		.amdhsa_dx10_clamp 1
		.amdhsa_ieee_mode 1
		.amdhsa_fp16_overflow 0
		.amdhsa_tg_split 0
		.amdhsa_exception_fp_ieee_invalid_op 0
		.amdhsa_exception_fp_denorm_src 0
		.amdhsa_exception_fp_ieee_div_zero 0
		.amdhsa_exception_fp_ieee_overflow 0
		.amdhsa_exception_fp_ieee_underflow 0
		.amdhsa_exception_fp_ieee_inexact 0
		.amdhsa_exception_int_div_zero 0
	.end_amdhsa_kernel
	.section	.text._ZN7rocprim17ROCPRIM_400000_NS6detail17trampoline_kernelINS0_14default_configENS1_38merge_sort_block_merge_config_selectorIyNS0_10empty_typeEEEZZNS1_27merge_sort_block_merge_implIS3_N6thrust23THRUST_200600_302600_NS6detail15normal_iteratorINS9_10device_ptrIyEEEEPS5_jNS1_19radix_merge_compareILb0ELb0EyNS0_19identity_decomposerEEEEE10hipError_tT0_T1_T2_jT3_P12ihipStream_tbPNSt15iterator_traitsISK_E10value_typeEPNSQ_ISL_E10value_typeEPSM_NS1_7vsmem_tEENKUlT_SK_SL_SM_E_clISE_PySF_SF_EESJ_SZ_SK_SL_SM_EUlSZ_E1_NS1_11comp_targetILNS1_3genE5ELNS1_11target_archE942ELNS1_3gpuE9ELNS1_3repE0EEENS1_36merge_oddeven_config_static_selectorELNS0_4arch9wavefront6targetE1EEEvSL_,"axG",@progbits,_ZN7rocprim17ROCPRIM_400000_NS6detail17trampoline_kernelINS0_14default_configENS1_38merge_sort_block_merge_config_selectorIyNS0_10empty_typeEEEZZNS1_27merge_sort_block_merge_implIS3_N6thrust23THRUST_200600_302600_NS6detail15normal_iteratorINS9_10device_ptrIyEEEEPS5_jNS1_19radix_merge_compareILb0ELb0EyNS0_19identity_decomposerEEEEE10hipError_tT0_T1_T2_jT3_P12ihipStream_tbPNSt15iterator_traitsISK_E10value_typeEPNSQ_ISL_E10value_typeEPSM_NS1_7vsmem_tEENKUlT_SK_SL_SM_E_clISE_PySF_SF_EESJ_SZ_SK_SL_SM_EUlSZ_E1_NS1_11comp_targetILNS1_3genE5ELNS1_11target_archE942ELNS1_3gpuE9ELNS1_3repE0EEENS1_36merge_oddeven_config_static_selectorELNS0_4arch9wavefront6targetE1EEEvSL_,comdat
.Lfunc_end766:
	.size	_ZN7rocprim17ROCPRIM_400000_NS6detail17trampoline_kernelINS0_14default_configENS1_38merge_sort_block_merge_config_selectorIyNS0_10empty_typeEEEZZNS1_27merge_sort_block_merge_implIS3_N6thrust23THRUST_200600_302600_NS6detail15normal_iteratorINS9_10device_ptrIyEEEEPS5_jNS1_19radix_merge_compareILb0ELb0EyNS0_19identity_decomposerEEEEE10hipError_tT0_T1_T2_jT3_P12ihipStream_tbPNSt15iterator_traitsISK_E10value_typeEPNSQ_ISL_E10value_typeEPSM_NS1_7vsmem_tEENKUlT_SK_SL_SM_E_clISE_PySF_SF_EESJ_SZ_SK_SL_SM_EUlSZ_E1_NS1_11comp_targetILNS1_3genE5ELNS1_11target_archE942ELNS1_3gpuE9ELNS1_3repE0EEENS1_36merge_oddeven_config_static_selectorELNS0_4arch9wavefront6targetE1EEEvSL_, .Lfunc_end766-_ZN7rocprim17ROCPRIM_400000_NS6detail17trampoline_kernelINS0_14default_configENS1_38merge_sort_block_merge_config_selectorIyNS0_10empty_typeEEEZZNS1_27merge_sort_block_merge_implIS3_N6thrust23THRUST_200600_302600_NS6detail15normal_iteratorINS9_10device_ptrIyEEEEPS5_jNS1_19radix_merge_compareILb0ELb0EyNS0_19identity_decomposerEEEEE10hipError_tT0_T1_T2_jT3_P12ihipStream_tbPNSt15iterator_traitsISK_E10value_typeEPNSQ_ISL_E10value_typeEPSM_NS1_7vsmem_tEENKUlT_SK_SL_SM_E_clISE_PySF_SF_EESJ_SZ_SK_SL_SM_EUlSZ_E1_NS1_11comp_targetILNS1_3genE5ELNS1_11target_archE942ELNS1_3gpuE9ELNS1_3repE0EEENS1_36merge_oddeven_config_static_selectorELNS0_4arch9wavefront6targetE1EEEvSL_
                                        ; -- End function
	.section	.AMDGPU.csdata,"",@progbits
; Kernel info:
; codeLenInByte = 584
; NumSgprs: 25
; NumVgprs: 11
; NumAgprs: 0
; TotalNumVgprs: 11
; ScratchSize: 0
; MemoryBound: 0
; FloatMode: 240
; IeeeMode: 1
; LDSByteSize: 0 bytes/workgroup (compile time only)
; SGPRBlocks: 3
; VGPRBlocks: 1
; NumSGPRsForWavesPerEU: 25
; NumVGPRsForWavesPerEU: 11
; AccumOffset: 12
; Occupancy: 8
; WaveLimiterHint : 0
; COMPUTE_PGM_RSRC2:SCRATCH_EN: 0
; COMPUTE_PGM_RSRC2:USER_SGPR: 2
; COMPUTE_PGM_RSRC2:TRAP_HANDLER: 0
; COMPUTE_PGM_RSRC2:TGID_X_EN: 1
; COMPUTE_PGM_RSRC2:TGID_Y_EN: 0
; COMPUTE_PGM_RSRC2:TGID_Z_EN: 0
; COMPUTE_PGM_RSRC2:TIDIG_COMP_CNT: 0
; COMPUTE_PGM_RSRC3_GFX90A:ACCUM_OFFSET: 2
; COMPUTE_PGM_RSRC3_GFX90A:TG_SPLIT: 0
	.section	.text._ZN7rocprim17ROCPRIM_400000_NS6detail17trampoline_kernelINS0_14default_configENS1_38merge_sort_block_merge_config_selectorIyNS0_10empty_typeEEEZZNS1_27merge_sort_block_merge_implIS3_N6thrust23THRUST_200600_302600_NS6detail15normal_iteratorINS9_10device_ptrIyEEEEPS5_jNS1_19radix_merge_compareILb0ELb0EyNS0_19identity_decomposerEEEEE10hipError_tT0_T1_T2_jT3_P12ihipStream_tbPNSt15iterator_traitsISK_E10value_typeEPNSQ_ISL_E10value_typeEPSM_NS1_7vsmem_tEENKUlT_SK_SL_SM_E_clISE_PySF_SF_EESJ_SZ_SK_SL_SM_EUlSZ_E1_NS1_11comp_targetILNS1_3genE4ELNS1_11target_archE910ELNS1_3gpuE8ELNS1_3repE0EEENS1_36merge_oddeven_config_static_selectorELNS0_4arch9wavefront6targetE1EEEvSL_,"axG",@progbits,_ZN7rocprim17ROCPRIM_400000_NS6detail17trampoline_kernelINS0_14default_configENS1_38merge_sort_block_merge_config_selectorIyNS0_10empty_typeEEEZZNS1_27merge_sort_block_merge_implIS3_N6thrust23THRUST_200600_302600_NS6detail15normal_iteratorINS9_10device_ptrIyEEEEPS5_jNS1_19radix_merge_compareILb0ELb0EyNS0_19identity_decomposerEEEEE10hipError_tT0_T1_T2_jT3_P12ihipStream_tbPNSt15iterator_traitsISK_E10value_typeEPNSQ_ISL_E10value_typeEPSM_NS1_7vsmem_tEENKUlT_SK_SL_SM_E_clISE_PySF_SF_EESJ_SZ_SK_SL_SM_EUlSZ_E1_NS1_11comp_targetILNS1_3genE4ELNS1_11target_archE910ELNS1_3gpuE8ELNS1_3repE0EEENS1_36merge_oddeven_config_static_selectorELNS0_4arch9wavefront6targetE1EEEvSL_,comdat
	.protected	_ZN7rocprim17ROCPRIM_400000_NS6detail17trampoline_kernelINS0_14default_configENS1_38merge_sort_block_merge_config_selectorIyNS0_10empty_typeEEEZZNS1_27merge_sort_block_merge_implIS3_N6thrust23THRUST_200600_302600_NS6detail15normal_iteratorINS9_10device_ptrIyEEEEPS5_jNS1_19radix_merge_compareILb0ELb0EyNS0_19identity_decomposerEEEEE10hipError_tT0_T1_T2_jT3_P12ihipStream_tbPNSt15iterator_traitsISK_E10value_typeEPNSQ_ISL_E10value_typeEPSM_NS1_7vsmem_tEENKUlT_SK_SL_SM_E_clISE_PySF_SF_EESJ_SZ_SK_SL_SM_EUlSZ_E1_NS1_11comp_targetILNS1_3genE4ELNS1_11target_archE910ELNS1_3gpuE8ELNS1_3repE0EEENS1_36merge_oddeven_config_static_selectorELNS0_4arch9wavefront6targetE1EEEvSL_ ; -- Begin function _ZN7rocprim17ROCPRIM_400000_NS6detail17trampoline_kernelINS0_14default_configENS1_38merge_sort_block_merge_config_selectorIyNS0_10empty_typeEEEZZNS1_27merge_sort_block_merge_implIS3_N6thrust23THRUST_200600_302600_NS6detail15normal_iteratorINS9_10device_ptrIyEEEEPS5_jNS1_19radix_merge_compareILb0ELb0EyNS0_19identity_decomposerEEEEE10hipError_tT0_T1_T2_jT3_P12ihipStream_tbPNSt15iterator_traitsISK_E10value_typeEPNSQ_ISL_E10value_typeEPSM_NS1_7vsmem_tEENKUlT_SK_SL_SM_E_clISE_PySF_SF_EESJ_SZ_SK_SL_SM_EUlSZ_E1_NS1_11comp_targetILNS1_3genE4ELNS1_11target_archE910ELNS1_3gpuE8ELNS1_3repE0EEENS1_36merge_oddeven_config_static_selectorELNS0_4arch9wavefront6targetE1EEEvSL_
	.globl	_ZN7rocprim17ROCPRIM_400000_NS6detail17trampoline_kernelINS0_14default_configENS1_38merge_sort_block_merge_config_selectorIyNS0_10empty_typeEEEZZNS1_27merge_sort_block_merge_implIS3_N6thrust23THRUST_200600_302600_NS6detail15normal_iteratorINS9_10device_ptrIyEEEEPS5_jNS1_19radix_merge_compareILb0ELb0EyNS0_19identity_decomposerEEEEE10hipError_tT0_T1_T2_jT3_P12ihipStream_tbPNSt15iterator_traitsISK_E10value_typeEPNSQ_ISL_E10value_typeEPSM_NS1_7vsmem_tEENKUlT_SK_SL_SM_E_clISE_PySF_SF_EESJ_SZ_SK_SL_SM_EUlSZ_E1_NS1_11comp_targetILNS1_3genE4ELNS1_11target_archE910ELNS1_3gpuE8ELNS1_3repE0EEENS1_36merge_oddeven_config_static_selectorELNS0_4arch9wavefront6targetE1EEEvSL_
	.p2align	8
	.type	_ZN7rocprim17ROCPRIM_400000_NS6detail17trampoline_kernelINS0_14default_configENS1_38merge_sort_block_merge_config_selectorIyNS0_10empty_typeEEEZZNS1_27merge_sort_block_merge_implIS3_N6thrust23THRUST_200600_302600_NS6detail15normal_iteratorINS9_10device_ptrIyEEEEPS5_jNS1_19radix_merge_compareILb0ELb0EyNS0_19identity_decomposerEEEEE10hipError_tT0_T1_T2_jT3_P12ihipStream_tbPNSt15iterator_traitsISK_E10value_typeEPNSQ_ISL_E10value_typeEPSM_NS1_7vsmem_tEENKUlT_SK_SL_SM_E_clISE_PySF_SF_EESJ_SZ_SK_SL_SM_EUlSZ_E1_NS1_11comp_targetILNS1_3genE4ELNS1_11target_archE910ELNS1_3gpuE8ELNS1_3repE0EEENS1_36merge_oddeven_config_static_selectorELNS0_4arch9wavefront6targetE1EEEvSL_,@function
_ZN7rocprim17ROCPRIM_400000_NS6detail17trampoline_kernelINS0_14default_configENS1_38merge_sort_block_merge_config_selectorIyNS0_10empty_typeEEEZZNS1_27merge_sort_block_merge_implIS3_N6thrust23THRUST_200600_302600_NS6detail15normal_iteratorINS9_10device_ptrIyEEEEPS5_jNS1_19radix_merge_compareILb0ELb0EyNS0_19identity_decomposerEEEEE10hipError_tT0_T1_T2_jT3_P12ihipStream_tbPNSt15iterator_traitsISK_E10value_typeEPNSQ_ISL_E10value_typeEPSM_NS1_7vsmem_tEENKUlT_SK_SL_SM_E_clISE_PySF_SF_EESJ_SZ_SK_SL_SM_EUlSZ_E1_NS1_11comp_targetILNS1_3genE4ELNS1_11target_archE910ELNS1_3gpuE8ELNS1_3repE0EEENS1_36merge_oddeven_config_static_selectorELNS0_4arch9wavefront6targetE1EEEvSL_: ; @_ZN7rocprim17ROCPRIM_400000_NS6detail17trampoline_kernelINS0_14default_configENS1_38merge_sort_block_merge_config_selectorIyNS0_10empty_typeEEEZZNS1_27merge_sort_block_merge_implIS3_N6thrust23THRUST_200600_302600_NS6detail15normal_iteratorINS9_10device_ptrIyEEEEPS5_jNS1_19radix_merge_compareILb0ELb0EyNS0_19identity_decomposerEEEEE10hipError_tT0_T1_T2_jT3_P12ihipStream_tbPNSt15iterator_traitsISK_E10value_typeEPNSQ_ISL_E10value_typeEPSM_NS1_7vsmem_tEENKUlT_SK_SL_SM_E_clISE_PySF_SF_EESJ_SZ_SK_SL_SM_EUlSZ_E1_NS1_11comp_targetILNS1_3genE4ELNS1_11target_archE910ELNS1_3gpuE8ELNS1_3repE0EEENS1_36merge_oddeven_config_static_selectorELNS0_4arch9wavefront6targetE1EEEvSL_
; %bb.0:
	.section	.rodata,"a",@progbits
	.p2align	6, 0x0
	.amdhsa_kernel _ZN7rocprim17ROCPRIM_400000_NS6detail17trampoline_kernelINS0_14default_configENS1_38merge_sort_block_merge_config_selectorIyNS0_10empty_typeEEEZZNS1_27merge_sort_block_merge_implIS3_N6thrust23THRUST_200600_302600_NS6detail15normal_iteratorINS9_10device_ptrIyEEEEPS5_jNS1_19radix_merge_compareILb0ELb0EyNS0_19identity_decomposerEEEEE10hipError_tT0_T1_T2_jT3_P12ihipStream_tbPNSt15iterator_traitsISK_E10value_typeEPNSQ_ISL_E10value_typeEPSM_NS1_7vsmem_tEENKUlT_SK_SL_SM_E_clISE_PySF_SF_EESJ_SZ_SK_SL_SM_EUlSZ_E1_NS1_11comp_targetILNS1_3genE4ELNS1_11target_archE910ELNS1_3gpuE8ELNS1_3repE0EEENS1_36merge_oddeven_config_static_selectorELNS0_4arch9wavefront6targetE1EEEvSL_
		.amdhsa_group_segment_fixed_size 0
		.amdhsa_private_segment_fixed_size 0
		.amdhsa_kernarg_size 48
		.amdhsa_user_sgpr_count 2
		.amdhsa_user_sgpr_dispatch_ptr 0
		.amdhsa_user_sgpr_queue_ptr 0
		.amdhsa_user_sgpr_kernarg_segment_ptr 1
		.amdhsa_user_sgpr_dispatch_id 0
		.amdhsa_user_sgpr_kernarg_preload_length 0
		.amdhsa_user_sgpr_kernarg_preload_offset 0
		.amdhsa_user_sgpr_private_segment_size 0
		.amdhsa_uses_dynamic_stack 0
		.amdhsa_enable_private_segment 0
		.amdhsa_system_sgpr_workgroup_id_x 1
		.amdhsa_system_sgpr_workgroup_id_y 0
		.amdhsa_system_sgpr_workgroup_id_z 0
		.amdhsa_system_sgpr_workgroup_info 0
		.amdhsa_system_vgpr_workitem_id 0
		.amdhsa_next_free_vgpr 1
		.amdhsa_next_free_sgpr 0
		.amdhsa_accum_offset 4
		.amdhsa_reserve_vcc 0
		.amdhsa_float_round_mode_32 0
		.amdhsa_float_round_mode_16_64 0
		.amdhsa_float_denorm_mode_32 3
		.amdhsa_float_denorm_mode_16_64 3
		.amdhsa_dx10_clamp 1
		.amdhsa_ieee_mode 1
		.amdhsa_fp16_overflow 0
		.amdhsa_tg_split 0
		.amdhsa_exception_fp_ieee_invalid_op 0
		.amdhsa_exception_fp_denorm_src 0
		.amdhsa_exception_fp_ieee_div_zero 0
		.amdhsa_exception_fp_ieee_overflow 0
		.amdhsa_exception_fp_ieee_underflow 0
		.amdhsa_exception_fp_ieee_inexact 0
		.amdhsa_exception_int_div_zero 0
	.end_amdhsa_kernel
	.section	.text._ZN7rocprim17ROCPRIM_400000_NS6detail17trampoline_kernelINS0_14default_configENS1_38merge_sort_block_merge_config_selectorIyNS0_10empty_typeEEEZZNS1_27merge_sort_block_merge_implIS3_N6thrust23THRUST_200600_302600_NS6detail15normal_iteratorINS9_10device_ptrIyEEEEPS5_jNS1_19radix_merge_compareILb0ELb0EyNS0_19identity_decomposerEEEEE10hipError_tT0_T1_T2_jT3_P12ihipStream_tbPNSt15iterator_traitsISK_E10value_typeEPNSQ_ISL_E10value_typeEPSM_NS1_7vsmem_tEENKUlT_SK_SL_SM_E_clISE_PySF_SF_EESJ_SZ_SK_SL_SM_EUlSZ_E1_NS1_11comp_targetILNS1_3genE4ELNS1_11target_archE910ELNS1_3gpuE8ELNS1_3repE0EEENS1_36merge_oddeven_config_static_selectorELNS0_4arch9wavefront6targetE1EEEvSL_,"axG",@progbits,_ZN7rocprim17ROCPRIM_400000_NS6detail17trampoline_kernelINS0_14default_configENS1_38merge_sort_block_merge_config_selectorIyNS0_10empty_typeEEEZZNS1_27merge_sort_block_merge_implIS3_N6thrust23THRUST_200600_302600_NS6detail15normal_iteratorINS9_10device_ptrIyEEEEPS5_jNS1_19radix_merge_compareILb0ELb0EyNS0_19identity_decomposerEEEEE10hipError_tT0_T1_T2_jT3_P12ihipStream_tbPNSt15iterator_traitsISK_E10value_typeEPNSQ_ISL_E10value_typeEPSM_NS1_7vsmem_tEENKUlT_SK_SL_SM_E_clISE_PySF_SF_EESJ_SZ_SK_SL_SM_EUlSZ_E1_NS1_11comp_targetILNS1_3genE4ELNS1_11target_archE910ELNS1_3gpuE8ELNS1_3repE0EEENS1_36merge_oddeven_config_static_selectorELNS0_4arch9wavefront6targetE1EEEvSL_,comdat
.Lfunc_end767:
	.size	_ZN7rocprim17ROCPRIM_400000_NS6detail17trampoline_kernelINS0_14default_configENS1_38merge_sort_block_merge_config_selectorIyNS0_10empty_typeEEEZZNS1_27merge_sort_block_merge_implIS3_N6thrust23THRUST_200600_302600_NS6detail15normal_iteratorINS9_10device_ptrIyEEEEPS5_jNS1_19radix_merge_compareILb0ELb0EyNS0_19identity_decomposerEEEEE10hipError_tT0_T1_T2_jT3_P12ihipStream_tbPNSt15iterator_traitsISK_E10value_typeEPNSQ_ISL_E10value_typeEPSM_NS1_7vsmem_tEENKUlT_SK_SL_SM_E_clISE_PySF_SF_EESJ_SZ_SK_SL_SM_EUlSZ_E1_NS1_11comp_targetILNS1_3genE4ELNS1_11target_archE910ELNS1_3gpuE8ELNS1_3repE0EEENS1_36merge_oddeven_config_static_selectorELNS0_4arch9wavefront6targetE1EEEvSL_, .Lfunc_end767-_ZN7rocprim17ROCPRIM_400000_NS6detail17trampoline_kernelINS0_14default_configENS1_38merge_sort_block_merge_config_selectorIyNS0_10empty_typeEEEZZNS1_27merge_sort_block_merge_implIS3_N6thrust23THRUST_200600_302600_NS6detail15normal_iteratorINS9_10device_ptrIyEEEEPS5_jNS1_19radix_merge_compareILb0ELb0EyNS0_19identity_decomposerEEEEE10hipError_tT0_T1_T2_jT3_P12ihipStream_tbPNSt15iterator_traitsISK_E10value_typeEPNSQ_ISL_E10value_typeEPSM_NS1_7vsmem_tEENKUlT_SK_SL_SM_E_clISE_PySF_SF_EESJ_SZ_SK_SL_SM_EUlSZ_E1_NS1_11comp_targetILNS1_3genE4ELNS1_11target_archE910ELNS1_3gpuE8ELNS1_3repE0EEENS1_36merge_oddeven_config_static_selectorELNS0_4arch9wavefront6targetE1EEEvSL_
                                        ; -- End function
	.section	.AMDGPU.csdata,"",@progbits
; Kernel info:
; codeLenInByte = 0
; NumSgprs: 6
; NumVgprs: 0
; NumAgprs: 0
; TotalNumVgprs: 0
; ScratchSize: 0
; MemoryBound: 0
; FloatMode: 240
; IeeeMode: 1
; LDSByteSize: 0 bytes/workgroup (compile time only)
; SGPRBlocks: 0
; VGPRBlocks: 0
; NumSGPRsForWavesPerEU: 6
; NumVGPRsForWavesPerEU: 1
; AccumOffset: 4
; Occupancy: 8
; WaveLimiterHint : 0
; COMPUTE_PGM_RSRC2:SCRATCH_EN: 0
; COMPUTE_PGM_RSRC2:USER_SGPR: 2
; COMPUTE_PGM_RSRC2:TRAP_HANDLER: 0
; COMPUTE_PGM_RSRC2:TGID_X_EN: 1
; COMPUTE_PGM_RSRC2:TGID_Y_EN: 0
; COMPUTE_PGM_RSRC2:TGID_Z_EN: 0
; COMPUTE_PGM_RSRC2:TIDIG_COMP_CNT: 0
; COMPUTE_PGM_RSRC3_GFX90A:ACCUM_OFFSET: 0
; COMPUTE_PGM_RSRC3_GFX90A:TG_SPLIT: 0
	.section	.text._ZN7rocprim17ROCPRIM_400000_NS6detail17trampoline_kernelINS0_14default_configENS1_38merge_sort_block_merge_config_selectorIyNS0_10empty_typeEEEZZNS1_27merge_sort_block_merge_implIS3_N6thrust23THRUST_200600_302600_NS6detail15normal_iteratorINS9_10device_ptrIyEEEEPS5_jNS1_19radix_merge_compareILb0ELb0EyNS0_19identity_decomposerEEEEE10hipError_tT0_T1_T2_jT3_P12ihipStream_tbPNSt15iterator_traitsISK_E10value_typeEPNSQ_ISL_E10value_typeEPSM_NS1_7vsmem_tEENKUlT_SK_SL_SM_E_clISE_PySF_SF_EESJ_SZ_SK_SL_SM_EUlSZ_E1_NS1_11comp_targetILNS1_3genE3ELNS1_11target_archE908ELNS1_3gpuE7ELNS1_3repE0EEENS1_36merge_oddeven_config_static_selectorELNS0_4arch9wavefront6targetE1EEEvSL_,"axG",@progbits,_ZN7rocprim17ROCPRIM_400000_NS6detail17trampoline_kernelINS0_14default_configENS1_38merge_sort_block_merge_config_selectorIyNS0_10empty_typeEEEZZNS1_27merge_sort_block_merge_implIS3_N6thrust23THRUST_200600_302600_NS6detail15normal_iteratorINS9_10device_ptrIyEEEEPS5_jNS1_19radix_merge_compareILb0ELb0EyNS0_19identity_decomposerEEEEE10hipError_tT0_T1_T2_jT3_P12ihipStream_tbPNSt15iterator_traitsISK_E10value_typeEPNSQ_ISL_E10value_typeEPSM_NS1_7vsmem_tEENKUlT_SK_SL_SM_E_clISE_PySF_SF_EESJ_SZ_SK_SL_SM_EUlSZ_E1_NS1_11comp_targetILNS1_3genE3ELNS1_11target_archE908ELNS1_3gpuE7ELNS1_3repE0EEENS1_36merge_oddeven_config_static_selectorELNS0_4arch9wavefront6targetE1EEEvSL_,comdat
	.protected	_ZN7rocprim17ROCPRIM_400000_NS6detail17trampoline_kernelINS0_14default_configENS1_38merge_sort_block_merge_config_selectorIyNS0_10empty_typeEEEZZNS1_27merge_sort_block_merge_implIS3_N6thrust23THRUST_200600_302600_NS6detail15normal_iteratorINS9_10device_ptrIyEEEEPS5_jNS1_19radix_merge_compareILb0ELb0EyNS0_19identity_decomposerEEEEE10hipError_tT0_T1_T2_jT3_P12ihipStream_tbPNSt15iterator_traitsISK_E10value_typeEPNSQ_ISL_E10value_typeEPSM_NS1_7vsmem_tEENKUlT_SK_SL_SM_E_clISE_PySF_SF_EESJ_SZ_SK_SL_SM_EUlSZ_E1_NS1_11comp_targetILNS1_3genE3ELNS1_11target_archE908ELNS1_3gpuE7ELNS1_3repE0EEENS1_36merge_oddeven_config_static_selectorELNS0_4arch9wavefront6targetE1EEEvSL_ ; -- Begin function _ZN7rocprim17ROCPRIM_400000_NS6detail17trampoline_kernelINS0_14default_configENS1_38merge_sort_block_merge_config_selectorIyNS0_10empty_typeEEEZZNS1_27merge_sort_block_merge_implIS3_N6thrust23THRUST_200600_302600_NS6detail15normal_iteratorINS9_10device_ptrIyEEEEPS5_jNS1_19radix_merge_compareILb0ELb0EyNS0_19identity_decomposerEEEEE10hipError_tT0_T1_T2_jT3_P12ihipStream_tbPNSt15iterator_traitsISK_E10value_typeEPNSQ_ISL_E10value_typeEPSM_NS1_7vsmem_tEENKUlT_SK_SL_SM_E_clISE_PySF_SF_EESJ_SZ_SK_SL_SM_EUlSZ_E1_NS1_11comp_targetILNS1_3genE3ELNS1_11target_archE908ELNS1_3gpuE7ELNS1_3repE0EEENS1_36merge_oddeven_config_static_selectorELNS0_4arch9wavefront6targetE1EEEvSL_
	.globl	_ZN7rocprim17ROCPRIM_400000_NS6detail17trampoline_kernelINS0_14default_configENS1_38merge_sort_block_merge_config_selectorIyNS0_10empty_typeEEEZZNS1_27merge_sort_block_merge_implIS3_N6thrust23THRUST_200600_302600_NS6detail15normal_iteratorINS9_10device_ptrIyEEEEPS5_jNS1_19radix_merge_compareILb0ELb0EyNS0_19identity_decomposerEEEEE10hipError_tT0_T1_T2_jT3_P12ihipStream_tbPNSt15iterator_traitsISK_E10value_typeEPNSQ_ISL_E10value_typeEPSM_NS1_7vsmem_tEENKUlT_SK_SL_SM_E_clISE_PySF_SF_EESJ_SZ_SK_SL_SM_EUlSZ_E1_NS1_11comp_targetILNS1_3genE3ELNS1_11target_archE908ELNS1_3gpuE7ELNS1_3repE0EEENS1_36merge_oddeven_config_static_selectorELNS0_4arch9wavefront6targetE1EEEvSL_
	.p2align	8
	.type	_ZN7rocprim17ROCPRIM_400000_NS6detail17trampoline_kernelINS0_14default_configENS1_38merge_sort_block_merge_config_selectorIyNS0_10empty_typeEEEZZNS1_27merge_sort_block_merge_implIS3_N6thrust23THRUST_200600_302600_NS6detail15normal_iteratorINS9_10device_ptrIyEEEEPS5_jNS1_19radix_merge_compareILb0ELb0EyNS0_19identity_decomposerEEEEE10hipError_tT0_T1_T2_jT3_P12ihipStream_tbPNSt15iterator_traitsISK_E10value_typeEPNSQ_ISL_E10value_typeEPSM_NS1_7vsmem_tEENKUlT_SK_SL_SM_E_clISE_PySF_SF_EESJ_SZ_SK_SL_SM_EUlSZ_E1_NS1_11comp_targetILNS1_3genE3ELNS1_11target_archE908ELNS1_3gpuE7ELNS1_3repE0EEENS1_36merge_oddeven_config_static_selectorELNS0_4arch9wavefront6targetE1EEEvSL_,@function
_ZN7rocprim17ROCPRIM_400000_NS6detail17trampoline_kernelINS0_14default_configENS1_38merge_sort_block_merge_config_selectorIyNS0_10empty_typeEEEZZNS1_27merge_sort_block_merge_implIS3_N6thrust23THRUST_200600_302600_NS6detail15normal_iteratorINS9_10device_ptrIyEEEEPS5_jNS1_19radix_merge_compareILb0ELb0EyNS0_19identity_decomposerEEEEE10hipError_tT0_T1_T2_jT3_P12ihipStream_tbPNSt15iterator_traitsISK_E10value_typeEPNSQ_ISL_E10value_typeEPSM_NS1_7vsmem_tEENKUlT_SK_SL_SM_E_clISE_PySF_SF_EESJ_SZ_SK_SL_SM_EUlSZ_E1_NS1_11comp_targetILNS1_3genE3ELNS1_11target_archE908ELNS1_3gpuE7ELNS1_3repE0EEENS1_36merge_oddeven_config_static_selectorELNS0_4arch9wavefront6targetE1EEEvSL_: ; @_ZN7rocprim17ROCPRIM_400000_NS6detail17trampoline_kernelINS0_14default_configENS1_38merge_sort_block_merge_config_selectorIyNS0_10empty_typeEEEZZNS1_27merge_sort_block_merge_implIS3_N6thrust23THRUST_200600_302600_NS6detail15normal_iteratorINS9_10device_ptrIyEEEEPS5_jNS1_19radix_merge_compareILb0ELb0EyNS0_19identity_decomposerEEEEE10hipError_tT0_T1_T2_jT3_P12ihipStream_tbPNSt15iterator_traitsISK_E10value_typeEPNSQ_ISL_E10value_typeEPSM_NS1_7vsmem_tEENKUlT_SK_SL_SM_E_clISE_PySF_SF_EESJ_SZ_SK_SL_SM_EUlSZ_E1_NS1_11comp_targetILNS1_3genE3ELNS1_11target_archE908ELNS1_3gpuE7ELNS1_3repE0EEENS1_36merge_oddeven_config_static_selectorELNS0_4arch9wavefront6targetE1EEEvSL_
; %bb.0:
	.section	.rodata,"a",@progbits
	.p2align	6, 0x0
	.amdhsa_kernel _ZN7rocprim17ROCPRIM_400000_NS6detail17trampoline_kernelINS0_14default_configENS1_38merge_sort_block_merge_config_selectorIyNS0_10empty_typeEEEZZNS1_27merge_sort_block_merge_implIS3_N6thrust23THRUST_200600_302600_NS6detail15normal_iteratorINS9_10device_ptrIyEEEEPS5_jNS1_19radix_merge_compareILb0ELb0EyNS0_19identity_decomposerEEEEE10hipError_tT0_T1_T2_jT3_P12ihipStream_tbPNSt15iterator_traitsISK_E10value_typeEPNSQ_ISL_E10value_typeEPSM_NS1_7vsmem_tEENKUlT_SK_SL_SM_E_clISE_PySF_SF_EESJ_SZ_SK_SL_SM_EUlSZ_E1_NS1_11comp_targetILNS1_3genE3ELNS1_11target_archE908ELNS1_3gpuE7ELNS1_3repE0EEENS1_36merge_oddeven_config_static_selectorELNS0_4arch9wavefront6targetE1EEEvSL_
		.amdhsa_group_segment_fixed_size 0
		.amdhsa_private_segment_fixed_size 0
		.amdhsa_kernarg_size 48
		.amdhsa_user_sgpr_count 2
		.amdhsa_user_sgpr_dispatch_ptr 0
		.amdhsa_user_sgpr_queue_ptr 0
		.amdhsa_user_sgpr_kernarg_segment_ptr 1
		.amdhsa_user_sgpr_dispatch_id 0
		.amdhsa_user_sgpr_kernarg_preload_length 0
		.amdhsa_user_sgpr_kernarg_preload_offset 0
		.amdhsa_user_sgpr_private_segment_size 0
		.amdhsa_uses_dynamic_stack 0
		.amdhsa_enable_private_segment 0
		.amdhsa_system_sgpr_workgroup_id_x 1
		.amdhsa_system_sgpr_workgroup_id_y 0
		.amdhsa_system_sgpr_workgroup_id_z 0
		.amdhsa_system_sgpr_workgroup_info 0
		.amdhsa_system_vgpr_workitem_id 0
		.amdhsa_next_free_vgpr 1
		.amdhsa_next_free_sgpr 0
		.amdhsa_accum_offset 4
		.amdhsa_reserve_vcc 0
		.amdhsa_float_round_mode_32 0
		.amdhsa_float_round_mode_16_64 0
		.amdhsa_float_denorm_mode_32 3
		.amdhsa_float_denorm_mode_16_64 3
		.amdhsa_dx10_clamp 1
		.amdhsa_ieee_mode 1
		.amdhsa_fp16_overflow 0
		.amdhsa_tg_split 0
		.amdhsa_exception_fp_ieee_invalid_op 0
		.amdhsa_exception_fp_denorm_src 0
		.amdhsa_exception_fp_ieee_div_zero 0
		.amdhsa_exception_fp_ieee_overflow 0
		.amdhsa_exception_fp_ieee_underflow 0
		.amdhsa_exception_fp_ieee_inexact 0
		.amdhsa_exception_int_div_zero 0
	.end_amdhsa_kernel
	.section	.text._ZN7rocprim17ROCPRIM_400000_NS6detail17trampoline_kernelINS0_14default_configENS1_38merge_sort_block_merge_config_selectorIyNS0_10empty_typeEEEZZNS1_27merge_sort_block_merge_implIS3_N6thrust23THRUST_200600_302600_NS6detail15normal_iteratorINS9_10device_ptrIyEEEEPS5_jNS1_19radix_merge_compareILb0ELb0EyNS0_19identity_decomposerEEEEE10hipError_tT0_T1_T2_jT3_P12ihipStream_tbPNSt15iterator_traitsISK_E10value_typeEPNSQ_ISL_E10value_typeEPSM_NS1_7vsmem_tEENKUlT_SK_SL_SM_E_clISE_PySF_SF_EESJ_SZ_SK_SL_SM_EUlSZ_E1_NS1_11comp_targetILNS1_3genE3ELNS1_11target_archE908ELNS1_3gpuE7ELNS1_3repE0EEENS1_36merge_oddeven_config_static_selectorELNS0_4arch9wavefront6targetE1EEEvSL_,"axG",@progbits,_ZN7rocprim17ROCPRIM_400000_NS6detail17trampoline_kernelINS0_14default_configENS1_38merge_sort_block_merge_config_selectorIyNS0_10empty_typeEEEZZNS1_27merge_sort_block_merge_implIS3_N6thrust23THRUST_200600_302600_NS6detail15normal_iteratorINS9_10device_ptrIyEEEEPS5_jNS1_19radix_merge_compareILb0ELb0EyNS0_19identity_decomposerEEEEE10hipError_tT0_T1_T2_jT3_P12ihipStream_tbPNSt15iterator_traitsISK_E10value_typeEPNSQ_ISL_E10value_typeEPSM_NS1_7vsmem_tEENKUlT_SK_SL_SM_E_clISE_PySF_SF_EESJ_SZ_SK_SL_SM_EUlSZ_E1_NS1_11comp_targetILNS1_3genE3ELNS1_11target_archE908ELNS1_3gpuE7ELNS1_3repE0EEENS1_36merge_oddeven_config_static_selectorELNS0_4arch9wavefront6targetE1EEEvSL_,comdat
.Lfunc_end768:
	.size	_ZN7rocprim17ROCPRIM_400000_NS6detail17trampoline_kernelINS0_14default_configENS1_38merge_sort_block_merge_config_selectorIyNS0_10empty_typeEEEZZNS1_27merge_sort_block_merge_implIS3_N6thrust23THRUST_200600_302600_NS6detail15normal_iteratorINS9_10device_ptrIyEEEEPS5_jNS1_19radix_merge_compareILb0ELb0EyNS0_19identity_decomposerEEEEE10hipError_tT0_T1_T2_jT3_P12ihipStream_tbPNSt15iterator_traitsISK_E10value_typeEPNSQ_ISL_E10value_typeEPSM_NS1_7vsmem_tEENKUlT_SK_SL_SM_E_clISE_PySF_SF_EESJ_SZ_SK_SL_SM_EUlSZ_E1_NS1_11comp_targetILNS1_3genE3ELNS1_11target_archE908ELNS1_3gpuE7ELNS1_3repE0EEENS1_36merge_oddeven_config_static_selectorELNS0_4arch9wavefront6targetE1EEEvSL_, .Lfunc_end768-_ZN7rocprim17ROCPRIM_400000_NS6detail17trampoline_kernelINS0_14default_configENS1_38merge_sort_block_merge_config_selectorIyNS0_10empty_typeEEEZZNS1_27merge_sort_block_merge_implIS3_N6thrust23THRUST_200600_302600_NS6detail15normal_iteratorINS9_10device_ptrIyEEEEPS5_jNS1_19radix_merge_compareILb0ELb0EyNS0_19identity_decomposerEEEEE10hipError_tT0_T1_T2_jT3_P12ihipStream_tbPNSt15iterator_traitsISK_E10value_typeEPNSQ_ISL_E10value_typeEPSM_NS1_7vsmem_tEENKUlT_SK_SL_SM_E_clISE_PySF_SF_EESJ_SZ_SK_SL_SM_EUlSZ_E1_NS1_11comp_targetILNS1_3genE3ELNS1_11target_archE908ELNS1_3gpuE7ELNS1_3repE0EEENS1_36merge_oddeven_config_static_selectorELNS0_4arch9wavefront6targetE1EEEvSL_
                                        ; -- End function
	.section	.AMDGPU.csdata,"",@progbits
; Kernel info:
; codeLenInByte = 0
; NumSgprs: 6
; NumVgprs: 0
; NumAgprs: 0
; TotalNumVgprs: 0
; ScratchSize: 0
; MemoryBound: 0
; FloatMode: 240
; IeeeMode: 1
; LDSByteSize: 0 bytes/workgroup (compile time only)
; SGPRBlocks: 0
; VGPRBlocks: 0
; NumSGPRsForWavesPerEU: 6
; NumVGPRsForWavesPerEU: 1
; AccumOffset: 4
; Occupancy: 8
; WaveLimiterHint : 0
; COMPUTE_PGM_RSRC2:SCRATCH_EN: 0
; COMPUTE_PGM_RSRC2:USER_SGPR: 2
; COMPUTE_PGM_RSRC2:TRAP_HANDLER: 0
; COMPUTE_PGM_RSRC2:TGID_X_EN: 1
; COMPUTE_PGM_RSRC2:TGID_Y_EN: 0
; COMPUTE_PGM_RSRC2:TGID_Z_EN: 0
; COMPUTE_PGM_RSRC2:TIDIG_COMP_CNT: 0
; COMPUTE_PGM_RSRC3_GFX90A:ACCUM_OFFSET: 0
; COMPUTE_PGM_RSRC3_GFX90A:TG_SPLIT: 0
	.section	.text._ZN7rocprim17ROCPRIM_400000_NS6detail17trampoline_kernelINS0_14default_configENS1_38merge_sort_block_merge_config_selectorIyNS0_10empty_typeEEEZZNS1_27merge_sort_block_merge_implIS3_N6thrust23THRUST_200600_302600_NS6detail15normal_iteratorINS9_10device_ptrIyEEEEPS5_jNS1_19radix_merge_compareILb0ELb0EyNS0_19identity_decomposerEEEEE10hipError_tT0_T1_T2_jT3_P12ihipStream_tbPNSt15iterator_traitsISK_E10value_typeEPNSQ_ISL_E10value_typeEPSM_NS1_7vsmem_tEENKUlT_SK_SL_SM_E_clISE_PySF_SF_EESJ_SZ_SK_SL_SM_EUlSZ_E1_NS1_11comp_targetILNS1_3genE2ELNS1_11target_archE906ELNS1_3gpuE6ELNS1_3repE0EEENS1_36merge_oddeven_config_static_selectorELNS0_4arch9wavefront6targetE1EEEvSL_,"axG",@progbits,_ZN7rocprim17ROCPRIM_400000_NS6detail17trampoline_kernelINS0_14default_configENS1_38merge_sort_block_merge_config_selectorIyNS0_10empty_typeEEEZZNS1_27merge_sort_block_merge_implIS3_N6thrust23THRUST_200600_302600_NS6detail15normal_iteratorINS9_10device_ptrIyEEEEPS5_jNS1_19radix_merge_compareILb0ELb0EyNS0_19identity_decomposerEEEEE10hipError_tT0_T1_T2_jT3_P12ihipStream_tbPNSt15iterator_traitsISK_E10value_typeEPNSQ_ISL_E10value_typeEPSM_NS1_7vsmem_tEENKUlT_SK_SL_SM_E_clISE_PySF_SF_EESJ_SZ_SK_SL_SM_EUlSZ_E1_NS1_11comp_targetILNS1_3genE2ELNS1_11target_archE906ELNS1_3gpuE6ELNS1_3repE0EEENS1_36merge_oddeven_config_static_selectorELNS0_4arch9wavefront6targetE1EEEvSL_,comdat
	.protected	_ZN7rocprim17ROCPRIM_400000_NS6detail17trampoline_kernelINS0_14default_configENS1_38merge_sort_block_merge_config_selectorIyNS0_10empty_typeEEEZZNS1_27merge_sort_block_merge_implIS3_N6thrust23THRUST_200600_302600_NS6detail15normal_iteratorINS9_10device_ptrIyEEEEPS5_jNS1_19radix_merge_compareILb0ELb0EyNS0_19identity_decomposerEEEEE10hipError_tT0_T1_T2_jT3_P12ihipStream_tbPNSt15iterator_traitsISK_E10value_typeEPNSQ_ISL_E10value_typeEPSM_NS1_7vsmem_tEENKUlT_SK_SL_SM_E_clISE_PySF_SF_EESJ_SZ_SK_SL_SM_EUlSZ_E1_NS1_11comp_targetILNS1_3genE2ELNS1_11target_archE906ELNS1_3gpuE6ELNS1_3repE0EEENS1_36merge_oddeven_config_static_selectorELNS0_4arch9wavefront6targetE1EEEvSL_ ; -- Begin function _ZN7rocprim17ROCPRIM_400000_NS6detail17trampoline_kernelINS0_14default_configENS1_38merge_sort_block_merge_config_selectorIyNS0_10empty_typeEEEZZNS1_27merge_sort_block_merge_implIS3_N6thrust23THRUST_200600_302600_NS6detail15normal_iteratorINS9_10device_ptrIyEEEEPS5_jNS1_19radix_merge_compareILb0ELb0EyNS0_19identity_decomposerEEEEE10hipError_tT0_T1_T2_jT3_P12ihipStream_tbPNSt15iterator_traitsISK_E10value_typeEPNSQ_ISL_E10value_typeEPSM_NS1_7vsmem_tEENKUlT_SK_SL_SM_E_clISE_PySF_SF_EESJ_SZ_SK_SL_SM_EUlSZ_E1_NS1_11comp_targetILNS1_3genE2ELNS1_11target_archE906ELNS1_3gpuE6ELNS1_3repE0EEENS1_36merge_oddeven_config_static_selectorELNS0_4arch9wavefront6targetE1EEEvSL_
	.globl	_ZN7rocprim17ROCPRIM_400000_NS6detail17trampoline_kernelINS0_14default_configENS1_38merge_sort_block_merge_config_selectorIyNS0_10empty_typeEEEZZNS1_27merge_sort_block_merge_implIS3_N6thrust23THRUST_200600_302600_NS6detail15normal_iteratorINS9_10device_ptrIyEEEEPS5_jNS1_19radix_merge_compareILb0ELb0EyNS0_19identity_decomposerEEEEE10hipError_tT0_T1_T2_jT3_P12ihipStream_tbPNSt15iterator_traitsISK_E10value_typeEPNSQ_ISL_E10value_typeEPSM_NS1_7vsmem_tEENKUlT_SK_SL_SM_E_clISE_PySF_SF_EESJ_SZ_SK_SL_SM_EUlSZ_E1_NS1_11comp_targetILNS1_3genE2ELNS1_11target_archE906ELNS1_3gpuE6ELNS1_3repE0EEENS1_36merge_oddeven_config_static_selectorELNS0_4arch9wavefront6targetE1EEEvSL_
	.p2align	8
	.type	_ZN7rocprim17ROCPRIM_400000_NS6detail17trampoline_kernelINS0_14default_configENS1_38merge_sort_block_merge_config_selectorIyNS0_10empty_typeEEEZZNS1_27merge_sort_block_merge_implIS3_N6thrust23THRUST_200600_302600_NS6detail15normal_iteratorINS9_10device_ptrIyEEEEPS5_jNS1_19radix_merge_compareILb0ELb0EyNS0_19identity_decomposerEEEEE10hipError_tT0_T1_T2_jT3_P12ihipStream_tbPNSt15iterator_traitsISK_E10value_typeEPNSQ_ISL_E10value_typeEPSM_NS1_7vsmem_tEENKUlT_SK_SL_SM_E_clISE_PySF_SF_EESJ_SZ_SK_SL_SM_EUlSZ_E1_NS1_11comp_targetILNS1_3genE2ELNS1_11target_archE906ELNS1_3gpuE6ELNS1_3repE0EEENS1_36merge_oddeven_config_static_selectorELNS0_4arch9wavefront6targetE1EEEvSL_,@function
_ZN7rocprim17ROCPRIM_400000_NS6detail17trampoline_kernelINS0_14default_configENS1_38merge_sort_block_merge_config_selectorIyNS0_10empty_typeEEEZZNS1_27merge_sort_block_merge_implIS3_N6thrust23THRUST_200600_302600_NS6detail15normal_iteratorINS9_10device_ptrIyEEEEPS5_jNS1_19radix_merge_compareILb0ELb0EyNS0_19identity_decomposerEEEEE10hipError_tT0_T1_T2_jT3_P12ihipStream_tbPNSt15iterator_traitsISK_E10value_typeEPNSQ_ISL_E10value_typeEPSM_NS1_7vsmem_tEENKUlT_SK_SL_SM_E_clISE_PySF_SF_EESJ_SZ_SK_SL_SM_EUlSZ_E1_NS1_11comp_targetILNS1_3genE2ELNS1_11target_archE906ELNS1_3gpuE6ELNS1_3repE0EEENS1_36merge_oddeven_config_static_selectorELNS0_4arch9wavefront6targetE1EEEvSL_: ; @_ZN7rocprim17ROCPRIM_400000_NS6detail17trampoline_kernelINS0_14default_configENS1_38merge_sort_block_merge_config_selectorIyNS0_10empty_typeEEEZZNS1_27merge_sort_block_merge_implIS3_N6thrust23THRUST_200600_302600_NS6detail15normal_iteratorINS9_10device_ptrIyEEEEPS5_jNS1_19radix_merge_compareILb0ELb0EyNS0_19identity_decomposerEEEEE10hipError_tT0_T1_T2_jT3_P12ihipStream_tbPNSt15iterator_traitsISK_E10value_typeEPNSQ_ISL_E10value_typeEPSM_NS1_7vsmem_tEENKUlT_SK_SL_SM_E_clISE_PySF_SF_EESJ_SZ_SK_SL_SM_EUlSZ_E1_NS1_11comp_targetILNS1_3genE2ELNS1_11target_archE906ELNS1_3gpuE6ELNS1_3repE0EEENS1_36merge_oddeven_config_static_selectorELNS0_4arch9wavefront6targetE1EEEvSL_
; %bb.0:
	.section	.rodata,"a",@progbits
	.p2align	6, 0x0
	.amdhsa_kernel _ZN7rocprim17ROCPRIM_400000_NS6detail17trampoline_kernelINS0_14default_configENS1_38merge_sort_block_merge_config_selectorIyNS0_10empty_typeEEEZZNS1_27merge_sort_block_merge_implIS3_N6thrust23THRUST_200600_302600_NS6detail15normal_iteratorINS9_10device_ptrIyEEEEPS5_jNS1_19radix_merge_compareILb0ELb0EyNS0_19identity_decomposerEEEEE10hipError_tT0_T1_T2_jT3_P12ihipStream_tbPNSt15iterator_traitsISK_E10value_typeEPNSQ_ISL_E10value_typeEPSM_NS1_7vsmem_tEENKUlT_SK_SL_SM_E_clISE_PySF_SF_EESJ_SZ_SK_SL_SM_EUlSZ_E1_NS1_11comp_targetILNS1_3genE2ELNS1_11target_archE906ELNS1_3gpuE6ELNS1_3repE0EEENS1_36merge_oddeven_config_static_selectorELNS0_4arch9wavefront6targetE1EEEvSL_
		.amdhsa_group_segment_fixed_size 0
		.amdhsa_private_segment_fixed_size 0
		.amdhsa_kernarg_size 48
		.amdhsa_user_sgpr_count 2
		.amdhsa_user_sgpr_dispatch_ptr 0
		.amdhsa_user_sgpr_queue_ptr 0
		.amdhsa_user_sgpr_kernarg_segment_ptr 1
		.amdhsa_user_sgpr_dispatch_id 0
		.amdhsa_user_sgpr_kernarg_preload_length 0
		.amdhsa_user_sgpr_kernarg_preload_offset 0
		.amdhsa_user_sgpr_private_segment_size 0
		.amdhsa_uses_dynamic_stack 0
		.amdhsa_enable_private_segment 0
		.amdhsa_system_sgpr_workgroup_id_x 1
		.amdhsa_system_sgpr_workgroup_id_y 0
		.amdhsa_system_sgpr_workgroup_id_z 0
		.amdhsa_system_sgpr_workgroup_info 0
		.amdhsa_system_vgpr_workitem_id 0
		.amdhsa_next_free_vgpr 1
		.amdhsa_next_free_sgpr 0
		.amdhsa_accum_offset 4
		.amdhsa_reserve_vcc 0
		.amdhsa_float_round_mode_32 0
		.amdhsa_float_round_mode_16_64 0
		.amdhsa_float_denorm_mode_32 3
		.amdhsa_float_denorm_mode_16_64 3
		.amdhsa_dx10_clamp 1
		.amdhsa_ieee_mode 1
		.amdhsa_fp16_overflow 0
		.amdhsa_tg_split 0
		.amdhsa_exception_fp_ieee_invalid_op 0
		.amdhsa_exception_fp_denorm_src 0
		.amdhsa_exception_fp_ieee_div_zero 0
		.amdhsa_exception_fp_ieee_overflow 0
		.amdhsa_exception_fp_ieee_underflow 0
		.amdhsa_exception_fp_ieee_inexact 0
		.amdhsa_exception_int_div_zero 0
	.end_amdhsa_kernel
	.section	.text._ZN7rocprim17ROCPRIM_400000_NS6detail17trampoline_kernelINS0_14default_configENS1_38merge_sort_block_merge_config_selectorIyNS0_10empty_typeEEEZZNS1_27merge_sort_block_merge_implIS3_N6thrust23THRUST_200600_302600_NS6detail15normal_iteratorINS9_10device_ptrIyEEEEPS5_jNS1_19radix_merge_compareILb0ELb0EyNS0_19identity_decomposerEEEEE10hipError_tT0_T1_T2_jT3_P12ihipStream_tbPNSt15iterator_traitsISK_E10value_typeEPNSQ_ISL_E10value_typeEPSM_NS1_7vsmem_tEENKUlT_SK_SL_SM_E_clISE_PySF_SF_EESJ_SZ_SK_SL_SM_EUlSZ_E1_NS1_11comp_targetILNS1_3genE2ELNS1_11target_archE906ELNS1_3gpuE6ELNS1_3repE0EEENS1_36merge_oddeven_config_static_selectorELNS0_4arch9wavefront6targetE1EEEvSL_,"axG",@progbits,_ZN7rocprim17ROCPRIM_400000_NS6detail17trampoline_kernelINS0_14default_configENS1_38merge_sort_block_merge_config_selectorIyNS0_10empty_typeEEEZZNS1_27merge_sort_block_merge_implIS3_N6thrust23THRUST_200600_302600_NS6detail15normal_iteratorINS9_10device_ptrIyEEEEPS5_jNS1_19radix_merge_compareILb0ELb0EyNS0_19identity_decomposerEEEEE10hipError_tT0_T1_T2_jT3_P12ihipStream_tbPNSt15iterator_traitsISK_E10value_typeEPNSQ_ISL_E10value_typeEPSM_NS1_7vsmem_tEENKUlT_SK_SL_SM_E_clISE_PySF_SF_EESJ_SZ_SK_SL_SM_EUlSZ_E1_NS1_11comp_targetILNS1_3genE2ELNS1_11target_archE906ELNS1_3gpuE6ELNS1_3repE0EEENS1_36merge_oddeven_config_static_selectorELNS0_4arch9wavefront6targetE1EEEvSL_,comdat
.Lfunc_end769:
	.size	_ZN7rocprim17ROCPRIM_400000_NS6detail17trampoline_kernelINS0_14default_configENS1_38merge_sort_block_merge_config_selectorIyNS0_10empty_typeEEEZZNS1_27merge_sort_block_merge_implIS3_N6thrust23THRUST_200600_302600_NS6detail15normal_iteratorINS9_10device_ptrIyEEEEPS5_jNS1_19radix_merge_compareILb0ELb0EyNS0_19identity_decomposerEEEEE10hipError_tT0_T1_T2_jT3_P12ihipStream_tbPNSt15iterator_traitsISK_E10value_typeEPNSQ_ISL_E10value_typeEPSM_NS1_7vsmem_tEENKUlT_SK_SL_SM_E_clISE_PySF_SF_EESJ_SZ_SK_SL_SM_EUlSZ_E1_NS1_11comp_targetILNS1_3genE2ELNS1_11target_archE906ELNS1_3gpuE6ELNS1_3repE0EEENS1_36merge_oddeven_config_static_selectorELNS0_4arch9wavefront6targetE1EEEvSL_, .Lfunc_end769-_ZN7rocprim17ROCPRIM_400000_NS6detail17trampoline_kernelINS0_14default_configENS1_38merge_sort_block_merge_config_selectorIyNS0_10empty_typeEEEZZNS1_27merge_sort_block_merge_implIS3_N6thrust23THRUST_200600_302600_NS6detail15normal_iteratorINS9_10device_ptrIyEEEEPS5_jNS1_19radix_merge_compareILb0ELb0EyNS0_19identity_decomposerEEEEE10hipError_tT0_T1_T2_jT3_P12ihipStream_tbPNSt15iterator_traitsISK_E10value_typeEPNSQ_ISL_E10value_typeEPSM_NS1_7vsmem_tEENKUlT_SK_SL_SM_E_clISE_PySF_SF_EESJ_SZ_SK_SL_SM_EUlSZ_E1_NS1_11comp_targetILNS1_3genE2ELNS1_11target_archE906ELNS1_3gpuE6ELNS1_3repE0EEENS1_36merge_oddeven_config_static_selectorELNS0_4arch9wavefront6targetE1EEEvSL_
                                        ; -- End function
	.section	.AMDGPU.csdata,"",@progbits
; Kernel info:
; codeLenInByte = 0
; NumSgprs: 6
; NumVgprs: 0
; NumAgprs: 0
; TotalNumVgprs: 0
; ScratchSize: 0
; MemoryBound: 0
; FloatMode: 240
; IeeeMode: 1
; LDSByteSize: 0 bytes/workgroup (compile time only)
; SGPRBlocks: 0
; VGPRBlocks: 0
; NumSGPRsForWavesPerEU: 6
; NumVGPRsForWavesPerEU: 1
; AccumOffset: 4
; Occupancy: 8
; WaveLimiterHint : 0
; COMPUTE_PGM_RSRC2:SCRATCH_EN: 0
; COMPUTE_PGM_RSRC2:USER_SGPR: 2
; COMPUTE_PGM_RSRC2:TRAP_HANDLER: 0
; COMPUTE_PGM_RSRC2:TGID_X_EN: 1
; COMPUTE_PGM_RSRC2:TGID_Y_EN: 0
; COMPUTE_PGM_RSRC2:TGID_Z_EN: 0
; COMPUTE_PGM_RSRC2:TIDIG_COMP_CNT: 0
; COMPUTE_PGM_RSRC3_GFX90A:ACCUM_OFFSET: 0
; COMPUTE_PGM_RSRC3_GFX90A:TG_SPLIT: 0
	.section	.text._ZN7rocprim17ROCPRIM_400000_NS6detail17trampoline_kernelINS0_14default_configENS1_38merge_sort_block_merge_config_selectorIyNS0_10empty_typeEEEZZNS1_27merge_sort_block_merge_implIS3_N6thrust23THRUST_200600_302600_NS6detail15normal_iteratorINS9_10device_ptrIyEEEEPS5_jNS1_19radix_merge_compareILb0ELb0EyNS0_19identity_decomposerEEEEE10hipError_tT0_T1_T2_jT3_P12ihipStream_tbPNSt15iterator_traitsISK_E10value_typeEPNSQ_ISL_E10value_typeEPSM_NS1_7vsmem_tEENKUlT_SK_SL_SM_E_clISE_PySF_SF_EESJ_SZ_SK_SL_SM_EUlSZ_E1_NS1_11comp_targetILNS1_3genE9ELNS1_11target_archE1100ELNS1_3gpuE3ELNS1_3repE0EEENS1_36merge_oddeven_config_static_selectorELNS0_4arch9wavefront6targetE1EEEvSL_,"axG",@progbits,_ZN7rocprim17ROCPRIM_400000_NS6detail17trampoline_kernelINS0_14default_configENS1_38merge_sort_block_merge_config_selectorIyNS0_10empty_typeEEEZZNS1_27merge_sort_block_merge_implIS3_N6thrust23THRUST_200600_302600_NS6detail15normal_iteratorINS9_10device_ptrIyEEEEPS5_jNS1_19radix_merge_compareILb0ELb0EyNS0_19identity_decomposerEEEEE10hipError_tT0_T1_T2_jT3_P12ihipStream_tbPNSt15iterator_traitsISK_E10value_typeEPNSQ_ISL_E10value_typeEPSM_NS1_7vsmem_tEENKUlT_SK_SL_SM_E_clISE_PySF_SF_EESJ_SZ_SK_SL_SM_EUlSZ_E1_NS1_11comp_targetILNS1_3genE9ELNS1_11target_archE1100ELNS1_3gpuE3ELNS1_3repE0EEENS1_36merge_oddeven_config_static_selectorELNS0_4arch9wavefront6targetE1EEEvSL_,comdat
	.protected	_ZN7rocprim17ROCPRIM_400000_NS6detail17trampoline_kernelINS0_14default_configENS1_38merge_sort_block_merge_config_selectorIyNS0_10empty_typeEEEZZNS1_27merge_sort_block_merge_implIS3_N6thrust23THRUST_200600_302600_NS6detail15normal_iteratorINS9_10device_ptrIyEEEEPS5_jNS1_19radix_merge_compareILb0ELb0EyNS0_19identity_decomposerEEEEE10hipError_tT0_T1_T2_jT3_P12ihipStream_tbPNSt15iterator_traitsISK_E10value_typeEPNSQ_ISL_E10value_typeEPSM_NS1_7vsmem_tEENKUlT_SK_SL_SM_E_clISE_PySF_SF_EESJ_SZ_SK_SL_SM_EUlSZ_E1_NS1_11comp_targetILNS1_3genE9ELNS1_11target_archE1100ELNS1_3gpuE3ELNS1_3repE0EEENS1_36merge_oddeven_config_static_selectorELNS0_4arch9wavefront6targetE1EEEvSL_ ; -- Begin function _ZN7rocprim17ROCPRIM_400000_NS6detail17trampoline_kernelINS0_14default_configENS1_38merge_sort_block_merge_config_selectorIyNS0_10empty_typeEEEZZNS1_27merge_sort_block_merge_implIS3_N6thrust23THRUST_200600_302600_NS6detail15normal_iteratorINS9_10device_ptrIyEEEEPS5_jNS1_19radix_merge_compareILb0ELb0EyNS0_19identity_decomposerEEEEE10hipError_tT0_T1_T2_jT3_P12ihipStream_tbPNSt15iterator_traitsISK_E10value_typeEPNSQ_ISL_E10value_typeEPSM_NS1_7vsmem_tEENKUlT_SK_SL_SM_E_clISE_PySF_SF_EESJ_SZ_SK_SL_SM_EUlSZ_E1_NS1_11comp_targetILNS1_3genE9ELNS1_11target_archE1100ELNS1_3gpuE3ELNS1_3repE0EEENS1_36merge_oddeven_config_static_selectorELNS0_4arch9wavefront6targetE1EEEvSL_
	.globl	_ZN7rocprim17ROCPRIM_400000_NS6detail17trampoline_kernelINS0_14default_configENS1_38merge_sort_block_merge_config_selectorIyNS0_10empty_typeEEEZZNS1_27merge_sort_block_merge_implIS3_N6thrust23THRUST_200600_302600_NS6detail15normal_iteratorINS9_10device_ptrIyEEEEPS5_jNS1_19radix_merge_compareILb0ELb0EyNS0_19identity_decomposerEEEEE10hipError_tT0_T1_T2_jT3_P12ihipStream_tbPNSt15iterator_traitsISK_E10value_typeEPNSQ_ISL_E10value_typeEPSM_NS1_7vsmem_tEENKUlT_SK_SL_SM_E_clISE_PySF_SF_EESJ_SZ_SK_SL_SM_EUlSZ_E1_NS1_11comp_targetILNS1_3genE9ELNS1_11target_archE1100ELNS1_3gpuE3ELNS1_3repE0EEENS1_36merge_oddeven_config_static_selectorELNS0_4arch9wavefront6targetE1EEEvSL_
	.p2align	8
	.type	_ZN7rocprim17ROCPRIM_400000_NS6detail17trampoline_kernelINS0_14default_configENS1_38merge_sort_block_merge_config_selectorIyNS0_10empty_typeEEEZZNS1_27merge_sort_block_merge_implIS3_N6thrust23THRUST_200600_302600_NS6detail15normal_iteratorINS9_10device_ptrIyEEEEPS5_jNS1_19radix_merge_compareILb0ELb0EyNS0_19identity_decomposerEEEEE10hipError_tT0_T1_T2_jT3_P12ihipStream_tbPNSt15iterator_traitsISK_E10value_typeEPNSQ_ISL_E10value_typeEPSM_NS1_7vsmem_tEENKUlT_SK_SL_SM_E_clISE_PySF_SF_EESJ_SZ_SK_SL_SM_EUlSZ_E1_NS1_11comp_targetILNS1_3genE9ELNS1_11target_archE1100ELNS1_3gpuE3ELNS1_3repE0EEENS1_36merge_oddeven_config_static_selectorELNS0_4arch9wavefront6targetE1EEEvSL_,@function
_ZN7rocprim17ROCPRIM_400000_NS6detail17trampoline_kernelINS0_14default_configENS1_38merge_sort_block_merge_config_selectorIyNS0_10empty_typeEEEZZNS1_27merge_sort_block_merge_implIS3_N6thrust23THRUST_200600_302600_NS6detail15normal_iteratorINS9_10device_ptrIyEEEEPS5_jNS1_19radix_merge_compareILb0ELb0EyNS0_19identity_decomposerEEEEE10hipError_tT0_T1_T2_jT3_P12ihipStream_tbPNSt15iterator_traitsISK_E10value_typeEPNSQ_ISL_E10value_typeEPSM_NS1_7vsmem_tEENKUlT_SK_SL_SM_E_clISE_PySF_SF_EESJ_SZ_SK_SL_SM_EUlSZ_E1_NS1_11comp_targetILNS1_3genE9ELNS1_11target_archE1100ELNS1_3gpuE3ELNS1_3repE0EEENS1_36merge_oddeven_config_static_selectorELNS0_4arch9wavefront6targetE1EEEvSL_: ; @_ZN7rocprim17ROCPRIM_400000_NS6detail17trampoline_kernelINS0_14default_configENS1_38merge_sort_block_merge_config_selectorIyNS0_10empty_typeEEEZZNS1_27merge_sort_block_merge_implIS3_N6thrust23THRUST_200600_302600_NS6detail15normal_iteratorINS9_10device_ptrIyEEEEPS5_jNS1_19radix_merge_compareILb0ELb0EyNS0_19identity_decomposerEEEEE10hipError_tT0_T1_T2_jT3_P12ihipStream_tbPNSt15iterator_traitsISK_E10value_typeEPNSQ_ISL_E10value_typeEPSM_NS1_7vsmem_tEENKUlT_SK_SL_SM_E_clISE_PySF_SF_EESJ_SZ_SK_SL_SM_EUlSZ_E1_NS1_11comp_targetILNS1_3genE9ELNS1_11target_archE1100ELNS1_3gpuE3ELNS1_3repE0EEENS1_36merge_oddeven_config_static_selectorELNS0_4arch9wavefront6targetE1EEEvSL_
; %bb.0:
	.section	.rodata,"a",@progbits
	.p2align	6, 0x0
	.amdhsa_kernel _ZN7rocprim17ROCPRIM_400000_NS6detail17trampoline_kernelINS0_14default_configENS1_38merge_sort_block_merge_config_selectorIyNS0_10empty_typeEEEZZNS1_27merge_sort_block_merge_implIS3_N6thrust23THRUST_200600_302600_NS6detail15normal_iteratorINS9_10device_ptrIyEEEEPS5_jNS1_19radix_merge_compareILb0ELb0EyNS0_19identity_decomposerEEEEE10hipError_tT0_T1_T2_jT3_P12ihipStream_tbPNSt15iterator_traitsISK_E10value_typeEPNSQ_ISL_E10value_typeEPSM_NS1_7vsmem_tEENKUlT_SK_SL_SM_E_clISE_PySF_SF_EESJ_SZ_SK_SL_SM_EUlSZ_E1_NS1_11comp_targetILNS1_3genE9ELNS1_11target_archE1100ELNS1_3gpuE3ELNS1_3repE0EEENS1_36merge_oddeven_config_static_selectorELNS0_4arch9wavefront6targetE1EEEvSL_
		.amdhsa_group_segment_fixed_size 0
		.amdhsa_private_segment_fixed_size 0
		.amdhsa_kernarg_size 48
		.amdhsa_user_sgpr_count 2
		.amdhsa_user_sgpr_dispatch_ptr 0
		.amdhsa_user_sgpr_queue_ptr 0
		.amdhsa_user_sgpr_kernarg_segment_ptr 1
		.amdhsa_user_sgpr_dispatch_id 0
		.amdhsa_user_sgpr_kernarg_preload_length 0
		.amdhsa_user_sgpr_kernarg_preload_offset 0
		.amdhsa_user_sgpr_private_segment_size 0
		.amdhsa_uses_dynamic_stack 0
		.amdhsa_enable_private_segment 0
		.amdhsa_system_sgpr_workgroup_id_x 1
		.amdhsa_system_sgpr_workgroup_id_y 0
		.amdhsa_system_sgpr_workgroup_id_z 0
		.amdhsa_system_sgpr_workgroup_info 0
		.amdhsa_system_vgpr_workitem_id 0
		.amdhsa_next_free_vgpr 1
		.amdhsa_next_free_sgpr 0
		.amdhsa_accum_offset 4
		.amdhsa_reserve_vcc 0
		.amdhsa_float_round_mode_32 0
		.amdhsa_float_round_mode_16_64 0
		.amdhsa_float_denorm_mode_32 3
		.amdhsa_float_denorm_mode_16_64 3
		.amdhsa_dx10_clamp 1
		.amdhsa_ieee_mode 1
		.amdhsa_fp16_overflow 0
		.amdhsa_tg_split 0
		.amdhsa_exception_fp_ieee_invalid_op 0
		.amdhsa_exception_fp_denorm_src 0
		.amdhsa_exception_fp_ieee_div_zero 0
		.amdhsa_exception_fp_ieee_overflow 0
		.amdhsa_exception_fp_ieee_underflow 0
		.amdhsa_exception_fp_ieee_inexact 0
		.amdhsa_exception_int_div_zero 0
	.end_amdhsa_kernel
	.section	.text._ZN7rocprim17ROCPRIM_400000_NS6detail17trampoline_kernelINS0_14default_configENS1_38merge_sort_block_merge_config_selectorIyNS0_10empty_typeEEEZZNS1_27merge_sort_block_merge_implIS3_N6thrust23THRUST_200600_302600_NS6detail15normal_iteratorINS9_10device_ptrIyEEEEPS5_jNS1_19radix_merge_compareILb0ELb0EyNS0_19identity_decomposerEEEEE10hipError_tT0_T1_T2_jT3_P12ihipStream_tbPNSt15iterator_traitsISK_E10value_typeEPNSQ_ISL_E10value_typeEPSM_NS1_7vsmem_tEENKUlT_SK_SL_SM_E_clISE_PySF_SF_EESJ_SZ_SK_SL_SM_EUlSZ_E1_NS1_11comp_targetILNS1_3genE9ELNS1_11target_archE1100ELNS1_3gpuE3ELNS1_3repE0EEENS1_36merge_oddeven_config_static_selectorELNS0_4arch9wavefront6targetE1EEEvSL_,"axG",@progbits,_ZN7rocprim17ROCPRIM_400000_NS6detail17trampoline_kernelINS0_14default_configENS1_38merge_sort_block_merge_config_selectorIyNS0_10empty_typeEEEZZNS1_27merge_sort_block_merge_implIS3_N6thrust23THRUST_200600_302600_NS6detail15normal_iteratorINS9_10device_ptrIyEEEEPS5_jNS1_19radix_merge_compareILb0ELb0EyNS0_19identity_decomposerEEEEE10hipError_tT0_T1_T2_jT3_P12ihipStream_tbPNSt15iterator_traitsISK_E10value_typeEPNSQ_ISL_E10value_typeEPSM_NS1_7vsmem_tEENKUlT_SK_SL_SM_E_clISE_PySF_SF_EESJ_SZ_SK_SL_SM_EUlSZ_E1_NS1_11comp_targetILNS1_3genE9ELNS1_11target_archE1100ELNS1_3gpuE3ELNS1_3repE0EEENS1_36merge_oddeven_config_static_selectorELNS0_4arch9wavefront6targetE1EEEvSL_,comdat
.Lfunc_end770:
	.size	_ZN7rocprim17ROCPRIM_400000_NS6detail17trampoline_kernelINS0_14default_configENS1_38merge_sort_block_merge_config_selectorIyNS0_10empty_typeEEEZZNS1_27merge_sort_block_merge_implIS3_N6thrust23THRUST_200600_302600_NS6detail15normal_iteratorINS9_10device_ptrIyEEEEPS5_jNS1_19radix_merge_compareILb0ELb0EyNS0_19identity_decomposerEEEEE10hipError_tT0_T1_T2_jT3_P12ihipStream_tbPNSt15iterator_traitsISK_E10value_typeEPNSQ_ISL_E10value_typeEPSM_NS1_7vsmem_tEENKUlT_SK_SL_SM_E_clISE_PySF_SF_EESJ_SZ_SK_SL_SM_EUlSZ_E1_NS1_11comp_targetILNS1_3genE9ELNS1_11target_archE1100ELNS1_3gpuE3ELNS1_3repE0EEENS1_36merge_oddeven_config_static_selectorELNS0_4arch9wavefront6targetE1EEEvSL_, .Lfunc_end770-_ZN7rocprim17ROCPRIM_400000_NS6detail17trampoline_kernelINS0_14default_configENS1_38merge_sort_block_merge_config_selectorIyNS0_10empty_typeEEEZZNS1_27merge_sort_block_merge_implIS3_N6thrust23THRUST_200600_302600_NS6detail15normal_iteratorINS9_10device_ptrIyEEEEPS5_jNS1_19radix_merge_compareILb0ELb0EyNS0_19identity_decomposerEEEEE10hipError_tT0_T1_T2_jT3_P12ihipStream_tbPNSt15iterator_traitsISK_E10value_typeEPNSQ_ISL_E10value_typeEPSM_NS1_7vsmem_tEENKUlT_SK_SL_SM_E_clISE_PySF_SF_EESJ_SZ_SK_SL_SM_EUlSZ_E1_NS1_11comp_targetILNS1_3genE9ELNS1_11target_archE1100ELNS1_3gpuE3ELNS1_3repE0EEENS1_36merge_oddeven_config_static_selectorELNS0_4arch9wavefront6targetE1EEEvSL_
                                        ; -- End function
	.section	.AMDGPU.csdata,"",@progbits
; Kernel info:
; codeLenInByte = 0
; NumSgprs: 6
; NumVgprs: 0
; NumAgprs: 0
; TotalNumVgprs: 0
; ScratchSize: 0
; MemoryBound: 0
; FloatMode: 240
; IeeeMode: 1
; LDSByteSize: 0 bytes/workgroup (compile time only)
; SGPRBlocks: 0
; VGPRBlocks: 0
; NumSGPRsForWavesPerEU: 6
; NumVGPRsForWavesPerEU: 1
; AccumOffset: 4
; Occupancy: 8
; WaveLimiterHint : 0
; COMPUTE_PGM_RSRC2:SCRATCH_EN: 0
; COMPUTE_PGM_RSRC2:USER_SGPR: 2
; COMPUTE_PGM_RSRC2:TRAP_HANDLER: 0
; COMPUTE_PGM_RSRC2:TGID_X_EN: 1
; COMPUTE_PGM_RSRC2:TGID_Y_EN: 0
; COMPUTE_PGM_RSRC2:TGID_Z_EN: 0
; COMPUTE_PGM_RSRC2:TIDIG_COMP_CNT: 0
; COMPUTE_PGM_RSRC3_GFX90A:ACCUM_OFFSET: 0
; COMPUTE_PGM_RSRC3_GFX90A:TG_SPLIT: 0
	.section	.text._ZN7rocprim17ROCPRIM_400000_NS6detail17trampoline_kernelINS0_14default_configENS1_38merge_sort_block_merge_config_selectorIyNS0_10empty_typeEEEZZNS1_27merge_sort_block_merge_implIS3_N6thrust23THRUST_200600_302600_NS6detail15normal_iteratorINS9_10device_ptrIyEEEEPS5_jNS1_19radix_merge_compareILb0ELb0EyNS0_19identity_decomposerEEEEE10hipError_tT0_T1_T2_jT3_P12ihipStream_tbPNSt15iterator_traitsISK_E10value_typeEPNSQ_ISL_E10value_typeEPSM_NS1_7vsmem_tEENKUlT_SK_SL_SM_E_clISE_PySF_SF_EESJ_SZ_SK_SL_SM_EUlSZ_E1_NS1_11comp_targetILNS1_3genE8ELNS1_11target_archE1030ELNS1_3gpuE2ELNS1_3repE0EEENS1_36merge_oddeven_config_static_selectorELNS0_4arch9wavefront6targetE1EEEvSL_,"axG",@progbits,_ZN7rocprim17ROCPRIM_400000_NS6detail17trampoline_kernelINS0_14default_configENS1_38merge_sort_block_merge_config_selectorIyNS0_10empty_typeEEEZZNS1_27merge_sort_block_merge_implIS3_N6thrust23THRUST_200600_302600_NS6detail15normal_iteratorINS9_10device_ptrIyEEEEPS5_jNS1_19radix_merge_compareILb0ELb0EyNS0_19identity_decomposerEEEEE10hipError_tT0_T1_T2_jT3_P12ihipStream_tbPNSt15iterator_traitsISK_E10value_typeEPNSQ_ISL_E10value_typeEPSM_NS1_7vsmem_tEENKUlT_SK_SL_SM_E_clISE_PySF_SF_EESJ_SZ_SK_SL_SM_EUlSZ_E1_NS1_11comp_targetILNS1_3genE8ELNS1_11target_archE1030ELNS1_3gpuE2ELNS1_3repE0EEENS1_36merge_oddeven_config_static_selectorELNS0_4arch9wavefront6targetE1EEEvSL_,comdat
	.protected	_ZN7rocprim17ROCPRIM_400000_NS6detail17trampoline_kernelINS0_14default_configENS1_38merge_sort_block_merge_config_selectorIyNS0_10empty_typeEEEZZNS1_27merge_sort_block_merge_implIS3_N6thrust23THRUST_200600_302600_NS6detail15normal_iteratorINS9_10device_ptrIyEEEEPS5_jNS1_19radix_merge_compareILb0ELb0EyNS0_19identity_decomposerEEEEE10hipError_tT0_T1_T2_jT3_P12ihipStream_tbPNSt15iterator_traitsISK_E10value_typeEPNSQ_ISL_E10value_typeEPSM_NS1_7vsmem_tEENKUlT_SK_SL_SM_E_clISE_PySF_SF_EESJ_SZ_SK_SL_SM_EUlSZ_E1_NS1_11comp_targetILNS1_3genE8ELNS1_11target_archE1030ELNS1_3gpuE2ELNS1_3repE0EEENS1_36merge_oddeven_config_static_selectorELNS0_4arch9wavefront6targetE1EEEvSL_ ; -- Begin function _ZN7rocprim17ROCPRIM_400000_NS6detail17trampoline_kernelINS0_14default_configENS1_38merge_sort_block_merge_config_selectorIyNS0_10empty_typeEEEZZNS1_27merge_sort_block_merge_implIS3_N6thrust23THRUST_200600_302600_NS6detail15normal_iteratorINS9_10device_ptrIyEEEEPS5_jNS1_19radix_merge_compareILb0ELb0EyNS0_19identity_decomposerEEEEE10hipError_tT0_T1_T2_jT3_P12ihipStream_tbPNSt15iterator_traitsISK_E10value_typeEPNSQ_ISL_E10value_typeEPSM_NS1_7vsmem_tEENKUlT_SK_SL_SM_E_clISE_PySF_SF_EESJ_SZ_SK_SL_SM_EUlSZ_E1_NS1_11comp_targetILNS1_3genE8ELNS1_11target_archE1030ELNS1_3gpuE2ELNS1_3repE0EEENS1_36merge_oddeven_config_static_selectorELNS0_4arch9wavefront6targetE1EEEvSL_
	.globl	_ZN7rocprim17ROCPRIM_400000_NS6detail17trampoline_kernelINS0_14default_configENS1_38merge_sort_block_merge_config_selectorIyNS0_10empty_typeEEEZZNS1_27merge_sort_block_merge_implIS3_N6thrust23THRUST_200600_302600_NS6detail15normal_iteratorINS9_10device_ptrIyEEEEPS5_jNS1_19radix_merge_compareILb0ELb0EyNS0_19identity_decomposerEEEEE10hipError_tT0_T1_T2_jT3_P12ihipStream_tbPNSt15iterator_traitsISK_E10value_typeEPNSQ_ISL_E10value_typeEPSM_NS1_7vsmem_tEENKUlT_SK_SL_SM_E_clISE_PySF_SF_EESJ_SZ_SK_SL_SM_EUlSZ_E1_NS1_11comp_targetILNS1_3genE8ELNS1_11target_archE1030ELNS1_3gpuE2ELNS1_3repE0EEENS1_36merge_oddeven_config_static_selectorELNS0_4arch9wavefront6targetE1EEEvSL_
	.p2align	8
	.type	_ZN7rocprim17ROCPRIM_400000_NS6detail17trampoline_kernelINS0_14default_configENS1_38merge_sort_block_merge_config_selectorIyNS0_10empty_typeEEEZZNS1_27merge_sort_block_merge_implIS3_N6thrust23THRUST_200600_302600_NS6detail15normal_iteratorINS9_10device_ptrIyEEEEPS5_jNS1_19radix_merge_compareILb0ELb0EyNS0_19identity_decomposerEEEEE10hipError_tT0_T1_T2_jT3_P12ihipStream_tbPNSt15iterator_traitsISK_E10value_typeEPNSQ_ISL_E10value_typeEPSM_NS1_7vsmem_tEENKUlT_SK_SL_SM_E_clISE_PySF_SF_EESJ_SZ_SK_SL_SM_EUlSZ_E1_NS1_11comp_targetILNS1_3genE8ELNS1_11target_archE1030ELNS1_3gpuE2ELNS1_3repE0EEENS1_36merge_oddeven_config_static_selectorELNS0_4arch9wavefront6targetE1EEEvSL_,@function
_ZN7rocprim17ROCPRIM_400000_NS6detail17trampoline_kernelINS0_14default_configENS1_38merge_sort_block_merge_config_selectorIyNS0_10empty_typeEEEZZNS1_27merge_sort_block_merge_implIS3_N6thrust23THRUST_200600_302600_NS6detail15normal_iteratorINS9_10device_ptrIyEEEEPS5_jNS1_19radix_merge_compareILb0ELb0EyNS0_19identity_decomposerEEEEE10hipError_tT0_T1_T2_jT3_P12ihipStream_tbPNSt15iterator_traitsISK_E10value_typeEPNSQ_ISL_E10value_typeEPSM_NS1_7vsmem_tEENKUlT_SK_SL_SM_E_clISE_PySF_SF_EESJ_SZ_SK_SL_SM_EUlSZ_E1_NS1_11comp_targetILNS1_3genE8ELNS1_11target_archE1030ELNS1_3gpuE2ELNS1_3repE0EEENS1_36merge_oddeven_config_static_selectorELNS0_4arch9wavefront6targetE1EEEvSL_: ; @_ZN7rocprim17ROCPRIM_400000_NS6detail17trampoline_kernelINS0_14default_configENS1_38merge_sort_block_merge_config_selectorIyNS0_10empty_typeEEEZZNS1_27merge_sort_block_merge_implIS3_N6thrust23THRUST_200600_302600_NS6detail15normal_iteratorINS9_10device_ptrIyEEEEPS5_jNS1_19radix_merge_compareILb0ELb0EyNS0_19identity_decomposerEEEEE10hipError_tT0_T1_T2_jT3_P12ihipStream_tbPNSt15iterator_traitsISK_E10value_typeEPNSQ_ISL_E10value_typeEPSM_NS1_7vsmem_tEENKUlT_SK_SL_SM_E_clISE_PySF_SF_EESJ_SZ_SK_SL_SM_EUlSZ_E1_NS1_11comp_targetILNS1_3genE8ELNS1_11target_archE1030ELNS1_3gpuE2ELNS1_3repE0EEENS1_36merge_oddeven_config_static_selectorELNS0_4arch9wavefront6targetE1EEEvSL_
; %bb.0:
	.section	.rodata,"a",@progbits
	.p2align	6, 0x0
	.amdhsa_kernel _ZN7rocprim17ROCPRIM_400000_NS6detail17trampoline_kernelINS0_14default_configENS1_38merge_sort_block_merge_config_selectorIyNS0_10empty_typeEEEZZNS1_27merge_sort_block_merge_implIS3_N6thrust23THRUST_200600_302600_NS6detail15normal_iteratorINS9_10device_ptrIyEEEEPS5_jNS1_19radix_merge_compareILb0ELb0EyNS0_19identity_decomposerEEEEE10hipError_tT0_T1_T2_jT3_P12ihipStream_tbPNSt15iterator_traitsISK_E10value_typeEPNSQ_ISL_E10value_typeEPSM_NS1_7vsmem_tEENKUlT_SK_SL_SM_E_clISE_PySF_SF_EESJ_SZ_SK_SL_SM_EUlSZ_E1_NS1_11comp_targetILNS1_3genE8ELNS1_11target_archE1030ELNS1_3gpuE2ELNS1_3repE0EEENS1_36merge_oddeven_config_static_selectorELNS0_4arch9wavefront6targetE1EEEvSL_
		.amdhsa_group_segment_fixed_size 0
		.amdhsa_private_segment_fixed_size 0
		.amdhsa_kernarg_size 48
		.amdhsa_user_sgpr_count 2
		.amdhsa_user_sgpr_dispatch_ptr 0
		.amdhsa_user_sgpr_queue_ptr 0
		.amdhsa_user_sgpr_kernarg_segment_ptr 1
		.amdhsa_user_sgpr_dispatch_id 0
		.amdhsa_user_sgpr_kernarg_preload_length 0
		.amdhsa_user_sgpr_kernarg_preload_offset 0
		.amdhsa_user_sgpr_private_segment_size 0
		.amdhsa_uses_dynamic_stack 0
		.amdhsa_enable_private_segment 0
		.amdhsa_system_sgpr_workgroup_id_x 1
		.amdhsa_system_sgpr_workgroup_id_y 0
		.amdhsa_system_sgpr_workgroup_id_z 0
		.amdhsa_system_sgpr_workgroup_info 0
		.amdhsa_system_vgpr_workitem_id 0
		.amdhsa_next_free_vgpr 1
		.amdhsa_next_free_sgpr 0
		.amdhsa_accum_offset 4
		.amdhsa_reserve_vcc 0
		.amdhsa_float_round_mode_32 0
		.amdhsa_float_round_mode_16_64 0
		.amdhsa_float_denorm_mode_32 3
		.amdhsa_float_denorm_mode_16_64 3
		.amdhsa_dx10_clamp 1
		.amdhsa_ieee_mode 1
		.amdhsa_fp16_overflow 0
		.amdhsa_tg_split 0
		.amdhsa_exception_fp_ieee_invalid_op 0
		.amdhsa_exception_fp_denorm_src 0
		.amdhsa_exception_fp_ieee_div_zero 0
		.amdhsa_exception_fp_ieee_overflow 0
		.amdhsa_exception_fp_ieee_underflow 0
		.amdhsa_exception_fp_ieee_inexact 0
		.amdhsa_exception_int_div_zero 0
	.end_amdhsa_kernel
	.section	.text._ZN7rocprim17ROCPRIM_400000_NS6detail17trampoline_kernelINS0_14default_configENS1_38merge_sort_block_merge_config_selectorIyNS0_10empty_typeEEEZZNS1_27merge_sort_block_merge_implIS3_N6thrust23THRUST_200600_302600_NS6detail15normal_iteratorINS9_10device_ptrIyEEEEPS5_jNS1_19radix_merge_compareILb0ELb0EyNS0_19identity_decomposerEEEEE10hipError_tT0_T1_T2_jT3_P12ihipStream_tbPNSt15iterator_traitsISK_E10value_typeEPNSQ_ISL_E10value_typeEPSM_NS1_7vsmem_tEENKUlT_SK_SL_SM_E_clISE_PySF_SF_EESJ_SZ_SK_SL_SM_EUlSZ_E1_NS1_11comp_targetILNS1_3genE8ELNS1_11target_archE1030ELNS1_3gpuE2ELNS1_3repE0EEENS1_36merge_oddeven_config_static_selectorELNS0_4arch9wavefront6targetE1EEEvSL_,"axG",@progbits,_ZN7rocprim17ROCPRIM_400000_NS6detail17trampoline_kernelINS0_14default_configENS1_38merge_sort_block_merge_config_selectorIyNS0_10empty_typeEEEZZNS1_27merge_sort_block_merge_implIS3_N6thrust23THRUST_200600_302600_NS6detail15normal_iteratorINS9_10device_ptrIyEEEEPS5_jNS1_19radix_merge_compareILb0ELb0EyNS0_19identity_decomposerEEEEE10hipError_tT0_T1_T2_jT3_P12ihipStream_tbPNSt15iterator_traitsISK_E10value_typeEPNSQ_ISL_E10value_typeEPSM_NS1_7vsmem_tEENKUlT_SK_SL_SM_E_clISE_PySF_SF_EESJ_SZ_SK_SL_SM_EUlSZ_E1_NS1_11comp_targetILNS1_3genE8ELNS1_11target_archE1030ELNS1_3gpuE2ELNS1_3repE0EEENS1_36merge_oddeven_config_static_selectorELNS0_4arch9wavefront6targetE1EEEvSL_,comdat
.Lfunc_end771:
	.size	_ZN7rocprim17ROCPRIM_400000_NS6detail17trampoline_kernelINS0_14default_configENS1_38merge_sort_block_merge_config_selectorIyNS0_10empty_typeEEEZZNS1_27merge_sort_block_merge_implIS3_N6thrust23THRUST_200600_302600_NS6detail15normal_iteratorINS9_10device_ptrIyEEEEPS5_jNS1_19radix_merge_compareILb0ELb0EyNS0_19identity_decomposerEEEEE10hipError_tT0_T1_T2_jT3_P12ihipStream_tbPNSt15iterator_traitsISK_E10value_typeEPNSQ_ISL_E10value_typeEPSM_NS1_7vsmem_tEENKUlT_SK_SL_SM_E_clISE_PySF_SF_EESJ_SZ_SK_SL_SM_EUlSZ_E1_NS1_11comp_targetILNS1_3genE8ELNS1_11target_archE1030ELNS1_3gpuE2ELNS1_3repE0EEENS1_36merge_oddeven_config_static_selectorELNS0_4arch9wavefront6targetE1EEEvSL_, .Lfunc_end771-_ZN7rocprim17ROCPRIM_400000_NS6detail17trampoline_kernelINS0_14default_configENS1_38merge_sort_block_merge_config_selectorIyNS0_10empty_typeEEEZZNS1_27merge_sort_block_merge_implIS3_N6thrust23THRUST_200600_302600_NS6detail15normal_iteratorINS9_10device_ptrIyEEEEPS5_jNS1_19radix_merge_compareILb0ELb0EyNS0_19identity_decomposerEEEEE10hipError_tT0_T1_T2_jT3_P12ihipStream_tbPNSt15iterator_traitsISK_E10value_typeEPNSQ_ISL_E10value_typeEPSM_NS1_7vsmem_tEENKUlT_SK_SL_SM_E_clISE_PySF_SF_EESJ_SZ_SK_SL_SM_EUlSZ_E1_NS1_11comp_targetILNS1_3genE8ELNS1_11target_archE1030ELNS1_3gpuE2ELNS1_3repE0EEENS1_36merge_oddeven_config_static_selectorELNS0_4arch9wavefront6targetE1EEEvSL_
                                        ; -- End function
	.section	.AMDGPU.csdata,"",@progbits
; Kernel info:
; codeLenInByte = 0
; NumSgprs: 6
; NumVgprs: 0
; NumAgprs: 0
; TotalNumVgprs: 0
; ScratchSize: 0
; MemoryBound: 0
; FloatMode: 240
; IeeeMode: 1
; LDSByteSize: 0 bytes/workgroup (compile time only)
; SGPRBlocks: 0
; VGPRBlocks: 0
; NumSGPRsForWavesPerEU: 6
; NumVGPRsForWavesPerEU: 1
; AccumOffset: 4
; Occupancy: 8
; WaveLimiterHint : 0
; COMPUTE_PGM_RSRC2:SCRATCH_EN: 0
; COMPUTE_PGM_RSRC2:USER_SGPR: 2
; COMPUTE_PGM_RSRC2:TRAP_HANDLER: 0
; COMPUTE_PGM_RSRC2:TGID_X_EN: 1
; COMPUTE_PGM_RSRC2:TGID_Y_EN: 0
; COMPUTE_PGM_RSRC2:TGID_Z_EN: 0
; COMPUTE_PGM_RSRC2:TIDIG_COMP_CNT: 0
; COMPUTE_PGM_RSRC3_GFX90A:ACCUM_OFFSET: 0
; COMPUTE_PGM_RSRC3_GFX90A:TG_SPLIT: 0
	.section	.text._ZN7rocprim17ROCPRIM_400000_NS6detail17trampoline_kernelINS0_14default_configENS1_25transform_config_selectorIyLb0EEEZNS1_14transform_implILb0ES3_S5_PyN6thrust23THRUST_200600_302600_NS6detail15normal_iteratorINS9_10device_ptrIyEEEENS0_8identityIyEEEE10hipError_tT2_T3_mT4_P12ihipStream_tbEUlT_E_NS1_11comp_targetILNS1_3genE0ELNS1_11target_archE4294967295ELNS1_3gpuE0ELNS1_3repE0EEENS1_30default_config_static_selectorELNS0_4arch9wavefront6targetE1EEEvT1_,"axG",@progbits,_ZN7rocprim17ROCPRIM_400000_NS6detail17trampoline_kernelINS0_14default_configENS1_25transform_config_selectorIyLb0EEEZNS1_14transform_implILb0ES3_S5_PyN6thrust23THRUST_200600_302600_NS6detail15normal_iteratorINS9_10device_ptrIyEEEENS0_8identityIyEEEE10hipError_tT2_T3_mT4_P12ihipStream_tbEUlT_E_NS1_11comp_targetILNS1_3genE0ELNS1_11target_archE4294967295ELNS1_3gpuE0ELNS1_3repE0EEENS1_30default_config_static_selectorELNS0_4arch9wavefront6targetE1EEEvT1_,comdat
	.protected	_ZN7rocprim17ROCPRIM_400000_NS6detail17trampoline_kernelINS0_14default_configENS1_25transform_config_selectorIyLb0EEEZNS1_14transform_implILb0ES3_S5_PyN6thrust23THRUST_200600_302600_NS6detail15normal_iteratorINS9_10device_ptrIyEEEENS0_8identityIyEEEE10hipError_tT2_T3_mT4_P12ihipStream_tbEUlT_E_NS1_11comp_targetILNS1_3genE0ELNS1_11target_archE4294967295ELNS1_3gpuE0ELNS1_3repE0EEENS1_30default_config_static_selectorELNS0_4arch9wavefront6targetE1EEEvT1_ ; -- Begin function _ZN7rocprim17ROCPRIM_400000_NS6detail17trampoline_kernelINS0_14default_configENS1_25transform_config_selectorIyLb0EEEZNS1_14transform_implILb0ES3_S5_PyN6thrust23THRUST_200600_302600_NS6detail15normal_iteratorINS9_10device_ptrIyEEEENS0_8identityIyEEEE10hipError_tT2_T3_mT4_P12ihipStream_tbEUlT_E_NS1_11comp_targetILNS1_3genE0ELNS1_11target_archE4294967295ELNS1_3gpuE0ELNS1_3repE0EEENS1_30default_config_static_selectorELNS0_4arch9wavefront6targetE1EEEvT1_
	.globl	_ZN7rocprim17ROCPRIM_400000_NS6detail17trampoline_kernelINS0_14default_configENS1_25transform_config_selectorIyLb0EEEZNS1_14transform_implILb0ES3_S5_PyN6thrust23THRUST_200600_302600_NS6detail15normal_iteratorINS9_10device_ptrIyEEEENS0_8identityIyEEEE10hipError_tT2_T3_mT4_P12ihipStream_tbEUlT_E_NS1_11comp_targetILNS1_3genE0ELNS1_11target_archE4294967295ELNS1_3gpuE0ELNS1_3repE0EEENS1_30default_config_static_selectorELNS0_4arch9wavefront6targetE1EEEvT1_
	.p2align	8
	.type	_ZN7rocprim17ROCPRIM_400000_NS6detail17trampoline_kernelINS0_14default_configENS1_25transform_config_selectorIyLb0EEEZNS1_14transform_implILb0ES3_S5_PyN6thrust23THRUST_200600_302600_NS6detail15normal_iteratorINS9_10device_ptrIyEEEENS0_8identityIyEEEE10hipError_tT2_T3_mT4_P12ihipStream_tbEUlT_E_NS1_11comp_targetILNS1_3genE0ELNS1_11target_archE4294967295ELNS1_3gpuE0ELNS1_3repE0EEENS1_30default_config_static_selectorELNS0_4arch9wavefront6targetE1EEEvT1_,@function
_ZN7rocprim17ROCPRIM_400000_NS6detail17trampoline_kernelINS0_14default_configENS1_25transform_config_selectorIyLb0EEEZNS1_14transform_implILb0ES3_S5_PyN6thrust23THRUST_200600_302600_NS6detail15normal_iteratorINS9_10device_ptrIyEEEENS0_8identityIyEEEE10hipError_tT2_T3_mT4_P12ihipStream_tbEUlT_E_NS1_11comp_targetILNS1_3genE0ELNS1_11target_archE4294967295ELNS1_3gpuE0ELNS1_3repE0EEENS1_30default_config_static_selectorELNS0_4arch9wavefront6targetE1EEEvT1_: ; @_ZN7rocprim17ROCPRIM_400000_NS6detail17trampoline_kernelINS0_14default_configENS1_25transform_config_selectorIyLb0EEEZNS1_14transform_implILb0ES3_S5_PyN6thrust23THRUST_200600_302600_NS6detail15normal_iteratorINS9_10device_ptrIyEEEENS0_8identityIyEEEE10hipError_tT2_T3_mT4_P12ihipStream_tbEUlT_E_NS1_11comp_targetILNS1_3genE0ELNS1_11target_archE4294967295ELNS1_3gpuE0ELNS1_3repE0EEENS1_30default_config_static_selectorELNS0_4arch9wavefront6targetE1EEEvT1_
; %bb.0:
	.section	.rodata,"a",@progbits
	.p2align	6, 0x0
	.amdhsa_kernel _ZN7rocprim17ROCPRIM_400000_NS6detail17trampoline_kernelINS0_14default_configENS1_25transform_config_selectorIyLb0EEEZNS1_14transform_implILb0ES3_S5_PyN6thrust23THRUST_200600_302600_NS6detail15normal_iteratorINS9_10device_ptrIyEEEENS0_8identityIyEEEE10hipError_tT2_T3_mT4_P12ihipStream_tbEUlT_E_NS1_11comp_targetILNS1_3genE0ELNS1_11target_archE4294967295ELNS1_3gpuE0ELNS1_3repE0EEENS1_30default_config_static_selectorELNS0_4arch9wavefront6targetE1EEEvT1_
		.amdhsa_group_segment_fixed_size 0
		.amdhsa_private_segment_fixed_size 0
		.amdhsa_kernarg_size 40
		.amdhsa_user_sgpr_count 2
		.amdhsa_user_sgpr_dispatch_ptr 0
		.amdhsa_user_sgpr_queue_ptr 0
		.amdhsa_user_sgpr_kernarg_segment_ptr 1
		.amdhsa_user_sgpr_dispatch_id 0
		.amdhsa_user_sgpr_kernarg_preload_length 0
		.amdhsa_user_sgpr_kernarg_preload_offset 0
		.amdhsa_user_sgpr_private_segment_size 0
		.amdhsa_uses_dynamic_stack 0
		.amdhsa_enable_private_segment 0
		.amdhsa_system_sgpr_workgroup_id_x 1
		.amdhsa_system_sgpr_workgroup_id_y 0
		.amdhsa_system_sgpr_workgroup_id_z 0
		.amdhsa_system_sgpr_workgroup_info 0
		.amdhsa_system_vgpr_workitem_id 0
		.amdhsa_next_free_vgpr 1
		.amdhsa_next_free_sgpr 0
		.amdhsa_accum_offset 4
		.amdhsa_reserve_vcc 0
		.amdhsa_float_round_mode_32 0
		.amdhsa_float_round_mode_16_64 0
		.amdhsa_float_denorm_mode_32 3
		.amdhsa_float_denorm_mode_16_64 3
		.amdhsa_dx10_clamp 1
		.amdhsa_ieee_mode 1
		.amdhsa_fp16_overflow 0
		.amdhsa_tg_split 0
		.amdhsa_exception_fp_ieee_invalid_op 0
		.amdhsa_exception_fp_denorm_src 0
		.amdhsa_exception_fp_ieee_div_zero 0
		.amdhsa_exception_fp_ieee_overflow 0
		.amdhsa_exception_fp_ieee_underflow 0
		.amdhsa_exception_fp_ieee_inexact 0
		.amdhsa_exception_int_div_zero 0
	.end_amdhsa_kernel
	.section	.text._ZN7rocprim17ROCPRIM_400000_NS6detail17trampoline_kernelINS0_14default_configENS1_25transform_config_selectorIyLb0EEEZNS1_14transform_implILb0ES3_S5_PyN6thrust23THRUST_200600_302600_NS6detail15normal_iteratorINS9_10device_ptrIyEEEENS0_8identityIyEEEE10hipError_tT2_T3_mT4_P12ihipStream_tbEUlT_E_NS1_11comp_targetILNS1_3genE0ELNS1_11target_archE4294967295ELNS1_3gpuE0ELNS1_3repE0EEENS1_30default_config_static_selectorELNS0_4arch9wavefront6targetE1EEEvT1_,"axG",@progbits,_ZN7rocprim17ROCPRIM_400000_NS6detail17trampoline_kernelINS0_14default_configENS1_25transform_config_selectorIyLb0EEEZNS1_14transform_implILb0ES3_S5_PyN6thrust23THRUST_200600_302600_NS6detail15normal_iteratorINS9_10device_ptrIyEEEENS0_8identityIyEEEE10hipError_tT2_T3_mT4_P12ihipStream_tbEUlT_E_NS1_11comp_targetILNS1_3genE0ELNS1_11target_archE4294967295ELNS1_3gpuE0ELNS1_3repE0EEENS1_30default_config_static_selectorELNS0_4arch9wavefront6targetE1EEEvT1_,comdat
.Lfunc_end772:
	.size	_ZN7rocprim17ROCPRIM_400000_NS6detail17trampoline_kernelINS0_14default_configENS1_25transform_config_selectorIyLb0EEEZNS1_14transform_implILb0ES3_S5_PyN6thrust23THRUST_200600_302600_NS6detail15normal_iteratorINS9_10device_ptrIyEEEENS0_8identityIyEEEE10hipError_tT2_T3_mT4_P12ihipStream_tbEUlT_E_NS1_11comp_targetILNS1_3genE0ELNS1_11target_archE4294967295ELNS1_3gpuE0ELNS1_3repE0EEENS1_30default_config_static_selectorELNS0_4arch9wavefront6targetE1EEEvT1_, .Lfunc_end772-_ZN7rocprim17ROCPRIM_400000_NS6detail17trampoline_kernelINS0_14default_configENS1_25transform_config_selectorIyLb0EEEZNS1_14transform_implILb0ES3_S5_PyN6thrust23THRUST_200600_302600_NS6detail15normal_iteratorINS9_10device_ptrIyEEEENS0_8identityIyEEEE10hipError_tT2_T3_mT4_P12ihipStream_tbEUlT_E_NS1_11comp_targetILNS1_3genE0ELNS1_11target_archE4294967295ELNS1_3gpuE0ELNS1_3repE0EEENS1_30default_config_static_selectorELNS0_4arch9wavefront6targetE1EEEvT1_
                                        ; -- End function
	.section	.AMDGPU.csdata,"",@progbits
; Kernel info:
; codeLenInByte = 0
; NumSgprs: 6
; NumVgprs: 0
; NumAgprs: 0
; TotalNumVgprs: 0
; ScratchSize: 0
; MemoryBound: 0
; FloatMode: 240
; IeeeMode: 1
; LDSByteSize: 0 bytes/workgroup (compile time only)
; SGPRBlocks: 0
; VGPRBlocks: 0
; NumSGPRsForWavesPerEU: 6
; NumVGPRsForWavesPerEU: 1
; AccumOffset: 4
; Occupancy: 8
; WaveLimiterHint : 0
; COMPUTE_PGM_RSRC2:SCRATCH_EN: 0
; COMPUTE_PGM_RSRC2:USER_SGPR: 2
; COMPUTE_PGM_RSRC2:TRAP_HANDLER: 0
; COMPUTE_PGM_RSRC2:TGID_X_EN: 1
; COMPUTE_PGM_RSRC2:TGID_Y_EN: 0
; COMPUTE_PGM_RSRC2:TGID_Z_EN: 0
; COMPUTE_PGM_RSRC2:TIDIG_COMP_CNT: 0
; COMPUTE_PGM_RSRC3_GFX90A:ACCUM_OFFSET: 0
; COMPUTE_PGM_RSRC3_GFX90A:TG_SPLIT: 0
	.section	.text._ZN7rocprim17ROCPRIM_400000_NS6detail17trampoline_kernelINS0_14default_configENS1_25transform_config_selectorIyLb0EEEZNS1_14transform_implILb0ES3_S5_PyN6thrust23THRUST_200600_302600_NS6detail15normal_iteratorINS9_10device_ptrIyEEEENS0_8identityIyEEEE10hipError_tT2_T3_mT4_P12ihipStream_tbEUlT_E_NS1_11comp_targetILNS1_3genE5ELNS1_11target_archE942ELNS1_3gpuE9ELNS1_3repE0EEENS1_30default_config_static_selectorELNS0_4arch9wavefront6targetE1EEEvT1_,"axG",@progbits,_ZN7rocprim17ROCPRIM_400000_NS6detail17trampoline_kernelINS0_14default_configENS1_25transform_config_selectorIyLb0EEEZNS1_14transform_implILb0ES3_S5_PyN6thrust23THRUST_200600_302600_NS6detail15normal_iteratorINS9_10device_ptrIyEEEENS0_8identityIyEEEE10hipError_tT2_T3_mT4_P12ihipStream_tbEUlT_E_NS1_11comp_targetILNS1_3genE5ELNS1_11target_archE942ELNS1_3gpuE9ELNS1_3repE0EEENS1_30default_config_static_selectorELNS0_4arch9wavefront6targetE1EEEvT1_,comdat
	.protected	_ZN7rocprim17ROCPRIM_400000_NS6detail17trampoline_kernelINS0_14default_configENS1_25transform_config_selectorIyLb0EEEZNS1_14transform_implILb0ES3_S5_PyN6thrust23THRUST_200600_302600_NS6detail15normal_iteratorINS9_10device_ptrIyEEEENS0_8identityIyEEEE10hipError_tT2_T3_mT4_P12ihipStream_tbEUlT_E_NS1_11comp_targetILNS1_3genE5ELNS1_11target_archE942ELNS1_3gpuE9ELNS1_3repE0EEENS1_30default_config_static_selectorELNS0_4arch9wavefront6targetE1EEEvT1_ ; -- Begin function _ZN7rocprim17ROCPRIM_400000_NS6detail17trampoline_kernelINS0_14default_configENS1_25transform_config_selectorIyLb0EEEZNS1_14transform_implILb0ES3_S5_PyN6thrust23THRUST_200600_302600_NS6detail15normal_iteratorINS9_10device_ptrIyEEEENS0_8identityIyEEEE10hipError_tT2_T3_mT4_P12ihipStream_tbEUlT_E_NS1_11comp_targetILNS1_3genE5ELNS1_11target_archE942ELNS1_3gpuE9ELNS1_3repE0EEENS1_30default_config_static_selectorELNS0_4arch9wavefront6targetE1EEEvT1_
	.globl	_ZN7rocprim17ROCPRIM_400000_NS6detail17trampoline_kernelINS0_14default_configENS1_25transform_config_selectorIyLb0EEEZNS1_14transform_implILb0ES3_S5_PyN6thrust23THRUST_200600_302600_NS6detail15normal_iteratorINS9_10device_ptrIyEEEENS0_8identityIyEEEE10hipError_tT2_T3_mT4_P12ihipStream_tbEUlT_E_NS1_11comp_targetILNS1_3genE5ELNS1_11target_archE942ELNS1_3gpuE9ELNS1_3repE0EEENS1_30default_config_static_selectorELNS0_4arch9wavefront6targetE1EEEvT1_
	.p2align	8
	.type	_ZN7rocprim17ROCPRIM_400000_NS6detail17trampoline_kernelINS0_14default_configENS1_25transform_config_selectorIyLb0EEEZNS1_14transform_implILb0ES3_S5_PyN6thrust23THRUST_200600_302600_NS6detail15normal_iteratorINS9_10device_ptrIyEEEENS0_8identityIyEEEE10hipError_tT2_T3_mT4_P12ihipStream_tbEUlT_E_NS1_11comp_targetILNS1_3genE5ELNS1_11target_archE942ELNS1_3gpuE9ELNS1_3repE0EEENS1_30default_config_static_selectorELNS0_4arch9wavefront6targetE1EEEvT1_,@function
_ZN7rocprim17ROCPRIM_400000_NS6detail17trampoline_kernelINS0_14default_configENS1_25transform_config_selectorIyLb0EEEZNS1_14transform_implILb0ES3_S5_PyN6thrust23THRUST_200600_302600_NS6detail15normal_iteratorINS9_10device_ptrIyEEEENS0_8identityIyEEEE10hipError_tT2_T3_mT4_P12ihipStream_tbEUlT_E_NS1_11comp_targetILNS1_3genE5ELNS1_11target_archE942ELNS1_3gpuE9ELNS1_3repE0EEENS1_30default_config_static_selectorELNS0_4arch9wavefront6targetE1EEEvT1_: ; @_ZN7rocprim17ROCPRIM_400000_NS6detail17trampoline_kernelINS0_14default_configENS1_25transform_config_selectorIyLb0EEEZNS1_14transform_implILb0ES3_S5_PyN6thrust23THRUST_200600_302600_NS6detail15normal_iteratorINS9_10device_ptrIyEEEENS0_8identityIyEEEE10hipError_tT2_T3_mT4_P12ihipStream_tbEUlT_E_NS1_11comp_targetILNS1_3genE5ELNS1_11target_archE942ELNS1_3gpuE9ELNS1_3repE0EEENS1_30default_config_static_selectorELNS0_4arch9wavefront6targetE1EEEvT1_
; %bb.0:
	s_load_dwordx8 s[4:11], s[0:1], 0x0
	s_load_dword s3, s[0:1], 0x28
	v_lshlrev_b32_e32 v6, 3, v0
	s_waitcnt lgkmcnt(0)
	s_lshl_b64 s[0:1], s[6:7], 3
	s_add_u32 s6, s4, s0
	s_addc_u32 s7, s5, s1
	s_add_u32 s12, s10, s0
	s_addc_u32 s13, s11, s1
	s_lshl_b32 s0, s2, 10
	s_mov_b32 s1, 0
	s_add_i32 s3, s3, -1
	s_lshl_b64 s[4:5], s[0:1], 3
	s_add_u32 s6, s6, s4
	s_addc_u32 s7, s7, s5
	s_cmp_lg_u32 s2, s3
	s_cbranch_scc0 .LBB773_2
; %bb.1:
	v_mov_b32_e32 v7, 0
	v_lshl_add_u64 v[2:3], s[6:7], 0, v[6:7]
	v_add_co_u32_e32 v2, vcc, 0x1000, v2
	global_load_dwordx2 v[10:11], v6, s[6:7]
	s_nop 0
	v_addc_co_u32_e32 v3, vcc, 0, v3, vcc
	global_load_dwordx2 v[4:5], v[2:3], off
	s_add_u32 s2, s12, s4
	s_addc_u32 s3, s13, s5
	v_lshl_add_u64 v[8:9], s[2:3], 0, v[6:7]
	s_mov_b64 s[2:3], -1
	s_waitcnt vmcnt(1)
	flat_store_dwordx2 v[8:9], v[10:11]
	s_cbranch_execz .LBB773_3
	s_branch .LBB773_12
.LBB773_2:
	s_mov_b64 s[2:3], 0
                                        ; implicit-def: $vgpr4_vgpr5
                                        ; implicit-def: $vgpr8_vgpr9
.LBB773_3:
	s_sub_i32 s8, s8, s0
	v_cmp_gt_u32_e32 vcc, s8, v0
                                        ; implicit-def: $vgpr2_vgpr3_vgpr4_vgpr5
	s_and_saveexec_b64 s[0:1], vcc
	s_cbranch_execz .LBB773_5
; %bb.4:
	global_load_dwordx2 v[2:3], v6, s[6:7]
.LBB773_5:
	s_or_b64 exec, exec, s[0:1]
	v_or_b32_e32 v0, 0x200, v0
	v_cmp_gt_u32_e64 s[0:1], s8, v0
	s_and_saveexec_b64 s[8:9], s[0:1]
	s_cbranch_execz .LBB773_7
; %bb.6:
	v_lshlrev_b32_e32 v0, 3, v0
	global_load_dwordx2 v[4:5], v0, s[6:7]
.LBB773_7:
	s_or_b64 exec, exec, s[8:9]
	s_add_u32 s4, s12, s4
	s_addc_u32 s5, s13, s5
	v_mov_b32_e32 v7, 0
	v_lshl_add_u64 v[8:9], s[4:5], 0, v[6:7]
	s_and_saveexec_b64 s[4:5], vcc
	s_cbranch_execz .LBB773_9
; %bb.8:
	s_waitcnt vmcnt(0)
	flat_store_dwordx2 v[8:9], v[2:3]
.LBB773_9:
	s_or_b64 exec, exec, s[4:5]
	s_and_saveexec_b64 s[4:5], s[0:1]
; %bb.10:
	s_or_b64 s[2:3], s[2:3], exec
; %bb.11:
	s_or_b64 exec, exec, s[4:5]
.LBB773_12:
	s_and_saveexec_b64 s[0:1], s[2:3]
	s_cbranch_execnz .LBB773_14
; %bb.13:
	s_endpgm
.LBB773_14:
	v_add_co_u32_e32 v0, vcc, 0x1000, v8
	s_nop 1
	v_addc_co_u32_e32 v1, vcc, 0, v9, vcc
	s_waitcnt vmcnt(0)
	flat_store_dwordx2 v[0:1], v[4:5]
	s_endpgm
	.section	.rodata,"a",@progbits
	.p2align	6, 0x0
	.amdhsa_kernel _ZN7rocprim17ROCPRIM_400000_NS6detail17trampoline_kernelINS0_14default_configENS1_25transform_config_selectorIyLb0EEEZNS1_14transform_implILb0ES3_S5_PyN6thrust23THRUST_200600_302600_NS6detail15normal_iteratorINS9_10device_ptrIyEEEENS0_8identityIyEEEE10hipError_tT2_T3_mT4_P12ihipStream_tbEUlT_E_NS1_11comp_targetILNS1_3genE5ELNS1_11target_archE942ELNS1_3gpuE9ELNS1_3repE0EEENS1_30default_config_static_selectorELNS0_4arch9wavefront6targetE1EEEvT1_
		.amdhsa_group_segment_fixed_size 0
		.amdhsa_private_segment_fixed_size 0
		.amdhsa_kernarg_size 296
		.amdhsa_user_sgpr_count 2
		.amdhsa_user_sgpr_dispatch_ptr 0
		.amdhsa_user_sgpr_queue_ptr 0
		.amdhsa_user_sgpr_kernarg_segment_ptr 1
		.amdhsa_user_sgpr_dispatch_id 0
		.amdhsa_user_sgpr_kernarg_preload_length 0
		.amdhsa_user_sgpr_kernarg_preload_offset 0
		.amdhsa_user_sgpr_private_segment_size 0
		.amdhsa_uses_dynamic_stack 0
		.amdhsa_enable_private_segment 0
		.amdhsa_system_sgpr_workgroup_id_x 1
		.amdhsa_system_sgpr_workgroup_id_y 0
		.amdhsa_system_sgpr_workgroup_id_z 0
		.amdhsa_system_sgpr_workgroup_info 0
		.amdhsa_system_vgpr_workitem_id 0
		.amdhsa_next_free_vgpr 12
		.amdhsa_next_free_sgpr 14
		.amdhsa_accum_offset 12
		.amdhsa_reserve_vcc 1
		.amdhsa_float_round_mode_32 0
		.amdhsa_float_round_mode_16_64 0
		.amdhsa_float_denorm_mode_32 3
		.amdhsa_float_denorm_mode_16_64 3
		.amdhsa_dx10_clamp 1
		.amdhsa_ieee_mode 1
		.amdhsa_fp16_overflow 0
		.amdhsa_tg_split 0
		.amdhsa_exception_fp_ieee_invalid_op 0
		.amdhsa_exception_fp_denorm_src 0
		.amdhsa_exception_fp_ieee_div_zero 0
		.amdhsa_exception_fp_ieee_overflow 0
		.amdhsa_exception_fp_ieee_underflow 0
		.amdhsa_exception_fp_ieee_inexact 0
		.amdhsa_exception_int_div_zero 0
	.end_amdhsa_kernel
	.section	.text._ZN7rocprim17ROCPRIM_400000_NS6detail17trampoline_kernelINS0_14default_configENS1_25transform_config_selectorIyLb0EEEZNS1_14transform_implILb0ES3_S5_PyN6thrust23THRUST_200600_302600_NS6detail15normal_iteratorINS9_10device_ptrIyEEEENS0_8identityIyEEEE10hipError_tT2_T3_mT4_P12ihipStream_tbEUlT_E_NS1_11comp_targetILNS1_3genE5ELNS1_11target_archE942ELNS1_3gpuE9ELNS1_3repE0EEENS1_30default_config_static_selectorELNS0_4arch9wavefront6targetE1EEEvT1_,"axG",@progbits,_ZN7rocprim17ROCPRIM_400000_NS6detail17trampoline_kernelINS0_14default_configENS1_25transform_config_selectorIyLb0EEEZNS1_14transform_implILb0ES3_S5_PyN6thrust23THRUST_200600_302600_NS6detail15normal_iteratorINS9_10device_ptrIyEEEENS0_8identityIyEEEE10hipError_tT2_T3_mT4_P12ihipStream_tbEUlT_E_NS1_11comp_targetILNS1_3genE5ELNS1_11target_archE942ELNS1_3gpuE9ELNS1_3repE0EEENS1_30default_config_static_selectorELNS0_4arch9wavefront6targetE1EEEvT1_,comdat
.Lfunc_end773:
	.size	_ZN7rocprim17ROCPRIM_400000_NS6detail17trampoline_kernelINS0_14default_configENS1_25transform_config_selectorIyLb0EEEZNS1_14transform_implILb0ES3_S5_PyN6thrust23THRUST_200600_302600_NS6detail15normal_iteratorINS9_10device_ptrIyEEEENS0_8identityIyEEEE10hipError_tT2_T3_mT4_P12ihipStream_tbEUlT_E_NS1_11comp_targetILNS1_3genE5ELNS1_11target_archE942ELNS1_3gpuE9ELNS1_3repE0EEENS1_30default_config_static_selectorELNS0_4arch9wavefront6targetE1EEEvT1_, .Lfunc_end773-_ZN7rocprim17ROCPRIM_400000_NS6detail17trampoline_kernelINS0_14default_configENS1_25transform_config_selectorIyLb0EEEZNS1_14transform_implILb0ES3_S5_PyN6thrust23THRUST_200600_302600_NS6detail15normal_iteratorINS9_10device_ptrIyEEEENS0_8identityIyEEEE10hipError_tT2_T3_mT4_P12ihipStream_tbEUlT_E_NS1_11comp_targetILNS1_3genE5ELNS1_11target_archE942ELNS1_3gpuE9ELNS1_3repE0EEENS1_30default_config_static_selectorELNS0_4arch9wavefront6targetE1EEEvT1_
                                        ; -- End function
	.section	.AMDGPU.csdata,"",@progbits
; Kernel info:
; codeLenInByte = 332
; NumSgprs: 20
; NumVgprs: 12
; NumAgprs: 0
; TotalNumVgprs: 12
; ScratchSize: 0
; MemoryBound: 0
; FloatMode: 240
; IeeeMode: 1
; LDSByteSize: 0 bytes/workgroup (compile time only)
; SGPRBlocks: 2
; VGPRBlocks: 1
; NumSGPRsForWavesPerEU: 20
; NumVGPRsForWavesPerEU: 12
; AccumOffset: 12
; Occupancy: 8
; WaveLimiterHint : 1
; COMPUTE_PGM_RSRC2:SCRATCH_EN: 0
; COMPUTE_PGM_RSRC2:USER_SGPR: 2
; COMPUTE_PGM_RSRC2:TRAP_HANDLER: 0
; COMPUTE_PGM_RSRC2:TGID_X_EN: 1
; COMPUTE_PGM_RSRC2:TGID_Y_EN: 0
; COMPUTE_PGM_RSRC2:TGID_Z_EN: 0
; COMPUTE_PGM_RSRC2:TIDIG_COMP_CNT: 0
; COMPUTE_PGM_RSRC3_GFX90A:ACCUM_OFFSET: 2
; COMPUTE_PGM_RSRC3_GFX90A:TG_SPLIT: 0
	.section	.text._ZN7rocprim17ROCPRIM_400000_NS6detail17trampoline_kernelINS0_14default_configENS1_25transform_config_selectorIyLb0EEEZNS1_14transform_implILb0ES3_S5_PyN6thrust23THRUST_200600_302600_NS6detail15normal_iteratorINS9_10device_ptrIyEEEENS0_8identityIyEEEE10hipError_tT2_T3_mT4_P12ihipStream_tbEUlT_E_NS1_11comp_targetILNS1_3genE4ELNS1_11target_archE910ELNS1_3gpuE8ELNS1_3repE0EEENS1_30default_config_static_selectorELNS0_4arch9wavefront6targetE1EEEvT1_,"axG",@progbits,_ZN7rocprim17ROCPRIM_400000_NS6detail17trampoline_kernelINS0_14default_configENS1_25transform_config_selectorIyLb0EEEZNS1_14transform_implILb0ES3_S5_PyN6thrust23THRUST_200600_302600_NS6detail15normal_iteratorINS9_10device_ptrIyEEEENS0_8identityIyEEEE10hipError_tT2_T3_mT4_P12ihipStream_tbEUlT_E_NS1_11comp_targetILNS1_3genE4ELNS1_11target_archE910ELNS1_3gpuE8ELNS1_3repE0EEENS1_30default_config_static_selectorELNS0_4arch9wavefront6targetE1EEEvT1_,comdat
	.protected	_ZN7rocprim17ROCPRIM_400000_NS6detail17trampoline_kernelINS0_14default_configENS1_25transform_config_selectorIyLb0EEEZNS1_14transform_implILb0ES3_S5_PyN6thrust23THRUST_200600_302600_NS6detail15normal_iteratorINS9_10device_ptrIyEEEENS0_8identityIyEEEE10hipError_tT2_T3_mT4_P12ihipStream_tbEUlT_E_NS1_11comp_targetILNS1_3genE4ELNS1_11target_archE910ELNS1_3gpuE8ELNS1_3repE0EEENS1_30default_config_static_selectorELNS0_4arch9wavefront6targetE1EEEvT1_ ; -- Begin function _ZN7rocprim17ROCPRIM_400000_NS6detail17trampoline_kernelINS0_14default_configENS1_25transform_config_selectorIyLb0EEEZNS1_14transform_implILb0ES3_S5_PyN6thrust23THRUST_200600_302600_NS6detail15normal_iteratorINS9_10device_ptrIyEEEENS0_8identityIyEEEE10hipError_tT2_T3_mT4_P12ihipStream_tbEUlT_E_NS1_11comp_targetILNS1_3genE4ELNS1_11target_archE910ELNS1_3gpuE8ELNS1_3repE0EEENS1_30default_config_static_selectorELNS0_4arch9wavefront6targetE1EEEvT1_
	.globl	_ZN7rocprim17ROCPRIM_400000_NS6detail17trampoline_kernelINS0_14default_configENS1_25transform_config_selectorIyLb0EEEZNS1_14transform_implILb0ES3_S5_PyN6thrust23THRUST_200600_302600_NS6detail15normal_iteratorINS9_10device_ptrIyEEEENS0_8identityIyEEEE10hipError_tT2_T3_mT4_P12ihipStream_tbEUlT_E_NS1_11comp_targetILNS1_3genE4ELNS1_11target_archE910ELNS1_3gpuE8ELNS1_3repE0EEENS1_30default_config_static_selectorELNS0_4arch9wavefront6targetE1EEEvT1_
	.p2align	8
	.type	_ZN7rocprim17ROCPRIM_400000_NS6detail17trampoline_kernelINS0_14default_configENS1_25transform_config_selectorIyLb0EEEZNS1_14transform_implILb0ES3_S5_PyN6thrust23THRUST_200600_302600_NS6detail15normal_iteratorINS9_10device_ptrIyEEEENS0_8identityIyEEEE10hipError_tT2_T3_mT4_P12ihipStream_tbEUlT_E_NS1_11comp_targetILNS1_3genE4ELNS1_11target_archE910ELNS1_3gpuE8ELNS1_3repE0EEENS1_30default_config_static_selectorELNS0_4arch9wavefront6targetE1EEEvT1_,@function
_ZN7rocprim17ROCPRIM_400000_NS6detail17trampoline_kernelINS0_14default_configENS1_25transform_config_selectorIyLb0EEEZNS1_14transform_implILb0ES3_S5_PyN6thrust23THRUST_200600_302600_NS6detail15normal_iteratorINS9_10device_ptrIyEEEENS0_8identityIyEEEE10hipError_tT2_T3_mT4_P12ihipStream_tbEUlT_E_NS1_11comp_targetILNS1_3genE4ELNS1_11target_archE910ELNS1_3gpuE8ELNS1_3repE0EEENS1_30default_config_static_selectorELNS0_4arch9wavefront6targetE1EEEvT1_: ; @_ZN7rocprim17ROCPRIM_400000_NS6detail17trampoline_kernelINS0_14default_configENS1_25transform_config_selectorIyLb0EEEZNS1_14transform_implILb0ES3_S5_PyN6thrust23THRUST_200600_302600_NS6detail15normal_iteratorINS9_10device_ptrIyEEEENS0_8identityIyEEEE10hipError_tT2_T3_mT4_P12ihipStream_tbEUlT_E_NS1_11comp_targetILNS1_3genE4ELNS1_11target_archE910ELNS1_3gpuE8ELNS1_3repE0EEENS1_30default_config_static_selectorELNS0_4arch9wavefront6targetE1EEEvT1_
; %bb.0:
	.section	.rodata,"a",@progbits
	.p2align	6, 0x0
	.amdhsa_kernel _ZN7rocprim17ROCPRIM_400000_NS6detail17trampoline_kernelINS0_14default_configENS1_25transform_config_selectorIyLb0EEEZNS1_14transform_implILb0ES3_S5_PyN6thrust23THRUST_200600_302600_NS6detail15normal_iteratorINS9_10device_ptrIyEEEENS0_8identityIyEEEE10hipError_tT2_T3_mT4_P12ihipStream_tbEUlT_E_NS1_11comp_targetILNS1_3genE4ELNS1_11target_archE910ELNS1_3gpuE8ELNS1_3repE0EEENS1_30default_config_static_selectorELNS0_4arch9wavefront6targetE1EEEvT1_
		.amdhsa_group_segment_fixed_size 0
		.amdhsa_private_segment_fixed_size 0
		.amdhsa_kernarg_size 40
		.amdhsa_user_sgpr_count 2
		.amdhsa_user_sgpr_dispatch_ptr 0
		.amdhsa_user_sgpr_queue_ptr 0
		.amdhsa_user_sgpr_kernarg_segment_ptr 1
		.amdhsa_user_sgpr_dispatch_id 0
		.amdhsa_user_sgpr_kernarg_preload_length 0
		.amdhsa_user_sgpr_kernarg_preload_offset 0
		.amdhsa_user_sgpr_private_segment_size 0
		.amdhsa_uses_dynamic_stack 0
		.amdhsa_enable_private_segment 0
		.amdhsa_system_sgpr_workgroup_id_x 1
		.amdhsa_system_sgpr_workgroup_id_y 0
		.amdhsa_system_sgpr_workgroup_id_z 0
		.amdhsa_system_sgpr_workgroup_info 0
		.amdhsa_system_vgpr_workitem_id 0
		.amdhsa_next_free_vgpr 1
		.amdhsa_next_free_sgpr 0
		.amdhsa_accum_offset 4
		.amdhsa_reserve_vcc 0
		.amdhsa_float_round_mode_32 0
		.amdhsa_float_round_mode_16_64 0
		.amdhsa_float_denorm_mode_32 3
		.amdhsa_float_denorm_mode_16_64 3
		.amdhsa_dx10_clamp 1
		.amdhsa_ieee_mode 1
		.amdhsa_fp16_overflow 0
		.amdhsa_tg_split 0
		.amdhsa_exception_fp_ieee_invalid_op 0
		.amdhsa_exception_fp_denorm_src 0
		.amdhsa_exception_fp_ieee_div_zero 0
		.amdhsa_exception_fp_ieee_overflow 0
		.amdhsa_exception_fp_ieee_underflow 0
		.amdhsa_exception_fp_ieee_inexact 0
		.amdhsa_exception_int_div_zero 0
	.end_amdhsa_kernel
	.section	.text._ZN7rocprim17ROCPRIM_400000_NS6detail17trampoline_kernelINS0_14default_configENS1_25transform_config_selectorIyLb0EEEZNS1_14transform_implILb0ES3_S5_PyN6thrust23THRUST_200600_302600_NS6detail15normal_iteratorINS9_10device_ptrIyEEEENS0_8identityIyEEEE10hipError_tT2_T3_mT4_P12ihipStream_tbEUlT_E_NS1_11comp_targetILNS1_3genE4ELNS1_11target_archE910ELNS1_3gpuE8ELNS1_3repE0EEENS1_30default_config_static_selectorELNS0_4arch9wavefront6targetE1EEEvT1_,"axG",@progbits,_ZN7rocprim17ROCPRIM_400000_NS6detail17trampoline_kernelINS0_14default_configENS1_25transform_config_selectorIyLb0EEEZNS1_14transform_implILb0ES3_S5_PyN6thrust23THRUST_200600_302600_NS6detail15normal_iteratorINS9_10device_ptrIyEEEENS0_8identityIyEEEE10hipError_tT2_T3_mT4_P12ihipStream_tbEUlT_E_NS1_11comp_targetILNS1_3genE4ELNS1_11target_archE910ELNS1_3gpuE8ELNS1_3repE0EEENS1_30default_config_static_selectorELNS0_4arch9wavefront6targetE1EEEvT1_,comdat
.Lfunc_end774:
	.size	_ZN7rocprim17ROCPRIM_400000_NS6detail17trampoline_kernelINS0_14default_configENS1_25transform_config_selectorIyLb0EEEZNS1_14transform_implILb0ES3_S5_PyN6thrust23THRUST_200600_302600_NS6detail15normal_iteratorINS9_10device_ptrIyEEEENS0_8identityIyEEEE10hipError_tT2_T3_mT4_P12ihipStream_tbEUlT_E_NS1_11comp_targetILNS1_3genE4ELNS1_11target_archE910ELNS1_3gpuE8ELNS1_3repE0EEENS1_30default_config_static_selectorELNS0_4arch9wavefront6targetE1EEEvT1_, .Lfunc_end774-_ZN7rocprim17ROCPRIM_400000_NS6detail17trampoline_kernelINS0_14default_configENS1_25transform_config_selectorIyLb0EEEZNS1_14transform_implILb0ES3_S5_PyN6thrust23THRUST_200600_302600_NS6detail15normal_iteratorINS9_10device_ptrIyEEEENS0_8identityIyEEEE10hipError_tT2_T3_mT4_P12ihipStream_tbEUlT_E_NS1_11comp_targetILNS1_3genE4ELNS1_11target_archE910ELNS1_3gpuE8ELNS1_3repE0EEENS1_30default_config_static_selectorELNS0_4arch9wavefront6targetE1EEEvT1_
                                        ; -- End function
	.section	.AMDGPU.csdata,"",@progbits
; Kernel info:
; codeLenInByte = 0
; NumSgprs: 6
; NumVgprs: 0
; NumAgprs: 0
; TotalNumVgprs: 0
; ScratchSize: 0
; MemoryBound: 0
; FloatMode: 240
; IeeeMode: 1
; LDSByteSize: 0 bytes/workgroup (compile time only)
; SGPRBlocks: 0
; VGPRBlocks: 0
; NumSGPRsForWavesPerEU: 6
; NumVGPRsForWavesPerEU: 1
; AccumOffset: 4
; Occupancy: 8
; WaveLimiterHint : 0
; COMPUTE_PGM_RSRC2:SCRATCH_EN: 0
; COMPUTE_PGM_RSRC2:USER_SGPR: 2
; COMPUTE_PGM_RSRC2:TRAP_HANDLER: 0
; COMPUTE_PGM_RSRC2:TGID_X_EN: 1
; COMPUTE_PGM_RSRC2:TGID_Y_EN: 0
; COMPUTE_PGM_RSRC2:TGID_Z_EN: 0
; COMPUTE_PGM_RSRC2:TIDIG_COMP_CNT: 0
; COMPUTE_PGM_RSRC3_GFX90A:ACCUM_OFFSET: 0
; COMPUTE_PGM_RSRC3_GFX90A:TG_SPLIT: 0
	.section	.text._ZN7rocprim17ROCPRIM_400000_NS6detail17trampoline_kernelINS0_14default_configENS1_25transform_config_selectorIyLb0EEEZNS1_14transform_implILb0ES3_S5_PyN6thrust23THRUST_200600_302600_NS6detail15normal_iteratorINS9_10device_ptrIyEEEENS0_8identityIyEEEE10hipError_tT2_T3_mT4_P12ihipStream_tbEUlT_E_NS1_11comp_targetILNS1_3genE3ELNS1_11target_archE908ELNS1_3gpuE7ELNS1_3repE0EEENS1_30default_config_static_selectorELNS0_4arch9wavefront6targetE1EEEvT1_,"axG",@progbits,_ZN7rocprim17ROCPRIM_400000_NS6detail17trampoline_kernelINS0_14default_configENS1_25transform_config_selectorIyLb0EEEZNS1_14transform_implILb0ES3_S5_PyN6thrust23THRUST_200600_302600_NS6detail15normal_iteratorINS9_10device_ptrIyEEEENS0_8identityIyEEEE10hipError_tT2_T3_mT4_P12ihipStream_tbEUlT_E_NS1_11comp_targetILNS1_3genE3ELNS1_11target_archE908ELNS1_3gpuE7ELNS1_3repE0EEENS1_30default_config_static_selectorELNS0_4arch9wavefront6targetE1EEEvT1_,comdat
	.protected	_ZN7rocprim17ROCPRIM_400000_NS6detail17trampoline_kernelINS0_14default_configENS1_25transform_config_selectorIyLb0EEEZNS1_14transform_implILb0ES3_S5_PyN6thrust23THRUST_200600_302600_NS6detail15normal_iteratorINS9_10device_ptrIyEEEENS0_8identityIyEEEE10hipError_tT2_T3_mT4_P12ihipStream_tbEUlT_E_NS1_11comp_targetILNS1_3genE3ELNS1_11target_archE908ELNS1_3gpuE7ELNS1_3repE0EEENS1_30default_config_static_selectorELNS0_4arch9wavefront6targetE1EEEvT1_ ; -- Begin function _ZN7rocprim17ROCPRIM_400000_NS6detail17trampoline_kernelINS0_14default_configENS1_25transform_config_selectorIyLb0EEEZNS1_14transform_implILb0ES3_S5_PyN6thrust23THRUST_200600_302600_NS6detail15normal_iteratorINS9_10device_ptrIyEEEENS0_8identityIyEEEE10hipError_tT2_T3_mT4_P12ihipStream_tbEUlT_E_NS1_11comp_targetILNS1_3genE3ELNS1_11target_archE908ELNS1_3gpuE7ELNS1_3repE0EEENS1_30default_config_static_selectorELNS0_4arch9wavefront6targetE1EEEvT1_
	.globl	_ZN7rocprim17ROCPRIM_400000_NS6detail17trampoline_kernelINS0_14default_configENS1_25transform_config_selectorIyLb0EEEZNS1_14transform_implILb0ES3_S5_PyN6thrust23THRUST_200600_302600_NS6detail15normal_iteratorINS9_10device_ptrIyEEEENS0_8identityIyEEEE10hipError_tT2_T3_mT4_P12ihipStream_tbEUlT_E_NS1_11comp_targetILNS1_3genE3ELNS1_11target_archE908ELNS1_3gpuE7ELNS1_3repE0EEENS1_30default_config_static_selectorELNS0_4arch9wavefront6targetE1EEEvT1_
	.p2align	8
	.type	_ZN7rocprim17ROCPRIM_400000_NS6detail17trampoline_kernelINS0_14default_configENS1_25transform_config_selectorIyLb0EEEZNS1_14transform_implILb0ES3_S5_PyN6thrust23THRUST_200600_302600_NS6detail15normal_iteratorINS9_10device_ptrIyEEEENS0_8identityIyEEEE10hipError_tT2_T3_mT4_P12ihipStream_tbEUlT_E_NS1_11comp_targetILNS1_3genE3ELNS1_11target_archE908ELNS1_3gpuE7ELNS1_3repE0EEENS1_30default_config_static_selectorELNS0_4arch9wavefront6targetE1EEEvT1_,@function
_ZN7rocprim17ROCPRIM_400000_NS6detail17trampoline_kernelINS0_14default_configENS1_25transform_config_selectorIyLb0EEEZNS1_14transform_implILb0ES3_S5_PyN6thrust23THRUST_200600_302600_NS6detail15normal_iteratorINS9_10device_ptrIyEEEENS0_8identityIyEEEE10hipError_tT2_T3_mT4_P12ihipStream_tbEUlT_E_NS1_11comp_targetILNS1_3genE3ELNS1_11target_archE908ELNS1_3gpuE7ELNS1_3repE0EEENS1_30default_config_static_selectorELNS0_4arch9wavefront6targetE1EEEvT1_: ; @_ZN7rocprim17ROCPRIM_400000_NS6detail17trampoline_kernelINS0_14default_configENS1_25transform_config_selectorIyLb0EEEZNS1_14transform_implILb0ES3_S5_PyN6thrust23THRUST_200600_302600_NS6detail15normal_iteratorINS9_10device_ptrIyEEEENS0_8identityIyEEEE10hipError_tT2_T3_mT4_P12ihipStream_tbEUlT_E_NS1_11comp_targetILNS1_3genE3ELNS1_11target_archE908ELNS1_3gpuE7ELNS1_3repE0EEENS1_30default_config_static_selectorELNS0_4arch9wavefront6targetE1EEEvT1_
; %bb.0:
	.section	.rodata,"a",@progbits
	.p2align	6, 0x0
	.amdhsa_kernel _ZN7rocprim17ROCPRIM_400000_NS6detail17trampoline_kernelINS0_14default_configENS1_25transform_config_selectorIyLb0EEEZNS1_14transform_implILb0ES3_S5_PyN6thrust23THRUST_200600_302600_NS6detail15normal_iteratorINS9_10device_ptrIyEEEENS0_8identityIyEEEE10hipError_tT2_T3_mT4_P12ihipStream_tbEUlT_E_NS1_11comp_targetILNS1_3genE3ELNS1_11target_archE908ELNS1_3gpuE7ELNS1_3repE0EEENS1_30default_config_static_selectorELNS0_4arch9wavefront6targetE1EEEvT1_
		.amdhsa_group_segment_fixed_size 0
		.amdhsa_private_segment_fixed_size 0
		.amdhsa_kernarg_size 40
		.amdhsa_user_sgpr_count 2
		.amdhsa_user_sgpr_dispatch_ptr 0
		.amdhsa_user_sgpr_queue_ptr 0
		.amdhsa_user_sgpr_kernarg_segment_ptr 1
		.amdhsa_user_sgpr_dispatch_id 0
		.amdhsa_user_sgpr_kernarg_preload_length 0
		.amdhsa_user_sgpr_kernarg_preload_offset 0
		.amdhsa_user_sgpr_private_segment_size 0
		.amdhsa_uses_dynamic_stack 0
		.amdhsa_enable_private_segment 0
		.amdhsa_system_sgpr_workgroup_id_x 1
		.amdhsa_system_sgpr_workgroup_id_y 0
		.amdhsa_system_sgpr_workgroup_id_z 0
		.amdhsa_system_sgpr_workgroup_info 0
		.amdhsa_system_vgpr_workitem_id 0
		.amdhsa_next_free_vgpr 1
		.amdhsa_next_free_sgpr 0
		.amdhsa_accum_offset 4
		.amdhsa_reserve_vcc 0
		.amdhsa_float_round_mode_32 0
		.amdhsa_float_round_mode_16_64 0
		.amdhsa_float_denorm_mode_32 3
		.amdhsa_float_denorm_mode_16_64 3
		.amdhsa_dx10_clamp 1
		.amdhsa_ieee_mode 1
		.amdhsa_fp16_overflow 0
		.amdhsa_tg_split 0
		.amdhsa_exception_fp_ieee_invalid_op 0
		.amdhsa_exception_fp_denorm_src 0
		.amdhsa_exception_fp_ieee_div_zero 0
		.amdhsa_exception_fp_ieee_overflow 0
		.amdhsa_exception_fp_ieee_underflow 0
		.amdhsa_exception_fp_ieee_inexact 0
		.amdhsa_exception_int_div_zero 0
	.end_amdhsa_kernel
	.section	.text._ZN7rocprim17ROCPRIM_400000_NS6detail17trampoline_kernelINS0_14default_configENS1_25transform_config_selectorIyLb0EEEZNS1_14transform_implILb0ES3_S5_PyN6thrust23THRUST_200600_302600_NS6detail15normal_iteratorINS9_10device_ptrIyEEEENS0_8identityIyEEEE10hipError_tT2_T3_mT4_P12ihipStream_tbEUlT_E_NS1_11comp_targetILNS1_3genE3ELNS1_11target_archE908ELNS1_3gpuE7ELNS1_3repE0EEENS1_30default_config_static_selectorELNS0_4arch9wavefront6targetE1EEEvT1_,"axG",@progbits,_ZN7rocprim17ROCPRIM_400000_NS6detail17trampoline_kernelINS0_14default_configENS1_25transform_config_selectorIyLb0EEEZNS1_14transform_implILb0ES3_S5_PyN6thrust23THRUST_200600_302600_NS6detail15normal_iteratorINS9_10device_ptrIyEEEENS0_8identityIyEEEE10hipError_tT2_T3_mT4_P12ihipStream_tbEUlT_E_NS1_11comp_targetILNS1_3genE3ELNS1_11target_archE908ELNS1_3gpuE7ELNS1_3repE0EEENS1_30default_config_static_selectorELNS0_4arch9wavefront6targetE1EEEvT1_,comdat
.Lfunc_end775:
	.size	_ZN7rocprim17ROCPRIM_400000_NS6detail17trampoline_kernelINS0_14default_configENS1_25transform_config_selectorIyLb0EEEZNS1_14transform_implILb0ES3_S5_PyN6thrust23THRUST_200600_302600_NS6detail15normal_iteratorINS9_10device_ptrIyEEEENS0_8identityIyEEEE10hipError_tT2_T3_mT4_P12ihipStream_tbEUlT_E_NS1_11comp_targetILNS1_3genE3ELNS1_11target_archE908ELNS1_3gpuE7ELNS1_3repE0EEENS1_30default_config_static_selectorELNS0_4arch9wavefront6targetE1EEEvT1_, .Lfunc_end775-_ZN7rocprim17ROCPRIM_400000_NS6detail17trampoline_kernelINS0_14default_configENS1_25transform_config_selectorIyLb0EEEZNS1_14transform_implILb0ES3_S5_PyN6thrust23THRUST_200600_302600_NS6detail15normal_iteratorINS9_10device_ptrIyEEEENS0_8identityIyEEEE10hipError_tT2_T3_mT4_P12ihipStream_tbEUlT_E_NS1_11comp_targetILNS1_3genE3ELNS1_11target_archE908ELNS1_3gpuE7ELNS1_3repE0EEENS1_30default_config_static_selectorELNS0_4arch9wavefront6targetE1EEEvT1_
                                        ; -- End function
	.section	.AMDGPU.csdata,"",@progbits
; Kernel info:
; codeLenInByte = 0
; NumSgprs: 6
; NumVgprs: 0
; NumAgprs: 0
; TotalNumVgprs: 0
; ScratchSize: 0
; MemoryBound: 0
; FloatMode: 240
; IeeeMode: 1
; LDSByteSize: 0 bytes/workgroup (compile time only)
; SGPRBlocks: 0
; VGPRBlocks: 0
; NumSGPRsForWavesPerEU: 6
; NumVGPRsForWavesPerEU: 1
; AccumOffset: 4
; Occupancy: 8
; WaveLimiterHint : 0
; COMPUTE_PGM_RSRC2:SCRATCH_EN: 0
; COMPUTE_PGM_RSRC2:USER_SGPR: 2
; COMPUTE_PGM_RSRC2:TRAP_HANDLER: 0
; COMPUTE_PGM_RSRC2:TGID_X_EN: 1
; COMPUTE_PGM_RSRC2:TGID_Y_EN: 0
; COMPUTE_PGM_RSRC2:TGID_Z_EN: 0
; COMPUTE_PGM_RSRC2:TIDIG_COMP_CNT: 0
; COMPUTE_PGM_RSRC3_GFX90A:ACCUM_OFFSET: 0
; COMPUTE_PGM_RSRC3_GFX90A:TG_SPLIT: 0
	.section	.text._ZN7rocprim17ROCPRIM_400000_NS6detail17trampoline_kernelINS0_14default_configENS1_25transform_config_selectorIyLb0EEEZNS1_14transform_implILb0ES3_S5_PyN6thrust23THRUST_200600_302600_NS6detail15normal_iteratorINS9_10device_ptrIyEEEENS0_8identityIyEEEE10hipError_tT2_T3_mT4_P12ihipStream_tbEUlT_E_NS1_11comp_targetILNS1_3genE2ELNS1_11target_archE906ELNS1_3gpuE6ELNS1_3repE0EEENS1_30default_config_static_selectorELNS0_4arch9wavefront6targetE1EEEvT1_,"axG",@progbits,_ZN7rocprim17ROCPRIM_400000_NS6detail17trampoline_kernelINS0_14default_configENS1_25transform_config_selectorIyLb0EEEZNS1_14transform_implILb0ES3_S5_PyN6thrust23THRUST_200600_302600_NS6detail15normal_iteratorINS9_10device_ptrIyEEEENS0_8identityIyEEEE10hipError_tT2_T3_mT4_P12ihipStream_tbEUlT_E_NS1_11comp_targetILNS1_3genE2ELNS1_11target_archE906ELNS1_3gpuE6ELNS1_3repE0EEENS1_30default_config_static_selectorELNS0_4arch9wavefront6targetE1EEEvT1_,comdat
	.protected	_ZN7rocprim17ROCPRIM_400000_NS6detail17trampoline_kernelINS0_14default_configENS1_25transform_config_selectorIyLb0EEEZNS1_14transform_implILb0ES3_S5_PyN6thrust23THRUST_200600_302600_NS6detail15normal_iteratorINS9_10device_ptrIyEEEENS0_8identityIyEEEE10hipError_tT2_T3_mT4_P12ihipStream_tbEUlT_E_NS1_11comp_targetILNS1_3genE2ELNS1_11target_archE906ELNS1_3gpuE6ELNS1_3repE0EEENS1_30default_config_static_selectorELNS0_4arch9wavefront6targetE1EEEvT1_ ; -- Begin function _ZN7rocprim17ROCPRIM_400000_NS6detail17trampoline_kernelINS0_14default_configENS1_25transform_config_selectorIyLb0EEEZNS1_14transform_implILb0ES3_S5_PyN6thrust23THRUST_200600_302600_NS6detail15normal_iteratorINS9_10device_ptrIyEEEENS0_8identityIyEEEE10hipError_tT2_T3_mT4_P12ihipStream_tbEUlT_E_NS1_11comp_targetILNS1_3genE2ELNS1_11target_archE906ELNS1_3gpuE6ELNS1_3repE0EEENS1_30default_config_static_selectorELNS0_4arch9wavefront6targetE1EEEvT1_
	.globl	_ZN7rocprim17ROCPRIM_400000_NS6detail17trampoline_kernelINS0_14default_configENS1_25transform_config_selectorIyLb0EEEZNS1_14transform_implILb0ES3_S5_PyN6thrust23THRUST_200600_302600_NS6detail15normal_iteratorINS9_10device_ptrIyEEEENS0_8identityIyEEEE10hipError_tT2_T3_mT4_P12ihipStream_tbEUlT_E_NS1_11comp_targetILNS1_3genE2ELNS1_11target_archE906ELNS1_3gpuE6ELNS1_3repE0EEENS1_30default_config_static_selectorELNS0_4arch9wavefront6targetE1EEEvT1_
	.p2align	8
	.type	_ZN7rocprim17ROCPRIM_400000_NS6detail17trampoline_kernelINS0_14default_configENS1_25transform_config_selectorIyLb0EEEZNS1_14transform_implILb0ES3_S5_PyN6thrust23THRUST_200600_302600_NS6detail15normal_iteratorINS9_10device_ptrIyEEEENS0_8identityIyEEEE10hipError_tT2_T3_mT4_P12ihipStream_tbEUlT_E_NS1_11comp_targetILNS1_3genE2ELNS1_11target_archE906ELNS1_3gpuE6ELNS1_3repE0EEENS1_30default_config_static_selectorELNS0_4arch9wavefront6targetE1EEEvT1_,@function
_ZN7rocprim17ROCPRIM_400000_NS6detail17trampoline_kernelINS0_14default_configENS1_25transform_config_selectorIyLb0EEEZNS1_14transform_implILb0ES3_S5_PyN6thrust23THRUST_200600_302600_NS6detail15normal_iteratorINS9_10device_ptrIyEEEENS0_8identityIyEEEE10hipError_tT2_T3_mT4_P12ihipStream_tbEUlT_E_NS1_11comp_targetILNS1_3genE2ELNS1_11target_archE906ELNS1_3gpuE6ELNS1_3repE0EEENS1_30default_config_static_selectorELNS0_4arch9wavefront6targetE1EEEvT1_: ; @_ZN7rocprim17ROCPRIM_400000_NS6detail17trampoline_kernelINS0_14default_configENS1_25transform_config_selectorIyLb0EEEZNS1_14transform_implILb0ES3_S5_PyN6thrust23THRUST_200600_302600_NS6detail15normal_iteratorINS9_10device_ptrIyEEEENS0_8identityIyEEEE10hipError_tT2_T3_mT4_P12ihipStream_tbEUlT_E_NS1_11comp_targetILNS1_3genE2ELNS1_11target_archE906ELNS1_3gpuE6ELNS1_3repE0EEENS1_30default_config_static_selectorELNS0_4arch9wavefront6targetE1EEEvT1_
; %bb.0:
	.section	.rodata,"a",@progbits
	.p2align	6, 0x0
	.amdhsa_kernel _ZN7rocprim17ROCPRIM_400000_NS6detail17trampoline_kernelINS0_14default_configENS1_25transform_config_selectorIyLb0EEEZNS1_14transform_implILb0ES3_S5_PyN6thrust23THRUST_200600_302600_NS6detail15normal_iteratorINS9_10device_ptrIyEEEENS0_8identityIyEEEE10hipError_tT2_T3_mT4_P12ihipStream_tbEUlT_E_NS1_11comp_targetILNS1_3genE2ELNS1_11target_archE906ELNS1_3gpuE6ELNS1_3repE0EEENS1_30default_config_static_selectorELNS0_4arch9wavefront6targetE1EEEvT1_
		.amdhsa_group_segment_fixed_size 0
		.amdhsa_private_segment_fixed_size 0
		.amdhsa_kernarg_size 40
		.amdhsa_user_sgpr_count 2
		.amdhsa_user_sgpr_dispatch_ptr 0
		.amdhsa_user_sgpr_queue_ptr 0
		.amdhsa_user_sgpr_kernarg_segment_ptr 1
		.amdhsa_user_sgpr_dispatch_id 0
		.amdhsa_user_sgpr_kernarg_preload_length 0
		.amdhsa_user_sgpr_kernarg_preload_offset 0
		.amdhsa_user_sgpr_private_segment_size 0
		.amdhsa_uses_dynamic_stack 0
		.amdhsa_enable_private_segment 0
		.amdhsa_system_sgpr_workgroup_id_x 1
		.amdhsa_system_sgpr_workgroup_id_y 0
		.amdhsa_system_sgpr_workgroup_id_z 0
		.amdhsa_system_sgpr_workgroup_info 0
		.amdhsa_system_vgpr_workitem_id 0
		.amdhsa_next_free_vgpr 1
		.amdhsa_next_free_sgpr 0
		.amdhsa_accum_offset 4
		.amdhsa_reserve_vcc 0
		.amdhsa_float_round_mode_32 0
		.amdhsa_float_round_mode_16_64 0
		.amdhsa_float_denorm_mode_32 3
		.amdhsa_float_denorm_mode_16_64 3
		.amdhsa_dx10_clamp 1
		.amdhsa_ieee_mode 1
		.amdhsa_fp16_overflow 0
		.amdhsa_tg_split 0
		.amdhsa_exception_fp_ieee_invalid_op 0
		.amdhsa_exception_fp_denorm_src 0
		.amdhsa_exception_fp_ieee_div_zero 0
		.amdhsa_exception_fp_ieee_overflow 0
		.amdhsa_exception_fp_ieee_underflow 0
		.amdhsa_exception_fp_ieee_inexact 0
		.amdhsa_exception_int_div_zero 0
	.end_amdhsa_kernel
	.section	.text._ZN7rocprim17ROCPRIM_400000_NS6detail17trampoline_kernelINS0_14default_configENS1_25transform_config_selectorIyLb0EEEZNS1_14transform_implILb0ES3_S5_PyN6thrust23THRUST_200600_302600_NS6detail15normal_iteratorINS9_10device_ptrIyEEEENS0_8identityIyEEEE10hipError_tT2_T3_mT4_P12ihipStream_tbEUlT_E_NS1_11comp_targetILNS1_3genE2ELNS1_11target_archE906ELNS1_3gpuE6ELNS1_3repE0EEENS1_30default_config_static_selectorELNS0_4arch9wavefront6targetE1EEEvT1_,"axG",@progbits,_ZN7rocprim17ROCPRIM_400000_NS6detail17trampoline_kernelINS0_14default_configENS1_25transform_config_selectorIyLb0EEEZNS1_14transform_implILb0ES3_S5_PyN6thrust23THRUST_200600_302600_NS6detail15normal_iteratorINS9_10device_ptrIyEEEENS0_8identityIyEEEE10hipError_tT2_T3_mT4_P12ihipStream_tbEUlT_E_NS1_11comp_targetILNS1_3genE2ELNS1_11target_archE906ELNS1_3gpuE6ELNS1_3repE0EEENS1_30default_config_static_selectorELNS0_4arch9wavefront6targetE1EEEvT1_,comdat
.Lfunc_end776:
	.size	_ZN7rocprim17ROCPRIM_400000_NS6detail17trampoline_kernelINS0_14default_configENS1_25transform_config_selectorIyLb0EEEZNS1_14transform_implILb0ES3_S5_PyN6thrust23THRUST_200600_302600_NS6detail15normal_iteratorINS9_10device_ptrIyEEEENS0_8identityIyEEEE10hipError_tT2_T3_mT4_P12ihipStream_tbEUlT_E_NS1_11comp_targetILNS1_3genE2ELNS1_11target_archE906ELNS1_3gpuE6ELNS1_3repE0EEENS1_30default_config_static_selectorELNS0_4arch9wavefront6targetE1EEEvT1_, .Lfunc_end776-_ZN7rocprim17ROCPRIM_400000_NS6detail17trampoline_kernelINS0_14default_configENS1_25transform_config_selectorIyLb0EEEZNS1_14transform_implILb0ES3_S5_PyN6thrust23THRUST_200600_302600_NS6detail15normal_iteratorINS9_10device_ptrIyEEEENS0_8identityIyEEEE10hipError_tT2_T3_mT4_P12ihipStream_tbEUlT_E_NS1_11comp_targetILNS1_3genE2ELNS1_11target_archE906ELNS1_3gpuE6ELNS1_3repE0EEENS1_30default_config_static_selectorELNS0_4arch9wavefront6targetE1EEEvT1_
                                        ; -- End function
	.section	.AMDGPU.csdata,"",@progbits
; Kernel info:
; codeLenInByte = 0
; NumSgprs: 6
; NumVgprs: 0
; NumAgprs: 0
; TotalNumVgprs: 0
; ScratchSize: 0
; MemoryBound: 0
; FloatMode: 240
; IeeeMode: 1
; LDSByteSize: 0 bytes/workgroup (compile time only)
; SGPRBlocks: 0
; VGPRBlocks: 0
; NumSGPRsForWavesPerEU: 6
; NumVGPRsForWavesPerEU: 1
; AccumOffset: 4
; Occupancy: 8
; WaveLimiterHint : 0
; COMPUTE_PGM_RSRC2:SCRATCH_EN: 0
; COMPUTE_PGM_RSRC2:USER_SGPR: 2
; COMPUTE_PGM_RSRC2:TRAP_HANDLER: 0
; COMPUTE_PGM_RSRC2:TGID_X_EN: 1
; COMPUTE_PGM_RSRC2:TGID_Y_EN: 0
; COMPUTE_PGM_RSRC2:TGID_Z_EN: 0
; COMPUTE_PGM_RSRC2:TIDIG_COMP_CNT: 0
; COMPUTE_PGM_RSRC3_GFX90A:ACCUM_OFFSET: 0
; COMPUTE_PGM_RSRC3_GFX90A:TG_SPLIT: 0
	.section	.text._ZN7rocprim17ROCPRIM_400000_NS6detail17trampoline_kernelINS0_14default_configENS1_25transform_config_selectorIyLb0EEEZNS1_14transform_implILb0ES3_S5_PyN6thrust23THRUST_200600_302600_NS6detail15normal_iteratorINS9_10device_ptrIyEEEENS0_8identityIyEEEE10hipError_tT2_T3_mT4_P12ihipStream_tbEUlT_E_NS1_11comp_targetILNS1_3genE10ELNS1_11target_archE1201ELNS1_3gpuE5ELNS1_3repE0EEENS1_30default_config_static_selectorELNS0_4arch9wavefront6targetE1EEEvT1_,"axG",@progbits,_ZN7rocprim17ROCPRIM_400000_NS6detail17trampoline_kernelINS0_14default_configENS1_25transform_config_selectorIyLb0EEEZNS1_14transform_implILb0ES3_S5_PyN6thrust23THRUST_200600_302600_NS6detail15normal_iteratorINS9_10device_ptrIyEEEENS0_8identityIyEEEE10hipError_tT2_T3_mT4_P12ihipStream_tbEUlT_E_NS1_11comp_targetILNS1_3genE10ELNS1_11target_archE1201ELNS1_3gpuE5ELNS1_3repE0EEENS1_30default_config_static_selectorELNS0_4arch9wavefront6targetE1EEEvT1_,comdat
	.protected	_ZN7rocprim17ROCPRIM_400000_NS6detail17trampoline_kernelINS0_14default_configENS1_25transform_config_selectorIyLb0EEEZNS1_14transform_implILb0ES3_S5_PyN6thrust23THRUST_200600_302600_NS6detail15normal_iteratorINS9_10device_ptrIyEEEENS0_8identityIyEEEE10hipError_tT2_T3_mT4_P12ihipStream_tbEUlT_E_NS1_11comp_targetILNS1_3genE10ELNS1_11target_archE1201ELNS1_3gpuE5ELNS1_3repE0EEENS1_30default_config_static_selectorELNS0_4arch9wavefront6targetE1EEEvT1_ ; -- Begin function _ZN7rocprim17ROCPRIM_400000_NS6detail17trampoline_kernelINS0_14default_configENS1_25transform_config_selectorIyLb0EEEZNS1_14transform_implILb0ES3_S5_PyN6thrust23THRUST_200600_302600_NS6detail15normal_iteratorINS9_10device_ptrIyEEEENS0_8identityIyEEEE10hipError_tT2_T3_mT4_P12ihipStream_tbEUlT_E_NS1_11comp_targetILNS1_3genE10ELNS1_11target_archE1201ELNS1_3gpuE5ELNS1_3repE0EEENS1_30default_config_static_selectorELNS0_4arch9wavefront6targetE1EEEvT1_
	.globl	_ZN7rocprim17ROCPRIM_400000_NS6detail17trampoline_kernelINS0_14default_configENS1_25transform_config_selectorIyLb0EEEZNS1_14transform_implILb0ES3_S5_PyN6thrust23THRUST_200600_302600_NS6detail15normal_iteratorINS9_10device_ptrIyEEEENS0_8identityIyEEEE10hipError_tT2_T3_mT4_P12ihipStream_tbEUlT_E_NS1_11comp_targetILNS1_3genE10ELNS1_11target_archE1201ELNS1_3gpuE5ELNS1_3repE0EEENS1_30default_config_static_selectorELNS0_4arch9wavefront6targetE1EEEvT1_
	.p2align	8
	.type	_ZN7rocprim17ROCPRIM_400000_NS6detail17trampoline_kernelINS0_14default_configENS1_25transform_config_selectorIyLb0EEEZNS1_14transform_implILb0ES3_S5_PyN6thrust23THRUST_200600_302600_NS6detail15normal_iteratorINS9_10device_ptrIyEEEENS0_8identityIyEEEE10hipError_tT2_T3_mT4_P12ihipStream_tbEUlT_E_NS1_11comp_targetILNS1_3genE10ELNS1_11target_archE1201ELNS1_3gpuE5ELNS1_3repE0EEENS1_30default_config_static_selectorELNS0_4arch9wavefront6targetE1EEEvT1_,@function
_ZN7rocprim17ROCPRIM_400000_NS6detail17trampoline_kernelINS0_14default_configENS1_25transform_config_selectorIyLb0EEEZNS1_14transform_implILb0ES3_S5_PyN6thrust23THRUST_200600_302600_NS6detail15normal_iteratorINS9_10device_ptrIyEEEENS0_8identityIyEEEE10hipError_tT2_T3_mT4_P12ihipStream_tbEUlT_E_NS1_11comp_targetILNS1_3genE10ELNS1_11target_archE1201ELNS1_3gpuE5ELNS1_3repE0EEENS1_30default_config_static_selectorELNS0_4arch9wavefront6targetE1EEEvT1_: ; @_ZN7rocprim17ROCPRIM_400000_NS6detail17trampoline_kernelINS0_14default_configENS1_25transform_config_selectorIyLb0EEEZNS1_14transform_implILb0ES3_S5_PyN6thrust23THRUST_200600_302600_NS6detail15normal_iteratorINS9_10device_ptrIyEEEENS0_8identityIyEEEE10hipError_tT2_T3_mT4_P12ihipStream_tbEUlT_E_NS1_11comp_targetILNS1_3genE10ELNS1_11target_archE1201ELNS1_3gpuE5ELNS1_3repE0EEENS1_30default_config_static_selectorELNS0_4arch9wavefront6targetE1EEEvT1_
; %bb.0:
	.section	.rodata,"a",@progbits
	.p2align	6, 0x0
	.amdhsa_kernel _ZN7rocprim17ROCPRIM_400000_NS6detail17trampoline_kernelINS0_14default_configENS1_25transform_config_selectorIyLb0EEEZNS1_14transform_implILb0ES3_S5_PyN6thrust23THRUST_200600_302600_NS6detail15normal_iteratorINS9_10device_ptrIyEEEENS0_8identityIyEEEE10hipError_tT2_T3_mT4_P12ihipStream_tbEUlT_E_NS1_11comp_targetILNS1_3genE10ELNS1_11target_archE1201ELNS1_3gpuE5ELNS1_3repE0EEENS1_30default_config_static_selectorELNS0_4arch9wavefront6targetE1EEEvT1_
		.amdhsa_group_segment_fixed_size 0
		.amdhsa_private_segment_fixed_size 0
		.amdhsa_kernarg_size 40
		.amdhsa_user_sgpr_count 2
		.amdhsa_user_sgpr_dispatch_ptr 0
		.amdhsa_user_sgpr_queue_ptr 0
		.amdhsa_user_sgpr_kernarg_segment_ptr 1
		.amdhsa_user_sgpr_dispatch_id 0
		.amdhsa_user_sgpr_kernarg_preload_length 0
		.amdhsa_user_sgpr_kernarg_preload_offset 0
		.amdhsa_user_sgpr_private_segment_size 0
		.amdhsa_uses_dynamic_stack 0
		.amdhsa_enable_private_segment 0
		.amdhsa_system_sgpr_workgroup_id_x 1
		.amdhsa_system_sgpr_workgroup_id_y 0
		.amdhsa_system_sgpr_workgroup_id_z 0
		.amdhsa_system_sgpr_workgroup_info 0
		.amdhsa_system_vgpr_workitem_id 0
		.amdhsa_next_free_vgpr 1
		.amdhsa_next_free_sgpr 0
		.amdhsa_accum_offset 4
		.amdhsa_reserve_vcc 0
		.amdhsa_float_round_mode_32 0
		.amdhsa_float_round_mode_16_64 0
		.amdhsa_float_denorm_mode_32 3
		.amdhsa_float_denorm_mode_16_64 3
		.amdhsa_dx10_clamp 1
		.amdhsa_ieee_mode 1
		.amdhsa_fp16_overflow 0
		.amdhsa_tg_split 0
		.amdhsa_exception_fp_ieee_invalid_op 0
		.amdhsa_exception_fp_denorm_src 0
		.amdhsa_exception_fp_ieee_div_zero 0
		.amdhsa_exception_fp_ieee_overflow 0
		.amdhsa_exception_fp_ieee_underflow 0
		.amdhsa_exception_fp_ieee_inexact 0
		.amdhsa_exception_int_div_zero 0
	.end_amdhsa_kernel
	.section	.text._ZN7rocprim17ROCPRIM_400000_NS6detail17trampoline_kernelINS0_14default_configENS1_25transform_config_selectorIyLb0EEEZNS1_14transform_implILb0ES3_S5_PyN6thrust23THRUST_200600_302600_NS6detail15normal_iteratorINS9_10device_ptrIyEEEENS0_8identityIyEEEE10hipError_tT2_T3_mT4_P12ihipStream_tbEUlT_E_NS1_11comp_targetILNS1_3genE10ELNS1_11target_archE1201ELNS1_3gpuE5ELNS1_3repE0EEENS1_30default_config_static_selectorELNS0_4arch9wavefront6targetE1EEEvT1_,"axG",@progbits,_ZN7rocprim17ROCPRIM_400000_NS6detail17trampoline_kernelINS0_14default_configENS1_25transform_config_selectorIyLb0EEEZNS1_14transform_implILb0ES3_S5_PyN6thrust23THRUST_200600_302600_NS6detail15normal_iteratorINS9_10device_ptrIyEEEENS0_8identityIyEEEE10hipError_tT2_T3_mT4_P12ihipStream_tbEUlT_E_NS1_11comp_targetILNS1_3genE10ELNS1_11target_archE1201ELNS1_3gpuE5ELNS1_3repE0EEENS1_30default_config_static_selectorELNS0_4arch9wavefront6targetE1EEEvT1_,comdat
.Lfunc_end777:
	.size	_ZN7rocprim17ROCPRIM_400000_NS6detail17trampoline_kernelINS0_14default_configENS1_25transform_config_selectorIyLb0EEEZNS1_14transform_implILb0ES3_S5_PyN6thrust23THRUST_200600_302600_NS6detail15normal_iteratorINS9_10device_ptrIyEEEENS0_8identityIyEEEE10hipError_tT2_T3_mT4_P12ihipStream_tbEUlT_E_NS1_11comp_targetILNS1_3genE10ELNS1_11target_archE1201ELNS1_3gpuE5ELNS1_3repE0EEENS1_30default_config_static_selectorELNS0_4arch9wavefront6targetE1EEEvT1_, .Lfunc_end777-_ZN7rocprim17ROCPRIM_400000_NS6detail17trampoline_kernelINS0_14default_configENS1_25transform_config_selectorIyLb0EEEZNS1_14transform_implILb0ES3_S5_PyN6thrust23THRUST_200600_302600_NS6detail15normal_iteratorINS9_10device_ptrIyEEEENS0_8identityIyEEEE10hipError_tT2_T3_mT4_P12ihipStream_tbEUlT_E_NS1_11comp_targetILNS1_3genE10ELNS1_11target_archE1201ELNS1_3gpuE5ELNS1_3repE0EEENS1_30default_config_static_selectorELNS0_4arch9wavefront6targetE1EEEvT1_
                                        ; -- End function
	.section	.AMDGPU.csdata,"",@progbits
; Kernel info:
; codeLenInByte = 0
; NumSgprs: 6
; NumVgprs: 0
; NumAgprs: 0
; TotalNumVgprs: 0
; ScratchSize: 0
; MemoryBound: 0
; FloatMode: 240
; IeeeMode: 1
; LDSByteSize: 0 bytes/workgroup (compile time only)
; SGPRBlocks: 0
; VGPRBlocks: 0
; NumSGPRsForWavesPerEU: 6
; NumVGPRsForWavesPerEU: 1
; AccumOffset: 4
; Occupancy: 8
; WaveLimiterHint : 0
; COMPUTE_PGM_RSRC2:SCRATCH_EN: 0
; COMPUTE_PGM_RSRC2:USER_SGPR: 2
; COMPUTE_PGM_RSRC2:TRAP_HANDLER: 0
; COMPUTE_PGM_RSRC2:TGID_X_EN: 1
; COMPUTE_PGM_RSRC2:TGID_Y_EN: 0
; COMPUTE_PGM_RSRC2:TGID_Z_EN: 0
; COMPUTE_PGM_RSRC2:TIDIG_COMP_CNT: 0
; COMPUTE_PGM_RSRC3_GFX90A:ACCUM_OFFSET: 0
; COMPUTE_PGM_RSRC3_GFX90A:TG_SPLIT: 0
	.section	.text._ZN7rocprim17ROCPRIM_400000_NS6detail17trampoline_kernelINS0_14default_configENS1_25transform_config_selectorIyLb0EEEZNS1_14transform_implILb0ES3_S5_PyN6thrust23THRUST_200600_302600_NS6detail15normal_iteratorINS9_10device_ptrIyEEEENS0_8identityIyEEEE10hipError_tT2_T3_mT4_P12ihipStream_tbEUlT_E_NS1_11comp_targetILNS1_3genE10ELNS1_11target_archE1200ELNS1_3gpuE4ELNS1_3repE0EEENS1_30default_config_static_selectorELNS0_4arch9wavefront6targetE1EEEvT1_,"axG",@progbits,_ZN7rocprim17ROCPRIM_400000_NS6detail17trampoline_kernelINS0_14default_configENS1_25transform_config_selectorIyLb0EEEZNS1_14transform_implILb0ES3_S5_PyN6thrust23THRUST_200600_302600_NS6detail15normal_iteratorINS9_10device_ptrIyEEEENS0_8identityIyEEEE10hipError_tT2_T3_mT4_P12ihipStream_tbEUlT_E_NS1_11comp_targetILNS1_3genE10ELNS1_11target_archE1200ELNS1_3gpuE4ELNS1_3repE0EEENS1_30default_config_static_selectorELNS0_4arch9wavefront6targetE1EEEvT1_,comdat
	.protected	_ZN7rocprim17ROCPRIM_400000_NS6detail17trampoline_kernelINS0_14default_configENS1_25transform_config_selectorIyLb0EEEZNS1_14transform_implILb0ES3_S5_PyN6thrust23THRUST_200600_302600_NS6detail15normal_iteratorINS9_10device_ptrIyEEEENS0_8identityIyEEEE10hipError_tT2_T3_mT4_P12ihipStream_tbEUlT_E_NS1_11comp_targetILNS1_3genE10ELNS1_11target_archE1200ELNS1_3gpuE4ELNS1_3repE0EEENS1_30default_config_static_selectorELNS0_4arch9wavefront6targetE1EEEvT1_ ; -- Begin function _ZN7rocprim17ROCPRIM_400000_NS6detail17trampoline_kernelINS0_14default_configENS1_25transform_config_selectorIyLb0EEEZNS1_14transform_implILb0ES3_S5_PyN6thrust23THRUST_200600_302600_NS6detail15normal_iteratorINS9_10device_ptrIyEEEENS0_8identityIyEEEE10hipError_tT2_T3_mT4_P12ihipStream_tbEUlT_E_NS1_11comp_targetILNS1_3genE10ELNS1_11target_archE1200ELNS1_3gpuE4ELNS1_3repE0EEENS1_30default_config_static_selectorELNS0_4arch9wavefront6targetE1EEEvT1_
	.globl	_ZN7rocprim17ROCPRIM_400000_NS6detail17trampoline_kernelINS0_14default_configENS1_25transform_config_selectorIyLb0EEEZNS1_14transform_implILb0ES3_S5_PyN6thrust23THRUST_200600_302600_NS6detail15normal_iteratorINS9_10device_ptrIyEEEENS0_8identityIyEEEE10hipError_tT2_T3_mT4_P12ihipStream_tbEUlT_E_NS1_11comp_targetILNS1_3genE10ELNS1_11target_archE1200ELNS1_3gpuE4ELNS1_3repE0EEENS1_30default_config_static_selectorELNS0_4arch9wavefront6targetE1EEEvT1_
	.p2align	8
	.type	_ZN7rocprim17ROCPRIM_400000_NS6detail17trampoline_kernelINS0_14default_configENS1_25transform_config_selectorIyLb0EEEZNS1_14transform_implILb0ES3_S5_PyN6thrust23THRUST_200600_302600_NS6detail15normal_iteratorINS9_10device_ptrIyEEEENS0_8identityIyEEEE10hipError_tT2_T3_mT4_P12ihipStream_tbEUlT_E_NS1_11comp_targetILNS1_3genE10ELNS1_11target_archE1200ELNS1_3gpuE4ELNS1_3repE0EEENS1_30default_config_static_selectorELNS0_4arch9wavefront6targetE1EEEvT1_,@function
_ZN7rocprim17ROCPRIM_400000_NS6detail17trampoline_kernelINS0_14default_configENS1_25transform_config_selectorIyLb0EEEZNS1_14transform_implILb0ES3_S5_PyN6thrust23THRUST_200600_302600_NS6detail15normal_iteratorINS9_10device_ptrIyEEEENS0_8identityIyEEEE10hipError_tT2_T3_mT4_P12ihipStream_tbEUlT_E_NS1_11comp_targetILNS1_3genE10ELNS1_11target_archE1200ELNS1_3gpuE4ELNS1_3repE0EEENS1_30default_config_static_selectorELNS0_4arch9wavefront6targetE1EEEvT1_: ; @_ZN7rocprim17ROCPRIM_400000_NS6detail17trampoline_kernelINS0_14default_configENS1_25transform_config_selectorIyLb0EEEZNS1_14transform_implILb0ES3_S5_PyN6thrust23THRUST_200600_302600_NS6detail15normal_iteratorINS9_10device_ptrIyEEEENS0_8identityIyEEEE10hipError_tT2_T3_mT4_P12ihipStream_tbEUlT_E_NS1_11comp_targetILNS1_3genE10ELNS1_11target_archE1200ELNS1_3gpuE4ELNS1_3repE0EEENS1_30default_config_static_selectorELNS0_4arch9wavefront6targetE1EEEvT1_
; %bb.0:
	.section	.rodata,"a",@progbits
	.p2align	6, 0x0
	.amdhsa_kernel _ZN7rocprim17ROCPRIM_400000_NS6detail17trampoline_kernelINS0_14default_configENS1_25transform_config_selectorIyLb0EEEZNS1_14transform_implILb0ES3_S5_PyN6thrust23THRUST_200600_302600_NS6detail15normal_iteratorINS9_10device_ptrIyEEEENS0_8identityIyEEEE10hipError_tT2_T3_mT4_P12ihipStream_tbEUlT_E_NS1_11comp_targetILNS1_3genE10ELNS1_11target_archE1200ELNS1_3gpuE4ELNS1_3repE0EEENS1_30default_config_static_selectorELNS0_4arch9wavefront6targetE1EEEvT1_
		.amdhsa_group_segment_fixed_size 0
		.amdhsa_private_segment_fixed_size 0
		.amdhsa_kernarg_size 40
		.amdhsa_user_sgpr_count 2
		.amdhsa_user_sgpr_dispatch_ptr 0
		.amdhsa_user_sgpr_queue_ptr 0
		.amdhsa_user_sgpr_kernarg_segment_ptr 1
		.amdhsa_user_sgpr_dispatch_id 0
		.amdhsa_user_sgpr_kernarg_preload_length 0
		.amdhsa_user_sgpr_kernarg_preload_offset 0
		.amdhsa_user_sgpr_private_segment_size 0
		.amdhsa_uses_dynamic_stack 0
		.amdhsa_enable_private_segment 0
		.amdhsa_system_sgpr_workgroup_id_x 1
		.amdhsa_system_sgpr_workgroup_id_y 0
		.amdhsa_system_sgpr_workgroup_id_z 0
		.amdhsa_system_sgpr_workgroup_info 0
		.amdhsa_system_vgpr_workitem_id 0
		.amdhsa_next_free_vgpr 1
		.amdhsa_next_free_sgpr 0
		.amdhsa_accum_offset 4
		.amdhsa_reserve_vcc 0
		.amdhsa_float_round_mode_32 0
		.amdhsa_float_round_mode_16_64 0
		.amdhsa_float_denorm_mode_32 3
		.amdhsa_float_denorm_mode_16_64 3
		.amdhsa_dx10_clamp 1
		.amdhsa_ieee_mode 1
		.amdhsa_fp16_overflow 0
		.amdhsa_tg_split 0
		.amdhsa_exception_fp_ieee_invalid_op 0
		.amdhsa_exception_fp_denorm_src 0
		.amdhsa_exception_fp_ieee_div_zero 0
		.amdhsa_exception_fp_ieee_overflow 0
		.amdhsa_exception_fp_ieee_underflow 0
		.amdhsa_exception_fp_ieee_inexact 0
		.amdhsa_exception_int_div_zero 0
	.end_amdhsa_kernel
	.section	.text._ZN7rocprim17ROCPRIM_400000_NS6detail17trampoline_kernelINS0_14default_configENS1_25transform_config_selectorIyLb0EEEZNS1_14transform_implILb0ES3_S5_PyN6thrust23THRUST_200600_302600_NS6detail15normal_iteratorINS9_10device_ptrIyEEEENS0_8identityIyEEEE10hipError_tT2_T3_mT4_P12ihipStream_tbEUlT_E_NS1_11comp_targetILNS1_3genE10ELNS1_11target_archE1200ELNS1_3gpuE4ELNS1_3repE0EEENS1_30default_config_static_selectorELNS0_4arch9wavefront6targetE1EEEvT1_,"axG",@progbits,_ZN7rocprim17ROCPRIM_400000_NS6detail17trampoline_kernelINS0_14default_configENS1_25transform_config_selectorIyLb0EEEZNS1_14transform_implILb0ES3_S5_PyN6thrust23THRUST_200600_302600_NS6detail15normal_iteratorINS9_10device_ptrIyEEEENS0_8identityIyEEEE10hipError_tT2_T3_mT4_P12ihipStream_tbEUlT_E_NS1_11comp_targetILNS1_3genE10ELNS1_11target_archE1200ELNS1_3gpuE4ELNS1_3repE0EEENS1_30default_config_static_selectorELNS0_4arch9wavefront6targetE1EEEvT1_,comdat
.Lfunc_end778:
	.size	_ZN7rocprim17ROCPRIM_400000_NS6detail17trampoline_kernelINS0_14default_configENS1_25transform_config_selectorIyLb0EEEZNS1_14transform_implILb0ES3_S5_PyN6thrust23THRUST_200600_302600_NS6detail15normal_iteratorINS9_10device_ptrIyEEEENS0_8identityIyEEEE10hipError_tT2_T3_mT4_P12ihipStream_tbEUlT_E_NS1_11comp_targetILNS1_3genE10ELNS1_11target_archE1200ELNS1_3gpuE4ELNS1_3repE0EEENS1_30default_config_static_selectorELNS0_4arch9wavefront6targetE1EEEvT1_, .Lfunc_end778-_ZN7rocprim17ROCPRIM_400000_NS6detail17trampoline_kernelINS0_14default_configENS1_25transform_config_selectorIyLb0EEEZNS1_14transform_implILb0ES3_S5_PyN6thrust23THRUST_200600_302600_NS6detail15normal_iteratorINS9_10device_ptrIyEEEENS0_8identityIyEEEE10hipError_tT2_T3_mT4_P12ihipStream_tbEUlT_E_NS1_11comp_targetILNS1_3genE10ELNS1_11target_archE1200ELNS1_3gpuE4ELNS1_3repE0EEENS1_30default_config_static_selectorELNS0_4arch9wavefront6targetE1EEEvT1_
                                        ; -- End function
	.section	.AMDGPU.csdata,"",@progbits
; Kernel info:
; codeLenInByte = 0
; NumSgprs: 6
; NumVgprs: 0
; NumAgprs: 0
; TotalNumVgprs: 0
; ScratchSize: 0
; MemoryBound: 0
; FloatMode: 240
; IeeeMode: 1
; LDSByteSize: 0 bytes/workgroup (compile time only)
; SGPRBlocks: 0
; VGPRBlocks: 0
; NumSGPRsForWavesPerEU: 6
; NumVGPRsForWavesPerEU: 1
; AccumOffset: 4
; Occupancy: 8
; WaveLimiterHint : 0
; COMPUTE_PGM_RSRC2:SCRATCH_EN: 0
; COMPUTE_PGM_RSRC2:USER_SGPR: 2
; COMPUTE_PGM_RSRC2:TRAP_HANDLER: 0
; COMPUTE_PGM_RSRC2:TGID_X_EN: 1
; COMPUTE_PGM_RSRC2:TGID_Y_EN: 0
; COMPUTE_PGM_RSRC2:TGID_Z_EN: 0
; COMPUTE_PGM_RSRC2:TIDIG_COMP_CNT: 0
; COMPUTE_PGM_RSRC3_GFX90A:ACCUM_OFFSET: 0
; COMPUTE_PGM_RSRC3_GFX90A:TG_SPLIT: 0
	.section	.text._ZN7rocprim17ROCPRIM_400000_NS6detail17trampoline_kernelINS0_14default_configENS1_25transform_config_selectorIyLb0EEEZNS1_14transform_implILb0ES3_S5_PyN6thrust23THRUST_200600_302600_NS6detail15normal_iteratorINS9_10device_ptrIyEEEENS0_8identityIyEEEE10hipError_tT2_T3_mT4_P12ihipStream_tbEUlT_E_NS1_11comp_targetILNS1_3genE9ELNS1_11target_archE1100ELNS1_3gpuE3ELNS1_3repE0EEENS1_30default_config_static_selectorELNS0_4arch9wavefront6targetE1EEEvT1_,"axG",@progbits,_ZN7rocprim17ROCPRIM_400000_NS6detail17trampoline_kernelINS0_14default_configENS1_25transform_config_selectorIyLb0EEEZNS1_14transform_implILb0ES3_S5_PyN6thrust23THRUST_200600_302600_NS6detail15normal_iteratorINS9_10device_ptrIyEEEENS0_8identityIyEEEE10hipError_tT2_T3_mT4_P12ihipStream_tbEUlT_E_NS1_11comp_targetILNS1_3genE9ELNS1_11target_archE1100ELNS1_3gpuE3ELNS1_3repE0EEENS1_30default_config_static_selectorELNS0_4arch9wavefront6targetE1EEEvT1_,comdat
	.protected	_ZN7rocprim17ROCPRIM_400000_NS6detail17trampoline_kernelINS0_14default_configENS1_25transform_config_selectorIyLb0EEEZNS1_14transform_implILb0ES3_S5_PyN6thrust23THRUST_200600_302600_NS6detail15normal_iteratorINS9_10device_ptrIyEEEENS0_8identityIyEEEE10hipError_tT2_T3_mT4_P12ihipStream_tbEUlT_E_NS1_11comp_targetILNS1_3genE9ELNS1_11target_archE1100ELNS1_3gpuE3ELNS1_3repE0EEENS1_30default_config_static_selectorELNS0_4arch9wavefront6targetE1EEEvT1_ ; -- Begin function _ZN7rocprim17ROCPRIM_400000_NS6detail17trampoline_kernelINS0_14default_configENS1_25transform_config_selectorIyLb0EEEZNS1_14transform_implILb0ES3_S5_PyN6thrust23THRUST_200600_302600_NS6detail15normal_iteratorINS9_10device_ptrIyEEEENS0_8identityIyEEEE10hipError_tT2_T3_mT4_P12ihipStream_tbEUlT_E_NS1_11comp_targetILNS1_3genE9ELNS1_11target_archE1100ELNS1_3gpuE3ELNS1_3repE0EEENS1_30default_config_static_selectorELNS0_4arch9wavefront6targetE1EEEvT1_
	.globl	_ZN7rocprim17ROCPRIM_400000_NS6detail17trampoline_kernelINS0_14default_configENS1_25transform_config_selectorIyLb0EEEZNS1_14transform_implILb0ES3_S5_PyN6thrust23THRUST_200600_302600_NS6detail15normal_iteratorINS9_10device_ptrIyEEEENS0_8identityIyEEEE10hipError_tT2_T3_mT4_P12ihipStream_tbEUlT_E_NS1_11comp_targetILNS1_3genE9ELNS1_11target_archE1100ELNS1_3gpuE3ELNS1_3repE0EEENS1_30default_config_static_selectorELNS0_4arch9wavefront6targetE1EEEvT1_
	.p2align	8
	.type	_ZN7rocprim17ROCPRIM_400000_NS6detail17trampoline_kernelINS0_14default_configENS1_25transform_config_selectorIyLb0EEEZNS1_14transform_implILb0ES3_S5_PyN6thrust23THRUST_200600_302600_NS6detail15normal_iteratorINS9_10device_ptrIyEEEENS0_8identityIyEEEE10hipError_tT2_T3_mT4_P12ihipStream_tbEUlT_E_NS1_11comp_targetILNS1_3genE9ELNS1_11target_archE1100ELNS1_3gpuE3ELNS1_3repE0EEENS1_30default_config_static_selectorELNS0_4arch9wavefront6targetE1EEEvT1_,@function
_ZN7rocprim17ROCPRIM_400000_NS6detail17trampoline_kernelINS0_14default_configENS1_25transform_config_selectorIyLb0EEEZNS1_14transform_implILb0ES3_S5_PyN6thrust23THRUST_200600_302600_NS6detail15normal_iteratorINS9_10device_ptrIyEEEENS0_8identityIyEEEE10hipError_tT2_T3_mT4_P12ihipStream_tbEUlT_E_NS1_11comp_targetILNS1_3genE9ELNS1_11target_archE1100ELNS1_3gpuE3ELNS1_3repE0EEENS1_30default_config_static_selectorELNS0_4arch9wavefront6targetE1EEEvT1_: ; @_ZN7rocprim17ROCPRIM_400000_NS6detail17trampoline_kernelINS0_14default_configENS1_25transform_config_selectorIyLb0EEEZNS1_14transform_implILb0ES3_S5_PyN6thrust23THRUST_200600_302600_NS6detail15normal_iteratorINS9_10device_ptrIyEEEENS0_8identityIyEEEE10hipError_tT2_T3_mT4_P12ihipStream_tbEUlT_E_NS1_11comp_targetILNS1_3genE9ELNS1_11target_archE1100ELNS1_3gpuE3ELNS1_3repE0EEENS1_30default_config_static_selectorELNS0_4arch9wavefront6targetE1EEEvT1_
; %bb.0:
	.section	.rodata,"a",@progbits
	.p2align	6, 0x0
	.amdhsa_kernel _ZN7rocprim17ROCPRIM_400000_NS6detail17trampoline_kernelINS0_14default_configENS1_25transform_config_selectorIyLb0EEEZNS1_14transform_implILb0ES3_S5_PyN6thrust23THRUST_200600_302600_NS6detail15normal_iteratorINS9_10device_ptrIyEEEENS0_8identityIyEEEE10hipError_tT2_T3_mT4_P12ihipStream_tbEUlT_E_NS1_11comp_targetILNS1_3genE9ELNS1_11target_archE1100ELNS1_3gpuE3ELNS1_3repE0EEENS1_30default_config_static_selectorELNS0_4arch9wavefront6targetE1EEEvT1_
		.amdhsa_group_segment_fixed_size 0
		.amdhsa_private_segment_fixed_size 0
		.amdhsa_kernarg_size 40
		.amdhsa_user_sgpr_count 2
		.amdhsa_user_sgpr_dispatch_ptr 0
		.amdhsa_user_sgpr_queue_ptr 0
		.amdhsa_user_sgpr_kernarg_segment_ptr 1
		.amdhsa_user_sgpr_dispatch_id 0
		.amdhsa_user_sgpr_kernarg_preload_length 0
		.amdhsa_user_sgpr_kernarg_preload_offset 0
		.amdhsa_user_sgpr_private_segment_size 0
		.amdhsa_uses_dynamic_stack 0
		.amdhsa_enable_private_segment 0
		.amdhsa_system_sgpr_workgroup_id_x 1
		.amdhsa_system_sgpr_workgroup_id_y 0
		.amdhsa_system_sgpr_workgroup_id_z 0
		.amdhsa_system_sgpr_workgroup_info 0
		.amdhsa_system_vgpr_workitem_id 0
		.amdhsa_next_free_vgpr 1
		.amdhsa_next_free_sgpr 0
		.amdhsa_accum_offset 4
		.amdhsa_reserve_vcc 0
		.amdhsa_float_round_mode_32 0
		.amdhsa_float_round_mode_16_64 0
		.amdhsa_float_denorm_mode_32 3
		.amdhsa_float_denorm_mode_16_64 3
		.amdhsa_dx10_clamp 1
		.amdhsa_ieee_mode 1
		.amdhsa_fp16_overflow 0
		.amdhsa_tg_split 0
		.amdhsa_exception_fp_ieee_invalid_op 0
		.amdhsa_exception_fp_denorm_src 0
		.amdhsa_exception_fp_ieee_div_zero 0
		.amdhsa_exception_fp_ieee_overflow 0
		.amdhsa_exception_fp_ieee_underflow 0
		.amdhsa_exception_fp_ieee_inexact 0
		.amdhsa_exception_int_div_zero 0
	.end_amdhsa_kernel
	.section	.text._ZN7rocprim17ROCPRIM_400000_NS6detail17trampoline_kernelINS0_14default_configENS1_25transform_config_selectorIyLb0EEEZNS1_14transform_implILb0ES3_S5_PyN6thrust23THRUST_200600_302600_NS6detail15normal_iteratorINS9_10device_ptrIyEEEENS0_8identityIyEEEE10hipError_tT2_T3_mT4_P12ihipStream_tbEUlT_E_NS1_11comp_targetILNS1_3genE9ELNS1_11target_archE1100ELNS1_3gpuE3ELNS1_3repE0EEENS1_30default_config_static_selectorELNS0_4arch9wavefront6targetE1EEEvT1_,"axG",@progbits,_ZN7rocprim17ROCPRIM_400000_NS6detail17trampoline_kernelINS0_14default_configENS1_25transform_config_selectorIyLb0EEEZNS1_14transform_implILb0ES3_S5_PyN6thrust23THRUST_200600_302600_NS6detail15normal_iteratorINS9_10device_ptrIyEEEENS0_8identityIyEEEE10hipError_tT2_T3_mT4_P12ihipStream_tbEUlT_E_NS1_11comp_targetILNS1_3genE9ELNS1_11target_archE1100ELNS1_3gpuE3ELNS1_3repE0EEENS1_30default_config_static_selectorELNS0_4arch9wavefront6targetE1EEEvT1_,comdat
.Lfunc_end779:
	.size	_ZN7rocprim17ROCPRIM_400000_NS6detail17trampoline_kernelINS0_14default_configENS1_25transform_config_selectorIyLb0EEEZNS1_14transform_implILb0ES3_S5_PyN6thrust23THRUST_200600_302600_NS6detail15normal_iteratorINS9_10device_ptrIyEEEENS0_8identityIyEEEE10hipError_tT2_T3_mT4_P12ihipStream_tbEUlT_E_NS1_11comp_targetILNS1_3genE9ELNS1_11target_archE1100ELNS1_3gpuE3ELNS1_3repE0EEENS1_30default_config_static_selectorELNS0_4arch9wavefront6targetE1EEEvT1_, .Lfunc_end779-_ZN7rocprim17ROCPRIM_400000_NS6detail17trampoline_kernelINS0_14default_configENS1_25transform_config_selectorIyLb0EEEZNS1_14transform_implILb0ES3_S5_PyN6thrust23THRUST_200600_302600_NS6detail15normal_iteratorINS9_10device_ptrIyEEEENS0_8identityIyEEEE10hipError_tT2_T3_mT4_P12ihipStream_tbEUlT_E_NS1_11comp_targetILNS1_3genE9ELNS1_11target_archE1100ELNS1_3gpuE3ELNS1_3repE0EEENS1_30default_config_static_selectorELNS0_4arch9wavefront6targetE1EEEvT1_
                                        ; -- End function
	.section	.AMDGPU.csdata,"",@progbits
; Kernel info:
; codeLenInByte = 0
; NumSgprs: 6
; NumVgprs: 0
; NumAgprs: 0
; TotalNumVgprs: 0
; ScratchSize: 0
; MemoryBound: 0
; FloatMode: 240
; IeeeMode: 1
; LDSByteSize: 0 bytes/workgroup (compile time only)
; SGPRBlocks: 0
; VGPRBlocks: 0
; NumSGPRsForWavesPerEU: 6
; NumVGPRsForWavesPerEU: 1
; AccumOffset: 4
; Occupancy: 8
; WaveLimiterHint : 0
; COMPUTE_PGM_RSRC2:SCRATCH_EN: 0
; COMPUTE_PGM_RSRC2:USER_SGPR: 2
; COMPUTE_PGM_RSRC2:TRAP_HANDLER: 0
; COMPUTE_PGM_RSRC2:TGID_X_EN: 1
; COMPUTE_PGM_RSRC2:TGID_Y_EN: 0
; COMPUTE_PGM_RSRC2:TGID_Z_EN: 0
; COMPUTE_PGM_RSRC2:TIDIG_COMP_CNT: 0
; COMPUTE_PGM_RSRC3_GFX90A:ACCUM_OFFSET: 0
; COMPUTE_PGM_RSRC3_GFX90A:TG_SPLIT: 0
	.section	.text._ZN7rocprim17ROCPRIM_400000_NS6detail17trampoline_kernelINS0_14default_configENS1_25transform_config_selectorIyLb0EEEZNS1_14transform_implILb0ES3_S5_PyN6thrust23THRUST_200600_302600_NS6detail15normal_iteratorINS9_10device_ptrIyEEEENS0_8identityIyEEEE10hipError_tT2_T3_mT4_P12ihipStream_tbEUlT_E_NS1_11comp_targetILNS1_3genE8ELNS1_11target_archE1030ELNS1_3gpuE2ELNS1_3repE0EEENS1_30default_config_static_selectorELNS0_4arch9wavefront6targetE1EEEvT1_,"axG",@progbits,_ZN7rocprim17ROCPRIM_400000_NS6detail17trampoline_kernelINS0_14default_configENS1_25transform_config_selectorIyLb0EEEZNS1_14transform_implILb0ES3_S5_PyN6thrust23THRUST_200600_302600_NS6detail15normal_iteratorINS9_10device_ptrIyEEEENS0_8identityIyEEEE10hipError_tT2_T3_mT4_P12ihipStream_tbEUlT_E_NS1_11comp_targetILNS1_3genE8ELNS1_11target_archE1030ELNS1_3gpuE2ELNS1_3repE0EEENS1_30default_config_static_selectorELNS0_4arch9wavefront6targetE1EEEvT1_,comdat
	.protected	_ZN7rocprim17ROCPRIM_400000_NS6detail17trampoline_kernelINS0_14default_configENS1_25transform_config_selectorIyLb0EEEZNS1_14transform_implILb0ES3_S5_PyN6thrust23THRUST_200600_302600_NS6detail15normal_iteratorINS9_10device_ptrIyEEEENS0_8identityIyEEEE10hipError_tT2_T3_mT4_P12ihipStream_tbEUlT_E_NS1_11comp_targetILNS1_3genE8ELNS1_11target_archE1030ELNS1_3gpuE2ELNS1_3repE0EEENS1_30default_config_static_selectorELNS0_4arch9wavefront6targetE1EEEvT1_ ; -- Begin function _ZN7rocprim17ROCPRIM_400000_NS6detail17trampoline_kernelINS0_14default_configENS1_25transform_config_selectorIyLb0EEEZNS1_14transform_implILb0ES3_S5_PyN6thrust23THRUST_200600_302600_NS6detail15normal_iteratorINS9_10device_ptrIyEEEENS0_8identityIyEEEE10hipError_tT2_T3_mT4_P12ihipStream_tbEUlT_E_NS1_11comp_targetILNS1_3genE8ELNS1_11target_archE1030ELNS1_3gpuE2ELNS1_3repE0EEENS1_30default_config_static_selectorELNS0_4arch9wavefront6targetE1EEEvT1_
	.globl	_ZN7rocprim17ROCPRIM_400000_NS6detail17trampoline_kernelINS0_14default_configENS1_25transform_config_selectorIyLb0EEEZNS1_14transform_implILb0ES3_S5_PyN6thrust23THRUST_200600_302600_NS6detail15normal_iteratorINS9_10device_ptrIyEEEENS0_8identityIyEEEE10hipError_tT2_T3_mT4_P12ihipStream_tbEUlT_E_NS1_11comp_targetILNS1_3genE8ELNS1_11target_archE1030ELNS1_3gpuE2ELNS1_3repE0EEENS1_30default_config_static_selectorELNS0_4arch9wavefront6targetE1EEEvT1_
	.p2align	8
	.type	_ZN7rocprim17ROCPRIM_400000_NS6detail17trampoline_kernelINS0_14default_configENS1_25transform_config_selectorIyLb0EEEZNS1_14transform_implILb0ES3_S5_PyN6thrust23THRUST_200600_302600_NS6detail15normal_iteratorINS9_10device_ptrIyEEEENS0_8identityIyEEEE10hipError_tT2_T3_mT4_P12ihipStream_tbEUlT_E_NS1_11comp_targetILNS1_3genE8ELNS1_11target_archE1030ELNS1_3gpuE2ELNS1_3repE0EEENS1_30default_config_static_selectorELNS0_4arch9wavefront6targetE1EEEvT1_,@function
_ZN7rocprim17ROCPRIM_400000_NS6detail17trampoline_kernelINS0_14default_configENS1_25transform_config_selectorIyLb0EEEZNS1_14transform_implILb0ES3_S5_PyN6thrust23THRUST_200600_302600_NS6detail15normal_iteratorINS9_10device_ptrIyEEEENS0_8identityIyEEEE10hipError_tT2_T3_mT4_P12ihipStream_tbEUlT_E_NS1_11comp_targetILNS1_3genE8ELNS1_11target_archE1030ELNS1_3gpuE2ELNS1_3repE0EEENS1_30default_config_static_selectorELNS0_4arch9wavefront6targetE1EEEvT1_: ; @_ZN7rocprim17ROCPRIM_400000_NS6detail17trampoline_kernelINS0_14default_configENS1_25transform_config_selectorIyLb0EEEZNS1_14transform_implILb0ES3_S5_PyN6thrust23THRUST_200600_302600_NS6detail15normal_iteratorINS9_10device_ptrIyEEEENS0_8identityIyEEEE10hipError_tT2_T3_mT4_P12ihipStream_tbEUlT_E_NS1_11comp_targetILNS1_3genE8ELNS1_11target_archE1030ELNS1_3gpuE2ELNS1_3repE0EEENS1_30default_config_static_selectorELNS0_4arch9wavefront6targetE1EEEvT1_
; %bb.0:
	.section	.rodata,"a",@progbits
	.p2align	6, 0x0
	.amdhsa_kernel _ZN7rocprim17ROCPRIM_400000_NS6detail17trampoline_kernelINS0_14default_configENS1_25transform_config_selectorIyLb0EEEZNS1_14transform_implILb0ES3_S5_PyN6thrust23THRUST_200600_302600_NS6detail15normal_iteratorINS9_10device_ptrIyEEEENS0_8identityIyEEEE10hipError_tT2_T3_mT4_P12ihipStream_tbEUlT_E_NS1_11comp_targetILNS1_3genE8ELNS1_11target_archE1030ELNS1_3gpuE2ELNS1_3repE0EEENS1_30default_config_static_selectorELNS0_4arch9wavefront6targetE1EEEvT1_
		.amdhsa_group_segment_fixed_size 0
		.amdhsa_private_segment_fixed_size 0
		.amdhsa_kernarg_size 40
		.amdhsa_user_sgpr_count 2
		.amdhsa_user_sgpr_dispatch_ptr 0
		.amdhsa_user_sgpr_queue_ptr 0
		.amdhsa_user_sgpr_kernarg_segment_ptr 1
		.amdhsa_user_sgpr_dispatch_id 0
		.amdhsa_user_sgpr_kernarg_preload_length 0
		.amdhsa_user_sgpr_kernarg_preload_offset 0
		.amdhsa_user_sgpr_private_segment_size 0
		.amdhsa_uses_dynamic_stack 0
		.amdhsa_enable_private_segment 0
		.amdhsa_system_sgpr_workgroup_id_x 1
		.amdhsa_system_sgpr_workgroup_id_y 0
		.amdhsa_system_sgpr_workgroup_id_z 0
		.amdhsa_system_sgpr_workgroup_info 0
		.amdhsa_system_vgpr_workitem_id 0
		.amdhsa_next_free_vgpr 1
		.amdhsa_next_free_sgpr 0
		.amdhsa_accum_offset 4
		.amdhsa_reserve_vcc 0
		.amdhsa_float_round_mode_32 0
		.amdhsa_float_round_mode_16_64 0
		.amdhsa_float_denorm_mode_32 3
		.amdhsa_float_denorm_mode_16_64 3
		.amdhsa_dx10_clamp 1
		.amdhsa_ieee_mode 1
		.amdhsa_fp16_overflow 0
		.amdhsa_tg_split 0
		.amdhsa_exception_fp_ieee_invalid_op 0
		.amdhsa_exception_fp_denorm_src 0
		.amdhsa_exception_fp_ieee_div_zero 0
		.amdhsa_exception_fp_ieee_overflow 0
		.amdhsa_exception_fp_ieee_underflow 0
		.amdhsa_exception_fp_ieee_inexact 0
		.amdhsa_exception_int_div_zero 0
	.end_amdhsa_kernel
	.section	.text._ZN7rocprim17ROCPRIM_400000_NS6detail17trampoline_kernelINS0_14default_configENS1_25transform_config_selectorIyLb0EEEZNS1_14transform_implILb0ES3_S5_PyN6thrust23THRUST_200600_302600_NS6detail15normal_iteratorINS9_10device_ptrIyEEEENS0_8identityIyEEEE10hipError_tT2_T3_mT4_P12ihipStream_tbEUlT_E_NS1_11comp_targetILNS1_3genE8ELNS1_11target_archE1030ELNS1_3gpuE2ELNS1_3repE0EEENS1_30default_config_static_selectorELNS0_4arch9wavefront6targetE1EEEvT1_,"axG",@progbits,_ZN7rocprim17ROCPRIM_400000_NS6detail17trampoline_kernelINS0_14default_configENS1_25transform_config_selectorIyLb0EEEZNS1_14transform_implILb0ES3_S5_PyN6thrust23THRUST_200600_302600_NS6detail15normal_iteratorINS9_10device_ptrIyEEEENS0_8identityIyEEEE10hipError_tT2_T3_mT4_P12ihipStream_tbEUlT_E_NS1_11comp_targetILNS1_3genE8ELNS1_11target_archE1030ELNS1_3gpuE2ELNS1_3repE0EEENS1_30default_config_static_selectorELNS0_4arch9wavefront6targetE1EEEvT1_,comdat
.Lfunc_end780:
	.size	_ZN7rocprim17ROCPRIM_400000_NS6detail17trampoline_kernelINS0_14default_configENS1_25transform_config_selectorIyLb0EEEZNS1_14transform_implILb0ES3_S5_PyN6thrust23THRUST_200600_302600_NS6detail15normal_iteratorINS9_10device_ptrIyEEEENS0_8identityIyEEEE10hipError_tT2_T3_mT4_P12ihipStream_tbEUlT_E_NS1_11comp_targetILNS1_3genE8ELNS1_11target_archE1030ELNS1_3gpuE2ELNS1_3repE0EEENS1_30default_config_static_selectorELNS0_4arch9wavefront6targetE1EEEvT1_, .Lfunc_end780-_ZN7rocprim17ROCPRIM_400000_NS6detail17trampoline_kernelINS0_14default_configENS1_25transform_config_selectorIyLb0EEEZNS1_14transform_implILb0ES3_S5_PyN6thrust23THRUST_200600_302600_NS6detail15normal_iteratorINS9_10device_ptrIyEEEENS0_8identityIyEEEE10hipError_tT2_T3_mT4_P12ihipStream_tbEUlT_E_NS1_11comp_targetILNS1_3genE8ELNS1_11target_archE1030ELNS1_3gpuE2ELNS1_3repE0EEENS1_30default_config_static_selectorELNS0_4arch9wavefront6targetE1EEEvT1_
                                        ; -- End function
	.section	.AMDGPU.csdata,"",@progbits
; Kernel info:
; codeLenInByte = 0
; NumSgprs: 6
; NumVgprs: 0
; NumAgprs: 0
; TotalNumVgprs: 0
; ScratchSize: 0
; MemoryBound: 0
; FloatMode: 240
; IeeeMode: 1
; LDSByteSize: 0 bytes/workgroup (compile time only)
; SGPRBlocks: 0
; VGPRBlocks: 0
; NumSGPRsForWavesPerEU: 6
; NumVGPRsForWavesPerEU: 1
; AccumOffset: 4
; Occupancy: 8
; WaveLimiterHint : 0
; COMPUTE_PGM_RSRC2:SCRATCH_EN: 0
; COMPUTE_PGM_RSRC2:USER_SGPR: 2
; COMPUTE_PGM_RSRC2:TRAP_HANDLER: 0
; COMPUTE_PGM_RSRC2:TGID_X_EN: 1
; COMPUTE_PGM_RSRC2:TGID_Y_EN: 0
; COMPUTE_PGM_RSRC2:TGID_Z_EN: 0
; COMPUTE_PGM_RSRC2:TIDIG_COMP_CNT: 0
; COMPUTE_PGM_RSRC3_GFX90A:ACCUM_OFFSET: 0
; COMPUTE_PGM_RSRC3_GFX90A:TG_SPLIT: 0
	.section	.text._ZN7rocprim17ROCPRIM_400000_NS6detail17trampoline_kernelINS0_14default_configENS1_25transform_config_selectorINS0_10empty_typeELb1EEEZNS1_14transform_implILb1ES3_S6_PS5_S8_NS0_8identityIS5_EEEE10hipError_tT2_T3_mT4_P12ihipStream_tbEUlT_E_NS1_11comp_targetILNS1_3genE0ELNS1_11target_archE4294967295ELNS1_3gpuE0ELNS1_3repE0EEENS1_30default_config_static_selectorELNS0_4arch9wavefront6targetE1EEEvT1_,"axG",@progbits,_ZN7rocprim17ROCPRIM_400000_NS6detail17trampoline_kernelINS0_14default_configENS1_25transform_config_selectorINS0_10empty_typeELb1EEEZNS1_14transform_implILb1ES3_S6_PS5_S8_NS0_8identityIS5_EEEE10hipError_tT2_T3_mT4_P12ihipStream_tbEUlT_E_NS1_11comp_targetILNS1_3genE0ELNS1_11target_archE4294967295ELNS1_3gpuE0ELNS1_3repE0EEENS1_30default_config_static_selectorELNS0_4arch9wavefront6targetE1EEEvT1_,comdat
	.protected	_ZN7rocprim17ROCPRIM_400000_NS6detail17trampoline_kernelINS0_14default_configENS1_25transform_config_selectorINS0_10empty_typeELb1EEEZNS1_14transform_implILb1ES3_S6_PS5_S8_NS0_8identityIS5_EEEE10hipError_tT2_T3_mT4_P12ihipStream_tbEUlT_E_NS1_11comp_targetILNS1_3genE0ELNS1_11target_archE4294967295ELNS1_3gpuE0ELNS1_3repE0EEENS1_30default_config_static_selectorELNS0_4arch9wavefront6targetE1EEEvT1_ ; -- Begin function _ZN7rocprim17ROCPRIM_400000_NS6detail17trampoline_kernelINS0_14default_configENS1_25transform_config_selectorINS0_10empty_typeELb1EEEZNS1_14transform_implILb1ES3_S6_PS5_S8_NS0_8identityIS5_EEEE10hipError_tT2_T3_mT4_P12ihipStream_tbEUlT_E_NS1_11comp_targetILNS1_3genE0ELNS1_11target_archE4294967295ELNS1_3gpuE0ELNS1_3repE0EEENS1_30default_config_static_selectorELNS0_4arch9wavefront6targetE1EEEvT1_
	.globl	_ZN7rocprim17ROCPRIM_400000_NS6detail17trampoline_kernelINS0_14default_configENS1_25transform_config_selectorINS0_10empty_typeELb1EEEZNS1_14transform_implILb1ES3_S6_PS5_S8_NS0_8identityIS5_EEEE10hipError_tT2_T3_mT4_P12ihipStream_tbEUlT_E_NS1_11comp_targetILNS1_3genE0ELNS1_11target_archE4294967295ELNS1_3gpuE0ELNS1_3repE0EEENS1_30default_config_static_selectorELNS0_4arch9wavefront6targetE1EEEvT1_
	.p2align	8
	.type	_ZN7rocprim17ROCPRIM_400000_NS6detail17trampoline_kernelINS0_14default_configENS1_25transform_config_selectorINS0_10empty_typeELb1EEEZNS1_14transform_implILb1ES3_S6_PS5_S8_NS0_8identityIS5_EEEE10hipError_tT2_T3_mT4_P12ihipStream_tbEUlT_E_NS1_11comp_targetILNS1_3genE0ELNS1_11target_archE4294967295ELNS1_3gpuE0ELNS1_3repE0EEENS1_30default_config_static_selectorELNS0_4arch9wavefront6targetE1EEEvT1_,@function
_ZN7rocprim17ROCPRIM_400000_NS6detail17trampoline_kernelINS0_14default_configENS1_25transform_config_selectorINS0_10empty_typeELb1EEEZNS1_14transform_implILb1ES3_S6_PS5_S8_NS0_8identityIS5_EEEE10hipError_tT2_T3_mT4_P12ihipStream_tbEUlT_E_NS1_11comp_targetILNS1_3genE0ELNS1_11target_archE4294967295ELNS1_3gpuE0ELNS1_3repE0EEENS1_30default_config_static_selectorELNS0_4arch9wavefront6targetE1EEEvT1_: ; @_ZN7rocprim17ROCPRIM_400000_NS6detail17trampoline_kernelINS0_14default_configENS1_25transform_config_selectorINS0_10empty_typeELb1EEEZNS1_14transform_implILb1ES3_S6_PS5_S8_NS0_8identityIS5_EEEE10hipError_tT2_T3_mT4_P12ihipStream_tbEUlT_E_NS1_11comp_targetILNS1_3genE0ELNS1_11target_archE4294967295ELNS1_3gpuE0ELNS1_3repE0EEENS1_30default_config_static_selectorELNS0_4arch9wavefront6targetE1EEEvT1_
; %bb.0:
	.section	.rodata,"a",@progbits
	.p2align	6, 0x0
	.amdhsa_kernel _ZN7rocprim17ROCPRIM_400000_NS6detail17trampoline_kernelINS0_14default_configENS1_25transform_config_selectorINS0_10empty_typeELb1EEEZNS1_14transform_implILb1ES3_S6_PS5_S8_NS0_8identityIS5_EEEE10hipError_tT2_T3_mT4_P12ihipStream_tbEUlT_E_NS1_11comp_targetILNS1_3genE0ELNS1_11target_archE4294967295ELNS1_3gpuE0ELNS1_3repE0EEENS1_30default_config_static_selectorELNS0_4arch9wavefront6targetE1EEEvT1_
		.amdhsa_group_segment_fixed_size 0
		.amdhsa_private_segment_fixed_size 0
		.amdhsa_kernarg_size 40
		.amdhsa_user_sgpr_count 2
		.amdhsa_user_sgpr_dispatch_ptr 0
		.amdhsa_user_sgpr_queue_ptr 0
		.amdhsa_user_sgpr_kernarg_segment_ptr 1
		.amdhsa_user_sgpr_dispatch_id 0
		.amdhsa_user_sgpr_kernarg_preload_length 0
		.amdhsa_user_sgpr_kernarg_preload_offset 0
		.amdhsa_user_sgpr_private_segment_size 0
		.amdhsa_uses_dynamic_stack 0
		.amdhsa_enable_private_segment 0
		.amdhsa_system_sgpr_workgroup_id_x 1
		.amdhsa_system_sgpr_workgroup_id_y 0
		.amdhsa_system_sgpr_workgroup_id_z 0
		.amdhsa_system_sgpr_workgroup_info 0
		.amdhsa_system_vgpr_workitem_id 0
		.amdhsa_next_free_vgpr 1
		.amdhsa_next_free_sgpr 0
		.amdhsa_accum_offset 4
		.amdhsa_reserve_vcc 0
		.amdhsa_float_round_mode_32 0
		.amdhsa_float_round_mode_16_64 0
		.amdhsa_float_denorm_mode_32 3
		.amdhsa_float_denorm_mode_16_64 3
		.amdhsa_dx10_clamp 1
		.amdhsa_ieee_mode 1
		.amdhsa_fp16_overflow 0
		.amdhsa_tg_split 0
		.amdhsa_exception_fp_ieee_invalid_op 0
		.amdhsa_exception_fp_denorm_src 0
		.amdhsa_exception_fp_ieee_div_zero 0
		.amdhsa_exception_fp_ieee_overflow 0
		.amdhsa_exception_fp_ieee_underflow 0
		.amdhsa_exception_fp_ieee_inexact 0
		.amdhsa_exception_int_div_zero 0
	.end_amdhsa_kernel
	.section	.text._ZN7rocprim17ROCPRIM_400000_NS6detail17trampoline_kernelINS0_14default_configENS1_25transform_config_selectorINS0_10empty_typeELb1EEEZNS1_14transform_implILb1ES3_S6_PS5_S8_NS0_8identityIS5_EEEE10hipError_tT2_T3_mT4_P12ihipStream_tbEUlT_E_NS1_11comp_targetILNS1_3genE0ELNS1_11target_archE4294967295ELNS1_3gpuE0ELNS1_3repE0EEENS1_30default_config_static_selectorELNS0_4arch9wavefront6targetE1EEEvT1_,"axG",@progbits,_ZN7rocprim17ROCPRIM_400000_NS6detail17trampoline_kernelINS0_14default_configENS1_25transform_config_selectorINS0_10empty_typeELb1EEEZNS1_14transform_implILb1ES3_S6_PS5_S8_NS0_8identityIS5_EEEE10hipError_tT2_T3_mT4_P12ihipStream_tbEUlT_E_NS1_11comp_targetILNS1_3genE0ELNS1_11target_archE4294967295ELNS1_3gpuE0ELNS1_3repE0EEENS1_30default_config_static_selectorELNS0_4arch9wavefront6targetE1EEEvT1_,comdat
.Lfunc_end781:
	.size	_ZN7rocprim17ROCPRIM_400000_NS6detail17trampoline_kernelINS0_14default_configENS1_25transform_config_selectorINS0_10empty_typeELb1EEEZNS1_14transform_implILb1ES3_S6_PS5_S8_NS0_8identityIS5_EEEE10hipError_tT2_T3_mT4_P12ihipStream_tbEUlT_E_NS1_11comp_targetILNS1_3genE0ELNS1_11target_archE4294967295ELNS1_3gpuE0ELNS1_3repE0EEENS1_30default_config_static_selectorELNS0_4arch9wavefront6targetE1EEEvT1_, .Lfunc_end781-_ZN7rocprim17ROCPRIM_400000_NS6detail17trampoline_kernelINS0_14default_configENS1_25transform_config_selectorINS0_10empty_typeELb1EEEZNS1_14transform_implILb1ES3_S6_PS5_S8_NS0_8identityIS5_EEEE10hipError_tT2_T3_mT4_P12ihipStream_tbEUlT_E_NS1_11comp_targetILNS1_3genE0ELNS1_11target_archE4294967295ELNS1_3gpuE0ELNS1_3repE0EEENS1_30default_config_static_selectorELNS0_4arch9wavefront6targetE1EEEvT1_
                                        ; -- End function
	.section	.AMDGPU.csdata,"",@progbits
; Kernel info:
; codeLenInByte = 0
; NumSgprs: 6
; NumVgprs: 0
; NumAgprs: 0
; TotalNumVgprs: 0
; ScratchSize: 0
; MemoryBound: 0
; FloatMode: 240
; IeeeMode: 1
; LDSByteSize: 0 bytes/workgroup (compile time only)
; SGPRBlocks: 0
; VGPRBlocks: 0
; NumSGPRsForWavesPerEU: 6
; NumVGPRsForWavesPerEU: 1
; AccumOffset: 4
; Occupancy: 8
; WaveLimiterHint : 0
; COMPUTE_PGM_RSRC2:SCRATCH_EN: 0
; COMPUTE_PGM_RSRC2:USER_SGPR: 2
; COMPUTE_PGM_RSRC2:TRAP_HANDLER: 0
; COMPUTE_PGM_RSRC2:TGID_X_EN: 1
; COMPUTE_PGM_RSRC2:TGID_Y_EN: 0
; COMPUTE_PGM_RSRC2:TGID_Z_EN: 0
; COMPUTE_PGM_RSRC2:TIDIG_COMP_CNT: 0
; COMPUTE_PGM_RSRC3_GFX90A:ACCUM_OFFSET: 0
; COMPUTE_PGM_RSRC3_GFX90A:TG_SPLIT: 0
	.section	.text._ZN7rocprim17ROCPRIM_400000_NS6detail17trampoline_kernelINS0_14default_configENS1_25transform_config_selectorINS0_10empty_typeELb1EEEZNS1_14transform_implILb1ES3_S6_PS5_S8_NS0_8identityIS5_EEEE10hipError_tT2_T3_mT4_P12ihipStream_tbEUlT_E_NS1_11comp_targetILNS1_3genE10ELNS1_11target_archE1201ELNS1_3gpuE5ELNS1_3repE0EEENS1_30default_config_static_selectorELNS0_4arch9wavefront6targetE1EEEvT1_,"axG",@progbits,_ZN7rocprim17ROCPRIM_400000_NS6detail17trampoline_kernelINS0_14default_configENS1_25transform_config_selectorINS0_10empty_typeELb1EEEZNS1_14transform_implILb1ES3_S6_PS5_S8_NS0_8identityIS5_EEEE10hipError_tT2_T3_mT4_P12ihipStream_tbEUlT_E_NS1_11comp_targetILNS1_3genE10ELNS1_11target_archE1201ELNS1_3gpuE5ELNS1_3repE0EEENS1_30default_config_static_selectorELNS0_4arch9wavefront6targetE1EEEvT1_,comdat
	.protected	_ZN7rocprim17ROCPRIM_400000_NS6detail17trampoline_kernelINS0_14default_configENS1_25transform_config_selectorINS0_10empty_typeELb1EEEZNS1_14transform_implILb1ES3_S6_PS5_S8_NS0_8identityIS5_EEEE10hipError_tT2_T3_mT4_P12ihipStream_tbEUlT_E_NS1_11comp_targetILNS1_3genE10ELNS1_11target_archE1201ELNS1_3gpuE5ELNS1_3repE0EEENS1_30default_config_static_selectorELNS0_4arch9wavefront6targetE1EEEvT1_ ; -- Begin function _ZN7rocprim17ROCPRIM_400000_NS6detail17trampoline_kernelINS0_14default_configENS1_25transform_config_selectorINS0_10empty_typeELb1EEEZNS1_14transform_implILb1ES3_S6_PS5_S8_NS0_8identityIS5_EEEE10hipError_tT2_T3_mT4_P12ihipStream_tbEUlT_E_NS1_11comp_targetILNS1_3genE10ELNS1_11target_archE1201ELNS1_3gpuE5ELNS1_3repE0EEENS1_30default_config_static_selectorELNS0_4arch9wavefront6targetE1EEEvT1_
	.globl	_ZN7rocprim17ROCPRIM_400000_NS6detail17trampoline_kernelINS0_14default_configENS1_25transform_config_selectorINS0_10empty_typeELb1EEEZNS1_14transform_implILb1ES3_S6_PS5_S8_NS0_8identityIS5_EEEE10hipError_tT2_T3_mT4_P12ihipStream_tbEUlT_E_NS1_11comp_targetILNS1_3genE10ELNS1_11target_archE1201ELNS1_3gpuE5ELNS1_3repE0EEENS1_30default_config_static_selectorELNS0_4arch9wavefront6targetE1EEEvT1_
	.p2align	8
	.type	_ZN7rocprim17ROCPRIM_400000_NS6detail17trampoline_kernelINS0_14default_configENS1_25transform_config_selectorINS0_10empty_typeELb1EEEZNS1_14transform_implILb1ES3_S6_PS5_S8_NS0_8identityIS5_EEEE10hipError_tT2_T3_mT4_P12ihipStream_tbEUlT_E_NS1_11comp_targetILNS1_3genE10ELNS1_11target_archE1201ELNS1_3gpuE5ELNS1_3repE0EEENS1_30default_config_static_selectorELNS0_4arch9wavefront6targetE1EEEvT1_,@function
_ZN7rocprim17ROCPRIM_400000_NS6detail17trampoline_kernelINS0_14default_configENS1_25transform_config_selectorINS0_10empty_typeELb1EEEZNS1_14transform_implILb1ES3_S6_PS5_S8_NS0_8identityIS5_EEEE10hipError_tT2_T3_mT4_P12ihipStream_tbEUlT_E_NS1_11comp_targetILNS1_3genE10ELNS1_11target_archE1201ELNS1_3gpuE5ELNS1_3repE0EEENS1_30default_config_static_selectorELNS0_4arch9wavefront6targetE1EEEvT1_: ; @_ZN7rocprim17ROCPRIM_400000_NS6detail17trampoline_kernelINS0_14default_configENS1_25transform_config_selectorINS0_10empty_typeELb1EEEZNS1_14transform_implILb1ES3_S6_PS5_S8_NS0_8identityIS5_EEEE10hipError_tT2_T3_mT4_P12ihipStream_tbEUlT_E_NS1_11comp_targetILNS1_3genE10ELNS1_11target_archE1201ELNS1_3gpuE5ELNS1_3repE0EEENS1_30default_config_static_selectorELNS0_4arch9wavefront6targetE1EEEvT1_
; %bb.0:
	.section	.rodata,"a",@progbits
	.p2align	6, 0x0
	.amdhsa_kernel _ZN7rocprim17ROCPRIM_400000_NS6detail17trampoline_kernelINS0_14default_configENS1_25transform_config_selectorINS0_10empty_typeELb1EEEZNS1_14transform_implILb1ES3_S6_PS5_S8_NS0_8identityIS5_EEEE10hipError_tT2_T3_mT4_P12ihipStream_tbEUlT_E_NS1_11comp_targetILNS1_3genE10ELNS1_11target_archE1201ELNS1_3gpuE5ELNS1_3repE0EEENS1_30default_config_static_selectorELNS0_4arch9wavefront6targetE1EEEvT1_
		.amdhsa_group_segment_fixed_size 0
		.amdhsa_private_segment_fixed_size 0
		.amdhsa_kernarg_size 40
		.amdhsa_user_sgpr_count 2
		.amdhsa_user_sgpr_dispatch_ptr 0
		.amdhsa_user_sgpr_queue_ptr 0
		.amdhsa_user_sgpr_kernarg_segment_ptr 1
		.amdhsa_user_sgpr_dispatch_id 0
		.amdhsa_user_sgpr_kernarg_preload_length 0
		.amdhsa_user_sgpr_kernarg_preload_offset 0
		.amdhsa_user_sgpr_private_segment_size 0
		.amdhsa_uses_dynamic_stack 0
		.amdhsa_enable_private_segment 0
		.amdhsa_system_sgpr_workgroup_id_x 1
		.amdhsa_system_sgpr_workgroup_id_y 0
		.amdhsa_system_sgpr_workgroup_id_z 0
		.amdhsa_system_sgpr_workgroup_info 0
		.amdhsa_system_vgpr_workitem_id 0
		.amdhsa_next_free_vgpr 1
		.amdhsa_next_free_sgpr 0
		.amdhsa_accum_offset 4
		.amdhsa_reserve_vcc 0
		.amdhsa_float_round_mode_32 0
		.amdhsa_float_round_mode_16_64 0
		.amdhsa_float_denorm_mode_32 3
		.amdhsa_float_denorm_mode_16_64 3
		.amdhsa_dx10_clamp 1
		.amdhsa_ieee_mode 1
		.amdhsa_fp16_overflow 0
		.amdhsa_tg_split 0
		.amdhsa_exception_fp_ieee_invalid_op 0
		.amdhsa_exception_fp_denorm_src 0
		.amdhsa_exception_fp_ieee_div_zero 0
		.amdhsa_exception_fp_ieee_overflow 0
		.amdhsa_exception_fp_ieee_underflow 0
		.amdhsa_exception_fp_ieee_inexact 0
		.amdhsa_exception_int_div_zero 0
	.end_amdhsa_kernel
	.section	.text._ZN7rocprim17ROCPRIM_400000_NS6detail17trampoline_kernelINS0_14default_configENS1_25transform_config_selectorINS0_10empty_typeELb1EEEZNS1_14transform_implILb1ES3_S6_PS5_S8_NS0_8identityIS5_EEEE10hipError_tT2_T3_mT4_P12ihipStream_tbEUlT_E_NS1_11comp_targetILNS1_3genE10ELNS1_11target_archE1201ELNS1_3gpuE5ELNS1_3repE0EEENS1_30default_config_static_selectorELNS0_4arch9wavefront6targetE1EEEvT1_,"axG",@progbits,_ZN7rocprim17ROCPRIM_400000_NS6detail17trampoline_kernelINS0_14default_configENS1_25transform_config_selectorINS0_10empty_typeELb1EEEZNS1_14transform_implILb1ES3_S6_PS5_S8_NS0_8identityIS5_EEEE10hipError_tT2_T3_mT4_P12ihipStream_tbEUlT_E_NS1_11comp_targetILNS1_3genE10ELNS1_11target_archE1201ELNS1_3gpuE5ELNS1_3repE0EEENS1_30default_config_static_selectorELNS0_4arch9wavefront6targetE1EEEvT1_,comdat
.Lfunc_end782:
	.size	_ZN7rocprim17ROCPRIM_400000_NS6detail17trampoline_kernelINS0_14default_configENS1_25transform_config_selectorINS0_10empty_typeELb1EEEZNS1_14transform_implILb1ES3_S6_PS5_S8_NS0_8identityIS5_EEEE10hipError_tT2_T3_mT4_P12ihipStream_tbEUlT_E_NS1_11comp_targetILNS1_3genE10ELNS1_11target_archE1201ELNS1_3gpuE5ELNS1_3repE0EEENS1_30default_config_static_selectorELNS0_4arch9wavefront6targetE1EEEvT1_, .Lfunc_end782-_ZN7rocprim17ROCPRIM_400000_NS6detail17trampoline_kernelINS0_14default_configENS1_25transform_config_selectorINS0_10empty_typeELb1EEEZNS1_14transform_implILb1ES3_S6_PS5_S8_NS0_8identityIS5_EEEE10hipError_tT2_T3_mT4_P12ihipStream_tbEUlT_E_NS1_11comp_targetILNS1_3genE10ELNS1_11target_archE1201ELNS1_3gpuE5ELNS1_3repE0EEENS1_30default_config_static_selectorELNS0_4arch9wavefront6targetE1EEEvT1_
                                        ; -- End function
	.section	.AMDGPU.csdata,"",@progbits
; Kernel info:
; codeLenInByte = 0
; NumSgprs: 6
; NumVgprs: 0
; NumAgprs: 0
; TotalNumVgprs: 0
; ScratchSize: 0
; MemoryBound: 0
; FloatMode: 240
; IeeeMode: 1
; LDSByteSize: 0 bytes/workgroup (compile time only)
; SGPRBlocks: 0
; VGPRBlocks: 0
; NumSGPRsForWavesPerEU: 6
; NumVGPRsForWavesPerEU: 1
; AccumOffset: 4
; Occupancy: 8
; WaveLimiterHint : 0
; COMPUTE_PGM_RSRC2:SCRATCH_EN: 0
; COMPUTE_PGM_RSRC2:USER_SGPR: 2
; COMPUTE_PGM_RSRC2:TRAP_HANDLER: 0
; COMPUTE_PGM_RSRC2:TGID_X_EN: 1
; COMPUTE_PGM_RSRC2:TGID_Y_EN: 0
; COMPUTE_PGM_RSRC2:TGID_Z_EN: 0
; COMPUTE_PGM_RSRC2:TIDIG_COMP_CNT: 0
; COMPUTE_PGM_RSRC3_GFX90A:ACCUM_OFFSET: 0
; COMPUTE_PGM_RSRC3_GFX90A:TG_SPLIT: 0
	.section	.text._ZN7rocprim17ROCPRIM_400000_NS6detail17trampoline_kernelINS0_14default_configENS1_25transform_config_selectorINS0_10empty_typeELb1EEEZNS1_14transform_implILb1ES3_S6_PS5_S8_NS0_8identityIS5_EEEE10hipError_tT2_T3_mT4_P12ihipStream_tbEUlT_E_NS1_11comp_targetILNS1_3genE5ELNS1_11target_archE942ELNS1_3gpuE9ELNS1_3repE0EEENS1_30default_config_static_selectorELNS0_4arch9wavefront6targetE1EEEvT1_,"axG",@progbits,_ZN7rocprim17ROCPRIM_400000_NS6detail17trampoline_kernelINS0_14default_configENS1_25transform_config_selectorINS0_10empty_typeELb1EEEZNS1_14transform_implILb1ES3_S6_PS5_S8_NS0_8identityIS5_EEEE10hipError_tT2_T3_mT4_P12ihipStream_tbEUlT_E_NS1_11comp_targetILNS1_3genE5ELNS1_11target_archE942ELNS1_3gpuE9ELNS1_3repE0EEENS1_30default_config_static_selectorELNS0_4arch9wavefront6targetE1EEEvT1_,comdat
	.protected	_ZN7rocprim17ROCPRIM_400000_NS6detail17trampoline_kernelINS0_14default_configENS1_25transform_config_selectorINS0_10empty_typeELb1EEEZNS1_14transform_implILb1ES3_S6_PS5_S8_NS0_8identityIS5_EEEE10hipError_tT2_T3_mT4_P12ihipStream_tbEUlT_E_NS1_11comp_targetILNS1_3genE5ELNS1_11target_archE942ELNS1_3gpuE9ELNS1_3repE0EEENS1_30default_config_static_selectorELNS0_4arch9wavefront6targetE1EEEvT1_ ; -- Begin function _ZN7rocprim17ROCPRIM_400000_NS6detail17trampoline_kernelINS0_14default_configENS1_25transform_config_selectorINS0_10empty_typeELb1EEEZNS1_14transform_implILb1ES3_S6_PS5_S8_NS0_8identityIS5_EEEE10hipError_tT2_T3_mT4_P12ihipStream_tbEUlT_E_NS1_11comp_targetILNS1_3genE5ELNS1_11target_archE942ELNS1_3gpuE9ELNS1_3repE0EEENS1_30default_config_static_selectorELNS0_4arch9wavefront6targetE1EEEvT1_
	.globl	_ZN7rocprim17ROCPRIM_400000_NS6detail17trampoline_kernelINS0_14default_configENS1_25transform_config_selectorINS0_10empty_typeELb1EEEZNS1_14transform_implILb1ES3_S6_PS5_S8_NS0_8identityIS5_EEEE10hipError_tT2_T3_mT4_P12ihipStream_tbEUlT_E_NS1_11comp_targetILNS1_3genE5ELNS1_11target_archE942ELNS1_3gpuE9ELNS1_3repE0EEENS1_30default_config_static_selectorELNS0_4arch9wavefront6targetE1EEEvT1_
	.p2align	8
	.type	_ZN7rocprim17ROCPRIM_400000_NS6detail17trampoline_kernelINS0_14default_configENS1_25transform_config_selectorINS0_10empty_typeELb1EEEZNS1_14transform_implILb1ES3_S6_PS5_S8_NS0_8identityIS5_EEEE10hipError_tT2_T3_mT4_P12ihipStream_tbEUlT_E_NS1_11comp_targetILNS1_3genE5ELNS1_11target_archE942ELNS1_3gpuE9ELNS1_3repE0EEENS1_30default_config_static_selectorELNS0_4arch9wavefront6targetE1EEEvT1_,@function
_ZN7rocprim17ROCPRIM_400000_NS6detail17trampoline_kernelINS0_14default_configENS1_25transform_config_selectorINS0_10empty_typeELb1EEEZNS1_14transform_implILb1ES3_S6_PS5_S8_NS0_8identityIS5_EEEE10hipError_tT2_T3_mT4_P12ihipStream_tbEUlT_E_NS1_11comp_targetILNS1_3genE5ELNS1_11target_archE942ELNS1_3gpuE9ELNS1_3repE0EEENS1_30default_config_static_selectorELNS0_4arch9wavefront6targetE1EEEvT1_: ; @_ZN7rocprim17ROCPRIM_400000_NS6detail17trampoline_kernelINS0_14default_configENS1_25transform_config_selectorINS0_10empty_typeELb1EEEZNS1_14transform_implILb1ES3_S6_PS5_S8_NS0_8identityIS5_EEEE10hipError_tT2_T3_mT4_P12ihipStream_tbEUlT_E_NS1_11comp_targetILNS1_3genE5ELNS1_11target_archE942ELNS1_3gpuE9ELNS1_3repE0EEENS1_30default_config_static_selectorELNS0_4arch9wavefront6targetE1EEEvT1_
; %bb.0:
	s_endpgm
	.section	.rodata,"a",@progbits
	.p2align	6, 0x0
	.amdhsa_kernel _ZN7rocprim17ROCPRIM_400000_NS6detail17trampoline_kernelINS0_14default_configENS1_25transform_config_selectorINS0_10empty_typeELb1EEEZNS1_14transform_implILb1ES3_S6_PS5_S8_NS0_8identityIS5_EEEE10hipError_tT2_T3_mT4_P12ihipStream_tbEUlT_E_NS1_11comp_targetILNS1_3genE5ELNS1_11target_archE942ELNS1_3gpuE9ELNS1_3repE0EEENS1_30default_config_static_selectorELNS0_4arch9wavefront6targetE1EEEvT1_
		.amdhsa_group_segment_fixed_size 0
		.amdhsa_private_segment_fixed_size 0
		.amdhsa_kernarg_size 40
		.amdhsa_user_sgpr_count 2
		.amdhsa_user_sgpr_dispatch_ptr 0
		.amdhsa_user_sgpr_queue_ptr 0
		.amdhsa_user_sgpr_kernarg_segment_ptr 1
		.amdhsa_user_sgpr_dispatch_id 0
		.amdhsa_user_sgpr_kernarg_preload_length 0
		.amdhsa_user_sgpr_kernarg_preload_offset 0
		.amdhsa_user_sgpr_private_segment_size 0
		.amdhsa_uses_dynamic_stack 0
		.amdhsa_enable_private_segment 0
		.amdhsa_system_sgpr_workgroup_id_x 1
		.amdhsa_system_sgpr_workgroup_id_y 0
		.amdhsa_system_sgpr_workgroup_id_z 0
		.amdhsa_system_sgpr_workgroup_info 0
		.amdhsa_system_vgpr_workitem_id 0
		.amdhsa_next_free_vgpr 1
		.amdhsa_next_free_sgpr 0
		.amdhsa_accum_offset 4
		.amdhsa_reserve_vcc 0
		.amdhsa_float_round_mode_32 0
		.amdhsa_float_round_mode_16_64 0
		.amdhsa_float_denorm_mode_32 3
		.amdhsa_float_denorm_mode_16_64 3
		.amdhsa_dx10_clamp 1
		.amdhsa_ieee_mode 1
		.amdhsa_fp16_overflow 0
		.amdhsa_tg_split 0
		.amdhsa_exception_fp_ieee_invalid_op 0
		.amdhsa_exception_fp_denorm_src 0
		.amdhsa_exception_fp_ieee_div_zero 0
		.amdhsa_exception_fp_ieee_overflow 0
		.amdhsa_exception_fp_ieee_underflow 0
		.amdhsa_exception_fp_ieee_inexact 0
		.amdhsa_exception_int_div_zero 0
	.end_amdhsa_kernel
	.section	.text._ZN7rocprim17ROCPRIM_400000_NS6detail17trampoline_kernelINS0_14default_configENS1_25transform_config_selectorINS0_10empty_typeELb1EEEZNS1_14transform_implILb1ES3_S6_PS5_S8_NS0_8identityIS5_EEEE10hipError_tT2_T3_mT4_P12ihipStream_tbEUlT_E_NS1_11comp_targetILNS1_3genE5ELNS1_11target_archE942ELNS1_3gpuE9ELNS1_3repE0EEENS1_30default_config_static_selectorELNS0_4arch9wavefront6targetE1EEEvT1_,"axG",@progbits,_ZN7rocprim17ROCPRIM_400000_NS6detail17trampoline_kernelINS0_14default_configENS1_25transform_config_selectorINS0_10empty_typeELb1EEEZNS1_14transform_implILb1ES3_S6_PS5_S8_NS0_8identityIS5_EEEE10hipError_tT2_T3_mT4_P12ihipStream_tbEUlT_E_NS1_11comp_targetILNS1_3genE5ELNS1_11target_archE942ELNS1_3gpuE9ELNS1_3repE0EEENS1_30default_config_static_selectorELNS0_4arch9wavefront6targetE1EEEvT1_,comdat
.Lfunc_end783:
	.size	_ZN7rocprim17ROCPRIM_400000_NS6detail17trampoline_kernelINS0_14default_configENS1_25transform_config_selectorINS0_10empty_typeELb1EEEZNS1_14transform_implILb1ES3_S6_PS5_S8_NS0_8identityIS5_EEEE10hipError_tT2_T3_mT4_P12ihipStream_tbEUlT_E_NS1_11comp_targetILNS1_3genE5ELNS1_11target_archE942ELNS1_3gpuE9ELNS1_3repE0EEENS1_30default_config_static_selectorELNS0_4arch9wavefront6targetE1EEEvT1_, .Lfunc_end783-_ZN7rocprim17ROCPRIM_400000_NS6detail17trampoline_kernelINS0_14default_configENS1_25transform_config_selectorINS0_10empty_typeELb1EEEZNS1_14transform_implILb1ES3_S6_PS5_S8_NS0_8identityIS5_EEEE10hipError_tT2_T3_mT4_P12ihipStream_tbEUlT_E_NS1_11comp_targetILNS1_3genE5ELNS1_11target_archE942ELNS1_3gpuE9ELNS1_3repE0EEENS1_30default_config_static_selectorELNS0_4arch9wavefront6targetE1EEEvT1_
                                        ; -- End function
	.section	.AMDGPU.csdata,"",@progbits
; Kernel info:
; codeLenInByte = 4
; NumSgprs: 6
; NumVgprs: 0
; NumAgprs: 0
; TotalNumVgprs: 0
; ScratchSize: 0
; MemoryBound: 0
; FloatMode: 240
; IeeeMode: 1
; LDSByteSize: 0 bytes/workgroup (compile time only)
; SGPRBlocks: 0
; VGPRBlocks: 0
; NumSGPRsForWavesPerEU: 6
; NumVGPRsForWavesPerEU: 1
; AccumOffset: 4
; Occupancy: 8
; WaveLimiterHint : 0
; COMPUTE_PGM_RSRC2:SCRATCH_EN: 0
; COMPUTE_PGM_RSRC2:USER_SGPR: 2
; COMPUTE_PGM_RSRC2:TRAP_HANDLER: 0
; COMPUTE_PGM_RSRC2:TGID_X_EN: 1
; COMPUTE_PGM_RSRC2:TGID_Y_EN: 0
; COMPUTE_PGM_RSRC2:TGID_Z_EN: 0
; COMPUTE_PGM_RSRC2:TIDIG_COMP_CNT: 0
; COMPUTE_PGM_RSRC3_GFX90A:ACCUM_OFFSET: 0
; COMPUTE_PGM_RSRC3_GFX90A:TG_SPLIT: 0
	.section	.text._ZN7rocprim17ROCPRIM_400000_NS6detail17trampoline_kernelINS0_14default_configENS1_25transform_config_selectorINS0_10empty_typeELb1EEEZNS1_14transform_implILb1ES3_S6_PS5_S8_NS0_8identityIS5_EEEE10hipError_tT2_T3_mT4_P12ihipStream_tbEUlT_E_NS1_11comp_targetILNS1_3genE4ELNS1_11target_archE910ELNS1_3gpuE8ELNS1_3repE0EEENS1_30default_config_static_selectorELNS0_4arch9wavefront6targetE1EEEvT1_,"axG",@progbits,_ZN7rocprim17ROCPRIM_400000_NS6detail17trampoline_kernelINS0_14default_configENS1_25transform_config_selectorINS0_10empty_typeELb1EEEZNS1_14transform_implILb1ES3_S6_PS5_S8_NS0_8identityIS5_EEEE10hipError_tT2_T3_mT4_P12ihipStream_tbEUlT_E_NS1_11comp_targetILNS1_3genE4ELNS1_11target_archE910ELNS1_3gpuE8ELNS1_3repE0EEENS1_30default_config_static_selectorELNS0_4arch9wavefront6targetE1EEEvT1_,comdat
	.protected	_ZN7rocprim17ROCPRIM_400000_NS6detail17trampoline_kernelINS0_14default_configENS1_25transform_config_selectorINS0_10empty_typeELb1EEEZNS1_14transform_implILb1ES3_S6_PS5_S8_NS0_8identityIS5_EEEE10hipError_tT2_T3_mT4_P12ihipStream_tbEUlT_E_NS1_11comp_targetILNS1_3genE4ELNS1_11target_archE910ELNS1_3gpuE8ELNS1_3repE0EEENS1_30default_config_static_selectorELNS0_4arch9wavefront6targetE1EEEvT1_ ; -- Begin function _ZN7rocprim17ROCPRIM_400000_NS6detail17trampoline_kernelINS0_14default_configENS1_25transform_config_selectorINS0_10empty_typeELb1EEEZNS1_14transform_implILb1ES3_S6_PS5_S8_NS0_8identityIS5_EEEE10hipError_tT2_T3_mT4_P12ihipStream_tbEUlT_E_NS1_11comp_targetILNS1_3genE4ELNS1_11target_archE910ELNS1_3gpuE8ELNS1_3repE0EEENS1_30default_config_static_selectorELNS0_4arch9wavefront6targetE1EEEvT1_
	.globl	_ZN7rocprim17ROCPRIM_400000_NS6detail17trampoline_kernelINS0_14default_configENS1_25transform_config_selectorINS0_10empty_typeELb1EEEZNS1_14transform_implILb1ES3_S6_PS5_S8_NS0_8identityIS5_EEEE10hipError_tT2_T3_mT4_P12ihipStream_tbEUlT_E_NS1_11comp_targetILNS1_3genE4ELNS1_11target_archE910ELNS1_3gpuE8ELNS1_3repE0EEENS1_30default_config_static_selectorELNS0_4arch9wavefront6targetE1EEEvT1_
	.p2align	8
	.type	_ZN7rocprim17ROCPRIM_400000_NS6detail17trampoline_kernelINS0_14default_configENS1_25transform_config_selectorINS0_10empty_typeELb1EEEZNS1_14transform_implILb1ES3_S6_PS5_S8_NS0_8identityIS5_EEEE10hipError_tT2_T3_mT4_P12ihipStream_tbEUlT_E_NS1_11comp_targetILNS1_3genE4ELNS1_11target_archE910ELNS1_3gpuE8ELNS1_3repE0EEENS1_30default_config_static_selectorELNS0_4arch9wavefront6targetE1EEEvT1_,@function
_ZN7rocprim17ROCPRIM_400000_NS6detail17trampoline_kernelINS0_14default_configENS1_25transform_config_selectorINS0_10empty_typeELb1EEEZNS1_14transform_implILb1ES3_S6_PS5_S8_NS0_8identityIS5_EEEE10hipError_tT2_T3_mT4_P12ihipStream_tbEUlT_E_NS1_11comp_targetILNS1_3genE4ELNS1_11target_archE910ELNS1_3gpuE8ELNS1_3repE0EEENS1_30default_config_static_selectorELNS0_4arch9wavefront6targetE1EEEvT1_: ; @_ZN7rocprim17ROCPRIM_400000_NS6detail17trampoline_kernelINS0_14default_configENS1_25transform_config_selectorINS0_10empty_typeELb1EEEZNS1_14transform_implILb1ES3_S6_PS5_S8_NS0_8identityIS5_EEEE10hipError_tT2_T3_mT4_P12ihipStream_tbEUlT_E_NS1_11comp_targetILNS1_3genE4ELNS1_11target_archE910ELNS1_3gpuE8ELNS1_3repE0EEENS1_30default_config_static_selectorELNS0_4arch9wavefront6targetE1EEEvT1_
; %bb.0:
	.section	.rodata,"a",@progbits
	.p2align	6, 0x0
	.amdhsa_kernel _ZN7rocprim17ROCPRIM_400000_NS6detail17trampoline_kernelINS0_14default_configENS1_25transform_config_selectorINS0_10empty_typeELb1EEEZNS1_14transform_implILb1ES3_S6_PS5_S8_NS0_8identityIS5_EEEE10hipError_tT2_T3_mT4_P12ihipStream_tbEUlT_E_NS1_11comp_targetILNS1_3genE4ELNS1_11target_archE910ELNS1_3gpuE8ELNS1_3repE0EEENS1_30default_config_static_selectorELNS0_4arch9wavefront6targetE1EEEvT1_
		.amdhsa_group_segment_fixed_size 0
		.amdhsa_private_segment_fixed_size 0
		.amdhsa_kernarg_size 40
		.amdhsa_user_sgpr_count 2
		.amdhsa_user_sgpr_dispatch_ptr 0
		.amdhsa_user_sgpr_queue_ptr 0
		.amdhsa_user_sgpr_kernarg_segment_ptr 1
		.amdhsa_user_sgpr_dispatch_id 0
		.amdhsa_user_sgpr_kernarg_preload_length 0
		.amdhsa_user_sgpr_kernarg_preload_offset 0
		.amdhsa_user_sgpr_private_segment_size 0
		.amdhsa_uses_dynamic_stack 0
		.amdhsa_enable_private_segment 0
		.amdhsa_system_sgpr_workgroup_id_x 1
		.amdhsa_system_sgpr_workgroup_id_y 0
		.amdhsa_system_sgpr_workgroup_id_z 0
		.amdhsa_system_sgpr_workgroup_info 0
		.amdhsa_system_vgpr_workitem_id 0
		.amdhsa_next_free_vgpr 1
		.amdhsa_next_free_sgpr 0
		.amdhsa_accum_offset 4
		.amdhsa_reserve_vcc 0
		.amdhsa_float_round_mode_32 0
		.amdhsa_float_round_mode_16_64 0
		.amdhsa_float_denorm_mode_32 3
		.amdhsa_float_denorm_mode_16_64 3
		.amdhsa_dx10_clamp 1
		.amdhsa_ieee_mode 1
		.amdhsa_fp16_overflow 0
		.amdhsa_tg_split 0
		.amdhsa_exception_fp_ieee_invalid_op 0
		.amdhsa_exception_fp_denorm_src 0
		.amdhsa_exception_fp_ieee_div_zero 0
		.amdhsa_exception_fp_ieee_overflow 0
		.amdhsa_exception_fp_ieee_underflow 0
		.amdhsa_exception_fp_ieee_inexact 0
		.amdhsa_exception_int_div_zero 0
	.end_amdhsa_kernel
	.section	.text._ZN7rocprim17ROCPRIM_400000_NS6detail17trampoline_kernelINS0_14default_configENS1_25transform_config_selectorINS0_10empty_typeELb1EEEZNS1_14transform_implILb1ES3_S6_PS5_S8_NS0_8identityIS5_EEEE10hipError_tT2_T3_mT4_P12ihipStream_tbEUlT_E_NS1_11comp_targetILNS1_3genE4ELNS1_11target_archE910ELNS1_3gpuE8ELNS1_3repE0EEENS1_30default_config_static_selectorELNS0_4arch9wavefront6targetE1EEEvT1_,"axG",@progbits,_ZN7rocprim17ROCPRIM_400000_NS6detail17trampoline_kernelINS0_14default_configENS1_25transform_config_selectorINS0_10empty_typeELb1EEEZNS1_14transform_implILb1ES3_S6_PS5_S8_NS0_8identityIS5_EEEE10hipError_tT2_T3_mT4_P12ihipStream_tbEUlT_E_NS1_11comp_targetILNS1_3genE4ELNS1_11target_archE910ELNS1_3gpuE8ELNS1_3repE0EEENS1_30default_config_static_selectorELNS0_4arch9wavefront6targetE1EEEvT1_,comdat
.Lfunc_end784:
	.size	_ZN7rocprim17ROCPRIM_400000_NS6detail17trampoline_kernelINS0_14default_configENS1_25transform_config_selectorINS0_10empty_typeELb1EEEZNS1_14transform_implILb1ES3_S6_PS5_S8_NS0_8identityIS5_EEEE10hipError_tT2_T3_mT4_P12ihipStream_tbEUlT_E_NS1_11comp_targetILNS1_3genE4ELNS1_11target_archE910ELNS1_3gpuE8ELNS1_3repE0EEENS1_30default_config_static_selectorELNS0_4arch9wavefront6targetE1EEEvT1_, .Lfunc_end784-_ZN7rocprim17ROCPRIM_400000_NS6detail17trampoline_kernelINS0_14default_configENS1_25transform_config_selectorINS0_10empty_typeELb1EEEZNS1_14transform_implILb1ES3_S6_PS5_S8_NS0_8identityIS5_EEEE10hipError_tT2_T3_mT4_P12ihipStream_tbEUlT_E_NS1_11comp_targetILNS1_3genE4ELNS1_11target_archE910ELNS1_3gpuE8ELNS1_3repE0EEENS1_30default_config_static_selectorELNS0_4arch9wavefront6targetE1EEEvT1_
                                        ; -- End function
	.section	.AMDGPU.csdata,"",@progbits
; Kernel info:
; codeLenInByte = 0
; NumSgprs: 6
; NumVgprs: 0
; NumAgprs: 0
; TotalNumVgprs: 0
; ScratchSize: 0
; MemoryBound: 0
; FloatMode: 240
; IeeeMode: 1
; LDSByteSize: 0 bytes/workgroup (compile time only)
; SGPRBlocks: 0
; VGPRBlocks: 0
; NumSGPRsForWavesPerEU: 6
; NumVGPRsForWavesPerEU: 1
; AccumOffset: 4
; Occupancy: 8
; WaveLimiterHint : 0
; COMPUTE_PGM_RSRC2:SCRATCH_EN: 0
; COMPUTE_PGM_RSRC2:USER_SGPR: 2
; COMPUTE_PGM_RSRC2:TRAP_HANDLER: 0
; COMPUTE_PGM_RSRC2:TGID_X_EN: 1
; COMPUTE_PGM_RSRC2:TGID_Y_EN: 0
; COMPUTE_PGM_RSRC2:TGID_Z_EN: 0
; COMPUTE_PGM_RSRC2:TIDIG_COMP_CNT: 0
; COMPUTE_PGM_RSRC3_GFX90A:ACCUM_OFFSET: 0
; COMPUTE_PGM_RSRC3_GFX90A:TG_SPLIT: 0
	.section	.text._ZN7rocprim17ROCPRIM_400000_NS6detail17trampoline_kernelINS0_14default_configENS1_25transform_config_selectorINS0_10empty_typeELb1EEEZNS1_14transform_implILb1ES3_S6_PS5_S8_NS0_8identityIS5_EEEE10hipError_tT2_T3_mT4_P12ihipStream_tbEUlT_E_NS1_11comp_targetILNS1_3genE3ELNS1_11target_archE908ELNS1_3gpuE7ELNS1_3repE0EEENS1_30default_config_static_selectorELNS0_4arch9wavefront6targetE1EEEvT1_,"axG",@progbits,_ZN7rocprim17ROCPRIM_400000_NS6detail17trampoline_kernelINS0_14default_configENS1_25transform_config_selectorINS0_10empty_typeELb1EEEZNS1_14transform_implILb1ES3_S6_PS5_S8_NS0_8identityIS5_EEEE10hipError_tT2_T3_mT4_P12ihipStream_tbEUlT_E_NS1_11comp_targetILNS1_3genE3ELNS1_11target_archE908ELNS1_3gpuE7ELNS1_3repE0EEENS1_30default_config_static_selectorELNS0_4arch9wavefront6targetE1EEEvT1_,comdat
	.protected	_ZN7rocprim17ROCPRIM_400000_NS6detail17trampoline_kernelINS0_14default_configENS1_25transform_config_selectorINS0_10empty_typeELb1EEEZNS1_14transform_implILb1ES3_S6_PS5_S8_NS0_8identityIS5_EEEE10hipError_tT2_T3_mT4_P12ihipStream_tbEUlT_E_NS1_11comp_targetILNS1_3genE3ELNS1_11target_archE908ELNS1_3gpuE7ELNS1_3repE0EEENS1_30default_config_static_selectorELNS0_4arch9wavefront6targetE1EEEvT1_ ; -- Begin function _ZN7rocprim17ROCPRIM_400000_NS6detail17trampoline_kernelINS0_14default_configENS1_25transform_config_selectorINS0_10empty_typeELb1EEEZNS1_14transform_implILb1ES3_S6_PS5_S8_NS0_8identityIS5_EEEE10hipError_tT2_T3_mT4_P12ihipStream_tbEUlT_E_NS1_11comp_targetILNS1_3genE3ELNS1_11target_archE908ELNS1_3gpuE7ELNS1_3repE0EEENS1_30default_config_static_selectorELNS0_4arch9wavefront6targetE1EEEvT1_
	.globl	_ZN7rocprim17ROCPRIM_400000_NS6detail17trampoline_kernelINS0_14default_configENS1_25transform_config_selectorINS0_10empty_typeELb1EEEZNS1_14transform_implILb1ES3_S6_PS5_S8_NS0_8identityIS5_EEEE10hipError_tT2_T3_mT4_P12ihipStream_tbEUlT_E_NS1_11comp_targetILNS1_3genE3ELNS1_11target_archE908ELNS1_3gpuE7ELNS1_3repE0EEENS1_30default_config_static_selectorELNS0_4arch9wavefront6targetE1EEEvT1_
	.p2align	8
	.type	_ZN7rocprim17ROCPRIM_400000_NS6detail17trampoline_kernelINS0_14default_configENS1_25transform_config_selectorINS0_10empty_typeELb1EEEZNS1_14transform_implILb1ES3_S6_PS5_S8_NS0_8identityIS5_EEEE10hipError_tT2_T3_mT4_P12ihipStream_tbEUlT_E_NS1_11comp_targetILNS1_3genE3ELNS1_11target_archE908ELNS1_3gpuE7ELNS1_3repE0EEENS1_30default_config_static_selectorELNS0_4arch9wavefront6targetE1EEEvT1_,@function
_ZN7rocprim17ROCPRIM_400000_NS6detail17trampoline_kernelINS0_14default_configENS1_25transform_config_selectorINS0_10empty_typeELb1EEEZNS1_14transform_implILb1ES3_S6_PS5_S8_NS0_8identityIS5_EEEE10hipError_tT2_T3_mT4_P12ihipStream_tbEUlT_E_NS1_11comp_targetILNS1_3genE3ELNS1_11target_archE908ELNS1_3gpuE7ELNS1_3repE0EEENS1_30default_config_static_selectorELNS0_4arch9wavefront6targetE1EEEvT1_: ; @_ZN7rocprim17ROCPRIM_400000_NS6detail17trampoline_kernelINS0_14default_configENS1_25transform_config_selectorINS0_10empty_typeELb1EEEZNS1_14transform_implILb1ES3_S6_PS5_S8_NS0_8identityIS5_EEEE10hipError_tT2_T3_mT4_P12ihipStream_tbEUlT_E_NS1_11comp_targetILNS1_3genE3ELNS1_11target_archE908ELNS1_3gpuE7ELNS1_3repE0EEENS1_30default_config_static_selectorELNS0_4arch9wavefront6targetE1EEEvT1_
; %bb.0:
	.section	.rodata,"a",@progbits
	.p2align	6, 0x0
	.amdhsa_kernel _ZN7rocprim17ROCPRIM_400000_NS6detail17trampoline_kernelINS0_14default_configENS1_25transform_config_selectorINS0_10empty_typeELb1EEEZNS1_14transform_implILb1ES3_S6_PS5_S8_NS0_8identityIS5_EEEE10hipError_tT2_T3_mT4_P12ihipStream_tbEUlT_E_NS1_11comp_targetILNS1_3genE3ELNS1_11target_archE908ELNS1_3gpuE7ELNS1_3repE0EEENS1_30default_config_static_selectorELNS0_4arch9wavefront6targetE1EEEvT1_
		.amdhsa_group_segment_fixed_size 0
		.amdhsa_private_segment_fixed_size 0
		.amdhsa_kernarg_size 40
		.amdhsa_user_sgpr_count 2
		.amdhsa_user_sgpr_dispatch_ptr 0
		.amdhsa_user_sgpr_queue_ptr 0
		.amdhsa_user_sgpr_kernarg_segment_ptr 1
		.amdhsa_user_sgpr_dispatch_id 0
		.amdhsa_user_sgpr_kernarg_preload_length 0
		.amdhsa_user_sgpr_kernarg_preload_offset 0
		.amdhsa_user_sgpr_private_segment_size 0
		.amdhsa_uses_dynamic_stack 0
		.amdhsa_enable_private_segment 0
		.amdhsa_system_sgpr_workgroup_id_x 1
		.amdhsa_system_sgpr_workgroup_id_y 0
		.amdhsa_system_sgpr_workgroup_id_z 0
		.amdhsa_system_sgpr_workgroup_info 0
		.amdhsa_system_vgpr_workitem_id 0
		.amdhsa_next_free_vgpr 1
		.amdhsa_next_free_sgpr 0
		.amdhsa_accum_offset 4
		.amdhsa_reserve_vcc 0
		.amdhsa_float_round_mode_32 0
		.amdhsa_float_round_mode_16_64 0
		.amdhsa_float_denorm_mode_32 3
		.amdhsa_float_denorm_mode_16_64 3
		.amdhsa_dx10_clamp 1
		.amdhsa_ieee_mode 1
		.amdhsa_fp16_overflow 0
		.amdhsa_tg_split 0
		.amdhsa_exception_fp_ieee_invalid_op 0
		.amdhsa_exception_fp_denorm_src 0
		.amdhsa_exception_fp_ieee_div_zero 0
		.amdhsa_exception_fp_ieee_overflow 0
		.amdhsa_exception_fp_ieee_underflow 0
		.amdhsa_exception_fp_ieee_inexact 0
		.amdhsa_exception_int_div_zero 0
	.end_amdhsa_kernel
	.section	.text._ZN7rocprim17ROCPRIM_400000_NS6detail17trampoline_kernelINS0_14default_configENS1_25transform_config_selectorINS0_10empty_typeELb1EEEZNS1_14transform_implILb1ES3_S6_PS5_S8_NS0_8identityIS5_EEEE10hipError_tT2_T3_mT4_P12ihipStream_tbEUlT_E_NS1_11comp_targetILNS1_3genE3ELNS1_11target_archE908ELNS1_3gpuE7ELNS1_3repE0EEENS1_30default_config_static_selectorELNS0_4arch9wavefront6targetE1EEEvT1_,"axG",@progbits,_ZN7rocprim17ROCPRIM_400000_NS6detail17trampoline_kernelINS0_14default_configENS1_25transform_config_selectorINS0_10empty_typeELb1EEEZNS1_14transform_implILb1ES3_S6_PS5_S8_NS0_8identityIS5_EEEE10hipError_tT2_T3_mT4_P12ihipStream_tbEUlT_E_NS1_11comp_targetILNS1_3genE3ELNS1_11target_archE908ELNS1_3gpuE7ELNS1_3repE0EEENS1_30default_config_static_selectorELNS0_4arch9wavefront6targetE1EEEvT1_,comdat
.Lfunc_end785:
	.size	_ZN7rocprim17ROCPRIM_400000_NS6detail17trampoline_kernelINS0_14default_configENS1_25transform_config_selectorINS0_10empty_typeELb1EEEZNS1_14transform_implILb1ES3_S6_PS5_S8_NS0_8identityIS5_EEEE10hipError_tT2_T3_mT4_P12ihipStream_tbEUlT_E_NS1_11comp_targetILNS1_3genE3ELNS1_11target_archE908ELNS1_3gpuE7ELNS1_3repE0EEENS1_30default_config_static_selectorELNS0_4arch9wavefront6targetE1EEEvT1_, .Lfunc_end785-_ZN7rocprim17ROCPRIM_400000_NS6detail17trampoline_kernelINS0_14default_configENS1_25transform_config_selectorINS0_10empty_typeELb1EEEZNS1_14transform_implILb1ES3_S6_PS5_S8_NS0_8identityIS5_EEEE10hipError_tT2_T3_mT4_P12ihipStream_tbEUlT_E_NS1_11comp_targetILNS1_3genE3ELNS1_11target_archE908ELNS1_3gpuE7ELNS1_3repE0EEENS1_30default_config_static_selectorELNS0_4arch9wavefront6targetE1EEEvT1_
                                        ; -- End function
	.section	.AMDGPU.csdata,"",@progbits
; Kernel info:
; codeLenInByte = 0
; NumSgprs: 6
; NumVgprs: 0
; NumAgprs: 0
; TotalNumVgprs: 0
; ScratchSize: 0
; MemoryBound: 0
; FloatMode: 240
; IeeeMode: 1
; LDSByteSize: 0 bytes/workgroup (compile time only)
; SGPRBlocks: 0
; VGPRBlocks: 0
; NumSGPRsForWavesPerEU: 6
; NumVGPRsForWavesPerEU: 1
; AccumOffset: 4
; Occupancy: 8
; WaveLimiterHint : 0
; COMPUTE_PGM_RSRC2:SCRATCH_EN: 0
; COMPUTE_PGM_RSRC2:USER_SGPR: 2
; COMPUTE_PGM_RSRC2:TRAP_HANDLER: 0
; COMPUTE_PGM_RSRC2:TGID_X_EN: 1
; COMPUTE_PGM_RSRC2:TGID_Y_EN: 0
; COMPUTE_PGM_RSRC2:TGID_Z_EN: 0
; COMPUTE_PGM_RSRC2:TIDIG_COMP_CNT: 0
; COMPUTE_PGM_RSRC3_GFX90A:ACCUM_OFFSET: 0
; COMPUTE_PGM_RSRC3_GFX90A:TG_SPLIT: 0
	.section	.text._ZN7rocprim17ROCPRIM_400000_NS6detail17trampoline_kernelINS0_14default_configENS1_25transform_config_selectorINS0_10empty_typeELb1EEEZNS1_14transform_implILb1ES3_S6_PS5_S8_NS0_8identityIS5_EEEE10hipError_tT2_T3_mT4_P12ihipStream_tbEUlT_E_NS1_11comp_targetILNS1_3genE2ELNS1_11target_archE906ELNS1_3gpuE6ELNS1_3repE0EEENS1_30default_config_static_selectorELNS0_4arch9wavefront6targetE1EEEvT1_,"axG",@progbits,_ZN7rocprim17ROCPRIM_400000_NS6detail17trampoline_kernelINS0_14default_configENS1_25transform_config_selectorINS0_10empty_typeELb1EEEZNS1_14transform_implILb1ES3_S6_PS5_S8_NS0_8identityIS5_EEEE10hipError_tT2_T3_mT4_P12ihipStream_tbEUlT_E_NS1_11comp_targetILNS1_3genE2ELNS1_11target_archE906ELNS1_3gpuE6ELNS1_3repE0EEENS1_30default_config_static_selectorELNS0_4arch9wavefront6targetE1EEEvT1_,comdat
	.protected	_ZN7rocprim17ROCPRIM_400000_NS6detail17trampoline_kernelINS0_14default_configENS1_25transform_config_selectorINS0_10empty_typeELb1EEEZNS1_14transform_implILb1ES3_S6_PS5_S8_NS0_8identityIS5_EEEE10hipError_tT2_T3_mT4_P12ihipStream_tbEUlT_E_NS1_11comp_targetILNS1_3genE2ELNS1_11target_archE906ELNS1_3gpuE6ELNS1_3repE0EEENS1_30default_config_static_selectorELNS0_4arch9wavefront6targetE1EEEvT1_ ; -- Begin function _ZN7rocprim17ROCPRIM_400000_NS6detail17trampoline_kernelINS0_14default_configENS1_25transform_config_selectorINS0_10empty_typeELb1EEEZNS1_14transform_implILb1ES3_S6_PS5_S8_NS0_8identityIS5_EEEE10hipError_tT2_T3_mT4_P12ihipStream_tbEUlT_E_NS1_11comp_targetILNS1_3genE2ELNS1_11target_archE906ELNS1_3gpuE6ELNS1_3repE0EEENS1_30default_config_static_selectorELNS0_4arch9wavefront6targetE1EEEvT1_
	.globl	_ZN7rocprim17ROCPRIM_400000_NS6detail17trampoline_kernelINS0_14default_configENS1_25transform_config_selectorINS0_10empty_typeELb1EEEZNS1_14transform_implILb1ES3_S6_PS5_S8_NS0_8identityIS5_EEEE10hipError_tT2_T3_mT4_P12ihipStream_tbEUlT_E_NS1_11comp_targetILNS1_3genE2ELNS1_11target_archE906ELNS1_3gpuE6ELNS1_3repE0EEENS1_30default_config_static_selectorELNS0_4arch9wavefront6targetE1EEEvT1_
	.p2align	8
	.type	_ZN7rocprim17ROCPRIM_400000_NS6detail17trampoline_kernelINS0_14default_configENS1_25transform_config_selectorINS0_10empty_typeELb1EEEZNS1_14transform_implILb1ES3_S6_PS5_S8_NS0_8identityIS5_EEEE10hipError_tT2_T3_mT4_P12ihipStream_tbEUlT_E_NS1_11comp_targetILNS1_3genE2ELNS1_11target_archE906ELNS1_3gpuE6ELNS1_3repE0EEENS1_30default_config_static_selectorELNS0_4arch9wavefront6targetE1EEEvT1_,@function
_ZN7rocprim17ROCPRIM_400000_NS6detail17trampoline_kernelINS0_14default_configENS1_25transform_config_selectorINS0_10empty_typeELb1EEEZNS1_14transform_implILb1ES3_S6_PS5_S8_NS0_8identityIS5_EEEE10hipError_tT2_T3_mT4_P12ihipStream_tbEUlT_E_NS1_11comp_targetILNS1_3genE2ELNS1_11target_archE906ELNS1_3gpuE6ELNS1_3repE0EEENS1_30default_config_static_selectorELNS0_4arch9wavefront6targetE1EEEvT1_: ; @_ZN7rocprim17ROCPRIM_400000_NS6detail17trampoline_kernelINS0_14default_configENS1_25transform_config_selectorINS0_10empty_typeELb1EEEZNS1_14transform_implILb1ES3_S6_PS5_S8_NS0_8identityIS5_EEEE10hipError_tT2_T3_mT4_P12ihipStream_tbEUlT_E_NS1_11comp_targetILNS1_3genE2ELNS1_11target_archE906ELNS1_3gpuE6ELNS1_3repE0EEENS1_30default_config_static_selectorELNS0_4arch9wavefront6targetE1EEEvT1_
; %bb.0:
	.section	.rodata,"a",@progbits
	.p2align	6, 0x0
	.amdhsa_kernel _ZN7rocprim17ROCPRIM_400000_NS6detail17trampoline_kernelINS0_14default_configENS1_25transform_config_selectorINS0_10empty_typeELb1EEEZNS1_14transform_implILb1ES3_S6_PS5_S8_NS0_8identityIS5_EEEE10hipError_tT2_T3_mT4_P12ihipStream_tbEUlT_E_NS1_11comp_targetILNS1_3genE2ELNS1_11target_archE906ELNS1_3gpuE6ELNS1_3repE0EEENS1_30default_config_static_selectorELNS0_4arch9wavefront6targetE1EEEvT1_
		.amdhsa_group_segment_fixed_size 0
		.amdhsa_private_segment_fixed_size 0
		.amdhsa_kernarg_size 40
		.amdhsa_user_sgpr_count 2
		.amdhsa_user_sgpr_dispatch_ptr 0
		.amdhsa_user_sgpr_queue_ptr 0
		.amdhsa_user_sgpr_kernarg_segment_ptr 1
		.amdhsa_user_sgpr_dispatch_id 0
		.amdhsa_user_sgpr_kernarg_preload_length 0
		.amdhsa_user_sgpr_kernarg_preload_offset 0
		.amdhsa_user_sgpr_private_segment_size 0
		.amdhsa_uses_dynamic_stack 0
		.amdhsa_enable_private_segment 0
		.amdhsa_system_sgpr_workgroup_id_x 1
		.amdhsa_system_sgpr_workgroup_id_y 0
		.amdhsa_system_sgpr_workgroup_id_z 0
		.amdhsa_system_sgpr_workgroup_info 0
		.amdhsa_system_vgpr_workitem_id 0
		.amdhsa_next_free_vgpr 1
		.amdhsa_next_free_sgpr 0
		.amdhsa_accum_offset 4
		.amdhsa_reserve_vcc 0
		.amdhsa_float_round_mode_32 0
		.amdhsa_float_round_mode_16_64 0
		.amdhsa_float_denorm_mode_32 3
		.amdhsa_float_denorm_mode_16_64 3
		.amdhsa_dx10_clamp 1
		.amdhsa_ieee_mode 1
		.amdhsa_fp16_overflow 0
		.amdhsa_tg_split 0
		.amdhsa_exception_fp_ieee_invalid_op 0
		.amdhsa_exception_fp_denorm_src 0
		.amdhsa_exception_fp_ieee_div_zero 0
		.amdhsa_exception_fp_ieee_overflow 0
		.amdhsa_exception_fp_ieee_underflow 0
		.amdhsa_exception_fp_ieee_inexact 0
		.amdhsa_exception_int_div_zero 0
	.end_amdhsa_kernel
	.section	.text._ZN7rocprim17ROCPRIM_400000_NS6detail17trampoline_kernelINS0_14default_configENS1_25transform_config_selectorINS0_10empty_typeELb1EEEZNS1_14transform_implILb1ES3_S6_PS5_S8_NS0_8identityIS5_EEEE10hipError_tT2_T3_mT4_P12ihipStream_tbEUlT_E_NS1_11comp_targetILNS1_3genE2ELNS1_11target_archE906ELNS1_3gpuE6ELNS1_3repE0EEENS1_30default_config_static_selectorELNS0_4arch9wavefront6targetE1EEEvT1_,"axG",@progbits,_ZN7rocprim17ROCPRIM_400000_NS6detail17trampoline_kernelINS0_14default_configENS1_25transform_config_selectorINS0_10empty_typeELb1EEEZNS1_14transform_implILb1ES3_S6_PS5_S8_NS0_8identityIS5_EEEE10hipError_tT2_T3_mT4_P12ihipStream_tbEUlT_E_NS1_11comp_targetILNS1_3genE2ELNS1_11target_archE906ELNS1_3gpuE6ELNS1_3repE0EEENS1_30default_config_static_selectorELNS0_4arch9wavefront6targetE1EEEvT1_,comdat
.Lfunc_end786:
	.size	_ZN7rocprim17ROCPRIM_400000_NS6detail17trampoline_kernelINS0_14default_configENS1_25transform_config_selectorINS0_10empty_typeELb1EEEZNS1_14transform_implILb1ES3_S6_PS5_S8_NS0_8identityIS5_EEEE10hipError_tT2_T3_mT4_P12ihipStream_tbEUlT_E_NS1_11comp_targetILNS1_3genE2ELNS1_11target_archE906ELNS1_3gpuE6ELNS1_3repE0EEENS1_30default_config_static_selectorELNS0_4arch9wavefront6targetE1EEEvT1_, .Lfunc_end786-_ZN7rocprim17ROCPRIM_400000_NS6detail17trampoline_kernelINS0_14default_configENS1_25transform_config_selectorINS0_10empty_typeELb1EEEZNS1_14transform_implILb1ES3_S6_PS5_S8_NS0_8identityIS5_EEEE10hipError_tT2_T3_mT4_P12ihipStream_tbEUlT_E_NS1_11comp_targetILNS1_3genE2ELNS1_11target_archE906ELNS1_3gpuE6ELNS1_3repE0EEENS1_30default_config_static_selectorELNS0_4arch9wavefront6targetE1EEEvT1_
                                        ; -- End function
	.section	.AMDGPU.csdata,"",@progbits
; Kernel info:
; codeLenInByte = 0
; NumSgprs: 6
; NumVgprs: 0
; NumAgprs: 0
; TotalNumVgprs: 0
; ScratchSize: 0
; MemoryBound: 0
; FloatMode: 240
; IeeeMode: 1
; LDSByteSize: 0 bytes/workgroup (compile time only)
; SGPRBlocks: 0
; VGPRBlocks: 0
; NumSGPRsForWavesPerEU: 6
; NumVGPRsForWavesPerEU: 1
; AccumOffset: 4
; Occupancy: 8
; WaveLimiterHint : 0
; COMPUTE_PGM_RSRC2:SCRATCH_EN: 0
; COMPUTE_PGM_RSRC2:USER_SGPR: 2
; COMPUTE_PGM_RSRC2:TRAP_HANDLER: 0
; COMPUTE_PGM_RSRC2:TGID_X_EN: 1
; COMPUTE_PGM_RSRC2:TGID_Y_EN: 0
; COMPUTE_PGM_RSRC2:TGID_Z_EN: 0
; COMPUTE_PGM_RSRC2:TIDIG_COMP_CNT: 0
; COMPUTE_PGM_RSRC3_GFX90A:ACCUM_OFFSET: 0
; COMPUTE_PGM_RSRC3_GFX90A:TG_SPLIT: 0
	.section	.text._ZN7rocprim17ROCPRIM_400000_NS6detail17trampoline_kernelINS0_14default_configENS1_25transform_config_selectorINS0_10empty_typeELb1EEEZNS1_14transform_implILb1ES3_S6_PS5_S8_NS0_8identityIS5_EEEE10hipError_tT2_T3_mT4_P12ihipStream_tbEUlT_E_NS1_11comp_targetILNS1_3genE9ELNS1_11target_archE1100ELNS1_3gpuE3ELNS1_3repE0EEENS1_30default_config_static_selectorELNS0_4arch9wavefront6targetE1EEEvT1_,"axG",@progbits,_ZN7rocprim17ROCPRIM_400000_NS6detail17trampoline_kernelINS0_14default_configENS1_25transform_config_selectorINS0_10empty_typeELb1EEEZNS1_14transform_implILb1ES3_S6_PS5_S8_NS0_8identityIS5_EEEE10hipError_tT2_T3_mT4_P12ihipStream_tbEUlT_E_NS1_11comp_targetILNS1_3genE9ELNS1_11target_archE1100ELNS1_3gpuE3ELNS1_3repE0EEENS1_30default_config_static_selectorELNS0_4arch9wavefront6targetE1EEEvT1_,comdat
	.protected	_ZN7rocprim17ROCPRIM_400000_NS6detail17trampoline_kernelINS0_14default_configENS1_25transform_config_selectorINS0_10empty_typeELb1EEEZNS1_14transform_implILb1ES3_S6_PS5_S8_NS0_8identityIS5_EEEE10hipError_tT2_T3_mT4_P12ihipStream_tbEUlT_E_NS1_11comp_targetILNS1_3genE9ELNS1_11target_archE1100ELNS1_3gpuE3ELNS1_3repE0EEENS1_30default_config_static_selectorELNS0_4arch9wavefront6targetE1EEEvT1_ ; -- Begin function _ZN7rocprim17ROCPRIM_400000_NS6detail17trampoline_kernelINS0_14default_configENS1_25transform_config_selectorINS0_10empty_typeELb1EEEZNS1_14transform_implILb1ES3_S6_PS5_S8_NS0_8identityIS5_EEEE10hipError_tT2_T3_mT4_P12ihipStream_tbEUlT_E_NS1_11comp_targetILNS1_3genE9ELNS1_11target_archE1100ELNS1_3gpuE3ELNS1_3repE0EEENS1_30default_config_static_selectorELNS0_4arch9wavefront6targetE1EEEvT1_
	.globl	_ZN7rocprim17ROCPRIM_400000_NS6detail17trampoline_kernelINS0_14default_configENS1_25transform_config_selectorINS0_10empty_typeELb1EEEZNS1_14transform_implILb1ES3_S6_PS5_S8_NS0_8identityIS5_EEEE10hipError_tT2_T3_mT4_P12ihipStream_tbEUlT_E_NS1_11comp_targetILNS1_3genE9ELNS1_11target_archE1100ELNS1_3gpuE3ELNS1_3repE0EEENS1_30default_config_static_selectorELNS0_4arch9wavefront6targetE1EEEvT1_
	.p2align	8
	.type	_ZN7rocprim17ROCPRIM_400000_NS6detail17trampoline_kernelINS0_14default_configENS1_25transform_config_selectorINS0_10empty_typeELb1EEEZNS1_14transform_implILb1ES3_S6_PS5_S8_NS0_8identityIS5_EEEE10hipError_tT2_T3_mT4_P12ihipStream_tbEUlT_E_NS1_11comp_targetILNS1_3genE9ELNS1_11target_archE1100ELNS1_3gpuE3ELNS1_3repE0EEENS1_30default_config_static_selectorELNS0_4arch9wavefront6targetE1EEEvT1_,@function
_ZN7rocprim17ROCPRIM_400000_NS6detail17trampoline_kernelINS0_14default_configENS1_25transform_config_selectorINS0_10empty_typeELb1EEEZNS1_14transform_implILb1ES3_S6_PS5_S8_NS0_8identityIS5_EEEE10hipError_tT2_T3_mT4_P12ihipStream_tbEUlT_E_NS1_11comp_targetILNS1_3genE9ELNS1_11target_archE1100ELNS1_3gpuE3ELNS1_3repE0EEENS1_30default_config_static_selectorELNS0_4arch9wavefront6targetE1EEEvT1_: ; @_ZN7rocprim17ROCPRIM_400000_NS6detail17trampoline_kernelINS0_14default_configENS1_25transform_config_selectorINS0_10empty_typeELb1EEEZNS1_14transform_implILb1ES3_S6_PS5_S8_NS0_8identityIS5_EEEE10hipError_tT2_T3_mT4_P12ihipStream_tbEUlT_E_NS1_11comp_targetILNS1_3genE9ELNS1_11target_archE1100ELNS1_3gpuE3ELNS1_3repE0EEENS1_30default_config_static_selectorELNS0_4arch9wavefront6targetE1EEEvT1_
; %bb.0:
	.section	.rodata,"a",@progbits
	.p2align	6, 0x0
	.amdhsa_kernel _ZN7rocprim17ROCPRIM_400000_NS6detail17trampoline_kernelINS0_14default_configENS1_25transform_config_selectorINS0_10empty_typeELb1EEEZNS1_14transform_implILb1ES3_S6_PS5_S8_NS0_8identityIS5_EEEE10hipError_tT2_T3_mT4_P12ihipStream_tbEUlT_E_NS1_11comp_targetILNS1_3genE9ELNS1_11target_archE1100ELNS1_3gpuE3ELNS1_3repE0EEENS1_30default_config_static_selectorELNS0_4arch9wavefront6targetE1EEEvT1_
		.amdhsa_group_segment_fixed_size 0
		.amdhsa_private_segment_fixed_size 0
		.amdhsa_kernarg_size 40
		.amdhsa_user_sgpr_count 2
		.amdhsa_user_sgpr_dispatch_ptr 0
		.amdhsa_user_sgpr_queue_ptr 0
		.amdhsa_user_sgpr_kernarg_segment_ptr 1
		.amdhsa_user_sgpr_dispatch_id 0
		.amdhsa_user_sgpr_kernarg_preload_length 0
		.amdhsa_user_sgpr_kernarg_preload_offset 0
		.amdhsa_user_sgpr_private_segment_size 0
		.amdhsa_uses_dynamic_stack 0
		.amdhsa_enable_private_segment 0
		.amdhsa_system_sgpr_workgroup_id_x 1
		.amdhsa_system_sgpr_workgroup_id_y 0
		.amdhsa_system_sgpr_workgroup_id_z 0
		.amdhsa_system_sgpr_workgroup_info 0
		.amdhsa_system_vgpr_workitem_id 0
		.amdhsa_next_free_vgpr 1
		.amdhsa_next_free_sgpr 0
		.amdhsa_accum_offset 4
		.amdhsa_reserve_vcc 0
		.amdhsa_float_round_mode_32 0
		.amdhsa_float_round_mode_16_64 0
		.amdhsa_float_denorm_mode_32 3
		.amdhsa_float_denorm_mode_16_64 3
		.amdhsa_dx10_clamp 1
		.amdhsa_ieee_mode 1
		.amdhsa_fp16_overflow 0
		.amdhsa_tg_split 0
		.amdhsa_exception_fp_ieee_invalid_op 0
		.amdhsa_exception_fp_denorm_src 0
		.amdhsa_exception_fp_ieee_div_zero 0
		.amdhsa_exception_fp_ieee_overflow 0
		.amdhsa_exception_fp_ieee_underflow 0
		.amdhsa_exception_fp_ieee_inexact 0
		.amdhsa_exception_int_div_zero 0
	.end_amdhsa_kernel
	.section	.text._ZN7rocprim17ROCPRIM_400000_NS6detail17trampoline_kernelINS0_14default_configENS1_25transform_config_selectorINS0_10empty_typeELb1EEEZNS1_14transform_implILb1ES3_S6_PS5_S8_NS0_8identityIS5_EEEE10hipError_tT2_T3_mT4_P12ihipStream_tbEUlT_E_NS1_11comp_targetILNS1_3genE9ELNS1_11target_archE1100ELNS1_3gpuE3ELNS1_3repE0EEENS1_30default_config_static_selectorELNS0_4arch9wavefront6targetE1EEEvT1_,"axG",@progbits,_ZN7rocprim17ROCPRIM_400000_NS6detail17trampoline_kernelINS0_14default_configENS1_25transform_config_selectorINS0_10empty_typeELb1EEEZNS1_14transform_implILb1ES3_S6_PS5_S8_NS0_8identityIS5_EEEE10hipError_tT2_T3_mT4_P12ihipStream_tbEUlT_E_NS1_11comp_targetILNS1_3genE9ELNS1_11target_archE1100ELNS1_3gpuE3ELNS1_3repE0EEENS1_30default_config_static_selectorELNS0_4arch9wavefront6targetE1EEEvT1_,comdat
.Lfunc_end787:
	.size	_ZN7rocprim17ROCPRIM_400000_NS6detail17trampoline_kernelINS0_14default_configENS1_25transform_config_selectorINS0_10empty_typeELb1EEEZNS1_14transform_implILb1ES3_S6_PS5_S8_NS0_8identityIS5_EEEE10hipError_tT2_T3_mT4_P12ihipStream_tbEUlT_E_NS1_11comp_targetILNS1_3genE9ELNS1_11target_archE1100ELNS1_3gpuE3ELNS1_3repE0EEENS1_30default_config_static_selectorELNS0_4arch9wavefront6targetE1EEEvT1_, .Lfunc_end787-_ZN7rocprim17ROCPRIM_400000_NS6detail17trampoline_kernelINS0_14default_configENS1_25transform_config_selectorINS0_10empty_typeELb1EEEZNS1_14transform_implILb1ES3_S6_PS5_S8_NS0_8identityIS5_EEEE10hipError_tT2_T3_mT4_P12ihipStream_tbEUlT_E_NS1_11comp_targetILNS1_3genE9ELNS1_11target_archE1100ELNS1_3gpuE3ELNS1_3repE0EEENS1_30default_config_static_selectorELNS0_4arch9wavefront6targetE1EEEvT1_
                                        ; -- End function
	.section	.AMDGPU.csdata,"",@progbits
; Kernel info:
; codeLenInByte = 0
; NumSgprs: 6
; NumVgprs: 0
; NumAgprs: 0
; TotalNumVgprs: 0
; ScratchSize: 0
; MemoryBound: 0
; FloatMode: 240
; IeeeMode: 1
; LDSByteSize: 0 bytes/workgroup (compile time only)
; SGPRBlocks: 0
; VGPRBlocks: 0
; NumSGPRsForWavesPerEU: 6
; NumVGPRsForWavesPerEU: 1
; AccumOffset: 4
; Occupancy: 8
; WaveLimiterHint : 0
; COMPUTE_PGM_RSRC2:SCRATCH_EN: 0
; COMPUTE_PGM_RSRC2:USER_SGPR: 2
; COMPUTE_PGM_RSRC2:TRAP_HANDLER: 0
; COMPUTE_PGM_RSRC2:TGID_X_EN: 1
; COMPUTE_PGM_RSRC2:TGID_Y_EN: 0
; COMPUTE_PGM_RSRC2:TGID_Z_EN: 0
; COMPUTE_PGM_RSRC2:TIDIG_COMP_CNT: 0
; COMPUTE_PGM_RSRC3_GFX90A:ACCUM_OFFSET: 0
; COMPUTE_PGM_RSRC3_GFX90A:TG_SPLIT: 0
	.section	.text._ZN7rocprim17ROCPRIM_400000_NS6detail17trampoline_kernelINS0_14default_configENS1_25transform_config_selectorINS0_10empty_typeELb1EEEZNS1_14transform_implILb1ES3_S6_PS5_S8_NS0_8identityIS5_EEEE10hipError_tT2_T3_mT4_P12ihipStream_tbEUlT_E_NS1_11comp_targetILNS1_3genE8ELNS1_11target_archE1030ELNS1_3gpuE2ELNS1_3repE0EEENS1_30default_config_static_selectorELNS0_4arch9wavefront6targetE1EEEvT1_,"axG",@progbits,_ZN7rocprim17ROCPRIM_400000_NS6detail17trampoline_kernelINS0_14default_configENS1_25transform_config_selectorINS0_10empty_typeELb1EEEZNS1_14transform_implILb1ES3_S6_PS5_S8_NS0_8identityIS5_EEEE10hipError_tT2_T3_mT4_P12ihipStream_tbEUlT_E_NS1_11comp_targetILNS1_3genE8ELNS1_11target_archE1030ELNS1_3gpuE2ELNS1_3repE0EEENS1_30default_config_static_selectorELNS0_4arch9wavefront6targetE1EEEvT1_,comdat
	.protected	_ZN7rocprim17ROCPRIM_400000_NS6detail17trampoline_kernelINS0_14default_configENS1_25transform_config_selectorINS0_10empty_typeELb1EEEZNS1_14transform_implILb1ES3_S6_PS5_S8_NS0_8identityIS5_EEEE10hipError_tT2_T3_mT4_P12ihipStream_tbEUlT_E_NS1_11comp_targetILNS1_3genE8ELNS1_11target_archE1030ELNS1_3gpuE2ELNS1_3repE0EEENS1_30default_config_static_selectorELNS0_4arch9wavefront6targetE1EEEvT1_ ; -- Begin function _ZN7rocprim17ROCPRIM_400000_NS6detail17trampoline_kernelINS0_14default_configENS1_25transform_config_selectorINS0_10empty_typeELb1EEEZNS1_14transform_implILb1ES3_S6_PS5_S8_NS0_8identityIS5_EEEE10hipError_tT2_T3_mT4_P12ihipStream_tbEUlT_E_NS1_11comp_targetILNS1_3genE8ELNS1_11target_archE1030ELNS1_3gpuE2ELNS1_3repE0EEENS1_30default_config_static_selectorELNS0_4arch9wavefront6targetE1EEEvT1_
	.globl	_ZN7rocprim17ROCPRIM_400000_NS6detail17trampoline_kernelINS0_14default_configENS1_25transform_config_selectorINS0_10empty_typeELb1EEEZNS1_14transform_implILb1ES3_S6_PS5_S8_NS0_8identityIS5_EEEE10hipError_tT2_T3_mT4_P12ihipStream_tbEUlT_E_NS1_11comp_targetILNS1_3genE8ELNS1_11target_archE1030ELNS1_3gpuE2ELNS1_3repE0EEENS1_30default_config_static_selectorELNS0_4arch9wavefront6targetE1EEEvT1_
	.p2align	8
	.type	_ZN7rocprim17ROCPRIM_400000_NS6detail17trampoline_kernelINS0_14default_configENS1_25transform_config_selectorINS0_10empty_typeELb1EEEZNS1_14transform_implILb1ES3_S6_PS5_S8_NS0_8identityIS5_EEEE10hipError_tT2_T3_mT4_P12ihipStream_tbEUlT_E_NS1_11comp_targetILNS1_3genE8ELNS1_11target_archE1030ELNS1_3gpuE2ELNS1_3repE0EEENS1_30default_config_static_selectorELNS0_4arch9wavefront6targetE1EEEvT1_,@function
_ZN7rocprim17ROCPRIM_400000_NS6detail17trampoline_kernelINS0_14default_configENS1_25transform_config_selectorINS0_10empty_typeELb1EEEZNS1_14transform_implILb1ES3_S6_PS5_S8_NS0_8identityIS5_EEEE10hipError_tT2_T3_mT4_P12ihipStream_tbEUlT_E_NS1_11comp_targetILNS1_3genE8ELNS1_11target_archE1030ELNS1_3gpuE2ELNS1_3repE0EEENS1_30default_config_static_selectorELNS0_4arch9wavefront6targetE1EEEvT1_: ; @_ZN7rocprim17ROCPRIM_400000_NS6detail17trampoline_kernelINS0_14default_configENS1_25transform_config_selectorINS0_10empty_typeELb1EEEZNS1_14transform_implILb1ES3_S6_PS5_S8_NS0_8identityIS5_EEEE10hipError_tT2_T3_mT4_P12ihipStream_tbEUlT_E_NS1_11comp_targetILNS1_3genE8ELNS1_11target_archE1030ELNS1_3gpuE2ELNS1_3repE0EEENS1_30default_config_static_selectorELNS0_4arch9wavefront6targetE1EEEvT1_
; %bb.0:
	.section	.rodata,"a",@progbits
	.p2align	6, 0x0
	.amdhsa_kernel _ZN7rocprim17ROCPRIM_400000_NS6detail17trampoline_kernelINS0_14default_configENS1_25transform_config_selectorINS0_10empty_typeELb1EEEZNS1_14transform_implILb1ES3_S6_PS5_S8_NS0_8identityIS5_EEEE10hipError_tT2_T3_mT4_P12ihipStream_tbEUlT_E_NS1_11comp_targetILNS1_3genE8ELNS1_11target_archE1030ELNS1_3gpuE2ELNS1_3repE0EEENS1_30default_config_static_selectorELNS0_4arch9wavefront6targetE1EEEvT1_
		.amdhsa_group_segment_fixed_size 0
		.amdhsa_private_segment_fixed_size 0
		.amdhsa_kernarg_size 40
		.amdhsa_user_sgpr_count 2
		.amdhsa_user_sgpr_dispatch_ptr 0
		.amdhsa_user_sgpr_queue_ptr 0
		.amdhsa_user_sgpr_kernarg_segment_ptr 1
		.amdhsa_user_sgpr_dispatch_id 0
		.amdhsa_user_sgpr_kernarg_preload_length 0
		.amdhsa_user_sgpr_kernarg_preload_offset 0
		.amdhsa_user_sgpr_private_segment_size 0
		.amdhsa_uses_dynamic_stack 0
		.amdhsa_enable_private_segment 0
		.amdhsa_system_sgpr_workgroup_id_x 1
		.amdhsa_system_sgpr_workgroup_id_y 0
		.amdhsa_system_sgpr_workgroup_id_z 0
		.amdhsa_system_sgpr_workgroup_info 0
		.amdhsa_system_vgpr_workitem_id 0
		.amdhsa_next_free_vgpr 1
		.amdhsa_next_free_sgpr 0
		.amdhsa_accum_offset 4
		.amdhsa_reserve_vcc 0
		.amdhsa_float_round_mode_32 0
		.amdhsa_float_round_mode_16_64 0
		.amdhsa_float_denorm_mode_32 3
		.amdhsa_float_denorm_mode_16_64 3
		.amdhsa_dx10_clamp 1
		.amdhsa_ieee_mode 1
		.amdhsa_fp16_overflow 0
		.amdhsa_tg_split 0
		.amdhsa_exception_fp_ieee_invalid_op 0
		.amdhsa_exception_fp_denorm_src 0
		.amdhsa_exception_fp_ieee_div_zero 0
		.amdhsa_exception_fp_ieee_overflow 0
		.amdhsa_exception_fp_ieee_underflow 0
		.amdhsa_exception_fp_ieee_inexact 0
		.amdhsa_exception_int_div_zero 0
	.end_amdhsa_kernel
	.section	.text._ZN7rocprim17ROCPRIM_400000_NS6detail17trampoline_kernelINS0_14default_configENS1_25transform_config_selectorINS0_10empty_typeELb1EEEZNS1_14transform_implILb1ES3_S6_PS5_S8_NS0_8identityIS5_EEEE10hipError_tT2_T3_mT4_P12ihipStream_tbEUlT_E_NS1_11comp_targetILNS1_3genE8ELNS1_11target_archE1030ELNS1_3gpuE2ELNS1_3repE0EEENS1_30default_config_static_selectorELNS0_4arch9wavefront6targetE1EEEvT1_,"axG",@progbits,_ZN7rocprim17ROCPRIM_400000_NS6detail17trampoline_kernelINS0_14default_configENS1_25transform_config_selectorINS0_10empty_typeELb1EEEZNS1_14transform_implILb1ES3_S6_PS5_S8_NS0_8identityIS5_EEEE10hipError_tT2_T3_mT4_P12ihipStream_tbEUlT_E_NS1_11comp_targetILNS1_3genE8ELNS1_11target_archE1030ELNS1_3gpuE2ELNS1_3repE0EEENS1_30default_config_static_selectorELNS0_4arch9wavefront6targetE1EEEvT1_,comdat
.Lfunc_end788:
	.size	_ZN7rocprim17ROCPRIM_400000_NS6detail17trampoline_kernelINS0_14default_configENS1_25transform_config_selectorINS0_10empty_typeELb1EEEZNS1_14transform_implILb1ES3_S6_PS5_S8_NS0_8identityIS5_EEEE10hipError_tT2_T3_mT4_P12ihipStream_tbEUlT_E_NS1_11comp_targetILNS1_3genE8ELNS1_11target_archE1030ELNS1_3gpuE2ELNS1_3repE0EEENS1_30default_config_static_selectorELNS0_4arch9wavefront6targetE1EEEvT1_, .Lfunc_end788-_ZN7rocprim17ROCPRIM_400000_NS6detail17trampoline_kernelINS0_14default_configENS1_25transform_config_selectorINS0_10empty_typeELb1EEEZNS1_14transform_implILb1ES3_S6_PS5_S8_NS0_8identityIS5_EEEE10hipError_tT2_T3_mT4_P12ihipStream_tbEUlT_E_NS1_11comp_targetILNS1_3genE8ELNS1_11target_archE1030ELNS1_3gpuE2ELNS1_3repE0EEENS1_30default_config_static_selectorELNS0_4arch9wavefront6targetE1EEEvT1_
                                        ; -- End function
	.section	.AMDGPU.csdata,"",@progbits
; Kernel info:
; codeLenInByte = 0
; NumSgprs: 6
; NumVgprs: 0
; NumAgprs: 0
; TotalNumVgprs: 0
; ScratchSize: 0
; MemoryBound: 0
; FloatMode: 240
; IeeeMode: 1
; LDSByteSize: 0 bytes/workgroup (compile time only)
; SGPRBlocks: 0
; VGPRBlocks: 0
; NumSGPRsForWavesPerEU: 6
; NumVGPRsForWavesPerEU: 1
; AccumOffset: 4
; Occupancy: 8
; WaveLimiterHint : 0
; COMPUTE_PGM_RSRC2:SCRATCH_EN: 0
; COMPUTE_PGM_RSRC2:USER_SGPR: 2
; COMPUTE_PGM_RSRC2:TRAP_HANDLER: 0
; COMPUTE_PGM_RSRC2:TGID_X_EN: 1
; COMPUTE_PGM_RSRC2:TGID_Y_EN: 0
; COMPUTE_PGM_RSRC2:TGID_Z_EN: 0
; COMPUTE_PGM_RSRC2:TIDIG_COMP_CNT: 0
; COMPUTE_PGM_RSRC3_GFX90A:ACCUM_OFFSET: 0
; COMPUTE_PGM_RSRC3_GFX90A:TG_SPLIT: 0
	.section	.text._ZN7rocprim17ROCPRIM_400000_NS6detail17trampoline_kernelINS0_14default_configENS1_38merge_sort_block_merge_config_selectorIyNS0_10empty_typeEEEZZNS1_27merge_sort_block_merge_implIS3_N6thrust23THRUST_200600_302600_NS6detail15normal_iteratorINS9_10device_ptrIyEEEEPS5_jNS1_19radix_merge_compareILb0ELb1EyNS0_19identity_decomposerEEEEE10hipError_tT0_T1_T2_jT3_P12ihipStream_tbPNSt15iterator_traitsISK_E10value_typeEPNSQ_ISL_E10value_typeEPSM_NS1_7vsmem_tEENKUlT_SK_SL_SM_E_clIPySE_SF_SF_EESJ_SZ_SK_SL_SM_EUlSZ_E_NS1_11comp_targetILNS1_3genE0ELNS1_11target_archE4294967295ELNS1_3gpuE0ELNS1_3repE0EEENS1_48merge_mergepath_partition_config_static_selectorELNS0_4arch9wavefront6targetE1EEEvSL_,"axG",@progbits,_ZN7rocprim17ROCPRIM_400000_NS6detail17trampoline_kernelINS0_14default_configENS1_38merge_sort_block_merge_config_selectorIyNS0_10empty_typeEEEZZNS1_27merge_sort_block_merge_implIS3_N6thrust23THRUST_200600_302600_NS6detail15normal_iteratorINS9_10device_ptrIyEEEEPS5_jNS1_19radix_merge_compareILb0ELb1EyNS0_19identity_decomposerEEEEE10hipError_tT0_T1_T2_jT3_P12ihipStream_tbPNSt15iterator_traitsISK_E10value_typeEPNSQ_ISL_E10value_typeEPSM_NS1_7vsmem_tEENKUlT_SK_SL_SM_E_clIPySE_SF_SF_EESJ_SZ_SK_SL_SM_EUlSZ_E_NS1_11comp_targetILNS1_3genE0ELNS1_11target_archE4294967295ELNS1_3gpuE0ELNS1_3repE0EEENS1_48merge_mergepath_partition_config_static_selectorELNS0_4arch9wavefront6targetE1EEEvSL_,comdat
	.protected	_ZN7rocprim17ROCPRIM_400000_NS6detail17trampoline_kernelINS0_14default_configENS1_38merge_sort_block_merge_config_selectorIyNS0_10empty_typeEEEZZNS1_27merge_sort_block_merge_implIS3_N6thrust23THRUST_200600_302600_NS6detail15normal_iteratorINS9_10device_ptrIyEEEEPS5_jNS1_19radix_merge_compareILb0ELb1EyNS0_19identity_decomposerEEEEE10hipError_tT0_T1_T2_jT3_P12ihipStream_tbPNSt15iterator_traitsISK_E10value_typeEPNSQ_ISL_E10value_typeEPSM_NS1_7vsmem_tEENKUlT_SK_SL_SM_E_clIPySE_SF_SF_EESJ_SZ_SK_SL_SM_EUlSZ_E_NS1_11comp_targetILNS1_3genE0ELNS1_11target_archE4294967295ELNS1_3gpuE0ELNS1_3repE0EEENS1_48merge_mergepath_partition_config_static_selectorELNS0_4arch9wavefront6targetE1EEEvSL_ ; -- Begin function _ZN7rocprim17ROCPRIM_400000_NS6detail17trampoline_kernelINS0_14default_configENS1_38merge_sort_block_merge_config_selectorIyNS0_10empty_typeEEEZZNS1_27merge_sort_block_merge_implIS3_N6thrust23THRUST_200600_302600_NS6detail15normal_iteratorINS9_10device_ptrIyEEEEPS5_jNS1_19radix_merge_compareILb0ELb1EyNS0_19identity_decomposerEEEEE10hipError_tT0_T1_T2_jT3_P12ihipStream_tbPNSt15iterator_traitsISK_E10value_typeEPNSQ_ISL_E10value_typeEPSM_NS1_7vsmem_tEENKUlT_SK_SL_SM_E_clIPySE_SF_SF_EESJ_SZ_SK_SL_SM_EUlSZ_E_NS1_11comp_targetILNS1_3genE0ELNS1_11target_archE4294967295ELNS1_3gpuE0ELNS1_3repE0EEENS1_48merge_mergepath_partition_config_static_selectorELNS0_4arch9wavefront6targetE1EEEvSL_
	.globl	_ZN7rocprim17ROCPRIM_400000_NS6detail17trampoline_kernelINS0_14default_configENS1_38merge_sort_block_merge_config_selectorIyNS0_10empty_typeEEEZZNS1_27merge_sort_block_merge_implIS3_N6thrust23THRUST_200600_302600_NS6detail15normal_iteratorINS9_10device_ptrIyEEEEPS5_jNS1_19radix_merge_compareILb0ELb1EyNS0_19identity_decomposerEEEEE10hipError_tT0_T1_T2_jT3_P12ihipStream_tbPNSt15iterator_traitsISK_E10value_typeEPNSQ_ISL_E10value_typeEPSM_NS1_7vsmem_tEENKUlT_SK_SL_SM_E_clIPySE_SF_SF_EESJ_SZ_SK_SL_SM_EUlSZ_E_NS1_11comp_targetILNS1_3genE0ELNS1_11target_archE4294967295ELNS1_3gpuE0ELNS1_3repE0EEENS1_48merge_mergepath_partition_config_static_selectorELNS0_4arch9wavefront6targetE1EEEvSL_
	.p2align	8
	.type	_ZN7rocprim17ROCPRIM_400000_NS6detail17trampoline_kernelINS0_14default_configENS1_38merge_sort_block_merge_config_selectorIyNS0_10empty_typeEEEZZNS1_27merge_sort_block_merge_implIS3_N6thrust23THRUST_200600_302600_NS6detail15normal_iteratorINS9_10device_ptrIyEEEEPS5_jNS1_19radix_merge_compareILb0ELb1EyNS0_19identity_decomposerEEEEE10hipError_tT0_T1_T2_jT3_P12ihipStream_tbPNSt15iterator_traitsISK_E10value_typeEPNSQ_ISL_E10value_typeEPSM_NS1_7vsmem_tEENKUlT_SK_SL_SM_E_clIPySE_SF_SF_EESJ_SZ_SK_SL_SM_EUlSZ_E_NS1_11comp_targetILNS1_3genE0ELNS1_11target_archE4294967295ELNS1_3gpuE0ELNS1_3repE0EEENS1_48merge_mergepath_partition_config_static_selectorELNS0_4arch9wavefront6targetE1EEEvSL_,@function
_ZN7rocprim17ROCPRIM_400000_NS6detail17trampoline_kernelINS0_14default_configENS1_38merge_sort_block_merge_config_selectorIyNS0_10empty_typeEEEZZNS1_27merge_sort_block_merge_implIS3_N6thrust23THRUST_200600_302600_NS6detail15normal_iteratorINS9_10device_ptrIyEEEEPS5_jNS1_19radix_merge_compareILb0ELb1EyNS0_19identity_decomposerEEEEE10hipError_tT0_T1_T2_jT3_P12ihipStream_tbPNSt15iterator_traitsISK_E10value_typeEPNSQ_ISL_E10value_typeEPSM_NS1_7vsmem_tEENKUlT_SK_SL_SM_E_clIPySE_SF_SF_EESJ_SZ_SK_SL_SM_EUlSZ_E_NS1_11comp_targetILNS1_3genE0ELNS1_11target_archE4294967295ELNS1_3gpuE0ELNS1_3repE0EEENS1_48merge_mergepath_partition_config_static_selectorELNS0_4arch9wavefront6targetE1EEEvSL_: ; @_ZN7rocprim17ROCPRIM_400000_NS6detail17trampoline_kernelINS0_14default_configENS1_38merge_sort_block_merge_config_selectorIyNS0_10empty_typeEEEZZNS1_27merge_sort_block_merge_implIS3_N6thrust23THRUST_200600_302600_NS6detail15normal_iteratorINS9_10device_ptrIyEEEEPS5_jNS1_19radix_merge_compareILb0ELb1EyNS0_19identity_decomposerEEEEE10hipError_tT0_T1_T2_jT3_P12ihipStream_tbPNSt15iterator_traitsISK_E10value_typeEPNSQ_ISL_E10value_typeEPSM_NS1_7vsmem_tEENKUlT_SK_SL_SM_E_clIPySE_SF_SF_EESJ_SZ_SK_SL_SM_EUlSZ_E_NS1_11comp_targetILNS1_3genE0ELNS1_11target_archE4294967295ELNS1_3gpuE0ELNS1_3repE0EEENS1_48merge_mergepath_partition_config_static_selectorELNS0_4arch9wavefront6targetE1EEEvSL_
; %bb.0:
	.section	.rodata,"a",@progbits
	.p2align	6, 0x0
	.amdhsa_kernel _ZN7rocprim17ROCPRIM_400000_NS6detail17trampoline_kernelINS0_14default_configENS1_38merge_sort_block_merge_config_selectorIyNS0_10empty_typeEEEZZNS1_27merge_sort_block_merge_implIS3_N6thrust23THRUST_200600_302600_NS6detail15normal_iteratorINS9_10device_ptrIyEEEEPS5_jNS1_19radix_merge_compareILb0ELb1EyNS0_19identity_decomposerEEEEE10hipError_tT0_T1_T2_jT3_P12ihipStream_tbPNSt15iterator_traitsISK_E10value_typeEPNSQ_ISL_E10value_typeEPSM_NS1_7vsmem_tEENKUlT_SK_SL_SM_E_clIPySE_SF_SF_EESJ_SZ_SK_SL_SM_EUlSZ_E_NS1_11comp_targetILNS1_3genE0ELNS1_11target_archE4294967295ELNS1_3gpuE0ELNS1_3repE0EEENS1_48merge_mergepath_partition_config_static_selectorELNS0_4arch9wavefront6targetE1EEEvSL_
		.amdhsa_group_segment_fixed_size 0
		.amdhsa_private_segment_fixed_size 0
		.amdhsa_kernarg_size 40
		.amdhsa_user_sgpr_count 2
		.amdhsa_user_sgpr_dispatch_ptr 0
		.amdhsa_user_sgpr_queue_ptr 0
		.amdhsa_user_sgpr_kernarg_segment_ptr 1
		.amdhsa_user_sgpr_dispatch_id 0
		.amdhsa_user_sgpr_kernarg_preload_length 0
		.amdhsa_user_sgpr_kernarg_preload_offset 0
		.amdhsa_user_sgpr_private_segment_size 0
		.amdhsa_uses_dynamic_stack 0
		.amdhsa_enable_private_segment 0
		.amdhsa_system_sgpr_workgroup_id_x 1
		.amdhsa_system_sgpr_workgroup_id_y 0
		.amdhsa_system_sgpr_workgroup_id_z 0
		.amdhsa_system_sgpr_workgroup_info 0
		.amdhsa_system_vgpr_workitem_id 0
		.amdhsa_next_free_vgpr 1
		.amdhsa_next_free_sgpr 0
		.amdhsa_accum_offset 4
		.amdhsa_reserve_vcc 0
		.amdhsa_float_round_mode_32 0
		.amdhsa_float_round_mode_16_64 0
		.amdhsa_float_denorm_mode_32 3
		.amdhsa_float_denorm_mode_16_64 3
		.amdhsa_dx10_clamp 1
		.amdhsa_ieee_mode 1
		.amdhsa_fp16_overflow 0
		.amdhsa_tg_split 0
		.amdhsa_exception_fp_ieee_invalid_op 0
		.amdhsa_exception_fp_denorm_src 0
		.amdhsa_exception_fp_ieee_div_zero 0
		.amdhsa_exception_fp_ieee_overflow 0
		.amdhsa_exception_fp_ieee_underflow 0
		.amdhsa_exception_fp_ieee_inexact 0
		.amdhsa_exception_int_div_zero 0
	.end_amdhsa_kernel
	.section	.text._ZN7rocprim17ROCPRIM_400000_NS6detail17trampoline_kernelINS0_14default_configENS1_38merge_sort_block_merge_config_selectorIyNS0_10empty_typeEEEZZNS1_27merge_sort_block_merge_implIS3_N6thrust23THRUST_200600_302600_NS6detail15normal_iteratorINS9_10device_ptrIyEEEEPS5_jNS1_19radix_merge_compareILb0ELb1EyNS0_19identity_decomposerEEEEE10hipError_tT0_T1_T2_jT3_P12ihipStream_tbPNSt15iterator_traitsISK_E10value_typeEPNSQ_ISL_E10value_typeEPSM_NS1_7vsmem_tEENKUlT_SK_SL_SM_E_clIPySE_SF_SF_EESJ_SZ_SK_SL_SM_EUlSZ_E_NS1_11comp_targetILNS1_3genE0ELNS1_11target_archE4294967295ELNS1_3gpuE0ELNS1_3repE0EEENS1_48merge_mergepath_partition_config_static_selectorELNS0_4arch9wavefront6targetE1EEEvSL_,"axG",@progbits,_ZN7rocprim17ROCPRIM_400000_NS6detail17trampoline_kernelINS0_14default_configENS1_38merge_sort_block_merge_config_selectorIyNS0_10empty_typeEEEZZNS1_27merge_sort_block_merge_implIS3_N6thrust23THRUST_200600_302600_NS6detail15normal_iteratorINS9_10device_ptrIyEEEEPS5_jNS1_19radix_merge_compareILb0ELb1EyNS0_19identity_decomposerEEEEE10hipError_tT0_T1_T2_jT3_P12ihipStream_tbPNSt15iterator_traitsISK_E10value_typeEPNSQ_ISL_E10value_typeEPSM_NS1_7vsmem_tEENKUlT_SK_SL_SM_E_clIPySE_SF_SF_EESJ_SZ_SK_SL_SM_EUlSZ_E_NS1_11comp_targetILNS1_3genE0ELNS1_11target_archE4294967295ELNS1_3gpuE0ELNS1_3repE0EEENS1_48merge_mergepath_partition_config_static_selectorELNS0_4arch9wavefront6targetE1EEEvSL_,comdat
.Lfunc_end789:
	.size	_ZN7rocprim17ROCPRIM_400000_NS6detail17trampoline_kernelINS0_14default_configENS1_38merge_sort_block_merge_config_selectorIyNS0_10empty_typeEEEZZNS1_27merge_sort_block_merge_implIS3_N6thrust23THRUST_200600_302600_NS6detail15normal_iteratorINS9_10device_ptrIyEEEEPS5_jNS1_19radix_merge_compareILb0ELb1EyNS0_19identity_decomposerEEEEE10hipError_tT0_T1_T2_jT3_P12ihipStream_tbPNSt15iterator_traitsISK_E10value_typeEPNSQ_ISL_E10value_typeEPSM_NS1_7vsmem_tEENKUlT_SK_SL_SM_E_clIPySE_SF_SF_EESJ_SZ_SK_SL_SM_EUlSZ_E_NS1_11comp_targetILNS1_3genE0ELNS1_11target_archE4294967295ELNS1_3gpuE0ELNS1_3repE0EEENS1_48merge_mergepath_partition_config_static_selectorELNS0_4arch9wavefront6targetE1EEEvSL_, .Lfunc_end789-_ZN7rocprim17ROCPRIM_400000_NS6detail17trampoline_kernelINS0_14default_configENS1_38merge_sort_block_merge_config_selectorIyNS0_10empty_typeEEEZZNS1_27merge_sort_block_merge_implIS3_N6thrust23THRUST_200600_302600_NS6detail15normal_iteratorINS9_10device_ptrIyEEEEPS5_jNS1_19radix_merge_compareILb0ELb1EyNS0_19identity_decomposerEEEEE10hipError_tT0_T1_T2_jT3_P12ihipStream_tbPNSt15iterator_traitsISK_E10value_typeEPNSQ_ISL_E10value_typeEPSM_NS1_7vsmem_tEENKUlT_SK_SL_SM_E_clIPySE_SF_SF_EESJ_SZ_SK_SL_SM_EUlSZ_E_NS1_11comp_targetILNS1_3genE0ELNS1_11target_archE4294967295ELNS1_3gpuE0ELNS1_3repE0EEENS1_48merge_mergepath_partition_config_static_selectorELNS0_4arch9wavefront6targetE1EEEvSL_
                                        ; -- End function
	.section	.AMDGPU.csdata,"",@progbits
; Kernel info:
; codeLenInByte = 0
; NumSgprs: 6
; NumVgprs: 0
; NumAgprs: 0
; TotalNumVgprs: 0
; ScratchSize: 0
; MemoryBound: 0
; FloatMode: 240
; IeeeMode: 1
; LDSByteSize: 0 bytes/workgroup (compile time only)
; SGPRBlocks: 0
; VGPRBlocks: 0
; NumSGPRsForWavesPerEU: 6
; NumVGPRsForWavesPerEU: 1
; AccumOffset: 4
; Occupancy: 8
; WaveLimiterHint : 0
; COMPUTE_PGM_RSRC2:SCRATCH_EN: 0
; COMPUTE_PGM_RSRC2:USER_SGPR: 2
; COMPUTE_PGM_RSRC2:TRAP_HANDLER: 0
; COMPUTE_PGM_RSRC2:TGID_X_EN: 1
; COMPUTE_PGM_RSRC2:TGID_Y_EN: 0
; COMPUTE_PGM_RSRC2:TGID_Z_EN: 0
; COMPUTE_PGM_RSRC2:TIDIG_COMP_CNT: 0
; COMPUTE_PGM_RSRC3_GFX90A:ACCUM_OFFSET: 0
; COMPUTE_PGM_RSRC3_GFX90A:TG_SPLIT: 0
	.section	.text._ZN7rocprim17ROCPRIM_400000_NS6detail17trampoline_kernelINS0_14default_configENS1_38merge_sort_block_merge_config_selectorIyNS0_10empty_typeEEEZZNS1_27merge_sort_block_merge_implIS3_N6thrust23THRUST_200600_302600_NS6detail15normal_iteratorINS9_10device_ptrIyEEEEPS5_jNS1_19radix_merge_compareILb0ELb1EyNS0_19identity_decomposerEEEEE10hipError_tT0_T1_T2_jT3_P12ihipStream_tbPNSt15iterator_traitsISK_E10value_typeEPNSQ_ISL_E10value_typeEPSM_NS1_7vsmem_tEENKUlT_SK_SL_SM_E_clIPySE_SF_SF_EESJ_SZ_SK_SL_SM_EUlSZ_E_NS1_11comp_targetILNS1_3genE10ELNS1_11target_archE1201ELNS1_3gpuE5ELNS1_3repE0EEENS1_48merge_mergepath_partition_config_static_selectorELNS0_4arch9wavefront6targetE1EEEvSL_,"axG",@progbits,_ZN7rocprim17ROCPRIM_400000_NS6detail17trampoline_kernelINS0_14default_configENS1_38merge_sort_block_merge_config_selectorIyNS0_10empty_typeEEEZZNS1_27merge_sort_block_merge_implIS3_N6thrust23THRUST_200600_302600_NS6detail15normal_iteratorINS9_10device_ptrIyEEEEPS5_jNS1_19radix_merge_compareILb0ELb1EyNS0_19identity_decomposerEEEEE10hipError_tT0_T1_T2_jT3_P12ihipStream_tbPNSt15iterator_traitsISK_E10value_typeEPNSQ_ISL_E10value_typeEPSM_NS1_7vsmem_tEENKUlT_SK_SL_SM_E_clIPySE_SF_SF_EESJ_SZ_SK_SL_SM_EUlSZ_E_NS1_11comp_targetILNS1_3genE10ELNS1_11target_archE1201ELNS1_3gpuE5ELNS1_3repE0EEENS1_48merge_mergepath_partition_config_static_selectorELNS0_4arch9wavefront6targetE1EEEvSL_,comdat
	.protected	_ZN7rocprim17ROCPRIM_400000_NS6detail17trampoline_kernelINS0_14default_configENS1_38merge_sort_block_merge_config_selectorIyNS0_10empty_typeEEEZZNS1_27merge_sort_block_merge_implIS3_N6thrust23THRUST_200600_302600_NS6detail15normal_iteratorINS9_10device_ptrIyEEEEPS5_jNS1_19radix_merge_compareILb0ELb1EyNS0_19identity_decomposerEEEEE10hipError_tT0_T1_T2_jT3_P12ihipStream_tbPNSt15iterator_traitsISK_E10value_typeEPNSQ_ISL_E10value_typeEPSM_NS1_7vsmem_tEENKUlT_SK_SL_SM_E_clIPySE_SF_SF_EESJ_SZ_SK_SL_SM_EUlSZ_E_NS1_11comp_targetILNS1_3genE10ELNS1_11target_archE1201ELNS1_3gpuE5ELNS1_3repE0EEENS1_48merge_mergepath_partition_config_static_selectorELNS0_4arch9wavefront6targetE1EEEvSL_ ; -- Begin function _ZN7rocprim17ROCPRIM_400000_NS6detail17trampoline_kernelINS0_14default_configENS1_38merge_sort_block_merge_config_selectorIyNS0_10empty_typeEEEZZNS1_27merge_sort_block_merge_implIS3_N6thrust23THRUST_200600_302600_NS6detail15normal_iteratorINS9_10device_ptrIyEEEEPS5_jNS1_19radix_merge_compareILb0ELb1EyNS0_19identity_decomposerEEEEE10hipError_tT0_T1_T2_jT3_P12ihipStream_tbPNSt15iterator_traitsISK_E10value_typeEPNSQ_ISL_E10value_typeEPSM_NS1_7vsmem_tEENKUlT_SK_SL_SM_E_clIPySE_SF_SF_EESJ_SZ_SK_SL_SM_EUlSZ_E_NS1_11comp_targetILNS1_3genE10ELNS1_11target_archE1201ELNS1_3gpuE5ELNS1_3repE0EEENS1_48merge_mergepath_partition_config_static_selectorELNS0_4arch9wavefront6targetE1EEEvSL_
	.globl	_ZN7rocprim17ROCPRIM_400000_NS6detail17trampoline_kernelINS0_14default_configENS1_38merge_sort_block_merge_config_selectorIyNS0_10empty_typeEEEZZNS1_27merge_sort_block_merge_implIS3_N6thrust23THRUST_200600_302600_NS6detail15normal_iteratorINS9_10device_ptrIyEEEEPS5_jNS1_19radix_merge_compareILb0ELb1EyNS0_19identity_decomposerEEEEE10hipError_tT0_T1_T2_jT3_P12ihipStream_tbPNSt15iterator_traitsISK_E10value_typeEPNSQ_ISL_E10value_typeEPSM_NS1_7vsmem_tEENKUlT_SK_SL_SM_E_clIPySE_SF_SF_EESJ_SZ_SK_SL_SM_EUlSZ_E_NS1_11comp_targetILNS1_3genE10ELNS1_11target_archE1201ELNS1_3gpuE5ELNS1_3repE0EEENS1_48merge_mergepath_partition_config_static_selectorELNS0_4arch9wavefront6targetE1EEEvSL_
	.p2align	8
	.type	_ZN7rocprim17ROCPRIM_400000_NS6detail17trampoline_kernelINS0_14default_configENS1_38merge_sort_block_merge_config_selectorIyNS0_10empty_typeEEEZZNS1_27merge_sort_block_merge_implIS3_N6thrust23THRUST_200600_302600_NS6detail15normal_iteratorINS9_10device_ptrIyEEEEPS5_jNS1_19radix_merge_compareILb0ELb1EyNS0_19identity_decomposerEEEEE10hipError_tT0_T1_T2_jT3_P12ihipStream_tbPNSt15iterator_traitsISK_E10value_typeEPNSQ_ISL_E10value_typeEPSM_NS1_7vsmem_tEENKUlT_SK_SL_SM_E_clIPySE_SF_SF_EESJ_SZ_SK_SL_SM_EUlSZ_E_NS1_11comp_targetILNS1_3genE10ELNS1_11target_archE1201ELNS1_3gpuE5ELNS1_3repE0EEENS1_48merge_mergepath_partition_config_static_selectorELNS0_4arch9wavefront6targetE1EEEvSL_,@function
_ZN7rocprim17ROCPRIM_400000_NS6detail17trampoline_kernelINS0_14default_configENS1_38merge_sort_block_merge_config_selectorIyNS0_10empty_typeEEEZZNS1_27merge_sort_block_merge_implIS3_N6thrust23THRUST_200600_302600_NS6detail15normal_iteratorINS9_10device_ptrIyEEEEPS5_jNS1_19radix_merge_compareILb0ELb1EyNS0_19identity_decomposerEEEEE10hipError_tT0_T1_T2_jT3_P12ihipStream_tbPNSt15iterator_traitsISK_E10value_typeEPNSQ_ISL_E10value_typeEPSM_NS1_7vsmem_tEENKUlT_SK_SL_SM_E_clIPySE_SF_SF_EESJ_SZ_SK_SL_SM_EUlSZ_E_NS1_11comp_targetILNS1_3genE10ELNS1_11target_archE1201ELNS1_3gpuE5ELNS1_3repE0EEENS1_48merge_mergepath_partition_config_static_selectorELNS0_4arch9wavefront6targetE1EEEvSL_: ; @_ZN7rocprim17ROCPRIM_400000_NS6detail17trampoline_kernelINS0_14default_configENS1_38merge_sort_block_merge_config_selectorIyNS0_10empty_typeEEEZZNS1_27merge_sort_block_merge_implIS3_N6thrust23THRUST_200600_302600_NS6detail15normal_iteratorINS9_10device_ptrIyEEEEPS5_jNS1_19radix_merge_compareILb0ELb1EyNS0_19identity_decomposerEEEEE10hipError_tT0_T1_T2_jT3_P12ihipStream_tbPNSt15iterator_traitsISK_E10value_typeEPNSQ_ISL_E10value_typeEPSM_NS1_7vsmem_tEENKUlT_SK_SL_SM_E_clIPySE_SF_SF_EESJ_SZ_SK_SL_SM_EUlSZ_E_NS1_11comp_targetILNS1_3genE10ELNS1_11target_archE1201ELNS1_3gpuE5ELNS1_3repE0EEENS1_48merge_mergepath_partition_config_static_selectorELNS0_4arch9wavefront6targetE1EEEvSL_
; %bb.0:
	.section	.rodata,"a",@progbits
	.p2align	6, 0x0
	.amdhsa_kernel _ZN7rocprim17ROCPRIM_400000_NS6detail17trampoline_kernelINS0_14default_configENS1_38merge_sort_block_merge_config_selectorIyNS0_10empty_typeEEEZZNS1_27merge_sort_block_merge_implIS3_N6thrust23THRUST_200600_302600_NS6detail15normal_iteratorINS9_10device_ptrIyEEEEPS5_jNS1_19radix_merge_compareILb0ELb1EyNS0_19identity_decomposerEEEEE10hipError_tT0_T1_T2_jT3_P12ihipStream_tbPNSt15iterator_traitsISK_E10value_typeEPNSQ_ISL_E10value_typeEPSM_NS1_7vsmem_tEENKUlT_SK_SL_SM_E_clIPySE_SF_SF_EESJ_SZ_SK_SL_SM_EUlSZ_E_NS1_11comp_targetILNS1_3genE10ELNS1_11target_archE1201ELNS1_3gpuE5ELNS1_3repE0EEENS1_48merge_mergepath_partition_config_static_selectorELNS0_4arch9wavefront6targetE1EEEvSL_
		.amdhsa_group_segment_fixed_size 0
		.amdhsa_private_segment_fixed_size 0
		.amdhsa_kernarg_size 40
		.amdhsa_user_sgpr_count 2
		.amdhsa_user_sgpr_dispatch_ptr 0
		.amdhsa_user_sgpr_queue_ptr 0
		.amdhsa_user_sgpr_kernarg_segment_ptr 1
		.amdhsa_user_sgpr_dispatch_id 0
		.amdhsa_user_sgpr_kernarg_preload_length 0
		.amdhsa_user_sgpr_kernarg_preload_offset 0
		.amdhsa_user_sgpr_private_segment_size 0
		.amdhsa_uses_dynamic_stack 0
		.amdhsa_enable_private_segment 0
		.amdhsa_system_sgpr_workgroup_id_x 1
		.amdhsa_system_sgpr_workgroup_id_y 0
		.amdhsa_system_sgpr_workgroup_id_z 0
		.amdhsa_system_sgpr_workgroup_info 0
		.amdhsa_system_vgpr_workitem_id 0
		.amdhsa_next_free_vgpr 1
		.amdhsa_next_free_sgpr 0
		.amdhsa_accum_offset 4
		.amdhsa_reserve_vcc 0
		.amdhsa_float_round_mode_32 0
		.amdhsa_float_round_mode_16_64 0
		.amdhsa_float_denorm_mode_32 3
		.amdhsa_float_denorm_mode_16_64 3
		.amdhsa_dx10_clamp 1
		.amdhsa_ieee_mode 1
		.amdhsa_fp16_overflow 0
		.amdhsa_tg_split 0
		.amdhsa_exception_fp_ieee_invalid_op 0
		.amdhsa_exception_fp_denorm_src 0
		.amdhsa_exception_fp_ieee_div_zero 0
		.amdhsa_exception_fp_ieee_overflow 0
		.amdhsa_exception_fp_ieee_underflow 0
		.amdhsa_exception_fp_ieee_inexact 0
		.amdhsa_exception_int_div_zero 0
	.end_amdhsa_kernel
	.section	.text._ZN7rocprim17ROCPRIM_400000_NS6detail17trampoline_kernelINS0_14default_configENS1_38merge_sort_block_merge_config_selectorIyNS0_10empty_typeEEEZZNS1_27merge_sort_block_merge_implIS3_N6thrust23THRUST_200600_302600_NS6detail15normal_iteratorINS9_10device_ptrIyEEEEPS5_jNS1_19radix_merge_compareILb0ELb1EyNS0_19identity_decomposerEEEEE10hipError_tT0_T1_T2_jT3_P12ihipStream_tbPNSt15iterator_traitsISK_E10value_typeEPNSQ_ISL_E10value_typeEPSM_NS1_7vsmem_tEENKUlT_SK_SL_SM_E_clIPySE_SF_SF_EESJ_SZ_SK_SL_SM_EUlSZ_E_NS1_11comp_targetILNS1_3genE10ELNS1_11target_archE1201ELNS1_3gpuE5ELNS1_3repE0EEENS1_48merge_mergepath_partition_config_static_selectorELNS0_4arch9wavefront6targetE1EEEvSL_,"axG",@progbits,_ZN7rocprim17ROCPRIM_400000_NS6detail17trampoline_kernelINS0_14default_configENS1_38merge_sort_block_merge_config_selectorIyNS0_10empty_typeEEEZZNS1_27merge_sort_block_merge_implIS3_N6thrust23THRUST_200600_302600_NS6detail15normal_iteratorINS9_10device_ptrIyEEEEPS5_jNS1_19radix_merge_compareILb0ELb1EyNS0_19identity_decomposerEEEEE10hipError_tT0_T1_T2_jT3_P12ihipStream_tbPNSt15iterator_traitsISK_E10value_typeEPNSQ_ISL_E10value_typeEPSM_NS1_7vsmem_tEENKUlT_SK_SL_SM_E_clIPySE_SF_SF_EESJ_SZ_SK_SL_SM_EUlSZ_E_NS1_11comp_targetILNS1_3genE10ELNS1_11target_archE1201ELNS1_3gpuE5ELNS1_3repE0EEENS1_48merge_mergepath_partition_config_static_selectorELNS0_4arch9wavefront6targetE1EEEvSL_,comdat
.Lfunc_end790:
	.size	_ZN7rocprim17ROCPRIM_400000_NS6detail17trampoline_kernelINS0_14default_configENS1_38merge_sort_block_merge_config_selectorIyNS0_10empty_typeEEEZZNS1_27merge_sort_block_merge_implIS3_N6thrust23THRUST_200600_302600_NS6detail15normal_iteratorINS9_10device_ptrIyEEEEPS5_jNS1_19radix_merge_compareILb0ELb1EyNS0_19identity_decomposerEEEEE10hipError_tT0_T1_T2_jT3_P12ihipStream_tbPNSt15iterator_traitsISK_E10value_typeEPNSQ_ISL_E10value_typeEPSM_NS1_7vsmem_tEENKUlT_SK_SL_SM_E_clIPySE_SF_SF_EESJ_SZ_SK_SL_SM_EUlSZ_E_NS1_11comp_targetILNS1_3genE10ELNS1_11target_archE1201ELNS1_3gpuE5ELNS1_3repE0EEENS1_48merge_mergepath_partition_config_static_selectorELNS0_4arch9wavefront6targetE1EEEvSL_, .Lfunc_end790-_ZN7rocprim17ROCPRIM_400000_NS6detail17trampoline_kernelINS0_14default_configENS1_38merge_sort_block_merge_config_selectorIyNS0_10empty_typeEEEZZNS1_27merge_sort_block_merge_implIS3_N6thrust23THRUST_200600_302600_NS6detail15normal_iteratorINS9_10device_ptrIyEEEEPS5_jNS1_19radix_merge_compareILb0ELb1EyNS0_19identity_decomposerEEEEE10hipError_tT0_T1_T2_jT3_P12ihipStream_tbPNSt15iterator_traitsISK_E10value_typeEPNSQ_ISL_E10value_typeEPSM_NS1_7vsmem_tEENKUlT_SK_SL_SM_E_clIPySE_SF_SF_EESJ_SZ_SK_SL_SM_EUlSZ_E_NS1_11comp_targetILNS1_3genE10ELNS1_11target_archE1201ELNS1_3gpuE5ELNS1_3repE0EEENS1_48merge_mergepath_partition_config_static_selectorELNS0_4arch9wavefront6targetE1EEEvSL_
                                        ; -- End function
	.section	.AMDGPU.csdata,"",@progbits
; Kernel info:
; codeLenInByte = 0
; NumSgprs: 6
; NumVgprs: 0
; NumAgprs: 0
; TotalNumVgprs: 0
; ScratchSize: 0
; MemoryBound: 0
; FloatMode: 240
; IeeeMode: 1
; LDSByteSize: 0 bytes/workgroup (compile time only)
; SGPRBlocks: 0
; VGPRBlocks: 0
; NumSGPRsForWavesPerEU: 6
; NumVGPRsForWavesPerEU: 1
; AccumOffset: 4
; Occupancy: 8
; WaveLimiterHint : 0
; COMPUTE_PGM_RSRC2:SCRATCH_EN: 0
; COMPUTE_PGM_RSRC2:USER_SGPR: 2
; COMPUTE_PGM_RSRC2:TRAP_HANDLER: 0
; COMPUTE_PGM_RSRC2:TGID_X_EN: 1
; COMPUTE_PGM_RSRC2:TGID_Y_EN: 0
; COMPUTE_PGM_RSRC2:TGID_Z_EN: 0
; COMPUTE_PGM_RSRC2:TIDIG_COMP_CNT: 0
; COMPUTE_PGM_RSRC3_GFX90A:ACCUM_OFFSET: 0
; COMPUTE_PGM_RSRC3_GFX90A:TG_SPLIT: 0
	.section	.text._ZN7rocprim17ROCPRIM_400000_NS6detail17trampoline_kernelINS0_14default_configENS1_38merge_sort_block_merge_config_selectorIyNS0_10empty_typeEEEZZNS1_27merge_sort_block_merge_implIS3_N6thrust23THRUST_200600_302600_NS6detail15normal_iteratorINS9_10device_ptrIyEEEEPS5_jNS1_19radix_merge_compareILb0ELb1EyNS0_19identity_decomposerEEEEE10hipError_tT0_T1_T2_jT3_P12ihipStream_tbPNSt15iterator_traitsISK_E10value_typeEPNSQ_ISL_E10value_typeEPSM_NS1_7vsmem_tEENKUlT_SK_SL_SM_E_clIPySE_SF_SF_EESJ_SZ_SK_SL_SM_EUlSZ_E_NS1_11comp_targetILNS1_3genE5ELNS1_11target_archE942ELNS1_3gpuE9ELNS1_3repE0EEENS1_48merge_mergepath_partition_config_static_selectorELNS0_4arch9wavefront6targetE1EEEvSL_,"axG",@progbits,_ZN7rocprim17ROCPRIM_400000_NS6detail17trampoline_kernelINS0_14default_configENS1_38merge_sort_block_merge_config_selectorIyNS0_10empty_typeEEEZZNS1_27merge_sort_block_merge_implIS3_N6thrust23THRUST_200600_302600_NS6detail15normal_iteratorINS9_10device_ptrIyEEEEPS5_jNS1_19radix_merge_compareILb0ELb1EyNS0_19identity_decomposerEEEEE10hipError_tT0_T1_T2_jT3_P12ihipStream_tbPNSt15iterator_traitsISK_E10value_typeEPNSQ_ISL_E10value_typeEPSM_NS1_7vsmem_tEENKUlT_SK_SL_SM_E_clIPySE_SF_SF_EESJ_SZ_SK_SL_SM_EUlSZ_E_NS1_11comp_targetILNS1_3genE5ELNS1_11target_archE942ELNS1_3gpuE9ELNS1_3repE0EEENS1_48merge_mergepath_partition_config_static_selectorELNS0_4arch9wavefront6targetE1EEEvSL_,comdat
	.protected	_ZN7rocprim17ROCPRIM_400000_NS6detail17trampoline_kernelINS0_14default_configENS1_38merge_sort_block_merge_config_selectorIyNS0_10empty_typeEEEZZNS1_27merge_sort_block_merge_implIS3_N6thrust23THRUST_200600_302600_NS6detail15normal_iteratorINS9_10device_ptrIyEEEEPS5_jNS1_19radix_merge_compareILb0ELb1EyNS0_19identity_decomposerEEEEE10hipError_tT0_T1_T2_jT3_P12ihipStream_tbPNSt15iterator_traitsISK_E10value_typeEPNSQ_ISL_E10value_typeEPSM_NS1_7vsmem_tEENKUlT_SK_SL_SM_E_clIPySE_SF_SF_EESJ_SZ_SK_SL_SM_EUlSZ_E_NS1_11comp_targetILNS1_3genE5ELNS1_11target_archE942ELNS1_3gpuE9ELNS1_3repE0EEENS1_48merge_mergepath_partition_config_static_selectorELNS0_4arch9wavefront6targetE1EEEvSL_ ; -- Begin function _ZN7rocprim17ROCPRIM_400000_NS6detail17trampoline_kernelINS0_14default_configENS1_38merge_sort_block_merge_config_selectorIyNS0_10empty_typeEEEZZNS1_27merge_sort_block_merge_implIS3_N6thrust23THRUST_200600_302600_NS6detail15normal_iteratorINS9_10device_ptrIyEEEEPS5_jNS1_19radix_merge_compareILb0ELb1EyNS0_19identity_decomposerEEEEE10hipError_tT0_T1_T2_jT3_P12ihipStream_tbPNSt15iterator_traitsISK_E10value_typeEPNSQ_ISL_E10value_typeEPSM_NS1_7vsmem_tEENKUlT_SK_SL_SM_E_clIPySE_SF_SF_EESJ_SZ_SK_SL_SM_EUlSZ_E_NS1_11comp_targetILNS1_3genE5ELNS1_11target_archE942ELNS1_3gpuE9ELNS1_3repE0EEENS1_48merge_mergepath_partition_config_static_selectorELNS0_4arch9wavefront6targetE1EEEvSL_
	.globl	_ZN7rocprim17ROCPRIM_400000_NS6detail17trampoline_kernelINS0_14default_configENS1_38merge_sort_block_merge_config_selectorIyNS0_10empty_typeEEEZZNS1_27merge_sort_block_merge_implIS3_N6thrust23THRUST_200600_302600_NS6detail15normal_iteratorINS9_10device_ptrIyEEEEPS5_jNS1_19radix_merge_compareILb0ELb1EyNS0_19identity_decomposerEEEEE10hipError_tT0_T1_T2_jT3_P12ihipStream_tbPNSt15iterator_traitsISK_E10value_typeEPNSQ_ISL_E10value_typeEPSM_NS1_7vsmem_tEENKUlT_SK_SL_SM_E_clIPySE_SF_SF_EESJ_SZ_SK_SL_SM_EUlSZ_E_NS1_11comp_targetILNS1_3genE5ELNS1_11target_archE942ELNS1_3gpuE9ELNS1_3repE0EEENS1_48merge_mergepath_partition_config_static_selectorELNS0_4arch9wavefront6targetE1EEEvSL_
	.p2align	8
	.type	_ZN7rocprim17ROCPRIM_400000_NS6detail17trampoline_kernelINS0_14default_configENS1_38merge_sort_block_merge_config_selectorIyNS0_10empty_typeEEEZZNS1_27merge_sort_block_merge_implIS3_N6thrust23THRUST_200600_302600_NS6detail15normal_iteratorINS9_10device_ptrIyEEEEPS5_jNS1_19radix_merge_compareILb0ELb1EyNS0_19identity_decomposerEEEEE10hipError_tT0_T1_T2_jT3_P12ihipStream_tbPNSt15iterator_traitsISK_E10value_typeEPNSQ_ISL_E10value_typeEPSM_NS1_7vsmem_tEENKUlT_SK_SL_SM_E_clIPySE_SF_SF_EESJ_SZ_SK_SL_SM_EUlSZ_E_NS1_11comp_targetILNS1_3genE5ELNS1_11target_archE942ELNS1_3gpuE9ELNS1_3repE0EEENS1_48merge_mergepath_partition_config_static_selectorELNS0_4arch9wavefront6targetE1EEEvSL_,@function
_ZN7rocprim17ROCPRIM_400000_NS6detail17trampoline_kernelINS0_14default_configENS1_38merge_sort_block_merge_config_selectorIyNS0_10empty_typeEEEZZNS1_27merge_sort_block_merge_implIS3_N6thrust23THRUST_200600_302600_NS6detail15normal_iteratorINS9_10device_ptrIyEEEEPS5_jNS1_19radix_merge_compareILb0ELb1EyNS0_19identity_decomposerEEEEE10hipError_tT0_T1_T2_jT3_P12ihipStream_tbPNSt15iterator_traitsISK_E10value_typeEPNSQ_ISL_E10value_typeEPSM_NS1_7vsmem_tEENKUlT_SK_SL_SM_E_clIPySE_SF_SF_EESJ_SZ_SK_SL_SM_EUlSZ_E_NS1_11comp_targetILNS1_3genE5ELNS1_11target_archE942ELNS1_3gpuE9ELNS1_3repE0EEENS1_48merge_mergepath_partition_config_static_selectorELNS0_4arch9wavefront6targetE1EEEvSL_: ; @_ZN7rocprim17ROCPRIM_400000_NS6detail17trampoline_kernelINS0_14default_configENS1_38merge_sort_block_merge_config_selectorIyNS0_10empty_typeEEEZZNS1_27merge_sort_block_merge_implIS3_N6thrust23THRUST_200600_302600_NS6detail15normal_iteratorINS9_10device_ptrIyEEEEPS5_jNS1_19radix_merge_compareILb0ELb1EyNS0_19identity_decomposerEEEEE10hipError_tT0_T1_T2_jT3_P12ihipStream_tbPNSt15iterator_traitsISK_E10value_typeEPNSQ_ISL_E10value_typeEPSM_NS1_7vsmem_tEENKUlT_SK_SL_SM_E_clIPySE_SF_SF_EESJ_SZ_SK_SL_SM_EUlSZ_E_NS1_11comp_targetILNS1_3genE5ELNS1_11target_archE942ELNS1_3gpuE9ELNS1_3repE0EEENS1_48merge_mergepath_partition_config_static_selectorELNS0_4arch9wavefront6targetE1EEEvSL_
; %bb.0:
	s_load_dword s3, s[0:1], 0x0
	v_lshl_or_b32 v0, s2, 7, v0
	s_waitcnt lgkmcnt(0)
	v_cmp_gt_u32_e32 vcc, s3, v0
	s_and_saveexec_b64 s[2:3], vcc
	s_cbranch_execz .LBB791_6
; %bb.1:
	s_load_dwordx2 s[2:3], s[0:1], 0x4
	s_load_dwordx4 s[4:7], s[0:1], 0x18
	s_waitcnt lgkmcnt(0)
	s_lshr_b32 s8, s2, 9
	s_and_b32 s8, s8, 0x7ffffe
	s_add_i32 s9, s8, -1
	s_sub_i32 s8, 0, s8
	v_and_b32_e32 v1, s8, v0
	v_lshlrev_b32_e32 v1, 10, v1
	v_min_u32_e32 v2, s3, v1
	v_add_u32_e32 v1, s2, v1
	v_min_u32_e32 v4, s3, v1
	v_add_u32_e32 v1, s2, v4
	v_and_b32_e32 v3, s9, v0
	v_min_u32_e32 v1, s3, v1
	v_sub_u32_e32 v5, v1, v2
	v_lshlrev_b32_e32 v3, 10, v3
	v_min_u32_e32 v10, v5, v3
	v_sub_u32_e32 v3, v4, v2
	v_sub_u32_e32 v1, v1, v4
	v_sub_u32_e64 v1, v10, v1 clamp
	v_min_u32_e32 v11, v10, v3
	v_cmp_lt_u32_e32 vcc, v1, v11
	s_and_saveexec_b64 s[2:3], vcc
	s_cbranch_execz .LBB791_5
; %bb.2:
	s_load_dwordx2 s[0:1], s[0:1], 0x10
	v_mov_b32_e32 v5, 0
	v_mov_b32_e32 v3, v5
	s_waitcnt lgkmcnt(0)
	v_lshl_add_u64 v[6:7], v[2:3], 3, s[0:1]
	v_lshl_add_u64 v[8:9], v[4:5], 3, s[0:1]
	s_mov_b64 s[0:1], 0
.LBB791_3:                              ; =>This Inner Loop Header: Depth=1
	v_add_u32_e32 v3, v11, v1
	v_lshrrev_b32_e32 v4, 1, v3
	v_mov_b32_e32 v13, v5
	v_xad_u32 v12, v4, -1, v10
	v_lshl_add_u64 v[14:15], v[4:5], 3, v[6:7]
	v_lshl_add_u64 v[12:13], v[12:13], 3, v[8:9]
	global_load_dwordx2 v[14:15], v[14:15], off
	v_add_u32_e32 v3, 1, v4
	global_load_dwordx2 v[12:13], v[12:13], off
	s_waitcnt vmcnt(1)
	v_and_b32_e32 v15, s5, v15
	v_and_b32_e32 v14, s4, v14
	s_waitcnt vmcnt(0)
	v_and_b32_e32 v13, s5, v13
	v_and_b32_e32 v12, s4, v12
	v_cmp_gt_u64_e32 vcc, v[14:15], v[12:13]
	s_nop 1
	v_cndmask_b32_e32 v11, v11, v4, vcc
	v_cndmask_b32_e32 v1, v3, v1, vcc
	v_cmp_ge_u32_e32 vcc, v1, v11
	s_or_b64 s[0:1], vcc, s[0:1]
	s_andn2_b64 exec, exec, s[0:1]
	s_cbranch_execnz .LBB791_3
; %bb.4:
	s_or_b64 exec, exec, s[0:1]
.LBB791_5:
	s_or_b64 exec, exec, s[2:3]
	v_mov_b32_e32 v4, s6
	v_mov_b32_e32 v5, s7
	v_add_u32_e32 v2, v1, v2
	v_mov_b32_e32 v1, 0
	v_lshl_add_u64 v[0:1], v[0:1], 2, v[4:5]
	global_store_dword v[0:1], v2, off
.LBB791_6:
	s_endpgm
	.section	.rodata,"a",@progbits
	.p2align	6, 0x0
	.amdhsa_kernel _ZN7rocprim17ROCPRIM_400000_NS6detail17trampoline_kernelINS0_14default_configENS1_38merge_sort_block_merge_config_selectorIyNS0_10empty_typeEEEZZNS1_27merge_sort_block_merge_implIS3_N6thrust23THRUST_200600_302600_NS6detail15normal_iteratorINS9_10device_ptrIyEEEEPS5_jNS1_19radix_merge_compareILb0ELb1EyNS0_19identity_decomposerEEEEE10hipError_tT0_T1_T2_jT3_P12ihipStream_tbPNSt15iterator_traitsISK_E10value_typeEPNSQ_ISL_E10value_typeEPSM_NS1_7vsmem_tEENKUlT_SK_SL_SM_E_clIPySE_SF_SF_EESJ_SZ_SK_SL_SM_EUlSZ_E_NS1_11comp_targetILNS1_3genE5ELNS1_11target_archE942ELNS1_3gpuE9ELNS1_3repE0EEENS1_48merge_mergepath_partition_config_static_selectorELNS0_4arch9wavefront6targetE1EEEvSL_
		.amdhsa_group_segment_fixed_size 0
		.amdhsa_private_segment_fixed_size 0
		.amdhsa_kernarg_size 40
		.amdhsa_user_sgpr_count 2
		.amdhsa_user_sgpr_dispatch_ptr 0
		.amdhsa_user_sgpr_queue_ptr 0
		.amdhsa_user_sgpr_kernarg_segment_ptr 1
		.amdhsa_user_sgpr_dispatch_id 0
		.amdhsa_user_sgpr_kernarg_preload_length 0
		.amdhsa_user_sgpr_kernarg_preload_offset 0
		.amdhsa_user_sgpr_private_segment_size 0
		.amdhsa_uses_dynamic_stack 0
		.amdhsa_enable_private_segment 0
		.amdhsa_system_sgpr_workgroup_id_x 1
		.amdhsa_system_sgpr_workgroup_id_y 0
		.amdhsa_system_sgpr_workgroup_id_z 0
		.amdhsa_system_sgpr_workgroup_info 0
		.amdhsa_system_vgpr_workitem_id 0
		.amdhsa_next_free_vgpr 16
		.amdhsa_next_free_sgpr 10
		.amdhsa_accum_offset 16
		.amdhsa_reserve_vcc 1
		.amdhsa_float_round_mode_32 0
		.amdhsa_float_round_mode_16_64 0
		.amdhsa_float_denorm_mode_32 3
		.amdhsa_float_denorm_mode_16_64 3
		.amdhsa_dx10_clamp 1
		.amdhsa_ieee_mode 1
		.amdhsa_fp16_overflow 0
		.amdhsa_tg_split 0
		.amdhsa_exception_fp_ieee_invalid_op 0
		.amdhsa_exception_fp_denorm_src 0
		.amdhsa_exception_fp_ieee_div_zero 0
		.amdhsa_exception_fp_ieee_overflow 0
		.amdhsa_exception_fp_ieee_underflow 0
		.amdhsa_exception_fp_ieee_inexact 0
		.amdhsa_exception_int_div_zero 0
	.end_amdhsa_kernel
	.section	.text._ZN7rocprim17ROCPRIM_400000_NS6detail17trampoline_kernelINS0_14default_configENS1_38merge_sort_block_merge_config_selectorIyNS0_10empty_typeEEEZZNS1_27merge_sort_block_merge_implIS3_N6thrust23THRUST_200600_302600_NS6detail15normal_iteratorINS9_10device_ptrIyEEEEPS5_jNS1_19radix_merge_compareILb0ELb1EyNS0_19identity_decomposerEEEEE10hipError_tT0_T1_T2_jT3_P12ihipStream_tbPNSt15iterator_traitsISK_E10value_typeEPNSQ_ISL_E10value_typeEPSM_NS1_7vsmem_tEENKUlT_SK_SL_SM_E_clIPySE_SF_SF_EESJ_SZ_SK_SL_SM_EUlSZ_E_NS1_11comp_targetILNS1_3genE5ELNS1_11target_archE942ELNS1_3gpuE9ELNS1_3repE0EEENS1_48merge_mergepath_partition_config_static_selectorELNS0_4arch9wavefront6targetE1EEEvSL_,"axG",@progbits,_ZN7rocprim17ROCPRIM_400000_NS6detail17trampoline_kernelINS0_14default_configENS1_38merge_sort_block_merge_config_selectorIyNS0_10empty_typeEEEZZNS1_27merge_sort_block_merge_implIS3_N6thrust23THRUST_200600_302600_NS6detail15normal_iteratorINS9_10device_ptrIyEEEEPS5_jNS1_19radix_merge_compareILb0ELb1EyNS0_19identity_decomposerEEEEE10hipError_tT0_T1_T2_jT3_P12ihipStream_tbPNSt15iterator_traitsISK_E10value_typeEPNSQ_ISL_E10value_typeEPSM_NS1_7vsmem_tEENKUlT_SK_SL_SM_E_clIPySE_SF_SF_EESJ_SZ_SK_SL_SM_EUlSZ_E_NS1_11comp_targetILNS1_3genE5ELNS1_11target_archE942ELNS1_3gpuE9ELNS1_3repE0EEENS1_48merge_mergepath_partition_config_static_selectorELNS0_4arch9wavefront6targetE1EEEvSL_,comdat
.Lfunc_end791:
	.size	_ZN7rocprim17ROCPRIM_400000_NS6detail17trampoline_kernelINS0_14default_configENS1_38merge_sort_block_merge_config_selectorIyNS0_10empty_typeEEEZZNS1_27merge_sort_block_merge_implIS3_N6thrust23THRUST_200600_302600_NS6detail15normal_iteratorINS9_10device_ptrIyEEEEPS5_jNS1_19radix_merge_compareILb0ELb1EyNS0_19identity_decomposerEEEEE10hipError_tT0_T1_T2_jT3_P12ihipStream_tbPNSt15iterator_traitsISK_E10value_typeEPNSQ_ISL_E10value_typeEPSM_NS1_7vsmem_tEENKUlT_SK_SL_SM_E_clIPySE_SF_SF_EESJ_SZ_SK_SL_SM_EUlSZ_E_NS1_11comp_targetILNS1_3genE5ELNS1_11target_archE942ELNS1_3gpuE9ELNS1_3repE0EEENS1_48merge_mergepath_partition_config_static_selectorELNS0_4arch9wavefront6targetE1EEEvSL_, .Lfunc_end791-_ZN7rocprim17ROCPRIM_400000_NS6detail17trampoline_kernelINS0_14default_configENS1_38merge_sort_block_merge_config_selectorIyNS0_10empty_typeEEEZZNS1_27merge_sort_block_merge_implIS3_N6thrust23THRUST_200600_302600_NS6detail15normal_iteratorINS9_10device_ptrIyEEEEPS5_jNS1_19radix_merge_compareILb0ELb1EyNS0_19identity_decomposerEEEEE10hipError_tT0_T1_T2_jT3_P12ihipStream_tbPNSt15iterator_traitsISK_E10value_typeEPNSQ_ISL_E10value_typeEPSM_NS1_7vsmem_tEENKUlT_SK_SL_SM_E_clIPySE_SF_SF_EESJ_SZ_SK_SL_SM_EUlSZ_E_NS1_11comp_targetILNS1_3genE5ELNS1_11target_archE942ELNS1_3gpuE9ELNS1_3repE0EEENS1_48merge_mergepath_partition_config_static_selectorELNS0_4arch9wavefront6targetE1EEEvSL_
                                        ; -- End function
	.section	.AMDGPU.csdata,"",@progbits
; Kernel info:
; codeLenInByte = 344
; NumSgprs: 16
; NumVgprs: 16
; NumAgprs: 0
; TotalNumVgprs: 16
; ScratchSize: 0
; MemoryBound: 0
; FloatMode: 240
; IeeeMode: 1
; LDSByteSize: 0 bytes/workgroup (compile time only)
; SGPRBlocks: 1
; VGPRBlocks: 1
; NumSGPRsForWavesPerEU: 16
; NumVGPRsForWavesPerEU: 16
; AccumOffset: 16
; Occupancy: 8
; WaveLimiterHint : 0
; COMPUTE_PGM_RSRC2:SCRATCH_EN: 0
; COMPUTE_PGM_RSRC2:USER_SGPR: 2
; COMPUTE_PGM_RSRC2:TRAP_HANDLER: 0
; COMPUTE_PGM_RSRC2:TGID_X_EN: 1
; COMPUTE_PGM_RSRC2:TGID_Y_EN: 0
; COMPUTE_PGM_RSRC2:TGID_Z_EN: 0
; COMPUTE_PGM_RSRC2:TIDIG_COMP_CNT: 0
; COMPUTE_PGM_RSRC3_GFX90A:ACCUM_OFFSET: 3
; COMPUTE_PGM_RSRC3_GFX90A:TG_SPLIT: 0
	.section	.text._ZN7rocprim17ROCPRIM_400000_NS6detail17trampoline_kernelINS0_14default_configENS1_38merge_sort_block_merge_config_selectorIyNS0_10empty_typeEEEZZNS1_27merge_sort_block_merge_implIS3_N6thrust23THRUST_200600_302600_NS6detail15normal_iteratorINS9_10device_ptrIyEEEEPS5_jNS1_19radix_merge_compareILb0ELb1EyNS0_19identity_decomposerEEEEE10hipError_tT0_T1_T2_jT3_P12ihipStream_tbPNSt15iterator_traitsISK_E10value_typeEPNSQ_ISL_E10value_typeEPSM_NS1_7vsmem_tEENKUlT_SK_SL_SM_E_clIPySE_SF_SF_EESJ_SZ_SK_SL_SM_EUlSZ_E_NS1_11comp_targetILNS1_3genE4ELNS1_11target_archE910ELNS1_3gpuE8ELNS1_3repE0EEENS1_48merge_mergepath_partition_config_static_selectorELNS0_4arch9wavefront6targetE1EEEvSL_,"axG",@progbits,_ZN7rocprim17ROCPRIM_400000_NS6detail17trampoline_kernelINS0_14default_configENS1_38merge_sort_block_merge_config_selectorIyNS0_10empty_typeEEEZZNS1_27merge_sort_block_merge_implIS3_N6thrust23THRUST_200600_302600_NS6detail15normal_iteratorINS9_10device_ptrIyEEEEPS5_jNS1_19radix_merge_compareILb0ELb1EyNS0_19identity_decomposerEEEEE10hipError_tT0_T1_T2_jT3_P12ihipStream_tbPNSt15iterator_traitsISK_E10value_typeEPNSQ_ISL_E10value_typeEPSM_NS1_7vsmem_tEENKUlT_SK_SL_SM_E_clIPySE_SF_SF_EESJ_SZ_SK_SL_SM_EUlSZ_E_NS1_11comp_targetILNS1_3genE4ELNS1_11target_archE910ELNS1_3gpuE8ELNS1_3repE0EEENS1_48merge_mergepath_partition_config_static_selectorELNS0_4arch9wavefront6targetE1EEEvSL_,comdat
	.protected	_ZN7rocprim17ROCPRIM_400000_NS6detail17trampoline_kernelINS0_14default_configENS1_38merge_sort_block_merge_config_selectorIyNS0_10empty_typeEEEZZNS1_27merge_sort_block_merge_implIS3_N6thrust23THRUST_200600_302600_NS6detail15normal_iteratorINS9_10device_ptrIyEEEEPS5_jNS1_19radix_merge_compareILb0ELb1EyNS0_19identity_decomposerEEEEE10hipError_tT0_T1_T2_jT3_P12ihipStream_tbPNSt15iterator_traitsISK_E10value_typeEPNSQ_ISL_E10value_typeEPSM_NS1_7vsmem_tEENKUlT_SK_SL_SM_E_clIPySE_SF_SF_EESJ_SZ_SK_SL_SM_EUlSZ_E_NS1_11comp_targetILNS1_3genE4ELNS1_11target_archE910ELNS1_3gpuE8ELNS1_3repE0EEENS1_48merge_mergepath_partition_config_static_selectorELNS0_4arch9wavefront6targetE1EEEvSL_ ; -- Begin function _ZN7rocprim17ROCPRIM_400000_NS6detail17trampoline_kernelINS0_14default_configENS1_38merge_sort_block_merge_config_selectorIyNS0_10empty_typeEEEZZNS1_27merge_sort_block_merge_implIS3_N6thrust23THRUST_200600_302600_NS6detail15normal_iteratorINS9_10device_ptrIyEEEEPS5_jNS1_19radix_merge_compareILb0ELb1EyNS0_19identity_decomposerEEEEE10hipError_tT0_T1_T2_jT3_P12ihipStream_tbPNSt15iterator_traitsISK_E10value_typeEPNSQ_ISL_E10value_typeEPSM_NS1_7vsmem_tEENKUlT_SK_SL_SM_E_clIPySE_SF_SF_EESJ_SZ_SK_SL_SM_EUlSZ_E_NS1_11comp_targetILNS1_3genE4ELNS1_11target_archE910ELNS1_3gpuE8ELNS1_3repE0EEENS1_48merge_mergepath_partition_config_static_selectorELNS0_4arch9wavefront6targetE1EEEvSL_
	.globl	_ZN7rocprim17ROCPRIM_400000_NS6detail17trampoline_kernelINS0_14default_configENS1_38merge_sort_block_merge_config_selectorIyNS0_10empty_typeEEEZZNS1_27merge_sort_block_merge_implIS3_N6thrust23THRUST_200600_302600_NS6detail15normal_iteratorINS9_10device_ptrIyEEEEPS5_jNS1_19radix_merge_compareILb0ELb1EyNS0_19identity_decomposerEEEEE10hipError_tT0_T1_T2_jT3_P12ihipStream_tbPNSt15iterator_traitsISK_E10value_typeEPNSQ_ISL_E10value_typeEPSM_NS1_7vsmem_tEENKUlT_SK_SL_SM_E_clIPySE_SF_SF_EESJ_SZ_SK_SL_SM_EUlSZ_E_NS1_11comp_targetILNS1_3genE4ELNS1_11target_archE910ELNS1_3gpuE8ELNS1_3repE0EEENS1_48merge_mergepath_partition_config_static_selectorELNS0_4arch9wavefront6targetE1EEEvSL_
	.p2align	8
	.type	_ZN7rocprim17ROCPRIM_400000_NS6detail17trampoline_kernelINS0_14default_configENS1_38merge_sort_block_merge_config_selectorIyNS0_10empty_typeEEEZZNS1_27merge_sort_block_merge_implIS3_N6thrust23THRUST_200600_302600_NS6detail15normal_iteratorINS9_10device_ptrIyEEEEPS5_jNS1_19radix_merge_compareILb0ELb1EyNS0_19identity_decomposerEEEEE10hipError_tT0_T1_T2_jT3_P12ihipStream_tbPNSt15iterator_traitsISK_E10value_typeEPNSQ_ISL_E10value_typeEPSM_NS1_7vsmem_tEENKUlT_SK_SL_SM_E_clIPySE_SF_SF_EESJ_SZ_SK_SL_SM_EUlSZ_E_NS1_11comp_targetILNS1_3genE4ELNS1_11target_archE910ELNS1_3gpuE8ELNS1_3repE0EEENS1_48merge_mergepath_partition_config_static_selectorELNS0_4arch9wavefront6targetE1EEEvSL_,@function
_ZN7rocprim17ROCPRIM_400000_NS6detail17trampoline_kernelINS0_14default_configENS1_38merge_sort_block_merge_config_selectorIyNS0_10empty_typeEEEZZNS1_27merge_sort_block_merge_implIS3_N6thrust23THRUST_200600_302600_NS6detail15normal_iteratorINS9_10device_ptrIyEEEEPS5_jNS1_19radix_merge_compareILb0ELb1EyNS0_19identity_decomposerEEEEE10hipError_tT0_T1_T2_jT3_P12ihipStream_tbPNSt15iterator_traitsISK_E10value_typeEPNSQ_ISL_E10value_typeEPSM_NS1_7vsmem_tEENKUlT_SK_SL_SM_E_clIPySE_SF_SF_EESJ_SZ_SK_SL_SM_EUlSZ_E_NS1_11comp_targetILNS1_3genE4ELNS1_11target_archE910ELNS1_3gpuE8ELNS1_3repE0EEENS1_48merge_mergepath_partition_config_static_selectorELNS0_4arch9wavefront6targetE1EEEvSL_: ; @_ZN7rocprim17ROCPRIM_400000_NS6detail17trampoline_kernelINS0_14default_configENS1_38merge_sort_block_merge_config_selectorIyNS0_10empty_typeEEEZZNS1_27merge_sort_block_merge_implIS3_N6thrust23THRUST_200600_302600_NS6detail15normal_iteratorINS9_10device_ptrIyEEEEPS5_jNS1_19radix_merge_compareILb0ELb1EyNS0_19identity_decomposerEEEEE10hipError_tT0_T1_T2_jT3_P12ihipStream_tbPNSt15iterator_traitsISK_E10value_typeEPNSQ_ISL_E10value_typeEPSM_NS1_7vsmem_tEENKUlT_SK_SL_SM_E_clIPySE_SF_SF_EESJ_SZ_SK_SL_SM_EUlSZ_E_NS1_11comp_targetILNS1_3genE4ELNS1_11target_archE910ELNS1_3gpuE8ELNS1_3repE0EEENS1_48merge_mergepath_partition_config_static_selectorELNS0_4arch9wavefront6targetE1EEEvSL_
; %bb.0:
	.section	.rodata,"a",@progbits
	.p2align	6, 0x0
	.amdhsa_kernel _ZN7rocprim17ROCPRIM_400000_NS6detail17trampoline_kernelINS0_14default_configENS1_38merge_sort_block_merge_config_selectorIyNS0_10empty_typeEEEZZNS1_27merge_sort_block_merge_implIS3_N6thrust23THRUST_200600_302600_NS6detail15normal_iteratorINS9_10device_ptrIyEEEEPS5_jNS1_19radix_merge_compareILb0ELb1EyNS0_19identity_decomposerEEEEE10hipError_tT0_T1_T2_jT3_P12ihipStream_tbPNSt15iterator_traitsISK_E10value_typeEPNSQ_ISL_E10value_typeEPSM_NS1_7vsmem_tEENKUlT_SK_SL_SM_E_clIPySE_SF_SF_EESJ_SZ_SK_SL_SM_EUlSZ_E_NS1_11comp_targetILNS1_3genE4ELNS1_11target_archE910ELNS1_3gpuE8ELNS1_3repE0EEENS1_48merge_mergepath_partition_config_static_selectorELNS0_4arch9wavefront6targetE1EEEvSL_
		.amdhsa_group_segment_fixed_size 0
		.amdhsa_private_segment_fixed_size 0
		.amdhsa_kernarg_size 40
		.amdhsa_user_sgpr_count 2
		.amdhsa_user_sgpr_dispatch_ptr 0
		.amdhsa_user_sgpr_queue_ptr 0
		.amdhsa_user_sgpr_kernarg_segment_ptr 1
		.amdhsa_user_sgpr_dispatch_id 0
		.amdhsa_user_sgpr_kernarg_preload_length 0
		.amdhsa_user_sgpr_kernarg_preload_offset 0
		.amdhsa_user_sgpr_private_segment_size 0
		.amdhsa_uses_dynamic_stack 0
		.amdhsa_enable_private_segment 0
		.amdhsa_system_sgpr_workgroup_id_x 1
		.amdhsa_system_sgpr_workgroup_id_y 0
		.amdhsa_system_sgpr_workgroup_id_z 0
		.amdhsa_system_sgpr_workgroup_info 0
		.amdhsa_system_vgpr_workitem_id 0
		.amdhsa_next_free_vgpr 1
		.amdhsa_next_free_sgpr 0
		.amdhsa_accum_offset 4
		.amdhsa_reserve_vcc 0
		.amdhsa_float_round_mode_32 0
		.amdhsa_float_round_mode_16_64 0
		.amdhsa_float_denorm_mode_32 3
		.amdhsa_float_denorm_mode_16_64 3
		.amdhsa_dx10_clamp 1
		.amdhsa_ieee_mode 1
		.amdhsa_fp16_overflow 0
		.amdhsa_tg_split 0
		.amdhsa_exception_fp_ieee_invalid_op 0
		.amdhsa_exception_fp_denorm_src 0
		.amdhsa_exception_fp_ieee_div_zero 0
		.amdhsa_exception_fp_ieee_overflow 0
		.amdhsa_exception_fp_ieee_underflow 0
		.amdhsa_exception_fp_ieee_inexact 0
		.amdhsa_exception_int_div_zero 0
	.end_amdhsa_kernel
	.section	.text._ZN7rocprim17ROCPRIM_400000_NS6detail17trampoline_kernelINS0_14default_configENS1_38merge_sort_block_merge_config_selectorIyNS0_10empty_typeEEEZZNS1_27merge_sort_block_merge_implIS3_N6thrust23THRUST_200600_302600_NS6detail15normal_iteratorINS9_10device_ptrIyEEEEPS5_jNS1_19radix_merge_compareILb0ELb1EyNS0_19identity_decomposerEEEEE10hipError_tT0_T1_T2_jT3_P12ihipStream_tbPNSt15iterator_traitsISK_E10value_typeEPNSQ_ISL_E10value_typeEPSM_NS1_7vsmem_tEENKUlT_SK_SL_SM_E_clIPySE_SF_SF_EESJ_SZ_SK_SL_SM_EUlSZ_E_NS1_11comp_targetILNS1_3genE4ELNS1_11target_archE910ELNS1_3gpuE8ELNS1_3repE0EEENS1_48merge_mergepath_partition_config_static_selectorELNS0_4arch9wavefront6targetE1EEEvSL_,"axG",@progbits,_ZN7rocprim17ROCPRIM_400000_NS6detail17trampoline_kernelINS0_14default_configENS1_38merge_sort_block_merge_config_selectorIyNS0_10empty_typeEEEZZNS1_27merge_sort_block_merge_implIS3_N6thrust23THRUST_200600_302600_NS6detail15normal_iteratorINS9_10device_ptrIyEEEEPS5_jNS1_19radix_merge_compareILb0ELb1EyNS0_19identity_decomposerEEEEE10hipError_tT0_T1_T2_jT3_P12ihipStream_tbPNSt15iterator_traitsISK_E10value_typeEPNSQ_ISL_E10value_typeEPSM_NS1_7vsmem_tEENKUlT_SK_SL_SM_E_clIPySE_SF_SF_EESJ_SZ_SK_SL_SM_EUlSZ_E_NS1_11comp_targetILNS1_3genE4ELNS1_11target_archE910ELNS1_3gpuE8ELNS1_3repE0EEENS1_48merge_mergepath_partition_config_static_selectorELNS0_4arch9wavefront6targetE1EEEvSL_,comdat
.Lfunc_end792:
	.size	_ZN7rocprim17ROCPRIM_400000_NS6detail17trampoline_kernelINS0_14default_configENS1_38merge_sort_block_merge_config_selectorIyNS0_10empty_typeEEEZZNS1_27merge_sort_block_merge_implIS3_N6thrust23THRUST_200600_302600_NS6detail15normal_iteratorINS9_10device_ptrIyEEEEPS5_jNS1_19radix_merge_compareILb0ELb1EyNS0_19identity_decomposerEEEEE10hipError_tT0_T1_T2_jT3_P12ihipStream_tbPNSt15iterator_traitsISK_E10value_typeEPNSQ_ISL_E10value_typeEPSM_NS1_7vsmem_tEENKUlT_SK_SL_SM_E_clIPySE_SF_SF_EESJ_SZ_SK_SL_SM_EUlSZ_E_NS1_11comp_targetILNS1_3genE4ELNS1_11target_archE910ELNS1_3gpuE8ELNS1_3repE0EEENS1_48merge_mergepath_partition_config_static_selectorELNS0_4arch9wavefront6targetE1EEEvSL_, .Lfunc_end792-_ZN7rocprim17ROCPRIM_400000_NS6detail17trampoline_kernelINS0_14default_configENS1_38merge_sort_block_merge_config_selectorIyNS0_10empty_typeEEEZZNS1_27merge_sort_block_merge_implIS3_N6thrust23THRUST_200600_302600_NS6detail15normal_iteratorINS9_10device_ptrIyEEEEPS5_jNS1_19radix_merge_compareILb0ELb1EyNS0_19identity_decomposerEEEEE10hipError_tT0_T1_T2_jT3_P12ihipStream_tbPNSt15iterator_traitsISK_E10value_typeEPNSQ_ISL_E10value_typeEPSM_NS1_7vsmem_tEENKUlT_SK_SL_SM_E_clIPySE_SF_SF_EESJ_SZ_SK_SL_SM_EUlSZ_E_NS1_11comp_targetILNS1_3genE4ELNS1_11target_archE910ELNS1_3gpuE8ELNS1_3repE0EEENS1_48merge_mergepath_partition_config_static_selectorELNS0_4arch9wavefront6targetE1EEEvSL_
                                        ; -- End function
	.section	.AMDGPU.csdata,"",@progbits
; Kernel info:
; codeLenInByte = 0
; NumSgprs: 6
; NumVgprs: 0
; NumAgprs: 0
; TotalNumVgprs: 0
; ScratchSize: 0
; MemoryBound: 0
; FloatMode: 240
; IeeeMode: 1
; LDSByteSize: 0 bytes/workgroup (compile time only)
; SGPRBlocks: 0
; VGPRBlocks: 0
; NumSGPRsForWavesPerEU: 6
; NumVGPRsForWavesPerEU: 1
; AccumOffset: 4
; Occupancy: 8
; WaveLimiterHint : 0
; COMPUTE_PGM_RSRC2:SCRATCH_EN: 0
; COMPUTE_PGM_RSRC2:USER_SGPR: 2
; COMPUTE_PGM_RSRC2:TRAP_HANDLER: 0
; COMPUTE_PGM_RSRC2:TGID_X_EN: 1
; COMPUTE_PGM_RSRC2:TGID_Y_EN: 0
; COMPUTE_PGM_RSRC2:TGID_Z_EN: 0
; COMPUTE_PGM_RSRC2:TIDIG_COMP_CNT: 0
; COMPUTE_PGM_RSRC3_GFX90A:ACCUM_OFFSET: 0
; COMPUTE_PGM_RSRC3_GFX90A:TG_SPLIT: 0
	.section	.text._ZN7rocprim17ROCPRIM_400000_NS6detail17trampoline_kernelINS0_14default_configENS1_38merge_sort_block_merge_config_selectorIyNS0_10empty_typeEEEZZNS1_27merge_sort_block_merge_implIS3_N6thrust23THRUST_200600_302600_NS6detail15normal_iteratorINS9_10device_ptrIyEEEEPS5_jNS1_19radix_merge_compareILb0ELb1EyNS0_19identity_decomposerEEEEE10hipError_tT0_T1_T2_jT3_P12ihipStream_tbPNSt15iterator_traitsISK_E10value_typeEPNSQ_ISL_E10value_typeEPSM_NS1_7vsmem_tEENKUlT_SK_SL_SM_E_clIPySE_SF_SF_EESJ_SZ_SK_SL_SM_EUlSZ_E_NS1_11comp_targetILNS1_3genE3ELNS1_11target_archE908ELNS1_3gpuE7ELNS1_3repE0EEENS1_48merge_mergepath_partition_config_static_selectorELNS0_4arch9wavefront6targetE1EEEvSL_,"axG",@progbits,_ZN7rocprim17ROCPRIM_400000_NS6detail17trampoline_kernelINS0_14default_configENS1_38merge_sort_block_merge_config_selectorIyNS0_10empty_typeEEEZZNS1_27merge_sort_block_merge_implIS3_N6thrust23THRUST_200600_302600_NS6detail15normal_iteratorINS9_10device_ptrIyEEEEPS5_jNS1_19radix_merge_compareILb0ELb1EyNS0_19identity_decomposerEEEEE10hipError_tT0_T1_T2_jT3_P12ihipStream_tbPNSt15iterator_traitsISK_E10value_typeEPNSQ_ISL_E10value_typeEPSM_NS1_7vsmem_tEENKUlT_SK_SL_SM_E_clIPySE_SF_SF_EESJ_SZ_SK_SL_SM_EUlSZ_E_NS1_11comp_targetILNS1_3genE3ELNS1_11target_archE908ELNS1_3gpuE7ELNS1_3repE0EEENS1_48merge_mergepath_partition_config_static_selectorELNS0_4arch9wavefront6targetE1EEEvSL_,comdat
	.protected	_ZN7rocprim17ROCPRIM_400000_NS6detail17trampoline_kernelINS0_14default_configENS1_38merge_sort_block_merge_config_selectorIyNS0_10empty_typeEEEZZNS1_27merge_sort_block_merge_implIS3_N6thrust23THRUST_200600_302600_NS6detail15normal_iteratorINS9_10device_ptrIyEEEEPS5_jNS1_19radix_merge_compareILb0ELb1EyNS0_19identity_decomposerEEEEE10hipError_tT0_T1_T2_jT3_P12ihipStream_tbPNSt15iterator_traitsISK_E10value_typeEPNSQ_ISL_E10value_typeEPSM_NS1_7vsmem_tEENKUlT_SK_SL_SM_E_clIPySE_SF_SF_EESJ_SZ_SK_SL_SM_EUlSZ_E_NS1_11comp_targetILNS1_3genE3ELNS1_11target_archE908ELNS1_3gpuE7ELNS1_3repE0EEENS1_48merge_mergepath_partition_config_static_selectorELNS0_4arch9wavefront6targetE1EEEvSL_ ; -- Begin function _ZN7rocprim17ROCPRIM_400000_NS6detail17trampoline_kernelINS0_14default_configENS1_38merge_sort_block_merge_config_selectorIyNS0_10empty_typeEEEZZNS1_27merge_sort_block_merge_implIS3_N6thrust23THRUST_200600_302600_NS6detail15normal_iteratorINS9_10device_ptrIyEEEEPS5_jNS1_19radix_merge_compareILb0ELb1EyNS0_19identity_decomposerEEEEE10hipError_tT0_T1_T2_jT3_P12ihipStream_tbPNSt15iterator_traitsISK_E10value_typeEPNSQ_ISL_E10value_typeEPSM_NS1_7vsmem_tEENKUlT_SK_SL_SM_E_clIPySE_SF_SF_EESJ_SZ_SK_SL_SM_EUlSZ_E_NS1_11comp_targetILNS1_3genE3ELNS1_11target_archE908ELNS1_3gpuE7ELNS1_3repE0EEENS1_48merge_mergepath_partition_config_static_selectorELNS0_4arch9wavefront6targetE1EEEvSL_
	.globl	_ZN7rocprim17ROCPRIM_400000_NS6detail17trampoline_kernelINS0_14default_configENS1_38merge_sort_block_merge_config_selectorIyNS0_10empty_typeEEEZZNS1_27merge_sort_block_merge_implIS3_N6thrust23THRUST_200600_302600_NS6detail15normal_iteratorINS9_10device_ptrIyEEEEPS5_jNS1_19radix_merge_compareILb0ELb1EyNS0_19identity_decomposerEEEEE10hipError_tT0_T1_T2_jT3_P12ihipStream_tbPNSt15iterator_traitsISK_E10value_typeEPNSQ_ISL_E10value_typeEPSM_NS1_7vsmem_tEENKUlT_SK_SL_SM_E_clIPySE_SF_SF_EESJ_SZ_SK_SL_SM_EUlSZ_E_NS1_11comp_targetILNS1_3genE3ELNS1_11target_archE908ELNS1_3gpuE7ELNS1_3repE0EEENS1_48merge_mergepath_partition_config_static_selectorELNS0_4arch9wavefront6targetE1EEEvSL_
	.p2align	8
	.type	_ZN7rocprim17ROCPRIM_400000_NS6detail17trampoline_kernelINS0_14default_configENS1_38merge_sort_block_merge_config_selectorIyNS0_10empty_typeEEEZZNS1_27merge_sort_block_merge_implIS3_N6thrust23THRUST_200600_302600_NS6detail15normal_iteratorINS9_10device_ptrIyEEEEPS5_jNS1_19radix_merge_compareILb0ELb1EyNS0_19identity_decomposerEEEEE10hipError_tT0_T1_T2_jT3_P12ihipStream_tbPNSt15iterator_traitsISK_E10value_typeEPNSQ_ISL_E10value_typeEPSM_NS1_7vsmem_tEENKUlT_SK_SL_SM_E_clIPySE_SF_SF_EESJ_SZ_SK_SL_SM_EUlSZ_E_NS1_11comp_targetILNS1_3genE3ELNS1_11target_archE908ELNS1_3gpuE7ELNS1_3repE0EEENS1_48merge_mergepath_partition_config_static_selectorELNS0_4arch9wavefront6targetE1EEEvSL_,@function
_ZN7rocprim17ROCPRIM_400000_NS6detail17trampoline_kernelINS0_14default_configENS1_38merge_sort_block_merge_config_selectorIyNS0_10empty_typeEEEZZNS1_27merge_sort_block_merge_implIS3_N6thrust23THRUST_200600_302600_NS6detail15normal_iteratorINS9_10device_ptrIyEEEEPS5_jNS1_19radix_merge_compareILb0ELb1EyNS0_19identity_decomposerEEEEE10hipError_tT0_T1_T2_jT3_P12ihipStream_tbPNSt15iterator_traitsISK_E10value_typeEPNSQ_ISL_E10value_typeEPSM_NS1_7vsmem_tEENKUlT_SK_SL_SM_E_clIPySE_SF_SF_EESJ_SZ_SK_SL_SM_EUlSZ_E_NS1_11comp_targetILNS1_3genE3ELNS1_11target_archE908ELNS1_3gpuE7ELNS1_3repE0EEENS1_48merge_mergepath_partition_config_static_selectorELNS0_4arch9wavefront6targetE1EEEvSL_: ; @_ZN7rocprim17ROCPRIM_400000_NS6detail17trampoline_kernelINS0_14default_configENS1_38merge_sort_block_merge_config_selectorIyNS0_10empty_typeEEEZZNS1_27merge_sort_block_merge_implIS3_N6thrust23THRUST_200600_302600_NS6detail15normal_iteratorINS9_10device_ptrIyEEEEPS5_jNS1_19radix_merge_compareILb0ELb1EyNS0_19identity_decomposerEEEEE10hipError_tT0_T1_T2_jT3_P12ihipStream_tbPNSt15iterator_traitsISK_E10value_typeEPNSQ_ISL_E10value_typeEPSM_NS1_7vsmem_tEENKUlT_SK_SL_SM_E_clIPySE_SF_SF_EESJ_SZ_SK_SL_SM_EUlSZ_E_NS1_11comp_targetILNS1_3genE3ELNS1_11target_archE908ELNS1_3gpuE7ELNS1_3repE0EEENS1_48merge_mergepath_partition_config_static_selectorELNS0_4arch9wavefront6targetE1EEEvSL_
; %bb.0:
	.section	.rodata,"a",@progbits
	.p2align	6, 0x0
	.amdhsa_kernel _ZN7rocprim17ROCPRIM_400000_NS6detail17trampoline_kernelINS0_14default_configENS1_38merge_sort_block_merge_config_selectorIyNS0_10empty_typeEEEZZNS1_27merge_sort_block_merge_implIS3_N6thrust23THRUST_200600_302600_NS6detail15normal_iteratorINS9_10device_ptrIyEEEEPS5_jNS1_19radix_merge_compareILb0ELb1EyNS0_19identity_decomposerEEEEE10hipError_tT0_T1_T2_jT3_P12ihipStream_tbPNSt15iterator_traitsISK_E10value_typeEPNSQ_ISL_E10value_typeEPSM_NS1_7vsmem_tEENKUlT_SK_SL_SM_E_clIPySE_SF_SF_EESJ_SZ_SK_SL_SM_EUlSZ_E_NS1_11comp_targetILNS1_3genE3ELNS1_11target_archE908ELNS1_3gpuE7ELNS1_3repE0EEENS1_48merge_mergepath_partition_config_static_selectorELNS0_4arch9wavefront6targetE1EEEvSL_
		.amdhsa_group_segment_fixed_size 0
		.amdhsa_private_segment_fixed_size 0
		.amdhsa_kernarg_size 40
		.amdhsa_user_sgpr_count 2
		.amdhsa_user_sgpr_dispatch_ptr 0
		.amdhsa_user_sgpr_queue_ptr 0
		.amdhsa_user_sgpr_kernarg_segment_ptr 1
		.amdhsa_user_sgpr_dispatch_id 0
		.amdhsa_user_sgpr_kernarg_preload_length 0
		.amdhsa_user_sgpr_kernarg_preload_offset 0
		.amdhsa_user_sgpr_private_segment_size 0
		.amdhsa_uses_dynamic_stack 0
		.amdhsa_enable_private_segment 0
		.amdhsa_system_sgpr_workgroup_id_x 1
		.amdhsa_system_sgpr_workgroup_id_y 0
		.amdhsa_system_sgpr_workgroup_id_z 0
		.amdhsa_system_sgpr_workgroup_info 0
		.amdhsa_system_vgpr_workitem_id 0
		.amdhsa_next_free_vgpr 1
		.amdhsa_next_free_sgpr 0
		.amdhsa_accum_offset 4
		.amdhsa_reserve_vcc 0
		.amdhsa_float_round_mode_32 0
		.amdhsa_float_round_mode_16_64 0
		.amdhsa_float_denorm_mode_32 3
		.amdhsa_float_denorm_mode_16_64 3
		.amdhsa_dx10_clamp 1
		.amdhsa_ieee_mode 1
		.amdhsa_fp16_overflow 0
		.amdhsa_tg_split 0
		.amdhsa_exception_fp_ieee_invalid_op 0
		.amdhsa_exception_fp_denorm_src 0
		.amdhsa_exception_fp_ieee_div_zero 0
		.amdhsa_exception_fp_ieee_overflow 0
		.amdhsa_exception_fp_ieee_underflow 0
		.amdhsa_exception_fp_ieee_inexact 0
		.amdhsa_exception_int_div_zero 0
	.end_amdhsa_kernel
	.section	.text._ZN7rocprim17ROCPRIM_400000_NS6detail17trampoline_kernelINS0_14default_configENS1_38merge_sort_block_merge_config_selectorIyNS0_10empty_typeEEEZZNS1_27merge_sort_block_merge_implIS3_N6thrust23THRUST_200600_302600_NS6detail15normal_iteratorINS9_10device_ptrIyEEEEPS5_jNS1_19radix_merge_compareILb0ELb1EyNS0_19identity_decomposerEEEEE10hipError_tT0_T1_T2_jT3_P12ihipStream_tbPNSt15iterator_traitsISK_E10value_typeEPNSQ_ISL_E10value_typeEPSM_NS1_7vsmem_tEENKUlT_SK_SL_SM_E_clIPySE_SF_SF_EESJ_SZ_SK_SL_SM_EUlSZ_E_NS1_11comp_targetILNS1_3genE3ELNS1_11target_archE908ELNS1_3gpuE7ELNS1_3repE0EEENS1_48merge_mergepath_partition_config_static_selectorELNS0_4arch9wavefront6targetE1EEEvSL_,"axG",@progbits,_ZN7rocprim17ROCPRIM_400000_NS6detail17trampoline_kernelINS0_14default_configENS1_38merge_sort_block_merge_config_selectorIyNS0_10empty_typeEEEZZNS1_27merge_sort_block_merge_implIS3_N6thrust23THRUST_200600_302600_NS6detail15normal_iteratorINS9_10device_ptrIyEEEEPS5_jNS1_19radix_merge_compareILb0ELb1EyNS0_19identity_decomposerEEEEE10hipError_tT0_T1_T2_jT3_P12ihipStream_tbPNSt15iterator_traitsISK_E10value_typeEPNSQ_ISL_E10value_typeEPSM_NS1_7vsmem_tEENKUlT_SK_SL_SM_E_clIPySE_SF_SF_EESJ_SZ_SK_SL_SM_EUlSZ_E_NS1_11comp_targetILNS1_3genE3ELNS1_11target_archE908ELNS1_3gpuE7ELNS1_3repE0EEENS1_48merge_mergepath_partition_config_static_selectorELNS0_4arch9wavefront6targetE1EEEvSL_,comdat
.Lfunc_end793:
	.size	_ZN7rocprim17ROCPRIM_400000_NS6detail17trampoline_kernelINS0_14default_configENS1_38merge_sort_block_merge_config_selectorIyNS0_10empty_typeEEEZZNS1_27merge_sort_block_merge_implIS3_N6thrust23THRUST_200600_302600_NS6detail15normal_iteratorINS9_10device_ptrIyEEEEPS5_jNS1_19radix_merge_compareILb0ELb1EyNS0_19identity_decomposerEEEEE10hipError_tT0_T1_T2_jT3_P12ihipStream_tbPNSt15iterator_traitsISK_E10value_typeEPNSQ_ISL_E10value_typeEPSM_NS1_7vsmem_tEENKUlT_SK_SL_SM_E_clIPySE_SF_SF_EESJ_SZ_SK_SL_SM_EUlSZ_E_NS1_11comp_targetILNS1_3genE3ELNS1_11target_archE908ELNS1_3gpuE7ELNS1_3repE0EEENS1_48merge_mergepath_partition_config_static_selectorELNS0_4arch9wavefront6targetE1EEEvSL_, .Lfunc_end793-_ZN7rocprim17ROCPRIM_400000_NS6detail17trampoline_kernelINS0_14default_configENS1_38merge_sort_block_merge_config_selectorIyNS0_10empty_typeEEEZZNS1_27merge_sort_block_merge_implIS3_N6thrust23THRUST_200600_302600_NS6detail15normal_iteratorINS9_10device_ptrIyEEEEPS5_jNS1_19radix_merge_compareILb0ELb1EyNS0_19identity_decomposerEEEEE10hipError_tT0_T1_T2_jT3_P12ihipStream_tbPNSt15iterator_traitsISK_E10value_typeEPNSQ_ISL_E10value_typeEPSM_NS1_7vsmem_tEENKUlT_SK_SL_SM_E_clIPySE_SF_SF_EESJ_SZ_SK_SL_SM_EUlSZ_E_NS1_11comp_targetILNS1_3genE3ELNS1_11target_archE908ELNS1_3gpuE7ELNS1_3repE0EEENS1_48merge_mergepath_partition_config_static_selectorELNS0_4arch9wavefront6targetE1EEEvSL_
                                        ; -- End function
	.section	.AMDGPU.csdata,"",@progbits
; Kernel info:
; codeLenInByte = 0
; NumSgprs: 6
; NumVgprs: 0
; NumAgprs: 0
; TotalNumVgprs: 0
; ScratchSize: 0
; MemoryBound: 0
; FloatMode: 240
; IeeeMode: 1
; LDSByteSize: 0 bytes/workgroup (compile time only)
; SGPRBlocks: 0
; VGPRBlocks: 0
; NumSGPRsForWavesPerEU: 6
; NumVGPRsForWavesPerEU: 1
; AccumOffset: 4
; Occupancy: 8
; WaveLimiterHint : 0
; COMPUTE_PGM_RSRC2:SCRATCH_EN: 0
; COMPUTE_PGM_RSRC2:USER_SGPR: 2
; COMPUTE_PGM_RSRC2:TRAP_HANDLER: 0
; COMPUTE_PGM_RSRC2:TGID_X_EN: 1
; COMPUTE_PGM_RSRC2:TGID_Y_EN: 0
; COMPUTE_PGM_RSRC2:TGID_Z_EN: 0
; COMPUTE_PGM_RSRC2:TIDIG_COMP_CNT: 0
; COMPUTE_PGM_RSRC3_GFX90A:ACCUM_OFFSET: 0
; COMPUTE_PGM_RSRC3_GFX90A:TG_SPLIT: 0
	.section	.text._ZN7rocprim17ROCPRIM_400000_NS6detail17trampoline_kernelINS0_14default_configENS1_38merge_sort_block_merge_config_selectorIyNS0_10empty_typeEEEZZNS1_27merge_sort_block_merge_implIS3_N6thrust23THRUST_200600_302600_NS6detail15normal_iteratorINS9_10device_ptrIyEEEEPS5_jNS1_19radix_merge_compareILb0ELb1EyNS0_19identity_decomposerEEEEE10hipError_tT0_T1_T2_jT3_P12ihipStream_tbPNSt15iterator_traitsISK_E10value_typeEPNSQ_ISL_E10value_typeEPSM_NS1_7vsmem_tEENKUlT_SK_SL_SM_E_clIPySE_SF_SF_EESJ_SZ_SK_SL_SM_EUlSZ_E_NS1_11comp_targetILNS1_3genE2ELNS1_11target_archE906ELNS1_3gpuE6ELNS1_3repE0EEENS1_48merge_mergepath_partition_config_static_selectorELNS0_4arch9wavefront6targetE1EEEvSL_,"axG",@progbits,_ZN7rocprim17ROCPRIM_400000_NS6detail17trampoline_kernelINS0_14default_configENS1_38merge_sort_block_merge_config_selectorIyNS0_10empty_typeEEEZZNS1_27merge_sort_block_merge_implIS3_N6thrust23THRUST_200600_302600_NS6detail15normal_iteratorINS9_10device_ptrIyEEEEPS5_jNS1_19radix_merge_compareILb0ELb1EyNS0_19identity_decomposerEEEEE10hipError_tT0_T1_T2_jT3_P12ihipStream_tbPNSt15iterator_traitsISK_E10value_typeEPNSQ_ISL_E10value_typeEPSM_NS1_7vsmem_tEENKUlT_SK_SL_SM_E_clIPySE_SF_SF_EESJ_SZ_SK_SL_SM_EUlSZ_E_NS1_11comp_targetILNS1_3genE2ELNS1_11target_archE906ELNS1_3gpuE6ELNS1_3repE0EEENS1_48merge_mergepath_partition_config_static_selectorELNS0_4arch9wavefront6targetE1EEEvSL_,comdat
	.protected	_ZN7rocprim17ROCPRIM_400000_NS6detail17trampoline_kernelINS0_14default_configENS1_38merge_sort_block_merge_config_selectorIyNS0_10empty_typeEEEZZNS1_27merge_sort_block_merge_implIS3_N6thrust23THRUST_200600_302600_NS6detail15normal_iteratorINS9_10device_ptrIyEEEEPS5_jNS1_19radix_merge_compareILb0ELb1EyNS0_19identity_decomposerEEEEE10hipError_tT0_T1_T2_jT3_P12ihipStream_tbPNSt15iterator_traitsISK_E10value_typeEPNSQ_ISL_E10value_typeEPSM_NS1_7vsmem_tEENKUlT_SK_SL_SM_E_clIPySE_SF_SF_EESJ_SZ_SK_SL_SM_EUlSZ_E_NS1_11comp_targetILNS1_3genE2ELNS1_11target_archE906ELNS1_3gpuE6ELNS1_3repE0EEENS1_48merge_mergepath_partition_config_static_selectorELNS0_4arch9wavefront6targetE1EEEvSL_ ; -- Begin function _ZN7rocprim17ROCPRIM_400000_NS6detail17trampoline_kernelINS0_14default_configENS1_38merge_sort_block_merge_config_selectorIyNS0_10empty_typeEEEZZNS1_27merge_sort_block_merge_implIS3_N6thrust23THRUST_200600_302600_NS6detail15normal_iteratorINS9_10device_ptrIyEEEEPS5_jNS1_19radix_merge_compareILb0ELb1EyNS0_19identity_decomposerEEEEE10hipError_tT0_T1_T2_jT3_P12ihipStream_tbPNSt15iterator_traitsISK_E10value_typeEPNSQ_ISL_E10value_typeEPSM_NS1_7vsmem_tEENKUlT_SK_SL_SM_E_clIPySE_SF_SF_EESJ_SZ_SK_SL_SM_EUlSZ_E_NS1_11comp_targetILNS1_3genE2ELNS1_11target_archE906ELNS1_3gpuE6ELNS1_3repE0EEENS1_48merge_mergepath_partition_config_static_selectorELNS0_4arch9wavefront6targetE1EEEvSL_
	.globl	_ZN7rocprim17ROCPRIM_400000_NS6detail17trampoline_kernelINS0_14default_configENS1_38merge_sort_block_merge_config_selectorIyNS0_10empty_typeEEEZZNS1_27merge_sort_block_merge_implIS3_N6thrust23THRUST_200600_302600_NS6detail15normal_iteratorINS9_10device_ptrIyEEEEPS5_jNS1_19radix_merge_compareILb0ELb1EyNS0_19identity_decomposerEEEEE10hipError_tT0_T1_T2_jT3_P12ihipStream_tbPNSt15iterator_traitsISK_E10value_typeEPNSQ_ISL_E10value_typeEPSM_NS1_7vsmem_tEENKUlT_SK_SL_SM_E_clIPySE_SF_SF_EESJ_SZ_SK_SL_SM_EUlSZ_E_NS1_11comp_targetILNS1_3genE2ELNS1_11target_archE906ELNS1_3gpuE6ELNS1_3repE0EEENS1_48merge_mergepath_partition_config_static_selectorELNS0_4arch9wavefront6targetE1EEEvSL_
	.p2align	8
	.type	_ZN7rocprim17ROCPRIM_400000_NS6detail17trampoline_kernelINS0_14default_configENS1_38merge_sort_block_merge_config_selectorIyNS0_10empty_typeEEEZZNS1_27merge_sort_block_merge_implIS3_N6thrust23THRUST_200600_302600_NS6detail15normal_iteratorINS9_10device_ptrIyEEEEPS5_jNS1_19radix_merge_compareILb0ELb1EyNS0_19identity_decomposerEEEEE10hipError_tT0_T1_T2_jT3_P12ihipStream_tbPNSt15iterator_traitsISK_E10value_typeEPNSQ_ISL_E10value_typeEPSM_NS1_7vsmem_tEENKUlT_SK_SL_SM_E_clIPySE_SF_SF_EESJ_SZ_SK_SL_SM_EUlSZ_E_NS1_11comp_targetILNS1_3genE2ELNS1_11target_archE906ELNS1_3gpuE6ELNS1_3repE0EEENS1_48merge_mergepath_partition_config_static_selectorELNS0_4arch9wavefront6targetE1EEEvSL_,@function
_ZN7rocprim17ROCPRIM_400000_NS6detail17trampoline_kernelINS0_14default_configENS1_38merge_sort_block_merge_config_selectorIyNS0_10empty_typeEEEZZNS1_27merge_sort_block_merge_implIS3_N6thrust23THRUST_200600_302600_NS6detail15normal_iteratorINS9_10device_ptrIyEEEEPS5_jNS1_19radix_merge_compareILb0ELb1EyNS0_19identity_decomposerEEEEE10hipError_tT0_T1_T2_jT3_P12ihipStream_tbPNSt15iterator_traitsISK_E10value_typeEPNSQ_ISL_E10value_typeEPSM_NS1_7vsmem_tEENKUlT_SK_SL_SM_E_clIPySE_SF_SF_EESJ_SZ_SK_SL_SM_EUlSZ_E_NS1_11comp_targetILNS1_3genE2ELNS1_11target_archE906ELNS1_3gpuE6ELNS1_3repE0EEENS1_48merge_mergepath_partition_config_static_selectorELNS0_4arch9wavefront6targetE1EEEvSL_: ; @_ZN7rocprim17ROCPRIM_400000_NS6detail17trampoline_kernelINS0_14default_configENS1_38merge_sort_block_merge_config_selectorIyNS0_10empty_typeEEEZZNS1_27merge_sort_block_merge_implIS3_N6thrust23THRUST_200600_302600_NS6detail15normal_iteratorINS9_10device_ptrIyEEEEPS5_jNS1_19radix_merge_compareILb0ELb1EyNS0_19identity_decomposerEEEEE10hipError_tT0_T1_T2_jT3_P12ihipStream_tbPNSt15iterator_traitsISK_E10value_typeEPNSQ_ISL_E10value_typeEPSM_NS1_7vsmem_tEENKUlT_SK_SL_SM_E_clIPySE_SF_SF_EESJ_SZ_SK_SL_SM_EUlSZ_E_NS1_11comp_targetILNS1_3genE2ELNS1_11target_archE906ELNS1_3gpuE6ELNS1_3repE0EEENS1_48merge_mergepath_partition_config_static_selectorELNS0_4arch9wavefront6targetE1EEEvSL_
; %bb.0:
	.section	.rodata,"a",@progbits
	.p2align	6, 0x0
	.amdhsa_kernel _ZN7rocprim17ROCPRIM_400000_NS6detail17trampoline_kernelINS0_14default_configENS1_38merge_sort_block_merge_config_selectorIyNS0_10empty_typeEEEZZNS1_27merge_sort_block_merge_implIS3_N6thrust23THRUST_200600_302600_NS6detail15normal_iteratorINS9_10device_ptrIyEEEEPS5_jNS1_19radix_merge_compareILb0ELb1EyNS0_19identity_decomposerEEEEE10hipError_tT0_T1_T2_jT3_P12ihipStream_tbPNSt15iterator_traitsISK_E10value_typeEPNSQ_ISL_E10value_typeEPSM_NS1_7vsmem_tEENKUlT_SK_SL_SM_E_clIPySE_SF_SF_EESJ_SZ_SK_SL_SM_EUlSZ_E_NS1_11comp_targetILNS1_3genE2ELNS1_11target_archE906ELNS1_3gpuE6ELNS1_3repE0EEENS1_48merge_mergepath_partition_config_static_selectorELNS0_4arch9wavefront6targetE1EEEvSL_
		.amdhsa_group_segment_fixed_size 0
		.amdhsa_private_segment_fixed_size 0
		.amdhsa_kernarg_size 40
		.amdhsa_user_sgpr_count 2
		.amdhsa_user_sgpr_dispatch_ptr 0
		.amdhsa_user_sgpr_queue_ptr 0
		.amdhsa_user_sgpr_kernarg_segment_ptr 1
		.amdhsa_user_sgpr_dispatch_id 0
		.amdhsa_user_sgpr_kernarg_preload_length 0
		.amdhsa_user_sgpr_kernarg_preload_offset 0
		.amdhsa_user_sgpr_private_segment_size 0
		.amdhsa_uses_dynamic_stack 0
		.amdhsa_enable_private_segment 0
		.amdhsa_system_sgpr_workgroup_id_x 1
		.amdhsa_system_sgpr_workgroup_id_y 0
		.amdhsa_system_sgpr_workgroup_id_z 0
		.amdhsa_system_sgpr_workgroup_info 0
		.amdhsa_system_vgpr_workitem_id 0
		.amdhsa_next_free_vgpr 1
		.amdhsa_next_free_sgpr 0
		.amdhsa_accum_offset 4
		.amdhsa_reserve_vcc 0
		.amdhsa_float_round_mode_32 0
		.amdhsa_float_round_mode_16_64 0
		.amdhsa_float_denorm_mode_32 3
		.amdhsa_float_denorm_mode_16_64 3
		.amdhsa_dx10_clamp 1
		.amdhsa_ieee_mode 1
		.amdhsa_fp16_overflow 0
		.amdhsa_tg_split 0
		.amdhsa_exception_fp_ieee_invalid_op 0
		.amdhsa_exception_fp_denorm_src 0
		.amdhsa_exception_fp_ieee_div_zero 0
		.amdhsa_exception_fp_ieee_overflow 0
		.amdhsa_exception_fp_ieee_underflow 0
		.amdhsa_exception_fp_ieee_inexact 0
		.amdhsa_exception_int_div_zero 0
	.end_amdhsa_kernel
	.section	.text._ZN7rocprim17ROCPRIM_400000_NS6detail17trampoline_kernelINS0_14default_configENS1_38merge_sort_block_merge_config_selectorIyNS0_10empty_typeEEEZZNS1_27merge_sort_block_merge_implIS3_N6thrust23THRUST_200600_302600_NS6detail15normal_iteratorINS9_10device_ptrIyEEEEPS5_jNS1_19radix_merge_compareILb0ELb1EyNS0_19identity_decomposerEEEEE10hipError_tT0_T1_T2_jT3_P12ihipStream_tbPNSt15iterator_traitsISK_E10value_typeEPNSQ_ISL_E10value_typeEPSM_NS1_7vsmem_tEENKUlT_SK_SL_SM_E_clIPySE_SF_SF_EESJ_SZ_SK_SL_SM_EUlSZ_E_NS1_11comp_targetILNS1_3genE2ELNS1_11target_archE906ELNS1_3gpuE6ELNS1_3repE0EEENS1_48merge_mergepath_partition_config_static_selectorELNS0_4arch9wavefront6targetE1EEEvSL_,"axG",@progbits,_ZN7rocprim17ROCPRIM_400000_NS6detail17trampoline_kernelINS0_14default_configENS1_38merge_sort_block_merge_config_selectorIyNS0_10empty_typeEEEZZNS1_27merge_sort_block_merge_implIS3_N6thrust23THRUST_200600_302600_NS6detail15normal_iteratorINS9_10device_ptrIyEEEEPS5_jNS1_19radix_merge_compareILb0ELb1EyNS0_19identity_decomposerEEEEE10hipError_tT0_T1_T2_jT3_P12ihipStream_tbPNSt15iterator_traitsISK_E10value_typeEPNSQ_ISL_E10value_typeEPSM_NS1_7vsmem_tEENKUlT_SK_SL_SM_E_clIPySE_SF_SF_EESJ_SZ_SK_SL_SM_EUlSZ_E_NS1_11comp_targetILNS1_3genE2ELNS1_11target_archE906ELNS1_3gpuE6ELNS1_3repE0EEENS1_48merge_mergepath_partition_config_static_selectorELNS0_4arch9wavefront6targetE1EEEvSL_,comdat
.Lfunc_end794:
	.size	_ZN7rocprim17ROCPRIM_400000_NS6detail17trampoline_kernelINS0_14default_configENS1_38merge_sort_block_merge_config_selectorIyNS0_10empty_typeEEEZZNS1_27merge_sort_block_merge_implIS3_N6thrust23THRUST_200600_302600_NS6detail15normal_iteratorINS9_10device_ptrIyEEEEPS5_jNS1_19radix_merge_compareILb0ELb1EyNS0_19identity_decomposerEEEEE10hipError_tT0_T1_T2_jT3_P12ihipStream_tbPNSt15iterator_traitsISK_E10value_typeEPNSQ_ISL_E10value_typeEPSM_NS1_7vsmem_tEENKUlT_SK_SL_SM_E_clIPySE_SF_SF_EESJ_SZ_SK_SL_SM_EUlSZ_E_NS1_11comp_targetILNS1_3genE2ELNS1_11target_archE906ELNS1_3gpuE6ELNS1_3repE0EEENS1_48merge_mergepath_partition_config_static_selectorELNS0_4arch9wavefront6targetE1EEEvSL_, .Lfunc_end794-_ZN7rocprim17ROCPRIM_400000_NS6detail17trampoline_kernelINS0_14default_configENS1_38merge_sort_block_merge_config_selectorIyNS0_10empty_typeEEEZZNS1_27merge_sort_block_merge_implIS3_N6thrust23THRUST_200600_302600_NS6detail15normal_iteratorINS9_10device_ptrIyEEEEPS5_jNS1_19radix_merge_compareILb0ELb1EyNS0_19identity_decomposerEEEEE10hipError_tT0_T1_T2_jT3_P12ihipStream_tbPNSt15iterator_traitsISK_E10value_typeEPNSQ_ISL_E10value_typeEPSM_NS1_7vsmem_tEENKUlT_SK_SL_SM_E_clIPySE_SF_SF_EESJ_SZ_SK_SL_SM_EUlSZ_E_NS1_11comp_targetILNS1_3genE2ELNS1_11target_archE906ELNS1_3gpuE6ELNS1_3repE0EEENS1_48merge_mergepath_partition_config_static_selectorELNS0_4arch9wavefront6targetE1EEEvSL_
                                        ; -- End function
	.section	.AMDGPU.csdata,"",@progbits
; Kernel info:
; codeLenInByte = 0
; NumSgprs: 6
; NumVgprs: 0
; NumAgprs: 0
; TotalNumVgprs: 0
; ScratchSize: 0
; MemoryBound: 0
; FloatMode: 240
; IeeeMode: 1
; LDSByteSize: 0 bytes/workgroup (compile time only)
; SGPRBlocks: 0
; VGPRBlocks: 0
; NumSGPRsForWavesPerEU: 6
; NumVGPRsForWavesPerEU: 1
; AccumOffset: 4
; Occupancy: 8
; WaveLimiterHint : 0
; COMPUTE_PGM_RSRC2:SCRATCH_EN: 0
; COMPUTE_PGM_RSRC2:USER_SGPR: 2
; COMPUTE_PGM_RSRC2:TRAP_HANDLER: 0
; COMPUTE_PGM_RSRC2:TGID_X_EN: 1
; COMPUTE_PGM_RSRC2:TGID_Y_EN: 0
; COMPUTE_PGM_RSRC2:TGID_Z_EN: 0
; COMPUTE_PGM_RSRC2:TIDIG_COMP_CNT: 0
; COMPUTE_PGM_RSRC3_GFX90A:ACCUM_OFFSET: 0
; COMPUTE_PGM_RSRC3_GFX90A:TG_SPLIT: 0
	.section	.text._ZN7rocprim17ROCPRIM_400000_NS6detail17trampoline_kernelINS0_14default_configENS1_38merge_sort_block_merge_config_selectorIyNS0_10empty_typeEEEZZNS1_27merge_sort_block_merge_implIS3_N6thrust23THRUST_200600_302600_NS6detail15normal_iteratorINS9_10device_ptrIyEEEEPS5_jNS1_19radix_merge_compareILb0ELb1EyNS0_19identity_decomposerEEEEE10hipError_tT0_T1_T2_jT3_P12ihipStream_tbPNSt15iterator_traitsISK_E10value_typeEPNSQ_ISL_E10value_typeEPSM_NS1_7vsmem_tEENKUlT_SK_SL_SM_E_clIPySE_SF_SF_EESJ_SZ_SK_SL_SM_EUlSZ_E_NS1_11comp_targetILNS1_3genE9ELNS1_11target_archE1100ELNS1_3gpuE3ELNS1_3repE0EEENS1_48merge_mergepath_partition_config_static_selectorELNS0_4arch9wavefront6targetE1EEEvSL_,"axG",@progbits,_ZN7rocprim17ROCPRIM_400000_NS6detail17trampoline_kernelINS0_14default_configENS1_38merge_sort_block_merge_config_selectorIyNS0_10empty_typeEEEZZNS1_27merge_sort_block_merge_implIS3_N6thrust23THRUST_200600_302600_NS6detail15normal_iteratorINS9_10device_ptrIyEEEEPS5_jNS1_19radix_merge_compareILb0ELb1EyNS0_19identity_decomposerEEEEE10hipError_tT0_T1_T2_jT3_P12ihipStream_tbPNSt15iterator_traitsISK_E10value_typeEPNSQ_ISL_E10value_typeEPSM_NS1_7vsmem_tEENKUlT_SK_SL_SM_E_clIPySE_SF_SF_EESJ_SZ_SK_SL_SM_EUlSZ_E_NS1_11comp_targetILNS1_3genE9ELNS1_11target_archE1100ELNS1_3gpuE3ELNS1_3repE0EEENS1_48merge_mergepath_partition_config_static_selectorELNS0_4arch9wavefront6targetE1EEEvSL_,comdat
	.protected	_ZN7rocprim17ROCPRIM_400000_NS6detail17trampoline_kernelINS0_14default_configENS1_38merge_sort_block_merge_config_selectorIyNS0_10empty_typeEEEZZNS1_27merge_sort_block_merge_implIS3_N6thrust23THRUST_200600_302600_NS6detail15normal_iteratorINS9_10device_ptrIyEEEEPS5_jNS1_19radix_merge_compareILb0ELb1EyNS0_19identity_decomposerEEEEE10hipError_tT0_T1_T2_jT3_P12ihipStream_tbPNSt15iterator_traitsISK_E10value_typeEPNSQ_ISL_E10value_typeEPSM_NS1_7vsmem_tEENKUlT_SK_SL_SM_E_clIPySE_SF_SF_EESJ_SZ_SK_SL_SM_EUlSZ_E_NS1_11comp_targetILNS1_3genE9ELNS1_11target_archE1100ELNS1_3gpuE3ELNS1_3repE0EEENS1_48merge_mergepath_partition_config_static_selectorELNS0_4arch9wavefront6targetE1EEEvSL_ ; -- Begin function _ZN7rocprim17ROCPRIM_400000_NS6detail17trampoline_kernelINS0_14default_configENS1_38merge_sort_block_merge_config_selectorIyNS0_10empty_typeEEEZZNS1_27merge_sort_block_merge_implIS3_N6thrust23THRUST_200600_302600_NS6detail15normal_iteratorINS9_10device_ptrIyEEEEPS5_jNS1_19radix_merge_compareILb0ELb1EyNS0_19identity_decomposerEEEEE10hipError_tT0_T1_T2_jT3_P12ihipStream_tbPNSt15iterator_traitsISK_E10value_typeEPNSQ_ISL_E10value_typeEPSM_NS1_7vsmem_tEENKUlT_SK_SL_SM_E_clIPySE_SF_SF_EESJ_SZ_SK_SL_SM_EUlSZ_E_NS1_11comp_targetILNS1_3genE9ELNS1_11target_archE1100ELNS1_3gpuE3ELNS1_3repE0EEENS1_48merge_mergepath_partition_config_static_selectorELNS0_4arch9wavefront6targetE1EEEvSL_
	.globl	_ZN7rocprim17ROCPRIM_400000_NS6detail17trampoline_kernelINS0_14default_configENS1_38merge_sort_block_merge_config_selectorIyNS0_10empty_typeEEEZZNS1_27merge_sort_block_merge_implIS3_N6thrust23THRUST_200600_302600_NS6detail15normal_iteratorINS9_10device_ptrIyEEEEPS5_jNS1_19radix_merge_compareILb0ELb1EyNS0_19identity_decomposerEEEEE10hipError_tT0_T1_T2_jT3_P12ihipStream_tbPNSt15iterator_traitsISK_E10value_typeEPNSQ_ISL_E10value_typeEPSM_NS1_7vsmem_tEENKUlT_SK_SL_SM_E_clIPySE_SF_SF_EESJ_SZ_SK_SL_SM_EUlSZ_E_NS1_11comp_targetILNS1_3genE9ELNS1_11target_archE1100ELNS1_3gpuE3ELNS1_3repE0EEENS1_48merge_mergepath_partition_config_static_selectorELNS0_4arch9wavefront6targetE1EEEvSL_
	.p2align	8
	.type	_ZN7rocprim17ROCPRIM_400000_NS6detail17trampoline_kernelINS0_14default_configENS1_38merge_sort_block_merge_config_selectorIyNS0_10empty_typeEEEZZNS1_27merge_sort_block_merge_implIS3_N6thrust23THRUST_200600_302600_NS6detail15normal_iteratorINS9_10device_ptrIyEEEEPS5_jNS1_19radix_merge_compareILb0ELb1EyNS0_19identity_decomposerEEEEE10hipError_tT0_T1_T2_jT3_P12ihipStream_tbPNSt15iterator_traitsISK_E10value_typeEPNSQ_ISL_E10value_typeEPSM_NS1_7vsmem_tEENKUlT_SK_SL_SM_E_clIPySE_SF_SF_EESJ_SZ_SK_SL_SM_EUlSZ_E_NS1_11comp_targetILNS1_3genE9ELNS1_11target_archE1100ELNS1_3gpuE3ELNS1_3repE0EEENS1_48merge_mergepath_partition_config_static_selectorELNS0_4arch9wavefront6targetE1EEEvSL_,@function
_ZN7rocprim17ROCPRIM_400000_NS6detail17trampoline_kernelINS0_14default_configENS1_38merge_sort_block_merge_config_selectorIyNS0_10empty_typeEEEZZNS1_27merge_sort_block_merge_implIS3_N6thrust23THRUST_200600_302600_NS6detail15normal_iteratorINS9_10device_ptrIyEEEEPS5_jNS1_19radix_merge_compareILb0ELb1EyNS0_19identity_decomposerEEEEE10hipError_tT0_T1_T2_jT3_P12ihipStream_tbPNSt15iterator_traitsISK_E10value_typeEPNSQ_ISL_E10value_typeEPSM_NS1_7vsmem_tEENKUlT_SK_SL_SM_E_clIPySE_SF_SF_EESJ_SZ_SK_SL_SM_EUlSZ_E_NS1_11comp_targetILNS1_3genE9ELNS1_11target_archE1100ELNS1_3gpuE3ELNS1_3repE0EEENS1_48merge_mergepath_partition_config_static_selectorELNS0_4arch9wavefront6targetE1EEEvSL_: ; @_ZN7rocprim17ROCPRIM_400000_NS6detail17trampoline_kernelINS0_14default_configENS1_38merge_sort_block_merge_config_selectorIyNS0_10empty_typeEEEZZNS1_27merge_sort_block_merge_implIS3_N6thrust23THRUST_200600_302600_NS6detail15normal_iteratorINS9_10device_ptrIyEEEEPS5_jNS1_19radix_merge_compareILb0ELb1EyNS0_19identity_decomposerEEEEE10hipError_tT0_T1_T2_jT3_P12ihipStream_tbPNSt15iterator_traitsISK_E10value_typeEPNSQ_ISL_E10value_typeEPSM_NS1_7vsmem_tEENKUlT_SK_SL_SM_E_clIPySE_SF_SF_EESJ_SZ_SK_SL_SM_EUlSZ_E_NS1_11comp_targetILNS1_3genE9ELNS1_11target_archE1100ELNS1_3gpuE3ELNS1_3repE0EEENS1_48merge_mergepath_partition_config_static_selectorELNS0_4arch9wavefront6targetE1EEEvSL_
; %bb.0:
	.section	.rodata,"a",@progbits
	.p2align	6, 0x0
	.amdhsa_kernel _ZN7rocprim17ROCPRIM_400000_NS6detail17trampoline_kernelINS0_14default_configENS1_38merge_sort_block_merge_config_selectorIyNS0_10empty_typeEEEZZNS1_27merge_sort_block_merge_implIS3_N6thrust23THRUST_200600_302600_NS6detail15normal_iteratorINS9_10device_ptrIyEEEEPS5_jNS1_19radix_merge_compareILb0ELb1EyNS0_19identity_decomposerEEEEE10hipError_tT0_T1_T2_jT3_P12ihipStream_tbPNSt15iterator_traitsISK_E10value_typeEPNSQ_ISL_E10value_typeEPSM_NS1_7vsmem_tEENKUlT_SK_SL_SM_E_clIPySE_SF_SF_EESJ_SZ_SK_SL_SM_EUlSZ_E_NS1_11comp_targetILNS1_3genE9ELNS1_11target_archE1100ELNS1_3gpuE3ELNS1_3repE0EEENS1_48merge_mergepath_partition_config_static_selectorELNS0_4arch9wavefront6targetE1EEEvSL_
		.amdhsa_group_segment_fixed_size 0
		.amdhsa_private_segment_fixed_size 0
		.amdhsa_kernarg_size 40
		.amdhsa_user_sgpr_count 2
		.amdhsa_user_sgpr_dispatch_ptr 0
		.amdhsa_user_sgpr_queue_ptr 0
		.amdhsa_user_sgpr_kernarg_segment_ptr 1
		.amdhsa_user_sgpr_dispatch_id 0
		.amdhsa_user_sgpr_kernarg_preload_length 0
		.amdhsa_user_sgpr_kernarg_preload_offset 0
		.amdhsa_user_sgpr_private_segment_size 0
		.amdhsa_uses_dynamic_stack 0
		.amdhsa_enable_private_segment 0
		.amdhsa_system_sgpr_workgroup_id_x 1
		.amdhsa_system_sgpr_workgroup_id_y 0
		.amdhsa_system_sgpr_workgroup_id_z 0
		.amdhsa_system_sgpr_workgroup_info 0
		.amdhsa_system_vgpr_workitem_id 0
		.amdhsa_next_free_vgpr 1
		.amdhsa_next_free_sgpr 0
		.amdhsa_accum_offset 4
		.amdhsa_reserve_vcc 0
		.amdhsa_float_round_mode_32 0
		.amdhsa_float_round_mode_16_64 0
		.amdhsa_float_denorm_mode_32 3
		.amdhsa_float_denorm_mode_16_64 3
		.amdhsa_dx10_clamp 1
		.amdhsa_ieee_mode 1
		.amdhsa_fp16_overflow 0
		.amdhsa_tg_split 0
		.amdhsa_exception_fp_ieee_invalid_op 0
		.amdhsa_exception_fp_denorm_src 0
		.amdhsa_exception_fp_ieee_div_zero 0
		.amdhsa_exception_fp_ieee_overflow 0
		.amdhsa_exception_fp_ieee_underflow 0
		.amdhsa_exception_fp_ieee_inexact 0
		.amdhsa_exception_int_div_zero 0
	.end_amdhsa_kernel
	.section	.text._ZN7rocprim17ROCPRIM_400000_NS6detail17trampoline_kernelINS0_14default_configENS1_38merge_sort_block_merge_config_selectorIyNS0_10empty_typeEEEZZNS1_27merge_sort_block_merge_implIS3_N6thrust23THRUST_200600_302600_NS6detail15normal_iteratorINS9_10device_ptrIyEEEEPS5_jNS1_19radix_merge_compareILb0ELb1EyNS0_19identity_decomposerEEEEE10hipError_tT0_T1_T2_jT3_P12ihipStream_tbPNSt15iterator_traitsISK_E10value_typeEPNSQ_ISL_E10value_typeEPSM_NS1_7vsmem_tEENKUlT_SK_SL_SM_E_clIPySE_SF_SF_EESJ_SZ_SK_SL_SM_EUlSZ_E_NS1_11comp_targetILNS1_3genE9ELNS1_11target_archE1100ELNS1_3gpuE3ELNS1_3repE0EEENS1_48merge_mergepath_partition_config_static_selectorELNS0_4arch9wavefront6targetE1EEEvSL_,"axG",@progbits,_ZN7rocprim17ROCPRIM_400000_NS6detail17trampoline_kernelINS0_14default_configENS1_38merge_sort_block_merge_config_selectorIyNS0_10empty_typeEEEZZNS1_27merge_sort_block_merge_implIS3_N6thrust23THRUST_200600_302600_NS6detail15normal_iteratorINS9_10device_ptrIyEEEEPS5_jNS1_19radix_merge_compareILb0ELb1EyNS0_19identity_decomposerEEEEE10hipError_tT0_T1_T2_jT3_P12ihipStream_tbPNSt15iterator_traitsISK_E10value_typeEPNSQ_ISL_E10value_typeEPSM_NS1_7vsmem_tEENKUlT_SK_SL_SM_E_clIPySE_SF_SF_EESJ_SZ_SK_SL_SM_EUlSZ_E_NS1_11comp_targetILNS1_3genE9ELNS1_11target_archE1100ELNS1_3gpuE3ELNS1_3repE0EEENS1_48merge_mergepath_partition_config_static_selectorELNS0_4arch9wavefront6targetE1EEEvSL_,comdat
.Lfunc_end795:
	.size	_ZN7rocprim17ROCPRIM_400000_NS6detail17trampoline_kernelINS0_14default_configENS1_38merge_sort_block_merge_config_selectorIyNS0_10empty_typeEEEZZNS1_27merge_sort_block_merge_implIS3_N6thrust23THRUST_200600_302600_NS6detail15normal_iteratorINS9_10device_ptrIyEEEEPS5_jNS1_19radix_merge_compareILb0ELb1EyNS0_19identity_decomposerEEEEE10hipError_tT0_T1_T2_jT3_P12ihipStream_tbPNSt15iterator_traitsISK_E10value_typeEPNSQ_ISL_E10value_typeEPSM_NS1_7vsmem_tEENKUlT_SK_SL_SM_E_clIPySE_SF_SF_EESJ_SZ_SK_SL_SM_EUlSZ_E_NS1_11comp_targetILNS1_3genE9ELNS1_11target_archE1100ELNS1_3gpuE3ELNS1_3repE0EEENS1_48merge_mergepath_partition_config_static_selectorELNS0_4arch9wavefront6targetE1EEEvSL_, .Lfunc_end795-_ZN7rocprim17ROCPRIM_400000_NS6detail17trampoline_kernelINS0_14default_configENS1_38merge_sort_block_merge_config_selectorIyNS0_10empty_typeEEEZZNS1_27merge_sort_block_merge_implIS3_N6thrust23THRUST_200600_302600_NS6detail15normal_iteratorINS9_10device_ptrIyEEEEPS5_jNS1_19radix_merge_compareILb0ELb1EyNS0_19identity_decomposerEEEEE10hipError_tT0_T1_T2_jT3_P12ihipStream_tbPNSt15iterator_traitsISK_E10value_typeEPNSQ_ISL_E10value_typeEPSM_NS1_7vsmem_tEENKUlT_SK_SL_SM_E_clIPySE_SF_SF_EESJ_SZ_SK_SL_SM_EUlSZ_E_NS1_11comp_targetILNS1_3genE9ELNS1_11target_archE1100ELNS1_3gpuE3ELNS1_3repE0EEENS1_48merge_mergepath_partition_config_static_selectorELNS0_4arch9wavefront6targetE1EEEvSL_
                                        ; -- End function
	.section	.AMDGPU.csdata,"",@progbits
; Kernel info:
; codeLenInByte = 0
; NumSgprs: 6
; NumVgprs: 0
; NumAgprs: 0
; TotalNumVgprs: 0
; ScratchSize: 0
; MemoryBound: 0
; FloatMode: 240
; IeeeMode: 1
; LDSByteSize: 0 bytes/workgroup (compile time only)
; SGPRBlocks: 0
; VGPRBlocks: 0
; NumSGPRsForWavesPerEU: 6
; NumVGPRsForWavesPerEU: 1
; AccumOffset: 4
; Occupancy: 8
; WaveLimiterHint : 0
; COMPUTE_PGM_RSRC2:SCRATCH_EN: 0
; COMPUTE_PGM_RSRC2:USER_SGPR: 2
; COMPUTE_PGM_RSRC2:TRAP_HANDLER: 0
; COMPUTE_PGM_RSRC2:TGID_X_EN: 1
; COMPUTE_PGM_RSRC2:TGID_Y_EN: 0
; COMPUTE_PGM_RSRC2:TGID_Z_EN: 0
; COMPUTE_PGM_RSRC2:TIDIG_COMP_CNT: 0
; COMPUTE_PGM_RSRC3_GFX90A:ACCUM_OFFSET: 0
; COMPUTE_PGM_RSRC3_GFX90A:TG_SPLIT: 0
	.section	.text._ZN7rocprim17ROCPRIM_400000_NS6detail17trampoline_kernelINS0_14default_configENS1_38merge_sort_block_merge_config_selectorIyNS0_10empty_typeEEEZZNS1_27merge_sort_block_merge_implIS3_N6thrust23THRUST_200600_302600_NS6detail15normal_iteratorINS9_10device_ptrIyEEEEPS5_jNS1_19radix_merge_compareILb0ELb1EyNS0_19identity_decomposerEEEEE10hipError_tT0_T1_T2_jT3_P12ihipStream_tbPNSt15iterator_traitsISK_E10value_typeEPNSQ_ISL_E10value_typeEPSM_NS1_7vsmem_tEENKUlT_SK_SL_SM_E_clIPySE_SF_SF_EESJ_SZ_SK_SL_SM_EUlSZ_E_NS1_11comp_targetILNS1_3genE8ELNS1_11target_archE1030ELNS1_3gpuE2ELNS1_3repE0EEENS1_48merge_mergepath_partition_config_static_selectorELNS0_4arch9wavefront6targetE1EEEvSL_,"axG",@progbits,_ZN7rocprim17ROCPRIM_400000_NS6detail17trampoline_kernelINS0_14default_configENS1_38merge_sort_block_merge_config_selectorIyNS0_10empty_typeEEEZZNS1_27merge_sort_block_merge_implIS3_N6thrust23THRUST_200600_302600_NS6detail15normal_iteratorINS9_10device_ptrIyEEEEPS5_jNS1_19radix_merge_compareILb0ELb1EyNS0_19identity_decomposerEEEEE10hipError_tT0_T1_T2_jT3_P12ihipStream_tbPNSt15iterator_traitsISK_E10value_typeEPNSQ_ISL_E10value_typeEPSM_NS1_7vsmem_tEENKUlT_SK_SL_SM_E_clIPySE_SF_SF_EESJ_SZ_SK_SL_SM_EUlSZ_E_NS1_11comp_targetILNS1_3genE8ELNS1_11target_archE1030ELNS1_3gpuE2ELNS1_3repE0EEENS1_48merge_mergepath_partition_config_static_selectorELNS0_4arch9wavefront6targetE1EEEvSL_,comdat
	.protected	_ZN7rocprim17ROCPRIM_400000_NS6detail17trampoline_kernelINS0_14default_configENS1_38merge_sort_block_merge_config_selectorIyNS0_10empty_typeEEEZZNS1_27merge_sort_block_merge_implIS3_N6thrust23THRUST_200600_302600_NS6detail15normal_iteratorINS9_10device_ptrIyEEEEPS5_jNS1_19radix_merge_compareILb0ELb1EyNS0_19identity_decomposerEEEEE10hipError_tT0_T1_T2_jT3_P12ihipStream_tbPNSt15iterator_traitsISK_E10value_typeEPNSQ_ISL_E10value_typeEPSM_NS1_7vsmem_tEENKUlT_SK_SL_SM_E_clIPySE_SF_SF_EESJ_SZ_SK_SL_SM_EUlSZ_E_NS1_11comp_targetILNS1_3genE8ELNS1_11target_archE1030ELNS1_3gpuE2ELNS1_3repE0EEENS1_48merge_mergepath_partition_config_static_selectorELNS0_4arch9wavefront6targetE1EEEvSL_ ; -- Begin function _ZN7rocprim17ROCPRIM_400000_NS6detail17trampoline_kernelINS0_14default_configENS1_38merge_sort_block_merge_config_selectorIyNS0_10empty_typeEEEZZNS1_27merge_sort_block_merge_implIS3_N6thrust23THRUST_200600_302600_NS6detail15normal_iteratorINS9_10device_ptrIyEEEEPS5_jNS1_19radix_merge_compareILb0ELb1EyNS0_19identity_decomposerEEEEE10hipError_tT0_T1_T2_jT3_P12ihipStream_tbPNSt15iterator_traitsISK_E10value_typeEPNSQ_ISL_E10value_typeEPSM_NS1_7vsmem_tEENKUlT_SK_SL_SM_E_clIPySE_SF_SF_EESJ_SZ_SK_SL_SM_EUlSZ_E_NS1_11comp_targetILNS1_3genE8ELNS1_11target_archE1030ELNS1_3gpuE2ELNS1_3repE0EEENS1_48merge_mergepath_partition_config_static_selectorELNS0_4arch9wavefront6targetE1EEEvSL_
	.globl	_ZN7rocprim17ROCPRIM_400000_NS6detail17trampoline_kernelINS0_14default_configENS1_38merge_sort_block_merge_config_selectorIyNS0_10empty_typeEEEZZNS1_27merge_sort_block_merge_implIS3_N6thrust23THRUST_200600_302600_NS6detail15normal_iteratorINS9_10device_ptrIyEEEEPS5_jNS1_19radix_merge_compareILb0ELb1EyNS0_19identity_decomposerEEEEE10hipError_tT0_T1_T2_jT3_P12ihipStream_tbPNSt15iterator_traitsISK_E10value_typeEPNSQ_ISL_E10value_typeEPSM_NS1_7vsmem_tEENKUlT_SK_SL_SM_E_clIPySE_SF_SF_EESJ_SZ_SK_SL_SM_EUlSZ_E_NS1_11comp_targetILNS1_3genE8ELNS1_11target_archE1030ELNS1_3gpuE2ELNS1_3repE0EEENS1_48merge_mergepath_partition_config_static_selectorELNS0_4arch9wavefront6targetE1EEEvSL_
	.p2align	8
	.type	_ZN7rocprim17ROCPRIM_400000_NS6detail17trampoline_kernelINS0_14default_configENS1_38merge_sort_block_merge_config_selectorIyNS0_10empty_typeEEEZZNS1_27merge_sort_block_merge_implIS3_N6thrust23THRUST_200600_302600_NS6detail15normal_iteratorINS9_10device_ptrIyEEEEPS5_jNS1_19radix_merge_compareILb0ELb1EyNS0_19identity_decomposerEEEEE10hipError_tT0_T1_T2_jT3_P12ihipStream_tbPNSt15iterator_traitsISK_E10value_typeEPNSQ_ISL_E10value_typeEPSM_NS1_7vsmem_tEENKUlT_SK_SL_SM_E_clIPySE_SF_SF_EESJ_SZ_SK_SL_SM_EUlSZ_E_NS1_11comp_targetILNS1_3genE8ELNS1_11target_archE1030ELNS1_3gpuE2ELNS1_3repE0EEENS1_48merge_mergepath_partition_config_static_selectorELNS0_4arch9wavefront6targetE1EEEvSL_,@function
_ZN7rocprim17ROCPRIM_400000_NS6detail17trampoline_kernelINS0_14default_configENS1_38merge_sort_block_merge_config_selectorIyNS0_10empty_typeEEEZZNS1_27merge_sort_block_merge_implIS3_N6thrust23THRUST_200600_302600_NS6detail15normal_iteratorINS9_10device_ptrIyEEEEPS5_jNS1_19radix_merge_compareILb0ELb1EyNS0_19identity_decomposerEEEEE10hipError_tT0_T1_T2_jT3_P12ihipStream_tbPNSt15iterator_traitsISK_E10value_typeEPNSQ_ISL_E10value_typeEPSM_NS1_7vsmem_tEENKUlT_SK_SL_SM_E_clIPySE_SF_SF_EESJ_SZ_SK_SL_SM_EUlSZ_E_NS1_11comp_targetILNS1_3genE8ELNS1_11target_archE1030ELNS1_3gpuE2ELNS1_3repE0EEENS1_48merge_mergepath_partition_config_static_selectorELNS0_4arch9wavefront6targetE1EEEvSL_: ; @_ZN7rocprim17ROCPRIM_400000_NS6detail17trampoline_kernelINS0_14default_configENS1_38merge_sort_block_merge_config_selectorIyNS0_10empty_typeEEEZZNS1_27merge_sort_block_merge_implIS3_N6thrust23THRUST_200600_302600_NS6detail15normal_iteratorINS9_10device_ptrIyEEEEPS5_jNS1_19radix_merge_compareILb0ELb1EyNS0_19identity_decomposerEEEEE10hipError_tT0_T1_T2_jT3_P12ihipStream_tbPNSt15iterator_traitsISK_E10value_typeEPNSQ_ISL_E10value_typeEPSM_NS1_7vsmem_tEENKUlT_SK_SL_SM_E_clIPySE_SF_SF_EESJ_SZ_SK_SL_SM_EUlSZ_E_NS1_11comp_targetILNS1_3genE8ELNS1_11target_archE1030ELNS1_3gpuE2ELNS1_3repE0EEENS1_48merge_mergepath_partition_config_static_selectorELNS0_4arch9wavefront6targetE1EEEvSL_
; %bb.0:
	.section	.rodata,"a",@progbits
	.p2align	6, 0x0
	.amdhsa_kernel _ZN7rocprim17ROCPRIM_400000_NS6detail17trampoline_kernelINS0_14default_configENS1_38merge_sort_block_merge_config_selectorIyNS0_10empty_typeEEEZZNS1_27merge_sort_block_merge_implIS3_N6thrust23THRUST_200600_302600_NS6detail15normal_iteratorINS9_10device_ptrIyEEEEPS5_jNS1_19radix_merge_compareILb0ELb1EyNS0_19identity_decomposerEEEEE10hipError_tT0_T1_T2_jT3_P12ihipStream_tbPNSt15iterator_traitsISK_E10value_typeEPNSQ_ISL_E10value_typeEPSM_NS1_7vsmem_tEENKUlT_SK_SL_SM_E_clIPySE_SF_SF_EESJ_SZ_SK_SL_SM_EUlSZ_E_NS1_11comp_targetILNS1_3genE8ELNS1_11target_archE1030ELNS1_3gpuE2ELNS1_3repE0EEENS1_48merge_mergepath_partition_config_static_selectorELNS0_4arch9wavefront6targetE1EEEvSL_
		.amdhsa_group_segment_fixed_size 0
		.amdhsa_private_segment_fixed_size 0
		.amdhsa_kernarg_size 40
		.amdhsa_user_sgpr_count 2
		.amdhsa_user_sgpr_dispatch_ptr 0
		.amdhsa_user_sgpr_queue_ptr 0
		.amdhsa_user_sgpr_kernarg_segment_ptr 1
		.amdhsa_user_sgpr_dispatch_id 0
		.amdhsa_user_sgpr_kernarg_preload_length 0
		.amdhsa_user_sgpr_kernarg_preload_offset 0
		.amdhsa_user_sgpr_private_segment_size 0
		.amdhsa_uses_dynamic_stack 0
		.amdhsa_enable_private_segment 0
		.amdhsa_system_sgpr_workgroup_id_x 1
		.amdhsa_system_sgpr_workgroup_id_y 0
		.amdhsa_system_sgpr_workgroup_id_z 0
		.amdhsa_system_sgpr_workgroup_info 0
		.amdhsa_system_vgpr_workitem_id 0
		.amdhsa_next_free_vgpr 1
		.amdhsa_next_free_sgpr 0
		.amdhsa_accum_offset 4
		.amdhsa_reserve_vcc 0
		.amdhsa_float_round_mode_32 0
		.amdhsa_float_round_mode_16_64 0
		.amdhsa_float_denorm_mode_32 3
		.amdhsa_float_denorm_mode_16_64 3
		.amdhsa_dx10_clamp 1
		.amdhsa_ieee_mode 1
		.amdhsa_fp16_overflow 0
		.amdhsa_tg_split 0
		.amdhsa_exception_fp_ieee_invalid_op 0
		.amdhsa_exception_fp_denorm_src 0
		.amdhsa_exception_fp_ieee_div_zero 0
		.amdhsa_exception_fp_ieee_overflow 0
		.amdhsa_exception_fp_ieee_underflow 0
		.amdhsa_exception_fp_ieee_inexact 0
		.amdhsa_exception_int_div_zero 0
	.end_amdhsa_kernel
	.section	.text._ZN7rocprim17ROCPRIM_400000_NS6detail17trampoline_kernelINS0_14default_configENS1_38merge_sort_block_merge_config_selectorIyNS0_10empty_typeEEEZZNS1_27merge_sort_block_merge_implIS3_N6thrust23THRUST_200600_302600_NS6detail15normal_iteratorINS9_10device_ptrIyEEEEPS5_jNS1_19radix_merge_compareILb0ELb1EyNS0_19identity_decomposerEEEEE10hipError_tT0_T1_T2_jT3_P12ihipStream_tbPNSt15iterator_traitsISK_E10value_typeEPNSQ_ISL_E10value_typeEPSM_NS1_7vsmem_tEENKUlT_SK_SL_SM_E_clIPySE_SF_SF_EESJ_SZ_SK_SL_SM_EUlSZ_E_NS1_11comp_targetILNS1_3genE8ELNS1_11target_archE1030ELNS1_3gpuE2ELNS1_3repE0EEENS1_48merge_mergepath_partition_config_static_selectorELNS0_4arch9wavefront6targetE1EEEvSL_,"axG",@progbits,_ZN7rocprim17ROCPRIM_400000_NS6detail17trampoline_kernelINS0_14default_configENS1_38merge_sort_block_merge_config_selectorIyNS0_10empty_typeEEEZZNS1_27merge_sort_block_merge_implIS3_N6thrust23THRUST_200600_302600_NS6detail15normal_iteratorINS9_10device_ptrIyEEEEPS5_jNS1_19radix_merge_compareILb0ELb1EyNS0_19identity_decomposerEEEEE10hipError_tT0_T1_T2_jT3_P12ihipStream_tbPNSt15iterator_traitsISK_E10value_typeEPNSQ_ISL_E10value_typeEPSM_NS1_7vsmem_tEENKUlT_SK_SL_SM_E_clIPySE_SF_SF_EESJ_SZ_SK_SL_SM_EUlSZ_E_NS1_11comp_targetILNS1_3genE8ELNS1_11target_archE1030ELNS1_3gpuE2ELNS1_3repE0EEENS1_48merge_mergepath_partition_config_static_selectorELNS0_4arch9wavefront6targetE1EEEvSL_,comdat
.Lfunc_end796:
	.size	_ZN7rocprim17ROCPRIM_400000_NS6detail17trampoline_kernelINS0_14default_configENS1_38merge_sort_block_merge_config_selectorIyNS0_10empty_typeEEEZZNS1_27merge_sort_block_merge_implIS3_N6thrust23THRUST_200600_302600_NS6detail15normal_iteratorINS9_10device_ptrIyEEEEPS5_jNS1_19radix_merge_compareILb0ELb1EyNS0_19identity_decomposerEEEEE10hipError_tT0_T1_T2_jT3_P12ihipStream_tbPNSt15iterator_traitsISK_E10value_typeEPNSQ_ISL_E10value_typeEPSM_NS1_7vsmem_tEENKUlT_SK_SL_SM_E_clIPySE_SF_SF_EESJ_SZ_SK_SL_SM_EUlSZ_E_NS1_11comp_targetILNS1_3genE8ELNS1_11target_archE1030ELNS1_3gpuE2ELNS1_3repE0EEENS1_48merge_mergepath_partition_config_static_selectorELNS0_4arch9wavefront6targetE1EEEvSL_, .Lfunc_end796-_ZN7rocprim17ROCPRIM_400000_NS6detail17trampoline_kernelINS0_14default_configENS1_38merge_sort_block_merge_config_selectorIyNS0_10empty_typeEEEZZNS1_27merge_sort_block_merge_implIS3_N6thrust23THRUST_200600_302600_NS6detail15normal_iteratorINS9_10device_ptrIyEEEEPS5_jNS1_19radix_merge_compareILb0ELb1EyNS0_19identity_decomposerEEEEE10hipError_tT0_T1_T2_jT3_P12ihipStream_tbPNSt15iterator_traitsISK_E10value_typeEPNSQ_ISL_E10value_typeEPSM_NS1_7vsmem_tEENKUlT_SK_SL_SM_E_clIPySE_SF_SF_EESJ_SZ_SK_SL_SM_EUlSZ_E_NS1_11comp_targetILNS1_3genE8ELNS1_11target_archE1030ELNS1_3gpuE2ELNS1_3repE0EEENS1_48merge_mergepath_partition_config_static_selectorELNS0_4arch9wavefront6targetE1EEEvSL_
                                        ; -- End function
	.section	.AMDGPU.csdata,"",@progbits
; Kernel info:
; codeLenInByte = 0
; NumSgprs: 6
; NumVgprs: 0
; NumAgprs: 0
; TotalNumVgprs: 0
; ScratchSize: 0
; MemoryBound: 0
; FloatMode: 240
; IeeeMode: 1
; LDSByteSize: 0 bytes/workgroup (compile time only)
; SGPRBlocks: 0
; VGPRBlocks: 0
; NumSGPRsForWavesPerEU: 6
; NumVGPRsForWavesPerEU: 1
; AccumOffset: 4
; Occupancy: 8
; WaveLimiterHint : 0
; COMPUTE_PGM_RSRC2:SCRATCH_EN: 0
; COMPUTE_PGM_RSRC2:USER_SGPR: 2
; COMPUTE_PGM_RSRC2:TRAP_HANDLER: 0
; COMPUTE_PGM_RSRC2:TGID_X_EN: 1
; COMPUTE_PGM_RSRC2:TGID_Y_EN: 0
; COMPUTE_PGM_RSRC2:TGID_Z_EN: 0
; COMPUTE_PGM_RSRC2:TIDIG_COMP_CNT: 0
; COMPUTE_PGM_RSRC3_GFX90A:ACCUM_OFFSET: 0
; COMPUTE_PGM_RSRC3_GFX90A:TG_SPLIT: 0
	.section	.text._ZN7rocprim17ROCPRIM_400000_NS6detail17trampoline_kernelINS0_14default_configENS1_38merge_sort_block_merge_config_selectorIyNS0_10empty_typeEEEZZNS1_27merge_sort_block_merge_implIS3_N6thrust23THRUST_200600_302600_NS6detail15normal_iteratorINS9_10device_ptrIyEEEEPS5_jNS1_19radix_merge_compareILb0ELb1EyNS0_19identity_decomposerEEEEE10hipError_tT0_T1_T2_jT3_P12ihipStream_tbPNSt15iterator_traitsISK_E10value_typeEPNSQ_ISL_E10value_typeEPSM_NS1_7vsmem_tEENKUlT_SK_SL_SM_E_clIPySE_SF_SF_EESJ_SZ_SK_SL_SM_EUlSZ_E0_NS1_11comp_targetILNS1_3genE0ELNS1_11target_archE4294967295ELNS1_3gpuE0ELNS1_3repE0EEENS1_38merge_mergepath_config_static_selectorELNS0_4arch9wavefront6targetE1EEEvSL_,"axG",@progbits,_ZN7rocprim17ROCPRIM_400000_NS6detail17trampoline_kernelINS0_14default_configENS1_38merge_sort_block_merge_config_selectorIyNS0_10empty_typeEEEZZNS1_27merge_sort_block_merge_implIS3_N6thrust23THRUST_200600_302600_NS6detail15normal_iteratorINS9_10device_ptrIyEEEEPS5_jNS1_19radix_merge_compareILb0ELb1EyNS0_19identity_decomposerEEEEE10hipError_tT0_T1_T2_jT3_P12ihipStream_tbPNSt15iterator_traitsISK_E10value_typeEPNSQ_ISL_E10value_typeEPSM_NS1_7vsmem_tEENKUlT_SK_SL_SM_E_clIPySE_SF_SF_EESJ_SZ_SK_SL_SM_EUlSZ_E0_NS1_11comp_targetILNS1_3genE0ELNS1_11target_archE4294967295ELNS1_3gpuE0ELNS1_3repE0EEENS1_38merge_mergepath_config_static_selectorELNS0_4arch9wavefront6targetE1EEEvSL_,comdat
	.protected	_ZN7rocprim17ROCPRIM_400000_NS6detail17trampoline_kernelINS0_14default_configENS1_38merge_sort_block_merge_config_selectorIyNS0_10empty_typeEEEZZNS1_27merge_sort_block_merge_implIS3_N6thrust23THRUST_200600_302600_NS6detail15normal_iteratorINS9_10device_ptrIyEEEEPS5_jNS1_19radix_merge_compareILb0ELb1EyNS0_19identity_decomposerEEEEE10hipError_tT0_T1_T2_jT3_P12ihipStream_tbPNSt15iterator_traitsISK_E10value_typeEPNSQ_ISL_E10value_typeEPSM_NS1_7vsmem_tEENKUlT_SK_SL_SM_E_clIPySE_SF_SF_EESJ_SZ_SK_SL_SM_EUlSZ_E0_NS1_11comp_targetILNS1_3genE0ELNS1_11target_archE4294967295ELNS1_3gpuE0ELNS1_3repE0EEENS1_38merge_mergepath_config_static_selectorELNS0_4arch9wavefront6targetE1EEEvSL_ ; -- Begin function _ZN7rocprim17ROCPRIM_400000_NS6detail17trampoline_kernelINS0_14default_configENS1_38merge_sort_block_merge_config_selectorIyNS0_10empty_typeEEEZZNS1_27merge_sort_block_merge_implIS3_N6thrust23THRUST_200600_302600_NS6detail15normal_iteratorINS9_10device_ptrIyEEEEPS5_jNS1_19radix_merge_compareILb0ELb1EyNS0_19identity_decomposerEEEEE10hipError_tT0_T1_T2_jT3_P12ihipStream_tbPNSt15iterator_traitsISK_E10value_typeEPNSQ_ISL_E10value_typeEPSM_NS1_7vsmem_tEENKUlT_SK_SL_SM_E_clIPySE_SF_SF_EESJ_SZ_SK_SL_SM_EUlSZ_E0_NS1_11comp_targetILNS1_3genE0ELNS1_11target_archE4294967295ELNS1_3gpuE0ELNS1_3repE0EEENS1_38merge_mergepath_config_static_selectorELNS0_4arch9wavefront6targetE1EEEvSL_
	.globl	_ZN7rocprim17ROCPRIM_400000_NS6detail17trampoline_kernelINS0_14default_configENS1_38merge_sort_block_merge_config_selectorIyNS0_10empty_typeEEEZZNS1_27merge_sort_block_merge_implIS3_N6thrust23THRUST_200600_302600_NS6detail15normal_iteratorINS9_10device_ptrIyEEEEPS5_jNS1_19radix_merge_compareILb0ELb1EyNS0_19identity_decomposerEEEEE10hipError_tT0_T1_T2_jT3_P12ihipStream_tbPNSt15iterator_traitsISK_E10value_typeEPNSQ_ISL_E10value_typeEPSM_NS1_7vsmem_tEENKUlT_SK_SL_SM_E_clIPySE_SF_SF_EESJ_SZ_SK_SL_SM_EUlSZ_E0_NS1_11comp_targetILNS1_3genE0ELNS1_11target_archE4294967295ELNS1_3gpuE0ELNS1_3repE0EEENS1_38merge_mergepath_config_static_selectorELNS0_4arch9wavefront6targetE1EEEvSL_
	.p2align	8
	.type	_ZN7rocprim17ROCPRIM_400000_NS6detail17trampoline_kernelINS0_14default_configENS1_38merge_sort_block_merge_config_selectorIyNS0_10empty_typeEEEZZNS1_27merge_sort_block_merge_implIS3_N6thrust23THRUST_200600_302600_NS6detail15normal_iteratorINS9_10device_ptrIyEEEEPS5_jNS1_19radix_merge_compareILb0ELb1EyNS0_19identity_decomposerEEEEE10hipError_tT0_T1_T2_jT3_P12ihipStream_tbPNSt15iterator_traitsISK_E10value_typeEPNSQ_ISL_E10value_typeEPSM_NS1_7vsmem_tEENKUlT_SK_SL_SM_E_clIPySE_SF_SF_EESJ_SZ_SK_SL_SM_EUlSZ_E0_NS1_11comp_targetILNS1_3genE0ELNS1_11target_archE4294967295ELNS1_3gpuE0ELNS1_3repE0EEENS1_38merge_mergepath_config_static_selectorELNS0_4arch9wavefront6targetE1EEEvSL_,@function
_ZN7rocprim17ROCPRIM_400000_NS6detail17trampoline_kernelINS0_14default_configENS1_38merge_sort_block_merge_config_selectorIyNS0_10empty_typeEEEZZNS1_27merge_sort_block_merge_implIS3_N6thrust23THRUST_200600_302600_NS6detail15normal_iteratorINS9_10device_ptrIyEEEEPS5_jNS1_19radix_merge_compareILb0ELb1EyNS0_19identity_decomposerEEEEE10hipError_tT0_T1_T2_jT3_P12ihipStream_tbPNSt15iterator_traitsISK_E10value_typeEPNSQ_ISL_E10value_typeEPSM_NS1_7vsmem_tEENKUlT_SK_SL_SM_E_clIPySE_SF_SF_EESJ_SZ_SK_SL_SM_EUlSZ_E0_NS1_11comp_targetILNS1_3genE0ELNS1_11target_archE4294967295ELNS1_3gpuE0ELNS1_3repE0EEENS1_38merge_mergepath_config_static_selectorELNS0_4arch9wavefront6targetE1EEEvSL_: ; @_ZN7rocprim17ROCPRIM_400000_NS6detail17trampoline_kernelINS0_14default_configENS1_38merge_sort_block_merge_config_selectorIyNS0_10empty_typeEEEZZNS1_27merge_sort_block_merge_implIS3_N6thrust23THRUST_200600_302600_NS6detail15normal_iteratorINS9_10device_ptrIyEEEEPS5_jNS1_19radix_merge_compareILb0ELb1EyNS0_19identity_decomposerEEEEE10hipError_tT0_T1_T2_jT3_P12ihipStream_tbPNSt15iterator_traitsISK_E10value_typeEPNSQ_ISL_E10value_typeEPSM_NS1_7vsmem_tEENKUlT_SK_SL_SM_E_clIPySE_SF_SF_EESJ_SZ_SK_SL_SM_EUlSZ_E0_NS1_11comp_targetILNS1_3genE0ELNS1_11target_archE4294967295ELNS1_3gpuE0ELNS1_3repE0EEENS1_38merge_mergepath_config_static_selectorELNS0_4arch9wavefront6targetE1EEEvSL_
; %bb.0:
	.section	.rodata,"a",@progbits
	.p2align	6, 0x0
	.amdhsa_kernel _ZN7rocprim17ROCPRIM_400000_NS6detail17trampoline_kernelINS0_14default_configENS1_38merge_sort_block_merge_config_selectorIyNS0_10empty_typeEEEZZNS1_27merge_sort_block_merge_implIS3_N6thrust23THRUST_200600_302600_NS6detail15normal_iteratorINS9_10device_ptrIyEEEEPS5_jNS1_19radix_merge_compareILb0ELb1EyNS0_19identity_decomposerEEEEE10hipError_tT0_T1_T2_jT3_P12ihipStream_tbPNSt15iterator_traitsISK_E10value_typeEPNSQ_ISL_E10value_typeEPSM_NS1_7vsmem_tEENKUlT_SK_SL_SM_E_clIPySE_SF_SF_EESJ_SZ_SK_SL_SM_EUlSZ_E0_NS1_11comp_targetILNS1_3genE0ELNS1_11target_archE4294967295ELNS1_3gpuE0ELNS1_3repE0EEENS1_38merge_mergepath_config_static_selectorELNS0_4arch9wavefront6targetE1EEEvSL_
		.amdhsa_group_segment_fixed_size 0
		.amdhsa_private_segment_fixed_size 0
		.amdhsa_kernarg_size 72
		.amdhsa_user_sgpr_count 2
		.amdhsa_user_sgpr_dispatch_ptr 0
		.amdhsa_user_sgpr_queue_ptr 0
		.amdhsa_user_sgpr_kernarg_segment_ptr 1
		.amdhsa_user_sgpr_dispatch_id 0
		.amdhsa_user_sgpr_kernarg_preload_length 0
		.amdhsa_user_sgpr_kernarg_preload_offset 0
		.amdhsa_user_sgpr_private_segment_size 0
		.amdhsa_uses_dynamic_stack 0
		.amdhsa_enable_private_segment 0
		.amdhsa_system_sgpr_workgroup_id_x 1
		.amdhsa_system_sgpr_workgroup_id_y 0
		.amdhsa_system_sgpr_workgroup_id_z 0
		.amdhsa_system_sgpr_workgroup_info 0
		.amdhsa_system_vgpr_workitem_id 0
		.amdhsa_next_free_vgpr 1
		.amdhsa_next_free_sgpr 0
		.amdhsa_accum_offset 4
		.amdhsa_reserve_vcc 0
		.amdhsa_float_round_mode_32 0
		.amdhsa_float_round_mode_16_64 0
		.amdhsa_float_denorm_mode_32 3
		.amdhsa_float_denorm_mode_16_64 3
		.amdhsa_dx10_clamp 1
		.amdhsa_ieee_mode 1
		.amdhsa_fp16_overflow 0
		.amdhsa_tg_split 0
		.amdhsa_exception_fp_ieee_invalid_op 0
		.amdhsa_exception_fp_denorm_src 0
		.amdhsa_exception_fp_ieee_div_zero 0
		.amdhsa_exception_fp_ieee_overflow 0
		.amdhsa_exception_fp_ieee_underflow 0
		.amdhsa_exception_fp_ieee_inexact 0
		.amdhsa_exception_int_div_zero 0
	.end_amdhsa_kernel
	.section	.text._ZN7rocprim17ROCPRIM_400000_NS6detail17trampoline_kernelINS0_14default_configENS1_38merge_sort_block_merge_config_selectorIyNS0_10empty_typeEEEZZNS1_27merge_sort_block_merge_implIS3_N6thrust23THRUST_200600_302600_NS6detail15normal_iteratorINS9_10device_ptrIyEEEEPS5_jNS1_19radix_merge_compareILb0ELb1EyNS0_19identity_decomposerEEEEE10hipError_tT0_T1_T2_jT3_P12ihipStream_tbPNSt15iterator_traitsISK_E10value_typeEPNSQ_ISL_E10value_typeEPSM_NS1_7vsmem_tEENKUlT_SK_SL_SM_E_clIPySE_SF_SF_EESJ_SZ_SK_SL_SM_EUlSZ_E0_NS1_11comp_targetILNS1_3genE0ELNS1_11target_archE4294967295ELNS1_3gpuE0ELNS1_3repE0EEENS1_38merge_mergepath_config_static_selectorELNS0_4arch9wavefront6targetE1EEEvSL_,"axG",@progbits,_ZN7rocprim17ROCPRIM_400000_NS6detail17trampoline_kernelINS0_14default_configENS1_38merge_sort_block_merge_config_selectorIyNS0_10empty_typeEEEZZNS1_27merge_sort_block_merge_implIS3_N6thrust23THRUST_200600_302600_NS6detail15normal_iteratorINS9_10device_ptrIyEEEEPS5_jNS1_19radix_merge_compareILb0ELb1EyNS0_19identity_decomposerEEEEE10hipError_tT0_T1_T2_jT3_P12ihipStream_tbPNSt15iterator_traitsISK_E10value_typeEPNSQ_ISL_E10value_typeEPSM_NS1_7vsmem_tEENKUlT_SK_SL_SM_E_clIPySE_SF_SF_EESJ_SZ_SK_SL_SM_EUlSZ_E0_NS1_11comp_targetILNS1_3genE0ELNS1_11target_archE4294967295ELNS1_3gpuE0ELNS1_3repE0EEENS1_38merge_mergepath_config_static_selectorELNS0_4arch9wavefront6targetE1EEEvSL_,comdat
.Lfunc_end797:
	.size	_ZN7rocprim17ROCPRIM_400000_NS6detail17trampoline_kernelINS0_14default_configENS1_38merge_sort_block_merge_config_selectorIyNS0_10empty_typeEEEZZNS1_27merge_sort_block_merge_implIS3_N6thrust23THRUST_200600_302600_NS6detail15normal_iteratorINS9_10device_ptrIyEEEEPS5_jNS1_19radix_merge_compareILb0ELb1EyNS0_19identity_decomposerEEEEE10hipError_tT0_T1_T2_jT3_P12ihipStream_tbPNSt15iterator_traitsISK_E10value_typeEPNSQ_ISL_E10value_typeEPSM_NS1_7vsmem_tEENKUlT_SK_SL_SM_E_clIPySE_SF_SF_EESJ_SZ_SK_SL_SM_EUlSZ_E0_NS1_11comp_targetILNS1_3genE0ELNS1_11target_archE4294967295ELNS1_3gpuE0ELNS1_3repE0EEENS1_38merge_mergepath_config_static_selectorELNS0_4arch9wavefront6targetE1EEEvSL_, .Lfunc_end797-_ZN7rocprim17ROCPRIM_400000_NS6detail17trampoline_kernelINS0_14default_configENS1_38merge_sort_block_merge_config_selectorIyNS0_10empty_typeEEEZZNS1_27merge_sort_block_merge_implIS3_N6thrust23THRUST_200600_302600_NS6detail15normal_iteratorINS9_10device_ptrIyEEEEPS5_jNS1_19radix_merge_compareILb0ELb1EyNS0_19identity_decomposerEEEEE10hipError_tT0_T1_T2_jT3_P12ihipStream_tbPNSt15iterator_traitsISK_E10value_typeEPNSQ_ISL_E10value_typeEPSM_NS1_7vsmem_tEENKUlT_SK_SL_SM_E_clIPySE_SF_SF_EESJ_SZ_SK_SL_SM_EUlSZ_E0_NS1_11comp_targetILNS1_3genE0ELNS1_11target_archE4294967295ELNS1_3gpuE0ELNS1_3repE0EEENS1_38merge_mergepath_config_static_selectorELNS0_4arch9wavefront6targetE1EEEvSL_
                                        ; -- End function
	.section	.AMDGPU.csdata,"",@progbits
; Kernel info:
; codeLenInByte = 0
; NumSgprs: 6
; NumVgprs: 0
; NumAgprs: 0
; TotalNumVgprs: 0
; ScratchSize: 0
; MemoryBound: 0
; FloatMode: 240
; IeeeMode: 1
; LDSByteSize: 0 bytes/workgroup (compile time only)
; SGPRBlocks: 0
; VGPRBlocks: 0
; NumSGPRsForWavesPerEU: 6
; NumVGPRsForWavesPerEU: 1
; AccumOffset: 4
; Occupancy: 8
; WaveLimiterHint : 0
; COMPUTE_PGM_RSRC2:SCRATCH_EN: 0
; COMPUTE_PGM_RSRC2:USER_SGPR: 2
; COMPUTE_PGM_RSRC2:TRAP_HANDLER: 0
; COMPUTE_PGM_RSRC2:TGID_X_EN: 1
; COMPUTE_PGM_RSRC2:TGID_Y_EN: 0
; COMPUTE_PGM_RSRC2:TGID_Z_EN: 0
; COMPUTE_PGM_RSRC2:TIDIG_COMP_CNT: 0
; COMPUTE_PGM_RSRC3_GFX90A:ACCUM_OFFSET: 0
; COMPUTE_PGM_RSRC3_GFX90A:TG_SPLIT: 0
	.section	.text._ZN7rocprim17ROCPRIM_400000_NS6detail17trampoline_kernelINS0_14default_configENS1_38merge_sort_block_merge_config_selectorIyNS0_10empty_typeEEEZZNS1_27merge_sort_block_merge_implIS3_N6thrust23THRUST_200600_302600_NS6detail15normal_iteratorINS9_10device_ptrIyEEEEPS5_jNS1_19radix_merge_compareILb0ELb1EyNS0_19identity_decomposerEEEEE10hipError_tT0_T1_T2_jT3_P12ihipStream_tbPNSt15iterator_traitsISK_E10value_typeEPNSQ_ISL_E10value_typeEPSM_NS1_7vsmem_tEENKUlT_SK_SL_SM_E_clIPySE_SF_SF_EESJ_SZ_SK_SL_SM_EUlSZ_E0_NS1_11comp_targetILNS1_3genE10ELNS1_11target_archE1201ELNS1_3gpuE5ELNS1_3repE0EEENS1_38merge_mergepath_config_static_selectorELNS0_4arch9wavefront6targetE1EEEvSL_,"axG",@progbits,_ZN7rocprim17ROCPRIM_400000_NS6detail17trampoline_kernelINS0_14default_configENS1_38merge_sort_block_merge_config_selectorIyNS0_10empty_typeEEEZZNS1_27merge_sort_block_merge_implIS3_N6thrust23THRUST_200600_302600_NS6detail15normal_iteratorINS9_10device_ptrIyEEEEPS5_jNS1_19radix_merge_compareILb0ELb1EyNS0_19identity_decomposerEEEEE10hipError_tT0_T1_T2_jT3_P12ihipStream_tbPNSt15iterator_traitsISK_E10value_typeEPNSQ_ISL_E10value_typeEPSM_NS1_7vsmem_tEENKUlT_SK_SL_SM_E_clIPySE_SF_SF_EESJ_SZ_SK_SL_SM_EUlSZ_E0_NS1_11comp_targetILNS1_3genE10ELNS1_11target_archE1201ELNS1_3gpuE5ELNS1_3repE0EEENS1_38merge_mergepath_config_static_selectorELNS0_4arch9wavefront6targetE1EEEvSL_,comdat
	.protected	_ZN7rocprim17ROCPRIM_400000_NS6detail17trampoline_kernelINS0_14default_configENS1_38merge_sort_block_merge_config_selectorIyNS0_10empty_typeEEEZZNS1_27merge_sort_block_merge_implIS3_N6thrust23THRUST_200600_302600_NS6detail15normal_iteratorINS9_10device_ptrIyEEEEPS5_jNS1_19radix_merge_compareILb0ELb1EyNS0_19identity_decomposerEEEEE10hipError_tT0_T1_T2_jT3_P12ihipStream_tbPNSt15iterator_traitsISK_E10value_typeEPNSQ_ISL_E10value_typeEPSM_NS1_7vsmem_tEENKUlT_SK_SL_SM_E_clIPySE_SF_SF_EESJ_SZ_SK_SL_SM_EUlSZ_E0_NS1_11comp_targetILNS1_3genE10ELNS1_11target_archE1201ELNS1_3gpuE5ELNS1_3repE0EEENS1_38merge_mergepath_config_static_selectorELNS0_4arch9wavefront6targetE1EEEvSL_ ; -- Begin function _ZN7rocprim17ROCPRIM_400000_NS6detail17trampoline_kernelINS0_14default_configENS1_38merge_sort_block_merge_config_selectorIyNS0_10empty_typeEEEZZNS1_27merge_sort_block_merge_implIS3_N6thrust23THRUST_200600_302600_NS6detail15normal_iteratorINS9_10device_ptrIyEEEEPS5_jNS1_19radix_merge_compareILb0ELb1EyNS0_19identity_decomposerEEEEE10hipError_tT0_T1_T2_jT3_P12ihipStream_tbPNSt15iterator_traitsISK_E10value_typeEPNSQ_ISL_E10value_typeEPSM_NS1_7vsmem_tEENKUlT_SK_SL_SM_E_clIPySE_SF_SF_EESJ_SZ_SK_SL_SM_EUlSZ_E0_NS1_11comp_targetILNS1_3genE10ELNS1_11target_archE1201ELNS1_3gpuE5ELNS1_3repE0EEENS1_38merge_mergepath_config_static_selectorELNS0_4arch9wavefront6targetE1EEEvSL_
	.globl	_ZN7rocprim17ROCPRIM_400000_NS6detail17trampoline_kernelINS0_14default_configENS1_38merge_sort_block_merge_config_selectorIyNS0_10empty_typeEEEZZNS1_27merge_sort_block_merge_implIS3_N6thrust23THRUST_200600_302600_NS6detail15normal_iteratorINS9_10device_ptrIyEEEEPS5_jNS1_19radix_merge_compareILb0ELb1EyNS0_19identity_decomposerEEEEE10hipError_tT0_T1_T2_jT3_P12ihipStream_tbPNSt15iterator_traitsISK_E10value_typeEPNSQ_ISL_E10value_typeEPSM_NS1_7vsmem_tEENKUlT_SK_SL_SM_E_clIPySE_SF_SF_EESJ_SZ_SK_SL_SM_EUlSZ_E0_NS1_11comp_targetILNS1_3genE10ELNS1_11target_archE1201ELNS1_3gpuE5ELNS1_3repE0EEENS1_38merge_mergepath_config_static_selectorELNS0_4arch9wavefront6targetE1EEEvSL_
	.p2align	8
	.type	_ZN7rocprim17ROCPRIM_400000_NS6detail17trampoline_kernelINS0_14default_configENS1_38merge_sort_block_merge_config_selectorIyNS0_10empty_typeEEEZZNS1_27merge_sort_block_merge_implIS3_N6thrust23THRUST_200600_302600_NS6detail15normal_iteratorINS9_10device_ptrIyEEEEPS5_jNS1_19radix_merge_compareILb0ELb1EyNS0_19identity_decomposerEEEEE10hipError_tT0_T1_T2_jT3_P12ihipStream_tbPNSt15iterator_traitsISK_E10value_typeEPNSQ_ISL_E10value_typeEPSM_NS1_7vsmem_tEENKUlT_SK_SL_SM_E_clIPySE_SF_SF_EESJ_SZ_SK_SL_SM_EUlSZ_E0_NS1_11comp_targetILNS1_3genE10ELNS1_11target_archE1201ELNS1_3gpuE5ELNS1_3repE0EEENS1_38merge_mergepath_config_static_selectorELNS0_4arch9wavefront6targetE1EEEvSL_,@function
_ZN7rocprim17ROCPRIM_400000_NS6detail17trampoline_kernelINS0_14default_configENS1_38merge_sort_block_merge_config_selectorIyNS0_10empty_typeEEEZZNS1_27merge_sort_block_merge_implIS3_N6thrust23THRUST_200600_302600_NS6detail15normal_iteratorINS9_10device_ptrIyEEEEPS5_jNS1_19radix_merge_compareILb0ELb1EyNS0_19identity_decomposerEEEEE10hipError_tT0_T1_T2_jT3_P12ihipStream_tbPNSt15iterator_traitsISK_E10value_typeEPNSQ_ISL_E10value_typeEPSM_NS1_7vsmem_tEENKUlT_SK_SL_SM_E_clIPySE_SF_SF_EESJ_SZ_SK_SL_SM_EUlSZ_E0_NS1_11comp_targetILNS1_3genE10ELNS1_11target_archE1201ELNS1_3gpuE5ELNS1_3repE0EEENS1_38merge_mergepath_config_static_selectorELNS0_4arch9wavefront6targetE1EEEvSL_: ; @_ZN7rocprim17ROCPRIM_400000_NS6detail17trampoline_kernelINS0_14default_configENS1_38merge_sort_block_merge_config_selectorIyNS0_10empty_typeEEEZZNS1_27merge_sort_block_merge_implIS3_N6thrust23THRUST_200600_302600_NS6detail15normal_iteratorINS9_10device_ptrIyEEEEPS5_jNS1_19radix_merge_compareILb0ELb1EyNS0_19identity_decomposerEEEEE10hipError_tT0_T1_T2_jT3_P12ihipStream_tbPNSt15iterator_traitsISK_E10value_typeEPNSQ_ISL_E10value_typeEPSM_NS1_7vsmem_tEENKUlT_SK_SL_SM_E_clIPySE_SF_SF_EESJ_SZ_SK_SL_SM_EUlSZ_E0_NS1_11comp_targetILNS1_3genE10ELNS1_11target_archE1201ELNS1_3gpuE5ELNS1_3repE0EEENS1_38merge_mergepath_config_static_selectorELNS0_4arch9wavefront6targetE1EEEvSL_
; %bb.0:
	.section	.rodata,"a",@progbits
	.p2align	6, 0x0
	.amdhsa_kernel _ZN7rocprim17ROCPRIM_400000_NS6detail17trampoline_kernelINS0_14default_configENS1_38merge_sort_block_merge_config_selectorIyNS0_10empty_typeEEEZZNS1_27merge_sort_block_merge_implIS3_N6thrust23THRUST_200600_302600_NS6detail15normal_iteratorINS9_10device_ptrIyEEEEPS5_jNS1_19radix_merge_compareILb0ELb1EyNS0_19identity_decomposerEEEEE10hipError_tT0_T1_T2_jT3_P12ihipStream_tbPNSt15iterator_traitsISK_E10value_typeEPNSQ_ISL_E10value_typeEPSM_NS1_7vsmem_tEENKUlT_SK_SL_SM_E_clIPySE_SF_SF_EESJ_SZ_SK_SL_SM_EUlSZ_E0_NS1_11comp_targetILNS1_3genE10ELNS1_11target_archE1201ELNS1_3gpuE5ELNS1_3repE0EEENS1_38merge_mergepath_config_static_selectorELNS0_4arch9wavefront6targetE1EEEvSL_
		.amdhsa_group_segment_fixed_size 0
		.amdhsa_private_segment_fixed_size 0
		.amdhsa_kernarg_size 72
		.amdhsa_user_sgpr_count 2
		.amdhsa_user_sgpr_dispatch_ptr 0
		.amdhsa_user_sgpr_queue_ptr 0
		.amdhsa_user_sgpr_kernarg_segment_ptr 1
		.amdhsa_user_sgpr_dispatch_id 0
		.amdhsa_user_sgpr_kernarg_preload_length 0
		.amdhsa_user_sgpr_kernarg_preload_offset 0
		.amdhsa_user_sgpr_private_segment_size 0
		.amdhsa_uses_dynamic_stack 0
		.amdhsa_enable_private_segment 0
		.amdhsa_system_sgpr_workgroup_id_x 1
		.amdhsa_system_sgpr_workgroup_id_y 0
		.amdhsa_system_sgpr_workgroup_id_z 0
		.amdhsa_system_sgpr_workgroup_info 0
		.amdhsa_system_vgpr_workitem_id 0
		.amdhsa_next_free_vgpr 1
		.amdhsa_next_free_sgpr 0
		.amdhsa_accum_offset 4
		.amdhsa_reserve_vcc 0
		.amdhsa_float_round_mode_32 0
		.amdhsa_float_round_mode_16_64 0
		.amdhsa_float_denorm_mode_32 3
		.amdhsa_float_denorm_mode_16_64 3
		.amdhsa_dx10_clamp 1
		.amdhsa_ieee_mode 1
		.amdhsa_fp16_overflow 0
		.amdhsa_tg_split 0
		.amdhsa_exception_fp_ieee_invalid_op 0
		.amdhsa_exception_fp_denorm_src 0
		.amdhsa_exception_fp_ieee_div_zero 0
		.amdhsa_exception_fp_ieee_overflow 0
		.amdhsa_exception_fp_ieee_underflow 0
		.amdhsa_exception_fp_ieee_inexact 0
		.amdhsa_exception_int_div_zero 0
	.end_amdhsa_kernel
	.section	.text._ZN7rocprim17ROCPRIM_400000_NS6detail17trampoline_kernelINS0_14default_configENS1_38merge_sort_block_merge_config_selectorIyNS0_10empty_typeEEEZZNS1_27merge_sort_block_merge_implIS3_N6thrust23THRUST_200600_302600_NS6detail15normal_iteratorINS9_10device_ptrIyEEEEPS5_jNS1_19radix_merge_compareILb0ELb1EyNS0_19identity_decomposerEEEEE10hipError_tT0_T1_T2_jT3_P12ihipStream_tbPNSt15iterator_traitsISK_E10value_typeEPNSQ_ISL_E10value_typeEPSM_NS1_7vsmem_tEENKUlT_SK_SL_SM_E_clIPySE_SF_SF_EESJ_SZ_SK_SL_SM_EUlSZ_E0_NS1_11comp_targetILNS1_3genE10ELNS1_11target_archE1201ELNS1_3gpuE5ELNS1_3repE0EEENS1_38merge_mergepath_config_static_selectorELNS0_4arch9wavefront6targetE1EEEvSL_,"axG",@progbits,_ZN7rocprim17ROCPRIM_400000_NS6detail17trampoline_kernelINS0_14default_configENS1_38merge_sort_block_merge_config_selectorIyNS0_10empty_typeEEEZZNS1_27merge_sort_block_merge_implIS3_N6thrust23THRUST_200600_302600_NS6detail15normal_iteratorINS9_10device_ptrIyEEEEPS5_jNS1_19radix_merge_compareILb0ELb1EyNS0_19identity_decomposerEEEEE10hipError_tT0_T1_T2_jT3_P12ihipStream_tbPNSt15iterator_traitsISK_E10value_typeEPNSQ_ISL_E10value_typeEPSM_NS1_7vsmem_tEENKUlT_SK_SL_SM_E_clIPySE_SF_SF_EESJ_SZ_SK_SL_SM_EUlSZ_E0_NS1_11comp_targetILNS1_3genE10ELNS1_11target_archE1201ELNS1_3gpuE5ELNS1_3repE0EEENS1_38merge_mergepath_config_static_selectorELNS0_4arch9wavefront6targetE1EEEvSL_,comdat
.Lfunc_end798:
	.size	_ZN7rocprim17ROCPRIM_400000_NS6detail17trampoline_kernelINS0_14default_configENS1_38merge_sort_block_merge_config_selectorIyNS0_10empty_typeEEEZZNS1_27merge_sort_block_merge_implIS3_N6thrust23THRUST_200600_302600_NS6detail15normal_iteratorINS9_10device_ptrIyEEEEPS5_jNS1_19radix_merge_compareILb0ELb1EyNS0_19identity_decomposerEEEEE10hipError_tT0_T1_T2_jT3_P12ihipStream_tbPNSt15iterator_traitsISK_E10value_typeEPNSQ_ISL_E10value_typeEPSM_NS1_7vsmem_tEENKUlT_SK_SL_SM_E_clIPySE_SF_SF_EESJ_SZ_SK_SL_SM_EUlSZ_E0_NS1_11comp_targetILNS1_3genE10ELNS1_11target_archE1201ELNS1_3gpuE5ELNS1_3repE0EEENS1_38merge_mergepath_config_static_selectorELNS0_4arch9wavefront6targetE1EEEvSL_, .Lfunc_end798-_ZN7rocprim17ROCPRIM_400000_NS6detail17trampoline_kernelINS0_14default_configENS1_38merge_sort_block_merge_config_selectorIyNS0_10empty_typeEEEZZNS1_27merge_sort_block_merge_implIS3_N6thrust23THRUST_200600_302600_NS6detail15normal_iteratorINS9_10device_ptrIyEEEEPS5_jNS1_19radix_merge_compareILb0ELb1EyNS0_19identity_decomposerEEEEE10hipError_tT0_T1_T2_jT3_P12ihipStream_tbPNSt15iterator_traitsISK_E10value_typeEPNSQ_ISL_E10value_typeEPSM_NS1_7vsmem_tEENKUlT_SK_SL_SM_E_clIPySE_SF_SF_EESJ_SZ_SK_SL_SM_EUlSZ_E0_NS1_11comp_targetILNS1_3genE10ELNS1_11target_archE1201ELNS1_3gpuE5ELNS1_3repE0EEENS1_38merge_mergepath_config_static_selectorELNS0_4arch9wavefront6targetE1EEEvSL_
                                        ; -- End function
	.section	.AMDGPU.csdata,"",@progbits
; Kernel info:
; codeLenInByte = 0
; NumSgprs: 6
; NumVgprs: 0
; NumAgprs: 0
; TotalNumVgprs: 0
; ScratchSize: 0
; MemoryBound: 0
; FloatMode: 240
; IeeeMode: 1
; LDSByteSize: 0 bytes/workgroup (compile time only)
; SGPRBlocks: 0
; VGPRBlocks: 0
; NumSGPRsForWavesPerEU: 6
; NumVGPRsForWavesPerEU: 1
; AccumOffset: 4
; Occupancy: 8
; WaveLimiterHint : 0
; COMPUTE_PGM_RSRC2:SCRATCH_EN: 0
; COMPUTE_PGM_RSRC2:USER_SGPR: 2
; COMPUTE_PGM_RSRC2:TRAP_HANDLER: 0
; COMPUTE_PGM_RSRC2:TGID_X_EN: 1
; COMPUTE_PGM_RSRC2:TGID_Y_EN: 0
; COMPUTE_PGM_RSRC2:TGID_Z_EN: 0
; COMPUTE_PGM_RSRC2:TIDIG_COMP_CNT: 0
; COMPUTE_PGM_RSRC3_GFX90A:ACCUM_OFFSET: 0
; COMPUTE_PGM_RSRC3_GFX90A:TG_SPLIT: 0
	.section	.text._ZN7rocprim17ROCPRIM_400000_NS6detail17trampoline_kernelINS0_14default_configENS1_38merge_sort_block_merge_config_selectorIyNS0_10empty_typeEEEZZNS1_27merge_sort_block_merge_implIS3_N6thrust23THRUST_200600_302600_NS6detail15normal_iteratorINS9_10device_ptrIyEEEEPS5_jNS1_19radix_merge_compareILb0ELb1EyNS0_19identity_decomposerEEEEE10hipError_tT0_T1_T2_jT3_P12ihipStream_tbPNSt15iterator_traitsISK_E10value_typeEPNSQ_ISL_E10value_typeEPSM_NS1_7vsmem_tEENKUlT_SK_SL_SM_E_clIPySE_SF_SF_EESJ_SZ_SK_SL_SM_EUlSZ_E0_NS1_11comp_targetILNS1_3genE5ELNS1_11target_archE942ELNS1_3gpuE9ELNS1_3repE0EEENS1_38merge_mergepath_config_static_selectorELNS0_4arch9wavefront6targetE1EEEvSL_,"axG",@progbits,_ZN7rocprim17ROCPRIM_400000_NS6detail17trampoline_kernelINS0_14default_configENS1_38merge_sort_block_merge_config_selectorIyNS0_10empty_typeEEEZZNS1_27merge_sort_block_merge_implIS3_N6thrust23THRUST_200600_302600_NS6detail15normal_iteratorINS9_10device_ptrIyEEEEPS5_jNS1_19radix_merge_compareILb0ELb1EyNS0_19identity_decomposerEEEEE10hipError_tT0_T1_T2_jT3_P12ihipStream_tbPNSt15iterator_traitsISK_E10value_typeEPNSQ_ISL_E10value_typeEPSM_NS1_7vsmem_tEENKUlT_SK_SL_SM_E_clIPySE_SF_SF_EESJ_SZ_SK_SL_SM_EUlSZ_E0_NS1_11comp_targetILNS1_3genE5ELNS1_11target_archE942ELNS1_3gpuE9ELNS1_3repE0EEENS1_38merge_mergepath_config_static_selectorELNS0_4arch9wavefront6targetE1EEEvSL_,comdat
	.protected	_ZN7rocprim17ROCPRIM_400000_NS6detail17trampoline_kernelINS0_14default_configENS1_38merge_sort_block_merge_config_selectorIyNS0_10empty_typeEEEZZNS1_27merge_sort_block_merge_implIS3_N6thrust23THRUST_200600_302600_NS6detail15normal_iteratorINS9_10device_ptrIyEEEEPS5_jNS1_19radix_merge_compareILb0ELb1EyNS0_19identity_decomposerEEEEE10hipError_tT0_T1_T2_jT3_P12ihipStream_tbPNSt15iterator_traitsISK_E10value_typeEPNSQ_ISL_E10value_typeEPSM_NS1_7vsmem_tEENKUlT_SK_SL_SM_E_clIPySE_SF_SF_EESJ_SZ_SK_SL_SM_EUlSZ_E0_NS1_11comp_targetILNS1_3genE5ELNS1_11target_archE942ELNS1_3gpuE9ELNS1_3repE0EEENS1_38merge_mergepath_config_static_selectorELNS0_4arch9wavefront6targetE1EEEvSL_ ; -- Begin function _ZN7rocprim17ROCPRIM_400000_NS6detail17trampoline_kernelINS0_14default_configENS1_38merge_sort_block_merge_config_selectorIyNS0_10empty_typeEEEZZNS1_27merge_sort_block_merge_implIS3_N6thrust23THRUST_200600_302600_NS6detail15normal_iteratorINS9_10device_ptrIyEEEEPS5_jNS1_19radix_merge_compareILb0ELb1EyNS0_19identity_decomposerEEEEE10hipError_tT0_T1_T2_jT3_P12ihipStream_tbPNSt15iterator_traitsISK_E10value_typeEPNSQ_ISL_E10value_typeEPSM_NS1_7vsmem_tEENKUlT_SK_SL_SM_E_clIPySE_SF_SF_EESJ_SZ_SK_SL_SM_EUlSZ_E0_NS1_11comp_targetILNS1_3genE5ELNS1_11target_archE942ELNS1_3gpuE9ELNS1_3repE0EEENS1_38merge_mergepath_config_static_selectorELNS0_4arch9wavefront6targetE1EEEvSL_
	.globl	_ZN7rocprim17ROCPRIM_400000_NS6detail17trampoline_kernelINS0_14default_configENS1_38merge_sort_block_merge_config_selectorIyNS0_10empty_typeEEEZZNS1_27merge_sort_block_merge_implIS3_N6thrust23THRUST_200600_302600_NS6detail15normal_iteratorINS9_10device_ptrIyEEEEPS5_jNS1_19radix_merge_compareILb0ELb1EyNS0_19identity_decomposerEEEEE10hipError_tT0_T1_T2_jT3_P12ihipStream_tbPNSt15iterator_traitsISK_E10value_typeEPNSQ_ISL_E10value_typeEPSM_NS1_7vsmem_tEENKUlT_SK_SL_SM_E_clIPySE_SF_SF_EESJ_SZ_SK_SL_SM_EUlSZ_E0_NS1_11comp_targetILNS1_3genE5ELNS1_11target_archE942ELNS1_3gpuE9ELNS1_3repE0EEENS1_38merge_mergepath_config_static_selectorELNS0_4arch9wavefront6targetE1EEEvSL_
	.p2align	8
	.type	_ZN7rocprim17ROCPRIM_400000_NS6detail17trampoline_kernelINS0_14default_configENS1_38merge_sort_block_merge_config_selectorIyNS0_10empty_typeEEEZZNS1_27merge_sort_block_merge_implIS3_N6thrust23THRUST_200600_302600_NS6detail15normal_iteratorINS9_10device_ptrIyEEEEPS5_jNS1_19radix_merge_compareILb0ELb1EyNS0_19identity_decomposerEEEEE10hipError_tT0_T1_T2_jT3_P12ihipStream_tbPNSt15iterator_traitsISK_E10value_typeEPNSQ_ISL_E10value_typeEPSM_NS1_7vsmem_tEENKUlT_SK_SL_SM_E_clIPySE_SF_SF_EESJ_SZ_SK_SL_SM_EUlSZ_E0_NS1_11comp_targetILNS1_3genE5ELNS1_11target_archE942ELNS1_3gpuE9ELNS1_3repE0EEENS1_38merge_mergepath_config_static_selectorELNS0_4arch9wavefront6targetE1EEEvSL_,@function
_ZN7rocprim17ROCPRIM_400000_NS6detail17trampoline_kernelINS0_14default_configENS1_38merge_sort_block_merge_config_selectorIyNS0_10empty_typeEEEZZNS1_27merge_sort_block_merge_implIS3_N6thrust23THRUST_200600_302600_NS6detail15normal_iteratorINS9_10device_ptrIyEEEEPS5_jNS1_19radix_merge_compareILb0ELb1EyNS0_19identity_decomposerEEEEE10hipError_tT0_T1_T2_jT3_P12ihipStream_tbPNSt15iterator_traitsISK_E10value_typeEPNSQ_ISL_E10value_typeEPSM_NS1_7vsmem_tEENKUlT_SK_SL_SM_E_clIPySE_SF_SF_EESJ_SZ_SK_SL_SM_EUlSZ_E0_NS1_11comp_targetILNS1_3genE5ELNS1_11target_archE942ELNS1_3gpuE9ELNS1_3repE0EEENS1_38merge_mergepath_config_static_selectorELNS0_4arch9wavefront6targetE1EEEvSL_: ; @_ZN7rocprim17ROCPRIM_400000_NS6detail17trampoline_kernelINS0_14default_configENS1_38merge_sort_block_merge_config_selectorIyNS0_10empty_typeEEEZZNS1_27merge_sort_block_merge_implIS3_N6thrust23THRUST_200600_302600_NS6detail15normal_iteratorINS9_10device_ptrIyEEEEPS5_jNS1_19radix_merge_compareILb0ELb1EyNS0_19identity_decomposerEEEEE10hipError_tT0_T1_T2_jT3_P12ihipStream_tbPNSt15iterator_traitsISK_E10value_typeEPNSQ_ISL_E10value_typeEPSM_NS1_7vsmem_tEENKUlT_SK_SL_SM_E_clIPySE_SF_SF_EESJ_SZ_SK_SL_SM_EUlSZ_E0_NS1_11comp_targetILNS1_3genE5ELNS1_11target_archE942ELNS1_3gpuE9ELNS1_3repE0EEENS1_38merge_mergepath_config_static_selectorELNS0_4arch9wavefront6targetE1EEEvSL_
; %bb.0:
	s_load_dwordx2 s[18:19], s[0:1], 0x48
	s_load_dword s5, s[0:1], 0x30
	s_add_u32 s8, s0, 0x48
	s_addc_u32 s9, s1, 0
	s_waitcnt lgkmcnt(0)
	s_mul_i32 s4, s19, s4
	s_add_i32 s3, s4, s3
	s_mul_i32 s3, s3, s18
	s_add_i32 s16, s3, s2
	s_cmp_ge_u32 s16, s5
	s_cbranch_scc1 .LBB799_43
; %bb.1:
	s_load_dwordx2 s[10:11], s[0:1], 0x28
	s_load_dwordx2 s[4:5], s[0:1], 0x40
	;; [unrolled: 1-line block ×3, first 2 shown]
	s_mov_b32 s17, 0
	s_mov_b32 s23, s17
	s_waitcnt lgkmcnt(0)
	s_lshr_b32 s19, s10, 10
	s_cmp_lg_u32 s16, s19
	s_cselect_b64 s[14:15], -1, 0
	s_lshl_b64 s[12:13], s[16:17], 2
	s_add_u32 s4, s4, s12
	s_addc_u32 s5, s5, s13
	s_lshr_b32 s3, s11, 9
	s_and_b32 s3, s3, 0x7ffffe
	s_load_dwordx2 s[4:5], s[4:5], 0x0
	s_sub_i32 s3, 0, s3
	s_and_b32 s13, s16, s3
	s_lshl_b32 s20, s13, 10
	s_lshl_b32 s12, s16, 10
	;; [unrolled: 1-line block ×3, first 2 shown]
	s_sub_i32 s21, s12, s20
	s_add_i32 s13, s13, s11
	s_add_i32 s21, s13, s21
	s_waitcnt lgkmcnt(0)
	s_sub_i32 s22, s21, s4
	s_sub_i32 s21, s21, s5
	;; [unrolled: 1-line block ×3, first 2 shown]
	s_min_u32 s22, s10, s22
	s_addk_i32 s21, 0x400
	s_or_b32 s3, s16, s3
	s_min_u32 s20, s10, s13
	s_add_i32 s13, s13, s11
	s_cmp_eq_u32 s3, -1
	s_cselect_b32 s3, s13, s21
	s_cselect_b32 s5, s20, s5
	s_min_u32 s3, s3, s10
	s_sub_i32 s11, s5, s4
	s_mov_b32 s5, s17
	s_sub_i32 s20, s3, s22
	s_lshl_b64 s[4:5], s[4:5], 3
	s_add_u32 s4, s6, s4
	s_addc_u32 s5, s7, s5
	s_lshl_b64 s[22:23], s[22:23], 3
	s_add_u32 s6, s6, s22
	s_addc_u32 s7, s7, s23
	s_cmp_lt_u32 s2, s18
	v_mov_b32_e32 v19, 0
	s_cselect_b32 s2, 12, 18
	global_load_dword v1, v19, s[8:9] offset:14
	s_add_u32 s2, s8, s2
	s_addc_u32 s3, s9, 0
	global_load_ushort v2, v19, s[2:3]
	s_cmp_eq_u32 s16, s19
	v_lshlrev_b32_e32 v18, 3, v0
	s_waitcnt vmcnt(1)
	v_lshrrev_b32_e32 v3, 16, v1
	v_and_b32_e32 v1, 0xffff, v1
	v_mul_lo_u32 v1, v1, v3
	s_waitcnt vmcnt(0)
	v_mul_lo_u32 v1, v1, v2
	v_add_u32_e32 v22, v1, v0
	v_add_u32_e32 v20, v22, v1
	s_cbranch_scc1 .LBB799_3
; %bb.2:
	v_subrev_u32_e32 v4, s11, v0
	v_mov_b32_e32 v5, v19
	v_lshl_add_u64 v[2:3], s[4:5], 0, v[18:19]
	v_lshl_add_u64 v[4:5], v[4:5], 3, s[6:7]
	v_cmp_gt_u32_e32 vcc, s11, v0
	v_mov_b32_e32 v23, v19
	v_subrev_u32_e32 v6, s11, v22
	v_mov_b32_e32 v7, v19
	v_cndmask_b32_e32 v3, v5, v3, vcc
	v_cndmask_b32_e32 v2, v4, v2, vcc
	v_lshl_add_u64 v[4:5], v[22:23], 3, s[4:5]
	v_lshl_add_u64 v[6:7], v[6:7], 3, s[6:7]
	v_cmp_gt_u32_e32 vcc, s11, v22
	v_mov_b32_e32 v21, v19
	v_subrev_u32_e32 v8, s11, v20
	v_mov_b32_e32 v9, v19
	v_add_u32_e32 v10, v20, v1
	v_cndmask_b32_e32 v5, v7, v5, vcc
	v_cndmask_b32_e32 v4, v6, v4, vcc
	v_lshl_add_u64 v[6:7], v[20:21], 3, s[4:5]
	v_lshl_add_u64 v[8:9], v[8:9], 3, s[6:7]
	v_cmp_gt_u32_e32 vcc, s11, v20
	v_mov_b32_e32 v11, v19
	v_subrev_u32_e32 v12, s11, v10
	v_mov_b32_e32 v13, v19
	v_cndmask_b32_e32 v7, v9, v7, vcc
	v_cndmask_b32_e32 v6, v8, v6, vcc
	v_lshl_add_u64 v[8:9], v[10:11], 3, s[4:5]
	v_lshl_add_u64 v[12:13], v[12:13], 3, s[6:7]
	v_cmp_gt_u32_e32 vcc, s11, v10
	v_mov_b32_e32 v15, v19
	v_mov_b32_e32 v17, v19
	v_cndmask_b32_e32 v8, v12, v8, vcc
	v_add_u32_e32 v12, v10, v1
	v_cndmask_b32_e32 v9, v13, v9, vcc
	v_mov_b32_e32 v13, v19
	v_subrev_u32_e32 v14, s11, v12
	v_lshl_add_u64 v[10:11], v[12:13], 3, s[4:5]
	v_lshl_add_u64 v[14:15], v[14:15], 3, s[6:7]
	v_cmp_gt_u32_e32 vcc, s11, v12
	v_mov_b32_e32 v25, v19
	v_mov_b32_e32 v27, v19
	v_cndmask_b32_e32 v10, v14, v10, vcc
	v_add_u32_e32 v14, v12, v1
	v_cndmask_b32_e32 v11, v15, v11, vcc
	v_mov_b32_e32 v15, v19
	v_subrev_u32_e32 v16, s11, v14
	v_lshl_add_u64 v[12:13], v[14:15], 3, s[4:5]
	v_lshl_add_u64 v[16:17], v[16:17], 3, s[6:7]
	v_cmp_gt_u32_e32 vcc, s11, v14
	global_load_dwordx2 v[2:3], v[2:3], off
	s_add_i32 s13, s20, s11
	v_cndmask_b32_e32 v13, v17, v13, vcc
	v_cndmask_b32_e32 v12, v16, v12, vcc
	v_add_u32_e32 v16, v14, v1
	v_mov_b32_e32 v17, v19
	v_lshl_add_u64 v[14:15], v[16:17], 3, s[4:5]
	v_subrev_u32_e32 v24, s11, v16
	v_cmp_gt_u32_e32 vcc, s11, v16
	v_add_u32_e32 v16, v16, v1
	v_lshl_add_u64 v[24:25], v[24:25], 3, s[6:7]
	v_subrev_u32_e32 v26, s11, v16
	v_cndmask_b32_e32 v15, v25, v15, vcc
	v_cndmask_b32_e32 v14, v24, v14, vcc
	v_lshl_add_u64 v[24:25], v[16:17], 3, s[4:5]
	v_lshl_add_u64 v[26:27], v[26:27], 3, s[6:7]
	v_cmp_gt_u32_e32 vcc, s11, v16
	global_load_dwordx2 v[4:5], v[4:5], off
	s_nop 0
	v_cndmask_b32_e32 v17, v27, v25, vcc
	v_cndmask_b32_e32 v16, v26, v24, vcc
	global_load_dwordx2 v[6:7], v[6:7], off
	s_nop 0
	global_load_dwordx2 v[8:9], v[8:9], off
	s_nop 0
	;; [unrolled: 2-line block ×5, first 2 shown]
	global_load_dwordx2 v[16:17], v[16:17], off
	s_load_dwordx2 s[16:17], s[0:1], 0x10
	s_load_dwordx2 s[18:19], s[0:1], 0x38
	s_cbranch_execz .LBB799_4
	s_branch .LBB799_19
.LBB799_3:
                                        ; implicit-def: $vgpr2_vgpr3_vgpr4_vgpr5_vgpr6_vgpr7_vgpr8_vgpr9_vgpr10_vgpr11_vgpr12_vgpr13_vgpr14_vgpr15_vgpr16_vgpr17
                                        ; implicit-def: $sgpr13
	s_load_dwordx2 s[16:17], s[0:1], 0x10
	s_load_dwordx2 s[18:19], s[0:1], 0x38
.LBB799_4:
	s_add_i32 s13, s20, s11
	v_cmp_gt_u32_e32 vcc, s13, v0
                                        ; implicit-def: $vgpr2_vgpr3_vgpr4_vgpr5_vgpr6_vgpr7_vgpr8_vgpr9_vgpr10_vgpr11_vgpr12_vgpr13_vgpr14_vgpr15_vgpr16_vgpr17
	s_and_saveexec_b64 s[0:1], vcc
	s_cbranch_execnz .LBB799_44
; %bb.5:
	s_or_b64 exec, exec, s[0:1]
	v_cmp_gt_u32_e32 vcc, s13, v22
	s_and_saveexec_b64 s[0:1], vcc
	s_cbranch_execnz .LBB799_45
.LBB799_6:
	s_or_b64 exec, exec, s[0:1]
	v_cmp_gt_u32_e32 vcc, s13, v20
	s_and_saveexec_b64 s[0:1], vcc
	s_cbranch_execz .LBB799_8
.LBB799_7:
	v_mov_b32_e32 v21, 0
	v_subrev_u32_e32 v22, s11, v20
	v_mov_b32_e32 v23, v21
	s_waitcnt vmcnt(5)
	v_lshl_add_u64 v[6:7], v[20:21], 3, s[4:5]
	v_lshl_add_u64 v[22:23], v[22:23], 3, s[6:7]
	v_cmp_gt_u32_e32 vcc, s11, v20
	s_nop 1
	v_cndmask_b32_e32 v7, v23, v7, vcc
	v_cndmask_b32_e32 v6, v22, v6, vcc
	global_load_dwordx2 v[6:7], v[6:7], off
.LBB799_8:
	s_or_b64 exec, exec, s[0:1]
	v_add_u32_e32 v20, v20, v1
	v_cmp_gt_u32_e32 vcc, s13, v20
	s_and_saveexec_b64 s[0:1], vcc
	s_cbranch_execz .LBB799_10
; %bb.9:
	v_mov_b32_e32 v21, 0
	v_subrev_u32_e32 v22, s11, v20
	v_mov_b32_e32 v23, v21
	s_waitcnt vmcnt(4)
	v_lshl_add_u64 v[8:9], v[20:21], 3, s[4:5]
	v_lshl_add_u64 v[22:23], v[22:23], 3, s[6:7]
	v_cmp_gt_u32_e32 vcc, s11, v20
	s_nop 1
	v_cndmask_b32_e32 v9, v23, v9, vcc
	v_cndmask_b32_e32 v8, v22, v8, vcc
	global_load_dwordx2 v[8:9], v[8:9], off
.LBB799_10:
	s_or_b64 exec, exec, s[0:1]
	v_add_u32_e32 v20, v20, v1
	v_cmp_gt_u32_e32 vcc, s13, v20
	s_and_saveexec_b64 s[0:1], vcc
	s_cbranch_execz .LBB799_12
; %bb.11:
	v_mov_b32_e32 v21, 0
	v_subrev_u32_e32 v22, s11, v20
	v_mov_b32_e32 v23, v21
	s_waitcnt vmcnt(3)
	v_lshl_add_u64 v[10:11], v[20:21], 3, s[4:5]
	v_lshl_add_u64 v[22:23], v[22:23], 3, s[6:7]
	v_cmp_gt_u32_e32 vcc, s11, v20
	s_nop 1
	v_cndmask_b32_e32 v11, v23, v11, vcc
	v_cndmask_b32_e32 v10, v22, v10, vcc
	global_load_dwordx2 v[10:11], v[10:11], off
.LBB799_12:
	;; [unrolled: 18-line block ×4, first 2 shown]
	s_or_b64 exec, exec, s[0:1]
	v_add_u32_e32 v20, v20, v1
	v_cmp_gt_u32_e32 vcc, s13, v20
	s_and_saveexec_b64 s[0:1], vcc
	s_cbranch_execz .LBB799_18
; %bb.17:
	v_mov_b32_e32 v21, 0
	s_waitcnt vmcnt(0)
	v_lshl_add_u64 v[16:17], v[20:21], 3, s[4:5]
	v_cmp_gt_u32_e32 vcc, s11, v20
	v_subrev_u32_e32 v20, s11, v20
	v_lshl_add_u64 v[20:21], v[20:21], 3, s[6:7]
	v_cndmask_b32_e32 v17, v21, v17, vcc
	v_cndmask_b32_e32 v16, v20, v16, vcc
	global_load_dwordx2 v[16:17], v[16:17], off
.LBB799_18:
	s_or_b64 exec, exec, s[0:1]
.LBB799_19:
	v_min_u32_e32 v19, s13, v18
	v_sub_u32_e64 v1, v19, s20 clamp
	v_min_u32_e32 v20, s11, v19
	v_cmp_lt_u32_e32 vcc, v1, v20
	s_waitcnt vmcnt(0)
	ds_write2st64_b64 v18, v[2:3], v[4:5] offset1:2
	ds_write2st64_b64 v18, v[6:7], v[8:9] offset0:4 offset1:6
	ds_write2st64_b64 v18, v[10:11], v[12:13] offset0:8 offset1:10
	;; [unrolled: 1-line block ×3, first 2 shown]
	s_waitcnt lgkmcnt(0)
	s_barrier
	s_and_saveexec_b64 s[0:1], vcc
	s_cbranch_execz .LBB799_23
; %bb.20:
	v_lshlrev_b32_e32 v21, 3, v19
	v_lshl_add_u32 v21, s11, 3, v21
	s_mov_b64 s[2:3], 0
.LBB799_21:                             ; =>This Inner Loop Header: Depth=1
	v_add_u32_e32 v22, v20, v1
	v_lshrrev_b32_e32 v26, 1, v22
	v_not_b32_e32 v24, v26
	v_lshlrev_b32_e32 v22, 3, v26
	v_lshl_add_u32 v24, v24, 3, v21
	ds_read_b64 v[22:23], v22
	ds_read_b64 v[24:25], v24
	v_add_u32_e32 v27, 1, v26
	s_waitcnt lgkmcnt(1)
	v_and_b32_e32 v23, s19, v23
	v_and_b32_e32 v22, s18, v22
	s_waitcnt lgkmcnt(0)
	v_and_b32_e32 v25, s19, v25
	v_and_b32_e32 v24, s18, v24
	v_cmp_gt_u64_e32 vcc, v[22:23], v[24:25]
	s_nop 1
	v_cndmask_b32_e32 v20, v20, v26, vcc
	v_cndmask_b32_e32 v1, v27, v1, vcc
	v_cmp_ge_u32_e32 vcc, v1, v20
	s_or_b64 s[2:3], vcc, s[2:3]
	s_andn2_b64 exec, exec, s[2:3]
	s_cbranch_execnz .LBB799_21
; %bb.22:
	s_or_b64 exec, exec, s[2:3]
.LBB799_23:
	s_or_b64 exec, exec, s[0:1]
	v_sub_u32_e32 v19, v19, v1
	v_add_u32_e32 v19, s11, v19
	v_cmp_ge_u32_e32 vcc, s11, v1
	v_cmp_ge_u32_e64 s[0:1], s13, v19
	s_or_b64 s[0:1], vcc, s[0:1]
	s_and_saveexec_b64 s[20:21], s[0:1]
	s_cbranch_execz .LBB799_29
; %bb.24:
	v_cmp_gt_u32_e32 vcc, s11, v1
                                        ; implicit-def: $vgpr2_vgpr3
	s_and_saveexec_b64 s[0:1], vcc
	s_cbranch_execz .LBB799_26
; %bb.25:
	v_lshlrev_b32_e32 v2, 3, v1
	ds_read_b64 v[2:3], v2
.LBB799_26:
	s_or_b64 exec, exec, s[0:1]
	v_cmp_le_u32_e64 s[0:1], s13, v19
	v_cmp_gt_u32_e64 s[2:3], s13, v19
                                        ; implicit-def: $vgpr4_vgpr5
	s_and_saveexec_b64 s[4:5], s[2:3]
	s_cbranch_execz .LBB799_28
; %bb.27:
	v_lshlrev_b32_e32 v4, 3, v19
	ds_read_b64 v[4:5], v4
.LBB799_28:
	s_or_b64 exec, exec, s[4:5]
	s_waitcnt lgkmcnt(0)
	v_and_b32_e32 v7, s19, v5
	v_and_b32_e32 v6, s18, v4
	;; [unrolled: 1-line block ×4, first 2 shown]
	v_cmp_le_u64_e64 s[2:3], v[8:9], v[6:7]
	s_and_b64 s[2:3], vcc, s[2:3]
	s_or_b64 vcc, s[0:1], s[2:3]
	v_mov_b32_e32 v16, s13
	v_mov_b32_e32 v17, s11
	v_cndmask_b32_e32 v6, v19, v1, vcc
	v_cndmask_b32_e32 v7, v16, v17, vcc
	v_add_u32_e32 v8, 1, v6
	v_add_u32_e32 v6, -1, v7
	v_min_u32_e32 v6, v8, v6
	v_lshlrev_b32_e32 v6, 3, v6
	ds_read_b64 v[6:7], v6
	v_cndmask_b32_e32 v14, v8, v19, vcc
	v_cndmask_b32_e32 v1, v1, v8, vcc
	v_cmp_gt_u32_e64 s[2:3], s11, v1
	v_cmp_le_u32_e64 s[0:1], s13, v14
	s_waitcnt lgkmcnt(0)
	v_cndmask_b32_e32 v10, v7, v5, vcc
	v_cndmask_b32_e32 v11, v6, v4, vcc
	;; [unrolled: 1-line block ×4, first 2 shown]
	v_and_b32_e32 v7, s19, v10
	v_and_b32_e32 v6, s18, v11
	;; [unrolled: 1-line block ×4, first 2 shown]
	v_cmp_le_u64_e64 s[4:5], v[8:9], v[6:7]
	s_and_b64 s[2:3], s[2:3], s[4:5]
	s_or_b64 s[0:1], s[0:1], s[2:3]
	v_cndmask_b32_e64 v6, v14, v1, s[0:1]
	v_cndmask_b32_e64 v7, v16, v17, s[0:1]
	v_add_u32_e32 v8, 1, v6
	v_add_u32_e32 v6, -1, v7
	v_min_u32_e32 v6, v8, v6
	v_lshlrev_b32_e32 v6, 3, v6
	ds_read_b64 v[6:7], v6
	v_cndmask_b32_e64 v14, v8, v14, s[0:1]
	v_cndmask_b32_e64 v1, v1, v8, s[0:1]
	v_cmp_gt_u32_e64 s[4:5], s11, v1
	v_cmp_le_u32_e64 s[2:3], s13, v14
	s_waitcnt lgkmcnt(0)
	v_cndmask_b32_e64 v15, v7, v10, s[0:1]
	v_cndmask_b32_e64 v19, v6, v11, s[0:1]
	;; [unrolled: 1-line block ×4, first 2 shown]
	v_and_b32_e32 v7, s19, v15
	v_and_b32_e32 v6, s18, v19
	;; [unrolled: 1-line block ×4, first 2 shown]
	v_cmp_le_u64_e64 s[6:7], v[8:9], v[6:7]
	s_and_b64 s[4:5], s[4:5], s[6:7]
	s_or_b64 s[2:3], s[2:3], s[4:5]
	v_cndmask_b32_e64 v6, v14, v1, s[2:3]
	v_cndmask_b32_e64 v7, v16, v17, s[2:3]
	v_add_u32_e32 v8, 1, v6
	v_add_u32_e32 v6, -1, v7
	v_min_u32_e32 v6, v8, v6
	v_lshlrev_b32_e32 v6, 3, v6
	ds_read_b64 v[6:7], v6
	v_cndmask_b32_e64 v14, v8, v14, s[2:3]
	v_cndmask_b32_e64 v1, v1, v8, s[2:3]
	v_cmp_gt_u32_e64 s[6:7], s11, v1
	v_cmp_le_u32_e64 s[4:5], s13, v14
	s_waitcnt lgkmcnt(0)
	v_cndmask_b32_e64 v22, v7, v15, s[2:3]
	v_cndmask_b32_e64 v23, v6, v19, s[2:3]
	;; [unrolled: 1-line block ×4, first 2 shown]
	v_and_b32_e32 v7, s19, v22
	v_and_b32_e32 v6, s18, v23
	;; [unrolled: 1-line block ×4, first 2 shown]
	v_cmp_le_u64_e64 s[8:9], v[8:9], v[6:7]
	s_and_b64 s[6:7], s[6:7], s[8:9]
	s_or_b64 s[4:5], s[4:5], s[6:7]
	v_cndmask_b32_e64 v6, v14, v1, s[4:5]
	v_cndmask_b32_e64 v7, v16, v17, s[4:5]
	v_add_u32_e32 v8, 1, v6
	v_add_u32_e32 v6, -1, v7
	v_min_u32_e32 v6, v8, v6
	v_lshlrev_b32_e32 v6, 3, v6
	ds_read_b64 v[6:7], v6
	v_cndmask_b32_e32 v3, v5, v3, vcc
	v_cndmask_b32_e32 v2, v4, v2, vcc
	v_cndmask_b32_e64 v1, v1, v8, s[4:5]
	v_cndmask_b32_e64 v14, v8, v14, s[4:5]
	s_waitcnt lgkmcnt(0)
	v_cndmask_b32_e64 v26, v7, v22, s[4:5]
	v_cndmask_b32_e64 v27, v6, v23, s[4:5]
	;; [unrolled: 1-line block ×4, first 2 shown]
	v_and_b32_e32 v5, s19, v26
	v_and_b32_e32 v4, s18, v27
	;; [unrolled: 1-line block ×4, first 2 shown]
	v_cmp_gt_u32_e64 s[6:7], s11, v1
	v_cmp_le_u64_e64 s[8:9], v[6:7], v[4:5]
	v_cmp_le_u32_e32 vcc, s13, v14
	s_and_b64 s[6:7], s[6:7], s[8:9]
	s_or_b64 vcc, vcc, s[6:7]
	v_cndmask_b32_e32 v4, v14, v1, vcc
	v_cndmask_b32_e32 v5, v16, v17, vcc
	v_add_u32_e32 v30, 1, v4
	v_add_u32_e32 v4, -1, v5
	v_min_u32_e32 v4, v30, v4
	v_lshlrev_b32_e32 v4, 3, v4
	ds_read_b64 v[8:9], v4
	v_cndmask_b32_e64 v7, v15, v20, s[2:3]
	v_cndmask_b32_e64 v6, v19, v21, s[2:3]
	;; [unrolled: 1-line block ×4, first 2 shown]
	s_waitcnt lgkmcnt(0)
	v_cndmask_b32_e32 v19, v9, v26, vcc
	v_cndmask_b32_e32 v20, v8, v27, vcc
	;; [unrolled: 1-line block ×5, first 2 shown]
	v_and_b32_e32 v9, s19, v19
	v_and_b32_e32 v8, s18, v20
	;; [unrolled: 1-line block ×4, first 2 shown]
	v_cndmask_b32_e32 v14, v30, v14, vcc
	v_cmp_gt_u32_e64 s[2:3], s11, v1
	v_cmp_le_u64_e64 s[6:7], v[10:11], v[8:9]
	v_cmp_le_u32_e64 s[0:1], s13, v14
	s_and_b64 s[2:3], s[2:3], s[6:7]
	s_or_b64 s[0:1], s[0:1], s[2:3]
	v_cndmask_b32_e64 v8, v14, v1, s[0:1]
	v_cndmask_b32_e64 v9, v16, v17, s[0:1]
	v_add_u32_e32 v15, 1, v8
	v_add_u32_e32 v8, -1, v9
	v_min_u32_e32 v8, v15, v8
	v_lshlrev_b32_e32 v8, 3, v8
	ds_read_b64 v[12:13], v8
	v_cndmask_b32_e64 v9, v22, v24, s[4:5]
	v_cndmask_b32_e64 v8, v23, v25, s[4:5]
	v_cndmask_b32_e32 v11, v26, v28, vcc
	v_cndmask_b32_e64 v26, v15, v14, s[0:1]
	s_waitcnt lgkmcnt(0)
	v_cndmask_b32_e64 v22, v13, v19, s[0:1]
	v_cndmask_b32_e64 v23, v12, v20, s[0:1]
	;; [unrolled: 1-line block ×5, first 2 shown]
	v_and_b32_e32 v13, s19, v22
	v_and_b32_e32 v12, s18, v23
	;; [unrolled: 1-line block ×4, first 2 shown]
	v_cmp_gt_u32_e64 s[2:3], s11, v1
	v_cmp_le_u64_e64 s[4:5], v[14:15], v[12:13]
	v_cndmask_b32_e32 v10, v27, v29, vcc
	v_cmp_le_u32_e32 vcc, s13, v26
	s_and_b64 s[2:3], s[2:3], s[4:5]
	s_or_b64 vcc, vcc, s[2:3]
	v_cndmask_b32_e32 v12, v26, v1, vcc
	v_cndmask_b32_e32 v13, v16, v17, vcc
	v_add_u32_e32 v27, 1, v12
	v_add_u32_e32 v12, -1, v13
	v_min_u32_e32 v12, v27, v12
	v_lshlrev_b32_e32 v12, 3, v12
	ds_read_b64 v[16:17], v12
	v_cndmask_b32_e64 v13, v19, v21, s[0:1]
	v_cndmask_b32_e32 v15, v22, v24, vcc
	v_cndmask_b32_e32 v14, v23, v25, vcc
	v_cndmask_b32_e64 v12, v20, v31, s[0:1]
	s_waitcnt lgkmcnt(0)
	v_cndmask_b32_e32 v19, v17, v22, vcc
	v_cndmask_b32_e32 v22, v16, v23, vcc
	;; [unrolled: 1-line block ×6, first 2 shown]
	v_cmp_le_u32_e32 vcc, s13, v16
	v_and_b32_e32 v17, s19, v19
	v_and_b32_e32 v16, s18, v22
	;; [unrolled: 1-line block ×4, first 2 shown]
	v_cmp_gt_u32_e64 s[0:1], s11, v1
	v_cmp_le_u64_e64 s[2:3], v[20:21], v[16:17]
	s_and_b64 s[0:1], s[0:1], s[2:3]
	s_or_b64 vcc, vcc, s[0:1]
	v_cndmask_b32_e32 v17, v19, v23, vcc
	v_cndmask_b32_e32 v16, v22, v24, vcc
.LBB799_29:
	s_or_b64 exec, exec, s[20:21]
	v_lshrrev_b32_e32 v1, 2, v0
	v_lshlrev_b32_e32 v19, 3, v18
	v_lshl_add_u32 v19, v1, 3, v19
	v_and_b32_e32 v1, 24, v1
	v_or_b32_e32 v25, 0x80, v0
	v_add_u32_e32 v26, v18, v1
	v_lshrrev_b32_e32 v1, 2, v25
	v_and_b32_e32 v1, 56, v1
	v_or_b32_e32 v24, 0x100, v0
	s_barrier
	s_barrier
	ds_write2_b64 v19, v[2:3], v[4:5] offset1:1
	ds_write2_b64 v19, v[6:7], v[8:9] offset0:2 offset1:3
	ds_write2_b64 v19, v[10:11], v[12:13] offset0:4 offset1:5
	;; [unrolled: 1-line block ×3, first 2 shown]
	v_add_u32_e32 v6, v18, v1
	v_lshrrev_b32_e32 v1, 2, v24
	v_and_b32_e32 v1, 0x58, v1
	v_or_b32_e32 v23, 0x180, v0
	v_add_u32_e32 v7, v18, v1
	v_lshrrev_b32_e32 v1, 2, v23
	v_and_b32_e32 v1, 0x78, v1
	v_or_b32_e32 v22, 0x200, v0
	;; [unrolled: 4-line block ×4, first 2 shown]
	v_add_u32_e32 v27, v18, v1
	v_lshrrev_b32_e32 v1, 2, v20
	s_mov_b32 s13, 0
	v_and_b32_e32 v1, 0xd8, v1
	s_lshl_b64 s[0:1], s[12:13], 3
	v_add_u32_e32 v28, v18, v1
	v_or_b32_e32 v1, 0x380, v0
	s_add_u32 s0, s16, s0
	v_lshrrev_b32_e32 v2, 2, v1
	s_addc_u32 s1, s17, s1
	v_and_b32_e32 v2, 0xf8, v2
	v_mov_b32_e32 v19, 0
	v_add_u32_e32 v29, v18, v2
	v_lshl_add_u64 v[2:3], s[0:1], 0, v[18:19]
	s_and_b64 vcc, exec, s[14:15]
	s_waitcnt lgkmcnt(0)
	s_cbranch_vccz .LBB799_31
; %bb.30:
	s_barrier
	ds_read_b64 v[10:11], v26
	ds_read_b64 v[12:13], v6 offset:1024
	ds_read_b64 v[14:15], v7 offset:2048
	;; [unrolled: 1-line block ×7, first 2 shown]
	s_waitcnt lgkmcnt(7)
	global_store_dwordx2 v[2:3], v[10:11], off
	s_waitcnt lgkmcnt(6)
	global_store_dwordx2 v[2:3], v[12:13], off offset:1024
	s_waitcnt lgkmcnt(5)
	global_store_dwordx2 v[2:3], v[14:15], off offset:2048
	;; [unrolled: 2-line block ×3, first 2 shown]
	v_add_co_u32_e32 v10, vcc, 0x1000, v2
	s_nop 1
	v_addc_co_u32_e32 v11, vcc, 0, v3, vcc
	s_waitcnt lgkmcnt(3)
	global_store_dwordx2 v[10:11], v[18:19], off
	s_waitcnt lgkmcnt(2)
	global_store_dwordx2 v[10:11], v[30:31], off offset:1024
	s_waitcnt lgkmcnt(1)
	global_store_dwordx2 v[10:11], v[32:33], off offset:2048
	s_mov_b64 s[0:1], -1
	s_cbranch_execz .LBB799_32
	s_branch .LBB799_41
.LBB799_31:
	s_mov_b64 s[0:1], 0
                                        ; implicit-def: $vgpr4_vgpr5
.LBB799_32:
	s_barrier
	s_waitcnt lgkmcnt(0)
	ds_read_b64 v[16:17], v6 offset:1024
	ds_read_b64 v[14:15], v7 offset:2048
	;; [unrolled: 1-line block ×7, first 2 shown]
	s_sub_i32 s2, s10, s12
	v_cmp_gt_u32_e32 vcc, s2, v0
	s_and_saveexec_b64 s[0:1], vcc
	s_cbranch_execnz .LBB799_46
; %bb.33:
	s_or_b64 exec, exec, s[0:1]
	v_cmp_gt_u32_e32 vcc, s2, v25
	s_and_saveexec_b64 s[0:1], vcc
	s_cbranch_execnz .LBB799_47
.LBB799_34:
	s_or_b64 exec, exec, s[0:1]
	v_cmp_gt_u32_e32 vcc, s2, v24
	s_and_saveexec_b64 s[0:1], vcc
	s_cbranch_execnz .LBB799_48
.LBB799_35:
	s_or_b64 exec, exec, s[0:1]
	v_cmp_gt_u32_e32 vcc, s2, v23
	s_and_saveexec_b64 s[0:1], vcc
	s_cbranch_execnz .LBB799_49
.LBB799_36:
	s_or_b64 exec, exec, s[0:1]
	v_cmp_gt_u32_e32 vcc, s2, v22
	s_and_saveexec_b64 s[0:1], vcc
	s_cbranch_execnz .LBB799_50
.LBB799_37:
	s_or_b64 exec, exec, s[0:1]
	v_cmp_gt_u32_e32 vcc, s2, v21
	s_and_saveexec_b64 s[0:1], vcc
	s_cbranch_execnz .LBB799_51
.LBB799_38:
	s_or_b64 exec, exec, s[0:1]
	v_cmp_gt_u32_e32 vcc, s2, v20
	s_and_saveexec_b64 s[0:1], vcc
	s_cbranch_execz .LBB799_40
.LBB799_39:
	s_waitcnt lgkmcnt(2)
	v_add_co_u32_e32 v8, vcc, 0x1000, v2
	s_nop 1
	v_addc_co_u32_e32 v9, vcc, 0, v3, vcc
	s_waitcnt lgkmcnt(1)
	global_store_dwordx2 v[8:9], v[6:7], off offset:2048
.LBB799_40:
	s_or_b64 exec, exec, s[0:1]
	v_cmp_gt_u32_e64 s[0:1], s2, v1
.LBB799_41:
	s_and_saveexec_b64 s[2:3], s[0:1]
	s_cbranch_execz .LBB799_43
; %bb.42:
	v_add_co_u32_e32 v0, vcc, 0x1000, v2
	s_nop 1
	v_addc_co_u32_e32 v1, vcc, 0, v3, vcc
	s_waitcnt lgkmcnt(0)
	global_store_dwordx2 v[0:1], v[4:5], off offset:3072
.LBB799_43:
	s_endpgm
.LBB799_44:
	v_mov_b32_e32 v19, 0
	s_waitcnt vmcnt(6)
	v_subrev_u32_e32 v4, s11, v0
	v_mov_b32_e32 v5, v19
	v_lshl_add_u64 v[2:3], s[4:5], 0, v[18:19]
	v_lshl_add_u64 v[4:5], v[4:5], 3, s[6:7]
	v_cmp_gt_u32_e32 vcc, s11, v0
	s_nop 1
	v_cndmask_b32_e32 v3, v5, v3, vcc
	v_cndmask_b32_e32 v2, v4, v2, vcc
	global_load_dwordx2 v[2:3], v[2:3], off
	s_or_b64 exec, exec, s[0:1]
	v_cmp_gt_u32_e32 vcc, s13, v22
	s_and_saveexec_b64 s[0:1], vcc
	s_cbranch_execz .LBB799_6
.LBB799_45:
	v_mov_b32_e32 v23, 0
	s_waitcnt vmcnt(6)
	v_lshl_add_u64 v[4:5], v[22:23], 3, s[4:5]
	v_cmp_gt_u32_e32 vcc, s11, v22
	v_subrev_u32_e32 v22, s11, v22
	v_lshl_add_u64 v[22:23], v[22:23], 3, s[6:7]
	v_cndmask_b32_e32 v5, v23, v5, vcc
	v_cndmask_b32_e32 v4, v22, v4, vcc
	global_load_dwordx2 v[4:5], v[4:5], off
	s_or_b64 exec, exec, s[0:1]
	v_cmp_gt_u32_e32 vcc, s13, v20
	s_and_saveexec_b64 s[0:1], vcc
	s_cbranch_execnz .LBB799_7
	s_branch .LBB799_8
.LBB799_46:
	ds_read_b64 v[18:19], v26
	s_waitcnt lgkmcnt(0)
	global_store_dwordx2 v[2:3], v[18:19], off
	s_or_b64 exec, exec, s[0:1]
	v_cmp_gt_u32_e32 vcc, s2, v25
	s_and_saveexec_b64 s[0:1], vcc
	s_cbranch_execz .LBB799_34
.LBB799_47:
	s_waitcnt lgkmcnt(6)
	global_store_dwordx2 v[2:3], v[16:17], off offset:1024
	s_or_b64 exec, exec, s[0:1]
	v_cmp_gt_u32_e32 vcc, s2, v24
	s_and_saveexec_b64 s[0:1], vcc
	s_cbranch_execz .LBB799_35
.LBB799_48:
	s_waitcnt lgkmcnt(5)
	global_store_dwordx2 v[2:3], v[14:15], off offset:2048
	s_or_b64 exec, exec, s[0:1]
	v_cmp_gt_u32_e32 vcc, s2, v23
	s_and_saveexec_b64 s[0:1], vcc
	s_cbranch_execz .LBB799_36
.LBB799_49:
	s_waitcnt lgkmcnt(4)
	global_store_dwordx2 v[2:3], v[12:13], off offset:3072
	s_or_b64 exec, exec, s[0:1]
	v_cmp_gt_u32_e32 vcc, s2, v22
	s_and_saveexec_b64 s[0:1], vcc
	s_cbranch_execz .LBB799_37
.LBB799_50:
	s_waitcnt lgkmcnt(4)
	v_add_co_u32_e32 v12, vcc, 0x1000, v2
	s_nop 1
	v_addc_co_u32_e32 v13, vcc, 0, v3, vcc
	s_waitcnt lgkmcnt(3)
	global_store_dwordx2 v[12:13], v[10:11], off
	s_or_b64 exec, exec, s[0:1]
	v_cmp_gt_u32_e32 vcc, s2, v21
	s_and_saveexec_b64 s[0:1], vcc
	s_cbranch_execz .LBB799_38
.LBB799_51:
	s_waitcnt lgkmcnt(3)
	v_add_co_u32_e32 v10, vcc, 0x1000, v2
	s_nop 1
	v_addc_co_u32_e32 v11, vcc, 0, v3, vcc
	s_waitcnt lgkmcnt(2)
	global_store_dwordx2 v[10:11], v[8:9], off offset:1024
	s_or_b64 exec, exec, s[0:1]
	v_cmp_gt_u32_e32 vcc, s2, v20
	s_and_saveexec_b64 s[0:1], vcc
	s_cbranch_execnz .LBB799_39
	s_branch .LBB799_40
	.section	.rodata,"a",@progbits
	.p2align	6, 0x0
	.amdhsa_kernel _ZN7rocprim17ROCPRIM_400000_NS6detail17trampoline_kernelINS0_14default_configENS1_38merge_sort_block_merge_config_selectorIyNS0_10empty_typeEEEZZNS1_27merge_sort_block_merge_implIS3_N6thrust23THRUST_200600_302600_NS6detail15normal_iteratorINS9_10device_ptrIyEEEEPS5_jNS1_19radix_merge_compareILb0ELb1EyNS0_19identity_decomposerEEEEE10hipError_tT0_T1_T2_jT3_P12ihipStream_tbPNSt15iterator_traitsISK_E10value_typeEPNSQ_ISL_E10value_typeEPSM_NS1_7vsmem_tEENKUlT_SK_SL_SM_E_clIPySE_SF_SF_EESJ_SZ_SK_SL_SM_EUlSZ_E0_NS1_11comp_targetILNS1_3genE5ELNS1_11target_archE942ELNS1_3gpuE9ELNS1_3repE0EEENS1_38merge_mergepath_config_static_selectorELNS0_4arch9wavefront6targetE1EEEvSL_
		.amdhsa_group_segment_fixed_size 8448
		.amdhsa_private_segment_fixed_size 0
		.amdhsa_kernarg_size 328
		.amdhsa_user_sgpr_count 2
		.amdhsa_user_sgpr_dispatch_ptr 0
		.amdhsa_user_sgpr_queue_ptr 0
		.amdhsa_user_sgpr_kernarg_segment_ptr 1
		.amdhsa_user_sgpr_dispatch_id 0
		.amdhsa_user_sgpr_kernarg_preload_length 0
		.amdhsa_user_sgpr_kernarg_preload_offset 0
		.amdhsa_user_sgpr_private_segment_size 0
		.amdhsa_uses_dynamic_stack 0
		.amdhsa_enable_private_segment 0
		.amdhsa_system_sgpr_workgroup_id_x 1
		.amdhsa_system_sgpr_workgroup_id_y 1
		.amdhsa_system_sgpr_workgroup_id_z 1
		.amdhsa_system_sgpr_workgroup_info 0
		.amdhsa_system_vgpr_workitem_id 0
		.amdhsa_next_free_vgpr 34
		.amdhsa_next_free_sgpr 24
		.amdhsa_accum_offset 36
		.amdhsa_reserve_vcc 1
		.amdhsa_float_round_mode_32 0
		.amdhsa_float_round_mode_16_64 0
		.amdhsa_float_denorm_mode_32 3
		.amdhsa_float_denorm_mode_16_64 3
		.amdhsa_dx10_clamp 1
		.amdhsa_ieee_mode 1
		.amdhsa_fp16_overflow 0
		.amdhsa_tg_split 0
		.amdhsa_exception_fp_ieee_invalid_op 0
		.amdhsa_exception_fp_denorm_src 0
		.amdhsa_exception_fp_ieee_div_zero 0
		.amdhsa_exception_fp_ieee_overflow 0
		.amdhsa_exception_fp_ieee_underflow 0
		.amdhsa_exception_fp_ieee_inexact 0
		.amdhsa_exception_int_div_zero 0
	.end_amdhsa_kernel
	.section	.text._ZN7rocprim17ROCPRIM_400000_NS6detail17trampoline_kernelINS0_14default_configENS1_38merge_sort_block_merge_config_selectorIyNS0_10empty_typeEEEZZNS1_27merge_sort_block_merge_implIS3_N6thrust23THRUST_200600_302600_NS6detail15normal_iteratorINS9_10device_ptrIyEEEEPS5_jNS1_19radix_merge_compareILb0ELb1EyNS0_19identity_decomposerEEEEE10hipError_tT0_T1_T2_jT3_P12ihipStream_tbPNSt15iterator_traitsISK_E10value_typeEPNSQ_ISL_E10value_typeEPSM_NS1_7vsmem_tEENKUlT_SK_SL_SM_E_clIPySE_SF_SF_EESJ_SZ_SK_SL_SM_EUlSZ_E0_NS1_11comp_targetILNS1_3genE5ELNS1_11target_archE942ELNS1_3gpuE9ELNS1_3repE0EEENS1_38merge_mergepath_config_static_selectorELNS0_4arch9wavefront6targetE1EEEvSL_,"axG",@progbits,_ZN7rocprim17ROCPRIM_400000_NS6detail17trampoline_kernelINS0_14default_configENS1_38merge_sort_block_merge_config_selectorIyNS0_10empty_typeEEEZZNS1_27merge_sort_block_merge_implIS3_N6thrust23THRUST_200600_302600_NS6detail15normal_iteratorINS9_10device_ptrIyEEEEPS5_jNS1_19radix_merge_compareILb0ELb1EyNS0_19identity_decomposerEEEEE10hipError_tT0_T1_T2_jT3_P12ihipStream_tbPNSt15iterator_traitsISK_E10value_typeEPNSQ_ISL_E10value_typeEPSM_NS1_7vsmem_tEENKUlT_SK_SL_SM_E_clIPySE_SF_SF_EESJ_SZ_SK_SL_SM_EUlSZ_E0_NS1_11comp_targetILNS1_3genE5ELNS1_11target_archE942ELNS1_3gpuE9ELNS1_3repE0EEENS1_38merge_mergepath_config_static_selectorELNS0_4arch9wavefront6targetE1EEEvSL_,comdat
.Lfunc_end799:
	.size	_ZN7rocprim17ROCPRIM_400000_NS6detail17trampoline_kernelINS0_14default_configENS1_38merge_sort_block_merge_config_selectorIyNS0_10empty_typeEEEZZNS1_27merge_sort_block_merge_implIS3_N6thrust23THRUST_200600_302600_NS6detail15normal_iteratorINS9_10device_ptrIyEEEEPS5_jNS1_19radix_merge_compareILb0ELb1EyNS0_19identity_decomposerEEEEE10hipError_tT0_T1_T2_jT3_P12ihipStream_tbPNSt15iterator_traitsISK_E10value_typeEPNSQ_ISL_E10value_typeEPSM_NS1_7vsmem_tEENKUlT_SK_SL_SM_E_clIPySE_SF_SF_EESJ_SZ_SK_SL_SM_EUlSZ_E0_NS1_11comp_targetILNS1_3genE5ELNS1_11target_archE942ELNS1_3gpuE9ELNS1_3repE0EEENS1_38merge_mergepath_config_static_selectorELNS0_4arch9wavefront6targetE1EEEvSL_, .Lfunc_end799-_ZN7rocprim17ROCPRIM_400000_NS6detail17trampoline_kernelINS0_14default_configENS1_38merge_sort_block_merge_config_selectorIyNS0_10empty_typeEEEZZNS1_27merge_sort_block_merge_implIS3_N6thrust23THRUST_200600_302600_NS6detail15normal_iteratorINS9_10device_ptrIyEEEEPS5_jNS1_19radix_merge_compareILb0ELb1EyNS0_19identity_decomposerEEEEE10hipError_tT0_T1_T2_jT3_P12ihipStream_tbPNSt15iterator_traitsISK_E10value_typeEPNSQ_ISL_E10value_typeEPSM_NS1_7vsmem_tEENKUlT_SK_SL_SM_E_clIPySE_SF_SF_EESJ_SZ_SK_SL_SM_EUlSZ_E0_NS1_11comp_targetILNS1_3genE5ELNS1_11target_archE942ELNS1_3gpuE9ELNS1_3repE0EEENS1_38merge_mergepath_config_static_selectorELNS0_4arch9wavefront6targetE1EEEvSL_
                                        ; -- End function
	.section	.AMDGPU.csdata,"",@progbits
; Kernel info:
; codeLenInByte = 3676
; NumSgprs: 30
; NumVgprs: 34
; NumAgprs: 0
; TotalNumVgprs: 34
; ScratchSize: 0
; MemoryBound: 0
; FloatMode: 240
; IeeeMode: 1
; LDSByteSize: 8448 bytes/workgroup (compile time only)
; SGPRBlocks: 3
; VGPRBlocks: 4
; NumSGPRsForWavesPerEU: 30
; NumVGPRsForWavesPerEU: 34
; AccumOffset: 36
; Occupancy: 4
; WaveLimiterHint : 1
; COMPUTE_PGM_RSRC2:SCRATCH_EN: 0
; COMPUTE_PGM_RSRC2:USER_SGPR: 2
; COMPUTE_PGM_RSRC2:TRAP_HANDLER: 0
; COMPUTE_PGM_RSRC2:TGID_X_EN: 1
; COMPUTE_PGM_RSRC2:TGID_Y_EN: 1
; COMPUTE_PGM_RSRC2:TGID_Z_EN: 1
; COMPUTE_PGM_RSRC2:TIDIG_COMP_CNT: 0
; COMPUTE_PGM_RSRC3_GFX90A:ACCUM_OFFSET: 8
; COMPUTE_PGM_RSRC3_GFX90A:TG_SPLIT: 0
	.section	.text._ZN7rocprim17ROCPRIM_400000_NS6detail17trampoline_kernelINS0_14default_configENS1_38merge_sort_block_merge_config_selectorIyNS0_10empty_typeEEEZZNS1_27merge_sort_block_merge_implIS3_N6thrust23THRUST_200600_302600_NS6detail15normal_iteratorINS9_10device_ptrIyEEEEPS5_jNS1_19radix_merge_compareILb0ELb1EyNS0_19identity_decomposerEEEEE10hipError_tT0_T1_T2_jT3_P12ihipStream_tbPNSt15iterator_traitsISK_E10value_typeEPNSQ_ISL_E10value_typeEPSM_NS1_7vsmem_tEENKUlT_SK_SL_SM_E_clIPySE_SF_SF_EESJ_SZ_SK_SL_SM_EUlSZ_E0_NS1_11comp_targetILNS1_3genE4ELNS1_11target_archE910ELNS1_3gpuE8ELNS1_3repE0EEENS1_38merge_mergepath_config_static_selectorELNS0_4arch9wavefront6targetE1EEEvSL_,"axG",@progbits,_ZN7rocprim17ROCPRIM_400000_NS6detail17trampoline_kernelINS0_14default_configENS1_38merge_sort_block_merge_config_selectorIyNS0_10empty_typeEEEZZNS1_27merge_sort_block_merge_implIS3_N6thrust23THRUST_200600_302600_NS6detail15normal_iteratorINS9_10device_ptrIyEEEEPS5_jNS1_19radix_merge_compareILb0ELb1EyNS0_19identity_decomposerEEEEE10hipError_tT0_T1_T2_jT3_P12ihipStream_tbPNSt15iterator_traitsISK_E10value_typeEPNSQ_ISL_E10value_typeEPSM_NS1_7vsmem_tEENKUlT_SK_SL_SM_E_clIPySE_SF_SF_EESJ_SZ_SK_SL_SM_EUlSZ_E0_NS1_11comp_targetILNS1_3genE4ELNS1_11target_archE910ELNS1_3gpuE8ELNS1_3repE0EEENS1_38merge_mergepath_config_static_selectorELNS0_4arch9wavefront6targetE1EEEvSL_,comdat
	.protected	_ZN7rocprim17ROCPRIM_400000_NS6detail17trampoline_kernelINS0_14default_configENS1_38merge_sort_block_merge_config_selectorIyNS0_10empty_typeEEEZZNS1_27merge_sort_block_merge_implIS3_N6thrust23THRUST_200600_302600_NS6detail15normal_iteratorINS9_10device_ptrIyEEEEPS5_jNS1_19radix_merge_compareILb0ELb1EyNS0_19identity_decomposerEEEEE10hipError_tT0_T1_T2_jT3_P12ihipStream_tbPNSt15iterator_traitsISK_E10value_typeEPNSQ_ISL_E10value_typeEPSM_NS1_7vsmem_tEENKUlT_SK_SL_SM_E_clIPySE_SF_SF_EESJ_SZ_SK_SL_SM_EUlSZ_E0_NS1_11comp_targetILNS1_3genE4ELNS1_11target_archE910ELNS1_3gpuE8ELNS1_3repE0EEENS1_38merge_mergepath_config_static_selectorELNS0_4arch9wavefront6targetE1EEEvSL_ ; -- Begin function _ZN7rocprim17ROCPRIM_400000_NS6detail17trampoline_kernelINS0_14default_configENS1_38merge_sort_block_merge_config_selectorIyNS0_10empty_typeEEEZZNS1_27merge_sort_block_merge_implIS3_N6thrust23THRUST_200600_302600_NS6detail15normal_iteratorINS9_10device_ptrIyEEEEPS5_jNS1_19radix_merge_compareILb0ELb1EyNS0_19identity_decomposerEEEEE10hipError_tT0_T1_T2_jT3_P12ihipStream_tbPNSt15iterator_traitsISK_E10value_typeEPNSQ_ISL_E10value_typeEPSM_NS1_7vsmem_tEENKUlT_SK_SL_SM_E_clIPySE_SF_SF_EESJ_SZ_SK_SL_SM_EUlSZ_E0_NS1_11comp_targetILNS1_3genE4ELNS1_11target_archE910ELNS1_3gpuE8ELNS1_3repE0EEENS1_38merge_mergepath_config_static_selectorELNS0_4arch9wavefront6targetE1EEEvSL_
	.globl	_ZN7rocprim17ROCPRIM_400000_NS6detail17trampoline_kernelINS0_14default_configENS1_38merge_sort_block_merge_config_selectorIyNS0_10empty_typeEEEZZNS1_27merge_sort_block_merge_implIS3_N6thrust23THRUST_200600_302600_NS6detail15normal_iteratorINS9_10device_ptrIyEEEEPS5_jNS1_19radix_merge_compareILb0ELb1EyNS0_19identity_decomposerEEEEE10hipError_tT0_T1_T2_jT3_P12ihipStream_tbPNSt15iterator_traitsISK_E10value_typeEPNSQ_ISL_E10value_typeEPSM_NS1_7vsmem_tEENKUlT_SK_SL_SM_E_clIPySE_SF_SF_EESJ_SZ_SK_SL_SM_EUlSZ_E0_NS1_11comp_targetILNS1_3genE4ELNS1_11target_archE910ELNS1_3gpuE8ELNS1_3repE0EEENS1_38merge_mergepath_config_static_selectorELNS0_4arch9wavefront6targetE1EEEvSL_
	.p2align	8
	.type	_ZN7rocprim17ROCPRIM_400000_NS6detail17trampoline_kernelINS0_14default_configENS1_38merge_sort_block_merge_config_selectorIyNS0_10empty_typeEEEZZNS1_27merge_sort_block_merge_implIS3_N6thrust23THRUST_200600_302600_NS6detail15normal_iteratorINS9_10device_ptrIyEEEEPS5_jNS1_19radix_merge_compareILb0ELb1EyNS0_19identity_decomposerEEEEE10hipError_tT0_T1_T2_jT3_P12ihipStream_tbPNSt15iterator_traitsISK_E10value_typeEPNSQ_ISL_E10value_typeEPSM_NS1_7vsmem_tEENKUlT_SK_SL_SM_E_clIPySE_SF_SF_EESJ_SZ_SK_SL_SM_EUlSZ_E0_NS1_11comp_targetILNS1_3genE4ELNS1_11target_archE910ELNS1_3gpuE8ELNS1_3repE0EEENS1_38merge_mergepath_config_static_selectorELNS0_4arch9wavefront6targetE1EEEvSL_,@function
_ZN7rocprim17ROCPRIM_400000_NS6detail17trampoline_kernelINS0_14default_configENS1_38merge_sort_block_merge_config_selectorIyNS0_10empty_typeEEEZZNS1_27merge_sort_block_merge_implIS3_N6thrust23THRUST_200600_302600_NS6detail15normal_iteratorINS9_10device_ptrIyEEEEPS5_jNS1_19radix_merge_compareILb0ELb1EyNS0_19identity_decomposerEEEEE10hipError_tT0_T1_T2_jT3_P12ihipStream_tbPNSt15iterator_traitsISK_E10value_typeEPNSQ_ISL_E10value_typeEPSM_NS1_7vsmem_tEENKUlT_SK_SL_SM_E_clIPySE_SF_SF_EESJ_SZ_SK_SL_SM_EUlSZ_E0_NS1_11comp_targetILNS1_3genE4ELNS1_11target_archE910ELNS1_3gpuE8ELNS1_3repE0EEENS1_38merge_mergepath_config_static_selectorELNS0_4arch9wavefront6targetE1EEEvSL_: ; @_ZN7rocprim17ROCPRIM_400000_NS6detail17trampoline_kernelINS0_14default_configENS1_38merge_sort_block_merge_config_selectorIyNS0_10empty_typeEEEZZNS1_27merge_sort_block_merge_implIS3_N6thrust23THRUST_200600_302600_NS6detail15normal_iteratorINS9_10device_ptrIyEEEEPS5_jNS1_19radix_merge_compareILb0ELb1EyNS0_19identity_decomposerEEEEE10hipError_tT0_T1_T2_jT3_P12ihipStream_tbPNSt15iterator_traitsISK_E10value_typeEPNSQ_ISL_E10value_typeEPSM_NS1_7vsmem_tEENKUlT_SK_SL_SM_E_clIPySE_SF_SF_EESJ_SZ_SK_SL_SM_EUlSZ_E0_NS1_11comp_targetILNS1_3genE4ELNS1_11target_archE910ELNS1_3gpuE8ELNS1_3repE0EEENS1_38merge_mergepath_config_static_selectorELNS0_4arch9wavefront6targetE1EEEvSL_
; %bb.0:
	.section	.rodata,"a",@progbits
	.p2align	6, 0x0
	.amdhsa_kernel _ZN7rocprim17ROCPRIM_400000_NS6detail17trampoline_kernelINS0_14default_configENS1_38merge_sort_block_merge_config_selectorIyNS0_10empty_typeEEEZZNS1_27merge_sort_block_merge_implIS3_N6thrust23THRUST_200600_302600_NS6detail15normal_iteratorINS9_10device_ptrIyEEEEPS5_jNS1_19radix_merge_compareILb0ELb1EyNS0_19identity_decomposerEEEEE10hipError_tT0_T1_T2_jT3_P12ihipStream_tbPNSt15iterator_traitsISK_E10value_typeEPNSQ_ISL_E10value_typeEPSM_NS1_7vsmem_tEENKUlT_SK_SL_SM_E_clIPySE_SF_SF_EESJ_SZ_SK_SL_SM_EUlSZ_E0_NS1_11comp_targetILNS1_3genE4ELNS1_11target_archE910ELNS1_3gpuE8ELNS1_3repE0EEENS1_38merge_mergepath_config_static_selectorELNS0_4arch9wavefront6targetE1EEEvSL_
		.amdhsa_group_segment_fixed_size 0
		.amdhsa_private_segment_fixed_size 0
		.amdhsa_kernarg_size 72
		.amdhsa_user_sgpr_count 2
		.amdhsa_user_sgpr_dispatch_ptr 0
		.amdhsa_user_sgpr_queue_ptr 0
		.amdhsa_user_sgpr_kernarg_segment_ptr 1
		.amdhsa_user_sgpr_dispatch_id 0
		.amdhsa_user_sgpr_kernarg_preload_length 0
		.amdhsa_user_sgpr_kernarg_preload_offset 0
		.amdhsa_user_sgpr_private_segment_size 0
		.amdhsa_uses_dynamic_stack 0
		.amdhsa_enable_private_segment 0
		.amdhsa_system_sgpr_workgroup_id_x 1
		.amdhsa_system_sgpr_workgroup_id_y 0
		.amdhsa_system_sgpr_workgroup_id_z 0
		.amdhsa_system_sgpr_workgroup_info 0
		.amdhsa_system_vgpr_workitem_id 0
		.amdhsa_next_free_vgpr 1
		.amdhsa_next_free_sgpr 0
		.amdhsa_accum_offset 4
		.amdhsa_reserve_vcc 0
		.amdhsa_float_round_mode_32 0
		.amdhsa_float_round_mode_16_64 0
		.amdhsa_float_denorm_mode_32 3
		.amdhsa_float_denorm_mode_16_64 3
		.amdhsa_dx10_clamp 1
		.amdhsa_ieee_mode 1
		.amdhsa_fp16_overflow 0
		.amdhsa_tg_split 0
		.amdhsa_exception_fp_ieee_invalid_op 0
		.amdhsa_exception_fp_denorm_src 0
		.amdhsa_exception_fp_ieee_div_zero 0
		.amdhsa_exception_fp_ieee_overflow 0
		.amdhsa_exception_fp_ieee_underflow 0
		.amdhsa_exception_fp_ieee_inexact 0
		.amdhsa_exception_int_div_zero 0
	.end_amdhsa_kernel
	.section	.text._ZN7rocprim17ROCPRIM_400000_NS6detail17trampoline_kernelINS0_14default_configENS1_38merge_sort_block_merge_config_selectorIyNS0_10empty_typeEEEZZNS1_27merge_sort_block_merge_implIS3_N6thrust23THRUST_200600_302600_NS6detail15normal_iteratorINS9_10device_ptrIyEEEEPS5_jNS1_19radix_merge_compareILb0ELb1EyNS0_19identity_decomposerEEEEE10hipError_tT0_T1_T2_jT3_P12ihipStream_tbPNSt15iterator_traitsISK_E10value_typeEPNSQ_ISL_E10value_typeEPSM_NS1_7vsmem_tEENKUlT_SK_SL_SM_E_clIPySE_SF_SF_EESJ_SZ_SK_SL_SM_EUlSZ_E0_NS1_11comp_targetILNS1_3genE4ELNS1_11target_archE910ELNS1_3gpuE8ELNS1_3repE0EEENS1_38merge_mergepath_config_static_selectorELNS0_4arch9wavefront6targetE1EEEvSL_,"axG",@progbits,_ZN7rocprim17ROCPRIM_400000_NS6detail17trampoline_kernelINS0_14default_configENS1_38merge_sort_block_merge_config_selectorIyNS0_10empty_typeEEEZZNS1_27merge_sort_block_merge_implIS3_N6thrust23THRUST_200600_302600_NS6detail15normal_iteratorINS9_10device_ptrIyEEEEPS5_jNS1_19radix_merge_compareILb0ELb1EyNS0_19identity_decomposerEEEEE10hipError_tT0_T1_T2_jT3_P12ihipStream_tbPNSt15iterator_traitsISK_E10value_typeEPNSQ_ISL_E10value_typeEPSM_NS1_7vsmem_tEENKUlT_SK_SL_SM_E_clIPySE_SF_SF_EESJ_SZ_SK_SL_SM_EUlSZ_E0_NS1_11comp_targetILNS1_3genE4ELNS1_11target_archE910ELNS1_3gpuE8ELNS1_3repE0EEENS1_38merge_mergepath_config_static_selectorELNS0_4arch9wavefront6targetE1EEEvSL_,comdat
.Lfunc_end800:
	.size	_ZN7rocprim17ROCPRIM_400000_NS6detail17trampoline_kernelINS0_14default_configENS1_38merge_sort_block_merge_config_selectorIyNS0_10empty_typeEEEZZNS1_27merge_sort_block_merge_implIS3_N6thrust23THRUST_200600_302600_NS6detail15normal_iteratorINS9_10device_ptrIyEEEEPS5_jNS1_19radix_merge_compareILb0ELb1EyNS0_19identity_decomposerEEEEE10hipError_tT0_T1_T2_jT3_P12ihipStream_tbPNSt15iterator_traitsISK_E10value_typeEPNSQ_ISL_E10value_typeEPSM_NS1_7vsmem_tEENKUlT_SK_SL_SM_E_clIPySE_SF_SF_EESJ_SZ_SK_SL_SM_EUlSZ_E0_NS1_11comp_targetILNS1_3genE4ELNS1_11target_archE910ELNS1_3gpuE8ELNS1_3repE0EEENS1_38merge_mergepath_config_static_selectorELNS0_4arch9wavefront6targetE1EEEvSL_, .Lfunc_end800-_ZN7rocprim17ROCPRIM_400000_NS6detail17trampoline_kernelINS0_14default_configENS1_38merge_sort_block_merge_config_selectorIyNS0_10empty_typeEEEZZNS1_27merge_sort_block_merge_implIS3_N6thrust23THRUST_200600_302600_NS6detail15normal_iteratorINS9_10device_ptrIyEEEEPS5_jNS1_19radix_merge_compareILb0ELb1EyNS0_19identity_decomposerEEEEE10hipError_tT0_T1_T2_jT3_P12ihipStream_tbPNSt15iterator_traitsISK_E10value_typeEPNSQ_ISL_E10value_typeEPSM_NS1_7vsmem_tEENKUlT_SK_SL_SM_E_clIPySE_SF_SF_EESJ_SZ_SK_SL_SM_EUlSZ_E0_NS1_11comp_targetILNS1_3genE4ELNS1_11target_archE910ELNS1_3gpuE8ELNS1_3repE0EEENS1_38merge_mergepath_config_static_selectorELNS0_4arch9wavefront6targetE1EEEvSL_
                                        ; -- End function
	.section	.AMDGPU.csdata,"",@progbits
; Kernel info:
; codeLenInByte = 0
; NumSgprs: 6
; NumVgprs: 0
; NumAgprs: 0
; TotalNumVgprs: 0
; ScratchSize: 0
; MemoryBound: 0
; FloatMode: 240
; IeeeMode: 1
; LDSByteSize: 0 bytes/workgroup (compile time only)
; SGPRBlocks: 0
; VGPRBlocks: 0
; NumSGPRsForWavesPerEU: 6
; NumVGPRsForWavesPerEU: 1
; AccumOffset: 4
; Occupancy: 8
; WaveLimiterHint : 0
; COMPUTE_PGM_RSRC2:SCRATCH_EN: 0
; COMPUTE_PGM_RSRC2:USER_SGPR: 2
; COMPUTE_PGM_RSRC2:TRAP_HANDLER: 0
; COMPUTE_PGM_RSRC2:TGID_X_EN: 1
; COMPUTE_PGM_RSRC2:TGID_Y_EN: 0
; COMPUTE_PGM_RSRC2:TGID_Z_EN: 0
; COMPUTE_PGM_RSRC2:TIDIG_COMP_CNT: 0
; COMPUTE_PGM_RSRC3_GFX90A:ACCUM_OFFSET: 0
; COMPUTE_PGM_RSRC3_GFX90A:TG_SPLIT: 0
	.section	.text._ZN7rocprim17ROCPRIM_400000_NS6detail17trampoline_kernelINS0_14default_configENS1_38merge_sort_block_merge_config_selectorIyNS0_10empty_typeEEEZZNS1_27merge_sort_block_merge_implIS3_N6thrust23THRUST_200600_302600_NS6detail15normal_iteratorINS9_10device_ptrIyEEEEPS5_jNS1_19radix_merge_compareILb0ELb1EyNS0_19identity_decomposerEEEEE10hipError_tT0_T1_T2_jT3_P12ihipStream_tbPNSt15iterator_traitsISK_E10value_typeEPNSQ_ISL_E10value_typeEPSM_NS1_7vsmem_tEENKUlT_SK_SL_SM_E_clIPySE_SF_SF_EESJ_SZ_SK_SL_SM_EUlSZ_E0_NS1_11comp_targetILNS1_3genE3ELNS1_11target_archE908ELNS1_3gpuE7ELNS1_3repE0EEENS1_38merge_mergepath_config_static_selectorELNS0_4arch9wavefront6targetE1EEEvSL_,"axG",@progbits,_ZN7rocprim17ROCPRIM_400000_NS6detail17trampoline_kernelINS0_14default_configENS1_38merge_sort_block_merge_config_selectorIyNS0_10empty_typeEEEZZNS1_27merge_sort_block_merge_implIS3_N6thrust23THRUST_200600_302600_NS6detail15normal_iteratorINS9_10device_ptrIyEEEEPS5_jNS1_19radix_merge_compareILb0ELb1EyNS0_19identity_decomposerEEEEE10hipError_tT0_T1_T2_jT3_P12ihipStream_tbPNSt15iterator_traitsISK_E10value_typeEPNSQ_ISL_E10value_typeEPSM_NS1_7vsmem_tEENKUlT_SK_SL_SM_E_clIPySE_SF_SF_EESJ_SZ_SK_SL_SM_EUlSZ_E0_NS1_11comp_targetILNS1_3genE3ELNS1_11target_archE908ELNS1_3gpuE7ELNS1_3repE0EEENS1_38merge_mergepath_config_static_selectorELNS0_4arch9wavefront6targetE1EEEvSL_,comdat
	.protected	_ZN7rocprim17ROCPRIM_400000_NS6detail17trampoline_kernelINS0_14default_configENS1_38merge_sort_block_merge_config_selectorIyNS0_10empty_typeEEEZZNS1_27merge_sort_block_merge_implIS3_N6thrust23THRUST_200600_302600_NS6detail15normal_iteratorINS9_10device_ptrIyEEEEPS5_jNS1_19radix_merge_compareILb0ELb1EyNS0_19identity_decomposerEEEEE10hipError_tT0_T1_T2_jT3_P12ihipStream_tbPNSt15iterator_traitsISK_E10value_typeEPNSQ_ISL_E10value_typeEPSM_NS1_7vsmem_tEENKUlT_SK_SL_SM_E_clIPySE_SF_SF_EESJ_SZ_SK_SL_SM_EUlSZ_E0_NS1_11comp_targetILNS1_3genE3ELNS1_11target_archE908ELNS1_3gpuE7ELNS1_3repE0EEENS1_38merge_mergepath_config_static_selectorELNS0_4arch9wavefront6targetE1EEEvSL_ ; -- Begin function _ZN7rocprim17ROCPRIM_400000_NS6detail17trampoline_kernelINS0_14default_configENS1_38merge_sort_block_merge_config_selectorIyNS0_10empty_typeEEEZZNS1_27merge_sort_block_merge_implIS3_N6thrust23THRUST_200600_302600_NS6detail15normal_iteratorINS9_10device_ptrIyEEEEPS5_jNS1_19radix_merge_compareILb0ELb1EyNS0_19identity_decomposerEEEEE10hipError_tT0_T1_T2_jT3_P12ihipStream_tbPNSt15iterator_traitsISK_E10value_typeEPNSQ_ISL_E10value_typeEPSM_NS1_7vsmem_tEENKUlT_SK_SL_SM_E_clIPySE_SF_SF_EESJ_SZ_SK_SL_SM_EUlSZ_E0_NS1_11comp_targetILNS1_3genE3ELNS1_11target_archE908ELNS1_3gpuE7ELNS1_3repE0EEENS1_38merge_mergepath_config_static_selectorELNS0_4arch9wavefront6targetE1EEEvSL_
	.globl	_ZN7rocprim17ROCPRIM_400000_NS6detail17trampoline_kernelINS0_14default_configENS1_38merge_sort_block_merge_config_selectorIyNS0_10empty_typeEEEZZNS1_27merge_sort_block_merge_implIS3_N6thrust23THRUST_200600_302600_NS6detail15normal_iteratorINS9_10device_ptrIyEEEEPS5_jNS1_19radix_merge_compareILb0ELb1EyNS0_19identity_decomposerEEEEE10hipError_tT0_T1_T2_jT3_P12ihipStream_tbPNSt15iterator_traitsISK_E10value_typeEPNSQ_ISL_E10value_typeEPSM_NS1_7vsmem_tEENKUlT_SK_SL_SM_E_clIPySE_SF_SF_EESJ_SZ_SK_SL_SM_EUlSZ_E0_NS1_11comp_targetILNS1_3genE3ELNS1_11target_archE908ELNS1_3gpuE7ELNS1_3repE0EEENS1_38merge_mergepath_config_static_selectorELNS0_4arch9wavefront6targetE1EEEvSL_
	.p2align	8
	.type	_ZN7rocprim17ROCPRIM_400000_NS6detail17trampoline_kernelINS0_14default_configENS1_38merge_sort_block_merge_config_selectorIyNS0_10empty_typeEEEZZNS1_27merge_sort_block_merge_implIS3_N6thrust23THRUST_200600_302600_NS6detail15normal_iteratorINS9_10device_ptrIyEEEEPS5_jNS1_19radix_merge_compareILb0ELb1EyNS0_19identity_decomposerEEEEE10hipError_tT0_T1_T2_jT3_P12ihipStream_tbPNSt15iterator_traitsISK_E10value_typeEPNSQ_ISL_E10value_typeEPSM_NS1_7vsmem_tEENKUlT_SK_SL_SM_E_clIPySE_SF_SF_EESJ_SZ_SK_SL_SM_EUlSZ_E0_NS1_11comp_targetILNS1_3genE3ELNS1_11target_archE908ELNS1_3gpuE7ELNS1_3repE0EEENS1_38merge_mergepath_config_static_selectorELNS0_4arch9wavefront6targetE1EEEvSL_,@function
_ZN7rocprim17ROCPRIM_400000_NS6detail17trampoline_kernelINS0_14default_configENS1_38merge_sort_block_merge_config_selectorIyNS0_10empty_typeEEEZZNS1_27merge_sort_block_merge_implIS3_N6thrust23THRUST_200600_302600_NS6detail15normal_iteratorINS9_10device_ptrIyEEEEPS5_jNS1_19radix_merge_compareILb0ELb1EyNS0_19identity_decomposerEEEEE10hipError_tT0_T1_T2_jT3_P12ihipStream_tbPNSt15iterator_traitsISK_E10value_typeEPNSQ_ISL_E10value_typeEPSM_NS1_7vsmem_tEENKUlT_SK_SL_SM_E_clIPySE_SF_SF_EESJ_SZ_SK_SL_SM_EUlSZ_E0_NS1_11comp_targetILNS1_3genE3ELNS1_11target_archE908ELNS1_3gpuE7ELNS1_3repE0EEENS1_38merge_mergepath_config_static_selectorELNS0_4arch9wavefront6targetE1EEEvSL_: ; @_ZN7rocprim17ROCPRIM_400000_NS6detail17trampoline_kernelINS0_14default_configENS1_38merge_sort_block_merge_config_selectorIyNS0_10empty_typeEEEZZNS1_27merge_sort_block_merge_implIS3_N6thrust23THRUST_200600_302600_NS6detail15normal_iteratorINS9_10device_ptrIyEEEEPS5_jNS1_19radix_merge_compareILb0ELb1EyNS0_19identity_decomposerEEEEE10hipError_tT0_T1_T2_jT3_P12ihipStream_tbPNSt15iterator_traitsISK_E10value_typeEPNSQ_ISL_E10value_typeEPSM_NS1_7vsmem_tEENKUlT_SK_SL_SM_E_clIPySE_SF_SF_EESJ_SZ_SK_SL_SM_EUlSZ_E0_NS1_11comp_targetILNS1_3genE3ELNS1_11target_archE908ELNS1_3gpuE7ELNS1_3repE0EEENS1_38merge_mergepath_config_static_selectorELNS0_4arch9wavefront6targetE1EEEvSL_
; %bb.0:
	.section	.rodata,"a",@progbits
	.p2align	6, 0x0
	.amdhsa_kernel _ZN7rocprim17ROCPRIM_400000_NS6detail17trampoline_kernelINS0_14default_configENS1_38merge_sort_block_merge_config_selectorIyNS0_10empty_typeEEEZZNS1_27merge_sort_block_merge_implIS3_N6thrust23THRUST_200600_302600_NS6detail15normal_iteratorINS9_10device_ptrIyEEEEPS5_jNS1_19radix_merge_compareILb0ELb1EyNS0_19identity_decomposerEEEEE10hipError_tT0_T1_T2_jT3_P12ihipStream_tbPNSt15iterator_traitsISK_E10value_typeEPNSQ_ISL_E10value_typeEPSM_NS1_7vsmem_tEENKUlT_SK_SL_SM_E_clIPySE_SF_SF_EESJ_SZ_SK_SL_SM_EUlSZ_E0_NS1_11comp_targetILNS1_3genE3ELNS1_11target_archE908ELNS1_3gpuE7ELNS1_3repE0EEENS1_38merge_mergepath_config_static_selectorELNS0_4arch9wavefront6targetE1EEEvSL_
		.amdhsa_group_segment_fixed_size 0
		.amdhsa_private_segment_fixed_size 0
		.amdhsa_kernarg_size 72
		.amdhsa_user_sgpr_count 2
		.amdhsa_user_sgpr_dispatch_ptr 0
		.amdhsa_user_sgpr_queue_ptr 0
		.amdhsa_user_sgpr_kernarg_segment_ptr 1
		.amdhsa_user_sgpr_dispatch_id 0
		.amdhsa_user_sgpr_kernarg_preload_length 0
		.amdhsa_user_sgpr_kernarg_preload_offset 0
		.amdhsa_user_sgpr_private_segment_size 0
		.amdhsa_uses_dynamic_stack 0
		.amdhsa_enable_private_segment 0
		.amdhsa_system_sgpr_workgroup_id_x 1
		.amdhsa_system_sgpr_workgroup_id_y 0
		.amdhsa_system_sgpr_workgroup_id_z 0
		.amdhsa_system_sgpr_workgroup_info 0
		.amdhsa_system_vgpr_workitem_id 0
		.amdhsa_next_free_vgpr 1
		.amdhsa_next_free_sgpr 0
		.amdhsa_accum_offset 4
		.amdhsa_reserve_vcc 0
		.amdhsa_float_round_mode_32 0
		.amdhsa_float_round_mode_16_64 0
		.amdhsa_float_denorm_mode_32 3
		.amdhsa_float_denorm_mode_16_64 3
		.amdhsa_dx10_clamp 1
		.amdhsa_ieee_mode 1
		.amdhsa_fp16_overflow 0
		.amdhsa_tg_split 0
		.amdhsa_exception_fp_ieee_invalid_op 0
		.amdhsa_exception_fp_denorm_src 0
		.amdhsa_exception_fp_ieee_div_zero 0
		.amdhsa_exception_fp_ieee_overflow 0
		.amdhsa_exception_fp_ieee_underflow 0
		.amdhsa_exception_fp_ieee_inexact 0
		.amdhsa_exception_int_div_zero 0
	.end_amdhsa_kernel
	.section	.text._ZN7rocprim17ROCPRIM_400000_NS6detail17trampoline_kernelINS0_14default_configENS1_38merge_sort_block_merge_config_selectorIyNS0_10empty_typeEEEZZNS1_27merge_sort_block_merge_implIS3_N6thrust23THRUST_200600_302600_NS6detail15normal_iteratorINS9_10device_ptrIyEEEEPS5_jNS1_19radix_merge_compareILb0ELb1EyNS0_19identity_decomposerEEEEE10hipError_tT0_T1_T2_jT3_P12ihipStream_tbPNSt15iterator_traitsISK_E10value_typeEPNSQ_ISL_E10value_typeEPSM_NS1_7vsmem_tEENKUlT_SK_SL_SM_E_clIPySE_SF_SF_EESJ_SZ_SK_SL_SM_EUlSZ_E0_NS1_11comp_targetILNS1_3genE3ELNS1_11target_archE908ELNS1_3gpuE7ELNS1_3repE0EEENS1_38merge_mergepath_config_static_selectorELNS0_4arch9wavefront6targetE1EEEvSL_,"axG",@progbits,_ZN7rocprim17ROCPRIM_400000_NS6detail17trampoline_kernelINS0_14default_configENS1_38merge_sort_block_merge_config_selectorIyNS0_10empty_typeEEEZZNS1_27merge_sort_block_merge_implIS3_N6thrust23THRUST_200600_302600_NS6detail15normal_iteratorINS9_10device_ptrIyEEEEPS5_jNS1_19radix_merge_compareILb0ELb1EyNS0_19identity_decomposerEEEEE10hipError_tT0_T1_T2_jT3_P12ihipStream_tbPNSt15iterator_traitsISK_E10value_typeEPNSQ_ISL_E10value_typeEPSM_NS1_7vsmem_tEENKUlT_SK_SL_SM_E_clIPySE_SF_SF_EESJ_SZ_SK_SL_SM_EUlSZ_E0_NS1_11comp_targetILNS1_3genE3ELNS1_11target_archE908ELNS1_3gpuE7ELNS1_3repE0EEENS1_38merge_mergepath_config_static_selectorELNS0_4arch9wavefront6targetE1EEEvSL_,comdat
.Lfunc_end801:
	.size	_ZN7rocprim17ROCPRIM_400000_NS6detail17trampoline_kernelINS0_14default_configENS1_38merge_sort_block_merge_config_selectorIyNS0_10empty_typeEEEZZNS1_27merge_sort_block_merge_implIS3_N6thrust23THRUST_200600_302600_NS6detail15normal_iteratorINS9_10device_ptrIyEEEEPS5_jNS1_19radix_merge_compareILb0ELb1EyNS0_19identity_decomposerEEEEE10hipError_tT0_T1_T2_jT3_P12ihipStream_tbPNSt15iterator_traitsISK_E10value_typeEPNSQ_ISL_E10value_typeEPSM_NS1_7vsmem_tEENKUlT_SK_SL_SM_E_clIPySE_SF_SF_EESJ_SZ_SK_SL_SM_EUlSZ_E0_NS1_11comp_targetILNS1_3genE3ELNS1_11target_archE908ELNS1_3gpuE7ELNS1_3repE0EEENS1_38merge_mergepath_config_static_selectorELNS0_4arch9wavefront6targetE1EEEvSL_, .Lfunc_end801-_ZN7rocprim17ROCPRIM_400000_NS6detail17trampoline_kernelINS0_14default_configENS1_38merge_sort_block_merge_config_selectorIyNS0_10empty_typeEEEZZNS1_27merge_sort_block_merge_implIS3_N6thrust23THRUST_200600_302600_NS6detail15normal_iteratorINS9_10device_ptrIyEEEEPS5_jNS1_19radix_merge_compareILb0ELb1EyNS0_19identity_decomposerEEEEE10hipError_tT0_T1_T2_jT3_P12ihipStream_tbPNSt15iterator_traitsISK_E10value_typeEPNSQ_ISL_E10value_typeEPSM_NS1_7vsmem_tEENKUlT_SK_SL_SM_E_clIPySE_SF_SF_EESJ_SZ_SK_SL_SM_EUlSZ_E0_NS1_11comp_targetILNS1_3genE3ELNS1_11target_archE908ELNS1_3gpuE7ELNS1_3repE0EEENS1_38merge_mergepath_config_static_selectorELNS0_4arch9wavefront6targetE1EEEvSL_
                                        ; -- End function
	.section	.AMDGPU.csdata,"",@progbits
; Kernel info:
; codeLenInByte = 0
; NumSgprs: 6
; NumVgprs: 0
; NumAgprs: 0
; TotalNumVgprs: 0
; ScratchSize: 0
; MemoryBound: 0
; FloatMode: 240
; IeeeMode: 1
; LDSByteSize: 0 bytes/workgroup (compile time only)
; SGPRBlocks: 0
; VGPRBlocks: 0
; NumSGPRsForWavesPerEU: 6
; NumVGPRsForWavesPerEU: 1
; AccumOffset: 4
; Occupancy: 8
; WaveLimiterHint : 0
; COMPUTE_PGM_RSRC2:SCRATCH_EN: 0
; COMPUTE_PGM_RSRC2:USER_SGPR: 2
; COMPUTE_PGM_RSRC2:TRAP_HANDLER: 0
; COMPUTE_PGM_RSRC2:TGID_X_EN: 1
; COMPUTE_PGM_RSRC2:TGID_Y_EN: 0
; COMPUTE_PGM_RSRC2:TGID_Z_EN: 0
; COMPUTE_PGM_RSRC2:TIDIG_COMP_CNT: 0
; COMPUTE_PGM_RSRC3_GFX90A:ACCUM_OFFSET: 0
; COMPUTE_PGM_RSRC3_GFX90A:TG_SPLIT: 0
	.section	.text._ZN7rocprim17ROCPRIM_400000_NS6detail17trampoline_kernelINS0_14default_configENS1_38merge_sort_block_merge_config_selectorIyNS0_10empty_typeEEEZZNS1_27merge_sort_block_merge_implIS3_N6thrust23THRUST_200600_302600_NS6detail15normal_iteratorINS9_10device_ptrIyEEEEPS5_jNS1_19radix_merge_compareILb0ELb1EyNS0_19identity_decomposerEEEEE10hipError_tT0_T1_T2_jT3_P12ihipStream_tbPNSt15iterator_traitsISK_E10value_typeEPNSQ_ISL_E10value_typeEPSM_NS1_7vsmem_tEENKUlT_SK_SL_SM_E_clIPySE_SF_SF_EESJ_SZ_SK_SL_SM_EUlSZ_E0_NS1_11comp_targetILNS1_3genE2ELNS1_11target_archE906ELNS1_3gpuE6ELNS1_3repE0EEENS1_38merge_mergepath_config_static_selectorELNS0_4arch9wavefront6targetE1EEEvSL_,"axG",@progbits,_ZN7rocprim17ROCPRIM_400000_NS6detail17trampoline_kernelINS0_14default_configENS1_38merge_sort_block_merge_config_selectorIyNS0_10empty_typeEEEZZNS1_27merge_sort_block_merge_implIS3_N6thrust23THRUST_200600_302600_NS6detail15normal_iteratorINS9_10device_ptrIyEEEEPS5_jNS1_19radix_merge_compareILb0ELb1EyNS0_19identity_decomposerEEEEE10hipError_tT0_T1_T2_jT3_P12ihipStream_tbPNSt15iterator_traitsISK_E10value_typeEPNSQ_ISL_E10value_typeEPSM_NS1_7vsmem_tEENKUlT_SK_SL_SM_E_clIPySE_SF_SF_EESJ_SZ_SK_SL_SM_EUlSZ_E0_NS1_11comp_targetILNS1_3genE2ELNS1_11target_archE906ELNS1_3gpuE6ELNS1_3repE0EEENS1_38merge_mergepath_config_static_selectorELNS0_4arch9wavefront6targetE1EEEvSL_,comdat
	.protected	_ZN7rocprim17ROCPRIM_400000_NS6detail17trampoline_kernelINS0_14default_configENS1_38merge_sort_block_merge_config_selectorIyNS0_10empty_typeEEEZZNS1_27merge_sort_block_merge_implIS3_N6thrust23THRUST_200600_302600_NS6detail15normal_iteratorINS9_10device_ptrIyEEEEPS5_jNS1_19radix_merge_compareILb0ELb1EyNS0_19identity_decomposerEEEEE10hipError_tT0_T1_T2_jT3_P12ihipStream_tbPNSt15iterator_traitsISK_E10value_typeEPNSQ_ISL_E10value_typeEPSM_NS1_7vsmem_tEENKUlT_SK_SL_SM_E_clIPySE_SF_SF_EESJ_SZ_SK_SL_SM_EUlSZ_E0_NS1_11comp_targetILNS1_3genE2ELNS1_11target_archE906ELNS1_3gpuE6ELNS1_3repE0EEENS1_38merge_mergepath_config_static_selectorELNS0_4arch9wavefront6targetE1EEEvSL_ ; -- Begin function _ZN7rocprim17ROCPRIM_400000_NS6detail17trampoline_kernelINS0_14default_configENS1_38merge_sort_block_merge_config_selectorIyNS0_10empty_typeEEEZZNS1_27merge_sort_block_merge_implIS3_N6thrust23THRUST_200600_302600_NS6detail15normal_iteratorINS9_10device_ptrIyEEEEPS5_jNS1_19radix_merge_compareILb0ELb1EyNS0_19identity_decomposerEEEEE10hipError_tT0_T1_T2_jT3_P12ihipStream_tbPNSt15iterator_traitsISK_E10value_typeEPNSQ_ISL_E10value_typeEPSM_NS1_7vsmem_tEENKUlT_SK_SL_SM_E_clIPySE_SF_SF_EESJ_SZ_SK_SL_SM_EUlSZ_E0_NS1_11comp_targetILNS1_3genE2ELNS1_11target_archE906ELNS1_3gpuE6ELNS1_3repE0EEENS1_38merge_mergepath_config_static_selectorELNS0_4arch9wavefront6targetE1EEEvSL_
	.globl	_ZN7rocprim17ROCPRIM_400000_NS6detail17trampoline_kernelINS0_14default_configENS1_38merge_sort_block_merge_config_selectorIyNS0_10empty_typeEEEZZNS1_27merge_sort_block_merge_implIS3_N6thrust23THRUST_200600_302600_NS6detail15normal_iteratorINS9_10device_ptrIyEEEEPS5_jNS1_19radix_merge_compareILb0ELb1EyNS0_19identity_decomposerEEEEE10hipError_tT0_T1_T2_jT3_P12ihipStream_tbPNSt15iterator_traitsISK_E10value_typeEPNSQ_ISL_E10value_typeEPSM_NS1_7vsmem_tEENKUlT_SK_SL_SM_E_clIPySE_SF_SF_EESJ_SZ_SK_SL_SM_EUlSZ_E0_NS1_11comp_targetILNS1_3genE2ELNS1_11target_archE906ELNS1_3gpuE6ELNS1_3repE0EEENS1_38merge_mergepath_config_static_selectorELNS0_4arch9wavefront6targetE1EEEvSL_
	.p2align	8
	.type	_ZN7rocprim17ROCPRIM_400000_NS6detail17trampoline_kernelINS0_14default_configENS1_38merge_sort_block_merge_config_selectorIyNS0_10empty_typeEEEZZNS1_27merge_sort_block_merge_implIS3_N6thrust23THRUST_200600_302600_NS6detail15normal_iteratorINS9_10device_ptrIyEEEEPS5_jNS1_19radix_merge_compareILb0ELb1EyNS0_19identity_decomposerEEEEE10hipError_tT0_T1_T2_jT3_P12ihipStream_tbPNSt15iterator_traitsISK_E10value_typeEPNSQ_ISL_E10value_typeEPSM_NS1_7vsmem_tEENKUlT_SK_SL_SM_E_clIPySE_SF_SF_EESJ_SZ_SK_SL_SM_EUlSZ_E0_NS1_11comp_targetILNS1_3genE2ELNS1_11target_archE906ELNS1_3gpuE6ELNS1_3repE0EEENS1_38merge_mergepath_config_static_selectorELNS0_4arch9wavefront6targetE1EEEvSL_,@function
_ZN7rocprim17ROCPRIM_400000_NS6detail17trampoline_kernelINS0_14default_configENS1_38merge_sort_block_merge_config_selectorIyNS0_10empty_typeEEEZZNS1_27merge_sort_block_merge_implIS3_N6thrust23THRUST_200600_302600_NS6detail15normal_iteratorINS9_10device_ptrIyEEEEPS5_jNS1_19radix_merge_compareILb0ELb1EyNS0_19identity_decomposerEEEEE10hipError_tT0_T1_T2_jT3_P12ihipStream_tbPNSt15iterator_traitsISK_E10value_typeEPNSQ_ISL_E10value_typeEPSM_NS1_7vsmem_tEENKUlT_SK_SL_SM_E_clIPySE_SF_SF_EESJ_SZ_SK_SL_SM_EUlSZ_E0_NS1_11comp_targetILNS1_3genE2ELNS1_11target_archE906ELNS1_3gpuE6ELNS1_3repE0EEENS1_38merge_mergepath_config_static_selectorELNS0_4arch9wavefront6targetE1EEEvSL_: ; @_ZN7rocprim17ROCPRIM_400000_NS6detail17trampoline_kernelINS0_14default_configENS1_38merge_sort_block_merge_config_selectorIyNS0_10empty_typeEEEZZNS1_27merge_sort_block_merge_implIS3_N6thrust23THRUST_200600_302600_NS6detail15normal_iteratorINS9_10device_ptrIyEEEEPS5_jNS1_19radix_merge_compareILb0ELb1EyNS0_19identity_decomposerEEEEE10hipError_tT0_T1_T2_jT3_P12ihipStream_tbPNSt15iterator_traitsISK_E10value_typeEPNSQ_ISL_E10value_typeEPSM_NS1_7vsmem_tEENKUlT_SK_SL_SM_E_clIPySE_SF_SF_EESJ_SZ_SK_SL_SM_EUlSZ_E0_NS1_11comp_targetILNS1_3genE2ELNS1_11target_archE906ELNS1_3gpuE6ELNS1_3repE0EEENS1_38merge_mergepath_config_static_selectorELNS0_4arch9wavefront6targetE1EEEvSL_
; %bb.0:
	.section	.rodata,"a",@progbits
	.p2align	6, 0x0
	.amdhsa_kernel _ZN7rocprim17ROCPRIM_400000_NS6detail17trampoline_kernelINS0_14default_configENS1_38merge_sort_block_merge_config_selectorIyNS0_10empty_typeEEEZZNS1_27merge_sort_block_merge_implIS3_N6thrust23THRUST_200600_302600_NS6detail15normal_iteratorINS9_10device_ptrIyEEEEPS5_jNS1_19radix_merge_compareILb0ELb1EyNS0_19identity_decomposerEEEEE10hipError_tT0_T1_T2_jT3_P12ihipStream_tbPNSt15iterator_traitsISK_E10value_typeEPNSQ_ISL_E10value_typeEPSM_NS1_7vsmem_tEENKUlT_SK_SL_SM_E_clIPySE_SF_SF_EESJ_SZ_SK_SL_SM_EUlSZ_E0_NS1_11comp_targetILNS1_3genE2ELNS1_11target_archE906ELNS1_3gpuE6ELNS1_3repE0EEENS1_38merge_mergepath_config_static_selectorELNS0_4arch9wavefront6targetE1EEEvSL_
		.amdhsa_group_segment_fixed_size 0
		.amdhsa_private_segment_fixed_size 0
		.amdhsa_kernarg_size 72
		.amdhsa_user_sgpr_count 2
		.amdhsa_user_sgpr_dispatch_ptr 0
		.amdhsa_user_sgpr_queue_ptr 0
		.amdhsa_user_sgpr_kernarg_segment_ptr 1
		.amdhsa_user_sgpr_dispatch_id 0
		.amdhsa_user_sgpr_kernarg_preload_length 0
		.amdhsa_user_sgpr_kernarg_preload_offset 0
		.amdhsa_user_sgpr_private_segment_size 0
		.amdhsa_uses_dynamic_stack 0
		.amdhsa_enable_private_segment 0
		.amdhsa_system_sgpr_workgroup_id_x 1
		.amdhsa_system_sgpr_workgroup_id_y 0
		.amdhsa_system_sgpr_workgroup_id_z 0
		.amdhsa_system_sgpr_workgroup_info 0
		.amdhsa_system_vgpr_workitem_id 0
		.amdhsa_next_free_vgpr 1
		.amdhsa_next_free_sgpr 0
		.amdhsa_accum_offset 4
		.amdhsa_reserve_vcc 0
		.amdhsa_float_round_mode_32 0
		.amdhsa_float_round_mode_16_64 0
		.amdhsa_float_denorm_mode_32 3
		.amdhsa_float_denorm_mode_16_64 3
		.amdhsa_dx10_clamp 1
		.amdhsa_ieee_mode 1
		.amdhsa_fp16_overflow 0
		.amdhsa_tg_split 0
		.amdhsa_exception_fp_ieee_invalid_op 0
		.amdhsa_exception_fp_denorm_src 0
		.amdhsa_exception_fp_ieee_div_zero 0
		.amdhsa_exception_fp_ieee_overflow 0
		.amdhsa_exception_fp_ieee_underflow 0
		.amdhsa_exception_fp_ieee_inexact 0
		.amdhsa_exception_int_div_zero 0
	.end_amdhsa_kernel
	.section	.text._ZN7rocprim17ROCPRIM_400000_NS6detail17trampoline_kernelINS0_14default_configENS1_38merge_sort_block_merge_config_selectorIyNS0_10empty_typeEEEZZNS1_27merge_sort_block_merge_implIS3_N6thrust23THRUST_200600_302600_NS6detail15normal_iteratorINS9_10device_ptrIyEEEEPS5_jNS1_19radix_merge_compareILb0ELb1EyNS0_19identity_decomposerEEEEE10hipError_tT0_T1_T2_jT3_P12ihipStream_tbPNSt15iterator_traitsISK_E10value_typeEPNSQ_ISL_E10value_typeEPSM_NS1_7vsmem_tEENKUlT_SK_SL_SM_E_clIPySE_SF_SF_EESJ_SZ_SK_SL_SM_EUlSZ_E0_NS1_11comp_targetILNS1_3genE2ELNS1_11target_archE906ELNS1_3gpuE6ELNS1_3repE0EEENS1_38merge_mergepath_config_static_selectorELNS0_4arch9wavefront6targetE1EEEvSL_,"axG",@progbits,_ZN7rocprim17ROCPRIM_400000_NS6detail17trampoline_kernelINS0_14default_configENS1_38merge_sort_block_merge_config_selectorIyNS0_10empty_typeEEEZZNS1_27merge_sort_block_merge_implIS3_N6thrust23THRUST_200600_302600_NS6detail15normal_iteratorINS9_10device_ptrIyEEEEPS5_jNS1_19radix_merge_compareILb0ELb1EyNS0_19identity_decomposerEEEEE10hipError_tT0_T1_T2_jT3_P12ihipStream_tbPNSt15iterator_traitsISK_E10value_typeEPNSQ_ISL_E10value_typeEPSM_NS1_7vsmem_tEENKUlT_SK_SL_SM_E_clIPySE_SF_SF_EESJ_SZ_SK_SL_SM_EUlSZ_E0_NS1_11comp_targetILNS1_3genE2ELNS1_11target_archE906ELNS1_3gpuE6ELNS1_3repE0EEENS1_38merge_mergepath_config_static_selectorELNS0_4arch9wavefront6targetE1EEEvSL_,comdat
.Lfunc_end802:
	.size	_ZN7rocprim17ROCPRIM_400000_NS6detail17trampoline_kernelINS0_14default_configENS1_38merge_sort_block_merge_config_selectorIyNS0_10empty_typeEEEZZNS1_27merge_sort_block_merge_implIS3_N6thrust23THRUST_200600_302600_NS6detail15normal_iteratorINS9_10device_ptrIyEEEEPS5_jNS1_19radix_merge_compareILb0ELb1EyNS0_19identity_decomposerEEEEE10hipError_tT0_T1_T2_jT3_P12ihipStream_tbPNSt15iterator_traitsISK_E10value_typeEPNSQ_ISL_E10value_typeEPSM_NS1_7vsmem_tEENKUlT_SK_SL_SM_E_clIPySE_SF_SF_EESJ_SZ_SK_SL_SM_EUlSZ_E0_NS1_11comp_targetILNS1_3genE2ELNS1_11target_archE906ELNS1_3gpuE6ELNS1_3repE0EEENS1_38merge_mergepath_config_static_selectorELNS0_4arch9wavefront6targetE1EEEvSL_, .Lfunc_end802-_ZN7rocprim17ROCPRIM_400000_NS6detail17trampoline_kernelINS0_14default_configENS1_38merge_sort_block_merge_config_selectorIyNS0_10empty_typeEEEZZNS1_27merge_sort_block_merge_implIS3_N6thrust23THRUST_200600_302600_NS6detail15normal_iteratorINS9_10device_ptrIyEEEEPS5_jNS1_19radix_merge_compareILb0ELb1EyNS0_19identity_decomposerEEEEE10hipError_tT0_T1_T2_jT3_P12ihipStream_tbPNSt15iterator_traitsISK_E10value_typeEPNSQ_ISL_E10value_typeEPSM_NS1_7vsmem_tEENKUlT_SK_SL_SM_E_clIPySE_SF_SF_EESJ_SZ_SK_SL_SM_EUlSZ_E0_NS1_11comp_targetILNS1_3genE2ELNS1_11target_archE906ELNS1_3gpuE6ELNS1_3repE0EEENS1_38merge_mergepath_config_static_selectorELNS0_4arch9wavefront6targetE1EEEvSL_
                                        ; -- End function
	.section	.AMDGPU.csdata,"",@progbits
; Kernel info:
; codeLenInByte = 0
; NumSgprs: 6
; NumVgprs: 0
; NumAgprs: 0
; TotalNumVgprs: 0
; ScratchSize: 0
; MemoryBound: 0
; FloatMode: 240
; IeeeMode: 1
; LDSByteSize: 0 bytes/workgroup (compile time only)
; SGPRBlocks: 0
; VGPRBlocks: 0
; NumSGPRsForWavesPerEU: 6
; NumVGPRsForWavesPerEU: 1
; AccumOffset: 4
; Occupancy: 8
; WaveLimiterHint : 0
; COMPUTE_PGM_RSRC2:SCRATCH_EN: 0
; COMPUTE_PGM_RSRC2:USER_SGPR: 2
; COMPUTE_PGM_RSRC2:TRAP_HANDLER: 0
; COMPUTE_PGM_RSRC2:TGID_X_EN: 1
; COMPUTE_PGM_RSRC2:TGID_Y_EN: 0
; COMPUTE_PGM_RSRC2:TGID_Z_EN: 0
; COMPUTE_PGM_RSRC2:TIDIG_COMP_CNT: 0
; COMPUTE_PGM_RSRC3_GFX90A:ACCUM_OFFSET: 0
; COMPUTE_PGM_RSRC3_GFX90A:TG_SPLIT: 0
	.section	.text._ZN7rocprim17ROCPRIM_400000_NS6detail17trampoline_kernelINS0_14default_configENS1_38merge_sort_block_merge_config_selectorIyNS0_10empty_typeEEEZZNS1_27merge_sort_block_merge_implIS3_N6thrust23THRUST_200600_302600_NS6detail15normal_iteratorINS9_10device_ptrIyEEEEPS5_jNS1_19radix_merge_compareILb0ELb1EyNS0_19identity_decomposerEEEEE10hipError_tT0_T1_T2_jT3_P12ihipStream_tbPNSt15iterator_traitsISK_E10value_typeEPNSQ_ISL_E10value_typeEPSM_NS1_7vsmem_tEENKUlT_SK_SL_SM_E_clIPySE_SF_SF_EESJ_SZ_SK_SL_SM_EUlSZ_E0_NS1_11comp_targetILNS1_3genE9ELNS1_11target_archE1100ELNS1_3gpuE3ELNS1_3repE0EEENS1_38merge_mergepath_config_static_selectorELNS0_4arch9wavefront6targetE1EEEvSL_,"axG",@progbits,_ZN7rocprim17ROCPRIM_400000_NS6detail17trampoline_kernelINS0_14default_configENS1_38merge_sort_block_merge_config_selectorIyNS0_10empty_typeEEEZZNS1_27merge_sort_block_merge_implIS3_N6thrust23THRUST_200600_302600_NS6detail15normal_iteratorINS9_10device_ptrIyEEEEPS5_jNS1_19radix_merge_compareILb0ELb1EyNS0_19identity_decomposerEEEEE10hipError_tT0_T1_T2_jT3_P12ihipStream_tbPNSt15iterator_traitsISK_E10value_typeEPNSQ_ISL_E10value_typeEPSM_NS1_7vsmem_tEENKUlT_SK_SL_SM_E_clIPySE_SF_SF_EESJ_SZ_SK_SL_SM_EUlSZ_E0_NS1_11comp_targetILNS1_3genE9ELNS1_11target_archE1100ELNS1_3gpuE3ELNS1_3repE0EEENS1_38merge_mergepath_config_static_selectorELNS0_4arch9wavefront6targetE1EEEvSL_,comdat
	.protected	_ZN7rocprim17ROCPRIM_400000_NS6detail17trampoline_kernelINS0_14default_configENS1_38merge_sort_block_merge_config_selectorIyNS0_10empty_typeEEEZZNS1_27merge_sort_block_merge_implIS3_N6thrust23THRUST_200600_302600_NS6detail15normal_iteratorINS9_10device_ptrIyEEEEPS5_jNS1_19radix_merge_compareILb0ELb1EyNS0_19identity_decomposerEEEEE10hipError_tT0_T1_T2_jT3_P12ihipStream_tbPNSt15iterator_traitsISK_E10value_typeEPNSQ_ISL_E10value_typeEPSM_NS1_7vsmem_tEENKUlT_SK_SL_SM_E_clIPySE_SF_SF_EESJ_SZ_SK_SL_SM_EUlSZ_E0_NS1_11comp_targetILNS1_3genE9ELNS1_11target_archE1100ELNS1_3gpuE3ELNS1_3repE0EEENS1_38merge_mergepath_config_static_selectorELNS0_4arch9wavefront6targetE1EEEvSL_ ; -- Begin function _ZN7rocprim17ROCPRIM_400000_NS6detail17trampoline_kernelINS0_14default_configENS1_38merge_sort_block_merge_config_selectorIyNS0_10empty_typeEEEZZNS1_27merge_sort_block_merge_implIS3_N6thrust23THRUST_200600_302600_NS6detail15normal_iteratorINS9_10device_ptrIyEEEEPS5_jNS1_19radix_merge_compareILb0ELb1EyNS0_19identity_decomposerEEEEE10hipError_tT0_T1_T2_jT3_P12ihipStream_tbPNSt15iterator_traitsISK_E10value_typeEPNSQ_ISL_E10value_typeEPSM_NS1_7vsmem_tEENKUlT_SK_SL_SM_E_clIPySE_SF_SF_EESJ_SZ_SK_SL_SM_EUlSZ_E0_NS1_11comp_targetILNS1_3genE9ELNS1_11target_archE1100ELNS1_3gpuE3ELNS1_3repE0EEENS1_38merge_mergepath_config_static_selectorELNS0_4arch9wavefront6targetE1EEEvSL_
	.globl	_ZN7rocprim17ROCPRIM_400000_NS6detail17trampoline_kernelINS0_14default_configENS1_38merge_sort_block_merge_config_selectorIyNS0_10empty_typeEEEZZNS1_27merge_sort_block_merge_implIS3_N6thrust23THRUST_200600_302600_NS6detail15normal_iteratorINS9_10device_ptrIyEEEEPS5_jNS1_19radix_merge_compareILb0ELb1EyNS0_19identity_decomposerEEEEE10hipError_tT0_T1_T2_jT3_P12ihipStream_tbPNSt15iterator_traitsISK_E10value_typeEPNSQ_ISL_E10value_typeEPSM_NS1_7vsmem_tEENKUlT_SK_SL_SM_E_clIPySE_SF_SF_EESJ_SZ_SK_SL_SM_EUlSZ_E0_NS1_11comp_targetILNS1_3genE9ELNS1_11target_archE1100ELNS1_3gpuE3ELNS1_3repE0EEENS1_38merge_mergepath_config_static_selectorELNS0_4arch9wavefront6targetE1EEEvSL_
	.p2align	8
	.type	_ZN7rocprim17ROCPRIM_400000_NS6detail17trampoline_kernelINS0_14default_configENS1_38merge_sort_block_merge_config_selectorIyNS0_10empty_typeEEEZZNS1_27merge_sort_block_merge_implIS3_N6thrust23THRUST_200600_302600_NS6detail15normal_iteratorINS9_10device_ptrIyEEEEPS5_jNS1_19radix_merge_compareILb0ELb1EyNS0_19identity_decomposerEEEEE10hipError_tT0_T1_T2_jT3_P12ihipStream_tbPNSt15iterator_traitsISK_E10value_typeEPNSQ_ISL_E10value_typeEPSM_NS1_7vsmem_tEENKUlT_SK_SL_SM_E_clIPySE_SF_SF_EESJ_SZ_SK_SL_SM_EUlSZ_E0_NS1_11comp_targetILNS1_3genE9ELNS1_11target_archE1100ELNS1_3gpuE3ELNS1_3repE0EEENS1_38merge_mergepath_config_static_selectorELNS0_4arch9wavefront6targetE1EEEvSL_,@function
_ZN7rocprim17ROCPRIM_400000_NS6detail17trampoline_kernelINS0_14default_configENS1_38merge_sort_block_merge_config_selectorIyNS0_10empty_typeEEEZZNS1_27merge_sort_block_merge_implIS3_N6thrust23THRUST_200600_302600_NS6detail15normal_iteratorINS9_10device_ptrIyEEEEPS5_jNS1_19radix_merge_compareILb0ELb1EyNS0_19identity_decomposerEEEEE10hipError_tT0_T1_T2_jT3_P12ihipStream_tbPNSt15iterator_traitsISK_E10value_typeEPNSQ_ISL_E10value_typeEPSM_NS1_7vsmem_tEENKUlT_SK_SL_SM_E_clIPySE_SF_SF_EESJ_SZ_SK_SL_SM_EUlSZ_E0_NS1_11comp_targetILNS1_3genE9ELNS1_11target_archE1100ELNS1_3gpuE3ELNS1_3repE0EEENS1_38merge_mergepath_config_static_selectorELNS0_4arch9wavefront6targetE1EEEvSL_: ; @_ZN7rocprim17ROCPRIM_400000_NS6detail17trampoline_kernelINS0_14default_configENS1_38merge_sort_block_merge_config_selectorIyNS0_10empty_typeEEEZZNS1_27merge_sort_block_merge_implIS3_N6thrust23THRUST_200600_302600_NS6detail15normal_iteratorINS9_10device_ptrIyEEEEPS5_jNS1_19radix_merge_compareILb0ELb1EyNS0_19identity_decomposerEEEEE10hipError_tT0_T1_T2_jT3_P12ihipStream_tbPNSt15iterator_traitsISK_E10value_typeEPNSQ_ISL_E10value_typeEPSM_NS1_7vsmem_tEENKUlT_SK_SL_SM_E_clIPySE_SF_SF_EESJ_SZ_SK_SL_SM_EUlSZ_E0_NS1_11comp_targetILNS1_3genE9ELNS1_11target_archE1100ELNS1_3gpuE3ELNS1_3repE0EEENS1_38merge_mergepath_config_static_selectorELNS0_4arch9wavefront6targetE1EEEvSL_
; %bb.0:
	.section	.rodata,"a",@progbits
	.p2align	6, 0x0
	.amdhsa_kernel _ZN7rocprim17ROCPRIM_400000_NS6detail17trampoline_kernelINS0_14default_configENS1_38merge_sort_block_merge_config_selectorIyNS0_10empty_typeEEEZZNS1_27merge_sort_block_merge_implIS3_N6thrust23THRUST_200600_302600_NS6detail15normal_iteratorINS9_10device_ptrIyEEEEPS5_jNS1_19radix_merge_compareILb0ELb1EyNS0_19identity_decomposerEEEEE10hipError_tT0_T1_T2_jT3_P12ihipStream_tbPNSt15iterator_traitsISK_E10value_typeEPNSQ_ISL_E10value_typeEPSM_NS1_7vsmem_tEENKUlT_SK_SL_SM_E_clIPySE_SF_SF_EESJ_SZ_SK_SL_SM_EUlSZ_E0_NS1_11comp_targetILNS1_3genE9ELNS1_11target_archE1100ELNS1_3gpuE3ELNS1_3repE0EEENS1_38merge_mergepath_config_static_selectorELNS0_4arch9wavefront6targetE1EEEvSL_
		.amdhsa_group_segment_fixed_size 0
		.amdhsa_private_segment_fixed_size 0
		.amdhsa_kernarg_size 72
		.amdhsa_user_sgpr_count 2
		.amdhsa_user_sgpr_dispatch_ptr 0
		.amdhsa_user_sgpr_queue_ptr 0
		.amdhsa_user_sgpr_kernarg_segment_ptr 1
		.amdhsa_user_sgpr_dispatch_id 0
		.amdhsa_user_sgpr_kernarg_preload_length 0
		.amdhsa_user_sgpr_kernarg_preload_offset 0
		.amdhsa_user_sgpr_private_segment_size 0
		.amdhsa_uses_dynamic_stack 0
		.amdhsa_enable_private_segment 0
		.amdhsa_system_sgpr_workgroup_id_x 1
		.amdhsa_system_sgpr_workgroup_id_y 0
		.amdhsa_system_sgpr_workgroup_id_z 0
		.amdhsa_system_sgpr_workgroup_info 0
		.amdhsa_system_vgpr_workitem_id 0
		.amdhsa_next_free_vgpr 1
		.amdhsa_next_free_sgpr 0
		.amdhsa_accum_offset 4
		.amdhsa_reserve_vcc 0
		.amdhsa_float_round_mode_32 0
		.amdhsa_float_round_mode_16_64 0
		.amdhsa_float_denorm_mode_32 3
		.amdhsa_float_denorm_mode_16_64 3
		.amdhsa_dx10_clamp 1
		.amdhsa_ieee_mode 1
		.amdhsa_fp16_overflow 0
		.amdhsa_tg_split 0
		.amdhsa_exception_fp_ieee_invalid_op 0
		.amdhsa_exception_fp_denorm_src 0
		.amdhsa_exception_fp_ieee_div_zero 0
		.amdhsa_exception_fp_ieee_overflow 0
		.amdhsa_exception_fp_ieee_underflow 0
		.amdhsa_exception_fp_ieee_inexact 0
		.amdhsa_exception_int_div_zero 0
	.end_amdhsa_kernel
	.section	.text._ZN7rocprim17ROCPRIM_400000_NS6detail17trampoline_kernelINS0_14default_configENS1_38merge_sort_block_merge_config_selectorIyNS0_10empty_typeEEEZZNS1_27merge_sort_block_merge_implIS3_N6thrust23THRUST_200600_302600_NS6detail15normal_iteratorINS9_10device_ptrIyEEEEPS5_jNS1_19radix_merge_compareILb0ELb1EyNS0_19identity_decomposerEEEEE10hipError_tT0_T1_T2_jT3_P12ihipStream_tbPNSt15iterator_traitsISK_E10value_typeEPNSQ_ISL_E10value_typeEPSM_NS1_7vsmem_tEENKUlT_SK_SL_SM_E_clIPySE_SF_SF_EESJ_SZ_SK_SL_SM_EUlSZ_E0_NS1_11comp_targetILNS1_3genE9ELNS1_11target_archE1100ELNS1_3gpuE3ELNS1_3repE0EEENS1_38merge_mergepath_config_static_selectorELNS0_4arch9wavefront6targetE1EEEvSL_,"axG",@progbits,_ZN7rocprim17ROCPRIM_400000_NS6detail17trampoline_kernelINS0_14default_configENS1_38merge_sort_block_merge_config_selectorIyNS0_10empty_typeEEEZZNS1_27merge_sort_block_merge_implIS3_N6thrust23THRUST_200600_302600_NS6detail15normal_iteratorINS9_10device_ptrIyEEEEPS5_jNS1_19radix_merge_compareILb0ELb1EyNS0_19identity_decomposerEEEEE10hipError_tT0_T1_T2_jT3_P12ihipStream_tbPNSt15iterator_traitsISK_E10value_typeEPNSQ_ISL_E10value_typeEPSM_NS1_7vsmem_tEENKUlT_SK_SL_SM_E_clIPySE_SF_SF_EESJ_SZ_SK_SL_SM_EUlSZ_E0_NS1_11comp_targetILNS1_3genE9ELNS1_11target_archE1100ELNS1_3gpuE3ELNS1_3repE0EEENS1_38merge_mergepath_config_static_selectorELNS0_4arch9wavefront6targetE1EEEvSL_,comdat
.Lfunc_end803:
	.size	_ZN7rocprim17ROCPRIM_400000_NS6detail17trampoline_kernelINS0_14default_configENS1_38merge_sort_block_merge_config_selectorIyNS0_10empty_typeEEEZZNS1_27merge_sort_block_merge_implIS3_N6thrust23THRUST_200600_302600_NS6detail15normal_iteratorINS9_10device_ptrIyEEEEPS5_jNS1_19radix_merge_compareILb0ELb1EyNS0_19identity_decomposerEEEEE10hipError_tT0_T1_T2_jT3_P12ihipStream_tbPNSt15iterator_traitsISK_E10value_typeEPNSQ_ISL_E10value_typeEPSM_NS1_7vsmem_tEENKUlT_SK_SL_SM_E_clIPySE_SF_SF_EESJ_SZ_SK_SL_SM_EUlSZ_E0_NS1_11comp_targetILNS1_3genE9ELNS1_11target_archE1100ELNS1_3gpuE3ELNS1_3repE0EEENS1_38merge_mergepath_config_static_selectorELNS0_4arch9wavefront6targetE1EEEvSL_, .Lfunc_end803-_ZN7rocprim17ROCPRIM_400000_NS6detail17trampoline_kernelINS0_14default_configENS1_38merge_sort_block_merge_config_selectorIyNS0_10empty_typeEEEZZNS1_27merge_sort_block_merge_implIS3_N6thrust23THRUST_200600_302600_NS6detail15normal_iteratorINS9_10device_ptrIyEEEEPS5_jNS1_19radix_merge_compareILb0ELb1EyNS0_19identity_decomposerEEEEE10hipError_tT0_T1_T2_jT3_P12ihipStream_tbPNSt15iterator_traitsISK_E10value_typeEPNSQ_ISL_E10value_typeEPSM_NS1_7vsmem_tEENKUlT_SK_SL_SM_E_clIPySE_SF_SF_EESJ_SZ_SK_SL_SM_EUlSZ_E0_NS1_11comp_targetILNS1_3genE9ELNS1_11target_archE1100ELNS1_3gpuE3ELNS1_3repE0EEENS1_38merge_mergepath_config_static_selectorELNS0_4arch9wavefront6targetE1EEEvSL_
                                        ; -- End function
	.section	.AMDGPU.csdata,"",@progbits
; Kernel info:
; codeLenInByte = 0
; NumSgprs: 6
; NumVgprs: 0
; NumAgprs: 0
; TotalNumVgprs: 0
; ScratchSize: 0
; MemoryBound: 0
; FloatMode: 240
; IeeeMode: 1
; LDSByteSize: 0 bytes/workgroup (compile time only)
; SGPRBlocks: 0
; VGPRBlocks: 0
; NumSGPRsForWavesPerEU: 6
; NumVGPRsForWavesPerEU: 1
; AccumOffset: 4
; Occupancy: 8
; WaveLimiterHint : 0
; COMPUTE_PGM_RSRC2:SCRATCH_EN: 0
; COMPUTE_PGM_RSRC2:USER_SGPR: 2
; COMPUTE_PGM_RSRC2:TRAP_HANDLER: 0
; COMPUTE_PGM_RSRC2:TGID_X_EN: 1
; COMPUTE_PGM_RSRC2:TGID_Y_EN: 0
; COMPUTE_PGM_RSRC2:TGID_Z_EN: 0
; COMPUTE_PGM_RSRC2:TIDIG_COMP_CNT: 0
; COMPUTE_PGM_RSRC3_GFX90A:ACCUM_OFFSET: 0
; COMPUTE_PGM_RSRC3_GFX90A:TG_SPLIT: 0
	.section	.text._ZN7rocprim17ROCPRIM_400000_NS6detail17trampoline_kernelINS0_14default_configENS1_38merge_sort_block_merge_config_selectorIyNS0_10empty_typeEEEZZNS1_27merge_sort_block_merge_implIS3_N6thrust23THRUST_200600_302600_NS6detail15normal_iteratorINS9_10device_ptrIyEEEEPS5_jNS1_19radix_merge_compareILb0ELb1EyNS0_19identity_decomposerEEEEE10hipError_tT0_T1_T2_jT3_P12ihipStream_tbPNSt15iterator_traitsISK_E10value_typeEPNSQ_ISL_E10value_typeEPSM_NS1_7vsmem_tEENKUlT_SK_SL_SM_E_clIPySE_SF_SF_EESJ_SZ_SK_SL_SM_EUlSZ_E0_NS1_11comp_targetILNS1_3genE8ELNS1_11target_archE1030ELNS1_3gpuE2ELNS1_3repE0EEENS1_38merge_mergepath_config_static_selectorELNS0_4arch9wavefront6targetE1EEEvSL_,"axG",@progbits,_ZN7rocprim17ROCPRIM_400000_NS6detail17trampoline_kernelINS0_14default_configENS1_38merge_sort_block_merge_config_selectorIyNS0_10empty_typeEEEZZNS1_27merge_sort_block_merge_implIS3_N6thrust23THRUST_200600_302600_NS6detail15normal_iteratorINS9_10device_ptrIyEEEEPS5_jNS1_19radix_merge_compareILb0ELb1EyNS0_19identity_decomposerEEEEE10hipError_tT0_T1_T2_jT3_P12ihipStream_tbPNSt15iterator_traitsISK_E10value_typeEPNSQ_ISL_E10value_typeEPSM_NS1_7vsmem_tEENKUlT_SK_SL_SM_E_clIPySE_SF_SF_EESJ_SZ_SK_SL_SM_EUlSZ_E0_NS1_11comp_targetILNS1_3genE8ELNS1_11target_archE1030ELNS1_3gpuE2ELNS1_3repE0EEENS1_38merge_mergepath_config_static_selectorELNS0_4arch9wavefront6targetE1EEEvSL_,comdat
	.protected	_ZN7rocprim17ROCPRIM_400000_NS6detail17trampoline_kernelINS0_14default_configENS1_38merge_sort_block_merge_config_selectorIyNS0_10empty_typeEEEZZNS1_27merge_sort_block_merge_implIS3_N6thrust23THRUST_200600_302600_NS6detail15normal_iteratorINS9_10device_ptrIyEEEEPS5_jNS1_19radix_merge_compareILb0ELb1EyNS0_19identity_decomposerEEEEE10hipError_tT0_T1_T2_jT3_P12ihipStream_tbPNSt15iterator_traitsISK_E10value_typeEPNSQ_ISL_E10value_typeEPSM_NS1_7vsmem_tEENKUlT_SK_SL_SM_E_clIPySE_SF_SF_EESJ_SZ_SK_SL_SM_EUlSZ_E0_NS1_11comp_targetILNS1_3genE8ELNS1_11target_archE1030ELNS1_3gpuE2ELNS1_3repE0EEENS1_38merge_mergepath_config_static_selectorELNS0_4arch9wavefront6targetE1EEEvSL_ ; -- Begin function _ZN7rocprim17ROCPRIM_400000_NS6detail17trampoline_kernelINS0_14default_configENS1_38merge_sort_block_merge_config_selectorIyNS0_10empty_typeEEEZZNS1_27merge_sort_block_merge_implIS3_N6thrust23THRUST_200600_302600_NS6detail15normal_iteratorINS9_10device_ptrIyEEEEPS5_jNS1_19radix_merge_compareILb0ELb1EyNS0_19identity_decomposerEEEEE10hipError_tT0_T1_T2_jT3_P12ihipStream_tbPNSt15iterator_traitsISK_E10value_typeEPNSQ_ISL_E10value_typeEPSM_NS1_7vsmem_tEENKUlT_SK_SL_SM_E_clIPySE_SF_SF_EESJ_SZ_SK_SL_SM_EUlSZ_E0_NS1_11comp_targetILNS1_3genE8ELNS1_11target_archE1030ELNS1_3gpuE2ELNS1_3repE0EEENS1_38merge_mergepath_config_static_selectorELNS0_4arch9wavefront6targetE1EEEvSL_
	.globl	_ZN7rocprim17ROCPRIM_400000_NS6detail17trampoline_kernelINS0_14default_configENS1_38merge_sort_block_merge_config_selectorIyNS0_10empty_typeEEEZZNS1_27merge_sort_block_merge_implIS3_N6thrust23THRUST_200600_302600_NS6detail15normal_iteratorINS9_10device_ptrIyEEEEPS5_jNS1_19radix_merge_compareILb0ELb1EyNS0_19identity_decomposerEEEEE10hipError_tT0_T1_T2_jT3_P12ihipStream_tbPNSt15iterator_traitsISK_E10value_typeEPNSQ_ISL_E10value_typeEPSM_NS1_7vsmem_tEENKUlT_SK_SL_SM_E_clIPySE_SF_SF_EESJ_SZ_SK_SL_SM_EUlSZ_E0_NS1_11comp_targetILNS1_3genE8ELNS1_11target_archE1030ELNS1_3gpuE2ELNS1_3repE0EEENS1_38merge_mergepath_config_static_selectorELNS0_4arch9wavefront6targetE1EEEvSL_
	.p2align	8
	.type	_ZN7rocprim17ROCPRIM_400000_NS6detail17trampoline_kernelINS0_14default_configENS1_38merge_sort_block_merge_config_selectorIyNS0_10empty_typeEEEZZNS1_27merge_sort_block_merge_implIS3_N6thrust23THRUST_200600_302600_NS6detail15normal_iteratorINS9_10device_ptrIyEEEEPS5_jNS1_19radix_merge_compareILb0ELb1EyNS0_19identity_decomposerEEEEE10hipError_tT0_T1_T2_jT3_P12ihipStream_tbPNSt15iterator_traitsISK_E10value_typeEPNSQ_ISL_E10value_typeEPSM_NS1_7vsmem_tEENKUlT_SK_SL_SM_E_clIPySE_SF_SF_EESJ_SZ_SK_SL_SM_EUlSZ_E0_NS1_11comp_targetILNS1_3genE8ELNS1_11target_archE1030ELNS1_3gpuE2ELNS1_3repE0EEENS1_38merge_mergepath_config_static_selectorELNS0_4arch9wavefront6targetE1EEEvSL_,@function
_ZN7rocprim17ROCPRIM_400000_NS6detail17trampoline_kernelINS0_14default_configENS1_38merge_sort_block_merge_config_selectorIyNS0_10empty_typeEEEZZNS1_27merge_sort_block_merge_implIS3_N6thrust23THRUST_200600_302600_NS6detail15normal_iteratorINS9_10device_ptrIyEEEEPS5_jNS1_19radix_merge_compareILb0ELb1EyNS0_19identity_decomposerEEEEE10hipError_tT0_T1_T2_jT3_P12ihipStream_tbPNSt15iterator_traitsISK_E10value_typeEPNSQ_ISL_E10value_typeEPSM_NS1_7vsmem_tEENKUlT_SK_SL_SM_E_clIPySE_SF_SF_EESJ_SZ_SK_SL_SM_EUlSZ_E0_NS1_11comp_targetILNS1_3genE8ELNS1_11target_archE1030ELNS1_3gpuE2ELNS1_3repE0EEENS1_38merge_mergepath_config_static_selectorELNS0_4arch9wavefront6targetE1EEEvSL_: ; @_ZN7rocprim17ROCPRIM_400000_NS6detail17trampoline_kernelINS0_14default_configENS1_38merge_sort_block_merge_config_selectorIyNS0_10empty_typeEEEZZNS1_27merge_sort_block_merge_implIS3_N6thrust23THRUST_200600_302600_NS6detail15normal_iteratorINS9_10device_ptrIyEEEEPS5_jNS1_19radix_merge_compareILb0ELb1EyNS0_19identity_decomposerEEEEE10hipError_tT0_T1_T2_jT3_P12ihipStream_tbPNSt15iterator_traitsISK_E10value_typeEPNSQ_ISL_E10value_typeEPSM_NS1_7vsmem_tEENKUlT_SK_SL_SM_E_clIPySE_SF_SF_EESJ_SZ_SK_SL_SM_EUlSZ_E0_NS1_11comp_targetILNS1_3genE8ELNS1_11target_archE1030ELNS1_3gpuE2ELNS1_3repE0EEENS1_38merge_mergepath_config_static_selectorELNS0_4arch9wavefront6targetE1EEEvSL_
; %bb.0:
	.section	.rodata,"a",@progbits
	.p2align	6, 0x0
	.amdhsa_kernel _ZN7rocprim17ROCPRIM_400000_NS6detail17trampoline_kernelINS0_14default_configENS1_38merge_sort_block_merge_config_selectorIyNS0_10empty_typeEEEZZNS1_27merge_sort_block_merge_implIS3_N6thrust23THRUST_200600_302600_NS6detail15normal_iteratorINS9_10device_ptrIyEEEEPS5_jNS1_19radix_merge_compareILb0ELb1EyNS0_19identity_decomposerEEEEE10hipError_tT0_T1_T2_jT3_P12ihipStream_tbPNSt15iterator_traitsISK_E10value_typeEPNSQ_ISL_E10value_typeEPSM_NS1_7vsmem_tEENKUlT_SK_SL_SM_E_clIPySE_SF_SF_EESJ_SZ_SK_SL_SM_EUlSZ_E0_NS1_11comp_targetILNS1_3genE8ELNS1_11target_archE1030ELNS1_3gpuE2ELNS1_3repE0EEENS1_38merge_mergepath_config_static_selectorELNS0_4arch9wavefront6targetE1EEEvSL_
		.amdhsa_group_segment_fixed_size 0
		.amdhsa_private_segment_fixed_size 0
		.amdhsa_kernarg_size 72
		.amdhsa_user_sgpr_count 2
		.amdhsa_user_sgpr_dispatch_ptr 0
		.amdhsa_user_sgpr_queue_ptr 0
		.amdhsa_user_sgpr_kernarg_segment_ptr 1
		.amdhsa_user_sgpr_dispatch_id 0
		.amdhsa_user_sgpr_kernarg_preload_length 0
		.amdhsa_user_sgpr_kernarg_preload_offset 0
		.amdhsa_user_sgpr_private_segment_size 0
		.amdhsa_uses_dynamic_stack 0
		.amdhsa_enable_private_segment 0
		.amdhsa_system_sgpr_workgroup_id_x 1
		.amdhsa_system_sgpr_workgroup_id_y 0
		.amdhsa_system_sgpr_workgroup_id_z 0
		.amdhsa_system_sgpr_workgroup_info 0
		.amdhsa_system_vgpr_workitem_id 0
		.amdhsa_next_free_vgpr 1
		.amdhsa_next_free_sgpr 0
		.amdhsa_accum_offset 4
		.amdhsa_reserve_vcc 0
		.amdhsa_float_round_mode_32 0
		.amdhsa_float_round_mode_16_64 0
		.amdhsa_float_denorm_mode_32 3
		.amdhsa_float_denorm_mode_16_64 3
		.amdhsa_dx10_clamp 1
		.amdhsa_ieee_mode 1
		.amdhsa_fp16_overflow 0
		.amdhsa_tg_split 0
		.amdhsa_exception_fp_ieee_invalid_op 0
		.amdhsa_exception_fp_denorm_src 0
		.amdhsa_exception_fp_ieee_div_zero 0
		.amdhsa_exception_fp_ieee_overflow 0
		.amdhsa_exception_fp_ieee_underflow 0
		.amdhsa_exception_fp_ieee_inexact 0
		.amdhsa_exception_int_div_zero 0
	.end_amdhsa_kernel
	.section	.text._ZN7rocprim17ROCPRIM_400000_NS6detail17trampoline_kernelINS0_14default_configENS1_38merge_sort_block_merge_config_selectorIyNS0_10empty_typeEEEZZNS1_27merge_sort_block_merge_implIS3_N6thrust23THRUST_200600_302600_NS6detail15normal_iteratorINS9_10device_ptrIyEEEEPS5_jNS1_19radix_merge_compareILb0ELb1EyNS0_19identity_decomposerEEEEE10hipError_tT0_T1_T2_jT3_P12ihipStream_tbPNSt15iterator_traitsISK_E10value_typeEPNSQ_ISL_E10value_typeEPSM_NS1_7vsmem_tEENKUlT_SK_SL_SM_E_clIPySE_SF_SF_EESJ_SZ_SK_SL_SM_EUlSZ_E0_NS1_11comp_targetILNS1_3genE8ELNS1_11target_archE1030ELNS1_3gpuE2ELNS1_3repE0EEENS1_38merge_mergepath_config_static_selectorELNS0_4arch9wavefront6targetE1EEEvSL_,"axG",@progbits,_ZN7rocprim17ROCPRIM_400000_NS6detail17trampoline_kernelINS0_14default_configENS1_38merge_sort_block_merge_config_selectorIyNS0_10empty_typeEEEZZNS1_27merge_sort_block_merge_implIS3_N6thrust23THRUST_200600_302600_NS6detail15normal_iteratorINS9_10device_ptrIyEEEEPS5_jNS1_19radix_merge_compareILb0ELb1EyNS0_19identity_decomposerEEEEE10hipError_tT0_T1_T2_jT3_P12ihipStream_tbPNSt15iterator_traitsISK_E10value_typeEPNSQ_ISL_E10value_typeEPSM_NS1_7vsmem_tEENKUlT_SK_SL_SM_E_clIPySE_SF_SF_EESJ_SZ_SK_SL_SM_EUlSZ_E0_NS1_11comp_targetILNS1_3genE8ELNS1_11target_archE1030ELNS1_3gpuE2ELNS1_3repE0EEENS1_38merge_mergepath_config_static_selectorELNS0_4arch9wavefront6targetE1EEEvSL_,comdat
.Lfunc_end804:
	.size	_ZN7rocprim17ROCPRIM_400000_NS6detail17trampoline_kernelINS0_14default_configENS1_38merge_sort_block_merge_config_selectorIyNS0_10empty_typeEEEZZNS1_27merge_sort_block_merge_implIS3_N6thrust23THRUST_200600_302600_NS6detail15normal_iteratorINS9_10device_ptrIyEEEEPS5_jNS1_19radix_merge_compareILb0ELb1EyNS0_19identity_decomposerEEEEE10hipError_tT0_T1_T2_jT3_P12ihipStream_tbPNSt15iterator_traitsISK_E10value_typeEPNSQ_ISL_E10value_typeEPSM_NS1_7vsmem_tEENKUlT_SK_SL_SM_E_clIPySE_SF_SF_EESJ_SZ_SK_SL_SM_EUlSZ_E0_NS1_11comp_targetILNS1_3genE8ELNS1_11target_archE1030ELNS1_3gpuE2ELNS1_3repE0EEENS1_38merge_mergepath_config_static_selectorELNS0_4arch9wavefront6targetE1EEEvSL_, .Lfunc_end804-_ZN7rocprim17ROCPRIM_400000_NS6detail17trampoline_kernelINS0_14default_configENS1_38merge_sort_block_merge_config_selectorIyNS0_10empty_typeEEEZZNS1_27merge_sort_block_merge_implIS3_N6thrust23THRUST_200600_302600_NS6detail15normal_iteratorINS9_10device_ptrIyEEEEPS5_jNS1_19radix_merge_compareILb0ELb1EyNS0_19identity_decomposerEEEEE10hipError_tT0_T1_T2_jT3_P12ihipStream_tbPNSt15iterator_traitsISK_E10value_typeEPNSQ_ISL_E10value_typeEPSM_NS1_7vsmem_tEENKUlT_SK_SL_SM_E_clIPySE_SF_SF_EESJ_SZ_SK_SL_SM_EUlSZ_E0_NS1_11comp_targetILNS1_3genE8ELNS1_11target_archE1030ELNS1_3gpuE2ELNS1_3repE0EEENS1_38merge_mergepath_config_static_selectorELNS0_4arch9wavefront6targetE1EEEvSL_
                                        ; -- End function
	.section	.AMDGPU.csdata,"",@progbits
; Kernel info:
; codeLenInByte = 0
; NumSgprs: 6
; NumVgprs: 0
; NumAgprs: 0
; TotalNumVgprs: 0
; ScratchSize: 0
; MemoryBound: 0
; FloatMode: 240
; IeeeMode: 1
; LDSByteSize: 0 bytes/workgroup (compile time only)
; SGPRBlocks: 0
; VGPRBlocks: 0
; NumSGPRsForWavesPerEU: 6
; NumVGPRsForWavesPerEU: 1
; AccumOffset: 4
; Occupancy: 8
; WaveLimiterHint : 0
; COMPUTE_PGM_RSRC2:SCRATCH_EN: 0
; COMPUTE_PGM_RSRC2:USER_SGPR: 2
; COMPUTE_PGM_RSRC2:TRAP_HANDLER: 0
; COMPUTE_PGM_RSRC2:TGID_X_EN: 1
; COMPUTE_PGM_RSRC2:TGID_Y_EN: 0
; COMPUTE_PGM_RSRC2:TGID_Z_EN: 0
; COMPUTE_PGM_RSRC2:TIDIG_COMP_CNT: 0
; COMPUTE_PGM_RSRC3_GFX90A:ACCUM_OFFSET: 0
; COMPUTE_PGM_RSRC3_GFX90A:TG_SPLIT: 0
	.section	.text._ZN7rocprim17ROCPRIM_400000_NS6detail17trampoline_kernelINS0_14default_configENS1_38merge_sort_block_merge_config_selectorIyNS0_10empty_typeEEEZZNS1_27merge_sort_block_merge_implIS3_N6thrust23THRUST_200600_302600_NS6detail15normal_iteratorINS9_10device_ptrIyEEEEPS5_jNS1_19radix_merge_compareILb0ELb1EyNS0_19identity_decomposerEEEEE10hipError_tT0_T1_T2_jT3_P12ihipStream_tbPNSt15iterator_traitsISK_E10value_typeEPNSQ_ISL_E10value_typeEPSM_NS1_7vsmem_tEENKUlT_SK_SL_SM_E_clIPySE_SF_SF_EESJ_SZ_SK_SL_SM_EUlSZ_E1_NS1_11comp_targetILNS1_3genE0ELNS1_11target_archE4294967295ELNS1_3gpuE0ELNS1_3repE0EEENS1_36merge_oddeven_config_static_selectorELNS0_4arch9wavefront6targetE1EEEvSL_,"axG",@progbits,_ZN7rocprim17ROCPRIM_400000_NS6detail17trampoline_kernelINS0_14default_configENS1_38merge_sort_block_merge_config_selectorIyNS0_10empty_typeEEEZZNS1_27merge_sort_block_merge_implIS3_N6thrust23THRUST_200600_302600_NS6detail15normal_iteratorINS9_10device_ptrIyEEEEPS5_jNS1_19radix_merge_compareILb0ELb1EyNS0_19identity_decomposerEEEEE10hipError_tT0_T1_T2_jT3_P12ihipStream_tbPNSt15iterator_traitsISK_E10value_typeEPNSQ_ISL_E10value_typeEPSM_NS1_7vsmem_tEENKUlT_SK_SL_SM_E_clIPySE_SF_SF_EESJ_SZ_SK_SL_SM_EUlSZ_E1_NS1_11comp_targetILNS1_3genE0ELNS1_11target_archE4294967295ELNS1_3gpuE0ELNS1_3repE0EEENS1_36merge_oddeven_config_static_selectorELNS0_4arch9wavefront6targetE1EEEvSL_,comdat
	.protected	_ZN7rocprim17ROCPRIM_400000_NS6detail17trampoline_kernelINS0_14default_configENS1_38merge_sort_block_merge_config_selectorIyNS0_10empty_typeEEEZZNS1_27merge_sort_block_merge_implIS3_N6thrust23THRUST_200600_302600_NS6detail15normal_iteratorINS9_10device_ptrIyEEEEPS5_jNS1_19radix_merge_compareILb0ELb1EyNS0_19identity_decomposerEEEEE10hipError_tT0_T1_T2_jT3_P12ihipStream_tbPNSt15iterator_traitsISK_E10value_typeEPNSQ_ISL_E10value_typeEPSM_NS1_7vsmem_tEENKUlT_SK_SL_SM_E_clIPySE_SF_SF_EESJ_SZ_SK_SL_SM_EUlSZ_E1_NS1_11comp_targetILNS1_3genE0ELNS1_11target_archE4294967295ELNS1_3gpuE0ELNS1_3repE0EEENS1_36merge_oddeven_config_static_selectorELNS0_4arch9wavefront6targetE1EEEvSL_ ; -- Begin function _ZN7rocprim17ROCPRIM_400000_NS6detail17trampoline_kernelINS0_14default_configENS1_38merge_sort_block_merge_config_selectorIyNS0_10empty_typeEEEZZNS1_27merge_sort_block_merge_implIS3_N6thrust23THRUST_200600_302600_NS6detail15normal_iteratorINS9_10device_ptrIyEEEEPS5_jNS1_19radix_merge_compareILb0ELb1EyNS0_19identity_decomposerEEEEE10hipError_tT0_T1_T2_jT3_P12ihipStream_tbPNSt15iterator_traitsISK_E10value_typeEPNSQ_ISL_E10value_typeEPSM_NS1_7vsmem_tEENKUlT_SK_SL_SM_E_clIPySE_SF_SF_EESJ_SZ_SK_SL_SM_EUlSZ_E1_NS1_11comp_targetILNS1_3genE0ELNS1_11target_archE4294967295ELNS1_3gpuE0ELNS1_3repE0EEENS1_36merge_oddeven_config_static_selectorELNS0_4arch9wavefront6targetE1EEEvSL_
	.globl	_ZN7rocprim17ROCPRIM_400000_NS6detail17trampoline_kernelINS0_14default_configENS1_38merge_sort_block_merge_config_selectorIyNS0_10empty_typeEEEZZNS1_27merge_sort_block_merge_implIS3_N6thrust23THRUST_200600_302600_NS6detail15normal_iteratorINS9_10device_ptrIyEEEEPS5_jNS1_19radix_merge_compareILb0ELb1EyNS0_19identity_decomposerEEEEE10hipError_tT0_T1_T2_jT3_P12ihipStream_tbPNSt15iterator_traitsISK_E10value_typeEPNSQ_ISL_E10value_typeEPSM_NS1_7vsmem_tEENKUlT_SK_SL_SM_E_clIPySE_SF_SF_EESJ_SZ_SK_SL_SM_EUlSZ_E1_NS1_11comp_targetILNS1_3genE0ELNS1_11target_archE4294967295ELNS1_3gpuE0ELNS1_3repE0EEENS1_36merge_oddeven_config_static_selectorELNS0_4arch9wavefront6targetE1EEEvSL_
	.p2align	8
	.type	_ZN7rocprim17ROCPRIM_400000_NS6detail17trampoline_kernelINS0_14default_configENS1_38merge_sort_block_merge_config_selectorIyNS0_10empty_typeEEEZZNS1_27merge_sort_block_merge_implIS3_N6thrust23THRUST_200600_302600_NS6detail15normal_iteratorINS9_10device_ptrIyEEEEPS5_jNS1_19radix_merge_compareILb0ELb1EyNS0_19identity_decomposerEEEEE10hipError_tT0_T1_T2_jT3_P12ihipStream_tbPNSt15iterator_traitsISK_E10value_typeEPNSQ_ISL_E10value_typeEPSM_NS1_7vsmem_tEENKUlT_SK_SL_SM_E_clIPySE_SF_SF_EESJ_SZ_SK_SL_SM_EUlSZ_E1_NS1_11comp_targetILNS1_3genE0ELNS1_11target_archE4294967295ELNS1_3gpuE0ELNS1_3repE0EEENS1_36merge_oddeven_config_static_selectorELNS0_4arch9wavefront6targetE1EEEvSL_,@function
_ZN7rocprim17ROCPRIM_400000_NS6detail17trampoline_kernelINS0_14default_configENS1_38merge_sort_block_merge_config_selectorIyNS0_10empty_typeEEEZZNS1_27merge_sort_block_merge_implIS3_N6thrust23THRUST_200600_302600_NS6detail15normal_iteratorINS9_10device_ptrIyEEEEPS5_jNS1_19radix_merge_compareILb0ELb1EyNS0_19identity_decomposerEEEEE10hipError_tT0_T1_T2_jT3_P12ihipStream_tbPNSt15iterator_traitsISK_E10value_typeEPNSQ_ISL_E10value_typeEPSM_NS1_7vsmem_tEENKUlT_SK_SL_SM_E_clIPySE_SF_SF_EESJ_SZ_SK_SL_SM_EUlSZ_E1_NS1_11comp_targetILNS1_3genE0ELNS1_11target_archE4294967295ELNS1_3gpuE0ELNS1_3repE0EEENS1_36merge_oddeven_config_static_selectorELNS0_4arch9wavefront6targetE1EEEvSL_: ; @_ZN7rocprim17ROCPRIM_400000_NS6detail17trampoline_kernelINS0_14default_configENS1_38merge_sort_block_merge_config_selectorIyNS0_10empty_typeEEEZZNS1_27merge_sort_block_merge_implIS3_N6thrust23THRUST_200600_302600_NS6detail15normal_iteratorINS9_10device_ptrIyEEEEPS5_jNS1_19radix_merge_compareILb0ELb1EyNS0_19identity_decomposerEEEEE10hipError_tT0_T1_T2_jT3_P12ihipStream_tbPNSt15iterator_traitsISK_E10value_typeEPNSQ_ISL_E10value_typeEPSM_NS1_7vsmem_tEENKUlT_SK_SL_SM_E_clIPySE_SF_SF_EESJ_SZ_SK_SL_SM_EUlSZ_E1_NS1_11comp_targetILNS1_3genE0ELNS1_11target_archE4294967295ELNS1_3gpuE0ELNS1_3repE0EEENS1_36merge_oddeven_config_static_selectorELNS0_4arch9wavefront6targetE1EEEvSL_
; %bb.0:
	.section	.rodata,"a",@progbits
	.p2align	6, 0x0
	.amdhsa_kernel _ZN7rocprim17ROCPRIM_400000_NS6detail17trampoline_kernelINS0_14default_configENS1_38merge_sort_block_merge_config_selectorIyNS0_10empty_typeEEEZZNS1_27merge_sort_block_merge_implIS3_N6thrust23THRUST_200600_302600_NS6detail15normal_iteratorINS9_10device_ptrIyEEEEPS5_jNS1_19radix_merge_compareILb0ELb1EyNS0_19identity_decomposerEEEEE10hipError_tT0_T1_T2_jT3_P12ihipStream_tbPNSt15iterator_traitsISK_E10value_typeEPNSQ_ISL_E10value_typeEPSM_NS1_7vsmem_tEENKUlT_SK_SL_SM_E_clIPySE_SF_SF_EESJ_SZ_SK_SL_SM_EUlSZ_E1_NS1_11comp_targetILNS1_3genE0ELNS1_11target_archE4294967295ELNS1_3gpuE0ELNS1_3repE0EEENS1_36merge_oddeven_config_static_selectorELNS0_4arch9wavefront6targetE1EEEvSL_
		.amdhsa_group_segment_fixed_size 0
		.amdhsa_private_segment_fixed_size 0
		.amdhsa_kernarg_size 48
		.amdhsa_user_sgpr_count 2
		.amdhsa_user_sgpr_dispatch_ptr 0
		.amdhsa_user_sgpr_queue_ptr 0
		.amdhsa_user_sgpr_kernarg_segment_ptr 1
		.amdhsa_user_sgpr_dispatch_id 0
		.amdhsa_user_sgpr_kernarg_preload_length 0
		.amdhsa_user_sgpr_kernarg_preload_offset 0
		.amdhsa_user_sgpr_private_segment_size 0
		.amdhsa_uses_dynamic_stack 0
		.amdhsa_enable_private_segment 0
		.amdhsa_system_sgpr_workgroup_id_x 1
		.amdhsa_system_sgpr_workgroup_id_y 0
		.amdhsa_system_sgpr_workgroup_id_z 0
		.amdhsa_system_sgpr_workgroup_info 0
		.amdhsa_system_vgpr_workitem_id 0
		.amdhsa_next_free_vgpr 1
		.amdhsa_next_free_sgpr 0
		.amdhsa_accum_offset 4
		.amdhsa_reserve_vcc 0
		.amdhsa_float_round_mode_32 0
		.amdhsa_float_round_mode_16_64 0
		.amdhsa_float_denorm_mode_32 3
		.amdhsa_float_denorm_mode_16_64 3
		.amdhsa_dx10_clamp 1
		.amdhsa_ieee_mode 1
		.amdhsa_fp16_overflow 0
		.amdhsa_tg_split 0
		.amdhsa_exception_fp_ieee_invalid_op 0
		.amdhsa_exception_fp_denorm_src 0
		.amdhsa_exception_fp_ieee_div_zero 0
		.amdhsa_exception_fp_ieee_overflow 0
		.amdhsa_exception_fp_ieee_underflow 0
		.amdhsa_exception_fp_ieee_inexact 0
		.amdhsa_exception_int_div_zero 0
	.end_amdhsa_kernel
	.section	.text._ZN7rocprim17ROCPRIM_400000_NS6detail17trampoline_kernelINS0_14default_configENS1_38merge_sort_block_merge_config_selectorIyNS0_10empty_typeEEEZZNS1_27merge_sort_block_merge_implIS3_N6thrust23THRUST_200600_302600_NS6detail15normal_iteratorINS9_10device_ptrIyEEEEPS5_jNS1_19radix_merge_compareILb0ELb1EyNS0_19identity_decomposerEEEEE10hipError_tT0_T1_T2_jT3_P12ihipStream_tbPNSt15iterator_traitsISK_E10value_typeEPNSQ_ISL_E10value_typeEPSM_NS1_7vsmem_tEENKUlT_SK_SL_SM_E_clIPySE_SF_SF_EESJ_SZ_SK_SL_SM_EUlSZ_E1_NS1_11comp_targetILNS1_3genE0ELNS1_11target_archE4294967295ELNS1_3gpuE0ELNS1_3repE0EEENS1_36merge_oddeven_config_static_selectorELNS0_4arch9wavefront6targetE1EEEvSL_,"axG",@progbits,_ZN7rocprim17ROCPRIM_400000_NS6detail17trampoline_kernelINS0_14default_configENS1_38merge_sort_block_merge_config_selectorIyNS0_10empty_typeEEEZZNS1_27merge_sort_block_merge_implIS3_N6thrust23THRUST_200600_302600_NS6detail15normal_iteratorINS9_10device_ptrIyEEEEPS5_jNS1_19radix_merge_compareILb0ELb1EyNS0_19identity_decomposerEEEEE10hipError_tT0_T1_T2_jT3_P12ihipStream_tbPNSt15iterator_traitsISK_E10value_typeEPNSQ_ISL_E10value_typeEPSM_NS1_7vsmem_tEENKUlT_SK_SL_SM_E_clIPySE_SF_SF_EESJ_SZ_SK_SL_SM_EUlSZ_E1_NS1_11comp_targetILNS1_3genE0ELNS1_11target_archE4294967295ELNS1_3gpuE0ELNS1_3repE0EEENS1_36merge_oddeven_config_static_selectorELNS0_4arch9wavefront6targetE1EEEvSL_,comdat
.Lfunc_end805:
	.size	_ZN7rocprim17ROCPRIM_400000_NS6detail17trampoline_kernelINS0_14default_configENS1_38merge_sort_block_merge_config_selectorIyNS0_10empty_typeEEEZZNS1_27merge_sort_block_merge_implIS3_N6thrust23THRUST_200600_302600_NS6detail15normal_iteratorINS9_10device_ptrIyEEEEPS5_jNS1_19radix_merge_compareILb0ELb1EyNS0_19identity_decomposerEEEEE10hipError_tT0_T1_T2_jT3_P12ihipStream_tbPNSt15iterator_traitsISK_E10value_typeEPNSQ_ISL_E10value_typeEPSM_NS1_7vsmem_tEENKUlT_SK_SL_SM_E_clIPySE_SF_SF_EESJ_SZ_SK_SL_SM_EUlSZ_E1_NS1_11comp_targetILNS1_3genE0ELNS1_11target_archE4294967295ELNS1_3gpuE0ELNS1_3repE0EEENS1_36merge_oddeven_config_static_selectorELNS0_4arch9wavefront6targetE1EEEvSL_, .Lfunc_end805-_ZN7rocprim17ROCPRIM_400000_NS6detail17trampoline_kernelINS0_14default_configENS1_38merge_sort_block_merge_config_selectorIyNS0_10empty_typeEEEZZNS1_27merge_sort_block_merge_implIS3_N6thrust23THRUST_200600_302600_NS6detail15normal_iteratorINS9_10device_ptrIyEEEEPS5_jNS1_19radix_merge_compareILb0ELb1EyNS0_19identity_decomposerEEEEE10hipError_tT0_T1_T2_jT3_P12ihipStream_tbPNSt15iterator_traitsISK_E10value_typeEPNSQ_ISL_E10value_typeEPSM_NS1_7vsmem_tEENKUlT_SK_SL_SM_E_clIPySE_SF_SF_EESJ_SZ_SK_SL_SM_EUlSZ_E1_NS1_11comp_targetILNS1_3genE0ELNS1_11target_archE4294967295ELNS1_3gpuE0ELNS1_3repE0EEENS1_36merge_oddeven_config_static_selectorELNS0_4arch9wavefront6targetE1EEEvSL_
                                        ; -- End function
	.section	.AMDGPU.csdata,"",@progbits
; Kernel info:
; codeLenInByte = 0
; NumSgprs: 6
; NumVgprs: 0
; NumAgprs: 0
; TotalNumVgprs: 0
; ScratchSize: 0
; MemoryBound: 0
; FloatMode: 240
; IeeeMode: 1
; LDSByteSize: 0 bytes/workgroup (compile time only)
; SGPRBlocks: 0
; VGPRBlocks: 0
; NumSGPRsForWavesPerEU: 6
; NumVGPRsForWavesPerEU: 1
; AccumOffset: 4
; Occupancy: 8
; WaveLimiterHint : 0
; COMPUTE_PGM_RSRC2:SCRATCH_EN: 0
; COMPUTE_PGM_RSRC2:USER_SGPR: 2
; COMPUTE_PGM_RSRC2:TRAP_HANDLER: 0
; COMPUTE_PGM_RSRC2:TGID_X_EN: 1
; COMPUTE_PGM_RSRC2:TGID_Y_EN: 0
; COMPUTE_PGM_RSRC2:TGID_Z_EN: 0
; COMPUTE_PGM_RSRC2:TIDIG_COMP_CNT: 0
; COMPUTE_PGM_RSRC3_GFX90A:ACCUM_OFFSET: 0
; COMPUTE_PGM_RSRC3_GFX90A:TG_SPLIT: 0
	.section	.text._ZN7rocprim17ROCPRIM_400000_NS6detail17trampoline_kernelINS0_14default_configENS1_38merge_sort_block_merge_config_selectorIyNS0_10empty_typeEEEZZNS1_27merge_sort_block_merge_implIS3_N6thrust23THRUST_200600_302600_NS6detail15normal_iteratorINS9_10device_ptrIyEEEEPS5_jNS1_19radix_merge_compareILb0ELb1EyNS0_19identity_decomposerEEEEE10hipError_tT0_T1_T2_jT3_P12ihipStream_tbPNSt15iterator_traitsISK_E10value_typeEPNSQ_ISL_E10value_typeEPSM_NS1_7vsmem_tEENKUlT_SK_SL_SM_E_clIPySE_SF_SF_EESJ_SZ_SK_SL_SM_EUlSZ_E1_NS1_11comp_targetILNS1_3genE10ELNS1_11target_archE1201ELNS1_3gpuE5ELNS1_3repE0EEENS1_36merge_oddeven_config_static_selectorELNS0_4arch9wavefront6targetE1EEEvSL_,"axG",@progbits,_ZN7rocprim17ROCPRIM_400000_NS6detail17trampoline_kernelINS0_14default_configENS1_38merge_sort_block_merge_config_selectorIyNS0_10empty_typeEEEZZNS1_27merge_sort_block_merge_implIS3_N6thrust23THRUST_200600_302600_NS6detail15normal_iteratorINS9_10device_ptrIyEEEEPS5_jNS1_19radix_merge_compareILb0ELb1EyNS0_19identity_decomposerEEEEE10hipError_tT0_T1_T2_jT3_P12ihipStream_tbPNSt15iterator_traitsISK_E10value_typeEPNSQ_ISL_E10value_typeEPSM_NS1_7vsmem_tEENKUlT_SK_SL_SM_E_clIPySE_SF_SF_EESJ_SZ_SK_SL_SM_EUlSZ_E1_NS1_11comp_targetILNS1_3genE10ELNS1_11target_archE1201ELNS1_3gpuE5ELNS1_3repE0EEENS1_36merge_oddeven_config_static_selectorELNS0_4arch9wavefront6targetE1EEEvSL_,comdat
	.protected	_ZN7rocprim17ROCPRIM_400000_NS6detail17trampoline_kernelINS0_14default_configENS1_38merge_sort_block_merge_config_selectorIyNS0_10empty_typeEEEZZNS1_27merge_sort_block_merge_implIS3_N6thrust23THRUST_200600_302600_NS6detail15normal_iteratorINS9_10device_ptrIyEEEEPS5_jNS1_19radix_merge_compareILb0ELb1EyNS0_19identity_decomposerEEEEE10hipError_tT0_T1_T2_jT3_P12ihipStream_tbPNSt15iterator_traitsISK_E10value_typeEPNSQ_ISL_E10value_typeEPSM_NS1_7vsmem_tEENKUlT_SK_SL_SM_E_clIPySE_SF_SF_EESJ_SZ_SK_SL_SM_EUlSZ_E1_NS1_11comp_targetILNS1_3genE10ELNS1_11target_archE1201ELNS1_3gpuE5ELNS1_3repE0EEENS1_36merge_oddeven_config_static_selectorELNS0_4arch9wavefront6targetE1EEEvSL_ ; -- Begin function _ZN7rocprim17ROCPRIM_400000_NS6detail17trampoline_kernelINS0_14default_configENS1_38merge_sort_block_merge_config_selectorIyNS0_10empty_typeEEEZZNS1_27merge_sort_block_merge_implIS3_N6thrust23THRUST_200600_302600_NS6detail15normal_iteratorINS9_10device_ptrIyEEEEPS5_jNS1_19radix_merge_compareILb0ELb1EyNS0_19identity_decomposerEEEEE10hipError_tT0_T1_T2_jT3_P12ihipStream_tbPNSt15iterator_traitsISK_E10value_typeEPNSQ_ISL_E10value_typeEPSM_NS1_7vsmem_tEENKUlT_SK_SL_SM_E_clIPySE_SF_SF_EESJ_SZ_SK_SL_SM_EUlSZ_E1_NS1_11comp_targetILNS1_3genE10ELNS1_11target_archE1201ELNS1_3gpuE5ELNS1_3repE0EEENS1_36merge_oddeven_config_static_selectorELNS0_4arch9wavefront6targetE1EEEvSL_
	.globl	_ZN7rocprim17ROCPRIM_400000_NS6detail17trampoline_kernelINS0_14default_configENS1_38merge_sort_block_merge_config_selectorIyNS0_10empty_typeEEEZZNS1_27merge_sort_block_merge_implIS3_N6thrust23THRUST_200600_302600_NS6detail15normal_iteratorINS9_10device_ptrIyEEEEPS5_jNS1_19radix_merge_compareILb0ELb1EyNS0_19identity_decomposerEEEEE10hipError_tT0_T1_T2_jT3_P12ihipStream_tbPNSt15iterator_traitsISK_E10value_typeEPNSQ_ISL_E10value_typeEPSM_NS1_7vsmem_tEENKUlT_SK_SL_SM_E_clIPySE_SF_SF_EESJ_SZ_SK_SL_SM_EUlSZ_E1_NS1_11comp_targetILNS1_3genE10ELNS1_11target_archE1201ELNS1_3gpuE5ELNS1_3repE0EEENS1_36merge_oddeven_config_static_selectorELNS0_4arch9wavefront6targetE1EEEvSL_
	.p2align	8
	.type	_ZN7rocprim17ROCPRIM_400000_NS6detail17trampoline_kernelINS0_14default_configENS1_38merge_sort_block_merge_config_selectorIyNS0_10empty_typeEEEZZNS1_27merge_sort_block_merge_implIS3_N6thrust23THRUST_200600_302600_NS6detail15normal_iteratorINS9_10device_ptrIyEEEEPS5_jNS1_19radix_merge_compareILb0ELb1EyNS0_19identity_decomposerEEEEE10hipError_tT0_T1_T2_jT3_P12ihipStream_tbPNSt15iterator_traitsISK_E10value_typeEPNSQ_ISL_E10value_typeEPSM_NS1_7vsmem_tEENKUlT_SK_SL_SM_E_clIPySE_SF_SF_EESJ_SZ_SK_SL_SM_EUlSZ_E1_NS1_11comp_targetILNS1_3genE10ELNS1_11target_archE1201ELNS1_3gpuE5ELNS1_3repE0EEENS1_36merge_oddeven_config_static_selectorELNS0_4arch9wavefront6targetE1EEEvSL_,@function
_ZN7rocprim17ROCPRIM_400000_NS6detail17trampoline_kernelINS0_14default_configENS1_38merge_sort_block_merge_config_selectorIyNS0_10empty_typeEEEZZNS1_27merge_sort_block_merge_implIS3_N6thrust23THRUST_200600_302600_NS6detail15normal_iteratorINS9_10device_ptrIyEEEEPS5_jNS1_19radix_merge_compareILb0ELb1EyNS0_19identity_decomposerEEEEE10hipError_tT0_T1_T2_jT3_P12ihipStream_tbPNSt15iterator_traitsISK_E10value_typeEPNSQ_ISL_E10value_typeEPSM_NS1_7vsmem_tEENKUlT_SK_SL_SM_E_clIPySE_SF_SF_EESJ_SZ_SK_SL_SM_EUlSZ_E1_NS1_11comp_targetILNS1_3genE10ELNS1_11target_archE1201ELNS1_3gpuE5ELNS1_3repE0EEENS1_36merge_oddeven_config_static_selectorELNS0_4arch9wavefront6targetE1EEEvSL_: ; @_ZN7rocprim17ROCPRIM_400000_NS6detail17trampoline_kernelINS0_14default_configENS1_38merge_sort_block_merge_config_selectorIyNS0_10empty_typeEEEZZNS1_27merge_sort_block_merge_implIS3_N6thrust23THRUST_200600_302600_NS6detail15normal_iteratorINS9_10device_ptrIyEEEEPS5_jNS1_19radix_merge_compareILb0ELb1EyNS0_19identity_decomposerEEEEE10hipError_tT0_T1_T2_jT3_P12ihipStream_tbPNSt15iterator_traitsISK_E10value_typeEPNSQ_ISL_E10value_typeEPSM_NS1_7vsmem_tEENKUlT_SK_SL_SM_E_clIPySE_SF_SF_EESJ_SZ_SK_SL_SM_EUlSZ_E1_NS1_11comp_targetILNS1_3genE10ELNS1_11target_archE1201ELNS1_3gpuE5ELNS1_3repE0EEENS1_36merge_oddeven_config_static_selectorELNS0_4arch9wavefront6targetE1EEEvSL_
; %bb.0:
	.section	.rodata,"a",@progbits
	.p2align	6, 0x0
	.amdhsa_kernel _ZN7rocprim17ROCPRIM_400000_NS6detail17trampoline_kernelINS0_14default_configENS1_38merge_sort_block_merge_config_selectorIyNS0_10empty_typeEEEZZNS1_27merge_sort_block_merge_implIS3_N6thrust23THRUST_200600_302600_NS6detail15normal_iteratorINS9_10device_ptrIyEEEEPS5_jNS1_19radix_merge_compareILb0ELb1EyNS0_19identity_decomposerEEEEE10hipError_tT0_T1_T2_jT3_P12ihipStream_tbPNSt15iterator_traitsISK_E10value_typeEPNSQ_ISL_E10value_typeEPSM_NS1_7vsmem_tEENKUlT_SK_SL_SM_E_clIPySE_SF_SF_EESJ_SZ_SK_SL_SM_EUlSZ_E1_NS1_11comp_targetILNS1_3genE10ELNS1_11target_archE1201ELNS1_3gpuE5ELNS1_3repE0EEENS1_36merge_oddeven_config_static_selectorELNS0_4arch9wavefront6targetE1EEEvSL_
		.amdhsa_group_segment_fixed_size 0
		.amdhsa_private_segment_fixed_size 0
		.amdhsa_kernarg_size 48
		.amdhsa_user_sgpr_count 2
		.amdhsa_user_sgpr_dispatch_ptr 0
		.amdhsa_user_sgpr_queue_ptr 0
		.amdhsa_user_sgpr_kernarg_segment_ptr 1
		.amdhsa_user_sgpr_dispatch_id 0
		.amdhsa_user_sgpr_kernarg_preload_length 0
		.amdhsa_user_sgpr_kernarg_preload_offset 0
		.amdhsa_user_sgpr_private_segment_size 0
		.amdhsa_uses_dynamic_stack 0
		.amdhsa_enable_private_segment 0
		.amdhsa_system_sgpr_workgroup_id_x 1
		.amdhsa_system_sgpr_workgroup_id_y 0
		.amdhsa_system_sgpr_workgroup_id_z 0
		.amdhsa_system_sgpr_workgroup_info 0
		.amdhsa_system_vgpr_workitem_id 0
		.amdhsa_next_free_vgpr 1
		.amdhsa_next_free_sgpr 0
		.amdhsa_accum_offset 4
		.amdhsa_reserve_vcc 0
		.amdhsa_float_round_mode_32 0
		.amdhsa_float_round_mode_16_64 0
		.amdhsa_float_denorm_mode_32 3
		.amdhsa_float_denorm_mode_16_64 3
		.amdhsa_dx10_clamp 1
		.amdhsa_ieee_mode 1
		.amdhsa_fp16_overflow 0
		.amdhsa_tg_split 0
		.amdhsa_exception_fp_ieee_invalid_op 0
		.amdhsa_exception_fp_denorm_src 0
		.amdhsa_exception_fp_ieee_div_zero 0
		.amdhsa_exception_fp_ieee_overflow 0
		.amdhsa_exception_fp_ieee_underflow 0
		.amdhsa_exception_fp_ieee_inexact 0
		.amdhsa_exception_int_div_zero 0
	.end_amdhsa_kernel
	.section	.text._ZN7rocprim17ROCPRIM_400000_NS6detail17trampoline_kernelINS0_14default_configENS1_38merge_sort_block_merge_config_selectorIyNS0_10empty_typeEEEZZNS1_27merge_sort_block_merge_implIS3_N6thrust23THRUST_200600_302600_NS6detail15normal_iteratorINS9_10device_ptrIyEEEEPS5_jNS1_19radix_merge_compareILb0ELb1EyNS0_19identity_decomposerEEEEE10hipError_tT0_T1_T2_jT3_P12ihipStream_tbPNSt15iterator_traitsISK_E10value_typeEPNSQ_ISL_E10value_typeEPSM_NS1_7vsmem_tEENKUlT_SK_SL_SM_E_clIPySE_SF_SF_EESJ_SZ_SK_SL_SM_EUlSZ_E1_NS1_11comp_targetILNS1_3genE10ELNS1_11target_archE1201ELNS1_3gpuE5ELNS1_3repE0EEENS1_36merge_oddeven_config_static_selectorELNS0_4arch9wavefront6targetE1EEEvSL_,"axG",@progbits,_ZN7rocprim17ROCPRIM_400000_NS6detail17trampoline_kernelINS0_14default_configENS1_38merge_sort_block_merge_config_selectorIyNS0_10empty_typeEEEZZNS1_27merge_sort_block_merge_implIS3_N6thrust23THRUST_200600_302600_NS6detail15normal_iteratorINS9_10device_ptrIyEEEEPS5_jNS1_19radix_merge_compareILb0ELb1EyNS0_19identity_decomposerEEEEE10hipError_tT0_T1_T2_jT3_P12ihipStream_tbPNSt15iterator_traitsISK_E10value_typeEPNSQ_ISL_E10value_typeEPSM_NS1_7vsmem_tEENKUlT_SK_SL_SM_E_clIPySE_SF_SF_EESJ_SZ_SK_SL_SM_EUlSZ_E1_NS1_11comp_targetILNS1_3genE10ELNS1_11target_archE1201ELNS1_3gpuE5ELNS1_3repE0EEENS1_36merge_oddeven_config_static_selectorELNS0_4arch9wavefront6targetE1EEEvSL_,comdat
.Lfunc_end806:
	.size	_ZN7rocprim17ROCPRIM_400000_NS6detail17trampoline_kernelINS0_14default_configENS1_38merge_sort_block_merge_config_selectorIyNS0_10empty_typeEEEZZNS1_27merge_sort_block_merge_implIS3_N6thrust23THRUST_200600_302600_NS6detail15normal_iteratorINS9_10device_ptrIyEEEEPS5_jNS1_19radix_merge_compareILb0ELb1EyNS0_19identity_decomposerEEEEE10hipError_tT0_T1_T2_jT3_P12ihipStream_tbPNSt15iterator_traitsISK_E10value_typeEPNSQ_ISL_E10value_typeEPSM_NS1_7vsmem_tEENKUlT_SK_SL_SM_E_clIPySE_SF_SF_EESJ_SZ_SK_SL_SM_EUlSZ_E1_NS1_11comp_targetILNS1_3genE10ELNS1_11target_archE1201ELNS1_3gpuE5ELNS1_3repE0EEENS1_36merge_oddeven_config_static_selectorELNS0_4arch9wavefront6targetE1EEEvSL_, .Lfunc_end806-_ZN7rocprim17ROCPRIM_400000_NS6detail17trampoline_kernelINS0_14default_configENS1_38merge_sort_block_merge_config_selectorIyNS0_10empty_typeEEEZZNS1_27merge_sort_block_merge_implIS3_N6thrust23THRUST_200600_302600_NS6detail15normal_iteratorINS9_10device_ptrIyEEEEPS5_jNS1_19radix_merge_compareILb0ELb1EyNS0_19identity_decomposerEEEEE10hipError_tT0_T1_T2_jT3_P12ihipStream_tbPNSt15iterator_traitsISK_E10value_typeEPNSQ_ISL_E10value_typeEPSM_NS1_7vsmem_tEENKUlT_SK_SL_SM_E_clIPySE_SF_SF_EESJ_SZ_SK_SL_SM_EUlSZ_E1_NS1_11comp_targetILNS1_3genE10ELNS1_11target_archE1201ELNS1_3gpuE5ELNS1_3repE0EEENS1_36merge_oddeven_config_static_selectorELNS0_4arch9wavefront6targetE1EEEvSL_
                                        ; -- End function
	.section	.AMDGPU.csdata,"",@progbits
; Kernel info:
; codeLenInByte = 0
; NumSgprs: 6
; NumVgprs: 0
; NumAgprs: 0
; TotalNumVgprs: 0
; ScratchSize: 0
; MemoryBound: 0
; FloatMode: 240
; IeeeMode: 1
; LDSByteSize: 0 bytes/workgroup (compile time only)
; SGPRBlocks: 0
; VGPRBlocks: 0
; NumSGPRsForWavesPerEU: 6
; NumVGPRsForWavesPerEU: 1
; AccumOffset: 4
; Occupancy: 8
; WaveLimiterHint : 0
; COMPUTE_PGM_RSRC2:SCRATCH_EN: 0
; COMPUTE_PGM_RSRC2:USER_SGPR: 2
; COMPUTE_PGM_RSRC2:TRAP_HANDLER: 0
; COMPUTE_PGM_RSRC2:TGID_X_EN: 1
; COMPUTE_PGM_RSRC2:TGID_Y_EN: 0
; COMPUTE_PGM_RSRC2:TGID_Z_EN: 0
; COMPUTE_PGM_RSRC2:TIDIG_COMP_CNT: 0
; COMPUTE_PGM_RSRC3_GFX90A:ACCUM_OFFSET: 0
; COMPUTE_PGM_RSRC3_GFX90A:TG_SPLIT: 0
	.section	.text._ZN7rocprim17ROCPRIM_400000_NS6detail17trampoline_kernelINS0_14default_configENS1_38merge_sort_block_merge_config_selectorIyNS0_10empty_typeEEEZZNS1_27merge_sort_block_merge_implIS3_N6thrust23THRUST_200600_302600_NS6detail15normal_iteratorINS9_10device_ptrIyEEEEPS5_jNS1_19radix_merge_compareILb0ELb1EyNS0_19identity_decomposerEEEEE10hipError_tT0_T1_T2_jT3_P12ihipStream_tbPNSt15iterator_traitsISK_E10value_typeEPNSQ_ISL_E10value_typeEPSM_NS1_7vsmem_tEENKUlT_SK_SL_SM_E_clIPySE_SF_SF_EESJ_SZ_SK_SL_SM_EUlSZ_E1_NS1_11comp_targetILNS1_3genE5ELNS1_11target_archE942ELNS1_3gpuE9ELNS1_3repE0EEENS1_36merge_oddeven_config_static_selectorELNS0_4arch9wavefront6targetE1EEEvSL_,"axG",@progbits,_ZN7rocprim17ROCPRIM_400000_NS6detail17trampoline_kernelINS0_14default_configENS1_38merge_sort_block_merge_config_selectorIyNS0_10empty_typeEEEZZNS1_27merge_sort_block_merge_implIS3_N6thrust23THRUST_200600_302600_NS6detail15normal_iteratorINS9_10device_ptrIyEEEEPS5_jNS1_19radix_merge_compareILb0ELb1EyNS0_19identity_decomposerEEEEE10hipError_tT0_T1_T2_jT3_P12ihipStream_tbPNSt15iterator_traitsISK_E10value_typeEPNSQ_ISL_E10value_typeEPSM_NS1_7vsmem_tEENKUlT_SK_SL_SM_E_clIPySE_SF_SF_EESJ_SZ_SK_SL_SM_EUlSZ_E1_NS1_11comp_targetILNS1_3genE5ELNS1_11target_archE942ELNS1_3gpuE9ELNS1_3repE0EEENS1_36merge_oddeven_config_static_selectorELNS0_4arch9wavefront6targetE1EEEvSL_,comdat
	.protected	_ZN7rocprim17ROCPRIM_400000_NS6detail17trampoline_kernelINS0_14default_configENS1_38merge_sort_block_merge_config_selectorIyNS0_10empty_typeEEEZZNS1_27merge_sort_block_merge_implIS3_N6thrust23THRUST_200600_302600_NS6detail15normal_iteratorINS9_10device_ptrIyEEEEPS5_jNS1_19radix_merge_compareILb0ELb1EyNS0_19identity_decomposerEEEEE10hipError_tT0_T1_T2_jT3_P12ihipStream_tbPNSt15iterator_traitsISK_E10value_typeEPNSQ_ISL_E10value_typeEPSM_NS1_7vsmem_tEENKUlT_SK_SL_SM_E_clIPySE_SF_SF_EESJ_SZ_SK_SL_SM_EUlSZ_E1_NS1_11comp_targetILNS1_3genE5ELNS1_11target_archE942ELNS1_3gpuE9ELNS1_3repE0EEENS1_36merge_oddeven_config_static_selectorELNS0_4arch9wavefront6targetE1EEEvSL_ ; -- Begin function _ZN7rocprim17ROCPRIM_400000_NS6detail17trampoline_kernelINS0_14default_configENS1_38merge_sort_block_merge_config_selectorIyNS0_10empty_typeEEEZZNS1_27merge_sort_block_merge_implIS3_N6thrust23THRUST_200600_302600_NS6detail15normal_iteratorINS9_10device_ptrIyEEEEPS5_jNS1_19radix_merge_compareILb0ELb1EyNS0_19identity_decomposerEEEEE10hipError_tT0_T1_T2_jT3_P12ihipStream_tbPNSt15iterator_traitsISK_E10value_typeEPNSQ_ISL_E10value_typeEPSM_NS1_7vsmem_tEENKUlT_SK_SL_SM_E_clIPySE_SF_SF_EESJ_SZ_SK_SL_SM_EUlSZ_E1_NS1_11comp_targetILNS1_3genE5ELNS1_11target_archE942ELNS1_3gpuE9ELNS1_3repE0EEENS1_36merge_oddeven_config_static_selectorELNS0_4arch9wavefront6targetE1EEEvSL_
	.globl	_ZN7rocprim17ROCPRIM_400000_NS6detail17trampoline_kernelINS0_14default_configENS1_38merge_sort_block_merge_config_selectorIyNS0_10empty_typeEEEZZNS1_27merge_sort_block_merge_implIS3_N6thrust23THRUST_200600_302600_NS6detail15normal_iteratorINS9_10device_ptrIyEEEEPS5_jNS1_19radix_merge_compareILb0ELb1EyNS0_19identity_decomposerEEEEE10hipError_tT0_T1_T2_jT3_P12ihipStream_tbPNSt15iterator_traitsISK_E10value_typeEPNSQ_ISL_E10value_typeEPSM_NS1_7vsmem_tEENKUlT_SK_SL_SM_E_clIPySE_SF_SF_EESJ_SZ_SK_SL_SM_EUlSZ_E1_NS1_11comp_targetILNS1_3genE5ELNS1_11target_archE942ELNS1_3gpuE9ELNS1_3repE0EEENS1_36merge_oddeven_config_static_selectorELNS0_4arch9wavefront6targetE1EEEvSL_
	.p2align	8
	.type	_ZN7rocprim17ROCPRIM_400000_NS6detail17trampoline_kernelINS0_14default_configENS1_38merge_sort_block_merge_config_selectorIyNS0_10empty_typeEEEZZNS1_27merge_sort_block_merge_implIS3_N6thrust23THRUST_200600_302600_NS6detail15normal_iteratorINS9_10device_ptrIyEEEEPS5_jNS1_19radix_merge_compareILb0ELb1EyNS0_19identity_decomposerEEEEE10hipError_tT0_T1_T2_jT3_P12ihipStream_tbPNSt15iterator_traitsISK_E10value_typeEPNSQ_ISL_E10value_typeEPSM_NS1_7vsmem_tEENKUlT_SK_SL_SM_E_clIPySE_SF_SF_EESJ_SZ_SK_SL_SM_EUlSZ_E1_NS1_11comp_targetILNS1_3genE5ELNS1_11target_archE942ELNS1_3gpuE9ELNS1_3repE0EEENS1_36merge_oddeven_config_static_selectorELNS0_4arch9wavefront6targetE1EEEvSL_,@function
_ZN7rocprim17ROCPRIM_400000_NS6detail17trampoline_kernelINS0_14default_configENS1_38merge_sort_block_merge_config_selectorIyNS0_10empty_typeEEEZZNS1_27merge_sort_block_merge_implIS3_N6thrust23THRUST_200600_302600_NS6detail15normal_iteratorINS9_10device_ptrIyEEEEPS5_jNS1_19radix_merge_compareILb0ELb1EyNS0_19identity_decomposerEEEEE10hipError_tT0_T1_T2_jT3_P12ihipStream_tbPNSt15iterator_traitsISK_E10value_typeEPNSQ_ISL_E10value_typeEPSM_NS1_7vsmem_tEENKUlT_SK_SL_SM_E_clIPySE_SF_SF_EESJ_SZ_SK_SL_SM_EUlSZ_E1_NS1_11comp_targetILNS1_3genE5ELNS1_11target_archE942ELNS1_3gpuE9ELNS1_3repE0EEENS1_36merge_oddeven_config_static_selectorELNS0_4arch9wavefront6targetE1EEEvSL_: ; @_ZN7rocprim17ROCPRIM_400000_NS6detail17trampoline_kernelINS0_14default_configENS1_38merge_sort_block_merge_config_selectorIyNS0_10empty_typeEEEZZNS1_27merge_sort_block_merge_implIS3_N6thrust23THRUST_200600_302600_NS6detail15normal_iteratorINS9_10device_ptrIyEEEEPS5_jNS1_19radix_merge_compareILb0ELb1EyNS0_19identity_decomposerEEEEE10hipError_tT0_T1_T2_jT3_P12ihipStream_tbPNSt15iterator_traitsISK_E10value_typeEPNSQ_ISL_E10value_typeEPSM_NS1_7vsmem_tEENKUlT_SK_SL_SM_E_clIPySE_SF_SF_EESJ_SZ_SK_SL_SM_EUlSZ_E1_NS1_11comp_targetILNS1_3genE5ELNS1_11target_archE942ELNS1_3gpuE9ELNS1_3repE0EEENS1_36merge_oddeven_config_static_selectorELNS0_4arch9wavefront6targetE1EEEvSL_
; %bb.0:
	s_load_dword s18, s[0:1], 0x20
	s_waitcnt lgkmcnt(0)
	s_lshr_b32 s3, s18, 8
	s_cmp_lg_u32 s2, s3
	s_cselect_b64 s[14:15], -1, 0
	s_cmp_eq_u32 s2, s3
	s_cselect_b64 s[12:13], -1, 0
	s_lshl_b32 s16, s2, 8
	s_sub_i32 s3, s18, s16
	v_cmp_gt_u32_e64 s[6:7], s3, v0
	s_or_b64 s[4:5], s[14:15], s[6:7]
	s_and_saveexec_b64 s[8:9], s[4:5]
	s_cbranch_execz .LBB807_20
; %bb.1:
	s_load_dwordx4 s[8:11], s[0:1], 0x0
	s_load_dword s19, s[0:1], 0x24
	s_mov_b32 s17, 0
	s_lshl_b64 s[4:5], s[16:17], 3
	v_lshlrev_b32_e32 v1, 3, v0
	s_waitcnt lgkmcnt(0)
	s_add_u32 s4, s8, s4
	s_addc_u32 s5, s9, s5
	global_load_dwordx2 v[2:3], v1, s[4:5]
	s_lshr_b32 s3, s19, 8
	s_sub_i32 s4, 0, s3
	s_and_b32 s2, s2, s4
	s_and_b32 s3, s2, s3
	s_lshl_b32 s20, s2, 8
	s_sub_i32 s17, 0, s19
	s_cmp_eq_u32 s3, 0
	s_cselect_b64 s[4:5], -1, 0
	s_and_b64 s[2:3], s[4:5], exec
	s_cselect_b32 s17, s19, s17
	s_add_i32 s17, s17, s20
	s_cmp_lt_u32 s17, s18
	v_add_u32_e32 v0, s16, v0
	s_cbranch_scc1 .LBB807_3
; %bb.2:
	v_cmp_gt_u32_e32 vcc, s18, v0
	s_or_b64 s[2:3], vcc, s[14:15]
	s_and_b64 s[2:3], s[2:3], exec
	s_cbranch_execz .LBB807_4
	s_branch .LBB807_18
.LBB807_3:
	s_mov_b64 s[2:3], 0
.LBB807_4:
	s_load_dwordx2 s[0:1], s[0:1], 0x28
	s_min_u32 s14, s17, s18
	s_min_u32 s16, s20, s14
	s_add_i32 s20, s20, s14
	s_add_i32 s15, s14, s19
	v_subrev_u32_e32 v0, s20, v0
	s_min_u32 s15, s15, s18
	v_add_u32_e32 v6, s16, v0
	s_and_b64 vcc, exec, s[12:13]
	s_cbranch_vccz .LBB807_12
; %bb.5:
                                        ; implicit-def: $vgpr0
	s_and_saveexec_b64 s[12:13], s[6:7]
	s_cbranch_execz .LBB807_11
; %bb.6:
	s_cmp_ge_u32 s17, s15
	v_mov_b32_e32 v7, s14
	s_cbranch_scc1 .LBB807_10
; %bb.7:
	s_waitcnt vmcnt(0) lgkmcnt(0)
	v_and_b32_e32 v1, s1, v3
	v_and_b32_e32 v0, s0, v2
	s_mov_b64 s[6:7], 0
	v_mov_b32_e32 v8, s15
	v_mov_b32_e32 v7, s14
	;; [unrolled: 1-line block ×3, first 2 shown]
.LBB807_8:                              ; =>This Inner Loop Header: Depth=1
	v_add_u32_e32 v4, v7, v8
	v_lshrrev_b32_e32 v4, 1, v4
	v_lshl_add_u64 v[10:11], v[4:5], 3, s[8:9]
	global_load_dwordx2 v[10:11], v[10:11], off
	v_add_u32_e32 v9, 1, v4
	s_waitcnt vmcnt(0)
	v_and_b32_e32 v11, s1, v11
	v_and_b32_e32 v10, s0, v10
	v_cmp_gt_u64_e32 vcc, v[0:1], v[10:11]
	s_nop 1
	v_cndmask_b32_e64 v12, 0, 1, vcc
	v_cmp_le_u64_e32 vcc, v[10:11], v[0:1]
	s_nop 1
	v_cndmask_b32_e64 v10, 0, 1, vcc
	v_cndmask_b32_e64 v10, v10, v12, s[4:5]
	v_and_b32_e32 v10, 1, v10
	v_cmp_eq_u32_e32 vcc, 1, v10
	s_nop 1
	v_cndmask_b32_e32 v8, v4, v8, vcc
	v_cndmask_b32_e32 v7, v7, v9, vcc
	v_cmp_ge_u32_e32 vcc, v7, v8
	s_or_b64 s[6:7], vcc, s[6:7]
	s_andn2_b64 exec, exec, s[6:7]
	s_cbranch_execnz .LBB807_8
; %bb.9:
	s_or_b64 exec, exec, s[6:7]
.LBB807_10:
	v_add_u32_e32 v0, v7, v6
	s_or_b64 s[2:3], s[2:3], exec
.LBB807_11:
	s_or_b64 exec, exec, s[12:13]
	s_branch .LBB807_18
.LBB807_12:
                                        ; implicit-def: $vgpr0
	s_cbranch_execz .LBB807_18
; %bb.13:
	s_cmp_ge_u32 s17, s15
	v_mov_b32_e32 v7, s14
	s_cbranch_scc1 .LBB807_17
; %bb.14:
	s_waitcnt vmcnt(0) lgkmcnt(0)
	v_and_b32_e32 v1, s1, v3
	v_and_b32_e32 v0, s0, v2
	s_mov_b64 s[2:3], 0
	v_mov_b32_e32 v8, s15
	v_mov_b32_e32 v7, s14
	;; [unrolled: 1-line block ×3, first 2 shown]
.LBB807_15:                             ; =>This Inner Loop Header: Depth=1
	v_add_u32_e32 v4, v7, v8
	v_lshrrev_b32_e32 v4, 1, v4
	v_lshl_add_u64 v[10:11], v[4:5], 3, s[8:9]
	global_load_dwordx2 v[10:11], v[10:11], off
	v_add_u32_e32 v9, 1, v4
	s_waitcnt vmcnt(0)
	v_and_b32_e32 v11, s1, v11
	v_and_b32_e32 v10, s0, v10
	v_cmp_gt_u64_e32 vcc, v[0:1], v[10:11]
	s_nop 1
	v_cndmask_b32_e64 v12, 0, 1, vcc
	v_cmp_le_u64_e32 vcc, v[10:11], v[0:1]
	s_nop 1
	v_cndmask_b32_e64 v10, 0, 1, vcc
	v_cndmask_b32_e64 v10, v10, v12, s[4:5]
	v_and_b32_e32 v10, 1, v10
	v_cmp_eq_u32_e32 vcc, 1, v10
	s_nop 1
	v_cndmask_b32_e32 v8, v4, v8, vcc
	v_cndmask_b32_e32 v7, v7, v9, vcc
	v_cmp_ge_u32_e32 vcc, v7, v8
	s_or_b64 s[2:3], vcc, s[2:3]
	s_andn2_b64 exec, exec, s[2:3]
	s_cbranch_execnz .LBB807_15
; %bb.16:
	s_or_b64 exec, exec, s[2:3]
.LBB807_17:
	v_add_u32_e32 v0, v7, v6
	s_mov_b64 s[2:3], -1
.LBB807_18:
	s_and_b64 exec, exec, s[2:3]
	s_cbranch_execz .LBB807_20
; %bb.19:
	v_mov_b32_e32 v4, s10
	v_mov_b32_e32 v5, s11
	v_mov_b32_e32 v1, 0
	v_lshl_add_u64 v[0:1], v[0:1], 3, v[4:5]
	s_waitcnt vmcnt(0)
	global_store_dwordx2 v[0:1], v[2:3], off
.LBB807_20:
	s_endpgm
	.section	.rodata,"a",@progbits
	.p2align	6, 0x0
	.amdhsa_kernel _ZN7rocprim17ROCPRIM_400000_NS6detail17trampoline_kernelINS0_14default_configENS1_38merge_sort_block_merge_config_selectorIyNS0_10empty_typeEEEZZNS1_27merge_sort_block_merge_implIS3_N6thrust23THRUST_200600_302600_NS6detail15normal_iteratorINS9_10device_ptrIyEEEEPS5_jNS1_19radix_merge_compareILb0ELb1EyNS0_19identity_decomposerEEEEE10hipError_tT0_T1_T2_jT3_P12ihipStream_tbPNSt15iterator_traitsISK_E10value_typeEPNSQ_ISL_E10value_typeEPSM_NS1_7vsmem_tEENKUlT_SK_SL_SM_E_clIPySE_SF_SF_EESJ_SZ_SK_SL_SM_EUlSZ_E1_NS1_11comp_targetILNS1_3genE5ELNS1_11target_archE942ELNS1_3gpuE9ELNS1_3repE0EEENS1_36merge_oddeven_config_static_selectorELNS0_4arch9wavefront6targetE1EEEvSL_
		.amdhsa_group_segment_fixed_size 0
		.amdhsa_private_segment_fixed_size 0
		.amdhsa_kernarg_size 48
		.amdhsa_user_sgpr_count 2
		.amdhsa_user_sgpr_dispatch_ptr 0
		.amdhsa_user_sgpr_queue_ptr 0
		.amdhsa_user_sgpr_kernarg_segment_ptr 1
		.amdhsa_user_sgpr_dispatch_id 0
		.amdhsa_user_sgpr_kernarg_preload_length 0
		.amdhsa_user_sgpr_kernarg_preload_offset 0
		.amdhsa_user_sgpr_private_segment_size 0
		.amdhsa_uses_dynamic_stack 0
		.amdhsa_enable_private_segment 0
		.amdhsa_system_sgpr_workgroup_id_x 1
		.amdhsa_system_sgpr_workgroup_id_y 0
		.amdhsa_system_sgpr_workgroup_id_z 0
		.amdhsa_system_sgpr_workgroup_info 0
		.amdhsa_system_vgpr_workitem_id 0
		.amdhsa_next_free_vgpr 13
		.amdhsa_next_free_sgpr 21
		.amdhsa_accum_offset 16
		.amdhsa_reserve_vcc 1
		.amdhsa_float_round_mode_32 0
		.amdhsa_float_round_mode_16_64 0
		.amdhsa_float_denorm_mode_32 3
		.amdhsa_float_denorm_mode_16_64 3
		.amdhsa_dx10_clamp 1
		.amdhsa_ieee_mode 1
		.amdhsa_fp16_overflow 0
		.amdhsa_tg_split 0
		.amdhsa_exception_fp_ieee_invalid_op 0
		.amdhsa_exception_fp_denorm_src 0
		.amdhsa_exception_fp_ieee_div_zero 0
		.amdhsa_exception_fp_ieee_overflow 0
		.amdhsa_exception_fp_ieee_underflow 0
		.amdhsa_exception_fp_ieee_inexact 0
		.amdhsa_exception_int_div_zero 0
	.end_amdhsa_kernel
	.section	.text._ZN7rocprim17ROCPRIM_400000_NS6detail17trampoline_kernelINS0_14default_configENS1_38merge_sort_block_merge_config_selectorIyNS0_10empty_typeEEEZZNS1_27merge_sort_block_merge_implIS3_N6thrust23THRUST_200600_302600_NS6detail15normal_iteratorINS9_10device_ptrIyEEEEPS5_jNS1_19radix_merge_compareILb0ELb1EyNS0_19identity_decomposerEEEEE10hipError_tT0_T1_T2_jT3_P12ihipStream_tbPNSt15iterator_traitsISK_E10value_typeEPNSQ_ISL_E10value_typeEPSM_NS1_7vsmem_tEENKUlT_SK_SL_SM_E_clIPySE_SF_SF_EESJ_SZ_SK_SL_SM_EUlSZ_E1_NS1_11comp_targetILNS1_3genE5ELNS1_11target_archE942ELNS1_3gpuE9ELNS1_3repE0EEENS1_36merge_oddeven_config_static_selectorELNS0_4arch9wavefront6targetE1EEEvSL_,"axG",@progbits,_ZN7rocprim17ROCPRIM_400000_NS6detail17trampoline_kernelINS0_14default_configENS1_38merge_sort_block_merge_config_selectorIyNS0_10empty_typeEEEZZNS1_27merge_sort_block_merge_implIS3_N6thrust23THRUST_200600_302600_NS6detail15normal_iteratorINS9_10device_ptrIyEEEEPS5_jNS1_19radix_merge_compareILb0ELb1EyNS0_19identity_decomposerEEEEE10hipError_tT0_T1_T2_jT3_P12ihipStream_tbPNSt15iterator_traitsISK_E10value_typeEPNSQ_ISL_E10value_typeEPSM_NS1_7vsmem_tEENKUlT_SK_SL_SM_E_clIPySE_SF_SF_EESJ_SZ_SK_SL_SM_EUlSZ_E1_NS1_11comp_targetILNS1_3genE5ELNS1_11target_archE942ELNS1_3gpuE9ELNS1_3repE0EEENS1_36merge_oddeven_config_static_selectorELNS0_4arch9wavefront6targetE1EEEvSL_,comdat
.Lfunc_end807:
	.size	_ZN7rocprim17ROCPRIM_400000_NS6detail17trampoline_kernelINS0_14default_configENS1_38merge_sort_block_merge_config_selectorIyNS0_10empty_typeEEEZZNS1_27merge_sort_block_merge_implIS3_N6thrust23THRUST_200600_302600_NS6detail15normal_iteratorINS9_10device_ptrIyEEEEPS5_jNS1_19radix_merge_compareILb0ELb1EyNS0_19identity_decomposerEEEEE10hipError_tT0_T1_T2_jT3_P12ihipStream_tbPNSt15iterator_traitsISK_E10value_typeEPNSQ_ISL_E10value_typeEPSM_NS1_7vsmem_tEENKUlT_SK_SL_SM_E_clIPySE_SF_SF_EESJ_SZ_SK_SL_SM_EUlSZ_E1_NS1_11comp_targetILNS1_3genE5ELNS1_11target_archE942ELNS1_3gpuE9ELNS1_3repE0EEENS1_36merge_oddeven_config_static_selectorELNS0_4arch9wavefront6targetE1EEEvSL_, .Lfunc_end807-_ZN7rocprim17ROCPRIM_400000_NS6detail17trampoline_kernelINS0_14default_configENS1_38merge_sort_block_merge_config_selectorIyNS0_10empty_typeEEEZZNS1_27merge_sort_block_merge_implIS3_N6thrust23THRUST_200600_302600_NS6detail15normal_iteratorINS9_10device_ptrIyEEEEPS5_jNS1_19radix_merge_compareILb0ELb1EyNS0_19identity_decomposerEEEEE10hipError_tT0_T1_T2_jT3_P12ihipStream_tbPNSt15iterator_traitsISK_E10value_typeEPNSQ_ISL_E10value_typeEPSM_NS1_7vsmem_tEENKUlT_SK_SL_SM_E_clIPySE_SF_SF_EESJ_SZ_SK_SL_SM_EUlSZ_E1_NS1_11comp_targetILNS1_3genE5ELNS1_11target_archE942ELNS1_3gpuE9ELNS1_3repE0EEENS1_36merge_oddeven_config_static_selectorELNS0_4arch9wavefront6targetE1EEEvSL_
                                        ; -- End function
	.section	.AMDGPU.csdata,"",@progbits
; Kernel info:
; codeLenInByte = 632
; NumSgprs: 27
; NumVgprs: 13
; NumAgprs: 0
; TotalNumVgprs: 13
; ScratchSize: 0
; MemoryBound: 0
; FloatMode: 240
; IeeeMode: 1
; LDSByteSize: 0 bytes/workgroup (compile time only)
; SGPRBlocks: 3
; VGPRBlocks: 1
; NumSGPRsForWavesPerEU: 27
; NumVGPRsForWavesPerEU: 13
; AccumOffset: 16
; Occupancy: 8
; WaveLimiterHint : 0
; COMPUTE_PGM_RSRC2:SCRATCH_EN: 0
; COMPUTE_PGM_RSRC2:USER_SGPR: 2
; COMPUTE_PGM_RSRC2:TRAP_HANDLER: 0
; COMPUTE_PGM_RSRC2:TGID_X_EN: 1
; COMPUTE_PGM_RSRC2:TGID_Y_EN: 0
; COMPUTE_PGM_RSRC2:TGID_Z_EN: 0
; COMPUTE_PGM_RSRC2:TIDIG_COMP_CNT: 0
; COMPUTE_PGM_RSRC3_GFX90A:ACCUM_OFFSET: 3
; COMPUTE_PGM_RSRC3_GFX90A:TG_SPLIT: 0
	.section	.text._ZN7rocprim17ROCPRIM_400000_NS6detail17trampoline_kernelINS0_14default_configENS1_38merge_sort_block_merge_config_selectorIyNS0_10empty_typeEEEZZNS1_27merge_sort_block_merge_implIS3_N6thrust23THRUST_200600_302600_NS6detail15normal_iteratorINS9_10device_ptrIyEEEEPS5_jNS1_19radix_merge_compareILb0ELb1EyNS0_19identity_decomposerEEEEE10hipError_tT0_T1_T2_jT3_P12ihipStream_tbPNSt15iterator_traitsISK_E10value_typeEPNSQ_ISL_E10value_typeEPSM_NS1_7vsmem_tEENKUlT_SK_SL_SM_E_clIPySE_SF_SF_EESJ_SZ_SK_SL_SM_EUlSZ_E1_NS1_11comp_targetILNS1_3genE4ELNS1_11target_archE910ELNS1_3gpuE8ELNS1_3repE0EEENS1_36merge_oddeven_config_static_selectorELNS0_4arch9wavefront6targetE1EEEvSL_,"axG",@progbits,_ZN7rocprim17ROCPRIM_400000_NS6detail17trampoline_kernelINS0_14default_configENS1_38merge_sort_block_merge_config_selectorIyNS0_10empty_typeEEEZZNS1_27merge_sort_block_merge_implIS3_N6thrust23THRUST_200600_302600_NS6detail15normal_iteratorINS9_10device_ptrIyEEEEPS5_jNS1_19radix_merge_compareILb0ELb1EyNS0_19identity_decomposerEEEEE10hipError_tT0_T1_T2_jT3_P12ihipStream_tbPNSt15iterator_traitsISK_E10value_typeEPNSQ_ISL_E10value_typeEPSM_NS1_7vsmem_tEENKUlT_SK_SL_SM_E_clIPySE_SF_SF_EESJ_SZ_SK_SL_SM_EUlSZ_E1_NS1_11comp_targetILNS1_3genE4ELNS1_11target_archE910ELNS1_3gpuE8ELNS1_3repE0EEENS1_36merge_oddeven_config_static_selectorELNS0_4arch9wavefront6targetE1EEEvSL_,comdat
	.protected	_ZN7rocprim17ROCPRIM_400000_NS6detail17trampoline_kernelINS0_14default_configENS1_38merge_sort_block_merge_config_selectorIyNS0_10empty_typeEEEZZNS1_27merge_sort_block_merge_implIS3_N6thrust23THRUST_200600_302600_NS6detail15normal_iteratorINS9_10device_ptrIyEEEEPS5_jNS1_19radix_merge_compareILb0ELb1EyNS0_19identity_decomposerEEEEE10hipError_tT0_T1_T2_jT3_P12ihipStream_tbPNSt15iterator_traitsISK_E10value_typeEPNSQ_ISL_E10value_typeEPSM_NS1_7vsmem_tEENKUlT_SK_SL_SM_E_clIPySE_SF_SF_EESJ_SZ_SK_SL_SM_EUlSZ_E1_NS1_11comp_targetILNS1_3genE4ELNS1_11target_archE910ELNS1_3gpuE8ELNS1_3repE0EEENS1_36merge_oddeven_config_static_selectorELNS0_4arch9wavefront6targetE1EEEvSL_ ; -- Begin function _ZN7rocprim17ROCPRIM_400000_NS6detail17trampoline_kernelINS0_14default_configENS1_38merge_sort_block_merge_config_selectorIyNS0_10empty_typeEEEZZNS1_27merge_sort_block_merge_implIS3_N6thrust23THRUST_200600_302600_NS6detail15normal_iteratorINS9_10device_ptrIyEEEEPS5_jNS1_19radix_merge_compareILb0ELb1EyNS0_19identity_decomposerEEEEE10hipError_tT0_T1_T2_jT3_P12ihipStream_tbPNSt15iterator_traitsISK_E10value_typeEPNSQ_ISL_E10value_typeEPSM_NS1_7vsmem_tEENKUlT_SK_SL_SM_E_clIPySE_SF_SF_EESJ_SZ_SK_SL_SM_EUlSZ_E1_NS1_11comp_targetILNS1_3genE4ELNS1_11target_archE910ELNS1_3gpuE8ELNS1_3repE0EEENS1_36merge_oddeven_config_static_selectorELNS0_4arch9wavefront6targetE1EEEvSL_
	.globl	_ZN7rocprim17ROCPRIM_400000_NS6detail17trampoline_kernelINS0_14default_configENS1_38merge_sort_block_merge_config_selectorIyNS0_10empty_typeEEEZZNS1_27merge_sort_block_merge_implIS3_N6thrust23THRUST_200600_302600_NS6detail15normal_iteratorINS9_10device_ptrIyEEEEPS5_jNS1_19radix_merge_compareILb0ELb1EyNS0_19identity_decomposerEEEEE10hipError_tT0_T1_T2_jT3_P12ihipStream_tbPNSt15iterator_traitsISK_E10value_typeEPNSQ_ISL_E10value_typeEPSM_NS1_7vsmem_tEENKUlT_SK_SL_SM_E_clIPySE_SF_SF_EESJ_SZ_SK_SL_SM_EUlSZ_E1_NS1_11comp_targetILNS1_3genE4ELNS1_11target_archE910ELNS1_3gpuE8ELNS1_3repE0EEENS1_36merge_oddeven_config_static_selectorELNS0_4arch9wavefront6targetE1EEEvSL_
	.p2align	8
	.type	_ZN7rocprim17ROCPRIM_400000_NS6detail17trampoline_kernelINS0_14default_configENS1_38merge_sort_block_merge_config_selectorIyNS0_10empty_typeEEEZZNS1_27merge_sort_block_merge_implIS3_N6thrust23THRUST_200600_302600_NS6detail15normal_iteratorINS9_10device_ptrIyEEEEPS5_jNS1_19radix_merge_compareILb0ELb1EyNS0_19identity_decomposerEEEEE10hipError_tT0_T1_T2_jT3_P12ihipStream_tbPNSt15iterator_traitsISK_E10value_typeEPNSQ_ISL_E10value_typeEPSM_NS1_7vsmem_tEENKUlT_SK_SL_SM_E_clIPySE_SF_SF_EESJ_SZ_SK_SL_SM_EUlSZ_E1_NS1_11comp_targetILNS1_3genE4ELNS1_11target_archE910ELNS1_3gpuE8ELNS1_3repE0EEENS1_36merge_oddeven_config_static_selectorELNS0_4arch9wavefront6targetE1EEEvSL_,@function
_ZN7rocprim17ROCPRIM_400000_NS6detail17trampoline_kernelINS0_14default_configENS1_38merge_sort_block_merge_config_selectorIyNS0_10empty_typeEEEZZNS1_27merge_sort_block_merge_implIS3_N6thrust23THRUST_200600_302600_NS6detail15normal_iteratorINS9_10device_ptrIyEEEEPS5_jNS1_19radix_merge_compareILb0ELb1EyNS0_19identity_decomposerEEEEE10hipError_tT0_T1_T2_jT3_P12ihipStream_tbPNSt15iterator_traitsISK_E10value_typeEPNSQ_ISL_E10value_typeEPSM_NS1_7vsmem_tEENKUlT_SK_SL_SM_E_clIPySE_SF_SF_EESJ_SZ_SK_SL_SM_EUlSZ_E1_NS1_11comp_targetILNS1_3genE4ELNS1_11target_archE910ELNS1_3gpuE8ELNS1_3repE0EEENS1_36merge_oddeven_config_static_selectorELNS0_4arch9wavefront6targetE1EEEvSL_: ; @_ZN7rocprim17ROCPRIM_400000_NS6detail17trampoline_kernelINS0_14default_configENS1_38merge_sort_block_merge_config_selectorIyNS0_10empty_typeEEEZZNS1_27merge_sort_block_merge_implIS3_N6thrust23THRUST_200600_302600_NS6detail15normal_iteratorINS9_10device_ptrIyEEEEPS5_jNS1_19radix_merge_compareILb0ELb1EyNS0_19identity_decomposerEEEEE10hipError_tT0_T1_T2_jT3_P12ihipStream_tbPNSt15iterator_traitsISK_E10value_typeEPNSQ_ISL_E10value_typeEPSM_NS1_7vsmem_tEENKUlT_SK_SL_SM_E_clIPySE_SF_SF_EESJ_SZ_SK_SL_SM_EUlSZ_E1_NS1_11comp_targetILNS1_3genE4ELNS1_11target_archE910ELNS1_3gpuE8ELNS1_3repE0EEENS1_36merge_oddeven_config_static_selectorELNS0_4arch9wavefront6targetE1EEEvSL_
; %bb.0:
	.section	.rodata,"a",@progbits
	.p2align	6, 0x0
	.amdhsa_kernel _ZN7rocprim17ROCPRIM_400000_NS6detail17trampoline_kernelINS0_14default_configENS1_38merge_sort_block_merge_config_selectorIyNS0_10empty_typeEEEZZNS1_27merge_sort_block_merge_implIS3_N6thrust23THRUST_200600_302600_NS6detail15normal_iteratorINS9_10device_ptrIyEEEEPS5_jNS1_19radix_merge_compareILb0ELb1EyNS0_19identity_decomposerEEEEE10hipError_tT0_T1_T2_jT3_P12ihipStream_tbPNSt15iterator_traitsISK_E10value_typeEPNSQ_ISL_E10value_typeEPSM_NS1_7vsmem_tEENKUlT_SK_SL_SM_E_clIPySE_SF_SF_EESJ_SZ_SK_SL_SM_EUlSZ_E1_NS1_11comp_targetILNS1_3genE4ELNS1_11target_archE910ELNS1_3gpuE8ELNS1_3repE0EEENS1_36merge_oddeven_config_static_selectorELNS0_4arch9wavefront6targetE1EEEvSL_
		.amdhsa_group_segment_fixed_size 0
		.amdhsa_private_segment_fixed_size 0
		.amdhsa_kernarg_size 48
		.amdhsa_user_sgpr_count 2
		.amdhsa_user_sgpr_dispatch_ptr 0
		.amdhsa_user_sgpr_queue_ptr 0
		.amdhsa_user_sgpr_kernarg_segment_ptr 1
		.amdhsa_user_sgpr_dispatch_id 0
		.amdhsa_user_sgpr_kernarg_preload_length 0
		.amdhsa_user_sgpr_kernarg_preload_offset 0
		.amdhsa_user_sgpr_private_segment_size 0
		.amdhsa_uses_dynamic_stack 0
		.amdhsa_enable_private_segment 0
		.amdhsa_system_sgpr_workgroup_id_x 1
		.amdhsa_system_sgpr_workgroup_id_y 0
		.amdhsa_system_sgpr_workgroup_id_z 0
		.amdhsa_system_sgpr_workgroup_info 0
		.amdhsa_system_vgpr_workitem_id 0
		.amdhsa_next_free_vgpr 1
		.amdhsa_next_free_sgpr 0
		.amdhsa_accum_offset 4
		.amdhsa_reserve_vcc 0
		.amdhsa_float_round_mode_32 0
		.amdhsa_float_round_mode_16_64 0
		.amdhsa_float_denorm_mode_32 3
		.amdhsa_float_denorm_mode_16_64 3
		.amdhsa_dx10_clamp 1
		.amdhsa_ieee_mode 1
		.amdhsa_fp16_overflow 0
		.amdhsa_tg_split 0
		.amdhsa_exception_fp_ieee_invalid_op 0
		.amdhsa_exception_fp_denorm_src 0
		.amdhsa_exception_fp_ieee_div_zero 0
		.amdhsa_exception_fp_ieee_overflow 0
		.amdhsa_exception_fp_ieee_underflow 0
		.amdhsa_exception_fp_ieee_inexact 0
		.amdhsa_exception_int_div_zero 0
	.end_amdhsa_kernel
	.section	.text._ZN7rocprim17ROCPRIM_400000_NS6detail17trampoline_kernelINS0_14default_configENS1_38merge_sort_block_merge_config_selectorIyNS0_10empty_typeEEEZZNS1_27merge_sort_block_merge_implIS3_N6thrust23THRUST_200600_302600_NS6detail15normal_iteratorINS9_10device_ptrIyEEEEPS5_jNS1_19radix_merge_compareILb0ELb1EyNS0_19identity_decomposerEEEEE10hipError_tT0_T1_T2_jT3_P12ihipStream_tbPNSt15iterator_traitsISK_E10value_typeEPNSQ_ISL_E10value_typeEPSM_NS1_7vsmem_tEENKUlT_SK_SL_SM_E_clIPySE_SF_SF_EESJ_SZ_SK_SL_SM_EUlSZ_E1_NS1_11comp_targetILNS1_3genE4ELNS1_11target_archE910ELNS1_3gpuE8ELNS1_3repE0EEENS1_36merge_oddeven_config_static_selectorELNS0_4arch9wavefront6targetE1EEEvSL_,"axG",@progbits,_ZN7rocprim17ROCPRIM_400000_NS6detail17trampoline_kernelINS0_14default_configENS1_38merge_sort_block_merge_config_selectorIyNS0_10empty_typeEEEZZNS1_27merge_sort_block_merge_implIS3_N6thrust23THRUST_200600_302600_NS6detail15normal_iteratorINS9_10device_ptrIyEEEEPS5_jNS1_19radix_merge_compareILb0ELb1EyNS0_19identity_decomposerEEEEE10hipError_tT0_T1_T2_jT3_P12ihipStream_tbPNSt15iterator_traitsISK_E10value_typeEPNSQ_ISL_E10value_typeEPSM_NS1_7vsmem_tEENKUlT_SK_SL_SM_E_clIPySE_SF_SF_EESJ_SZ_SK_SL_SM_EUlSZ_E1_NS1_11comp_targetILNS1_3genE4ELNS1_11target_archE910ELNS1_3gpuE8ELNS1_3repE0EEENS1_36merge_oddeven_config_static_selectorELNS0_4arch9wavefront6targetE1EEEvSL_,comdat
.Lfunc_end808:
	.size	_ZN7rocprim17ROCPRIM_400000_NS6detail17trampoline_kernelINS0_14default_configENS1_38merge_sort_block_merge_config_selectorIyNS0_10empty_typeEEEZZNS1_27merge_sort_block_merge_implIS3_N6thrust23THRUST_200600_302600_NS6detail15normal_iteratorINS9_10device_ptrIyEEEEPS5_jNS1_19radix_merge_compareILb0ELb1EyNS0_19identity_decomposerEEEEE10hipError_tT0_T1_T2_jT3_P12ihipStream_tbPNSt15iterator_traitsISK_E10value_typeEPNSQ_ISL_E10value_typeEPSM_NS1_7vsmem_tEENKUlT_SK_SL_SM_E_clIPySE_SF_SF_EESJ_SZ_SK_SL_SM_EUlSZ_E1_NS1_11comp_targetILNS1_3genE4ELNS1_11target_archE910ELNS1_3gpuE8ELNS1_3repE0EEENS1_36merge_oddeven_config_static_selectorELNS0_4arch9wavefront6targetE1EEEvSL_, .Lfunc_end808-_ZN7rocprim17ROCPRIM_400000_NS6detail17trampoline_kernelINS0_14default_configENS1_38merge_sort_block_merge_config_selectorIyNS0_10empty_typeEEEZZNS1_27merge_sort_block_merge_implIS3_N6thrust23THRUST_200600_302600_NS6detail15normal_iteratorINS9_10device_ptrIyEEEEPS5_jNS1_19radix_merge_compareILb0ELb1EyNS0_19identity_decomposerEEEEE10hipError_tT0_T1_T2_jT3_P12ihipStream_tbPNSt15iterator_traitsISK_E10value_typeEPNSQ_ISL_E10value_typeEPSM_NS1_7vsmem_tEENKUlT_SK_SL_SM_E_clIPySE_SF_SF_EESJ_SZ_SK_SL_SM_EUlSZ_E1_NS1_11comp_targetILNS1_3genE4ELNS1_11target_archE910ELNS1_3gpuE8ELNS1_3repE0EEENS1_36merge_oddeven_config_static_selectorELNS0_4arch9wavefront6targetE1EEEvSL_
                                        ; -- End function
	.section	.AMDGPU.csdata,"",@progbits
; Kernel info:
; codeLenInByte = 0
; NumSgprs: 6
; NumVgprs: 0
; NumAgprs: 0
; TotalNumVgprs: 0
; ScratchSize: 0
; MemoryBound: 0
; FloatMode: 240
; IeeeMode: 1
; LDSByteSize: 0 bytes/workgroup (compile time only)
; SGPRBlocks: 0
; VGPRBlocks: 0
; NumSGPRsForWavesPerEU: 6
; NumVGPRsForWavesPerEU: 1
; AccumOffset: 4
; Occupancy: 8
; WaveLimiterHint : 0
; COMPUTE_PGM_RSRC2:SCRATCH_EN: 0
; COMPUTE_PGM_RSRC2:USER_SGPR: 2
; COMPUTE_PGM_RSRC2:TRAP_HANDLER: 0
; COMPUTE_PGM_RSRC2:TGID_X_EN: 1
; COMPUTE_PGM_RSRC2:TGID_Y_EN: 0
; COMPUTE_PGM_RSRC2:TGID_Z_EN: 0
; COMPUTE_PGM_RSRC2:TIDIG_COMP_CNT: 0
; COMPUTE_PGM_RSRC3_GFX90A:ACCUM_OFFSET: 0
; COMPUTE_PGM_RSRC3_GFX90A:TG_SPLIT: 0
	.section	.text._ZN7rocprim17ROCPRIM_400000_NS6detail17trampoline_kernelINS0_14default_configENS1_38merge_sort_block_merge_config_selectorIyNS0_10empty_typeEEEZZNS1_27merge_sort_block_merge_implIS3_N6thrust23THRUST_200600_302600_NS6detail15normal_iteratorINS9_10device_ptrIyEEEEPS5_jNS1_19radix_merge_compareILb0ELb1EyNS0_19identity_decomposerEEEEE10hipError_tT0_T1_T2_jT3_P12ihipStream_tbPNSt15iterator_traitsISK_E10value_typeEPNSQ_ISL_E10value_typeEPSM_NS1_7vsmem_tEENKUlT_SK_SL_SM_E_clIPySE_SF_SF_EESJ_SZ_SK_SL_SM_EUlSZ_E1_NS1_11comp_targetILNS1_3genE3ELNS1_11target_archE908ELNS1_3gpuE7ELNS1_3repE0EEENS1_36merge_oddeven_config_static_selectorELNS0_4arch9wavefront6targetE1EEEvSL_,"axG",@progbits,_ZN7rocprim17ROCPRIM_400000_NS6detail17trampoline_kernelINS0_14default_configENS1_38merge_sort_block_merge_config_selectorIyNS0_10empty_typeEEEZZNS1_27merge_sort_block_merge_implIS3_N6thrust23THRUST_200600_302600_NS6detail15normal_iteratorINS9_10device_ptrIyEEEEPS5_jNS1_19radix_merge_compareILb0ELb1EyNS0_19identity_decomposerEEEEE10hipError_tT0_T1_T2_jT3_P12ihipStream_tbPNSt15iterator_traitsISK_E10value_typeEPNSQ_ISL_E10value_typeEPSM_NS1_7vsmem_tEENKUlT_SK_SL_SM_E_clIPySE_SF_SF_EESJ_SZ_SK_SL_SM_EUlSZ_E1_NS1_11comp_targetILNS1_3genE3ELNS1_11target_archE908ELNS1_3gpuE7ELNS1_3repE0EEENS1_36merge_oddeven_config_static_selectorELNS0_4arch9wavefront6targetE1EEEvSL_,comdat
	.protected	_ZN7rocprim17ROCPRIM_400000_NS6detail17trampoline_kernelINS0_14default_configENS1_38merge_sort_block_merge_config_selectorIyNS0_10empty_typeEEEZZNS1_27merge_sort_block_merge_implIS3_N6thrust23THRUST_200600_302600_NS6detail15normal_iteratorINS9_10device_ptrIyEEEEPS5_jNS1_19radix_merge_compareILb0ELb1EyNS0_19identity_decomposerEEEEE10hipError_tT0_T1_T2_jT3_P12ihipStream_tbPNSt15iterator_traitsISK_E10value_typeEPNSQ_ISL_E10value_typeEPSM_NS1_7vsmem_tEENKUlT_SK_SL_SM_E_clIPySE_SF_SF_EESJ_SZ_SK_SL_SM_EUlSZ_E1_NS1_11comp_targetILNS1_3genE3ELNS1_11target_archE908ELNS1_3gpuE7ELNS1_3repE0EEENS1_36merge_oddeven_config_static_selectorELNS0_4arch9wavefront6targetE1EEEvSL_ ; -- Begin function _ZN7rocprim17ROCPRIM_400000_NS6detail17trampoline_kernelINS0_14default_configENS1_38merge_sort_block_merge_config_selectorIyNS0_10empty_typeEEEZZNS1_27merge_sort_block_merge_implIS3_N6thrust23THRUST_200600_302600_NS6detail15normal_iteratorINS9_10device_ptrIyEEEEPS5_jNS1_19radix_merge_compareILb0ELb1EyNS0_19identity_decomposerEEEEE10hipError_tT0_T1_T2_jT3_P12ihipStream_tbPNSt15iterator_traitsISK_E10value_typeEPNSQ_ISL_E10value_typeEPSM_NS1_7vsmem_tEENKUlT_SK_SL_SM_E_clIPySE_SF_SF_EESJ_SZ_SK_SL_SM_EUlSZ_E1_NS1_11comp_targetILNS1_3genE3ELNS1_11target_archE908ELNS1_3gpuE7ELNS1_3repE0EEENS1_36merge_oddeven_config_static_selectorELNS0_4arch9wavefront6targetE1EEEvSL_
	.globl	_ZN7rocprim17ROCPRIM_400000_NS6detail17trampoline_kernelINS0_14default_configENS1_38merge_sort_block_merge_config_selectorIyNS0_10empty_typeEEEZZNS1_27merge_sort_block_merge_implIS3_N6thrust23THRUST_200600_302600_NS6detail15normal_iteratorINS9_10device_ptrIyEEEEPS5_jNS1_19radix_merge_compareILb0ELb1EyNS0_19identity_decomposerEEEEE10hipError_tT0_T1_T2_jT3_P12ihipStream_tbPNSt15iterator_traitsISK_E10value_typeEPNSQ_ISL_E10value_typeEPSM_NS1_7vsmem_tEENKUlT_SK_SL_SM_E_clIPySE_SF_SF_EESJ_SZ_SK_SL_SM_EUlSZ_E1_NS1_11comp_targetILNS1_3genE3ELNS1_11target_archE908ELNS1_3gpuE7ELNS1_3repE0EEENS1_36merge_oddeven_config_static_selectorELNS0_4arch9wavefront6targetE1EEEvSL_
	.p2align	8
	.type	_ZN7rocprim17ROCPRIM_400000_NS6detail17trampoline_kernelINS0_14default_configENS1_38merge_sort_block_merge_config_selectorIyNS0_10empty_typeEEEZZNS1_27merge_sort_block_merge_implIS3_N6thrust23THRUST_200600_302600_NS6detail15normal_iteratorINS9_10device_ptrIyEEEEPS5_jNS1_19radix_merge_compareILb0ELb1EyNS0_19identity_decomposerEEEEE10hipError_tT0_T1_T2_jT3_P12ihipStream_tbPNSt15iterator_traitsISK_E10value_typeEPNSQ_ISL_E10value_typeEPSM_NS1_7vsmem_tEENKUlT_SK_SL_SM_E_clIPySE_SF_SF_EESJ_SZ_SK_SL_SM_EUlSZ_E1_NS1_11comp_targetILNS1_3genE3ELNS1_11target_archE908ELNS1_3gpuE7ELNS1_3repE0EEENS1_36merge_oddeven_config_static_selectorELNS0_4arch9wavefront6targetE1EEEvSL_,@function
_ZN7rocprim17ROCPRIM_400000_NS6detail17trampoline_kernelINS0_14default_configENS1_38merge_sort_block_merge_config_selectorIyNS0_10empty_typeEEEZZNS1_27merge_sort_block_merge_implIS3_N6thrust23THRUST_200600_302600_NS6detail15normal_iteratorINS9_10device_ptrIyEEEEPS5_jNS1_19radix_merge_compareILb0ELb1EyNS0_19identity_decomposerEEEEE10hipError_tT0_T1_T2_jT3_P12ihipStream_tbPNSt15iterator_traitsISK_E10value_typeEPNSQ_ISL_E10value_typeEPSM_NS1_7vsmem_tEENKUlT_SK_SL_SM_E_clIPySE_SF_SF_EESJ_SZ_SK_SL_SM_EUlSZ_E1_NS1_11comp_targetILNS1_3genE3ELNS1_11target_archE908ELNS1_3gpuE7ELNS1_3repE0EEENS1_36merge_oddeven_config_static_selectorELNS0_4arch9wavefront6targetE1EEEvSL_: ; @_ZN7rocprim17ROCPRIM_400000_NS6detail17trampoline_kernelINS0_14default_configENS1_38merge_sort_block_merge_config_selectorIyNS0_10empty_typeEEEZZNS1_27merge_sort_block_merge_implIS3_N6thrust23THRUST_200600_302600_NS6detail15normal_iteratorINS9_10device_ptrIyEEEEPS5_jNS1_19radix_merge_compareILb0ELb1EyNS0_19identity_decomposerEEEEE10hipError_tT0_T1_T2_jT3_P12ihipStream_tbPNSt15iterator_traitsISK_E10value_typeEPNSQ_ISL_E10value_typeEPSM_NS1_7vsmem_tEENKUlT_SK_SL_SM_E_clIPySE_SF_SF_EESJ_SZ_SK_SL_SM_EUlSZ_E1_NS1_11comp_targetILNS1_3genE3ELNS1_11target_archE908ELNS1_3gpuE7ELNS1_3repE0EEENS1_36merge_oddeven_config_static_selectorELNS0_4arch9wavefront6targetE1EEEvSL_
; %bb.0:
	.section	.rodata,"a",@progbits
	.p2align	6, 0x0
	.amdhsa_kernel _ZN7rocprim17ROCPRIM_400000_NS6detail17trampoline_kernelINS0_14default_configENS1_38merge_sort_block_merge_config_selectorIyNS0_10empty_typeEEEZZNS1_27merge_sort_block_merge_implIS3_N6thrust23THRUST_200600_302600_NS6detail15normal_iteratorINS9_10device_ptrIyEEEEPS5_jNS1_19radix_merge_compareILb0ELb1EyNS0_19identity_decomposerEEEEE10hipError_tT0_T1_T2_jT3_P12ihipStream_tbPNSt15iterator_traitsISK_E10value_typeEPNSQ_ISL_E10value_typeEPSM_NS1_7vsmem_tEENKUlT_SK_SL_SM_E_clIPySE_SF_SF_EESJ_SZ_SK_SL_SM_EUlSZ_E1_NS1_11comp_targetILNS1_3genE3ELNS1_11target_archE908ELNS1_3gpuE7ELNS1_3repE0EEENS1_36merge_oddeven_config_static_selectorELNS0_4arch9wavefront6targetE1EEEvSL_
		.amdhsa_group_segment_fixed_size 0
		.amdhsa_private_segment_fixed_size 0
		.amdhsa_kernarg_size 48
		.amdhsa_user_sgpr_count 2
		.amdhsa_user_sgpr_dispatch_ptr 0
		.amdhsa_user_sgpr_queue_ptr 0
		.amdhsa_user_sgpr_kernarg_segment_ptr 1
		.amdhsa_user_sgpr_dispatch_id 0
		.amdhsa_user_sgpr_kernarg_preload_length 0
		.amdhsa_user_sgpr_kernarg_preload_offset 0
		.amdhsa_user_sgpr_private_segment_size 0
		.amdhsa_uses_dynamic_stack 0
		.amdhsa_enable_private_segment 0
		.amdhsa_system_sgpr_workgroup_id_x 1
		.amdhsa_system_sgpr_workgroup_id_y 0
		.amdhsa_system_sgpr_workgroup_id_z 0
		.amdhsa_system_sgpr_workgroup_info 0
		.amdhsa_system_vgpr_workitem_id 0
		.amdhsa_next_free_vgpr 1
		.amdhsa_next_free_sgpr 0
		.amdhsa_accum_offset 4
		.amdhsa_reserve_vcc 0
		.amdhsa_float_round_mode_32 0
		.amdhsa_float_round_mode_16_64 0
		.amdhsa_float_denorm_mode_32 3
		.amdhsa_float_denorm_mode_16_64 3
		.amdhsa_dx10_clamp 1
		.amdhsa_ieee_mode 1
		.amdhsa_fp16_overflow 0
		.amdhsa_tg_split 0
		.amdhsa_exception_fp_ieee_invalid_op 0
		.amdhsa_exception_fp_denorm_src 0
		.amdhsa_exception_fp_ieee_div_zero 0
		.amdhsa_exception_fp_ieee_overflow 0
		.amdhsa_exception_fp_ieee_underflow 0
		.amdhsa_exception_fp_ieee_inexact 0
		.amdhsa_exception_int_div_zero 0
	.end_amdhsa_kernel
	.section	.text._ZN7rocprim17ROCPRIM_400000_NS6detail17trampoline_kernelINS0_14default_configENS1_38merge_sort_block_merge_config_selectorIyNS0_10empty_typeEEEZZNS1_27merge_sort_block_merge_implIS3_N6thrust23THRUST_200600_302600_NS6detail15normal_iteratorINS9_10device_ptrIyEEEEPS5_jNS1_19radix_merge_compareILb0ELb1EyNS0_19identity_decomposerEEEEE10hipError_tT0_T1_T2_jT3_P12ihipStream_tbPNSt15iterator_traitsISK_E10value_typeEPNSQ_ISL_E10value_typeEPSM_NS1_7vsmem_tEENKUlT_SK_SL_SM_E_clIPySE_SF_SF_EESJ_SZ_SK_SL_SM_EUlSZ_E1_NS1_11comp_targetILNS1_3genE3ELNS1_11target_archE908ELNS1_3gpuE7ELNS1_3repE0EEENS1_36merge_oddeven_config_static_selectorELNS0_4arch9wavefront6targetE1EEEvSL_,"axG",@progbits,_ZN7rocprim17ROCPRIM_400000_NS6detail17trampoline_kernelINS0_14default_configENS1_38merge_sort_block_merge_config_selectorIyNS0_10empty_typeEEEZZNS1_27merge_sort_block_merge_implIS3_N6thrust23THRUST_200600_302600_NS6detail15normal_iteratorINS9_10device_ptrIyEEEEPS5_jNS1_19radix_merge_compareILb0ELb1EyNS0_19identity_decomposerEEEEE10hipError_tT0_T1_T2_jT3_P12ihipStream_tbPNSt15iterator_traitsISK_E10value_typeEPNSQ_ISL_E10value_typeEPSM_NS1_7vsmem_tEENKUlT_SK_SL_SM_E_clIPySE_SF_SF_EESJ_SZ_SK_SL_SM_EUlSZ_E1_NS1_11comp_targetILNS1_3genE3ELNS1_11target_archE908ELNS1_3gpuE7ELNS1_3repE0EEENS1_36merge_oddeven_config_static_selectorELNS0_4arch9wavefront6targetE1EEEvSL_,comdat
.Lfunc_end809:
	.size	_ZN7rocprim17ROCPRIM_400000_NS6detail17trampoline_kernelINS0_14default_configENS1_38merge_sort_block_merge_config_selectorIyNS0_10empty_typeEEEZZNS1_27merge_sort_block_merge_implIS3_N6thrust23THRUST_200600_302600_NS6detail15normal_iteratorINS9_10device_ptrIyEEEEPS5_jNS1_19radix_merge_compareILb0ELb1EyNS0_19identity_decomposerEEEEE10hipError_tT0_T1_T2_jT3_P12ihipStream_tbPNSt15iterator_traitsISK_E10value_typeEPNSQ_ISL_E10value_typeEPSM_NS1_7vsmem_tEENKUlT_SK_SL_SM_E_clIPySE_SF_SF_EESJ_SZ_SK_SL_SM_EUlSZ_E1_NS1_11comp_targetILNS1_3genE3ELNS1_11target_archE908ELNS1_3gpuE7ELNS1_3repE0EEENS1_36merge_oddeven_config_static_selectorELNS0_4arch9wavefront6targetE1EEEvSL_, .Lfunc_end809-_ZN7rocprim17ROCPRIM_400000_NS6detail17trampoline_kernelINS0_14default_configENS1_38merge_sort_block_merge_config_selectorIyNS0_10empty_typeEEEZZNS1_27merge_sort_block_merge_implIS3_N6thrust23THRUST_200600_302600_NS6detail15normal_iteratorINS9_10device_ptrIyEEEEPS5_jNS1_19radix_merge_compareILb0ELb1EyNS0_19identity_decomposerEEEEE10hipError_tT0_T1_T2_jT3_P12ihipStream_tbPNSt15iterator_traitsISK_E10value_typeEPNSQ_ISL_E10value_typeEPSM_NS1_7vsmem_tEENKUlT_SK_SL_SM_E_clIPySE_SF_SF_EESJ_SZ_SK_SL_SM_EUlSZ_E1_NS1_11comp_targetILNS1_3genE3ELNS1_11target_archE908ELNS1_3gpuE7ELNS1_3repE0EEENS1_36merge_oddeven_config_static_selectorELNS0_4arch9wavefront6targetE1EEEvSL_
                                        ; -- End function
	.section	.AMDGPU.csdata,"",@progbits
; Kernel info:
; codeLenInByte = 0
; NumSgprs: 6
; NumVgprs: 0
; NumAgprs: 0
; TotalNumVgprs: 0
; ScratchSize: 0
; MemoryBound: 0
; FloatMode: 240
; IeeeMode: 1
; LDSByteSize: 0 bytes/workgroup (compile time only)
; SGPRBlocks: 0
; VGPRBlocks: 0
; NumSGPRsForWavesPerEU: 6
; NumVGPRsForWavesPerEU: 1
; AccumOffset: 4
; Occupancy: 8
; WaveLimiterHint : 0
; COMPUTE_PGM_RSRC2:SCRATCH_EN: 0
; COMPUTE_PGM_RSRC2:USER_SGPR: 2
; COMPUTE_PGM_RSRC2:TRAP_HANDLER: 0
; COMPUTE_PGM_RSRC2:TGID_X_EN: 1
; COMPUTE_PGM_RSRC2:TGID_Y_EN: 0
; COMPUTE_PGM_RSRC2:TGID_Z_EN: 0
; COMPUTE_PGM_RSRC2:TIDIG_COMP_CNT: 0
; COMPUTE_PGM_RSRC3_GFX90A:ACCUM_OFFSET: 0
; COMPUTE_PGM_RSRC3_GFX90A:TG_SPLIT: 0
	.section	.text._ZN7rocprim17ROCPRIM_400000_NS6detail17trampoline_kernelINS0_14default_configENS1_38merge_sort_block_merge_config_selectorIyNS0_10empty_typeEEEZZNS1_27merge_sort_block_merge_implIS3_N6thrust23THRUST_200600_302600_NS6detail15normal_iteratorINS9_10device_ptrIyEEEEPS5_jNS1_19radix_merge_compareILb0ELb1EyNS0_19identity_decomposerEEEEE10hipError_tT0_T1_T2_jT3_P12ihipStream_tbPNSt15iterator_traitsISK_E10value_typeEPNSQ_ISL_E10value_typeEPSM_NS1_7vsmem_tEENKUlT_SK_SL_SM_E_clIPySE_SF_SF_EESJ_SZ_SK_SL_SM_EUlSZ_E1_NS1_11comp_targetILNS1_3genE2ELNS1_11target_archE906ELNS1_3gpuE6ELNS1_3repE0EEENS1_36merge_oddeven_config_static_selectorELNS0_4arch9wavefront6targetE1EEEvSL_,"axG",@progbits,_ZN7rocprim17ROCPRIM_400000_NS6detail17trampoline_kernelINS0_14default_configENS1_38merge_sort_block_merge_config_selectorIyNS0_10empty_typeEEEZZNS1_27merge_sort_block_merge_implIS3_N6thrust23THRUST_200600_302600_NS6detail15normal_iteratorINS9_10device_ptrIyEEEEPS5_jNS1_19radix_merge_compareILb0ELb1EyNS0_19identity_decomposerEEEEE10hipError_tT0_T1_T2_jT3_P12ihipStream_tbPNSt15iterator_traitsISK_E10value_typeEPNSQ_ISL_E10value_typeEPSM_NS1_7vsmem_tEENKUlT_SK_SL_SM_E_clIPySE_SF_SF_EESJ_SZ_SK_SL_SM_EUlSZ_E1_NS1_11comp_targetILNS1_3genE2ELNS1_11target_archE906ELNS1_3gpuE6ELNS1_3repE0EEENS1_36merge_oddeven_config_static_selectorELNS0_4arch9wavefront6targetE1EEEvSL_,comdat
	.protected	_ZN7rocprim17ROCPRIM_400000_NS6detail17trampoline_kernelINS0_14default_configENS1_38merge_sort_block_merge_config_selectorIyNS0_10empty_typeEEEZZNS1_27merge_sort_block_merge_implIS3_N6thrust23THRUST_200600_302600_NS6detail15normal_iteratorINS9_10device_ptrIyEEEEPS5_jNS1_19radix_merge_compareILb0ELb1EyNS0_19identity_decomposerEEEEE10hipError_tT0_T1_T2_jT3_P12ihipStream_tbPNSt15iterator_traitsISK_E10value_typeEPNSQ_ISL_E10value_typeEPSM_NS1_7vsmem_tEENKUlT_SK_SL_SM_E_clIPySE_SF_SF_EESJ_SZ_SK_SL_SM_EUlSZ_E1_NS1_11comp_targetILNS1_3genE2ELNS1_11target_archE906ELNS1_3gpuE6ELNS1_3repE0EEENS1_36merge_oddeven_config_static_selectorELNS0_4arch9wavefront6targetE1EEEvSL_ ; -- Begin function _ZN7rocprim17ROCPRIM_400000_NS6detail17trampoline_kernelINS0_14default_configENS1_38merge_sort_block_merge_config_selectorIyNS0_10empty_typeEEEZZNS1_27merge_sort_block_merge_implIS3_N6thrust23THRUST_200600_302600_NS6detail15normal_iteratorINS9_10device_ptrIyEEEEPS5_jNS1_19radix_merge_compareILb0ELb1EyNS0_19identity_decomposerEEEEE10hipError_tT0_T1_T2_jT3_P12ihipStream_tbPNSt15iterator_traitsISK_E10value_typeEPNSQ_ISL_E10value_typeEPSM_NS1_7vsmem_tEENKUlT_SK_SL_SM_E_clIPySE_SF_SF_EESJ_SZ_SK_SL_SM_EUlSZ_E1_NS1_11comp_targetILNS1_3genE2ELNS1_11target_archE906ELNS1_3gpuE6ELNS1_3repE0EEENS1_36merge_oddeven_config_static_selectorELNS0_4arch9wavefront6targetE1EEEvSL_
	.globl	_ZN7rocprim17ROCPRIM_400000_NS6detail17trampoline_kernelINS0_14default_configENS1_38merge_sort_block_merge_config_selectorIyNS0_10empty_typeEEEZZNS1_27merge_sort_block_merge_implIS3_N6thrust23THRUST_200600_302600_NS6detail15normal_iteratorINS9_10device_ptrIyEEEEPS5_jNS1_19radix_merge_compareILb0ELb1EyNS0_19identity_decomposerEEEEE10hipError_tT0_T1_T2_jT3_P12ihipStream_tbPNSt15iterator_traitsISK_E10value_typeEPNSQ_ISL_E10value_typeEPSM_NS1_7vsmem_tEENKUlT_SK_SL_SM_E_clIPySE_SF_SF_EESJ_SZ_SK_SL_SM_EUlSZ_E1_NS1_11comp_targetILNS1_3genE2ELNS1_11target_archE906ELNS1_3gpuE6ELNS1_3repE0EEENS1_36merge_oddeven_config_static_selectorELNS0_4arch9wavefront6targetE1EEEvSL_
	.p2align	8
	.type	_ZN7rocprim17ROCPRIM_400000_NS6detail17trampoline_kernelINS0_14default_configENS1_38merge_sort_block_merge_config_selectorIyNS0_10empty_typeEEEZZNS1_27merge_sort_block_merge_implIS3_N6thrust23THRUST_200600_302600_NS6detail15normal_iteratorINS9_10device_ptrIyEEEEPS5_jNS1_19radix_merge_compareILb0ELb1EyNS0_19identity_decomposerEEEEE10hipError_tT0_T1_T2_jT3_P12ihipStream_tbPNSt15iterator_traitsISK_E10value_typeEPNSQ_ISL_E10value_typeEPSM_NS1_7vsmem_tEENKUlT_SK_SL_SM_E_clIPySE_SF_SF_EESJ_SZ_SK_SL_SM_EUlSZ_E1_NS1_11comp_targetILNS1_3genE2ELNS1_11target_archE906ELNS1_3gpuE6ELNS1_3repE0EEENS1_36merge_oddeven_config_static_selectorELNS0_4arch9wavefront6targetE1EEEvSL_,@function
_ZN7rocprim17ROCPRIM_400000_NS6detail17trampoline_kernelINS0_14default_configENS1_38merge_sort_block_merge_config_selectorIyNS0_10empty_typeEEEZZNS1_27merge_sort_block_merge_implIS3_N6thrust23THRUST_200600_302600_NS6detail15normal_iteratorINS9_10device_ptrIyEEEEPS5_jNS1_19radix_merge_compareILb0ELb1EyNS0_19identity_decomposerEEEEE10hipError_tT0_T1_T2_jT3_P12ihipStream_tbPNSt15iterator_traitsISK_E10value_typeEPNSQ_ISL_E10value_typeEPSM_NS1_7vsmem_tEENKUlT_SK_SL_SM_E_clIPySE_SF_SF_EESJ_SZ_SK_SL_SM_EUlSZ_E1_NS1_11comp_targetILNS1_3genE2ELNS1_11target_archE906ELNS1_3gpuE6ELNS1_3repE0EEENS1_36merge_oddeven_config_static_selectorELNS0_4arch9wavefront6targetE1EEEvSL_: ; @_ZN7rocprim17ROCPRIM_400000_NS6detail17trampoline_kernelINS0_14default_configENS1_38merge_sort_block_merge_config_selectorIyNS0_10empty_typeEEEZZNS1_27merge_sort_block_merge_implIS3_N6thrust23THRUST_200600_302600_NS6detail15normal_iteratorINS9_10device_ptrIyEEEEPS5_jNS1_19radix_merge_compareILb0ELb1EyNS0_19identity_decomposerEEEEE10hipError_tT0_T1_T2_jT3_P12ihipStream_tbPNSt15iterator_traitsISK_E10value_typeEPNSQ_ISL_E10value_typeEPSM_NS1_7vsmem_tEENKUlT_SK_SL_SM_E_clIPySE_SF_SF_EESJ_SZ_SK_SL_SM_EUlSZ_E1_NS1_11comp_targetILNS1_3genE2ELNS1_11target_archE906ELNS1_3gpuE6ELNS1_3repE0EEENS1_36merge_oddeven_config_static_selectorELNS0_4arch9wavefront6targetE1EEEvSL_
; %bb.0:
	.section	.rodata,"a",@progbits
	.p2align	6, 0x0
	.amdhsa_kernel _ZN7rocprim17ROCPRIM_400000_NS6detail17trampoline_kernelINS0_14default_configENS1_38merge_sort_block_merge_config_selectorIyNS0_10empty_typeEEEZZNS1_27merge_sort_block_merge_implIS3_N6thrust23THRUST_200600_302600_NS6detail15normal_iteratorINS9_10device_ptrIyEEEEPS5_jNS1_19radix_merge_compareILb0ELb1EyNS0_19identity_decomposerEEEEE10hipError_tT0_T1_T2_jT3_P12ihipStream_tbPNSt15iterator_traitsISK_E10value_typeEPNSQ_ISL_E10value_typeEPSM_NS1_7vsmem_tEENKUlT_SK_SL_SM_E_clIPySE_SF_SF_EESJ_SZ_SK_SL_SM_EUlSZ_E1_NS1_11comp_targetILNS1_3genE2ELNS1_11target_archE906ELNS1_3gpuE6ELNS1_3repE0EEENS1_36merge_oddeven_config_static_selectorELNS0_4arch9wavefront6targetE1EEEvSL_
		.amdhsa_group_segment_fixed_size 0
		.amdhsa_private_segment_fixed_size 0
		.amdhsa_kernarg_size 48
		.amdhsa_user_sgpr_count 2
		.amdhsa_user_sgpr_dispatch_ptr 0
		.amdhsa_user_sgpr_queue_ptr 0
		.amdhsa_user_sgpr_kernarg_segment_ptr 1
		.amdhsa_user_sgpr_dispatch_id 0
		.amdhsa_user_sgpr_kernarg_preload_length 0
		.amdhsa_user_sgpr_kernarg_preload_offset 0
		.amdhsa_user_sgpr_private_segment_size 0
		.amdhsa_uses_dynamic_stack 0
		.amdhsa_enable_private_segment 0
		.amdhsa_system_sgpr_workgroup_id_x 1
		.amdhsa_system_sgpr_workgroup_id_y 0
		.amdhsa_system_sgpr_workgroup_id_z 0
		.amdhsa_system_sgpr_workgroup_info 0
		.amdhsa_system_vgpr_workitem_id 0
		.amdhsa_next_free_vgpr 1
		.amdhsa_next_free_sgpr 0
		.amdhsa_accum_offset 4
		.amdhsa_reserve_vcc 0
		.amdhsa_float_round_mode_32 0
		.amdhsa_float_round_mode_16_64 0
		.amdhsa_float_denorm_mode_32 3
		.amdhsa_float_denorm_mode_16_64 3
		.amdhsa_dx10_clamp 1
		.amdhsa_ieee_mode 1
		.amdhsa_fp16_overflow 0
		.amdhsa_tg_split 0
		.amdhsa_exception_fp_ieee_invalid_op 0
		.amdhsa_exception_fp_denorm_src 0
		.amdhsa_exception_fp_ieee_div_zero 0
		.amdhsa_exception_fp_ieee_overflow 0
		.amdhsa_exception_fp_ieee_underflow 0
		.amdhsa_exception_fp_ieee_inexact 0
		.amdhsa_exception_int_div_zero 0
	.end_amdhsa_kernel
	.section	.text._ZN7rocprim17ROCPRIM_400000_NS6detail17trampoline_kernelINS0_14default_configENS1_38merge_sort_block_merge_config_selectorIyNS0_10empty_typeEEEZZNS1_27merge_sort_block_merge_implIS3_N6thrust23THRUST_200600_302600_NS6detail15normal_iteratorINS9_10device_ptrIyEEEEPS5_jNS1_19radix_merge_compareILb0ELb1EyNS0_19identity_decomposerEEEEE10hipError_tT0_T1_T2_jT3_P12ihipStream_tbPNSt15iterator_traitsISK_E10value_typeEPNSQ_ISL_E10value_typeEPSM_NS1_7vsmem_tEENKUlT_SK_SL_SM_E_clIPySE_SF_SF_EESJ_SZ_SK_SL_SM_EUlSZ_E1_NS1_11comp_targetILNS1_3genE2ELNS1_11target_archE906ELNS1_3gpuE6ELNS1_3repE0EEENS1_36merge_oddeven_config_static_selectorELNS0_4arch9wavefront6targetE1EEEvSL_,"axG",@progbits,_ZN7rocprim17ROCPRIM_400000_NS6detail17trampoline_kernelINS0_14default_configENS1_38merge_sort_block_merge_config_selectorIyNS0_10empty_typeEEEZZNS1_27merge_sort_block_merge_implIS3_N6thrust23THRUST_200600_302600_NS6detail15normal_iteratorINS9_10device_ptrIyEEEEPS5_jNS1_19radix_merge_compareILb0ELb1EyNS0_19identity_decomposerEEEEE10hipError_tT0_T1_T2_jT3_P12ihipStream_tbPNSt15iterator_traitsISK_E10value_typeEPNSQ_ISL_E10value_typeEPSM_NS1_7vsmem_tEENKUlT_SK_SL_SM_E_clIPySE_SF_SF_EESJ_SZ_SK_SL_SM_EUlSZ_E1_NS1_11comp_targetILNS1_3genE2ELNS1_11target_archE906ELNS1_3gpuE6ELNS1_3repE0EEENS1_36merge_oddeven_config_static_selectorELNS0_4arch9wavefront6targetE1EEEvSL_,comdat
.Lfunc_end810:
	.size	_ZN7rocprim17ROCPRIM_400000_NS6detail17trampoline_kernelINS0_14default_configENS1_38merge_sort_block_merge_config_selectorIyNS0_10empty_typeEEEZZNS1_27merge_sort_block_merge_implIS3_N6thrust23THRUST_200600_302600_NS6detail15normal_iteratorINS9_10device_ptrIyEEEEPS5_jNS1_19radix_merge_compareILb0ELb1EyNS0_19identity_decomposerEEEEE10hipError_tT0_T1_T2_jT3_P12ihipStream_tbPNSt15iterator_traitsISK_E10value_typeEPNSQ_ISL_E10value_typeEPSM_NS1_7vsmem_tEENKUlT_SK_SL_SM_E_clIPySE_SF_SF_EESJ_SZ_SK_SL_SM_EUlSZ_E1_NS1_11comp_targetILNS1_3genE2ELNS1_11target_archE906ELNS1_3gpuE6ELNS1_3repE0EEENS1_36merge_oddeven_config_static_selectorELNS0_4arch9wavefront6targetE1EEEvSL_, .Lfunc_end810-_ZN7rocprim17ROCPRIM_400000_NS6detail17trampoline_kernelINS0_14default_configENS1_38merge_sort_block_merge_config_selectorIyNS0_10empty_typeEEEZZNS1_27merge_sort_block_merge_implIS3_N6thrust23THRUST_200600_302600_NS6detail15normal_iteratorINS9_10device_ptrIyEEEEPS5_jNS1_19radix_merge_compareILb0ELb1EyNS0_19identity_decomposerEEEEE10hipError_tT0_T1_T2_jT3_P12ihipStream_tbPNSt15iterator_traitsISK_E10value_typeEPNSQ_ISL_E10value_typeEPSM_NS1_7vsmem_tEENKUlT_SK_SL_SM_E_clIPySE_SF_SF_EESJ_SZ_SK_SL_SM_EUlSZ_E1_NS1_11comp_targetILNS1_3genE2ELNS1_11target_archE906ELNS1_3gpuE6ELNS1_3repE0EEENS1_36merge_oddeven_config_static_selectorELNS0_4arch9wavefront6targetE1EEEvSL_
                                        ; -- End function
	.section	.AMDGPU.csdata,"",@progbits
; Kernel info:
; codeLenInByte = 0
; NumSgprs: 6
; NumVgprs: 0
; NumAgprs: 0
; TotalNumVgprs: 0
; ScratchSize: 0
; MemoryBound: 0
; FloatMode: 240
; IeeeMode: 1
; LDSByteSize: 0 bytes/workgroup (compile time only)
; SGPRBlocks: 0
; VGPRBlocks: 0
; NumSGPRsForWavesPerEU: 6
; NumVGPRsForWavesPerEU: 1
; AccumOffset: 4
; Occupancy: 8
; WaveLimiterHint : 0
; COMPUTE_PGM_RSRC2:SCRATCH_EN: 0
; COMPUTE_PGM_RSRC2:USER_SGPR: 2
; COMPUTE_PGM_RSRC2:TRAP_HANDLER: 0
; COMPUTE_PGM_RSRC2:TGID_X_EN: 1
; COMPUTE_PGM_RSRC2:TGID_Y_EN: 0
; COMPUTE_PGM_RSRC2:TGID_Z_EN: 0
; COMPUTE_PGM_RSRC2:TIDIG_COMP_CNT: 0
; COMPUTE_PGM_RSRC3_GFX90A:ACCUM_OFFSET: 0
; COMPUTE_PGM_RSRC3_GFX90A:TG_SPLIT: 0
	.section	.text._ZN7rocprim17ROCPRIM_400000_NS6detail17trampoline_kernelINS0_14default_configENS1_38merge_sort_block_merge_config_selectorIyNS0_10empty_typeEEEZZNS1_27merge_sort_block_merge_implIS3_N6thrust23THRUST_200600_302600_NS6detail15normal_iteratorINS9_10device_ptrIyEEEEPS5_jNS1_19radix_merge_compareILb0ELb1EyNS0_19identity_decomposerEEEEE10hipError_tT0_T1_T2_jT3_P12ihipStream_tbPNSt15iterator_traitsISK_E10value_typeEPNSQ_ISL_E10value_typeEPSM_NS1_7vsmem_tEENKUlT_SK_SL_SM_E_clIPySE_SF_SF_EESJ_SZ_SK_SL_SM_EUlSZ_E1_NS1_11comp_targetILNS1_3genE9ELNS1_11target_archE1100ELNS1_3gpuE3ELNS1_3repE0EEENS1_36merge_oddeven_config_static_selectorELNS0_4arch9wavefront6targetE1EEEvSL_,"axG",@progbits,_ZN7rocprim17ROCPRIM_400000_NS6detail17trampoline_kernelINS0_14default_configENS1_38merge_sort_block_merge_config_selectorIyNS0_10empty_typeEEEZZNS1_27merge_sort_block_merge_implIS3_N6thrust23THRUST_200600_302600_NS6detail15normal_iteratorINS9_10device_ptrIyEEEEPS5_jNS1_19radix_merge_compareILb0ELb1EyNS0_19identity_decomposerEEEEE10hipError_tT0_T1_T2_jT3_P12ihipStream_tbPNSt15iterator_traitsISK_E10value_typeEPNSQ_ISL_E10value_typeEPSM_NS1_7vsmem_tEENKUlT_SK_SL_SM_E_clIPySE_SF_SF_EESJ_SZ_SK_SL_SM_EUlSZ_E1_NS1_11comp_targetILNS1_3genE9ELNS1_11target_archE1100ELNS1_3gpuE3ELNS1_3repE0EEENS1_36merge_oddeven_config_static_selectorELNS0_4arch9wavefront6targetE1EEEvSL_,comdat
	.protected	_ZN7rocprim17ROCPRIM_400000_NS6detail17trampoline_kernelINS0_14default_configENS1_38merge_sort_block_merge_config_selectorIyNS0_10empty_typeEEEZZNS1_27merge_sort_block_merge_implIS3_N6thrust23THRUST_200600_302600_NS6detail15normal_iteratorINS9_10device_ptrIyEEEEPS5_jNS1_19radix_merge_compareILb0ELb1EyNS0_19identity_decomposerEEEEE10hipError_tT0_T1_T2_jT3_P12ihipStream_tbPNSt15iterator_traitsISK_E10value_typeEPNSQ_ISL_E10value_typeEPSM_NS1_7vsmem_tEENKUlT_SK_SL_SM_E_clIPySE_SF_SF_EESJ_SZ_SK_SL_SM_EUlSZ_E1_NS1_11comp_targetILNS1_3genE9ELNS1_11target_archE1100ELNS1_3gpuE3ELNS1_3repE0EEENS1_36merge_oddeven_config_static_selectorELNS0_4arch9wavefront6targetE1EEEvSL_ ; -- Begin function _ZN7rocprim17ROCPRIM_400000_NS6detail17trampoline_kernelINS0_14default_configENS1_38merge_sort_block_merge_config_selectorIyNS0_10empty_typeEEEZZNS1_27merge_sort_block_merge_implIS3_N6thrust23THRUST_200600_302600_NS6detail15normal_iteratorINS9_10device_ptrIyEEEEPS5_jNS1_19radix_merge_compareILb0ELb1EyNS0_19identity_decomposerEEEEE10hipError_tT0_T1_T2_jT3_P12ihipStream_tbPNSt15iterator_traitsISK_E10value_typeEPNSQ_ISL_E10value_typeEPSM_NS1_7vsmem_tEENKUlT_SK_SL_SM_E_clIPySE_SF_SF_EESJ_SZ_SK_SL_SM_EUlSZ_E1_NS1_11comp_targetILNS1_3genE9ELNS1_11target_archE1100ELNS1_3gpuE3ELNS1_3repE0EEENS1_36merge_oddeven_config_static_selectorELNS0_4arch9wavefront6targetE1EEEvSL_
	.globl	_ZN7rocprim17ROCPRIM_400000_NS6detail17trampoline_kernelINS0_14default_configENS1_38merge_sort_block_merge_config_selectorIyNS0_10empty_typeEEEZZNS1_27merge_sort_block_merge_implIS3_N6thrust23THRUST_200600_302600_NS6detail15normal_iteratorINS9_10device_ptrIyEEEEPS5_jNS1_19radix_merge_compareILb0ELb1EyNS0_19identity_decomposerEEEEE10hipError_tT0_T1_T2_jT3_P12ihipStream_tbPNSt15iterator_traitsISK_E10value_typeEPNSQ_ISL_E10value_typeEPSM_NS1_7vsmem_tEENKUlT_SK_SL_SM_E_clIPySE_SF_SF_EESJ_SZ_SK_SL_SM_EUlSZ_E1_NS1_11comp_targetILNS1_3genE9ELNS1_11target_archE1100ELNS1_3gpuE3ELNS1_3repE0EEENS1_36merge_oddeven_config_static_selectorELNS0_4arch9wavefront6targetE1EEEvSL_
	.p2align	8
	.type	_ZN7rocprim17ROCPRIM_400000_NS6detail17trampoline_kernelINS0_14default_configENS1_38merge_sort_block_merge_config_selectorIyNS0_10empty_typeEEEZZNS1_27merge_sort_block_merge_implIS3_N6thrust23THRUST_200600_302600_NS6detail15normal_iteratorINS9_10device_ptrIyEEEEPS5_jNS1_19radix_merge_compareILb0ELb1EyNS0_19identity_decomposerEEEEE10hipError_tT0_T1_T2_jT3_P12ihipStream_tbPNSt15iterator_traitsISK_E10value_typeEPNSQ_ISL_E10value_typeEPSM_NS1_7vsmem_tEENKUlT_SK_SL_SM_E_clIPySE_SF_SF_EESJ_SZ_SK_SL_SM_EUlSZ_E1_NS1_11comp_targetILNS1_3genE9ELNS1_11target_archE1100ELNS1_3gpuE3ELNS1_3repE0EEENS1_36merge_oddeven_config_static_selectorELNS0_4arch9wavefront6targetE1EEEvSL_,@function
_ZN7rocprim17ROCPRIM_400000_NS6detail17trampoline_kernelINS0_14default_configENS1_38merge_sort_block_merge_config_selectorIyNS0_10empty_typeEEEZZNS1_27merge_sort_block_merge_implIS3_N6thrust23THRUST_200600_302600_NS6detail15normal_iteratorINS9_10device_ptrIyEEEEPS5_jNS1_19radix_merge_compareILb0ELb1EyNS0_19identity_decomposerEEEEE10hipError_tT0_T1_T2_jT3_P12ihipStream_tbPNSt15iterator_traitsISK_E10value_typeEPNSQ_ISL_E10value_typeEPSM_NS1_7vsmem_tEENKUlT_SK_SL_SM_E_clIPySE_SF_SF_EESJ_SZ_SK_SL_SM_EUlSZ_E1_NS1_11comp_targetILNS1_3genE9ELNS1_11target_archE1100ELNS1_3gpuE3ELNS1_3repE0EEENS1_36merge_oddeven_config_static_selectorELNS0_4arch9wavefront6targetE1EEEvSL_: ; @_ZN7rocprim17ROCPRIM_400000_NS6detail17trampoline_kernelINS0_14default_configENS1_38merge_sort_block_merge_config_selectorIyNS0_10empty_typeEEEZZNS1_27merge_sort_block_merge_implIS3_N6thrust23THRUST_200600_302600_NS6detail15normal_iteratorINS9_10device_ptrIyEEEEPS5_jNS1_19radix_merge_compareILb0ELb1EyNS0_19identity_decomposerEEEEE10hipError_tT0_T1_T2_jT3_P12ihipStream_tbPNSt15iterator_traitsISK_E10value_typeEPNSQ_ISL_E10value_typeEPSM_NS1_7vsmem_tEENKUlT_SK_SL_SM_E_clIPySE_SF_SF_EESJ_SZ_SK_SL_SM_EUlSZ_E1_NS1_11comp_targetILNS1_3genE9ELNS1_11target_archE1100ELNS1_3gpuE3ELNS1_3repE0EEENS1_36merge_oddeven_config_static_selectorELNS0_4arch9wavefront6targetE1EEEvSL_
; %bb.0:
	.section	.rodata,"a",@progbits
	.p2align	6, 0x0
	.amdhsa_kernel _ZN7rocprim17ROCPRIM_400000_NS6detail17trampoline_kernelINS0_14default_configENS1_38merge_sort_block_merge_config_selectorIyNS0_10empty_typeEEEZZNS1_27merge_sort_block_merge_implIS3_N6thrust23THRUST_200600_302600_NS6detail15normal_iteratorINS9_10device_ptrIyEEEEPS5_jNS1_19radix_merge_compareILb0ELb1EyNS0_19identity_decomposerEEEEE10hipError_tT0_T1_T2_jT3_P12ihipStream_tbPNSt15iterator_traitsISK_E10value_typeEPNSQ_ISL_E10value_typeEPSM_NS1_7vsmem_tEENKUlT_SK_SL_SM_E_clIPySE_SF_SF_EESJ_SZ_SK_SL_SM_EUlSZ_E1_NS1_11comp_targetILNS1_3genE9ELNS1_11target_archE1100ELNS1_3gpuE3ELNS1_3repE0EEENS1_36merge_oddeven_config_static_selectorELNS0_4arch9wavefront6targetE1EEEvSL_
		.amdhsa_group_segment_fixed_size 0
		.amdhsa_private_segment_fixed_size 0
		.amdhsa_kernarg_size 48
		.amdhsa_user_sgpr_count 2
		.amdhsa_user_sgpr_dispatch_ptr 0
		.amdhsa_user_sgpr_queue_ptr 0
		.amdhsa_user_sgpr_kernarg_segment_ptr 1
		.amdhsa_user_sgpr_dispatch_id 0
		.amdhsa_user_sgpr_kernarg_preload_length 0
		.amdhsa_user_sgpr_kernarg_preload_offset 0
		.amdhsa_user_sgpr_private_segment_size 0
		.amdhsa_uses_dynamic_stack 0
		.amdhsa_enable_private_segment 0
		.amdhsa_system_sgpr_workgroup_id_x 1
		.amdhsa_system_sgpr_workgroup_id_y 0
		.amdhsa_system_sgpr_workgroup_id_z 0
		.amdhsa_system_sgpr_workgroup_info 0
		.amdhsa_system_vgpr_workitem_id 0
		.amdhsa_next_free_vgpr 1
		.amdhsa_next_free_sgpr 0
		.amdhsa_accum_offset 4
		.amdhsa_reserve_vcc 0
		.amdhsa_float_round_mode_32 0
		.amdhsa_float_round_mode_16_64 0
		.amdhsa_float_denorm_mode_32 3
		.amdhsa_float_denorm_mode_16_64 3
		.amdhsa_dx10_clamp 1
		.amdhsa_ieee_mode 1
		.amdhsa_fp16_overflow 0
		.amdhsa_tg_split 0
		.amdhsa_exception_fp_ieee_invalid_op 0
		.amdhsa_exception_fp_denorm_src 0
		.amdhsa_exception_fp_ieee_div_zero 0
		.amdhsa_exception_fp_ieee_overflow 0
		.amdhsa_exception_fp_ieee_underflow 0
		.amdhsa_exception_fp_ieee_inexact 0
		.amdhsa_exception_int_div_zero 0
	.end_amdhsa_kernel
	.section	.text._ZN7rocprim17ROCPRIM_400000_NS6detail17trampoline_kernelINS0_14default_configENS1_38merge_sort_block_merge_config_selectorIyNS0_10empty_typeEEEZZNS1_27merge_sort_block_merge_implIS3_N6thrust23THRUST_200600_302600_NS6detail15normal_iteratorINS9_10device_ptrIyEEEEPS5_jNS1_19radix_merge_compareILb0ELb1EyNS0_19identity_decomposerEEEEE10hipError_tT0_T1_T2_jT3_P12ihipStream_tbPNSt15iterator_traitsISK_E10value_typeEPNSQ_ISL_E10value_typeEPSM_NS1_7vsmem_tEENKUlT_SK_SL_SM_E_clIPySE_SF_SF_EESJ_SZ_SK_SL_SM_EUlSZ_E1_NS1_11comp_targetILNS1_3genE9ELNS1_11target_archE1100ELNS1_3gpuE3ELNS1_3repE0EEENS1_36merge_oddeven_config_static_selectorELNS0_4arch9wavefront6targetE1EEEvSL_,"axG",@progbits,_ZN7rocprim17ROCPRIM_400000_NS6detail17trampoline_kernelINS0_14default_configENS1_38merge_sort_block_merge_config_selectorIyNS0_10empty_typeEEEZZNS1_27merge_sort_block_merge_implIS3_N6thrust23THRUST_200600_302600_NS6detail15normal_iteratorINS9_10device_ptrIyEEEEPS5_jNS1_19radix_merge_compareILb0ELb1EyNS0_19identity_decomposerEEEEE10hipError_tT0_T1_T2_jT3_P12ihipStream_tbPNSt15iterator_traitsISK_E10value_typeEPNSQ_ISL_E10value_typeEPSM_NS1_7vsmem_tEENKUlT_SK_SL_SM_E_clIPySE_SF_SF_EESJ_SZ_SK_SL_SM_EUlSZ_E1_NS1_11comp_targetILNS1_3genE9ELNS1_11target_archE1100ELNS1_3gpuE3ELNS1_3repE0EEENS1_36merge_oddeven_config_static_selectorELNS0_4arch9wavefront6targetE1EEEvSL_,comdat
.Lfunc_end811:
	.size	_ZN7rocprim17ROCPRIM_400000_NS6detail17trampoline_kernelINS0_14default_configENS1_38merge_sort_block_merge_config_selectorIyNS0_10empty_typeEEEZZNS1_27merge_sort_block_merge_implIS3_N6thrust23THRUST_200600_302600_NS6detail15normal_iteratorINS9_10device_ptrIyEEEEPS5_jNS1_19radix_merge_compareILb0ELb1EyNS0_19identity_decomposerEEEEE10hipError_tT0_T1_T2_jT3_P12ihipStream_tbPNSt15iterator_traitsISK_E10value_typeEPNSQ_ISL_E10value_typeEPSM_NS1_7vsmem_tEENKUlT_SK_SL_SM_E_clIPySE_SF_SF_EESJ_SZ_SK_SL_SM_EUlSZ_E1_NS1_11comp_targetILNS1_3genE9ELNS1_11target_archE1100ELNS1_3gpuE3ELNS1_3repE0EEENS1_36merge_oddeven_config_static_selectorELNS0_4arch9wavefront6targetE1EEEvSL_, .Lfunc_end811-_ZN7rocprim17ROCPRIM_400000_NS6detail17trampoline_kernelINS0_14default_configENS1_38merge_sort_block_merge_config_selectorIyNS0_10empty_typeEEEZZNS1_27merge_sort_block_merge_implIS3_N6thrust23THRUST_200600_302600_NS6detail15normal_iteratorINS9_10device_ptrIyEEEEPS5_jNS1_19radix_merge_compareILb0ELb1EyNS0_19identity_decomposerEEEEE10hipError_tT0_T1_T2_jT3_P12ihipStream_tbPNSt15iterator_traitsISK_E10value_typeEPNSQ_ISL_E10value_typeEPSM_NS1_7vsmem_tEENKUlT_SK_SL_SM_E_clIPySE_SF_SF_EESJ_SZ_SK_SL_SM_EUlSZ_E1_NS1_11comp_targetILNS1_3genE9ELNS1_11target_archE1100ELNS1_3gpuE3ELNS1_3repE0EEENS1_36merge_oddeven_config_static_selectorELNS0_4arch9wavefront6targetE1EEEvSL_
                                        ; -- End function
	.section	.AMDGPU.csdata,"",@progbits
; Kernel info:
; codeLenInByte = 0
; NumSgprs: 6
; NumVgprs: 0
; NumAgprs: 0
; TotalNumVgprs: 0
; ScratchSize: 0
; MemoryBound: 0
; FloatMode: 240
; IeeeMode: 1
; LDSByteSize: 0 bytes/workgroup (compile time only)
; SGPRBlocks: 0
; VGPRBlocks: 0
; NumSGPRsForWavesPerEU: 6
; NumVGPRsForWavesPerEU: 1
; AccumOffset: 4
; Occupancy: 8
; WaveLimiterHint : 0
; COMPUTE_PGM_RSRC2:SCRATCH_EN: 0
; COMPUTE_PGM_RSRC2:USER_SGPR: 2
; COMPUTE_PGM_RSRC2:TRAP_HANDLER: 0
; COMPUTE_PGM_RSRC2:TGID_X_EN: 1
; COMPUTE_PGM_RSRC2:TGID_Y_EN: 0
; COMPUTE_PGM_RSRC2:TGID_Z_EN: 0
; COMPUTE_PGM_RSRC2:TIDIG_COMP_CNT: 0
; COMPUTE_PGM_RSRC3_GFX90A:ACCUM_OFFSET: 0
; COMPUTE_PGM_RSRC3_GFX90A:TG_SPLIT: 0
	.section	.text._ZN7rocprim17ROCPRIM_400000_NS6detail17trampoline_kernelINS0_14default_configENS1_38merge_sort_block_merge_config_selectorIyNS0_10empty_typeEEEZZNS1_27merge_sort_block_merge_implIS3_N6thrust23THRUST_200600_302600_NS6detail15normal_iteratorINS9_10device_ptrIyEEEEPS5_jNS1_19radix_merge_compareILb0ELb1EyNS0_19identity_decomposerEEEEE10hipError_tT0_T1_T2_jT3_P12ihipStream_tbPNSt15iterator_traitsISK_E10value_typeEPNSQ_ISL_E10value_typeEPSM_NS1_7vsmem_tEENKUlT_SK_SL_SM_E_clIPySE_SF_SF_EESJ_SZ_SK_SL_SM_EUlSZ_E1_NS1_11comp_targetILNS1_3genE8ELNS1_11target_archE1030ELNS1_3gpuE2ELNS1_3repE0EEENS1_36merge_oddeven_config_static_selectorELNS0_4arch9wavefront6targetE1EEEvSL_,"axG",@progbits,_ZN7rocprim17ROCPRIM_400000_NS6detail17trampoline_kernelINS0_14default_configENS1_38merge_sort_block_merge_config_selectorIyNS0_10empty_typeEEEZZNS1_27merge_sort_block_merge_implIS3_N6thrust23THRUST_200600_302600_NS6detail15normal_iteratorINS9_10device_ptrIyEEEEPS5_jNS1_19radix_merge_compareILb0ELb1EyNS0_19identity_decomposerEEEEE10hipError_tT0_T1_T2_jT3_P12ihipStream_tbPNSt15iterator_traitsISK_E10value_typeEPNSQ_ISL_E10value_typeEPSM_NS1_7vsmem_tEENKUlT_SK_SL_SM_E_clIPySE_SF_SF_EESJ_SZ_SK_SL_SM_EUlSZ_E1_NS1_11comp_targetILNS1_3genE8ELNS1_11target_archE1030ELNS1_3gpuE2ELNS1_3repE0EEENS1_36merge_oddeven_config_static_selectorELNS0_4arch9wavefront6targetE1EEEvSL_,comdat
	.protected	_ZN7rocprim17ROCPRIM_400000_NS6detail17trampoline_kernelINS0_14default_configENS1_38merge_sort_block_merge_config_selectorIyNS0_10empty_typeEEEZZNS1_27merge_sort_block_merge_implIS3_N6thrust23THRUST_200600_302600_NS6detail15normal_iteratorINS9_10device_ptrIyEEEEPS5_jNS1_19radix_merge_compareILb0ELb1EyNS0_19identity_decomposerEEEEE10hipError_tT0_T1_T2_jT3_P12ihipStream_tbPNSt15iterator_traitsISK_E10value_typeEPNSQ_ISL_E10value_typeEPSM_NS1_7vsmem_tEENKUlT_SK_SL_SM_E_clIPySE_SF_SF_EESJ_SZ_SK_SL_SM_EUlSZ_E1_NS1_11comp_targetILNS1_3genE8ELNS1_11target_archE1030ELNS1_3gpuE2ELNS1_3repE0EEENS1_36merge_oddeven_config_static_selectorELNS0_4arch9wavefront6targetE1EEEvSL_ ; -- Begin function _ZN7rocprim17ROCPRIM_400000_NS6detail17trampoline_kernelINS0_14default_configENS1_38merge_sort_block_merge_config_selectorIyNS0_10empty_typeEEEZZNS1_27merge_sort_block_merge_implIS3_N6thrust23THRUST_200600_302600_NS6detail15normal_iteratorINS9_10device_ptrIyEEEEPS5_jNS1_19radix_merge_compareILb0ELb1EyNS0_19identity_decomposerEEEEE10hipError_tT0_T1_T2_jT3_P12ihipStream_tbPNSt15iterator_traitsISK_E10value_typeEPNSQ_ISL_E10value_typeEPSM_NS1_7vsmem_tEENKUlT_SK_SL_SM_E_clIPySE_SF_SF_EESJ_SZ_SK_SL_SM_EUlSZ_E1_NS1_11comp_targetILNS1_3genE8ELNS1_11target_archE1030ELNS1_3gpuE2ELNS1_3repE0EEENS1_36merge_oddeven_config_static_selectorELNS0_4arch9wavefront6targetE1EEEvSL_
	.globl	_ZN7rocprim17ROCPRIM_400000_NS6detail17trampoline_kernelINS0_14default_configENS1_38merge_sort_block_merge_config_selectorIyNS0_10empty_typeEEEZZNS1_27merge_sort_block_merge_implIS3_N6thrust23THRUST_200600_302600_NS6detail15normal_iteratorINS9_10device_ptrIyEEEEPS5_jNS1_19radix_merge_compareILb0ELb1EyNS0_19identity_decomposerEEEEE10hipError_tT0_T1_T2_jT3_P12ihipStream_tbPNSt15iterator_traitsISK_E10value_typeEPNSQ_ISL_E10value_typeEPSM_NS1_7vsmem_tEENKUlT_SK_SL_SM_E_clIPySE_SF_SF_EESJ_SZ_SK_SL_SM_EUlSZ_E1_NS1_11comp_targetILNS1_3genE8ELNS1_11target_archE1030ELNS1_3gpuE2ELNS1_3repE0EEENS1_36merge_oddeven_config_static_selectorELNS0_4arch9wavefront6targetE1EEEvSL_
	.p2align	8
	.type	_ZN7rocprim17ROCPRIM_400000_NS6detail17trampoline_kernelINS0_14default_configENS1_38merge_sort_block_merge_config_selectorIyNS0_10empty_typeEEEZZNS1_27merge_sort_block_merge_implIS3_N6thrust23THRUST_200600_302600_NS6detail15normal_iteratorINS9_10device_ptrIyEEEEPS5_jNS1_19radix_merge_compareILb0ELb1EyNS0_19identity_decomposerEEEEE10hipError_tT0_T1_T2_jT3_P12ihipStream_tbPNSt15iterator_traitsISK_E10value_typeEPNSQ_ISL_E10value_typeEPSM_NS1_7vsmem_tEENKUlT_SK_SL_SM_E_clIPySE_SF_SF_EESJ_SZ_SK_SL_SM_EUlSZ_E1_NS1_11comp_targetILNS1_3genE8ELNS1_11target_archE1030ELNS1_3gpuE2ELNS1_3repE0EEENS1_36merge_oddeven_config_static_selectorELNS0_4arch9wavefront6targetE1EEEvSL_,@function
_ZN7rocprim17ROCPRIM_400000_NS6detail17trampoline_kernelINS0_14default_configENS1_38merge_sort_block_merge_config_selectorIyNS0_10empty_typeEEEZZNS1_27merge_sort_block_merge_implIS3_N6thrust23THRUST_200600_302600_NS6detail15normal_iteratorINS9_10device_ptrIyEEEEPS5_jNS1_19radix_merge_compareILb0ELb1EyNS0_19identity_decomposerEEEEE10hipError_tT0_T1_T2_jT3_P12ihipStream_tbPNSt15iterator_traitsISK_E10value_typeEPNSQ_ISL_E10value_typeEPSM_NS1_7vsmem_tEENKUlT_SK_SL_SM_E_clIPySE_SF_SF_EESJ_SZ_SK_SL_SM_EUlSZ_E1_NS1_11comp_targetILNS1_3genE8ELNS1_11target_archE1030ELNS1_3gpuE2ELNS1_3repE0EEENS1_36merge_oddeven_config_static_selectorELNS0_4arch9wavefront6targetE1EEEvSL_: ; @_ZN7rocprim17ROCPRIM_400000_NS6detail17trampoline_kernelINS0_14default_configENS1_38merge_sort_block_merge_config_selectorIyNS0_10empty_typeEEEZZNS1_27merge_sort_block_merge_implIS3_N6thrust23THRUST_200600_302600_NS6detail15normal_iteratorINS9_10device_ptrIyEEEEPS5_jNS1_19radix_merge_compareILb0ELb1EyNS0_19identity_decomposerEEEEE10hipError_tT0_T1_T2_jT3_P12ihipStream_tbPNSt15iterator_traitsISK_E10value_typeEPNSQ_ISL_E10value_typeEPSM_NS1_7vsmem_tEENKUlT_SK_SL_SM_E_clIPySE_SF_SF_EESJ_SZ_SK_SL_SM_EUlSZ_E1_NS1_11comp_targetILNS1_3genE8ELNS1_11target_archE1030ELNS1_3gpuE2ELNS1_3repE0EEENS1_36merge_oddeven_config_static_selectorELNS0_4arch9wavefront6targetE1EEEvSL_
; %bb.0:
	.section	.rodata,"a",@progbits
	.p2align	6, 0x0
	.amdhsa_kernel _ZN7rocprim17ROCPRIM_400000_NS6detail17trampoline_kernelINS0_14default_configENS1_38merge_sort_block_merge_config_selectorIyNS0_10empty_typeEEEZZNS1_27merge_sort_block_merge_implIS3_N6thrust23THRUST_200600_302600_NS6detail15normal_iteratorINS9_10device_ptrIyEEEEPS5_jNS1_19radix_merge_compareILb0ELb1EyNS0_19identity_decomposerEEEEE10hipError_tT0_T1_T2_jT3_P12ihipStream_tbPNSt15iterator_traitsISK_E10value_typeEPNSQ_ISL_E10value_typeEPSM_NS1_7vsmem_tEENKUlT_SK_SL_SM_E_clIPySE_SF_SF_EESJ_SZ_SK_SL_SM_EUlSZ_E1_NS1_11comp_targetILNS1_3genE8ELNS1_11target_archE1030ELNS1_3gpuE2ELNS1_3repE0EEENS1_36merge_oddeven_config_static_selectorELNS0_4arch9wavefront6targetE1EEEvSL_
		.amdhsa_group_segment_fixed_size 0
		.amdhsa_private_segment_fixed_size 0
		.amdhsa_kernarg_size 48
		.amdhsa_user_sgpr_count 2
		.amdhsa_user_sgpr_dispatch_ptr 0
		.amdhsa_user_sgpr_queue_ptr 0
		.amdhsa_user_sgpr_kernarg_segment_ptr 1
		.amdhsa_user_sgpr_dispatch_id 0
		.amdhsa_user_sgpr_kernarg_preload_length 0
		.amdhsa_user_sgpr_kernarg_preload_offset 0
		.amdhsa_user_sgpr_private_segment_size 0
		.amdhsa_uses_dynamic_stack 0
		.amdhsa_enable_private_segment 0
		.amdhsa_system_sgpr_workgroup_id_x 1
		.amdhsa_system_sgpr_workgroup_id_y 0
		.amdhsa_system_sgpr_workgroup_id_z 0
		.amdhsa_system_sgpr_workgroup_info 0
		.amdhsa_system_vgpr_workitem_id 0
		.amdhsa_next_free_vgpr 1
		.amdhsa_next_free_sgpr 0
		.amdhsa_accum_offset 4
		.amdhsa_reserve_vcc 0
		.amdhsa_float_round_mode_32 0
		.amdhsa_float_round_mode_16_64 0
		.amdhsa_float_denorm_mode_32 3
		.amdhsa_float_denorm_mode_16_64 3
		.amdhsa_dx10_clamp 1
		.amdhsa_ieee_mode 1
		.amdhsa_fp16_overflow 0
		.amdhsa_tg_split 0
		.amdhsa_exception_fp_ieee_invalid_op 0
		.amdhsa_exception_fp_denorm_src 0
		.amdhsa_exception_fp_ieee_div_zero 0
		.amdhsa_exception_fp_ieee_overflow 0
		.amdhsa_exception_fp_ieee_underflow 0
		.amdhsa_exception_fp_ieee_inexact 0
		.amdhsa_exception_int_div_zero 0
	.end_amdhsa_kernel
	.section	.text._ZN7rocprim17ROCPRIM_400000_NS6detail17trampoline_kernelINS0_14default_configENS1_38merge_sort_block_merge_config_selectorIyNS0_10empty_typeEEEZZNS1_27merge_sort_block_merge_implIS3_N6thrust23THRUST_200600_302600_NS6detail15normal_iteratorINS9_10device_ptrIyEEEEPS5_jNS1_19radix_merge_compareILb0ELb1EyNS0_19identity_decomposerEEEEE10hipError_tT0_T1_T2_jT3_P12ihipStream_tbPNSt15iterator_traitsISK_E10value_typeEPNSQ_ISL_E10value_typeEPSM_NS1_7vsmem_tEENKUlT_SK_SL_SM_E_clIPySE_SF_SF_EESJ_SZ_SK_SL_SM_EUlSZ_E1_NS1_11comp_targetILNS1_3genE8ELNS1_11target_archE1030ELNS1_3gpuE2ELNS1_3repE0EEENS1_36merge_oddeven_config_static_selectorELNS0_4arch9wavefront6targetE1EEEvSL_,"axG",@progbits,_ZN7rocprim17ROCPRIM_400000_NS6detail17trampoline_kernelINS0_14default_configENS1_38merge_sort_block_merge_config_selectorIyNS0_10empty_typeEEEZZNS1_27merge_sort_block_merge_implIS3_N6thrust23THRUST_200600_302600_NS6detail15normal_iteratorINS9_10device_ptrIyEEEEPS5_jNS1_19radix_merge_compareILb0ELb1EyNS0_19identity_decomposerEEEEE10hipError_tT0_T1_T2_jT3_P12ihipStream_tbPNSt15iterator_traitsISK_E10value_typeEPNSQ_ISL_E10value_typeEPSM_NS1_7vsmem_tEENKUlT_SK_SL_SM_E_clIPySE_SF_SF_EESJ_SZ_SK_SL_SM_EUlSZ_E1_NS1_11comp_targetILNS1_3genE8ELNS1_11target_archE1030ELNS1_3gpuE2ELNS1_3repE0EEENS1_36merge_oddeven_config_static_selectorELNS0_4arch9wavefront6targetE1EEEvSL_,comdat
.Lfunc_end812:
	.size	_ZN7rocprim17ROCPRIM_400000_NS6detail17trampoline_kernelINS0_14default_configENS1_38merge_sort_block_merge_config_selectorIyNS0_10empty_typeEEEZZNS1_27merge_sort_block_merge_implIS3_N6thrust23THRUST_200600_302600_NS6detail15normal_iteratorINS9_10device_ptrIyEEEEPS5_jNS1_19radix_merge_compareILb0ELb1EyNS0_19identity_decomposerEEEEE10hipError_tT0_T1_T2_jT3_P12ihipStream_tbPNSt15iterator_traitsISK_E10value_typeEPNSQ_ISL_E10value_typeEPSM_NS1_7vsmem_tEENKUlT_SK_SL_SM_E_clIPySE_SF_SF_EESJ_SZ_SK_SL_SM_EUlSZ_E1_NS1_11comp_targetILNS1_3genE8ELNS1_11target_archE1030ELNS1_3gpuE2ELNS1_3repE0EEENS1_36merge_oddeven_config_static_selectorELNS0_4arch9wavefront6targetE1EEEvSL_, .Lfunc_end812-_ZN7rocprim17ROCPRIM_400000_NS6detail17trampoline_kernelINS0_14default_configENS1_38merge_sort_block_merge_config_selectorIyNS0_10empty_typeEEEZZNS1_27merge_sort_block_merge_implIS3_N6thrust23THRUST_200600_302600_NS6detail15normal_iteratorINS9_10device_ptrIyEEEEPS5_jNS1_19radix_merge_compareILb0ELb1EyNS0_19identity_decomposerEEEEE10hipError_tT0_T1_T2_jT3_P12ihipStream_tbPNSt15iterator_traitsISK_E10value_typeEPNSQ_ISL_E10value_typeEPSM_NS1_7vsmem_tEENKUlT_SK_SL_SM_E_clIPySE_SF_SF_EESJ_SZ_SK_SL_SM_EUlSZ_E1_NS1_11comp_targetILNS1_3genE8ELNS1_11target_archE1030ELNS1_3gpuE2ELNS1_3repE0EEENS1_36merge_oddeven_config_static_selectorELNS0_4arch9wavefront6targetE1EEEvSL_
                                        ; -- End function
	.section	.AMDGPU.csdata,"",@progbits
; Kernel info:
; codeLenInByte = 0
; NumSgprs: 6
; NumVgprs: 0
; NumAgprs: 0
; TotalNumVgprs: 0
; ScratchSize: 0
; MemoryBound: 0
; FloatMode: 240
; IeeeMode: 1
; LDSByteSize: 0 bytes/workgroup (compile time only)
; SGPRBlocks: 0
; VGPRBlocks: 0
; NumSGPRsForWavesPerEU: 6
; NumVGPRsForWavesPerEU: 1
; AccumOffset: 4
; Occupancy: 8
; WaveLimiterHint : 0
; COMPUTE_PGM_RSRC2:SCRATCH_EN: 0
; COMPUTE_PGM_RSRC2:USER_SGPR: 2
; COMPUTE_PGM_RSRC2:TRAP_HANDLER: 0
; COMPUTE_PGM_RSRC2:TGID_X_EN: 1
; COMPUTE_PGM_RSRC2:TGID_Y_EN: 0
; COMPUTE_PGM_RSRC2:TGID_Z_EN: 0
; COMPUTE_PGM_RSRC2:TIDIG_COMP_CNT: 0
; COMPUTE_PGM_RSRC3_GFX90A:ACCUM_OFFSET: 0
; COMPUTE_PGM_RSRC3_GFX90A:TG_SPLIT: 0
	.section	.text._ZN7rocprim17ROCPRIM_400000_NS6detail17trampoline_kernelINS0_14default_configENS1_38merge_sort_block_merge_config_selectorIyNS0_10empty_typeEEEZZNS1_27merge_sort_block_merge_implIS3_N6thrust23THRUST_200600_302600_NS6detail15normal_iteratorINS9_10device_ptrIyEEEEPS5_jNS1_19radix_merge_compareILb0ELb1EyNS0_19identity_decomposerEEEEE10hipError_tT0_T1_T2_jT3_P12ihipStream_tbPNSt15iterator_traitsISK_E10value_typeEPNSQ_ISL_E10value_typeEPSM_NS1_7vsmem_tEENKUlT_SK_SL_SM_E_clISE_PySF_SF_EESJ_SZ_SK_SL_SM_EUlSZ_E_NS1_11comp_targetILNS1_3genE0ELNS1_11target_archE4294967295ELNS1_3gpuE0ELNS1_3repE0EEENS1_48merge_mergepath_partition_config_static_selectorELNS0_4arch9wavefront6targetE1EEEvSL_,"axG",@progbits,_ZN7rocprim17ROCPRIM_400000_NS6detail17trampoline_kernelINS0_14default_configENS1_38merge_sort_block_merge_config_selectorIyNS0_10empty_typeEEEZZNS1_27merge_sort_block_merge_implIS3_N6thrust23THRUST_200600_302600_NS6detail15normal_iteratorINS9_10device_ptrIyEEEEPS5_jNS1_19radix_merge_compareILb0ELb1EyNS0_19identity_decomposerEEEEE10hipError_tT0_T1_T2_jT3_P12ihipStream_tbPNSt15iterator_traitsISK_E10value_typeEPNSQ_ISL_E10value_typeEPSM_NS1_7vsmem_tEENKUlT_SK_SL_SM_E_clISE_PySF_SF_EESJ_SZ_SK_SL_SM_EUlSZ_E_NS1_11comp_targetILNS1_3genE0ELNS1_11target_archE4294967295ELNS1_3gpuE0ELNS1_3repE0EEENS1_48merge_mergepath_partition_config_static_selectorELNS0_4arch9wavefront6targetE1EEEvSL_,comdat
	.protected	_ZN7rocprim17ROCPRIM_400000_NS6detail17trampoline_kernelINS0_14default_configENS1_38merge_sort_block_merge_config_selectorIyNS0_10empty_typeEEEZZNS1_27merge_sort_block_merge_implIS3_N6thrust23THRUST_200600_302600_NS6detail15normal_iteratorINS9_10device_ptrIyEEEEPS5_jNS1_19radix_merge_compareILb0ELb1EyNS0_19identity_decomposerEEEEE10hipError_tT0_T1_T2_jT3_P12ihipStream_tbPNSt15iterator_traitsISK_E10value_typeEPNSQ_ISL_E10value_typeEPSM_NS1_7vsmem_tEENKUlT_SK_SL_SM_E_clISE_PySF_SF_EESJ_SZ_SK_SL_SM_EUlSZ_E_NS1_11comp_targetILNS1_3genE0ELNS1_11target_archE4294967295ELNS1_3gpuE0ELNS1_3repE0EEENS1_48merge_mergepath_partition_config_static_selectorELNS0_4arch9wavefront6targetE1EEEvSL_ ; -- Begin function _ZN7rocprim17ROCPRIM_400000_NS6detail17trampoline_kernelINS0_14default_configENS1_38merge_sort_block_merge_config_selectorIyNS0_10empty_typeEEEZZNS1_27merge_sort_block_merge_implIS3_N6thrust23THRUST_200600_302600_NS6detail15normal_iteratorINS9_10device_ptrIyEEEEPS5_jNS1_19radix_merge_compareILb0ELb1EyNS0_19identity_decomposerEEEEE10hipError_tT0_T1_T2_jT3_P12ihipStream_tbPNSt15iterator_traitsISK_E10value_typeEPNSQ_ISL_E10value_typeEPSM_NS1_7vsmem_tEENKUlT_SK_SL_SM_E_clISE_PySF_SF_EESJ_SZ_SK_SL_SM_EUlSZ_E_NS1_11comp_targetILNS1_3genE0ELNS1_11target_archE4294967295ELNS1_3gpuE0ELNS1_3repE0EEENS1_48merge_mergepath_partition_config_static_selectorELNS0_4arch9wavefront6targetE1EEEvSL_
	.globl	_ZN7rocprim17ROCPRIM_400000_NS6detail17trampoline_kernelINS0_14default_configENS1_38merge_sort_block_merge_config_selectorIyNS0_10empty_typeEEEZZNS1_27merge_sort_block_merge_implIS3_N6thrust23THRUST_200600_302600_NS6detail15normal_iteratorINS9_10device_ptrIyEEEEPS5_jNS1_19radix_merge_compareILb0ELb1EyNS0_19identity_decomposerEEEEE10hipError_tT0_T1_T2_jT3_P12ihipStream_tbPNSt15iterator_traitsISK_E10value_typeEPNSQ_ISL_E10value_typeEPSM_NS1_7vsmem_tEENKUlT_SK_SL_SM_E_clISE_PySF_SF_EESJ_SZ_SK_SL_SM_EUlSZ_E_NS1_11comp_targetILNS1_3genE0ELNS1_11target_archE4294967295ELNS1_3gpuE0ELNS1_3repE0EEENS1_48merge_mergepath_partition_config_static_selectorELNS0_4arch9wavefront6targetE1EEEvSL_
	.p2align	8
	.type	_ZN7rocprim17ROCPRIM_400000_NS6detail17trampoline_kernelINS0_14default_configENS1_38merge_sort_block_merge_config_selectorIyNS0_10empty_typeEEEZZNS1_27merge_sort_block_merge_implIS3_N6thrust23THRUST_200600_302600_NS6detail15normal_iteratorINS9_10device_ptrIyEEEEPS5_jNS1_19radix_merge_compareILb0ELb1EyNS0_19identity_decomposerEEEEE10hipError_tT0_T1_T2_jT3_P12ihipStream_tbPNSt15iterator_traitsISK_E10value_typeEPNSQ_ISL_E10value_typeEPSM_NS1_7vsmem_tEENKUlT_SK_SL_SM_E_clISE_PySF_SF_EESJ_SZ_SK_SL_SM_EUlSZ_E_NS1_11comp_targetILNS1_3genE0ELNS1_11target_archE4294967295ELNS1_3gpuE0ELNS1_3repE0EEENS1_48merge_mergepath_partition_config_static_selectorELNS0_4arch9wavefront6targetE1EEEvSL_,@function
_ZN7rocprim17ROCPRIM_400000_NS6detail17trampoline_kernelINS0_14default_configENS1_38merge_sort_block_merge_config_selectorIyNS0_10empty_typeEEEZZNS1_27merge_sort_block_merge_implIS3_N6thrust23THRUST_200600_302600_NS6detail15normal_iteratorINS9_10device_ptrIyEEEEPS5_jNS1_19radix_merge_compareILb0ELb1EyNS0_19identity_decomposerEEEEE10hipError_tT0_T1_T2_jT3_P12ihipStream_tbPNSt15iterator_traitsISK_E10value_typeEPNSQ_ISL_E10value_typeEPSM_NS1_7vsmem_tEENKUlT_SK_SL_SM_E_clISE_PySF_SF_EESJ_SZ_SK_SL_SM_EUlSZ_E_NS1_11comp_targetILNS1_3genE0ELNS1_11target_archE4294967295ELNS1_3gpuE0ELNS1_3repE0EEENS1_48merge_mergepath_partition_config_static_selectorELNS0_4arch9wavefront6targetE1EEEvSL_: ; @_ZN7rocprim17ROCPRIM_400000_NS6detail17trampoline_kernelINS0_14default_configENS1_38merge_sort_block_merge_config_selectorIyNS0_10empty_typeEEEZZNS1_27merge_sort_block_merge_implIS3_N6thrust23THRUST_200600_302600_NS6detail15normal_iteratorINS9_10device_ptrIyEEEEPS5_jNS1_19radix_merge_compareILb0ELb1EyNS0_19identity_decomposerEEEEE10hipError_tT0_T1_T2_jT3_P12ihipStream_tbPNSt15iterator_traitsISK_E10value_typeEPNSQ_ISL_E10value_typeEPSM_NS1_7vsmem_tEENKUlT_SK_SL_SM_E_clISE_PySF_SF_EESJ_SZ_SK_SL_SM_EUlSZ_E_NS1_11comp_targetILNS1_3genE0ELNS1_11target_archE4294967295ELNS1_3gpuE0ELNS1_3repE0EEENS1_48merge_mergepath_partition_config_static_selectorELNS0_4arch9wavefront6targetE1EEEvSL_
; %bb.0:
	.section	.rodata,"a",@progbits
	.p2align	6, 0x0
	.amdhsa_kernel _ZN7rocprim17ROCPRIM_400000_NS6detail17trampoline_kernelINS0_14default_configENS1_38merge_sort_block_merge_config_selectorIyNS0_10empty_typeEEEZZNS1_27merge_sort_block_merge_implIS3_N6thrust23THRUST_200600_302600_NS6detail15normal_iteratorINS9_10device_ptrIyEEEEPS5_jNS1_19radix_merge_compareILb0ELb1EyNS0_19identity_decomposerEEEEE10hipError_tT0_T1_T2_jT3_P12ihipStream_tbPNSt15iterator_traitsISK_E10value_typeEPNSQ_ISL_E10value_typeEPSM_NS1_7vsmem_tEENKUlT_SK_SL_SM_E_clISE_PySF_SF_EESJ_SZ_SK_SL_SM_EUlSZ_E_NS1_11comp_targetILNS1_3genE0ELNS1_11target_archE4294967295ELNS1_3gpuE0ELNS1_3repE0EEENS1_48merge_mergepath_partition_config_static_selectorELNS0_4arch9wavefront6targetE1EEEvSL_
		.amdhsa_group_segment_fixed_size 0
		.amdhsa_private_segment_fixed_size 0
		.amdhsa_kernarg_size 40
		.amdhsa_user_sgpr_count 2
		.amdhsa_user_sgpr_dispatch_ptr 0
		.amdhsa_user_sgpr_queue_ptr 0
		.amdhsa_user_sgpr_kernarg_segment_ptr 1
		.amdhsa_user_sgpr_dispatch_id 0
		.amdhsa_user_sgpr_kernarg_preload_length 0
		.amdhsa_user_sgpr_kernarg_preload_offset 0
		.amdhsa_user_sgpr_private_segment_size 0
		.amdhsa_uses_dynamic_stack 0
		.amdhsa_enable_private_segment 0
		.amdhsa_system_sgpr_workgroup_id_x 1
		.amdhsa_system_sgpr_workgroup_id_y 0
		.amdhsa_system_sgpr_workgroup_id_z 0
		.amdhsa_system_sgpr_workgroup_info 0
		.amdhsa_system_vgpr_workitem_id 0
		.amdhsa_next_free_vgpr 1
		.amdhsa_next_free_sgpr 0
		.amdhsa_accum_offset 4
		.amdhsa_reserve_vcc 0
		.amdhsa_float_round_mode_32 0
		.amdhsa_float_round_mode_16_64 0
		.amdhsa_float_denorm_mode_32 3
		.amdhsa_float_denorm_mode_16_64 3
		.amdhsa_dx10_clamp 1
		.amdhsa_ieee_mode 1
		.amdhsa_fp16_overflow 0
		.amdhsa_tg_split 0
		.amdhsa_exception_fp_ieee_invalid_op 0
		.amdhsa_exception_fp_denorm_src 0
		.amdhsa_exception_fp_ieee_div_zero 0
		.amdhsa_exception_fp_ieee_overflow 0
		.amdhsa_exception_fp_ieee_underflow 0
		.amdhsa_exception_fp_ieee_inexact 0
		.amdhsa_exception_int_div_zero 0
	.end_amdhsa_kernel
	.section	.text._ZN7rocprim17ROCPRIM_400000_NS6detail17trampoline_kernelINS0_14default_configENS1_38merge_sort_block_merge_config_selectorIyNS0_10empty_typeEEEZZNS1_27merge_sort_block_merge_implIS3_N6thrust23THRUST_200600_302600_NS6detail15normal_iteratorINS9_10device_ptrIyEEEEPS5_jNS1_19radix_merge_compareILb0ELb1EyNS0_19identity_decomposerEEEEE10hipError_tT0_T1_T2_jT3_P12ihipStream_tbPNSt15iterator_traitsISK_E10value_typeEPNSQ_ISL_E10value_typeEPSM_NS1_7vsmem_tEENKUlT_SK_SL_SM_E_clISE_PySF_SF_EESJ_SZ_SK_SL_SM_EUlSZ_E_NS1_11comp_targetILNS1_3genE0ELNS1_11target_archE4294967295ELNS1_3gpuE0ELNS1_3repE0EEENS1_48merge_mergepath_partition_config_static_selectorELNS0_4arch9wavefront6targetE1EEEvSL_,"axG",@progbits,_ZN7rocprim17ROCPRIM_400000_NS6detail17trampoline_kernelINS0_14default_configENS1_38merge_sort_block_merge_config_selectorIyNS0_10empty_typeEEEZZNS1_27merge_sort_block_merge_implIS3_N6thrust23THRUST_200600_302600_NS6detail15normal_iteratorINS9_10device_ptrIyEEEEPS5_jNS1_19radix_merge_compareILb0ELb1EyNS0_19identity_decomposerEEEEE10hipError_tT0_T1_T2_jT3_P12ihipStream_tbPNSt15iterator_traitsISK_E10value_typeEPNSQ_ISL_E10value_typeEPSM_NS1_7vsmem_tEENKUlT_SK_SL_SM_E_clISE_PySF_SF_EESJ_SZ_SK_SL_SM_EUlSZ_E_NS1_11comp_targetILNS1_3genE0ELNS1_11target_archE4294967295ELNS1_3gpuE0ELNS1_3repE0EEENS1_48merge_mergepath_partition_config_static_selectorELNS0_4arch9wavefront6targetE1EEEvSL_,comdat
.Lfunc_end813:
	.size	_ZN7rocprim17ROCPRIM_400000_NS6detail17trampoline_kernelINS0_14default_configENS1_38merge_sort_block_merge_config_selectorIyNS0_10empty_typeEEEZZNS1_27merge_sort_block_merge_implIS3_N6thrust23THRUST_200600_302600_NS6detail15normal_iteratorINS9_10device_ptrIyEEEEPS5_jNS1_19radix_merge_compareILb0ELb1EyNS0_19identity_decomposerEEEEE10hipError_tT0_T1_T2_jT3_P12ihipStream_tbPNSt15iterator_traitsISK_E10value_typeEPNSQ_ISL_E10value_typeEPSM_NS1_7vsmem_tEENKUlT_SK_SL_SM_E_clISE_PySF_SF_EESJ_SZ_SK_SL_SM_EUlSZ_E_NS1_11comp_targetILNS1_3genE0ELNS1_11target_archE4294967295ELNS1_3gpuE0ELNS1_3repE0EEENS1_48merge_mergepath_partition_config_static_selectorELNS0_4arch9wavefront6targetE1EEEvSL_, .Lfunc_end813-_ZN7rocprim17ROCPRIM_400000_NS6detail17trampoline_kernelINS0_14default_configENS1_38merge_sort_block_merge_config_selectorIyNS0_10empty_typeEEEZZNS1_27merge_sort_block_merge_implIS3_N6thrust23THRUST_200600_302600_NS6detail15normal_iteratorINS9_10device_ptrIyEEEEPS5_jNS1_19radix_merge_compareILb0ELb1EyNS0_19identity_decomposerEEEEE10hipError_tT0_T1_T2_jT3_P12ihipStream_tbPNSt15iterator_traitsISK_E10value_typeEPNSQ_ISL_E10value_typeEPSM_NS1_7vsmem_tEENKUlT_SK_SL_SM_E_clISE_PySF_SF_EESJ_SZ_SK_SL_SM_EUlSZ_E_NS1_11comp_targetILNS1_3genE0ELNS1_11target_archE4294967295ELNS1_3gpuE0ELNS1_3repE0EEENS1_48merge_mergepath_partition_config_static_selectorELNS0_4arch9wavefront6targetE1EEEvSL_
                                        ; -- End function
	.section	.AMDGPU.csdata,"",@progbits
; Kernel info:
; codeLenInByte = 0
; NumSgprs: 6
; NumVgprs: 0
; NumAgprs: 0
; TotalNumVgprs: 0
; ScratchSize: 0
; MemoryBound: 0
; FloatMode: 240
; IeeeMode: 1
; LDSByteSize: 0 bytes/workgroup (compile time only)
; SGPRBlocks: 0
; VGPRBlocks: 0
; NumSGPRsForWavesPerEU: 6
; NumVGPRsForWavesPerEU: 1
; AccumOffset: 4
; Occupancy: 8
; WaveLimiterHint : 0
; COMPUTE_PGM_RSRC2:SCRATCH_EN: 0
; COMPUTE_PGM_RSRC2:USER_SGPR: 2
; COMPUTE_PGM_RSRC2:TRAP_HANDLER: 0
; COMPUTE_PGM_RSRC2:TGID_X_EN: 1
; COMPUTE_PGM_RSRC2:TGID_Y_EN: 0
; COMPUTE_PGM_RSRC2:TGID_Z_EN: 0
; COMPUTE_PGM_RSRC2:TIDIG_COMP_CNT: 0
; COMPUTE_PGM_RSRC3_GFX90A:ACCUM_OFFSET: 0
; COMPUTE_PGM_RSRC3_GFX90A:TG_SPLIT: 0
	.section	.text._ZN7rocprim17ROCPRIM_400000_NS6detail17trampoline_kernelINS0_14default_configENS1_38merge_sort_block_merge_config_selectorIyNS0_10empty_typeEEEZZNS1_27merge_sort_block_merge_implIS3_N6thrust23THRUST_200600_302600_NS6detail15normal_iteratorINS9_10device_ptrIyEEEEPS5_jNS1_19radix_merge_compareILb0ELb1EyNS0_19identity_decomposerEEEEE10hipError_tT0_T1_T2_jT3_P12ihipStream_tbPNSt15iterator_traitsISK_E10value_typeEPNSQ_ISL_E10value_typeEPSM_NS1_7vsmem_tEENKUlT_SK_SL_SM_E_clISE_PySF_SF_EESJ_SZ_SK_SL_SM_EUlSZ_E_NS1_11comp_targetILNS1_3genE10ELNS1_11target_archE1201ELNS1_3gpuE5ELNS1_3repE0EEENS1_48merge_mergepath_partition_config_static_selectorELNS0_4arch9wavefront6targetE1EEEvSL_,"axG",@progbits,_ZN7rocprim17ROCPRIM_400000_NS6detail17trampoline_kernelINS0_14default_configENS1_38merge_sort_block_merge_config_selectorIyNS0_10empty_typeEEEZZNS1_27merge_sort_block_merge_implIS3_N6thrust23THRUST_200600_302600_NS6detail15normal_iteratorINS9_10device_ptrIyEEEEPS5_jNS1_19radix_merge_compareILb0ELb1EyNS0_19identity_decomposerEEEEE10hipError_tT0_T1_T2_jT3_P12ihipStream_tbPNSt15iterator_traitsISK_E10value_typeEPNSQ_ISL_E10value_typeEPSM_NS1_7vsmem_tEENKUlT_SK_SL_SM_E_clISE_PySF_SF_EESJ_SZ_SK_SL_SM_EUlSZ_E_NS1_11comp_targetILNS1_3genE10ELNS1_11target_archE1201ELNS1_3gpuE5ELNS1_3repE0EEENS1_48merge_mergepath_partition_config_static_selectorELNS0_4arch9wavefront6targetE1EEEvSL_,comdat
	.protected	_ZN7rocprim17ROCPRIM_400000_NS6detail17trampoline_kernelINS0_14default_configENS1_38merge_sort_block_merge_config_selectorIyNS0_10empty_typeEEEZZNS1_27merge_sort_block_merge_implIS3_N6thrust23THRUST_200600_302600_NS6detail15normal_iteratorINS9_10device_ptrIyEEEEPS5_jNS1_19radix_merge_compareILb0ELb1EyNS0_19identity_decomposerEEEEE10hipError_tT0_T1_T2_jT3_P12ihipStream_tbPNSt15iterator_traitsISK_E10value_typeEPNSQ_ISL_E10value_typeEPSM_NS1_7vsmem_tEENKUlT_SK_SL_SM_E_clISE_PySF_SF_EESJ_SZ_SK_SL_SM_EUlSZ_E_NS1_11comp_targetILNS1_3genE10ELNS1_11target_archE1201ELNS1_3gpuE5ELNS1_3repE0EEENS1_48merge_mergepath_partition_config_static_selectorELNS0_4arch9wavefront6targetE1EEEvSL_ ; -- Begin function _ZN7rocprim17ROCPRIM_400000_NS6detail17trampoline_kernelINS0_14default_configENS1_38merge_sort_block_merge_config_selectorIyNS0_10empty_typeEEEZZNS1_27merge_sort_block_merge_implIS3_N6thrust23THRUST_200600_302600_NS6detail15normal_iteratorINS9_10device_ptrIyEEEEPS5_jNS1_19radix_merge_compareILb0ELb1EyNS0_19identity_decomposerEEEEE10hipError_tT0_T1_T2_jT3_P12ihipStream_tbPNSt15iterator_traitsISK_E10value_typeEPNSQ_ISL_E10value_typeEPSM_NS1_7vsmem_tEENKUlT_SK_SL_SM_E_clISE_PySF_SF_EESJ_SZ_SK_SL_SM_EUlSZ_E_NS1_11comp_targetILNS1_3genE10ELNS1_11target_archE1201ELNS1_3gpuE5ELNS1_3repE0EEENS1_48merge_mergepath_partition_config_static_selectorELNS0_4arch9wavefront6targetE1EEEvSL_
	.globl	_ZN7rocprim17ROCPRIM_400000_NS6detail17trampoline_kernelINS0_14default_configENS1_38merge_sort_block_merge_config_selectorIyNS0_10empty_typeEEEZZNS1_27merge_sort_block_merge_implIS3_N6thrust23THRUST_200600_302600_NS6detail15normal_iteratorINS9_10device_ptrIyEEEEPS5_jNS1_19radix_merge_compareILb0ELb1EyNS0_19identity_decomposerEEEEE10hipError_tT0_T1_T2_jT3_P12ihipStream_tbPNSt15iterator_traitsISK_E10value_typeEPNSQ_ISL_E10value_typeEPSM_NS1_7vsmem_tEENKUlT_SK_SL_SM_E_clISE_PySF_SF_EESJ_SZ_SK_SL_SM_EUlSZ_E_NS1_11comp_targetILNS1_3genE10ELNS1_11target_archE1201ELNS1_3gpuE5ELNS1_3repE0EEENS1_48merge_mergepath_partition_config_static_selectorELNS0_4arch9wavefront6targetE1EEEvSL_
	.p2align	8
	.type	_ZN7rocprim17ROCPRIM_400000_NS6detail17trampoline_kernelINS0_14default_configENS1_38merge_sort_block_merge_config_selectorIyNS0_10empty_typeEEEZZNS1_27merge_sort_block_merge_implIS3_N6thrust23THRUST_200600_302600_NS6detail15normal_iteratorINS9_10device_ptrIyEEEEPS5_jNS1_19radix_merge_compareILb0ELb1EyNS0_19identity_decomposerEEEEE10hipError_tT0_T1_T2_jT3_P12ihipStream_tbPNSt15iterator_traitsISK_E10value_typeEPNSQ_ISL_E10value_typeEPSM_NS1_7vsmem_tEENKUlT_SK_SL_SM_E_clISE_PySF_SF_EESJ_SZ_SK_SL_SM_EUlSZ_E_NS1_11comp_targetILNS1_3genE10ELNS1_11target_archE1201ELNS1_3gpuE5ELNS1_3repE0EEENS1_48merge_mergepath_partition_config_static_selectorELNS0_4arch9wavefront6targetE1EEEvSL_,@function
_ZN7rocprim17ROCPRIM_400000_NS6detail17trampoline_kernelINS0_14default_configENS1_38merge_sort_block_merge_config_selectorIyNS0_10empty_typeEEEZZNS1_27merge_sort_block_merge_implIS3_N6thrust23THRUST_200600_302600_NS6detail15normal_iteratorINS9_10device_ptrIyEEEEPS5_jNS1_19radix_merge_compareILb0ELb1EyNS0_19identity_decomposerEEEEE10hipError_tT0_T1_T2_jT3_P12ihipStream_tbPNSt15iterator_traitsISK_E10value_typeEPNSQ_ISL_E10value_typeEPSM_NS1_7vsmem_tEENKUlT_SK_SL_SM_E_clISE_PySF_SF_EESJ_SZ_SK_SL_SM_EUlSZ_E_NS1_11comp_targetILNS1_3genE10ELNS1_11target_archE1201ELNS1_3gpuE5ELNS1_3repE0EEENS1_48merge_mergepath_partition_config_static_selectorELNS0_4arch9wavefront6targetE1EEEvSL_: ; @_ZN7rocprim17ROCPRIM_400000_NS6detail17trampoline_kernelINS0_14default_configENS1_38merge_sort_block_merge_config_selectorIyNS0_10empty_typeEEEZZNS1_27merge_sort_block_merge_implIS3_N6thrust23THRUST_200600_302600_NS6detail15normal_iteratorINS9_10device_ptrIyEEEEPS5_jNS1_19radix_merge_compareILb0ELb1EyNS0_19identity_decomposerEEEEE10hipError_tT0_T1_T2_jT3_P12ihipStream_tbPNSt15iterator_traitsISK_E10value_typeEPNSQ_ISL_E10value_typeEPSM_NS1_7vsmem_tEENKUlT_SK_SL_SM_E_clISE_PySF_SF_EESJ_SZ_SK_SL_SM_EUlSZ_E_NS1_11comp_targetILNS1_3genE10ELNS1_11target_archE1201ELNS1_3gpuE5ELNS1_3repE0EEENS1_48merge_mergepath_partition_config_static_selectorELNS0_4arch9wavefront6targetE1EEEvSL_
; %bb.0:
	.section	.rodata,"a",@progbits
	.p2align	6, 0x0
	.amdhsa_kernel _ZN7rocprim17ROCPRIM_400000_NS6detail17trampoline_kernelINS0_14default_configENS1_38merge_sort_block_merge_config_selectorIyNS0_10empty_typeEEEZZNS1_27merge_sort_block_merge_implIS3_N6thrust23THRUST_200600_302600_NS6detail15normal_iteratorINS9_10device_ptrIyEEEEPS5_jNS1_19radix_merge_compareILb0ELb1EyNS0_19identity_decomposerEEEEE10hipError_tT0_T1_T2_jT3_P12ihipStream_tbPNSt15iterator_traitsISK_E10value_typeEPNSQ_ISL_E10value_typeEPSM_NS1_7vsmem_tEENKUlT_SK_SL_SM_E_clISE_PySF_SF_EESJ_SZ_SK_SL_SM_EUlSZ_E_NS1_11comp_targetILNS1_3genE10ELNS1_11target_archE1201ELNS1_3gpuE5ELNS1_3repE0EEENS1_48merge_mergepath_partition_config_static_selectorELNS0_4arch9wavefront6targetE1EEEvSL_
		.amdhsa_group_segment_fixed_size 0
		.amdhsa_private_segment_fixed_size 0
		.amdhsa_kernarg_size 40
		.amdhsa_user_sgpr_count 2
		.amdhsa_user_sgpr_dispatch_ptr 0
		.amdhsa_user_sgpr_queue_ptr 0
		.amdhsa_user_sgpr_kernarg_segment_ptr 1
		.amdhsa_user_sgpr_dispatch_id 0
		.amdhsa_user_sgpr_kernarg_preload_length 0
		.amdhsa_user_sgpr_kernarg_preload_offset 0
		.amdhsa_user_sgpr_private_segment_size 0
		.amdhsa_uses_dynamic_stack 0
		.amdhsa_enable_private_segment 0
		.amdhsa_system_sgpr_workgroup_id_x 1
		.amdhsa_system_sgpr_workgroup_id_y 0
		.amdhsa_system_sgpr_workgroup_id_z 0
		.amdhsa_system_sgpr_workgroup_info 0
		.amdhsa_system_vgpr_workitem_id 0
		.amdhsa_next_free_vgpr 1
		.amdhsa_next_free_sgpr 0
		.amdhsa_accum_offset 4
		.amdhsa_reserve_vcc 0
		.amdhsa_float_round_mode_32 0
		.amdhsa_float_round_mode_16_64 0
		.amdhsa_float_denorm_mode_32 3
		.amdhsa_float_denorm_mode_16_64 3
		.amdhsa_dx10_clamp 1
		.amdhsa_ieee_mode 1
		.amdhsa_fp16_overflow 0
		.amdhsa_tg_split 0
		.amdhsa_exception_fp_ieee_invalid_op 0
		.amdhsa_exception_fp_denorm_src 0
		.amdhsa_exception_fp_ieee_div_zero 0
		.amdhsa_exception_fp_ieee_overflow 0
		.amdhsa_exception_fp_ieee_underflow 0
		.amdhsa_exception_fp_ieee_inexact 0
		.amdhsa_exception_int_div_zero 0
	.end_amdhsa_kernel
	.section	.text._ZN7rocprim17ROCPRIM_400000_NS6detail17trampoline_kernelINS0_14default_configENS1_38merge_sort_block_merge_config_selectorIyNS0_10empty_typeEEEZZNS1_27merge_sort_block_merge_implIS3_N6thrust23THRUST_200600_302600_NS6detail15normal_iteratorINS9_10device_ptrIyEEEEPS5_jNS1_19radix_merge_compareILb0ELb1EyNS0_19identity_decomposerEEEEE10hipError_tT0_T1_T2_jT3_P12ihipStream_tbPNSt15iterator_traitsISK_E10value_typeEPNSQ_ISL_E10value_typeEPSM_NS1_7vsmem_tEENKUlT_SK_SL_SM_E_clISE_PySF_SF_EESJ_SZ_SK_SL_SM_EUlSZ_E_NS1_11comp_targetILNS1_3genE10ELNS1_11target_archE1201ELNS1_3gpuE5ELNS1_3repE0EEENS1_48merge_mergepath_partition_config_static_selectorELNS0_4arch9wavefront6targetE1EEEvSL_,"axG",@progbits,_ZN7rocprim17ROCPRIM_400000_NS6detail17trampoline_kernelINS0_14default_configENS1_38merge_sort_block_merge_config_selectorIyNS0_10empty_typeEEEZZNS1_27merge_sort_block_merge_implIS3_N6thrust23THRUST_200600_302600_NS6detail15normal_iteratorINS9_10device_ptrIyEEEEPS5_jNS1_19radix_merge_compareILb0ELb1EyNS0_19identity_decomposerEEEEE10hipError_tT0_T1_T2_jT3_P12ihipStream_tbPNSt15iterator_traitsISK_E10value_typeEPNSQ_ISL_E10value_typeEPSM_NS1_7vsmem_tEENKUlT_SK_SL_SM_E_clISE_PySF_SF_EESJ_SZ_SK_SL_SM_EUlSZ_E_NS1_11comp_targetILNS1_3genE10ELNS1_11target_archE1201ELNS1_3gpuE5ELNS1_3repE0EEENS1_48merge_mergepath_partition_config_static_selectorELNS0_4arch9wavefront6targetE1EEEvSL_,comdat
.Lfunc_end814:
	.size	_ZN7rocprim17ROCPRIM_400000_NS6detail17trampoline_kernelINS0_14default_configENS1_38merge_sort_block_merge_config_selectorIyNS0_10empty_typeEEEZZNS1_27merge_sort_block_merge_implIS3_N6thrust23THRUST_200600_302600_NS6detail15normal_iteratorINS9_10device_ptrIyEEEEPS5_jNS1_19radix_merge_compareILb0ELb1EyNS0_19identity_decomposerEEEEE10hipError_tT0_T1_T2_jT3_P12ihipStream_tbPNSt15iterator_traitsISK_E10value_typeEPNSQ_ISL_E10value_typeEPSM_NS1_7vsmem_tEENKUlT_SK_SL_SM_E_clISE_PySF_SF_EESJ_SZ_SK_SL_SM_EUlSZ_E_NS1_11comp_targetILNS1_3genE10ELNS1_11target_archE1201ELNS1_3gpuE5ELNS1_3repE0EEENS1_48merge_mergepath_partition_config_static_selectorELNS0_4arch9wavefront6targetE1EEEvSL_, .Lfunc_end814-_ZN7rocprim17ROCPRIM_400000_NS6detail17trampoline_kernelINS0_14default_configENS1_38merge_sort_block_merge_config_selectorIyNS0_10empty_typeEEEZZNS1_27merge_sort_block_merge_implIS3_N6thrust23THRUST_200600_302600_NS6detail15normal_iteratorINS9_10device_ptrIyEEEEPS5_jNS1_19radix_merge_compareILb0ELb1EyNS0_19identity_decomposerEEEEE10hipError_tT0_T1_T2_jT3_P12ihipStream_tbPNSt15iterator_traitsISK_E10value_typeEPNSQ_ISL_E10value_typeEPSM_NS1_7vsmem_tEENKUlT_SK_SL_SM_E_clISE_PySF_SF_EESJ_SZ_SK_SL_SM_EUlSZ_E_NS1_11comp_targetILNS1_3genE10ELNS1_11target_archE1201ELNS1_3gpuE5ELNS1_3repE0EEENS1_48merge_mergepath_partition_config_static_selectorELNS0_4arch9wavefront6targetE1EEEvSL_
                                        ; -- End function
	.section	.AMDGPU.csdata,"",@progbits
; Kernel info:
; codeLenInByte = 0
; NumSgprs: 6
; NumVgprs: 0
; NumAgprs: 0
; TotalNumVgprs: 0
; ScratchSize: 0
; MemoryBound: 0
; FloatMode: 240
; IeeeMode: 1
; LDSByteSize: 0 bytes/workgroup (compile time only)
; SGPRBlocks: 0
; VGPRBlocks: 0
; NumSGPRsForWavesPerEU: 6
; NumVGPRsForWavesPerEU: 1
; AccumOffset: 4
; Occupancy: 8
; WaveLimiterHint : 0
; COMPUTE_PGM_RSRC2:SCRATCH_EN: 0
; COMPUTE_PGM_RSRC2:USER_SGPR: 2
; COMPUTE_PGM_RSRC2:TRAP_HANDLER: 0
; COMPUTE_PGM_RSRC2:TGID_X_EN: 1
; COMPUTE_PGM_RSRC2:TGID_Y_EN: 0
; COMPUTE_PGM_RSRC2:TGID_Z_EN: 0
; COMPUTE_PGM_RSRC2:TIDIG_COMP_CNT: 0
; COMPUTE_PGM_RSRC3_GFX90A:ACCUM_OFFSET: 0
; COMPUTE_PGM_RSRC3_GFX90A:TG_SPLIT: 0
	.section	.text._ZN7rocprim17ROCPRIM_400000_NS6detail17trampoline_kernelINS0_14default_configENS1_38merge_sort_block_merge_config_selectorIyNS0_10empty_typeEEEZZNS1_27merge_sort_block_merge_implIS3_N6thrust23THRUST_200600_302600_NS6detail15normal_iteratorINS9_10device_ptrIyEEEEPS5_jNS1_19radix_merge_compareILb0ELb1EyNS0_19identity_decomposerEEEEE10hipError_tT0_T1_T2_jT3_P12ihipStream_tbPNSt15iterator_traitsISK_E10value_typeEPNSQ_ISL_E10value_typeEPSM_NS1_7vsmem_tEENKUlT_SK_SL_SM_E_clISE_PySF_SF_EESJ_SZ_SK_SL_SM_EUlSZ_E_NS1_11comp_targetILNS1_3genE5ELNS1_11target_archE942ELNS1_3gpuE9ELNS1_3repE0EEENS1_48merge_mergepath_partition_config_static_selectorELNS0_4arch9wavefront6targetE1EEEvSL_,"axG",@progbits,_ZN7rocprim17ROCPRIM_400000_NS6detail17trampoline_kernelINS0_14default_configENS1_38merge_sort_block_merge_config_selectorIyNS0_10empty_typeEEEZZNS1_27merge_sort_block_merge_implIS3_N6thrust23THRUST_200600_302600_NS6detail15normal_iteratorINS9_10device_ptrIyEEEEPS5_jNS1_19radix_merge_compareILb0ELb1EyNS0_19identity_decomposerEEEEE10hipError_tT0_T1_T2_jT3_P12ihipStream_tbPNSt15iterator_traitsISK_E10value_typeEPNSQ_ISL_E10value_typeEPSM_NS1_7vsmem_tEENKUlT_SK_SL_SM_E_clISE_PySF_SF_EESJ_SZ_SK_SL_SM_EUlSZ_E_NS1_11comp_targetILNS1_3genE5ELNS1_11target_archE942ELNS1_3gpuE9ELNS1_3repE0EEENS1_48merge_mergepath_partition_config_static_selectorELNS0_4arch9wavefront6targetE1EEEvSL_,comdat
	.protected	_ZN7rocprim17ROCPRIM_400000_NS6detail17trampoline_kernelINS0_14default_configENS1_38merge_sort_block_merge_config_selectorIyNS0_10empty_typeEEEZZNS1_27merge_sort_block_merge_implIS3_N6thrust23THRUST_200600_302600_NS6detail15normal_iteratorINS9_10device_ptrIyEEEEPS5_jNS1_19radix_merge_compareILb0ELb1EyNS0_19identity_decomposerEEEEE10hipError_tT0_T1_T2_jT3_P12ihipStream_tbPNSt15iterator_traitsISK_E10value_typeEPNSQ_ISL_E10value_typeEPSM_NS1_7vsmem_tEENKUlT_SK_SL_SM_E_clISE_PySF_SF_EESJ_SZ_SK_SL_SM_EUlSZ_E_NS1_11comp_targetILNS1_3genE5ELNS1_11target_archE942ELNS1_3gpuE9ELNS1_3repE0EEENS1_48merge_mergepath_partition_config_static_selectorELNS0_4arch9wavefront6targetE1EEEvSL_ ; -- Begin function _ZN7rocprim17ROCPRIM_400000_NS6detail17trampoline_kernelINS0_14default_configENS1_38merge_sort_block_merge_config_selectorIyNS0_10empty_typeEEEZZNS1_27merge_sort_block_merge_implIS3_N6thrust23THRUST_200600_302600_NS6detail15normal_iteratorINS9_10device_ptrIyEEEEPS5_jNS1_19radix_merge_compareILb0ELb1EyNS0_19identity_decomposerEEEEE10hipError_tT0_T1_T2_jT3_P12ihipStream_tbPNSt15iterator_traitsISK_E10value_typeEPNSQ_ISL_E10value_typeEPSM_NS1_7vsmem_tEENKUlT_SK_SL_SM_E_clISE_PySF_SF_EESJ_SZ_SK_SL_SM_EUlSZ_E_NS1_11comp_targetILNS1_3genE5ELNS1_11target_archE942ELNS1_3gpuE9ELNS1_3repE0EEENS1_48merge_mergepath_partition_config_static_selectorELNS0_4arch9wavefront6targetE1EEEvSL_
	.globl	_ZN7rocprim17ROCPRIM_400000_NS6detail17trampoline_kernelINS0_14default_configENS1_38merge_sort_block_merge_config_selectorIyNS0_10empty_typeEEEZZNS1_27merge_sort_block_merge_implIS3_N6thrust23THRUST_200600_302600_NS6detail15normal_iteratorINS9_10device_ptrIyEEEEPS5_jNS1_19radix_merge_compareILb0ELb1EyNS0_19identity_decomposerEEEEE10hipError_tT0_T1_T2_jT3_P12ihipStream_tbPNSt15iterator_traitsISK_E10value_typeEPNSQ_ISL_E10value_typeEPSM_NS1_7vsmem_tEENKUlT_SK_SL_SM_E_clISE_PySF_SF_EESJ_SZ_SK_SL_SM_EUlSZ_E_NS1_11comp_targetILNS1_3genE5ELNS1_11target_archE942ELNS1_3gpuE9ELNS1_3repE0EEENS1_48merge_mergepath_partition_config_static_selectorELNS0_4arch9wavefront6targetE1EEEvSL_
	.p2align	8
	.type	_ZN7rocprim17ROCPRIM_400000_NS6detail17trampoline_kernelINS0_14default_configENS1_38merge_sort_block_merge_config_selectorIyNS0_10empty_typeEEEZZNS1_27merge_sort_block_merge_implIS3_N6thrust23THRUST_200600_302600_NS6detail15normal_iteratorINS9_10device_ptrIyEEEEPS5_jNS1_19radix_merge_compareILb0ELb1EyNS0_19identity_decomposerEEEEE10hipError_tT0_T1_T2_jT3_P12ihipStream_tbPNSt15iterator_traitsISK_E10value_typeEPNSQ_ISL_E10value_typeEPSM_NS1_7vsmem_tEENKUlT_SK_SL_SM_E_clISE_PySF_SF_EESJ_SZ_SK_SL_SM_EUlSZ_E_NS1_11comp_targetILNS1_3genE5ELNS1_11target_archE942ELNS1_3gpuE9ELNS1_3repE0EEENS1_48merge_mergepath_partition_config_static_selectorELNS0_4arch9wavefront6targetE1EEEvSL_,@function
_ZN7rocprim17ROCPRIM_400000_NS6detail17trampoline_kernelINS0_14default_configENS1_38merge_sort_block_merge_config_selectorIyNS0_10empty_typeEEEZZNS1_27merge_sort_block_merge_implIS3_N6thrust23THRUST_200600_302600_NS6detail15normal_iteratorINS9_10device_ptrIyEEEEPS5_jNS1_19radix_merge_compareILb0ELb1EyNS0_19identity_decomposerEEEEE10hipError_tT0_T1_T2_jT3_P12ihipStream_tbPNSt15iterator_traitsISK_E10value_typeEPNSQ_ISL_E10value_typeEPSM_NS1_7vsmem_tEENKUlT_SK_SL_SM_E_clISE_PySF_SF_EESJ_SZ_SK_SL_SM_EUlSZ_E_NS1_11comp_targetILNS1_3genE5ELNS1_11target_archE942ELNS1_3gpuE9ELNS1_3repE0EEENS1_48merge_mergepath_partition_config_static_selectorELNS0_4arch9wavefront6targetE1EEEvSL_: ; @_ZN7rocprim17ROCPRIM_400000_NS6detail17trampoline_kernelINS0_14default_configENS1_38merge_sort_block_merge_config_selectorIyNS0_10empty_typeEEEZZNS1_27merge_sort_block_merge_implIS3_N6thrust23THRUST_200600_302600_NS6detail15normal_iteratorINS9_10device_ptrIyEEEEPS5_jNS1_19radix_merge_compareILb0ELb1EyNS0_19identity_decomposerEEEEE10hipError_tT0_T1_T2_jT3_P12ihipStream_tbPNSt15iterator_traitsISK_E10value_typeEPNSQ_ISL_E10value_typeEPSM_NS1_7vsmem_tEENKUlT_SK_SL_SM_E_clISE_PySF_SF_EESJ_SZ_SK_SL_SM_EUlSZ_E_NS1_11comp_targetILNS1_3genE5ELNS1_11target_archE942ELNS1_3gpuE9ELNS1_3repE0EEENS1_48merge_mergepath_partition_config_static_selectorELNS0_4arch9wavefront6targetE1EEEvSL_
; %bb.0:
	s_load_dword s3, s[0:1], 0x0
	v_lshl_or_b32 v0, s2, 7, v0
	s_waitcnt lgkmcnt(0)
	v_cmp_gt_u32_e32 vcc, s3, v0
	s_and_saveexec_b64 s[2:3], vcc
	s_cbranch_execz .LBB815_6
; %bb.1:
	s_load_dwordx2 s[2:3], s[0:1], 0x4
	s_load_dwordx4 s[4:7], s[0:1], 0x18
	s_waitcnt lgkmcnt(0)
	s_lshr_b32 s8, s2, 9
	s_and_b32 s8, s8, 0x7ffffe
	s_add_i32 s9, s8, -1
	s_sub_i32 s8, 0, s8
	v_and_b32_e32 v1, s8, v0
	v_lshlrev_b32_e32 v1, 10, v1
	v_min_u32_e32 v2, s3, v1
	v_add_u32_e32 v1, s2, v1
	v_min_u32_e32 v4, s3, v1
	v_add_u32_e32 v1, s2, v4
	v_and_b32_e32 v3, s9, v0
	v_min_u32_e32 v1, s3, v1
	v_sub_u32_e32 v5, v1, v2
	v_lshlrev_b32_e32 v3, 10, v3
	v_min_u32_e32 v10, v5, v3
	v_sub_u32_e32 v3, v4, v2
	v_sub_u32_e32 v1, v1, v4
	v_sub_u32_e64 v1, v10, v1 clamp
	v_min_u32_e32 v11, v10, v3
	v_cmp_lt_u32_e32 vcc, v1, v11
	s_and_saveexec_b64 s[2:3], vcc
	s_cbranch_execz .LBB815_5
; %bb.2:
	s_load_dwordx2 s[0:1], s[0:1], 0x10
	v_mov_b32_e32 v5, 0
	v_mov_b32_e32 v3, v5
	s_waitcnt lgkmcnt(0)
	v_lshl_add_u64 v[6:7], v[2:3], 3, s[0:1]
	v_lshl_add_u64 v[8:9], v[4:5], 3, s[0:1]
	s_mov_b64 s[0:1], 0
.LBB815_3:                              ; =>This Inner Loop Header: Depth=1
	v_add_u32_e32 v3, v11, v1
	v_lshrrev_b32_e32 v4, 1, v3
	v_mov_b32_e32 v13, v5
	v_xad_u32 v12, v4, -1, v10
	v_lshl_add_u64 v[14:15], v[4:5], 3, v[6:7]
	v_lshl_add_u64 v[12:13], v[12:13], 3, v[8:9]
	flat_load_dwordx2 v[14:15], v[14:15]
	v_add_u32_e32 v3, 1, v4
	flat_load_dwordx2 v[12:13], v[12:13]
	s_waitcnt vmcnt(0) lgkmcnt(0)
	v_and_b32_e32 v15, s5, v15
	v_and_b32_e32 v14, s4, v14
	;; [unrolled: 1-line block ×4, first 2 shown]
	v_cmp_gt_u64_e32 vcc, v[14:15], v[12:13]
	s_nop 1
	v_cndmask_b32_e32 v11, v11, v4, vcc
	v_cndmask_b32_e32 v1, v3, v1, vcc
	v_cmp_ge_u32_e32 vcc, v1, v11
	s_or_b64 s[0:1], vcc, s[0:1]
	s_andn2_b64 exec, exec, s[0:1]
	s_cbranch_execnz .LBB815_3
; %bb.4:
	s_or_b64 exec, exec, s[0:1]
.LBB815_5:
	s_or_b64 exec, exec, s[2:3]
	v_mov_b32_e32 v4, s6
	v_mov_b32_e32 v5, s7
	v_add_u32_e32 v2, v1, v2
	v_mov_b32_e32 v1, 0
	v_lshl_add_u64 v[0:1], v[0:1], 2, v[4:5]
	global_store_dword v[0:1], v2, off
.LBB815_6:
	s_endpgm
	.section	.rodata,"a",@progbits
	.p2align	6, 0x0
	.amdhsa_kernel _ZN7rocprim17ROCPRIM_400000_NS6detail17trampoline_kernelINS0_14default_configENS1_38merge_sort_block_merge_config_selectorIyNS0_10empty_typeEEEZZNS1_27merge_sort_block_merge_implIS3_N6thrust23THRUST_200600_302600_NS6detail15normal_iteratorINS9_10device_ptrIyEEEEPS5_jNS1_19radix_merge_compareILb0ELb1EyNS0_19identity_decomposerEEEEE10hipError_tT0_T1_T2_jT3_P12ihipStream_tbPNSt15iterator_traitsISK_E10value_typeEPNSQ_ISL_E10value_typeEPSM_NS1_7vsmem_tEENKUlT_SK_SL_SM_E_clISE_PySF_SF_EESJ_SZ_SK_SL_SM_EUlSZ_E_NS1_11comp_targetILNS1_3genE5ELNS1_11target_archE942ELNS1_3gpuE9ELNS1_3repE0EEENS1_48merge_mergepath_partition_config_static_selectorELNS0_4arch9wavefront6targetE1EEEvSL_
		.amdhsa_group_segment_fixed_size 0
		.amdhsa_private_segment_fixed_size 0
		.amdhsa_kernarg_size 40
		.amdhsa_user_sgpr_count 2
		.amdhsa_user_sgpr_dispatch_ptr 0
		.amdhsa_user_sgpr_queue_ptr 0
		.amdhsa_user_sgpr_kernarg_segment_ptr 1
		.amdhsa_user_sgpr_dispatch_id 0
		.amdhsa_user_sgpr_kernarg_preload_length 0
		.amdhsa_user_sgpr_kernarg_preload_offset 0
		.amdhsa_user_sgpr_private_segment_size 0
		.amdhsa_uses_dynamic_stack 0
		.amdhsa_enable_private_segment 0
		.amdhsa_system_sgpr_workgroup_id_x 1
		.amdhsa_system_sgpr_workgroup_id_y 0
		.amdhsa_system_sgpr_workgroup_id_z 0
		.amdhsa_system_sgpr_workgroup_info 0
		.amdhsa_system_vgpr_workitem_id 0
		.amdhsa_next_free_vgpr 16
		.amdhsa_next_free_sgpr 10
		.amdhsa_accum_offset 16
		.amdhsa_reserve_vcc 1
		.amdhsa_float_round_mode_32 0
		.amdhsa_float_round_mode_16_64 0
		.amdhsa_float_denorm_mode_32 3
		.amdhsa_float_denorm_mode_16_64 3
		.amdhsa_dx10_clamp 1
		.amdhsa_ieee_mode 1
		.amdhsa_fp16_overflow 0
		.amdhsa_tg_split 0
		.amdhsa_exception_fp_ieee_invalid_op 0
		.amdhsa_exception_fp_denorm_src 0
		.amdhsa_exception_fp_ieee_div_zero 0
		.amdhsa_exception_fp_ieee_overflow 0
		.amdhsa_exception_fp_ieee_underflow 0
		.amdhsa_exception_fp_ieee_inexact 0
		.amdhsa_exception_int_div_zero 0
	.end_amdhsa_kernel
	.section	.text._ZN7rocprim17ROCPRIM_400000_NS6detail17trampoline_kernelINS0_14default_configENS1_38merge_sort_block_merge_config_selectorIyNS0_10empty_typeEEEZZNS1_27merge_sort_block_merge_implIS3_N6thrust23THRUST_200600_302600_NS6detail15normal_iteratorINS9_10device_ptrIyEEEEPS5_jNS1_19radix_merge_compareILb0ELb1EyNS0_19identity_decomposerEEEEE10hipError_tT0_T1_T2_jT3_P12ihipStream_tbPNSt15iterator_traitsISK_E10value_typeEPNSQ_ISL_E10value_typeEPSM_NS1_7vsmem_tEENKUlT_SK_SL_SM_E_clISE_PySF_SF_EESJ_SZ_SK_SL_SM_EUlSZ_E_NS1_11comp_targetILNS1_3genE5ELNS1_11target_archE942ELNS1_3gpuE9ELNS1_3repE0EEENS1_48merge_mergepath_partition_config_static_selectorELNS0_4arch9wavefront6targetE1EEEvSL_,"axG",@progbits,_ZN7rocprim17ROCPRIM_400000_NS6detail17trampoline_kernelINS0_14default_configENS1_38merge_sort_block_merge_config_selectorIyNS0_10empty_typeEEEZZNS1_27merge_sort_block_merge_implIS3_N6thrust23THRUST_200600_302600_NS6detail15normal_iteratorINS9_10device_ptrIyEEEEPS5_jNS1_19radix_merge_compareILb0ELb1EyNS0_19identity_decomposerEEEEE10hipError_tT0_T1_T2_jT3_P12ihipStream_tbPNSt15iterator_traitsISK_E10value_typeEPNSQ_ISL_E10value_typeEPSM_NS1_7vsmem_tEENKUlT_SK_SL_SM_E_clISE_PySF_SF_EESJ_SZ_SK_SL_SM_EUlSZ_E_NS1_11comp_targetILNS1_3genE5ELNS1_11target_archE942ELNS1_3gpuE9ELNS1_3repE0EEENS1_48merge_mergepath_partition_config_static_selectorELNS0_4arch9wavefront6targetE1EEEvSL_,comdat
.Lfunc_end815:
	.size	_ZN7rocprim17ROCPRIM_400000_NS6detail17trampoline_kernelINS0_14default_configENS1_38merge_sort_block_merge_config_selectorIyNS0_10empty_typeEEEZZNS1_27merge_sort_block_merge_implIS3_N6thrust23THRUST_200600_302600_NS6detail15normal_iteratorINS9_10device_ptrIyEEEEPS5_jNS1_19radix_merge_compareILb0ELb1EyNS0_19identity_decomposerEEEEE10hipError_tT0_T1_T2_jT3_P12ihipStream_tbPNSt15iterator_traitsISK_E10value_typeEPNSQ_ISL_E10value_typeEPSM_NS1_7vsmem_tEENKUlT_SK_SL_SM_E_clISE_PySF_SF_EESJ_SZ_SK_SL_SM_EUlSZ_E_NS1_11comp_targetILNS1_3genE5ELNS1_11target_archE942ELNS1_3gpuE9ELNS1_3repE0EEENS1_48merge_mergepath_partition_config_static_selectorELNS0_4arch9wavefront6targetE1EEEvSL_, .Lfunc_end815-_ZN7rocprim17ROCPRIM_400000_NS6detail17trampoline_kernelINS0_14default_configENS1_38merge_sort_block_merge_config_selectorIyNS0_10empty_typeEEEZZNS1_27merge_sort_block_merge_implIS3_N6thrust23THRUST_200600_302600_NS6detail15normal_iteratorINS9_10device_ptrIyEEEEPS5_jNS1_19radix_merge_compareILb0ELb1EyNS0_19identity_decomposerEEEEE10hipError_tT0_T1_T2_jT3_P12ihipStream_tbPNSt15iterator_traitsISK_E10value_typeEPNSQ_ISL_E10value_typeEPSM_NS1_7vsmem_tEENKUlT_SK_SL_SM_E_clISE_PySF_SF_EESJ_SZ_SK_SL_SM_EUlSZ_E_NS1_11comp_targetILNS1_3genE5ELNS1_11target_archE942ELNS1_3gpuE9ELNS1_3repE0EEENS1_48merge_mergepath_partition_config_static_selectorELNS0_4arch9wavefront6targetE1EEEvSL_
                                        ; -- End function
	.section	.AMDGPU.csdata,"",@progbits
; Kernel info:
; codeLenInByte = 340
; NumSgprs: 16
; NumVgprs: 16
; NumAgprs: 0
; TotalNumVgprs: 16
; ScratchSize: 0
; MemoryBound: 0
; FloatMode: 240
; IeeeMode: 1
; LDSByteSize: 0 bytes/workgroup (compile time only)
; SGPRBlocks: 1
; VGPRBlocks: 1
; NumSGPRsForWavesPerEU: 16
; NumVGPRsForWavesPerEU: 16
; AccumOffset: 16
; Occupancy: 8
; WaveLimiterHint : 0
; COMPUTE_PGM_RSRC2:SCRATCH_EN: 0
; COMPUTE_PGM_RSRC2:USER_SGPR: 2
; COMPUTE_PGM_RSRC2:TRAP_HANDLER: 0
; COMPUTE_PGM_RSRC2:TGID_X_EN: 1
; COMPUTE_PGM_RSRC2:TGID_Y_EN: 0
; COMPUTE_PGM_RSRC2:TGID_Z_EN: 0
; COMPUTE_PGM_RSRC2:TIDIG_COMP_CNT: 0
; COMPUTE_PGM_RSRC3_GFX90A:ACCUM_OFFSET: 3
; COMPUTE_PGM_RSRC3_GFX90A:TG_SPLIT: 0
	.section	.text._ZN7rocprim17ROCPRIM_400000_NS6detail17trampoline_kernelINS0_14default_configENS1_38merge_sort_block_merge_config_selectorIyNS0_10empty_typeEEEZZNS1_27merge_sort_block_merge_implIS3_N6thrust23THRUST_200600_302600_NS6detail15normal_iteratorINS9_10device_ptrIyEEEEPS5_jNS1_19radix_merge_compareILb0ELb1EyNS0_19identity_decomposerEEEEE10hipError_tT0_T1_T2_jT3_P12ihipStream_tbPNSt15iterator_traitsISK_E10value_typeEPNSQ_ISL_E10value_typeEPSM_NS1_7vsmem_tEENKUlT_SK_SL_SM_E_clISE_PySF_SF_EESJ_SZ_SK_SL_SM_EUlSZ_E_NS1_11comp_targetILNS1_3genE4ELNS1_11target_archE910ELNS1_3gpuE8ELNS1_3repE0EEENS1_48merge_mergepath_partition_config_static_selectorELNS0_4arch9wavefront6targetE1EEEvSL_,"axG",@progbits,_ZN7rocprim17ROCPRIM_400000_NS6detail17trampoline_kernelINS0_14default_configENS1_38merge_sort_block_merge_config_selectorIyNS0_10empty_typeEEEZZNS1_27merge_sort_block_merge_implIS3_N6thrust23THRUST_200600_302600_NS6detail15normal_iteratorINS9_10device_ptrIyEEEEPS5_jNS1_19radix_merge_compareILb0ELb1EyNS0_19identity_decomposerEEEEE10hipError_tT0_T1_T2_jT3_P12ihipStream_tbPNSt15iterator_traitsISK_E10value_typeEPNSQ_ISL_E10value_typeEPSM_NS1_7vsmem_tEENKUlT_SK_SL_SM_E_clISE_PySF_SF_EESJ_SZ_SK_SL_SM_EUlSZ_E_NS1_11comp_targetILNS1_3genE4ELNS1_11target_archE910ELNS1_3gpuE8ELNS1_3repE0EEENS1_48merge_mergepath_partition_config_static_selectorELNS0_4arch9wavefront6targetE1EEEvSL_,comdat
	.protected	_ZN7rocprim17ROCPRIM_400000_NS6detail17trampoline_kernelINS0_14default_configENS1_38merge_sort_block_merge_config_selectorIyNS0_10empty_typeEEEZZNS1_27merge_sort_block_merge_implIS3_N6thrust23THRUST_200600_302600_NS6detail15normal_iteratorINS9_10device_ptrIyEEEEPS5_jNS1_19radix_merge_compareILb0ELb1EyNS0_19identity_decomposerEEEEE10hipError_tT0_T1_T2_jT3_P12ihipStream_tbPNSt15iterator_traitsISK_E10value_typeEPNSQ_ISL_E10value_typeEPSM_NS1_7vsmem_tEENKUlT_SK_SL_SM_E_clISE_PySF_SF_EESJ_SZ_SK_SL_SM_EUlSZ_E_NS1_11comp_targetILNS1_3genE4ELNS1_11target_archE910ELNS1_3gpuE8ELNS1_3repE0EEENS1_48merge_mergepath_partition_config_static_selectorELNS0_4arch9wavefront6targetE1EEEvSL_ ; -- Begin function _ZN7rocprim17ROCPRIM_400000_NS6detail17trampoline_kernelINS0_14default_configENS1_38merge_sort_block_merge_config_selectorIyNS0_10empty_typeEEEZZNS1_27merge_sort_block_merge_implIS3_N6thrust23THRUST_200600_302600_NS6detail15normal_iteratorINS9_10device_ptrIyEEEEPS5_jNS1_19radix_merge_compareILb0ELb1EyNS0_19identity_decomposerEEEEE10hipError_tT0_T1_T2_jT3_P12ihipStream_tbPNSt15iterator_traitsISK_E10value_typeEPNSQ_ISL_E10value_typeEPSM_NS1_7vsmem_tEENKUlT_SK_SL_SM_E_clISE_PySF_SF_EESJ_SZ_SK_SL_SM_EUlSZ_E_NS1_11comp_targetILNS1_3genE4ELNS1_11target_archE910ELNS1_3gpuE8ELNS1_3repE0EEENS1_48merge_mergepath_partition_config_static_selectorELNS0_4arch9wavefront6targetE1EEEvSL_
	.globl	_ZN7rocprim17ROCPRIM_400000_NS6detail17trampoline_kernelINS0_14default_configENS1_38merge_sort_block_merge_config_selectorIyNS0_10empty_typeEEEZZNS1_27merge_sort_block_merge_implIS3_N6thrust23THRUST_200600_302600_NS6detail15normal_iteratorINS9_10device_ptrIyEEEEPS5_jNS1_19radix_merge_compareILb0ELb1EyNS0_19identity_decomposerEEEEE10hipError_tT0_T1_T2_jT3_P12ihipStream_tbPNSt15iterator_traitsISK_E10value_typeEPNSQ_ISL_E10value_typeEPSM_NS1_7vsmem_tEENKUlT_SK_SL_SM_E_clISE_PySF_SF_EESJ_SZ_SK_SL_SM_EUlSZ_E_NS1_11comp_targetILNS1_3genE4ELNS1_11target_archE910ELNS1_3gpuE8ELNS1_3repE0EEENS1_48merge_mergepath_partition_config_static_selectorELNS0_4arch9wavefront6targetE1EEEvSL_
	.p2align	8
	.type	_ZN7rocprim17ROCPRIM_400000_NS6detail17trampoline_kernelINS0_14default_configENS1_38merge_sort_block_merge_config_selectorIyNS0_10empty_typeEEEZZNS1_27merge_sort_block_merge_implIS3_N6thrust23THRUST_200600_302600_NS6detail15normal_iteratorINS9_10device_ptrIyEEEEPS5_jNS1_19radix_merge_compareILb0ELb1EyNS0_19identity_decomposerEEEEE10hipError_tT0_T1_T2_jT3_P12ihipStream_tbPNSt15iterator_traitsISK_E10value_typeEPNSQ_ISL_E10value_typeEPSM_NS1_7vsmem_tEENKUlT_SK_SL_SM_E_clISE_PySF_SF_EESJ_SZ_SK_SL_SM_EUlSZ_E_NS1_11comp_targetILNS1_3genE4ELNS1_11target_archE910ELNS1_3gpuE8ELNS1_3repE0EEENS1_48merge_mergepath_partition_config_static_selectorELNS0_4arch9wavefront6targetE1EEEvSL_,@function
_ZN7rocprim17ROCPRIM_400000_NS6detail17trampoline_kernelINS0_14default_configENS1_38merge_sort_block_merge_config_selectorIyNS0_10empty_typeEEEZZNS1_27merge_sort_block_merge_implIS3_N6thrust23THRUST_200600_302600_NS6detail15normal_iteratorINS9_10device_ptrIyEEEEPS5_jNS1_19radix_merge_compareILb0ELb1EyNS0_19identity_decomposerEEEEE10hipError_tT0_T1_T2_jT3_P12ihipStream_tbPNSt15iterator_traitsISK_E10value_typeEPNSQ_ISL_E10value_typeEPSM_NS1_7vsmem_tEENKUlT_SK_SL_SM_E_clISE_PySF_SF_EESJ_SZ_SK_SL_SM_EUlSZ_E_NS1_11comp_targetILNS1_3genE4ELNS1_11target_archE910ELNS1_3gpuE8ELNS1_3repE0EEENS1_48merge_mergepath_partition_config_static_selectorELNS0_4arch9wavefront6targetE1EEEvSL_: ; @_ZN7rocprim17ROCPRIM_400000_NS6detail17trampoline_kernelINS0_14default_configENS1_38merge_sort_block_merge_config_selectorIyNS0_10empty_typeEEEZZNS1_27merge_sort_block_merge_implIS3_N6thrust23THRUST_200600_302600_NS6detail15normal_iteratorINS9_10device_ptrIyEEEEPS5_jNS1_19radix_merge_compareILb0ELb1EyNS0_19identity_decomposerEEEEE10hipError_tT0_T1_T2_jT3_P12ihipStream_tbPNSt15iterator_traitsISK_E10value_typeEPNSQ_ISL_E10value_typeEPSM_NS1_7vsmem_tEENKUlT_SK_SL_SM_E_clISE_PySF_SF_EESJ_SZ_SK_SL_SM_EUlSZ_E_NS1_11comp_targetILNS1_3genE4ELNS1_11target_archE910ELNS1_3gpuE8ELNS1_3repE0EEENS1_48merge_mergepath_partition_config_static_selectorELNS0_4arch9wavefront6targetE1EEEvSL_
; %bb.0:
	.section	.rodata,"a",@progbits
	.p2align	6, 0x0
	.amdhsa_kernel _ZN7rocprim17ROCPRIM_400000_NS6detail17trampoline_kernelINS0_14default_configENS1_38merge_sort_block_merge_config_selectorIyNS0_10empty_typeEEEZZNS1_27merge_sort_block_merge_implIS3_N6thrust23THRUST_200600_302600_NS6detail15normal_iteratorINS9_10device_ptrIyEEEEPS5_jNS1_19radix_merge_compareILb0ELb1EyNS0_19identity_decomposerEEEEE10hipError_tT0_T1_T2_jT3_P12ihipStream_tbPNSt15iterator_traitsISK_E10value_typeEPNSQ_ISL_E10value_typeEPSM_NS1_7vsmem_tEENKUlT_SK_SL_SM_E_clISE_PySF_SF_EESJ_SZ_SK_SL_SM_EUlSZ_E_NS1_11comp_targetILNS1_3genE4ELNS1_11target_archE910ELNS1_3gpuE8ELNS1_3repE0EEENS1_48merge_mergepath_partition_config_static_selectorELNS0_4arch9wavefront6targetE1EEEvSL_
		.amdhsa_group_segment_fixed_size 0
		.amdhsa_private_segment_fixed_size 0
		.amdhsa_kernarg_size 40
		.amdhsa_user_sgpr_count 2
		.amdhsa_user_sgpr_dispatch_ptr 0
		.amdhsa_user_sgpr_queue_ptr 0
		.amdhsa_user_sgpr_kernarg_segment_ptr 1
		.amdhsa_user_sgpr_dispatch_id 0
		.amdhsa_user_sgpr_kernarg_preload_length 0
		.amdhsa_user_sgpr_kernarg_preload_offset 0
		.amdhsa_user_sgpr_private_segment_size 0
		.amdhsa_uses_dynamic_stack 0
		.amdhsa_enable_private_segment 0
		.amdhsa_system_sgpr_workgroup_id_x 1
		.amdhsa_system_sgpr_workgroup_id_y 0
		.amdhsa_system_sgpr_workgroup_id_z 0
		.amdhsa_system_sgpr_workgroup_info 0
		.amdhsa_system_vgpr_workitem_id 0
		.amdhsa_next_free_vgpr 1
		.amdhsa_next_free_sgpr 0
		.amdhsa_accum_offset 4
		.amdhsa_reserve_vcc 0
		.amdhsa_float_round_mode_32 0
		.amdhsa_float_round_mode_16_64 0
		.amdhsa_float_denorm_mode_32 3
		.amdhsa_float_denorm_mode_16_64 3
		.amdhsa_dx10_clamp 1
		.amdhsa_ieee_mode 1
		.amdhsa_fp16_overflow 0
		.amdhsa_tg_split 0
		.amdhsa_exception_fp_ieee_invalid_op 0
		.amdhsa_exception_fp_denorm_src 0
		.amdhsa_exception_fp_ieee_div_zero 0
		.amdhsa_exception_fp_ieee_overflow 0
		.amdhsa_exception_fp_ieee_underflow 0
		.amdhsa_exception_fp_ieee_inexact 0
		.amdhsa_exception_int_div_zero 0
	.end_amdhsa_kernel
	.section	.text._ZN7rocprim17ROCPRIM_400000_NS6detail17trampoline_kernelINS0_14default_configENS1_38merge_sort_block_merge_config_selectorIyNS0_10empty_typeEEEZZNS1_27merge_sort_block_merge_implIS3_N6thrust23THRUST_200600_302600_NS6detail15normal_iteratorINS9_10device_ptrIyEEEEPS5_jNS1_19radix_merge_compareILb0ELb1EyNS0_19identity_decomposerEEEEE10hipError_tT0_T1_T2_jT3_P12ihipStream_tbPNSt15iterator_traitsISK_E10value_typeEPNSQ_ISL_E10value_typeEPSM_NS1_7vsmem_tEENKUlT_SK_SL_SM_E_clISE_PySF_SF_EESJ_SZ_SK_SL_SM_EUlSZ_E_NS1_11comp_targetILNS1_3genE4ELNS1_11target_archE910ELNS1_3gpuE8ELNS1_3repE0EEENS1_48merge_mergepath_partition_config_static_selectorELNS0_4arch9wavefront6targetE1EEEvSL_,"axG",@progbits,_ZN7rocprim17ROCPRIM_400000_NS6detail17trampoline_kernelINS0_14default_configENS1_38merge_sort_block_merge_config_selectorIyNS0_10empty_typeEEEZZNS1_27merge_sort_block_merge_implIS3_N6thrust23THRUST_200600_302600_NS6detail15normal_iteratorINS9_10device_ptrIyEEEEPS5_jNS1_19radix_merge_compareILb0ELb1EyNS0_19identity_decomposerEEEEE10hipError_tT0_T1_T2_jT3_P12ihipStream_tbPNSt15iterator_traitsISK_E10value_typeEPNSQ_ISL_E10value_typeEPSM_NS1_7vsmem_tEENKUlT_SK_SL_SM_E_clISE_PySF_SF_EESJ_SZ_SK_SL_SM_EUlSZ_E_NS1_11comp_targetILNS1_3genE4ELNS1_11target_archE910ELNS1_3gpuE8ELNS1_3repE0EEENS1_48merge_mergepath_partition_config_static_selectorELNS0_4arch9wavefront6targetE1EEEvSL_,comdat
.Lfunc_end816:
	.size	_ZN7rocprim17ROCPRIM_400000_NS6detail17trampoline_kernelINS0_14default_configENS1_38merge_sort_block_merge_config_selectorIyNS0_10empty_typeEEEZZNS1_27merge_sort_block_merge_implIS3_N6thrust23THRUST_200600_302600_NS6detail15normal_iteratorINS9_10device_ptrIyEEEEPS5_jNS1_19radix_merge_compareILb0ELb1EyNS0_19identity_decomposerEEEEE10hipError_tT0_T1_T2_jT3_P12ihipStream_tbPNSt15iterator_traitsISK_E10value_typeEPNSQ_ISL_E10value_typeEPSM_NS1_7vsmem_tEENKUlT_SK_SL_SM_E_clISE_PySF_SF_EESJ_SZ_SK_SL_SM_EUlSZ_E_NS1_11comp_targetILNS1_3genE4ELNS1_11target_archE910ELNS1_3gpuE8ELNS1_3repE0EEENS1_48merge_mergepath_partition_config_static_selectorELNS0_4arch9wavefront6targetE1EEEvSL_, .Lfunc_end816-_ZN7rocprim17ROCPRIM_400000_NS6detail17trampoline_kernelINS0_14default_configENS1_38merge_sort_block_merge_config_selectorIyNS0_10empty_typeEEEZZNS1_27merge_sort_block_merge_implIS3_N6thrust23THRUST_200600_302600_NS6detail15normal_iteratorINS9_10device_ptrIyEEEEPS5_jNS1_19radix_merge_compareILb0ELb1EyNS0_19identity_decomposerEEEEE10hipError_tT0_T1_T2_jT3_P12ihipStream_tbPNSt15iterator_traitsISK_E10value_typeEPNSQ_ISL_E10value_typeEPSM_NS1_7vsmem_tEENKUlT_SK_SL_SM_E_clISE_PySF_SF_EESJ_SZ_SK_SL_SM_EUlSZ_E_NS1_11comp_targetILNS1_3genE4ELNS1_11target_archE910ELNS1_3gpuE8ELNS1_3repE0EEENS1_48merge_mergepath_partition_config_static_selectorELNS0_4arch9wavefront6targetE1EEEvSL_
                                        ; -- End function
	.section	.AMDGPU.csdata,"",@progbits
; Kernel info:
; codeLenInByte = 0
; NumSgprs: 6
; NumVgprs: 0
; NumAgprs: 0
; TotalNumVgprs: 0
; ScratchSize: 0
; MemoryBound: 0
; FloatMode: 240
; IeeeMode: 1
; LDSByteSize: 0 bytes/workgroup (compile time only)
; SGPRBlocks: 0
; VGPRBlocks: 0
; NumSGPRsForWavesPerEU: 6
; NumVGPRsForWavesPerEU: 1
; AccumOffset: 4
; Occupancy: 8
; WaveLimiterHint : 0
; COMPUTE_PGM_RSRC2:SCRATCH_EN: 0
; COMPUTE_PGM_RSRC2:USER_SGPR: 2
; COMPUTE_PGM_RSRC2:TRAP_HANDLER: 0
; COMPUTE_PGM_RSRC2:TGID_X_EN: 1
; COMPUTE_PGM_RSRC2:TGID_Y_EN: 0
; COMPUTE_PGM_RSRC2:TGID_Z_EN: 0
; COMPUTE_PGM_RSRC2:TIDIG_COMP_CNT: 0
; COMPUTE_PGM_RSRC3_GFX90A:ACCUM_OFFSET: 0
; COMPUTE_PGM_RSRC3_GFX90A:TG_SPLIT: 0
	.section	.text._ZN7rocprim17ROCPRIM_400000_NS6detail17trampoline_kernelINS0_14default_configENS1_38merge_sort_block_merge_config_selectorIyNS0_10empty_typeEEEZZNS1_27merge_sort_block_merge_implIS3_N6thrust23THRUST_200600_302600_NS6detail15normal_iteratorINS9_10device_ptrIyEEEEPS5_jNS1_19radix_merge_compareILb0ELb1EyNS0_19identity_decomposerEEEEE10hipError_tT0_T1_T2_jT3_P12ihipStream_tbPNSt15iterator_traitsISK_E10value_typeEPNSQ_ISL_E10value_typeEPSM_NS1_7vsmem_tEENKUlT_SK_SL_SM_E_clISE_PySF_SF_EESJ_SZ_SK_SL_SM_EUlSZ_E_NS1_11comp_targetILNS1_3genE3ELNS1_11target_archE908ELNS1_3gpuE7ELNS1_3repE0EEENS1_48merge_mergepath_partition_config_static_selectorELNS0_4arch9wavefront6targetE1EEEvSL_,"axG",@progbits,_ZN7rocprim17ROCPRIM_400000_NS6detail17trampoline_kernelINS0_14default_configENS1_38merge_sort_block_merge_config_selectorIyNS0_10empty_typeEEEZZNS1_27merge_sort_block_merge_implIS3_N6thrust23THRUST_200600_302600_NS6detail15normal_iteratorINS9_10device_ptrIyEEEEPS5_jNS1_19radix_merge_compareILb0ELb1EyNS0_19identity_decomposerEEEEE10hipError_tT0_T1_T2_jT3_P12ihipStream_tbPNSt15iterator_traitsISK_E10value_typeEPNSQ_ISL_E10value_typeEPSM_NS1_7vsmem_tEENKUlT_SK_SL_SM_E_clISE_PySF_SF_EESJ_SZ_SK_SL_SM_EUlSZ_E_NS1_11comp_targetILNS1_3genE3ELNS1_11target_archE908ELNS1_3gpuE7ELNS1_3repE0EEENS1_48merge_mergepath_partition_config_static_selectorELNS0_4arch9wavefront6targetE1EEEvSL_,comdat
	.protected	_ZN7rocprim17ROCPRIM_400000_NS6detail17trampoline_kernelINS0_14default_configENS1_38merge_sort_block_merge_config_selectorIyNS0_10empty_typeEEEZZNS1_27merge_sort_block_merge_implIS3_N6thrust23THRUST_200600_302600_NS6detail15normal_iteratorINS9_10device_ptrIyEEEEPS5_jNS1_19radix_merge_compareILb0ELb1EyNS0_19identity_decomposerEEEEE10hipError_tT0_T1_T2_jT3_P12ihipStream_tbPNSt15iterator_traitsISK_E10value_typeEPNSQ_ISL_E10value_typeEPSM_NS1_7vsmem_tEENKUlT_SK_SL_SM_E_clISE_PySF_SF_EESJ_SZ_SK_SL_SM_EUlSZ_E_NS1_11comp_targetILNS1_3genE3ELNS1_11target_archE908ELNS1_3gpuE7ELNS1_3repE0EEENS1_48merge_mergepath_partition_config_static_selectorELNS0_4arch9wavefront6targetE1EEEvSL_ ; -- Begin function _ZN7rocprim17ROCPRIM_400000_NS6detail17trampoline_kernelINS0_14default_configENS1_38merge_sort_block_merge_config_selectorIyNS0_10empty_typeEEEZZNS1_27merge_sort_block_merge_implIS3_N6thrust23THRUST_200600_302600_NS6detail15normal_iteratorINS9_10device_ptrIyEEEEPS5_jNS1_19radix_merge_compareILb0ELb1EyNS0_19identity_decomposerEEEEE10hipError_tT0_T1_T2_jT3_P12ihipStream_tbPNSt15iterator_traitsISK_E10value_typeEPNSQ_ISL_E10value_typeEPSM_NS1_7vsmem_tEENKUlT_SK_SL_SM_E_clISE_PySF_SF_EESJ_SZ_SK_SL_SM_EUlSZ_E_NS1_11comp_targetILNS1_3genE3ELNS1_11target_archE908ELNS1_3gpuE7ELNS1_3repE0EEENS1_48merge_mergepath_partition_config_static_selectorELNS0_4arch9wavefront6targetE1EEEvSL_
	.globl	_ZN7rocprim17ROCPRIM_400000_NS6detail17trampoline_kernelINS0_14default_configENS1_38merge_sort_block_merge_config_selectorIyNS0_10empty_typeEEEZZNS1_27merge_sort_block_merge_implIS3_N6thrust23THRUST_200600_302600_NS6detail15normal_iteratorINS9_10device_ptrIyEEEEPS5_jNS1_19radix_merge_compareILb0ELb1EyNS0_19identity_decomposerEEEEE10hipError_tT0_T1_T2_jT3_P12ihipStream_tbPNSt15iterator_traitsISK_E10value_typeEPNSQ_ISL_E10value_typeEPSM_NS1_7vsmem_tEENKUlT_SK_SL_SM_E_clISE_PySF_SF_EESJ_SZ_SK_SL_SM_EUlSZ_E_NS1_11comp_targetILNS1_3genE3ELNS1_11target_archE908ELNS1_3gpuE7ELNS1_3repE0EEENS1_48merge_mergepath_partition_config_static_selectorELNS0_4arch9wavefront6targetE1EEEvSL_
	.p2align	8
	.type	_ZN7rocprim17ROCPRIM_400000_NS6detail17trampoline_kernelINS0_14default_configENS1_38merge_sort_block_merge_config_selectorIyNS0_10empty_typeEEEZZNS1_27merge_sort_block_merge_implIS3_N6thrust23THRUST_200600_302600_NS6detail15normal_iteratorINS9_10device_ptrIyEEEEPS5_jNS1_19radix_merge_compareILb0ELb1EyNS0_19identity_decomposerEEEEE10hipError_tT0_T1_T2_jT3_P12ihipStream_tbPNSt15iterator_traitsISK_E10value_typeEPNSQ_ISL_E10value_typeEPSM_NS1_7vsmem_tEENKUlT_SK_SL_SM_E_clISE_PySF_SF_EESJ_SZ_SK_SL_SM_EUlSZ_E_NS1_11comp_targetILNS1_3genE3ELNS1_11target_archE908ELNS1_3gpuE7ELNS1_3repE0EEENS1_48merge_mergepath_partition_config_static_selectorELNS0_4arch9wavefront6targetE1EEEvSL_,@function
_ZN7rocprim17ROCPRIM_400000_NS6detail17trampoline_kernelINS0_14default_configENS1_38merge_sort_block_merge_config_selectorIyNS0_10empty_typeEEEZZNS1_27merge_sort_block_merge_implIS3_N6thrust23THRUST_200600_302600_NS6detail15normal_iteratorINS9_10device_ptrIyEEEEPS5_jNS1_19radix_merge_compareILb0ELb1EyNS0_19identity_decomposerEEEEE10hipError_tT0_T1_T2_jT3_P12ihipStream_tbPNSt15iterator_traitsISK_E10value_typeEPNSQ_ISL_E10value_typeEPSM_NS1_7vsmem_tEENKUlT_SK_SL_SM_E_clISE_PySF_SF_EESJ_SZ_SK_SL_SM_EUlSZ_E_NS1_11comp_targetILNS1_3genE3ELNS1_11target_archE908ELNS1_3gpuE7ELNS1_3repE0EEENS1_48merge_mergepath_partition_config_static_selectorELNS0_4arch9wavefront6targetE1EEEvSL_: ; @_ZN7rocprim17ROCPRIM_400000_NS6detail17trampoline_kernelINS0_14default_configENS1_38merge_sort_block_merge_config_selectorIyNS0_10empty_typeEEEZZNS1_27merge_sort_block_merge_implIS3_N6thrust23THRUST_200600_302600_NS6detail15normal_iteratorINS9_10device_ptrIyEEEEPS5_jNS1_19radix_merge_compareILb0ELb1EyNS0_19identity_decomposerEEEEE10hipError_tT0_T1_T2_jT3_P12ihipStream_tbPNSt15iterator_traitsISK_E10value_typeEPNSQ_ISL_E10value_typeEPSM_NS1_7vsmem_tEENKUlT_SK_SL_SM_E_clISE_PySF_SF_EESJ_SZ_SK_SL_SM_EUlSZ_E_NS1_11comp_targetILNS1_3genE3ELNS1_11target_archE908ELNS1_3gpuE7ELNS1_3repE0EEENS1_48merge_mergepath_partition_config_static_selectorELNS0_4arch9wavefront6targetE1EEEvSL_
; %bb.0:
	.section	.rodata,"a",@progbits
	.p2align	6, 0x0
	.amdhsa_kernel _ZN7rocprim17ROCPRIM_400000_NS6detail17trampoline_kernelINS0_14default_configENS1_38merge_sort_block_merge_config_selectorIyNS0_10empty_typeEEEZZNS1_27merge_sort_block_merge_implIS3_N6thrust23THRUST_200600_302600_NS6detail15normal_iteratorINS9_10device_ptrIyEEEEPS5_jNS1_19radix_merge_compareILb0ELb1EyNS0_19identity_decomposerEEEEE10hipError_tT0_T1_T2_jT3_P12ihipStream_tbPNSt15iterator_traitsISK_E10value_typeEPNSQ_ISL_E10value_typeEPSM_NS1_7vsmem_tEENKUlT_SK_SL_SM_E_clISE_PySF_SF_EESJ_SZ_SK_SL_SM_EUlSZ_E_NS1_11comp_targetILNS1_3genE3ELNS1_11target_archE908ELNS1_3gpuE7ELNS1_3repE0EEENS1_48merge_mergepath_partition_config_static_selectorELNS0_4arch9wavefront6targetE1EEEvSL_
		.amdhsa_group_segment_fixed_size 0
		.amdhsa_private_segment_fixed_size 0
		.amdhsa_kernarg_size 40
		.amdhsa_user_sgpr_count 2
		.amdhsa_user_sgpr_dispatch_ptr 0
		.amdhsa_user_sgpr_queue_ptr 0
		.amdhsa_user_sgpr_kernarg_segment_ptr 1
		.amdhsa_user_sgpr_dispatch_id 0
		.amdhsa_user_sgpr_kernarg_preload_length 0
		.amdhsa_user_sgpr_kernarg_preload_offset 0
		.amdhsa_user_sgpr_private_segment_size 0
		.amdhsa_uses_dynamic_stack 0
		.amdhsa_enable_private_segment 0
		.amdhsa_system_sgpr_workgroup_id_x 1
		.amdhsa_system_sgpr_workgroup_id_y 0
		.amdhsa_system_sgpr_workgroup_id_z 0
		.amdhsa_system_sgpr_workgroup_info 0
		.amdhsa_system_vgpr_workitem_id 0
		.amdhsa_next_free_vgpr 1
		.amdhsa_next_free_sgpr 0
		.amdhsa_accum_offset 4
		.amdhsa_reserve_vcc 0
		.amdhsa_float_round_mode_32 0
		.amdhsa_float_round_mode_16_64 0
		.amdhsa_float_denorm_mode_32 3
		.amdhsa_float_denorm_mode_16_64 3
		.amdhsa_dx10_clamp 1
		.amdhsa_ieee_mode 1
		.amdhsa_fp16_overflow 0
		.amdhsa_tg_split 0
		.amdhsa_exception_fp_ieee_invalid_op 0
		.amdhsa_exception_fp_denorm_src 0
		.amdhsa_exception_fp_ieee_div_zero 0
		.amdhsa_exception_fp_ieee_overflow 0
		.amdhsa_exception_fp_ieee_underflow 0
		.amdhsa_exception_fp_ieee_inexact 0
		.amdhsa_exception_int_div_zero 0
	.end_amdhsa_kernel
	.section	.text._ZN7rocprim17ROCPRIM_400000_NS6detail17trampoline_kernelINS0_14default_configENS1_38merge_sort_block_merge_config_selectorIyNS0_10empty_typeEEEZZNS1_27merge_sort_block_merge_implIS3_N6thrust23THRUST_200600_302600_NS6detail15normal_iteratorINS9_10device_ptrIyEEEEPS5_jNS1_19radix_merge_compareILb0ELb1EyNS0_19identity_decomposerEEEEE10hipError_tT0_T1_T2_jT3_P12ihipStream_tbPNSt15iterator_traitsISK_E10value_typeEPNSQ_ISL_E10value_typeEPSM_NS1_7vsmem_tEENKUlT_SK_SL_SM_E_clISE_PySF_SF_EESJ_SZ_SK_SL_SM_EUlSZ_E_NS1_11comp_targetILNS1_3genE3ELNS1_11target_archE908ELNS1_3gpuE7ELNS1_3repE0EEENS1_48merge_mergepath_partition_config_static_selectorELNS0_4arch9wavefront6targetE1EEEvSL_,"axG",@progbits,_ZN7rocprim17ROCPRIM_400000_NS6detail17trampoline_kernelINS0_14default_configENS1_38merge_sort_block_merge_config_selectorIyNS0_10empty_typeEEEZZNS1_27merge_sort_block_merge_implIS3_N6thrust23THRUST_200600_302600_NS6detail15normal_iteratorINS9_10device_ptrIyEEEEPS5_jNS1_19radix_merge_compareILb0ELb1EyNS0_19identity_decomposerEEEEE10hipError_tT0_T1_T2_jT3_P12ihipStream_tbPNSt15iterator_traitsISK_E10value_typeEPNSQ_ISL_E10value_typeEPSM_NS1_7vsmem_tEENKUlT_SK_SL_SM_E_clISE_PySF_SF_EESJ_SZ_SK_SL_SM_EUlSZ_E_NS1_11comp_targetILNS1_3genE3ELNS1_11target_archE908ELNS1_3gpuE7ELNS1_3repE0EEENS1_48merge_mergepath_partition_config_static_selectorELNS0_4arch9wavefront6targetE1EEEvSL_,comdat
.Lfunc_end817:
	.size	_ZN7rocprim17ROCPRIM_400000_NS6detail17trampoline_kernelINS0_14default_configENS1_38merge_sort_block_merge_config_selectorIyNS0_10empty_typeEEEZZNS1_27merge_sort_block_merge_implIS3_N6thrust23THRUST_200600_302600_NS6detail15normal_iteratorINS9_10device_ptrIyEEEEPS5_jNS1_19radix_merge_compareILb0ELb1EyNS0_19identity_decomposerEEEEE10hipError_tT0_T1_T2_jT3_P12ihipStream_tbPNSt15iterator_traitsISK_E10value_typeEPNSQ_ISL_E10value_typeEPSM_NS1_7vsmem_tEENKUlT_SK_SL_SM_E_clISE_PySF_SF_EESJ_SZ_SK_SL_SM_EUlSZ_E_NS1_11comp_targetILNS1_3genE3ELNS1_11target_archE908ELNS1_3gpuE7ELNS1_3repE0EEENS1_48merge_mergepath_partition_config_static_selectorELNS0_4arch9wavefront6targetE1EEEvSL_, .Lfunc_end817-_ZN7rocprim17ROCPRIM_400000_NS6detail17trampoline_kernelINS0_14default_configENS1_38merge_sort_block_merge_config_selectorIyNS0_10empty_typeEEEZZNS1_27merge_sort_block_merge_implIS3_N6thrust23THRUST_200600_302600_NS6detail15normal_iteratorINS9_10device_ptrIyEEEEPS5_jNS1_19radix_merge_compareILb0ELb1EyNS0_19identity_decomposerEEEEE10hipError_tT0_T1_T2_jT3_P12ihipStream_tbPNSt15iterator_traitsISK_E10value_typeEPNSQ_ISL_E10value_typeEPSM_NS1_7vsmem_tEENKUlT_SK_SL_SM_E_clISE_PySF_SF_EESJ_SZ_SK_SL_SM_EUlSZ_E_NS1_11comp_targetILNS1_3genE3ELNS1_11target_archE908ELNS1_3gpuE7ELNS1_3repE0EEENS1_48merge_mergepath_partition_config_static_selectorELNS0_4arch9wavefront6targetE1EEEvSL_
                                        ; -- End function
	.section	.AMDGPU.csdata,"",@progbits
; Kernel info:
; codeLenInByte = 0
; NumSgprs: 6
; NumVgprs: 0
; NumAgprs: 0
; TotalNumVgprs: 0
; ScratchSize: 0
; MemoryBound: 0
; FloatMode: 240
; IeeeMode: 1
; LDSByteSize: 0 bytes/workgroup (compile time only)
; SGPRBlocks: 0
; VGPRBlocks: 0
; NumSGPRsForWavesPerEU: 6
; NumVGPRsForWavesPerEU: 1
; AccumOffset: 4
; Occupancy: 8
; WaveLimiterHint : 0
; COMPUTE_PGM_RSRC2:SCRATCH_EN: 0
; COMPUTE_PGM_RSRC2:USER_SGPR: 2
; COMPUTE_PGM_RSRC2:TRAP_HANDLER: 0
; COMPUTE_PGM_RSRC2:TGID_X_EN: 1
; COMPUTE_PGM_RSRC2:TGID_Y_EN: 0
; COMPUTE_PGM_RSRC2:TGID_Z_EN: 0
; COMPUTE_PGM_RSRC2:TIDIG_COMP_CNT: 0
; COMPUTE_PGM_RSRC3_GFX90A:ACCUM_OFFSET: 0
; COMPUTE_PGM_RSRC3_GFX90A:TG_SPLIT: 0
	.section	.text._ZN7rocprim17ROCPRIM_400000_NS6detail17trampoline_kernelINS0_14default_configENS1_38merge_sort_block_merge_config_selectorIyNS0_10empty_typeEEEZZNS1_27merge_sort_block_merge_implIS3_N6thrust23THRUST_200600_302600_NS6detail15normal_iteratorINS9_10device_ptrIyEEEEPS5_jNS1_19radix_merge_compareILb0ELb1EyNS0_19identity_decomposerEEEEE10hipError_tT0_T1_T2_jT3_P12ihipStream_tbPNSt15iterator_traitsISK_E10value_typeEPNSQ_ISL_E10value_typeEPSM_NS1_7vsmem_tEENKUlT_SK_SL_SM_E_clISE_PySF_SF_EESJ_SZ_SK_SL_SM_EUlSZ_E_NS1_11comp_targetILNS1_3genE2ELNS1_11target_archE906ELNS1_3gpuE6ELNS1_3repE0EEENS1_48merge_mergepath_partition_config_static_selectorELNS0_4arch9wavefront6targetE1EEEvSL_,"axG",@progbits,_ZN7rocprim17ROCPRIM_400000_NS6detail17trampoline_kernelINS0_14default_configENS1_38merge_sort_block_merge_config_selectorIyNS0_10empty_typeEEEZZNS1_27merge_sort_block_merge_implIS3_N6thrust23THRUST_200600_302600_NS6detail15normal_iteratorINS9_10device_ptrIyEEEEPS5_jNS1_19radix_merge_compareILb0ELb1EyNS0_19identity_decomposerEEEEE10hipError_tT0_T1_T2_jT3_P12ihipStream_tbPNSt15iterator_traitsISK_E10value_typeEPNSQ_ISL_E10value_typeEPSM_NS1_7vsmem_tEENKUlT_SK_SL_SM_E_clISE_PySF_SF_EESJ_SZ_SK_SL_SM_EUlSZ_E_NS1_11comp_targetILNS1_3genE2ELNS1_11target_archE906ELNS1_3gpuE6ELNS1_3repE0EEENS1_48merge_mergepath_partition_config_static_selectorELNS0_4arch9wavefront6targetE1EEEvSL_,comdat
	.protected	_ZN7rocprim17ROCPRIM_400000_NS6detail17trampoline_kernelINS0_14default_configENS1_38merge_sort_block_merge_config_selectorIyNS0_10empty_typeEEEZZNS1_27merge_sort_block_merge_implIS3_N6thrust23THRUST_200600_302600_NS6detail15normal_iteratorINS9_10device_ptrIyEEEEPS5_jNS1_19radix_merge_compareILb0ELb1EyNS0_19identity_decomposerEEEEE10hipError_tT0_T1_T2_jT3_P12ihipStream_tbPNSt15iterator_traitsISK_E10value_typeEPNSQ_ISL_E10value_typeEPSM_NS1_7vsmem_tEENKUlT_SK_SL_SM_E_clISE_PySF_SF_EESJ_SZ_SK_SL_SM_EUlSZ_E_NS1_11comp_targetILNS1_3genE2ELNS1_11target_archE906ELNS1_3gpuE6ELNS1_3repE0EEENS1_48merge_mergepath_partition_config_static_selectorELNS0_4arch9wavefront6targetE1EEEvSL_ ; -- Begin function _ZN7rocprim17ROCPRIM_400000_NS6detail17trampoline_kernelINS0_14default_configENS1_38merge_sort_block_merge_config_selectorIyNS0_10empty_typeEEEZZNS1_27merge_sort_block_merge_implIS3_N6thrust23THRUST_200600_302600_NS6detail15normal_iteratorINS9_10device_ptrIyEEEEPS5_jNS1_19radix_merge_compareILb0ELb1EyNS0_19identity_decomposerEEEEE10hipError_tT0_T1_T2_jT3_P12ihipStream_tbPNSt15iterator_traitsISK_E10value_typeEPNSQ_ISL_E10value_typeEPSM_NS1_7vsmem_tEENKUlT_SK_SL_SM_E_clISE_PySF_SF_EESJ_SZ_SK_SL_SM_EUlSZ_E_NS1_11comp_targetILNS1_3genE2ELNS1_11target_archE906ELNS1_3gpuE6ELNS1_3repE0EEENS1_48merge_mergepath_partition_config_static_selectorELNS0_4arch9wavefront6targetE1EEEvSL_
	.globl	_ZN7rocprim17ROCPRIM_400000_NS6detail17trampoline_kernelINS0_14default_configENS1_38merge_sort_block_merge_config_selectorIyNS0_10empty_typeEEEZZNS1_27merge_sort_block_merge_implIS3_N6thrust23THRUST_200600_302600_NS6detail15normal_iteratorINS9_10device_ptrIyEEEEPS5_jNS1_19radix_merge_compareILb0ELb1EyNS0_19identity_decomposerEEEEE10hipError_tT0_T1_T2_jT3_P12ihipStream_tbPNSt15iterator_traitsISK_E10value_typeEPNSQ_ISL_E10value_typeEPSM_NS1_7vsmem_tEENKUlT_SK_SL_SM_E_clISE_PySF_SF_EESJ_SZ_SK_SL_SM_EUlSZ_E_NS1_11comp_targetILNS1_3genE2ELNS1_11target_archE906ELNS1_3gpuE6ELNS1_3repE0EEENS1_48merge_mergepath_partition_config_static_selectorELNS0_4arch9wavefront6targetE1EEEvSL_
	.p2align	8
	.type	_ZN7rocprim17ROCPRIM_400000_NS6detail17trampoline_kernelINS0_14default_configENS1_38merge_sort_block_merge_config_selectorIyNS0_10empty_typeEEEZZNS1_27merge_sort_block_merge_implIS3_N6thrust23THRUST_200600_302600_NS6detail15normal_iteratorINS9_10device_ptrIyEEEEPS5_jNS1_19radix_merge_compareILb0ELb1EyNS0_19identity_decomposerEEEEE10hipError_tT0_T1_T2_jT3_P12ihipStream_tbPNSt15iterator_traitsISK_E10value_typeEPNSQ_ISL_E10value_typeEPSM_NS1_7vsmem_tEENKUlT_SK_SL_SM_E_clISE_PySF_SF_EESJ_SZ_SK_SL_SM_EUlSZ_E_NS1_11comp_targetILNS1_3genE2ELNS1_11target_archE906ELNS1_3gpuE6ELNS1_3repE0EEENS1_48merge_mergepath_partition_config_static_selectorELNS0_4arch9wavefront6targetE1EEEvSL_,@function
_ZN7rocprim17ROCPRIM_400000_NS6detail17trampoline_kernelINS0_14default_configENS1_38merge_sort_block_merge_config_selectorIyNS0_10empty_typeEEEZZNS1_27merge_sort_block_merge_implIS3_N6thrust23THRUST_200600_302600_NS6detail15normal_iteratorINS9_10device_ptrIyEEEEPS5_jNS1_19radix_merge_compareILb0ELb1EyNS0_19identity_decomposerEEEEE10hipError_tT0_T1_T2_jT3_P12ihipStream_tbPNSt15iterator_traitsISK_E10value_typeEPNSQ_ISL_E10value_typeEPSM_NS1_7vsmem_tEENKUlT_SK_SL_SM_E_clISE_PySF_SF_EESJ_SZ_SK_SL_SM_EUlSZ_E_NS1_11comp_targetILNS1_3genE2ELNS1_11target_archE906ELNS1_3gpuE6ELNS1_3repE0EEENS1_48merge_mergepath_partition_config_static_selectorELNS0_4arch9wavefront6targetE1EEEvSL_: ; @_ZN7rocprim17ROCPRIM_400000_NS6detail17trampoline_kernelINS0_14default_configENS1_38merge_sort_block_merge_config_selectorIyNS0_10empty_typeEEEZZNS1_27merge_sort_block_merge_implIS3_N6thrust23THRUST_200600_302600_NS6detail15normal_iteratorINS9_10device_ptrIyEEEEPS5_jNS1_19radix_merge_compareILb0ELb1EyNS0_19identity_decomposerEEEEE10hipError_tT0_T1_T2_jT3_P12ihipStream_tbPNSt15iterator_traitsISK_E10value_typeEPNSQ_ISL_E10value_typeEPSM_NS1_7vsmem_tEENKUlT_SK_SL_SM_E_clISE_PySF_SF_EESJ_SZ_SK_SL_SM_EUlSZ_E_NS1_11comp_targetILNS1_3genE2ELNS1_11target_archE906ELNS1_3gpuE6ELNS1_3repE0EEENS1_48merge_mergepath_partition_config_static_selectorELNS0_4arch9wavefront6targetE1EEEvSL_
; %bb.0:
	.section	.rodata,"a",@progbits
	.p2align	6, 0x0
	.amdhsa_kernel _ZN7rocprim17ROCPRIM_400000_NS6detail17trampoline_kernelINS0_14default_configENS1_38merge_sort_block_merge_config_selectorIyNS0_10empty_typeEEEZZNS1_27merge_sort_block_merge_implIS3_N6thrust23THRUST_200600_302600_NS6detail15normal_iteratorINS9_10device_ptrIyEEEEPS5_jNS1_19radix_merge_compareILb0ELb1EyNS0_19identity_decomposerEEEEE10hipError_tT0_T1_T2_jT3_P12ihipStream_tbPNSt15iterator_traitsISK_E10value_typeEPNSQ_ISL_E10value_typeEPSM_NS1_7vsmem_tEENKUlT_SK_SL_SM_E_clISE_PySF_SF_EESJ_SZ_SK_SL_SM_EUlSZ_E_NS1_11comp_targetILNS1_3genE2ELNS1_11target_archE906ELNS1_3gpuE6ELNS1_3repE0EEENS1_48merge_mergepath_partition_config_static_selectorELNS0_4arch9wavefront6targetE1EEEvSL_
		.amdhsa_group_segment_fixed_size 0
		.amdhsa_private_segment_fixed_size 0
		.amdhsa_kernarg_size 40
		.amdhsa_user_sgpr_count 2
		.amdhsa_user_sgpr_dispatch_ptr 0
		.amdhsa_user_sgpr_queue_ptr 0
		.amdhsa_user_sgpr_kernarg_segment_ptr 1
		.amdhsa_user_sgpr_dispatch_id 0
		.amdhsa_user_sgpr_kernarg_preload_length 0
		.amdhsa_user_sgpr_kernarg_preload_offset 0
		.amdhsa_user_sgpr_private_segment_size 0
		.amdhsa_uses_dynamic_stack 0
		.amdhsa_enable_private_segment 0
		.amdhsa_system_sgpr_workgroup_id_x 1
		.amdhsa_system_sgpr_workgroup_id_y 0
		.amdhsa_system_sgpr_workgroup_id_z 0
		.amdhsa_system_sgpr_workgroup_info 0
		.amdhsa_system_vgpr_workitem_id 0
		.amdhsa_next_free_vgpr 1
		.amdhsa_next_free_sgpr 0
		.amdhsa_accum_offset 4
		.amdhsa_reserve_vcc 0
		.amdhsa_float_round_mode_32 0
		.amdhsa_float_round_mode_16_64 0
		.amdhsa_float_denorm_mode_32 3
		.amdhsa_float_denorm_mode_16_64 3
		.amdhsa_dx10_clamp 1
		.amdhsa_ieee_mode 1
		.amdhsa_fp16_overflow 0
		.amdhsa_tg_split 0
		.amdhsa_exception_fp_ieee_invalid_op 0
		.amdhsa_exception_fp_denorm_src 0
		.amdhsa_exception_fp_ieee_div_zero 0
		.amdhsa_exception_fp_ieee_overflow 0
		.amdhsa_exception_fp_ieee_underflow 0
		.amdhsa_exception_fp_ieee_inexact 0
		.amdhsa_exception_int_div_zero 0
	.end_amdhsa_kernel
	.section	.text._ZN7rocprim17ROCPRIM_400000_NS6detail17trampoline_kernelINS0_14default_configENS1_38merge_sort_block_merge_config_selectorIyNS0_10empty_typeEEEZZNS1_27merge_sort_block_merge_implIS3_N6thrust23THRUST_200600_302600_NS6detail15normal_iteratorINS9_10device_ptrIyEEEEPS5_jNS1_19radix_merge_compareILb0ELb1EyNS0_19identity_decomposerEEEEE10hipError_tT0_T1_T2_jT3_P12ihipStream_tbPNSt15iterator_traitsISK_E10value_typeEPNSQ_ISL_E10value_typeEPSM_NS1_7vsmem_tEENKUlT_SK_SL_SM_E_clISE_PySF_SF_EESJ_SZ_SK_SL_SM_EUlSZ_E_NS1_11comp_targetILNS1_3genE2ELNS1_11target_archE906ELNS1_3gpuE6ELNS1_3repE0EEENS1_48merge_mergepath_partition_config_static_selectorELNS0_4arch9wavefront6targetE1EEEvSL_,"axG",@progbits,_ZN7rocprim17ROCPRIM_400000_NS6detail17trampoline_kernelINS0_14default_configENS1_38merge_sort_block_merge_config_selectorIyNS0_10empty_typeEEEZZNS1_27merge_sort_block_merge_implIS3_N6thrust23THRUST_200600_302600_NS6detail15normal_iteratorINS9_10device_ptrIyEEEEPS5_jNS1_19radix_merge_compareILb0ELb1EyNS0_19identity_decomposerEEEEE10hipError_tT0_T1_T2_jT3_P12ihipStream_tbPNSt15iterator_traitsISK_E10value_typeEPNSQ_ISL_E10value_typeEPSM_NS1_7vsmem_tEENKUlT_SK_SL_SM_E_clISE_PySF_SF_EESJ_SZ_SK_SL_SM_EUlSZ_E_NS1_11comp_targetILNS1_3genE2ELNS1_11target_archE906ELNS1_3gpuE6ELNS1_3repE0EEENS1_48merge_mergepath_partition_config_static_selectorELNS0_4arch9wavefront6targetE1EEEvSL_,comdat
.Lfunc_end818:
	.size	_ZN7rocprim17ROCPRIM_400000_NS6detail17trampoline_kernelINS0_14default_configENS1_38merge_sort_block_merge_config_selectorIyNS0_10empty_typeEEEZZNS1_27merge_sort_block_merge_implIS3_N6thrust23THRUST_200600_302600_NS6detail15normal_iteratorINS9_10device_ptrIyEEEEPS5_jNS1_19radix_merge_compareILb0ELb1EyNS0_19identity_decomposerEEEEE10hipError_tT0_T1_T2_jT3_P12ihipStream_tbPNSt15iterator_traitsISK_E10value_typeEPNSQ_ISL_E10value_typeEPSM_NS1_7vsmem_tEENKUlT_SK_SL_SM_E_clISE_PySF_SF_EESJ_SZ_SK_SL_SM_EUlSZ_E_NS1_11comp_targetILNS1_3genE2ELNS1_11target_archE906ELNS1_3gpuE6ELNS1_3repE0EEENS1_48merge_mergepath_partition_config_static_selectorELNS0_4arch9wavefront6targetE1EEEvSL_, .Lfunc_end818-_ZN7rocprim17ROCPRIM_400000_NS6detail17trampoline_kernelINS0_14default_configENS1_38merge_sort_block_merge_config_selectorIyNS0_10empty_typeEEEZZNS1_27merge_sort_block_merge_implIS3_N6thrust23THRUST_200600_302600_NS6detail15normal_iteratorINS9_10device_ptrIyEEEEPS5_jNS1_19radix_merge_compareILb0ELb1EyNS0_19identity_decomposerEEEEE10hipError_tT0_T1_T2_jT3_P12ihipStream_tbPNSt15iterator_traitsISK_E10value_typeEPNSQ_ISL_E10value_typeEPSM_NS1_7vsmem_tEENKUlT_SK_SL_SM_E_clISE_PySF_SF_EESJ_SZ_SK_SL_SM_EUlSZ_E_NS1_11comp_targetILNS1_3genE2ELNS1_11target_archE906ELNS1_3gpuE6ELNS1_3repE0EEENS1_48merge_mergepath_partition_config_static_selectorELNS0_4arch9wavefront6targetE1EEEvSL_
                                        ; -- End function
	.section	.AMDGPU.csdata,"",@progbits
; Kernel info:
; codeLenInByte = 0
; NumSgprs: 6
; NumVgprs: 0
; NumAgprs: 0
; TotalNumVgprs: 0
; ScratchSize: 0
; MemoryBound: 0
; FloatMode: 240
; IeeeMode: 1
; LDSByteSize: 0 bytes/workgroup (compile time only)
; SGPRBlocks: 0
; VGPRBlocks: 0
; NumSGPRsForWavesPerEU: 6
; NumVGPRsForWavesPerEU: 1
; AccumOffset: 4
; Occupancy: 8
; WaveLimiterHint : 0
; COMPUTE_PGM_RSRC2:SCRATCH_EN: 0
; COMPUTE_PGM_RSRC2:USER_SGPR: 2
; COMPUTE_PGM_RSRC2:TRAP_HANDLER: 0
; COMPUTE_PGM_RSRC2:TGID_X_EN: 1
; COMPUTE_PGM_RSRC2:TGID_Y_EN: 0
; COMPUTE_PGM_RSRC2:TGID_Z_EN: 0
; COMPUTE_PGM_RSRC2:TIDIG_COMP_CNT: 0
; COMPUTE_PGM_RSRC3_GFX90A:ACCUM_OFFSET: 0
; COMPUTE_PGM_RSRC3_GFX90A:TG_SPLIT: 0
	.section	.text._ZN7rocprim17ROCPRIM_400000_NS6detail17trampoline_kernelINS0_14default_configENS1_38merge_sort_block_merge_config_selectorIyNS0_10empty_typeEEEZZNS1_27merge_sort_block_merge_implIS3_N6thrust23THRUST_200600_302600_NS6detail15normal_iteratorINS9_10device_ptrIyEEEEPS5_jNS1_19radix_merge_compareILb0ELb1EyNS0_19identity_decomposerEEEEE10hipError_tT0_T1_T2_jT3_P12ihipStream_tbPNSt15iterator_traitsISK_E10value_typeEPNSQ_ISL_E10value_typeEPSM_NS1_7vsmem_tEENKUlT_SK_SL_SM_E_clISE_PySF_SF_EESJ_SZ_SK_SL_SM_EUlSZ_E_NS1_11comp_targetILNS1_3genE9ELNS1_11target_archE1100ELNS1_3gpuE3ELNS1_3repE0EEENS1_48merge_mergepath_partition_config_static_selectorELNS0_4arch9wavefront6targetE1EEEvSL_,"axG",@progbits,_ZN7rocprim17ROCPRIM_400000_NS6detail17trampoline_kernelINS0_14default_configENS1_38merge_sort_block_merge_config_selectorIyNS0_10empty_typeEEEZZNS1_27merge_sort_block_merge_implIS3_N6thrust23THRUST_200600_302600_NS6detail15normal_iteratorINS9_10device_ptrIyEEEEPS5_jNS1_19radix_merge_compareILb0ELb1EyNS0_19identity_decomposerEEEEE10hipError_tT0_T1_T2_jT3_P12ihipStream_tbPNSt15iterator_traitsISK_E10value_typeEPNSQ_ISL_E10value_typeEPSM_NS1_7vsmem_tEENKUlT_SK_SL_SM_E_clISE_PySF_SF_EESJ_SZ_SK_SL_SM_EUlSZ_E_NS1_11comp_targetILNS1_3genE9ELNS1_11target_archE1100ELNS1_3gpuE3ELNS1_3repE0EEENS1_48merge_mergepath_partition_config_static_selectorELNS0_4arch9wavefront6targetE1EEEvSL_,comdat
	.protected	_ZN7rocprim17ROCPRIM_400000_NS6detail17trampoline_kernelINS0_14default_configENS1_38merge_sort_block_merge_config_selectorIyNS0_10empty_typeEEEZZNS1_27merge_sort_block_merge_implIS3_N6thrust23THRUST_200600_302600_NS6detail15normal_iteratorINS9_10device_ptrIyEEEEPS5_jNS1_19radix_merge_compareILb0ELb1EyNS0_19identity_decomposerEEEEE10hipError_tT0_T1_T2_jT3_P12ihipStream_tbPNSt15iterator_traitsISK_E10value_typeEPNSQ_ISL_E10value_typeEPSM_NS1_7vsmem_tEENKUlT_SK_SL_SM_E_clISE_PySF_SF_EESJ_SZ_SK_SL_SM_EUlSZ_E_NS1_11comp_targetILNS1_3genE9ELNS1_11target_archE1100ELNS1_3gpuE3ELNS1_3repE0EEENS1_48merge_mergepath_partition_config_static_selectorELNS0_4arch9wavefront6targetE1EEEvSL_ ; -- Begin function _ZN7rocprim17ROCPRIM_400000_NS6detail17trampoline_kernelINS0_14default_configENS1_38merge_sort_block_merge_config_selectorIyNS0_10empty_typeEEEZZNS1_27merge_sort_block_merge_implIS3_N6thrust23THRUST_200600_302600_NS6detail15normal_iteratorINS9_10device_ptrIyEEEEPS5_jNS1_19radix_merge_compareILb0ELb1EyNS0_19identity_decomposerEEEEE10hipError_tT0_T1_T2_jT3_P12ihipStream_tbPNSt15iterator_traitsISK_E10value_typeEPNSQ_ISL_E10value_typeEPSM_NS1_7vsmem_tEENKUlT_SK_SL_SM_E_clISE_PySF_SF_EESJ_SZ_SK_SL_SM_EUlSZ_E_NS1_11comp_targetILNS1_3genE9ELNS1_11target_archE1100ELNS1_3gpuE3ELNS1_3repE0EEENS1_48merge_mergepath_partition_config_static_selectorELNS0_4arch9wavefront6targetE1EEEvSL_
	.globl	_ZN7rocprim17ROCPRIM_400000_NS6detail17trampoline_kernelINS0_14default_configENS1_38merge_sort_block_merge_config_selectorIyNS0_10empty_typeEEEZZNS1_27merge_sort_block_merge_implIS3_N6thrust23THRUST_200600_302600_NS6detail15normal_iteratorINS9_10device_ptrIyEEEEPS5_jNS1_19radix_merge_compareILb0ELb1EyNS0_19identity_decomposerEEEEE10hipError_tT0_T1_T2_jT3_P12ihipStream_tbPNSt15iterator_traitsISK_E10value_typeEPNSQ_ISL_E10value_typeEPSM_NS1_7vsmem_tEENKUlT_SK_SL_SM_E_clISE_PySF_SF_EESJ_SZ_SK_SL_SM_EUlSZ_E_NS1_11comp_targetILNS1_3genE9ELNS1_11target_archE1100ELNS1_3gpuE3ELNS1_3repE0EEENS1_48merge_mergepath_partition_config_static_selectorELNS0_4arch9wavefront6targetE1EEEvSL_
	.p2align	8
	.type	_ZN7rocprim17ROCPRIM_400000_NS6detail17trampoline_kernelINS0_14default_configENS1_38merge_sort_block_merge_config_selectorIyNS0_10empty_typeEEEZZNS1_27merge_sort_block_merge_implIS3_N6thrust23THRUST_200600_302600_NS6detail15normal_iteratorINS9_10device_ptrIyEEEEPS5_jNS1_19radix_merge_compareILb0ELb1EyNS0_19identity_decomposerEEEEE10hipError_tT0_T1_T2_jT3_P12ihipStream_tbPNSt15iterator_traitsISK_E10value_typeEPNSQ_ISL_E10value_typeEPSM_NS1_7vsmem_tEENKUlT_SK_SL_SM_E_clISE_PySF_SF_EESJ_SZ_SK_SL_SM_EUlSZ_E_NS1_11comp_targetILNS1_3genE9ELNS1_11target_archE1100ELNS1_3gpuE3ELNS1_3repE0EEENS1_48merge_mergepath_partition_config_static_selectorELNS0_4arch9wavefront6targetE1EEEvSL_,@function
_ZN7rocprim17ROCPRIM_400000_NS6detail17trampoline_kernelINS0_14default_configENS1_38merge_sort_block_merge_config_selectorIyNS0_10empty_typeEEEZZNS1_27merge_sort_block_merge_implIS3_N6thrust23THRUST_200600_302600_NS6detail15normal_iteratorINS9_10device_ptrIyEEEEPS5_jNS1_19radix_merge_compareILb0ELb1EyNS0_19identity_decomposerEEEEE10hipError_tT0_T1_T2_jT3_P12ihipStream_tbPNSt15iterator_traitsISK_E10value_typeEPNSQ_ISL_E10value_typeEPSM_NS1_7vsmem_tEENKUlT_SK_SL_SM_E_clISE_PySF_SF_EESJ_SZ_SK_SL_SM_EUlSZ_E_NS1_11comp_targetILNS1_3genE9ELNS1_11target_archE1100ELNS1_3gpuE3ELNS1_3repE0EEENS1_48merge_mergepath_partition_config_static_selectorELNS0_4arch9wavefront6targetE1EEEvSL_: ; @_ZN7rocprim17ROCPRIM_400000_NS6detail17trampoline_kernelINS0_14default_configENS1_38merge_sort_block_merge_config_selectorIyNS0_10empty_typeEEEZZNS1_27merge_sort_block_merge_implIS3_N6thrust23THRUST_200600_302600_NS6detail15normal_iteratorINS9_10device_ptrIyEEEEPS5_jNS1_19radix_merge_compareILb0ELb1EyNS0_19identity_decomposerEEEEE10hipError_tT0_T1_T2_jT3_P12ihipStream_tbPNSt15iterator_traitsISK_E10value_typeEPNSQ_ISL_E10value_typeEPSM_NS1_7vsmem_tEENKUlT_SK_SL_SM_E_clISE_PySF_SF_EESJ_SZ_SK_SL_SM_EUlSZ_E_NS1_11comp_targetILNS1_3genE9ELNS1_11target_archE1100ELNS1_3gpuE3ELNS1_3repE0EEENS1_48merge_mergepath_partition_config_static_selectorELNS0_4arch9wavefront6targetE1EEEvSL_
; %bb.0:
	.section	.rodata,"a",@progbits
	.p2align	6, 0x0
	.amdhsa_kernel _ZN7rocprim17ROCPRIM_400000_NS6detail17trampoline_kernelINS0_14default_configENS1_38merge_sort_block_merge_config_selectorIyNS0_10empty_typeEEEZZNS1_27merge_sort_block_merge_implIS3_N6thrust23THRUST_200600_302600_NS6detail15normal_iteratorINS9_10device_ptrIyEEEEPS5_jNS1_19radix_merge_compareILb0ELb1EyNS0_19identity_decomposerEEEEE10hipError_tT0_T1_T2_jT3_P12ihipStream_tbPNSt15iterator_traitsISK_E10value_typeEPNSQ_ISL_E10value_typeEPSM_NS1_7vsmem_tEENKUlT_SK_SL_SM_E_clISE_PySF_SF_EESJ_SZ_SK_SL_SM_EUlSZ_E_NS1_11comp_targetILNS1_3genE9ELNS1_11target_archE1100ELNS1_3gpuE3ELNS1_3repE0EEENS1_48merge_mergepath_partition_config_static_selectorELNS0_4arch9wavefront6targetE1EEEvSL_
		.amdhsa_group_segment_fixed_size 0
		.amdhsa_private_segment_fixed_size 0
		.amdhsa_kernarg_size 40
		.amdhsa_user_sgpr_count 2
		.amdhsa_user_sgpr_dispatch_ptr 0
		.amdhsa_user_sgpr_queue_ptr 0
		.amdhsa_user_sgpr_kernarg_segment_ptr 1
		.amdhsa_user_sgpr_dispatch_id 0
		.amdhsa_user_sgpr_kernarg_preload_length 0
		.amdhsa_user_sgpr_kernarg_preload_offset 0
		.amdhsa_user_sgpr_private_segment_size 0
		.amdhsa_uses_dynamic_stack 0
		.amdhsa_enable_private_segment 0
		.amdhsa_system_sgpr_workgroup_id_x 1
		.amdhsa_system_sgpr_workgroup_id_y 0
		.amdhsa_system_sgpr_workgroup_id_z 0
		.amdhsa_system_sgpr_workgroup_info 0
		.amdhsa_system_vgpr_workitem_id 0
		.amdhsa_next_free_vgpr 1
		.amdhsa_next_free_sgpr 0
		.amdhsa_accum_offset 4
		.amdhsa_reserve_vcc 0
		.amdhsa_float_round_mode_32 0
		.amdhsa_float_round_mode_16_64 0
		.amdhsa_float_denorm_mode_32 3
		.amdhsa_float_denorm_mode_16_64 3
		.amdhsa_dx10_clamp 1
		.amdhsa_ieee_mode 1
		.amdhsa_fp16_overflow 0
		.amdhsa_tg_split 0
		.amdhsa_exception_fp_ieee_invalid_op 0
		.amdhsa_exception_fp_denorm_src 0
		.amdhsa_exception_fp_ieee_div_zero 0
		.amdhsa_exception_fp_ieee_overflow 0
		.amdhsa_exception_fp_ieee_underflow 0
		.amdhsa_exception_fp_ieee_inexact 0
		.amdhsa_exception_int_div_zero 0
	.end_amdhsa_kernel
	.section	.text._ZN7rocprim17ROCPRIM_400000_NS6detail17trampoline_kernelINS0_14default_configENS1_38merge_sort_block_merge_config_selectorIyNS0_10empty_typeEEEZZNS1_27merge_sort_block_merge_implIS3_N6thrust23THRUST_200600_302600_NS6detail15normal_iteratorINS9_10device_ptrIyEEEEPS5_jNS1_19radix_merge_compareILb0ELb1EyNS0_19identity_decomposerEEEEE10hipError_tT0_T1_T2_jT3_P12ihipStream_tbPNSt15iterator_traitsISK_E10value_typeEPNSQ_ISL_E10value_typeEPSM_NS1_7vsmem_tEENKUlT_SK_SL_SM_E_clISE_PySF_SF_EESJ_SZ_SK_SL_SM_EUlSZ_E_NS1_11comp_targetILNS1_3genE9ELNS1_11target_archE1100ELNS1_3gpuE3ELNS1_3repE0EEENS1_48merge_mergepath_partition_config_static_selectorELNS0_4arch9wavefront6targetE1EEEvSL_,"axG",@progbits,_ZN7rocprim17ROCPRIM_400000_NS6detail17trampoline_kernelINS0_14default_configENS1_38merge_sort_block_merge_config_selectorIyNS0_10empty_typeEEEZZNS1_27merge_sort_block_merge_implIS3_N6thrust23THRUST_200600_302600_NS6detail15normal_iteratorINS9_10device_ptrIyEEEEPS5_jNS1_19radix_merge_compareILb0ELb1EyNS0_19identity_decomposerEEEEE10hipError_tT0_T1_T2_jT3_P12ihipStream_tbPNSt15iterator_traitsISK_E10value_typeEPNSQ_ISL_E10value_typeEPSM_NS1_7vsmem_tEENKUlT_SK_SL_SM_E_clISE_PySF_SF_EESJ_SZ_SK_SL_SM_EUlSZ_E_NS1_11comp_targetILNS1_3genE9ELNS1_11target_archE1100ELNS1_3gpuE3ELNS1_3repE0EEENS1_48merge_mergepath_partition_config_static_selectorELNS0_4arch9wavefront6targetE1EEEvSL_,comdat
.Lfunc_end819:
	.size	_ZN7rocprim17ROCPRIM_400000_NS6detail17trampoline_kernelINS0_14default_configENS1_38merge_sort_block_merge_config_selectorIyNS0_10empty_typeEEEZZNS1_27merge_sort_block_merge_implIS3_N6thrust23THRUST_200600_302600_NS6detail15normal_iteratorINS9_10device_ptrIyEEEEPS5_jNS1_19radix_merge_compareILb0ELb1EyNS0_19identity_decomposerEEEEE10hipError_tT0_T1_T2_jT3_P12ihipStream_tbPNSt15iterator_traitsISK_E10value_typeEPNSQ_ISL_E10value_typeEPSM_NS1_7vsmem_tEENKUlT_SK_SL_SM_E_clISE_PySF_SF_EESJ_SZ_SK_SL_SM_EUlSZ_E_NS1_11comp_targetILNS1_3genE9ELNS1_11target_archE1100ELNS1_3gpuE3ELNS1_3repE0EEENS1_48merge_mergepath_partition_config_static_selectorELNS0_4arch9wavefront6targetE1EEEvSL_, .Lfunc_end819-_ZN7rocprim17ROCPRIM_400000_NS6detail17trampoline_kernelINS0_14default_configENS1_38merge_sort_block_merge_config_selectorIyNS0_10empty_typeEEEZZNS1_27merge_sort_block_merge_implIS3_N6thrust23THRUST_200600_302600_NS6detail15normal_iteratorINS9_10device_ptrIyEEEEPS5_jNS1_19radix_merge_compareILb0ELb1EyNS0_19identity_decomposerEEEEE10hipError_tT0_T1_T2_jT3_P12ihipStream_tbPNSt15iterator_traitsISK_E10value_typeEPNSQ_ISL_E10value_typeEPSM_NS1_7vsmem_tEENKUlT_SK_SL_SM_E_clISE_PySF_SF_EESJ_SZ_SK_SL_SM_EUlSZ_E_NS1_11comp_targetILNS1_3genE9ELNS1_11target_archE1100ELNS1_3gpuE3ELNS1_3repE0EEENS1_48merge_mergepath_partition_config_static_selectorELNS0_4arch9wavefront6targetE1EEEvSL_
                                        ; -- End function
	.section	.AMDGPU.csdata,"",@progbits
; Kernel info:
; codeLenInByte = 0
; NumSgprs: 6
; NumVgprs: 0
; NumAgprs: 0
; TotalNumVgprs: 0
; ScratchSize: 0
; MemoryBound: 0
; FloatMode: 240
; IeeeMode: 1
; LDSByteSize: 0 bytes/workgroup (compile time only)
; SGPRBlocks: 0
; VGPRBlocks: 0
; NumSGPRsForWavesPerEU: 6
; NumVGPRsForWavesPerEU: 1
; AccumOffset: 4
; Occupancy: 8
; WaveLimiterHint : 0
; COMPUTE_PGM_RSRC2:SCRATCH_EN: 0
; COMPUTE_PGM_RSRC2:USER_SGPR: 2
; COMPUTE_PGM_RSRC2:TRAP_HANDLER: 0
; COMPUTE_PGM_RSRC2:TGID_X_EN: 1
; COMPUTE_PGM_RSRC2:TGID_Y_EN: 0
; COMPUTE_PGM_RSRC2:TGID_Z_EN: 0
; COMPUTE_PGM_RSRC2:TIDIG_COMP_CNT: 0
; COMPUTE_PGM_RSRC3_GFX90A:ACCUM_OFFSET: 0
; COMPUTE_PGM_RSRC3_GFX90A:TG_SPLIT: 0
	.section	.text._ZN7rocprim17ROCPRIM_400000_NS6detail17trampoline_kernelINS0_14default_configENS1_38merge_sort_block_merge_config_selectorIyNS0_10empty_typeEEEZZNS1_27merge_sort_block_merge_implIS3_N6thrust23THRUST_200600_302600_NS6detail15normal_iteratorINS9_10device_ptrIyEEEEPS5_jNS1_19radix_merge_compareILb0ELb1EyNS0_19identity_decomposerEEEEE10hipError_tT0_T1_T2_jT3_P12ihipStream_tbPNSt15iterator_traitsISK_E10value_typeEPNSQ_ISL_E10value_typeEPSM_NS1_7vsmem_tEENKUlT_SK_SL_SM_E_clISE_PySF_SF_EESJ_SZ_SK_SL_SM_EUlSZ_E_NS1_11comp_targetILNS1_3genE8ELNS1_11target_archE1030ELNS1_3gpuE2ELNS1_3repE0EEENS1_48merge_mergepath_partition_config_static_selectorELNS0_4arch9wavefront6targetE1EEEvSL_,"axG",@progbits,_ZN7rocprim17ROCPRIM_400000_NS6detail17trampoline_kernelINS0_14default_configENS1_38merge_sort_block_merge_config_selectorIyNS0_10empty_typeEEEZZNS1_27merge_sort_block_merge_implIS3_N6thrust23THRUST_200600_302600_NS6detail15normal_iteratorINS9_10device_ptrIyEEEEPS5_jNS1_19radix_merge_compareILb0ELb1EyNS0_19identity_decomposerEEEEE10hipError_tT0_T1_T2_jT3_P12ihipStream_tbPNSt15iterator_traitsISK_E10value_typeEPNSQ_ISL_E10value_typeEPSM_NS1_7vsmem_tEENKUlT_SK_SL_SM_E_clISE_PySF_SF_EESJ_SZ_SK_SL_SM_EUlSZ_E_NS1_11comp_targetILNS1_3genE8ELNS1_11target_archE1030ELNS1_3gpuE2ELNS1_3repE0EEENS1_48merge_mergepath_partition_config_static_selectorELNS0_4arch9wavefront6targetE1EEEvSL_,comdat
	.protected	_ZN7rocprim17ROCPRIM_400000_NS6detail17trampoline_kernelINS0_14default_configENS1_38merge_sort_block_merge_config_selectorIyNS0_10empty_typeEEEZZNS1_27merge_sort_block_merge_implIS3_N6thrust23THRUST_200600_302600_NS6detail15normal_iteratorINS9_10device_ptrIyEEEEPS5_jNS1_19radix_merge_compareILb0ELb1EyNS0_19identity_decomposerEEEEE10hipError_tT0_T1_T2_jT3_P12ihipStream_tbPNSt15iterator_traitsISK_E10value_typeEPNSQ_ISL_E10value_typeEPSM_NS1_7vsmem_tEENKUlT_SK_SL_SM_E_clISE_PySF_SF_EESJ_SZ_SK_SL_SM_EUlSZ_E_NS1_11comp_targetILNS1_3genE8ELNS1_11target_archE1030ELNS1_3gpuE2ELNS1_3repE0EEENS1_48merge_mergepath_partition_config_static_selectorELNS0_4arch9wavefront6targetE1EEEvSL_ ; -- Begin function _ZN7rocprim17ROCPRIM_400000_NS6detail17trampoline_kernelINS0_14default_configENS1_38merge_sort_block_merge_config_selectorIyNS0_10empty_typeEEEZZNS1_27merge_sort_block_merge_implIS3_N6thrust23THRUST_200600_302600_NS6detail15normal_iteratorINS9_10device_ptrIyEEEEPS5_jNS1_19radix_merge_compareILb0ELb1EyNS0_19identity_decomposerEEEEE10hipError_tT0_T1_T2_jT3_P12ihipStream_tbPNSt15iterator_traitsISK_E10value_typeEPNSQ_ISL_E10value_typeEPSM_NS1_7vsmem_tEENKUlT_SK_SL_SM_E_clISE_PySF_SF_EESJ_SZ_SK_SL_SM_EUlSZ_E_NS1_11comp_targetILNS1_3genE8ELNS1_11target_archE1030ELNS1_3gpuE2ELNS1_3repE0EEENS1_48merge_mergepath_partition_config_static_selectorELNS0_4arch9wavefront6targetE1EEEvSL_
	.globl	_ZN7rocprim17ROCPRIM_400000_NS6detail17trampoline_kernelINS0_14default_configENS1_38merge_sort_block_merge_config_selectorIyNS0_10empty_typeEEEZZNS1_27merge_sort_block_merge_implIS3_N6thrust23THRUST_200600_302600_NS6detail15normal_iteratorINS9_10device_ptrIyEEEEPS5_jNS1_19radix_merge_compareILb0ELb1EyNS0_19identity_decomposerEEEEE10hipError_tT0_T1_T2_jT3_P12ihipStream_tbPNSt15iterator_traitsISK_E10value_typeEPNSQ_ISL_E10value_typeEPSM_NS1_7vsmem_tEENKUlT_SK_SL_SM_E_clISE_PySF_SF_EESJ_SZ_SK_SL_SM_EUlSZ_E_NS1_11comp_targetILNS1_3genE8ELNS1_11target_archE1030ELNS1_3gpuE2ELNS1_3repE0EEENS1_48merge_mergepath_partition_config_static_selectorELNS0_4arch9wavefront6targetE1EEEvSL_
	.p2align	8
	.type	_ZN7rocprim17ROCPRIM_400000_NS6detail17trampoline_kernelINS0_14default_configENS1_38merge_sort_block_merge_config_selectorIyNS0_10empty_typeEEEZZNS1_27merge_sort_block_merge_implIS3_N6thrust23THRUST_200600_302600_NS6detail15normal_iteratorINS9_10device_ptrIyEEEEPS5_jNS1_19radix_merge_compareILb0ELb1EyNS0_19identity_decomposerEEEEE10hipError_tT0_T1_T2_jT3_P12ihipStream_tbPNSt15iterator_traitsISK_E10value_typeEPNSQ_ISL_E10value_typeEPSM_NS1_7vsmem_tEENKUlT_SK_SL_SM_E_clISE_PySF_SF_EESJ_SZ_SK_SL_SM_EUlSZ_E_NS1_11comp_targetILNS1_3genE8ELNS1_11target_archE1030ELNS1_3gpuE2ELNS1_3repE0EEENS1_48merge_mergepath_partition_config_static_selectorELNS0_4arch9wavefront6targetE1EEEvSL_,@function
_ZN7rocprim17ROCPRIM_400000_NS6detail17trampoline_kernelINS0_14default_configENS1_38merge_sort_block_merge_config_selectorIyNS0_10empty_typeEEEZZNS1_27merge_sort_block_merge_implIS3_N6thrust23THRUST_200600_302600_NS6detail15normal_iteratorINS9_10device_ptrIyEEEEPS5_jNS1_19radix_merge_compareILb0ELb1EyNS0_19identity_decomposerEEEEE10hipError_tT0_T1_T2_jT3_P12ihipStream_tbPNSt15iterator_traitsISK_E10value_typeEPNSQ_ISL_E10value_typeEPSM_NS1_7vsmem_tEENKUlT_SK_SL_SM_E_clISE_PySF_SF_EESJ_SZ_SK_SL_SM_EUlSZ_E_NS1_11comp_targetILNS1_3genE8ELNS1_11target_archE1030ELNS1_3gpuE2ELNS1_3repE0EEENS1_48merge_mergepath_partition_config_static_selectorELNS0_4arch9wavefront6targetE1EEEvSL_: ; @_ZN7rocprim17ROCPRIM_400000_NS6detail17trampoline_kernelINS0_14default_configENS1_38merge_sort_block_merge_config_selectorIyNS0_10empty_typeEEEZZNS1_27merge_sort_block_merge_implIS3_N6thrust23THRUST_200600_302600_NS6detail15normal_iteratorINS9_10device_ptrIyEEEEPS5_jNS1_19radix_merge_compareILb0ELb1EyNS0_19identity_decomposerEEEEE10hipError_tT0_T1_T2_jT3_P12ihipStream_tbPNSt15iterator_traitsISK_E10value_typeEPNSQ_ISL_E10value_typeEPSM_NS1_7vsmem_tEENKUlT_SK_SL_SM_E_clISE_PySF_SF_EESJ_SZ_SK_SL_SM_EUlSZ_E_NS1_11comp_targetILNS1_3genE8ELNS1_11target_archE1030ELNS1_3gpuE2ELNS1_3repE0EEENS1_48merge_mergepath_partition_config_static_selectorELNS0_4arch9wavefront6targetE1EEEvSL_
; %bb.0:
	.section	.rodata,"a",@progbits
	.p2align	6, 0x0
	.amdhsa_kernel _ZN7rocprim17ROCPRIM_400000_NS6detail17trampoline_kernelINS0_14default_configENS1_38merge_sort_block_merge_config_selectorIyNS0_10empty_typeEEEZZNS1_27merge_sort_block_merge_implIS3_N6thrust23THRUST_200600_302600_NS6detail15normal_iteratorINS9_10device_ptrIyEEEEPS5_jNS1_19radix_merge_compareILb0ELb1EyNS0_19identity_decomposerEEEEE10hipError_tT0_T1_T2_jT3_P12ihipStream_tbPNSt15iterator_traitsISK_E10value_typeEPNSQ_ISL_E10value_typeEPSM_NS1_7vsmem_tEENKUlT_SK_SL_SM_E_clISE_PySF_SF_EESJ_SZ_SK_SL_SM_EUlSZ_E_NS1_11comp_targetILNS1_3genE8ELNS1_11target_archE1030ELNS1_3gpuE2ELNS1_3repE0EEENS1_48merge_mergepath_partition_config_static_selectorELNS0_4arch9wavefront6targetE1EEEvSL_
		.amdhsa_group_segment_fixed_size 0
		.amdhsa_private_segment_fixed_size 0
		.amdhsa_kernarg_size 40
		.amdhsa_user_sgpr_count 2
		.amdhsa_user_sgpr_dispatch_ptr 0
		.amdhsa_user_sgpr_queue_ptr 0
		.amdhsa_user_sgpr_kernarg_segment_ptr 1
		.amdhsa_user_sgpr_dispatch_id 0
		.amdhsa_user_sgpr_kernarg_preload_length 0
		.amdhsa_user_sgpr_kernarg_preload_offset 0
		.amdhsa_user_sgpr_private_segment_size 0
		.amdhsa_uses_dynamic_stack 0
		.amdhsa_enable_private_segment 0
		.amdhsa_system_sgpr_workgroup_id_x 1
		.amdhsa_system_sgpr_workgroup_id_y 0
		.amdhsa_system_sgpr_workgroup_id_z 0
		.amdhsa_system_sgpr_workgroup_info 0
		.amdhsa_system_vgpr_workitem_id 0
		.amdhsa_next_free_vgpr 1
		.amdhsa_next_free_sgpr 0
		.amdhsa_accum_offset 4
		.amdhsa_reserve_vcc 0
		.amdhsa_float_round_mode_32 0
		.amdhsa_float_round_mode_16_64 0
		.amdhsa_float_denorm_mode_32 3
		.amdhsa_float_denorm_mode_16_64 3
		.amdhsa_dx10_clamp 1
		.amdhsa_ieee_mode 1
		.amdhsa_fp16_overflow 0
		.amdhsa_tg_split 0
		.amdhsa_exception_fp_ieee_invalid_op 0
		.amdhsa_exception_fp_denorm_src 0
		.amdhsa_exception_fp_ieee_div_zero 0
		.amdhsa_exception_fp_ieee_overflow 0
		.amdhsa_exception_fp_ieee_underflow 0
		.amdhsa_exception_fp_ieee_inexact 0
		.amdhsa_exception_int_div_zero 0
	.end_amdhsa_kernel
	.section	.text._ZN7rocprim17ROCPRIM_400000_NS6detail17trampoline_kernelINS0_14default_configENS1_38merge_sort_block_merge_config_selectorIyNS0_10empty_typeEEEZZNS1_27merge_sort_block_merge_implIS3_N6thrust23THRUST_200600_302600_NS6detail15normal_iteratorINS9_10device_ptrIyEEEEPS5_jNS1_19radix_merge_compareILb0ELb1EyNS0_19identity_decomposerEEEEE10hipError_tT0_T1_T2_jT3_P12ihipStream_tbPNSt15iterator_traitsISK_E10value_typeEPNSQ_ISL_E10value_typeEPSM_NS1_7vsmem_tEENKUlT_SK_SL_SM_E_clISE_PySF_SF_EESJ_SZ_SK_SL_SM_EUlSZ_E_NS1_11comp_targetILNS1_3genE8ELNS1_11target_archE1030ELNS1_3gpuE2ELNS1_3repE0EEENS1_48merge_mergepath_partition_config_static_selectorELNS0_4arch9wavefront6targetE1EEEvSL_,"axG",@progbits,_ZN7rocprim17ROCPRIM_400000_NS6detail17trampoline_kernelINS0_14default_configENS1_38merge_sort_block_merge_config_selectorIyNS0_10empty_typeEEEZZNS1_27merge_sort_block_merge_implIS3_N6thrust23THRUST_200600_302600_NS6detail15normal_iteratorINS9_10device_ptrIyEEEEPS5_jNS1_19radix_merge_compareILb0ELb1EyNS0_19identity_decomposerEEEEE10hipError_tT0_T1_T2_jT3_P12ihipStream_tbPNSt15iterator_traitsISK_E10value_typeEPNSQ_ISL_E10value_typeEPSM_NS1_7vsmem_tEENKUlT_SK_SL_SM_E_clISE_PySF_SF_EESJ_SZ_SK_SL_SM_EUlSZ_E_NS1_11comp_targetILNS1_3genE8ELNS1_11target_archE1030ELNS1_3gpuE2ELNS1_3repE0EEENS1_48merge_mergepath_partition_config_static_selectorELNS0_4arch9wavefront6targetE1EEEvSL_,comdat
.Lfunc_end820:
	.size	_ZN7rocprim17ROCPRIM_400000_NS6detail17trampoline_kernelINS0_14default_configENS1_38merge_sort_block_merge_config_selectorIyNS0_10empty_typeEEEZZNS1_27merge_sort_block_merge_implIS3_N6thrust23THRUST_200600_302600_NS6detail15normal_iteratorINS9_10device_ptrIyEEEEPS5_jNS1_19radix_merge_compareILb0ELb1EyNS0_19identity_decomposerEEEEE10hipError_tT0_T1_T2_jT3_P12ihipStream_tbPNSt15iterator_traitsISK_E10value_typeEPNSQ_ISL_E10value_typeEPSM_NS1_7vsmem_tEENKUlT_SK_SL_SM_E_clISE_PySF_SF_EESJ_SZ_SK_SL_SM_EUlSZ_E_NS1_11comp_targetILNS1_3genE8ELNS1_11target_archE1030ELNS1_3gpuE2ELNS1_3repE0EEENS1_48merge_mergepath_partition_config_static_selectorELNS0_4arch9wavefront6targetE1EEEvSL_, .Lfunc_end820-_ZN7rocprim17ROCPRIM_400000_NS6detail17trampoline_kernelINS0_14default_configENS1_38merge_sort_block_merge_config_selectorIyNS0_10empty_typeEEEZZNS1_27merge_sort_block_merge_implIS3_N6thrust23THRUST_200600_302600_NS6detail15normal_iteratorINS9_10device_ptrIyEEEEPS5_jNS1_19radix_merge_compareILb0ELb1EyNS0_19identity_decomposerEEEEE10hipError_tT0_T1_T2_jT3_P12ihipStream_tbPNSt15iterator_traitsISK_E10value_typeEPNSQ_ISL_E10value_typeEPSM_NS1_7vsmem_tEENKUlT_SK_SL_SM_E_clISE_PySF_SF_EESJ_SZ_SK_SL_SM_EUlSZ_E_NS1_11comp_targetILNS1_3genE8ELNS1_11target_archE1030ELNS1_3gpuE2ELNS1_3repE0EEENS1_48merge_mergepath_partition_config_static_selectorELNS0_4arch9wavefront6targetE1EEEvSL_
                                        ; -- End function
	.section	.AMDGPU.csdata,"",@progbits
; Kernel info:
; codeLenInByte = 0
; NumSgprs: 6
; NumVgprs: 0
; NumAgprs: 0
; TotalNumVgprs: 0
; ScratchSize: 0
; MemoryBound: 0
; FloatMode: 240
; IeeeMode: 1
; LDSByteSize: 0 bytes/workgroup (compile time only)
; SGPRBlocks: 0
; VGPRBlocks: 0
; NumSGPRsForWavesPerEU: 6
; NumVGPRsForWavesPerEU: 1
; AccumOffset: 4
; Occupancy: 8
; WaveLimiterHint : 0
; COMPUTE_PGM_RSRC2:SCRATCH_EN: 0
; COMPUTE_PGM_RSRC2:USER_SGPR: 2
; COMPUTE_PGM_RSRC2:TRAP_HANDLER: 0
; COMPUTE_PGM_RSRC2:TGID_X_EN: 1
; COMPUTE_PGM_RSRC2:TGID_Y_EN: 0
; COMPUTE_PGM_RSRC2:TGID_Z_EN: 0
; COMPUTE_PGM_RSRC2:TIDIG_COMP_CNT: 0
; COMPUTE_PGM_RSRC3_GFX90A:ACCUM_OFFSET: 0
; COMPUTE_PGM_RSRC3_GFX90A:TG_SPLIT: 0
	.section	.text._ZN7rocprim17ROCPRIM_400000_NS6detail17trampoline_kernelINS0_14default_configENS1_38merge_sort_block_merge_config_selectorIyNS0_10empty_typeEEEZZNS1_27merge_sort_block_merge_implIS3_N6thrust23THRUST_200600_302600_NS6detail15normal_iteratorINS9_10device_ptrIyEEEEPS5_jNS1_19radix_merge_compareILb0ELb1EyNS0_19identity_decomposerEEEEE10hipError_tT0_T1_T2_jT3_P12ihipStream_tbPNSt15iterator_traitsISK_E10value_typeEPNSQ_ISL_E10value_typeEPSM_NS1_7vsmem_tEENKUlT_SK_SL_SM_E_clISE_PySF_SF_EESJ_SZ_SK_SL_SM_EUlSZ_E0_NS1_11comp_targetILNS1_3genE0ELNS1_11target_archE4294967295ELNS1_3gpuE0ELNS1_3repE0EEENS1_38merge_mergepath_config_static_selectorELNS0_4arch9wavefront6targetE1EEEvSL_,"axG",@progbits,_ZN7rocprim17ROCPRIM_400000_NS6detail17trampoline_kernelINS0_14default_configENS1_38merge_sort_block_merge_config_selectorIyNS0_10empty_typeEEEZZNS1_27merge_sort_block_merge_implIS3_N6thrust23THRUST_200600_302600_NS6detail15normal_iteratorINS9_10device_ptrIyEEEEPS5_jNS1_19radix_merge_compareILb0ELb1EyNS0_19identity_decomposerEEEEE10hipError_tT0_T1_T2_jT3_P12ihipStream_tbPNSt15iterator_traitsISK_E10value_typeEPNSQ_ISL_E10value_typeEPSM_NS1_7vsmem_tEENKUlT_SK_SL_SM_E_clISE_PySF_SF_EESJ_SZ_SK_SL_SM_EUlSZ_E0_NS1_11comp_targetILNS1_3genE0ELNS1_11target_archE4294967295ELNS1_3gpuE0ELNS1_3repE0EEENS1_38merge_mergepath_config_static_selectorELNS0_4arch9wavefront6targetE1EEEvSL_,comdat
	.protected	_ZN7rocprim17ROCPRIM_400000_NS6detail17trampoline_kernelINS0_14default_configENS1_38merge_sort_block_merge_config_selectorIyNS0_10empty_typeEEEZZNS1_27merge_sort_block_merge_implIS3_N6thrust23THRUST_200600_302600_NS6detail15normal_iteratorINS9_10device_ptrIyEEEEPS5_jNS1_19radix_merge_compareILb0ELb1EyNS0_19identity_decomposerEEEEE10hipError_tT0_T1_T2_jT3_P12ihipStream_tbPNSt15iterator_traitsISK_E10value_typeEPNSQ_ISL_E10value_typeEPSM_NS1_7vsmem_tEENKUlT_SK_SL_SM_E_clISE_PySF_SF_EESJ_SZ_SK_SL_SM_EUlSZ_E0_NS1_11comp_targetILNS1_3genE0ELNS1_11target_archE4294967295ELNS1_3gpuE0ELNS1_3repE0EEENS1_38merge_mergepath_config_static_selectorELNS0_4arch9wavefront6targetE1EEEvSL_ ; -- Begin function _ZN7rocprim17ROCPRIM_400000_NS6detail17trampoline_kernelINS0_14default_configENS1_38merge_sort_block_merge_config_selectorIyNS0_10empty_typeEEEZZNS1_27merge_sort_block_merge_implIS3_N6thrust23THRUST_200600_302600_NS6detail15normal_iteratorINS9_10device_ptrIyEEEEPS5_jNS1_19radix_merge_compareILb0ELb1EyNS0_19identity_decomposerEEEEE10hipError_tT0_T1_T2_jT3_P12ihipStream_tbPNSt15iterator_traitsISK_E10value_typeEPNSQ_ISL_E10value_typeEPSM_NS1_7vsmem_tEENKUlT_SK_SL_SM_E_clISE_PySF_SF_EESJ_SZ_SK_SL_SM_EUlSZ_E0_NS1_11comp_targetILNS1_3genE0ELNS1_11target_archE4294967295ELNS1_3gpuE0ELNS1_3repE0EEENS1_38merge_mergepath_config_static_selectorELNS0_4arch9wavefront6targetE1EEEvSL_
	.globl	_ZN7rocprim17ROCPRIM_400000_NS6detail17trampoline_kernelINS0_14default_configENS1_38merge_sort_block_merge_config_selectorIyNS0_10empty_typeEEEZZNS1_27merge_sort_block_merge_implIS3_N6thrust23THRUST_200600_302600_NS6detail15normal_iteratorINS9_10device_ptrIyEEEEPS5_jNS1_19radix_merge_compareILb0ELb1EyNS0_19identity_decomposerEEEEE10hipError_tT0_T1_T2_jT3_P12ihipStream_tbPNSt15iterator_traitsISK_E10value_typeEPNSQ_ISL_E10value_typeEPSM_NS1_7vsmem_tEENKUlT_SK_SL_SM_E_clISE_PySF_SF_EESJ_SZ_SK_SL_SM_EUlSZ_E0_NS1_11comp_targetILNS1_3genE0ELNS1_11target_archE4294967295ELNS1_3gpuE0ELNS1_3repE0EEENS1_38merge_mergepath_config_static_selectorELNS0_4arch9wavefront6targetE1EEEvSL_
	.p2align	8
	.type	_ZN7rocprim17ROCPRIM_400000_NS6detail17trampoline_kernelINS0_14default_configENS1_38merge_sort_block_merge_config_selectorIyNS0_10empty_typeEEEZZNS1_27merge_sort_block_merge_implIS3_N6thrust23THRUST_200600_302600_NS6detail15normal_iteratorINS9_10device_ptrIyEEEEPS5_jNS1_19radix_merge_compareILb0ELb1EyNS0_19identity_decomposerEEEEE10hipError_tT0_T1_T2_jT3_P12ihipStream_tbPNSt15iterator_traitsISK_E10value_typeEPNSQ_ISL_E10value_typeEPSM_NS1_7vsmem_tEENKUlT_SK_SL_SM_E_clISE_PySF_SF_EESJ_SZ_SK_SL_SM_EUlSZ_E0_NS1_11comp_targetILNS1_3genE0ELNS1_11target_archE4294967295ELNS1_3gpuE0ELNS1_3repE0EEENS1_38merge_mergepath_config_static_selectorELNS0_4arch9wavefront6targetE1EEEvSL_,@function
_ZN7rocprim17ROCPRIM_400000_NS6detail17trampoline_kernelINS0_14default_configENS1_38merge_sort_block_merge_config_selectorIyNS0_10empty_typeEEEZZNS1_27merge_sort_block_merge_implIS3_N6thrust23THRUST_200600_302600_NS6detail15normal_iteratorINS9_10device_ptrIyEEEEPS5_jNS1_19radix_merge_compareILb0ELb1EyNS0_19identity_decomposerEEEEE10hipError_tT0_T1_T2_jT3_P12ihipStream_tbPNSt15iterator_traitsISK_E10value_typeEPNSQ_ISL_E10value_typeEPSM_NS1_7vsmem_tEENKUlT_SK_SL_SM_E_clISE_PySF_SF_EESJ_SZ_SK_SL_SM_EUlSZ_E0_NS1_11comp_targetILNS1_3genE0ELNS1_11target_archE4294967295ELNS1_3gpuE0ELNS1_3repE0EEENS1_38merge_mergepath_config_static_selectorELNS0_4arch9wavefront6targetE1EEEvSL_: ; @_ZN7rocprim17ROCPRIM_400000_NS6detail17trampoline_kernelINS0_14default_configENS1_38merge_sort_block_merge_config_selectorIyNS0_10empty_typeEEEZZNS1_27merge_sort_block_merge_implIS3_N6thrust23THRUST_200600_302600_NS6detail15normal_iteratorINS9_10device_ptrIyEEEEPS5_jNS1_19radix_merge_compareILb0ELb1EyNS0_19identity_decomposerEEEEE10hipError_tT0_T1_T2_jT3_P12ihipStream_tbPNSt15iterator_traitsISK_E10value_typeEPNSQ_ISL_E10value_typeEPSM_NS1_7vsmem_tEENKUlT_SK_SL_SM_E_clISE_PySF_SF_EESJ_SZ_SK_SL_SM_EUlSZ_E0_NS1_11comp_targetILNS1_3genE0ELNS1_11target_archE4294967295ELNS1_3gpuE0ELNS1_3repE0EEENS1_38merge_mergepath_config_static_selectorELNS0_4arch9wavefront6targetE1EEEvSL_
; %bb.0:
	.section	.rodata,"a",@progbits
	.p2align	6, 0x0
	.amdhsa_kernel _ZN7rocprim17ROCPRIM_400000_NS6detail17trampoline_kernelINS0_14default_configENS1_38merge_sort_block_merge_config_selectorIyNS0_10empty_typeEEEZZNS1_27merge_sort_block_merge_implIS3_N6thrust23THRUST_200600_302600_NS6detail15normal_iteratorINS9_10device_ptrIyEEEEPS5_jNS1_19radix_merge_compareILb0ELb1EyNS0_19identity_decomposerEEEEE10hipError_tT0_T1_T2_jT3_P12ihipStream_tbPNSt15iterator_traitsISK_E10value_typeEPNSQ_ISL_E10value_typeEPSM_NS1_7vsmem_tEENKUlT_SK_SL_SM_E_clISE_PySF_SF_EESJ_SZ_SK_SL_SM_EUlSZ_E0_NS1_11comp_targetILNS1_3genE0ELNS1_11target_archE4294967295ELNS1_3gpuE0ELNS1_3repE0EEENS1_38merge_mergepath_config_static_selectorELNS0_4arch9wavefront6targetE1EEEvSL_
		.amdhsa_group_segment_fixed_size 0
		.amdhsa_private_segment_fixed_size 0
		.amdhsa_kernarg_size 72
		.amdhsa_user_sgpr_count 2
		.amdhsa_user_sgpr_dispatch_ptr 0
		.amdhsa_user_sgpr_queue_ptr 0
		.amdhsa_user_sgpr_kernarg_segment_ptr 1
		.amdhsa_user_sgpr_dispatch_id 0
		.amdhsa_user_sgpr_kernarg_preload_length 0
		.amdhsa_user_sgpr_kernarg_preload_offset 0
		.amdhsa_user_sgpr_private_segment_size 0
		.amdhsa_uses_dynamic_stack 0
		.amdhsa_enable_private_segment 0
		.amdhsa_system_sgpr_workgroup_id_x 1
		.amdhsa_system_sgpr_workgroup_id_y 0
		.amdhsa_system_sgpr_workgroup_id_z 0
		.amdhsa_system_sgpr_workgroup_info 0
		.amdhsa_system_vgpr_workitem_id 0
		.amdhsa_next_free_vgpr 1
		.amdhsa_next_free_sgpr 0
		.amdhsa_accum_offset 4
		.amdhsa_reserve_vcc 0
		.amdhsa_float_round_mode_32 0
		.amdhsa_float_round_mode_16_64 0
		.amdhsa_float_denorm_mode_32 3
		.amdhsa_float_denorm_mode_16_64 3
		.amdhsa_dx10_clamp 1
		.amdhsa_ieee_mode 1
		.amdhsa_fp16_overflow 0
		.amdhsa_tg_split 0
		.amdhsa_exception_fp_ieee_invalid_op 0
		.amdhsa_exception_fp_denorm_src 0
		.amdhsa_exception_fp_ieee_div_zero 0
		.amdhsa_exception_fp_ieee_overflow 0
		.amdhsa_exception_fp_ieee_underflow 0
		.amdhsa_exception_fp_ieee_inexact 0
		.amdhsa_exception_int_div_zero 0
	.end_amdhsa_kernel
	.section	.text._ZN7rocprim17ROCPRIM_400000_NS6detail17trampoline_kernelINS0_14default_configENS1_38merge_sort_block_merge_config_selectorIyNS0_10empty_typeEEEZZNS1_27merge_sort_block_merge_implIS3_N6thrust23THRUST_200600_302600_NS6detail15normal_iteratorINS9_10device_ptrIyEEEEPS5_jNS1_19radix_merge_compareILb0ELb1EyNS0_19identity_decomposerEEEEE10hipError_tT0_T1_T2_jT3_P12ihipStream_tbPNSt15iterator_traitsISK_E10value_typeEPNSQ_ISL_E10value_typeEPSM_NS1_7vsmem_tEENKUlT_SK_SL_SM_E_clISE_PySF_SF_EESJ_SZ_SK_SL_SM_EUlSZ_E0_NS1_11comp_targetILNS1_3genE0ELNS1_11target_archE4294967295ELNS1_3gpuE0ELNS1_3repE0EEENS1_38merge_mergepath_config_static_selectorELNS0_4arch9wavefront6targetE1EEEvSL_,"axG",@progbits,_ZN7rocprim17ROCPRIM_400000_NS6detail17trampoline_kernelINS0_14default_configENS1_38merge_sort_block_merge_config_selectorIyNS0_10empty_typeEEEZZNS1_27merge_sort_block_merge_implIS3_N6thrust23THRUST_200600_302600_NS6detail15normal_iteratorINS9_10device_ptrIyEEEEPS5_jNS1_19radix_merge_compareILb0ELb1EyNS0_19identity_decomposerEEEEE10hipError_tT0_T1_T2_jT3_P12ihipStream_tbPNSt15iterator_traitsISK_E10value_typeEPNSQ_ISL_E10value_typeEPSM_NS1_7vsmem_tEENKUlT_SK_SL_SM_E_clISE_PySF_SF_EESJ_SZ_SK_SL_SM_EUlSZ_E0_NS1_11comp_targetILNS1_3genE0ELNS1_11target_archE4294967295ELNS1_3gpuE0ELNS1_3repE0EEENS1_38merge_mergepath_config_static_selectorELNS0_4arch9wavefront6targetE1EEEvSL_,comdat
.Lfunc_end821:
	.size	_ZN7rocprim17ROCPRIM_400000_NS6detail17trampoline_kernelINS0_14default_configENS1_38merge_sort_block_merge_config_selectorIyNS0_10empty_typeEEEZZNS1_27merge_sort_block_merge_implIS3_N6thrust23THRUST_200600_302600_NS6detail15normal_iteratorINS9_10device_ptrIyEEEEPS5_jNS1_19radix_merge_compareILb0ELb1EyNS0_19identity_decomposerEEEEE10hipError_tT0_T1_T2_jT3_P12ihipStream_tbPNSt15iterator_traitsISK_E10value_typeEPNSQ_ISL_E10value_typeEPSM_NS1_7vsmem_tEENKUlT_SK_SL_SM_E_clISE_PySF_SF_EESJ_SZ_SK_SL_SM_EUlSZ_E0_NS1_11comp_targetILNS1_3genE0ELNS1_11target_archE4294967295ELNS1_3gpuE0ELNS1_3repE0EEENS1_38merge_mergepath_config_static_selectorELNS0_4arch9wavefront6targetE1EEEvSL_, .Lfunc_end821-_ZN7rocprim17ROCPRIM_400000_NS6detail17trampoline_kernelINS0_14default_configENS1_38merge_sort_block_merge_config_selectorIyNS0_10empty_typeEEEZZNS1_27merge_sort_block_merge_implIS3_N6thrust23THRUST_200600_302600_NS6detail15normal_iteratorINS9_10device_ptrIyEEEEPS5_jNS1_19radix_merge_compareILb0ELb1EyNS0_19identity_decomposerEEEEE10hipError_tT0_T1_T2_jT3_P12ihipStream_tbPNSt15iterator_traitsISK_E10value_typeEPNSQ_ISL_E10value_typeEPSM_NS1_7vsmem_tEENKUlT_SK_SL_SM_E_clISE_PySF_SF_EESJ_SZ_SK_SL_SM_EUlSZ_E0_NS1_11comp_targetILNS1_3genE0ELNS1_11target_archE4294967295ELNS1_3gpuE0ELNS1_3repE0EEENS1_38merge_mergepath_config_static_selectorELNS0_4arch9wavefront6targetE1EEEvSL_
                                        ; -- End function
	.section	.AMDGPU.csdata,"",@progbits
; Kernel info:
; codeLenInByte = 0
; NumSgprs: 6
; NumVgprs: 0
; NumAgprs: 0
; TotalNumVgprs: 0
; ScratchSize: 0
; MemoryBound: 0
; FloatMode: 240
; IeeeMode: 1
; LDSByteSize: 0 bytes/workgroup (compile time only)
; SGPRBlocks: 0
; VGPRBlocks: 0
; NumSGPRsForWavesPerEU: 6
; NumVGPRsForWavesPerEU: 1
; AccumOffset: 4
; Occupancy: 8
; WaveLimiterHint : 0
; COMPUTE_PGM_RSRC2:SCRATCH_EN: 0
; COMPUTE_PGM_RSRC2:USER_SGPR: 2
; COMPUTE_PGM_RSRC2:TRAP_HANDLER: 0
; COMPUTE_PGM_RSRC2:TGID_X_EN: 1
; COMPUTE_PGM_RSRC2:TGID_Y_EN: 0
; COMPUTE_PGM_RSRC2:TGID_Z_EN: 0
; COMPUTE_PGM_RSRC2:TIDIG_COMP_CNT: 0
; COMPUTE_PGM_RSRC3_GFX90A:ACCUM_OFFSET: 0
; COMPUTE_PGM_RSRC3_GFX90A:TG_SPLIT: 0
	.section	.text._ZN7rocprim17ROCPRIM_400000_NS6detail17trampoline_kernelINS0_14default_configENS1_38merge_sort_block_merge_config_selectorIyNS0_10empty_typeEEEZZNS1_27merge_sort_block_merge_implIS3_N6thrust23THRUST_200600_302600_NS6detail15normal_iteratorINS9_10device_ptrIyEEEEPS5_jNS1_19radix_merge_compareILb0ELb1EyNS0_19identity_decomposerEEEEE10hipError_tT0_T1_T2_jT3_P12ihipStream_tbPNSt15iterator_traitsISK_E10value_typeEPNSQ_ISL_E10value_typeEPSM_NS1_7vsmem_tEENKUlT_SK_SL_SM_E_clISE_PySF_SF_EESJ_SZ_SK_SL_SM_EUlSZ_E0_NS1_11comp_targetILNS1_3genE10ELNS1_11target_archE1201ELNS1_3gpuE5ELNS1_3repE0EEENS1_38merge_mergepath_config_static_selectorELNS0_4arch9wavefront6targetE1EEEvSL_,"axG",@progbits,_ZN7rocprim17ROCPRIM_400000_NS6detail17trampoline_kernelINS0_14default_configENS1_38merge_sort_block_merge_config_selectorIyNS0_10empty_typeEEEZZNS1_27merge_sort_block_merge_implIS3_N6thrust23THRUST_200600_302600_NS6detail15normal_iteratorINS9_10device_ptrIyEEEEPS5_jNS1_19radix_merge_compareILb0ELb1EyNS0_19identity_decomposerEEEEE10hipError_tT0_T1_T2_jT3_P12ihipStream_tbPNSt15iterator_traitsISK_E10value_typeEPNSQ_ISL_E10value_typeEPSM_NS1_7vsmem_tEENKUlT_SK_SL_SM_E_clISE_PySF_SF_EESJ_SZ_SK_SL_SM_EUlSZ_E0_NS1_11comp_targetILNS1_3genE10ELNS1_11target_archE1201ELNS1_3gpuE5ELNS1_3repE0EEENS1_38merge_mergepath_config_static_selectorELNS0_4arch9wavefront6targetE1EEEvSL_,comdat
	.protected	_ZN7rocprim17ROCPRIM_400000_NS6detail17trampoline_kernelINS0_14default_configENS1_38merge_sort_block_merge_config_selectorIyNS0_10empty_typeEEEZZNS1_27merge_sort_block_merge_implIS3_N6thrust23THRUST_200600_302600_NS6detail15normal_iteratorINS9_10device_ptrIyEEEEPS5_jNS1_19radix_merge_compareILb0ELb1EyNS0_19identity_decomposerEEEEE10hipError_tT0_T1_T2_jT3_P12ihipStream_tbPNSt15iterator_traitsISK_E10value_typeEPNSQ_ISL_E10value_typeEPSM_NS1_7vsmem_tEENKUlT_SK_SL_SM_E_clISE_PySF_SF_EESJ_SZ_SK_SL_SM_EUlSZ_E0_NS1_11comp_targetILNS1_3genE10ELNS1_11target_archE1201ELNS1_3gpuE5ELNS1_3repE0EEENS1_38merge_mergepath_config_static_selectorELNS0_4arch9wavefront6targetE1EEEvSL_ ; -- Begin function _ZN7rocprim17ROCPRIM_400000_NS6detail17trampoline_kernelINS0_14default_configENS1_38merge_sort_block_merge_config_selectorIyNS0_10empty_typeEEEZZNS1_27merge_sort_block_merge_implIS3_N6thrust23THRUST_200600_302600_NS6detail15normal_iteratorINS9_10device_ptrIyEEEEPS5_jNS1_19radix_merge_compareILb0ELb1EyNS0_19identity_decomposerEEEEE10hipError_tT0_T1_T2_jT3_P12ihipStream_tbPNSt15iterator_traitsISK_E10value_typeEPNSQ_ISL_E10value_typeEPSM_NS1_7vsmem_tEENKUlT_SK_SL_SM_E_clISE_PySF_SF_EESJ_SZ_SK_SL_SM_EUlSZ_E0_NS1_11comp_targetILNS1_3genE10ELNS1_11target_archE1201ELNS1_3gpuE5ELNS1_3repE0EEENS1_38merge_mergepath_config_static_selectorELNS0_4arch9wavefront6targetE1EEEvSL_
	.globl	_ZN7rocprim17ROCPRIM_400000_NS6detail17trampoline_kernelINS0_14default_configENS1_38merge_sort_block_merge_config_selectorIyNS0_10empty_typeEEEZZNS1_27merge_sort_block_merge_implIS3_N6thrust23THRUST_200600_302600_NS6detail15normal_iteratorINS9_10device_ptrIyEEEEPS5_jNS1_19radix_merge_compareILb0ELb1EyNS0_19identity_decomposerEEEEE10hipError_tT0_T1_T2_jT3_P12ihipStream_tbPNSt15iterator_traitsISK_E10value_typeEPNSQ_ISL_E10value_typeEPSM_NS1_7vsmem_tEENKUlT_SK_SL_SM_E_clISE_PySF_SF_EESJ_SZ_SK_SL_SM_EUlSZ_E0_NS1_11comp_targetILNS1_3genE10ELNS1_11target_archE1201ELNS1_3gpuE5ELNS1_3repE0EEENS1_38merge_mergepath_config_static_selectorELNS0_4arch9wavefront6targetE1EEEvSL_
	.p2align	8
	.type	_ZN7rocprim17ROCPRIM_400000_NS6detail17trampoline_kernelINS0_14default_configENS1_38merge_sort_block_merge_config_selectorIyNS0_10empty_typeEEEZZNS1_27merge_sort_block_merge_implIS3_N6thrust23THRUST_200600_302600_NS6detail15normal_iteratorINS9_10device_ptrIyEEEEPS5_jNS1_19radix_merge_compareILb0ELb1EyNS0_19identity_decomposerEEEEE10hipError_tT0_T1_T2_jT3_P12ihipStream_tbPNSt15iterator_traitsISK_E10value_typeEPNSQ_ISL_E10value_typeEPSM_NS1_7vsmem_tEENKUlT_SK_SL_SM_E_clISE_PySF_SF_EESJ_SZ_SK_SL_SM_EUlSZ_E0_NS1_11comp_targetILNS1_3genE10ELNS1_11target_archE1201ELNS1_3gpuE5ELNS1_3repE0EEENS1_38merge_mergepath_config_static_selectorELNS0_4arch9wavefront6targetE1EEEvSL_,@function
_ZN7rocprim17ROCPRIM_400000_NS6detail17trampoline_kernelINS0_14default_configENS1_38merge_sort_block_merge_config_selectorIyNS0_10empty_typeEEEZZNS1_27merge_sort_block_merge_implIS3_N6thrust23THRUST_200600_302600_NS6detail15normal_iteratorINS9_10device_ptrIyEEEEPS5_jNS1_19radix_merge_compareILb0ELb1EyNS0_19identity_decomposerEEEEE10hipError_tT0_T1_T2_jT3_P12ihipStream_tbPNSt15iterator_traitsISK_E10value_typeEPNSQ_ISL_E10value_typeEPSM_NS1_7vsmem_tEENKUlT_SK_SL_SM_E_clISE_PySF_SF_EESJ_SZ_SK_SL_SM_EUlSZ_E0_NS1_11comp_targetILNS1_3genE10ELNS1_11target_archE1201ELNS1_3gpuE5ELNS1_3repE0EEENS1_38merge_mergepath_config_static_selectorELNS0_4arch9wavefront6targetE1EEEvSL_: ; @_ZN7rocprim17ROCPRIM_400000_NS6detail17trampoline_kernelINS0_14default_configENS1_38merge_sort_block_merge_config_selectorIyNS0_10empty_typeEEEZZNS1_27merge_sort_block_merge_implIS3_N6thrust23THRUST_200600_302600_NS6detail15normal_iteratorINS9_10device_ptrIyEEEEPS5_jNS1_19radix_merge_compareILb0ELb1EyNS0_19identity_decomposerEEEEE10hipError_tT0_T1_T2_jT3_P12ihipStream_tbPNSt15iterator_traitsISK_E10value_typeEPNSQ_ISL_E10value_typeEPSM_NS1_7vsmem_tEENKUlT_SK_SL_SM_E_clISE_PySF_SF_EESJ_SZ_SK_SL_SM_EUlSZ_E0_NS1_11comp_targetILNS1_3genE10ELNS1_11target_archE1201ELNS1_3gpuE5ELNS1_3repE0EEENS1_38merge_mergepath_config_static_selectorELNS0_4arch9wavefront6targetE1EEEvSL_
; %bb.0:
	.section	.rodata,"a",@progbits
	.p2align	6, 0x0
	.amdhsa_kernel _ZN7rocprim17ROCPRIM_400000_NS6detail17trampoline_kernelINS0_14default_configENS1_38merge_sort_block_merge_config_selectorIyNS0_10empty_typeEEEZZNS1_27merge_sort_block_merge_implIS3_N6thrust23THRUST_200600_302600_NS6detail15normal_iteratorINS9_10device_ptrIyEEEEPS5_jNS1_19radix_merge_compareILb0ELb1EyNS0_19identity_decomposerEEEEE10hipError_tT0_T1_T2_jT3_P12ihipStream_tbPNSt15iterator_traitsISK_E10value_typeEPNSQ_ISL_E10value_typeEPSM_NS1_7vsmem_tEENKUlT_SK_SL_SM_E_clISE_PySF_SF_EESJ_SZ_SK_SL_SM_EUlSZ_E0_NS1_11comp_targetILNS1_3genE10ELNS1_11target_archE1201ELNS1_3gpuE5ELNS1_3repE0EEENS1_38merge_mergepath_config_static_selectorELNS0_4arch9wavefront6targetE1EEEvSL_
		.amdhsa_group_segment_fixed_size 0
		.amdhsa_private_segment_fixed_size 0
		.amdhsa_kernarg_size 72
		.amdhsa_user_sgpr_count 2
		.amdhsa_user_sgpr_dispatch_ptr 0
		.amdhsa_user_sgpr_queue_ptr 0
		.amdhsa_user_sgpr_kernarg_segment_ptr 1
		.amdhsa_user_sgpr_dispatch_id 0
		.amdhsa_user_sgpr_kernarg_preload_length 0
		.amdhsa_user_sgpr_kernarg_preload_offset 0
		.amdhsa_user_sgpr_private_segment_size 0
		.amdhsa_uses_dynamic_stack 0
		.amdhsa_enable_private_segment 0
		.amdhsa_system_sgpr_workgroup_id_x 1
		.amdhsa_system_sgpr_workgroup_id_y 0
		.amdhsa_system_sgpr_workgroup_id_z 0
		.amdhsa_system_sgpr_workgroup_info 0
		.amdhsa_system_vgpr_workitem_id 0
		.amdhsa_next_free_vgpr 1
		.amdhsa_next_free_sgpr 0
		.amdhsa_accum_offset 4
		.amdhsa_reserve_vcc 0
		.amdhsa_float_round_mode_32 0
		.amdhsa_float_round_mode_16_64 0
		.amdhsa_float_denorm_mode_32 3
		.amdhsa_float_denorm_mode_16_64 3
		.amdhsa_dx10_clamp 1
		.amdhsa_ieee_mode 1
		.amdhsa_fp16_overflow 0
		.amdhsa_tg_split 0
		.amdhsa_exception_fp_ieee_invalid_op 0
		.amdhsa_exception_fp_denorm_src 0
		.amdhsa_exception_fp_ieee_div_zero 0
		.amdhsa_exception_fp_ieee_overflow 0
		.amdhsa_exception_fp_ieee_underflow 0
		.amdhsa_exception_fp_ieee_inexact 0
		.amdhsa_exception_int_div_zero 0
	.end_amdhsa_kernel
	.section	.text._ZN7rocprim17ROCPRIM_400000_NS6detail17trampoline_kernelINS0_14default_configENS1_38merge_sort_block_merge_config_selectorIyNS0_10empty_typeEEEZZNS1_27merge_sort_block_merge_implIS3_N6thrust23THRUST_200600_302600_NS6detail15normal_iteratorINS9_10device_ptrIyEEEEPS5_jNS1_19radix_merge_compareILb0ELb1EyNS0_19identity_decomposerEEEEE10hipError_tT0_T1_T2_jT3_P12ihipStream_tbPNSt15iterator_traitsISK_E10value_typeEPNSQ_ISL_E10value_typeEPSM_NS1_7vsmem_tEENKUlT_SK_SL_SM_E_clISE_PySF_SF_EESJ_SZ_SK_SL_SM_EUlSZ_E0_NS1_11comp_targetILNS1_3genE10ELNS1_11target_archE1201ELNS1_3gpuE5ELNS1_3repE0EEENS1_38merge_mergepath_config_static_selectorELNS0_4arch9wavefront6targetE1EEEvSL_,"axG",@progbits,_ZN7rocprim17ROCPRIM_400000_NS6detail17trampoline_kernelINS0_14default_configENS1_38merge_sort_block_merge_config_selectorIyNS0_10empty_typeEEEZZNS1_27merge_sort_block_merge_implIS3_N6thrust23THRUST_200600_302600_NS6detail15normal_iteratorINS9_10device_ptrIyEEEEPS5_jNS1_19radix_merge_compareILb0ELb1EyNS0_19identity_decomposerEEEEE10hipError_tT0_T1_T2_jT3_P12ihipStream_tbPNSt15iterator_traitsISK_E10value_typeEPNSQ_ISL_E10value_typeEPSM_NS1_7vsmem_tEENKUlT_SK_SL_SM_E_clISE_PySF_SF_EESJ_SZ_SK_SL_SM_EUlSZ_E0_NS1_11comp_targetILNS1_3genE10ELNS1_11target_archE1201ELNS1_3gpuE5ELNS1_3repE0EEENS1_38merge_mergepath_config_static_selectorELNS0_4arch9wavefront6targetE1EEEvSL_,comdat
.Lfunc_end822:
	.size	_ZN7rocprim17ROCPRIM_400000_NS6detail17trampoline_kernelINS0_14default_configENS1_38merge_sort_block_merge_config_selectorIyNS0_10empty_typeEEEZZNS1_27merge_sort_block_merge_implIS3_N6thrust23THRUST_200600_302600_NS6detail15normal_iteratorINS9_10device_ptrIyEEEEPS5_jNS1_19radix_merge_compareILb0ELb1EyNS0_19identity_decomposerEEEEE10hipError_tT0_T1_T2_jT3_P12ihipStream_tbPNSt15iterator_traitsISK_E10value_typeEPNSQ_ISL_E10value_typeEPSM_NS1_7vsmem_tEENKUlT_SK_SL_SM_E_clISE_PySF_SF_EESJ_SZ_SK_SL_SM_EUlSZ_E0_NS1_11comp_targetILNS1_3genE10ELNS1_11target_archE1201ELNS1_3gpuE5ELNS1_3repE0EEENS1_38merge_mergepath_config_static_selectorELNS0_4arch9wavefront6targetE1EEEvSL_, .Lfunc_end822-_ZN7rocprim17ROCPRIM_400000_NS6detail17trampoline_kernelINS0_14default_configENS1_38merge_sort_block_merge_config_selectorIyNS0_10empty_typeEEEZZNS1_27merge_sort_block_merge_implIS3_N6thrust23THRUST_200600_302600_NS6detail15normal_iteratorINS9_10device_ptrIyEEEEPS5_jNS1_19radix_merge_compareILb0ELb1EyNS0_19identity_decomposerEEEEE10hipError_tT0_T1_T2_jT3_P12ihipStream_tbPNSt15iterator_traitsISK_E10value_typeEPNSQ_ISL_E10value_typeEPSM_NS1_7vsmem_tEENKUlT_SK_SL_SM_E_clISE_PySF_SF_EESJ_SZ_SK_SL_SM_EUlSZ_E0_NS1_11comp_targetILNS1_3genE10ELNS1_11target_archE1201ELNS1_3gpuE5ELNS1_3repE0EEENS1_38merge_mergepath_config_static_selectorELNS0_4arch9wavefront6targetE1EEEvSL_
                                        ; -- End function
	.section	.AMDGPU.csdata,"",@progbits
; Kernel info:
; codeLenInByte = 0
; NumSgprs: 6
; NumVgprs: 0
; NumAgprs: 0
; TotalNumVgprs: 0
; ScratchSize: 0
; MemoryBound: 0
; FloatMode: 240
; IeeeMode: 1
; LDSByteSize: 0 bytes/workgroup (compile time only)
; SGPRBlocks: 0
; VGPRBlocks: 0
; NumSGPRsForWavesPerEU: 6
; NumVGPRsForWavesPerEU: 1
; AccumOffset: 4
; Occupancy: 8
; WaveLimiterHint : 0
; COMPUTE_PGM_RSRC2:SCRATCH_EN: 0
; COMPUTE_PGM_RSRC2:USER_SGPR: 2
; COMPUTE_PGM_RSRC2:TRAP_HANDLER: 0
; COMPUTE_PGM_RSRC2:TGID_X_EN: 1
; COMPUTE_PGM_RSRC2:TGID_Y_EN: 0
; COMPUTE_PGM_RSRC2:TGID_Z_EN: 0
; COMPUTE_PGM_RSRC2:TIDIG_COMP_CNT: 0
; COMPUTE_PGM_RSRC3_GFX90A:ACCUM_OFFSET: 0
; COMPUTE_PGM_RSRC3_GFX90A:TG_SPLIT: 0
	.section	.text._ZN7rocprim17ROCPRIM_400000_NS6detail17trampoline_kernelINS0_14default_configENS1_38merge_sort_block_merge_config_selectorIyNS0_10empty_typeEEEZZNS1_27merge_sort_block_merge_implIS3_N6thrust23THRUST_200600_302600_NS6detail15normal_iteratorINS9_10device_ptrIyEEEEPS5_jNS1_19radix_merge_compareILb0ELb1EyNS0_19identity_decomposerEEEEE10hipError_tT0_T1_T2_jT3_P12ihipStream_tbPNSt15iterator_traitsISK_E10value_typeEPNSQ_ISL_E10value_typeEPSM_NS1_7vsmem_tEENKUlT_SK_SL_SM_E_clISE_PySF_SF_EESJ_SZ_SK_SL_SM_EUlSZ_E0_NS1_11comp_targetILNS1_3genE5ELNS1_11target_archE942ELNS1_3gpuE9ELNS1_3repE0EEENS1_38merge_mergepath_config_static_selectorELNS0_4arch9wavefront6targetE1EEEvSL_,"axG",@progbits,_ZN7rocprim17ROCPRIM_400000_NS6detail17trampoline_kernelINS0_14default_configENS1_38merge_sort_block_merge_config_selectorIyNS0_10empty_typeEEEZZNS1_27merge_sort_block_merge_implIS3_N6thrust23THRUST_200600_302600_NS6detail15normal_iteratorINS9_10device_ptrIyEEEEPS5_jNS1_19radix_merge_compareILb0ELb1EyNS0_19identity_decomposerEEEEE10hipError_tT0_T1_T2_jT3_P12ihipStream_tbPNSt15iterator_traitsISK_E10value_typeEPNSQ_ISL_E10value_typeEPSM_NS1_7vsmem_tEENKUlT_SK_SL_SM_E_clISE_PySF_SF_EESJ_SZ_SK_SL_SM_EUlSZ_E0_NS1_11comp_targetILNS1_3genE5ELNS1_11target_archE942ELNS1_3gpuE9ELNS1_3repE0EEENS1_38merge_mergepath_config_static_selectorELNS0_4arch9wavefront6targetE1EEEvSL_,comdat
	.protected	_ZN7rocprim17ROCPRIM_400000_NS6detail17trampoline_kernelINS0_14default_configENS1_38merge_sort_block_merge_config_selectorIyNS0_10empty_typeEEEZZNS1_27merge_sort_block_merge_implIS3_N6thrust23THRUST_200600_302600_NS6detail15normal_iteratorINS9_10device_ptrIyEEEEPS5_jNS1_19radix_merge_compareILb0ELb1EyNS0_19identity_decomposerEEEEE10hipError_tT0_T1_T2_jT3_P12ihipStream_tbPNSt15iterator_traitsISK_E10value_typeEPNSQ_ISL_E10value_typeEPSM_NS1_7vsmem_tEENKUlT_SK_SL_SM_E_clISE_PySF_SF_EESJ_SZ_SK_SL_SM_EUlSZ_E0_NS1_11comp_targetILNS1_3genE5ELNS1_11target_archE942ELNS1_3gpuE9ELNS1_3repE0EEENS1_38merge_mergepath_config_static_selectorELNS0_4arch9wavefront6targetE1EEEvSL_ ; -- Begin function _ZN7rocprim17ROCPRIM_400000_NS6detail17trampoline_kernelINS0_14default_configENS1_38merge_sort_block_merge_config_selectorIyNS0_10empty_typeEEEZZNS1_27merge_sort_block_merge_implIS3_N6thrust23THRUST_200600_302600_NS6detail15normal_iteratorINS9_10device_ptrIyEEEEPS5_jNS1_19radix_merge_compareILb0ELb1EyNS0_19identity_decomposerEEEEE10hipError_tT0_T1_T2_jT3_P12ihipStream_tbPNSt15iterator_traitsISK_E10value_typeEPNSQ_ISL_E10value_typeEPSM_NS1_7vsmem_tEENKUlT_SK_SL_SM_E_clISE_PySF_SF_EESJ_SZ_SK_SL_SM_EUlSZ_E0_NS1_11comp_targetILNS1_3genE5ELNS1_11target_archE942ELNS1_3gpuE9ELNS1_3repE0EEENS1_38merge_mergepath_config_static_selectorELNS0_4arch9wavefront6targetE1EEEvSL_
	.globl	_ZN7rocprim17ROCPRIM_400000_NS6detail17trampoline_kernelINS0_14default_configENS1_38merge_sort_block_merge_config_selectorIyNS0_10empty_typeEEEZZNS1_27merge_sort_block_merge_implIS3_N6thrust23THRUST_200600_302600_NS6detail15normal_iteratorINS9_10device_ptrIyEEEEPS5_jNS1_19radix_merge_compareILb0ELb1EyNS0_19identity_decomposerEEEEE10hipError_tT0_T1_T2_jT3_P12ihipStream_tbPNSt15iterator_traitsISK_E10value_typeEPNSQ_ISL_E10value_typeEPSM_NS1_7vsmem_tEENKUlT_SK_SL_SM_E_clISE_PySF_SF_EESJ_SZ_SK_SL_SM_EUlSZ_E0_NS1_11comp_targetILNS1_3genE5ELNS1_11target_archE942ELNS1_3gpuE9ELNS1_3repE0EEENS1_38merge_mergepath_config_static_selectorELNS0_4arch9wavefront6targetE1EEEvSL_
	.p2align	8
	.type	_ZN7rocprim17ROCPRIM_400000_NS6detail17trampoline_kernelINS0_14default_configENS1_38merge_sort_block_merge_config_selectorIyNS0_10empty_typeEEEZZNS1_27merge_sort_block_merge_implIS3_N6thrust23THRUST_200600_302600_NS6detail15normal_iteratorINS9_10device_ptrIyEEEEPS5_jNS1_19radix_merge_compareILb0ELb1EyNS0_19identity_decomposerEEEEE10hipError_tT0_T1_T2_jT3_P12ihipStream_tbPNSt15iterator_traitsISK_E10value_typeEPNSQ_ISL_E10value_typeEPSM_NS1_7vsmem_tEENKUlT_SK_SL_SM_E_clISE_PySF_SF_EESJ_SZ_SK_SL_SM_EUlSZ_E0_NS1_11comp_targetILNS1_3genE5ELNS1_11target_archE942ELNS1_3gpuE9ELNS1_3repE0EEENS1_38merge_mergepath_config_static_selectorELNS0_4arch9wavefront6targetE1EEEvSL_,@function
_ZN7rocprim17ROCPRIM_400000_NS6detail17trampoline_kernelINS0_14default_configENS1_38merge_sort_block_merge_config_selectorIyNS0_10empty_typeEEEZZNS1_27merge_sort_block_merge_implIS3_N6thrust23THRUST_200600_302600_NS6detail15normal_iteratorINS9_10device_ptrIyEEEEPS5_jNS1_19radix_merge_compareILb0ELb1EyNS0_19identity_decomposerEEEEE10hipError_tT0_T1_T2_jT3_P12ihipStream_tbPNSt15iterator_traitsISK_E10value_typeEPNSQ_ISL_E10value_typeEPSM_NS1_7vsmem_tEENKUlT_SK_SL_SM_E_clISE_PySF_SF_EESJ_SZ_SK_SL_SM_EUlSZ_E0_NS1_11comp_targetILNS1_3genE5ELNS1_11target_archE942ELNS1_3gpuE9ELNS1_3repE0EEENS1_38merge_mergepath_config_static_selectorELNS0_4arch9wavefront6targetE1EEEvSL_: ; @_ZN7rocprim17ROCPRIM_400000_NS6detail17trampoline_kernelINS0_14default_configENS1_38merge_sort_block_merge_config_selectorIyNS0_10empty_typeEEEZZNS1_27merge_sort_block_merge_implIS3_N6thrust23THRUST_200600_302600_NS6detail15normal_iteratorINS9_10device_ptrIyEEEEPS5_jNS1_19radix_merge_compareILb0ELb1EyNS0_19identity_decomposerEEEEE10hipError_tT0_T1_T2_jT3_P12ihipStream_tbPNSt15iterator_traitsISK_E10value_typeEPNSQ_ISL_E10value_typeEPSM_NS1_7vsmem_tEENKUlT_SK_SL_SM_E_clISE_PySF_SF_EESJ_SZ_SK_SL_SM_EUlSZ_E0_NS1_11comp_targetILNS1_3genE5ELNS1_11target_archE942ELNS1_3gpuE9ELNS1_3repE0EEENS1_38merge_mergepath_config_static_selectorELNS0_4arch9wavefront6targetE1EEEvSL_
; %bb.0:
	s_load_dwordx2 s[18:19], s[0:1], 0x48
	s_load_dword s5, s[0:1], 0x30
	s_add_u32 s8, s0, 0x48
	s_addc_u32 s9, s1, 0
	s_waitcnt lgkmcnt(0)
	s_mul_i32 s4, s19, s4
	s_add_i32 s3, s4, s3
	s_mul_i32 s3, s3, s18
	s_add_i32 s16, s3, s2
	s_cmp_ge_u32 s16, s5
	s_cbranch_scc1 .LBB823_43
; %bb.1:
	s_load_dwordx2 s[10:11], s[0:1], 0x28
	s_load_dwordx2 s[4:5], s[0:1], 0x40
	;; [unrolled: 1-line block ×3, first 2 shown]
	s_mov_b32 s17, 0
	v_mov_b32_e32 v15, 0
	s_waitcnt lgkmcnt(0)
	s_lshr_b32 s19, s10, 10
	s_cmp_lg_u32 s16, s19
	s_cselect_b64 s[14:15], -1, 0
	s_lshl_b64 s[12:13], s[16:17], 2
	s_add_u32 s4, s4, s12
	s_addc_u32 s5, s5, s13
	s_lshr_b32 s3, s11, 9
	s_and_b32 s3, s3, 0x7ffffe
	s_load_dwordx2 s[4:5], s[4:5], 0x0
	s_sub_i32 s3, 0, s3
	s_and_b32 s13, s16, s3
	s_lshl_b32 s21, s13, 10
	s_lshl_b32 s12, s16, 10
	;; [unrolled: 1-line block ×3, first 2 shown]
	s_sub_i32 s20, s12, s21
	s_add_i32 s13, s13, s11
	s_add_i32 s22, s13, s20
	s_waitcnt lgkmcnt(0)
	s_sub_i32 s20, s22, s4
	s_sub_i32 s22, s22, s5
	;; [unrolled: 1-line block ×3, first 2 shown]
	s_min_u32 s20, s10, s20
	s_addk_i32 s22, 0x400
	s_or_b32 s3, s16, s3
	s_min_u32 s21, s10, s13
	s_add_i32 s13, s13, s11
	s_cmp_eq_u32 s3, -1
	s_cselect_b32 s3, s13, s22
	s_cselect_b32 s5, s21, s5
	s_min_u32 s3, s3, s10
	s_sub_i32 s11, s5, s4
	s_mov_b32 s5, s17
	s_sub_i32 s13, s3, s20
	s_lshl_b64 s[4:5], s[4:5], 3
	s_add_u32 s4, s6, s4
	s_mov_b32 s21, s17
	s_addc_u32 s5, s7, s5
	s_lshl_b64 s[20:21], s[20:21], 3
	s_add_u32 s6, s6, s20
	s_addc_u32 s7, s7, s21
	s_cmp_lt_u32 s2, s18
	s_cselect_b32 s2, 12, 18
	global_load_dword v1, v15, s[8:9] offset:14
	s_add_u32 s2, s8, s2
	s_addc_u32 s3, s9, 0
	global_load_ushort v2, v15, s[2:3]
	s_cmp_eq_u32 s16, s19
	v_lshlrev_b32_e32 v18, 3, v0
	s_waitcnt vmcnt(1)
	v_lshrrev_b32_e32 v3, 16, v1
	v_and_b32_e32 v1, 0xffff, v1
	v_mul_lo_u32 v1, v1, v3
	s_waitcnt vmcnt(0)
	v_mul_lo_u32 v1, v1, v2
	v_add_u32_e32 v22, v1, v0
	v_add_u32_e32 v20, v22, v1
	s_cbranch_scc1 .LBB823_3
; %bb.2:
	v_subrev_u32_e32 v14, s11, v0
	v_mov_b32_e32 v19, v15
	v_lshl_add_u64 v[2:3], v[14:15], 3, s[6:7]
	v_lshl_add_u64 v[4:5], s[4:5], 0, v[18:19]
	v_cmp_gt_u32_e32 vcc, s11, v0
	v_subrev_u32_e32 v14, s11, v22
	v_mov_b32_e32 v23, v15
	v_cndmask_b32_e32 v3, v3, v5, vcc
	v_cndmask_b32_e32 v2, v2, v4, vcc
	v_lshl_add_u64 v[4:5], v[14:15], 3, s[6:7]
	v_lshl_add_u64 v[6:7], v[22:23], 3, s[4:5]
	v_cmp_gt_u32_e32 vcc, s11, v22
	v_subrev_u32_e32 v14, s11, v20
	v_mov_b32_e32 v21, v15
	v_add_u32_e32 v10, v20, v1
	v_cndmask_b32_e32 v5, v5, v7, vcc
	v_cndmask_b32_e32 v4, v4, v6, vcc
	v_lshl_add_u64 v[6:7], v[14:15], 3, s[6:7]
	v_lshl_add_u64 v[8:9], v[20:21], 3, s[4:5]
	v_cmp_gt_u32_e32 vcc, s11, v20
	v_subrev_u32_e32 v14, s11, v10
	v_mov_b32_e32 v11, v15
	v_cndmask_b32_e32 v7, v7, v9, vcc
	v_cndmask_b32_e32 v6, v6, v8, vcc
	v_lshl_add_u64 v[8:9], v[14:15], 3, s[6:7]
	v_lshl_add_u64 v[12:13], v[10:11], 3, s[4:5]
	v_cmp_gt_u32_e32 vcc, s11, v10
	global_load_dwordx2 v[2:3], v[2:3], off
	s_add_i32 s16, s13, s11
	v_cndmask_b32_e32 v8, v8, v12, vcc
	v_add_u32_e32 v12, v10, v1
	v_cndmask_b32_e32 v9, v9, v13, vcc
	v_subrev_u32_e32 v14, s11, v12
	v_mov_b32_e32 v13, v15
	v_lshl_add_u64 v[10:11], v[14:15], 3, s[6:7]
	v_lshl_add_u64 v[16:17], v[12:13], 3, s[4:5]
	v_cmp_gt_u32_e32 vcc, s11, v12
	global_load_dwordx2 v[4:5], v[4:5], off
	s_nop 0
	v_cndmask_b32_e32 v11, v11, v17, vcc
	v_cndmask_b32_e32 v10, v10, v16, vcc
	v_add_u32_e32 v16, v12, v1
	v_mov_b32_e32 v17, v15
	v_subrev_u32_e32 v14, s11, v16
	v_lshl_add_u64 v[24:25], v[16:17], 3, s[4:5]
	v_cmp_gt_u32_e32 vcc, s11, v16
	v_add_u32_e32 v16, v16, v1
	v_lshl_add_u64 v[12:13], v[14:15], 3, s[6:7]
	v_subrev_u32_e32 v14, s11, v16
	v_cndmask_b32_e32 v13, v13, v25, vcc
	v_cndmask_b32_e32 v12, v12, v24, vcc
	v_lshl_add_u64 v[24:25], v[14:15], 3, s[6:7]
	v_lshl_add_u64 v[14:15], v[16:17], 3, s[4:5]
	v_cmp_gt_u32_e32 vcc, s11, v16
	global_load_dwordx2 v[6:7], v[6:7], off
	s_mov_b64 s[2:3], -1
	v_cndmask_b32_e32 v15, v25, v15, vcc
	v_cndmask_b32_e32 v14, v24, v14, vcc
	global_load_dwordx2 v[8:9], v[8:9], off
	v_add_u32_e32 v24, v16, v1
	global_load_dwordx2 v[10:11], v[10:11], off
	s_nop 0
	global_load_dwordx2 v[12:13], v[12:13], off
	s_nop 0
	global_load_dwordx2 v[14:15], v[14:15], off
	s_cbranch_execz .LBB823_4
	s_branch .LBB823_17
.LBB823_3:
	s_mov_b64 s[2:3], 0
                                        ; implicit-def: $vgpr24
                                        ; implicit-def: $vgpr2_vgpr3_vgpr4_vgpr5_vgpr6_vgpr7_vgpr8_vgpr9_vgpr10_vgpr11_vgpr12_vgpr13_vgpr14_vgpr15_vgpr16_vgpr17
                                        ; implicit-def: $sgpr16
.LBB823_4:
	s_add_i32 s16, s13, s11
	v_cmp_gt_u32_e32 vcc, s16, v0
                                        ; implicit-def: $vgpr2_vgpr3_vgpr4_vgpr5_vgpr6_vgpr7_vgpr8_vgpr9_vgpr10_vgpr11_vgpr12_vgpr13_vgpr14_vgpr15_vgpr16_vgpr17
	s_and_saveexec_b64 s[2:3], vcc
	s_cbranch_execnz .LBB823_44
; %bb.5:
	s_or_b64 exec, exec, s[2:3]
	v_cmp_gt_u32_e32 vcc, s16, v22
	s_and_saveexec_b64 s[2:3], vcc
	s_cbranch_execnz .LBB823_45
.LBB823_6:
	s_or_b64 exec, exec, s[2:3]
	v_cmp_gt_u32_e32 vcc, s16, v20
	s_and_saveexec_b64 s[2:3], vcc
	s_cbranch_execz .LBB823_8
.LBB823_7:
	v_mov_b32_e32 v21, 0
	v_subrev_u32_e32 v22, s11, v20
	v_mov_b32_e32 v23, v21
	s_waitcnt vmcnt(4)
	v_lshl_add_u64 v[6:7], v[20:21], 3, s[4:5]
	v_lshl_add_u64 v[22:23], v[22:23], 3, s[6:7]
	v_cmp_gt_u32_e32 vcc, s11, v20
	s_nop 1
	v_cndmask_b32_e32 v7, v23, v7, vcc
	v_cndmask_b32_e32 v6, v22, v6, vcc
	global_load_dwordx2 v[6:7], v[6:7], off
.LBB823_8:
	s_or_b64 exec, exec, s[2:3]
	v_add_u32_e32 v20, v20, v1
	v_cmp_gt_u32_e32 vcc, s16, v20
	s_and_saveexec_b64 s[2:3], vcc
	s_cbranch_execz .LBB823_10
; %bb.9:
	v_mov_b32_e32 v21, 0
	v_subrev_u32_e32 v22, s11, v20
	v_mov_b32_e32 v23, v21
	s_waitcnt vmcnt(3)
	v_lshl_add_u64 v[8:9], v[20:21], 3, s[4:5]
	v_lshl_add_u64 v[22:23], v[22:23], 3, s[6:7]
	v_cmp_gt_u32_e32 vcc, s11, v20
	s_nop 1
	v_cndmask_b32_e32 v9, v23, v9, vcc
	v_cndmask_b32_e32 v8, v22, v8, vcc
	global_load_dwordx2 v[8:9], v[8:9], off
.LBB823_10:
	s_or_b64 exec, exec, s[2:3]
	v_add_u32_e32 v20, v20, v1
	v_cmp_gt_u32_e32 vcc, s16, v20
	s_and_saveexec_b64 s[2:3], vcc
	s_cbranch_execz .LBB823_12
; %bb.11:
	v_mov_b32_e32 v21, 0
	v_subrev_u32_e32 v22, s11, v20
	v_mov_b32_e32 v23, v21
	s_waitcnt vmcnt(2)
	v_lshl_add_u64 v[10:11], v[20:21], 3, s[4:5]
	v_lshl_add_u64 v[22:23], v[22:23], 3, s[6:7]
	v_cmp_gt_u32_e32 vcc, s11, v20
	s_nop 1
	v_cndmask_b32_e32 v11, v23, v11, vcc
	v_cndmask_b32_e32 v10, v22, v10, vcc
	global_load_dwordx2 v[10:11], v[10:11], off
.LBB823_12:
	;; [unrolled: 18-line block ×4, first 2 shown]
	s_or_b64 exec, exec, s[2:3]
	v_add_u32_e32 v24, v20, v1
	v_cmp_gt_u32_e64 s[2:3], s16, v24
.LBB823_17:
	s_load_dwordx2 s[18:19], s[0:1], 0x38
	v_mov_b32_e32 v1, s16
	s_and_saveexec_b64 s[8:9], s[2:3]
	s_cbranch_execz .LBB823_19
; %bb.18:
	v_mov_b32_e32 v17, 0
	v_subrev_u32_e32 v16, s11, v24
	v_mov_b32_e32 v25, v17
	v_lshl_add_u64 v[20:21], v[16:17], 3, s[6:7]
	v_lshl_add_u64 v[16:17], v[24:25], 3, s[4:5]
	v_cmp_gt_u32_e32 vcc, s11, v24
	v_mov_b32_e32 v1, s16
	s_nop 0
	v_cndmask_b32_e32 v17, v21, v17, vcc
	v_cndmask_b32_e32 v16, v20, v16, vcc
	global_load_dwordx2 v[16:17], v[16:17], off
.LBB823_19:
	s_or_b64 exec, exec, s[8:9]
	s_load_dwordx2 s[16:17], s[0:1], 0x10
	v_min_u32_e32 v20, v1, v18
	v_sub_u32_e64 v19, v20, s13 clamp
	v_min_u32_e32 v21, s11, v20
	v_cmp_lt_u32_e32 vcc, v19, v21
	s_waitcnt vmcnt(0)
	ds_write2st64_b64 v18, v[2:3], v[4:5] offset1:2
	ds_write2st64_b64 v18, v[6:7], v[8:9] offset0:4 offset1:6
	ds_write2st64_b64 v18, v[10:11], v[12:13] offset0:8 offset1:10
	;; [unrolled: 1-line block ×3, first 2 shown]
	s_waitcnt lgkmcnt(0)
	s_barrier
	s_and_saveexec_b64 s[0:1], vcc
	s_cbranch_execz .LBB823_23
; %bb.20:
	v_lshlrev_b32_e32 v22, 3, v20
	v_lshl_add_u32 v22, s11, 3, v22
	s_mov_b64 s[2:3], 0
.LBB823_21:                             ; =>This Inner Loop Header: Depth=1
	v_add_u32_e32 v23, v21, v19
	v_lshrrev_b32_e32 v23, 1, v23
	v_not_b32_e32 v26, v23
	v_lshlrev_b32_e32 v24, 3, v23
	v_lshl_add_u32 v26, v26, 3, v22
	ds_read_b64 v[24:25], v24
	ds_read_b64 v[26:27], v26
	v_add_u32_e32 v28, 1, v23
	s_waitcnt lgkmcnt(1)
	v_and_b32_e32 v25, s19, v25
	v_and_b32_e32 v24, s18, v24
	s_waitcnt lgkmcnt(0)
	v_and_b32_e32 v27, s19, v27
	v_and_b32_e32 v26, s18, v26
	v_cmp_gt_u64_e32 vcc, v[24:25], v[26:27]
	s_nop 1
	v_cndmask_b32_e32 v21, v21, v23, vcc
	v_cndmask_b32_e32 v19, v28, v19, vcc
	v_cmp_ge_u32_e32 vcc, v19, v21
	s_or_b64 s[2:3], vcc, s[2:3]
	s_andn2_b64 exec, exec, s[2:3]
	s_cbranch_execnz .LBB823_21
; %bb.22:
	s_or_b64 exec, exec, s[2:3]
.LBB823_23:
	s_or_b64 exec, exec, s[0:1]
	v_sub_u32_e32 v20, v20, v19
	v_add_u32_e32 v20, s11, v20
	v_cmp_ge_u32_e32 vcc, s11, v19
	v_cmp_le_u32_e64 s[0:1], v20, v1
	s_or_b64 s[0:1], vcc, s[0:1]
	s_and_saveexec_b64 s[20:21], s[0:1]
	s_cbranch_execz .LBB823_29
; %bb.24:
	v_cmp_gt_u32_e32 vcc, s11, v19
                                        ; implicit-def: $vgpr2_vgpr3
	s_and_saveexec_b64 s[0:1], vcc
	s_cbranch_execz .LBB823_26
; %bb.25:
	v_lshlrev_b32_e32 v2, 3, v19
	ds_read_b64 v[2:3], v2
.LBB823_26:
	s_or_b64 exec, exec, s[0:1]
	v_cmp_ge_u32_e64 s[0:1], v20, v1
	v_cmp_lt_u32_e64 s[2:3], v20, v1
                                        ; implicit-def: $vgpr4_vgpr5
	s_and_saveexec_b64 s[4:5], s[2:3]
	s_cbranch_execz .LBB823_28
; %bb.27:
	v_lshlrev_b32_e32 v4, 3, v20
	ds_read_b64 v[4:5], v4
.LBB823_28:
	s_or_b64 exec, exec, s[4:5]
	s_waitcnt lgkmcnt(0)
	v_and_b32_e32 v7, s19, v5
	v_and_b32_e32 v6, s18, v4
	;; [unrolled: 1-line block ×4, first 2 shown]
	v_cmp_le_u64_e64 s[2:3], v[8:9], v[6:7]
	s_and_b64 s[2:3], vcc, s[2:3]
	s_or_b64 s[0:1], s[0:1], s[2:3]
	v_mov_b32_e32 v16, s11
	v_cndmask_b32_e64 v6, v20, v19, s[0:1]
	v_cndmask_b32_e64 v7, v1, v16, s[0:1]
	v_add_u32_e32 v8, 1, v6
	v_add_u32_e32 v6, -1, v7
	v_min_u32_e32 v6, v8, v6
	v_lshlrev_b32_e32 v6, 3, v6
	ds_read_b64 v[6:7], v6
	v_cndmask_b32_e64 v14, v8, v20, s[0:1]
	v_cndmask_b32_e64 v15, v19, v8, s[0:1]
	v_cmp_gt_u32_e64 s[2:3], s11, v15
	v_cmp_ge_u32_e32 vcc, v14, v1
	s_waitcnt lgkmcnt(0)
	v_cndmask_b32_e64 v10, v7, v5, s[0:1]
	v_cndmask_b32_e64 v11, v6, v4, s[0:1]
	;; [unrolled: 1-line block ×4, first 2 shown]
	v_and_b32_e32 v7, s19, v10
	v_and_b32_e32 v6, s18, v11
	;; [unrolled: 1-line block ×4, first 2 shown]
	v_cmp_le_u64_e64 s[4:5], v[8:9], v[6:7]
	s_and_b64 s[2:3], s[2:3], s[4:5]
	s_or_b64 vcc, vcc, s[2:3]
	v_cndmask_b32_e32 v6, v14, v15, vcc
	v_cndmask_b32_e32 v7, v1, v16, vcc
	v_add_u32_e32 v8, 1, v6
	v_add_u32_e32 v6, -1, v7
	v_min_u32_e32 v6, v8, v6
	v_lshlrev_b32_e32 v6, 3, v6
	ds_read_b64 v[6:7], v6
	v_cndmask_b32_e32 v14, v8, v14, vcc
	v_cndmask_b32_e32 v15, v15, v8, vcc
	v_cmp_gt_u32_e64 s[4:5], s11, v15
	v_cmp_ge_u32_e64 s[2:3], v14, v1
	s_waitcnt lgkmcnt(0)
	v_cndmask_b32_e32 v17, v7, v10, vcc
	v_cndmask_b32_e32 v19, v6, v11, vcc
	;; [unrolled: 1-line block ×4, first 2 shown]
	v_and_b32_e32 v7, s19, v17
	v_and_b32_e32 v6, s18, v19
	;; [unrolled: 1-line block ×4, first 2 shown]
	v_cmp_le_u64_e64 s[6:7], v[8:9], v[6:7]
	s_and_b64 s[4:5], s[4:5], s[6:7]
	s_or_b64 s[2:3], s[2:3], s[4:5]
	v_cndmask_b32_e64 v6, v14, v15, s[2:3]
	v_cndmask_b32_e64 v7, v1, v16, s[2:3]
	v_add_u32_e32 v8, 1, v6
	v_add_u32_e32 v6, -1, v7
	v_min_u32_e32 v6, v8, v6
	v_lshlrev_b32_e32 v6, 3, v6
	ds_read_b64 v[6:7], v6
	v_cndmask_b32_e64 v14, v8, v14, s[2:3]
	v_cndmask_b32_e64 v15, v15, v8, s[2:3]
	v_cmp_gt_u32_e64 s[6:7], s11, v15
	v_cmp_ge_u32_e64 s[4:5], v14, v1
	s_waitcnt lgkmcnt(0)
	v_cndmask_b32_e64 v22, v7, v17, s[2:3]
	v_cndmask_b32_e64 v23, v6, v19, s[2:3]
	;; [unrolled: 1-line block ×4, first 2 shown]
	v_and_b32_e32 v7, s19, v22
	v_and_b32_e32 v6, s18, v23
	;; [unrolled: 1-line block ×4, first 2 shown]
	v_cmp_le_u64_e64 s[8:9], v[8:9], v[6:7]
	s_and_b64 s[6:7], s[6:7], s[8:9]
	s_or_b64 s[4:5], s[4:5], s[6:7]
	v_cndmask_b32_e64 v6, v14, v15, s[4:5]
	v_cndmask_b32_e64 v7, v1, v16, s[4:5]
	v_add_u32_e32 v8, 1, v6
	v_add_u32_e32 v6, -1, v7
	v_min_u32_e32 v6, v8, v6
	v_lshlrev_b32_e32 v6, 3, v6
	ds_read_b64 v[6:7], v6
	v_cndmask_b32_e64 v3, v5, v3, s[0:1]
	v_cndmask_b32_e64 v2, v4, v2, s[0:1]
	;; [unrolled: 1-line block ×4, first 2 shown]
	s_waitcnt lgkmcnt(0)
	v_cndmask_b32_e64 v26, v7, v22, s[4:5]
	v_cndmask_b32_e64 v27, v6, v23, s[4:5]
	;; [unrolled: 1-line block ×4, first 2 shown]
	v_and_b32_e32 v5, s19, v26
	v_and_b32_e32 v4, s18, v27
	;; [unrolled: 1-line block ×4, first 2 shown]
	v_cmp_gt_u32_e64 s[6:7], s11, v15
	v_cmp_le_u64_e64 s[8:9], v[6:7], v[4:5]
	v_cmp_ge_u32_e64 s[0:1], v14, v1
	s_and_b64 s[6:7], s[6:7], s[8:9]
	s_or_b64 s[0:1], s[0:1], s[6:7]
	v_cndmask_b32_e64 v4, v14, v15, s[0:1]
	v_cndmask_b32_e64 v5, v1, v16, s[0:1]
	v_add_u32_e32 v30, 1, v4
	v_add_u32_e32 v4, -1, v5
	v_min_u32_e32 v4, v30, v4
	v_lshlrev_b32_e32 v4, 3, v4
	ds_read_b64 v[8:9], v4
	v_cndmask_b32_e64 v7, v17, v20, s[2:3]
	v_cndmask_b32_e64 v6, v19, v21, s[2:3]
	v_cndmask_b32_e32 v5, v10, v12, vcc
	v_cndmask_b32_e32 v4, v11, v13, vcc
	s_waitcnt lgkmcnt(0)
	v_cndmask_b32_e64 v19, v9, v26, s[0:1]
	v_cndmask_b32_e64 v20, v8, v27, s[0:1]
	;; [unrolled: 1-line block ×5, first 2 shown]
	v_and_b32_e32 v9, s19, v19
	v_and_b32_e32 v8, s18, v20
	;; [unrolled: 1-line block ×4, first 2 shown]
	v_cndmask_b32_e64 v14, v30, v14, s[0:1]
	v_cmp_gt_u32_e64 s[2:3], s11, v15
	v_cmp_le_u64_e64 s[6:7], v[10:11], v[8:9]
	v_cmp_ge_u32_e32 vcc, v14, v1
	s_and_b64 s[2:3], s[2:3], s[6:7]
	s_or_b64 vcc, vcc, s[2:3]
	v_cndmask_b32_e32 v8, v14, v15, vcc
	v_cndmask_b32_e32 v9, v1, v16, vcc
	v_add_u32_e32 v17, 1, v8
	v_add_u32_e32 v8, -1, v9
	v_min_u32_e32 v8, v17, v8
	v_lshlrev_b32_e32 v8, 3, v8
	ds_read_b64 v[12:13], v8
	v_cndmask_b32_e64 v9, v22, v24, s[4:5]
	v_cndmask_b32_e64 v8, v23, v25, s[4:5]
	;; [unrolled: 1-line block ×4, first 2 shown]
	s_waitcnt lgkmcnt(0)
	v_cndmask_b32_e32 v22, v13, v19, vcc
	v_cndmask_b32_e32 v23, v12, v20, vcc
	;; [unrolled: 1-line block ×6, first 2 shown]
	v_and_b32_e32 v13, s19, v22
	v_and_b32_e32 v12, s18, v23
	;; [unrolled: 1-line block ×4, first 2 shown]
	v_cmp_gt_u32_e64 s[2:3], s11, v27
	v_cmp_le_u64_e64 s[4:5], v[14:15], v[12:13]
	v_cmp_ge_u32_e64 s[0:1], v26, v1
	s_and_b64 s[2:3], s[2:3], s[4:5]
	s_or_b64 s[0:1], s[0:1], s[2:3]
	v_cndmask_b32_e64 v12, v26, v27, s[0:1]
	v_cndmask_b32_e64 v13, v1, v16, s[0:1]
	v_add_u32_e32 v28, 1, v12
	v_add_u32_e32 v12, -1, v13
	v_min_u32_e32 v12, v28, v12
	v_lshlrev_b32_e32 v12, 3, v12
	ds_read_b64 v[16:17], v12
	v_cndmask_b32_e32 v13, v19, v21, vcc
	v_cndmask_b32_e64 v15, v22, v24, s[0:1]
	v_cndmask_b32_e64 v14, v23, v25, s[0:1]
	v_cndmask_b32_e32 v12, v20, v31, vcc
	s_waitcnt lgkmcnt(0)
	v_cndmask_b32_e64 v19, v17, v22, s[0:1]
	v_cndmask_b32_e64 v22, v16, v23, s[0:1]
	;; [unrolled: 1-line block ×6, first 2 shown]
	v_cmp_ge_u32_e32 vcc, v16, v1
	v_cmp_gt_u32_e64 s[0:1], s11, v17
	v_and_b32_e32 v17, s19, v19
	v_and_b32_e32 v16, s18, v22
	;; [unrolled: 1-line block ×4, first 2 shown]
	v_cmp_le_u64_e64 s[2:3], v[20:21], v[16:17]
	s_and_b64 s[0:1], s[0:1], s[2:3]
	s_or_b64 vcc, vcc, s[0:1]
	v_cndmask_b32_e32 v17, v19, v23, vcc
	v_cndmask_b32_e32 v16, v22, v24, vcc
.LBB823_29:
	s_or_b64 exec, exec, s[20:21]
	v_lshrrev_b32_e32 v1, 2, v0
	v_lshlrev_b32_e32 v19, 3, v18
	v_lshl_add_u32 v19, v1, 3, v19
	v_and_b32_e32 v1, 24, v1
	v_or_b32_e32 v25, 0x80, v0
	v_add_u32_e32 v26, v18, v1
	v_lshrrev_b32_e32 v1, 2, v25
	v_and_b32_e32 v1, 56, v1
	v_or_b32_e32 v24, 0x100, v0
	s_barrier
	s_barrier
	ds_write2_b64 v19, v[2:3], v[4:5] offset1:1
	ds_write2_b64 v19, v[6:7], v[8:9] offset0:2 offset1:3
	ds_write2_b64 v19, v[10:11], v[12:13] offset0:4 offset1:5
	;; [unrolled: 1-line block ×3, first 2 shown]
	v_add_u32_e32 v6, v18, v1
	v_lshrrev_b32_e32 v1, 2, v24
	v_and_b32_e32 v1, 0x58, v1
	v_or_b32_e32 v23, 0x180, v0
	v_add_u32_e32 v7, v18, v1
	v_lshrrev_b32_e32 v1, 2, v23
	v_and_b32_e32 v1, 0x78, v1
	v_or_b32_e32 v22, 0x200, v0
	;; [unrolled: 4-line block ×4, first 2 shown]
	v_add_u32_e32 v27, v18, v1
	v_lshrrev_b32_e32 v1, 2, v20
	s_mov_b32 s13, 0
	v_and_b32_e32 v1, 0xd8, v1
	s_lshl_b64 s[0:1], s[12:13], 3
	v_add_u32_e32 v28, v18, v1
	v_or_b32_e32 v1, 0x380, v0
	s_add_u32 s0, s16, s0
	v_lshrrev_b32_e32 v2, 2, v1
	s_addc_u32 s1, s17, s1
	v_and_b32_e32 v2, 0xf8, v2
	v_mov_b32_e32 v19, 0
	v_add_u32_e32 v29, v18, v2
	v_lshl_add_u64 v[2:3], s[0:1], 0, v[18:19]
	s_and_b64 vcc, exec, s[14:15]
	s_waitcnt lgkmcnt(0)
	s_cbranch_vccz .LBB823_31
; %bb.30:
	s_barrier
	ds_read_b64 v[10:11], v26
	ds_read_b64 v[12:13], v6 offset:1024
	ds_read_b64 v[14:15], v7 offset:2048
	ds_read_b64 v[16:17], v8 offset:3072
	ds_read_b64 v[18:19], v9 offset:4096
	ds_read_b64 v[30:31], v27 offset:5120
	ds_read_b64 v[32:33], v28 offset:6144
	ds_read_b64 v[4:5], v29 offset:7168
	s_waitcnt lgkmcnt(7)
	global_store_dwordx2 v[2:3], v[10:11], off
	s_waitcnt lgkmcnt(6)
	global_store_dwordx2 v[2:3], v[12:13], off offset:1024
	s_waitcnt lgkmcnt(5)
	global_store_dwordx2 v[2:3], v[14:15], off offset:2048
	;; [unrolled: 2-line block ×3, first 2 shown]
	v_add_co_u32_e32 v10, vcc, 0x1000, v2
	s_nop 1
	v_addc_co_u32_e32 v11, vcc, 0, v3, vcc
	s_waitcnt lgkmcnt(3)
	global_store_dwordx2 v[10:11], v[18:19], off
	s_waitcnt lgkmcnt(2)
	global_store_dwordx2 v[10:11], v[30:31], off offset:1024
	s_waitcnt lgkmcnt(1)
	global_store_dwordx2 v[10:11], v[32:33], off offset:2048
	s_mov_b64 s[0:1], -1
	s_cbranch_execz .LBB823_32
	s_branch .LBB823_41
.LBB823_31:
	s_mov_b64 s[0:1], 0
                                        ; implicit-def: $vgpr4_vgpr5
.LBB823_32:
	s_barrier
	s_waitcnt lgkmcnt(0)
	ds_read_b64 v[16:17], v6 offset:1024
	ds_read_b64 v[14:15], v7 offset:2048
	;; [unrolled: 1-line block ×7, first 2 shown]
	s_sub_i32 s2, s10, s12
	v_cmp_gt_u32_e32 vcc, s2, v0
	s_and_saveexec_b64 s[0:1], vcc
	s_cbranch_execnz .LBB823_46
; %bb.33:
	s_or_b64 exec, exec, s[0:1]
	v_cmp_gt_u32_e32 vcc, s2, v25
	s_and_saveexec_b64 s[0:1], vcc
	s_cbranch_execnz .LBB823_47
.LBB823_34:
	s_or_b64 exec, exec, s[0:1]
	v_cmp_gt_u32_e32 vcc, s2, v24
	s_and_saveexec_b64 s[0:1], vcc
	s_cbranch_execnz .LBB823_48
.LBB823_35:
	s_or_b64 exec, exec, s[0:1]
	v_cmp_gt_u32_e32 vcc, s2, v23
	s_and_saveexec_b64 s[0:1], vcc
	s_cbranch_execnz .LBB823_49
.LBB823_36:
	s_or_b64 exec, exec, s[0:1]
	v_cmp_gt_u32_e32 vcc, s2, v22
	s_and_saveexec_b64 s[0:1], vcc
	s_cbranch_execnz .LBB823_50
.LBB823_37:
	s_or_b64 exec, exec, s[0:1]
	v_cmp_gt_u32_e32 vcc, s2, v21
	s_and_saveexec_b64 s[0:1], vcc
	s_cbranch_execnz .LBB823_51
.LBB823_38:
	s_or_b64 exec, exec, s[0:1]
	v_cmp_gt_u32_e32 vcc, s2, v20
	s_and_saveexec_b64 s[0:1], vcc
	s_cbranch_execz .LBB823_40
.LBB823_39:
	s_waitcnt lgkmcnt(2)
	v_add_co_u32_e32 v8, vcc, 0x1000, v2
	s_nop 1
	v_addc_co_u32_e32 v9, vcc, 0, v3, vcc
	s_waitcnt lgkmcnt(1)
	global_store_dwordx2 v[8:9], v[6:7], off offset:2048
.LBB823_40:
	s_or_b64 exec, exec, s[0:1]
	v_cmp_gt_u32_e64 s[0:1], s2, v1
.LBB823_41:
	s_and_saveexec_b64 s[2:3], s[0:1]
	s_cbranch_execz .LBB823_43
; %bb.42:
	v_add_co_u32_e32 v0, vcc, 0x1000, v2
	s_nop 1
	v_addc_co_u32_e32 v1, vcc, 0, v3, vcc
	s_waitcnt lgkmcnt(0)
	global_store_dwordx2 v[0:1], v[4:5], off offset:3072
.LBB823_43:
	s_endpgm
.LBB823_44:
	v_mov_b32_e32 v19, 0
	s_waitcnt vmcnt(5)
	v_subrev_u32_e32 v4, s11, v0
	v_mov_b32_e32 v5, v19
	v_lshl_add_u64 v[2:3], s[4:5], 0, v[18:19]
	v_lshl_add_u64 v[4:5], v[4:5], 3, s[6:7]
	v_cmp_gt_u32_e32 vcc, s11, v0
	s_nop 1
	v_cndmask_b32_e32 v3, v5, v3, vcc
	v_cndmask_b32_e32 v2, v4, v2, vcc
	global_load_dwordx2 v[2:3], v[2:3], off
	s_or_b64 exec, exec, s[2:3]
	v_cmp_gt_u32_e32 vcc, s16, v22
	s_and_saveexec_b64 s[2:3], vcc
	s_cbranch_execz .LBB823_6
.LBB823_45:
	v_mov_b32_e32 v23, 0
	s_waitcnt vmcnt(5)
	v_lshl_add_u64 v[4:5], v[22:23], 3, s[4:5]
	v_cmp_gt_u32_e32 vcc, s11, v22
	v_subrev_u32_e32 v22, s11, v22
	v_lshl_add_u64 v[22:23], v[22:23], 3, s[6:7]
	v_cndmask_b32_e32 v5, v23, v5, vcc
	v_cndmask_b32_e32 v4, v22, v4, vcc
	global_load_dwordx2 v[4:5], v[4:5], off
	s_or_b64 exec, exec, s[2:3]
	v_cmp_gt_u32_e32 vcc, s16, v20
	s_and_saveexec_b64 s[2:3], vcc
	s_cbranch_execnz .LBB823_7
	s_branch .LBB823_8
.LBB823_46:
	ds_read_b64 v[18:19], v26
	s_waitcnt lgkmcnt(0)
	global_store_dwordx2 v[2:3], v[18:19], off
	s_or_b64 exec, exec, s[0:1]
	v_cmp_gt_u32_e32 vcc, s2, v25
	s_and_saveexec_b64 s[0:1], vcc
	s_cbranch_execz .LBB823_34
.LBB823_47:
	s_waitcnt lgkmcnt(6)
	global_store_dwordx2 v[2:3], v[16:17], off offset:1024
	s_or_b64 exec, exec, s[0:1]
	v_cmp_gt_u32_e32 vcc, s2, v24
	s_and_saveexec_b64 s[0:1], vcc
	s_cbranch_execz .LBB823_35
.LBB823_48:
	s_waitcnt lgkmcnt(5)
	global_store_dwordx2 v[2:3], v[14:15], off offset:2048
	s_or_b64 exec, exec, s[0:1]
	v_cmp_gt_u32_e32 vcc, s2, v23
	s_and_saveexec_b64 s[0:1], vcc
	s_cbranch_execz .LBB823_36
.LBB823_49:
	s_waitcnt lgkmcnt(4)
	global_store_dwordx2 v[2:3], v[12:13], off offset:3072
	s_or_b64 exec, exec, s[0:1]
	v_cmp_gt_u32_e32 vcc, s2, v22
	s_and_saveexec_b64 s[0:1], vcc
	s_cbranch_execz .LBB823_37
.LBB823_50:
	s_waitcnt lgkmcnt(4)
	v_add_co_u32_e32 v12, vcc, 0x1000, v2
	s_nop 1
	v_addc_co_u32_e32 v13, vcc, 0, v3, vcc
	s_waitcnt lgkmcnt(3)
	global_store_dwordx2 v[12:13], v[10:11], off
	s_or_b64 exec, exec, s[0:1]
	v_cmp_gt_u32_e32 vcc, s2, v21
	s_and_saveexec_b64 s[0:1], vcc
	s_cbranch_execz .LBB823_38
.LBB823_51:
	s_waitcnt lgkmcnt(3)
	v_add_co_u32_e32 v10, vcc, 0x1000, v2
	s_nop 1
	v_addc_co_u32_e32 v11, vcc, 0, v3, vcc
	s_waitcnt lgkmcnt(2)
	global_store_dwordx2 v[10:11], v[8:9], off offset:1024
	s_or_b64 exec, exec, s[0:1]
	v_cmp_gt_u32_e32 vcc, s2, v20
	s_and_saveexec_b64 s[0:1], vcc
	s_cbranch_execnz .LBB823_39
	s_branch .LBB823_40
	.section	.rodata,"a",@progbits
	.p2align	6, 0x0
	.amdhsa_kernel _ZN7rocprim17ROCPRIM_400000_NS6detail17trampoline_kernelINS0_14default_configENS1_38merge_sort_block_merge_config_selectorIyNS0_10empty_typeEEEZZNS1_27merge_sort_block_merge_implIS3_N6thrust23THRUST_200600_302600_NS6detail15normal_iteratorINS9_10device_ptrIyEEEEPS5_jNS1_19radix_merge_compareILb0ELb1EyNS0_19identity_decomposerEEEEE10hipError_tT0_T1_T2_jT3_P12ihipStream_tbPNSt15iterator_traitsISK_E10value_typeEPNSQ_ISL_E10value_typeEPSM_NS1_7vsmem_tEENKUlT_SK_SL_SM_E_clISE_PySF_SF_EESJ_SZ_SK_SL_SM_EUlSZ_E0_NS1_11comp_targetILNS1_3genE5ELNS1_11target_archE942ELNS1_3gpuE9ELNS1_3repE0EEENS1_38merge_mergepath_config_static_selectorELNS0_4arch9wavefront6targetE1EEEvSL_
		.amdhsa_group_segment_fixed_size 8448
		.amdhsa_private_segment_fixed_size 0
		.amdhsa_kernarg_size 328
		.amdhsa_user_sgpr_count 2
		.amdhsa_user_sgpr_dispatch_ptr 0
		.amdhsa_user_sgpr_queue_ptr 0
		.amdhsa_user_sgpr_kernarg_segment_ptr 1
		.amdhsa_user_sgpr_dispatch_id 0
		.amdhsa_user_sgpr_kernarg_preload_length 0
		.amdhsa_user_sgpr_kernarg_preload_offset 0
		.amdhsa_user_sgpr_private_segment_size 0
		.amdhsa_uses_dynamic_stack 0
		.amdhsa_enable_private_segment 0
		.amdhsa_system_sgpr_workgroup_id_x 1
		.amdhsa_system_sgpr_workgroup_id_y 1
		.amdhsa_system_sgpr_workgroup_id_z 1
		.amdhsa_system_sgpr_workgroup_info 0
		.amdhsa_system_vgpr_workitem_id 0
		.amdhsa_next_free_vgpr 34
		.amdhsa_next_free_sgpr 23
		.amdhsa_accum_offset 36
		.amdhsa_reserve_vcc 1
		.amdhsa_float_round_mode_32 0
		.amdhsa_float_round_mode_16_64 0
		.amdhsa_float_denorm_mode_32 3
		.amdhsa_float_denorm_mode_16_64 3
		.amdhsa_dx10_clamp 1
		.amdhsa_ieee_mode 1
		.amdhsa_fp16_overflow 0
		.amdhsa_tg_split 0
		.amdhsa_exception_fp_ieee_invalid_op 0
		.amdhsa_exception_fp_denorm_src 0
		.amdhsa_exception_fp_ieee_div_zero 0
		.amdhsa_exception_fp_ieee_overflow 0
		.amdhsa_exception_fp_ieee_underflow 0
		.amdhsa_exception_fp_ieee_inexact 0
		.amdhsa_exception_int_div_zero 0
	.end_amdhsa_kernel
	.section	.text._ZN7rocprim17ROCPRIM_400000_NS6detail17trampoline_kernelINS0_14default_configENS1_38merge_sort_block_merge_config_selectorIyNS0_10empty_typeEEEZZNS1_27merge_sort_block_merge_implIS3_N6thrust23THRUST_200600_302600_NS6detail15normal_iteratorINS9_10device_ptrIyEEEEPS5_jNS1_19radix_merge_compareILb0ELb1EyNS0_19identity_decomposerEEEEE10hipError_tT0_T1_T2_jT3_P12ihipStream_tbPNSt15iterator_traitsISK_E10value_typeEPNSQ_ISL_E10value_typeEPSM_NS1_7vsmem_tEENKUlT_SK_SL_SM_E_clISE_PySF_SF_EESJ_SZ_SK_SL_SM_EUlSZ_E0_NS1_11comp_targetILNS1_3genE5ELNS1_11target_archE942ELNS1_3gpuE9ELNS1_3repE0EEENS1_38merge_mergepath_config_static_selectorELNS0_4arch9wavefront6targetE1EEEvSL_,"axG",@progbits,_ZN7rocprim17ROCPRIM_400000_NS6detail17trampoline_kernelINS0_14default_configENS1_38merge_sort_block_merge_config_selectorIyNS0_10empty_typeEEEZZNS1_27merge_sort_block_merge_implIS3_N6thrust23THRUST_200600_302600_NS6detail15normal_iteratorINS9_10device_ptrIyEEEEPS5_jNS1_19radix_merge_compareILb0ELb1EyNS0_19identity_decomposerEEEEE10hipError_tT0_T1_T2_jT3_P12ihipStream_tbPNSt15iterator_traitsISK_E10value_typeEPNSQ_ISL_E10value_typeEPSM_NS1_7vsmem_tEENKUlT_SK_SL_SM_E_clISE_PySF_SF_EESJ_SZ_SK_SL_SM_EUlSZ_E0_NS1_11comp_targetILNS1_3genE5ELNS1_11target_archE942ELNS1_3gpuE9ELNS1_3repE0EEENS1_38merge_mergepath_config_static_selectorELNS0_4arch9wavefront6targetE1EEEvSL_,comdat
.Lfunc_end823:
	.size	_ZN7rocprim17ROCPRIM_400000_NS6detail17trampoline_kernelINS0_14default_configENS1_38merge_sort_block_merge_config_selectorIyNS0_10empty_typeEEEZZNS1_27merge_sort_block_merge_implIS3_N6thrust23THRUST_200600_302600_NS6detail15normal_iteratorINS9_10device_ptrIyEEEEPS5_jNS1_19radix_merge_compareILb0ELb1EyNS0_19identity_decomposerEEEEE10hipError_tT0_T1_T2_jT3_P12ihipStream_tbPNSt15iterator_traitsISK_E10value_typeEPNSQ_ISL_E10value_typeEPSM_NS1_7vsmem_tEENKUlT_SK_SL_SM_E_clISE_PySF_SF_EESJ_SZ_SK_SL_SM_EUlSZ_E0_NS1_11comp_targetILNS1_3genE5ELNS1_11target_archE942ELNS1_3gpuE9ELNS1_3repE0EEENS1_38merge_mergepath_config_static_selectorELNS0_4arch9wavefront6targetE1EEEvSL_, .Lfunc_end823-_ZN7rocprim17ROCPRIM_400000_NS6detail17trampoline_kernelINS0_14default_configENS1_38merge_sort_block_merge_config_selectorIyNS0_10empty_typeEEEZZNS1_27merge_sort_block_merge_implIS3_N6thrust23THRUST_200600_302600_NS6detail15normal_iteratorINS9_10device_ptrIyEEEEPS5_jNS1_19radix_merge_compareILb0ELb1EyNS0_19identity_decomposerEEEEE10hipError_tT0_T1_T2_jT3_P12ihipStream_tbPNSt15iterator_traitsISK_E10value_typeEPNSQ_ISL_E10value_typeEPSM_NS1_7vsmem_tEENKUlT_SK_SL_SM_E_clISE_PySF_SF_EESJ_SZ_SK_SL_SM_EUlSZ_E0_NS1_11comp_targetILNS1_3genE5ELNS1_11target_archE942ELNS1_3gpuE9ELNS1_3repE0EEENS1_38merge_mergepath_config_static_selectorELNS0_4arch9wavefront6targetE1EEEvSL_
                                        ; -- End function
	.section	.AMDGPU.csdata,"",@progbits
; Kernel info:
; codeLenInByte = 3636
; NumSgprs: 29
; NumVgprs: 34
; NumAgprs: 0
; TotalNumVgprs: 34
; ScratchSize: 0
; MemoryBound: 0
; FloatMode: 240
; IeeeMode: 1
; LDSByteSize: 8448 bytes/workgroup (compile time only)
; SGPRBlocks: 3
; VGPRBlocks: 4
; NumSGPRsForWavesPerEU: 29
; NumVGPRsForWavesPerEU: 34
; AccumOffset: 36
; Occupancy: 4
; WaveLimiterHint : 1
; COMPUTE_PGM_RSRC2:SCRATCH_EN: 0
; COMPUTE_PGM_RSRC2:USER_SGPR: 2
; COMPUTE_PGM_RSRC2:TRAP_HANDLER: 0
; COMPUTE_PGM_RSRC2:TGID_X_EN: 1
; COMPUTE_PGM_RSRC2:TGID_Y_EN: 1
; COMPUTE_PGM_RSRC2:TGID_Z_EN: 1
; COMPUTE_PGM_RSRC2:TIDIG_COMP_CNT: 0
; COMPUTE_PGM_RSRC3_GFX90A:ACCUM_OFFSET: 8
; COMPUTE_PGM_RSRC3_GFX90A:TG_SPLIT: 0
	.section	.text._ZN7rocprim17ROCPRIM_400000_NS6detail17trampoline_kernelINS0_14default_configENS1_38merge_sort_block_merge_config_selectorIyNS0_10empty_typeEEEZZNS1_27merge_sort_block_merge_implIS3_N6thrust23THRUST_200600_302600_NS6detail15normal_iteratorINS9_10device_ptrIyEEEEPS5_jNS1_19radix_merge_compareILb0ELb1EyNS0_19identity_decomposerEEEEE10hipError_tT0_T1_T2_jT3_P12ihipStream_tbPNSt15iterator_traitsISK_E10value_typeEPNSQ_ISL_E10value_typeEPSM_NS1_7vsmem_tEENKUlT_SK_SL_SM_E_clISE_PySF_SF_EESJ_SZ_SK_SL_SM_EUlSZ_E0_NS1_11comp_targetILNS1_3genE4ELNS1_11target_archE910ELNS1_3gpuE8ELNS1_3repE0EEENS1_38merge_mergepath_config_static_selectorELNS0_4arch9wavefront6targetE1EEEvSL_,"axG",@progbits,_ZN7rocprim17ROCPRIM_400000_NS6detail17trampoline_kernelINS0_14default_configENS1_38merge_sort_block_merge_config_selectorIyNS0_10empty_typeEEEZZNS1_27merge_sort_block_merge_implIS3_N6thrust23THRUST_200600_302600_NS6detail15normal_iteratorINS9_10device_ptrIyEEEEPS5_jNS1_19radix_merge_compareILb0ELb1EyNS0_19identity_decomposerEEEEE10hipError_tT0_T1_T2_jT3_P12ihipStream_tbPNSt15iterator_traitsISK_E10value_typeEPNSQ_ISL_E10value_typeEPSM_NS1_7vsmem_tEENKUlT_SK_SL_SM_E_clISE_PySF_SF_EESJ_SZ_SK_SL_SM_EUlSZ_E0_NS1_11comp_targetILNS1_3genE4ELNS1_11target_archE910ELNS1_3gpuE8ELNS1_3repE0EEENS1_38merge_mergepath_config_static_selectorELNS0_4arch9wavefront6targetE1EEEvSL_,comdat
	.protected	_ZN7rocprim17ROCPRIM_400000_NS6detail17trampoline_kernelINS0_14default_configENS1_38merge_sort_block_merge_config_selectorIyNS0_10empty_typeEEEZZNS1_27merge_sort_block_merge_implIS3_N6thrust23THRUST_200600_302600_NS6detail15normal_iteratorINS9_10device_ptrIyEEEEPS5_jNS1_19radix_merge_compareILb0ELb1EyNS0_19identity_decomposerEEEEE10hipError_tT0_T1_T2_jT3_P12ihipStream_tbPNSt15iterator_traitsISK_E10value_typeEPNSQ_ISL_E10value_typeEPSM_NS1_7vsmem_tEENKUlT_SK_SL_SM_E_clISE_PySF_SF_EESJ_SZ_SK_SL_SM_EUlSZ_E0_NS1_11comp_targetILNS1_3genE4ELNS1_11target_archE910ELNS1_3gpuE8ELNS1_3repE0EEENS1_38merge_mergepath_config_static_selectorELNS0_4arch9wavefront6targetE1EEEvSL_ ; -- Begin function _ZN7rocprim17ROCPRIM_400000_NS6detail17trampoline_kernelINS0_14default_configENS1_38merge_sort_block_merge_config_selectorIyNS0_10empty_typeEEEZZNS1_27merge_sort_block_merge_implIS3_N6thrust23THRUST_200600_302600_NS6detail15normal_iteratorINS9_10device_ptrIyEEEEPS5_jNS1_19radix_merge_compareILb0ELb1EyNS0_19identity_decomposerEEEEE10hipError_tT0_T1_T2_jT3_P12ihipStream_tbPNSt15iterator_traitsISK_E10value_typeEPNSQ_ISL_E10value_typeEPSM_NS1_7vsmem_tEENKUlT_SK_SL_SM_E_clISE_PySF_SF_EESJ_SZ_SK_SL_SM_EUlSZ_E0_NS1_11comp_targetILNS1_3genE4ELNS1_11target_archE910ELNS1_3gpuE8ELNS1_3repE0EEENS1_38merge_mergepath_config_static_selectorELNS0_4arch9wavefront6targetE1EEEvSL_
	.globl	_ZN7rocprim17ROCPRIM_400000_NS6detail17trampoline_kernelINS0_14default_configENS1_38merge_sort_block_merge_config_selectorIyNS0_10empty_typeEEEZZNS1_27merge_sort_block_merge_implIS3_N6thrust23THRUST_200600_302600_NS6detail15normal_iteratorINS9_10device_ptrIyEEEEPS5_jNS1_19radix_merge_compareILb0ELb1EyNS0_19identity_decomposerEEEEE10hipError_tT0_T1_T2_jT3_P12ihipStream_tbPNSt15iterator_traitsISK_E10value_typeEPNSQ_ISL_E10value_typeEPSM_NS1_7vsmem_tEENKUlT_SK_SL_SM_E_clISE_PySF_SF_EESJ_SZ_SK_SL_SM_EUlSZ_E0_NS1_11comp_targetILNS1_3genE4ELNS1_11target_archE910ELNS1_3gpuE8ELNS1_3repE0EEENS1_38merge_mergepath_config_static_selectorELNS0_4arch9wavefront6targetE1EEEvSL_
	.p2align	8
	.type	_ZN7rocprim17ROCPRIM_400000_NS6detail17trampoline_kernelINS0_14default_configENS1_38merge_sort_block_merge_config_selectorIyNS0_10empty_typeEEEZZNS1_27merge_sort_block_merge_implIS3_N6thrust23THRUST_200600_302600_NS6detail15normal_iteratorINS9_10device_ptrIyEEEEPS5_jNS1_19radix_merge_compareILb0ELb1EyNS0_19identity_decomposerEEEEE10hipError_tT0_T1_T2_jT3_P12ihipStream_tbPNSt15iterator_traitsISK_E10value_typeEPNSQ_ISL_E10value_typeEPSM_NS1_7vsmem_tEENKUlT_SK_SL_SM_E_clISE_PySF_SF_EESJ_SZ_SK_SL_SM_EUlSZ_E0_NS1_11comp_targetILNS1_3genE4ELNS1_11target_archE910ELNS1_3gpuE8ELNS1_3repE0EEENS1_38merge_mergepath_config_static_selectorELNS0_4arch9wavefront6targetE1EEEvSL_,@function
_ZN7rocprim17ROCPRIM_400000_NS6detail17trampoline_kernelINS0_14default_configENS1_38merge_sort_block_merge_config_selectorIyNS0_10empty_typeEEEZZNS1_27merge_sort_block_merge_implIS3_N6thrust23THRUST_200600_302600_NS6detail15normal_iteratorINS9_10device_ptrIyEEEEPS5_jNS1_19radix_merge_compareILb0ELb1EyNS0_19identity_decomposerEEEEE10hipError_tT0_T1_T2_jT3_P12ihipStream_tbPNSt15iterator_traitsISK_E10value_typeEPNSQ_ISL_E10value_typeEPSM_NS1_7vsmem_tEENKUlT_SK_SL_SM_E_clISE_PySF_SF_EESJ_SZ_SK_SL_SM_EUlSZ_E0_NS1_11comp_targetILNS1_3genE4ELNS1_11target_archE910ELNS1_3gpuE8ELNS1_3repE0EEENS1_38merge_mergepath_config_static_selectorELNS0_4arch9wavefront6targetE1EEEvSL_: ; @_ZN7rocprim17ROCPRIM_400000_NS6detail17trampoline_kernelINS0_14default_configENS1_38merge_sort_block_merge_config_selectorIyNS0_10empty_typeEEEZZNS1_27merge_sort_block_merge_implIS3_N6thrust23THRUST_200600_302600_NS6detail15normal_iteratorINS9_10device_ptrIyEEEEPS5_jNS1_19radix_merge_compareILb0ELb1EyNS0_19identity_decomposerEEEEE10hipError_tT0_T1_T2_jT3_P12ihipStream_tbPNSt15iterator_traitsISK_E10value_typeEPNSQ_ISL_E10value_typeEPSM_NS1_7vsmem_tEENKUlT_SK_SL_SM_E_clISE_PySF_SF_EESJ_SZ_SK_SL_SM_EUlSZ_E0_NS1_11comp_targetILNS1_3genE4ELNS1_11target_archE910ELNS1_3gpuE8ELNS1_3repE0EEENS1_38merge_mergepath_config_static_selectorELNS0_4arch9wavefront6targetE1EEEvSL_
; %bb.0:
	.section	.rodata,"a",@progbits
	.p2align	6, 0x0
	.amdhsa_kernel _ZN7rocprim17ROCPRIM_400000_NS6detail17trampoline_kernelINS0_14default_configENS1_38merge_sort_block_merge_config_selectorIyNS0_10empty_typeEEEZZNS1_27merge_sort_block_merge_implIS3_N6thrust23THRUST_200600_302600_NS6detail15normal_iteratorINS9_10device_ptrIyEEEEPS5_jNS1_19radix_merge_compareILb0ELb1EyNS0_19identity_decomposerEEEEE10hipError_tT0_T1_T2_jT3_P12ihipStream_tbPNSt15iterator_traitsISK_E10value_typeEPNSQ_ISL_E10value_typeEPSM_NS1_7vsmem_tEENKUlT_SK_SL_SM_E_clISE_PySF_SF_EESJ_SZ_SK_SL_SM_EUlSZ_E0_NS1_11comp_targetILNS1_3genE4ELNS1_11target_archE910ELNS1_3gpuE8ELNS1_3repE0EEENS1_38merge_mergepath_config_static_selectorELNS0_4arch9wavefront6targetE1EEEvSL_
		.amdhsa_group_segment_fixed_size 0
		.amdhsa_private_segment_fixed_size 0
		.amdhsa_kernarg_size 72
		.amdhsa_user_sgpr_count 2
		.amdhsa_user_sgpr_dispatch_ptr 0
		.amdhsa_user_sgpr_queue_ptr 0
		.amdhsa_user_sgpr_kernarg_segment_ptr 1
		.amdhsa_user_sgpr_dispatch_id 0
		.amdhsa_user_sgpr_kernarg_preload_length 0
		.amdhsa_user_sgpr_kernarg_preload_offset 0
		.amdhsa_user_sgpr_private_segment_size 0
		.amdhsa_uses_dynamic_stack 0
		.amdhsa_enable_private_segment 0
		.amdhsa_system_sgpr_workgroup_id_x 1
		.amdhsa_system_sgpr_workgroup_id_y 0
		.amdhsa_system_sgpr_workgroup_id_z 0
		.amdhsa_system_sgpr_workgroup_info 0
		.amdhsa_system_vgpr_workitem_id 0
		.amdhsa_next_free_vgpr 1
		.amdhsa_next_free_sgpr 0
		.amdhsa_accum_offset 4
		.amdhsa_reserve_vcc 0
		.amdhsa_float_round_mode_32 0
		.amdhsa_float_round_mode_16_64 0
		.amdhsa_float_denorm_mode_32 3
		.amdhsa_float_denorm_mode_16_64 3
		.amdhsa_dx10_clamp 1
		.amdhsa_ieee_mode 1
		.amdhsa_fp16_overflow 0
		.amdhsa_tg_split 0
		.amdhsa_exception_fp_ieee_invalid_op 0
		.amdhsa_exception_fp_denorm_src 0
		.amdhsa_exception_fp_ieee_div_zero 0
		.amdhsa_exception_fp_ieee_overflow 0
		.amdhsa_exception_fp_ieee_underflow 0
		.amdhsa_exception_fp_ieee_inexact 0
		.amdhsa_exception_int_div_zero 0
	.end_amdhsa_kernel
	.section	.text._ZN7rocprim17ROCPRIM_400000_NS6detail17trampoline_kernelINS0_14default_configENS1_38merge_sort_block_merge_config_selectorIyNS0_10empty_typeEEEZZNS1_27merge_sort_block_merge_implIS3_N6thrust23THRUST_200600_302600_NS6detail15normal_iteratorINS9_10device_ptrIyEEEEPS5_jNS1_19radix_merge_compareILb0ELb1EyNS0_19identity_decomposerEEEEE10hipError_tT0_T1_T2_jT3_P12ihipStream_tbPNSt15iterator_traitsISK_E10value_typeEPNSQ_ISL_E10value_typeEPSM_NS1_7vsmem_tEENKUlT_SK_SL_SM_E_clISE_PySF_SF_EESJ_SZ_SK_SL_SM_EUlSZ_E0_NS1_11comp_targetILNS1_3genE4ELNS1_11target_archE910ELNS1_3gpuE8ELNS1_3repE0EEENS1_38merge_mergepath_config_static_selectorELNS0_4arch9wavefront6targetE1EEEvSL_,"axG",@progbits,_ZN7rocprim17ROCPRIM_400000_NS6detail17trampoline_kernelINS0_14default_configENS1_38merge_sort_block_merge_config_selectorIyNS0_10empty_typeEEEZZNS1_27merge_sort_block_merge_implIS3_N6thrust23THRUST_200600_302600_NS6detail15normal_iteratorINS9_10device_ptrIyEEEEPS5_jNS1_19radix_merge_compareILb0ELb1EyNS0_19identity_decomposerEEEEE10hipError_tT0_T1_T2_jT3_P12ihipStream_tbPNSt15iterator_traitsISK_E10value_typeEPNSQ_ISL_E10value_typeEPSM_NS1_7vsmem_tEENKUlT_SK_SL_SM_E_clISE_PySF_SF_EESJ_SZ_SK_SL_SM_EUlSZ_E0_NS1_11comp_targetILNS1_3genE4ELNS1_11target_archE910ELNS1_3gpuE8ELNS1_3repE0EEENS1_38merge_mergepath_config_static_selectorELNS0_4arch9wavefront6targetE1EEEvSL_,comdat
.Lfunc_end824:
	.size	_ZN7rocprim17ROCPRIM_400000_NS6detail17trampoline_kernelINS0_14default_configENS1_38merge_sort_block_merge_config_selectorIyNS0_10empty_typeEEEZZNS1_27merge_sort_block_merge_implIS3_N6thrust23THRUST_200600_302600_NS6detail15normal_iteratorINS9_10device_ptrIyEEEEPS5_jNS1_19radix_merge_compareILb0ELb1EyNS0_19identity_decomposerEEEEE10hipError_tT0_T1_T2_jT3_P12ihipStream_tbPNSt15iterator_traitsISK_E10value_typeEPNSQ_ISL_E10value_typeEPSM_NS1_7vsmem_tEENKUlT_SK_SL_SM_E_clISE_PySF_SF_EESJ_SZ_SK_SL_SM_EUlSZ_E0_NS1_11comp_targetILNS1_3genE4ELNS1_11target_archE910ELNS1_3gpuE8ELNS1_3repE0EEENS1_38merge_mergepath_config_static_selectorELNS0_4arch9wavefront6targetE1EEEvSL_, .Lfunc_end824-_ZN7rocprim17ROCPRIM_400000_NS6detail17trampoline_kernelINS0_14default_configENS1_38merge_sort_block_merge_config_selectorIyNS0_10empty_typeEEEZZNS1_27merge_sort_block_merge_implIS3_N6thrust23THRUST_200600_302600_NS6detail15normal_iteratorINS9_10device_ptrIyEEEEPS5_jNS1_19radix_merge_compareILb0ELb1EyNS0_19identity_decomposerEEEEE10hipError_tT0_T1_T2_jT3_P12ihipStream_tbPNSt15iterator_traitsISK_E10value_typeEPNSQ_ISL_E10value_typeEPSM_NS1_7vsmem_tEENKUlT_SK_SL_SM_E_clISE_PySF_SF_EESJ_SZ_SK_SL_SM_EUlSZ_E0_NS1_11comp_targetILNS1_3genE4ELNS1_11target_archE910ELNS1_3gpuE8ELNS1_3repE0EEENS1_38merge_mergepath_config_static_selectorELNS0_4arch9wavefront6targetE1EEEvSL_
                                        ; -- End function
	.section	.AMDGPU.csdata,"",@progbits
; Kernel info:
; codeLenInByte = 0
; NumSgprs: 6
; NumVgprs: 0
; NumAgprs: 0
; TotalNumVgprs: 0
; ScratchSize: 0
; MemoryBound: 0
; FloatMode: 240
; IeeeMode: 1
; LDSByteSize: 0 bytes/workgroup (compile time only)
; SGPRBlocks: 0
; VGPRBlocks: 0
; NumSGPRsForWavesPerEU: 6
; NumVGPRsForWavesPerEU: 1
; AccumOffset: 4
; Occupancy: 8
; WaveLimiterHint : 0
; COMPUTE_PGM_RSRC2:SCRATCH_EN: 0
; COMPUTE_PGM_RSRC2:USER_SGPR: 2
; COMPUTE_PGM_RSRC2:TRAP_HANDLER: 0
; COMPUTE_PGM_RSRC2:TGID_X_EN: 1
; COMPUTE_PGM_RSRC2:TGID_Y_EN: 0
; COMPUTE_PGM_RSRC2:TGID_Z_EN: 0
; COMPUTE_PGM_RSRC2:TIDIG_COMP_CNT: 0
; COMPUTE_PGM_RSRC3_GFX90A:ACCUM_OFFSET: 0
; COMPUTE_PGM_RSRC3_GFX90A:TG_SPLIT: 0
	.section	.text._ZN7rocprim17ROCPRIM_400000_NS6detail17trampoline_kernelINS0_14default_configENS1_38merge_sort_block_merge_config_selectorIyNS0_10empty_typeEEEZZNS1_27merge_sort_block_merge_implIS3_N6thrust23THRUST_200600_302600_NS6detail15normal_iteratorINS9_10device_ptrIyEEEEPS5_jNS1_19radix_merge_compareILb0ELb1EyNS0_19identity_decomposerEEEEE10hipError_tT0_T1_T2_jT3_P12ihipStream_tbPNSt15iterator_traitsISK_E10value_typeEPNSQ_ISL_E10value_typeEPSM_NS1_7vsmem_tEENKUlT_SK_SL_SM_E_clISE_PySF_SF_EESJ_SZ_SK_SL_SM_EUlSZ_E0_NS1_11comp_targetILNS1_3genE3ELNS1_11target_archE908ELNS1_3gpuE7ELNS1_3repE0EEENS1_38merge_mergepath_config_static_selectorELNS0_4arch9wavefront6targetE1EEEvSL_,"axG",@progbits,_ZN7rocprim17ROCPRIM_400000_NS6detail17trampoline_kernelINS0_14default_configENS1_38merge_sort_block_merge_config_selectorIyNS0_10empty_typeEEEZZNS1_27merge_sort_block_merge_implIS3_N6thrust23THRUST_200600_302600_NS6detail15normal_iteratorINS9_10device_ptrIyEEEEPS5_jNS1_19radix_merge_compareILb0ELb1EyNS0_19identity_decomposerEEEEE10hipError_tT0_T1_T2_jT3_P12ihipStream_tbPNSt15iterator_traitsISK_E10value_typeEPNSQ_ISL_E10value_typeEPSM_NS1_7vsmem_tEENKUlT_SK_SL_SM_E_clISE_PySF_SF_EESJ_SZ_SK_SL_SM_EUlSZ_E0_NS1_11comp_targetILNS1_3genE3ELNS1_11target_archE908ELNS1_3gpuE7ELNS1_3repE0EEENS1_38merge_mergepath_config_static_selectorELNS0_4arch9wavefront6targetE1EEEvSL_,comdat
	.protected	_ZN7rocprim17ROCPRIM_400000_NS6detail17trampoline_kernelINS0_14default_configENS1_38merge_sort_block_merge_config_selectorIyNS0_10empty_typeEEEZZNS1_27merge_sort_block_merge_implIS3_N6thrust23THRUST_200600_302600_NS6detail15normal_iteratorINS9_10device_ptrIyEEEEPS5_jNS1_19radix_merge_compareILb0ELb1EyNS0_19identity_decomposerEEEEE10hipError_tT0_T1_T2_jT3_P12ihipStream_tbPNSt15iterator_traitsISK_E10value_typeEPNSQ_ISL_E10value_typeEPSM_NS1_7vsmem_tEENKUlT_SK_SL_SM_E_clISE_PySF_SF_EESJ_SZ_SK_SL_SM_EUlSZ_E0_NS1_11comp_targetILNS1_3genE3ELNS1_11target_archE908ELNS1_3gpuE7ELNS1_3repE0EEENS1_38merge_mergepath_config_static_selectorELNS0_4arch9wavefront6targetE1EEEvSL_ ; -- Begin function _ZN7rocprim17ROCPRIM_400000_NS6detail17trampoline_kernelINS0_14default_configENS1_38merge_sort_block_merge_config_selectorIyNS0_10empty_typeEEEZZNS1_27merge_sort_block_merge_implIS3_N6thrust23THRUST_200600_302600_NS6detail15normal_iteratorINS9_10device_ptrIyEEEEPS5_jNS1_19radix_merge_compareILb0ELb1EyNS0_19identity_decomposerEEEEE10hipError_tT0_T1_T2_jT3_P12ihipStream_tbPNSt15iterator_traitsISK_E10value_typeEPNSQ_ISL_E10value_typeEPSM_NS1_7vsmem_tEENKUlT_SK_SL_SM_E_clISE_PySF_SF_EESJ_SZ_SK_SL_SM_EUlSZ_E0_NS1_11comp_targetILNS1_3genE3ELNS1_11target_archE908ELNS1_3gpuE7ELNS1_3repE0EEENS1_38merge_mergepath_config_static_selectorELNS0_4arch9wavefront6targetE1EEEvSL_
	.globl	_ZN7rocprim17ROCPRIM_400000_NS6detail17trampoline_kernelINS0_14default_configENS1_38merge_sort_block_merge_config_selectorIyNS0_10empty_typeEEEZZNS1_27merge_sort_block_merge_implIS3_N6thrust23THRUST_200600_302600_NS6detail15normal_iteratorINS9_10device_ptrIyEEEEPS5_jNS1_19radix_merge_compareILb0ELb1EyNS0_19identity_decomposerEEEEE10hipError_tT0_T1_T2_jT3_P12ihipStream_tbPNSt15iterator_traitsISK_E10value_typeEPNSQ_ISL_E10value_typeEPSM_NS1_7vsmem_tEENKUlT_SK_SL_SM_E_clISE_PySF_SF_EESJ_SZ_SK_SL_SM_EUlSZ_E0_NS1_11comp_targetILNS1_3genE3ELNS1_11target_archE908ELNS1_3gpuE7ELNS1_3repE0EEENS1_38merge_mergepath_config_static_selectorELNS0_4arch9wavefront6targetE1EEEvSL_
	.p2align	8
	.type	_ZN7rocprim17ROCPRIM_400000_NS6detail17trampoline_kernelINS0_14default_configENS1_38merge_sort_block_merge_config_selectorIyNS0_10empty_typeEEEZZNS1_27merge_sort_block_merge_implIS3_N6thrust23THRUST_200600_302600_NS6detail15normal_iteratorINS9_10device_ptrIyEEEEPS5_jNS1_19radix_merge_compareILb0ELb1EyNS0_19identity_decomposerEEEEE10hipError_tT0_T1_T2_jT3_P12ihipStream_tbPNSt15iterator_traitsISK_E10value_typeEPNSQ_ISL_E10value_typeEPSM_NS1_7vsmem_tEENKUlT_SK_SL_SM_E_clISE_PySF_SF_EESJ_SZ_SK_SL_SM_EUlSZ_E0_NS1_11comp_targetILNS1_3genE3ELNS1_11target_archE908ELNS1_3gpuE7ELNS1_3repE0EEENS1_38merge_mergepath_config_static_selectorELNS0_4arch9wavefront6targetE1EEEvSL_,@function
_ZN7rocprim17ROCPRIM_400000_NS6detail17trampoline_kernelINS0_14default_configENS1_38merge_sort_block_merge_config_selectorIyNS0_10empty_typeEEEZZNS1_27merge_sort_block_merge_implIS3_N6thrust23THRUST_200600_302600_NS6detail15normal_iteratorINS9_10device_ptrIyEEEEPS5_jNS1_19radix_merge_compareILb0ELb1EyNS0_19identity_decomposerEEEEE10hipError_tT0_T1_T2_jT3_P12ihipStream_tbPNSt15iterator_traitsISK_E10value_typeEPNSQ_ISL_E10value_typeEPSM_NS1_7vsmem_tEENKUlT_SK_SL_SM_E_clISE_PySF_SF_EESJ_SZ_SK_SL_SM_EUlSZ_E0_NS1_11comp_targetILNS1_3genE3ELNS1_11target_archE908ELNS1_3gpuE7ELNS1_3repE0EEENS1_38merge_mergepath_config_static_selectorELNS0_4arch9wavefront6targetE1EEEvSL_: ; @_ZN7rocprim17ROCPRIM_400000_NS6detail17trampoline_kernelINS0_14default_configENS1_38merge_sort_block_merge_config_selectorIyNS0_10empty_typeEEEZZNS1_27merge_sort_block_merge_implIS3_N6thrust23THRUST_200600_302600_NS6detail15normal_iteratorINS9_10device_ptrIyEEEEPS5_jNS1_19radix_merge_compareILb0ELb1EyNS0_19identity_decomposerEEEEE10hipError_tT0_T1_T2_jT3_P12ihipStream_tbPNSt15iterator_traitsISK_E10value_typeEPNSQ_ISL_E10value_typeEPSM_NS1_7vsmem_tEENKUlT_SK_SL_SM_E_clISE_PySF_SF_EESJ_SZ_SK_SL_SM_EUlSZ_E0_NS1_11comp_targetILNS1_3genE3ELNS1_11target_archE908ELNS1_3gpuE7ELNS1_3repE0EEENS1_38merge_mergepath_config_static_selectorELNS0_4arch9wavefront6targetE1EEEvSL_
; %bb.0:
	.section	.rodata,"a",@progbits
	.p2align	6, 0x0
	.amdhsa_kernel _ZN7rocprim17ROCPRIM_400000_NS6detail17trampoline_kernelINS0_14default_configENS1_38merge_sort_block_merge_config_selectorIyNS0_10empty_typeEEEZZNS1_27merge_sort_block_merge_implIS3_N6thrust23THRUST_200600_302600_NS6detail15normal_iteratorINS9_10device_ptrIyEEEEPS5_jNS1_19radix_merge_compareILb0ELb1EyNS0_19identity_decomposerEEEEE10hipError_tT0_T1_T2_jT3_P12ihipStream_tbPNSt15iterator_traitsISK_E10value_typeEPNSQ_ISL_E10value_typeEPSM_NS1_7vsmem_tEENKUlT_SK_SL_SM_E_clISE_PySF_SF_EESJ_SZ_SK_SL_SM_EUlSZ_E0_NS1_11comp_targetILNS1_3genE3ELNS1_11target_archE908ELNS1_3gpuE7ELNS1_3repE0EEENS1_38merge_mergepath_config_static_selectorELNS0_4arch9wavefront6targetE1EEEvSL_
		.amdhsa_group_segment_fixed_size 0
		.amdhsa_private_segment_fixed_size 0
		.amdhsa_kernarg_size 72
		.amdhsa_user_sgpr_count 2
		.amdhsa_user_sgpr_dispatch_ptr 0
		.amdhsa_user_sgpr_queue_ptr 0
		.amdhsa_user_sgpr_kernarg_segment_ptr 1
		.amdhsa_user_sgpr_dispatch_id 0
		.amdhsa_user_sgpr_kernarg_preload_length 0
		.amdhsa_user_sgpr_kernarg_preload_offset 0
		.amdhsa_user_sgpr_private_segment_size 0
		.amdhsa_uses_dynamic_stack 0
		.amdhsa_enable_private_segment 0
		.amdhsa_system_sgpr_workgroup_id_x 1
		.amdhsa_system_sgpr_workgroup_id_y 0
		.amdhsa_system_sgpr_workgroup_id_z 0
		.amdhsa_system_sgpr_workgroup_info 0
		.amdhsa_system_vgpr_workitem_id 0
		.amdhsa_next_free_vgpr 1
		.amdhsa_next_free_sgpr 0
		.amdhsa_accum_offset 4
		.amdhsa_reserve_vcc 0
		.amdhsa_float_round_mode_32 0
		.amdhsa_float_round_mode_16_64 0
		.amdhsa_float_denorm_mode_32 3
		.amdhsa_float_denorm_mode_16_64 3
		.amdhsa_dx10_clamp 1
		.amdhsa_ieee_mode 1
		.amdhsa_fp16_overflow 0
		.amdhsa_tg_split 0
		.amdhsa_exception_fp_ieee_invalid_op 0
		.amdhsa_exception_fp_denorm_src 0
		.amdhsa_exception_fp_ieee_div_zero 0
		.amdhsa_exception_fp_ieee_overflow 0
		.amdhsa_exception_fp_ieee_underflow 0
		.amdhsa_exception_fp_ieee_inexact 0
		.amdhsa_exception_int_div_zero 0
	.end_amdhsa_kernel
	.section	.text._ZN7rocprim17ROCPRIM_400000_NS6detail17trampoline_kernelINS0_14default_configENS1_38merge_sort_block_merge_config_selectorIyNS0_10empty_typeEEEZZNS1_27merge_sort_block_merge_implIS3_N6thrust23THRUST_200600_302600_NS6detail15normal_iteratorINS9_10device_ptrIyEEEEPS5_jNS1_19radix_merge_compareILb0ELb1EyNS0_19identity_decomposerEEEEE10hipError_tT0_T1_T2_jT3_P12ihipStream_tbPNSt15iterator_traitsISK_E10value_typeEPNSQ_ISL_E10value_typeEPSM_NS1_7vsmem_tEENKUlT_SK_SL_SM_E_clISE_PySF_SF_EESJ_SZ_SK_SL_SM_EUlSZ_E0_NS1_11comp_targetILNS1_3genE3ELNS1_11target_archE908ELNS1_3gpuE7ELNS1_3repE0EEENS1_38merge_mergepath_config_static_selectorELNS0_4arch9wavefront6targetE1EEEvSL_,"axG",@progbits,_ZN7rocprim17ROCPRIM_400000_NS6detail17trampoline_kernelINS0_14default_configENS1_38merge_sort_block_merge_config_selectorIyNS0_10empty_typeEEEZZNS1_27merge_sort_block_merge_implIS3_N6thrust23THRUST_200600_302600_NS6detail15normal_iteratorINS9_10device_ptrIyEEEEPS5_jNS1_19radix_merge_compareILb0ELb1EyNS0_19identity_decomposerEEEEE10hipError_tT0_T1_T2_jT3_P12ihipStream_tbPNSt15iterator_traitsISK_E10value_typeEPNSQ_ISL_E10value_typeEPSM_NS1_7vsmem_tEENKUlT_SK_SL_SM_E_clISE_PySF_SF_EESJ_SZ_SK_SL_SM_EUlSZ_E0_NS1_11comp_targetILNS1_3genE3ELNS1_11target_archE908ELNS1_3gpuE7ELNS1_3repE0EEENS1_38merge_mergepath_config_static_selectorELNS0_4arch9wavefront6targetE1EEEvSL_,comdat
.Lfunc_end825:
	.size	_ZN7rocprim17ROCPRIM_400000_NS6detail17trampoline_kernelINS0_14default_configENS1_38merge_sort_block_merge_config_selectorIyNS0_10empty_typeEEEZZNS1_27merge_sort_block_merge_implIS3_N6thrust23THRUST_200600_302600_NS6detail15normal_iteratorINS9_10device_ptrIyEEEEPS5_jNS1_19radix_merge_compareILb0ELb1EyNS0_19identity_decomposerEEEEE10hipError_tT0_T1_T2_jT3_P12ihipStream_tbPNSt15iterator_traitsISK_E10value_typeEPNSQ_ISL_E10value_typeEPSM_NS1_7vsmem_tEENKUlT_SK_SL_SM_E_clISE_PySF_SF_EESJ_SZ_SK_SL_SM_EUlSZ_E0_NS1_11comp_targetILNS1_3genE3ELNS1_11target_archE908ELNS1_3gpuE7ELNS1_3repE0EEENS1_38merge_mergepath_config_static_selectorELNS0_4arch9wavefront6targetE1EEEvSL_, .Lfunc_end825-_ZN7rocprim17ROCPRIM_400000_NS6detail17trampoline_kernelINS0_14default_configENS1_38merge_sort_block_merge_config_selectorIyNS0_10empty_typeEEEZZNS1_27merge_sort_block_merge_implIS3_N6thrust23THRUST_200600_302600_NS6detail15normal_iteratorINS9_10device_ptrIyEEEEPS5_jNS1_19radix_merge_compareILb0ELb1EyNS0_19identity_decomposerEEEEE10hipError_tT0_T1_T2_jT3_P12ihipStream_tbPNSt15iterator_traitsISK_E10value_typeEPNSQ_ISL_E10value_typeEPSM_NS1_7vsmem_tEENKUlT_SK_SL_SM_E_clISE_PySF_SF_EESJ_SZ_SK_SL_SM_EUlSZ_E0_NS1_11comp_targetILNS1_3genE3ELNS1_11target_archE908ELNS1_3gpuE7ELNS1_3repE0EEENS1_38merge_mergepath_config_static_selectorELNS0_4arch9wavefront6targetE1EEEvSL_
                                        ; -- End function
	.section	.AMDGPU.csdata,"",@progbits
; Kernel info:
; codeLenInByte = 0
; NumSgprs: 6
; NumVgprs: 0
; NumAgprs: 0
; TotalNumVgprs: 0
; ScratchSize: 0
; MemoryBound: 0
; FloatMode: 240
; IeeeMode: 1
; LDSByteSize: 0 bytes/workgroup (compile time only)
; SGPRBlocks: 0
; VGPRBlocks: 0
; NumSGPRsForWavesPerEU: 6
; NumVGPRsForWavesPerEU: 1
; AccumOffset: 4
; Occupancy: 8
; WaveLimiterHint : 0
; COMPUTE_PGM_RSRC2:SCRATCH_EN: 0
; COMPUTE_PGM_RSRC2:USER_SGPR: 2
; COMPUTE_PGM_RSRC2:TRAP_HANDLER: 0
; COMPUTE_PGM_RSRC2:TGID_X_EN: 1
; COMPUTE_PGM_RSRC2:TGID_Y_EN: 0
; COMPUTE_PGM_RSRC2:TGID_Z_EN: 0
; COMPUTE_PGM_RSRC2:TIDIG_COMP_CNT: 0
; COMPUTE_PGM_RSRC3_GFX90A:ACCUM_OFFSET: 0
; COMPUTE_PGM_RSRC3_GFX90A:TG_SPLIT: 0
	.section	.text._ZN7rocprim17ROCPRIM_400000_NS6detail17trampoline_kernelINS0_14default_configENS1_38merge_sort_block_merge_config_selectorIyNS0_10empty_typeEEEZZNS1_27merge_sort_block_merge_implIS3_N6thrust23THRUST_200600_302600_NS6detail15normal_iteratorINS9_10device_ptrIyEEEEPS5_jNS1_19radix_merge_compareILb0ELb1EyNS0_19identity_decomposerEEEEE10hipError_tT0_T1_T2_jT3_P12ihipStream_tbPNSt15iterator_traitsISK_E10value_typeEPNSQ_ISL_E10value_typeEPSM_NS1_7vsmem_tEENKUlT_SK_SL_SM_E_clISE_PySF_SF_EESJ_SZ_SK_SL_SM_EUlSZ_E0_NS1_11comp_targetILNS1_3genE2ELNS1_11target_archE906ELNS1_3gpuE6ELNS1_3repE0EEENS1_38merge_mergepath_config_static_selectorELNS0_4arch9wavefront6targetE1EEEvSL_,"axG",@progbits,_ZN7rocprim17ROCPRIM_400000_NS6detail17trampoline_kernelINS0_14default_configENS1_38merge_sort_block_merge_config_selectorIyNS0_10empty_typeEEEZZNS1_27merge_sort_block_merge_implIS3_N6thrust23THRUST_200600_302600_NS6detail15normal_iteratorINS9_10device_ptrIyEEEEPS5_jNS1_19radix_merge_compareILb0ELb1EyNS0_19identity_decomposerEEEEE10hipError_tT0_T1_T2_jT3_P12ihipStream_tbPNSt15iterator_traitsISK_E10value_typeEPNSQ_ISL_E10value_typeEPSM_NS1_7vsmem_tEENKUlT_SK_SL_SM_E_clISE_PySF_SF_EESJ_SZ_SK_SL_SM_EUlSZ_E0_NS1_11comp_targetILNS1_3genE2ELNS1_11target_archE906ELNS1_3gpuE6ELNS1_3repE0EEENS1_38merge_mergepath_config_static_selectorELNS0_4arch9wavefront6targetE1EEEvSL_,comdat
	.protected	_ZN7rocprim17ROCPRIM_400000_NS6detail17trampoline_kernelINS0_14default_configENS1_38merge_sort_block_merge_config_selectorIyNS0_10empty_typeEEEZZNS1_27merge_sort_block_merge_implIS3_N6thrust23THRUST_200600_302600_NS6detail15normal_iteratorINS9_10device_ptrIyEEEEPS5_jNS1_19radix_merge_compareILb0ELb1EyNS0_19identity_decomposerEEEEE10hipError_tT0_T1_T2_jT3_P12ihipStream_tbPNSt15iterator_traitsISK_E10value_typeEPNSQ_ISL_E10value_typeEPSM_NS1_7vsmem_tEENKUlT_SK_SL_SM_E_clISE_PySF_SF_EESJ_SZ_SK_SL_SM_EUlSZ_E0_NS1_11comp_targetILNS1_3genE2ELNS1_11target_archE906ELNS1_3gpuE6ELNS1_3repE0EEENS1_38merge_mergepath_config_static_selectorELNS0_4arch9wavefront6targetE1EEEvSL_ ; -- Begin function _ZN7rocprim17ROCPRIM_400000_NS6detail17trampoline_kernelINS0_14default_configENS1_38merge_sort_block_merge_config_selectorIyNS0_10empty_typeEEEZZNS1_27merge_sort_block_merge_implIS3_N6thrust23THRUST_200600_302600_NS6detail15normal_iteratorINS9_10device_ptrIyEEEEPS5_jNS1_19radix_merge_compareILb0ELb1EyNS0_19identity_decomposerEEEEE10hipError_tT0_T1_T2_jT3_P12ihipStream_tbPNSt15iterator_traitsISK_E10value_typeEPNSQ_ISL_E10value_typeEPSM_NS1_7vsmem_tEENKUlT_SK_SL_SM_E_clISE_PySF_SF_EESJ_SZ_SK_SL_SM_EUlSZ_E0_NS1_11comp_targetILNS1_3genE2ELNS1_11target_archE906ELNS1_3gpuE6ELNS1_3repE0EEENS1_38merge_mergepath_config_static_selectorELNS0_4arch9wavefront6targetE1EEEvSL_
	.globl	_ZN7rocprim17ROCPRIM_400000_NS6detail17trampoline_kernelINS0_14default_configENS1_38merge_sort_block_merge_config_selectorIyNS0_10empty_typeEEEZZNS1_27merge_sort_block_merge_implIS3_N6thrust23THRUST_200600_302600_NS6detail15normal_iteratorINS9_10device_ptrIyEEEEPS5_jNS1_19radix_merge_compareILb0ELb1EyNS0_19identity_decomposerEEEEE10hipError_tT0_T1_T2_jT3_P12ihipStream_tbPNSt15iterator_traitsISK_E10value_typeEPNSQ_ISL_E10value_typeEPSM_NS1_7vsmem_tEENKUlT_SK_SL_SM_E_clISE_PySF_SF_EESJ_SZ_SK_SL_SM_EUlSZ_E0_NS1_11comp_targetILNS1_3genE2ELNS1_11target_archE906ELNS1_3gpuE6ELNS1_3repE0EEENS1_38merge_mergepath_config_static_selectorELNS0_4arch9wavefront6targetE1EEEvSL_
	.p2align	8
	.type	_ZN7rocprim17ROCPRIM_400000_NS6detail17trampoline_kernelINS0_14default_configENS1_38merge_sort_block_merge_config_selectorIyNS0_10empty_typeEEEZZNS1_27merge_sort_block_merge_implIS3_N6thrust23THRUST_200600_302600_NS6detail15normal_iteratorINS9_10device_ptrIyEEEEPS5_jNS1_19radix_merge_compareILb0ELb1EyNS0_19identity_decomposerEEEEE10hipError_tT0_T1_T2_jT3_P12ihipStream_tbPNSt15iterator_traitsISK_E10value_typeEPNSQ_ISL_E10value_typeEPSM_NS1_7vsmem_tEENKUlT_SK_SL_SM_E_clISE_PySF_SF_EESJ_SZ_SK_SL_SM_EUlSZ_E0_NS1_11comp_targetILNS1_3genE2ELNS1_11target_archE906ELNS1_3gpuE6ELNS1_3repE0EEENS1_38merge_mergepath_config_static_selectorELNS0_4arch9wavefront6targetE1EEEvSL_,@function
_ZN7rocprim17ROCPRIM_400000_NS6detail17trampoline_kernelINS0_14default_configENS1_38merge_sort_block_merge_config_selectorIyNS0_10empty_typeEEEZZNS1_27merge_sort_block_merge_implIS3_N6thrust23THRUST_200600_302600_NS6detail15normal_iteratorINS9_10device_ptrIyEEEEPS5_jNS1_19radix_merge_compareILb0ELb1EyNS0_19identity_decomposerEEEEE10hipError_tT0_T1_T2_jT3_P12ihipStream_tbPNSt15iterator_traitsISK_E10value_typeEPNSQ_ISL_E10value_typeEPSM_NS1_7vsmem_tEENKUlT_SK_SL_SM_E_clISE_PySF_SF_EESJ_SZ_SK_SL_SM_EUlSZ_E0_NS1_11comp_targetILNS1_3genE2ELNS1_11target_archE906ELNS1_3gpuE6ELNS1_3repE0EEENS1_38merge_mergepath_config_static_selectorELNS0_4arch9wavefront6targetE1EEEvSL_: ; @_ZN7rocprim17ROCPRIM_400000_NS6detail17trampoline_kernelINS0_14default_configENS1_38merge_sort_block_merge_config_selectorIyNS0_10empty_typeEEEZZNS1_27merge_sort_block_merge_implIS3_N6thrust23THRUST_200600_302600_NS6detail15normal_iteratorINS9_10device_ptrIyEEEEPS5_jNS1_19radix_merge_compareILb0ELb1EyNS0_19identity_decomposerEEEEE10hipError_tT0_T1_T2_jT3_P12ihipStream_tbPNSt15iterator_traitsISK_E10value_typeEPNSQ_ISL_E10value_typeEPSM_NS1_7vsmem_tEENKUlT_SK_SL_SM_E_clISE_PySF_SF_EESJ_SZ_SK_SL_SM_EUlSZ_E0_NS1_11comp_targetILNS1_3genE2ELNS1_11target_archE906ELNS1_3gpuE6ELNS1_3repE0EEENS1_38merge_mergepath_config_static_selectorELNS0_4arch9wavefront6targetE1EEEvSL_
; %bb.0:
	.section	.rodata,"a",@progbits
	.p2align	6, 0x0
	.amdhsa_kernel _ZN7rocprim17ROCPRIM_400000_NS6detail17trampoline_kernelINS0_14default_configENS1_38merge_sort_block_merge_config_selectorIyNS0_10empty_typeEEEZZNS1_27merge_sort_block_merge_implIS3_N6thrust23THRUST_200600_302600_NS6detail15normal_iteratorINS9_10device_ptrIyEEEEPS5_jNS1_19radix_merge_compareILb0ELb1EyNS0_19identity_decomposerEEEEE10hipError_tT0_T1_T2_jT3_P12ihipStream_tbPNSt15iterator_traitsISK_E10value_typeEPNSQ_ISL_E10value_typeEPSM_NS1_7vsmem_tEENKUlT_SK_SL_SM_E_clISE_PySF_SF_EESJ_SZ_SK_SL_SM_EUlSZ_E0_NS1_11comp_targetILNS1_3genE2ELNS1_11target_archE906ELNS1_3gpuE6ELNS1_3repE0EEENS1_38merge_mergepath_config_static_selectorELNS0_4arch9wavefront6targetE1EEEvSL_
		.amdhsa_group_segment_fixed_size 0
		.amdhsa_private_segment_fixed_size 0
		.amdhsa_kernarg_size 72
		.amdhsa_user_sgpr_count 2
		.amdhsa_user_sgpr_dispatch_ptr 0
		.amdhsa_user_sgpr_queue_ptr 0
		.amdhsa_user_sgpr_kernarg_segment_ptr 1
		.amdhsa_user_sgpr_dispatch_id 0
		.amdhsa_user_sgpr_kernarg_preload_length 0
		.amdhsa_user_sgpr_kernarg_preload_offset 0
		.amdhsa_user_sgpr_private_segment_size 0
		.amdhsa_uses_dynamic_stack 0
		.amdhsa_enable_private_segment 0
		.amdhsa_system_sgpr_workgroup_id_x 1
		.amdhsa_system_sgpr_workgroup_id_y 0
		.amdhsa_system_sgpr_workgroup_id_z 0
		.amdhsa_system_sgpr_workgroup_info 0
		.amdhsa_system_vgpr_workitem_id 0
		.amdhsa_next_free_vgpr 1
		.amdhsa_next_free_sgpr 0
		.amdhsa_accum_offset 4
		.amdhsa_reserve_vcc 0
		.amdhsa_float_round_mode_32 0
		.amdhsa_float_round_mode_16_64 0
		.amdhsa_float_denorm_mode_32 3
		.amdhsa_float_denorm_mode_16_64 3
		.amdhsa_dx10_clamp 1
		.amdhsa_ieee_mode 1
		.amdhsa_fp16_overflow 0
		.amdhsa_tg_split 0
		.amdhsa_exception_fp_ieee_invalid_op 0
		.amdhsa_exception_fp_denorm_src 0
		.amdhsa_exception_fp_ieee_div_zero 0
		.amdhsa_exception_fp_ieee_overflow 0
		.amdhsa_exception_fp_ieee_underflow 0
		.amdhsa_exception_fp_ieee_inexact 0
		.amdhsa_exception_int_div_zero 0
	.end_amdhsa_kernel
	.section	.text._ZN7rocprim17ROCPRIM_400000_NS6detail17trampoline_kernelINS0_14default_configENS1_38merge_sort_block_merge_config_selectorIyNS0_10empty_typeEEEZZNS1_27merge_sort_block_merge_implIS3_N6thrust23THRUST_200600_302600_NS6detail15normal_iteratorINS9_10device_ptrIyEEEEPS5_jNS1_19radix_merge_compareILb0ELb1EyNS0_19identity_decomposerEEEEE10hipError_tT0_T1_T2_jT3_P12ihipStream_tbPNSt15iterator_traitsISK_E10value_typeEPNSQ_ISL_E10value_typeEPSM_NS1_7vsmem_tEENKUlT_SK_SL_SM_E_clISE_PySF_SF_EESJ_SZ_SK_SL_SM_EUlSZ_E0_NS1_11comp_targetILNS1_3genE2ELNS1_11target_archE906ELNS1_3gpuE6ELNS1_3repE0EEENS1_38merge_mergepath_config_static_selectorELNS0_4arch9wavefront6targetE1EEEvSL_,"axG",@progbits,_ZN7rocprim17ROCPRIM_400000_NS6detail17trampoline_kernelINS0_14default_configENS1_38merge_sort_block_merge_config_selectorIyNS0_10empty_typeEEEZZNS1_27merge_sort_block_merge_implIS3_N6thrust23THRUST_200600_302600_NS6detail15normal_iteratorINS9_10device_ptrIyEEEEPS5_jNS1_19radix_merge_compareILb0ELb1EyNS0_19identity_decomposerEEEEE10hipError_tT0_T1_T2_jT3_P12ihipStream_tbPNSt15iterator_traitsISK_E10value_typeEPNSQ_ISL_E10value_typeEPSM_NS1_7vsmem_tEENKUlT_SK_SL_SM_E_clISE_PySF_SF_EESJ_SZ_SK_SL_SM_EUlSZ_E0_NS1_11comp_targetILNS1_3genE2ELNS1_11target_archE906ELNS1_3gpuE6ELNS1_3repE0EEENS1_38merge_mergepath_config_static_selectorELNS0_4arch9wavefront6targetE1EEEvSL_,comdat
.Lfunc_end826:
	.size	_ZN7rocprim17ROCPRIM_400000_NS6detail17trampoline_kernelINS0_14default_configENS1_38merge_sort_block_merge_config_selectorIyNS0_10empty_typeEEEZZNS1_27merge_sort_block_merge_implIS3_N6thrust23THRUST_200600_302600_NS6detail15normal_iteratorINS9_10device_ptrIyEEEEPS5_jNS1_19radix_merge_compareILb0ELb1EyNS0_19identity_decomposerEEEEE10hipError_tT0_T1_T2_jT3_P12ihipStream_tbPNSt15iterator_traitsISK_E10value_typeEPNSQ_ISL_E10value_typeEPSM_NS1_7vsmem_tEENKUlT_SK_SL_SM_E_clISE_PySF_SF_EESJ_SZ_SK_SL_SM_EUlSZ_E0_NS1_11comp_targetILNS1_3genE2ELNS1_11target_archE906ELNS1_3gpuE6ELNS1_3repE0EEENS1_38merge_mergepath_config_static_selectorELNS0_4arch9wavefront6targetE1EEEvSL_, .Lfunc_end826-_ZN7rocprim17ROCPRIM_400000_NS6detail17trampoline_kernelINS0_14default_configENS1_38merge_sort_block_merge_config_selectorIyNS0_10empty_typeEEEZZNS1_27merge_sort_block_merge_implIS3_N6thrust23THRUST_200600_302600_NS6detail15normal_iteratorINS9_10device_ptrIyEEEEPS5_jNS1_19radix_merge_compareILb0ELb1EyNS0_19identity_decomposerEEEEE10hipError_tT0_T1_T2_jT3_P12ihipStream_tbPNSt15iterator_traitsISK_E10value_typeEPNSQ_ISL_E10value_typeEPSM_NS1_7vsmem_tEENKUlT_SK_SL_SM_E_clISE_PySF_SF_EESJ_SZ_SK_SL_SM_EUlSZ_E0_NS1_11comp_targetILNS1_3genE2ELNS1_11target_archE906ELNS1_3gpuE6ELNS1_3repE0EEENS1_38merge_mergepath_config_static_selectorELNS0_4arch9wavefront6targetE1EEEvSL_
                                        ; -- End function
	.section	.AMDGPU.csdata,"",@progbits
; Kernel info:
; codeLenInByte = 0
; NumSgprs: 6
; NumVgprs: 0
; NumAgprs: 0
; TotalNumVgprs: 0
; ScratchSize: 0
; MemoryBound: 0
; FloatMode: 240
; IeeeMode: 1
; LDSByteSize: 0 bytes/workgroup (compile time only)
; SGPRBlocks: 0
; VGPRBlocks: 0
; NumSGPRsForWavesPerEU: 6
; NumVGPRsForWavesPerEU: 1
; AccumOffset: 4
; Occupancy: 8
; WaveLimiterHint : 0
; COMPUTE_PGM_RSRC2:SCRATCH_EN: 0
; COMPUTE_PGM_RSRC2:USER_SGPR: 2
; COMPUTE_PGM_RSRC2:TRAP_HANDLER: 0
; COMPUTE_PGM_RSRC2:TGID_X_EN: 1
; COMPUTE_PGM_RSRC2:TGID_Y_EN: 0
; COMPUTE_PGM_RSRC2:TGID_Z_EN: 0
; COMPUTE_PGM_RSRC2:TIDIG_COMP_CNT: 0
; COMPUTE_PGM_RSRC3_GFX90A:ACCUM_OFFSET: 0
; COMPUTE_PGM_RSRC3_GFX90A:TG_SPLIT: 0
	.section	.text._ZN7rocprim17ROCPRIM_400000_NS6detail17trampoline_kernelINS0_14default_configENS1_38merge_sort_block_merge_config_selectorIyNS0_10empty_typeEEEZZNS1_27merge_sort_block_merge_implIS3_N6thrust23THRUST_200600_302600_NS6detail15normal_iteratorINS9_10device_ptrIyEEEEPS5_jNS1_19radix_merge_compareILb0ELb1EyNS0_19identity_decomposerEEEEE10hipError_tT0_T1_T2_jT3_P12ihipStream_tbPNSt15iterator_traitsISK_E10value_typeEPNSQ_ISL_E10value_typeEPSM_NS1_7vsmem_tEENKUlT_SK_SL_SM_E_clISE_PySF_SF_EESJ_SZ_SK_SL_SM_EUlSZ_E0_NS1_11comp_targetILNS1_3genE9ELNS1_11target_archE1100ELNS1_3gpuE3ELNS1_3repE0EEENS1_38merge_mergepath_config_static_selectorELNS0_4arch9wavefront6targetE1EEEvSL_,"axG",@progbits,_ZN7rocprim17ROCPRIM_400000_NS6detail17trampoline_kernelINS0_14default_configENS1_38merge_sort_block_merge_config_selectorIyNS0_10empty_typeEEEZZNS1_27merge_sort_block_merge_implIS3_N6thrust23THRUST_200600_302600_NS6detail15normal_iteratorINS9_10device_ptrIyEEEEPS5_jNS1_19radix_merge_compareILb0ELb1EyNS0_19identity_decomposerEEEEE10hipError_tT0_T1_T2_jT3_P12ihipStream_tbPNSt15iterator_traitsISK_E10value_typeEPNSQ_ISL_E10value_typeEPSM_NS1_7vsmem_tEENKUlT_SK_SL_SM_E_clISE_PySF_SF_EESJ_SZ_SK_SL_SM_EUlSZ_E0_NS1_11comp_targetILNS1_3genE9ELNS1_11target_archE1100ELNS1_3gpuE3ELNS1_3repE0EEENS1_38merge_mergepath_config_static_selectorELNS0_4arch9wavefront6targetE1EEEvSL_,comdat
	.protected	_ZN7rocprim17ROCPRIM_400000_NS6detail17trampoline_kernelINS0_14default_configENS1_38merge_sort_block_merge_config_selectorIyNS0_10empty_typeEEEZZNS1_27merge_sort_block_merge_implIS3_N6thrust23THRUST_200600_302600_NS6detail15normal_iteratorINS9_10device_ptrIyEEEEPS5_jNS1_19radix_merge_compareILb0ELb1EyNS0_19identity_decomposerEEEEE10hipError_tT0_T1_T2_jT3_P12ihipStream_tbPNSt15iterator_traitsISK_E10value_typeEPNSQ_ISL_E10value_typeEPSM_NS1_7vsmem_tEENKUlT_SK_SL_SM_E_clISE_PySF_SF_EESJ_SZ_SK_SL_SM_EUlSZ_E0_NS1_11comp_targetILNS1_3genE9ELNS1_11target_archE1100ELNS1_3gpuE3ELNS1_3repE0EEENS1_38merge_mergepath_config_static_selectorELNS0_4arch9wavefront6targetE1EEEvSL_ ; -- Begin function _ZN7rocprim17ROCPRIM_400000_NS6detail17trampoline_kernelINS0_14default_configENS1_38merge_sort_block_merge_config_selectorIyNS0_10empty_typeEEEZZNS1_27merge_sort_block_merge_implIS3_N6thrust23THRUST_200600_302600_NS6detail15normal_iteratorINS9_10device_ptrIyEEEEPS5_jNS1_19radix_merge_compareILb0ELb1EyNS0_19identity_decomposerEEEEE10hipError_tT0_T1_T2_jT3_P12ihipStream_tbPNSt15iterator_traitsISK_E10value_typeEPNSQ_ISL_E10value_typeEPSM_NS1_7vsmem_tEENKUlT_SK_SL_SM_E_clISE_PySF_SF_EESJ_SZ_SK_SL_SM_EUlSZ_E0_NS1_11comp_targetILNS1_3genE9ELNS1_11target_archE1100ELNS1_3gpuE3ELNS1_3repE0EEENS1_38merge_mergepath_config_static_selectorELNS0_4arch9wavefront6targetE1EEEvSL_
	.globl	_ZN7rocprim17ROCPRIM_400000_NS6detail17trampoline_kernelINS0_14default_configENS1_38merge_sort_block_merge_config_selectorIyNS0_10empty_typeEEEZZNS1_27merge_sort_block_merge_implIS3_N6thrust23THRUST_200600_302600_NS6detail15normal_iteratorINS9_10device_ptrIyEEEEPS5_jNS1_19radix_merge_compareILb0ELb1EyNS0_19identity_decomposerEEEEE10hipError_tT0_T1_T2_jT3_P12ihipStream_tbPNSt15iterator_traitsISK_E10value_typeEPNSQ_ISL_E10value_typeEPSM_NS1_7vsmem_tEENKUlT_SK_SL_SM_E_clISE_PySF_SF_EESJ_SZ_SK_SL_SM_EUlSZ_E0_NS1_11comp_targetILNS1_3genE9ELNS1_11target_archE1100ELNS1_3gpuE3ELNS1_3repE0EEENS1_38merge_mergepath_config_static_selectorELNS0_4arch9wavefront6targetE1EEEvSL_
	.p2align	8
	.type	_ZN7rocprim17ROCPRIM_400000_NS6detail17trampoline_kernelINS0_14default_configENS1_38merge_sort_block_merge_config_selectorIyNS0_10empty_typeEEEZZNS1_27merge_sort_block_merge_implIS3_N6thrust23THRUST_200600_302600_NS6detail15normal_iteratorINS9_10device_ptrIyEEEEPS5_jNS1_19radix_merge_compareILb0ELb1EyNS0_19identity_decomposerEEEEE10hipError_tT0_T1_T2_jT3_P12ihipStream_tbPNSt15iterator_traitsISK_E10value_typeEPNSQ_ISL_E10value_typeEPSM_NS1_7vsmem_tEENKUlT_SK_SL_SM_E_clISE_PySF_SF_EESJ_SZ_SK_SL_SM_EUlSZ_E0_NS1_11comp_targetILNS1_3genE9ELNS1_11target_archE1100ELNS1_3gpuE3ELNS1_3repE0EEENS1_38merge_mergepath_config_static_selectorELNS0_4arch9wavefront6targetE1EEEvSL_,@function
_ZN7rocprim17ROCPRIM_400000_NS6detail17trampoline_kernelINS0_14default_configENS1_38merge_sort_block_merge_config_selectorIyNS0_10empty_typeEEEZZNS1_27merge_sort_block_merge_implIS3_N6thrust23THRUST_200600_302600_NS6detail15normal_iteratorINS9_10device_ptrIyEEEEPS5_jNS1_19radix_merge_compareILb0ELb1EyNS0_19identity_decomposerEEEEE10hipError_tT0_T1_T2_jT3_P12ihipStream_tbPNSt15iterator_traitsISK_E10value_typeEPNSQ_ISL_E10value_typeEPSM_NS1_7vsmem_tEENKUlT_SK_SL_SM_E_clISE_PySF_SF_EESJ_SZ_SK_SL_SM_EUlSZ_E0_NS1_11comp_targetILNS1_3genE9ELNS1_11target_archE1100ELNS1_3gpuE3ELNS1_3repE0EEENS1_38merge_mergepath_config_static_selectorELNS0_4arch9wavefront6targetE1EEEvSL_: ; @_ZN7rocprim17ROCPRIM_400000_NS6detail17trampoline_kernelINS0_14default_configENS1_38merge_sort_block_merge_config_selectorIyNS0_10empty_typeEEEZZNS1_27merge_sort_block_merge_implIS3_N6thrust23THRUST_200600_302600_NS6detail15normal_iteratorINS9_10device_ptrIyEEEEPS5_jNS1_19radix_merge_compareILb0ELb1EyNS0_19identity_decomposerEEEEE10hipError_tT0_T1_T2_jT3_P12ihipStream_tbPNSt15iterator_traitsISK_E10value_typeEPNSQ_ISL_E10value_typeEPSM_NS1_7vsmem_tEENKUlT_SK_SL_SM_E_clISE_PySF_SF_EESJ_SZ_SK_SL_SM_EUlSZ_E0_NS1_11comp_targetILNS1_3genE9ELNS1_11target_archE1100ELNS1_3gpuE3ELNS1_3repE0EEENS1_38merge_mergepath_config_static_selectorELNS0_4arch9wavefront6targetE1EEEvSL_
; %bb.0:
	.section	.rodata,"a",@progbits
	.p2align	6, 0x0
	.amdhsa_kernel _ZN7rocprim17ROCPRIM_400000_NS6detail17trampoline_kernelINS0_14default_configENS1_38merge_sort_block_merge_config_selectorIyNS0_10empty_typeEEEZZNS1_27merge_sort_block_merge_implIS3_N6thrust23THRUST_200600_302600_NS6detail15normal_iteratorINS9_10device_ptrIyEEEEPS5_jNS1_19radix_merge_compareILb0ELb1EyNS0_19identity_decomposerEEEEE10hipError_tT0_T1_T2_jT3_P12ihipStream_tbPNSt15iterator_traitsISK_E10value_typeEPNSQ_ISL_E10value_typeEPSM_NS1_7vsmem_tEENKUlT_SK_SL_SM_E_clISE_PySF_SF_EESJ_SZ_SK_SL_SM_EUlSZ_E0_NS1_11comp_targetILNS1_3genE9ELNS1_11target_archE1100ELNS1_3gpuE3ELNS1_3repE0EEENS1_38merge_mergepath_config_static_selectorELNS0_4arch9wavefront6targetE1EEEvSL_
		.amdhsa_group_segment_fixed_size 0
		.amdhsa_private_segment_fixed_size 0
		.amdhsa_kernarg_size 72
		.amdhsa_user_sgpr_count 2
		.amdhsa_user_sgpr_dispatch_ptr 0
		.amdhsa_user_sgpr_queue_ptr 0
		.amdhsa_user_sgpr_kernarg_segment_ptr 1
		.amdhsa_user_sgpr_dispatch_id 0
		.amdhsa_user_sgpr_kernarg_preload_length 0
		.amdhsa_user_sgpr_kernarg_preload_offset 0
		.amdhsa_user_sgpr_private_segment_size 0
		.amdhsa_uses_dynamic_stack 0
		.amdhsa_enable_private_segment 0
		.amdhsa_system_sgpr_workgroup_id_x 1
		.amdhsa_system_sgpr_workgroup_id_y 0
		.amdhsa_system_sgpr_workgroup_id_z 0
		.amdhsa_system_sgpr_workgroup_info 0
		.amdhsa_system_vgpr_workitem_id 0
		.amdhsa_next_free_vgpr 1
		.amdhsa_next_free_sgpr 0
		.amdhsa_accum_offset 4
		.amdhsa_reserve_vcc 0
		.amdhsa_float_round_mode_32 0
		.amdhsa_float_round_mode_16_64 0
		.amdhsa_float_denorm_mode_32 3
		.amdhsa_float_denorm_mode_16_64 3
		.amdhsa_dx10_clamp 1
		.amdhsa_ieee_mode 1
		.amdhsa_fp16_overflow 0
		.amdhsa_tg_split 0
		.amdhsa_exception_fp_ieee_invalid_op 0
		.amdhsa_exception_fp_denorm_src 0
		.amdhsa_exception_fp_ieee_div_zero 0
		.amdhsa_exception_fp_ieee_overflow 0
		.amdhsa_exception_fp_ieee_underflow 0
		.amdhsa_exception_fp_ieee_inexact 0
		.amdhsa_exception_int_div_zero 0
	.end_amdhsa_kernel
	.section	.text._ZN7rocprim17ROCPRIM_400000_NS6detail17trampoline_kernelINS0_14default_configENS1_38merge_sort_block_merge_config_selectorIyNS0_10empty_typeEEEZZNS1_27merge_sort_block_merge_implIS3_N6thrust23THRUST_200600_302600_NS6detail15normal_iteratorINS9_10device_ptrIyEEEEPS5_jNS1_19radix_merge_compareILb0ELb1EyNS0_19identity_decomposerEEEEE10hipError_tT0_T1_T2_jT3_P12ihipStream_tbPNSt15iterator_traitsISK_E10value_typeEPNSQ_ISL_E10value_typeEPSM_NS1_7vsmem_tEENKUlT_SK_SL_SM_E_clISE_PySF_SF_EESJ_SZ_SK_SL_SM_EUlSZ_E0_NS1_11comp_targetILNS1_3genE9ELNS1_11target_archE1100ELNS1_3gpuE3ELNS1_3repE0EEENS1_38merge_mergepath_config_static_selectorELNS0_4arch9wavefront6targetE1EEEvSL_,"axG",@progbits,_ZN7rocprim17ROCPRIM_400000_NS6detail17trampoline_kernelINS0_14default_configENS1_38merge_sort_block_merge_config_selectorIyNS0_10empty_typeEEEZZNS1_27merge_sort_block_merge_implIS3_N6thrust23THRUST_200600_302600_NS6detail15normal_iteratorINS9_10device_ptrIyEEEEPS5_jNS1_19radix_merge_compareILb0ELb1EyNS0_19identity_decomposerEEEEE10hipError_tT0_T1_T2_jT3_P12ihipStream_tbPNSt15iterator_traitsISK_E10value_typeEPNSQ_ISL_E10value_typeEPSM_NS1_7vsmem_tEENKUlT_SK_SL_SM_E_clISE_PySF_SF_EESJ_SZ_SK_SL_SM_EUlSZ_E0_NS1_11comp_targetILNS1_3genE9ELNS1_11target_archE1100ELNS1_3gpuE3ELNS1_3repE0EEENS1_38merge_mergepath_config_static_selectorELNS0_4arch9wavefront6targetE1EEEvSL_,comdat
.Lfunc_end827:
	.size	_ZN7rocprim17ROCPRIM_400000_NS6detail17trampoline_kernelINS0_14default_configENS1_38merge_sort_block_merge_config_selectorIyNS0_10empty_typeEEEZZNS1_27merge_sort_block_merge_implIS3_N6thrust23THRUST_200600_302600_NS6detail15normal_iteratorINS9_10device_ptrIyEEEEPS5_jNS1_19radix_merge_compareILb0ELb1EyNS0_19identity_decomposerEEEEE10hipError_tT0_T1_T2_jT3_P12ihipStream_tbPNSt15iterator_traitsISK_E10value_typeEPNSQ_ISL_E10value_typeEPSM_NS1_7vsmem_tEENKUlT_SK_SL_SM_E_clISE_PySF_SF_EESJ_SZ_SK_SL_SM_EUlSZ_E0_NS1_11comp_targetILNS1_3genE9ELNS1_11target_archE1100ELNS1_3gpuE3ELNS1_3repE0EEENS1_38merge_mergepath_config_static_selectorELNS0_4arch9wavefront6targetE1EEEvSL_, .Lfunc_end827-_ZN7rocprim17ROCPRIM_400000_NS6detail17trampoline_kernelINS0_14default_configENS1_38merge_sort_block_merge_config_selectorIyNS0_10empty_typeEEEZZNS1_27merge_sort_block_merge_implIS3_N6thrust23THRUST_200600_302600_NS6detail15normal_iteratorINS9_10device_ptrIyEEEEPS5_jNS1_19radix_merge_compareILb0ELb1EyNS0_19identity_decomposerEEEEE10hipError_tT0_T1_T2_jT3_P12ihipStream_tbPNSt15iterator_traitsISK_E10value_typeEPNSQ_ISL_E10value_typeEPSM_NS1_7vsmem_tEENKUlT_SK_SL_SM_E_clISE_PySF_SF_EESJ_SZ_SK_SL_SM_EUlSZ_E0_NS1_11comp_targetILNS1_3genE9ELNS1_11target_archE1100ELNS1_3gpuE3ELNS1_3repE0EEENS1_38merge_mergepath_config_static_selectorELNS0_4arch9wavefront6targetE1EEEvSL_
                                        ; -- End function
	.section	.AMDGPU.csdata,"",@progbits
; Kernel info:
; codeLenInByte = 0
; NumSgprs: 6
; NumVgprs: 0
; NumAgprs: 0
; TotalNumVgprs: 0
; ScratchSize: 0
; MemoryBound: 0
; FloatMode: 240
; IeeeMode: 1
; LDSByteSize: 0 bytes/workgroup (compile time only)
; SGPRBlocks: 0
; VGPRBlocks: 0
; NumSGPRsForWavesPerEU: 6
; NumVGPRsForWavesPerEU: 1
; AccumOffset: 4
; Occupancy: 8
; WaveLimiterHint : 0
; COMPUTE_PGM_RSRC2:SCRATCH_EN: 0
; COMPUTE_PGM_RSRC2:USER_SGPR: 2
; COMPUTE_PGM_RSRC2:TRAP_HANDLER: 0
; COMPUTE_PGM_RSRC2:TGID_X_EN: 1
; COMPUTE_PGM_RSRC2:TGID_Y_EN: 0
; COMPUTE_PGM_RSRC2:TGID_Z_EN: 0
; COMPUTE_PGM_RSRC2:TIDIG_COMP_CNT: 0
; COMPUTE_PGM_RSRC3_GFX90A:ACCUM_OFFSET: 0
; COMPUTE_PGM_RSRC3_GFX90A:TG_SPLIT: 0
	.section	.text._ZN7rocprim17ROCPRIM_400000_NS6detail17trampoline_kernelINS0_14default_configENS1_38merge_sort_block_merge_config_selectorIyNS0_10empty_typeEEEZZNS1_27merge_sort_block_merge_implIS3_N6thrust23THRUST_200600_302600_NS6detail15normal_iteratorINS9_10device_ptrIyEEEEPS5_jNS1_19radix_merge_compareILb0ELb1EyNS0_19identity_decomposerEEEEE10hipError_tT0_T1_T2_jT3_P12ihipStream_tbPNSt15iterator_traitsISK_E10value_typeEPNSQ_ISL_E10value_typeEPSM_NS1_7vsmem_tEENKUlT_SK_SL_SM_E_clISE_PySF_SF_EESJ_SZ_SK_SL_SM_EUlSZ_E0_NS1_11comp_targetILNS1_3genE8ELNS1_11target_archE1030ELNS1_3gpuE2ELNS1_3repE0EEENS1_38merge_mergepath_config_static_selectorELNS0_4arch9wavefront6targetE1EEEvSL_,"axG",@progbits,_ZN7rocprim17ROCPRIM_400000_NS6detail17trampoline_kernelINS0_14default_configENS1_38merge_sort_block_merge_config_selectorIyNS0_10empty_typeEEEZZNS1_27merge_sort_block_merge_implIS3_N6thrust23THRUST_200600_302600_NS6detail15normal_iteratorINS9_10device_ptrIyEEEEPS5_jNS1_19radix_merge_compareILb0ELb1EyNS0_19identity_decomposerEEEEE10hipError_tT0_T1_T2_jT3_P12ihipStream_tbPNSt15iterator_traitsISK_E10value_typeEPNSQ_ISL_E10value_typeEPSM_NS1_7vsmem_tEENKUlT_SK_SL_SM_E_clISE_PySF_SF_EESJ_SZ_SK_SL_SM_EUlSZ_E0_NS1_11comp_targetILNS1_3genE8ELNS1_11target_archE1030ELNS1_3gpuE2ELNS1_3repE0EEENS1_38merge_mergepath_config_static_selectorELNS0_4arch9wavefront6targetE1EEEvSL_,comdat
	.protected	_ZN7rocprim17ROCPRIM_400000_NS6detail17trampoline_kernelINS0_14default_configENS1_38merge_sort_block_merge_config_selectorIyNS0_10empty_typeEEEZZNS1_27merge_sort_block_merge_implIS3_N6thrust23THRUST_200600_302600_NS6detail15normal_iteratorINS9_10device_ptrIyEEEEPS5_jNS1_19radix_merge_compareILb0ELb1EyNS0_19identity_decomposerEEEEE10hipError_tT0_T1_T2_jT3_P12ihipStream_tbPNSt15iterator_traitsISK_E10value_typeEPNSQ_ISL_E10value_typeEPSM_NS1_7vsmem_tEENKUlT_SK_SL_SM_E_clISE_PySF_SF_EESJ_SZ_SK_SL_SM_EUlSZ_E0_NS1_11comp_targetILNS1_3genE8ELNS1_11target_archE1030ELNS1_3gpuE2ELNS1_3repE0EEENS1_38merge_mergepath_config_static_selectorELNS0_4arch9wavefront6targetE1EEEvSL_ ; -- Begin function _ZN7rocprim17ROCPRIM_400000_NS6detail17trampoline_kernelINS0_14default_configENS1_38merge_sort_block_merge_config_selectorIyNS0_10empty_typeEEEZZNS1_27merge_sort_block_merge_implIS3_N6thrust23THRUST_200600_302600_NS6detail15normal_iteratorINS9_10device_ptrIyEEEEPS5_jNS1_19radix_merge_compareILb0ELb1EyNS0_19identity_decomposerEEEEE10hipError_tT0_T1_T2_jT3_P12ihipStream_tbPNSt15iterator_traitsISK_E10value_typeEPNSQ_ISL_E10value_typeEPSM_NS1_7vsmem_tEENKUlT_SK_SL_SM_E_clISE_PySF_SF_EESJ_SZ_SK_SL_SM_EUlSZ_E0_NS1_11comp_targetILNS1_3genE8ELNS1_11target_archE1030ELNS1_3gpuE2ELNS1_3repE0EEENS1_38merge_mergepath_config_static_selectorELNS0_4arch9wavefront6targetE1EEEvSL_
	.globl	_ZN7rocprim17ROCPRIM_400000_NS6detail17trampoline_kernelINS0_14default_configENS1_38merge_sort_block_merge_config_selectorIyNS0_10empty_typeEEEZZNS1_27merge_sort_block_merge_implIS3_N6thrust23THRUST_200600_302600_NS6detail15normal_iteratorINS9_10device_ptrIyEEEEPS5_jNS1_19radix_merge_compareILb0ELb1EyNS0_19identity_decomposerEEEEE10hipError_tT0_T1_T2_jT3_P12ihipStream_tbPNSt15iterator_traitsISK_E10value_typeEPNSQ_ISL_E10value_typeEPSM_NS1_7vsmem_tEENKUlT_SK_SL_SM_E_clISE_PySF_SF_EESJ_SZ_SK_SL_SM_EUlSZ_E0_NS1_11comp_targetILNS1_3genE8ELNS1_11target_archE1030ELNS1_3gpuE2ELNS1_3repE0EEENS1_38merge_mergepath_config_static_selectorELNS0_4arch9wavefront6targetE1EEEvSL_
	.p2align	8
	.type	_ZN7rocprim17ROCPRIM_400000_NS6detail17trampoline_kernelINS0_14default_configENS1_38merge_sort_block_merge_config_selectorIyNS0_10empty_typeEEEZZNS1_27merge_sort_block_merge_implIS3_N6thrust23THRUST_200600_302600_NS6detail15normal_iteratorINS9_10device_ptrIyEEEEPS5_jNS1_19radix_merge_compareILb0ELb1EyNS0_19identity_decomposerEEEEE10hipError_tT0_T1_T2_jT3_P12ihipStream_tbPNSt15iterator_traitsISK_E10value_typeEPNSQ_ISL_E10value_typeEPSM_NS1_7vsmem_tEENKUlT_SK_SL_SM_E_clISE_PySF_SF_EESJ_SZ_SK_SL_SM_EUlSZ_E0_NS1_11comp_targetILNS1_3genE8ELNS1_11target_archE1030ELNS1_3gpuE2ELNS1_3repE0EEENS1_38merge_mergepath_config_static_selectorELNS0_4arch9wavefront6targetE1EEEvSL_,@function
_ZN7rocprim17ROCPRIM_400000_NS6detail17trampoline_kernelINS0_14default_configENS1_38merge_sort_block_merge_config_selectorIyNS0_10empty_typeEEEZZNS1_27merge_sort_block_merge_implIS3_N6thrust23THRUST_200600_302600_NS6detail15normal_iteratorINS9_10device_ptrIyEEEEPS5_jNS1_19radix_merge_compareILb0ELb1EyNS0_19identity_decomposerEEEEE10hipError_tT0_T1_T2_jT3_P12ihipStream_tbPNSt15iterator_traitsISK_E10value_typeEPNSQ_ISL_E10value_typeEPSM_NS1_7vsmem_tEENKUlT_SK_SL_SM_E_clISE_PySF_SF_EESJ_SZ_SK_SL_SM_EUlSZ_E0_NS1_11comp_targetILNS1_3genE8ELNS1_11target_archE1030ELNS1_3gpuE2ELNS1_3repE0EEENS1_38merge_mergepath_config_static_selectorELNS0_4arch9wavefront6targetE1EEEvSL_: ; @_ZN7rocprim17ROCPRIM_400000_NS6detail17trampoline_kernelINS0_14default_configENS1_38merge_sort_block_merge_config_selectorIyNS0_10empty_typeEEEZZNS1_27merge_sort_block_merge_implIS3_N6thrust23THRUST_200600_302600_NS6detail15normal_iteratorINS9_10device_ptrIyEEEEPS5_jNS1_19radix_merge_compareILb0ELb1EyNS0_19identity_decomposerEEEEE10hipError_tT0_T1_T2_jT3_P12ihipStream_tbPNSt15iterator_traitsISK_E10value_typeEPNSQ_ISL_E10value_typeEPSM_NS1_7vsmem_tEENKUlT_SK_SL_SM_E_clISE_PySF_SF_EESJ_SZ_SK_SL_SM_EUlSZ_E0_NS1_11comp_targetILNS1_3genE8ELNS1_11target_archE1030ELNS1_3gpuE2ELNS1_3repE0EEENS1_38merge_mergepath_config_static_selectorELNS0_4arch9wavefront6targetE1EEEvSL_
; %bb.0:
	.section	.rodata,"a",@progbits
	.p2align	6, 0x0
	.amdhsa_kernel _ZN7rocprim17ROCPRIM_400000_NS6detail17trampoline_kernelINS0_14default_configENS1_38merge_sort_block_merge_config_selectorIyNS0_10empty_typeEEEZZNS1_27merge_sort_block_merge_implIS3_N6thrust23THRUST_200600_302600_NS6detail15normal_iteratorINS9_10device_ptrIyEEEEPS5_jNS1_19radix_merge_compareILb0ELb1EyNS0_19identity_decomposerEEEEE10hipError_tT0_T1_T2_jT3_P12ihipStream_tbPNSt15iterator_traitsISK_E10value_typeEPNSQ_ISL_E10value_typeEPSM_NS1_7vsmem_tEENKUlT_SK_SL_SM_E_clISE_PySF_SF_EESJ_SZ_SK_SL_SM_EUlSZ_E0_NS1_11comp_targetILNS1_3genE8ELNS1_11target_archE1030ELNS1_3gpuE2ELNS1_3repE0EEENS1_38merge_mergepath_config_static_selectorELNS0_4arch9wavefront6targetE1EEEvSL_
		.amdhsa_group_segment_fixed_size 0
		.amdhsa_private_segment_fixed_size 0
		.amdhsa_kernarg_size 72
		.amdhsa_user_sgpr_count 2
		.amdhsa_user_sgpr_dispatch_ptr 0
		.amdhsa_user_sgpr_queue_ptr 0
		.amdhsa_user_sgpr_kernarg_segment_ptr 1
		.amdhsa_user_sgpr_dispatch_id 0
		.amdhsa_user_sgpr_kernarg_preload_length 0
		.amdhsa_user_sgpr_kernarg_preload_offset 0
		.amdhsa_user_sgpr_private_segment_size 0
		.amdhsa_uses_dynamic_stack 0
		.amdhsa_enable_private_segment 0
		.amdhsa_system_sgpr_workgroup_id_x 1
		.amdhsa_system_sgpr_workgroup_id_y 0
		.amdhsa_system_sgpr_workgroup_id_z 0
		.amdhsa_system_sgpr_workgroup_info 0
		.amdhsa_system_vgpr_workitem_id 0
		.amdhsa_next_free_vgpr 1
		.amdhsa_next_free_sgpr 0
		.amdhsa_accum_offset 4
		.amdhsa_reserve_vcc 0
		.amdhsa_float_round_mode_32 0
		.amdhsa_float_round_mode_16_64 0
		.amdhsa_float_denorm_mode_32 3
		.amdhsa_float_denorm_mode_16_64 3
		.amdhsa_dx10_clamp 1
		.amdhsa_ieee_mode 1
		.amdhsa_fp16_overflow 0
		.amdhsa_tg_split 0
		.amdhsa_exception_fp_ieee_invalid_op 0
		.amdhsa_exception_fp_denorm_src 0
		.amdhsa_exception_fp_ieee_div_zero 0
		.amdhsa_exception_fp_ieee_overflow 0
		.amdhsa_exception_fp_ieee_underflow 0
		.amdhsa_exception_fp_ieee_inexact 0
		.amdhsa_exception_int_div_zero 0
	.end_amdhsa_kernel
	.section	.text._ZN7rocprim17ROCPRIM_400000_NS6detail17trampoline_kernelINS0_14default_configENS1_38merge_sort_block_merge_config_selectorIyNS0_10empty_typeEEEZZNS1_27merge_sort_block_merge_implIS3_N6thrust23THRUST_200600_302600_NS6detail15normal_iteratorINS9_10device_ptrIyEEEEPS5_jNS1_19radix_merge_compareILb0ELb1EyNS0_19identity_decomposerEEEEE10hipError_tT0_T1_T2_jT3_P12ihipStream_tbPNSt15iterator_traitsISK_E10value_typeEPNSQ_ISL_E10value_typeEPSM_NS1_7vsmem_tEENKUlT_SK_SL_SM_E_clISE_PySF_SF_EESJ_SZ_SK_SL_SM_EUlSZ_E0_NS1_11comp_targetILNS1_3genE8ELNS1_11target_archE1030ELNS1_3gpuE2ELNS1_3repE0EEENS1_38merge_mergepath_config_static_selectorELNS0_4arch9wavefront6targetE1EEEvSL_,"axG",@progbits,_ZN7rocprim17ROCPRIM_400000_NS6detail17trampoline_kernelINS0_14default_configENS1_38merge_sort_block_merge_config_selectorIyNS0_10empty_typeEEEZZNS1_27merge_sort_block_merge_implIS3_N6thrust23THRUST_200600_302600_NS6detail15normal_iteratorINS9_10device_ptrIyEEEEPS5_jNS1_19radix_merge_compareILb0ELb1EyNS0_19identity_decomposerEEEEE10hipError_tT0_T1_T2_jT3_P12ihipStream_tbPNSt15iterator_traitsISK_E10value_typeEPNSQ_ISL_E10value_typeEPSM_NS1_7vsmem_tEENKUlT_SK_SL_SM_E_clISE_PySF_SF_EESJ_SZ_SK_SL_SM_EUlSZ_E0_NS1_11comp_targetILNS1_3genE8ELNS1_11target_archE1030ELNS1_3gpuE2ELNS1_3repE0EEENS1_38merge_mergepath_config_static_selectorELNS0_4arch9wavefront6targetE1EEEvSL_,comdat
.Lfunc_end828:
	.size	_ZN7rocprim17ROCPRIM_400000_NS6detail17trampoline_kernelINS0_14default_configENS1_38merge_sort_block_merge_config_selectorIyNS0_10empty_typeEEEZZNS1_27merge_sort_block_merge_implIS3_N6thrust23THRUST_200600_302600_NS6detail15normal_iteratorINS9_10device_ptrIyEEEEPS5_jNS1_19radix_merge_compareILb0ELb1EyNS0_19identity_decomposerEEEEE10hipError_tT0_T1_T2_jT3_P12ihipStream_tbPNSt15iterator_traitsISK_E10value_typeEPNSQ_ISL_E10value_typeEPSM_NS1_7vsmem_tEENKUlT_SK_SL_SM_E_clISE_PySF_SF_EESJ_SZ_SK_SL_SM_EUlSZ_E0_NS1_11comp_targetILNS1_3genE8ELNS1_11target_archE1030ELNS1_3gpuE2ELNS1_3repE0EEENS1_38merge_mergepath_config_static_selectorELNS0_4arch9wavefront6targetE1EEEvSL_, .Lfunc_end828-_ZN7rocprim17ROCPRIM_400000_NS6detail17trampoline_kernelINS0_14default_configENS1_38merge_sort_block_merge_config_selectorIyNS0_10empty_typeEEEZZNS1_27merge_sort_block_merge_implIS3_N6thrust23THRUST_200600_302600_NS6detail15normal_iteratorINS9_10device_ptrIyEEEEPS5_jNS1_19radix_merge_compareILb0ELb1EyNS0_19identity_decomposerEEEEE10hipError_tT0_T1_T2_jT3_P12ihipStream_tbPNSt15iterator_traitsISK_E10value_typeEPNSQ_ISL_E10value_typeEPSM_NS1_7vsmem_tEENKUlT_SK_SL_SM_E_clISE_PySF_SF_EESJ_SZ_SK_SL_SM_EUlSZ_E0_NS1_11comp_targetILNS1_3genE8ELNS1_11target_archE1030ELNS1_3gpuE2ELNS1_3repE0EEENS1_38merge_mergepath_config_static_selectorELNS0_4arch9wavefront6targetE1EEEvSL_
                                        ; -- End function
	.section	.AMDGPU.csdata,"",@progbits
; Kernel info:
; codeLenInByte = 0
; NumSgprs: 6
; NumVgprs: 0
; NumAgprs: 0
; TotalNumVgprs: 0
; ScratchSize: 0
; MemoryBound: 0
; FloatMode: 240
; IeeeMode: 1
; LDSByteSize: 0 bytes/workgroup (compile time only)
; SGPRBlocks: 0
; VGPRBlocks: 0
; NumSGPRsForWavesPerEU: 6
; NumVGPRsForWavesPerEU: 1
; AccumOffset: 4
; Occupancy: 8
; WaveLimiterHint : 0
; COMPUTE_PGM_RSRC2:SCRATCH_EN: 0
; COMPUTE_PGM_RSRC2:USER_SGPR: 2
; COMPUTE_PGM_RSRC2:TRAP_HANDLER: 0
; COMPUTE_PGM_RSRC2:TGID_X_EN: 1
; COMPUTE_PGM_RSRC2:TGID_Y_EN: 0
; COMPUTE_PGM_RSRC2:TGID_Z_EN: 0
; COMPUTE_PGM_RSRC2:TIDIG_COMP_CNT: 0
; COMPUTE_PGM_RSRC3_GFX90A:ACCUM_OFFSET: 0
; COMPUTE_PGM_RSRC3_GFX90A:TG_SPLIT: 0
	.section	.text._ZN7rocprim17ROCPRIM_400000_NS6detail17trampoline_kernelINS0_14default_configENS1_38merge_sort_block_merge_config_selectorIyNS0_10empty_typeEEEZZNS1_27merge_sort_block_merge_implIS3_N6thrust23THRUST_200600_302600_NS6detail15normal_iteratorINS9_10device_ptrIyEEEEPS5_jNS1_19radix_merge_compareILb0ELb1EyNS0_19identity_decomposerEEEEE10hipError_tT0_T1_T2_jT3_P12ihipStream_tbPNSt15iterator_traitsISK_E10value_typeEPNSQ_ISL_E10value_typeEPSM_NS1_7vsmem_tEENKUlT_SK_SL_SM_E_clISE_PySF_SF_EESJ_SZ_SK_SL_SM_EUlSZ_E1_NS1_11comp_targetILNS1_3genE0ELNS1_11target_archE4294967295ELNS1_3gpuE0ELNS1_3repE0EEENS1_36merge_oddeven_config_static_selectorELNS0_4arch9wavefront6targetE1EEEvSL_,"axG",@progbits,_ZN7rocprim17ROCPRIM_400000_NS6detail17trampoline_kernelINS0_14default_configENS1_38merge_sort_block_merge_config_selectorIyNS0_10empty_typeEEEZZNS1_27merge_sort_block_merge_implIS3_N6thrust23THRUST_200600_302600_NS6detail15normal_iteratorINS9_10device_ptrIyEEEEPS5_jNS1_19radix_merge_compareILb0ELb1EyNS0_19identity_decomposerEEEEE10hipError_tT0_T1_T2_jT3_P12ihipStream_tbPNSt15iterator_traitsISK_E10value_typeEPNSQ_ISL_E10value_typeEPSM_NS1_7vsmem_tEENKUlT_SK_SL_SM_E_clISE_PySF_SF_EESJ_SZ_SK_SL_SM_EUlSZ_E1_NS1_11comp_targetILNS1_3genE0ELNS1_11target_archE4294967295ELNS1_3gpuE0ELNS1_3repE0EEENS1_36merge_oddeven_config_static_selectorELNS0_4arch9wavefront6targetE1EEEvSL_,comdat
	.protected	_ZN7rocprim17ROCPRIM_400000_NS6detail17trampoline_kernelINS0_14default_configENS1_38merge_sort_block_merge_config_selectorIyNS0_10empty_typeEEEZZNS1_27merge_sort_block_merge_implIS3_N6thrust23THRUST_200600_302600_NS6detail15normal_iteratorINS9_10device_ptrIyEEEEPS5_jNS1_19radix_merge_compareILb0ELb1EyNS0_19identity_decomposerEEEEE10hipError_tT0_T1_T2_jT3_P12ihipStream_tbPNSt15iterator_traitsISK_E10value_typeEPNSQ_ISL_E10value_typeEPSM_NS1_7vsmem_tEENKUlT_SK_SL_SM_E_clISE_PySF_SF_EESJ_SZ_SK_SL_SM_EUlSZ_E1_NS1_11comp_targetILNS1_3genE0ELNS1_11target_archE4294967295ELNS1_3gpuE0ELNS1_3repE0EEENS1_36merge_oddeven_config_static_selectorELNS0_4arch9wavefront6targetE1EEEvSL_ ; -- Begin function _ZN7rocprim17ROCPRIM_400000_NS6detail17trampoline_kernelINS0_14default_configENS1_38merge_sort_block_merge_config_selectorIyNS0_10empty_typeEEEZZNS1_27merge_sort_block_merge_implIS3_N6thrust23THRUST_200600_302600_NS6detail15normal_iteratorINS9_10device_ptrIyEEEEPS5_jNS1_19radix_merge_compareILb0ELb1EyNS0_19identity_decomposerEEEEE10hipError_tT0_T1_T2_jT3_P12ihipStream_tbPNSt15iterator_traitsISK_E10value_typeEPNSQ_ISL_E10value_typeEPSM_NS1_7vsmem_tEENKUlT_SK_SL_SM_E_clISE_PySF_SF_EESJ_SZ_SK_SL_SM_EUlSZ_E1_NS1_11comp_targetILNS1_3genE0ELNS1_11target_archE4294967295ELNS1_3gpuE0ELNS1_3repE0EEENS1_36merge_oddeven_config_static_selectorELNS0_4arch9wavefront6targetE1EEEvSL_
	.globl	_ZN7rocprim17ROCPRIM_400000_NS6detail17trampoline_kernelINS0_14default_configENS1_38merge_sort_block_merge_config_selectorIyNS0_10empty_typeEEEZZNS1_27merge_sort_block_merge_implIS3_N6thrust23THRUST_200600_302600_NS6detail15normal_iteratorINS9_10device_ptrIyEEEEPS5_jNS1_19radix_merge_compareILb0ELb1EyNS0_19identity_decomposerEEEEE10hipError_tT0_T1_T2_jT3_P12ihipStream_tbPNSt15iterator_traitsISK_E10value_typeEPNSQ_ISL_E10value_typeEPSM_NS1_7vsmem_tEENKUlT_SK_SL_SM_E_clISE_PySF_SF_EESJ_SZ_SK_SL_SM_EUlSZ_E1_NS1_11comp_targetILNS1_3genE0ELNS1_11target_archE4294967295ELNS1_3gpuE0ELNS1_3repE0EEENS1_36merge_oddeven_config_static_selectorELNS0_4arch9wavefront6targetE1EEEvSL_
	.p2align	8
	.type	_ZN7rocprim17ROCPRIM_400000_NS6detail17trampoline_kernelINS0_14default_configENS1_38merge_sort_block_merge_config_selectorIyNS0_10empty_typeEEEZZNS1_27merge_sort_block_merge_implIS3_N6thrust23THRUST_200600_302600_NS6detail15normal_iteratorINS9_10device_ptrIyEEEEPS5_jNS1_19radix_merge_compareILb0ELb1EyNS0_19identity_decomposerEEEEE10hipError_tT0_T1_T2_jT3_P12ihipStream_tbPNSt15iterator_traitsISK_E10value_typeEPNSQ_ISL_E10value_typeEPSM_NS1_7vsmem_tEENKUlT_SK_SL_SM_E_clISE_PySF_SF_EESJ_SZ_SK_SL_SM_EUlSZ_E1_NS1_11comp_targetILNS1_3genE0ELNS1_11target_archE4294967295ELNS1_3gpuE0ELNS1_3repE0EEENS1_36merge_oddeven_config_static_selectorELNS0_4arch9wavefront6targetE1EEEvSL_,@function
_ZN7rocprim17ROCPRIM_400000_NS6detail17trampoline_kernelINS0_14default_configENS1_38merge_sort_block_merge_config_selectorIyNS0_10empty_typeEEEZZNS1_27merge_sort_block_merge_implIS3_N6thrust23THRUST_200600_302600_NS6detail15normal_iteratorINS9_10device_ptrIyEEEEPS5_jNS1_19radix_merge_compareILb0ELb1EyNS0_19identity_decomposerEEEEE10hipError_tT0_T1_T2_jT3_P12ihipStream_tbPNSt15iterator_traitsISK_E10value_typeEPNSQ_ISL_E10value_typeEPSM_NS1_7vsmem_tEENKUlT_SK_SL_SM_E_clISE_PySF_SF_EESJ_SZ_SK_SL_SM_EUlSZ_E1_NS1_11comp_targetILNS1_3genE0ELNS1_11target_archE4294967295ELNS1_3gpuE0ELNS1_3repE0EEENS1_36merge_oddeven_config_static_selectorELNS0_4arch9wavefront6targetE1EEEvSL_: ; @_ZN7rocprim17ROCPRIM_400000_NS6detail17trampoline_kernelINS0_14default_configENS1_38merge_sort_block_merge_config_selectorIyNS0_10empty_typeEEEZZNS1_27merge_sort_block_merge_implIS3_N6thrust23THRUST_200600_302600_NS6detail15normal_iteratorINS9_10device_ptrIyEEEEPS5_jNS1_19radix_merge_compareILb0ELb1EyNS0_19identity_decomposerEEEEE10hipError_tT0_T1_T2_jT3_P12ihipStream_tbPNSt15iterator_traitsISK_E10value_typeEPNSQ_ISL_E10value_typeEPSM_NS1_7vsmem_tEENKUlT_SK_SL_SM_E_clISE_PySF_SF_EESJ_SZ_SK_SL_SM_EUlSZ_E1_NS1_11comp_targetILNS1_3genE0ELNS1_11target_archE4294967295ELNS1_3gpuE0ELNS1_3repE0EEENS1_36merge_oddeven_config_static_selectorELNS0_4arch9wavefront6targetE1EEEvSL_
; %bb.0:
	.section	.rodata,"a",@progbits
	.p2align	6, 0x0
	.amdhsa_kernel _ZN7rocprim17ROCPRIM_400000_NS6detail17trampoline_kernelINS0_14default_configENS1_38merge_sort_block_merge_config_selectorIyNS0_10empty_typeEEEZZNS1_27merge_sort_block_merge_implIS3_N6thrust23THRUST_200600_302600_NS6detail15normal_iteratorINS9_10device_ptrIyEEEEPS5_jNS1_19radix_merge_compareILb0ELb1EyNS0_19identity_decomposerEEEEE10hipError_tT0_T1_T2_jT3_P12ihipStream_tbPNSt15iterator_traitsISK_E10value_typeEPNSQ_ISL_E10value_typeEPSM_NS1_7vsmem_tEENKUlT_SK_SL_SM_E_clISE_PySF_SF_EESJ_SZ_SK_SL_SM_EUlSZ_E1_NS1_11comp_targetILNS1_3genE0ELNS1_11target_archE4294967295ELNS1_3gpuE0ELNS1_3repE0EEENS1_36merge_oddeven_config_static_selectorELNS0_4arch9wavefront6targetE1EEEvSL_
		.amdhsa_group_segment_fixed_size 0
		.amdhsa_private_segment_fixed_size 0
		.amdhsa_kernarg_size 48
		.amdhsa_user_sgpr_count 2
		.amdhsa_user_sgpr_dispatch_ptr 0
		.amdhsa_user_sgpr_queue_ptr 0
		.amdhsa_user_sgpr_kernarg_segment_ptr 1
		.amdhsa_user_sgpr_dispatch_id 0
		.amdhsa_user_sgpr_kernarg_preload_length 0
		.amdhsa_user_sgpr_kernarg_preload_offset 0
		.amdhsa_user_sgpr_private_segment_size 0
		.amdhsa_uses_dynamic_stack 0
		.amdhsa_enable_private_segment 0
		.amdhsa_system_sgpr_workgroup_id_x 1
		.amdhsa_system_sgpr_workgroup_id_y 0
		.amdhsa_system_sgpr_workgroup_id_z 0
		.amdhsa_system_sgpr_workgroup_info 0
		.amdhsa_system_vgpr_workitem_id 0
		.amdhsa_next_free_vgpr 1
		.amdhsa_next_free_sgpr 0
		.amdhsa_accum_offset 4
		.amdhsa_reserve_vcc 0
		.amdhsa_float_round_mode_32 0
		.amdhsa_float_round_mode_16_64 0
		.amdhsa_float_denorm_mode_32 3
		.amdhsa_float_denorm_mode_16_64 3
		.amdhsa_dx10_clamp 1
		.amdhsa_ieee_mode 1
		.amdhsa_fp16_overflow 0
		.amdhsa_tg_split 0
		.amdhsa_exception_fp_ieee_invalid_op 0
		.amdhsa_exception_fp_denorm_src 0
		.amdhsa_exception_fp_ieee_div_zero 0
		.amdhsa_exception_fp_ieee_overflow 0
		.amdhsa_exception_fp_ieee_underflow 0
		.amdhsa_exception_fp_ieee_inexact 0
		.amdhsa_exception_int_div_zero 0
	.end_amdhsa_kernel
	.section	.text._ZN7rocprim17ROCPRIM_400000_NS6detail17trampoline_kernelINS0_14default_configENS1_38merge_sort_block_merge_config_selectorIyNS0_10empty_typeEEEZZNS1_27merge_sort_block_merge_implIS3_N6thrust23THRUST_200600_302600_NS6detail15normal_iteratorINS9_10device_ptrIyEEEEPS5_jNS1_19radix_merge_compareILb0ELb1EyNS0_19identity_decomposerEEEEE10hipError_tT0_T1_T2_jT3_P12ihipStream_tbPNSt15iterator_traitsISK_E10value_typeEPNSQ_ISL_E10value_typeEPSM_NS1_7vsmem_tEENKUlT_SK_SL_SM_E_clISE_PySF_SF_EESJ_SZ_SK_SL_SM_EUlSZ_E1_NS1_11comp_targetILNS1_3genE0ELNS1_11target_archE4294967295ELNS1_3gpuE0ELNS1_3repE0EEENS1_36merge_oddeven_config_static_selectorELNS0_4arch9wavefront6targetE1EEEvSL_,"axG",@progbits,_ZN7rocprim17ROCPRIM_400000_NS6detail17trampoline_kernelINS0_14default_configENS1_38merge_sort_block_merge_config_selectorIyNS0_10empty_typeEEEZZNS1_27merge_sort_block_merge_implIS3_N6thrust23THRUST_200600_302600_NS6detail15normal_iteratorINS9_10device_ptrIyEEEEPS5_jNS1_19radix_merge_compareILb0ELb1EyNS0_19identity_decomposerEEEEE10hipError_tT0_T1_T2_jT3_P12ihipStream_tbPNSt15iterator_traitsISK_E10value_typeEPNSQ_ISL_E10value_typeEPSM_NS1_7vsmem_tEENKUlT_SK_SL_SM_E_clISE_PySF_SF_EESJ_SZ_SK_SL_SM_EUlSZ_E1_NS1_11comp_targetILNS1_3genE0ELNS1_11target_archE4294967295ELNS1_3gpuE0ELNS1_3repE0EEENS1_36merge_oddeven_config_static_selectorELNS0_4arch9wavefront6targetE1EEEvSL_,comdat
.Lfunc_end829:
	.size	_ZN7rocprim17ROCPRIM_400000_NS6detail17trampoline_kernelINS0_14default_configENS1_38merge_sort_block_merge_config_selectorIyNS0_10empty_typeEEEZZNS1_27merge_sort_block_merge_implIS3_N6thrust23THRUST_200600_302600_NS6detail15normal_iteratorINS9_10device_ptrIyEEEEPS5_jNS1_19radix_merge_compareILb0ELb1EyNS0_19identity_decomposerEEEEE10hipError_tT0_T1_T2_jT3_P12ihipStream_tbPNSt15iterator_traitsISK_E10value_typeEPNSQ_ISL_E10value_typeEPSM_NS1_7vsmem_tEENKUlT_SK_SL_SM_E_clISE_PySF_SF_EESJ_SZ_SK_SL_SM_EUlSZ_E1_NS1_11comp_targetILNS1_3genE0ELNS1_11target_archE4294967295ELNS1_3gpuE0ELNS1_3repE0EEENS1_36merge_oddeven_config_static_selectorELNS0_4arch9wavefront6targetE1EEEvSL_, .Lfunc_end829-_ZN7rocprim17ROCPRIM_400000_NS6detail17trampoline_kernelINS0_14default_configENS1_38merge_sort_block_merge_config_selectorIyNS0_10empty_typeEEEZZNS1_27merge_sort_block_merge_implIS3_N6thrust23THRUST_200600_302600_NS6detail15normal_iteratorINS9_10device_ptrIyEEEEPS5_jNS1_19radix_merge_compareILb0ELb1EyNS0_19identity_decomposerEEEEE10hipError_tT0_T1_T2_jT3_P12ihipStream_tbPNSt15iterator_traitsISK_E10value_typeEPNSQ_ISL_E10value_typeEPSM_NS1_7vsmem_tEENKUlT_SK_SL_SM_E_clISE_PySF_SF_EESJ_SZ_SK_SL_SM_EUlSZ_E1_NS1_11comp_targetILNS1_3genE0ELNS1_11target_archE4294967295ELNS1_3gpuE0ELNS1_3repE0EEENS1_36merge_oddeven_config_static_selectorELNS0_4arch9wavefront6targetE1EEEvSL_
                                        ; -- End function
	.section	.AMDGPU.csdata,"",@progbits
; Kernel info:
; codeLenInByte = 0
; NumSgprs: 6
; NumVgprs: 0
; NumAgprs: 0
; TotalNumVgprs: 0
; ScratchSize: 0
; MemoryBound: 0
; FloatMode: 240
; IeeeMode: 1
; LDSByteSize: 0 bytes/workgroup (compile time only)
; SGPRBlocks: 0
; VGPRBlocks: 0
; NumSGPRsForWavesPerEU: 6
; NumVGPRsForWavesPerEU: 1
; AccumOffset: 4
; Occupancy: 8
; WaveLimiterHint : 0
; COMPUTE_PGM_RSRC2:SCRATCH_EN: 0
; COMPUTE_PGM_RSRC2:USER_SGPR: 2
; COMPUTE_PGM_RSRC2:TRAP_HANDLER: 0
; COMPUTE_PGM_RSRC2:TGID_X_EN: 1
; COMPUTE_PGM_RSRC2:TGID_Y_EN: 0
; COMPUTE_PGM_RSRC2:TGID_Z_EN: 0
; COMPUTE_PGM_RSRC2:TIDIG_COMP_CNT: 0
; COMPUTE_PGM_RSRC3_GFX90A:ACCUM_OFFSET: 0
; COMPUTE_PGM_RSRC3_GFX90A:TG_SPLIT: 0
	.section	.text._ZN7rocprim17ROCPRIM_400000_NS6detail17trampoline_kernelINS0_14default_configENS1_38merge_sort_block_merge_config_selectorIyNS0_10empty_typeEEEZZNS1_27merge_sort_block_merge_implIS3_N6thrust23THRUST_200600_302600_NS6detail15normal_iteratorINS9_10device_ptrIyEEEEPS5_jNS1_19radix_merge_compareILb0ELb1EyNS0_19identity_decomposerEEEEE10hipError_tT0_T1_T2_jT3_P12ihipStream_tbPNSt15iterator_traitsISK_E10value_typeEPNSQ_ISL_E10value_typeEPSM_NS1_7vsmem_tEENKUlT_SK_SL_SM_E_clISE_PySF_SF_EESJ_SZ_SK_SL_SM_EUlSZ_E1_NS1_11comp_targetILNS1_3genE10ELNS1_11target_archE1201ELNS1_3gpuE5ELNS1_3repE0EEENS1_36merge_oddeven_config_static_selectorELNS0_4arch9wavefront6targetE1EEEvSL_,"axG",@progbits,_ZN7rocprim17ROCPRIM_400000_NS6detail17trampoline_kernelINS0_14default_configENS1_38merge_sort_block_merge_config_selectorIyNS0_10empty_typeEEEZZNS1_27merge_sort_block_merge_implIS3_N6thrust23THRUST_200600_302600_NS6detail15normal_iteratorINS9_10device_ptrIyEEEEPS5_jNS1_19radix_merge_compareILb0ELb1EyNS0_19identity_decomposerEEEEE10hipError_tT0_T1_T2_jT3_P12ihipStream_tbPNSt15iterator_traitsISK_E10value_typeEPNSQ_ISL_E10value_typeEPSM_NS1_7vsmem_tEENKUlT_SK_SL_SM_E_clISE_PySF_SF_EESJ_SZ_SK_SL_SM_EUlSZ_E1_NS1_11comp_targetILNS1_3genE10ELNS1_11target_archE1201ELNS1_3gpuE5ELNS1_3repE0EEENS1_36merge_oddeven_config_static_selectorELNS0_4arch9wavefront6targetE1EEEvSL_,comdat
	.protected	_ZN7rocprim17ROCPRIM_400000_NS6detail17trampoline_kernelINS0_14default_configENS1_38merge_sort_block_merge_config_selectorIyNS0_10empty_typeEEEZZNS1_27merge_sort_block_merge_implIS3_N6thrust23THRUST_200600_302600_NS6detail15normal_iteratorINS9_10device_ptrIyEEEEPS5_jNS1_19radix_merge_compareILb0ELb1EyNS0_19identity_decomposerEEEEE10hipError_tT0_T1_T2_jT3_P12ihipStream_tbPNSt15iterator_traitsISK_E10value_typeEPNSQ_ISL_E10value_typeEPSM_NS1_7vsmem_tEENKUlT_SK_SL_SM_E_clISE_PySF_SF_EESJ_SZ_SK_SL_SM_EUlSZ_E1_NS1_11comp_targetILNS1_3genE10ELNS1_11target_archE1201ELNS1_3gpuE5ELNS1_3repE0EEENS1_36merge_oddeven_config_static_selectorELNS0_4arch9wavefront6targetE1EEEvSL_ ; -- Begin function _ZN7rocprim17ROCPRIM_400000_NS6detail17trampoline_kernelINS0_14default_configENS1_38merge_sort_block_merge_config_selectorIyNS0_10empty_typeEEEZZNS1_27merge_sort_block_merge_implIS3_N6thrust23THRUST_200600_302600_NS6detail15normal_iteratorINS9_10device_ptrIyEEEEPS5_jNS1_19radix_merge_compareILb0ELb1EyNS0_19identity_decomposerEEEEE10hipError_tT0_T1_T2_jT3_P12ihipStream_tbPNSt15iterator_traitsISK_E10value_typeEPNSQ_ISL_E10value_typeEPSM_NS1_7vsmem_tEENKUlT_SK_SL_SM_E_clISE_PySF_SF_EESJ_SZ_SK_SL_SM_EUlSZ_E1_NS1_11comp_targetILNS1_3genE10ELNS1_11target_archE1201ELNS1_3gpuE5ELNS1_3repE0EEENS1_36merge_oddeven_config_static_selectorELNS0_4arch9wavefront6targetE1EEEvSL_
	.globl	_ZN7rocprim17ROCPRIM_400000_NS6detail17trampoline_kernelINS0_14default_configENS1_38merge_sort_block_merge_config_selectorIyNS0_10empty_typeEEEZZNS1_27merge_sort_block_merge_implIS3_N6thrust23THRUST_200600_302600_NS6detail15normal_iteratorINS9_10device_ptrIyEEEEPS5_jNS1_19radix_merge_compareILb0ELb1EyNS0_19identity_decomposerEEEEE10hipError_tT0_T1_T2_jT3_P12ihipStream_tbPNSt15iterator_traitsISK_E10value_typeEPNSQ_ISL_E10value_typeEPSM_NS1_7vsmem_tEENKUlT_SK_SL_SM_E_clISE_PySF_SF_EESJ_SZ_SK_SL_SM_EUlSZ_E1_NS1_11comp_targetILNS1_3genE10ELNS1_11target_archE1201ELNS1_3gpuE5ELNS1_3repE0EEENS1_36merge_oddeven_config_static_selectorELNS0_4arch9wavefront6targetE1EEEvSL_
	.p2align	8
	.type	_ZN7rocprim17ROCPRIM_400000_NS6detail17trampoline_kernelINS0_14default_configENS1_38merge_sort_block_merge_config_selectorIyNS0_10empty_typeEEEZZNS1_27merge_sort_block_merge_implIS3_N6thrust23THRUST_200600_302600_NS6detail15normal_iteratorINS9_10device_ptrIyEEEEPS5_jNS1_19radix_merge_compareILb0ELb1EyNS0_19identity_decomposerEEEEE10hipError_tT0_T1_T2_jT3_P12ihipStream_tbPNSt15iterator_traitsISK_E10value_typeEPNSQ_ISL_E10value_typeEPSM_NS1_7vsmem_tEENKUlT_SK_SL_SM_E_clISE_PySF_SF_EESJ_SZ_SK_SL_SM_EUlSZ_E1_NS1_11comp_targetILNS1_3genE10ELNS1_11target_archE1201ELNS1_3gpuE5ELNS1_3repE0EEENS1_36merge_oddeven_config_static_selectorELNS0_4arch9wavefront6targetE1EEEvSL_,@function
_ZN7rocprim17ROCPRIM_400000_NS6detail17trampoline_kernelINS0_14default_configENS1_38merge_sort_block_merge_config_selectorIyNS0_10empty_typeEEEZZNS1_27merge_sort_block_merge_implIS3_N6thrust23THRUST_200600_302600_NS6detail15normal_iteratorINS9_10device_ptrIyEEEEPS5_jNS1_19radix_merge_compareILb0ELb1EyNS0_19identity_decomposerEEEEE10hipError_tT0_T1_T2_jT3_P12ihipStream_tbPNSt15iterator_traitsISK_E10value_typeEPNSQ_ISL_E10value_typeEPSM_NS1_7vsmem_tEENKUlT_SK_SL_SM_E_clISE_PySF_SF_EESJ_SZ_SK_SL_SM_EUlSZ_E1_NS1_11comp_targetILNS1_3genE10ELNS1_11target_archE1201ELNS1_3gpuE5ELNS1_3repE0EEENS1_36merge_oddeven_config_static_selectorELNS0_4arch9wavefront6targetE1EEEvSL_: ; @_ZN7rocprim17ROCPRIM_400000_NS6detail17trampoline_kernelINS0_14default_configENS1_38merge_sort_block_merge_config_selectorIyNS0_10empty_typeEEEZZNS1_27merge_sort_block_merge_implIS3_N6thrust23THRUST_200600_302600_NS6detail15normal_iteratorINS9_10device_ptrIyEEEEPS5_jNS1_19radix_merge_compareILb0ELb1EyNS0_19identity_decomposerEEEEE10hipError_tT0_T1_T2_jT3_P12ihipStream_tbPNSt15iterator_traitsISK_E10value_typeEPNSQ_ISL_E10value_typeEPSM_NS1_7vsmem_tEENKUlT_SK_SL_SM_E_clISE_PySF_SF_EESJ_SZ_SK_SL_SM_EUlSZ_E1_NS1_11comp_targetILNS1_3genE10ELNS1_11target_archE1201ELNS1_3gpuE5ELNS1_3repE0EEENS1_36merge_oddeven_config_static_selectorELNS0_4arch9wavefront6targetE1EEEvSL_
; %bb.0:
	.section	.rodata,"a",@progbits
	.p2align	6, 0x0
	.amdhsa_kernel _ZN7rocprim17ROCPRIM_400000_NS6detail17trampoline_kernelINS0_14default_configENS1_38merge_sort_block_merge_config_selectorIyNS0_10empty_typeEEEZZNS1_27merge_sort_block_merge_implIS3_N6thrust23THRUST_200600_302600_NS6detail15normal_iteratorINS9_10device_ptrIyEEEEPS5_jNS1_19radix_merge_compareILb0ELb1EyNS0_19identity_decomposerEEEEE10hipError_tT0_T1_T2_jT3_P12ihipStream_tbPNSt15iterator_traitsISK_E10value_typeEPNSQ_ISL_E10value_typeEPSM_NS1_7vsmem_tEENKUlT_SK_SL_SM_E_clISE_PySF_SF_EESJ_SZ_SK_SL_SM_EUlSZ_E1_NS1_11comp_targetILNS1_3genE10ELNS1_11target_archE1201ELNS1_3gpuE5ELNS1_3repE0EEENS1_36merge_oddeven_config_static_selectorELNS0_4arch9wavefront6targetE1EEEvSL_
		.amdhsa_group_segment_fixed_size 0
		.amdhsa_private_segment_fixed_size 0
		.amdhsa_kernarg_size 48
		.amdhsa_user_sgpr_count 2
		.amdhsa_user_sgpr_dispatch_ptr 0
		.amdhsa_user_sgpr_queue_ptr 0
		.amdhsa_user_sgpr_kernarg_segment_ptr 1
		.amdhsa_user_sgpr_dispatch_id 0
		.amdhsa_user_sgpr_kernarg_preload_length 0
		.amdhsa_user_sgpr_kernarg_preload_offset 0
		.amdhsa_user_sgpr_private_segment_size 0
		.amdhsa_uses_dynamic_stack 0
		.amdhsa_enable_private_segment 0
		.amdhsa_system_sgpr_workgroup_id_x 1
		.amdhsa_system_sgpr_workgroup_id_y 0
		.amdhsa_system_sgpr_workgroup_id_z 0
		.amdhsa_system_sgpr_workgroup_info 0
		.amdhsa_system_vgpr_workitem_id 0
		.amdhsa_next_free_vgpr 1
		.amdhsa_next_free_sgpr 0
		.amdhsa_accum_offset 4
		.amdhsa_reserve_vcc 0
		.amdhsa_float_round_mode_32 0
		.amdhsa_float_round_mode_16_64 0
		.amdhsa_float_denorm_mode_32 3
		.amdhsa_float_denorm_mode_16_64 3
		.amdhsa_dx10_clamp 1
		.amdhsa_ieee_mode 1
		.amdhsa_fp16_overflow 0
		.amdhsa_tg_split 0
		.amdhsa_exception_fp_ieee_invalid_op 0
		.amdhsa_exception_fp_denorm_src 0
		.amdhsa_exception_fp_ieee_div_zero 0
		.amdhsa_exception_fp_ieee_overflow 0
		.amdhsa_exception_fp_ieee_underflow 0
		.amdhsa_exception_fp_ieee_inexact 0
		.amdhsa_exception_int_div_zero 0
	.end_amdhsa_kernel
	.section	.text._ZN7rocprim17ROCPRIM_400000_NS6detail17trampoline_kernelINS0_14default_configENS1_38merge_sort_block_merge_config_selectorIyNS0_10empty_typeEEEZZNS1_27merge_sort_block_merge_implIS3_N6thrust23THRUST_200600_302600_NS6detail15normal_iteratorINS9_10device_ptrIyEEEEPS5_jNS1_19radix_merge_compareILb0ELb1EyNS0_19identity_decomposerEEEEE10hipError_tT0_T1_T2_jT3_P12ihipStream_tbPNSt15iterator_traitsISK_E10value_typeEPNSQ_ISL_E10value_typeEPSM_NS1_7vsmem_tEENKUlT_SK_SL_SM_E_clISE_PySF_SF_EESJ_SZ_SK_SL_SM_EUlSZ_E1_NS1_11comp_targetILNS1_3genE10ELNS1_11target_archE1201ELNS1_3gpuE5ELNS1_3repE0EEENS1_36merge_oddeven_config_static_selectorELNS0_4arch9wavefront6targetE1EEEvSL_,"axG",@progbits,_ZN7rocprim17ROCPRIM_400000_NS6detail17trampoline_kernelINS0_14default_configENS1_38merge_sort_block_merge_config_selectorIyNS0_10empty_typeEEEZZNS1_27merge_sort_block_merge_implIS3_N6thrust23THRUST_200600_302600_NS6detail15normal_iteratorINS9_10device_ptrIyEEEEPS5_jNS1_19radix_merge_compareILb0ELb1EyNS0_19identity_decomposerEEEEE10hipError_tT0_T1_T2_jT3_P12ihipStream_tbPNSt15iterator_traitsISK_E10value_typeEPNSQ_ISL_E10value_typeEPSM_NS1_7vsmem_tEENKUlT_SK_SL_SM_E_clISE_PySF_SF_EESJ_SZ_SK_SL_SM_EUlSZ_E1_NS1_11comp_targetILNS1_3genE10ELNS1_11target_archE1201ELNS1_3gpuE5ELNS1_3repE0EEENS1_36merge_oddeven_config_static_selectorELNS0_4arch9wavefront6targetE1EEEvSL_,comdat
.Lfunc_end830:
	.size	_ZN7rocprim17ROCPRIM_400000_NS6detail17trampoline_kernelINS0_14default_configENS1_38merge_sort_block_merge_config_selectorIyNS0_10empty_typeEEEZZNS1_27merge_sort_block_merge_implIS3_N6thrust23THRUST_200600_302600_NS6detail15normal_iteratorINS9_10device_ptrIyEEEEPS5_jNS1_19radix_merge_compareILb0ELb1EyNS0_19identity_decomposerEEEEE10hipError_tT0_T1_T2_jT3_P12ihipStream_tbPNSt15iterator_traitsISK_E10value_typeEPNSQ_ISL_E10value_typeEPSM_NS1_7vsmem_tEENKUlT_SK_SL_SM_E_clISE_PySF_SF_EESJ_SZ_SK_SL_SM_EUlSZ_E1_NS1_11comp_targetILNS1_3genE10ELNS1_11target_archE1201ELNS1_3gpuE5ELNS1_3repE0EEENS1_36merge_oddeven_config_static_selectorELNS0_4arch9wavefront6targetE1EEEvSL_, .Lfunc_end830-_ZN7rocprim17ROCPRIM_400000_NS6detail17trampoline_kernelINS0_14default_configENS1_38merge_sort_block_merge_config_selectorIyNS0_10empty_typeEEEZZNS1_27merge_sort_block_merge_implIS3_N6thrust23THRUST_200600_302600_NS6detail15normal_iteratorINS9_10device_ptrIyEEEEPS5_jNS1_19radix_merge_compareILb0ELb1EyNS0_19identity_decomposerEEEEE10hipError_tT0_T1_T2_jT3_P12ihipStream_tbPNSt15iterator_traitsISK_E10value_typeEPNSQ_ISL_E10value_typeEPSM_NS1_7vsmem_tEENKUlT_SK_SL_SM_E_clISE_PySF_SF_EESJ_SZ_SK_SL_SM_EUlSZ_E1_NS1_11comp_targetILNS1_3genE10ELNS1_11target_archE1201ELNS1_3gpuE5ELNS1_3repE0EEENS1_36merge_oddeven_config_static_selectorELNS0_4arch9wavefront6targetE1EEEvSL_
                                        ; -- End function
	.section	.AMDGPU.csdata,"",@progbits
; Kernel info:
; codeLenInByte = 0
; NumSgprs: 6
; NumVgprs: 0
; NumAgprs: 0
; TotalNumVgprs: 0
; ScratchSize: 0
; MemoryBound: 0
; FloatMode: 240
; IeeeMode: 1
; LDSByteSize: 0 bytes/workgroup (compile time only)
; SGPRBlocks: 0
; VGPRBlocks: 0
; NumSGPRsForWavesPerEU: 6
; NumVGPRsForWavesPerEU: 1
; AccumOffset: 4
; Occupancy: 8
; WaveLimiterHint : 0
; COMPUTE_PGM_RSRC2:SCRATCH_EN: 0
; COMPUTE_PGM_RSRC2:USER_SGPR: 2
; COMPUTE_PGM_RSRC2:TRAP_HANDLER: 0
; COMPUTE_PGM_RSRC2:TGID_X_EN: 1
; COMPUTE_PGM_RSRC2:TGID_Y_EN: 0
; COMPUTE_PGM_RSRC2:TGID_Z_EN: 0
; COMPUTE_PGM_RSRC2:TIDIG_COMP_CNT: 0
; COMPUTE_PGM_RSRC3_GFX90A:ACCUM_OFFSET: 0
; COMPUTE_PGM_RSRC3_GFX90A:TG_SPLIT: 0
	.section	.text._ZN7rocprim17ROCPRIM_400000_NS6detail17trampoline_kernelINS0_14default_configENS1_38merge_sort_block_merge_config_selectorIyNS0_10empty_typeEEEZZNS1_27merge_sort_block_merge_implIS3_N6thrust23THRUST_200600_302600_NS6detail15normal_iteratorINS9_10device_ptrIyEEEEPS5_jNS1_19radix_merge_compareILb0ELb1EyNS0_19identity_decomposerEEEEE10hipError_tT0_T1_T2_jT3_P12ihipStream_tbPNSt15iterator_traitsISK_E10value_typeEPNSQ_ISL_E10value_typeEPSM_NS1_7vsmem_tEENKUlT_SK_SL_SM_E_clISE_PySF_SF_EESJ_SZ_SK_SL_SM_EUlSZ_E1_NS1_11comp_targetILNS1_3genE5ELNS1_11target_archE942ELNS1_3gpuE9ELNS1_3repE0EEENS1_36merge_oddeven_config_static_selectorELNS0_4arch9wavefront6targetE1EEEvSL_,"axG",@progbits,_ZN7rocprim17ROCPRIM_400000_NS6detail17trampoline_kernelINS0_14default_configENS1_38merge_sort_block_merge_config_selectorIyNS0_10empty_typeEEEZZNS1_27merge_sort_block_merge_implIS3_N6thrust23THRUST_200600_302600_NS6detail15normal_iteratorINS9_10device_ptrIyEEEEPS5_jNS1_19radix_merge_compareILb0ELb1EyNS0_19identity_decomposerEEEEE10hipError_tT0_T1_T2_jT3_P12ihipStream_tbPNSt15iterator_traitsISK_E10value_typeEPNSQ_ISL_E10value_typeEPSM_NS1_7vsmem_tEENKUlT_SK_SL_SM_E_clISE_PySF_SF_EESJ_SZ_SK_SL_SM_EUlSZ_E1_NS1_11comp_targetILNS1_3genE5ELNS1_11target_archE942ELNS1_3gpuE9ELNS1_3repE0EEENS1_36merge_oddeven_config_static_selectorELNS0_4arch9wavefront6targetE1EEEvSL_,comdat
	.protected	_ZN7rocprim17ROCPRIM_400000_NS6detail17trampoline_kernelINS0_14default_configENS1_38merge_sort_block_merge_config_selectorIyNS0_10empty_typeEEEZZNS1_27merge_sort_block_merge_implIS3_N6thrust23THRUST_200600_302600_NS6detail15normal_iteratorINS9_10device_ptrIyEEEEPS5_jNS1_19radix_merge_compareILb0ELb1EyNS0_19identity_decomposerEEEEE10hipError_tT0_T1_T2_jT3_P12ihipStream_tbPNSt15iterator_traitsISK_E10value_typeEPNSQ_ISL_E10value_typeEPSM_NS1_7vsmem_tEENKUlT_SK_SL_SM_E_clISE_PySF_SF_EESJ_SZ_SK_SL_SM_EUlSZ_E1_NS1_11comp_targetILNS1_3genE5ELNS1_11target_archE942ELNS1_3gpuE9ELNS1_3repE0EEENS1_36merge_oddeven_config_static_selectorELNS0_4arch9wavefront6targetE1EEEvSL_ ; -- Begin function _ZN7rocprim17ROCPRIM_400000_NS6detail17trampoline_kernelINS0_14default_configENS1_38merge_sort_block_merge_config_selectorIyNS0_10empty_typeEEEZZNS1_27merge_sort_block_merge_implIS3_N6thrust23THRUST_200600_302600_NS6detail15normal_iteratorINS9_10device_ptrIyEEEEPS5_jNS1_19radix_merge_compareILb0ELb1EyNS0_19identity_decomposerEEEEE10hipError_tT0_T1_T2_jT3_P12ihipStream_tbPNSt15iterator_traitsISK_E10value_typeEPNSQ_ISL_E10value_typeEPSM_NS1_7vsmem_tEENKUlT_SK_SL_SM_E_clISE_PySF_SF_EESJ_SZ_SK_SL_SM_EUlSZ_E1_NS1_11comp_targetILNS1_3genE5ELNS1_11target_archE942ELNS1_3gpuE9ELNS1_3repE0EEENS1_36merge_oddeven_config_static_selectorELNS0_4arch9wavefront6targetE1EEEvSL_
	.globl	_ZN7rocprim17ROCPRIM_400000_NS6detail17trampoline_kernelINS0_14default_configENS1_38merge_sort_block_merge_config_selectorIyNS0_10empty_typeEEEZZNS1_27merge_sort_block_merge_implIS3_N6thrust23THRUST_200600_302600_NS6detail15normal_iteratorINS9_10device_ptrIyEEEEPS5_jNS1_19radix_merge_compareILb0ELb1EyNS0_19identity_decomposerEEEEE10hipError_tT0_T1_T2_jT3_P12ihipStream_tbPNSt15iterator_traitsISK_E10value_typeEPNSQ_ISL_E10value_typeEPSM_NS1_7vsmem_tEENKUlT_SK_SL_SM_E_clISE_PySF_SF_EESJ_SZ_SK_SL_SM_EUlSZ_E1_NS1_11comp_targetILNS1_3genE5ELNS1_11target_archE942ELNS1_3gpuE9ELNS1_3repE0EEENS1_36merge_oddeven_config_static_selectorELNS0_4arch9wavefront6targetE1EEEvSL_
	.p2align	8
	.type	_ZN7rocprim17ROCPRIM_400000_NS6detail17trampoline_kernelINS0_14default_configENS1_38merge_sort_block_merge_config_selectorIyNS0_10empty_typeEEEZZNS1_27merge_sort_block_merge_implIS3_N6thrust23THRUST_200600_302600_NS6detail15normal_iteratorINS9_10device_ptrIyEEEEPS5_jNS1_19radix_merge_compareILb0ELb1EyNS0_19identity_decomposerEEEEE10hipError_tT0_T1_T2_jT3_P12ihipStream_tbPNSt15iterator_traitsISK_E10value_typeEPNSQ_ISL_E10value_typeEPSM_NS1_7vsmem_tEENKUlT_SK_SL_SM_E_clISE_PySF_SF_EESJ_SZ_SK_SL_SM_EUlSZ_E1_NS1_11comp_targetILNS1_3genE5ELNS1_11target_archE942ELNS1_3gpuE9ELNS1_3repE0EEENS1_36merge_oddeven_config_static_selectorELNS0_4arch9wavefront6targetE1EEEvSL_,@function
_ZN7rocprim17ROCPRIM_400000_NS6detail17trampoline_kernelINS0_14default_configENS1_38merge_sort_block_merge_config_selectorIyNS0_10empty_typeEEEZZNS1_27merge_sort_block_merge_implIS3_N6thrust23THRUST_200600_302600_NS6detail15normal_iteratorINS9_10device_ptrIyEEEEPS5_jNS1_19radix_merge_compareILb0ELb1EyNS0_19identity_decomposerEEEEE10hipError_tT0_T1_T2_jT3_P12ihipStream_tbPNSt15iterator_traitsISK_E10value_typeEPNSQ_ISL_E10value_typeEPSM_NS1_7vsmem_tEENKUlT_SK_SL_SM_E_clISE_PySF_SF_EESJ_SZ_SK_SL_SM_EUlSZ_E1_NS1_11comp_targetILNS1_3genE5ELNS1_11target_archE942ELNS1_3gpuE9ELNS1_3repE0EEENS1_36merge_oddeven_config_static_selectorELNS0_4arch9wavefront6targetE1EEEvSL_: ; @_ZN7rocprim17ROCPRIM_400000_NS6detail17trampoline_kernelINS0_14default_configENS1_38merge_sort_block_merge_config_selectorIyNS0_10empty_typeEEEZZNS1_27merge_sort_block_merge_implIS3_N6thrust23THRUST_200600_302600_NS6detail15normal_iteratorINS9_10device_ptrIyEEEEPS5_jNS1_19radix_merge_compareILb0ELb1EyNS0_19identity_decomposerEEEEE10hipError_tT0_T1_T2_jT3_P12ihipStream_tbPNSt15iterator_traitsISK_E10value_typeEPNSQ_ISL_E10value_typeEPSM_NS1_7vsmem_tEENKUlT_SK_SL_SM_E_clISE_PySF_SF_EESJ_SZ_SK_SL_SM_EUlSZ_E1_NS1_11comp_targetILNS1_3genE5ELNS1_11target_archE942ELNS1_3gpuE9ELNS1_3repE0EEENS1_36merge_oddeven_config_static_selectorELNS0_4arch9wavefront6targetE1EEEvSL_
; %bb.0:
	s_load_dword s18, s[0:1], 0x20
	s_waitcnt lgkmcnt(0)
	s_lshr_b32 s3, s18, 8
	s_cmp_lg_u32 s2, s3
	s_cselect_b64 s[14:15], -1, 0
	s_cmp_eq_u32 s2, s3
	s_cselect_b64 s[12:13], -1, 0
	s_lshl_b32 s16, s2, 8
	s_sub_i32 s3, s18, s16
	v_cmp_gt_u32_e64 s[6:7], s3, v0
	s_or_b64 s[4:5], s[14:15], s[6:7]
	s_and_saveexec_b64 s[8:9], s[4:5]
	s_cbranch_execz .LBB831_20
; %bb.1:
	s_load_dwordx4 s[8:11], s[0:1], 0x0
	s_load_dword s19, s[0:1], 0x24
	s_mov_b32 s17, 0
	s_lshl_b64 s[4:5], s[16:17], 3
	v_lshlrev_b32_e32 v1, 3, v0
	s_waitcnt lgkmcnt(0)
	s_add_u32 s4, s8, s4
	s_addc_u32 s5, s9, s5
	global_load_dwordx2 v[2:3], v1, s[4:5]
	s_lshr_b32 s3, s19, 8
	s_sub_i32 s4, 0, s3
	s_and_b32 s2, s2, s4
	s_and_b32 s3, s2, s3
	s_lshl_b32 s20, s2, 8
	s_sub_i32 s17, 0, s19
	s_cmp_eq_u32 s3, 0
	s_cselect_b64 s[4:5], -1, 0
	s_and_b64 s[2:3], s[4:5], exec
	s_cselect_b32 s17, s19, s17
	s_add_i32 s17, s17, s20
	s_cmp_lt_u32 s17, s18
	v_add_u32_e32 v0, s16, v0
	s_cbranch_scc1 .LBB831_3
; %bb.2:
	v_cmp_gt_u32_e32 vcc, s18, v0
	s_or_b64 s[2:3], vcc, s[14:15]
	s_and_b64 s[2:3], s[2:3], exec
	s_cbranch_execz .LBB831_4
	s_branch .LBB831_18
.LBB831_3:
	s_mov_b64 s[2:3], 0
.LBB831_4:
	s_load_dwordx2 s[0:1], s[0:1], 0x28
	s_min_u32 s14, s17, s18
	s_min_u32 s16, s20, s14
	s_add_i32 s20, s20, s14
	s_add_i32 s15, s14, s19
	v_subrev_u32_e32 v0, s20, v0
	s_min_u32 s15, s15, s18
	v_add_u32_e32 v6, s16, v0
	s_and_b64 vcc, exec, s[12:13]
	s_cbranch_vccz .LBB831_12
; %bb.5:
                                        ; implicit-def: $vgpr0
	s_and_saveexec_b64 s[12:13], s[6:7]
	s_cbranch_execz .LBB831_11
; %bb.6:
	s_cmp_ge_u32 s17, s15
	v_mov_b32_e32 v7, s14
	s_cbranch_scc1 .LBB831_10
; %bb.7:
	s_waitcnt vmcnt(0) lgkmcnt(0)
	v_and_b32_e32 v1, s1, v3
	v_and_b32_e32 v0, s0, v2
	s_mov_b64 s[6:7], 0
	v_mov_b32_e32 v8, s15
	v_mov_b32_e32 v7, s14
	v_mov_b32_e32 v5, 0
.LBB831_8:                              ; =>This Inner Loop Header: Depth=1
	v_add_u32_e32 v4, v7, v8
	v_lshrrev_b32_e32 v4, 1, v4
	v_lshl_add_u64 v[10:11], v[4:5], 3, s[8:9]
	global_load_dwordx2 v[10:11], v[10:11], off
	v_add_u32_e32 v9, 1, v4
	s_waitcnt vmcnt(0)
	v_and_b32_e32 v11, s1, v11
	v_and_b32_e32 v10, s0, v10
	v_cmp_gt_u64_e32 vcc, v[0:1], v[10:11]
	s_nop 1
	v_cndmask_b32_e64 v12, 0, 1, vcc
	v_cmp_le_u64_e32 vcc, v[10:11], v[0:1]
	s_nop 1
	v_cndmask_b32_e64 v10, 0, 1, vcc
	v_cndmask_b32_e64 v10, v10, v12, s[4:5]
	v_and_b32_e32 v10, 1, v10
	v_cmp_eq_u32_e32 vcc, 1, v10
	s_nop 1
	v_cndmask_b32_e32 v8, v4, v8, vcc
	v_cndmask_b32_e32 v7, v7, v9, vcc
	v_cmp_ge_u32_e32 vcc, v7, v8
	s_or_b64 s[6:7], vcc, s[6:7]
	s_andn2_b64 exec, exec, s[6:7]
	s_cbranch_execnz .LBB831_8
; %bb.9:
	s_or_b64 exec, exec, s[6:7]
.LBB831_10:
	v_add_u32_e32 v0, v7, v6
	s_or_b64 s[2:3], s[2:3], exec
.LBB831_11:
	s_or_b64 exec, exec, s[12:13]
	s_branch .LBB831_18
.LBB831_12:
                                        ; implicit-def: $vgpr0
	s_cbranch_execz .LBB831_18
; %bb.13:
	s_cmp_ge_u32 s17, s15
	v_mov_b32_e32 v7, s14
	s_cbranch_scc1 .LBB831_17
; %bb.14:
	s_waitcnt vmcnt(0) lgkmcnt(0)
	v_and_b32_e32 v1, s1, v3
	v_and_b32_e32 v0, s0, v2
	s_mov_b64 s[2:3], 0
	v_mov_b32_e32 v8, s15
	v_mov_b32_e32 v7, s14
	;; [unrolled: 1-line block ×3, first 2 shown]
.LBB831_15:                             ; =>This Inner Loop Header: Depth=1
	v_add_u32_e32 v4, v7, v8
	v_lshrrev_b32_e32 v4, 1, v4
	v_lshl_add_u64 v[10:11], v[4:5], 3, s[8:9]
	global_load_dwordx2 v[10:11], v[10:11], off
	v_add_u32_e32 v9, 1, v4
	s_waitcnt vmcnt(0)
	v_and_b32_e32 v11, s1, v11
	v_and_b32_e32 v10, s0, v10
	v_cmp_gt_u64_e32 vcc, v[0:1], v[10:11]
	s_nop 1
	v_cndmask_b32_e64 v12, 0, 1, vcc
	v_cmp_le_u64_e32 vcc, v[10:11], v[0:1]
	s_nop 1
	v_cndmask_b32_e64 v10, 0, 1, vcc
	v_cndmask_b32_e64 v10, v10, v12, s[4:5]
	v_and_b32_e32 v10, 1, v10
	v_cmp_eq_u32_e32 vcc, 1, v10
	s_nop 1
	v_cndmask_b32_e32 v8, v4, v8, vcc
	v_cndmask_b32_e32 v7, v7, v9, vcc
	v_cmp_ge_u32_e32 vcc, v7, v8
	s_or_b64 s[2:3], vcc, s[2:3]
	s_andn2_b64 exec, exec, s[2:3]
	s_cbranch_execnz .LBB831_15
; %bb.16:
	s_or_b64 exec, exec, s[2:3]
.LBB831_17:
	v_add_u32_e32 v0, v7, v6
	s_mov_b64 s[2:3], -1
.LBB831_18:
	s_and_b64 exec, exec, s[2:3]
	s_cbranch_execz .LBB831_20
; %bb.19:
	v_mov_b32_e32 v4, s10
	v_mov_b32_e32 v5, s11
	;; [unrolled: 1-line block ×3, first 2 shown]
	v_lshl_add_u64 v[0:1], v[0:1], 3, v[4:5]
	s_waitcnt vmcnt(0)
	global_store_dwordx2 v[0:1], v[2:3], off
.LBB831_20:
	s_endpgm
	.section	.rodata,"a",@progbits
	.p2align	6, 0x0
	.amdhsa_kernel _ZN7rocprim17ROCPRIM_400000_NS6detail17trampoline_kernelINS0_14default_configENS1_38merge_sort_block_merge_config_selectorIyNS0_10empty_typeEEEZZNS1_27merge_sort_block_merge_implIS3_N6thrust23THRUST_200600_302600_NS6detail15normal_iteratorINS9_10device_ptrIyEEEEPS5_jNS1_19radix_merge_compareILb0ELb1EyNS0_19identity_decomposerEEEEE10hipError_tT0_T1_T2_jT3_P12ihipStream_tbPNSt15iterator_traitsISK_E10value_typeEPNSQ_ISL_E10value_typeEPSM_NS1_7vsmem_tEENKUlT_SK_SL_SM_E_clISE_PySF_SF_EESJ_SZ_SK_SL_SM_EUlSZ_E1_NS1_11comp_targetILNS1_3genE5ELNS1_11target_archE942ELNS1_3gpuE9ELNS1_3repE0EEENS1_36merge_oddeven_config_static_selectorELNS0_4arch9wavefront6targetE1EEEvSL_
		.amdhsa_group_segment_fixed_size 0
		.amdhsa_private_segment_fixed_size 0
		.amdhsa_kernarg_size 48
		.amdhsa_user_sgpr_count 2
		.amdhsa_user_sgpr_dispatch_ptr 0
		.amdhsa_user_sgpr_queue_ptr 0
		.amdhsa_user_sgpr_kernarg_segment_ptr 1
		.amdhsa_user_sgpr_dispatch_id 0
		.amdhsa_user_sgpr_kernarg_preload_length 0
		.amdhsa_user_sgpr_kernarg_preload_offset 0
		.amdhsa_user_sgpr_private_segment_size 0
		.amdhsa_uses_dynamic_stack 0
		.amdhsa_enable_private_segment 0
		.amdhsa_system_sgpr_workgroup_id_x 1
		.amdhsa_system_sgpr_workgroup_id_y 0
		.amdhsa_system_sgpr_workgroup_id_z 0
		.amdhsa_system_sgpr_workgroup_info 0
		.amdhsa_system_vgpr_workitem_id 0
		.amdhsa_next_free_vgpr 13
		.amdhsa_next_free_sgpr 21
		.amdhsa_accum_offset 16
		.amdhsa_reserve_vcc 1
		.amdhsa_float_round_mode_32 0
		.amdhsa_float_round_mode_16_64 0
		.amdhsa_float_denorm_mode_32 3
		.amdhsa_float_denorm_mode_16_64 3
		.amdhsa_dx10_clamp 1
		.amdhsa_ieee_mode 1
		.amdhsa_fp16_overflow 0
		.amdhsa_tg_split 0
		.amdhsa_exception_fp_ieee_invalid_op 0
		.amdhsa_exception_fp_denorm_src 0
		.amdhsa_exception_fp_ieee_div_zero 0
		.amdhsa_exception_fp_ieee_overflow 0
		.amdhsa_exception_fp_ieee_underflow 0
		.amdhsa_exception_fp_ieee_inexact 0
		.amdhsa_exception_int_div_zero 0
	.end_amdhsa_kernel
	.section	.text._ZN7rocprim17ROCPRIM_400000_NS6detail17trampoline_kernelINS0_14default_configENS1_38merge_sort_block_merge_config_selectorIyNS0_10empty_typeEEEZZNS1_27merge_sort_block_merge_implIS3_N6thrust23THRUST_200600_302600_NS6detail15normal_iteratorINS9_10device_ptrIyEEEEPS5_jNS1_19radix_merge_compareILb0ELb1EyNS0_19identity_decomposerEEEEE10hipError_tT0_T1_T2_jT3_P12ihipStream_tbPNSt15iterator_traitsISK_E10value_typeEPNSQ_ISL_E10value_typeEPSM_NS1_7vsmem_tEENKUlT_SK_SL_SM_E_clISE_PySF_SF_EESJ_SZ_SK_SL_SM_EUlSZ_E1_NS1_11comp_targetILNS1_3genE5ELNS1_11target_archE942ELNS1_3gpuE9ELNS1_3repE0EEENS1_36merge_oddeven_config_static_selectorELNS0_4arch9wavefront6targetE1EEEvSL_,"axG",@progbits,_ZN7rocprim17ROCPRIM_400000_NS6detail17trampoline_kernelINS0_14default_configENS1_38merge_sort_block_merge_config_selectorIyNS0_10empty_typeEEEZZNS1_27merge_sort_block_merge_implIS3_N6thrust23THRUST_200600_302600_NS6detail15normal_iteratorINS9_10device_ptrIyEEEEPS5_jNS1_19radix_merge_compareILb0ELb1EyNS0_19identity_decomposerEEEEE10hipError_tT0_T1_T2_jT3_P12ihipStream_tbPNSt15iterator_traitsISK_E10value_typeEPNSQ_ISL_E10value_typeEPSM_NS1_7vsmem_tEENKUlT_SK_SL_SM_E_clISE_PySF_SF_EESJ_SZ_SK_SL_SM_EUlSZ_E1_NS1_11comp_targetILNS1_3genE5ELNS1_11target_archE942ELNS1_3gpuE9ELNS1_3repE0EEENS1_36merge_oddeven_config_static_selectorELNS0_4arch9wavefront6targetE1EEEvSL_,comdat
.Lfunc_end831:
	.size	_ZN7rocprim17ROCPRIM_400000_NS6detail17trampoline_kernelINS0_14default_configENS1_38merge_sort_block_merge_config_selectorIyNS0_10empty_typeEEEZZNS1_27merge_sort_block_merge_implIS3_N6thrust23THRUST_200600_302600_NS6detail15normal_iteratorINS9_10device_ptrIyEEEEPS5_jNS1_19radix_merge_compareILb0ELb1EyNS0_19identity_decomposerEEEEE10hipError_tT0_T1_T2_jT3_P12ihipStream_tbPNSt15iterator_traitsISK_E10value_typeEPNSQ_ISL_E10value_typeEPSM_NS1_7vsmem_tEENKUlT_SK_SL_SM_E_clISE_PySF_SF_EESJ_SZ_SK_SL_SM_EUlSZ_E1_NS1_11comp_targetILNS1_3genE5ELNS1_11target_archE942ELNS1_3gpuE9ELNS1_3repE0EEENS1_36merge_oddeven_config_static_selectorELNS0_4arch9wavefront6targetE1EEEvSL_, .Lfunc_end831-_ZN7rocprim17ROCPRIM_400000_NS6detail17trampoline_kernelINS0_14default_configENS1_38merge_sort_block_merge_config_selectorIyNS0_10empty_typeEEEZZNS1_27merge_sort_block_merge_implIS3_N6thrust23THRUST_200600_302600_NS6detail15normal_iteratorINS9_10device_ptrIyEEEEPS5_jNS1_19radix_merge_compareILb0ELb1EyNS0_19identity_decomposerEEEEE10hipError_tT0_T1_T2_jT3_P12ihipStream_tbPNSt15iterator_traitsISK_E10value_typeEPNSQ_ISL_E10value_typeEPSM_NS1_7vsmem_tEENKUlT_SK_SL_SM_E_clISE_PySF_SF_EESJ_SZ_SK_SL_SM_EUlSZ_E1_NS1_11comp_targetILNS1_3genE5ELNS1_11target_archE942ELNS1_3gpuE9ELNS1_3repE0EEENS1_36merge_oddeven_config_static_selectorELNS0_4arch9wavefront6targetE1EEEvSL_
                                        ; -- End function
	.section	.AMDGPU.csdata,"",@progbits
; Kernel info:
; codeLenInByte = 632
; NumSgprs: 27
; NumVgprs: 13
; NumAgprs: 0
; TotalNumVgprs: 13
; ScratchSize: 0
; MemoryBound: 0
; FloatMode: 240
; IeeeMode: 1
; LDSByteSize: 0 bytes/workgroup (compile time only)
; SGPRBlocks: 3
; VGPRBlocks: 1
; NumSGPRsForWavesPerEU: 27
; NumVGPRsForWavesPerEU: 13
; AccumOffset: 16
; Occupancy: 8
; WaveLimiterHint : 0
; COMPUTE_PGM_RSRC2:SCRATCH_EN: 0
; COMPUTE_PGM_RSRC2:USER_SGPR: 2
; COMPUTE_PGM_RSRC2:TRAP_HANDLER: 0
; COMPUTE_PGM_RSRC2:TGID_X_EN: 1
; COMPUTE_PGM_RSRC2:TGID_Y_EN: 0
; COMPUTE_PGM_RSRC2:TGID_Z_EN: 0
; COMPUTE_PGM_RSRC2:TIDIG_COMP_CNT: 0
; COMPUTE_PGM_RSRC3_GFX90A:ACCUM_OFFSET: 3
; COMPUTE_PGM_RSRC3_GFX90A:TG_SPLIT: 0
	.section	.text._ZN7rocprim17ROCPRIM_400000_NS6detail17trampoline_kernelINS0_14default_configENS1_38merge_sort_block_merge_config_selectorIyNS0_10empty_typeEEEZZNS1_27merge_sort_block_merge_implIS3_N6thrust23THRUST_200600_302600_NS6detail15normal_iteratorINS9_10device_ptrIyEEEEPS5_jNS1_19radix_merge_compareILb0ELb1EyNS0_19identity_decomposerEEEEE10hipError_tT0_T1_T2_jT3_P12ihipStream_tbPNSt15iterator_traitsISK_E10value_typeEPNSQ_ISL_E10value_typeEPSM_NS1_7vsmem_tEENKUlT_SK_SL_SM_E_clISE_PySF_SF_EESJ_SZ_SK_SL_SM_EUlSZ_E1_NS1_11comp_targetILNS1_3genE4ELNS1_11target_archE910ELNS1_3gpuE8ELNS1_3repE0EEENS1_36merge_oddeven_config_static_selectorELNS0_4arch9wavefront6targetE1EEEvSL_,"axG",@progbits,_ZN7rocprim17ROCPRIM_400000_NS6detail17trampoline_kernelINS0_14default_configENS1_38merge_sort_block_merge_config_selectorIyNS0_10empty_typeEEEZZNS1_27merge_sort_block_merge_implIS3_N6thrust23THRUST_200600_302600_NS6detail15normal_iteratorINS9_10device_ptrIyEEEEPS5_jNS1_19radix_merge_compareILb0ELb1EyNS0_19identity_decomposerEEEEE10hipError_tT0_T1_T2_jT3_P12ihipStream_tbPNSt15iterator_traitsISK_E10value_typeEPNSQ_ISL_E10value_typeEPSM_NS1_7vsmem_tEENKUlT_SK_SL_SM_E_clISE_PySF_SF_EESJ_SZ_SK_SL_SM_EUlSZ_E1_NS1_11comp_targetILNS1_3genE4ELNS1_11target_archE910ELNS1_3gpuE8ELNS1_3repE0EEENS1_36merge_oddeven_config_static_selectorELNS0_4arch9wavefront6targetE1EEEvSL_,comdat
	.protected	_ZN7rocprim17ROCPRIM_400000_NS6detail17trampoline_kernelINS0_14default_configENS1_38merge_sort_block_merge_config_selectorIyNS0_10empty_typeEEEZZNS1_27merge_sort_block_merge_implIS3_N6thrust23THRUST_200600_302600_NS6detail15normal_iteratorINS9_10device_ptrIyEEEEPS5_jNS1_19radix_merge_compareILb0ELb1EyNS0_19identity_decomposerEEEEE10hipError_tT0_T1_T2_jT3_P12ihipStream_tbPNSt15iterator_traitsISK_E10value_typeEPNSQ_ISL_E10value_typeEPSM_NS1_7vsmem_tEENKUlT_SK_SL_SM_E_clISE_PySF_SF_EESJ_SZ_SK_SL_SM_EUlSZ_E1_NS1_11comp_targetILNS1_3genE4ELNS1_11target_archE910ELNS1_3gpuE8ELNS1_3repE0EEENS1_36merge_oddeven_config_static_selectorELNS0_4arch9wavefront6targetE1EEEvSL_ ; -- Begin function _ZN7rocprim17ROCPRIM_400000_NS6detail17trampoline_kernelINS0_14default_configENS1_38merge_sort_block_merge_config_selectorIyNS0_10empty_typeEEEZZNS1_27merge_sort_block_merge_implIS3_N6thrust23THRUST_200600_302600_NS6detail15normal_iteratorINS9_10device_ptrIyEEEEPS5_jNS1_19radix_merge_compareILb0ELb1EyNS0_19identity_decomposerEEEEE10hipError_tT0_T1_T2_jT3_P12ihipStream_tbPNSt15iterator_traitsISK_E10value_typeEPNSQ_ISL_E10value_typeEPSM_NS1_7vsmem_tEENKUlT_SK_SL_SM_E_clISE_PySF_SF_EESJ_SZ_SK_SL_SM_EUlSZ_E1_NS1_11comp_targetILNS1_3genE4ELNS1_11target_archE910ELNS1_3gpuE8ELNS1_3repE0EEENS1_36merge_oddeven_config_static_selectorELNS0_4arch9wavefront6targetE1EEEvSL_
	.globl	_ZN7rocprim17ROCPRIM_400000_NS6detail17trampoline_kernelINS0_14default_configENS1_38merge_sort_block_merge_config_selectorIyNS0_10empty_typeEEEZZNS1_27merge_sort_block_merge_implIS3_N6thrust23THRUST_200600_302600_NS6detail15normal_iteratorINS9_10device_ptrIyEEEEPS5_jNS1_19radix_merge_compareILb0ELb1EyNS0_19identity_decomposerEEEEE10hipError_tT0_T1_T2_jT3_P12ihipStream_tbPNSt15iterator_traitsISK_E10value_typeEPNSQ_ISL_E10value_typeEPSM_NS1_7vsmem_tEENKUlT_SK_SL_SM_E_clISE_PySF_SF_EESJ_SZ_SK_SL_SM_EUlSZ_E1_NS1_11comp_targetILNS1_3genE4ELNS1_11target_archE910ELNS1_3gpuE8ELNS1_3repE0EEENS1_36merge_oddeven_config_static_selectorELNS0_4arch9wavefront6targetE1EEEvSL_
	.p2align	8
	.type	_ZN7rocprim17ROCPRIM_400000_NS6detail17trampoline_kernelINS0_14default_configENS1_38merge_sort_block_merge_config_selectorIyNS0_10empty_typeEEEZZNS1_27merge_sort_block_merge_implIS3_N6thrust23THRUST_200600_302600_NS6detail15normal_iteratorINS9_10device_ptrIyEEEEPS5_jNS1_19radix_merge_compareILb0ELb1EyNS0_19identity_decomposerEEEEE10hipError_tT0_T1_T2_jT3_P12ihipStream_tbPNSt15iterator_traitsISK_E10value_typeEPNSQ_ISL_E10value_typeEPSM_NS1_7vsmem_tEENKUlT_SK_SL_SM_E_clISE_PySF_SF_EESJ_SZ_SK_SL_SM_EUlSZ_E1_NS1_11comp_targetILNS1_3genE4ELNS1_11target_archE910ELNS1_3gpuE8ELNS1_3repE0EEENS1_36merge_oddeven_config_static_selectorELNS0_4arch9wavefront6targetE1EEEvSL_,@function
_ZN7rocprim17ROCPRIM_400000_NS6detail17trampoline_kernelINS0_14default_configENS1_38merge_sort_block_merge_config_selectorIyNS0_10empty_typeEEEZZNS1_27merge_sort_block_merge_implIS3_N6thrust23THRUST_200600_302600_NS6detail15normal_iteratorINS9_10device_ptrIyEEEEPS5_jNS1_19radix_merge_compareILb0ELb1EyNS0_19identity_decomposerEEEEE10hipError_tT0_T1_T2_jT3_P12ihipStream_tbPNSt15iterator_traitsISK_E10value_typeEPNSQ_ISL_E10value_typeEPSM_NS1_7vsmem_tEENKUlT_SK_SL_SM_E_clISE_PySF_SF_EESJ_SZ_SK_SL_SM_EUlSZ_E1_NS1_11comp_targetILNS1_3genE4ELNS1_11target_archE910ELNS1_3gpuE8ELNS1_3repE0EEENS1_36merge_oddeven_config_static_selectorELNS0_4arch9wavefront6targetE1EEEvSL_: ; @_ZN7rocprim17ROCPRIM_400000_NS6detail17trampoline_kernelINS0_14default_configENS1_38merge_sort_block_merge_config_selectorIyNS0_10empty_typeEEEZZNS1_27merge_sort_block_merge_implIS3_N6thrust23THRUST_200600_302600_NS6detail15normal_iteratorINS9_10device_ptrIyEEEEPS5_jNS1_19radix_merge_compareILb0ELb1EyNS0_19identity_decomposerEEEEE10hipError_tT0_T1_T2_jT3_P12ihipStream_tbPNSt15iterator_traitsISK_E10value_typeEPNSQ_ISL_E10value_typeEPSM_NS1_7vsmem_tEENKUlT_SK_SL_SM_E_clISE_PySF_SF_EESJ_SZ_SK_SL_SM_EUlSZ_E1_NS1_11comp_targetILNS1_3genE4ELNS1_11target_archE910ELNS1_3gpuE8ELNS1_3repE0EEENS1_36merge_oddeven_config_static_selectorELNS0_4arch9wavefront6targetE1EEEvSL_
; %bb.0:
	.section	.rodata,"a",@progbits
	.p2align	6, 0x0
	.amdhsa_kernel _ZN7rocprim17ROCPRIM_400000_NS6detail17trampoline_kernelINS0_14default_configENS1_38merge_sort_block_merge_config_selectorIyNS0_10empty_typeEEEZZNS1_27merge_sort_block_merge_implIS3_N6thrust23THRUST_200600_302600_NS6detail15normal_iteratorINS9_10device_ptrIyEEEEPS5_jNS1_19radix_merge_compareILb0ELb1EyNS0_19identity_decomposerEEEEE10hipError_tT0_T1_T2_jT3_P12ihipStream_tbPNSt15iterator_traitsISK_E10value_typeEPNSQ_ISL_E10value_typeEPSM_NS1_7vsmem_tEENKUlT_SK_SL_SM_E_clISE_PySF_SF_EESJ_SZ_SK_SL_SM_EUlSZ_E1_NS1_11comp_targetILNS1_3genE4ELNS1_11target_archE910ELNS1_3gpuE8ELNS1_3repE0EEENS1_36merge_oddeven_config_static_selectorELNS0_4arch9wavefront6targetE1EEEvSL_
		.amdhsa_group_segment_fixed_size 0
		.amdhsa_private_segment_fixed_size 0
		.amdhsa_kernarg_size 48
		.amdhsa_user_sgpr_count 2
		.amdhsa_user_sgpr_dispatch_ptr 0
		.amdhsa_user_sgpr_queue_ptr 0
		.amdhsa_user_sgpr_kernarg_segment_ptr 1
		.amdhsa_user_sgpr_dispatch_id 0
		.amdhsa_user_sgpr_kernarg_preload_length 0
		.amdhsa_user_sgpr_kernarg_preload_offset 0
		.amdhsa_user_sgpr_private_segment_size 0
		.amdhsa_uses_dynamic_stack 0
		.amdhsa_enable_private_segment 0
		.amdhsa_system_sgpr_workgroup_id_x 1
		.amdhsa_system_sgpr_workgroup_id_y 0
		.amdhsa_system_sgpr_workgroup_id_z 0
		.amdhsa_system_sgpr_workgroup_info 0
		.amdhsa_system_vgpr_workitem_id 0
		.amdhsa_next_free_vgpr 1
		.amdhsa_next_free_sgpr 0
		.amdhsa_accum_offset 4
		.amdhsa_reserve_vcc 0
		.amdhsa_float_round_mode_32 0
		.amdhsa_float_round_mode_16_64 0
		.amdhsa_float_denorm_mode_32 3
		.amdhsa_float_denorm_mode_16_64 3
		.amdhsa_dx10_clamp 1
		.amdhsa_ieee_mode 1
		.amdhsa_fp16_overflow 0
		.amdhsa_tg_split 0
		.amdhsa_exception_fp_ieee_invalid_op 0
		.amdhsa_exception_fp_denorm_src 0
		.amdhsa_exception_fp_ieee_div_zero 0
		.amdhsa_exception_fp_ieee_overflow 0
		.amdhsa_exception_fp_ieee_underflow 0
		.amdhsa_exception_fp_ieee_inexact 0
		.amdhsa_exception_int_div_zero 0
	.end_amdhsa_kernel
	.section	.text._ZN7rocprim17ROCPRIM_400000_NS6detail17trampoline_kernelINS0_14default_configENS1_38merge_sort_block_merge_config_selectorIyNS0_10empty_typeEEEZZNS1_27merge_sort_block_merge_implIS3_N6thrust23THRUST_200600_302600_NS6detail15normal_iteratorINS9_10device_ptrIyEEEEPS5_jNS1_19radix_merge_compareILb0ELb1EyNS0_19identity_decomposerEEEEE10hipError_tT0_T1_T2_jT3_P12ihipStream_tbPNSt15iterator_traitsISK_E10value_typeEPNSQ_ISL_E10value_typeEPSM_NS1_7vsmem_tEENKUlT_SK_SL_SM_E_clISE_PySF_SF_EESJ_SZ_SK_SL_SM_EUlSZ_E1_NS1_11comp_targetILNS1_3genE4ELNS1_11target_archE910ELNS1_3gpuE8ELNS1_3repE0EEENS1_36merge_oddeven_config_static_selectorELNS0_4arch9wavefront6targetE1EEEvSL_,"axG",@progbits,_ZN7rocprim17ROCPRIM_400000_NS6detail17trampoline_kernelINS0_14default_configENS1_38merge_sort_block_merge_config_selectorIyNS0_10empty_typeEEEZZNS1_27merge_sort_block_merge_implIS3_N6thrust23THRUST_200600_302600_NS6detail15normal_iteratorINS9_10device_ptrIyEEEEPS5_jNS1_19radix_merge_compareILb0ELb1EyNS0_19identity_decomposerEEEEE10hipError_tT0_T1_T2_jT3_P12ihipStream_tbPNSt15iterator_traitsISK_E10value_typeEPNSQ_ISL_E10value_typeEPSM_NS1_7vsmem_tEENKUlT_SK_SL_SM_E_clISE_PySF_SF_EESJ_SZ_SK_SL_SM_EUlSZ_E1_NS1_11comp_targetILNS1_3genE4ELNS1_11target_archE910ELNS1_3gpuE8ELNS1_3repE0EEENS1_36merge_oddeven_config_static_selectorELNS0_4arch9wavefront6targetE1EEEvSL_,comdat
.Lfunc_end832:
	.size	_ZN7rocprim17ROCPRIM_400000_NS6detail17trampoline_kernelINS0_14default_configENS1_38merge_sort_block_merge_config_selectorIyNS0_10empty_typeEEEZZNS1_27merge_sort_block_merge_implIS3_N6thrust23THRUST_200600_302600_NS6detail15normal_iteratorINS9_10device_ptrIyEEEEPS5_jNS1_19radix_merge_compareILb0ELb1EyNS0_19identity_decomposerEEEEE10hipError_tT0_T1_T2_jT3_P12ihipStream_tbPNSt15iterator_traitsISK_E10value_typeEPNSQ_ISL_E10value_typeEPSM_NS1_7vsmem_tEENKUlT_SK_SL_SM_E_clISE_PySF_SF_EESJ_SZ_SK_SL_SM_EUlSZ_E1_NS1_11comp_targetILNS1_3genE4ELNS1_11target_archE910ELNS1_3gpuE8ELNS1_3repE0EEENS1_36merge_oddeven_config_static_selectorELNS0_4arch9wavefront6targetE1EEEvSL_, .Lfunc_end832-_ZN7rocprim17ROCPRIM_400000_NS6detail17trampoline_kernelINS0_14default_configENS1_38merge_sort_block_merge_config_selectorIyNS0_10empty_typeEEEZZNS1_27merge_sort_block_merge_implIS3_N6thrust23THRUST_200600_302600_NS6detail15normal_iteratorINS9_10device_ptrIyEEEEPS5_jNS1_19radix_merge_compareILb0ELb1EyNS0_19identity_decomposerEEEEE10hipError_tT0_T1_T2_jT3_P12ihipStream_tbPNSt15iterator_traitsISK_E10value_typeEPNSQ_ISL_E10value_typeEPSM_NS1_7vsmem_tEENKUlT_SK_SL_SM_E_clISE_PySF_SF_EESJ_SZ_SK_SL_SM_EUlSZ_E1_NS1_11comp_targetILNS1_3genE4ELNS1_11target_archE910ELNS1_3gpuE8ELNS1_3repE0EEENS1_36merge_oddeven_config_static_selectorELNS0_4arch9wavefront6targetE1EEEvSL_
                                        ; -- End function
	.section	.AMDGPU.csdata,"",@progbits
; Kernel info:
; codeLenInByte = 0
; NumSgprs: 6
; NumVgprs: 0
; NumAgprs: 0
; TotalNumVgprs: 0
; ScratchSize: 0
; MemoryBound: 0
; FloatMode: 240
; IeeeMode: 1
; LDSByteSize: 0 bytes/workgroup (compile time only)
; SGPRBlocks: 0
; VGPRBlocks: 0
; NumSGPRsForWavesPerEU: 6
; NumVGPRsForWavesPerEU: 1
; AccumOffset: 4
; Occupancy: 8
; WaveLimiterHint : 0
; COMPUTE_PGM_RSRC2:SCRATCH_EN: 0
; COMPUTE_PGM_RSRC2:USER_SGPR: 2
; COMPUTE_PGM_RSRC2:TRAP_HANDLER: 0
; COMPUTE_PGM_RSRC2:TGID_X_EN: 1
; COMPUTE_PGM_RSRC2:TGID_Y_EN: 0
; COMPUTE_PGM_RSRC2:TGID_Z_EN: 0
; COMPUTE_PGM_RSRC2:TIDIG_COMP_CNT: 0
; COMPUTE_PGM_RSRC3_GFX90A:ACCUM_OFFSET: 0
; COMPUTE_PGM_RSRC3_GFX90A:TG_SPLIT: 0
	.section	.text._ZN7rocprim17ROCPRIM_400000_NS6detail17trampoline_kernelINS0_14default_configENS1_38merge_sort_block_merge_config_selectorIyNS0_10empty_typeEEEZZNS1_27merge_sort_block_merge_implIS3_N6thrust23THRUST_200600_302600_NS6detail15normal_iteratorINS9_10device_ptrIyEEEEPS5_jNS1_19radix_merge_compareILb0ELb1EyNS0_19identity_decomposerEEEEE10hipError_tT0_T1_T2_jT3_P12ihipStream_tbPNSt15iterator_traitsISK_E10value_typeEPNSQ_ISL_E10value_typeEPSM_NS1_7vsmem_tEENKUlT_SK_SL_SM_E_clISE_PySF_SF_EESJ_SZ_SK_SL_SM_EUlSZ_E1_NS1_11comp_targetILNS1_3genE3ELNS1_11target_archE908ELNS1_3gpuE7ELNS1_3repE0EEENS1_36merge_oddeven_config_static_selectorELNS0_4arch9wavefront6targetE1EEEvSL_,"axG",@progbits,_ZN7rocprim17ROCPRIM_400000_NS6detail17trampoline_kernelINS0_14default_configENS1_38merge_sort_block_merge_config_selectorIyNS0_10empty_typeEEEZZNS1_27merge_sort_block_merge_implIS3_N6thrust23THRUST_200600_302600_NS6detail15normal_iteratorINS9_10device_ptrIyEEEEPS5_jNS1_19radix_merge_compareILb0ELb1EyNS0_19identity_decomposerEEEEE10hipError_tT0_T1_T2_jT3_P12ihipStream_tbPNSt15iterator_traitsISK_E10value_typeEPNSQ_ISL_E10value_typeEPSM_NS1_7vsmem_tEENKUlT_SK_SL_SM_E_clISE_PySF_SF_EESJ_SZ_SK_SL_SM_EUlSZ_E1_NS1_11comp_targetILNS1_3genE3ELNS1_11target_archE908ELNS1_3gpuE7ELNS1_3repE0EEENS1_36merge_oddeven_config_static_selectorELNS0_4arch9wavefront6targetE1EEEvSL_,comdat
	.protected	_ZN7rocprim17ROCPRIM_400000_NS6detail17trampoline_kernelINS0_14default_configENS1_38merge_sort_block_merge_config_selectorIyNS0_10empty_typeEEEZZNS1_27merge_sort_block_merge_implIS3_N6thrust23THRUST_200600_302600_NS6detail15normal_iteratorINS9_10device_ptrIyEEEEPS5_jNS1_19radix_merge_compareILb0ELb1EyNS0_19identity_decomposerEEEEE10hipError_tT0_T1_T2_jT3_P12ihipStream_tbPNSt15iterator_traitsISK_E10value_typeEPNSQ_ISL_E10value_typeEPSM_NS1_7vsmem_tEENKUlT_SK_SL_SM_E_clISE_PySF_SF_EESJ_SZ_SK_SL_SM_EUlSZ_E1_NS1_11comp_targetILNS1_3genE3ELNS1_11target_archE908ELNS1_3gpuE7ELNS1_3repE0EEENS1_36merge_oddeven_config_static_selectorELNS0_4arch9wavefront6targetE1EEEvSL_ ; -- Begin function _ZN7rocprim17ROCPRIM_400000_NS6detail17trampoline_kernelINS0_14default_configENS1_38merge_sort_block_merge_config_selectorIyNS0_10empty_typeEEEZZNS1_27merge_sort_block_merge_implIS3_N6thrust23THRUST_200600_302600_NS6detail15normal_iteratorINS9_10device_ptrIyEEEEPS5_jNS1_19radix_merge_compareILb0ELb1EyNS0_19identity_decomposerEEEEE10hipError_tT0_T1_T2_jT3_P12ihipStream_tbPNSt15iterator_traitsISK_E10value_typeEPNSQ_ISL_E10value_typeEPSM_NS1_7vsmem_tEENKUlT_SK_SL_SM_E_clISE_PySF_SF_EESJ_SZ_SK_SL_SM_EUlSZ_E1_NS1_11comp_targetILNS1_3genE3ELNS1_11target_archE908ELNS1_3gpuE7ELNS1_3repE0EEENS1_36merge_oddeven_config_static_selectorELNS0_4arch9wavefront6targetE1EEEvSL_
	.globl	_ZN7rocprim17ROCPRIM_400000_NS6detail17trampoline_kernelINS0_14default_configENS1_38merge_sort_block_merge_config_selectorIyNS0_10empty_typeEEEZZNS1_27merge_sort_block_merge_implIS3_N6thrust23THRUST_200600_302600_NS6detail15normal_iteratorINS9_10device_ptrIyEEEEPS5_jNS1_19radix_merge_compareILb0ELb1EyNS0_19identity_decomposerEEEEE10hipError_tT0_T1_T2_jT3_P12ihipStream_tbPNSt15iterator_traitsISK_E10value_typeEPNSQ_ISL_E10value_typeEPSM_NS1_7vsmem_tEENKUlT_SK_SL_SM_E_clISE_PySF_SF_EESJ_SZ_SK_SL_SM_EUlSZ_E1_NS1_11comp_targetILNS1_3genE3ELNS1_11target_archE908ELNS1_3gpuE7ELNS1_3repE0EEENS1_36merge_oddeven_config_static_selectorELNS0_4arch9wavefront6targetE1EEEvSL_
	.p2align	8
	.type	_ZN7rocprim17ROCPRIM_400000_NS6detail17trampoline_kernelINS0_14default_configENS1_38merge_sort_block_merge_config_selectorIyNS0_10empty_typeEEEZZNS1_27merge_sort_block_merge_implIS3_N6thrust23THRUST_200600_302600_NS6detail15normal_iteratorINS9_10device_ptrIyEEEEPS5_jNS1_19radix_merge_compareILb0ELb1EyNS0_19identity_decomposerEEEEE10hipError_tT0_T1_T2_jT3_P12ihipStream_tbPNSt15iterator_traitsISK_E10value_typeEPNSQ_ISL_E10value_typeEPSM_NS1_7vsmem_tEENKUlT_SK_SL_SM_E_clISE_PySF_SF_EESJ_SZ_SK_SL_SM_EUlSZ_E1_NS1_11comp_targetILNS1_3genE3ELNS1_11target_archE908ELNS1_3gpuE7ELNS1_3repE0EEENS1_36merge_oddeven_config_static_selectorELNS0_4arch9wavefront6targetE1EEEvSL_,@function
_ZN7rocprim17ROCPRIM_400000_NS6detail17trampoline_kernelINS0_14default_configENS1_38merge_sort_block_merge_config_selectorIyNS0_10empty_typeEEEZZNS1_27merge_sort_block_merge_implIS3_N6thrust23THRUST_200600_302600_NS6detail15normal_iteratorINS9_10device_ptrIyEEEEPS5_jNS1_19radix_merge_compareILb0ELb1EyNS0_19identity_decomposerEEEEE10hipError_tT0_T1_T2_jT3_P12ihipStream_tbPNSt15iterator_traitsISK_E10value_typeEPNSQ_ISL_E10value_typeEPSM_NS1_7vsmem_tEENKUlT_SK_SL_SM_E_clISE_PySF_SF_EESJ_SZ_SK_SL_SM_EUlSZ_E1_NS1_11comp_targetILNS1_3genE3ELNS1_11target_archE908ELNS1_3gpuE7ELNS1_3repE0EEENS1_36merge_oddeven_config_static_selectorELNS0_4arch9wavefront6targetE1EEEvSL_: ; @_ZN7rocprim17ROCPRIM_400000_NS6detail17trampoline_kernelINS0_14default_configENS1_38merge_sort_block_merge_config_selectorIyNS0_10empty_typeEEEZZNS1_27merge_sort_block_merge_implIS3_N6thrust23THRUST_200600_302600_NS6detail15normal_iteratorINS9_10device_ptrIyEEEEPS5_jNS1_19radix_merge_compareILb0ELb1EyNS0_19identity_decomposerEEEEE10hipError_tT0_T1_T2_jT3_P12ihipStream_tbPNSt15iterator_traitsISK_E10value_typeEPNSQ_ISL_E10value_typeEPSM_NS1_7vsmem_tEENKUlT_SK_SL_SM_E_clISE_PySF_SF_EESJ_SZ_SK_SL_SM_EUlSZ_E1_NS1_11comp_targetILNS1_3genE3ELNS1_11target_archE908ELNS1_3gpuE7ELNS1_3repE0EEENS1_36merge_oddeven_config_static_selectorELNS0_4arch9wavefront6targetE1EEEvSL_
; %bb.0:
	.section	.rodata,"a",@progbits
	.p2align	6, 0x0
	.amdhsa_kernel _ZN7rocprim17ROCPRIM_400000_NS6detail17trampoline_kernelINS0_14default_configENS1_38merge_sort_block_merge_config_selectorIyNS0_10empty_typeEEEZZNS1_27merge_sort_block_merge_implIS3_N6thrust23THRUST_200600_302600_NS6detail15normal_iteratorINS9_10device_ptrIyEEEEPS5_jNS1_19radix_merge_compareILb0ELb1EyNS0_19identity_decomposerEEEEE10hipError_tT0_T1_T2_jT3_P12ihipStream_tbPNSt15iterator_traitsISK_E10value_typeEPNSQ_ISL_E10value_typeEPSM_NS1_7vsmem_tEENKUlT_SK_SL_SM_E_clISE_PySF_SF_EESJ_SZ_SK_SL_SM_EUlSZ_E1_NS1_11comp_targetILNS1_3genE3ELNS1_11target_archE908ELNS1_3gpuE7ELNS1_3repE0EEENS1_36merge_oddeven_config_static_selectorELNS0_4arch9wavefront6targetE1EEEvSL_
		.amdhsa_group_segment_fixed_size 0
		.amdhsa_private_segment_fixed_size 0
		.amdhsa_kernarg_size 48
		.amdhsa_user_sgpr_count 2
		.amdhsa_user_sgpr_dispatch_ptr 0
		.amdhsa_user_sgpr_queue_ptr 0
		.amdhsa_user_sgpr_kernarg_segment_ptr 1
		.amdhsa_user_sgpr_dispatch_id 0
		.amdhsa_user_sgpr_kernarg_preload_length 0
		.amdhsa_user_sgpr_kernarg_preload_offset 0
		.amdhsa_user_sgpr_private_segment_size 0
		.amdhsa_uses_dynamic_stack 0
		.amdhsa_enable_private_segment 0
		.amdhsa_system_sgpr_workgroup_id_x 1
		.amdhsa_system_sgpr_workgroup_id_y 0
		.amdhsa_system_sgpr_workgroup_id_z 0
		.amdhsa_system_sgpr_workgroup_info 0
		.amdhsa_system_vgpr_workitem_id 0
		.amdhsa_next_free_vgpr 1
		.amdhsa_next_free_sgpr 0
		.amdhsa_accum_offset 4
		.amdhsa_reserve_vcc 0
		.amdhsa_float_round_mode_32 0
		.amdhsa_float_round_mode_16_64 0
		.amdhsa_float_denorm_mode_32 3
		.amdhsa_float_denorm_mode_16_64 3
		.amdhsa_dx10_clamp 1
		.amdhsa_ieee_mode 1
		.amdhsa_fp16_overflow 0
		.amdhsa_tg_split 0
		.amdhsa_exception_fp_ieee_invalid_op 0
		.amdhsa_exception_fp_denorm_src 0
		.amdhsa_exception_fp_ieee_div_zero 0
		.amdhsa_exception_fp_ieee_overflow 0
		.amdhsa_exception_fp_ieee_underflow 0
		.amdhsa_exception_fp_ieee_inexact 0
		.amdhsa_exception_int_div_zero 0
	.end_amdhsa_kernel
	.section	.text._ZN7rocprim17ROCPRIM_400000_NS6detail17trampoline_kernelINS0_14default_configENS1_38merge_sort_block_merge_config_selectorIyNS0_10empty_typeEEEZZNS1_27merge_sort_block_merge_implIS3_N6thrust23THRUST_200600_302600_NS6detail15normal_iteratorINS9_10device_ptrIyEEEEPS5_jNS1_19radix_merge_compareILb0ELb1EyNS0_19identity_decomposerEEEEE10hipError_tT0_T1_T2_jT3_P12ihipStream_tbPNSt15iterator_traitsISK_E10value_typeEPNSQ_ISL_E10value_typeEPSM_NS1_7vsmem_tEENKUlT_SK_SL_SM_E_clISE_PySF_SF_EESJ_SZ_SK_SL_SM_EUlSZ_E1_NS1_11comp_targetILNS1_3genE3ELNS1_11target_archE908ELNS1_3gpuE7ELNS1_3repE0EEENS1_36merge_oddeven_config_static_selectorELNS0_4arch9wavefront6targetE1EEEvSL_,"axG",@progbits,_ZN7rocprim17ROCPRIM_400000_NS6detail17trampoline_kernelINS0_14default_configENS1_38merge_sort_block_merge_config_selectorIyNS0_10empty_typeEEEZZNS1_27merge_sort_block_merge_implIS3_N6thrust23THRUST_200600_302600_NS6detail15normal_iteratorINS9_10device_ptrIyEEEEPS5_jNS1_19radix_merge_compareILb0ELb1EyNS0_19identity_decomposerEEEEE10hipError_tT0_T1_T2_jT3_P12ihipStream_tbPNSt15iterator_traitsISK_E10value_typeEPNSQ_ISL_E10value_typeEPSM_NS1_7vsmem_tEENKUlT_SK_SL_SM_E_clISE_PySF_SF_EESJ_SZ_SK_SL_SM_EUlSZ_E1_NS1_11comp_targetILNS1_3genE3ELNS1_11target_archE908ELNS1_3gpuE7ELNS1_3repE0EEENS1_36merge_oddeven_config_static_selectorELNS0_4arch9wavefront6targetE1EEEvSL_,comdat
.Lfunc_end833:
	.size	_ZN7rocprim17ROCPRIM_400000_NS6detail17trampoline_kernelINS0_14default_configENS1_38merge_sort_block_merge_config_selectorIyNS0_10empty_typeEEEZZNS1_27merge_sort_block_merge_implIS3_N6thrust23THRUST_200600_302600_NS6detail15normal_iteratorINS9_10device_ptrIyEEEEPS5_jNS1_19radix_merge_compareILb0ELb1EyNS0_19identity_decomposerEEEEE10hipError_tT0_T1_T2_jT3_P12ihipStream_tbPNSt15iterator_traitsISK_E10value_typeEPNSQ_ISL_E10value_typeEPSM_NS1_7vsmem_tEENKUlT_SK_SL_SM_E_clISE_PySF_SF_EESJ_SZ_SK_SL_SM_EUlSZ_E1_NS1_11comp_targetILNS1_3genE3ELNS1_11target_archE908ELNS1_3gpuE7ELNS1_3repE0EEENS1_36merge_oddeven_config_static_selectorELNS0_4arch9wavefront6targetE1EEEvSL_, .Lfunc_end833-_ZN7rocprim17ROCPRIM_400000_NS6detail17trampoline_kernelINS0_14default_configENS1_38merge_sort_block_merge_config_selectorIyNS0_10empty_typeEEEZZNS1_27merge_sort_block_merge_implIS3_N6thrust23THRUST_200600_302600_NS6detail15normal_iteratorINS9_10device_ptrIyEEEEPS5_jNS1_19radix_merge_compareILb0ELb1EyNS0_19identity_decomposerEEEEE10hipError_tT0_T1_T2_jT3_P12ihipStream_tbPNSt15iterator_traitsISK_E10value_typeEPNSQ_ISL_E10value_typeEPSM_NS1_7vsmem_tEENKUlT_SK_SL_SM_E_clISE_PySF_SF_EESJ_SZ_SK_SL_SM_EUlSZ_E1_NS1_11comp_targetILNS1_3genE3ELNS1_11target_archE908ELNS1_3gpuE7ELNS1_3repE0EEENS1_36merge_oddeven_config_static_selectorELNS0_4arch9wavefront6targetE1EEEvSL_
                                        ; -- End function
	.section	.AMDGPU.csdata,"",@progbits
; Kernel info:
; codeLenInByte = 0
; NumSgprs: 6
; NumVgprs: 0
; NumAgprs: 0
; TotalNumVgprs: 0
; ScratchSize: 0
; MemoryBound: 0
; FloatMode: 240
; IeeeMode: 1
; LDSByteSize: 0 bytes/workgroup (compile time only)
; SGPRBlocks: 0
; VGPRBlocks: 0
; NumSGPRsForWavesPerEU: 6
; NumVGPRsForWavesPerEU: 1
; AccumOffset: 4
; Occupancy: 8
; WaveLimiterHint : 0
; COMPUTE_PGM_RSRC2:SCRATCH_EN: 0
; COMPUTE_PGM_RSRC2:USER_SGPR: 2
; COMPUTE_PGM_RSRC2:TRAP_HANDLER: 0
; COMPUTE_PGM_RSRC2:TGID_X_EN: 1
; COMPUTE_PGM_RSRC2:TGID_Y_EN: 0
; COMPUTE_PGM_RSRC2:TGID_Z_EN: 0
; COMPUTE_PGM_RSRC2:TIDIG_COMP_CNT: 0
; COMPUTE_PGM_RSRC3_GFX90A:ACCUM_OFFSET: 0
; COMPUTE_PGM_RSRC3_GFX90A:TG_SPLIT: 0
	.section	.text._ZN7rocprim17ROCPRIM_400000_NS6detail17trampoline_kernelINS0_14default_configENS1_38merge_sort_block_merge_config_selectorIyNS0_10empty_typeEEEZZNS1_27merge_sort_block_merge_implIS3_N6thrust23THRUST_200600_302600_NS6detail15normal_iteratorINS9_10device_ptrIyEEEEPS5_jNS1_19radix_merge_compareILb0ELb1EyNS0_19identity_decomposerEEEEE10hipError_tT0_T1_T2_jT3_P12ihipStream_tbPNSt15iterator_traitsISK_E10value_typeEPNSQ_ISL_E10value_typeEPSM_NS1_7vsmem_tEENKUlT_SK_SL_SM_E_clISE_PySF_SF_EESJ_SZ_SK_SL_SM_EUlSZ_E1_NS1_11comp_targetILNS1_3genE2ELNS1_11target_archE906ELNS1_3gpuE6ELNS1_3repE0EEENS1_36merge_oddeven_config_static_selectorELNS0_4arch9wavefront6targetE1EEEvSL_,"axG",@progbits,_ZN7rocprim17ROCPRIM_400000_NS6detail17trampoline_kernelINS0_14default_configENS1_38merge_sort_block_merge_config_selectorIyNS0_10empty_typeEEEZZNS1_27merge_sort_block_merge_implIS3_N6thrust23THRUST_200600_302600_NS6detail15normal_iteratorINS9_10device_ptrIyEEEEPS5_jNS1_19radix_merge_compareILb0ELb1EyNS0_19identity_decomposerEEEEE10hipError_tT0_T1_T2_jT3_P12ihipStream_tbPNSt15iterator_traitsISK_E10value_typeEPNSQ_ISL_E10value_typeEPSM_NS1_7vsmem_tEENKUlT_SK_SL_SM_E_clISE_PySF_SF_EESJ_SZ_SK_SL_SM_EUlSZ_E1_NS1_11comp_targetILNS1_3genE2ELNS1_11target_archE906ELNS1_3gpuE6ELNS1_3repE0EEENS1_36merge_oddeven_config_static_selectorELNS0_4arch9wavefront6targetE1EEEvSL_,comdat
	.protected	_ZN7rocprim17ROCPRIM_400000_NS6detail17trampoline_kernelINS0_14default_configENS1_38merge_sort_block_merge_config_selectorIyNS0_10empty_typeEEEZZNS1_27merge_sort_block_merge_implIS3_N6thrust23THRUST_200600_302600_NS6detail15normal_iteratorINS9_10device_ptrIyEEEEPS5_jNS1_19radix_merge_compareILb0ELb1EyNS0_19identity_decomposerEEEEE10hipError_tT0_T1_T2_jT3_P12ihipStream_tbPNSt15iterator_traitsISK_E10value_typeEPNSQ_ISL_E10value_typeEPSM_NS1_7vsmem_tEENKUlT_SK_SL_SM_E_clISE_PySF_SF_EESJ_SZ_SK_SL_SM_EUlSZ_E1_NS1_11comp_targetILNS1_3genE2ELNS1_11target_archE906ELNS1_3gpuE6ELNS1_3repE0EEENS1_36merge_oddeven_config_static_selectorELNS0_4arch9wavefront6targetE1EEEvSL_ ; -- Begin function _ZN7rocprim17ROCPRIM_400000_NS6detail17trampoline_kernelINS0_14default_configENS1_38merge_sort_block_merge_config_selectorIyNS0_10empty_typeEEEZZNS1_27merge_sort_block_merge_implIS3_N6thrust23THRUST_200600_302600_NS6detail15normal_iteratorINS9_10device_ptrIyEEEEPS5_jNS1_19radix_merge_compareILb0ELb1EyNS0_19identity_decomposerEEEEE10hipError_tT0_T1_T2_jT3_P12ihipStream_tbPNSt15iterator_traitsISK_E10value_typeEPNSQ_ISL_E10value_typeEPSM_NS1_7vsmem_tEENKUlT_SK_SL_SM_E_clISE_PySF_SF_EESJ_SZ_SK_SL_SM_EUlSZ_E1_NS1_11comp_targetILNS1_3genE2ELNS1_11target_archE906ELNS1_3gpuE6ELNS1_3repE0EEENS1_36merge_oddeven_config_static_selectorELNS0_4arch9wavefront6targetE1EEEvSL_
	.globl	_ZN7rocprim17ROCPRIM_400000_NS6detail17trampoline_kernelINS0_14default_configENS1_38merge_sort_block_merge_config_selectorIyNS0_10empty_typeEEEZZNS1_27merge_sort_block_merge_implIS3_N6thrust23THRUST_200600_302600_NS6detail15normal_iteratorINS9_10device_ptrIyEEEEPS5_jNS1_19radix_merge_compareILb0ELb1EyNS0_19identity_decomposerEEEEE10hipError_tT0_T1_T2_jT3_P12ihipStream_tbPNSt15iterator_traitsISK_E10value_typeEPNSQ_ISL_E10value_typeEPSM_NS1_7vsmem_tEENKUlT_SK_SL_SM_E_clISE_PySF_SF_EESJ_SZ_SK_SL_SM_EUlSZ_E1_NS1_11comp_targetILNS1_3genE2ELNS1_11target_archE906ELNS1_3gpuE6ELNS1_3repE0EEENS1_36merge_oddeven_config_static_selectorELNS0_4arch9wavefront6targetE1EEEvSL_
	.p2align	8
	.type	_ZN7rocprim17ROCPRIM_400000_NS6detail17trampoline_kernelINS0_14default_configENS1_38merge_sort_block_merge_config_selectorIyNS0_10empty_typeEEEZZNS1_27merge_sort_block_merge_implIS3_N6thrust23THRUST_200600_302600_NS6detail15normal_iteratorINS9_10device_ptrIyEEEEPS5_jNS1_19radix_merge_compareILb0ELb1EyNS0_19identity_decomposerEEEEE10hipError_tT0_T1_T2_jT3_P12ihipStream_tbPNSt15iterator_traitsISK_E10value_typeEPNSQ_ISL_E10value_typeEPSM_NS1_7vsmem_tEENKUlT_SK_SL_SM_E_clISE_PySF_SF_EESJ_SZ_SK_SL_SM_EUlSZ_E1_NS1_11comp_targetILNS1_3genE2ELNS1_11target_archE906ELNS1_3gpuE6ELNS1_3repE0EEENS1_36merge_oddeven_config_static_selectorELNS0_4arch9wavefront6targetE1EEEvSL_,@function
_ZN7rocprim17ROCPRIM_400000_NS6detail17trampoline_kernelINS0_14default_configENS1_38merge_sort_block_merge_config_selectorIyNS0_10empty_typeEEEZZNS1_27merge_sort_block_merge_implIS3_N6thrust23THRUST_200600_302600_NS6detail15normal_iteratorINS9_10device_ptrIyEEEEPS5_jNS1_19radix_merge_compareILb0ELb1EyNS0_19identity_decomposerEEEEE10hipError_tT0_T1_T2_jT3_P12ihipStream_tbPNSt15iterator_traitsISK_E10value_typeEPNSQ_ISL_E10value_typeEPSM_NS1_7vsmem_tEENKUlT_SK_SL_SM_E_clISE_PySF_SF_EESJ_SZ_SK_SL_SM_EUlSZ_E1_NS1_11comp_targetILNS1_3genE2ELNS1_11target_archE906ELNS1_3gpuE6ELNS1_3repE0EEENS1_36merge_oddeven_config_static_selectorELNS0_4arch9wavefront6targetE1EEEvSL_: ; @_ZN7rocprim17ROCPRIM_400000_NS6detail17trampoline_kernelINS0_14default_configENS1_38merge_sort_block_merge_config_selectorIyNS0_10empty_typeEEEZZNS1_27merge_sort_block_merge_implIS3_N6thrust23THRUST_200600_302600_NS6detail15normal_iteratorINS9_10device_ptrIyEEEEPS5_jNS1_19radix_merge_compareILb0ELb1EyNS0_19identity_decomposerEEEEE10hipError_tT0_T1_T2_jT3_P12ihipStream_tbPNSt15iterator_traitsISK_E10value_typeEPNSQ_ISL_E10value_typeEPSM_NS1_7vsmem_tEENKUlT_SK_SL_SM_E_clISE_PySF_SF_EESJ_SZ_SK_SL_SM_EUlSZ_E1_NS1_11comp_targetILNS1_3genE2ELNS1_11target_archE906ELNS1_3gpuE6ELNS1_3repE0EEENS1_36merge_oddeven_config_static_selectorELNS0_4arch9wavefront6targetE1EEEvSL_
; %bb.0:
	.section	.rodata,"a",@progbits
	.p2align	6, 0x0
	.amdhsa_kernel _ZN7rocprim17ROCPRIM_400000_NS6detail17trampoline_kernelINS0_14default_configENS1_38merge_sort_block_merge_config_selectorIyNS0_10empty_typeEEEZZNS1_27merge_sort_block_merge_implIS3_N6thrust23THRUST_200600_302600_NS6detail15normal_iteratorINS9_10device_ptrIyEEEEPS5_jNS1_19radix_merge_compareILb0ELb1EyNS0_19identity_decomposerEEEEE10hipError_tT0_T1_T2_jT3_P12ihipStream_tbPNSt15iterator_traitsISK_E10value_typeEPNSQ_ISL_E10value_typeEPSM_NS1_7vsmem_tEENKUlT_SK_SL_SM_E_clISE_PySF_SF_EESJ_SZ_SK_SL_SM_EUlSZ_E1_NS1_11comp_targetILNS1_3genE2ELNS1_11target_archE906ELNS1_3gpuE6ELNS1_3repE0EEENS1_36merge_oddeven_config_static_selectorELNS0_4arch9wavefront6targetE1EEEvSL_
		.amdhsa_group_segment_fixed_size 0
		.amdhsa_private_segment_fixed_size 0
		.amdhsa_kernarg_size 48
		.amdhsa_user_sgpr_count 2
		.amdhsa_user_sgpr_dispatch_ptr 0
		.amdhsa_user_sgpr_queue_ptr 0
		.amdhsa_user_sgpr_kernarg_segment_ptr 1
		.amdhsa_user_sgpr_dispatch_id 0
		.amdhsa_user_sgpr_kernarg_preload_length 0
		.amdhsa_user_sgpr_kernarg_preload_offset 0
		.amdhsa_user_sgpr_private_segment_size 0
		.amdhsa_uses_dynamic_stack 0
		.amdhsa_enable_private_segment 0
		.amdhsa_system_sgpr_workgroup_id_x 1
		.amdhsa_system_sgpr_workgroup_id_y 0
		.amdhsa_system_sgpr_workgroup_id_z 0
		.amdhsa_system_sgpr_workgroup_info 0
		.amdhsa_system_vgpr_workitem_id 0
		.amdhsa_next_free_vgpr 1
		.amdhsa_next_free_sgpr 0
		.amdhsa_accum_offset 4
		.amdhsa_reserve_vcc 0
		.amdhsa_float_round_mode_32 0
		.amdhsa_float_round_mode_16_64 0
		.amdhsa_float_denorm_mode_32 3
		.amdhsa_float_denorm_mode_16_64 3
		.amdhsa_dx10_clamp 1
		.amdhsa_ieee_mode 1
		.amdhsa_fp16_overflow 0
		.amdhsa_tg_split 0
		.amdhsa_exception_fp_ieee_invalid_op 0
		.amdhsa_exception_fp_denorm_src 0
		.amdhsa_exception_fp_ieee_div_zero 0
		.amdhsa_exception_fp_ieee_overflow 0
		.amdhsa_exception_fp_ieee_underflow 0
		.amdhsa_exception_fp_ieee_inexact 0
		.amdhsa_exception_int_div_zero 0
	.end_amdhsa_kernel
	.section	.text._ZN7rocprim17ROCPRIM_400000_NS6detail17trampoline_kernelINS0_14default_configENS1_38merge_sort_block_merge_config_selectorIyNS0_10empty_typeEEEZZNS1_27merge_sort_block_merge_implIS3_N6thrust23THRUST_200600_302600_NS6detail15normal_iteratorINS9_10device_ptrIyEEEEPS5_jNS1_19radix_merge_compareILb0ELb1EyNS0_19identity_decomposerEEEEE10hipError_tT0_T1_T2_jT3_P12ihipStream_tbPNSt15iterator_traitsISK_E10value_typeEPNSQ_ISL_E10value_typeEPSM_NS1_7vsmem_tEENKUlT_SK_SL_SM_E_clISE_PySF_SF_EESJ_SZ_SK_SL_SM_EUlSZ_E1_NS1_11comp_targetILNS1_3genE2ELNS1_11target_archE906ELNS1_3gpuE6ELNS1_3repE0EEENS1_36merge_oddeven_config_static_selectorELNS0_4arch9wavefront6targetE1EEEvSL_,"axG",@progbits,_ZN7rocprim17ROCPRIM_400000_NS6detail17trampoline_kernelINS0_14default_configENS1_38merge_sort_block_merge_config_selectorIyNS0_10empty_typeEEEZZNS1_27merge_sort_block_merge_implIS3_N6thrust23THRUST_200600_302600_NS6detail15normal_iteratorINS9_10device_ptrIyEEEEPS5_jNS1_19radix_merge_compareILb0ELb1EyNS0_19identity_decomposerEEEEE10hipError_tT0_T1_T2_jT3_P12ihipStream_tbPNSt15iterator_traitsISK_E10value_typeEPNSQ_ISL_E10value_typeEPSM_NS1_7vsmem_tEENKUlT_SK_SL_SM_E_clISE_PySF_SF_EESJ_SZ_SK_SL_SM_EUlSZ_E1_NS1_11comp_targetILNS1_3genE2ELNS1_11target_archE906ELNS1_3gpuE6ELNS1_3repE0EEENS1_36merge_oddeven_config_static_selectorELNS0_4arch9wavefront6targetE1EEEvSL_,comdat
.Lfunc_end834:
	.size	_ZN7rocprim17ROCPRIM_400000_NS6detail17trampoline_kernelINS0_14default_configENS1_38merge_sort_block_merge_config_selectorIyNS0_10empty_typeEEEZZNS1_27merge_sort_block_merge_implIS3_N6thrust23THRUST_200600_302600_NS6detail15normal_iteratorINS9_10device_ptrIyEEEEPS5_jNS1_19radix_merge_compareILb0ELb1EyNS0_19identity_decomposerEEEEE10hipError_tT0_T1_T2_jT3_P12ihipStream_tbPNSt15iterator_traitsISK_E10value_typeEPNSQ_ISL_E10value_typeEPSM_NS1_7vsmem_tEENKUlT_SK_SL_SM_E_clISE_PySF_SF_EESJ_SZ_SK_SL_SM_EUlSZ_E1_NS1_11comp_targetILNS1_3genE2ELNS1_11target_archE906ELNS1_3gpuE6ELNS1_3repE0EEENS1_36merge_oddeven_config_static_selectorELNS0_4arch9wavefront6targetE1EEEvSL_, .Lfunc_end834-_ZN7rocprim17ROCPRIM_400000_NS6detail17trampoline_kernelINS0_14default_configENS1_38merge_sort_block_merge_config_selectorIyNS0_10empty_typeEEEZZNS1_27merge_sort_block_merge_implIS3_N6thrust23THRUST_200600_302600_NS6detail15normal_iteratorINS9_10device_ptrIyEEEEPS5_jNS1_19radix_merge_compareILb0ELb1EyNS0_19identity_decomposerEEEEE10hipError_tT0_T1_T2_jT3_P12ihipStream_tbPNSt15iterator_traitsISK_E10value_typeEPNSQ_ISL_E10value_typeEPSM_NS1_7vsmem_tEENKUlT_SK_SL_SM_E_clISE_PySF_SF_EESJ_SZ_SK_SL_SM_EUlSZ_E1_NS1_11comp_targetILNS1_3genE2ELNS1_11target_archE906ELNS1_3gpuE6ELNS1_3repE0EEENS1_36merge_oddeven_config_static_selectorELNS0_4arch9wavefront6targetE1EEEvSL_
                                        ; -- End function
	.section	.AMDGPU.csdata,"",@progbits
; Kernel info:
; codeLenInByte = 0
; NumSgprs: 6
; NumVgprs: 0
; NumAgprs: 0
; TotalNumVgprs: 0
; ScratchSize: 0
; MemoryBound: 0
; FloatMode: 240
; IeeeMode: 1
; LDSByteSize: 0 bytes/workgroup (compile time only)
; SGPRBlocks: 0
; VGPRBlocks: 0
; NumSGPRsForWavesPerEU: 6
; NumVGPRsForWavesPerEU: 1
; AccumOffset: 4
; Occupancy: 8
; WaveLimiterHint : 0
; COMPUTE_PGM_RSRC2:SCRATCH_EN: 0
; COMPUTE_PGM_RSRC2:USER_SGPR: 2
; COMPUTE_PGM_RSRC2:TRAP_HANDLER: 0
; COMPUTE_PGM_RSRC2:TGID_X_EN: 1
; COMPUTE_PGM_RSRC2:TGID_Y_EN: 0
; COMPUTE_PGM_RSRC2:TGID_Z_EN: 0
; COMPUTE_PGM_RSRC2:TIDIG_COMP_CNT: 0
; COMPUTE_PGM_RSRC3_GFX90A:ACCUM_OFFSET: 0
; COMPUTE_PGM_RSRC3_GFX90A:TG_SPLIT: 0
	.section	.text._ZN7rocprim17ROCPRIM_400000_NS6detail17trampoline_kernelINS0_14default_configENS1_38merge_sort_block_merge_config_selectorIyNS0_10empty_typeEEEZZNS1_27merge_sort_block_merge_implIS3_N6thrust23THRUST_200600_302600_NS6detail15normal_iteratorINS9_10device_ptrIyEEEEPS5_jNS1_19radix_merge_compareILb0ELb1EyNS0_19identity_decomposerEEEEE10hipError_tT0_T1_T2_jT3_P12ihipStream_tbPNSt15iterator_traitsISK_E10value_typeEPNSQ_ISL_E10value_typeEPSM_NS1_7vsmem_tEENKUlT_SK_SL_SM_E_clISE_PySF_SF_EESJ_SZ_SK_SL_SM_EUlSZ_E1_NS1_11comp_targetILNS1_3genE9ELNS1_11target_archE1100ELNS1_3gpuE3ELNS1_3repE0EEENS1_36merge_oddeven_config_static_selectorELNS0_4arch9wavefront6targetE1EEEvSL_,"axG",@progbits,_ZN7rocprim17ROCPRIM_400000_NS6detail17trampoline_kernelINS0_14default_configENS1_38merge_sort_block_merge_config_selectorIyNS0_10empty_typeEEEZZNS1_27merge_sort_block_merge_implIS3_N6thrust23THRUST_200600_302600_NS6detail15normal_iteratorINS9_10device_ptrIyEEEEPS5_jNS1_19radix_merge_compareILb0ELb1EyNS0_19identity_decomposerEEEEE10hipError_tT0_T1_T2_jT3_P12ihipStream_tbPNSt15iterator_traitsISK_E10value_typeEPNSQ_ISL_E10value_typeEPSM_NS1_7vsmem_tEENKUlT_SK_SL_SM_E_clISE_PySF_SF_EESJ_SZ_SK_SL_SM_EUlSZ_E1_NS1_11comp_targetILNS1_3genE9ELNS1_11target_archE1100ELNS1_3gpuE3ELNS1_3repE0EEENS1_36merge_oddeven_config_static_selectorELNS0_4arch9wavefront6targetE1EEEvSL_,comdat
	.protected	_ZN7rocprim17ROCPRIM_400000_NS6detail17trampoline_kernelINS0_14default_configENS1_38merge_sort_block_merge_config_selectorIyNS0_10empty_typeEEEZZNS1_27merge_sort_block_merge_implIS3_N6thrust23THRUST_200600_302600_NS6detail15normal_iteratorINS9_10device_ptrIyEEEEPS5_jNS1_19radix_merge_compareILb0ELb1EyNS0_19identity_decomposerEEEEE10hipError_tT0_T1_T2_jT3_P12ihipStream_tbPNSt15iterator_traitsISK_E10value_typeEPNSQ_ISL_E10value_typeEPSM_NS1_7vsmem_tEENKUlT_SK_SL_SM_E_clISE_PySF_SF_EESJ_SZ_SK_SL_SM_EUlSZ_E1_NS1_11comp_targetILNS1_3genE9ELNS1_11target_archE1100ELNS1_3gpuE3ELNS1_3repE0EEENS1_36merge_oddeven_config_static_selectorELNS0_4arch9wavefront6targetE1EEEvSL_ ; -- Begin function _ZN7rocprim17ROCPRIM_400000_NS6detail17trampoline_kernelINS0_14default_configENS1_38merge_sort_block_merge_config_selectorIyNS0_10empty_typeEEEZZNS1_27merge_sort_block_merge_implIS3_N6thrust23THRUST_200600_302600_NS6detail15normal_iteratorINS9_10device_ptrIyEEEEPS5_jNS1_19radix_merge_compareILb0ELb1EyNS0_19identity_decomposerEEEEE10hipError_tT0_T1_T2_jT3_P12ihipStream_tbPNSt15iterator_traitsISK_E10value_typeEPNSQ_ISL_E10value_typeEPSM_NS1_7vsmem_tEENKUlT_SK_SL_SM_E_clISE_PySF_SF_EESJ_SZ_SK_SL_SM_EUlSZ_E1_NS1_11comp_targetILNS1_3genE9ELNS1_11target_archE1100ELNS1_3gpuE3ELNS1_3repE0EEENS1_36merge_oddeven_config_static_selectorELNS0_4arch9wavefront6targetE1EEEvSL_
	.globl	_ZN7rocprim17ROCPRIM_400000_NS6detail17trampoline_kernelINS0_14default_configENS1_38merge_sort_block_merge_config_selectorIyNS0_10empty_typeEEEZZNS1_27merge_sort_block_merge_implIS3_N6thrust23THRUST_200600_302600_NS6detail15normal_iteratorINS9_10device_ptrIyEEEEPS5_jNS1_19radix_merge_compareILb0ELb1EyNS0_19identity_decomposerEEEEE10hipError_tT0_T1_T2_jT3_P12ihipStream_tbPNSt15iterator_traitsISK_E10value_typeEPNSQ_ISL_E10value_typeEPSM_NS1_7vsmem_tEENKUlT_SK_SL_SM_E_clISE_PySF_SF_EESJ_SZ_SK_SL_SM_EUlSZ_E1_NS1_11comp_targetILNS1_3genE9ELNS1_11target_archE1100ELNS1_3gpuE3ELNS1_3repE0EEENS1_36merge_oddeven_config_static_selectorELNS0_4arch9wavefront6targetE1EEEvSL_
	.p2align	8
	.type	_ZN7rocprim17ROCPRIM_400000_NS6detail17trampoline_kernelINS0_14default_configENS1_38merge_sort_block_merge_config_selectorIyNS0_10empty_typeEEEZZNS1_27merge_sort_block_merge_implIS3_N6thrust23THRUST_200600_302600_NS6detail15normal_iteratorINS9_10device_ptrIyEEEEPS5_jNS1_19radix_merge_compareILb0ELb1EyNS0_19identity_decomposerEEEEE10hipError_tT0_T1_T2_jT3_P12ihipStream_tbPNSt15iterator_traitsISK_E10value_typeEPNSQ_ISL_E10value_typeEPSM_NS1_7vsmem_tEENKUlT_SK_SL_SM_E_clISE_PySF_SF_EESJ_SZ_SK_SL_SM_EUlSZ_E1_NS1_11comp_targetILNS1_3genE9ELNS1_11target_archE1100ELNS1_3gpuE3ELNS1_3repE0EEENS1_36merge_oddeven_config_static_selectorELNS0_4arch9wavefront6targetE1EEEvSL_,@function
_ZN7rocprim17ROCPRIM_400000_NS6detail17trampoline_kernelINS0_14default_configENS1_38merge_sort_block_merge_config_selectorIyNS0_10empty_typeEEEZZNS1_27merge_sort_block_merge_implIS3_N6thrust23THRUST_200600_302600_NS6detail15normal_iteratorINS9_10device_ptrIyEEEEPS5_jNS1_19radix_merge_compareILb0ELb1EyNS0_19identity_decomposerEEEEE10hipError_tT0_T1_T2_jT3_P12ihipStream_tbPNSt15iterator_traitsISK_E10value_typeEPNSQ_ISL_E10value_typeEPSM_NS1_7vsmem_tEENKUlT_SK_SL_SM_E_clISE_PySF_SF_EESJ_SZ_SK_SL_SM_EUlSZ_E1_NS1_11comp_targetILNS1_3genE9ELNS1_11target_archE1100ELNS1_3gpuE3ELNS1_3repE0EEENS1_36merge_oddeven_config_static_selectorELNS0_4arch9wavefront6targetE1EEEvSL_: ; @_ZN7rocprim17ROCPRIM_400000_NS6detail17trampoline_kernelINS0_14default_configENS1_38merge_sort_block_merge_config_selectorIyNS0_10empty_typeEEEZZNS1_27merge_sort_block_merge_implIS3_N6thrust23THRUST_200600_302600_NS6detail15normal_iteratorINS9_10device_ptrIyEEEEPS5_jNS1_19radix_merge_compareILb0ELb1EyNS0_19identity_decomposerEEEEE10hipError_tT0_T1_T2_jT3_P12ihipStream_tbPNSt15iterator_traitsISK_E10value_typeEPNSQ_ISL_E10value_typeEPSM_NS1_7vsmem_tEENKUlT_SK_SL_SM_E_clISE_PySF_SF_EESJ_SZ_SK_SL_SM_EUlSZ_E1_NS1_11comp_targetILNS1_3genE9ELNS1_11target_archE1100ELNS1_3gpuE3ELNS1_3repE0EEENS1_36merge_oddeven_config_static_selectorELNS0_4arch9wavefront6targetE1EEEvSL_
; %bb.0:
	.section	.rodata,"a",@progbits
	.p2align	6, 0x0
	.amdhsa_kernel _ZN7rocprim17ROCPRIM_400000_NS6detail17trampoline_kernelINS0_14default_configENS1_38merge_sort_block_merge_config_selectorIyNS0_10empty_typeEEEZZNS1_27merge_sort_block_merge_implIS3_N6thrust23THRUST_200600_302600_NS6detail15normal_iteratorINS9_10device_ptrIyEEEEPS5_jNS1_19radix_merge_compareILb0ELb1EyNS0_19identity_decomposerEEEEE10hipError_tT0_T1_T2_jT3_P12ihipStream_tbPNSt15iterator_traitsISK_E10value_typeEPNSQ_ISL_E10value_typeEPSM_NS1_7vsmem_tEENKUlT_SK_SL_SM_E_clISE_PySF_SF_EESJ_SZ_SK_SL_SM_EUlSZ_E1_NS1_11comp_targetILNS1_3genE9ELNS1_11target_archE1100ELNS1_3gpuE3ELNS1_3repE0EEENS1_36merge_oddeven_config_static_selectorELNS0_4arch9wavefront6targetE1EEEvSL_
		.amdhsa_group_segment_fixed_size 0
		.amdhsa_private_segment_fixed_size 0
		.amdhsa_kernarg_size 48
		.amdhsa_user_sgpr_count 2
		.amdhsa_user_sgpr_dispatch_ptr 0
		.amdhsa_user_sgpr_queue_ptr 0
		.amdhsa_user_sgpr_kernarg_segment_ptr 1
		.amdhsa_user_sgpr_dispatch_id 0
		.amdhsa_user_sgpr_kernarg_preload_length 0
		.amdhsa_user_sgpr_kernarg_preload_offset 0
		.amdhsa_user_sgpr_private_segment_size 0
		.amdhsa_uses_dynamic_stack 0
		.amdhsa_enable_private_segment 0
		.amdhsa_system_sgpr_workgroup_id_x 1
		.amdhsa_system_sgpr_workgroup_id_y 0
		.amdhsa_system_sgpr_workgroup_id_z 0
		.amdhsa_system_sgpr_workgroup_info 0
		.amdhsa_system_vgpr_workitem_id 0
		.amdhsa_next_free_vgpr 1
		.amdhsa_next_free_sgpr 0
		.amdhsa_accum_offset 4
		.amdhsa_reserve_vcc 0
		.amdhsa_float_round_mode_32 0
		.amdhsa_float_round_mode_16_64 0
		.amdhsa_float_denorm_mode_32 3
		.amdhsa_float_denorm_mode_16_64 3
		.amdhsa_dx10_clamp 1
		.amdhsa_ieee_mode 1
		.amdhsa_fp16_overflow 0
		.amdhsa_tg_split 0
		.amdhsa_exception_fp_ieee_invalid_op 0
		.amdhsa_exception_fp_denorm_src 0
		.amdhsa_exception_fp_ieee_div_zero 0
		.amdhsa_exception_fp_ieee_overflow 0
		.amdhsa_exception_fp_ieee_underflow 0
		.amdhsa_exception_fp_ieee_inexact 0
		.amdhsa_exception_int_div_zero 0
	.end_amdhsa_kernel
	.section	.text._ZN7rocprim17ROCPRIM_400000_NS6detail17trampoline_kernelINS0_14default_configENS1_38merge_sort_block_merge_config_selectorIyNS0_10empty_typeEEEZZNS1_27merge_sort_block_merge_implIS3_N6thrust23THRUST_200600_302600_NS6detail15normal_iteratorINS9_10device_ptrIyEEEEPS5_jNS1_19radix_merge_compareILb0ELb1EyNS0_19identity_decomposerEEEEE10hipError_tT0_T1_T2_jT3_P12ihipStream_tbPNSt15iterator_traitsISK_E10value_typeEPNSQ_ISL_E10value_typeEPSM_NS1_7vsmem_tEENKUlT_SK_SL_SM_E_clISE_PySF_SF_EESJ_SZ_SK_SL_SM_EUlSZ_E1_NS1_11comp_targetILNS1_3genE9ELNS1_11target_archE1100ELNS1_3gpuE3ELNS1_3repE0EEENS1_36merge_oddeven_config_static_selectorELNS0_4arch9wavefront6targetE1EEEvSL_,"axG",@progbits,_ZN7rocprim17ROCPRIM_400000_NS6detail17trampoline_kernelINS0_14default_configENS1_38merge_sort_block_merge_config_selectorIyNS0_10empty_typeEEEZZNS1_27merge_sort_block_merge_implIS3_N6thrust23THRUST_200600_302600_NS6detail15normal_iteratorINS9_10device_ptrIyEEEEPS5_jNS1_19radix_merge_compareILb0ELb1EyNS0_19identity_decomposerEEEEE10hipError_tT0_T1_T2_jT3_P12ihipStream_tbPNSt15iterator_traitsISK_E10value_typeEPNSQ_ISL_E10value_typeEPSM_NS1_7vsmem_tEENKUlT_SK_SL_SM_E_clISE_PySF_SF_EESJ_SZ_SK_SL_SM_EUlSZ_E1_NS1_11comp_targetILNS1_3genE9ELNS1_11target_archE1100ELNS1_3gpuE3ELNS1_3repE0EEENS1_36merge_oddeven_config_static_selectorELNS0_4arch9wavefront6targetE1EEEvSL_,comdat
.Lfunc_end835:
	.size	_ZN7rocprim17ROCPRIM_400000_NS6detail17trampoline_kernelINS0_14default_configENS1_38merge_sort_block_merge_config_selectorIyNS0_10empty_typeEEEZZNS1_27merge_sort_block_merge_implIS3_N6thrust23THRUST_200600_302600_NS6detail15normal_iteratorINS9_10device_ptrIyEEEEPS5_jNS1_19radix_merge_compareILb0ELb1EyNS0_19identity_decomposerEEEEE10hipError_tT0_T1_T2_jT3_P12ihipStream_tbPNSt15iterator_traitsISK_E10value_typeEPNSQ_ISL_E10value_typeEPSM_NS1_7vsmem_tEENKUlT_SK_SL_SM_E_clISE_PySF_SF_EESJ_SZ_SK_SL_SM_EUlSZ_E1_NS1_11comp_targetILNS1_3genE9ELNS1_11target_archE1100ELNS1_3gpuE3ELNS1_3repE0EEENS1_36merge_oddeven_config_static_selectorELNS0_4arch9wavefront6targetE1EEEvSL_, .Lfunc_end835-_ZN7rocprim17ROCPRIM_400000_NS6detail17trampoline_kernelINS0_14default_configENS1_38merge_sort_block_merge_config_selectorIyNS0_10empty_typeEEEZZNS1_27merge_sort_block_merge_implIS3_N6thrust23THRUST_200600_302600_NS6detail15normal_iteratorINS9_10device_ptrIyEEEEPS5_jNS1_19radix_merge_compareILb0ELb1EyNS0_19identity_decomposerEEEEE10hipError_tT0_T1_T2_jT3_P12ihipStream_tbPNSt15iterator_traitsISK_E10value_typeEPNSQ_ISL_E10value_typeEPSM_NS1_7vsmem_tEENKUlT_SK_SL_SM_E_clISE_PySF_SF_EESJ_SZ_SK_SL_SM_EUlSZ_E1_NS1_11comp_targetILNS1_3genE9ELNS1_11target_archE1100ELNS1_3gpuE3ELNS1_3repE0EEENS1_36merge_oddeven_config_static_selectorELNS0_4arch9wavefront6targetE1EEEvSL_
                                        ; -- End function
	.section	.AMDGPU.csdata,"",@progbits
; Kernel info:
; codeLenInByte = 0
; NumSgprs: 6
; NumVgprs: 0
; NumAgprs: 0
; TotalNumVgprs: 0
; ScratchSize: 0
; MemoryBound: 0
; FloatMode: 240
; IeeeMode: 1
; LDSByteSize: 0 bytes/workgroup (compile time only)
; SGPRBlocks: 0
; VGPRBlocks: 0
; NumSGPRsForWavesPerEU: 6
; NumVGPRsForWavesPerEU: 1
; AccumOffset: 4
; Occupancy: 8
; WaveLimiterHint : 0
; COMPUTE_PGM_RSRC2:SCRATCH_EN: 0
; COMPUTE_PGM_RSRC2:USER_SGPR: 2
; COMPUTE_PGM_RSRC2:TRAP_HANDLER: 0
; COMPUTE_PGM_RSRC2:TGID_X_EN: 1
; COMPUTE_PGM_RSRC2:TGID_Y_EN: 0
; COMPUTE_PGM_RSRC2:TGID_Z_EN: 0
; COMPUTE_PGM_RSRC2:TIDIG_COMP_CNT: 0
; COMPUTE_PGM_RSRC3_GFX90A:ACCUM_OFFSET: 0
; COMPUTE_PGM_RSRC3_GFX90A:TG_SPLIT: 0
	.section	.text._ZN7rocprim17ROCPRIM_400000_NS6detail17trampoline_kernelINS0_14default_configENS1_38merge_sort_block_merge_config_selectorIyNS0_10empty_typeEEEZZNS1_27merge_sort_block_merge_implIS3_N6thrust23THRUST_200600_302600_NS6detail15normal_iteratorINS9_10device_ptrIyEEEEPS5_jNS1_19radix_merge_compareILb0ELb1EyNS0_19identity_decomposerEEEEE10hipError_tT0_T1_T2_jT3_P12ihipStream_tbPNSt15iterator_traitsISK_E10value_typeEPNSQ_ISL_E10value_typeEPSM_NS1_7vsmem_tEENKUlT_SK_SL_SM_E_clISE_PySF_SF_EESJ_SZ_SK_SL_SM_EUlSZ_E1_NS1_11comp_targetILNS1_3genE8ELNS1_11target_archE1030ELNS1_3gpuE2ELNS1_3repE0EEENS1_36merge_oddeven_config_static_selectorELNS0_4arch9wavefront6targetE1EEEvSL_,"axG",@progbits,_ZN7rocprim17ROCPRIM_400000_NS6detail17trampoline_kernelINS0_14default_configENS1_38merge_sort_block_merge_config_selectorIyNS0_10empty_typeEEEZZNS1_27merge_sort_block_merge_implIS3_N6thrust23THRUST_200600_302600_NS6detail15normal_iteratorINS9_10device_ptrIyEEEEPS5_jNS1_19radix_merge_compareILb0ELb1EyNS0_19identity_decomposerEEEEE10hipError_tT0_T1_T2_jT3_P12ihipStream_tbPNSt15iterator_traitsISK_E10value_typeEPNSQ_ISL_E10value_typeEPSM_NS1_7vsmem_tEENKUlT_SK_SL_SM_E_clISE_PySF_SF_EESJ_SZ_SK_SL_SM_EUlSZ_E1_NS1_11comp_targetILNS1_3genE8ELNS1_11target_archE1030ELNS1_3gpuE2ELNS1_3repE0EEENS1_36merge_oddeven_config_static_selectorELNS0_4arch9wavefront6targetE1EEEvSL_,comdat
	.protected	_ZN7rocprim17ROCPRIM_400000_NS6detail17trampoline_kernelINS0_14default_configENS1_38merge_sort_block_merge_config_selectorIyNS0_10empty_typeEEEZZNS1_27merge_sort_block_merge_implIS3_N6thrust23THRUST_200600_302600_NS6detail15normal_iteratorINS9_10device_ptrIyEEEEPS5_jNS1_19radix_merge_compareILb0ELb1EyNS0_19identity_decomposerEEEEE10hipError_tT0_T1_T2_jT3_P12ihipStream_tbPNSt15iterator_traitsISK_E10value_typeEPNSQ_ISL_E10value_typeEPSM_NS1_7vsmem_tEENKUlT_SK_SL_SM_E_clISE_PySF_SF_EESJ_SZ_SK_SL_SM_EUlSZ_E1_NS1_11comp_targetILNS1_3genE8ELNS1_11target_archE1030ELNS1_3gpuE2ELNS1_3repE0EEENS1_36merge_oddeven_config_static_selectorELNS0_4arch9wavefront6targetE1EEEvSL_ ; -- Begin function _ZN7rocprim17ROCPRIM_400000_NS6detail17trampoline_kernelINS0_14default_configENS1_38merge_sort_block_merge_config_selectorIyNS0_10empty_typeEEEZZNS1_27merge_sort_block_merge_implIS3_N6thrust23THRUST_200600_302600_NS6detail15normal_iteratorINS9_10device_ptrIyEEEEPS5_jNS1_19radix_merge_compareILb0ELb1EyNS0_19identity_decomposerEEEEE10hipError_tT0_T1_T2_jT3_P12ihipStream_tbPNSt15iterator_traitsISK_E10value_typeEPNSQ_ISL_E10value_typeEPSM_NS1_7vsmem_tEENKUlT_SK_SL_SM_E_clISE_PySF_SF_EESJ_SZ_SK_SL_SM_EUlSZ_E1_NS1_11comp_targetILNS1_3genE8ELNS1_11target_archE1030ELNS1_3gpuE2ELNS1_3repE0EEENS1_36merge_oddeven_config_static_selectorELNS0_4arch9wavefront6targetE1EEEvSL_
	.globl	_ZN7rocprim17ROCPRIM_400000_NS6detail17trampoline_kernelINS0_14default_configENS1_38merge_sort_block_merge_config_selectorIyNS0_10empty_typeEEEZZNS1_27merge_sort_block_merge_implIS3_N6thrust23THRUST_200600_302600_NS6detail15normal_iteratorINS9_10device_ptrIyEEEEPS5_jNS1_19radix_merge_compareILb0ELb1EyNS0_19identity_decomposerEEEEE10hipError_tT0_T1_T2_jT3_P12ihipStream_tbPNSt15iterator_traitsISK_E10value_typeEPNSQ_ISL_E10value_typeEPSM_NS1_7vsmem_tEENKUlT_SK_SL_SM_E_clISE_PySF_SF_EESJ_SZ_SK_SL_SM_EUlSZ_E1_NS1_11comp_targetILNS1_3genE8ELNS1_11target_archE1030ELNS1_3gpuE2ELNS1_3repE0EEENS1_36merge_oddeven_config_static_selectorELNS0_4arch9wavefront6targetE1EEEvSL_
	.p2align	8
	.type	_ZN7rocprim17ROCPRIM_400000_NS6detail17trampoline_kernelINS0_14default_configENS1_38merge_sort_block_merge_config_selectorIyNS0_10empty_typeEEEZZNS1_27merge_sort_block_merge_implIS3_N6thrust23THRUST_200600_302600_NS6detail15normal_iteratorINS9_10device_ptrIyEEEEPS5_jNS1_19radix_merge_compareILb0ELb1EyNS0_19identity_decomposerEEEEE10hipError_tT0_T1_T2_jT3_P12ihipStream_tbPNSt15iterator_traitsISK_E10value_typeEPNSQ_ISL_E10value_typeEPSM_NS1_7vsmem_tEENKUlT_SK_SL_SM_E_clISE_PySF_SF_EESJ_SZ_SK_SL_SM_EUlSZ_E1_NS1_11comp_targetILNS1_3genE8ELNS1_11target_archE1030ELNS1_3gpuE2ELNS1_3repE0EEENS1_36merge_oddeven_config_static_selectorELNS0_4arch9wavefront6targetE1EEEvSL_,@function
_ZN7rocprim17ROCPRIM_400000_NS6detail17trampoline_kernelINS0_14default_configENS1_38merge_sort_block_merge_config_selectorIyNS0_10empty_typeEEEZZNS1_27merge_sort_block_merge_implIS3_N6thrust23THRUST_200600_302600_NS6detail15normal_iteratorINS9_10device_ptrIyEEEEPS5_jNS1_19radix_merge_compareILb0ELb1EyNS0_19identity_decomposerEEEEE10hipError_tT0_T1_T2_jT3_P12ihipStream_tbPNSt15iterator_traitsISK_E10value_typeEPNSQ_ISL_E10value_typeEPSM_NS1_7vsmem_tEENKUlT_SK_SL_SM_E_clISE_PySF_SF_EESJ_SZ_SK_SL_SM_EUlSZ_E1_NS1_11comp_targetILNS1_3genE8ELNS1_11target_archE1030ELNS1_3gpuE2ELNS1_3repE0EEENS1_36merge_oddeven_config_static_selectorELNS0_4arch9wavefront6targetE1EEEvSL_: ; @_ZN7rocprim17ROCPRIM_400000_NS6detail17trampoline_kernelINS0_14default_configENS1_38merge_sort_block_merge_config_selectorIyNS0_10empty_typeEEEZZNS1_27merge_sort_block_merge_implIS3_N6thrust23THRUST_200600_302600_NS6detail15normal_iteratorINS9_10device_ptrIyEEEEPS5_jNS1_19radix_merge_compareILb0ELb1EyNS0_19identity_decomposerEEEEE10hipError_tT0_T1_T2_jT3_P12ihipStream_tbPNSt15iterator_traitsISK_E10value_typeEPNSQ_ISL_E10value_typeEPSM_NS1_7vsmem_tEENKUlT_SK_SL_SM_E_clISE_PySF_SF_EESJ_SZ_SK_SL_SM_EUlSZ_E1_NS1_11comp_targetILNS1_3genE8ELNS1_11target_archE1030ELNS1_3gpuE2ELNS1_3repE0EEENS1_36merge_oddeven_config_static_selectorELNS0_4arch9wavefront6targetE1EEEvSL_
; %bb.0:
	.section	.rodata,"a",@progbits
	.p2align	6, 0x0
	.amdhsa_kernel _ZN7rocprim17ROCPRIM_400000_NS6detail17trampoline_kernelINS0_14default_configENS1_38merge_sort_block_merge_config_selectorIyNS0_10empty_typeEEEZZNS1_27merge_sort_block_merge_implIS3_N6thrust23THRUST_200600_302600_NS6detail15normal_iteratorINS9_10device_ptrIyEEEEPS5_jNS1_19radix_merge_compareILb0ELb1EyNS0_19identity_decomposerEEEEE10hipError_tT0_T1_T2_jT3_P12ihipStream_tbPNSt15iterator_traitsISK_E10value_typeEPNSQ_ISL_E10value_typeEPSM_NS1_7vsmem_tEENKUlT_SK_SL_SM_E_clISE_PySF_SF_EESJ_SZ_SK_SL_SM_EUlSZ_E1_NS1_11comp_targetILNS1_3genE8ELNS1_11target_archE1030ELNS1_3gpuE2ELNS1_3repE0EEENS1_36merge_oddeven_config_static_selectorELNS0_4arch9wavefront6targetE1EEEvSL_
		.amdhsa_group_segment_fixed_size 0
		.amdhsa_private_segment_fixed_size 0
		.amdhsa_kernarg_size 48
		.amdhsa_user_sgpr_count 2
		.amdhsa_user_sgpr_dispatch_ptr 0
		.amdhsa_user_sgpr_queue_ptr 0
		.amdhsa_user_sgpr_kernarg_segment_ptr 1
		.amdhsa_user_sgpr_dispatch_id 0
		.amdhsa_user_sgpr_kernarg_preload_length 0
		.amdhsa_user_sgpr_kernarg_preload_offset 0
		.amdhsa_user_sgpr_private_segment_size 0
		.amdhsa_uses_dynamic_stack 0
		.amdhsa_enable_private_segment 0
		.amdhsa_system_sgpr_workgroup_id_x 1
		.amdhsa_system_sgpr_workgroup_id_y 0
		.amdhsa_system_sgpr_workgroup_id_z 0
		.amdhsa_system_sgpr_workgroup_info 0
		.amdhsa_system_vgpr_workitem_id 0
		.amdhsa_next_free_vgpr 1
		.amdhsa_next_free_sgpr 0
		.amdhsa_accum_offset 4
		.amdhsa_reserve_vcc 0
		.amdhsa_float_round_mode_32 0
		.amdhsa_float_round_mode_16_64 0
		.amdhsa_float_denorm_mode_32 3
		.amdhsa_float_denorm_mode_16_64 3
		.amdhsa_dx10_clamp 1
		.amdhsa_ieee_mode 1
		.amdhsa_fp16_overflow 0
		.amdhsa_tg_split 0
		.amdhsa_exception_fp_ieee_invalid_op 0
		.amdhsa_exception_fp_denorm_src 0
		.amdhsa_exception_fp_ieee_div_zero 0
		.amdhsa_exception_fp_ieee_overflow 0
		.amdhsa_exception_fp_ieee_underflow 0
		.amdhsa_exception_fp_ieee_inexact 0
		.amdhsa_exception_int_div_zero 0
	.end_amdhsa_kernel
	.section	.text._ZN7rocprim17ROCPRIM_400000_NS6detail17trampoline_kernelINS0_14default_configENS1_38merge_sort_block_merge_config_selectorIyNS0_10empty_typeEEEZZNS1_27merge_sort_block_merge_implIS3_N6thrust23THRUST_200600_302600_NS6detail15normal_iteratorINS9_10device_ptrIyEEEEPS5_jNS1_19radix_merge_compareILb0ELb1EyNS0_19identity_decomposerEEEEE10hipError_tT0_T1_T2_jT3_P12ihipStream_tbPNSt15iterator_traitsISK_E10value_typeEPNSQ_ISL_E10value_typeEPSM_NS1_7vsmem_tEENKUlT_SK_SL_SM_E_clISE_PySF_SF_EESJ_SZ_SK_SL_SM_EUlSZ_E1_NS1_11comp_targetILNS1_3genE8ELNS1_11target_archE1030ELNS1_3gpuE2ELNS1_3repE0EEENS1_36merge_oddeven_config_static_selectorELNS0_4arch9wavefront6targetE1EEEvSL_,"axG",@progbits,_ZN7rocprim17ROCPRIM_400000_NS6detail17trampoline_kernelINS0_14default_configENS1_38merge_sort_block_merge_config_selectorIyNS0_10empty_typeEEEZZNS1_27merge_sort_block_merge_implIS3_N6thrust23THRUST_200600_302600_NS6detail15normal_iteratorINS9_10device_ptrIyEEEEPS5_jNS1_19radix_merge_compareILb0ELb1EyNS0_19identity_decomposerEEEEE10hipError_tT0_T1_T2_jT3_P12ihipStream_tbPNSt15iterator_traitsISK_E10value_typeEPNSQ_ISL_E10value_typeEPSM_NS1_7vsmem_tEENKUlT_SK_SL_SM_E_clISE_PySF_SF_EESJ_SZ_SK_SL_SM_EUlSZ_E1_NS1_11comp_targetILNS1_3genE8ELNS1_11target_archE1030ELNS1_3gpuE2ELNS1_3repE0EEENS1_36merge_oddeven_config_static_selectorELNS0_4arch9wavefront6targetE1EEEvSL_,comdat
.Lfunc_end836:
	.size	_ZN7rocprim17ROCPRIM_400000_NS6detail17trampoline_kernelINS0_14default_configENS1_38merge_sort_block_merge_config_selectorIyNS0_10empty_typeEEEZZNS1_27merge_sort_block_merge_implIS3_N6thrust23THRUST_200600_302600_NS6detail15normal_iteratorINS9_10device_ptrIyEEEEPS5_jNS1_19radix_merge_compareILb0ELb1EyNS0_19identity_decomposerEEEEE10hipError_tT0_T1_T2_jT3_P12ihipStream_tbPNSt15iterator_traitsISK_E10value_typeEPNSQ_ISL_E10value_typeEPSM_NS1_7vsmem_tEENKUlT_SK_SL_SM_E_clISE_PySF_SF_EESJ_SZ_SK_SL_SM_EUlSZ_E1_NS1_11comp_targetILNS1_3genE8ELNS1_11target_archE1030ELNS1_3gpuE2ELNS1_3repE0EEENS1_36merge_oddeven_config_static_selectorELNS0_4arch9wavefront6targetE1EEEvSL_, .Lfunc_end836-_ZN7rocprim17ROCPRIM_400000_NS6detail17trampoline_kernelINS0_14default_configENS1_38merge_sort_block_merge_config_selectorIyNS0_10empty_typeEEEZZNS1_27merge_sort_block_merge_implIS3_N6thrust23THRUST_200600_302600_NS6detail15normal_iteratorINS9_10device_ptrIyEEEEPS5_jNS1_19radix_merge_compareILb0ELb1EyNS0_19identity_decomposerEEEEE10hipError_tT0_T1_T2_jT3_P12ihipStream_tbPNSt15iterator_traitsISK_E10value_typeEPNSQ_ISL_E10value_typeEPSM_NS1_7vsmem_tEENKUlT_SK_SL_SM_E_clISE_PySF_SF_EESJ_SZ_SK_SL_SM_EUlSZ_E1_NS1_11comp_targetILNS1_3genE8ELNS1_11target_archE1030ELNS1_3gpuE2ELNS1_3repE0EEENS1_36merge_oddeven_config_static_selectorELNS0_4arch9wavefront6targetE1EEEvSL_
                                        ; -- End function
	.section	.AMDGPU.csdata,"",@progbits
; Kernel info:
; codeLenInByte = 0
; NumSgprs: 6
; NumVgprs: 0
; NumAgprs: 0
; TotalNumVgprs: 0
; ScratchSize: 0
; MemoryBound: 0
; FloatMode: 240
; IeeeMode: 1
; LDSByteSize: 0 bytes/workgroup (compile time only)
; SGPRBlocks: 0
; VGPRBlocks: 0
; NumSGPRsForWavesPerEU: 6
; NumVGPRsForWavesPerEU: 1
; AccumOffset: 4
; Occupancy: 8
; WaveLimiterHint : 0
; COMPUTE_PGM_RSRC2:SCRATCH_EN: 0
; COMPUTE_PGM_RSRC2:USER_SGPR: 2
; COMPUTE_PGM_RSRC2:TRAP_HANDLER: 0
; COMPUTE_PGM_RSRC2:TGID_X_EN: 1
; COMPUTE_PGM_RSRC2:TGID_Y_EN: 0
; COMPUTE_PGM_RSRC2:TGID_Z_EN: 0
; COMPUTE_PGM_RSRC2:TIDIG_COMP_CNT: 0
; COMPUTE_PGM_RSRC3_GFX90A:ACCUM_OFFSET: 0
; COMPUTE_PGM_RSRC3_GFX90A:TG_SPLIT: 0
	.section	.text._ZN7rocprim17ROCPRIM_400000_NS6detail17trampoline_kernelINS0_14default_configENS1_35radix_sort_onesweep_config_selectorIyNS0_10empty_typeEEEZNS1_34radix_sort_onesweep_global_offsetsIS3_Lb0EN6thrust23THRUST_200600_302600_NS6detail15normal_iteratorINS9_10device_ptrIyEEEEPS5_jNS0_19identity_decomposerEEE10hipError_tT1_T2_PT3_SK_jT4_jjP12ihipStream_tbEUlT_E_NS1_11comp_targetILNS1_3genE0ELNS1_11target_archE4294967295ELNS1_3gpuE0ELNS1_3repE0EEENS1_52radix_sort_onesweep_histogram_config_static_selectorELNS0_4arch9wavefront6targetE1EEEvSI_,"axG",@progbits,_ZN7rocprim17ROCPRIM_400000_NS6detail17trampoline_kernelINS0_14default_configENS1_35radix_sort_onesweep_config_selectorIyNS0_10empty_typeEEEZNS1_34radix_sort_onesweep_global_offsetsIS3_Lb0EN6thrust23THRUST_200600_302600_NS6detail15normal_iteratorINS9_10device_ptrIyEEEEPS5_jNS0_19identity_decomposerEEE10hipError_tT1_T2_PT3_SK_jT4_jjP12ihipStream_tbEUlT_E_NS1_11comp_targetILNS1_3genE0ELNS1_11target_archE4294967295ELNS1_3gpuE0ELNS1_3repE0EEENS1_52radix_sort_onesweep_histogram_config_static_selectorELNS0_4arch9wavefront6targetE1EEEvSI_,comdat
	.protected	_ZN7rocprim17ROCPRIM_400000_NS6detail17trampoline_kernelINS0_14default_configENS1_35radix_sort_onesweep_config_selectorIyNS0_10empty_typeEEEZNS1_34radix_sort_onesweep_global_offsetsIS3_Lb0EN6thrust23THRUST_200600_302600_NS6detail15normal_iteratorINS9_10device_ptrIyEEEEPS5_jNS0_19identity_decomposerEEE10hipError_tT1_T2_PT3_SK_jT4_jjP12ihipStream_tbEUlT_E_NS1_11comp_targetILNS1_3genE0ELNS1_11target_archE4294967295ELNS1_3gpuE0ELNS1_3repE0EEENS1_52radix_sort_onesweep_histogram_config_static_selectorELNS0_4arch9wavefront6targetE1EEEvSI_ ; -- Begin function _ZN7rocprim17ROCPRIM_400000_NS6detail17trampoline_kernelINS0_14default_configENS1_35radix_sort_onesweep_config_selectorIyNS0_10empty_typeEEEZNS1_34radix_sort_onesweep_global_offsetsIS3_Lb0EN6thrust23THRUST_200600_302600_NS6detail15normal_iteratorINS9_10device_ptrIyEEEEPS5_jNS0_19identity_decomposerEEE10hipError_tT1_T2_PT3_SK_jT4_jjP12ihipStream_tbEUlT_E_NS1_11comp_targetILNS1_3genE0ELNS1_11target_archE4294967295ELNS1_3gpuE0ELNS1_3repE0EEENS1_52radix_sort_onesweep_histogram_config_static_selectorELNS0_4arch9wavefront6targetE1EEEvSI_
	.globl	_ZN7rocprim17ROCPRIM_400000_NS6detail17trampoline_kernelINS0_14default_configENS1_35radix_sort_onesweep_config_selectorIyNS0_10empty_typeEEEZNS1_34radix_sort_onesweep_global_offsetsIS3_Lb0EN6thrust23THRUST_200600_302600_NS6detail15normal_iteratorINS9_10device_ptrIyEEEEPS5_jNS0_19identity_decomposerEEE10hipError_tT1_T2_PT3_SK_jT4_jjP12ihipStream_tbEUlT_E_NS1_11comp_targetILNS1_3genE0ELNS1_11target_archE4294967295ELNS1_3gpuE0ELNS1_3repE0EEENS1_52radix_sort_onesweep_histogram_config_static_selectorELNS0_4arch9wavefront6targetE1EEEvSI_
	.p2align	8
	.type	_ZN7rocprim17ROCPRIM_400000_NS6detail17trampoline_kernelINS0_14default_configENS1_35radix_sort_onesweep_config_selectorIyNS0_10empty_typeEEEZNS1_34radix_sort_onesweep_global_offsetsIS3_Lb0EN6thrust23THRUST_200600_302600_NS6detail15normal_iteratorINS9_10device_ptrIyEEEEPS5_jNS0_19identity_decomposerEEE10hipError_tT1_T2_PT3_SK_jT4_jjP12ihipStream_tbEUlT_E_NS1_11comp_targetILNS1_3genE0ELNS1_11target_archE4294967295ELNS1_3gpuE0ELNS1_3repE0EEENS1_52radix_sort_onesweep_histogram_config_static_selectorELNS0_4arch9wavefront6targetE1EEEvSI_,@function
_ZN7rocprim17ROCPRIM_400000_NS6detail17trampoline_kernelINS0_14default_configENS1_35radix_sort_onesweep_config_selectorIyNS0_10empty_typeEEEZNS1_34radix_sort_onesweep_global_offsetsIS3_Lb0EN6thrust23THRUST_200600_302600_NS6detail15normal_iteratorINS9_10device_ptrIyEEEEPS5_jNS0_19identity_decomposerEEE10hipError_tT1_T2_PT3_SK_jT4_jjP12ihipStream_tbEUlT_E_NS1_11comp_targetILNS1_3genE0ELNS1_11target_archE4294967295ELNS1_3gpuE0ELNS1_3repE0EEENS1_52radix_sort_onesweep_histogram_config_static_selectorELNS0_4arch9wavefront6targetE1EEEvSI_: ; @_ZN7rocprim17ROCPRIM_400000_NS6detail17trampoline_kernelINS0_14default_configENS1_35radix_sort_onesweep_config_selectorIyNS0_10empty_typeEEEZNS1_34radix_sort_onesweep_global_offsetsIS3_Lb0EN6thrust23THRUST_200600_302600_NS6detail15normal_iteratorINS9_10device_ptrIyEEEEPS5_jNS0_19identity_decomposerEEE10hipError_tT1_T2_PT3_SK_jT4_jjP12ihipStream_tbEUlT_E_NS1_11comp_targetILNS1_3genE0ELNS1_11target_archE4294967295ELNS1_3gpuE0ELNS1_3repE0EEENS1_52radix_sort_onesweep_histogram_config_static_selectorELNS0_4arch9wavefront6targetE1EEEvSI_
; %bb.0:
	.section	.rodata,"a",@progbits
	.p2align	6, 0x0
	.amdhsa_kernel _ZN7rocprim17ROCPRIM_400000_NS6detail17trampoline_kernelINS0_14default_configENS1_35radix_sort_onesweep_config_selectorIyNS0_10empty_typeEEEZNS1_34radix_sort_onesweep_global_offsetsIS3_Lb0EN6thrust23THRUST_200600_302600_NS6detail15normal_iteratorINS9_10device_ptrIyEEEEPS5_jNS0_19identity_decomposerEEE10hipError_tT1_T2_PT3_SK_jT4_jjP12ihipStream_tbEUlT_E_NS1_11comp_targetILNS1_3genE0ELNS1_11target_archE4294967295ELNS1_3gpuE0ELNS1_3repE0EEENS1_52radix_sort_onesweep_histogram_config_static_selectorELNS0_4arch9wavefront6targetE1EEEvSI_
		.amdhsa_group_segment_fixed_size 0
		.amdhsa_private_segment_fixed_size 0
		.amdhsa_kernarg_size 40
		.amdhsa_user_sgpr_count 2
		.amdhsa_user_sgpr_dispatch_ptr 0
		.amdhsa_user_sgpr_queue_ptr 0
		.amdhsa_user_sgpr_kernarg_segment_ptr 1
		.amdhsa_user_sgpr_dispatch_id 0
		.amdhsa_user_sgpr_kernarg_preload_length 0
		.amdhsa_user_sgpr_kernarg_preload_offset 0
		.amdhsa_user_sgpr_private_segment_size 0
		.amdhsa_uses_dynamic_stack 0
		.amdhsa_enable_private_segment 0
		.amdhsa_system_sgpr_workgroup_id_x 1
		.amdhsa_system_sgpr_workgroup_id_y 0
		.amdhsa_system_sgpr_workgroup_id_z 0
		.amdhsa_system_sgpr_workgroup_info 0
		.amdhsa_system_vgpr_workitem_id 0
		.amdhsa_next_free_vgpr 1
		.amdhsa_next_free_sgpr 0
		.amdhsa_accum_offset 4
		.amdhsa_reserve_vcc 0
		.amdhsa_float_round_mode_32 0
		.amdhsa_float_round_mode_16_64 0
		.amdhsa_float_denorm_mode_32 3
		.amdhsa_float_denorm_mode_16_64 3
		.amdhsa_dx10_clamp 1
		.amdhsa_ieee_mode 1
		.amdhsa_fp16_overflow 0
		.amdhsa_tg_split 0
		.amdhsa_exception_fp_ieee_invalid_op 0
		.amdhsa_exception_fp_denorm_src 0
		.amdhsa_exception_fp_ieee_div_zero 0
		.amdhsa_exception_fp_ieee_overflow 0
		.amdhsa_exception_fp_ieee_underflow 0
		.amdhsa_exception_fp_ieee_inexact 0
		.amdhsa_exception_int_div_zero 0
	.end_amdhsa_kernel
	.section	.text._ZN7rocprim17ROCPRIM_400000_NS6detail17trampoline_kernelINS0_14default_configENS1_35radix_sort_onesweep_config_selectorIyNS0_10empty_typeEEEZNS1_34radix_sort_onesweep_global_offsetsIS3_Lb0EN6thrust23THRUST_200600_302600_NS6detail15normal_iteratorINS9_10device_ptrIyEEEEPS5_jNS0_19identity_decomposerEEE10hipError_tT1_T2_PT3_SK_jT4_jjP12ihipStream_tbEUlT_E_NS1_11comp_targetILNS1_3genE0ELNS1_11target_archE4294967295ELNS1_3gpuE0ELNS1_3repE0EEENS1_52radix_sort_onesweep_histogram_config_static_selectorELNS0_4arch9wavefront6targetE1EEEvSI_,"axG",@progbits,_ZN7rocprim17ROCPRIM_400000_NS6detail17trampoline_kernelINS0_14default_configENS1_35radix_sort_onesweep_config_selectorIyNS0_10empty_typeEEEZNS1_34radix_sort_onesweep_global_offsetsIS3_Lb0EN6thrust23THRUST_200600_302600_NS6detail15normal_iteratorINS9_10device_ptrIyEEEEPS5_jNS0_19identity_decomposerEEE10hipError_tT1_T2_PT3_SK_jT4_jjP12ihipStream_tbEUlT_E_NS1_11comp_targetILNS1_3genE0ELNS1_11target_archE4294967295ELNS1_3gpuE0ELNS1_3repE0EEENS1_52radix_sort_onesweep_histogram_config_static_selectorELNS0_4arch9wavefront6targetE1EEEvSI_,comdat
.Lfunc_end837:
	.size	_ZN7rocprim17ROCPRIM_400000_NS6detail17trampoline_kernelINS0_14default_configENS1_35radix_sort_onesweep_config_selectorIyNS0_10empty_typeEEEZNS1_34radix_sort_onesweep_global_offsetsIS3_Lb0EN6thrust23THRUST_200600_302600_NS6detail15normal_iteratorINS9_10device_ptrIyEEEEPS5_jNS0_19identity_decomposerEEE10hipError_tT1_T2_PT3_SK_jT4_jjP12ihipStream_tbEUlT_E_NS1_11comp_targetILNS1_3genE0ELNS1_11target_archE4294967295ELNS1_3gpuE0ELNS1_3repE0EEENS1_52radix_sort_onesweep_histogram_config_static_selectorELNS0_4arch9wavefront6targetE1EEEvSI_, .Lfunc_end837-_ZN7rocprim17ROCPRIM_400000_NS6detail17trampoline_kernelINS0_14default_configENS1_35radix_sort_onesweep_config_selectorIyNS0_10empty_typeEEEZNS1_34radix_sort_onesweep_global_offsetsIS3_Lb0EN6thrust23THRUST_200600_302600_NS6detail15normal_iteratorINS9_10device_ptrIyEEEEPS5_jNS0_19identity_decomposerEEE10hipError_tT1_T2_PT3_SK_jT4_jjP12ihipStream_tbEUlT_E_NS1_11comp_targetILNS1_3genE0ELNS1_11target_archE4294967295ELNS1_3gpuE0ELNS1_3repE0EEENS1_52radix_sort_onesweep_histogram_config_static_selectorELNS0_4arch9wavefront6targetE1EEEvSI_
                                        ; -- End function
	.section	.AMDGPU.csdata,"",@progbits
; Kernel info:
; codeLenInByte = 0
; NumSgprs: 6
; NumVgprs: 0
; NumAgprs: 0
; TotalNumVgprs: 0
; ScratchSize: 0
; MemoryBound: 0
; FloatMode: 240
; IeeeMode: 1
; LDSByteSize: 0 bytes/workgroup (compile time only)
; SGPRBlocks: 0
; VGPRBlocks: 0
; NumSGPRsForWavesPerEU: 6
; NumVGPRsForWavesPerEU: 1
; AccumOffset: 4
; Occupancy: 8
; WaveLimiterHint : 0
; COMPUTE_PGM_RSRC2:SCRATCH_EN: 0
; COMPUTE_PGM_RSRC2:USER_SGPR: 2
; COMPUTE_PGM_RSRC2:TRAP_HANDLER: 0
; COMPUTE_PGM_RSRC2:TGID_X_EN: 1
; COMPUTE_PGM_RSRC2:TGID_Y_EN: 0
; COMPUTE_PGM_RSRC2:TGID_Z_EN: 0
; COMPUTE_PGM_RSRC2:TIDIG_COMP_CNT: 0
; COMPUTE_PGM_RSRC3_GFX90A:ACCUM_OFFSET: 0
; COMPUTE_PGM_RSRC3_GFX90A:TG_SPLIT: 0
	.section	.text._ZN7rocprim17ROCPRIM_400000_NS6detail17trampoline_kernelINS0_14default_configENS1_35radix_sort_onesweep_config_selectorIyNS0_10empty_typeEEEZNS1_34radix_sort_onesweep_global_offsetsIS3_Lb0EN6thrust23THRUST_200600_302600_NS6detail15normal_iteratorINS9_10device_ptrIyEEEEPS5_jNS0_19identity_decomposerEEE10hipError_tT1_T2_PT3_SK_jT4_jjP12ihipStream_tbEUlT_E_NS1_11comp_targetILNS1_3genE6ELNS1_11target_archE950ELNS1_3gpuE13ELNS1_3repE0EEENS1_52radix_sort_onesweep_histogram_config_static_selectorELNS0_4arch9wavefront6targetE1EEEvSI_,"axG",@progbits,_ZN7rocprim17ROCPRIM_400000_NS6detail17trampoline_kernelINS0_14default_configENS1_35radix_sort_onesweep_config_selectorIyNS0_10empty_typeEEEZNS1_34radix_sort_onesweep_global_offsetsIS3_Lb0EN6thrust23THRUST_200600_302600_NS6detail15normal_iteratorINS9_10device_ptrIyEEEEPS5_jNS0_19identity_decomposerEEE10hipError_tT1_T2_PT3_SK_jT4_jjP12ihipStream_tbEUlT_E_NS1_11comp_targetILNS1_3genE6ELNS1_11target_archE950ELNS1_3gpuE13ELNS1_3repE0EEENS1_52radix_sort_onesweep_histogram_config_static_selectorELNS0_4arch9wavefront6targetE1EEEvSI_,comdat
	.protected	_ZN7rocprim17ROCPRIM_400000_NS6detail17trampoline_kernelINS0_14default_configENS1_35radix_sort_onesweep_config_selectorIyNS0_10empty_typeEEEZNS1_34radix_sort_onesweep_global_offsetsIS3_Lb0EN6thrust23THRUST_200600_302600_NS6detail15normal_iteratorINS9_10device_ptrIyEEEEPS5_jNS0_19identity_decomposerEEE10hipError_tT1_T2_PT3_SK_jT4_jjP12ihipStream_tbEUlT_E_NS1_11comp_targetILNS1_3genE6ELNS1_11target_archE950ELNS1_3gpuE13ELNS1_3repE0EEENS1_52radix_sort_onesweep_histogram_config_static_selectorELNS0_4arch9wavefront6targetE1EEEvSI_ ; -- Begin function _ZN7rocprim17ROCPRIM_400000_NS6detail17trampoline_kernelINS0_14default_configENS1_35radix_sort_onesweep_config_selectorIyNS0_10empty_typeEEEZNS1_34radix_sort_onesweep_global_offsetsIS3_Lb0EN6thrust23THRUST_200600_302600_NS6detail15normal_iteratorINS9_10device_ptrIyEEEEPS5_jNS0_19identity_decomposerEEE10hipError_tT1_T2_PT3_SK_jT4_jjP12ihipStream_tbEUlT_E_NS1_11comp_targetILNS1_3genE6ELNS1_11target_archE950ELNS1_3gpuE13ELNS1_3repE0EEENS1_52radix_sort_onesweep_histogram_config_static_selectorELNS0_4arch9wavefront6targetE1EEEvSI_
	.globl	_ZN7rocprim17ROCPRIM_400000_NS6detail17trampoline_kernelINS0_14default_configENS1_35radix_sort_onesweep_config_selectorIyNS0_10empty_typeEEEZNS1_34radix_sort_onesweep_global_offsetsIS3_Lb0EN6thrust23THRUST_200600_302600_NS6detail15normal_iteratorINS9_10device_ptrIyEEEEPS5_jNS0_19identity_decomposerEEE10hipError_tT1_T2_PT3_SK_jT4_jjP12ihipStream_tbEUlT_E_NS1_11comp_targetILNS1_3genE6ELNS1_11target_archE950ELNS1_3gpuE13ELNS1_3repE0EEENS1_52radix_sort_onesweep_histogram_config_static_selectorELNS0_4arch9wavefront6targetE1EEEvSI_
	.p2align	8
	.type	_ZN7rocprim17ROCPRIM_400000_NS6detail17trampoline_kernelINS0_14default_configENS1_35radix_sort_onesweep_config_selectorIyNS0_10empty_typeEEEZNS1_34radix_sort_onesweep_global_offsetsIS3_Lb0EN6thrust23THRUST_200600_302600_NS6detail15normal_iteratorINS9_10device_ptrIyEEEEPS5_jNS0_19identity_decomposerEEE10hipError_tT1_T2_PT3_SK_jT4_jjP12ihipStream_tbEUlT_E_NS1_11comp_targetILNS1_3genE6ELNS1_11target_archE950ELNS1_3gpuE13ELNS1_3repE0EEENS1_52radix_sort_onesweep_histogram_config_static_selectorELNS0_4arch9wavefront6targetE1EEEvSI_,@function
_ZN7rocprim17ROCPRIM_400000_NS6detail17trampoline_kernelINS0_14default_configENS1_35radix_sort_onesweep_config_selectorIyNS0_10empty_typeEEEZNS1_34radix_sort_onesweep_global_offsetsIS3_Lb0EN6thrust23THRUST_200600_302600_NS6detail15normal_iteratorINS9_10device_ptrIyEEEEPS5_jNS0_19identity_decomposerEEE10hipError_tT1_T2_PT3_SK_jT4_jjP12ihipStream_tbEUlT_E_NS1_11comp_targetILNS1_3genE6ELNS1_11target_archE950ELNS1_3gpuE13ELNS1_3repE0EEENS1_52radix_sort_onesweep_histogram_config_static_selectorELNS0_4arch9wavefront6targetE1EEEvSI_: ; @_ZN7rocprim17ROCPRIM_400000_NS6detail17trampoline_kernelINS0_14default_configENS1_35radix_sort_onesweep_config_selectorIyNS0_10empty_typeEEEZNS1_34radix_sort_onesweep_global_offsetsIS3_Lb0EN6thrust23THRUST_200600_302600_NS6detail15normal_iteratorINS9_10device_ptrIyEEEEPS5_jNS0_19identity_decomposerEEE10hipError_tT1_T2_PT3_SK_jT4_jjP12ihipStream_tbEUlT_E_NS1_11comp_targetILNS1_3genE6ELNS1_11target_archE950ELNS1_3gpuE13ELNS1_3repE0EEENS1_52radix_sort_onesweep_histogram_config_static_selectorELNS0_4arch9wavefront6targetE1EEEvSI_
; %bb.0:
	.section	.rodata,"a",@progbits
	.p2align	6, 0x0
	.amdhsa_kernel _ZN7rocprim17ROCPRIM_400000_NS6detail17trampoline_kernelINS0_14default_configENS1_35radix_sort_onesweep_config_selectorIyNS0_10empty_typeEEEZNS1_34radix_sort_onesweep_global_offsetsIS3_Lb0EN6thrust23THRUST_200600_302600_NS6detail15normal_iteratorINS9_10device_ptrIyEEEEPS5_jNS0_19identity_decomposerEEE10hipError_tT1_T2_PT3_SK_jT4_jjP12ihipStream_tbEUlT_E_NS1_11comp_targetILNS1_3genE6ELNS1_11target_archE950ELNS1_3gpuE13ELNS1_3repE0EEENS1_52radix_sort_onesweep_histogram_config_static_selectorELNS0_4arch9wavefront6targetE1EEEvSI_
		.amdhsa_group_segment_fixed_size 0
		.amdhsa_private_segment_fixed_size 0
		.amdhsa_kernarg_size 40
		.amdhsa_user_sgpr_count 2
		.amdhsa_user_sgpr_dispatch_ptr 0
		.amdhsa_user_sgpr_queue_ptr 0
		.amdhsa_user_sgpr_kernarg_segment_ptr 1
		.amdhsa_user_sgpr_dispatch_id 0
		.amdhsa_user_sgpr_kernarg_preload_length 0
		.amdhsa_user_sgpr_kernarg_preload_offset 0
		.amdhsa_user_sgpr_private_segment_size 0
		.amdhsa_uses_dynamic_stack 0
		.amdhsa_enable_private_segment 0
		.amdhsa_system_sgpr_workgroup_id_x 1
		.amdhsa_system_sgpr_workgroup_id_y 0
		.amdhsa_system_sgpr_workgroup_id_z 0
		.amdhsa_system_sgpr_workgroup_info 0
		.amdhsa_system_vgpr_workitem_id 0
		.amdhsa_next_free_vgpr 1
		.amdhsa_next_free_sgpr 0
		.amdhsa_accum_offset 4
		.amdhsa_reserve_vcc 0
		.amdhsa_float_round_mode_32 0
		.amdhsa_float_round_mode_16_64 0
		.amdhsa_float_denorm_mode_32 3
		.amdhsa_float_denorm_mode_16_64 3
		.amdhsa_dx10_clamp 1
		.amdhsa_ieee_mode 1
		.amdhsa_fp16_overflow 0
		.amdhsa_tg_split 0
		.amdhsa_exception_fp_ieee_invalid_op 0
		.amdhsa_exception_fp_denorm_src 0
		.amdhsa_exception_fp_ieee_div_zero 0
		.amdhsa_exception_fp_ieee_overflow 0
		.amdhsa_exception_fp_ieee_underflow 0
		.amdhsa_exception_fp_ieee_inexact 0
		.amdhsa_exception_int_div_zero 0
	.end_amdhsa_kernel
	.section	.text._ZN7rocprim17ROCPRIM_400000_NS6detail17trampoline_kernelINS0_14default_configENS1_35radix_sort_onesweep_config_selectorIyNS0_10empty_typeEEEZNS1_34radix_sort_onesweep_global_offsetsIS3_Lb0EN6thrust23THRUST_200600_302600_NS6detail15normal_iteratorINS9_10device_ptrIyEEEEPS5_jNS0_19identity_decomposerEEE10hipError_tT1_T2_PT3_SK_jT4_jjP12ihipStream_tbEUlT_E_NS1_11comp_targetILNS1_3genE6ELNS1_11target_archE950ELNS1_3gpuE13ELNS1_3repE0EEENS1_52radix_sort_onesweep_histogram_config_static_selectorELNS0_4arch9wavefront6targetE1EEEvSI_,"axG",@progbits,_ZN7rocprim17ROCPRIM_400000_NS6detail17trampoline_kernelINS0_14default_configENS1_35radix_sort_onesweep_config_selectorIyNS0_10empty_typeEEEZNS1_34radix_sort_onesweep_global_offsetsIS3_Lb0EN6thrust23THRUST_200600_302600_NS6detail15normal_iteratorINS9_10device_ptrIyEEEEPS5_jNS0_19identity_decomposerEEE10hipError_tT1_T2_PT3_SK_jT4_jjP12ihipStream_tbEUlT_E_NS1_11comp_targetILNS1_3genE6ELNS1_11target_archE950ELNS1_3gpuE13ELNS1_3repE0EEENS1_52radix_sort_onesweep_histogram_config_static_selectorELNS0_4arch9wavefront6targetE1EEEvSI_,comdat
.Lfunc_end838:
	.size	_ZN7rocprim17ROCPRIM_400000_NS6detail17trampoline_kernelINS0_14default_configENS1_35radix_sort_onesweep_config_selectorIyNS0_10empty_typeEEEZNS1_34radix_sort_onesweep_global_offsetsIS3_Lb0EN6thrust23THRUST_200600_302600_NS6detail15normal_iteratorINS9_10device_ptrIyEEEEPS5_jNS0_19identity_decomposerEEE10hipError_tT1_T2_PT3_SK_jT4_jjP12ihipStream_tbEUlT_E_NS1_11comp_targetILNS1_3genE6ELNS1_11target_archE950ELNS1_3gpuE13ELNS1_3repE0EEENS1_52radix_sort_onesweep_histogram_config_static_selectorELNS0_4arch9wavefront6targetE1EEEvSI_, .Lfunc_end838-_ZN7rocprim17ROCPRIM_400000_NS6detail17trampoline_kernelINS0_14default_configENS1_35radix_sort_onesweep_config_selectorIyNS0_10empty_typeEEEZNS1_34radix_sort_onesweep_global_offsetsIS3_Lb0EN6thrust23THRUST_200600_302600_NS6detail15normal_iteratorINS9_10device_ptrIyEEEEPS5_jNS0_19identity_decomposerEEE10hipError_tT1_T2_PT3_SK_jT4_jjP12ihipStream_tbEUlT_E_NS1_11comp_targetILNS1_3genE6ELNS1_11target_archE950ELNS1_3gpuE13ELNS1_3repE0EEENS1_52radix_sort_onesweep_histogram_config_static_selectorELNS0_4arch9wavefront6targetE1EEEvSI_
                                        ; -- End function
	.section	.AMDGPU.csdata,"",@progbits
; Kernel info:
; codeLenInByte = 0
; NumSgprs: 6
; NumVgprs: 0
; NumAgprs: 0
; TotalNumVgprs: 0
; ScratchSize: 0
; MemoryBound: 0
; FloatMode: 240
; IeeeMode: 1
; LDSByteSize: 0 bytes/workgroup (compile time only)
; SGPRBlocks: 0
; VGPRBlocks: 0
; NumSGPRsForWavesPerEU: 6
; NumVGPRsForWavesPerEU: 1
; AccumOffset: 4
; Occupancy: 8
; WaveLimiterHint : 0
; COMPUTE_PGM_RSRC2:SCRATCH_EN: 0
; COMPUTE_PGM_RSRC2:USER_SGPR: 2
; COMPUTE_PGM_RSRC2:TRAP_HANDLER: 0
; COMPUTE_PGM_RSRC2:TGID_X_EN: 1
; COMPUTE_PGM_RSRC2:TGID_Y_EN: 0
; COMPUTE_PGM_RSRC2:TGID_Z_EN: 0
; COMPUTE_PGM_RSRC2:TIDIG_COMP_CNT: 0
; COMPUTE_PGM_RSRC3_GFX90A:ACCUM_OFFSET: 0
; COMPUTE_PGM_RSRC3_GFX90A:TG_SPLIT: 0
	.section	.text._ZN7rocprim17ROCPRIM_400000_NS6detail17trampoline_kernelINS0_14default_configENS1_35radix_sort_onesweep_config_selectorIyNS0_10empty_typeEEEZNS1_34radix_sort_onesweep_global_offsetsIS3_Lb0EN6thrust23THRUST_200600_302600_NS6detail15normal_iteratorINS9_10device_ptrIyEEEEPS5_jNS0_19identity_decomposerEEE10hipError_tT1_T2_PT3_SK_jT4_jjP12ihipStream_tbEUlT_E_NS1_11comp_targetILNS1_3genE5ELNS1_11target_archE942ELNS1_3gpuE9ELNS1_3repE0EEENS1_52radix_sort_onesweep_histogram_config_static_selectorELNS0_4arch9wavefront6targetE1EEEvSI_,"axG",@progbits,_ZN7rocprim17ROCPRIM_400000_NS6detail17trampoline_kernelINS0_14default_configENS1_35radix_sort_onesweep_config_selectorIyNS0_10empty_typeEEEZNS1_34radix_sort_onesweep_global_offsetsIS3_Lb0EN6thrust23THRUST_200600_302600_NS6detail15normal_iteratorINS9_10device_ptrIyEEEEPS5_jNS0_19identity_decomposerEEE10hipError_tT1_T2_PT3_SK_jT4_jjP12ihipStream_tbEUlT_E_NS1_11comp_targetILNS1_3genE5ELNS1_11target_archE942ELNS1_3gpuE9ELNS1_3repE0EEENS1_52radix_sort_onesweep_histogram_config_static_selectorELNS0_4arch9wavefront6targetE1EEEvSI_,comdat
	.protected	_ZN7rocprim17ROCPRIM_400000_NS6detail17trampoline_kernelINS0_14default_configENS1_35radix_sort_onesweep_config_selectorIyNS0_10empty_typeEEEZNS1_34radix_sort_onesweep_global_offsetsIS3_Lb0EN6thrust23THRUST_200600_302600_NS6detail15normal_iteratorINS9_10device_ptrIyEEEEPS5_jNS0_19identity_decomposerEEE10hipError_tT1_T2_PT3_SK_jT4_jjP12ihipStream_tbEUlT_E_NS1_11comp_targetILNS1_3genE5ELNS1_11target_archE942ELNS1_3gpuE9ELNS1_3repE0EEENS1_52radix_sort_onesweep_histogram_config_static_selectorELNS0_4arch9wavefront6targetE1EEEvSI_ ; -- Begin function _ZN7rocprim17ROCPRIM_400000_NS6detail17trampoline_kernelINS0_14default_configENS1_35radix_sort_onesweep_config_selectorIyNS0_10empty_typeEEEZNS1_34radix_sort_onesweep_global_offsetsIS3_Lb0EN6thrust23THRUST_200600_302600_NS6detail15normal_iteratorINS9_10device_ptrIyEEEEPS5_jNS0_19identity_decomposerEEE10hipError_tT1_T2_PT3_SK_jT4_jjP12ihipStream_tbEUlT_E_NS1_11comp_targetILNS1_3genE5ELNS1_11target_archE942ELNS1_3gpuE9ELNS1_3repE0EEENS1_52radix_sort_onesweep_histogram_config_static_selectorELNS0_4arch9wavefront6targetE1EEEvSI_
	.globl	_ZN7rocprim17ROCPRIM_400000_NS6detail17trampoline_kernelINS0_14default_configENS1_35radix_sort_onesweep_config_selectorIyNS0_10empty_typeEEEZNS1_34radix_sort_onesweep_global_offsetsIS3_Lb0EN6thrust23THRUST_200600_302600_NS6detail15normal_iteratorINS9_10device_ptrIyEEEEPS5_jNS0_19identity_decomposerEEE10hipError_tT1_T2_PT3_SK_jT4_jjP12ihipStream_tbEUlT_E_NS1_11comp_targetILNS1_3genE5ELNS1_11target_archE942ELNS1_3gpuE9ELNS1_3repE0EEENS1_52radix_sort_onesweep_histogram_config_static_selectorELNS0_4arch9wavefront6targetE1EEEvSI_
	.p2align	8
	.type	_ZN7rocprim17ROCPRIM_400000_NS6detail17trampoline_kernelINS0_14default_configENS1_35radix_sort_onesweep_config_selectorIyNS0_10empty_typeEEEZNS1_34radix_sort_onesweep_global_offsetsIS3_Lb0EN6thrust23THRUST_200600_302600_NS6detail15normal_iteratorINS9_10device_ptrIyEEEEPS5_jNS0_19identity_decomposerEEE10hipError_tT1_T2_PT3_SK_jT4_jjP12ihipStream_tbEUlT_E_NS1_11comp_targetILNS1_3genE5ELNS1_11target_archE942ELNS1_3gpuE9ELNS1_3repE0EEENS1_52radix_sort_onesweep_histogram_config_static_selectorELNS0_4arch9wavefront6targetE1EEEvSI_,@function
_ZN7rocprim17ROCPRIM_400000_NS6detail17trampoline_kernelINS0_14default_configENS1_35radix_sort_onesweep_config_selectorIyNS0_10empty_typeEEEZNS1_34radix_sort_onesweep_global_offsetsIS3_Lb0EN6thrust23THRUST_200600_302600_NS6detail15normal_iteratorINS9_10device_ptrIyEEEEPS5_jNS0_19identity_decomposerEEE10hipError_tT1_T2_PT3_SK_jT4_jjP12ihipStream_tbEUlT_E_NS1_11comp_targetILNS1_3genE5ELNS1_11target_archE942ELNS1_3gpuE9ELNS1_3repE0EEENS1_52radix_sort_onesweep_histogram_config_static_selectorELNS0_4arch9wavefront6targetE1EEEvSI_: ; @_ZN7rocprim17ROCPRIM_400000_NS6detail17trampoline_kernelINS0_14default_configENS1_35radix_sort_onesweep_config_selectorIyNS0_10empty_typeEEEZNS1_34radix_sort_onesweep_global_offsetsIS3_Lb0EN6thrust23THRUST_200600_302600_NS6detail15normal_iteratorINS9_10device_ptrIyEEEEPS5_jNS0_19identity_decomposerEEE10hipError_tT1_T2_PT3_SK_jT4_jjP12ihipStream_tbEUlT_E_NS1_11comp_targetILNS1_3genE5ELNS1_11target_archE942ELNS1_3gpuE9ELNS1_3repE0EEENS1_52radix_sort_onesweep_histogram_config_static_selectorELNS0_4arch9wavefront6targetE1EEEvSI_
; %bb.0:
	s_load_dword s11, s[0:1], 0x14
	s_load_dwordx4 s[4:7], s[0:1], 0x0
	s_load_dwordx2 s[8:9], s[0:1], 0x1c
	s_mul_i32 s10, s2, 0x1800
	s_waitcnt lgkmcnt(0)
	s_cmp_ge_u32 s2, s11
	s_mov_b64 s[2:3], -1
	s_cbranch_scc0 .LBB839_477
; %bb.1:
	s_load_dword s2, s[0:1], 0x10
	s_mul_i32 s3, s11, 0xffffe800
	s_mov_b32 s11, 0
	s_lshl_b64 s[0:1], s[10:11], 3
                                        ; implicit-def: $vgpr24_vgpr25
	s_waitcnt lgkmcnt(0)
	s_add_i32 s11, s2, s3
	s_add_u32 s0, s4, s0
	s_addc_u32 s1, s5, s1
	v_cmp_gt_u32_e32 vcc, s11, v0
	s_and_saveexec_b64 s[2:3], vcc
	s_cbranch_execz .LBB839_3
; %bb.2:
	v_lshlrev_b32_e32 v1, 3, v0
	global_load_dwordx2 v[24:25], v1, s[0:1]
.LBB839_3:
	s_or_b64 exec, exec, s[2:3]
	v_or_b32_e32 v36, 0x200, v0
	v_cmp_gt_u32_e32 vcc, s11, v36
                                        ; implicit-def: $vgpr22_vgpr23
	s_and_saveexec_b64 s[2:3], vcc
	s_cbranch_execz .LBB839_5
; %bb.4:
	v_lshlrev_b32_e32 v1, 3, v36
	global_load_dwordx2 v[22:23], v1, s[0:1]
.LBB839_5:
	s_or_b64 exec, exec, s[2:3]
	v_or_b32_e32 v35, 0x400, v0
	v_cmp_gt_u32_e32 vcc, s11, v35
                                        ; implicit-def: $vgpr20_vgpr21
	s_and_saveexec_b64 s[2:3], vcc
	s_cbranch_execz .LBB839_7
; %bb.6:
	v_lshlrev_b32_e32 v1, 3, v35
	global_load_dwordx2 v[20:21], v1, s[0:1]
.LBB839_7:
	s_or_b64 exec, exec, s[2:3]
	v_or_b32_e32 v34, 0x600, v0
	v_cmp_gt_u32_e32 vcc, s11, v34
                                        ; implicit-def: $vgpr18_vgpr19
	s_and_saveexec_b64 s[2:3], vcc
	s_cbranch_execz .LBB839_9
; %bb.8:
	v_lshlrev_b32_e32 v1, 3, v34
	global_load_dwordx2 v[18:19], v1, s[0:1]
.LBB839_9:
	s_or_b64 exec, exec, s[2:3]
	v_or_b32_e32 v33, 0x800, v0
	v_cmp_gt_u32_e32 vcc, s11, v33
                                        ; implicit-def: $vgpr16_vgpr17
	s_and_saveexec_b64 s[2:3], vcc
	s_cbranch_execz .LBB839_11
; %bb.10:
	v_lshlrev_b32_e32 v1, 3, v33
	global_load_dwordx2 v[16:17], v1, s[0:1]
.LBB839_11:
	s_or_b64 exec, exec, s[2:3]
	v_or_b32_e32 v32, 0xa00, v0
	v_cmp_gt_u32_e32 vcc, s11, v32
                                        ; implicit-def: $vgpr14_vgpr15
	s_and_saveexec_b64 s[2:3], vcc
	s_cbranch_execz .LBB839_13
; %bb.12:
	v_lshlrev_b32_e32 v1, 3, v32
	global_load_dwordx2 v[14:15], v1, s[0:1]
.LBB839_13:
	s_or_b64 exec, exec, s[2:3]
	v_or_b32_e32 v31, 0xc00, v0
	v_cmp_gt_u32_e32 vcc, s11, v31
                                        ; implicit-def: $vgpr12_vgpr13
	s_and_saveexec_b64 s[2:3], vcc
	s_cbranch_execz .LBB839_15
; %bb.14:
	v_lshlrev_b32_e32 v1, 3, v31
	global_load_dwordx2 v[12:13], v1, s[0:1]
.LBB839_15:
	s_or_b64 exec, exec, s[2:3]
	v_or_b32_e32 v30, 0xe00, v0
	v_cmp_gt_u32_e32 vcc, s11, v30
                                        ; implicit-def: $vgpr10_vgpr11
	s_and_saveexec_b64 s[2:3], vcc
	s_cbranch_execz .LBB839_17
; %bb.16:
	v_lshlrev_b32_e32 v1, 3, v30
	global_load_dwordx2 v[10:11], v1, s[0:1]
.LBB839_17:
	s_or_b64 exec, exec, s[2:3]
	v_or_b32_e32 v29, 0x1000, v0
	v_cmp_gt_u32_e32 vcc, s11, v29
                                        ; implicit-def: $vgpr8_vgpr9
	s_and_saveexec_b64 s[2:3], vcc
	s_cbranch_execz .LBB839_19
; %bb.18:
	v_lshlrev_b32_e32 v1, 3, v29
	global_load_dwordx2 v[8:9], v1, s[0:1]
.LBB839_19:
	s_or_b64 exec, exec, s[2:3]
	v_or_b32_e32 v28, 0x1200, v0
	v_cmp_gt_u32_e32 vcc, s11, v28
                                        ; implicit-def: $vgpr6_vgpr7
	s_and_saveexec_b64 s[2:3], vcc
	s_cbranch_execz .LBB839_21
; %bb.20:
	v_lshlrev_b32_e32 v1, 3, v28
	global_load_dwordx2 v[6:7], v1, s[0:1]
.LBB839_21:
	s_or_b64 exec, exec, s[2:3]
	v_or_b32_e32 v27, 0x1400, v0
	v_cmp_gt_u32_e32 vcc, s11, v27
                                        ; implicit-def: $vgpr4_vgpr5
	s_and_saveexec_b64 s[2:3], vcc
	s_cbranch_execz .LBB839_23
; %bb.22:
	v_lshlrev_b32_e32 v1, 3, v27
	global_load_dwordx2 v[4:5], v1, s[0:1]
.LBB839_23:
	s_or_b64 exec, exec, s[2:3]
	v_or_b32_e32 v26, 0x1600, v0
	v_cmp_gt_u32_e32 vcc, s11, v26
                                        ; implicit-def: $vgpr2_vgpr3
	s_and_saveexec_b64 s[2:3], vcc
	s_cbranch_execz .LBB839_25
; %bb.24:
	v_lshlrev_b32_e32 v1, 3, v26
	global_load_dwordx2 v[2:3], v1, s[0:1]
.LBB839_25:
	s_or_b64 exec, exec, s[2:3]
	v_or_b32_e32 v1, 0xfffffe00, v0
	v_lshlrev_b32_e32 v37, 2, v0
	s_mov_b64 s[0:1], 0
	v_mov_b32_e32 v38, 0
	s_movk_i32 s2, 0x1dff
.LBB839_26:                             ; =>This Inner Loop Header: Depth=1
	v_add_u32_e32 v1, 0x200, v1
	v_cmp_lt_u32_e32 vcc, s2, v1
	ds_write_b32 v37, v38
	s_or_b64 s[0:1], vcc, s[0:1]
	v_add_u32_e32 v37, 0x800, v37
	s_andn2_b64 exec, exec, s[0:1]
	s_cbranch_execnz .LBB839_26
; %bb.27:
	s_or_b64 exec, exec, s[0:1]
	s_cmp_ge_u32 s8, s9
	s_cselect_b64 s[2:3], -1, 0
	v_cmp_le_u32_e32 vcc, s11, v0
	s_and_b64 s[0:1], s[2:3], exec
	s_cselect_b32 s18, 8, 10
	s_or_b64 s[0:1], s[2:3], vcc
	v_and_b32_e32 v1, 3, v0
	s_xor_b64 s[12:13], s[0:1], -1
	v_mov_b32_e32 v37, s18
	s_waitcnt lgkmcnt(0)
	s_barrier
	s_and_saveexec_b64 s[0:1], s[12:13]
	s_cbranch_execz .LBB839_29
; %bb.28:
	s_sub_i32 s12, s9, s8
	s_min_u32 s12, s12, 8
	s_waitcnt vmcnt(0)
	v_lshrrev_b64 v[38:39], s8, v[24:25]
	v_bfe_u32 v37, v38, 0, s12
	v_lshlrev_b32_e32 v38, 2, v1
	v_lshl_or_b32 v37, v37, 4, v38
	v_mov_b32_e32 v38, 1
	ds_add_u32 v37, v38
	v_mov_b32_e32 v37, 0
.LBB839_29:
	s_or_b64 exec, exec, s[0:1]
	v_cmp_gt_i32_e64 s[0:1], 10, v37
	s_mov_b64 s[14:15], -1
	s_and_saveexec_b64 s[12:13], s[0:1]
; %bb.30:
	v_cmp_eq_u32_e64 s[0:1], 0, v37
	s_orn2_b64 s[14:15], s[0:1], exec
; %bb.31:
	s_or_b64 exec, exec, s[12:13]
	s_and_saveexec_b64 s[12:13], s[14:15]
	s_cbranch_execz .LBB839_64
; %bb.32:
	s_add_i32 s14, s8, 8
	s_cmp_le_u32 s9, s14
	s_cselect_b64 s[0:1], -1, 0
	s_and_b64 s[16:17], s[0:1], exec
	s_cselect_b32 s15, 8, 10
	s_or_b64 s[0:1], s[0:1], vcc
	s_xor_b64 s[16:17], s[0:1], -1
	v_mov_b32_e32 v37, s15
	s_and_saveexec_b64 s[0:1], s[16:17]
	s_cbranch_execz .LBB839_34
; %bb.33:
	s_sub_i32 s15, s9, s14
	s_min_u32 s15, s15, 8
	s_waitcnt vmcnt(0)
	v_lshrrev_b64 v[38:39], s14, v[24:25]
	v_bfe_u32 v37, v38, 0, s15
	v_lshlrev_b32_e32 v38, 2, v1
	v_lshl_or_b32 v37, v37, 4, v38
	v_mov_b32_e32 v38, 1
	ds_add_u32 v37, v38 offset:4096
	v_mov_b32_e32 v37, 0
.LBB839_34:
	s_or_b64 exec, exec, s[0:1]
	v_cmp_gt_i32_e64 s[0:1], 10, v37
	s_mov_b64 s[14:15], -1
	s_and_saveexec_b64 s[16:17], s[0:1]
; %bb.35:
	v_cmp_eq_u32_e64 s[0:1], 0, v37
	s_orn2_b64 s[14:15], s[0:1], exec
; %bb.36:
	s_or_b64 exec, exec, s[16:17]
	s_and_b64 exec, exec, s[14:15]
	s_cbranch_execz .LBB839_64
; %bb.37:
	s_add_i32 s14, s8, 16
	s_cmp_le_u32 s9, s14
	s_cselect_b64 s[0:1], -1, 0
	s_and_b64 s[16:17], s[0:1], exec
	s_cselect_b32 s15, 8, 10
	s_or_b64 s[0:1], s[0:1], vcc
	s_xor_b64 s[16:17], s[0:1], -1
	v_mov_b32_e32 v37, s15
	s_and_saveexec_b64 s[0:1], s[16:17]
	s_cbranch_execz .LBB839_39
; %bb.38:
	s_sub_i32 s15, s9, s14
	s_min_u32 s15, s15, 8
	s_waitcnt vmcnt(0)
	v_lshrrev_b64 v[38:39], s14, v[24:25]
	v_bfe_u32 v37, v38, 0, s15
	v_lshlrev_b32_e32 v38, 2, v1
	v_lshl_or_b32 v37, v37, 4, v38
	v_mov_b32_e32 v38, 1
	ds_add_u32 v37, v38 offset:8192
	v_mov_b32_e32 v37, 0
.LBB839_39:
	s_or_b64 exec, exec, s[0:1]
	v_cmp_gt_i32_e64 s[0:1], 10, v37
	s_mov_b64 s[14:15], -1
	s_and_saveexec_b64 s[16:17], s[0:1]
; %bb.40:
	v_cmp_eq_u32_e64 s[0:1], 0, v37
	s_orn2_b64 s[14:15], s[0:1], exec
; %bb.41:
	s_or_b64 exec, exec, s[16:17]
	s_and_b64 exec, exec, s[14:15]
	;; [unrolled: 34-line block ×6, first 2 shown]
	s_cbranch_execz .LBB839_64
; %bb.62:
	s_add_i32 s0, s8, 56
	s_cmp_gt_u32 s9, s0
	s_cselect_b64 s[14:15], -1, 0
	s_xor_b64 s[16:17], vcc, -1
	s_and_b64 s[14:15], s[14:15], s[16:17]
	s_and_b64 exec, exec, s[14:15]
	s_cbranch_execz .LBB839_64
; %bb.63:
	s_sub_i32 s1, s9, s0
	s_min_u32 s1, s1, 8
	s_waitcnt vmcnt(0)
	v_lshrrev_b64 v[24:25], s0, v[24:25]
	v_bfe_u32 v24, v24, 0, s1
	v_lshlrev_b32_e32 v25, 2, v1
	v_lshl_or_b32 v24, v24, 4, v25
	v_mov_b32_e32 v25, 1
	ds_add_u32 v24, v25 offset:28672
.LBB839_64:
	s_or_b64 exec, exec, s[12:13]
	v_cmp_le_u32_e32 vcc, s11, v36
	s_or_b64 s[0:1], s[2:3], vcc
	s_xor_b64 s[12:13], s[0:1], -1
	s_waitcnt vmcnt(0)
	v_mov_b32_e32 v24, s18
	s_and_saveexec_b64 s[0:1], s[12:13]
	s_cbranch_execz .LBB839_66
; %bb.65:
	s_sub_i32 s12, s9, s8
	s_min_u32 s12, s12, 8
	v_lshrrev_b64 v[24:25], s8, v[22:23]
	v_bfe_u32 v24, v24, 0, s12
	v_lshlrev_b32_e32 v25, 2, v1
	v_lshl_or_b32 v24, v24, 4, v25
	v_mov_b32_e32 v25, 1
	ds_add_u32 v24, v25
	v_mov_b32_e32 v24, 0
.LBB839_66:
	s_or_b64 exec, exec, s[0:1]
	v_cmp_gt_i32_e64 s[0:1], 10, v24
	s_mov_b64 s[14:15], -1
	s_and_saveexec_b64 s[12:13], s[0:1]
; %bb.67:
	v_cmp_eq_u32_e64 s[0:1], 0, v24
	s_orn2_b64 s[14:15], s[0:1], exec
; %bb.68:
	s_or_b64 exec, exec, s[12:13]
	s_and_saveexec_b64 s[12:13], s[14:15]
	s_cbranch_execz .LBB839_101
; %bb.69:
	s_add_i32 s14, s8, 8
	s_cmp_le_u32 s9, s14
	s_cselect_b64 s[0:1], -1, 0
	s_and_b64 s[16:17], s[0:1], exec
	s_cselect_b32 s15, 8, 10
	s_or_b64 s[0:1], s[0:1], vcc
	s_xor_b64 s[16:17], s[0:1], -1
	v_mov_b32_e32 v24, s15
	s_and_saveexec_b64 s[0:1], s[16:17]
	s_cbranch_execz .LBB839_71
; %bb.70:
	s_sub_i32 s15, s9, s14
	s_min_u32 s15, s15, 8
	v_lshrrev_b64 v[24:25], s14, v[22:23]
	v_bfe_u32 v24, v24, 0, s15
	v_lshlrev_b32_e32 v25, 2, v1
	v_lshl_or_b32 v24, v24, 4, v25
	v_mov_b32_e32 v25, 1
	ds_add_u32 v24, v25 offset:4096
	v_mov_b32_e32 v24, 0
.LBB839_71:
	s_or_b64 exec, exec, s[0:1]
	v_cmp_gt_i32_e64 s[0:1], 10, v24
	s_mov_b64 s[14:15], -1
	s_and_saveexec_b64 s[16:17], s[0:1]
; %bb.72:
	v_cmp_eq_u32_e64 s[0:1], 0, v24
	s_orn2_b64 s[14:15], s[0:1], exec
; %bb.73:
	s_or_b64 exec, exec, s[16:17]
	s_and_b64 exec, exec, s[14:15]
	s_cbranch_execz .LBB839_101
; %bb.74:
	s_add_i32 s14, s8, 16
	s_cmp_le_u32 s9, s14
	s_cselect_b64 s[0:1], -1, 0
	s_and_b64 s[16:17], s[0:1], exec
	s_cselect_b32 s15, 8, 10
	s_or_b64 s[0:1], s[0:1], vcc
	s_xor_b64 s[16:17], s[0:1], -1
	v_mov_b32_e32 v24, s15
	s_and_saveexec_b64 s[0:1], s[16:17]
	s_cbranch_execz .LBB839_76
; %bb.75:
	s_sub_i32 s15, s9, s14
	s_min_u32 s15, s15, 8
	v_lshrrev_b64 v[24:25], s14, v[22:23]
	v_bfe_u32 v24, v24, 0, s15
	v_lshlrev_b32_e32 v25, 2, v1
	v_lshl_or_b32 v24, v24, 4, v25
	v_mov_b32_e32 v25, 1
	ds_add_u32 v24, v25 offset:8192
	v_mov_b32_e32 v24, 0
.LBB839_76:
	s_or_b64 exec, exec, s[0:1]
	v_cmp_gt_i32_e64 s[0:1], 10, v24
	s_mov_b64 s[14:15], -1
	s_and_saveexec_b64 s[16:17], s[0:1]
; %bb.77:
	v_cmp_eq_u32_e64 s[0:1], 0, v24
	s_orn2_b64 s[14:15], s[0:1], exec
; %bb.78:
	s_or_b64 exec, exec, s[16:17]
	s_and_b64 exec, exec, s[14:15]
	;; [unrolled: 33-line block ×6, first 2 shown]
	s_cbranch_execz .LBB839_101
; %bb.99:
	s_add_i32 s0, s8, 56
	s_cmp_gt_u32 s9, s0
	s_cselect_b64 s[14:15], -1, 0
	s_xor_b64 s[16:17], vcc, -1
	s_and_b64 s[14:15], s[14:15], s[16:17]
	s_and_b64 exec, exec, s[14:15]
	s_cbranch_execz .LBB839_101
; %bb.100:
	s_sub_i32 s1, s9, s0
	s_min_u32 s1, s1, 8
	v_lshrrev_b64 v[22:23], s0, v[22:23]
	v_bfe_u32 v22, v22, 0, s1
	v_lshlrev_b32_e32 v23, 2, v1
	v_lshl_or_b32 v22, v22, 4, v23
	v_mov_b32_e32 v23, 1
	ds_add_u32 v22, v23 offset:28672
.LBB839_101:
	s_or_b64 exec, exec, s[12:13]
	v_cmp_le_u32_e32 vcc, s11, v35
	s_or_b64 s[0:1], s[2:3], vcc
	s_xor_b64 s[12:13], s[0:1], -1
	v_mov_b32_e32 v22, s18
	s_and_saveexec_b64 s[0:1], s[12:13]
	s_cbranch_execz .LBB839_103
; %bb.102:
	s_sub_i32 s12, s9, s8
	s_min_u32 s12, s12, 8
	v_lshrrev_b64 v[22:23], s8, v[20:21]
	v_bfe_u32 v22, v22, 0, s12
	v_lshlrev_b32_e32 v23, 2, v1
	v_lshl_or_b32 v22, v22, 4, v23
	v_mov_b32_e32 v23, 1
	ds_add_u32 v22, v23
	v_mov_b32_e32 v22, 0
.LBB839_103:
	s_or_b64 exec, exec, s[0:1]
	v_cmp_gt_i32_e64 s[0:1], 10, v22
	s_mov_b64 s[14:15], -1
	s_and_saveexec_b64 s[12:13], s[0:1]
; %bb.104:
	v_cmp_eq_u32_e64 s[0:1], 0, v22
	s_orn2_b64 s[14:15], s[0:1], exec
; %bb.105:
	s_or_b64 exec, exec, s[12:13]
	s_and_saveexec_b64 s[12:13], s[14:15]
	s_cbranch_execz .LBB839_138
; %bb.106:
	s_add_i32 s14, s8, 8
	s_cmp_le_u32 s9, s14
	s_cselect_b64 s[0:1], -1, 0
	s_and_b64 s[16:17], s[0:1], exec
	s_cselect_b32 s15, 8, 10
	s_or_b64 s[0:1], s[0:1], vcc
	s_xor_b64 s[16:17], s[0:1], -1
	v_mov_b32_e32 v22, s15
	s_and_saveexec_b64 s[0:1], s[16:17]
	s_cbranch_execz .LBB839_108
; %bb.107:
	s_sub_i32 s15, s9, s14
	s_min_u32 s15, s15, 8
	v_lshrrev_b64 v[22:23], s14, v[20:21]
	v_bfe_u32 v22, v22, 0, s15
	v_lshlrev_b32_e32 v23, 2, v1
	v_lshl_or_b32 v22, v22, 4, v23
	v_mov_b32_e32 v23, 1
	ds_add_u32 v22, v23 offset:4096
	v_mov_b32_e32 v22, 0
.LBB839_108:
	s_or_b64 exec, exec, s[0:1]
	v_cmp_gt_i32_e64 s[0:1], 10, v22
	s_mov_b64 s[14:15], -1
	s_and_saveexec_b64 s[16:17], s[0:1]
; %bb.109:
	v_cmp_eq_u32_e64 s[0:1], 0, v22
	s_orn2_b64 s[14:15], s[0:1], exec
; %bb.110:
	s_or_b64 exec, exec, s[16:17]
	s_and_b64 exec, exec, s[14:15]
	s_cbranch_execz .LBB839_138
; %bb.111:
	s_add_i32 s14, s8, 16
	s_cmp_le_u32 s9, s14
	s_cselect_b64 s[0:1], -1, 0
	s_and_b64 s[16:17], s[0:1], exec
	s_cselect_b32 s15, 8, 10
	s_or_b64 s[0:1], s[0:1], vcc
	s_xor_b64 s[16:17], s[0:1], -1
	v_mov_b32_e32 v22, s15
	s_and_saveexec_b64 s[0:1], s[16:17]
	s_cbranch_execz .LBB839_113
; %bb.112:
	s_sub_i32 s15, s9, s14
	s_min_u32 s15, s15, 8
	v_lshrrev_b64 v[22:23], s14, v[20:21]
	v_bfe_u32 v22, v22, 0, s15
	v_lshlrev_b32_e32 v23, 2, v1
	v_lshl_or_b32 v22, v22, 4, v23
	v_mov_b32_e32 v23, 1
	ds_add_u32 v22, v23 offset:8192
	v_mov_b32_e32 v22, 0
.LBB839_113:
	s_or_b64 exec, exec, s[0:1]
	v_cmp_gt_i32_e64 s[0:1], 10, v22
	s_mov_b64 s[14:15], -1
	s_and_saveexec_b64 s[16:17], s[0:1]
; %bb.114:
	v_cmp_eq_u32_e64 s[0:1], 0, v22
	s_orn2_b64 s[14:15], s[0:1], exec
; %bb.115:
	s_or_b64 exec, exec, s[16:17]
	s_and_b64 exec, exec, s[14:15]
	;; [unrolled: 33-line block ×6, first 2 shown]
	s_cbranch_execz .LBB839_138
; %bb.136:
	s_add_i32 s0, s8, 56
	s_cmp_gt_u32 s9, s0
	s_cselect_b64 s[14:15], -1, 0
	s_xor_b64 s[16:17], vcc, -1
	s_and_b64 s[14:15], s[14:15], s[16:17]
	s_and_b64 exec, exec, s[14:15]
	s_cbranch_execz .LBB839_138
; %bb.137:
	s_sub_i32 s1, s9, s0
	s_min_u32 s1, s1, 8
	v_lshrrev_b64 v[20:21], s0, v[20:21]
	v_bfe_u32 v20, v20, 0, s1
	v_lshlrev_b32_e32 v21, 2, v1
	v_lshl_or_b32 v20, v20, 4, v21
	v_mov_b32_e32 v21, 1
	ds_add_u32 v20, v21 offset:28672
.LBB839_138:
	s_or_b64 exec, exec, s[12:13]
	v_cmp_le_u32_e32 vcc, s11, v34
	s_or_b64 s[0:1], s[2:3], vcc
	s_xor_b64 s[12:13], s[0:1], -1
	v_mov_b32_e32 v20, s18
	s_and_saveexec_b64 s[0:1], s[12:13]
	s_cbranch_execz .LBB839_140
; %bb.139:
	s_sub_i32 s12, s9, s8
	s_min_u32 s12, s12, 8
	v_lshrrev_b64 v[20:21], s8, v[18:19]
	v_bfe_u32 v20, v20, 0, s12
	v_lshlrev_b32_e32 v21, 2, v1
	v_lshl_or_b32 v20, v20, 4, v21
	v_mov_b32_e32 v21, 1
	ds_add_u32 v20, v21
	v_mov_b32_e32 v20, 0
.LBB839_140:
	s_or_b64 exec, exec, s[0:1]
	v_cmp_gt_i32_e64 s[0:1], 10, v20
	s_mov_b64 s[14:15], -1
	s_and_saveexec_b64 s[12:13], s[0:1]
; %bb.141:
	v_cmp_eq_u32_e64 s[0:1], 0, v20
	s_orn2_b64 s[14:15], s[0:1], exec
; %bb.142:
	s_or_b64 exec, exec, s[12:13]
	s_and_saveexec_b64 s[12:13], s[14:15]
	s_cbranch_execz .LBB839_175
; %bb.143:
	s_add_i32 s14, s8, 8
	s_cmp_le_u32 s9, s14
	s_cselect_b64 s[0:1], -1, 0
	s_and_b64 s[16:17], s[0:1], exec
	s_cselect_b32 s15, 8, 10
	s_or_b64 s[0:1], s[0:1], vcc
	s_xor_b64 s[16:17], s[0:1], -1
	v_mov_b32_e32 v20, s15
	s_and_saveexec_b64 s[0:1], s[16:17]
	s_cbranch_execz .LBB839_145
; %bb.144:
	s_sub_i32 s15, s9, s14
	s_min_u32 s15, s15, 8
	v_lshrrev_b64 v[20:21], s14, v[18:19]
	v_bfe_u32 v20, v20, 0, s15
	v_lshlrev_b32_e32 v21, 2, v1
	v_lshl_or_b32 v20, v20, 4, v21
	v_mov_b32_e32 v21, 1
	ds_add_u32 v20, v21 offset:4096
	v_mov_b32_e32 v20, 0
.LBB839_145:
	s_or_b64 exec, exec, s[0:1]
	v_cmp_gt_i32_e64 s[0:1], 10, v20
	s_mov_b64 s[14:15], -1
	s_and_saveexec_b64 s[16:17], s[0:1]
; %bb.146:
	v_cmp_eq_u32_e64 s[0:1], 0, v20
	s_orn2_b64 s[14:15], s[0:1], exec
; %bb.147:
	s_or_b64 exec, exec, s[16:17]
	s_and_b64 exec, exec, s[14:15]
	s_cbranch_execz .LBB839_175
; %bb.148:
	s_add_i32 s14, s8, 16
	s_cmp_le_u32 s9, s14
	s_cselect_b64 s[0:1], -1, 0
	s_and_b64 s[16:17], s[0:1], exec
	s_cselect_b32 s15, 8, 10
	s_or_b64 s[0:1], s[0:1], vcc
	s_xor_b64 s[16:17], s[0:1], -1
	v_mov_b32_e32 v20, s15
	s_and_saveexec_b64 s[0:1], s[16:17]
	s_cbranch_execz .LBB839_150
; %bb.149:
	s_sub_i32 s15, s9, s14
	s_min_u32 s15, s15, 8
	v_lshrrev_b64 v[20:21], s14, v[18:19]
	v_bfe_u32 v20, v20, 0, s15
	v_lshlrev_b32_e32 v21, 2, v1
	v_lshl_or_b32 v20, v20, 4, v21
	v_mov_b32_e32 v21, 1
	ds_add_u32 v20, v21 offset:8192
	v_mov_b32_e32 v20, 0
.LBB839_150:
	s_or_b64 exec, exec, s[0:1]
	v_cmp_gt_i32_e64 s[0:1], 10, v20
	s_mov_b64 s[14:15], -1
	s_and_saveexec_b64 s[16:17], s[0:1]
; %bb.151:
	v_cmp_eq_u32_e64 s[0:1], 0, v20
	s_orn2_b64 s[14:15], s[0:1], exec
; %bb.152:
	s_or_b64 exec, exec, s[16:17]
	s_and_b64 exec, exec, s[14:15]
	;; [unrolled: 33-line block ×6, first 2 shown]
	s_cbranch_execz .LBB839_175
; %bb.173:
	s_add_i32 s0, s8, 56
	s_cmp_gt_u32 s9, s0
	s_cselect_b64 s[14:15], -1, 0
	s_xor_b64 s[16:17], vcc, -1
	s_and_b64 s[14:15], s[14:15], s[16:17]
	s_and_b64 exec, exec, s[14:15]
	s_cbranch_execz .LBB839_175
; %bb.174:
	s_sub_i32 s1, s9, s0
	s_min_u32 s1, s1, 8
	v_lshrrev_b64 v[18:19], s0, v[18:19]
	v_bfe_u32 v18, v18, 0, s1
	v_lshlrev_b32_e32 v19, 2, v1
	v_lshl_or_b32 v18, v18, 4, v19
	v_mov_b32_e32 v19, 1
	ds_add_u32 v18, v19 offset:28672
.LBB839_175:
	s_or_b64 exec, exec, s[12:13]
	v_cmp_le_u32_e32 vcc, s11, v33
	s_or_b64 s[0:1], s[2:3], vcc
	s_xor_b64 s[12:13], s[0:1], -1
	v_mov_b32_e32 v18, s18
	s_and_saveexec_b64 s[0:1], s[12:13]
	s_cbranch_execz .LBB839_177
; %bb.176:
	s_sub_i32 s12, s9, s8
	s_min_u32 s12, s12, 8
	v_lshrrev_b64 v[18:19], s8, v[16:17]
	v_bfe_u32 v18, v18, 0, s12
	v_lshlrev_b32_e32 v19, 2, v1
	v_lshl_or_b32 v18, v18, 4, v19
	v_mov_b32_e32 v19, 1
	ds_add_u32 v18, v19
	v_mov_b32_e32 v18, 0
.LBB839_177:
	s_or_b64 exec, exec, s[0:1]
	v_cmp_gt_i32_e64 s[0:1], 10, v18
	s_mov_b64 s[14:15], -1
	s_and_saveexec_b64 s[12:13], s[0:1]
; %bb.178:
	v_cmp_eq_u32_e64 s[0:1], 0, v18
	s_orn2_b64 s[14:15], s[0:1], exec
; %bb.179:
	s_or_b64 exec, exec, s[12:13]
	s_and_saveexec_b64 s[12:13], s[14:15]
	s_cbranch_execz .LBB839_212
; %bb.180:
	s_add_i32 s14, s8, 8
	s_cmp_le_u32 s9, s14
	s_cselect_b64 s[0:1], -1, 0
	s_and_b64 s[16:17], s[0:1], exec
	s_cselect_b32 s15, 8, 10
	s_or_b64 s[0:1], s[0:1], vcc
	s_xor_b64 s[16:17], s[0:1], -1
	v_mov_b32_e32 v18, s15
	s_and_saveexec_b64 s[0:1], s[16:17]
	s_cbranch_execz .LBB839_182
; %bb.181:
	s_sub_i32 s15, s9, s14
	s_min_u32 s15, s15, 8
	v_lshrrev_b64 v[18:19], s14, v[16:17]
	v_bfe_u32 v18, v18, 0, s15
	v_lshlrev_b32_e32 v19, 2, v1
	v_lshl_or_b32 v18, v18, 4, v19
	v_mov_b32_e32 v19, 1
	ds_add_u32 v18, v19 offset:4096
	v_mov_b32_e32 v18, 0
.LBB839_182:
	s_or_b64 exec, exec, s[0:1]
	v_cmp_gt_i32_e64 s[0:1], 10, v18
	s_mov_b64 s[14:15], -1
	s_and_saveexec_b64 s[16:17], s[0:1]
; %bb.183:
	v_cmp_eq_u32_e64 s[0:1], 0, v18
	s_orn2_b64 s[14:15], s[0:1], exec
; %bb.184:
	s_or_b64 exec, exec, s[16:17]
	s_and_b64 exec, exec, s[14:15]
	s_cbranch_execz .LBB839_212
; %bb.185:
	s_add_i32 s14, s8, 16
	s_cmp_le_u32 s9, s14
	s_cselect_b64 s[0:1], -1, 0
	s_and_b64 s[16:17], s[0:1], exec
	s_cselect_b32 s15, 8, 10
	s_or_b64 s[0:1], s[0:1], vcc
	s_xor_b64 s[16:17], s[0:1], -1
	v_mov_b32_e32 v18, s15
	s_and_saveexec_b64 s[0:1], s[16:17]
	s_cbranch_execz .LBB839_187
; %bb.186:
	s_sub_i32 s15, s9, s14
	s_min_u32 s15, s15, 8
	v_lshrrev_b64 v[18:19], s14, v[16:17]
	v_bfe_u32 v18, v18, 0, s15
	v_lshlrev_b32_e32 v19, 2, v1
	v_lshl_or_b32 v18, v18, 4, v19
	v_mov_b32_e32 v19, 1
	ds_add_u32 v18, v19 offset:8192
	v_mov_b32_e32 v18, 0
.LBB839_187:
	s_or_b64 exec, exec, s[0:1]
	v_cmp_gt_i32_e64 s[0:1], 10, v18
	s_mov_b64 s[14:15], -1
	s_and_saveexec_b64 s[16:17], s[0:1]
; %bb.188:
	v_cmp_eq_u32_e64 s[0:1], 0, v18
	s_orn2_b64 s[14:15], s[0:1], exec
; %bb.189:
	s_or_b64 exec, exec, s[16:17]
	s_and_b64 exec, exec, s[14:15]
	;; [unrolled: 33-line block ×6, first 2 shown]
	s_cbranch_execz .LBB839_212
; %bb.210:
	s_add_i32 s0, s8, 56
	s_cmp_gt_u32 s9, s0
	s_cselect_b64 s[14:15], -1, 0
	s_xor_b64 s[16:17], vcc, -1
	s_and_b64 s[14:15], s[14:15], s[16:17]
	s_and_b64 exec, exec, s[14:15]
	s_cbranch_execz .LBB839_212
; %bb.211:
	s_sub_i32 s1, s9, s0
	s_min_u32 s1, s1, 8
	v_lshrrev_b64 v[16:17], s0, v[16:17]
	v_bfe_u32 v16, v16, 0, s1
	v_lshlrev_b32_e32 v17, 2, v1
	v_lshl_or_b32 v16, v16, 4, v17
	v_mov_b32_e32 v17, 1
	ds_add_u32 v16, v17 offset:28672
.LBB839_212:
	s_or_b64 exec, exec, s[12:13]
	v_cmp_le_u32_e32 vcc, s11, v32
	s_or_b64 s[0:1], s[2:3], vcc
	s_xor_b64 s[12:13], s[0:1], -1
	v_mov_b32_e32 v16, s18
	s_and_saveexec_b64 s[0:1], s[12:13]
	s_cbranch_execz .LBB839_214
; %bb.213:
	s_sub_i32 s12, s9, s8
	s_min_u32 s12, s12, 8
	v_lshrrev_b64 v[16:17], s8, v[14:15]
	v_bfe_u32 v16, v16, 0, s12
	v_lshlrev_b32_e32 v17, 2, v1
	v_lshl_or_b32 v16, v16, 4, v17
	v_mov_b32_e32 v17, 1
	ds_add_u32 v16, v17
	v_mov_b32_e32 v16, 0
.LBB839_214:
	s_or_b64 exec, exec, s[0:1]
	v_cmp_gt_i32_e64 s[0:1], 10, v16
	s_mov_b64 s[14:15], -1
	s_and_saveexec_b64 s[12:13], s[0:1]
; %bb.215:
	v_cmp_eq_u32_e64 s[0:1], 0, v16
	s_orn2_b64 s[14:15], s[0:1], exec
; %bb.216:
	s_or_b64 exec, exec, s[12:13]
	s_and_saveexec_b64 s[12:13], s[14:15]
	s_cbranch_execz .LBB839_249
; %bb.217:
	s_add_i32 s14, s8, 8
	s_cmp_le_u32 s9, s14
	s_cselect_b64 s[0:1], -1, 0
	s_and_b64 s[16:17], s[0:1], exec
	s_cselect_b32 s15, 8, 10
	s_or_b64 s[0:1], s[0:1], vcc
	s_xor_b64 s[16:17], s[0:1], -1
	v_mov_b32_e32 v16, s15
	s_and_saveexec_b64 s[0:1], s[16:17]
	s_cbranch_execz .LBB839_219
; %bb.218:
	s_sub_i32 s15, s9, s14
	s_min_u32 s15, s15, 8
	v_lshrrev_b64 v[16:17], s14, v[14:15]
	v_bfe_u32 v16, v16, 0, s15
	v_lshlrev_b32_e32 v17, 2, v1
	v_lshl_or_b32 v16, v16, 4, v17
	v_mov_b32_e32 v17, 1
	ds_add_u32 v16, v17 offset:4096
	v_mov_b32_e32 v16, 0
.LBB839_219:
	s_or_b64 exec, exec, s[0:1]
	v_cmp_gt_i32_e64 s[0:1], 10, v16
	s_mov_b64 s[14:15], -1
	s_and_saveexec_b64 s[16:17], s[0:1]
; %bb.220:
	v_cmp_eq_u32_e64 s[0:1], 0, v16
	s_orn2_b64 s[14:15], s[0:1], exec
; %bb.221:
	s_or_b64 exec, exec, s[16:17]
	s_and_b64 exec, exec, s[14:15]
	s_cbranch_execz .LBB839_249
; %bb.222:
	s_add_i32 s14, s8, 16
	s_cmp_le_u32 s9, s14
	s_cselect_b64 s[0:1], -1, 0
	s_and_b64 s[16:17], s[0:1], exec
	s_cselect_b32 s15, 8, 10
	s_or_b64 s[0:1], s[0:1], vcc
	s_xor_b64 s[16:17], s[0:1], -1
	v_mov_b32_e32 v16, s15
	s_and_saveexec_b64 s[0:1], s[16:17]
	s_cbranch_execz .LBB839_224
; %bb.223:
	s_sub_i32 s15, s9, s14
	s_min_u32 s15, s15, 8
	v_lshrrev_b64 v[16:17], s14, v[14:15]
	v_bfe_u32 v16, v16, 0, s15
	v_lshlrev_b32_e32 v17, 2, v1
	v_lshl_or_b32 v16, v16, 4, v17
	v_mov_b32_e32 v17, 1
	ds_add_u32 v16, v17 offset:8192
	v_mov_b32_e32 v16, 0
.LBB839_224:
	s_or_b64 exec, exec, s[0:1]
	v_cmp_gt_i32_e64 s[0:1], 10, v16
	s_mov_b64 s[14:15], -1
	s_and_saveexec_b64 s[16:17], s[0:1]
; %bb.225:
	v_cmp_eq_u32_e64 s[0:1], 0, v16
	s_orn2_b64 s[14:15], s[0:1], exec
; %bb.226:
	s_or_b64 exec, exec, s[16:17]
	s_and_b64 exec, exec, s[14:15]
	;; [unrolled: 33-line block ×6, first 2 shown]
	s_cbranch_execz .LBB839_249
; %bb.247:
	s_add_i32 s0, s8, 56
	s_cmp_gt_u32 s9, s0
	s_cselect_b64 s[14:15], -1, 0
	s_xor_b64 s[16:17], vcc, -1
	s_and_b64 s[14:15], s[14:15], s[16:17]
	s_and_b64 exec, exec, s[14:15]
	s_cbranch_execz .LBB839_249
; %bb.248:
	s_sub_i32 s1, s9, s0
	s_min_u32 s1, s1, 8
	v_lshrrev_b64 v[14:15], s0, v[14:15]
	v_bfe_u32 v14, v14, 0, s1
	v_lshlrev_b32_e32 v15, 2, v1
	v_lshl_or_b32 v14, v14, 4, v15
	v_mov_b32_e32 v15, 1
	ds_add_u32 v14, v15 offset:28672
.LBB839_249:
	s_or_b64 exec, exec, s[12:13]
	v_cmp_le_u32_e32 vcc, s11, v31
	s_or_b64 s[0:1], s[2:3], vcc
	s_xor_b64 s[12:13], s[0:1], -1
	v_mov_b32_e32 v14, s18
	s_and_saveexec_b64 s[0:1], s[12:13]
	s_cbranch_execz .LBB839_251
; %bb.250:
	s_sub_i32 s12, s9, s8
	s_min_u32 s12, s12, 8
	v_lshrrev_b64 v[14:15], s8, v[12:13]
	v_bfe_u32 v14, v14, 0, s12
	v_lshlrev_b32_e32 v15, 2, v1
	v_lshl_or_b32 v14, v14, 4, v15
	v_mov_b32_e32 v15, 1
	ds_add_u32 v14, v15
	v_mov_b32_e32 v14, 0
.LBB839_251:
	s_or_b64 exec, exec, s[0:1]
	v_cmp_gt_i32_e64 s[0:1], 10, v14
	s_mov_b64 s[14:15], -1
	s_and_saveexec_b64 s[12:13], s[0:1]
; %bb.252:
	v_cmp_eq_u32_e64 s[0:1], 0, v14
	s_orn2_b64 s[14:15], s[0:1], exec
; %bb.253:
	s_or_b64 exec, exec, s[12:13]
	s_and_saveexec_b64 s[12:13], s[14:15]
	s_cbranch_execz .LBB839_286
; %bb.254:
	s_add_i32 s14, s8, 8
	s_cmp_le_u32 s9, s14
	s_cselect_b64 s[0:1], -1, 0
	s_and_b64 s[16:17], s[0:1], exec
	s_cselect_b32 s15, 8, 10
	s_or_b64 s[0:1], s[0:1], vcc
	s_xor_b64 s[16:17], s[0:1], -1
	v_mov_b32_e32 v14, s15
	s_and_saveexec_b64 s[0:1], s[16:17]
	s_cbranch_execz .LBB839_256
; %bb.255:
	s_sub_i32 s15, s9, s14
	s_min_u32 s15, s15, 8
	v_lshrrev_b64 v[14:15], s14, v[12:13]
	v_bfe_u32 v14, v14, 0, s15
	v_lshlrev_b32_e32 v15, 2, v1
	v_lshl_or_b32 v14, v14, 4, v15
	v_mov_b32_e32 v15, 1
	ds_add_u32 v14, v15 offset:4096
	v_mov_b32_e32 v14, 0
.LBB839_256:
	s_or_b64 exec, exec, s[0:1]
	v_cmp_gt_i32_e64 s[0:1], 10, v14
	s_mov_b64 s[14:15], -1
	s_and_saveexec_b64 s[16:17], s[0:1]
; %bb.257:
	v_cmp_eq_u32_e64 s[0:1], 0, v14
	s_orn2_b64 s[14:15], s[0:1], exec
; %bb.258:
	s_or_b64 exec, exec, s[16:17]
	s_and_b64 exec, exec, s[14:15]
	s_cbranch_execz .LBB839_286
; %bb.259:
	s_add_i32 s14, s8, 16
	s_cmp_le_u32 s9, s14
	s_cselect_b64 s[0:1], -1, 0
	s_and_b64 s[16:17], s[0:1], exec
	s_cselect_b32 s15, 8, 10
	s_or_b64 s[0:1], s[0:1], vcc
	s_xor_b64 s[16:17], s[0:1], -1
	v_mov_b32_e32 v14, s15
	s_and_saveexec_b64 s[0:1], s[16:17]
	s_cbranch_execz .LBB839_261
; %bb.260:
	s_sub_i32 s15, s9, s14
	s_min_u32 s15, s15, 8
	v_lshrrev_b64 v[14:15], s14, v[12:13]
	v_bfe_u32 v14, v14, 0, s15
	v_lshlrev_b32_e32 v15, 2, v1
	v_lshl_or_b32 v14, v14, 4, v15
	v_mov_b32_e32 v15, 1
	ds_add_u32 v14, v15 offset:8192
	v_mov_b32_e32 v14, 0
.LBB839_261:
	s_or_b64 exec, exec, s[0:1]
	v_cmp_gt_i32_e64 s[0:1], 10, v14
	s_mov_b64 s[14:15], -1
	s_and_saveexec_b64 s[16:17], s[0:1]
; %bb.262:
	v_cmp_eq_u32_e64 s[0:1], 0, v14
	s_orn2_b64 s[14:15], s[0:1], exec
; %bb.263:
	s_or_b64 exec, exec, s[16:17]
	s_and_b64 exec, exec, s[14:15]
	;; [unrolled: 33-line block ×6, first 2 shown]
	s_cbranch_execz .LBB839_286
; %bb.284:
	s_add_i32 s0, s8, 56
	s_cmp_gt_u32 s9, s0
	s_cselect_b64 s[14:15], -1, 0
	s_xor_b64 s[16:17], vcc, -1
	s_and_b64 s[14:15], s[14:15], s[16:17]
	s_and_b64 exec, exec, s[14:15]
	s_cbranch_execz .LBB839_286
; %bb.285:
	s_sub_i32 s1, s9, s0
	s_min_u32 s1, s1, 8
	v_lshrrev_b64 v[12:13], s0, v[12:13]
	v_bfe_u32 v12, v12, 0, s1
	v_lshlrev_b32_e32 v13, 2, v1
	v_lshl_or_b32 v12, v12, 4, v13
	v_mov_b32_e32 v13, 1
	ds_add_u32 v12, v13 offset:28672
.LBB839_286:
	s_or_b64 exec, exec, s[12:13]
	v_cmp_le_u32_e32 vcc, s11, v30
	s_or_b64 s[0:1], s[2:3], vcc
	s_xor_b64 s[12:13], s[0:1], -1
	v_mov_b32_e32 v12, s18
	s_and_saveexec_b64 s[0:1], s[12:13]
	s_cbranch_execz .LBB839_288
; %bb.287:
	s_sub_i32 s12, s9, s8
	s_min_u32 s12, s12, 8
	v_lshrrev_b64 v[12:13], s8, v[10:11]
	v_bfe_u32 v12, v12, 0, s12
	v_lshlrev_b32_e32 v13, 2, v1
	v_lshl_or_b32 v12, v12, 4, v13
	v_mov_b32_e32 v13, 1
	ds_add_u32 v12, v13
	v_mov_b32_e32 v12, 0
.LBB839_288:
	s_or_b64 exec, exec, s[0:1]
	v_cmp_gt_i32_e64 s[0:1], 10, v12
	s_mov_b64 s[14:15], -1
	s_and_saveexec_b64 s[12:13], s[0:1]
; %bb.289:
	v_cmp_eq_u32_e64 s[0:1], 0, v12
	s_orn2_b64 s[14:15], s[0:1], exec
; %bb.290:
	s_or_b64 exec, exec, s[12:13]
	s_and_saveexec_b64 s[12:13], s[14:15]
	s_cbranch_execz .LBB839_323
; %bb.291:
	s_add_i32 s14, s8, 8
	s_cmp_le_u32 s9, s14
	s_cselect_b64 s[0:1], -1, 0
	s_and_b64 s[16:17], s[0:1], exec
	s_cselect_b32 s15, 8, 10
	s_or_b64 s[0:1], s[0:1], vcc
	s_xor_b64 s[16:17], s[0:1], -1
	v_mov_b32_e32 v12, s15
	s_and_saveexec_b64 s[0:1], s[16:17]
	s_cbranch_execz .LBB839_293
; %bb.292:
	s_sub_i32 s15, s9, s14
	s_min_u32 s15, s15, 8
	v_lshrrev_b64 v[12:13], s14, v[10:11]
	v_bfe_u32 v12, v12, 0, s15
	v_lshlrev_b32_e32 v13, 2, v1
	v_lshl_or_b32 v12, v12, 4, v13
	v_mov_b32_e32 v13, 1
	ds_add_u32 v12, v13 offset:4096
	v_mov_b32_e32 v12, 0
.LBB839_293:
	s_or_b64 exec, exec, s[0:1]
	v_cmp_gt_i32_e64 s[0:1], 10, v12
	s_mov_b64 s[14:15], -1
	s_and_saveexec_b64 s[16:17], s[0:1]
; %bb.294:
	v_cmp_eq_u32_e64 s[0:1], 0, v12
	s_orn2_b64 s[14:15], s[0:1], exec
; %bb.295:
	s_or_b64 exec, exec, s[16:17]
	s_and_b64 exec, exec, s[14:15]
	s_cbranch_execz .LBB839_323
; %bb.296:
	s_add_i32 s14, s8, 16
	s_cmp_le_u32 s9, s14
	s_cselect_b64 s[0:1], -1, 0
	s_and_b64 s[16:17], s[0:1], exec
	s_cselect_b32 s15, 8, 10
	s_or_b64 s[0:1], s[0:1], vcc
	s_xor_b64 s[16:17], s[0:1], -1
	v_mov_b32_e32 v12, s15
	s_and_saveexec_b64 s[0:1], s[16:17]
	s_cbranch_execz .LBB839_298
; %bb.297:
	s_sub_i32 s15, s9, s14
	s_min_u32 s15, s15, 8
	v_lshrrev_b64 v[12:13], s14, v[10:11]
	v_bfe_u32 v12, v12, 0, s15
	v_lshlrev_b32_e32 v13, 2, v1
	v_lshl_or_b32 v12, v12, 4, v13
	v_mov_b32_e32 v13, 1
	ds_add_u32 v12, v13 offset:8192
	v_mov_b32_e32 v12, 0
.LBB839_298:
	s_or_b64 exec, exec, s[0:1]
	v_cmp_gt_i32_e64 s[0:1], 10, v12
	s_mov_b64 s[14:15], -1
	s_and_saveexec_b64 s[16:17], s[0:1]
; %bb.299:
	v_cmp_eq_u32_e64 s[0:1], 0, v12
	s_orn2_b64 s[14:15], s[0:1], exec
; %bb.300:
	s_or_b64 exec, exec, s[16:17]
	s_and_b64 exec, exec, s[14:15]
	;; [unrolled: 33-line block ×6, first 2 shown]
	s_cbranch_execz .LBB839_323
; %bb.321:
	s_add_i32 s0, s8, 56
	s_cmp_gt_u32 s9, s0
	s_cselect_b64 s[14:15], -1, 0
	s_xor_b64 s[16:17], vcc, -1
	s_and_b64 s[14:15], s[14:15], s[16:17]
	s_and_b64 exec, exec, s[14:15]
	s_cbranch_execz .LBB839_323
; %bb.322:
	s_sub_i32 s1, s9, s0
	s_min_u32 s1, s1, 8
	v_lshrrev_b64 v[10:11], s0, v[10:11]
	v_bfe_u32 v10, v10, 0, s1
	v_lshlrev_b32_e32 v11, 2, v1
	v_lshl_or_b32 v10, v10, 4, v11
	v_mov_b32_e32 v11, 1
	ds_add_u32 v10, v11 offset:28672
.LBB839_323:
	s_or_b64 exec, exec, s[12:13]
	v_cmp_le_u32_e32 vcc, s11, v29
	s_or_b64 s[0:1], s[2:3], vcc
	s_xor_b64 s[12:13], s[0:1], -1
	v_mov_b32_e32 v10, s18
	s_and_saveexec_b64 s[0:1], s[12:13]
	s_cbranch_execz .LBB839_325
; %bb.324:
	s_sub_i32 s12, s9, s8
	s_min_u32 s12, s12, 8
	v_lshrrev_b64 v[10:11], s8, v[8:9]
	v_bfe_u32 v10, v10, 0, s12
	v_lshlrev_b32_e32 v11, 2, v1
	v_lshl_or_b32 v10, v10, 4, v11
	v_mov_b32_e32 v11, 1
	ds_add_u32 v10, v11
	v_mov_b32_e32 v10, 0
.LBB839_325:
	s_or_b64 exec, exec, s[0:1]
	v_cmp_gt_i32_e64 s[0:1], 10, v10
	s_mov_b64 s[14:15], -1
	s_and_saveexec_b64 s[12:13], s[0:1]
; %bb.326:
	v_cmp_eq_u32_e64 s[0:1], 0, v10
	s_orn2_b64 s[14:15], s[0:1], exec
; %bb.327:
	s_or_b64 exec, exec, s[12:13]
	s_and_saveexec_b64 s[12:13], s[14:15]
	s_cbranch_execz .LBB839_360
; %bb.328:
	s_add_i32 s14, s8, 8
	s_cmp_le_u32 s9, s14
	s_cselect_b64 s[0:1], -1, 0
	s_and_b64 s[16:17], s[0:1], exec
	s_cselect_b32 s15, 8, 10
	s_or_b64 s[0:1], s[0:1], vcc
	s_xor_b64 s[16:17], s[0:1], -1
	v_mov_b32_e32 v10, s15
	s_and_saveexec_b64 s[0:1], s[16:17]
	s_cbranch_execz .LBB839_330
; %bb.329:
	s_sub_i32 s15, s9, s14
	s_min_u32 s15, s15, 8
	v_lshrrev_b64 v[10:11], s14, v[8:9]
	v_bfe_u32 v10, v10, 0, s15
	v_lshlrev_b32_e32 v11, 2, v1
	v_lshl_or_b32 v10, v10, 4, v11
	v_mov_b32_e32 v11, 1
	ds_add_u32 v10, v11 offset:4096
	v_mov_b32_e32 v10, 0
.LBB839_330:
	s_or_b64 exec, exec, s[0:1]
	v_cmp_gt_i32_e64 s[0:1], 10, v10
	s_mov_b64 s[14:15], -1
	s_and_saveexec_b64 s[16:17], s[0:1]
; %bb.331:
	v_cmp_eq_u32_e64 s[0:1], 0, v10
	s_orn2_b64 s[14:15], s[0:1], exec
; %bb.332:
	s_or_b64 exec, exec, s[16:17]
	s_and_b64 exec, exec, s[14:15]
	s_cbranch_execz .LBB839_360
; %bb.333:
	s_add_i32 s14, s8, 16
	s_cmp_le_u32 s9, s14
	s_cselect_b64 s[0:1], -1, 0
	s_and_b64 s[16:17], s[0:1], exec
	s_cselect_b32 s15, 8, 10
	s_or_b64 s[0:1], s[0:1], vcc
	s_xor_b64 s[16:17], s[0:1], -1
	v_mov_b32_e32 v10, s15
	s_and_saveexec_b64 s[0:1], s[16:17]
	s_cbranch_execz .LBB839_335
; %bb.334:
	s_sub_i32 s15, s9, s14
	s_min_u32 s15, s15, 8
	v_lshrrev_b64 v[10:11], s14, v[8:9]
	v_bfe_u32 v10, v10, 0, s15
	v_lshlrev_b32_e32 v11, 2, v1
	v_lshl_or_b32 v10, v10, 4, v11
	v_mov_b32_e32 v11, 1
	ds_add_u32 v10, v11 offset:8192
	v_mov_b32_e32 v10, 0
.LBB839_335:
	s_or_b64 exec, exec, s[0:1]
	v_cmp_gt_i32_e64 s[0:1], 10, v10
	s_mov_b64 s[14:15], -1
	s_and_saveexec_b64 s[16:17], s[0:1]
; %bb.336:
	v_cmp_eq_u32_e64 s[0:1], 0, v10
	s_orn2_b64 s[14:15], s[0:1], exec
; %bb.337:
	s_or_b64 exec, exec, s[16:17]
	s_and_b64 exec, exec, s[14:15]
	;; [unrolled: 33-line block ×6, first 2 shown]
	s_cbranch_execz .LBB839_360
; %bb.358:
	s_add_i32 s0, s8, 56
	s_cmp_gt_u32 s9, s0
	s_cselect_b64 s[14:15], -1, 0
	s_xor_b64 s[16:17], vcc, -1
	s_and_b64 s[14:15], s[14:15], s[16:17]
	s_and_b64 exec, exec, s[14:15]
	s_cbranch_execz .LBB839_360
; %bb.359:
	s_sub_i32 s1, s9, s0
	s_min_u32 s1, s1, 8
	v_lshrrev_b64 v[8:9], s0, v[8:9]
	v_bfe_u32 v8, v8, 0, s1
	v_lshlrev_b32_e32 v9, 2, v1
	v_lshl_or_b32 v8, v8, 4, v9
	v_mov_b32_e32 v9, 1
	ds_add_u32 v8, v9 offset:28672
.LBB839_360:
	s_or_b64 exec, exec, s[12:13]
	v_cmp_le_u32_e32 vcc, s11, v28
	s_or_b64 s[0:1], s[2:3], vcc
	s_xor_b64 s[12:13], s[0:1], -1
	v_mov_b32_e32 v8, s18
	s_and_saveexec_b64 s[0:1], s[12:13]
	s_cbranch_execz .LBB839_362
; %bb.361:
	s_sub_i32 s12, s9, s8
	s_min_u32 s12, s12, 8
	v_lshrrev_b64 v[8:9], s8, v[6:7]
	v_bfe_u32 v8, v8, 0, s12
	v_lshlrev_b32_e32 v9, 2, v1
	v_lshl_or_b32 v8, v8, 4, v9
	v_mov_b32_e32 v9, 1
	ds_add_u32 v8, v9
	v_mov_b32_e32 v8, 0
.LBB839_362:
	s_or_b64 exec, exec, s[0:1]
	v_cmp_gt_i32_e64 s[0:1], 10, v8
	s_mov_b64 s[14:15], -1
	s_and_saveexec_b64 s[12:13], s[0:1]
; %bb.363:
	v_cmp_eq_u32_e64 s[0:1], 0, v8
	s_orn2_b64 s[14:15], s[0:1], exec
; %bb.364:
	s_or_b64 exec, exec, s[12:13]
	s_and_saveexec_b64 s[12:13], s[14:15]
	s_cbranch_execz .LBB839_397
; %bb.365:
	s_add_i32 s14, s8, 8
	s_cmp_le_u32 s9, s14
	s_cselect_b64 s[0:1], -1, 0
	s_and_b64 s[16:17], s[0:1], exec
	s_cselect_b32 s15, 8, 10
	s_or_b64 s[0:1], s[0:1], vcc
	s_xor_b64 s[16:17], s[0:1], -1
	v_mov_b32_e32 v8, s15
	s_and_saveexec_b64 s[0:1], s[16:17]
	s_cbranch_execz .LBB839_367
; %bb.366:
	s_sub_i32 s15, s9, s14
	s_min_u32 s15, s15, 8
	v_lshrrev_b64 v[8:9], s14, v[6:7]
	v_bfe_u32 v8, v8, 0, s15
	v_lshlrev_b32_e32 v9, 2, v1
	v_lshl_or_b32 v8, v8, 4, v9
	v_mov_b32_e32 v9, 1
	ds_add_u32 v8, v9 offset:4096
	v_mov_b32_e32 v8, 0
.LBB839_367:
	s_or_b64 exec, exec, s[0:1]
	v_cmp_gt_i32_e64 s[0:1], 10, v8
	s_mov_b64 s[14:15], -1
	s_and_saveexec_b64 s[16:17], s[0:1]
; %bb.368:
	v_cmp_eq_u32_e64 s[0:1], 0, v8
	s_orn2_b64 s[14:15], s[0:1], exec
; %bb.369:
	s_or_b64 exec, exec, s[16:17]
	s_and_b64 exec, exec, s[14:15]
	s_cbranch_execz .LBB839_397
; %bb.370:
	s_add_i32 s14, s8, 16
	s_cmp_le_u32 s9, s14
	s_cselect_b64 s[0:1], -1, 0
	s_and_b64 s[16:17], s[0:1], exec
	s_cselect_b32 s15, 8, 10
	s_or_b64 s[0:1], s[0:1], vcc
	s_xor_b64 s[16:17], s[0:1], -1
	v_mov_b32_e32 v8, s15
	s_and_saveexec_b64 s[0:1], s[16:17]
	s_cbranch_execz .LBB839_372
; %bb.371:
	s_sub_i32 s15, s9, s14
	s_min_u32 s15, s15, 8
	v_lshrrev_b64 v[8:9], s14, v[6:7]
	v_bfe_u32 v8, v8, 0, s15
	v_lshlrev_b32_e32 v9, 2, v1
	v_lshl_or_b32 v8, v8, 4, v9
	v_mov_b32_e32 v9, 1
	ds_add_u32 v8, v9 offset:8192
	v_mov_b32_e32 v8, 0
.LBB839_372:
	s_or_b64 exec, exec, s[0:1]
	v_cmp_gt_i32_e64 s[0:1], 10, v8
	s_mov_b64 s[14:15], -1
	s_and_saveexec_b64 s[16:17], s[0:1]
; %bb.373:
	v_cmp_eq_u32_e64 s[0:1], 0, v8
	s_orn2_b64 s[14:15], s[0:1], exec
; %bb.374:
	s_or_b64 exec, exec, s[16:17]
	s_and_b64 exec, exec, s[14:15]
	;; [unrolled: 33-line block ×6, first 2 shown]
	s_cbranch_execz .LBB839_397
; %bb.395:
	s_add_i32 s0, s8, 56
	s_cmp_gt_u32 s9, s0
	s_cselect_b64 s[14:15], -1, 0
	s_xor_b64 s[16:17], vcc, -1
	s_and_b64 s[14:15], s[14:15], s[16:17]
	s_and_b64 exec, exec, s[14:15]
	s_cbranch_execz .LBB839_397
; %bb.396:
	s_sub_i32 s1, s9, s0
	s_min_u32 s1, s1, 8
	v_lshrrev_b64 v[6:7], s0, v[6:7]
	v_bfe_u32 v6, v6, 0, s1
	v_lshlrev_b32_e32 v7, 2, v1
	v_lshl_or_b32 v6, v6, 4, v7
	v_mov_b32_e32 v7, 1
	ds_add_u32 v6, v7 offset:28672
.LBB839_397:
	s_or_b64 exec, exec, s[12:13]
	v_cmp_le_u32_e32 vcc, s11, v27
	s_or_b64 s[0:1], s[2:3], vcc
	s_xor_b64 s[12:13], s[0:1], -1
	v_mov_b32_e32 v6, s18
	s_and_saveexec_b64 s[0:1], s[12:13]
	s_cbranch_execz .LBB839_399
; %bb.398:
	s_sub_i32 s12, s9, s8
	s_min_u32 s12, s12, 8
	v_lshrrev_b64 v[6:7], s8, v[4:5]
	v_bfe_u32 v6, v6, 0, s12
	v_lshlrev_b32_e32 v7, 2, v1
	v_lshl_or_b32 v6, v6, 4, v7
	v_mov_b32_e32 v7, 1
	ds_add_u32 v6, v7
	v_mov_b32_e32 v6, 0
.LBB839_399:
	s_or_b64 exec, exec, s[0:1]
	v_cmp_gt_i32_e64 s[0:1], 10, v6
	s_mov_b64 s[14:15], -1
	s_and_saveexec_b64 s[12:13], s[0:1]
; %bb.400:
	v_cmp_eq_u32_e64 s[0:1], 0, v6
	s_orn2_b64 s[14:15], s[0:1], exec
; %bb.401:
	s_or_b64 exec, exec, s[12:13]
	s_and_saveexec_b64 s[12:13], s[14:15]
	s_cbranch_execz .LBB839_434
; %bb.402:
	s_add_i32 s14, s8, 8
	s_cmp_le_u32 s9, s14
	s_cselect_b64 s[0:1], -1, 0
	s_and_b64 s[16:17], s[0:1], exec
	s_cselect_b32 s15, 8, 10
	s_or_b64 s[0:1], s[0:1], vcc
	s_xor_b64 s[16:17], s[0:1], -1
	v_mov_b32_e32 v6, s15
	s_and_saveexec_b64 s[0:1], s[16:17]
	s_cbranch_execz .LBB839_404
; %bb.403:
	s_sub_i32 s15, s9, s14
	s_min_u32 s15, s15, 8
	v_lshrrev_b64 v[6:7], s14, v[4:5]
	v_bfe_u32 v6, v6, 0, s15
	v_lshlrev_b32_e32 v7, 2, v1
	v_lshl_or_b32 v6, v6, 4, v7
	v_mov_b32_e32 v7, 1
	ds_add_u32 v6, v7 offset:4096
	v_mov_b32_e32 v6, 0
.LBB839_404:
	s_or_b64 exec, exec, s[0:1]
	v_cmp_gt_i32_e64 s[0:1], 10, v6
	s_mov_b64 s[14:15], -1
	s_and_saveexec_b64 s[16:17], s[0:1]
; %bb.405:
	v_cmp_eq_u32_e64 s[0:1], 0, v6
	s_orn2_b64 s[14:15], s[0:1], exec
; %bb.406:
	s_or_b64 exec, exec, s[16:17]
	s_and_b64 exec, exec, s[14:15]
	s_cbranch_execz .LBB839_434
; %bb.407:
	s_add_i32 s14, s8, 16
	s_cmp_le_u32 s9, s14
	s_cselect_b64 s[0:1], -1, 0
	s_and_b64 s[16:17], s[0:1], exec
	s_cselect_b32 s15, 8, 10
	s_or_b64 s[0:1], s[0:1], vcc
	s_xor_b64 s[16:17], s[0:1], -1
	v_mov_b32_e32 v6, s15
	s_and_saveexec_b64 s[0:1], s[16:17]
	s_cbranch_execz .LBB839_409
; %bb.408:
	s_sub_i32 s15, s9, s14
	s_min_u32 s15, s15, 8
	v_lshrrev_b64 v[6:7], s14, v[4:5]
	v_bfe_u32 v6, v6, 0, s15
	v_lshlrev_b32_e32 v7, 2, v1
	v_lshl_or_b32 v6, v6, 4, v7
	v_mov_b32_e32 v7, 1
	ds_add_u32 v6, v7 offset:8192
	v_mov_b32_e32 v6, 0
.LBB839_409:
	s_or_b64 exec, exec, s[0:1]
	v_cmp_gt_i32_e64 s[0:1], 10, v6
	s_mov_b64 s[14:15], -1
	s_and_saveexec_b64 s[16:17], s[0:1]
; %bb.410:
	v_cmp_eq_u32_e64 s[0:1], 0, v6
	s_orn2_b64 s[14:15], s[0:1], exec
; %bb.411:
	s_or_b64 exec, exec, s[16:17]
	s_and_b64 exec, exec, s[14:15]
	;; [unrolled: 33-line block ×6, first 2 shown]
	s_cbranch_execz .LBB839_434
; %bb.432:
	s_add_i32 s0, s8, 56
	s_cmp_gt_u32 s9, s0
	s_cselect_b64 s[14:15], -1, 0
	s_xor_b64 s[16:17], vcc, -1
	s_and_b64 s[14:15], s[14:15], s[16:17]
	s_and_b64 exec, exec, s[14:15]
	s_cbranch_execz .LBB839_434
; %bb.433:
	s_sub_i32 s1, s9, s0
	s_min_u32 s1, s1, 8
	v_lshrrev_b64 v[4:5], s0, v[4:5]
	v_bfe_u32 v4, v4, 0, s1
	v_lshlrev_b32_e32 v5, 2, v1
	v_lshl_or_b32 v4, v4, 4, v5
	v_mov_b32_e32 v5, 1
	ds_add_u32 v4, v5 offset:28672
.LBB839_434:
	s_or_b64 exec, exec, s[12:13]
	v_cmp_le_u32_e32 vcc, s11, v26
	s_or_b64 s[0:1], s[2:3], vcc
	s_xor_b64 s[2:3], s[0:1], -1
	v_mov_b32_e32 v4, s18
	s_and_saveexec_b64 s[0:1], s[2:3]
	s_cbranch_execz .LBB839_436
; %bb.435:
	s_sub_i32 s2, s9, s8
	s_min_u32 s2, s2, 8
	v_lshrrev_b64 v[4:5], s8, v[2:3]
	v_bfe_u32 v4, v4, 0, s2
	v_lshlrev_b32_e32 v5, 2, v1
	v_lshl_or_b32 v4, v4, 4, v5
	v_mov_b32_e32 v5, 1
	ds_add_u32 v4, v5
	v_mov_b32_e32 v4, 0
.LBB839_436:
	s_or_b64 exec, exec, s[0:1]
	v_cmp_gt_i32_e64 s[0:1], 10, v4
	s_mov_b64 s[12:13], -1
	s_and_saveexec_b64 s[2:3], s[0:1]
; %bb.437:
	v_cmp_eq_u32_e64 s[0:1], 0, v4
	s_orn2_b64 s[12:13], s[0:1], exec
; %bb.438:
	s_or_b64 exec, exec, s[2:3]
	s_and_saveexec_b64 s[2:3], s[12:13]
	s_cbranch_execz .LBB839_471
; %bb.439:
	s_add_i32 s11, s8, 8
	s_cmp_le_u32 s9, s11
	s_cselect_b64 s[0:1], -1, 0
	s_and_b64 s[12:13], s[0:1], exec
	s_cselect_b32 s14, 8, 10
	s_or_b64 s[0:1], s[0:1], vcc
	s_xor_b64 s[12:13], s[0:1], -1
	v_mov_b32_e32 v4, s14
	s_and_saveexec_b64 s[0:1], s[12:13]
	s_cbranch_execz .LBB839_441
; %bb.440:
	s_sub_i32 s12, s9, s11
	s_min_u32 s12, s12, 8
	v_lshrrev_b64 v[4:5], s11, v[2:3]
	v_bfe_u32 v4, v4, 0, s12
	v_lshlrev_b32_e32 v5, 2, v1
	v_lshl_or_b32 v4, v4, 4, v5
	v_mov_b32_e32 v5, 1
	ds_add_u32 v4, v5 offset:4096
	v_mov_b32_e32 v4, 0
.LBB839_441:
	s_or_b64 exec, exec, s[0:1]
	v_cmp_gt_i32_e64 s[0:1], 10, v4
	s_mov_b64 s[12:13], -1
	s_and_saveexec_b64 s[14:15], s[0:1]
; %bb.442:
	v_cmp_eq_u32_e64 s[0:1], 0, v4
	s_orn2_b64 s[12:13], s[0:1], exec
; %bb.443:
	s_or_b64 exec, exec, s[14:15]
	s_and_b64 exec, exec, s[12:13]
	s_cbranch_execz .LBB839_471
; %bb.444:
	s_add_i32 s11, s8, 16
	s_cmp_le_u32 s9, s11
	s_cselect_b64 s[0:1], -1, 0
	s_and_b64 s[12:13], s[0:1], exec
	s_cselect_b32 s14, 8, 10
	s_or_b64 s[0:1], s[0:1], vcc
	s_xor_b64 s[12:13], s[0:1], -1
	v_mov_b32_e32 v4, s14
	s_and_saveexec_b64 s[0:1], s[12:13]
	s_cbranch_execz .LBB839_446
; %bb.445:
	s_sub_i32 s12, s9, s11
	s_min_u32 s12, s12, 8
	v_lshrrev_b64 v[4:5], s11, v[2:3]
	v_bfe_u32 v4, v4, 0, s12
	v_lshlrev_b32_e32 v5, 2, v1
	v_lshl_or_b32 v4, v4, 4, v5
	v_mov_b32_e32 v5, 1
	ds_add_u32 v4, v5 offset:8192
	v_mov_b32_e32 v4, 0
.LBB839_446:
	s_or_b64 exec, exec, s[0:1]
	v_cmp_gt_i32_e64 s[0:1], 10, v4
	s_mov_b64 s[12:13], -1
	s_and_saveexec_b64 s[14:15], s[0:1]
; %bb.447:
	v_cmp_eq_u32_e64 s[0:1], 0, v4
	s_orn2_b64 s[12:13], s[0:1], exec
; %bb.448:
	s_or_b64 exec, exec, s[14:15]
	s_and_b64 exec, exec, s[12:13]
	;; [unrolled: 33-line block ×6, first 2 shown]
	s_cbranch_execz .LBB839_471
; %bb.469:
	s_add_i32 s0, s8, 56
	s_cmp_gt_u32 s9, s0
	s_cselect_b64 s[12:13], -1, 0
	s_xor_b64 s[14:15], vcc, -1
	s_and_b64 s[12:13], s[12:13], s[14:15]
	s_and_b64 exec, exec, s[12:13]
	s_cbranch_execz .LBB839_471
; %bb.470:
	s_sub_i32 s1, s9, s0
	s_min_u32 s1, s1, 8
	v_lshrrev_b64 v[2:3], s0, v[2:3]
	v_bfe_u32 v2, v2, 0, s1
	v_lshlrev_b32_e32 v1, 2, v1
	v_lshl_or_b32 v1, v2, 4, v1
	v_mov_b32_e32 v2, 1
	ds_add_u32 v1, v2 offset:28672
.LBB839_471:
	s_or_b64 exec, exec, s[2:3]
	s_cmp_lt_u32 s8, s9
	s_waitcnt lgkmcnt(0)
	s_barrier
	s_cbranch_scc0 .LBB839_476
; %bb.472:
	s_movk_i32 s0, 0x100
	v_cmp_gt_u32_e32 vcc, s0, v0
	v_lshlrev_b32_e32 v1, 4, v0
	v_mov_b32_e32 v3, 0
	v_mov_b32_e32 v2, v0
	s_mov_b32 s2, s8
	s_branch .LBB839_474
.LBB839_473:                            ;   in Loop: Header=BB839_474 Depth=1
	s_or_b64 exec, exec, s[0:1]
	s_add_i32 s2, s2, 8
	v_add_u32_e32 v2, 0x100, v2
	s_cmp_lt_u32 s2, s9
	v_add_u32_e32 v1, 0x1000, v1
	s_cbranch_scc0 .LBB839_476
.LBB839_474:                            ; =>This Inner Loop Header: Depth=1
	s_and_saveexec_b64 s[0:1], vcc
	s_cbranch_execz .LBB839_473
; %bb.475:                              ;   in Loop: Header=BB839_474 Depth=1
	ds_read2_b32 v[4:5], v1 offset1:1
	ds_read2_b32 v[6:7], v1 offset0:2 offset1:3
	s_waitcnt lgkmcnt(1)
	v_add_u32_e32 v4, v5, v4
	s_waitcnt lgkmcnt(0)
	v_add3_u32 v6, v4, v6, v7
	v_lshl_add_u64 v[4:5], v[2:3], 2, s[6:7]
	global_atomic_add v[4:5], v6, off
	s_branch .LBB839_473
.LBB839_476:
	s_mov_b64 s[2:3], 0
.LBB839_477:
	s_and_b64 vcc, exec, s[2:3]
	s_cbranch_vccz .LBB839_613
; %bb.478:
	s_cmp_eq_u32 s8, 0
	s_cselect_b64 s[0:1], -1, 0
	s_cmp_eq_u32 s9, 64
	s_mov_b32 s11, 0
	s_cselect_b64 s[2:3], -1, 0
	s_and_b64 s[2:3], s[0:1], s[2:3]
	s_lshl_b64 s[0:1], s[10:11], 3
	s_add_u32 s0, s4, s0
	s_addc_u32 s1, s5, s1
	v_mov_b32_e32 v27, 0
	v_lshlrev_b32_e32 v26, 3, v0
	v_lshl_add_u64 v[2:3], s[0:1], 0, v[26:27]
	s_movk_i32 s4, 0x2000
	v_add_co_u32_e32 v4, vcc, s4, v2
	s_movk_i32 s4, 0x4000
	s_nop 0
	v_addc_co_u32_e32 v5, vcc, 0, v3, vcc
	v_add_co_u32_e32 v6, vcc, s4, v2
	s_movk_i32 s4, 0x6000
	s_nop 0
	v_addc_co_u32_e32 v7, vcc, 0, v3, vcc
	global_load_dwordx2 v[22:23], v[4:5], off offset:-4096
	global_load_dwordx2 v[20:21], v[4:5], off
	global_load_dwordx2 v[18:19], v[6:7], off offset:-4096
	global_load_dwordx2 v[16:17], v[6:7], off
	v_add_co_u32_e32 v4, vcc, s4, v2
	s_mov_b32 s4, 0x8000
	s_nop 0
	v_addc_co_u32_e32 v5, vcc, 0, v3, vcc
	v_add_co_u32_e32 v6, vcc, s4, v2
	s_mov_b32 s4, 0x9000
	s_nop 0
	v_addc_co_u32_e32 v7, vcc, 0, v3, vcc
	v_add_co_u32_e32 v24, vcc, s4, v2
	global_load_dwordx2 v[14:15], v[4:5], off offset:-4096
	global_load_dwordx2 v[12:13], v[4:5], off
	global_load_dwordx2 v[10:11], v[6:7], off offset:-4096
	global_load_dwordx2 v[8:9], v[6:7], off
	v_addc_co_u32_e32 v25, vcc, 0, v3, vcc
	v_add_co_u32_e32 v28, vcc, 0xa000, v2
	v_lshlrev_b32_e32 v1, 2, v0
	s_nop 0
	v_addc_co_u32_e32 v29, vcc, 0, v3, vcc
	global_load_dwordx2 v[6:7], v[24:25], off
	global_load_dwordx2 v[4:5], v[28:29], off
	v_add_co_u32_e32 v28, vcc, 0xb000, v2
	s_nop 1
	v_addc_co_u32_e32 v29, vcc, 0, v3, vcc
	global_load_dwordx2 v[24:25], v26, s[0:1]
	global_load_dwordx2 v[2:3], v[28:29], off
	s_mov_b64 s[0:1], -1
	s_and_b64 vcc, exec, s[2:3]
	s_cbranch_vccnz .LBB839_608
; %bb.479:
	v_or_b32_e32 v26, 0xfffffe00, v0
	v_lshlrev_b32_e32 v28, 2, v0
	s_mov_b64 s[0:1], 0
	s_movk_i32 s2, 0x1dff
.LBB839_480:                            ; =>This Inner Loop Header: Depth=1
	v_add_u32_e32 v26, 0x200, v26
	v_cmp_lt_u32_e32 vcc, s2, v26
	ds_write_b32 v28, v27
	s_or_b64 s[0:1], vcc, s[0:1]
	v_add_u32_e32 v28, 0x800, v28
	s_andn2_b64 exec, exec, s[0:1]
	s_cbranch_execnz .LBB839_480
; %bb.481:
	s_or_b64 exec, exec, s[0:1]
	s_cmp_lt_u32 s8, s9
	s_cselect_b64 s[0:1], -1, 0
	s_and_b64 vcc, exec, s[0:1]
	s_waitcnt lgkmcnt(0)
	s_barrier
	s_cbranch_vccz .LBB839_602
; %bb.482:
	s_sub_i32 s2, s9, s8
	s_min_u32 s2, s2, 8
	s_lshl_b32 s2, -1, s2
	v_and_b32_e32 v28, 3, v0
	s_not_b32 s12, s2
	s_waitcnt vmcnt(1)
	v_lshrrev_b64 v[26:27], s8, v[24:25]
	v_and_b32_e32 v26, s12, v26
	v_lshlrev_b32_e32 v29, 2, v28
	v_lshl_or_b32 v26, v26, 4, v29
	v_mov_b32_e32 v27, 1
	ds_add_u32 v26, v27
	s_add_i32 s13, s8, 8
	s_cmp_le_u32 s9, s13
	s_cselect_b64 s[2:3], -1, 0
	s_and_b64 vcc, exec, s[2:3]
	v_lshrrev_b64 v[26:27], s8, v[22:23]
	s_cbranch_vccz .LBB839_484
; %bb.483:
	v_and_b32_e32 v27, s12, v26
	v_lshl_or_b32 v27, v27, 2, v28
	s_mov_b64 s[4:5], -1
	s_cbranch_execz .LBB839_485
	s_branch .LBB839_500
.LBB839_484:
	s_mov_b64 s[4:5], 0
                                        ; implicit-def: $vgpr27
.LBB839_485:
	s_sub_i32 s10, s9, s13
	s_min_u32 s10, s10, 8
	s_lshl_b32 s10, -1, s10
	s_not_b32 s15, s10
	v_lshrrev_b64 v[30:31], s13, v[24:25]
	v_and_b32_e32 v27, s15, v30
	v_lshl_or_b32 v30, v27, 4, v29
	v_mov_b32_e32 v27, 1
	ds_add_u32 v30, v27 offset:4096
	s_add_i32 s14, s8, 16
	s_cmp_gt_u32 s9, s14
	s_cselect_b64 s[10:11], -1, 0
	s_cmp_le_u32 s9, s14
	s_cbranch_scc1 .LBB839_492
; %bb.486:
	s_sub_i32 s16, s9, s14
	s_min_u32 s16, s16, 8
	v_lshrrev_b64 v[30:31], s14, v[24:25]
	v_bfe_u32 v30, v30, 0, s16
	v_lshl_or_b32 v30, v30, 4, v29
	ds_add_u32 v30, v27 offset:8192
	s_add_i32 s16, s8, 24
	s_cmp_le_u32 s9, s16
	s_cbranch_scc1 .LBB839_492
; %bb.487:
	s_sub_i32 s17, s9, s16
	s_min_u32 s17, s17, 8
	v_lshrrev_b64 v[30:31], s16, v[24:25]
	v_bfe_u32 v30, v30, 0, s17
	v_lshl_or_b32 v31, v30, 4, v29
	v_mov_b32_e32 v30, 1
	ds_add_u32 v31, v30 offset:12288
	s_add_i32 s16, s8, 32
	s_cmp_le_u32 s9, s16
	s_cbranch_scc1 .LBB839_492
; %bb.488:
	s_sub_i32 s17, s9, s16
	s_min_u32 s17, s17, 8
	v_lshrrev_b64 v[32:33], s16, v[24:25]
	v_bfe_u32 v31, v32, 0, s17
	v_lshl_or_b32 v31, v31, 4, v29
	ds_add_u32 v31, v30 offset:16384
	s_add_i32 s16, s8, 40
	s_cmp_le_u32 s9, s16
	s_cbranch_scc1 .LBB839_492
; %bb.489:
	s_sub_i32 s17, s9, s16
	s_min_u32 s17, s17, 8
	v_lshrrev_b64 v[30:31], s16, v[24:25]
	v_bfe_u32 v30, v30, 0, s17
	v_lshl_or_b32 v31, v30, 4, v29
	v_mov_b32_e32 v30, 1
	ds_add_u32 v31, v30 offset:20480
	s_add_i32 s16, s8, 48
	s_cmp_le_u32 s9, s16
	s_cbranch_scc1 .LBB839_492
; %bb.490:
	s_sub_i32 s17, s9, s16
	s_min_u32 s17, s17, 8
	v_lshrrev_b64 v[32:33], s16, v[24:25]
	v_bfe_u32 v31, v32, 0, s17
	v_lshl_or_b32 v31, v31, 4, v29
	ds_add_u32 v31, v30 offset:24576
	s_add_i32 s16, s8, 56
	s_cmp_le_u32 s9, s16
	s_cbranch_scc1 .LBB839_492
; %bb.491:
	s_sub_i32 s17, s9, s16
	s_min_u32 s17, s17, 8
	v_lshrrev_b64 v[30:31], s16, v[24:25]
	v_bfe_u32 v30, v30, 0, s17
	v_lshl_or_b32 v30, v30, 4, v29
	v_mov_b32_e32 v31, 1
	ds_add_u32 v30, v31 offset:28672
.LBB839_492:
	v_and_b32_e32 v26, s12, v26
	v_lshl_or_b32 v26, v26, 4, v29
	v_lshrrev_b64 v[30:31], s13, v[22:23]
	ds_add_u32 v26, v27
	v_and_b32_e32 v26, s15, v30
	v_lshl_or_b32 v26, v26, 4, v29
	ds_add_u32 v26, v27 offset:4096
	s_andn2_b64 vcc, exec, s[10:11]
	s_cbranch_vccnz .LBB839_499
; %bb.493:
	s_sub_i32 s10, s9, s14
	s_min_u32 s10, s10, 8
	v_lshrrev_b64 v[26:27], s14, v[22:23]
	v_bfe_u32 v26, v26, 0, s10
	v_lshl_or_b32 v27, v26, 4, v29
	v_mov_b32_e32 v26, 1
	ds_add_u32 v27, v26 offset:8192
	s_add_i32 s10, s8, 24
	s_cmp_gt_u32 s9, s10
	s_cbranch_scc0 .LBB839_499
; %bb.494:
	s_sub_i32 s11, s9, s10
	s_min_u32 s11, s11, 8
	v_lshrrev_b64 v[30:31], s10, v[22:23]
	v_bfe_u32 v27, v30, 0, s11
	v_lshl_or_b32 v27, v27, 4, v29
	ds_add_u32 v27, v26 offset:12288
	s_add_i32 s10, s8, 32
	s_cmp_gt_u32 s9, s10
	s_cbranch_scc0 .LBB839_499
; %bb.495:
	s_sub_i32 s11, s9, s10
	s_min_u32 s11, s11, 8
	v_lshrrev_b64 v[26:27], s10, v[22:23]
	v_bfe_u32 v26, v26, 0, s11
	v_lshl_or_b32 v27, v26, 4, v29
	v_mov_b32_e32 v26, 1
	ds_add_u32 v27, v26 offset:16384
	s_add_i32 s10, s8, 40
	s_cmp_gt_u32 s9, s10
	s_cbranch_scc0 .LBB839_499
; %bb.496:
	s_sub_i32 s11, s9, s10
	s_min_u32 s11, s11, 8
	v_lshrrev_b64 v[30:31], s10, v[22:23]
	v_bfe_u32 v27, v30, 0, s11
	v_lshl_or_b32 v27, v27, 4, v29
	ds_add_u32 v27, v26 offset:20480
	s_add_i32 s10, s8, 48
	s_cmp_gt_u32 s9, s10
	s_cbranch_scc0 .LBB839_499
; %bb.497:
	s_sub_i32 s11, s9, s10
	s_min_u32 s11, s11, 8
	v_lshrrev_b64 v[26:27], s10, v[22:23]
	v_bfe_u32 v26, v26, 0, s11
	v_lshl_or_b32 v26, v26, 4, v29
	v_mov_b32_e32 v27, 1
	ds_add_u32 v26, v27 offset:24576
	s_add_i32 s10, s8, 56
	s_cmp_gt_u32 s9, s10
	s_cbranch_scc0 .LBB839_499
; %bb.498:
	s_sub_i32 s4, s9, s10
	s_min_u32 s4, s4, 8
	v_lshrrev_b64 v[26:27], s10, v[22:23]
	v_bfe_u32 v26, v26, 0, s4
	v_lshl_or_b32 v26, v26, 2, v28
	v_add_u32_e32 v27, 0x1c00, v26
	s_mov_b64 s[4:5], -1
	s_branch .LBB839_500
.LBB839_499:
                                        ; implicit-def: $vgpr27
.LBB839_500:
	s_and_b64 vcc, exec, s[4:5]
	s_cbranch_vccz .LBB839_502
; %bb.501:
	v_lshlrev_b32_e32 v26, 2, v27
	v_mov_b32_e32 v27, 1
	ds_add_u32 v26, v27
.LBB839_502:
	v_lshrrev_b64 v[26:27], s8, v[20:21]
	v_and_b32_e32 v26, s12, v26
	v_lshl_or_b32 v26, v26, 4, v29
	v_mov_b32_e32 v27, 1
	ds_add_u32 v26, v27
	s_and_b64 vcc, exec, s[2:3]
	v_lshrrev_b64 v[26:27], s8, v[18:19]
	s_cbranch_vccz .LBB839_504
; %bb.503:
	v_and_b32_e32 v27, s12, v26
	v_lshl_or_b32 v27, v27, 2, v28
	s_mov_b64 s[4:5], -1
	s_cbranch_execz .LBB839_505
	s_branch .LBB839_520
.LBB839_504:
	s_mov_b64 s[4:5], 0
                                        ; implicit-def: $vgpr27
.LBB839_505:
	s_sub_i32 s10, s9, s13
	s_min_u32 s10, s10, 8
	s_lshl_b32 s10, -1, s10
	s_not_b32 s15, s10
	v_lshrrev_b64 v[30:31], s13, v[20:21]
	v_and_b32_e32 v27, s15, v30
	v_lshl_or_b32 v30, v27, 4, v29
	v_mov_b32_e32 v27, 1
	ds_add_u32 v30, v27 offset:4096
	s_add_i32 s14, s8, 16
	s_cmp_gt_u32 s9, s14
	s_cselect_b64 s[10:11], -1, 0
	s_cmp_le_u32 s9, s14
	s_cbranch_scc1 .LBB839_512
; %bb.506:
	s_sub_i32 s16, s9, s14
	s_min_u32 s16, s16, 8
	v_lshrrev_b64 v[30:31], s14, v[20:21]
	v_bfe_u32 v30, v30, 0, s16
	v_lshl_or_b32 v30, v30, 4, v29
	ds_add_u32 v30, v27 offset:8192
	s_add_i32 s16, s8, 24
	s_cmp_le_u32 s9, s16
	s_cbranch_scc1 .LBB839_512
; %bb.507:
	s_sub_i32 s17, s9, s16
	s_min_u32 s17, s17, 8
	v_lshrrev_b64 v[30:31], s16, v[20:21]
	v_bfe_u32 v30, v30, 0, s17
	v_lshl_or_b32 v31, v30, 4, v29
	v_mov_b32_e32 v30, 1
	ds_add_u32 v31, v30 offset:12288
	s_add_i32 s16, s8, 32
	s_cmp_le_u32 s9, s16
	s_cbranch_scc1 .LBB839_512
; %bb.508:
	s_sub_i32 s17, s9, s16
	s_min_u32 s17, s17, 8
	v_lshrrev_b64 v[32:33], s16, v[20:21]
	v_bfe_u32 v31, v32, 0, s17
	v_lshl_or_b32 v31, v31, 4, v29
	ds_add_u32 v31, v30 offset:16384
	s_add_i32 s16, s8, 40
	s_cmp_le_u32 s9, s16
	s_cbranch_scc1 .LBB839_512
; %bb.509:
	s_sub_i32 s17, s9, s16
	s_min_u32 s17, s17, 8
	v_lshrrev_b64 v[30:31], s16, v[20:21]
	v_bfe_u32 v30, v30, 0, s17
	v_lshl_or_b32 v31, v30, 4, v29
	v_mov_b32_e32 v30, 1
	ds_add_u32 v31, v30 offset:20480
	s_add_i32 s16, s8, 48
	s_cmp_le_u32 s9, s16
	s_cbranch_scc1 .LBB839_512
; %bb.510:
	s_sub_i32 s17, s9, s16
	s_min_u32 s17, s17, 8
	v_lshrrev_b64 v[32:33], s16, v[20:21]
	v_bfe_u32 v31, v32, 0, s17
	v_lshl_or_b32 v31, v31, 4, v29
	ds_add_u32 v31, v30 offset:24576
	s_add_i32 s16, s8, 56
	s_cmp_le_u32 s9, s16
	s_cbranch_scc1 .LBB839_512
; %bb.511:
	s_sub_i32 s17, s9, s16
	s_min_u32 s17, s17, 8
	v_lshrrev_b64 v[30:31], s16, v[20:21]
	v_bfe_u32 v30, v30, 0, s17
	v_lshl_or_b32 v30, v30, 4, v29
	v_mov_b32_e32 v31, 1
	ds_add_u32 v30, v31 offset:28672
.LBB839_512:
	v_and_b32_e32 v26, s12, v26
	v_lshl_or_b32 v26, v26, 4, v29
	v_lshrrev_b64 v[30:31], s13, v[18:19]
	ds_add_u32 v26, v27
	v_and_b32_e32 v26, s15, v30
	v_lshl_or_b32 v26, v26, 4, v29
	ds_add_u32 v26, v27 offset:4096
	s_andn2_b64 vcc, exec, s[10:11]
	s_cbranch_vccnz .LBB839_519
; %bb.513:
	s_sub_i32 s10, s9, s14
	s_min_u32 s10, s10, 8
	v_lshrrev_b64 v[26:27], s14, v[18:19]
	v_bfe_u32 v26, v26, 0, s10
	v_lshl_or_b32 v27, v26, 4, v29
	v_mov_b32_e32 v26, 1
	ds_add_u32 v27, v26 offset:8192
	s_add_i32 s10, s8, 24
	s_cmp_gt_u32 s9, s10
	s_cbranch_scc0 .LBB839_519
; %bb.514:
	s_sub_i32 s11, s9, s10
	s_min_u32 s11, s11, 8
	v_lshrrev_b64 v[30:31], s10, v[18:19]
	v_bfe_u32 v27, v30, 0, s11
	v_lshl_or_b32 v27, v27, 4, v29
	ds_add_u32 v27, v26 offset:12288
	s_add_i32 s10, s8, 32
	s_cmp_gt_u32 s9, s10
	s_cbranch_scc0 .LBB839_519
; %bb.515:
	s_sub_i32 s11, s9, s10
	s_min_u32 s11, s11, 8
	v_lshrrev_b64 v[26:27], s10, v[18:19]
	v_bfe_u32 v26, v26, 0, s11
	v_lshl_or_b32 v27, v26, 4, v29
	v_mov_b32_e32 v26, 1
	ds_add_u32 v27, v26 offset:16384
	s_add_i32 s10, s8, 40
	s_cmp_gt_u32 s9, s10
	s_cbranch_scc0 .LBB839_519
; %bb.516:
	s_sub_i32 s11, s9, s10
	s_min_u32 s11, s11, 8
	v_lshrrev_b64 v[30:31], s10, v[18:19]
	v_bfe_u32 v27, v30, 0, s11
	v_lshl_or_b32 v27, v27, 4, v29
	ds_add_u32 v27, v26 offset:20480
	s_add_i32 s10, s8, 48
	s_cmp_gt_u32 s9, s10
	s_cbranch_scc0 .LBB839_519
; %bb.517:
	s_sub_i32 s11, s9, s10
	s_min_u32 s11, s11, 8
	v_lshrrev_b64 v[26:27], s10, v[18:19]
	v_bfe_u32 v26, v26, 0, s11
	v_lshl_or_b32 v26, v26, 4, v29
	v_mov_b32_e32 v27, 1
	ds_add_u32 v26, v27 offset:24576
	s_add_i32 s10, s8, 56
	s_cmp_gt_u32 s9, s10
	s_cbranch_scc0 .LBB839_519
; %bb.518:
	s_sub_i32 s4, s9, s10
	s_min_u32 s4, s4, 8
	v_lshrrev_b64 v[26:27], s10, v[18:19]
	v_bfe_u32 v26, v26, 0, s4
	v_lshl_or_b32 v26, v26, 2, v28
	v_add_u32_e32 v27, 0x1c00, v26
	s_mov_b64 s[4:5], -1
	s_branch .LBB839_520
.LBB839_519:
                                        ; implicit-def: $vgpr27
.LBB839_520:
	s_and_b64 vcc, exec, s[4:5]
	s_cbranch_vccz .LBB839_522
; %bb.521:
	v_lshlrev_b32_e32 v26, 2, v27
	v_mov_b32_e32 v27, 1
	ds_add_u32 v26, v27
.LBB839_522:
	v_lshrrev_b64 v[26:27], s8, v[16:17]
	v_and_b32_e32 v26, s12, v26
	v_lshl_or_b32 v26, v26, 4, v29
	v_mov_b32_e32 v27, 1
	ds_add_u32 v26, v27
	s_and_b64 vcc, exec, s[2:3]
	v_lshrrev_b64 v[26:27], s8, v[14:15]
	s_cbranch_vccz .LBB839_524
; %bb.523:
	v_and_b32_e32 v27, s12, v26
	v_lshl_or_b32 v27, v27, 2, v28
	s_mov_b64 s[4:5], -1
	s_cbranch_execz .LBB839_525
	s_branch .LBB839_540
.LBB839_524:
	s_mov_b64 s[4:5], 0
                                        ; implicit-def: $vgpr27
.LBB839_525:
	s_sub_i32 s10, s9, s13
	s_min_u32 s10, s10, 8
	s_lshl_b32 s10, -1, s10
	s_not_b32 s15, s10
	v_lshrrev_b64 v[30:31], s13, v[16:17]
	v_and_b32_e32 v27, s15, v30
	v_lshl_or_b32 v30, v27, 4, v29
	v_mov_b32_e32 v27, 1
	ds_add_u32 v30, v27 offset:4096
	s_add_i32 s14, s8, 16
	s_cmp_gt_u32 s9, s14
	s_cselect_b64 s[10:11], -1, 0
	s_cmp_le_u32 s9, s14
	s_cbranch_scc1 .LBB839_532
; %bb.526:
	s_sub_i32 s16, s9, s14
	s_min_u32 s16, s16, 8
	v_lshrrev_b64 v[30:31], s14, v[16:17]
	v_bfe_u32 v30, v30, 0, s16
	v_lshl_or_b32 v30, v30, 4, v29
	ds_add_u32 v30, v27 offset:8192
	s_add_i32 s16, s8, 24
	s_cmp_le_u32 s9, s16
	s_cbranch_scc1 .LBB839_532
; %bb.527:
	s_sub_i32 s17, s9, s16
	s_min_u32 s17, s17, 8
	v_lshrrev_b64 v[30:31], s16, v[16:17]
	v_bfe_u32 v30, v30, 0, s17
	v_lshl_or_b32 v31, v30, 4, v29
	v_mov_b32_e32 v30, 1
	ds_add_u32 v31, v30 offset:12288
	s_add_i32 s16, s8, 32
	s_cmp_le_u32 s9, s16
	s_cbranch_scc1 .LBB839_532
; %bb.528:
	s_sub_i32 s17, s9, s16
	s_min_u32 s17, s17, 8
	v_lshrrev_b64 v[32:33], s16, v[16:17]
	v_bfe_u32 v31, v32, 0, s17
	v_lshl_or_b32 v31, v31, 4, v29
	ds_add_u32 v31, v30 offset:16384
	s_add_i32 s16, s8, 40
	s_cmp_le_u32 s9, s16
	s_cbranch_scc1 .LBB839_532
; %bb.529:
	s_sub_i32 s17, s9, s16
	s_min_u32 s17, s17, 8
	v_lshrrev_b64 v[30:31], s16, v[16:17]
	v_bfe_u32 v30, v30, 0, s17
	v_lshl_or_b32 v31, v30, 4, v29
	v_mov_b32_e32 v30, 1
	ds_add_u32 v31, v30 offset:20480
	s_add_i32 s16, s8, 48
	s_cmp_le_u32 s9, s16
	s_cbranch_scc1 .LBB839_532
; %bb.530:
	s_sub_i32 s17, s9, s16
	s_min_u32 s17, s17, 8
	v_lshrrev_b64 v[32:33], s16, v[16:17]
	v_bfe_u32 v31, v32, 0, s17
	v_lshl_or_b32 v31, v31, 4, v29
	ds_add_u32 v31, v30 offset:24576
	s_add_i32 s16, s8, 56
	s_cmp_le_u32 s9, s16
	s_cbranch_scc1 .LBB839_532
; %bb.531:
	s_sub_i32 s17, s9, s16
	s_min_u32 s17, s17, 8
	v_lshrrev_b64 v[30:31], s16, v[16:17]
	v_bfe_u32 v30, v30, 0, s17
	v_lshl_or_b32 v30, v30, 4, v29
	v_mov_b32_e32 v31, 1
	ds_add_u32 v30, v31 offset:28672
.LBB839_532:
	v_and_b32_e32 v26, s12, v26
	v_lshl_or_b32 v26, v26, 4, v29
	v_lshrrev_b64 v[30:31], s13, v[14:15]
	ds_add_u32 v26, v27
	v_and_b32_e32 v26, s15, v30
	v_lshl_or_b32 v26, v26, 4, v29
	ds_add_u32 v26, v27 offset:4096
	s_andn2_b64 vcc, exec, s[10:11]
	s_cbranch_vccnz .LBB839_539
; %bb.533:
	s_sub_i32 s10, s9, s14
	s_min_u32 s10, s10, 8
	v_lshrrev_b64 v[26:27], s14, v[14:15]
	v_bfe_u32 v26, v26, 0, s10
	v_lshl_or_b32 v27, v26, 4, v29
	v_mov_b32_e32 v26, 1
	ds_add_u32 v27, v26 offset:8192
	s_add_i32 s10, s8, 24
	s_cmp_gt_u32 s9, s10
	s_cbranch_scc0 .LBB839_539
; %bb.534:
	s_sub_i32 s11, s9, s10
	s_min_u32 s11, s11, 8
	v_lshrrev_b64 v[30:31], s10, v[14:15]
	v_bfe_u32 v27, v30, 0, s11
	v_lshl_or_b32 v27, v27, 4, v29
	ds_add_u32 v27, v26 offset:12288
	s_add_i32 s10, s8, 32
	s_cmp_gt_u32 s9, s10
	s_cbranch_scc0 .LBB839_539
; %bb.535:
	s_sub_i32 s11, s9, s10
	s_min_u32 s11, s11, 8
	v_lshrrev_b64 v[26:27], s10, v[14:15]
	v_bfe_u32 v26, v26, 0, s11
	v_lshl_or_b32 v27, v26, 4, v29
	v_mov_b32_e32 v26, 1
	ds_add_u32 v27, v26 offset:16384
	s_add_i32 s10, s8, 40
	s_cmp_gt_u32 s9, s10
	s_cbranch_scc0 .LBB839_539
; %bb.536:
	s_sub_i32 s11, s9, s10
	s_min_u32 s11, s11, 8
	v_lshrrev_b64 v[30:31], s10, v[14:15]
	v_bfe_u32 v27, v30, 0, s11
	v_lshl_or_b32 v27, v27, 4, v29
	ds_add_u32 v27, v26 offset:20480
	s_add_i32 s10, s8, 48
	s_cmp_gt_u32 s9, s10
	s_cbranch_scc0 .LBB839_539
; %bb.537:
	s_sub_i32 s11, s9, s10
	s_min_u32 s11, s11, 8
	v_lshrrev_b64 v[26:27], s10, v[14:15]
	v_bfe_u32 v26, v26, 0, s11
	v_lshl_or_b32 v26, v26, 4, v29
	v_mov_b32_e32 v27, 1
	ds_add_u32 v26, v27 offset:24576
	s_add_i32 s10, s8, 56
	s_cmp_gt_u32 s9, s10
	s_cbranch_scc0 .LBB839_539
; %bb.538:
	s_sub_i32 s4, s9, s10
	s_min_u32 s4, s4, 8
	v_lshrrev_b64 v[26:27], s10, v[14:15]
	v_bfe_u32 v26, v26, 0, s4
	v_lshl_or_b32 v26, v26, 2, v28
	v_add_u32_e32 v27, 0x1c00, v26
	s_mov_b64 s[4:5], -1
	s_branch .LBB839_540
.LBB839_539:
                                        ; implicit-def: $vgpr27
.LBB839_540:
	s_and_b64 vcc, exec, s[4:5]
	s_cbranch_vccz .LBB839_542
; %bb.541:
	v_lshlrev_b32_e32 v26, 2, v27
	v_mov_b32_e32 v27, 1
	ds_add_u32 v26, v27
.LBB839_542:
	v_lshrrev_b64 v[26:27], s8, v[12:13]
	v_and_b32_e32 v26, s12, v26
	v_lshl_or_b32 v26, v26, 4, v29
	v_mov_b32_e32 v27, 1
	ds_add_u32 v26, v27
	s_and_b64 vcc, exec, s[2:3]
	v_lshrrev_b64 v[26:27], s8, v[10:11]
	s_cbranch_vccz .LBB839_544
; %bb.543:
	v_and_b32_e32 v27, s12, v26
	v_lshl_or_b32 v27, v27, 2, v28
	s_mov_b64 s[4:5], -1
	s_cbranch_execz .LBB839_545
	s_branch .LBB839_560
.LBB839_544:
	s_mov_b64 s[4:5], 0
                                        ; implicit-def: $vgpr27
.LBB839_545:
	s_sub_i32 s10, s9, s13
	s_min_u32 s10, s10, 8
	s_lshl_b32 s10, -1, s10
	s_not_b32 s15, s10
	v_lshrrev_b64 v[30:31], s13, v[12:13]
	v_and_b32_e32 v27, s15, v30
	v_lshl_or_b32 v30, v27, 4, v29
	v_mov_b32_e32 v27, 1
	ds_add_u32 v30, v27 offset:4096
	s_add_i32 s14, s8, 16
	s_cmp_gt_u32 s9, s14
	s_cselect_b64 s[10:11], -1, 0
	s_cmp_le_u32 s9, s14
	s_cbranch_scc1 .LBB839_552
; %bb.546:
	s_sub_i32 s16, s9, s14
	s_min_u32 s16, s16, 8
	v_lshrrev_b64 v[30:31], s14, v[12:13]
	v_bfe_u32 v30, v30, 0, s16
	v_lshl_or_b32 v30, v30, 4, v29
	ds_add_u32 v30, v27 offset:8192
	s_add_i32 s16, s8, 24
	s_cmp_le_u32 s9, s16
	s_cbranch_scc1 .LBB839_552
; %bb.547:
	s_sub_i32 s17, s9, s16
	s_min_u32 s17, s17, 8
	v_lshrrev_b64 v[30:31], s16, v[12:13]
	v_bfe_u32 v30, v30, 0, s17
	v_lshl_or_b32 v31, v30, 4, v29
	v_mov_b32_e32 v30, 1
	ds_add_u32 v31, v30 offset:12288
	s_add_i32 s16, s8, 32
	s_cmp_le_u32 s9, s16
	s_cbranch_scc1 .LBB839_552
; %bb.548:
	s_sub_i32 s17, s9, s16
	s_min_u32 s17, s17, 8
	v_lshrrev_b64 v[32:33], s16, v[12:13]
	v_bfe_u32 v31, v32, 0, s17
	v_lshl_or_b32 v31, v31, 4, v29
	ds_add_u32 v31, v30 offset:16384
	s_add_i32 s16, s8, 40
	s_cmp_le_u32 s9, s16
	s_cbranch_scc1 .LBB839_552
; %bb.549:
	s_sub_i32 s17, s9, s16
	s_min_u32 s17, s17, 8
	v_lshrrev_b64 v[30:31], s16, v[12:13]
	v_bfe_u32 v30, v30, 0, s17
	v_lshl_or_b32 v31, v30, 4, v29
	v_mov_b32_e32 v30, 1
	ds_add_u32 v31, v30 offset:20480
	s_add_i32 s16, s8, 48
	s_cmp_le_u32 s9, s16
	s_cbranch_scc1 .LBB839_552
; %bb.550:
	s_sub_i32 s17, s9, s16
	s_min_u32 s17, s17, 8
	v_lshrrev_b64 v[32:33], s16, v[12:13]
	v_bfe_u32 v31, v32, 0, s17
	v_lshl_or_b32 v31, v31, 4, v29
	ds_add_u32 v31, v30 offset:24576
	s_add_i32 s16, s8, 56
	s_cmp_le_u32 s9, s16
	s_cbranch_scc1 .LBB839_552
; %bb.551:
	s_sub_i32 s17, s9, s16
	s_min_u32 s17, s17, 8
	v_lshrrev_b64 v[30:31], s16, v[12:13]
	v_bfe_u32 v30, v30, 0, s17
	v_lshl_or_b32 v30, v30, 4, v29
	v_mov_b32_e32 v31, 1
	ds_add_u32 v30, v31 offset:28672
.LBB839_552:
	v_and_b32_e32 v26, s12, v26
	v_lshl_or_b32 v26, v26, 4, v29
	v_lshrrev_b64 v[30:31], s13, v[10:11]
	ds_add_u32 v26, v27
	v_and_b32_e32 v26, s15, v30
	v_lshl_or_b32 v26, v26, 4, v29
	ds_add_u32 v26, v27 offset:4096
	s_andn2_b64 vcc, exec, s[10:11]
	s_cbranch_vccnz .LBB839_559
; %bb.553:
	s_sub_i32 s10, s9, s14
	s_min_u32 s10, s10, 8
	v_lshrrev_b64 v[26:27], s14, v[10:11]
	v_bfe_u32 v26, v26, 0, s10
	v_lshl_or_b32 v27, v26, 4, v29
	v_mov_b32_e32 v26, 1
	ds_add_u32 v27, v26 offset:8192
	s_add_i32 s10, s8, 24
	s_cmp_gt_u32 s9, s10
	s_cbranch_scc0 .LBB839_559
; %bb.554:
	s_sub_i32 s11, s9, s10
	s_min_u32 s11, s11, 8
	v_lshrrev_b64 v[30:31], s10, v[10:11]
	v_bfe_u32 v27, v30, 0, s11
	v_lshl_or_b32 v27, v27, 4, v29
	ds_add_u32 v27, v26 offset:12288
	s_add_i32 s10, s8, 32
	s_cmp_gt_u32 s9, s10
	s_cbranch_scc0 .LBB839_559
; %bb.555:
	s_sub_i32 s11, s9, s10
	s_min_u32 s11, s11, 8
	v_lshrrev_b64 v[26:27], s10, v[10:11]
	v_bfe_u32 v26, v26, 0, s11
	v_lshl_or_b32 v27, v26, 4, v29
	v_mov_b32_e32 v26, 1
	ds_add_u32 v27, v26 offset:16384
	s_add_i32 s10, s8, 40
	s_cmp_gt_u32 s9, s10
	s_cbranch_scc0 .LBB839_559
; %bb.556:
	s_sub_i32 s11, s9, s10
	s_min_u32 s11, s11, 8
	v_lshrrev_b64 v[30:31], s10, v[10:11]
	v_bfe_u32 v27, v30, 0, s11
	v_lshl_or_b32 v27, v27, 4, v29
	ds_add_u32 v27, v26 offset:20480
	s_add_i32 s10, s8, 48
	s_cmp_gt_u32 s9, s10
	s_cbranch_scc0 .LBB839_559
; %bb.557:
	s_sub_i32 s11, s9, s10
	s_min_u32 s11, s11, 8
	v_lshrrev_b64 v[26:27], s10, v[10:11]
	v_bfe_u32 v26, v26, 0, s11
	v_lshl_or_b32 v26, v26, 4, v29
	v_mov_b32_e32 v27, 1
	ds_add_u32 v26, v27 offset:24576
	s_add_i32 s10, s8, 56
	s_cmp_gt_u32 s9, s10
	s_cbranch_scc0 .LBB839_559
; %bb.558:
	s_sub_i32 s4, s9, s10
	s_min_u32 s4, s4, 8
	v_lshrrev_b64 v[26:27], s10, v[10:11]
	v_bfe_u32 v26, v26, 0, s4
	v_lshl_or_b32 v26, v26, 2, v28
	v_add_u32_e32 v27, 0x1c00, v26
	s_mov_b64 s[4:5], -1
	s_branch .LBB839_560
.LBB839_559:
                                        ; implicit-def: $vgpr27
.LBB839_560:
	s_and_b64 vcc, exec, s[4:5]
	s_cbranch_vccz .LBB839_562
; %bb.561:
	v_lshlrev_b32_e32 v26, 2, v27
	v_mov_b32_e32 v27, 1
	ds_add_u32 v26, v27
.LBB839_562:
	v_lshrrev_b64 v[26:27], s8, v[8:9]
	v_and_b32_e32 v26, s12, v26
	v_lshl_or_b32 v26, v26, 4, v29
	v_mov_b32_e32 v27, 1
	ds_add_u32 v26, v27
	s_and_b64 vcc, exec, s[2:3]
	v_lshrrev_b64 v[26:27], s8, v[6:7]
	s_cbranch_vccz .LBB839_564
; %bb.563:
	v_and_b32_e32 v27, s12, v26
	v_lshl_or_b32 v27, v27, 2, v28
	s_mov_b64 s[4:5], -1
	s_cbranch_execz .LBB839_565
	s_branch .LBB839_580
.LBB839_564:
	s_mov_b64 s[4:5], 0
                                        ; implicit-def: $vgpr27
.LBB839_565:
	s_sub_i32 s10, s9, s13
	s_min_u32 s10, s10, 8
	s_lshl_b32 s10, -1, s10
	s_not_b32 s15, s10
	v_lshrrev_b64 v[30:31], s13, v[8:9]
	v_and_b32_e32 v27, s15, v30
	v_lshl_or_b32 v30, v27, 4, v29
	v_mov_b32_e32 v27, 1
	ds_add_u32 v30, v27 offset:4096
	s_add_i32 s14, s8, 16
	s_cmp_gt_u32 s9, s14
	s_cselect_b64 s[10:11], -1, 0
	s_cmp_le_u32 s9, s14
	s_cbranch_scc1 .LBB839_572
; %bb.566:
	s_sub_i32 s16, s9, s14
	s_min_u32 s16, s16, 8
	v_lshrrev_b64 v[30:31], s14, v[8:9]
	v_bfe_u32 v30, v30, 0, s16
	v_lshl_or_b32 v30, v30, 4, v29
	ds_add_u32 v30, v27 offset:8192
	s_add_i32 s16, s8, 24
	s_cmp_le_u32 s9, s16
	s_cbranch_scc1 .LBB839_572
; %bb.567:
	s_sub_i32 s17, s9, s16
	s_min_u32 s17, s17, 8
	v_lshrrev_b64 v[30:31], s16, v[8:9]
	v_bfe_u32 v30, v30, 0, s17
	v_lshl_or_b32 v31, v30, 4, v29
	v_mov_b32_e32 v30, 1
	ds_add_u32 v31, v30 offset:12288
	s_add_i32 s16, s8, 32
	s_cmp_le_u32 s9, s16
	s_cbranch_scc1 .LBB839_572
; %bb.568:
	s_sub_i32 s17, s9, s16
	s_min_u32 s17, s17, 8
	v_lshrrev_b64 v[32:33], s16, v[8:9]
	v_bfe_u32 v31, v32, 0, s17
	v_lshl_or_b32 v31, v31, 4, v29
	ds_add_u32 v31, v30 offset:16384
	s_add_i32 s16, s8, 40
	s_cmp_le_u32 s9, s16
	s_cbranch_scc1 .LBB839_572
; %bb.569:
	s_sub_i32 s17, s9, s16
	s_min_u32 s17, s17, 8
	v_lshrrev_b64 v[30:31], s16, v[8:9]
	v_bfe_u32 v30, v30, 0, s17
	v_lshl_or_b32 v31, v30, 4, v29
	v_mov_b32_e32 v30, 1
	ds_add_u32 v31, v30 offset:20480
	s_add_i32 s16, s8, 48
	s_cmp_le_u32 s9, s16
	s_cbranch_scc1 .LBB839_572
; %bb.570:
	s_sub_i32 s17, s9, s16
	s_min_u32 s17, s17, 8
	v_lshrrev_b64 v[32:33], s16, v[8:9]
	v_bfe_u32 v31, v32, 0, s17
	v_lshl_or_b32 v31, v31, 4, v29
	ds_add_u32 v31, v30 offset:24576
	s_add_i32 s16, s8, 56
	s_cmp_le_u32 s9, s16
	s_cbranch_scc1 .LBB839_572
; %bb.571:
	s_sub_i32 s17, s9, s16
	s_min_u32 s17, s17, 8
	v_lshrrev_b64 v[30:31], s16, v[8:9]
	v_bfe_u32 v30, v30, 0, s17
	v_lshl_or_b32 v30, v30, 4, v29
	v_mov_b32_e32 v31, 1
	ds_add_u32 v30, v31 offset:28672
.LBB839_572:
	v_and_b32_e32 v26, s12, v26
	v_lshl_or_b32 v26, v26, 4, v29
	v_lshrrev_b64 v[30:31], s13, v[6:7]
	ds_add_u32 v26, v27
	v_and_b32_e32 v26, s15, v30
	v_lshl_or_b32 v26, v26, 4, v29
	ds_add_u32 v26, v27 offset:4096
	s_andn2_b64 vcc, exec, s[10:11]
	s_cbranch_vccnz .LBB839_579
; %bb.573:
	s_sub_i32 s10, s9, s14
	s_min_u32 s10, s10, 8
	v_lshrrev_b64 v[26:27], s14, v[6:7]
	v_bfe_u32 v26, v26, 0, s10
	v_lshl_or_b32 v27, v26, 4, v29
	v_mov_b32_e32 v26, 1
	ds_add_u32 v27, v26 offset:8192
	s_add_i32 s10, s8, 24
	s_cmp_gt_u32 s9, s10
	s_cbranch_scc0 .LBB839_579
; %bb.574:
	s_sub_i32 s11, s9, s10
	s_min_u32 s11, s11, 8
	v_lshrrev_b64 v[30:31], s10, v[6:7]
	v_bfe_u32 v27, v30, 0, s11
	v_lshl_or_b32 v27, v27, 4, v29
	ds_add_u32 v27, v26 offset:12288
	s_add_i32 s10, s8, 32
	s_cmp_gt_u32 s9, s10
	s_cbranch_scc0 .LBB839_579
; %bb.575:
	s_sub_i32 s11, s9, s10
	s_min_u32 s11, s11, 8
	v_lshrrev_b64 v[26:27], s10, v[6:7]
	v_bfe_u32 v26, v26, 0, s11
	v_lshl_or_b32 v27, v26, 4, v29
	v_mov_b32_e32 v26, 1
	ds_add_u32 v27, v26 offset:16384
	s_add_i32 s10, s8, 40
	s_cmp_gt_u32 s9, s10
	s_cbranch_scc0 .LBB839_579
; %bb.576:
	s_sub_i32 s11, s9, s10
	s_min_u32 s11, s11, 8
	v_lshrrev_b64 v[30:31], s10, v[6:7]
	v_bfe_u32 v27, v30, 0, s11
	v_lshl_or_b32 v27, v27, 4, v29
	ds_add_u32 v27, v26 offset:20480
	s_add_i32 s10, s8, 48
	s_cmp_gt_u32 s9, s10
	s_cbranch_scc0 .LBB839_579
; %bb.577:
	s_sub_i32 s11, s9, s10
	s_min_u32 s11, s11, 8
	v_lshrrev_b64 v[26:27], s10, v[6:7]
	v_bfe_u32 v26, v26, 0, s11
	v_lshl_or_b32 v26, v26, 4, v29
	v_mov_b32_e32 v27, 1
	ds_add_u32 v26, v27 offset:24576
	s_add_i32 s10, s8, 56
	s_cmp_gt_u32 s9, s10
	s_cbranch_scc0 .LBB839_579
; %bb.578:
	s_sub_i32 s4, s9, s10
	s_min_u32 s4, s4, 8
	v_lshrrev_b64 v[26:27], s10, v[6:7]
	v_bfe_u32 v26, v26, 0, s4
	v_lshl_or_b32 v26, v26, 2, v28
	v_add_u32_e32 v27, 0x1c00, v26
	s_mov_b64 s[4:5], -1
	s_branch .LBB839_580
.LBB839_579:
                                        ; implicit-def: $vgpr27
.LBB839_580:
	s_and_b64 vcc, exec, s[4:5]
	s_cbranch_vccz .LBB839_582
; %bb.581:
	v_lshlrev_b32_e32 v26, 2, v27
	v_mov_b32_e32 v27, 1
	ds_add_u32 v26, v27
.LBB839_582:
	v_lshrrev_b64 v[26:27], s8, v[4:5]
	v_and_b32_e32 v26, s12, v26
	v_lshl_or_b32 v26, v26, 4, v29
	v_mov_b32_e32 v27, 1
	ds_add_u32 v26, v27
	s_and_b64 vcc, exec, s[2:3]
	s_waitcnt vmcnt(0)
	v_lshrrev_b64 v[26:27], s8, v[2:3]
	s_cbranch_vccz .LBB839_584
; %bb.583:
	v_and_b32_e32 v27, s12, v26
	v_lshl_or_b32 v27, v27, 2, v28
	s_mov_b64 s[2:3], -1
	s_cbranch_execz .LBB839_585
	s_branch .LBB839_600
.LBB839_584:
	s_mov_b64 s[2:3], 0
                                        ; implicit-def: $vgpr27
.LBB839_585:
	s_sub_i32 s4, s9, s13
	s_min_u32 s4, s4, 8
	s_lshl_b32 s4, -1, s4
	s_not_b32 s11, s4
	v_lshrrev_b64 v[30:31], s13, v[4:5]
	v_and_b32_e32 v27, s11, v30
	v_lshl_or_b32 v30, v27, 4, v29
	v_mov_b32_e32 v27, 1
	ds_add_u32 v30, v27 offset:4096
	s_add_i32 s10, s8, 16
	s_cmp_gt_u32 s9, s10
	s_cselect_b64 s[4:5], -1, 0
	s_cmp_le_u32 s9, s10
	s_cbranch_scc1 .LBB839_592
; %bb.586:
	s_sub_i32 s14, s9, s10
	s_min_u32 s14, s14, 8
	v_lshrrev_b64 v[30:31], s10, v[4:5]
	v_bfe_u32 v30, v30, 0, s14
	v_lshl_or_b32 v30, v30, 4, v29
	ds_add_u32 v30, v27 offset:8192
	s_add_i32 s14, s8, 24
	s_cmp_le_u32 s9, s14
	s_cbranch_scc1 .LBB839_592
; %bb.587:
	s_sub_i32 s15, s9, s14
	s_min_u32 s15, s15, 8
	v_lshrrev_b64 v[30:31], s14, v[4:5]
	v_bfe_u32 v30, v30, 0, s15
	v_lshl_or_b32 v31, v30, 4, v29
	v_mov_b32_e32 v30, 1
	ds_add_u32 v31, v30 offset:12288
	s_add_i32 s14, s8, 32
	s_cmp_le_u32 s9, s14
	s_cbranch_scc1 .LBB839_592
; %bb.588:
	s_sub_i32 s15, s9, s14
	s_min_u32 s15, s15, 8
	v_lshrrev_b64 v[32:33], s14, v[4:5]
	v_bfe_u32 v31, v32, 0, s15
	v_lshl_or_b32 v31, v31, 4, v29
	ds_add_u32 v31, v30 offset:16384
	s_add_i32 s14, s8, 40
	s_cmp_le_u32 s9, s14
	s_cbranch_scc1 .LBB839_592
; %bb.589:
	s_sub_i32 s15, s9, s14
	s_min_u32 s15, s15, 8
	v_lshrrev_b64 v[30:31], s14, v[4:5]
	v_bfe_u32 v30, v30, 0, s15
	v_lshl_or_b32 v31, v30, 4, v29
	v_mov_b32_e32 v30, 1
	ds_add_u32 v31, v30 offset:20480
	s_add_i32 s14, s8, 48
	s_cmp_le_u32 s9, s14
	s_cbranch_scc1 .LBB839_592
; %bb.590:
	s_sub_i32 s15, s9, s14
	s_min_u32 s15, s15, 8
	v_lshrrev_b64 v[32:33], s14, v[4:5]
	v_bfe_u32 v31, v32, 0, s15
	v_lshl_or_b32 v31, v31, 4, v29
	ds_add_u32 v31, v30 offset:24576
	s_add_i32 s14, s8, 56
	s_cmp_le_u32 s9, s14
	s_cbranch_scc1 .LBB839_592
; %bb.591:
	v_lshrrev_b64 v[30:31], s14, v[4:5]
	s_sub_i32 s14, s9, s14
	s_min_u32 s14, s14, 8
	v_bfe_u32 v30, v30, 0, s14
	v_lshl_or_b32 v30, v30, 4, v29
	v_mov_b32_e32 v31, 1
	ds_add_u32 v30, v31 offset:28672
.LBB839_592:
	v_and_b32_e32 v26, s12, v26
	v_lshl_or_b32 v26, v26, 4, v29
	v_lshrrev_b64 v[30:31], s13, v[2:3]
	ds_add_u32 v26, v27
	v_and_b32_e32 v26, s11, v30
	v_lshl_or_b32 v26, v26, 4, v29
	ds_add_u32 v26, v27 offset:4096
	s_andn2_b64 vcc, exec, s[4:5]
	s_cbranch_vccnz .LBB839_599
; %bb.593:
	s_sub_i32 s4, s9, s10
	s_min_u32 s4, s4, 8
	v_lshrrev_b64 v[26:27], s10, v[2:3]
	v_bfe_u32 v26, v26, 0, s4
	v_lshl_or_b32 v27, v26, 4, v29
	v_mov_b32_e32 v26, 1
	ds_add_u32 v27, v26 offset:8192
	s_add_i32 s4, s8, 24
	s_cmp_gt_u32 s9, s4
	s_cbranch_scc0 .LBB839_599
; %bb.594:
	s_sub_i32 s5, s9, s4
	s_min_u32 s5, s5, 8
	v_lshrrev_b64 v[30:31], s4, v[2:3]
	v_bfe_u32 v27, v30, 0, s5
	v_lshl_or_b32 v27, v27, 4, v29
	ds_add_u32 v27, v26 offset:12288
	s_add_i32 s4, s8, 32
	s_cmp_gt_u32 s9, s4
	s_cbranch_scc0 .LBB839_599
; %bb.595:
	s_sub_i32 s5, s9, s4
	s_min_u32 s5, s5, 8
	v_lshrrev_b64 v[26:27], s4, v[2:3]
	v_bfe_u32 v26, v26, 0, s5
	v_lshl_or_b32 v27, v26, 4, v29
	v_mov_b32_e32 v26, 1
	ds_add_u32 v27, v26 offset:16384
	s_add_i32 s4, s8, 40
	s_cmp_gt_u32 s9, s4
	s_cbranch_scc0 .LBB839_599
; %bb.596:
	s_sub_i32 s5, s9, s4
	s_min_u32 s5, s5, 8
	v_lshrrev_b64 v[30:31], s4, v[2:3]
	v_bfe_u32 v27, v30, 0, s5
	v_lshl_or_b32 v27, v27, 4, v29
	ds_add_u32 v27, v26 offset:20480
	s_add_i32 s4, s8, 48
	s_cmp_gt_u32 s9, s4
	s_cbranch_scc0 .LBB839_599
; %bb.597:
	s_sub_i32 s5, s9, s4
	s_min_u32 s5, s5, 8
	v_lshrrev_b64 v[26:27], s4, v[2:3]
	v_bfe_u32 v26, v26, 0, s5
	v_lshl_or_b32 v26, v26, 4, v29
	v_mov_b32_e32 v27, 1
	ds_add_u32 v26, v27 offset:24576
	s_add_i32 s4, s8, 56
	s_cmp_gt_u32 s9, s4
	s_cbranch_scc0 .LBB839_599
; %bb.598:
	s_sub_i32 s2, s9, s4
	s_min_u32 s2, s2, 8
	v_lshrrev_b64 v[26:27], s4, v[2:3]
	v_bfe_u32 v26, v26, 0, s2
	v_lshl_or_b32 v26, v26, 2, v28
	v_add_u32_e32 v27, 0x1c00, v26
	s_mov_b64 s[2:3], -1
	s_branch .LBB839_600
.LBB839_599:
                                        ; implicit-def: $vgpr27
.LBB839_600:
	s_and_b64 vcc, exec, s[2:3]
	s_cbranch_vccz .LBB839_602
; %bb.601:
	v_lshlrev_b32_e32 v26, 2, v27
	v_mov_b32_e32 v27, 1
	ds_add_u32 v26, v27
.LBB839_602:
	s_and_b64 vcc, exec, s[0:1]
	s_waitcnt lgkmcnt(0)
	s_barrier
	s_cbranch_vccz .LBB839_607
; %bb.603:
	s_movk_i32 s0, 0x100
	v_cmp_gt_u32_e32 vcc, s0, v0
	v_lshlrev_b32_e32 v28, 4, v0
	v_mov_b32_e32 v27, 0
	v_mov_b32_e32 v26, v0
	s_branch .LBB839_605
.LBB839_604:                            ;   in Loop: Header=BB839_605 Depth=1
	s_or_b64 exec, exec, s[0:1]
	s_add_i32 s8, s8, 8
	v_add_u32_e32 v26, 0x100, v26
	s_cmp_ge_u32 s8, s9
	v_add_u32_e32 v28, 0x1000, v28
	s_cbranch_scc1 .LBB839_607
.LBB839_605:                            ; =>This Inner Loop Header: Depth=1
	s_and_saveexec_b64 s[0:1], vcc
	s_cbranch_execz .LBB839_604
; %bb.606:                              ;   in Loop: Header=BB839_605 Depth=1
	ds_read2_b32 v[30:31], v28 offset1:1
	ds_read2_b32 v[32:33], v28 offset0:2 offset1:3
	s_waitcnt lgkmcnt(1)
	v_add_u32_e32 v29, v31, v30
	s_waitcnt lgkmcnt(0)
	v_add3_u32 v29, v29, v32, v33
	v_lshl_add_u64 v[30:31], v[26:27], 2, s[6:7]
	global_atomic_add v[30:31], v29, off
	s_branch .LBB839_604
.LBB839_607:
	s_mov_b64 s[0:1], 0
.LBB839_608:
	s_and_b64 vcc, exec, s[0:1]
	s_cbranch_vccz .LBB839_613
; %bb.609:
	v_or_b32_e32 v26, 0xfffffe00, v0
	s_mov_b64 s[0:1], 0
	v_mov_b32_e32 v27, 0
	s_movk_i32 s2, 0x1dff
	v_mov_b32_e32 v28, v1
.LBB839_610:                            ; =>This Inner Loop Header: Depth=1
	v_add_u32_e32 v26, 0x200, v26
	v_cmp_lt_u32_e32 vcc, s2, v26
	ds_write_b32 v28, v27
	s_or_b64 s[0:1], vcc, s[0:1]
	v_add_u32_e32 v28, 0x800, v28
	s_andn2_b64 exec, exec, s[0:1]
	s_cbranch_execnz .LBB839_610
; %bb.611:
	s_or_b64 exec, exec, s[0:1]
	v_and_b32_e32 v26, 3, v0
	s_waitcnt vmcnt(1)
	v_lshlrev_b32_e32 v27, 2, v24
	s_movk_i32 s0, 0x3fc
	v_and_or_b32 v27, v27, s0, v26
	v_lshlrev_b32_e32 v27, 2, v27
	v_mov_b32_e32 v28, 1
	s_waitcnt lgkmcnt(0)
	s_barrier
	ds_add_u32 v27, v28
	v_bfe_u32 v27, v24, 8, 8
	v_lshl_or_b32 v27, v27, 2, v26
	v_lshlrev_b32_e32 v27, 2, v27
	ds_add_u32 v27, v28 offset:4096
	v_bfe_u32 v27, v24, 16, 8
	v_lshl_or_b32 v27, v27, 2, v26
	v_lshlrev_b32_e32 v27, 2, v27
	ds_add_u32 v27, v28 offset:8192
	v_lshrrev_b32_e32 v27, 24, v24
	v_lshl_or_b32 v27, v27, 2, v26
	v_alignbit_b32 v24, v25, v24, 30
	v_lshlrev_b32_e32 v27, 2, v27
	v_and_or_b32 v24, v24, s0, v26
	ds_add_u32 v27, v28 offset:12288
	v_lshlrev_b32_e32 v24, 2, v24
	ds_add_u32 v24, v28 offset:16384
	v_bfe_u32 v24, v25, 8, 8
	v_lshl_or_b32 v24, v24, 2, v26
	v_lshlrev_b32_e32 v24, 2, v24
	ds_add_u32 v24, v28 offset:20480
	v_bfe_u32 v24, v25, 16, 8
	v_lshl_or_b32 v24, v24, 2, v26
	v_lshlrev_b32_e32 v24, 2, v24
	ds_add_u32 v24, v28 offset:24576
	v_lshrrev_b32_e32 v24, 24, v25
	v_lshl_or_b32 v24, v24, 2, v26
	v_lshlrev_b32_e32 v24, 2, v24
	ds_add_u32 v24, v28 offset:28672
	v_lshlrev_b32_e32 v24, 2, v22
	v_and_or_b32 v24, v24, s0, v26
	v_lshlrev_b32_e32 v24, 2, v24
	ds_add_u32 v24, v28
	v_bfe_u32 v24, v22, 8, 8
	v_lshl_or_b32 v24, v24, 2, v26
	v_lshlrev_b32_e32 v24, 2, v24
	ds_add_u32 v24, v28 offset:4096
	v_bfe_u32 v24, v22, 16, 8
	v_lshl_or_b32 v24, v24, 2, v26
	v_lshlrev_b32_e32 v24, 2, v24
	ds_add_u32 v24, v28 offset:8192
	v_lshrrev_b32_e32 v24, 24, v22
	v_lshl_or_b32 v24, v24, 2, v26
	v_alignbit_b32 v22, v23, v22, 30
	v_lshlrev_b32_e32 v24, 2, v24
	v_and_or_b32 v22, v22, s0, v26
	ds_add_u32 v24, v28 offset:12288
	v_lshlrev_b32_e32 v22, 2, v22
	ds_add_u32 v22, v28 offset:16384
	v_bfe_u32 v22, v23, 8, 8
	v_lshl_or_b32 v22, v22, 2, v26
	v_lshlrev_b32_e32 v22, 2, v22
	ds_add_u32 v22, v28 offset:20480
	v_bfe_u32 v22, v23, 16, 8
	v_lshl_or_b32 v22, v22, 2, v26
	v_lshlrev_b32_e32 v22, 2, v22
	ds_add_u32 v22, v28 offset:24576
	v_lshrrev_b32_e32 v22, 24, v23
	v_lshl_or_b32 v22, v22, 2, v26
	v_lshlrev_b32_e32 v22, 2, v22
	ds_add_u32 v22, v28 offset:28672
	v_lshlrev_b32_e32 v22, 2, v20
	v_and_or_b32 v22, v22, s0, v26
	v_lshlrev_b32_e32 v22, 2, v22
	;; [unrolled: 32-line block ×10, first 2 shown]
	ds_add_u32 v6, v28
	v_bfe_u32 v6, v4, 8, 8
	v_lshl_or_b32 v6, v6, 2, v26
	v_lshlrev_b32_e32 v6, 2, v6
	ds_add_u32 v6, v28 offset:4096
	v_bfe_u32 v6, v4, 16, 8
	v_lshl_or_b32 v6, v6, 2, v26
	v_lshlrev_b32_e32 v6, 2, v6
	ds_add_u32 v6, v28 offset:8192
	v_lshrrev_b32_e32 v6, 24, v4
	v_lshl_or_b32 v6, v6, 2, v26
	v_alignbit_b32 v4, v5, v4, 30
	v_lshlrev_b32_e32 v6, 2, v6
	v_and_or_b32 v4, v4, s0, v26
	ds_add_u32 v6, v28 offset:12288
	v_lshlrev_b32_e32 v4, 2, v4
	ds_add_u32 v4, v28 offset:16384
	v_bfe_u32 v4, v5, 8, 8
	v_lshl_or_b32 v4, v4, 2, v26
	v_lshlrev_b32_e32 v4, 2, v4
	ds_add_u32 v4, v28 offset:20480
	v_bfe_u32 v4, v5, 16, 8
	v_lshl_or_b32 v4, v4, 2, v26
	v_lshlrev_b32_e32 v4, 2, v4
	ds_add_u32 v4, v28 offset:24576
	v_lshrrev_b32_e32 v4, 24, v5
	v_lshl_or_b32 v4, v4, 2, v26
	v_lshlrev_b32_e32 v4, 2, v4
	ds_add_u32 v4, v28 offset:28672
	s_waitcnt vmcnt(0)
	v_lshlrev_b32_e32 v4, 2, v2
	v_and_or_b32 v4, v4, s0, v26
	v_lshlrev_b32_e32 v4, 2, v4
	ds_add_u32 v4, v28
	v_bfe_u32 v4, v2, 8, 8
	v_lshl_or_b32 v4, v4, 2, v26
	v_lshlrev_b32_e32 v4, 2, v4
	ds_add_u32 v4, v28 offset:4096
	v_bfe_u32 v4, v2, 16, 8
	v_lshl_or_b32 v4, v4, 2, v26
	v_lshlrev_b32_e32 v4, 2, v4
	ds_add_u32 v4, v28 offset:8192
	v_lshrrev_b32_e32 v4, 24, v2
	v_lshl_or_b32 v4, v4, 2, v26
	v_alignbit_b32 v2, v3, v2, 30
	v_lshlrev_b32_e32 v4, 2, v4
	v_and_or_b32 v2, v2, s0, v26
	ds_add_u32 v4, v28 offset:12288
	v_lshlrev_b32_e32 v2, 2, v2
	ds_add_u32 v2, v28 offset:16384
	v_bfe_u32 v2, v3, 8, 8
	v_lshl_or_b32 v2, v2, 2, v26
	v_lshlrev_b32_e32 v2, 2, v2
	ds_add_u32 v2, v28 offset:20480
	v_bfe_u32 v2, v3, 16, 8
	v_lshl_or_b32 v2, v2, 2, v26
	v_lshlrev_b32_e32 v2, 2, v2
	ds_add_u32 v2, v28 offset:24576
	v_lshrrev_b32_e32 v2, 24, v3
	v_lshl_or_b32 v2, v2, 2, v26
	v_lshlrev_b32_e32 v2, 2, v2
	ds_add_u32 v2, v28 offset:28672
	s_movk_i32 s0, 0x100
	v_cmp_gt_u32_e32 vcc, s0, v0
	s_waitcnt lgkmcnt(0)
	s_barrier
	s_and_saveexec_b64 s[0:1], vcc
	s_cbranch_execz .LBB839_613
; %bb.612:
	v_lshlrev_b32_e32 v0, 2, v1
	ds_read2_b32 v[2:3], v0 offset1:1
	ds_read2_b32 v[4:5], v0 offset0:2 offset1:3
	v_add_u32_e32 v6, 0x1000, v0
	v_add_u32_e32 v7, 0x1008, v0
	;; [unrolled: 1-line block ×3, first 2 shown]
	s_waitcnt lgkmcnt(1)
	v_add_u32_e32 v2, v3, v2
	s_waitcnt lgkmcnt(0)
	v_add3_u32 v2, v2, v4, v5
	global_atomic_add v1, v2, s[6:7]
	ds_read2_b32 v[2:3], v6 offset1:1
	ds_read2_b32 v[4:5], v7 offset1:1
	v_or_b32_e32 v6, 0x2000, v0
	v_add_u32_e32 v7, 0x2008, v0
	s_waitcnt lgkmcnt(1)
	v_add_u32_e32 v2, v3, v2
	s_waitcnt lgkmcnt(0)
	v_add3_u32 v2, v2, v4, v5
	global_atomic_add v1, v2, s[6:7] offset:1024
	ds_read2_b32 v[2:3], v6 offset1:1
	ds_read2_b32 v[4:5], v7 offset1:1
	v_add_u32_e32 v6, 0x3000, v0
	v_add_u32_e32 v7, 0x3008, v0
	s_waitcnt lgkmcnt(1)
	v_add_u32_e32 v2, v3, v2
	s_waitcnt lgkmcnt(0)
	v_add3_u32 v2, v2, v4, v5
	global_atomic_add v1, v2, s[6:7] offset:2048
	ds_read2_b32 v[2:3], v6 offset1:1
	ds_read2_b32 v[4:5], v7 offset1:1
	v_or_b32_e32 v6, 0x4000, v0
	v_add_u32_e32 v7, 0x4008, v0
	s_waitcnt lgkmcnt(1)
	v_add_u32_e32 v2, v3, v2
	s_waitcnt lgkmcnt(0)
	v_add3_u32 v2, v2, v4, v5
	global_atomic_add v1, v2, s[6:7] offset:3072
	ds_read2_b32 v[2:3], v6 offset1:1
	ds_read2_b32 v[4:5], v7 offset1:1
	v_or_b32_e32 v6, 0x1000, v1
	v_add_u32_e32 v7, 0x5000, v0
	s_waitcnt lgkmcnt(1)
	v_add_u32_e32 v2, v3, v2
	s_waitcnt lgkmcnt(0)
	v_add3_u32 v2, v2, v4, v5
	global_atomic_add v6, v2, s[6:7]
	ds_read2_b32 v[2:3], v7 offset1:1
	ds_read2_b32 v[4:5], v8 offset1:1
	v_or_b32_e32 v6, 0x1400, v1
	v_or_b32_e32 v7, 0x6000, v0
	v_add_u32_e32 v8, 0x6008, v0
	s_waitcnt lgkmcnt(1)
	v_add_u32_e32 v2, v3, v2
	s_waitcnt lgkmcnt(0)
	v_add3_u32 v2, v2, v4, v5
	global_atomic_add v6, v2, s[6:7]
	ds_read2_b32 v[2:3], v7 offset1:1
	ds_read2_b32 v[4:5], v8 offset1:1
	v_or_b32_e32 v6, 0x1800, v1
	v_add_u32_e32 v7, 0x7000, v0
	v_add_u32_e32 v0, 0x7008, v0
	s_waitcnt lgkmcnt(1)
	v_add_u32_e32 v2, v3, v2
	s_waitcnt lgkmcnt(0)
	v_add3_u32 v2, v2, v4, v5
	global_atomic_add v6, v2, s[6:7]
	ds_read2_b32 v[2:3], v7 offset1:1
	ds_read2_b32 v[4:5], v0 offset1:1
	v_or_b32_e32 v1, 0x1c00, v1
	s_waitcnt lgkmcnt(1)
	v_add_u32_e32 v0, v3, v2
	s_waitcnt lgkmcnt(0)
	v_add3_u32 v0, v0, v4, v5
	global_atomic_add v1, v0, s[6:7]
.LBB839_613:
	s_endpgm
	.section	.rodata,"a",@progbits
	.p2align	6, 0x0
	.amdhsa_kernel _ZN7rocprim17ROCPRIM_400000_NS6detail17trampoline_kernelINS0_14default_configENS1_35radix_sort_onesweep_config_selectorIyNS0_10empty_typeEEEZNS1_34radix_sort_onesweep_global_offsetsIS3_Lb0EN6thrust23THRUST_200600_302600_NS6detail15normal_iteratorINS9_10device_ptrIyEEEEPS5_jNS0_19identity_decomposerEEE10hipError_tT1_T2_PT3_SK_jT4_jjP12ihipStream_tbEUlT_E_NS1_11comp_targetILNS1_3genE5ELNS1_11target_archE942ELNS1_3gpuE9ELNS1_3repE0EEENS1_52radix_sort_onesweep_histogram_config_static_selectorELNS0_4arch9wavefront6targetE1EEEvSI_
		.amdhsa_group_segment_fixed_size 32768
		.amdhsa_private_segment_fixed_size 0
		.amdhsa_kernarg_size 40
		.amdhsa_user_sgpr_count 2
		.amdhsa_user_sgpr_dispatch_ptr 0
		.amdhsa_user_sgpr_queue_ptr 0
		.amdhsa_user_sgpr_kernarg_segment_ptr 1
		.amdhsa_user_sgpr_dispatch_id 0
		.amdhsa_user_sgpr_kernarg_preload_length 0
		.amdhsa_user_sgpr_kernarg_preload_offset 0
		.amdhsa_user_sgpr_private_segment_size 0
		.amdhsa_uses_dynamic_stack 0
		.amdhsa_enable_private_segment 0
		.amdhsa_system_sgpr_workgroup_id_x 1
		.amdhsa_system_sgpr_workgroup_id_y 0
		.amdhsa_system_sgpr_workgroup_id_z 0
		.amdhsa_system_sgpr_workgroup_info 0
		.amdhsa_system_vgpr_workitem_id 0
		.amdhsa_next_free_vgpr 40
		.amdhsa_next_free_sgpr 19
		.amdhsa_accum_offset 40
		.amdhsa_reserve_vcc 1
		.amdhsa_float_round_mode_32 0
		.amdhsa_float_round_mode_16_64 0
		.amdhsa_float_denorm_mode_32 3
		.amdhsa_float_denorm_mode_16_64 3
		.amdhsa_dx10_clamp 1
		.amdhsa_ieee_mode 1
		.amdhsa_fp16_overflow 0
		.amdhsa_tg_split 0
		.amdhsa_exception_fp_ieee_invalid_op 0
		.amdhsa_exception_fp_denorm_src 0
		.amdhsa_exception_fp_ieee_div_zero 0
		.amdhsa_exception_fp_ieee_overflow 0
		.amdhsa_exception_fp_ieee_underflow 0
		.amdhsa_exception_fp_ieee_inexact 0
		.amdhsa_exception_int_div_zero 0
	.end_amdhsa_kernel
	.section	.text._ZN7rocprim17ROCPRIM_400000_NS6detail17trampoline_kernelINS0_14default_configENS1_35radix_sort_onesweep_config_selectorIyNS0_10empty_typeEEEZNS1_34radix_sort_onesweep_global_offsetsIS3_Lb0EN6thrust23THRUST_200600_302600_NS6detail15normal_iteratorINS9_10device_ptrIyEEEEPS5_jNS0_19identity_decomposerEEE10hipError_tT1_T2_PT3_SK_jT4_jjP12ihipStream_tbEUlT_E_NS1_11comp_targetILNS1_3genE5ELNS1_11target_archE942ELNS1_3gpuE9ELNS1_3repE0EEENS1_52radix_sort_onesweep_histogram_config_static_selectorELNS0_4arch9wavefront6targetE1EEEvSI_,"axG",@progbits,_ZN7rocprim17ROCPRIM_400000_NS6detail17trampoline_kernelINS0_14default_configENS1_35radix_sort_onesweep_config_selectorIyNS0_10empty_typeEEEZNS1_34radix_sort_onesweep_global_offsetsIS3_Lb0EN6thrust23THRUST_200600_302600_NS6detail15normal_iteratorINS9_10device_ptrIyEEEEPS5_jNS0_19identity_decomposerEEE10hipError_tT1_T2_PT3_SK_jT4_jjP12ihipStream_tbEUlT_E_NS1_11comp_targetILNS1_3genE5ELNS1_11target_archE942ELNS1_3gpuE9ELNS1_3repE0EEENS1_52radix_sort_onesweep_histogram_config_static_selectorELNS0_4arch9wavefront6targetE1EEEvSI_,comdat
.Lfunc_end839:
	.size	_ZN7rocprim17ROCPRIM_400000_NS6detail17trampoline_kernelINS0_14default_configENS1_35radix_sort_onesweep_config_selectorIyNS0_10empty_typeEEEZNS1_34radix_sort_onesweep_global_offsetsIS3_Lb0EN6thrust23THRUST_200600_302600_NS6detail15normal_iteratorINS9_10device_ptrIyEEEEPS5_jNS0_19identity_decomposerEEE10hipError_tT1_T2_PT3_SK_jT4_jjP12ihipStream_tbEUlT_E_NS1_11comp_targetILNS1_3genE5ELNS1_11target_archE942ELNS1_3gpuE9ELNS1_3repE0EEENS1_52radix_sort_onesweep_histogram_config_static_selectorELNS0_4arch9wavefront6targetE1EEEvSI_, .Lfunc_end839-_ZN7rocprim17ROCPRIM_400000_NS6detail17trampoline_kernelINS0_14default_configENS1_35radix_sort_onesweep_config_selectorIyNS0_10empty_typeEEEZNS1_34radix_sort_onesweep_global_offsetsIS3_Lb0EN6thrust23THRUST_200600_302600_NS6detail15normal_iteratorINS9_10device_ptrIyEEEEPS5_jNS0_19identity_decomposerEEE10hipError_tT1_T2_PT3_SK_jT4_jjP12ihipStream_tbEUlT_E_NS1_11comp_targetILNS1_3genE5ELNS1_11target_archE942ELNS1_3gpuE9ELNS1_3repE0EEENS1_52radix_sort_onesweep_histogram_config_static_selectorELNS0_4arch9wavefront6targetE1EEEvSI_
                                        ; -- End function
	.section	.AMDGPU.csdata,"",@progbits
; Kernel info:
; codeLenInByte = 21852
; NumSgprs: 25
; NumVgprs: 40
; NumAgprs: 0
; TotalNumVgprs: 40
; ScratchSize: 0
; MemoryBound: 0
; FloatMode: 240
; IeeeMode: 1
; LDSByteSize: 32768 bytes/workgroup (compile time only)
; SGPRBlocks: 3
; VGPRBlocks: 4
; NumSGPRsForWavesPerEU: 25
; NumVGPRsForWavesPerEU: 40
; AccumOffset: 40
; Occupancy: 4
; WaveLimiterHint : 1
; COMPUTE_PGM_RSRC2:SCRATCH_EN: 0
; COMPUTE_PGM_RSRC2:USER_SGPR: 2
; COMPUTE_PGM_RSRC2:TRAP_HANDLER: 0
; COMPUTE_PGM_RSRC2:TGID_X_EN: 1
; COMPUTE_PGM_RSRC2:TGID_Y_EN: 0
; COMPUTE_PGM_RSRC2:TGID_Z_EN: 0
; COMPUTE_PGM_RSRC2:TIDIG_COMP_CNT: 0
; COMPUTE_PGM_RSRC3_GFX90A:ACCUM_OFFSET: 9
; COMPUTE_PGM_RSRC3_GFX90A:TG_SPLIT: 0
	.section	.text._ZN7rocprim17ROCPRIM_400000_NS6detail17trampoline_kernelINS0_14default_configENS1_35radix_sort_onesweep_config_selectorIyNS0_10empty_typeEEEZNS1_34radix_sort_onesweep_global_offsetsIS3_Lb0EN6thrust23THRUST_200600_302600_NS6detail15normal_iteratorINS9_10device_ptrIyEEEEPS5_jNS0_19identity_decomposerEEE10hipError_tT1_T2_PT3_SK_jT4_jjP12ihipStream_tbEUlT_E_NS1_11comp_targetILNS1_3genE2ELNS1_11target_archE906ELNS1_3gpuE6ELNS1_3repE0EEENS1_52radix_sort_onesweep_histogram_config_static_selectorELNS0_4arch9wavefront6targetE1EEEvSI_,"axG",@progbits,_ZN7rocprim17ROCPRIM_400000_NS6detail17trampoline_kernelINS0_14default_configENS1_35radix_sort_onesweep_config_selectorIyNS0_10empty_typeEEEZNS1_34radix_sort_onesweep_global_offsetsIS3_Lb0EN6thrust23THRUST_200600_302600_NS6detail15normal_iteratorINS9_10device_ptrIyEEEEPS5_jNS0_19identity_decomposerEEE10hipError_tT1_T2_PT3_SK_jT4_jjP12ihipStream_tbEUlT_E_NS1_11comp_targetILNS1_3genE2ELNS1_11target_archE906ELNS1_3gpuE6ELNS1_3repE0EEENS1_52radix_sort_onesweep_histogram_config_static_selectorELNS0_4arch9wavefront6targetE1EEEvSI_,comdat
	.protected	_ZN7rocprim17ROCPRIM_400000_NS6detail17trampoline_kernelINS0_14default_configENS1_35radix_sort_onesweep_config_selectorIyNS0_10empty_typeEEEZNS1_34radix_sort_onesweep_global_offsetsIS3_Lb0EN6thrust23THRUST_200600_302600_NS6detail15normal_iteratorINS9_10device_ptrIyEEEEPS5_jNS0_19identity_decomposerEEE10hipError_tT1_T2_PT3_SK_jT4_jjP12ihipStream_tbEUlT_E_NS1_11comp_targetILNS1_3genE2ELNS1_11target_archE906ELNS1_3gpuE6ELNS1_3repE0EEENS1_52radix_sort_onesweep_histogram_config_static_selectorELNS0_4arch9wavefront6targetE1EEEvSI_ ; -- Begin function _ZN7rocprim17ROCPRIM_400000_NS6detail17trampoline_kernelINS0_14default_configENS1_35radix_sort_onesweep_config_selectorIyNS0_10empty_typeEEEZNS1_34radix_sort_onesweep_global_offsetsIS3_Lb0EN6thrust23THRUST_200600_302600_NS6detail15normal_iteratorINS9_10device_ptrIyEEEEPS5_jNS0_19identity_decomposerEEE10hipError_tT1_T2_PT3_SK_jT4_jjP12ihipStream_tbEUlT_E_NS1_11comp_targetILNS1_3genE2ELNS1_11target_archE906ELNS1_3gpuE6ELNS1_3repE0EEENS1_52radix_sort_onesweep_histogram_config_static_selectorELNS0_4arch9wavefront6targetE1EEEvSI_
	.globl	_ZN7rocprim17ROCPRIM_400000_NS6detail17trampoline_kernelINS0_14default_configENS1_35radix_sort_onesweep_config_selectorIyNS0_10empty_typeEEEZNS1_34radix_sort_onesweep_global_offsetsIS3_Lb0EN6thrust23THRUST_200600_302600_NS6detail15normal_iteratorINS9_10device_ptrIyEEEEPS5_jNS0_19identity_decomposerEEE10hipError_tT1_T2_PT3_SK_jT4_jjP12ihipStream_tbEUlT_E_NS1_11comp_targetILNS1_3genE2ELNS1_11target_archE906ELNS1_3gpuE6ELNS1_3repE0EEENS1_52radix_sort_onesweep_histogram_config_static_selectorELNS0_4arch9wavefront6targetE1EEEvSI_
	.p2align	8
	.type	_ZN7rocprim17ROCPRIM_400000_NS6detail17trampoline_kernelINS0_14default_configENS1_35radix_sort_onesweep_config_selectorIyNS0_10empty_typeEEEZNS1_34radix_sort_onesweep_global_offsetsIS3_Lb0EN6thrust23THRUST_200600_302600_NS6detail15normal_iteratorINS9_10device_ptrIyEEEEPS5_jNS0_19identity_decomposerEEE10hipError_tT1_T2_PT3_SK_jT4_jjP12ihipStream_tbEUlT_E_NS1_11comp_targetILNS1_3genE2ELNS1_11target_archE906ELNS1_3gpuE6ELNS1_3repE0EEENS1_52radix_sort_onesweep_histogram_config_static_selectorELNS0_4arch9wavefront6targetE1EEEvSI_,@function
_ZN7rocprim17ROCPRIM_400000_NS6detail17trampoline_kernelINS0_14default_configENS1_35radix_sort_onesweep_config_selectorIyNS0_10empty_typeEEEZNS1_34radix_sort_onesweep_global_offsetsIS3_Lb0EN6thrust23THRUST_200600_302600_NS6detail15normal_iteratorINS9_10device_ptrIyEEEEPS5_jNS0_19identity_decomposerEEE10hipError_tT1_T2_PT3_SK_jT4_jjP12ihipStream_tbEUlT_E_NS1_11comp_targetILNS1_3genE2ELNS1_11target_archE906ELNS1_3gpuE6ELNS1_3repE0EEENS1_52radix_sort_onesweep_histogram_config_static_selectorELNS0_4arch9wavefront6targetE1EEEvSI_: ; @_ZN7rocprim17ROCPRIM_400000_NS6detail17trampoline_kernelINS0_14default_configENS1_35radix_sort_onesweep_config_selectorIyNS0_10empty_typeEEEZNS1_34radix_sort_onesweep_global_offsetsIS3_Lb0EN6thrust23THRUST_200600_302600_NS6detail15normal_iteratorINS9_10device_ptrIyEEEEPS5_jNS0_19identity_decomposerEEE10hipError_tT1_T2_PT3_SK_jT4_jjP12ihipStream_tbEUlT_E_NS1_11comp_targetILNS1_3genE2ELNS1_11target_archE906ELNS1_3gpuE6ELNS1_3repE0EEENS1_52radix_sort_onesweep_histogram_config_static_selectorELNS0_4arch9wavefront6targetE1EEEvSI_
; %bb.0:
	.section	.rodata,"a",@progbits
	.p2align	6, 0x0
	.amdhsa_kernel _ZN7rocprim17ROCPRIM_400000_NS6detail17trampoline_kernelINS0_14default_configENS1_35radix_sort_onesweep_config_selectorIyNS0_10empty_typeEEEZNS1_34radix_sort_onesweep_global_offsetsIS3_Lb0EN6thrust23THRUST_200600_302600_NS6detail15normal_iteratorINS9_10device_ptrIyEEEEPS5_jNS0_19identity_decomposerEEE10hipError_tT1_T2_PT3_SK_jT4_jjP12ihipStream_tbEUlT_E_NS1_11comp_targetILNS1_3genE2ELNS1_11target_archE906ELNS1_3gpuE6ELNS1_3repE0EEENS1_52radix_sort_onesweep_histogram_config_static_selectorELNS0_4arch9wavefront6targetE1EEEvSI_
		.amdhsa_group_segment_fixed_size 0
		.amdhsa_private_segment_fixed_size 0
		.amdhsa_kernarg_size 40
		.amdhsa_user_sgpr_count 2
		.amdhsa_user_sgpr_dispatch_ptr 0
		.amdhsa_user_sgpr_queue_ptr 0
		.amdhsa_user_sgpr_kernarg_segment_ptr 1
		.amdhsa_user_sgpr_dispatch_id 0
		.amdhsa_user_sgpr_kernarg_preload_length 0
		.amdhsa_user_sgpr_kernarg_preload_offset 0
		.amdhsa_user_sgpr_private_segment_size 0
		.amdhsa_uses_dynamic_stack 0
		.amdhsa_enable_private_segment 0
		.amdhsa_system_sgpr_workgroup_id_x 1
		.amdhsa_system_sgpr_workgroup_id_y 0
		.amdhsa_system_sgpr_workgroup_id_z 0
		.amdhsa_system_sgpr_workgroup_info 0
		.amdhsa_system_vgpr_workitem_id 0
		.amdhsa_next_free_vgpr 1
		.amdhsa_next_free_sgpr 0
		.amdhsa_accum_offset 4
		.amdhsa_reserve_vcc 0
		.amdhsa_float_round_mode_32 0
		.amdhsa_float_round_mode_16_64 0
		.amdhsa_float_denorm_mode_32 3
		.amdhsa_float_denorm_mode_16_64 3
		.amdhsa_dx10_clamp 1
		.amdhsa_ieee_mode 1
		.amdhsa_fp16_overflow 0
		.amdhsa_tg_split 0
		.amdhsa_exception_fp_ieee_invalid_op 0
		.amdhsa_exception_fp_denorm_src 0
		.amdhsa_exception_fp_ieee_div_zero 0
		.amdhsa_exception_fp_ieee_overflow 0
		.amdhsa_exception_fp_ieee_underflow 0
		.amdhsa_exception_fp_ieee_inexact 0
		.amdhsa_exception_int_div_zero 0
	.end_amdhsa_kernel
	.section	.text._ZN7rocprim17ROCPRIM_400000_NS6detail17trampoline_kernelINS0_14default_configENS1_35radix_sort_onesweep_config_selectorIyNS0_10empty_typeEEEZNS1_34radix_sort_onesweep_global_offsetsIS3_Lb0EN6thrust23THRUST_200600_302600_NS6detail15normal_iteratorINS9_10device_ptrIyEEEEPS5_jNS0_19identity_decomposerEEE10hipError_tT1_T2_PT3_SK_jT4_jjP12ihipStream_tbEUlT_E_NS1_11comp_targetILNS1_3genE2ELNS1_11target_archE906ELNS1_3gpuE6ELNS1_3repE0EEENS1_52radix_sort_onesweep_histogram_config_static_selectorELNS0_4arch9wavefront6targetE1EEEvSI_,"axG",@progbits,_ZN7rocprim17ROCPRIM_400000_NS6detail17trampoline_kernelINS0_14default_configENS1_35radix_sort_onesweep_config_selectorIyNS0_10empty_typeEEEZNS1_34radix_sort_onesweep_global_offsetsIS3_Lb0EN6thrust23THRUST_200600_302600_NS6detail15normal_iteratorINS9_10device_ptrIyEEEEPS5_jNS0_19identity_decomposerEEE10hipError_tT1_T2_PT3_SK_jT4_jjP12ihipStream_tbEUlT_E_NS1_11comp_targetILNS1_3genE2ELNS1_11target_archE906ELNS1_3gpuE6ELNS1_3repE0EEENS1_52radix_sort_onesweep_histogram_config_static_selectorELNS0_4arch9wavefront6targetE1EEEvSI_,comdat
.Lfunc_end840:
	.size	_ZN7rocprim17ROCPRIM_400000_NS6detail17trampoline_kernelINS0_14default_configENS1_35radix_sort_onesweep_config_selectorIyNS0_10empty_typeEEEZNS1_34radix_sort_onesweep_global_offsetsIS3_Lb0EN6thrust23THRUST_200600_302600_NS6detail15normal_iteratorINS9_10device_ptrIyEEEEPS5_jNS0_19identity_decomposerEEE10hipError_tT1_T2_PT3_SK_jT4_jjP12ihipStream_tbEUlT_E_NS1_11comp_targetILNS1_3genE2ELNS1_11target_archE906ELNS1_3gpuE6ELNS1_3repE0EEENS1_52radix_sort_onesweep_histogram_config_static_selectorELNS0_4arch9wavefront6targetE1EEEvSI_, .Lfunc_end840-_ZN7rocprim17ROCPRIM_400000_NS6detail17trampoline_kernelINS0_14default_configENS1_35radix_sort_onesweep_config_selectorIyNS0_10empty_typeEEEZNS1_34radix_sort_onesweep_global_offsetsIS3_Lb0EN6thrust23THRUST_200600_302600_NS6detail15normal_iteratorINS9_10device_ptrIyEEEEPS5_jNS0_19identity_decomposerEEE10hipError_tT1_T2_PT3_SK_jT4_jjP12ihipStream_tbEUlT_E_NS1_11comp_targetILNS1_3genE2ELNS1_11target_archE906ELNS1_3gpuE6ELNS1_3repE0EEENS1_52radix_sort_onesweep_histogram_config_static_selectorELNS0_4arch9wavefront6targetE1EEEvSI_
                                        ; -- End function
	.section	.AMDGPU.csdata,"",@progbits
; Kernel info:
; codeLenInByte = 0
; NumSgprs: 6
; NumVgprs: 0
; NumAgprs: 0
; TotalNumVgprs: 0
; ScratchSize: 0
; MemoryBound: 0
; FloatMode: 240
; IeeeMode: 1
; LDSByteSize: 0 bytes/workgroup (compile time only)
; SGPRBlocks: 0
; VGPRBlocks: 0
; NumSGPRsForWavesPerEU: 6
; NumVGPRsForWavesPerEU: 1
; AccumOffset: 4
; Occupancy: 8
; WaveLimiterHint : 0
; COMPUTE_PGM_RSRC2:SCRATCH_EN: 0
; COMPUTE_PGM_RSRC2:USER_SGPR: 2
; COMPUTE_PGM_RSRC2:TRAP_HANDLER: 0
; COMPUTE_PGM_RSRC2:TGID_X_EN: 1
; COMPUTE_PGM_RSRC2:TGID_Y_EN: 0
; COMPUTE_PGM_RSRC2:TGID_Z_EN: 0
; COMPUTE_PGM_RSRC2:TIDIG_COMP_CNT: 0
; COMPUTE_PGM_RSRC3_GFX90A:ACCUM_OFFSET: 0
; COMPUTE_PGM_RSRC3_GFX90A:TG_SPLIT: 0
	.section	.text._ZN7rocprim17ROCPRIM_400000_NS6detail17trampoline_kernelINS0_14default_configENS1_35radix_sort_onesweep_config_selectorIyNS0_10empty_typeEEEZNS1_34radix_sort_onesweep_global_offsetsIS3_Lb0EN6thrust23THRUST_200600_302600_NS6detail15normal_iteratorINS9_10device_ptrIyEEEEPS5_jNS0_19identity_decomposerEEE10hipError_tT1_T2_PT3_SK_jT4_jjP12ihipStream_tbEUlT_E_NS1_11comp_targetILNS1_3genE4ELNS1_11target_archE910ELNS1_3gpuE8ELNS1_3repE0EEENS1_52radix_sort_onesweep_histogram_config_static_selectorELNS0_4arch9wavefront6targetE1EEEvSI_,"axG",@progbits,_ZN7rocprim17ROCPRIM_400000_NS6detail17trampoline_kernelINS0_14default_configENS1_35radix_sort_onesweep_config_selectorIyNS0_10empty_typeEEEZNS1_34radix_sort_onesweep_global_offsetsIS3_Lb0EN6thrust23THRUST_200600_302600_NS6detail15normal_iteratorINS9_10device_ptrIyEEEEPS5_jNS0_19identity_decomposerEEE10hipError_tT1_T2_PT3_SK_jT4_jjP12ihipStream_tbEUlT_E_NS1_11comp_targetILNS1_3genE4ELNS1_11target_archE910ELNS1_3gpuE8ELNS1_3repE0EEENS1_52radix_sort_onesweep_histogram_config_static_selectorELNS0_4arch9wavefront6targetE1EEEvSI_,comdat
	.protected	_ZN7rocprim17ROCPRIM_400000_NS6detail17trampoline_kernelINS0_14default_configENS1_35radix_sort_onesweep_config_selectorIyNS0_10empty_typeEEEZNS1_34radix_sort_onesweep_global_offsetsIS3_Lb0EN6thrust23THRUST_200600_302600_NS6detail15normal_iteratorINS9_10device_ptrIyEEEEPS5_jNS0_19identity_decomposerEEE10hipError_tT1_T2_PT3_SK_jT4_jjP12ihipStream_tbEUlT_E_NS1_11comp_targetILNS1_3genE4ELNS1_11target_archE910ELNS1_3gpuE8ELNS1_3repE0EEENS1_52radix_sort_onesweep_histogram_config_static_selectorELNS0_4arch9wavefront6targetE1EEEvSI_ ; -- Begin function _ZN7rocprim17ROCPRIM_400000_NS6detail17trampoline_kernelINS0_14default_configENS1_35radix_sort_onesweep_config_selectorIyNS0_10empty_typeEEEZNS1_34radix_sort_onesweep_global_offsetsIS3_Lb0EN6thrust23THRUST_200600_302600_NS6detail15normal_iteratorINS9_10device_ptrIyEEEEPS5_jNS0_19identity_decomposerEEE10hipError_tT1_T2_PT3_SK_jT4_jjP12ihipStream_tbEUlT_E_NS1_11comp_targetILNS1_3genE4ELNS1_11target_archE910ELNS1_3gpuE8ELNS1_3repE0EEENS1_52radix_sort_onesweep_histogram_config_static_selectorELNS0_4arch9wavefront6targetE1EEEvSI_
	.globl	_ZN7rocprim17ROCPRIM_400000_NS6detail17trampoline_kernelINS0_14default_configENS1_35radix_sort_onesweep_config_selectorIyNS0_10empty_typeEEEZNS1_34radix_sort_onesweep_global_offsetsIS3_Lb0EN6thrust23THRUST_200600_302600_NS6detail15normal_iteratorINS9_10device_ptrIyEEEEPS5_jNS0_19identity_decomposerEEE10hipError_tT1_T2_PT3_SK_jT4_jjP12ihipStream_tbEUlT_E_NS1_11comp_targetILNS1_3genE4ELNS1_11target_archE910ELNS1_3gpuE8ELNS1_3repE0EEENS1_52radix_sort_onesweep_histogram_config_static_selectorELNS0_4arch9wavefront6targetE1EEEvSI_
	.p2align	8
	.type	_ZN7rocprim17ROCPRIM_400000_NS6detail17trampoline_kernelINS0_14default_configENS1_35radix_sort_onesweep_config_selectorIyNS0_10empty_typeEEEZNS1_34radix_sort_onesweep_global_offsetsIS3_Lb0EN6thrust23THRUST_200600_302600_NS6detail15normal_iteratorINS9_10device_ptrIyEEEEPS5_jNS0_19identity_decomposerEEE10hipError_tT1_T2_PT3_SK_jT4_jjP12ihipStream_tbEUlT_E_NS1_11comp_targetILNS1_3genE4ELNS1_11target_archE910ELNS1_3gpuE8ELNS1_3repE0EEENS1_52radix_sort_onesweep_histogram_config_static_selectorELNS0_4arch9wavefront6targetE1EEEvSI_,@function
_ZN7rocprim17ROCPRIM_400000_NS6detail17trampoline_kernelINS0_14default_configENS1_35radix_sort_onesweep_config_selectorIyNS0_10empty_typeEEEZNS1_34radix_sort_onesweep_global_offsetsIS3_Lb0EN6thrust23THRUST_200600_302600_NS6detail15normal_iteratorINS9_10device_ptrIyEEEEPS5_jNS0_19identity_decomposerEEE10hipError_tT1_T2_PT3_SK_jT4_jjP12ihipStream_tbEUlT_E_NS1_11comp_targetILNS1_3genE4ELNS1_11target_archE910ELNS1_3gpuE8ELNS1_3repE0EEENS1_52radix_sort_onesweep_histogram_config_static_selectorELNS0_4arch9wavefront6targetE1EEEvSI_: ; @_ZN7rocprim17ROCPRIM_400000_NS6detail17trampoline_kernelINS0_14default_configENS1_35radix_sort_onesweep_config_selectorIyNS0_10empty_typeEEEZNS1_34radix_sort_onesweep_global_offsetsIS3_Lb0EN6thrust23THRUST_200600_302600_NS6detail15normal_iteratorINS9_10device_ptrIyEEEEPS5_jNS0_19identity_decomposerEEE10hipError_tT1_T2_PT3_SK_jT4_jjP12ihipStream_tbEUlT_E_NS1_11comp_targetILNS1_3genE4ELNS1_11target_archE910ELNS1_3gpuE8ELNS1_3repE0EEENS1_52radix_sort_onesweep_histogram_config_static_selectorELNS0_4arch9wavefront6targetE1EEEvSI_
; %bb.0:
	.section	.rodata,"a",@progbits
	.p2align	6, 0x0
	.amdhsa_kernel _ZN7rocprim17ROCPRIM_400000_NS6detail17trampoline_kernelINS0_14default_configENS1_35radix_sort_onesweep_config_selectorIyNS0_10empty_typeEEEZNS1_34radix_sort_onesweep_global_offsetsIS3_Lb0EN6thrust23THRUST_200600_302600_NS6detail15normal_iteratorINS9_10device_ptrIyEEEEPS5_jNS0_19identity_decomposerEEE10hipError_tT1_T2_PT3_SK_jT4_jjP12ihipStream_tbEUlT_E_NS1_11comp_targetILNS1_3genE4ELNS1_11target_archE910ELNS1_3gpuE8ELNS1_3repE0EEENS1_52radix_sort_onesweep_histogram_config_static_selectorELNS0_4arch9wavefront6targetE1EEEvSI_
		.amdhsa_group_segment_fixed_size 0
		.amdhsa_private_segment_fixed_size 0
		.amdhsa_kernarg_size 40
		.amdhsa_user_sgpr_count 2
		.amdhsa_user_sgpr_dispatch_ptr 0
		.amdhsa_user_sgpr_queue_ptr 0
		.amdhsa_user_sgpr_kernarg_segment_ptr 1
		.amdhsa_user_sgpr_dispatch_id 0
		.amdhsa_user_sgpr_kernarg_preload_length 0
		.amdhsa_user_sgpr_kernarg_preload_offset 0
		.amdhsa_user_sgpr_private_segment_size 0
		.amdhsa_uses_dynamic_stack 0
		.amdhsa_enable_private_segment 0
		.amdhsa_system_sgpr_workgroup_id_x 1
		.amdhsa_system_sgpr_workgroup_id_y 0
		.amdhsa_system_sgpr_workgroup_id_z 0
		.amdhsa_system_sgpr_workgroup_info 0
		.amdhsa_system_vgpr_workitem_id 0
		.amdhsa_next_free_vgpr 1
		.amdhsa_next_free_sgpr 0
		.amdhsa_accum_offset 4
		.amdhsa_reserve_vcc 0
		.amdhsa_float_round_mode_32 0
		.amdhsa_float_round_mode_16_64 0
		.amdhsa_float_denorm_mode_32 3
		.amdhsa_float_denorm_mode_16_64 3
		.amdhsa_dx10_clamp 1
		.amdhsa_ieee_mode 1
		.amdhsa_fp16_overflow 0
		.amdhsa_tg_split 0
		.amdhsa_exception_fp_ieee_invalid_op 0
		.amdhsa_exception_fp_denorm_src 0
		.amdhsa_exception_fp_ieee_div_zero 0
		.amdhsa_exception_fp_ieee_overflow 0
		.amdhsa_exception_fp_ieee_underflow 0
		.amdhsa_exception_fp_ieee_inexact 0
		.amdhsa_exception_int_div_zero 0
	.end_amdhsa_kernel
	.section	.text._ZN7rocprim17ROCPRIM_400000_NS6detail17trampoline_kernelINS0_14default_configENS1_35radix_sort_onesweep_config_selectorIyNS0_10empty_typeEEEZNS1_34radix_sort_onesweep_global_offsetsIS3_Lb0EN6thrust23THRUST_200600_302600_NS6detail15normal_iteratorINS9_10device_ptrIyEEEEPS5_jNS0_19identity_decomposerEEE10hipError_tT1_T2_PT3_SK_jT4_jjP12ihipStream_tbEUlT_E_NS1_11comp_targetILNS1_3genE4ELNS1_11target_archE910ELNS1_3gpuE8ELNS1_3repE0EEENS1_52radix_sort_onesweep_histogram_config_static_selectorELNS0_4arch9wavefront6targetE1EEEvSI_,"axG",@progbits,_ZN7rocprim17ROCPRIM_400000_NS6detail17trampoline_kernelINS0_14default_configENS1_35radix_sort_onesweep_config_selectorIyNS0_10empty_typeEEEZNS1_34radix_sort_onesweep_global_offsetsIS3_Lb0EN6thrust23THRUST_200600_302600_NS6detail15normal_iteratorINS9_10device_ptrIyEEEEPS5_jNS0_19identity_decomposerEEE10hipError_tT1_T2_PT3_SK_jT4_jjP12ihipStream_tbEUlT_E_NS1_11comp_targetILNS1_3genE4ELNS1_11target_archE910ELNS1_3gpuE8ELNS1_3repE0EEENS1_52radix_sort_onesweep_histogram_config_static_selectorELNS0_4arch9wavefront6targetE1EEEvSI_,comdat
.Lfunc_end841:
	.size	_ZN7rocprim17ROCPRIM_400000_NS6detail17trampoline_kernelINS0_14default_configENS1_35radix_sort_onesweep_config_selectorIyNS0_10empty_typeEEEZNS1_34radix_sort_onesweep_global_offsetsIS3_Lb0EN6thrust23THRUST_200600_302600_NS6detail15normal_iteratorINS9_10device_ptrIyEEEEPS5_jNS0_19identity_decomposerEEE10hipError_tT1_T2_PT3_SK_jT4_jjP12ihipStream_tbEUlT_E_NS1_11comp_targetILNS1_3genE4ELNS1_11target_archE910ELNS1_3gpuE8ELNS1_3repE0EEENS1_52radix_sort_onesweep_histogram_config_static_selectorELNS0_4arch9wavefront6targetE1EEEvSI_, .Lfunc_end841-_ZN7rocprim17ROCPRIM_400000_NS6detail17trampoline_kernelINS0_14default_configENS1_35radix_sort_onesweep_config_selectorIyNS0_10empty_typeEEEZNS1_34radix_sort_onesweep_global_offsetsIS3_Lb0EN6thrust23THRUST_200600_302600_NS6detail15normal_iteratorINS9_10device_ptrIyEEEEPS5_jNS0_19identity_decomposerEEE10hipError_tT1_T2_PT3_SK_jT4_jjP12ihipStream_tbEUlT_E_NS1_11comp_targetILNS1_3genE4ELNS1_11target_archE910ELNS1_3gpuE8ELNS1_3repE0EEENS1_52radix_sort_onesweep_histogram_config_static_selectorELNS0_4arch9wavefront6targetE1EEEvSI_
                                        ; -- End function
	.section	.AMDGPU.csdata,"",@progbits
; Kernel info:
; codeLenInByte = 0
; NumSgprs: 6
; NumVgprs: 0
; NumAgprs: 0
; TotalNumVgprs: 0
; ScratchSize: 0
; MemoryBound: 0
; FloatMode: 240
; IeeeMode: 1
; LDSByteSize: 0 bytes/workgroup (compile time only)
; SGPRBlocks: 0
; VGPRBlocks: 0
; NumSGPRsForWavesPerEU: 6
; NumVGPRsForWavesPerEU: 1
; AccumOffset: 4
; Occupancy: 8
; WaveLimiterHint : 0
; COMPUTE_PGM_RSRC2:SCRATCH_EN: 0
; COMPUTE_PGM_RSRC2:USER_SGPR: 2
; COMPUTE_PGM_RSRC2:TRAP_HANDLER: 0
; COMPUTE_PGM_RSRC2:TGID_X_EN: 1
; COMPUTE_PGM_RSRC2:TGID_Y_EN: 0
; COMPUTE_PGM_RSRC2:TGID_Z_EN: 0
; COMPUTE_PGM_RSRC2:TIDIG_COMP_CNT: 0
; COMPUTE_PGM_RSRC3_GFX90A:ACCUM_OFFSET: 0
; COMPUTE_PGM_RSRC3_GFX90A:TG_SPLIT: 0
	.section	.text._ZN7rocprim17ROCPRIM_400000_NS6detail17trampoline_kernelINS0_14default_configENS1_35radix_sort_onesweep_config_selectorIyNS0_10empty_typeEEEZNS1_34radix_sort_onesweep_global_offsetsIS3_Lb0EN6thrust23THRUST_200600_302600_NS6detail15normal_iteratorINS9_10device_ptrIyEEEEPS5_jNS0_19identity_decomposerEEE10hipError_tT1_T2_PT3_SK_jT4_jjP12ihipStream_tbEUlT_E_NS1_11comp_targetILNS1_3genE3ELNS1_11target_archE908ELNS1_3gpuE7ELNS1_3repE0EEENS1_52radix_sort_onesweep_histogram_config_static_selectorELNS0_4arch9wavefront6targetE1EEEvSI_,"axG",@progbits,_ZN7rocprim17ROCPRIM_400000_NS6detail17trampoline_kernelINS0_14default_configENS1_35radix_sort_onesweep_config_selectorIyNS0_10empty_typeEEEZNS1_34radix_sort_onesweep_global_offsetsIS3_Lb0EN6thrust23THRUST_200600_302600_NS6detail15normal_iteratorINS9_10device_ptrIyEEEEPS5_jNS0_19identity_decomposerEEE10hipError_tT1_T2_PT3_SK_jT4_jjP12ihipStream_tbEUlT_E_NS1_11comp_targetILNS1_3genE3ELNS1_11target_archE908ELNS1_3gpuE7ELNS1_3repE0EEENS1_52radix_sort_onesweep_histogram_config_static_selectorELNS0_4arch9wavefront6targetE1EEEvSI_,comdat
	.protected	_ZN7rocprim17ROCPRIM_400000_NS6detail17trampoline_kernelINS0_14default_configENS1_35radix_sort_onesweep_config_selectorIyNS0_10empty_typeEEEZNS1_34radix_sort_onesweep_global_offsetsIS3_Lb0EN6thrust23THRUST_200600_302600_NS6detail15normal_iteratorINS9_10device_ptrIyEEEEPS5_jNS0_19identity_decomposerEEE10hipError_tT1_T2_PT3_SK_jT4_jjP12ihipStream_tbEUlT_E_NS1_11comp_targetILNS1_3genE3ELNS1_11target_archE908ELNS1_3gpuE7ELNS1_3repE0EEENS1_52radix_sort_onesweep_histogram_config_static_selectorELNS0_4arch9wavefront6targetE1EEEvSI_ ; -- Begin function _ZN7rocprim17ROCPRIM_400000_NS6detail17trampoline_kernelINS0_14default_configENS1_35radix_sort_onesweep_config_selectorIyNS0_10empty_typeEEEZNS1_34radix_sort_onesweep_global_offsetsIS3_Lb0EN6thrust23THRUST_200600_302600_NS6detail15normal_iteratorINS9_10device_ptrIyEEEEPS5_jNS0_19identity_decomposerEEE10hipError_tT1_T2_PT3_SK_jT4_jjP12ihipStream_tbEUlT_E_NS1_11comp_targetILNS1_3genE3ELNS1_11target_archE908ELNS1_3gpuE7ELNS1_3repE0EEENS1_52radix_sort_onesweep_histogram_config_static_selectorELNS0_4arch9wavefront6targetE1EEEvSI_
	.globl	_ZN7rocprim17ROCPRIM_400000_NS6detail17trampoline_kernelINS0_14default_configENS1_35radix_sort_onesweep_config_selectorIyNS0_10empty_typeEEEZNS1_34radix_sort_onesweep_global_offsetsIS3_Lb0EN6thrust23THRUST_200600_302600_NS6detail15normal_iteratorINS9_10device_ptrIyEEEEPS5_jNS0_19identity_decomposerEEE10hipError_tT1_T2_PT3_SK_jT4_jjP12ihipStream_tbEUlT_E_NS1_11comp_targetILNS1_3genE3ELNS1_11target_archE908ELNS1_3gpuE7ELNS1_3repE0EEENS1_52radix_sort_onesweep_histogram_config_static_selectorELNS0_4arch9wavefront6targetE1EEEvSI_
	.p2align	8
	.type	_ZN7rocprim17ROCPRIM_400000_NS6detail17trampoline_kernelINS0_14default_configENS1_35radix_sort_onesweep_config_selectorIyNS0_10empty_typeEEEZNS1_34radix_sort_onesweep_global_offsetsIS3_Lb0EN6thrust23THRUST_200600_302600_NS6detail15normal_iteratorINS9_10device_ptrIyEEEEPS5_jNS0_19identity_decomposerEEE10hipError_tT1_T2_PT3_SK_jT4_jjP12ihipStream_tbEUlT_E_NS1_11comp_targetILNS1_3genE3ELNS1_11target_archE908ELNS1_3gpuE7ELNS1_3repE0EEENS1_52radix_sort_onesweep_histogram_config_static_selectorELNS0_4arch9wavefront6targetE1EEEvSI_,@function
_ZN7rocprim17ROCPRIM_400000_NS6detail17trampoline_kernelINS0_14default_configENS1_35radix_sort_onesweep_config_selectorIyNS0_10empty_typeEEEZNS1_34radix_sort_onesweep_global_offsetsIS3_Lb0EN6thrust23THRUST_200600_302600_NS6detail15normal_iteratorINS9_10device_ptrIyEEEEPS5_jNS0_19identity_decomposerEEE10hipError_tT1_T2_PT3_SK_jT4_jjP12ihipStream_tbEUlT_E_NS1_11comp_targetILNS1_3genE3ELNS1_11target_archE908ELNS1_3gpuE7ELNS1_3repE0EEENS1_52radix_sort_onesweep_histogram_config_static_selectorELNS0_4arch9wavefront6targetE1EEEvSI_: ; @_ZN7rocprim17ROCPRIM_400000_NS6detail17trampoline_kernelINS0_14default_configENS1_35radix_sort_onesweep_config_selectorIyNS0_10empty_typeEEEZNS1_34radix_sort_onesweep_global_offsetsIS3_Lb0EN6thrust23THRUST_200600_302600_NS6detail15normal_iteratorINS9_10device_ptrIyEEEEPS5_jNS0_19identity_decomposerEEE10hipError_tT1_T2_PT3_SK_jT4_jjP12ihipStream_tbEUlT_E_NS1_11comp_targetILNS1_3genE3ELNS1_11target_archE908ELNS1_3gpuE7ELNS1_3repE0EEENS1_52radix_sort_onesweep_histogram_config_static_selectorELNS0_4arch9wavefront6targetE1EEEvSI_
; %bb.0:
	.section	.rodata,"a",@progbits
	.p2align	6, 0x0
	.amdhsa_kernel _ZN7rocprim17ROCPRIM_400000_NS6detail17trampoline_kernelINS0_14default_configENS1_35radix_sort_onesweep_config_selectorIyNS0_10empty_typeEEEZNS1_34radix_sort_onesweep_global_offsetsIS3_Lb0EN6thrust23THRUST_200600_302600_NS6detail15normal_iteratorINS9_10device_ptrIyEEEEPS5_jNS0_19identity_decomposerEEE10hipError_tT1_T2_PT3_SK_jT4_jjP12ihipStream_tbEUlT_E_NS1_11comp_targetILNS1_3genE3ELNS1_11target_archE908ELNS1_3gpuE7ELNS1_3repE0EEENS1_52radix_sort_onesweep_histogram_config_static_selectorELNS0_4arch9wavefront6targetE1EEEvSI_
		.amdhsa_group_segment_fixed_size 0
		.amdhsa_private_segment_fixed_size 0
		.amdhsa_kernarg_size 40
		.amdhsa_user_sgpr_count 2
		.amdhsa_user_sgpr_dispatch_ptr 0
		.amdhsa_user_sgpr_queue_ptr 0
		.amdhsa_user_sgpr_kernarg_segment_ptr 1
		.amdhsa_user_sgpr_dispatch_id 0
		.amdhsa_user_sgpr_kernarg_preload_length 0
		.amdhsa_user_sgpr_kernarg_preload_offset 0
		.amdhsa_user_sgpr_private_segment_size 0
		.amdhsa_uses_dynamic_stack 0
		.amdhsa_enable_private_segment 0
		.amdhsa_system_sgpr_workgroup_id_x 1
		.amdhsa_system_sgpr_workgroup_id_y 0
		.amdhsa_system_sgpr_workgroup_id_z 0
		.amdhsa_system_sgpr_workgroup_info 0
		.amdhsa_system_vgpr_workitem_id 0
		.amdhsa_next_free_vgpr 1
		.amdhsa_next_free_sgpr 0
		.amdhsa_accum_offset 4
		.amdhsa_reserve_vcc 0
		.amdhsa_float_round_mode_32 0
		.amdhsa_float_round_mode_16_64 0
		.amdhsa_float_denorm_mode_32 3
		.amdhsa_float_denorm_mode_16_64 3
		.amdhsa_dx10_clamp 1
		.amdhsa_ieee_mode 1
		.amdhsa_fp16_overflow 0
		.amdhsa_tg_split 0
		.amdhsa_exception_fp_ieee_invalid_op 0
		.amdhsa_exception_fp_denorm_src 0
		.amdhsa_exception_fp_ieee_div_zero 0
		.amdhsa_exception_fp_ieee_overflow 0
		.amdhsa_exception_fp_ieee_underflow 0
		.amdhsa_exception_fp_ieee_inexact 0
		.amdhsa_exception_int_div_zero 0
	.end_amdhsa_kernel
	.section	.text._ZN7rocprim17ROCPRIM_400000_NS6detail17trampoline_kernelINS0_14default_configENS1_35radix_sort_onesweep_config_selectorIyNS0_10empty_typeEEEZNS1_34radix_sort_onesweep_global_offsetsIS3_Lb0EN6thrust23THRUST_200600_302600_NS6detail15normal_iteratorINS9_10device_ptrIyEEEEPS5_jNS0_19identity_decomposerEEE10hipError_tT1_T2_PT3_SK_jT4_jjP12ihipStream_tbEUlT_E_NS1_11comp_targetILNS1_3genE3ELNS1_11target_archE908ELNS1_3gpuE7ELNS1_3repE0EEENS1_52radix_sort_onesweep_histogram_config_static_selectorELNS0_4arch9wavefront6targetE1EEEvSI_,"axG",@progbits,_ZN7rocprim17ROCPRIM_400000_NS6detail17trampoline_kernelINS0_14default_configENS1_35radix_sort_onesweep_config_selectorIyNS0_10empty_typeEEEZNS1_34radix_sort_onesweep_global_offsetsIS3_Lb0EN6thrust23THRUST_200600_302600_NS6detail15normal_iteratorINS9_10device_ptrIyEEEEPS5_jNS0_19identity_decomposerEEE10hipError_tT1_T2_PT3_SK_jT4_jjP12ihipStream_tbEUlT_E_NS1_11comp_targetILNS1_3genE3ELNS1_11target_archE908ELNS1_3gpuE7ELNS1_3repE0EEENS1_52radix_sort_onesweep_histogram_config_static_selectorELNS0_4arch9wavefront6targetE1EEEvSI_,comdat
.Lfunc_end842:
	.size	_ZN7rocprim17ROCPRIM_400000_NS6detail17trampoline_kernelINS0_14default_configENS1_35radix_sort_onesweep_config_selectorIyNS0_10empty_typeEEEZNS1_34radix_sort_onesweep_global_offsetsIS3_Lb0EN6thrust23THRUST_200600_302600_NS6detail15normal_iteratorINS9_10device_ptrIyEEEEPS5_jNS0_19identity_decomposerEEE10hipError_tT1_T2_PT3_SK_jT4_jjP12ihipStream_tbEUlT_E_NS1_11comp_targetILNS1_3genE3ELNS1_11target_archE908ELNS1_3gpuE7ELNS1_3repE0EEENS1_52radix_sort_onesweep_histogram_config_static_selectorELNS0_4arch9wavefront6targetE1EEEvSI_, .Lfunc_end842-_ZN7rocprim17ROCPRIM_400000_NS6detail17trampoline_kernelINS0_14default_configENS1_35radix_sort_onesweep_config_selectorIyNS0_10empty_typeEEEZNS1_34radix_sort_onesweep_global_offsetsIS3_Lb0EN6thrust23THRUST_200600_302600_NS6detail15normal_iteratorINS9_10device_ptrIyEEEEPS5_jNS0_19identity_decomposerEEE10hipError_tT1_T2_PT3_SK_jT4_jjP12ihipStream_tbEUlT_E_NS1_11comp_targetILNS1_3genE3ELNS1_11target_archE908ELNS1_3gpuE7ELNS1_3repE0EEENS1_52radix_sort_onesweep_histogram_config_static_selectorELNS0_4arch9wavefront6targetE1EEEvSI_
                                        ; -- End function
	.section	.AMDGPU.csdata,"",@progbits
; Kernel info:
; codeLenInByte = 0
; NumSgprs: 6
; NumVgprs: 0
; NumAgprs: 0
; TotalNumVgprs: 0
; ScratchSize: 0
; MemoryBound: 0
; FloatMode: 240
; IeeeMode: 1
; LDSByteSize: 0 bytes/workgroup (compile time only)
; SGPRBlocks: 0
; VGPRBlocks: 0
; NumSGPRsForWavesPerEU: 6
; NumVGPRsForWavesPerEU: 1
; AccumOffset: 4
; Occupancy: 8
; WaveLimiterHint : 0
; COMPUTE_PGM_RSRC2:SCRATCH_EN: 0
; COMPUTE_PGM_RSRC2:USER_SGPR: 2
; COMPUTE_PGM_RSRC2:TRAP_HANDLER: 0
; COMPUTE_PGM_RSRC2:TGID_X_EN: 1
; COMPUTE_PGM_RSRC2:TGID_Y_EN: 0
; COMPUTE_PGM_RSRC2:TGID_Z_EN: 0
; COMPUTE_PGM_RSRC2:TIDIG_COMP_CNT: 0
; COMPUTE_PGM_RSRC3_GFX90A:ACCUM_OFFSET: 0
; COMPUTE_PGM_RSRC3_GFX90A:TG_SPLIT: 0
	.section	.text._ZN7rocprim17ROCPRIM_400000_NS6detail17trampoline_kernelINS0_14default_configENS1_35radix_sort_onesweep_config_selectorIyNS0_10empty_typeEEEZNS1_34radix_sort_onesweep_global_offsetsIS3_Lb0EN6thrust23THRUST_200600_302600_NS6detail15normal_iteratorINS9_10device_ptrIyEEEEPS5_jNS0_19identity_decomposerEEE10hipError_tT1_T2_PT3_SK_jT4_jjP12ihipStream_tbEUlT_E_NS1_11comp_targetILNS1_3genE10ELNS1_11target_archE1201ELNS1_3gpuE5ELNS1_3repE0EEENS1_52radix_sort_onesweep_histogram_config_static_selectorELNS0_4arch9wavefront6targetE1EEEvSI_,"axG",@progbits,_ZN7rocprim17ROCPRIM_400000_NS6detail17trampoline_kernelINS0_14default_configENS1_35radix_sort_onesweep_config_selectorIyNS0_10empty_typeEEEZNS1_34radix_sort_onesweep_global_offsetsIS3_Lb0EN6thrust23THRUST_200600_302600_NS6detail15normal_iteratorINS9_10device_ptrIyEEEEPS5_jNS0_19identity_decomposerEEE10hipError_tT1_T2_PT3_SK_jT4_jjP12ihipStream_tbEUlT_E_NS1_11comp_targetILNS1_3genE10ELNS1_11target_archE1201ELNS1_3gpuE5ELNS1_3repE0EEENS1_52radix_sort_onesweep_histogram_config_static_selectorELNS0_4arch9wavefront6targetE1EEEvSI_,comdat
	.protected	_ZN7rocprim17ROCPRIM_400000_NS6detail17trampoline_kernelINS0_14default_configENS1_35radix_sort_onesweep_config_selectorIyNS0_10empty_typeEEEZNS1_34radix_sort_onesweep_global_offsetsIS3_Lb0EN6thrust23THRUST_200600_302600_NS6detail15normal_iteratorINS9_10device_ptrIyEEEEPS5_jNS0_19identity_decomposerEEE10hipError_tT1_T2_PT3_SK_jT4_jjP12ihipStream_tbEUlT_E_NS1_11comp_targetILNS1_3genE10ELNS1_11target_archE1201ELNS1_3gpuE5ELNS1_3repE0EEENS1_52radix_sort_onesweep_histogram_config_static_selectorELNS0_4arch9wavefront6targetE1EEEvSI_ ; -- Begin function _ZN7rocprim17ROCPRIM_400000_NS6detail17trampoline_kernelINS0_14default_configENS1_35radix_sort_onesweep_config_selectorIyNS0_10empty_typeEEEZNS1_34radix_sort_onesweep_global_offsetsIS3_Lb0EN6thrust23THRUST_200600_302600_NS6detail15normal_iteratorINS9_10device_ptrIyEEEEPS5_jNS0_19identity_decomposerEEE10hipError_tT1_T2_PT3_SK_jT4_jjP12ihipStream_tbEUlT_E_NS1_11comp_targetILNS1_3genE10ELNS1_11target_archE1201ELNS1_3gpuE5ELNS1_3repE0EEENS1_52radix_sort_onesweep_histogram_config_static_selectorELNS0_4arch9wavefront6targetE1EEEvSI_
	.globl	_ZN7rocprim17ROCPRIM_400000_NS6detail17trampoline_kernelINS0_14default_configENS1_35radix_sort_onesweep_config_selectorIyNS0_10empty_typeEEEZNS1_34radix_sort_onesweep_global_offsetsIS3_Lb0EN6thrust23THRUST_200600_302600_NS6detail15normal_iteratorINS9_10device_ptrIyEEEEPS5_jNS0_19identity_decomposerEEE10hipError_tT1_T2_PT3_SK_jT4_jjP12ihipStream_tbEUlT_E_NS1_11comp_targetILNS1_3genE10ELNS1_11target_archE1201ELNS1_3gpuE5ELNS1_3repE0EEENS1_52radix_sort_onesweep_histogram_config_static_selectorELNS0_4arch9wavefront6targetE1EEEvSI_
	.p2align	8
	.type	_ZN7rocprim17ROCPRIM_400000_NS6detail17trampoline_kernelINS0_14default_configENS1_35radix_sort_onesweep_config_selectorIyNS0_10empty_typeEEEZNS1_34radix_sort_onesweep_global_offsetsIS3_Lb0EN6thrust23THRUST_200600_302600_NS6detail15normal_iteratorINS9_10device_ptrIyEEEEPS5_jNS0_19identity_decomposerEEE10hipError_tT1_T2_PT3_SK_jT4_jjP12ihipStream_tbEUlT_E_NS1_11comp_targetILNS1_3genE10ELNS1_11target_archE1201ELNS1_3gpuE5ELNS1_3repE0EEENS1_52radix_sort_onesweep_histogram_config_static_selectorELNS0_4arch9wavefront6targetE1EEEvSI_,@function
_ZN7rocprim17ROCPRIM_400000_NS6detail17trampoline_kernelINS0_14default_configENS1_35radix_sort_onesweep_config_selectorIyNS0_10empty_typeEEEZNS1_34radix_sort_onesweep_global_offsetsIS3_Lb0EN6thrust23THRUST_200600_302600_NS6detail15normal_iteratorINS9_10device_ptrIyEEEEPS5_jNS0_19identity_decomposerEEE10hipError_tT1_T2_PT3_SK_jT4_jjP12ihipStream_tbEUlT_E_NS1_11comp_targetILNS1_3genE10ELNS1_11target_archE1201ELNS1_3gpuE5ELNS1_3repE0EEENS1_52radix_sort_onesweep_histogram_config_static_selectorELNS0_4arch9wavefront6targetE1EEEvSI_: ; @_ZN7rocprim17ROCPRIM_400000_NS6detail17trampoline_kernelINS0_14default_configENS1_35radix_sort_onesweep_config_selectorIyNS0_10empty_typeEEEZNS1_34radix_sort_onesweep_global_offsetsIS3_Lb0EN6thrust23THRUST_200600_302600_NS6detail15normal_iteratorINS9_10device_ptrIyEEEEPS5_jNS0_19identity_decomposerEEE10hipError_tT1_T2_PT3_SK_jT4_jjP12ihipStream_tbEUlT_E_NS1_11comp_targetILNS1_3genE10ELNS1_11target_archE1201ELNS1_3gpuE5ELNS1_3repE0EEENS1_52radix_sort_onesweep_histogram_config_static_selectorELNS0_4arch9wavefront6targetE1EEEvSI_
; %bb.0:
	.section	.rodata,"a",@progbits
	.p2align	6, 0x0
	.amdhsa_kernel _ZN7rocprim17ROCPRIM_400000_NS6detail17trampoline_kernelINS0_14default_configENS1_35radix_sort_onesweep_config_selectorIyNS0_10empty_typeEEEZNS1_34radix_sort_onesweep_global_offsetsIS3_Lb0EN6thrust23THRUST_200600_302600_NS6detail15normal_iteratorINS9_10device_ptrIyEEEEPS5_jNS0_19identity_decomposerEEE10hipError_tT1_T2_PT3_SK_jT4_jjP12ihipStream_tbEUlT_E_NS1_11comp_targetILNS1_3genE10ELNS1_11target_archE1201ELNS1_3gpuE5ELNS1_3repE0EEENS1_52radix_sort_onesweep_histogram_config_static_selectorELNS0_4arch9wavefront6targetE1EEEvSI_
		.amdhsa_group_segment_fixed_size 0
		.amdhsa_private_segment_fixed_size 0
		.amdhsa_kernarg_size 40
		.amdhsa_user_sgpr_count 2
		.amdhsa_user_sgpr_dispatch_ptr 0
		.amdhsa_user_sgpr_queue_ptr 0
		.amdhsa_user_sgpr_kernarg_segment_ptr 1
		.amdhsa_user_sgpr_dispatch_id 0
		.amdhsa_user_sgpr_kernarg_preload_length 0
		.amdhsa_user_sgpr_kernarg_preload_offset 0
		.amdhsa_user_sgpr_private_segment_size 0
		.amdhsa_uses_dynamic_stack 0
		.amdhsa_enable_private_segment 0
		.amdhsa_system_sgpr_workgroup_id_x 1
		.amdhsa_system_sgpr_workgroup_id_y 0
		.amdhsa_system_sgpr_workgroup_id_z 0
		.amdhsa_system_sgpr_workgroup_info 0
		.amdhsa_system_vgpr_workitem_id 0
		.amdhsa_next_free_vgpr 1
		.amdhsa_next_free_sgpr 0
		.amdhsa_accum_offset 4
		.amdhsa_reserve_vcc 0
		.amdhsa_float_round_mode_32 0
		.amdhsa_float_round_mode_16_64 0
		.amdhsa_float_denorm_mode_32 3
		.amdhsa_float_denorm_mode_16_64 3
		.amdhsa_dx10_clamp 1
		.amdhsa_ieee_mode 1
		.amdhsa_fp16_overflow 0
		.amdhsa_tg_split 0
		.amdhsa_exception_fp_ieee_invalid_op 0
		.amdhsa_exception_fp_denorm_src 0
		.amdhsa_exception_fp_ieee_div_zero 0
		.amdhsa_exception_fp_ieee_overflow 0
		.amdhsa_exception_fp_ieee_underflow 0
		.amdhsa_exception_fp_ieee_inexact 0
		.amdhsa_exception_int_div_zero 0
	.end_amdhsa_kernel
	.section	.text._ZN7rocprim17ROCPRIM_400000_NS6detail17trampoline_kernelINS0_14default_configENS1_35radix_sort_onesweep_config_selectorIyNS0_10empty_typeEEEZNS1_34radix_sort_onesweep_global_offsetsIS3_Lb0EN6thrust23THRUST_200600_302600_NS6detail15normal_iteratorINS9_10device_ptrIyEEEEPS5_jNS0_19identity_decomposerEEE10hipError_tT1_T2_PT3_SK_jT4_jjP12ihipStream_tbEUlT_E_NS1_11comp_targetILNS1_3genE10ELNS1_11target_archE1201ELNS1_3gpuE5ELNS1_3repE0EEENS1_52radix_sort_onesweep_histogram_config_static_selectorELNS0_4arch9wavefront6targetE1EEEvSI_,"axG",@progbits,_ZN7rocprim17ROCPRIM_400000_NS6detail17trampoline_kernelINS0_14default_configENS1_35radix_sort_onesweep_config_selectorIyNS0_10empty_typeEEEZNS1_34radix_sort_onesweep_global_offsetsIS3_Lb0EN6thrust23THRUST_200600_302600_NS6detail15normal_iteratorINS9_10device_ptrIyEEEEPS5_jNS0_19identity_decomposerEEE10hipError_tT1_T2_PT3_SK_jT4_jjP12ihipStream_tbEUlT_E_NS1_11comp_targetILNS1_3genE10ELNS1_11target_archE1201ELNS1_3gpuE5ELNS1_3repE0EEENS1_52radix_sort_onesweep_histogram_config_static_selectorELNS0_4arch9wavefront6targetE1EEEvSI_,comdat
.Lfunc_end843:
	.size	_ZN7rocprim17ROCPRIM_400000_NS6detail17trampoline_kernelINS0_14default_configENS1_35radix_sort_onesweep_config_selectorIyNS0_10empty_typeEEEZNS1_34radix_sort_onesweep_global_offsetsIS3_Lb0EN6thrust23THRUST_200600_302600_NS6detail15normal_iteratorINS9_10device_ptrIyEEEEPS5_jNS0_19identity_decomposerEEE10hipError_tT1_T2_PT3_SK_jT4_jjP12ihipStream_tbEUlT_E_NS1_11comp_targetILNS1_3genE10ELNS1_11target_archE1201ELNS1_3gpuE5ELNS1_3repE0EEENS1_52radix_sort_onesweep_histogram_config_static_selectorELNS0_4arch9wavefront6targetE1EEEvSI_, .Lfunc_end843-_ZN7rocprim17ROCPRIM_400000_NS6detail17trampoline_kernelINS0_14default_configENS1_35radix_sort_onesweep_config_selectorIyNS0_10empty_typeEEEZNS1_34radix_sort_onesweep_global_offsetsIS3_Lb0EN6thrust23THRUST_200600_302600_NS6detail15normal_iteratorINS9_10device_ptrIyEEEEPS5_jNS0_19identity_decomposerEEE10hipError_tT1_T2_PT3_SK_jT4_jjP12ihipStream_tbEUlT_E_NS1_11comp_targetILNS1_3genE10ELNS1_11target_archE1201ELNS1_3gpuE5ELNS1_3repE0EEENS1_52radix_sort_onesweep_histogram_config_static_selectorELNS0_4arch9wavefront6targetE1EEEvSI_
                                        ; -- End function
	.section	.AMDGPU.csdata,"",@progbits
; Kernel info:
; codeLenInByte = 0
; NumSgprs: 6
; NumVgprs: 0
; NumAgprs: 0
; TotalNumVgprs: 0
; ScratchSize: 0
; MemoryBound: 0
; FloatMode: 240
; IeeeMode: 1
; LDSByteSize: 0 bytes/workgroup (compile time only)
; SGPRBlocks: 0
; VGPRBlocks: 0
; NumSGPRsForWavesPerEU: 6
; NumVGPRsForWavesPerEU: 1
; AccumOffset: 4
; Occupancy: 8
; WaveLimiterHint : 0
; COMPUTE_PGM_RSRC2:SCRATCH_EN: 0
; COMPUTE_PGM_RSRC2:USER_SGPR: 2
; COMPUTE_PGM_RSRC2:TRAP_HANDLER: 0
; COMPUTE_PGM_RSRC2:TGID_X_EN: 1
; COMPUTE_PGM_RSRC2:TGID_Y_EN: 0
; COMPUTE_PGM_RSRC2:TGID_Z_EN: 0
; COMPUTE_PGM_RSRC2:TIDIG_COMP_CNT: 0
; COMPUTE_PGM_RSRC3_GFX90A:ACCUM_OFFSET: 0
; COMPUTE_PGM_RSRC3_GFX90A:TG_SPLIT: 0
	.section	.text._ZN7rocprim17ROCPRIM_400000_NS6detail17trampoline_kernelINS0_14default_configENS1_35radix_sort_onesweep_config_selectorIyNS0_10empty_typeEEEZNS1_34radix_sort_onesweep_global_offsetsIS3_Lb0EN6thrust23THRUST_200600_302600_NS6detail15normal_iteratorINS9_10device_ptrIyEEEEPS5_jNS0_19identity_decomposerEEE10hipError_tT1_T2_PT3_SK_jT4_jjP12ihipStream_tbEUlT_E_NS1_11comp_targetILNS1_3genE9ELNS1_11target_archE1100ELNS1_3gpuE3ELNS1_3repE0EEENS1_52radix_sort_onesweep_histogram_config_static_selectorELNS0_4arch9wavefront6targetE1EEEvSI_,"axG",@progbits,_ZN7rocprim17ROCPRIM_400000_NS6detail17trampoline_kernelINS0_14default_configENS1_35radix_sort_onesweep_config_selectorIyNS0_10empty_typeEEEZNS1_34radix_sort_onesweep_global_offsetsIS3_Lb0EN6thrust23THRUST_200600_302600_NS6detail15normal_iteratorINS9_10device_ptrIyEEEEPS5_jNS0_19identity_decomposerEEE10hipError_tT1_T2_PT3_SK_jT4_jjP12ihipStream_tbEUlT_E_NS1_11comp_targetILNS1_3genE9ELNS1_11target_archE1100ELNS1_3gpuE3ELNS1_3repE0EEENS1_52radix_sort_onesweep_histogram_config_static_selectorELNS0_4arch9wavefront6targetE1EEEvSI_,comdat
	.protected	_ZN7rocprim17ROCPRIM_400000_NS6detail17trampoline_kernelINS0_14default_configENS1_35radix_sort_onesweep_config_selectorIyNS0_10empty_typeEEEZNS1_34radix_sort_onesweep_global_offsetsIS3_Lb0EN6thrust23THRUST_200600_302600_NS6detail15normal_iteratorINS9_10device_ptrIyEEEEPS5_jNS0_19identity_decomposerEEE10hipError_tT1_T2_PT3_SK_jT4_jjP12ihipStream_tbEUlT_E_NS1_11comp_targetILNS1_3genE9ELNS1_11target_archE1100ELNS1_3gpuE3ELNS1_3repE0EEENS1_52radix_sort_onesweep_histogram_config_static_selectorELNS0_4arch9wavefront6targetE1EEEvSI_ ; -- Begin function _ZN7rocprim17ROCPRIM_400000_NS6detail17trampoline_kernelINS0_14default_configENS1_35radix_sort_onesweep_config_selectorIyNS0_10empty_typeEEEZNS1_34radix_sort_onesweep_global_offsetsIS3_Lb0EN6thrust23THRUST_200600_302600_NS6detail15normal_iteratorINS9_10device_ptrIyEEEEPS5_jNS0_19identity_decomposerEEE10hipError_tT1_T2_PT3_SK_jT4_jjP12ihipStream_tbEUlT_E_NS1_11comp_targetILNS1_3genE9ELNS1_11target_archE1100ELNS1_3gpuE3ELNS1_3repE0EEENS1_52radix_sort_onesweep_histogram_config_static_selectorELNS0_4arch9wavefront6targetE1EEEvSI_
	.globl	_ZN7rocprim17ROCPRIM_400000_NS6detail17trampoline_kernelINS0_14default_configENS1_35radix_sort_onesweep_config_selectorIyNS0_10empty_typeEEEZNS1_34radix_sort_onesweep_global_offsetsIS3_Lb0EN6thrust23THRUST_200600_302600_NS6detail15normal_iteratorINS9_10device_ptrIyEEEEPS5_jNS0_19identity_decomposerEEE10hipError_tT1_T2_PT3_SK_jT4_jjP12ihipStream_tbEUlT_E_NS1_11comp_targetILNS1_3genE9ELNS1_11target_archE1100ELNS1_3gpuE3ELNS1_3repE0EEENS1_52radix_sort_onesweep_histogram_config_static_selectorELNS0_4arch9wavefront6targetE1EEEvSI_
	.p2align	8
	.type	_ZN7rocprim17ROCPRIM_400000_NS6detail17trampoline_kernelINS0_14default_configENS1_35radix_sort_onesweep_config_selectorIyNS0_10empty_typeEEEZNS1_34radix_sort_onesweep_global_offsetsIS3_Lb0EN6thrust23THRUST_200600_302600_NS6detail15normal_iteratorINS9_10device_ptrIyEEEEPS5_jNS0_19identity_decomposerEEE10hipError_tT1_T2_PT3_SK_jT4_jjP12ihipStream_tbEUlT_E_NS1_11comp_targetILNS1_3genE9ELNS1_11target_archE1100ELNS1_3gpuE3ELNS1_3repE0EEENS1_52radix_sort_onesweep_histogram_config_static_selectorELNS0_4arch9wavefront6targetE1EEEvSI_,@function
_ZN7rocprim17ROCPRIM_400000_NS6detail17trampoline_kernelINS0_14default_configENS1_35radix_sort_onesweep_config_selectorIyNS0_10empty_typeEEEZNS1_34radix_sort_onesweep_global_offsetsIS3_Lb0EN6thrust23THRUST_200600_302600_NS6detail15normal_iteratorINS9_10device_ptrIyEEEEPS5_jNS0_19identity_decomposerEEE10hipError_tT1_T2_PT3_SK_jT4_jjP12ihipStream_tbEUlT_E_NS1_11comp_targetILNS1_3genE9ELNS1_11target_archE1100ELNS1_3gpuE3ELNS1_3repE0EEENS1_52radix_sort_onesweep_histogram_config_static_selectorELNS0_4arch9wavefront6targetE1EEEvSI_: ; @_ZN7rocprim17ROCPRIM_400000_NS6detail17trampoline_kernelINS0_14default_configENS1_35radix_sort_onesweep_config_selectorIyNS0_10empty_typeEEEZNS1_34radix_sort_onesweep_global_offsetsIS3_Lb0EN6thrust23THRUST_200600_302600_NS6detail15normal_iteratorINS9_10device_ptrIyEEEEPS5_jNS0_19identity_decomposerEEE10hipError_tT1_T2_PT3_SK_jT4_jjP12ihipStream_tbEUlT_E_NS1_11comp_targetILNS1_3genE9ELNS1_11target_archE1100ELNS1_3gpuE3ELNS1_3repE0EEENS1_52radix_sort_onesweep_histogram_config_static_selectorELNS0_4arch9wavefront6targetE1EEEvSI_
; %bb.0:
	.section	.rodata,"a",@progbits
	.p2align	6, 0x0
	.amdhsa_kernel _ZN7rocprim17ROCPRIM_400000_NS6detail17trampoline_kernelINS0_14default_configENS1_35radix_sort_onesweep_config_selectorIyNS0_10empty_typeEEEZNS1_34radix_sort_onesweep_global_offsetsIS3_Lb0EN6thrust23THRUST_200600_302600_NS6detail15normal_iteratorINS9_10device_ptrIyEEEEPS5_jNS0_19identity_decomposerEEE10hipError_tT1_T2_PT3_SK_jT4_jjP12ihipStream_tbEUlT_E_NS1_11comp_targetILNS1_3genE9ELNS1_11target_archE1100ELNS1_3gpuE3ELNS1_3repE0EEENS1_52radix_sort_onesweep_histogram_config_static_selectorELNS0_4arch9wavefront6targetE1EEEvSI_
		.amdhsa_group_segment_fixed_size 0
		.amdhsa_private_segment_fixed_size 0
		.amdhsa_kernarg_size 40
		.amdhsa_user_sgpr_count 2
		.amdhsa_user_sgpr_dispatch_ptr 0
		.amdhsa_user_sgpr_queue_ptr 0
		.amdhsa_user_sgpr_kernarg_segment_ptr 1
		.amdhsa_user_sgpr_dispatch_id 0
		.amdhsa_user_sgpr_kernarg_preload_length 0
		.amdhsa_user_sgpr_kernarg_preload_offset 0
		.amdhsa_user_sgpr_private_segment_size 0
		.amdhsa_uses_dynamic_stack 0
		.amdhsa_enable_private_segment 0
		.amdhsa_system_sgpr_workgroup_id_x 1
		.amdhsa_system_sgpr_workgroup_id_y 0
		.amdhsa_system_sgpr_workgroup_id_z 0
		.amdhsa_system_sgpr_workgroup_info 0
		.amdhsa_system_vgpr_workitem_id 0
		.amdhsa_next_free_vgpr 1
		.amdhsa_next_free_sgpr 0
		.amdhsa_accum_offset 4
		.amdhsa_reserve_vcc 0
		.amdhsa_float_round_mode_32 0
		.amdhsa_float_round_mode_16_64 0
		.amdhsa_float_denorm_mode_32 3
		.amdhsa_float_denorm_mode_16_64 3
		.amdhsa_dx10_clamp 1
		.amdhsa_ieee_mode 1
		.amdhsa_fp16_overflow 0
		.amdhsa_tg_split 0
		.amdhsa_exception_fp_ieee_invalid_op 0
		.amdhsa_exception_fp_denorm_src 0
		.amdhsa_exception_fp_ieee_div_zero 0
		.amdhsa_exception_fp_ieee_overflow 0
		.amdhsa_exception_fp_ieee_underflow 0
		.amdhsa_exception_fp_ieee_inexact 0
		.amdhsa_exception_int_div_zero 0
	.end_amdhsa_kernel
	.section	.text._ZN7rocprim17ROCPRIM_400000_NS6detail17trampoline_kernelINS0_14default_configENS1_35radix_sort_onesweep_config_selectorIyNS0_10empty_typeEEEZNS1_34radix_sort_onesweep_global_offsetsIS3_Lb0EN6thrust23THRUST_200600_302600_NS6detail15normal_iteratorINS9_10device_ptrIyEEEEPS5_jNS0_19identity_decomposerEEE10hipError_tT1_T2_PT3_SK_jT4_jjP12ihipStream_tbEUlT_E_NS1_11comp_targetILNS1_3genE9ELNS1_11target_archE1100ELNS1_3gpuE3ELNS1_3repE0EEENS1_52radix_sort_onesweep_histogram_config_static_selectorELNS0_4arch9wavefront6targetE1EEEvSI_,"axG",@progbits,_ZN7rocprim17ROCPRIM_400000_NS6detail17trampoline_kernelINS0_14default_configENS1_35radix_sort_onesweep_config_selectorIyNS0_10empty_typeEEEZNS1_34radix_sort_onesweep_global_offsetsIS3_Lb0EN6thrust23THRUST_200600_302600_NS6detail15normal_iteratorINS9_10device_ptrIyEEEEPS5_jNS0_19identity_decomposerEEE10hipError_tT1_T2_PT3_SK_jT4_jjP12ihipStream_tbEUlT_E_NS1_11comp_targetILNS1_3genE9ELNS1_11target_archE1100ELNS1_3gpuE3ELNS1_3repE0EEENS1_52radix_sort_onesweep_histogram_config_static_selectorELNS0_4arch9wavefront6targetE1EEEvSI_,comdat
.Lfunc_end844:
	.size	_ZN7rocprim17ROCPRIM_400000_NS6detail17trampoline_kernelINS0_14default_configENS1_35radix_sort_onesweep_config_selectorIyNS0_10empty_typeEEEZNS1_34radix_sort_onesweep_global_offsetsIS3_Lb0EN6thrust23THRUST_200600_302600_NS6detail15normal_iteratorINS9_10device_ptrIyEEEEPS5_jNS0_19identity_decomposerEEE10hipError_tT1_T2_PT3_SK_jT4_jjP12ihipStream_tbEUlT_E_NS1_11comp_targetILNS1_3genE9ELNS1_11target_archE1100ELNS1_3gpuE3ELNS1_3repE0EEENS1_52radix_sort_onesweep_histogram_config_static_selectorELNS0_4arch9wavefront6targetE1EEEvSI_, .Lfunc_end844-_ZN7rocprim17ROCPRIM_400000_NS6detail17trampoline_kernelINS0_14default_configENS1_35radix_sort_onesweep_config_selectorIyNS0_10empty_typeEEEZNS1_34radix_sort_onesweep_global_offsetsIS3_Lb0EN6thrust23THRUST_200600_302600_NS6detail15normal_iteratorINS9_10device_ptrIyEEEEPS5_jNS0_19identity_decomposerEEE10hipError_tT1_T2_PT3_SK_jT4_jjP12ihipStream_tbEUlT_E_NS1_11comp_targetILNS1_3genE9ELNS1_11target_archE1100ELNS1_3gpuE3ELNS1_3repE0EEENS1_52radix_sort_onesweep_histogram_config_static_selectorELNS0_4arch9wavefront6targetE1EEEvSI_
                                        ; -- End function
	.section	.AMDGPU.csdata,"",@progbits
; Kernel info:
; codeLenInByte = 0
; NumSgprs: 6
; NumVgprs: 0
; NumAgprs: 0
; TotalNumVgprs: 0
; ScratchSize: 0
; MemoryBound: 0
; FloatMode: 240
; IeeeMode: 1
; LDSByteSize: 0 bytes/workgroup (compile time only)
; SGPRBlocks: 0
; VGPRBlocks: 0
; NumSGPRsForWavesPerEU: 6
; NumVGPRsForWavesPerEU: 1
; AccumOffset: 4
; Occupancy: 8
; WaveLimiterHint : 0
; COMPUTE_PGM_RSRC2:SCRATCH_EN: 0
; COMPUTE_PGM_RSRC2:USER_SGPR: 2
; COMPUTE_PGM_RSRC2:TRAP_HANDLER: 0
; COMPUTE_PGM_RSRC2:TGID_X_EN: 1
; COMPUTE_PGM_RSRC2:TGID_Y_EN: 0
; COMPUTE_PGM_RSRC2:TGID_Z_EN: 0
; COMPUTE_PGM_RSRC2:TIDIG_COMP_CNT: 0
; COMPUTE_PGM_RSRC3_GFX90A:ACCUM_OFFSET: 0
; COMPUTE_PGM_RSRC3_GFX90A:TG_SPLIT: 0
	.section	.text._ZN7rocprim17ROCPRIM_400000_NS6detail17trampoline_kernelINS0_14default_configENS1_35radix_sort_onesweep_config_selectorIyNS0_10empty_typeEEEZNS1_34radix_sort_onesweep_global_offsetsIS3_Lb0EN6thrust23THRUST_200600_302600_NS6detail15normal_iteratorINS9_10device_ptrIyEEEEPS5_jNS0_19identity_decomposerEEE10hipError_tT1_T2_PT3_SK_jT4_jjP12ihipStream_tbEUlT_E_NS1_11comp_targetILNS1_3genE8ELNS1_11target_archE1030ELNS1_3gpuE2ELNS1_3repE0EEENS1_52radix_sort_onesweep_histogram_config_static_selectorELNS0_4arch9wavefront6targetE1EEEvSI_,"axG",@progbits,_ZN7rocprim17ROCPRIM_400000_NS6detail17trampoline_kernelINS0_14default_configENS1_35radix_sort_onesweep_config_selectorIyNS0_10empty_typeEEEZNS1_34radix_sort_onesweep_global_offsetsIS3_Lb0EN6thrust23THRUST_200600_302600_NS6detail15normal_iteratorINS9_10device_ptrIyEEEEPS5_jNS0_19identity_decomposerEEE10hipError_tT1_T2_PT3_SK_jT4_jjP12ihipStream_tbEUlT_E_NS1_11comp_targetILNS1_3genE8ELNS1_11target_archE1030ELNS1_3gpuE2ELNS1_3repE0EEENS1_52radix_sort_onesweep_histogram_config_static_selectorELNS0_4arch9wavefront6targetE1EEEvSI_,comdat
	.protected	_ZN7rocprim17ROCPRIM_400000_NS6detail17trampoline_kernelINS0_14default_configENS1_35radix_sort_onesweep_config_selectorIyNS0_10empty_typeEEEZNS1_34radix_sort_onesweep_global_offsetsIS3_Lb0EN6thrust23THRUST_200600_302600_NS6detail15normal_iteratorINS9_10device_ptrIyEEEEPS5_jNS0_19identity_decomposerEEE10hipError_tT1_T2_PT3_SK_jT4_jjP12ihipStream_tbEUlT_E_NS1_11comp_targetILNS1_3genE8ELNS1_11target_archE1030ELNS1_3gpuE2ELNS1_3repE0EEENS1_52radix_sort_onesweep_histogram_config_static_selectorELNS0_4arch9wavefront6targetE1EEEvSI_ ; -- Begin function _ZN7rocprim17ROCPRIM_400000_NS6detail17trampoline_kernelINS0_14default_configENS1_35radix_sort_onesweep_config_selectorIyNS0_10empty_typeEEEZNS1_34radix_sort_onesweep_global_offsetsIS3_Lb0EN6thrust23THRUST_200600_302600_NS6detail15normal_iteratorINS9_10device_ptrIyEEEEPS5_jNS0_19identity_decomposerEEE10hipError_tT1_T2_PT3_SK_jT4_jjP12ihipStream_tbEUlT_E_NS1_11comp_targetILNS1_3genE8ELNS1_11target_archE1030ELNS1_3gpuE2ELNS1_3repE0EEENS1_52radix_sort_onesweep_histogram_config_static_selectorELNS0_4arch9wavefront6targetE1EEEvSI_
	.globl	_ZN7rocprim17ROCPRIM_400000_NS6detail17trampoline_kernelINS0_14default_configENS1_35radix_sort_onesweep_config_selectorIyNS0_10empty_typeEEEZNS1_34radix_sort_onesweep_global_offsetsIS3_Lb0EN6thrust23THRUST_200600_302600_NS6detail15normal_iteratorINS9_10device_ptrIyEEEEPS5_jNS0_19identity_decomposerEEE10hipError_tT1_T2_PT3_SK_jT4_jjP12ihipStream_tbEUlT_E_NS1_11comp_targetILNS1_3genE8ELNS1_11target_archE1030ELNS1_3gpuE2ELNS1_3repE0EEENS1_52radix_sort_onesweep_histogram_config_static_selectorELNS0_4arch9wavefront6targetE1EEEvSI_
	.p2align	8
	.type	_ZN7rocprim17ROCPRIM_400000_NS6detail17trampoline_kernelINS0_14default_configENS1_35radix_sort_onesweep_config_selectorIyNS0_10empty_typeEEEZNS1_34radix_sort_onesweep_global_offsetsIS3_Lb0EN6thrust23THRUST_200600_302600_NS6detail15normal_iteratorINS9_10device_ptrIyEEEEPS5_jNS0_19identity_decomposerEEE10hipError_tT1_T2_PT3_SK_jT4_jjP12ihipStream_tbEUlT_E_NS1_11comp_targetILNS1_3genE8ELNS1_11target_archE1030ELNS1_3gpuE2ELNS1_3repE0EEENS1_52radix_sort_onesweep_histogram_config_static_selectorELNS0_4arch9wavefront6targetE1EEEvSI_,@function
_ZN7rocprim17ROCPRIM_400000_NS6detail17trampoline_kernelINS0_14default_configENS1_35radix_sort_onesweep_config_selectorIyNS0_10empty_typeEEEZNS1_34radix_sort_onesweep_global_offsetsIS3_Lb0EN6thrust23THRUST_200600_302600_NS6detail15normal_iteratorINS9_10device_ptrIyEEEEPS5_jNS0_19identity_decomposerEEE10hipError_tT1_T2_PT3_SK_jT4_jjP12ihipStream_tbEUlT_E_NS1_11comp_targetILNS1_3genE8ELNS1_11target_archE1030ELNS1_3gpuE2ELNS1_3repE0EEENS1_52radix_sort_onesweep_histogram_config_static_selectorELNS0_4arch9wavefront6targetE1EEEvSI_: ; @_ZN7rocprim17ROCPRIM_400000_NS6detail17trampoline_kernelINS0_14default_configENS1_35radix_sort_onesweep_config_selectorIyNS0_10empty_typeEEEZNS1_34radix_sort_onesweep_global_offsetsIS3_Lb0EN6thrust23THRUST_200600_302600_NS6detail15normal_iteratorINS9_10device_ptrIyEEEEPS5_jNS0_19identity_decomposerEEE10hipError_tT1_T2_PT3_SK_jT4_jjP12ihipStream_tbEUlT_E_NS1_11comp_targetILNS1_3genE8ELNS1_11target_archE1030ELNS1_3gpuE2ELNS1_3repE0EEENS1_52radix_sort_onesweep_histogram_config_static_selectorELNS0_4arch9wavefront6targetE1EEEvSI_
; %bb.0:
	.section	.rodata,"a",@progbits
	.p2align	6, 0x0
	.amdhsa_kernel _ZN7rocprim17ROCPRIM_400000_NS6detail17trampoline_kernelINS0_14default_configENS1_35radix_sort_onesweep_config_selectorIyNS0_10empty_typeEEEZNS1_34radix_sort_onesweep_global_offsetsIS3_Lb0EN6thrust23THRUST_200600_302600_NS6detail15normal_iteratorINS9_10device_ptrIyEEEEPS5_jNS0_19identity_decomposerEEE10hipError_tT1_T2_PT3_SK_jT4_jjP12ihipStream_tbEUlT_E_NS1_11comp_targetILNS1_3genE8ELNS1_11target_archE1030ELNS1_3gpuE2ELNS1_3repE0EEENS1_52radix_sort_onesweep_histogram_config_static_selectorELNS0_4arch9wavefront6targetE1EEEvSI_
		.amdhsa_group_segment_fixed_size 0
		.amdhsa_private_segment_fixed_size 0
		.amdhsa_kernarg_size 40
		.amdhsa_user_sgpr_count 2
		.amdhsa_user_sgpr_dispatch_ptr 0
		.amdhsa_user_sgpr_queue_ptr 0
		.amdhsa_user_sgpr_kernarg_segment_ptr 1
		.amdhsa_user_sgpr_dispatch_id 0
		.amdhsa_user_sgpr_kernarg_preload_length 0
		.amdhsa_user_sgpr_kernarg_preload_offset 0
		.amdhsa_user_sgpr_private_segment_size 0
		.amdhsa_uses_dynamic_stack 0
		.amdhsa_enable_private_segment 0
		.amdhsa_system_sgpr_workgroup_id_x 1
		.amdhsa_system_sgpr_workgroup_id_y 0
		.amdhsa_system_sgpr_workgroup_id_z 0
		.amdhsa_system_sgpr_workgroup_info 0
		.amdhsa_system_vgpr_workitem_id 0
		.amdhsa_next_free_vgpr 1
		.amdhsa_next_free_sgpr 0
		.amdhsa_accum_offset 4
		.amdhsa_reserve_vcc 0
		.amdhsa_float_round_mode_32 0
		.amdhsa_float_round_mode_16_64 0
		.amdhsa_float_denorm_mode_32 3
		.amdhsa_float_denorm_mode_16_64 3
		.amdhsa_dx10_clamp 1
		.amdhsa_ieee_mode 1
		.amdhsa_fp16_overflow 0
		.amdhsa_tg_split 0
		.amdhsa_exception_fp_ieee_invalid_op 0
		.amdhsa_exception_fp_denorm_src 0
		.amdhsa_exception_fp_ieee_div_zero 0
		.amdhsa_exception_fp_ieee_overflow 0
		.amdhsa_exception_fp_ieee_underflow 0
		.amdhsa_exception_fp_ieee_inexact 0
		.amdhsa_exception_int_div_zero 0
	.end_amdhsa_kernel
	.section	.text._ZN7rocprim17ROCPRIM_400000_NS6detail17trampoline_kernelINS0_14default_configENS1_35radix_sort_onesweep_config_selectorIyNS0_10empty_typeEEEZNS1_34radix_sort_onesweep_global_offsetsIS3_Lb0EN6thrust23THRUST_200600_302600_NS6detail15normal_iteratorINS9_10device_ptrIyEEEEPS5_jNS0_19identity_decomposerEEE10hipError_tT1_T2_PT3_SK_jT4_jjP12ihipStream_tbEUlT_E_NS1_11comp_targetILNS1_3genE8ELNS1_11target_archE1030ELNS1_3gpuE2ELNS1_3repE0EEENS1_52radix_sort_onesweep_histogram_config_static_selectorELNS0_4arch9wavefront6targetE1EEEvSI_,"axG",@progbits,_ZN7rocprim17ROCPRIM_400000_NS6detail17trampoline_kernelINS0_14default_configENS1_35radix_sort_onesweep_config_selectorIyNS0_10empty_typeEEEZNS1_34radix_sort_onesweep_global_offsetsIS3_Lb0EN6thrust23THRUST_200600_302600_NS6detail15normal_iteratorINS9_10device_ptrIyEEEEPS5_jNS0_19identity_decomposerEEE10hipError_tT1_T2_PT3_SK_jT4_jjP12ihipStream_tbEUlT_E_NS1_11comp_targetILNS1_3genE8ELNS1_11target_archE1030ELNS1_3gpuE2ELNS1_3repE0EEENS1_52radix_sort_onesweep_histogram_config_static_selectorELNS0_4arch9wavefront6targetE1EEEvSI_,comdat
.Lfunc_end845:
	.size	_ZN7rocprim17ROCPRIM_400000_NS6detail17trampoline_kernelINS0_14default_configENS1_35radix_sort_onesweep_config_selectorIyNS0_10empty_typeEEEZNS1_34radix_sort_onesweep_global_offsetsIS3_Lb0EN6thrust23THRUST_200600_302600_NS6detail15normal_iteratorINS9_10device_ptrIyEEEEPS5_jNS0_19identity_decomposerEEE10hipError_tT1_T2_PT3_SK_jT4_jjP12ihipStream_tbEUlT_E_NS1_11comp_targetILNS1_3genE8ELNS1_11target_archE1030ELNS1_3gpuE2ELNS1_3repE0EEENS1_52radix_sort_onesweep_histogram_config_static_selectorELNS0_4arch9wavefront6targetE1EEEvSI_, .Lfunc_end845-_ZN7rocprim17ROCPRIM_400000_NS6detail17trampoline_kernelINS0_14default_configENS1_35radix_sort_onesweep_config_selectorIyNS0_10empty_typeEEEZNS1_34radix_sort_onesweep_global_offsetsIS3_Lb0EN6thrust23THRUST_200600_302600_NS6detail15normal_iteratorINS9_10device_ptrIyEEEEPS5_jNS0_19identity_decomposerEEE10hipError_tT1_T2_PT3_SK_jT4_jjP12ihipStream_tbEUlT_E_NS1_11comp_targetILNS1_3genE8ELNS1_11target_archE1030ELNS1_3gpuE2ELNS1_3repE0EEENS1_52radix_sort_onesweep_histogram_config_static_selectorELNS0_4arch9wavefront6targetE1EEEvSI_
                                        ; -- End function
	.section	.AMDGPU.csdata,"",@progbits
; Kernel info:
; codeLenInByte = 0
; NumSgprs: 6
; NumVgprs: 0
; NumAgprs: 0
; TotalNumVgprs: 0
; ScratchSize: 0
; MemoryBound: 0
; FloatMode: 240
; IeeeMode: 1
; LDSByteSize: 0 bytes/workgroup (compile time only)
; SGPRBlocks: 0
; VGPRBlocks: 0
; NumSGPRsForWavesPerEU: 6
; NumVGPRsForWavesPerEU: 1
; AccumOffset: 4
; Occupancy: 8
; WaveLimiterHint : 0
; COMPUTE_PGM_RSRC2:SCRATCH_EN: 0
; COMPUTE_PGM_RSRC2:USER_SGPR: 2
; COMPUTE_PGM_RSRC2:TRAP_HANDLER: 0
; COMPUTE_PGM_RSRC2:TGID_X_EN: 1
; COMPUTE_PGM_RSRC2:TGID_Y_EN: 0
; COMPUTE_PGM_RSRC2:TGID_Z_EN: 0
; COMPUTE_PGM_RSRC2:TIDIG_COMP_CNT: 0
; COMPUTE_PGM_RSRC3_GFX90A:ACCUM_OFFSET: 0
; COMPUTE_PGM_RSRC3_GFX90A:TG_SPLIT: 0
	.section	.text._ZN7rocprim17ROCPRIM_400000_NS6detail17trampoline_kernelINS0_14default_configENS1_35radix_sort_onesweep_config_selectorIyNS0_10empty_typeEEEZNS1_34radix_sort_onesweep_global_offsetsIS3_Lb0EN6thrust23THRUST_200600_302600_NS6detail15normal_iteratorINS9_10device_ptrIyEEEEPS5_jNS0_19identity_decomposerEEE10hipError_tT1_T2_PT3_SK_jT4_jjP12ihipStream_tbEUlT_E0_NS1_11comp_targetILNS1_3genE0ELNS1_11target_archE4294967295ELNS1_3gpuE0ELNS1_3repE0EEENS1_52radix_sort_onesweep_histogram_config_static_selectorELNS0_4arch9wavefront6targetE1EEEvSI_,"axG",@progbits,_ZN7rocprim17ROCPRIM_400000_NS6detail17trampoline_kernelINS0_14default_configENS1_35radix_sort_onesweep_config_selectorIyNS0_10empty_typeEEEZNS1_34radix_sort_onesweep_global_offsetsIS3_Lb0EN6thrust23THRUST_200600_302600_NS6detail15normal_iteratorINS9_10device_ptrIyEEEEPS5_jNS0_19identity_decomposerEEE10hipError_tT1_T2_PT3_SK_jT4_jjP12ihipStream_tbEUlT_E0_NS1_11comp_targetILNS1_3genE0ELNS1_11target_archE4294967295ELNS1_3gpuE0ELNS1_3repE0EEENS1_52radix_sort_onesweep_histogram_config_static_selectorELNS0_4arch9wavefront6targetE1EEEvSI_,comdat
	.protected	_ZN7rocprim17ROCPRIM_400000_NS6detail17trampoline_kernelINS0_14default_configENS1_35radix_sort_onesweep_config_selectorIyNS0_10empty_typeEEEZNS1_34radix_sort_onesweep_global_offsetsIS3_Lb0EN6thrust23THRUST_200600_302600_NS6detail15normal_iteratorINS9_10device_ptrIyEEEEPS5_jNS0_19identity_decomposerEEE10hipError_tT1_T2_PT3_SK_jT4_jjP12ihipStream_tbEUlT_E0_NS1_11comp_targetILNS1_3genE0ELNS1_11target_archE4294967295ELNS1_3gpuE0ELNS1_3repE0EEENS1_52radix_sort_onesweep_histogram_config_static_selectorELNS0_4arch9wavefront6targetE1EEEvSI_ ; -- Begin function _ZN7rocprim17ROCPRIM_400000_NS6detail17trampoline_kernelINS0_14default_configENS1_35radix_sort_onesweep_config_selectorIyNS0_10empty_typeEEEZNS1_34radix_sort_onesweep_global_offsetsIS3_Lb0EN6thrust23THRUST_200600_302600_NS6detail15normal_iteratorINS9_10device_ptrIyEEEEPS5_jNS0_19identity_decomposerEEE10hipError_tT1_T2_PT3_SK_jT4_jjP12ihipStream_tbEUlT_E0_NS1_11comp_targetILNS1_3genE0ELNS1_11target_archE4294967295ELNS1_3gpuE0ELNS1_3repE0EEENS1_52radix_sort_onesweep_histogram_config_static_selectorELNS0_4arch9wavefront6targetE1EEEvSI_
	.globl	_ZN7rocprim17ROCPRIM_400000_NS6detail17trampoline_kernelINS0_14default_configENS1_35radix_sort_onesweep_config_selectorIyNS0_10empty_typeEEEZNS1_34radix_sort_onesweep_global_offsetsIS3_Lb0EN6thrust23THRUST_200600_302600_NS6detail15normal_iteratorINS9_10device_ptrIyEEEEPS5_jNS0_19identity_decomposerEEE10hipError_tT1_T2_PT3_SK_jT4_jjP12ihipStream_tbEUlT_E0_NS1_11comp_targetILNS1_3genE0ELNS1_11target_archE4294967295ELNS1_3gpuE0ELNS1_3repE0EEENS1_52radix_sort_onesweep_histogram_config_static_selectorELNS0_4arch9wavefront6targetE1EEEvSI_
	.p2align	8
	.type	_ZN7rocprim17ROCPRIM_400000_NS6detail17trampoline_kernelINS0_14default_configENS1_35radix_sort_onesweep_config_selectorIyNS0_10empty_typeEEEZNS1_34radix_sort_onesweep_global_offsetsIS3_Lb0EN6thrust23THRUST_200600_302600_NS6detail15normal_iteratorINS9_10device_ptrIyEEEEPS5_jNS0_19identity_decomposerEEE10hipError_tT1_T2_PT3_SK_jT4_jjP12ihipStream_tbEUlT_E0_NS1_11comp_targetILNS1_3genE0ELNS1_11target_archE4294967295ELNS1_3gpuE0ELNS1_3repE0EEENS1_52radix_sort_onesweep_histogram_config_static_selectorELNS0_4arch9wavefront6targetE1EEEvSI_,@function
_ZN7rocprim17ROCPRIM_400000_NS6detail17trampoline_kernelINS0_14default_configENS1_35radix_sort_onesweep_config_selectorIyNS0_10empty_typeEEEZNS1_34radix_sort_onesweep_global_offsetsIS3_Lb0EN6thrust23THRUST_200600_302600_NS6detail15normal_iteratorINS9_10device_ptrIyEEEEPS5_jNS0_19identity_decomposerEEE10hipError_tT1_T2_PT3_SK_jT4_jjP12ihipStream_tbEUlT_E0_NS1_11comp_targetILNS1_3genE0ELNS1_11target_archE4294967295ELNS1_3gpuE0ELNS1_3repE0EEENS1_52radix_sort_onesweep_histogram_config_static_selectorELNS0_4arch9wavefront6targetE1EEEvSI_: ; @_ZN7rocprim17ROCPRIM_400000_NS6detail17trampoline_kernelINS0_14default_configENS1_35radix_sort_onesweep_config_selectorIyNS0_10empty_typeEEEZNS1_34radix_sort_onesweep_global_offsetsIS3_Lb0EN6thrust23THRUST_200600_302600_NS6detail15normal_iteratorINS9_10device_ptrIyEEEEPS5_jNS0_19identity_decomposerEEE10hipError_tT1_T2_PT3_SK_jT4_jjP12ihipStream_tbEUlT_E0_NS1_11comp_targetILNS1_3genE0ELNS1_11target_archE4294967295ELNS1_3gpuE0ELNS1_3repE0EEENS1_52radix_sort_onesweep_histogram_config_static_selectorELNS0_4arch9wavefront6targetE1EEEvSI_
; %bb.0:
	.section	.rodata,"a",@progbits
	.p2align	6, 0x0
	.amdhsa_kernel _ZN7rocprim17ROCPRIM_400000_NS6detail17trampoline_kernelINS0_14default_configENS1_35radix_sort_onesweep_config_selectorIyNS0_10empty_typeEEEZNS1_34radix_sort_onesweep_global_offsetsIS3_Lb0EN6thrust23THRUST_200600_302600_NS6detail15normal_iteratorINS9_10device_ptrIyEEEEPS5_jNS0_19identity_decomposerEEE10hipError_tT1_T2_PT3_SK_jT4_jjP12ihipStream_tbEUlT_E0_NS1_11comp_targetILNS1_3genE0ELNS1_11target_archE4294967295ELNS1_3gpuE0ELNS1_3repE0EEENS1_52radix_sort_onesweep_histogram_config_static_selectorELNS0_4arch9wavefront6targetE1EEEvSI_
		.amdhsa_group_segment_fixed_size 0
		.amdhsa_private_segment_fixed_size 0
		.amdhsa_kernarg_size 8
		.amdhsa_user_sgpr_count 2
		.amdhsa_user_sgpr_dispatch_ptr 0
		.amdhsa_user_sgpr_queue_ptr 0
		.amdhsa_user_sgpr_kernarg_segment_ptr 1
		.amdhsa_user_sgpr_dispatch_id 0
		.amdhsa_user_sgpr_kernarg_preload_length 0
		.amdhsa_user_sgpr_kernarg_preload_offset 0
		.amdhsa_user_sgpr_private_segment_size 0
		.amdhsa_uses_dynamic_stack 0
		.amdhsa_enable_private_segment 0
		.amdhsa_system_sgpr_workgroup_id_x 1
		.amdhsa_system_sgpr_workgroup_id_y 0
		.amdhsa_system_sgpr_workgroup_id_z 0
		.amdhsa_system_sgpr_workgroup_info 0
		.amdhsa_system_vgpr_workitem_id 0
		.amdhsa_next_free_vgpr 1
		.amdhsa_next_free_sgpr 0
		.amdhsa_accum_offset 4
		.amdhsa_reserve_vcc 0
		.amdhsa_float_round_mode_32 0
		.amdhsa_float_round_mode_16_64 0
		.amdhsa_float_denorm_mode_32 3
		.amdhsa_float_denorm_mode_16_64 3
		.amdhsa_dx10_clamp 1
		.amdhsa_ieee_mode 1
		.amdhsa_fp16_overflow 0
		.amdhsa_tg_split 0
		.amdhsa_exception_fp_ieee_invalid_op 0
		.amdhsa_exception_fp_denorm_src 0
		.amdhsa_exception_fp_ieee_div_zero 0
		.amdhsa_exception_fp_ieee_overflow 0
		.amdhsa_exception_fp_ieee_underflow 0
		.amdhsa_exception_fp_ieee_inexact 0
		.amdhsa_exception_int_div_zero 0
	.end_amdhsa_kernel
	.section	.text._ZN7rocprim17ROCPRIM_400000_NS6detail17trampoline_kernelINS0_14default_configENS1_35radix_sort_onesweep_config_selectorIyNS0_10empty_typeEEEZNS1_34radix_sort_onesweep_global_offsetsIS3_Lb0EN6thrust23THRUST_200600_302600_NS6detail15normal_iteratorINS9_10device_ptrIyEEEEPS5_jNS0_19identity_decomposerEEE10hipError_tT1_T2_PT3_SK_jT4_jjP12ihipStream_tbEUlT_E0_NS1_11comp_targetILNS1_3genE0ELNS1_11target_archE4294967295ELNS1_3gpuE0ELNS1_3repE0EEENS1_52radix_sort_onesweep_histogram_config_static_selectorELNS0_4arch9wavefront6targetE1EEEvSI_,"axG",@progbits,_ZN7rocprim17ROCPRIM_400000_NS6detail17trampoline_kernelINS0_14default_configENS1_35radix_sort_onesweep_config_selectorIyNS0_10empty_typeEEEZNS1_34radix_sort_onesweep_global_offsetsIS3_Lb0EN6thrust23THRUST_200600_302600_NS6detail15normal_iteratorINS9_10device_ptrIyEEEEPS5_jNS0_19identity_decomposerEEE10hipError_tT1_T2_PT3_SK_jT4_jjP12ihipStream_tbEUlT_E0_NS1_11comp_targetILNS1_3genE0ELNS1_11target_archE4294967295ELNS1_3gpuE0ELNS1_3repE0EEENS1_52radix_sort_onesweep_histogram_config_static_selectorELNS0_4arch9wavefront6targetE1EEEvSI_,comdat
.Lfunc_end846:
	.size	_ZN7rocprim17ROCPRIM_400000_NS6detail17trampoline_kernelINS0_14default_configENS1_35radix_sort_onesweep_config_selectorIyNS0_10empty_typeEEEZNS1_34radix_sort_onesweep_global_offsetsIS3_Lb0EN6thrust23THRUST_200600_302600_NS6detail15normal_iteratorINS9_10device_ptrIyEEEEPS5_jNS0_19identity_decomposerEEE10hipError_tT1_T2_PT3_SK_jT4_jjP12ihipStream_tbEUlT_E0_NS1_11comp_targetILNS1_3genE0ELNS1_11target_archE4294967295ELNS1_3gpuE0ELNS1_3repE0EEENS1_52radix_sort_onesweep_histogram_config_static_selectorELNS0_4arch9wavefront6targetE1EEEvSI_, .Lfunc_end846-_ZN7rocprim17ROCPRIM_400000_NS6detail17trampoline_kernelINS0_14default_configENS1_35radix_sort_onesweep_config_selectorIyNS0_10empty_typeEEEZNS1_34radix_sort_onesweep_global_offsetsIS3_Lb0EN6thrust23THRUST_200600_302600_NS6detail15normal_iteratorINS9_10device_ptrIyEEEEPS5_jNS0_19identity_decomposerEEE10hipError_tT1_T2_PT3_SK_jT4_jjP12ihipStream_tbEUlT_E0_NS1_11comp_targetILNS1_3genE0ELNS1_11target_archE4294967295ELNS1_3gpuE0ELNS1_3repE0EEENS1_52radix_sort_onesweep_histogram_config_static_selectorELNS0_4arch9wavefront6targetE1EEEvSI_
                                        ; -- End function
	.section	.AMDGPU.csdata,"",@progbits
; Kernel info:
; codeLenInByte = 0
; NumSgprs: 6
; NumVgprs: 0
; NumAgprs: 0
; TotalNumVgprs: 0
; ScratchSize: 0
; MemoryBound: 0
; FloatMode: 240
; IeeeMode: 1
; LDSByteSize: 0 bytes/workgroup (compile time only)
; SGPRBlocks: 0
; VGPRBlocks: 0
; NumSGPRsForWavesPerEU: 6
; NumVGPRsForWavesPerEU: 1
; AccumOffset: 4
; Occupancy: 8
; WaveLimiterHint : 0
; COMPUTE_PGM_RSRC2:SCRATCH_EN: 0
; COMPUTE_PGM_RSRC2:USER_SGPR: 2
; COMPUTE_PGM_RSRC2:TRAP_HANDLER: 0
; COMPUTE_PGM_RSRC2:TGID_X_EN: 1
; COMPUTE_PGM_RSRC2:TGID_Y_EN: 0
; COMPUTE_PGM_RSRC2:TGID_Z_EN: 0
; COMPUTE_PGM_RSRC2:TIDIG_COMP_CNT: 0
; COMPUTE_PGM_RSRC3_GFX90A:ACCUM_OFFSET: 0
; COMPUTE_PGM_RSRC3_GFX90A:TG_SPLIT: 0
	.section	.text._ZN7rocprim17ROCPRIM_400000_NS6detail17trampoline_kernelINS0_14default_configENS1_35radix_sort_onesweep_config_selectorIyNS0_10empty_typeEEEZNS1_34radix_sort_onesweep_global_offsetsIS3_Lb0EN6thrust23THRUST_200600_302600_NS6detail15normal_iteratorINS9_10device_ptrIyEEEEPS5_jNS0_19identity_decomposerEEE10hipError_tT1_T2_PT3_SK_jT4_jjP12ihipStream_tbEUlT_E0_NS1_11comp_targetILNS1_3genE6ELNS1_11target_archE950ELNS1_3gpuE13ELNS1_3repE0EEENS1_52radix_sort_onesweep_histogram_config_static_selectorELNS0_4arch9wavefront6targetE1EEEvSI_,"axG",@progbits,_ZN7rocprim17ROCPRIM_400000_NS6detail17trampoline_kernelINS0_14default_configENS1_35radix_sort_onesweep_config_selectorIyNS0_10empty_typeEEEZNS1_34radix_sort_onesweep_global_offsetsIS3_Lb0EN6thrust23THRUST_200600_302600_NS6detail15normal_iteratorINS9_10device_ptrIyEEEEPS5_jNS0_19identity_decomposerEEE10hipError_tT1_T2_PT3_SK_jT4_jjP12ihipStream_tbEUlT_E0_NS1_11comp_targetILNS1_3genE6ELNS1_11target_archE950ELNS1_3gpuE13ELNS1_3repE0EEENS1_52radix_sort_onesweep_histogram_config_static_selectorELNS0_4arch9wavefront6targetE1EEEvSI_,comdat
	.protected	_ZN7rocprim17ROCPRIM_400000_NS6detail17trampoline_kernelINS0_14default_configENS1_35radix_sort_onesweep_config_selectorIyNS0_10empty_typeEEEZNS1_34radix_sort_onesweep_global_offsetsIS3_Lb0EN6thrust23THRUST_200600_302600_NS6detail15normal_iteratorINS9_10device_ptrIyEEEEPS5_jNS0_19identity_decomposerEEE10hipError_tT1_T2_PT3_SK_jT4_jjP12ihipStream_tbEUlT_E0_NS1_11comp_targetILNS1_3genE6ELNS1_11target_archE950ELNS1_3gpuE13ELNS1_3repE0EEENS1_52radix_sort_onesweep_histogram_config_static_selectorELNS0_4arch9wavefront6targetE1EEEvSI_ ; -- Begin function _ZN7rocprim17ROCPRIM_400000_NS6detail17trampoline_kernelINS0_14default_configENS1_35radix_sort_onesweep_config_selectorIyNS0_10empty_typeEEEZNS1_34radix_sort_onesweep_global_offsetsIS3_Lb0EN6thrust23THRUST_200600_302600_NS6detail15normal_iteratorINS9_10device_ptrIyEEEEPS5_jNS0_19identity_decomposerEEE10hipError_tT1_T2_PT3_SK_jT4_jjP12ihipStream_tbEUlT_E0_NS1_11comp_targetILNS1_3genE6ELNS1_11target_archE950ELNS1_3gpuE13ELNS1_3repE0EEENS1_52radix_sort_onesweep_histogram_config_static_selectorELNS0_4arch9wavefront6targetE1EEEvSI_
	.globl	_ZN7rocprim17ROCPRIM_400000_NS6detail17trampoline_kernelINS0_14default_configENS1_35radix_sort_onesweep_config_selectorIyNS0_10empty_typeEEEZNS1_34radix_sort_onesweep_global_offsetsIS3_Lb0EN6thrust23THRUST_200600_302600_NS6detail15normal_iteratorINS9_10device_ptrIyEEEEPS5_jNS0_19identity_decomposerEEE10hipError_tT1_T2_PT3_SK_jT4_jjP12ihipStream_tbEUlT_E0_NS1_11comp_targetILNS1_3genE6ELNS1_11target_archE950ELNS1_3gpuE13ELNS1_3repE0EEENS1_52radix_sort_onesweep_histogram_config_static_selectorELNS0_4arch9wavefront6targetE1EEEvSI_
	.p2align	8
	.type	_ZN7rocprim17ROCPRIM_400000_NS6detail17trampoline_kernelINS0_14default_configENS1_35radix_sort_onesweep_config_selectorIyNS0_10empty_typeEEEZNS1_34radix_sort_onesweep_global_offsetsIS3_Lb0EN6thrust23THRUST_200600_302600_NS6detail15normal_iteratorINS9_10device_ptrIyEEEEPS5_jNS0_19identity_decomposerEEE10hipError_tT1_T2_PT3_SK_jT4_jjP12ihipStream_tbEUlT_E0_NS1_11comp_targetILNS1_3genE6ELNS1_11target_archE950ELNS1_3gpuE13ELNS1_3repE0EEENS1_52radix_sort_onesweep_histogram_config_static_selectorELNS0_4arch9wavefront6targetE1EEEvSI_,@function
_ZN7rocprim17ROCPRIM_400000_NS6detail17trampoline_kernelINS0_14default_configENS1_35radix_sort_onesweep_config_selectorIyNS0_10empty_typeEEEZNS1_34radix_sort_onesweep_global_offsetsIS3_Lb0EN6thrust23THRUST_200600_302600_NS6detail15normal_iteratorINS9_10device_ptrIyEEEEPS5_jNS0_19identity_decomposerEEE10hipError_tT1_T2_PT3_SK_jT4_jjP12ihipStream_tbEUlT_E0_NS1_11comp_targetILNS1_3genE6ELNS1_11target_archE950ELNS1_3gpuE13ELNS1_3repE0EEENS1_52radix_sort_onesweep_histogram_config_static_selectorELNS0_4arch9wavefront6targetE1EEEvSI_: ; @_ZN7rocprim17ROCPRIM_400000_NS6detail17trampoline_kernelINS0_14default_configENS1_35radix_sort_onesweep_config_selectorIyNS0_10empty_typeEEEZNS1_34radix_sort_onesweep_global_offsetsIS3_Lb0EN6thrust23THRUST_200600_302600_NS6detail15normal_iteratorINS9_10device_ptrIyEEEEPS5_jNS0_19identity_decomposerEEE10hipError_tT1_T2_PT3_SK_jT4_jjP12ihipStream_tbEUlT_E0_NS1_11comp_targetILNS1_3genE6ELNS1_11target_archE950ELNS1_3gpuE13ELNS1_3repE0EEENS1_52radix_sort_onesweep_histogram_config_static_selectorELNS0_4arch9wavefront6targetE1EEEvSI_
; %bb.0:
	.section	.rodata,"a",@progbits
	.p2align	6, 0x0
	.amdhsa_kernel _ZN7rocprim17ROCPRIM_400000_NS6detail17trampoline_kernelINS0_14default_configENS1_35radix_sort_onesweep_config_selectorIyNS0_10empty_typeEEEZNS1_34radix_sort_onesweep_global_offsetsIS3_Lb0EN6thrust23THRUST_200600_302600_NS6detail15normal_iteratorINS9_10device_ptrIyEEEEPS5_jNS0_19identity_decomposerEEE10hipError_tT1_T2_PT3_SK_jT4_jjP12ihipStream_tbEUlT_E0_NS1_11comp_targetILNS1_3genE6ELNS1_11target_archE950ELNS1_3gpuE13ELNS1_3repE0EEENS1_52radix_sort_onesweep_histogram_config_static_selectorELNS0_4arch9wavefront6targetE1EEEvSI_
		.amdhsa_group_segment_fixed_size 0
		.amdhsa_private_segment_fixed_size 0
		.amdhsa_kernarg_size 8
		.amdhsa_user_sgpr_count 2
		.amdhsa_user_sgpr_dispatch_ptr 0
		.amdhsa_user_sgpr_queue_ptr 0
		.amdhsa_user_sgpr_kernarg_segment_ptr 1
		.amdhsa_user_sgpr_dispatch_id 0
		.amdhsa_user_sgpr_kernarg_preload_length 0
		.amdhsa_user_sgpr_kernarg_preload_offset 0
		.amdhsa_user_sgpr_private_segment_size 0
		.amdhsa_uses_dynamic_stack 0
		.amdhsa_enable_private_segment 0
		.amdhsa_system_sgpr_workgroup_id_x 1
		.amdhsa_system_sgpr_workgroup_id_y 0
		.amdhsa_system_sgpr_workgroup_id_z 0
		.amdhsa_system_sgpr_workgroup_info 0
		.amdhsa_system_vgpr_workitem_id 0
		.amdhsa_next_free_vgpr 1
		.amdhsa_next_free_sgpr 0
		.amdhsa_accum_offset 4
		.amdhsa_reserve_vcc 0
		.amdhsa_float_round_mode_32 0
		.amdhsa_float_round_mode_16_64 0
		.amdhsa_float_denorm_mode_32 3
		.amdhsa_float_denorm_mode_16_64 3
		.amdhsa_dx10_clamp 1
		.amdhsa_ieee_mode 1
		.amdhsa_fp16_overflow 0
		.amdhsa_tg_split 0
		.amdhsa_exception_fp_ieee_invalid_op 0
		.amdhsa_exception_fp_denorm_src 0
		.amdhsa_exception_fp_ieee_div_zero 0
		.amdhsa_exception_fp_ieee_overflow 0
		.amdhsa_exception_fp_ieee_underflow 0
		.amdhsa_exception_fp_ieee_inexact 0
		.amdhsa_exception_int_div_zero 0
	.end_amdhsa_kernel
	.section	.text._ZN7rocprim17ROCPRIM_400000_NS6detail17trampoline_kernelINS0_14default_configENS1_35radix_sort_onesweep_config_selectorIyNS0_10empty_typeEEEZNS1_34radix_sort_onesweep_global_offsetsIS3_Lb0EN6thrust23THRUST_200600_302600_NS6detail15normal_iteratorINS9_10device_ptrIyEEEEPS5_jNS0_19identity_decomposerEEE10hipError_tT1_T2_PT3_SK_jT4_jjP12ihipStream_tbEUlT_E0_NS1_11comp_targetILNS1_3genE6ELNS1_11target_archE950ELNS1_3gpuE13ELNS1_3repE0EEENS1_52radix_sort_onesweep_histogram_config_static_selectorELNS0_4arch9wavefront6targetE1EEEvSI_,"axG",@progbits,_ZN7rocprim17ROCPRIM_400000_NS6detail17trampoline_kernelINS0_14default_configENS1_35radix_sort_onesweep_config_selectorIyNS0_10empty_typeEEEZNS1_34radix_sort_onesweep_global_offsetsIS3_Lb0EN6thrust23THRUST_200600_302600_NS6detail15normal_iteratorINS9_10device_ptrIyEEEEPS5_jNS0_19identity_decomposerEEE10hipError_tT1_T2_PT3_SK_jT4_jjP12ihipStream_tbEUlT_E0_NS1_11comp_targetILNS1_3genE6ELNS1_11target_archE950ELNS1_3gpuE13ELNS1_3repE0EEENS1_52radix_sort_onesweep_histogram_config_static_selectorELNS0_4arch9wavefront6targetE1EEEvSI_,comdat
.Lfunc_end847:
	.size	_ZN7rocprim17ROCPRIM_400000_NS6detail17trampoline_kernelINS0_14default_configENS1_35radix_sort_onesweep_config_selectorIyNS0_10empty_typeEEEZNS1_34radix_sort_onesweep_global_offsetsIS3_Lb0EN6thrust23THRUST_200600_302600_NS6detail15normal_iteratorINS9_10device_ptrIyEEEEPS5_jNS0_19identity_decomposerEEE10hipError_tT1_T2_PT3_SK_jT4_jjP12ihipStream_tbEUlT_E0_NS1_11comp_targetILNS1_3genE6ELNS1_11target_archE950ELNS1_3gpuE13ELNS1_3repE0EEENS1_52radix_sort_onesweep_histogram_config_static_selectorELNS0_4arch9wavefront6targetE1EEEvSI_, .Lfunc_end847-_ZN7rocprim17ROCPRIM_400000_NS6detail17trampoline_kernelINS0_14default_configENS1_35radix_sort_onesweep_config_selectorIyNS0_10empty_typeEEEZNS1_34radix_sort_onesweep_global_offsetsIS3_Lb0EN6thrust23THRUST_200600_302600_NS6detail15normal_iteratorINS9_10device_ptrIyEEEEPS5_jNS0_19identity_decomposerEEE10hipError_tT1_T2_PT3_SK_jT4_jjP12ihipStream_tbEUlT_E0_NS1_11comp_targetILNS1_3genE6ELNS1_11target_archE950ELNS1_3gpuE13ELNS1_3repE0EEENS1_52radix_sort_onesweep_histogram_config_static_selectorELNS0_4arch9wavefront6targetE1EEEvSI_
                                        ; -- End function
	.section	.AMDGPU.csdata,"",@progbits
; Kernel info:
; codeLenInByte = 0
; NumSgprs: 6
; NumVgprs: 0
; NumAgprs: 0
; TotalNumVgprs: 0
; ScratchSize: 0
; MemoryBound: 0
; FloatMode: 240
; IeeeMode: 1
; LDSByteSize: 0 bytes/workgroup (compile time only)
; SGPRBlocks: 0
; VGPRBlocks: 0
; NumSGPRsForWavesPerEU: 6
; NumVGPRsForWavesPerEU: 1
; AccumOffset: 4
; Occupancy: 8
; WaveLimiterHint : 0
; COMPUTE_PGM_RSRC2:SCRATCH_EN: 0
; COMPUTE_PGM_RSRC2:USER_SGPR: 2
; COMPUTE_PGM_RSRC2:TRAP_HANDLER: 0
; COMPUTE_PGM_RSRC2:TGID_X_EN: 1
; COMPUTE_PGM_RSRC2:TGID_Y_EN: 0
; COMPUTE_PGM_RSRC2:TGID_Z_EN: 0
; COMPUTE_PGM_RSRC2:TIDIG_COMP_CNT: 0
; COMPUTE_PGM_RSRC3_GFX90A:ACCUM_OFFSET: 0
; COMPUTE_PGM_RSRC3_GFX90A:TG_SPLIT: 0
	.section	.text._ZN7rocprim17ROCPRIM_400000_NS6detail17trampoline_kernelINS0_14default_configENS1_35radix_sort_onesweep_config_selectorIyNS0_10empty_typeEEEZNS1_34radix_sort_onesweep_global_offsetsIS3_Lb0EN6thrust23THRUST_200600_302600_NS6detail15normal_iteratorINS9_10device_ptrIyEEEEPS5_jNS0_19identity_decomposerEEE10hipError_tT1_T2_PT3_SK_jT4_jjP12ihipStream_tbEUlT_E0_NS1_11comp_targetILNS1_3genE5ELNS1_11target_archE942ELNS1_3gpuE9ELNS1_3repE0EEENS1_52radix_sort_onesweep_histogram_config_static_selectorELNS0_4arch9wavefront6targetE1EEEvSI_,"axG",@progbits,_ZN7rocprim17ROCPRIM_400000_NS6detail17trampoline_kernelINS0_14default_configENS1_35radix_sort_onesweep_config_selectorIyNS0_10empty_typeEEEZNS1_34radix_sort_onesweep_global_offsetsIS3_Lb0EN6thrust23THRUST_200600_302600_NS6detail15normal_iteratorINS9_10device_ptrIyEEEEPS5_jNS0_19identity_decomposerEEE10hipError_tT1_T2_PT3_SK_jT4_jjP12ihipStream_tbEUlT_E0_NS1_11comp_targetILNS1_3genE5ELNS1_11target_archE942ELNS1_3gpuE9ELNS1_3repE0EEENS1_52radix_sort_onesweep_histogram_config_static_selectorELNS0_4arch9wavefront6targetE1EEEvSI_,comdat
	.protected	_ZN7rocprim17ROCPRIM_400000_NS6detail17trampoline_kernelINS0_14default_configENS1_35radix_sort_onesweep_config_selectorIyNS0_10empty_typeEEEZNS1_34radix_sort_onesweep_global_offsetsIS3_Lb0EN6thrust23THRUST_200600_302600_NS6detail15normal_iteratorINS9_10device_ptrIyEEEEPS5_jNS0_19identity_decomposerEEE10hipError_tT1_T2_PT3_SK_jT4_jjP12ihipStream_tbEUlT_E0_NS1_11comp_targetILNS1_3genE5ELNS1_11target_archE942ELNS1_3gpuE9ELNS1_3repE0EEENS1_52radix_sort_onesweep_histogram_config_static_selectorELNS0_4arch9wavefront6targetE1EEEvSI_ ; -- Begin function _ZN7rocprim17ROCPRIM_400000_NS6detail17trampoline_kernelINS0_14default_configENS1_35radix_sort_onesweep_config_selectorIyNS0_10empty_typeEEEZNS1_34radix_sort_onesweep_global_offsetsIS3_Lb0EN6thrust23THRUST_200600_302600_NS6detail15normal_iteratorINS9_10device_ptrIyEEEEPS5_jNS0_19identity_decomposerEEE10hipError_tT1_T2_PT3_SK_jT4_jjP12ihipStream_tbEUlT_E0_NS1_11comp_targetILNS1_3genE5ELNS1_11target_archE942ELNS1_3gpuE9ELNS1_3repE0EEENS1_52radix_sort_onesweep_histogram_config_static_selectorELNS0_4arch9wavefront6targetE1EEEvSI_
	.globl	_ZN7rocprim17ROCPRIM_400000_NS6detail17trampoline_kernelINS0_14default_configENS1_35radix_sort_onesweep_config_selectorIyNS0_10empty_typeEEEZNS1_34radix_sort_onesweep_global_offsetsIS3_Lb0EN6thrust23THRUST_200600_302600_NS6detail15normal_iteratorINS9_10device_ptrIyEEEEPS5_jNS0_19identity_decomposerEEE10hipError_tT1_T2_PT3_SK_jT4_jjP12ihipStream_tbEUlT_E0_NS1_11comp_targetILNS1_3genE5ELNS1_11target_archE942ELNS1_3gpuE9ELNS1_3repE0EEENS1_52radix_sort_onesweep_histogram_config_static_selectorELNS0_4arch9wavefront6targetE1EEEvSI_
	.p2align	8
	.type	_ZN7rocprim17ROCPRIM_400000_NS6detail17trampoline_kernelINS0_14default_configENS1_35radix_sort_onesweep_config_selectorIyNS0_10empty_typeEEEZNS1_34radix_sort_onesweep_global_offsetsIS3_Lb0EN6thrust23THRUST_200600_302600_NS6detail15normal_iteratorINS9_10device_ptrIyEEEEPS5_jNS0_19identity_decomposerEEE10hipError_tT1_T2_PT3_SK_jT4_jjP12ihipStream_tbEUlT_E0_NS1_11comp_targetILNS1_3genE5ELNS1_11target_archE942ELNS1_3gpuE9ELNS1_3repE0EEENS1_52radix_sort_onesweep_histogram_config_static_selectorELNS0_4arch9wavefront6targetE1EEEvSI_,@function
_ZN7rocprim17ROCPRIM_400000_NS6detail17trampoline_kernelINS0_14default_configENS1_35radix_sort_onesweep_config_selectorIyNS0_10empty_typeEEEZNS1_34radix_sort_onesweep_global_offsetsIS3_Lb0EN6thrust23THRUST_200600_302600_NS6detail15normal_iteratorINS9_10device_ptrIyEEEEPS5_jNS0_19identity_decomposerEEE10hipError_tT1_T2_PT3_SK_jT4_jjP12ihipStream_tbEUlT_E0_NS1_11comp_targetILNS1_3genE5ELNS1_11target_archE942ELNS1_3gpuE9ELNS1_3repE0EEENS1_52radix_sort_onesweep_histogram_config_static_selectorELNS0_4arch9wavefront6targetE1EEEvSI_: ; @_ZN7rocprim17ROCPRIM_400000_NS6detail17trampoline_kernelINS0_14default_configENS1_35radix_sort_onesweep_config_selectorIyNS0_10empty_typeEEEZNS1_34radix_sort_onesweep_global_offsetsIS3_Lb0EN6thrust23THRUST_200600_302600_NS6detail15normal_iteratorINS9_10device_ptrIyEEEEPS5_jNS0_19identity_decomposerEEE10hipError_tT1_T2_PT3_SK_jT4_jjP12ihipStream_tbEUlT_E0_NS1_11comp_targetILNS1_3genE5ELNS1_11target_archE942ELNS1_3gpuE9ELNS1_3repE0EEENS1_52radix_sort_onesweep_histogram_config_static_selectorELNS0_4arch9wavefront6targetE1EEEvSI_
; %bb.0:
	s_load_dwordx2 s[0:1], s[0:1], 0x0
	s_lshl_b32 s2, s2, 8
	s_mov_b32 s3, 0
	s_lshl_b64 s[2:3], s[2:3], 2
	v_lshlrev_b32_e32 v1, 2, v0
	s_waitcnt lgkmcnt(0)
	s_add_u32 s2, s0, s2
	s_movk_i32 s0, 0x100
	s_addc_u32 s3, s1, s3
	v_cmp_gt_u32_e32 vcc, s0, v0
                                        ; implicit-def: $vgpr3
	s_and_saveexec_b64 s[0:1], vcc
	s_cbranch_execz .LBB848_2
; %bb.1:
	global_load_dword v3, v1, s[2:3]
.LBB848_2:
	s_or_b64 exec, exec, s[0:1]
	v_mbcnt_lo_u32_b32 v2, -1, 0
	v_mbcnt_hi_u32_b32 v2, -1, v2
	v_and_b32_e32 v4, 15, v2
	s_waitcnt vmcnt(0)
	v_mov_b32_dpp v5, v3 row_shr:1 row_mask:0xf bank_mask:0xf
	v_cmp_ne_u32_e64 s[0:1], 0, v4
	s_nop 1
	v_cndmask_b32_e64 v5, 0, v5, s[0:1]
	v_add_u32_e32 v3, v5, v3
	v_cmp_lt_u32_e64 s[0:1], 1, v4
	s_nop 0
	v_mov_b32_dpp v5, v3 row_shr:2 row_mask:0xf bank_mask:0xf
	v_cndmask_b32_e64 v5, 0, v5, s[0:1]
	v_add_u32_e32 v3, v3, v5
	v_cmp_lt_u32_e64 s[0:1], 3, v4
	s_nop 0
	v_mov_b32_dpp v5, v3 row_shr:4 row_mask:0xf bank_mask:0xf
	;; [unrolled: 5-line block ×3, first 2 shown]
	v_cndmask_b32_e64 v4, 0, v5, s[0:1]
	v_add_u32_e32 v3, v3, v4
	v_bfe_i32 v5, v2, 4, 1
	v_cmp_lt_u32_e64 s[0:1], 31, v2
	v_mov_b32_dpp v4, v3 row_bcast:15 row_mask:0xf bank_mask:0xf
	v_and_b32_e32 v4, v5, v4
	v_add_u32_e32 v3, v3, v4
	v_or_b32_e32 v5, 63, v0
	s_nop 0
	v_mov_b32_dpp v4, v3 row_bcast:31 row_mask:0xf bank_mask:0xf
	v_cndmask_b32_e64 v4, 0, v4, s[0:1]
	v_add_u32_e32 v3, v3, v4
	v_lshrrev_b32_e32 v4, 6, v0
	v_cmp_eq_u32_e64 s[0:1], v5, v0
	s_and_saveexec_b64 s[4:5], s[0:1]
	s_cbranch_execz .LBB848_4
; %bb.3:
	v_lshlrev_b32_e32 v5, 2, v4
	ds_write_b32 v5, v3
.LBB848_4:
	s_or_b64 exec, exec, s[4:5]
	v_cmp_gt_u32_e64 s[0:1], 8, v0
	s_waitcnt lgkmcnt(0)
	s_barrier
	s_and_saveexec_b64 s[4:5], s[0:1]
	s_cbranch_execz .LBB848_6
; %bb.5:
	ds_read_b32 v5, v1
	v_and_b32_e32 v6, 7, v2
	v_cmp_ne_u32_e64 s[0:1], 0, v6
	s_waitcnt lgkmcnt(0)
	v_mov_b32_dpp v7, v5 row_shr:1 row_mask:0xf bank_mask:0xf
	v_cndmask_b32_e64 v7, 0, v7, s[0:1]
	v_add_u32_e32 v5, v7, v5
	v_cmp_lt_u32_e64 s[0:1], 1, v6
	s_nop 0
	v_mov_b32_dpp v7, v5 row_shr:2 row_mask:0xf bank_mask:0xf
	v_cndmask_b32_e64 v7, 0, v7, s[0:1]
	v_add_u32_e32 v5, v5, v7
	v_cmp_lt_u32_e64 s[0:1], 3, v6
	s_nop 0
	v_mov_b32_dpp v7, v5 row_shr:4 row_mask:0xf bank_mask:0xf
	v_cndmask_b32_e64 v6, 0, v7, s[0:1]
	v_add_u32_e32 v5, v5, v6
	ds_write_b32 v1, v5
.LBB848_6:
	s_or_b64 exec, exec, s[4:5]
	v_cmp_lt_u32_e64 s[0:1], 63, v0
	v_mov_b32_e32 v0, 0
	s_waitcnt lgkmcnt(0)
	s_barrier
	s_and_saveexec_b64 s[4:5], s[0:1]
	s_cbranch_execz .LBB848_8
; %bb.7:
	v_lshl_add_u32 v0, v4, 2, -4
	ds_read_b32 v0, v0
.LBB848_8:
	s_or_b64 exec, exec, s[4:5]
	v_add_u32_e32 v4, -1, v2
	v_and_b32_e32 v5, 64, v2
	v_cmp_lt_i32_e64 s[0:1], v4, v5
	s_waitcnt lgkmcnt(0)
	v_add_u32_e32 v3, v0, v3
	v_cndmask_b32_e64 v4, v4, v2, s[0:1]
	v_lshlrev_b32_e32 v4, 2, v4
	ds_bpermute_b32 v3, v4, v3
	s_and_saveexec_b64 s[0:1], vcc
	s_cbranch_execz .LBB848_10
; %bb.9:
	v_cmp_eq_u32_e32 vcc, 0, v2
	s_waitcnt lgkmcnt(0)
	s_nop 0
	v_cndmask_b32_e32 v0, v3, v0, vcc
	global_store_dword v1, v0, s[2:3]
.LBB848_10:
	s_endpgm
	.section	.rodata,"a",@progbits
	.p2align	6, 0x0
	.amdhsa_kernel _ZN7rocprim17ROCPRIM_400000_NS6detail17trampoline_kernelINS0_14default_configENS1_35radix_sort_onesweep_config_selectorIyNS0_10empty_typeEEEZNS1_34radix_sort_onesweep_global_offsetsIS3_Lb0EN6thrust23THRUST_200600_302600_NS6detail15normal_iteratorINS9_10device_ptrIyEEEEPS5_jNS0_19identity_decomposerEEE10hipError_tT1_T2_PT3_SK_jT4_jjP12ihipStream_tbEUlT_E0_NS1_11comp_targetILNS1_3genE5ELNS1_11target_archE942ELNS1_3gpuE9ELNS1_3repE0EEENS1_52radix_sort_onesweep_histogram_config_static_selectorELNS0_4arch9wavefront6targetE1EEEvSI_
		.amdhsa_group_segment_fixed_size 32
		.amdhsa_private_segment_fixed_size 0
		.amdhsa_kernarg_size 8
		.amdhsa_user_sgpr_count 2
		.amdhsa_user_sgpr_dispatch_ptr 0
		.amdhsa_user_sgpr_queue_ptr 0
		.amdhsa_user_sgpr_kernarg_segment_ptr 1
		.amdhsa_user_sgpr_dispatch_id 0
		.amdhsa_user_sgpr_kernarg_preload_length 0
		.amdhsa_user_sgpr_kernarg_preload_offset 0
		.amdhsa_user_sgpr_private_segment_size 0
		.amdhsa_uses_dynamic_stack 0
		.amdhsa_enable_private_segment 0
		.amdhsa_system_sgpr_workgroup_id_x 1
		.amdhsa_system_sgpr_workgroup_id_y 0
		.amdhsa_system_sgpr_workgroup_id_z 0
		.amdhsa_system_sgpr_workgroup_info 0
		.amdhsa_system_vgpr_workitem_id 0
		.amdhsa_next_free_vgpr 8
		.amdhsa_next_free_sgpr 6
		.amdhsa_accum_offset 8
		.amdhsa_reserve_vcc 1
		.amdhsa_float_round_mode_32 0
		.amdhsa_float_round_mode_16_64 0
		.amdhsa_float_denorm_mode_32 3
		.amdhsa_float_denorm_mode_16_64 3
		.amdhsa_dx10_clamp 1
		.amdhsa_ieee_mode 1
		.amdhsa_fp16_overflow 0
		.amdhsa_tg_split 0
		.amdhsa_exception_fp_ieee_invalid_op 0
		.amdhsa_exception_fp_denorm_src 0
		.amdhsa_exception_fp_ieee_div_zero 0
		.amdhsa_exception_fp_ieee_overflow 0
		.amdhsa_exception_fp_ieee_underflow 0
		.amdhsa_exception_fp_ieee_inexact 0
		.amdhsa_exception_int_div_zero 0
	.end_amdhsa_kernel
	.section	.text._ZN7rocprim17ROCPRIM_400000_NS6detail17trampoline_kernelINS0_14default_configENS1_35radix_sort_onesweep_config_selectorIyNS0_10empty_typeEEEZNS1_34radix_sort_onesweep_global_offsetsIS3_Lb0EN6thrust23THRUST_200600_302600_NS6detail15normal_iteratorINS9_10device_ptrIyEEEEPS5_jNS0_19identity_decomposerEEE10hipError_tT1_T2_PT3_SK_jT4_jjP12ihipStream_tbEUlT_E0_NS1_11comp_targetILNS1_3genE5ELNS1_11target_archE942ELNS1_3gpuE9ELNS1_3repE0EEENS1_52radix_sort_onesweep_histogram_config_static_selectorELNS0_4arch9wavefront6targetE1EEEvSI_,"axG",@progbits,_ZN7rocprim17ROCPRIM_400000_NS6detail17trampoline_kernelINS0_14default_configENS1_35radix_sort_onesweep_config_selectorIyNS0_10empty_typeEEEZNS1_34radix_sort_onesweep_global_offsetsIS3_Lb0EN6thrust23THRUST_200600_302600_NS6detail15normal_iteratorINS9_10device_ptrIyEEEEPS5_jNS0_19identity_decomposerEEE10hipError_tT1_T2_PT3_SK_jT4_jjP12ihipStream_tbEUlT_E0_NS1_11comp_targetILNS1_3genE5ELNS1_11target_archE942ELNS1_3gpuE9ELNS1_3repE0EEENS1_52radix_sort_onesweep_histogram_config_static_selectorELNS0_4arch9wavefront6targetE1EEEvSI_,comdat
.Lfunc_end848:
	.size	_ZN7rocprim17ROCPRIM_400000_NS6detail17trampoline_kernelINS0_14default_configENS1_35radix_sort_onesweep_config_selectorIyNS0_10empty_typeEEEZNS1_34radix_sort_onesweep_global_offsetsIS3_Lb0EN6thrust23THRUST_200600_302600_NS6detail15normal_iteratorINS9_10device_ptrIyEEEEPS5_jNS0_19identity_decomposerEEE10hipError_tT1_T2_PT3_SK_jT4_jjP12ihipStream_tbEUlT_E0_NS1_11comp_targetILNS1_3genE5ELNS1_11target_archE942ELNS1_3gpuE9ELNS1_3repE0EEENS1_52radix_sort_onesweep_histogram_config_static_selectorELNS0_4arch9wavefront6targetE1EEEvSI_, .Lfunc_end848-_ZN7rocprim17ROCPRIM_400000_NS6detail17trampoline_kernelINS0_14default_configENS1_35radix_sort_onesweep_config_selectorIyNS0_10empty_typeEEEZNS1_34radix_sort_onesweep_global_offsetsIS3_Lb0EN6thrust23THRUST_200600_302600_NS6detail15normal_iteratorINS9_10device_ptrIyEEEEPS5_jNS0_19identity_decomposerEEE10hipError_tT1_T2_PT3_SK_jT4_jjP12ihipStream_tbEUlT_E0_NS1_11comp_targetILNS1_3genE5ELNS1_11target_archE942ELNS1_3gpuE9ELNS1_3repE0EEENS1_52radix_sort_onesweep_histogram_config_static_selectorELNS0_4arch9wavefront6targetE1EEEvSI_
                                        ; -- End function
	.section	.AMDGPU.csdata,"",@progbits
; Kernel info:
; codeLenInByte = 584
; NumSgprs: 12
; NumVgprs: 8
; NumAgprs: 0
; TotalNumVgprs: 8
; ScratchSize: 0
; MemoryBound: 0
; FloatMode: 240
; IeeeMode: 1
; LDSByteSize: 32 bytes/workgroup (compile time only)
; SGPRBlocks: 1
; VGPRBlocks: 0
; NumSGPRsForWavesPerEU: 12
; NumVGPRsForWavesPerEU: 8
; AccumOffset: 8
; Occupancy: 8
; WaveLimiterHint : 0
; COMPUTE_PGM_RSRC2:SCRATCH_EN: 0
; COMPUTE_PGM_RSRC2:USER_SGPR: 2
; COMPUTE_PGM_RSRC2:TRAP_HANDLER: 0
; COMPUTE_PGM_RSRC2:TGID_X_EN: 1
; COMPUTE_PGM_RSRC2:TGID_Y_EN: 0
; COMPUTE_PGM_RSRC2:TGID_Z_EN: 0
; COMPUTE_PGM_RSRC2:TIDIG_COMP_CNT: 0
; COMPUTE_PGM_RSRC3_GFX90A:ACCUM_OFFSET: 1
; COMPUTE_PGM_RSRC3_GFX90A:TG_SPLIT: 0
	.section	.text._ZN7rocprim17ROCPRIM_400000_NS6detail17trampoline_kernelINS0_14default_configENS1_35radix_sort_onesweep_config_selectorIyNS0_10empty_typeEEEZNS1_34radix_sort_onesweep_global_offsetsIS3_Lb0EN6thrust23THRUST_200600_302600_NS6detail15normal_iteratorINS9_10device_ptrIyEEEEPS5_jNS0_19identity_decomposerEEE10hipError_tT1_T2_PT3_SK_jT4_jjP12ihipStream_tbEUlT_E0_NS1_11comp_targetILNS1_3genE2ELNS1_11target_archE906ELNS1_3gpuE6ELNS1_3repE0EEENS1_52radix_sort_onesweep_histogram_config_static_selectorELNS0_4arch9wavefront6targetE1EEEvSI_,"axG",@progbits,_ZN7rocprim17ROCPRIM_400000_NS6detail17trampoline_kernelINS0_14default_configENS1_35radix_sort_onesweep_config_selectorIyNS0_10empty_typeEEEZNS1_34radix_sort_onesweep_global_offsetsIS3_Lb0EN6thrust23THRUST_200600_302600_NS6detail15normal_iteratorINS9_10device_ptrIyEEEEPS5_jNS0_19identity_decomposerEEE10hipError_tT1_T2_PT3_SK_jT4_jjP12ihipStream_tbEUlT_E0_NS1_11comp_targetILNS1_3genE2ELNS1_11target_archE906ELNS1_3gpuE6ELNS1_3repE0EEENS1_52radix_sort_onesweep_histogram_config_static_selectorELNS0_4arch9wavefront6targetE1EEEvSI_,comdat
	.protected	_ZN7rocprim17ROCPRIM_400000_NS6detail17trampoline_kernelINS0_14default_configENS1_35radix_sort_onesweep_config_selectorIyNS0_10empty_typeEEEZNS1_34radix_sort_onesweep_global_offsetsIS3_Lb0EN6thrust23THRUST_200600_302600_NS6detail15normal_iteratorINS9_10device_ptrIyEEEEPS5_jNS0_19identity_decomposerEEE10hipError_tT1_T2_PT3_SK_jT4_jjP12ihipStream_tbEUlT_E0_NS1_11comp_targetILNS1_3genE2ELNS1_11target_archE906ELNS1_3gpuE6ELNS1_3repE0EEENS1_52radix_sort_onesweep_histogram_config_static_selectorELNS0_4arch9wavefront6targetE1EEEvSI_ ; -- Begin function _ZN7rocprim17ROCPRIM_400000_NS6detail17trampoline_kernelINS0_14default_configENS1_35radix_sort_onesweep_config_selectorIyNS0_10empty_typeEEEZNS1_34radix_sort_onesweep_global_offsetsIS3_Lb0EN6thrust23THRUST_200600_302600_NS6detail15normal_iteratorINS9_10device_ptrIyEEEEPS5_jNS0_19identity_decomposerEEE10hipError_tT1_T2_PT3_SK_jT4_jjP12ihipStream_tbEUlT_E0_NS1_11comp_targetILNS1_3genE2ELNS1_11target_archE906ELNS1_3gpuE6ELNS1_3repE0EEENS1_52radix_sort_onesweep_histogram_config_static_selectorELNS0_4arch9wavefront6targetE1EEEvSI_
	.globl	_ZN7rocprim17ROCPRIM_400000_NS6detail17trampoline_kernelINS0_14default_configENS1_35radix_sort_onesweep_config_selectorIyNS0_10empty_typeEEEZNS1_34radix_sort_onesweep_global_offsetsIS3_Lb0EN6thrust23THRUST_200600_302600_NS6detail15normal_iteratorINS9_10device_ptrIyEEEEPS5_jNS0_19identity_decomposerEEE10hipError_tT1_T2_PT3_SK_jT4_jjP12ihipStream_tbEUlT_E0_NS1_11comp_targetILNS1_3genE2ELNS1_11target_archE906ELNS1_3gpuE6ELNS1_3repE0EEENS1_52radix_sort_onesweep_histogram_config_static_selectorELNS0_4arch9wavefront6targetE1EEEvSI_
	.p2align	8
	.type	_ZN7rocprim17ROCPRIM_400000_NS6detail17trampoline_kernelINS0_14default_configENS1_35radix_sort_onesweep_config_selectorIyNS0_10empty_typeEEEZNS1_34radix_sort_onesweep_global_offsetsIS3_Lb0EN6thrust23THRUST_200600_302600_NS6detail15normal_iteratorINS9_10device_ptrIyEEEEPS5_jNS0_19identity_decomposerEEE10hipError_tT1_T2_PT3_SK_jT4_jjP12ihipStream_tbEUlT_E0_NS1_11comp_targetILNS1_3genE2ELNS1_11target_archE906ELNS1_3gpuE6ELNS1_3repE0EEENS1_52radix_sort_onesweep_histogram_config_static_selectorELNS0_4arch9wavefront6targetE1EEEvSI_,@function
_ZN7rocprim17ROCPRIM_400000_NS6detail17trampoline_kernelINS0_14default_configENS1_35radix_sort_onesweep_config_selectorIyNS0_10empty_typeEEEZNS1_34radix_sort_onesweep_global_offsetsIS3_Lb0EN6thrust23THRUST_200600_302600_NS6detail15normal_iteratorINS9_10device_ptrIyEEEEPS5_jNS0_19identity_decomposerEEE10hipError_tT1_T2_PT3_SK_jT4_jjP12ihipStream_tbEUlT_E0_NS1_11comp_targetILNS1_3genE2ELNS1_11target_archE906ELNS1_3gpuE6ELNS1_3repE0EEENS1_52radix_sort_onesweep_histogram_config_static_selectorELNS0_4arch9wavefront6targetE1EEEvSI_: ; @_ZN7rocprim17ROCPRIM_400000_NS6detail17trampoline_kernelINS0_14default_configENS1_35radix_sort_onesweep_config_selectorIyNS0_10empty_typeEEEZNS1_34radix_sort_onesweep_global_offsetsIS3_Lb0EN6thrust23THRUST_200600_302600_NS6detail15normal_iteratorINS9_10device_ptrIyEEEEPS5_jNS0_19identity_decomposerEEE10hipError_tT1_T2_PT3_SK_jT4_jjP12ihipStream_tbEUlT_E0_NS1_11comp_targetILNS1_3genE2ELNS1_11target_archE906ELNS1_3gpuE6ELNS1_3repE0EEENS1_52radix_sort_onesweep_histogram_config_static_selectorELNS0_4arch9wavefront6targetE1EEEvSI_
; %bb.0:
	.section	.rodata,"a",@progbits
	.p2align	6, 0x0
	.amdhsa_kernel _ZN7rocprim17ROCPRIM_400000_NS6detail17trampoline_kernelINS0_14default_configENS1_35radix_sort_onesweep_config_selectorIyNS0_10empty_typeEEEZNS1_34radix_sort_onesweep_global_offsetsIS3_Lb0EN6thrust23THRUST_200600_302600_NS6detail15normal_iteratorINS9_10device_ptrIyEEEEPS5_jNS0_19identity_decomposerEEE10hipError_tT1_T2_PT3_SK_jT4_jjP12ihipStream_tbEUlT_E0_NS1_11comp_targetILNS1_3genE2ELNS1_11target_archE906ELNS1_3gpuE6ELNS1_3repE0EEENS1_52radix_sort_onesweep_histogram_config_static_selectorELNS0_4arch9wavefront6targetE1EEEvSI_
		.amdhsa_group_segment_fixed_size 0
		.amdhsa_private_segment_fixed_size 0
		.amdhsa_kernarg_size 8
		.amdhsa_user_sgpr_count 2
		.amdhsa_user_sgpr_dispatch_ptr 0
		.amdhsa_user_sgpr_queue_ptr 0
		.amdhsa_user_sgpr_kernarg_segment_ptr 1
		.amdhsa_user_sgpr_dispatch_id 0
		.amdhsa_user_sgpr_kernarg_preload_length 0
		.amdhsa_user_sgpr_kernarg_preload_offset 0
		.amdhsa_user_sgpr_private_segment_size 0
		.amdhsa_uses_dynamic_stack 0
		.amdhsa_enable_private_segment 0
		.amdhsa_system_sgpr_workgroup_id_x 1
		.amdhsa_system_sgpr_workgroup_id_y 0
		.amdhsa_system_sgpr_workgroup_id_z 0
		.amdhsa_system_sgpr_workgroup_info 0
		.amdhsa_system_vgpr_workitem_id 0
		.amdhsa_next_free_vgpr 1
		.amdhsa_next_free_sgpr 0
		.amdhsa_accum_offset 4
		.amdhsa_reserve_vcc 0
		.amdhsa_float_round_mode_32 0
		.amdhsa_float_round_mode_16_64 0
		.amdhsa_float_denorm_mode_32 3
		.amdhsa_float_denorm_mode_16_64 3
		.amdhsa_dx10_clamp 1
		.amdhsa_ieee_mode 1
		.amdhsa_fp16_overflow 0
		.amdhsa_tg_split 0
		.amdhsa_exception_fp_ieee_invalid_op 0
		.amdhsa_exception_fp_denorm_src 0
		.amdhsa_exception_fp_ieee_div_zero 0
		.amdhsa_exception_fp_ieee_overflow 0
		.amdhsa_exception_fp_ieee_underflow 0
		.amdhsa_exception_fp_ieee_inexact 0
		.amdhsa_exception_int_div_zero 0
	.end_amdhsa_kernel
	.section	.text._ZN7rocprim17ROCPRIM_400000_NS6detail17trampoline_kernelINS0_14default_configENS1_35radix_sort_onesweep_config_selectorIyNS0_10empty_typeEEEZNS1_34radix_sort_onesweep_global_offsetsIS3_Lb0EN6thrust23THRUST_200600_302600_NS6detail15normal_iteratorINS9_10device_ptrIyEEEEPS5_jNS0_19identity_decomposerEEE10hipError_tT1_T2_PT3_SK_jT4_jjP12ihipStream_tbEUlT_E0_NS1_11comp_targetILNS1_3genE2ELNS1_11target_archE906ELNS1_3gpuE6ELNS1_3repE0EEENS1_52radix_sort_onesweep_histogram_config_static_selectorELNS0_4arch9wavefront6targetE1EEEvSI_,"axG",@progbits,_ZN7rocprim17ROCPRIM_400000_NS6detail17trampoline_kernelINS0_14default_configENS1_35radix_sort_onesweep_config_selectorIyNS0_10empty_typeEEEZNS1_34radix_sort_onesweep_global_offsetsIS3_Lb0EN6thrust23THRUST_200600_302600_NS6detail15normal_iteratorINS9_10device_ptrIyEEEEPS5_jNS0_19identity_decomposerEEE10hipError_tT1_T2_PT3_SK_jT4_jjP12ihipStream_tbEUlT_E0_NS1_11comp_targetILNS1_3genE2ELNS1_11target_archE906ELNS1_3gpuE6ELNS1_3repE0EEENS1_52radix_sort_onesweep_histogram_config_static_selectorELNS0_4arch9wavefront6targetE1EEEvSI_,comdat
.Lfunc_end849:
	.size	_ZN7rocprim17ROCPRIM_400000_NS6detail17trampoline_kernelINS0_14default_configENS1_35radix_sort_onesweep_config_selectorIyNS0_10empty_typeEEEZNS1_34radix_sort_onesweep_global_offsetsIS3_Lb0EN6thrust23THRUST_200600_302600_NS6detail15normal_iteratorINS9_10device_ptrIyEEEEPS5_jNS0_19identity_decomposerEEE10hipError_tT1_T2_PT3_SK_jT4_jjP12ihipStream_tbEUlT_E0_NS1_11comp_targetILNS1_3genE2ELNS1_11target_archE906ELNS1_3gpuE6ELNS1_3repE0EEENS1_52radix_sort_onesweep_histogram_config_static_selectorELNS0_4arch9wavefront6targetE1EEEvSI_, .Lfunc_end849-_ZN7rocprim17ROCPRIM_400000_NS6detail17trampoline_kernelINS0_14default_configENS1_35radix_sort_onesweep_config_selectorIyNS0_10empty_typeEEEZNS1_34radix_sort_onesweep_global_offsetsIS3_Lb0EN6thrust23THRUST_200600_302600_NS6detail15normal_iteratorINS9_10device_ptrIyEEEEPS5_jNS0_19identity_decomposerEEE10hipError_tT1_T2_PT3_SK_jT4_jjP12ihipStream_tbEUlT_E0_NS1_11comp_targetILNS1_3genE2ELNS1_11target_archE906ELNS1_3gpuE6ELNS1_3repE0EEENS1_52radix_sort_onesweep_histogram_config_static_selectorELNS0_4arch9wavefront6targetE1EEEvSI_
                                        ; -- End function
	.section	.AMDGPU.csdata,"",@progbits
; Kernel info:
; codeLenInByte = 0
; NumSgprs: 6
; NumVgprs: 0
; NumAgprs: 0
; TotalNumVgprs: 0
; ScratchSize: 0
; MemoryBound: 0
; FloatMode: 240
; IeeeMode: 1
; LDSByteSize: 0 bytes/workgroup (compile time only)
; SGPRBlocks: 0
; VGPRBlocks: 0
; NumSGPRsForWavesPerEU: 6
; NumVGPRsForWavesPerEU: 1
; AccumOffset: 4
; Occupancy: 8
; WaveLimiterHint : 0
; COMPUTE_PGM_RSRC2:SCRATCH_EN: 0
; COMPUTE_PGM_RSRC2:USER_SGPR: 2
; COMPUTE_PGM_RSRC2:TRAP_HANDLER: 0
; COMPUTE_PGM_RSRC2:TGID_X_EN: 1
; COMPUTE_PGM_RSRC2:TGID_Y_EN: 0
; COMPUTE_PGM_RSRC2:TGID_Z_EN: 0
; COMPUTE_PGM_RSRC2:TIDIG_COMP_CNT: 0
; COMPUTE_PGM_RSRC3_GFX90A:ACCUM_OFFSET: 0
; COMPUTE_PGM_RSRC3_GFX90A:TG_SPLIT: 0
	.section	.text._ZN7rocprim17ROCPRIM_400000_NS6detail17trampoline_kernelINS0_14default_configENS1_35radix_sort_onesweep_config_selectorIyNS0_10empty_typeEEEZNS1_34radix_sort_onesweep_global_offsetsIS3_Lb0EN6thrust23THRUST_200600_302600_NS6detail15normal_iteratorINS9_10device_ptrIyEEEEPS5_jNS0_19identity_decomposerEEE10hipError_tT1_T2_PT3_SK_jT4_jjP12ihipStream_tbEUlT_E0_NS1_11comp_targetILNS1_3genE4ELNS1_11target_archE910ELNS1_3gpuE8ELNS1_3repE0EEENS1_52radix_sort_onesweep_histogram_config_static_selectorELNS0_4arch9wavefront6targetE1EEEvSI_,"axG",@progbits,_ZN7rocprim17ROCPRIM_400000_NS6detail17trampoline_kernelINS0_14default_configENS1_35radix_sort_onesweep_config_selectorIyNS0_10empty_typeEEEZNS1_34radix_sort_onesweep_global_offsetsIS3_Lb0EN6thrust23THRUST_200600_302600_NS6detail15normal_iteratorINS9_10device_ptrIyEEEEPS5_jNS0_19identity_decomposerEEE10hipError_tT1_T2_PT3_SK_jT4_jjP12ihipStream_tbEUlT_E0_NS1_11comp_targetILNS1_3genE4ELNS1_11target_archE910ELNS1_3gpuE8ELNS1_3repE0EEENS1_52radix_sort_onesweep_histogram_config_static_selectorELNS0_4arch9wavefront6targetE1EEEvSI_,comdat
	.protected	_ZN7rocprim17ROCPRIM_400000_NS6detail17trampoline_kernelINS0_14default_configENS1_35radix_sort_onesweep_config_selectorIyNS0_10empty_typeEEEZNS1_34radix_sort_onesweep_global_offsetsIS3_Lb0EN6thrust23THRUST_200600_302600_NS6detail15normal_iteratorINS9_10device_ptrIyEEEEPS5_jNS0_19identity_decomposerEEE10hipError_tT1_T2_PT3_SK_jT4_jjP12ihipStream_tbEUlT_E0_NS1_11comp_targetILNS1_3genE4ELNS1_11target_archE910ELNS1_3gpuE8ELNS1_3repE0EEENS1_52radix_sort_onesweep_histogram_config_static_selectorELNS0_4arch9wavefront6targetE1EEEvSI_ ; -- Begin function _ZN7rocprim17ROCPRIM_400000_NS6detail17trampoline_kernelINS0_14default_configENS1_35radix_sort_onesweep_config_selectorIyNS0_10empty_typeEEEZNS1_34radix_sort_onesweep_global_offsetsIS3_Lb0EN6thrust23THRUST_200600_302600_NS6detail15normal_iteratorINS9_10device_ptrIyEEEEPS5_jNS0_19identity_decomposerEEE10hipError_tT1_T2_PT3_SK_jT4_jjP12ihipStream_tbEUlT_E0_NS1_11comp_targetILNS1_3genE4ELNS1_11target_archE910ELNS1_3gpuE8ELNS1_3repE0EEENS1_52radix_sort_onesweep_histogram_config_static_selectorELNS0_4arch9wavefront6targetE1EEEvSI_
	.globl	_ZN7rocprim17ROCPRIM_400000_NS6detail17trampoline_kernelINS0_14default_configENS1_35radix_sort_onesweep_config_selectorIyNS0_10empty_typeEEEZNS1_34radix_sort_onesweep_global_offsetsIS3_Lb0EN6thrust23THRUST_200600_302600_NS6detail15normal_iteratorINS9_10device_ptrIyEEEEPS5_jNS0_19identity_decomposerEEE10hipError_tT1_T2_PT3_SK_jT4_jjP12ihipStream_tbEUlT_E0_NS1_11comp_targetILNS1_3genE4ELNS1_11target_archE910ELNS1_3gpuE8ELNS1_3repE0EEENS1_52radix_sort_onesweep_histogram_config_static_selectorELNS0_4arch9wavefront6targetE1EEEvSI_
	.p2align	8
	.type	_ZN7rocprim17ROCPRIM_400000_NS6detail17trampoline_kernelINS0_14default_configENS1_35radix_sort_onesweep_config_selectorIyNS0_10empty_typeEEEZNS1_34radix_sort_onesweep_global_offsetsIS3_Lb0EN6thrust23THRUST_200600_302600_NS6detail15normal_iteratorINS9_10device_ptrIyEEEEPS5_jNS0_19identity_decomposerEEE10hipError_tT1_T2_PT3_SK_jT4_jjP12ihipStream_tbEUlT_E0_NS1_11comp_targetILNS1_3genE4ELNS1_11target_archE910ELNS1_3gpuE8ELNS1_3repE0EEENS1_52radix_sort_onesweep_histogram_config_static_selectorELNS0_4arch9wavefront6targetE1EEEvSI_,@function
_ZN7rocprim17ROCPRIM_400000_NS6detail17trampoline_kernelINS0_14default_configENS1_35radix_sort_onesweep_config_selectorIyNS0_10empty_typeEEEZNS1_34radix_sort_onesweep_global_offsetsIS3_Lb0EN6thrust23THRUST_200600_302600_NS6detail15normal_iteratorINS9_10device_ptrIyEEEEPS5_jNS0_19identity_decomposerEEE10hipError_tT1_T2_PT3_SK_jT4_jjP12ihipStream_tbEUlT_E0_NS1_11comp_targetILNS1_3genE4ELNS1_11target_archE910ELNS1_3gpuE8ELNS1_3repE0EEENS1_52radix_sort_onesweep_histogram_config_static_selectorELNS0_4arch9wavefront6targetE1EEEvSI_: ; @_ZN7rocprim17ROCPRIM_400000_NS6detail17trampoline_kernelINS0_14default_configENS1_35radix_sort_onesweep_config_selectorIyNS0_10empty_typeEEEZNS1_34radix_sort_onesweep_global_offsetsIS3_Lb0EN6thrust23THRUST_200600_302600_NS6detail15normal_iteratorINS9_10device_ptrIyEEEEPS5_jNS0_19identity_decomposerEEE10hipError_tT1_T2_PT3_SK_jT4_jjP12ihipStream_tbEUlT_E0_NS1_11comp_targetILNS1_3genE4ELNS1_11target_archE910ELNS1_3gpuE8ELNS1_3repE0EEENS1_52radix_sort_onesweep_histogram_config_static_selectorELNS0_4arch9wavefront6targetE1EEEvSI_
; %bb.0:
	.section	.rodata,"a",@progbits
	.p2align	6, 0x0
	.amdhsa_kernel _ZN7rocprim17ROCPRIM_400000_NS6detail17trampoline_kernelINS0_14default_configENS1_35radix_sort_onesweep_config_selectorIyNS0_10empty_typeEEEZNS1_34radix_sort_onesweep_global_offsetsIS3_Lb0EN6thrust23THRUST_200600_302600_NS6detail15normal_iteratorINS9_10device_ptrIyEEEEPS5_jNS0_19identity_decomposerEEE10hipError_tT1_T2_PT3_SK_jT4_jjP12ihipStream_tbEUlT_E0_NS1_11comp_targetILNS1_3genE4ELNS1_11target_archE910ELNS1_3gpuE8ELNS1_3repE0EEENS1_52radix_sort_onesweep_histogram_config_static_selectorELNS0_4arch9wavefront6targetE1EEEvSI_
		.amdhsa_group_segment_fixed_size 0
		.amdhsa_private_segment_fixed_size 0
		.amdhsa_kernarg_size 8
		.amdhsa_user_sgpr_count 2
		.amdhsa_user_sgpr_dispatch_ptr 0
		.amdhsa_user_sgpr_queue_ptr 0
		.amdhsa_user_sgpr_kernarg_segment_ptr 1
		.amdhsa_user_sgpr_dispatch_id 0
		.amdhsa_user_sgpr_kernarg_preload_length 0
		.amdhsa_user_sgpr_kernarg_preload_offset 0
		.amdhsa_user_sgpr_private_segment_size 0
		.amdhsa_uses_dynamic_stack 0
		.amdhsa_enable_private_segment 0
		.amdhsa_system_sgpr_workgroup_id_x 1
		.amdhsa_system_sgpr_workgroup_id_y 0
		.amdhsa_system_sgpr_workgroup_id_z 0
		.amdhsa_system_sgpr_workgroup_info 0
		.amdhsa_system_vgpr_workitem_id 0
		.amdhsa_next_free_vgpr 1
		.amdhsa_next_free_sgpr 0
		.amdhsa_accum_offset 4
		.amdhsa_reserve_vcc 0
		.amdhsa_float_round_mode_32 0
		.amdhsa_float_round_mode_16_64 0
		.amdhsa_float_denorm_mode_32 3
		.amdhsa_float_denorm_mode_16_64 3
		.amdhsa_dx10_clamp 1
		.amdhsa_ieee_mode 1
		.amdhsa_fp16_overflow 0
		.amdhsa_tg_split 0
		.amdhsa_exception_fp_ieee_invalid_op 0
		.amdhsa_exception_fp_denorm_src 0
		.amdhsa_exception_fp_ieee_div_zero 0
		.amdhsa_exception_fp_ieee_overflow 0
		.amdhsa_exception_fp_ieee_underflow 0
		.amdhsa_exception_fp_ieee_inexact 0
		.amdhsa_exception_int_div_zero 0
	.end_amdhsa_kernel
	.section	.text._ZN7rocprim17ROCPRIM_400000_NS6detail17trampoline_kernelINS0_14default_configENS1_35radix_sort_onesweep_config_selectorIyNS0_10empty_typeEEEZNS1_34radix_sort_onesweep_global_offsetsIS3_Lb0EN6thrust23THRUST_200600_302600_NS6detail15normal_iteratorINS9_10device_ptrIyEEEEPS5_jNS0_19identity_decomposerEEE10hipError_tT1_T2_PT3_SK_jT4_jjP12ihipStream_tbEUlT_E0_NS1_11comp_targetILNS1_3genE4ELNS1_11target_archE910ELNS1_3gpuE8ELNS1_3repE0EEENS1_52radix_sort_onesweep_histogram_config_static_selectorELNS0_4arch9wavefront6targetE1EEEvSI_,"axG",@progbits,_ZN7rocprim17ROCPRIM_400000_NS6detail17trampoline_kernelINS0_14default_configENS1_35radix_sort_onesweep_config_selectorIyNS0_10empty_typeEEEZNS1_34radix_sort_onesweep_global_offsetsIS3_Lb0EN6thrust23THRUST_200600_302600_NS6detail15normal_iteratorINS9_10device_ptrIyEEEEPS5_jNS0_19identity_decomposerEEE10hipError_tT1_T2_PT3_SK_jT4_jjP12ihipStream_tbEUlT_E0_NS1_11comp_targetILNS1_3genE4ELNS1_11target_archE910ELNS1_3gpuE8ELNS1_3repE0EEENS1_52radix_sort_onesweep_histogram_config_static_selectorELNS0_4arch9wavefront6targetE1EEEvSI_,comdat
.Lfunc_end850:
	.size	_ZN7rocprim17ROCPRIM_400000_NS6detail17trampoline_kernelINS0_14default_configENS1_35radix_sort_onesweep_config_selectorIyNS0_10empty_typeEEEZNS1_34radix_sort_onesweep_global_offsetsIS3_Lb0EN6thrust23THRUST_200600_302600_NS6detail15normal_iteratorINS9_10device_ptrIyEEEEPS5_jNS0_19identity_decomposerEEE10hipError_tT1_T2_PT3_SK_jT4_jjP12ihipStream_tbEUlT_E0_NS1_11comp_targetILNS1_3genE4ELNS1_11target_archE910ELNS1_3gpuE8ELNS1_3repE0EEENS1_52radix_sort_onesweep_histogram_config_static_selectorELNS0_4arch9wavefront6targetE1EEEvSI_, .Lfunc_end850-_ZN7rocprim17ROCPRIM_400000_NS6detail17trampoline_kernelINS0_14default_configENS1_35radix_sort_onesweep_config_selectorIyNS0_10empty_typeEEEZNS1_34radix_sort_onesweep_global_offsetsIS3_Lb0EN6thrust23THRUST_200600_302600_NS6detail15normal_iteratorINS9_10device_ptrIyEEEEPS5_jNS0_19identity_decomposerEEE10hipError_tT1_T2_PT3_SK_jT4_jjP12ihipStream_tbEUlT_E0_NS1_11comp_targetILNS1_3genE4ELNS1_11target_archE910ELNS1_3gpuE8ELNS1_3repE0EEENS1_52radix_sort_onesweep_histogram_config_static_selectorELNS0_4arch9wavefront6targetE1EEEvSI_
                                        ; -- End function
	.section	.AMDGPU.csdata,"",@progbits
; Kernel info:
; codeLenInByte = 0
; NumSgprs: 6
; NumVgprs: 0
; NumAgprs: 0
; TotalNumVgprs: 0
; ScratchSize: 0
; MemoryBound: 0
; FloatMode: 240
; IeeeMode: 1
; LDSByteSize: 0 bytes/workgroup (compile time only)
; SGPRBlocks: 0
; VGPRBlocks: 0
; NumSGPRsForWavesPerEU: 6
; NumVGPRsForWavesPerEU: 1
; AccumOffset: 4
; Occupancy: 8
; WaveLimiterHint : 0
; COMPUTE_PGM_RSRC2:SCRATCH_EN: 0
; COMPUTE_PGM_RSRC2:USER_SGPR: 2
; COMPUTE_PGM_RSRC2:TRAP_HANDLER: 0
; COMPUTE_PGM_RSRC2:TGID_X_EN: 1
; COMPUTE_PGM_RSRC2:TGID_Y_EN: 0
; COMPUTE_PGM_RSRC2:TGID_Z_EN: 0
; COMPUTE_PGM_RSRC2:TIDIG_COMP_CNT: 0
; COMPUTE_PGM_RSRC3_GFX90A:ACCUM_OFFSET: 0
; COMPUTE_PGM_RSRC3_GFX90A:TG_SPLIT: 0
	.section	.text._ZN7rocprim17ROCPRIM_400000_NS6detail17trampoline_kernelINS0_14default_configENS1_35radix_sort_onesweep_config_selectorIyNS0_10empty_typeEEEZNS1_34radix_sort_onesweep_global_offsetsIS3_Lb0EN6thrust23THRUST_200600_302600_NS6detail15normal_iteratorINS9_10device_ptrIyEEEEPS5_jNS0_19identity_decomposerEEE10hipError_tT1_T2_PT3_SK_jT4_jjP12ihipStream_tbEUlT_E0_NS1_11comp_targetILNS1_3genE3ELNS1_11target_archE908ELNS1_3gpuE7ELNS1_3repE0EEENS1_52radix_sort_onesweep_histogram_config_static_selectorELNS0_4arch9wavefront6targetE1EEEvSI_,"axG",@progbits,_ZN7rocprim17ROCPRIM_400000_NS6detail17trampoline_kernelINS0_14default_configENS1_35radix_sort_onesweep_config_selectorIyNS0_10empty_typeEEEZNS1_34radix_sort_onesweep_global_offsetsIS3_Lb0EN6thrust23THRUST_200600_302600_NS6detail15normal_iteratorINS9_10device_ptrIyEEEEPS5_jNS0_19identity_decomposerEEE10hipError_tT1_T2_PT3_SK_jT4_jjP12ihipStream_tbEUlT_E0_NS1_11comp_targetILNS1_3genE3ELNS1_11target_archE908ELNS1_3gpuE7ELNS1_3repE0EEENS1_52radix_sort_onesweep_histogram_config_static_selectorELNS0_4arch9wavefront6targetE1EEEvSI_,comdat
	.protected	_ZN7rocprim17ROCPRIM_400000_NS6detail17trampoline_kernelINS0_14default_configENS1_35radix_sort_onesweep_config_selectorIyNS0_10empty_typeEEEZNS1_34radix_sort_onesweep_global_offsetsIS3_Lb0EN6thrust23THRUST_200600_302600_NS6detail15normal_iteratorINS9_10device_ptrIyEEEEPS5_jNS0_19identity_decomposerEEE10hipError_tT1_T2_PT3_SK_jT4_jjP12ihipStream_tbEUlT_E0_NS1_11comp_targetILNS1_3genE3ELNS1_11target_archE908ELNS1_3gpuE7ELNS1_3repE0EEENS1_52radix_sort_onesweep_histogram_config_static_selectorELNS0_4arch9wavefront6targetE1EEEvSI_ ; -- Begin function _ZN7rocprim17ROCPRIM_400000_NS6detail17trampoline_kernelINS0_14default_configENS1_35radix_sort_onesweep_config_selectorIyNS0_10empty_typeEEEZNS1_34radix_sort_onesweep_global_offsetsIS3_Lb0EN6thrust23THRUST_200600_302600_NS6detail15normal_iteratorINS9_10device_ptrIyEEEEPS5_jNS0_19identity_decomposerEEE10hipError_tT1_T2_PT3_SK_jT4_jjP12ihipStream_tbEUlT_E0_NS1_11comp_targetILNS1_3genE3ELNS1_11target_archE908ELNS1_3gpuE7ELNS1_3repE0EEENS1_52radix_sort_onesweep_histogram_config_static_selectorELNS0_4arch9wavefront6targetE1EEEvSI_
	.globl	_ZN7rocprim17ROCPRIM_400000_NS6detail17trampoline_kernelINS0_14default_configENS1_35radix_sort_onesweep_config_selectorIyNS0_10empty_typeEEEZNS1_34radix_sort_onesweep_global_offsetsIS3_Lb0EN6thrust23THRUST_200600_302600_NS6detail15normal_iteratorINS9_10device_ptrIyEEEEPS5_jNS0_19identity_decomposerEEE10hipError_tT1_T2_PT3_SK_jT4_jjP12ihipStream_tbEUlT_E0_NS1_11comp_targetILNS1_3genE3ELNS1_11target_archE908ELNS1_3gpuE7ELNS1_3repE0EEENS1_52radix_sort_onesweep_histogram_config_static_selectorELNS0_4arch9wavefront6targetE1EEEvSI_
	.p2align	8
	.type	_ZN7rocprim17ROCPRIM_400000_NS6detail17trampoline_kernelINS0_14default_configENS1_35radix_sort_onesweep_config_selectorIyNS0_10empty_typeEEEZNS1_34radix_sort_onesweep_global_offsetsIS3_Lb0EN6thrust23THRUST_200600_302600_NS6detail15normal_iteratorINS9_10device_ptrIyEEEEPS5_jNS0_19identity_decomposerEEE10hipError_tT1_T2_PT3_SK_jT4_jjP12ihipStream_tbEUlT_E0_NS1_11comp_targetILNS1_3genE3ELNS1_11target_archE908ELNS1_3gpuE7ELNS1_3repE0EEENS1_52radix_sort_onesweep_histogram_config_static_selectorELNS0_4arch9wavefront6targetE1EEEvSI_,@function
_ZN7rocprim17ROCPRIM_400000_NS6detail17trampoline_kernelINS0_14default_configENS1_35radix_sort_onesweep_config_selectorIyNS0_10empty_typeEEEZNS1_34radix_sort_onesweep_global_offsetsIS3_Lb0EN6thrust23THRUST_200600_302600_NS6detail15normal_iteratorINS9_10device_ptrIyEEEEPS5_jNS0_19identity_decomposerEEE10hipError_tT1_T2_PT3_SK_jT4_jjP12ihipStream_tbEUlT_E0_NS1_11comp_targetILNS1_3genE3ELNS1_11target_archE908ELNS1_3gpuE7ELNS1_3repE0EEENS1_52radix_sort_onesweep_histogram_config_static_selectorELNS0_4arch9wavefront6targetE1EEEvSI_: ; @_ZN7rocprim17ROCPRIM_400000_NS6detail17trampoline_kernelINS0_14default_configENS1_35radix_sort_onesweep_config_selectorIyNS0_10empty_typeEEEZNS1_34radix_sort_onesweep_global_offsetsIS3_Lb0EN6thrust23THRUST_200600_302600_NS6detail15normal_iteratorINS9_10device_ptrIyEEEEPS5_jNS0_19identity_decomposerEEE10hipError_tT1_T2_PT3_SK_jT4_jjP12ihipStream_tbEUlT_E0_NS1_11comp_targetILNS1_3genE3ELNS1_11target_archE908ELNS1_3gpuE7ELNS1_3repE0EEENS1_52radix_sort_onesweep_histogram_config_static_selectorELNS0_4arch9wavefront6targetE1EEEvSI_
; %bb.0:
	.section	.rodata,"a",@progbits
	.p2align	6, 0x0
	.amdhsa_kernel _ZN7rocprim17ROCPRIM_400000_NS6detail17trampoline_kernelINS0_14default_configENS1_35radix_sort_onesweep_config_selectorIyNS0_10empty_typeEEEZNS1_34radix_sort_onesweep_global_offsetsIS3_Lb0EN6thrust23THRUST_200600_302600_NS6detail15normal_iteratorINS9_10device_ptrIyEEEEPS5_jNS0_19identity_decomposerEEE10hipError_tT1_T2_PT3_SK_jT4_jjP12ihipStream_tbEUlT_E0_NS1_11comp_targetILNS1_3genE3ELNS1_11target_archE908ELNS1_3gpuE7ELNS1_3repE0EEENS1_52radix_sort_onesweep_histogram_config_static_selectorELNS0_4arch9wavefront6targetE1EEEvSI_
		.amdhsa_group_segment_fixed_size 0
		.amdhsa_private_segment_fixed_size 0
		.amdhsa_kernarg_size 8
		.amdhsa_user_sgpr_count 2
		.amdhsa_user_sgpr_dispatch_ptr 0
		.amdhsa_user_sgpr_queue_ptr 0
		.amdhsa_user_sgpr_kernarg_segment_ptr 1
		.amdhsa_user_sgpr_dispatch_id 0
		.amdhsa_user_sgpr_kernarg_preload_length 0
		.amdhsa_user_sgpr_kernarg_preload_offset 0
		.amdhsa_user_sgpr_private_segment_size 0
		.amdhsa_uses_dynamic_stack 0
		.amdhsa_enable_private_segment 0
		.amdhsa_system_sgpr_workgroup_id_x 1
		.amdhsa_system_sgpr_workgroup_id_y 0
		.amdhsa_system_sgpr_workgroup_id_z 0
		.amdhsa_system_sgpr_workgroup_info 0
		.amdhsa_system_vgpr_workitem_id 0
		.amdhsa_next_free_vgpr 1
		.amdhsa_next_free_sgpr 0
		.amdhsa_accum_offset 4
		.amdhsa_reserve_vcc 0
		.amdhsa_float_round_mode_32 0
		.amdhsa_float_round_mode_16_64 0
		.amdhsa_float_denorm_mode_32 3
		.amdhsa_float_denorm_mode_16_64 3
		.amdhsa_dx10_clamp 1
		.amdhsa_ieee_mode 1
		.amdhsa_fp16_overflow 0
		.amdhsa_tg_split 0
		.amdhsa_exception_fp_ieee_invalid_op 0
		.amdhsa_exception_fp_denorm_src 0
		.amdhsa_exception_fp_ieee_div_zero 0
		.amdhsa_exception_fp_ieee_overflow 0
		.amdhsa_exception_fp_ieee_underflow 0
		.amdhsa_exception_fp_ieee_inexact 0
		.amdhsa_exception_int_div_zero 0
	.end_amdhsa_kernel
	.section	.text._ZN7rocprim17ROCPRIM_400000_NS6detail17trampoline_kernelINS0_14default_configENS1_35radix_sort_onesweep_config_selectorIyNS0_10empty_typeEEEZNS1_34radix_sort_onesweep_global_offsetsIS3_Lb0EN6thrust23THRUST_200600_302600_NS6detail15normal_iteratorINS9_10device_ptrIyEEEEPS5_jNS0_19identity_decomposerEEE10hipError_tT1_T2_PT3_SK_jT4_jjP12ihipStream_tbEUlT_E0_NS1_11comp_targetILNS1_3genE3ELNS1_11target_archE908ELNS1_3gpuE7ELNS1_3repE0EEENS1_52radix_sort_onesweep_histogram_config_static_selectorELNS0_4arch9wavefront6targetE1EEEvSI_,"axG",@progbits,_ZN7rocprim17ROCPRIM_400000_NS6detail17trampoline_kernelINS0_14default_configENS1_35radix_sort_onesweep_config_selectorIyNS0_10empty_typeEEEZNS1_34radix_sort_onesweep_global_offsetsIS3_Lb0EN6thrust23THRUST_200600_302600_NS6detail15normal_iteratorINS9_10device_ptrIyEEEEPS5_jNS0_19identity_decomposerEEE10hipError_tT1_T2_PT3_SK_jT4_jjP12ihipStream_tbEUlT_E0_NS1_11comp_targetILNS1_3genE3ELNS1_11target_archE908ELNS1_3gpuE7ELNS1_3repE0EEENS1_52radix_sort_onesweep_histogram_config_static_selectorELNS0_4arch9wavefront6targetE1EEEvSI_,comdat
.Lfunc_end851:
	.size	_ZN7rocprim17ROCPRIM_400000_NS6detail17trampoline_kernelINS0_14default_configENS1_35radix_sort_onesweep_config_selectorIyNS0_10empty_typeEEEZNS1_34radix_sort_onesweep_global_offsetsIS3_Lb0EN6thrust23THRUST_200600_302600_NS6detail15normal_iteratorINS9_10device_ptrIyEEEEPS5_jNS0_19identity_decomposerEEE10hipError_tT1_T2_PT3_SK_jT4_jjP12ihipStream_tbEUlT_E0_NS1_11comp_targetILNS1_3genE3ELNS1_11target_archE908ELNS1_3gpuE7ELNS1_3repE0EEENS1_52radix_sort_onesweep_histogram_config_static_selectorELNS0_4arch9wavefront6targetE1EEEvSI_, .Lfunc_end851-_ZN7rocprim17ROCPRIM_400000_NS6detail17trampoline_kernelINS0_14default_configENS1_35radix_sort_onesweep_config_selectorIyNS0_10empty_typeEEEZNS1_34radix_sort_onesweep_global_offsetsIS3_Lb0EN6thrust23THRUST_200600_302600_NS6detail15normal_iteratorINS9_10device_ptrIyEEEEPS5_jNS0_19identity_decomposerEEE10hipError_tT1_T2_PT3_SK_jT4_jjP12ihipStream_tbEUlT_E0_NS1_11comp_targetILNS1_3genE3ELNS1_11target_archE908ELNS1_3gpuE7ELNS1_3repE0EEENS1_52radix_sort_onesweep_histogram_config_static_selectorELNS0_4arch9wavefront6targetE1EEEvSI_
                                        ; -- End function
	.section	.AMDGPU.csdata,"",@progbits
; Kernel info:
; codeLenInByte = 0
; NumSgprs: 6
; NumVgprs: 0
; NumAgprs: 0
; TotalNumVgprs: 0
; ScratchSize: 0
; MemoryBound: 0
; FloatMode: 240
; IeeeMode: 1
; LDSByteSize: 0 bytes/workgroup (compile time only)
; SGPRBlocks: 0
; VGPRBlocks: 0
; NumSGPRsForWavesPerEU: 6
; NumVGPRsForWavesPerEU: 1
; AccumOffset: 4
; Occupancy: 8
; WaveLimiterHint : 0
; COMPUTE_PGM_RSRC2:SCRATCH_EN: 0
; COMPUTE_PGM_RSRC2:USER_SGPR: 2
; COMPUTE_PGM_RSRC2:TRAP_HANDLER: 0
; COMPUTE_PGM_RSRC2:TGID_X_EN: 1
; COMPUTE_PGM_RSRC2:TGID_Y_EN: 0
; COMPUTE_PGM_RSRC2:TGID_Z_EN: 0
; COMPUTE_PGM_RSRC2:TIDIG_COMP_CNT: 0
; COMPUTE_PGM_RSRC3_GFX90A:ACCUM_OFFSET: 0
; COMPUTE_PGM_RSRC3_GFX90A:TG_SPLIT: 0
	.section	.text._ZN7rocprim17ROCPRIM_400000_NS6detail17trampoline_kernelINS0_14default_configENS1_35radix_sort_onesweep_config_selectorIyNS0_10empty_typeEEEZNS1_34radix_sort_onesweep_global_offsetsIS3_Lb0EN6thrust23THRUST_200600_302600_NS6detail15normal_iteratorINS9_10device_ptrIyEEEEPS5_jNS0_19identity_decomposerEEE10hipError_tT1_T2_PT3_SK_jT4_jjP12ihipStream_tbEUlT_E0_NS1_11comp_targetILNS1_3genE10ELNS1_11target_archE1201ELNS1_3gpuE5ELNS1_3repE0EEENS1_52radix_sort_onesweep_histogram_config_static_selectorELNS0_4arch9wavefront6targetE1EEEvSI_,"axG",@progbits,_ZN7rocprim17ROCPRIM_400000_NS6detail17trampoline_kernelINS0_14default_configENS1_35radix_sort_onesweep_config_selectorIyNS0_10empty_typeEEEZNS1_34radix_sort_onesweep_global_offsetsIS3_Lb0EN6thrust23THRUST_200600_302600_NS6detail15normal_iteratorINS9_10device_ptrIyEEEEPS5_jNS0_19identity_decomposerEEE10hipError_tT1_T2_PT3_SK_jT4_jjP12ihipStream_tbEUlT_E0_NS1_11comp_targetILNS1_3genE10ELNS1_11target_archE1201ELNS1_3gpuE5ELNS1_3repE0EEENS1_52radix_sort_onesweep_histogram_config_static_selectorELNS0_4arch9wavefront6targetE1EEEvSI_,comdat
	.protected	_ZN7rocprim17ROCPRIM_400000_NS6detail17trampoline_kernelINS0_14default_configENS1_35radix_sort_onesweep_config_selectorIyNS0_10empty_typeEEEZNS1_34radix_sort_onesweep_global_offsetsIS3_Lb0EN6thrust23THRUST_200600_302600_NS6detail15normal_iteratorINS9_10device_ptrIyEEEEPS5_jNS0_19identity_decomposerEEE10hipError_tT1_T2_PT3_SK_jT4_jjP12ihipStream_tbEUlT_E0_NS1_11comp_targetILNS1_3genE10ELNS1_11target_archE1201ELNS1_3gpuE5ELNS1_3repE0EEENS1_52radix_sort_onesweep_histogram_config_static_selectorELNS0_4arch9wavefront6targetE1EEEvSI_ ; -- Begin function _ZN7rocprim17ROCPRIM_400000_NS6detail17trampoline_kernelINS0_14default_configENS1_35radix_sort_onesweep_config_selectorIyNS0_10empty_typeEEEZNS1_34radix_sort_onesweep_global_offsetsIS3_Lb0EN6thrust23THRUST_200600_302600_NS6detail15normal_iteratorINS9_10device_ptrIyEEEEPS5_jNS0_19identity_decomposerEEE10hipError_tT1_T2_PT3_SK_jT4_jjP12ihipStream_tbEUlT_E0_NS1_11comp_targetILNS1_3genE10ELNS1_11target_archE1201ELNS1_3gpuE5ELNS1_3repE0EEENS1_52radix_sort_onesweep_histogram_config_static_selectorELNS0_4arch9wavefront6targetE1EEEvSI_
	.globl	_ZN7rocprim17ROCPRIM_400000_NS6detail17trampoline_kernelINS0_14default_configENS1_35radix_sort_onesweep_config_selectorIyNS0_10empty_typeEEEZNS1_34radix_sort_onesweep_global_offsetsIS3_Lb0EN6thrust23THRUST_200600_302600_NS6detail15normal_iteratorINS9_10device_ptrIyEEEEPS5_jNS0_19identity_decomposerEEE10hipError_tT1_T2_PT3_SK_jT4_jjP12ihipStream_tbEUlT_E0_NS1_11comp_targetILNS1_3genE10ELNS1_11target_archE1201ELNS1_3gpuE5ELNS1_3repE0EEENS1_52radix_sort_onesweep_histogram_config_static_selectorELNS0_4arch9wavefront6targetE1EEEvSI_
	.p2align	8
	.type	_ZN7rocprim17ROCPRIM_400000_NS6detail17trampoline_kernelINS0_14default_configENS1_35radix_sort_onesweep_config_selectorIyNS0_10empty_typeEEEZNS1_34radix_sort_onesweep_global_offsetsIS3_Lb0EN6thrust23THRUST_200600_302600_NS6detail15normal_iteratorINS9_10device_ptrIyEEEEPS5_jNS0_19identity_decomposerEEE10hipError_tT1_T2_PT3_SK_jT4_jjP12ihipStream_tbEUlT_E0_NS1_11comp_targetILNS1_3genE10ELNS1_11target_archE1201ELNS1_3gpuE5ELNS1_3repE0EEENS1_52radix_sort_onesweep_histogram_config_static_selectorELNS0_4arch9wavefront6targetE1EEEvSI_,@function
_ZN7rocprim17ROCPRIM_400000_NS6detail17trampoline_kernelINS0_14default_configENS1_35radix_sort_onesweep_config_selectorIyNS0_10empty_typeEEEZNS1_34radix_sort_onesweep_global_offsetsIS3_Lb0EN6thrust23THRUST_200600_302600_NS6detail15normal_iteratorINS9_10device_ptrIyEEEEPS5_jNS0_19identity_decomposerEEE10hipError_tT1_T2_PT3_SK_jT4_jjP12ihipStream_tbEUlT_E0_NS1_11comp_targetILNS1_3genE10ELNS1_11target_archE1201ELNS1_3gpuE5ELNS1_3repE0EEENS1_52radix_sort_onesweep_histogram_config_static_selectorELNS0_4arch9wavefront6targetE1EEEvSI_: ; @_ZN7rocprim17ROCPRIM_400000_NS6detail17trampoline_kernelINS0_14default_configENS1_35radix_sort_onesweep_config_selectorIyNS0_10empty_typeEEEZNS1_34radix_sort_onesweep_global_offsetsIS3_Lb0EN6thrust23THRUST_200600_302600_NS6detail15normal_iteratorINS9_10device_ptrIyEEEEPS5_jNS0_19identity_decomposerEEE10hipError_tT1_T2_PT3_SK_jT4_jjP12ihipStream_tbEUlT_E0_NS1_11comp_targetILNS1_3genE10ELNS1_11target_archE1201ELNS1_3gpuE5ELNS1_3repE0EEENS1_52radix_sort_onesweep_histogram_config_static_selectorELNS0_4arch9wavefront6targetE1EEEvSI_
; %bb.0:
	.section	.rodata,"a",@progbits
	.p2align	6, 0x0
	.amdhsa_kernel _ZN7rocprim17ROCPRIM_400000_NS6detail17trampoline_kernelINS0_14default_configENS1_35radix_sort_onesweep_config_selectorIyNS0_10empty_typeEEEZNS1_34radix_sort_onesweep_global_offsetsIS3_Lb0EN6thrust23THRUST_200600_302600_NS6detail15normal_iteratorINS9_10device_ptrIyEEEEPS5_jNS0_19identity_decomposerEEE10hipError_tT1_T2_PT3_SK_jT4_jjP12ihipStream_tbEUlT_E0_NS1_11comp_targetILNS1_3genE10ELNS1_11target_archE1201ELNS1_3gpuE5ELNS1_3repE0EEENS1_52radix_sort_onesweep_histogram_config_static_selectorELNS0_4arch9wavefront6targetE1EEEvSI_
		.amdhsa_group_segment_fixed_size 0
		.amdhsa_private_segment_fixed_size 0
		.amdhsa_kernarg_size 8
		.amdhsa_user_sgpr_count 2
		.amdhsa_user_sgpr_dispatch_ptr 0
		.amdhsa_user_sgpr_queue_ptr 0
		.amdhsa_user_sgpr_kernarg_segment_ptr 1
		.amdhsa_user_sgpr_dispatch_id 0
		.amdhsa_user_sgpr_kernarg_preload_length 0
		.amdhsa_user_sgpr_kernarg_preload_offset 0
		.amdhsa_user_sgpr_private_segment_size 0
		.amdhsa_uses_dynamic_stack 0
		.amdhsa_enable_private_segment 0
		.amdhsa_system_sgpr_workgroup_id_x 1
		.amdhsa_system_sgpr_workgroup_id_y 0
		.amdhsa_system_sgpr_workgroup_id_z 0
		.amdhsa_system_sgpr_workgroup_info 0
		.amdhsa_system_vgpr_workitem_id 0
		.amdhsa_next_free_vgpr 1
		.amdhsa_next_free_sgpr 0
		.amdhsa_accum_offset 4
		.amdhsa_reserve_vcc 0
		.amdhsa_float_round_mode_32 0
		.amdhsa_float_round_mode_16_64 0
		.amdhsa_float_denorm_mode_32 3
		.amdhsa_float_denorm_mode_16_64 3
		.amdhsa_dx10_clamp 1
		.amdhsa_ieee_mode 1
		.amdhsa_fp16_overflow 0
		.amdhsa_tg_split 0
		.amdhsa_exception_fp_ieee_invalid_op 0
		.amdhsa_exception_fp_denorm_src 0
		.amdhsa_exception_fp_ieee_div_zero 0
		.amdhsa_exception_fp_ieee_overflow 0
		.amdhsa_exception_fp_ieee_underflow 0
		.amdhsa_exception_fp_ieee_inexact 0
		.amdhsa_exception_int_div_zero 0
	.end_amdhsa_kernel
	.section	.text._ZN7rocprim17ROCPRIM_400000_NS6detail17trampoline_kernelINS0_14default_configENS1_35radix_sort_onesweep_config_selectorIyNS0_10empty_typeEEEZNS1_34radix_sort_onesweep_global_offsetsIS3_Lb0EN6thrust23THRUST_200600_302600_NS6detail15normal_iteratorINS9_10device_ptrIyEEEEPS5_jNS0_19identity_decomposerEEE10hipError_tT1_T2_PT3_SK_jT4_jjP12ihipStream_tbEUlT_E0_NS1_11comp_targetILNS1_3genE10ELNS1_11target_archE1201ELNS1_3gpuE5ELNS1_3repE0EEENS1_52radix_sort_onesweep_histogram_config_static_selectorELNS0_4arch9wavefront6targetE1EEEvSI_,"axG",@progbits,_ZN7rocprim17ROCPRIM_400000_NS6detail17trampoline_kernelINS0_14default_configENS1_35radix_sort_onesweep_config_selectorIyNS0_10empty_typeEEEZNS1_34radix_sort_onesweep_global_offsetsIS3_Lb0EN6thrust23THRUST_200600_302600_NS6detail15normal_iteratorINS9_10device_ptrIyEEEEPS5_jNS0_19identity_decomposerEEE10hipError_tT1_T2_PT3_SK_jT4_jjP12ihipStream_tbEUlT_E0_NS1_11comp_targetILNS1_3genE10ELNS1_11target_archE1201ELNS1_3gpuE5ELNS1_3repE0EEENS1_52radix_sort_onesweep_histogram_config_static_selectorELNS0_4arch9wavefront6targetE1EEEvSI_,comdat
.Lfunc_end852:
	.size	_ZN7rocprim17ROCPRIM_400000_NS6detail17trampoline_kernelINS0_14default_configENS1_35radix_sort_onesweep_config_selectorIyNS0_10empty_typeEEEZNS1_34radix_sort_onesweep_global_offsetsIS3_Lb0EN6thrust23THRUST_200600_302600_NS6detail15normal_iteratorINS9_10device_ptrIyEEEEPS5_jNS0_19identity_decomposerEEE10hipError_tT1_T2_PT3_SK_jT4_jjP12ihipStream_tbEUlT_E0_NS1_11comp_targetILNS1_3genE10ELNS1_11target_archE1201ELNS1_3gpuE5ELNS1_3repE0EEENS1_52radix_sort_onesweep_histogram_config_static_selectorELNS0_4arch9wavefront6targetE1EEEvSI_, .Lfunc_end852-_ZN7rocprim17ROCPRIM_400000_NS6detail17trampoline_kernelINS0_14default_configENS1_35radix_sort_onesweep_config_selectorIyNS0_10empty_typeEEEZNS1_34radix_sort_onesweep_global_offsetsIS3_Lb0EN6thrust23THRUST_200600_302600_NS6detail15normal_iteratorINS9_10device_ptrIyEEEEPS5_jNS0_19identity_decomposerEEE10hipError_tT1_T2_PT3_SK_jT4_jjP12ihipStream_tbEUlT_E0_NS1_11comp_targetILNS1_3genE10ELNS1_11target_archE1201ELNS1_3gpuE5ELNS1_3repE0EEENS1_52radix_sort_onesweep_histogram_config_static_selectorELNS0_4arch9wavefront6targetE1EEEvSI_
                                        ; -- End function
	.section	.AMDGPU.csdata,"",@progbits
; Kernel info:
; codeLenInByte = 0
; NumSgprs: 6
; NumVgprs: 0
; NumAgprs: 0
; TotalNumVgprs: 0
; ScratchSize: 0
; MemoryBound: 0
; FloatMode: 240
; IeeeMode: 1
; LDSByteSize: 0 bytes/workgroup (compile time only)
; SGPRBlocks: 0
; VGPRBlocks: 0
; NumSGPRsForWavesPerEU: 6
; NumVGPRsForWavesPerEU: 1
; AccumOffset: 4
; Occupancy: 8
; WaveLimiterHint : 0
; COMPUTE_PGM_RSRC2:SCRATCH_EN: 0
; COMPUTE_PGM_RSRC2:USER_SGPR: 2
; COMPUTE_PGM_RSRC2:TRAP_HANDLER: 0
; COMPUTE_PGM_RSRC2:TGID_X_EN: 1
; COMPUTE_PGM_RSRC2:TGID_Y_EN: 0
; COMPUTE_PGM_RSRC2:TGID_Z_EN: 0
; COMPUTE_PGM_RSRC2:TIDIG_COMP_CNT: 0
; COMPUTE_PGM_RSRC3_GFX90A:ACCUM_OFFSET: 0
; COMPUTE_PGM_RSRC3_GFX90A:TG_SPLIT: 0
	.section	.text._ZN7rocprim17ROCPRIM_400000_NS6detail17trampoline_kernelINS0_14default_configENS1_35radix_sort_onesweep_config_selectorIyNS0_10empty_typeEEEZNS1_34radix_sort_onesweep_global_offsetsIS3_Lb0EN6thrust23THRUST_200600_302600_NS6detail15normal_iteratorINS9_10device_ptrIyEEEEPS5_jNS0_19identity_decomposerEEE10hipError_tT1_T2_PT3_SK_jT4_jjP12ihipStream_tbEUlT_E0_NS1_11comp_targetILNS1_3genE9ELNS1_11target_archE1100ELNS1_3gpuE3ELNS1_3repE0EEENS1_52radix_sort_onesweep_histogram_config_static_selectorELNS0_4arch9wavefront6targetE1EEEvSI_,"axG",@progbits,_ZN7rocprim17ROCPRIM_400000_NS6detail17trampoline_kernelINS0_14default_configENS1_35radix_sort_onesweep_config_selectorIyNS0_10empty_typeEEEZNS1_34radix_sort_onesweep_global_offsetsIS3_Lb0EN6thrust23THRUST_200600_302600_NS6detail15normal_iteratorINS9_10device_ptrIyEEEEPS5_jNS0_19identity_decomposerEEE10hipError_tT1_T2_PT3_SK_jT4_jjP12ihipStream_tbEUlT_E0_NS1_11comp_targetILNS1_3genE9ELNS1_11target_archE1100ELNS1_3gpuE3ELNS1_3repE0EEENS1_52radix_sort_onesweep_histogram_config_static_selectorELNS0_4arch9wavefront6targetE1EEEvSI_,comdat
	.protected	_ZN7rocprim17ROCPRIM_400000_NS6detail17trampoline_kernelINS0_14default_configENS1_35radix_sort_onesweep_config_selectorIyNS0_10empty_typeEEEZNS1_34radix_sort_onesweep_global_offsetsIS3_Lb0EN6thrust23THRUST_200600_302600_NS6detail15normal_iteratorINS9_10device_ptrIyEEEEPS5_jNS0_19identity_decomposerEEE10hipError_tT1_T2_PT3_SK_jT4_jjP12ihipStream_tbEUlT_E0_NS1_11comp_targetILNS1_3genE9ELNS1_11target_archE1100ELNS1_3gpuE3ELNS1_3repE0EEENS1_52radix_sort_onesweep_histogram_config_static_selectorELNS0_4arch9wavefront6targetE1EEEvSI_ ; -- Begin function _ZN7rocprim17ROCPRIM_400000_NS6detail17trampoline_kernelINS0_14default_configENS1_35radix_sort_onesweep_config_selectorIyNS0_10empty_typeEEEZNS1_34radix_sort_onesweep_global_offsetsIS3_Lb0EN6thrust23THRUST_200600_302600_NS6detail15normal_iteratorINS9_10device_ptrIyEEEEPS5_jNS0_19identity_decomposerEEE10hipError_tT1_T2_PT3_SK_jT4_jjP12ihipStream_tbEUlT_E0_NS1_11comp_targetILNS1_3genE9ELNS1_11target_archE1100ELNS1_3gpuE3ELNS1_3repE0EEENS1_52radix_sort_onesweep_histogram_config_static_selectorELNS0_4arch9wavefront6targetE1EEEvSI_
	.globl	_ZN7rocprim17ROCPRIM_400000_NS6detail17trampoline_kernelINS0_14default_configENS1_35radix_sort_onesweep_config_selectorIyNS0_10empty_typeEEEZNS1_34radix_sort_onesweep_global_offsetsIS3_Lb0EN6thrust23THRUST_200600_302600_NS6detail15normal_iteratorINS9_10device_ptrIyEEEEPS5_jNS0_19identity_decomposerEEE10hipError_tT1_T2_PT3_SK_jT4_jjP12ihipStream_tbEUlT_E0_NS1_11comp_targetILNS1_3genE9ELNS1_11target_archE1100ELNS1_3gpuE3ELNS1_3repE0EEENS1_52radix_sort_onesweep_histogram_config_static_selectorELNS0_4arch9wavefront6targetE1EEEvSI_
	.p2align	8
	.type	_ZN7rocprim17ROCPRIM_400000_NS6detail17trampoline_kernelINS0_14default_configENS1_35radix_sort_onesweep_config_selectorIyNS0_10empty_typeEEEZNS1_34radix_sort_onesweep_global_offsetsIS3_Lb0EN6thrust23THRUST_200600_302600_NS6detail15normal_iteratorINS9_10device_ptrIyEEEEPS5_jNS0_19identity_decomposerEEE10hipError_tT1_T2_PT3_SK_jT4_jjP12ihipStream_tbEUlT_E0_NS1_11comp_targetILNS1_3genE9ELNS1_11target_archE1100ELNS1_3gpuE3ELNS1_3repE0EEENS1_52radix_sort_onesweep_histogram_config_static_selectorELNS0_4arch9wavefront6targetE1EEEvSI_,@function
_ZN7rocprim17ROCPRIM_400000_NS6detail17trampoline_kernelINS0_14default_configENS1_35radix_sort_onesweep_config_selectorIyNS0_10empty_typeEEEZNS1_34radix_sort_onesweep_global_offsetsIS3_Lb0EN6thrust23THRUST_200600_302600_NS6detail15normal_iteratorINS9_10device_ptrIyEEEEPS5_jNS0_19identity_decomposerEEE10hipError_tT1_T2_PT3_SK_jT4_jjP12ihipStream_tbEUlT_E0_NS1_11comp_targetILNS1_3genE9ELNS1_11target_archE1100ELNS1_3gpuE3ELNS1_3repE0EEENS1_52radix_sort_onesweep_histogram_config_static_selectorELNS0_4arch9wavefront6targetE1EEEvSI_: ; @_ZN7rocprim17ROCPRIM_400000_NS6detail17trampoline_kernelINS0_14default_configENS1_35radix_sort_onesweep_config_selectorIyNS0_10empty_typeEEEZNS1_34radix_sort_onesweep_global_offsetsIS3_Lb0EN6thrust23THRUST_200600_302600_NS6detail15normal_iteratorINS9_10device_ptrIyEEEEPS5_jNS0_19identity_decomposerEEE10hipError_tT1_T2_PT3_SK_jT4_jjP12ihipStream_tbEUlT_E0_NS1_11comp_targetILNS1_3genE9ELNS1_11target_archE1100ELNS1_3gpuE3ELNS1_3repE0EEENS1_52radix_sort_onesweep_histogram_config_static_selectorELNS0_4arch9wavefront6targetE1EEEvSI_
; %bb.0:
	.section	.rodata,"a",@progbits
	.p2align	6, 0x0
	.amdhsa_kernel _ZN7rocprim17ROCPRIM_400000_NS6detail17trampoline_kernelINS0_14default_configENS1_35radix_sort_onesweep_config_selectorIyNS0_10empty_typeEEEZNS1_34radix_sort_onesweep_global_offsetsIS3_Lb0EN6thrust23THRUST_200600_302600_NS6detail15normal_iteratorINS9_10device_ptrIyEEEEPS5_jNS0_19identity_decomposerEEE10hipError_tT1_T2_PT3_SK_jT4_jjP12ihipStream_tbEUlT_E0_NS1_11comp_targetILNS1_3genE9ELNS1_11target_archE1100ELNS1_3gpuE3ELNS1_3repE0EEENS1_52radix_sort_onesweep_histogram_config_static_selectorELNS0_4arch9wavefront6targetE1EEEvSI_
		.amdhsa_group_segment_fixed_size 0
		.amdhsa_private_segment_fixed_size 0
		.amdhsa_kernarg_size 8
		.amdhsa_user_sgpr_count 2
		.amdhsa_user_sgpr_dispatch_ptr 0
		.amdhsa_user_sgpr_queue_ptr 0
		.amdhsa_user_sgpr_kernarg_segment_ptr 1
		.amdhsa_user_sgpr_dispatch_id 0
		.amdhsa_user_sgpr_kernarg_preload_length 0
		.amdhsa_user_sgpr_kernarg_preload_offset 0
		.amdhsa_user_sgpr_private_segment_size 0
		.amdhsa_uses_dynamic_stack 0
		.amdhsa_enable_private_segment 0
		.amdhsa_system_sgpr_workgroup_id_x 1
		.amdhsa_system_sgpr_workgroup_id_y 0
		.amdhsa_system_sgpr_workgroup_id_z 0
		.amdhsa_system_sgpr_workgroup_info 0
		.amdhsa_system_vgpr_workitem_id 0
		.amdhsa_next_free_vgpr 1
		.amdhsa_next_free_sgpr 0
		.amdhsa_accum_offset 4
		.amdhsa_reserve_vcc 0
		.amdhsa_float_round_mode_32 0
		.amdhsa_float_round_mode_16_64 0
		.amdhsa_float_denorm_mode_32 3
		.amdhsa_float_denorm_mode_16_64 3
		.amdhsa_dx10_clamp 1
		.amdhsa_ieee_mode 1
		.amdhsa_fp16_overflow 0
		.amdhsa_tg_split 0
		.amdhsa_exception_fp_ieee_invalid_op 0
		.amdhsa_exception_fp_denorm_src 0
		.amdhsa_exception_fp_ieee_div_zero 0
		.amdhsa_exception_fp_ieee_overflow 0
		.amdhsa_exception_fp_ieee_underflow 0
		.amdhsa_exception_fp_ieee_inexact 0
		.amdhsa_exception_int_div_zero 0
	.end_amdhsa_kernel
	.section	.text._ZN7rocprim17ROCPRIM_400000_NS6detail17trampoline_kernelINS0_14default_configENS1_35radix_sort_onesweep_config_selectorIyNS0_10empty_typeEEEZNS1_34radix_sort_onesweep_global_offsetsIS3_Lb0EN6thrust23THRUST_200600_302600_NS6detail15normal_iteratorINS9_10device_ptrIyEEEEPS5_jNS0_19identity_decomposerEEE10hipError_tT1_T2_PT3_SK_jT4_jjP12ihipStream_tbEUlT_E0_NS1_11comp_targetILNS1_3genE9ELNS1_11target_archE1100ELNS1_3gpuE3ELNS1_3repE0EEENS1_52radix_sort_onesweep_histogram_config_static_selectorELNS0_4arch9wavefront6targetE1EEEvSI_,"axG",@progbits,_ZN7rocprim17ROCPRIM_400000_NS6detail17trampoline_kernelINS0_14default_configENS1_35radix_sort_onesweep_config_selectorIyNS0_10empty_typeEEEZNS1_34radix_sort_onesweep_global_offsetsIS3_Lb0EN6thrust23THRUST_200600_302600_NS6detail15normal_iteratorINS9_10device_ptrIyEEEEPS5_jNS0_19identity_decomposerEEE10hipError_tT1_T2_PT3_SK_jT4_jjP12ihipStream_tbEUlT_E0_NS1_11comp_targetILNS1_3genE9ELNS1_11target_archE1100ELNS1_3gpuE3ELNS1_3repE0EEENS1_52radix_sort_onesweep_histogram_config_static_selectorELNS0_4arch9wavefront6targetE1EEEvSI_,comdat
.Lfunc_end853:
	.size	_ZN7rocprim17ROCPRIM_400000_NS6detail17trampoline_kernelINS0_14default_configENS1_35radix_sort_onesweep_config_selectorIyNS0_10empty_typeEEEZNS1_34radix_sort_onesweep_global_offsetsIS3_Lb0EN6thrust23THRUST_200600_302600_NS6detail15normal_iteratorINS9_10device_ptrIyEEEEPS5_jNS0_19identity_decomposerEEE10hipError_tT1_T2_PT3_SK_jT4_jjP12ihipStream_tbEUlT_E0_NS1_11comp_targetILNS1_3genE9ELNS1_11target_archE1100ELNS1_3gpuE3ELNS1_3repE0EEENS1_52radix_sort_onesweep_histogram_config_static_selectorELNS0_4arch9wavefront6targetE1EEEvSI_, .Lfunc_end853-_ZN7rocprim17ROCPRIM_400000_NS6detail17trampoline_kernelINS0_14default_configENS1_35radix_sort_onesweep_config_selectorIyNS0_10empty_typeEEEZNS1_34radix_sort_onesweep_global_offsetsIS3_Lb0EN6thrust23THRUST_200600_302600_NS6detail15normal_iteratorINS9_10device_ptrIyEEEEPS5_jNS0_19identity_decomposerEEE10hipError_tT1_T2_PT3_SK_jT4_jjP12ihipStream_tbEUlT_E0_NS1_11comp_targetILNS1_3genE9ELNS1_11target_archE1100ELNS1_3gpuE3ELNS1_3repE0EEENS1_52radix_sort_onesweep_histogram_config_static_selectorELNS0_4arch9wavefront6targetE1EEEvSI_
                                        ; -- End function
	.section	.AMDGPU.csdata,"",@progbits
; Kernel info:
; codeLenInByte = 0
; NumSgprs: 6
; NumVgprs: 0
; NumAgprs: 0
; TotalNumVgprs: 0
; ScratchSize: 0
; MemoryBound: 0
; FloatMode: 240
; IeeeMode: 1
; LDSByteSize: 0 bytes/workgroup (compile time only)
; SGPRBlocks: 0
; VGPRBlocks: 0
; NumSGPRsForWavesPerEU: 6
; NumVGPRsForWavesPerEU: 1
; AccumOffset: 4
; Occupancy: 8
; WaveLimiterHint : 0
; COMPUTE_PGM_RSRC2:SCRATCH_EN: 0
; COMPUTE_PGM_RSRC2:USER_SGPR: 2
; COMPUTE_PGM_RSRC2:TRAP_HANDLER: 0
; COMPUTE_PGM_RSRC2:TGID_X_EN: 1
; COMPUTE_PGM_RSRC2:TGID_Y_EN: 0
; COMPUTE_PGM_RSRC2:TGID_Z_EN: 0
; COMPUTE_PGM_RSRC2:TIDIG_COMP_CNT: 0
; COMPUTE_PGM_RSRC3_GFX90A:ACCUM_OFFSET: 0
; COMPUTE_PGM_RSRC3_GFX90A:TG_SPLIT: 0
	.section	.text._ZN7rocprim17ROCPRIM_400000_NS6detail17trampoline_kernelINS0_14default_configENS1_35radix_sort_onesweep_config_selectorIyNS0_10empty_typeEEEZNS1_34radix_sort_onesweep_global_offsetsIS3_Lb0EN6thrust23THRUST_200600_302600_NS6detail15normal_iteratorINS9_10device_ptrIyEEEEPS5_jNS0_19identity_decomposerEEE10hipError_tT1_T2_PT3_SK_jT4_jjP12ihipStream_tbEUlT_E0_NS1_11comp_targetILNS1_3genE8ELNS1_11target_archE1030ELNS1_3gpuE2ELNS1_3repE0EEENS1_52radix_sort_onesweep_histogram_config_static_selectorELNS0_4arch9wavefront6targetE1EEEvSI_,"axG",@progbits,_ZN7rocprim17ROCPRIM_400000_NS6detail17trampoline_kernelINS0_14default_configENS1_35radix_sort_onesweep_config_selectorIyNS0_10empty_typeEEEZNS1_34radix_sort_onesweep_global_offsetsIS3_Lb0EN6thrust23THRUST_200600_302600_NS6detail15normal_iteratorINS9_10device_ptrIyEEEEPS5_jNS0_19identity_decomposerEEE10hipError_tT1_T2_PT3_SK_jT4_jjP12ihipStream_tbEUlT_E0_NS1_11comp_targetILNS1_3genE8ELNS1_11target_archE1030ELNS1_3gpuE2ELNS1_3repE0EEENS1_52radix_sort_onesweep_histogram_config_static_selectorELNS0_4arch9wavefront6targetE1EEEvSI_,comdat
	.protected	_ZN7rocprim17ROCPRIM_400000_NS6detail17trampoline_kernelINS0_14default_configENS1_35radix_sort_onesweep_config_selectorIyNS0_10empty_typeEEEZNS1_34radix_sort_onesweep_global_offsetsIS3_Lb0EN6thrust23THRUST_200600_302600_NS6detail15normal_iteratorINS9_10device_ptrIyEEEEPS5_jNS0_19identity_decomposerEEE10hipError_tT1_T2_PT3_SK_jT4_jjP12ihipStream_tbEUlT_E0_NS1_11comp_targetILNS1_3genE8ELNS1_11target_archE1030ELNS1_3gpuE2ELNS1_3repE0EEENS1_52radix_sort_onesweep_histogram_config_static_selectorELNS0_4arch9wavefront6targetE1EEEvSI_ ; -- Begin function _ZN7rocprim17ROCPRIM_400000_NS6detail17trampoline_kernelINS0_14default_configENS1_35radix_sort_onesweep_config_selectorIyNS0_10empty_typeEEEZNS1_34radix_sort_onesweep_global_offsetsIS3_Lb0EN6thrust23THRUST_200600_302600_NS6detail15normal_iteratorINS9_10device_ptrIyEEEEPS5_jNS0_19identity_decomposerEEE10hipError_tT1_T2_PT3_SK_jT4_jjP12ihipStream_tbEUlT_E0_NS1_11comp_targetILNS1_3genE8ELNS1_11target_archE1030ELNS1_3gpuE2ELNS1_3repE0EEENS1_52radix_sort_onesweep_histogram_config_static_selectorELNS0_4arch9wavefront6targetE1EEEvSI_
	.globl	_ZN7rocprim17ROCPRIM_400000_NS6detail17trampoline_kernelINS0_14default_configENS1_35radix_sort_onesweep_config_selectorIyNS0_10empty_typeEEEZNS1_34radix_sort_onesweep_global_offsetsIS3_Lb0EN6thrust23THRUST_200600_302600_NS6detail15normal_iteratorINS9_10device_ptrIyEEEEPS5_jNS0_19identity_decomposerEEE10hipError_tT1_T2_PT3_SK_jT4_jjP12ihipStream_tbEUlT_E0_NS1_11comp_targetILNS1_3genE8ELNS1_11target_archE1030ELNS1_3gpuE2ELNS1_3repE0EEENS1_52radix_sort_onesweep_histogram_config_static_selectorELNS0_4arch9wavefront6targetE1EEEvSI_
	.p2align	8
	.type	_ZN7rocprim17ROCPRIM_400000_NS6detail17trampoline_kernelINS0_14default_configENS1_35radix_sort_onesweep_config_selectorIyNS0_10empty_typeEEEZNS1_34radix_sort_onesweep_global_offsetsIS3_Lb0EN6thrust23THRUST_200600_302600_NS6detail15normal_iteratorINS9_10device_ptrIyEEEEPS5_jNS0_19identity_decomposerEEE10hipError_tT1_T2_PT3_SK_jT4_jjP12ihipStream_tbEUlT_E0_NS1_11comp_targetILNS1_3genE8ELNS1_11target_archE1030ELNS1_3gpuE2ELNS1_3repE0EEENS1_52radix_sort_onesweep_histogram_config_static_selectorELNS0_4arch9wavefront6targetE1EEEvSI_,@function
_ZN7rocprim17ROCPRIM_400000_NS6detail17trampoline_kernelINS0_14default_configENS1_35radix_sort_onesweep_config_selectorIyNS0_10empty_typeEEEZNS1_34radix_sort_onesweep_global_offsetsIS3_Lb0EN6thrust23THRUST_200600_302600_NS6detail15normal_iteratorINS9_10device_ptrIyEEEEPS5_jNS0_19identity_decomposerEEE10hipError_tT1_T2_PT3_SK_jT4_jjP12ihipStream_tbEUlT_E0_NS1_11comp_targetILNS1_3genE8ELNS1_11target_archE1030ELNS1_3gpuE2ELNS1_3repE0EEENS1_52radix_sort_onesweep_histogram_config_static_selectorELNS0_4arch9wavefront6targetE1EEEvSI_: ; @_ZN7rocprim17ROCPRIM_400000_NS6detail17trampoline_kernelINS0_14default_configENS1_35radix_sort_onesweep_config_selectorIyNS0_10empty_typeEEEZNS1_34radix_sort_onesweep_global_offsetsIS3_Lb0EN6thrust23THRUST_200600_302600_NS6detail15normal_iteratorINS9_10device_ptrIyEEEEPS5_jNS0_19identity_decomposerEEE10hipError_tT1_T2_PT3_SK_jT4_jjP12ihipStream_tbEUlT_E0_NS1_11comp_targetILNS1_3genE8ELNS1_11target_archE1030ELNS1_3gpuE2ELNS1_3repE0EEENS1_52radix_sort_onesweep_histogram_config_static_selectorELNS0_4arch9wavefront6targetE1EEEvSI_
; %bb.0:
	.section	.rodata,"a",@progbits
	.p2align	6, 0x0
	.amdhsa_kernel _ZN7rocprim17ROCPRIM_400000_NS6detail17trampoline_kernelINS0_14default_configENS1_35radix_sort_onesweep_config_selectorIyNS0_10empty_typeEEEZNS1_34radix_sort_onesweep_global_offsetsIS3_Lb0EN6thrust23THRUST_200600_302600_NS6detail15normal_iteratorINS9_10device_ptrIyEEEEPS5_jNS0_19identity_decomposerEEE10hipError_tT1_T2_PT3_SK_jT4_jjP12ihipStream_tbEUlT_E0_NS1_11comp_targetILNS1_3genE8ELNS1_11target_archE1030ELNS1_3gpuE2ELNS1_3repE0EEENS1_52radix_sort_onesweep_histogram_config_static_selectorELNS0_4arch9wavefront6targetE1EEEvSI_
		.amdhsa_group_segment_fixed_size 0
		.amdhsa_private_segment_fixed_size 0
		.amdhsa_kernarg_size 8
		.amdhsa_user_sgpr_count 2
		.amdhsa_user_sgpr_dispatch_ptr 0
		.amdhsa_user_sgpr_queue_ptr 0
		.amdhsa_user_sgpr_kernarg_segment_ptr 1
		.amdhsa_user_sgpr_dispatch_id 0
		.amdhsa_user_sgpr_kernarg_preload_length 0
		.amdhsa_user_sgpr_kernarg_preload_offset 0
		.amdhsa_user_sgpr_private_segment_size 0
		.amdhsa_uses_dynamic_stack 0
		.amdhsa_enable_private_segment 0
		.amdhsa_system_sgpr_workgroup_id_x 1
		.amdhsa_system_sgpr_workgroup_id_y 0
		.amdhsa_system_sgpr_workgroup_id_z 0
		.amdhsa_system_sgpr_workgroup_info 0
		.amdhsa_system_vgpr_workitem_id 0
		.amdhsa_next_free_vgpr 1
		.amdhsa_next_free_sgpr 0
		.amdhsa_accum_offset 4
		.amdhsa_reserve_vcc 0
		.amdhsa_float_round_mode_32 0
		.amdhsa_float_round_mode_16_64 0
		.amdhsa_float_denorm_mode_32 3
		.amdhsa_float_denorm_mode_16_64 3
		.amdhsa_dx10_clamp 1
		.amdhsa_ieee_mode 1
		.amdhsa_fp16_overflow 0
		.amdhsa_tg_split 0
		.amdhsa_exception_fp_ieee_invalid_op 0
		.amdhsa_exception_fp_denorm_src 0
		.amdhsa_exception_fp_ieee_div_zero 0
		.amdhsa_exception_fp_ieee_overflow 0
		.amdhsa_exception_fp_ieee_underflow 0
		.amdhsa_exception_fp_ieee_inexact 0
		.amdhsa_exception_int_div_zero 0
	.end_amdhsa_kernel
	.section	.text._ZN7rocprim17ROCPRIM_400000_NS6detail17trampoline_kernelINS0_14default_configENS1_35radix_sort_onesweep_config_selectorIyNS0_10empty_typeEEEZNS1_34radix_sort_onesweep_global_offsetsIS3_Lb0EN6thrust23THRUST_200600_302600_NS6detail15normal_iteratorINS9_10device_ptrIyEEEEPS5_jNS0_19identity_decomposerEEE10hipError_tT1_T2_PT3_SK_jT4_jjP12ihipStream_tbEUlT_E0_NS1_11comp_targetILNS1_3genE8ELNS1_11target_archE1030ELNS1_3gpuE2ELNS1_3repE0EEENS1_52radix_sort_onesweep_histogram_config_static_selectorELNS0_4arch9wavefront6targetE1EEEvSI_,"axG",@progbits,_ZN7rocprim17ROCPRIM_400000_NS6detail17trampoline_kernelINS0_14default_configENS1_35radix_sort_onesweep_config_selectorIyNS0_10empty_typeEEEZNS1_34radix_sort_onesweep_global_offsetsIS3_Lb0EN6thrust23THRUST_200600_302600_NS6detail15normal_iteratorINS9_10device_ptrIyEEEEPS5_jNS0_19identity_decomposerEEE10hipError_tT1_T2_PT3_SK_jT4_jjP12ihipStream_tbEUlT_E0_NS1_11comp_targetILNS1_3genE8ELNS1_11target_archE1030ELNS1_3gpuE2ELNS1_3repE0EEENS1_52radix_sort_onesweep_histogram_config_static_selectorELNS0_4arch9wavefront6targetE1EEEvSI_,comdat
.Lfunc_end854:
	.size	_ZN7rocprim17ROCPRIM_400000_NS6detail17trampoline_kernelINS0_14default_configENS1_35radix_sort_onesweep_config_selectorIyNS0_10empty_typeEEEZNS1_34radix_sort_onesweep_global_offsetsIS3_Lb0EN6thrust23THRUST_200600_302600_NS6detail15normal_iteratorINS9_10device_ptrIyEEEEPS5_jNS0_19identity_decomposerEEE10hipError_tT1_T2_PT3_SK_jT4_jjP12ihipStream_tbEUlT_E0_NS1_11comp_targetILNS1_3genE8ELNS1_11target_archE1030ELNS1_3gpuE2ELNS1_3repE0EEENS1_52radix_sort_onesweep_histogram_config_static_selectorELNS0_4arch9wavefront6targetE1EEEvSI_, .Lfunc_end854-_ZN7rocprim17ROCPRIM_400000_NS6detail17trampoline_kernelINS0_14default_configENS1_35radix_sort_onesweep_config_selectorIyNS0_10empty_typeEEEZNS1_34radix_sort_onesweep_global_offsetsIS3_Lb0EN6thrust23THRUST_200600_302600_NS6detail15normal_iteratorINS9_10device_ptrIyEEEEPS5_jNS0_19identity_decomposerEEE10hipError_tT1_T2_PT3_SK_jT4_jjP12ihipStream_tbEUlT_E0_NS1_11comp_targetILNS1_3genE8ELNS1_11target_archE1030ELNS1_3gpuE2ELNS1_3repE0EEENS1_52radix_sort_onesweep_histogram_config_static_selectorELNS0_4arch9wavefront6targetE1EEEvSI_
                                        ; -- End function
	.section	.AMDGPU.csdata,"",@progbits
; Kernel info:
; codeLenInByte = 0
; NumSgprs: 6
; NumVgprs: 0
; NumAgprs: 0
; TotalNumVgprs: 0
; ScratchSize: 0
; MemoryBound: 0
; FloatMode: 240
; IeeeMode: 1
; LDSByteSize: 0 bytes/workgroup (compile time only)
; SGPRBlocks: 0
; VGPRBlocks: 0
; NumSGPRsForWavesPerEU: 6
; NumVGPRsForWavesPerEU: 1
; AccumOffset: 4
; Occupancy: 8
; WaveLimiterHint : 0
; COMPUTE_PGM_RSRC2:SCRATCH_EN: 0
; COMPUTE_PGM_RSRC2:USER_SGPR: 2
; COMPUTE_PGM_RSRC2:TRAP_HANDLER: 0
; COMPUTE_PGM_RSRC2:TGID_X_EN: 1
; COMPUTE_PGM_RSRC2:TGID_Y_EN: 0
; COMPUTE_PGM_RSRC2:TGID_Z_EN: 0
; COMPUTE_PGM_RSRC2:TIDIG_COMP_CNT: 0
; COMPUTE_PGM_RSRC3_GFX90A:ACCUM_OFFSET: 0
; COMPUTE_PGM_RSRC3_GFX90A:TG_SPLIT: 0
	.section	.text._ZN7rocprim17ROCPRIM_400000_NS6detail17trampoline_kernelINS0_14default_configENS1_25transform_config_selectorIyLb0EEEZNS1_14transform_implILb0ES3_S5_N6thrust23THRUST_200600_302600_NS6detail15normal_iteratorINS8_10device_ptrIyEEEEPyNS0_8identityIyEEEE10hipError_tT2_T3_mT4_P12ihipStream_tbEUlT_E_NS1_11comp_targetILNS1_3genE0ELNS1_11target_archE4294967295ELNS1_3gpuE0ELNS1_3repE0EEENS1_30default_config_static_selectorELNS0_4arch9wavefront6targetE1EEEvT1_,"axG",@progbits,_ZN7rocprim17ROCPRIM_400000_NS6detail17trampoline_kernelINS0_14default_configENS1_25transform_config_selectorIyLb0EEEZNS1_14transform_implILb0ES3_S5_N6thrust23THRUST_200600_302600_NS6detail15normal_iteratorINS8_10device_ptrIyEEEEPyNS0_8identityIyEEEE10hipError_tT2_T3_mT4_P12ihipStream_tbEUlT_E_NS1_11comp_targetILNS1_3genE0ELNS1_11target_archE4294967295ELNS1_3gpuE0ELNS1_3repE0EEENS1_30default_config_static_selectorELNS0_4arch9wavefront6targetE1EEEvT1_,comdat
	.protected	_ZN7rocprim17ROCPRIM_400000_NS6detail17trampoline_kernelINS0_14default_configENS1_25transform_config_selectorIyLb0EEEZNS1_14transform_implILb0ES3_S5_N6thrust23THRUST_200600_302600_NS6detail15normal_iteratorINS8_10device_ptrIyEEEEPyNS0_8identityIyEEEE10hipError_tT2_T3_mT4_P12ihipStream_tbEUlT_E_NS1_11comp_targetILNS1_3genE0ELNS1_11target_archE4294967295ELNS1_3gpuE0ELNS1_3repE0EEENS1_30default_config_static_selectorELNS0_4arch9wavefront6targetE1EEEvT1_ ; -- Begin function _ZN7rocprim17ROCPRIM_400000_NS6detail17trampoline_kernelINS0_14default_configENS1_25transform_config_selectorIyLb0EEEZNS1_14transform_implILb0ES3_S5_N6thrust23THRUST_200600_302600_NS6detail15normal_iteratorINS8_10device_ptrIyEEEEPyNS0_8identityIyEEEE10hipError_tT2_T3_mT4_P12ihipStream_tbEUlT_E_NS1_11comp_targetILNS1_3genE0ELNS1_11target_archE4294967295ELNS1_3gpuE0ELNS1_3repE0EEENS1_30default_config_static_selectorELNS0_4arch9wavefront6targetE1EEEvT1_
	.globl	_ZN7rocprim17ROCPRIM_400000_NS6detail17trampoline_kernelINS0_14default_configENS1_25transform_config_selectorIyLb0EEEZNS1_14transform_implILb0ES3_S5_N6thrust23THRUST_200600_302600_NS6detail15normal_iteratorINS8_10device_ptrIyEEEEPyNS0_8identityIyEEEE10hipError_tT2_T3_mT4_P12ihipStream_tbEUlT_E_NS1_11comp_targetILNS1_3genE0ELNS1_11target_archE4294967295ELNS1_3gpuE0ELNS1_3repE0EEENS1_30default_config_static_selectorELNS0_4arch9wavefront6targetE1EEEvT1_
	.p2align	8
	.type	_ZN7rocprim17ROCPRIM_400000_NS6detail17trampoline_kernelINS0_14default_configENS1_25transform_config_selectorIyLb0EEEZNS1_14transform_implILb0ES3_S5_N6thrust23THRUST_200600_302600_NS6detail15normal_iteratorINS8_10device_ptrIyEEEEPyNS0_8identityIyEEEE10hipError_tT2_T3_mT4_P12ihipStream_tbEUlT_E_NS1_11comp_targetILNS1_3genE0ELNS1_11target_archE4294967295ELNS1_3gpuE0ELNS1_3repE0EEENS1_30default_config_static_selectorELNS0_4arch9wavefront6targetE1EEEvT1_,@function
_ZN7rocprim17ROCPRIM_400000_NS6detail17trampoline_kernelINS0_14default_configENS1_25transform_config_selectorIyLb0EEEZNS1_14transform_implILb0ES3_S5_N6thrust23THRUST_200600_302600_NS6detail15normal_iteratorINS8_10device_ptrIyEEEEPyNS0_8identityIyEEEE10hipError_tT2_T3_mT4_P12ihipStream_tbEUlT_E_NS1_11comp_targetILNS1_3genE0ELNS1_11target_archE4294967295ELNS1_3gpuE0ELNS1_3repE0EEENS1_30default_config_static_selectorELNS0_4arch9wavefront6targetE1EEEvT1_: ; @_ZN7rocprim17ROCPRIM_400000_NS6detail17trampoline_kernelINS0_14default_configENS1_25transform_config_selectorIyLb0EEEZNS1_14transform_implILb0ES3_S5_N6thrust23THRUST_200600_302600_NS6detail15normal_iteratorINS8_10device_ptrIyEEEEPyNS0_8identityIyEEEE10hipError_tT2_T3_mT4_P12ihipStream_tbEUlT_E_NS1_11comp_targetILNS1_3genE0ELNS1_11target_archE4294967295ELNS1_3gpuE0ELNS1_3repE0EEENS1_30default_config_static_selectorELNS0_4arch9wavefront6targetE1EEEvT1_
; %bb.0:
	.section	.rodata,"a",@progbits
	.p2align	6, 0x0
	.amdhsa_kernel _ZN7rocprim17ROCPRIM_400000_NS6detail17trampoline_kernelINS0_14default_configENS1_25transform_config_selectorIyLb0EEEZNS1_14transform_implILb0ES3_S5_N6thrust23THRUST_200600_302600_NS6detail15normal_iteratorINS8_10device_ptrIyEEEEPyNS0_8identityIyEEEE10hipError_tT2_T3_mT4_P12ihipStream_tbEUlT_E_NS1_11comp_targetILNS1_3genE0ELNS1_11target_archE4294967295ELNS1_3gpuE0ELNS1_3repE0EEENS1_30default_config_static_selectorELNS0_4arch9wavefront6targetE1EEEvT1_
		.amdhsa_group_segment_fixed_size 0
		.amdhsa_private_segment_fixed_size 0
		.amdhsa_kernarg_size 40
		.amdhsa_user_sgpr_count 2
		.amdhsa_user_sgpr_dispatch_ptr 0
		.amdhsa_user_sgpr_queue_ptr 0
		.amdhsa_user_sgpr_kernarg_segment_ptr 1
		.amdhsa_user_sgpr_dispatch_id 0
		.amdhsa_user_sgpr_kernarg_preload_length 0
		.amdhsa_user_sgpr_kernarg_preload_offset 0
		.amdhsa_user_sgpr_private_segment_size 0
		.amdhsa_uses_dynamic_stack 0
		.amdhsa_enable_private_segment 0
		.amdhsa_system_sgpr_workgroup_id_x 1
		.amdhsa_system_sgpr_workgroup_id_y 0
		.amdhsa_system_sgpr_workgroup_id_z 0
		.amdhsa_system_sgpr_workgroup_info 0
		.amdhsa_system_vgpr_workitem_id 0
		.amdhsa_next_free_vgpr 1
		.amdhsa_next_free_sgpr 0
		.amdhsa_accum_offset 4
		.amdhsa_reserve_vcc 0
		.amdhsa_float_round_mode_32 0
		.amdhsa_float_round_mode_16_64 0
		.amdhsa_float_denorm_mode_32 3
		.amdhsa_float_denorm_mode_16_64 3
		.amdhsa_dx10_clamp 1
		.amdhsa_ieee_mode 1
		.amdhsa_fp16_overflow 0
		.amdhsa_tg_split 0
		.amdhsa_exception_fp_ieee_invalid_op 0
		.amdhsa_exception_fp_denorm_src 0
		.amdhsa_exception_fp_ieee_div_zero 0
		.amdhsa_exception_fp_ieee_overflow 0
		.amdhsa_exception_fp_ieee_underflow 0
		.amdhsa_exception_fp_ieee_inexact 0
		.amdhsa_exception_int_div_zero 0
	.end_amdhsa_kernel
	.section	.text._ZN7rocprim17ROCPRIM_400000_NS6detail17trampoline_kernelINS0_14default_configENS1_25transform_config_selectorIyLb0EEEZNS1_14transform_implILb0ES3_S5_N6thrust23THRUST_200600_302600_NS6detail15normal_iteratorINS8_10device_ptrIyEEEEPyNS0_8identityIyEEEE10hipError_tT2_T3_mT4_P12ihipStream_tbEUlT_E_NS1_11comp_targetILNS1_3genE0ELNS1_11target_archE4294967295ELNS1_3gpuE0ELNS1_3repE0EEENS1_30default_config_static_selectorELNS0_4arch9wavefront6targetE1EEEvT1_,"axG",@progbits,_ZN7rocprim17ROCPRIM_400000_NS6detail17trampoline_kernelINS0_14default_configENS1_25transform_config_selectorIyLb0EEEZNS1_14transform_implILb0ES3_S5_N6thrust23THRUST_200600_302600_NS6detail15normal_iteratorINS8_10device_ptrIyEEEEPyNS0_8identityIyEEEE10hipError_tT2_T3_mT4_P12ihipStream_tbEUlT_E_NS1_11comp_targetILNS1_3genE0ELNS1_11target_archE4294967295ELNS1_3gpuE0ELNS1_3repE0EEENS1_30default_config_static_selectorELNS0_4arch9wavefront6targetE1EEEvT1_,comdat
.Lfunc_end855:
	.size	_ZN7rocprim17ROCPRIM_400000_NS6detail17trampoline_kernelINS0_14default_configENS1_25transform_config_selectorIyLb0EEEZNS1_14transform_implILb0ES3_S5_N6thrust23THRUST_200600_302600_NS6detail15normal_iteratorINS8_10device_ptrIyEEEEPyNS0_8identityIyEEEE10hipError_tT2_T3_mT4_P12ihipStream_tbEUlT_E_NS1_11comp_targetILNS1_3genE0ELNS1_11target_archE4294967295ELNS1_3gpuE0ELNS1_3repE0EEENS1_30default_config_static_selectorELNS0_4arch9wavefront6targetE1EEEvT1_, .Lfunc_end855-_ZN7rocprim17ROCPRIM_400000_NS6detail17trampoline_kernelINS0_14default_configENS1_25transform_config_selectorIyLb0EEEZNS1_14transform_implILb0ES3_S5_N6thrust23THRUST_200600_302600_NS6detail15normal_iteratorINS8_10device_ptrIyEEEEPyNS0_8identityIyEEEE10hipError_tT2_T3_mT4_P12ihipStream_tbEUlT_E_NS1_11comp_targetILNS1_3genE0ELNS1_11target_archE4294967295ELNS1_3gpuE0ELNS1_3repE0EEENS1_30default_config_static_selectorELNS0_4arch9wavefront6targetE1EEEvT1_
                                        ; -- End function
	.section	.AMDGPU.csdata,"",@progbits
; Kernel info:
; codeLenInByte = 0
; NumSgprs: 6
; NumVgprs: 0
; NumAgprs: 0
; TotalNumVgprs: 0
; ScratchSize: 0
; MemoryBound: 0
; FloatMode: 240
; IeeeMode: 1
; LDSByteSize: 0 bytes/workgroup (compile time only)
; SGPRBlocks: 0
; VGPRBlocks: 0
; NumSGPRsForWavesPerEU: 6
; NumVGPRsForWavesPerEU: 1
; AccumOffset: 4
; Occupancy: 8
; WaveLimiterHint : 0
; COMPUTE_PGM_RSRC2:SCRATCH_EN: 0
; COMPUTE_PGM_RSRC2:USER_SGPR: 2
; COMPUTE_PGM_RSRC2:TRAP_HANDLER: 0
; COMPUTE_PGM_RSRC2:TGID_X_EN: 1
; COMPUTE_PGM_RSRC2:TGID_Y_EN: 0
; COMPUTE_PGM_RSRC2:TGID_Z_EN: 0
; COMPUTE_PGM_RSRC2:TIDIG_COMP_CNT: 0
; COMPUTE_PGM_RSRC3_GFX90A:ACCUM_OFFSET: 0
; COMPUTE_PGM_RSRC3_GFX90A:TG_SPLIT: 0
	.section	.text._ZN7rocprim17ROCPRIM_400000_NS6detail17trampoline_kernelINS0_14default_configENS1_25transform_config_selectorIyLb0EEEZNS1_14transform_implILb0ES3_S5_N6thrust23THRUST_200600_302600_NS6detail15normal_iteratorINS8_10device_ptrIyEEEEPyNS0_8identityIyEEEE10hipError_tT2_T3_mT4_P12ihipStream_tbEUlT_E_NS1_11comp_targetILNS1_3genE5ELNS1_11target_archE942ELNS1_3gpuE9ELNS1_3repE0EEENS1_30default_config_static_selectorELNS0_4arch9wavefront6targetE1EEEvT1_,"axG",@progbits,_ZN7rocprim17ROCPRIM_400000_NS6detail17trampoline_kernelINS0_14default_configENS1_25transform_config_selectorIyLb0EEEZNS1_14transform_implILb0ES3_S5_N6thrust23THRUST_200600_302600_NS6detail15normal_iteratorINS8_10device_ptrIyEEEEPyNS0_8identityIyEEEE10hipError_tT2_T3_mT4_P12ihipStream_tbEUlT_E_NS1_11comp_targetILNS1_3genE5ELNS1_11target_archE942ELNS1_3gpuE9ELNS1_3repE0EEENS1_30default_config_static_selectorELNS0_4arch9wavefront6targetE1EEEvT1_,comdat
	.protected	_ZN7rocprim17ROCPRIM_400000_NS6detail17trampoline_kernelINS0_14default_configENS1_25transform_config_selectorIyLb0EEEZNS1_14transform_implILb0ES3_S5_N6thrust23THRUST_200600_302600_NS6detail15normal_iteratorINS8_10device_ptrIyEEEEPyNS0_8identityIyEEEE10hipError_tT2_T3_mT4_P12ihipStream_tbEUlT_E_NS1_11comp_targetILNS1_3genE5ELNS1_11target_archE942ELNS1_3gpuE9ELNS1_3repE0EEENS1_30default_config_static_selectorELNS0_4arch9wavefront6targetE1EEEvT1_ ; -- Begin function _ZN7rocprim17ROCPRIM_400000_NS6detail17trampoline_kernelINS0_14default_configENS1_25transform_config_selectorIyLb0EEEZNS1_14transform_implILb0ES3_S5_N6thrust23THRUST_200600_302600_NS6detail15normal_iteratorINS8_10device_ptrIyEEEEPyNS0_8identityIyEEEE10hipError_tT2_T3_mT4_P12ihipStream_tbEUlT_E_NS1_11comp_targetILNS1_3genE5ELNS1_11target_archE942ELNS1_3gpuE9ELNS1_3repE0EEENS1_30default_config_static_selectorELNS0_4arch9wavefront6targetE1EEEvT1_
	.globl	_ZN7rocprim17ROCPRIM_400000_NS6detail17trampoline_kernelINS0_14default_configENS1_25transform_config_selectorIyLb0EEEZNS1_14transform_implILb0ES3_S5_N6thrust23THRUST_200600_302600_NS6detail15normal_iteratorINS8_10device_ptrIyEEEEPyNS0_8identityIyEEEE10hipError_tT2_T3_mT4_P12ihipStream_tbEUlT_E_NS1_11comp_targetILNS1_3genE5ELNS1_11target_archE942ELNS1_3gpuE9ELNS1_3repE0EEENS1_30default_config_static_selectorELNS0_4arch9wavefront6targetE1EEEvT1_
	.p2align	8
	.type	_ZN7rocprim17ROCPRIM_400000_NS6detail17trampoline_kernelINS0_14default_configENS1_25transform_config_selectorIyLb0EEEZNS1_14transform_implILb0ES3_S5_N6thrust23THRUST_200600_302600_NS6detail15normal_iteratorINS8_10device_ptrIyEEEEPyNS0_8identityIyEEEE10hipError_tT2_T3_mT4_P12ihipStream_tbEUlT_E_NS1_11comp_targetILNS1_3genE5ELNS1_11target_archE942ELNS1_3gpuE9ELNS1_3repE0EEENS1_30default_config_static_selectorELNS0_4arch9wavefront6targetE1EEEvT1_,@function
_ZN7rocprim17ROCPRIM_400000_NS6detail17trampoline_kernelINS0_14default_configENS1_25transform_config_selectorIyLb0EEEZNS1_14transform_implILb0ES3_S5_N6thrust23THRUST_200600_302600_NS6detail15normal_iteratorINS8_10device_ptrIyEEEEPyNS0_8identityIyEEEE10hipError_tT2_T3_mT4_P12ihipStream_tbEUlT_E_NS1_11comp_targetILNS1_3genE5ELNS1_11target_archE942ELNS1_3gpuE9ELNS1_3repE0EEENS1_30default_config_static_selectorELNS0_4arch9wavefront6targetE1EEEvT1_: ; @_ZN7rocprim17ROCPRIM_400000_NS6detail17trampoline_kernelINS0_14default_configENS1_25transform_config_selectorIyLb0EEEZNS1_14transform_implILb0ES3_S5_N6thrust23THRUST_200600_302600_NS6detail15normal_iteratorINS8_10device_ptrIyEEEEPyNS0_8identityIyEEEE10hipError_tT2_T3_mT4_P12ihipStream_tbEUlT_E_NS1_11comp_targetILNS1_3genE5ELNS1_11target_archE942ELNS1_3gpuE9ELNS1_3repE0EEENS1_30default_config_static_selectorELNS0_4arch9wavefront6targetE1EEEvT1_
; %bb.0:
	s_load_dwordx8 s[4:11], s[0:1], 0x0
	s_load_dword s3, s[0:1], 0x28
	v_lshlrev_b32_e32 v6, 3, v0
	s_waitcnt lgkmcnt(0)
	s_lshl_b64 s[0:1], s[6:7], 3
	s_add_u32 s6, s4, s0
	s_addc_u32 s7, s5, s1
	s_add_u32 s12, s10, s0
	s_addc_u32 s13, s11, s1
	s_lshl_b32 s0, s2, 10
	s_mov_b32 s1, 0
	s_add_i32 s3, s3, -1
	s_lshl_b64 s[4:5], s[0:1], 3
	s_add_u32 s6, s6, s4
	s_addc_u32 s7, s7, s5
	s_cmp_lg_u32 s2, s3
	s_cbranch_scc0 .LBB856_2
; %bb.1:
	v_mov_b32_e32 v7, 0
	v_lshl_add_u64 v[2:3], s[6:7], 0, v[6:7]
	flat_load_dwordx2 v[10:11], v[2:3]
	v_add_co_u32_e32 v2, vcc, 0x1000, v2
	s_add_u32 s2, s12, s4
	s_nop 0
	v_addc_co_u32_e32 v3, vcc, 0, v3, vcc
	flat_load_dwordx2 v[4:5], v[2:3]
	s_addc_u32 s3, s13, s5
	v_lshl_add_u64 v[8:9], s[2:3], 0, v[6:7]
	s_waitcnt vmcnt(0) lgkmcnt(0)
	global_store_dwordx2 v6, v[10:11], s[2:3]
	s_mov_b64 s[2:3], -1
	s_cbranch_execz .LBB856_3
	s_branch .LBB856_12
.LBB856_2:
	s_mov_b64 s[2:3], 0
                                        ; implicit-def: $vgpr4_vgpr5
                                        ; implicit-def: $vgpr8_vgpr9
.LBB856_3:
	s_sub_i32 s8, s8, s0
	v_cmp_gt_u32_e32 vcc, s8, v0
                                        ; implicit-def: $vgpr2_vgpr3_vgpr4_vgpr5
	s_and_saveexec_b64 s[0:1], vcc
	s_cbranch_execz .LBB856_5
; %bb.4:
	v_mov_b32_e32 v7, 0
	v_lshl_add_u64 v[2:3], s[6:7], 0, v[6:7]
	flat_load_dwordx2 v[2:3], v[2:3]
.LBB856_5:
	s_or_b64 exec, exec, s[0:1]
	v_or_b32_e32 v0, 0x200, v0
	v_cmp_gt_u32_e64 s[0:1], s8, v0
	s_and_saveexec_b64 s[8:9], s[0:1]
	s_cbranch_execz .LBB856_7
; %bb.6:
	v_lshlrev_b32_e32 v0, 3, v0
	v_mov_b32_e32 v1, 0
	v_lshl_add_u64 v[0:1], s[6:7], 0, v[0:1]
	flat_load_dwordx2 v[4:5], v[0:1]
.LBB856_7:
	s_or_b64 exec, exec, s[8:9]
	s_add_u32 s4, s12, s4
	s_addc_u32 s5, s13, s5
	v_mov_b32_e32 v7, 0
	v_lshl_add_u64 v[8:9], s[4:5], 0, v[6:7]
	s_and_saveexec_b64 s[4:5], vcc
	s_cbranch_execz .LBB856_9
; %bb.8:
	s_waitcnt vmcnt(0) lgkmcnt(0)
	global_store_dwordx2 v[8:9], v[2:3], off
.LBB856_9:
	s_or_b64 exec, exec, s[4:5]
	s_and_saveexec_b64 s[4:5], s[0:1]
; %bb.10:
	s_or_b64 s[2:3], s[2:3], exec
; %bb.11:
	s_or_b64 exec, exec, s[4:5]
.LBB856_12:
	s_and_saveexec_b64 s[0:1], s[2:3]
	s_cbranch_execnz .LBB856_14
; %bb.13:
	s_endpgm
.LBB856_14:
	v_add_co_u32_e32 v0, vcc, 0x1000, v8
	s_nop 1
	v_addc_co_u32_e32 v1, vcc, 0, v9, vcc
	s_waitcnt vmcnt(0) lgkmcnt(0)
	global_store_dwordx2 v[0:1], v[4:5], off
	s_endpgm
	.section	.rodata,"a",@progbits
	.p2align	6, 0x0
	.amdhsa_kernel _ZN7rocprim17ROCPRIM_400000_NS6detail17trampoline_kernelINS0_14default_configENS1_25transform_config_selectorIyLb0EEEZNS1_14transform_implILb0ES3_S5_N6thrust23THRUST_200600_302600_NS6detail15normal_iteratorINS8_10device_ptrIyEEEEPyNS0_8identityIyEEEE10hipError_tT2_T3_mT4_P12ihipStream_tbEUlT_E_NS1_11comp_targetILNS1_3genE5ELNS1_11target_archE942ELNS1_3gpuE9ELNS1_3repE0EEENS1_30default_config_static_selectorELNS0_4arch9wavefront6targetE1EEEvT1_
		.amdhsa_group_segment_fixed_size 0
		.amdhsa_private_segment_fixed_size 0
		.amdhsa_kernarg_size 296
		.amdhsa_user_sgpr_count 2
		.amdhsa_user_sgpr_dispatch_ptr 0
		.amdhsa_user_sgpr_queue_ptr 0
		.amdhsa_user_sgpr_kernarg_segment_ptr 1
		.amdhsa_user_sgpr_dispatch_id 0
		.amdhsa_user_sgpr_kernarg_preload_length 0
		.amdhsa_user_sgpr_kernarg_preload_offset 0
		.amdhsa_user_sgpr_private_segment_size 0
		.amdhsa_uses_dynamic_stack 0
		.amdhsa_enable_private_segment 0
		.amdhsa_system_sgpr_workgroup_id_x 1
		.amdhsa_system_sgpr_workgroup_id_y 0
		.amdhsa_system_sgpr_workgroup_id_z 0
		.amdhsa_system_sgpr_workgroup_info 0
		.amdhsa_system_vgpr_workitem_id 0
		.amdhsa_next_free_vgpr 12
		.amdhsa_next_free_sgpr 14
		.amdhsa_accum_offset 12
		.amdhsa_reserve_vcc 1
		.amdhsa_float_round_mode_32 0
		.amdhsa_float_round_mode_16_64 0
		.amdhsa_float_denorm_mode_32 3
		.amdhsa_float_denorm_mode_16_64 3
		.amdhsa_dx10_clamp 1
		.amdhsa_ieee_mode 1
		.amdhsa_fp16_overflow 0
		.amdhsa_tg_split 0
		.amdhsa_exception_fp_ieee_invalid_op 0
		.amdhsa_exception_fp_denorm_src 0
		.amdhsa_exception_fp_ieee_div_zero 0
		.amdhsa_exception_fp_ieee_overflow 0
		.amdhsa_exception_fp_ieee_underflow 0
		.amdhsa_exception_fp_ieee_inexact 0
		.amdhsa_exception_int_div_zero 0
	.end_amdhsa_kernel
	.section	.text._ZN7rocprim17ROCPRIM_400000_NS6detail17trampoline_kernelINS0_14default_configENS1_25transform_config_selectorIyLb0EEEZNS1_14transform_implILb0ES3_S5_N6thrust23THRUST_200600_302600_NS6detail15normal_iteratorINS8_10device_ptrIyEEEEPyNS0_8identityIyEEEE10hipError_tT2_T3_mT4_P12ihipStream_tbEUlT_E_NS1_11comp_targetILNS1_3genE5ELNS1_11target_archE942ELNS1_3gpuE9ELNS1_3repE0EEENS1_30default_config_static_selectorELNS0_4arch9wavefront6targetE1EEEvT1_,"axG",@progbits,_ZN7rocprim17ROCPRIM_400000_NS6detail17trampoline_kernelINS0_14default_configENS1_25transform_config_selectorIyLb0EEEZNS1_14transform_implILb0ES3_S5_N6thrust23THRUST_200600_302600_NS6detail15normal_iteratorINS8_10device_ptrIyEEEEPyNS0_8identityIyEEEE10hipError_tT2_T3_mT4_P12ihipStream_tbEUlT_E_NS1_11comp_targetILNS1_3genE5ELNS1_11target_archE942ELNS1_3gpuE9ELNS1_3repE0EEENS1_30default_config_static_selectorELNS0_4arch9wavefront6targetE1EEEvT1_,comdat
.Lfunc_end856:
	.size	_ZN7rocprim17ROCPRIM_400000_NS6detail17trampoline_kernelINS0_14default_configENS1_25transform_config_selectorIyLb0EEEZNS1_14transform_implILb0ES3_S5_N6thrust23THRUST_200600_302600_NS6detail15normal_iteratorINS8_10device_ptrIyEEEEPyNS0_8identityIyEEEE10hipError_tT2_T3_mT4_P12ihipStream_tbEUlT_E_NS1_11comp_targetILNS1_3genE5ELNS1_11target_archE942ELNS1_3gpuE9ELNS1_3repE0EEENS1_30default_config_static_selectorELNS0_4arch9wavefront6targetE1EEEvT1_, .Lfunc_end856-_ZN7rocprim17ROCPRIM_400000_NS6detail17trampoline_kernelINS0_14default_configENS1_25transform_config_selectorIyLb0EEEZNS1_14transform_implILb0ES3_S5_N6thrust23THRUST_200600_302600_NS6detail15normal_iteratorINS8_10device_ptrIyEEEEPyNS0_8identityIyEEEE10hipError_tT2_T3_mT4_P12ihipStream_tbEUlT_E_NS1_11comp_targetILNS1_3genE5ELNS1_11target_archE942ELNS1_3gpuE9ELNS1_3repE0EEENS1_30default_config_static_selectorELNS0_4arch9wavefront6targetE1EEEvT1_
                                        ; -- End function
	.section	.AMDGPU.csdata,"",@progbits
; Kernel info:
; codeLenInByte = 356
; NumSgprs: 20
; NumVgprs: 12
; NumAgprs: 0
; TotalNumVgprs: 12
; ScratchSize: 0
; MemoryBound: 0
; FloatMode: 240
; IeeeMode: 1
; LDSByteSize: 0 bytes/workgroup (compile time only)
; SGPRBlocks: 2
; VGPRBlocks: 1
; NumSGPRsForWavesPerEU: 20
; NumVGPRsForWavesPerEU: 12
; AccumOffset: 12
; Occupancy: 8
; WaveLimiterHint : 1
; COMPUTE_PGM_RSRC2:SCRATCH_EN: 0
; COMPUTE_PGM_RSRC2:USER_SGPR: 2
; COMPUTE_PGM_RSRC2:TRAP_HANDLER: 0
; COMPUTE_PGM_RSRC2:TGID_X_EN: 1
; COMPUTE_PGM_RSRC2:TGID_Y_EN: 0
; COMPUTE_PGM_RSRC2:TGID_Z_EN: 0
; COMPUTE_PGM_RSRC2:TIDIG_COMP_CNT: 0
; COMPUTE_PGM_RSRC3_GFX90A:ACCUM_OFFSET: 2
; COMPUTE_PGM_RSRC3_GFX90A:TG_SPLIT: 0
	.section	.text._ZN7rocprim17ROCPRIM_400000_NS6detail17trampoline_kernelINS0_14default_configENS1_25transform_config_selectorIyLb0EEEZNS1_14transform_implILb0ES3_S5_N6thrust23THRUST_200600_302600_NS6detail15normal_iteratorINS8_10device_ptrIyEEEEPyNS0_8identityIyEEEE10hipError_tT2_T3_mT4_P12ihipStream_tbEUlT_E_NS1_11comp_targetILNS1_3genE4ELNS1_11target_archE910ELNS1_3gpuE8ELNS1_3repE0EEENS1_30default_config_static_selectorELNS0_4arch9wavefront6targetE1EEEvT1_,"axG",@progbits,_ZN7rocprim17ROCPRIM_400000_NS6detail17trampoline_kernelINS0_14default_configENS1_25transform_config_selectorIyLb0EEEZNS1_14transform_implILb0ES3_S5_N6thrust23THRUST_200600_302600_NS6detail15normal_iteratorINS8_10device_ptrIyEEEEPyNS0_8identityIyEEEE10hipError_tT2_T3_mT4_P12ihipStream_tbEUlT_E_NS1_11comp_targetILNS1_3genE4ELNS1_11target_archE910ELNS1_3gpuE8ELNS1_3repE0EEENS1_30default_config_static_selectorELNS0_4arch9wavefront6targetE1EEEvT1_,comdat
	.protected	_ZN7rocprim17ROCPRIM_400000_NS6detail17trampoline_kernelINS0_14default_configENS1_25transform_config_selectorIyLb0EEEZNS1_14transform_implILb0ES3_S5_N6thrust23THRUST_200600_302600_NS6detail15normal_iteratorINS8_10device_ptrIyEEEEPyNS0_8identityIyEEEE10hipError_tT2_T3_mT4_P12ihipStream_tbEUlT_E_NS1_11comp_targetILNS1_3genE4ELNS1_11target_archE910ELNS1_3gpuE8ELNS1_3repE0EEENS1_30default_config_static_selectorELNS0_4arch9wavefront6targetE1EEEvT1_ ; -- Begin function _ZN7rocprim17ROCPRIM_400000_NS6detail17trampoline_kernelINS0_14default_configENS1_25transform_config_selectorIyLb0EEEZNS1_14transform_implILb0ES3_S5_N6thrust23THRUST_200600_302600_NS6detail15normal_iteratorINS8_10device_ptrIyEEEEPyNS0_8identityIyEEEE10hipError_tT2_T3_mT4_P12ihipStream_tbEUlT_E_NS1_11comp_targetILNS1_3genE4ELNS1_11target_archE910ELNS1_3gpuE8ELNS1_3repE0EEENS1_30default_config_static_selectorELNS0_4arch9wavefront6targetE1EEEvT1_
	.globl	_ZN7rocprim17ROCPRIM_400000_NS6detail17trampoline_kernelINS0_14default_configENS1_25transform_config_selectorIyLb0EEEZNS1_14transform_implILb0ES3_S5_N6thrust23THRUST_200600_302600_NS6detail15normal_iteratorINS8_10device_ptrIyEEEEPyNS0_8identityIyEEEE10hipError_tT2_T3_mT4_P12ihipStream_tbEUlT_E_NS1_11comp_targetILNS1_3genE4ELNS1_11target_archE910ELNS1_3gpuE8ELNS1_3repE0EEENS1_30default_config_static_selectorELNS0_4arch9wavefront6targetE1EEEvT1_
	.p2align	8
	.type	_ZN7rocprim17ROCPRIM_400000_NS6detail17trampoline_kernelINS0_14default_configENS1_25transform_config_selectorIyLb0EEEZNS1_14transform_implILb0ES3_S5_N6thrust23THRUST_200600_302600_NS6detail15normal_iteratorINS8_10device_ptrIyEEEEPyNS0_8identityIyEEEE10hipError_tT2_T3_mT4_P12ihipStream_tbEUlT_E_NS1_11comp_targetILNS1_3genE4ELNS1_11target_archE910ELNS1_3gpuE8ELNS1_3repE0EEENS1_30default_config_static_selectorELNS0_4arch9wavefront6targetE1EEEvT1_,@function
_ZN7rocprim17ROCPRIM_400000_NS6detail17trampoline_kernelINS0_14default_configENS1_25transform_config_selectorIyLb0EEEZNS1_14transform_implILb0ES3_S5_N6thrust23THRUST_200600_302600_NS6detail15normal_iteratorINS8_10device_ptrIyEEEEPyNS0_8identityIyEEEE10hipError_tT2_T3_mT4_P12ihipStream_tbEUlT_E_NS1_11comp_targetILNS1_3genE4ELNS1_11target_archE910ELNS1_3gpuE8ELNS1_3repE0EEENS1_30default_config_static_selectorELNS0_4arch9wavefront6targetE1EEEvT1_: ; @_ZN7rocprim17ROCPRIM_400000_NS6detail17trampoline_kernelINS0_14default_configENS1_25transform_config_selectorIyLb0EEEZNS1_14transform_implILb0ES3_S5_N6thrust23THRUST_200600_302600_NS6detail15normal_iteratorINS8_10device_ptrIyEEEEPyNS0_8identityIyEEEE10hipError_tT2_T3_mT4_P12ihipStream_tbEUlT_E_NS1_11comp_targetILNS1_3genE4ELNS1_11target_archE910ELNS1_3gpuE8ELNS1_3repE0EEENS1_30default_config_static_selectorELNS0_4arch9wavefront6targetE1EEEvT1_
; %bb.0:
	.section	.rodata,"a",@progbits
	.p2align	6, 0x0
	.amdhsa_kernel _ZN7rocprim17ROCPRIM_400000_NS6detail17trampoline_kernelINS0_14default_configENS1_25transform_config_selectorIyLb0EEEZNS1_14transform_implILb0ES3_S5_N6thrust23THRUST_200600_302600_NS6detail15normal_iteratorINS8_10device_ptrIyEEEEPyNS0_8identityIyEEEE10hipError_tT2_T3_mT4_P12ihipStream_tbEUlT_E_NS1_11comp_targetILNS1_3genE4ELNS1_11target_archE910ELNS1_3gpuE8ELNS1_3repE0EEENS1_30default_config_static_selectorELNS0_4arch9wavefront6targetE1EEEvT1_
		.amdhsa_group_segment_fixed_size 0
		.amdhsa_private_segment_fixed_size 0
		.amdhsa_kernarg_size 40
		.amdhsa_user_sgpr_count 2
		.amdhsa_user_sgpr_dispatch_ptr 0
		.amdhsa_user_sgpr_queue_ptr 0
		.amdhsa_user_sgpr_kernarg_segment_ptr 1
		.amdhsa_user_sgpr_dispatch_id 0
		.amdhsa_user_sgpr_kernarg_preload_length 0
		.amdhsa_user_sgpr_kernarg_preload_offset 0
		.amdhsa_user_sgpr_private_segment_size 0
		.amdhsa_uses_dynamic_stack 0
		.amdhsa_enable_private_segment 0
		.amdhsa_system_sgpr_workgroup_id_x 1
		.amdhsa_system_sgpr_workgroup_id_y 0
		.amdhsa_system_sgpr_workgroup_id_z 0
		.amdhsa_system_sgpr_workgroup_info 0
		.amdhsa_system_vgpr_workitem_id 0
		.amdhsa_next_free_vgpr 1
		.amdhsa_next_free_sgpr 0
		.amdhsa_accum_offset 4
		.amdhsa_reserve_vcc 0
		.amdhsa_float_round_mode_32 0
		.amdhsa_float_round_mode_16_64 0
		.amdhsa_float_denorm_mode_32 3
		.amdhsa_float_denorm_mode_16_64 3
		.amdhsa_dx10_clamp 1
		.amdhsa_ieee_mode 1
		.amdhsa_fp16_overflow 0
		.amdhsa_tg_split 0
		.amdhsa_exception_fp_ieee_invalid_op 0
		.amdhsa_exception_fp_denorm_src 0
		.amdhsa_exception_fp_ieee_div_zero 0
		.amdhsa_exception_fp_ieee_overflow 0
		.amdhsa_exception_fp_ieee_underflow 0
		.amdhsa_exception_fp_ieee_inexact 0
		.amdhsa_exception_int_div_zero 0
	.end_amdhsa_kernel
	.section	.text._ZN7rocprim17ROCPRIM_400000_NS6detail17trampoline_kernelINS0_14default_configENS1_25transform_config_selectorIyLb0EEEZNS1_14transform_implILb0ES3_S5_N6thrust23THRUST_200600_302600_NS6detail15normal_iteratorINS8_10device_ptrIyEEEEPyNS0_8identityIyEEEE10hipError_tT2_T3_mT4_P12ihipStream_tbEUlT_E_NS1_11comp_targetILNS1_3genE4ELNS1_11target_archE910ELNS1_3gpuE8ELNS1_3repE0EEENS1_30default_config_static_selectorELNS0_4arch9wavefront6targetE1EEEvT1_,"axG",@progbits,_ZN7rocprim17ROCPRIM_400000_NS6detail17trampoline_kernelINS0_14default_configENS1_25transform_config_selectorIyLb0EEEZNS1_14transform_implILb0ES3_S5_N6thrust23THRUST_200600_302600_NS6detail15normal_iteratorINS8_10device_ptrIyEEEEPyNS0_8identityIyEEEE10hipError_tT2_T3_mT4_P12ihipStream_tbEUlT_E_NS1_11comp_targetILNS1_3genE4ELNS1_11target_archE910ELNS1_3gpuE8ELNS1_3repE0EEENS1_30default_config_static_selectorELNS0_4arch9wavefront6targetE1EEEvT1_,comdat
.Lfunc_end857:
	.size	_ZN7rocprim17ROCPRIM_400000_NS6detail17trampoline_kernelINS0_14default_configENS1_25transform_config_selectorIyLb0EEEZNS1_14transform_implILb0ES3_S5_N6thrust23THRUST_200600_302600_NS6detail15normal_iteratorINS8_10device_ptrIyEEEEPyNS0_8identityIyEEEE10hipError_tT2_T3_mT4_P12ihipStream_tbEUlT_E_NS1_11comp_targetILNS1_3genE4ELNS1_11target_archE910ELNS1_3gpuE8ELNS1_3repE0EEENS1_30default_config_static_selectorELNS0_4arch9wavefront6targetE1EEEvT1_, .Lfunc_end857-_ZN7rocprim17ROCPRIM_400000_NS6detail17trampoline_kernelINS0_14default_configENS1_25transform_config_selectorIyLb0EEEZNS1_14transform_implILb0ES3_S5_N6thrust23THRUST_200600_302600_NS6detail15normal_iteratorINS8_10device_ptrIyEEEEPyNS0_8identityIyEEEE10hipError_tT2_T3_mT4_P12ihipStream_tbEUlT_E_NS1_11comp_targetILNS1_3genE4ELNS1_11target_archE910ELNS1_3gpuE8ELNS1_3repE0EEENS1_30default_config_static_selectorELNS0_4arch9wavefront6targetE1EEEvT1_
                                        ; -- End function
	.section	.AMDGPU.csdata,"",@progbits
; Kernel info:
; codeLenInByte = 0
; NumSgprs: 6
; NumVgprs: 0
; NumAgprs: 0
; TotalNumVgprs: 0
; ScratchSize: 0
; MemoryBound: 0
; FloatMode: 240
; IeeeMode: 1
; LDSByteSize: 0 bytes/workgroup (compile time only)
; SGPRBlocks: 0
; VGPRBlocks: 0
; NumSGPRsForWavesPerEU: 6
; NumVGPRsForWavesPerEU: 1
; AccumOffset: 4
; Occupancy: 8
; WaveLimiterHint : 0
; COMPUTE_PGM_RSRC2:SCRATCH_EN: 0
; COMPUTE_PGM_RSRC2:USER_SGPR: 2
; COMPUTE_PGM_RSRC2:TRAP_HANDLER: 0
; COMPUTE_PGM_RSRC2:TGID_X_EN: 1
; COMPUTE_PGM_RSRC2:TGID_Y_EN: 0
; COMPUTE_PGM_RSRC2:TGID_Z_EN: 0
; COMPUTE_PGM_RSRC2:TIDIG_COMP_CNT: 0
; COMPUTE_PGM_RSRC3_GFX90A:ACCUM_OFFSET: 0
; COMPUTE_PGM_RSRC3_GFX90A:TG_SPLIT: 0
	.section	.text._ZN7rocprim17ROCPRIM_400000_NS6detail17trampoline_kernelINS0_14default_configENS1_25transform_config_selectorIyLb0EEEZNS1_14transform_implILb0ES3_S5_N6thrust23THRUST_200600_302600_NS6detail15normal_iteratorINS8_10device_ptrIyEEEEPyNS0_8identityIyEEEE10hipError_tT2_T3_mT4_P12ihipStream_tbEUlT_E_NS1_11comp_targetILNS1_3genE3ELNS1_11target_archE908ELNS1_3gpuE7ELNS1_3repE0EEENS1_30default_config_static_selectorELNS0_4arch9wavefront6targetE1EEEvT1_,"axG",@progbits,_ZN7rocprim17ROCPRIM_400000_NS6detail17trampoline_kernelINS0_14default_configENS1_25transform_config_selectorIyLb0EEEZNS1_14transform_implILb0ES3_S5_N6thrust23THRUST_200600_302600_NS6detail15normal_iteratorINS8_10device_ptrIyEEEEPyNS0_8identityIyEEEE10hipError_tT2_T3_mT4_P12ihipStream_tbEUlT_E_NS1_11comp_targetILNS1_3genE3ELNS1_11target_archE908ELNS1_3gpuE7ELNS1_3repE0EEENS1_30default_config_static_selectorELNS0_4arch9wavefront6targetE1EEEvT1_,comdat
	.protected	_ZN7rocprim17ROCPRIM_400000_NS6detail17trampoline_kernelINS0_14default_configENS1_25transform_config_selectorIyLb0EEEZNS1_14transform_implILb0ES3_S5_N6thrust23THRUST_200600_302600_NS6detail15normal_iteratorINS8_10device_ptrIyEEEEPyNS0_8identityIyEEEE10hipError_tT2_T3_mT4_P12ihipStream_tbEUlT_E_NS1_11comp_targetILNS1_3genE3ELNS1_11target_archE908ELNS1_3gpuE7ELNS1_3repE0EEENS1_30default_config_static_selectorELNS0_4arch9wavefront6targetE1EEEvT1_ ; -- Begin function _ZN7rocprim17ROCPRIM_400000_NS6detail17trampoline_kernelINS0_14default_configENS1_25transform_config_selectorIyLb0EEEZNS1_14transform_implILb0ES3_S5_N6thrust23THRUST_200600_302600_NS6detail15normal_iteratorINS8_10device_ptrIyEEEEPyNS0_8identityIyEEEE10hipError_tT2_T3_mT4_P12ihipStream_tbEUlT_E_NS1_11comp_targetILNS1_3genE3ELNS1_11target_archE908ELNS1_3gpuE7ELNS1_3repE0EEENS1_30default_config_static_selectorELNS0_4arch9wavefront6targetE1EEEvT1_
	.globl	_ZN7rocprim17ROCPRIM_400000_NS6detail17trampoline_kernelINS0_14default_configENS1_25transform_config_selectorIyLb0EEEZNS1_14transform_implILb0ES3_S5_N6thrust23THRUST_200600_302600_NS6detail15normal_iteratorINS8_10device_ptrIyEEEEPyNS0_8identityIyEEEE10hipError_tT2_T3_mT4_P12ihipStream_tbEUlT_E_NS1_11comp_targetILNS1_3genE3ELNS1_11target_archE908ELNS1_3gpuE7ELNS1_3repE0EEENS1_30default_config_static_selectorELNS0_4arch9wavefront6targetE1EEEvT1_
	.p2align	8
	.type	_ZN7rocprim17ROCPRIM_400000_NS6detail17trampoline_kernelINS0_14default_configENS1_25transform_config_selectorIyLb0EEEZNS1_14transform_implILb0ES3_S5_N6thrust23THRUST_200600_302600_NS6detail15normal_iteratorINS8_10device_ptrIyEEEEPyNS0_8identityIyEEEE10hipError_tT2_T3_mT4_P12ihipStream_tbEUlT_E_NS1_11comp_targetILNS1_3genE3ELNS1_11target_archE908ELNS1_3gpuE7ELNS1_3repE0EEENS1_30default_config_static_selectorELNS0_4arch9wavefront6targetE1EEEvT1_,@function
_ZN7rocprim17ROCPRIM_400000_NS6detail17trampoline_kernelINS0_14default_configENS1_25transform_config_selectorIyLb0EEEZNS1_14transform_implILb0ES3_S5_N6thrust23THRUST_200600_302600_NS6detail15normal_iteratorINS8_10device_ptrIyEEEEPyNS0_8identityIyEEEE10hipError_tT2_T3_mT4_P12ihipStream_tbEUlT_E_NS1_11comp_targetILNS1_3genE3ELNS1_11target_archE908ELNS1_3gpuE7ELNS1_3repE0EEENS1_30default_config_static_selectorELNS0_4arch9wavefront6targetE1EEEvT1_: ; @_ZN7rocprim17ROCPRIM_400000_NS6detail17trampoline_kernelINS0_14default_configENS1_25transform_config_selectorIyLb0EEEZNS1_14transform_implILb0ES3_S5_N6thrust23THRUST_200600_302600_NS6detail15normal_iteratorINS8_10device_ptrIyEEEEPyNS0_8identityIyEEEE10hipError_tT2_T3_mT4_P12ihipStream_tbEUlT_E_NS1_11comp_targetILNS1_3genE3ELNS1_11target_archE908ELNS1_3gpuE7ELNS1_3repE0EEENS1_30default_config_static_selectorELNS0_4arch9wavefront6targetE1EEEvT1_
; %bb.0:
	.section	.rodata,"a",@progbits
	.p2align	6, 0x0
	.amdhsa_kernel _ZN7rocprim17ROCPRIM_400000_NS6detail17trampoline_kernelINS0_14default_configENS1_25transform_config_selectorIyLb0EEEZNS1_14transform_implILb0ES3_S5_N6thrust23THRUST_200600_302600_NS6detail15normal_iteratorINS8_10device_ptrIyEEEEPyNS0_8identityIyEEEE10hipError_tT2_T3_mT4_P12ihipStream_tbEUlT_E_NS1_11comp_targetILNS1_3genE3ELNS1_11target_archE908ELNS1_3gpuE7ELNS1_3repE0EEENS1_30default_config_static_selectorELNS0_4arch9wavefront6targetE1EEEvT1_
		.amdhsa_group_segment_fixed_size 0
		.amdhsa_private_segment_fixed_size 0
		.amdhsa_kernarg_size 40
		.amdhsa_user_sgpr_count 2
		.amdhsa_user_sgpr_dispatch_ptr 0
		.amdhsa_user_sgpr_queue_ptr 0
		.amdhsa_user_sgpr_kernarg_segment_ptr 1
		.amdhsa_user_sgpr_dispatch_id 0
		.amdhsa_user_sgpr_kernarg_preload_length 0
		.amdhsa_user_sgpr_kernarg_preload_offset 0
		.amdhsa_user_sgpr_private_segment_size 0
		.amdhsa_uses_dynamic_stack 0
		.amdhsa_enable_private_segment 0
		.amdhsa_system_sgpr_workgroup_id_x 1
		.amdhsa_system_sgpr_workgroup_id_y 0
		.amdhsa_system_sgpr_workgroup_id_z 0
		.amdhsa_system_sgpr_workgroup_info 0
		.amdhsa_system_vgpr_workitem_id 0
		.amdhsa_next_free_vgpr 1
		.amdhsa_next_free_sgpr 0
		.amdhsa_accum_offset 4
		.amdhsa_reserve_vcc 0
		.amdhsa_float_round_mode_32 0
		.amdhsa_float_round_mode_16_64 0
		.amdhsa_float_denorm_mode_32 3
		.amdhsa_float_denorm_mode_16_64 3
		.amdhsa_dx10_clamp 1
		.amdhsa_ieee_mode 1
		.amdhsa_fp16_overflow 0
		.amdhsa_tg_split 0
		.amdhsa_exception_fp_ieee_invalid_op 0
		.amdhsa_exception_fp_denorm_src 0
		.amdhsa_exception_fp_ieee_div_zero 0
		.amdhsa_exception_fp_ieee_overflow 0
		.amdhsa_exception_fp_ieee_underflow 0
		.amdhsa_exception_fp_ieee_inexact 0
		.amdhsa_exception_int_div_zero 0
	.end_amdhsa_kernel
	.section	.text._ZN7rocprim17ROCPRIM_400000_NS6detail17trampoline_kernelINS0_14default_configENS1_25transform_config_selectorIyLb0EEEZNS1_14transform_implILb0ES3_S5_N6thrust23THRUST_200600_302600_NS6detail15normal_iteratorINS8_10device_ptrIyEEEEPyNS0_8identityIyEEEE10hipError_tT2_T3_mT4_P12ihipStream_tbEUlT_E_NS1_11comp_targetILNS1_3genE3ELNS1_11target_archE908ELNS1_3gpuE7ELNS1_3repE0EEENS1_30default_config_static_selectorELNS0_4arch9wavefront6targetE1EEEvT1_,"axG",@progbits,_ZN7rocprim17ROCPRIM_400000_NS6detail17trampoline_kernelINS0_14default_configENS1_25transform_config_selectorIyLb0EEEZNS1_14transform_implILb0ES3_S5_N6thrust23THRUST_200600_302600_NS6detail15normal_iteratorINS8_10device_ptrIyEEEEPyNS0_8identityIyEEEE10hipError_tT2_T3_mT4_P12ihipStream_tbEUlT_E_NS1_11comp_targetILNS1_3genE3ELNS1_11target_archE908ELNS1_3gpuE7ELNS1_3repE0EEENS1_30default_config_static_selectorELNS0_4arch9wavefront6targetE1EEEvT1_,comdat
.Lfunc_end858:
	.size	_ZN7rocprim17ROCPRIM_400000_NS6detail17trampoline_kernelINS0_14default_configENS1_25transform_config_selectorIyLb0EEEZNS1_14transform_implILb0ES3_S5_N6thrust23THRUST_200600_302600_NS6detail15normal_iteratorINS8_10device_ptrIyEEEEPyNS0_8identityIyEEEE10hipError_tT2_T3_mT4_P12ihipStream_tbEUlT_E_NS1_11comp_targetILNS1_3genE3ELNS1_11target_archE908ELNS1_3gpuE7ELNS1_3repE0EEENS1_30default_config_static_selectorELNS0_4arch9wavefront6targetE1EEEvT1_, .Lfunc_end858-_ZN7rocprim17ROCPRIM_400000_NS6detail17trampoline_kernelINS0_14default_configENS1_25transform_config_selectorIyLb0EEEZNS1_14transform_implILb0ES3_S5_N6thrust23THRUST_200600_302600_NS6detail15normal_iteratorINS8_10device_ptrIyEEEEPyNS0_8identityIyEEEE10hipError_tT2_T3_mT4_P12ihipStream_tbEUlT_E_NS1_11comp_targetILNS1_3genE3ELNS1_11target_archE908ELNS1_3gpuE7ELNS1_3repE0EEENS1_30default_config_static_selectorELNS0_4arch9wavefront6targetE1EEEvT1_
                                        ; -- End function
	.section	.AMDGPU.csdata,"",@progbits
; Kernel info:
; codeLenInByte = 0
; NumSgprs: 6
; NumVgprs: 0
; NumAgprs: 0
; TotalNumVgprs: 0
; ScratchSize: 0
; MemoryBound: 0
; FloatMode: 240
; IeeeMode: 1
; LDSByteSize: 0 bytes/workgroup (compile time only)
; SGPRBlocks: 0
; VGPRBlocks: 0
; NumSGPRsForWavesPerEU: 6
; NumVGPRsForWavesPerEU: 1
; AccumOffset: 4
; Occupancy: 8
; WaveLimiterHint : 0
; COMPUTE_PGM_RSRC2:SCRATCH_EN: 0
; COMPUTE_PGM_RSRC2:USER_SGPR: 2
; COMPUTE_PGM_RSRC2:TRAP_HANDLER: 0
; COMPUTE_PGM_RSRC2:TGID_X_EN: 1
; COMPUTE_PGM_RSRC2:TGID_Y_EN: 0
; COMPUTE_PGM_RSRC2:TGID_Z_EN: 0
; COMPUTE_PGM_RSRC2:TIDIG_COMP_CNT: 0
; COMPUTE_PGM_RSRC3_GFX90A:ACCUM_OFFSET: 0
; COMPUTE_PGM_RSRC3_GFX90A:TG_SPLIT: 0
	.section	.text._ZN7rocprim17ROCPRIM_400000_NS6detail17trampoline_kernelINS0_14default_configENS1_25transform_config_selectorIyLb0EEEZNS1_14transform_implILb0ES3_S5_N6thrust23THRUST_200600_302600_NS6detail15normal_iteratorINS8_10device_ptrIyEEEEPyNS0_8identityIyEEEE10hipError_tT2_T3_mT4_P12ihipStream_tbEUlT_E_NS1_11comp_targetILNS1_3genE2ELNS1_11target_archE906ELNS1_3gpuE6ELNS1_3repE0EEENS1_30default_config_static_selectorELNS0_4arch9wavefront6targetE1EEEvT1_,"axG",@progbits,_ZN7rocprim17ROCPRIM_400000_NS6detail17trampoline_kernelINS0_14default_configENS1_25transform_config_selectorIyLb0EEEZNS1_14transform_implILb0ES3_S5_N6thrust23THRUST_200600_302600_NS6detail15normal_iteratorINS8_10device_ptrIyEEEEPyNS0_8identityIyEEEE10hipError_tT2_T3_mT4_P12ihipStream_tbEUlT_E_NS1_11comp_targetILNS1_3genE2ELNS1_11target_archE906ELNS1_3gpuE6ELNS1_3repE0EEENS1_30default_config_static_selectorELNS0_4arch9wavefront6targetE1EEEvT1_,comdat
	.protected	_ZN7rocprim17ROCPRIM_400000_NS6detail17trampoline_kernelINS0_14default_configENS1_25transform_config_selectorIyLb0EEEZNS1_14transform_implILb0ES3_S5_N6thrust23THRUST_200600_302600_NS6detail15normal_iteratorINS8_10device_ptrIyEEEEPyNS0_8identityIyEEEE10hipError_tT2_T3_mT4_P12ihipStream_tbEUlT_E_NS1_11comp_targetILNS1_3genE2ELNS1_11target_archE906ELNS1_3gpuE6ELNS1_3repE0EEENS1_30default_config_static_selectorELNS0_4arch9wavefront6targetE1EEEvT1_ ; -- Begin function _ZN7rocprim17ROCPRIM_400000_NS6detail17trampoline_kernelINS0_14default_configENS1_25transform_config_selectorIyLb0EEEZNS1_14transform_implILb0ES3_S5_N6thrust23THRUST_200600_302600_NS6detail15normal_iteratorINS8_10device_ptrIyEEEEPyNS0_8identityIyEEEE10hipError_tT2_T3_mT4_P12ihipStream_tbEUlT_E_NS1_11comp_targetILNS1_3genE2ELNS1_11target_archE906ELNS1_3gpuE6ELNS1_3repE0EEENS1_30default_config_static_selectorELNS0_4arch9wavefront6targetE1EEEvT1_
	.globl	_ZN7rocprim17ROCPRIM_400000_NS6detail17trampoline_kernelINS0_14default_configENS1_25transform_config_selectorIyLb0EEEZNS1_14transform_implILb0ES3_S5_N6thrust23THRUST_200600_302600_NS6detail15normal_iteratorINS8_10device_ptrIyEEEEPyNS0_8identityIyEEEE10hipError_tT2_T3_mT4_P12ihipStream_tbEUlT_E_NS1_11comp_targetILNS1_3genE2ELNS1_11target_archE906ELNS1_3gpuE6ELNS1_3repE0EEENS1_30default_config_static_selectorELNS0_4arch9wavefront6targetE1EEEvT1_
	.p2align	8
	.type	_ZN7rocprim17ROCPRIM_400000_NS6detail17trampoline_kernelINS0_14default_configENS1_25transform_config_selectorIyLb0EEEZNS1_14transform_implILb0ES3_S5_N6thrust23THRUST_200600_302600_NS6detail15normal_iteratorINS8_10device_ptrIyEEEEPyNS0_8identityIyEEEE10hipError_tT2_T3_mT4_P12ihipStream_tbEUlT_E_NS1_11comp_targetILNS1_3genE2ELNS1_11target_archE906ELNS1_3gpuE6ELNS1_3repE0EEENS1_30default_config_static_selectorELNS0_4arch9wavefront6targetE1EEEvT1_,@function
_ZN7rocprim17ROCPRIM_400000_NS6detail17trampoline_kernelINS0_14default_configENS1_25transform_config_selectorIyLb0EEEZNS1_14transform_implILb0ES3_S5_N6thrust23THRUST_200600_302600_NS6detail15normal_iteratorINS8_10device_ptrIyEEEEPyNS0_8identityIyEEEE10hipError_tT2_T3_mT4_P12ihipStream_tbEUlT_E_NS1_11comp_targetILNS1_3genE2ELNS1_11target_archE906ELNS1_3gpuE6ELNS1_3repE0EEENS1_30default_config_static_selectorELNS0_4arch9wavefront6targetE1EEEvT1_: ; @_ZN7rocprim17ROCPRIM_400000_NS6detail17trampoline_kernelINS0_14default_configENS1_25transform_config_selectorIyLb0EEEZNS1_14transform_implILb0ES3_S5_N6thrust23THRUST_200600_302600_NS6detail15normal_iteratorINS8_10device_ptrIyEEEEPyNS0_8identityIyEEEE10hipError_tT2_T3_mT4_P12ihipStream_tbEUlT_E_NS1_11comp_targetILNS1_3genE2ELNS1_11target_archE906ELNS1_3gpuE6ELNS1_3repE0EEENS1_30default_config_static_selectorELNS0_4arch9wavefront6targetE1EEEvT1_
; %bb.0:
	.section	.rodata,"a",@progbits
	.p2align	6, 0x0
	.amdhsa_kernel _ZN7rocprim17ROCPRIM_400000_NS6detail17trampoline_kernelINS0_14default_configENS1_25transform_config_selectorIyLb0EEEZNS1_14transform_implILb0ES3_S5_N6thrust23THRUST_200600_302600_NS6detail15normal_iteratorINS8_10device_ptrIyEEEEPyNS0_8identityIyEEEE10hipError_tT2_T3_mT4_P12ihipStream_tbEUlT_E_NS1_11comp_targetILNS1_3genE2ELNS1_11target_archE906ELNS1_3gpuE6ELNS1_3repE0EEENS1_30default_config_static_selectorELNS0_4arch9wavefront6targetE1EEEvT1_
		.amdhsa_group_segment_fixed_size 0
		.amdhsa_private_segment_fixed_size 0
		.amdhsa_kernarg_size 40
		.amdhsa_user_sgpr_count 2
		.amdhsa_user_sgpr_dispatch_ptr 0
		.amdhsa_user_sgpr_queue_ptr 0
		.amdhsa_user_sgpr_kernarg_segment_ptr 1
		.amdhsa_user_sgpr_dispatch_id 0
		.amdhsa_user_sgpr_kernarg_preload_length 0
		.amdhsa_user_sgpr_kernarg_preload_offset 0
		.amdhsa_user_sgpr_private_segment_size 0
		.amdhsa_uses_dynamic_stack 0
		.amdhsa_enable_private_segment 0
		.amdhsa_system_sgpr_workgroup_id_x 1
		.amdhsa_system_sgpr_workgroup_id_y 0
		.amdhsa_system_sgpr_workgroup_id_z 0
		.amdhsa_system_sgpr_workgroup_info 0
		.amdhsa_system_vgpr_workitem_id 0
		.amdhsa_next_free_vgpr 1
		.amdhsa_next_free_sgpr 0
		.amdhsa_accum_offset 4
		.amdhsa_reserve_vcc 0
		.amdhsa_float_round_mode_32 0
		.amdhsa_float_round_mode_16_64 0
		.amdhsa_float_denorm_mode_32 3
		.amdhsa_float_denorm_mode_16_64 3
		.amdhsa_dx10_clamp 1
		.amdhsa_ieee_mode 1
		.amdhsa_fp16_overflow 0
		.amdhsa_tg_split 0
		.amdhsa_exception_fp_ieee_invalid_op 0
		.amdhsa_exception_fp_denorm_src 0
		.amdhsa_exception_fp_ieee_div_zero 0
		.amdhsa_exception_fp_ieee_overflow 0
		.amdhsa_exception_fp_ieee_underflow 0
		.amdhsa_exception_fp_ieee_inexact 0
		.amdhsa_exception_int_div_zero 0
	.end_amdhsa_kernel
	.section	.text._ZN7rocprim17ROCPRIM_400000_NS6detail17trampoline_kernelINS0_14default_configENS1_25transform_config_selectorIyLb0EEEZNS1_14transform_implILb0ES3_S5_N6thrust23THRUST_200600_302600_NS6detail15normal_iteratorINS8_10device_ptrIyEEEEPyNS0_8identityIyEEEE10hipError_tT2_T3_mT4_P12ihipStream_tbEUlT_E_NS1_11comp_targetILNS1_3genE2ELNS1_11target_archE906ELNS1_3gpuE6ELNS1_3repE0EEENS1_30default_config_static_selectorELNS0_4arch9wavefront6targetE1EEEvT1_,"axG",@progbits,_ZN7rocprim17ROCPRIM_400000_NS6detail17trampoline_kernelINS0_14default_configENS1_25transform_config_selectorIyLb0EEEZNS1_14transform_implILb0ES3_S5_N6thrust23THRUST_200600_302600_NS6detail15normal_iteratorINS8_10device_ptrIyEEEEPyNS0_8identityIyEEEE10hipError_tT2_T3_mT4_P12ihipStream_tbEUlT_E_NS1_11comp_targetILNS1_3genE2ELNS1_11target_archE906ELNS1_3gpuE6ELNS1_3repE0EEENS1_30default_config_static_selectorELNS0_4arch9wavefront6targetE1EEEvT1_,comdat
.Lfunc_end859:
	.size	_ZN7rocprim17ROCPRIM_400000_NS6detail17trampoline_kernelINS0_14default_configENS1_25transform_config_selectorIyLb0EEEZNS1_14transform_implILb0ES3_S5_N6thrust23THRUST_200600_302600_NS6detail15normal_iteratorINS8_10device_ptrIyEEEEPyNS0_8identityIyEEEE10hipError_tT2_T3_mT4_P12ihipStream_tbEUlT_E_NS1_11comp_targetILNS1_3genE2ELNS1_11target_archE906ELNS1_3gpuE6ELNS1_3repE0EEENS1_30default_config_static_selectorELNS0_4arch9wavefront6targetE1EEEvT1_, .Lfunc_end859-_ZN7rocprim17ROCPRIM_400000_NS6detail17trampoline_kernelINS0_14default_configENS1_25transform_config_selectorIyLb0EEEZNS1_14transform_implILb0ES3_S5_N6thrust23THRUST_200600_302600_NS6detail15normal_iteratorINS8_10device_ptrIyEEEEPyNS0_8identityIyEEEE10hipError_tT2_T3_mT4_P12ihipStream_tbEUlT_E_NS1_11comp_targetILNS1_3genE2ELNS1_11target_archE906ELNS1_3gpuE6ELNS1_3repE0EEENS1_30default_config_static_selectorELNS0_4arch9wavefront6targetE1EEEvT1_
                                        ; -- End function
	.section	.AMDGPU.csdata,"",@progbits
; Kernel info:
; codeLenInByte = 0
; NumSgprs: 6
; NumVgprs: 0
; NumAgprs: 0
; TotalNumVgprs: 0
; ScratchSize: 0
; MemoryBound: 0
; FloatMode: 240
; IeeeMode: 1
; LDSByteSize: 0 bytes/workgroup (compile time only)
; SGPRBlocks: 0
; VGPRBlocks: 0
; NumSGPRsForWavesPerEU: 6
; NumVGPRsForWavesPerEU: 1
; AccumOffset: 4
; Occupancy: 8
; WaveLimiterHint : 0
; COMPUTE_PGM_RSRC2:SCRATCH_EN: 0
; COMPUTE_PGM_RSRC2:USER_SGPR: 2
; COMPUTE_PGM_RSRC2:TRAP_HANDLER: 0
; COMPUTE_PGM_RSRC2:TGID_X_EN: 1
; COMPUTE_PGM_RSRC2:TGID_Y_EN: 0
; COMPUTE_PGM_RSRC2:TGID_Z_EN: 0
; COMPUTE_PGM_RSRC2:TIDIG_COMP_CNT: 0
; COMPUTE_PGM_RSRC3_GFX90A:ACCUM_OFFSET: 0
; COMPUTE_PGM_RSRC3_GFX90A:TG_SPLIT: 0
	.section	.text._ZN7rocprim17ROCPRIM_400000_NS6detail17trampoline_kernelINS0_14default_configENS1_25transform_config_selectorIyLb0EEEZNS1_14transform_implILb0ES3_S5_N6thrust23THRUST_200600_302600_NS6detail15normal_iteratorINS8_10device_ptrIyEEEEPyNS0_8identityIyEEEE10hipError_tT2_T3_mT4_P12ihipStream_tbEUlT_E_NS1_11comp_targetILNS1_3genE10ELNS1_11target_archE1201ELNS1_3gpuE5ELNS1_3repE0EEENS1_30default_config_static_selectorELNS0_4arch9wavefront6targetE1EEEvT1_,"axG",@progbits,_ZN7rocprim17ROCPRIM_400000_NS6detail17trampoline_kernelINS0_14default_configENS1_25transform_config_selectorIyLb0EEEZNS1_14transform_implILb0ES3_S5_N6thrust23THRUST_200600_302600_NS6detail15normal_iteratorINS8_10device_ptrIyEEEEPyNS0_8identityIyEEEE10hipError_tT2_T3_mT4_P12ihipStream_tbEUlT_E_NS1_11comp_targetILNS1_3genE10ELNS1_11target_archE1201ELNS1_3gpuE5ELNS1_3repE0EEENS1_30default_config_static_selectorELNS0_4arch9wavefront6targetE1EEEvT1_,comdat
	.protected	_ZN7rocprim17ROCPRIM_400000_NS6detail17trampoline_kernelINS0_14default_configENS1_25transform_config_selectorIyLb0EEEZNS1_14transform_implILb0ES3_S5_N6thrust23THRUST_200600_302600_NS6detail15normal_iteratorINS8_10device_ptrIyEEEEPyNS0_8identityIyEEEE10hipError_tT2_T3_mT4_P12ihipStream_tbEUlT_E_NS1_11comp_targetILNS1_3genE10ELNS1_11target_archE1201ELNS1_3gpuE5ELNS1_3repE0EEENS1_30default_config_static_selectorELNS0_4arch9wavefront6targetE1EEEvT1_ ; -- Begin function _ZN7rocprim17ROCPRIM_400000_NS6detail17trampoline_kernelINS0_14default_configENS1_25transform_config_selectorIyLb0EEEZNS1_14transform_implILb0ES3_S5_N6thrust23THRUST_200600_302600_NS6detail15normal_iteratorINS8_10device_ptrIyEEEEPyNS0_8identityIyEEEE10hipError_tT2_T3_mT4_P12ihipStream_tbEUlT_E_NS1_11comp_targetILNS1_3genE10ELNS1_11target_archE1201ELNS1_3gpuE5ELNS1_3repE0EEENS1_30default_config_static_selectorELNS0_4arch9wavefront6targetE1EEEvT1_
	.globl	_ZN7rocprim17ROCPRIM_400000_NS6detail17trampoline_kernelINS0_14default_configENS1_25transform_config_selectorIyLb0EEEZNS1_14transform_implILb0ES3_S5_N6thrust23THRUST_200600_302600_NS6detail15normal_iteratorINS8_10device_ptrIyEEEEPyNS0_8identityIyEEEE10hipError_tT2_T3_mT4_P12ihipStream_tbEUlT_E_NS1_11comp_targetILNS1_3genE10ELNS1_11target_archE1201ELNS1_3gpuE5ELNS1_3repE0EEENS1_30default_config_static_selectorELNS0_4arch9wavefront6targetE1EEEvT1_
	.p2align	8
	.type	_ZN7rocprim17ROCPRIM_400000_NS6detail17trampoline_kernelINS0_14default_configENS1_25transform_config_selectorIyLb0EEEZNS1_14transform_implILb0ES3_S5_N6thrust23THRUST_200600_302600_NS6detail15normal_iteratorINS8_10device_ptrIyEEEEPyNS0_8identityIyEEEE10hipError_tT2_T3_mT4_P12ihipStream_tbEUlT_E_NS1_11comp_targetILNS1_3genE10ELNS1_11target_archE1201ELNS1_3gpuE5ELNS1_3repE0EEENS1_30default_config_static_selectorELNS0_4arch9wavefront6targetE1EEEvT1_,@function
_ZN7rocprim17ROCPRIM_400000_NS6detail17trampoline_kernelINS0_14default_configENS1_25transform_config_selectorIyLb0EEEZNS1_14transform_implILb0ES3_S5_N6thrust23THRUST_200600_302600_NS6detail15normal_iteratorINS8_10device_ptrIyEEEEPyNS0_8identityIyEEEE10hipError_tT2_T3_mT4_P12ihipStream_tbEUlT_E_NS1_11comp_targetILNS1_3genE10ELNS1_11target_archE1201ELNS1_3gpuE5ELNS1_3repE0EEENS1_30default_config_static_selectorELNS0_4arch9wavefront6targetE1EEEvT1_: ; @_ZN7rocprim17ROCPRIM_400000_NS6detail17trampoline_kernelINS0_14default_configENS1_25transform_config_selectorIyLb0EEEZNS1_14transform_implILb0ES3_S5_N6thrust23THRUST_200600_302600_NS6detail15normal_iteratorINS8_10device_ptrIyEEEEPyNS0_8identityIyEEEE10hipError_tT2_T3_mT4_P12ihipStream_tbEUlT_E_NS1_11comp_targetILNS1_3genE10ELNS1_11target_archE1201ELNS1_3gpuE5ELNS1_3repE0EEENS1_30default_config_static_selectorELNS0_4arch9wavefront6targetE1EEEvT1_
; %bb.0:
	.section	.rodata,"a",@progbits
	.p2align	6, 0x0
	.amdhsa_kernel _ZN7rocprim17ROCPRIM_400000_NS6detail17trampoline_kernelINS0_14default_configENS1_25transform_config_selectorIyLb0EEEZNS1_14transform_implILb0ES3_S5_N6thrust23THRUST_200600_302600_NS6detail15normal_iteratorINS8_10device_ptrIyEEEEPyNS0_8identityIyEEEE10hipError_tT2_T3_mT4_P12ihipStream_tbEUlT_E_NS1_11comp_targetILNS1_3genE10ELNS1_11target_archE1201ELNS1_3gpuE5ELNS1_3repE0EEENS1_30default_config_static_selectorELNS0_4arch9wavefront6targetE1EEEvT1_
		.amdhsa_group_segment_fixed_size 0
		.amdhsa_private_segment_fixed_size 0
		.amdhsa_kernarg_size 40
		.amdhsa_user_sgpr_count 2
		.amdhsa_user_sgpr_dispatch_ptr 0
		.amdhsa_user_sgpr_queue_ptr 0
		.amdhsa_user_sgpr_kernarg_segment_ptr 1
		.amdhsa_user_sgpr_dispatch_id 0
		.amdhsa_user_sgpr_kernarg_preload_length 0
		.amdhsa_user_sgpr_kernarg_preload_offset 0
		.amdhsa_user_sgpr_private_segment_size 0
		.amdhsa_uses_dynamic_stack 0
		.amdhsa_enable_private_segment 0
		.amdhsa_system_sgpr_workgroup_id_x 1
		.amdhsa_system_sgpr_workgroup_id_y 0
		.amdhsa_system_sgpr_workgroup_id_z 0
		.amdhsa_system_sgpr_workgroup_info 0
		.amdhsa_system_vgpr_workitem_id 0
		.amdhsa_next_free_vgpr 1
		.amdhsa_next_free_sgpr 0
		.amdhsa_accum_offset 4
		.amdhsa_reserve_vcc 0
		.amdhsa_float_round_mode_32 0
		.amdhsa_float_round_mode_16_64 0
		.amdhsa_float_denorm_mode_32 3
		.amdhsa_float_denorm_mode_16_64 3
		.amdhsa_dx10_clamp 1
		.amdhsa_ieee_mode 1
		.amdhsa_fp16_overflow 0
		.amdhsa_tg_split 0
		.amdhsa_exception_fp_ieee_invalid_op 0
		.amdhsa_exception_fp_denorm_src 0
		.amdhsa_exception_fp_ieee_div_zero 0
		.amdhsa_exception_fp_ieee_overflow 0
		.amdhsa_exception_fp_ieee_underflow 0
		.amdhsa_exception_fp_ieee_inexact 0
		.amdhsa_exception_int_div_zero 0
	.end_amdhsa_kernel
	.section	.text._ZN7rocprim17ROCPRIM_400000_NS6detail17trampoline_kernelINS0_14default_configENS1_25transform_config_selectorIyLb0EEEZNS1_14transform_implILb0ES3_S5_N6thrust23THRUST_200600_302600_NS6detail15normal_iteratorINS8_10device_ptrIyEEEEPyNS0_8identityIyEEEE10hipError_tT2_T3_mT4_P12ihipStream_tbEUlT_E_NS1_11comp_targetILNS1_3genE10ELNS1_11target_archE1201ELNS1_3gpuE5ELNS1_3repE0EEENS1_30default_config_static_selectorELNS0_4arch9wavefront6targetE1EEEvT1_,"axG",@progbits,_ZN7rocprim17ROCPRIM_400000_NS6detail17trampoline_kernelINS0_14default_configENS1_25transform_config_selectorIyLb0EEEZNS1_14transform_implILb0ES3_S5_N6thrust23THRUST_200600_302600_NS6detail15normal_iteratorINS8_10device_ptrIyEEEEPyNS0_8identityIyEEEE10hipError_tT2_T3_mT4_P12ihipStream_tbEUlT_E_NS1_11comp_targetILNS1_3genE10ELNS1_11target_archE1201ELNS1_3gpuE5ELNS1_3repE0EEENS1_30default_config_static_selectorELNS0_4arch9wavefront6targetE1EEEvT1_,comdat
.Lfunc_end860:
	.size	_ZN7rocprim17ROCPRIM_400000_NS6detail17trampoline_kernelINS0_14default_configENS1_25transform_config_selectorIyLb0EEEZNS1_14transform_implILb0ES3_S5_N6thrust23THRUST_200600_302600_NS6detail15normal_iteratorINS8_10device_ptrIyEEEEPyNS0_8identityIyEEEE10hipError_tT2_T3_mT4_P12ihipStream_tbEUlT_E_NS1_11comp_targetILNS1_3genE10ELNS1_11target_archE1201ELNS1_3gpuE5ELNS1_3repE0EEENS1_30default_config_static_selectorELNS0_4arch9wavefront6targetE1EEEvT1_, .Lfunc_end860-_ZN7rocprim17ROCPRIM_400000_NS6detail17trampoline_kernelINS0_14default_configENS1_25transform_config_selectorIyLb0EEEZNS1_14transform_implILb0ES3_S5_N6thrust23THRUST_200600_302600_NS6detail15normal_iteratorINS8_10device_ptrIyEEEEPyNS0_8identityIyEEEE10hipError_tT2_T3_mT4_P12ihipStream_tbEUlT_E_NS1_11comp_targetILNS1_3genE10ELNS1_11target_archE1201ELNS1_3gpuE5ELNS1_3repE0EEENS1_30default_config_static_selectorELNS0_4arch9wavefront6targetE1EEEvT1_
                                        ; -- End function
	.section	.AMDGPU.csdata,"",@progbits
; Kernel info:
; codeLenInByte = 0
; NumSgprs: 6
; NumVgprs: 0
; NumAgprs: 0
; TotalNumVgprs: 0
; ScratchSize: 0
; MemoryBound: 0
; FloatMode: 240
; IeeeMode: 1
; LDSByteSize: 0 bytes/workgroup (compile time only)
; SGPRBlocks: 0
; VGPRBlocks: 0
; NumSGPRsForWavesPerEU: 6
; NumVGPRsForWavesPerEU: 1
; AccumOffset: 4
; Occupancy: 8
; WaveLimiterHint : 0
; COMPUTE_PGM_RSRC2:SCRATCH_EN: 0
; COMPUTE_PGM_RSRC2:USER_SGPR: 2
; COMPUTE_PGM_RSRC2:TRAP_HANDLER: 0
; COMPUTE_PGM_RSRC2:TGID_X_EN: 1
; COMPUTE_PGM_RSRC2:TGID_Y_EN: 0
; COMPUTE_PGM_RSRC2:TGID_Z_EN: 0
; COMPUTE_PGM_RSRC2:TIDIG_COMP_CNT: 0
; COMPUTE_PGM_RSRC3_GFX90A:ACCUM_OFFSET: 0
; COMPUTE_PGM_RSRC3_GFX90A:TG_SPLIT: 0
	.section	.text._ZN7rocprim17ROCPRIM_400000_NS6detail17trampoline_kernelINS0_14default_configENS1_25transform_config_selectorIyLb0EEEZNS1_14transform_implILb0ES3_S5_N6thrust23THRUST_200600_302600_NS6detail15normal_iteratorINS8_10device_ptrIyEEEEPyNS0_8identityIyEEEE10hipError_tT2_T3_mT4_P12ihipStream_tbEUlT_E_NS1_11comp_targetILNS1_3genE10ELNS1_11target_archE1200ELNS1_3gpuE4ELNS1_3repE0EEENS1_30default_config_static_selectorELNS0_4arch9wavefront6targetE1EEEvT1_,"axG",@progbits,_ZN7rocprim17ROCPRIM_400000_NS6detail17trampoline_kernelINS0_14default_configENS1_25transform_config_selectorIyLb0EEEZNS1_14transform_implILb0ES3_S5_N6thrust23THRUST_200600_302600_NS6detail15normal_iteratorINS8_10device_ptrIyEEEEPyNS0_8identityIyEEEE10hipError_tT2_T3_mT4_P12ihipStream_tbEUlT_E_NS1_11comp_targetILNS1_3genE10ELNS1_11target_archE1200ELNS1_3gpuE4ELNS1_3repE0EEENS1_30default_config_static_selectorELNS0_4arch9wavefront6targetE1EEEvT1_,comdat
	.protected	_ZN7rocprim17ROCPRIM_400000_NS6detail17trampoline_kernelINS0_14default_configENS1_25transform_config_selectorIyLb0EEEZNS1_14transform_implILb0ES3_S5_N6thrust23THRUST_200600_302600_NS6detail15normal_iteratorINS8_10device_ptrIyEEEEPyNS0_8identityIyEEEE10hipError_tT2_T3_mT4_P12ihipStream_tbEUlT_E_NS1_11comp_targetILNS1_3genE10ELNS1_11target_archE1200ELNS1_3gpuE4ELNS1_3repE0EEENS1_30default_config_static_selectorELNS0_4arch9wavefront6targetE1EEEvT1_ ; -- Begin function _ZN7rocprim17ROCPRIM_400000_NS6detail17trampoline_kernelINS0_14default_configENS1_25transform_config_selectorIyLb0EEEZNS1_14transform_implILb0ES3_S5_N6thrust23THRUST_200600_302600_NS6detail15normal_iteratorINS8_10device_ptrIyEEEEPyNS0_8identityIyEEEE10hipError_tT2_T3_mT4_P12ihipStream_tbEUlT_E_NS1_11comp_targetILNS1_3genE10ELNS1_11target_archE1200ELNS1_3gpuE4ELNS1_3repE0EEENS1_30default_config_static_selectorELNS0_4arch9wavefront6targetE1EEEvT1_
	.globl	_ZN7rocprim17ROCPRIM_400000_NS6detail17trampoline_kernelINS0_14default_configENS1_25transform_config_selectorIyLb0EEEZNS1_14transform_implILb0ES3_S5_N6thrust23THRUST_200600_302600_NS6detail15normal_iteratorINS8_10device_ptrIyEEEEPyNS0_8identityIyEEEE10hipError_tT2_T3_mT4_P12ihipStream_tbEUlT_E_NS1_11comp_targetILNS1_3genE10ELNS1_11target_archE1200ELNS1_3gpuE4ELNS1_3repE0EEENS1_30default_config_static_selectorELNS0_4arch9wavefront6targetE1EEEvT1_
	.p2align	8
	.type	_ZN7rocprim17ROCPRIM_400000_NS6detail17trampoline_kernelINS0_14default_configENS1_25transform_config_selectorIyLb0EEEZNS1_14transform_implILb0ES3_S5_N6thrust23THRUST_200600_302600_NS6detail15normal_iteratorINS8_10device_ptrIyEEEEPyNS0_8identityIyEEEE10hipError_tT2_T3_mT4_P12ihipStream_tbEUlT_E_NS1_11comp_targetILNS1_3genE10ELNS1_11target_archE1200ELNS1_3gpuE4ELNS1_3repE0EEENS1_30default_config_static_selectorELNS0_4arch9wavefront6targetE1EEEvT1_,@function
_ZN7rocprim17ROCPRIM_400000_NS6detail17trampoline_kernelINS0_14default_configENS1_25transform_config_selectorIyLb0EEEZNS1_14transform_implILb0ES3_S5_N6thrust23THRUST_200600_302600_NS6detail15normal_iteratorINS8_10device_ptrIyEEEEPyNS0_8identityIyEEEE10hipError_tT2_T3_mT4_P12ihipStream_tbEUlT_E_NS1_11comp_targetILNS1_3genE10ELNS1_11target_archE1200ELNS1_3gpuE4ELNS1_3repE0EEENS1_30default_config_static_selectorELNS0_4arch9wavefront6targetE1EEEvT1_: ; @_ZN7rocprim17ROCPRIM_400000_NS6detail17trampoline_kernelINS0_14default_configENS1_25transform_config_selectorIyLb0EEEZNS1_14transform_implILb0ES3_S5_N6thrust23THRUST_200600_302600_NS6detail15normal_iteratorINS8_10device_ptrIyEEEEPyNS0_8identityIyEEEE10hipError_tT2_T3_mT4_P12ihipStream_tbEUlT_E_NS1_11comp_targetILNS1_3genE10ELNS1_11target_archE1200ELNS1_3gpuE4ELNS1_3repE0EEENS1_30default_config_static_selectorELNS0_4arch9wavefront6targetE1EEEvT1_
; %bb.0:
	.section	.rodata,"a",@progbits
	.p2align	6, 0x0
	.amdhsa_kernel _ZN7rocprim17ROCPRIM_400000_NS6detail17trampoline_kernelINS0_14default_configENS1_25transform_config_selectorIyLb0EEEZNS1_14transform_implILb0ES3_S5_N6thrust23THRUST_200600_302600_NS6detail15normal_iteratorINS8_10device_ptrIyEEEEPyNS0_8identityIyEEEE10hipError_tT2_T3_mT4_P12ihipStream_tbEUlT_E_NS1_11comp_targetILNS1_3genE10ELNS1_11target_archE1200ELNS1_3gpuE4ELNS1_3repE0EEENS1_30default_config_static_selectorELNS0_4arch9wavefront6targetE1EEEvT1_
		.amdhsa_group_segment_fixed_size 0
		.amdhsa_private_segment_fixed_size 0
		.amdhsa_kernarg_size 40
		.amdhsa_user_sgpr_count 2
		.amdhsa_user_sgpr_dispatch_ptr 0
		.amdhsa_user_sgpr_queue_ptr 0
		.amdhsa_user_sgpr_kernarg_segment_ptr 1
		.amdhsa_user_sgpr_dispatch_id 0
		.amdhsa_user_sgpr_kernarg_preload_length 0
		.amdhsa_user_sgpr_kernarg_preload_offset 0
		.amdhsa_user_sgpr_private_segment_size 0
		.amdhsa_uses_dynamic_stack 0
		.amdhsa_enable_private_segment 0
		.amdhsa_system_sgpr_workgroup_id_x 1
		.amdhsa_system_sgpr_workgroup_id_y 0
		.amdhsa_system_sgpr_workgroup_id_z 0
		.amdhsa_system_sgpr_workgroup_info 0
		.amdhsa_system_vgpr_workitem_id 0
		.amdhsa_next_free_vgpr 1
		.amdhsa_next_free_sgpr 0
		.amdhsa_accum_offset 4
		.amdhsa_reserve_vcc 0
		.amdhsa_float_round_mode_32 0
		.amdhsa_float_round_mode_16_64 0
		.amdhsa_float_denorm_mode_32 3
		.amdhsa_float_denorm_mode_16_64 3
		.amdhsa_dx10_clamp 1
		.amdhsa_ieee_mode 1
		.amdhsa_fp16_overflow 0
		.amdhsa_tg_split 0
		.amdhsa_exception_fp_ieee_invalid_op 0
		.amdhsa_exception_fp_denorm_src 0
		.amdhsa_exception_fp_ieee_div_zero 0
		.amdhsa_exception_fp_ieee_overflow 0
		.amdhsa_exception_fp_ieee_underflow 0
		.amdhsa_exception_fp_ieee_inexact 0
		.amdhsa_exception_int_div_zero 0
	.end_amdhsa_kernel
	.section	.text._ZN7rocprim17ROCPRIM_400000_NS6detail17trampoline_kernelINS0_14default_configENS1_25transform_config_selectorIyLb0EEEZNS1_14transform_implILb0ES3_S5_N6thrust23THRUST_200600_302600_NS6detail15normal_iteratorINS8_10device_ptrIyEEEEPyNS0_8identityIyEEEE10hipError_tT2_T3_mT4_P12ihipStream_tbEUlT_E_NS1_11comp_targetILNS1_3genE10ELNS1_11target_archE1200ELNS1_3gpuE4ELNS1_3repE0EEENS1_30default_config_static_selectorELNS0_4arch9wavefront6targetE1EEEvT1_,"axG",@progbits,_ZN7rocprim17ROCPRIM_400000_NS6detail17trampoline_kernelINS0_14default_configENS1_25transform_config_selectorIyLb0EEEZNS1_14transform_implILb0ES3_S5_N6thrust23THRUST_200600_302600_NS6detail15normal_iteratorINS8_10device_ptrIyEEEEPyNS0_8identityIyEEEE10hipError_tT2_T3_mT4_P12ihipStream_tbEUlT_E_NS1_11comp_targetILNS1_3genE10ELNS1_11target_archE1200ELNS1_3gpuE4ELNS1_3repE0EEENS1_30default_config_static_selectorELNS0_4arch9wavefront6targetE1EEEvT1_,comdat
.Lfunc_end861:
	.size	_ZN7rocprim17ROCPRIM_400000_NS6detail17trampoline_kernelINS0_14default_configENS1_25transform_config_selectorIyLb0EEEZNS1_14transform_implILb0ES3_S5_N6thrust23THRUST_200600_302600_NS6detail15normal_iteratorINS8_10device_ptrIyEEEEPyNS0_8identityIyEEEE10hipError_tT2_T3_mT4_P12ihipStream_tbEUlT_E_NS1_11comp_targetILNS1_3genE10ELNS1_11target_archE1200ELNS1_3gpuE4ELNS1_3repE0EEENS1_30default_config_static_selectorELNS0_4arch9wavefront6targetE1EEEvT1_, .Lfunc_end861-_ZN7rocprim17ROCPRIM_400000_NS6detail17trampoline_kernelINS0_14default_configENS1_25transform_config_selectorIyLb0EEEZNS1_14transform_implILb0ES3_S5_N6thrust23THRUST_200600_302600_NS6detail15normal_iteratorINS8_10device_ptrIyEEEEPyNS0_8identityIyEEEE10hipError_tT2_T3_mT4_P12ihipStream_tbEUlT_E_NS1_11comp_targetILNS1_3genE10ELNS1_11target_archE1200ELNS1_3gpuE4ELNS1_3repE0EEENS1_30default_config_static_selectorELNS0_4arch9wavefront6targetE1EEEvT1_
                                        ; -- End function
	.section	.AMDGPU.csdata,"",@progbits
; Kernel info:
; codeLenInByte = 0
; NumSgprs: 6
; NumVgprs: 0
; NumAgprs: 0
; TotalNumVgprs: 0
; ScratchSize: 0
; MemoryBound: 0
; FloatMode: 240
; IeeeMode: 1
; LDSByteSize: 0 bytes/workgroup (compile time only)
; SGPRBlocks: 0
; VGPRBlocks: 0
; NumSGPRsForWavesPerEU: 6
; NumVGPRsForWavesPerEU: 1
; AccumOffset: 4
; Occupancy: 8
; WaveLimiterHint : 0
; COMPUTE_PGM_RSRC2:SCRATCH_EN: 0
; COMPUTE_PGM_RSRC2:USER_SGPR: 2
; COMPUTE_PGM_RSRC2:TRAP_HANDLER: 0
; COMPUTE_PGM_RSRC2:TGID_X_EN: 1
; COMPUTE_PGM_RSRC2:TGID_Y_EN: 0
; COMPUTE_PGM_RSRC2:TGID_Z_EN: 0
; COMPUTE_PGM_RSRC2:TIDIG_COMP_CNT: 0
; COMPUTE_PGM_RSRC3_GFX90A:ACCUM_OFFSET: 0
; COMPUTE_PGM_RSRC3_GFX90A:TG_SPLIT: 0
	.section	.text._ZN7rocprim17ROCPRIM_400000_NS6detail17trampoline_kernelINS0_14default_configENS1_25transform_config_selectorIyLb0EEEZNS1_14transform_implILb0ES3_S5_N6thrust23THRUST_200600_302600_NS6detail15normal_iteratorINS8_10device_ptrIyEEEEPyNS0_8identityIyEEEE10hipError_tT2_T3_mT4_P12ihipStream_tbEUlT_E_NS1_11comp_targetILNS1_3genE9ELNS1_11target_archE1100ELNS1_3gpuE3ELNS1_3repE0EEENS1_30default_config_static_selectorELNS0_4arch9wavefront6targetE1EEEvT1_,"axG",@progbits,_ZN7rocprim17ROCPRIM_400000_NS6detail17trampoline_kernelINS0_14default_configENS1_25transform_config_selectorIyLb0EEEZNS1_14transform_implILb0ES3_S5_N6thrust23THRUST_200600_302600_NS6detail15normal_iteratorINS8_10device_ptrIyEEEEPyNS0_8identityIyEEEE10hipError_tT2_T3_mT4_P12ihipStream_tbEUlT_E_NS1_11comp_targetILNS1_3genE9ELNS1_11target_archE1100ELNS1_3gpuE3ELNS1_3repE0EEENS1_30default_config_static_selectorELNS0_4arch9wavefront6targetE1EEEvT1_,comdat
	.protected	_ZN7rocprim17ROCPRIM_400000_NS6detail17trampoline_kernelINS0_14default_configENS1_25transform_config_selectorIyLb0EEEZNS1_14transform_implILb0ES3_S5_N6thrust23THRUST_200600_302600_NS6detail15normal_iteratorINS8_10device_ptrIyEEEEPyNS0_8identityIyEEEE10hipError_tT2_T3_mT4_P12ihipStream_tbEUlT_E_NS1_11comp_targetILNS1_3genE9ELNS1_11target_archE1100ELNS1_3gpuE3ELNS1_3repE0EEENS1_30default_config_static_selectorELNS0_4arch9wavefront6targetE1EEEvT1_ ; -- Begin function _ZN7rocprim17ROCPRIM_400000_NS6detail17trampoline_kernelINS0_14default_configENS1_25transform_config_selectorIyLb0EEEZNS1_14transform_implILb0ES3_S5_N6thrust23THRUST_200600_302600_NS6detail15normal_iteratorINS8_10device_ptrIyEEEEPyNS0_8identityIyEEEE10hipError_tT2_T3_mT4_P12ihipStream_tbEUlT_E_NS1_11comp_targetILNS1_3genE9ELNS1_11target_archE1100ELNS1_3gpuE3ELNS1_3repE0EEENS1_30default_config_static_selectorELNS0_4arch9wavefront6targetE1EEEvT1_
	.globl	_ZN7rocprim17ROCPRIM_400000_NS6detail17trampoline_kernelINS0_14default_configENS1_25transform_config_selectorIyLb0EEEZNS1_14transform_implILb0ES3_S5_N6thrust23THRUST_200600_302600_NS6detail15normal_iteratorINS8_10device_ptrIyEEEEPyNS0_8identityIyEEEE10hipError_tT2_T3_mT4_P12ihipStream_tbEUlT_E_NS1_11comp_targetILNS1_3genE9ELNS1_11target_archE1100ELNS1_3gpuE3ELNS1_3repE0EEENS1_30default_config_static_selectorELNS0_4arch9wavefront6targetE1EEEvT1_
	.p2align	8
	.type	_ZN7rocprim17ROCPRIM_400000_NS6detail17trampoline_kernelINS0_14default_configENS1_25transform_config_selectorIyLb0EEEZNS1_14transform_implILb0ES3_S5_N6thrust23THRUST_200600_302600_NS6detail15normal_iteratorINS8_10device_ptrIyEEEEPyNS0_8identityIyEEEE10hipError_tT2_T3_mT4_P12ihipStream_tbEUlT_E_NS1_11comp_targetILNS1_3genE9ELNS1_11target_archE1100ELNS1_3gpuE3ELNS1_3repE0EEENS1_30default_config_static_selectorELNS0_4arch9wavefront6targetE1EEEvT1_,@function
_ZN7rocprim17ROCPRIM_400000_NS6detail17trampoline_kernelINS0_14default_configENS1_25transform_config_selectorIyLb0EEEZNS1_14transform_implILb0ES3_S5_N6thrust23THRUST_200600_302600_NS6detail15normal_iteratorINS8_10device_ptrIyEEEEPyNS0_8identityIyEEEE10hipError_tT2_T3_mT4_P12ihipStream_tbEUlT_E_NS1_11comp_targetILNS1_3genE9ELNS1_11target_archE1100ELNS1_3gpuE3ELNS1_3repE0EEENS1_30default_config_static_selectorELNS0_4arch9wavefront6targetE1EEEvT1_: ; @_ZN7rocprim17ROCPRIM_400000_NS6detail17trampoline_kernelINS0_14default_configENS1_25transform_config_selectorIyLb0EEEZNS1_14transform_implILb0ES3_S5_N6thrust23THRUST_200600_302600_NS6detail15normal_iteratorINS8_10device_ptrIyEEEEPyNS0_8identityIyEEEE10hipError_tT2_T3_mT4_P12ihipStream_tbEUlT_E_NS1_11comp_targetILNS1_3genE9ELNS1_11target_archE1100ELNS1_3gpuE3ELNS1_3repE0EEENS1_30default_config_static_selectorELNS0_4arch9wavefront6targetE1EEEvT1_
; %bb.0:
	.section	.rodata,"a",@progbits
	.p2align	6, 0x0
	.amdhsa_kernel _ZN7rocprim17ROCPRIM_400000_NS6detail17trampoline_kernelINS0_14default_configENS1_25transform_config_selectorIyLb0EEEZNS1_14transform_implILb0ES3_S5_N6thrust23THRUST_200600_302600_NS6detail15normal_iteratorINS8_10device_ptrIyEEEEPyNS0_8identityIyEEEE10hipError_tT2_T3_mT4_P12ihipStream_tbEUlT_E_NS1_11comp_targetILNS1_3genE9ELNS1_11target_archE1100ELNS1_3gpuE3ELNS1_3repE0EEENS1_30default_config_static_selectorELNS0_4arch9wavefront6targetE1EEEvT1_
		.amdhsa_group_segment_fixed_size 0
		.amdhsa_private_segment_fixed_size 0
		.amdhsa_kernarg_size 40
		.amdhsa_user_sgpr_count 2
		.amdhsa_user_sgpr_dispatch_ptr 0
		.amdhsa_user_sgpr_queue_ptr 0
		.amdhsa_user_sgpr_kernarg_segment_ptr 1
		.amdhsa_user_sgpr_dispatch_id 0
		.amdhsa_user_sgpr_kernarg_preload_length 0
		.amdhsa_user_sgpr_kernarg_preload_offset 0
		.amdhsa_user_sgpr_private_segment_size 0
		.amdhsa_uses_dynamic_stack 0
		.amdhsa_enable_private_segment 0
		.amdhsa_system_sgpr_workgroup_id_x 1
		.amdhsa_system_sgpr_workgroup_id_y 0
		.amdhsa_system_sgpr_workgroup_id_z 0
		.amdhsa_system_sgpr_workgroup_info 0
		.amdhsa_system_vgpr_workitem_id 0
		.amdhsa_next_free_vgpr 1
		.amdhsa_next_free_sgpr 0
		.amdhsa_accum_offset 4
		.amdhsa_reserve_vcc 0
		.amdhsa_float_round_mode_32 0
		.amdhsa_float_round_mode_16_64 0
		.amdhsa_float_denorm_mode_32 3
		.amdhsa_float_denorm_mode_16_64 3
		.amdhsa_dx10_clamp 1
		.amdhsa_ieee_mode 1
		.amdhsa_fp16_overflow 0
		.amdhsa_tg_split 0
		.amdhsa_exception_fp_ieee_invalid_op 0
		.amdhsa_exception_fp_denorm_src 0
		.amdhsa_exception_fp_ieee_div_zero 0
		.amdhsa_exception_fp_ieee_overflow 0
		.amdhsa_exception_fp_ieee_underflow 0
		.amdhsa_exception_fp_ieee_inexact 0
		.amdhsa_exception_int_div_zero 0
	.end_amdhsa_kernel
	.section	.text._ZN7rocprim17ROCPRIM_400000_NS6detail17trampoline_kernelINS0_14default_configENS1_25transform_config_selectorIyLb0EEEZNS1_14transform_implILb0ES3_S5_N6thrust23THRUST_200600_302600_NS6detail15normal_iteratorINS8_10device_ptrIyEEEEPyNS0_8identityIyEEEE10hipError_tT2_T3_mT4_P12ihipStream_tbEUlT_E_NS1_11comp_targetILNS1_3genE9ELNS1_11target_archE1100ELNS1_3gpuE3ELNS1_3repE0EEENS1_30default_config_static_selectorELNS0_4arch9wavefront6targetE1EEEvT1_,"axG",@progbits,_ZN7rocprim17ROCPRIM_400000_NS6detail17trampoline_kernelINS0_14default_configENS1_25transform_config_selectorIyLb0EEEZNS1_14transform_implILb0ES3_S5_N6thrust23THRUST_200600_302600_NS6detail15normal_iteratorINS8_10device_ptrIyEEEEPyNS0_8identityIyEEEE10hipError_tT2_T3_mT4_P12ihipStream_tbEUlT_E_NS1_11comp_targetILNS1_3genE9ELNS1_11target_archE1100ELNS1_3gpuE3ELNS1_3repE0EEENS1_30default_config_static_selectorELNS0_4arch9wavefront6targetE1EEEvT1_,comdat
.Lfunc_end862:
	.size	_ZN7rocprim17ROCPRIM_400000_NS6detail17trampoline_kernelINS0_14default_configENS1_25transform_config_selectorIyLb0EEEZNS1_14transform_implILb0ES3_S5_N6thrust23THRUST_200600_302600_NS6detail15normal_iteratorINS8_10device_ptrIyEEEEPyNS0_8identityIyEEEE10hipError_tT2_T3_mT4_P12ihipStream_tbEUlT_E_NS1_11comp_targetILNS1_3genE9ELNS1_11target_archE1100ELNS1_3gpuE3ELNS1_3repE0EEENS1_30default_config_static_selectorELNS0_4arch9wavefront6targetE1EEEvT1_, .Lfunc_end862-_ZN7rocprim17ROCPRIM_400000_NS6detail17trampoline_kernelINS0_14default_configENS1_25transform_config_selectorIyLb0EEEZNS1_14transform_implILb0ES3_S5_N6thrust23THRUST_200600_302600_NS6detail15normal_iteratorINS8_10device_ptrIyEEEEPyNS0_8identityIyEEEE10hipError_tT2_T3_mT4_P12ihipStream_tbEUlT_E_NS1_11comp_targetILNS1_3genE9ELNS1_11target_archE1100ELNS1_3gpuE3ELNS1_3repE0EEENS1_30default_config_static_selectorELNS0_4arch9wavefront6targetE1EEEvT1_
                                        ; -- End function
	.section	.AMDGPU.csdata,"",@progbits
; Kernel info:
; codeLenInByte = 0
; NumSgprs: 6
; NumVgprs: 0
; NumAgprs: 0
; TotalNumVgprs: 0
; ScratchSize: 0
; MemoryBound: 0
; FloatMode: 240
; IeeeMode: 1
; LDSByteSize: 0 bytes/workgroup (compile time only)
; SGPRBlocks: 0
; VGPRBlocks: 0
; NumSGPRsForWavesPerEU: 6
; NumVGPRsForWavesPerEU: 1
; AccumOffset: 4
; Occupancy: 8
; WaveLimiterHint : 0
; COMPUTE_PGM_RSRC2:SCRATCH_EN: 0
; COMPUTE_PGM_RSRC2:USER_SGPR: 2
; COMPUTE_PGM_RSRC2:TRAP_HANDLER: 0
; COMPUTE_PGM_RSRC2:TGID_X_EN: 1
; COMPUTE_PGM_RSRC2:TGID_Y_EN: 0
; COMPUTE_PGM_RSRC2:TGID_Z_EN: 0
; COMPUTE_PGM_RSRC2:TIDIG_COMP_CNT: 0
; COMPUTE_PGM_RSRC3_GFX90A:ACCUM_OFFSET: 0
; COMPUTE_PGM_RSRC3_GFX90A:TG_SPLIT: 0
	.section	.text._ZN7rocprim17ROCPRIM_400000_NS6detail17trampoline_kernelINS0_14default_configENS1_25transform_config_selectorIyLb0EEEZNS1_14transform_implILb0ES3_S5_N6thrust23THRUST_200600_302600_NS6detail15normal_iteratorINS8_10device_ptrIyEEEEPyNS0_8identityIyEEEE10hipError_tT2_T3_mT4_P12ihipStream_tbEUlT_E_NS1_11comp_targetILNS1_3genE8ELNS1_11target_archE1030ELNS1_3gpuE2ELNS1_3repE0EEENS1_30default_config_static_selectorELNS0_4arch9wavefront6targetE1EEEvT1_,"axG",@progbits,_ZN7rocprim17ROCPRIM_400000_NS6detail17trampoline_kernelINS0_14default_configENS1_25transform_config_selectorIyLb0EEEZNS1_14transform_implILb0ES3_S5_N6thrust23THRUST_200600_302600_NS6detail15normal_iteratorINS8_10device_ptrIyEEEEPyNS0_8identityIyEEEE10hipError_tT2_T3_mT4_P12ihipStream_tbEUlT_E_NS1_11comp_targetILNS1_3genE8ELNS1_11target_archE1030ELNS1_3gpuE2ELNS1_3repE0EEENS1_30default_config_static_selectorELNS0_4arch9wavefront6targetE1EEEvT1_,comdat
	.protected	_ZN7rocprim17ROCPRIM_400000_NS6detail17trampoline_kernelINS0_14default_configENS1_25transform_config_selectorIyLb0EEEZNS1_14transform_implILb0ES3_S5_N6thrust23THRUST_200600_302600_NS6detail15normal_iteratorINS8_10device_ptrIyEEEEPyNS0_8identityIyEEEE10hipError_tT2_T3_mT4_P12ihipStream_tbEUlT_E_NS1_11comp_targetILNS1_3genE8ELNS1_11target_archE1030ELNS1_3gpuE2ELNS1_3repE0EEENS1_30default_config_static_selectorELNS0_4arch9wavefront6targetE1EEEvT1_ ; -- Begin function _ZN7rocprim17ROCPRIM_400000_NS6detail17trampoline_kernelINS0_14default_configENS1_25transform_config_selectorIyLb0EEEZNS1_14transform_implILb0ES3_S5_N6thrust23THRUST_200600_302600_NS6detail15normal_iteratorINS8_10device_ptrIyEEEEPyNS0_8identityIyEEEE10hipError_tT2_T3_mT4_P12ihipStream_tbEUlT_E_NS1_11comp_targetILNS1_3genE8ELNS1_11target_archE1030ELNS1_3gpuE2ELNS1_3repE0EEENS1_30default_config_static_selectorELNS0_4arch9wavefront6targetE1EEEvT1_
	.globl	_ZN7rocprim17ROCPRIM_400000_NS6detail17trampoline_kernelINS0_14default_configENS1_25transform_config_selectorIyLb0EEEZNS1_14transform_implILb0ES3_S5_N6thrust23THRUST_200600_302600_NS6detail15normal_iteratorINS8_10device_ptrIyEEEEPyNS0_8identityIyEEEE10hipError_tT2_T3_mT4_P12ihipStream_tbEUlT_E_NS1_11comp_targetILNS1_3genE8ELNS1_11target_archE1030ELNS1_3gpuE2ELNS1_3repE0EEENS1_30default_config_static_selectorELNS0_4arch9wavefront6targetE1EEEvT1_
	.p2align	8
	.type	_ZN7rocprim17ROCPRIM_400000_NS6detail17trampoline_kernelINS0_14default_configENS1_25transform_config_selectorIyLb0EEEZNS1_14transform_implILb0ES3_S5_N6thrust23THRUST_200600_302600_NS6detail15normal_iteratorINS8_10device_ptrIyEEEEPyNS0_8identityIyEEEE10hipError_tT2_T3_mT4_P12ihipStream_tbEUlT_E_NS1_11comp_targetILNS1_3genE8ELNS1_11target_archE1030ELNS1_3gpuE2ELNS1_3repE0EEENS1_30default_config_static_selectorELNS0_4arch9wavefront6targetE1EEEvT1_,@function
_ZN7rocprim17ROCPRIM_400000_NS6detail17trampoline_kernelINS0_14default_configENS1_25transform_config_selectorIyLb0EEEZNS1_14transform_implILb0ES3_S5_N6thrust23THRUST_200600_302600_NS6detail15normal_iteratorINS8_10device_ptrIyEEEEPyNS0_8identityIyEEEE10hipError_tT2_T3_mT4_P12ihipStream_tbEUlT_E_NS1_11comp_targetILNS1_3genE8ELNS1_11target_archE1030ELNS1_3gpuE2ELNS1_3repE0EEENS1_30default_config_static_selectorELNS0_4arch9wavefront6targetE1EEEvT1_: ; @_ZN7rocprim17ROCPRIM_400000_NS6detail17trampoline_kernelINS0_14default_configENS1_25transform_config_selectorIyLb0EEEZNS1_14transform_implILb0ES3_S5_N6thrust23THRUST_200600_302600_NS6detail15normal_iteratorINS8_10device_ptrIyEEEEPyNS0_8identityIyEEEE10hipError_tT2_T3_mT4_P12ihipStream_tbEUlT_E_NS1_11comp_targetILNS1_3genE8ELNS1_11target_archE1030ELNS1_3gpuE2ELNS1_3repE0EEENS1_30default_config_static_selectorELNS0_4arch9wavefront6targetE1EEEvT1_
; %bb.0:
	.section	.rodata,"a",@progbits
	.p2align	6, 0x0
	.amdhsa_kernel _ZN7rocprim17ROCPRIM_400000_NS6detail17trampoline_kernelINS0_14default_configENS1_25transform_config_selectorIyLb0EEEZNS1_14transform_implILb0ES3_S5_N6thrust23THRUST_200600_302600_NS6detail15normal_iteratorINS8_10device_ptrIyEEEEPyNS0_8identityIyEEEE10hipError_tT2_T3_mT4_P12ihipStream_tbEUlT_E_NS1_11comp_targetILNS1_3genE8ELNS1_11target_archE1030ELNS1_3gpuE2ELNS1_3repE0EEENS1_30default_config_static_selectorELNS0_4arch9wavefront6targetE1EEEvT1_
		.amdhsa_group_segment_fixed_size 0
		.amdhsa_private_segment_fixed_size 0
		.amdhsa_kernarg_size 40
		.amdhsa_user_sgpr_count 2
		.amdhsa_user_sgpr_dispatch_ptr 0
		.amdhsa_user_sgpr_queue_ptr 0
		.amdhsa_user_sgpr_kernarg_segment_ptr 1
		.amdhsa_user_sgpr_dispatch_id 0
		.amdhsa_user_sgpr_kernarg_preload_length 0
		.amdhsa_user_sgpr_kernarg_preload_offset 0
		.amdhsa_user_sgpr_private_segment_size 0
		.amdhsa_uses_dynamic_stack 0
		.amdhsa_enable_private_segment 0
		.amdhsa_system_sgpr_workgroup_id_x 1
		.amdhsa_system_sgpr_workgroup_id_y 0
		.amdhsa_system_sgpr_workgroup_id_z 0
		.amdhsa_system_sgpr_workgroup_info 0
		.amdhsa_system_vgpr_workitem_id 0
		.amdhsa_next_free_vgpr 1
		.amdhsa_next_free_sgpr 0
		.amdhsa_accum_offset 4
		.amdhsa_reserve_vcc 0
		.amdhsa_float_round_mode_32 0
		.amdhsa_float_round_mode_16_64 0
		.amdhsa_float_denorm_mode_32 3
		.amdhsa_float_denorm_mode_16_64 3
		.amdhsa_dx10_clamp 1
		.amdhsa_ieee_mode 1
		.amdhsa_fp16_overflow 0
		.amdhsa_tg_split 0
		.amdhsa_exception_fp_ieee_invalid_op 0
		.amdhsa_exception_fp_denorm_src 0
		.amdhsa_exception_fp_ieee_div_zero 0
		.amdhsa_exception_fp_ieee_overflow 0
		.amdhsa_exception_fp_ieee_underflow 0
		.amdhsa_exception_fp_ieee_inexact 0
		.amdhsa_exception_int_div_zero 0
	.end_amdhsa_kernel
	.section	.text._ZN7rocprim17ROCPRIM_400000_NS6detail17trampoline_kernelINS0_14default_configENS1_25transform_config_selectorIyLb0EEEZNS1_14transform_implILb0ES3_S5_N6thrust23THRUST_200600_302600_NS6detail15normal_iteratorINS8_10device_ptrIyEEEEPyNS0_8identityIyEEEE10hipError_tT2_T3_mT4_P12ihipStream_tbEUlT_E_NS1_11comp_targetILNS1_3genE8ELNS1_11target_archE1030ELNS1_3gpuE2ELNS1_3repE0EEENS1_30default_config_static_selectorELNS0_4arch9wavefront6targetE1EEEvT1_,"axG",@progbits,_ZN7rocprim17ROCPRIM_400000_NS6detail17trampoline_kernelINS0_14default_configENS1_25transform_config_selectorIyLb0EEEZNS1_14transform_implILb0ES3_S5_N6thrust23THRUST_200600_302600_NS6detail15normal_iteratorINS8_10device_ptrIyEEEEPyNS0_8identityIyEEEE10hipError_tT2_T3_mT4_P12ihipStream_tbEUlT_E_NS1_11comp_targetILNS1_3genE8ELNS1_11target_archE1030ELNS1_3gpuE2ELNS1_3repE0EEENS1_30default_config_static_selectorELNS0_4arch9wavefront6targetE1EEEvT1_,comdat
.Lfunc_end863:
	.size	_ZN7rocprim17ROCPRIM_400000_NS6detail17trampoline_kernelINS0_14default_configENS1_25transform_config_selectorIyLb0EEEZNS1_14transform_implILb0ES3_S5_N6thrust23THRUST_200600_302600_NS6detail15normal_iteratorINS8_10device_ptrIyEEEEPyNS0_8identityIyEEEE10hipError_tT2_T3_mT4_P12ihipStream_tbEUlT_E_NS1_11comp_targetILNS1_3genE8ELNS1_11target_archE1030ELNS1_3gpuE2ELNS1_3repE0EEENS1_30default_config_static_selectorELNS0_4arch9wavefront6targetE1EEEvT1_, .Lfunc_end863-_ZN7rocprim17ROCPRIM_400000_NS6detail17trampoline_kernelINS0_14default_configENS1_25transform_config_selectorIyLb0EEEZNS1_14transform_implILb0ES3_S5_N6thrust23THRUST_200600_302600_NS6detail15normal_iteratorINS8_10device_ptrIyEEEEPyNS0_8identityIyEEEE10hipError_tT2_T3_mT4_P12ihipStream_tbEUlT_E_NS1_11comp_targetILNS1_3genE8ELNS1_11target_archE1030ELNS1_3gpuE2ELNS1_3repE0EEENS1_30default_config_static_selectorELNS0_4arch9wavefront6targetE1EEEvT1_
                                        ; -- End function
	.section	.AMDGPU.csdata,"",@progbits
; Kernel info:
; codeLenInByte = 0
; NumSgprs: 6
; NumVgprs: 0
; NumAgprs: 0
; TotalNumVgprs: 0
; ScratchSize: 0
; MemoryBound: 0
; FloatMode: 240
; IeeeMode: 1
; LDSByteSize: 0 bytes/workgroup (compile time only)
; SGPRBlocks: 0
; VGPRBlocks: 0
; NumSGPRsForWavesPerEU: 6
; NumVGPRsForWavesPerEU: 1
; AccumOffset: 4
; Occupancy: 8
; WaveLimiterHint : 0
; COMPUTE_PGM_RSRC2:SCRATCH_EN: 0
; COMPUTE_PGM_RSRC2:USER_SGPR: 2
; COMPUTE_PGM_RSRC2:TRAP_HANDLER: 0
; COMPUTE_PGM_RSRC2:TGID_X_EN: 1
; COMPUTE_PGM_RSRC2:TGID_Y_EN: 0
; COMPUTE_PGM_RSRC2:TGID_Z_EN: 0
; COMPUTE_PGM_RSRC2:TIDIG_COMP_CNT: 0
; COMPUTE_PGM_RSRC3_GFX90A:ACCUM_OFFSET: 0
; COMPUTE_PGM_RSRC3_GFX90A:TG_SPLIT: 0
	.section	.text._ZN7rocprim17ROCPRIM_400000_NS6detail17trampoline_kernelINS0_14default_configENS1_35radix_sort_onesweep_config_selectorIyNS0_10empty_typeEEEZZNS1_29radix_sort_onesweep_iterationIS3_Lb0EN6thrust23THRUST_200600_302600_NS6detail15normal_iteratorINS9_10device_ptrIyEEEESE_PS5_SF_jNS0_19identity_decomposerENS1_16block_id_wrapperIjLb1EEEEE10hipError_tT1_PNSt15iterator_traitsISK_E10value_typeET2_T3_PNSL_ISQ_E10value_typeET4_T5_PSV_SW_PNS1_23onesweep_lookback_stateEbbT6_jjT7_P12ihipStream_tbENKUlT_T0_SK_SP_E_clISE_SE_SF_SF_EEDaS13_S14_SK_SP_EUlS13_E_NS1_11comp_targetILNS1_3genE0ELNS1_11target_archE4294967295ELNS1_3gpuE0ELNS1_3repE0EEENS1_47radix_sort_onesweep_sort_config_static_selectorELNS0_4arch9wavefront6targetE1EEEvSK_,"axG",@progbits,_ZN7rocprim17ROCPRIM_400000_NS6detail17trampoline_kernelINS0_14default_configENS1_35radix_sort_onesweep_config_selectorIyNS0_10empty_typeEEEZZNS1_29radix_sort_onesweep_iterationIS3_Lb0EN6thrust23THRUST_200600_302600_NS6detail15normal_iteratorINS9_10device_ptrIyEEEESE_PS5_SF_jNS0_19identity_decomposerENS1_16block_id_wrapperIjLb1EEEEE10hipError_tT1_PNSt15iterator_traitsISK_E10value_typeET2_T3_PNSL_ISQ_E10value_typeET4_T5_PSV_SW_PNS1_23onesweep_lookback_stateEbbT6_jjT7_P12ihipStream_tbENKUlT_T0_SK_SP_E_clISE_SE_SF_SF_EEDaS13_S14_SK_SP_EUlS13_E_NS1_11comp_targetILNS1_3genE0ELNS1_11target_archE4294967295ELNS1_3gpuE0ELNS1_3repE0EEENS1_47radix_sort_onesweep_sort_config_static_selectorELNS0_4arch9wavefront6targetE1EEEvSK_,comdat
	.protected	_ZN7rocprim17ROCPRIM_400000_NS6detail17trampoline_kernelINS0_14default_configENS1_35radix_sort_onesweep_config_selectorIyNS0_10empty_typeEEEZZNS1_29radix_sort_onesweep_iterationIS3_Lb0EN6thrust23THRUST_200600_302600_NS6detail15normal_iteratorINS9_10device_ptrIyEEEESE_PS5_SF_jNS0_19identity_decomposerENS1_16block_id_wrapperIjLb1EEEEE10hipError_tT1_PNSt15iterator_traitsISK_E10value_typeET2_T3_PNSL_ISQ_E10value_typeET4_T5_PSV_SW_PNS1_23onesweep_lookback_stateEbbT6_jjT7_P12ihipStream_tbENKUlT_T0_SK_SP_E_clISE_SE_SF_SF_EEDaS13_S14_SK_SP_EUlS13_E_NS1_11comp_targetILNS1_3genE0ELNS1_11target_archE4294967295ELNS1_3gpuE0ELNS1_3repE0EEENS1_47radix_sort_onesweep_sort_config_static_selectorELNS0_4arch9wavefront6targetE1EEEvSK_ ; -- Begin function _ZN7rocprim17ROCPRIM_400000_NS6detail17trampoline_kernelINS0_14default_configENS1_35radix_sort_onesweep_config_selectorIyNS0_10empty_typeEEEZZNS1_29radix_sort_onesweep_iterationIS3_Lb0EN6thrust23THRUST_200600_302600_NS6detail15normal_iteratorINS9_10device_ptrIyEEEESE_PS5_SF_jNS0_19identity_decomposerENS1_16block_id_wrapperIjLb1EEEEE10hipError_tT1_PNSt15iterator_traitsISK_E10value_typeET2_T3_PNSL_ISQ_E10value_typeET4_T5_PSV_SW_PNS1_23onesweep_lookback_stateEbbT6_jjT7_P12ihipStream_tbENKUlT_T0_SK_SP_E_clISE_SE_SF_SF_EEDaS13_S14_SK_SP_EUlS13_E_NS1_11comp_targetILNS1_3genE0ELNS1_11target_archE4294967295ELNS1_3gpuE0ELNS1_3repE0EEENS1_47radix_sort_onesweep_sort_config_static_selectorELNS0_4arch9wavefront6targetE1EEEvSK_
	.globl	_ZN7rocprim17ROCPRIM_400000_NS6detail17trampoline_kernelINS0_14default_configENS1_35radix_sort_onesweep_config_selectorIyNS0_10empty_typeEEEZZNS1_29radix_sort_onesweep_iterationIS3_Lb0EN6thrust23THRUST_200600_302600_NS6detail15normal_iteratorINS9_10device_ptrIyEEEESE_PS5_SF_jNS0_19identity_decomposerENS1_16block_id_wrapperIjLb1EEEEE10hipError_tT1_PNSt15iterator_traitsISK_E10value_typeET2_T3_PNSL_ISQ_E10value_typeET4_T5_PSV_SW_PNS1_23onesweep_lookback_stateEbbT6_jjT7_P12ihipStream_tbENKUlT_T0_SK_SP_E_clISE_SE_SF_SF_EEDaS13_S14_SK_SP_EUlS13_E_NS1_11comp_targetILNS1_3genE0ELNS1_11target_archE4294967295ELNS1_3gpuE0ELNS1_3repE0EEENS1_47radix_sort_onesweep_sort_config_static_selectorELNS0_4arch9wavefront6targetE1EEEvSK_
	.p2align	8
	.type	_ZN7rocprim17ROCPRIM_400000_NS6detail17trampoline_kernelINS0_14default_configENS1_35radix_sort_onesweep_config_selectorIyNS0_10empty_typeEEEZZNS1_29radix_sort_onesweep_iterationIS3_Lb0EN6thrust23THRUST_200600_302600_NS6detail15normal_iteratorINS9_10device_ptrIyEEEESE_PS5_SF_jNS0_19identity_decomposerENS1_16block_id_wrapperIjLb1EEEEE10hipError_tT1_PNSt15iterator_traitsISK_E10value_typeET2_T3_PNSL_ISQ_E10value_typeET4_T5_PSV_SW_PNS1_23onesweep_lookback_stateEbbT6_jjT7_P12ihipStream_tbENKUlT_T0_SK_SP_E_clISE_SE_SF_SF_EEDaS13_S14_SK_SP_EUlS13_E_NS1_11comp_targetILNS1_3genE0ELNS1_11target_archE4294967295ELNS1_3gpuE0ELNS1_3repE0EEENS1_47radix_sort_onesweep_sort_config_static_selectorELNS0_4arch9wavefront6targetE1EEEvSK_,@function
_ZN7rocprim17ROCPRIM_400000_NS6detail17trampoline_kernelINS0_14default_configENS1_35radix_sort_onesweep_config_selectorIyNS0_10empty_typeEEEZZNS1_29radix_sort_onesweep_iterationIS3_Lb0EN6thrust23THRUST_200600_302600_NS6detail15normal_iteratorINS9_10device_ptrIyEEEESE_PS5_SF_jNS0_19identity_decomposerENS1_16block_id_wrapperIjLb1EEEEE10hipError_tT1_PNSt15iterator_traitsISK_E10value_typeET2_T3_PNSL_ISQ_E10value_typeET4_T5_PSV_SW_PNS1_23onesweep_lookback_stateEbbT6_jjT7_P12ihipStream_tbENKUlT_T0_SK_SP_E_clISE_SE_SF_SF_EEDaS13_S14_SK_SP_EUlS13_E_NS1_11comp_targetILNS1_3genE0ELNS1_11target_archE4294967295ELNS1_3gpuE0ELNS1_3repE0EEENS1_47radix_sort_onesweep_sort_config_static_selectorELNS0_4arch9wavefront6targetE1EEEvSK_: ; @_ZN7rocprim17ROCPRIM_400000_NS6detail17trampoline_kernelINS0_14default_configENS1_35radix_sort_onesweep_config_selectorIyNS0_10empty_typeEEEZZNS1_29radix_sort_onesweep_iterationIS3_Lb0EN6thrust23THRUST_200600_302600_NS6detail15normal_iteratorINS9_10device_ptrIyEEEESE_PS5_SF_jNS0_19identity_decomposerENS1_16block_id_wrapperIjLb1EEEEE10hipError_tT1_PNSt15iterator_traitsISK_E10value_typeET2_T3_PNSL_ISQ_E10value_typeET4_T5_PSV_SW_PNS1_23onesweep_lookback_stateEbbT6_jjT7_P12ihipStream_tbENKUlT_T0_SK_SP_E_clISE_SE_SF_SF_EEDaS13_S14_SK_SP_EUlS13_E_NS1_11comp_targetILNS1_3genE0ELNS1_11target_archE4294967295ELNS1_3gpuE0ELNS1_3repE0EEENS1_47radix_sort_onesweep_sort_config_static_selectorELNS0_4arch9wavefront6targetE1EEEvSK_
; %bb.0:
	.section	.rodata,"a",@progbits
	.p2align	6, 0x0
	.amdhsa_kernel _ZN7rocprim17ROCPRIM_400000_NS6detail17trampoline_kernelINS0_14default_configENS1_35radix_sort_onesweep_config_selectorIyNS0_10empty_typeEEEZZNS1_29radix_sort_onesweep_iterationIS3_Lb0EN6thrust23THRUST_200600_302600_NS6detail15normal_iteratorINS9_10device_ptrIyEEEESE_PS5_SF_jNS0_19identity_decomposerENS1_16block_id_wrapperIjLb1EEEEE10hipError_tT1_PNSt15iterator_traitsISK_E10value_typeET2_T3_PNSL_ISQ_E10value_typeET4_T5_PSV_SW_PNS1_23onesweep_lookback_stateEbbT6_jjT7_P12ihipStream_tbENKUlT_T0_SK_SP_E_clISE_SE_SF_SF_EEDaS13_S14_SK_SP_EUlS13_E_NS1_11comp_targetILNS1_3genE0ELNS1_11target_archE4294967295ELNS1_3gpuE0ELNS1_3repE0EEENS1_47radix_sort_onesweep_sort_config_static_selectorELNS0_4arch9wavefront6targetE1EEEvSK_
		.amdhsa_group_segment_fixed_size 0
		.amdhsa_private_segment_fixed_size 0
		.amdhsa_kernarg_size 88
		.amdhsa_user_sgpr_count 2
		.amdhsa_user_sgpr_dispatch_ptr 0
		.amdhsa_user_sgpr_queue_ptr 0
		.amdhsa_user_sgpr_kernarg_segment_ptr 1
		.amdhsa_user_sgpr_dispatch_id 0
		.amdhsa_user_sgpr_kernarg_preload_length 0
		.amdhsa_user_sgpr_kernarg_preload_offset 0
		.amdhsa_user_sgpr_private_segment_size 0
		.amdhsa_uses_dynamic_stack 0
		.amdhsa_enable_private_segment 0
		.amdhsa_system_sgpr_workgroup_id_x 1
		.amdhsa_system_sgpr_workgroup_id_y 0
		.amdhsa_system_sgpr_workgroup_id_z 0
		.amdhsa_system_sgpr_workgroup_info 0
		.amdhsa_system_vgpr_workitem_id 0
		.amdhsa_next_free_vgpr 1
		.amdhsa_next_free_sgpr 0
		.amdhsa_accum_offset 4
		.amdhsa_reserve_vcc 0
		.amdhsa_float_round_mode_32 0
		.amdhsa_float_round_mode_16_64 0
		.amdhsa_float_denorm_mode_32 3
		.amdhsa_float_denorm_mode_16_64 3
		.amdhsa_dx10_clamp 1
		.amdhsa_ieee_mode 1
		.amdhsa_fp16_overflow 0
		.amdhsa_tg_split 0
		.amdhsa_exception_fp_ieee_invalid_op 0
		.amdhsa_exception_fp_denorm_src 0
		.amdhsa_exception_fp_ieee_div_zero 0
		.amdhsa_exception_fp_ieee_overflow 0
		.amdhsa_exception_fp_ieee_underflow 0
		.amdhsa_exception_fp_ieee_inexact 0
		.amdhsa_exception_int_div_zero 0
	.end_amdhsa_kernel
	.section	.text._ZN7rocprim17ROCPRIM_400000_NS6detail17trampoline_kernelINS0_14default_configENS1_35radix_sort_onesweep_config_selectorIyNS0_10empty_typeEEEZZNS1_29radix_sort_onesweep_iterationIS3_Lb0EN6thrust23THRUST_200600_302600_NS6detail15normal_iteratorINS9_10device_ptrIyEEEESE_PS5_SF_jNS0_19identity_decomposerENS1_16block_id_wrapperIjLb1EEEEE10hipError_tT1_PNSt15iterator_traitsISK_E10value_typeET2_T3_PNSL_ISQ_E10value_typeET4_T5_PSV_SW_PNS1_23onesweep_lookback_stateEbbT6_jjT7_P12ihipStream_tbENKUlT_T0_SK_SP_E_clISE_SE_SF_SF_EEDaS13_S14_SK_SP_EUlS13_E_NS1_11comp_targetILNS1_3genE0ELNS1_11target_archE4294967295ELNS1_3gpuE0ELNS1_3repE0EEENS1_47radix_sort_onesweep_sort_config_static_selectorELNS0_4arch9wavefront6targetE1EEEvSK_,"axG",@progbits,_ZN7rocprim17ROCPRIM_400000_NS6detail17trampoline_kernelINS0_14default_configENS1_35radix_sort_onesweep_config_selectorIyNS0_10empty_typeEEEZZNS1_29radix_sort_onesweep_iterationIS3_Lb0EN6thrust23THRUST_200600_302600_NS6detail15normal_iteratorINS9_10device_ptrIyEEEESE_PS5_SF_jNS0_19identity_decomposerENS1_16block_id_wrapperIjLb1EEEEE10hipError_tT1_PNSt15iterator_traitsISK_E10value_typeET2_T3_PNSL_ISQ_E10value_typeET4_T5_PSV_SW_PNS1_23onesweep_lookback_stateEbbT6_jjT7_P12ihipStream_tbENKUlT_T0_SK_SP_E_clISE_SE_SF_SF_EEDaS13_S14_SK_SP_EUlS13_E_NS1_11comp_targetILNS1_3genE0ELNS1_11target_archE4294967295ELNS1_3gpuE0ELNS1_3repE0EEENS1_47radix_sort_onesweep_sort_config_static_selectorELNS0_4arch9wavefront6targetE1EEEvSK_,comdat
.Lfunc_end864:
	.size	_ZN7rocprim17ROCPRIM_400000_NS6detail17trampoline_kernelINS0_14default_configENS1_35radix_sort_onesweep_config_selectorIyNS0_10empty_typeEEEZZNS1_29radix_sort_onesweep_iterationIS3_Lb0EN6thrust23THRUST_200600_302600_NS6detail15normal_iteratorINS9_10device_ptrIyEEEESE_PS5_SF_jNS0_19identity_decomposerENS1_16block_id_wrapperIjLb1EEEEE10hipError_tT1_PNSt15iterator_traitsISK_E10value_typeET2_T3_PNSL_ISQ_E10value_typeET4_T5_PSV_SW_PNS1_23onesweep_lookback_stateEbbT6_jjT7_P12ihipStream_tbENKUlT_T0_SK_SP_E_clISE_SE_SF_SF_EEDaS13_S14_SK_SP_EUlS13_E_NS1_11comp_targetILNS1_3genE0ELNS1_11target_archE4294967295ELNS1_3gpuE0ELNS1_3repE0EEENS1_47radix_sort_onesweep_sort_config_static_selectorELNS0_4arch9wavefront6targetE1EEEvSK_, .Lfunc_end864-_ZN7rocprim17ROCPRIM_400000_NS6detail17trampoline_kernelINS0_14default_configENS1_35radix_sort_onesweep_config_selectorIyNS0_10empty_typeEEEZZNS1_29radix_sort_onesweep_iterationIS3_Lb0EN6thrust23THRUST_200600_302600_NS6detail15normal_iteratorINS9_10device_ptrIyEEEESE_PS5_SF_jNS0_19identity_decomposerENS1_16block_id_wrapperIjLb1EEEEE10hipError_tT1_PNSt15iterator_traitsISK_E10value_typeET2_T3_PNSL_ISQ_E10value_typeET4_T5_PSV_SW_PNS1_23onesweep_lookback_stateEbbT6_jjT7_P12ihipStream_tbENKUlT_T0_SK_SP_E_clISE_SE_SF_SF_EEDaS13_S14_SK_SP_EUlS13_E_NS1_11comp_targetILNS1_3genE0ELNS1_11target_archE4294967295ELNS1_3gpuE0ELNS1_3repE0EEENS1_47radix_sort_onesweep_sort_config_static_selectorELNS0_4arch9wavefront6targetE1EEEvSK_
                                        ; -- End function
	.section	.AMDGPU.csdata,"",@progbits
; Kernel info:
; codeLenInByte = 0
; NumSgprs: 6
; NumVgprs: 0
; NumAgprs: 0
; TotalNumVgprs: 0
; ScratchSize: 0
; MemoryBound: 0
; FloatMode: 240
; IeeeMode: 1
; LDSByteSize: 0 bytes/workgroup (compile time only)
; SGPRBlocks: 0
; VGPRBlocks: 0
; NumSGPRsForWavesPerEU: 6
; NumVGPRsForWavesPerEU: 1
; AccumOffset: 4
; Occupancy: 8
; WaveLimiterHint : 0
; COMPUTE_PGM_RSRC2:SCRATCH_EN: 0
; COMPUTE_PGM_RSRC2:USER_SGPR: 2
; COMPUTE_PGM_RSRC2:TRAP_HANDLER: 0
; COMPUTE_PGM_RSRC2:TGID_X_EN: 1
; COMPUTE_PGM_RSRC2:TGID_Y_EN: 0
; COMPUTE_PGM_RSRC2:TGID_Z_EN: 0
; COMPUTE_PGM_RSRC2:TIDIG_COMP_CNT: 0
; COMPUTE_PGM_RSRC3_GFX90A:ACCUM_OFFSET: 0
; COMPUTE_PGM_RSRC3_GFX90A:TG_SPLIT: 0
	.section	.text._ZN7rocprim17ROCPRIM_400000_NS6detail17trampoline_kernelINS0_14default_configENS1_35radix_sort_onesweep_config_selectorIyNS0_10empty_typeEEEZZNS1_29radix_sort_onesweep_iterationIS3_Lb0EN6thrust23THRUST_200600_302600_NS6detail15normal_iteratorINS9_10device_ptrIyEEEESE_PS5_SF_jNS0_19identity_decomposerENS1_16block_id_wrapperIjLb1EEEEE10hipError_tT1_PNSt15iterator_traitsISK_E10value_typeET2_T3_PNSL_ISQ_E10value_typeET4_T5_PSV_SW_PNS1_23onesweep_lookback_stateEbbT6_jjT7_P12ihipStream_tbENKUlT_T0_SK_SP_E_clISE_SE_SF_SF_EEDaS13_S14_SK_SP_EUlS13_E_NS1_11comp_targetILNS1_3genE6ELNS1_11target_archE950ELNS1_3gpuE13ELNS1_3repE0EEENS1_47radix_sort_onesweep_sort_config_static_selectorELNS0_4arch9wavefront6targetE1EEEvSK_,"axG",@progbits,_ZN7rocprim17ROCPRIM_400000_NS6detail17trampoline_kernelINS0_14default_configENS1_35radix_sort_onesweep_config_selectorIyNS0_10empty_typeEEEZZNS1_29radix_sort_onesweep_iterationIS3_Lb0EN6thrust23THRUST_200600_302600_NS6detail15normal_iteratorINS9_10device_ptrIyEEEESE_PS5_SF_jNS0_19identity_decomposerENS1_16block_id_wrapperIjLb1EEEEE10hipError_tT1_PNSt15iterator_traitsISK_E10value_typeET2_T3_PNSL_ISQ_E10value_typeET4_T5_PSV_SW_PNS1_23onesweep_lookback_stateEbbT6_jjT7_P12ihipStream_tbENKUlT_T0_SK_SP_E_clISE_SE_SF_SF_EEDaS13_S14_SK_SP_EUlS13_E_NS1_11comp_targetILNS1_3genE6ELNS1_11target_archE950ELNS1_3gpuE13ELNS1_3repE0EEENS1_47radix_sort_onesweep_sort_config_static_selectorELNS0_4arch9wavefront6targetE1EEEvSK_,comdat
	.protected	_ZN7rocprim17ROCPRIM_400000_NS6detail17trampoline_kernelINS0_14default_configENS1_35radix_sort_onesweep_config_selectorIyNS0_10empty_typeEEEZZNS1_29radix_sort_onesweep_iterationIS3_Lb0EN6thrust23THRUST_200600_302600_NS6detail15normal_iteratorINS9_10device_ptrIyEEEESE_PS5_SF_jNS0_19identity_decomposerENS1_16block_id_wrapperIjLb1EEEEE10hipError_tT1_PNSt15iterator_traitsISK_E10value_typeET2_T3_PNSL_ISQ_E10value_typeET4_T5_PSV_SW_PNS1_23onesweep_lookback_stateEbbT6_jjT7_P12ihipStream_tbENKUlT_T0_SK_SP_E_clISE_SE_SF_SF_EEDaS13_S14_SK_SP_EUlS13_E_NS1_11comp_targetILNS1_3genE6ELNS1_11target_archE950ELNS1_3gpuE13ELNS1_3repE0EEENS1_47radix_sort_onesweep_sort_config_static_selectorELNS0_4arch9wavefront6targetE1EEEvSK_ ; -- Begin function _ZN7rocprim17ROCPRIM_400000_NS6detail17trampoline_kernelINS0_14default_configENS1_35radix_sort_onesweep_config_selectorIyNS0_10empty_typeEEEZZNS1_29radix_sort_onesweep_iterationIS3_Lb0EN6thrust23THRUST_200600_302600_NS6detail15normal_iteratorINS9_10device_ptrIyEEEESE_PS5_SF_jNS0_19identity_decomposerENS1_16block_id_wrapperIjLb1EEEEE10hipError_tT1_PNSt15iterator_traitsISK_E10value_typeET2_T3_PNSL_ISQ_E10value_typeET4_T5_PSV_SW_PNS1_23onesweep_lookback_stateEbbT6_jjT7_P12ihipStream_tbENKUlT_T0_SK_SP_E_clISE_SE_SF_SF_EEDaS13_S14_SK_SP_EUlS13_E_NS1_11comp_targetILNS1_3genE6ELNS1_11target_archE950ELNS1_3gpuE13ELNS1_3repE0EEENS1_47radix_sort_onesweep_sort_config_static_selectorELNS0_4arch9wavefront6targetE1EEEvSK_
	.globl	_ZN7rocprim17ROCPRIM_400000_NS6detail17trampoline_kernelINS0_14default_configENS1_35radix_sort_onesweep_config_selectorIyNS0_10empty_typeEEEZZNS1_29radix_sort_onesweep_iterationIS3_Lb0EN6thrust23THRUST_200600_302600_NS6detail15normal_iteratorINS9_10device_ptrIyEEEESE_PS5_SF_jNS0_19identity_decomposerENS1_16block_id_wrapperIjLb1EEEEE10hipError_tT1_PNSt15iterator_traitsISK_E10value_typeET2_T3_PNSL_ISQ_E10value_typeET4_T5_PSV_SW_PNS1_23onesweep_lookback_stateEbbT6_jjT7_P12ihipStream_tbENKUlT_T0_SK_SP_E_clISE_SE_SF_SF_EEDaS13_S14_SK_SP_EUlS13_E_NS1_11comp_targetILNS1_3genE6ELNS1_11target_archE950ELNS1_3gpuE13ELNS1_3repE0EEENS1_47radix_sort_onesweep_sort_config_static_selectorELNS0_4arch9wavefront6targetE1EEEvSK_
	.p2align	8
	.type	_ZN7rocprim17ROCPRIM_400000_NS6detail17trampoline_kernelINS0_14default_configENS1_35radix_sort_onesweep_config_selectorIyNS0_10empty_typeEEEZZNS1_29radix_sort_onesweep_iterationIS3_Lb0EN6thrust23THRUST_200600_302600_NS6detail15normal_iteratorINS9_10device_ptrIyEEEESE_PS5_SF_jNS0_19identity_decomposerENS1_16block_id_wrapperIjLb1EEEEE10hipError_tT1_PNSt15iterator_traitsISK_E10value_typeET2_T3_PNSL_ISQ_E10value_typeET4_T5_PSV_SW_PNS1_23onesweep_lookback_stateEbbT6_jjT7_P12ihipStream_tbENKUlT_T0_SK_SP_E_clISE_SE_SF_SF_EEDaS13_S14_SK_SP_EUlS13_E_NS1_11comp_targetILNS1_3genE6ELNS1_11target_archE950ELNS1_3gpuE13ELNS1_3repE0EEENS1_47radix_sort_onesweep_sort_config_static_selectorELNS0_4arch9wavefront6targetE1EEEvSK_,@function
_ZN7rocprim17ROCPRIM_400000_NS6detail17trampoline_kernelINS0_14default_configENS1_35radix_sort_onesweep_config_selectorIyNS0_10empty_typeEEEZZNS1_29radix_sort_onesweep_iterationIS3_Lb0EN6thrust23THRUST_200600_302600_NS6detail15normal_iteratorINS9_10device_ptrIyEEEESE_PS5_SF_jNS0_19identity_decomposerENS1_16block_id_wrapperIjLb1EEEEE10hipError_tT1_PNSt15iterator_traitsISK_E10value_typeET2_T3_PNSL_ISQ_E10value_typeET4_T5_PSV_SW_PNS1_23onesweep_lookback_stateEbbT6_jjT7_P12ihipStream_tbENKUlT_T0_SK_SP_E_clISE_SE_SF_SF_EEDaS13_S14_SK_SP_EUlS13_E_NS1_11comp_targetILNS1_3genE6ELNS1_11target_archE950ELNS1_3gpuE13ELNS1_3repE0EEENS1_47radix_sort_onesweep_sort_config_static_selectorELNS0_4arch9wavefront6targetE1EEEvSK_: ; @_ZN7rocprim17ROCPRIM_400000_NS6detail17trampoline_kernelINS0_14default_configENS1_35radix_sort_onesweep_config_selectorIyNS0_10empty_typeEEEZZNS1_29radix_sort_onesweep_iterationIS3_Lb0EN6thrust23THRUST_200600_302600_NS6detail15normal_iteratorINS9_10device_ptrIyEEEESE_PS5_SF_jNS0_19identity_decomposerENS1_16block_id_wrapperIjLb1EEEEE10hipError_tT1_PNSt15iterator_traitsISK_E10value_typeET2_T3_PNSL_ISQ_E10value_typeET4_T5_PSV_SW_PNS1_23onesweep_lookback_stateEbbT6_jjT7_P12ihipStream_tbENKUlT_T0_SK_SP_E_clISE_SE_SF_SF_EEDaS13_S14_SK_SP_EUlS13_E_NS1_11comp_targetILNS1_3genE6ELNS1_11target_archE950ELNS1_3gpuE13ELNS1_3repE0EEENS1_47radix_sort_onesweep_sort_config_static_selectorELNS0_4arch9wavefront6targetE1EEEvSK_
; %bb.0:
	.section	.rodata,"a",@progbits
	.p2align	6, 0x0
	.amdhsa_kernel _ZN7rocprim17ROCPRIM_400000_NS6detail17trampoline_kernelINS0_14default_configENS1_35radix_sort_onesweep_config_selectorIyNS0_10empty_typeEEEZZNS1_29radix_sort_onesweep_iterationIS3_Lb0EN6thrust23THRUST_200600_302600_NS6detail15normal_iteratorINS9_10device_ptrIyEEEESE_PS5_SF_jNS0_19identity_decomposerENS1_16block_id_wrapperIjLb1EEEEE10hipError_tT1_PNSt15iterator_traitsISK_E10value_typeET2_T3_PNSL_ISQ_E10value_typeET4_T5_PSV_SW_PNS1_23onesweep_lookback_stateEbbT6_jjT7_P12ihipStream_tbENKUlT_T0_SK_SP_E_clISE_SE_SF_SF_EEDaS13_S14_SK_SP_EUlS13_E_NS1_11comp_targetILNS1_3genE6ELNS1_11target_archE950ELNS1_3gpuE13ELNS1_3repE0EEENS1_47radix_sort_onesweep_sort_config_static_selectorELNS0_4arch9wavefront6targetE1EEEvSK_
		.amdhsa_group_segment_fixed_size 0
		.amdhsa_private_segment_fixed_size 0
		.amdhsa_kernarg_size 88
		.amdhsa_user_sgpr_count 2
		.amdhsa_user_sgpr_dispatch_ptr 0
		.amdhsa_user_sgpr_queue_ptr 0
		.amdhsa_user_sgpr_kernarg_segment_ptr 1
		.amdhsa_user_sgpr_dispatch_id 0
		.amdhsa_user_sgpr_kernarg_preload_length 0
		.amdhsa_user_sgpr_kernarg_preload_offset 0
		.amdhsa_user_sgpr_private_segment_size 0
		.amdhsa_uses_dynamic_stack 0
		.amdhsa_enable_private_segment 0
		.amdhsa_system_sgpr_workgroup_id_x 1
		.amdhsa_system_sgpr_workgroup_id_y 0
		.amdhsa_system_sgpr_workgroup_id_z 0
		.amdhsa_system_sgpr_workgroup_info 0
		.amdhsa_system_vgpr_workitem_id 0
		.amdhsa_next_free_vgpr 1
		.amdhsa_next_free_sgpr 0
		.amdhsa_accum_offset 4
		.amdhsa_reserve_vcc 0
		.amdhsa_float_round_mode_32 0
		.amdhsa_float_round_mode_16_64 0
		.amdhsa_float_denorm_mode_32 3
		.amdhsa_float_denorm_mode_16_64 3
		.amdhsa_dx10_clamp 1
		.amdhsa_ieee_mode 1
		.amdhsa_fp16_overflow 0
		.amdhsa_tg_split 0
		.amdhsa_exception_fp_ieee_invalid_op 0
		.amdhsa_exception_fp_denorm_src 0
		.amdhsa_exception_fp_ieee_div_zero 0
		.amdhsa_exception_fp_ieee_overflow 0
		.amdhsa_exception_fp_ieee_underflow 0
		.amdhsa_exception_fp_ieee_inexact 0
		.amdhsa_exception_int_div_zero 0
	.end_amdhsa_kernel
	.section	.text._ZN7rocprim17ROCPRIM_400000_NS6detail17trampoline_kernelINS0_14default_configENS1_35radix_sort_onesweep_config_selectorIyNS0_10empty_typeEEEZZNS1_29radix_sort_onesweep_iterationIS3_Lb0EN6thrust23THRUST_200600_302600_NS6detail15normal_iteratorINS9_10device_ptrIyEEEESE_PS5_SF_jNS0_19identity_decomposerENS1_16block_id_wrapperIjLb1EEEEE10hipError_tT1_PNSt15iterator_traitsISK_E10value_typeET2_T3_PNSL_ISQ_E10value_typeET4_T5_PSV_SW_PNS1_23onesweep_lookback_stateEbbT6_jjT7_P12ihipStream_tbENKUlT_T0_SK_SP_E_clISE_SE_SF_SF_EEDaS13_S14_SK_SP_EUlS13_E_NS1_11comp_targetILNS1_3genE6ELNS1_11target_archE950ELNS1_3gpuE13ELNS1_3repE0EEENS1_47radix_sort_onesweep_sort_config_static_selectorELNS0_4arch9wavefront6targetE1EEEvSK_,"axG",@progbits,_ZN7rocprim17ROCPRIM_400000_NS6detail17trampoline_kernelINS0_14default_configENS1_35radix_sort_onesweep_config_selectorIyNS0_10empty_typeEEEZZNS1_29radix_sort_onesweep_iterationIS3_Lb0EN6thrust23THRUST_200600_302600_NS6detail15normal_iteratorINS9_10device_ptrIyEEEESE_PS5_SF_jNS0_19identity_decomposerENS1_16block_id_wrapperIjLb1EEEEE10hipError_tT1_PNSt15iterator_traitsISK_E10value_typeET2_T3_PNSL_ISQ_E10value_typeET4_T5_PSV_SW_PNS1_23onesweep_lookback_stateEbbT6_jjT7_P12ihipStream_tbENKUlT_T0_SK_SP_E_clISE_SE_SF_SF_EEDaS13_S14_SK_SP_EUlS13_E_NS1_11comp_targetILNS1_3genE6ELNS1_11target_archE950ELNS1_3gpuE13ELNS1_3repE0EEENS1_47radix_sort_onesweep_sort_config_static_selectorELNS0_4arch9wavefront6targetE1EEEvSK_,comdat
.Lfunc_end865:
	.size	_ZN7rocprim17ROCPRIM_400000_NS6detail17trampoline_kernelINS0_14default_configENS1_35radix_sort_onesweep_config_selectorIyNS0_10empty_typeEEEZZNS1_29radix_sort_onesweep_iterationIS3_Lb0EN6thrust23THRUST_200600_302600_NS6detail15normal_iteratorINS9_10device_ptrIyEEEESE_PS5_SF_jNS0_19identity_decomposerENS1_16block_id_wrapperIjLb1EEEEE10hipError_tT1_PNSt15iterator_traitsISK_E10value_typeET2_T3_PNSL_ISQ_E10value_typeET4_T5_PSV_SW_PNS1_23onesweep_lookback_stateEbbT6_jjT7_P12ihipStream_tbENKUlT_T0_SK_SP_E_clISE_SE_SF_SF_EEDaS13_S14_SK_SP_EUlS13_E_NS1_11comp_targetILNS1_3genE6ELNS1_11target_archE950ELNS1_3gpuE13ELNS1_3repE0EEENS1_47radix_sort_onesweep_sort_config_static_selectorELNS0_4arch9wavefront6targetE1EEEvSK_, .Lfunc_end865-_ZN7rocprim17ROCPRIM_400000_NS6detail17trampoline_kernelINS0_14default_configENS1_35radix_sort_onesweep_config_selectorIyNS0_10empty_typeEEEZZNS1_29radix_sort_onesweep_iterationIS3_Lb0EN6thrust23THRUST_200600_302600_NS6detail15normal_iteratorINS9_10device_ptrIyEEEESE_PS5_SF_jNS0_19identity_decomposerENS1_16block_id_wrapperIjLb1EEEEE10hipError_tT1_PNSt15iterator_traitsISK_E10value_typeET2_T3_PNSL_ISQ_E10value_typeET4_T5_PSV_SW_PNS1_23onesweep_lookback_stateEbbT6_jjT7_P12ihipStream_tbENKUlT_T0_SK_SP_E_clISE_SE_SF_SF_EEDaS13_S14_SK_SP_EUlS13_E_NS1_11comp_targetILNS1_3genE6ELNS1_11target_archE950ELNS1_3gpuE13ELNS1_3repE0EEENS1_47radix_sort_onesweep_sort_config_static_selectorELNS0_4arch9wavefront6targetE1EEEvSK_
                                        ; -- End function
	.section	.AMDGPU.csdata,"",@progbits
; Kernel info:
; codeLenInByte = 0
; NumSgprs: 6
; NumVgprs: 0
; NumAgprs: 0
; TotalNumVgprs: 0
; ScratchSize: 0
; MemoryBound: 0
; FloatMode: 240
; IeeeMode: 1
; LDSByteSize: 0 bytes/workgroup (compile time only)
; SGPRBlocks: 0
; VGPRBlocks: 0
; NumSGPRsForWavesPerEU: 6
; NumVGPRsForWavesPerEU: 1
; AccumOffset: 4
; Occupancy: 8
; WaveLimiterHint : 0
; COMPUTE_PGM_RSRC2:SCRATCH_EN: 0
; COMPUTE_PGM_RSRC2:USER_SGPR: 2
; COMPUTE_PGM_RSRC2:TRAP_HANDLER: 0
; COMPUTE_PGM_RSRC2:TGID_X_EN: 1
; COMPUTE_PGM_RSRC2:TGID_Y_EN: 0
; COMPUTE_PGM_RSRC2:TGID_Z_EN: 0
; COMPUTE_PGM_RSRC2:TIDIG_COMP_CNT: 0
; COMPUTE_PGM_RSRC3_GFX90A:ACCUM_OFFSET: 0
; COMPUTE_PGM_RSRC3_GFX90A:TG_SPLIT: 0
	.section	.text._ZN7rocprim17ROCPRIM_400000_NS6detail17trampoline_kernelINS0_14default_configENS1_35radix_sort_onesweep_config_selectorIyNS0_10empty_typeEEEZZNS1_29radix_sort_onesweep_iterationIS3_Lb0EN6thrust23THRUST_200600_302600_NS6detail15normal_iteratorINS9_10device_ptrIyEEEESE_PS5_SF_jNS0_19identity_decomposerENS1_16block_id_wrapperIjLb1EEEEE10hipError_tT1_PNSt15iterator_traitsISK_E10value_typeET2_T3_PNSL_ISQ_E10value_typeET4_T5_PSV_SW_PNS1_23onesweep_lookback_stateEbbT6_jjT7_P12ihipStream_tbENKUlT_T0_SK_SP_E_clISE_SE_SF_SF_EEDaS13_S14_SK_SP_EUlS13_E_NS1_11comp_targetILNS1_3genE5ELNS1_11target_archE942ELNS1_3gpuE9ELNS1_3repE0EEENS1_47radix_sort_onesweep_sort_config_static_selectorELNS0_4arch9wavefront6targetE1EEEvSK_,"axG",@progbits,_ZN7rocprim17ROCPRIM_400000_NS6detail17trampoline_kernelINS0_14default_configENS1_35radix_sort_onesweep_config_selectorIyNS0_10empty_typeEEEZZNS1_29radix_sort_onesweep_iterationIS3_Lb0EN6thrust23THRUST_200600_302600_NS6detail15normal_iteratorINS9_10device_ptrIyEEEESE_PS5_SF_jNS0_19identity_decomposerENS1_16block_id_wrapperIjLb1EEEEE10hipError_tT1_PNSt15iterator_traitsISK_E10value_typeET2_T3_PNSL_ISQ_E10value_typeET4_T5_PSV_SW_PNS1_23onesweep_lookback_stateEbbT6_jjT7_P12ihipStream_tbENKUlT_T0_SK_SP_E_clISE_SE_SF_SF_EEDaS13_S14_SK_SP_EUlS13_E_NS1_11comp_targetILNS1_3genE5ELNS1_11target_archE942ELNS1_3gpuE9ELNS1_3repE0EEENS1_47radix_sort_onesweep_sort_config_static_selectorELNS0_4arch9wavefront6targetE1EEEvSK_,comdat
	.protected	_ZN7rocprim17ROCPRIM_400000_NS6detail17trampoline_kernelINS0_14default_configENS1_35radix_sort_onesweep_config_selectorIyNS0_10empty_typeEEEZZNS1_29radix_sort_onesweep_iterationIS3_Lb0EN6thrust23THRUST_200600_302600_NS6detail15normal_iteratorINS9_10device_ptrIyEEEESE_PS5_SF_jNS0_19identity_decomposerENS1_16block_id_wrapperIjLb1EEEEE10hipError_tT1_PNSt15iterator_traitsISK_E10value_typeET2_T3_PNSL_ISQ_E10value_typeET4_T5_PSV_SW_PNS1_23onesweep_lookback_stateEbbT6_jjT7_P12ihipStream_tbENKUlT_T0_SK_SP_E_clISE_SE_SF_SF_EEDaS13_S14_SK_SP_EUlS13_E_NS1_11comp_targetILNS1_3genE5ELNS1_11target_archE942ELNS1_3gpuE9ELNS1_3repE0EEENS1_47radix_sort_onesweep_sort_config_static_selectorELNS0_4arch9wavefront6targetE1EEEvSK_ ; -- Begin function _ZN7rocprim17ROCPRIM_400000_NS6detail17trampoline_kernelINS0_14default_configENS1_35radix_sort_onesweep_config_selectorIyNS0_10empty_typeEEEZZNS1_29radix_sort_onesweep_iterationIS3_Lb0EN6thrust23THRUST_200600_302600_NS6detail15normal_iteratorINS9_10device_ptrIyEEEESE_PS5_SF_jNS0_19identity_decomposerENS1_16block_id_wrapperIjLb1EEEEE10hipError_tT1_PNSt15iterator_traitsISK_E10value_typeET2_T3_PNSL_ISQ_E10value_typeET4_T5_PSV_SW_PNS1_23onesweep_lookback_stateEbbT6_jjT7_P12ihipStream_tbENKUlT_T0_SK_SP_E_clISE_SE_SF_SF_EEDaS13_S14_SK_SP_EUlS13_E_NS1_11comp_targetILNS1_3genE5ELNS1_11target_archE942ELNS1_3gpuE9ELNS1_3repE0EEENS1_47radix_sort_onesweep_sort_config_static_selectorELNS0_4arch9wavefront6targetE1EEEvSK_
	.globl	_ZN7rocprim17ROCPRIM_400000_NS6detail17trampoline_kernelINS0_14default_configENS1_35radix_sort_onesweep_config_selectorIyNS0_10empty_typeEEEZZNS1_29radix_sort_onesweep_iterationIS3_Lb0EN6thrust23THRUST_200600_302600_NS6detail15normal_iteratorINS9_10device_ptrIyEEEESE_PS5_SF_jNS0_19identity_decomposerENS1_16block_id_wrapperIjLb1EEEEE10hipError_tT1_PNSt15iterator_traitsISK_E10value_typeET2_T3_PNSL_ISQ_E10value_typeET4_T5_PSV_SW_PNS1_23onesweep_lookback_stateEbbT6_jjT7_P12ihipStream_tbENKUlT_T0_SK_SP_E_clISE_SE_SF_SF_EEDaS13_S14_SK_SP_EUlS13_E_NS1_11comp_targetILNS1_3genE5ELNS1_11target_archE942ELNS1_3gpuE9ELNS1_3repE0EEENS1_47radix_sort_onesweep_sort_config_static_selectorELNS0_4arch9wavefront6targetE1EEEvSK_
	.p2align	8
	.type	_ZN7rocprim17ROCPRIM_400000_NS6detail17trampoline_kernelINS0_14default_configENS1_35radix_sort_onesweep_config_selectorIyNS0_10empty_typeEEEZZNS1_29radix_sort_onesweep_iterationIS3_Lb0EN6thrust23THRUST_200600_302600_NS6detail15normal_iteratorINS9_10device_ptrIyEEEESE_PS5_SF_jNS0_19identity_decomposerENS1_16block_id_wrapperIjLb1EEEEE10hipError_tT1_PNSt15iterator_traitsISK_E10value_typeET2_T3_PNSL_ISQ_E10value_typeET4_T5_PSV_SW_PNS1_23onesweep_lookback_stateEbbT6_jjT7_P12ihipStream_tbENKUlT_T0_SK_SP_E_clISE_SE_SF_SF_EEDaS13_S14_SK_SP_EUlS13_E_NS1_11comp_targetILNS1_3genE5ELNS1_11target_archE942ELNS1_3gpuE9ELNS1_3repE0EEENS1_47radix_sort_onesweep_sort_config_static_selectorELNS0_4arch9wavefront6targetE1EEEvSK_,@function
_ZN7rocprim17ROCPRIM_400000_NS6detail17trampoline_kernelINS0_14default_configENS1_35radix_sort_onesweep_config_selectorIyNS0_10empty_typeEEEZZNS1_29radix_sort_onesweep_iterationIS3_Lb0EN6thrust23THRUST_200600_302600_NS6detail15normal_iteratorINS9_10device_ptrIyEEEESE_PS5_SF_jNS0_19identity_decomposerENS1_16block_id_wrapperIjLb1EEEEE10hipError_tT1_PNSt15iterator_traitsISK_E10value_typeET2_T3_PNSL_ISQ_E10value_typeET4_T5_PSV_SW_PNS1_23onesweep_lookback_stateEbbT6_jjT7_P12ihipStream_tbENKUlT_T0_SK_SP_E_clISE_SE_SF_SF_EEDaS13_S14_SK_SP_EUlS13_E_NS1_11comp_targetILNS1_3genE5ELNS1_11target_archE942ELNS1_3gpuE9ELNS1_3repE0EEENS1_47radix_sort_onesweep_sort_config_static_selectorELNS0_4arch9wavefront6targetE1EEEvSK_: ; @_ZN7rocprim17ROCPRIM_400000_NS6detail17trampoline_kernelINS0_14default_configENS1_35radix_sort_onesweep_config_selectorIyNS0_10empty_typeEEEZZNS1_29radix_sort_onesweep_iterationIS3_Lb0EN6thrust23THRUST_200600_302600_NS6detail15normal_iteratorINS9_10device_ptrIyEEEESE_PS5_SF_jNS0_19identity_decomposerENS1_16block_id_wrapperIjLb1EEEEE10hipError_tT1_PNSt15iterator_traitsISK_E10value_typeET2_T3_PNSL_ISQ_E10value_typeET4_T5_PSV_SW_PNS1_23onesweep_lookback_stateEbbT6_jjT7_P12ihipStream_tbENKUlT_T0_SK_SP_E_clISE_SE_SF_SF_EEDaS13_S14_SK_SP_EUlS13_E_NS1_11comp_targetILNS1_3genE5ELNS1_11target_archE942ELNS1_3gpuE9ELNS1_3repE0EEENS1_47radix_sort_onesweep_sort_config_static_selectorELNS0_4arch9wavefront6targetE1EEEvSK_
; %bb.0:
	s_load_dwordx4 s[20:23], s[0:1], 0x28
	s_load_dwordx2 s[18:19], s[0:1], 0x38
	s_load_dwordx4 s[24:27], s[0:1], 0x44
	v_and_b32_e32 v2, 0x3ff, v0
	v_cmp_eq_u32_e64 s[4:5], 0, v2
	s_and_saveexec_b64 s[6:7], s[4:5]
	s_cbranch_execz .LBB866_4
; %bb.1:
	s_mov_b64 s[10:11], exec
	v_mbcnt_lo_u32_b32 v1, s10, 0
	v_mbcnt_hi_u32_b32 v1, s11, v1
	v_cmp_eq_u32_e32 vcc, 0, v1
                                        ; implicit-def: $vgpr3
	s_and_saveexec_b64 s[8:9], vcc
	s_cbranch_execz .LBB866_3
; %bb.2:
	s_load_dwordx2 s[12:13], s[0:1], 0x50
	s_bcnt1_i32_b64 s3, s[10:11]
	v_mov_b32_e32 v3, 0
	v_mov_b32_e32 v4, s3
	s_waitcnt lgkmcnt(0)
	global_atomic_add v3, v3, v4, s[12:13] sc0
.LBB866_3:
	s_or_b64 exec, exec, s[8:9]
	s_waitcnt vmcnt(0)
	v_readfirstlane_b32 s3, v3
	v_mov_b32_e32 v3, 0
	s_nop 0
	v_add_u32_e32 v1, s3, v1
	ds_write_b32 v3, v1 offset:10272
.LBB866_4:
	s_or_b64 exec, exec, s[6:7]
	v_mov_b32_e32 v5, 0
	s_load_dwordx4 s[28:31], s[0:1], 0x0
	s_load_dword s3, s[0:1], 0x20
	s_waitcnt lgkmcnt(0)
	s_barrier
	ds_read_b32 v1, v5 offset:10272
	s_waitcnt lgkmcnt(0)
	s_barrier
	v_readfirstlane_b32 s27, v1
	v_cmp_le_u32_e32 vcc, s26, v1
	s_mul_i32 s34, s27, 0x1800
	v_mbcnt_lo_u32_b32 v1, -1, 0
	s_cbranch_vccz .LBB866_103
; %bb.5:
	s_mul_i32 s6, s26, 0xffffe800
	s_mov_b32 s35, 0
	s_add_i32 s3, s6, s3
	s_lshl_b64 s[6:7], s[34:35], 3
	v_mbcnt_hi_u32_b32 v3, -1, v1
	s_add_u32 s6, s28, s6
	v_and_b32_e32 v8, 63, v3
	v_and_b32_e32 v32, 0x3c0, v2
	s_addc_u32 s7, s29, s7
	v_mul_u32_u24_e32 v9, 12, v32
	v_lshlrev_b32_e32 v4, 3, v8
	v_lshl_add_u64 v[6:7], s[6:7], 0, v[4:5]
	v_lshlrev_b32_e32 v4, 3, v9
	v_lshl_add_u64 v[28:29], v[6:7], 0, v[4:5]
	v_or_b32_e32 v30, v8, v9
	v_mov_b64_e32 v[4:5], -1
	v_cmp_gt_u32_e32 vcc, s3, v30
	v_mov_b64_e32 v[6:7], v[4:5]
	s_and_saveexec_b64 s[6:7], vcc
	s_cbranch_execz .LBB866_7
; %bb.6:
	global_load_dwordx2 v[6:7], v[28:29], off
.LBB866_7:
	s_or_b64 exec, exec, s[6:7]
	v_or_b32_e32 v8, 64, v30
	v_cmp_gt_u32_e32 vcc, s3, v8
	s_and_saveexec_b64 s[6:7], vcc
	s_cbranch_execz .LBB866_9
; %bb.8:
	global_load_dwordx2 v[4:5], v[28:29], off offset:512
.LBB866_9:
	s_or_b64 exec, exec, s[6:7]
	v_or_b32_e32 v8, 0x80, v30
	v_cmp_gt_u32_e32 vcc, s3, v8
	v_mov_b64_e32 v[8:9], -1
	v_mov_b64_e32 v[10:11], v[8:9]
	s_and_saveexec_b64 s[6:7], vcc
	s_cbranch_execz .LBB866_11
; %bb.10:
	global_load_dwordx2 v[10:11], v[28:29], off offset:1024
.LBB866_11:
	s_or_b64 exec, exec, s[6:7]
	v_or_b32_e32 v12, 0xc0, v30
	v_cmp_gt_u32_e32 vcc, s3, v12
	s_and_saveexec_b64 s[6:7], vcc
	s_cbranch_execz .LBB866_13
; %bb.12:
	global_load_dwordx2 v[8:9], v[28:29], off offset:1536
.LBB866_13:
	s_or_b64 exec, exec, s[6:7]
	v_add_u32_e32 v12, 0x100, v30
	v_cmp_gt_u32_e32 vcc, s3, v12
	v_mov_b64_e32 v[12:13], -1
	v_mov_b64_e32 v[14:15], v[12:13]
	s_and_saveexec_b64 s[6:7], vcc
	s_cbranch_execz .LBB866_15
; %bb.14:
	global_load_dwordx2 v[14:15], v[28:29], off offset:2048
.LBB866_15:
	s_or_b64 exec, exec, s[6:7]
	v_add_u32_e32 v16, 0x140, v30
	v_cmp_gt_u32_e32 vcc, s3, v16
	s_and_saveexec_b64 s[6:7], vcc
	s_cbranch_execz .LBB866_17
; %bb.16:
	global_load_dwordx2 v[12:13], v[28:29], off offset:2560
.LBB866_17:
	s_or_b64 exec, exec, s[6:7]
	v_add_u32_e32 v16, 0x180, v30
	v_cmp_gt_u32_e32 vcc, s3, v16
	v_mov_b64_e32 v[16:17], -1
	v_mov_b64_e32 v[18:19], v[16:17]
	s_and_saveexec_b64 s[6:7], vcc
	s_cbranch_execz .LBB866_19
; %bb.18:
	global_load_dwordx2 v[18:19], v[28:29], off offset:3072
.LBB866_19:
	s_or_b64 exec, exec, s[6:7]
	v_add_u32_e32 v20, 0x1c0, v30
	v_cmp_gt_u32_e32 vcc, s3, v20
	s_and_saveexec_b64 s[6:7], vcc
	s_cbranch_execz .LBB866_21
; %bb.20:
	global_load_dwordx2 v[16:17], v[28:29], off offset:3584
.LBB866_21:
	s_or_b64 exec, exec, s[6:7]
	v_add_u32_e32 v20, 0x200, v30
	v_cmp_gt_u32_e32 vcc, s3, v20
	v_mov_b64_e32 v[20:21], -1
	v_mov_b64_e32 v[22:23], v[20:21]
	s_and_saveexec_b64 s[6:7], vcc
	s_cbranch_execz .LBB866_23
; %bb.22:
	v_add_co_u32_e32 v22, vcc, 0x1000, v28
	s_nop 1
	v_addc_co_u32_e32 v23, vcc, 0, v29, vcc
	global_load_dwordx2 v[22:23], v[22:23], off
.LBB866_23:
	s_or_b64 exec, exec, s[6:7]
	v_add_u32_e32 v24, 0x240, v30
	v_cmp_gt_u32_e32 vcc, s3, v24
	s_and_saveexec_b64 s[6:7], vcc
	s_cbranch_execz .LBB866_25
; %bb.24:
	v_add_co_u32_e32 v20, vcc, 0x1000, v28
	s_nop 1
	v_addc_co_u32_e32 v21, vcc, 0, v29, vcc
	global_load_dwordx2 v[20:21], v[20:21], off offset:512
.LBB866_25:
	s_or_b64 exec, exec, s[6:7]
	v_add_u32_e32 v24, 0x280, v30
	v_cmp_gt_u32_e32 vcc, s3, v24
	v_mov_b64_e32 v[24:25], -1
	v_mov_b64_e32 v[26:27], v[24:25]
	s_and_saveexec_b64 s[6:7], vcc
	s_cbranch_execz .LBB866_27
; %bb.26:
	v_add_co_u32_e32 v26, vcc, 0x1000, v28
	s_nop 1
	v_addc_co_u32_e32 v27, vcc, 0, v29, vcc
	global_load_dwordx2 v[26:27], v[26:27], off offset:1024
.LBB866_27:
	s_or_b64 exec, exec, s[6:7]
	v_add_u32_e32 v30, 0x2c0, v30
	v_cmp_gt_u32_e32 vcc, s3, v30
	s_and_saveexec_b64 s[6:7], vcc
	s_cbranch_execz .LBB866_29
; %bb.28:
	v_add_co_u32_e32 v24, vcc, 0x1000, v28
	s_nop 1
	v_addc_co_u32_e32 v25, vcc, 0, v29, vcc
	global_load_dwordx2 v[24:25], v[24:25], off offset:1536
.LBB866_29:
	s_or_b64 exec, exec, s[6:7]
	s_load_dword s6, s[0:1], 0x64
	s_load_dword s26, s[0:1], 0x58
	s_add_u32 s7, s0, 0x58
	s_addc_u32 s8, s1, 0
	v_mov_b32_e32 v29, 0
	s_waitcnt lgkmcnt(0)
	s_lshr_b32 s9, s6, 16
	s_cmp_lt_u32 s2, s26
	s_cselect_b32 s6, 12, 18
	s_add_u32 s6, s7, s6
	s_addc_u32 s7, s8, 0
	global_load_ushort v48, v29, s[6:7]
	s_lshl_b32 s6, -1, s25
	s_waitcnt vmcnt(1)
	v_lshrrev_b64 v[30:31], s24, v[6:7]
	s_not_b32 s33, s6
	v_bfe_u32 v28, v0, 10, 10
	v_bfe_u32 v35, v0, 20, 10
	v_and_b32_e32 v30, s33, v30
	v_mad_u32_u24 v49, v35, s9, v28
	v_and_b32_e32 v28, 1, v30
	v_lshlrev_b32_e32 v35, 30, v30
	v_mov_b32_e32 v34, v29
	v_mov_b32_e32 v38, v29
	v_lshlrev_b32_e32 v37, 29, v30
	v_lshlrev_b32_e32 v39, 28, v30
	v_lshl_add_u64 v[46:47], v[28:29], 0, -1
	v_cmp_ne_u32_e32 vcc, 0, v28
	v_not_b32_e32 v28, v35
	v_mov_b32_e32 v36, v29
	v_mov_b32_e32 v40, v29
	v_lshl_add_u32 v50, v30, 3, v30
	v_lshlrev_b32_e32 v41, 27, v30
	v_lshlrev_b32_e32 v43, 26, v30
	;; [unrolled: 1-line block ×4, first 2 shown]
	v_cmp_gt_i64_e64 s[6:7], 0, v[34:35]
	v_not_b32_e32 v30, v37
	v_cmp_gt_i64_e64 s[10:11], 0, v[38:39]
	v_xor_b32_e32 v38, vcc_hi, v47
	v_ashrrev_i32_e32 v28, 31, v28
	v_cmp_gt_i64_e64 s[8:9], 0, v[36:37]
	v_not_b32_e32 v34, v39
	v_cmp_gt_i64_e64 s[12:13], 0, v[40:41]
	v_xor_b32_e32 v39, vcc_lo, v46
	v_ashrrev_i32_e32 v30, 31, v30
	v_and_b32_e32 v38, exec_hi, v38
	v_xor_b32_e32 v40, s7, v28
	v_mov_b32_e32 v42, v29
	v_not_b32_e32 v35, v41
	v_ashrrev_i32_e32 v34, 31, v34
	v_and_b32_e32 v39, exec_lo, v39
	v_xor_b32_e32 v28, s6, v28
	v_xor_b32_e32 v41, s9, v30
	v_and_b32_e32 v38, v38, v40
	v_cmp_gt_i64_e64 s[14:15], 0, v[42:43]
	v_not_b32_e32 v36, v43
	v_ashrrev_i32_e32 v35, 31, v35
	v_xor_b32_e32 v30, s8, v30
	v_xor_b32_e32 v42, s11, v34
	v_and_b32_e32 v28, v39, v28
	v_and_b32_e32 v38, v38, v41
	v_mov_b32_e32 v44, v29
	v_not_b32_e32 v37, v45
	v_ashrrev_i32_e32 v36, 31, v36
	v_xor_b32_e32 v34, s10, v34
	v_xor_b32_e32 v43, s13, v35
	v_and_b32_e32 v28, v28, v30
	v_and_b32_e32 v30, v38, v42
	v_cmp_gt_i64_e64 s[16:17], 0, v[44:45]
	v_ashrrev_i32_e32 v37, 31, v37
	v_xor_b32_e32 v35, s12, v35
	v_xor_b32_e32 v44, s15, v36
	v_and_b32_e32 v28, v28, v34
	v_and_b32_e32 v30, v30, v43
	v_xor_b32_e32 v36, s14, v36
	v_xor_b32_e32 v45, s17, v37
	v_and_b32_e32 v28, v28, v35
	v_and_b32_e32 v30, v30, v44
	;; [unrolled: 1-line block ×4, first 2 shown]
	v_mov_b32_e32 v30, v29
	v_cmp_gt_i64_e32 vcc, 0, v[30:31]
	v_not_b32_e32 v30, v31
	v_xor_b32_e32 v37, s16, v37
	v_ashrrev_i32_e32 v30, 31, v30
	v_and_b32_e32 v28, v28, v37
	v_xor_b32_e32 v31, vcc_hi, v30
	v_xor_b32_e32 v30, vcc_lo, v30
	v_and_b32_e32 v30, v28, v30
	v_and_b32_e32 v31, v36, v31
	v_mbcnt_lo_u32_b32 v28, v30, 0
	s_waitcnt vmcnt(0)
	v_mad_u64_u32 v[34:35], s[6:7], v49, v48, v[2:3]
	v_mbcnt_hi_u32_b32 v35, v31, v28
	v_mul_u32_u24_e32 v33, 5, v2
	v_lshrrev_b32_e32 v45, 6, v34
	v_cmp_eq_u32_e32 vcc, 0, v35
	v_cmp_ne_u64_e64 s[6:7], 0, v[30:31]
	v_lshlrev_b32_e32 v33, 2, v33
	v_add_lshl_u32 v38, v45, v50, 2
	s_and_b64 s[8:9], s[6:7], vcc
	ds_write2_b32 v33, v29, v29 offset0:8 offset1:9
	ds_write2_b32 v33, v29, v29 offset0:10 offset1:11
	ds_write_b32 v33, v29 offset:48
	s_waitcnt lgkmcnt(0)
	s_barrier
	s_waitcnt lgkmcnt(0)
	; wave barrier
	s_and_saveexec_b64 s[6:7], s[8:9]
	s_cbranch_execz .LBB866_31
; %bb.30:
	v_bcnt_u32_b32 v28, v30, 0
	v_bcnt_u32_b32 v28, v31, v28
	ds_write_b32 v38, v28 offset:32
.LBB866_31:
	s_or_b64 exec, exec, s[6:7]
	v_lshrrev_b64 v[30:31], s24, v[4:5]
	v_and_b32_e32 v36, s33, v30
	v_lshl_add_u32 v28, v36, 3, v36
	v_add_lshl_u32 v40, v45, v28, 2
	v_and_b32_e32 v28, 1, v36
	v_lshl_add_u64 v[30:31], v[28:29], 0, -1
	v_cmp_ne_u32_e32 vcc, 0, v28
	; wave barrier
	s_nop 1
	v_xor_b32_e32 v30, vcc_lo, v30
	v_xor_b32_e32 v28, vcc_hi, v31
	v_and_b32_e32 v37, exec_lo, v30
	v_lshlrev_b32_e32 v31, 30, v36
	v_mov_b32_e32 v30, v29
	v_cmp_gt_i64_e32 vcc, 0, v[30:31]
	v_not_b32_e32 v30, v31
	v_ashrrev_i32_e32 v30, 31, v30
	v_and_b32_e32 v28, exec_hi, v28
	v_xor_b32_e32 v31, vcc_hi, v30
	v_xor_b32_e32 v30, vcc_lo, v30
	v_and_b32_e32 v28, v28, v31
	v_and_b32_e32 v37, v37, v30
	v_lshlrev_b32_e32 v31, 29, v36
	v_mov_b32_e32 v30, v29
	v_cmp_gt_i64_e32 vcc, 0, v[30:31]
	v_not_b32_e32 v30, v31
	v_ashrrev_i32_e32 v30, 31, v30
	v_xor_b32_e32 v31, vcc_hi, v30
	v_xor_b32_e32 v30, vcc_lo, v30
	v_and_b32_e32 v28, v28, v31
	v_and_b32_e32 v37, v37, v30
	v_lshlrev_b32_e32 v31, 28, v36
	v_mov_b32_e32 v30, v29
	v_cmp_gt_i64_e32 vcc, 0, v[30:31]
	v_not_b32_e32 v30, v31
	v_ashrrev_i32_e32 v30, 31, v30
	;; [unrolled: 9-line block ×5, first 2 shown]
	v_xor_b32_e32 v31, vcc_hi, v30
	v_xor_b32_e32 v30, vcc_lo, v30
	v_and_b32_e32 v28, v28, v31
	v_lshlrev_b32_e32 v31, 24, v36
	v_and_b32_e32 v37, v37, v30
	v_mov_b32_e32 v30, v29
	v_not_b32_e32 v29, v31
	v_cmp_gt_i64_e32 vcc, 0, v[30:31]
	v_ashrrev_i32_e32 v29, 31, v29
	ds_read_b32 v34, v40 offset:32
	v_xor_b32_e32 v30, vcc_hi, v29
	v_xor_b32_e32 v31, vcc_lo, v29
	v_and_b32_e32 v29, v28, v30
	v_and_b32_e32 v28, v37, v31
	v_mbcnt_lo_u32_b32 v30, v28, 0
	v_mbcnt_hi_u32_b32 v36, v29, v30
	v_cmp_eq_u32_e32 vcc, 0, v36
	v_cmp_ne_u64_e64 s[6:7], 0, v[28:29]
	s_and_b64 s[8:9], s[6:7], vcc
	; wave barrier
	s_and_saveexec_b64 s[6:7], s[8:9]
	s_cbranch_execz .LBB866_33
; %bb.32:
	v_bcnt_u32_b32 v28, v28, 0
	v_bcnt_u32_b32 v28, v29, v28
	s_waitcnt lgkmcnt(0)
	v_add_u32_e32 v28, v34, v28
	ds_write_b32 v40, v28 offset:32
.LBB866_33:
	s_or_b64 exec, exec, s[6:7]
	v_lshrrev_b64 v[28:29], s24, v[10:11]
	v_and_b32_e32 v39, s33, v28
	v_lshl_add_u32 v28, v39, 3, v39
	v_add_lshl_u32 v42, v45, v28, 2
	v_and_b32_e32 v28, 1, v39
	v_mov_b32_e32 v29, 0
	v_lshl_add_u64 v[30:31], v[28:29], 0, -1
	v_cmp_ne_u32_e32 vcc, 0, v28
	; wave barrier
	s_nop 1
	v_xor_b32_e32 v30, vcc_lo, v30
	v_xor_b32_e32 v28, vcc_hi, v31
	v_and_b32_e32 v41, exec_lo, v30
	v_lshlrev_b32_e32 v31, 30, v39
	v_mov_b32_e32 v30, v29
	v_cmp_gt_i64_e32 vcc, 0, v[30:31]
	v_not_b32_e32 v30, v31
	v_ashrrev_i32_e32 v30, 31, v30
	v_and_b32_e32 v28, exec_hi, v28
	v_xor_b32_e32 v31, vcc_hi, v30
	v_xor_b32_e32 v30, vcc_lo, v30
	v_and_b32_e32 v28, v28, v31
	v_and_b32_e32 v41, v41, v30
	v_lshlrev_b32_e32 v31, 29, v39
	v_mov_b32_e32 v30, v29
	v_cmp_gt_i64_e32 vcc, 0, v[30:31]
	v_not_b32_e32 v30, v31
	v_ashrrev_i32_e32 v30, 31, v30
	v_xor_b32_e32 v31, vcc_hi, v30
	v_xor_b32_e32 v30, vcc_lo, v30
	v_and_b32_e32 v28, v28, v31
	v_and_b32_e32 v41, v41, v30
	v_lshlrev_b32_e32 v31, 28, v39
	v_mov_b32_e32 v30, v29
	v_cmp_gt_i64_e32 vcc, 0, v[30:31]
	v_not_b32_e32 v30, v31
	v_ashrrev_i32_e32 v30, 31, v30
	;; [unrolled: 9-line block ×6, first 2 shown]
	v_xor_b32_e32 v31, vcc_hi, v30
	v_xor_b32_e32 v30, vcc_lo, v30
	ds_read_b32 v37, v42 offset:32
	v_and_b32_e32 v30, v41, v30
	v_and_b32_e32 v31, v28, v31
	v_mbcnt_lo_u32_b32 v28, v30, 0
	v_mbcnt_hi_u32_b32 v39, v31, v28
	v_cmp_eq_u32_e32 vcc, 0, v39
	v_cmp_ne_u64_e64 s[6:7], 0, v[30:31]
	s_and_b64 s[8:9], s[6:7], vcc
	; wave barrier
	s_and_saveexec_b64 s[6:7], s[8:9]
	s_cbranch_execz .LBB866_35
; %bb.34:
	v_bcnt_u32_b32 v28, v30, 0
	v_bcnt_u32_b32 v28, v31, v28
	s_waitcnt lgkmcnt(0)
	v_add_u32_e32 v28, v37, v28
	ds_write_b32 v42, v28 offset:32
.LBB866_35:
	s_or_b64 exec, exec, s[6:7]
	v_lshrrev_b64 v[30:31], s24, v[8:9]
	v_and_b32_e32 v43, s33, v30
	v_lshl_add_u32 v28, v43, 3, v43
	v_add_lshl_u32 v46, v45, v28, 2
	v_and_b32_e32 v28, 1, v43
	v_lshl_add_u64 v[30:31], v[28:29], 0, -1
	v_cmp_ne_u32_e32 vcc, 0, v28
	; wave barrier
	s_nop 1
	v_xor_b32_e32 v30, vcc_lo, v30
	v_xor_b32_e32 v28, vcc_hi, v31
	v_and_b32_e32 v44, exec_lo, v30
	v_lshlrev_b32_e32 v31, 30, v43
	v_mov_b32_e32 v30, v29
	v_cmp_gt_i64_e32 vcc, 0, v[30:31]
	v_not_b32_e32 v30, v31
	v_ashrrev_i32_e32 v30, 31, v30
	v_and_b32_e32 v28, exec_hi, v28
	v_xor_b32_e32 v31, vcc_hi, v30
	v_xor_b32_e32 v30, vcc_lo, v30
	v_and_b32_e32 v28, v28, v31
	v_and_b32_e32 v44, v44, v30
	v_lshlrev_b32_e32 v31, 29, v43
	v_mov_b32_e32 v30, v29
	v_cmp_gt_i64_e32 vcc, 0, v[30:31]
	v_not_b32_e32 v30, v31
	v_ashrrev_i32_e32 v30, 31, v30
	v_xor_b32_e32 v31, vcc_hi, v30
	v_xor_b32_e32 v30, vcc_lo, v30
	v_and_b32_e32 v28, v28, v31
	v_and_b32_e32 v44, v44, v30
	v_lshlrev_b32_e32 v31, 28, v43
	v_mov_b32_e32 v30, v29
	v_cmp_gt_i64_e32 vcc, 0, v[30:31]
	v_not_b32_e32 v30, v31
	v_ashrrev_i32_e32 v30, 31, v30
	;; [unrolled: 9-line block ×5, first 2 shown]
	v_xor_b32_e32 v31, vcc_hi, v30
	v_xor_b32_e32 v30, vcc_lo, v30
	v_and_b32_e32 v28, v28, v31
	v_lshlrev_b32_e32 v31, 24, v43
	v_and_b32_e32 v44, v44, v30
	v_mov_b32_e32 v30, v29
	v_not_b32_e32 v29, v31
	v_cmp_gt_i64_e32 vcc, 0, v[30:31]
	v_ashrrev_i32_e32 v29, 31, v29
	ds_read_b32 v41, v46 offset:32
	v_xor_b32_e32 v30, vcc_hi, v29
	v_xor_b32_e32 v31, vcc_lo, v29
	v_and_b32_e32 v29, v28, v30
	v_and_b32_e32 v28, v44, v31
	v_mbcnt_lo_u32_b32 v30, v28, 0
	v_mbcnt_hi_u32_b32 v43, v29, v30
	v_cmp_eq_u32_e32 vcc, 0, v43
	v_cmp_ne_u64_e64 s[6:7], 0, v[28:29]
	s_and_b64 s[8:9], s[6:7], vcc
	; wave barrier
	s_and_saveexec_b64 s[6:7], s[8:9]
	s_cbranch_execz .LBB866_37
; %bb.36:
	v_bcnt_u32_b32 v28, v28, 0
	v_bcnt_u32_b32 v28, v29, v28
	s_waitcnt lgkmcnt(0)
	v_add_u32_e32 v28, v41, v28
	ds_write_b32 v46, v28 offset:32
.LBB866_37:
	s_or_b64 exec, exec, s[6:7]
	v_lshrrev_b64 v[28:29], s24, v[14:15]
	v_and_b32_e32 v47, s33, v28
	v_lshl_add_u32 v28, v47, 3, v47
	v_add_lshl_u32 v49, v45, v28, 2
	v_and_b32_e32 v28, 1, v47
	v_mov_b32_e32 v29, 0
	v_lshl_add_u64 v[30:31], v[28:29], 0, -1
	v_cmp_ne_u32_e32 vcc, 0, v28
	; wave barrier
	s_nop 1
	v_xor_b32_e32 v30, vcc_lo, v30
	v_xor_b32_e32 v28, vcc_hi, v31
	v_and_b32_e32 v48, exec_lo, v30
	v_lshlrev_b32_e32 v31, 30, v47
	v_mov_b32_e32 v30, v29
	v_cmp_gt_i64_e32 vcc, 0, v[30:31]
	v_not_b32_e32 v30, v31
	v_ashrrev_i32_e32 v30, 31, v30
	v_and_b32_e32 v28, exec_hi, v28
	v_xor_b32_e32 v31, vcc_hi, v30
	v_xor_b32_e32 v30, vcc_lo, v30
	v_and_b32_e32 v28, v28, v31
	v_and_b32_e32 v48, v48, v30
	v_lshlrev_b32_e32 v31, 29, v47
	v_mov_b32_e32 v30, v29
	v_cmp_gt_i64_e32 vcc, 0, v[30:31]
	v_not_b32_e32 v30, v31
	v_ashrrev_i32_e32 v30, 31, v30
	v_xor_b32_e32 v31, vcc_hi, v30
	v_xor_b32_e32 v30, vcc_lo, v30
	v_and_b32_e32 v28, v28, v31
	v_and_b32_e32 v48, v48, v30
	v_lshlrev_b32_e32 v31, 28, v47
	v_mov_b32_e32 v30, v29
	v_cmp_gt_i64_e32 vcc, 0, v[30:31]
	v_not_b32_e32 v30, v31
	v_ashrrev_i32_e32 v30, 31, v30
	;; [unrolled: 9-line block ×6, first 2 shown]
	v_xor_b32_e32 v31, vcc_hi, v30
	v_xor_b32_e32 v30, vcc_lo, v30
	ds_read_b32 v44, v49 offset:32
	v_and_b32_e32 v30, v48, v30
	v_and_b32_e32 v31, v28, v31
	v_mbcnt_lo_u32_b32 v28, v30, 0
	v_mbcnt_hi_u32_b32 v47, v31, v28
	v_cmp_eq_u32_e32 vcc, 0, v47
	v_cmp_ne_u64_e64 s[6:7], 0, v[30:31]
	s_and_b64 s[8:9], s[6:7], vcc
	; wave barrier
	s_and_saveexec_b64 s[6:7], s[8:9]
	s_cbranch_execz .LBB866_39
; %bb.38:
	v_bcnt_u32_b32 v28, v30, 0
	v_bcnt_u32_b32 v28, v31, v28
	s_waitcnt lgkmcnt(0)
	v_add_u32_e32 v28, v44, v28
	ds_write_b32 v49, v28 offset:32
.LBB866_39:
	s_or_b64 exec, exec, s[6:7]
	v_lshrrev_b64 v[30:31], s24, v[12:13]
	v_and_b32_e32 v50, s33, v30
	v_lshl_add_u32 v28, v50, 3, v50
	v_add_lshl_u32 v52, v45, v28, 2
	v_and_b32_e32 v28, 1, v50
	v_lshl_add_u64 v[30:31], v[28:29], 0, -1
	v_cmp_ne_u32_e32 vcc, 0, v28
	; wave barrier
	s_nop 1
	v_xor_b32_e32 v30, vcc_lo, v30
	v_xor_b32_e32 v28, vcc_hi, v31
	v_and_b32_e32 v51, exec_lo, v30
	v_lshlrev_b32_e32 v31, 30, v50
	v_mov_b32_e32 v30, v29
	v_cmp_gt_i64_e32 vcc, 0, v[30:31]
	v_not_b32_e32 v30, v31
	v_ashrrev_i32_e32 v30, 31, v30
	v_and_b32_e32 v28, exec_hi, v28
	v_xor_b32_e32 v31, vcc_hi, v30
	v_xor_b32_e32 v30, vcc_lo, v30
	v_and_b32_e32 v28, v28, v31
	v_and_b32_e32 v51, v51, v30
	v_lshlrev_b32_e32 v31, 29, v50
	v_mov_b32_e32 v30, v29
	v_cmp_gt_i64_e32 vcc, 0, v[30:31]
	v_not_b32_e32 v30, v31
	v_ashrrev_i32_e32 v30, 31, v30
	v_xor_b32_e32 v31, vcc_hi, v30
	v_xor_b32_e32 v30, vcc_lo, v30
	v_and_b32_e32 v28, v28, v31
	v_and_b32_e32 v51, v51, v30
	v_lshlrev_b32_e32 v31, 28, v50
	v_mov_b32_e32 v30, v29
	v_cmp_gt_i64_e32 vcc, 0, v[30:31]
	v_not_b32_e32 v30, v31
	v_ashrrev_i32_e32 v30, 31, v30
	;; [unrolled: 9-line block ×5, first 2 shown]
	v_xor_b32_e32 v31, vcc_hi, v30
	v_xor_b32_e32 v30, vcc_lo, v30
	v_and_b32_e32 v28, v28, v31
	v_lshlrev_b32_e32 v31, 24, v50
	v_and_b32_e32 v51, v51, v30
	v_mov_b32_e32 v30, v29
	v_not_b32_e32 v29, v31
	v_cmp_gt_i64_e32 vcc, 0, v[30:31]
	v_ashrrev_i32_e32 v29, 31, v29
	ds_read_b32 v48, v52 offset:32
	v_xor_b32_e32 v30, vcc_hi, v29
	v_xor_b32_e32 v31, vcc_lo, v29
	v_and_b32_e32 v29, v28, v30
	v_and_b32_e32 v28, v51, v31
	v_mbcnt_lo_u32_b32 v30, v28, 0
	v_mbcnt_hi_u32_b32 v50, v29, v30
	v_cmp_eq_u32_e32 vcc, 0, v50
	v_cmp_ne_u64_e64 s[6:7], 0, v[28:29]
	s_and_b64 s[8:9], s[6:7], vcc
	; wave barrier
	s_and_saveexec_b64 s[6:7], s[8:9]
	s_cbranch_execz .LBB866_41
; %bb.40:
	v_bcnt_u32_b32 v28, v28, 0
	v_bcnt_u32_b32 v28, v29, v28
	s_waitcnt lgkmcnt(0)
	v_add_u32_e32 v28, v48, v28
	ds_write_b32 v52, v28 offset:32
.LBB866_41:
	s_or_b64 exec, exec, s[6:7]
	v_lshrrev_b64 v[28:29], s24, v[18:19]
	v_and_b32_e32 v53, s33, v28
	v_lshl_add_u32 v28, v53, 3, v53
	v_add_lshl_u32 v55, v45, v28, 2
	v_and_b32_e32 v28, 1, v53
	v_mov_b32_e32 v29, 0
	v_lshl_add_u64 v[30:31], v[28:29], 0, -1
	v_cmp_ne_u32_e32 vcc, 0, v28
	; wave barrier
	s_nop 1
	v_xor_b32_e32 v30, vcc_lo, v30
	v_xor_b32_e32 v28, vcc_hi, v31
	v_and_b32_e32 v54, exec_lo, v30
	v_lshlrev_b32_e32 v31, 30, v53
	v_mov_b32_e32 v30, v29
	v_cmp_gt_i64_e32 vcc, 0, v[30:31]
	v_not_b32_e32 v30, v31
	v_ashrrev_i32_e32 v30, 31, v30
	v_and_b32_e32 v28, exec_hi, v28
	v_xor_b32_e32 v31, vcc_hi, v30
	v_xor_b32_e32 v30, vcc_lo, v30
	v_and_b32_e32 v28, v28, v31
	v_and_b32_e32 v54, v54, v30
	v_lshlrev_b32_e32 v31, 29, v53
	v_mov_b32_e32 v30, v29
	v_cmp_gt_i64_e32 vcc, 0, v[30:31]
	v_not_b32_e32 v30, v31
	v_ashrrev_i32_e32 v30, 31, v30
	v_xor_b32_e32 v31, vcc_hi, v30
	v_xor_b32_e32 v30, vcc_lo, v30
	v_and_b32_e32 v28, v28, v31
	v_and_b32_e32 v54, v54, v30
	v_lshlrev_b32_e32 v31, 28, v53
	v_mov_b32_e32 v30, v29
	v_cmp_gt_i64_e32 vcc, 0, v[30:31]
	v_not_b32_e32 v30, v31
	v_ashrrev_i32_e32 v30, 31, v30
	;; [unrolled: 9-line block ×6, first 2 shown]
	v_xor_b32_e32 v31, vcc_hi, v30
	v_xor_b32_e32 v30, vcc_lo, v30
	ds_read_b32 v51, v55 offset:32
	v_and_b32_e32 v30, v54, v30
	v_and_b32_e32 v31, v28, v31
	v_mbcnt_lo_u32_b32 v28, v30, 0
	v_mbcnt_hi_u32_b32 v53, v31, v28
	v_cmp_eq_u32_e32 vcc, 0, v53
	v_cmp_ne_u64_e64 s[6:7], 0, v[30:31]
	s_and_b64 s[8:9], s[6:7], vcc
	; wave barrier
	s_and_saveexec_b64 s[6:7], s[8:9]
	s_cbranch_execz .LBB866_43
; %bb.42:
	v_bcnt_u32_b32 v28, v30, 0
	v_bcnt_u32_b32 v28, v31, v28
	s_waitcnt lgkmcnt(0)
	v_add_u32_e32 v28, v51, v28
	ds_write_b32 v55, v28 offset:32
.LBB866_43:
	s_or_b64 exec, exec, s[6:7]
	v_lshrrev_b64 v[30:31], s24, v[16:17]
	v_and_b32_e32 v56, s33, v30
	v_lshl_add_u32 v28, v56, 3, v56
	v_add_lshl_u32 v58, v45, v28, 2
	v_and_b32_e32 v28, 1, v56
	v_lshl_add_u64 v[30:31], v[28:29], 0, -1
	v_cmp_ne_u32_e32 vcc, 0, v28
	; wave barrier
	s_nop 1
	v_xor_b32_e32 v30, vcc_lo, v30
	v_xor_b32_e32 v28, vcc_hi, v31
	v_and_b32_e32 v57, exec_lo, v30
	v_lshlrev_b32_e32 v31, 30, v56
	v_mov_b32_e32 v30, v29
	v_cmp_gt_i64_e32 vcc, 0, v[30:31]
	v_not_b32_e32 v30, v31
	v_ashrrev_i32_e32 v30, 31, v30
	v_and_b32_e32 v28, exec_hi, v28
	v_xor_b32_e32 v31, vcc_hi, v30
	v_xor_b32_e32 v30, vcc_lo, v30
	v_and_b32_e32 v28, v28, v31
	v_and_b32_e32 v57, v57, v30
	v_lshlrev_b32_e32 v31, 29, v56
	v_mov_b32_e32 v30, v29
	v_cmp_gt_i64_e32 vcc, 0, v[30:31]
	v_not_b32_e32 v30, v31
	v_ashrrev_i32_e32 v30, 31, v30
	v_xor_b32_e32 v31, vcc_hi, v30
	v_xor_b32_e32 v30, vcc_lo, v30
	v_and_b32_e32 v28, v28, v31
	v_and_b32_e32 v57, v57, v30
	v_lshlrev_b32_e32 v31, 28, v56
	v_mov_b32_e32 v30, v29
	v_cmp_gt_i64_e32 vcc, 0, v[30:31]
	v_not_b32_e32 v30, v31
	v_ashrrev_i32_e32 v30, 31, v30
	;; [unrolled: 9-line block ×5, first 2 shown]
	v_xor_b32_e32 v31, vcc_hi, v30
	v_xor_b32_e32 v30, vcc_lo, v30
	v_and_b32_e32 v28, v28, v31
	v_lshlrev_b32_e32 v31, 24, v56
	v_and_b32_e32 v57, v57, v30
	v_mov_b32_e32 v30, v29
	v_not_b32_e32 v29, v31
	v_cmp_gt_i64_e32 vcc, 0, v[30:31]
	v_ashrrev_i32_e32 v29, 31, v29
	ds_read_b32 v54, v58 offset:32
	v_xor_b32_e32 v30, vcc_hi, v29
	v_xor_b32_e32 v31, vcc_lo, v29
	v_and_b32_e32 v29, v28, v30
	v_and_b32_e32 v28, v57, v31
	v_mbcnt_lo_u32_b32 v30, v28, 0
	v_mbcnt_hi_u32_b32 v56, v29, v30
	v_cmp_eq_u32_e32 vcc, 0, v56
	v_cmp_ne_u64_e64 s[6:7], 0, v[28:29]
	s_and_b64 s[8:9], s[6:7], vcc
	; wave barrier
	s_and_saveexec_b64 s[6:7], s[8:9]
	s_cbranch_execz .LBB866_45
; %bb.44:
	v_bcnt_u32_b32 v28, v28, 0
	v_bcnt_u32_b32 v28, v29, v28
	s_waitcnt lgkmcnt(0)
	v_add_u32_e32 v28, v54, v28
	ds_write_b32 v58, v28 offset:32
.LBB866_45:
	s_or_b64 exec, exec, s[6:7]
	v_lshrrev_b64 v[28:29], s24, v[22:23]
	v_and_b32_e32 v59, s33, v28
	v_lshl_add_u32 v28, v59, 3, v59
	v_add_lshl_u32 v61, v45, v28, 2
	v_and_b32_e32 v28, 1, v59
	v_mov_b32_e32 v29, 0
	v_lshl_add_u64 v[30:31], v[28:29], 0, -1
	v_cmp_ne_u32_e32 vcc, 0, v28
	; wave barrier
	s_nop 1
	v_xor_b32_e32 v30, vcc_lo, v30
	v_xor_b32_e32 v28, vcc_hi, v31
	v_and_b32_e32 v60, exec_lo, v30
	v_lshlrev_b32_e32 v31, 30, v59
	v_mov_b32_e32 v30, v29
	v_cmp_gt_i64_e32 vcc, 0, v[30:31]
	v_not_b32_e32 v30, v31
	v_ashrrev_i32_e32 v30, 31, v30
	v_and_b32_e32 v28, exec_hi, v28
	v_xor_b32_e32 v31, vcc_hi, v30
	v_xor_b32_e32 v30, vcc_lo, v30
	v_and_b32_e32 v28, v28, v31
	v_and_b32_e32 v60, v60, v30
	v_lshlrev_b32_e32 v31, 29, v59
	v_mov_b32_e32 v30, v29
	v_cmp_gt_i64_e32 vcc, 0, v[30:31]
	v_not_b32_e32 v30, v31
	v_ashrrev_i32_e32 v30, 31, v30
	v_xor_b32_e32 v31, vcc_hi, v30
	v_xor_b32_e32 v30, vcc_lo, v30
	v_and_b32_e32 v28, v28, v31
	v_and_b32_e32 v60, v60, v30
	v_lshlrev_b32_e32 v31, 28, v59
	v_mov_b32_e32 v30, v29
	v_cmp_gt_i64_e32 vcc, 0, v[30:31]
	v_not_b32_e32 v30, v31
	v_ashrrev_i32_e32 v30, 31, v30
	;; [unrolled: 9-line block ×6, first 2 shown]
	v_xor_b32_e32 v31, vcc_hi, v30
	v_xor_b32_e32 v30, vcc_lo, v30
	ds_read_b32 v57, v61 offset:32
	v_and_b32_e32 v30, v60, v30
	v_and_b32_e32 v31, v28, v31
	v_mbcnt_lo_u32_b32 v28, v30, 0
	v_mbcnt_hi_u32_b32 v59, v31, v28
	v_cmp_eq_u32_e32 vcc, 0, v59
	v_cmp_ne_u64_e64 s[6:7], 0, v[30:31]
	s_and_b64 s[8:9], s[6:7], vcc
	; wave barrier
	s_and_saveexec_b64 s[6:7], s[8:9]
	s_cbranch_execz .LBB866_47
; %bb.46:
	v_bcnt_u32_b32 v28, v30, 0
	v_bcnt_u32_b32 v28, v31, v28
	s_waitcnt lgkmcnt(0)
	v_add_u32_e32 v28, v57, v28
	ds_write_b32 v61, v28 offset:32
.LBB866_47:
	s_or_b64 exec, exec, s[6:7]
	v_lshrrev_b64 v[30:31], s24, v[20:21]
	v_and_b32_e32 v62, s33, v30
	v_lshl_add_u32 v28, v62, 3, v62
	v_add_lshl_u32 v64, v45, v28, 2
	v_and_b32_e32 v28, 1, v62
	v_lshl_add_u64 v[30:31], v[28:29], 0, -1
	v_cmp_ne_u32_e32 vcc, 0, v28
	; wave barrier
	s_nop 1
	v_xor_b32_e32 v30, vcc_lo, v30
	v_xor_b32_e32 v28, vcc_hi, v31
	v_and_b32_e32 v63, exec_lo, v30
	v_lshlrev_b32_e32 v31, 30, v62
	v_mov_b32_e32 v30, v29
	v_cmp_gt_i64_e32 vcc, 0, v[30:31]
	v_not_b32_e32 v30, v31
	v_ashrrev_i32_e32 v30, 31, v30
	v_and_b32_e32 v28, exec_hi, v28
	v_xor_b32_e32 v31, vcc_hi, v30
	v_xor_b32_e32 v30, vcc_lo, v30
	v_and_b32_e32 v28, v28, v31
	v_and_b32_e32 v63, v63, v30
	v_lshlrev_b32_e32 v31, 29, v62
	v_mov_b32_e32 v30, v29
	v_cmp_gt_i64_e32 vcc, 0, v[30:31]
	v_not_b32_e32 v30, v31
	v_ashrrev_i32_e32 v30, 31, v30
	v_xor_b32_e32 v31, vcc_hi, v30
	v_xor_b32_e32 v30, vcc_lo, v30
	v_and_b32_e32 v28, v28, v31
	v_and_b32_e32 v63, v63, v30
	v_lshlrev_b32_e32 v31, 28, v62
	v_mov_b32_e32 v30, v29
	v_cmp_gt_i64_e32 vcc, 0, v[30:31]
	v_not_b32_e32 v30, v31
	v_ashrrev_i32_e32 v30, 31, v30
	;; [unrolled: 9-line block ×5, first 2 shown]
	v_xor_b32_e32 v31, vcc_hi, v30
	v_xor_b32_e32 v30, vcc_lo, v30
	v_and_b32_e32 v28, v28, v31
	v_lshlrev_b32_e32 v31, 24, v62
	v_and_b32_e32 v63, v63, v30
	v_mov_b32_e32 v30, v29
	v_not_b32_e32 v29, v31
	v_cmp_gt_i64_e32 vcc, 0, v[30:31]
	v_ashrrev_i32_e32 v29, 31, v29
	ds_read_b32 v60, v64 offset:32
	v_xor_b32_e32 v30, vcc_hi, v29
	v_xor_b32_e32 v31, vcc_lo, v29
	v_and_b32_e32 v29, v28, v30
	v_and_b32_e32 v28, v63, v31
	v_mbcnt_lo_u32_b32 v30, v28, 0
	v_mbcnt_hi_u32_b32 v62, v29, v30
	v_cmp_eq_u32_e32 vcc, 0, v62
	v_cmp_ne_u64_e64 s[6:7], 0, v[28:29]
	s_and_b64 s[8:9], s[6:7], vcc
	; wave barrier
	s_and_saveexec_b64 s[6:7], s[8:9]
	s_cbranch_execz .LBB866_49
; %bb.48:
	v_bcnt_u32_b32 v28, v28, 0
	v_bcnt_u32_b32 v28, v29, v28
	s_waitcnt lgkmcnt(0)
	v_add_u32_e32 v28, v60, v28
	ds_write_b32 v64, v28 offset:32
.LBB866_49:
	s_or_b64 exec, exec, s[6:7]
	v_lshrrev_b64 v[28:29], s24, v[26:27]
	v_and_b32_e32 v65, s33, v28
	v_lshl_add_u32 v28, v65, 3, v65
	v_add_lshl_u32 v66, v45, v28, 2
	v_and_b32_e32 v28, 1, v65
	v_mov_b32_e32 v29, 0
	v_lshl_add_u64 v[30:31], v[28:29], 0, -1
	v_cmp_ne_u32_e32 vcc, 0, v28
	; wave barrier
	s_nop 1
	v_xor_b32_e32 v30, vcc_lo, v30
	v_xor_b32_e32 v28, vcc_hi, v31
	v_and_b32_e32 v67, exec_lo, v30
	v_lshlrev_b32_e32 v31, 30, v65
	v_mov_b32_e32 v30, v29
	v_cmp_gt_i64_e32 vcc, 0, v[30:31]
	v_not_b32_e32 v30, v31
	v_ashrrev_i32_e32 v30, 31, v30
	v_and_b32_e32 v28, exec_hi, v28
	v_xor_b32_e32 v31, vcc_hi, v30
	v_xor_b32_e32 v30, vcc_lo, v30
	v_and_b32_e32 v28, v28, v31
	v_and_b32_e32 v67, v67, v30
	v_lshlrev_b32_e32 v31, 29, v65
	v_mov_b32_e32 v30, v29
	v_cmp_gt_i64_e32 vcc, 0, v[30:31]
	v_not_b32_e32 v30, v31
	v_ashrrev_i32_e32 v30, 31, v30
	v_xor_b32_e32 v31, vcc_hi, v30
	v_xor_b32_e32 v30, vcc_lo, v30
	v_and_b32_e32 v28, v28, v31
	v_and_b32_e32 v67, v67, v30
	v_lshlrev_b32_e32 v31, 28, v65
	v_mov_b32_e32 v30, v29
	v_cmp_gt_i64_e32 vcc, 0, v[30:31]
	v_not_b32_e32 v30, v31
	v_ashrrev_i32_e32 v30, 31, v30
	;; [unrolled: 9-line block ×6, first 2 shown]
	v_xor_b32_e32 v31, vcc_hi, v30
	v_xor_b32_e32 v30, vcc_lo, v30
	ds_read_b32 v63, v66 offset:32
	v_and_b32_e32 v30, v67, v30
	v_and_b32_e32 v31, v28, v31
	v_mbcnt_lo_u32_b32 v28, v30, 0
	v_mbcnt_hi_u32_b32 v65, v31, v28
	v_cmp_eq_u32_e32 vcc, 0, v65
	v_cmp_ne_u64_e64 s[6:7], 0, v[30:31]
	s_and_b64 s[8:9], s[6:7], vcc
	; wave barrier
	s_and_saveexec_b64 s[6:7], s[8:9]
	s_cbranch_execz .LBB866_51
; %bb.50:
	v_bcnt_u32_b32 v28, v30, 0
	v_bcnt_u32_b32 v28, v31, v28
	s_waitcnt lgkmcnt(0)
	v_add_u32_e32 v28, v63, v28
	ds_write_b32 v66, v28 offset:32
.LBB866_51:
	s_or_b64 exec, exec, s[6:7]
	v_lshrrev_b64 v[30:31], s24, v[24:25]
	v_and_b32_e32 v67, s33, v30
	v_lshl_add_u32 v28, v67, 3, v67
	v_add_lshl_u32 v68, v45, v28, 2
	v_and_b32_e32 v28, 1, v67
	v_lshl_add_u64 v[30:31], v[28:29], 0, -1
	v_cmp_ne_u32_e32 vcc, 0, v28
	; wave barrier
	s_nop 1
	v_xor_b32_e32 v30, vcc_lo, v30
	v_xor_b32_e32 v28, vcc_hi, v31
	v_and_b32_e32 v70, exec_lo, v30
	v_lshlrev_b32_e32 v31, 30, v67
	v_mov_b32_e32 v30, v29
	v_cmp_gt_i64_e32 vcc, 0, v[30:31]
	v_not_b32_e32 v30, v31
	v_ashrrev_i32_e32 v30, 31, v30
	v_and_b32_e32 v28, exec_hi, v28
	v_xor_b32_e32 v31, vcc_hi, v30
	v_xor_b32_e32 v30, vcc_lo, v30
	v_and_b32_e32 v28, v28, v31
	v_and_b32_e32 v70, v70, v30
	v_lshlrev_b32_e32 v31, 29, v67
	v_mov_b32_e32 v30, v29
	v_cmp_gt_i64_e32 vcc, 0, v[30:31]
	v_not_b32_e32 v30, v31
	v_ashrrev_i32_e32 v30, 31, v30
	v_xor_b32_e32 v31, vcc_hi, v30
	v_xor_b32_e32 v30, vcc_lo, v30
	v_and_b32_e32 v28, v28, v31
	v_and_b32_e32 v70, v70, v30
	v_lshlrev_b32_e32 v31, 28, v67
	v_mov_b32_e32 v30, v29
	v_cmp_gt_i64_e32 vcc, 0, v[30:31]
	v_not_b32_e32 v30, v31
	v_ashrrev_i32_e32 v30, 31, v30
	;; [unrolled: 9-line block ×5, first 2 shown]
	v_xor_b32_e32 v31, vcc_hi, v30
	v_xor_b32_e32 v30, vcc_lo, v30
	v_and_b32_e32 v28, v28, v31
	v_lshlrev_b32_e32 v31, 24, v67
	v_and_b32_e32 v70, v70, v30
	v_mov_b32_e32 v30, v29
	v_not_b32_e32 v29, v31
	v_cmp_gt_i64_e32 vcc, 0, v[30:31]
	v_ashrrev_i32_e32 v29, 31, v29
	ds_read_b32 v45, v68 offset:32
	v_xor_b32_e32 v30, vcc_hi, v29
	v_xor_b32_e32 v31, vcc_lo, v29
	v_and_b32_e32 v29, v28, v30
	v_and_b32_e32 v28, v70, v31
	v_mbcnt_lo_u32_b32 v30, v28, 0
	v_mbcnt_hi_u32_b32 v67, v29, v30
	v_cmp_eq_u32_e32 vcc, 0, v67
	v_cmp_ne_u64_e64 s[6:7], 0, v[28:29]
	v_add_u32_e32 v69, 32, v33
	s_and_b64 s[8:9], s[6:7], vcc
	; wave barrier
	s_and_saveexec_b64 s[6:7], s[8:9]
	s_cbranch_execz .LBB866_53
; %bb.52:
	v_bcnt_u32_b32 v28, v28, 0
	v_bcnt_u32_b32 v28, v29, v28
	s_waitcnt lgkmcnt(0)
	v_add_u32_e32 v28, v45, v28
	ds_write_b32 v68, v28 offset:32
.LBB866_53:
	s_or_b64 exec, exec, s[6:7]
	; wave barrier
	s_waitcnt lgkmcnt(0)
	s_barrier
	ds_read2_b32 v[30:31], v33 offset0:8 offset1:9
	ds_read2_b32 v[28:29], v69 offset0:2 offset1:3
	ds_read_b32 v70, v69 offset:16
	v_min_u32_e32 v32, 0x1c0, v32
	v_or_b32_e32 v32, 63, v32
	s_waitcnt lgkmcnt(1)
	v_add3_u32 v71, v31, v30, v28
	s_waitcnt lgkmcnt(0)
	v_add3_u32 v70, v71, v29, v70
	v_and_b32_e32 v71, 15, v3
	v_cmp_ne_u32_e32 vcc, 0, v71
	v_mov_b32_dpp v72, v70 row_shr:1 row_mask:0xf bank_mask:0xf
	s_nop 0
	v_cndmask_b32_e32 v72, 0, v72, vcc
	v_add_u32_e32 v70, v72, v70
	v_cmp_lt_u32_e32 vcc, 1, v71
	s_nop 0
	v_mov_b32_dpp v72, v70 row_shr:2 row_mask:0xf bank_mask:0xf
	v_cndmask_b32_e32 v72, 0, v72, vcc
	v_add_u32_e32 v70, v70, v72
	v_cmp_lt_u32_e32 vcc, 3, v71
	s_nop 0
	v_mov_b32_dpp v72, v70 row_shr:4 row_mask:0xf bank_mask:0xf
	;; [unrolled: 5-line block ×3, first 2 shown]
	v_cndmask_b32_e32 v71, 0, v72, vcc
	v_add_u32_e32 v70, v70, v71
	v_bfe_i32 v72, v3, 4, 1
	v_cmp_lt_u32_e32 vcc, 31, v3
	v_mov_b32_dpp v71, v70 row_bcast:15 row_mask:0xf bank_mask:0xf
	v_and_b32_e32 v71, v72, v71
	v_add_u32_e32 v70, v70, v71
	s_nop 1
	v_mov_b32_dpp v71, v70 row_bcast:31 row_mask:0xf bank_mask:0xf
	v_cndmask_b32_e32 v71, 0, v71, vcc
	v_add_u32_e32 v70, v70, v71
	v_lshrrev_b32_e32 v71, 6, v2
	v_cmp_eq_u32_e32 vcc, v32, v2
	s_and_saveexec_b64 s[6:7], vcc
	s_cbranch_execz .LBB866_55
; %bb.54:
	v_lshlrev_b32_e32 v32, 2, v71
	ds_write_b32 v32, v70
.LBB866_55:
	s_or_b64 exec, exec, s[6:7]
	v_cmp_gt_u32_e32 vcc, 8, v2
	s_waitcnt lgkmcnt(0)
	s_barrier
	s_and_saveexec_b64 s[6:7], vcc
	s_cbranch_execz .LBB866_57
; %bb.56:
	v_lshlrev_b32_e32 v32, 2, v2
	ds_read_b32 v72, v32
	v_and_b32_e32 v73, 7, v3
	v_cmp_ne_u32_e32 vcc, 0, v73
	s_waitcnt lgkmcnt(0)
	v_mov_b32_dpp v74, v72 row_shr:1 row_mask:0xf bank_mask:0xf
	v_cndmask_b32_e32 v74, 0, v74, vcc
	v_add_u32_e32 v72, v74, v72
	v_cmp_lt_u32_e32 vcc, 1, v73
	s_nop 0
	v_mov_b32_dpp v74, v72 row_shr:2 row_mask:0xf bank_mask:0xf
	v_cndmask_b32_e32 v74, 0, v74, vcc
	v_add_u32_e32 v72, v72, v74
	v_cmp_lt_u32_e32 vcc, 3, v73
	s_nop 0
	v_mov_b32_dpp v74, v72 row_shr:4 row_mask:0xf bank_mask:0xf
	v_cndmask_b32_e32 v73, 0, v74, vcc
	v_add_u32_e32 v72, v72, v73
	ds_write_b32 v32, v72
.LBB866_57:
	s_or_b64 exec, exec, s[6:7]
	v_cmp_lt_u32_e32 vcc, 63, v2
	v_mov_b32_e32 v32, 0
	s_waitcnt lgkmcnt(0)
	s_barrier
	s_and_saveexec_b64 s[6:7], vcc
	s_cbranch_execz .LBB866_59
; %bb.58:
	v_lshl_add_u32 v32, v71, 2, -4
	ds_read_b32 v32, v32
.LBB866_59:
	s_or_b64 exec, exec, s[6:7]
	v_add_u32_e32 v71, -1, v3
	v_and_b32_e32 v72, 64, v3
	v_cmp_lt_i32_e32 vcc, v71, v72
	s_waitcnt lgkmcnt(0)
	v_add_u32_e32 v70, v32, v70
	s_movk_i32 s6, 0x100
	v_cndmask_b32_e32 v71, v71, v3, vcc
	v_lshlrev_b32_e32 v71, 2, v71
	ds_bpermute_b32 v70, v71, v70
	v_cmp_eq_u32_e32 vcc, 0, v3
	s_waitcnt lgkmcnt(0)
	s_nop 0
	v_cndmask_b32_e32 v3, v70, v32, vcc
	v_cndmask_b32_e64 v3, v3, 0, s[4:5]
	v_add_u32_e32 v30, v3, v30
	v_add_u32_e32 v31, v30, v31
	;; [unrolled: 1-line block ×4, first 2 shown]
	ds_write2_b32 v33, v3, v30 offset0:8 offset1:9
	ds_write2_b32 v69, v31, v28 offset0:2 offset1:3
	ds_write_b32 v69, v29 offset:16
	s_waitcnt lgkmcnt(0)
	s_barrier
	ds_read_b32 v75, v38 offset:32
	ds_read_b32 v69, v40 offset:32
	;; [unrolled: 1-line block ×12, first 2 shown]
	v_cmp_gt_u32_e32 vcc, s6, v2
                                        ; implicit-def: $vgpr3
                                        ; implicit-def: $vgpr38
	s_and_saveexec_b64 s[8:9], vcc
	s_cbranch_execz .LBB866_63
; %bb.60:
	v_mul_u32_u24_e32 v3, 9, v2
	v_lshlrev_b32_e32 v29, 2, v3
	ds_read_b32 v3, v29 offset:32
	s_movk_i32 s6, 0xff
	v_cmp_ne_u32_e64 s[6:7], s6, v2
	v_mov_b32_e32 v28, 0x1800
	s_and_saveexec_b64 s[10:11], s[6:7]
	s_cbranch_execz .LBB866_62
; %bb.61:
	ds_read_b32 v28, v29 offset:68
.LBB866_62:
	s_or_b64 exec, exec, s[10:11]
	s_waitcnt lgkmcnt(0)
	v_sub_u32_e32 v38, v28, v3
.LBB866_63:
	s_or_b64 exec, exec, s[8:9]
	s_waitcnt lgkmcnt(0)
	s_barrier
	s_and_saveexec_b64 s[8:9], vcc
	s_cbranch_execz .LBB866_73
; %bb.64:
	v_lshl_or_b32 v30, s27, 8, v2
	v_mov_b32_e32 v31, 0
	v_lshl_add_u64 v[28:29], v[30:31], 2, s[18:19]
	v_or_b32_e32 v30, 2.0, v38
	s_mov_b64 s[10:11], 0
	s_brev_b32 s16, 1
	s_mov_b32 s17, s27
	v_mov_b32_e32 v49, 0
	global_store_dword v[28:29], v30, off sc1
                                        ; implicit-def: $sgpr6_sgpr7
	s_branch .LBB866_66
.LBB866_65:                             ;   in Loop: Header=BB866_66 Depth=1
	s_or_b64 exec, exec, s[12:13]
	v_and_b32_e32 v32, 0x3fffffff, v55
	v_add_u32_e32 v49, v32, v49
	v_cmp_eq_u32_e64 s[6:7], s16, v30
	s_and_b64 s[12:13], exec, s[6:7]
	s_or_b64 s[10:11], s[12:13], s[10:11]
	s_andn2_b64 exec, exec, s[10:11]
	s_cbranch_execz .LBB866_72
.LBB866_66:                             ; =>This Loop Header: Depth=1
                                        ;     Child Loop BB866_69 Depth 2
	s_or_b64 s[6:7], s[6:7], exec
	s_cmp_eq_u32 s17, 0
	s_cbranch_scc1 .LBB866_71
; %bb.67:                               ;   in Loop: Header=BB866_66 Depth=1
	s_add_i32 s17, s17, -1
	v_lshl_or_b32 v30, s17, 8, v2
	v_lshl_add_u64 v[32:33], v[30:31], 2, s[18:19]
	global_load_dword v55, v[32:33], off sc1
	s_waitcnt vmcnt(0)
	v_and_b32_e32 v30, -2.0, v55
	v_cmp_eq_u32_e64 s[6:7], 0, v30
	s_and_saveexec_b64 s[12:13], s[6:7]
	s_cbranch_execz .LBB866_65
; %bb.68:                               ;   in Loop: Header=BB866_66 Depth=1
	s_mov_b64 s[14:15], 0
.LBB866_69:                             ;   Parent Loop BB866_66 Depth=1
                                        ; =>  This Inner Loop Header: Depth=2
	global_load_dword v55, v[32:33], off sc1
	s_waitcnt vmcnt(0)
	v_and_b32_e32 v30, -2.0, v55
	v_cmp_ne_u32_e64 s[6:7], 0, v30
	s_or_b64 s[14:15], s[6:7], s[14:15]
	s_andn2_b64 exec, exec, s[14:15]
	s_cbranch_execnz .LBB866_69
; %bb.70:                               ;   in Loop: Header=BB866_66 Depth=1
	s_or_b64 exec, exec, s[14:15]
	s_branch .LBB866_65
.LBB866_71:                             ;   in Loop: Header=BB866_66 Depth=1
                                        ; implicit-def: $sgpr17
	s_and_b64 s[12:13], exec, s[6:7]
	s_or_b64 s[10:11], s[12:13], s[10:11]
	s_andn2_b64 exec, exec, s[10:11]
	s_cbranch_execnz .LBB866_66
.LBB866_72:
	s_or_b64 exec, exec, s[10:11]
	v_add_u32_e32 v30, v49, v38
	v_or_b32_e32 v30, 0x80000000, v30
	global_store_dword v[28:29], v30, off sc1
	v_lshlrev_b32_e32 v28, 2, v2
	global_load_dword v29, v28, s[20:21]
	v_sub_u32_e32 v30, v49, v3
	s_waitcnt vmcnt(0)
	v_add_u32_e32 v29, v30, v29
	ds_write_b32 v28, v29
.LBB866_73:
	s_or_b64 exec, exec, s[8:9]
	v_add_u32_e32 v30, v75, v35
	v_add3_u32 v28, v36, v34, v69
	v_add3_u32 v29, v39, v37, v70
	;; [unrolled: 1-line block ×11, first 2 shown]
	v_lshlrev_b32_e32 v31, 3, v2
	v_mov_b32_e32 v77, 0x400
	s_movk_i32 s10, 0x400
	v_add_u32_e32 v32, 0x400, v31
	v_lshl_add_u32 v33, v33, 3, v77
	v_add3_u32 v35, v67, v40, v45
	v_lshl_add_u32 v40, v76, 3, v77
	v_add3_u32 v42, v65, v42, v63
	;; [unrolled: 2-line block ×11, first 2 shown]
	v_lshl_add_u32 v36, v30, 3, v77
	s_mov_b32 s11, 0
	v_mov_b32_e32 v29, 0
	s_movk_i32 s12, 0x200
	v_mov_b32_e32 v57, v2
	s_mov_b32 s13, 0
	s_branch .LBB866_75
.LBB866_74:                             ;   in Loop: Header=BB866_75 Depth=1
	s_or_b64 exec, exec, s[8:9]
	s_addk_i32 s13, 0xe000
	s_addk_i32 s11, 0xfc00
	s_cmp_eq_u32 s13, 0xffff4000
	v_add_u32_e32 v57, 0x400, v57
	s_barrier
	s_cbranch_scc1 .LBB866_104
.LBB866_75:                             ; =>This Inner Loop Header: Depth=1
	v_add_u32_e32 v28, s11, v30
	v_cmp_gt_u32_e64 s[6:7], s10, v28
	s_and_saveexec_b64 s[8:9], s[6:7]
	s_cbranch_execz .LBB866_77
; %bb.76:                               ;   in Loop: Header=BB866_75 Depth=1
	v_add_u32_e32 v28, s13, v36
	ds_write_b64 v28, v[6:7]
.LBB866_77:                             ;   in Loop: Header=BB866_75 Depth=1
	s_or_b64 exec, exec, s[8:9]
	v_add_u32_e32 v28, s11, v34
	v_cmp_gt_u32_e64 s[6:7], s10, v28
	s_and_saveexec_b64 s[8:9], s[6:7]
	s_cbranch_execz .LBB866_79
; %bb.78:                               ;   in Loop: Header=BB866_75 Depth=1
	v_add_u32_e32 v28, s13, v39
	ds_write_b64 v28, v[4:5]
.LBB866_79:                             ;   in Loop: Header=BB866_75 Depth=1
	s_or_b64 exec, exec, s[8:9]
	;; [unrolled: 9-line block ×12, first 2 shown]
	v_cmp_gt_u32_e64 s[6:7], s3, v57
	s_waitcnt lgkmcnt(0)
	s_barrier
	s_and_saveexec_b64 s[8:9], s[6:7]
	s_cbranch_execz .LBB866_101
; %bb.100:                              ;   in Loop: Header=BB866_75 Depth=1
	ds_read_b64 v[58:59], v31 offset:1024
	s_waitcnt lgkmcnt(0)
	v_lshrrev_b64 v[60:61], s24, v[58:59]
	v_and_b32_e32 v28, s33, v60
	v_lshlrev_b32_e32 v28, 2, v28
	ds_read_b32 v28, v28
	s_waitcnt lgkmcnt(0)
	v_add_u32_e32 v28, v57, v28
	v_lshl_add_u64 v[60:61], v[28:29], 3, s[30:31]
	global_store_dwordx2 v[60:61], v[58:59], off
.LBB866_101:                            ;   in Loop: Header=BB866_75 Depth=1
	s_or_b64 exec, exec, s[8:9]
	v_add_u32_e32 v28, 0x200, v57
	v_cmp_gt_u32_e64 s[6:7], s3, v28
	s_and_saveexec_b64 s[8:9], s[6:7]
	s_cbranch_execz .LBB866_74
; %bb.102:                              ;   in Loop: Header=BB866_75 Depth=1
	ds_read_b64 v[58:59], v32 offset:4096
	s_waitcnt lgkmcnt(0)
	v_lshrrev_b64 v[60:61], s24, v[58:59]
	v_and_b32_e32 v28, s33, v60
	v_lshlrev_b32_e32 v28, 2, v28
	ds_read_b32 v28, v28
	s_waitcnt lgkmcnt(0)
	v_add3_u32 v28, v57, v28, s12
	v_lshl_add_u64 v[60:61], v[28:29], 3, s[30:31]
	global_store_dwordx2 v[60:61], v[58:59], off
	s_branch .LBB866_74
.LBB866_103:
	s_mov_b64 s[8:9], 0
                                        ; implicit-def: $vgpr4
	s_cbranch_execnz .LBB866_107
	s_branch .LBB866_180
.LBB866_104:
	s_add_i32 s26, s26, -1
	s_cmp_eq_u32 s26, s27
	s_cselect_b64 s[6:7], -1, 0
	s_and_b64 s[10:11], vcc, s[6:7]
	s_mov_b64 s[6:7], 0
	s_mov_b64 s[8:9], 0
                                        ; implicit-def: $vgpr4
	s_and_saveexec_b64 s[12:13], s[10:11]
	s_xor_b64 s[10:11], exec, s[12:13]
; %bb.105:
	s_mov_b64 s[8:9], exec
	v_add_u32_e32 v4, v3, v38
; %bb.106:
	s_or_b64 exec, exec, s[10:11]
	s_and_b64 vcc, exec, s[6:7]
	s_cbranch_vccz .LBB866_180
.LBB866_107:
	s_mov_b32 s35, 0
	s_lshl_b64 s[6:7], s[34:35], 3
	v_mbcnt_hi_u32_b32 v3, -1, v1
	s_add_u32 s6, s28, s6
	v_and_b32_e32 v1, 63, v3
	v_and_b32_e32 v31, 0x3c0, v2
	s_addc_u32 s7, s29, s7
	v_mov_b32_e32 v27, 0
	v_mul_u32_u24_e32 v6, 12, v31
	v_lshlrev_b32_e32 v26, 3, v1
	v_lshl_add_u64 v[4:5], s[6:7], 0, v[26:27]
	v_lshlrev_b32_e32 v26, 3, v6
	v_lshl_add_u64 v[18:19], v[4:5], 0, v[26:27]
	global_load_dwordx2 v[4:5], v[18:19], off
	s_load_dword s3, s[0:1], 0x64
	s_load_dword s12, s[0:1], 0x58
	s_add_u32 s0, s0, 0x58
	s_addc_u32 s1, s1, 0
	v_bfe_u32 v20, v0, 10, 10
	s_waitcnt lgkmcnt(0)
	s_lshr_b32 s3, s3, 16
	s_cmp_lt_u32 s2, s12
	s_cselect_b32 s2, 12, 18
	s_add_u32 s0, s0, s2
	s_addc_u32 s1, s1, 0
	global_load_ushort v38, v27, s[0:1]
	v_bfe_u32 v21, v0, 20, 10
	v_mul_u32_u24_e32 v0, 5, v2
	v_lshlrev_b32_e32 v30, 2, v0
	ds_write2_b32 v30, v27, v27 offset0:8 offset1:9
	ds_write2_b32 v30, v27, v27 offset0:10 offset1:11
	ds_write_b32 v30, v27 offset:48
	s_movk_i32 s0, 0x1000
	global_load_dwordx2 v[0:1], v[18:19], off offset:512
	global_load_dwordx2 v[6:7], v[18:19], off offset:1024
	;; [unrolled: 1-line block ×7, first 2 shown]
	v_add_co_u32_e32 v36, vcc, s0, v18
	v_mad_u32_u24 v40, v21, s3, v20
	s_nop 0
	v_addc_co_u32_e32 v37, vcc, 0, v19, vcc
	global_load_dwordx2 v[18:19], v[36:37], off
	global_load_dwordx2 v[20:21], v[36:37], off offset:512
	global_load_dwordx2 v[22:23], v[36:37], off offset:1024
	;; [unrolled: 1-line block ×3, first 2 shown]
	s_lshl_b32 s0, -1, s25
	s_not_b32 s13, s0
	v_mov_b32_e32 v28, v27
	v_mov_b32_e32 v32, v27
	;; [unrolled: 1-line block ×3, first 2 shown]
	s_waitcnt lgkmcnt(0)
	s_barrier
	s_waitcnt lgkmcnt(0)
	; wave barrier
	s_waitcnt vmcnt(12)
	v_lshrrev_b64 v[36:37], s24, v[4:5]
	v_and_b32_e32 v41, s13, v36
	v_and_b32_e32 v26, 1, v41
	v_lshlrev_b32_e32 v29, 30, v41
	v_lshlrev_b32_e32 v33, 29, v41
	;; [unrolled: 1-line block ×3, first 2 shown]
	v_lshl_add_u64 v[36:37], v[26:27], 0, -1
	v_cmp_ne_u32_e32 vcc, 0, v26
	v_cmp_gt_i64_e64 s[0:1], 0, v[28:29]
	v_not_b32_e32 v26, v29
	s_waitcnt vmcnt(11)
	v_mad_u64_u32 v[28:29], s[10:11], v40, v38, v[2:3]
	v_cmp_gt_i64_e64 s[2:3], 0, v[32:33]
	v_not_b32_e32 v32, v33
	v_cmp_gt_i64_e64 s[6:7], 0, v[34:35]
	v_xor_b32_e32 v29, vcc_hi, v37
	v_xor_b32_e32 v34, vcc_lo, v36
	v_ashrrev_i32_e32 v26, 31, v26
	v_lshlrev_b32_e32 v39, 27, v41
	v_not_b32_e32 v33, v35
	v_ashrrev_i32_e32 v32, 31, v32
	v_lshrrev_b32_e32 v43, 6, v28
	v_and_b32_e32 v28, exec_hi, v29
	v_and_b32_e32 v29, exec_lo, v34
	v_xor_b32_e32 v34, s1, v26
	v_xor_b32_e32 v26, s0, v26
	v_ashrrev_i32_e32 v33, 31, v33
	v_xor_b32_e32 v35, s3, v32
	v_xor_b32_e32 v32, s2, v32
	v_and_b32_e32 v28, v28, v34
	v_and_b32_e32 v26, v29, v26
	v_mov_b32_e32 v38, v27
	v_not_b32_e32 v29, v39
	v_xor_b32_e32 v37, s7, v33
	v_xor_b32_e32 v33, s6, v33
	v_and_b32_e32 v28, v28, v35
	v_and_b32_e32 v26, v26, v32
	v_cmp_gt_i64_e32 vcc, 0, v[38:39]
	v_ashrrev_i32_e32 v29, 31, v29
	v_and_b32_e32 v28, v28, v37
	v_and_b32_e32 v26, v26, v33
	v_xor_b32_e32 v32, vcc_hi, v29
	v_xor_b32_e32 v29, vcc_lo, v29
	v_and_b32_e32 v32, v28, v32
	v_and_b32_e32 v26, v26, v29
	v_lshlrev_b32_e32 v29, 26, v41
	v_mov_b32_e32 v28, v27
	v_cmp_gt_i64_e32 vcc, 0, v[28:29]
	v_not_b32_e32 v28, v29
	v_ashrrev_i32_e32 v28, 31, v28
	v_xor_b32_e32 v29, vcc_hi, v28
	v_xor_b32_e32 v28, vcc_lo, v28
	v_and_b32_e32 v32, v32, v29
	v_and_b32_e32 v26, v26, v28
	v_lshlrev_b32_e32 v29, 25, v41
	v_mov_b32_e32 v28, v27
	v_cmp_gt_i64_e32 vcc, 0, v[28:29]
	v_not_b32_e32 v28, v29
	v_ashrrev_i32_e32 v28, 31, v28
	;; [unrolled: 9-line block ×3, first 2 shown]
	v_xor_b32_e32 v29, vcc_hi, v28
	v_xor_b32_e32 v28, vcc_lo, v28
	v_and_b32_e32 v28, v26, v28
	v_and_b32_e32 v29, v32, v29
	v_mbcnt_lo_u32_b32 v26, v28, 0
	v_mbcnt_hi_u32_b32 v33, v29, v26
	v_lshl_add_u32 v42, v41, 3, v41
	v_cmp_eq_u32_e32 vcc, 0, v33
	v_cmp_ne_u64_e64 s[0:1], 0, v[28:29]
	v_add_lshl_u32 v36, v43, v42, 2
	s_and_b64 s[2:3], s[0:1], vcc
	s_and_saveexec_b64 s[0:1], s[2:3]
	s_cbranch_execz .LBB866_109
; %bb.108:
	v_bcnt_u32_b32 v26, v28, 0
	v_bcnt_u32_b32 v26, v29, v26
	ds_write_b32 v36, v26 offset:32
.LBB866_109:
	s_or_b64 exec, exec, s[0:1]
	s_waitcnt vmcnt(10)
	v_lshrrev_b64 v[28:29], s24, v[0:1]
	v_and_b32_e32 v34, s13, v28
	v_lshl_add_u32 v26, v34, 3, v34
	v_add_lshl_u32 v38, v43, v26, 2
	v_and_b32_e32 v26, 1, v34
	v_lshl_add_u64 v[28:29], v[26:27], 0, -1
	v_cmp_ne_u32_e32 vcc, 0, v26
	; wave barrier
	s_nop 1
	v_xor_b32_e32 v28, vcc_lo, v28
	v_xor_b32_e32 v26, vcc_hi, v29
	v_and_b32_e32 v35, exec_lo, v28
	v_lshlrev_b32_e32 v29, 30, v34
	v_mov_b32_e32 v28, v27
	v_cmp_gt_i64_e32 vcc, 0, v[28:29]
	v_not_b32_e32 v28, v29
	v_ashrrev_i32_e32 v28, 31, v28
	v_and_b32_e32 v26, exec_hi, v26
	v_xor_b32_e32 v29, vcc_hi, v28
	v_xor_b32_e32 v28, vcc_lo, v28
	v_and_b32_e32 v26, v26, v29
	v_and_b32_e32 v35, v35, v28
	v_lshlrev_b32_e32 v29, 29, v34
	v_mov_b32_e32 v28, v27
	v_cmp_gt_i64_e32 vcc, 0, v[28:29]
	v_not_b32_e32 v28, v29
	v_ashrrev_i32_e32 v28, 31, v28
	v_xor_b32_e32 v29, vcc_hi, v28
	v_xor_b32_e32 v28, vcc_lo, v28
	v_and_b32_e32 v26, v26, v29
	v_and_b32_e32 v35, v35, v28
	v_lshlrev_b32_e32 v29, 28, v34
	v_mov_b32_e32 v28, v27
	v_cmp_gt_i64_e32 vcc, 0, v[28:29]
	v_not_b32_e32 v28, v29
	v_ashrrev_i32_e32 v28, 31, v28
	;; [unrolled: 9-line block ×5, first 2 shown]
	v_xor_b32_e32 v29, vcc_hi, v28
	v_xor_b32_e32 v28, vcc_lo, v28
	v_and_b32_e32 v26, v26, v29
	v_lshlrev_b32_e32 v29, 24, v34
	v_and_b32_e32 v35, v35, v28
	v_mov_b32_e32 v28, v27
	v_not_b32_e32 v27, v29
	v_cmp_gt_i64_e32 vcc, 0, v[28:29]
	v_ashrrev_i32_e32 v27, 31, v27
	ds_read_b32 v32, v38 offset:32
	v_xor_b32_e32 v28, vcc_hi, v27
	v_xor_b32_e32 v29, vcc_lo, v27
	v_and_b32_e32 v27, v26, v28
	v_and_b32_e32 v26, v35, v29
	v_mbcnt_lo_u32_b32 v28, v26, 0
	v_mbcnt_hi_u32_b32 v34, v27, v28
	v_cmp_eq_u32_e32 vcc, 0, v34
	v_cmp_ne_u64_e64 s[0:1], 0, v[26:27]
	s_and_b64 s[2:3], s[0:1], vcc
	; wave barrier
	s_and_saveexec_b64 s[0:1], s[2:3]
	s_cbranch_execz .LBB866_111
; %bb.110:
	v_bcnt_u32_b32 v26, v26, 0
	v_bcnt_u32_b32 v26, v27, v26
	s_waitcnt lgkmcnt(0)
	v_add_u32_e32 v26, v32, v26
	ds_write_b32 v38, v26 offset:32
.LBB866_111:
	s_or_b64 exec, exec, s[0:1]
	s_waitcnt vmcnt(9)
	v_lshrrev_b64 v[26:27], s24, v[6:7]
	v_and_b32_e32 v37, s13, v26
	v_lshl_add_u32 v26, v37, 3, v37
	v_add_lshl_u32 v40, v43, v26, 2
	v_and_b32_e32 v26, 1, v37
	v_mov_b32_e32 v27, 0
	v_lshl_add_u64 v[28:29], v[26:27], 0, -1
	v_cmp_ne_u32_e32 vcc, 0, v26
	; wave barrier
	s_nop 1
	v_xor_b32_e32 v28, vcc_lo, v28
	v_xor_b32_e32 v26, vcc_hi, v29
	v_and_b32_e32 v39, exec_lo, v28
	v_lshlrev_b32_e32 v29, 30, v37
	v_mov_b32_e32 v28, v27
	v_cmp_gt_i64_e32 vcc, 0, v[28:29]
	v_not_b32_e32 v28, v29
	v_ashrrev_i32_e32 v28, 31, v28
	v_and_b32_e32 v26, exec_hi, v26
	v_xor_b32_e32 v29, vcc_hi, v28
	v_xor_b32_e32 v28, vcc_lo, v28
	v_and_b32_e32 v26, v26, v29
	v_and_b32_e32 v39, v39, v28
	v_lshlrev_b32_e32 v29, 29, v37
	v_mov_b32_e32 v28, v27
	v_cmp_gt_i64_e32 vcc, 0, v[28:29]
	v_not_b32_e32 v28, v29
	v_ashrrev_i32_e32 v28, 31, v28
	v_xor_b32_e32 v29, vcc_hi, v28
	v_xor_b32_e32 v28, vcc_lo, v28
	v_and_b32_e32 v26, v26, v29
	v_and_b32_e32 v39, v39, v28
	v_lshlrev_b32_e32 v29, 28, v37
	v_mov_b32_e32 v28, v27
	v_cmp_gt_i64_e32 vcc, 0, v[28:29]
	v_not_b32_e32 v28, v29
	v_ashrrev_i32_e32 v28, 31, v28
	;; [unrolled: 9-line block ×6, first 2 shown]
	v_xor_b32_e32 v29, vcc_hi, v28
	v_xor_b32_e32 v28, vcc_lo, v28
	ds_read_b32 v35, v40 offset:32
	v_and_b32_e32 v28, v39, v28
	v_and_b32_e32 v29, v26, v29
	v_mbcnt_lo_u32_b32 v26, v28, 0
	v_mbcnt_hi_u32_b32 v37, v29, v26
	v_cmp_eq_u32_e32 vcc, 0, v37
	v_cmp_ne_u64_e64 s[0:1], 0, v[28:29]
	s_and_b64 s[2:3], s[0:1], vcc
	; wave barrier
	s_and_saveexec_b64 s[0:1], s[2:3]
	s_cbranch_execz .LBB866_113
; %bb.112:
	v_bcnt_u32_b32 v26, v28, 0
	v_bcnt_u32_b32 v26, v29, v26
	s_waitcnt lgkmcnt(0)
	v_add_u32_e32 v26, v35, v26
	ds_write_b32 v40, v26 offset:32
.LBB866_113:
	s_or_b64 exec, exec, s[0:1]
	s_waitcnt vmcnt(8)
	v_lshrrev_b64 v[28:29], s24, v[8:9]
	v_and_b32_e32 v41, s13, v28
	v_lshl_add_u32 v26, v41, 3, v41
	v_add_lshl_u32 v44, v43, v26, 2
	v_and_b32_e32 v26, 1, v41
	v_lshl_add_u64 v[28:29], v[26:27], 0, -1
	v_cmp_ne_u32_e32 vcc, 0, v26
	; wave barrier
	s_nop 1
	v_xor_b32_e32 v28, vcc_lo, v28
	v_xor_b32_e32 v26, vcc_hi, v29
	v_and_b32_e32 v42, exec_lo, v28
	v_lshlrev_b32_e32 v29, 30, v41
	v_mov_b32_e32 v28, v27
	v_cmp_gt_i64_e32 vcc, 0, v[28:29]
	v_not_b32_e32 v28, v29
	v_ashrrev_i32_e32 v28, 31, v28
	v_and_b32_e32 v26, exec_hi, v26
	v_xor_b32_e32 v29, vcc_hi, v28
	v_xor_b32_e32 v28, vcc_lo, v28
	v_and_b32_e32 v26, v26, v29
	v_and_b32_e32 v42, v42, v28
	v_lshlrev_b32_e32 v29, 29, v41
	v_mov_b32_e32 v28, v27
	v_cmp_gt_i64_e32 vcc, 0, v[28:29]
	v_not_b32_e32 v28, v29
	v_ashrrev_i32_e32 v28, 31, v28
	v_xor_b32_e32 v29, vcc_hi, v28
	v_xor_b32_e32 v28, vcc_lo, v28
	v_and_b32_e32 v26, v26, v29
	v_and_b32_e32 v42, v42, v28
	v_lshlrev_b32_e32 v29, 28, v41
	v_mov_b32_e32 v28, v27
	v_cmp_gt_i64_e32 vcc, 0, v[28:29]
	v_not_b32_e32 v28, v29
	v_ashrrev_i32_e32 v28, 31, v28
	;; [unrolled: 9-line block ×5, first 2 shown]
	v_xor_b32_e32 v29, vcc_hi, v28
	v_xor_b32_e32 v28, vcc_lo, v28
	v_and_b32_e32 v26, v26, v29
	v_lshlrev_b32_e32 v29, 24, v41
	v_and_b32_e32 v42, v42, v28
	v_mov_b32_e32 v28, v27
	v_not_b32_e32 v27, v29
	v_cmp_gt_i64_e32 vcc, 0, v[28:29]
	v_ashrrev_i32_e32 v27, 31, v27
	ds_read_b32 v39, v44 offset:32
	v_xor_b32_e32 v28, vcc_hi, v27
	v_xor_b32_e32 v29, vcc_lo, v27
	v_and_b32_e32 v27, v26, v28
	v_and_b32_e32 v26, v42, v29
	v_mbcnt_lo_u32_b32 v28, v26, 0
	v_mbcnt_hi_u32_b32 v41, v27, v28
	v_cmp_eq_u32_e32 vcc, 0, v41
	v_cmp_ne_u64_e64 s[0:1], 0, v[26:27]
	s_and_b64 s[2:3], s[0:1], vcc
	; wave barrier
	s_and_saveexec_b64 s[0:1], s[2:3]
	s_cbranch_execz .LBB866_115
; %bb.114:
	v_bcnt_u32_b32 v26, v26, 0
	v_bcnt_u32_b32 v26, v27, v26
	s_waitcnt lgkmcnt(0)
	v_add_u32_e32 v26, v39, v26
	ds_write_b32 v44, v26 offset:32
.LBB866_115:
	s_or_b64 exec, exec, s[0:1]
	s_waitcnt vmcnt(7)
	v_lshrrev_b64 v[26:27], s24, v[10:11]
	v_and_b32_e32 v45, s13, v26
	v_lshl_add_u32 v26, v45, 3, v45
	v_add_lshl_u32 v47, v43, v26, 2
	v_and_b32_e32 v26, 1, v45
	v_mov_b32_e32 v27, 0
	v_lshl_add_u64 v[28:29], v[26:27], 0, -1
	v_cmp_ne_u32_e32 vcc, 0, v26
	; wave barrier
	s_nop 1
	v_xor_b32_e32 v28, vcc_lo, v28
	v_xor_b32_e32 v26, vcc_hi, v29
	v_and_b32_e32 v46, exec_lo, v28
	v_lshlrev_b32_e32 v29, 30, v45
	v_mov_b32_e32 v28, v27
	v_cmp_gt_i64_e32 vcc, 0, v[28:29]
	v_not_b32_e32 v28, v29
	v_ashrrev_i32_e32 v28, 31, v28
	v_and_b32_e32 v26, exec_hi, v26
	v_xor_b32_e32 v29, vcc_hi, v28
	v_xor_b32_e32 v28, vcc_lo, v28
	v_and_b32_e32 v26, v26, v29
	v_and_b32_e32 v46, v46, v28
	v_lshlrev_b32_e32 v29, 29, v45
	v_mov_b32_e32 v28, v27
	v_cmp_gt_i64_e32 vcc, 0, v[28:29]
	v_not_b32_e32 v28, v29
	v_ashrrev_i32_e32 v28, 31, v28
	v_xor_b32_e32 v29, vcc_hi, v28
	v_xor_b32_e32 v28, vcc_lo, v28
	v_and_b32_e32 v26, v26, v29
	v_and_b32_e32 v46, v46, v28
	v_lshlrev_b32_e32 v29, 28, v45
	v_mov_b32_e32 v28, v27
	v_cmp_gt_i64_e32 vcc, 0, v[28:29]
	v_not_b32_e32 v28, v29
	v_ashrrev_i32_e32 v28, 31, v28
	;; [unrolled: 9-line block ×6, first 2 shown]
	v_xor_b32_e32 v29, vcc_hi, v28
	v_xor_b32_e32 v28, vcc_lo, v28
	ds_read_b32 v42, v47 offset:32
	v_and_b32_e32 v28, v46, v28
	v_and_b32_e32 v29, v26, v29
	v_mbcnt_lo_u32_b32 v26, v28, 0
	v_mbcnt_hi_u32_b32 v45, v29, v26
	v_cmp_eq_u32_e32 vcc, 0, v45
	v_cmp_ne_u64_e64 s[0:1], 0, v[28:29]
	s_and_b64 s[2:3], s[0:1], vcc
	; wave barrier
	s_and_saveexec_b64 s[0:1], s[2:3]
	s_cbranch_execz .LBB866_117
; %bb.116:
	v_bcnt_u32_b32 v26, v28, 0
	v_bcnt_u32_b32 v26, v29, v26
	s_waitcnt lgkmcnt(0)
	v_add_u32_e32 v26, v42, v26
	ds_write_b32 v47, v26 offset:32
.LBB866_117:
	s_or_b64 exec, exec, s[0:1]
	s_waitcnt vmcnt(6)
	v_lshrrev_b64 v[28:29], s24, v[12:13]
	v_and_b32_e32 v48, s13, v28
	v_lshl_add_u32 v26, v48, 3, v48
	v_add_lshl_u32 v50, v43, v26, 2
	v_and_b32_e32 v26, 1, v48
	v_lshl_add_u64 v[28:29], v[26:27], 0, -1
	v_cmp_ne_u32_e32 vcc, 0, v26
	; wave barrier
	s_nop 1
	v_xor_b32_e32 v28, vcc_lo, v28
	v_xor_b32_e32 v26, vcc_hi, v29
	v_and_b32_e32 v49, exec_lo, v28
	v_lshlrev_b32_e32 v29, 30, v48
	v_mov_b32_e32 v28, v27
	v_cmp_gt_i64_e32 vcc, 0, v[28:29]
	v_not_b32_e32 v28, v29
	v_ashrrev_i32_e32 v28, 31, v28
	v_and_b32_e32 v26, exec_hi, v26
	v_xor_b32_e32 v29, vcc_hi, v28
	v_xor_b32_e32 v28, vcc_lo, v28
	v_and_b32_e32 v26, v26, v29
	v_and_b32_e32 v49, v49, v28
	v_lshlrev_b32_e32 v29, 29, v48
	v_mov_b32_e32 v28, v27
	v_cmp_gt_i64_e32 vcc, 0, v[28:29]
	v_not_b32_e32 v28, v29
	v_ashrrev_i32_e32 v28, 31, v28
	v_xor_b32_e32 v29, vcc_hi, v28
	v_xor_b32_e32 v28, vcc_lo, v28
	v_and_b32_e32 v26, v26, v29
	v_and_b32_e32 v49, v49, v28
	v_lshlrev_b32_e32 v29, 28, v48
	v_mov_b32_e32 v28, v27
	v_cmp_gt_i64_e32 vcc, 0, v[28:29]
	v_not_b32_e32 v28, v29
	v_ashrrev_i32_e32 v28, 31, v28
	;; [unrolled: 9-line block ×5, first 2 shown]
	v_xor_b32_e32 v29, vcc_hi, v28
	v_xor_b32_e32 v28, vcc_lo, v28
	v_and_b32_e32 v26, v26, v29
	v_lshlrev_b32_e32 v29, 24, v48
	v_and_b32_e32 v49, v49, v28
	v_mov_b32_e32 v28, v27
	v_not_b32_e32 v27, v29
	v_cmp_gt_i64_e32 vcc, 0, v[28:29]
	v_ashrrev_i32_e32 v27, 31, v27
	ds_read_b32 v46, v50 offset:32
	v_xor_b32_e32 v28, vcc_hi, v27
	v_xor_b32_e32 v29, vcc_lo, v27
	v_and_b32_e32 v27, v26, v28
	v_and_b32_e32 v26, v49, v29
	v_mbcnt_lo_u32_b32 v28, v26, 0
	v_mbcnt_hi_u32_b32 v48, v27, v28
	v_cmp_eq_u32_e32 vcc, 0, v48
	v_cmp_ne_u64_e64 s[0:1], 0, v[26:27]
	s_and_b64 s[2:3], s[0:1], vcc
	; wave barrier
	s_and_saveexec_b64 s[0:1], s[2:3]
	s_cbranch_execz .LBB866_119
; %bb.118:
	v_bcnt_u32_b32 v26, v26, 0
	v_bcnt_u32_b32 v26, v27, v26
	s_waitcnt lgkmcnt(0)
	v_add_u32_e32 v26, v46, v26
	ds_write_b32 v50, v26 offset:32
.LBB866_119:
	s_or_b64 exec, exec, s[0:1]
	s_waitcnt vmcnt(5)
	v_lshrrev_b64 v[26:27], s24, v[14:15]
	v_and_b32_e32 v51, s13, v26
	v_lshl_add_u32 v26, v51, 3, v51
	v_add_lshl_u32 v53, v43, v26, 2
	v_and_b32_e32 v26, 1, v51
	v_mov_b32_e32 v27, 0
	v_lshl_add_u64 v[28:29], v[26:27], 0, -1
	v_cmp_ne_u32_e32 vcc, 0, v26
	; wave barrier
	s_nop 1
	v_xor_b32_e32 v28, vcc_lo, v28
	v_xor_b32_e32 v26, vcc_hi, v29
	v_and_b32_e32 v52, exec_lo, v28
	v_lshlrev_b32_e32 v29, 30, v51
	v_mov_b32_e32 v28, v27
	v_cmp_gt_i64_e32 vcc, 0, v[28:29]
	v_not_b32_e32 v28, v29
	v_ashrrev_i32_e32 v28, 31, v28
	v_and_b32_e32 v26, exec_hi, v26
	v_xor_b32_e32 v29, vcc_hi, v28
	v_xor_b32_e32 v28, vcc_lo, v28
	v_and_b32_e32 v26, v26, v29
	v_and_b32_e32 v52, v52, v28
	v_lshlrev_b32_e32 v29, 29, v51
	v_mov_b32_e32 v28, v27
	v_cmp_gt_i64_e32 vcc, 0, v[28:29]
	v_not_b32_e32 v28, v29
	v_ashrrev_i32_e32 v28, 31, v28
	v_xor_b32_e32 v29, vcc_hi, v28
	v_xor_b32_e32 v28, vcc_lo, v28
	v_and_b32_e32 v26, v26, v29
	v_and_b32_e32 v52, v52, v28
	v_lshlrev_b32_e32 v29, 28, v51
	v_mov_b32_e32 v28, v27
	v_cmp_gt_i64_e32 vcc, 0, v[28:29]
	v_not_b32_e32 v28, v29
	v_ashrrev_i32_e32 v28, 31, v28
	;; [unrolled: 9-line block ×6, first 2 shown]
	v_xor_b32_e32 v29, vcc_hi, v28
	v_xor_b32_e32 v28, vcc_lo, v28
	ds_read_b32 v49, v53 offset:32
	v_and_b32_e32 v28, v52, v28
	v_and_b32_e32 v29, v26, v29
	v_mbcnt_lo_u32_b32 v26, v28, 0
	v_mbcnt_hi_u32_b32 v51, v29, v26
	v_cmp_eq_u32_e32 vcc, 0, v51
	v_cmp_ne_u64_e64 s[0:1], 0, v[28:29]
	s_and_b64 s[2:3], s[0:1], vcc
	; wave barrier
	s_and_saveexec_b64 s[0:1], s[2:3]
	s_cbranch_execz .LBB866_121
; %bb.120:
	v_bcnt_u32_b32 v26, v28, 0
	v_bcnt_u32_b32 v26, v29, v26
	s_waitcnt lgkmcnt(0)
	v_add_u32_e32 v26, v49, v26
	ds_write_b32 v53, v26 offset:32
.LBB866_121:
	s_or_b64 exec, exec, s[0:1]
	s_waitcnt vmcnt(4)
	v_lshrrev_b64 v[28:29], s24, v[16:17]
	v_and_b32_e32 v54, s13, v28
	v_lshl_add_u32 v26, v54, 3, v54
	v_add_lshl_u32 v56, v43, v26, 2
	v_and_b32_e32 v26, 1, v54
	v_lshl_add_u64 v[28:29], v[26:27], 0, -1
	v_cmp_ne_u32_e32 vcc, 0, v26
	; wave barrier
	s_nop 1
	v_xor_b32_e32 v28, vcc_lo, v28
	v_xor_b32_e32 v26, vcc_hi, v29
	v_and_b32_e32 v55, exec_lo, v28
	v_lshlrev_b32_e32 v29, 30, v54
	v_mov_b32_e32 v28, v27
	v_cmp_gt_i64_e32 vcc, 0, v[28:29]
	v_not_b32_e32 v28, v29
	v_ashrrev_i32_e32 v28, 31, v28
	v_and_b32_e32 v26, exec_hi, v26
	v_xor_b32_e32 v29, vcc_hi, v28
	v_xor_b32_e32 v28, vcc_lo, v28
	v_and_b32_e32 v26, v26, v29
	v_and_b32_e32 v55, v55, v28
	v_lshlrev_b32_e32 v29, 29, v54
	v_mov_b32_e32 v28, v27
	v_cmp_gt_i64_e32 vcc, 0, v[28:29]
	v_not_b32_e32 v28, v29
	v_ashrrev_i32_e32 v28, 31, v28
	v_xor_b32_e32 v29, vcc_hi, v28
	v_xor_b32_e32 v28, vcc_lo, v28
	v_and_b32_e32 v26, v26, v29
	v_and_b32_e32 v55, v55, v28
	v_lshlrev_b32_e32 v29, 28, v54
	v_mov_b32_e32 v28, v27
	v_cmp_gt_i64_e32 vcc, 0, v[28:29]
	v_not_b32_e32 v28, v29
	v_ashrrev_i32_e32 v28, 31, v28
	;; [unrolled: 9-line block ×5, first 2 shown]
	v_xor_b32_e32 v29, vcc_hi, v28
	v_xor_b32_e32 v28, vcc_lo, v28
	v_and_b32_e32 v26, v26, v29
	v_lshlrev_b32_e32 v29, 24, v54
	v_and_b32_e32 v55, v55, v28
	v_mov_b32_e32 v28, v27
	v_not_b32_e32 v27, v29
	v_cmp_gt_i64_e32 vcc, 0, v[28:29]
	v_ashrrev_i32_e32 v27, 31, v27
	ds_read_b32 v52, v56 offset:32
	v_xor_b32_e32 v28, vcc_hi, v27
	v_xor_b32_e32 v29, vcc_lo, v27
	v_and_b32_e32 v27, v26, v28
	v_and_b32_e32 v26, v55, v29
	v_mbcnt_lo_u32_b32 v28, v26, 0
	v_mbcnt_hi_u32_b32 v54, v27, v28
	v_cmp_eq_u32_e32 vcc, 0, v54
	v_cmp_ne_u64_e64 s[0:1], 0, v[26:27]
	s_and_b64 s[2:3], s[0:1], vcc
	; wave barrier
	s_and_saveexec_b64 s[0:1], s[2:3]
	s_cbranch_execz .LBB866_123
; %bb.122:
	v_bcnt_u32_b32 v26, v26, 0
	v_bcnt_u32_b32 v26, v27, v26
	s_waitcnt lgkmcnt(0)
	v_add_u32_e32 v26, v52, v26
	ds_write_b32 v56, v26 offset:32
.LBB866_123:
	s_or_b64 exec, exec, s[0:1]
	s_waitcnt vmcnt(3)
	v_lshrrev_b64 v[26:27], s24, v[18:19]
	v_and_b32_e32 v57, s13, v26
	v_lshl_add_u32 v26, v57, 3, v57
	v_add_lshl_u32 v59, v43, v26, 2
	v_and_b32_e32 v26, 1, v57
	v_mov_b32_e32 v27, 0
	v_lshl_add_u64 v[28:29], v[26:27], 0, -1
	v_cmp_ne_u32_e32 vcc, 0, v26
	; wave barrier
	s_nop 1
	v_xor_b32_e32 v28, vcc_lo, v28
	v_xor_b32_e32 v26, vcc_hi, v29
	v_and_b32_e32 v58, exec_lo, v28
	v_lshlrev_b32_e32 v29, 30, v57
	v_mov_b32_e32 v28, v27
	v_cmp_gt_i64_e32 vcc, 0, v[28:29]
	v_not_b32_e32 v28, v29
	v_ashrrev_i32_e32 v28, 31, v28
	v_and_b32_e32 v26, exec_hi, v26
	v_xor_b32_e32 v29, vcc_hi, v28
	v_xor_b32_e32 v28, vcc_lo, v28
	v_and_b32_e32 v26, v26, v29
	v_and_b32_e32 v58, v58, v28
	v_lshlrev_b32_e32 v29, 29, v57
	v_mov_b32_e32 v28, v27
	v_cmp_gt_i64_e32 vcc, 0, v[28:29]
	v_not_b32_e32 v28, v29
	v_ashrrev_i32_e32 v28, 31, v28
	v_xor_b32_e32 v29, vcc_hi, v28
	v_xor_b32_e32 v28, vcc_lo, v28
	v_and_b32_e32 v26, v26, v29
	v_and_b32_e32 v58, v58, v28
	v_lshlrev_b32_e32 v29, 28, v57
	v_mov_b32_e32 v28, v27
	v_cmp_gt_i64_e32 vcc, 0, v[28:29]
	v_not_b32_e32 v28, v29
	v_ashrrev_i32_e32 v28, 31, v28
	;; [unrolled: 9-line block ×6, first 2 shown]
	v_xor_b32_e32 v29, vcc_hi, v28
	v_xor_b32_e32 v28, vcc_lo, v28
	ds_read_b32 v55, v59 offset:32
	v_and_b32_e32 v28, v58, v28
	v_and_b32_e32 v29, v26, v29
	v_mbcnt_lo_u32_b32 v26, v28, 0
	v_mbcnt_hi_u32_b32 v57, v29, v26
	v_cmp_eq_u32_e32 vcc, 0, v57
	v_cmp_ne_u64_e64 s[0:1], 0, v[28:29]
	s_and_b64 s[2:3], s[0:1], vcc
	; wave barrier
	s_and_saveexec_b64 s[0:1], s[2:3]
	s_cbranch_execz .LBB866_125
; %bb.124:
	v_bcnt_u32_b32 v26, v28, 0
	v_bcnt_u32_b32 v26, v29, v26
	s_waitcnt lgkmcnt(0)
	v_add_u32_e32 v26, v55, v26
	ds_write_b32 v59, v26 offset:32
.LBB866_125:
	s_or_b64 exec, exec, s[0:1]
	s_waitcnt vmcnt(2)
	v_lshrrev_b64 v[28:29], s24, v[20:21]
	v_and_b32_e32 v60, s13, v28
	v_lshl_add_u32 v26, v60, 3, v60
	v_add_lshl_u32 v62, v43, v26, 2
	v_and_b32_e32 v26, 1, v60
	v_lshl_add_u64 v[28:29], v[26:27], 0, -1
	v_cmp_ne_u32_e32 vcc, 0, v26
	; wave barrier
	s_nop 1
	v_xor_b32_e32 v28, vcc_lo, v28
	v_xor_b32_e32 v26, vcc_hi, v29
	v_and_b32_e32 v61, exec_lo, v28
	v_lshlrev_b32_e32 v29, 30, v60
	v_mov_b32_e32 v28, v27
	v_cmp_gt_i64_e32 vcc, 0, v[28:29]
	v_not_b32_e32 v28, v29
	v_ashrrev_i32_e32 v28, 31, v28
	v_and_b32_e32 v26, exec_hi, v26
	v_xor_b32_e32 v29, vcc_hi, v28
	v_xor_b32_e32 v28, vcc_lo, v28
	v_and_b32_e32 v26, v26, v29
	v_and_b32_e32 v61, v61, v28
	v_lshlrev_b32_e32 v29, 29, v60
	v_mov_b32_e32 v28, v27
	v_cmp_gt_i64_e32 vcc, 0, v[28:29]
	v_not_b32_e32 v28, v29
	v_ashrrev_i32_e32 v28, 31, v28
	v_xor_b32_e32 v29, vcc_hi, v28
	v_xor_b32_e32 v28, vcc_lo, v28
	v_and_b32_e32 v26, v26, v29
	v_and_b32_e32 v61, v61, v28
	v_lshlrev_b32_e32 v29, 28, v60
	v_mov_b32_e32 v28, v27
	v_cmp_gt_i64_e32 vcc, 0, v[28:29]
	v_not_b32_e32 v28, v29
	v_ashrrev_i32_e32 v28, 31, v28
	;; [unrolled: 9-line block ×5, first 2 shown]
	v_xor_b32_e32 v29, vcc_hi, v28
	v_xor_b32_e32 v28, vcc_lo, v28
	v_and_b32_e32 v26, v26, v29
	v_lshlrev_b32_e32 v29, 24, v60
	v_and_b32_e32 v61, v61, v28
	v_mov_b32_e32 v28, v27
	v_not_b32_e32 v27, v29
	v_cmp_gt_i64_e32 vcc, 0, v[28:29]
	v_ashrrev_i32_e32 v27, 31, v27
	ds_read_b32 v58, v62 offset:32
	v_xor_b32_e32 v28, vcc_hi, v27
	v_xor_b32_e32 v29, vcc_lo, v27
	v_and_b32_e32 v27, v26, v28
	v_and_b32_e32 v26, v61, v29
	v_mbcnt_lo_u32_b32 v28, v26, 0
	v_mbcnt_hi_u32_b32 v60, v27, v28
	v_cmp_eq_u32_e32 vcc, 0, v60
	v_cmp_ne_u64_e64 s[0:1], 0, v[26:27]
	s_and_b64 s[2:3], s[0:1], vcc
	; wave barrier
	s_and_saveexec_b64 s[0:1], s[2:3]
	s_cbranch_execz .LBB866_127
; %bb.126:
	v_bcnt_u32_b32 v26, v26, 0
	v_bcnt_u32_b32 v26, v27, v26
	s_waitcnt lgkmcnt(0)
	v_add_u32_e32 v26, v58, v26
	ds_write_b32 v62, v26 offset:32
.LBB866_127:
	s_or_b64 exec, exec, s[0:1]
	s_waitcnt vmcnt(1)
	v_lshrrev_b64 v[26:27], s24, v[22:23]
	v_and_b32_e32 v63, s13, v26
	v_lshl_add_u32 v26, v63, 3, v63
	v_add_lshl_u32 v64, v43, v26, 2
	v_and_b32_e32 v26, 1, v63
	v_mov_b32_e32 v27, 0
	v_lshl_add_u64 v[28:29], v[26:27], 0, -1
	v_cmp_ne_u32_e32 vcc, 0, v26
	; wave barrier
	s_nop 1
	v_xor_b32_e32 v28, vcc_lo, v28
	v_xor_b32_e32 v26, vcc_hi, v29
	v_and_b32_e32 v65, exec_lo, v28
	v_lshlrev_b32_e32 v29, 30, v63
	v_mov_b32_e32 v28, v27
	v_cmp_gt_i64_e32 vcc, 0, v[28:29]
	v_not_b32_e32 v28, v29
	v_ashrrev_i32_e32 v28, 31, v28
	v_and_b32_e32 v26, exec_hi, v26
	v_xor_b32_e32 v29, vcc_hi, v28
	v_xor_b32_e32 v28, vcc_lo, v28
	v_and_b32_e32 v26, v26, v29
	v_and_b32_e32 v65, v65, v28
	v_lshlrev_b32_e32 v29, 29, v63
	v_mov_b32_e32 v28, v27
	v_cmp_gt_i64_e32 vcc, 0, v[28:29]
	v_not_b32_e32 v28, v29
	v_ashrrev_i32_e32 v28, 31, v28
	v_xor_b32_e32 v29, vcc_hi, v28
	v_xor_b32_e32 v28, vcc_lo, v28
	v_and_b32_e32 v26, v26, v29
	v_and_b32_e32 v65, v65, v28
	v_lshlrev_b32_e32 v29, 28, v63
	v_mov_b32_e32 v28, v27
	v_cmp_gt_i64_e32 vcc, 0, v[28:29]
	v_not_b32_e32 v28, v29
	v_ashrrev_i32_e32 v28, 31, v28
	;; [unrolled: 9-line block ×6, first 2 shown]
	v_xor_b32_e32 v29, vcc_hi, v28
	v_xor_b32_e32 v28, vcc_lo, v28
	ds_read_b32 v61, v64 offset:32
	v_and_b32_e32 v28, v65, v28
	v_and_b32_e32 v29, v26, v29
	v_mbcnt_lo_u32_b32 v26, v28, 0
	v_mbcnt_hi_u32_b32 v63, v29, v26
	v_cmp_eq_u32_e32 vcc, 0, v63
	v_cmp_ne_u64_e64 s[0:1], 0, v[28:29]
	s_and_b64 s[2:3], s[0:1], vcc
	; wave barrier
	s_and_saveexec_b64 s[0:1], s[2:3]
	s_cbranch_execz .LBB866_129
; %bb.128:
	v_bcnt_u32_b32 v26, v28, 0
	v_bcnt_u32_b32 v26, v29, v26
	s_waitcnt lgkmcnt(0)
	v_add_u32_e32 v26, v61, v26
	ds_write_b32 v64, v26 offset:32
.LBB866_129:
	s_or_b64 exec, exec, s[0:1]
	s_waitcnt vmcnt(0)
	v_lshrrev_b64 v[28:29], s24, v[24:25]
	v_and_b32_e32 v65, s13, v28
	v_lshl_add_u32 v26, v65, 3, v65
	v_add_lshl_u32 v66, v43, v26, 2
	v_and_b32_e32 v26, 1, v65
	v_lshl_add_u64 v[28:29], v[26:27], 0, -1
	v_cmp_ne_u32_e32 vcc, 0, v26
	; wave barrier
	s_nop 1
	v_xor_b32_e32 v28, vcc_lo, v28
	v_xor_b32_e32 v26, vcc_hi, v29
	v_and_b32_e32 v68, exec_lo, v28
	v_lshlrev_b32_e32 v29, 30, v65
	v_mov_b32_e32 v28, v27
	v_cmp_gt_i64_e32 vcc, 0, v[28:29]
	v_not_b32_e32 v28, v29
	v_ashrrev_i32_e32 v28, 31, v28
	v_and_b32_e32 v26, exec_hi, v26
	v_xor_b32_e32 v29, vcc_hi, v28
	v_xor_b32_e32 v28, vcc_lo, v28
	v_and_b32_e32 v26, v26, v29
	v_and_b32_e32 v68, v68, v28
	v_lshlrev_b32_e32 v29, 29, v65
	v_mov_b32_e32 v28, v27
	v_cmp_gt_i64_e32 vcc, 0, v[28:29]
	v_not_b32_e32 v28, v29
	v_ashrrev_i32_e32 v28, 31, v28
	v_xor_b32_e32 v29, vcc_hi, v28
	v_xor_b32_e32 v28, vcc_lo, v28
	v_and_b32_e32 v26, v26, v29
	v_and_b32_e32 v68, v68, v28
	v_lshlrev_b32_e32 v29, 28, v65
	v_mov_b32_e32 v28, v27
	v_cmp_gt_i64_e32 vcc, 0, v[28:29]
	v_not_b32_e32 v28, v29
	v_ashrrev_i32_e32 v28, 31, v28
	;; [unrolled: 9-line block ×5, first 2 shown]
	v_xor_b32_e32 v29, vcc_hi, v28
	v_xor_b32_e32 v28, vcc_lo, v28
	v_and_b32_e32 v26, v26, v29
	v_lshlrev_b32_e32 v29, 24, v65
	v_and_b32_e32 v68, v68, v28
	v_mov_b32_e32 v28, v27
	v_not_b32_e32 v27, v29
	v_cmp_gt_i64_e32 vcc, 0, v[28:29]
	v_ashrrev_i32_e32 v27, 31, v27
	ds_read_b32 v43, v66 offset:32
	v_xor_b32_e32 v28, vcc_hi, v27
	v_xor_b32_e32 v29, vcc_lo, v27
	v_and_b32_e32 v27, v26, v28
	v_and_b32_e32 v26, v68, v29
	v_mbcnt_lo_u32_b32 v28, v26, 0
	v_mbcnt_hi_u32_b32 v65, v27, v28
	v_cmp_eq_u32_e32 vcc, 0, v65
	v_cmp_ne_u64_e64 s[0:1], 0, v[26:27]
	v_add_u32_e32 v67, 32, v30
	s_and_b64 s[2:3], s[0:1], vcc
	; wave barrier
	s_and_saveexec_b64 s[0:1], s[2:3]
	s_cbranch_execz .LBB866_131
; %bb.130:
	v_bcnt_u32_b32 v26, v26, 0
	v_bcnt_u32_b32 v26, v27, v26
	s_waitcnt lgkmcnt(0)
	v_add_u32_e32 v26, v43, v26
	ds_write_b32 v66, v26 offset:32
.LBB866_131:
	s_or_b64 exec, exec, s[0:1]
	; wave barrier
	s_waitcnt lgkmcnt(0)
	s_barrier
	ds_read2_b32 v[28:29], v30 offset0:8 offset1:9
	ds_read2_b32 v[26:27], v67 offset0:2 offset1:3
	ds_read_b32 v68, v67 offset:16
	v_min_u32_e32 v31, 0x1c0, v31
	v_or_b32_e32 v31, 63, v31
	s_waitcnt lgkmcnt(1)
	v_add3_u32 v69, v29, v28, v26
	s_waitcnt lgkmcnt(0)
	v_add3_u32 v68, v69, v27, v68
	v_and_b32_e32 v69, 15, v3
	v_cmp_ne_u32_e32 vcc, 0, v69
	v_mov_b32_dpp v70, v68 row_shr:1 row_mask:0xf bank_mask:0xf
	s_nop 0
	v_cndmask_b32_e32 v70, 0, v70, vcc
	v_add_u32_e32 v68, v70, v68
	v_cmp_lt_u32_e32 vcc, 1, v69
	s_nop 0
	v_mov_b32_dpp v70, v68 row_shr:2 row_mask:0xf bank_mask:0xf
	v_cndmask_b32_e32 v70, 0, v70, vcc
	v_add_u32_e32 v68, v68, v70
	v_cmp_lt_u32_e32 vcc, 3, v69
	s_nop 0
	v_mov_b32_dpp v70, v68 row_shr:4 row_mask:0xf bank_mask:0xf
	;; [unrolled: 5-line block ×3, first 2 shown]
	v_cndmask_b32_e32 v69, 0, v70, vcc
	v_add_u32_e32 v68, v68, v69
	v_bfe_i32 v70, v3, 4, 1
	v_cmp_lt_u32_e32 vcc, 31, v3
	v_mov_b32_dpp v69, v68 row_bcast:15 row_mask:0xf bank_mask:0xf
	v_and_b32_e32 v69, v70, v69
	v_add_u32_e32 v68, v68, v69
	s_nop 1
	v_mov_b32_dpp v69, v68 row_bcast:31 row_mask:0xf bank_mask:0xf
	v_cndmask_b32_e32 v69, 0, v69, vcc
	v_add_u32_e32 v68, v68, v69
	v_lshrrev_b32_e32 v69, 6, v2
	v_cmp_eq_u32_e32 vcc, v31, v2
	s_and_saveexec_b64 s[0:1], vcc
	s_cbranch_execz .LBB866_133
; %bb.132:
	v_lshlrev_b32_e32 v31, 2, v69
	ds_write_b32 v31, v68
.LBB866_133:
	s_or_b64 exec, exec, s[0:1]
	v_cmp_gt_u32_e32 vcc, 8, v2
	s_waitcnt lgkmcnt(0)
	s_barrier
	s_and_saveexec_b64 s[0:1], vcc
	s_cbranch_execz .LBB866_135
; %bb.134:
	v_lshlrev_b32_e32 v31, 2, v2
	ds_read_b32 v70, v31
	v_and_b32_e32 v71, 7, v3
	v_cmp_ne_u32_e32 vcc, 0, v71
	s_waitcnt lgkmcnt(0)
	v_mov_b32_dpp v72, v70 row_shr:1 row_mask:0xf bank_mask:0xf
	v_cndmask_b32_e32 v72, 0, v72, vcc
	v_add_u32_e32 v70, v72, v70
	v_cmp_lt_u32_e32 vcc, 1, v71
	s_nop 0
	v_mov_b32_dpp v72, v70 row_shr:2 row_mask:0xf bank_mask:0xf
	v_cndmask_b32_e32 v72, 0, v72, vcc
	v_add_u32_e32 v70, v70, v72
	v_cmp_lt_u32_e32 vcc, 3, v71
	s_nop 0
	v_mov_b32_dpp v72, v70 row_shr:4 row_mask:0xf bank_mask:0xf
	v_cndmask_b32_e32 v71, 0, v72, vcc
	v_add_u32_e32 v70, v70, v71
	ds_write_b32 v31, v70
.LBB866_135:
	s_or_b64 exec, exec, s[0:1]
	v_cmp_lt_u32_e32 vcc, 63, v2
	v_mov_b32_e32 v31, 0
	s_waitcnt lgkmcnt(0)
	s_barrier
	s_and_saveexec_b64 s[0:1], vcc
	s_cbranch_execz .LBB866_137
; %bb.136:
	v_lshl_add_u32 v31, v69, 2, -4
	ds_read_b32 v31, v31
.LBB866_137:
	s_or_b64 exec, exec, s[0:1]
	v_add_u32_e32 v69, -1, v3
	v_and_b32_e32 v70, 64, v3
	v_cmp_lt_i32_e32 vcc, v69, v70
	s_waitcnt lgkmcnt(0)
	v_add_u32_e32 v68, v31, v68
	s_movk_i32 s0, 0x100
	v_cndmask_b32_e32 v69, v69, v3, vcc
	v_lshlrev_b32_e32 v69, 2, v69
	ds_bpermute_b32 v68, v69, v68
	v_cmp_eq_u32_e32 vcc, 0, v3
	s_waitcnt lgkmcnt(0)
	s_nop 0
	v_cndmask_b32_e32 v3, v68, v31, vcc
	v_cndmask_b32_e64 v3, v3, 0, s[4:5]
	v_add_u32_e32 v28, v3, v28
	v_add_u32_e32 v29, v28, v29
	;; [unrolled: 1-line block ×4, first 2 shown]
	ds_write2_b32 v30, v3, v28 offset0:8 offset1:9
	ds_write2_b32 v67, v29, v26 offset0:2 offset1:3
	ds_write_b32 v67, v27 offset:16
	s_waitcnt lgkmcnt(0)
	s_barrier
	ds_read_b32 v73, v36 offset:32
	ds_read_b32 v67, v38 offset:32
	;; [unrolled: 1-line block ×12, first 2 shown]
	v_cmp_gt_u32_e32 vcc, s0, v2
                                        ; implicit-def: $vgpr3
                                        ; implicit-def: $vgpr36
	s_and_saveexec_b64 s[2:3], vcc
	s_cbranch_execz .LBB866_141
; %bb.138:
	v_mul_u32_u24_e32 v3, 9, v2
	v_lshlrev_b32_e32 v27, 2, v3
	ds_read_b32 v3, v27 offset:32
	s_movk_i32 s0, 0xff
	v_cmp_ne_u32_e64 s[0:1], s0, v2
	v_mov_b32_e32 v26, 0x1800
	s_and_saveexec_b64 s[4:5], s[0:1]
	s_cbranch_execz .LBB866_140
; %bb.139:
	ds_read_b32 v26, v27 offset:68
.LBB866_140:
	s_or_b64 exec, exec, s[4:5]
	s_waitcnt lgkmcnt(0)
	v_sub_u32_e32 v36, v26, v3
.LBB866_141:
	s_or_b64 exec, exec, s[2:3]
	s_waitcnt lgkmcnt(0)
	s_barrier
	s_and_saveexec_b64 s[2:3], vcc
	s_cbranch_execz .LBB866_151
; %bb.142:
	v_lshl_or_b32 v28, s27, 8, v2
	v_mov_b32_e32 v29, 0
	v_lshl_add_u64 v[26:27], v[28:29], 2, s[18:19]
	v_or_b32_e32 v28, 2.0, v36
	s_mov_b64 s[4:5], 0
	s_brev_b32 s14, 1
	s_mov_b32 s15, s27
	v_mov_b32_e32 v47, 0
	global_store_dword v[26:27], v28, off sc1
                                        ; implicit-def: $sgpr0_sgpr1
	s_branch .LBB866_145
.LBB866_143:                            ;   in Loop: Header=BB866_145 Depth=1
	s_or_b64 exec, exec, s[10:11]
.LBB866_144:                            ;   in Loop: Header=BB866_145 Depth=1
	s_or_b64 exec, exec, s[6:7]
	v_and_b32_e32 v30, 0x3fffffff, v53
	v_add_u32_e32 v47, v30, v47
	v_cmp_eq_u32_e64 s[0:1], s14, v28
	s_and_b64 s[6:7], exec, s[0:1]
	s_or_b64 s[4:5], s[6:7], s[4:5]
	s_andn2_b64 exec, exec, s[4:5]
	s_cbranch_execz .LBB866_150
.LBB866_145:                            ; =>This Loop Header: Depth=1
                                        ;     Child Loop BB866_148 Depth 2
	s_or_b64 s[0:1], s[0:1], exec
	s_cmp_eq_u32 s15, 0
	s_cbranch_scc1 .LBB866_149
; %bb.146:                              ;   in Loop: Header=BB866_145 Depth=1
	s_add_i32 s15, s15, -1
	v_lshl_or_b32 v28, s15, 8, v2
	v_lshl_add_u64 v[30:31], v[28:29], 2, s[18:19]
	global_load_dword v53, v[30:31], off sc1
	s_waitcnt vmcnt(0)
	v_and_b32_e32 v28, -2.0, v53
	v_cmp_eq_u32_e64 s[0:1], 0, v28
	s_and_saveexec_b64 s[6:7], s[0:1]
	s_cbranch_execz .LBB866_144
; %bb.147:                              ;   in Loop: Header=BB866_145 Depth=1
	s_mov_b64 s[10:11], 0
.LBB866_148:                            ;   Parent Loop BB866_145 Depth=1
                                        ; =>  This Inner Loop Header: Depth=2
	global_load_dword v53, v[30:31], off sc1
	s_waitcnt vmcnt(0)
	v_and_b32_e32 v28, -2.0, v53
	v_cmp_ne_u32_e64 s[0:1], 0, v28
	s_or_b64 s[10:11], s[0:1], s[10:11]
	s_andn2_b64 exec, exec, s[10:11]
	s_cbranch_execnz .LBB866_148
	s_branch .LBB866_143
.LBB866_149:                            ;   in Loop: Header=BB866_145 Depth=1
                                        ; implicit-def: $sgpr15
	s_and_b64 s[6:7], exec, s[0:1]
	s_or_b64 s[4:5], s[6:7], s[4:5]
	s_andn2_b64 exec, exec, s[4:5]
	s_cbranch_execnz .LBB866_145
.LBB866_150:
	s_or_b64 exec, exec, s[4:5]
	v_add_u32_e32 v28, v47, v36
	v_or_b32_e32 v28, 0x80000000, v28
	global_store_dword v[26:27], v28, off sc1
	v_lshlrev_b32_e32 v26, 2, v2
	global_load_dword v27, v26, s[20:21]
	v_sub_u32_e32 v28, v47, v3
	s_waitcnt vmcnt(0)
	v_add_u32_e32 v27, v28, v27
	ds_write_b32 v26, v27
.LBB866_151:
	s_or_b64 exec, exec, s[2:3]
	v_add_u32_e32 v28, v73, v33
	v_add3_u32 v26, v34, v32, v67
	v_add3_u32 v27, v37, v35, v68
	;; [unrolled: 1-line block ×11, first 2 shown]
	v_lshlrev_b32_e32 v29, 3, v2
	v_mov_b32_e32 v75, 0x400
	s_movk_i32 s4, 0x400
	v_add_u32_e32 v30, 0x400, v29
	v_lshl_add_u32 v31, v31, 3, v75
	v_add3_u32 v33, v65, v38, v43
	v_lshl_add_u32 v38, v74, 3, v75
	v_add3_u32 v40, v63, v40, v61
	;; [unrolled: 2-line block ×11, first 2 shown]
	v_lshl_add_u32 v34, v28, 3, v75
	s_mov_b32 s5, 0
	s_movk_i32 s6, 0x200
	v_mov_b32_e32 v27, 0
	v_mov_b32_e32 v55, v2
	s_mov_b32 s7, 0
	s_branch .LBB866_153
.LBB866_152:                            ;   in Loop: Header=BB866_153 Depth=1
	s_or_b64 exec, exec, s[2:3]
	s_waitcnt lgkmcnt(0)
	s_barrier
	ds_read_b64 v[56:57], v29 offset:1024
	ds_read_b64 v[58:59], v30 offset:4096
	s_addk_i32 s7, 0xe000
	s_addk_i32 s5, 0xfc00
	s_cmp_eq_u32 s7, 0xffff4000
	s_waitcnt lgkmcnt(1)
	v_lshrrev_b64 v[60:61], s24, v[56:57]
	v_and_b32_e32 v26, s13, v60
	s_waitcnt lgkmcnt(0)
	v_lshrrev_b64 v[60:61], s24, v[58:59]
	v_lshlrev_b32_e32 v26, 2, v26
	v_and_b32_e32 v60, s13, v60
	ds_read_b32 v26, v26
	v_lshlrev_b32_e32 v60, 2, v60
	ds_read_b32 v62, v60
	s_waitcnt lgkmcnt(1)
	v_add_u32_e32 v26, v55, v26
	v_lshl_add_u64 v[60:61], v[26:27], 3, s[30:31]
	s_waitcnt lgkmcnt(0)
	v_add3_u32 v26, v55, v62, s6
	global_store_dwordx2 v[60:61], v[56:57], off
	v_lshl_add_u64 v[56:57], v[26:27], 3, s[30:31]
	v_add_u32_e32 v55, 0x400, v55
	global_store_dwordx2 v[56:57], v[58:59], off
	s_barrier
	s_cbranch_scc1 .LBB866_177
.LBB866_153:                            ; =>This Inner Loop Header: Depth=1
	v_add_u32_e32 v26, s5, v28
	v_cmp_gt_u32_e64 s[0:1], s4, v26
	s_and_saveexec_b64 s[2:3], s[0:1]
	s_cbranch_execz .LBB866_155
; %bb.154:                              ;   in Loop: Header=BB866_153 Depth=1
	v_add_u32_e32 v26, s7, v34
	ds_write_b64 v26, v[4:5]
.LBB866_155:                            ;   in Loop: Header=BB866_153 Depth=1
	s_or_b64 exec, exec, s[2:3]
	v_add_u32_e32 v26, s5, v32
	v_cmp_gt_u32_e64 s[0:1], s4, v26
	s_and_saveexec_b64 s[2:3], s[0:1]
	s_cbranch_execz .LBB866_157
; %bb.156:                              ;   in Loop: Header=BB866_153 Depth=1
	v_add_u32_e32 v26, s7, v37
	ds_write_b64 v26, v[0:1]
.LBB866_157:                            ;   in Loop: Header=BB866_153 Depth=1
	s_or_b64 exec, exec, s[2:3]
	v_add_u32_e32 v26, s5, v35
	v_cmp_gt_u32_e64 s[0:1], s4, v26
	s_and_saveexec_b64 s[2:3], s[0:1]
	s_cbranch_execz .LBB866_159
; %bb.158:                              ;   in Loop: Header=BB866_153 Depth=1
	v_add_u32_e32 v26, s7, v41
	ds_write_b64 v26, v[6:7]
.LBB866_159:                            ;   in Loop: Header=BB866_153 Depth=1
	s_or_b64 exec, exec, s[2:3]
	v_add_u32_e32 v26, s5, v39
	v_cmp_gt_u32_e64 s[0:1], s4, v26
	s_and_saveexec_b64 s[2:3], s[0:1]
	s_cbranch_execz .LBB866_161
; %bb.160:                              ;   in Loop: Header=BB866_153 Depth=1
	v_add_u32_e32 v26, s7, v45
	ds_write_b64 v26, v[8:9]
.LBB866_161:                            ;   in Loop: Header=BB866_153 Depth=1
	s_or_b64 exec, exec, s[2:3]
	v_add_u32_e32 v26, s5, v42
	v_cmp_gt_u32_e64 s[0:1], s4, v26
	s_and_saveexec_b64 s[2:3], s[0:1]
	s_cbranch_execz .LBB866_163
; %bb.162:                              ;   in Loop: Header=BB866_153 Depth=1
	v_add_u32_e32 v26, s7, v48
	ds_write_b64 v26, v[10:11]
.LBB866_163:                            ;   in Loop: Header=BB866_153 Depth=1
	s_or_b64 exec, exec, s[2:3]
	v_add_u32_e32 v26, s5, v46
	v_cmp_gt_u32_e64 s[0:1], s4, v26
	s_and_saveexec_b64 s[2:3], s[0:1]
	s_cbranch_execz .LBB866_165
; %bb.164:                              ;   in Loop: Header=BB866_153 Depth=1
	v_add_u32_e32 v26, s7, v51
	ds_write_b64 v26, v[12:13]
.LBB866_165:                            ;   in Loop: Header=BB866_153 Depth=1
	s_or_b64 exec, exec, s[2:3]
	v_add_u32_e32 v26, s5, v49
	v_cmp_gt_u32_e64 s[0:1], s4, v26
	s_and_saveexec_b64 s[2:3], s[0:1]
	s_cbranch_execz .LBB866_167
; %bb.166:                              ;   in Loop: Header=BB866_153 Depth=1
	v_add_u32_e32 v26, s7, v54
	ds_write_b64 v26, v[14:15]
.LBB866_167:                            ;   in Loop: Header=BB866_153 Depth=1
	s_or_b64 exec, exec, s[2:3]
	v_add_u32_e32 v26, s5, v52
	v_cmp_gt_u32_e64 s[0:1], s4, v26
	s_and_saveexec_b64 s[2:3], s[0:1]
	s_cbranch_execz .LBB866_169
; %bb.168:                              ;   in Loop: Header=BB866_153 Depth=1
	v_add_u32_e32 v26, s7, v53
	ds_write_b64 v26, v[16:17]
.LBB866_169:                            ;   in Loop: Header=BB866_153 Depth=1
	s_or_b64 exec, exec, s[2:3]
	v_add_u32_e32 v26, s5, v50
	v_cmp_gt_u32_e64 s[0:1], s4, v26
	s_and_saveexec_b64 s[2:3], s[0:1]
	s_cbranch_execz .LBB866_171
; %bb.170:                              ;   in Loop: Header=BB866_153 Depth=1
	v_add_u32_e32 v26, s7, v47
	ds_write_b64 v26, v[18:19]
.LBB866_171:                            ;   in Loop: Header=BB866_153 Depth=1
	s_or_b64 exec, exec, s[2:3]
	v_add_u32_e32 v26, s5, v44
	v_cmp_gt_u32_e64 s[0:1], s4, v26
	s_and_saveexec_b64 s[2:3], s[0:1]
	s_cbranch_execz .LBB866_173
; %bb.172:                              ;   in Loop: Header=BB866_153 Depth=1
	v_add_u32_e32 v26, s7, v43
	ds_write_b64 v26, v[20:21]
.LBB866_173:                            ;   in Loop: Header=BB866_153 Depth=1
	s_or_b64 exec, exec, s[2:3]
	v_add_u32_e32 v26, s5, v40
	v_cmp_gt_u32_e64 s[0:1], s4, v26
	s_and_saveexec_b64 s[2:3], s[0:1]
	s_cbranch_execz .LBB866_175
; %bb.174:                              ;   in Loop: Header=BB866_153 Depth=1
	v_add_u32_e32 v26, s7, v38
	ds_write_b64 v26, v[22:23]
.LBB866_175:                            ;   in Loop: Header=BB866_153 Depth=1
	s_or_b64 exec, exec, s[2:3]
	v_add_u32_e32 v26, s5, v33
	v_cmp_gt_u32_e64 s[0:1], s4, v26
	s_and_saveexec_b64 s[2:3], s[0:1]
	s_cbranch_execz .LBB866_152
; %bb.176:                              ;   in Loop: Header=BB866_153 Depth=1
	v_add_u32_e32 v26, s7, v31
	ds_write_b64 v26, v[24:25]
	s_branch .LBB866_152
.LBB866_177:
	s_add_i32 s12, s12, -1
	s_cmp_eq_u32 s12, s27
	s_cselect_b64 s[0:1], -1, 0
	s_and_b64 s[2:3], vcc, s[0:1]
                                        ; implicit-def: $vgpr4
	s_and_saveexec_b64 s[0:1], s[2:3]
; %bb.178:
	v_add_u32_e32 v4, v3, v36
	s_or_b64 s[8:9], s[8:9], exec
; %bb.179:
	s_or_b64 exec, exec, s[0:1]
.LBB866_180:
	s_and_saveexec_b64 s[0:1], s[8:9]
	s_cbranch_execnz .LBB866_182
; %bb.181:
	s_endpgm
.LBB866_182:
	v_lshlrev_b32_e32 v0, 2, v2
	ds_read_b32 v1, v0
	s_waitcnt lgkmcnt(0)
	v_add_u32_e32 v1, v1, v4
	global_store_dword v0, v1, s[22:23]
	s_endpgm
	.section	.rodata,"a",@progbits
	.p2align	6, 0x0
	.amdhsa_kernel _ZN7rocprim17ROCPRIM_400000_NS6detail17trampoline_kernelINS0_14default_configENS1_35radix_sort_onesweep_config_selectorIyNS0_10empty_typeEEEZZNS1_29radix_sort_onesweep_iterationIS3_Lb0EN6thrust23THRUST_200600_302600_NS6detail15normal_iteratorINS9_10device_ptrIyEEEESE_PS5_SF_jNS0_19identity_decomposerENS1_16block_id_wrapperIjLb1EEEEE10hipError_tT1_PNSt15iterator_traitsISK_E10value_typeET2_T3_PNSL_ISQ_E10value_typeET4_T5_PSV_SW_PNS1_23onesweep_lookback_stateEbbT6_jjT7_P12ihipStream_tbENKUlT_T0_SK_SP_E_clISE_SE_SF_SF_EEDaS13_S14_SK_SP_EUlS13_E_NS1_11comp_targetILNS1_3genE5ELNS1_11target_archE942ELNS1_3gpuE9ELNS1_3repE0EEENS1_47radix_sort_onesweep_sort_config_static_selectorELNS0_4arch9wavefront6targetE1EEEvSK_
		.amdhsa_group_segment_fixed_size 10280
		.amdhsa_private_segment_fixed_size 0
		.amdhsa_kernarg_size 344
		.amdhsa_user_sgpr_count 2
		.amdhsa_user_sgpr_dispatch_ptr 0
		.amdhsa_user_sgpr_queue_ptr 0
		.amdhsa_user_sgpr_kernarg_segment_ptr 1
		.amdhsa_user_sgpr_dispatch_id 0
		.amdhsa_user_sgpr_kernarg_preload_length 0
		.amdhsa_user_sgpr_kernarg_preload_offset 0
		.amdhsa_user_sgpr_private_segment_size 0
		.amdhsa_uses_dynamic_stack 0
		.amdhsa_enable_private_segment 0
		.amdhsa_system_sgpr_workgroup_id_x 1
		.amdhsa_system_sgpr_workgroup_id_y 0
		.amdhsa_system_sgpr_workgroup_id_z 0
		.amdhsa_system_sgpr_workgroup_info 0
		.amdhsa_system_vgpr_workitem_id 2
		.amdhsa_next_free_vgpr 78
		.amdhsa_next_free_sgpr 36
		.amdhsa_accum_offset 80
		.amdhsa_reserve_vcc 1
		.amdhsa_float_round_mode_32 0
		.amdhsa_float_round_mode_16_64 0
		.amdhsa_float_denorm_mode_32 3
		.amdhsa_float_denorm_mode_16_64 3
		.amdhsa_dx10_clamp 1
		.amdhsa_ieee_mode 1
		.amdhsa_fp16_overflow 0
		.amdhsa_tg_split 0
		.amdhsa_exception_fp_ieee_invalid_op 0
		.amdhsa_exception_fp_denorm_src 0
		.amdhsa_exception_fp_ieee_div_zero 0
		.amdhsa_exception_fp_ieee_overflow 0
		.amdhsa_exception_fp_ieee_underflow 0
		.amdhsa_exception_fp_ieee_inexact 0
		.amdhsa_exception_int_div_zero 0
	.end_amdhsa_kernel
	.section	.text._ZN7rocprim17ROCPRIM_400000_NS6detail17trampoline_kernelINS0_14default_configENS1_35radix_sort_onesweep_config_selectorIyNS0_10empty_typeEEEZZNS1_29radix_sort_onesweep_iterationIS3_Lb0EN6thrust23THRUST_200600_302600_NS6detail15normal_iteratorINS9_10device_ptrIyEEEESE_PS5_SF_jNS0_19identity_decomposerENS1_16block_id_wrapperIjLb1EEEEE10hipError_tT1_PNSt15iterator_traitsISK_E10value_typeET2_T3_PNSL_ISQ_E10value_typeET4_T5_PSV_SW_PNS1_23onesweep_lookback_stateEbbT6_jjT7_P12ihipStream_tbENKUlT_T0_SK_SP_E_clISE_SE_SF_SF_EEDaS13_S14_SK_SP_EUlS13_E_NS1_11comp_targetILNS1_3genE5ELNS1_11target_archE942ELNS1_3gpuE9ELNS1_3repE0EEENS1_47radix_sort_onesweep_sort_config_static_selectorELNS0_4arch9wavefront6targetE1EEEvSK_,"axG",@progbits,_ZN7rocprim17ROCPRIM_400000_NS6detail17trampoline_kernelINS0_14default_configENS1_35radix_sort_onesweep_config_selectorIyNS0_10empty_typeEEEZZNS1_29radix_sort_onesweep_iterationIS3_Lb0EN6thrust23THRUST_200600_302600_NS6detail15normal_iteratorINS9_10device_ptrIyEEEESE_PS5_SF_jNS0_19identity_decomposerENS1_16block_id_wrapperIjLb1EEEEE10hipError_tT1_PNSt15iterator_traitsISK_E10value_typeET2_T3_PNSL_ISQ_E10value_typeET4_T5_PSV_SW_PNS1_23onesweep_lookback_stateEbbT6_jjT7_P12ihipStream_tbENKUlT_T0_SK_SP_E_clISE_SE_SF_SF_EEDaS13_S14_SK_SP_EUlS13_E_NS1_11comp_targetILNS1_3genE5ELNS1_11target_archE942ELNS1_3gpuE9ELNS1_3repE0EEENS1_47radix_sort_onesweep_sort_config_static_selectorELNS0_4arch9wavefront6targetE1EEEvSK_,comdat
.Lfunc_end866:
	.size	_ZN7rocprim17ROCPRIM_400000_NS6detail17trampoline_kernelINS0_14default_configENS1_35radix_sort_onesweep_config_selectorIyNS0_10empty_typeEEEZZNS1_29radix_sort_onesweep_iterationIS3_Lb0EN6thrust23THRUST_200600_302600_NS6detail15normal_iteratorINS9_10device_ptrIyEEEESE_PS5_SF_jNS0_19identity_decomposerENS1_16block_id_wrapperIjLb1EEEEE10hipError_tT1_PNSt15iterator_traitsISK_E10value_typeET2_T3_PNSL_ISQ_E10value_typeET4_T5_PSV_SW_PNS1_23onesweep_lookback_stateEbbT6_jjT7_P12ihipStream_tbENKUlT_T0_SK_SP_E_clISE_SE_SF_SF_EEDaS13_S14_SK_SP_EUlS13_E_NS1_11comp_targetILNS1_3genE5ELNS1_11target_archE942ELNS1_3gpuE9ELNS1_3repE0EEENS1_47radix_sort_onesweep_sort_config_static_selectorELNS0_4arch9wavefront6targetE1EEEvSK_, .Lfunc_end866-_ZN7rocprim17ROCPRIM_400000_NS6detail17trampoline_kernelINS0_14default_configENS1_35radix_sort_onesweep_config_selectorIyNS0_10empty_typeEEEZZNS1_29radix_sort_onesweep_iterationIS3_Lb0EN6thrust23THRUST_200600_302600_NS6detail15normal_iteratorINS9_10device_ptrIyEEEESE_PS5_SF_jNS0_19identity_decomposerENS1_16block_id_wrapperIjLb1EEEEE10hipError_tT1_PNSt15iterator_traitsISK_E10value_typeET2_T3_PNSL_ISQ_E10value_typeET4_T5_PSV_SW_PNS1_23onesweep_lookback_stateEbbT6_jjT7_P12ihipStream_tbENKUlT_T0_SK_SP_E_clISE_SE_SF_SF_EEDaS13_S14_SK_SP_EUlS13_E_NS1_11comp_targetILNS1_3genE5ELNS1_11target_archE942ELNS1_3gpuE9ELNS1_3repE0EEENS1_47radix_sort_onesweep_sort_config_static_selectorELNS0_4arch9wavefront6targetE1EEEvSK_
                                        ; -- End function
	.section	.AMDGPU.csdata,"",@progbits
; Kernel info:
; codeLenInByte = 14996
; NumSgprs: 42
; NumVgprs: 78
; NumAgprs: 0
; TotalNumVgprs: 78
; ScratchSize: 0
; MemoryBound: 0
; FloatMode: 240
; IeeeMode: 1
; LDSByteSize: 10280 bytes/workgroup (compile time only)
; SGPRBlocks: 5
; VGPRBlocks: 9
; NumSGPRsForWavesPerEU: 42
; NumVGPRsForWavesPerEU: 78
; AccumOffset: 80
; Occupancy: 6
; WaveLimiterHint : 1
; COMPUTE_PGM_RSRC2:SCRATCH_EN: 0
; COMPUTE_PGM_RSRC2:USER_SGPR: 2
; COMPUTE_PGM_RSRC2:TRAP_HANDLER: 0
; COMPUTE_PGM_RSRC2:TGID_X_EN: 1
; COMPUTE_PGM_RSRC2:TGID_Y_EN: 0
; COMPUTE_PGM_RSRC2:TGID_Z_EN: 0
; COMPUTE_PGM_RSRC2:TIDIG_COMP_CNT: 2
; COMPUTE_PGM_RSRC3_GFX90A:ACCUM_OFFSET: 19
; COMPUTE_PGM_RSRC3_GFX90A:TG_SPLIT: 0
	.section	.text._ZN7rocprim17ROCPRIM_400000_NS6detail17trampoline_kernelINS0_14default_configENS1_35radix_sort_onesweep_config_selectorIyNS0_10empty_typeEEEZZNS1_29radix_sort_onesweep_iterationIS3_Lb0EN6thrust23THRUST_200600_302600_NS6detail15normal_iteratorINS9_10device_ptrIyEEEESE_PS5_SF_jNS0_19identity_decomposerENS1_16block_id_wrapperIjLb1EEEEE10hipError_tT1_PNSt15iterator_traitsISK_E10value_typeET2_T3_PNSL_ISQ_E10value_typeET4_T5_PSV_SW_PNS1_23onesweep_lookback_stateEbbT6_jjT7_P12ihipStream_tbENKUlT_T0_SK_SP_E_clISE_SE_SF_SF_EEDaS13_S14_SK_SP_EUlS13_E_NS1_11comp_targetILNS1_3genE2ELNS1_11target_archE906ELNS1_3gpuE6ELNS1_3repE0EEENS1_47radix_sort_onesweep_sort_config_static_selectorELNS0_4arch9wavefront6targetE1EEEvSK_,"axG",@progbits,_ZN7rocprim17ROCPRIM_400000_NS6detail17trampoline_kernelINS0_14default_configENS1_35radix_sort_onesweep_config_selectorIyNS0_10empty_typeEEEZZNS1_29radix_sort_onesweep_iterationIS3_Lb0EN6thrust23THRUST_200600_302600_NS6detail15normal_iteratorINS9_10device_ptrIyEEEESE_PS5_SF_jNS0_19identity_decomposerENS1_16block_id_wrapperIjLb1EEEEE10hipError_tT1_PNSt15iterator_traitsISK_E10value_typeET2_T3_PNSL_ISQ_E10value_typeET4_T5_PSV_SW_PNS1_23onesweep_lookback_stateEbbT6_jjT7_P12ihipStream_tbENKUlT_T0_SK_SP_E_clISE_SE_SF_SF_EEDaS13_S14_SK_SP_EUlS13_E_NS1_11comp_targetILNS1_3genE2ELNS1_11target_archE906ELNS1_3gpuE6ELNS1_3repE0EEENS1_47radix_sort_onesweep_sort_config_static_selectorELNS0_4arch9wavefront6targetE1EEEvSK_,comdat
	.protected	_ZN7rocprim17ROCPRIM_400000_NS6detail17trampoline_kernelINS0_14default_configENS1_35radix_sort_onesweep_config_selectorIyNS0_10empty_typeEEEZZNS1_29radix_sort_onesweep_iterationIS3_Lb0EN6thrust23THRUST_200600_302600_NS6detail15normal_iteratorINS9_10device_ptrIyEEEESE_PS5_SF_jNS0_19identity_decomposerENS1_16block_id_wrapperIjLb1EEEEE10hipError_tT1_PNSt15iterator_traitsISK_E10value_typeET2_T3_PNSL_ISQ_E10value_typeET4_T5_PSV_SW_PNS1_23onesweep_lookback_stateEbbT6_jjT7_P12ihipStream_tbENKUlT_T0_SK_SP_E_clISE_SE_SF_SF_EEDaS13_S14_SK_SP_EUlS13_E_NS1_11comp_targetILNS1_3genE2ELNS1_11target_archE906ELNS1_3gpuE6ELNS1_3repE0EEENS1_47radix_sort_onesweep_sort_config_static_selectorELNS0_4arch9wavefront6targetE1EEEvSK_ ; -- Begin function _ZN7rocprim17ROCPRIM_400000_NS6detail17trampoline_kernelINS0_14default_configENS1_35radix_sort_onesweep_config_selectorIyNS0_10empty_typeEEEZZNS1_29radix_sort_onesweep_iterationIS3_Lb0EN6thrust23THRUST_200600_302600_NS6detail15normal_iteratorINS9_10device_ptrIyEEEESE_PS5_SF_jNS0_19identity_decomposerENS1_16block_id_wrapperIjLb1EEEEE10hipError_tT1_PNSt15iterator_traitsISK_E10value_typeET2_T3_PNSL_ISQ_E10value_typeET4_T5_PSV_SW_PNS1_23onesweep_lookback_stateEbbT6_jjT7_P12ihipStream_tbENKUlT_T0_SK_SP_E_clISE_SE_SF_SF_EEDaS13_S14_SK_SP_EUlS13_E_NS1_11comp_targetILNS1_3genE2ELNS1_11target_archE906ELNS1_3gpuE6ELNS1_3repE0EEENS1_47radix_sort_onesweep_sort_config_static_selectorELNS0_4arch9wavefront6targetE1EEEvSK_
	.globl	_ZN7rocprim17ROCPRIM_400000_NS6detail17trampoline_kernelINS0_14default_configENS1_35radix_sort_onesweep_config_selectorIyNS0_10empty_typeEEEZZNS1_29radix_sort_onesweep_iterationIS3_Lb0EN6thrust23THRUST_200600_302600_NS6detail15normal_iteratorINS9_10device_ptrIyEEEESE_PS5_SF_jNS0_19identity_decomposerENS1_16block_id_wrapperIjLb1EEEEE10hipError_tT1_PNSt15iterator_traitsISK_E10value_typeET2_T3_PNSL_ISQ_E10value_typeET4_T5_PSV_SW_PNS1_23onesweep_lookback_stateEbbT6_jjT7_P12ihipStream_tbENKUlT_T0_SK_SP_E_clISE_SE_SF_SF_EEDaS13_S14_SK_SP_EUlS13_E_NS1_11comp_targetILNS1_3genE2ELNS1_11target_archE906ELNS1_3gpuE6ELNS1_3repE0EEENS1_47radix_sort_onesweep_sort_config_static_selectorELNS0_4arch9wavefront6targetE1EEEvSK_
	.p2align	8
	.type	_ZN7rocprim17ROCPRIM_400000_NS6detail17trampoline_kernelINS0_14default_configENS1_35radix_sort_onesweep_config_selectorIyNS0_10empty_typeEEEZZNS1_29radix_sort_onesweep_iterationIS3_Lb0EN6thrust23THRUST_200600_302600_NS6detail15normal_iteratorINS9_10device_ptrIyEEEESE_PS5_SF_jNS0_19identity_decomposerENS1_16block_id_wrapperIjLb1EEEEE10hipError_tT1_PNSt15iterator_traitsISK_E10value_typeET2_T3_PNSL_ISQ_E10value_typeET4_T5_PSV_SW_PNS1_23onesweep_lookback_stateEbbT6_jjT7_P12ihipStream_tbENKUlT_T0_SK_SP_E_clISE_SE_SF_SF_EEDaS13_S14_SK_SP_EUlS13_E_NS1_11comp_targetILNS1_3genE2ELNS1_11target_archE906ELNS1_3gpuE6ELNS1_3repE0EEENS1_47radix_sort_onesweep_sort_config_static_selectorELNS0_4arch9wavefront6targetE1EEEvSK_,@function
_ZN7rocprim17ROCPRIM_400000_NS6detail17trampoline_kernelINS0_14default_configENS1_35radix_sort_onesweep_config_selectorIyNS0_10empty_typeEEEZZNS1_29radix_sort_onesweep_iterationIS3_Lb0EN6thrust23THRUST_200600_302600_NS6detail15normal_iteratorINS9_10device_ptrIyEEEESE_PS5_SF_jNS0_19identity_decomposerENS1_16block_id_wrapperIjLb1EEEEE10hipError_tT1_PNSt15iterator_traitsISK_E10value_typeET2_T3_PNSL_ISQ_E10value_typeET4_T5_PSV_SW_PNS1_23onesweep_lookback_stateEbbT6_jjT7_P12ihipStream_tbENKUlT_T0_SK_SP_E_clISE_SE_SF_SF_EEDaS13_S14_SK_SP_EUlS13_E_NS1_11comp_targetILNS1_3genE2ELNS1_11target_archE906ELNS1_3gpuE6ELNS1_3repE0EEENS1_47radix_sort_onesweep_sort_config_static_selectorELNS0_4arch9wavefront6targetE1EEEvSK_: ; @_ZN7rocprim17ROCPRIM_400000_NS6detail17trampoline_kernelINS0_14default_configENS1_35radix_sort_onesweep_config_selectorIyNS0_10empty_typeEEEZZNS1_29radix_sort_onesweep_iterationIS3_Lb0EN6thrust23THRUST_200600_302600_NS6detail15normal_iteratorINS9_10device_ptrIyEEEESE_PS5_SF_jNS0_19identity_decomposerENS1_16block_id_wrapperIjLb1EEEEE10hipError_tT1_PNSt15iterator_traitsISK_E10value_typeET2_T3_PNSL_ISQ_E10value_typeET4_T5_PSV_SW_PNS1_23onesweep_lookback_stateEbbT6_jjT7_P12ihipStream_tbENKUlT_T0_SK_SP_E_clISE_SE_SF_SF_EEDaS13_S14_SK_SP_EUlS13_E_NS1_11comp_targetILNS1_3genE2ELNS1_11target_archE906ELNS1_3gpuE6ELNS1_3repE0EEENS1_47radix_sort_onesweep_sort_config_static_selectorELNS0_4arch9wavefront6targetE1EEEvSK_
; %bb.0:
	.section	.rodata,"a",@progbits
	.p2align	6, 0x0
	.amdhsa_kernel _ZN7rocprim17ROCPRIM_400000_NS6detail17trampoline_kernelINS0_14default_configENS1_35radix_sort_onesweep_config_selectorIyNS0_10empty_typeEEEZZNS1_29radix_sort_onesweep_iterationIS3_Lb0EN6thrust23THRUST_200600_302600_NS6detail15normal_iteratorINS9_10device_ptrIyEEEESE_PS5_SF_jNS0_19identity_decomposerENS1_16block_id_wrapperIjLb1EEEEE10hipError_tT1_PNSt15iterator_traitsISK_E10value_typeET2_T3_PNSL_ISQ_E10value_typeET4_T5_PSV_SW_PNS1_23onesweep_lookback_stateEbbT6_jjT7_P12ihipStream_tbENKUlT_T0_SK_SP_E_clISE_SE_SF_SF_EEDaS13_S14_SK_SP_EUlS13_E_NS1_11comp_targetILNS1_3genE2ELNS1_11target_archE906ELNS1_3gpuE6ELNS1_3repE0EEENS1_47radix_sort_onesweep_sort_config_static_selectorELNS0_4arch9wavefront6targetE1EEEvSK_
		.amdhsa_group_segment_fixed_size 0
		.amdhsa_private_segment_fixed_size 0
		.amdhsa_kernarg_size 88
		.amdhsa_user_sgpr_count 2
		.amdhsa_user_sgpr_dispatch_ptr 0
		.amdhsa_user_sgpr_queue_ptr 0
		.amdhsa_user_sgpr_kernarg_segment_ptr 1
		.amdhsa_user_sgpr_dispatch_id 0
		.amdhsa_user_sgpr_kernarg_preload_length 0
		.amdhsa_user_sgpr_kernarg_preload_offset 0
		.amdhsa_user_sgpr_private_segment_size 0
		.amdhsa_uses_dynamic_stack 0
		.amdhsa_enable_private_segment 0
		.amdhsa_system_sgpr_workgroup_id_x 1
		.amdhsa_system_sgpr_workgroup_id_y 0
		.amdhsa_system_sgpr_workgroup_id_z 0
		.amdhsa_system_sgpr_workgroup_info 0
		.amdhsa_system_vgpr_workitem_id 0
		.amdhsa_next_free_vgpr 1
		.amdhsa_next_free_sgpr 0
		.amdhsa_accum_offset 4
		.amdhsa_reserve_vcc 0
		.amdhsa_float_round_mode_32 0
		.amdhsa_float_round_mode_16_64 0
		.amdhsa_float_denorm_mode_32 3
		.amdhsa_float_denorm_mode_16_64 3
		.amdhsa_dx10_clamp 1
		.amdhsa_ieee_mode 1
		.amdhsa_fp16_overflow 0
		.amdhsa_tg_split 0
		.amdhsa_exception_fp_ieee_invalid_op 0
		.amdhsa_exception_fp_denorm_src 0
		.amdhsa_exception_fp_ieee_div_zero 0
		.amdhsa_exception_fp_ieee_overflow 0
		.amdhsa_exception_fp_ieee_underflow 0
		.amdhsa_exception_fp_ieee_inexact 0
		.amdhsa_exception_int_div_zero 0
	.end_amdhsa_kernel
	.section	.text._ZN7rocprim17ROCPRIM_400000_NS6detail17trampoline_kernelINS0_14default_configENS1_35radix_sort_onesweep_config_selectorIyNS0_10empty_typeEEEZZNS1_29radix_sort_onesweep_iterationIS3_Lb0EN6thrust23THRUST_200600_302600_NS6detail15normal_iteratorINS9_10device_ptrIyEEEESE_PS5_SF_jNS0_19identity_decomposerENS1_16block_id_wrapperIjLb1EEEEE10hipError_tT1_PNSt15iterator_traitsISK_E10value_typeET2_T3_PNSL_ISQ_E10value_typeET4_T5_PSV_SW_PNS1_23onesweep_lookback_stateEbbT6_jjT7_P12ihipStream_tbENKUlT_T0_SK_SP_E_clISE_SE_SF_SF_EEDaS13_S14_SK_SP_EUlS13_E_NS1_11comp_targetILNS1_3genE2ELNS1_11target_archE906ELNS1_3gpuE6ELNS1_3repE0EEENS1_47radix_sort_onesweep_sort_config_static_selectorELNS0_4arch9wavefront6targetE1EEEvSK_,"axG",@progbits,_ZN7rocprim17ROCPRIM_400000_NS6detail17trampoline_kernelINS0_14default_configENS1_35radix_sort_onesweep_config_selectorIyNS0_10empty_typeEEEZZNS1_29radix_sort_onesweep_iterationIS3_Lb0EN6thrust23THRUST_200600_302600_NS6detail15normal_iteratorINS9_10device_ptrIyEEEESE_PS5_SF_jNS0_19identity_decomposerENS1_16block_id_wrapperIjLb1EEEEE10hipError_tT1_PNSt15iterator_traitsISK_E10value_typeET2_T3_PNSL_ISQ_E10value_typeET4_T5_PSV_SW_PNS1_23onesweep_lookback_stateEbbT6_jjT7_P12ihipStream_tbENKUlT_T0_SK_SP_E_clISE_SE_SF_SF_EEDaS13_S14_SK_SP_EUlS13_E_NS1_11comp_targetILNS1_3genE2ELNS1_11target_archE906ELNS1_3gpuE6ELNS1_3repE0EEENS1_47radix_sort_onesweep_sort_config_static_selectorELNS0_4arch9wavefront6targetE1EEEvSK_,comdat
.Lfunc_end867:
	.size	_ZN7rocprim17ROCPRIM_400000_NS6detail17trampoline_kernelINS0_14default_configENS1_35radix_sort_onesweep_config_selectorIyNS0_10empty_typeEEEZZNS1_29radix_sort_onesweep_iterationIS3_Lb0EN6thrust23THRUST_200600_302600_NS6detail15normal_iteratorINS9_10device_ptrIyEEEESE_PS5_SF_jNS0_19identity_decomposerENS1_16block_id_wrapperIjLb1EEEEE10hipError_tT1_PNSt15iterator_traitsISK_E10value_typeET2_T3_PNSL_ISQ_E10value_typeET4_T5_PSV_SW_PNS1_23onesweep_lookback_stateEbbT6_jjT7_P12ihipStream_tbENKUlT_T0_SK_SP_E_clISE_SE_SF_SF_EEDaS13_S14_SK_SP_EUlS13_E_NS1_11comp_targetILNS1_3genE2ELNS1_11target_archE906ELNS1_3gpuE6ELNS1_3repE0EEENS1_47radix_sort_onesweep_sort_config_static_selectorELNS0_4arch9wavefront6targetE1EEEvSK_, .Lfunc_end867-_ZN7rocprim17ROCPRIM_400000_NS6detail17trampoline_kernelINS0_14default_configENS1_35radix_sort_onesweep_config_selectorIyNS0_10empty_typeEEEZZNS1_29radix_sort_onesweep_iterationIS3_Lb0EN6thrust23THRUST_200600_302600_NS6detail15normal_iteratorINS9_10device_ptrIyEEEESE_PS5_SF_jNS0_19identity_decomposerENS1_16block_id_wrapperIjLb1EEEEE10hipError_tT1_PNSt15iterator_traitsISK_E10value_typeET2_T3_PNSL_ISQ_E10value_typeET4_T5_PSV_SW_PNS1_23onesweep_lookback_stateEbbT6_jjT7_P12ihipStream_tbENKUlT_T0_SK_SP_E_clISE_SE_SF_SF_EEDaS13_S14_SK_SP_EUlS13_E_NS1_11comp_targetILNS1_3genE2ELNS1_11target_archE906ELNS1_3gpuE6ELNS1_3repE0EEENS1_47radix_sort_onesweep_sort_config_static_selectorELNS0_4arch9wavefront6targetE1EEEvSK_
                                        ; -- End function
	.section	.AMDGPU.csdata,"",@progbits
; Kernel info:
; codeLenInByte = 0
; NumSgprs: 6
; NumVgprs: 0
; NumAgprs: 0
; TotalNumVgprs: 0
; ScratchSize: 0
; MemoryBound: 0
; FloatMode: 240
; IeeeMode: 1
; LDSByteSize: 0 bytes/workgroup (compile time only)
; SGPRBlocks: 0
; VGPRBlocks: 0
; NumSGPRsForWavesPerEU: 6
; NumVGPRsForWavesPerEU: 1
; AccumOffset: 4
; Occupancy: 8
; WaveLimiterHint : 0
; COMPUTE_PGM_RSRC2:SCRATCH_EN: 0
; COMPUTE_PGM_RSRC2:USER_SGPR: 2
; COMPUTE_PGM_RSRC2:TRAP_HANDLER: 0
; COMPUTE_PGM_RSRC2:TGID_X_EN: 1
; COMPUTE_PGM_RSRC2:TGID_Y_EN: 0
; COMPUTE_PGM_RSRC2:TGID_Z_EN: 0
; COMPUTE_PGM_RSRC2:TIDIG_COMP_CNT: 0
; COMPUTE_PGM_RSRC3_GFX90A:ACCUM_OFFSET: 0
; COMPUTE_PGM_RSRC3_GFX90A:TG_SPLIT: 0
	.section	.text._ZN7rocprim17ROCPRIM_400000_NS6detail17trampoline_kernelINS0_14default_configENS1_35radix_sort_onesweep_config_selectorIyNS0_10empty_typeEEEZZNS1_29radix_sort_onesweep_iterationIS3_Lb0EN6thrust23THRUST_200600_302600_NS6detail15normal_iteratorINS9_10device_ptrIyEEEESE_PS5_SF_jNS0_19identity_decomposerENS1_16block_id_wrapperIjLb1EEEEE10hipError_tT1_PNSt15iterator_traitsISK_E10value_typeET2_T3_PNSL_ISQ_E10value_typeET4_T5_PSV_SW_PNS1_23onesweep_lookback_stateEbbT6_jjT7_P12ihipStream_tbENKUlT_T0_SK_SP_E_clISE_SE_SF_SF_EEDaS13_S14_SK_SP_EUlS13_E_NS1_11comp_targetILNS1_3genE4ELNS1_11target_archE910ELNS1_3gpuE8ELNS1_3repE0EEENS1_47radix_sort_onesweep_sort_config_static_selectorELNS0_4arch9wavefront6targetE1EEEvSK_,"axG",@progbits,_ZN7rocprim17ROCPRIM_400000_NS6detail17trampoline_kernelINS0_14default_configENS1_35radix_sort_onesweep_config_selectorIyNS0_10empty_typeEEEZZNS1_29radix_sort_onesweep_iterationIS3_Lb0EN6thrust23THRUST_200600_302600_NS6detail15normal_iteratorINS9_10device_ptrIyEEEESE_PS5_SF_jNS0_19identity_decomposerENS1_16block_id_wrapperIjLb1EEEEE10hipError_tT1_PNSt15iterator_traitsISK_E10value_typeET2_T3_PNSL_ISQ_E10value_typeET4_T5_PSV_SW_PNS1_23onesweep_lookback_stateEbbT6_jjT7_P12ihipStream_tbENKUlT_T0_SK_SP_E_clISE_SE_SF_SF_EEDaS13_S14_SK_SP_EUlS13_E_NS1_11comp_targetILNS1_3genE4ELNS1_11target_archE910ELNS1_3gpuE8ELNS1_3repE0EEENS1_47radix_sort_onesweep_sort_config_static_selectorELNS0_4arch9wavefront6targetE1EEEvSK_,comdat
	.protected	_ZN7rocprim17ROCPRIM_400000_NS6detail17trampoline_kernelINS0_14default_configENS1_35radix_sort_onesweep_config_selectorIyNS0_10empty_typeEEEZZNS1_29radix_sort_onesweep_iterationIS3_Lb0EN6thrust23THRUST_200600_302600_NS6detail15normal_iteratorINS9_10device_ptrIyEEEESE_PS5_SF_jNS0_19identity_decomposerENS1_16block_id_wrapperIjLb1EEEEE10hipError_tT1_PNSt15iterator_traitsISK_E10value_typeET2_T3_PNSL_ISQ_E10value_typeET4_T5_PSV_SW_PNS1_23onesweep_lookback_stateEbbT6_jjT7_P12ihipStream_tbENKUlT_T0_SK_SP_E_clISE_SE_SF_SF_EEDaS13_S14_SK_SP_EUlS13_E_NS1_11comp_targetILNS1_3genE4ELNS1_11target_archE910ELNS1_3gpuE8ELNS1_3repE0EEENS1_47radix_sort_onesweep_sort_config_static_selectorELNS0_4arch9wavefront6targetE1EEEvSK_ ; -- Begin function _ZN7rocprim17ROCPRIM_400000_NS6detail17trampoline_kernelINS0_14default_configENS1_35radix_sort_onesweep_config_selectorIyNS0_10empty_typeEEEZZNS1_29radix_sort_onesweep_iterationIS3_Lb0EN6thrust23THRUST_200600_302600_NS6detail15normal_iteratorINS9_10device_ptrIyEEEESE_PS5_SF_jNS0_19identity_decomposerENS1_16block_id_wrapperIjLb1EEEEE10hipError_tT1_PNSt15iterator_traitsISK_E10value_typeET2_T3_PNSL_ISQ_E10value_typeET4_T5_PSV_SW_PNS1_23onesweep_lookback_stateEbbT6_jjT7_P12ihipStream_tbENKUlT_T0_SK_SP_E_clISE_SE_SF_SF_EEDaS13_S14_SK_SP_EUlS13_E_NS1_11comp_targetILNS1_3genE4ELNS1_11target_archE910ELNS1_3gpuE8ELNS1_3repE0EEENS1_47radix_sort_onesweep_sort_config_static_selectorELNS0_4arch9wavefront6targetE1EEEvSK_
	.globl	_ZN7rocprim17ROCPRIM_400000_NS6detail17trampoline_kernelINS0_14default_configENS1_35radix_sort_onesweep_config_selectorIyNS0_10empty_typeEEEZZNS1_29radix_sort_onesweep_iterationIS3_Lb0EN6thrust23THRUST_200600_302600_NS6detail15normal_iteratorINS9_10device_ptrIyEEEESE_PS5_SF_jNS0_19identity_decomposerENS1_16block_id_wrapperIjLb1EEEEE10hipError_tT1_PNSt15iterator_traitsISK_E10value_typeET2_T3_PNSL_ISQ_E10value_typeET4_T5_PSV_SW_PNS1_23onesweep_lookback_stateEbbT6_jjT7_P12ihipStream_tbENKUlT_T0_SK_SP_E_clISE_SE_SF_SF_EEDaS13_S14_SK_SP_EUlS13_E_NS1_11comp_targetILNS1_3genE4ELNS1_11target_archE910ELNS1_3gpuE8ELNS1_3repE0EEENS1_47radix_sort_onesweep_sort_config_static_selectorELNS0_4arch9wavefront6targetE1EEEvSK_
	.p2align	8
	.type	_ZN7rocprim17ROCPRIM_400000_NS6detail17trampoline_kernelINS0_14default_configENS1_35radix_sort_onesweep_config_selectorIyNS0_10empty_typeEEEZZNS1_29radix_sort_onesweep_iterationIS3_Lb0EN6thrust23THRUST_200600_302600_NS6detail15normal_iteratorINS9_10device_ptrIyEEEESE_PS5_SF_jNS0_19identity_decomposerENS1_16block_id_wrapperIjLb1EEEEE10hipError_tT1_PNSt15iterator_traitsISK_E10value_typeET2_T3_PNSL_ISQ_E10value_typeET4_T5_PSV_SW_PNS1_23onesweep_lookback_stateEbbT6_jjT7_P12ihipStream_tbENKUlT_T0_SK_SP_E_clISE_SE_SF_SF_EEDaS13_S14_SK_SP_EUlS13_E_NS1_11comp_targetILNS1_3genE4ELNS1_11target_archE910ELNS1_3gpuE8ELNS1_3repE0EEENS1_47radix_sort_onesweep_sort_config_static_selectorELNS0_4arch9wavefront6targetE1EEEvSK_,@function
_ZN7rocprim17ROCPRIM_400000_NS6detail17trampoline_kernelINS0_14default_configENS1_35radix_sort_onesweep_config_selectorIyNS0_10empty_typeEEEZZNS1_29radix_sort_onesweep_iterationIS3_Lb0EN6thrust23THRUST_200600_302600_NS6detail15normal_iteratorINS9_10device_ptrIyEEEESE_PS5_SF_jNS0_19identity_decomposerENS1_16block_id_wrapperIjLb1EEEEE10hipError_tT1_PNSt15iterator_traitsISK_E10value_typeET2_T3_PNSL_ISQ_E10value_typeET4_T5_PSV_SW_PNS1_23onesweep_lookback_stateEbbT6_jjT7_P12ihipStream_tbENKUlT_T0_SK_SP_E_clISE_SE_SF_SF_EEDaS13_S14_SK_SP_EUlS13_E_NS1_11comp_targetILNS1_3genE4ELNS1_11target_archE910ELNS1_3gpuE8ELNS1_3repE0EEENS1_47radix_sort_onesweep_sort_config_static_selectorELNS0_4arch9wavefront6targetE1EEEvSK_: ; @_ZN7rocprim17ROCPRIM_400000_NS6detail17trampoline_kernelINS0_14default_configENS1_35radix_sort_onesweep_config_selectorIyNS0_10empty_typeEEEZZNS1_29radix_sort_onesweep_iterationIS3_Lb0EN6thrust23THRUST_200600_302600_NS6detail15normal_iteratorINS9_10device_ptrIyEEEESE_PS5_SF_jNS0_19identity_decomposerENS1_16block_id_wrapperIjLb1EEEEE10hipError_tT1_PNSt15iterator_traitsISK_E10value_typeET2_T3_PNSL_ISQ_E10value_typeET4_T5_PSV_SW_PNS1_23onesweep_lookback_stateEbbT6_jjT7_P12ihipStream_tbENKUlT_T0_SK_SP_E_clISE_SE_SF_SF_EEDaS13_S14_SK_SP_EUlS13_E_NS1_11comp_targetILNS1_3genE4ELNS1_11target_archE910ELNS1_3gpuE8ELNS1_3repE0EEENS1_47radix_sort_onesweep_sort_config_static_selectorELNS0_4arch9wavefront6targetE1EEEvSK_
; %bb.0:
	.section	.rodata,"a",@progbits
	.p2align	6, 0x0
	.amdhsa_kernel _ZN7rocprim17ROCPRIM_400000_NS6detail17trampoline_kernelINS0_14default_configENS1_35radix_sort_onesweep_config_selectorIyNS0_10empty_typeEEEZZNS1_29radix_sort_onesweep_iterationIS3_Lb0EN6thrust23THRUST_200600_302600_NS6detail15normal_iteratorINS9_10device_ptrIyEEEESE_PS5_SF_jNS0_19identity_decomposerENS1_16block_id_wrapperIjLb1EEEEE10hipError_tT1_PNSt15iterator_traitsISK_E10value_typeET2_T3_PNSL_ISQ_E10value_typeET4_T5_PSV_SW_PNS1_23onesweep_lookback_stateEbbT6_jjT7_P12ihipStream_tbENKUlT_T0_SK_SP_E_clISE_SE_SF_SF_EEDaS13_S14_SK_SP_EUlS13_E_NS1_11comp_targetILNS1_3genE4ELNS1_11target_archE910ELNS1_3gpuE8ELNS1_3repE0EEENS1_47radix_sort_onesweep_sort_config_static_selectorELNS0_4arch9wavefront6targetE1EEEvSK_
		.amdhsa_group_segment_fixed_size 0
		.amdhsa_private_segment_fixed_size 0
		.amdhsa_kernarg_size 88
		.amdhsa_user_sgpr_count 2
		.amdhsa_user_sgpr_dispatch_ptr 0
		.amdhsa_user_sgpr_queue_ptr 0
		.amdhsa_user_sgpr_kernarg_segment_ptr 1
		.amdhsa_user_sgpr_dispatch_id 0
		.amdhsa_user_sgpr_kernarg_preload_length 0
		.amdhsa_user_sgpr_kernarg_preload_offset 0
		.amdhsa_user_sgpr_private_segment_size 0
		.amdhsa_uses_dynamic_stack 0
		.amdhsa_enable_private_segment 0
		.amdhsa_system_sgpr_workgroup_id_x 1
		.amdhsa_system_sgpr_workgroup_id_y 0
		.amdhsa_system_sgpr_workgroup_id_z 0
		.amdhsa_system_sgpr_workgroup_info 0
		.amdhsa_system_vgpr_workitem_id 0
		.amdhsa_next_free_vgpr 1
		.amdhsa_next_free_sgpr 0
		.amdhsa_accum_offset 4
		.amdhsa_reserve_vcc 0
		.amdhsa_float_round_mode_32 0
		.amdhsa_float_round_mode_16_64 0
		.amdhsa_float_denorm_mode_32 3
		.amdhsa_float_denorm_mode_16_64 3
		.amdhsa_dx10_clamp 1
		.amdhsa_ieee_mode 1
		.amdhsa_fp16_overflow 0
		.amdhsa_tg_split 0
		.amdhsa_exception_fp_ieee_invalid_op 0
		.amdhsa_exception_fp_denorm_src 0
		.amdhsa_exception_fp_ieee_div_zero 0
		.amdhsa_exception_fp_ieee_overflow 0
		.amdhsa_exception_fp_ieee_underflow 0
		.amdhsa_exception_fp_ieee_inexact 0
		.amdhsa_exception_int_div_zero 0
	.end_amdhsa_kernel
	.section	.text._ZN7rocprim17ROCPRIM_400000_NS6detail17trampoline_kernelINS0_14default_configENS1_35radix_sort_onesweep_config_selectorIyNS0_10empty_typeEEEZZNS1_29radix_sort_onesweep_iterationIS3_Lb0EN6thrust23THRUST_200600_302600_NS6detail15normal_iteratorINS9_10device_ptrIyEEEESE_PS5_SF_jNS0_19identity_decomposerENS1_16block_id_wrapperIjLb1EEEEE10hipError_tT1_PNSt15iterator_traitsISK_E10value_typeET2_T3_PNSL_ISQ_E10value_typeET4_T5_PSV_SW_PNS1_23onesweep_lookback_stateEbbT6_jjT7_P12ihipStream_tbENKUlT_T0_SK_SP_E_clISE_SE_SF_SF_EEDaS13_S14_SK_SP_EUlS13_E_NS1_11comp_targetILNS1_3genE4ELNS1_11target_archE910ELNS1_3gpuE8ELNS1_3repE0EEENS1_47radix_sort_onesweep_sort_config_static_selectorELNS0_4arch9wavefront6targetE1EEEvSK_,"axG",@progbits,_ZN7rocprim17ROCPRIM_400000_NS6detail17trampoline_kernelINS0_14default_configENS1_35radix_sort_onesweep_config_selectorIyNS0_10empty_typeEEEZZNS1_29radix_sort_onesweep_iterationIS3_Lb0EN6thrust23THRUST_200600_302600_NS6detail15normal_iteratorINS9_10device_ptrIyEEEESE_PS5_SF_jNS0_19identity_decomposerENS1_16block_id_wrapperIjLb1EEEEE10hipError_tT1_PNSt15iterator_traitsISK_E10value_typeET2_T3_PNSL_ISQ_E10value_typeET4_T5_PSV_SW_PNS1_23onesweep_lookback_stateEbbT6_jjT7_P12ihipStream_tbENKUlT_T0_SK_SP_E_clISE_SE_SF_SF_EEDaS13_S14_SK_SP_EUlS13_E_NS1_11comp_targetILNS1_3genE4ELNS1_11target_archE910ELNS1_3gpuE8ELNS1_3repE0EEENS1_47radix_sort_onesweep_sort_config_static_selectorELNS0_4arch9wavefront6targetE1EEEvSK_,comdat
.Lfunc_end868:
	.size	_ZN7rocprim17ROCPRIM_400000_NS6detail17trampoline_kernelINS0_14default_configENS1_35radix_sort_onesweep_config_selectorIyNS0_10empty_typeEEEZZNS1_29radix_sort_onesweep_iterationIS3_Lb0EN6thrust23THRUST_200600_302600_NS6detail15normal_iteratorINS9_10device_ptrIyEEEESE_PS5_SF_jNS0_19identity_decomposerENS1_16block_id_wrapperIjLb1EEEEE10hipError_tT1_PNSt15iterator_traitsISK_E10value_typeET2_T3_PNSL_ISQ_E10value_typeET4_T5_PSV_SW_PNS1_23onesweep_lookback_stateEbbT6_jjT7_P12ihipStream_tbENKUlT_T0_SK_SP_E_clISE_SE_SF_SF_EEDaS13_S14_SK_SP_EUlS13_E_NS1_11comp_targetILNS1_3genE4ELNS1_11target_archE910ELNS1_3gpuE8ELNS1_3repE0EEENS1_47radix_sort_onesweep_sort_config_static_selectorELNS0_4arch9wavefront6targetE1EEEvSK_, .Lfunc_end868-_ZN7rocprim17ROCPRIM_400000_NS6detail17trampoline_kernelINS0_14default_configENS1_35radix_sort_onesweep_config_selectorIyNS0_10empty_typeEEEZZNS1_29radix_sort_onesweep_iterationIS3_Lb0EN6thrust23THRUST_200600_302600_NS6detail15normal_iteratorINS9_10device_ptrIyEEEESE_PS5_SF_jNS0_19identity_decomposerENS1_16block_id_wrapperIjLb1EEEEE10hipError_tT1_PNSt15iterator_traitsISK_E10value_typeET2_T3_PNSL_ISQ_E10value_typeET4_T5_PSV_SW_PNS1_23onesweep_lookback_stateEbbT6_jjT7_P12ihipStream_tbENKUlT_T0_SK_SP_E_clISE_SE_SF_SF_EEDaS13_S14_SK_SP_EUlS13_E_NS1_11comp_targetILNS1_3genE4ELNS1_11target_archE910ELNS1_3gpuE8ELNS1_3repE0EEENS1_47radix_sort_onesweep_sort_config_static_selectorELNS0_4arch9wavefront6targetE1EEEvSK_
                                        ; -- End function
	.section	.AMDGPU.csdata,"",@progbits
; Kernel info:
; codeLenInByte = 0
; NumSgprs: 6
; NumVgprs: 0
; NumAgprs: 0
; TotalNumVgprs: 0
; ScratchSize: 0
; MemoryBound: 0
; FloatMode: 240
; IeeeMode: 1
; LDSByteSize: 0 bytes/workgroup (compile time only)
; SGPRBlocks: 0
; VGPRBlocks: 0
; NumSGPRsForWavesPerEU: 6
; NumVGPRsForWavesPerEU: 1
; AccumOffset: 4
; Occupancy: 8
; WaveLimiterHint : 0
; COMPUTE_PGM_RSRC2:SCRATCH_EN: 0
; COMPUTE_PGM_RSRC2:USER_SGPR: 2
; COMPUTE_PGM_RSRC2:TRAP_HANDLER: 0
; COMPUTE_PGM_RSRC2:TGID_X_EN: 1
; COMPUTE_PGM_RSRC2:TGID_Y_EN: 0
; COMPUTE_PGM_RSRC2:TGID_Z_EN: 0
; COMPUTE_PGM_RSRC2:TIDIG_COMP_CNT: 0
; COMPUTE_PGM_RSRC3_GFX90A:ACCUM_OFFSET: 0
; COMPUTE_PGM_RSRC3_GFX90A:TG_SPLIT: 0
	.section	.text._ZN7rocprim17ROCPRIM_400000_NS6detail17trampoline_kernelINS0_14default_configENS1_35radix_sort_onesweep_config_selectorIyNS0_10empty_typeEEEZZNS1_29radix_sort_onesweep_iterationIS3_Lb0EN6thrust23THRUST_200600_302600_NS6detail15normal_iteratorINS9_10device_ptrIyEEEESE_PS5_SF_jNS0_19identity_decomposerENS1_16block_id_wrapperIjLb1EEEEE10hipError_tT1_PNSt15iterator_traitsISK_E10value_typeET2_T3_PNSL_ISQ_E10value_typeET4_T5_PSV_SW_PNS1_23onesweep_lookback_stateEbbT6_jjT7_P12ihipStream_tbENKUlT_T0_SK_SP_E_clISE_SE_SF_SF_EEDaS13_S14_SK_SP_EUlS13_E_NS1_11comp_targetILNS1_3genE3ELNS1_11target_archE908ELNS1_3gpuE7ELNS1_3repE0EEENS1_47radix_sort_onesweep_sort_config_static_selectorELNS0_4arch9wavefront6targetE1EEEvSK_,"axG",@progbits,_ZN7rocprim17ROCPRIM_400000_NS6detail17trampoline_kernelINS0_14default_configENS1_35radix_sort_onesweep_config_selectorIyNS0_10empty_typeEEEZZNS1_29radix_sort_onesweep_iterationIS3_Lb0EN6thrust23THRUST_200600_302600_NS6detail15normal_iteratorINS9_10device_ptrIyEEEESE_PS5_SF_jNS0_19identity_decomposerENS1_16block_id_wrapperIjLb1EEEEE10hipError_tT1_PNSt15iterator_traitsISK_E10value_typeET2_T3_PNSL_ISQ_E10value_typeET4_T5_PSV_SW_PNS1_23onesweep_lookback_stateEbbT6_jjT7_P12ihipStream_tbENKUlT_T0_SK_SP_E_clISE_SE_SF_SF_EEDaS13_S14_SK_SP_EUlS13_E_NS1_11comp_targetILNS1_3genE3ELNS1_11target_archE908ELNS1_3gpuE7ELNS1_3repE0EEENS1_47radix_sort_onesweep_sort_config_static_selectorELNS0_4arch9wavefront6targetE1EEEvSK_,comdat
	.protected	_ZN7rocprim17ROCPRIM_400000_NS6detail17trampoline_kernelINS0_14default_configENS1_35radix_sort_onesweep_config_selectorIyNS0_10empty_typeEEEZZNS1_29radix_sort_onesweep_iterationIS3_Lb0EN6thrust23THRUST_200600_302600_NS6detail15normal_iteratorINS9_10device_ptrIyEEEESE_PS5_SF_jNS0_19identity_decomposerENS1_16block_id_wrapperIjLb1EEEEE10hipError_tT1_PNSt15iterator_traitsISK_E10value_typeET2_T3_PNSL_ISQ_E10value_typeET4_T5_PSV_SW_PNS1_23onesweep_lookback_stateEbbT6_jjT7_P12ihipStream_tbENKUlT_T0_SK_SP_E_clISE_SE_SF_SF_EEDaS13_S14_SK_SP_EUlS13_E_NS1_11comp_targetILNS1_3genE3ELNS1_11target_archE908ELNS1_3gpuE7ELNS1_3repE0EEENS1_47radix_sort_onesweep_sort_config_static_selectorELNS0_4arch9wavefront6targetE1EEEvSK_ ; -- Begin function _ZN7rocprim17ROCPRIM_400000_NS6detail17trampoline_kernelINS0_14default_configENS1_35radix_sort_onesweep_config_selectorIyNS0_10empty_typeEEEZZNS1_29radix_sort_onesweep_iterationIS3_Lb0EN6thrust23THRUST_200600_302600_NS6detail15normal_iteratorINS9_10device_ptrIyEEEESE_PS5_SF_jNS0_19identity_decomposerENS1_16block_id_wrapperIjLb1EEEEE10hipError_tT1_PNSt15iterator_traitsISK_E10value_typeET2_T3_PNSL_ISQ_E10value_typeET4_T5_PSV_SW_PNS1_23onesweep_lookback_stateEbbT6_jjT7_P12ihipStream_tbENKUlT_T0_SK_SP_E_clISE_SE_SF_SF_EEDaS13_S14_SK_SP_EUlS13_E_NS1_11comp_targetILNS1_3genE3ELNS1_11target_archE908ELNS1_3gpuE7ELNS1_3repE0EEENS1_47radix_sort_onesweep_sort_config_static_selectorELNS0_4arch9wavefront6targetE1EEEvSK_
	.globl	_ZN7rocprim17ROCPRIM_400000_NS6detail17trampoline_kernelINS0_14default_configENS1_35radix_sort_onesweep_config_selectorIyNS0_10empty_typeEEEZZNS1_29radix_sort_onesweep_iterationIS3_Lb0EN6thrust23THRUST_200600_302600_NS6detail15normal_iteratorINS9_10device_ptrIyEEEESE_PS5_SF_jNS0_19identity_decomposerENS1_16block_id_wrapperIjLb1EEEEE10hipError_tT1_PNSt15iterator_traitsISK_E10value_typeET2_T3_PNSL_ISQ_E10value_typeET4_T5_PSV_SW_PNS1_23onesweep_lookback_stateEbbT6_jjT7_P12ihipStream_tbENKUlT_T0_SK_SP_E_clISE_SE_SF_SF_EEDaS13_S14_SK_SP_EUlS13_E_NS1_11comp_targetILNS1_3genE3ELNS1_11target_archE908ELNS1_3gpuE7ELNS1_3repE0EEENS1_47radix_sort_onesweep_sort_config_static_selectorELNS0_4arch9wavefront6targetE1EEEvSK_
	.p2align	8
	.type	_ZN7rocprim17ROCPRIM_400000_NS6detail17trampoline_kernelINS0_14default_configENS1_35radix_sort_onesweep_config_selectorIyNS0_10empty_typeEEEZZNS1_29radix_sort_onesweep_iterationIS3_Lb0EN6thrust23THRUST_200600_302600_NS6detail15normal_iteratorINS9_10device_ptrIyEEEESE_PS5_SF_jNS0_19identity_decomposerENS1_16block_id_wrapperIjLb1EEEEE10hipError_tT1_PNSt15iterator_traitsISK_E10value_typeET2_T3_PNSL_ISQ_E10value_typeET4_T5_PSV_SW_PNS1_23onesweep_lookback_stateEbbT6_jjT7_P12ihipStream_tbENKUlT_T0_SK_SP_E_clISE_SE_SF_SF_EEDaS13_S14_SK_SP_EUlS13_E_NS1_11comp_targetILNS1_3genE3ELNS1_11target_archE908ELNS1_3gpuE7ELNS1_3repE0EEENS1_47radix_sort_onesweep_sort_config_static_selectorELNS0_4arch9wavefront6targetE1EEEvSK_,@function
_ZN7rocprim17ROCPRIM_400000_NS6detail17trampoline_kernelINS0_14default_configENS1_35radix_sort_onesweep_config_selectorIyNS0_10empty_typeEEEZZNS1_29radix_sort_onesweep_iterationIS3_Lb0EN6thrust23THRUST_200600_302600_NS6detail15normal_iteratorINS9_10device_ptrIyEEEESE_PS5_SF_jNS0_19identity_decomposerENS1_16block_id_wrapperIjLb1EEEEE10hipError_tT1_PNSt15iterator_traitsISK_E10value_typeET2_T3_PNSL_ISQ_E10value_typeET4_T5_PSV_SW_PNS1_23onesweep_lookback_stateEbbT6_jjT7_P12ihipStream_tbENKUlT_T0_SK_SP_E_clISE_SE_SF_SF_EEDaS13_S14_SK_SP_EUlS13_E_NS1_11comp_targetILNS1_3genE3ELNS1_11target_archE908ELNS1_3gpuE7ELNS1_3repE0EEENS1_47radix_sort_onesweep_sort_config_static_selectorELNS0_4arch9wavefront6targetE1EEEvSK_: ; @_ZN7rocprim17ROCPRIM_400000_NS6detail17trampoline_kernelINS0_14default_configENS1_35radix_sort_onesweep_config_selectorIyNS0_10empty_typeEEEZZNS1_29radix_sort_onesweep_iterationIS3_Lb0EN6thrust23THRUST_200600_302600_NS6detail15normal_iteratorINS9_10device_ptrIyEEEESE_PS5_SF_jNS0_19identity_decomposerENS1_16block_id_wrapperIjLb1EEEEE10hipError_tT1_PNSt15iterator_traitsISK_E10value_typeET2_T3_PNSL_ISQ_E10value_typeET4_T5_PSV_SW_PNS1_23onesweep_lookback_stateEbbT6_jjT7_P12ihipStream_tbENKUlT_T0_SK_SP_E_clISE_SE_SF_SF_EEDaS13_S14_SK_SP_EUlS13_E_NS1_11comp_targetILNS1_3genE3ELNS1_11target_archE908ELNS1_3gpuE7ELNS1_3repE0EEENS1_47radix_sort_onesweep_sort_config_static_selectorELNS0_4arch9wavefront6targetE1EEEvSK_
; %bb.0:
	.section	.rodata,"a",@progbits
	.p2align	6, 0x0
	.amdhsa_kernel _ZN7rocprim17ROCPRIM_400000_NS6detail17trampoline_kernelINS0_14default_configENS1_35radix_sort_onesweep_config_selectorIyNS0_10empty_typeEEEZZNS1_29radix_sort_onesweep_iterationIS3_Lb0EN6thrust23THRUST_200600_302600_NS6detail15normal_iteratorINS9_10device_ptrIyEEEESE_PS5_SF_jNS0_19identity_decomposerENS1_16block_id_wrapperIjLb1EEEEE10hipError_tT1_PNSt15iterator_traitsISK_E10value_typeET2_T3_PNSL_ISQ_E10value_typeET4_T5_PSV_SW_PNS1_23onesweep_lookback_stateEbbT6_jjT7_P12ihipStream_tbENKUlT_T0_SK_SP_E_clISE_SE_SF_SF_EEDaS13_S14_SK_SP_EUlS13_E_NS1_11comp_targetILNS1_3genE3ELNS1_11target_archE908ELNS1_3gpuE7ELNS1_3repE0EEENS1_47radix_sort_onesweep_sort_config_static_selectorELNS0_4arch9wavefront6targetE1EEEvSK_
		.amdhsa_group_segment_fixed_size 0
		.amdhsa_private_segment_fixed_size 0
		.amdhsa_kernarg_size 88
		.amdhsa_user_sgpr_count 2
		.amdhsa_user_sgpr_dispatch_ptr 0
		.amdhsa_user_sgpr_queue_ptr 0
		.amdhsa_user_sgpr_kernarg_segment_ptr 1
		.amdhsa_user_sgpr_dispatch_id 0
		.amdhsa_user_sgpr_kernarg_preload_length 0
		.amdhsa_user_sgpr_kernarg_preload_offset 0
		.amdhsa_user_sgpr_private_segment_size 0
		.amdhsa_uses_dynamic_stack 0
		.amdhsa_enable_private_segment 0
		.amdhsa_system_sgpr_workgroup_id_x 1
		.amdhsa_system_sgpr_workgroup_id_y 0
		.amdhsa_system_sgpr_workgroup_id_z 0
		.amdhsa_system_sgpr_workgroup_info 0
		.amdhsa_system_vgpr_workitem_id 0
		.amdhsa_next_free_vgpr 1
		.amdhsa_next_free_sgpr 0
		.amdhsa_accum_offset 4
		.amdhsa_reserve_vcc 0
		.amdhsa_float_round_mode_32 0
		.amdhsa_float_round_mode_16_64 0
		.amdhsa_float_denorm_mode_32 3
		.amdhsa_float_denorm_mode_16_64 3
		.amdhsa_dx10_clamp 1
		.amdhsa_ieee_mode 1
		.amdhsa_fp16_overflow 0
		.amdhsa_tg_split 0
		.amdhsa_exception_fp_ieee_invalid_op 0
		.amdhsa_exception_fp_denorm_src 0
		.amdhsa_exception_fp_ieee_div_zero 0
		.amdhsa_exception_fp_ieee_overflow 0
		.amdhsa_exception_fp_ieee_underflow 0
		.amdhsa_exception_fp_ieee_inexact 0
		.amdhsa_exception_int_div_zero 0
	.end_amdhsa_kernel
	.section	.text._ZN7rocprim17ROCPRIM_400000_NS6detail17trampoline_kernelINS0_14default_configENS1_35radix_sort_onesweep_config_selectorIyNS0_10empty_typeEEEZZNS1_29radix_sort_onesweep_iterationIS3_Lb0EN6thrust23THRUST_200600_302600_NS6detail15normal_iteratorINS9_10device_ptrIyEEEESE_PS5_SF_jNS0_19identity_decomposerENS1_16block_id_wrapperIjLb1EEEEE10hipError_tT1_PNSt15iterator_traitsISK_E10value_typeET2_T3_PNSL_ISQ_E10value_typeET4_T5_PSV_SW_PNS1_23onesweep_lookback_stateEbbT6_jjT7_P12ihipStream_tbENKUlT_T0_SK_SP_E_clISE_SE_SF_SF_EEDaS13_S14_SK_SP_EUlS13_E_NS1_11comp_targetILNS1_3genE3ELNS1_11target_archE908ELNS1_3gpuE7ELNS1_3repE0EEENS1_47radix_sort_onesweep_sort_config_static_selectorELNS0_4arch9wavefront6targetE1EEEvSK_,"axG",@progbits,_ZN7rocprim17ROCPRIM_400000_NS6detail17trampoline_kernelINS0_14default_configENS1_35radix_sort_onesweep_config_selectorIyNS0_10empty_typeEEEZZNS1_29radix_sort_onesweep_iterationIS3_Lb0EN6thrust23THRUST_200600_302600_NS6detail15normal_iteratorINS9_10device_ptrIyEEEESE_PS5_SF_jNS0_19identity_decomposerENS1_16block_id_wrapperIjLb1EEEEE10hipError_tT1_PNSt15iterator_traitsISK_E10value_typeET2_T3_PNSL_ISQ_E10value_typeET4_T5_PSV_SW_PNS1_23onesweep_lookback_stateEbbT6_jjT7_P12ihipStream_tbENKUlT_T0_SK_SP_E_clISE_SE_SF_SF_EEDaS13_S14_SK_SP_EUlS13_E_NS1_11comp_targetILNS1_3genE3ELNS1_11target_archE908ELNS1_3gpuE7ELNS1_3repE0EEENS1_47radix_sort_onesweep_sort_config_static_selectorELNS0_4arch9wavefront6targetE1EEEvSK_,comdat
.Lfunc_end869:
	.size	_ZN7rocprim17ROCPRIM_400000_NS6detail17trampoline_kernelINS0_14default_configENS1_35radix_sort_onesweep_config_selectorIyNS0_10empty_typeEEEZZNS1_29radix_sort_onesweep_iterationIS3_Lb0EN6thrust23THRUST_200600_302600_NS6detail15normal_iteratorINS9_10device_ptrIyEEEESE_PS5_SF_jNS0_19identity_decomposerENS1_16block_id_wrapperIjLb1EEEEE10hipError_tT1_PNSt15iterator_traitsISK_E10value_typeET2_T3_PNSL_ISQ_E10value_typeET4_T5_PSV_SW_PNS1_23onesweep_lookback_stateEbbT6_jjT7_P12ihipStream_tbENKUlT_T0_SK_SP_E_clISE_SE_SF_SF_EEDaS13_S14_SK_SP_EUlS13_E_NS1_11comp_targetILNS1_3genE3ELNS1_11target_archE908ELNS1_3gpuE7ELNS1_3repE0EEENS1_47radix_sort_onesweep_sort_config_static_selectorELNS0_4arch9wavefront6targetE1EEEvSK_, .Lfunc_end869-_ZN7rocprim17ROCPRIM_400000_NS6detail17trampoline_kernelINS0_14default_configENS1_35radix_sort_onesweep_config_selectorIyNS0_10empty_typeEEEZZNS1_29radix_sort_onesweep_iterationIS3_Lb0EN6thrust23THRUST_200600_302600_NS6detail15normal_iteratorINS9_10device_ptrIyEEEESE_PS5_SF_jNS0_19identity_decomposerENS1_16block_id_wrapperIjLb1EEEEE10hipError_tT1_PNSt15iterator_traitsISK_E10value_typeET2_T3_PNSL_ISQ_E10value_typeET4_T5_PSV_SW_PNS1_23onesweep_lookback_stateEbbT6_jjT7_P12ihipStream_tbENKUlT_T0_SK_SP_E_clISE_SE_SF_SF_EEDaS13_S14_SK_SP_EUlS13_E_NS1_11comp_targetILNS1_3genE3ELNS1_11target_archE908ELNS1_3gpuE7ELNS1_3repE0EEENS1_47radix_sort_onesweep_sort_config_static_selectorELNS0_4arch9wavefront6targetE1EEEvSK_
                                        ; -- End function
	.section	.AMDGPU.csdata,"",@progbits
; Kernel info:
; codeLenInByte = 0
; NumSgprs: 6
; NumVgprs: 0
; NumAgprs: 0
; TotalNumVgprs: 0
; ScratchSize: 0
; MemoryBound: 0
; FloatMode: 240
; IeeeMode: 1
; LDSByteSize: 0 bytes/workgroup (compile time only)
; SGPRBlocks: 0
; VGPRBlocks: 0
; NumSGPRsForWavesPerEU: 6
; NumVGPRsForWavesPerEU: 1
; AccumOffset: 4
; Occupancy: 8
; WaveLimiterHint : 0
; COMPUTE_PGM_RSRC2:SCRATCH_EN: 0
; COMPUTE_PGM_RSRC2:USER_SGPR: 2
; COMPUTE_PGM_RSRC2:TRAP_HANDLER: 0
; COMPUTE_PGM_RSRC2:TGID_X_EN: 1
; COMPUTE_PGM_RSRC2:TGID_Y_EN: 0
; COMPUTE_PGM_RSRC2:TGID_Z_EN: 0
; COMPUTE_PGM_RSRC2:TIDIG_COMP_CNT: 0
; COMPUTE_PGM_RSRC3_GFX90A:ACCUM_OFFSET: 0
; COMPUTE_PGM_RSRC3_GFX90A:TG_SPLIT: 0
	.section	.text._ZN7rocprim17ROCPRIM_400000_NS6detail17trampoline_kernelINS0_14default_configENS1_35radix_sort_onesweep_config_selectorIyNS0_10empty_typeEEEZZNS1_29radix_sort_onesweep_iterationIS3_Lb0EN6thrust23THRUST_200600_302600_NS6detail15normal_iteratorINS9_10device_ptrIyEEEESE_PS5_SF_jNS0_19identity_decomposerENS1_16block_id_wrapperIjLb1EEEEE10hipError_tT1_PNSt15iterator_traitsISK_E10value_typeET2_T3_PNSL_ISQ_E10value_typeET4_T5_PSV_SW_PNS1_23onesweep_lookback_stateEbbT6_jjT7_P12ihipStream_tbENKUlT_T0_SK_SP_E_clISE_SE_SF_SF_EEDaS13_S14_SK_SP_EUlS13_E_NS1_11comp_targetILNS1_3genE10ELNS1_11target_archE1201ELNS1_3gpuE5ELNS1_3repE0EEENS1_47radix_sort_onesweep_sort_config_static_selectorELNS0_4arch9wavefront6targetE1EEEvSK_,"axG",@progbits,_ZN7rocprim17ROCPRIM_400000_NS6detail17trampoline_kernelINS0_14default_configENS1_35radix_sort_onesweep_config_selectorIyNS0_10empty_typeEEEZZNS1_29radix_sort_onesweep_iterationIS3_Lb0EN6thrust23THRUST_200600_302600_NS6detail15normal_iteratorINS9_10device_ptrIyEEEESE_PS5_SF_jNS0_19identity_decomposerENS1_16block_id_wrapperIjLb1EEEEE10hipError_tT1_PNSt15iterator_traitsISK_E10value_typeET2_T3_PNSL_ISQ_E10value_typeET4_T5_PSV_SW_PNS1_23onesweep_lookback_stateEbbT6_jjT7_P12ihipStream_tbENKUlT_T0_SK_SP_E_clISE_SE_SF_SF_EEDaS13_S14_SK_SP_EUlS13_E_NS1_11comp_targetILNS1_3genE10ELNS1_11target_archE1201ELNS1_3gpuE5ELNS1_3repE0EEENS1_47radix_sort_onesweep_sort_config_static_selectorELNS0_4arch9wavefront6targetE1EEEvSK_,comdat
	.protected	_ZN7rocprim17ROCPRIM_400000_NS6detail17trampoline_kernelINS0_14default_configENS1_35radix_sort_onesweep_config_selectorIyNS0_10empty_typeEEEZZNS1_29radix_sort_onesweep_iterationIS3_Lb0EN6thrust23THRUST_200600_302600_NS6detail15normal_iteratorINS9_10device_ptrIyEEEESE_PS5_SF_jNS0_19identity_decomposerENS1_16block_id_wrapperIjLb1EEEEE10hipError_tT1_PNSt15iterator_traitsISK_E10value_typeET2_T3_PNSL_ISQ_E10value_typeET4_T5_PSV_SW_PNS1_23onesweep_lookback_stateEbbT6_jjT7_P12ihipStream_tbENKUlT_T0_SK_SP_E_clISE_SE_SF_SF_EEDaS13_S14_SK_SP_EUlS13_E_NS1_11comp_targetILNS1_3genE10ELNS1_11target_archE1201ELNS1_3gpuE5ELNS1_3repE0EEENS1_47radix_sort_onesweep_sort_config_static_selectorELNS0_4arch9wavefront6targetE1EEEvSK_ ; -- Begin function _ZN7rocprim17ROCPRIM_400000_NS6detail17trampoline_kernelINS0_14default_configENS1_35radix_sort_onesweep_config_selectorIyNS0_10empty_typeEEEZZNS1_29radix_sort_onesweep_iterationIS3_Lb0EN6thrust23THRUST_200600_302600_NS6detail15normal_iteratorINS9_10device_ptrIyEEEESE_PS5_SF_jNS0_19identity_decomposerENS1_16block_id_wrapperIjLb1EEEEE10hipError_tT1_PNSt15iterator_traitsISK_E10value_typeET2_T3_PNSL_ISQ_E10value_typeET4_T5_PSV_SW_PNS1_23onesweep_lookback_stateEbbT6_jjT7_P12ihipStream_tbENKUlT_T0_SK_SP_E_clISE_SE_SF_SF_EEDaS13_S14_SK_SP_EUlS13_E_NS1_11comp_targetILNS1_3genE10ELNS1_11target_archE1201ELNS1_3gpuE5ELNS1_3repE0EEENS1_47radix_sort_onesweep_sort_config_static_selectorELNS0_4arch9wavefront6targetE1EEEvSK_
	.globl	_ZN7rocprim17ROCPRIM_400000_NS6detail17trampoline_kernelINS0_14default_configENS1_35radix_sort_onesweep_config_selectorIyNS0_10empty_typeEEEZZNS1_29radix_sort_onesweep_iterationIS3_Lb0EN6thrust23THRUST_200600_302600_NS6detail15normal_iteratorINS9_10device_ptrIyEEEESE_PS5_SF_jNS0_19identity_decomposerENS1_16block_id_wrapperIjLb1EEEEE10hipError_tT1_PNSt15iterator_traitsISK_E10value_typeET2_T3_PNSL_ISQ_E10value_typeET4_T5_PSV_SW_PNS1_23onesweep_lookback_stateEbbT6_jjT7_P12ihipStream_tbENKUlT_T0_SK_SP_E_clISE_SE_SF_SF_EEDaS13_S14_SK_SP_EUlS13_E_NS1_11comp_targetILNS1_3genE10ELNS1_11target_archE1201ELNS1_3gpuE5ELNS1_3repE0EEENS1_47radix_sort_onesweep_sort_config_static_selectorELNS0_4arch9wavefront6targetE1EEEvSK_
	.p2align	8
	.type	_ZN7rocprim17ROCPRIM_400000_NS6detail17trampoline_kernelINS0_14default_configENS1_35radix_sort_onesweep_config_selectorIyNS0_10empty_typeEEEZZNS1_29radix_sort_onesweep_iterationIS3_Lb0EN6thrust23THRUST_200600_302600_NS6detail15normal_iteratorINS9_10device_ptrIyEEEESE_PS5_SF_jNS0_19identity_decomposerENS1_16block_id_wrapperIjLb1EEEEE10hipError_tT1_PNSt15iterator_traitsISK_E10value_typeET2_T3_PNSL_ISQ_E10value_typeET4_T5_PSV_SW_PNS1_23onesweep_lookback_stateEbbT6_jjT7_P12ihipStream_tbENKUlT_T0_SK_SP_E_clISE_SE_SF_SF_EEDaS13_S14_SK_SP_EUlS13_E_NS1_11comp_targetILNS1_3genE10ELNS1_11target_archE1201ELNS1_3gpuE5ELNS1_3repE0EEENS1_47radix_sort_onesweep_sort_config_static_selectorELNS0_4arch9wavefront6targetE1EEEvSK_,@function
_ZN7rocprim17ROCPRIM_400000_NS6detail17trampoline_kernelINS0_14default_configENS1_35radix_sort_onesweep_config_selectorIyNS0_10empty_typeEEEZZNS1_29radix_sort_onesweep_iterationIS3_Lb0EN6thrust23THRUST_200600_302600_NS6detail15normal_iteratorINS9_10device_ptrIyEEEESE_PS5_SF_jNS0_19identity_decomposerENS1_16block_id_wrapperIjLb1EEEEE10hipError_tT1_PNSt15iterator_traitsISK_E10value_typeET2_T3_PNSL_ISQ_E10value_typeET4_T5_PSV_SW_PNS1_23onesweep_lookback_stateEbbT6_jjT7_P12ihipStream_tbENKUlT_T0_SK_SP_E_clISE_SE_SF_SF_EEDaS13_S14_SK_SP_EUlS13_E_NS1_11comp_targetILNS1_3genE10ELNS1_11target_archE1201ELNS1_3gpuE5ELNS1_3repE0EEENS1_47radix_sort_onesweep_sort_config_static_selectorELNS0_4arch9wavefront6targetE1EEEvSK_: ; @_ZN7rocprim17ROCPRIM_400000_NS6detail17trampoline_kernelINS0_14default_configENS1_35radix_sort_onesweep_config_selectorIyNS0_10empty_typeEEEZZNS1_29radix_sort_onesweep_iterationIS3_Lb0EN6thrust23THRUST_200600_302600_NS6detail15normal_iteratorINS9_10device_ptrIyEEEESE_PS5_SF_jNS0_19identity_decomposerENS1_16block_id_wrapperIjLb1EEEEE10hipError_tT1_PNSt15iterator_traitsISK_E10value_typeET2_T3_PNSL_ISQ_E10value_typeET4_T5_PSV_SW_PNS1_23onesweep_lookback_stateEbbT6_jjT7_P12ihipStream_tbENKUlT_T0_SK_SP_E_clISE_SE_SF_SF_EEDaS13_S14_SK_SP_EUlS13_E_NS1_11comp_targetILNS1_3genE10ELNS1_11target_archE1201ELNS1_3gpuE5ELNS1_3repE0EEENS1_47radix_sort_onesweep_sort_config_static_selectorELNS0_4arch9wavefront6targetE1EEEvSK_
; %bb.0:
	.section	.rodata,"a",@progbits
	.p2align	6, 0x0
	.amdhsa_kernel _ZN7rocprim17ROCPRIM_400000_NS6detail17trampoline_kernelINS0_14default_configENS1_35radix_sort_onesweep_config_selectorIyNS0_10empty_typeEEEZZNS1_29radix_sort_onesweep_iterationIS3_Lb0EN6thrust23THRUST_200600_302600_NS6detail15normal_iteratorINS9_10device_ptrIyEEEESE_PS5_SF_jNS0_19identity_decomposerENS1_16block_id_wrapperIjLb1EEEEE10hipError_tT1_PNSt15iterator_traitsISK_E10value_typeET2_T3_PNSL_ISQ_E10value_typeET4_T5_PSV_SW_PNS1_23onesweep_lookback_stateEbbT6_jjT7_P12ihipStream_tbENKUlT_T0_SK_SP_E_clISE_SE_SF_SF_EEDaS13_S14_SK_SP_EUlS13_E_NS1_11comp_targetILNS1_3genE10ELNS1_11target_archE1201ELNS1_3gpuE5ELNS1_3repE0EEENS1_47radix_sort_onesweep_sort_config_static_selectorELNS0_4arch9wavefront6targetE1EEEvSK_
		.amdhsa_group_segment_fixed_size 0
		.amdhsa_private_segment_fixed_size 0
		.amdhsa_kernarg_size 88
		.amdhsa_user_sgpr_count 2
		.amdhsa_user_sgpr_dispatch_ptr 0
		.amdhsa_user_sgpr_queue_ptr 0
		.amdhsa_user_sgpr_kernarg_segment_ptr 1
		.amdhsa_user_sgpr_dispatch_id 0
		.amdhsa_user_sgpr_kernarg_preload_length 0
		.amdhsa_user_sgpr_kernarg_preload_offset 0
		.amdhsa_user_sgpr_private_segment_size 0
		.amdhsa_uses_dynamic_stack 0
		.amdhsa_enable_private_segment 0
		.amdhsa_system_sgpr_workgroup_id_x 1
		.amdhsa_system_sgpr_workgroup_id_y 0
		.amdhsa_system_sgpr_workgroup_id_z 0
		.amdhsa_system_sgpr_workgroup_info 0
		.amdhsa_system_vgpr_workitem_id 0
		.amdhsa_next_free_vgpr 1
		.amdhsa_next_free_sgpr 0
		.amdhsa_accum_offset 4
		.amdhsa_reserve_vcc 0
		.amdhsa_float_round_mode_32 0
		.amdhsa_float_round_mode_16_64 0
		.amdhsa_float_denorm_mode_32 3
		.amdhsa_float_denorm_mode_16_64 3
		.amdhsa_dx10_clamp 1
		.amdhsa_ieee_mode 1
		.amdhsa_fp16_overflow 0
		.amdhsa_tg_split 0
		.amdhsa_exception_fp_ieee_invalid_op 0
		.amdhsa_exception_fp_denorm_src 0
		.amdhsa_exception_fp_ieee_div_zero 0
		.amdhsa_exception_fp_ieee_overflow 0
		.amdhsa_exception_fp_ieee_underflow 0
		.amdhsa_exception_fp_ieee_inexact 0
		.amdhsa_exception_int_div_zero 0
	.end_amdhsa_kernel
	.section	.text._ZN7rocprim17ROCPRIM_400000_NS6detail17trampoline_kernelINS0_14default_configENS1_35radix_sort_onesweep_config_selectorIyNS0_10empty_typeEEEZZNS1_29radix_sort_onesweep_iterationIS3_Lb0EN6thrust23THRUST_200600_302600_NS6detail15normal_iteratorINS9_10device_ptrIyEEEESE_PS5_SF_jNS0_19identity_decomposerENS1_16block_id_wrapperIjLb1EEEEE10hipError_tT1_PNSt15iterator_traitsISK_E10value_typeET2_T3_PNSL_ISQ_E10value_typeET4_T5_PSV_SW_PNS1_23onesweep_lookback_stateEbbT6_jjT7_P12ihipStream_tbENKUlT_T0_SK_SP_E_clISE_SE_SF_SF_EEDaS13_S14_SK_SP_EUlS13_E_NS1_11comp_targetILNS1_3genE10ELNS1_11target_archE1201ELNS1_3gpuE5ELNS1_3repE0EEENS1_47radix_sort_onesweep_sort_config_static_selectorELNS0_4arch9wavefront6targetE1EEEvSK_,"axG",@progbits,_ZN7rocprim17ROCPRIM_400000_NS6detail17trampoline_kernelINS0_14default_configENS1_35radix_sort_onesweep_config_selectorIyNS0_10empty_typeEEEZZNS1_29radix_sort_onesweep_iterationIS3_Lb0EN6thrust23THRUST_200600_302600_NS6detail15normal_iteratorINS9_10device_ptrIyEEEESE_PS5_SF_jNS0_19identity_decomposerENS1_16block_id_wrapperIjLb1EEEEE10hipError_tT1_PNSt15iterator_traitsISK_E10value_typeET2_T3_PNSL_ISQ_E10value_typeET4_T5_PSV_SW_PNS1_23onesweep_lookback_stateEbbT6_jjT7_P12ihipStream_tbENKUlT_T0_SK_SP_E_clISE_SE_SF_SF_EEDaS13_S14_SK_SP_EUlS13_E_NS1_11comp_targetILNS1_3genE10ELNS1_11target_archE1201ELNS1_3gpuE5ELNS1_3repE0EEENS1_47radix_sort_onesweep_sort_config_static_selectorELNS0_4arch9wavefront6targetE1EEEvSK_,comdat
.Lfunc_end870:
	.size	_ZN7rocprim17ROCPRIM_400000_NS6detail17trampoline_kernelINS0_14default_configENS1_35radix_sort_onesweep_config_selectorIyNS0_10empty_typeEEEZZNS1_29radix_sort_onesweep_iterationIS3_Lb0EN6thrust23THRUST_200600_302600_NS6detail15normal_iteratorINS9_10device_ptrIyEEEESE_PS5_SF_jNS0_19identity_decomposerENS1_16block_id_wrapperIjLb1EEEEE10hipError_tT1_PNSt15iterator_traitsISK_E10value_typeET2_T3_PNSL_ISQ_E10value_typeET4_T5_PSV_SW_PNS1_23onesweep_lookback_stateEbbT6_jjT7_P12ihipStream_tbENKUlT_T0_SK_SP_E_clISE_SE_SF_SF_EEDaS13_S14_SK_SP_EUlS13_E_NS1_11comp_targetILNS1_3genE10ELNS1_11target_archE1201ELNS1_3gpuE5ELNS1_3repE0EEENS1_47radix_sort_onesweep_sort_config_static_selectorELNS0_4arch9wavefront6targetE1EEEvSK_, .Lfunc_end870-_ZN7rocprim17ROCPRIM_400000_NS6detail17trampoline_kernelINS0_14default_configENS1_35radix_sort_onesweep_config_selectorIyNS0_10empty_typeEEEZZNS1_29radix_sort_onesweep_iterationIS3_Lb0EN6thrust23THRUST_200600_302600_NS6detail15normal_iteratorINS9_10device_ptrIyEEEESE_PS5_SF_jNS0_19identity_decomposerENS1_16block_id_wrapperIjLb1EEEEE10hipError_tT1_PNSt15iterator_traitsISK_E10value_typeET2_T3_PNSL_ISQ_E10value_typeET4_T5_PSV_SW_PNS1_23onesweep_lookback_stateEbbT6_jjT7_P12ihipStream_tbENKUlT_T0_SK_SP_E_clISE_SE_SF_SF_EEDaS13_S14_SK_SP_EUlS13_E_NS1_11comp_targetILNS1_3genE10ELNS1_11target_archE1201ELNS1_3gpuE5ELNS1_3repE0EEENS1_47radix_sort_onesweep_sort_config_static_selectorELNS0_4arch9wavefront6targetE1EEEvSK_
                                        ; -- End function
	.section	.AMDGPU.csdata,"",@progbits
; Kernel info:
; codeLenInByte = 0
; NumSgprs: 6
; NumVgprs: 0
; NumAgprs: 0
; TotalNumVgprs: 0
; ScratchSize: 0
; MemoryBound: 0
; FloatMode: 240
; IeeeMode: 1
; LDSByteSize: 0 bytes/workgroup (compile time only)
; SGPRBlocks: 0
; VGPRBlocks: 0
; NumSGPRsForWavesPerEU: 6
; NumVGPRsForWavesPerEU: 1
; AccumOffset: 4
; Occupancy: 8
; WaveLimiterHint : 0
; COMPUTE_PGM_RSRC2:SCRATCH_EN: 0
; COMPUTE_PGM_RSRC2:USER_SGPR: 2
; COMPUTE_PGM_RSRC2:TRAP_HANDLER: 0
; COMPUTE_PGM_RSRC2:TGID_X_EN: 1
; COMPUTE_PGM_RSRC2:TGID_Y_EN: 0
; COMPUTE_PGM_RSRC2:TGID_Z_EN: 0
; COMPUTE_PGM_RSRC2:TIDIG_COMP_CNT: 0
; COMPUTE_PGM_RSRC3_GFX90A:ACCUM_OFFSET: 0
; COMPUTE_PGM_RSRC3_GFX90A:TG_SPLIT: 0
	.section	.text._ZN7rocprim17ROCPRIM_400000_NS6detail17trampoline_kernelINS0_14default_configENS1_35radix_sort_onesweep_config_selectorIyNS0_10empty_typeEEEZZNS1_29radix_sort_onesweep_iterationIS3_Lb0EN6thrust23THRUST_200600_302600_NS6detail15normal_iteratorINS9_10device_ptrIyEEEESE_PS5_SF_jNS0_19identity_decomposerENS1_16block_id_wrapperIjLb1EEEEE10hipError_tT1_PNSt15iterator_traitsISK_E10value_typeET2_T3_PNSL_ISQ_E10value_typeET4_T5_PSV_SW_PNS1_23onesweep_lookback_stateEbbT6_jjT7_P12ihipStream_tbENKUlT_T0_SK_SP_E_clISE_SE_SF_SF_EEDaS13_S14_SK_SP_EUlS13_E_NS1_11comp_targetILNS1_3genE9ELNS1_11target_archE1100ELNS1_3gpuE3ELNS1_3repE0EEENS1_47radix_sort_onesweep_sort_config_static_selectorELNS0_4arch9wavefront6targetE1EEEvSK_,"axG",@progbits,_ZN7rocprim17ROCPRIM_400000_NS6detail17trampoline_kernelINS0_14default_configENS1_35radix_sort_onesweep_config_selectorIyNS0_10empty_typeEEEZZNS1_29radix_sort_onesweep_iterationIS3_Lb0EN6thrust23THRUST_200600_302600_NS6detail15normal_iteratorINS9_10device_ptrIyEEEESE_PS5_SF_jNS0_19identity_decomposerENS1_16block_id_wrapperIjLb1EEEEE10hipError_tT1_PNSt15iterator_traitsISK_E10value_typeET2_T3_PNSL_ISQ_E10value_typeET4_T5_PSV_SW_PNS1_23onesweep_lookback_stateEbbT6_jjT7_P12ihipStream_tbENKUlT_T0_SK_SP_E_clISE_SE_SF_SF_EEDaS13_S14_SK_SP_EUlS13_E_NS1_11comp_targetILNS1_3genE9ELNS1_11target_archE1100ELNS1_3gpuE3ELNS1_3repE0EEENS1_47radix_sort_onesweep_sort_config_static_selectorELNS0_4arch9wavefront6targetE1EEEvSK_,comdat
	.protected	_ZN7rocprim17ROCPRIM_400000_NS6detail17trampoline_kernelINS0_14default_configENS1_35radix_sort_onesweep_config_selectorIyNS0_10empty_typeEEEZZNS1_29radix_sort_onesweep_iterationIS3_Lb0EN6thrust23THRUST_200600_302600_NS6detail15normal_iteratorINS9_10device_ptrIyEEEESE_PS5_SF_jNS0_19identity_decomposerENS1_16block_id_wrapperIjLb1EEEEE10hipError_tT1_PNSt15iterator_traitsISK_E10value_typeET2_T3_PNSL_ISQ_E10value_typeET4_T5_PSV_SW_PNS1_23onesweep_lookback_stateEbbT6_jjT7_P12ihipStream_tbENKUlT_T0_SK_SP_E_clISE_SE_SF_SF_EEDaS13_S14_SK_SP_EUlS13_E_NS1_11comp_targetILNS1_3genE9ELNS1_11target_archE1100ELNS1_3gpuE3ELNS1_3repE0EEENS1_47radix_sort_onesweep_sort_config_static_selectorELNS0_4arch9wavefront6targetE1EEEvSK_ ; -- Begin function _ZN7rocprim17ROCPRIM_400000_NS6detail17trampoline_kernelINS0_14default_configENS1_35radix_sort_onesweep_config_selectorIyNS0_10empty_typeEEEZZNS1_29radix_sort_onesweep_iterationIS3_Lb0EN6thrust23THRUST_200600_302600_NS6detail15normal_iteratorINS9_10device_ptrIyEEEESE_PS5_SF_jNS0_19identity_decomposerENS1_16block_id_wrapperIjLb1EEEEE10hipError_tT1_PNSt15iterator_traitsISK_E10value_typeET2_T3_PNSL_ISQ_E10value_typeET4_T5_PSV_SW_PNS1_23onesweep_lookback_stateEbbT6_jjT7_P12ihipStream_tbENKUlT_T0_SK_SP_E_clISE_SE_SF_SF_EEDaS13_S14_SK_SP_EUlS13_E_NS1_11comp_targetILNS1_3genE9ELNS1_11target_archE1100ELNS1_3gpuE3ELNS1_3repE0EEENS1_47radix_sort_onesweep_sort_config_static_selectorELNS0_4arch9wavefront6targetE1EEEvSK_
	.globl	_ZN7rocprim17ROCPRIM_400000_NS6detail17trampoline_kernelINS0_14default_configENS1_35radix_sort_onesweep_config_selectorIyNS0_10empty_typeEEEZZNS1_29radix_sort_onesweep_iterationIS3_Lb0EN6thrust23THRUST_200600_302600_NS6detail15normal_iteratorINS9_10device_ptrIyEEEESE_PS5_SF_jNS0_19identity_decomposerENS1_16block_id_wrapperIjLb1EEEEE10hipError_tT1_PNSt15iterator_traitsISK_E10value_typeET2_T3_PNSL_ISQ_E10value_typeET4_T5_PSV_SW_PNS1_23onesweep_lookback_stateEbbT6_jjT7_P12ihipStream_tbENKUlT_T0_SK_SP_E_clISE_SE_SF_SF_EEDaS13_S14_SK_SP_EUlS13_E_NS1_11comp_targetILNS1_3genE9ELNS1_11target_archE1100ELNS1_3gpuE3ELNS1_3repE0EEENS1_47radix_sort_onesweep_sort_config_static_selectorELNS0_4arch9wavefront6targetE1EEEvSK_
	.p2align	8
	.type	_ZN7rocprim17ROCPRIM_400000_NS6detail17trampoline_kernelINS0_14default_configENS1_35radix_sort_onesweep_config_selectorIyNS0_10empty_typeEEEZZNS1_29radix_sort_onesweep_iterationIS3_Lb0EN6thrust23THRUST_200600_302600_NS6detail15normal_iteratorINS9_10device_ptrIyEEEESE_PS5_SF_jNS0_19identity_decomposerENS1_16block_id_wrapperIjLb1EEEEE10hipError_tT1_PNSt15iterator_traitsISK_E10value_typeET2_T3_PNSL_ISQ_E10value_typeET4_T5_PSV_SW_PNS1_23onesweep_lookback_stateEbbT6_jjT7_P12ihipStream_tbENKUlT_T0_SK_SP_E_clISE_SE_SF_SF_EEDaS13_S14_SK_SP_EUlS13_E_NS1_11comp_targetILNS1_3genE9ELNS1_11target_archE1100ELNS1_3gpuE3ELNS1_3repE0EEENS1_47radix_sort_onesweep_sort_config_static_selectorELNS0_4arch9wavefront6targetE1EEEvSK_,@function
_ZN7rocprim17ROCPRIM_400000_NS6detail17trampoline_kernelINS0_14default_configENS1_35radix_sort_onesweep_config_selectorIyNS0_10empty_typeEEEZZNS1_29radix_sort_onesweep_iterationIS3_Lb0EN6thrust23THRUST_200600_302600_NS6detail15normal_iteratorINS9_10device_ptrIyEEEESE_PS5_SF_jNS0_19identity_decomposerENS1_16block_id_wrapperIjLb1EEEEE10hipError_tT1_PNSt15iterator_traitsISK_E10value_typeET2_T3_PNSL_ISQ_E10value_typeET4_T5_PSV_SW_PNS1_23onesweep_lookback_stateEbbT6_jjT7_P12ihipStream_tbENKUlT_T0_SK_SP_E_clISE_SE_SF_SF_EEDaS13_S14_SK_SP_EUlS13_E_NS1_11comp_targetILNS1_3genE9ELNS1_11target_archE1100ELNS1_3gpuE3ELNS1_3repE0EEENS1_47radix_sort_onesweep_sort_config_static_selectorELNS0_4arch9wavefront6targetE1EEEvSK_: ; @_ZN7rocprim17ROCPRIM_400000_NS6detail17trampoline_kernelINS0_14default_configENS1_35radix_sort_onesweep_config_selectorIyNS0_10empty_typeEEEZZNS1_29radix_sort_onesweep_iterationIS3_Lb0EN6thrust23THRUST_200600_302600_NS6detail15normal_iteratorINS9_10device_ptrIyEEEESE_PS5_SF_jNS0_19identity_decomposerENS1_16block_id_wrapperIjLb1EEEEE10hipError_tT1_PNSt15iterator_traitsISK_E10value_typeET2_T3_PNSL_ISQ_E10value_typeET4_T5_PSV_SW_PNS1_23onesweep_lookback_stateEbbT6_jjT7_P12ihipStream_tbENKUlT_T0_SK_SP_E_clISE_SE_SF_SF_EEDaS13_S14_SK_SP_EUlS13_E_NS1_11comp_targetILNS1_3genE9ELNS1_11target_archE1100ELNS1_3gpuE3ELNS1_3repE0EEENS1_47radix_sort_onesweep_sort_config_static_selectorELNS0_4arch9wavefront6targetE1EEEvSK_
; %bb.0:
	.section	.rodata,"a",@progbits
	.p2align	6, 0x0
	.amdhsa_kernel _ZN7rocprim17ROCPRIM_400000_NS6detail17trampoline_kernelINS0_14default_configENS1_35radix_sort_onesweep_config_selectorIyNS0_10empty_typeEEEZZNS1_29radix_sort_onesweep_iterationIS3_Lb0EN6thrust23THRUST_200600_302600_NS6detail15normal_iteratorINS9_10device_ptrIyEEEESE_PS5_SF_jNS0_19identity_decomposerENS1_16block_id_wrapperIjLb1EEEEE10hipError_tT1_PNSt15iterator_traitsISK_E10value_typeET2_T3_PNSL_ISQ_E10value_typeET4_T5_PSV_SW_PNS1_23onesweep_lookback_stateEbbT6_jjT7_P12ihipStream_tbENKUlT_T0_SK_SP_E_clISE_SE_SF_SF_EEDaS13_S14_SK_SP_EUlS13_E_NS1_11comp_targetILNS1_3genE9ELNS1_11target_archE1100ELNS1_3gpuE3ELNS1_3repE0EEENS1_47radix_sort_onesweep_sort_config_static_selectorELNS0_4arch9wavefront6targetE1EEEvSK_
		.amdhsa_group_segment_fixed_size 0
		.amdhsa_private_segment_fixed_size 0
		.amdhsa_kernarg_size 88
		.amdhsa_user_sgpr_count 2
		.amdhsa_user_sgpr_dispatch_ptr 0
		.amdhsa_user_sgpr_queue_ptr 0
		.amdhsa_user_sgpr_kernarg_segment_ptr 1
		.amdhsa_user_sgpr_dispatch_id 0
		.amdhsa_user_sgpr_kernarg_preload_length 0
		.amdhsa_user_sgpr_kernarg_preload_offset 0
		.amdhsa_user_sgpr_private_segment_size 0
		.amdhsa_uses_dynamic_stack 0
		.amdhsa_enable_private_segment 0
		.amdhsa_system_sgpr_workgroup_id_x 1
		.amdhsa_system_sgpr_workgroup_id_y 0
		.amdhsa_system_sgpr_workgroup_id_z 0
		.amdhsa_system_sgpr_workgroup_info 0
		.amdhsa_system_vgpr_workitem_id 0
		.amdhsa_next_free_vgpr 1
		.amdhsa_next_free_sgpr 0
		.amdhsa_accum_offset 4
		.amdhsa_reserve_vcc 0
		.amdhsa_float_round_mode_32 0
		.amdhsa_float_round_mode_16_64 0
		.amdhsa_float_denorm_mode_32 3
		.amdhsa_float_denorm_mode_16_64 3
		.amdhsa_dx10_clamp 1
		.amdhsa_ieee_mode 1
		.amdhsa_fp16_overflow 0
		.amdhsa_tg_split 0
		.amdhsa_exception_fp_ieee_invalid_op 0
		.amdhsa_exception_fp_denorm_src 0
		.amdhsa_exception_fp_ieee_div_zero 0
		.amdhsa_exception_fp_ieee_overflow 0
		.amdhsa_exception_fp_ieee_underflow 0
		.amdhsa_exception_fp_ieee_inexact 0
		.amdhsa_exception_int_div_zero 0
	.end_amdhsa_kernel
	.section	.text._ZN7rocprim17ROCPRIM_400000_NS6detail17trampoline_kernelINS0_14default_configENS1_35radix_sort_onesweep_config_selectorIyNS0_10empty_typeEEEZZNS1_29radix_sort_onesweep_iterationIS3_Lb0EN6thrust23THRUST_200600_302600_NS6detail15normal_iteratorINS9_10device_ptrIyEEEESE_PS5_SF_jNS0_19identity_decomposerENS1_16block_id_wrapperIjLb1EEEEE10hipError_tT1_PNSt15iterator_traitsISK_E10value_typeET2_T3_PNSL_ISQ_E10value_typeET4_T5_PSV_SW_PNS1_23onesweep_lookback_stateEbbT6_jjT7_P12ihipStream_tbENKUlT_T0_SK_SP_E_clISE_SE_SF_SF_EEDaS13_S14_SK_SP_EUlS13_E_NS1_11comp_targetILNS1_3genE9ELNS1_11target_archE1100ELNS1_3gpuE3ELNS1_3repE0EEENS1_47radix_sort_onesweep_sort_config_static_selectorELNS0_4arch9wavefront6targetE1EEEvSK_,"axG",@progbits,_ZN7rocprim17ROCPRIM_400000_NS6detail17trampoline_kernelINS0_14default_configENS1_35radix_sort_onesweep_config_selectorIyNS0_10empty_typeEEEZZNS1_29radix_sort_onesweep_iterationIS3_Lb0EN6thrust23THRUST_200600_302600_NS6detail15normal_iteratorINS9_10device_ptrIyEEEESE_PS5_SF_jNS0_19identity_decomposerENS1_16block_id_wrapperIjLb1EEEEE10hipError_tT1_PNSt15iterator_traitsISK_E10value_typeET2_T3_PNSL_ISQ_E10value_typeET4_T5_PSV_SW_PNS1_23onesweep_lookback_stateEbbT6_jjT7_P12ihipStream_tbENKUlT_T0_SK_SP_E_clISE_SE_SF_SF_EEDaS13_S14_SK_SP_EUlS13_E_NS1_11comp_targetILNS1_3genE9ELNS1_11target_archE1100ELNS1_3gpuE3ELNS1_3repE0EEENS1_47radix_sort_onesweep_sort_config_static_selectorELNS0_4arch9wavefront6targetE1EEEvSK_,comdat
.Lfunc_end871:
	.size	_ZN7rocprim17ROCPRIM_400000_NS6detail17trampoline_kernelINS0_14default_configENS1_35radix_sort_onesweep_config_selectorIyNS0_10empty_typeEEEZZNS1_29radix_sort_onesweep_iterationIS3_Lb0EN6thrust23THRUST_200600_302600_NS6detail15normal_iteratorINS9_10device_ptrIyEEEESE_PS5_SF_jNS0_19identity_decomposerENS1_16block_id_wrapperIjLb1EEEEE10hipError_tT1_PNSt15iterator_traitsISK_E10value_typeET2_T3_PNSL_ISQ_E10value_typeET4_T5_PSV_SW_PNS1_23onesweep_lookback_stateEbbT6_jjT7_P12ihipStream_tbENKUlT_T0_SK_SP_E_clISE_SE_SF_SF_EEDaS13_S14_SK_SP_EUlS13_E_NS1_11comp_targetILNS1_3genE9ELNS1_11target_archE1100ELNS1_3gpuE3ELNS1_3repE0EEENS1_47radix_sort_onesweep_sort_config_static_selectorELNS0_4arch9wavefront6targetE1EEEvSK_, .Lfunc_end871-_ZN7rocprim17ROCPRIM_400000_NS6detail17trampoline_kernelINS0_14default_configENS1_35radix_sort_onesweep_config_selectorIyNS0_10empty_typeEEEZZNS1_29radix_sort_onesweep_iterationIS3_Lb0EN6thrust23THRUST_200600_302600_NS6detail15normal_iteratorINS9_10device_ptrIyEEEESE_PS5_SF_jNS0_19identity_decomposerENS1_16block_id_wrapperIjLb1EEEEE10hipError_tT1_PNSt15iterator_traitsISK_E10value_typeET2_T3_PNSL_ISQ_E10value_typeET4_T5_PSV_SW_PNS1_23onesweep_lookback_stateEbbT6_jjT7_P12ihipStream_tbENKUlT_T0_SK_SP_E_clISE_SE_SF_SF_EEDaS13_S14_SK_SP_EUlS13_E_NS1_11comp_targetILNS1_3genE9ELNS1_11target_archE1100ELNS1_3gpuE3ELNS1_3repE0EEENS1_47radix_sort_onesweep_sort_config_static_selectorELNS0_4arch9wavefront6targetE1EEEvSK_
                                        ; -- End function
	.section	.AMDGPU.csdata,"",@progbits
; Kernel info:
; codeLenInByte = 0
; NumSgprs: 6
; NumVgprs: 0
; NumAgprs: 0
; TotalNumVgprs: 0
; ScratchSize: 0
; MemoryBound: 0
; FloatMode: 240
; IeeeMode: 1
; LDSByteSize: 0 bytes/workgroup (compile time only)
; SGPRBlocks: 0
; VGPRBlocks: 0
; NumSGPRsForWavesPerEU: 6
; NumVGPRsForWavesPerEU: 1
; AccumOffset: 4
; Occupancy: 8
; WaveLimiterHint : 0
; COMPUTE_PGM_RSRC2:SCRATCH_EN: 0
; COMPUTE_PGM_RSRC2:USER_SGPR: 2
; COMPUTE_PGM_RSRC2:TRAP_HANDLER: 0
; COMPUTE_PGM_RSRC2:TGID_X_EN: 1
; COMPUTE_PGM_RSRC2:TGID_Y_EN: 0
; COMPUTE_PGM_RSRC2:TGID_Z_EN: 0
; COMPUTE_PGM_RSRC2:TIDIG_COMP_CNT: 0
; COMPUTE_PGM_RSRC3_GFX90A:ACCUM_OFFSET: 0
; COMPUTE_PGM_RSRC3_GFX90A:TG_SPLIT: 0
	.section	.text._ZN7rocprim17ROCPRIM_400000_NS6detail17trampoline_kernelINS0_14default_configENS1_35radix_sort_onesweep_config_selectorIyNS0_10empty_typeEEEZZNS1_29radix_sort_onesweep_iterationIS3_Lb0EN6thrust23THRUST_200600_302600_NS6detail15normal_iteratorINS9_10device_ptrIyEEEESE_PS5_SF_jNS0_19identity_decomposerENS1_16block_id_wrapperIjLb1EEEEE10hipError_tT1_PNSt15iterator_traitsISK_E10value_typeET2_T3_PNSL_ISQ_E10value_typeET4_T5_PSV_SW_PNS1_23onesweep_lookback_stateEbbT6_jjT7_P12ihipStream_tbENKUlT_T0_SK_SP_E_clISE_SE_SF_SF_EEDaS13_S14_SK_SP_EUlS13_E_NS1_11comp_targetILNS1_3genE8ELNS1_11target_archE1030ELNS1_3gpuE2ELNS1_3repE0EEENS1_47radix_sort_onesweep_sort_config_static_selectorELNS0_4arch9wavefront6targetE1EEEvSK_,"axG",@progbits,_ZN7rocprim17ROCPRIM_400000_NS6detail17trampoline_kernelINS0_14default_configENS1_35radix_sort_onesweep_config_selectorIyNS0_10empty_typeEEEZZNS1_29radix_sort_onesweep_iterationIS3_Lb0EN6thrust23THRUST_200600_302600_NS6detail15normal_iteratorINS9_10device_ptrIyEEEESE_PS5_SF_jNS0_19identity_decomposerENS1_16block_id_wrapperIjLb1EEEEE10hipError_tT1_PNSt15iterator_traitsISK_E10value_typeET2_T3_PNSL_ISQ_E10value_typeET4_T5_PSV_SW_PNS1_23onesweep_lookback_stateEbbT6_jjT7_P12ihipStream_tbENKUlT_T0_SK_SP_E_clISE_SE_SF_SF_EEDaS13_S14_SK_SP_EUlS13_E_NS1_11comp_targetILNS1_3genE8ELNS1_11target_archE1030ELNS1_3gpuE2ELNS1_3repE0EEENS1_47radix_sort_onesweep_sort_config_static_selectorELNS0_4arch9wavefront6targetE1EEEvSK_,comdat
	.protected	_ZN7rocprim17ROCPRIM_400000_NS6detail17trampoline_kernelINS0_14default_configENS1_35radix_sort_onesweep_config_selectorIyNS0_10empty_typeEEEZZNS1_29radix_sort_onesweep_iterationIS3_Lb0EN6thrust23THRUST_200600_302600_NS6detail15normal_iteratorINS9_10device_ptrIyEEEESE_PS5_SF_jNS0_19identity_decomposerENS1_16block_id_wrapperIjLb1EEEEE10hipError_tT1_PNSt15iterator_traitsISK_E10value_typeET2_T3_PNSL_ISQ_E10value_typeET4_T5_PSV_SW_PNS1_23onesweep_lookback_stateEbbT6_jjT7_P12ihipStream_tbENKUlT_T0_SK_SP_E_clISE_SE_SF_SF_EEDaS13_S14_SK_SP_EUlS13_E_NS1_11comp_targetILNS1_3genE8ELNS1_11target_archE1030ELNS1_3gpuE2ELNS1_3repE0EEENS1_47radix_sort_onesweep_sort_config_static_selectorELNS0_4arch9wavefront6targetE1EEEvSK_ ; -- Begin function _ZN7rocprim17ROCPRIM_400000_NS6detail17trampoline_kernelINS0_14default_configENS1_35radix_sort_onesweep_config_selectorIyNS0_10empty_typeEEEZZNS1_29radix_sort_onesweep_iterationIS3_Lb0EN6thrust23THRUST_200600_302600_NS6detail15normal_iteratorINS9_10device_ptrIyEEEESE_PS5_SF_jNS0_19identity_decomposerENS1_16block_id_wrapperIjLb1EEEEE10hipError_tT1_PNSt15iterator_traitsISK_E10value_typeET2_T3_PNSL_ISQ_E10value_typeET4_T5_PSV_SW_PNS1_23onesweep_lookback_stateEbbT6_jjT7_P12ihipStream_tbENKUlT_T0_SK_SP_E_clISE_SE_SF_SF_EEDaS13_S14_SK_SP_EUlS13_E_NS1_11comp_targetILNS1_3genE8ELNS1_11target_archE1030ELNS1_3gpuE2ELNS1_3repE0EEENS1_47radix_sort_onesweep_sort_config_static_selectorELNS0_4arch9wavefront6targetE1EEEvSK_
	.globl	_ZN7rocprim17ROCPRIM_400000_NS6detail17trampoline_kernelINS0_14default_configENS1_35radix_sort_onesweep_config_selectorIyNS0_10empty_typeEEEZZNS1_29radix_sort_onesweep_iterationIS3_Lb0EN6thrust23THRUST_200600_302600_NS6detail15normal_iteratorINS9_10device_ptrIyEEEESE_PS5_SF_jNS0_19identity_decomposerENS1_16block_id_wrapperIjLb1EEEEE10hipError_tT1_PNSt15iterator_traitsISK_E10value_typeET2_T3_PNSL_ISQ_E10value_typeET4_T5_PSV_SW_PNS1_23onesweep_lookback_stateEbbT6_jjT7_P12ihipStream_tbENKUlT_T0_SK_SP_E_clISE_SE_SF_SF_EEDaS13_S14_SK_SP_EUlS13_E_NS1_11comp_targetILNS1_3genE8ELNS1_11target_archE1030ELNS1_3gpuE2ELNS1_3repE0EEENS1_47radix_sort_onesweep_sort_config_static_selectorELNS0_4arch9wavefront6targetE1EEEvSK_
	.p2align	8
	.type	_ZN7rocprim17ROCPRIM_400000_NS6detail17trampoline_kernelINS0_14default_configENS1_35radix_sort_onesweep_config_selectorIyNS0_10empty_typeEEEZZNS1_29radix_sort_onesweep_iterationIS3_Lb0EN6thrust23THRUST_200600_302600_NS6detail15normal_iteratorINS9_10device_ptrIyEEEESE_PS5_SF_jNS0_19identity_decomposerENS1_16block_id_wrapperIjLb1EEEEE10hipError_tT1_PNSt15iterator_traitsISK_E10value_typeET2_T3_PNSL_ISQ_E10value_typeET4_T5_PSV_SW_PNS1_23onesweep_lookback_stateEbbT6_jjT7_P12ihipStream_tbENKUlT_T0_SK_SP_E_clISE_SE_SF_SF_EEDaS13_S14_SK_SP_EUlS13_E_NS1_11comp_targetILNS1_3genE8ELNS1_11target_archE1030ELNS1_3gpuE2ELNS1_3repE0EEENS1_47radix_sort_onesweep_sort_config_static_selectorELNS0_4arch9wavefront6targetE1EEEvSK_,@function
_ZN7rocprim17ROCPRIM_400000_NS6detail17trampoline_kernelINS0_14default_configENS1_35radix_sort_onesweep_config_selectorIyNS0_10empty_typeEEEZZNS1_29radix_sort_onesweep_iterationIS3_Lb0EN6thrust23THRUST_200600_302600_NS6detail15normal_iteratorINS9_10device_ptrIyEEEESE_PS5_SF_jNS0_19identity_decomposerENS1_16block_id_wrapperIjLb1EEEEE10hipError_tT1_PNSt15iterator_traitsISK_E10value_typeET2_T3_PNSL_ISQ_E10value_typeET4_T5_PSV_SW_PNS1_23onesweep_lookback_stateEbbT6_jjT7_P12ihipStream_tbENKUlT_T0_SK_SP_E_clISE_SE_SF_SF_EEDaS13_S14_SK_SP_EUlS13_E_NS1_11comp_targetILNS1_3genE8ELNS1_11target_archE1030ELNS1_3gpuE2ELNS1_3repE0EEENS1_47radix_sort_onesweep_sort_config_static_selectorELNS0_4arch9wavefront6targetE1EEEvSK_: ; @_ZN7rocprim17ROCPRIM_400000_NS6detail17trampoline_kernelINS0_14default_configENS1_35radix_sort_onesweep_config_selectorIyNS0_10empty_typeEEEZZNS1_29radix_sort_onesweep_iterationIS3_Lb0EN6thrust23THRUST_200600_302600_NS6detail15normal_iteratorINS9_10device_ptrIyEEEESE_PS5_SF_jNS0_19identity_decomposerENS1_16block_id_wrapperIjLb1EEEEE10hipError_tT1_PNSt15iterator_traitsISK_E10value_typeET2_T3_PNSL_ISQ_E10value_typeET4_T5_PSV_SW_PNS1_23onesweep_lookback_stateEbbT6_jjT7_P12ihipStream_tbENKUlT_T0_SK_SP_E_clISE_SE_SF_SF_EEDaS13_S14_SK_SP_EUlS13_E_NS1_11comp_targetILNS1_3genE8ELNS1_11target_archE1030ELNS1_3gpuE2ELNS1_3repE0EEENS1_47radix_sort_onesweep_sort_config_static_selectorELNS0_4arch9wavefront6targetE1EEEvSK_
; %bb.0:
	.section	.rodata,"a",@progbits
	.p2align	6, 0x0
	.amdhsa_kernel _ZN7rocprim17ROCPRIM_400000_NS6detail17trampoline_kernelINS0_14default_configENS1_35radix_sort_onesweep_config_selectorIyNS0_10empty_typeEEEZZNS1_29radix_sort_onesweep_iterationIS3_Lb0EN6thrust23THRUST_200600_302600_NS6detail15normal_iteratorINS9_10device_ptrIyEEEESE_PS5_SF_jNS0_19identity_decomposerENS1_16block_id_wrapperIjLb1EEEEE10hipError_tT1_PNSt15iterator_traitsISK_E10value_typeET2_T3_PNSL_ISQ_E10value_typeET4_T5_PSV_SW_PNS1_23onesweep_lookback_stateEbbT6_jjT7_P12ihipStream_tbENKUlT_T0_SK_SP_E_clISE_SE_SF_SF_EEDaS13_S14_SK_SP_EUlS13_E_NS1_11comp_targetILNS1_3genE8ELNS1_11target_archE1030ELNS1_3gpuE2ELNS1_3repE0EEENS1_47radix_sort_onesweep_sort_config_static_selectorELNS0_4arch9wavefront6targetE1EEEvSK_
		.amdhsa_group_segment_fixed_size 0
		.amdhsa_private_segment_fixed_size 0
		.amdhsa_kernarg_size 88
		.amdhsa_user_sgpr_count 2
		.amdhsa_user_sgpr_dispatch_ptr 0
		.amdhsa_user_sgpr_queue_ptr 0
		.amdhsa_user_sgpr_kernarg_segment_ptr 1
		.amdhsa_user_sgpr_dispatch_id 0
		.amdhsa_user_sgpr_kernarg_preload_length 0
		.amdhsa_user_sgpr_kernarg_preload_offset 0
		.amdhsa_user_sgpr_private_segment_size 0
		.amdhsa_uses_dynamic_stack 0
		.amdhsa_enable_private_segment 0
		.amdhsa_system_sgpr_workgroup_id_x 1
		.amdhsa_system_sgpr_workgroup_id_y 0
		.amdhsa_system_sgpr_workgroup_id_z 0
		.amdhsa_system_sgpr_workgroup_info 0
		.amdhsa_system_vgpr_workitem_id 0
		.amdhsa_next_free_vgpr 1
		.amdhsa_next_free_sgpr 0
		.amdhsa_accum_offset 4
		.amdhsa_reserve_vcc 0
		.amdhsa_float_round_mode_32 0
		.amdhsa_float_round_mode_16_64 0
		.amdhsa_float_denorm_mode_32 3
		.amdhsa_float_denorm_mode_16_64 3
		.amdhsa_dx10_clamp 1
		.amdhsa_ieee_mode 1
		.amdhsa_fp16_overflow 0
		.amdhsa_tg_split 0
		.amdhsa_exception_fp_ieee_invalid_op 0
		.amdhsa_exception_fp_denorm_src 0
		.amdhsa_exception_fp_ieee_div_zero 0
		.amdhsa_exception_fp_ieee_overflow 0
		.amdhsa_exception_fp_ieee_underflow 0
		.amdhsa_exception_fp_ieee_inexact 0
		.amdhsa_exception_int_div_zero 0
	.end_amdhsa_kernel
	.section	.text._ZN7rocprim17ROCPRIM_400000_NS6detail17trampoline_kernelINS0_14default_configENS1_35radix_sort_onesweep_config_selectorIyNS0_10empty_typeEEEZZNS1_29radix_sort_onesweep_iterationIS3_Lb0EN6thrust23THRUST_200600_302600_NS6detail15normal_iteratorINS9_10device_ptrIyEEEESE_PS5_SF_jNS0_19identity_decomposerENS1_16block_id_wrapperIjLb1EEEEE10hipError_tT1_PNSt15iterator_traitsISK_E10value_typeET2_T3_PNSL_ISQ_E10value_typeET4_T5_PSV_SW_PNS1_23onesweep_lookback_stateEbbT6_jjT7_P12ihipStream_tbENKUlT_T0_SK_SP_E_clISE_SE_SF_SF_EEDaS13_S14_SK_SP_EUlS13_E_NS1_11comp_targetILNS1_3genE8ELNS1_11target_archE1030ELNS1_3gpuE2ELNS1_3repE0EEENS1_47radix_sort_onesweep_sort_config_static_selectorELNS0_4arch9wavefront6targetE1EEEvSK_,"axG",@progbits,_ZN7rocprim17ROCPRIM_400000_NS6detail17trampoline_kernelINS0_14default_configENS1_35radix_sort_onesweep_config_selectorIyNS0_10empty_typeEEEZZNS1_29radix_sort_onesweep_iterationIS3_Lb0EN6thrust23THRUST_200600_302600_NS6detail15normal_iteratorINS9_10device_ptrIyEEEESE_PS5_SF_jNS0_19identity_decomposerENS1_16block_id_wrapperIjLb1EEEEE10hipError_tT1_PNSt15iterator_traitsISK_E10value_typeET2_T3_PNSL_ISQ_E10value_typeET4_T5_PSV_SW_PNS1_23onesweep_lookback_stateEbbT6_jjT7_P12ihipStream_tbENKUlT_T0_SK_SP_E_clISE_SE_SF_SF_EEDaS13_S14_SK_SP_EUlS13_E_NS1_11comp_targetILNS1_3genE8ELNS1_11target_archE1030ELNS1_3gpuE2ELNS1_3repE0EEENS1_47radix_sort_onesweep_sort_config_static_selectorELNS0_4arch9wavefront6targetE1EEEvSK_,comdat
.Lfunc_end872:
	.size	_ZN7rocprim17ROCPRIM_400000_NS6detail17trampoline_kernelINS0_14default_configENS1_35radix_sort_onesweep_config_selectorIyNS0_10empty_typeEEEZZNS1_29radix_sort_onesweep_iterationIS3_Lb0EN6thrust23THRUST_200600_302600_NS6detail15normal_iteratorINS9_10device_ptrIyEEEESE_PS5_SF_jNS0_19identity_decomposerENS1_16block_id_wrapperIjLb1EEEEE10hipError_tT1_PNSt15iterator_traitsISK_E10value_typeET2_T3_PNSL_ISQ_E10value_typeET4_T5_PSV_SW_PNS1_23onesweep_lookback_stateEbbT6_jjT7_P12ihipStream_tbENKUlT_T0_SK_SP_E_clISE_SE_SF_SF_EEDaS13_S14_SK_SP_EUlS13_E_NS1_11comp_targetILNS1_3genE8ELNS1_11target_archE1030ELNS1_3gpuE2ELNS1_3repE0EEENS1_47radix_sort_onesweep_sort_config_static_selectorELNS0_4arch9wavefront6targetE1EEEvSK_, .Lfunc_end872-_ZN7rocprim17ROCPRIM_400000_NS6detail17trampoline_kernelINS0_14default_configENS1_35radix_sort_onesweep_config_selectorIyNS0_10empty_typeEEEZZNS1_29radix_sort_onesweep_iterationIS3_Lb0EN6thrust23THRUST_200600_302600_NS6detail15normal_iteratorINS9_10device_ptrIyEEEESE_PS5_SF_jNS0_19identity_decomposerENS1_16block_id_wrapperIjLb1EEEEE10hipError_tT1_PNSt15iterator_traitsISK_E10value_typeET2_T3_PNSL_ISQ_E10value_typeET4_T5_PSV_SW_PNS1_23onesweep_lookback_stateEbbT6_jjT7_P12ihipStream_tbENKUlT_T0_SK_SP_E_clISE_SE_SF_SF_EEDaS13_S14_SK_SP_EUlS13_E_NS1_11comp_targetILNS1_3genE8ELNS1_11target_archE1030ELNS1_3gpuE2ELNS1_3repE0EEENS1_47radix_sort_onesweep_sort_config_static_selectorELNS0_4arch9wavefront6targetE1EEEvSK_
                                        ; -- End function
	.section	.AMDGPU.csdata,"",@progbits
; Kernel info:
; codeLenInByte = 0
; NumSgprs: 6
; NumVgprs: 0
; NumAgprs: 0
; TotalNumVgprs: 0
; ScratchSize: 0
; MemoryBound: 0
; FloatMode: 240
; IeeeMode: 1
; LDSByteSize: 0 bytes/workgroup (compile time only)
; SGPRBlocks: 0
; VGPRBlocks: 0
; NumSGPRsForWavesPerEU: 6
; NumVGPRsForWavesPerEU: 1
; AccumOffset: 4
; Occupancy: 8
; WaveLimiterHint : 0
; COMPUTE_PGM_RSRC2:SCRATCH_EN: 0
; COMPUTE_PGM_RSRC2:USER_SGPR: 2
; COMPUTE_PGM_RSRC2:TRAP_HANDLER: 0
; COMPUTE_PGM_RSRC2:TGID_X_EN: 1
; COMPUTE_PGM_RSRC2:TGID_Y_EN: 0
; COMPUTE_PGM_RSRC2:TGID_Z_EN: 0
; COMPUTE_PGM_RSRC2:TIDIG_COMP_CNT: 0
; COMPUTE_PGM_RSRC3_GFX90A:ACCUM_OFFSET: 0
; COMPUTE_PGM_RSRC3_GFX90A:TG_SPLIT: 0
	.section	.text._ZN7rocprim17ROCPRIM_400000_NS6detail17trampoline_kernelINS0_14default_configENS1_35radix_sort_onesweep_config_selectorIyNS0_10empty_typeEEEZZNS1_29radix_sort_onesweep_iterationIS3_Lb0EN6thrust23THRUST_200600_302600_NS6detail15normal_iteratorINS9_10device_ptrIyEEEESE_PS5_SF_jNS0_19identity_decomposerENS1_16block_id_wrapperIjLb1EEEEE10hipError_tT1_PNSt15iterator_traitsISK_E10value_typeET2_T3_PNSL_ISQ_E10value_typeET4_T5_PSV_SW_PNS1_23onesweep_lookback_stateEbbT6_jjT7_P12ihipStream_tbENKUlT_T0_SK_SP_E_clISE_PySF_SF_EEDaS13_S14_SK_SP_EUlS13_E_NS1_11comp_targetILNS1_3genE0ELNS1_11target_archE4294967295ELNS1_3gpuE0ELNS1_3repE0EEENS1_47radix_sort_onesweep_sort_config_static_selectorELNS0_4arch9wavefront6targetE1EEEvSK_,"axG",@progbits,_ZN7rocprim17ROCPRIM_400000_NS6detail17trampoline_kernelINS0_14default_configENS1_35radix_sort_onesweep_config_selectorIyNS0_10empty_typeEEEZZNS1_29radix_sort_onesweep_iterationIS3_Lb0EN6thrust23THRUST_200600_302600_NS6detail15normal_iteratorINS9_10device_ptrIyEEEESE_PS5_SF_jNS0_19identity_decomposerENS1_16block_id_wrapperIjLb1EEEEE10hipError_tT1_PNSt15iterator_traitsISK_E10value_typeET2_T3_PNSL_ISQ_E10value_typeET4_T5_PSV_SW_PNS1_23onesweep_lookback_stateEbbT6_jjT7_P12ihipStream_tbENKUlT_T0_SK_SP_E_clISE_PySF_SF_EEDaS13_S14_SK_SP_EUlS13_E_NS1_11comp_targetILNS1_3genE0ELNS1_11target_archE4294967295ELNS1_3gpuE0ELNS1_3repE0EEENS1_47radix_sort_onesweep_sort_config_static_selectorELNS0_4arch9wavefront6targetE1EEEvSK_,comdat
	.protected	_ZN7rocprim17ROCPRIM_400000_NS6detail17trampoline_kernelINS0_14default_configENS1_35radix_sort_onesweep_config_selectorIyNS0_10empty_typeEEEZZNS1_29radix_sort_onesweep_iterationIS3_Lb0EN6thrust23THRUST_200600_302600_NS6detail15normal_iteratorINS9_10device_ptrIyEEEESE_PS5_SF_jNS0_19identity_decomposerENS1_16block_id_wrapperIjLb1EEEEE10hipError_tT1_PNSt15iterator_traitsISK_E10value_typeET2_T3_PNSL_ISQ_E10value_typeET4_T5_PSV_SW_PNS1_23onesweep_lookback_stateEbbT6_jjT7_P12ihipStream_tbENKUlT_T0_SK_SP_E_clISE_PySF_SF_EEDaS13_S14_SK_SP_EUlS13_E_NS1_11comp_targetILNS1_3genE0ELNS1_11target_archE4294967295ELNS1_3gpuE0ELNS1_3repE0EEENS1_47radix_sort_onesweep_sort_config_static_selectorELNS0_4arch9wavefront6targetE1EEEvSK_ ; -- Begin function _ZN7rocprim17ROCPRIM_400000_NS6detail17trampoline_kernelINS0_14default_configENS1_35radix_sort_onesweep_config_selectorIyNS0_10empty_typeEEEZZNS1_29radix_sort_onesweep_iterationIS3_Lb0EN6thrust23THRUST_200600_302600_NS6detail15normal_iteratorINS9_10device_ptrIyEEEESE_PS5_SF_jNS0_19identity_decomposerENS1_16block_id_wrapperIjLb1EEEEE10hipError_tT1_PNSt15iterator_traitsISK_E10value_typeET2_T3_PNSL_ISQ_E10value_typeET4_T5_PSV_SW_PNS1_23onesweep_lookback_stateEbbT6_jjT7_P12ihipStream_tbENKUlT_T0_SK_SP_E_clISE_PySF_SF_EEDaS13_S14_SK_SP_EUlS13_E_NS1_11comp_targetILNS1_3genE0ELNS1_11target_archE4294967295ELNS1_3gpuE0ELNS1_3repE0EEENS1_47radix_sort_onesweep_sort_config_static_selectorELNS0_4arch9wavefront6targetE1EEEvSK_
	.globl	_ZN7rocprim17ROCPRIM_400000_NS6detail17trampoline_kernelINS0_14default_configENS1_35radix_sort_onesweep_config_selectorIyNS0_10empty_typeEEEZZNS1_29radix_sort_onesweep_iterationIS3_Lb0EN6thrust23THRUST_200600_302600_NS6detail15normal_iteratorINS9_10device_ptrIyEEEESE_PS5_SF_jNS0_19identity_decomposerENS1_16block_id_wrapperIjLb1EEEEE10hipError_tT1_PNSt15iterator_traitsISK_E10value_typeET2_T3_PNSL_ISQ_E10value_typeET4_T5_PSV_SW_PNS1_23onesweep_lookback_stateEbbT6_jjT7_P12ihipStream_tbENKUlT_T0_SK_SP_E_clISE_PySF_SF_EEDaS13_S14_SK_SP_EUlS13_E_NS1_11comp_targetILNS1_3genE0ELNS1_11target_archE4294967295ELNS1_3gpuE0ELNS1_3repE0EEENS1_47radix_sort_onesweep_sort_config_static_selectorELNS0_4arch9wavefront6targetE1EEEvSK_
	.p2align	8
	.type	_ZN7rocprim17ROCPRIM_400000_NS6detail17trampoline_kernelINS0_14default_configENS1_35radix_sort_onesweep_config_selectorIyNS0_10empty_typeEEEZZNS1_29radix_sort_onesweep_iterationIS3_Lb0EN6thrust23THRUST_200600_302600_NS6detail15normal_iteratorINS9_10device_ptrIyEEEESE_PS5_SF_jNS0_19identity_decomposerENS1_16block_id_wrapperIjLb1EEEEE10hipError_tT1_PNSt15iterator_traitsISK_E10value_typeET2_T3_PNSL_ISQ_E10value_typeET4_T5_PSV_SW_PNS1_23onesweep_lookback_stateEbbT6_jjT7_P12ihipStream_tbENKUlT_T0_SK_SP_E_clISE_PySF_SF_EEDaS13_S14_SK_SP_EUlS13_E_NS1_11comp_targetILNS1_3genE0ELNS1_11target_archE4294967295ELNS1_3gpuE0ELNS1_3repE0EEENS1_47radix_sort_onesweep_sort_config_static_selectorELNS0_4arch9wavefront6targetE1EEEvSK_,@function
_ZN7rocprim17ROCPRIM_400000_NS6detail17trampoline_kernelINS0_14default_configENS1_35radix_sort_onesweep_config_selectorIyNS0_10empty_typeEEEZZNS1_29radix_sort_onesweep_iterationIS3_Lb0EN6thrust23THRUST_200600_302600_NS6detail15normal_iteratorINS9_10device_ptrIyEEEESE_PS5_SF_jNS0_19identity_decomposerENS1_16block_id_wrapperIjLb1EEEEE10hipError_tT1_PNSt15iterator_traitsISK_E10value_typeET2_T3_PNSL_ISQ_E10value_typeET4_T5_PSV_SW_PNS1_23onesweep_lookback_stateEbbT6_jjT7_P12ihipStream_tbENKUlT_T0_SK_SP_E_clISE_PySF_SF_EEDaS13_S14_SK_SP_EUlS13_E_NS1_11comp_targetILNS1_3genE0ELNS1_11target_archE4294967295ELNS1_3gpuE0ELNS1_3repE0EEENS1_47radix_sort_onesweep_sort_config_static_selectorELNS0_4arch9wavefront6targetE1EEEvSK_: ; @_ZN7rocprim17ROCPRIM_400000_NS6detail17trampoline_kernelINS0_14default_configENS1_35radix_sort_onesweep_config_selectorIyNS0_10empty_typeEEEZZNS1_29radix_sort_onesweep_iterationIS3_Lb0EN6thrust23THRUST_200600_302600_NS6detail15normal_iteratorINS9_10device_ptrIyEEEESE_PS5_SF_jNS0_19identity_decomposerENS1_16block_id_wrapperIjLb1EEEEE10hipError_tT1_PNSt15iterator_traitsISK_E10value_typeET2_T3_PNSL_ISQ_E10value_typeET4_T5_PSV_SW_PNS1_23onesweep_lookback_stateEbbT6_jjT7_P12ihipStream_tbENKUlT_T0_SK_SP_E_clISE_PySF_SF_EEDaS13_S14_SK_SP_EUlS13_E_NS1_11comp_targetILNS1_3genE0ELNS1_11target_archE4294967295ELNS1_3gpuE0ELNS1_3repE0EEENS1_47radix_sort_onesweep_sort_config_static_selectorELNS0_4arch9wavefront6targetE1EEEvSK_
; %bb.0:
	.section	.rodata,"a",@progbits
	.p2align	6, 0x0
	.amdhsa_kernel _ZN7rocprim17ROCPRIM_400000_NS6detail17trampoline_kernelINS0_14default_configENS1_35radix_sort_onesweep_config_selectorIyNS0_10empty_typeEEEZZNS1_29radix_sort_onesweep_iterationIS3_Lb0EN6thrust23THRUST_200600_302600_NS6detail15normal_iteratorINS9_10device_ptrIyEEEESE_PS5_SF_jNS0_19identity_decomposerENS1_16block_id_wrapperIjLb1EEEEE10hipError_tT1_PNSt15iterator_traitsISK_E10value_typeET2_T3_PNSL_ISQ_E10value_typeET4_T5_PSV_SW_PNS1_23onesweep_lookback_stateEbbT6_jjT7_P12ihipStream_tbENKUlT_T0_SK_SP_E_clISE_PySF_SF_EEDaS13_S14_SK_SP_EUlS13_E_NS1_11comp_targetILNS1_3genE0ELNS1_11target_archE4294967295ELNS1_3gpuE0ELNS1_3repE0EEENS1_47radix_sort_onesweep_sort_config_static_selectorELNS0_4arch9wavefront6targetE1EEEvSK_
		.amdhsa_group_segment_fixed_size 0
		.amdhsa_private_segment_fixed_size 0
		.amdhsa_kernarg_size 88
		.amdhsa_user_sgpr_count 2
		.amdhsa_user_sgpr_dispatch_ptr 0
		.amdhsa_user_sgpr_queue_ptr 0
		.amdhsa_user_sgpr_kernarg_segment_ptr 1
		.amdhsa_user_sgpr_dispatch_id 0
		.amdhsa_user_sgpr_kernarg_preload_length 0
		.amdhsa_user_sgpr_kernarg_preload_offset 0
		.amdhsa_user_sgpr_private_segment_size 0
		.amdhsa_uses_dynamic_stack 0
		.amdhsa_enable_private_segment 0
		.amdhsa_system_sgpr_workgroup_id_x 1
		.amdhsa_system_sgpr_workgroup_id_y 0
		.amdhsa_system_sgpr_workgroup_id_z 0
		.amdhsa_system_sgpr_workgroup_info 0
		.amdhsa_system_vgpr_workitem_id 0
		.amdhsa_next_free_vgpr 1
		.amdhsa_next_free_sgpr 0
		.amdhsa_accum_offset 4
		.amdhsa_reserve_vcc 0
		.amdhsa_float_round_mode_32 0
		.amdhsa_float_round_mode_16_64 0
		.amdhsa_float_denorm_mode_32 3
		.amdhsa_float_denorm_mode_16_64 3
		.amdhsa_dx10_clamp 1
		.amdhsa_ieee_mode 1
		.amdhsa_fp16_overflow 0
		.amdhsa_tg_split 0
		.amdhsa_exception_fp_ieee_invalid_op 0
		.amdhsa_exception_fp_denorm_src 0
		.amdhsa_exception_fp_ieee_div_zero 0
		.amdhsa_exception_fp_ieee_overflow 0
		.amdhsa_exception_fp_ieee_underflow 0
		.amdhsa_exception_fp_ieee_inexact 0
		.amdhsa_exception_int_div_zero 0
	.end_amdhsa_kernel
	.section	.text._ZN7rocprim17ROCPRIM_400000_NS6detail17trampoline_kernelINS0_14default_configENS1_35radix_sort_onesweep_config_selectorIyNS0_10empty_typeEEEZZNS1_29radix_sort_onesweep_iterationIS3_Lb0EN6thrust23THRUST_200600_302600_NS6detail15normal_iteratorINS9_10device_ptrIyEEEESE_PS5_SF_jNS0_19identity_decomposerENS1_16block_id_wrapperIjLb1EEEEE10hipError_tT1_PNSt15iterator_traitsISK_E10value_typeET2_T3_PNSL_ISQ_E10value_typeET4_T5_PSV_SW_PNS1_23onesweep_lookback_stateEbbT6_jjT7_P12ihipStream_tbENKUlT_T0_SK_SP_E_clISE_PySF_SF_EEDaS13_S14_SK_SP_EUlS13_E_NS1_11comp_targetILNS1_3genE0ELNS1_11target_archE4294967295ELNS1_3gpuE0ELNS1_3repE0EEENS1_47radix_sort_onesweep_sort_config_static_selectorELNS0_4arch9wavefront6targetE1EEEvSK_,"axG",@progbits,_ZN7rocprim17ROCPRIM_400000_NS6detail17trampoline_kernelINS0_14default_configENS1_35radix_sort_onesweep_config_selectorIyNS0_10empty_typeEEEZZNS1_29radix_sort_onesweep_iterationIS3_Lb0EN6thrust23THRUST_200600_302600_NS6detail15normal_iteratorINS9_10device_ptrIyEEEESE_PS5_SF_jNS0_19identity_decomposerENS1_16block_id_wrapperIjLb1EEEEE10hipError_tT1_PNSt15iterator_traitsISK_E10value_typeET2_T3_PNSL_ISQ_E10value_typeET4_T5_PSV_SW_PNS1_23onesweep_lookback_stateEbbT6_jjT7_P12ihipStream_tbENKUlT_T0_SK_SP_E_clISE_PySF_SF_EEDaS13_S14_SK_SP_EUlS13_E_NS1_11comp_targetILNS1_3genE0ELNS1_11target_archE4294967295ELNS1_3gpuE0ELNS1_3repE0EEENS1_47radix_sort_onesweep_sort_config_static_selectorELNS0_4arch9wavefront6targetE1EEEvSK_,comdat
.Lfunc_end873:
	.size	_ZN7rocprim17ROCPRIM_400000_NS6detail17trampoline_kernelINS0_14default_configENS1_35radix_sort_onesweep_config_selectorIyNS0_10empty_typeEEEZZNS1_29radix_sort_onesweep_iterationIS3_Lb0EN6thrust23THRUST_200600_302600_NS6detail15normal_iteratorINS9_10device_ptrIyEEEESE_PS5_SF_jNS0_19identity_decomposerENS1_16block_id_wrapperIjLb1EEEEE10hipError_tT1_PNSt15iterator_traitsISK_E10value_typeET2_T3_PNSL_ISQ_E10value_typeET4_T5_PSV_SW_PNS1_23onesweep_lookback_stateEbbT6_jjT7_P12ihipStream_tbENKUlT_T0_SK_SP_E_clISE_PySF_SF_EEDaS13_S14_SK_SP_EUlS13_E_NS1_11comp_targetILNS1_3genE0ELNS1_11target_archE4294967295ELNS1_3gpuE0ELNS1_3repE0EEENS1_47radix_sort_onesweep_sort_config_static_selectorELNS0_4arch9wavefront6targetE1EEEvSK_, .Lfunc_end873-_ZN7rocprim17ROCPRIM_400000_NS6detail17trampoline_kernelINS0_14default_configENS1_35radix_sort_onesweep_config_selectorIyNS0_10empty_typeEEEZZNS1_29radix_sort_onesweep_iterationIS3_Lb0EN6thrust23THRUST_200600_302600_NS6detail15normal_iteratorINS9_10device_ptrIyEEEESE_PS5_SF_jNS0_19identity_decomposerENS1_16block_id_wrapperIjLb1EEEEE10hipError_tT1_PNSt15iterator_traitsISK_E10value_typeET2_T3_PNSL_ISQ_E10value_typeET4_T5_PSV_SW_PNS1_23onesweep_lookback_stateEbbT6_jjT7_P12ihipStream_tbENKUlT_T0_SK_SP_E_clISE_PySF_SF_EEDaS13_S14_SK_SP_EUlS13_E_NS1_11comp_targetILNS1_3genE0ELNS1_11target_archE4294967295ELNS1_3gpuE0ELNS1_3repE0EEENS1_47radix_sort_onesweep_sort_config_static_selectorELNS0_4arch9wavefront6targetE1EEEvSK_
                                        ; -- End function
	.section	.AMDGPU.csdata,"",@progbits
; Kernel info:
; codeLenInByte = 0
; NumSgprs: 6
; NumVgprs: 0
; NumAgprs: 0
; TotalNumVgprs: 0
; ScratchSize: 0
; MemoryBound: 0
; FloatMode: 240
; IeeeMode: 1
; LDSByteSize: 0 bytes/workgroup (compile time only)
; SGPRBlocks: 0
; VGPRBlocks: 0
; NumSGPRsForWavesPerEU: 6
; NumVGPRsForWavesPerEU: 1
; AccumOffset: 4
; Occupancy: 8
; WaveLimiterHint : 0
; COMPUTE_PGM_RSRC2:SCRATCH_EN: 0
; COMPUTE_PGM_RSRC2:USER_SGPR: 2
; COMPUTE_PGM_RSRC2:TRAP_HANDLER: 0
; COMPUTE_PGM_RSRC2:TGID_X_EN: 1
; COMPUTE_PGM_RSRC2:TGID_Y_EN: 0
; COMPUTE_PGM_RSRC2:TGID_Z_EN: 0
; COMPUTE_PGM_RSRC2:TIDIG_COMP_CNT: 0
; COMPUTE_PGM_RSRC3_GFX90A:ACCUM_OFFSET: 0
; COMPUTE_PGM_RSRC3_GFX90A:TG_SPLIT: 0
	.section	.text._ZN7rocprim17ROCPRIM_400000_NS6detail17trampoline_kernelINS0_14default_configENS1_35radix_sort_onesweep_config_selectorIyNS0_10empty_typeEEEZZNS1_29radix_sort_onesweep_iterationIS3_Lb0EN6thrust23THRUST_200600_302600_NS6detail15normal_iteratorINS9_10device_ptrIyEEEESE_PS5_SF_jNS0_19identity_decomposerENS1_16block_id_wrapperIjLb1EEEEE10hipError_tT1_PNSt15iterator_traitsISK_E10value_typeET2_T3_PNSL_ISQ_E10value_typeET4_T5_PSV_SW_PNS1_23onesweep_lookback_stateEbbT6_jjT7_P12ihipStream_tbENKUlT_T0_SK_SP_E_clISE_PySF_SF_EEDaS13_S14_SK_SP_EUlS13_E_NS1_11comp_targetILNS1_3genE6ELNS1_11target_archE950ELNS1_3gpuE13ELNS1_3repE0EEENS1_47radix_sort_onesweep_sort_config_static_selectorELNS0_4arch9wavefront6targetE1EEEvSK_,"axG",@progbits,_ZN7rocprim17ROCPRIM_400000_NS6detail17trampoline_kernelINS0_14default_configENS1_35radix_sort_onesweep_config_selectorIyNS0_10empty_typeEEEZZNS1_29radix_sort_onesweep_iterationIS3_Lb0EN6thrust23THRUST_200600_302600_NS6detail15normal_iteratorINS9_10device_ptrIyEEEESE_PS5_SF_jNS0_19identity_decomposerENS1_16block_id_wrapperIjLb1EEEEE10hipError_tT1_PNSt15iterator_traitsISK_E10value_typeET2_T3_PNSL_ISQ_E10value_typeET4_T5_PSV_SW_PNS1_23onesweep_lookback_stateEbbT6_jjT7_P12ihipStream_tbENKUlT_T0_SK_SP_E_clISE_PySF_SF_EEDaS13_S14_SK_SP_EUlS13_E_NS1_11comp_targetILNS1_3genE6ELNS1_11target_archE950ELNS1_3gpuE13ELNS1_3repE0EEENS1_47radix_sort_onesweep_sort_config_static_selectorELNS0_4arch9wavefront6targetE1EEEvSK_,comdat
	.protected	_ZN7rocprim17ROCPRIM_400000_NS6detail17trampoline_kernelINS0_14default_configENS1_35radix_sort_onesweep_config_selectorIyNS0_10empty_typeEEEZZNS1_29radix_sort_onesweep_iterationIS3_Lb0EN6thrust23THRUST_200600_302600_NS6detail15normal_iteratorINS9_10device_ptrIyEEEESE_PS5_SF_jNS0_19identity_decomposerENS1_16block_id_wrapperIjLb1EEEEE10hipError_tT1_PNSt15iterator_traitsISK_E10value_typeET2_T3_PNSL_ISQ_E10value_typeET4_T5_PSV_SW_PNS1_23onesweep_lookback_stateEbbT6_jjT7_P12ihipStream_tbENKUlT_T0_SK_SP_E_clISE_PySF_SF_EEDaS13_S14_SK_SP_EUlS13_E_NS1_11comp_targetILNS1_3genE6ELNS1_11target_archE950ELNS1_3gpuE13ELNS1_3repE0EEENS1_47radix_sort_onesweep_sort_config_static_selectorELNS0_4arch9wavefront6targetE1EEEvSK_ ; -- Begin function _ZN7rocprim17ROCPRIM_400000_NS6detail17trampoline_kernelINS0_14default_configENS1_35radix_sort_onesweep_config_selectorIyNS0_10empty_typeEEEZZNS1_29radix_sort_onesweep_iterationIS3_Lb0EN6thrust23THRUST_200600_302600_NS6detail15normal_iteratorINS9_10device_ptrIyEEEESE_PS5_SF_jNS0_19identity_decomposerENS1_16block_id_wrapperIjLb1EEEEE10hipError_tT1_PNSt15iterator_traitsISK_E10value_typeET2_T3_PNSL_ISQ_E10value_typeET4_T5_PSV_SW_PNS1_23onesweep_lookback_stateEbbT6_jjT7_P12ihipStream_tbENKUlT_T0_SK_SP_E_clISE_PySF_SF_EEDaS13_S14_SK_SP_EUlS13_E_NS1_11comp_targetILNS1_3genE6ELNS1_11target_archE950ELNS1_3gpuE13ELNS1_3repE0EEENS1_47radix_sort_onesweep_sort_config_static_selectorELNS0_4arch9wavefront6targetE1EEEvSK_
	.globl	_ZN7rocprim17ROCPRIM_400000_NS6detail17trampoline_kernelINS0_14default_configENS1_35radix_sort_onesweep_config_selectorIyNS0_10empty_typeEEEZZNS1_29radix_sort_onesweep_iterationIS3_Lb0EN6thrust23THRUST_200600_302600_NS6detail15normal_iteratorINS9_10device_ptrIyEEEESE_PS5_SF_jNS0_19identity_decomposerENS1_16block_id_wrapperIjLb1EEEEE10hipError_tT1_PNSt15iterator_traitsISK_E10value_typeET2_T3_PNSL_ISQ_E10value_typeET4_T5_PSV_SW_PNS1_23onesweep_lookback_stateEbbT6_jjT7_P12ihipStream_tbENKUlT_T0_SK_SP_E_clISE_PySF_SF_EEDaS13_S14_SK_SP_EUlS13_E_NS1_11comp_targetILNS1_3genE6ELNS1_11target_archE950ELNS1_3gpuE13ELNS1_3repE0EEENS1_47radix_sort_onesweep_sort_config_static_selectorELNS0_4arch9wavefront6targetE1EEEvSK_
	.p2align	8
	.type	_ZN7rocprim17ROCPRIM_400000_NS6detail17trampoline_kernelINS0_14default_configENS1_35radix_sort_onesweep_config_selectorIyNS0_10empty_typeEEEZZNS1_29radix_sort_onesweep_iterationIS3_Lb0EN6thrust23THRUST_200600_302600_NS6detail15normal_iteratorINS9_10device_ptrIyEEEESE_PS5_SF_jNS0_19identity_decomposerENS1_16block_id_wrapperIjLb1EEEEE10hipError_tT1_PNSt15iterator_traitsISK_E10value_typeET2_T3_PNSL_ISQ_E10value_typeET4_T5_PSV_SW_PNS1_23onesweep_lookback_stateEbbT6_jjT7_P12ihipStream_tbENKUlT_T0_SK_SP_E_clISE_PySF_SF_EEDaS13_S14_SK_SP_EUlS13_E_NS1_11comp_targetILNS1_3genE6ELNS1_11target_archE950ELNS1_3gpuE13ELNS1_3repE0EEENS1_47radix_sort_onesweep_sort_config_static_selectorELNS0_4arch9wavefront6targetE1EEEvSK_,@function
_ZN7rocprim17ROCPRIM_400000_NS6detail17trampoline_kernelINS0_14default_configENS1_35radix_sort_onesweep_config_selectorIyNS0_10empty_typeEEEZZNS1_29radix_sort_onesweep_iterationIS3_Lb0EN6thrust23THRUST_200600_302600_NS6detail15normal_iteratorINS9_10device_ptrIyEEEESE_PS5_SF_jNS0_19identity_decomposerENS1_16block_id_wrapperIjLb1EEEEE10hipError_tT1_PNSt15iterator_traitsISK_E10value_typeET2_T3_PNSL_ISQ_E10value_typeET4_T5_PSV_SW_PNS1_23onesweep_lookback_stateEbbT6_jjT7_P12ihipStream_tbENKUlT_T0_SK_SP_E_clISE_PySF_SF_EEDaS13_S14_SK_SP_EUlS13_E_NS1_11comp_targetILNS1_3genE6ELNS1_11target_archE950ELNS1_3gpuE13ELNS1_3repE0EEENS1_47radix_sort_onesweep_sort_config_static_selectorELNS0_4arch9wavefront6targetE1EEEvSK_: ; @_ZN7rocprim17ROCPRIM_400000_NS6detail17trampoline_kernelINS0_14default_configENS1_35radix_sort_onesweep_config_selectorIyNS0_10empty_typeEEEZZNS1_29radix_sort_onesweep_iterationIS3_Lb0EN6thrust23THRUST_200600_302600_NS6detail15normal_iteratorINS9_10device_ptrIyEEEESE_PS5_SF_jNS0_19identity_decomposerENS1_16block_id_wrapperIjLb1EEEEE10hipError_tT1_PNSt15iterator_traitsISK_E10value_typeET2_T3_PNSL_ISQ_E10value_typeET4_T5_PSV_SW_PNS1_23onesweep_lookback_stateEbbT6_jjT7_P12ihipStream_tbENKUlT_T0_SK_SP_E_clISE_PySF_SF_EEDaS13_S14_SK_SP_EUlS13_E_NS1_11comp_targetILNS1_3genE6ELNS1_11target_archE950ELNS1_3gpuE13ELNS1_3repE0EEENS1_47radix_sort_onesweep_sort_config_static_selectorELNS0_4arch9wavefront6targetE1EEEvSK_
; %bb.0:
	.section	.rodata,"a",@progbits
	.p2align	6, 0x0
	.amdhsa_kernel _ZN7rocprim17ROCPRIM_400000_NS6detail17trampoline_kernelINS0_14default_configENS1_35radix_sort_onesweep_config_selectorIyNS0_10empty_typeEEEZZNS1_29radix_sort_onesweep_iterationIS3_Lb0EN6thrust23THRUST_200600_302600_NS6detail15normal_iteratorINS9_10device_ptrIyEEEESE_PS5_SF_jNS0_19identity_decomposerENS1_16block_id_wrapperIjLb1EEEEE10hipError_tT1_PNSt15iterator_traitsISK_E10value_typeET2_T3_PNSL_ISQ_E10value_typeET4_T5_PSV_SW_PNS1_23onesweep_lookback_stateEbbT6_jjT7_P12ihipStream_tbENKUlT_T0_SK_SP_E_clISE_PySF_SF_EEDaS13_S14_SK_SP_EUlS13_E_NS1_11comp_targetILNS1_3genE6ELNS1_11target_archE950ELNS1_3gpuE13ELNS1_3repE0EEENS1_47radix_sort_onesweep_sort_config_static_selectorELNS0_4arch9wavefront6targetE1EEEvSK_
		.amdhsa_group_segment_fixed_size 0
		.amdhsa_private_segment_fixed_size 0
		.amdhsa_kernarg_size 88
		.amdhsa_user_sgpr_count 2
		.amdhsa_user_sgpr_dispatch_ptr 0
		.amdhsa_user_sgpr_queue_ptr 0
		.amdhsa_user_sgpr_kernarg_segment_ptr 1
		.amdhsa_user_sgpr_dispatch_id 0
		.amdhsa_user_sgpr_kernarg_preload_length 0
		.amdhsa_user_sgpr_kernarg_preload_offset 0
		.amdhsa_user_sgpr_private_segment_size 0
		.amdhsa_uses_dynamic_stack 0
		.amdhsa_enable_private_segment 0
		.amdhsa_system_sgpr_workgroup_id_x 1
		.amdhsa_system_sgpr_workgroup_id_y 0
		.amdhsa_system_sgpr_workgroup_id_z 0
		.amdhsa_system_sgpr_workgroup_info 0
		.amdhsa_system_vgpr_workitem_id 0
		.amdhsa_next_free_vgpr 1
		.amdhsa_next_free_sgpr 0
		.amdhsa_accum_offset 4
		.amdhsa_reserve_vcc 0
		.amdhsa_float_round_mode_32 0
		.amdhsa_float_round_mode_16_64 0
		.amdhsa_float_denorm_mode_32 3
		.amdhsa_float_denorm_mode_16_64 3
		.amdhsa_dx10_clamp 1
		.amdhsa_ieee_mode 1
		.amdhsa_fp16_overflow 0
		.amdhsa_tg_split 0
		.amdhsa_exception_fp_ieee_invalid_op 0
		.amdhsa_exception_fp_denorm_src 0
		.amdhsa_exception_fp_ieee_div_zero 0
		.amdhsa_exception_fp_ieee_overflow 0
		.amdhsa_exception_fp_ieee_underflow 0
		.amdhsa_exception_fp_ieee_inexact 0
		.amdhsa_exception_int_div_zero 0
	.end_amdhsa_kernel
	.section	.text._ZN7rocprim17ROCPRIM_400000_NS6detail17trampoline_kernelINS0_14default_configENS1_35radix_sort_onesweep_config_selectorIyNS0_10empty_typeEEEZZNS1_29radix_sort_onesweep_iterationIS3_Lb0EN6thrust23THRUST_200600_302600_NS6detail15normal_iteratorINS9_10device_ptrIyEEEESE_PS5_SF_jNS0_19identity_decomposerENS1_16block_id_wrapperIjLb1EEEEE10hipError_tT1_PNSt15iterator_traitsISK_E10value_typeET2_T3_PNSL_ISQ_E10value_typeET4_T5_PSV_SW_PNS1_23onesweep_lookback_stateEbbT6_jjT7_P12ihipStream_tbENKUlT_T0_SK_SP_E_clISE_PySF_SF_EEDaS13_S14_SK_SP_EUlS13_E_NS1_11comp_targetILNS1_3genE6ELNS1_11target_archE950ELNS1_3gpuE13ELNS1_3repE0EEENS1_47radix_sort_onesweep_sort_config_static_selectorELNS0_4arch9wavefront6targetE1EEEvSK_,"axG",@progbits,_ZN7rocprim17ROCPRIM_400000_NS6detail17trampoline_kernelINS0_14default_configENS1_35radix_sort_onesweep_config_selectorIyNS0_10empty_typeEEEZZNS1_29radix_sort_onesweep_iterationIS3_Lb0EN6thrust23THRUST_200600_302600_NS6detail15normal_iteratorINS9_10device_ptrIyEEEESE_PS5_SF_jNS0_19identity_decomposerENS1_16block_id_wrapperIjLb1EEEEE10hipError_tT1_PNSt15iterator_traitsISK_E10value_typeET2_T3_PNSL_ISQ_E10value_typeET4_T5_PSV_SW_PNS1_23onesweep_lookback_stateEbbT6_jjT7_P12ihipStream_tbENKUlT_T0_SK_SP_E_clISE_PySF_SF_EEDaS13_S14_SK_SP_EUlS13_E_NS1_11comp_targetILNS1_3genE6ELNS1_11target_archE950ELNS1_3gpuE13ELNS1_3repE0EEENS1_47radix_sort_onesweep_sort_config_static_selectorELNS0_4arch9wavefront6targetE1EEEvSK_,comdat
.Lfunc_end874:
	.size	_ZN7rocprim17ROCPRIM_400000_NS6detail17trampoline_kernelINS0_14default_configENS1_35radix_sort_onesweep_config_selectorIyNS0_10empty_typeEEEZZNS1_29radix_sort_onesweep_iterationIS3_Lb0EN6thrust23THRUST_200600_302600_NS6detail15normal_iteratorINS9_10device_ptrIyEEEESE_PS5_SF_jNS0_19identity_decomposerENS1_16block_id_wrapperIjLb1EEEEE10hipError_tT1_PNSt15iterator_traitsISK_E10value_typeET2_T3_PNSL_ISQ_E10value_typeET4_T5_PSV_SW_PNS1_23onesweep_lookback_stateEbbT6_jjT7_P12ihipStream_tbENKUlT_T0_SK_SP_E_clISE_PySF_SF_EEDaS13_S14_SK_SP_EUlS13_E_NS1_11comp_targetILNS1_3genE6ELNS1_11target_archE950ELNS1_3gpuE13ELNS1_3repE0EEENS1_47radix_sort_onesweep_sort_config_static_selectorELNS0_4arch9wavefront6targetE1EEEvSK_, .Lfunc_end874-_ZN7rocprim17ROCPRIM_400000_NS6detail17trampoline_kernelINS0_14default_configENS1_35radix_sort_onesweep_config_selectorIyNS0_10empty_typeEEEZZNS1_29radix_sort_onesweep_iterationIS3_Lb0EN6thrust23THRUST_200600_302600_NS6detail15normal_iteratorINS9_10device_ptrIyEEEESE_PS5_SF_jNS0_19identity_decomposerENS1_16block_id_wrapperIjLb1EEEEE10hipError_tT1_PNSt15iterator_traitsISK_E10value_typeET2_T3_PNSL_ISQ_E10value_typeET4_T5_PSV_SW_PNS1_23onesweep_lookback_stateEbbT6_jjT7_P12ihipStream_tbENKUlT_T0_SK_SP_E_clISE_PySF_SF_EEDaS13_S14_SK_SP_EUlS13_E_NS1_11comp_targetILNS1_3genE6ELNS1_11target_archE950ELNS1_3gpuE13ELNS1_3repE0EEENS1_47radix_sort_onesweep_sort_config_static_selectorELNS0_4arch9wavefront6targetE1EEEvSK_
                                        ; -- End function
	.section	.AMDGPU.csdata,"",@progbits
; Kernel info:
; codeLenInByte = 0
; NumSgprs: 6
; NumVgprs: 0
; NumAgprs: 0
; TotalNumVgprs: 0
; ScratchSize: 0
; MemoryBound: 0
; FloatMode: 240
; IeeeMode: 1
; LDSByteSize: 0 bytes/workgroup (compile time only)
; SGPRBlocks: 0
; VGPRBlocks: 0
; NumSGPRsForWavesPerEU: 6
; NumVGPRsForWavesPerEU: 1
; AccumOffset: 4
; Occupancy: 8
; WaveLimiterHint : 0
; COMPUTE_PGM_RSRC2:SCRATCH_EN: 0
; COMPUTE_PGM_RSRC2:USER_SGPR: 2
; COMPUTE_PGM_RSRC2:TRAP_HANDLER: 0
; COMPUTE_PGM_RSRC2:TGID_X_EN: 1
; COMPUTE_PGM_RSRC2:TGID_Y_EN: 0
; COMPUTE_PGM_RSRC2:TGID_Z_EN: 0
; COMPUTE_PGM_RSRC2:TIDIG_COMP_CNT: 0
; COMPUTE_PGM_RSRC3_GFX90A:ACCUM_OFFSET: 0
; COMPUTE_PGM_RSRC3_GFX90A:TG_SPLIT: 0
	.section	.text._ZN7rocprim17ROCPRIM_400000_NS6detail17trampoline_kernelINS0_14default_configENS1_35radix_sort_onesweep_config_selectorIyNS0_10empty_typeEEEZZNS1_29radix_sort_onesweep_iterationIS3_Lb0EN6thrust23THRUST_200600_302600_NS6detail15normal_iteratorINS9_10device_ptrIyEEEESE_PS5_SF_jNS0_19identity_decomposerENS1_16block_id_wrapperIjLb1EEEEE10hipError_tT1_PNSt15iterator_traitsISK_E10value_typeET2_T3_PNSL_ISQ_E10value_typeET4_T5_PSV_SW_PNS1_23onesweep_lookback_stateEbbT6_jjT7_P12ihipStream_tbENKUlT_T0_SK_SP_E_clISE_PySF_SF_EEDaS13_S14_SK_SP_EUlS13_E_NS1_11comp_targetILNS1_3genE5ELNS1_11target_archE942ELNS1_3gpuE9ELNS1_3repE0EEENS1_47radix_sort_onesweep_sort_config_static_selectorELNS0_4arch9wavefront6targetE1EEEvSK_,"axG",@progbits,_ZN7rocprim17ROCPRIM_400000_NS6detail17trampoline_kernelINS0_14default_configENS1_35radix_sort_onesweep_config_selectorIyNS0_10empty_typeEEEZZNS1_29radix_sort_onesweep_iterationIS3_Lb0EN6thrust23THRUST_200600_302600_NS6detail15normal_iteratorINS9_10device_ptrIyEEEESE_PS5_SF_jNS0_19identity_decomposerENS1_16block_id_wrapperIjLb1EEEEE10hipError_tT1_PNSt15iterator_traitsISK_E10value_typeET2_T3_PNSL_ISQ_E10value_typeET4_T5_PSV_SW_PNS1_23onesweep_lookback_stateEbbT6_jjT7_P12ihipStream_tbENKUlT_T0_SK_SP_E_clISE_PySF_SF_EEDaS13_S14_SK_SP_EUlS13_E_NS1_11comp_targetILNS1_3genE5ELNS1_11target_archE942ELNS1_3gpuE9ELNS1_3repE0EEENS1_47radix_sort_onesweep_sort_config_static_selectorELNS0_4arch9wavefront6targetE1EEEvSK_,comdat
	.protected	_ZN7rocprim17ROCPRIM_400000_NS6detail17trampoline_kernelINS0_14default_configENS1_35radix_sort_onesweep_config_selectorIyNS0_10empty_typeEEEZZNS1_29radix_sort_onesweep_iterationIS3_Lb0EN6thrust23THRUST_200600_302600_NS6detail15normal_iteratorINS9_10device_ptrIyEEEESE_PS5_SF_jNS0_19identity_decomposerENS1_16block_id_wrapperIjLb1EEEEE10hipError_tT1_PNSt15iterator_traitsISK_E10value_typeET2_T3_PNSL_ISQ_E10value_typeET4_T5_PSV_SW_PNS1_23onesweep_lookback_stateEbbT6_jjT7_P12ihipStream_tbENKUlT_T0_SK_SP_E_clISE_PySF_SF_EEDaS13_S14_SK_SP_EUlS13_E_NS1_11comp_targetILNS1_3genE5ELNS1_11target_archE942ELNS1_3gpuE9ELNS1_3repE0EEENS1_47radix_sort_onesweep_sort_config_static_selectorELNS0_4arch9wavefront6targetE1EEEvSK_ ; -- Begin function _ZN7rocprim17ROCPRIM_400000_NS6detail17trampoline_kernelINS0_14default_configENS1_35radix_sort_onesweep_config_selectorIyNS0_10empty_typeEEEZZNS1_29radix_sort_onesweep_iterationIS3_Lb0EN6thrust23THRUST_200600_302600_NS6detail15normal_iteratorINS9_10device_ptrIyEEEESE_PS5_SF_jNS0_19identity_decomposerENS1_16block_id_wrapperIjLb1EEEEE10hipError_tT1_PNSt15iterator_traitsISK_E10value_typeET2_T3_PNSL_ISQ_E10value_typeET4_T5_PSV_SW_PNS1_23onesweep_lookback_stateEbbT6_jjT7_P12ihipStream_tbENKUlT_T0_SK_SP_E_clISE_PySF_SF_EEDaS13_S14_SK_SP_EUlS13_E_NS1_11comp_targetILNS1_3genE5ELNS1_11target_archE942ELNS1_3gpuE9ELNS1_3repE0EEENS1_47radix_sort_onesweep_sort_config_static_selectorELNS0_4arch9wavefront6targetE1EEEvSK_
	.globl	_ZN7rocprim17ROCPRIM_400000_NS6detail17trampoline_kernelINS0_14default_configENS1_35radix_sort_onesweep_config_selectorIyNS0_10empty_typeEEEZZNS1_29radix_sort_onesweep_iterationIS3_Lb0EN6thrust23THRUST_200600_302600_NS6detail15normal_iteratorINS9_10device_ptrIyEEEESE_PS5_SF_jNS0_19identity_decomposerENS1_16block_id_wrapperIjLb1EEEEE10hipError_tT1_PNSt15iterator_traitsISK_E10value_typeET2_T3_PNSL_ISQ_E10value_typeET4_T5_PSV_SW_PNS1_23onesweep_lookback_stateEbbT6_jjT7_P12ihipStream_tbENKUlT_T0_SK_SP_E_clISE_PySF_SF_EEDaS13_S14_SK_SP_EUlS13_E_NS1_11comp_targetILNS1_3genE5ELNS1_11target_archE942ELNS1_3gpuE9ELNS1_3repE0EEENS1_47radix_sort_onesweep_sort_config_static_selectorELNS0_4arch9wavefront6targetE1EEEvSK_
	.p2align	8
	.type	_ZN7rocprim17ROCPRIM_400000_NS6detail17trampoline_kernelINS0_14default_configENS1_35radix_sort_onesweep_config_selectorIyNS0_10empty_typeEEEZZNS1_29radix_sort_onesweep_iterationIS3_Lb0EN6thrust23THRUST_200600_302600_NS6detail15normal_iteratorINS9_10device_ptrIyEEEESE_PS5_SF_jNS0_19identity_decomposerENS1_16block_id_wrapperIjLb1EEEEE10hipError_tT1_PNSt15iterator_traitsISK_E10value_typeET2_T3_PNSL_ISQ_E10value_typeET4_T5_PSV_SW_PNS1_23onesweep_lookback_stateEbbT6_jjT7_P12ihipStream_tbENKUlT_T0_SK_SP_E_clISE_PySF_SF_EEDaS13_S14_SK_SP_EUlS13_E_NS1_11comp_targetILNS1_3genE5ELNS1_11target_archE942ELNS1_3gpuE9ELNS1_3repE0EEENS1_47radix_sort_onesweep_sort_config_static_selectorELNS0_4arch9wavefront6targetE1EEEvSK_,@function
_ZN7rocprim17ROCPRIM_400000_NS6detail17trampoline_kernelINS0_14default_configENS1_35radix_sort_onesweep_config_selectorIyNS0_10empty_typeEEEZZNS1_29radix_sort_onesweep_iterationIS3_Lb0EN6thrust23THRUST_200600_302600_NS6detail15normal_iteratorINS9_10device_ptrIyEEEESE_PS5_SF_jNS0_19identity_decomposerENS1_16block_id_wrapperIjLb1EEEEE10hipError_tT1_PNSt15iterator_traitsISK_E10value_typeET2_T3_PNSL_ISQ_E10value_typeET4_T5_PSV_SW_PNS1_23onesweep_lookback_stateEbbT6_jjT7_P12ihipStream_tbENKUlT_T0_SK_SP_E_clISE_PySF_SF_EEDaS13_S14_SK_SP_EUlS13_E_NS1_11comp_targetILNS1_3genE5ELNS1_11target_archE942ELNS1_3gpuE9ELNS1_3repE0EEENS1_47radix_sort_onesweep_sort_config_static_selectorELNS0_4arch9wavefront6targetE1EEEvSK_: ; @_ZN7rocprim17ROCPRIM_400000_NS6detail17trampoline_kernelINS0_14default_configENS1_35radix_sort_onesweep_config_selectorIyNS0_10empty_typeEEEZZNS1_29radix_sort_onesweep_iterationIS3_Lb0EN6thrust23THRUST_200600_302600_NS6detail15normal_iteratorINS9_10device_ptrIyEEEESE_PS5_SF_jNS0_19identity_decomposerENS1_16block_id_wrapperIjLb1EEEEE10hipError_tT1_PNSt15iterator_traitsISK_E10value_typeET2_T3_PNSL_ISQ_E10value_typeET4_T5_PSV_SW_PNS1_23onesweep_lookback_stateEbbT6_jjT7_P12ihipStream_tbENKUlT_T0_SK_SP_E_clISE_PySF_SF_EEDaS13_S14_SK_SP_EUlS13_E_NS1_11comp_targetILNS1_3genE5ELNS1_11target_archE942ELNS1_3gpuE9ELNS1_3repE0EEENS1_47radix_sort_onesweep_sort_config_static_selectorELNS0_4arch9wavefront6targetE1EEEvSK_
; %bb.0:
	s_load_dwordx4 s[20:23], s[0:1], 0x28
	s_load_dwordx2 s[18:19], s[0:1], 0x38
	s_load_dwordx4 s[24:27], s[0:1], 0x44
	v_and_b32_e32 v2, 0x3ff, v0
	v_cmp_eq_u32_e64 s[4:5], 0, v2
	s_and_saveexec_b64 s[6:7], s[4:5]
	s_cbranch_execz .LBB875_4
; %bb.1:
	s_mov_b64 s[10:11], exec
	v_mbcnt_lo_u32_b32 v1, s10, 0
	v_mbcnt_hi_u32_b32 v1, s11, v1
	v_cmp_eq_u32_e32 vcc, 0, v1
                                        ; implicit-def: $vgpr3
	s_and_saveexec_b64 s[8:9], vcc
	s_cbranch_execz .LBB875_3
; %bb.2:
	s_load_dwordx2 s[12:13], s[0:1], 0x50
	s_bcnt1_i32_b64 s3, s[10:11]
	v_mov_b32_e32 v3, 0
	v_mov_b32_e32 v4, s3
	s_waitcnt lgkmcnt(0)
	global_atomic_add v3, v3, v4, s[12:13] sc0
.LBB875_3:
	s_or_b64 exec, exec, s[8:9]
	s_waitcnt vmcnt(0)
	v_readfirstlane_b32 s3, v3
	v_mov_b32_e32 v3, 0
	s_nop 0
	v_add_u32_e32 v1, s3, v1
	ds_write_b32 v3, v1 offset:10272
.LBB875_4:
	s_or_b64 exec, exec, s[6:7]
	v_mov_b32_e32 v5, 0
	s_load_dwordx4 s[28:31], s[0:1], 0x0
	s_load_dword s3, s[0:1], 0x20
	s_waitcnt lgkmcnt(0)
	s_barrier
	ds_read_b32 v1, v5 offset:10272
	s_waitcnt lgkmcnt(0)
	s_barrier
	v_readfirstlane_b32 s27, v1
	v_cmp_le_u32_e32 vcc, s26, v1
	s_mul_i32 s34, s27, 0x1800
	v_mbcnt_lo_u32_b32 v1, -1, 0
	s_cbranch_vccz .LBB875_103
; %bb.5:
	s_mul_i32 s6, s26, 0xffffe800
	s_mov_b32 s35, 0
	s_add_i32 s3, s6, s3
	s_lshl_b64 s[6:7], s[34:35], 3
	v_mbcnt_hi_u32_b32 v3, -1, v1
	s_add_u32 s6, s28, s6
	v_and_b32_e32 v8, 63, v3
	v_and_b32_e32 v32, 0x3c0, v2
	s_addc_u32 s7, s29, s7
	v_mul_u32_u24_e32 v9, 12, v32
	v_lshlrev_b32_e32 v4, 3, v8
	v_lshl_add_u64 v[6:7], s[6:7], 0, v[4:5]
	v_lshlrev_b32_e32 v4, 3, v9
	v_lshl_add_u64 v[28:29], v[6:7], 0, v[4:5]
	v_or_b32_e32 v30, v8, v9
	v_mov_b64_e32 v[4:5], -1
	v_cmp_gt_u32_e32 vcc, s3, v30
	v_mov_b64_e32 v[6:7], v[4:5]
	s_and_saveexec_b64 s[6:7], vcc
	s_cbranch_execz .LBB875_7
; %bb.6:
	global_load_dwordx2 v[6:7], v[28:29], off
.LBB875_7:
	s_or_b64 exec, exec, s[6:7]
	v_or_b32_e32 v8, 64, v30
	v_cmp_gt_u32_e32 vcc, s3, v8
	s_and_saveexec_b64 s[6:7], vcc
	s_cbranch_execz .LBB875_9
; %bb.8:
	global_load_dwordx2 v[4:5], v[28:29], off offset:512
.LBB875_9:
	s_or_b64 exec, exec, s[6:7]
	v_or_b32_e32 v8, 0x80, v30
	v_cmp_gt_u32_e32 vcc, s3, v8
	v_mov_b64_e32 v[8:9], -1
	v_mov_b64_e32 v[10:11], v[8:9]
	s_and_saveexec_b64 s[6:7], vcc
	s_cbranch_execz .LBB875_11
; %bb.10:
	global_load_dwordx2 v[10:11], v[28:29], off offset:1024
.LBB875_11:
	s_or_b64 exec, exec, s[6:7]
	v_or_b32_e32 v12, 0xc0, v30
	v_cmp_gt_u32_e32 vcc, s3, v12
	s_and_saveexec_b64 s[6:7], vcc
	s_cbranch_execz .LBB875_13
; %bb.12:
	global_load_dwordx2 v[8:9], v[28:29], off offset:1536
.LBB875_13:
	s_or_b64 exec, exec, s[6:7]
	v_add_u32_e32 v12, 0x100, v30
	v_cmp_gt_u32_e32 vcc, s3, v12
	v_mov_b64_e32 v[12:13], -1
	v_mov_b64_e32 v[14:15], v[12:13]
	s_and_saveexec_b64 s[6:7], vcc
	s_cbranch_execz .LBB875_15
; %bb.14:
	global_load_dwordx2 v[14:15], v[28:29], off offset:2048
.LBB875_15:
	s_or_b64 exec, exec, s[6:7]
	v_add_u32_e32 v16, 0x140, v30
	v_cmp_gt_u32_e32 vcc, s3, v16
	s_and_saveexec_b64 s[6:7], vcc
	s_cbranch_execz .LBB875_17
; %bb.16:
	global_load_dwordx2 v[12:13], v[28:29], off offset:2560
.LBB875_17:
	s_or_b64 exec, exec, s[6:7]
	v_add_u32_e32 v16, 0x180, v30
	v_cmp_gt_u32_e32 vcc, s3, v16
	v_mov_b64_e32 v[16:17], -1
	v_mov_b64_e32 v[18:19], v[16:17]
	s_and_saveexec_b64 s[6:7], vcc
	s_cbranch_execz .LBB875_19
; %bb.18:
	global_load_dwordx2 v[18:19], v[28:29], off offset:3072
.LBB875_19:
	s_or_b64 exec, exec, s[6:7]
	v_add_u32_e32 v20, 0x1c0, v30
	v_cmp_gt_u32_e32 vcc, s3, v20
	s_and_saveexec_b64 s[6:7], vcc
	s_cbranch_execz .LBB875_21
; %bb.20:
	global_load_dwordx2 v[16:17], v[28:29], off offset:3584
.LBB875_21:
	s_or_b64 exec, exec, s[6:7]
	v_add_u32_e32 v20, 0x200, v30
	v_cmp_gt_u32_e32 vcc, s3, v20
	v_mov_b64_e32 v[20:21], -1
	v_mov_b64_e32 v[22:23], v[20:21]
	s_and_saveexec_b64 s[6:7], vcc
	s_cbranch_execz .LBB875_23
; %bb.22:
	v_add_co_u32_e32 v22, vcc, 0x1000, v28
	s_nop 1
	v_addc_co_u32_e32 v23, vcc, 0, v29, vcc
	global_load_dwordx2 v[22:23], v[22:23], off
.LBB875_23:
	s_or_b64 exec, exec, s[6:7]
	v_add_u32_e32 v24, 0x240, v30
	v_cmp_gt_u32_e32 vcc, s3, v24
	s_and_saveexec_b64 s[6:7], vcc
	s_cbranch_execz .LBB875_25
; %bb.24:
	v_add_co_u32_e32 v20, vcc, 0x1000, v28
	s_nop 1
	v_addc_co_u32_e32 v21, vcc, 0, v29, vcc
	global_load_dwordx2 v[20:21], v[20:21], off offset:512
.LBB875_25:
	s_or_b64 exec, exec, s[6:7]
	v_add_u32_e32 v24, 0x280, v30
	v_cmp_gt_u32_e32 vcc, s3, v24
	v_mov_b64_e32 v[24:25], -1
	v_mov_b64_e32 v[26:27], v[24:25]
	s_and_saveexec_b64 s[6:7], vcc
	s_cbranch_execz .LBB875_27
; %bb.26:
	v_add_co_u32_e32 v26, vcc, 0x1000, v28
	s_nop 1
	v_addc_co_u32_e32 v27, vcc, 0, v29, vcc
	global_load_dwordx2 v[26:27], v[26:27], off offset:1024
.LBB875_27:
	s_or_b64 exec, exec, s[6:7]
	v_add_u32_e32 v30, 0x2c0, v30
	v_cmp_gt_u32_e32 vcc, s3, v30
	s_and_saveexec_b64 s[6:7], vcc
	s_cbranch_execz .LBB875_29
; %bb.28:
	v_add_co_u32_e32 v24, vcc, 0x1000, v28
	s_nop 1
	v_addc_co_u32_e32 v25, vcc, 0, v29, vcc
	global_load_dwordx2 v[24:25], v[24:25], off offset:1536
.LBB875_29:
	s_or_b64 exec, exec, s[6:7]
	s_load_dword s6, s[0:1], 0x64
	s_load_dword s26, s[0:1], 0x58
	s_add_u32 s7, s0, 0x58
	s_addc_u32 s8, s1, 0
	v_mov_b32_e32 v29, 0
	s_waitcnt lgkmcnt(0)
	s_lshr_b32 s9, s6, 16
	s_cmp_lt_u32 s2, s26
	s_cselect_b32 s6, 12, 18
	s_add_u32 s6, s7, s6
	s_addc_u32 s7, s8, 0
	global_load_ushort v48, v29, s[6:7]
	s_lshl_b32 s6, -1, s25
	s_waitcnt vmcnt(1)
	v_lshrrev_b64 v[30:31], s24, v[6:7]
	s_not_b32 s33, s6
	v_bfe_u32 v28, v0, 10, 10
	v_bfe_u32 v35, v0, 20, 10
	v_and_b32_e32 v30, s33, v30
	v_mad_u32_u24 v49, v35, s9, v28
	v_and_b32_e32 v28, 1, v30
	v_lshlrev_b32_e32 v35, 30, v30
	v_mov_b32_e32 v34, v29
	v_mov_b32_e32 v38, v29
	v_lshlrev_b32_e32 v37, 29, v30
	v_lshlrev_b32_e32 v39, 28, v30
	v_lshl_add_u64 v[46:47], v[28:29], 0, -1
	v_cmp_ne_u32_e32 vcc, 0, v28
	v_not_b32_e32 v28, v35
	v_mov_b32_e32 v36, v29
	v_mov_b32_e32 v40, v29
	v_lshl_add_u32 v50, v30, 3, v30
	v_lshlrev_b32_e32 v41, 27, v30
	v_lshlrev_b32_e32 v43, 26, v30
	;; [unrolled: 1-line block ×4, first 2 shown]
	v_cmp_gt_i64_e64 s[6:7], 0, v[34:35]
	v_not_b32_e32 v30, v37
	v_cmp_gt_i64_e64 s[10:11], 0, v[38:39]
	v_xor_b32_e32 v38, vcc_hi, v47
	v_ashrrev_i32_e32 v28, 31, v28
	v_cmp_gt_i64_e64 s[8:9], 0, v[36:37]
	v_not_b32_e32 v34, v39
	v_cmp_gt_i64_e64 s[12:13], 0, v[40:41]
	v_xor_b32_e32 v39, vcc_lo, v46
	v_ashrrev_i32_e32 v30, 31, v30
	v_and_b32_e32 v38, exec_hi, v38
	v_xor_b32_e32 v40, s7, v28
	v_mov_b32_e32 v42, v29
	v_not_b32_e32 v35, v41
	v_ashrrev_i32_e32 v34, 31, v34
	v_and_b32_e32 v39, exec_lo, v39
	v_xor_b32_e32 v28, s6, v28
	v_xor_b32_e32 v41, s9, v30
	v_and_b32_e32 v38, v38, v40
	v_cmp_gt_i64_e64 s[14:15], 0, v[42:43]
	v_not_b32_e32 v36, v43
	v_ashrrev_i32_e32 v35, 31, v35
	v_xor_b32_e32 v30, s8, v30
	v_xor_b32_e32 v42, s11, v34
	v_and_b32_e32 v28, v39, v28
	v_and_b32_e32 v38, v38, v41
	v_mov_b32_e32 v44, v29
	v_not_b32_e32 v37, v45
	v_ashrrev_i32_e32 v36, 31, v36
	v_xor_b32_e32 v34, s10, v34
	v_xor_b32_e32 v43, s13, v35
	v_and_b32_e32 v28, v28, v30
	v_and_b32_e32 v30, v38, v42
	v_cmp_gt_i64_e64 s[16:17], 0, v[44:45]
	v_ashrrev_i32_e32 v37, 31, v37
	v_xor_b32_e32 v35, s12, v35
	v_xor_b32_e32 v44, s15, v36
	v_and_b32_e32 v28, v28, v34
	v_and_b32_e32 v30, v30, v43
	v_xor_b32_e32 v36, s14, v36
	v_xor_b32_e32 v45, s17, v37
	v_and_b32_e32 v28, v28, v35
	v_and_b32_e32 v30, v30, v44
	v_and_b32_e32 v28, v28, v36
	v_and_b32_e32 v36, v30, v45
	v_mov_b32_e32 v30, v29
	v_cmp_gt_i64_e32 vcc, 0, v[30:31]
	v_not_b32_e32 v30, v31
	v_xor_b32_e32 v37, s16, v37
	v_ashrrev_i32_e32 v30, 31, v30
	v_and_b32_e32 v28, v28, v37
	v_xor_b32_e32 v31, vcc_hi, v30
	v_xor_b32_e32 v30, vcc_lo, v30
	v_and_b32_e32 v30, v28, v30
	v_and_b32_e32 v31, v36, v31
	v_mbcnt_lo_u32_b32 v28, v30, 0
	s_waitcnt vmcnt(0)
	v_mad_u64_u32 v[34:35], s[6:7], v49, v48, v[2:3]
	v_mbcnt_hi_u32_b32 v35, v31, v28
	v_mul_u32_u24_e32 v33, 5, v2
	v_lshrrev_b32_e32 v45, 6, v34
	v_cmp_eq_u32_e32 vcc, 0, v35
	v_cmp_ne_u64_e64 s[6:7], 0, v[30:31]
	v_lshlrev_b32_e32 v33, 2, v33
	v_add_lshl_u32 v38, v45, v50, 2
	s_and_b64 s[8:9], s[6:7], vcc
	ds_write2_b32 v33, v29, v29 offset0:8 offset1:9
	ds_write2_b32 v33, v29, v29 offset0:10 offset1:11
	ds_write_b32 v33, v29 offset:48
	s_waitcnt lgkmcnt(0)
	s_barrier
	s_waitcnt lgkmcnt(0)
	; wave barrier
	s_and_saveexec_b64 s[6:7], s[8:9]
	s_cbranch_execz .LBB875_31
; %bb.30:
	v_bcnt_u32_b32 v28, v30, 0
	v_bcnt_u32_b32 v28, v31, v28
	ds_write_b32 v38, v28 offset:32
.LBB875_31:
	s_or_b64 exec, exec, s[6:7]
	v_lshrrev_b64 v[30:31], s24, v[4:5]
	v_and_b32_e32 v36, s33, v30
	v_lshl_add_u32 v28, v36, 3, v36
	v_add_lshl_u32 v40, v45, v28, 2
	v_and_b32_e32 v28, 1, v36
	v_lshl_add_u64 v[30:31], v[28:29], 0, -1
	v_cmp_ne_u32_e32 vcc, 0, v28
	; wave barrier
	s_nop 1
	v_xor_b32_e32 v30, vcc_lo, v30
	v_xor_b32_e32 v28, vcc_hi, v31
	v_and_b32_e32 v37, exec_lo, v30
	v_lshlrev_b32_e32 v31, 30, v36
	v_mov_b32_e32 v30, v29
	v_cmp_gt_i64_e32 vcc, 0, v[30:31]
	v_not_b32_e32 v30, v31
	v_ashrrev_i32_e32 v30, 31, v30
	v_and_b32_e32 v28, exec_hi, v28
	v_xor_b32_e32 v31, vcc_hi, v30
	v_xor_b32_e32 v30, vcc_lo, v30
	v_and_b32_e32 v28, v28, v31
	v_and_b32_e32 v37, v37, v30
	v_lshlrev_b32_e32 v31, 29, v36
	v_mov_b32_e32 v30, v29
	v_cmp_gt_i64_e32 vcc, 0, v[30:31]
	v_not_b32_e32 v30, v31
	v_ashrrev_i32_e32 v30, 31, v30
	v_xor_b32_e32 v31, vcc_hi, v30
	v_xor_b32_e32 v30, vcc_lo, v30
	v_and_b32_e32 v28, v28, v31
	v_and_b32_e32 v37, v37, v30
	v_lshlrev_b32_e32 v31, 28, v36
	v_mov_b32_e32 v30, v29
	v_cmp_gt_i64_e32 vcc, 0, v[30:31]
	v_not_b32_e32 v30, v31
	v_ashrrev_i32_e32 v30, 31, v30
	;; [unrolled: 9-line block ×5, first 2 shown]
	v_xor_b32_e32 v31, vcc_hi, v30
	v_xor_b32_e32 v30, vcc_lo, v30
	v_and_b32_e32 v28, v28, v31
	v_lshlrev_b32_e32 v31, 24, v36
	v_and_b32_e32 v37, v37, v30
	v_mov_b32_e32 v30, v29
	v_not_b32_e32 v29, v31
	v_cmp_gt_i64_e32 vcc, 0, v[30:31]
	v_ashrrev_i32_e32 v29, 31, v29
	ds_read_b32 v34, v40 offset:32
	v_xor_b32_e32 v30, vcc_hi, v29
	v_xor_b32_e32 v31, vcc_lo, v29
	v_and_b32_e32 v29, v28, v30
	v_and_b32_e32 v28, v37, v31
	v_mbcnt_lo_u32_b32 v30, v28, 0
	v_mbcnt_hi_u32_b32 v36, v29, v30
	v_cmp_eq_u32_e32 vcc, 0, v36
	v_cmp_ne_u64_e64 s[6:7], 0, v[28:29]
	s_and_b64 s[8:9], s[6:7], vcc
	; wave barrier
	s_and_saveexec_b64 s[6:7], s[8:9]
	s_cbranch_execz .LBB875_33
; %bb.32:
	v_bcnt_u32_b32 v28, v28, 0
	v_bcnt_u32_b32 v28, v29, v28
	s_waitcnt lgkmcnt(0)
	v_add_u32_e32 v28, v34, v28
	ds_write_b32 v40, v28 offset:32
.LBB875_33:
	s_or_b64 exec, exec, s[6:7]
	v_lshrrev_b64 v[28:29], s24, v[10:11]
	v_and_b32_e32 v39, s33, v28
	v_lshl_add_u32 v28, v39, 3, v39
	v_add_lshl_u32 v42, v45, v28, 2
	v_and_b32_e32 v28, 1, v39
	v_mov_b32_e32 v29, 0
	v_lshl_add_u64 v[30:31], v[28:29], 0, -1
	v_cmp_ne_u32_e32 vcc, 0, v28
	; wave barrier
	s_nop 1
	v_xor_b32_e32 v30, vcc_lo, v30
	v_xor_b32_e32 v28, vcc_hi, v31
	v_and_b32_e32 v41, exec_lo, v30
	v_lshlrev_b32_e32 v31, 30, v39
	v_mov_b32_e32 v30, v29
	v_cmp_gt_i64_e32 vcc, 0, v[30:31]
	v_not_b32_e32 v30, v31
	v_ashrrev_i32_e32 v30, 31, v30
	v_and_b32_e32 v28, exec_hi, v28
	v_xor_b32_e32 v31, vcc_hi, v30
	v_xor_b32_e32 v30, vcc_lo, v30
	v_and_b32_e32 v28, v28, v31
	v_and_b32_e32 v41, v41, v30
	v_lshlrev_b32_e32 v31, 29, v39
	v_mov_b32_e32 v30, v29
	v_cmp_gt_i64_e32 vcc, 0, v[30:31]
	v_not_b32_e32 v30, v31
	v_ashrrev_i32_e32 v30, 31, v30
	v_xor_b32_e32 v31, vcc_hi, v30
	v_xor_b32_e32 v30, vcc_lo, v30
	v_and_b32_e32 v28, v28, v31
	v_and_b32_e32 v41, v41, v30
	v_lshlrev_b32_e32 v31, 28, v39
	v_mov_b32_e32 v30, v29
	v_cmp_gt_i64_e32 vcc, 0, v[30:31]
	v_not_b32_e32 v30, v31
	v_ashrrev_i32_e32 v30, 31, v30
	;; [unrolled: 9-line block ×6, first 2 shown]
	v_xor_b32_e32 v31, vcc_hi, v30
	v_xor_b32_e32 v30, vcc_lo, v30
	ds_read_b32 v37, v42 offset:32
	v_and_b32_e32 v30, v41, v30
	v_and_b32_e32 v31, v28, v31
	v_mbcnt_lo_u32_b32 v28, v30, 0
	v_mbcnt_hi_u32_b32 v39, v31, v28
	v_cmp_eq_u32_e32 vcc, 0, v39
	v_cmp_ne_u64_e64 s[6:7], 0, v[30:31]
	s_and_b64 s[8:9], s[6:7], vcc
	; wave barrier
	s_and_saveexec_b64 s[6:7], s[8:9]
	s_cbranch_execz .LBB875_35
; %bb.34:
	v_bcnt_u32_b32 v28, v30, 0
	v_bcnt_u32_b32 v28, v31, v28
	s_waitcnt lgkmcnt(0)
	v_add_u32_e32 v28, v37, v28
	ds_write_b32 v42, v28 offset:32
.LBB875_35:
	s_or_b64 exec, exec, s[6:7]
	v_lshrrev_b64 v[30:31], s24, v[8:9]
	v_and_b32_e32 v43, s33, v30
	v_lshl_add_u32 v28, v43, 3, v43
	v_add_lshl_u32 v46, v45, v28, 2
	v_and_b32_e32 v28, 1, v43
	v_lshl_add_u64 v[30:31], v[28:29], 0, -1
	v_cmp_ne_u32_e32 vcc, 0, v28
	; wave barrier
	s_nop 1
	v_xor_b32_e32 v30, vcc_lo, v30
	v_xor_b32_e32 v28, vcc_hi, v31
	v_and_b32_e32 v44, exec_lo, v30
	v_lshlrev_b32_e32 v31, 30, v43
	v_mov_b32_e32 v30, v29
	v_cmp_gt_i64_e32 vcc, 0, v[30:31]
	v_not_b32_e32 v30, v31
	v_ashrrev_i32_e32 v30, 31, v30
	v_and_b32_e32 v28, exec_hi, v28
	v_xor_b32_e32 v31, vcc_hi, v30
	v_xor_b32_e32 v30, vcc_lo, v30
	v_and_b32_e32 v28, v28, v31
	v_and_b32_e32 v44, v44, v30
	v_lshlrev_b32_e32 v31, 29, v43
	v_mov_b32_e32 v30, v29
	v_cmp_gt_i64_e32 vcc, 0, v[30:31]
	v_not_b32_e32 v30, v31
	v_ashrrev_i32_e32 v30, 31, v30
	v_xor_b32_e32 v31, vcc_hi, v30
	v_xor_b32_e32 v30, vcc_lo, v30
	v_and_b32_e32 v28, v28, v31
	v_and_b32_e32 v44, v44, v30
	v_lshlrev_b32_e32 v31, 28, v43
	v_mov_b32_e32 v30, v29
	v_cmp_gt_i64_e32 vcc, 0, v[30:31]
	v_not_b32_e32 v30, v31
	v_ashrrev_i32_e32 v30, 31, v30
	;; [unrolled: 9-line block ×5, first 2 shown]
	v_xor_b32_e32 v31, vcc_hi, v30
	v_xor_b32_e32 v30, vcc_lo, v30
	v_and_b32_e32 v28, v28, v31
	v_lshlrev_b32_e32 v31, 24, v43
	v_and_b32_e32 v44, v44, v30
	v_mov_b32_e32 v30, v29
	v_not_b32_e32 v29, v31
	v_cmp_gt_i64_e32 vcc, 0, v[30:31]
	v_ashrrev_i32_e32 v29, 31, v29
	ds_read_b32 v41, v46 offset:32
	v_xor_b32_e32 v30, vcc_hi, v29
	v_xor_b32_e32 v31, vcc_lo, v29
	v_and_b32_e32 v29, v28, v30
	v_and_b32_e32 v28, v44, v31
	v_mbcnt_lo_u32_b32 v30, v28, 0
	v_mbcnt_hi_u32_b32 v43, v29, v30
	v_cmp_eq_u32_e32 vcc, 0, v43
	v_cmp_ne_u64_e64 s[6:7], 0, v[28:29]
	s_and_b64 s[8:9], s[6:7], vcc
	; wave barrier
	s_and_saveexec_b64 s[6:7], s[8:9]
	s_cbranch_execz .LBB875_37
; %bb.36:
	v_bcnt_u32_b32 v28, v28, 0
	v_bcnt_u32_b32 v28, v29, v28
	s_waitcnt lgkmcnt(0)
	v_add_u32_e32 v28, v41, v28
	ds_write_b32 v46, v28 offset:32
.LBB875_37:
	s_or_b64 exec, exec, s[6:7]
	v_lshrrev_b64 v[28:29], s24, v[14:15]
	v_and_b32_e32 v47, s33, v28
	v_lshl_add_u32 v28, v47, 3, v47
	v_add_lshl_u32 v49, v45, v28, 2
	v_and_b32_e32 v28, 1, v47
	v_mov_b32_e32 v29, 0
	v_lshl_add_u64 v[30:31], v[28:29], 0, -1
	v_cmp_ne_u32_e32 vcc, 0, v28
	; wave barrier
	s_nop 1
	v_xor_b32_e32 v30, vcc_lo, v30
	v_xor_b32_e32 v28, vcc_hi, v31
	v_and_b32_e32 v48, exec_lo, v30
	v_lshlrev_b32_e32 v31, 30, v47
	v_mov_b32_e32 v30, v29
	v_cmp_gt_i64_e32 vcc, 0, v[30:31]
	v_not_b32_e32 v30, v31
	v_ashrrev_i32_e32 v30, 31, v30
	v_and_b32_e32 v28, exec_hi, v28
	v_xor_b32_e32 v31, vcc_hi, v30
	v_xor_b32_e32 v30, vcc_lo, v30
	v_and_b32_e32 v28, v28, v31
	v_and_b32_e32 v48, v48, v30
	v_lshlrev_b32_e32 v31, 29, v47
	v_mov_b32_e32 v30, v29
	v_cmp_gt_i64_e32 vcc, 0, v[30:31]
	v_not_b32_e32 v30, v31
	v_ashrrev_i32_e32 v30, 31, v30
	v_xor_b32_e32 v31, vcc_hi, v30
	v_xor_b32_e32 v30, vcc_lo, v30
	v_and_b32_e32 v28, v28, v31
	v_and_b32_e32 v48, v48, v30
	v_lshlrev_b32_e32 v31, 28, v47
	v_mov_b32_e32 v30, v29
	v_cmp_gt_i64_e32 vcc, 0, v[30:31]
	v_not_b32_e32 v30, v31
	v_ashrrev_i32_e32 v30, 31, v30
	;; [unrolled: 9-line block ×6, first 2 shown]
	v_xor_b32_e32 v31, vcc_hi, v30
	v_xor_b32_e32 v30, vcc_lo, v30
	ds_read_b32 v44, v49 offset:32
	v_and_b32_e32 v30, v48, v30
	v_and_b32_e32 v31, v28, v31
	v_mbcnt_lo_u32_b32 v28, v30, 0
	v_mbcnt_hi_u32_b32 v47, v31, v28
	v_cmp_eq_u32_e32 vcc, 0, v47
	v_cmp_ne_u64_e64 s[6:7], 0, v[30:31]
	s_and_b64 s[8:9], s[6:7], vcc
	; wave barrier
	s_and_saveexec_b64 s[6:7], s[8:9]
	s_cbranch_execz .LBB875_39
; %bb.38:
	v_bcnt_u32_b32 v28, v30, 0
	v_bcnt_u32_b32 v28, v31, v28
	s_waitcnt lgkmcnt(0)
	v_add_u32_e32 v28, v44, v28
	ds_write_b32 v49, v28 offset:32
.LBB875_39:
	s_or_b64 exec, exec, s[6:7]
	v_lshrrev_b64 v[30:31], s24, v[12:13]
	v_and_b32_e32 v50, s33, v30
	v_lshl_add_u32 v28, v50, 3, v50
	v_add_lshl_u32 v52, v45, v28, 2
	v_and_b32_e32 v28, 1, v50
	v_lshl_add_u64 v[30:31], v[28:29], 0, -1
	v_cmp_ne_u32_e32 vcc, 0, v28
	; wave barrier
	s_nop 1
	v_xor_b32_e32 v30, vcc_lo, v30
	v_xor_b32_e32 v28, vcc_hi, v31
	v_and_b32_e32 v51, exec_lo, v30
	v_lshlrev_b32_e32 v31, 30, v50
	v_mov_b32_e32 v30, v29
	v_cmp_gt_i64_e32 vcc, 0, v[30:31]
	v_not_b32_e32 v30, v31
	v_ashrrev_i32_e32 v30, 31, v30
	v_and_b32_e32 v28, exec_hi, v28
	v_xor_b32_e32 v31, vcc_hi, v30
	v_xor_b32_e32 v30, vcc_lo, v30
	v_and_b32_e32 v28, v28, v31
	v_and_b32_e32 v51, v51, v30
	v_lshlrev_b32_e32 v31, 29, v50
	v_mov_b32_e32 v30, v29
	v_cmp_gt_i64_e32 vcc, 0, v[30:31]
	v_not_b32_e32 v30, v31
	v_ashrrev_i32_e32 v30, 31, v30
	v_xor_b32_e32 v31, vcc_hi, v30
	v_xor_b32_e32 v30, vcc_lo, v30
	v_and_b32_e32 v28, v28, v31
	v_and_b32_e32 v51, v51, v30
	v_lshlrev_b32_e32 v31, 28, v50
	v_mov_b32_e32 v30, v29
	v_cmp_gt_i64_e32 vcc, 0, v[30:31]
	v_not_b32_e32 v30, v31
	v_ashrrev_i32_e32 v30, 31, v30
	;; [unrolled: 9-line block ×5, first 2 shown]
	v_xor_b32_e32 v31, vcc_hi, v30
	v_xor_b32_e32 v30, vcc_lo, v30
	v_and_b32_e32 v28, v28, v31
	v_lshlrev_b32_e32 v31, 24, v50
	v_and_b32_e32 v51, v51, v30
	v_mov_b32_e32 v30, v29
	v_not_b32_e32 v29, v31
	v_cmp_gt_i64_e32 vcc, 0, v[30:31]
	v_ashrrev_i32_e32 v29, 31, v29
	ds_read_b32 v48, v52 offset:32
	v_xor_b32_e32 v30, vcc_hi, v29
	v_xor_b32_e32 v31, vcc_lo, v29
	v_and_b32_e32 v29, v28, v30
	v_and_b32_e32 v28, v51, v31
	v_mbcnt_lo_u32_b32 v30, v28, 0
	v_mbcnt_hi_u32_b32 v50, v29, v30
	v_cmp_eq_u32_e32 vcc, 0, v50
	v_cmp_ne_u64_e64 s[6:7], 0, v[28:29]
	s_and_b64 s[8:9], s[6:7], vcc
	; wave barrier
	s_and_saveexec_b64 s[6:7], s[8:9]
	s_cbranch_execz .LBB875_41
; %bb.40:
	v_bcnt_u32_b32 v28, v28, 0
	v_bcnt_u32_b32 v28, v29, v28
	s_waitcnt lgkmcnt(0)
	v_add_u32_e32 v28, v48, v28
	ds_write_b32 v52, v28 offset:32
.LBB875_41:
	s_or_b64 exec, exec, s[6:7]
	v_lshrrev_b64 v[28:29], s24, v[18:19]
	v_and_b32_e32 v53, s33, v28
	v_lshl_add_u32 v28, v53, 3, v53
	v_add_lshl_u32 v55, v45, v28, 2
	v_and_b32_e32 v28, 1, v53
	v_mov_b32_e32 v29, 0
	v_lshl_add_u64 v[30:31], v[28:29], 0, -1
	v_cmp_ne_u32_e32 vcc, 0, v28
	; wave barrier
	s_nop 1
	v_xor_b32_e32 v30, vcc_lo, v30
	v_xor_b32_e32 v28, vcc_hi, v31
	v_and_b32_e32 v54, exec_lo, v30
	v_lshlrev_b32_e32 v31, 30, v53
	v_mov_b32_e32 v30, v29
	v_cmp_gt_i64_e32 vcc, 0, v[30:31]
	v_not_b32_e32 v30, v31
	v_ashrrev_i32_e32 v30, 31, v30
	v_and_b32_e32 v28, exec_hi, v28
	v_xor_b32_e32 v31, vcc_hi, v30
	v_xor_b32_e32 v30, vcc_lo, v30
	v_and_b32_e32 v28, v28, v31
	v_and_b32_e32 v54, v54, v30
	v_lshlrev_b32_e32 v31, 29, v53
	v_mov_b32_e32 v30, v29
	v_cmp_gt_i64_e32 vcc, 0, v[30:31]
	v_not_b32_e32 v30, v31
	v_ashrrev_i32_e32 v30, 31, v30
	v_xor_b32_e32 v31, vcc_hi, v30
	v_xor_b32_e32 v30, vcc_lo, v30
	v_and_b32_e32 v28, v28, v31
	v_and_b32_e32 v54, v54, v30
	v_lshlrev_b32_e32 v31, 28, v53
	v_mov_b32_e32 v30, v29
	v_cmp_gt_i64_e32 vcc, 0, v[30:31]
	v_not_b32_e32 v30, v31
	v_ashrrev_i32_e32 v30, 31, v30
	;; [unrolled: 9-line block ×6, first 2 shown]
	v_xor_b32_e32 v31, vcc_hi, v30
	v_xor_b32_e32 v30, vcc_lo, v30
	ds_read_b32 v51, v55 offset:32
	v_and_b32_e32 v30, v54, v30
	v_and_b32_e32 v31, v28, v31
	v_mbcnt_lo_u32_b32 v28, v30, 0
	v_mbcnt_hi_u32_b32 v53, v31, v28
	v_cmp_eq_u32_e32 vcc, 0, v53
	v_cmp_ne_u64_e64 s[6:7], 0, v[30:31]
	s_and_b64 s[8:9], s[6:7], vcc
	; wave barrier
	s_and_saveexec_b64 s[6:7], s[8:9]
	s_cbranch_execz .LBB875_43
; %bb.42:
	v_bcnt_u32_b32 v28, v30, 0
	v_bcnt_u32_b32 v28, v31, v28
	s_waitcnt lgkmcnt(0)
	v_add_u32_e32 v28, v51, v28
	ds_write_b32 v55, v28 offset:32
.LBB875_43:
	s_or_b64 exec, exec, s[6:7]
	v_lshrrev_b64 v[30:31], s24, v[16:17]
	v_and_b32_e32 v56, s33, v30
	v_lshl_add_u32 v28, v56, 3, v56
	v_add_lshl_u32 v58, v45, v28, 2
	v_and_b32_e32 v28, 1, v56
	v_lshl_add_u64 v[30:31], v[28:29], 0, -1
	v_cmp_ne_u32_e32 vcc, 0, v28
	; wave barrier
	s_nop 1
	v_xor_b32_e32 v30, vcc_lo, v30
	v_xor_b32_e32 v28, vcc_hi, v31
	v_and_b32_e32 v57, exec_lo, v30
	v_lshlrev_b32_e32 v31, 30, v56
	v_mov_b32_e32 v30, v29
	v_cmp_gt_i64_e32 vcc, 0, v[30:31]
	v_not_b32_e32 v30, v31
	v_ashrrev_i32_e32 v30, 31, v30
	v_and_b32_e32 v28, exec_hi, v28
	v_xor_b32_e32 v31, vcc_hi, v30
	v_xor_b32_e32 v30, vcc_lo, v30
	v_and_b32_e32 v28, v28, v31
	v_and_b32_e32 v57, v57, v30
	v_lshlrev_b32_e32 v31, 29, v56
	v_mov_b32_e32 v30, v29
	v_cmp_gt_i64_e32 vcc, 0, v[30:31]
	v_not_b32_e32 v30, v31
	v_ashrrev_i32_e32 v30, 31, v30
	v_xor_b32_e32 v31, vcc_hi, v30
	v_xor_b32_e32 v30, vcc_lo, v30
	v_and_b32_e32 v28, v28, v31
	v_and_b32_e32 v57, v57, v30
	v_lshlrev_b32_e32 v31, 28, v56
	v_mov_b32_e32 v30, v29
	v_cmp_gt_i64_e32 vcc, 0, v[30:31]
	v_not_b32_e32 v30, v31
	v_ashrrev_i32_e32 v30, 31, v30
	;; [unrolled: 9-line block ×5, first 2 shown]
	v_xor_b32_e32 v31, vcc_hi, v30
	v_xor_b32_e32 v30, vcc_lo, v30
	v_and_b32_e32 v28, v28, v31
	v_lshlrev_b32_e32 v31, 24, v56
	v_and_b32_e32 v57, v57, v30
	v_mov_b32_e32 v30, v29
	v_not_b32_e32 v29, v31
	v_cmp_gt_i64_e32 vcc, 0, v[30:31]
	v_ashrrev_i32_e32 v29, 31, v29
	ds_read_b32 v54, v58 offset:32
	v_xor_b32_e32 v30, vcc_hi, v29
	v_xor_b32_e32 v31, vcc_lo, v29
	v_and_b32_e32 v29, v28, v30
	v_and_b32_e32 v28, v57, v31
	v_mbcnt_lo_u32_b32 v30, v28, 0
	v_mbcnt_hi_u32_b32 v56, v29, v30
	v_cmp_eq_u32_e32 vcc, 0, v56
	v_cmp_ne_u64_e64 s[6:7], 0, v[28:29]
	s_and_b64 s[8:9], s[6:7], vcc
	; wave barrier
	s_and_saveexec_b64 s[6:7], s[8:9]
	s_cbranch_execz .LBB875_45
; %bb.44:
	v_bcnt_u32_b32 v28, v28, 0
	v_bcnt_u32_b32 v28, v29, v28
	s_waitcnt lgkmcnt(0)
	v_add_u32_e32 v28, v54, v28
	ds_write_b32 v58, v28 offset:32
.LBB875_45:
	s_or_b64 exec, exec, s[6:7]
	v_lshrrev_b64 v[28:29], s24, v[22:23]
	v_and_b32_e32 v59, s33, v28
	v_lshl_add_u32 v28, v59, 3, v59
	v_add_lshl_u32 v61, v45, v28, 2
	v_and_b32_e32 v28, 1, v59
	v_mov_b32_e32 v29, 0
	v_lshl_add_u64 v[30:31], v[28:29], 0, -1
	v_cmp_ne_u32_e32 vcc, 0, v28
	; wave barrier
	s_nop 1
	v_xor_b32_e32 v30, vcc_lo, v30
	v_xor_b32_e32 v28, vcc_hi, v31
	v_and_b32_e32 v60, exec_lo, v30
	v_lshlrev_b32_e32 v31, 30, v59
	v_mov_b32_e32 v30, v29
	v_cmp_gt_i64_e32 vcc, 0, v[30:31]
	v_not_b32_e32 v30, v31
	v_ashrrev_i32_e32 v30, 31, v30
	v_and_b32_e32 v28, exec_hi, v28
	v_xor_b32_e32 v31, vcc_hi, v30
	v_xor_b32_e32 v30, vcc_lo, v30
	v_and_b32_e32 v28, v28, v31
	v_and_b32_e32 v60, v60, v30
	v_lshlrev_b32_e32 v31, 29, v59
	v_mov_b32_e32 v30, v29
	v_cmp_gt_i64_e32 vcc, 0, v[30:31]
	v_not_b32_e32 v30, v31
	v_ashrrev_i32_e32 v30, 31, v30
	v_xor_b32_e32 v31, vcc_hi, v30
	v_xor_b32_e32 v30, vcc_lo, v30
	v_and_b32_e32 v28, v28, v31
	v_and_b32_e32 v60, v60, v30
	v_lshlrev_b32_e32 v31, 28, v59
	v_mov_b32_e32 v30, v29
	v_cmp_gt_i64_e32 vcc, 0, v[30:31]
	v_not_b32_e32 v30, v31
	v_ashrrev_i32_e32 v30, 31, v30
	;; [unrolled: 9-line block ×6, first 2 shown]
	v_xor_b32_e32 v31, vcc_hi, v30
	v_xor_b32_e32 v30, vcc_lo, v30
	ds_read_b32 v57, v61 offset:32
	v_and_b32_e32 v30, v60, v30
	v_and_b32_e32 v31, v28, v31
	v_mbcnt_lo_u32_b32 v28, v30, 0
	v_mbcnt_hi_u32_b32 v59, v31, v28
	v_cmp_eq_u32_e32 vcc, 0, v59
	v_cmp_ne_u64_e64 s[6:7], 0, v[30:31]
	s_and_b64 s[8:9], s[6:7], vcc
	; wave barrier
	s_and_saveexec_b64 s[6:7], s[8:9]
	s_cbranch_execz .LBB875_47
; %bb.46:
	v_bcnt_u32_b32 v28, v30, 0
	v_bcnt_u32_b32 v28, v31, v28
	s_waitcnt lgkmcnt(0)
	v_add_u32_e32 v28, v57, v28
	ds_write_b32 v61, v28 offset:32
.LBB875_47:
	s_or_b64 exec, exec, s[6:7]
	v_lshrrev_b64 v[30:31], s24, v[20:21]
	v_and_b32_e32 v62, s33, v30
	v_lshl_add_u32 v28, v62, 3, v62
	v_add_lshl_u32 v64, v45, v28, 2
	v_and_b32_e32 v28, 1, v62
	v_lshl_add_u64 v[30:31], v[28:29], 0, -1
	v_cmp_ne_u32_e32 vcc, 0, v28
	; wave barrier
	s_nop 1
	v_xor_b32_e32 v30, vcc_lo, v30
	v_xor_b32_e32 v28, vcc_hi, v31
	v_and_b32_e32 v63, exec_lo, v30
	v_lshlrev_b32_e32 v31, 30, v62
	v_mov_b32_e32 v30, v29
	v_cmp_gt_i64_e32 vcc, 0, v[30:31]
	v_not_b32_e32 v30, v31
	v_ashrrev_i32_e32 v30, 31, v30
	v_and_b32_e32 v28, exec_hi, v28
	v_xor_b32_e32 v31, vcc_hi, v30
	v_xor_b32_e32 v30, vcc_lo, v30
	v_and_b32_e32 v28, v28, v31
	v_and_b32_e32 v63, v63, v30
	v_lshlrev_b32_e32 v31, 29, v62
	v_mov_b32_e32 v30, v29
	v_cmp_gt_i64_e32 vcc, 0, v[30:31]
	v_not_b32_e32 v30, v31
	v_ashrrev_i32_e32 v30, 31, v30
	v_xor_b32_e32 v31, vcc_hi, v30
	v_xor_b32_e32 v30, vcc_lo, v30
	v_and_b32_e32 v28, v28, v31
	v_and_b32_e32 v63, v63, v30
	v_lshlrev_b32_e32 v31, 28, v62
	v_mov_b32_e32 v30, v29
	v_cmp_gt_i64_e32 vcc, 0, v[30:31]
	v_not_b32_e32 v30, v31
	v_ashrrev_i32_e32 v30, 31, v30
	;; [unrolled: 9-line block ×5, first 2 shown]
	v_xor_b32_e32 v31, vcc_hi, v30
	v_xor_b32_e32 v30, vcc_lo, v30
	v_and_b32_e32 v28, v28, v31
	v_lshlrev_b32_e32 v31, 24, v62
	v_and_b32_e32 v63, v63, v30
	v_mov_b32_e32 v30, v29
	v_not_b32_e32 v29, v31
	v_cmp_gt_i64_e32 vcc, 0, v[30:31]
	v_ashrrev_i32_e32 v29, 31, v29
	ds_read_b32 v60, v64 offset:32
	v_xor_b32_e32 v30, vcc_hi, v29
	v_xor_b32_e32 v31, vcc_lo, v29
	v_and_b32_e32 v29, v28, v30
	v_and_b32_e32 v28, v63, v31
	v_mbcnt_lo_u32_b32 v30, v28, 0
	v_mbcnt_hi_u32_b32 v62, v29, v30
	v_cmp_eq_u32_e32 vcc, 0, v62
	v_cmp_ne_u64_e64 s[6:7], 0, v[28:29]
	s_and_b64 s[8:9], s[6:7], vcc
	; wave barrier
	s_and_saveexec_b64 s[6:7], s[8:9]
	s_cbranch_execz .LBB875_49
; %bb.48:
	v_bcnt_u32_b32 v28, v28, 0
	v_bcnt_u32_b32 v28, v29, v28
	s_waitcnt lgkmcnt(0)
	v_add_u32_e32 v28, v60, v28
	ds_write_b32 v64, v28 offset:32
.LBB875_49:
	s_or_b64 exec, exec, s[6:7]
	v_lshrrev_b64 v[28:29], s24, v[26:27]
	v_and_b32_e32 v65, s33, v28
	v_lshl_add_u32 v28, v65, 3, v65
	v_add_lshl_u32 v66, v45, v28, 2
	v_and_b32_e32 v28, 1, v65
	v_mov_b32_e32 v29, 0
	v_lshl_add_u64 v[30:31], v[28:29], 0, -1
	v_cmp_ne_u32_e32 vcc, 0, v28
	; wave barrier
	s_nop 1
	v_xor_b32_e32 v30, vcc_lo, v30
	v_xor_b32_e32 v28, vcc_hi, v31
	v_and_b32_e32 v67, exec_lo, v30
	v_lshlrev_b32_e32 v31, 30, v65
	v_mov_b32_e32 v30, v29
	v_cmp_gt_i64_e32 vcc, 0, v[30:31]
	v_not_b32_e32 v30, v31
	v_ashrrev_i32_e32 v30, 31, v30
	v_and_b32_e32 v28, exec_hi, v28
	v_xor_b32_e32 v31, vcc_hi, v30
	v_xor_b32_e32 v30, vcc_lo, v30
	v_and_b32_e32 v28, v28, v31
	v_and_b32_e32 v67, v67, v30
	v_lshlrev_b32_e32 v31, 29, v65
	v_mov_b32_e32 v30, v29
	v_cmp_gt_i64_e32 vcc, 0, v[30:31]
	v_not_b32_e32 v30, v31
	v_ashrrev_i32_e32 v30, 31, v30
	v_xor_b32_e32 v31, vcc_hi, v30
	v_xor_b32_e32 v30, vcc_lo, v30
	v_and_b32_e32 v28, v28, v31
	v_and_b32_e32 v67, v67, v30
	v_lshlrev_b32_e32 v31, 28, v65
	v_mov_b32_e32 v30, v29
	v_cmp_gt_i64_e32 vcc, 0, v[30:31]
	v_not_b32_e32 v30, v31
	v_ashrrev_i32_e32 v30, 31, v30
	;; [unrolled: 9-line block ×6, first 2 shown]
	v_xor_b32_e32 v31, vcc_hi, v30
	v_xor_b32_e32 v30, vcc_lo, v30
	ds_read_b32 v63, v66 offset:32
	v_and_b32_e32 v30, v67, v30
	v_and_b32_e32 v31, v28, v31
	v_mbcnt_lo_u32_b32 v28, v30, 0
	v_mbcnt_hi_u32_b32 v65, v31, v28
	v_cmp_eq_u32_e32 vcc, 0, v65
	v_cmp_ne_u64_e64 s[6:7], 0, v[30:31]
	s_and_b64 s[8:9], s[6:7], vcc
	; wave barrier
	s_and_saveexec_b64 s[6:7], s[8:9]
	s_cbranch_execz .LBB875_51
; %bb.50:
	v_bcnt_u32_b32 v28, v30, 0
	v_bcnt_u32_b32 v28, v31, v28
	s_waitcnt lgkmcnt(0)
	v_add_u32_e32 v28, v63, v28
	ds_write_b32 v66, v28 offset:32
.LBB875_51:
	s_or_b64 exec, exec, s[6:7]
	v_lshrrev_b64 v[30:31], s24, v[24:25]
	v_and_b32_e32 v67, s33, v30
	v_lshl_add_u32 v28, v67, 3, v67
	v_add_lshl_u32 v68, v45, v28, 2
	v_and_b32_e32 v28, 1, v67
	v_lshl_add_u64 v[30:31], v[28:29], 0, -1
	v_cmp_ne_u32_e32 vcc, 0, v28
	; wave barrier
	s_nop 1
	v_xor_b32_e32 v30, vcc_lo, v30
	v_xor_b32_e32 v28, vcc_hi, v31
	v_and_b32_e32 v70, exec_lo, v30
	v_lshlrev_b32_e32 v31, 30, v67
	v_mov_b32_e32 v30, v29
	v_cmp_gt_i64_e32 vcc, 0, v[30:31]
	v_not_b32_e32 v30, v31
	v_ashrrev_i32_e32 v30, 31, v30
	v_and_b32_e32 v28, exec_hi, v28
	v_xor_b32_e32 v31, vcc_hi, v30
	v_xor_b32_e32 v30, vcc_lo, v30
	v_and_b32_e32 v28, v28, v31
	v_and_b32_e32 v70, v70, v30
	v_lshlrev_b32_e32 v31, 29, v67
	v_mov_b32_e32 v30, v29
	v_cmp_gt_i64_e32 vcc, 0, v[30:31]
	v_not_b32_e32 v30, v31
	v_ashrrev_i32_e32 v30, 31, v30
	v_xor_b32_e32 v31, vcc_hi, v30
	v_xor_b32_e32 v30, vcc_lo, v30
	v_and_b32_e32 v28, v28, v31
	v_and_b32_e32 v70, v70, v30
	v_lshlrev_b32_e32 v31, 28, v67
	v_mov_b32_e32 v30, v29
	v_cmp_gt_i64_e32 vcc, 0, v[30:31]
	v_not_b32_e32 v30, v31
	v_ashrrev_i32_e32 v30, 31, v30
	v_xor_b32_e32 v31, vcc_hi, v30
	v_xor_b32_e32 v30, vcc_lo, v30
	v_and_b32_e32 v28, v28, v31
	v_and_b32_e32 v70, v70, v30
	v_lshlrev_b32_e32 v31, 27, v67
	v_mov_b32_e32 v30, v29
	v_cmp_gt_i64_e32 vcc, 0, v[30:31]
	v_not_b32_e32 v30, v31
	v_ashrrev_i32_e32 v30, 31, v30
	v_xor_b32_e32 v31, vcc_hi, v30
	v_xor_b32_e32 v30, vcc_lo, v30
	v_and_b32_e32 v28, v28, v31
	v_and_b32_e32 v70, v70, v30
	v_lshlrev_b32_e32 v31, 26, v67
	v_mov_b32_e32 v30, v29
	v_cmp_gt_i64_e32 vcc, 0, v[30:31]
	v_not_b32_e32 v30, v31
	v_ashrrev_i32_e32 v30, 31, v30
	v_xor_b32_e32 v31, vcc_hi, v30
	v_xor_b32_e32 v30, vcc_lo, v30
	v_and_b32_e32 v28, v28, v31
	v_and_b32_e32 v70, v70, v30
	v_lshlrev_b32_e32 v31, 25, v67
	v_mov_b32_e32 v30, v29
	v_cmp_gt_i64_e32 vcc, 0, v[30:31]
	v_not_b32_e32 v30, v31
	v_ashrrev_i32_e32 v30, 31, v30
	v_xor_b32_e32 v31, vcc_hi, v30
	v_xor_b32_e32 v30, vcc_lo, v30
	v_and_b32_e32 v28, v28, v31
	v_lshlrev_b32_e32 v31, 24, v67
	v_and_b32_e32 v70, v70, v30
	v_mov_b32_e32 v30, v29
	v_not_b32_e32 v29, v31
	v_cmp_gt_i64_e32 vcc, 0, v[30:31]
	v_ashrrev_i32_e32 v29, 31, v29
	ds_read_b32 v45, v68 offset:32
	v_xor_b32_e32 v30, vcc_hi, v29
	v_xor_b32_e32 v31, vcc_lo, v29
	v_and_b32_e32 v29, v28, v30
	v_and_b32_e32 v28, v70, v31
	v_mbcnt_lo_u32_b32 v30, v28, 0
	v_mbcnt_hi_u32_b32 v67, v29, v30
	v_cmp_eq_u32_e32 vcc, 0, v67
	v_cmp_ne_u64_e64 s[6:7], 0, v[28:29]
	v_add_u32_e32 v69, 32, v33
	s_and_b64 s[8:9], s[6:7], vcc
	; wave barrier
	s_and_saveexec_b64 s[6:7], s[8:9]
	s_cbranch_execz .LBB875_53
; %bb.52:
	v_bcnt_u32_b32 v28, v28, 0
	v_bcnt_u32_b32 v28, v29, v28
	s_waitcnt lgkmcnt(0)
	v_add_u32_e32 v28, v45, v28
	ds_write_b32 v68, v28 offset:32
.LBB875_53:
	s_or_b64 exec, exec, s[6:7]
	; wave barrier
	s_waitcnt lgkmcnt(0)
	s_barrier
	ds_read2_b32 v[30:31], v33 offset0:8 offset1:9
	ds_read2_b32 v[28:29], v69 offset0:2 offset1:3
	ds_read_b32 v70, v69 offset:16
	v_min_u32_e32 v32, 0x1c0, v32
	v_or_b32_e32 v32, 63, v32
	s_waitcnt lgkmcnt(1)
	v_add3_u32 v71, v31, v30, v28
	s_waitcnt lgkmcnt(0)
	v_add3_u32 v70, v71, v29, v70
	v_and_b32_e32 v71, 15, v3
	v_cmp_ne_u32_e32 vcc, 0, v71
	v_mov_b32_dpp v72, v70 row_shr:1 row_mask:0xf bank_mask:0xf
	s_nop 0
	v_cndmask_b32_e32 v72, 0, v72, vcc
	v_add_u32_e32 v70, v72, v70
	v_cmp_lt_u32_e32 vcc, 1, v71
	s_nop 0
	v_mov_b32_dpp v72, v70 row_shr:2 row_mask:0xf bank_mask:0xf
	v_cndmask_b32_e32 v72, 0, v72, vcc
	v_add_u32_e32 v70, v70, v72
	v_cmp_lt_u32_e32 vcc, 3, v71
	s_nop 0
	v_mov_b32_dpp v72, v70 row_shr:4 row_mask:0xf bank_mask:0xf
	;; [unrolled: 5-line block ×3, first 2 shown]
	v_cndmask_b32_e32 v71, 0, v72, vcc
	v_add_u32_e32 v70, v70, v71
	v_bfe_i32 v72, v3, 4, 1
	v_cmp_lt_u32_e32 vcc, 31, v3
	v_mov_b32_dpp v71, v70 row_bcast:15 row_mask:0xf bank_mask:0xf
	v_and_b32_e32 v71, v72, v71
	v_add_u32_e32 v70, v70, v71
	s_nop 1
	v_mov_b32_dpp v71, v70 row_bcast:31 row_mask:0xf bank_mask:0xf
	v_cndmask_b32_e32 v71, 0, v71, vcc
	v_add_u32_e32 v70, v70, v71
	v_lshrrev_b32_e32 v71, 6, v2
	v_cmp_eq_u32_e32 vcc, v32, v2
	s_and_saveexec_b64 s[6:7], vcc
	s_cbranch_execz .LBB875_55
; %bb.54:
	v_lshlrev_b32_e32 v32, 2, v71
	ds_write_b32 v32, v70
.LBB875_55:
	s_or_b64 exec, exec, s[6:7]
	v_cmp_gt_u32_e32 vcc, 8, v2
	s_waitcnt lgkmcnt(0)
	s_barrier
	s_and_saveexec_b64 s[6:7], vcc
	s_cbranch_execz .LBB875_57
; %bb.56:
	v_lshlrev_b32_e32 v32, 2, v2
	ds_read_b32 v72, v32
	v_and_b32_e32 v73, 7, v3
	v_cmp_ne_u32_e32 vcc, 0, v73
	s_waitcnt lgkmcnt(0)
	v_mov_b32_dpp v74, v72 row_shr:1 row_mask:0xf bank_mask:0xf
	v_cndmask_b32_e32 v74, 0, v74, vcc
	v_add_u32_e32 v72, v74, v72
	v_cmp_lt_u32_e32 vcc, 1, v73
	s_nop 0
	v_mov_b32_dpp v74, v72 row_shr:2 row_mask:0xf bank_mask:0xf
	v_cndmask_b32_e32 v74, 0, v74, vcc
	v_add_u32_e32 v72, v72, v74
	v_cmp_lt_u32_e32 vcc, 3, v73
	s_nop 0
	v_mov_b32_dpp v74, v72 row_shr:4 row_mask:0xf bank_mask:0xf
	v_cndmask_b32_e32 v73, 0, v74, vcc
	v_add_u32_e32 v72, v72, v73
	ds_write_b32 v32, v72
.LBB875_57:
	s_or_b64 exec, exec, s[6:7]
	v_cmp_lt_u32_e32 vcc, 63, v2
	v_mov_b32_e32 v32, 0
	s_waitcnt lgkmcnt(0)
	s_barrier
	s_and_saveexec_b64 s[6:7], vcc
	s_cbranch_execz .LBB875_59
; %bb.58:
	v_lshl_add_u32 v32, v71, 2, -4
	ds_read_b32 v32, v32
.LBB875_59:
	s_or_b64 exec, exec, s[6:7]
	v_add_u32_e32 v71, -1, v3
	v_and_b32_e32 v72, 64, v3
	v_cmp_lt_i32_e32 vcc, v71, v72
	s_waitcnt lgkmcnt(0)
	v_add_u32_e32 v70, v32, v70
	s_movk_i32 s6, 0x100
	v_cndmask_b32_e32 v71, v71, v3, vcc
	v_lshlrev_b32_e32 v71, 2, v71
	ds_bpermute_b32 v70, v71, v70
	v_cmp_eq_u32_e32 vcc, 0, v3
	s_waitcnt lgkmcnt(0)
	s_nop 0
	v_cndmask_b32_e32 v3, v70, v32, vcc
	v_cndmask_b32_e64 v3, v3, 0, s[4:5]
	v_add_u32_e32 v30, v3, v30
	v_add_u32_e32 v31, v30, v31
	v_add_u32_e32 v28, v31, v28
	v_add_u32_e32 v29, v28, v29
	ds_write2_b32 v33, v3, v30 offset0:8 offset1:9
	ds_write2_b32 v69, v31, v28 offset0:2 offset1:3
	ds_write_b32 v69, v29 offset:16
	s_waitcnt lgkmcnt(0)
	s_barrier
	ds_read_b32 v75, v38 offset:32
	ds_read_b32 v69, v40 offset:32
	;; [unrolled: 1-line block ×12, first 2 shown]
	v_cmp_gt_u32_e32 vcc, s6, v2
                                        ; implicit-def: $vgpr3
                                        ; implicit-def: $vgpr38
	s_and_saveexec_b64 s[8:9], vcc
	s_cbranch_execz .LBB875_63
; %bb.60:
	v_mul_u32_u24_e32 v3, 9, v2
	v_lshlrev_b32_e32 v29, 2, v3
	ds_read_b32 v3, v29 offset:32
	s_movk_i32 s6, 0xff
	v_cmp_ne_u32_e64 s[6:7], s6, v2
	v_mov_b32_e32 v28, 0x1800
	s_and_saveexec_b64 s[10:11], s[6:7]
	s_cbranch_execz .LBB875_62
; %bb.61:
	ds_read_b32 v28, v29 offset:68
.LBB875_62:
	s_or_b64 exec, exec, s[10:11]
	s_waitcnt lgkmcnt(0)
	v_sub_u32_e32 v38, v28, v3
.LBB875_63:
	s_or_b64 exec, exec, s[8:9]
	s_waitcnt lgkmcnt(0)
	s_barrier
	s_and_saveexec_b64 s[8:9], vcc
	s_cbranch_execz .LBB875_73
; %bb.64:
	v_lshl_or_b32 v30, s27, 8, v2
	v_mov_b32_e32 v31, 0
	v_lshl_add_u64 v[28:29], v[30:31], 2, s[18:19]
	v_or_b32_e32 v30, 2.0, v38
	s_mov_b64 s[10:11], 0
	s_brev_b32 s16, 1
	s_mov_b32 s17, s27
	v_mov_b32_e32 v49, 0
	global_store_dword v[28:29], v30, off sc1
                                        ; implicit-def: $sgpr6_sgpr7
	s_branch .LBB875_66
.LBB875_65:                             ;   in Loop: Header=BB875_66 Depth=1
	s_or_b64 exec, exec, s[12:13]
	v_and_b32_e32 v32, 0x3fffffff, v55
	v_add_u32_e32 v49, v32, v49
	v_cmp_eq_u32_e64 s[6:7], s16, v30
	s_and_b64 s[12:13], exec, s[6:7]
	s_or_b64 s[10:11], s[12:13], s[10:11]
	s_andn2_b64 exec, exec, s[10:11]
	s_cbranch_execz .LBB875_72
.LBB875_66:                             ; =>This Loop Header: Depth=1
                                        ;     Child Loop BB875_69 Depth 2
	s_or_b64 s[6:7], s[6:7], exec
	s_cmp_eq_u32 s17, 0
	s_cbranch_scc1 .LBB875_71
; %bb.67:                               ;   in Loop: Header=BB875_66 Depth=1
	s_add_i32 s17, s17, -1
	v_lshl_or_b32 v30, s17, 8, v2
	v_lshl_add_u64 v[32:33], v[30:31], 2, s[18:19]
	global_load_dword v55, v[32:33], off sc1
	s_waitcnt vmcnt(0)
	v_and_b32_e32 v30, -2.0, v55
	v_cmp_eq_u32_e64 s[6:7], 0, v30
	s_and_saveexec_b64 s[12:13], s[6:7]
	s_cbranch_execz .LBB875_65
; %bb.68:                               ;   in Loop: Header=BB875_66 Depth=1
	s_mov_b64 s[14:15], 0
.LBB875_69:                             ;   Parent Loop BB875_66 Depth=1
                                        ; =>  This Inner Loop Header: Depth=2
	global_load_dword v55, v[32:33], off sc1
	s_waitcnt vmcnt(0)
	v_and_b32_e32 v30, -2.0, v55
	v_cmp_ne_u32_e64 s[6:7], 0, v30
	s_or_b64 s[14:15], s[6:7], s[14:15]
	s_andn2_b64 exec, exec, s[14:15]
	s_cbranch_execnz .LBB875_69
; %bb.70:                               ;   in Loop: Header=BB875_66 Depth=1
	s_or_b64 exec, exec, s[14:15]
	s_branch .LBB875_65
.LBB875_71:                             ;   in Loop: Header=BB875_66 Depth=1
                                        ; implicit-def: $sgpr17
	s_and_b64 s[12:13], exec, s[6:7]
	s_or_b64 s[10:11], s[12:13], s[10:11]
	s_andn2_b64 exec, exec, s[10:11]
	s_cbranch_execnz .LBB875_66
.LBB875_72:
	s_or_b64 exec, exec, s[10:11]
	v_add_u32_e32 v30, v49, v38
	v_or_b32_e32 v30, 0x80000000, v30
	global_store_dword v[28:29], v30, off sc1
	v_lshlrev_b32_e32 v28, 2, v2
	global_load_dword v29, v28, s[20:21]
	v_sub_u32_e32 v30, v49, v3
	s_waitcnt vmcnt(0)
	v_add_u32_e32 v29, v30, v29
	ds_write_b32 v28, v29
.LBB875_73:
	s_or_b64 exec, exec, s[8:9]
	v_add_u32_e32 v30, v75, v35
	v_add3_u32 v28, v36, v34, v69
	v_add3_u32 v29, v39, v37, v70
	;; [unrolled: 1-line block ×11, first 2 shown]
	v_lshlrev_b32_e32 v31, 3, v2
	v_mov_b32_e32 v77, 0x400
	s_movk_i32 s10, 0x400
	v_add_u32_e32 v32, 0x400, v31
	v_lshl_add_u32 v33, v33, 3, v77
	v_add3_u32 v35, v67, v40, v45
	v_lshl_add_u32 v40, v76, 3, v77
	v_add3_u32 v42, v65, v42, v63
	;; [unrolled: 2-line block ×11, first 2 shown]
	v_lshl_add_u32 v36, v30, 3, v77
	s_mov_b32 s11, 0
	v_mov_b32_e32 v29, 0
	s_movk_i32 s12, 0x200
	v_mov_b32_e32 v57, v2
	s_mov_b32 s13, 0
	s_branch .LBB875_75
.LBB875_74:                             ;   in Loop: Header=BB875_75 Depth=1
	s_or_b64 exec, exec, s[8:9]
	s_addk_i32 s13, 0xe000
	s_addk_i32 s11, 0xfc00
	s_cmp_eq_u32 s13, 0xffff4000
	v_add_u32_e32 v57, 0x400, v57
	s_barrier
	s_cbranch_scc1 .LBB875_104
.LBB875_75:                             ; =>This Inner Loop Header: Depth=1
	v_add_u32_e32 v28, s11, v30
	v_cmp_gt_u32_e64 s[6:7], s10, v28
	s_and_saveexec_b64 s[8:9], s[6:7]
	s_cbranch_execz .LBB875_77
; %bb.76:                               ;   in Loop: Header=BB875_75 Depth=1
	v_add_u32_e32 v28, s13, v36
	ds_write_b64 v28, v[6:7]
.LBB875_77:                             ;   in Loop: Header=BB875_75 Depth=1
	s_or_b64 exec, exec, s[8:9]
	v_add_u32_e32 v28, s11, v34
	v_cmp_gt_u32_e64 s[6:7], s10, v28
	s_and_saveexec_b64 s[8:9], s[6:7]
	s_cbranch_execz .LBB875_79
; %bb.78:                               ;   in Loop: Header=BB875_75 Depth=1
	v_add_u32_e32 v28, s13, v39
	ds_write_b64 v28, v[4:5]
.LBB875_79:                             ;   in Loop: Header=BB875_75 Depth=1
	s_or_b64 exec, exec, s[8:9]
	;; [unrolled: 9-line block ×12, first 2 shown]
	v_cmp_gt_u32_e64 s[6:7], s3, v57
	s_waitcnt lgkmcnt(0)
	s_barrier
	s_and_saveexec_b64 s[8:9], s[6:7]
	s_cbranch_execz .LBB875_101
; %bb.100:                              ;   in Loop: Header=BB875_75 Depth=1
	ds_read_b64 v[58:59], v31 offset:1024
	s_waitcnt lgkmcnt(0)
	v_lshrrev_b64 v[60:61], s24, v[58:59]
	v_and_b32_e32 v28, s33, v60
	v_lshlrev_b32_e32 v28, 2, v28
	ds_read_b32 v28, v28
	s_waitcnt lgkmcnt(0)
	v_add_u32_e32 v28, v57, v28
	v_lshl_add_u64 v[60:61], v[28:29], 3, s[30:31]
	global_store_dwordx2 v[60:61], v[58:59], off
.LBB875_101:                            ;   in Loop: Header=BB875_75 Depth=1
	s_or_b64 exec, exec, s[8:9]
	v_add_u32_e32 v28, 0x200, v57
	v_cmp_gt_u32_e64 s[6:7], s3, v28
	s_and_saveexec_b64 s[8:9], s[6:7]
	s_cbranch_execz .LBB875_74
; %bb.102:                              ;   in Loop: Header=BB875_75 Depth=1
	ds_read_b64 v[58:59], v32 offset:4096
	s_waitcnt lgkmcnt(0)
	v_lshrrev_b64 v[60:61], s24, v[58:59]
	v_and_b32_e32 v28, s33, v60
	v_lshlrev_b32_e32 v28, 2, v28
	ds_read_b32 v28, v28
	s_waitcnt lgkmcnt(0)
	v_add3_u32 v28, v57, v28, s12
	v_lshl_add_u64 v[60:61], v[28:29], 3, s[30:31]
	global_store_dwordx2 v[60:61], v[58:59], off
	s_branch .LBB875_74
.LBB875_103:
	s_mov_b64 s[8:9], 0
                                        ; implicit-def: $vgpr4
	s_cbranch_execnz .LBB875_107
	s_branch .LBB875_180
.LBB875_104:
	s_add_i32 s26, s26, -1
	s_cmp_eq_u32 s26, s27
	s_cselect_b64 s[6:7], -1, 0
	s_and_b64 s[10:11], vcc, s[6:7]
	s_mov_b64 s[6:7], 0
	s_mov_b64 s[8:9], 0
                                        ; implicit-def: $vgpr4
	s_and_saveexec_b64 s[12:13], s[10:11]
	s_xor_b64 s[10:11], exec, s[12:13]
; %bb.105:
	s_mov_b64 s[8:9], exec
	v_add_u32_e32 v4, v3, v38
; %bb.106:
	s_or_b64 exec, exec, s[10:11]
	s_and_b64 vcc, exec, s[6:7]
	s_cbranch_vccz .LBB875_180
.LBB875_107:
	s_mov_b32 s35, 0
	s_lshl_b64 s[6:7], s[34:35], 3
	v_mbcnt_hi_u32_b32 v3, -1, v1
	s_add_u32 s6, s28, s6
	v_and_b32_e32 v1, 63, v3
	v_and_b32_e32 v31, 0x3c0, v2
	s_addc_u32 s7, s29, s7
	v_mov_b32_e32 v27, 0
	v_mul_u32_u24_e32 v6, 12, v31
	v_lshlrev_b32_e32 v26, 3, v1
	v_lshl_add_u64 v[4:5], s[6:7], 0, v[26:27]
	v_lshlrev_b32_e32 v26, 3, v6
	v_lshl_add_u64 v[18:19], v[4:5], 0, v[26:27]
	global_load_dwordx2 v[4:5], v[18:19], off
	s_load_dword s3, s[0:1], 0x64
	s_load_dword s12, s[0:1], 0x58
	s_add_u32 s0, s0, 0x58
	s_addc_u32 s1, s1, 0
	v_bfe_u32 v20, v0, 10, 10
	s_waitcnt lgkmcnt(0)
	s_lshr_b32 s3, s3, 16
	s_cmp_lt_u32 s2, s12
	s_cselect_b32 s2, 12, 18
	s_add_u32 s0, s0, s2
	s_addc_u32 s1, s1, 0
	global_load_ushort v38, v27, s[0:1]
	v_bfe_u32 v21, v0, 20, 10
	v_mul_u32_u24_e32 v0, 5, v2
	v_lshlrev_b32_e32 v30, 2, v0
	ds_write2_b32 v30, v27, v27 offset0:8 offset1:9
	ds_write2_b32 v30, v27, v27 offset0:10 offset1:11
	ds_write_b32 v30, v27 offset:48
	s_movk_i32 s0, 0x1000
	global_load_dwordx2 v[0:1], v[18:19], off offset:512
	global_load_dwordx2 v[6:7], v[18:19], off offset:1024
	;; [unrolled: 1-line block ×7, first 2 shown]
	v_add_co_u32_e32 v36, vcc, s0, v18
	v_mad_u32_u24 v40, v21, s3, v20
	s_nop 0
	v_addc_co_u32_e32 v37, vcc, 0, v19, vcc
	global_load_dwordx2 v[18:19], v[36:37], off
	global_load_dwordx2 v[20:21], v[36:37], off offset:512
	global_load_dwordx2 v[22:23], v[36:37], off offset:1024
	;; [unrolled: 1-line block ×3, first 2 shown]
	s_lshl_b32 s0, -1, s25
	s_not_b32 s13, s0
	v_mov_b32_e32 v28, v27
	v_mov_b32_e32 v32, v27
	;; [unrolled: 1-line block ×3, first 2 shown]
	s_waitcnt lgkmcnt(0)
	s_barrier
	s_waitcnt lgkmcnt(0)
	; wave barrier
	s_waitcnt vmcnt(12)
	v_lshrrev_b64 v[36:37], s24, v[4:5]
	v_and_b32_e32 v41, s13, v36
	v_and_b32_e32 v26, 1, v41
	v_lshlrev_b32_e32 v29, 30, v41
	v_lshlrev_b32_e32 v33, 29, v41
	;; [unrolled: 1-line block ×3, first 2 shown]
	v_lshl_add_u64 v[36:37], v[26:27], 0, -1
	v_cmp_ne_u32_e32 vcc, 0, v26
	v_cmp_gt_i64_e64 s[0:1], 0, v[28:29]
	v_not_b32_e32 v26, v29
	s_waitcnt vmcnt(11)
	v_mad_u64_u32 v[28:29], s[10:11], v40, v38, v[2:3]
	v_cmp_gt_i64_e64 s[2:3], 0, v[32:33]
	v_not_b32_e32 v32, v33
	v_cmp_gt_i64_e64 s[6:7], 0, v[34:35]
	v_xor_b32_e32 v29, vcc_hi, v37
	v_xor_b32_e32 v34, vcc_lo, v36
	v_ashrrev_i32_e32 v26, 31, v26
	v_lshlrev_b32_e32 v39, 27, v41
	v_not_b32_e32 v33, v35
	v_ashrrev_i32_e32 v32, 31, v32
	v_lshrrev_b32_e32 v43, 6, v28
	v_and_b32_e32 v28, exec_hi, v29
	v_and_b32_e32 v29, exec_lo, v34
	v_xor_b32_e32 v34, s1, v26
	v_xor_b32_e32 v26, s0, v26
	v_ashrrev_i32_e32 v33, 31, v33
	v_xor_b32_e32 v35, s3, v32
	v_xor_b32_e32 v32, s2, v32
	v_and_b32_e32 v28, v28, v34
	v_and_b32_e32 v26, v29, v26
	v_mov_b32_e32 v38, v27
	v_not_b32_e32 v29, v39
	v_xor_b32_e32 v37, s7, v33
	v_xor_b32_e32 v33, s6, v33
	v_and_b32_e32 v28, v28, v35
	v_and_b32_e32 v26, v26, v32
	v_cmp_gt_i64_e32 vcc, 0, v[38:39]
	v_ashrrev_i32_e32 v29, 31, v29
	v_and_b32_e32 v28, v28, v37
	v_and_b32_e32 v26, v26, v33
	v_xor_b32_e32 v32, vcc_hi, v29
	v_xor_b32_e32 v29, vcc_lo, v29
	v_and_b32_e32 v32, v28, v32
	v_and_b32_e32 v26, v26, v29
	v_lshlrev_b32_e32 v29, 26, v41
	v_mov_b32_e32 v28, v27
	v_cmp_gt_i64_e32 vcc, 0, v[28:29]
	v_not_b32_e32 v28, v29
	v_ashrrev_i32_e32 v28, 31, v28
	v_xor_b32_e32 v29, vcc_hi, v28
	v_xor_b32_e32 v28, vcc_lo, v28
	v_and_b32_e32 v32, v32, v29
	v_and_b32_e32 v26, v26, v28
	v_lshlrev_b32_e32 v29, 25, v41
	v_mov_b32_e32 v28, v27
	v_cmp_gt_i64_e32 vcc, 0, v[28:29]
	v_not_b32_e32 v28, v29
	v_ashrrev_i32_e32 v28, 31, v28
	;; [unrolled: 9-line block ×3, first 2 shown]
	v_xor_b32_e32 v29, vcc_hi, v28
	v_xor_b32_e32 v28, vcc_lo, v28
	v_and_b32_e32 v28, v26, v28
	v_and_b32_e32 v29, v32, v29
	v_mbcnt_lo_u32_b32 v26, v28, 0
	v_mbcnt_hi_u32_b32 v33, v29, v26
	v_lshl_add_u32 v42, v41, 3, v41
	v_cmp_eq_u32_e32 vcc, 0, v33
	v_cmp_ne_u64_e64 s[0:1], 0, v[28:29]
	v_add_lshl_u32 v36, v43, v42, 2
	s_and_b64 s[2:3], s[0:1], vcc
	s_and_saveexec_b64 s[0:1], s[2:3]
	s_cbranch_execz .LBB875_109
; %bb.108:
	v_bcnt_u32_b32 v26, v28, 0
	v_bcnt_u32_b32 v26, v29, v26
	ds_write_b32 v36, v26 offset:32
.LBB875_109:
	s_or_b64 exec, exec, s[0:1]
	s_waitcnt vmcnt(10)
	v_lshrrev_b64 v[28:29], s24, v[0:1]
	v_and_b32_e32 v34, s13, v28
	v_lshl_add_u32 v26, v34, 3, v34
	v_add_lshl_u32 v38, v43, v26, 2
	v_and_b32_e32 v26, 1, v34
	v_lshl_add_u64 v[28:29], v[26:27], 0, -1
	v_cmp_ne_u32_e32 vcc, 0, v26
	; wave barrier
	s_nop 1
	v_xor_b32_e32 v28, vcc_lo, v28
	v_xor_b32_e32 v26, vcc_hi, v29
	v_and_b32_e32 v35, exec_lo, v28
	v_lshlrev_b32_e32 v29, 30, v34
	v_mov_b32_e32 v28, v27
	v_cmp_gt_i64_e32 vcc, 0, v[28:29]
	v_not_b32_e32 v28, v29
	v_ashrrev_i32_e32 v28, 31, v28
	v_and_b32_e32 v26, exec_hi, v26
	v_xor_b32_e32 v29, vcc_hi, v28
	v_xor_b32_e32 v28, vcc_lo, v28
	v_and_b32_e32 v26, v26, v29
	v_and_b32_e32 v35, v35, v28
	v_lshlrev_b32_e32 v29, 29, v34
	v_mov_b32_e32 v28, v27
	v_cmp_gt_i64_e32 vcc, 0, v[28:29]
	v_not_b32_e32 v28, v29
	v_ashrrev_i32_e32 v28, 31, v28
	v_xor_b32_e32 v29, vcc_hi, v28
	v_xor_b32_e32 v28, vcc_lo, v28
	v_and_b32_e32 v26, v26, v29
	v_and_b32_e32 v35, v35, v28
	v_lshlrev_b32_e32 v29, 28, v34
	v_mov_b32_e32 v28, v27
	v_cmp_gt_i64_e32 vcc, 0, v[28:29]
	v_not_b32_e32 v28, v29
	v_ashrrev_i32_e32 v28, 31, v28
	;; [unrolled: 9-line block ×5, first 2 shown]
	v_xor_b32_e32 v29, vcc_hi, v28
	v_xor_b32_e32 v28, vcc_lo, v28
	v_and_b32_e32 v26, v26, v29
	v_lshlrev_b32_e32 v29, 24, v34
	v_and_b32_e32 v35, v35, v28
	v_mov_b32_e32 v28, v27
	v_not_b32_e32 v27, v29
	v_cmp_gt_i64_e32 vcc, 0, v[28:29]
	v_ashrrev_i32_e32 v27, 31, v27
	ds_read_b32 v32, v38 offset:32
	v_xor_b32_e32 v28, vcc_hi, v27
	v_xor_b32_e32 v29, vcc_lo, v27
	v_and_b32_e32 v27, v26, v28
	v_and_b32_e32 v26, v35, v29
	v_mbcnt_lo_u32_b32 v28, v26, 0
	v_mbcnt_hi_u32_b32 v34, v27, v28
	v_cmp_eq_u32_e32 vcc, 0, v34
	v_cmp_ne_u64_e64 s[0:1], 0, v[26:27]
	s_and_b64 s[2:3], s[0:1], vcc
	; wave barrier
	s_and_saveexec_b64 s[0:1], s[2:3]
	s_cbranch_execz .LBB875_111
; %bb.110:
	v_bcnt_u32_b32 v26, v26, 0
	v_bcnt_u32_b32 v26, v27, v26
	s_waitcnt lgkmcnt(0)
	v_add_u32_e32 v26, v32, v26
	ds_write_b32 v38, v26 offset:32
.LBB875_111:
	s_or_b64 exec, exec, s[0:1]
	s_waitcnt vmcnt(9)
	v_lshrrev_b64 v[26:27], s24, v[6:7]
	v_and_b32_e32 v37, s13, v26
	v_lshl_add_u32 v26, v37, 3, v37
	v_add_lshl_u32 v40, v43, v26, 2
	v_and_b32_e32 v26, 1, v37
	v_mov_b32_e32 v27, 0
	v_lshl_add_u64 v[28:29], v[26:27], 0, -1
	v_cmp_ne_u32_e32 vcc, 0, v26
	; wave barrier
	s_nop 1
	v_xor_b32_e32 v28, vcc_lo, v28
	v_xor_b32_e32 v26, vcc_hi, v29
	v_and_b32_e32 v39, exec_lo, v28
	v_lshlrev_b32_e32 v29, 30, v37
	v_mov_b32_e32 v28, v27
	v_cmp_gt_i64_e32 vcc, 0, v[28:29]
	v_not_b32_e32 v28, v29
	v_ashrrev_i32_e32 v28, 31, v28
	v_and_b32_e32 v26, exec_hi, v26
	v_xor_b32_e32 v29, vcc_hi, v28
	v_xor_b32_e32 v28, vcc_lo, v28
	v_and_b32_e32 v26, v26, v29
	v_and_b32_e32 v39, v39, v28
	v_lshlrev_b32_e32 v29, 29, v37
	v_mov_b32_e32 v28, v27
	v_cmp_gt_i64_e32 vcc, 0, v[28:29]
	v_not_b32_e32 v28, v29
	v_ashrrev_i32_e32 v28, 31, v28
	v_xor_b32_e32 v29, vcc_hi, v28
	v_xor_b32_e32 v28, vcc_lo, v28
	v_and_b32_e32 v26, v26, v29
	v_and_b32_e32 v39, v39, v28
	v_lshlrev_b32_e32 v29, 28, v37
	v_mov_b32_e32 v28, v27
	v_cmp_gt_i64_e32 vcc, 0, v[28:29]
	v_not_b32_e32 v28, v29
	v_ashrrev_i32_e32 v28, 31, v28
	;; [unrolled: 9-line block ×6, first 2 shown]
	v_xor_b32_e32 v29, vcc_hi, v28
	v_xor_b32_e32 v28, vcc_lo, v28
	ds_read_b32 v35, v40 offset:32
	v_and_b32_e32 v28, v39, v28
	v_and_b32_e32 v29, v26, v29
	v_mbcnt_lo_u32_b32 v26, v28, 0
	v_mbcnt_hi_u32_b32 v37, v29, v26
	v_cmp_eq_u32_e32 vcc, 0, v37
	v_cmp_ne_u64_e64 s[0:1], 0, v[28:29]
	s_and_b64 s[2:3], s[0:1], vcc
	; wave barrier
	s_and_saveexec_b64 s[0:1], s[2:3]
	s_cbranch_execz .LBB875_113
; %bb.112:
	v_bcnt_u32_b32 v26, v28, 0
	v_bcnt_u32_b32 v26, v29, v26
	s_waitcnt lgkmcnt(0)
	v_add_u32_e32 v26, v35, v26
	ds_write_b32 v40, v26 offset:32
.LBB875_113:
	s_or_b64 exec, exec, s[0:1]
	s_waitcnt vmcnt(8)
	v_lshrrev_b64 v[28:29], s24, v[8:9]
	v_and_b32_e32 v41, s13, v28
	v_lshl_add_u32 v26, v41, 3, v41
	v_add_lshl_u32 v44, v43, v26, 2
	v_and_b32_e32 v26, 1, v41
	v_lshl_add_u64 v[28:29], v[26:27], 0, -1
	v_cmp_ne_u32_e32 vcc, 0, v26
	; wave barrier
	s_nop 1
	v_xor_b32_e32 v28, vcc_lo, v28
	v_xor_b32_e32 v26, vcc_hi, v29
	v_and_b32_e32 v42, exec_lo, v28
	v_lshlrev_b32_e32 v29, 30, v41
	v_mov_b32_e32 v28, v27
	v_cmp_gt_i64_e32 vcc, 0, v[28:29]
	v_not_b32_e32 v28, v29
	v_ashrrev_i32_e32 v28, 31, v28
	v_and_b32_e32 v26, exec_hi, v26
	v_xor_b32_e32 v29, vcc_hi, v28
	v_xor_b32_e32 v28, vcc_lo, v28
	v_and_b32_e32 v26, v26, v29
	v_and_b32_e32 v42, v42, v28
	v_lshlrev_b32_e32 v29, 29, v41
	v_mov_b32_e32 v28, v27
	v_cmp_gt_i64_e32 vcc, 0, v[28:29]
	v_not_b32_e32 v28, v29
	v_ashrrev_i32_e32 v28, 31, v28
	v_xor_b32_e32 v29, vcc_hi, v28
	v_xor_b32_e32 v28, vcc_lo, v28
	v_and_b32_e32 v26, v26, v29
	v_and_b32_e32 v42, v42, v28
	v_lshlrev_b32_e32 v29, 28, v41
	v_mov_b32_e32 v28, v27
	v_cmp_gt_i64_e32 vcc, 0, v[28:29]
	v_not_b32_e32 v28, v29
	v_ashrrev_i32_e32 v28, 31, v28
	;; [unrolled: 9-line block ×5, first 2 shown]
	v_xor_b32_e32 v29, vcc_hi, v28
	v_xor_b32_e32 v28, vcc_lo, v28
	v_and_b32_e32 v26, v26, v29
	v_lshlrev_b32_e32 v29, 24, v41
	v_and_b32_e32 v42, v42, v28
	v_mov_b32_e32 v28, v27
	v_not_b32_e32 v27, v29
	v_cmp_gt_i64_e32 vcc, 0, v[28:29]
	v_ashrrev_i32_e32 v27, 31, v27
	ds_read_b32 v39, v44 offset:32
	v_xor_b32_e32 v28, vcc_hi, v27
	v_xor_b32_e32 v29, vcc_lo, v27
	v_and_b32_e32 v27, v26, v28
	v_and_b32_e32 v26, v42, v29
	v_mbcnt_lo_u32_b32 v28, v26, 0
	v_mbcnt_hi_u32_b32 v41, v27, v28
	v_cmp_eq_u32_e32 vcc, 0, v41
	v_cmp_ne_u64_e64 s[0:1], 0, v[26:27]
	s_and_b64 s[2:3], s[0:1], vcc
	; wave barrier
	s_and_saveexec_b64 s[0:1], s[2:3]
	s_cbranch_execz .LBB875_115
; %bb.114:
	v_bcnt_u32_b32 v26, v26, 0
	v_bcnt_u32_b32 v26, v27, v26
	s_waitcnt lgkmcnt(0)
	v_add_u32_e32 v26, v39, v26
	ds_write_b32 v44, v26 offset:32
.LBB875_115:
	s_or_b64 exec, exec, s[0:1]
	s_waitcnt vmcnt(7)
	v_lshrrev_b64 v[26:27], s24, v[10:11]
	v_and_b32_e32 v45, s13, v26
	v_lshl_add_u32 v26, v45, 3, v45
	v_add_lshl_u32 v47, v43, v26, 2
	v_and_b32_e32 v26, 1, v45
	v_mov_b32_e32 v27, 0
	v_lshl_add_u64 v[28:29], v[26:27], 0, -1
	v_cmp_ne_u32_e32 vcc, 0, v26
	; wave barrier
	s_nop 1
	v_xor_b32_e32 v28, vcc_lo, v28
	v_xor_b32_e32 v26, vcc_hi, v29
	v_and_b32_e32 v46, exec_lo, v28
	v_lshlrev_b32_e32 v29, 30, v45
	v_mov_b32_e32 v28, v27
	v_cmp_gt_i64_e32 vcc, 0, v[28:29]
	v_not_b32_e32 v28, v29
	v_ashrrev_i32_e32 v28, 31, v28
	v_and_b32_e32 v26, exec_hi, v26
	v_xor_b32_e32 v29, vcc_hi, v28
	v_xor_b32_e32 v28, vcc_lo, v28
	v_and_b32_e32 v26, v26, v29
	v_and_b32_e32 v46, v46, v28
	v_lshlrev_b32_e32 v29, 29, v45
	v_mov_b32_e32 v28, v27
	v_cmp_gt_i64_e32 vcc, 0, v[28:29]
	v_not_b32_e32 v28, v29
	v_ashrrev_i32_e32 v28, 31, v28
	v_xor_b32_e32 v29, vcc_hi, v28
	v_xor_b32_e32 v28, vcc_lo, v28
	v_and_b32_e32 v26, v26, v29
	v_and_b32_e32 v46, v46, v28
	v_lshlrev_b32_e32 v29, 28, v45
	v_mov_b32_e32 v28, v27
	v_cmp_gt_i64_e32 vcc, 0, v[28:29]
	v_not_b32_e32 v28, v29
	v_ashrrev_i32_e32 v28, 31, v28
	;; [unrolled: 9-line block ×6, first 2 shown]
	v_xor_b32_e32 v29, vcc_hi, v28
	v_xor_b32_e32 v28, vcc_lo, v28
	ds_read_b32 v42, v47 offset:32
	v_and_b32_e32 v28, v46, v28
	v_and_b32_e32 v29, v26, v29
	v_mbcnt_lo_u32_b32 v26, v28, 0
	v_mbcnt_hi_u32_b32 v45, v29, v26
	v_cmp_eq_u32_e32 vcc, 0, v45
	v_cmp_ne_u64_e64 s[0:1], 0, v[28:29]
	s_and_b64 s[2:3], s[0:1], vcc
	; wave barrier
	s_and_saveexec_b64 s[0:1], s[2:3]
	s_cbranch_execz .LBB875_117
; %bb.116:
	v_bcnt_u32_b32 v26, v28, 0
	v_bcnt_u32_b32 v26, v29, v26
	s_waitcnt lgkmcnt(0)
	v_add_u32_e32 v26, v42, v26
	ds_write_b32 v47, v26 offset:32
.LBB875_117:
	s_or_b64 exec, exec, s[0:1]
	s_waitcnt vmcnt(6)
	v_lshrrev_b64 v[28:29], s24, v[12:13]
	v_and_b32_e32 v48, s13, v28
	v_lshl_add_u32 v26, v48, 3, v48
	v_add_lshl_u32 v50, v43, v26, 2
	v_and_b32_e32 v26, 1, v48
	v_lshl_add_u64 v[28:29], v[26:27], 0, -1
	v_cmp_ne_u32_e32 vcc, 0, v26
	; wave barrier
	s_nop 1
	v_xor_b32_e32 v28, vcc_lo, v28
	v_xor_b32_e32 v26, vcc_hi, v29
	v_and_b32_e32 v49, exec_lo, v28
	v_lshlrev_b32_e32 v29, 30, v48
	v_mov_b32_e32 v28, v27
	v_cmp_gt_i64_e32 vcc, 0, v[28:29]
	v_not_b32_e32 v28, v29
	v_ashrrev_i32_e32 v28, 31, v28
	v_and_b32_e32 v26, exec_hi, v26
	v_xor_b32_e32 v29, vcc_hi, v28
	v_xor_b32_e32 v28, vcc_lo, v28
	v_and_b32_e32 v26, v26, v29
	v_and_b32_e32 v49, v49, v28
	v_lshlrev_b32_e32 v29, 29, v48
	v_mov_b32_e32 v28, v27
	v_cmp_gt_i64_e32 vcc, 0, v[28:29]
	v_not_b32_e32 v28, v29
	v_ashrrev_i32_e32 v28, 31, v28
	v_xor_b32_e32 v29, vcc_hi, v28
	v_xor_b32_e32 v28, vcc_lo, v28
	v_and_b32_e32 v26, v26, v29
	v_and_b32_e32 v49, v49, v28
	v_lshlrev_b32_e32 v29, 28, v48
	v_mov_b32_e32 v28, v27
	v_cmp_gt_i64_e32 vcc, 0, v[28:29]
	v_not_b32_e32 v28, v29
	v_ashrrev_i32_e32 v28, 31, v28
	;; [unrolled: 9-line block ×5, first 2 shown]
	v_xor_b32_e32 v29, vcc_hi, v28
	v_xor_b32_e32 v28, vcc_lo, v28
	v_and_b32_e32 v26, v26, v29
	v_lshlrev_b32_e32 v29, 24, v48
	v_and_b32_e32 v49, v49, v28
	v_mov_b32_e32 v28, v27
	v_not_b32_e32 v27, v29
	v_cmp_gt_i64_e32 vcc, 0, v[28:29]
	v_ashrrev_i32_e32 v27, 31, v27
	ds_read_b32 v46, v50 offset:32
	v_xor_b32_e32 v28, vcc_hi, v27
	v_xor_b32_e32 v29, vcc_lo, v27
	v_and_b32_e32 v27, v26, v28
	v_and_b32_e32 v26, v49, v29
	v_mbcnt_lo_u32_b32 v28, v26, 0
	v_mbcnt_hi_u32_b32 v48, v27, v28
	v_cmp_eq_u32_e32 vcc, 0, v48
	v_cmp_ne_u64_e64 s[0:1], 0, v[26:27]
	s_and_b64 s[2:3], s[0:1], vcc
	; wave barrier
	s_and_saveexec_b64 s[0:1], s[2:3]
	s_cbranch_execz .LBB875_119
; %bb.118:
	v_bcnt_u32_b32 v26, v26, 0
	v_bcnt_u32_b32 v26, v27, v26
	s_waitcnt lgkmcnt(0)
	v_add_u32_e32 v26, v46, v26
	ds_write_b32 v50, v26 offset:32
.LBB875_119:
	s_or_b64 exec, exec, s[0:1]
	s_waitcnt vmcnt(5)
	v_lshrrev_b64 v[26:27], s24, v[14:15]
	v_and_b32_e32 v51, s13, v26
	v_lshl_add_u32 v26, v51, 3, v51
	v_add_lshl_u32 v53, v43, v26, 2
	v_and_b32_e32 v26, 1, v51
	v_mov_b32_e32 v27, 0
	v_lshl_add_u64 v[28:29], v[26:27], 0, -1
	v_cmp_ne_u32_e32 vcc, 0, v26
	; wave barrier
	s_nop 1
	v_xor_b32_e32 v28, vcc_lo, v28
	v_xor_b32_e32 v26, vcc_hi, v29
	v_and_b32_e32 v52, exec_lo, v28
	v_lshlrev_b32_e32 v29, 30, v51
	v_mov_b32_e32 v28, v27
	v_cmp_gt_i64_e32 vcc, 0, v[28:29]
	v_not_b32_e32 v28, v29
	v_ashrrev_i32_e32 v28, 31, v28
	v_and_b32_e32 v26, exec_hi, v26
	v_xor_b32_e32 v29, vcc_hi, v28
	v_xor_b32_e32 v28, vcc_lo, v28
	v_and_b32_e32 v26, v26, v29
	v_and_b32_e32 v52, v52, v28
	v_lshlrev_b32_e32 v29, 29, v51
	v_mov_b32_e32 v28, v27
	v_cmp_gt_i64_e32 vcc, 0, v[28:29]
	v_not_b32_e32 v28, v29
	v_ashrrev_i32_e32 v28, 31, v28
	v_xor_b32_e32 v29, vcc_hi, v28
	v_xor_b32_e32 v28, vcc_lo, v28
	v_and_b32_e32 v26, v26, v29
	v_and_b32_e32 v52, v52, v28
	v_lshlrev_b32_e32 v29, 28, v51
	v_mov_b32_e32 v28, v27
	v_cmp_gt_i64_e32 vcc, 0, v[28:29]
	v_not_b32_e32 v28, v29
	v_ashrrev_i32_e32 v28, 31, v28
	;; [unrolled: 9-line block ×6, first 2 shown]
	v_xor_b32_e32 v29, vcc_hi, v28
	v_xor_b32_e32 v28, vcc_lo, v28
	ds_read_b32 v49, v53 offset:32
	v_and_b32_e32 v28, v52, v28
	v_and_b32_e32 v29, v26, v29
	v_mbcnt_lo_u32_b32 v26, v28, 0
	v_mbcnt_hi_u32_b32 v51, v29, v26
	v_cmp_eq_u32_e32 vcc, 0, v51
	v_cmp_ne_u64_e64 s[0:1], 0, v[28:29]
	s_and_b64 s[2:3], s[0:1], vcc
	; wave barrier
	s_and_saveexec_b64 s[0:1], s[2:3]
	s_cbranch_execz .LBB875_121
; %bb.120:
	v_bcnt_u32_b32 v26, v28, 0
	v_bcnt_u32_b32 v26, v29, v26
	s_waitcnt lgkmcnt(0)
	v_add_u32_e32 v26, v49, v26
	ds_write_b32 v53, v26 offset:32
.LBB875_121:
	s_or_b64 exec, exec, s[0:1]
	s_waitcnt vmcnt(4)
	v_lshrrev_b64 v[28:29], s24, v[16:17]
	v_and_b32_e32 v54, s13, v28
	v_lshl_add_u32 v26, v54, 3, v54
	v_add_lshl_u32 v56, v43, v26, 2
	v_and_b32_e32 v26, 1, v54
	v_lshl_add_u64 v[28:29], v[26:27], 0, -1
	v_cmp_ne_u32_e32 vcc, 0, v26
	; wave barrier
	s_nop 1
	v_xor_b32_e32 v28, vcc_lo, v28
	v_xor_b32_e32 v26, vcc_hi, v29
	v_and_b32_e32 v55, exec_lo, v28
	v_lshlrev_b32_e32 v29, 30, v54
	v_mov_b32_e32 v28, v27
	v_cmp_gt_i64_e32 vcc, 0, v[28:29]
	v_not_b32_e32 v28, v29
	v_ashrrev_i32_e32 v28, 31, v28
	v_and_b32_e32 v26, exec_hi, v26
	v_xor_b32_e32 v29, vcc_hi, v28
	v_xor_b32_e32 v28, vcc_lo, v28
	v_and_b32_e32 v26, v26, v29
	v_and_b32_e32 v55, v55, v28
	v_lshlrev_b32_e32 v29, 29, v54
	v_mov_b32_e32 v28, v27
	v_cmp_gt_i64_e32 vcc, 0, v[28:29]
	v_not_b32_e32 v28, v29
	v_ashrrev_i32_e32 v28, 31, v28
	v_xor_b32_e32 v29, vcc_hi, v28
	v_xor_b32_e32 v28, vcc_lo, v28
	v_and_b32_e32 v26, v26, v29
	v_and_b32_e32 v55, v55, v28
	v_lshlrev_b32_e32 v29, 28, v54
	v_mov_b32_e32 v28, v27
	v_cmp_gt_i64_e32 vcc, 0, v[28:29]
	v_not_b32_e32 v28, v29
	v_ashrrev_i32_e32 v28, 31, v28
	;; [unrolled: 9-line block ×5, first 2 shown]
	v_xor_b32_e32 v29, vcc_hi, v28
	v_xor_b32_e32 v28, vcc_lo, v28
	v_and_b32_e32 v26, v26, v29
	v_lshlrev_b32_e32 v29, 24, v54
	v_and_b32_e32 v55, v55, v28
	v_mov_b32_e32 v28, v27
	v_not_b32_e32 v27, v29
	v_cmp_gt_i64_e32 vcc, 0, v[28:29]
	v_ashrrev_i32_e32 v27, 31, v27
	ds_read_b32 v52, v56 offset:32
	v_xor_b32_e32 v28, vcc_hi, v27
	v_xor_b32_e32 v29, vcc_lo, v27
	v_and_b32_e32 v27, v26, v28
	v_and_b32_e32 v26, v55, v29
	v_mbcnt_lo_u32_b32 v28, v26, 0
	v_mbcnt_hi_u32_b32 v54, v27, v28
	v_cmp_eq_u32_e32 vcc, 0, v54
	v_cmp_ne_u64_e64 s[0:1], 0, v[26:27]
	s_and_b64 s[2:3], s[0:1], vcc
	; wave barrier
	s_and_saveexec_b64 s[0:1], s[2:3]
	s_cbranch_execz .LBB875_123
; %bb.122:
	v_bcnt_u32_b32 v26, v26, 0
	v_bcnt_u32_b32 v26, v27, v26
	s_waitcnt lgkmcnt(0)
	v_add_u32_e32 v26, v52, v26
	ds_write_b32 v56, v26 offset:32
.LBB875_123:
	s_or_b64 exec, exec, s[0:1]
	s_waitcnt vmcnt(3)
	v_lshrrev_b64 v[26:27], s24, v[18:19]
	v_and_b32_e32 v57, s13, v26
	v_lshl_add_u32 v26, v57, 3, v57
	v_add_lshl_u32 v59, v43, v26, 2
	v_and_b32_e32 v26, 1, v57
	v_mov_b32_e32 v27, 0
	v_lshl_add_u64 v[28:29], v[26:27], 0, -1
	v_cmp_ne_u32_e32 vcc, 0, v26
	; wave barrier
	s_nop 1
	v_xor_b32_e32 v28, vcc_lo, v28
	v_xor_b32_e32 v26, vcc_hi, v29
	v_and_b32_e32 v58, exec_lo, v28
	v_lshlrev_b32_e32 v29, 30, v57
	v_mov_b32_e32 v28, v27
	v_cmp_gt_i64_e32 vcc, 0, v[28:29]
	v_not_b32_e32 v28, v29
	v_ashrrev_i32_e32 v28, 31, v28
	v_and_b32_e32 v26, exec_hi, v26
	v_xor_b32_e32 v29, vcc_hi, v28
	v_xor_b32_e32 v28, vcc_lo, v28
	v_and_b32_e32 v26, v26, v29
	v_and_b32_e32 v58, v58, v28
	v_lshlrev_b32_e32 v29, 29, v57
	v_mov_b32_e32 v28, v27
	v_cmp_gt_i64_e32 vcc, 0, v[28:29]
	v_not_b32_e32 v28, v29
	v_ashrrev_i32_e32 v28, 31, v28
	v_xor_b32_e32 v29, vcc_hi, v28
	v_xor_b32_e32 v28, vcc_lo, v28
	v_and_b32_e32 v26, v26, v29
	v_and_b32_e32 v58, v58, v28
	v_lshlrev_b32_e32 v29, 28, v57
	v_mov_b32_e32 v28, v27
	v_cmp_gt_i64_e32 vcc, 0, v[28:29]
	v_not_b32_e32 v28, v29
	v_ashrrev_i32_e32 v28, 31, v28
	;; [unrolled: 9-line block ×6, first 2 shown]
	v_xor_b32_e32 v29, vcc_hi, v28
	v_xor_b32_e32 v28, vcc_lo, v28
	ds_read_b32 v55, v59 offset:32
	v_and_b32_e32 v28, v58, v28
	v_and_b32_e32 v29, v26, v29
	v_mbcnt_lo_u32_b32 v26, v28, 0
	v_mbcnt_hi_u32_b32 v57, v29, v26
	v_cmp_eq_u32_e32 vcc, 0, v57
	v_cmp_ne_u64_e64 s[0:1], 0, v[28:29]
	s_and_b64 s[2:3], s[0:1], vcc
	; wave barrier
	s_and_saveexec_b64 s[0:1], s[2:3]
	s_cbranch_execz .LBB875_125
; %bb.124:
	v_bcnt_u32_b32 v26, v28, 0
	v_bcnt_u32_b32 v26, v29, v26
	s_waitcnt lgkmcnt(0)
	v_add_u32_e32 v26, v55, v26
	ds_write_b32 v59, v26 offset:32
.LBB875_125:
	s_or_b64 exec, exec, s[0:1]
	s_waitcnt vmcnt(2)
	v_lshrrev_b64 v[28:29], s24, v[20:21]
	v_and_b32_e32 v60, s13, v28
	v_lshl_add_u32 v26, v60, 3, v60
	v_add_lshl_u32 v62, v43, v26, 2
	v_and_b32_e32 v26, 1, v60
	v_lshl_add_u64 v[28:29], v[26:27], 0, -1
	v_cmp_ne_u32_e32 vcc, 0, v26
	; wave barrier
	s_nop 1
	v_xor_b32_e32 v28, vcc_lo, v28
	v_xor_b32_e32 v26, vcc_hi, v29
	v_and_b32_e32 v61, exec_lo, v28
	v_lshlrev_b32_e32 v29, 30, v60
	v_mov_b32_e32 v28, v27
	v_cmp_gt_i64_e32 vcc, 0, v[28:29]
	v_not_b32_e32 v28, v29
	v_ashrrev_i32_e32 v28, 31, v28
	v_and_b32_e32 v26, exec_hi, v26
	v_xor_b32_e32 v29, vcc_hi, v28
	v_xor_b32_e32 v28, vcc_lo, v28
	v_and_b32_e32 v26, v26, v29
	v_and_b32_e32 v61, v61, v28
	v_lshlrev_b32_e32 v29, 29, v60
	v_mov_b32_e32 v28, v27
	v_cmp_gt_i64_e32 vcc, 0, v[28:29]
	v_not_b32_e32 v28, v29
	v_ashrrev_i32_e32 v28, 31, v28
	v_xor_b32_e32 v29, vcc_hi, v28
	v_xor_b32_e32 v28, vcc_lo, v28
	v_and_b32_e32 v26, v26, v29
	v_and_b32_e32 v61, v61, v28
	v_lshlrev_b32_e32 v29, 28, v60
	v_mov_b32_e32 v28, v27
	v_cmp_gt_i64_e32 vcc, 0, v[28:29]
	v_not_b32_e32 v28, v29
	v_ashrrev_i32_e32 v28, 31, v28
	;; [unrolled: 9-line block ×5, first 2 shown]
	v_xor_b32_e32 v29, vcc_hi, v28
	v_xor_b32_e32 v28, vcc_lo, v28
	v_and_b32_e32 v26, v26, v29
	v_lshlrev_b32_e32 v29, 24, v60
	v_and_b32_e32 v61, v61, v28
	v_mov_b32_e32 v28, v27
	v_not_b32_e32 v27, v29
	v_cmp_gt_i64_e32 vcc, 0, v[28:29]
	v_ashrrev_i32_e32 v27, 31, v27
	ds_read_b32 v58, v62 offset:32
	v_xor_b32_e32 v28, vcc_hi, v27
	v_xor_b32_e32 v29, vcc_lo, v27
	v_and_b32_e32 v27, v26, v28
	v_and_b32_e32 v26, v61, v29
	v_mbcnt_lo_u32_b32 v28, v26, 0
	v_mbcnt_hi_u32_b32 v60, v27, v28
	v_cmp_eq_u32_e32 vcc, 0, v60
	v_cmp_ne_u64_e64 s[0:1], 0, v[26:27]
	s_and_b64 s[2:3], s[0:1], vcc
	; wave barrier
	s_and_saveexec_b64 s[0:1], s[2:3]
	s_cbranch_execz .LBB875_127
; %bb.126:
	v_bcnt_u32_b32 v26, v26, 0
	v_bcnt_u32_b32 v26, v27, v26
	s_waitcnt lgkmcnt(0)
	v_add_u32_e32 v26, v58, v26
	ds_write_b32 v62, v26 offset:32
.LBB875_127:
	s_or_b64 exec, exec, s[0:1]
	s_waitcnt vmcnt(1)
	v_lshrrev_b64 v[26:27], s24, v[22:23]
	v_and_b32_e32 v63, s13, v26
	v_lshl_add_u32 v26, v63, 3, v63
	v_add_lshl_u32 v64, v43, v26, 2
	v_and_b32_e32 v26, 1, v63
	v_mov_b32_e32 v27, 0
	v_lshl_add_u64 v[28:29], v[26:27], 0, -1
	v_cmp_ne_u32_e32 vcc, 0, v26
	; wave barrier
	s_nop 1
	v_xor_b32_e32 v28, vcc_lo, v28
	v_xor_b32_e32 v26, vcc_hi, v29
	v_and_b32_e32 v65, exec_lo, v28
	v_lshlrev_b32_e32 v29, 30, v63
	v_mov_b32_e32 v28, v27
	v_cmp_gt_i64_e32 vcc, 0, v[28:29]
	v_not_b32_e32 v28, v29
	v_ashrrev_i32_e32 v28, 31, v28
	v_and_b32_e32 v26, exec_hi, v26
	v_xor_b32_e32 v29, vcc_hi, v28
	v_xor_b32_e32 v28, vcc_lo, v28
	v_and_b32_e32 v26, v26, v29
	v_and_b32_e32 v65, v65, v28
	v_lshlrev_b32_e32 v29, 29, v63
	v_mov_b32_e32 v28, v27
	v_cmp_gt_i64_e32 vcc, 0, v[28:29]
	v_not_b32_e32 v28, v29
	v_ashrrev_i32_e32 v28, 31, v28
	v_xor_b32_e32 v29, vcc_hi, v28
	v_xor_b32_e32 v28, vcc_lo, v28
	v_and_b32_e32 v26, v26, v29
	v_and_b32_e32 v65, v65, v28
	v_lshlrev_b32_e32 v29, 28, v63
	v_mov_b32_e32 v28, v27
	v_cmp_gt_i64_e32 vcc, 0, v[28:29]
	v_not_b32_e32 v28, v29
	v_ashrrev_i32_e32 v28, 31, v28
	;; [unrolled: 9-line block ×6, first 2 shown]
	v_xor_b32_e32 v29, vcc_hi, v28
	v_xor_b32_e32 v28, vcc_lo, v28
	ds_read_b32 v61, v64 offset:32
	v_and_b32_e32 v28, v65, v28
	v_and_b32_e32 v29, v26, v29
	v_mbcnt_lo_u32_b32 v26, v28, 0
	v_mbcnt_hi_u32_b32 v63, v29, v26
	v_cmp_eq_u32_e32 vcc, 0, v63
	v_cmp_ne_u64_e64 s[0:1], 0, v[28:29]
	s_and_b64 s[2:3], s[0:1], vcc
	; wave barrier
	s_and_saveexec_b64 s[0:1], s[2:3]
	s_cbranch_execz .LBB875_129
; %bb.128:
	v_bcnt_u32_b32 v26, v28, 0
	v_bcnt_u32_b32 v26, v29, v26
	s_waitcnt lgkmcnt(0)
	v_add_u32_e32 v26, v61, v26
	ds_write_b32 v64, v26 offset:32
.LBB875_129:
	s_or_b64 exec, exec, s[0:1]
	s_waitcnt vmcnt(0)
	v_lshrrev_b64 v[28:29], s24, v[24:25]
	v_and_b32_e32 v65, s13, v28
	v_lshl_add_u32 v26, v65, 3, v65
	v_add_lshl_u32 v66, v43, v26, 2
	v_and_b32_e32 v26, 1, v65
	v_lshl_add_u64 v[28:29], v[26:27], 0, -1
	v_cmp_ne_u32_e32 vcc, 0, v26
	; wave barrier
	s_nop 1
	v_xor_b32_e32 v28, vcc_lo, v28
	v_xor_b32_e32 v26, vcc_hi, v29
	v_and_b32_e32 v68, exec_lo, v28
	v_lshlrev_b32_e32 v29, 30, v65
	v_mov_b32_e32 v28, v27
	v_cmp_gt_i64_e32 vcc, 0, v[28:29]
	v_not_b32_e32 v28, v29
	v_ashrrev_i32_e32 v28, 31, v28
	v_and_b32_e32 v26, exec_hi, v26
	v_xor_b32_e32 v29, vcc_hi, v28
	v_xor_b32_e32 v28, vcc_lo, v28
	v_and_b32_e32 v26, v26, v29
	v_and_b32_e32 v68, v68, v28
	v_lshlrev_b32_e32 v29, 29, v65
	v_mov_b32_e32 v28, v27
	v_cmp_gt_i64_e32 vcc, 0, v[28:29]
	v_not_b32_e32 v28, v29
	v_ashrrev_i32_e32 v28, 31, v28
	v_xor_b32_e32 v29, vcc_hi, v28
	v_xor_b32_e32 v28, vcc_lo, v28
	v_and_b32_e32 v26, v26, v29
	v_and_b32_e32 v68, v68, v28
	v_lshlrev_b32_e32 v29, 28, v65
	v_mov_b32_e32 v28, v27
	v_cmp_gt_i64_e32 vcc, 0, v[28:29]
	v_not_b32_e32 v28, v29
	v_ashrrev_i32_e32 v28, 31, v28
	;; [unrolled: 9-line block ×5, first 2 shown]
	v_xor_b32_e32 v29, vcc_hi, v28
	v_xor_b32_e32 v28, vcc_lo, v28
	v_and_b32_e32 v26, v26, v29
	v_lshlrev_b32_e32 v29, 24, v65
	v_and_b32_e32 v68, v68, v28
	v_mov_b32_e32 v28, v27
	v_not_b32_e32 v27, v29
	v_cmp_gt_i64_e32 vcc, 0, v[28:29]
	v_ashrrev_i32_e32 v27, 31, v27
	ds_read_b32 v43, v66 offset:32
	v_xor_b32_e32 v28, vcc_hi, v27
	v_xor_b32_e32 v29, vcc_lo, v27
	v_and_b32_e32 v27, v26, v28
	v_and_b32_e32 v26, v68, v29
	v_mbcnt_lo_u32_b32 v28, v26, 0
	v_mbcnt_hi_u32_b32 v65, v27, v28
	v_cmp_eq_u32_e32 vcc, 0, v65
	v_cmp_ne_u64_e64 s[0:1], 0, v[26:27]
	v_add_u32_e32 v67, 32, v30
	s_and_b64 s[2:3], s[0:1], vcc
	; wave barrier
	s_and_saveexec_b64 s[0:1], s[2:3]
	s_cbranch_execz .LBB875_131
; %bb.130:
	v_bcnt_u32_b32 v26, v26, 0
	v_bcnt_u32_b32 v26, v27, v26
	s_waitcnt lgkmcnt(0)
	v_add_u32_e32 v26, v43, v26
	ds_write_b32 v66, v26 offset:32
.LBB875_131:
	s_or_b64 exec, exec, s[0:1]
	; wave barrier
	s_waitcnt lgkmcnt(0)
	s_barrier
	ds_read2_b32 v[28:29], v30 offset0:8 offset1:9
	ds_read2_b32 v[26:27], v67 offset0:2 offset1:3
	ds_read_b32 v68, v67 offset:16
	v_min_u32_e32 v31, 0x1c0, v31
	v_or_b32_e32 v31, 63, v31
	s_waitcnt lgkmcnt(1)
	v_add3_u32 v69, v29, v28, v26
	s_waitcnt lgkmcnt(0)
	v_add3_u32 v68, v69, v27, v68
	v_and_b32_e32 v69, 15, v3
	v_cmp_ne_u32_e32 vcc, 0, v69
	v_mov_b32_dpp v70, v68 row_shr:1 row_mask:0xf bank_mask:0xf
	s_nop 0
	v_cndmask_b32_e32 v70, 0, v70, vcc
	v_add_u32_e32 v68, v70, v68
	v_cmp_lt_u32_e32 vcc, 1, v69
	s_nop 0
	v_mov_b32_dpp v70, v68 row_shr:2 row_mask:0xf bank_mask:0xf
	v_cndmask_b32_e32 v70, 0, v70, vcc
	v_add_u32_e32 v68, v68, v70
	v_cmp_lt_u32_e32 vcc, 3, v69
	s_nop 0
	v_mov_b32_dpp v70, v68 row_shr:4 row_mask:0xf bank_mask:0xf
	;; [unrolled: 5-line block ×3, first 2 shown]
	v_cndmask_b32_e32 v69, 0, v70, vcc
	v_add_u32_e32 v68, v68, v69
	v_bfe_i32 v70, v3, 4, 1
	v_cmp_lt_u32_e32 vcc, 31, v3
	v_mov_b32_dpp v69, v68 row_bcast:15 row_mask:0xf bank_mask:0xf
	v_and_b32_e32 v69, v70, v69
	v_add_u32_e32 v68, v68, v69
	s_nop 1
	v_mov_b32_dpp v69, v68 row_bcast:31 row_mask:0xf bank_mask:0xf
	v_cndmask_b32_e32 v69, 0, v69, vcc
	v_add_u32_e32 v68, v68, v69
	v_lshrrev_b32_e32 v69, 6, v2
	v_cmp_eq_u32_e32 vcc, v31, v2
	s_and_saveexec_b64 s[0:1], vcc
	s_cbranch_execz .LBB875_133
; %bb.132:
	v_lshlrev_b32_e32 v31, 2, v69
	ds_write_b32 v31, v68
.LBB875_133:
	s_or_b64 exec, exec, s[0:1]
	v_cmp_gt_u32_e32 vcc, 8, v2
	s_waitcnt lgkmcnt(0)
	s_barrier
	s_and_saveexec_b64 s[0:1], vcc
	s_cbranch_execz .LBB875_135
; %bb.134:
	v_lshlrev_b32_e32 v31, 2, v2
	ds_read_b32 v70, v31
	v_and_b32_e32 v71, 7, v3
	v_cmp_ne_u32_e32 vcc, 0, v71
	s_waitcnt lgkmcnt(0)
	v_mov_b32_dpp v72, v70 row_shr:1 row_mask:0xf bank_mask:0xf
	v_cndmask_b32_e32 v72, 0, v72, vcc
	v_add_u32_e32 v70, v72, v70
	v_cmp_lt_u32_e32 vcc, 1, v71
	s_nop 0
	v_mov_b32_dpp v72, v70 row_shr:2 row_mask:0xf bank_mask:0xf
	v_cndmask_b32_e32 v72, 0, v72, vcc
	v_add_u32_e32 v70, v70, v72
	v_cmp_lt_u32_e32 vcc, 3, v71
	s_nop 0
	v_mov_b32_dpp v72, v70 row_shr:4 row_mask:0xf bank_mask:0xf
	v_cndmask_b32_e32 v71, 0, v72, vcc
	v_add_u32_e32 v70, v70, v71
	ds_write_b32 v31, v70
.LBB875_135:
	s_or_b64 exec, exec, s[0:1]
	v_cmp_lt_u32_e32 vcc, 63, v2
	v_mov_b32_e32 v31, 0
	s_waitcnt lgkmcnt(0)
	s_barrier
	s_and_saveexec_b64 s[0:1], vcc
	s_cbranch_execz .LBB875_137
; %bb.136:
	v_lshl_add_u32 v31, v69, 2, -4
	ds_read_b32 v31, v31
.LBB875_137:
	s_or_b64 exec, exec, s[0:1]
	v_add_u32_e32 v69, -1, v3
	v_and_b32_e32 v70, 64, v3
	v_cmp_lt_i32_e32 vcc, v69, v70
	s_waitcnt lgkmcnt(0)
	v_add_u32_e32 v68, v31, v68
	s_movk_i32 s0, 0x100
	v_cndmask_b32_e32 v69, v69, v3, vcc
	v_lshlrev_b32_e32 v69, 2, v69
	ds_bpermute_b32 v68, v69, v68
	v_cmp_eq_u32_e32 vcc, 0, v3
	s_waitcnt lgkmcnt(0)
	s_nop 0
	v_cndmask_b32_e32 v3, v68, v31, vcc
	v_cndmask_b32_e64 v3, v3, 0, s[4:5]
	v_add_u32_e32 v28, v3, v28
	v_add_u32_e32 v29, v28, v29
	;; [unrolled: 1-line block ×4, first 2 shown]
	ds_write2_b32 v30, v3, v28 offset0:8 offset1:9
	ds_write2_b32 v67, v29, v26 offset0:2 offset1:3
	ds_write_b32 v67, v27 offset:16
	s_waitcnt lgkmcnt(0)
	s_barrier
	ds_read_b32 v73, v36 offset:32
	ds_read_b32 v67, v38 offset:32
	;; [unrolled: 1-line block ×12, first 2 shown]
	v_cmp_gt_u32_e32 vcc, s0, v2
                                        ; implicit-def: $vgpr3
                                        ; implicit-def: $vgpr36
	s_and_saveexec_b64 s[2:3], vcc
	s_cbranch_execz .LBB875_141
; %bb.138:
	v_mul_u32_u24_e32 v3, 9, v2
	v_lshlrev_b32_e32 v27, 2, v3
	ds_read_b32 v3, v27 offset:32
	s_movk_i32 s0, 0xff
	v_cmp_ne_u32_e64 s[0:1], s0, v2
	v_mov_b32_e32 v26, 0x1800
	s_and_saveexec_b64 s[4:5], s[0:1]
	s_cbranch_execz .LBB875_140
; %bb.139:
	ds_read_b32 v26, v27 offset:68
.LBB875_140:
	s_or_b64 exec, exec, s[4:5]
	s_waitcnt lgkmcnt(0)
	v_sub_u32_e32 v36, v26, v3
.LBB875_141:
	s_or_b64 exec, exec, s[2:3]
	s_waitcnt lgkmcnt(0)
	s_barrier
	s_and_saveexec_b64 s[2:3], vcc
	s_cbranch_execz .LBB875_151
; %bb.142:
	v_lshl_or_b32 v28, s27, 8, v2
	v_mov_b32_e32 v29, 0
	v_lshl_add_u64 v[26:27], v[28:29], 2, s[18:19]
	v_or_b32_e32 v28, 2.0, v36
	s_mov_b64 s[4:5], 0
	s_brev_b32 s14, 1
	s_mov_b32 s15, s27
	v_mov_b32_e32 v47, 0
	global_store_dword v[26:27], v28, off sc1
                                        ; implicit-def: $sgpr0_sgpr1
	s_branch .LBB875_145
.LBB875_143:                            ;   in Loop: Header=BB875_145 Depth=1
	s_or_b64 exec, exec, s[10:11]
.LBB875_144:                            ;   in Loop: Header=BB875_145 Depth=1
	s_or_b64 exec, exec, s[6:7]
	v_and_b32_e32 v30, 0x3fffffff, v53
	v_add_u32_e32 v47, v30, v47
	v_cmp_eq_u32_e64 s[0:1], s14, v28
	s_and_b64 s[6:7], exec, s[0:1]
	s_or_b64 s[4:5], s[6:7], s[4:5]
	s_andn2_b64 exec, exec, s[4:5]
	s_cbranch_execz .LBB875_150
.LBB875_145:                            ; =>This Loop Header: Depth=1
                                        ;     Child Loop BB875_148 Depth 2
	s_or_b64 s[0:1], s[0:1], exec
	s_cmp_eq_u32 s15, 0
	s_cbranch_scc1 .LBB875_149
; %bb.146:                              ;   in Loop: Header=BB875_145 Depth=1
	s_add_i32 s15, s15, -1
	v_lshl_or_b32 v28, s15, 8, v2
	v_lshl_add_u64 v[30:31], v[28:29], 2, s[18:19]
	global_load_dword v53, v[30:31], off sc1
	s_waitcnt vmcnt(0)
	v_and_b32_e32 v28, -2.0, v53
	v_cmp_eq_u32_e64 s[0:1], 0, v28
	s_and_saveexec_b64 s[6:7], s[0:1]
	s_cbranch_execz .LBB875_144
; %bb.147:                              ;   in Loop: Header=BB875_145 Depth=1
	s_mov_b64 s[10:11], 0
.LBB875_148:                            ;   Parent Loop BB875_145 Depth=1
                                        ; =>  This Inner Loop Header: Depth=2
	global_load_dword v53, v[30:31], off sc1
	s_waitcnt vmcnt(0)
	v_and_b32_e32 v28, -2.0, v53
	v_cmp_ne_u32_e64 s[0:1], 0, v28
	s_or_b64 s[10:11], s[0:1], s[10:11]
	s_andn2_b64 exec, exec, s[10:11]
	s_cbranch_execnz .LBB875_148
	s_branch .LBB875_143
.LBB875_149:                            ;   in Loop: Header=BB875_145 Depth=1
                                        ; implicit-def: $sgpr15
	s_and_b64 s[6:7], exec, s[0:1]
	s_or_b64 s[4:5], s[6:7], s[4:5]
	s_andn2_b64 exec, exec, s[4:5]
	s_cbranch_execnz .LBB875_145
.LBB875_150:
	s_or_b64 exec, exec, s[4:5]
	v_add_u32_e32 v28, v47, v36
	v_or_b32_e32 v28, 0x80000000, v28
	global_store_dword v[26:27], v28, off sc1
	v_lshlrev_b32_e32 v26, 2, v2
	global_load_dword v27, v26, s[20:21]
	v_sub_u32_e32 v28, v47, v3
	s_waitcnt vmcnt(0)
	v_add_u32_e32 v27, v28, v27
	ds_write_b32 v26, v27
.LBB875_151:
	s_or_b64 exec, exec, s[2:3]
	v_add_u32_e32 v28, v73, v33
	v_add3_u32 v26, v34, v32, v67
	v_add3_u32 v27, v37, v35, v68
	;; [unrolled: 1-line block ×11, first 2 shown]
	v_lshlrev_b32_e32 v29, 3, v2
	v_mov_b32_e32 v75, 0x400
	s_movk_i32 s4, 0x400
	v_add_u32_e32 v30, 0x400, v29
	v_lshl_add_u32 v31, v31, 3, v75
	v_add3_u32 v33, v65, v38, v43
	v_lshl_add_u32 v38, v74, 3, v75
	v_add3_u32 v40, v63, v40, v61
	;; [unrolled: 2-line block ×11, first 2 shown]
	v_lshl_add_u32 v34, v28, 3, v75
	s_mov_b32 s5, 0
	s_movk_i32 s6, 0x200
	v_mov_b32_e32 v27, 0
	v_mov_b32_e32 v55, v2
	s_mov_b32 s7, 0
	s_branch .LBB875_153
.LBB875_152:                            ;   in Loop: Header=BB875_153 Depth=1
	s_or_b64 exec, exec, s[2:3]
	s_waitcnt lgkmcnt(0)
	s_barrier
	ds_read_b64 v[56:57], v29 offset:1024
	ds_read_b64 v[58:59], v30 offset:4096
	s_addk_i32 s7, 0xe000
	s_addk_i32 s5, 0xfc00
	s_cmp_eq_u32 s7, 0xffff4000
	s_waitcnt lgkmcnt(1)
	v_lshrrev_b64 v[60:61], s24, v[56:57]
	v_and_b32_e32 v26, s13, v60
	s_waitcnt lgkmcnt(0)
	v_lshrrev_b64 v[60:61], s24, v[58:59]
	v_lshlrev_b32_e32 v26, 2, v26
	v_and_b32_e32 v60, s13, v60
	ds_read_b32 v26, v26
	v_lshlrev_b32_e32 v60, 2, v60
	ds_read_b32 v62, v60
	s_waitcnt lgkmcnt(1)
	v_add_u32_e32 v26, v55, v26
	v_lshl_add_u64 v[60:61], v[26:27], 3, s[30:31]
	s_waitcnt lgkmcnt(0)
	v_add3_u32 v26, v55, v62, s6
	global_store_dwordx2 v[60:61], v[56:57], off
	v_lshl_add_u64 v[56:57], v[26:27], 3, s[30:31]
	v_add_u32_e32 v55, 0x400, v55
	global_store_dwordx2 v[56:57], v[58:59], off
	s_barrier
	s_cbranch_scc1 .LBB875_177
.LBB875_153:                            ; =>This Inner Loop Header: Depth=1
	v_add_u32_e32 v26, s5, v28
	v_cmp_gt_u32_e64 s[0:1], s4, v26
	s_and_saveexec_b64 s[2:3], s[0:1]
	s_cbranch_execz .LBB875_155
; %bb.154:                              ;   in Loop: Header=BB875_153 Depth=1
	v_add_u32_e32 v26, s7, v34
	ds_write_b64 v26, v[4:5]
.LBB875_155:                            ;   in Loop: Header=BB875_153 Depth=1
	s_or_b64 exec, exec, s[2:3]
	v_add_u32_e32 v26, s5, v32
	v_cmp_gt_u32_e64 s[0:1], s4, v26
	s_and_saveexec_b64 s[2:3], s[0:1]
	s_cbranch_execz .LBB875_157
; %bb.156:                              ;   in Loop: Header=BB875_153 Depth=1
	v_add_u32_e32 v26, s7, v37
	ds_write_b64 v26, v[0:1]
.LBB875_157:                            ;   in Loop: Header=BB875_153 Depth=1
	s_or_b64 exec, exec, s[2:3]
	;; [unrolled: 9-line block ×11, first 2 shown]
	v_add_u32_e32 v26, s5, v33
	v_cmp_gt_u32_e64 s[0:1], s4, v26
	s_and_saveexec_b64 s[2:3], s[0:1]
	s_cbranch_execz .LBB875_152
; %bb.176:                              ;   in Loop: Header=BB875_153 Depth=1
	v_add_u32_e32 v26, s7, v31
	ds_write_b64 v26, v[24:25]
	s_branch .LBB875_152
.LBB875_177:
	s_add_i32 s12, s12, -1
	s_cmp_eq_u32 s12, s27
	s_cselect_b64 s[0:1], -1, 0
	s_and_b64 s[2:3], vcc, s[0:1]
                                        ; implicit-def: $vgpr4
	s_and_saveexec_b64 s[0:1], s[2:3]
; %bb.178:
	v_add_u32_e32 v4, v3, v36
	s_or_b64 s[8:9], s[8:9], exec
; %bb.179:
	s_or_b64 exec, exec, s[0:1]
.LBB875_180:
	s_and_saveexec_b64 s[0:1], s[8:9]
	s_cbranch_execnz .LBB875_182
; %bb.181:
	s_endpgm
.LBB875_182:
	v_lshlrev_b32_e32 v0, 2, v2
	ds_read_b32 v1, v0
	s_waitcnt lgkmcnt(0)
	v_add_u32_e32 v1, v1, v4
	global_store_dword v0, v1, s[22:23]
	s_endpgm
	.section	.rodata,"a",@progbits
	.p2align	6, 0x0
	.amdhsa_kernel _ZN7rocprim17ROCPRIM_400000_NS6detail17trampoline_kernelINS0_14default_configENS1_35radix_sort_onesweep_config_selectorIyNS0_10empty_typeEEEZZNS1_29radix_sort_onesweep_iterationIS3_Lb0EN6thrust23THRUST_200600_302600_NS6detail15normal_iteratorINS9_10device_ptrIyEEEESE_PS5_SF_jNS0_19identity_decomposerENS1_16block_id_wrapperIjLb1EEEEE10hipError_tT1_PNSt15iterator_traitsISK_E10value_typeET2_T3_PNSL_ISQ_E10value_typeET4_T5_PSV_SW_PNS1_23onesweep_lookback_stateEbbT6_jjT7_P12ihipStream_tbENKUlT_T0_SK_SP_E_clISE_PySF_SF_EEDaS13_S14_SK_SP_EUlS13_E_NS1_11comp_targetILNS1_3genE5ELNS1_11target_archE942ELNS1_3gpuE9ELNS1_3repE0EEENS1_47radix_sort_onesweep_sort_config_static_selectorELNS0_4arch9wavefront6targetE1EEEvSK_
		.amdhsa_group_segment_fixed_size 10280
		.amdhsa_private_segment_fixed_size 0
		.amdhsa_kernarg_size 344
		.amdhsa_user_sgpr_count 2
		.amdhsa_user_sgpr_dispatch_ptr 0
		.amdhsa_user_sgpr_queue_ptr 0
		.amdhsa_user_sgpr_kernarg_segment_ptr 1
		.amdhsa_user_sgpr_dispatch_id 0
		.amdhsa_user_sgpr_kernarg_preload_length 0
		.amdhsa_user_sgpr_kernarg_preload_offset 0
		.amdhsa_user_sgpr_private_segment_size 0
		.amdhsa_uses_dynamic_stack 0
		.amdhsa_enable_private_segment 0
		.amdhsa_system_sgpr_workgroup_id_x 1
		.amdhsa_system_sgpr_workgroup_id_y 0
		.amdhsa_system_sgpr_workgroup_id_z 0
		.amdhsa_system_sgpr_workgroup_info 0
		.amdhsa_system_vgpr_workitem_id 2
		.amdhsa_next_free_vgpr 78
		.amdhsa_next_free_sgpr 36
		.amdhsa_accum_offset 80
		.amdhsa_reserve_vcc 1
		.amdhsa_float_round_mode_32 0
		.amdhsa_float_round_mode_16_64 0
		.amdhsa_float_denorm_mode_32 3
		.amdhsa_float_denorm_mode_16_64 3
		.amdhsa_dx10_clamp 1
		.amdhsa_ieee_mode 1
		.amdhsa_fp16_overflow 0
		.amdhsa_tg_split 0
		.amdhsa_exception_fp_ieee_invalid_op 0
		.amdhsa_exception_fp_denorm_src 0
		.amdhsa_exception_fp_ieee_div_zero 0
		.amdhsa_exception_fp_ieee_overflow 0
		.amdhsa_exception_fp_ieee_underflow 0
		.amdhsa_exception_fp_ieee_inexact 0
		.amdhsa_exception_int_div_zero 0
	.end_amdhsa_kernel
	.section	.text._ZN7rocprim17ROCPRIM_400000_NS6detail17trampoline_kernelINS0_14default_configENS1_35radix_sort_onesweep_config_selectorIyNS0_10empty_typeEEEZZNS1_29radix_sort_onesweep_iterationIS3_Lb0EN6thrust23THRUST_200600_302600_NS6detail15normal_iteratorINS9_10device_ptrIyEEEESE_PS5_SF_jNS0_19identity_decomposerENS1_16block_id_wrapperIjLb1EEEEE10hipError_tT1_PNSt15iterator_traitsISK_E10value_typeET2_T3_PNSL_ISQ_E10value_typeET4_T5_PSV_SW_PNS1_23onesweep_lookback_stateEbbT6_jjT7_P12ihipStream_tbENKUlT_T0_SK_SP_E_clISE_PySF_SF_EEDaS13_S14_SK_SP_EUlS13_E_NS1_11comp_targetILNS1_3genE5ELNS1_11target_archE942ELNS1_3gpuE9ELNS1_3repE0EEENS1_47radix_sort_onesweep_sort_config_static_selectorELNS0_4arch9wavefront6targetE1EEEvSK_,"axG",@progbits,_ZN7rocprim17ROCPRIM_400000_NS6detail17trampoline_kernelINS0_14default_configENS1_35radix_sort_onesweep_config_selectorIyNS0_10empty_typeEEEZZNS1_29radix_sort_onesweep_iterationIS3_Lb0EN6thrust23THRUST_200600_302600_NS6detail15normal_iteratorINS9_10device_ptrIyEEEESE_PS5_SF_jNS0_19identity_decomposerENS1_16block_id_wrapperIjLb1EEEEE10hipError_tT1_PNSt15iterator_traitsISK_E10value_typeET2_T3_PNSL_ISQ_E10value_typeET4_T5_PSV_SW_PNS1_23onesweep_lookback_stateEbbT6_jjT7_P12ihipStream_tbENKUlT_T0_SK_SP_E_clISE_PySF_SF_EEDaS13_S14_SK_SP_EUlS13_E_NS1_11comp_targetILNS1_3genE5ELNS1_11target_archE942ELNS1_3gpuE9ELNS1_3repE0EEENS1_47radix_sort_onesweep_sort_config_static_selectorELNS0_4arch9wavefront6targetE1EEEvSK_,comdat
.Lfunc_end875:
	.size	_ZN7rocprim17ROCPRIM_400000_NS6detail17trampoline_kernelINS0_14default_configENS1_35radix_sort_onesweep_config_selectorIyNS0_10empty_typeEEEZZNS1_29radix_sort_onesweep_iterationIS3_Lb0EN6thrust23THRUST_200600_302600_NS6detail15normal_iteratorINS9_10device_ptrIyEEEESE_PS5_SF_jNS0_19identity_decomposerENS1_16block_id_wrapperIjLb1EEEEE10hipError_tT1_PNSt15iterator_traitsISK_E10value_typeET2_T3_PNSL_ISQ_E10value_typeET4_T5_PSV_SW_PNS1_23onesweep_lookback_stateEbbT6_jjT7_P12ihipStream_tbENKUlT_T0_SK_SP_E_clISE_PySF_SF_EEDaS13_S14_SK_SP_EUlS13_E_NS1_11comp_targetILNS1_3genE5ELNS1_11target_archE942ELNS1_3gpuE9ELNS1_3repE0EEENS1_47radix_sort_onesweep_sort_config_static_selectorELNS0_4arch9wavefront6targetE1EEEvSK_, .Lfunc_end875-_ZN7rocprim17ROCPRIM_400000_NS6detail17trampoline_kernelINS0_14default_configENS1_35radix_sort_onesweep_config_selectorIyNS0_10empty_typeEEEZZNS1_29radix_sort_onesweep_iterationIS3_Lb0EN6thrust23THRUST_200600_302600_NS6detail15normal_iteratorINS9_10device_ptrIyEEEESE_PS5_SF_jNS0_19identity_decomposerENS1_16block_id_wrapperIjLb1EEEEE10hipError_tT1_PNSt15iterator_traitsISK_E10value_typeET2_T3_PNSL_ISQ_E10value_typeET4_T5_PSV_SW_PNS1_23onesweep_lookback_stateEbbT6_jjT7_P12ihipStream_tbENKUlT_T0_SK_SP_E_clISE_PySF_SF_EEDaS13_S14_SK_SP_EUlS13_E_NS1_11comp_targetILNS1_3genE5ELNS1_11target_archE942ELNS1_3gpuE9ELNS1_3repE0EEENS1_47radix_sort_onesweep_sort_config_static_selectorELNS0_4arch9wavefront6targetE1EEEvSK_
                                        ; -- End function
	.section	.AMDGPU.csdata,"",@progbits
; Kernel info:
; codeLenInByte = 14996
; NumSgprs: 42
; NumVgprs: 78
; NumAgprs: 0
; TotalNumVgprs: 78
; ScratchSize: 0
; MemoryBound: 0
; FloatMode: 240
; IeeeMode: 1
; LDSByteSize: 10280 bytes/workgroup (compile time only)
; SGPRBlocks: 5
; VGPRBlocks: 9
; NumSGPRsForWavesPerEU: 42
; NumVGPRsForWavesPerEU: 78
; AccumOffset: 80
; Occupancy: 6
; WaveLimiterHint : 1
; COMPUTE_PGM_RSRC2:SCRATCH_EN: 0
; COMPUTE_PGM_RSRC2:USER_SGPR: 2
; COMPUTE_PGM_RSRC2:TRAP_HANDLER: 0
; COMPUTE_PGM_RSRC2:TGID_X_EN: 1
; COMPUTE_PGM_RSRC2:TGID_Y_EN: 0
; COMPUTE_PGM_RSRC2:TGID_Z_EN: 0
; COMPUTE_PGM_RSRC2:TIDIG_COMP_CNT: 2
; COMPUTE_PGM_RSRC3_GFX90A:ACCUM_OFFSET: 19
; COMPUTE_PGM_RSRC3_GFX90A:TG_SPLIT: 0
	.section	.text._ZN7rocprim17ROCPRIM_400000_NS6detail17trampoline_kernelINS0_14default_configENS1_35radix_sort_onesweep_config_selectorIyNS0_10empty_typeEEEZZNS1_29radix_sort_onesweep_iterationIS3_Lb0EN6thrust23THRUST_200600_302600_NS6detail15normal_iteratorINS9_10device_ptrIyEEEESE_PS5_SF_jNS0_19identity_decomposerENS1_16block_id_wrapperIjLb1EEEEE10hipError_tT1_PNSt15iterator_traitsISK_E10value_typeET2_T3_PNSL_ISQ_E10value_typeET4_T5_PSV_SW_PNS1_23onesweep_lookback_stateEbbT6_jjT7_P12ihipStream_tbENKUlT_T0_SK_SP_E_clISE_PySF_SF_EEDaS13_S14_SK_SP_EUlS13_E_NS1_11comp_targetILNS1_3genE2ELNS1_11target_archE906ELNS1_3gpuE6ELNS1_3repE0EEENS1_47radix_sort_onesweep_sort_config_static_selectorELNS0_4arch9wavefront6targetE1EEEvSK_,"axG",@progbits,_ZN7rocprim17ROCPRIM_400000_NS6detail17trampoline_kernelINS0_14default_configENS1_35radix_sort_onesweep_config_selectorIyNS0_10empty_typeEEEZZNS1_29radix_sort_onesweep_iterationIS3_Lb0EN6thrust23THRUST_200600_302600_NS6detail15normal_iteratorINS9_10device_ptrIyEEEESE_PS5_SF_jNS0_19identity_decomposerENS1_16block_id_wrapperIjLb1EEEEE10hipError_tT1_PNSt15iterator_traitsISK_E10value_typeET2_T3_PNSL_ISQ_E10value_typeET4_T5_PSV_SW_PNS1_23onesweep_lookback_stateEbbT6_jjT7_P12ihipStream_tbENKUlT_T0_SK_SP_E_clISE_PySF_SF_EEDaS13_S14_SK_SP_EUlS13_E_NS1_11comp_targetILNS1_3genE2ELNS1_11target_archE906ELNS1_3gpuE6ELNS1_3repE0EEENS1_47radix_sort_onesweep_sort_config_static_selectorELNS0_4arch9wavefront6targetE1EEEvSK_,comdat
	.protected	_ZN7rocprim17ROCPRIM_400000_NS6detail17trampoline_kernelINS0_14default_configENS1_35radix_sort_onesweep_config_selectorIyNS0_10empty_typeEEEZZNS1_29radix_sort_onesweep_iterationIS3_Lb0EN6thrust23THRUST_200600_302600_NS6detail15normal_iteratorINS9_10device_ptrIyEEEESE_PS5_SF_jNS0_19identity_decomposerENS1_16block_id_wrapperIjLb1EEEEE10hipError_tT1_PNSt15iterator_traitsISK_E10value_typeET2_T3_PNSL_ISQ_E10value_typeET4_T5_PSV_SW_PNS1_23onesweep_lookback_stateEbbT6_jjT7_P12ihipStream_tbENKUlT_T0_SK_SP_E_clISE_PySF_SF_EEDaS13_S14_SK_SP_EUlS13_E_NS1_11comp_targetILNS1_3genE2ELNS1_11target_archE906ELNS1_3gpuE6ELNS1_3repE0EEENS1_47radix_sort_onesweep_sort_config_static_selectorELNS0_4arch9wavefront6targetE1EEEvSK_ ; -- Begin function _ZN7rocprim17ROCPRIM_400000_NS6detail17trampoline_kernelINS0_14default_configENS1_35radix_sort_onesweep_config_selectorIyNS0_10empty_typeEEEZZNS1_29radix_sort_onesweep_iterationIS3_Lb0EN6thrust23THRUST_200600_302600_NS6detail15normal_iteratorINS9_10device_ptrIyEEEESE_PS5_SF_jNS0_19identity_decomposerENS1_16block_id_wrapperIjLb1EEEEE10hipError_tT1_PNSt15iterator_traitsISK_E10value_typeET2_T3_PNSL_ISQ_E10value_typeET4_T5_PSV_SW_PNS1_23onesweep_lookback_stateEbbT6_jjT7_P12ihipStream_tbENKUlT_T0_SK_SP_E_clISE_PySF_SF_EEDaS13_S14_SK_SP_EUlS13_E_NS1_11comp_targetILNS1_3genE2ELNS1_11target_archE906ELNS1_3gpuE6ELNS1_3repE0EEENS1_47radix_sort_onesweep_sort_config_static_selectorELNS0_4arch9wavefront6targetE1EEEvSK_
	.globl	_ZN7rocprim17ROCPRIM_400000_NS6detail17trampoline_kernelINS0_14default_configENS1_35radix_sort_onesweep_config_selectorIyNS0_10empty_typeEEEZZNS1_29radix_sort_onesweep_iterationIS3_Lb0EN6thrust23THRUST_200600_302600_NS6detail15normal_iteratorINS9_10device_ptrIyEEEESE_PS5_SF_jNS0_19identity_decomposerENS1_16block_id_wrapperIjLb1EEEEE10hipError_tT1_PNSt15iterator_traitsISK_E10value_typeET2_T3_PNSL_ISQ_E10value_typeET4_T5_PSV_SW_PNS1_23onesweep_lookback_stateEbbT6_jjT7_P12ihipStream_tbENKUlT_T0_SK_SP_E_clISE_PySF_SF_EEDaS13_S14_SK_SP_EUlS13_E_NS1_11comp_targetILNS1_3genE2ELNS1_11target_archE906ELNS1_3gpuE6ELNS1_3repE0EEENS1_47radix_sort_onesweep_sort_config_static_selectorELNS0_4arch9wavefront6targetE1EEEvSK_
	.p2align	8
	.type	_ZN7rocprim17ROCPRIM_400000_NS6detail17trampoline_kernelINS0_14default_configENS1_35radix_sort_onesweep_config_selectorIyNS0_10empty_typeEEEZZNS1_29radix_sort_onesweep_iterationIS3_Lb0EN6thrust23THRUST_200600_302600_NS6detail15normal_iteratorINS9_10device_ptrIyEEEESE_PS5_SF_jNS0_19identity_decomposerENS1_16block_id_wrapperIjLb1EEEEE10hipError_tT1_PNSt15iterator_traitsISK_E10value_typeET2_T3_PNSL_ISQ_E10value_typeET4_T5_PSV_SW_PNS1_23onesweep_lookback_stateEbbT6_jjT7_P12ihipStream_tbENKUlT_T0_SK_SP_E_clISE_PySF_SF_EEDaS13_S14_SK_SP_EUlS13_E_NS1_11comp_targetILNS1_3genE2ELNS1_11target_archE906ELNS1_3gpuE6ELNS1_3repE0EEENS1_47radix_sort_onesweep_sort_config_static_selectorELNS0_4arch9wavefront6targetE1EEEvSK_,@function
_ZN7rocprim17ROCPRIM_400000_NS6detail17trampoline_kernelINS0_14default_configENS1_35radix_sort_onesweep_config_selectorIyNS0_10empty_typeEEEZZNS1_29radix_sort_onesweep_iterationIS3_Lb0EN6thrust23THRUST_200600_302600_NS6detail15normal_iteratorINS9_10device_ptrIyEEEESE_PS5_SF_jNS0_19identity_decomposerENS1_16block_id_wrapperIjLb1EEEEE10hipError_tT1_PNSt15iterator_traitsISK_E10value_typeET2_T3_PNSL_ISQ_E10value_typeET4_T5_PSV_SW_PNS1_23onesweep_lookback_stateEbbT6_jjT7_P12ihipStream_tbENKUlT_T0_SK_SP_E_clISE_PySF_SF_EEDaS13_S14_SK_SP_EUlS13_E_NS1_11comp_targetILNS1_3genE2ELNS1_11target_archE906ELNS1_3gpuE6ELNS1_3repE0EEENS1_47radix_sort_onesweep_sort_config_static_selectorELNS0_4arch9wavefront6targetE1EEEvSK_: ; @_ZN7rocprim17ROCPRIM_400000_NS6detail17trampoline_kernelINS0_14default_configENS1_35radix_sort_onesweep_config_selectorIyNS0_10empty_typeEEEZZNS1_29radix_sort_onesweep_iterationIS3_Lb0EN6thrust23THRUST_200600_302600_NS6detail15normal_iteratorINS9_10device_ptrIyEEEESE_PS5_SF_jNS0_19identity_decomposerENS1_16block_id_wrapperIjLb1EEEEE10hipError_tT1_PNSt15iterator_traitsISK_E10value_typeET2_T3_PNSL_ISQ_E10value_typeET4_T5_PSV_SW_PNS1_23onesweep_lookback_stateEbbT6_jjT7_P12ihipStream_tbENKUlT_T0_SK_SP_E_clISE_PySF_SF_EEDaS13_S14_SK_SP_EUlS13_E_NS1_11comp_targetILNS1_3genE2ELNS1_11target_archE906ELNS1_3gpuE6ELNS1_3repE0EEENS1_47radix_sort_onesweep_sort_config_static_selectorELNS0_4arch9wavefront6targetE1EEEvSK_
; %bb.0:
	.section	.rodata,"a",@progbits
	.p2align	6, 0x0
	.amdhsa_kernel _ZN7rocprim17ROCPRIM_400000_NS6detail17trampoline_kernelINS0_14default_configENS1_35radix_sort_onesweep_config_selectorIyNS0_10empty_typeEEEZZNS1_29radix_sort_onesweep_iterationIS3_Lb0EN6thrust23THRUST_200600_302600_NS6detail15normal_iteratorINS9_10device_ptrIyEEEESE_PS5_SF_jNS0_19identity_decomposerENS1_16block_id_wrapperIjLb1EEEEE10hipError_tT1_PNSt15iterator_traitsISK_E10value_typeET2_T3_PNSL_ISQ_E10value_typeET4_T5_PSV_SW_PNS1_23onesweep_lookback_stateEbbT6_jjT7_P12ihipStream_tbENKUlT_T0_SK_SP_E_clISE_PySF_SF_EEDaS13_S14_SK_SP_EUlS13_E_NS1_11comp_targetILNS1_3genE2ELNS1_11target_archE906ELNS1_3gpuE6ELNS1_3repE0EEENS1_47radix_sort_onesweep_sort_config_static_selectorELNS0_4arch9wavefront6targetE1EEEvSK_
		.amdhsa_group_segment_fixed_size 0
		.amdhsa_private_segment_fixed_size 0
		.amdhsa_kernarg_size 88
		.amdhsa_user_sgpr_count 2
		.amdhsa_user_sgpr_dispatch_ptr 0
		.amdhsa_user_sgpr_queue_ptr 0
		.amdhsa_user_sgpr_kernarg_segment_ptr 1
		.amdhsa_user_sgpr_dispatch_id 0
		.amdhsa_user_sgpr_kernarg_preload_length 0
		.amdhsa_user_sgpr_kernarg_preload_offset 0
		.amdhsa_user_sgpr_private_segment_size 0
		.amdhsa_uses_dynamic_stack 0
		.amdhsa_enable_private_segment 0
		.amdhsa_system_sgpr_workgroup_id_x 1
		.amdhsa_system_sgpr_workgroup_id_y 0
		.amdhsa_system_sgpr_workgroup_id_z 0
		.amdhsa_system_sgpr_workgroup_info 0
		.amdhsa_system_vgpr_workitem_id 0
		.amdhsa_next_free_vgpr 1
		.amdhsa_next_free_sgpr 0
		.amdhsa_accum_offset 4
		.amdhsa_reserve_vcc 0
		.amdhsa_float_round_mode_32 0
		.amdhsa_float_round_mode_16_64 0
		.amdhsa_float_denorm_mode_32 3
		.amdhsa_float_denorm_mode_16_64 3
		.amdhsa_dx10_clamp 1
		.amdhsa_ieee_mode 1
		.amdhsa_fp16_overflow 0
		.amdhsa_tg_split 0
		.amdhsa_exception_fp_ieee_invalid_op 0
		.amdhsa_exception_fp_denorm_src 0
		.amdhsa_exception_fp_ieee_div_zero 0
		.amdhsa_exception_fp_ieee_overflow 0
		.amdhsa_exception_fp_ieee_underflow 0
		.amdhsa_exception_fp_ieee_inexact 0
		.amdhsa_exception_int_div_zero 0
	.end_amdhsa_kernel
	.section	.text._ZN7rocprim17ROCPRIM_400000_NS6detail17trampoline_kernelINS0_14default_configENS1_35radix_sort_onesweep_config_selectorIyNS0_10empty_typeEEEZZNS1_29radix_sort_onesweep_iterationIS3_Lb0EN6thrust23THRUST_200600_302600_NS6detail15normal_iteratorINS9_10device_ptrIyEEEESE_PS5_SF_jNS0_19identity_decomposerENS1_16block_id_wrapperIjLb1EEEEE10hipError_tT1_PNSt15iterator_traitsISK_E10value_typeET2_T3_PNSL_ISQ_E10value_typeET4_T5_PSV_SW_PNS1_23onesweep_lookback_stateEbbT6_jjT7_P12ihipStream_tbENKUlT_T0_SK_SP_E_clISE_PySF_SF_EEDaS13_S14_SK_SP_EUlS13_E_NS1_11comp_targetILNS1_3genE2ELNS1_11target_archE906ELNS1_3gpuE6ELNS1_3repE0EEENS1_47radix_sort_onesweep_sort_config_static_selectorELNS0_4arch9wavefront6targetE1EEEvSK_,"axG",@progbits,_ZN7rocprim17ROCPRIM_400000_NS6detail17trampoline_kernelINS0_14default_configENS1_35radix_sort_onesweep_config_selectorIyNS0_10empty_typeEEEZZNS1_29radix_sort_onesweep_iterationIS3_Lb0EN6thrust23THRUST_200600_302600_NS6detail15normal_iteratorINS9_10device_ptrIyEEEESE_PS5_SF_jNS0_19identity_decomposerENS1_16block_id_wrapperIjLb1EEEEE10hipError_tT1_PNSt15iterator_traitsISK_E10value_typeET2_T3_PNSL_ISQ_E10value_typeET4_T5_PSV_SW_PNS1_23onesweep_lookback_stateEbbT6_jjT7_P12ihipStream_tbENKUlT_T0_SK_SP_E_clISE_PySF_SF_EEDaS13_S14_SK_SP_EUlS13_E_NS1_11comp_targetILNS1_3genE2ELNS1_11target_archE906ELNS1_3gpuE6ELNS1_3repE0EEENS1_47radix_sort_onesweep_sort_config_static_selectorELNS0_4arch9wavefront6targetE1EEEvSK_,comdat
.Lfunc_end876:
	.size	_ZN7rocprim17ROCPRIM_400000_NS6detail17trampoline_kernelINS0_14default_configENS1_35radix_sort_onesweep_config_selectorIyNS0_10empty_typeEEEZZNS1_29radix_sort_onesweep_iterationIS3_Lb0EN6thrust23THRUST_200600_302600_NS6detail15normal_iteratorINS9_10device_ptrIyEEEESE_PS5_SF_jNS0_19identity_decomposerENS1_16block_id_wrapperIjLb1EEEEE10hipError_tT1_PNSt15iterator_traitsISK_E10value_typeET2_T3_PNSL_ISQ_E10value_typeET4_T5_PSV_SW_PNS1_23onesweep_lookback_stateEbbT6_jjT7_P12ihipStream_tbENKUlT_T0_SK_SP_E_clISE_PySF_SF_EEDaS13_S14_SK_SP_EUlS13_E_NS1_11comp_targetILNS1_3genE2ELNS1_11target_archE906ELNS1_3gpuE6ELNS1_3repE0EEENS1_47radix_sort_onesweep_sort_config_static_selectorELNS0_4arch9wavefront6targetE1EEEvSK_, .Lfunc_end876-_ZN7rocprim17ROCPRIM_400000_NS6detail17trampoline_kernelINS0_14default_configENS1_35radix_sort_onesweep_config_selectorIyNS0_10empty_typeEEEZZNS1_29radix_sort_onesweep_iterationIS3_Lb0EN6thrust23THRUST_200600_302600_NS6detail15normal_iteratorINS9_10device_ptrIyEEEESE_PS5_SF_jNS0_19identity_decomposerENS1_16block_id_wrapperIjLb1EEEEE10hipError_tT1_PNSt15iterator_traitsISK_E10value_typeET2_T3_PNSL_ISQ_E10value_typeET4_T5_PSV_SW_PNS1_23onesweep_lookback_stateEbbT6_jjT7_P12ihipStream_tbENKUlT_T0_SK_SP_E_clISE_PySF_SF_EEDaS13_S14_SK_SP_EUlS13_E_NS1_11comp_targetILNS1_3genE2ELNS1_11target_archE906ELNS1_3gpuE6ELNS1_3repE0EEENS1_47radix_sort_onesweep_sort_config_static_selectorELNS0_4arch9wavefront6targetE1EEEvSK_
                                        ; -- End function
	.section	.AMDGPU.csdata,"",@progbits
; Kernel info:
; codeLenInByte = 0
; NumSgprs: 6
; NumVgprs: 0
; NumAgprs: 0
; TotalNumVgprs: 0
; ScratchSize: 0
; MemoryBound: 0
; FloatMode: 240
; IeeeMode: 1
; LDSByteSize: 0 bytes/workgroup (compile time only)
; SGPRBlocks: 0
; VGPRBlocks: 0
; NumSGPRsForWavesPerEU: 6
; NumVGPRsForWavesPerEU: 1
; AccumOffset: 4
; Occupancy: 8
; WaveLimiterHint : 0
; COMPUTE_PGM_RSRC2:SCRATCH_EN: 0
; COMPUTE_PGM_RSRC2:USER_SGPR: 2
; COMPUTE_PGM_RSRC2:TRAP_HANDLER: 0
; COMPUTE_PGM_RSRC2:TGID_X_EN: 1
; COMPUTE_PGM_RSRC2:TGID_Y_EN: 0
; COMPUTE_PGM_RSRC2:TGID_Z_EN: 0
; COMPUTE_PGM_RSRC2:TIDIG_COMP_CNT: 0
; COMPUTE_PGM_RSRC3_GFX90A:ACCUM_OFFSET: 0
; COMPUTE_PGM_RSRC3_GFX90A:TG_SPLIT: 0
	.section	.text._ZN7rocprim17ROCPRIM_400000_NS6detail17trampoline_kernelINS0_14default_configENS1_35radix_sort_onesweep_config_selectorIyNS0_10empty_typeEEEZZNS1_29radix_sort_onesweep_iterationIS3_Lb0EN6thrust23THRUST_200600_302600_NS6detail15normal_iteratorINS9_10device_ptrIyEEEESE_PS5_SF_jNS0_19identity_decomposerENS1_16block_id_wrapperIjLb1EEEEE10hipError_tT1_PNSt15iterator_traitsISK_E10value_typeET2_T3_PNSL_ISQ_E10value_typeET4_T5_PSV_SW_PNS1_23onesweep_lookback_stateEbbT6_jjT7_P12ihipStream_tbENKUlT_T0_SK_SP_E_clISE_PySF_SF_EEDaS13_S14_SK_SP_EUlS13_E_NS1_11comp_targetILNS1_3genE4ELNS1_11target_archE910ELNS1_3gpuE8ELNS1_3repE0EEENS1_47radix_sort_onesweep_sort_config_static_selectorELNS0_4arch9wavefront6targetE1EEEvSK_,"axG",@progbits,_ZN7rocprim17ROCPRIM_400000_NS6detail17trampoline_kernelINS0_14default_configENS1_35radix_sort_onesweep_config_selectorIyNS0_10empty_typeEEEZZNS1_29radix_sort_onesweep_iterationIS3_Lb0EN6thrust23THRUST_200600_302600_NS6detail15normal_iteratorINS9_10device_ptrIyEEEESE_PS5_SF_jNS0_19identity_decomposerENS1_16block_id_wrapperIjLb1EEEEE10hipError_tT1_PNSt15iterator_traitsISK_E10value_typeET2_T3_PNSL_ISQ_E10value_typeET4_T5_PSV_SW_PNS1_23onesweep_lookback_stateEbbT6_jjT7_P12ihipStream_tbENKUlT_T0_SK_SP_E_clISE_PySF_SF_EEDaS13_S14_SK_SP_EUlS13_E_NS1_11comp_targetILNS1_3genE4ELNS1_11target_archE910ELNS1_3gpuE8ELNS1_3repE0EEENS1_47radix_sort_onesweep_sort_config_static_selectorELNS0_4arch9wavefront6targetE1EEEvSK_,comdat
	.protected	_ZN7rocprim17ROCPRIM_400000_NS6detail17trampoline_kernelINS0_14default_configENS1_35radix_sort_onesweep_config_selectorIyNS0_10empty_typeEEEZZNS1_29radix_sort_onesweep_iterationIS3_Lb0EN6thrust23THRUST_200600_302600_NS6detail15normal_iteratorINS9_10device_ptrIyEEEESE_PS5_SF_jNS0_19identity_decomposerENS1_16block_id_wrapperIjLb1EEEEE10hipError_tT1_PNSt15iterator_traitsISK_E10value_typeET2_T3_PNSL_ISQ_E10value_typeET4_T5_PSV_SW_PNS1_23onesweep_lookback_stateEbbT6_jjT7_P12ihipStream_tbENKUlT_T0_SK_SP_E_clISE_PySF_SF_EEDaS13_S14_SK_SP_EUlS13_E_NS1_11comp_targetILNS1_3genE4ELNS1_11target_archE910ELNS1_3gpuE8ELNS1_3repE0EEENS1_47radix_sort_onesweep_sort_config_static_selectorELNS0_4arch9wavefront6targetE1EEEvSK_ ; -- Begin function _ZN7rocprim17ROCPRIM_400000_NS6detail17trampoline_kernelINS0_14default_configENS1_35radix_sort_onesweep_config_selectorIyNS0_10empty_typeEEEZZNS1_29radix_sort_onesweep_iterationIS3_Lb0EN6thrust23THRUST_200600_302600_NS6detail15normal_iteratorINS9_10device_ptrIyEEEESE_PS5_SF_jNS0_19identity_decomposerENS1_16block_id_wrapperIjLb1EEEEE10hipError_tT1_PNSt15iterator_traitsISK_E10value_typeET2_T3_PNSL_ISQ_E10value_typeET4_T5_PSV_SW_PNS1_23onesweep_lookback_stateEbbT6_jjT7_P12ihipStream_tbENKUlT_T0_SK_SP_E_clISE_PySF_SF_EEDaS13_S14_SK_SP_EUlS13_E_NS1_11comp_targetILNS1_3genE4ELNS1_11target_archE910ELNS1_3gpuE8ELNS1_3repE0EEENS1_47radix_sort_onesweep_sort_config_static_selectorELNS0_4arch9wavefront6targetE1EEEvSK_
	.globl	_ZN7rocprim17ROCPRIM_400000_NS6detail17trampoline_kernelINS0_14default_configENS1_35radix_sort_onesweep_config_selectorIyNS0_10empty_typeEEEZZNS1_29radix_sort_onesweep_iterationIS3_Lb0EN6thrust23THRUST_200600_302600_NS6detail15normal_iteratorINS9_10device_ptrIyEEEESE_PS5_SF_jNS0_19identity_decomposerENS1_16block_id_wrapperIjLb1EEEEE10hipError_tT1_PNSt15iterator_traitsISK_E10value_typeET2_T3_PNSL_ISQ_E10value_typeET4_T5_PSV_SW_PNS1_23onesweep_lookback_stateEbbT6_jjT7_P12ihipStream_tbENKUlT_T0_SK_SP_E_clISE_PySF_SF_EEDaS13_S14_SK_SP_EUlS13_E_NS1_11comp_targetILNS1_3genE4ELNS1_11target_archE910ELNS1_3gpuE8ELNS1_3repE0EEENS1_47radix_sort_onesweep_sort_config_static_selectorELNS0_4arch9wavefront6targetE1EEEvSK_
	.p2align	8
	.type	_ZN7rocprim17ROCPRIM_400000_NS6detail17trampoline_kernelINS0_14default_configENS1_35radix_sort_onesweep_config_selectorIyNS0_10empty_typeEEEZZNS1_29radix_sort_onesweep_iterationIS3_Lb0EN6thrust23THRUST_200600_302600_NS6detail15normal_iteratorINS9_10device_ptrIyEEEESE_PS5_SF_jNS0_19identity_decomposerENS1_16block_id_wrapperIjLb1EEEEE10hipError_tT1_PNSt15iterator_traitsISK_E10value_typeET2_T3_PNSL_ISQ_E10value_typeET4_T5_PSV_SW_PNS1_23onesweep_lookback_stateEbbT6_jjT7_P12ihipStream_tbENKUlT_T0_SK_SP_E_clISE_PySF_SF_EEDaS13_S14_SK_SP_EUlS13_E_NS1_11comp_targetILNS1_3genE4ELNS1_11target_archE910ELNS1_3gpuE8ELNS1_3repE0EEENS1_47radix_sort_onesweep_sort_config_static_selectorELNS0_4arch9wavefront6targetE1EEEvSK_,@function
_ZN7rocprim17ROCPRIM_400000_NS6detail17trampoline_kernelINS0_14default_configENS1_35radix_sort_onesweep_config_selectorIyNS0_10empty_typeEEEZZNS1_29radix_sort_onesweep_iterationIS3_Lb0EN6thrust23THRUST_200600_302600_NS6detail15normal_iteratorINS9_10device_ptrIyEEEESE_PS5_SF_jNS0_19identity_decomposerENS1_16block_id_wrapperIjLb1EEEEE10hipError_tT1_PNSt15iterator_traitsISK_E10value_typeET2_T3_PNSL_ISQ_E10value_typeET4_T5_PSV_SW_PNS1_23onesweep_lookback_stateEbbT6_jjT7_P12ihipStream_tbENKUlT_T0_SK_SP_E_clISE_PySF_SF_EEDaS13_S14_SK_SP_EUlS13_E_NS1_11comp_targetILNS1_3genE4ELNS1_11target_archE910ELNS1_3gpuE8ELNS1_3repE0EEENS1_47radix_sort_onesweep_sort_config_static_selectorELNS0_4arch9wavefront6targetE1EEEvSK_: ; @_ZN7rocprim17ROCPRIM_400000_NS6detail17trampoline_kernelINS0_14default_configENS1_35radix_sort_onesweep_config_selectorIyNS0_10empty_typeEEEZZNS1_29radix_sort_onesweep_iterationIS3_Lb0EN6thrust23THRUST_200600_302600_NS6detail15normal_iteratorINS9_10device_ptrIyEEEESE_PS5_SF_jNS0_19identity_decomposerENS1_16block_id_wrapperIjLb1EEEEE10hipError_tT1_PNSt15iterator_traitsISK_E10value_typeET2_T3_PNSL_ISQ_E10value_typeET4_T5_PSV_SW_PNS1_23onesweep_lookback_stateEbbT6_jjT7_P12ihipStream_tbENKUlT_T0_SK_SP_E_clISE_PySF_SF_EEDaS13_S14_SK_SP_EUlS13_E_NS1_11comp_targetILNS1_3genE4ELNS1_11target_archE910ELNS1_3gpuE8ELNS1_3repE0EEENS1_47radix_sort_onesweep_sort_config_static_selectorELNS0_4arch9wavefront6targetE1EEEvSK_
; %bb.0:
	.section	.rodata,"a",@progbits
	.p2align	6, 0x0
	.amdhsa_kernel _ZN7rocprim17ROCPRIM_400000_NS6detail17trampoline_kernelINS0_14default_configENS1_35radix_sort_onesweep_config_selectorIyNS0_10empty_typeEEEZZNS1_29radix_sort_onesweep_iterationIS3_Lb0EN6thrust23THRUST_200600_302600_NS6detail15normal_iteratorINS9_10device_ptrIyEEEESE_PS5_SF_jNS0_19identity_decomposerENS1_16block_id_wrapperIjLb1EEEEE10hipError_tT1_PNSt15iterator_traitsISK_E10value_typeET2_T3_PNSL_ISQ_E10value_typeET4_T5_PSV_SW_PNS1_23onesweep_lookback_stateEbbT6_jjT7_P12ihipStream_tbENKUlT_T0_SK_SP_E_clISE_PySF_SF_EEDaS13_S14_SK_SP_EUlS13_E_NS1_11comp_targetILNS1_3genE4ELNS1_11target_archE910ELNS1_3gpuE8ELNS1_3repE0EEENS1_47radix_sort_onesweep_sort_config_static_selectorELNS0_4arch9wavefront6targetE1EEEvSK_
		.amdhsa_group_segment_fixed_size 0
		.amdhsa_private_segment_fixed_size 0
		.amdhsa_kernarg_size 88
		.amdhsa_user_sgpr_count 2
		.amdhsa_user_sgpr_dispatch_ptr 0
		.amdhsa_user_sgpr_queue_ptr 0
		.amdhsa_user_sgpr_kernarg_segment_ptr 1
		.amdhsa_user_sgpr_dispatch_id 0
		.amdhsa_user_sgpr_kernarg_preload_length 0
		.amdhsa_user_sgpr_kernarg_preload_offset 0
		.amdhsa_user_sgpr_private_segment_size 0
		.amdhsa_uses_dynamic_stack 0
		.amdhsa_enable_private_segment 0
		.amdhsa_system_sgpr_workgroup_id_x 1
		.amdhsa_system_sgpr_workgroup_id_y 0
		.amdhsa_system_sgpr_workgroup_id_z 0
		.amdhsa_system_sgpr_workgroup_info 0
		.amdhsa_system_vgpr_workitem_id 0
		.amdhsa_next_free_vgpr 1
		.amdhsa_next_free_sgpr 0
		.amdhsa_accum_offset 4
		.amdhsa_reserve_vcc 0
		.amdhsa_float_round_mode_32 0
		.amdhsa_float_round_mode_16_64 0
		.amdhsa_float_denorm_mode_32 3
		.amdhsa_float_denorm_mode_16_64 3
		.amdhsa_dx10_clamp 1
		.amdhsa_ieee_mode 1
		.amdhsa_fp16_overflow 0
		.amdhsa_tg_split 0
		.amdhsa_exception_fp_ieee_invalid_op 0
		.amdhsa_exception_fp_denorm_src 0
		.amdhsa_exception_fp_ieee_div_zero 0
		.amdhsa_exception_fp_ieee_overflow 0
		.amdhsa_exception_fp_ieee_underflow 0
		.amdhsa_exception_fp_ieee_inexact 0
		.amdhsa_exception_int_div_zero 0
	.end_amdhsa_kernel
	.section	.text._ZN7rocprim17ROCPRIM_400000_NS6detail17trampoline_kernelINS0_14default_configENS1_35radix_sort_onesweep_config_selectorIyNS0_10empty_typeEEEZZNS1_29radix_sort_onesweep_iterationIS3_Lb0EN6thrust23THRUST_200600_302600_NS6detail15normal_iteratorINS9_10device_ptrIyEEEESE_PS5_SF_jNS0_19identity_decomposerENS1_16block_id_wrapperIjLb1EEEEE10hipError_tT1_PNSt15iterator_traitsISK_E10value_typeET2_T3_PNSL_ISQ_E10value_typeET4_T5_PSV_SW_PNS1_23onesweep_lookback_stateEbbT6_jjT7_P12ihipStream_tbENKUlT_T0_SK_SP_E_clISE_PySF_SF_EEDaS13_S14_SK_SP_EUlS13_E_NS1_11comp_targetILNS1_3genE4ELNS1_11target_archE910ELNS1_3gpuE8ELNS1_3repE0EEENS1_47radix_sort_onesweep_sort_config_static_selectorELNS0_4arch9wavefront6targetE1EEEvSK_,"axG",@progbits,_ZN7rocprim17ROCPRIM_400000_NS6detail17trampoline_kernelINS0_14default_configENS1_35radix_sort_onesweep_config_selectorIyNS0_10empty_typeEEEZZNS1_29radix_sort_onesweep_iterationIS3_Lb0EN6thrust23THRUST_200600_302600_NS6detail15normal_iteratorINS9_10device_ptrIyEEEESE_PS5_SF_jNS0_19identity_decomposerENS1_16block_id_wrapperIjLb1EEEEE10hipError_tT1_PNSt15iterator_traitsISK_E10value_typeET2_T3_PNSL_ISQ_E10value_typeET4_T5_PSV_SW_PNS1_23onesweep_lookback_stateEbbT6_jjT7_P12ihipStream_tbENKUlT_T0_SK_SP_E_clISE_PySF_SF_EEDaS13_S14_SK_SP_EUlS13_E_NS1_11comp_targetILNS1_3genE4ELNS1_11target_archE910ELNS1_3gpuE8ELNS1_3repE0EEENS1_47radix_sort_onesweep_sort_config_static_selectorELNS0_4arch9wavefront6targetE1EEEvSK_,comdat
.Lfunc_end877:
	.size	_ZN7rocprim17ROCPRIM_400000_NS6detail17trampoline_kernelINS0_14default_configENS1_35radix_sort_onesweep_config_selectorIyNS0_10empty_typeEEEZZNS1_29radix_sort_onesweep_iterationIS3_Lb0EN6thrust23THRUST_200600_302600_NS6detail15normal_iteratorINS9_10device_ptrIyEEEESE_PS5_SF_jNS0_19identity_decomposerENS1_16block_id_wrapperIjLb1EEEEE10hipError_tT1_PNSt15iterator_traitsISK_E10value_typeET2_T3_PNSL_ISQ_E10value_typeET4_T5_PSV_SW_PNS1_23onesweep_lookback_stateEbbT6_jjT7_P12ihipStream_tbENKUlT_T0_SK_SP_E_clISE_PySF_SF_EEDaS13_S14_SK_SP_EUlS13_E_NS1_11comp_targetILNS1_3genE4ELNS1_11target_archE910ELNS1_3gpuE8ELNS1_3repE0EEENS1_47radix_sort_onesweep_sort_config_static_selectorELNS0_4arch9wavefront6targetE1EEEvSK_, .Lfunc_end877-_ZN7rocprim17ROCPRIM_400000_NS6detail17trampoline_kernelINS0_14default_configENS1_35radix_sort_onesweep_config_selectorIyNS0_10empty_typeEEEZZNS1_29radix_sort_onesweep_iterationIS3_Lb0EN6thrust23THRUST_200600_302600_NS6detail15normal_iteratorINS9_10device_ptrIyEEEESE_PS5_SF_jNS0_19identity_decomposerENS1_16block_id_wrapperIjLb1EEEEE10hipError_tT1_PNSt15iterator_traitsISK_E10value_typeET2_T3_PNSL_ISQ_E10value_typeET4_T5_PSV_SW_PNS1_23onesweep_lookback_stateEbbT6_jjT7_P12ihipStream_tbENKUlT_T0_SK_SP_E_clISE_PySF_SF_EEDaS13_S14_SK_SP_EUlS13_E_NS1_11comp_targetILNS1_3genE4ELNS1_11target_archE910ELNS1_3gpuE8ELNS1_3repE0EEENS1_47radix_sort_onesweep_sort_config_static_selectorELNS0_4arch9wavefront6targetE1EEEvSK_
                                        ; -- End function
	.section	.AMDGPU.csdata,"",@progbits
; Kernel info:
; codeLenInByte = 0
; NumSgprs: 6
; NumVgprs: 0
; NumAgprs: 0
; TotalNumVgprs: 0
; ScratchSize: 0
; MemoryBound: 0
; FloatMode: 240
; IeeeMode: 1
; LDSByteSize: 0 bytes/workgroup (compile time only)
; SGPRBlocks: 0
; VGPRBlocks: 0
; NumSGPRsForWavesPerEU: 6
; NumVGPRsForWavesPerEU: 1
; AccumOffset: 4
; Occupancy: 8
; WaveLimiterHint : 0
; COMPUTE_PGM_RSRC2:SCRATCH_EN: 0
; COMPUTE_PGM_RSRC2:USER_SGPR: 2
; COMPUTE_PGM_RSRC2:TRAP_HANDLER: 0
; COMPUTE_PGM_RSRC2:TGID_X_EN: 1
; COMPUTE_PGM_RSRC2:TGID_Y_EN: 0
; COMPUTE_PGM_RSRC2:TGID_Z_EN: 0
; COMPUTE_PGM_RSRC2:TIDIG_COMP_CNT: 0
; COMPUTE_PGM_RSRC3_GFX90A:ACCUM_OFFSET: 0
; COMPUTE_PGM_RSRC3_GFX90A:TG_SPLIT: 0
	.section	.text._ZN7rocprim17ROCPRIM_400000_NS6detail17trampoline_kernelINS0_14default_configENS1_35radix_sort_onesweep_config_selectorIyNS0_10empty_typeEEEZZNS1_29radix_sort_onesweep_iterationIS3_Lb0EN6thrust23THRUST_200600_302600_NS6detail15normal_iteratorINS9_10device_ptrIyEEEESE_PS5_SF_jNS0_19identity_decomposerENS1_16block_id_wrapperIjLb1EEEEE10hipError_tT1_PNSt15iterator_traitsISK_E10value_typeET2_T3_PNSL_ISQ_E10value_typeET4_T5_PSV_SW_PNS1_23onesweep_lookback_stateEbbT6_jjT7_P12ihipStream_tbENKUlT_T0_SK_SP_E_clISE_PySF_SF_EEDaS13_S14_SK_SP_EUlS13_E_NS1_11comp_targetILNS1_3genE3ELNS1_11target_archE908ELNS1_3gpuE7ELNS1_3repE0EEENS1_47radix_sort_onesweep_sort_config_static_selectorELNS0_4arch9wavefront6targetE1EEEvSK_,"axG",@progbits,_ZN7rocprim17ROCPRIM_400000_NS6detail17trampoline_kernelINS0_14default_configENS1_35radix_sort_onesweep_config_selectorIyNS0_10empty_typeEEEZZNS1_29radix_sort_onesweep_iterationIS3_Lb0EN6thrust23THRUST_200600_302600_NS6detail15normal_iteratorINS9_10device_ptrIyEEEESE_PS5_SF_jNS0_19identity_decomposerENS1_16block_id_wrapperIjLb1EEEEE10hipError_tT1_PNSt15iterator_traitsISK_E10value_typeET2_T3_PNSL_ISQ_E10value_typeET4_T5_PSV_SW_PNS1_23onesweep_lookback_stateEbbT6_jjT7_P12ihipStream_tbENKUlT_T0_SK_SP_E_clISE_PySF_SF_EEDaS13_S14_SK_SP_EUlS13_E_NS1_11comp_targetILNS1_3genE3ELNS1_11target_archE908ELNS1_3gpuE7ELNS1_3repE0EEENS1_47radix_sort_onesweep_sort_config_static_selectorELNS0_4arch9wavefront6targetE1EEEvSK_,comdat
	.protected	_ZN7rocprim17ROCPRIM_400000_NS6detail17trampoline_kernelINS0_14default_configENS1_35radix_sort_onesweep_config_selectorIyNS0_10empty_typeEEEZZNS1_29radix_sort_onesweep_iterationIS3_Lb0EN6thrust23THRUST_200600_302600_NS6detail15normal_iteratorINS9_10device_ptrIyEEEESE_PS5_SF_jNS0_19identity_decomposerENS1_16block_id_wrapperIjLb1EEEEE10hipError_tT1_PNSt15iterator_traitsISK_E10value_typeET2_T3_PNSL_ISQ_E10value_typeET4_T5_PSV_SW_PNS1_23onesweep_lookback_stateEbbT6_jjT7_P12ihipStream_tbENKUlT_T0_SK_SP_E_clISE_PySF_SF_EEDaS13_S14_SK_SP_EUlS13_E_NS1_11comp_targetILNS1_3genE3ELNS1_11target_archE908ELNS1_3gpuE7ELNS1_3repE0EEENS1_47radix_sort_onesweep_sort_config_static_selectorELNS0_4arch9wavefront6targetE1EEEvSK_ ; -- Begin function _ZN7rocprim17ROCPRIM_400000_NS6detail17trampoline_kernelINS0_14default_configENS1_35radix_sort_onesweep_config_selectorIyNS0_10empty_typeEEEZZNS1_29radix_sort_onesweep_iterationIS3_Lb0EN6thrust23THRUST_200600_302600_NS6detail15normal_iteratorINS9_10device_ptrIyEEEESE_PS5_SF_jNS0_19identity_decomposerENS1_16block_id_wrapperIjLb1EEEEE10hipError_tT1_PNSt15iterator_traitsISK_E10value_typeET2_T3_PNSL_ISQ_E10value_typeET4_T5_PSV_SW_PNS1_23onesweep_lookback_stateEbbT6_jjT7_P12ihipStream_tbENKUlT_T0_SK_SP_E_clISE_PySF_SF_EEDaS13_S14_SK_SP_EUlS13_E_NS1_11comp_targetILNS1_3genE3ELNS1_11target_archE908ELNS1_3gpuE7ELNS1_3repE0EEENS1_47radix_sort_onesweep_sort_config_static_selectorELNS0_4arch9wavefront6targetE1EEEvSK_
	.globl	_ZN7rocprim17ROCPRIM_400000_NS6detail17trampoline_kernelINS0_14default_configENS1_35radix_sort_onesweep_config_selectorIyNS0_10empty_typeEEEZZNS1_29radix_sort_onesweep_iterationIS3_Lb0EN6thrust23THRUST_200600_302600_NS6detail15normal_iteratorINS9_10device_ptrIyEEEESE_PS5_SF_jNS0_19identity_decomposerENS1_16block_id_wrapperIjLb1EEEEE10hipError_tT1_PNSt15iterator_traitsISK_E10value_typeET2_T3_PNSL_ISQ_E10value_typeET4_T5_PSV_SW_PNS1_23onesweep_lookback_stateEbbT6_jjT7_P12ihipStream_tbENKUlT_T0_SK_SP_E_clISE_PySF_SF_EEDaS13_S14_SK_SP_EUlS13_E_NS1_11comp_targetILNS1_3genE3ELNS1_11target_archE908ELNS1_3gpuE7ELNS1_3repE0EEENS1_47radix_sort_onesweep_sort_config_static_selectorELNS0_4arch9wavefront6targetE1EEEvSK_
	.p2align	8
	.type	_ZN7rocprim17ROCPRIM_400000_NS6detail17trampoline_kernelINS0_14default_configENS1_35radix_sort_onesweep_config_selectorIyNS0_10empty_typeEEEZZNS1_29radix_sort_onesweep_iterationIS3_Lb0EN6thrust23THRUST_200600_302600_NS6detail15normal_iteratorINS9_10device_ptrIyEEEESE_PS5_SF_jNS0_19identity_decomposerENS1_16block_id_wrapperIjLb1EEEEE10hipError_tT1_PNSt15iterator_traitsISK_E10value_typeET2_T3_PNSL_ISQ_E10value_typeET4_T5_PSV_SW_PNS1_23onesweep_lookback_stateEbbT6_jjT7_P12ihipStream_tbENKUlT_T0_SK_SP_E_clISE_PySF_SF_EEDaS13_S14_SK_SP_EUlS13_E_NS1_11comp_targetILNS1_3genE3ELNS1_11target_archE908ELNS1_3gpuE7ELNS1_3repE0EEENS1_47radix_sort_onesweep_sort_config_static_selectorELNS0_4arch9wavefront6targetE1EEEvSK_,@function
_ZN7rocprim17ROCPRIM_400000_NS6detail17trampoline_kernelINS0_14default_configENS1_35radix_sort_onesweep_config_selectorIyNS0_10empty_typeEEEZZNS1_29radix_sort_onesweep_iterationIS3_Lb0EN6thrust23THRUST_200600_302600_NS6detail15normal_iteratorINS9_10device_ptrIyEEEESE_PS5_SF_jNS0_19identity_decomposerENS1_16block_id_wrapperIjLb1EEEEE10hipError_tT1_PNSt15iterator_traitsISK_E10value_typeET2_T3_PNSL_ISQ_E10value_typeET4_T5_PSV_SW_PNS1_23onesweep_lookback_stateEbbT6_jjT7_P12ihipStream_tbENKUlT_T0_SK_SP_E_clISE_PySF_SF_EEDaS13_S14_SK_SP_EUlS13_E_NS1_11comp_targetILNS1_3genE3ELNS1_11target_archE908ELNS1_3gpuE7ELNS1_3repE0EEENS1_47radix_sort_onesweep_sort_config_static_selectorELNS0_4arch9wavefront6targetE1EEEvSK_: ; @_ZN7rocprim17ROCPRIM_400000_NS6detail17trampoline_kernelINS0_14default_configENS1_35radix_sort_onesweep_config_selectorIyNS0_10empty_typeEEEZZNS1_29radix_sort_onesweep_iterationIS3_Lb0EN6thrust23THRUST_200600_302600_NS6detail15normal_iteratorINS9_10device_ptrIyEEEESE_PS5_SF_jNS0_19identity_decomposerENS1_16block_id_wrapperIjLb1EEEEE10hipError_tT1_PNSt15iterator_traitsISK_E10value_typeET2_T3_PNSL_ISQ_E10value_typeET4_T5_PSV_SW_PNS1_23onesweep_lookback_stateEbbT6_jjT7_P12ihipStream_tbENKUlT_T0_SK_SP_E_clISE_PySF_SF_EEDaS13_S14_SK_SP_EUlS13_E_NS1_11comp_targetILNS1_3genE3ELNS1_11target_archE908ELNS1_3gpuE7ELNS1_3repE0EEENS1_47radix_sort_onesweep_sort_config_static_selectorELNS0_4arch9wavefront6targetE1EEEvSK_
; %bb.0:
	.section	.rodata,"a",@progbits
	.p2align	6, 0x0
	.amdhsa_kernel _ZN7rocprim17ROCPRIM_400000_NS6detail17trampoline_kernelINS0_14default_configENS1_35radix_sort_onesweep_config_selectorIyNS0_10empty_typeEEEZZNS1_29radix_sort_onesweep_iterationIS3_Lb0EN6thrust23THRUST_200600_302600_NS6detail15normal_iteratorINS9_10device_ptrIyEEEESE_PS5_SF_jNS0_19identity_decomposerENS1_16block_id_wrapperIjLb1EEEEE10hipError_tT1_PNSt15iterator_traitsISK_E10value_typeET2_T3_PNSL_ISQ_E10value_typeET4_T5_PSV_SW_PNS1_23onesweep_lookback_stateEbbT6_jjT7_P12ihipStream_tbENKUlT_T0_SK_SP_E_clISE_PySF_SF_EEDaS13_S14_SK_SP_EUlS13_E_NS1_11comp_targetILNS1_3genE3ELNS1_11target_archE908ELNS1_3gpuE7ELNS1_3repE0EEENS1_47radix_sort_onesweep_sort_config_static_selectorELNS0_4arch9wavefront6targetE1EEEvSK_
		.amdhsa_group_segment_fixed_size 0
		.amdhsa_private_segment_fixed_size 0
		.amdhsa_kernarg_size 88
		.amdhsa_user_sgpr_count 2
		.amdhsa_user_sgpr_dispatch_ptr 0
		.amdhsa_user_sgpr_queue_ptr 0
		.amdhsa_user_sgpr_kernarg_segment_ptr 1
		.amdhsa_user_sgpr_dispatch_id 0
		.amdhsa_user_sgpr_kernarg_preload_length 0
		.amdhsa_user_sgpr_kernarg_preload_offset 0
		.amdhsa_user_sgpr_private_segment_size 0
		.amdhsa_uses_dynamic_stack 0
		.amdhsa_enable_private_segment 0
		.amdhsa_system_sgpr_workgroup_id_x 1
		.amdhsa_system_sgpr_workgroup_id_y 0
		.amdhsa_system_sgpr_workgroup_id_z 0
		.amdhsa_system_sgpr_workgroup_info 0
		.amdhsa_system_vgpr_workitem_id 0
		.amdhsa_next_free_vgpr 1
		.amdhsa_next_free_sgpr 0
		.amdhsa_accum_offset 4
		.amdhsa_reserve_vcc 0
		.amdhsa_float_round_mode_32 0
		.amdhsa_float_round_mode_16_64 0
		.amdhsa_float_denorm_mode_32 3
		.amdhsa_float_denorm_mode_16_64 3
		.amdhsa_dx10_clamp 1
		.amdhsa_ieee_mode 1
		.amdhsa_fp16_overflow 0
		.amdhsa_tg_split 0
		.amdhsa_exception_fp_ieee_invalid_op 0
		.amdhsa_exception_fp_denorm_src 0
		.amdhsa_exception_fp_ieee_div_zero 0
		.amdhsa_exception_fp_ieee_overflow 0
		.amdhsa_exception_fp_ieee_underflow 0
		.amdhsa_exception_fp_ieee_inexact 0
		.amdhsa_exception_int_div_zero 0
	.end_amdhsa_kernel
	.section	.text._ZN7rocprim17ROCPRIM_400000_NS6detail17trampoline_kernelINS0_14default_configENS1_35radix_sort_onesweep_config_selectorIyNS0_10empty_typeEEEZZNS1_29radix_sort_onesweep_iterationIS3_Lb0EN6thrust23THRUST_200600_302600_NS6detail15normal_iteratorINS9_10device_ptrIyEEEESE_PS5_SF_jNS0_19identity_decomposerENS1_16block_id_wrapperIjLb1EEEEE10hipError_tT1_PNSt15iterator_traitsISK_E10value_typeET2_T3_PNSL_ISQ_E10value_typeET4_T5_PSV_SW_PNS1_23onesweep_lookback_stateEbbT6_jjT7_P12ihipStream_tbENKUlT_T0_SK_SP_E_clISE_PySF_SF_EEDaS13_S14_SK_SP_EUlS13_E_NS1_11comp_targetILNS1_3genE3ELNS1_11target_archE908ELNS1_3gpuE7ELNS1_3repE0EEENS1_47radix_sort_onesweep_sort_config_static_selectorELNS0_4arch9wavefront6targetE1EEEvSK_,"axG",@progbits,_ZN7rocprim17ROCPRIM_400000_NS6detail17trampoline_kernelINS0_14default_configENS1_35radix_sort_onesweep_config_selectorIyNS0_10empty_typeEEEZZNS1_29radix_sort_onesweep_iterationIS3_Lb0EN6thrust23THRUST_200600_302600_NS6detail15normal_iteratorINS9_10device_ptrIyEEEESE_PS5_SF_jNS0_19identity_decomposerENS1_16block_id_wrapperIjLb1EEEEE10hipError_tT1_PNSt15iterator_traitsISK_E10value_typeET2_T3_PNSL_ISQ_E10value_typeET4_T5_PSV_SW_PNS1_23onesweep_lookback_stateEbbT6_jjT7_P12ihipStream_tbENKUlT_T0_SK_SP_E_clISE_PySF_SF_EEDaS13_S14_SK_SP_EUlS13_E_NS1_11comp_targetILNS1_3genE3ELNS1_11target_archE908ELNS1_3gpuE7ELNS1_3repE0EEENS1_47radix_sort_onesweep_sort_config_static_selectorELNS0_4arch9wavefront6targetE1EEEvSK_,comdat
.Lfunc_end878:
	.size	_ZN7rocprim17ROCPRIM_400000_NS6detail17trampoline_kernelINS0_14default_configENS1_35radix_sort_onesweep_config_selectorIyNS0_10empty_typeEEEZZNS1_29radix_sort_onesweep_iterationIS3_Lb0EN6thrust23THRUST_200600_302600_NS6detail15normal_iteratorINS9_10device_ptrIyEEEESE_PS5_SF_jNS0_19identity_decomposerENS1_16block_id_wrapperIjLb1EEEEE10hipError_tT1_PNSt15iterator_traitsISK_E10value_typeET2_T3_PNSL_ISQ_E10value_typeET4_T5_PSV_SW_PNS1_23onesweep_lookback_stateEbbT6_jjT7_P12ihipStream_tbENKUlT_T0_SK_SP_E_clISE_PySF_SF_EEDaS13_S14_SK_SP_EUlS13_E_NS1_11comp_targetILNS1_3genE3ELNS1_11target_archE908ELNS1_3gpuE7ELNS1_3repE0EEENS1_47radix_sort_onesweep_sort_config_static_selectorELNS0_4arch9wavefront6targetE1EEEvSK_, .Lfunc_end878-_ZN7rocprim17ROCPRIM_400000_NS6detail17trampoline_kernelINS0_14default_configENS1_35radix_sort_onesweep_config_selectorIyNS0_10empty_typeEEEZZNS1_29radix_sort_onesweep_iterationIS3_Lb0EN6thrust23THRUST_200600_302600_NS6detail15normal_iteratorINS9_10device_ptrIyEEEESE_PS5_SF_jNS0_19identity_decomposerENS1_16block_id_wrapperIjLb1EEEEE10hipError_tT1_PNSt15iterator_traitsISK_E10value_typeET2_T3_PNSL_ISQ_E10value_typeET4_T5_PSV_SW_PNS1_23onesweep_lookback_stateEbbT6_jjT7_P12ihipStream_tbENKUlT_T0_SK_SP_E_clISE_PySF_SF_EEDaS13_S14_SK_SP_EUlS13_E_NS1_11comp_targetILNS1_3genE3ELNS1_11target_archE908ELNS1_3gpuE7ELNS1_3repE0EEENS1_47radix_sort_onesweep_sort_config_static_selectorELNS0_4arch9wavefront6targetE1EEEvSK_
                                        ; -- End function
	.section	.AMDGPU.csdata,"",@progbits
; Kernel info:
; codeLenInByte = 0
; NumSgprs: 6
; NumVgprs: 0
; NumAgprs: 0
; TotalNumVgprs: 0
; ScratchSize: 0
; MemoryBound: 0
; FloatMode: 240
; IeeeMode: 1
; LDSByteSize: 0 bytes/workgroup (compile time only)
; SGPRBlocks: 0
; VGPRBlocks: 0
; NumSGPRsForWavesPerEU: 6
; NumVGPRsForWavesPerEU: 1
; AccumOffset: 4
; Occupancy: 8
; WaveLimiterHint : 0
; COMPUTE_PGM_RSRC2:SCRATCH_EN: 0
; COMPUTE_PGM_RSRC2:USER_SGPR: 2
; COMPUTE_PGM_RSRC2:TRAP_HANDLER: 0
; COMPUTE_PGM_RSRC2:TGID_X_EN: 1
; COMPUTE_PGM_RSRC2:TGID_Y_EN: 0
; COMPUTE_PGM_RSRC2:TGID_Z_EN: 0
; COMPUTE_PGM_RSRC2:TIDIG_COMP_CNT: 0
; COMPUTE_PGM_RSRC3_GFX90A:ACCUM_OFFSET: 0
; COMPUTE_PGM_RSRC3_GFX90A:TG_SPLIT: 0
	.section	.text._ZN7rocprim17ROCPRIM_400000_NS6detail17trampoline_kernelINS0_14default_configENS1_35radix_sort_onesweep_config_selectorIyNS0_10empty_typeEEEZZNS1_29radix_sort_onesweep_iterationIS3_Lb0EN6thrust23THRUST_200600_302600_NS6detail15normal_iteratorINS9_10device_ptrIyEEEESE_PS5_SF_jNS0_19identity_decomposerENS1_16block_id_wrapperIjLb1EEEEE10hipError_tT1_PNSt15iterator_traitsISK_E10value_typeET2_T3_PNSL_ISQ_E10value_typeET4_T5_PSV_SW_PNS1_23onesweep_lookback_stateEbbT6_jjT7_P12ihipStream_tbENKUlT_T0_SK_SP_E_clISE_PySF_SF_EEDaS13_S14_SK_SP_EUlS13_E_NS1_11comp_targetILNS1_3genE10ELNS1_11target_archE1201ELNS1_3gpuE5ELNS1_3repE0EEENS1_47radix_sort_onesweep_sort_config_static_selectorELNS0_4arch9wavefront6targetE1EEEvSK_,"axG",@progbits,_ZN7rocprim17ROCPRIM_400000_NS6detail17trampoline_kernelINS0_14default_configENS1_35radix_sort_onesweep_config_selectorIyNS0_10empty_typeEEEZZNS1_29radix_sort_onesweep_iterationIS3_Lb0EN6thrust23THRUST_200600_302600_NS6detail15normal_iteratorINS9_10device_ptrIyEEEESE_PS5_SF_jNS0_19identity_decomposerENS1_16block_id_wrapperIjLb1EEEEE10hipError_tT1_PNSt15iterator_traitsISK_E10value_typeET2_T3_PNSL_ISQ_E10value_typeET4_T5_PSV_SW_PNS1_23onesweep_lookback_stateEbbT6_jjT7_P12ihipStream_tbENKUlT_T0_SK_SP_E_clISE_PySF_SF_EEDaS13_S14_SK_SP_EUlS13_E_NS1_11comp_targetILNS1_3genE10ELNS1_11target_archE1201ELNS1_3gpuE5ELNS1_3repE0EEENS1_47radix_sort_onesweep_sort_config_static_selectorELNS0_4arch9wavefront6targetE1EEEvSK_,comdat
	.protected	_ZN7rocprim17ROCPRIM_400000_NS6detail17trampoline_kernelINS0_14default_configENS1_35radix_sort_onesweep_config_selectorIyNS0_10empty_typeEEEZZNS1_29radix_sort_onesweep_iterationIS3_Lb0EN6thrust23THRUST_200600_302600_NS6detail15normal_iteratorINS9_10device_ptrIyEEEESE_PS5_SF_jNS0_19identity_decomposerENS1_16block_id_wrapperIjLb1EEEEE10hipError_tT1_PNSt15iterator_traitsISK_E10value_typeET2_T3_PNSL_ISQ_E10value_typeET4_T5_PSV_SW_PNS1_23onesweep_lookback_stateEbbT6_jjT7_P12ihipStream_tbENKUlT_T0_SK_SP_E_clISE_PySF_SF_EEDaS13_S14_SK_SP_EUlS13_E_NS1_11comp_targetILNS1_3genE10ELNS1_11target_archE1201ELNS1_3gpuE5ELNS1_3repE0EEENS1_47radix_sort_onesweep_sort_config_static_selectorELNS0_4arch9wavefront6targetE1EEEvSK_ ; -- Begin function _ZN7rocprim17ROCPRIM_400000_NS6detail17trampoline_kernelINS0_14default_configENS1_35radix_sort_onesweep_config_selectorIyNS0_10empty_typeEEEZZNS1_29radix_sort_onesweep_iterationIS3_Lb0EN6thrust23THRUST_200600_302600_NS6detail15normal_iteratorINS9_10device_ptrIyEEEESE_PS5_SF_jNS0_19identity_decomposerENS1_16block_id_wrapperIjLb1EEEEE10hipError_tT1_PNSt15iterator_traitsISK_E10value_typeET2_T3_PNSL_ISQ_E10value_typeET4_T5_PSV_SW_PNS1_23onesweep_lookback_stateEbbT6_jjT7_P12ihipStream_tbENKUlT_T0_SK_SP_E_clISE_PySF_SF_EEDaS13_S14_SK_SP_EUlS13_E_NS1_11comp_targetILNS1_3genE10ELNS1_11target_archE1201ELNS1_3gpuE5ELNS1_3repE0EEENS1_47radix_sort_onesweep_sort_config_static_selectorELNS0_4arch9wavefront6targetE1EEEvSK_
	.globl	_ZN7rocprim17ROCPRIM_400000_NS6detail17trampoline_kernelINS0_14default_configENS1_35radix_sort_onesweep_config_selectorIyNS0_10empty_typeEEEZZNS1_29radix_sort_onesweep_iterationIS3_Lb0EN6thrust23THRUST_200600_302600_NS6detail15normal_iteratorINS9_10device_ptrIyEEEESE_PS5_SF_jNS0_19identity_decomposerENS1_16block_id_wrapperIjLb1EEEEE10hipError_tT1_PNSt15iterator_traitsISK_E10value_typeET2_T3_PNSL_ISQ_E10value_typeET4_T5_PSV_SW_PNS1_23onesweep_lookback_stateEbbT6_jjT7_P12ihipStream_tbENKUlT_T0_SK_SP_E_clISE_PySF_SF_EEDaS13_S14_SK_SP_EUlS13_E_NS1_11comp_targetILNS1_3genE10ELNS1_11target_archE1201ELNS1_3gpuE5ELNS1_3repE0EEENS1_47radix_sort_onesweep_sort_config_static_selectorELNS0_4arch9wavefront6targetE1EEEvSK_
	.p2align	8
	.type	_ZN7rocprim17ROCPRIM_400000_NS6detail17trampoline_kernelINS0_14default_configENS1_35radix_sort_onesweep_config_selectorIyNS0_10empty_typeEEEZZNS1_29radix_sort_onesweep_iterationIS3_Lb0EN6thrust23THRUST_200600_302600_NS6detail15normal_iteratorINS9_10device_ptrIyEEEESE_PS5_SF_jNS0_19identity_decomposerENS1_16block_id_wrapperIjLb1EEEEE10hipError_tT1_PNSt15iterator_traitsISK_E10value_typeET2_T3_PNSL_ISQ_E10value_typeET4_T5_PSV_SW_PNS1_23onesweep_lookback_stateEbbT6_jjT7_P12ihipStream_tbENKUlT_T0_SK_SP_E_clISE_PySF_SF_EEDaS13_S14_SK_SP_EUlS13_E_NS1_11comp_targetILNS1_3genE10ELNS1_11target_archE1201ELNS1_3gpuE5ELNS1_3repE0EEENS1_47radix_sort_onesweep_sort_config_static_selectorELNS0_4arch9wavefront6targetE1EEEvSK_,@function
_ZN7rocprim17ROCPRIM_400000_NS6detail17trampoline_kernelINS0_14default_configENS1_35radix_sort_onesweep_config_selectorIyNS0_10empty_typeEEEZZNS1_29radix_sort_onesweep_iterationIS3_Lb0EN6thrust23THRUST_200600_302600_NS6detail15normal_iteratorINS9_10device_ptrIyEEEESE_PS5_SF_jNS0_19identity_decomposerENS1_16block_id_wrapperIjLb1EEEEE10hipError_tT1_PNSt15iterator_traitsISK_E10value_typeET2_T3_PNSL_ISQ_E10value_typeET4_T5_PSV_SW_PNS1_23onesweep_lookback_stateEbbT6_jjT7_P12ihipStream_tbENKUlT_T0_SK_SP_E_clISE_PySF_SF_EEDaS13_S14_SK_SP_EUlS13_E_NS1_11comp_targetILNS1_3genE10ELNS1_11target_archE1201ELNS1_3gpuE5ELNS1_3repE0EEENS1_47radix_sort_onesweep_sort_config_static_selectorELNS0_4arch9wavefront6targetE1EEEvSK_: ; @_ZN7rocprim17ROCPRIM_400000_NS6detail17trampoline_kernelINS0_14default_configENS1_35radix_sort_onesweep_config_selectorIyNS0_10empty_typeEEEZZNS1_29radix_sort_onesweep_iterationIS3_Lb0EN6thrust23THRUST_200600_302600_NS6detail15normal_iteratorINS9_10device_ptrIyEEEESE_PS5_SF_jNS0_19identity_decomposerENS1_16block_id_wrapperIjLb1EEEEE10hipError_tT1_PNSt15iterator_traitsISK_E10value_typeET2_T3_PNSL_ISQ_E10value_typeET4_T5_PSV_SW_PNS1_23onesweep_lookback_stateEbbT6_jjT7_P12ihipStream_tbENKUlT_T0_SK_SP_E_clISE_PySF_SF_EEDaS13_S14_SK_SP_EUlS13_E_NS1_11comp_targetILNS1_3genE10ELNS1_11target_archE1201ELNS1_3gpuE5ELNS1_3repE0EEENS1_47radix_sort_onesweep_sort_config_static_selectorELNS0_4arch9wavefront6targetE1EEEvSK_
; %bb.0:
	.section	.rodata,"a",@progbits
	.p2align	6, 0x0
	.amdhsa_kernel _ZN7rocprim17ROCPRIM_400000_NS6detail17trampoline_kernelINS0_14default_configENS1_35radix_sort_onesweep_config_selectorIyNS0_10empty_typeEEEZZNS1_29radix_sort_onesweep_iterationIS3_Lb0EN6thrust23THRUST_200600_302600_NS6detail15normal_iteratorINS9_10device_ptrIyEEEESE_PS5_SF_jNS0_19identity_decomposerENS1_16block_id_wrapperIjLb1EEEEE10hipError_tT1_PNSt15iterator_traitsISK_E10value_typeET2_T3_PNSL_ISQ_E10value_typeET4_T5_PSV_SW_PNS1_23onesweep_lookback_stateEbbT6_jjT7_P12ihipStream_tbENKUlT_T0_SK_SP_E_clISE_PySF_SF_EEDaS13_S14_SK_SP_EUlS13_E_NS1_11comp_targetILNS1_3genE10ELNS1_11target_archE1201ELNS1_3gpuE5ELNS1_3repE0EEENS1_47radix_sort_onesweep_sort_config_static_selectorELNS0_4arch9wavefront6targetE1EEEvSK_
		.amdhsa_group_segment_fixed_size 0
		.amdhsa_private_segment_fixed_size 0
		.amdhsa_kernarg_size 88
		.amdhsa_user_sgpr_count 2
		.amdhsa_user_sgpr_dispatch_ptr 0
		.amdhsa_user_sgpr_queue_ptr 0
		.amdhsa_user_sgpr_kernarg_segment_ptr 1
		.amdhsa_user_sgpr_dispatch_id 0
		.amdhsa_user_sgpr_kernarg_preload_length 0
		.amdhsa_user_sgpr_kernarg_preload_offset 0
		.amdhsa_user_sgpr_private_segment_size 0
		.amdhsa_uses_dynamic_stack 0
		.amdhsa_enable_private_segment 0
		.amdhsa_system_sgpr_workgroup_id_x 1
		.amdhsa_system_sgpr_workgroup_id_y 0
		.amdhsa_system_sgpr_workgroup_id_z 0
		.amdhsa_system_sgpr_workgroup_info 0
		.amdhsa_system_vgpr_workitem_id 0
		.amdhsa_next_free_vgpr 1
		.amdhsa_next_free_sgpr 0
		.amdhsa_accum_offset 4
		.amdhsa_reserve_vcc 0
		.amdhsa_float_round_mode_32 0
		.amdhsa_float_round_mode_16_64 0
		.amdhsa_float_denorm_mode_32 3
		.amdhsa_float_denorm_mode_16_64 3
		.amdhsa_dx10_clamp 1
		.amdhsa_ieee_mode 1
		.amdhsa_fp16_overflow 0
		.amdhsa_tg_split 0
		.amdhsa_exception_fp_ieee_invalid_op 0
		.amdhsa_exception_fp_denorm_src 0
		.amdhsa_exception_fp_ieee_div_zero 0
		.amdhsa_exception_fp_ieee_overflow 0
		.amdhsa_exception_fp_ieee_underflow 0
		.amdhsa_exception_fp_ieee_inexact 0
		.amdhsa_exception_int_div_zero 0
	.end_amdhsa_kernel
	.section	.text._ZN7rocprim17ROCPRIM_400000_NS6detail17trampoline_kernelINS0_14default_configENS1_35radix_sort_onesweep_config_selectorIyNS0_10empty_typeEEEZZNS1_29radix_sort_onesweep_iterationIS3_Lb0EN6thrust23THRUST_200600_302600_NS6detail15normal_iteratorINS9_10device_ptrIyEEEESE_PS5_SF_jNS0_19identity_decomposerENS1_16block_id_wrapperIjLb1EEEEE10hipError_tT1_PNSt15iterator_traitsISK_E10value_typeET2_T3_PNSL_ISQ_E10value_typeET4_T5_PSV_SW_PNS1_23onesweep_lookback_stateEbbT6_jjT7_P12ihipStream_tbENKUlT_T0_SK_SP_E_clISE_PySF_SF_EEDaS13_S14_SK_SP_EUlS13_E_NS1_11comp_targetILNS1_3genE10ELNS1_11target_archE1201ELNS1_3gpuE5ELNS1_3repE0EEENS1_47radix_sort_onesweep_sort_config_static_selectorELNS0_4arch9wavefront6targetE1EEEvSK_,"axG",@progbits,_ZN7rocprim17ROCPRIM_400000_NS6detail17trampoline_kernelINS0_14default_configENS1_35radix_sort_onesweep_config_selectorIyNS0_10empty_typeEEEZZNS1_29radix_sort_onesweep_iterationIS3_Lb0EN6thrust23THRUST_200600_302600_NS6detail15normal_iteratorINS9_10device_ptrIyEEEESE_PS5_SF_jNS0_19identity_decomposerENS1_16block_id_wrapperIjLb1EEEEE10hipError_tT1_PNSt15iterator_traitsISK_E10value_typeET2_T3_PNSL_ISQ_E10value_typeET4_T5_PSV_SW_PNS1_23onesweep_lookback_stateEbbT6_jjT7_P12ihipStream_tbENKUlT_T0_SK_SP_E_clISE_PySF_SF_EEDaS13_S14_SK_SP_EUlS13_E_NS1_11comp_targetILNS1_3genE10ELNS1_11target_archE1201ELNS1_3gpuE5ELNS1_3repE0EEENS1_47radix_sort_onesweep_sort_config_static_selectorELNS0_4arch9wavefront6targetE1EEEvSK_,comdat
.Lfunc_end879:
	.size	_ZN7rocprim17ROCPRIM_400000_NS6detail17trampoline_kernelINS0_14default_configENS1_35radix_sort_onesweep_config_selectorIyNS0_10empty_typeEEEZZNS1_29radix_sort_onesweep_iterationIS3_Lb0EN6thrust23THRUST_200600_302600_NS6detail15normal_iteratorINS9_10device_ptrIyEEEESE_PS5_SF_jNS0_19identity_decomposerENS1_16block_id_wrapperIjLb1EEEEE10hipError_tT1_PNSt15iterator_traitsISK_E10value_typeET2_T3_PNSL_ISQ_E10value_typeET4_T5_PSV_SW_PNS1_23onesweep_lookback_stateEbbT6_jjT7_P12ihipStream_tbENKUlT_T0_SK_SP_E_clISE_PySF_SF_EEDaS13_S14_SK_SP_EUlS13_E_NS1_11comp_targetILNS1_3genE10ELNS1_11target_archE1201ELNS1_3gpuE5ELNS1_3repE0EEENS1_47radix_sort_onesweep_sort_config_static_selectorELNS0_4arch9wavefront6targetE1EEEvSK_, .Lfunc_end879-_ZN7rocprim17ROCPRIM_400000_NS6detail17trampoline_kernelINS0_14default_configENS1_35radix_sort_onesweep_config_selectorIyNS0_10empty_typeEEEZZNS1_29radix_sort_onesweep_iterationIS3_Lb0EN6thrust23THRUST_200600_302600_NS6detail15normal_iteratorINS9_10device_ptrIyEEEESE_PS5_SF_jNS0_19identity_decomposerENS1_16block_id_wrapperIjLb1EEEEE10hipError_tT1_PNSt15iterator_traitsISK_E10value_typeET2_T3_PNSL_ISQ_E10value_typeET4_T5_PSV_SW_PNS1_23onesweep_lookback_stateEbbT6_jjT7_P12ihipStream_tbENKUlT_T0_SK_SP_E_clISE_PySF_SF_EEDaS13_S14_SK_SP_EUlS13_E_NS1_11comp_targetILNS1_3genE10ELNS1_11target_archE1201ELNS1_3gpuE5ELNS1_3repE0EEENS1_47radix_sort_onesweep_sort_config_static_selectorELNS0_4arch9wavefront6targetE1EEEvSK_
                                        ; -- End function
	.section	.AMDGPU.csdata,"",@progbits
; Kernel info:
; codeLenInByte = 0
; NumSgprs: 6
; NumVgprs: 0
; NumAgprs: 0
; TotalNumVgprs: 0
; ScratchSize: 0
; MemoryBound: 0
; FloatMode: 240
; IeeeMode: 1
; LDSByteSize: 0 bytes/workgroup (compile time only)
; SGPRBlocks: 0
; VGPRBlocks: 0
; NumSGPRsForWavesPerEU: 6
; NumVGPRsForWavesPerEU: 1
; AccumOffset: 4
; Occupancy: 8
; WaveLimiterHint : 0
; COMPUTE_PGM_RSRC2:SCRATCH_EN: 0
; COMPUTE_PGM_RSRC2:USER_SGPR: 2
; COMPUTE_PGM_RSRC2:TRAP_HANDLER: 0
; COMPUTE_PGM_RSRC2:TGID_X_EN: 1
; COMPUTE_PGM_RSRC2:TGID_Y_EN: 0
; COMPUTE_PGM_RSRC2:TGID_Z_EN: 0
; COMPUTE_PGM_RSRC2:TIDIG_COMP_CNT: 0
; COMPUTE_PGM_RSRC3_GFX90A:ACCUM_OFFSET: 0
; COMPUTE_PGM_RSRC3_GFX90A:TG_SPLIT: 0
	.section	.text._ZN7rocprim17ROCPRIM_400000_NS6detail17trampoline_kernelINS0_14default_configENS1_35radix_sort_onesweep_config_selectorIyNS0_10empty_typeEEEZZNS1_29radix_sort_onesweep_iterationIS3_Lb0EN6thrust23THRUST_200600_302600_NS6detail15normal_iteratorINS9_10device_ptrIyEEEESE_PS5_SF_jNS0_19identity_decomposerENS1_16block_id_wrapperIjLb1EEEEE10hipError_tT1_PNSt15iterator_traitsISK_E10value_typeET2_T3_PNSL_ISQ_E10value_typeET4_T5_PSV_SW_PNS1_23onesweep_lookback_stateEbbT6_jjT7_P12ihipStream_tbENKUlT_T0_SK_SP_E_clISE_PySF_SF_EEDaS13_S14_SK_SP_EUlS13_E_NS1_11comp_targetILNS1_3genE9ELNS1_11target_archE1100ELNS1_3gpuE3ELNS1_3repE0EEENS1_47radix_sort_onesweep_sort_config_static_selectorELNS0_4arch9wavefront6targetE1EEEvSK_,"axG",@progbits,_ZN7rocprim17ROCPRIM_400000_NS6detail17trampoline_kernelINS0_14default_configENS1_35radix_sort_onesweep_config_selectorIyNS0_10empty_typeEEEZZNS1_29radix_sort_onesweep_iterationIS3_Lb0EN6thrust23THRUST_200600_302600_NS6detail15normal_iteratorINS9_10device_ptrIyEEEESE_PS5_SF_jNS0_19identity_decomposerENS1_16block_id_wrapperIjLb1EEEEE10hipError_tT1_PNSt15iterator_traitsISK_E10value_typeET2_T3_PNSL_ISQ_E10value_typeET4_T5_PSV_SW_PNS1_23onesweep_lookback_stateEbbT6_jjT7_P12ihipStream_tbENKUlT_T0_SK_SP_E_clISE_PySF_SF_EEDaS13_S14_SK_SP_EUlS13_E_NS1_11comp_targetILNS1_3genE9ELNS1_11target_archE1100ELNS1_3gpuE3ELNS1_3repE0EEENS1_47radix_sort_onesweep_sort_config_static_selectorELNS0_4arch9wavefront6targetE1EEEvSK_,comdat
	.protected	_ZN7rocprim17ROCPRIM_400000_NS6detail17trampoline_kernelINS0_14default_configENS1_35radix_sort_onesweep_config_selectorIyNS0_10empty_typeEEEZZNS1_29radix_sort_onesweep_iterationIS3_Lb0EN6thrust23THRUST_200600_302600_NS6detail15normal_iteratorINS9_10device_ptrIyEEEESE_PS5_SF_jNS0_19identity_decomposerENS1_16block_id_wrapperIjLb1EEEEE10hipError_tT1_PNSt15iterator_traitsISK_E10value_typeET2_T3_PNSL_ISQ_E10value_typeET4_T5_PSV_SW_PNS1_23onesweep_lookback_stateEbbT6_jjT7_P12ihipStream_tbENKUlT_T0_SK_SP_E_clISE_PySF_SF_EEDaS13_S14_SK_SP_EUlS13_E_NS1_11comp_targetILNS1_3genE9ELNS1_11target_archE1100ELNS1_3gpuE3ELNS1_3repE0EEENS1_47radix_sort_onesweep_sort_config_static_selectorELNS0_4arch9wavefront6targetE1EEEvSK_ ; -- Begin function _ZN7rocprim17ROCPRIM_400000_NS6detail17trampoline_kernelINS0_14default_configENS1_35radix_sort_onesweep_config_selectorIyNS0_10empty_typeEEEZZNS1_29radix_sort_onesweep_iterationIS3_Lb0EN6thrust23THRUST_200600_302600_NS6detail15normal_iteratorINS9_10device_ptrIyEEEESE_PS5_SF_jNS0_19identity_decomposerENS1_16block_id_wrapperIjLb1EEEEE10hipError_tT1_PNSt15iterator_traitsISK_E10value_typeET2_T3_PNSL_ISQ_E10value_typeET4_T5_PSV_SW_PNS1_23onesweep_lookback_stateEbbT6_jjT7_P12ihipStream_tbENKUlT_T0_SK_SP_E_clISE_PySF_SF_EEDaS13_S14_SK_SP_EUlS13_E_NS1_11comp_targetILNS1_3genE9ELNS1_11target_archE1100ELNS1_3gpuE3ELNS1_3repE0EEENS1_47radix_sort_onesweep_sort_config_static_selectorELNS0_4arch9wavefront6targetE1EEEvSK_
	.globl	_ZN7rocprim17ROCPRIM_400000_NS6detail17trampoline_kernelINS0_14default_configENS1_35radix_sort_onesweep_config_selectorIyNS0_10empty_typeEEEZZNS1_29radix_sort_onesweep_iterationIS3_Lb0EN6thrust23THRUST_200600_302600_NS6detail15normal_iteratorINS9_10device_ptrIyEEEESE_PS5_SF_jNS0_19identity_decomposerENS1_16block_id_wrapperIjLb1EEEEE10hipError_tT1_PNSt15iterator_traitsISK_E10value_typeET2_T3_PNSL_ISQ_E10value_typeET4_T5_PSV_SW_PNS1_23onesweep_lookback_stateEbbT6_jjT7_P12ihipStream_tbENKUlT_T0_SK_SP_E_clISE_PySF_SF_EEDaS13_S14_SK_SP_EUlS13_E_NS1_11comp_targetILNS1_3genE9ELNS1_11target_archE1100ELNS1_3gpuE3ELNS1_3repE0EEENS1_47radix_sort_onesweep_sort_config_static_selectorELNS0_4arch9wavefront6targetE1EEEvSK_
	.p2align	8
	.type	_ZN7rocprim17ROCPRIM_400000_NS6detail17trampoline_kernelINS0_14default_configENS1_35radix_sort_onesweep_config_selectorIyNS0_10empty_typeEEEZZNS1_29radix_sort_onesweep_iterationIS3_Lb0EN6thrust23THRUST_200600_302600_NS6detail15normal_iteratorINS9_10device_ptrIyEEEESE_PS5_SF_jNS0_19identity_decomposerENS1_16block_id_wrapperIjLb1EEEEE10hipError_tT1_PNSt15iterator_traitsISK_E10value_typeET2_T3_PNSL_ISQ_E10value_typeET4_T5_PSV_SW_PNS1_23onesweep_lookback_stateEbbT6_jjT7_P12ihipStream_tbENKUlT_T0_SK_SP_E_clISE_PySF_SF_EEDaS13_S14_SK_SP_EUlS13_E_NS1_11comp_targetILNS1_3genE9ELNS1_11target_archE1100ELNS1_3gpuE3ELNS1_3repE0EEENS1_47radix_sort_onesweep_sort_config_static_selectorELNS0_4arch9wavefront6targetE1EEEvSK_,@function
_ZN7rocprim17ROCPRIM_400000_NS6detail17trampoline_kernelINS0_14default_configENS1_35radix_sort_onesweep_config_selectorIyNS0_10empty_typeEEEZZNS1_29radix_sort_onesweep_iterationIS3_Lb0EN6thrust23THRUST_200600_302600_NS6detail15normal_iteratorINS9_10device_ptrIyEEEESE_PS5_SF_jNS0_19identity_decomposerENS1_16block_id_wrapperIjLb1EEEEE10hipError_tT1_PNSt15iterator_traitsISK_E10value_typeET2_T3_PNSL_ISQ_E10value_typeET4_T5_PSV_SW_PNS1_23onesweep_lookback_stateEbbT6_jjT7_P12ihipStream_tbENKUlT_T0_SK_SP_E_clISE_PySF_SF_EEDaS13_S14_SK_SP_EUlS13_E_NS1_11comp_targetILNS1_3genE9ELNS1_11target_archE1100ELNS1_3gpuE3ELNS1_3repE0EEENS1_47radix_sort_onesweep_sort_config_static_selectorELNS0_4arch9wavefront6targetE1EEEvSK_: ; @_ZN7rocprim17ROCPRIM_400000_NS6detail17trampoline_kernelINS0_14default_configENS1_35radix_sort_onesweep_config_selectorIyNS0_10empty_typeEEEZZNS1_29radix_sort_onesweep_iterationIS3_Lb0EN6thrust23THRUST_200600_302600_NS6detail15normal_iteratorINS9_10device_ptrIyEEEESE_PS5_SF_jNS0_19identity_decomposerENS1_16block_id_wrapperIjLb1EEEEE10hipError_tT1_PNSt15iterator_traitsISK_E10value_typeET2_T3_PNSL_ISQ_E10value_typeET4_T5_PSV_SW_PNS1_23onesweep_lookback_stateEbbT6_jjT7_P12ihipStream_tbENKUlT_T0_SK_SP_E_clISE_PySF_SF_EEDaS13_S14_SK_SP_EUlS13_E_NS1_11comp_targetILNS1_3genE9ELNS1_11target_archE1100ELNS1_3gpuE3ELNS1_3repE0EEENS1_47radix_sort_onesweep_sort_config_static_selectorELNS0_4arch9wavefront6targetE1EEEvSK_
; %bb.0:
	.section	.rodata,"a",@progbits
	.p2align	6, 0x0
	.amdhsa_kernel _ZN7rocprim17ROCPRIM_400000_NS6detail17trampoline_kernelINS0_14default_configENS1_35radix_sort_onesweep_config_selectorIyNS0_10empty_typeEEEZZNS1_29radix_sort_onesweep_iterationIS3_Lb0EN6thrust23THRUST_200600_302600_NS6detail15normal_iteratorINS9_10device_ptrIyEEEESE_PS5_SF_jNS0_19identity_decomposerENS1_16block_id_wrapperIjLb1EEEEE10hipError_tT1_PNSt15iterator_traitsISK_E10value_typeET2_T3_PNSL_ISQ_E10value_typeET4_T5_PSV_SW_PNS1_23onesweep_lookback_stateEbbT6_jjT7_P12ihipStream_tbENKUlT_T0_SK_SP_E_clISE_PySF_SF_EEDaS13_S14_SK_SP_EUlS13_E_NS1_11comp_targetILNS1_3genE9ELNS1_11target_archE1100ELNS1_3gpuE3ELNS1_3repE0EEENS1_47radix_sort_onesweep_sort_config_static_selectorELNS0_4arch9wavefront6targetE1EEEvSK_
		.amdhsa_group_segment_fixed_size 0
		.amdhsa_private_segment_fixed_size 0
		.amdhsa_kernarg_size 88
		.amdhsa_user_sgpr_count 2
		.amdhsa_user_sgpr_dispatch_ptr 0
		.amdhsa_user_sgpr_queue_ptr 0
		.amdhsa_user_sgpr_kernarg_segment_ptr 1
		.amdhsa_user_sgpr_dispatch_id 0
		.amdhsa_user_sgpr_kernarg_preload_length 0
		.amdhsa_user_sgpr_kernarg_preload_offset 0
		.amdhsa_user_sgpr_private_segment_size 0
		.amdhsa_uses_dynamic_stack 0
		.amdhsa_enable_private_segment 0
		.amdhsa_system_sgpr_workgroup_id_x 1
		.amdhsa_system_sgpr_workgroup_id_y 0
		.amdhsa_system_sgpr_workgroup_id_z 0
		.amdhsa_system_sgpr_workgroup_info 0
		.amdhsa_system_vgpr_workitem_id 0
		.amdhsa_next_free_vgpr 1
		.amdhsa_next_free_sgpr 0
		.amdhsa_accum_offset 4
		.amdhsa_reserve_vcc 0
		.amdhsa_float_round_mode_32 0
		.amdhsa_float_round_mode_16_64 0
		.amdhsa_float_denorm_mode_32 3
		.amdhsa_float_denorm_mode_16_64 3
		.amdhsa_dx10_clamp 1
		.amdhsa_ieee_mode 1
		.amdhsa_fp16_overflow 0
		.amdhsa_tg_split 0
		.amdhsa_exception_fp_ieee_invalid_op 0
		.amdhsa_exception_fp_denorm_src 0
		.amdhsa_exception_fp_ieee_div_zero 0
		.amdhsa_exception_fp_ieee_overflow 0
		.amdhsa_exception_fp_ieee_underflow 0
		.amdhsa_exception_fp_ieee_inexact 0
		.amdhsa_exception_int_div_zero 0
	.end_amdhsa_kernel
	.section	.text._ZN7rocprim17ROCPRIM_400000_NS6detail17trampoline_kernelINS0_14default_configENS1_35radix_sort_onesweep_config_selectorIyNS0_10empty_typeEEEZZNS1_29radix_sort_onesweep_iterationIS3_Lb0EN6thrust23THRUST_200600_302600_NS6detail15normal_iteratorINS9_10device_ptrIyEEEESE_PS5_SF_jNS0_19identity_decomposerENS1_16block_id_wrapperIjLb1EEEEE10hipError_tT1_PNSt15iterator_traitsISK_E10value_typeET2_T3_PNSL_ISQ_E10value_typeET4_T5_PSV_SW_PNS1_23onesweep_lookback_stateEbbT6_jjT7_P12ihipStream_tbENKUlT_T0_SK_SP_E_clISE_PySF_SF_EEDaS13_S14_SK_SP_EUlS13_E_NS1_11comp_targetILNS1_3genE9ELNS1_11target_archE1100ELNS1_3gpuE3ELNS1_3repE0EEENS1_47radix_sort_onesweep_sort_config_static_selectorELNS0_4arch9wavefront6targetE1EEEvSK_,"axG",@progbits,_ZN7rocprim17ROCPRIM_400000_NS6detail17trampoline_kernelINS0_14default_configENS1_35radix_sort_onesweep_config_selectorIyNS0_10empty_typeEEEZZNS1_29radix_sort_onesweep_iterationIS3_Lb0EN6thrust23THRUST_200600_302600_NS6detail15normal_iteratorINS9_10device_ptrIyEEEESE_PS5_SF_jNS0_19identity_decomposerENS1_16block_id_wrapperIjLb1EEEEE10hipError_tT1_PNSt15iterator_traitsISK_E10value_typeET2_T3_PNSL_ISQ_E10value_typeET4_T5_PSV_SW_PNS1_23onesweep_lookback_stateEbbT6_jjT7_P12ihipStream_tbENKUlT_T0_SK_SP_E_clISE_PySF_SF_EEDaS13_S14_SK_SP_EUlS13_E_NS1_11comp_targetILNS1_3genE9ELNS1_11target_archE1100ELNS1_3gpuE3ELNS1_3repE0EEENS1_47radix_sort_onesweep_sort_config_static_selectorELNS0_4arch9wavefront6targetE1EEEvSK_,comdat
.Lfunc_end880:
	.size	_ZN7rocprim17ROCPRIM_400000_NS6detail17trampoline_kernelINS0_14default_configENS1_35radix_sort_onesweep_config_selectorIyNS0_10empty_typeEEEZZNS1_29radix_sort_onesweep_iterationIS3_Lb0EN6thrust23THRUST_200600_302600_NS6detail15normal_iteratorINS9_10device_ptrIyEEEESE_PS5_SF_jNS0_19identity_decomposerENS1_16block_id_wrapperIjLb1EEEEE10hipError_tT1_PNSt15iterator_traitsISK_E10value_typeET2_T3_PNSL_ISQ_E10value_typeET4_T5_PSV_SW_PNS1_23onesweep_lookback_stateEbbT6_jjT7_P12ihipStream_tbENKUlT_T0_SK_SP_E_clISE_PySF_SF_EEDaS13_S14_SK_SP_EUlS13_E_NS1_11comp_targetILNS1_3genE9ELNS1_11target_archE1100ELNS1_3gpuE3ELNS1_3repE0EEENS1_47radix_sort_onesweep_sort_config_static_selectorELNS0_4arch9wavefront6targetE1EEEvSK_, .Lfunc_end880-_ZN7rocprim17ROCPRIM_400000_NS6detail17trampoline_kernelINS0_14default_configENS1_35radix_sort_onesweep_config_selectorIyNS0_10empty_typeEEEZZNS1_29radix_sort_onesweep_iterationIS3_Lb0EN6thrust23THRUST_200600_302600_NS6detail15normal_iteratorINS9_10device_ptrIyEEEESE_PS5_SF_jNS0_19identity_decomposerENS1_16block_id_wrapperIjLb1EEEEE10hipError_tT1_PNSt15iterator_traitsISK_E10value_typeET2_T3_PNSL_ISQ_E10value_typeET4_T5_PSV_SW_PNS1_23onesweep_lookback_stateEbbT6_jjT7_P12ihipStream_tbENKUlT_T0_SK_SP_E_clISE_PySF_SF_EEDaS13_S14_SK_SP_EUlS13_E_NS1_11comp_targetILNS1_3genE9ELNS1_11target_archE1100ELNS1_3gpuE3ELNS1_3repE0EEENS1_47radix_sort_onesweep_sort_config_static_selectorELNS0_4arch9wavefront6targetE1EEEvSK_
                                        ; -- End function
	.section	.AMDGPU.csdata,"",@progbits
; Kernel info:
; codeLenInByte = 0
; NumSgprs: 6
; NumVgprs: 0
; NumAgprs: 0
; TotalNumVgprs: 0
; ScratchSize: 0
; MemoryBound: 0
; FloatMode: 240
; IeeeMode: 1
; LDSByteSize: 0 bytes/workgroup (compile time only)
; SGPRBlocks: 0
; VGPRBlocks: 0
; NumSGPRsForWavesPerEU: 6
; NumVGPRsForWavesPerEU: 1
; AccumOffset: 4
; Occupancy: 8
; WaveLimiterHint : 0
; COMPUTE_PGM_RSRC2:SCRATCH_EN: 0
; COMPUTE_PGM_RSRC2:USER_SGPR: 2
; COMPUTE_PGM_RSRC2:TRAP_HANDLER: 0
; COMPUTE_PGM_RSRC2:TGID_X_EN: 1
; COMPUTE_PGM_RSRC2:TGID_Y_EN: 0
; COMPUTE_PGM_RSRC2:TGID_Z_EN: 0
; COMPUTE_PGM_RSRC2:TIDIG_COMP_CNT: 0
; COMPUTE_PGM_RSRC3_GFX90A:ACCUM_OFFSET: 0
; COMPUTE_PGM_RSRC3_GFX90A:TG_SPLIT: 0
	.section	.text._ZN7rocprim17ROCPRIM_400000_NS6detail17trampoline_kernelINS0_14default_configENS1_35radix_sort_onesweep_config_selectorIyNS0_10empty_typeEEEZZNS1_29radix_sort_onesweep_iterationIS3_Lb0EN6thrust23THRUST_200600_302600_NS6detail15normal_iteratorINS9_10device_ptrIyEEEESE_PS5_SF_jNS0_19identity_decomposerENS1_16block_id_wrapperIjLb1EEEEE10hipError_tT1_PNSt15iterator_traitsISK_E10value_typeET2_T3_PNSL_ISQ_E10value_typeET4_T5_PSV_SW_PNS1_23onesweep_lookback_stateEbbT6_jjT7_P12ihipStream_tbENKUlT_T0_SK_SP_E_clISE_PySF_SF_EEDaS13_S14_SK_SP_EUlS13_E_NS1_11comp_targetILNS1_3genE8ELNS1_11target_archE1030ELNS1_3gpuE2ELNS1_3repE0EEENS1_47radix_sort_onesweep_sort_config_static_selectorELNS0_4arch9wavefront6targetE1EEEvSK_,"axG",@progbits,_ZN7rocprim17ROCPRIM_400000_NS6detail17trampoline_kernelINS0_14default_configENS1_35radix_sort_onesweep_config_selectorIyNS0_10empty_typeEEEZZNS1_29radix_sort_onesweep_iterationIS3_Lb0EN6thrust23THRUST_200600_302600_NS6detail15normal_iteratorINS9_10device_ptrIyEEEESE_PS5_SF_jNS0_19identity_decomposerENS1_16block_id_wrapperIjLb1EEEEE10hipError_tT1_PNSt15iterator_traitsISK_E10value_typeET2_T3_PNSL_ISQ_E10value_typeET4_T5_PSV_SW_PNS1_23onesweep_lookback_stateEbbT6_jjT7_P12ihipStream_tbENKUlT_T0_SK_SP_E_clISE_PySF_SF_EEDaS13_S14_SK_SP_EUlS13_E_NS1_11comp_targetILNS1_3genE8ELNS1_11target_archE1030ELNS1_3gpuE2ELNS1_3repE0EEENS1_47radix_sort_onesweep_sort_config_static_selectorELNS0_4arch9wavefront6targetE1EEEvSK_,comdat
	.protected	_ZN7rocprim17ROCPRIM_400000_NS6detail17trampoline_kernelINS0_14default_configENS1_35radix_sort_onesweep_config_selectorIyNS0_10empty_typeEEEZZNS1_29radix_sort_onesweep_iterationIS3_Lb0EN6thrust23THRUST_200600_302600_NS6detail15normal_iteratorINS9_10device_ptrIyEEEESE_PS5_SF_jNS0_19identity_decomposerENS1_16block_id_wrapperIjLb1EEEEE10hipError_tT1_PNSt15iterator_traitsISK_E10value_typeET2_T3_PNSL_ISQ_E10value_typeET4_T5_PSV_SW_PNS1_23onesweep_lookback_stateEbbT6_jjT7_P12ihipStream_tbENKUlT_T0_SK_SP_E_clISE_PySF_SF_EEDaS13_S14_SK_SP_EUlS13_E_NS1_11comp_targetILNS1_3genE8ELNS1_11target_archE1030ELNS1_3gpuE2ELNS1_3repE0EEENS1_47radix_sort_onesweep_sort_config_static_selectorELNS0_4arch9wavefront6targetE1EEEvSK_ ; -- Begin function _ZN7rocprim17ROCPRIM_400000_NS6detail17trampoline_kernelINS0_14default_configENS1_35radix_sort_onesweep_config_selectorIyNS0_10empty_typeEEEZZNS1_29radix_sort_onesweep_iterationIS3_Lb0EN6thrust23THRUST_200600_302600_NS6detail15normal_iteratorINS9_10device_ptrIyEEEESE_PS5_SF_jNS0_19identity_decomposerENS1_16block_id_wrapperIjLb1EEEEE10hipError_tT1_PNSt15iterator_traitsISK_E10value_typeET2_T3_PNSL_ISQ_E10value_typeET4_T5_PSV_SW_PNS1_23onesweep_lookback_stateEbbT6_jjT7_P12ihipStream_tbENKUlT_T0_SK_SP_E_clISE_PySF_SF_EEDaS13_S14_SK_SP_EUlS13_E_NS1_11comp_targetILNS1_3genE8ELNS1_11target_archE1030ELNS1_3gpuE2ELNS1_3repE0EEENS1_47radix_sort_onesweep_sort_config_static_selectorELNS0_4arch9wavefront6targetE1EEEvSK_
	.globl	_ZN7rocprim17ROCPRIM_400000_NS6detail17trampoline_kernelINS0_14default_configENS1_35radix_sort_onesweep_config_selectorIyNS0_10empty_typeEEEZZNS1_29radix_sort_onesweep_iterationIS3_Lb0EN6thrust23THRUST_200600_302600_NS6detail15normal_iteratorINS9_10device_ptrIyEEEESE_PS5_SF_jNS0_19identity_decomposerENS1_16block_id_wrapperIjLb1EEEEE10hipError_tT1_PNSt15iterator_traitsISK_E10value_typeET2_T3_PNSL_ISQ_E10value_typeET4_T5_PSV_SW_PNS1_23onesweep_lookback_stateEbbT6_jjT7_P12ihipStream_tbENKUlT_T0_SK_SP_E_clISE_PySF_SF_EEDaS13_S14_SK_SP_EUlS13_E_NS1_11comp_targetILNS1_3genE8ELNS1_11target_archE1030ELNS1_3gpuE2ELNS1_3repE0EEENS1_47radix_sort_onesweep_sort_config_static_selectorELNS0_4arch9wavefront6targetE1EEEvSK_
	.p2align	8
	.type	_ZN7rocprim17ROCPRIM_400000_NS6detail17trampoline_kernelINS0_14default_configENS1_35radix_sort_onesweep_config_selectorIyNS0_10empty_typeEEEZZNS1_29radix_sort_onesweep_iterationIS3_Lb0EN6thrust23THRUST_200600_302600_NS6detail15normal_iteratorINS9_10device_ptrIyEEEESE_PS5_SF_jNS0_19identity_decomposerENS1_16block_id_wrapperIjLb1EEEEE10hipError_tT1_PNSt15iterator_traitsISK_E10value_typeET2_T3_PNSL_ISQ_E10value_typeET4_T5_PSV_SW_PNS1_23onesweep_lookback_stateEbbT6_jjT7_P12ihipStream_tbENKUlT_T0_SK_SP_E_clISE_PySF_SF_EEDaS13_S14_SK_SP_EUlS13_E_NS1_11comp_targetILNS1_3genE8ELNS1_11target_archE1030ELNS1_3gpuE2ELNS1_3repE0EEENS1_47radix_sort_onesweep_sort_config_static_selectorELNS0_4arch9wavefront6targetE1EEEvSK_,@function
_ZN7rocprim17ROCPRIM_400000_NS6detail17trampoline_kernelINS0_14default_configENS1_35radix_sort_onesweep_config_selectorIyNS0_10empty_typeEEEZZNS1_29radix_sort_onesweep_iterationIS3_Lb0EN6thrust23THRUST_200600_302600_NS6detail15normal_iteratorINS9_10device_ptrIyEEEESE_PS5_SF_jNS0_19identity_decomposerENS1_16block_id_wrapperIjLb1EEEEE10hipError_tT1_PNSt15iterator_traitsISK_E10value_typeET2_T3_PNSL_ISQ_E10value_typeET4_T5_PSV_SW_PNS1_23onesweep_lookback_stateEbbT6_jjT7_P12ihipStream_tbENKUlT_T0_SK_SP_E_clISE_PySF_SF_EEDaS13_S14_SK_SP_EUlS13_E_NS1_11comp_targetILNS1_3genE8ELNS1_11target_archE1030ELNS1_3gpuE2ELNS1_3repE0EEENS1_47radix_sort_onesweep_sort_config_static_selectorELNS0_4arch9wavefront6targetE1EEEvSK_: ; @_ZN7rocprim17ROCPRIM_400000_NS6detail17trampoline_kernelINS0_14default_configENS1_35radix_sort_onesweep_config_selectorIyNS0_10empty_typeEEEZZNS1_29radix_sort_onesweep_iterationIS3_Lb0EN6thrust23THRUST_200600_302600_NS6detail15normal_iteratorINS9_10device_ptrIyEEEESE_PS5_SF_jNS0_19identity_decomposerENS1_16block_id_wrapperIjLb1EEEEE10hipError_tT1_PNSt15iterator_traitsISK_E10value_typeET2_T3_PNSL_ISQ_E10value_typeET4_T5_PSV_SW_PNS1_23onesweep_lookback_stateEbbT6_jjT7_P12ihipStream_tbENKUlT_T0_SK_SP_E_clISE_PySF_SF_EEDaS13_S14_SK_SP_EUlS13_E_NS1_11comp_targetILNS1_3genE8ELNS1_11target_archE1030ELNS1_3gpuE2ELNS1_3repE0EEENS1_47radix_sort_onesweep_sort_config_static_selectorELNS0_4arch9wavefront6targetE1EEEvSK_
; %bb.0:
	.section	.rodata,"a",@progbits
	.p2align	6, 0x0
	.amdhsa_kernel _ZN7rocprim17ROCPRIM_400000_NS6detail17trampoline_kernelINS0_14default_configENS1_35radix_sort_onesweep_config_selectorIyNS0_10empty_typeEEEZZNS1_29radix_sort_onesweep_iterationIS3_Lb0EN6thrust23THRUST_200600_302600_NS6detail15normal_iteratorINS9_10device_ptrIyEEEESE_PS5_SF_jNS0_19identity_decomposerENS1_16block_id_wrapperIjLb1EEEEE10hipError_tT1_PNSt15iterator_traitsISK_E10value_typeET2_T3_PNSL_ISQ_E10value_typeET4_T5_PSV_SW_PNS1_23onesweep_lookback_stateEbbT6_jjT7_P12ihipStream_tbENKUlT_T0_SK_SP_E_clISE_PySF_SF_EEDaS13_S14_SK_SP_EUlS13_E_NS1_11comp_targetILNS1_3genE8ELNS1_11target_archE1030ELNS1_3gpuE2ELNS1_3repE0EEENS1_47radix_sort_onesweep_sort_config_static_selectorELNS0_4arch9wavefront6targetE1EEEvSK_
		.amdhsa_group_segment_fixed_size 0
		.amdhsa_private_segment_fixed_size 0
		.amdhsa_kernarg_size 88
		.amdhsa_user_sgpr_count 2
		.amdhsa_user_sgpr_dispatch_ptr 0
		.amdhsa_user_sgpr_queue_ptr 0
		.amdhsa_user_sgpr_kernarg_segment_ptr 1
		.amdhsa_user_sgpr_dispatch_id 0
		.amdhsa_user_sgpr_kernarg_preload_length 0
		.amdhsa_user_sgpr_kernarg_preload_offset 0
		.amdhsa_user_sgpr_private_segment_size 0
		.amdhsa_uses_dynamic_stack 0
		.amdhsa_enable_private_segment 0
		.amdhsa_system_sgpr_workgroup_id_x 1
		.amdhsa_system_sgpr_workgroup_id_y 0
		.amdhsa_system_sgpr_workgroup_id_z 0
		.amdhsa_system_sgpr_workgroup_info 0
		.amdhsa_system_vgpr_workitem_id 0
		.amdhsa_next_free_vgpr 1
		.amdhsa_next_free_sgpr 0
		.amdhsa_accum_offset 4
		.amdhsa_reserve_vcc 0
		.amdhsa_float_round_mode_32 0
		.amdhsa_float_round_mode_16_64 0
		.amdhsa_float_denorm_mode_32 3
		.amdhsa_float_denorm_mode_16_64 3
		.amdhsa_dx10_clamp 1
		.amdhsa_ieee_mode 1
		.amdhsa_fp16_overflow 0
		.amdhsa_tg_split 0
		.amdhsa_exception_fp_ieee_invalid_op 0
		.amdhsa_exception_fp_denorm_src 0
		.amdhsa_exception_fp_ieee_div_zero 0
		.amdhsa_exception_fp_ieee_overflow 0
		.amdhsa_exception_fp_ieee_underflow 0
		.amdhsa_exception_fp_ieee_inexact 0
		.amdhsa_exception_int_div_zero 0
	.end_amdhsa_kernel
	.section	.text._ZN7rocprim17ROCPRIM_400000_NS6detail17trampoline_kernelINS0_14default_configENS1_35radix_sort_onesweep_config_selectorIyNS0_10empty_typeEEEZZNS1_29radix_sort_onesweep_iterationIS3_Lb0EN6thrust23THRUST_200600_302600_NS6detail15normal_iteratorINS9_10device_ptrIyEEEESE_PS5_SF_jNS0_19identity_decomposerENS1_16block_id_wrapperIjLb1EEEEE10hipError_tT1_PNSt15iterator_traitsISK_E10value_typeET2_T3_PNSL_ISQ_E10value_typeET4_T5_PSV_SW_PNS1_23onesweep_lookback_stateEbbT6_jjT7_P12ihipStream_tbENKUlT_T0_SK_SP_E_clISE_PySF_SF_EEDaS13_S14_SK_SP_EUlS13_E_NS1_11comp_targetILNS1_3genE8ELNS1_11target_archE1030ELNS1_3gpuE2ELNS1_3repE0EEENS1_47radix_sort_onesweep_sort_config_static_selectorELNS0_4arch9wavefront6targetE1EEEvSK_,"axG",@progbits,_ZN7rocprim17ROCPRIM_400000_NS6detail17trampoline_kernelINS0_14default_configENS1_35radix_sort_onesweep_config_selectorIyNS0_10empty_typeEEEZZNS1_29radix_sort_onesweep_iterationIS3_Lb0EN6thrust23THRUST_200600_302600_NS6detail15normal_iteratorINS9_10device_ptrIyEEEESE_PS5_SF_jNS0_19identity_decomposerENS1_16block_id_wrapperIjLb1EEEEE10hipError_tT1_PNSt15iterator_traitsISK_E10value_typeET2_T3_PNSL_ISQ_E10value_typeET4_T5_PSV_SW_PNS1_23onesweep_lookback_stateEbbT6_jjT7_P12ihipStream_tbENKUlT_T0_SK_SP_E_clISE_PySF_SF_EEDaS13_S14_SK_SP_EUlS13_E_NS1_11comp_targetILNS1_3genE8ELNS1_11target_archE1030ELNS1_3gpuE2ELNS1_3repE0EEENS1_47radix_sort_onesweep_sort_config_static_selectorELNS0_4arch9wavefront6targetE1EEEvSK_,comdat
.Lfunc_end881:
	.size	_ZN7rocprim17ROCPRIM_400000_NS6detail17trampoline_kernelINS0_14default_configENS1_35radix_sort_onesweep_config_selectorIyNS0_10empty_typeEEEZZNS1_29radix_sort_onesweep_iterationIS3_Lb0EN6thrust23THRUST_200600_302600_NS6detail15normal_iteratorINS9_10device_ptrIyEEEESE_PS5_SF_jNS0_19identity_decomposerENS1_16block_id_wrapperIjLb1EEEEE10hipError_tT1_PNSt15iterator_traitsISK_E10value_typeET2_T3_PNSL_ISQ_E10value_typeET4_T5_PSV_SW_PNS1_23onesweep_lookback_stateEbbT6_jjT7_P12ihipStream_tbENKUlT_T0_SK_SP_E_clISE_PySF_SF_EEDaS13_S14_SK_SP_EUlS13_E_NS1_11comp_targetILNS1_3genE8ELNS1_11target_archE1030ELNS1_3gpuE2ELNS1_3repE0EEENS1_47radix_sort_onesweep_sort_config_static_selectorELNS0_4arch9wavefront6targetE1EEEvSK_, .Lfunc_end881-_ZN7rocprim17ROCPRIM_400000_NS6detail17trampoline_kernelINS0_14default_configENS1_35radix_sort_onesweep_config_selectorIyNS0_10empty_typeEEEZZNS1_29radix_sort_onesweep_iterationIS3_Lb0EN6thrust23THRUST_200600_302600_NS6detail15normal_iteratorINS9_10device_ptrIyEEEESE_PS5_SF_jNS0_19identity_decomposerENS1_16block_id_wrapperIjLb1EEEEE10hipError_tT1_PNSt15iterator_traitsISK_E10value_typeET2_T3_PNSL_ISQ_E10value_typeET4_T5_PSV_SW_PNS1_23onesweep_lookback_stateEbbT6_jjT7_P12ihipStream_tbENKUlT_T0_SK_SP_E_clISE_PySF_SF_EEDaS13_S14_SK_SP_EUlS13_E_NS1_11comp_targetILNS1_3genE8ELNS1_11target_archE1030ELNS1_3gpuE2ELNS1_3repE0EEENS1_47radix_sort_onesweep_sort_config_static_selectorELNS0_4arch9wavefront6targetE1EEEvSK_
                                        ; -- End function
	.section	.AMDGPU.csdata,"",@progbits
; Kernel info:
; codeLenInByte = 0
; NumSgprs: 6
; NumVgprs: 0
; NumAgprs: 0
; TotalNumVgprs: 0
; ScratchSize: 0
; MemoryBound: 0
; FloatMode: 240
; IeeeMode: 1
; LDSByteSize: 0 bytes/workgroup (compile time only)
; SGPRBlocks: 0
; VGPRBlocks: 0
; NumSGPRsForWavesPerEU: 6
; NumVGPRsForWavesPerEU: 1
; AccumOffset: 4
; Occupancy: 8
; WaveLimiterHint : 0
; COMPUTE_PGM_RSRC2:SCRATCH_EN: 0
; COMPUTE_PGM_RSRC2:USER_SGPR: 2
; COMPUTE_PGM_RSRC2:TRAP_HANDLER: 0
; COMPUTE_PGM_RSRC2:TGID_X_EN: 1
; COMPUTE_PGM_RSRC2:TGID_Y_EN: 0
; COMPUTE_PGM_RSRC2:TGID_Z_EN: 0
; COMPUTE_PGM_RSRC2:TIDIG_COMP_CNT: 0
; COMPUTE_PGM_RSRC3_GFX90A:ACCUM_OFFSET: 0
; COMPUTE_PGM_RSRC3_GFX90A:TG_SPLIT: 0
	.section	.text._ZN7rocprim17ROCPRIM_400000_NS6detail17trampoline_kernelINS0_14default_configENS1_35radix_sort_onesweep_config_selectorIyNS0_10empty_typeEEEZZNS1_29radix_sort_onesweep_iterationIS3_Lb0EN6thrust23THRUST_200600_302600_NS6detail15normal_iteratorINS9_10device_ptrIyEEEESE_PS5_SF_jNS0_19identity_decomposerENS1_16block_id_wrapperIjLb1EEEEE10hipError_tT1_PNSt15iterator_traitsISK_E10value_typeET2_T3_PNSL_ISQ_E10value_typeET4_T5_PSV_SW_PNS1_23onesweep_lookback_stateEbbT6_jjT7_P12ihipStream_tbENKUlT_T0_SK_SP_E_clIPySE_SF_SF_EEDaS13_S14_SK_SP_EUlS13_E_NS1_11comp_targetILNS1_3genE0ELNS1_11target_archE4294967295ELNS1_3gpuE0ELNS1_3repE0EEENS1_47radix_sort_onesweep_sort_config_static_selectorELNS0_4arch9wavefront6targetE1EEEvSK_,"axG",@progbits,_ZN7rocprim17ROCPRIM_400000_NS6detail17trampoline_kernelINS0_14default_configENS1_35radix_sort_onesweep_config_selectorIyNS0_10empty_typeEEEZZNS1_29radix_sort_onesweep_iterationIS3_Lb0EN6thrust23THRUST_200600_302600_NS6detail15normal_iteratorINS9_10device_ptrIyEEEESE_PS5_SF_jNS0_19identity_decomposerENS1_16block_id_wrapperIjLb1EEEEE10hipError_tT1_PNSt15iterator_traitsISK_E10value_typeET2_T3_PNSL_ISQ_E10value_typeET4_T5_PSV_SW_PNS1_23onesweep_lookback_stateEbbT6_jjT7_P12ihipStream_tbENKUlT_T0_SK_SP_E_clIPySE_SF_SF_EEDaS13_S14_SK_SP_EUlS13_E_NS1_11comp_targetILNS1_3genE0ELNS1_11target_archE4294967295ELNS1_3gpuE0ELNS1_3repE0EEENS1_47radix_sort_onesweep_sort_config_static_selectorELNS0_4arch9wavefront6targetE1EEEvSK_,comdat
	.protected	_ZN7rocprim17ROCPRIM_400000_NS6detail17trampoline_kernelINS0_14default_configENS1_35radix_sort_onesweep_config_selectorIyNS0_10empty_typeEEEZZNS1_29radix_sort_onesweep_iterationIS3_Lb0EN6thrust23THRUST_200600_302600_NS6detail15normal_iteratorINS9_10device_ptrIyEEEESE_PS5_SF_jNS0_19identity_decomposerENS1_16block_id_wrapperIjLb1EEEEE10hipError_tT1_PNSt15iterator_traitsISK_E10value_typeET2_T3_PNSL_ISQ_E10value_typeET4_T5_PSV_SW_PNS1_23onesweep_lookback_stateEbbT6_jjT7_P12ihipStream_tbENKUlT_T0_SK_SP_E_clIPySE_SF_SF_EEDaS13_S14_SK_SP_EUlS13_E_NS1_11comp_targetILNS1_3genE0ELNS1_11target_archE4294967295ELNS1_3gpuE0ELNS1_3repE0EEENS1_47radix_sort_onesweep_sort_config_static_selectorELNS0_4arch9wavefront6targetE1EEEvSK_ ; -- Begin function _ZN7rocprim17ROCPRIM_400000_NS6detail17trampoline_kernelINS0_14default_configENS1_35radix_sort_onesweep_config_selectorIyNS0_10empty_typeEEEZZNS1_29radix_sort_onesweep_iterationIS3_Lb0EN6thrust23THRUST_200600_302600_NS6detail15normal_iteratorINS9_10device_ptrIyEEEESE_PS5_SF_jNS0_19identity_decomposerENS1_16block_id_wrapperIjLb1EEEEE10hipError_tT1_PNSt15iterator_traitsISK_E10value_typeET2_T3_PNSL_ISQ_E10value_typeET4_T5_PSV_SW_PNS1_23onesweep_lookback_stateEbbT6_jjT7_P12ihipStream_tbENKUlT_T0_SK_SP_E_clIPySE_SF_SF_EEDaS13_S14_SK_SP_EUlS13_E_NS1_11comp_targetILNS1_3genE0ELNS1_11target_archE4294967295ELNS1_3gpuE0ELNS1_3repE0EEENS1_47radix_sort_onesweep_sort_config_static_selectorELNS0_4arch9wavefront6targetE1EEEvSK_
	.globl	_ZN7rocprim17ROCPRIM_400000_NS6detail17trampoline_kernelINS0_14default_configENS1_35radix_sort_onesweep_config_selectorIyNS0_10empty_typeEEEZZNS1_29radix_sort_onesweep_iterationIS3_Lb0EN6thrust23THRUST_200600_302600_NS6detail15normal_iteratorINS9_10device_ptrIyEEEESE_PS5_SF_jNS0_19identity_decomposerENS1_16block_id_wrapperIjLb1EEEEE10hipError_tT1_PNSt15iterator_traitsISK_E10value_typeET2_T3_PNSL_ISQ_E10value_typeET4_T5_PSV_SW_PNS1_23onesweep_lookback_stateEbbT6_jjT7_P12ihipStream_tbENKUlT_T0_SK_SP_E_clIPySE_SF_SF_EEDaS13_S14_SK_SP_EUlS13_E_NS1_11comp_targetILNS1_3genE0ELNS1_11target_archE4294967295ELNS1_3gpuE0ELNS1_3repE0EEENS1_47radix_sort_onesweep_sort_config_static_selectorELNS0_4arch9wavefront6targetE1EEEvSK_
	.p2align	8
	.type	_ZN7rocprim17ROCPRIM_400000_NS6detail17trampoline_kernelINS0_14default_configENS1_35radix_sort_onesweep_config_selectorIyNS0_10empty_typeEEEZZNS1_29radix_sort_onesweep_iterationIS3_Lb0EN6thrust23THRUST_200600_302600_NS6detail15normal_iteratorINS9_10device_ptrIyEEEESE_PS5_SF_jNS0_19identity_decomposerENS1_16block_id_wrapperIjLb1EEEEE10hipError_tT1_PNSt15iterator_traitsISK_E10value_typeET2_T3_PNSL_ISQ_E10value_typeET4_T5_PSV_SW_PNS1_23onesweep_lookback_stateEbbT6_jjT7_P12ihipStream_tbENKUlT_T0_SK_SP_E_clIPySE_SF_SF_EEDaS13_S14_SK_SP_EUlS13_E_NS1_11comp_targetILNS1_3genE0ELNS1_11target_archE4294967295ELNS1_3gpuE0ELNS1_3repE0EEENS1_47radix_sort_onesweep_sort_config_static_selectorELNS0_4arch9wavefront6targetE1EEEvSK_,@function
_ZN7rocprim17ROCPRIM_400000_NS6detail17trampoline_kernelINS0_14default_configENS1_35radix_sort_onesweep_config_selectorIyNS0_10empty_typeEEEZZNS1_29radix_sort_onesweep_iterationIS3_Lb0EN6thrust23THRUST_200600_302600_NS6detail15normal_iteratorINS9_10device_ptrIyEEEESE_PS5_SF_jNS0_19identity_decomposerENS1_16block_id_wrapperIjLb1EEEEE10hipError_tT1_PNSt15iterator_traitsISK_E10value_typeET2_T3_PNSL_ISQ_E10value_typeET4_T5_PSV_SW_PNS1_23onesweep_lookback_stateEbbT6_jjT7_P12ihipStream_tbENKUlT_T0_SK_SP_E_clIPySE_SF_SF_EEDaS13_S14_SK_SP_EUlS13_E_NS1_11comp_targetILNS1_3genE0ELNS1_11target_archE4294967295ELNS1_3gpuE0ELNS1_3repE0EEENS1_47radix_sort_onesweep_sort_config_static_selectorELNS0_4arch9wavefront6targetE1EEEvSK_: ; @_ZN7rocprim17ROCPRIM_400000_NS6detail17trampoline_kernelINS0_14default_configENS1_35radix_sort_onesweep_config_selectorIyNS0_10empty_typeEEEZZNS1_29radix_sort_onesweep_iterationIS3_Lb0EN6thrust23THRUST_200600_302600_NS6detail15normal_iteratorINS9_10device_ptrIyEEEESE_PS5_SF_jNS0_19identity_decomposerENS1_16block_id_wrapperIjLb1EEEEE10hipError_tT1_PNSt15iterator_traitsISK_E10value_typeET2_T3_PNSL_ISQ_E10value_typeET4_T5_PSV_SW_PNS1_23onesweep_lookback_stateEbbT6_jjT7_P12ihipStream_tbENKUlT_T0_SK_SP_E_clIPySE_SF_SF_EEDaS13_S14_SK_SP_EUlS13_E_NS1_11comp_targetILNS1_3genE0ELNS1_11target_archE4294967295ELNS1_3gpuE0ELNS1_3repE0EEENS1_47radix_sort_onesweep_sort_config_static_selectorELNS0_4arch9wavefront6targetE1EEEvSK_
; %bb.0:
	.section	.rodata,"a",@progbits
	.p2align	6, 0x0
	.amdhsa_kernel _ZN7rocprim17ROCPRIM_400000_NS6detail17trampoline_kernelINS0_14default_configENS1_35radix_sort_onesweep_config_selectorIyNS0_10empty_typeEEEZZNS1_29radix_sort_onesweep_iterationIS3_Lb0EN6thrust23THRUST_200600_302600_NS6detail15normal_iteratorINS9_10device_ptrIyEEEESE_PS5_SF_jNS0_19identity_decomposerENS1_16block_id_wrapperIjLb1EEEEE10hipError_tT1_PNSt15iterator_traitsISK_E10value_typeET2_T3_PNSL_ISQ_E10value_typeET4_T5_PSV_SW_PNS1_23onesweep_lookback_stateEbbT6_jjT7_P12ihipStream_tbENKUlT_T0_SK_SP_E_clIPySE_SF_SF_EEDaS13_S14_SK_SP_EUlS13_E_NS1_11comp_targetILNS1_3genE0ELNS1_11target_archE4294967295ELNS1_3gpuE0ELNS1_3repE0EEENS1_47radix_sort_onesweep_sort_config_static_selectorELNS0_4arch9wavefront6targetE1EEEvSK_
		.amdhsa_group_segment_fixed_size 0
		.amdhsa_private_segment_fixed_size 0
		.amdhsa_kernarg_size 88
		.amdhsa_user_sgpr_count 2
		.amdhsa_user_sgpr_dispatch_ptr 0
		.amdhsa_user_sgpr_queue_ptr 0
		.amdhsa_user_sgpr_kernarg_segment_ptr 1
		.amdhsa_user_sgpr_dispatch_id 0
		.amdhsa_user_sgpr_kernarg_preload_length 0
		.amdhsa_user_sgpr_kernarg_preload_offset 0
		.amdhsa_user_sgpr_private_segment_size 0
		.amdhsa_uses_dynamic_stack 0
		.amdhsa_enable_private_segment 0
		.amdhsa_system_sgpr_workgroup_id_x 1
		.amdhsa_system_sgpr_workgroup_id_y 0
		.amdhsa_system_sgpr_workgroup_id_z 0
		.amdhsa_system_sgpr_workgroup_info 0
		.amdhsa_system_vgpr_workitem_id 0
		.amdhsa_next_free_vgpr 1
		.amdhsa_next_free_sgpr 0
		.amdhsa_accum_offset 4
		.amdhsa_reserve_vcc 0
		.amdhsa_float_round_mode_32 0
		.amdhsa_float_round_mode_16_64 0
		.amdhsa_float_denorm_mode_32 3
		.amdhsa_float_denorm_mode_16_64 3
		.amdhsa_dx10_clamp 1
		.amdhsa_ieee_mode 1
		.amdhsa_fp16_overflow 0
		.amdhsa_tg_split 0
		.amdhsa_exception_fp_ieee_invalid_op 0
		.amdhsa_exception_fp_denorm_src 0
		.amdhsa_exception_fp_ieee_div_zero 0
		.amdhsa_exception_fp_ieee_overflow 0
		.amdhsa_exception_fp_ieee_underflow 0
		.amdhsa_exception_fp_ieee_inexact 0
		.amdhsa_exception_int_div_zero 0
	.end_amdhsa_kernel
	.section	.text._ZN7rocprim17ROCPRIM_400000_NS6detail17trampoline_kernelINS0_14default_configENS1_35radix_sort_onesweep_config_selectorIyNS0_10empty_typeEEEZZNS1_29radix_sort_onesweep_iterationIS3_Lb0EN6thrust23THRUST_200600_302600_NS6detail15normal_iteratorINS9_10device_ptrIyEEEESE_PS5_SF_jNS0_19identity_decomposerENS1_16block_id_wrapperIjLb1EEEEE10hipError_tT1_PNSt15iterator_traitsISK_E10value_typeET2_T3_PNSL_ISQ_E10value_typeET4_T5_PSV_SW_PNS1_23onesweep_lookback_stateEbbT6_jjT7_P12ihipStream_tbENKUlT_T0_SK_SP_E_clIPySE_SF_SF_EEDaS13_S14_SK_SP_EUlS13_E_NS1_11comp_targetILNS1_3genE0ELNS1_11target_archE4294967295ELNS1_3gpuE0ELNS1_3repE0EEENS1_47radix_sort_onesweep_sort_config_static_selectorELNS0_4arch9wavefront6targetE1EEEvSK_,"axG",@progbits,_ZN7rocprim17ROCPRIM_400000_NS6detail17trampoline_kernelINS0_14default_configENS1_35radix_sort_onesweep_config_selectorIyNS0_10empty_typeEEEZZNS1_29radix_sort_onesweep_iterationIS3_Lb0EN6thrust23THRUST_200600_302600_NS6detail15normal_iteratorINS9_10device_ptrIyEEEESE_PS5_SF_jNS0_19identity_decomposerENS1_16block_id_wrapperIjLb1EEEEE10hipError_tT1_PNSt15iterator_traitsISK_E10value_typeET2_T3_PNSL_ISQ_E10value_typeET4_T5_PSV_SW_PNS1_23onesweep_lookback_stateEbbT6_jjT7_P12ihipStream_tbENKUlT_T0_SK_SP_E_clIPySE_SF_SF_EEDaS13_S14_SK_SP_EUlS13_E_NS1_11comp_targetILNS1_3genE0ELNS1_11target_archE4294967295ELNS1_3gpuE0ELNS1_3repE0EEENS1_47radix_sort_onesweep_sort_config_static_selectorELNS0_4arch9wavefront6targetE1EEEvSK_,comdat
.Lfunc_end882:
	.size	_ZN7rocprim17ROCPRIM_400000_NS6detail17trampoline_kernelINS0_14default_configENS1_35radix_sort_onesweep_config_selectorIyNS0_10empty_typeEEEZZNS1_29radix_sort_onesweep_iterationIS3_Lb0EN6thrust23THRUST_200600_302600_NS6detail15normal_iteratorINS9_10device_ptrIyEEEESE_PS5_SF_jNS0_19identity_decomposerENS1_16block_id_wrapperIjLb1EEEEE10hipError_tT1_PNSt15iterator_traitsISK_E10value_typeET2_T3_PNSL_ISQ_E10value_typeET4_T5_PSV_SW_PNS1_23onesweep_lookback_stateEbbT6_jjT7_P12ihipStream_tbENKUlT_T0_SK_SP_E_clIPySE_SF_SF_EEDaS13_S14_SK_SP_EUlS13_E_NS1_11comp_targetILNS1_3genE0ELNS1_11target_archE4294967295ELNS1_3gpuE0ELNS1_3repE0EEENS1_47radix_sort_onesweep_sort_config_static_selectorELNS0_4arch9wavefront6targetE1EEEvSK_, .Lfunc_end882-_ZN7rocprim17ROCPRIM_400000_NS6detail17trampoline_kernelINS0_14default_configENS1_35radix_sort_onesweep_config_selectorIyNS0_10empty_typeEEEZZNS1_29radix_sort_onesweep_iterationIS3_Lb0EN6thrust23THRUST_200600_302600_NS6detail15normal_iteratorINS9_10device_ptrIyEEEESE_PS5_SF_jNS0_19identity_decomposerENS1_16block_id_wrapperIjLb1EEEEE10hipError_tT1_PNSt15iterator_traitsISK_E10value_typeET2_T3_PNSL_ISQ_E10value_typeET4_T5_PSV_SW_PNS1_23onesweep_lookback_stateEbbT6_jjT7_P12ihipStream_tbENKUlT_T0_SK_SP_E_clIPySE_SF_SF_EEDaS13_S14_SK_SP_EUlS13_E_NS1_11comp_targetILNS1_3genE0ELNS1_11target_archE4294967295ELNS1_3gpuE0ELNS1_3repE0EEENS1_47radix_sort_onesweep_sort_config_static_selectorELNS0_4arch9wavefront6targetE1EEEvSK_
                                        ; -- End function
	.section	.AMDGPU.csdata,"",@progbits
; Kernel info:
; codeLenInByte = 0
; NumSgprs: 6
; NumVgprs: 0
; NumAgprs: 0
; TotalNumVgprs: 0
; ScratchSize: 0
; MemoryBound: 0
; FloatMode: 240
; IeeeMode: 1
; LDSByteSize: 0 bytes/workgroup (compile time only)
; SGPRBlocks: 0
; VGPRBlocks: 0
; NumSGPRsForWavesPerEU: 6
; NumVGPRsForWavesPerEU: 1
; AccumOffset: 4
; Occupancy: 8
; WaveLimiterHint : 0
; COMPUTE_PGM_RSRC2:SCRATCH_EN: 0
; COMPUTE_PGM_RSRC2:USER_SGPR: 2
; COMPUTE_PGM_RSRC2:TRAP_HANDLER: 0
; COMPUTE_PGM_RSRC2:TGID_X_EN: 1
; COMPUTE_PGM_RSRC2:TGID_Y_EN: 0
; COMPUTE_PGM_RSRC2:TGID_Z_EN: 0
; COMPUTE_PGM_RSRC2:TIDIG_COMP_CNT: 0
; COMPUTE_PGM_RSRC3_GFX90A:ACCUM_OFFSET: 0
; COMPUTE_PGM_RSRC3_GFX90A:TG_SPLIT: 0
	.section	.text._ZN7rocprim17ROCPRIM_400000_NS6detail17trampoline_kernelINS0_14default_configENS1_35radix_sort_onesweep_config_selectorIyNS0_10empty_typeEEEZZNS1_29radix_sort_onesweep_iterationIS3_Lb0EN6thrust23THRUST_200600_302600_NS6detail15normal_iteratorINS9_10device_ptrIyEEEESE_PS5_SF_jNS0_19identity_decomposerENS1_16block_id_wrapperIjLb1EEEEE10hipError_tT1_PNSt15iterator_traitsISK_E10value_typeET2_T3_PNSL_ISQ_E10value_typeET4_T5_PSV_SW_PNS1_23onesweep_lookback_stateEbbT6_jjT7_P12ihipStream_tbENKUlT_T0_SK_SP_E_clIPySE_SF_SF_EEDaS13_S14_SK_SP_EUlS13_E_NS1_11comp_targetILNS1_3genE6ELNS1_11target_archE950ELNS1_3gpuE13ELNS1_3repE0EEENS1_47radix_sort_onesweep_sort_config_static_selectorELNS0_4arch9wavefront6targetE1EEEvSK_,"axG",@progbits,_ZN7rocprim17ROCPRIM_400000_NS6detail17trampoline_kernelINS0_14default_configENS1_35radix_sort_onesweep_config_selectorIyNS0_10empty_typeEEEZZNS1_29radix_sort_onesweep_iterationIS3_Lb0EN6thrust23THRUST_200600_302600_NS6detail15normal_iteratorINS9_10device_ptrIyEEEESE_PS5_SF_jNS0_19identity_decomposerENS1_16block_id_wrapperIjLb1EEEEE10hipError_tT1_PNSt15iterator_traitsISK_E10value_typeET2_T3_PNSL_ISQ_E10value_typeET4_T5_PSV_SW_PNS1_23onesweep_lookback_stateEbbT6_jjT7_P12ihipStream_tbENKUlT_T0_SK_SP_E_clIPySE_SF_SF_EEDaS13_S14_SK_SP_EUlS13_E_NS1_11comp_targetILNS1_3genE6ELNS1_11target_archE950ELNS1_3gpuE13ELNS1_3repE0EEENS1_47radix_sort_onesweep_sort_config_static_selectorELNS0_4arch9wavefront6targetE1EEEvSK_,comdat
	.protected	_ZN7rocprim17ROCPRIM_400000_NS6detail17trampoline_kernelINS0_14default_configENS1_35radix_sort_onesweep_config_selectorIyNS0_10empty_typeEEEZZNS1_29radix_sort_onesweep_iterationIS3_Lb0EN6thrust23THRUST_200600_302600_NS6detail15normal_iteratorINS9_10device_ptrIyEEEESE_PS5_SF_jNS0_19identity_decomposerENS1_16block_id_wrapperIjLb1EEEEE10hipError_tT1_PNSt15iterator_traitsISK_E10value_typeET2_T3_PNSL_ISQ_E10value_typeET4_T5_PSV_SW_PNS1_23onesweep_lookback_stateEbbT6_jjT7_P12ihipStream_tbENKUlT_T0_SK_SP_E_clIPySE_SF_SF_EEDaS13_S14_SK_SP_EUlS13_E_NS1_11comp_targetILNS1_3genE6ELNS1_11target_archE950ELNS1_3gpuE13ELNS1_3repE0EEENS1_47radix_sort_onesweep_sort_config_static_selectorELNS0_4arch9wavefront6targetE1EEEvSK_ ; -- Begin function _ZN7rocprim17ROCPRIM_400000_NS6detail17trampoline_kernelINS0_14default_configENS1_35radix_sort_onesweep_config_selectorIyNS0_10empty_typeEEEZZNS1_29radix_sort_onesweep_iterationIS3_Lb0EN6thrust23THRUST_200600_302600_NS6detail15normal_iteratorINS9_10device_ptrIyEEEESE_PS5_SF_jNS0_19identity_decomposerENS1_16block_id_wrapperIjLb1EEEEE10hipError_tT1_PNSt15iterator_traitsISK_E10value_typeET2_T3_PNSL_ISQ_E10value_typeET4_T5_PSV_SW_PNS1_23onesweep_lookback_stateEbbT6_jjT7_P12ihipStream_tbENKUlT_T0_SK_SP_E_clIPySE_SF_SF_EEDaS13_S14_SK_SP_EUlS13_E_NS1_11comp_targetILNS1_3genE6ELNS1_11target_archE950ELNS1_3gpuE13ELNS1_3repE0EEENS1_47radix_sort_onesweep_sort_config_static_selectorELNS0_4arch9wavefront6targetE1EEEvSK_
	.globl	_ZN7rocprim17ROCPRIM_400000_NS6detail17trampoline_kernelINS0_14default_configENS1_35radix_sort_onesweep_config_selectorIyNS0_10empty_typeEEEZZNS1_29radix_sort_onesweep_iterationIS3_Lb0EN6thrust23THRUST_200600_302600_NS6detail15normal_iteratorINS9_10device_ptrIyEEEESE_PS5_SF_jNS0_19identity_decomposerENS1_16block_id_wrapperIjLb1EEEEE10hipError_tT1_PNSt15iterator_traitsISK_E10value_typeET2_T3_PNSL_ISQ_E10value_typeET4_T5_PSV_SW_PNS1_23onesweep_lookback_stateEbbT6_jjT7_P12ihipStream_tbENKUlT_T0_SK_SP_E_clIPySE_SF_SF_EEDaS13_S14_SK_SP_EUlS13_E_NS1_11comp_targetILNS1_3genE6ELNS1_11target_archE950ELNS1_3gpuE13ELNS1_3repE0EEENS1_47radix_sort_onesweep_sort_config_static_selectorELNS0_4arch9wavefront6targetE1EEEvSK_
	.p2align	8
	.type	_ZN7rocprim17ROCPRIM_400000_NS6detail17trampoline_kernelINS0_14default_configENS1_35radix_sort_onesweep_config_selectorIyNS0_10empty_typeEEEZZNS1_29radix_sort_onesweep_iterationIS3_Lb0EN6thrust23THRUST_200600_302600_NS6detail15normal_iteratorINS9_10device_ptrIyEEEESE_PS5_SF_jNS0_19identity_decomposerENS1_16block_id_wrapperIjLb1EEEEE10hipError_tT1_PNSt15iterator_traitsISK_E10value_typeET2_T3_PNSL_ISQ_E10value_typeET4_T5_PSV_SW_PNS1_23onesweep_lookback_stateEbbT6_jjT7_P12ihipStream_tbENKUlT_T0_SK_SP_E_clIPySE_SF_SF_EEDaS13_S14_SK_SP_EUlS13_E_NS1_11comp_targetILNS1_3genE6ELNS1_11target_archE950ELNS1_3gpuE13ELNS1_3repE0EEENS1_47radix_sort_onesweep_sort_config_static_selectorELNS0_4arch9wavefront6targetE1EEEvSK_,@function
_ZN7rocprim17ROCPRIM_400000_NS6detail17trampoline_kernelINS0_14default_configENS1_35radix_sort_onesweep_config_selectorIyNS0_10empty_typeEEEZZNS1_29radix_sort_onesweep_iterationIS3_Lb0EN6thrust23THRUST_200600_302600_NS6detail15normal_iteratorINS9_10device_ptrIyEEEESE_PS5_SF_jNS0_19identity_decomposerENS1_16block_id_wrapperIjLb1EEEEE10hipError_tT1_PNSt15iterator_traitsISK_E10value_typeET2_T3_PNSL_ISQ_E10value_typeET4_T5_PSV_SW_PNS1_23onesweep_lookback_stateEbbT6_jjT7_P12ihipStream_tbENKUlT_T0_SK_SP_E_clIPySE_SF_SF_EEDaS13_S14_SK_SP_EUlS13_E_NS1_11comp_targetILNS1_3genE6ELNS1_11target_archE950ELNS1_3gpuE13ELNS1_3repE0EEENS1_47radix_sort_onesweep_sort_config_static_selectorELNS0_4arch9wavefront6targetE1EEEvSK_: ; @_ZN7rocprim17ROCPRIM_400000_NS6detail17trampoline_kernelINS0_14default_configENS1_35radix_sort_onesweep_config_selectorIyNS0_10empty_typeEEEZZNS1_29radix_sort_onesweep_iterationIS3_Lb0EN6thrust23THRUST_200600_302600_NS6detail15normal_iteratorINS9_10device_ptrIyEEEESE_PS5_SF_jNS0_19identity_decomposerENS1_16block_id_wrapperIjLb1EEEEE10hipError_tT1_PNSt15iterator_traitsISK_E10value_typeET2_T3_PNSL_ISQ_E10value_typeET4_T5_PSV_SW_PNS1_23onesweep_lookback_stateEbbT6_jjT7_P12ihipStream_tbENKUlT_T0_SK_SP_E_clIPySE_SF_SF_EEDaS13_S14_SK_SP_EUlS13_E_NS1_11comp_targetILNS1_3genE6ELNS1_11target_archE950ELNS1_3gpuE13ELNS1_3repE0EEENS1_47radix_sort_onesweep_sort_config_static_selectorELNS0_4arch9wavefront6targetE1EEEvSK_
; %bb.0:
	.section	.rodata,"a",@progbits
	.p2align	6, 0x0
	.amdhsa_kernel _ZN7rocprim17ROCPRIM_400000_NS6detail17trampoline_kernelINS0_14default_configENS1_35radix_sort_onesweep_config_selectorIyNS0_10empty_typeEEEZZNS1_29radix_sort_onesweep_iterationIS3_Lb0EN6thrust23THRUST_200600_302600_NS6detail15normal_iteratorINS9_10device_ptrIyEEEESE_PS5_SF_jNS0_19identity_decomposerENS1_16block_id_wrapperIjLb1EEEEE10hipError_tT1_PNSt15iterator_traitsISK_E10value_typeET2_T3_PNSL_ISQ_E10value_typeET4_T5_PSV_SW_PNS1_23onesweep_lookback_stateEbbT6_jjT7_P12ihipStream_tbENKUlT_T0_SK_SP_E_clIPySE_SF_SF_EEDaS13_S14_SK_SP_EUlS13_E_NS1_11comp_targetILNS1_3genE6ELNS1_11target_archE950ELNS1_3gpuE13ELNS1_3repE0EEENS1_47radix_sort_onesweep_sort_config_static_selectorELNS0_4arch9wavefront6targetE1EEEvSK_
		.amdhsa_group_segment_fixed_size 0
		.amdhsa_private_segment_fixed_size 0
		.amdhsa_kernarg_size 88
		.amdhsa_user_sgpr_count 2
		.amdhsa_user_sgpr_dispatch_ptr 0
		.amdhsa_user_sgpr_queue_ptr 0
		.amdhsa_user_sgpr_kernarg_segment_ptr 1
		.amdhsa_user_sgpr_dispatch_id 0
		.amdhsa_user_sgpr_kernarg_preload_length 0
		.amdhsa_user_sgpr_kernarg_preload_offset 0
		.amdhsa_user_sgpr_private_segment_size 0
		.amdhsa_uses_dynamic_stack 0
		.amdhsa_enable_private_segment 0
		.amdhsa_system_sgpr_workgroup_id_x 1
		.amdhsa_system_sgpr_workgroup_id_y 0
		.amdhsa_system_sgpr_workgroup_id_z 0
		.amdhsa_system_sgpr_workgroup_info 0
		.amdhsa_system_vgpr_workitem_id 0
		.amdhsa_next_free_vgpr 1
		.amdhsa_next_free_sgpr 0
		.amdhsa_accum_offset 4
		.amdhsa_reserve_vcc 0
		.amdhsa_float_round_mode_32 0
		.amdhsa_float_round_mode_16_64 0
		.amdhsa_float_denorm_mode_32 3
		.amdhsa_float_denorm_mode_16_64 3
		.amdhsa_dx10_clamp 1
		.amdhsa_ieee_mode 1
		.amdhsa_fp16_overflow 0
		.amdhsa_tg_split 0
		.amdhsa_exception_fp_ieee_invalid_op 0
		.amdhsa_exception_fp_denorm_src 0
		.amdhsa_exception_fp_ieee_div_zero 0
		.amdhsa_exception_fp_ieee_overflow 0
		.amdhsa_exception_fp_ieee_underflow 0
		.amdhsa_exception_fp_ieee_inexact 0
		.amdhsa_exception_int_div_zero 0
	.end_amdhsa_kernel
	.section	.text._ZN7rocprim17ROCPRIM_400000_NS6detail17trampoline_kernelINS0_14default_configENS1_35radix_sort_onesweep_config_selectorIyNS0_10empty_typeEEEZZNS1_29radix_sort_onesweep_iterationIS3_Lb0EN6thrust23THRUST_200600_302600_NS6detail15normal_iteratorINS9_10device_ptrIyEEEESE_PS5_SF_jNS0_19identity_decomposerENS1_16block_id_wrapperIjLb1EEEEE10hipError_tT1_PNSt15iterator_traitsISK_E10value_typeET2_T3_PNSL_ISQ_E10value_typeET4_T5_PSV_SW_PNS1_23onesweep_lookback_stateEbbT6_jjT7_P12ihipStream_tbENKUlT_T0_SK_SP_E_clIPySE_SF_SF_EEDaS13_S14_SK_SP_EUlS13_E_NS1_11comp_targetILNS1_3genE6ELNS1_11target_archE950ELNS1_3gpuE13ELNS1_3repE0EEENS1_47radix_sort_onesweep_sort_config_static_selectorELNS0_4arch9wavefront6targetE1EEEvSK_,"axG",@progbits,_ZN7rocprim17ROCPRIM_400000_NS6detail17trampoline_kernelINS0_14default_configENS1_35radix_sort_onesweep_config_selectorIyNS0_10empty_typeEEEZZNS1_29radix_sort_onesweep_iterationIS3_Lb0EN6thrust23THRUST_200600_302600_NS6detail15normal_iteratorINS9_10device_ptrIyEEEESE_PS5_SF_jNS0_19identity_decomposerENS1_16block_id_wrapperIjLb1EEEEE10hipError_tT1_PNSt15iterator_traitsISK_E10value_typeET2_T3_PNSL_ISQ_E10value_typeET4_T5_PSV_SW_PNS1_23onesweep_lookback_stateEbbT6_jjT7_P12ihipStream_tbENKUlT_T0_SK_SP_E_clIPySE_SF_SF_EEDaS13_S14_SK_SP_EUlS13_E_NS1_11comp_targetILNS1_3genE6ELNS1_11target_archE950ELNS1_3gpuE13ELNS1_3repE0EEENS1_47radix_sort_onesweep_sort_config_static_selectorELNS0_4arch9wavefront6targetE1EEEvSK_,comdat
.Lfunc_end883:
	.size	_ZN7rocprim17ROCPRIM_400000_NS6detail17trampoline_kernelINS0_14default_configENS1_35radix_sort_onesweep_config_selectorIyNS0_10empty_typeEEEZZNS1_29radix_sort_onesweep_iterationIS3_Lb0EN6thrust23THRUST_200600_302600_NS6detail15normal_iteratorINS9_10device_ptrIyEEEESE_PS5_SF_jNS0_19identity_decomposerENS1_16block_id_wrapperIjLb1EEEEE10hipError_tT1_PNSt15iterator_traitsISK_E10value_typeET2_T3_PNSL_ISQ_E10value_typeET4_T5_PSV_SW_PNS1_23onesweep_lookback_stateEbbT6_jjT7_P12ihipStream_tbENKUlT_T0_SK_SP_E_clIPySE_SF_SF_EEDaS13_S14_SK_SP_EUlS13_E_NS1_11comp_targetILNS1_3genE6ELNS1_11target_archE950ELNS1_3gpuE13ELNS1_3repE0EEENS1_47radix_sort_onesweep_sort_config_static_selectorELNS0_4arch9wavefront6targetE1EEEvSK_, .Lfunc_end883-_ZN7rocprim17ROCPRIM_400000_NS6detail17trampoline_kernelINS0_14default_configENS1_35radix_sort_onesweep_config_selectorIyNS0_10empty_typeEEEZZNS1_29radix_sort_onesweep_iterationIS3_Lb0EN6thrust23THRUST_200600_302600_NS6detail15normal_iteratorINS9_10device_ptrIyEEEESE_PS5_SF_jNS0_19identity_decomposerENS1_16block_id_wrapperIjLb1EEEEE10hipError_tT1_PNSt15iterator_traitsISK_E10value_typeET2_T3_PNSL_ISQ_E10value_typeET4_T5_PSV_SW_PNS1_23onesweep_lookback_stateEbbT6_jjT7_P12ihipStream_tbENKUlT_T0_SK_SP_E_clIPySE_SF_SF_EEDaS13_S14_SK_SP_EUlS13_E_NS1_11comp_targetILNS1_3genE6ELNS1_11target_archE950ELNS1_3gpuE13ELNS1_3repE0EEENS1_47radix_sort_onesweep_sort_config_static_selectorELNS0_4arch9wavefront6targetE1EEEvSK_
                                        ; -- End function
	.section	.AMDGPU.csdata,"",@progbits
; Kernel info:
; codeLenInByte = 0
; NumSgprs: 6
; NumVgprs: 0
; NumAgprs: 0
; TotalNumVgprs: 0
; ScratchSize: 0
; MemoryBound: 0
; FloatMode: 240
; IeeeMode: 1
; LDSByteSize: 0 bytes/workgroup (compile time only)
; SGPRBlocks: 0
; VGPRBlocks: 0
; NumSGPRsForWavesPerEU: 6
; NumVGPRsForWavesPerEU: 1
; AccumOffset: 4
; Occupancy: 8
; WaveLimiterHint : 0
; COMPUTE_PGM_RSRC2:SCRATCH_EN: 0
; COMPUTE_PGM_RSRC2:USER_SGPR: 2
; COMPUTE_PGM_RSRC2:TRAP_HANDLER: 0
; COMPUTE_PGM_RSRC2:TGID_X_EN: 1
; COMPUTE_PGM_RSRC2:TGID_Y_EN: 0
; COMPUTE_PGM_RSRC2:TGID_Z_EN: 0
; COMPUTE_PGM_RSRC2:TIDIG_COMP_CNT: 0
; COMPUTE_PGM_RSRC3_GFX90A:ACCUM_OFFSET: 0
; COMPUTE_PGM_RSRC3_GFX90A:TG_SPLIT: 0
	.section	.text._ZN7rocprim17ROCPRIM_400000_NS6detail17trampoline_kernelINS0_14default_configENS1_35radix_sort_onesweep_config_selectorIyNS0_10empty_typeEEEZZNS1_29radix_sort_onesweep_iterationIS3_Lb0EN6thrust23THRUST_200600_302600_NS6detail15normal_iteratorINS9_10device_ptrIyEEEESE_PS5_SF_jNS0_19identity_decomposerENS1_16block_id_wrapperIjLb1EEEEE10hipError_tT1_PNSt15iterator_traitsISK_E10value_typeET2_T3_PNSL_ISQ_E10value_typeET4_T5_PSV_SW_PNS1_23onesweep_lookback_stateEbbT6_jjT7_P12ihipStream_tbENKUlT_T0_SK_SP_E_clIPySE_SF_SF_EEDaS13_S14_SK_SP_EUlS13_E_NS1_11comp_targetILNS1_3genE5ELNS1_11target_archE942ELNS1_3gpuE9ELNS1_3repE0EEENS1_47radix_sort_onesweep_sort_config_static_selectorELNS0_4arch9wavefront6targetE1EEEvSK_,"axG",@progbits,_ZN7rocprim17ROCPRIM_400000_NS6detail17trampoline_kernelINS0_14default_configENS1_35radix_sort_onesweep_config_selectorIyNS0_10empty_typeEEEZZNS1_29radix_sort_onesweep_iterationIS3_Lb0EN6thrust23THRUST_200600_302600_NS6detail15normal_iteratorINS9_10device_ptrIyEEEESE_PS5_SF_jNS0_19identity_decomposerENS1_16block_id_wrapperIjLb1EEEEE10hipError_tT1_PNSt15iterator_traitsISK_E10value_typeET2_T3_PNSL_ISQ_E10value_typeET4_T5_PSV_SW_PNS1_23onesweep_lookback_stateEbbT6_jjT7_P12ihipStream_tbENKUlT_T0_SK_SP_E_clIPySE_SF_SF_EEDaS13_S14_SK_SP_EUlS13_E_NS1_11comp_targetILNS1_3genE5ELNS1_11target_archE942ELNS1_3gpuE9ELNS1_3repE0EEENS1_47radix_sort_onesweep_sort_config_static_selectorELNS0_4arch9wavefront6targetE1EEEvSK_,comdat
	.protected	_ZN7rocprim17ROCPRIM_400000_NS6detail17trampoline_kernelINS0_14default_configENS1_35radix_sort_onesweep_config_selectorIyNS0_10empty_typeEEEZZNS1_29radix_sort_onesweep_iterationIS3_Lb0EN6thrust23THRUST_200600_302600_NS6detail15normal_iteratorINS9_10device_ptrIyEEEESE_PS5_SF_jNS0_19identity_decomposerENS1_16block_id_wrapperIjLb1EEEEE10hipError_tT1_PNSt15iterator_traitsISK_E10value_typeET2_T3_PNSL_ISQ_E10value_typeET4_T5_PSV_SW_PNS1_23onesweep_lookback_stateEbbT6_jjT7_P12ihipStream_tbENKUlT_T0_SK_SP_E_clIPySE_SF_SF_EEDaS13_S14_SK_SP_EUlS13_E_NS1_11comp_targetILNS1_3genE5ELNS1_11target_archE942ELNS1_3gpuE9ELNS1_3repE0EEENS1_47radix_sort_onesweep_sort_config_static_selectorELNS0_4arch9wavefront6targetE1EEEvSK_ ; -- Begin function _ZN7rocprim17ROCPRIM_400000_NS6detail17trampoline_kernelINS0_14default_configENS1_35radix_sort_onesweep_config_selectorIyNS0_10empty_typeEEEZZNS1_29radix_sort_onesweep_iterationIS3_Lb0EN6thrust23THRUST_200600_302600_NS6detail15normal_iteratorINS9_10device_ptrIyEEEESE_PS5_SF_jNS0_19identity_decomposerENS1_16block_id_wrapperIjLb1EEEEE10hipError_tT1_PNSt15iterator_traitsISK_E10value_typeET2_T3_PNSL_ISQ_E10value_typeET4_T5_PSV_SW_PNS1_23onesweep_lookback_stateEbbT6_jjT7_P12ihipStream_tbENKUlT_T0_SK_SP_E_clIPySE_SF_SF_EEDaS13_S14_SK_SP_EUlS13_E_NS1_11comp_targetILNS1_3genE5ELNS1_11target_archE942ELNS1_3gpuE9ELNS1_3repE0EEENS1_47radix_sort_onesweep_sort_config_static_selectorELNS0_4arch9wavefront6targetE1EEEvSK_
	.globl	_ZN7rocprim17ROCPRIM_400000_NS6detail17trampoline_kernelINS0_14default_configENS1_35radix_sort_onesweep_config_selectorIyNS0_10empty_typeEEEZZNS1_29radix_sort_onesweep_iterationIS3_Lb0EN6thrust23THRUST_200600_302600_NS6detail15normal_iteratorINS9_10device_ptrIyEEEESE_PS5_SF_jNS0_19identity_decomposerENS1_16block_id_wrapperIjLb1EEEEE10hipError_tT1_PNSt15iterator_traitsISK_E10value_typeET2_T3_PNSL_ISQ_E10value_typeET4_T5_PSV_SW_PNS1_23onesweep_lookback_stateEbbT6_jjT7_P12ihipStream_tbENKUlT_T0_SK_SP_E_clIPySE_SF_SF_EEDaS13_S14_SK_SP_EUlS13_E_NS1_11comp_targetILNS1_3genE5ELNS1_11target_archE942ELNS1_3gpuE9ELNS1_3repE0EEENS1_47radix_sort_onesweep_sort_config_static_selectorELNS0_4arch9wavefront6targetE1EEEvSK_
	.p2align	8
	.type	_ZN7rocprim17ROCPRIM_400000_NS6detail17trampoline_kernelINS0_14default_configENS1_35radix_sort_onesweep_config_selectorIyNS0_10empty_typeEEEZZNS1_29radix_sort_onesweep_iterationIS3_Lb0EN6thrust23THRUST_200600_302600_NS6detail15normal_iteratorINS9_10device_ptrIyEEEESE_PS5_SF_jNS0_19identity_decomposerENS1_16block_id_wrapperIjLb1EEEEE10hipError_tT1_PNSt15iterator_traitsISK_E10value_typeET2_T3_PNSL_ISQ_E10value_typeET4_T5_PSV_SW_PNS1_23onesweep_lookback_stateEbbT6_jjT7_P12ihipStream_tbENKUlT_T0_SK_SP_E_clIPySE_SF_SF_EEDaS13_S14_SK_SP_EUlS13_E_NS1_11comp_targetILNS1_3genE5ELNS1_11target_archE942ELNS1_3gpuE9ELNS1_3repE0EEENS1_47radix_sort_onesweep_sort_config_static_selectorELNS0_4arch9wavefront6targetE1EEEvSK_,@function
_ZN7rocprim17ROCPRIM_400000_NS6detail17trampoline_kernelINS0_14default_configENS1_35radix_sort_onesweep_config_selectorIyNS0_10empty_typeEEEZZNS1_29radix_sort_onesweep_iterationIS3_Lb0EN6thrust23THRUST_200600_302600_NS6detail15normal_iteratorINS9_10device_ptrIyEEEESE_PS5_SF_jNS0_19identity_decomposerENS1_16block_id_wrapperIjLb1EEEEE10hipError_tT1_PNSt15iterator_traitsISK_E10value_typeET2_T3_PNSL_ISQ_E10value_typeET4_T5_PSV_SW_PNS1_23onesweep_lookback_stateEbbT6_jjT7_P12ihipStream_tbENKUlT_T0_SK_SP_E_clIPySE_SF_SF_EEDaS13_S14_SK_SP_EUlS13_E_NS1_11comp_targetILNS1_3genE5ELNS1_11target_archE942ELNS1_3gpuE9ELNS1_3repE0EEENS1_47radix_sort_onesweep_sort_config_static_selectorELNS0_4arch9wavefront6targetE1EEEvSK_: ; @_ZN7rocprim17ROCPRIM_400000_NS6detail17trampoline_kernelINS0_14default_configENS1_35radix_sort_onesweep_config_selectorIyNS0_10empty_typeEEEZZNS1_29radix_sort_onesweep_iterationIS3_Lb0EN6thrust23THRUST_200600_302600_NS6detail15normal_iteratorINS9_10device_ptrIyEEEESE_PS5_SF_jNS0_19identity_decomposerENS1_16block_id_wrapperIjLb1EEEEE10hipError_tT1_PNSt15iterator_traitsISK_E10value_typeET2_T3_PNSL_ISQ_E10value_typeET4_T5_PSV_SW_PNS1_23onesweep_lookback_stateEbbT6_jjT7_P12ihipStream_tbENKUlT_T0_SK_SP_E_clIPySE_SF_SF_EEDaS13_S14_SK_SP_EUlS13_E_NS1_11comp_targetILNS1_3genE5ELNS1_11target_archE942ELNS1_3gpuE9ELNS1_3repE0EEENS1_47radix_sort_onesweep_sort_config_static_selectorELNS0_4arch9wavefront6targetE1EEEvSK_
; %bb.0:
	s_load_dwordx4 s[20:23], s[0:1], 0x28
	s_load_dwordx2 s[18:19], s[0:1], 0x38
	s_load_dwordx4 s[24:27], s[0:1], 0x44
	v_and_b32_e32 v2, 0x3ff, v0
	v_cmp_eq_u32_e64 s[4:5], 0, v2
	s_and_saveexec_b64 s[6:7], s[4:5]
	s_cbranch_execz .LBB884_4
; %bb.1:
	s_mov_b64 s[10:11], exec
	v_mbcnt_lo_u32_b32 v1, s10, 0
	v_mbcnt_hi_u32_b32 v1, s11, v1
	v_cmp_eq_u32_e32 vcc, 0, v1
                                        ; implicit-def: $vgpr3
	s_and_saveexec_b64 s[8:9], vcc
	s_cbranch_execz .LBB884_3
; %bb.2:
	s_load_dwordx2 s[12:13], s[0:1], 0x50
	s_bcnt1_i32_b64 s3, s[10:11]
	v_mov_b32_e32 v3, 0
	v_mov_b32_e32 v4, s3
	s_waitcnt lgkmcnt(0)
	global_atomic_add v3, v3, v4, s[12:13] sc0
.LBB884_3:
	s_or_b64 exec, exec, s[8:9]
	s_waitcnt vmcnt(0)
	v_readfirstlane_b32 s3, v3
	v_mov_b32_e32 v3, 0
	s_nop 0
	v_add_u32_e32 v1, s3, v1
	ds_write_b32 v3, v1 offset:10272
.LBB884_4:
	s_or_b64 exec, exec, s[6:7]
	v_mov_b32_e32 v5, 0
	s_load_dwordx4 s[28:31], s[0:1], 0x0
	s_load_dword s3, s[0:1], 0x20
	s_waitcnt lgkmcnt(0)
	s_barrier
	ds_read_b32 v1, v5 offset:10272
	s_waitcnt lgkmcnt(0)
	s_barrier
	v_readfirstlane_b32 s27, v1
	v_cmp_le_u32_e32 vcc, s26, v1
	s_mul_i32 s34, s27, 0x1800
	v_mbcnt_lo_u32_b32 v1, -1, 0
	s_cbranch_vccz .LBB884_103
; %bb.5:
	s_mul_i32 s6, s26, 0xffffe800
	s_mov_b32 s35, 0
	s_add_i32 s3, s6, s3
	s_lshl_b64 s[6:7], s[34:35], 3
	v_mbcnt_hi_u32_b32 v3, -1, v1
	s_add_u32 s6, s28, s6
	v_and_b32_e32 v8, 63, v3
	v_and_b32_e32 v32, 0x3c0, v2
	s_addc_u32 s7, s29, s7
	v_mul_u32_u24_e32 v9, 12, v32
	v_lshlrev_b32_e32 v4, 3, v8
	v_lshl_add_u64 v[6:7], s[6:7], 0, v[4:5]
	v_lshlrev_b32_e32 v4, 3, v9
	v_lshl_add_u64 v[28:29], v[6:7], 0, v[4:5]
	v_or_b32_e32 v30, v8, v9
	v_mov_b64_e32 v[4:5], -1
	v_cmp_gt_u32_e32 vcc, s3, v30
	v_mov_b64_e32 v[6:7], v[4:5]
	s_and_saveexec_b64 s[6:7], vcc
	s_cbranch_execz .LBB884_7
; %bb.6:
	global_load_dwordx2 v[6:7], v[28:29], off
.LBB884_7:
	s_or_b64 exec, exec, s[6:7]
	v_or_b32_e32 v8, 64, v30
	v_cmp_gt_u32_e32 vcc, s3, v8
	s_and_saveexec_b64 s[6:7], vcc
	s_cbranch_execz .LBB884_9
; %bb.8:
	global_load_dwordx2 v[4:5], v[28:29], off offset:512
.LBB884_9:
	s_or_b64 exec, exec, s[6:7]
	v_or_b32_e32 v8, 0x80, v30
	v_cmp_gt_u32_e32 vcc, s3, v8
	v_mov_b64_e32 v[8:9], -1
	v_mov_b64_e32 v[10:11], v[8:9]
	s_and_saveexec_b64 s[6:7], vcc
	s_cbranch_execz .LBB884_11
; %bb.10:
	global_load_dwordx2 v[10:11], v[28:29], off offset:1024
.LBB884_11:
	s_or_b64 exec, exec, s[6:7]
	v_or_b32_e32 v12, 0xc0, v30
	v_cmp_gt_u32_e32 vcc, s3, v12
	s_and_saveexec_b64 s[6:7], vcc
	s_cbranch_execz .LBB884_13
; %bb.12:
	global_load_dwordx2 v[8:9], v[28:29], off offset:1536
.LBB884_13:
	s_or_b64 exec, exec, s[6:7]
	v_add_u32_e32 v12, 0x100, v30
	v_cmp_gt_u32_e32 vcc, s3, v12
	v_mov_b64_e32 v[12:13], -1
	v_mov_b64_e32 v[14:15], v[12:13]
	s_and_saveexec_b64 s[6:7], vcc
	s_cbranch_execz .LBB884_15
; %bb.14:
	global_load_dwordx2 v[14:15], v[28:29], off offset:2048
.LBB884_15:
	s_or_b64 exec, exec, s[6:7]
	v_add_u32_e32 v16, 0x140, v30
	v_cmp_gt_u32_e32 vcc, s3, v16
	s_and_saveexec_b64 s[6:7], vcc
	s_cbranch_execz .LBB884_17
; %bb.16:
	global_load_dwordx2 v[12:13], v[28:29], off offset:2560
.LBB884_17:
	s_or_b64 exec, exec, s[6:7]
	v_add_u32_e32 v16, 0x180, v30
	v_cmp_gt_u32_e32 vcc, s3, v16
	v_mov_b64_e32 v[16:17], -1
	v_mov_b64_e32 v[18:19], v[16:17]
	s_and_saveexec_b64 s[6:7], vcc
	s_cbranch_execz .LBB884_19
; %bb.18:
	global_load_dwordx2 v[18:19], v[28:29], off offset:3072
.LBB884_19:
	s_or_b64 exec, exec, s[6:7]
	v_add_u32_e32 v20, 0x1c0, v30
	v_cmp_gt_u32_e32 vcc, s3, v20
	s_and_saveexec_b64 s[6:7], vcc
	s_cbranch_execz .LBB884_21
; %bb.20:
	global_load_dwordx2 v[16:17], v[28:29], off offset:3584
.LBB884_21:
	s_or_b64 exec, exec, s[6:7]
	v_add_u32_e32 v20, 0x200, v30
	v_cmp_gt_u32_e32 vcc, s3, v20
	v_mov_b64_e32 v[20:21], -1
	v_mov_b64_e32 v[22:23], v[20:21]
	s_and_saveexec_b64 s[6:7], vcc
	s_cbranch_execz .LBB884_23
; %bb.22:
	v_add_co_u32_e32 v22, vcc, 0x1000, v28
	s_nop 1
	v_addc_co_u32_e32 v23, vcc, 0, v29, vcc
	global_load_dwordx2 v[22:23], v[22:23], off
.LBB884_23:
	s_or_b64 exec, exec, s[6:7]
	v_add_u32_e32 v24, 0x240, v30
	v_cmp_gt_u32_e32 vcc, s3, v24
	s_and_saveexec_b64 s[6:7], vcc
	s_cbranch_execz .LBB884_25
; %bb.24:
	v_add_co_u32_e32 v20, vcc, 0x1000, v28
	s_nop 1
	v_addc_co_u32_e32 v21, vcc, 0, v29, vcc
	global_load_dwordx2 v[20:21], v[20:21], off offset:512
.LBB884_25:
	s_or_b64 exec, exec, s[6:7]
	v_add_u32_e32 v24, 0x280, v30
	v_cmp_gt_u32_e32 vcc, s3, v24
	v_mov_b64_e32 v[24:25], -1
	v_mov_b64_e32 v[26:27], v[24:25]
	s_and_saveexec_b64 s[6:7], vcc
	s_cbranch_execz .LBB884_27
; %bb.26:
	v_add_co_u32_e32 v26, vcc, 0x1000, v28
	s_nop 1
	v_addc_co_u32_e32 v27, vcc, 0, v29, vcc
	global_load_dwordx2 v[26:27], v[26:27], off offset:1024
.LBB884_27:
	s_or_b64 exec, exec, s[6:7]
	v_add_u32_e32 v30, 0x2c0, v30
	v_cmp_gt_u32_e32 vcc, s3, v30
	s_and_saveexec_b64 s[6:7], vcc
	s_cbranch_execz .LBB884_29
; %bb.28:
	v_add_co_u32_e32 v24, vcc, 0x1000, v28
	s_nop 1
	v_addc_co_u32_e32 v25, vcc, 0, v29, vcc
	global_load_dwordx2 v[24:25], v[24:25], off offset:1536
.LBB884_29:
	s_or_b64 exec, exec, s[6:7]
	s_load_dword s6, s[0:1], 0x64
	s_load_dword s26, s[0:1], 0x58
	s_add_u32 s7, s0, 0x58
	s_addc_u32 s8, s1, 0
	v_mov_b32_e32 v29, 0
	s_waitcnt lgkmcnt(0)
	s_lshr_b32 s9, s6, 16
	s_cmp_lt_u32 s2, s26
	s_cselect_b32 s6, 12, 18
	s_add_u32 s6, s7, s6
	s_addc_u32 s7, s8, 0
	global_load_ushort v48, v29, s[6:7]
	s_lshl_b32 s6, -1, s25
	s_waitcnt vmcnt(1)
	v_lshrrev_b64 v[30:31], s24, v[6:7]
	s_not_b32 s33, s6
	v_bfe_u32 v28, v0, 10, 10
	v_bfe_u32 v35, v0, 20, 10
	v_and_b32_e32 v30, s33, v30
	v_mad_u32_u24 v49, v35, s9, v28
	v_and_b32_e32 v28, 1, v30
	v_lshlrev_b32_e32 v35, 30, v30
	v_mov_b32_e32 v34, v29
	v_mov_b32_e32 v38, v29
	v_lshlrev_b32_e32 v37, 29, v30
	v_lshlrev_b32_e32 v39, 28, v30
	v_lshl_add_u64 v[46:47], v[28:29], 0, -1
	v_cmp_ne_u32_e32 vcc, 0, v28
	v_not_b32_e32 v28, v35
	v_mov_b32_e32 v36, v29
	v_mov_b32_e32 v40, v29
	v_lshl_add_u32 v50, v30, 3, v30
	v_lshlrev_b32_e32 v41, 27, v30
	v_lshlrev_b32_e32 v43, 26, v30
	;; [unrolled: 1-line block ×4, first 2 shown]
	v_cmp_gt_i64_e64 s[6:7], 0, v[34:35]
	v_not_b32_e32 v30, v37
	v_cmp_gt_i64_e64 s[10:11], 0, v[38:39]
	v_xor_b32_e32 v38, vcc_hi, v47
	v_ashrrev_i32_e32 v28, 31, v28
	v_cmp_gt_i64_e64 s[8:9], 0, v[36:37]
	v_not_b32_e32 v34, v39
	v_cmp_gt_i64_e64 s[12:13], 0, v[40:41]
	v_xor_b32_e32 v39, vcc_lo, v46
	v_ashrrev_i32_e32 v30, 31, v30
	v_and_b32_e32 v38, exec_hi, v38
	v_xor_b32_e32 v40, s7, v28
	v_mov_b32_e32 v42, v29
	v_not_b32_e32 v35, v41
	v_ashrrev_i32_e32 v34, 31, v34
	v_and_b32_e32 v39, exec_lo, v39
	v_xor_b32_e32 v28, s6, v28
	v_xor_b32_e32 v41, s9, v30
	v_and_b32_e32 v38, v38, v40
	v_cmp_gt_i64_e64 s[14:15], 0, v[42:43]
	v_not_b32_e32 v36, v43
	v_ashrrev_i32_e32 v35, 31, v35
	v_xor_b32_e32 v30, s8, v30
	v_xor_b32_e32 v42, s11, v34
	v_and_b32_e32 v28, v39, v28
	v_and_b32_e32 v38, v38, v41
	v_mov_b32_e32 v44, v29
	v_not_b32_e32 v37, v45
	v_ashrrev_i32_e32 v36, 31, v36
	v_xor_b32_e32 v34, s10, v34
	v_xor_b32_e32 v43, s13, v35
	v_and_b32_e32 v28, v28, v30
	v_and_b32_e32 v30, v38, v42
	v_cmp_gt_i64_e64 s[16:17], 0, v[44:45]
	v_ashrrev_i32_e32 v37, 31, v37
	v_xor_b32_e32 v35, s12, v35
	v_xor_b32_e32 v44, s15, v36
	v_and_b32_e32 v28, v28, v34
	v_and_b32_e32 v30, v30, v43
	v_xor_b32_e32 v36, s14, v36
	v_xor_b32_e32 v45, s17, v37
	v_and_b32_e32 v28, v28, v35
	v_and_b32_e32 v30, v30, v44
	v_and_b32_e32 v28, v28, v36
	v_and_b32_e32 v36, v30, v45
	v_mov_b32_e32 v30, v29
	v_cmp_gt_i64_e32 vcc, 0, v[30:31]
	v_not_b32_e32 v30, v31
	v_xor_b32_e32 v37, s16, v37
	v_ashrrev_i32_e32 v30, 31, v30
	v_and_b32_e32 v28, v28, v37
	v_xor_b32_e32 v31, vcc_hi, v30
	v_xor_b32_e32 v30, vcc_lo, v30
	v_and_b32_e32 v30, v28, v30
	v_and_b32_e32 v31, v36, v31
	v_mbcnt_lo_u32_b32 v28, v30, 0
	s_waitcnt vmcnt(0)
	v_mad_u64_u32 v[34:35], s[6:7], v49, v48, v[2:3]
	v_mbcnt_hi_u32_b32 v35, v31, v28
	v_mul_u32_u24_e32 v33, 5, v2
	v_lshrrev_b32_e32 v45, 6, v34
	v_cmp_eq_u32_e32 vcc, 0, v35
	v_cmp_ne_u64_e64 s[6:7], 0, v[30:31]
	v_lshlrev_b32_e32 v33, 2, v33
	v_add_lshl_u32 v38, v45, v50, 2
	s_and_b64 s[8:9], s[6:7], vcc
	ds_write2_b32 v33, v29, v29 offset0:8 offset1:9
	ds_write2_b32 v33, v29, v29 offset0:10 offset1:11
	ds_write_b32 v33, v29 offset:48
	s_waitcnt lgkmcnt(0)
	s_barrier
	s_waitcnt lgkmcnt(0)
	; wave barrier
	s_and_saveexec_b64 s[6:7], s[8:9]
	s_cbranch_execz .LBB884_31
; %bb.30:
	v_bcnt_u32_b32 v28, v30, 0
	v_bcnt_u32_b32 v28, v31, v28
	ds_write_b32 v38, v28 offset:32
.LBB884_31:
	s_or_b64 exec, exec, s[6:7]
	v_lshrrev_b64 v[30:31], s24, v[4:5]
	v_and_b32_e32 v36, s33, v30
	v_lshl_add_u32 v28, v36, 3, v36
	v_add_lshl_u32 v40, v45, v28, 2
	v_and_b32_e32 v28, 1, v36
	v_lshl_add_u64 v[30:31], v[28:29], 0, -1
	v_cmp_ne_u32_e32 vcc, 0, v28
	; wave barrier
	s_nop 1
	v_xor_b32_e32 v30, vcc_lo, v30
	v_xor_b32_e32 v28, vcc_hi, v31
	v_and_b32_e32 v37, exec_lo, v30
	v_lshlrev_b32_e32 v31, 30, v36
	v_mov_b32_e32 v30, v29
	v_cmp_gt_i64_e32 vcc, 0, v[30:31]
	v_not_b32_e32 v30, v31
	v_ashrrev_i32_e32 v30, 31, v30
	v_and_b32_e32 v28, exec_hi, v28
	v_xor_b32_e32 v31, vcc_hi, v30
	v_xor_b32_e32 v30, vcc_lo, v30
	v_and_b32_e32 v28, v28, v31
	v_and_b32_e32 v37, v37, v30
	v_lshlrev_b32_e32 v31, 29, v36
	v_mov_b32_e32 v30, v29
	v_cmp_gt_i64_e32 vcc, 0, v[30:31]
	v_not_b32_e32 v30, v31
	v_ashrrev_i32_e32 v30, 31, v30
	v_xor_b32_e32 v31, vcc_hi, v30
	v_xor_b32_e32 v30, vcc_lo, v30
	v_and_b32_e32 v28, v28, v31
	v_and_b32_e32 v37, v37, v30
	v_lshlrev_b32_e32 v31, 28, v36
	v_mov_b32_e32 v30, v29
	v_cmp_gt_i64_e32 vcc, 0, v[30:31]
	v_not_b32_e32 v30, v31
	v_ashrrev_i32_e32 v30, 31, v30
	v_xor_b32_e32 v31, vcc_hi, v30
	v_xor_b32_e32 v30, vcc_lo, v30
	v_and_b32_e32 v28, v28, v31
	v_and_b32_e32 v37, v37, v30
	v_lshlrev_b32_e32 v31, 27, v36
	v_mov_b32_e32 v30, v29
	v_cmp_gt_i64_e32 vcc, 0, v[30:31]
	v_not_b32_e32 v30, v31
	v_ashrrev_i32_e32 v30, 31, v30
	v_xor_b32_e32 v31, vcc_hi, v30
	v_xor_b32_e32 v30, vcc_lo, v30
	v_and_b32_e32 v28, v28, v31
	v_and_b32_e32 v37, v37, v30
	v_lshlrev_b32_e32 v31, 26, v36
	v_mov_b32_e32 v30, v29
	v_cmp_gt_i64_e32 vcc, 0, v[30:31]
	v_not_b32_e32 v30, v31
	v_ashrrev_i32_e32 v30, 31, v30
	v_xor_b32_e32 v31, vcc_hi, v30
	v_xor_b32_e32 v30, vcc_lo, v30
	v_and_b32_e32 v28, v28, v31
	v_and_b32_e32 v37, v37, v30
	v_lshlrev_b32_e32 v31, 25, v36
	v_mov_b32_e32 v30, v29
	v_cmp_gt_i64_e32 vcc, 0, v[30:31]
	v_not_b32_e32 v30, v31
	v_ashrrev_i32_e32 v30, 31, v30
	v_xor_b32_e32 v31, vcc_hi, v30
	v_xor_b32_e32 v30, vcc_lo, v30
	v_and_b32_e32 v28, v28, v31
	v_lshlrev_b32_e32 v31, 24, v36
	v_and_b32_e32 v37, v37, v30
	v_mov_b32_e32 v30, v29
	v_not_b32_e32 v29, v31
	v_cmp_gt_i64_e32 vcc, 0, v[30:31]
	v_ashrrev_i32_e32 v29, 31, v29
	ds_read_b32 v34, v40 offset:32
	v_xor_b32_e32 v30, vcc_hi, v29
	v_xor_b32_e32 v31, vcc_lo, v29
	v_and_b32_e32 v29, v28, v30
	v_and_b32_e32 v28, v37, v31
	v_mbcnt_lo_u32_b32 v30, v28, 0
	v_mbcnt_hi_u32_b32 v36, v29, v30
	v_cmp_eq_u32_e32 vcc, 0, v36
	v_cmp_ne_u64_e64 s[6:7], 0, v[28:29]
	s_and_b64 s[8:9], s[6:7], vcc
	; wave barrier
	s_and_saveexec_b64 s[6:7], s[8:9]
	s_cbranch_execz .LBB884_33
; %bb.32:
	v_bcnt_u32_b32 v28, v28, 0
	v_bcnt_u32_b32 v28, v29, v28
	s_waitcnt lgkmcnt(0)
	v_add_u32_e32 v28, v34, v28
	ds_write_b32 v40, v28 offset:32
.LBB884_33:
	s_or_b64 exec, exec, s[6:7]
	v_lshrrev_b64 v[28:29], s24, v[10:11]
	v_and_b32_e32 v39, s33, v28
	v_lshl_add_u32 v28, v39, 3, v39
	v_add_lshl_u32 v42, v45, v28, 2
	v_and_b32_e32 v28, 1, v39
	v_mov_b32_e32 v29, 0
	v_lshl_add_u64 v[30:31], v[28:29], 0, -1
	v_cmp_ne_u32_e32 vcc, 0, v28
	; wave barrier
	s_nop 1
	v_xor_b32_e32 v30, vcc_lo, v30
	v_xor_b32_e32 v28, vcc_hi, v31
	v_and_b32_e32 v41, exec_lo, v30
	v_lshlrev_b32_e32 v31, 30, v39
	v_mov_b32_e32 v30, v29
	v_cmp_gt_i64_e32 vcc, 0, v[30:31]
	v_not_b32_e32 v30, v31
	v_ashrrev_i32_e32 v30, 31, v30
	v_and_b32_e32 v28, exec_hi, v28
	v_xor_b32_e32 v31, vcc_hi, v30
	v_xor_b32_e32 v30, vcc_lo, v30
	v_and_b32_e32 v28, v28, v31
	v_and_b32_e32 v41, v41, v30
	v_lshlrev_b32_e32 v31, 29, v39
	v_mov_b32_e32 v30, v29
	v_cmp_gt_i64_e32 vcc, 0, v[30:31]
	v_not_b32_e32 v30, v31
	v_ashrrev_i32_e32 v30, 31, v30
	v_xor_b32_e32 v31, vcc_hi, v30
	v_xor_b32_e32 v30, vcc_lo, v30
	v_and_b32_e32 v28, v28, v31
	v_and_b32_e32 v41, v41, v30
	v_lshlrev_b32_e32 v31, 28, v39
	v_mov_b32_e32 v30, v29
	v_cmp_gt_i64_e32 vcc, 0, v[30:31]
	v_not_b32_e32 v30, v31
	v_ashrrev_i32_e32 v30, 31, v30
	;; [unrolled: 9-line block ×6, first 2 shown]
	v_xor_b32_e32 v31, vcc_hi, v30
	v_xor_b32_e32 v30, vcc_lo, v30
	ds_read_b32 v37, v42 offset:32
	v_and_b32_e32 v30, v41, v30
	v_and_b32_e32 v31, v28, v31
	v_mbcnt_lo_u32_b32 v28, v30, 0
	v_mbcnt_hi_u32_b32 v39, v31, v28
	v_cmp_eq_u32_e32 vcc, 0, v39
	v_cmp_ne_u64_e64 s[6:7], 0, v[30:31]
	s_and_b64 s[8:9], s[6:7], vcc
	; wave barrier
	s_and_saveexec_b64 s[6:7], s[8:9]
	s_cbranch_execz .LBB884_35
; %bb.34:
	v_bcnt_u32_b32 v28, v30, 0
	v_bcnt_u32_b32 v28, v31, v28
	s_waitcnt lgkmcnt(0)
	v_add_u32_e32 v28, v37, v28
	ds_write_b32 v42, v28 offset:32
.LBB884_35:
	s_or_b64 exec, exec, s[6:7]
	v_lshrrev_b64 v[30:31], s24, v[8:9]
	v_and_b32_e32 v43, s33, v30
	v_lshl_add_u32 v28, v43, 3, v43
	v_add_lshl_u32 v46, v45, v28, 2
	v_and_b32_e32 v28, 1, v43
	v_lshl_add_u64 v[30:31], v[28:29], 0, -1
	v_cmp_ne_u32_e32 vcc, 0, v28
	; wave barrier
	s_nop 1
	v_xor_b32_e32 v30, vcc_lo, v30
	v_xor_b32_e32 v28, vcc_hi, v31
	v_and_b32_e32 v44, exec_lo, v30
	v_lshlrev_b32_e32 v31, 30, v43
	v_mov_b32_e32 v30, v29
	v_cmp_gt_i64_e32 vcc, 0, v[30:31]
	v_not_b32_e32 v30, v31
	v_ashrrev_i32_e32 v30, 31, v30
	v_and_b32_e32 v28, exec_hi, v28
	v_xor_b32_e32 v31, vcc_hi, v30
	v_xor_b32_e32 v30, vcc_lo, v30
	v_and_b32_e32 v28, v28, v31
	v_and_b32_e32 v44, v44, v30
	v_lshlrev_b32_e32 v31, 29, v43
	v_mov_b32_e32 v30, v29
	v_cmp_gt_i64_e32 vcc, 0, v[30:31]
	v_not_b32_e32 v30, v31
	v_ashrrev_i32_e32 v30, 31, v30
	v_xor_b32_e32 v31, vcc_hi, v30
	v_xor_b32_e32 v30, vcc_lo, v30
	v_and_b32_e32 v28, v28, v31
	v_and_b32_e32 v44, v44, v30
	v_lshlrev_b32_e32 v31, 28, v43
	v_mov_b32_e32 v30, v29
	v_cmp_gt_i64_e32 vcc, 0, v[30:31]
	v_not_b32_e32 v30, v31
	v_ashrrev_i32_e32 v30, 31, v30
	;; [unrolled: 9-line block ×5, first 2 shown]
	v_xor_b32_e32 v31, vcc_hi, v30
	v_xor_b32_e32 v30, vcc_lo, v30
	v_and_b32_e32 v28, v28, v31
	v_lshlrev_b32_e32 v31, 24, v43
	v_and_b32_e32 v44, v44, v30
	v_mov_b32_e32 v30, v29
	v_not_b32_e32 v29, v31
	v_cmp_gt_i64_e32 vcc, 0, v[30:31]
	v_ashrrev_i32_e32 v29, 31, v29
	ds_read_b32 v41, v46 offset:32
	v_xor_b32_e32 v30, vcc_hi, v29
	v_xor_b32_e32 v31, vcc_lo, v29
	v_and_b32_e32 v29, v28, v30
	v_and_b32_e32 v28, v44, v31
	v_mbcnt_lo_u32_b32 v30, v28, 0
	v_mbcnt_hi_u32_b32 v43, v29, v30
	v_cmp_eq_u32_e32 vcc, 0, v43
	v_cmp_ne_u64_e64 s[6:7], 0, v[28:29]
	s_and_b64 s[8:9], s[6:7], vcc
	; wave barrier
	s_and_saveexec_b64 s[6:7], s[8:9]
	s_cbranch_execz .LBB884_37
; %bb.36:
	v_bcnt_u32_b32 v28, v28, 0
	v_bcnt_u32_b32 v28, v29, v28
	s_waitcnt lgkmcnt(0)
	v_add_u32_e32 v28, v41, v28
	ds_write_b32 v46, v28 offset:32
.LBB884_37:
	s_or_b64 exec, exec, s[6:7]
	v_lshrrev_b64 v[28:29], s24, v[14:15]
	v_and_b32_e32 v47, s33, v28
	v_lshl_add_u32 v28, v47, 3, v47
	v_add_lshl_u32 v49, v45, v28, 2
	v_and_b32_e32 v28, 1, v47
	v_mov_b32_e32 v29, 0
	v_lshl_add_u64 v[30:31], v[28:29], 0, -1
	v_cmp_ne_u32_e32 vcc, 0, v28
	; wave barrier
	s_nop 1
	v_xor_b32_e32 v30, vcc_lo, v30
	v_xor_b32_e32 v28, vcc_hi, v31
	v_and_b32_e32 v48, exec_lo, v30
	v_lshlrev_b32_e32 v31, 30, v47
	v_mov_b32_e32 v30, v29
	v_cmp_gt_i64_e32 vcc, 0, v[30:31]
	v_not_b32_e32 v30, v31
	v_ashrrev_i32_e32 v30, 31, v30
	v_and_b32_e32 v28, exec_hi, v28
	v_xor_b32_e32 v31, vcc_hi, v30
	v_xor_b32_e32 v30, vcc_lo, v30
	v_and_b32_e32 v28, v28, v31
	v_and_b32_e32 v48, v48, v30
	v_lshlrev_b32_e32 v31, 29, v47
	v_mov_b32_e32 v30, v29
	v_cmp_gt_i64_e32 vcc, 0, v[30:31]
	v_not_b32_e32 v30, v31
	v_ashrrev_i32_e32 v30, 31, v30
	v_xor_b32_e32 v31, vcc_hi, v30
	v_xor_b32_e32 v30, vcc_lo, v30
	v_and_b32_e32 v28, v28, v31
	v_and_b32_e32 v48, v48, v30
	v_lshlrev_b32_e32 v31, 28, v47
	v_mov_b32_e32 v30, v29
	v_cmp_gt_i64_e32 vcc, 0, v[30:31]
	v_not_b32_e32 v30, v31
	v_ashrrev_i32_e32 v30, 31, v30
	;; [unrolled: 9-line block ×6, first 2 shown]
	v_xor_b32_e32 v31, vcc_hi, v30
	v_xor_b32_e32 v30, vcc_lo, v30
	ds_read_b32 v44, v49 offset:32
	v_and_b32_e32 v30, v48, v30
	v_and_b32_e32 v31, v28, v31
	v_mbcnt_lo_u32_b32 v28, v30, 0
	v_mbcnt_hi_u32_b32 v47, v31, v28
	v_cmp_eq_u32_e32 vcc, 0, v47
	v_cmp_ne_u64_e64 s[6:7], 0, v[30:31]
	s_and_b64 s[8:9], s[6:7], vcc
	; wave barrier
	s_and_saveexec_b64 s[6:7], s[8:9]
	s_cbranch_execz .LBB884_39
; %bb.38:
	v_bcnt_u32_b32 v28, v30, 0
	v_bcnt_u32_b32 v28, v31, v28
	s_waitcnt lgkmcnt(0)
	v_add_u32_e32 v28, v44, v28
	ds_write_b32 v49, v28 offset:32
.LBB884_39:
	s_or_b64 exec, exec, s[6:7]
	v_lshrrev_b64 v[30:31], s24, v[12:13]
	v_and_b32_e32 v50, s33, v30
	v_lshl_add_u32 v28, v50, 3, v50
	v_add_lshl_u32 v52, v45, v28, 2
	v_and_b32_e32 v28, 1, v50
	v_lshl_add_u64 v[30:31], v[28:29], 0, -1
	v_cmp_ne_u32_e32 vcc, 0, v28
	; wave barrier
	s_nop 1
	v_xor_b32_e32 v30, vcc_lo, v30
	v_xor_b32_e32 v28, vcc_hi, v31
	v_and_b32_e32 v51, exec_lo, v30
	v_lshlrev_b32_e32 v31, 30, v50
	v_mov_b32_e32 v30, v29
	v_cmp_gt_i64_e32 vcc, 0, v[30:31]
	v_not_b32_e32 v30, v31
	v_ashrrev_i32_e32 v30, 31, v30
	v_and_b32_e32 v28, exec_hi, v28
	v_xor_b32_e32 v31, vcc_hi, v30
	v_xor_b32_e32 v30, vcc_lo, v30
	v_and_b32_e32 v28, v28, v31
	v_and_b32_e32 v51, v51, v30
	v_lshlrev_b32_e32 v31, 29, v50
	v_mov_b32_e32 v30, v29
	v_cmp_gt_i64_e32 vcc, 0, v[30:31]
	v_not_b32_e32 v30, v31
	v_ashrrev_i32_e32 v30, 31, v30
	v_xor_b32_e32 v31, vcc_hi, v30
	v_xor_b32_e32 v30, vcc_lo, v30
	v_and_b32_e32 v28, v28, v31
	v_and_b32_e32 v51, v51, v30
	v_lshlrev_b32_e32 v31, 28, v50
	v_mov_b32_e32 v30, v29
	v_cmp_gt_i64_e32 vcc, 0, v[30:31]
	v_not_b32_e32 v30, v31
	v_ashrrev_i32_e32 v30, 31, v30
	;; [unrolled: 9-line block ×5, first 2 shown]
	v_xor_b32_e32 v31, vcc_hi, v30
	v_xor_b32_e32 v30, vcc_lo, v30
	v_and_b32_e32 v28, v28, v31
	v_lshlrev_b32_e32 v31, 24, v50
	v_and_b32_e32 v51, v51, v30
	v_mov_b32_e32 v30, v29
	v_not_b32_e32 v29, v31
	v_cmp_gt_i64_e32 vcc, 0, v[30:31]
	v_ashrrev_i32_e32 v29, 31, v29
	ds_read_b32 v48, v52 offset:32
	v_xor_b32_e32 v30, vcc_hi, v29
	v_xor_b32_e32 v31, vcc_lo, v29
	v_and_b32_e32 v29, v28, v30
	v_and_b32_e32 v28, v51, v31
	v_mbcnt_lo_u32_b32 v30, v28, 0
	v_mbcnt_hi_u32_b32 v50, v29, v30
	v_cmp_eq_u32_e32 vcc, 0, v50
	v_cmp_ne_u64_e64 s[6:7], 0, v[28:29]
	s_and_b64 s[8:9], s[6:7], vcc
	; wave barrier
	s_and_saveexec_b64 s[6:7], s[8:9]
	s_cbranch_execz .LBB884_41
; %bb.40:
	v_bcnt_u32_b32 v28, v28, 0
	v_bcnt_u32_b32 v28, v29, v28
	s_waitcnt lgkmcnt(0)
	v_add_u32_e32 v28, v48, v28
	ds_write_b32 v52, v28 offset:32
.LBB884_41:
	s_or_b64 exec, exec, s[6:7]
	v_lshrrev_b64 v[28:29], s24, v[18:19]
	v_and_b32_e32 v53, s33, v28
	v_lshl_add_u32 v28, v53, 3, v53
	v_add_lshl_u32 v55, v45, v28, 2
	v_and_b32_e32 v28, 1, v53
	v_mov_b32_e32 v29, 0
	v_lshl_add_u64 v[30:31], v[28:29], 0, -1
	v_cmp_ne_u32_e32 vcc, 0, v28
	; wave barrier
	s_nop 1
	v_xor_b32_e32 v30, vcc_lo, v30
	v_xor_b32_e32 v28, vcc_hi, v31
	v_and_b32_e32 v54, exec_lo, v30
	v_lshlrev_b32_e32 v31, 30, v53
	v_mov_b32_e32 v30, v29
	v_cmp_gt_i64_e32 vcc, 0, v[30:31]
	v_not_b32_e32 v30, v31
	v_ashrrev_i32_e32 v30, 31, v30
	v_and_b32_e32 v28, exec_hi, v28
	v_xor_b32_e32 v31, vcc_hi, v30
	v_xor_b32_e32 v30, vcc_lo, v30
	v_and_b32_e32 v28, v28, v31
	v_and_b32_e32 v54, v54, v30
	v_lshlrev_b32_e32 v31, 29, v53
	v_mov_b32_e32 v30, v29
	v_cmp_gt_i64_e32 vcc, 0, v[30:31]
	v_not_b32_e32 v30, v31
	v_ashrrev_i32_e32 v30, 31, v30
	v_xor_b32_e32 v31, vcc_hi, v30
	v_xor_b32_e32 v30, vcc_lo, v30
	v_and_b32_e32 v28, v28, v31
	v_and_b32_e32 v54, v54, v30
	v_lshlrev_b32_e32 v31, 28, v53
	v_mov_b32_e32 v30, v29
	v_cmp_gt_i64_e32 vcc, 0, v[30:31]
	v_not_b32_e32 v30, v31
	v_ashrrev_i32_e32 v30, 31, v30
	;; [unrolled: 9-line block ×6, first 2 shown]
	v_xor_b32_e32 v31, vcc_hi, v30
	v_xor_b32_e32 v30, vcc_lo, v30
	ds_read_b32 v51, v55 offset:32
	v_and_b32_e32 v30, v54, v30
	v_and_b32_e32 v31, v28, v31
	v_mbcnt_lo_u32_b32 v28, v30, 0
	v_mbcnt_hi_u32_b32 v53, v31, v28
	v_cmp_eq_u32_e32 vcc, 0, v53
	v_cmp_ne_u64_e64 s[6:7], 0, v[30:31]
	s_and_b64 s[8:9], s[6:7], vcc
	; wave barrier
	s_and_saveexec_b64 s[6:7], s[8:9]
	s_cbranch_execz .LBB884_43
; %bb.42:
	v_bcnt_u32_b32 v28, v30, 0
	v_bcnt_u32_b32 v28, v31, v28
	s_waitcnt lgkmcnt(0)
	v_add_u32_e32 v28, v51, v28
	ds_write_b32 v55, v28 offset:32
.LBB884_43:
	s_or_b64 exec, exec, s[6:7]
	v_lshrrev_b64 v[30:31], s24, v[16:17]
	v_and_b32_e32 v56, s33, v30
	v_lshl_add_u32 v28, v56, 3, v56
	v_add_lshl_u32 v58, v45, v28, 2
	v_and_b32_e32 v28, 1, v56
	v_lshl_add_u64 v[30:31], v[28:29], 0, -1
	v_cmp_ne_u32_e32 vcc, 0, v28
	; wave barrier
	s_nop 1
	v_xor_b32_e32 v30, vcc_lo, v30
	v_xor_b32_e32 v28, vcc_hi, v31
	v_and_b32_e32 v57, exec_lo, v30
	v_lshlrev_b32_e32 v31, 30, v56
	v_mov_b32_e32 v30, v29
	v_cmp_gt_i64_e32 vcc, 0, v[30:31]
	v_not_b32_e32 v30, v31
	v_ashrrev_i32_e32 v30, 31, v30
	v_and_b32_e32 v28, exec_hi, v28
	v_xor_b32_e32 v31, vcc_hi, v30
	v_xor_b32_e32 v30, vcc_lo, v30
	v_and_b32_e32 v28, v28, v31
	v_and_b32_e32 v57, v57, v30
	v_lshlrev_b32_e32 v31, 29, v56
	v_mov_b32_e32 v30, v29
	v_cmp_gt_i64_e32 vcc, 0, v[30:31]
	v_not_b32_e32 v30, v31
	v_ashrrev_i32_e32 v30, 31, v30
	v_xor_b32_e32 v31, vcc_hi, v30
	v_xor_b32_e32 v30, vcc_lo, v30
	v_and_b32_e32 v28, v28, v31
	v_and_b32_e32 v57, v57, v30
	v_lshlrev_b32_e32 v31, 28, v56
	v_mov_b32_e32 v30, v29
	v_cmp_gt_i64_e32 vcc, 0, v[30:31]
	v_not_b32_e32 v30, v31
	v_ashrrev_i32_e32 v30, 31, v30
	;; [unrolled: 9-line block ×5, first 2 shown]
	v_xor_b32_e32 v31, vcc_hi, v30
	v_xor_b32_e32 v30, vcc_lo, v30
	v_and_b32_e32 v28, v28, v31
	v_lshlrev_b32_e32 v31, 24, v56
	v_and_b32_e32 v57, v57, v30
	v_mov_b32_e32 v30, v29
	v_not_b32_e32 v29, v31
	v_cmp_gt_i64_e32 vcc, 0, v[30:31]
	v_ashrrev_i32_e32 v29, 31, v29
	ds_read_b32 v54, v58 offset:32
	v_xor_b32_e32 v30, vcc_hi, v29
	v_xor_b32_e32 v31, vcc_lo, v29
	v_and_b32_e32 v29, v28, v30
	v_and_b32_e32 v28, v57, v31
	v_mbcnt_lo_u32_b32 v30, v28, 0
	v_mbcnt_hi_u32_b32 v56, v29, v30
	v_cmp_eq_u32_e32 vcc, 0, v56
	v_cmp_ne_u64_e64 s[6:7], 0, v[28:29]
	s_and_b64 s[8:9], s[6:7], vcc
	; wave barrier
	s_and_saveexec_b64 s[6:7], s[8:9]
	s_cbranch_execz .LBB884_45
; %bb.44:
	v_bcnt_u32_b32 v28, v28, 0
	v_bcnt_u32_b32 v28, v29, v28
	s_waitcnt lgkmcnt(0)
	v_add_u32_e32 v28, v54, v28
	ds_write_b32 v58, v28 offset:32
.LBB884_45:
	s_or_b64 exec, exec, s[6:7]
	v_lshrrev_b64 v[28:29], s24, v[22:23]
	v_and_b32_e32 v59, s33, v28
	v_lshl_add_u32 v28, v59, 3, v59
	v_add_lshl_u32 v61, v45, v28, 2
	v_and_b32_e32 v28, 1, v59
	v_mov_b32_e32 v29, 0
	v_lshl_add_u64 v[30:31], v[28:29], 0, -1
	v_cmp_ne_u32_e32 vcc, 0, v28
	; wave barrier
	s_nop 1
	v_xor_b32_e32 v30, vcc_lo, v30
	v_xor_b32_e32 v28, vcc_hi, v31
	v_and_b32_e32 v60, exec_lo, v30
	v_lshlrev_b32_e32 v31, 30, v59
	v_mov_b32_e32 v30, v29
	v_cmp_gt_i64_e32 vcc, 0, v[30:31]
	v_not_b32_e32 v30, v31
	v_ashrrev_i32_e32 v30, 31, v30
	v_and_b32_e32 v28, exec_hi, v28
	v_xor_b32_e32 v31, vcc_hi, v30
	v_xor_b32_e32 v30, vcc_lo, v30
	v_and_b32_e32 v28, v28, v31
	v_and_b32_e32 v60, v60, v30
	v_lshlrev_b32_e32 v31, 29, v59
	v_mov_b32_e32 v30, v29
	v_cmp_gt_i64_e32 vcc, 0, v[30:31]
	v_not_b32_e32 v30, v31
	v_ashrrev_i32_e32 v30, 31, v30
	v_xor_b32_e32 v31, vcc_hi, v30
	v_xor_b32_e32 v30, vcc_lo, v30
	v_and_b32_e32 v28, v28, v31
	v_and_b32_e32 v60, v60, v30
	v_lshlrev_b32_e32 v31, 28, v59
	v_mov_b32_e32 v30, v29
	v_cmp_gt_i64_e32 vcc, 0, v[30:31]
	v_not_b32_e32 v30, v31
	v_ashrrev_i32_e32 v30, 31, v30
	v_xor_b32_e32 v31, vcc_hi, v30
	v_xor_b32_e32 v30, vcc_lo, v30
	v_and_b32_e32 v28, v28, v31
	v_and_b32_e32 v60, v60, v30
	v_lshlrev_b32_e32 v31, 27, v59
	v_mov_b32_e32 v30, v29
	v_cmp_gt_i64_e32 vcc, 0, v[30:31]
	v_not_b32_e32 v30, v31
	v_ashrrev_i32_e32 v30, 31, v30
	v_xor_b32_e32 v31, vcc_hi, v30
	v_xor_b32_e32 v30, vcc_lo, v30
	v_and_b32_e32 v28, v28, v31
	v_and_b32_e32 v60, v60, v30
	v_lshlrev_b32_e32 v31, 26, v59
	v_mov_b32_e32 v30, v29
	v_cmp_gt_i64_e32 vcc, 0, v[30:31]
	v_not_b32_e32 v30, v31
	v_ashrrev_i32_e32 v30, 31, v30
	v_xor_b32_e32 v31, vcc_hi, v30
	v_xor_b32_e32 v30, vcc_lo, v30
	v_and_b32_e32 v28, v28, v31
	v_and_b32_e32 v60, v60, v30
	v_lshlrev_b32_e32 v31, 25, v59
	v_mov_b32_e32 v30, v29
	v_cmp_gt_i64_e32 vcc, 0, v[30:31]
	v_not_b32_e32 v30, v31
	v_ashrrev_i32_e32 v30, 31, v30
	v_xor_b32_e32 v31, vcc_hi, v30
	v_xor_b32_e32 v30, vcc_lo, v30
	v_and_b32_e32 v28, v28, v31
	v_and_b32_e32 v60, v60, v30
	v_lshlrev_b32_e32 v31, 24, v59
	v_mov_b32_e32 v30, v29
	v_cmp_gt_i64_e32 vcc, 0, v[30:31]
	v_not_b32_e32 v30, v31
	v_ashrrev_i32_e32 v30, 31, v30
	v_xor_b32_e32 v31, vcc_hi, v30
	v_xor_b32_e32 v30, vcc_lo, v30
	ds_read_b32 v57, v61 offset:32
	v_and_b32_e32 v30, v60, v30
	v_and_b32_e32 v31, v28, v31
	v_mbcnt_lo_u32_b32 v28, v30, 0
	v_mbcnt_hi_u32_b32 v59, v31, v28
	v_cmp_eq_u32_e32 vcc, 0, v59
	v_cmp_ne_u64_e64 s[6:7], 0, v[30:31]
	s_and_b64 s[8:9], s[6:7], vcc
	; wave barrier
	s_and_saveexec_b64 s[6:7], s[8:9]
	s_cbranch_execz .LBB884_47
; %bb.46:
	v_bcnt_u32_b32 v28, v30, 0
	v_bcnt_u32_b32 v28, v31, v28
	s_waitcnt lgkmcnt(0)
	v_add_u32_e32 v28, v57, v28
	ds_write_b32 v61, v28 offset:32
.LBB884_47:
	s_or_b64 exec, exec, s[6:7]
	v_lshrrev_b64 v[30:31], s24, v[20:21]
	v_and_b32_e32 v62, s33, v30
	v_lshl_add_u32 v28, v62, 3, v62
	v_add_lshl_u32 v64, v45, v28, 2
	v_and_b32_e32 v28, 1, v62
	v_lshl_add_u64 v[30:31], v[28:29], 0, -1
	v_cmp_ne_u32_e32 vcc, 0, v28
	; wave barrier
	s_nop 1
	v_xor_b32_e32 v30, vcc_lo, v30
	v_xor_b32_e32 v28, vcc_hi, v31
	v_and_b32_e32 v63, exec_lo, v30
	v_lshlrev_b32_e32 v31, 30, v62
	v_mov_b32_e32 v30, v29
	v_cmp_gt_i64_e32 vcc, 0, v[30:31]
	v_not_b32_e32 v30, v31
	v_ashrrev_i32_e32 v30, 31, v30
	v_and_b32_e32 v28, exec_hi, v28
	v_xor_b32_e32 v31, vcc_hi, v30
	v_xor_b32_e32 v30, vcc_lo, v30
	v_and_b32_e32 v28, v28, v31
	v_and_b32_e32 v63, v63, v30
	v_lshlrev_b32_e32 v31, 29, v62
	v_mov_b32_e32 v30, v29
	v_cmp_gt_i64_e32 vcc, 0, v[30:31]
	v_not_b32_e32 v30, v31
	v_ashrrev_i32_e32 v30, 31, v30
	v_xor_b32_e32 v31, vcc_hi, v30
	v_xor_b32_e32 v30, vcc_lo, v30
	v_and_b32_e32 v28, v28, v31
	v_and_b32_e32 v63, v63, v30
	v_lshlrev_b32_e32 v31, 28, v62
	v_mov_b32_e32 v30, v29
	v_cmp_gt_i64_e32 vcc, 0, v[30:31]
	v_not_b32_e32 v30, v31
	v_ashrrev_i32_e32 v30, 31, v30
	;; [unrolled: 9-line block ×5, first 2 shown]
	v_xor_b32_e32 v31, vcc_hi, v30
	v_xor_b32_e32 v30, vcc_lo, v30
	v_and_b32_e32 v28, v28, v31
	v_lshlrev_b32_e32 v31, 24, v62
	v_and_b32_e32 v63, v63, v30
	v_mov_b32_e32 v30, v29
	v_not_b32_e32 v29, v31
	v_cmp_gt_i64_e32 vcc, 0, v[30:31]
	v_ashrrev_i32_e32 v29, 31, v29
	ds_read_b32 v60, v64 offset:32
	v_xor_b32_e32 v30, vcc_hi, v29
	v_xor_b32_e32 v31, vcc_lo, v29
	v_and_b32_e32 v29, v28, v30
	v_and_b32_e32 v28, v63, v31
	v_mbcnt_lo_u32_b32 v30, v28, 0
	v_mbcnt_hi_u32_b32 v62, v29, v30
	v_cmp_eq_u32_e32 vcc, 0, v62
	v_cmp_ne_u64_e64 s[6:7], 0, v[28:29]
	s_and_b64 s[8:9], s[6:7], vcc
	; wave barrier
	s_and_saveexec_b64 s[6:7], s[8:9]
	s_cbranch_execz .LBB884_49
; %bb.48:
	v_bcnt_u32_b32 v28, v28, 0
	v_bcnt_u32_b32 v28, v29, v28
	s_waitcnt lgkmcnt(0)
	v_add_u32_e32 v28, v60, v28
	ds_write_b32 v64, v28 offset:32
.LBB884_49:
	s_or_b64 exec, exec, s[6:7]
	v_lshrrev_b64 v[28:29], s24, v[26:27]
	v_and_b32_e32 v65, s33, v28
	v_lshl_add_u32 v28, v65, 3, v65
	v_add_lshl_u32 v66, v45, v28, 2
	v_and_b32_e32 v28, 1, v65
	v_mov_b32_e32 v29, 0
	v_lshl_add_u64 v[30:31], v[28:29], 0, -1
	v_cmp_ne_u32_e32 vcc, 0, v28
	; wave barrier
	s_nop 1
	v_xor_b32_e32 v30, vcc_lo, v30
	v_xor_b32_e32 v28, vcc_hi, v31
	v_and_b32_e32 v67, exec_lo, v30
	v_lshlrev_b32_e32 v31, 30, v65
	v_mov_b32_e32 v30, v29
	v_cmp_gt_i64_e32 vcc, 0, v[30:31]
	v_not_b32_e32 v30, v31
	v_ashrrev_i32_e32 v30, 31, v30
	v_and_b32_e32 v28, exec_hi, v28
	v_xor_b32_e32 v31, vcc_hi, v30
	v_xor_b32_e32 v30, vcc_lo, v30
	v_and_b32_e32 v28, v28, v31
	v_and_b32_e32 v67, v67, v30
	v_lshlrev_b32_e32 v31, 29, v65
	v_mov_b32_e32 v30, v29
	v_cmp_gt_i64_e32 vcc, 0, v[30:31]
	v_not_b32_e32 v30, v31
	v_ashrrev_i32_e32 v30, 31, v30
	v_xor_b32_e32 v31, vcc_hi, v30
	v_xor_b32_e32 v30, vcc_lo, v30
	v_and_b32_e32 v28, v28, v31
	v_and_b32_e32 v67, v67, v30
	v_lshlrev_b32_e32 v31, 28, v65
	v_mov_b32_e32 v30, v29
	v_cmp_gt_i64_e32 vcc, 0, v[30:31]
	v_not_b32_e32 v30, v31
	v_ashrrev_i32_e32 v30, 31, v30
	;; [unrolled: 9-line block ×6, first 2 shown]
	v_xor_b32_e32 v31, vcc_hi, v30
	v_xor_b32_e32 v30, vcc_lo, v30
	ds_read_b32 v63, v66 offset:32
	v_and_b32_e32 v30, v67, v30
	v_and_b32_e32 v31, v28, v31
	v_mbcnt_lo_u32_b32 v28, v30, 0
	v_mbcnt_hi_u32_b32 v65, v31, v28
	v_cmp_eq_u32_e32 vcc, 0, v65
	v_cmp_ne_u64_e64 s[6:7], 0, v[30:31]
	s_and_b64 s[8:9], s[6:7], vcc
	; wave barrier
	s_and_saveexec_b64 s[6:7], s[8:9]
	s_cbranch_execz .LBB884_51
; %bb.50:
	v_bcnt_u32_b32 v28, v30, 0
	v_bcnt_u32_b32 v28, v31, v28
	s_waitcnt lgkmcnt(0)
	v_add_u32_e32 v28, v63, v28
	ds_write_b32 v66, v28 offset:32
.LBB884_51:
	s_or_b64 exec, exec, s[6:7]
	v_lshrrev_b64 v[30:31], s24, v[24:25]
	v_and_b32_e32 v67, s33, v30
	v_lshl_add_u32 v28, v67, 3, v67
	v_add_lshl_u32 v68, v45, v28, 2
	v_and_b32_e32 v28, 1, v67
	v_lshl_add_u64 v[30:31], v[28:29], 0, -1
	v_cmp_ne_u32_e32 vcc, 0, v28
	; wave barrier
	s_nop 1
	v_xor_b32_e32 v30, vcc_lo, v30
	v_xor_b32_e32 v28, vcc_hi, v31
	v_and_b32_e32 v70, exec_lo, v30
	v_lshlrev_b32_e32 v31, 30, v67
	v_mov_b32_e32 v30, v29
	v_cmp_gt_i64_e32 vcc, 0, v[30:31]
	v_not_b32_e32 v30, v31
	v_ashrrev_i32_e32 v30, 31, v30
	v_and_b32_e32 v28, exec_hi, v28
	v_xor_b32_e32 v31, vcc_hi, v30
	v_xor_b32_e32 v30, vcc_lo, v30
	v_and_b32_e32 v28, v28, v31
	v_and_b32_e32 v70, v70, v30
	v_lshlrev_b32_e32 v31, 29, v67
	v_mov_b32_e32 v30, v29
	v_cmp_gt_i64_e32 vcc, 0, v[30:31]
	v_not_b32_e32 v30, v31
	v_ashrrev_i32_e32 v30, 31, v30
	v_xor_b32_e32 v31, vcc_hi, v30
	v_xor_b32_e32 v30, vcc_lo, v30
	v_and_b32_e32 v28, v28, v31
	v_and_b32_e32 v70, v70, v30
	v_lshlrev_b32_e32 v31, 28, v67
	v_mov_b32_e32 v30, v29
	v_cmp_gt_i64_e32 vcc, 0, v[30:31]
	v_not_b32_e32 v30, v31
	v_ashrrev_i32_e32 v30, 31, v30
	;; [unrolled: 9-line block ×5, first 2 shown]
	v_xor_b32_e32 v31, vcc_hi, v30
	v_xor_b32_e32 v30, vcc_lo, v30
	v_and_b32_e32 v28, v28, v31
	v_lshlrev_b32_e32 v31, 24, v67
	v_and_b32_e32 v70, v70, v30
	v_mov_b32_e32 v30, v29
	v_not_b32_e32 v29, v31
	v_cmp_gt_i64_e32 vcc, 0, v[30:31]
	v_ashrrev_i32_e32 v29, 31, v29
	ds_read_b32 v45, v68 offset:32
	v_xor_b32_e32 v30, vcc_hi, v29
	v_xor_b32_e32 v31, vcc_lo, v29
	v_and_b32_e32 v29, v28, v30
	v_and_b32_e32 v28, v70, v31
	v_mbcnt_lo_u32_b32 v30, v28, 0
	v_mbcnt_hi_u32_b32 v67, v29, v30
	v_cmp_eq_u32_e32 vcc, 0, v67
	v_cmp_ne_u64_e64 s[6:7], 0, v[28:29]
	v_add_u32_e32 v69, 32, v33
	s_and_b64 s[8:9], s[6:7], vcc
	; wave barrier
	s_and_saveexec_b64 s[6:7], s[8:9]
	s_cbranch_execz .LBB884_53
; %bb.52:
	v_bcnt_u32_b32 v28, v28, 0
	v_bcnt_u32_b32 v28, v29, v28
	s_waitcnt lgkmcnt(0)
	v_add_u32_e32 v28, v45, v28
	ds_write_b32 v68, v28 offset:32
.LBB884_53:
	s_or_b64 exec, exec, s[6:7]
	; wave barrier
	s_waitcnt lgkmcnt(0)
	s_barrier
	ds_read2_b32 v[30:31], v33 offset0:8 offset1:9
	ds_read2_b32 v[28:29], v69 offset0:2 offset1:3
	ds_read_b32 v70, v69 offset:16
	v_min_u32_e32 v32, 0x1c0, v32
	v_or_b32_e32 v32, 63, v32
	s_waitcnt lgkmcnt(1)
	v_add3_u32 v71, v31, v30, v28
	s_waitcnt lgkmcnt(0)
	v_add3_u32 v70, v71, v29, v70
	v_and_b32_e32 v71, 15, v3
	v_cmp_ne_u32_e32 vcc, 0, v71
	v_mov_b32_dpp v72, v70 row_shr:1 row_mask:0xf bank_mask:0xf
	s_nop 0
	v_cndmask_b32_e32 v72, 0, v72, vcc
	v_add_u32_e32 v70, v72, v70
	v_cmp_lt_u32_e32 vcc, 1, v71
	s_nop 0
	v_mov_b32_dpp v72, v70 row_shr:2 row_mask:0xf bank_mask:0xf
	v_cndmask_b32_e32 v72, 0, v72, vcc
	v_add_u32_e32 v70, v70, v72
	v_cmp_lt_u32_e32 vcc, 3, v71
	s_nop 0
	v_mov_b32_dpp v72, v70 row_shr:4 row_mask:0xf bank_mask:0xf
	;; [unrolled: 5-line block ×3, first 2 shown]
	v_cndmask_b32_e32 v71, 0, v72, vcc
	v_add_u32_e32 v70, v70, v71
	v_bfe_i32 v72, v3, 4, 1
	v_cmp_lt_u32_e32 vcc, 31, v3
	v_mov_b32_dpp v71, v70 row_bcast:15 row_mask:0xf bank_mask:0xf
	v_and_b32_e32 v71, v72, v71
	v_add_u32_e32 v70, v70, v71
	s_nop 1
	v_mov_b32_dpp v71, v70 row_bcast:31 row_mask:0xf bank_mask:0xf
	v_cndmask_b32_e32 v71, 0, v71, vcc
	v_add_u32_e32 v70, v70, v71
	v_lshrrev_b32_e32 v71, 6, v2
	v_cmp_eq_u32_e32 vcc, v32, v2
	s_and_saveexec_b64 s[6:7], vcc
	s_cbranch_execz .LBB884_55
; %bb.54:
	v_lshlrev_b32_e32 v32, 2, v71
	ds_write_b32 v32, v70
.LBB884_55:
	s_or_b64 exec, exec, s[6:7]
	v_cmp_gt_u32_e32 vcc, 8, v2
	s_waitcnt lgkmcnt(0)
	s_barrier
	s_and_saveexec_b64 s[6:7], vcc
	s_cbranch_execz .LBB884_57
; %bb.56:
	v_lshlrev_b32_e32 v32, 2, v2
	ds_read_b32 v72, v32
	v_and_b32_e32 v73, 7, v3
	v_cmp_ne_u32_e32 vcc, 0, v73
	s_waitcnt lgkmcnt(0)
	v_mov_b32_dpp v74, v72 row_shr:1 row_mask:0xf bank_mask:0xf
	v_cndmask_b32_e32 v74, 0, v74, vcc
	v_add_u32_e32 v72, v74, v72
	v_cmp_lt_u32_e32 vcc, 1, v73
	s_nop 0
	v_mov_b32_dpp v74, v72 row_shr:2 row_mask:0xf bank_mask:0xf
	v_cndmask_b32_e32 v74, 0, v74, vcc
	v_add_u32_e32 v72, v72, v74
	v_cmp_lt_u32_e32 vcc, 3, v73
	s_nop 0
	v_mov_b32_dpp v74, v72 row_shr:4 row_mask:0xf bank_mask:0xf
	v_cndmask_b32_e32 v73, 0, v74, vcc
	v_add_u32_e32 v72, v72, v73
	ds_write_b32 v32, v72
.LBB884_57:
	s_or_b64 exec, exec, s[6:7]
	v_cmp_lt_u32_e32 vcc, 63, v2
	v_mov_b32_e32 v32, 0
	s_waitcnt lgkmcnt(0)
	s_barrier
	s_and_saveexec_b64 s[6:7], vcc
	s_cbranch_execz .LBB884_59
; %bb.58:
	v_lshl_add_u32 v32, v71, 2, -4
	ds_read_b32 v32, v32
.LBB884_59:
	s_or_b64 exec, exec, s[6:7]
	v_add_u32_e32 v71, -1, v3
	v_and_b32_e32 v72, 64, v3
	v_cmp_lt_i32_e32 vcc, v71, v72
	s_waitcnt lgkmcnt(0)
	v_add_u32_e32 v70, v32, v70
	s_movk_i32 s6, 0x100
	v_cndmask_b32_e32 v71, v71, v3, vcc
	v_lshlrev_b32_e32 v71, 2, v71
	ds_bpermute_b32 v70, v71, v70
	v_cmp_eq_u32_e32 vcc, 0, v3
	s_waitcnt lgkmcnt(0)
	s_nop 0
	v_cndmask_b32_e32 v3, v70, v32, vcc
	v_cndmask_b32_e64 v3, v3, 0, s[4:5]
	v_add_u32_e32 v30, v3, v30
	v_add_u32_e32 v31, v30, v31
	;; [unrolled: 1-line block ×4, first 2 shown]
	ds_write2_b32 v33, v3, v30 offset0:8 offset1:9
	ds_write2_b32 v69, v31, v28 offset0:2 offset1:3
	ds_write_b32 v69, v29 offset:16
	s_waitcnt lgkmcnt(0)
	s_barrier
	ds_read_b32 v75, v38 offset:32
	ds_read_b32 v69, v40 offset:32
	ds_read_b32 v70, v42 offset:32
	ds_read_b32 v71, v46 offset:32
	ds_read_b32 v72, v49 offset:32
	ds_read_b32 v73, v52 offset:32
	ds_read_b32 v74, v55 offset:32
	ds_read_b32 v58, v58 offset:32
	ds_read_b32 v52, v61 offset:32
	ds_read_b32 v46, v64 offset:32
	ds_read_b32 v42, v66 offset:32
	ds_read_b32 v40, v68 offset:32
	v_cmp_gt_u32_e32 vcc, s6, v2
                                        ; implicit-def: $vgpr3
                                        ; implicit-def: $vgpr38
	s_and_saveexec_b64 s[8:9], vcc
	s_cbranch_execz .LBB884_63
; %bb.60:
	v_mul_u32_u24_e32 v3, 9, v2
	v_lshlrev_b32_e32 v29, 2, v3
	ds_read_b32 v3, v29 offset:32
	s_movk_i32 s6, 0xff
	v_cmp_ne_u32_e64 s[6:7], s6, v2
	v_mov_b32_e32 v28, 0x1800
	s_and_saveexec_b64 s[10:11], s[6:7]
	s_cbranch_execz .LBB884_62
; %bb.61:
	ds_read_b32 v28, v29 offset:68
.LBB884_62:
	s_or_b64 exec, exec, s[10:11]
	s_waitcnt lgkmcnt(0)
	v_sub_u32_e32 v38, v28, v3
.LBB884_63:
	s_or_b64 exec, exec, s[8:9]
	s_waitcnt lgkmcnt(0)
	s_barrier
	s_and_saveexec_b64 s[8:9], vcc
	s_cbranch_execz .LBB884_73
; %bb.64:
	v_lshl_or_b32 v30, s27, 8, v2
	v_mov_b32_e32 v31, 0
	v_lshl_add_u64 v[28:29], v[30:31], 2, s[18:19]
	v_or_b32_e32 v30, 2.0, v38
	s_mov_b64 s[10:11], 0
	s_brev_b32 s16, 1
	s_mov_b32 s17, s27
	v_mov_b32_e32 v49, 0
	global_store_dword v[28:29], v30, off sc1
                                        ; implicit-def: $sgpr6_sgpr7
	s_branch .LBB884_66
.LBB884_65:                             ;   in Loop: Header=BB884_66 Depth=1
	s_or_b64 exec, exec, s[12:13]
	v_and_b32_e32 v32, 0x3fffffff, v55
	v_add_u32_e32 v49, v32, v49
	v_cmp_eq_u32_e64 s[6:7], s16, v30
	s_and_b64 s[12:13], exec, s[6:7]
	s_or_b64 s[10:11], s[12:13], s[10:11]
	s_andn2_b64 exec, exec, s[10:11]
	s_cbranch_execz .LBB884_72
.LBB884_66:                             ; =>This Loop Header: Depth=1
                                        ;     Child Loop BB884_69 Depth 2
	s_or_b64 s[6:7], s[6:7], exec
	s_cmp_eq_u32 s17, 0
	s_cbranch_scc1 .LBB884_71
; %bb.67:                               ;   in Loop: Header=BB884_66 Depth=1
	s_add_i32 s17, s17, -1
	v_lshl_or_b32 v30, s17, 8, v2
	v_lshl_add_u64 v[32:33], v[30:31], 2, s[18:19]
	global_load_dword v55, v[32:33], off sc1
	s_waitcnt vmcnt(0)
	v_and_b32_e32 v30, -2.0, v55
	v_cmp_eq_u32_e64 s[6:7], 0, v30
	s_and_saveexec_b64 s[12:13], s[6:7]
	s_cbranch_execz .LBB884_65
; %bb.68:                               ;   in Loop: Header=BB884_66 Depth=1
	s_mov_b64 s[14:15], 0
.LBB884_69:                             ;   Parent Loop BB884_66 Depth=1
                                        ; =>  This Inner Loop Header: Depth=2
	global_load_dword v55, v[32:33], off sc1
	s_waitcnt vmcnt(0)
	v_and_b32_e32 v30, -2.0, v55
	v_cmp_ne_u32_e64 s[6:7], 0, v30
	s_or_b64 s[14:15], s[6:7], s[14:15]
	s_andn2_b64 exec, exec, s[14:15]
	s_cbranch_execnz .LBB884_69
; %bb.70:                               ;   in Loop: Header=BB884_66 Depth=1
	s_or_b64 exec, exec, s[14:15]
	s_branch .LBB884_65
.LBB884_71:                             ;   in Loop: Header=BB884_66 Depth=1
                                        ; implicit-def: $sgpr17
	s_and_b64 s[12:13], exec, s[6:7]
	s_or_b64 s[10:11], s[12:13], s[10:11]
	s_andn2_b64 exec, exec, s[10:11]
	s_cbranch_execnz .LBB884_66
.LBB884_72:
	s_or_b64 exec, exec, s[10:11]
	v_add_u32_e32 v30, v49, v38
	v_or_b32_e32 v30, 0x80000000, v30
	global_store_dword v[28:29], v30, off sc1
	v_lshlrev_b32_e32 v28, 2, v2
	global_load_dword v29, v28, s[20:21]
	v_sub_u32_e32 v30, v49, v3
	s_waitcnt vmcnt(0)
	v_add_u32_e32 v29, v30, v29
	ds_write_b32 v28, v29
.LBB884_73:
	s_or_b64 exec, exec, s[8:9]
	v_add_u32_e32 v30, v75, v35
	v_add3_u32 v28, v36, v34, v69
	v_add3_u32 v29, v39, v37, v70
	;; [unrolled: 1-line block ×11, first 2 shown]
	v_lshlrev_b32_e32 v31, 3, v2
	v_mov_b32_e32 v77, 0x400
	s_movk_i32 s10, 0x400
	v_add_u32_e32 v32, 0x400, v31
	v_lshl_add_u32 v33, v33, 3, v77
	v_add3_u32 v35, v67, v40, v45
	v_lshl_add_u32 v40, v76, 3, v77
	v_add3_u32 v42, v65, v42, v63
	;; [unrolled: 2-line block ×11, first 2 shown]
	v_lshl_add_u32 v36, v30, 3, v77
	s_mov_b32 s11, 0
	v_mov_b32_e32 v29, 0
	s_movk_i32 s12, 0x200
	v_mov_b32_e32 v57, v2
	s_mov_b32 s13, 0
	s_branch .LBB884_75
.LBB884_74:                             ;   in Loop: Header=BB884_75 Depth=1
	s_or_b64 exec, exec, s[8:9]
	s_addk_i32 s13, 0xe000
	s_addk_i32 s11, 0xfc00
	s_cmp_eq_u32 s13, 0xffff4000
	v_add_u32_e32 v57, 0x400, v57
	s_barrier
	s_cbranch_scc1 .LBB884_104
.LBB884_75:                             ; =>This Inner Loop Header: Depth=1
	v_add_u32_e32 v28, s11, v30
	v_cmp_gt_u32_e64 s[6:7], s10, v28
	s_and_saveexec_b64 s[8:9], s[6:7]
	s_cbranch_execz .LBB884_77
; %bb.76:                               ;   in Loop: Header=BB884_75 Depth=1
	v_add_u32_e32 v28, s13, v36
	ds_write_b64 v28, v[6:7]
.LBB884_77:                             ;   in Loop: Header=BB884_75 Depth=1
	s_or_b64 exec, exec, s[8:9]
	v_add_u32_e32 v28, s11, v34
	v_cmp_gt_u32_e64 s[6:7], s10, v28
	s_and_saveexec_b64 s[8:9], s[6:7]
	s_cbranch_execz .LBB884_79
; %bb.78:                               ;   in Loop: Header=BB884_75 Depth=1
	v_add_u32_e32 v28, s13, v39
	ds_write_b64 v28, v[4:5]
.LBB884_79:                             ;   in Loop: Header=BB884_75 Depth=1
	s_or_b64 exec, exec, s[8:9]
	;; [unrolled: 9-line block ×12, first 2 shown]
	v_cmp_gt_u32_e64 s[6:7], s3, v57
	s_waitcnt lgkmcnt(0)
	s_barrier
	s_and_saveexec_b64 s[8:9], s[6:7]
	s_cbranch_execz .LBB884_101
; %bb.100:                              ;   in Loop: Header=BB884_75 Depth=1
	ds_read_b64 v[58:59], v31 offset:1024
	s_waitcnt lgkmcnt(0)
	v_lshrrev_b64 v[60:61], s24, v[58:59]
	v_and_b32_e32 v28, s33, v60
	v_lshlrev_b32_e32 v28, 2, v28
	ds_read_b32 v28, v28
	s_waitcnt lgkmcnt(0)
	v_add_u32_e32 v28, v57, v28
	v_lshl_add_u64 v[60:61], v[28:29], 3, s[30:31]
	global_store_dwordx2 v[60:61], v[58:59], off
.LBB884_101:                            ;   in Loop: Header=BB884_75 Depth=1
	s_or_b64 exec, exec, s[8:9]
	v_add_u32_e32 v28, 0x200, v57
	v_cmp_gt_u32_e64 s[6:7], s3, v28
	s_and_saveexec_b64 s[8:9], s[6:7]
	s_cbranch_execz .LBB884_74
; %bb.102:                              ;   in Loop: Header=BB884_75 Depth=1
	ds_read_b64 v[58:59], v32 offset:4096
	s_waitcnt lgkmcnt(0)
	v_lshrrev_b64 v[60:61], s24, v[58:59]
	v_and_b32_e32 v28, s33, v60
	v_lshlrev_b32_e32 v28, 2, v28
	ds_read_b32 v28, v28
	s_waitcnt lgkmcnt(0)
	v_add3_u32 v28, v57, v28, s12
	v_lshl_add_u64 v[60:61], v[28:29], 3, s[30:31]
	global_store_dwordx2 v[60:61], v[58:59], off
	s_branch .LBB884_74
.LBB884_103:
	s_mov_b64 s[8:9], 0
                                        ; implicit-def: $vgpr4
	s_cbranch_execnz .LBB884_107
	s_branch .LBB884_180
.LBB884_104:
	s_add_i32 s26, s26, -1
	s_cmp_eq_u32 s26, s27
	s_cselect_b64 s[6:7], -1, 0
	s_and_b64 s[10:11], vcc, s[6:7]
	s_mov_b64 s[6:7], 0
	s_mov_b64 s[8:9], 0
                                        ; implicit-def: $vgpr4
	s_and_saveexec_b64 s[12:13], s[10:11]
	s_xor_b64 s[10:11], exec, s[12:13]
; %bb.105:
	s_mov_b64 s[8:9], exec
	v_add_u32_e32 v4, v3, v38
; %bb.106:
	s_or_b64 exec, exec, s[10:11]
	s_and_b64 vcc, exec, s[6:7]
	s_cbranch_vccz .LBB884_180
.LBB884_107:
	s_mov_b32 s35, 0
	s_lshl_b64 s[6:7], s[34:35], 3
	v_mbcnt_hi_u32_b32 v3, -1, v1
	s_add_u32 s6, s28, s6
	v_and_b32_e32 v1, 63, v3
	v_and_b32_e32 v31, 0x3c0, v2
	s_addc_u32 s7, s29, s7
	v_mov_b32_e32 v27, 0
	v_mul_u32_u24_e32 v6, 12, v31
	v_lshlrev_b32_e32 v26, 3, v1
	v_lshl_add_u64 v[4:5], s[6:7], 0, v[26:27]
	v_lshlrev_b32_e32 v26, 3, v6
	v_lshl_add_u64 v[18:19], v[4:5], 0, v[26:27]
	global_load_dwordx2 v[4:5], v[18:19], off
	s_load_dword s3, s[0:1], 0x64
	s_load_dword s12, s[0:1], 0x58
	s_add_u32 s0, s0, 0x58
	s_addc_u32 s1, s1, 0
	v_bfe_u32 v20, v0, 10, 10
	s_waitcnt lgkmcnt(0)
	s_lshr_b32 s3, s3, 16
	s_cmp_lt_u32 s2, s12
	s_cselect_b32 s2, 12, 18
	s_add_u32 s0, s0, s2
	s_addc_u32 s1, s1, 0
	global_load_ushort v38, v27, s[0:1]
	v_bfe_u32 v21, v0, 20, 10
	v_mul_u32_u24_e32 v0, 5, v2
	v_lshlrev_b32_e32 v30, 2, v0
	ds_write2_b32 v30, v27, v27 offset0:8 offset1:9
	ds_write2_b32 v30, v27, v27 offset0:10 offset1:11
	ds_write_b32 v30, v27 offset:48
	s_movk_i32 s0, 0x1000
	global_load_dwordx2 v[0:1], v[18:19], off offset:512
	global_load_dwordx2 v[6:7], v[18:19], off offset:1024
	;; [unrolled: 1-line block ×7, first 2 shown]
	v_add_co_u32_e32 v36, vcc, s0, v18
	v_mad_u32_u24 v40, v21, s3, v20
	s_nop 0
	v_addc_co_u32_e32 v37, vcc, 0, v19, vcc
	global_load_dwordx2 v[18:19], v[36:37], off
	global_load_dwordx2 v[20:21], v[36:37], off offset:512
	global_load_dwordx2 v[22:23], v[36:37], off offset:1024
	;; [unrolled: 1-line block ×3, first 2 shown]
	s_lshl_b32 s0, -1, s25
	s_not_b32 s13, s0
	v_mov_b32_e32 v28, v27
	v_mov_b32_e32 v32, v27
	;; [unrolled: 1-line block ×3, first 2 shown]
	s_waitcnt lgkmcnt(0)
	s_barrier
	s_waitcnt lgkmcnt(0)
	; wave barrier
	s_waitcnt vmcnt(12)
	v_lshrrev_b64 v[36:37], s24, v[4:5]
	v_and_b32_e32 v41, s13, v36
	v_and_b32_e32 v26, 1, v41
	v_lshlrev_b32_e32 v29, 30, v41
	v_lshlrev_b32_e32 v33, 29, v41
	;; [unrolled: 1-line block ×3, first 2 shown]
	v_lshl_add_u64 v[36:37], v[26:27], 0, -1
	v_cmp_ne_u32_e32 vcc, 0, v26
	v_cmp_gt_i64_e64 s[0:1], 0, v[28:29]
	v_not_b32_e32 v26, v29
	s_waitcnt vmcnt(11)
	v_mad_u64_u32 v[28:29], s[10:11], v40, v38, v[2:3]
	v_cmp_gt_i64_e64 s[2:3], 0, v[32:33]
	v_not_b32_e32 v32, v33
	v_cmp_gt_i64_e64 s[6:7], 0, v[34:35]
	v_xor_b32_e32 v29, vcc_hi, v37
	v_xor_b32_e32 v34, vcc_lo, v36
	v_ashrrev_i32_e32 v26, 31, v26
	v_lshlrev_b32_e32 v39, 27, v41
	v_not_b32_e32 v33, v35
	v_ashrrev_i32_e32 v32, 31, v32
	v_lshrrev_b32_e32 v43, 6, v28
	v_and_b32_e32 v28, exec_hi, v29
	v_and_b32_e32 v29, exec_lo, v34
	v_xor_b32_e32 v34, s1, v26
	v_xor_b32_e32 v26, s0, v26
	v_ashrrev_i32_e32 v33, 31, v33
	v_xor_b32_e32 v35, s3, v32
	v_xor_b32_e32 v32, s2, v32
	v_and_b32_e32 v28, v28, v34
	v_and_b32_e32 v26, v29, v26
	v_mov_b32_e32 v38, v27
	v_not_b32_e32 v29, v39
	v_xor_b32_e32 v37, s7, v33
	v_xor_b32_e32 v33, s6, v33
	v_and_b32_e32 v28, v28, v35
	v_and_b32_e32 v26, v26, v32
	v_cmp_gt_i64_e32 vcc, 0, v[38:39]
	v_ashrrev_i32_e32 v29, 31, v29
	v_and_b32_e32 v28, v28, v37
	v_and_b32_e32 v26, v26, v33
	v_xor_b32_e32 v32, vcc_hi, v29
	v_xor_b32_e32 v29, vcc_lo, v29
	v_and_b32_e32 v32, v28, v32
	v_and_b32_e32 v26, v26, v29
	v_lshlrev_b32_e32 v29, 26, v41
	v_mov_b32_e32 v28, v27
	v_cmp_gt_i64_e32 vcc, 0, v[28:29]
	v_not_b32_e32 v28, v29
	v_ashrrev_i32_e32 v28, 31, v28
	v_xor_b32_e32 v29, vcc_hi, v28
	v_xor_b32_e32 v28, vcc_lo, v28
	v_and_b32_e32 v32, v32, v29
	v_and_b32_e32 v26, v26, v28
	v_lshlrev_b32_e32 v29, 25, v41
	v_mov_b32_e32 v28, v27
	v_cmp_gt_i64_e32 vcc, 0, v[28:29]
	v_not_b32_e32 v28, v29
	v_ashrrev_i32_e32 v28, 31, v28
	;; [unrolled: 9-line block ×3, first 2 shown]
	v_xor_b32_e32 v29, vcc_hi, v28
	v_xor_b32_e32 v28, vcc_lo, v28
	v_and_b32_e32 v28, v26, v28
	v_and_b32_e32 v29, v32, v29
	v_mbcnt_lo_u32_b32 v26, v28, 0
	v_mbcnt_hi_u32_b32 v33, v29, v26
	v_lshl_add_u32 v42, v41, 3, v41
	v_cmp_eq_u32_e32 vcc, 0, v33
	v_cmp_ne_u64_e64 s[0:1], 0, v[28:29]
	v_add_lshl_u32 v36, v43, v42, 2
	s_and_b64 s[2:3], s[0:1], vcc
	s_and_saveexec_b64 s[0:1], s[2:3]
	s_cbranch_execz .LBB884_109
; %bb.108:
	v_bcnt_u32_b32 v26, v28, 0
	v_bcnt_u32_b32 v26, v29, v26
	ds_write_b32 v36, v26 offset:32
.LBB884_109:
	s_or_b64 exec, exec, s[0:1]
	s_waitcnt vmcnt(10)
	v_lshrrev_b64 v[28:29], s24, v[0:1]
	v_and_b32_e32 v34, s13, v28
	v_lshl_add_u32 v26, v34, 3, v34
	v_add_lshl_u32 v38, v43, v26, 2
	v_and_b32_e32 v26, 1, v34
	v_lshl_add_u64 v[28:29], v[26:27], 0, -1
	v_cmp_ne_u32_e32 vcc, 0, v26
	; wave barrier
	s_nop 1
	v_xor_b32_e32 v28, vcc_lo, v28
	v_xor_b32_e32 v26, vcc_hi, v29
	v_and_b32_e32 v35, exec_lo, v28
	v_lshlrev_b32_e32 v29, 30, v34
	v_mov_b32_e32 v28, v27
	v_cmp_gt_i64_e32 vcc, 0, v[28:29]
	v_not_b32_e32 v28, v29
	v_ashrrev_i32_e32 v28, 31, v28
	v_and_b32_e32 v26, exec_hi, v26
	v_xor_b32_e32 v29, vcc_hi, v28
	v_xor_b32_e32 v28, vcc_lo, v28
	v_and_b32_e32 v26, v26, v29
	v_and_b32_e32 v35, v35, v28
	v_lshlrev_b32_e32 v29, 29, v34
	v_mov_b32_e32 v28, v27
	v_cmp_gt_i64_e32 vcc, 0, v[28:29]
	v_not_b32_e32 v28, v29
	v_ashrrev_i32_e32 v28, 31, v28
	v_xor_b32_e32 v29, vcc_hi, v28
	v_xor_b32_e32 v28, vcc_lo, v28
	v_and_b32_e32 v26, v26, v29
	v_and_b32_e32 v35, v35, v28
	v_lshlrev_b32_e32 v29, 28, v34
	v_mov_b32_e32 v28, v27
	v_cmp_gt_i64_e32 vcc, 0, v[28:29]
	v_not_b32_e32 v28, v29
	v_ashrrev_i32_e32 v28, 31, v28
	;; [unrolled: 9-line block ×5, first 2 shown]
	v_xor_b32_e32 v29, vcc_hi, v28
	v_xor_b32_e32 v28, vcc_lo, v28
	v_and_b32_e32 v26, v26, v29
	v_lshlrev_b32_e32 v29, 24, v34
	v_and_b32_e32 v35, v35, v28
	v_mov_b32_e32 v28, v27
	v_not_b32_e32 v27, v29
	v_cmp_gt_i64_e32 vcc, 0, v[28:29]
	v_ashrrev_i32_e32 v27, 31, v27
	ds_read_b32 v32, v38 offset:32
	v_xor_b32_e32 v28, vcc_hi, v27
	v_xor_b32_e32 v29, vcc_lo, v27
	v_and_b32_e32 v27, v26, v28
	v_and_b32_e32 v26, v35, v29
	v_mbcnt_lo_u32_b32 v28, v26, 0
	v_mbcnt_hi_u32_b32 v34, v27, v28
	v_cmp_eq_u32_e32 vcc, 0, v34
	v_cmp_ne_u64_e64 s[0:1], 0, v[26:27]
	s_and_b64 s[2:3], s[0:1], vcc
	; wave barrier
	s_and_saveexec_b64 s[0:1], s[2:3]
	s_cbranch_execz .LBB884_111
; %bb.110:
	v_bcnt_u32_b32 v26, v26, 0
	v_bcnt_u32_b32 v26, v27, v26
	s_waitcnt lgkmcnt(0)
	v_add_u32_e32 v26, v32, v26
	ds_write_b32 v38, v26 offset:32
.LBB884_111:
	s_or_b64 exec, exec, s[0:1]
	s_waitcnt vmcnt(9)
	v_lshrrev_b64 v[26:27], s24, v[6:7]
	v_and_b32_e32 v37, s13, v26
	v_lshl_add_u32 v26, v37, 3, v37
	v_add_lshl_u32 v40, v43, v26, 2
	v_and_b32_e32 v26, 1, v37
	v_mov_b32_e32 v27, 0
	v_lshl_add_u64 v[28:29], v[26:27], 0, -1
	v_cmp_ne_u32_e32 vcc, 0, v26
	; wave barrier
	s_nop 1
	v_xor_b32_e32 v28, vcc_lo, v28
	v_xor_b32_e32 v26, vcc_hi, v29
	v_and_b32_e32 v39, exec_lo, v28
	v_lshlrev_b32_e32 v29, 30, v37
	v_mov_b32_e32 v28, v27
	v_cmp_gt_i64_e32 vcc, 0, v[28:29]
	v_not_b32_e32 v28, v29
	v_ashrrev_i32_e32 v28, 31, v28
	v_and_b32_e32 v26, exec_hi, v26
	v_xor_b32_e32 v29, vcc_hi, v28
	v_xor_b32_e32 v28, vcc_lo, v28
	v_and_b32_e32 v26, v26, v29
	v_and_b32_e32 v39, v39, v28
	v_lshlrev_b32_e32 v29, 29, v37
	v_mov_b32_e32 v28, v27
	v_cmp_gt_i64_e32 vcc, 0, v[28:29]
	v_not_b32_e32 v28, v29
	v_ashrrev_i32_e32 v28, 31, v28
	v_xor_b32_e32 v29, vcc_hi, v28
	v_xor_b32_e32 v28, vcc_lo, v28
	v_and_b32_e32 v26, v26, v29
	v_and_b32_e32 v39, v39, v28
	v_lshlrev_b32_e32 v29, 28, v37
	v_mov_b32_e32 v28, v27
	v_cmp_gt_i64_e32 vcc, 0, v[28:29]
	v_not_b32_e32 v28, v29
	v_ashrrev_i32_e32 v28, 31, v28
	;; [unrolled: 9-line block ×6, first 2 shown]
	v_xor_b32_e32 v29, vcc_hi, v28
	v_xor_b32_e32 v28, vcc_lo, v28
	ds_read_b32 v35, v40 offset:32
	v_and_b32_e32 v28, v39, v28
	v_and_b32_e32 v29, v26, v29
	v_mbcnt_lo_u32_b32 v26, v28, 0
	v_mbcnt_hi_u32_b32 v37, v29, v26
	v_cmp_eq_u32_e32 vcc, 0, v37
	v_cmp_ne_u64_e64 s[0:1], 0, v[28:29]
	s_and_b64 s[2:3], s[0:1], vcc
	; wave barrier
	s_and_saveexec_b64 s[0:1], s[2:3]
	s_cbranch_execz .LBB884_113
; %bb.112:
	v_bcnt_u32_b32 v26, v28, 0
	v_bcnt_u32_b32 v26, v29, v26
	s_waitcnt lgkmcnt(0)
	v_add_u32_e32 v26, v35, v26
	ds_write_b32 v40, v26 offset:32
.LBB884_113:
	s_or_b64 exec, exec, s[0:1]
	s_waitcnt vmcnt(8)
	v_lshrrev_b64 v[28:29], s24, v[8:9]
	v_and_b32_e32 v41, s13, v28
	v_lshl_add_u32 v26, v41, 3, v41
	v_add_lshl_u32 v44, v43, v26, 2
	v_and_b32_e32 v26, 1, v41
	v_lshl_add_u64 v[28:29], v[26:27], 0, -1
	v_cmp_ne_u32_e32 vcc, 0, v26
	; wave barrier
	s_nop 1
	v_xor_b32_e32 v28, vcc_lo, v28
	v_xor_b32_e32 v26, vcc_hi, v29
	v_and_b32_e32 v42, exec_lo, v28
	v_lshlrev_b32_e32 v29, 30, v41
	v_mov_b32_e32 v28, v27
	v_cmp_gt_i64_e32 vcc, 0, v[28:29]
	v_not_b32_e32 v28, v29
	v_ashrrev_i32_e32 v28, 31, v28
	v_and_b32_e32 v26, exec_hi, v26
	v_xor_b32_e32 v29, vcc_hi, v28
	v_xor_b32_e32 v28, vcc_lo, v28
	v_and_b32_e32 v26, v26, v29
	v_and_b32_e32 v42, v42, v28
	v_lshlrev_b32_e32 v29, 29, v41
	v_mov_b32_e32 v28, v27
	v_cmp_gt_i64_e32 vcc, 0, v[28:29]
	v_not_b32_e32 v28, v29
	v_ashrrev_i32_e32 v28, 31, v28
	v_xor_b32_e32 v29, vcc_hi, v28
	v_xor_b32_e32 v28, vcc_lo, v28
	v_and_b32_e32 v26, v26, v29
	v_and_b32_e32 v42, v42, v28
	v_lshlrev_b32_e32 v29, 28, v41
	v_mov_b32_e32 v28, v27
	v_cmp_gt_i64_e32 vcc, 0, v[28:29]
	v_not_b32_e32 v28, v29
	v_ashrrev_i32_e32 v28, 31, v28
	;; [unrolled: 9-line block ×5, first 2 shown]
	v_xor_b32_e32 v29, vcc_hi, v28
	v_xor_b32_e32 v28, vcc_lo, v28
	v_and_b32_e32 v26, v26, v29
	v_lshlrev_b32_e32 v29, 24, v41
	v_and_b32_e32 v42, v42, v28
	v_mov_b32_e32 v28, v27
	v_not_b32_e32 v27, v29
	v_cmp_gt_i64_e32 vcc, 0, v[28:29]
	v_ashrrev_i32_e32 v27, 31, v27
	ds_read_b32 v39, v44 offset:32
	v_xor_b32_e32 v28, vcc_hi, v27
	v_xor_b32_e32 v29, vcc_lo, v27
	v_and_b32_e32 v27, v26, v28
	v_and_b32_e32 v26, v42, v29
	v_mbcnt_lo_u32_b32 v28, v26, 0
	v_mbcnt_hi_u32_b32 v41, v27, v28
	v_cmp_eq_u32_e32 vcc, 0, v41
	v_cmp_ne_u64_e64 s[0:1], 0, v[26:27]
	s_and_b64 s[2:3], s[0:1], vcc
	; wave barrier
	s_and_saveexec_b64 s[0:1], s[2:3]
	s_cbranch_execz .LBB884_115
; %bb.114:
	v_bcnt_u32_b32 v26, v26, 0
	v_bcnt_u32_b32 v26, v27, v26
	s_waitcnt lgkmcnt(0)
	v_add_u32_e32 v26, v39, v26
	ds_write_b32 v44, v26 offset:32
.LBB884_115:
	s_or_b64 exec, exec, s[0:1]
	s_waitcnt vmcnt(7)
	v_lshrrev_b64 v[26:27], s24, v[10:11]
	v_and_b32_e32 v45, s13, v26
	v_lshl_add_u32 v26, v45, 3, v45
	v_add_lshl_u32 v47, v43, v26, 2
	v_and_b32_e32 v26, 1, v45
	v_mov_b32_e32 v27, 0
	v_lshl_add_u64 v[28:29], v[26:27], 0, -1
	v_cmp_ne_u32_e32 vcc, 0, v26
	; wave barrier
	s_nop 1
	v_xor_b32_e32 v28, vcc_lo, v28
	v_xor_b32_e32 v26, vcc_hi, v29
	v_and_b32_e32 v46, exec_lo, v28
	v_lshlrev_b32_e32 v29, 30, v45
	v_mov_b32_e32 v28, v27
	v_cmp_gt_i64_e32 vcc, 0, v[28:29]
	v_not_b32_e32 v28, v29
	v_ashrrev_i32_e32 v28, 31, v28
	v_and_b32_e32 v26, exec_hi, v26
	v_xor_b32_e32 v29, vcc_hi, v28
	v_xor_b32_e32 v28, vcc_lo, v28
	v_and_b32_e32 v26, v26, v29
	v_and_b32_e32 v46, v46, v28
	v_lshlrev_b32_e32 v29, 29, v45
	v_mov_b32_e32 v28, v27
	v_cmp_gt_i64_e32 vcc, 0, v[28:29]
	v_not_b32_e32 v28, v29
	v_ashrrev_i32_e32 v28, 31, v28
	v_xor_b32_e32 v29, vcc_hi, v28
	v_xor_b32_e32 v28, vcc_lo, v28
	v_and_b32_e32 v26, v26, v29
	v_and_b32_e32 v46, v46, v28
	v_lshlrev_b32_e32 v29, 28, v45
	v_mov_b32_e32 v28, v27
	v_cmp_gt_i64_e32 vcc, 0, v[28:29]
	v_not_b32_e32 v28, v29
	v_ashrrev_i32_e32 v28, 31, v28
	v_xor_b32_e32 v29, vcc_hi, v28
	v_xor_b32_e32 v28, vcc_lo, v28
	v_and_b32_e32 v26, v26, v29
	v_and_b32_e32 v46, v46, v28
	v_lshlrev_b32_e32 v29, 27, v45
	v_mov_b32_e32 v28, v27
	v_cmp_gt_i64_e32 vcc, 0, v[28:29]
	v_not_b32_e32 v28, v29
	v_ashrrev_i32_e32 v28, 31, v28
	v_xor_b32_e32 v29, vcc_hi, v28
	v_xor_b32_e32 v28, vcc_lo, v28
	v_and_b32_e32 v26, v26, v29
	v_and_b32_e32 v46, v46, v28
	v_lshlrev_b32_e32 v29, 26, v45
	v_mov_b32_e32 v28, v27
	v_cmp_gt_i64_e32 vcc, 0, v[28:29]
	v_not_b32_e32 v28, v29
	v_ashrrev_i32_e32 v28, 31, v28
	v_xor_b32_e32 v29, vcc_hi, v28
	v_xor_b32_e32 v28, vcc_lo, v28
	v_and_b32_e32 v26, v26, v29
	v_and_b32_e32 v46, v46, v28
	v_lshlrev_b32_e32 v29, 25, v45
	v_mov_b32_e32 v28, v27
	v_cmp_gt_i64_e32 vcc, 0, v[28:29]
	v_not_b32_e32 v28, v29
	v_ashrrev_i32_e32 v28, 31, v28
	v_xor_b32_e32 v29, vcc_hi, v28
	v_xor_b32_e32 v28, vcc_lo, v28
	v_and_b32_e32 v26, v26, v29
	v_and_b32_e32 v46, v46, v28
	v_lshlrev_b32_e32 v29, 24, v45
	v_mov_b32_e32 v28, v27
	v_cmp_gt_i64_e32 vcc, 0, v[28:29]
	v_not_b32_e32 v28, v29
	v_ashrrev_i32_e32 v28, 31, v28
	v_xor_b32_e32 v29, vcc_hi, v28
	v_xor_b32_e32 v28, vcc_lo, v28
	ds_read_b32 v42, v47 offset:32
	v_and_b32_e32 v28, v46, v28
	v_and_b32_e32 v29, v26, v29
	v_mbcnt_lo_u32_b32 v26, v28, 0
	v_mbcnt_hi_u32_b32 v45, v29, v26
	v_cmp_eq_u32_e32 vcc, 0, v45
	v_cmp_ne_u64_e64 s[0:1], 0, v[28:29]
	s_and_b64 s[2:3], s[0:1], vcc
	; wave barrier
	s_and_saveexec_b64 s[0:1], s[2:3]
	s_cbranch_execz .LBB884_117
; %bb.116:
	v_bcnt_u32_b32 v26, v28, 0
	v_bcnt_u32_b32 v26, v29, v26
	s_waitcnt lgkmcnt(0)
	v_add_u32_e32 v26, v42, v26
	ds_write_b32 v47, v26 offset:32
.LBB884_117:
	s_or_b64 exec, exec, s[0:1]
	s_waitcnt vmcnt(6)
	v_lshrrev_b64 v[28:29], s24, v[12:13]
	v_and_b32_e32 v48, s13, v28
	v_lshl_add_u32 v26, v48, 3, v48
	v_add_lshl_u32 v50, v43, v26, 2
	v_and_b32_e32 v26, 1, v48
	v_lshl_add_u64 v[28:29], v[26:27], 0, -1
	v_cmp_ne_u32_e32 vcc, 0, v26
	; wave barrier
	s_nop 1
	v_xor_b32_e32 v28, vcc_lo, v28
	v_xor_b32_e32 v26, vcc_hi, v29
	v_and_b32_e32 v49, exec_lo, v28
	v_lshlrev_b32_e32 v29, 30, v48
	v_mov_b32_e32 v28, v27
	v_cmp_gt_i64_e32 vcc, 0, v[28:29]
	v_not_b32_e32 v28, v29
	v_ashrrev_i32_e32 v28, 31, v28
	v_and_b32_e32 v26, exec_hi, v26
	v_xor_b32_e32 v29, vcc_hi, v28
	v_xor_b32_e32 v28, vcc_lo, v28
	v_and_b32_e32 v26, v26, v29
	v_and_b32_e32 v49, v49, v28
	v_lshlrev_b32_e32 v29, 29, v48
	v_mov_b32_e32 v28, v27
	v_cmp_gt_i64_e32 vcc, 0, v[28:29]
	v_not_b32_e32 v28, v29
	v_ashrrev_i32_e32 v28, 31, v28
	v_xor_b32_e32 v29, vcc_hi, v28
	v_xor_b32_e32 v28, vcc_lo, v28
	v_and_b32_e32 v26, v26, v29
	v_and_b32_e32 v49, v49, v28
	v_lshlrev_b32_e32 v29, 28, v48
	v_mov_b32_e32 v28, v27
	v_cmp_gt_i64_e32 vcc, 0, v[28:29]
	v_not_b32_e32 v28, v29
	v_ashrrev_i32_e32 v28, 31, v28
	;; [unrolled: 9-line block ×5, first 2 shown]
	v_xor_b32_e32 v29, vcc_hi, v28
	v_xor_b32_e32 v28, vcc_lo, v28
	v_and_b32_e32 v26, v26, v29
	v_lshlrev_b32_e32 v29, 24, v48
	v_and_b32_e32 v49, v49, v28
	v_mov_b32_e32 v28, v27
	v_not_b32_e32 v27, v29
	v_cmp_gt_i64_e32 vcc, 0, v[28:29]
	v_ashrrev_i32_e32 v27, 31, v27
	ds_read_b32 v46, v50 offset:32
	v_xor_b32_e32 v28, vcc_hi, v27
	v_xor_b32_e32 v29, vcc_lo, v27
	v_and_b32_e32 v27, v26, v28
	v_and_b32_e32 v26, v49, v29
	v_mbcnt_lo_u32_b32 v28, v26, 0
	v_mbcnt_hi_u32_b32 v48, v27, v28
	v_cmp_eq_u32_e32 vcc, 0, v48
	v_cmp_ne_u64_e64 s[0:1], 0, v[26:27]
	s_and_b64 s[2:3], s[0:1], vcc
	; wave barrier
	s_and_saveexec_b64 s[0:1], s[2:3]
	s_cbranch_execz .LBB884_119
; %bb.118:
	v_bcnt_u32_b32 v26, v26, 0
	v_bcnt_u32_b32 v26, v27, v26
	s_waitcnt lgkmcnt(0)
	v_add_u32_e32 v26, v46, v26
	ds_write_b32 v50, v26 offset:32
.LBB884_119:
	s_or_b64 exec, exec, s[0:1]
	s_waitcnt vmcnt(5)
	v_lshrrev_b64 v[26:27], s24, v[14:15]
	v_and_b32_e32 v51, s13, v26
	v_lshl_add_u32 v26, v51, 3, v51
	v_add_lshl_u32 v53, v43, v26, 2
	v_and_b32_e32 v26, 1, v51
	v_mov_b32_e32 v27, 0
	v_lshl_add_u64 v[28:29], v[26:27], 0, -1
	v_cmp_ne_u32_e32 vcc, 0, v26
	; wave barrier
	s_nop 1
	v_xor_b32_e32 v28, vcc_lo, v28
	v_xor_b32_e32 v26, vcc_hi, v29
	v_and_b32_e32 v52, exec_lo, v28
	v_lshlrev_b32_e32 v29, 30, v51
	v_mov_b32_e32 v28, v27
	v_cmp_gt_i64_e32 vcc, 0, v[28:29]
	v_not_b32_e32 v28, v29
	v_ashrrev_i32_e32 v28, 31, v28
	v_and_b32_e32 v26, exec_hi, v26
	v_xor_b32_e32 v29, vcc_hi, v28
	v_xor_b32_e32 v28, vcc_lo, v28
	v_and_b32_e32 v26, v26, v29
	v_and_b32_e32 v52, v52, v28
	v_lshlrev_b32_e32 v29, 29, v51
	v_mov_b32_e32 v28, v27
	v_cmp_gt_i64_e32 vcc, 0, v[28:29]
	v_not_b32_e32 v28, v29
	v_ashrrev_i32_e32 v28, 31, v28
	v_xor_b32_e32 v29, vcc_hi, v28
	v_xor_b32_e32 v28, vcc_lo, v28
	v_and_b32_e32 v26, v26, v29
	v_and_b32_e32 v52, v52, v28
	v_lshlrev_b32_e32 v29, 28, v51
	v_mov_b32_e32 v28, v27
	v_cmp_gt_i64_e32 vcc, 0, v[28:29]
	v_not_b32_e32 v28, v29
	v_ashrrev_i32_e32 v28, 31, v28
	;; [unrolled: 9-line block ×6, first 2 shown]
	v_xor_b32_e32 v29, vcc_hi, v28
	v_xor_b32_e32 v28, vcc_lo, v28
	ds_read_b32 v49, v53 offset:32
	v_and_b32_e32 v28, v52, v28
	v_and_b32_e32 v29, v26, v29
	v_mbcnt_lo_u32_b32 v26, v28, 0
	v_mbcnt_hi_u32_b32 v51, v29, v26
	v_cmp_eq_u32_e32 vcc, 0, v51
	v_cmp_ne_u64_e64 s[0:1], 0, v[28:29]
	s_and_b64 s[2:3], s[0:1], vcc
	; wave barrier
	s_and_saveexec_b64 s[0:1], s[2:3]
	s_cbranch_execz .LBB884_121
; %bb.120:
	v_bcnt_u32_b32 v26, v28, 0
	v_bcnt_u32_b32 v26, v29, v26
	s_waitcnt lgkmcnt(0)
	v_add_u32_e32 v26, v49, v26
	ds_write_b32 v53, v26 offset:32
.LBB884_121:
	s_or_b64 exec, exec, s[0:1]
	s_waitcnt vmcnt(4)
	v_lshrrev_b64 v[28:29], s24, v[16:17]
	v_and_b32_e32 v54, s13, v28
	v_lshl_add_u32 v26, v54, 3, v54
	v_add_lshl_u32 v56, v43, v26, 2
	v_and_b32_e32 v26, 1, v54
	v_lshl_add_u64 v[28:29], v[26:27], 0, -1
	v_cmp_ne_u32_e32 vcc, 0, v26
	; wave barrier
	s_nop 1
	v_xor_b32_e32 v28, vcc_lo, v28
	v_xor_b32_e32 v26, vcc_hi, v29
	v_and_b32_e32 v55, exec_lo, v28
	v_lshlrev_b32_e32 v29, 30, v54
	v_mov_b32_e32 v28, v27
	v_cmp_gt_i64_e32 vcc, 0, v[28:29]
	v_not_b32_e32 v28, v29
	v_ashrrev_i32_e32 v28, 31, v28
	v_and_b32_e32 v26, exec_hi, v26
	v_xor_b32_e32 v29, vcc_hi, v28
	v_xor_b32_e32 v28, vcc_lo, v28
	v_and_b32_e32 v26, v26, v29
	v_and_b32_e32 v55, v55, v28
	v_lshlrev_b32_e32 v29, 29, v54
	v_mov_b32_e32 v28, v27
	v_cmp_gt_i64_e32 vcc, 0, v[28:29]
	v_not_b32_e32 v28, v29
	v_ashrrev_i32_e32 v28, 31, v28
	v_xor_b32_e32 v29, vcc_hi, v28
	v_xor_b32_e32 v28, vcc_lo, v28
	v_and_b32_e32 v26, v26, v29
	v_and_b32_e32 v55, v55, v28
	v_lshlrev_b32_e32 v29, 28, v54
	v_mov_b32_e32 v28, v27
	v_cmp_gt_i64_e32 vcc, 0, v[28:29]
	v_not_b32_e32 v28, v29
	v_ashrrev_i32_e32 v28, 31, v28
	;; [unrolled: 9-line block ×5, first 2 shown]
	v_xor_b32_e32 v29, vcc_hi, v28
	v_xor_b32_e32 v28, vcc_lo, v28
	v_and_b32_e32 v26, v26, v29
	v_lshlrev_b32_e32 v29, 24, v54
	v_and_b32_e32 v55, v55, v28
	v_mov_b32_e32 v28, v27
	v_not_b32_e32 v27, v29
	v_cmp_gt_i64_e32 vcc, 0, v[28:29]
	v_ashrrev_i32_e32 v27, 31, v27
	ds_read_b32 v52, v56 offset:32
	v_xor_b32_e32 v28, vcc_hi, v27
	v_xor_b32_e32 v29, vcc_lo, v27
	v_and_b32_e32 v27, v26, v28
	v_and_b32_e32 v26, v55, v29
	v_mbcnt_lo_u32_b32 v28, v26, 0
	v_mbcnt_hi_u32_b32 v54, v27, v28
	v_cmp_eq_u32_e32 vcc, 0, v54
	v_cmp_ne_u64_e64 s[0:1], 0, v[26:27]
	s_and_b64 s[2:3], s[0:1], vcc
	; wave barrier
	s_and_saveexec_b64 s[0:1], s[2:3]
	s_cbranch_execz .LBB884_123
; %bb.122:
	v_bcnt_u32_b32 v26, v26, 0
	v_bcnt_u32_b32 v26, v27, v26
	s_waitcnt lgkmcnt(0)
	v_add_u32_e32 v26, v52, v26
	ds_write_b32 v56, v26 offset:32
.LBB884_123:
	s_or_b64 exec, exec, s[0:1]
	s_waitcnt vmcnt(3)
	v_lshrrev_b64 v[26:27], s24, v[18:19]
	v_and_b32_e32 v57, s13, v26
	v_lshl_add_u32 v26, v57, 3, v57
	v_add_lshl_u32 v59, v43, v26, 2
	v_and_b32_e32 v26, 1, v57
	v_mov_b32_e32 v27, 0
	v_lshl_add_u64 v[28:29], v[26:27], 0, -1
	v_cmp_ne_u32_e32 vcc, 0, v26
	; wave barrier
	s_nop 1
	v_xor_b32_e32 v28, vcc_lo, v28
	v_xor_b32_e32 v26, vcc_hi, v29
	v_and_b32_e32 v58, exec_lo, v28
	v_lshlrev_b32_e32 v29, 30, v57
	v_mov_b32_e32 v28, v27
	v_cmp_gt_i64_e32 vcc, 0, v[28:29]
	v_not_b32_e32 v28, v29
	v_ashrrev_i32_e32 v28, 31, v28
	v_and_b32_e32 v26, exec_hi, v26
	v_xor_b32_e32 v29, vcc_hi, v28
	v_xor_b32_e32 v28, vcc_lo, v28
	v_and_b32_e32 v26, v26, v29
	v_and_b32_e32 v58, v58, v28
	v_lshlrev_b32_e32 v29, 29, v57
	v_mov_b32_e32 v28, v27
	v_cmp_gt_i64_e32 vcc, 0, v[28:29]
	v_not_b32_e32 v28, v29
	v_ashrrev_i32_e32 v28, 31, v28
	v_xor_b32_e32 v29, vcc_hi, v28
	v_xor_b32_e32 v28, vcc_lo, v28
	v_and_b32_e32 v26, v26, v29
	v_and_b32_e32 v58, v58, v28
	v_lshlrev_b32_e32 v29, 28, v57
	v_mov_b32_e32 v28, v27
	v_cmp_gt_i64_e32 vcc, 0, v[28:29]
	v_not_b32_e32 v28, v29
	v_ashrrev_i32_e32 v28, 31, v28
	;; [unrolled: 9-line block ×6, first 2 shown]
	v_xor_b32_e32 v29, vcc_hi, v28
	v_xor_b32_e32 v28, vcc_lo, v28
	ds_read_b32 v55, v59 offset:32
	v_and_b32_e32 v28, v58, v28
	v_and_b32_e32 v29, v26, v29
	v_mbcnt_lo_u32_b32 v26, v28, 0
	v_mbcnt_hi_u32_b32 v57, v29, v26
	v_cmp_eq_u32_e32 vcc, 0, v57
	v_cmp_ne_u64_e64 s[0:1], 0, v[28:29]
	s_and_b64 s[2:3], s[0:1], vcc
	; wave barrier
	s_and_saveexec_b64 s[0:1], s[2:3]
	s_cbranch_execz .LBB884_125
; %bb.124:
	v_bcnt_u32_b32 v26, v28, 0
	v_bcnt_u32_b32 v26, v29, v26
	s_waitcnt lgkmcnt(0)
	v_add_u32_e32 v26, v55, v26
	ds_write_b32 v59, v26 offset:32
.LBB884_125:
	s_or_b64 exec, exec, s[0:1]
	s_waitcnt vmcnt(2)
	v_lshrrev_b64 v[28:29], s24, v[20:21]
	v_and_b32_e32 v60, s13, v28
	v_lshl_add_u32 v26, v60, 3, v60
	v_add_lshl_u32 v62, v43, v26, 2
	v_and_b32_e32 v26, 1, v60
	v_lshl_add_u64 v[28:29], v[26:27], 0, -1
	v_cmp_ne_u32_e32 vcc, 0, v26
	; wave barrier
	s_nop 1
	v_xor_b32_e32 v28, vcc_lo, v28
	v_xor_b32_e32 v26, vcc_hi, v29
	v_and_b32_e32 v61, exec_lo, v28
	v_lshlrev_b32_e32 v29, 30, v60
	v_mov_b32_e32 v28, v27
	v_cmp_gt_i64_e32 vcc, 0, v[28:29]
	v_not_b32_e32 v28, v29
	v_ashrrev_i32_e32 v28, 31, v28
	v_and_b32_e32 v26, exec_hi, v26
	v_xor_b32_e32 v29, vcc_hi, v28
	v_xor_b32_e32 v28, vcc_lo, v28
	v_and_b32_e32 v26, v26, v29
	v_and_b32_e32 v61, v61, v28
	v_lshlrev_b32_e32 v29, 29, v60
	v_mov_b32_e32 v28, v27
	v_cmp_gt_i64_e32 vcc, 0, v[28:29]
	v_not_b32_e32 v28, v29
	v_ashrrev_i32_e32 v28, 31, v28
	v_xor_b32_e32 v29, vcc_hi, v28
	v_xor_b32_e32 v28, vcc_lo, v28
	v_and_b32_e32 v26, v26, v29
	v_and_b32_e32 v61, v61, v28
	v_lshlrev_b32_e32 v29, 28, v60
	v_mov_b32_e32 v28, v27
	v_cmp_gt_i64_e32 vcc, 0, v[28:29]
	v_not_b32_e32 v28, v29
	v_ashrrev_i32_e32 v28, 31, v28
	;; [unrolled: 9-line block ×5, first 2 shown]
	v_xor_b32_e32 v29, vcc_hi, v28
	v_xor_b32_e32 v28, vcc_lo, v28
	v_and_b32_e32 v26, v26, v29
	v_lshlrev_b32_e32 v29, 24, v60
	v_and_b32_e32 v61, v61, v28
	v_mov_b32_e32 v28, v27
	v_not_b32_e32 v27, v29
	v_cmp_gt_i64_e32 vcc, 0, v[28:29]
	v_ashrrev_i32_e32 v27, 31, v27
	ds_read_b32 v58, v62 offset:32
	v_xor_b32_e32 v28, vcc_hi, v27
	v_xor_b32_e32 v29, vcc_lo, v27
	v_and_b32_e32 v27, v26, v28
	v_and_b32_e32 v26, v61, v29
	v_mbcnt_lo_u32_b32 v28, v26, 0
	v_mbcnt_hi_u32_b32 v60, v27, v28
	v_cmp_eq_u32_e32 vcc, 0, v60
	v_cmp_ne_u64_e64 s[0:1], 0, v[26:27]
	s_and_b64 s[2:3], s[0:1], vcc
	; wave barrier
	s_and_saveexec_b64 s[0:1], s[2:3]
	s_cbranch_execz .LBB884_127
; %bb.126:
	v_bcnt_u32_b32 v26, v26, 0
	v_bcnt_u32_b32 v26, v27, v26
	s_waitcnt lgkmcnt(0)
	v_add_u32_e32 v26, v58, v26
	ds_write_b32 v62, v26 offset:32
.LBB884_127:
	s_or_b64 exec, exec, s[0:1]
	s_waitcnt vmcnt(1)
	v_lshrrev_b64 v[26:27], s24, v[22:23]
	v_and_b32_e32 v63, s13, v26
	v_lshl_add_u32 v26, v63, 3, v63
	v_add_lshl_u32 v64, v43, v26, 2
	v_and_b32_e32 v26, 1, v63
	v_mov_b32_e32 v27, 0
	v_lshl_add_u64 v[28:29], v[26:27], 0, -1
	v_cmp_ne_u32_e32 vcc, 0, v26
	; wave barrier
	s_nop 1
	v_xor_b32_e32 v28, vcc_lo, v28
	v_xor_b32_e32 v26, vcc_hi, v29
	v_and_b32_e32 v65, exec_lo, v28
	v_lshlrev_b32_e32 v29, 30, v63
	v_mov_b32_e32 v28, v27
	v_cmp_gt_i64_e32 vcc, 0, v[28:29]
	v_not_b32_e32 v28, v29
	v_ashrrev_i32_e32 v28, 31, v28
	v_and_b32_e32 v26, exec_hi, v26
	v_xor_b32_e32 v29, vcc_hi, v28
	v_xor_b32_e32 v28, vcc_lo, v28
	v_and_b32_e32 v26, v26, v29
	v_and_b32_e32 v65, v65, v28
	v_lshlrev_b32_e32 v29, 29, v63
	v_mov_b32_e32 v28, v27
	v_cmp_gt_i64_e32 vcc, 0, v[28:29]
	v_not_b32_e32 v28, v29
	v_ashrrev_i32_e32 v28, 31, v28
	v_xor_b32_e32 v29, vcc_hi, v28
	v_xor_b32_e32 v28, vcc_lo, v28
	v_and_b32_e32 v26, v26, v29
	v_and_b32_e32 v65, v65, v28
	v_lshlrev_b32_e32 v29, 28, v63
	v_mov_b32_e32 v28, v27
	v_cmp_gt_i64_e32 vcc, 0, v[28:29]
	v_not_b32_e32 v28, v29
	v_ashrrev_i32_e32 v28, 31, v28
	v_xor_b32_e32 v29, vcc_hi, v28
	v_xor_b32_e32 v28, vcc_lo, v28
	v_and_b32_e32 v26, v26, v29
	v_and_b32_e32 v65, v65, v28
	v_lshlrev_b32_e32 v29, 27, v63
	v_mov_b32_e32 v28, v27
	v_cmp_gt_i64_e32 vcc, 0, v[28:29]
	v_not_b32_e32 v28, v29
	v_ashrrev_i32_e32 v28, 31, v28
	v_xor_b32_e32 v29, vcc_hi, v28
	v_xor_b32_e32 v28, vcc_lo, v28
	v_and_b32_e32 v26, v26, v29
	v_and_b32_e32 v65, v65, v28
	v_lshlrev_b32_e32 v29, 26, v63
	v_mov_b32_e32 v28, v27
	v_cmp_gt_i64_e32 vcc, 0, v[28:29]
	v_not_b32_e32 v28, v29
	v_ashrrev_i32_e32 v28, 31, v28
	v_xor_b32_e32 v29, vcc_hi, v28
	v_xor_b32_e32 v28, vcc_lo, v28
	v_and_b32_e32 v26, v26, v29
	v_and_b32_e32 v65, v65, v28
	v_lshlrev_b32_e32 v29, 25, v63
	v_mov_b32_e32 v28, v27
	v_cmp_gt_i64_e32 vcc, 0, v[28:29]
	v_not_b32_e32 v28, v29
	v_ashrrev_i32_e32 v28, 31, v28
	v_xor_b32_e32 v29, vcc_hi, v28
	v_xor_b32_e32 v28, vcc_lo, v28
	v_and_b32_e32 v26, v26, v29
	v_and_b32_e32 v65, v65, v28
	v_lshlrev_b32_e32 v29, 24, v63
	v_mov_b32_e32 v28, v27
	v_cmp_gt_i64_e32 vcc, 0, v[28:29]
	v_not_b32_e32 v28, v29
	v_ashrrev_i32_e32 v28, 31, v28
	v_xor_b32_e32 v29, vcc_hi, v28
	v_xor_b32_e32 v28, vcc_lo, v28
	ds_read_b32 v61, v64 offset:32
	v_and_b32_e32 v28, v65, v28
	v_and_b32_e32 v29, v26, v29
	v_mbcnt_lo_u32_b32 v26, v28, 0
	v_mbcnt_hi_u32_b32 v63, v29, v26
	v_cmp_eq_u32_e32 vcc, 0, v63
	v_cmp_ne_u64_e64 s[0:1], 0, v[28:29]
	s_and_b64 s[2:3], s[0:1], vcc
	; wave barrier
	s_and_saveexec_b64 s[0:1], s[2:3]
	s_cbranch_execz .LBB884_129
; %bb.128:
	v_bcnt_u32_b32 v26, v28, 0
	v_bcnt_u32_b32 v26, v29, v26
	s_waitcnt lgkmcnt(0)
	v_add_u32_e32 v26, v61, v26
	ds_write_b32 v64, v26 offset:32
.LBB884_129:
	s_or_b64 exec, exec, s[0:1]
	s_waitcnt vmcnt(0)
	v_lshrrev_b64 v[28:29], s24, v[24:25]
	v_and_b32_e32 v65, s13, v28
	v_lshl_add_u32 v26, v65, 3, v65
	v_add_lshl_u32 v66, v43, v26, 2
	v_and_b32_e32 v26, 1, v65
	v_lshl_add_u64 v[28:29], v[26:27], 0, -1
	v_cmp_ne_u32_e32 vcc, 0, v26
	; wave barrier
	s_nop 1
	v_xor_b32_e32 v28, vcc_lo, v28
	v_xor_b32_e32 v26, vcc_hi, v29
	v_and_b32_e32 v68, exec_lo, v28
	v_lshlrev_b32_e32 v29, 30, v65
	v_mov_b32_e32 v28, v27
	v_cmp_gt_i64_e32 vcc, 0, v[28:29]
	v_not_b32_e32 v28, v29
	v_ashrrev_i32_e32 v28, 31, v28
	v_and_b32_e32 v26, exec_hi, v26
	v_xor_b32_e32 v29, vcc_hi, v28
	v_xor_b32_e32 v28, vcc_lo, v28
	v_and_b32_e32 v26, v26, v29
	v_and_b32_e32 v68, v68, v28
	v_lshlrev_b32_e32 v29, 29, v65
	v_mov_b32_e32 v28, v27
	v_cmp_gt_i64_e32 vcc, 0, v[28:29]
	v_not_b32_e32 v28, v29
	v_ashrrev_i32_e32 v28, 31, v28
	v_xor_b32_e32 v29, vcc_hi, v28
	v_xor_b32_e32 v28, vcc_lo, v28
	v_and_b32_e32 v26, v26, v29
	v_and_b32_e32 v68, v68, v28
	v_lshlrev_b32_e32 v29, 28, v65
	v_mov_b32_e32 v28, v27
	v_cmp_gt_i64_e32 vcc, 0, v[28:29]
	v_not_b32_e32 v28, v29
	v_ashrrev_i32_e32 v28, 31, v28
	;; [unrolled: 9-line block ×5, first 2 shown]
	v_xor_b32_e32 v29, vcc_hi, v28
	v_xor_b32_e32 v28, vcc_lo, v28
	v_and_b32_e32 v26, v26, v29
	v_lshlrev_b32_e32 v29, 24, v65
	v_and_b32_e32 v68, v68, v28
	v_mov_b32_e32 v28, v27
	v_not_b32_e32 v27, v29
	v_cmp_gt_i64_e32 vcc, 0, v[28:29]
	v_ashrrev_i32_e32 v27, 31, v27
	ds_read_b32 v43, v66 offset:32
	v_xor_b32_e32 v28, vcc_hi, v27
	v_xor_b32_e32 v29, vcc_lo, v27
	v_and_b32_e32 v27, v26, v28
	v_and_b32_e32 v26, v68, v29
	v_mbcnt_lo_u32_b32 v28, v26, 0
	v_mbcnt_hi_u32_b32 v65, v27, v28
	v_cmp_eq_u32_e32 vcc, 0, v65
	v_cmp_ne_u64_e64 s[0:1], 0, v[26:27]
	v_add_u32_e32 v67, 32, v30
	s_and_b64 s[2:3], s[0:1], vcc
	; wave barrier
	s_and_saveexec_b64 s[0:1], s[2:3]
	s_cbranch_execz .LBB884_131
; %bb.130:
	v_bcnt_u32_b32 v26, v26, 0
	v_bcnt_u32_b32 v26, v27, v26
	s_waitcnt lgkmcnt(0)
	v_add_u32_e32 v26, v43, v26
	ds_write_b32 v66, v26 offset:32
.LBB884_131:
	s_or_b64 exec, exec, s[0:1]
	; wave barrier
	s_waitcnt lgkmcnt(0)
	s_barrier
	ds_read2_b32 v[28:29], v30 offset0:8 offset1:9
	ds_read2_b32 v[26:27], v67 offset0:2 offset1:3
	ds_read_b32 v68, v67 offset:16
	v_min_u32_e32 v31, 0x1c0, v31
	v_or_b32_e32 v31, 63, v31
	s_waitcnt lgkmcnt(1)
	v_add3_u32 v69, v29, v28, v26
	s_waitcnt lgkmcnt(0)
	v_add3_u32 v68, v69, v27, v68
	v_and_b32_e32 v69, 15, v3
	v_cmp_ne_u32_e32 vcc, 0, v69
	v_mov_b32_dpp v70, v68 row_shr:1 row_mask:0xf bank_mask:0xf
	s_nop 0
	v_cndmask_b32_e32 v70, 0, v70, vcc
	v_add_u32_e32 v68, v70, v68
	v_cmp_lt_u32_e32 vcc, 1, v69
	s_nop 0
	v_mov_b32_dpp v70, v68 row_shr:2 row_mask:0xf bank_mask:0xf
	v_cndmask_b32_e32 v70, 0, v70, vcc
	v_add_u32_e32 v68, v68, v70
	v_cmp_lt_u32_e32 vcc, 3, v69
	s_nop 0
	v_mov_b32_dpp v70, v68 row_shr:4 row_mask:0xf bank_mask:0xf
	;; [unrolled: 5-line block ×3, first 2 shown]
	v_cndmask_b32_e32 v69, 0, v70, vcc
	v_add_u32_e32 v68, v68, v69
	v_bfe_i32 v70, v3, 4, 1
	v_cmp_lt_u32_e32 vcc, 31, v3
	v_mov_b32_dpp v69, v68 row_bcast:15 row_mask:0xf bank_mask:0xf
	v_and_b32_e32 v69, v70, v69
	v_add_u32_e32 v68, v68, v69
	s_nop 1
	v_mov_b32_dpp v69, v68 row_bcast:31 row_mask:0xf bank_mask:0xf
	v_cndmask_b32_e32 v69, 0, v69, vcc
	v_add_u32_e32 v68, v68, v69
	v_lshrrev_b32_e32 v69, 6, v2
	v_cmp_eq_u32_e32 vcc, v31, v2
	s_and_saveexec_b64 s[0:1], vcc
	s_cbranch_execz .LBB884_133
; %bb.132:
	v_lshlrev_b32_e32 v31, 2, v69
	ds_write_b32 v31, v68
.LBB884_133:
	s_or_b64 exec, exec, s[0:1]
	v_cmp_gt_u32_e32 vcc, 8, v2
	s_waitcnt lgkmcnt(0)
	s_barrier
	s_and_saveexec_b64 s[0:1], vcc
	s_cbranch_execz .LBB884_135
; %bb.134:
	v_lshlrev_b32_e32 v31, 2, v2
	ds_read_b32 v70, v31
	v_and_b32_e32 v71, 7, v3
	v_cmp_ne_u32_e32 vcc, 0, v71
	s_waitcnt lgkmcnt(0)
	v_mov_b32_dpp v72, v70 row_shr:1 row_mask:0xf bank_mask:0xf
	v_cndmask_b32_e32 v72, 0, v72, vcc
	v_add_u32_e32 v70, v72, v70
	v_cmp_lt_u32_e32 vcc, 1, v71
	s_nop 0
	v_mov_b32_dpp v72, v70 row_shr:2 row_mask:0xf bank_mask:0xf
	v_cndmask_b32_e32 v72, 0, v72, vcc
	v_add_u32_e32 v70, v70, v72
	v_cmp_lt_u32_e32 vcc, 3, v71
	s_nop 0
	v_mov_b32_dpp v72, v70 row_shr:4 row_mask:0xf bank_mask:0xf
	v_cndmask_b32_e32 v71, 0, v72, vcc
	v_add_u32_e32 v70, v70, v71
	ds_write_b32 v31, v70
.LBB884_135:
	s_or_b64 exec, exec, s[0:1]
	v_cmp_lt_u32_e32 vcc, 63, v2
	v_mov_b32_e32 v31, 0
	s_waitcnt lgkmcnt(0)
	s_barrier
	s_and_saveexec_b64 s[0:1], vcc
	s_cbranch_execz .LBB884_137
; %bb.136:
	v_lshl_add_u32 v31, v69, 2, -4
	ds_read_b32 v31, v31
.LBB884_137:
	s_or_b64 exec, exec, s[0:1]
	v_add_u32_e32 v69, -1, v3
	v_and_b32_e32 v70, 64, v3
	v_cmp_lt_i32_e32 vcc, v69, v70
	s_waitcnt lgkmcnt(0)
	v_add_u32_e32 v68, v31, v68
	s_movk_i32 s0, 0x100
	v_cndmask_b32_e32 v69, v69, v3, vcc
	v_lshlrev_b32_e32 v69, 2, v69
	ds_bpermute_b32 v68, v69, v68
	v_cmp_eq_u32_e32 vcc, 0, v3
	s_waitcnt lgkmcnt(0)
	s_nop 0
	v_cndmask_b32_e32 v3, v68, v31, vcc
	v_cndmask_b32_e64 v3, v3, 0, s[4:5]
	v_add_u32_e32 v28, v3, v28
	v_add_u32_e32 v29, v28, v29
	;; [unrolled: 1-line block ×4, first 2 shown]
	ds_write2_b32 v30, v3, v28 offset0:8 offset1:9
	ds_write2_b32 v67, v29, v26 offset0:2 offset1:3
	ds_write_b32 v67, v27 offset:16
	s_waitcnt lgkmcnt(0)
	s_barrier
	ds_read_b32 v73, v36 offset:32
	ds_read_b32 v67, v38 offset:32
	;; [unrolled: 1-line block ×12, first 2 shown]
	v_cmp_gt_u32_e32 vcc, s0, v2
                                        ; implicit-def: $vgpr3
                                        ; implicit-def: $vgpr36
	s_and_saveexec_b64 s[2:3], vcc
	s_cbranch_execz .LBB884_141
; %bb.138:
	v_mul_u32_u24_e32 v3, 9, v2
	v_lshlrev_b32_e32 v27, 2, v3
	ds_read_b32 v3, v27 offset:32
	s_movk_i32 s0, 0xff
	v_cmp_ne_u32_e64 s[0:1], s0, v2
	v_mov_b32_e32 v26, 0x1800
	s_and_saveexec_b64 s[4:5], s[0:1]
	s_cbranch_execz .LBB884_140
; %bb.139:
	ds_read_b32 v26, v27 offset:68
.LBB884_140:
	s_or_b64 exec, exec, s[4:5]
	s_waitcnt lgkmcnt(0)
	v_sub_u32_e32 v36, v26, v3
.LBB884_141:
	s_or_b64 exec, exec, s[2:3]
	s_waitcnt lgkmcnt(0)
	s_barrier
	s_and_saveexec_b64 s[2:3], vcc
	s_cbranch_execz .LBB884_151
; %bb.142:
	v_lshl_or_b32 v28, s27, 8, v2
	v_mov_b32_e32 v29, 0
	v_lshl_add_u64 v[26:27], v[28:29], 2, s[18:19]
	v_or_b32_e32 v28, 2.0, v36
	s_mov_b64 s[4:5], 0
	s_brev_b32 s14, 1
	s_mov_b32 s15, s27
	v_mov_b32_e32 v47, 0
	global_store_dword v[26:27], v28, off sc1
                                        ; implicit-def: $sgpr0_sgpr1
	s_branch .LBB884_145
.LBB884_143:                            ;   in Loop: Header=BB884_145 Depth=1
	s_or_b64 exec, exec, s[10:11]
.LBB884_144:                            ;   in Loop: Header=BB884_145 Depth=1
	s_or_b64 exec, exec, s[6:7]
	v_and_b32_e32 v30, 0x3fffffff, v53
	v_add_u32_e32 v47, v30, v47
	v_cmp_eq_u32_e64 s[0:1], s14, v28
	s_and_b64 s[6:7], exec, s[0:1]
	s_or_b64 s[4:5], s[6:7], s[4:5]
	s_andn2_b64 exec, exec, s[4:5]
	s_cbranch_execz .LBB884_150
.LBB884_145:                            ; =>This Loop Header: Depth=1
                                        ;     Child Loop BB884_148 Depth 2
	s_or_b64 s[0:1], s[0:1], exec
	s_cmp_eq_u32 s15, 0
	s_cbranch_scc1 .LBB884_149
; %bb.146:                              ;   in Loop: Header=BB884_145 Depth=1
	s_add_i32 s15, s15, -1
	v_lshl_or_b32 v28, s15, 8, v2
	v_lshl_add_u64 v[30:31], v[28:29], 2, s[18:19]
	global_load_dword v53, v[30:31], off sc1
	s_waitcnt vmcnt(0)
	v_and_b32_e32 v28, -2.0, v53
	v_cmp_eq_u32_e64 s[0:1], 0, v28
	s_and_saveexec_b64 s[6:7], s[0:1]
	s_cbranch_execz .LBB884_144
; %bb.147:                              ;   in Loop: Header=BB884_145 Depth=1
	s_mov_b64 s[10:11], 0
.LBB884_148:                            ;   Parent Loop BB884_145 Depth=1
                                        ; =>  This Inner Loop Header: Depth=2
	global_load_dword v53, v[30:31], off sc1
	s_waitcnt vmcnt(0)
	v_and_b32_e32 v28, -2.0, v53
	v_cmp_ne_u32_e64 s[0:1], 0, v28
	s_or_b64 s[10:11], s[0:1], s[10:11]
	s_andn2_b64 exec, exec, s[10:11]
	s_cbranch_execnz .LBB884_148
	s_branch .LBB884_143
.LBB884_149:                            ;   in Loop: Header=BB884_145 Depth=1
                                        ; implicit-def: $sgpr15
	s_and_b64 s[6:7], exec, s[0:1]
	s_or_b64 s[4:5], s[6:7], s[4:5]
	s_andn2_b64 exec, exec, s[4:5]
	s_cbranch_execnz .LBB884_145
.LBB884_150:
	s_or_b64 exec, exec, s[4:5]
	v_add_u32_e32 v28, v47, v36
	v_or_b32_e32 v28, 0x80000000, v28
	global_store_dword v[26:27], v28, off sc1
	v_lshlrev_b32_e32 v26, 2, v2
	global_load_dword v27, v26, s[20:21]
	v_sub_u32_e32 v28, v47, v3
	s_waitcnt vmcnt(0)
	v_add_u32_e32 v27, v28, v27
	ds_write_b32 v26, v27
.LBB884_151:
	s_or_b64 exec, exec, s[2:3]
	v_add_u32_e32 v28, v73, v33
	v_add3_u32 v26, v34, v32, v67
	v_add3_u32 v27, v37, v35, v68
	;; [unrolled: 1-line block ×11, first 2 shown]
	v_lshlrev_b32_e32 v29, 3, v2
	v_mov_b32_e32 v75, 0x400
	s_movk_i32 s4, 0x400
	v_add_u32_e32 v30, 0x400, v29
	v_lshl_add_u32 v31, v31, 3, v75
	v_add3_u32 v33, v65, v38, v43
	v_lshl_add_u32 v38, v74, 3, v75
	v_add3_u32 v40, v63, v40, v61
	;; [unrolled: 2-line block ×11, first 2 shown]
	v_lshl_add_u32 v34, v28, 3, v75
	s_mov_b32 s5, 0
	s_movk_i32 s6, 0x200
	v_mov_b32_e32 v27, 0
	v_mov_b32_e32 v55, v2
	s_mov_b32 s7, 0
	s_branch .LBB884_153
.LBB884_152:                            ;   in Loop: Header=BB884_153 Depth=1
	s_or_b64 exec, exec, s[2:3]
	s_waitcnt lgkmcnt(0)
	s_barrier
	ds_read_b64 v[56:57], v29 offset:1024
	ds_read_b64 v[58:59], v30 offset:4096
	s_addk_i32 s7, 0xe000
	s_addk_i32 s5, 0xfc00
	s_cmp_eq_u32 s7, 0xffff4000
	s_waitcnt lgkmcnt(1)
	v_lshrrev_b64 v[60:61], s24, v[56:57]
	v_and_b32_e32 v26, s13, v60
	s_waitcnt lgkmcnt(0)
	v_lshrrev_b64 v[60:61], s24, v[58:59]
	v_lshlrev_b32_e32 v26, 2, v26
	v_and_b32_e32 v60, s13, v60
	ds_read_b32 v26, v26
	v_lshlrev_b32_e32 v60, 2, v60
	ds_read_b32 v62, v60
	s_waitcnt lgkmcnt(1)
	v_add_u32_e32 v26, v55, v26
	v_lshl_add_u64 v[60:61], v[26:27], 3, s[30:31]
	s_waitcnt lgkmcnt(0)
	v_add3_u32 v26, v55, v62, s6
	global_store_dwordx2 v[60:61], v[56:57], off
	v_lshl_add_u64 v[56:57], v[26:27], 3, s[30:31]
	v_add_u32_e32 v55, 0x400, v55
	global_store_dwordx2 v[56:57], v[58:59], off
	s_barrier
	s_cbranch_scc1 .LBB884_177
.LBB884_153:                            ; =>This Inner Loop Header: Depth=1
	v_add_u32_e32 v26, s5, v28
	v_cmp_gt_u32_e64 s[0:1], s4, v26
	s_and_saveexec_b64 s[2:3], s[0:1]
	s_cbranch_execz .LBB884_155
; %bb.154:                              ;   in Loop: Header=BB884_153 Depth=1
	v_add_u32_e32 v26, s7, v34
	ds_write_b64 v26, v[4:5]
.LBB884_155:                            ;   in Loop: Header=BB884_153 Depth=1
	s_or_b64 exec, exec, s[2:3]
	v_add_u32_e32 v26, s5, v32
	v_cmp_gt_u32_e64 s[0:1], s4, v26
	s_and_saveexec_b64 s[2:3], s[0:1]
	s_cbranch_execz .LBB884_157
; %bb.156:                              ;   in Loop: Header=BB884_153 Depth=1
	v_add_u32_e32 v26, s7, v37
	ds_write_b64 v26, v[0:1]
.LBB884_157:                            ;   in Loop: Header=BB884_153 Depth=1
	s_or_b64 exec, exec, s[2:3]
	;; [unrolled: 9-line block ×11, first 2 shown]
	v_add_u32_e32 v26, s5, v33
	v_cmp_gt_u32_e64 s[0:1], s4, v26
	s_and_saveexec_b64 s[2:3], s[0:1]
	s_cbranch_execz .LBB884_152
; %bb.176:                              ;   in Loop: Header=BB884_153 Depth=1
	v_add_u32_e32 v26, s7, v31
	ds_write_b64 v26, v[24:25]
	s_branch .LBB884_152
.LBB884_177:
	s_add_i32 s12, s12, -1
	s_cmp_eq_u32 s12, s27
	s_cselect_b64 s[0:1], -1, 0
	s_and_b64 s[2:3], vcc, s[0:1]
                                        ; implicit-def: $vgpr4
	s_and_saveexec_b64 s[0:1], s[2:3]
; %bb.178:
	v_add_u32_e32 v4, v3, v36
	s_or_b64 s[8:9], s[8:9], exec
; %bb.179:
	s_or_b64 exec, exec, s[0:1]
.LBB884_180:
	s_and_saveexec_b64 s[0:1], s[8:9]
	s_cbranch_execnz .LBB884_182
; %bb.181:
	s_endpgm
.LBB884_182:
	v_lshlrev_b32_e32 v0, 2, v2
	ds_read_b32 v1, v0
	s_waitcnt lgkmcnt(0)
	v_add_u32_e32 v1, v1, v4
	global_store_dword v0, v1, s[22:23]
	s_endpgm
	.section	.rodata,"a",@progbits
	.p2align	6, 0x0
	.amdhsa_kernel _ZN7rocprim17ROCPRIM_400000_NS6detail17trampoline_kernelINS0_14default_configENS1_35radix_sort_onesweep_config_selectorIyNS0_10empty_typeEEEZZNS1_29radix_sort_onesweep_iterationIS3_Lb0EN6thrust23THRUST_200600_302600_NS6detail15normal_iteratorINS9_10device_ptrIyEEEESE_PS5_SF_jNS0_19identity_decomposerENS1_16block_id_wrapperIjLb1EEEEE10hipError_tT1_PNSt15iterator_traitsISK_E10value_typeET2_T3_PNSL_ISQ_E10value_typeET4_T5_PSV_SW_PNS1_23onesweep_lookback_stateEbbT6_jjT7_P12ihipStream_tbENKUlT_T0_SK_SP_E_clIPySE_SF_SF_EEDaS13_S14_SK_SP_EUlS13_E_NS1_11comp_targetILNS1_3genE5ELNS1_11target_archE942ELNS1_3gpuE9ELNS1_3repE0EEENS1_47radix_sort_onesweep_sort_config_static_selectorELNS0_4arch9wavefront6targetE1EEEvSK_
		.amdhsa_group_segment_fixed_size 10280
		.amdhsa_private_segment_fixed_size 0
		.amdhsa_kernarg_size 344
		.amdhsa_user_sgpr_count 2
		.amdhsa_user_sgpr_dispatch_ptr 0
		.amdhsa_user_sgpr_queue_ptr 0
		.amdhsa_user_sgpr_kernarg_segment_ptr 1
		.amdhsa_user_sgpr_dispatch_id 0
		.amdhsa_user_sgpr_kernarg_preload_length 0
		.amdhsa_user_sgpr_kernarg_preload_offset 0
		.amdhsa_user_sgpr_private_segment_size 0
		.amdhsa_uses_dynamic_stack 0
		.amdhsa_enable_private_segment 0
		.amdhsa_system_sgpr_workgroup_id_x 1
		.amdhsa_system_sgpr_workgroup_id_y 0
		.amdhsa_system_sgpr_workgroup_id_z 0
		.amdhsa_system_sgpr_workgroup_info 0
		.amdhsa_system_vgpr_workitem_id 2
		.amdhsa_next_free_vgpr 78
		.amdhsa_next_free_sgpr 36
		.amdhsa_accum_offset 80
		.amdhsa_reserve_vcc 1
		.amdhsa_float_round_mode_32 0
		.amdhsa_float_round_mode_16_64 0
		.amdhsa_float_denorm_mode_32 3
		.amdhsa_float_denorm_mode_16_64 3
		.amdhsa_dx10_clamp 1
		.amdhsa_ieee_mode 1
		.amdhsa_fp16_overflow 0
		.amdhsa_tg_split 0
		.amdhsa_exception_fp_ieee_invalid_op 0
		.amdhsa_exception_fp_denorm_src 0
		.amdhsa_exception_fp_ieee_div_zero 0
		.amdhsa_exception_fp_ieee_overflow 0
		.amdhsa_exception_fp_ieee_underflow 0
		.amdhsa_exception_fp_ieee_inexact 0
		.amdhsa_exception_int_div_zero 0
	.end_amdhsa_kernel
	.section	.text._ZN7rocprim17ROCPRIM_400000_NS6detail17trampoline_kernelINS0_14default_configENS1_35radix_sort_onesweep_config_selectorIyNS0_10empty_typeEEEZZNS1_29radix_sort_onesweep_iterationIS3_Lb0EN6thrust23THRUST_200600_302600_NS6detail15normal_iteratorINS9_10device_ptrIyEEEESE_PS5_SF_jNS0_19identity_decomposerENS1_16block_id_wrapperIjLb1EEEEE10hipError_tT1_PNSt15iterator_traitsISK_E10value_typeET2_T3_PNSL_ISQ_E10value_typeET4_T5_PSV_SW_PNS1_23onesweep_lookback_stateEbbT6_jjT7_P12ihipStream_tbENKUlT_T0_SK_SP_E_clIPySE_SF_SF_EEDaS13_S14_SK_SP_EUlS13_E_NS1_11comp_targetILNS1_3genE5ELNS1_11target_archE942ELNS1_3gpuE9ELNS1_3repE0EEENS1_47radix_sort_onesweep_sort_config_static_selectorELNS0_4arch9wavefront6targetE1EEEvSK_,"axG",@progbits,_ZN7rocprim17ROCPRIM_400000_NS6detail17trampoline_kernelINS0_14default_configENS1_35radix_sort_onesweep_config_selectorIyNS0_10empty_typeEEEZZNS1_29radix_sort_onesweep_iterationIS3_Lb0EN6thrust23THRUST_200600_302600_NS6detail15normal_iteratorINS9_10device_ptrIyEEEESE_PS5_SF_jNS0_19identity_decomposerENS1_16block_id_wrapperIjLb1EEEEE10hipError_tT1_PNSt15iterator_traitsISK_E10value_typeET2_T3_PNSL_ISQ_E10value_typeET4_T5_PSV_SW_PNS1_23onesweep_lookback_stateEbbT6_jjT7_P12ihipStream_tbENKUlT_T0_SK_SP_E_clIPySE_SF_SF_EEDaS13_S14_SK_SP_EUlS13_E_NS1_11comp_targetILNS1_3genE5ELNS1_11target_archE942ELNS1_3gpuE9ELNS1_3repE0EEENS1_47radix_sort_onesweep_sort_config_static_selectorELNS0_4arch9wavefront6targetE1EEEvSK_,comdat
.Lfunc_end884:
	.size	_ZN7rocprim17ROCPRIM_400000_NS6detail17trampoline_kernelINS0_14default_configENS1_35radix_sort_onesweep_config_selectorIyNS0_10empty_typeEEEZZNS1_29radix_sort_onesweep_iterationIS3_Lb0EN6thrust23THRUST_200600_302600_NS6detail15normal_iteratorINS9_10device_ptrIyEEEESE_PS5_SF_jNS0_19identity_decomposerENS1_16block_id_wrapperIjLb1EEEEE10hipError_tT1_PNSt15iterator_traitsISK_E10value_typeET2_T3_PNSL_ISQ_E10value_typeET4_T5_PSV_SW_PNS1_23onesweep_lookback_stateEbbT6_jjT7_P12ihipStream_tbENKUlT_T0_SK_SP_E_clIPySE_SF_SF_EEDaS13_S14_SK_SP_EUlS13_E_NS1_11comp_targetILNS1_3genE5ELNS1_11target_archE942ELNS1_3gpuE9ELNS1_3repE0EEENS1_47radix_sort_onesweep_sort_config_static_selectorELNS0_4arch9wavefront6targetE1EEEvSK_, .Lfunc_end884-_ZN7rocprim17ROCPRIM_400000_NS6detail17trampoline_kernelINS0_14default_configENS1_35radix_sort_onesweep_config_selectorIyNS0_10empty_typeEEEZZNS1_29radix_sort_onesweep_iterationIS3_Lb0EN6thrust23THRUST_200600_302600_NS6detail15normal_iteratorINS9_10device_ptrIyEEEESE_PS5_SF_jNS0_19identity_decomposerENS1_16block_id_wrapperIjLb1EEEEE10hipError_tT1_PNSt15iterator_traitsISK_E10value_typeET2_T3_PNSL_ISQ_E10value_typeET4_T5_PSV_SW_PNS1_23onesweep_lookback_stateEbbT6_jjT7_P12ihipStream_tbENKUlT_T0_SK_SP_E_clIPySE_SF_SF_EEDaS13_S14_SK_SP_EUlS13_E_NS1_11comp_targetILNS1_3genE5ELNS1_11target_archE942ELNS1_3gpuE9ELNS1_3repE0EEENS1_47radix_sort_onesweep_sort_config_static_selectorELNS0_4arch9wavefront6targetE1EEEvSK_
                                        ; -- End function
	.section	.AMDGPU.csdata,"",@progbits
; Kernel info:
; codeLenInByte = 14996
; NumSgprs: 42
; NumVgprs: 78
; NumAgprs: 0
; TotalNumVgprs: 78
; ScratchSize: 0
; MemoryBound: 0
; FloatMode: 240
; IeeeMode: 1
; LDSByteSize: 10280 bytes/workgroup (compile time only)
; SGPRBlocks: 5
; VGPRBlocks: 9
; NumSGPRsForWavesPerEU: 42
; NumVGPRsForWavesPerEU: 78
; AccumOffset: 80
; Occupancy: 6
; WaveLimiterHint : 1
; COMPUTE_PGM_RSRC2:SCRATCH_EN: 0
; COMPUTE_PGM_RSRC2:USER_SGPR: 2
; COMPUTE_PGM_RSRC2:TRAP_HANDLER: 0
; COMPUTE_PGM_RSRC2:TGID_X_EN: 1
; COMPUTE_PGM_RSRC2:TGID_Y_EN: 0
; COMPUTE_PGM_RSRC2:TGID_Z_EN: 0
; COMPUTE_PGM_RSRC2:TIDIG_COMP_CNT: 2
; COMPUTE_PGM_RSRC3_GFX90A:ACCUM_OFFSET: 19
; COMPUTE_PGM_RSRC3_GFX90A:TG_SPLIT: 0
	.section	.text._ZN7rocprim17ROCPRIM_400000_NS6detail17trampoline_kernelINS0_14default_configENS1_35radix_sort_onesweep_config_selectorIyNS0_10empty_typeEEEZZNS1_29radix_sort_onesweep_iterationIS3_Lb0EN6thrust23THRUST_200600_302600_NS6detail15normal_iteratorINS9_10device_ptrIyEEEESE_PS5_SF_jNS0_19identity_decomposerENS1_16block_id_wrapperIjLb1EEEEE10hipError_tT1_PNSt15iterator_traitsISK_E10value_typeET2_T3_PNSL_ISQ_E10value_typeET4_T5_PSV_SW_PNS1_23onesweep_lookback_stateEbbT6_jjT7_P12ihipStream_tbENKUlT_T0_SK_SP_E_clIPySE_SF_SF_EEDaS13_S14_SK_SP_EUlS13_E_NS1_11comp_targetILNS1_3genE2ELNS1_11target_archE906ELNS1_3gpuE6ELNS1_3repE0EEENS1_47radix_sort_onesweep_sort_config_static_selectorELNS0_4arch9wavefront6targetE1EEEvSK_,"axG",@progbits,_ZN7rocprim17ROCPRIM_400000_NS6detail17trampoline_kernelINS0_14default_configENS1_35radix_sort_onesweep_config_selectorIyNS0_10empty_typeEEEZZNS1_29radix_sort_onesweep_iterationIS3_Lb0EN6thrust23THRUST_200600_302600_NS6detail15normal_iteratorINS9_10device_ptrIyEEEESE_PS5_SF_jNS0_19identity_decomposerENS1_16block_id_wrapperIjLb1EEEEE10hipError_tT1_PNSt15iterator_traitsISK_E10value_typeET2_T3_PNSL_ISQ_E10value_typeET4_T5_PSV_SW_PNS1_23onesweep_lookback_stateEbbT6_jjT7_P12ihipStream_tbENKUlT_T0_SK_SP_E_clIPySE_SF_SF_EEDaS13_S14_SK_SP_EUlS13_E_NS1_11comp_targetILNS1_3genE2ELNS1_11target_archE906ELNS1_3gpuE6ELNS1_3repE0EEENS1_47radix_sort_onesweep_sort_config_static_selectorELNS0_4arch9wavefront6targetE1EEEvSK_,comdat
	.protected	_ZN7rocprim17ROCPRIM_400000_NS6detail17trampoline_kernelINS0_14default_configENS1_35radix_sort_onesweep_config_selectorIyNS0_10empty_typeEEEZZNS1_29radix_sort_onesweep_iterationIS3_Lb0EN6thrust23THRUST_200600_302600_NS6detail15normal_iteratorINS9_10device_ptrIyEEEESE_PS5_SF_jNS0_19identity_decomposerENS1_16block_id_wrapperIjLb1EEEEE10hipError_tT1_PNSt15iterator_traitsISK_E10value_typeET2_T3_PNSL_ISQ_E10value_typeET4_T5_PSV_SW_PNS1_23onesweep_lookback_stateEbbT6_jjT7_P12ihipStream_tbENKUlT_T0_SK_SP_E_clIPySE_SF_SF_EEDaS13_S14_SK_SP_EUlS13_E_NS1_11comp_targetILNS1_3genE2ELNS1_11target_archE906ELNS1_3gpuE6ELNS1_3repE0EEENS1_47radix_sort_onesweep_sort_config_static_selectorELNS0_4arch9wavefront6targetE1EEEvSK_ ; -- Begin function _ZN7rocprim17ROCPRIM_400000_NS6detail17trampoline_kernelINS0_14default_configENS1_35radix_sort_onesweep_config_selectorIyNS0_10empty_typeEEEZZNS1_29radix_sort_onesweep_iterationIS3_Lb0EN6thrust23THRUST_200600_302600_NS6detail15normal_iteratorINS9_10device_ptrIyEEEESE_PS5_SF_jNS0_19identity_decomposerENS1_16block_id_wrapperIjLb1EEEEE10hipError_tT1_PNSt15iterator_traitsISK_E10value_typeET2_T3_PNSL_ISQ_E10value_typeET4_T5_PSV_SW_PNS1_23onesweep_lookback_stateEbbT6_jjT7_P12ihipStream_tbENKUlT_T0_SK_SP_E_clIPySE_SF_SF_EEDaS13_S14_SK_SP_EUlS13_E_NS1_11comp_targetILNS1_3genE2ELNS1_11target_archE906ELNS1_3gpuE6ELNS1_3repE0EEENS1_47radix_sort_onesweep_sort_config_static_selectorELNS0_4arch9wavefront6targetE1EEEvSK_
	.globl	_ZN7rocprim17ROCPRIM_400000_NS6detail17trampoline_kernelINS0_14default_configENS1_35radix_sort_onesweep_config_selectorIyNS0_10empty_typeEEEZZNS1_29radix_sort_onesweep_iterationIS3_Lb0EN6thrust23THRUST_200600_302600_NS6detail15normal_iteratorINS9_10device_ptrIyEEEESE_PS5_SF_jNS0_19identity_decomposerENS1_16block_id_wrapperIjLb1EEEEE10hipError_tT1_PNSt15iterator_traitsISK_E10value_typeET2_T3_PNSL_ISQ_E10value_typeET4_T5_PSV_SW_PNS1_23onesweep_lookback_stateEbbT6_jjT7_P12ihipStream_tbENKUlT_T0_SK_SP_E_clIPySE_SF_SF_EEDaS13_S14_SK_SP_EUlS13_E_NS1_11comp_targetILNS1_3genE2ELNS1_11target_archE906ELNS1_3gpuE6ELNS1_3repE0EEENS1_47radix_sort_onesweep_sort_config_static_selectorELNS0_4arch9wavefront6targetE1EEEvSK_
	.p2align	8
	.type	_ZN7rocprim17ROCPRIM_400000_NS6detail17trampoline_kernelINS0_14default_configENS1_35radix_sort_onesweep_config_selectorIyNS0_10empty_typeEEEZZNS1_29radix_sort_onesweep_iterationIS3_Lb0EN6thrust23THRUST_200600_302600_NS6detail15normal_iteratorINS9_10device_ptrIyEEEESE_PS5_SF_jNS0_19identity_decomposerENS1_16block_id_wrapperIjLb1EEEEE10hipError_tT1_PNSt15iterator_traitsISK_E10value_typeET2_T3_PNSL_ISQ_E10value_typeET4_T5_PSV_SW_PNS1_23onesweep_lookback_stateEbbT6_jjT7_P12ihipStream_tbENKUlT_T0_SK_SP_E_clIPySE_SF_SF_EEDaS13_S14_SK_SP_EUlS13_E_NS1_11comp_targetILNS1_3genE2ELNS1_11target_archE906ELNS1_3gpuE6ELNS1_3repE0EEENS1_47radix_sort_onesweep_sort_config_static_selectorELNS0_4arch9wavefront6targetE1EEEvSK_,@function
_ZN7rocprim17ROCPRIM_400000_NS6detail17trampoline_kernelINS0_14default_configENS1_35radix_sort_onesweep_config_selectorIyNS0_10empty_typeEEEZZNS1_29radix_sort_onesweep_iterationIS3_Lb0EN6thrust23THRUST_200600_302600_NS6detail15normal_iteratorINS9_10device_ptrIyEEEESE_PS5_SF_jNS0_19identity_decomposerENS1_16block_id_wrapperIjLb1EEEEE10hipError_tT1_PNSt15iterator_traitsISK_E10value_typeET2_T3_PNSL_ISQ_E10value_typeET4_T5_PSV_SW_PNS1_23onesweep_lookback_stateEbbT6_jjT7_P12ihipStream_tbENKUlT_T0_SK_SP_E_clIPySE_SF_SF_EEDaS13_S14_SK_SP_EUlS13_E_NS1_11comp_targetILNS1_3genE2ELNS1_11target_archE906ELNS1_3gpuE6ELNS1_3repE0EEENS1_47radix_sort_onesweep_sort_config_static_selectorELNS0_4arch9wavefront6targetE1EEEvSK_: ; @_ZN7rocprim17ROCPRIM_400000_NS6detail17trampoline_kernelINS0_14default_configENS1_35radix_sort_onesweep_config_selectorIyNS0_10empty_typeEEEZZNS1_29radix_sort_onesweep_iterationIS3_Lb0EN6thrust23THRUST_200600_302600_NS6detail15normal_iteratorINS9_10device_ptrIyEEEESE_PS5_SF_jNS0_19identity_decomposerENS1_16block_id_wrapperIjLb1EEEEE10hipError_tT1_PNSt15iterator_traitsISK_E10value_typeET2_T3_PNSL_ISQ_E10value_typeET4_T5_PSV_SW_PNS1_23onesweep_lookback_stateEbbT6_jjT7_P12ihipStream_tbENKUlT_T0_SK_SP_E_clIPySE_SF_SF_EEDaS13_S14_SK_SP_EUlS13_E_NS1_11comp_targetILNS1_3genE2ELNS1_11target_archE906ELNS1_3gpuE6ELNS1_3repE0EEENS1_47radix_sort_onesweep_sort_config_static_selectorELNS0_4arch9wavefront6targetE1EEEvSK_
; %bb.0:
	.section	.rodata,"a",@progbits
	.p2align	6, 0x0
	.amdhsa_kernel _ZN7rocprim17ROCPRIM_400000_NS6detail17trampoline_kernelINS0_14default_configENS1_35radix_sort_onesweep_config_selectorIyNS0_10empty_typeEEEZZNS1_29radix_sort_onesweep_iterationIS3_Lb0EN6thrust23THRUST_200600_302600_NS6detail15normal_iteratorINS9_10device_ptrIyEEEESE_PS5_SF_jNS0_19identity_decomposerENS1_16block_id_wrapperIjLb1EEEEE10hipError_tT1_PNSt15iterator_traitsISK_E10value_typeET2_T3_PNSL_ISQ_E10value_typeET4_T5_PSV_SW_PNS1_23onesweep_lookback_stateEbbT6_jjT7_P12ihipStream_tbENKUlT_T0_SK_SP_E_clIPySE_SF_SF_EEDaS13_S14_SK_SP_EUlS13_E_NS1_11comp_targetILNS1_3genE2ELNS1_11target_archE906ELNS1_3gpuE6ELNS1_3repE0EEENS1_47radix_sort_onesweep_sort_config_static_selectorELNS0_4arch9wavefront6targetE1EEEvSK_
		.amdhsa_group_segment_fixed_size 0
		.amdhsa_private_segment_fixed_size 0
		.amdhsa_kernarg_size 88
		.amdhsa_user_sgpr_count 2
		.amdhsa_user_sgpr_dispatch_ptr 0
		.amdhsa_user_sgpr_queue_ptr 0
		.amdhsa_user_sgpr_kernarg_segment_ptr 1
		.amdhsa_user_sgpr_dispatch_id 0
		.amdhsa_user_sgpr_kernarg_preload_length 0
		.amdhsa_user_sgpr_kernarg_preload_offset 0
		.amdhsa_user_sgpr_private_segment_size 0
		.amdhsa_uses_dynamic_stack 0
		.amdhsa_enable_private_segment 0
		.amdhsa_system_sgpr_workgroup_id_x 1
		.amdhsa_system_sgpr_workgroup_id_y 0
		.amdhsa_system_sgpr_workgroup_id_z 0
		.amdhsa_system_sgpr_workgroup_info 0
		.amdhsa_system_vgpr_workitem_id 0
		.amdhsa_next_free_vgpr 1
		.amdhsa_next_free_sgpr 0
		.amdhsa_accum_offset 4
		.amdhsa_reserve_vcc 0
		.amdhsa_float_round_mode_32 0
		.amdhsa_float_round_mode_16_64 0
		.amdhsa_float_denorm_mode_32 3
		.amdhsa_float_denorm_mode_16_64 3
		.amdhsa_dx10_clamp 1
		.amdhsa_ieee_mode 1
		.amdhsa_fp16_overflow 0
		.amdhsa_tg_split 0
		.amdhsa_exception_fp_ieee_invalid_op 0
		.amdhsa_exception_fp_denorm_src 0
		.amdhsa_exception_fp_ieee_div_zero 0
		.amdhsa_exception_fp_ieee_overflow 0
		.amdhsa_exception_fp_ieee_underflow 0
		.amdhsa_exception_fp_ieee_inexact 0
		.amdhsa_exception_int_div_zero 0
	.end_amdhsa_kernel
	.section	.text._ZN7rocprim17ROCPRIM_400000_NS6detail17trampoline_kernelINS0_14default_configENS1_35radix_sort_onesweep_config_selectorIyNS0_10empty_typeEEEZZNS1_29radix_sort_onesweep_iterationIS3_Lb0EN6thrust23THRUST_200600_302600_NS6detail15normal_iteratorINS9_10device_ptrIyEEEESE_PS5_SF_jNS0_19identity_decomposerENS1_16block_id_wrapperIjLb1EEEEE10hipError_tT1_PNSt15iterator_traitsISK_E10value_typeET2_T3_PNSL_ISQ_E10value_typeET4_T5_PSV_SW_PNS1_23onesweep_lookback_stateEbbT6_jjT7_P12ihipStream_tbENKUlT_T0_SK_SP_E_clIPySE_SF_SF_EEDaS13_S14_SK_SP_EUlS13_E_NS1_11comp_targetILNS1_3genE2ELNS1_11target_archE906ELNS1_3gpuE6ELNS1_3repE0EEENS1_47radix_sort_onesweep_sort_config_static_selectorELNS0_4arch9wavefront6targetE1EEEvSK_,"axG",@progbits,_ZN7rocprim17ROCPRIM_400000_NS6detail17trampoline_kernelINS0_14default_configENS1_35radix_sort_onesweep_config_selectorIyNS0_10empty_typeEEEZZNS1_29radix_sort_onesweep_iterationIS3_Lb0EN6thrust23THRUST_200600_302600_NS6detail15normal_iteratorINS9_10device_ptrIyEEEESE_PS5_SF_jNS0_19identity_decomposerENS1_16block_id_wrapperIjLb1EEEEE10hipError_tT1_PNSt15iterator_traitsISK_E10value_typeET2_T3_PNSL_ISQ_E10value_typeET4_T5_PSV_SW_PNS1_23onesweep_lookback_stateEbbT6_jjT7_P12ihipStream_tbENKUlT_T0_SK_SP_E_clIPySE_SF_SF_EEDaS13_S14_SK_SP_EUlS13_E_NS1_11comp_targetILNS1_3genE2ELNS1_11target_archE906ELNS1_3gpuE6ELNS1_3repE0EEENS1_47radix_sort_onesweep_sort_config_static_selectorELNS0_4arch9wavefront6targetE1EEEvSK_,comdat
.Lfunc_end885:
	.size	_ZN7rocprim17ROCPRIM_400000_NS6detail17trampoline_kernelINS0_14default_configENS1_35radix_sort_onesweep_config_selectorIyNS0_10empty_typeEEEZZNS1_29radix_sort_onesweep_iterationIS3_Lb0EN6thrust23THRUST_200600_302600_NS6detail15normal_iteratorINS9_10device_ptrIyEEEESE_PS5_SF_jNS0_19identity_decomposerENS1_16block_id_wrapperIjLb1EEEEE10hipError_tT1_PNSt15iterator_traitsISK_E10value_typeET2_T3_PNSL_ISQ_E10value_typeET4_T5_PSV_SW_PNS1_23onesweep_lookback_stateEbbT6_jjT7_P12ihipStream_tbENKUlT_T0_SK_SP_E_clIPySE_SF_SF_EEDaS13_S14_SK_SP_EUlS13_E_NS1_11comp_targetILNS1_3genE2ELNS1_11target_archE906ELNS1_3gpuE6ELNS1_3repE0EEENS1_47radix_sort_onesweep_sort_config_static_selectorELNS0_4arch9wavefront6targetE1EEEvSK_, .Lfunc_end885-_ZN7rocprim17ROCPRIM_400000_NS6detail17trampoline_kernelINS0_14default_configENS1_35radix_sort_onesweep_config_selectorIyNS0_10empty_typeEEEZZNS1_29radix_sort_onesweep_iterationIS3_Lb0EN6thrust23THRUST_200600_302600_NS6detail15normal_iteratorINS9_10device_ptrIyEEEESE_PS5_SF_jNS0_19identity_decomposerENS1_16block_id_wrapperIjLb1EEEEE10hipError_tT1_PNSt15iterator_traitsISK_E10value_typeET2_T3_PNSL_ISQ_E10value_typeET4_T5_PSV_SW_PNS1_23onesweep_lookback_stateEbbT6_jjT7_P12ihipStream_tbENKUlT_T0_SK_SP_E_clIPySE_SF_SF_EEDaS13_S14_SK_SP_EUlS13_E_NS1_11comp_targetILNS1_3genE2ELNS1_11target_archE906ELNS1_3gpuE6ELNS1_3repE0EEENS1_47radix_sort_onesweep_sort_config_static_selectorELNS0_4arch9wavefront6targetE1EEEvSK_
                                        ; -- End function
	.section	.AMDGPU.csdata,"",@progbits
; Kernel info:
; codeLenInByte = 0
; NumSgprs: 6
; NumVgprs: 0
; NumAgprs: 0
; TotalNumVgprs: 0
; ScratchSize: 0
; MemoryBound: 0
; FloatMode: 240
; IeeeMode: 1
; LDSByteSize: 0 bytes/workgroup (compile time only)
; SGPRBlocks: 0
; VGPRBlocks: 0
; NumSGPRsForWavesPerEU: 6
; NumVGPRsForWavesPerEU: 1
; AccumOffset: 4
; Occupancy: 8
; WaveLimiterHint : 0
; COMPUTE_PGM_RSRC2:SCRATCH_EN: 0
; COMPUTE_PGM_RSRC2:USER_SGPR: 2
; COMPUTE_PGM_RSRC2:TRAP_HANDLER: 0
; COMPUTE_PGM_RSRC2:TGID_X_EN: 1
; COMPUTE_PGM_RSRC2:TGID_Y_EN: 0
; COMPUTE_PGM_RSRC2:TGID_Z_EN: 0
; COMPUTE_PGM_RSRC2:TIDIG_COMP_CNT: 0
; COMPUTE_PGM_RSRC3_GFX90A:ACCUM_OFFSET: 0
; COMPUTE_PGM_RSRC3_GFX90A:TG_SPLIT: 0
	.section	.text._ZN7rocprim17ROCPRIM_400000_NS6detail17trampoline_kernelINS0_14default_configENS1_35radix_sort_onesweep_config_selectorIyNS0_10empty_typeEEEZZNS1_29radix_sort_onesweep_iterationIS3_Lb0EN6thrust23THRUST_200600_302600_NS6detail15normal_iteratorINS9_10device_ptrIyEEEESE_PS5_SF_jNS0_19identity_decomposerENS1_16block_id_wrapperIjLb1EEEEE10hipError_tT1_PNSt15iterator_traitsISK_E10value_typeET2_T3_PNSL_ISQ_E10value_typeET4_T5_PSV_SW_PNS1_23onesweep_lookback_stateEbbT6_jjT7_P12ihipStream_tbENKUlT_T0_SK_SP_E_clIPySE_SF_SF_EEDaS13_S14_SK_SP_EUlS13_E_NS1_11comp_targetILNS1_3genE4ELNS1_11target_archE910ELNS1_3gpuE8ELNS1_3repE0EEENS1_47radix_sort_onesweep_sort_config_static_selectorELNS0_4arch9wavefront6targetE1EEEvSK_,"axG",@progbits,_ZN7rocprim17ROCPRIM_400000_NS6detail17trampoline_kernelINS0_14default_configENS1_35radix_sort_onesweep_config_selectorIyNS0_10empty_typeEEEZZNS1_29radix_sort_onesweep_iterationIS3_Lb0EN6thrust23THRUST_200600_302600_NS6detail15normal_iteratorINS9_10device_ptrIyEEEESE_PS5_SF_jNS0_19identity_decomposerENS1_16block_id_wrapperIjLb1EEEEE10hipError_tT1_PNSt15iterator_traitsISK_E10value_typeET2_T3_PNSL_ISQ_E10value_typeET4_T5_PSV_SW_PNS1_23onesweep_lookback_stateEbbT6_jjT7_P12ihipStream_tbENKUlT_T0_SK_SP_E_clIPySE_SF_SF_EEDaS13_S14_SK_SP_EUlS13_E_NS1_11comp_targetILNS1_3genE4ELNS1_11target_archE910ELNS1_3gpuE8ELNS1_3repE0EEENS1_47radix_sort_onesweep_sort_config_static_selectorELNS0_4arch9wavefront6targetE1EEEvSK_,comdat
	.protected	_ZN7rocprim17ROCPRIM_400000_NS6detail17trampoline_kernelINS0_14default_configENS1_35radix_sort_onesweep_config_selectorIyNS0_10empty_typeEEEZZNS1_29radix_sort_onesweep_iterationIS3_Lb0EN6thrust23THRUST_200600_302600_NS6detail15normal_iteratorINS9_10device_ptrIyEEEESE_PS5_SF_jNS0_19identity_decomposerENS1_16block_id_wrapperIjLb1EEEEE10hipError_tT1_PNSt15iterator_traitsISK_E10value_typeET2_T3_PNSL_ISQ_E10value_typeET4_T5_PSV_SW_PNS1_23onesweep_lookback_stateEbbT6_jjT7_P12ihipStream_tbENKUlT_T0_SK_SP_E_clIPySE_SF_SF_EEDaS13_S14_SK_SP_EUlS13_E_NS1_11comp_targetILNS1_3genE4ELNS1_11target_archE910ELNS1_3gpuE8ELNS1_3repE0EEENS1_47radix_sort_onesweep_sort_config_static_selectorELNS0_4arch9wavefront6targetE1EEEvSK_ ; -- Begin function _ZN7rocprim17ROCPRIM_400000_NS6detail17trampoline_kernelINS0_14default_configENS1_35radix_sort_onesweep_config_selectorIyNS0_10empty_typeEEEZZNS1_29radix_sort_onesweep_iterationIS3_Lb0EN6thrust23THRUST_200600_302600_NS6detail15normal_iteratorINS9_10device_ptrIyEEEESE_PS5_SF_jNS0_19identity_decomposerENS1_16block_id_wrapperIjLb1EEEEE10hipError_tT1_PNSt15iterator_traitsISK_E10value_typeET2_T3_PNSL_ISQ_E10value_typeET4_T5_PSV_SW_PNS1_23onesweep_lookback_stateEbbT6_jjT7_P12ihipStream_tbENKUlT_T0_SK_SP_E_clIPySE_SF_SF_EEDaS13_S14_SK_SP_EUlS13_E_NS1_11comp_targetILNS1_3genE4ELNS1_11target_archE910ELNS1_3gpuE8ELNS1_3repE0EEENS1_47radix_sort_onesweep_sort_config_static_selectorELNS0_4arch9wavefront6targetE1EEEvSK_
	.globl	_ZN7rocprim17ROCPRIM_400000_NS6detail17trampoline_kernelINS0_14default_configENS1_35radix_sort_onesweep_config_selectorIyNS0_10empty_typeEEEZZNS1_29radix_sort_onesweep_iterationIS3_Lb0EN6thrust23THRUST_200600_302600_NS6detail15normal_iteratorINS9_10device_ptrIyEEEESE_PS5_SF_jNS0_19identity_decomposerENS1_16block_id_wrapperIjLb1EEEEE10hipError_tT1_PNSt15iterator_traitsISK_E10value_typeET2_T3_PNSL_ISQ_E10value_typeET4_T5_PSV_SW_PNS1_23onesweep_lookback_stateEbbT6_jjT7_P12ihipStream_tbENKUlT_T0_SK_SP_E_clIPySE_SF_SF_EEDaS13_S14_SK_SP_EUlS13_E_NS1_11comp_targetILNS1_3genE4ELNS1_11target_archE910ELNS1_3gpuE8ELNS1_3repE0EEENS1_47radix_sort_onesweep_sort_config_static_selectorELNS0_4arch9wavefront6targetE1EEEvSK_
	.p2align	8
	.type	_ZN7rocprim17ROCPRIM_400000_NS6detail17trampoline_kernelINS0_14default_configENS1_35radix_sort_onesweep_config_selectorIyNS0_10empty_typeEEEZZNS1_29radix_sort_onesweep_iterationIS3_Lb0EN6thrust23THRUST_200600_302600_NS6detail15normal_iteratorINS9_10device_ptrIyEEEESE_PS5_SF_jNS0_19identity_decomposerENS1_16block_id_wrapperIjLb1EEEEE10hipError_tT1_PNSt15iterator_traitsISK_E10value_typeET2_T3_PNSL_ISQ_E10value_typeET4_T5_PSV_SW_PNS1_23onesweep_lookback_stateEbbT6_jjT7_P12ihipStream_tbENKUlT_T0_SK_SP_E_clIPySE_SF_SF_EEDaS13_S14_SK_SP_EUlS13_E_NS1_11comp_targetILNS1_3genE4ELNS1_11target_archE910ELNS1_3gpuE8ELNS1_3repE0EEENS1_47radix_sort_onesweep_sort_config_static_selectorELNS0_4arch9wavefront6targetE1EEEvSK_,@function
_ZN7rocprim17ROCPRIM_400000_NS6detail17trampoline_kernelINS0_14default_configENS1_35radix_sort_onesweep_config_selectorIyNS0_10empty_typeEEEZZNS1_29radix_sort_onesweep_iterationIS3_Lb0EN6thrust23THRUST_200600_302600_NS6detail15normal_iteratorINS9_10device_ptrIyEEEESE_PS5_SF_jNS0_19identity_decomposerENS1_16block_id_wrapperIjLb1EEEEE10hipError_tT1_PNSt15iterator_traitsISK_E10value_typeET2_T3_PNSL_ISQ_E10value_typeET4_T5_PSV_SW_PNS1_23onesweep_lookback_stateEbbT6_jjT7_P12ihipStream_tbENKUlT_T0_SK_SP_E_clIPySE_SF_SF_EEDaS13_S14_SK_SP_EUlS13_E_NS1_11comp_targetILNS1_3genE4ELNS1_11target_archE910ELNS1_3gpuE8ELNS1_3repE0EEENS1_47radix_sort_onesweep_sort_config_static_selectorELNS0_4arch9wavefront6targetE1EEEvSK_: ; @_ZN7rocprim17ROCPRIM_400000_NS6detail17trampoline_kernelINS0_14default_configENS1_35radix_sort_onesweep_config_selectorIyNS0_10empty_typeEEEZZNS1_29radix_sort_onesweep_iterationIS3_Lb0EN6thrust23THRUST_200600_302600_NS6detail15normal_iteratorINS9_10device_ptrIyEEEESE_PS5_SF_jNS0_19identity_decomposerENS1_16block_id_wrapperIjLb1EEEEE10hipError_tT1_PNSt15iterator_traitsISK_E10value_typeET2_T3_PNSL_ISQ_E10value_typeET4_T5_PSV_SW_PNS1_23onesweep_lookback_stateEbbT6_jjT7_P12ihipStream_tbENKUlT_T0_SK_SP_E_clIPySE_SF_SF_EEDaS13_S14_SK_SP_EUlS13_E_NS1_11comp_targetILNS1_3genE4ELNS1_11target_archE910ELNS1_3gpuE8ELNS1_3repE0EEENS1_47radix_sort_onesweep_sort_config_static_selectorELNS0_4arch9wavefront6targetE1EEEvSK_
; %bb.0:
	.section	.rodata,"a",@progbits
	.p2align	6, 0x0
	.amdhsa_kernel _ZN7rocprim17ROCPRIM_400000_NS6detail17trampoline_kernelINS0_14default_configENS1_35radix_sort_onesweep_config_selectorIyNS0_10empty_typeEEEZZNS1_29radix_sort_onesweep_iterationIS3_Lb0EN6thrust23THRUST_200600_302600_NS6detail15normal_iteratorINS9_10device_ptrIyEEEESE_PS5_SF_jNS0_19identity_decomposerENS1_16block_id_wrapperIjLb1EEEEE10hipError_tT1_PNSt15iterator_traitsISK_E10value_typeET2_T3_PNSL_ISQ_E10value_typeET4_T5_PSV_SW_PNS1_23onesweep_lookback_stateEbbT6_jjT7_P12ihipStream_tbENKUlT_T0_SK_SP_E_clIPySE_SF_SF_EEDaS13_S14_SK_SP_EUlS13_E_NS1_11comp_targetILNS1_3genE4ELNS1_11target_archE910ELNS1_3gpuE8ELNS1_3repE0EEENS1_47radix_sort_onesweep_sort_config_static_selectorELNS0_4arch9wavefront6targetE1EEEvSK_
		.amdhsa_group_segment_fixed_size 0
		.amdhsa_private_segment_fixed_size 0
		.amdhsa_kernarg_size 88
		.amdhsa_user_sgpr_count 2
		.amdhsa_user_sgpr_dispatch_ptr 0
		.amdhsa_user_sgpr_queue_ptr 0
		.amdhsa_user_sgpr_kernarg_segment_ptr 1
		.amdhsa_user_sgpr_dispatch_id 0
		.amdhsa_user_sgpr_kernarg_preload_length 0
		.amdhsa_user_sgpr_kernarg_preload_offset 0
		.amdhsa_user_sgpr_private_segment_size 0
		.amdhsa_uses_dynamic_stack 0
		.amdhsa_enable_private_segment 0
		.amdhsa_system_sgpr_workgroup_id_x 1
		.amdhsa_system_sgpr_workgroup_id_y 0
		.amdhsa_system_sgpr_workgroup_id_z 0
		.amdhsa_system_sgpr_workgroup_info 0
		.amdhsa_system_vgpr_workitem_id 0
		.amdhsa_next_free_vgpr 1
		.amdhsa_next_free_sgpr 0
		.amdhsa_accum_offset 4
		.amdhsa_reserve_vcc 0
		.amdhsa_float_round_mode_32 0
		.amdhsa_float_round_mode_16_64 0
		.amdhsa_float_denorm_mode_32 3
		.amdhsa_float_denorm_mode_16_64 3
		.amdhsa_dx10_clamp 1
		.amdhsa_ieee_mode 1
		.amdhsa_fp16_overflow 0
		.amdhsa_tg_split 0
		.amdhsa_exception_fp_ieee_invalid_op 0
		.amdhsa_exception_fp_denorm_src 0
		.amdhsa_exception_fp_ieee_div_zero 0
		.amdhsa_exception_fp_ieee_overflow 0
		.amdhsa_exception_fp_ieee_underflow 0
		.amdhsa_exception_fp_ieee_inexact 0
		.amdhsa_exception_int_div_zero 0
	.end_amdhsa_kernel
	.section	.text._ZN7rocprim17ROCPRIM_400000_NS6detail17trampoline_kernelINS0_14default_configENS1_35radix_sort_onesweep_config_selectorIyNS0_10empty_typeEEEZZNS1_29radix_sort_onesweep_iterationIS3_Lb0EN6thrust23THRUST_200600_302600_NS6detail15normal_iteratorINS9_10device_ptrIyEEEESE_PS5_SF_jNS0_19identity_decomposerENS1_16block_id_wrapperIjLb1EEEEE10hipError_tT1_PNSt15iterator_traitsISK_E10value_typeET2_T3_PNSL_ISQ_E10value_typeET4_T5_PSV_SW_PNS1_23onesweep_lookback_stateEbbT6_jjT7_P12ihipStream_tbENKUlT_T0_SK_SP_E_clIPySE_SF_SF_EEDaS13_S14_SK_SP_EUlS13_E_NS1_11comp_targetILNS1_3genE4ELNS1_11target_archE910ELNS1_3gpuE8ELNS1_3repE0EEENS1_47radix_sort_onesweep_sort_config_static_selectorELNS0_4arch9wavefront6targetE1EEEvSK_,"axG",@progbits,_ZN7rocprim17ROCPRIM_400000_NS6detail17trampoline_kernelINS0_14default_configENS1_35radix_sort_onesweep_config_selectorIyNS0_10empty_typeEEEZZNS1_29radix_sort_onesweep_iterationIS3_Lb0EN6thrust23THRUST_200600_302600_NS6detail15normal_iteratorINS9_10device_ptrIyEEEESE_PS5_SF_jNS0_19identity_decomposerENS1_16block_id_wrapperIjLb1EEEEE10hipError_tT1_PNSt15iterator_traitsISK_E10value_typeET2_T3_PNSL_ISQ_E10value_typeET4_T5_PSV_SW_PNS1_23onesweep_lookback_stateEbbT6_jjT7_P12ihipStream_tbENKUlT_T0_SK_SP_E_clIPySE_SF_SF_EEDaS13_S14_SK_SP_EUlS13_E_NS1_11comp_targetILNS1_3genE4ELNS1_11target_archE910ELNS1_3gpuE8ELNS1_3repE0EEENS1_47radix_sort_onesweep_sort_config_static_selectorELNS0_4arch9wavefront6targetE1EEEvSK_,comdat
.Lfunc_end886:
	.size	_ZN7rocprim17ROCPRIM_400000_NS6detail17trampoline_kernelINS0_14default_configENS1_35radix_sort_onesweep_config_selectorIyNS0_10empty_typeEEEZZNS1_29radix_sort_onesweep_iterationIS3_Lb0EN6thrust23THRUST_200600_302600_NS6detail15normal_iteratorINS9_10device_ptrIyEEEESE_PS5_SF_jNS0_19identity_decomposerENS1_16block_id_wrapperIjLb1EEEEE10hipError_tT1_PNSt15iterator_traitsISK_E10value_typeET2_T3_PNSL_ISQ_E10value_typeET4_T5_PSV_SW_PNS1_23onesweep_lookback_stateEbbT6_jjT7_P12ihipStream_tbENKUlT_T0_SK_SP_E_clIPySE_SF_SF_EEDaS13_S14_SK_SP_EUlS13_E_NS1_11comp_targetILNS1_3genE4ELNS1_11target_archE910ELNS1_3gpuE8ELNS1_3repE0EEENS1_47radix_sort_onesweep_sort_config_static_selectorELNS0_4arch9wavefront6targetE1EEEvSK_, .Lfunc_end886-_ZN7rocprim17ROCPRIM_400000_NS6detail17trampoline_kernelINS0_14default_configENS1_35radix_sort_onesweep_config_selectorIyNS0_10empty_typeEEEZZNS1_29radix_sort_onesweep_iterationIS3_Lb0EN6thrust23THRUST_200600_302600_NS6detail15normal_iteratorINS9_10device_ptrIyEEEESE_PS5_SF_jNS0_19identity_decomposerENS1_16block_id_wrapperIjLb1EEEEE10hipError_tT1_PNSt15iterator_traitsISK_E10value_typeET2_T3_PNSL_ISQ_E10value_typeET4_T5_PSV_SW_PNS1_23onesweep_lookback_stateEbbT6_jjT7_P12ihipStream_tbENKUlT_T0_SK_SP_E_clIPySE_SF_SF_EEDaS13_S14_SK_SP_EUlS13_E_NS1_11comp_targetILNS1_3genE4ELNS1_11target_archE910ELNS1_3gpuE8ELNS1_3repE0EEENS1_47radix_sort_onesweep_sort_config_static_selectorELNS0_4arch9wavefront6targetE1EEEvSK_
                                        ; -- End function
	.section	.AMDGPU.csdata,"",@progbits
; Kernel info:
; codeLenInByte = 0
; NumSgprs: 6
; NumVgprs: 0
; NumAgprs: 0
; TotalNumVgprs: 0
; ScratchSize: 0
; MemoryBound: 0
; FloatMode: 240
; IeeeMode: 1
; LDSByteSize: 0 bytes/workgroup (compile time only)
; SGPRBlocks: 0
; VGPRBlocks: 0
; NumSGPRsForWavesPerEU: 6
; NumVGPRsForWavesPerEU: 1
; AccumOffset: 4
; Occupancy: 8
; WaveLimiterHint : 0
; COMPUTE_PGM_RSRC2:SCRATCH_EN: 0
; COMPUTE_PGM_RSRC2:USER_SGPR: 2
; COMPUTE_PGM_RSRC2:TRAP_HANDLER: 0
; COMPUTE_PGM_RSRC2:TGID_X_EN: 1
; COMPUTE_PGM_RSRC2:TGID_Y_EN: 0
; COMPUTE_PGM_RSRC2:TGID_Z_EN: 0
; COMPUTE_PGM_RSRC2:TIDIG_COMP_CNT: 0
; COMPUTE_PGM_RSRC3_GFX90A:ACCUM_OFFSET: 0
; COMPUTE_PGM_RSRC3_GFX90A:TG_SPLIT: 0
	.section	.text._ZN7rocprim17ROCPRIM_400000_NS6detail17trampoline_kernelINS0_14default_configENS1_35radix_sort_onesweep_config_selectorIyNS0_10empty_typeEEEZZNS1_29radix_sort_onesweep_iterationIS3_Lb0EN6thrust23THRUST_200600_302600_NS6detail15normal_iteratorINS9_10device_ptrIyEEEESE_PS5_SF_jNS0_19identity_decomposerENS1_16block_id_wrapperIjLb1EEEEE10hipError_tT1_PNSt15iterator_traitsISK_E10value_typeET2_T3_PNSL_ISQ_E10value_typeET4_T5_PSV_SW_PNS1_23onesweep_lookback_stateEbbT6_jjT7_P12ihipStream_tbENKUlT_T0_SK_SP_E_clIPySE_SF_SF_EEDaS13_S14_SK_SP_EUlS13_E_NS1_11comp_targetILNS1_3genE3ELNS1_11target_archE908ELNS1_3gpuE7ELNS1_3repE0EEENS1_47radix_sort_onesweep_sort_config_static_selectorELNS0_4arch9wavefront6targetE1EEEvSK_,"axG",@progbits,_ZN7rocprim17ROCPRIM_400000_NS6detail17trampoline_kernelINS0_14default_configENS1_35radix_sort_onesweep_config_selectorIyNS0_10empty_typeEEEZZNS1_29radix_sort_onesweep_iterationIS3_Lb0EN6thrust23THRUST_200600_302600_NS6detail15normal_iteratorINS9_10device_ptrIyEEEESE_PS5_SF_jNS0_19identity_decomposerENS1_16block_id_wrapperIjLb1EEEEE10hipError_tT1_PNSt15iterator_traitsISK_E10value_typeET2_T3_PNSL_ISQ_E10value_typeET4_T5_PSV_SW_PNS1_23onesweep_lookback_stateEbbT6_jjT7_P12ihipStream_tbENKUlT_T0_SK_SP_E_clIPySE_SF_SF_EEDaS13_S14_SK_SP_EUlS13_E_NS1_11comp_targetILNS1_3genE3ELNS1_11target_archE908ELNS1_3gpuE7ELNS1_3repE0EEENS1_47radix_sort_onesweep_sort_config_static_selectorELNS0_4arch9wavefront6targetE1EEEvSK_,comdat
	.protected	_ZN7rocprim17ROCPRIM_400000_NS6detail17trampoline_kernelINS0_14default_configENS1_35radix_sort_onesweep_config_selectorIyNS0_10empty_typeEEEZZNS1_29radix_sort_onesweep_iterationIS3_Lb0EN6thrust23THRUST_200600_302600_NS6detail15normal_iteratorINS9_10device_ptrIyEEEESE_PS5_SF_jNS0_19identity_decomposerENS1_16block_id_wrapperIjLb1EEEEE10hipError_tT1_PNSt15iterator_traitsISK_E10value_typeET2_T3_PNSL_ISQ_E10value_typeET4_T5_PSV_SW_PNS1_23onesweep_lookback_stateEbbT6_jjT7_P12ihipStream_tbENKUlT_T0_SK_SP_E_clIPySE_SF_SF_EEDaS13_S14_SK_SP_EUlS13_E_NS1_11comp_targetILNS1_3genE3ELNS1_11target_archE908ELNS1_3gpuE7ELNS1_3repE0EEENS1_47radix_sort_onesweep_sort_config_static_selectorELNS0_4arch9wavefront6targetE1EEEvSK_ ; -- Begin function _ZN7rocprim17ROCPRIM_400000_NS6detail17trampoline_kernelINS0_14default_configENS1_35radix_sort_onesweep_config_selectorIyNS0_10empty_typeEEEZZNS1_29radix_sort_onesweep_iterationIS3_Lb0EN6thrust23THRUST_200600_302600_NS6detail15normal_iteratorINS9_10device_ptrIyEEEESE_PS5_SF_jNS0_19identity_decomposerENS1_16block_id_wrapperIjLb1EEEEE10hipError_tT1_PNSt15iterator_traitsISK_E10value_typeET2_T3_PNSL_ISQ_E10value_typeET4_T5_PSV_SW_PNS1_23onesweep_lookback_stateEbbT6_jjT7_P12ihipStream_tbENKUlT_T0_SK_SP_E_clIPySE_SF_SF_EEDaS13_S14_SK_SP_EUlS13_E_NS1_11comp_targetILNS1_3genE3ELNS1_11target_archE908ELNS1_3gpuE7ELNS1_3repE0EEENS1_47radix_sort_onesweep_sort_config_static_selectorELNS0_4arch9wavefront6targetE1EEEvSK_
	.globl	_ZN7rocprim17ROCPRIM_400000_NS6detail17trampoline_kernelINS0_14default_configENS1_35radix_sort_onesweep_config_selectorIyNS0_10empty_typeEEEZZNS1_29radix_sort_onesweep_iterationIS3_Lb0EN6thrust23THRUST_200600_302600_NS6detail15normal_iteratorINS9_10device_ptrIyEEEESE_PS5_SF_jNS0_19identity_decomposerENS1_16block_id_wrapperIjLb1EEEEE10hipError_tT1_PNSt15iterator_traitsISK_E10value_typeET2_T3_PNSL_ISQ_E10value_typeET4_T5_PSV_SW_PNS1_23onesweep_lookback_stateEbbT6_jjT7_P12ihipStream_tbENKUlT_T0_SK_SP_E_clIPySE_SF_SF_EEDaS13_S14_SK_SP_EUlS13_E_NS1_11comp_targetILNS1_3genE3ELNS1_11target_archE908ELNS1_3gpuE7ELNS1_3repE0EEENS1_47radix_sort_onesweep_sort_config_static_selectorELNS0_4arch9wavefront6targetE1EEEvSK_
	.p2align	8
	.type	_ZN7rocprim17ROCPRIM_400000_NS6detail17trampoline_kernelINS0_14default_configENS1_35radix_sort_onesweep_config_selectorIyNS0_10empty_typeEEEZZNS1_29radix_sort_onesweep_iterationIS3_Lb0EN6thrust23THRUST_200600_302600_NS6detail15normal_iteratorINS9_10device_ptrIyEEEESE_PS5_SF_jNS0_19identity_decomposerENS1_16block_id_wrapperIjLb1EEEEE10hipError_tT1_PNSt15iterator_traitsISK_E10value_typeET2_T3_PNSL_ISQ_E10value_typeET4_T5_PSV_SW_PNS1_23onesweep_lookback_stateEbbT6_jjT7_P12ihipStream_tbENKUlT_T0_SK_SP_E_clIPySE_SF_SF_EEDaS13_S14_SK_SP_EUlS13_E_NS1_11comp_targetILNS1_3genE3ELNS1_11target_archE908ELNS1_3gpuE7ELNS1_3repE0EEENS1_47radix_sort_onesweep_sort_config_static_selectorELNS0_4arch9wavefront6targetE1EEEvSK_,@function
_ZN7rocprim17ROCPRIM_400000_NS6detail17trampoline_kernelINS0_14default_configENS1_35radix_sort_onesweep_config_selectorIyNS0_10empty_typeEEEZZNS1_29radix_sort_onesweep_iterationIS3_Lb0EN6thrust23THRUST_200600_302600_NS6detail15normal_iteratorINS9_10device_ptrIyEEEESE_PS5_SF_jNS0_19identity_decomposerENS1_16block_id_wrapperIjLb1EEEEE10hipError_tT1_PNSt15iterator_traitsISK_E10value_typeET2_T3_PNSL_ISQ_E10value_typeET4_T5_PSV_SW_PNS1_23onesweep_lookback_stateEbbT6_jjT7_P12ihipStream_tbENKUlT_T0_SK_SP_E_clIPySE_SF_SF_EEDaS13_S14_SK_SP_EUlS13_E_NS1_11comp_targetILNS1_3genE3ELNS1_11target_archE908ELNS1_3gpuE7ELNS1_3repE0EEENS1_47radix_sort_onesweep_sort_config_static_selectorELNS0_4arch9wavefront6targetE1EEEvSK_: ; @_ZN7rocprim17ROCPRIM_400000_NS6detail17trampoline_kernelINS0_14default_configENS1_35radix_sort_onesweep_config_selectorIyNS0_10empty_typeEEEZZNS1_29radix_sort_onesweep_iterationIS3_Lb0EN6thrust23THRUST_200600_302600_NS6detail15normal_iteratorINS9_10device_ptrIyEEEESE_PS5_SF_jNS0_19identity_decomposerENS1_16block_id_wrapperIjLb1EEEEE10hipError_tT1_PNSt15iterator_traitsISK_E10value_typeET2_T3_PNSL_ISQ_E10value_typeET4_T5_PSV_SW_PNS1_23onesweep_lookback_stateEbbT6_jjT7_P12ihipStream_tbENKUlT_T0_SK_SP_E_clIPySE_SF_SF_EEDaS13_S14_SK_SP_EUlS13_E_NS1_11comp_targetILNS1_3genE3ELNS1_11target_archE908ELNS1_3gpuE7ELNS1_3repE0EEENS1_47radix_sort_onesweep_sort_config_static_selectorELNS0_4arch9wavefront6targetE1EEEvSK_
; %bb.0:
	.section	.rodata,"a",@progbits
	.p2align	6, 0x0
	.amdhsa_kernel _ZN7rocprim17ROCPRIM_400000_NS6detail17trampoline_kernelINS0_14default_configENS1_35radix_sort_onesweep_config_selectorIyNS0_10empty_typeEEEZZNS1_29radix_sort_onesweep_iterationIS3_Lb0EN6thrust23THRUST_200600_302600_NS6detail15normal_iteratorINS9_10device_ptrIyEEEESE_PS5_SF_jNS0_19identity_decomposerENS1_16block_id_wrapperIjLb1EEEEE10hipError_tT1_PNSt15iterator_traitsISK_E10value_typeET2_T3_PNSL_ISQ_E10value_typeET4_T5_PSV_SW_PNS1_23onesweep_lookback_stateEbbT6_jjT7_P12ihipStream_tbENKUlT_T0_SK_SP_E_clIPySE_SF_SF_EEDaS13_S14_SK_SP_EUlS13_E_NS1_11comp_targetILNS1_3genE3ELNS1_11target_archE908ELNS1_3gpuE7ELNS1_3repE0EEENS1_47radix_sort_onesweep_sort_config_static_selectorELNS0_4arch9wavefront6targetE1EEEvSK_
		.amdhsa_group_segment_fixed_size 0
		.amdhsa_private_segment_fixed_size 0
		.amdhsa_kernarg_size 88
		.amdhsa_user_sgpr_count 2
		.amdhsa_user_sgpr_dispatch_ptr 0
		.amdhsa_user_sgpr_queue_ptr 0
		.amdhsa_user_sgpr_kernarg_segment_ptr 1
		.amdhsa_user_sgpr_dispatch_id 0
		.amdhsa_user_sgpr_kernarg_preload_length 0
		.amdhsa_user_sgpr_kernarg_preload_offset 0
		.amdhsa_user_sgpr_private_segment_size 0
		.amdhsa_uses_dynamic_stack 0
		.amdhsa_enable_private_segment 0
		.amdhsa_system_sgpr_workgroup_id_x 1
		.amdhsa_system_sgpr_workgroup_id_y 0
		.amdhsa_system_sgpr_workgroup_id_z 0
		.amdhsa_system_sgpr_workgroup_info 0
		.amdhsa_system_vgpr_workitem_id 0
		.amdhsa_next_free_vgpr 1
		.amdhsa_next_free_sgpr 0
		.amdhsa_accum_offset 4
		.amdhsa_reserve_vcc 0
		.amdhsa_float_round_mode_32 0
		.amdhsa_float_round_mode_16_64 0
		.amdhsa_float_denorm_mode_32 3
		.amdhsa_float_denorm_mode_16_64 3
		.amdhsa_dx10_clamp 1
		.amdhsa_ieee_mode 1
		.amdhsa_fp16_overflow 0
		.amdhsa_tg_split 0
		.amdhsa_exception_fp_ieee_invalid_op 0
		.amdhsa_exception_fp_denorm_src 0
		.amdhsa_exception_fp_ieee_div_zero 0
		.amdhsa_exception_fp_ieee_overflow 0
		.amdhsa_exception_fp_ieee_underflow 0
		.amdhsa_exception_fp_ieee_inexact 0
		.amdhsa_exception_int_div_zero 0
	.end_amdhsa_kernel
	.section	.text._ZN7rocprim17ROCPRIM_400000_NS6detail17trampoline_kernelINS0_14default_configENS1_35radix_sort_onesweep_config_selectorIyNS0_10empty_typeEEEZZNS1_29radix_sort_onesweep_iterationIS3_Lb0EN6thrust23THRUST_200600_302600_NS6detail15normal_iteratorINS9_10device_ptrIyEEEESE_PS5_SF_jNS0_19identity_decomposerENS1_16block_id_wrapperIjLb1EEEEE10hipError_tT1_PNSt15iterator_traitsISK_E10value_typeET2_T3_PNSL_ISQ_E10value_typeET4_T5_PSV_SW_PNS1_23onesweep_lookback_stateEbbT6_jjT7_P12ihipStream_tbENKUlT_T0_SK_SP_E_clIPySE_SF_SF_EEDaS13_S14_SK_SP_EUlS13_E_NS1_11comp_targetILNS1_3genE3ELNS1_11target_archE908ELNS1_3gpuE7ELNS1_3repE0EEENS1_47radix_sort_onesweep_sort_config_static_selectorELNS0_4arch9wavefront6targetE1EEEvSK_,"axG",@progbits,_ZN7rocprim17ROCPRIM_400000_NS6detail17trampoline_kernelINS0_14default_configENS1_35radix_sort_onesweep_config_selectorIyNS0_10empty_typeEEEZZNS1_29radix_sort_onesweep_iterationIS3_Lb0EN6thrust23THRUST_200600_302600_NS6detail15normal_iteratorINS9_10device_ptrIyEEEESE_PS5_SF_jNS0_19identity_decomposerENS1_16block_id_wrapperIjLb1EEEEE10hipError_tT1_PNSt15iterator_traitsISK_E10value_typeET2_T3_PNSL_ISQ_E10value_typeET4_T5_PSV_SW_PNS1_23onesweep_lookback_stateEbbT6_jjT7_P12ihipStream_tbENKUlT_T0_SK_SP_E_clIPySE_SF_SF_EEDaS13_S14_SK_SP_EUlS13_E_NS1_11comp_targetILNS1_3genE3ELNS1_11target_archE908ELNS1_3gpuE7ELNS1_3repE0EEENS1_47radix_sort_onesweep_sort_config_static_selectorELNS0_4arch9wavefront6targetE1EEEvSK_,comdat
.Lfunc_end887:
	.size	_ZN7rocprim17ROCPRIM_400000_NS6detail17trampoline_kernelINS0_14default_configENS1_35radix_sort_onesweep_config_selectorIyNS0_10empty_typeEEEZZNS1_29radix_sort_onesweep_iterationIS3_Lb0EN6thrust23THRUST_200600_302600_NS6detail15normal_iteratorINS9_10device_ptrIyEEEESE_PS5_SF_jNS0_19identity_decomposerENS1_16block_id_wrapperIjLb1EEEEE10hipError_tT1_PNSt15iterator_traitsISK_E10value_typeET2_T3_PNSL_ISQ_E10value_typeET4_T5_PSV_SW_PNS1_23onesweep_lookback_stateEbbT6_jjT7_P12ihipStream_tbENKUlT_T0_SK_SP_E_clIPySE_SF_SF_EEDaS13_S14_SK_SP_EUlS13_E_NS1_11comp_targetILNS1_3genE3ELNS1_11target_archE908ELNS1_3gpuE7ELNS1_3repE0EEENS1_47radix_sort_onesweep_sort_config_static_selectorELNS0_4arch9wavefront6targetE1EEEvSK_, .Lfunc_end887-_ZN7rocprim17ROCPRIM_400000_NS6detail17trampoline_kernelINS0_14default_configENS1_35radix_sort_onesweep_config_selectorIyNS0_10empty_typeEEEZZNS1_29radix_sort_onesweep_iterationIS3_Lb0EN6thrust23THRUST_200600_302600_NS6detail15normal_iteratorINS9_10device_ptrIyEEEESE_PS5_SF_jNS0_19identity_decomposerENS1_16block_id_wrapperIjLb1EEEEE10hipError_tT1_PNSt15iterator_traitsISK_E10value_typeET2_T3_PNSL_ISQ_E10value_typeET4_T5_PSV_SW_PNS1_23onesweep_lookback_stateEbbT6_jjT7_P12ihipStream_tbENKUlT_T0_SK_SP_E_clIPySE_SF_SF_EEDaS13_S14_SK_SP_EUlS13_E_NS1_11comp_targetILNS1_3genE3ELNS1_11target_archE908ELNS1_3gpuE7ELNS1_3repE0EEENS1_47radix_sort_onesweep_sort_config_static_selectorELNS0_4arch9wavefront6targetE1EEEvSK_
                                        ; -- End function
	.section	.AMDGPU.csdata,"",@progbits
; Kernel info:
; codeLenInByte = 0
; NumSgprs: 6
; NumVgprs: 0
; NumAgprs: 0
; TotalNumVgprs: 0
; ScratchSize: 0
; MemoryBound: 0
; FloatMode: 240
; IeeeMode: 1
; LDSByteSize: 0 bytes/workgroup (compile time only)
; SGPRBlocks: 0
; VGPRBlocks: 0
; NumSGPRsForWavesPerEU: 6
; NumVGPRsForWavesPerEU: 1
; AccumOffset: 4
; Occupancy: 8
; WaveLimiterHint : 0
; COMPUTE_PGM_RSRC2:SCRATCH_EN: 0
; COMPUTE_PGM_RSRC2:USER_SGPR: 2
; COMPUTE_PGM_RSRC2:TRAP_HANDLER: 0
; COMPUTE_PGM_RSRC2:TGID_X_EN: 1
; COMPUTE_PGM_RSRC2:TGID_Y_EN: 0
; COMPUTE_PGM_RSRC2:TGID_Z_EN: 0
; COMPUTE_PGM_RSRC2:TIDIG_COMP_CNT: 0
; COMPUTE_PGM_RSRC3_GFX90A:ACCUM_OFFSET: 0
; COMPUTE_PGM_RSRC3_GFX90A:TG_SPLIT: 0
	.section	.text._ZN7rocprim17ROCPRIM_400000_NS6detail17trampoline_kernelINS0_14default_configENS1_35radix_sort_onesweep_config_selectorIyNS0_10empty_typeEEEZZNS1_29radix_sort_onesweep_iterationIS3_Lb0EN6thrust23THRUST_200600_302600_NS6detail15normal_iteratorINS9_10device_ptrIyEEEESE_PS5_SF_jNS0_19identity_decomposerENS1_16block_id_wrapperIjLb1EEEEE10hipError_tT1_PNSt15iterator_traitsISK_E10value_typeET2_T3_PNSL_ISQ_E10value_typeET4_T5_PSV_SW_PNS1_23onesweep_lookback_stateEbbT6_jjT7_P12ihipStream_tbENKUlT_T0_SK_SP_E_clIPySE_SF_SF_EEDaS13_S14_SK_SP_EUlS13_E_NS1_11comp_targetILNS1_3genE10ELNS1_11target_archE1201ELNS1_3gpuE5ELNS1_3repE0EEENS1_47radix_sort_onesweep_sort_config_static_selectorELNS0_4arch9wavefront6targetE1EEEvSK_,"axG",@progbits,_ZN7rocprim17ROCPRIM_400000_NS6detail17trampoline_kernelINS0_14default_configENS1_35radix_sort_onesweep_config_selectorIyNS0_10empty_typeEEEZZNS1_29radix_sort_onesweep_iterationIS3_Lb0EN6thrust23THRUST_200600_302600_NS6detail15normal_iteratorINS9_10device_ptrIyEEEESE_PS5_SF_jNS0_19identity_decomposerENS1_16block_id_wrapperIjLb1EEEEE10hipError_tT1_PNSt15iterator_traitsISK_E10value_typeET2_T3_PNSL_ISQ_E10value_typeET4_T5_PSV_SW_PNS1_23onesweep_lookback_stateEbbT6_jjT7_P12ihipStream_tbENKUlT_T0_SK_SP_E_clIPySE_SF_SF_EEDaS13_S14_SK_SP_EUlS13_E_NS1_11comp_targetILNS1_3genE10ELNS1_11target_archE1201ELNS1_3gpuE5ELNS1_3repE0EEENS1_47radix_sort_onesweep_sort_config_static_selectorELNS0_4arch9wavefront6targetE1EEEvSK_,comdat
	.protected	_ZN7rocprim17ROCPRIM_400000_NS6detail17trampoline_kernelINS0_14default_configENS1_35radix_sort_onesweep_config_selectorIyNS0_10empty_typeEEEZZNS1_29radix_sort_onesweep_iterationIS3_Lb0EN6thrust23THRUST_200600_302600_NS6detail15normal_iteratorINS9_10device_ptrIyEEEESE_PS5_SF_jNS0_19identity_decomposerENS1_16block_id_wrapperIjLb1EEEEE10hipError_tT1_PNSt15iterator_traitsISK_E10value_typeET2_T3_PNSL_ISQ_E10value_typeET4_T5_PSV_SW_PNS1_23onesweep_lookback_stateEbbT6_jjT7_P12ihipStream_tbENKUlT_T0_SK_SP_E_clIPySE_SF_SF_EEDaS13_S14_SK_SP_EUlS13_E_NS1_11comp_targetILNS1_3genE10ELNS1_11target_archE1201ELNS1_3gpuE5ELNS1_3repE0EEENS1_47radix_sort_onesweep_sort_config_static_selectorELNS0_4arch9wavefront6targetE1EEEvSK_ ; -- Begin function _ZN7rocprim17ROCPRIM_400000_NS6detail17trampoline_kernelINS0_14default_configENS1_35radix_sort_onesweep_config_selectorIyNS0_10empty_typeEEEZZNS1_29radix_sort_onesweep_iterationIS3_Lb0EN6thrust23THRUST_200600_302600_NS6detail15normal_iteratorINS9_10device_ptrIyEEEESE_PS5_SF_jNS0_19identity_decomposerENS1_16block_id_wrapperIjLb1EEEEE10hipError_tT1_PNSt15iterator_traitsISK_E10value_typeET2_T3_PNSL_ISQ_E10value_typeET4_T5_PSV_SW_PNS1_23onesweep_lookback_stateEbbT6_jjT7_P12ihipStream_tbENKUlT_T0_SK_SP_E_clIPySE_SF_SF_EEDaS13_S14_SK_SP_EUlS13_E_NS1_11comp_targetILNS1_3genE10ELNS1_11target_archE1201ELNS1_3gpuE5ELNS1_3repE0EEENS1_47radix_sort_onesweep_sort_config_static_selectorELNS0_4arch9wavefront6targetE1EEEvSK_
	.globl	_ZN7rocprim17ROCPRIM_400000_NS6detail17trampoline_kernelINS0_14default_configENS1_35radix_sort_onesweep_config_selectorIyNS0_10empty_typeEEEZZNS1_29radix_sort_onesweep_iterationIS3_Lb0EN6thrust23THRUST_200600_302600_NS6detail15normal_iteratorINS9_10device_ptrIyEEEESE_PS5_SF_jNS0_19identity_decomposerENS1_16block_id_wrapperIjLb1EEEEE10hipError_tT1_PNSt15iterator_traitsISK_E10value_typeET2_T3_PNSL_ISQ_E10value_typeET4_T5_PSV_SW_PNS1_23onesweep_lookback_stateEbbT6_jjT7_P12ihipStream_tbENKUlT_T0_SK_SP_E_clIPySE_SF_SF_EEDaS13_S14_SK_SP_EUlS13_E_NS1_11comp_targetILNS1_3genE10ELNS1_11target_archE1201ELNS1_3gpuE5ELNS1_3repE0EEENS1_47radix_sort_onesweep_sort_config_static_selectorELNS0_4arch9wavefront6targetE1EEEvSK_
	.p2align	8
	.type	_ZN7rocprim17ROCPRIM_400000_NS6detail17trampoline_kernelINS0_14default_configENS1_35radix_sort_onesweep_config_selectorIyNS0_10empty_typeEEEZZNS1_29radix_sort_onesweep_iterationIS3_Lb0EN6thrust23THRUST_200600_302600_NS6detail15normal_iteratorINS9_10device_ptrIyEEEESE_PS5_SF_jNS0_19identity_decomposerENS1_16block_id_wrapperIjLb1EEEEE10hipError_tT1_PNSt15iterator_traitsISK_E10value_typeET2_T3_PNSL_ISQ_E10value_typeET4_T5_PSV_SW_PNS1_23onesweep_lookback_stateEbbT6_jjT7_P12ihipStream_tbENKUlT_T0_SK_SP_E_clIPySE_SF_SF_EEDaS13_S14_SK_SP_EUlS13_E_NS1_11comp_targetILNS1_3genE10ELNS1_11target_archE1201ELNS1_3gpuE5ELNS1_3repE0EEENS1_47radix_sort_onesweep_sort_config_static_selectorELNS0_4arch9wavefront6targetE1EEEvSK_,@function
_ZN7rocprim17ROCPRIM_400000_NS6detail17trampoline_kernelINS0_14default_configENS1_35radix_sort_onesweep_config_selectorIyNS0_10empty_typeEEEZZNS1_29radix_sort_onesweep_iterationIS3_Lb0EN6thrust23THRUST_200600_302600_NS6detail15normal_iteratorINS9_10device_ptrIyEEEESE_PS5_SF_jNS0_19identity_decomposerENS1_16block_id_wrapperIjLb1EEEEE10hipError_tT1_PNSt15iterator_traitsISK_E10value_typeET2_T3_PNSL_ISQ_E10value_typeET4_T5_PSV_SW_PNS1_23onesweep_lookback_stateEbbT6_jjT7_P12ihipStream_tbENKUlT_T0_SK_SP_E_clIPySE_SF_SF_EEDaS13_S14_SK_SP_EUlS13_E_NS1_11comp_targetILNS1_3genE10ELNS1_11target_archE1201ELNS1_3gpuE5ELNS1_3repE0EEENS1_47radix_sort_onesweep_sort_config_static_selectorELNS0_4arch9wavefront6targetE1EEEvSK_: ; @_ZN7rocprim17ROCPRIM_400000_NS6detail17trampoline_kernelINS0_14default_configENS1_35radix_sort_onesweep_config_selectorIyNS0_10empty_typeEEEZZNS1_29radix_sort_onesweep_iterationIS3_Lb0EN6thrust23THRUST_200600_302600_NS6detail15normal_iteratorINS9_10device_ptrIyEEEESE_PS5_SF_jNS0_19identity_decomposerENS1_16block_id_wrapperIjLb1EEEEE10hipError_tT1_PNSt15iterator_traitsISK_E10value_typeET2_T3_PNSL_ISQ_E10value_typeET4_T5_PSV_SW_PNS1_23onesweep_lookback_stateEbbT6_jjT7_P12ihipStream_tbENKUlT_T0_SK_SP_E_clIPySE_SF_SF_EEDaS13_S14_SK_SP_EUlS13_E_NS1_11comp_targetILNS1_3genE10ELNS1_11target_archE1201ELNS1_3gpuE5ELNS1_3repE0EEENS1_47radix_sort_onesweep_sort_config_static_selectorELNS0_4arch9wavefront6targetE1EEEvSK_
; %bb.0:
	.section	.rodata,"a",@progbits
	.p2align	6, 0x0
	.amdhsa_kernel _ZN7rocprim17ROCPRIM_400000_NS6detail17trampoline_kernelINS0_14default_configENS1_35radix_sort_onesweep_config_selectorIyNS0_10empty_typeEEEZZNS1_29radix_sort_onesweep_iterationIS3_Lb0EN6thrust23THRUST_200600_302600_NS6detail15normal_iteratorINS9_10device_ptrIyEEEESE_PS5_SF_jNS0_19identity_decomposerENS1_16block_id_wrapperIjLb1EEEEE10hipError_tT1_PNSt15iterator_traitsISK_E10value_typeET2_T3_PNSL_ISQ_E10value_typeET4_T5_PSV_SW_PNS1_23onesweep_lookback_stateEbbT6_jjT7_P12ihipStream_tbENKUlT_T0_SK_SP_E_clIPySE_SF_SF_EEDaS13_S14_SK_SP_EUlS13_E_NS1_11comp_targetILNS1_3genE10ELNS1_11target_archE1201ELNS1_3gpuE5ELNS1_3repE0EEENS1_47radix_sort_onesweep_sort_config_static_selectorELNS0_4arch9wavefront6targetE1EEEvSK_
		.amdhsa_group_segment_fixed_size 0
		.amdhsa_private_segment_fixed_size 0
		.amdhsa_kernarg_size 88
		.amdhsa_user_sgpr_count 2
		.amdhsa_user_sgpr_dispatch_ptr 0
		.amdhsa_user_sgpr_queue_ptr 0
		.amdhsa_user_sgpr_kernarg_segment_ptr 1
		.amdhsa_user_sgpr_dispatch_id 0
		.amdhsa_user_sgpr_kernarg_preload_length 0
		.amdhsa_user_sgpr_kernarg_preload_offset 0
		.amdhsa_user_sgpr_private_segment_size 0
		.amdhsa_uses_dynamic_stack 0
		.amdhsa_enable_private_segment 0
		.amdhsa_system_sgpr_workgroup_id_x 1
		.amdhsa_system_sgpr_workgroup_id_y 0
		.amdhsa_system_sgpr_workgroup_id_z 0
		.amdhsa_system_sgpr_workgroup_info 0
		.amdhsa_system_vgpr_workitem_id 0
		.amdhsa_next_free_vgpr 1
		.amdhsa_next_free_sgpr 0
		.amdhsa_accum_offset 4
		.amdhsa_reserve_vcc 0
		.amdhsa_float_round_mode_32 0
		.amdhsa_float_round_mode_16_64 0
		.amdhsa_float_denorm_mode_32 3
		.amdhsa_float_denorm_mode_16_64 3
		.amdhsa_dx10_clamp 1
		.amdhsa_ieee_mode 1
		.amdhsa_fp16_overflow 0
		.amdhsa_tg_split 0
		.amdhsa_exception_fp_ieee_invalid_op 0
		.amdhsa_exception_fp_denorm_src 0
		.amdhsa_exception_fp_ieee_div_zero 0
		.amdhsa_exception_fp_ieee_overflow 0
		.amdhsa_exception_fp_ieee_underflow 0
		.amdhsa_exception_fp_ieee_inexact 0
		.amdhsa_exception_int_div_zero 0
	.end_amdhsa_kernel
	.section	.text._ZN7rocprim17ROCPRIM_400000_NS6detail17trampoline_kernelINS0_14default_configENS1_35radix_sort_onesweep_config_selectorIyNS0_10empty_typeEEEZZNS1_29radix_sort_onesweep_iterationIS3_Lb0EN6thrust23THRUST_200600_302600_NS6detail15normal_iteratorINS9_10device_ptrIyEEEESE_PS5_SF_jNS0_19identity_decomposerENS1_16block_id_wrapperIjLb1EEEEE10hipError_tT1_PNSt15iterator_traitsISK_E10value_typeET2_T3_PNSL_ISQ_E10value_typeET4_T5_PSV_SW_PNS1_23onesweep_lookback_stateEbbT6_jjT7_P12ihipStream_tbENKUlT_T0_SK_SP_E_clIPySE_SF_SF_EEDaS13_S14_SK_SP_EUlS13_E_NS1_11comp_targetILNS1_3genE10ELNS1_11target_archE1201ELNS1_3gpuE5ELNS1_3repE0EEENS1_47radix_sort_onesweep_sort_config_static_selectorELNS0_4arch9wavefront6targetE1EEEvSK_,"axG",@progbits,_ZN7rocprim17ROCPRIM_400000_NS6detail17trampoline_kernelINS0_14default_configENS1_35radix_sort_onesweep_config_selectorIyNS0_10empty_typeEEEZZNS1_29radix_sort_onesweep_iterationIS3_Lb0EN6thrust23THRUST_200600_302600_NS6detail15normal_iteratorINS9_10device_ptrIyEEEESE_PS5_SF_jNS0_19identity_decomposerENS1_16block_id_wrapperIjLb1EEEEE10hipError_tT1_PNSt15iterator_traitsISK_E10value_typeET2_T3_PNSL_ISQ_E10value_typeET4_T5_PSV_SW_PNS1_23onesweep_lookback_stateEbbT6_jjT7_P12ihipStream_tbENKUlT_T0_SK_SP_E_clIPySE_SF_SF_EEDaS13_S14_SK_SP_EUlS13_E_NS1_11comp_targetILNS1_3genE10ELNS1_11target_archE1201ELNS1_3gpuE5ELNS1_3repE0EEENS1_47radix_sort_onesweep_sort_config_static_selectorELNS0_4arch9wavefront6targetE1EEEvSK_,comdat
.Lfunc_end888:
	.size	_ZN7rocprim17ROCPRIM_400000_NS6detail17trampoline_kernelINS0_14default_configENS1_35radix_sort_onesweep_config_selectorIyNS0_10empty_typeEEEZZNS1_29radix_sort_onesweep_iterationIS3_Lb0EN6thrust23THRUST_200600_302600_NS6detail15normal_iteratorINS9_10device_ptrIyEEEESE_PS5_SF_jNS0_19identity_decomposerENS1_16block_id_wrapperIjLb1EEEEE10hipError_tT1_PNSt15iterator_traitsISK_E10value_typeET2_T3_PNSL_ISQ_E10value_typeET4_T5_PSV_SW_PNS1_23onesweep_lookback_stateEbbT6_jjT7_P12ihipStream_tbENKUlT_T0_SK_SP_E_clIPySE_SF_SF_EEDaS13_S14_SK_SP_EUlS13_E_NS1_11comp_targetILNS1_3genE10ELNS1_11target_archE1201ELNS1_3gpuE5ELNS1_3repE0EEENS1_47radix_sort_onesweep_sort_config_static_selectorELNS0_4arch9wavefront6targetE1EEEvSK_, .Lfunc_end888-_ZN7rocprim17ROCPRIM_400000_NS6detail17trampoline_kernelINS0_14default_configENS1_35radix_sort_onesweep_config_selectorIyNS0_10empty_typeEEEZZNS1_29radix_sort_onesweep_iterationIS3_Lb0EN6thrust23THRUST_200600_302600_NS6detail15normal_iteratorINS9_10device_ptrIyEEEESE_PS5_SF_jNS0_19identity_decomposerENS1_16block_id_wrapperIjLb1EEEEE10hipError_tT1_PNSt15iterator_traitsISK_E10value_typeET2_T3_PNSL_ISQ_E10value_typeET4_T5_PSV_SW_PNS1_23onesweep_lookback_stateEbbT6_jjT7_P12ihipStream_tbENKUlT_T0_SK_SP_E_clIPySE_SF_SF_EEDaS13_S14_SK_SP_EUlS13_E_NS1_11comp_targetILNS1_3genE10ELNS1_11target_archE1201ELNS1_3gpuE5ELNS1_3repE0EEENS1_47radix_sort_onesweep_sort_config_static_selectorELNS0_4arch9wavefront6targetE1EEEvSK_
                                        ; -- End function
	.section	.AMDGPU.csdata,"",@progbits
; Kernel info:
; codeLenInByte = 0
; NumSgprs: 6
; NumVgprs: 0
; NumAgprs: 0
; TotalNumVgprs: 0
; ScratchSize: 0
; MemoryBound: 0
; FloatMode: 240
; IeeeMode: 1
; LDSByteSize: 0 bytes/workgroup (compile time only)
; SGPRBlocks: 0
; VGPRBlocks: 0
; NumSGPRsForWavesPerEU: 6
; NumVGPRsForWavesPerEU: 1
; AccumOffset: 4
; Occupancy: 8
; WaveLimiterHint : 0
; COMPUTE_PGM_RSRC2:SCRATCH_EN: 0
; COMPUTE_PGM_RSRC2:USER_SGPR: 2
; COMPUTE_PGM_RSRC2:TRAP_HANDLER: 0
; COMPUTE_PGM_RSRC2:TGID_X_EN: 1
; COMPUTE_PGM_RSRC2:TGID_Y_EN: 0
; COMPUTE_PGM_RSRC2:TGID_Z_EN: 0
; COMPUTE_PGM_RSRC2:TIDIG_COMP_CNT: 0
; COMPUTE_PGM_RSRC3_GFX90A:ACCUM_OFFSET: 0
; COMPUTE_PGM_RSRC3_GFX90A:TG_SPLIT: 0
	.section	.text._ZN7rocprim17ROCPRIM_400000_NS6detail17trampoline_kernelINS0_14default_configENS1_35radix_sort_onesweep_config_selectorIyNS0_10empty_typeEEEZZNS1_29radix_sort_onesweep_iterationIS3_Lb0EN6thrust23THRUST_200600_302600_NS6detail15normal_iteratorINS9_10device_ptrIyEEEESE_PS5_SF_jNS0_19identity_decomposerENS1_16block_id_wrapperIjLb1EEEEE10hipError_tT1_PNSt15iterator_traitsISK_E10value_typeET2_T3_PNSL_ISQ_E10value_typeET4_T5_PSV_SW_PNS1_23onesweep_lookback_stateEbbT6_jjT7_P12ihipStream_tbENKUlT_T0_SK_SP_E_clIPySE_SF_SF_EEDaS13_S14_SK_SP_EUlS13_E_NS1_11comp_targetILNS1_3genE9ELNS1_11target_archE1100ELNS1_3gpuE3ELNS1_3repE0EEENS1_47radix_sort_onesweep_sort_config_static_selectorELNS0_4arch9wavefront6targetE1EEEvSK_,"axG",@progbits,_ZN7rocprim17ROCPRIM_400000_NS6detail17trampoline_kernelINS0_14default_configENS1_35radix_sort_onesweep_config_selectorIyNS0_10empty_typeEEEZZNS1_29radix_sort_onesweep_iterationIS3_Lb0EN6thrust23THRUST_200600_302600_NS6detail15normal_iteratorINS9_10device_ptrIyEEEESE_PS5_SF_jNS0_19identity_decomposerENS1_16block_id_wrapperIjLb1EEEEE10hipError_tT1_PNSt15iterator_traitsISK_E10value_typeET2_T3_PNSL_ISQ_E10value_typeET4_T5_PSV_SW_PNS1_23onesweep_lookback_stateEbbT6_jjT7_P12ihipStream_tbENKUlT_T0_SK_SP_E_clIPySE_SF_SF_EEDaS13_S14_SK_SP_EUlS13_E_NS1_11comp_targetILNS1_3genE9ELNS1_11target_archE1100ELNS1_3gpuE3ELNS1_3repE0EEENS1_47radix_sort_onesweep_sort_config_static_selectorELNS0_4arch9wavefront6targetE1EEEvSK_,comdat
	.protected	_ZN7rocprim17ROCPRIM_400000_NS6detail17trampoline_kernelINS0_14default_configENS1_35radix_sort_onesweep_config_selectorIyNS0_10empty_typeEEEZZNS1_29radix_sort_onesweep_iterationIS3_Lb0EN6thrust23THRUST_200600_302600_NS6detail15normal_iteratorINS9_10device_ptrIyEEEESE_PS5_SF_jNS0_19identity_decomposerENS1_16block_id_wrapperIjLb1EEEEE10hipError_tT1_PNSt15iterator_traitsISK_E10value_typeET2_T3_PNSL_ISQ_E10value_typeET4_T5_PSV_SW_PNS1_23onesweep_lookback_stateEbbT6_jjT7_P12ihipStream_tbENKUlT_T0_SK_SP_E_clIPySE_SF_SF_EEDaS13_S14_SK_SP_EUlS13_E_NS1_11comp_targetILNS1_3genE9ELNS1_11target_archE1100ELNS1_3gpuE3ELNS1_3repE0EEENS1_47radix_sort_onesweep_sort_config_static_selectorELNS0_4arch9wavefront6targetE1EEEvSK_ ; -- Begin function _ZN7rocprim17ROCPRIM_400000_NS6detail17trampoline_kernelINS0_14default_configENS1_35radix_sort_onesweep_config_selectorIyNS0_10empty_typeEEEZZNS1_29radix_sort_onesweep_iterationIS3_Lb0EN6thrust23THRUST_200600_302600_NS6detail15normal_iteratorINS9_10device_ptrIyEEEESE_PS5_SF_jNS0_19identity_decomposerENS1_16block_id_wrapperIjLb1EEEEE10hipError_tT1_PNSt15iterator_traitsISK_E10value_typeET2_T3_PNSL_ISQ_E10value_typeET4_T5_PSV_SW_PNS1_23onesweep_lookback_stateEbbT6_jjT7_P12ihipStream_tbENKUlT_T0_SK_SP_E_clIPySE_SF_SF_EEDaS13_S14_SK_SP_EUlS13_E_NS1_11comp_targetILNS1_3genE9ELNS1_11target_archE1100ELNS1_3gpuE3ELNS1_3repE0EEENS1_47radix_sort_onesweep_sort_config_static_selectorELNS0_4arch9wavefront6targetE1EEEvSK_
	.globl	_ZN7rocprim17ROCPRIM_400000_NS6detail17trampoline_kernelINS0_14default_configENS1_35radix_sort_onesweep_config_selectorIyNS0_10empty_typeEEEZZNS1_29radix_sort_onesweep_iterationIS3_Lb0EN6thrust23THRUST_200600_302600_NS6detail15normal_iteratorINS9_10device_ptrIyEEEESE_PS5_SF_jNS0_19identity_decomposerENS1_16block_id_wrapperIjLb1EEEEE10hipError_tT1_PNSt15iterator_traitsISK_E10value_typeET2_T3_PNSL_ISQ_E10value_typeET4_T5_PSV_SW_PNS1_23onesweep_lookback_stateEbbT6_jjT7_P12ihipStream_tbENKUlT_T0_SK_SP_E_clIPySE_SF_SF_EEDaS13_S14_SK_SP_EUlS13_E_NS1_11comp_targetILNS1_3genE9ELNS1_11target_archE1100ELNS1_3gpuE3ELNS1_3repE0EEENS1_47radix_sort_onesweep_sort_config_static_selectorELNS0_4arch9wavefront6targetE1EEEvSK_
	.p2align	8
	.type	_ZN7rocprim17ROCPRIM_400000_NS6detail17trampoline_kernelINS0_14default_configENS1_35radix_sort_onesweep_config_selectorIyNS0_10empty_typeEEEZZNS1_29radix_sort_onesweep_iterationIS3_Lb0EN6thrust23THRUST_200600_302600_NS6detail15normal_iteratorINS9_10device_ptrIyEEEESE_PS5_SF_jNS0_19identity_decomposerENS1_16block_id_wrapperIjLb1EEEEE10hipError_tT1_PNSt15iterator_traitsISK_E10value_typeET2_T3_PNSL_ISQ_E10value_typeET4_T5_PSV_SW_PNS1_23onesweep_lookback_stateEbbT6_jjT7_P12ihipStream_tbENKUlT_T0_SK_SP_E_clIPySE_SF_SF_EEDaS13_S14_SK_SP_EUlS13_E_NS1_11comp_targetILNS1_3genE9ELNS1_11target_archE1100ELNS1_3gpuE3ELNS1_3repE0EEENS1_47radix_sort_onesweep_sort_config_static_selectorELNS0_4arch9wavefront6targetE1EEEvSK_,@function
_ZN7rocprim17ROCPRIM_400000_NS6detail17trampoline_kernelINS0_14default_configENS1_35radix_sort_onesweep_config_selectorIyNS0_10empty_typeEEEZZNS1_29radix_sort_onesweep_iterationIS3_Lb0EN6thrust23THRUST_200600_302600_NS6detail15normal_iteratorINS9_10device_ptrIyEEEESE_PS5_SF_jNS0_19identity_decomposerENS1_16block_id_wrapperIjLb1EEEEE10hipError_tT1_PNSt15iterator_traitsISK_E10value_typeET2_T3_PNSL_ISQ_E10value_typeET4_T5_PSV_SW_PNS1_23onesweep_lookback_stateEbbT6_jjT7_P12ihipStream_tbENKUlT_T0_SK_SP_E_clIPySE_SF_SF_EEDaS13_S14_SK_SP_EUlS13_E_NS1_11comp_targetILNS1_3genE9ELNS1_11target_archE1100ELNS1_3gpuE3ELNS1_3repE0EEENS1_47radix_sort_onesweep_sort_config_static_selectorELNS0_4arch9wavefront6targetE1EEEvSK_: ; @_ZN7rocprim17ROCPRIM_400000_NS6detail17trampoline_kernelINS0_14default_configENS1_35radix_sort_onesweep_config_selectorIyNS0_10empty_typeEEEZZNS1_29radix_sort_onesweep_iterationIS3_Lb0EN6thrust23THRUST_200600_302600_NS6detail15normal_iteratorINS9_10device_ptrIyEEEESE_PS5_SF_jNS0_19identity_decomposerENS1_16block_id_wrapperIjLb1EEEEE10hipError_tT1_PNSt15iterator_traitsISK_E10value_typeET2_T3_PNSL_ISQ_E10value_typeET4_T5_PSV_SW_PNS1_23onesweep_lookback_stateEbbT6_jjT7_P12ihipStream_tbENKUlT_T0_SK_SP_E_clIPySE_SF_SF_EEDaS13_S14_SK_SP_EUlS13_E_NS1_11comp_targetILNS1_3genE9ELNS1_11target_archE1100ELNS1_3gpuE3ELNS1_3repE0EEENS1_47radix_sort_onesweep_sort_config_static_selectorELNS0_4arch9wavefront6targetE1EEEvSK_
; %bb.0:
	.section	.rodata,"a",@progbits
	.p2align	6, 0x0
	.amdhsa_kernel _ZN7rocprim17ROCPRIM_400000_NS6detail17trampoline_kernelINS0_14default_configENS1_35radix_sort_onesweep_config_selectorIyNS0_10empty_typeEEEZZNS1_29radix_sort_onesweep_iterationIS3_Lb0EN6thrust23THRUST_200600_302600_NS6detail15normal_iteratorINS9_10device_ptrIyEEEESE_PS5_SF_jNS0_19identity_decomposerENS1_16block_id_wrapperIjLb1EEEEE10hipError_tT1_PNSt15iterator_traitsISK_E10value_typeET2_T3_PNSL_ISQ_E10value_typeET4_T5_PSV_SW_PNS1_23onesweep_lookback_stateEbbT6_jjT7_P12ihipStream_tbENKUlT_T0_SK_SP_E_clIPySE_SF_SF_EEDaS13_S14_SK_SP_EUlS13_E_NS1_11comp_targetILNS1_3genE9ELNS1_11target_archE1100ELNS1_3gpuE3ELNS1_3repE0EEENS1_47radix_sort_onesweep_sort_config_static_selectorELNS0_4arch9wavefront6targetE1EEEvSK_
		.amdhsa_group_segment_fixed_size 0
		.amdhsa_private_segment_fixed_size 0
		.amdhsa_kernarg_size 88
		.amdhsa_user_sgpr_count 2
		.amdhsa_user_sgpr_dispatch_ptr 0
		.amdhsa_user_sgpr_queue_ptr 0
		.amdhsa_user_sgpr_kernarg_segment_ptr 1
		.amdhsa_user_sgpr_dispatch_id 0
		.amdhsa_user_sgpr_kernarg_preload_length 0
		.amdhsa_user_sgpr_kernarg_preload_offset 0
		.amdhsa_user_sgpr_private_segment_size 0
		.amdhsa_uses_dynamic_stack 0
		.amdhsa_enable_private_segment 0
		.amdhsa_system_sgpr_workgroup_id_x 1
		.amdhsa_system_sgpr_workgroup_id_y 0
		.amdhsa_system_sgpr_workgroup_id_z 0
		.amdhsa_system_sgpr_workgroup_info 0
		.amdhsa_system_vgpr_workitem_id 0
		.amdhsa_next_free_vgpr 1
		.amdhsa_next_free_sgpr 0
		.amdhsa_accum_offset 4
		.amdhsa_reserve_vcc 0
		.amdhsa_float_round_mode_32 0
		.amdhsa_float_round_mode_16_64 0
		.amdhsa_float_denorm_mode_32 3
		.amdhsa_float_denorm_mode_16_64 3
		.amdhsa_dx10_clamp 1
		.amdhsa_ieee_mode 1
		.amdhsa_fp16_overflow 0
		.amdhsa_tg_split 0
		.amdhsa_exception_fp_ieee_invalid_op 0
		.amdhsa_exception_fp_denorm_src 0
		.amdhsa_exception_fp_ieee_div_zero 0
		.amdhsa_exception_fp_ieee_overflow 0
		.amdhsa_exception_fp_ieee_underflow 0
		.amdhsa_exception_fp_ieee_inexact 0
		.amdhsa_exception_int_div_zero 0
	.end_amdhsa_kernel
	.section	.text._ZN7rocprim17ROCPRIM_400000_NS6detail17trampoline_kernelINS0_14default_configENS1_35radix_sort_onesweep_config_selectorIyNS0_10empty_typeEEEZZNS1_29radix_sort_onesweep_iterationIS3_Lb0EN6thrust23THRUST_200600_302600_NS6detail15normal_iteratorINS9_10device_ptrIyEEEESE_PS5_SF_jNS0_19identity_decomposerENS1_16block_id_wrapperIjLb1EEEEE10hipError_tT1_PNSt15iterator_traitsISK_E10value_typeET2_T3_PNSL_ISQ_E10value_typeET4_T5_PSV_SW_PNS1_23onesweep_lookback_stateEbbT6_jjT7_P12ihipStream_tbENKUlT_T0_SK_SP_E_clIPySE_SF_SF_EEDaS13_S14_SK_SP_EUlS13_E_NS1_11comp_targetILNS1_3genE9ELNS1_11target_archE1100ELNS1_3gpuE3ELNS1_3repE0EEENS1_47radix_sort_onesweep_sort_config_static_selectorELNS0_4arch9wavefront6targetE1EEEvSK_,"axG",@progbits,_ZN7rocprim17ROCPRIM_400000_NS6detail17trampoline_kernelINS0_14default_configENS1_35radix_sort_onesweep_config_selectorIyNS0_10empty_typeEEEZZNS1_29radix_sort_onesweep_iterationIS3_Lb0EN6thrust23THRUST_200600_302600_NS6detail15normal_iteratorINS9_10device_ptrIyEEEESE_PS5_SF_jNS0_19identity_decomposerENS1_16block_id_wrapperIjLb1EEEEE10hipError_tT1_PNSt15iterator_traitsISK_E10value_typeET2_T3_PNSL_ISQ_E10value_typeET4_T5_PSV_SW_PNS1_23onesweep_lookback_stateEbbT6_jjT7_P12ihipStream_tbENKUlT_T0_SK_SP_E_clIPySE_SF_SF_EEDaS13_S14_SK_SP_EUlS13_E_NS1_11comp_targetILNS1_3genE9ELNS1_11target_archE1100ELNS1_3gpuE3ELNS1_3repE0EEENS1_47radix_sort_onesweep_sort_config_static_selectorELNS0_4arch9wavefront6targetE1EEEvSK_,comdat
.Lfunc_end889:
	.size	_ZN7rocprim17ROCPRIM_400000_NS6detail17trampoline_kernelINS0_14default_configENS1_35radix_sort_onesweep_config_selectorIyNS0_10empty_typeEEEZZNS1_29radix_sort_onesweep_iterationIS3_Lb0EN6thrust23THRUST_200600_302600_NS6detail15normal_iteratorINS9_10device_ptrIyEEEESE_PS5_SF_jNS0_19identity_decomposerENS1_16block_id_wrapperIjLb1EEEEE10hipError_tT1_PNSt15iterator_traitsISK_E10value_typeET2_T3_PNSL_ISQ_E10value_typeET4_T5_PSV_SW_PNS1_23onesweep_lookback_stateEbbT6_jjT7_P12ihipStream_tbENKUlT_T0_SK_SP_E_clIPySE_SF_SF_EEDaS13_S14_SK_SP_EUlS13_E_NS1_11comp_targetILNS1_3genE9ELNS1_11target_archE1100ELNS1_3gpuE3ELNS1_3repE0EEENS1_47radix_sort_onesweep_sort_config_static_selectorELNS0_4arch9wavefront6targetE1EEEvSK_, .Lfunc_end889-_ZN7rocprim17ROCPRIM_400000_NS6detail17trampoline_kernelINS0_14default_configENS1_35radix_sort_onesweep_config_selectorIyNS0_10empty_typeEEEZZNS1_29radix_sort_onesweep_iterationIS3_Lb0EN6thrust23THRUST_200600_302600_NS6detail15normal_iteratorINS9_10device_ptrIyEEEESE_PS5_SF_jNS0_19identity_decomposerENS1_16block_id_wrapperIjLb1EEEEE10hipError_tT1_PNSt15iterator_traitsISK_E10value_typeET2_T3_PNSL_ISQ_E10value_typeET4_T5_PSV_SW_PNS1_23onesweep_lookback_stateEbbT6_jjT7_P12ihipStream_tbENKUlT_T0_SK_SP_E_clIPySE_SF_SF_EEDaS13_S14_SK_SP_EUlS13_E_NS1_11comp_targetILNS1_3genE9ELNS1_11target_archE1100ELNS1_3gpuE3ELNS1_3repE0EEENS1_47radix_sort_onesweep_sort_config_static_selectorELNS0_4arch9wavefront6targetE1EEEvSK_
                                        ; -- End function
	.section	.AMDGPU.csdata,"",@progbits
; Kernel info:
; codeLenInByte = 0
; NumSgprs: 6
; NumVgprs: 0
; NumAgprs: 0
; TotalNumVgprs: 0
; ScratchSize: 0
; MemoryBound: 0
; FloatMode: 240
; IeeeMode: 1
; LDSByteSize: 0 bytes/workgroup (compile time only)
; SGPRBlocks: 0
; VGPRBlocks: 0
; NumSGPRsForWavesPerEU: 6
; NumVGPRsForWavesPerEU: 1
; AccumOffset: 4
; Occupancy: 8
; WaveLimiterHint : 0
; COMPUTE_PGM_RSRC2:SCRATCH_EN: 0
; COMPUTE_PGM_RSRC2:USER_SGPR: 2
; COMPUTE_PGM_RSRC2:TRAP_HANDLER: 0
; COMPUTE_PGM_RSRC2:TGID_X_EN: 1
; COMPUTE_PGM_RSRC2:TGID_Y_EN: 0
; COMPUTE_PGM_RSRC2:TGID_Z_EN: 0
; COMPUTE_PGM_RSRC2:TIDIG_COMP_CNT: 0
; COMPUTE_PGM_RSRC3_GFX90A:ACCUM_OFFSET: 0
; COMPUTE_PGM_RSRC3_GFX90A:TG_SPLIT: 0
	.section	.text._ZN7rocprim17ROCPRIM_400000_NS6detail17trampoline_kernelINS0_14default_configENS1_35radix_sort_onesweep_config_selectorIyNS0_10empty_typeEEEZZNS1_29radix_sort_onesweep_iterationIS3_Lb0EN6thrust23THRUST_200600_302600_NS6detail15normal_iteratorINS9_10device_ptrIyEEEESE_PS5_SF_jNS0_19identity_decomposerENS1_16block_id_wrapperIjLb1EEEEE10hipError_tT1_PNSt15iterator_traitsISK_E10value_typeET2_T3_PNSL_ISQ_E10value_typeET4_T5_PSV_SW_PNS1_23onesweep_lookback_stateEbbT6_jjT7_P12ihipStream_tbENKUlT_T0_SK_SP_E_clIPySE_SF_SF_EEDaS13_S14_SK_SP_EUlS13_E_NS1_11comp_targetILNS1_3genE8ELNS1_11target_archE1030ELNS1_3gpuE2ELNS1_3repE0EEENS1_47radix_sort_onesweep_sort_config_static_selectorELNS0_4arch9wavefront6targetE1EEEvSK_,"axG",@progbits,_ZN7rocprim17ROCPRIM_400000_NS6detail17trampoline_kernelINS0_14default_configENS1_35radix_sort_onesweep_config_selectorIyNS0_10empty_typeEEEZZNS1_29radix_sort_onesweep_iterationIS3_Lb0EN6thrust23THRUST_200600_302600_NS6detail15normal_iteratorINS9_10device_ptrIyEEEESE_PS5_SF_jNS0_19identity_decomposerENS1_16block_id_wrapperIjLb1EEEEE10hipError_tT1_PNSt15iterator_traitsISK_E10value_typeET2_T3_PNSL_ISQ_E10value_typeET4_T5_PSV_SW_PNS1_23onesweep_lookback_stateEbbT6_jjT7_P12ihipStream_tbENKUlT_T0_SK_SP_E_clIPySE_SF_SF_EEDaS13_S14_SK_SP_EUlS13_E_NS1_11comp_targetILNS1_3genE8ELNS1_11target_archE1030ELNS1_3gpuE2ELNS1_3repE0EEENS1_47radix_sort_onesweep_sort_config_static_selectorELNS0_4arch9wavefront6targetE1EEEvSK_,comdat
	.protected	_ZN7rocprim17ROCPRIM_400000_NS6detail17trampoline_kernelINS0_14default_configENS1_35radix_sort_onesweep_config_selectorIyNS0_10empty_typeEEEZZNS1_29radix_sort_onesweep_iterationIS3_Lb0EN6thrust23THRUST_200600_302600_NS6detail15normal_iteratorINS9_10device_ptrIyEEEESE_PS5_SF_jNS0_19identity_decomposerENS1_16block_id_wrapperIjLb1EEEEE10hipError_tT1_PNSt15iterator_traitsISK_E10value_typeET2_T3_PNSL_ISQ_E10value_typeET4_T5_PSV_SW_PNS1_23onesweep_lookback_stateEbbT6_jjT7_P12ihipStream_tbENKUlT_T0_SK_SP_E_clIPySE_SF_SF_EEDaS13_S14_SK_SP_EUlS13_E_NS1_11comp_targetILNS1_3genE8ELNS1_11target_archE1030ELNS1_3gpuE2ELNS1_3repE0EEENS1_47radix_sort_onesweep_sort_config_static_selectorELNS0_4arch9wavefront6targetE1EEEvSK_ ; -- Begin function _ZN7rocprim17ROCPRIM_400000_NS6detail17trampoline_kernelINS0_14default_configENS1_35radix_sort_onesweep_config_selectorIyNS0_10empty_typeEEEZZNS1_29radix_sort_onesweep_iterationIS3_Lb0EN6thrust23THRUST_200600_302600_NS6detail15normal_iteratorINS9_10device_ptrIyEEEESE_PS5_SF_jNS0_19identity_decomposerENS1_16block_id_wrapperIjLb1EEEEE10hipError_tT1_PNSt15iterator_traitsISK_E10value_typeET2_T3_PNSL_ISQ_E10value_typeET4_T5_PSV_SW_PNS1_23onesweep_lookback_stateEbbT6_jjT7_P12ihipStream_tbENKUlT_T0_SK_SP_E_clIPySE_SF_SF_EEDaS13_S14_SK_SP_EUlS13_E_NS1_11comp_targetILNS1_3genE8ELNS1_11target_archE1030ELNS1_3gpuE2ELNS1_3repE0EEENS1_47radix_sort_onesweep_sort_config_static_selectorELNS0_4arch9wavefront6targetE1EEEvSK_
	.globl	_ZN7rocprim17ROCPRIM_400000_NS6detail17trampoline_kernelINS0_14default_configENS1_35radix_sort_onesweep_config_selectorIyNS0_10empty_typeEEEZZNS1_29radix_sort_onesweep_iterationIS3_Lb0EN6thrust23THRUST_200600_302600_NS6detail15normal_iteratorINS9_10device_ptrIyEEEESE_PS5_SF_jNS0_19identity_decomposerENS1_16block_id_wrapperIjLb1EEEEE10hipError_tT1_PNSt15iterator_traitsISK_E10value_typeET2_T3_PNSL_ISQ_E10value_typeET4_T5_PSV_SW_PNS1_23onesweep_lookback_stateEbbT6_jjT7_P12ihipStream_tbENKUlT_T0_SK_SP_E_clIPySE_SF_SF_EEDaS13_S14_SK_SP_EUlS13_E_NS1_11comp_targetILNS1_3genE8ELNS1_11target_archE1030ELNS1_3gpuE2ELNS1_3repE0EEENS1_47radix_sort_onesweep_sort_config_static_selectorELNS0_4arch9wavefront6targetE1EEEvSK_
	.p2align	8
	.type	_ZN7rocprim17ROCPRIM_400000_NS6detail17trampoline_kernelINS0_14default_configENS1_35radix_sort_onesweep_config_selectorIyNS0_10empty_typeEEEZZNS1_29radix_sort_onesweep_iterationIS3_Lb0EN6thrust23THRUST_200600_302600_NS6detail15normal_iteratorINS9_10device_ptrIyEEEESE_PS5_SF_jNS0_19identity_decomposerENS1_16block_id_wrapperIjLb1EEEEE10hipError_tT1_PNSt15iterator_traitsISK_E10value_typeET2_T3_PNSL_ISQ_E10value_typeET4_T5_PSV_SW_PNS1_23onesweep_lookback_stateEbbT6_jjT7_P12ihipStream_tbENKUlT_T0_SK_SP_E_clIPySE_SF_SF_EEDaS13_S14_SK_SP_EUlS13_E_NS1_11comp_targetILNS1_3genE8ELNS1_11target_archE1030ELNS1_3gpuE2ELNS1_3repE0EEENS1_47radix_sort_onesweep_sort_config_static_selectorELNS0_4arch9wavefront6targetE1EEEvSK_,@function
_ZN7rocprim17ROCPRIM_400000_NS6detail17trampoline_kernelINS0_14default_configENS1_35radix_sort_onesweep_config_selectorIyNS0_10empty_typeEEEZZNS1_29radix_sort_onesweep_iterationIS3_Lb0EN6thrust23THRUST_200600_302600_NS6detail15normal_iteratorINS9_10device_ptrIyEEEESE_PS5_SF_jNS0_19identity_decomposerENS1_16block_id_wrapperIjLb1EEEEE10hipError_tT1_PNSt15iterator_traitsISK_E10value_typeET2_T3_PNSL_ISQ_E10value_typeET4_T5_PSV_SW_PNS1_23onesweep_lookback_stateEbbT6_jjT7_P12ihipStream_tbENKUlT_T0_SK_SP_E_clIPySE_SF_SF_EEDaS13_S14_SK_SP_EUlS13_E_NS1_11comp_targetILNS1_3genE8ELNS1_11target_archE1030ELNS1_3gpuE2ELNS1_3repE0EEENS1_47radix_sort_onesweep_sort_config_static_selectorELNS0_4arch9wavefront6targetE1EEEvSK_: ; @_ZN7rocprim17ROCPRIM_400000_NS6detail17trampoline_kernelINS0_14default_configENS1_35radix_sort_onesweep_config_selectorIyNS0_10empty_typeEEEZZNS1_29radix_sort_onesweep_iterationIS3_Lb0EN6thrust23THRUST_200600_302600_NS6detail15normal_iteratorINS9_10device_ptrIyEEEESE_PS5_SF_jNS0_19identity_decomposerENS1_16block_id_wrapperIjLb1EEEEE10hipError_tT1_PNSt15iterator_traitsISK_E10value_typeET2_T3_PNSL_ISQ_E10value_typeET4_T5_PSV_SW_PNS1_23onesweep_lookback_stateEbbT6_jjT7_P12ihipStream_tbENKUlT_T0_SK_SP_E_clIPySE_SF_SF_EEDaS13_S14_SK_SP_EUlS13_E_NS1_11comp_targetILNS1_3genE8ELNS1_11target_archE1030ELNS1_3gpuE2ELNS1_3repE0EEENS1_47radix_sort_onesweep_sort_config_static_selectorELNS0_4arch9wavefront6targetE1EEEvSK_
; %bb.0:
	.section	.rodata,"a",@progbits
	.p2align	6, 0x0
	.amdhsa_kernel _ZN7rocprim17ROCPRIM_400000_NS6detail17trampoline_kernelINS0_14default_configENS1_35radix_sort_onesweep_config_selectorIyNS0_10empty_typeEEEZZNS1_29radix_sort_onesweep_iterationIS3_Lb0EN6thrust23THRUST_200600_302600_NS6detail15normal_iteratorINS9_10device_ptrIyEEEESE_PS5_SF_jNS0_19identity_decomposerENS1_16block_id_wrapperIjLb1EEEEE10hipError_tT1_PNSt15iterator_traitsISK_E10value_typeET2_T3_PNSL_ISQ_E10value_typeET4_T5_PSV_SW_PNS1_23onesweep_lookback_stateEbbT6_jjT7_P12ihipStream_tbENKUlT_T0_SK_SP_E_clIPySE_SF_SF_EEDaS13_S14_SK_SP_EUlS13_E_NS1_11comp_targetILNS1_3genE8ELNS1_11target_archE1030ELNS1_3gpuE2ELNS1_3repE0EEENS1_47radix_sort_onesweep_sort_config_static_selectorELNS0_4arch9wavefront6targetE1EEEvSK_
		.amdhsa_group_segment_fixed_size 0
		.amdhsa_private_segment_fixed_size 0
		.amdhsa_kernarg_size 88
		.amdhsa_user_sgpr_count 2
		.amdhsa_user_sgpr_dispatch_ptr 0
		.amdhsa_user_sgpr_queue_ptr 0
		.amdhsa_user_sgpr_kernarg_segment_ptr 1
		.amdhsa_user_sgpr_dispatch_id 0
		.amdhsa_user_sgpr_kernarg_preload_length 0
		.amdhsa_user_sgpr_kernarg_preload_offset 0
		.amdhsa_user_sgpr_private_segment_size 0
		.amdhsa_uses_dynamic_stack 0
		.amdhsa_enable_private_segment 0
		.amdhsa_system_sgpr_workgroup_id_x 1
		.amdhsa_system_sgpr_workgroup_id_y 0
		.amdhsa_system_sgpr_workgroup_id_z 0
		.amdhsa_system_sgpr_workgroup_info 0
		.amdhsa_system_vgpr_workitem_id 0
		.amdhsa_next_free_vgpr 1
		.amdhsa_next_free_sgpr 0
		.amdhsa_accum_offset 4
		.amdhsa_reserve_vcc 0
		.amdhsa_float_round_mode_32 0
		.amdhsa_float_round_mode_16_64 0
		.amdhsa_float_denorm_mode_32 3
		.amdhsa_float_denorm_mode_16_64 3
		.amdhsa_dx10_clamp 1
		.amdhsa_ieee_mode 1
		.amdhsa_fp16_overflow 0
		.amdhsa_tg_split 0
		.amdhsa_exception_fp_ieee_invalid_op 0
		.amdhsa_exception_fp_denorm_src 0
		.amdhsa_exception_fp_ieee_div_zero 0
		.amdhsa_exception_fp_ieee_overflow 0
		.amdhsa_exception_fp_ieee_underflow 0
		.amdhsa_exception_fp_ieee_inexact 0
		.amdhsa_exception_int_div_zero 0
	.end_amdhsa_kernel
	.section	.text._ZN7rocprim17ROCPRIM_400000_NS6detail17trampoline_kernelINS0_14default_configENS1_35radix_sort_onesweep_config_selectorIyNS0_10empty_typeEEEZZNS1_29radix_sort_onesweep_iterationIS3_Lb0EN6thrust23THRUST_200600_302600_NS6detail15normal_iteratorINS9_10device_ptrIyEEEESE_PS5_SF_jNS0_19identity_decomposerENS1_16block_id_wrapperIjLb1EEEEE10hipError_tT1_PNSt15iterator_traitsISK_E10value_typeET2_T3_PNSL_ISQ_E10value_typeET4_T5_PSV_SW_PNS1_23onesweep_lookback_stateEbbT6_jjT7_P12ihipStream_tbENKUlT_T0_SK_SP_E_clIPySE_SF_SF_EEDaS13_S14_SK_SP_EUlS13_E_NS1_11comp_targetILNS1_3genE8ELNS1_11target_archE1030ELNS1_3gpuE2ELNS1_3repE0EEENS1_47radix_sort_onesweep_sort_config_static_selectorELNS0_4arch9wavefront6targetE1EEEvSK_,"axG",@progbits,_ZN7rocprim17ROCPRIM_400000_NS6detail17trampoline_kernelINS0_14default_configENS1_35radix_sort_onesweep_config_selectorIyNS0_10empty_typeEEEZZNS1_29radix_sort_onesweep_iterationIS3_Lb0EN6thrust23THRUST_200600_302600_NS6detail15normal_iteratorINS9_10device_ptrIyEEEESE_PS5_SF_jNS0_19identity_decomposerENS1_16block_id_wrapperIjLb1EEEEE10hipError_tT1_PNSt15iterator_traitsISK_E10value_typeET2_T3_PNSL_ISQ_E10value_typeET4_T5_PSV_SW_PNS1_23onesweep_lookback_stateEbbT6_jjT7_P12ihipStream_tbENKUlT_T0_SK_SP_E_clIPySE_SF_SF_EEDaS13_S14_SK_SP_EUlS13_E_NS1_11comp_targetILNS1_3genE8ELNS1_11target_archE1030ELNS1_3gpuE2ELNS1_3repE0EEENS1_47radix_sort_onesweep_sort_config_static_selectorELNS0_4arch9wavefront6targetE1EEEvSK_,comdat
.Lfunc_end890:
	.size	_ZN7rocprim17ROCPRIM_400000_NS6detail17trampoline_kernelINS0_14default_configENS1_35radix_sort_onesweep_config_selectorIyNS0_10empty_typeEEEZZNS1_29radix_sort_onesweep_iterationIS3_Lb0EN6thrust23THRUST_200600_302600_NS6detail15normal_iteratorINS9_10device_ptrIyEEEESE_PS5_SF_jNS0_19identity_decomposerENS1_16block_id_wrapperIjLb1EEEEE10hipError_tT1_PNSt15iterator_traitsISK_E10value_typeET2_T3_PNSL_ISQ_E10value_typeET4_T5_PSV_SW_PNS1_23onesweep_lookback_stateEbbT6_jjT7_P12ihipStream_tbENKUlT_T0_SK_SP_E_clIPySE_SF_SF_EEDaS13_S14_SK_SP_EUlS13_E_NS1_11comp_targetILNS1_3genE8ELNS1_11target_archE1030ELNS1_3gpuE2ELNS1_3repE0EEENS1_47radix_sort_onesweep_sort_config_static_selectorELNS0_4arch9wavefront6targetE1EEEvSK_, .Lfunc_end890-_ZN7rocprim17ROCPRIM_400000_NS6detail17trampoline_kernelINS0_14default_configENS1_35radix_sort_onesweep_config_selectorIyNS0_10empty_typeEEEZZNS1_29radix_sort_onesweep_iterationIS3_Lb0EN6thrust23THRUST_200600_302600_NS6detail15normal_iteratorINS9_10device_ptrIyEEEESE_PS5_SF_jNS0_19identity_decomposerENS1_16block_id_wrapperIjLb1EEEEE10hipError_tT1_PNSt15iterator_traitsISK_E10value_typeET2_T3_PNSL_ISQ_E10value_typeET4_T5_PSV_SW_PNS1_23onesweep_lookback_stateEbbT6_jjT7_P12ihipStream_tbENKUlT_T0_SK_SP_E_clIPySE_SF_SF_EEDaS13_S14_SK_SP_EUlS13_E_NS1_11comp_targetILNS1_3genE8ELNS1_11target_archE1030ELNS1_3gpuE2ELNS1_3repE0EEENS1_47radix_sort_onesweep_sort_config_static_selectorELNS0_4arch9wavefront6targetE1EEEvSK_
                                        ; -- End function
	.section	.AMDGPU.csdata,"",@progbits
; Kernel info:
; codeLenInByte = 0
; NumSgprs: 6
; NumVgprs: 0
; NumAgprs: 0
; TotalNumVgprs: 0
; ScratchSize: 0
; MemoryBound: 0
; FloatMode: 240
; IeeeMode: 1
; LDSByteSize: 0 bytes/workgroup (compile time only)
; SGPRBlocks: 0
; VGPRBlocks: 0
; NumSGPRsForWavesPerEU: 6
; NumVGPRsForWavesPerEU: 1
; AccumOffset: 4
; Occupancy: 8
; WaveLimiterHint : 0
; COMPUTE_PGM_RSRC2:SCRATCH_EN: 0
; COMPUTE_PGM_RSRC2:USER_SGPR: 2
; COMPUTE_PGM_RSRC2:TRAP_HANDLER: 0
; COMPUTE_PGM_RSRC2:TGID_X_EN: 1
; COMPUTE_PGM_RSRC2:TGID_Y_EN: 0
; COMPUTE_PGM_RSRC2:TGID_Z_EN: 0
; COMPUTE_PGM_RSRC2:TIDIG_COMP_CNT: 0
; COMPUTE_PGM_RSRC3_GFX90A:ACCUM_OFFSET: 0
; COMPUTE_PGM_RSRC3_GFX90A:TG_SPLIT: 0
	.section	.text._ZN7rocprim17ROCPRIM_400000_NS6detail17trampoline_kernelINS0_14default_configENS1_35radix_sort_onesweep_config_selectorIyNS0_10empty_typeEEEZZNS1_29radix_sort_onesweep_iterationIS3_Lb0EN6thrust23THRUST_200600_302600_NS6detail15normal_iteratorINS9_10device_ptrIyEEEESE_PS5_SF_jNS0_19identity_decomposerENS1_16block_id_wrapperIjLb0EEEEE10hipError_tT1_PNSt15iterator_traitsISK_E10value_typeET2_T3_PNSL_ISQ_E10value_typeET4_T5_PSV_SW_PNS1_23onesweep_lookback_stateEbbT6_jjT7_P12ihipStream_tbENKUlT_T0_SK_SP_E_clISE_SE_SF_SF_EEDaS13_S14_SK_SP_EUlS13_E_NS1_11comp_targetILNS1_3genE0ELNS1_11target_archE4294967295ELNS1_3gpuE0ELNS1_3repE0EEENS1_47radix_sort_onesweep_sort_config_static_selectorELNS0_4arch9wavefront6targetE1EEEvSK_,"axG",@progbits,_ZN7rocprim17ROCPRIM_400000_NS6detail17trampoline_kernelINS0_14default_configENS1_35radix_sort_onesweep_config_selectorIyNS0_10empty_typeEEEZZNS1_29radix_sort_onesweep_iterationIS3_Lb0EN6thrust23THRUST_200600_302600_NS6detail15normal_iteratorINS9_10device_ptrIyEEEESE_PS5_SF_jNS0_19identity_decomposerENS1_16block_id_wrapperIjLb0EEEEE10hipError_tT1_PNSt15iterator_traitsISK_E10value_typeET2_T3_PNSL_ISQ_E10value_typeET4_T5_PSV_SW_PNS1_23onesweep_lookback_stateEbbT6_jjT7_P12ihipStream_tbENKUlT_T0_SK_SP_E_clISE_SE_SF_SF_EEDaS13_S14_SK_SP_EUlS13_E_NS1_11comp_targetILNS1_3genE0ELNS1_11target_archE4294967295ELNS1_3gpuE0ELNS1_3repE0EEENS1_47radix_sort_onesweep_sort_config_static_selectorELNS0_4arch9wavefront6targetE1EEEvSK_,comdat
	.protected	_ZN7rocprim17ROCPRIM_400000_NS6detail17trampoline_kernelINS0_14default_configENS1_35radix_sort_onesweep_config_selectorIyNS0_10empty_typeEEEZZNS1_29radix_sort_onesweep_iterationIS3_Lb0EN6thrust23THRUST_200600_302600_NS6detail15normal_iteratorINS9_10device_ptrIyEEEESE_PS5_SF_jNS0_19identity_decomposerENS1_16block_id_wrapperIjLb0EEEEE10hipError_tT1_PNSt15iterator_traitsISK_E10value_typeET2_T3_PNSL_ISQ_E10value_typeET4_T5_PSV_SW_PNS1_23onesweep_lookback_stateEbbT6_jjT7_P12ihipStream_tbENKUlT_T0_SK_SP_E_clISE_SE_SF_SF_EEDaS13_S14_SK_SP_EUlS13_E_NS1_11comp_targetILNS1_3genE0ELNS1_11target_archE4294967295ELNS1_3gpuE0ELNS1_3repE0EEENS1_47radix_sort_onesweep_sort_config_static_selectorELNS0_4arch9wavefront6targetE1EEEvSK_ ; -- Begin function _ZN7rocprim17ROCPRIM_400000_NS6detail17trampoline_kernelINS0_14default_configENS1_35radix_sort_onesweep_config_selectorIyNS0_10empty_typeEEEZZNS1_29radix_sort_onesweep_iterationIS3_Lb0EN6thrust23THRUST_200600_302600_NS6detail15normal_iteratorINS9_10device_ptrIyEEEESE_PS5_SF_jNS0_19identity_decomposerENS1_16block_id_wrapperIjLb0EEEEE10hipError_tT1_PNSt15iterator_traitsISK_E10value_typeET2_T3_PNSL_ISQ_E10value_typeET4_T5_PSV_SW_PNS1_23onesweep_lookback_stateEbbT6_jjT7_P12ihipStream_tbENKUlT_T0_SK_SP_E_clISE_SE_SF_SF_EEDaS13_S14_SK_SP_EUlS13_E_NS1_11comp_targetILNS1_3genE0ELNS1_11target_archE4294967295ELNS1_3gpuE0ELNS1_3repE0EEENS1_47radix_sort_onesweep_sort_config_static_selectorELNS0_4arch9wavefront6targetE1EEEvSK_
	.globl	_ZN7rocprim17ROCPRIM_400000_NS6detail17trampoline_kernelINS0_14default_configENS1_35radix_sort_onesweep_config_selectorIyNS0_10empty_typeEEEZZNS1_29radix_sort_onesweep_iterationIS3_Lb0EN6thrust23THRUST_200600_302600_NS6detail15normal_iteratorINS9_10device_ptrIyEEEESE_PS5_SF_jNS0_19identity_decomposerENS1_16block_id_wrapperIjLb0EEEEE10hipError_tT1_PNSt15iterator_traitsISK_E10value_typeET2_T3_PNSL_ISQ_E10value_typeET4_T5_PSV_SW_PNS1_23onesweep_lookback_stateEbbT6_jjT7_P12ihipStream_tbENKUlT_T0_SK_SP_E_clISE_SE_SF_SF_EEDaS13_S14_SK_SP_EUlS13_E_NS1_11comp_targetILNS1_3genE0ELNS1_11target_archE4294967295ELNS1_3gpuE0ELNS1_3repE0EEENS1_47radix_sort_onesweep_sort_config_static_selectorELNS0_4arch9wavefront6targetE1EEEvSK_
	.p2align	8
	.type	_ZN7rocprim17ROCPRIM_400000_NS6detail17trampoline_kernelINS0_14default_configENS1_35radix_sort_onesweep_config_selectorIyNS0_10empty_typeEEEZZNS1_29radix_sort_onesweep_iterationIS3_Lb0EN6thrust23THRUST_200600_302600_NS6detail15normal_iteratorINS9_10device_ptrIyEEEESE_PS5_SF_jNS0_19identity_decomposerENS1_16block_id_wrapperIjLb0EEEEE10hipError_tT1_PNSt15iterator_traitsISK_E10value_typeET2_T3_PNSL_ISQ_E10value_typeET4_T5_PSV_SW_PNS1_23onesweep_lookback_stateEbbT6_jjT7_P12ihipStream_tbENKUlT_T0_SK_SP_E_clISE_SE_SF_SF_EEDaS13_S14_SK_SP_EUlS13_E_NS1_11comp_targetILNS1_3genE0ELNS1_11target_archE4294967295ELNS1_3gpuE0ELNS1_3repE0EEENS1_47radix_sort_onesweep_sort_config_static_selectorELNS0_4arch9wavefront6targetE1EEEvSK_,@function
_ZN7rocprim17ROCPRIM_400000_NS6detail17trampoline_kernelINS0_14default_configENS1_35radix_sort_onesweep_config_selectorIyNS0_10empty_typeEEEZZNS1_29radix_sort_onesweep_iterationIS3_Lb0EN6thrust23THRUST_200600_302600_NS6detail15normal_iteratorINS9_10device_ptrIyEEEESE_PS5_SF_jNS0_19identity_decomposerENS1_16block_id_wrapperIjLb0EEEEE10hipError_tT1_PNSt15iterator_traitsISK_E10value_typeET2_T3_PNSL_ISQ_E10value_typeET4_T5_PSV_SW_PNS1_23onesweep_lookback_stateEbbT6_jjT7_P12ihipStream_tbENKUlT_T0_SK_SP_E_clISE_SE_SF_SF_EEDaS13_S14_SK_SP_EUlS13_E_NS1_11comp_targetILNS1_3genE0ELNS1_11target_archE4294967295ELNS1_3gpuE0ELNS1_3repE0EEENS1_47radix_sort_onesweep_sort_config_static_selectorELNS0_4arch9wavefront6targetE1EEEvSK_: ; @_ZN7rocprim17ROCPRIM_400000_NS6detail17trampoline_kernelINS0_14default_configENS1_35radix_sort_onesweep_config_selectorIyNS0_10empty_typeEEEZZNS1_29radix_sort_onesweep_iterationIS3_Lb0EN6thrust23THRUST_200600_302600_NS6detail15normal_iteratorINS9_10device_ptrIyEEEESE_PS5_SF_jNS0_19identity_decomposerENS1_16block_id_wrapperIjLb0EEEEE10hipError_tT1_PNSt15iterator_traitsISK_E10value_typeET2_T3_PNSL_ISQ_E10value_typeET4_T5_PSV_SW_PNS1_23onesweep_lookback_stateEbbT6_jjT7_P12ihipStream_tbENKUlT_T0_SK_SP_E_clISE_SE_SF_SF_EEDaS13_S14_SK_SP_EUlS13_E_NS1_11comp_targetILNS1_3genE0ELNS1_11target_archE4294967295ELNS1_3gpuE0ELNS1_3repE0EEENS1_47radix_sort_onesweep_sort_config_static_selectorELNS0_4arch9wavefront6targetE1EEEvSK_
; %bb.0:
	.section	.rodata,"a",@progbits
	.p2align	6, 0x0
	.amdhsa_kernel _ZN7rocprim17ROCPRIM_400000_NS6detail17trampoline_kernelINS0_14default_configENS1_35radix_sort_onesweep_config_selectorIyNS0_10empty_typeEEEZZNS1_29radix_sort_onesweep_iterationIS3_Lb0EN6thrust23THRUST_200600_302600_NS6detail15normal_iteratorINS9_10device_ptrIyEEEESE_PS5_SF_jNS0_19identity_decomposerENS1_16block_id_wrapperIjLb0EEEEE10hipError_tT1_PNSt15iterator_traitsISK_E10value_typeET2_T3_PNSL_ISQ_E10value_typeET4_T5_PSV_SW_PNS1_23onesweep_lookback_stateEbbT6_jjT7_P12ihipStream_tbENKUlT_T0_SK_SP_E_clISE_SE_SF_SF_EEDaS13_S14_SK_SP_EUlS13_E_NS1_11comp_targetILNS1_3genE0ELNS1_11target_archE4294967295ELNS1_3gpuE0ELNS1_3repE0EEENS1_47radix_sort_onesweep_sort_config_static_selectorELNS0_4arch9wavefront6targetE1EEEvSK_
		.amdhsa_group_segment_fixed_size 0
		.amdhsa_private_segment_fixed_size 0
		.amdhsa_kernarg_size 88
		.amdhsa_user_sgpr_count 2
		.amdhsa_user_sgpr_dispatch_ptr 0
		.amdhsa_user_sgpr_queue_ptr 0
		.amdhsa_user_sgpr_kernarg_segment_ptr 1
		.amdhsa_user_sgpr_dispatch_id 0
		.amdhsa_user_sgpr_kernarg_preload_length 0
		.amdhsa_user_sgpr_kernarg_preload_offset 0
		.amdhsa_user_sgpr_private_segment_size 0
		.amdhsa_uses_dynamic_stack 0
		.amdhsa_enable_private_segment 0
		.amdhsa_system_sgpr_workgroup_id_x 1
		.amdhsa_system_sgpr_workgroup_id_y 0
		.amdhsa_system_sgpr_workgroup_id_z 0
		.amdhsa_system_sgpr_workgroup_info 0
		.amdhsa_system_vgpr_workitem_id 0
		.amdhsa_next_free_vgpr 1
		.amdhsa_next_free_sgpr 0
		.amdhsa_accum_offset 4
		.amdhsa_reserve_vcc 0
		.amdhsa_float_round_mode_32 0
		.amdhsa_float_round_mode_16_64 0
		.amdhsa_float_denorm_mode_32 3
		.amdhsa_float_denorm_mode_16_64 3
		.amdhsa_dx10_clamp 1
		.amdhsa_ieee_mode 1
		.amdhsa_fp16_overflow 0
		.amdhsa_tg_split 0
		.amdhsa_exception_fp_ieee_invalid_op 0
		.amdhsa_exception_fp_denorm_src 0
		.amdhsa_exception_fp_ieee_div_zero 0
		.amdhsa_exception_fp_ieee_overflow 0
		.amdhsa_exception_fp_ieee_underflow 0
		.amdhsa_exception_fp_ieee_inexact 0
		.amdhsa_exception_int_div_zero 0
	.end_amdhsa_kernel
	.section	.text._ZN7rocprim17ROCPRIM_400000_NS6detail17trampoline_kernelINS0_14default_configENS1_35radix_sort_onesweep_config_selectorIyNS0_10empty_typeEEEZZNS1_29radix_sort_onesweep_iterationIS3_Lb0EN6thrust23THRUST_200600_302600_NS6detail15normal_iteratorINS9_10device_ptrIyEEEESE_PS5_SF_jNS0_19identity_decomposerENS1_16block_id_wrapperIjLb0EEEEE10hipError_tT1_PNSt15iterator_traitsISK_E10value_typeET2_T3_PNSL_ISQ_E10value_typeET4_T5_PSV_SW_PNS1_23onesweep_lookback_stateEbbT6_jjT7_P12ihipStream_tbENKUlT_T0_SK_SP_E_clISE_SE_SF_SF_EEDaS13_S14_SK_SP_EUlS13_E_NS1_11comp_targetILNS1_3genE0ELNS1_11target_archE4294967295ELNS1_3gpuE0ELNS1_3repE0EEENS1_47radix_sort_onesweep_sort_config_static_selectorELNS0_4arch9wavefront6targetE1EEEvSK_,"axG",@progbits,_ZN7rocprim17ROCPRIM_400000_NS6detail17trampoline_kernelINS0_14default_configENS1_35radix_sort_onesweep_config_selectorIyNS0_10empty_typeEEEZZNS1_29radix_sort_onesweep_iterationIS3_Lb0EN6thrust23THRUST_200600_302600_NS6detail15normal_iteratorINS9_10device_ptrIyEEEESE_PS5_SF_jNS0_19identity_decomposerENS1_16block_id_wrapperIjLb0EEEEE10hipError_tT1_PNSt15iterator_traitsISK_E10value_typeET2_T3_PNSL_ISQ_E10value_typeET4_T5_PSV_SW_PNS1_23onesweep_lookback_stateEbbT6_jjT7_P12ihipStream_tbENKUlT_T0_SK_SP_E_clISE_SE_SF_SF_EEDaS13_S14_SK_SP_EUlS13_E_NS1_11comp_targetILNS1_3genE0ELNS1_11target_archE4294967295ELNS1_3gpuE0ELNS1_3repE0EEENS1_47radix_sort_onesweep_sort_config_static_selectorELNS0_4arch9wavefront6targetE1EEEvSK_,comdat
.Lfunc_end891:
	.size	_ZN7rocprim17ROCPRIM_400000_NS6detail17trampoline_kernelINS0_14default_configENS1_35radix_sort_onesweep_config_selectorIyNS0_10empty_typeEEEZZNS1_29radix_sort_onesweep_iterationIS3_Lb0EN6thrust23THRUST_200600_302600_NS6detail15normal_iteratorINS9_10device_ptrIyEEEESE_PS5_SF_jNS0_19identity_decomposerENS1_16block_id_wrapperIjLb0EEEEE10hipError_tT1_PNSt15iterator_traitsISK_E10value_typeET2_T3_PNSL_ISQ_E10value_typeET4_T5_PSV_SW_PNS1_23onesweep_lookback_stateEbbT6_jjT7_P12ihipStream_tbENKUlT_T0_SK_SP_E_clISE_SE_SF_SF_EEDaS13_S14_SK_SP_EUlS13_E_NS1_11comp_targetILNS1_3genE0ELNS1_11target_archE4294967295ELNS1_3gpuE0ELNS1_3repE0EEENS1_47radix_sort_onesweep_sort_config_static_selectorELNS0_4arch9wavefront6targetE1EEEvSK_, .Lfunc_end891-_ZN7rocprim17ROCPRIM_400000_NS6detail17trampoline_kernelINS0_14default_configENS1_35radix_sort_onesweep_config_selectorIyNS0_10empty_typeEEEZZNS1_29radix_sort_onesweep_iterationIS3_Lb0EN6thrust23THRUST_200600_302600_NS6detail15normal_iteratorINS9_10device_ptrIyEEEESE_PS5_SF_jNS0_19identity_decomposerENS1_16block_id_wrapperIjLb0EEEEE10hipError_tT1_PNSt15iterator_traitsISK_E10value_typeET2_T3_PNSL_ISQ_E10value_typeET4_T5_PSV_SW_PNS1_23onesweep_lookback_stateEbbT6_jjT7_P12ihipStream_tbENKUlT_T0_SK_SP_E_clISE_SE_SF_SF_EEDaS13_S14_SK_SP_EUlS13_E_NS1_11comp_targetILNS1_3genE0ELNS1_11target_archE4294967295ELNS1_3gpuE0ELNS1_3repE0EEENS1_47radix_sort_onesweep_sort_config_static_selectorELNS0_4arch9wavefront6targetE1EEEvSK_
                                        ; -- End function
	.section	.AMDGPU.csdata,"",@progbits
; Kernel info:
; codeLenInByte = 0
; NumSgprs: 6
; NumVgprs: 0
; NumAgprs: 0
; TotalNumVgprs: 0
; ScratchSize: 0
; MemoryBound: 0
; FloatMode: 240
; IeeeMode: 1
; LDSByteSize: 0 bytes/workgroup (compile time only)
; SGPRBlocks: 0
; VGPRBlocks: 0
; NumSGPRsForWavesPerEU: 6
; NumVGPRsForWavesPerEU: 1
; AccumOffset: 4
; Occupancy: 8
; WaveLimiterHint : 0
; COMPUTE_PGM_RSRC2:SCRATCH_EN: 0
; COMPUTE_PGM_RSRC2:USER_SGPR: 2
; COMPUTE_PGM_RSRC2:TRAP_HANDLER: 0
; COMPUTE_PGM_RSRC2:TGID_X_EN: 1
; COMPUTE_PGM_RSRC2:TGID_Y_EN: 0
; COMPUTE_PGM_RSRC2:TGID_Z_EN: 0
; COMPUTE_PGM_RSRC2:TIDIG_COMP_CNT: 0
; COMPUTE_PGM_RSRC3_GFX90A:ACCUM_OFFSET: 0
; COMPUTE_PGM_RSRC3_GFX90A:TG_SPLIT: 0
	.section	.text._ZN7rocprim17ROCPRIM_400000_NS6detail17trampoline_kernelINS0_14default_configENS1_35radix_sort_onesweep_config_selectorIyNS0_10empty_typeEEEZZNS1_29radix_sort_onesweep_iterationIS3_Lb0EN6thrust23THRUST_200600_302600_NS6detail15normal_iteratorINS9_10device_ptrIyEEEESE_PS5_SF_jNS0_19identity_decomposerENS1_16block_id_wrapperIjLb0EEEEE10hipError_tT1_PNSt15iterator_traitsISK_E10value_typeET2_T3_PNSL_ISQ_E10value_typeET4_T5_PSV_SW_PNS1_23onesweep_lookback_stateEbbT6_jjT7_P12ihipStream_tbENKUlT_T0_SK_SP_E_clISE_SE_SF_SF_EEDaS13_S14_SK_SP_EUlS13_E_NS1_11comp_targetILNS1_3genE6ELNS1_11target_archE950ELNS1_3gpuE13ELNS1_3repE0EEENS1_47radix_sort_onesweep_sort_config_static_selectorELNS0_4arch9wavefront6targetE1EEEvSK_,"axG",@progbits,_ZN7rocprim17ROCPRIM_400000_NS6detail17trampoline_kernelINS0_14default_configENS1_35radix_sort_onesweep_config_selectorIyNS0_10empty_typeEEEZZNS1_29radix_sort_onesweep_iterationIS3_Lb0EN6thrust23THRUST_200600_302600_NS6detail15normal_iteratorINS9_10device_ptrIyEEEESE_PS5_SF_jNS0_19identity_decomposerENS1_16block_id_wrapperIjLb0EEEEE10hipError_tT1_PNSt15iterator_traitsISK_E10value_typeET2_T3_PNSL_ISQ_E10value_typeET4_T5_PSV_SW_PNS1_23onesweep_lookback_stateEbbT6_jjT7_P12ihipStream_tbENKUlT_T0_SK_SP_E_clISE_SE_SF_SF_EEDaS13_S14_SK_SP_EUlS13_E_NS1_11comp_targetILNS1_3genE6ELNS1_11target_archE950ELNS1_3gpuE13ELNS1_3repE0EEENS1_47radix_sort_onesweep_sort_config_static_selectorELNS0_4arch9wavefront6targetE1EEEvSK_,comdat
	.protected	_ZN7rocprim17ROCPRIM_400000_NS6detail17trampoline_kernelINS0_14default_configENS1_35radix_sort_onesweep_config_selectorIyNS0_10empty_typeEEEZZNS1_29radix_sort_onesweep_iterationIS3_Lb0EN6thrust23THRUST_200600_302600_NS6detail15normal_iteratorINS9_10device_ptrIyEEEESE_PS5_SF_jNS0_19identity_decomposerENS1_16block_id_wrapperIjLb0EEEEE10hipError_tT1_PNSt15iterator_traitsISK_E10value_typeET2_T3_PNSL_ISQ_E10value_typeET4_T5_PSV_SW_PNS1_23onesweep_lookback_stateEbbT6_jjT7_P12ihipStream_tbENKUlT_T0_SK_SP_E_clISE_SE_SF_SF_EEDaS13_S14_SK_SP_EUlS13_E_NS1_11comp_targetILNS1_3genE6ELNS1_11target_archE950ELNS1_3gpuE13ELNS1_3repE0EEENS1_47radix_sort_onesweep_sort_config_static_selectorELNS0_4arch9wavefront6targetE1EEEvSK_ ; -- Begin function _ZN7rocprim17ROCPRIM_400000_NS6detail17trampoline_kernelINS0_14default_configENS1_35radix_sort_onesweep_config_selectorIyNS0_10empty_typeEEEZZNS1_29radix_sort_onesweep_iterationIS3_Lb0EN6thrust23THRUST_200600_302600_NS6detail15normal_iteratorINS9_10device_ptrIyEEEESE_PS5_SF_jNS0_19identity_decomposerENS1_16block_id_wrapperIjLb0EEEEE10hipError_tT1_PNSt15iterator_traitsISK_E10value_typeET2_T3_PNSL_ISQ_E10value_typeET4_T5_PSV_SW_PNS1_23onesweep_lookback_stateEbbT6_jjT7_P12ihipStream_tbENKUlT_T0_SK_SP_E_clISE_SE_SF_SF_EEDaS13_S14_SK_SP_EUlS13_E_NS1_11comp_targetILNS1_3genE6ELNS1_11target_archE950ELNS1_3gpuE13ELNS1_3repE0EEENS1_47radix_sort_onesweep_sort_config_static_selectorELNS0_4arch9wavefront6targetE1EEEvSK_
	.globl	_ZN7rocprim17ROCPRIM_400000_NS6detail17trampoline_kernelINS0_14default_configENS1_35radix_sort_onesweep_config_selectorIyNS0_10empty_typeEEEZZNS1_29radix_sort_onesweep_iterationIS3_Lb0EN6thrust23THRUST_200600_302600_NS6detail15normal_iteratorINS9_10device_ptrIyEEEESE_PS5_SF_jNS0_19identity_decomposerENS1_16block_id_wrapperIjLb0EEEEE10hipError_tT1_PNSt15iterator_traitsISK_E10value_typeET2_T3_PNSL_ISQ_E10value_typeET4_T5_PSV_SW_PNS1_23onesweep_lookback_stateEbbT6_jjT7_P12ihipStream_tbENKUlT_T0_SK_SP_E_clISE_SE_SF_SF_EEDaS13_S14_SK_SP_EUlS13_E_NS1_11comp_targetILNS1_3genE6ELNS1_11target_archE950ELNS1_3gpuE13ELNS1_3repE0EEENS1_47radix_sort_onesweep_sort_config_static_selectorELNS0_4arch9wavefront6targetE1EEEvSK_
	.p2align	8
	.type	_ZN7rocprim17ROCPRIM_400000_NS6detail17trampoline_kernelINS0_14default_configENS1_35radix_sort_onesweep_config_selectorIyNS0_10empty_typeEEEZZNS1_29radix_sort_onesweep_iterationIS3_Lb0EN6thrust23THRUST_200600_302600_NS6detail15normal_iteratorINS9_10device_ptrIyEEEESE_PS5_SF_jNS0_19identity_decomposerENS1_16block_id_wrapperIjLb0EEEEE10hipError_tT1_PNSt15iterator_traitsISK_E10value_typeET2_T3_PNSL_ISQ_E10value_typeET4_T5_PSV_SW_PNS1_23onesweep_lookback_stateEbbT6_jjT7_P12ihipStream_tbENKUlT_T0_SK_SP_E_clISE_SE_SF_SF_EEDaS13_S14_SK_SP_EUlS13_E_NS1_11comp_targetILNS1_3genE6ELNS1_11target_archE950ELNS1_3gpuE13ELNS1_3repE0EEENS1_47radix_sort_onesweep_sort_config_static_selectorELNS0_4arch9wavefront6targetE1EEEvSK_,@function
_ZN7rocprim17ROCPRIM_400000_NS6detail17trampoline_kernelINS0_14default_configENS1_35radix_sort_onesweep_config_selectorIyNS0_10empty_typeEEEZZNS1_29radix_sort_onesweep_iterationIS3_Lb0EN6thrust23THRUST_200600_302600_NS6detail15normal_iteratorINS9_10device_ptrIyEEEESE_PS5_SF_jNS0_19identity_decomposerENS1_16block_id_wrapperIjLb0EEEEE10hipError_tT1_PNSt15iterator_traitsISK_E10value_typeET2_T3_PNSL_ISQ_E10value_typeET4_T5_PSV_SW_PNS1_23onesweep_lookback_stateEbbT6_jjT7_P12ihipStream_tbENKUlT_T0_SK_SP_E_clISE_SE_SF_SF_EEDaS13_S14_SK_SP_EUlS13_E_NS1_11comp_targetILNS1_3genE6ELNS1_11target_archE950ELNS1_3gpuE13ELNS1_3repE0EEENS1_47radix_sort_onesweep_sort_config_static_selectorELNS0_4arch9wavefront6targetE1EEEvSK_: ; @_ZN7rocprim17ROCPRIM_400000_NS6detail17trampoline_kernelINS0_14default_configENS1_35radix_sort_onesweep_config_selectorIyNS0_10empty_typeEEEZZNS1_29radix_sort_onesweep_iterationIS3_Lb0EN6thrust23THRUST_200600_302600_NS6detail15normal_iteratorINS9_10device_ptrIyEEEESE_PS5_SF_jNS0_19identity_decomposerENS1_16block_id_wrapperIjLb0EEEEE10hipError_tT1_PNSt15iterator_traitsISK_E10value_typeET2_T3_PNSL_ISQ_E10value_typeET4_T5_PSV_SW_PNS1_23onesweep_lookback_stateEbbT6_jjT7_P12ihipStream_tbENKUlT_T0_SK_SP_E_clISE_SE_SF_SF_EEDaS13_S14_SK_SP_EUlS13_E_NS1_11comp_targetILNS1_3genE6ELNS1_11target_archE950ELNS1_3gpuE13ELNS1_3repE0EEENS1_47radix_sort_onesweep_sort_config_static_selectorELNS0_4arch9wavefront6targetE1EEEvSK_
; %bb.0:
	.section	.rodata,"a",@progbits
	.p2align	6, 0x0
	.amdhsa_kernel _ZN7rocprim17ROCPRIM_400000_NS6detail17trampoline_kernelINS0_14default_configENS1_35radix_sort_onesweep_config_selectorIyNS0_10empty_typeEEEZZNS1_29radix_sort_onesweep_iterationIS3_Lb0EN6thrust23THRUST_200600_302600_NS6detail15normal_iteratorINS9_10device_ptrIyEEEESE_PS5_SF_jNS0_19identity_decomposerENS1_16block_id_wrapperIjLb0EEEEE10hipError_tT1_PNSt15iterator_traitsISK_E10value_typeET2_T3_PNSL_ISQ_E10value_typeET4_T5_PSV_SW_PNS1_23onesweep_lookback_stateEbbT6_jjT7_P12ihipStream_tbENKUlT_T0_SK_SP_E_clISE_SE_SF_SF_EEDaS13_S14_SK_SP_EUlS13_E_NS1_11comp_targetILNS1_3genE6ELNS1_11target_archE950ELNS1_3gpuE13ELNS1_3repE0EEENS1_47radix_sort_onesweep_sort_config_static_selectorELNS0_4arch9wavefront6targetE1EEEvSK_
		.amdhsa_group_segment_fixed_size 0
		.amdhsa_private_segment_fixed_size 0
		.amdhsa_kernarg_size 88
		.amdhsa_user_sgpr_count 2
		.amdhsa_user_sgpr_dispatch_ptr 0
		.amdhsa_user_sgpr_queue_ptr 0
		.amdhsa_user_sgpr_kernarg_segment_ptr 1
		.amdhsa_user_sgpr_dispatch_id 0
		.amdhsa_user_sgpr_kernarg_preload_length 0
		.amdhsa_user_sgpr_kernarg_preload_offset 0
		.amdhsa_user_sgpr_private_segment_size 0
		.amdhsa_uses_dynamic_stack 0
		.amdhsa_enable_private_segment 0
		.amdhsa_system_sgpr_workgroup_id_x 1
		.amdhsa_system_sgpr_workgroup_id_y 0
		.amdhsa_system_sgpr_workgroup_id_z 0
		.amdhsa_system_sgpr_workgroup_info 0
		.amdhsa_system_vgpr_workitem_id 0
		.amdhsa_next_free_vgpr 1
		.amdhsa_next_free_sgpr 0
		.amdhsa_accum_offset 4
		.amdhsa_reserve_vcc 0
		.amdhsa_float_round_mode_32 0
		.amdhsa_float_round_mode_16_64 0
		.amdhsa_float_denorm_mode_32 3
		.amdhsa_float_denorm_mode_16_64 3
		.amdhsa_dx10_clamp 1
		.amdhsa_ieee_mode 1
		.amdhsa_fp16_overflow 0
		.amdhsa_tg_split 0
		.amdhsa_exception_fp_ieee_invalid_op 0
		.amdhsa_exception_fp_denorm_src 0
		.amdhsa_exception_fp_ieee_div_zero 0
		.amdhsa_exception_fp_ieee_overflow 0
		.amdhsa_exception_fp_ieee_underflow 0
		.amdhsa_exception_fp_ieee_inexact 0
		.amdhsa_exception_int_div_zero 0
	.end_amdhsa_kernel
	.section	.text._ZN7rocprim17ROCPRIM_400000_NS6detail17trampoline_kernelINS0_14default_configENS1_35radix_sort_onesweep_config_selectorIyNS0_10empty_typeEEEZZNS1_29radix_sort_onesweep_iterationIS3_Lb0EN6thrust23THRUST_200600_302600_NS6detail15normal_iteratorINS9_10device_ptrIyEEEESE_PS5_SF_jNS0_19identity_decomposerENS1_16block_id_wrapperIjLb0EEEEE10hipError_tT1_PNSt15iterator_traitsISK_E10value_typeET2_T3_PNSL_ISQ_E10value_typeET4_T5_PSV_SW_PNS1_23onesweep_lookback_stateEbbT6_jjT7_P12ihipStream_tbENKUlT_T0_SK_SP_E_clISE_SE_SF_SF_EEDaS13_S14_SK_SP_EUlS13_E_NS1_11comp_targetILNS1_3genE6ELNS1_11target_archE950ELNS1_3gpuE13ELNS1_3repE0EEENS1_47radix_sort_onesweep_sort_config_static_selectorELNS0_4arch9wavefront6targetE1EEEvSK_,"axG",@progbits,_ZN7rocprim17ROCPRIM_400000_NS6detail17trampoline_kernelINS0_14default_configENS1_35radix_sort_onesweep_config_selectorIyNS0_10empty_typeEEEZZNS1_29radix_sort_onesweep_iterationIS3_Lb0EN6thrust23THRUST_200600_302600_NS6detail15normal_iteratorINS9_10device_ptrIyEEEESE_PS5_SF_jNS0_19identity_decomposerENS1_16block_id_wrapperIjLb0EEEEE10hipError_tT1_PNSt15iterator_traitsISK_E10value_typeET2_T3_PNSL_ISQ_E10value_typeET4_T5_PSV_SW_PNS1_23onesweep_lookback_stateEbbT6_jjT7_P12ihipStream_tbENKUlT_T0_SK_SP_E_clISE_SE_SF_SF_EEDaS13_S14_SK_SP_EUlS13_E_NS1_11comp_targetILNS1_3genE6ELNS1_11target_archE950ELNS1_3gpuE13ELNS1_3repE0EEENS1_47radix_sort_onesweep_sort_config_static_selectorELNS0_4arch9wavefront6targetE1EEEvSK_,comdat
.Lfunc_end892:
	.size	_ZN7rocprim17ROCPRIM_400000_NS6detail17trampoline_kernelINS0_14default_configENS1_35radix_sort_onesweep_config_selectorIyNS0_10empty_typeEEEZZNS1_29radix_sort_onesweep_iterationIS3_Lb0EN6thrust23THRUST_200600_302600_NS6detail15normal_iteratorINS9_10device_ptrIyEEEESE_PS5_SF_jNS0_19identity_decomposerENS1_16block_id_wrapperIjLb0EEEEE10hipError_tT1_PNSt15iterator_traitsISK_E10value_typeET2_T3_PNSL_ISQ_E10value_typeET4_T5_PSV_SW_PNS1_23onesweep_lookback_stateEbbT6_jjT7_P12ihipStream_tbENKUlT_T0_SK_SP_E_clISE_SE_SF_SF_EEDaS13_S14_SK_SP_EUlS13_E_NS1_11comp_targetILNS1_3genE6ELNS1_11target_archE950ELNS1_3gpuE13ELNS1_3repE0EEENS1_47radix_sort_onesweep_sort_config_static_selectorELNS0_4arch9wavefront6targetE1EEEvSK_, .Lfunc_end892-_ZN7rocprim17ROCPRIM_400000_NS6detail17trampoline_kernelINS0_14default_configENS1_35radix_sort_onesweep_config_selectorIyNS0_10empty_typeEEEZZNS1_29radix_sort_onesweep_iterationIS3_Lb0EN6thrust23THRUST_200600_302600_NS6detail15normal_iteratorINS9_10device_ptrIyEEEESE_PS5_SF_jNS0_19identity_decomposerENS1_16block_id_wrapperIjLb0EEEEE10hipError_tT1_PNSt15iterator_traitsISK_E10value_typeET2_T3_PNSL_ISQ_E10value_typeET4_T5_PSV_SW_PNS1_23onesweep_lookback_stateEbbT6_jjT7_P12ihipStream_tbENKUlT_T0_SK_SP_E_clISE_SE_SF_SF_EEDaS13_S14_SK_SP_EUlS13_E_NS1_11comp_targetILNS1_3genE6ELNS1_11target_archE950ELNS1_3gpuE13ELNS1_3repE0EEENS1_47radix_sort_onesweep_sort_config_static_selectorELNS0_4arch9wavefront6targetE1EEEvSK_
                                        ; -- End function
	.section	.AMDGPU.csdata,"",@progbits
; Kernel info:
; codeLenInByte = 0
; NumSgprs: 6
; NumVgprs: 0
; NumAgprs: 0
; TotalNumVgprs: 0
; ScratchSize: 0
; MemoryBound: 0
; FloatMode: 240
; IeeeMode: 1
; LDSByteSize: 0 bytes/workgroup (compile time only)
; SGPRBlocks: 0
; VGPRBlocks: 0
; NumSGPRsForWavesPerEU: 6
; NumVGPRsForWavesPerEU: 1
; AccumOffset: 4
; Occupancy: 8
; WaveLimiterHint : 0
; COMPUTE_PGM_RSRC2:SCRATCH_EN: 0
; COMPUTE_PGM_RSRC2:USER_SGPR: 2
; COMPUTE_PGM_RSRC2:TRAP_HANDLER: 0
; COMPUTE_PGM_RSRC2:TGID_X_EN: 1
; COMPUTE_PGM_RSRC2:TGID_Y_EN: 0
; COMPUTE_PGM_RSRC2:TGID_Z_EN: 0
; COMPUTE_PGM_RSRC2:TIDIG_COMP_CNT: 0
; COMPUTE_PGM_RSRC3_GFX90A:ACCUM_OFFSET: 0
; COMPUTE_PGM_RSRC3_GFX90A:TG_SPLIT: 0
	.section	.text._ZN7rocprim17ROCPRIM_400000_NS6detail17trampoline_kernelINS0_14default_configENS1_35radix_sort_onesweep_config_selectorIyNS0_10empty_typeEEEZZNS1_29radix_sort_onesweep_iterationIS3_Lb0EN6thrust23THRUST_200600_302600_NS6detail15normal_iteratorINS9_10device_ptrIyEEEESE_PS5_SF_jNS0_19identity_decomposerENS1_16block_id_wrapperIjLb0EEEEE10hipError_tT1_PNSt15iterator_traitsISK_E10value_typeET2_T3_PNSL_ISQ_E10value_typeET4_T5_PSV_SW_PNS1_23onesweep_lookback_stateEbbT6_jjT7_P12ihipStream_tbENKUlT_T0_SK_SP_E_clISE_SE_SF_SF_EEDaS13_S14_SK_SP_EUlS13_E_NS1_11comp_targetILNS1_3genE5ELNS1_11target_archE942ELNS1_3gpuE9ELNS1_3repE0EEENS1_47radix_sort_onesweep_sort_config_static_selectorELNS0_4arch9wavefront6targetE1EEEvSK_,"axG",@progbits,_ZN7rocprim17ROCPRIM_400000_NS6detail17trampoline_kernelINS0_14default_configENS1_35radix_sort_onesweep_config_selectorIyNS0_10empty_typeEEEZZNS1_29radix_sort_onesweep_iterationIS3_Lb0EN6thrust23THRUST_200600_302600_NS6detail15normal_iteratorINS9_10device_ptrIyEEEESE_PS5_SF_jNS0_19identity_decomposerENS1_16block_id_wrapperIjLb0EEEEE10hipError_tT1_PNSt15iterator_traitsISK_E10value_typeET2_T3_PNSL_ISQ_E10value_typeET4_T5_PSV_SW_PNS1_23onesweep_lookback_stateEbbT6_jjT7_P12ihipStream_tbENKUlT_T0_SK_SP_E_clISE_SE_SF_SF_EEDaS13_S14_SK_SP_EUlS13_E_NS1_11comp_targetILNS1_3genE5ELNS1_11target_archE942ELNS1_3gpuE9ELNS1_3repE0EEENS1_47radix_sort_onesweep_sort_config_static_selectorELNS0_4arch9wavefront6targetE1EEEvSK_,comdat
	.protected	_ZN7rocprim17ROCPRIM_400000_NS6detail17trampoline_kernelINS0_14default_configENS1_35radix_sort_onesweep_config_selectorIyNS0_10empty_typeEEEZZNS1_29radix_sort_onesweep_iterationIS3_Lb0EN6thrust23THRUST_200600_302600_NS6detail15normal_iteratorINS9_10device_ptrIyEEEESE_PS5_SF_jNS0_19identity_decomposerENS1_16block_id_wrapperIjLb0EEEEE10hipError_tT1_PNSt15iterator_traitsISK_E10value_typeET2_T3_PNSL_ISQ_E10value_typeET4_T5_PSV_SW_PNS1_23onesweep_lookback_stateEbbT6_jjT7_P12ihipStream_tbENKUlT_T0_SK_SP_E_clISE_SE_SF_SF_EEDaS13_S14_SK_SP_EUlS13_E_NS1_11comp_targetILNS1_3genE5ELNS1_11target_archE942ELNS1_3gpuE9ELNS1_3repE0EEENS1_47radix_sort_onesweep_sort_config_static_selectorELNS0_4arch9wavefront6targetE1EEEvSK_ ; -- Begin function _ZN7rocprim17ROCPRIM_400000_NS6detail17trampoline_kernelINS0_14default_configENS1_35radix_sort_onesweep_config_selectorIyNS0_10empty_typeEEEZZNS1_29radix_sort_onesweep_iterationIS3_Lb0EN6thrust23THRUST_200600_302600_NS6detail15normal_iteratorINS9_10device_ptrIyEEEESE_PS5_SF_jNS0_19identity_decomposerENS1_16block_id_wrapperIjLb0EEEEE10hipError_tT1_PNSt15iterator_traitsISK_E10value_typeET2_T3_PNSL_ISQ_E10value_typeET4_T5_PSV_SW_PNS1_23onesweep_lookback_stateEbbT6_jjT7_P12ihipStream_tbENKUlT_T0_SK_SP_E_clISE_SE_SF_SF_EEDaS13_S14_SK_SP_EUlS13_E_NS1_11comp_targetILNS1_3genE5ELNS1_11target_archE942ELNS1_3gpuE9ELNS1_3repE0EEENS1_47radix_sort_onesweep_sort_config_static_selectorELNS0_4arch9wavefront6targetE1EEEvSK_
	.globl	_ZN7rocprim17ROCPRIM_400000_NS6detail17trampoline_kernelINS0_14default_configENS1_35radix_sort_onesweep_config_selectorIyNS0_10empty_typeEEEZZNS1_29radix_sort_onesweep_iterationIS3_Lb0EN6thrust23THRUST_200600_302600_NS6detail15normal_iteratorINS9_10device_ptrIyEEEESE_PS5_SF_jNS0_19identity_decomposerENS1_16block_id_wrapperIjLb0EEEEE10hipError_tT1_PNSt15iterator_traitsISK_E10value_typeET2_T3_PNSL_ISQ_E10value_typeET4_T5_PSV_SW_PNS1_23onesweep_lookback_stateEbbT6_jjT7_P12ihipStream_tbENKUlT_T0_SK_SP_E_clISE_SE_SF_SF_EEDaS13_S14_SK_SP_EUlS13_E_NS1_11comp_targetILNS1_3genE5ELNS1_11target_archE942ELNS1_3gpuE9ELNS1_3repE0EEENS1_47radix_sort_onesweep_sort_config_static_selectorELNS0_4arch9wavefront6targetE1EEEvSK_
	.p2align	8
	.type	_ZN7rocprim17ROCPRIM_400000_NS6detail17trampoline_kernelINS0_14default_configENS1_35radix_sort_onesweep_config_selectorIyNS0_10empty_typeEEEZZNS1_29radix_sort_onesweep_iterationIS3_Lb0EN6thrust23THRUST_200600_302600_NS6detail15normal_iteratorINS9_10device_ptrIyEEEESE_PS5_SF_jNS0_19identity_decomposerENS1_16block_id_wrapperIjLb0EEEEE10hipError_tT1_PNSt15iterator_traitsISK_E10value_typeET2_T3_PNSL_ISQ_E10value_typeET4_T5_PSV_SW_PNS1_23onesweep_lookback_stateEbbT6_jjT7_P12ihipStream_tbENKUlT_T0_SK_SP_E_clISE_SE_SF_SF_EEDaS13_S14_SK_SP_EUlS13_E_NS1_11comp_targetILNS1_3genE5ELNS1_11target_archE942ELNS1_3gpuE9ELNS1_3repE0EEENS1_47radix_sort_onesweep_sort_config_static_selectorELNS0_4arch9wavefront6targetE1EEEvSK_,@function
_ZN7rocprim17ROCPRIM_400000_NS6detail17trampoline_kernelINS0_14default_configENS1_35radix_sort_onesweep_config_selectorIyNS0_10empty_typeEEEZZNS1_29radix_sort_onesweep_iterationIS3_Lb0EN6thrust23THRUST_200600_302600_NS6detail15normal_iteratorINS9_10device_ptrIyEEEESE_PS5_SF_jNS0_19identity_decomposerENS1_16block_id_wrapperIjLb0EEEEE10hipError_tT1_PNSt15iterator_traitsISK_E10value_typeET2_T3_PNSL_ISQ_E10value_typeET4_T5_PSV_SW_PNS1_23onesweep_lookback_stateEbbT6_jjT7_P12ihipStream_tbENKUlT_T0_SK_SP_E_clISE_SE_SF_SF_EEDaS13_S14_SK_SP_EUlS13_E_NS1_11comp_targetILNS1_3genE5ELNS1_11target_archE942ELNS1_3gpuE9ELNS1_3repE0EEENS1_47radix_sort_onesweep_sort_config_static_selectorELNS0_4arch9wavefront6targetE1EEEvSK_: ; @_ZN7rocprim17ROCPRIM_400000_NS6detail17trampoline_kernelINS0_14default_configENS1_35radix_sort_onesweep_config_selectorIyNS0_10empty_typeEEEZZNS1_29radix_sort_onesweep_iterationIS3_Lb0EN6thrust23THRUST_200600_302600_NS6detail15normal_iteratorINS9_10device_ptrIyEEEESE_PS5_SF_jNS0_19identity_decomposerENS1_16block_id_wrapperIjLb0EEEEE10hipError_tT1_PNSt15iterator_traitsISK_E10value_typeET2_T3_PNSL_ISQ_E10value_typeET4_T5_PSV_SW_PNS1_23onesweep_lookback_stateEbbT6_jjT7_P12ihipStream_tbENKUlT_T0_SK_SP_E_clISE_SE_SF_SF_EEDaS13_S14_SK_SP_EUlS13_E_NS1_11comp_targetILNS1_3genE5ELNS1_11target_archE942ELNS1_3gpuE9ELNS1_3repE0EEENS1_47radix_sort_onesweep_sort_config_static_selectorELNS0_4arch9wavefront6targetE1EEEvSK_
; %bb.0:
	s_load_dwordx4 s[20:23], s[0:1], 0x44
	s_load_dwordx2 s[28:29], s[0:1], 0x38
	s_load_dwordx4 s[24:27], s[0:1], 0x0
	s_load_dwordx4 s[16:19], s[0:1], 0x28
	s_mul_i32 s30, s2, 0x1800
	s_waitcnt lgkmcnt(0)
	s_cmp_ge_u32 s2, s22
	v_mbcnt_lo_u32_b32 v1, -1, 0
	s_cbranch_scc0 .LBB893_99
; %bb.1:
	s_load_dword s3, s[0:1], 0x20
	s_mul_i32 s6, s22, 0xffffe800
	s_mov_b32 s31, 0
	v_and_b32_e32 v2, 0x3ff, v0
	s_lshl_b64 s[4:5], s[30:31], 3
	s_waitcnt lgkmcnt(0)
	s_add_i32 s3, s3, s6
	v_mbcnt_hi_u32_b32 v3, -1, v1
	s_add_u32 s4, s24, s4
	v_and_b32_e32 v8, 63, v3
	v_and_b32_e32 v32, 0x1c0, v2
	s_addc_u32 s5, s25, s5
	v_mul_u32_u24_e32 v9, 12, v32
	v_lshlrev_b32_e32 v4, 3, v8
	v_mov_b32_e32 v5, 0
	v_lshl_add_u64 v[6:7], s[4:5], 0, v[4:5]
	v_lshlrev_b32_e32 v4, 3, v9
	v_lshl_add_u64 v[28:29], v[6:7], 0, v[4:5]
	v_or_b32_e32 v30, v8, v9
	v_mov_b64_e32 v[4:5], -1
	v_cmp_gt_u32_e32 vcc, s3, v30
	v_mov_b64_e32 v[6:7], v[4:5]
	s_and_saveexec_b64 s[4:5], vcc
	s_cbranch_execz .LBB893_3
; %bb.2:
	global_load_dwordx2 v[6:7], v[28:29], off
.LBB893_3:
	s_or_b64 exec, exec, s[4:5]
	v_or_b32_e32 v8, 64, v30
	v_cmp_gt_u32_e32 vcc, s3, v8
	s_and_saveexec_b64 s[4:5], vcc
	s_cbranch_execz .LBB893_5
; %bb.4:
	global_load_dwordx2 v[4:5], v[28:29], off offset:512
.LBB893_5:
	s_or_b64 exec, exec, s[4:5]
	v_or_b32_e32 v8, 0x80, v30
	v_cmp_gt_u32_e32 vcc, s3, v8
	v_mov_b64_e32 v[8:9], -1
	v_mov_b64_e32 v[10:11], v[8:9]
	s_and_saveexec_b64 s[4:5], vcc
	s_cbranch_execz .LBB893_7
; %bb.6:
	global_load_dwordx2 v[10:11], v[28:29], off offset:1024
.LBB893_7:
	s_or_b64 exec, exec, s[4:5]
	v_or_b32_e32 v12, 0xc0, v30
	v_cmp_gt_u32_e32 vcc, s3, v12
	s_and_saveexec_b64 s[4:5], vcc
	s_cbranch_execz .LBB893_9
; %bb.8:
	global_load_dwordx2 v[8:9], v[28:29], off offset:1536
.LBB893_9:
	s_or_b64 exec, exec, s[4:5]
	v_add_u32_e32 v12, 0x100, v30
	v_cmp_gt_u32_e32 vcc, s3, v12
	v_mov_b64_e32 v[12:13], -1
	v_mov_b64_e32 v[14:15], v[12:13]
	s_and_saveexec_b64 s[4:5], vcc
	s_cbranch_execz .LBB893_11
; %bb.10:
	global_load_dwordx2 v[14:15], v[28:29], off offset:2048
.LBB893_11:
	s_or_b64 exec, exec, s[4:5]
	v_add_u32_e32 v16, 0x140, v30
	v_cmp_gt_u32_e32 vcc, s3, v16
	s_and_saveexec_b64 s[4:5], vcc
	s_cbranch_execz .LBB893_13
; %bb.12:
	global_load_dwordx2 v[12:13], v[28:29], off offset:2560
.LBB893_13:
	s_or_b64 exec, exec, s[4:5]
	v_add_u32_e32 v16, 0x180, v30
	v_cmp_gt_u32_e32 vcc, s3, v16
	v_mov_b64_e32 v[16:17], -1
	v_mov_b64_e32 v[18:19], v[16:17]
	s_and_saveexec_b64 s[4:5], vcc
	s_cbranch_execz .LBB893_15
; %bb.14:
	global_load_dwordx2 v[18:19], v[28:29], off offset:3072
.LBB893_15:
	s_or_b64 exec, exec, s[4:5]
	v_add_u32_e32 v20, 0x1c0, v30
	v_cmp_gt_u32_e32 vcc, s3, v20
	s_and_saveexec_b64 s[4:5], vcc
	s_cbranch_execz .LBB893_17
; %bb.16:
	global_load_dwordx2 v[16:17], v[28:29], off offset:3584
.LBB893_17:
	s_or_b64 exec, exec, s[4:5]
	v_add_u32_e32 v20, 0x200, v30
	v_cmp_gt_u32_e32 vcc, s3, v20
	v_mov_b64_e32 v[20:21], -1
	v_mov_b64_e32 v[22:23], v[20:21]
	s_and_saveexec_b64 s[4:5], vcc
	s_cbranch_execz .LBB893_19
; %bb.18:
	v_add_co_u32_e32 v22, vcc, 0x1000, v28
	s_nop 1
	v_addc_co_u32_e32 v23, vcc, 0, v29, vcc
	global_load_dwordx2 v[22:23], v[22:23], off
.LBB893_19:
	s_or_b64 exec, exec, s[4:5]
	v_add_u32_e32 v24, 0x240, v30
	v_cmp_gt_u32_e32 vcc, s3, v24
	s_and_saveexec_b64 s[4:5], vcc
	s_cbranch_execz .LBB893_21
; %bb.20:
	v_add_co_u32_e32 v20, vcc, 0x1000, v28
	s_nop 1
	v_addc_co_u32_e32 v21, vcc, 0, v29, vcc
	global_load_dwordx2 v[20:21], v[20:21], off offset:512
.LBB893_21:
	s_or_b64 exec, exec, s[4:5]
	v_add_u32_e32 v24, 0x280, v30
	v_cmp_gt_u32_e32 vcc, s3, v24
	v_mov_b64_e32 v[24:25], -1
	v_mov_b64_e32 v[26:27], v[24:25]
	s_and_saveexec_b64 s[4:5], vcc
	s_cbranch_execz .LBB893_23
; %bb.22:
	v_add_co_u32_e32 v26, vcc, 0x1000, v28
	s_nop 1
	v_addc_co_u32_e32 v27, vcc, 0, v29, vcc
	global_load_dwordx2 v[26:27], v[26:27], off offset:1024
.LBB893_23:
	s_or_b64 exec, exec, s[4:5]
	v_add_u32_e32 v30, 0x2c0, v30
	v_cmp_gt_u32_e32 vcc, s3, v30
	s_and_saveexec_b64 s[4:5], vcc
	s_cbranch_execz .LBB893_25
; %bb.24:
	v_add_co_u32_e32 v24, vcc, 0x1000, v28
	s_nop 1
	v_addc_co_u32_e32 v25, vcc, 0, v29, vcc
	global_load_dwordx2 v[24:25], v[24:25], off offset:1536
.LBB893_25:
	s_or_b64 exec, exec, s[4:5]
	s_load_dword s4, s[0:1], 0x64
	s_load_dword s22, s[0:1], 0x58
	s_add_u32 s5, s0, 0x58
	s_addc_u32 s6, s1, 0
	v_mov_b32_e32 v29, 0
	s_waitcnt lgkmcnt(0)
	s_lshr_b32 s7, s4, 16
	s_cmp_lt_u32 s2, s22
	s_cselect_b32 s4, 12, 18
	s_add_u32 s4, s5, s4
	s_addc_u32 s5, s6, 0
	global_load_ushort v48, v29, s[4:5]
	s_lshl_b32 s4, -1, s21
	s_waitcnt vmcnt(1)
	v_lshrrev_b64 v[30:31], s20, v[6:7]
	s_not_b32 s23, s4
	v_bfe_u32 v28, v0, 10, 10
	v_bfe_u32 v35, v0, 20, 10
	v_and_b32_e32 v30, s23, v30
	v_mad_u32_u24 v49, v35, s7, v28
	v_and_b32_e32 v28, 1, v30
	v_lshlrev_b32_e32 v35, 30, v30
	v_mov_b32_e32 v34, v29
	v_mov_b32_e32 v38, v29
	v_lshlrev_b32_e32 v37, 29, v30
	v_lshlrev_b32_e32 v39, 28, v30
	v_lshl_add_u64 v[46:47], v[28:29], 0, -1
	v_cmp_ne_u32_e32 vcc, 0, v28
	v_not_b32_e32 v28, v35
	v_mov_b32_e32 v36, v29
	v_mov_b32_e32 v40, v29
	v_lshl_add_u32 v50, v30, 3, v30
	v_lshlrev_b32_e32 v41, 27, v30
	v_lshlrev_b32_e32 v43, 26, v30
	;; [unrolled: 1-line block ×4, first 2 shown]
	v_cmp_gt_i64_e64 s[4:5], 0, v[34:35]
	v_not_b32_e32 v30, v37
	v_cmp_gt_i64_e64 s[8:9], 0, v[38:39]
	v_xor_b32_e32 v38, vcc_hi, v47
	v_ashrrev_i32_e32 v28, 31, v28
	v_cmp_gt_i64_e64 s[6:7], 0, v[36:37]
	v_not_b32_e32 v34, v39
	v_cmp_gt_i64_e64 s[10:11], 0, v[40:41]
	v_xor_b32_e32 v39, vcc_lo, v46
	v_ashrrev_i32_e32 v30, 31, v30
	v_and_b32_e32 v38, exec_hi, v38
	v_xor_b32_e32 v40, s5, v28
	v_mov_b32_e32 v42, v29
	v_not_b32_e32 v35, v41
	v_ashrrev_i32_e32 v34, 31, v34
	v_and_b32_e32 v39, exec_lo, v39
	v_xor_b32_e32 v28, s4, v28
	v_xor_b32_e32 v41, s7, v30
	v_and_b32_e32 v38, v38, v40
	v_cmp_gt_i64_e64 s[12:13], 0, v[42:43]
	v_not_b32_e32 v36, v43
	v_ashrrev_i32_e32 v35, 31, v35
	v_xor_b32_e32 v30, s6, v30
	v_xor_b32_e32 v42, s9, v34
	v_and_b32_e32 v28, v39, v28
	v_and_b32_e32 v38, v38, v41
	v_mov_b32_e32 v44, v29
	v_not_b32_e32 v37, v45
	v_ashrrev_i32_e32 v36, 31, v36
	v_xor_b32_e32 v34, s8, v34
	v_xor_b32_e32 v43, s11, v35
	v_and_b32_e32 v28, v28, v30
	v_and_b32_e32 v30, v38, v42
	v_cmp_gt_i64_e64 s[14:15], 0, v[44:45]
	v_ashrrev_i32_e32 v37, 31, v37
	v_xor_b32_e32 v35, s10, v35
	v_xor_b32_e32 v44, s13, v36
	v_and_b32_e32 v28, v28, v34
	v_and_b32_e32 v30, v30, v43
	v_xor_b32_e32 v36, s12, v36
	v_xor_b32_e32 v45, s15, v37
	v_and_b32_e32 v28, v28, v35
	v_and_b32_e32 v30, v30, v44
	;; [unrolled: 1-line block ×4, first 2 shown]
	v_mov_b32_e32 v30, v29
	v_cmp_gt_i64_e32 vcc, 0, v[30:31]
	v_not_b32_e32 v30, v31
	v_xor_b32_e32 v37, s14, v37
	v_ashrrev_i32_e32 v30, 31, v30
	v_and_b32_e32 v28, v28, v37
	v_xor_b32_e32 v31, vcc_hi, v30
	v_xor_b32_e32 v30, vcc_lo, v30
	v_and_b32_e32 v30, v28, v30
	v_and_b32_e32 v31, v36, v31
	v_mbcnt_lo_u32_b32 v28, v30, 0
	s_waitcnt vmcnt(0)
	v_mad_u64_u32 v[34:35], s[4:5], v49, v48, v[2:3]
	v_mbcnt_hi_u32_b32 v35, v31, v28
	v_mul_u32_u24_e32 v33, 5, v2
	v_lshrrev_b32_e32 v45, 6, v34
	v_cmp_eq_u32_e32 vcc, 0, v35
	v_cmp_ne_u64_e64 s[4:5], 0, v[30:31]
	v_lshlrev_b32_e32 v33, 2, v33
	v_add_lshl_u32 v38, v45, v50, 2
	s_and_b64 s[6:7], s[4:5], vcc
	ds_write2_b32 v33, v29, v29 offset0:8 offset1:9
	ds_write2_b32 v33, v29, v29 offset0:10 offset1:11
	ds_write_b32 v33, v29 offset:48
	s_waitcnt lgkmcnt(0)
	s_barrier
	s_waitcnt lgkmcnt(0)
	; wave barrier
	s_and_saveexec_b64 s[4:5], s[6:7]
	s_cbranch_execz .LBB893_27
; %bb.26:
	v_bcnt_u32_b32 v28, v30, 0
	v_bcnt_u32_b32 v28, v31, v28
	ds_write_b32 v38, v28 offset:32
.LBB893_27:
	s_or_b64 exec, exec, s[4:5]
	v_lshrrev_b64 v[30:31], s20, v[4:5]
	v_and_b32_e32 v36, s23, v30
	v_lshl_add_u32 v28, v36, 3, v36
	v_add_lshl_u32 v39, v45, v28, 2
	v_and_b32_e32 v28, 1, v36
	v_lshl_add_u64 v[30:31], v[28:29], 0, -1
	v_cmp_ne_u32_e32 vcc, 0, v28
	; wave barrier
	s_nop 1
	v_xor_b32_e32 v30, vcc_lo, v30
	v_xor_b32_e32 v28, vcc_hi, v31
	v_and_b32_e32 v37, exec_lo, v30
	v_lshlrev_b32_e32 v31, 30, v36
	v_mov_b32_e32 v30, v29
	v_cmp_gt_i64_e32 vcc, 0, v[30:31]
	v_not_b32_e32 v30, v31
	v_ashrrev_i32_e32 v30, 31, v30
	v_and_b32_e32 v28, exec_hi, v28
	v_xor_b32_e32 v31, vcc_hi, v30
	v_xor_b32_e32 v30, vcc_lo, v30
	v_and_b32_e32 v28, v28, v31
	v_and_b32_e32 v37, v37, v30
	v_lshlrev_b32_e32 v31, 29, v36
	v_mov_b32_e32 v30, v29
	v_cmp_gt_i64_e32 vcc, 0, v[30:31]
	v_not_b32_e32 v30, v31
	v_ashrrev_i32_e32 v30, 31, v30
	v_xor_b32_e32 v31, vcc_hi, v30
	v_xor_b32_e32 v30, vcc_lo, v30
	v_and_b32_e32 v28, v28, v31
	v_and_b32_e32 v37, v37, v30
	v_lshlrev_b32_e32 v31, 28, v36
	v_mov_b32_e32 v30, v29
	v_cmp_gt_i64_e32 vcc, 0, v[30:31]
	v_not_b32_e32 v30, v31
	v_ashrrev_i32_e32 v30, 31, v30
	;; [unrolled: 9-line block ×5, first 2 shown]
	v_xor_b32_e32 v31, vcc_hi, v30
	v_xor_b32_e32 v30, vcc_lo, v30
	v_and_b32_e32 v28, v28, v31
	v_lshlrev_b32_e32 v31, 24, v36
	v_and_b32_e32 v37, v37, v30
	v_mov_b32_e32 v30, v29
	v_not_b32_e32 v29, v31
	v_cmp_gt_i64_e32 vcc, 0, v[30:31]
	v_ashrrev_i32_e32 v29, 31, v29
	ds_read_b32 v34, v39 offset:32
	v_xor_b32_e32 v30, vcc_hi, v29
	v_xor_b32_e32 v31, vcc_lo, v29
	v_and_b32_e32 v29, v28, v30
	v_and_b32_e32 v28, v37, v31
	v_mbcnt_lo_u32_b32 v30, v28, 0
	v_mbcnt_hi_u32_b32 v36, v29, v30
	v_cmp_eq_u32_e32 vcc, 0, v36
	v_cmp_ne_u64_e64 s[4:5], 0, v[28:29]
	s_and_b64 s[6:7], s[4:5], vcc
	; wave barrier
	s_and_saveexec_b64 s[4:5], s[6:7]
	s_cbranch_execz .LBB893_29
; %bb.28:
	v_bcnt_u32_b32 v28, v28, 0
	v_bcnt_u32_b32 v28, v29, v28
	s_waitcnt lgkmcnt(0)
	v_add_u32_e32 v28, v34, v28
	ds_write_b32 v39, v28 offset:32
.LBB893_29:
	s_or_b64 exec, exec, s[4:5]
	v_lshrrev_b64 v[28:29], s20, v[10:11]
	v_and_b32_e32 v40, s23, v28
	v_lshl_add_u32 v28, v40, 3, v40
	v_add_lshl_u32 v42, v45, v28, 2
	v_and_b32_e32 v28, 1, v40
	v_mov_b32_e32 v29, 0
	v_lshl_add_u64 v[30:31], v[28:29], 0, -1
	v_cmp_ne_u32_e32 vcc, 0, v28
	; wave barrier
	s_nop 1
	v_xor_b32_e32 v30, vcc_lo, v30
	v_xor_b32_e32 v28, vcc_hi, v31
	v_and_b32_e32 v41, exec_lo, v30
	v_lshlrev_b32_e32 v31, 30, v40
	v_mov_b32_e32 v30, v29
	v_cmp_gt_i64_e32 vcc, 0, v[30:31]
	v_not_b32_e32 v30, v31
	v_ashrrev_i32_e32 v30, 31, v30
	v_and_b32_e32 v28, exec_hi, v28
	v_xor_b32_e32 v31, vcc_hi, v30
	v_xor_b32_e32 v30, vcc_lo, v30
	v_and_b32_e32 v28, v28, v31
	v_and_b32_e32 v41, v41, v30
	v_lshlrev_b32_e32 v31, 29, v40
	v_mov_b32_e32 v30, v29
	v_cmp_gt_i64_e32 vcc, 0, v[30:31]
	v_not_b32_e32 v30, v31
	v_ashrrev_i32_e32 v30, 31, v30
	v_xor_b32_e32 v31, vcc_hi, v30
	v_xor_b32_e32 v30, vcc_lo, v30
	v_and_b32_e32 v28, v28, v31
	v_and_b32_e32 v41, v41, v30
	v_lshlrev_b32_e32 v31, 28, v40
	v_mov_b32_e32 v30, v29
	v_cmp_gt_i64_e32 vcc, 0, v[30:31]
	v_not_b32_e32 v30, v31
	v_ashrrev_i32_e32 v30, 31, v30
	;; [unrolled: 9-line block ×6, first 2 shown]
	v_xor_b32_e32 v31, vcc_hi, v30
	v_xor_b32_e32 v30, vcc_lo, v30
	ds_read_b32 v37, v42 offset:32
	v_and_b32_e32 v30, v41, v30
	v_and_b32_e32 v31, v28, v31
	v_mbcnt_lo_u32_b32 v28, v30, 0
	v_mbcnt_hi_u32_b32 v40, v31, v28
	v_cmp_eq_u32_e32 vcc, 0, v40
	v_cmp_ne_u64_e64 s[4:5], 0, v[30:31]
	s_and_b64 s[6:7], s[4:5], vcc
	; wave barrier
	s_and_saveexec_b64 s[4:5], s[6:7]
	s_cbranch_execz .LBB893_31
; %bb.30:
	v_bcnt_u32_b32 v28, v30, 0
	v_bcnt_u32_b32 v28, v31, v28
	s_waitcnt lgkmcnt(0)
	v_add_u32_e32 v28, v37, v28
	ds_write_b32 v42, v28 offset:32
.LBB893_31:
	s_or_b64 exec, exec, s[4:5]
	v_lshrrev_b64 v[30:31], s20, v[8:9]
	v_and_b32_e32 v43, s23, v30
	v_lshl_add_u32 v28, v43, 3, v43
	v_add_lshl_u32 v46, v45, v28, 2
	v_and_b32_e32 v28, 1, v43
	v_lshl_add_u64 v[30:31], v[28:29], 0, -1
	v_cmp_ne_u32_e32 vcc, 0, v28
	; wave barrier
	s_nop 1
	v_xor_b32_e32 v30, vcc_lo, v30
	v_xor_b32_e32 v28, vcc_hi, v31
	v_and_b32_e32 v44, exec_lo, v30
	v_lshlrev_b32_e32 v31, 30, v43
	v_mov_b32_e32 v30, v29
	v_cmp_gt_i64_e32 vcc, 0, v[30:31]
	v_not_b32_e32 v30, v31
	v_ashrrev_i32_e32 v30, 31, v30
	v_and_b32_e32 v28, exec_hi, v28
	v_xor_b32_e32 v31, vcc_hi, v30
	v_xor_b32_e32 v30, vcc_lo, v30
	v_and_b32_e32 v28, v28, v31
	v_and_b32_e32 v44, v44, v30
	v_lshlrev_b32_e32 v31, 29, v43
	v_mov_b32_e32 v30, v29
	v_cmp_gt_i64_e32 vcc, 0, v[30:31]
	v_not_b32_e32 v30, v31
	v_ashrrev_i32_e32 v30, 31, v30
	v_xor_b32_e32 v31, vcc_hi, v30
	v_xor_b32_e32 v30, vcc_lo, v30
	v_and_b32_e32 v28, v28, v31
	v_and_b32_e32 v44, v44, v30
	v_lshlrev_b32_e32 v31, 28, v43
	v_mov_b32_e32 v30, v29
	v_cmp_gt_i64_e32 vcc, 0, v[30:31]
	v_not_b32_e32 v30, v31
	v_ashrrev_i32_e32 v30, 31, v30
	;; [unrolled: 9-line block ×5, first 2 shown]
	v_xor_b32_e32 v31, vcc_hi, v30
	v_xor_b32_e32 v30, vcc_lo, v30
	v_and_b32_e32 v28, v28, v31
	v_lshlrev_b32_e32 v31, 24, v43
	v_and_b32_e32 v44, v44, v30
	v_mov_b32_e32 v30, v29
	v_not_b32_e32 v29, v31
	v_cmp_gt_i64_e32 vcc, 0, v[30:31]
	v_ashrrev_i32_e32 v29, 31, v29
	ds_read_b32 v41, v46 offset:32
	v_xor_b32_e32 v30, vcc_hi, v29
	v_xor_b32_e32 v31, vcc_lo, v29
	v_and_b32_e32 v29, v28, v30
	v_and_b32_e32 v28, v44, v31
	v_mbcnt_lo_u32_b32 v30, v28, 0
	v_mbcnt_hi_u32_b32 v43, v29, v30
	v_cmp_eq_u32_e32 vcc, 0, v43
	v_cmp_ne_u64_e64 s[4:5], 0, v[28:29]
	s_and_b64 s[6:7], s[4:5], vcc
	; wave barrier
	s_and_saveexec_b64 s[4:5], s[6:7]
	s_cbranch_execz .LBB893_33
; %bb.32:
	v_bcnt_u32_b32 v28, v28, 0
	v_bcnt_u32_b32 v28, v29, v28
	s_waitcnt lgkmcnt(0)
	v_add_u32_e32 v28, v41, v28
	ds_write_b32 v46, v28 offset:32
.LBB893_33:
	s_or_b64 exec, exec, s[4:5]
	v_lshrrev_b64 v[28:29], s20, v[14:15]
	v_and_b32_e32 v47, s23, v28
	v_lshl_add_u32 v28, v47, 3, v47
	v_add_lshl_u32 v49, v45, v28, 2
	v_and_b32_e32 v28, 1, v47
	v_mov_b32_e32 v29, 0
	v_lshl_add_u64 v[30:31], v[28:29], 0, -1
	v_cmp_ne_u32_e32 vcc, 0, v28
	; wave barrier
	s_nop 1
	v_xor_b32_e32 v30, vcc_lo, v30
	v_xor_b32_e32 v28, vcc_hi, v31
	v_and_b32_e32 v48, exec_lo, v30
	v_lshlrev_b32_e32 v31, 30, v47
	v_mov_b32_e32 v30, v29
	v_cmp_gt_i64_e32 vcc, 0, v[30:31]
	v_not_b32_e32 v30, v31
	v_ashrrev_i32_e32 v30, 31, v30
	v_and_b32_e32 v28, exec_hi, v28
	v_xor_b32_e32 v31, vcc_hi, v30
	v_xor_b32_e32 v30, vcc_lo, v30
	v_and_b32_e32 v28, v28, v31
	v_and_b32_e32 v48, v48, v30
	v_lshlrev_b32_e32 v31, 29, v47
	v_mov_b32_e32 v30, v29
	v_cmp_gt_i64_e32 vcc, 0, v[30:31]
	v_not_b32_e32 v30, v31
	v_ashrrev_i32_e32 v30, 31, v30
	v_xor_b32_e32 v31, vcc_hi, v30
	v_xor_b32_e32 v30, vcc_lo, v30
	v_and_b32_e32 v28, v28, v31
	v_and_b32_e32 v48, v48, v30
	v_lshlrev_b32_e32 v31, 28, v47
	v_mov_b32_e32 v30, v29
	v_cmp_gt_i64_e32 vcc, 0, v[30:31]
	v_not_b32_e32 v30, v31
	v_ashrrev_i32_e32 v30, 31, v30
	;; [unrolled: 9-line block ×6, first 2 shown]
	v_xor_b32_e32 v31, vcc_hi, v30
	v_xor_b32_e32 v30, vcc_lo, v30
	ds_read_b32 v44, v49 offset:32
	v_and_b32_e32 v30, v48, v30
	v_and_b32_e32 v31, v28, v31
	v_mbcnt_lo_u32_b32 v28, v30, 0
	v_mbcnt_hi_u32_b32 v47, v31, v28
	v_cmp_eq_u32_e32 vcc, 0, v47
	v_cmp_ne_u64_e64 s[4:5], 0, v[30:31]
	s_and_b64 s[6:7], s[4:5], vcc
	; wave barrier
	s_and_saveexec_b64 s[4:5], s[6:7]
	s_cbranch_execz .LBB893_35
; %bb.34:
	v_bcnt_u32_b32 v28, v30, 0
	v_bcnt_u32_b32 v28, v31, v28
	s_waitcnt lgkmcnt(0)
	v_add_u32_e32 v28, v44, v28
	ds_write_b32 v49, v28 offset:32
.LBB893_35:
	s_or_b64 exec, exec, s[4:5]
	v_lshrrev_b64 v[30:31], s20, v[12:13]
	v_and_b32_e32 v50, s23, v30
	v_lshl_add_u32 v28, v50, 3, v50
	v_add_lshl_u32 v52, v45, v28, 2
	v_and_b32_e32 v28, 1, v50
	v_lshl_add_u64 v[30:31], v[28:29], 0, -1
	v_cmp_ne_u32_e32 vcc, 0, v28
	; wave barrier
	s_nop 1
	v_xor_b32_e32 v30, vcc_lo, v30
	v_xor_b32_e32 v28, vcc_hi, v31
	v_and_b32_e32 v51, exec_lo, v30
	v_lshlrev_b32_e32 v31, 30, v50
	v_mov_b32_e32 v30, v29
	v_cmp_gt_i64_e32 vcc, 0, v[30:31]
	v_not_b32_e32 v30, v31
	v_ashrrev_i32_e32 v30, 31, v30
	v_and_b32_e32 v28, exec_hi, v28
	v_xor_b32_e32 v31, vcc_hi, v30
	v_xor_b32_e32 v30, vcc_lo, v30
	v_and_b32_e32 v28, v28, v31
	v_and_b32_e32 v51, v51, v30
	v_lshlrev_b32_e32 v31, 29, v50
	v_mov_b32_e32 v30, v29
	v_cmp_gt_i64_e32 vcc, 0, v[30:31]
	v_not_b32_e32 v30, v31
	v_ashrrev_i32_e32 v30, 31, v30
	v_xor_b32_e32 v31, vcc_hi, v30
	v_xor_b32_e32 v30, vcc_lo, v30
	v_and_b32_e32 v28, v28, v31
	v_and_b32_e32 v51, v51, v30
	v_lshlrev_b32_e32 v31, 28, v50
	v_mov_b32_e32 v30, v29
	v_cmp_gt_i64_e32 vcc, 0, v[30:31]
	v_not_b32_e32 v30, v31
	v_ashrrev_i32_e32 v30, 31, v30
	;; [unrolled: 9-line block ×5, first 2 shown]
	v_xor_b32_e32 v31, vcc_hi, v30
	v_xor_b32_e32 v30, vcc_lo, v30
	v_and_b32_e32 v28, v28, v31
	v_lshlrev_b32_e32 v31, 24, v50
	v_and_b32_e32 v51, v51, v30
	v_mov_b32_e32 v30, v29
	v_not_b32_e32 v29, v31
	v_cmp_gt_i64_e32 vcc, 0, v[30:31]
	v_ashrrev_i32_e32 v29, 31, v29
	ds_read_b32 v48, v52 offset:32
	v_xor_b32_e32 v30, vcc_hi, v29
	v_xor_b32_e32 v31, vcc_lo, v29
	v_and_b32_e32 v29, v28, v30
	v_and_b32_e32 v28, v51, v31
	v_mbcnt_lo_u32_b32 v30, v28, 0
	v_mbcnt_hi_u32_b32 v50, v29, v30
	v_cmp_eq_u32_e32 vcc, 0, v50
	v_cmp_ne_u64_e64 s[4:5], 0, v[28:29]
	s_and_b64 s[6:7], s[4:5], vcc
	; wave barrier
	s_and_saveexec_b64 s[4:5], s[6:7]
	s_cbranch_execz .LBB893_37
; %bb.36:
	v_bcnt_u32_b32 v28, v28, 0
	v_bcnt_u32_b32 v28, v29, v28
	s_waitcnt lgkmcnt(0)
	v_add_u32_e32 v28, v48, v28
	ds_write_b32 v52, v28 offset:32
.LBB893_37:
	s_or_b64 exec, exec, s[4:5]
	v_lshrrev_b64 v[28:29], s20, v[18:19]
	v_and_b32_e32 v53, s23, v28
	v_lshl_add_u32 v28, v53, 3, v53
	v_add_lshl_u32 v55, v45, v28, 2
	v_and_b32_e32 v28, 1, v53
	v_mov_b32_e32 v29, 0
	v_lshl_add_u64 v[30:31], v[28:29], 0, -1
	v_cmp_ne_u32_e32 vcc, 0, v28
	; wave barrier
	s_nop 1
	v_xor_b32_e32 v30, vcc_lo, v30
	v_xor_b32_e32 v28, vcc_hi, v31
	v_and_b32_e32 v54, exec_lo, v30
	v_lshlrev_b32_e32 v31, 30, v53
	v_mov_b32_e32 v30, v29
	v_cmp_gt_i64_e32 vcc, 0, v[30:31]
	v_not_b32_e32 v30, v31
	v_ashrrev_i32_e32 v30, 31, v30
	v_and_b32_e32 v28, exec_hi, v28
	v_xor_b32_e32 v31, vcc_hi, v30
	v_xor_b32_e32 v30, vcc_lo, v30
	v_and_b32_e32 v28, v28, v31
	v_and_b32_e32 v54, v54, v30
	v_lshlrev_b32_e32 v31, 29, v53
	v_mov_b32_e32 v30, v29
	v_cmp_gt_i64_e32 vcc, 0, v[30:31]
	v_not_b32_e32 v30, v31
	v_ashrrev_i32_e32 v30, 31, v30
	v_xor_b32_e32 v31, vcc_hi, v30
	v_xor_b32_e32 v30, vcc_lo, v30
	v_and_b32_e32 v28, v28, v31
	v_and_b32_e32 v54, v54, v30
	v_lshlrev_b32_e32 v31, 28, v53
	v_mov_b32_e32 v30, v29
	v_cmp_gt_i64_e32 vcc, 0, v[30:31]
	v_not_b32_e32 v30, v31
	v_ashrrev_i32_e32 v30, 31, v30
	;; [unrolled: 9-line block ×6, first 2 shown]
	v_xor_b32_e32 v31, vcc_hi, v30
	v_xor_b32_e32 v30, vcc_lo, v30
	ds_read_b32 v51, v55 offset:32
	v_and_b32_e32 v30, v54, v30
	v_and_b32_e32 v31, v28, v31
	v_mbcnt_lo_u32_b32 v28, v30, 0
	v_mbcnt_hi_u32_b32 v53, v31, v28
	v_cmp_eq_u32_e32 vcc, 0, v53
	v_cmp_ne_u64_e64 s[4:5], 0, v[30:31]
	s_and_b64 s[6:7], s[4:5], vcc
	; wave barrier
	s_and_saveexec_b64 s[4:5], s[6:7]
	s_cbranch_execz .LBB893_39
; %bb.38:
	v_bcnt_u32_b32 v28, v30, 0
	v_bcnt_u32_b32 v28, v31, v28
	s_waitcnt lgkmcnt(0)
	v_add_u32_e32 v28, v51, v28
	ds_write_b32 v55, v28 offset:32
.LBB893_39:
	s_or_b64 exec, exec, s[4:5]
	v_lshrrev_b64 v[30:31], s20, v[16:17]
	v_and_b32_e32 v56, s23, v30
	v_lshl_add_u32 v28, v56, 3, v56
	v_add_lshl_u32 v58, v45, v28, 2
	v_and_b32_e32 v28, 1, v56
	v_lshl_add_u64 v[30:31], v[28:29], 0, -1
	v_cmp_ne_u32_e32 vcc, 0, v28
	; wave barrier
	s_nop 1
	v_xor_b32_e32 v30, vcc_lo, v30
	v_xor_b32_e32 v28, vcc_hi, v31
	v_and_b32_e32 v57, exec_lo, v30
	v_lshlrev_b32_e32 v31, 30, v56
	v_mov_b32_e32 v30, v29
	v_cmp_gt_i64_e32 vcc, 0, v[30:31]
	v_not_b32_e32 v30, v31
	v_ashrrev_i32_e32 v30, 31, v30
	v_and_b32_e32 v28, exec_hi, v28
	v_xor_b32_e32 v31, vcc_hi, v30
	v_xor_b32_e32 v30, vcc_lo, v30
	v_and_b32_e32 v28, v28, v31
	v_and_b32_e32 v57, v57, v30
	v_lshlrev_b32_e32 v31, 29, v56
	v_mov_b32_e32 v30, v29
	v_cmp_gt_i64_e32 vcc, 0, v[30:31]
	v_not_b32_e32 v30, v31
	v_ashrrev_i32_e32 v30, 31, v30
	v_xor_b32_e32 v31, vcc_hi, v30
	v_xor_b32_e32 v30, vcc_lo, v30
	v_and_b32_e32 v28, v28, v31
	v_and_b32_e32 v57, v57, v30
	v_lshlrev_b32_e32 v31, 28, v56
	v_mov_b32_e32 v30, v29
	v_cmp_gt_i64_e32 vcc, 0, v[30:31]
	v_not_b32_e32 v30, v31
	v_ashrrev_i32_e32 v30, 31, v30
	;; [unrolled: 9-line block ×5, first 2 shown]
	v_xor_b32_e32 v31, vcc_hi, v30
	v_xor_b32_e32 v30, vcc_lo, v30
	v_and_b32_e32 v28, v28, v31
	v_lshlrev_b32_e32 v31, 24, v56
	v_and_b32_e32 v57, v57, v30
	v_mov_b32_e32 v30, v29
	v_not_b32_e32 v29, v31
	v_cmp_gt_i64_e32 vcc, 0, v[30:31]
	v_ashrrev_i32_e32 v29, 31, v29
	ds_read_b32 v54, v58 offset:32
	v_xor_b32_e32 v30, vcc_hi, v29
	v_xor_b32_e32 v31, vcc_lo, v29
	v_and_b32_e32 v29, v28, v30
	v_and_b32_e32 v28, v57, v31
	v_mbcnt_lo_u32_b32 v30, v28, 0
	v_mbcnt_hi_u32_b32 v56, v29, v30
	v_cmp_eq_u32_e32 vcc, 0, v56
	v_cmp_ne_u64_e64 s[4:5], 0, v[28:29]
	s_and_b64 s[6:7], s[4:5], vcc
	; wave barrier
	s_and_saveexec_b64 s[4:5], s[6:7]
	s_cbranch_execz .LBB893_41
; %bb.40:
	v_bcnt_u32_b32 v28, v28, 0
	v_bcnt_u32_b32 v28, v29, v28
	s_waitcnt lgkmcnt(0)
	v_add_u32_e32 v28, v54, v28
	ds_write_b32 v58, v28 offset:32
.LBB893_41:
	s_or_b64 exec, exec, s[4:5]
	v_lshrrev_b64 v[28:29], s20, v[22:23]
	v_and_b32_e32 v59, s23, v28
	v_lshl_add_u32 v28, v59, 3, v59
	v_add_lshl_u32 v61, v45, v28, 2
	v_and_b32_e32 v28, 1, v59
	v_mov_b32_e32 v29, 0
	v_lshl_add_u64 v[30:31], v[28:29], 0, -1
	v_cmp_ne_u32_e32 vcc, 0, v28
	; wave barrier
	s_nop 1
	v_xor_b32_e32 v30, vcc_lo, v30
	v_xor_b32_e32 v28, vcc_hi, v31
	v_and_b32_e32 v60, exec_lo, v30
	v_lshlrev_b32_e32 v31, 30, v59
	v_mov_b32_e32 v30, v29
	v_cmp_gt_i64_e32 vcc, 0, v[30:31]
	v_not_b32_e32 v30, v31
	v_ashrrev_i32_e32 v30, 31, v30
	v_and_b32_e32 v28, exec_hi, v28
	v_xor_b32_e32 v31, vcc_hi, v30
	v_xor_b32_e32 v30, vcc_lo, v30
	v_and_b32_e32 v28, v28, v31
	v_and_b32_e32 v60, v60, v30
	v_lshlrev_b32_e32 v31, 29, v59
	v_mov_b32_e32 v30, v29
	v_cmp_gt_i64_e32 vcc, 0, v[30:31]
	v_not_b32_e32 v30, v31
	v_ashrrev_i32_e32 v30, 31, v30
	v_xor_b32_e32 v31, vcc_hi, v30
	v_xor_b32_e32 v30, vcc_lo, v30
	v_and_b32_e32 v28, v28, v31
	v_and_b32_e32 v60, v60, v30
	v_lshlrev_b32_e32 v31, 28, v59
	v_mov_b32_e32 v30, v29
	v_cmp_gt_i64_e32 vcc, 0, v[30:31]
	v_not_b32_e32 v30, v31
	v_ashrrev_i32_e32 v30, 31, v30
	;; [unrolled: 9-line block ×6, first 2 shown]
	v_xor_b32_e32 v31, vcc_hi, v30
	v_xor_b32_e32 v30, vcc_lo, v30
	ds_read_b32 v57, v61 offset:32
	v_and_b32_e32 v30, v60, v30
	v_and_b32_e32 v31, v28, v31
	v_mbcnt_lo_u32_b32 v28, v30, 0
	v_mbcnt_hi_u32_b32 v59, v31, v28
	v_cmp_eq_u32_e32 vcc, 0, v59
	v_cmp_ne_u64_e64 s[4:5], 0, v[30:31]
	s_and_b64 s[6:7], s[4:5], vcc
	; wave barrier
	s_and_saveexec_b64 s[4:5], s[6:7]
	s_cbranch_execz .LBB893_43
; %bb.42:
	v_bcnt_u32_b32 v28, v30, 0
	v_bcnt_u32_b32 v28, v31, v28
	s_waitcnt lgkmcnt(0)
	v_add_u32_e32 v28, v57, v28
	ds_write_b32 v61, v28 offset:32
.LBB893_43:
	s_or_b64 exec, exec, s[4:5]
	v_lshrrev_b64 v[30:31], s20, v[20:21]
	v_and_b32_e32 v62, s23, v30
	v_lshl_add_u32 v28, v62, 3, v62
	v_add_lshl_u32 v64, v45, v28, 2
	v_and_b32_e32 v28, 1, v62
	v_lshl_add_u64 v[30:31], v[28:29], 0, -1
	v_cmp_ne_u32_e32 vcc, 0, v28
	; wave barrier
	s_nop 1
	v_xor_b32_e32 v30, vcc_lo, v30
	v_xor_b32_e32 v28, vcc_hi, v31
	v_and_b32_e32 v63, exec_lo, v30
	v_lshlrev_b32_e32 v31, 30, v62
	v_mov_b32_e32 v30, v29
	v_cmp_gt_i64_e32 vcc, 0, v[30:31]
	v_not_b32_e32 v30, v31
	v_ashrrev_i32_e32 v30, 31, v30
	v_and_b32_e32 v28, exec_hi, v28
	v_xor_b32_e32 v31, vcc_hi, v30
	v_xor_b32_e32 v30, vcc_lo, v30
	v_and_b32_e32 v28, v28, v31
	v_and_b32_e32 v63, v63, v30
	v_lshlrev_b32_e32 v31, 29, v62
	v_mov_b32_e32 v30, v29
	v_cmp_gt_i64_e32 vcc, 0, v[30:31]
	v_not_b32_e32 v30, v31
	v_ashrrev_i32_e32 v30, 31, v30
	v_xor_b32_e32 v31, vcc_hi, v30
	v_xor_b32_e32 v30, vcc_lo, v30
	v_and_b32_e32 v28, v28, v31
	v_and_b32_e32 v63, v63, v30
	v_lshlrev_b32_e32 v31, 28, v62
	v_mov_b32_e32 v30, v29
	v_cmp_gt_i64_e32 vcc, 0, v[30:31]
	v_not_b32_e32 v30, v31
	v_ashrrev_i32_e32 v30, 31, v30
	;; [unrolled: 9-line block ×5, first 2 shown]
	v_xor_b32_e32 v31, vcc_hi, v30
	v_xor_b32_e32 v30, vcc_lo, v30
	v_and_b32_e32 v28, v28, v31
	v_lshlrev_b32_e32 v31, 24, v62
	v_and_b32_e32 v63, v63, v30
	v_mov_b32_e32 v30, v29
	v_not_b32_e32 v29, v31
	v_cmp_gt_i64_e32 vcc, 0, v[30:31]
	v_ashrrev_i32_e32 v29, 31, v29
	ds_read_b32 v60, v64 offset:32
	v_xor_b32_e32 v30, vcc_hi, v29
	v_xor_b32_e32 v31, vcc_lo, v29
	v_and_b32_e32 v29, v28, v30
	v_and_b32_e32 v28, v63, v31
	v_mbcnt_lo_u32_b32 v30, v28, 0
	v_mbcnt_hi_u32_b32 v62, v29, v30
	v_cmp_eq_u32_e32 vcc, 0, v62
	v_cmp_ne_u64_e64 s[4:5], 0, v[28:29]
	s_and_b64 s[6:7], s[4:5], vcc
	; wave barrier
	s_and_saveexec_b64 s[4:5], s[6:7]
	s_cbranch_execz .LBB893_45
; %bb.44:
	v_bcnt_u32_b32 v28, v28, 0
	v_bcnt_u32_b32 v28, v29, v28
	s_waitcnt lgkmcnt(0)
	v_add_u32_e32 v28, v60, v28
	ds_write_b32 v64, v28 offset:32
.LBB893_45:
	s_or_b64 exec, exec, s[4:5]
	v_lshrrev_b64 v[28:29], s20, v[26:27]
	v_and_b32_e32 v65, s23, v28
	v_lshl_add_u32 v28, v65, 3, v65
	v_add_lshl_u32 v66, v45, v28, 2
	v_and_b32_e32 v28, 1, v65
	v_mov_b32_e32 v29, 0
	v_lshl_add_u64 v[30:31], v[28:29], 0, -1
	v_cmp_ne_u32_e32 vcc, 0, v28
	; wave barrier
	s_nop 1
	v_xor_b32_e32 v30, vcc_lo, v30
	v_xor_b32_e32 v28, vcc_hi, v31
	v_and_b32_e32 v67, exec_lo, v30
	v_lshlrev_b32_e32 v31, 30, v65
	v_mov_b32_e32 v30, v29
	v_cmp_gt_i64_e32 vcc, 0, v[30:31]
	v_not_b32_e32 v30, v31
	v_ashrrev_i32_e32 v30, 31, v30
	v_and_b32_e32 v28, exec_hi, v28
	v_xor_b32_e32 v31, vcc_hi, v30
	v_xor_b32_e32 v30, vcc_lo, v30
	v_and_b32_e32 v28, v28, v31
	v_and_b32_e32 v67, v67, v30
	v_lshlrev_b32_e32 v31, 29, v65
	v_mov_b32_e32 v30, v29
	v_cmp_gt_i64_e32 vcc, 0, v[30:31]
	v_not_b32_e32 v30, v31
	v_ashrrev_i32_e32 v30, 31, v30
	v_xor_b32_e32 v31, vcc_hi, v30
	v_xor_b32_e32 v30, vcc_lo, v30
	v_and_b32_e32 v28, v28, v31
	v_and_b32_e32 v67, v67, v30
	v_lshlrev_b32_e32 v31, 28, v65
	v_mov_b32_e32 v30, v29
	v_cmp_gt_i64_e32 vcc, 0, v[30:31]
	v_not_b32_e32 v30, v31
	v_ashrrev_i32_e32 v30, 31, v30
	;; [unrolled: 9-line block ×6, first 2 shown]
	v_xor_b32_e32 v31, vcc_hi, v30
	v_xor_b32_e32 v30, vcc_lo, v30
	ds_read_b32 v63, v66 offset:32
	v_and_b32_e32 v30, v67, v30
	v_and_b32_e32 v31, v28, v31
	v_mbcnt_lo_u32_b32 v28, v30, 0
	v_mbcnt_hi_u32_b32 v65, v31, v28
	v_cmp_eq_u32_e32 vcc, 0, v65
	v_cmp_ne_u64_e64 s[4:5], 0, v[30:31]
	s_and_b64 s[6:7], s[4:5], vcc
	; wave barrier
	s_and_saveexec_b64 s[4:5], s[6:7]
	s_cbranch_execz .LBB893_47
; %bb.46:
	v_bcnt_u32_b32 v28, v30, 0
	v_bcnt_u32_b32 v28, v31, v28
	s_waitcnt lgkmcnt(0)
	v_add_u32_e32 v28, v63, v28
	ds_write_b32 v66, v28 offset:32
.LBB893_47:
	s_or_b64 exec, exec, s[4:5]
	v_lshrrev_b64 v[30:31], s20, v[24:25]
	v_and_b32_e32 v67, s23, v30
	v_lshl_add_u32 v28, v67, 3, v67
	v_add_lshl_u32 v68, v45, v28, 2
	v_and_b32_e32 v28, 1, v67
	v_lshl_add_u64 v[30:31], v[28:29], 0, -1
	v_cmp_ne_u32_e32 vcc, 0, v28
	; wave barrier
	s_nop 1
	v_xor_b32_e32 v30, vcc_lo, v30
	v_xor_b32_e32 v28, vcc_hi, v31
	v_and_b32_e32 v70, exec_lo, v30
	v_lshlrev_b32_e32 v31, 30, v67
	v_mov_b32_e32 v30, v29
	v_cmp_gt_i64_e32 vcc, 0, v[30:31]
	v_not_b32_e32 v30, v31
	v_ashrrev_i32_e32 v30, 31, v30
	v_and_b32_e32 v28, exec_hi, v28
	v_xor_b32_e32 v31, vcc_hi, v30
	v_xor_b32_e32 v30, vcc_lo, v30
	v_and_b32_e32 v28, v28, v31
	v_and_b32_e32 v70, v70, v30
	v_lshlrev_b32_e32 v31, 29, v67
	v_mov_b32_e32 v30, v29
	v_cmp_gt_i64_e32 vcc, 0, v[30:31]
	v_not_b32_e32 v30, v31
	v_ashrrev_i32_e32 v30, 31, v30
	v_xor_b32_e32 v31, vcc_hi, v30
	v_xor_b32_e32 v30, vcc_lo, v30
	v_and_b32_e32 v28, v28, v31
	v_and_b32_e32 v70, v70, v30
	v_lshlrev_b32_e32 v31, 28, v67
	v_mov_b32_e32 v30, v29
	v_cmp_gt_i64_e32 vcc, 0, v[30:31]
	v_not_b32_e32 v30, v31
	v_ashrrev_i32_e32 v30, 31, v30
	;; [unrolled: 9-line block ×5, first 2 shown]
	v_xor_b32_e32 v31, vcc_hi, v30
	v_xor_b32_e32 v30, vcc_lo, v30
	v_and_b32_e32 v28, v28, v31
	v_lshlrev_b32_e32 v31, 24, v67
	v_and_b32_e32 v70, v70, v30
	v_mov_b32_e32 v30, v29
	v_not_b32_e32 v29, v31
	v_cmp_gt_i64_e32 vcc, 0, v[30:31]
	v_ashrrev_i32_e32 v29, 31, v29
	ds_read_b32 v45, v68 offset:32
	v_xor_b32_e32 v30, vcc_hi, v29
	v_xor_b32_e32 v31, vcc_lo, v29
	v_and_b32_e32 v29, v28, v30
	v_and_b32_e32 v28, v70, v31
	v_mbcnt_lo_u32_b32 v30, v28, 0
	v_mbcnt_hi_u32_b32 v67, v29, v30
	v_cmp_eq_u32_e32 vcc, 0, v67
	v_cmp_ne_u64_e64 s[4:5], 0, v[28:29]
	v_add_u32_e32 v69, 32, v33
	s_and_b64 s[6:7], s[4:5], vcc
	; wave barrier
	s_and_saveexec_b64 s[4:5], s[6:7]
	s_cbranch_execz .LBB893_49
; %bb.48:
	v_bcnt_u32_b32 v28, v28, 0
	v_bcnt_u32_b32 v28, v29, v28
	s_waitcnt lgkmcnt(0)
	v_add_u32_e32 v28, v45, v28
	ds_write_b32 v68, v28 offset:32
.LBB893_49:
	s_or_b64 exec, exec, s[4:5]
	; wave barrier
	s_waitcnt lgkmcnt(0)
	s_barrier
	ds_read2_b32 v[30:31], v33 offset0:8 offset1:9
	ds_read2_b32 v[28:29], v69 offset0:2 offset1:3
	ds_read_b32 v70, v69 offset:16
	v_min_u32_e32 v32, 0x1c0, v32
	v_or_b32_e32 v32, 63, v32
	s_waitcnt lgkmcnt(1)
	v_add3_u32 v71, v31, v30, v28
	s_waitcnt lgkmcnt(0)
	v_add3_u32 v70, v71, v29, v70
	v_and_b32_e32 v71, 15, v3
	v_cmp_ne_u32_e32 vcc, 0, v71
	v_mov_b32_dpp v72, v70 row_shr:1 row_mask:0xf bank_mask:0xf
	s_nop 0
	v_cndmask_b32_e32 v72, 0, v72, vcc
	v_add_u32_e32 v70, v72, v70
	v_cmp_lt_u32_e32 vcc, 1, v71
	s_nop 0
	v_mov_b32_dpp v72, v70 row_shr:2 row_mask:0xf bank_mask:0xf
	v_cndmask_b32_e32 v72, 0, v72, vcc
	v_add_u32_e32 v70, v70, v72
	v_cmp_lt_u32_e32 vcc, 3, v71
	s_nop 0
	v_mov_b32_dpp v72, v70 row_shr:4 row_mask:0xf bank_mask:0xf
	;; [unrolled: 5-line block ×3, first 2 shown]
	v_cndmask_b32_e32 v71, 0, v72, vcc
	v_add_u32_e32 v70, v70, v71
	v_bfe_i32 v72, v3, 4, 1
	v_cmp_lt_u32_e32 vcc, 31, v3
	v_mov_b32_dpp v71, v70 row_bcast:15 row_mask:0xf bank_mask:0xf
	v_and_b32_e32 v71, v72, v71
	v_add_u32_e32 v70, v70, v71
	v_lshrrev_b32_e32 v72, 6, v2
	s_nop 0
	v_mov_b32_dpp v71, v70 row_bcast:31 row_mask:0xf bank_mask:0xf
	v_cndmask_b32_e32 v71, 0, v71, vcc
	v_add_u32_e32 v71, v70, v71
	v_cmp_eq_u32_e32 vcc, v32, v2
	s_and_saveexec_b64 s[4:5], vcc
	s_cbranch_execz .LBB893_51
; %bb.50:
	v_lshlrev_b32_e32 v32, 2, v72
	ds_write_b32 v32, v71
.LBB893_51:
	s_or_b64 exec, exec, s[4:5]
	v_cmp_gt_u32_e32 vcc, 8, v2
	v_lshlrev_b32_e32 v70, 2, v2
	s_waitcnt lgkmcnt(0)
	s_barrier
	s_and_saveexec_b64 s[4:5], vcc
	s_cbranch_execz .LBB893_53
; %bb.52:
	ds_read_b32 v32, v70
	v_and_b32_e32 v73, 7, v3
	v_cmp_ne_u32_e32 vcc, 0, v73
	s_waitcnt lgkmcnt(0)
	v_mov_b32_dpp v74, v32 row_shr:1 row_mask:0xf bank_mask:0xf
	v_cndmask_b32_e32 v74, 0, v74, vcc
	v_add_u32_e32 v32, v74, v32
	v_cmp_lt_u32_e32 vcc, 1, v73
	s_nop 0
	v_mov_b32_dpp v74, v32 row_shr:2 row_mask:0xf bank_mask:0xf
	v_cndmask_b32_e32 v74, 0, v74, vcc
	v_add_u32_e32 v32, v32, v74
	v_cmp_lt_u32_e32 vcc, 3, v73
	s_nop 0
	v_mov_b32_dpp v74, v32 row_shr:4 row_mask:0xf bank_mask:0xf
	v_cndmask_b32_e32 v73, 0, v74, vcc
	v_add_u32_e32 v32, v32, v73
	ds_write_b32 v70, v32
.LBB893_53:
	s_or_b64 exec, exec, s[4:5]
	v_cmp_lt_u32_e32 vcc, 63, v2
	v_mov_b32_e32 v32, 0
	s_waitcnt lgkmcnt(0)
	s_barrier
	s_and_saveexec_b64 s[4:5], vcc
	s_cbranch_execz .LBB893_55
; %bb.54:
	v_lshl_add_u32 v32, v72, 2, -4
	ds_read_b32 v32, v32
.LBB893_55:
	s_or_b64 exec, exec, s[4:5]
	v_add_u32_e32 v72, -1, v3
	v_and_b32_e32 v73, 64, v3
	v_cmp_lt_i32_e32 vcc, v72, v73
	s_waitcnt lgkmcnt(0)
	v_add_u32_e32 v71, v32, v71
	s_movk_i32 s4, 0x100
	v_cndmask_b32_e32 v72, v72, v3, vcc
	v_lshlrev_b32_e32 v72, 2, v72
	ds_bpermute_b32 v71, v72, v71
	v_cmp_eq_u32_e32 vcc, 0, v3
	s_waitcnt lgkmcnt(0)
	s_nop 0
	v_cndmask_b32_e32 v3, v71, v32, vcc
	v_cmp_ne_u32_e32 vcc, 0, v2
	s_nop 1
	v_cndmask_b32_e32 v3, 0, v3, vcc
	v_add_u32_e32 v30, v3, v30
	v_add_u32_e32 v31, v30, v31
	;; [unrolled: 1-line block ×4, first 2 shown]
	ds_write2_b32 v33, v3, v30 offset0:8 offset1:9
	ds_write2_b32 v69, v31, v28 offset0:2 offset1:3
	ds_write_b32 v69, v29 offset:16
	s_waitcnt lgkmcnt(0)
	s_barrier
	ds_read_b32 v76, v38 offset:32
	ds_read_b32 v69, v39 offset:32
	;; [unrolled: 1-line block ×12, first 2 shown]
	v_cmp_gt_u32_e32 vcc, s4, v2
                                        ; implicit-def: $vgpr3
                                        ; implicit-def: $vgpr38
	s_and_saveexec_b64 s[6:7], vcc
	s_cbranch_execz .LBB893_59
; %bb.56:
	v_mul_u32_u24_e32 v3, 9, v2
	v_lshlrev_b32_e32 v29, 2, v3
	ds_read_b32 v3, v29 offset:32
	s_movk_i32 s4, 0xff
	v_cmp_ne_u32_e64 s[4:5], s4, v2
	v_mov_b32_e32 v28, 0x1800
	s_and_saveexec_b64 s[8:9], s[4:5]
	s_cbranch_execz .LBB893_58
; %bb.57:
	ds_read_b32 v28, v29 offset:68
.LBB893_58:
	s_or_b64 exec, exec, s[8:9]
	s_waitcnt lgkmcnt(0)
	v_sub_u32_e32 v38, v28, v3
.LBB893_59:
	s_or_b64 exec, exec, s[6:7]
	s_waitcnt lgkmcnt(0)
	s_barrier
	s_and_saveexec_b64 s[6:7], vcc
	s_cbranch_execz .LBB893_69
; %bb.60:
	v_lshl_or_b32 v30, s2, 8, v2
	v_mov_b32_e32 v31, 0
	v_lshl_add_u64 v[28:29], v[30:31], 2, s[28:29]
	v_or_b32_e32 v30, 2.0, v38
	s_mov_b64 s[8:9], 0
	s_brev_b32 s14, 1
	s_mov_b32 s15, s2
	v_mov_b32_e32 v49, 0
	global_store_dword v[28:29], v30, off sc1
                                        ; implicit-def: $sgpr4_sgpr5
	s_branch .LBB893_62
.LBB893_61:                             ;   in Loop: Header=BB893_62 Depth=1
	s_or_b64 exec, exec, s[10:11]
	v_and_b32_e32 v32, 0x3fffffff, v55
	v_add_u32_e32 v49, v32, v49
	v_cmp_eq_u32_e64 s[4:5], s14, v30
	s_and_b64 s[10:11], exec, s[4:5]
	s_or_b64 s[8:9], s[10:11], s[8:9]
	s_andn2_b64 exec, exec, s[8:9]
	s_cbranch_execz .LBB893_68
.LBB893_62:                             ; =>This Loop Header: Depth=1
                                        ;     Child Loop BB893_65 Depth 2
	s_or_b64 s[4:5], s[4:5], exec
	s_cmp_eq_u32 s15, 0
	s_cbranch_scc1 .LBB893_67
; %bb.63:                               ;   in Loop: Header=BB893_62 Depth=1
	s_add_i32 s15, s15, -1
	v_lshl_or_b32 v30, s15, 8, v2
	v_lshl_add_u64 v[32:33], v[30:31], 2, s[28:29]
	global_load_dword v55, v[32:33], off sc1
	s_waitcnt vmcnt(0)
	v_and_b32_e32 v30, -2.0, v55
	v_cmp_eq_u32_e64 s[4:5], 0, v30
	s_and_saveexec_b64 s[10:11], s[4:5]
	s_cbranch_execz .LBB893_61
; %bb.64:                               ;   in Loop: Header=BB893_62 Depth=1
	s_mov_b64 s[12:13], 0
.LBB893_65:                             ;   Parent Loop BB893_62 Depth=1
                                        ; =>  This Inner Loop Header: Depth=2
	global_load_dword v55, v[32:33], off sc1
	s_waitcnt vmcnt(0)
	v_and_b32_e32 v30, -2.0, v55
	v_cmp_ne_u32_e64 s[4:5], 0, v30
	s_or_b64 s[12:13], s[4:5], s[12:13]
	s_andn2_b64 exec, exec, s[12:13]
	s_cbranch_execnz .LBB893_65
; %bb.66:                               ;   in Loop: Header=BB893_62 Depth=1
	s_or_b64 exec, exec, s[12:13]
	s_branch .LBB893_61
.LBB893_67:                             ;   in Loop: Header=BB893_62 Depth=1
                                        ; implicit-def: $sgpr15
	s_and_b64 s[10:11], exec, s[4:5]
	s_or_b64 s[8:9], s[10:11], s[8:9]
	s_andn2_b64 exec, exec, s[8:9]
	s_cbranch_execnz .LBB893_62
.LBB893_68:
	s_or_b64 exec, exec, s[8:9]
	v_add_u32_e32 v30, v49, v38
	v_or_b32_e32 v30, 0x80000000, v30
	global_store_dword v[28:29], v30, off sc1
	global_load_dword v28, v70, s[16:17]
	v_sub_u32_e32 v29, v49, v3
	s_waitcnt vmcnt(0)
	v_add_u32_e32 v28, v29, v28
	ds_write_b32 v70, v28
.LBB893_69:
	s_or_b64 exec, exec, s[6:7]
	v_add_u32_e32 v30, v76, v35
	v_add3_u32 v28, v36, v34, v69
	v_add3_u32 v29, v40, v37, v71
	;; [unrolled: 1-line block ×11, first 2 shown]
	v_lshlrev_b32_e32 v31, 3, v2
	v_mov_b32_e32 v77, 0x400
	s_movk_i32 s8, 0x400
	v_add_u32_e32 v32, 0x400, v31
	v_lshl_add_u32 v33, v33, 3, v77
	v_add3_u32 v35, v67, v39, v45
	v_lshl_add_u32 v39, v76, 3, v77
	v_add3_u32 v42, v65, v42, v63
	;; [unrolled: 2-line block ×11, first 2 shown]
	v_lshl_add_u32 v36, v30, 3, v77
	s_mov_b32 s9, 0
	v_mov_b32_e32 v29, 0
	s_movk_i32 s10, 0x200
	v_mov_b32_e32 v57, v2
	s_mov_b32 s11, 0
	s_branch .LBB893_71
.LBB893_70:                             ;   in Loop: Header=BB893_71 Depth=1
	s_or_b64 exec, exec, s[6:7]
	s_addk_i32 s11, 0xe000
	s_addk_i32 s9, 0xfc00
	s_cmp_eq_u32 s11, 0xffff4000
	v_add_u32_e32 v57, 0x400, v57
	s_barrier
	s_cbranch_scc1 .LBB893_100
.LBB893_71:                             ; =>This Inner Loop Header: Depth=1
	v_add_u32_e32 v28, s9, v30
	v_cmp_gt_u32_e64 s[4:5], s8, v28
	s_and_saveexec_b64 s[6:7], s[4:5]
	s_cbranch_execz .LBB893_73
; %bb.72:                               ;   in Loop: Header=BB893_71 Depth=1
	v_add_u32_e32 v28, s11, v36
	ds_write_b64 v28, v[6:7]
.LBB893_73:                             ;   in Loop: Header=BB893_71 Depth=1
	s_or_b64 exec, exec, s[6:7]
	v_add_u32_e32 v28, s9, v34
	v_cmp_gt_u32_e64 s[4:5], s8, v28
	s_and_saveexec_b64 s[6:7], s[4:5]
	s_cbranch_execz .LBB893_75
; %bb.74:                               ;   in Loop: Header=BB893_71 Depth=1
	v_add_u32_e32 v28, s11, v40
	ds_write_b64 v28, v[4:5]
.LBB893_75:                             ;   in Loop: Header=BB893_71 Depth=1
	s_or_b64 exec, exec, s[6:7]
	v_add_u32_e32 v28, s9, v37
	v_cmp_gt_u32_e64 s[4:5], s8, v28
	s_and_saveexec_b64 s[6:7], s[4:5]
	s_cbranch_execz .LBB893_77
; %bb.76:                               ;   in Loop: Header=BB893_71 Depth=1
	v_add_u32_e32 v28, s11, v43
	ds_write_b64 v28, v[10:11]
.LBB893_77:                             ;   in Loop: Header=BB893_71 Depth=1
	s_or_b64 exec, exec, s[6:7]
	v_add_u32_e32 v28, s9, v41
	v_cmp_gt_u32_e64 s[4:5], s8, v28
	s_and_saveexec_b64 s[6:7], s[4:5]
	s_cbranch_execz .LBB893_79
; %bb.78:                               ;   in Loop: Header=BB893_71 Depth=1
	v_add_u32_e32 v28, s11, v47
	ds_write_b64 v28, v[8:9]
.LBB893_79:                             ;   in Loop: Header=BB893_71 Depth=1
	s_or_b64 exec, exec, s[6:7]
	v_add_u32_e32 v28, s9, v44
	v_cmp_gt_u32_e64 s[4:5], s8, v28
	s_and_saveexec_b64 s[6:7], s[4:5]
	s_cbranch_execz .LBB893_81
; %bb.80:                               ;   in Loop: Header=BB893_71 Depth=1
	v_add_u32_e32 v28, s11, v50
	ds_write_b64 v28, v[14:15]
.LBB893_81:                             ;   in Loop: Header=BB893_71 Depth=1
	s_or_b64 exec, exec, s[6:7]
	v_add_u32_e32 v28, s9, v48
	v_cmp_gt_u32_e64 s[4:5], s8, v28
	s_and_saveexec_b64 s[6:7], s[4:5]
	s_cbranch_execz .LBB893_83
; %bb.82:                               ;   in Loop: Header=BB893_71 Depth=1
	v_add_u32_e32 v28, s11, v53
	ds_write_b64 v28, v[12:13]
.LBB893_83:                             ;   in Loop: Header=BB893_71 Depth=1
	s_or_b64 exec, exec, s[6:7]
	v_add_u32_e32 v28, s9, v51
	v_cmp_gt_u32_e64 s[4:5], s8, v28
	s_and_saveexec_b64 s[6:7], s[4:5]
	s_cbranch_execz .LBB893_85
; %bb.84:                               ;   in Loop: Header=BB893_71 Depth=1
	v_add_u32_e32 v28, s11, v56
	ds_write_b64 v28, v[18:19]
.LBB893_85:                             ;   in Loop: Header=BB893_71 Depth=1
	s_or_b64 exec, exec, s[6:7]
	v_add_u32_e32 v28, s9, v54
	v_cmp_gt_u32_e64 s[4:5], s8, v28
	s_and_saveexec_b64 s[6:7], s[4:5]
	s_cbranch_execz .LBB893_87
; %bb.86:                               ;   in Loop: Header=BB893_71 Depth=1
	v_add_u32_e32 v28, s11, v55
	ds_write_b64 v28, v[16:17]
.LBB893_87:                             ;   in Loop: Header=BB893_71 Depth=1
	s_or_b64 exec, exec, s[6:7]
	v_add_u32_e32 v28, s9, v52
	v_cmp_gt_u32_e64 s[4:5], s8, v28
	s_and_saveexec_b64 s[6:7], s[4:5]
	s_cbranch_execz .LBB893_89
; %bb.88:                               ;   in Loop: Header=BB893_71 Depth=1
	v_add_u32_e32 v28, s11, v49
	ds_write_b64 v28, v[22:23]
.LBB893_89:                             ;   in Loop: Header=BB893_71 Depth=1
	s_or_b64 exec, exec, s[6:7]
	v_add_u32_e32 v28, s9, v46
	v_cmp_gt_u32_e64 s[4:5], s8, v28
	s_and_saveexec_b64 s[6:7], s[4:5]
	s_cbranch_execz .LBB893_91
; %bb.90:                               ;   in Loop: Header=BB893_71 Depth=1
	v_add_u32_e32 v28, s11, v45
	ds_write_b64 v28, v[20:21]
.LBB893_91:                             ;   in Loop: Header=BB893_71 Depth=1
	s_or_b64 exec, exec, s[6:7]
	v_add_u32_e32 v28, s9, v42
	v_cmp_gt_u32_e64 s[4:5], s8, v28
	s_and_saveexec_b64 s[6:7], s[4:5]
	s_cbranch_execz .LBB893_93
; %bb.92:                               ;   in Loop: Header=BB893_71 Depth=1
	v_add_u32_e32 v28, s11, v39
	ds_write_b64 v28, v[26:27]
.LBB893_93:                             ;   in Loop: Header=BB893_71 Depth=1
	s_or_b64 exec, exec, s[6:7]
	v_add_u32_e32 v28, s9, v35
	v_cmp_gt_u32_e64 s[4:5], s8, v28
	s_and_saveexec_b64 s[6:7], s[4:5]
	s_cbranch_execz .LBB893_95
; %bb.94:                               ;   in Loop: Header=BB893_71 Depth=1
	v_add_u32_e32 v28, s11, v33
	ds_write_b64 v28, v[24:25]
.LBB893_95:                             ;   in Loop: Header=BB893_71 Depth=1
	s_or_b64 exec, exec, s[6:7]
	v_cmp_gt_u32_e64 s[4:5], s3, v57
	s_waitcnt lgkmcnt(0)
	s_barrier
	s_and_saveexec_b64 s[6:7], s[4:5]
	s_cbranch_execz .LBB893_97
; %bb.96:                               ;   in Loop: Header=BB893_71 Depth=1
	ds_read_b64 v[58:59], v31 offset:1024
	s_waitcnt lgkmcnt(0)
	v_lshrrev_b64 v[60:61], s20, v[58:59]
	v_and_b32_e32 v28, s23, v60
	v_lshlrev_b32_e32 v28, 2, v28
	ds_read_b32 v28, v28
	s_waitcnt lgkmcnt(0)
	v_add_u32_e32 v28, v57, v28
	v_lshl_add_u64 v[60:61], v[28:29], 3, s[26:27]
	global_store_dwordx2 v[60:61], v[58:59], off
.LBB893_97:                             ;   in Loop: Header=BB893_71 Depth=1
	s_or_b64 exec, exec, s[6:7]
	v_add_u32_e32 v28, 0x200, v57
	v_cmp_gt_u32_e64 s[4:5], s3, v28
	s_and_saveexec_b64 s[6:7], s[4:5]
	s_cbranch_execz .LBB893_70
; %bb.98:                               ;   in Loop: Header=BB893_71 Depth=1
	ds_read_b64 v[58:59], v32 offset:4096
	s_waitcnt lgkmcnt(0)
	v_lshrrev_b64 v[60:61], s20, v[58:59]
	v_and_b32_e32 v28, s23, v60
	v_lshlrev_b32_e32 v28, 2, v28
	ds_read_b32 v28, v28
	s_waitcnt lgkmcnt(0)
	v_add3_u32 v28, v57, v28, s10
	v_lshl_add_u64 v[60:61], v[28:29], 3, s[26:27]
	global_store_dwordx2 v[60:61], v[58:59], off
	s_branch .LBB893_70
.LBB893_99:
	s_mov_b64 s[8:9], 0
                                        ; implicit-def: $vgpr4
                                        ; implicit-def: $vgpr2
	s_cbranch_execnz .LBB893_103
	s_branch .LBB893_176
.LBB893_100:
	s_add_i32 s22, s22, -1
	s_cmp_eq_u32 s22, s2
	s_cselect_b64 s[4:5], -1, 0
	s_and_b64 s[6:7], vcc, s[4:5]
	s_mov_b64 s[4:5], 0
	s_mov_b64 s[8:9], 0
                                        ; implicit-def: $vgpr4
	s_and_saveexec_b64 s[10:11], s[6:7]
	s_xor_b64 s[6:7], exec, s[10:11]
; %bb.101:
	s_mov_b64 s[8:9], exec
	v_add_u32_e32 v4, v3, v38
; %bb.102:
	s_or_b64 exec, exec, s[6:7]
	s_and_b64 vcc, exec, s[4:5]
	s_cbranch_vccz .LBB893_176
.LBB893_103:
	s_mov_b32 s31, 0
	v_and_b32_e32 v2, 0x3ff, v0
	s_lshl_b64 s[4:5], s[30:31], 3
	v_mbcnt_hi_u32_b32 v3, -1, v1
	s_add_u32 s4, s24, s4
	v_and_b32_e32 v1, 63, v3
	v_and_b32_e32 v30, 0x1c0, v2
	s_addc_u32 s5, s25, s5
	v_mov_b32_e32 v27, 0
	v_mul_u32_u24_e32 v6, 12, v30
	v_lshlrev_b32_e32 v26, 3, v1
	v_lshl_add_u64 v[4:5], s[4:5], 0, v[26:27]
	v_lshlrev_b32_e32 v26, 3, v6
	v_lshl_add_u64 v[18:19], v[4:5], 0, v[26:27]
	global_load_dwordx2 v[4:5], v[18:19], off
	s_load_dword s4, s[0:1], 0x64
	s_load_dword s3, s[0:1], 0x58
	s_add_u32 s0, s0, 0x58
	s_addc_u32 s1, s1, 0
	v_bfe_u32 v20, v0, 10, 10
	s_waitcnt lgkmcnt(0)
	s_lshr_b32 s4, s4, 16
	s_cmp_lt_u32 s2, s3
	s_cselect_b32 s5, 12, 18
	s_add_u32 s0, s0, s5
	s_addc_u32 s1, s1, 0
	global_load_ushort v38, v27, s[0:1]
	v_bfe_u32 v21, v0, 20, 10
	v_mul_u32_u24_e32 v0, 5, v2
	v_lshlrev_b32_e32 v31, 2, v0
	ds_write2_b32 v31, v27, v27 offset0:8 offset1:9
	ds_write2_b32 v31, v27, v27 offset0:10 offset1:11
	ds_write_b32 v31, v27 offset:48
	s_movk_i32 s0, 0x1000
	global_load_dwordx2 v[0:1], v[18:19], off offset:512
	global_load_dwordx2 v[6:7], v[18:19], off offset:1024
	;; [unrolled: 1-line block ×7, first 2 shown]
	v_add_co_u32_e32 v36, vcc, s0, v18
	v_mad_u32_u24 v39, v21, s4, v20
	s_nop 0
	v_addc_co_u32_e32 v37, vcc, 0, v19, vcc
	global_load_dwordx2 v[18:19], v[36:37], off
	global_load_dwordx2 v[20:21], v[36:37], off offset:512
	global_load_dwordx2 v[22:23], v[36:37], off offset:1024
	;; [unrolled: 1-line block ×3, first 2 shown]
	s_lshl_b32 s0, -1, s21
	s_not_b32 s14, s0
	v_mov_b32_e32 v28, v27
	v_mov_b32_e32 v32, v27
	;; [unrolled: 1-line block ×3, first 2 shown]
	s_waitcnt lgkmcnt(0)
	s_barrier
	s_waitcnt lgkmcnt(0)
	; wave barrier
	s_waitcnt vmcnt(12)
	v_lshrrev_b64 v[36:37], s20, v[4:5]
	v_and_b32_e32 v40, s14, v36
	v_and_b32_e32 v26, 1, v40
	v_lshlrev_b32_e32 v29, 30, v40
	v_lshlrev_b32_e32 v33, 29, v40
	;; [unrolled: 1-line block ×3, first 2 shown]
	v_lshl_add_u64 v[36:37], v[26:27], 0, -1
	v_cmp_ne_u32_e32 vcc, 0, v26
	v_cmp_gt_i64_e64 s[0:1], 0, v[28:29]
	v_not_b32_e32 v26, v29
	s_waitcnt vmcnt(11)
	v_mad_u64_u32 v[28:29], s[10:11], v39, v38, v[2:3]
	v_cmp_gt_i64_e64 s[4:5], 0, v[32:33]
	v_not_b32_e32 v32, v33
	v_cmp_gt_i64_e64 s[6:7], 0, v[34:35]
	v_xor_b32_e32 v29, vcc_hi, v37
	v_xor_b32_e32 v34, vcc_lo, v36
	v_ashrrev_i32_e32 v26, 31, v26
	v_not_b32_e32 v33, v35
	v_ashrrev_i32_e32 v32, 31, v32
	v_lshrrev_b32_e32 v43, 6, v28
	v_and_b32_e32 v28, exec_hi, v29
	v_and_b32_e32 v29, exec_lo, v34
	v_xor_b32_e32 v34, s1, v26
	v_ashrrev_i32_e32 v33, 31, v33
	v_xor_b32_e32 v26, s0, v26
	v_xor_b32_e32 v35, s5, v32
	v_and_b32_e32 v28, v28, v34
	v_xor_b32_e32 v32, s4, v32
	v_xor_b32_e32 v37, s7, v33
	v_and_b32_e32 v26, v29, v26
	v_and_b32_e32 v28, v28, v35
	;; [unrolled: 1-line block ×4, first 2 shown]
	v_lshlrev_b32_e32 v29, 27, v40
	v_mov_b32_e32 v28, v27
	v_cmp_gt_i64_e32 vcc, 0, v[28:29]
	v_not_b32_e32 v28, v29
	v_xor_b32_e32 v33, s6, v33
	v_ashrrev_i32_e32 v28, 31, v28
	v_and_b32_e32 v26, v26, v33
	v_xor_b32_e32 v29, vcc_hi, v28
	v_xor_b32_e32 v28, vcc_lo, v28
	v_and_b32_e32 v32, v32, v29
	v_and_b32_e32 v26, v26, v28
	v_lshlrev_b32_e32 v29, 26, v40
	v_mov_b32_e32 v28, v27
	v_cmp_gt_i64_e32 vcc, 0, v[28:29]
	v_not_b32_e32 v28, v29
	v_ashrrev_i32_e32 v28, 31, v28
	v_xor_b32_e32 v29, vcc_hi, v28
	v_xor_b32_e32 v28, vcc_lo, v28
	v_and_b32_e32 v32, v32, v29
	v_and_b32_e32 v26, v26, v28
	v_lshlrev_b32_e32 v29, 25, v40
	v_mov_b32_e32 v28, v27
	v_cmp_gt_i64_e32 vcc, 0, v[28:29]
	v_not_b32_e32 v28, v29
	v_ashrrev_i32_e32 v28, 31, v28
	;; [unrolled: 9-line block ×3, first 2 shown]
	v_xor_b32_e32 v29, vcc_hi, v28
	v_xor_b32_e32 v28, vcc_lo, v28
	v_and_b32_e32 v28, v26, v28
	v_and_b32_e32 v29, v32, v29
	v_mbcnt_lo_u32_b32 v26, v28, 0
	v_mbcnt_hi_u32_b32 v33, v29, v26
	v_lshl_add_u32 v41, v40, 3, v40
	v_cmp_eq_u32_e32 vcc, 0, v33
	v_cmp_ne_u64_e64 s[0:1], 0, v[28:29]
	v_add_lshl_u32 v36, v43, v41, 2
	s_and_b64 s[4:5], s[0:1], vcc
	s_and_saveexec_b64 s[0:1], s[4:5]
	s_cbranch_execz .LBB893_105
; %bb.104:
	v_bcnt_u32_b32 v26, v28, 0
	v_bcnt_u32_b32 v26, v29, v26
	ds_write_b32 v36, v26 offset:32
.LBB893_105:
	s_or_b64 exec, exec, s[0:1]
	s_waitcnt vmcnt(10)
	v_lshrrev_b64 v[28:29], s20, v[0:1]
	v_and_b32_e32 v34, s14, v28
	v_lshl_add_u32 v26, v34, 3, v34
	v_add_lshl_u32 v37, v43, v26, 2
	v_and_b32_e32 v26, 1, v34
	v_lshl_add_u64 v[28:29], v[26:27], 0, -1
	v_cmp_ne_u32_e32 vcc, 0, v26
	; wave barrier
	s_nop 1
	v_xor_b32_e32 v28, vcc_lo, v28
	v_xor_b32_e32 v26, vcc_hi, v29
	v_and_b32_e32 v35, exec_lo, v28
	v_lshlrev_b32_e32 v29, 30, v34
	v_mov_b32_e32 v28, v27
	v_cmp_gt_i64_e32 vcc, 0, v[28:29]
	v_not_b32_e32 v28, v29
	v_ashrrev_i32_e32 v28, 31, v28
	v_and_b32_e32 v26, exec_hi, v26
	v_xor_b32_e32 v29, vcc_hi, v28
	v_xor_b32_e32 v28, vcc_lo, v28
	v_and_b32_e32 v26, v26, v29
	v_and_b32_e32 v35, v35, v28
	v_lshlrev_b32_e32 v29, 29, v34
	v_mov_b32_e32 v28, v27
	v_cmp_gt_i64_e32 vcc, 0, v[28:29]
	v_not_b32_e32 v28, v29
	v_ashrrev_i32_e32 v28, 31, v28
	v_xor_b32_e32 v29, vcc_hi, v28
	v_xor_b32_e32 v28, vcc_lo, v28
	v_and_b32_e32 v26, v26, v29
	v_and_b32_e32 v35, v35, v28
	v_lshlrev_b32_e32 v29, 28, v34
	v_mov_b32_e32 v28, v27
	v_cmp_gt_i64_e32 vcc, 0, v[28:29]
	v_not_b32_e32 v28, v29
	v_ashrrev_i32_e32 v28, 31, v28
	;; [unrolled: 9-line block ×5, first 2 shown]
	v_xor_b32_e32 v29, vcc_hi, v28
	v_xor_b32_e32 v28, vcc_lo, v28
	v_and_b32_e32 v26, v26, v29
	v_lshlrev_b32_e32 v29, 24, v34
	v_and_b32_e32 v35, v35, v28
	v_mov_b32_e32 v28, v27
	v_not_b32_e32 v27, v29
	v_cmp_gt_i64_e32 vcc, 0, v[28:29]
	v_ashrrev_i32_e32 v27, 31, v27
	ds_read_b32 v32, v37 offset:32
	v_xor_b32_e32 v28, vcc_hi, v27
	v_xor_b32_e32 v29, vcc_lo, v27
	v_and_b32_e32 v27, v26, v28
	v_and_b32_e32 v26, v35, v29
	v_mbcnt_lo_u32_b32 v28, v26, 0
	v_mbcnt_hi_u32_b32 v34, v27, v28
	v_cmp_eq_u32_e32 vcc, 0, v34
	v_cmp_ne_u64_e64 s[0:1], 0, v[26:27]
	s_and_b64 s[4:5], s[0:1], vcc
	; wave barrier
	s_and_saveexec_b64 s[0:1], s[4:5]
	s_cbranch_execz .LBB893_107
; %bb.106:
	v_bcnt_u32_b32 v26, v26, 0
	v_bcnt_u32_b32 v26, v27, v26
	s_waitcnt lgkmcnt(0)
	v_add_u32_e32 v26, v32, v26
	ds_write_b32 v37, v26 offset:32
.LBB893_107:
	s_or_b64 exec, exec, s[0:1]
	s_waitcnt vmcnt(9)
	v_lshrrev_b64 v[26:27], s20, v[6:7]
	v_and_b32_e32 v38, s14, v26
	v_lshl_add_u32 v26, v38, 3, v38
	v_add_lshl_u32 v40, v43, v26, 2
	v_and_b32_e32 v26, 1, v38
	v_mov_b32_e32 v27, 0
	v_lshl_add_u64 v[28:29], v[26:27], 0, -1
	v_cmp_ne_u32_e32 vcc, 0, v26
	; wave barrier
	s_nop 1
	v_xor_b32_e32 v28, vcc_lo, v28
	v_xor_b32_e32 v26, vcc_hi, v29
	v_and_b32_e32 v39, exec_lo, v28
	v_lshlrev_b32_e32 v29, 30, v38
	v_mov_b32_e32 v28, v27
	v_cmp_gt_i64_e32 vcc, 0, v[28:29]
	v_not_b32_e32 v28, v29
	v_ashrrev_i32_e32 v28, 31, v28
	v_and_b32_e32 v26, exec_hi, v26
	v_xor_b32_e32 v29, vcc_hi, v28
	v_xor_b32_e32 v28, vcc_lo, v28
	v_and_b32_e32 v26, v26, v29
	v_and_b32_e32 v39, v39, v28
	v_lshlrev_b32_e32 v29, 29, v38
	v_mov_b32_e32 v28, v27
	v_cmp_gt_i64_e32 vcc, 0, v[28:29]
	v_not_b32_e32 v28, v29
	v_ashrrev_i32_e32 v28, 31, v28
	v_xor_b32_e32 v29, vcc_hi, v28
	v_xor_b32_e32 v28, vcc_lo, v28
	v_and_b32_e32 v26, v26, v29
	v_and_b32_e32 v39, v39, v28
	v_lshlrev_b32_e32 v29, 28, v38
	v_mov_b32_e32 v28, v27
	v_cmp_gt_i64_e32 vcc, 0, v[28:29]
	v_not_b32_e32 v28, v29
	v_ashrrev_i32_e32 v28, 31, v28
	;; [unrolled: 9-line block ×6, first 2 shown]
	v_xor_b32_e32 v29, vcc_hi, v28
	v_xor_b32_e32 v28, vcc_lo, v28
	ds_read_b32 v35, v40 offset:32
	v_and_b32_e32 v28, v39, v28
	v_and_b32_e32 v29, v26, v29
	v_mbcnt_lo_u32_b32 v26, v28, 0
	v_mbcnt_hi_u32_b32 v38, v29, v26
	v_cmp_eq_u32_e32 vcc, 0, v38
	v_cmp_ne_u64_e64 s[0:1], 0, v[28:29]
	s_and_b64 s[4:5], s[0:1], vcc
	; wave barrier
	s_and_saveexec_b64 s[0:1], s[4:5]
	s_cbranch_execz .LBB893_109
; %bb.108:
	v_bcnt_u32_b32 v26, v28, 0
	v_bcnt_u32_b32 v26, v29, v26
	s_waitcnt lgkmcnt(0)
	v_add_u32_e32 v26, v35, v26
	ds_write_b32 v40, v26 offset:32
.LBB893_109:
	s_or_b64 exec, exec, s[0:1]
	s_waitcnt vmcnt(8)
	v_lshrrev_b64 v[28:29], s20, v[8:9]
	v_and_b32_e32 v41, s14, v28
	v_lshl_add_u32 v26, v41, 3, v41
	v_add_lshl_u32 v44, v43, v26, 2
	v_and_b32_e32 v26, 1, v41
	v_lshl_add_u64 v[28:29], v[26:27], 0, -1
	v_cmp_ne_u32_e32 vcc, 0, v26
	; wave barrier
	s_nop 1
	v_xor_b32_e32 v28, vcc_lo, v28
	v_xor_b32_e32 v26, vcc_hi, v29
	v_and_b32_e32 v42, exec_lo, v28
	v_lshlrev_b32_e32 v29, 30, v41
	v_mov_b32_e32 v28, v27
	v_cmp_gt_i64_e32 vcc, 0, v[28:29]
	v_not_b32_e32 v28, v29
	v_ashrrev_i32_e32 v28, 31, v28
	v_and_b32_e32 v26, exec_hi, v26
	v_xor_b32_e32 v29, vcc_hi, v28
	v_xor_b32_e32 v28, vcc_lo, v28
	v_and_b32_e32 v26, v26, v29
	v_and_b32_e32 v42, v42, v28
	v_lshlrev_b32_e32 v29, 29, v41
	v_mov_b32_e32 v28, v27
	v_cmp_gt_i64_e32 vcc, 0, v[28:29]
	v_not_b32_e32 v28, v29
	v_ashrrev_i32_e32 v28, 31, v28
	v_xor_b32_e32 v29, vcc_hi, v28
	v_xor_b32_e32 v28, vcc_lo, v28
	v_and_b32_e32 v26, v26, v29
	v_and_b32_e32 v42, v42, v28
	v_lshlrev_b32_e32 v29, 28, v41
	v_mov_b32_e32 v28, v27
	v_cmp_gt_i64_e32 vcc, 0, v[28:29]
	v_not_b32_e32 v28, v29
	v_ashrrev_i32_e32 v28, 31, v28
	;; [unrolled: 9-line block ×5, first 2 shown]
	v_xor_b32_e32 v29, vcc_hi, v28
	v_xor_b32_e32 v28, vcc_lo, v28
	v_and_b32_e32 v26, v26, v29
	v_lshlrev_b32_e32 v29, 24, v41
	v_and_b32_e32 v42, v42, v28
	v_mov_b32_e32 v28, v27
	v_not_b32_e32 v27, v29
	v_cmp_gt_i64_e32 vcc, 0, v[28:29]
	v_ashrrev_i32_e32 v27, 31, v27
	ds_read_b32 v39, v44 offset:32
	v_xor_b32_e32 v28, vcc_hi, v27
	v_xor_b32_e32 v29, vcc_lo, v27
	v_and_b32_e32 v27, v26, v28
	v_and_b32_e32 v26, v42, v29
	v_mbcnt_lo_u32_b32 v28, v26, 0
	v_mbcnt_hi_u32_b32 v41, v27, v28
	v_cmp_eq_u32_e32 vcc, 0, v41
	v_cmp_ne_u64_e64 s[0:1], 0, v[26:27]
	s_and_b64 s[4:5], s[0:1], vcc
	; wave barrier
	s_and_saveexec_b64 s[0:1], s[4:5]
	s_cbranch_execz .LBB893_111
; %bb.110:
	v_bcnt_u32_b32 v26, v26, 0
	v_bcnt_u32_b32 v26, v27, v26
	s_waitcnt lgkmcnt(0)
	v_add_u32_e32 v26, v39, v26
	ds_write_b32 v44, v26 offset:32
.LBB893_111:
	s_or_b64 exec, exec, s[0:1]
	s_waitcnt vmcnt(7)
	v_lshrrev_b64 v[26:27], s20, v[10:11]
	v_and_b32_e32 v45, s14, v26
	v_lshl_add_u32 v26, v45, 3, v45
	v_add_lshl_u32 v47, v43, v26, 2
	v_and_b32_e32 v26, 1, v45
	v_mov_b32_e32 v27, 0
	v_lshl_add_u64 v[28:29], v[26:27], 0, -1
	v_cmp_ne_u32_e32 vcc, 0, v26
	; wave barrier
	s_nop 1
	v_xor_b32_e32 v28, vcc_lo, v28
	v_xor_b32_e32 v26, vcc_hi, v29
	v_and_b32_e32 v46, exec_lo, v28
	v_lshlrev_b32_e32 v29, 30, v45
	v_mov_b32_e32 v28, v27
	v_cmp_gt_i64_e32 vcc, 0, v[28:29]
	v_not_b32_e32 v28, v29
	v_ashrrev_i32_e32 v28, 31, v28
	v_and_b32_e32 v26, exec_hi, v26
	v_xor_b32_e32 v29, vcc_hi, v28
	v_xor_b32_e32 v28, vcc_lo, v28
	v_and_b32_e32 v26, v26, v29
	v_and_b32_e32 v46, v46, v28
	v_lshlrev_b32_e32 v29, 29, v45
	v_mov_b32_e32 v28, v27
	v_cmp_gt_i64_e32 vcc, 0, v[28:29]
	v_not_b32_e32 v28, v29
	v_ashrrev_i32_e32 v28, 31, v28
	v_xor_b32_e32 v29, vcc_hi, v28
	v_xor_b32_e32 v28, vcc_lo, v28
	v_and_b32_e32 v26, v26, v29
	v_and_b32_e32 v46, v46, v28
	v_lshlrev_b32_e32 v29, 28, v45
	v_mov_b32_e32 v28, v27
	v_cmp_gt_i64_e32 vcc, 0, v[28:29]
	v_not_b32_e32 v28, v29
	v_ashrrev_i32_e32 v28, 31, v28
	;; [unrolled: 9-line block ×6, first 2 shown]
	v_xor_b32_e32 v29, vcc_hi, v28
	v_xor_b32_e32 v28, vcc_lo, v28
	ds_read_b32 v42, v47 offset:32
	v_and_b32_e32 v28, v46, v28
	v_and_b32_e32 v29, v26, v29
	v_mbcnt_lo_u32_b32 v26, v28, 0
	v_mbcnt_hi_u32_b32 v45, v29, v26
	v_cmp_eq_u32_e32 vcc, 0, v45
	v_cmp_ne_u64_e64 s[0:1], 0, v[28:29]
	s_and_b64 s[4:5], s[0:1], vcc
	; wave barrier
	s_and_saveexec_b64 s[0:1], s[4:5]
	s_cbranch_execz .LBB893_113
; %bb.112:
	v_bcnt_u32_b32 v26, v28, 0
	v_bcnt_u32_b32 v26, v29, v26
	s_waitcnt lgkmcnt(0)
	v_add_u32_e32 v26, v42, v26
	ds_write_b32 v47, v26 offset:32
.LBB893_113:
	s_or_b64 exec, exec, s[0:1]
	s_waitcnt vmcnt(6)
	v_lshrrev_b64 v[28:29], s20, v[12:13]
	v_and_b32_e32 v48, s14, v28
	v_lshl_add_u32 v26, v48, 3, v48
	v_add_lshl_u32 v50, v43, v26, 2
	v_and_b32_e32 v26, 1, v48
	v_lshl_add_u64 v[28:29], v[26:27], 0, -1
	v_cmp_ne_u32_e32 vcc, 0, v26
	; wave barrier
	s_nop 1
	v_xor_b32_e32 v28, vcc_lo, v28
	v_xor_b32_e32 v26, vcc_hi, v29
	v_and_b32_e32 v49, exec_lo, v28
	v_lshlrev_b32_e32 v29, 30, v48
	v_mov_b32_e32 v28, v27
	v_cmp_gt_i64_e32 vcc, 0, v[28:29]
	v_not_b32_e32 v28, v29
	v_ashrrev_i32_e32 v28, 31, v28
	v_and_b32_e32 v26, exec_hi, v26
	v_xor_b32_e32 v29, vcc_hi, v28
	v_xor_b32_e32 v28, vcc_lo, v28
	v_and_b32_e32 v26, v26, v29
	v_and_b32_e32 v49, v49, v28
	v_lshlrev_b32_e32 v29, 29, v48
	v_mov_b32_e32 v28, v27
	v_cmp_gt_i64_e32 vcc, 0, v[28:29]
	v_not_b32_e32 v28, v29
	v_ashrrev_i32_e32 v28, 31, v28
	v_xor_b32_e32 v29, vcc_hi, v28
	v_xor_b32_e32 v28, vcc_lo, v28
	v_and_b32_e32 v26, v26, v29
	v_and_b32_e32 v49, v49, v28
	v_lshlrev_b32_e32 v29, 28, v48
	v_mov_b32_e32 v28, v27
	v_cmp_gt_i64_e32 vcc, 0, v[28:29]
	v_not_b32_e32 v28, v29
	v_ashrrev_i32_e32 v28, 31, v28
	;; [unrolled: 9-line block ×5, first 2 shown]
	v_xor_b32_e32 v29, vcc_hi, v28
	v_xor_b32_e32 v28, vcc_lo, v28
	v_and_b32_e32 v26, v26, v29
	v_lshlrev_b32_e32 v29, 24, v48
	v_and_b32_e32 v49, v49, v28
	v_mov_b32_e32 v28, v27
	v_not_b32_e32 v27, v29
	v_cmp_gt_i64_e32 vcc, 0, v[28:29]
	v_ashrrev_i32_e32 v27, 31, v27
	ds_read_b32 v46, v50 offset:32
	v_xor_b32_e32 v28, vcc_hi, v27
	v_xor_b32_e32 v29, vcc_lo, v27
	v_and_b32_e32 v27, v26, v28
	v_and_b32_e32 v26, v49, v29
	v_mbcnt_lo_u32_b32 v28, v26, 0
	v_mbcnt_hi_u32_b32 v48, v27, v28
	v_cmp_eq_u32_e32 vcc, 0, v48
	v_cmp_ne_u64_e64 s[0:1], 0, v[26:27]
	s_and_b64 s[4:5], s[0:1], vcc
	; wave barrier
	s_and_saveexec_b64 s[0:1], s[4:5]
	s_cbranch_execz .LBB893_115
; %bb.114:
	v_bcnt_u32_b32 v26, v26, 0
	v_bcnt_u32_b32 v26, v27, v26
	s_waitcnt lgkmcnt(0)
	v_add_u32_e32 v26, v46, v26
	ds_write_b32 v50, v26 offset:32
.LBB893_115:
	s_or_b64 exec, exec, s[0:1]
	s_waitcnt vmcnt(5)
	v_lshrrev_b64 v[26:27], s20, v[14:15]
	v_and_b32_e32 v51, s14, v26
	v_lshl_add_u32 v26, v51, 3, v51
	v_add_lshl_u32 v53, v43, v26, 2
	v_and_b32_e32 v26, 1, v51
	v_mov_b32_e32 v27, 0
	v_lshl_add_u64 v[28:29], v[26:27], 0, -1
	v_cmp_ne_u32_e32 vcc, 0, v26
	; wave barrier
	s_nop 1
	v_xor_b32_e32 v28, vcc_lo, v28
	v_xor_b32_e32 v26, vcc_hi, v29
	v_and_b32_e32 v52, exec_lo, v28
	v_lshlrev_b32_e32 v29, 30, v51
	v_mov_b32_e32 v28, v27
	v_cmp_gt_i64_e32 vcc, 0, v[28:29]
	v_not_b32_e32 v28, v29
	v_ashrrev_i32_e32 v28, 31, v28
	v_and_b32_e32 v26, exec_hi, v26
	v_xor_b32_e32 v29, vcc_hi, v28
	v_xor_b32_e32 v28, vcc_lo, v28
	v_and_b32_e32 v26, v26, v29
	v_and_b32_e32 v52, v52, v28
	v_lshlrev_b32_e32 v29, 29, v51
	v_mov_b32_e32 v28, v27
	v_cmp_gt_i64_e32 vcc, 0, v[28:29]
	v_not_b32_e32 v28, v29
	v_ashrrev_i32_e32 v28, 31, v28
	v_xor_b32_e32 v29, vcc_hi, v28
	v_xor_b32_e32 v28, vcc_lo, v28
	v_and_b32_e32 v26, v26, v29
	v_and_b32_e32 v52, v52, v28
	v_lshlrev_b32_e32 v29, 28, v51
	v_mov_b32_e32 v28, v27
	v_cmp_gt_i64_e32 vcc, 0, v[28:29]
	v_not_b32_e32 v28, v29
	v_ashrrev_i32_e32 v28, 31, v28
	v_xor_b32_e32 v29, vcc_hi, v28
	v_xor_b32_e32 v28, vcc_lo, v28
	v_and_b32_e32 v26, v26, v29
	v_and_b32_e32 v52, v52, v28
	v_lshlrev_b32_e32 v29, 27, v51
	v_mov_b32_e32 v28, v27
	v_cmp_gt_i64_e32 vcc, 0, v[28:29]
	v_not_b32_e32 v28, v29
	v_ashrrev_i32_e32 v28, 31, v28
	v_xor_b32_e32 v29, vcc_hi, v28
	v_xor_b32_e32 v28, vcc_lo, v28
	v_and_b32_e32 v26, v26, v29
	v_and_b32_e32 v52, v52, v28
	v_lshlrev_b32_e32 v29, 26, v51
	v_mov_b32_e32 v28, v27
	v_cmp_gt_i64_e32 vcc, 0, v[28:29]
	v_not_b32_e32 v28, v29
	v_ashrrev_i32_e32 v28, 31, v28
	v_xor_b32_e32 v29, vcc_hi, v28
	v_xor_b32_e32 v28, vcc_lo, v28
	v_and_b32_e32 v26, v26, v29
	v_and_b32_e32 v52, v52, v28
	v_lshlrev_b32_e32 v29, 25, v51
	v_mov_b32_e32 v28, v27
	v_cmp_gt_i64_e32 vcc, 0, v[28:29]
	v_not_b32_e32 v28, v29
	v_ashrrev_i32_e32 v28, 31, v28
	v_xor_b32_e32 v29, vcc_hi, v28
	v_xor_b32_e32 v28, vcc_lo, v28
	v_and_b32_e32 v26, v26, v29
	v_and_b32_e32 v52, v52, v28
	v_lshlrev_b32_e32 v29, 24, v51
	v_mov_b32_e32 v28, v27
	v_cmp_gt_i64_e32 vcc, 0, v[28:29]
	v_not_b32_e32 v28, v29
	v_ashrrev_i32_e32 v28, 31, v28
	v_xor_b32_e32 v29, vcc_hi, v28
	v_xor_b32_e32 v28, vcc_lo, v28
	ds_read_b32 v49, v53 offset:32
	v_and_b32_e32 v28, v52, v28
	v_and_b32_e32 v29, v26, v29
	v_mbcnt_lo_u32_b32 v26, v28, 0
	v_mbcnt_hi_u32_b32 v51, v29, v26
	v_cmp_eq_u32_e32 vcc, 0, v51
	v_cmp_ne_u64_e64 s[0:1], 0, v[28:29]
	s_and_b64 s[4:5], s[0:1], vcc
	; wave barrier
	s_and_saveexec_b64 s[0:1], s[4:5]
	s_cbranch_execz .LBB893_117
; %bb.116:
	v_bcnt_u32_b32 v26, v28, 0
	v_bcnt_u32_b32 v26, v29, v26
	s_waitcnt lgkmcnt(0)
	v_add_u32_e32 v26, v49, v26
	ds_write_b32 v53, v26 offset:32
.LBB893_117:
	s_or_b64 exec, exec, s[0:1]
	s_waitcnt vmcnt(4)
	v_lshrrev_b64 v[28:29], s20, v[16:17]
	v_and_b32_e32 v54, s14, v28
	v_lshl_add_u32 v26, v54, 3, v54
	v_add_lshl_u32 v56, v43, v26, 2
	v_and_b32_e32 v26, 1, v54
	v_lshl_add_u64 v[28:29], v[26:27], 0, -1
	v_cmp_ne_u32_e32 vcc, 0, v26
	; wave barrier
	s_nop 1
	v_xor_b32_e32 v28, vcc_lo, v28
	v_xor_b32_e32 v26, vcc_hi, v29
	v_and_b32_e32 v55, exec_lo, v28
	v_lshlrev_b32_e32 v29, 30, v54
	v_mov_b32_e32 v28, v27
	v_cmp_gt_i64_e32 vcc, 0, v[28:29]
	v_not_b32_e32 v28, v29
	v_ashrrev_i32_e32 v28, 31, v28
	v_and_b32_e32 v26, exec_hi, v26
	v_xor_b32_e32 v29, vcc_hi, v28
	v_xor_b32_e32 v28, vcc_lo, v28
	v_and_b32_e32 v26, v26, v29
	v_and_b32_e32 v55, v55, v28
	v_lshlrev_b32_e32 v29, 29, v54
	v_mov_b32_e32 v28, v27
	v_cmp_gt_i64_e32 vcc, 0, v[28:29]
	v_not_b32_e32 v28, v29
	v_ashrrev_i32_e32 v28, 31, v28
	v_xor_b32_e32 v29, vcc_hi, v28
	v_xor_b32_e32 v28, vcc_lo, v28
	v_and_b32_e32 v26, v26, v29
	v_and_b32_e32 v55, v55, v28
	v_lshlrev_b32_e32 v29, 28, v54
	v_mov_b32_e32 v28, v27
	v_cmp_gt_i64_e32 vcc, 0, v[28:29]
	v_not_b32_e32 v28, v29
	v_ashrrev_i32_e32 v28, 31, v28
	;; [unrolled: 9-line block ×5, first 2 shown]
	v_xor_b32_e32 v29, vcc_hi, v28
	v_xor_b32_e32 v28, vcc_lo, v28
	v_and_b32_e32 v26, v26, v29
	v_lshlrev_b32_e32 v29, 24, v54
	v_and_b32_e32 v55, v55, v28
	v_mov_b32_e32 v28, v27
	v_not_b32_e32 v27, v29
	v_cmp_gt_i64_e32 vcc, 0, v[28:29]
	v_ashrrev_i32_e32 v27, 31, v27
	ds_read_b32 v52, v56 offset:32
	v_xor_b32_e32 v28, vcc_hi, v27
	v_xor_b32_e32 v29, vcc_lo, v27
	v_and_b32_e32 v27, v26, v28
	v_and_b32_e32 v26, v55, v29
	v_mbcnt_lo_u32_b32 v28, v26, 0
	v_mbcnt_hi_u32_b32 v54, v27, v28
	v_cmp_eq_u32_e32 vcc, 0, v54
	v_cmp_ne_u64_e64 s[0:1], 0, v[26:27]
	s_and_b64 s[4:5], s[0:1], vcc
	; wave barrier
	s_and_saveexec_b64 s[0:1], s[4:5]
	s_cbranch_execz .LBB893_119
; %bb.118:
	v_bcnt_u32_b32 v26, v26, 0
	v_bcnt_u32_b32 v26, v27, v26
	s_waitcnt lgkmcnt(0)
	v_add_u32_e32 v26, v52, v26
	ds_write_b32 v56, v26 offset:32
.LBB893_119:
	s_or_b64 exec, exec, s[0:1]
	s_waitcnt vmcnt(3)
	v_lshrrev_b64 v[26:27], s20, v[18:19]
	v_and_b32_e32 v57, s14, v26
	v_lshl_add_u32 v26, v57, 3, v57
	v_add_lshl_u32 v59, v43, v26, 2
	v_and_b32_e32 v26, 1, v57
	v_mov_b32_e32 v27, 0
	v_lshl_add_u64 v[28:29], v[26:27], 0, -1
	v_cmp_ne_u32_e32 vcc, 0, v26
	; wave barrier
	s_nop 1
	v_xor_b32_e32 v28, vcc_lo, v28
	v_xor_b32_e32 v26, vcc_hi, v29
	v_and_b32_e32 v58, exec_lo, v28
	v_lshlrev_b32_e32 v29, 30, v57
	v_mov_b32_e32 v28, v27
	v_cmp_gt_i64_e32 vcc, 0, v[28:29]
	v_not_b32_e32 v28, v29
	v_ashrrev_i32_e32 v28, 31, v28
	v_and_b32_e32 v26, exec_hi, v26
	v_xor_b32_e32 v29, vcc_hi, v28
	v_xor_b32_e32 v28, vcc_lo, v28
	v_and_b32_e32 v26, v26, v29
	v_and_b32_e32 v58, v58, v28
	v_lshlrev_b32_e32 v29, 29, v57
	v_mov_b32_e32 v28, v27
	v_cmp_gt_i64_e32 vcc, 0, v[28:29]
	v_not_b32_e32 v28, v29
	v_ashrrev_i32_e32 v28, 31, v28
	v_xor_b32_e32 v29, vcc_hi, v28
	v_xor_b32_e32 v28, vcc_lo, v28
	v_and_b32_e32 v26, v26, v29
	v_and_b32_e32 v58, v58, v28
	v_lshlrev_b32_e32 v29, 28, v57
	v_mov_b32_e32 v28, v27
	v_cmp_gt_i64_e32 vcc, 0, v[28:29]
	v_not_b32_e32 v28, v29
	v_ashrrev_i32_e32 v28, 31, v28
	;; [unrolled: 9-line block ×6, first 2 shown]
	v_xor_b32_e32 v29, vcc_hi, v28
	v_xor_b32_e32 v28, vcc_lo, v28
	ds_read_b32 v55, v59 offset:32
	v_and_b32_e32 v28, v58, v28
	v_and_b32_e32 v29, v26, v29
	v_mbcnt_lo_u32_b32 v26, v28, 0
	v_mbcnt_hi_u32_b32 v57, v29, v26
	v_cmp_eq_u32_e32 vcc, 0, v57
	v_cmp_ne_u64_e64 s[0:1], 0, v[28:29]
	s_and_b64 s[4:5], s[0:1], vcc
	; wave barrier
	s_and_saveexec_b64 s[0:1], s[4:5]
	s_cbranch_execz .LBB893_121
; %bb.120:
	v_bcnt_u32_b32 v26, v28, 0
	v_bcnt_u32_b32 v26, v29, v26
	s_waitcnt lgkmcnt(0)
	v_add_u32_e32 v26, v55, v26
	ds_write_b32 v59, v26 offset:32
.LBB893_121:
	s_or_b64 exec, exec, s[0:1]
	s_waitcnt vmcnt(2)
	v_lshrrev_b64 v[28:29], s20, v[20:21]
	v_and_b32_e32 v60, s14, v28
	v_lshl_add_u32 v26, v60, 3, v60
	v_add_lshl_u32 v62, v43, v26, 2
	v_and_b32_e32 v26, 1, v60
	v_lshl_add_u64 v[28:29], v[26:27], 0, -1
	v_cmp_ne_u32_e32 vcc, 0, v26
	; wave barrier
	s_nop 1
	v_xor_b32_e32 v28, vcc_lo, v28
	v_xor_b32_e32 v26, vcc_hi, v29
	v_and_b32_e32 v61, exec_lo, v28
	v_lshlrev_b32_e32 v29, 30, v60
	v_mov_b32_e32 v28, v27
	v_cmp_gt_i64_e32 vcc, 0, v[28:29]
	v_not_b32_e32 v28, v29
	v_ashrrev_i32_e32 v28, 31, v28
	v_and_b32_e32 v26, exec_hi, v26
	v_xor_b32_e32 v29, vcc_hi, v28
	v_xor_b32_e32 v28, vcc_lo, v28
	v_and_b32_e32 v26, v26, v29
	v_and_b32_e32 v61, v61, v28
	v_lshlrev_b32_e32 v29, 29, v60
	v_mov_b32_e32 v28, v27
	v_cmp_gt_i64_e32 vcc, 0, v[28:29]
	v_not_b32_e32 v28, v29
	v_ashrrev_i32_e32 v28, 31, v28
	v_xor_b32_e32 v29, vcc_hi, v28
	v_xor_b32_e32 v28, vcc_lo, v28
	v_and_b32_e32 v26, v26, v29
	v_and_b32_e32 v61, v61, v28
	v_lshlrev_b32_e32 v29, 28, v60
	v_mov_b32_e32 v28, v27
	v_cmp_gt_i64_e32 vcc, 0, v[28:29]
	v_not_b32_e32 v28, v29
	v_ashrrev_i32_e32 v28, 31, v28
	;; [unrolled: 9-line block ×5, first 2 shown]
	v_xor_b32_e32 v29, vcc_hi, v28
	v_xor_b32_e32 v28, vcc_lo, v28
	v_and_b32_e32 v26, v26, v29
	v_lshlrev_b32_e32 v29, 24, v60
	v_and_b32_e32 v61, v61, v28
	v_mov_b32_e32 v28, v27
	v_not_b32_e32 v27, v29
	v_cmp_gt_i64_e32 vcc, 0, v[28:29]
	v_ashrrev_i32_e32 v27, 31, v27
	ds_read_b32 v58, v62 offset:32
	v_xor_b32_e32 v28, vcc_hi, v27
	v_xor_b32_e32 v29, vcc_lo, v27
	v_and_b32_e32 v27, v26, v28
	v_and_b32_e32 v26, v61, v29
	v_mbcnt_lo_u32_b32 v28, v26, 0
	v_mbcnt_hi_u32_b32 v60, v27, v28
	v_cmp_eq_u32_e32 vcc, 0, v60
	v_cmp_ne_u64_e64 s[0:1], 0, v[26:27]
	s_and_b64 s[4:5], s[0:1], vcc
	; wave barrier
	s_and_saveexec_b64 s[0:1], s[4:5]
	s_cbranch_execz .LBB893_123
; %bb.122:
	v_bcnt_u32_b32 v26, v26, 0
	v_bcnt_u32_b32 v26, v27, v26
	s_waitcnt lgkmcnt(0)
	v_add_u32_e32 v26, v58, v26
	ds_write_b32 v62, v26 offset:32
.LBB893_123:
	s_or_b64 exec, exec, s[0:1]
	s_waitcnt vmcnt(1)
	v_lshrrev_b64 v[26:27], s20, v[22:23]
	v_and_b32_e32 v63, s14, v26
	v_lshl_add_u32 v26, v63, 3, v63
	v_add_lshl_u32 v64, v43, v26, 2
	v_and_b32_e32 v26, 1, v63
	v_mov_b32_e32 v27, 0
	v_lshl_add_u64 v[28:29], v[26:27], 0, -1
	v_cmp_ne_u32_e32 vcc, 0, v26
	; wave barrier
	s_nop 1
	v_xor_b32_e32 v28, vcc_lo, v28
	v_xor_b32_e32 v26, vcc_hi, v29
	v_and_b32_e32 v65, exec_lo, v28
	v_lshlrev_b32_e32 v29, 30, v63
	v_mov_b32_e32 v28, v27
	v_cmp_gt_i64_e32 vcc, 0, v[28:29]
	v_not_b32_e32 v28, v29
	v_ashrrev_i32_e32 v28, 31, v28
	v_and_b32_e32 v26, exec_hi, v26
	v_xor_b32_e32 v29, vcc_hi, v28
	v_xor_b32_e32 v28, vcc_lo, v28
	v_and_b32_e32 v26, v26, v29
	v_and_b32_e32 v65, v65, v28
	v_lshlrev_b32_e32 v29, 29, v63
	v_mov_b32_e32 v28, v27
	v_cmp_gt_i64_e32 vcc, 0, v[28:29]
	v_not_b32_e32 v28, v29
	v_ashrrev_i32_e32 v28, 31, v28
	v_xor_b32_e32 v29, vcc_hi, v28
	v_xor_b32_e32 v28, vcc_lo, v28
	v_and_b32_e32 v26, v26, v29
	v_and_b32_e32 v65, v65, v28
	v_lshlrev_b32_e32 v29, 28, v63
	v_mov_b32_e32 v28, v27
	v_cmp_gt_i64_e32 vcc, 0, v[28:29]
	v_not_b32_e32 v28, v29
	v_ashrrev_i32_e32 v28, 31, v28
	v_xor_b32_e32 v29, vcc_hi, v28
	v_xor_b32_e32 v28, vcc_lo, v28
	v_and_b32_e32 v26, v26, v29
	v_and_b32_e32 v65, v65, v28
	v_lshlrev_b32_e32 v29, 27, v63
	v_mov_b32_e32 v28, v27
	v_cmp_gt_i64_e32 vcc, 0, v[28:29]
	v_not_b32_e32 v28, v29
	v_ashrrev_i32_e32 v28, 31, v28
	v_xor_b32_e32 v29, vcc_hi, v28
	v_xor_b32_e32 v28, vcc_lo, v28
	v_and_b32_e32 v26, v26, v29
	v_and_b32_e32 v65, v65, v28
	v_lshlrev_b32_e32 v29, 26, v63
	v_mov_b32_e32 v28, v27
	v_cmp_gt_i64_e32 vcc, 0, v[28:29]
	v_not_b32_e32 v28, v29
	v_ashrrev_i32_e32 v28, 31, v28
	v_xor_b32_e32 v29, vcc_hi, v28
	v_xor_b32_e32 v28, vcc_lo, v28
	v_and_b32_e32 v26, v26, v29
	v_and_b32_e32 v65, v65, v28
	v_lshlrev_b32_e32 v29, 25, v63
	v_mov_b32_e32 v28, v27
	v_cmp_gt_i64_e32 vcc, 0, v[28:29]
	v_not_b32_e32 v28, v29
	v_ashrrev_i32_e32 v28, 31, v28
	v_xor_b32_e32 v29, vcc_hi, v28
	v_xor_b32_e32 v28, vcc_lo, v28
	v_and_b32_e32 v26, v26, v29
	v_and_b32_e32 v65, v65, v28
	v_lshlrev_b32_e32 v29, 24, v63
	v_mov_b32_e32 v28, v27
	v_cmp_gt_i64_e32 vcc, 0, v[28:29]
	v_not_b32_e32 v28, v29
	v_ashrrev_i32_e32 v28, 31, v28
	v_xor_b32_e32 v29, vcc_hi, v28
	v_xor_b32_e32 v28, vcc_lo, v28
	ds_read_b32 v61, v64 offset:32
	v_and_b32_e32 v28, v65, v28
	v_and_b32_e32 v29, v26, v29
	v_mbcnt_lo_u32_b32 v26, v28, 0
	v_mbcnt_hi_u32_b32 v63, v29, v26
	v_cmp_eq_u32_e32 vcc, 0, v63
	v_cmp_ne_u64_e64 s[0:1], 0, v[28:29]
	s_and_b64 s[4:5], s[0:1], vcc
	; wave barrier
	s_and_saveexec_b64 s[0:1], s[4:5]
	s_cbranch_execz .LBB893_125
; %bb.124:
	v_bcnt_u32_b32 v26, v28, 0
	v_bcnt_u32_b32 v26, v29, v26
	s_waitcnt lgkmcnt(0)
	v_add_u32_e32 v26, v61, v26
	ds_write_b32 v64, v26 offset:32
.LBB893_125:
	s_or_b64 exec, exec, s[0:1]
	s_waitcnt vmcnt(0)
	v_lshrrev_b64 v[28:29], s20, v[24:25]
	v_and_b32_e32 v65, s14, v28
	v_lshl_add_u32 v26, v65, 3, v65
	v_add_lshl_u32 v66, v43, v26, 2
	v_and_b32_e32 v26, 1, v65
	v_lshl_add_u64 v[28:29], v[26:27], 0, -1
	v_cmp_ne_u32_e32 vcc, 0, v26
	; wave barrier
	s_nop 1
	v_xor_b32_e32 v28, vcc_lo, v28
	v_xor_b32_e32 v26, vcc_hi, v29
	v_and_b32_e32 v68, exec_lo, v28
	v_lshlrev_b32_e32 v29, 30, v65
	v_mov_b32_e32 v28, v27
	v_cmp_gt_i64_e32 vcc, 0, v[28:29]
	v_not_b32_e32 v28, v29
	v_ashrrev_i32_e32 v28, 31, v28
	v_and_b32_e32 v26, exec_hi, v26
	v_xor_b32_e32 v29, vcc_hi, v28
	v_xor_b32_e32 v28, vcc_lo, v28
	v_and_b32_e32 v26, v26, v29
	v_and_b32_e32 v68, v68, v28
	v_lshlrev_b32_e32 v29, 29, v65
	v_mov_b32_e32 v28, v27
	v_cmp_gt_i64_e32 vcc, 0, v[28:29]
	v_not_b32_e32 v28, v29
	v_ashrrev_i32_e32 v28, 31, v28
	v_xor_b32_e32 v29, vcc_hi, v28
	v_xor_b32_e32 v28, vcc_lo, v28
	v_and_b32_e32 v26, v26, v29
	v_and_b32_e32 v68, v68, v28
	v_lshlrev_b32_e32 v29, 28, v65
	v_mov_b32_e32 v28, v27
	v_cmp_gt_i64_e32 vcc, 0, v[28:29]
	v_not_b32_e32 v28, v29
	v_ashrrev_i32_e32 v28, 31, v28
	;; [unrolled: 9-line block ×5, first 2 shown]
	v_xor_b32_e32 v29, vcc_hi, v28
	v_xor_b32_e32 v28, vcc_lo, v28
	v_and_b32_e32 v26, v26, v29
	v_lshlrev_b32_e32 v29, 24, v65
	v_and_b32_e32 v68, v68, v28
	v_mov_b32_e32 v28, v27
	v_not_b32_e32 v27, v29
	v_cmp_gt_i64_e32 vcc, 0, v[28:29]
	v_ashrrev_i32_e32 v27, 31, v27
	ds_read_b32 v43, v66 offset:32
	v_xor_b32_e32 v28, vcc_hi, v27
	v_xor_b32_e32 v29, vcc_lo, v27
	v_and_b32_e32 v27, v26, v28
	v_and_b32_e32 v26, v68, v29
	v_mbcnt_lo_u32_b32 v28, v26, 0
	v_mbcnt_hi_u32_b32 v65, v27, v28
	v_cmp_eq_u32_e32 vcc, 0, v65
	v_cmp_ne_u64_e64 s[0:1], 0, v[26:27]
	v_add_u32_e32 v67, 32, v31
	s_and_b64 s[4:5], s[0:1], vcc
	; wave barrier
	s_and_saveexec_b64 s[0:1], s[4:5]
	s_cbranch_execz .LBB893_127
; %bb.126:
	v_bcnt_u32_b32 v26, v26, 0
	v_bcnt_u32_b32 v26, v27, v26
	s_waitcnt lgkmcnt(0)
	v_add_u32_e32 v26, v43, v26
	ds_write_b32 v66, v26 offset:32
.LBB893_127:
	s_or_b64 exec, exec, s[0:1]
	; wave barrier
	s_waitcnt lgkmcnt(0)
	s_barrier
	ds_read2_b32 v[28:29], v31 offset0:8 offset1:9
	ds_read2_b32 v[26:27], v67 offset0:2 offset1:3
	ds_read_b32 v68, v67 offset:16
	v_min_u32_e32 v30, 0x1c0, v30
	v_or_b32_e32 v30, 63, v30
	s_waitcnt lgkmcnt(1)
	v_add3_u32 v69, v29, v28, v26
	s_waitcnt lgkmcnt(0)
	v_add3_u32 v68, v69, v27, v68
	v_and_b32_e32 v69, 15, v3
	v_cmp_ne_u32_e32 vcc, 0, v69
	v_mov_b32_dpp v70, v68 row_shr:1 row_mask:0xf bank_mask:0xf
	s_nop 0
	v_cndmask_b32_e32 v70, 0, v70, vcc
	v_add_u32_e32 v68, v70, v68
	v_cmp_lt_u32_e32 vcc, 1, v69
	s_nop 0
	v_mov_b32_dpp v70, v68 row_shr:2 row_mask:0xf bank_mask:0xf
	v_cndmask_b32_e32 v70, 0, v70, vcc
	v_add_u32_e32 v68, v68, v70
	v_cmp_lt_u32_e32 vcc, 3, v69
	s_nop 0
	v_mov_b32_dpp v70, v68 row_shr:4 row_mask:0xf bank_mask:0xf
	;; [unrolled: 5-line block ×3, first 2 shown]
	v_cndmask_b32_e32 v69, 0, v70, vcc
	v_add_u32_e32 v68, v68, v69
	v_bfe_i32 v70, v3, 4, 1
	v_cmp_lt_u32_e32 vcc, 31, v3
	v_mov_b32_dpp v69, v68 row_bcast:15 row_mask:0xf bank_mask:0xf
	v_and_b32_e32 v69, v70, v69
	v_add_u32_e32 v68, v68, v69
	v_lshrrev_b32_e32 v70, 6, v2
	s_nop 0
	v_mov_b32_dpp v69, v68 row_bcast:31 row_mask:0xf bank_mask:0xf
	v_cndmask_b32_e32 v69, 0, v69, vcc
	v_add_u32_e32 v69, v68, v69
	v_cmp_eq_u32_e32 vcc, v30, v2
	s_and_saveexec_b64 s[0:1], vcc
	s_cbranch_execz .LBB893_129
; %bb.128:
	v_lshlrev_b32_e32 v30, 2, v70
	ds_write_b32 v30, v69
.LBB893_129:
	s_or_b64 exec, exec, s[0:1]
	v_cmp_gt_u32_e32 vcc, 8, v2
	v_lshlrev_b32_e32 v68, 2, v2
	s_waitcnt lgkmcnt(0)
	s_barrier
	s_and_saveexec_b64 s[0:1], vcc
	s_cbranch_execz .LBB893_131
; %bb.130:
	ds_read_b32 v30, v68
	v_and_b32_e32 v71, 7, v3
	v_cmp_ne_u32_e32 vcc, 0, v71
	s_waitcnt lgkmcnt(0)
	v_mov_b32_dpp v72, v30 row_shr:1 row_mask:0xf bank_mask:0xf
	v_cndmask_b32_e32 v72, 0, v72, vcc
	v_add_u32_e32 v30, v72, v30
	v_cmp_lt_u32_e32 vcc, 1, v71
	s_nop 0
	v_mov_b32_dpp v72, v30 row_shr:2 row_mask:0xf bank_mask:0xf
	v_cndmask_b32_e32 v72, 0, v72, vcc
	v_add_u32_e32 v30, v30, v72
	v_cmp_lt_u32_e32 vcc, 3, v71
	s_nop 0
	v_mov_b32_dpp v72, v30 row_shr:4 row_mask:0xf bank_mask:0xf
	v_cndmask_b32_e32 v71, 0, v72, vcc
	v_add_u32_e32 v30, v30, v71
	ds_write_b32 v68, v30
.LBB893_131:
	s_or_b64 exec, exec, s[0:1]
	v_cmp_lt_u32_e32 vcc, 63, v2
	v_mov_b32_e32 v30, 0
	s_waitcnt lgkmcnt(0)
	s_barrier
	s_and_saveexec_b64 s[0:1], vcc
	s_cbranch_execz .LBB893_133
; %bb.132:
	v_lshl_add_u32 v30, v70, 2, -4
	ds_read_b32 v30, v30
.LBB893_133:
	s_or_b64 exec, exec, s[0:1]
	v_add_u32_e32 v70, -1, v3
	v_and_b32_e32 v71, 64, v3
	v_cmp_lt_i32_e32 vcc, v70, v71
	s_waitcnt lgkmcnt(0)
	v_add_u32_e32 v69, v30, v69
	s_movk_i32 s0, 0x100
	v_cndmask_b32_e32 v70, v70, v3, vcc
	v_lshlrev_b32_e32 v70, 2, v70
	ds_bpermute_b32 v69, v70, v69
	v_cmp_eq_u32_e32 vcc, 0, v3
	s_waitcnt lgkmcnt(0)
	s_nop 0
	v_cndmask_b32_e32 v3, v69, v30, vcc
	v_cmp_ne_u32_e32 vcc, 0, v2
	s_nop 1
	v_cndmask_b32_e32 v3, 0, v3, vcc
	v_add_u32_e32 v28, v3, v28
	v_add_u32_e32 v29, v28, v29
	;; [unrolled: 1-line block ×4, first 2 shown]
	ds_write2_b32 v31, v3, v28 offset0:8 offset1:9
	ds_write2_b32 v67, v29, v26 offset0:2 offset1:3
	ds_write_b32 v67, v27 offset:16
	s_waitcnt lgkmcnt(0)
	s_barrier
	ds_read_b32 v74, v36 offset:32
	ds_read_b32 v67, v37 offset:32
	;; [unrolled: 1-line block ×12, first 2 shown]
	v_cmp_gt_u32_e32 vcc, s0, v2
                                        ; implicit-def: $vgpr3
                                        ; implicit-def: $vgpr36
	s_and_saveexec_b64 s[4:5], vcc
	s_cbranch_execz .LBB893_137
; %bb.134:
	v_mul_u32_u24_e32 v3, 9, v2
	v_lshlrev_b32_e32 v27, 2, v3
	ds_read_b32 v3, v27 offset:32
	s_movk_i32 s0, 0xff
	v_cmp_ne_u32_e64 s[0:1], s0, v2
	v_mov_b32_e32 v26, 0x1800
	s_and_saveexec_b64 s[6:7], s[0:1]
	s_cbranch_execz .LBB893_136
; %bb.135:
	ds_read_b32 v26, v27 offset:68
.LBB893_136:
	s_or_b64 exec, exec, s[6:7]
	s_waitcnt lgkmcnt(0)
	v_sub_u32_e32 v36, v26, v3
.LBB893_137:
	s_or_b64 exec, exec, s[4:5]
	s_waitcnt lgkmcnt(0)
	s_barrier
	s_and_saveexec_b64 s[4:5], vcc
	s_cbranch_execz .LBB893_147
; %bb.138:
	v_lshl_or_b32 v28, s2, 8, v2
	v_mov_b32_e32 v29, 0
	v_lshl_add_u64 v[26:27], v[28:29], 2, s[28:29]
	v_or_b32_e32 v28, 2.0, v36
	s_mov_b64 s[6:7], 0
	s_brev_b32 s15, 1
	s_mov_b32 s21, s2
	v_mov_b32_e32 v47, 0
	global_store_dword v[26:27], v28, off sc1
                                        ; implicit-def: $sgpr0_sgpr1
	s_branch .LBB893_141
.LBB893_139:                            ;   in Loop: Header=BB893_141 Depth=1
	s_or_b64 exec, exec, s[12:13]
.LBB893_140:                            ;   in Loop: Header=BB893_141 Depth=1
	s_or_b64 exec, exec, s[10:11]
	v_and_b32_e32 v30, 0x3fffffff, v53
	v_add_u32_e32 v47, v30, v47
	v_cmp_eq_u32_e64 s[0:1], s15, v28
	s_and_b64 s[10:11], exec, s[0:1]
	s_or_b64 s[6:7], s[10:11], s[6:7]
	s_andn2_b64 exec, exec, s[6:7]
	s_cbranch_execz .LBB893_146
.LBB893_141:                            ; =>This Loop Header: Depth=1
                                        ;     Child Loop BB893_144 Depth 2
	s_or_b64 s[0:1], s[0:1], exec
	s_cmp_eq_u32 s21, 0
	s_cbranch_scc1 .LBB893_145
; %bb.142:                              ;   in Loop: Header=BB893_141 Depth=1
	s_add_i32 s21, s21, -1
	v_lshl_or_b32 v28, s21, 8, v2
	v_lshl_add_u64 v[30:31], v[28:29], 2, s[28:29]
	global_load_dword v53, v[30:31], off sc1
	s_waitcnt vmcnt(0)
	v_and_b32_e32 v28, -2.0, v53
	v_cmp_eq_u32_e64 s[0:1], 0, v28
	s_and_saveexec_b64 s[10:11], s[0:1]
	s_cbranch_execz .LBB893_140
; %bb.143:                              ;   in Loop: Header=BB893_141 Depth=1
	s_mov_b64 s[12:13], 0
.LBB893_144:                            ;   Parent Loop BB893_141 Depth=1
                                        ; =>  This Inner Loop Header: Depth=2
	global_load_dword v53, v[30:31], off sc1
	s_waitcnt vmcnt(0)
	v_and_b32_e32 v28, -2.0, v53
	v_cmp_ne_u32_e64 s[0:1], 0, v28
	s_or_b64 s[12:13], s[0:1], s[12:13]
	s_andn2_b64 exec, exec, s[12:13]
	s_cbranch_execnz .LBB893_144
	s_branch .LBB893_139
.LBB893_145:                            ;   in Loop: Header=BB893_141 Depth=1
                                        ; implicit-def: $sgpr21
	s_and_b64 s[10:11], exec, s[0:1]
	s_or_b64 s[6:7], s[10:11], s[6:7]
	s_andn2_b64 exec, exec, s[6:7]
	s_cbranch_execnz .LBB893_141
.LBB893_146:
	s_or_b64 exec, exec, s[6:7]
	v_add_u32_e32 v28, v47, v36
	v_or_b32_e32 v28, 0x80000000, v28
	global_store_dword v[26:27], v28, off sc1
	global_load_dword v26, v68, s[16:17]
	v_sub_u32_e32 v27, v47, v3
	s_waitcnt vmcnt(0)
	v_add_u32_e32 v26, v27, v26
	ds_write_b32 v68, v26
.LBB893_147:
	s_or_b64 exec, exec, s[4:5]
	v_add_u32_e32 v28, v74, v33
	v_add3_u32 v26, v34, v32, v67
	v_add3_u32 v27, v38, v35, v69
	;; [unrolled: 1-line block ×11, first 2 shown]
	v_lshlrev_b32_e32 v29, 3, v2
	v_mov_b32_e32 v75, 0x400
	s_movk_i32 s6, 0x400
	v_add_u32_e32 v30, 0x400, v29
	v_lshl_add_u32 v31, v31, 3, v75
	v_add3_u32 v33, v65, v37, v43
	v_lshl_add_u32 v37, v74, 3, v75
	v_add3_u32 v40, v63, v40, v61
	;; [unrolled: 2-line block ×11, first 2 shown]
	v_lshl_add_u32 v34, v28, 3, v75
	s_mov_b32 s7, 0
	s_movk_i32 s10, 0x200
	v_mov_b32_e32 v27, 0
	v_mov_b32_e32 v55, v2
	s_mov_b32 s11, 0
	s_branch .LBB893_149
.LBB893_148:                            ;   in Loop: Header=BB893_149 Depth=1
	s_or_b64 exec, exec, s[4:5]
	s_waitcnt lgkmcnt(0)
	s_barrier
	ds_read_b64 v[56:57], v29 offset:1024
	ds_read_b64 v[58:59], v30 offset:4096
	s_addk_i32 s11, 0xe000
	s_addk_i32 s7, 0xfc00
	s_cmp_eq_u32 s11, 0xffff4000
	s_waitcnt lgkmcnt(1)
	v_lshrrev_b64 v[60:61], s20, v[56:57]
	v_and_b32_e32 v26, s14, v60
	s_waitcnt lgkmcnt(0)
	v_lshrrev_b64 v[60:61], s20, v[58:59]
	v_lshlrev_b32_e32 v26, 2, v26
	v_and_b32_e32 v60, s14, v60
	ds_read_b32 v26, v26
	v_lshlrev_b32_e32 v60, 2, v60
	ds_read_b32 v62, v60
	s_waitcnt lgkmcnt(1)
	v_add_u32_e32 v26, v55, v26
	v_lshl_add_u64 v[60:61], v[26:27], 3, s[26:27]
	s_waitcnt lgkmcnt(0)
	v_add3_u32 v26, v55, v62, s10
	global_store_dwordx2 v[60:61], v[56:57], off
	v_lshl_add_u64 v[56:57], v[26:27], 3, s[26:27]
	v_add_u32_e32 v55, 0x400, v55
	global_store_dwordx2 v[56:57], v[58:59], off
	s_barrier
	s_cbranch_scc1 .LBB893_173
.LBB893_149:                            ; =>This Inner Loop Header: Depth=1
	v_add_u32_e32 v26, s7, v28
	v_cmp_gt_u32_e64 s[0:1], s6, v26
	s_and_saveexec_b64 s[4:5], s[0:1]
	s_cbranch_execz .LBB893_151
; %bb.150:                              ;   in Loop: Header=BB893_149 Depth=1
	v_add_u32_e32 v26, s11, v34
	ds_write_b64 v26, v[4:5]
.LBB893_151:                            ;   in Loop: Header=BB893_149 Depth=1
	s_or_b64 exec, exec, s[4:5]
	v_add_u32_e32 v26, s7, v32
	v_cmp_gt_u32_e64 s[0:1], s6, v26
	s_and_saveexec_b64 s[4:5], s[0:1]
	s_cbranch_execz .LBB893_153
; %bb.152:                              ;   in Loop: Header=BB893_149 Depth=1
	v_add_u32_e32 v26, s11, v38
	ds_write_b64 v26, v[0:1]
.LBB893_153:                            ;   in Loop: Header=BB893_149 Depth=1
	s_or_b64 exec, exec, s[4:5]
	;; [unrolled: 9-line block ×11, first 2 shown]
	v_add_u32_e32 v26, s7, v33
	v_cmp_gt_u32_e64 s[0:1], s6, v26
	s_and_saveexec_b64 s[4:5], s[0:1]
	s_cbranch_execz .LBB893_148
; %bb.172:                              ;   in Loop: Header=BB893_149 Depth=1
	v_add_u32_e32 v26, s11, v31
	ds_write_b64 v26, v[24:25]
	s_branch .LBB893_148
.LBB893_173:
	s_add_i32 s3, s3, -1
	s_cmp_eq_u32 s3, s2
	s_cselect_b64 s[0:1], -1, 0
	s_and_b64 s[2:3], vcc, s[0:1]
                                        ; implicit-def: $vgpr4
	s_and_saveexec_b64 s[0:1], s[2:3]
; %bb.174:
	v_add_u32_e32 v4, v3, v36
	s_or_b64 s[8:9], s[8:9], exec
; %bb.175:
	s_or_b64 exec, exec, s[0:1]
.LBB893_176:
	s_and_saveexec_b64 s[0:1], s[8:9]
	s_cbranch_execnz .LBB893_178
; %bb.177:
	s_endpgm
.LBB893_178:
	v_lshlrev_b32_e32 v0, 2, v2
	ds_read_b32 v5, v0
	v_mov_b32_e32 v0, s18
	v_mov_b32_e32 v1, s19
	v_mov_b32_e32 v3, 0
	v_lshl_add_u64 v[0:1], v[2:3], 2, v[0:1]
	s_waitcnt lgkmcnt(0)
	v_add_u32_e32 v2, v5, v4
	global_store_dword v[0:1], v2, off
	s_endpgm
	.section	.rodata,"a",@progbits
	.p2align	6, 0x0
	.amdhsa_kernel _ZN7rocprim17ROCPRIM_400000_NS6detail17trampoline_kernelINS0_14default_configENS1_35radix_sort_onesweep_config_selectorIyNS0_10empty_typeEEEZZNS1_29radix_sort_onesweep_iterationIS3_Lb0EN6thrust23THRUST_200600_302600_NS6detail15normal_iteratorINS9_10device_ptrIyEEEESE_PS5_SF_jNS0_19identity_decomposerENS1_16block_id_wrapperIjLb0EEEEE10hipError_tT1_PNSt15iterator_traitsISK_E10value_typeET2_T3_PNSL_ISQ_E10value_typeET4_T5_PSV_SW_PNS1_23onesweep_lookback_stateEbbT6_jjT7_P12ihipStream_tbENKUlT_T0_SK_SP_E_clISE_SE_SF_SF_EEDaS13_S14_SK_SP_EUlS13_E_NS1_11comp_targetILNS1_3genE5ELNS1_11target_archE942ELNS1_3gpuE9ELNS1_3repE0EEENS1_47radix_sort_onesweep_sort_config_static_selectorELNS0_4arch9wavefront6targetE1EEEvSK_
		.amdhsa_group_segment_fixed_size 10280
		.amdhsa_private_segment_fixed_size 0
		.amdhsa_kernarg_size 344
		.amdhsa_user_sgpr_count 2
		.amdhsa_user_sgpr_dispatch_ptr 0
		.amdhsa_user_sgpr_queue_ptr 0
		.amdhsa_user_sgpr_kernarg_segment_ptr 1
		.amdhsa_user_sgpr_dispatch_id 0
		.amdhsa_user_sgpr_kernarg_preload_length 0
		.amdhsa_user_sgpr_kernarg_preload_offset 0
		.amdhsa_user_sgpr_private_segment_size 0
		.amdhsa_uses_dynamic_stack 0
		.amdhsa_enable_private_segment 0
		.amdhsa_system_sgpr_workgroup_id_x 1
		.amdhsa_system_sgpr_workgroup_id_y 0
		.amdhsa_system_sgpr_workgroup_id_z 0
		.amdhsa_system_sgpr_workgroup_info 0
		.amdhsa_system_vgpr_workitem_id 2
		.amdhsa_next_free_vgpr 78
		.amdhsa_next_free_sgpr 32
		.amdhsa_accum_offset 80
		.amdhsa_reserve_vcc 1
		.amdhsa_float_round_mode_32 0
		.amdhsa_float_round_mode_16_64 0
		.amdhsa_float_denorm_mode_32 3
		.amdhsa_float_denorm_mode_16_64 3
		.amdhsa_dx10_clamp 1
		.amdhsa_ieee_mode 1
		.amdhsa_fp16_overflow 0
		.amdhsa_tg_split 0
		.amdhsa_exception_fp_ieee_invalid_op 0
		.amdhsa_exception_fp_denorm_src 0
		.amdhsa_exception_fp_ieee_div_zero 0
		.amdhsa_exception_fp_ieee_overflow 0
		.amdhsa_exception_fp_ieee_underflow 0
		.amdhsa_exception_fp_ieee_inexact 0
		.amdhsa_exception_int_div_zero 0
	.end_amdhsa_kernel
	.section	.text._ZN7rocprim17ROCPRIM_400000_NS6detail17trampoline_kernelINS0_14default_configENS1_35radix_sort_onesweep_config_selectorIyNS0_10empty_typeEEEZZNS1_29radix_sort_onesweep_iterationIS3_Lb0EN6thrust23THRUST_200600_302600_NS6detail15normal_iteratorINS9_10device_ptrIyEEEESE_PS5_SF_jNS0_19identity_decomposerENS1_16block_id_wrapperIjLb0EEEEE10hipError_tT1_PNSt15iterator_traitsISK_E10value_typeET2_T3_PNSL_ISQ_E10value_typeET4_T5_PSV_SW_PNS1_23onesweep_lookback_stateEbbT6_jjT7_P12ihipStream_tbENKUlT_T0_SK_SP_E_clISE_SE_SF_SF_EEDaS13_S14_SK_SP_EUlS13_E_NS1_11comp_targetILNS1_3genE5ELNS1_11target_archE942ELNS1_3gpuE9ELNS1_3repE0EEENS1_47radix_sort_onesweep_sort_config_static_selectorELNS0_4arch9wavefront6targetE1EEEvSK_,"axG",@progbits,_ZN7rocprim17ROCPRIM_400000_NS6detail17trampoline_kernelINS0_14default_configENS1_35radix_sort_onesweep_config_selectorIyNS0_10empty_typeEEEZZNS1_29radix_sort_onesweep_iterationIS3_Lb0EN6thrust23THRUST_200600_302600_NS6detail15normal_iteratorINS9_10device_ptrIyEEEESE_PS5_SF_jNS0_19identity_decomposerENS1_16block_id_wrapperIjLb0EEEEE10hipError_tT1_PNSt15iterator_traitsISK_E10value_typeET2_T3_PNSL_ISQ_E10value_typeET4_T5_PSV_SW_PNS1_23onesweep_lookback_stateEbbT6_jjT7_P12ihipStream_tbENKUlT_T0_SK_SP_E_clISE_SE_SF_SF_EEDaS13_S14_SK_SP_EUlS13_E_NS1_11comp_targetILNS1_3genE5ELNS1_11target_archE942ELNS1_3gpuE9ELNS1_3repE0EEENS1_47radix_sort_onesweep_sort_config_static_selectorELNS0_4arch9wavefront6targetE1EEEvSK_,comdat
.Lfunc_end893:
	.size	_ZN7rocprim17ROCPRIM_400000_NS6detail17trampoline_kernelINS0_14default_configENS1_35radix_sort_onesweep_config_selectorIyNS0_10empty_typeEEEZZNS1_29radix_sort_onesweep_iterationIS3_Lb0EN6thrust23THRUST_200600_302600_NS6detail15normal_iteratorINS9_10device_ptrIyEEEESE_PS5_SF_jNS0_19identity_decomposerENS1_16block_id_wrapperIjLb0EEEEE10hipError_tT1_PNSt15iterator_traitsISK_E10value_typeET2_T3_PNSL_ISQ_E10value_typeET4_T5_PSV_SW_PNS1_23onesweep_lookback_stateEbbT6_jjT7_P12ihipStream_tbENKUlT_T0_SK_SP_E_clISE_SE_SF_SF_EEDaS13_S14_SK_SP_EUlS13_E_NS1_11comp_targetILNS1_3genE5ELNS1_11target_archE942ELNS1_3gpuE9ELNS1_3repE0EEENS1_47radix_sort_onesweep_sort_config_static_selectorELNS0_4arch9wavefront6targetE1EEEvSK_, .Lfunc_end893-_ZN7rocprim17ROCPRIM_400000_NS6detail17trampoline_kernelINS0_14default_configENS1_35radix_sort_onesweep_config_selectorIyNS0_10empty_typeEEEZZNS1_29radix_sort_onesweep_iterationIS3_Lb0EN6thrust23THRUST_200600_302600_NS6detail15normal_iteratorINS9_10device_ptrIyEEEESE_PS5_SF_jNS0_19identity_decomposerENS1_16block_id_wrapperIjLb0EEEEE10hipError_tT1_PNSt15iterator_traitsISK_E10value_typeET2_T3_PNSL_ISQ_E10value_typeET4_T5_PSV_SW_PNS1_23onesweep_lookback_stateEbbT6_jjT7_P12ihipStream_tbENKUlT_T0_SK_SP_E_clISE_SE_SF_SF_EEDaS13_S14_SK_SP_EUlS13_E_NS1_11comp_targetILNS1_3genE5ELNS1_11target_archE942ELNS1_3gpuE9ELNS1_3repE0EEENS1_47radix_sort_onesweep_sort_config_static_selectorELNS0_4arch9wavefront6targetE1EEEvSK_
                                        ; -- End function
	.section	.AMDGPU.csdata,"",@progbits
; Kernel info:
; codeLenInByte = 14888
; NumSgprs: 38
; NumVgprs: 78
; NumAgprs: 0
; TotalNumVgprs: 78
; ScratchSize: 0
; MemoryBound: 0
; FloatMode: 240
; IeeeMode: 1
; LDSByteSize: 10280 bytes/workgroup (compile time only)
; SGPRBlocks: 4
; VGPRBlocks: 9
; NumSGPRsForWavesPerEU: 38
; NumVGPRsForWavesPerEU: 78
; AccumOffset: 80
; Occupancy: 6
; WaveLimiterHint : 1
; COMPUTE_PGM_RSRC2:SCRATCH_EN: 0
; COMPUTE_PGM_RSRC2:USER_SGPR: 2
; COMPUTE_PGM_RSRC2:TRAP_HANDLER: 0
; COMPUTE_PGM_RSRC2:TGID_X_EN: 1
; COMPUTE_PGM_RSRC2:TGID_Y_EN: 0
; COMPUTE_PGM_RSRC2:TGID_Z_EN: 0
; COMPUTE_PGM_RSRC2:TIDIG_COMP_CNT: 2
; COMPUTE_PGM_RSRC3_GFX90A:ACCUM_OFFSET: 19
; COMPUTE_PGM_RSRC3_GFX90A:TG_SPLIT: 0
	.section	.text._ZN7rocprim17ROCPRIM_400000_NS6detail17trampoline_kernelINS0_14default_configENS1_35radix_sort_onesweep_config_selectorIyNS0_10empty_typeEEEZZNS1_29radix_sort_onesweep_iterationIS3_Lb0EN6thrust23THRUST_200600_302600_NS6detail15normal_iteratorINS9_10device_ptrIyEEEESE_PS5_SF_jNS0_19identity_decomposerENS1_16block_id_wrapperIjLb0EEEEE10hipError_tT1_PNSt15iterator_traitsISK_E10value_typeET2_T3_PNSL_ISQ_E10value_typeET4_T5_PSV_SW_PNS1_23onesweep_lookback_stateEbbT6_jjT7_P12ihipStream_tbENKUlT_T0_SK_SP_E_clISE_SE_SF_SF_EEDaS13_S14_SK_SP_EUlS13_E_NS1_11comp_targetILNS1_3genE2ELNS1_11target_archE906ELNS1_3gpuE6ELNS1_3repE0EEENS1_47radix_sort_onesweep_sort_config_static_selectorELNS0_4arch9wavefront6targetE1EEEvSK_,"axG",@progbits,_ZN7rocprim17ROCPRIM_400000_NS6detail17trampoline_kernelINS0_14default_configENS1_35radix_sort_onesweep_config_selectorIyNS0_10empty_typeEEEZZNS1_29radix_sort_onesweep_iterationIS3_Lb0EN6thrust23THRUST_200600_302600_NS6detail15normal_iteratorINS9_10device_ptrIyEEEESE_PS5_SF_jNS0_19identity_decomposerENS1_16block_id_wrapperIjLb0EEEEE10hipError_tT1_PNSt15iterator_traitsISK_E10value_typeET2_T3_PNSL_ISQ_E10value_typeET4_T5_PSV_SW_PNS1_23onesweep_lookback_stateEbbT6_jjT7_P12ihipStream_tbENKUlT_T0_SK_SP_E_clISE_SE_SF_SF_EEDaS13_S14_SK_SP_EUlS13_E_NS1_11comp_targetILNS1_3genE2ELNS1_11target_archE906ELNS1_3gpuE6ELNS1_3repE0EEENS1_47radix_sort_onesweep_sort_config_static_selectorELNS0_4arch9wavefront6targetE1EEEvSK_,comdat
	.protected	_ZN7rocprim17ROCPRIM_400000_NS6detail17trampoline_kernelINS0_14default_configENS1_35radix_sort_onesweep_config_selectorIyNS0_10empty_typeEEEZZNS1_29radix_sort_onesweep_iterationIS3_Lb0EN6thrust23THRUST_200600_302600_NS6detail15normal_iteratorINS9_10device_ptrIyEEEESE_PS5_SF_jNS0_19identity_decomposerENS1_16block_id_wrapperIjLb0EEEEE10hipError_tT1_PNSt15iterator_traitsISK_E10value_typeET2_T3_PNSL_ISQ_E10value_typeET4_T5_PSV_SW_PNS1_23onesweep_lookback_stateEbbT6_jjT7_P12ihipStream_tbENKUlT_T0_SK_SP_E_clISE_SE_SF_SF_EEDaS13_S14_SK_SP_EUlS13_E_NS1_11comp_targetILNS1_3genE2ELNS1_11target_archE906ELNS1_3gpuE6ELNS1_3repE0EEENS1_47radix_sort_onesweep_sort_config_static_selectorELNS0_4arch9wavefront6targetE1EEEvSK_ ; -- Begin function _ZN7rocprim17ROCPRIM_400000_NS6detail17trampoline_kernelINS0_14default_configENS1_35radix_sort_onesweep_config_selectorIyNS0_10empty_typeEEEZZNS1_29radix_sort_onesweep_iterationIS3_Lb0EN6thrust23THRUST_200600_302600_NS6detail15normal_iteratorINS9_10device_ptrIyEEEESE_PS5_SF_jNS0_19identity_decomposerENS1_16block_id_wrapperIjLb0EEEEE10hipError_tT1_PNSt15iterator_traitsISK_E10value_typeET2_T3_PNSL_ISQ_E10value_typeET4_T5_PSV_SW_PNS1_23onesweep_lookback_stateEbbT6_jjT7_P12ihipStream_tbENKUlT_T0_SK_SP_E_clISE_SE_SF_SF_EEDaS13_S14_SK_SP_EUlS13_E_NS1_11comp_targetILNS1_3genE2ELNS1_11target_archE906ELNS1_3gpuE6ELNS1_3repE0EEENS1_47radix_sort_onesweep_sort_config_static_selectorELNS0_4arch9wavefront6targetE1EEEvSK_
	.globl	_ZN7rocprim17ROCPRIM_400000_NS6detail17trampoline_kernelINS0_14default_configENS1_35radix_sort_onesweep_config_selectorIyNS0_10empty_typeEEEZZNS1_29radix_sort_onesweep_iterationIS3_Lb0EN6thrust23THRUST_200600_302600_NS6detail15normal_iteratorINS9_10device_ptrIyEEEESE_PS5_SF_jNS0_19identity_decomposerENS1_16block_id_wrapperIjLb0EEEEE10hipError_tT1_PNSt15iterator_traitsISK_E10value_typeET2_T3_PNSL_ISQ_E10value_typeET4_T5_PSV_SW_PNS1_23onesweep_lookback_stateEbbT6_jjT7_P12ihipStream_tbENKUlT_T0_SK_SP_E_clISE_SE_SF_SF_EEDaS13_S14_SK_SP_EUlS13_E_NS1_11comp_targetILNS1_3genE2ELNS1_11target_archE906ELNS1_3gpuE6ELNS1_3repE0EEENS1_47radix_sort_onesweep_sort_config_static_selectorELNS0_4arch9wavefront6targetE1EEEvSK_
	.p2align	8
	.type	_ZN7rocprim17ROCPRIM_400000_NS6detail17trampoline_kernelINS0_14default_configENS1_35radix_sort_onesweep_config_selectorIyNS0_10empty_typeEEEZZNS1_29radix_sort_onesweep_iterationIS3_Lb0EN6thrust23THRUST_200600_302600_NS6detail15normal_iteratorINS9_10device_ptrIyEEEESE_PS5_SF_jNS0_19identity_decomposerENS1_16block_id_wrapperIjLb0EEEEE10hipError_tT1_PNSt15iterator_traitsISK_E10value_typeET2_T3_PNSL_ISQ_E10value_typeET4_T5_PSV_SW_PNS1_23onesweep_lookback_stateEbbT6_jjT7_P12ihipStream_tbENKUlT_T0_SK_SP_E_clISE_SE_SF_SF_EEDaS13_S14_SK_SP_EUlS13_E_NS1_11comp_targetILNS1_3genE2ELNS1_11target_archE906ELNS1_3gpuE6ELNS1_3repE0EEENS1_47radix_sort_onesweep_sort_config_static_selectorELNS0_4arch9wavefront6targetE1EEEvSK_,@function
_ZN7rocprim17ROCPRIM_400000_NS6detail17trampoline_kernelINS0_14default_configENS1_35radix_sort_onesweep_config_selectorIyNS0_10empty_typeEEEZZNS1_29radix_sort_onesweep_iterationIS3_Lb0EN6thrust23THRUST_200600_302600_NS6detail15normal_iteratorINS9_10device_ptrIyEEEESE_PS5_SF_jNS0_19identity_decomposerENS1_16block_id_wrapperIjLb0EEEEE10hipError_tT1_PNSt15iterator_traitsISK_E10value_typeET2_T3_PNSL_ISQ_E10value_typeET4_T5_PSV_SW_PNS1_23onesweep_lookback_stateEbbT6_jjT7_P12ihipStream_tbENKUlT_T0_SK_SP_E_clISE_SE_SF_SF_EEDaS13_S14_SK_SP_EUlS13_E_NS1_11comp_targetILNS1_3genE2ELNS1_11target_archE906ELNS1_3gpuE6ELNS1_3repE0EEENS1_47radix_sort_onesweep_sort_config_static_selectorELNS0_4arch9wavefront6targetE1EEEvSK_: ; @_ZN7rocprim17ROCPRIM_400000_NS6detail17trampoline_kernelINS0_14default_configENS1_35radix_sort_onesweep_config_selectorIyNS0_10empty_typeEEEZZNS1_29radix_sort_onesweep_iterationIS3_Lb0EN6thrust23THRUST_200600_302600_NS6detail15normal_iteratorINS9_10device_ptrIyEEEESE_PS5_SF_jNS0_19identity_decomposerENS1_16block_id_wrapperIjLb0EEEEE10hipError_tT1_PNSt15iterator_traitsISK_E10value_typeET2_T3_PNSL_ISQ_E10value_typeET4_T5_PSV_SW_PNS1_23onesweep_lookback_stateEbbT6_jjT7_P12ihipStream_tbENKUlT_T0_SK_SP_E_clISE_SE_SF_SF_EEDaS13_S14_SK_SP_EUlS13_E_NS1_11comp_targetILNS1_3genE2ELNS1_11target_archE906ELNS1_3gpuE6ELNS1_3repE0EEENS1_47radix_sort_onesweep_sort_config_static_selectorELNS0_4arch9wavefront6targetE1EEEvSK_
; %bb.0:
	.section	.rodata,"a",@progbits
	.p2align	6, 0x0
	.amdhsa_kernel _ZN7rocprim17ROCPRIM_400000_NS6detail17trampoline_kernelINS0_14default_configENS1_35radix_sort_onesweep_config_selectorIyNS0_10empty_typeEEEZZNS1_29radix_sort_onesweep_iterationIS3_Lb0EN6thrust23THRUST_200600_302600_NS6detail15normal_iteratorINS9_10device_ptrIyEEEESE_PS5_SF_jNS0_19identity_decomposerENS1_16block_id_wrapperIjLb0EEEEE10hipError_tT1_PNSt15iterator_traitsISK_E10value_typeET2_T3_PNSL_ISQ_E10value_typeET4_T5_PSV_SW_PNS1_23onesweep_lookback_stateEbbT6_jjT7_P12ihipStream_tbENKUlT_T0_SK_SP_E_clISE_SE_SF_SF_EEDaS13_S14_SK_SP_EUlS13_E_NS1_11comp_targetILNS1_3genE2ELNS1_11target_archE906ELNS1_3gpuE6ELNS1_3repE0EEENS1_47radix_sort_onesweep_sort_config_static_selectorELNS0_4arch9wavefront6targetE1EEEvSK_
		.amdhsa_group_segment_fixed_size 0
		.amdhsa_private_segment_fixed_size 0
		.amdhsa_kernarg_size 88
		.amdhsa_user_sgpr_count 2
		.amdhsa_user_sgpr_dispatch_ptr 0
		.amdhsa_user_sgpr_queue_ptr 0
		.amdhsa_user_sgpr_kernarg_segment_ptr 1
		.amdhsa_user_sgpr_dispatch_id 0
		.amdhsa_user_sgpr_kernarg_preload_length 0
		.amdhsa_user_sgpr_kernarg_preload_offset 0
		.amdhsa_user_sgpr_private_segment_size 0
		.amdhsa_uses_dynamic_stack 0
		.amdhsa_enable_private_segment 0
		.amdhsa_system_sgpr_workgroup_id_x 1
		.amdhsa_system_sgpr_workgroup_id_y 0
		.amdhsa_system_sgpr_workgroup_id_z 0
		.amdhsa_system_sgpr_workgroup_info 0
		.amdhsa_system_vgpr_workitem_id 0
		.amdhsa_next_free_vgpr 1
		.amdhsa_next_free_sgpr 0
		.amdhsa_accum_offset 4
		.amdhsa_reserve_vcc 0
		.amdhsa_float_round_mode_32 0
		.amdhsa_float_round_mode_16_64 0
		.amdhsa_float_denorm_mode_32 3
		.amdhsa_float_denorm_mode_16_64 3
		.amdhsa_dx10_clamp 1
		.amdhsa_ieee_mode 1
		.amdhsa_fp16_overflow 0
		.amdhsa_tg_split 0
		.amdhsa_exception_fp_ieee_invalid_op 0
		.amdhsa_exception_fp_denorm_src 0
		.amdhsa_exception_fp_ieee_div_zero 0
		.amdhsa_exception_fp_ieee_overflow 0
		.amdhsa_exception_fp_ieee_underflow 0
		.amdhsa_exception_fp_ieee_inexact 0
		.amdhsa_exception_int_div_zero 0
	.end_amdhsa_kernel
	.section	.text._ZN7rocprim17ROCPRIM_400000_NS6detail17trampoline_kernelINS0_14default_configENS1_35radix_sort_onesweep_config_selectorIyNS0_10empty_typeEEEZZNS1_29radix_sort_onesweep_iterationIS3_Lb0EN6thrust23THRUST_200600_302600_NS6detail15normal_iteratorINS9_10device_ptrIyEEEESE_PS5_SF_jNS0_19identity_decomposerENS1_16block_id_wrapperIjLb0EEEEE10hipError_tT1_PNSt15iterator_traitsISK_E10value_typeET2_T3_PNSL_ISQ_E10value_typeET4_T5_PSV_SW_PNS1_23onesweep_lookback_stateEbbT6_jjT7_P12ihipStream_tbENKUlT_T0_SK_SP_E_clISE_SE_SF_SF_EEDaS13_S14_SK_SP_EUlS13_E_NS1_11comp_targetILNS1_3genE2ELNS1_11target_archE906ELNS1_3gpuE6ELNS1_3repE0EEENS1_47radix_sort_onesweep_sort_config_static_selectorELNS0_4arch9wavefront6targetE1EEEvSK_,"axG",@progbits,_ZN7rocprim17ROCPRIM_400000_NS6detail17trampoline_kernelINS0_14default_configENS1_35radix_sort_onesweep_config_selectorIyNS0_10empty_typeEEEZZNS1_29radix_sort_onesweep_iterationIS3_Lb0EN6thrust23THRUST_200600_302600_NS6detail15normal_iteratorINS9_10device_ptrIyEEEESE_PS5_SF_jNS0_19identity_decomposerENS1_16block_id_wrapperIjLb0EEEEE10hipError_tT1_PNSt15iterator_traitsISK_E10value_typeET2_T3_PNSL_ISQ_E10value_typeET4_T5_PSV_SW_PNS1_23onesweep_lookback_stateEbbT6_jjT7_P12ihipStream_tbENKUlT_T0_SK_SP_E_clISE_SE_SF_SF_EEDaS13_S14_SK_SP_EUlS13_E_NS1_11comp_targetILNS1_3genE2ELNS1_11target_archE906ELNS1_3gpuE6ELNS1_3repE0EEENS1_47radix_sort_onesweep_sort_config_static_selectorELNS0_4arch9wavefront6targetE1EEEvSK_,comdat
.Lfunc_end894:
	.size	_ZN7rocprim17ROCPRIM_400000_NS6detail17trampoline_kernelINS0_14default_configENS1_35radix_sort_onesweep_config_selectorIyNS0_10empty_typeEEEZZNS1_29radix_sort_onesweep_iterationIS3_Lb0EN6thrust23THRUST_200600_302600_NS6detail15normal_iteratorINS9_10device_ptrIyEEEESE_PS5_SF_jNS0_19identity_decomposerENS1_16block_id_wrapperIjLb0EEEEE10hipError_tT1_PNSt15iterator_traitsISK_E10value_typeET2_T3_PNSL_ISQ_E10value_typeET4_T5_PSV_SW_PNS1_23onesweep_lookback_stateEbbT6_jjT7_P12ihipStream_tbENKUlT_T0_SK_SP_E_clISE_SE_SF_SF_EEDaS13_S14_SK_SP_EUlS13_E_NS1_11comp_targetILNS1_3genE2ELNS1_11target_archE906ELNS1_3gpuE6ELNS1_3repE0EEENS1_47radix_sort_onesweep_sort_config_static_selectorELNS0_4arch9wavefront6targetE1EEEvSK_, .Lfunc_end894-_ZN7rocprim17ROCPRIM_400000_NS6detail17trampoline_kernelINS0_14default_configENS1_35radix_sort_onesweep_config_selectorIyNS0_10empty_typeEEEZZNS1_29radix_sort_onesweep_iterationIS3_Lb0EN6thrust23THRUST_200600_302600_NS6detail15normal_iteratorINS9_10device_ptrIyEEEESE_PS5_SF_jNS0_19identity_decomposerENS1_16block_id_wrapperIjLb0EEEEE10hipError_tT1_PNSt15iterator_traitsISK_E10value_typeET2_T3_PNSL_ISQ_E10value_typeET4_T5_PSV_SW_PNS1_23onesweep_lookback_stateEbbT6_jjT7_P12ihipStream_tbENKUlT_T0_SK_SP_E_clISE_SE_SF_SF_EEDaS13_S14_SK_SP_EUlS13_E_NS1_11comp_targetILNS1_3genE2ELNS1_11target_archE906ELNS1_3gpuE6ELNS1_3repE0EEENS1_47radix_sort_onesweep_sort_config_static_selectorELNS0_4arch9wavefront6targetE1EEEvSK_
                                        ; -- End function
	.section	.AMDGPU.csdata,"",@progbits
; Kernel info:
; codeLenInByte = 0
; NumSgprs: 6
; NumVgprs: 0
; NumAgprs: 0
; TotalNumVgprs: 0
; ScratchSize: 0
; MemoryBound: 0
; FloatMode: 240
; IeeeMode: 1
; LDSByteSize: 0 bytes/workgroup (compile time only)
; SGPRBlocks: 0
; VGPRBlocks: 0
; NumSGPRsForWavesPerEU: 6
; NumVGPRsForWavesPerEU: 1
; AccumOffset: 4
; Occupancy: 8
; WaveLimiterHint : 0
; COMPUTE_PGM_RSRC2:SCRATCH_EN: 0
; COMPUTE_PGM_RSRC2:USER_SGPR: 2
; COMPUTE_PGM_RSRC2:TRAP_HANDLER: 0
; COMPUTE_PGM_RSRC2:TGID_X_EN: 1
; COMPUTE_PGM_RSRC2:TGID_Y_EN: 0
; COMPUTE_PGM_RSRC2:TGID_Z_EN: 0
; COMPUTE_PGM_RSRC2:TIDIG_COMP_CNT: 0
; COMPUTE_PGM_RSRC3_GFX90A:ACCUM_OFFSET: 0
; COMPUTE_PGM_RSRC3_GFX90A:TG_SPLIT: 0
	.section	.text._ZN7rocprim17ROCPRIM_400000_NS6detail17trampoline_kernelINS0_14default_configENS1_35radix_sort_onesweep_config_selectorIyNS0_10empty_typeEEEZZNS1_29radix_sort_onesweep_iterationIS3_Lb0EN6thrust23THRUST_200600_302600_NS6detail15normal_iteratorINS9_10device_ptrIyEEEESE_PS5_SF_jNS0_19identity_decomposerENS1_16block_id_wrapperIjLb0EEEEE10hipError_tT1_PNSt15iterator_traitsISK_E10value_typeET2_T3_PNSL_ISQ_E10value_typeET4_T5_PSV_SW_PNS1_23onesweep_lookback_stateEbbT6_jjT7_P12ihipStream_tbENKUlT_T0_SK_SP_E_clISE_SE_SF_SF_EEDaS13_S14_SK_SP_EUlS13_E_NS1_11comp_targetILNS1_3genE4ELNS1_11target_archE910ELNS1_3gpuE8ELNS1_3repE0EEENS1_47radix_sort_onesweep_sort_config_static_selectorELNS0_4arch9wavefront6targetE1EEEvSK_,"axG",@progbits,_ZN7rocprim17ROCPRIM_400000_NS6detail17trampoline_kernelINS0_14default_configENS1_35radix_sort_onesweep_config_selectorIyNS0_10empty_typeEEEZZNS1_29radix_sort_onesweep_iterationIS3_Lb0EN6thrust23THRUST_200600_302600_NS6detail15normal_iteratorINS9_10device_ptrIyEEEESE_PS5_SF_jNS0_19identity_decomposerENS1_16block_id_wrapperIjLb0EEEEE10hipError_tT1_PNSt15iterator_traitsISK_E10value_typeET2_T3_PNSL_ISQ_E10value_typeET4_T5_PSV_SW_PNS1_23onesweep_lookback_stateEbbT6_jjT7_P12ihipStream_tbENKUlT_T0_SK_SP_E_clISE_SE_SF_SF_EEDaS13_S14_SK_SP_EUlS13_E_NS1_11comp_targetILNS1_3genE4ELNS1_11target_archE910ELNS1_3gpuE8ELNS1_3repE0EEENS1_47radix_sort_onesweep_sort_config_static_selectorELNS0_4arch9wavefront6targetE1EEEvSK_,comdat
	.protected	_ZN7rocprim17ROCPRIM_400000_NS6detail17trampoline_kernelINS0_14default_configENS1_35radix_sort_onesweep_config_selectorIyNS0_10empty_typeEEEZZNS1_29radix_sort_onesweep_iterationIS3_Lb0EN6thrust23THRUST_200600_302600_NS6detail15normal_iteratorINS9_10device_ptrIyEEEESE_PS5_SF_jNS0_19identity_decomposerENS1_16block_id_wrapperIjLb0EEEEE10hipError_tT1_PNSt15iterator_traitsISK_E10value_typeET2_T3_PNSL_ISQ_E10value_typeET4_T5_PSV_SW_PNS1_23onesweep_lookback_stateEbbT6_jjT7_P12ihipStream_tbENKUlT_T0_SK_SP_E_clISE_SE_SF_SF_EEDaS13_S14_SK_SP_EUlS13_E_NS1_11comp_targetILNS1_3genE4ELNS1_11target_archE910ELNS1_3gpuE8ELNS1_3repE0EEENS1_47radix_sort_onesweep_sort_config_static_selectorELNS0_4arch9wavefront6targetE1EEEvSK_ ; -- Begin function _ZN7rocprim17ROCPRIM_400000_NS6detail17trampoline_kernelINS0_14default_configENS1_35radix_sort_onesweep_config_selectorIyNS0_10empty_typeEEEZZNS1_29radix_sort_onesweep_iterationIS3_Lb0EN6thrust23THRUST_200600_302600_NS6detail15normal_iteratorINS9_10device_ptrIyEEEESE_PS5_SF_jNS0_19identity_decomposerENS1_16block_id_wrapperIjLb0EEEEE10hipError_tT1_PNSt15iterator_traitsISK_E10value_typeET2_T3_PNSL_ISQ_E10value_typeET4_T5_PSV_SW_PNS1_23onesweep_lookback_stateEbbT6_jjT7_P12ihipStream_tbENKUlT_T0_SK_SP_E_clISE_SE_SF_SF_EEDaS13_S14_SK_SP_EUlS13_E_NS1_11comp_targetILNS1_3genE4ELNS1_11target_archE910ELNS1_3gpuE8ELNS1_3repE0EEENS1_47radix_sort_onesweep_sort_config_static_selectorELNS0_4arch9wavefront6targetE1EEEvSK_
	.globl	_ZN7rocprim17ROCPRIM_400000_NS6detail17trampoline_kernelINS0_14default_configENS1_35radix_sort_onesweep_config_selectorIyNS0_10empty_typeEEEZZNS1_29radix_sort_onesweep_iterationIS3_Lb0EN6thrust23THRUST_200600_302600_NS6detail15normal_iteratorINS9_10device_ptrIyEEEESE_PS5_SF_jNS0_19identity_decomposerENS1_16block_id_wrapperIjLb0EEEEE10hipError_tT1_PNSt15iterator_traitsISK_E10value_typeET2_T3_PNSL_ISQ_E10value_typeET4_T5_PSV_SW_PNS1_23onesweep_lookback_stateEbbT6_jjT7_P12ihipStream_tbENKUlT_T0_SK_SP_E_clISE_SE_SF_SF_EEDaS13_S14_SK_SP_EUlS13_E_NS1_11comp_targetILNS1_3genE4ELNS1_11target_archE910ELNS1_3gpuE8ELNS1_3repE0EEENS1_47radix_sort_onesweep_sort_config_static_selectorELNS0_4arch9wavefront6targetE1EEEvSK_
	.p2align	8
	.type	_ZN7rocprim17ROCPRIM_400000_NS6detail17trampoline_kernelINS0_14default_configENS1_35radix_sort_onesweep_config_selectorIyNS0_10empty_typeEEEZZNS1_29radix_sort_onesweep_iterationIS3_Lb0EN6thrust23THRUST_200600_302600_NS6detail15normal_iteratorINS9_10device_ptrIyEEEESE_PS5_SF_jNS0_19identity_decomposerENS1_16block_id_wrapperIjLb0EEEEE10hipError_tT1_PNSt15iterator_traitsISK_E10value_typeET2_T3_PNSL_ISQ_E10value_typeET4_T5_PSV_SW_PNS1_23onesweep_lookback_stateEbbT6_jjT7_P12ihipStream_tbENKUlT_T0_SK_SP_E_clISE_SE_SF_SF_EEDaS13_S14_SK_SP_EUlS13_E_NS1_11comp_targetILNS1_3genE4ELNS1_11target_archE910ELNS1_3gpuE8ELNS1_3repE0EEENS1_47radix_sort_onesweep_sort_config_static_selectorELNS0_4arch9wavefront6targetE1EEEvSK_,@function
_ZN7rocprim17ROCPRIM_400000_NS6detail17trampoline_kernelINS0_14default_configENS1_35radix_sort_onesweep_config_selectorIyNS0_10empty_typeEEEZZNS1_29radix_sort_onesweep_iterationIS3_Lb0EN6thrust23THRUST_200600_302600_NS6detail15normal_iteratorINS9_10device_ptrIyEEEESE_PS5_SF_jNS0_19identity_decomposerENS1_16block_id_wrapperIjLb0EEEEE10hipError_tT1_PNSt15iterator_traitsISK_E10value_typeET2_T3_PNSL_ISQ_E10value_typeET4_T5_PSV_SW_PNS1_23onesweep_lookback_stateEbbT6_jjT7_P12ihipStream_tbENKUlT_T0_SK_SP_E_clISE_SE_SF_SF_EEDaS13_S14_SK_SP_EUlS13_E_NS1_11comp_targetILNS1_3genE4ELNS1_11target_archE910ELNS1_3gpuE8ELNS1_3repE0EEENS1_47radix_sort_onesweep_sort_config_static_selectorELNS0_4arch9wavefront6targetE1EEEvSK_: ; @_ZN7rocprim17ROCPRIM_400000_NS6detail17trampoline_kernelINS0_14default_configENS1_35radix_sort_onesweep_config_selectorIyNS0_10empty_typeEEEZZNS1_29radix_sort_onesweep_iterationIS3_Lb0EN6thrust23THRUST_200600_302600_NS6detail15normal_iteratorINS9_10device_ptrIyEEEESE_PS5_SF_jNS0_19identity_decomposerENS1_16block_id_wrapperIjLb0EEEEE10hipError_tT1_PNSt15iterator_traitsISK_E10value_typeET2_T3_PNSL_ISQ_E10value_typeET4_T5_PSV_SW_PNS1_23onesweep_lookback_stateEbbT6_jjT7_P12ihipStream_tbENKUlT_T0_SK_SP_E_clISE_SE_SF_SF_EEDaS13_S14_SK_SP_EUlS13_E_NS1_11comp_targetILNS1_3genE4ELNS1_11target_archE910ELNS1_3gpuE8ELNS1_3repE0EEENS1_47radix_sort_onesweep_sort_config_static_selectorELNS0_4arch9wavefront6targetE1EEEvSK_
; %bb.0:
	.section	.rodata,"a",@progbits
	.p2align	6, 0x0
	.amdhsa_kernel _ZN7rocprim17ROCPRIM_400000_NS6detail17trampoline_kernelINS0_14default_configENS1_35radix_sort_onesweep_config_selectorIyNS0_10empty_typeEEEZZNS1_29radix_sort_onesweep_iterationIS3_Lb0EN6thrust23THRUST_200600_302600_NS6detail15normal_iteratorINS9_10device_ptrIyEEEESE_PS5_SF_jNS0_19identity_decomposerENS1_16block_id_wrapperIjLb0EEEEE10hipError_tT1_PNSt15iterator_traitsISK_E10value_typeET2_T3_PNSL_ISQ_E10value_typeET4_T5_PSV_SW_PNS1_23onesweep_lookback_stateEbbT6_jjT7_P12ihipStream_tbENKUlT_T0_SK_SP_E_clISE_SE_SF_SF_EEDaS13_S14_SK_SP_EUlS13_E_NS1_11comp_targetILNS1_3genE4ELNS1_11target_archE910ELNS1_3gpuE8ELNS1_3repE0EEENS1_47radix_sort_onesweep_sort_config_static_selectorELNS0_4arch9wavefront6targetE1EEEvSK_
		.amdhsa_group_segment_fixed_size 0
		.amdhsa_private_segment_fixed_size 0
		.amdhsa_kernarg_size 88
		.amdhsa_user_sgpr_count 2
		.amdhsa_user_sgpr_dispatch_ptr 0
		.amdhsa_user_sgpr_queue_ptr 0
		.amdhsa_user_sgpr_kernarg_segment_ptr 1
		.amdhsa_user_sgpr_dispatch_id 0
		.amdhsa_user_sgpr_kernarg_preload_length 0
		.amdhsa_user_sgpr_kernarg_preload_offset 0
		.amdhsa_user_sgpr_private_segment_size 0
		.amdhsa_uses_dynamic_stack 0
		.amdhsa_enable_private_segment 0
		.amdhsa_system_sgpr_workgroup_id_x 1
		.amdhsa_system_sgpr_workgroup_id_y 0
		.amdhsa_system_sgpr_workgroup_id_z 0
		.amdhsa_system_sgpr_workgroup_info 0
		.amdhsa_system_vgpr_workitem_id 0
		.amdhsa_next_free_vgpr 1
		.amdhsa_next_free_sgpr 0
		.amdhsa_accum_offset 4
		.amdhsa_reserve_vcc 0
		.amdhsa_float_round_mode_32 0
		.amdhsa_float_round_mode_16_64 0
		.amdhsa_float_denorm_mode_32 3
		.amdhsa_float_denorm_mode_16_64 3
		.amdhsa_dx10_clamp 1
		.amdhsa_ieee_mode 1
		.amdhsa_fp16_overflow 0
		.amdhsa_tg_split 0
		.amdhsa_exception_fp_ieee_invalid_op 0
		.amdhsa_exception_fp_denorm_src 0
		.amdhsa_exception_fp_ieee_div_zero 0
		.amdhsa_exception_fp_ieee_overflow 0
		.amdhsa_exception_fp_ieee_underflow 0
		.amdhsa_exception_fp_ieee_inexact 0
		.amdhsa_exception_int_div_zero 0
	.end_amdhsa_kernel
	.section	.text._ZN7rocprim17ROCPRIM_400000_NS6detail17trampoline_kernelINS0_14default_configENS1_35radix_sort_onesweep_config_selectorIyNS0_10empty_typeEEEZZNS1_29radix_sort_onesweep_iterationIS3_Lb0EN6thrust23THRUST_200600_302600_NS6detail15normal_iteratorINS9_10device_ptrIyEEEESE_PS5_SF_jNS0_19identity_decomposerENS1_16block_id_wrapperIjLb0EEEEE10hipError_tT1_PNSt15iterator_traitsISK_E10value_typeET2_T3_PNSL_ISQ_E10value_typeET4_T5_PSV_SW_PNS1_23onesweep_lookback_stateEbbT6_jjT7_P12ihipStream_tbENKUlT_T0_SK_SP_E_clISE_SE_SF_SF_EEDaS13_S14_SK_SP_EUlS13_E_NS1_11comp_targetILNS1_3genE4ELNS1_11target_archE910ELNS1_3gpuE8ELNS1_3repE0EEENS1_47radix_sort_onesweep_sort_config_static_selectorELNS0_4arch9wavefront6targetE1EEEvSK_,"axG",@progbits,_ZN7rocprim17ROCPRIM_400000_NS6detail17trampoline_kernelINS0_14default_configENS1_35radix_sort_onesweep_config_selectorIyNS0_10empty_typeEEEZZNS1_29radix_sort_onesweep_iterationIS3_Lb0EN6thrust23THRUST_200600_302600_NS6detail15normal_iteratorINS9_10device_ptrIyEEEESE_PS5_SF_jNS0_19identity_decomposerENS1_16block_id_wrapperIjLb0EEEEE10hipError_tT1_PNSt15iterator_traitsISK_E10value_typeET2_T3_PNSL_ISQ_E10value_typeET4_T5_PSV_SW_PNS1_23onesweep_lookback_stateEbbT6_jjT7_P12ihipStream_tbENKUlT_T0_SK_SP_E_clISE_SE_SF_SF_EEDaS13_S14_SK_SP_EUlS13_E_NS1_11comp_targetILNS1_3genE4ELNS1_11target_archE910ELNS1_3gpuE8ELNS1_3repE0EEENS1_47radix_sort_onesweep_sort_config_static_selectorELNS0_4arch9wavefront6targetE1EEEvSK_,comdat
.Lfunc_end895:
	.size	_ZN7rocprim17ROCPRIM_400000_NS6detail17trampoline_kernelINS0_14default_configENS1_35radix_sort_onesweep_config_selectorIyNS0_10empty_typeEEEZZNS1_29radix_sort_onesweep_iterationIS3_Lb0EN6thrust23THRUST_200600_302600_NS6detail15normal_iteratorINS9_10device_ptrIyEEEESE_PS5_SF_jNS0_19identity_decomposerENS1_16block_id_wrapperIjLb0EEEEE10hipError_tT1_PNSt15iterator_traitsISK_E10value_typeET2_T3_PNSL_ISQ_E10value_typeET4_T5_PSV_SW_PNS1_23onesweep_lookback_stateEbbT6_jjT7_P12ihipStream_tbENKUlT_T0_SK_SP_E_clISE_SE_SF_SF_EEDaS13_S14_SK_SP_EUlS13_E_NS1_11comp_targetILNS1_3genE4ELNS1_11target_archE910ELNS1_3gpuE8ELNS1_3repE0EEENS1_47radix_sort_onesweep_sort_config_static_selectorELNS0_4arch9wavefront6targetE1EEEvSK_, .Lfunc_end895-_ZN7rocprim17ROCPRIM_400000_NS6detail17trampoline_kernelINS0_14default_configENS1_35radix_sort_onesweep_config_selectorIyNS0_10empty_typeEEEZZNS1_29radix_sort_onesweep_iterationIS3_Lb0EN6thrust23THRUST_200600_302600_NS6detail15normal_iteratorINS9_10device_ptrIyEEEESE_PS5_SF_jNS0_19identity_decomposerENS1_16block_id_wrapperIjLb0EEEEE10hipError_tT1_PNSt15iterator_traitsISK_E10value_typeET2_T3_PNSL_ISQ_E10value_typeET4_T5_PSV_SW_PNS1_23onesweep_lookback_stateEbbT6_jjT7_P12ihipStream_tbENKUlT_T0_SK_SP_E_clISE_SE_SF_SF_EEDaS13_S14_SK_SP_EUlS13_E_NS1_11comp_targetILNS1_3genE4ELNS1_11target_archE910ELNS1_3gpuE8ELNS1_3repE0EEENS1_47radix_sort_onesweep_sort_config_static_selectorELNS0_4arch9wavefront6targetE1EEEvSK_
                                        ; -- End function
	.section	.AMDGPU.csdata,"",@progbits
; Kernel info:
; codeLenInByte = 0
; NumSgprs: 6
; NumVgprs: 0
; NumAgprs: 0
; TotalNumVgprs: 0
; ScratchSize: 0
; MemoryBound: 0
; FloatMode: 240
; IeeeMode: 1
; LDSByteSize: 0 bytes/workgroup (compile time only)
; SGPRBlocks: 0
; VGPRBlocks: 0
; NumSGPRsForWavesPerEU: 6
; NumVGPRsForWavesPerEU: 1
; AccumOffset: 4
; Occupancy: 8
; WaveLimiterHint : 0
; COMPUTE_PGM_RSRC2:SCRATCH_EN: 0
; COMPUTE_PGM_RSRC2:USER_SGPR: 2
; COMPUTE_PGM_RSRC2:TRAP_HANDLER: 0
; COMPUTE_PGM_RSRC2:TGID_X_EN: 1
; COMPUTE_PGM_RSRC2:TGID_Y_EN: 0
; COMPUTE_PGM_RSRC2:TGID_Z_EN: 0
; COMPUTE_PGM_RSRC2:TIDIG_COMP_CNT: 0
; COMPUTE_PGM_RSRC3_GFX90A:ACCUM_OFFSET: 0
; COMPUTE_PGM_RSRC3_GFX90A:TG_SPLIT: 0
	.section	.text._ZN7rocprim17ROCPRIM_400000_NS6detail17trampoline_kernelINS0_14default_configENS1_35radix_sort_onesweep_config_selectorIyNS0_10empty_typeEEEZZNS1_29radix_sort_onesweep_iterationIS3_Lb0EN6thrust23THRUST_200600_302600_NS6detail15normal_iteratorINS9_10device_ptrIyEEEESE_PS5_SF_jNS0_19identity_decomposerENS1_16block_id_wrapperIjLb0EEEEE10hipError_tT1_PNSt15iterator_traitsISK_E10value_typeET2_T3_PNSL_ISQ_E10value_typeET4_T5_PSV_SW_PNS1_23onesweep_lookback_stateEbbT6_jjT7_P12ihipStream_tbENKUlT_T0_SK_SP_E_clISE_SE_SF_SF_EEDaS13_S14_SK_SP_EUlS13_E_NS1_11comp_targetILNS1_3genE3ELNS1_11target_archE908ELNS1_3gpuE7ELNS1_3repE0EEENS1_47radix_sort_onesweep_sort_config_static_selectorELNS0_4arch9wavefront6targetE1EEEvSK_,"axG",@progbits,_ZN7rocprim17ROCPRIM_400000_NS6detail17trampoline_kernelINS0_14default_configENS1_35radix_sort_onesweep_config_selectorIyNS0_10empty_typeEEEZZNS1_29radix_sort_onesweep_iterationIS3_Lb0EN6thrust23THRUST_200600_302600_NS6detail15normal_iteratorINS9_10device_ptrIyEEEESE_PS5_SF_jNS0_19identity_decomposerENS1_16block_id_wrapperIjLb0EEEEE10hipError_tT1_PNSt15iterator_traitsISK_E10value_typeET2_T3_PNSL_ISQ_E10value_typeET4_T5_PSV_SW_PNS1_23onesweep_lookback_stateEbbT6_jjT7_P12ihipStream_tbENKUlT_T0_SK_SP_E_clISE_SE_SF_SF_EEDaS13_S14_SK_SP_EUlS13_E_NS1_11comp_targetILNS1_3genE3ELNS1_11target_archE908ELNS1_3gpuE7ELNS1_3repE0EEENS1_47radix_sort_onesweep_sort_config_static_selectorELNS0_4arch9wavefront6targetE1EEEvSK_,comdat
	.protected	_ZN7rocprim17ROCPRIM_400000_NS6detail17trampoline_kernelINS0_14default_configENS1_35radix_sort_onesweep_config_selectorIyNS0_10empty_typeEEEZZNS1_29radix_sort_onesweep_iterationIS3_Lb0EN6thrust23THRUST_200600_302600_NS6detail15normal_iteratorINS9_10device_ptrIyEEEESE_PS5_SF_jNS0_19identity_decomposerENS1_16block_id_wrapperIjLb0EEEEE10hipError_tT1_PNSt15iterator_traitsISK_E10value_typeET2_T3_PNSL_ISQ_E10value_typeET4_T5_PSV_SW_PNS1_23onesweep_lookback_stateEbbT6_jjT7_P12ihipStream_tbENKUlT_T0_SK_SP_E_clISE_SE_SF_SF_EEDaS13_S14_SK_SP_EUlS13_E_NS1_11comp_targetILNS1_3genE3ELNS1_11target_archE908ELNS1_3gpuE7ELNS1_3repE0EEENS1_47radix_sort_onesweep_sort_config_static_selectorELNS0_4arch9wavefront6targetE1EEEvSK_ ; -- Begin function _ZN7rocprim17ROCPRIM_400000_NS6detail17trampoline_kernelINS0_14default_configENS1_35radix_sort_onesweep_config_selectorIyNS0_10empty_typeEEEZZNS1_29radix_sort_onesweep_iterationIS3_Lb0EN6thrust23THRUST_200600_302600_NS6detail15normal_iteratorINS9_10device_ptrIyEEEESE_PS5_SF_jNS0_19identity_decomposerENS1_16block_id_wrapperIjLb0EEEEE10hipError_tT1_PNSt15iterator_traitsISK_E10value_typeET2_T3_PNSL_ISQ_E10value_typeET4_T5_PSV_SW_PNS1_23onesweep_lookback_stateEbbT6_jjT7_P12ihipStream_tbENKUlT_T0_SK_SP_E_clISE_SE_SF_SF_EEDaS13_S14_SK_SP_EUlS13_E_NS1_11comp_targetILNS1_3genE3ELNS1_11target_archE908ELNS1_3gpuE7ELNS1_3repE0EEENS1_47radix_sort_onesweep_sort_config_static_selectorELNS0_4arch9wavefront6targetE1EEEvSK_
	.globl	_ZN7rocprim17ROCPRIM_400000_NS6detail17trampoline_kernelINS0_14default_configENS1_35radix_sort_onesweep_config_selectorIyNS0_10empty_typeEEEZZNS1_29radix_sort_onesweep_iterationIS3_Lb0EN6thrust23THRUST_200600_302600_NS6detail15normal_iteratorINS9_10device_ptrIyEEEESE_PS5_SF_jNS0_19identity_decomposerENS1_16block_id_wrapperIjLb0EEEEE10hipError_tT1_PNSt15iterator_traitsISK_E10value_typeET2_T3_PNSL_ISQ_E10value_typeET4_T5_PSV_SW_PNS1_23onesweep_lookback_stateEbbT6_jjT7_P12ihipStream_tbENKUlT_T0_SK_SP_E_clISE_SE_SF_SF_EEDaS13_S14_SK_SP_EUlS13_E_NS1_11comp_targetILNS1_3genE3ELNS1_11target_archE908ELNS1_3gpuE7ELNS1_3repE0EEENS1_47radix_sort_onesweep_sort_config_static_selectorELNS0_4arch9wavefront6targetE1EEEvSK_
	.p2align	8
	.type	_ZN7rocprim17ROCPRIM_400000_NS6detail17trampoline_kernelINS0_14default_configENS1_35radix_sort_onesweep_config_selectorIyNS0_10empty_typeEEEZZNS1_29radix_sort_onesweep_iterationIS3_Lb0EN6thrust23THRUST_200600_302600_NS6detail15normal_iteratorINS9_10device_ptrIyEEEESE_PS5_SF_jNS0_19identity_decomposerENS1_16block_id_wrapperIjLb0EEEEE10hipError_tT1_PNSt15iterator_traitsISK_E10value_typeET2_T3_PNSL_ISQ_E10value_typeET4_T5_PSV_SW_PNS1_23onesweep_lookback_stateEbbT6_jjT7_P12ihipStream_tbENKUlT_T0_SK_SP_E_clISE_SE_SF_SF_EEDaS13_S14_SK_SP_EUlS13_E_NS1_11comp_targetILNS1_3genE3ELNS1_11target_archE908ELNS1_3gpuE7ELNS1_3repE0EEENS1_47radix_sort_onesweep_sort_config_static_selectorELNS0_4arch9wavefront6targetE1EEEvSK_,@function
_ZN7rocprim17ROCPRIM_400000_NS6detail17trampoline_kernelINS0_14default_configENS1_35radix_sort_onesweep_config_selectorIyNS0_10empty_typeEEEZZNS1_29radix_sort_onesweep_iterationIS3_Lb0EN6thrust23THRUST_200600_302600_NS6detail15normal_iteratorINS9_10device_ptrIyEEEESE_PS5_SF_jNS0_19identity_decomposerENS1_16block_id_wrapperIjLb0EEEEE10hipError_tT1_PNSt15iterator_traitsISK_E10value_typeET2_T3_PNSL_ISQ_E10value_typeET4_T5_PSV_SW_PNS1_23onesweep_lookback_stateEbbT6_jjT7_P12ihipStream_tbENKUlT_T0_SK_SP_E_clISE_SE_SF_SF_EEDaS13_S14_SK_SP_EUlS13_E_NS1_11comp_targetILNS1_3genE3ELNS1_11target_archE908ELNS1_3gpuE7ELNS1_3repE0EEENS1_47radix_sort_onesweep_sort_config_static_selectorELNS0_4arch9wavefront6targetE1EEEvSK_: ; @_ZN7rocprim17ROCPRIM_400000_NS6detail17trampoline_kernelINS0_14default_configENS1_35radix_sort_onesweep_config_selectorIyNS0_10empty_typeEEEZZNS1_29radix_sort_onesweep_iterationIS3_Lb0EN6thrust23THRUST_200600_302600_NS6detail15normal_iteratorINS9_10device_ptrIyEEEESE_PS5_SF_jNS0_19identity_decomposerENS1_16block_id_wrapperIjLb0EEEEE10hipError_tT1_PNSt15iterator_traitsISK_E10value_typeET2_T3_PNSL_ISQ_E10value_typeET4_T5_PSV_SW_PNS1_23onesweep_lookback_stateEbbT6_jjT7_P12ihipStream_tbENKUlT_T0_SK_SP_E_clISE_SE_SF_SF_EEDaS13_S14_SK_SP_EUlS13_E_NS1_11comp_targetILNS1_3genE3ELNS1_11target_archE908ELNS1_3gpuE7ELNS1_3repE0EEENS1_47radix_sort_onesweep_sort_config_static_selectorELNS0_4arch9wavefront6targetE1EEEvSK_
; %bb.0:
	.section	.rodata,"a",@progbits
	.p2align	6, 0x0
	.amdhsa_kernel _ZN7rocprim17ROCPRIM_400000_NS6detail17trampoline_kernelINS0_14default_configENS1_35radix_sort_onesweep_config_selectorIyNS0_10empty_typeEEEZZNS1_29radix_sort_onesweep_iterationIS3_Lb0EN6thrust23THRUST_200600_302600_NS6detail15normal_iteratorINS9_10device_ptrIyEEEESE_PS5_SF_jNS0_19identity_decomposerENS1_16block_id_wrapperIjLb0EEEEE10hipError_tT1_PNSt15iterator_traitsISK_E10value_typeET2_T3_PNSL_ISQ_E10value_typeET4_T5_PSV_SW_PNS1_23onesweep_lookback_stateEbbT6_jjT7_P12ihipStream_tbENKUlT_T0_SK_SP_E_clISE_SE_SF_SF_EEDaS13_S14_SK_SP_EUlS13_E_NS1_11comp_targetILNS1_3genE3ELNS1_11target_archE908ELNS1_3gpuE7ELNS1_3repE0EEENS1_47radix_sort_onesweep_sort_config_static_selectorELNS0_4arch9wavefront6targetE1EEEvSK_
		.amdhsa_group_segment_fixed_size 0
		.amdhsa_private_segment_fixed_size 0
		.amdhsa_kernarg_size 88
		.amdhsa_user_sgpr_count 2
		.amdhsa_user_sgpr_dispatch_ptr 0
		.amdhsa_user_sgpr_queue_ptr 0
		.amdhsa_user_sgpr_kernarg_segment_ptr 1
		.amdhsa_user_sgpr_dispatch_id 0
		.amdhsa_user_sgpr_kernarg_preload_length 0
		.amdhsa_user_sgpr_kernarg_preload_offset 0
		.amdhsa_user_sgpr_private_segment_size 0
		.amdhsa_uses_dynamic_stack 0
		.amdhsa_enable_private_segment 0
		.amdhsa_system_sgpr_workgroup_id_x 1
		.amdhsa_system_sgpr_workgroup_id_y 0
		.amdhsa_system_sgpr_workgroup_id_z 0
		.amdhsa_system_sgpr_workgroup_info 0
		.amdhsa_system_vgpr_workitem_id 0
		.amdhsa_next_free_vgpr 1
		.amdhsa_next_free_sgpr 0
		.amdhsa_accum_offset 4
		.amdhsa_reserve_vcc 0
		.amdhsa_float_round_mode_32 0
		.amdhsa_float_round_mode_16_64 0
		.amdhsa_float_denorm_mode_32 3
		.amdhsa_float_denorm_mode_16_64 3
		.amdhsa_dx10_clamp 1
		.amdhsa_ieee_mode 1
		.amdhsa_fp16_overflow 0
		.amdhsa_tg_split 0
		.amdhsa_exception_fp_ieee_invalid_op 0
		.amdhsa_exception_fp_denorm_src 0
		.amdhsa_exception_fp_ieee_div_zero 0
		.amdhsa_exception_fp_ieee_overflow 0
		.amdhsa_exception_fp_ieee_underflow 0
		.amdhsa_exception_fp_ieee_inexact 0
		.amdhsa_exception_int_div_zero 0
	.end_amdhsa_kernel
	.section	.text._ZN7rocprim17ROCPRIM_400000_NS6detail17trampoline_kernelINS0_14default_configENS1_35radix_sort_onesweep_config_selectorIyNS0_10empty_typeEEEZZNS1_29radix_sort_onesweep_iterationIS3_Lb0EN6thrust23THRUST_200600_302600_NS6detail15normal_iteratorINS9_10device_ptrIyEEEESE_PS5_SF_jNS0_19identity_decomposerENS1_16block_id_wrapperIjLb0EEEEE10hipError_tT1_PNSt15iterator_traitsISK_E10value_typeET2_T3_PNSL_ISQ_E10value_typeET4_T5_PSV_SW_PNS1_23onesweep_lookback_stateEbbT6_jjT7_P12ihipStream_tbENKUlT_T0_SK_SP_E_clISE_SE_SF_SF_EEDaS13_S14_SK_SP_EUlS13_E_NS1_11comp_targetILNS1_3genE3ELNS1_11target_archE908ELNS1_3gpuE7ELNS1_3repE0EEENS1_47radix_sort_onesweep_sort_config_static_selectorELNS0_4arch9wavefront6targetE1EEEvSK_,"axG",@progbits,_ZN7rocprim17ROCPRIM_400000_NS6detail17trampoline_kernelINS0_14default_configENS1_35radix_sort_onesweep_config_selectorIyNS0_10empty_typeEEEZZNS1_29radix_sort_onesweep_iterationIS3_Lb0EN6thrust23THRUST_200600_302600_NS6detail15normal_iteratorINS9_10device_ptrIyEEEESE_PS5_SF_jNS0_19identity_decomposerENS1_16block_id_wrapperIjLb0EEEEE10hipError_tT1_PNSt15iterator_traitsISK_E10value_typeET2_T3_PNSL_ISQ_E10value_typeET4_T5_PSV_SW_PNS1_23onesweep_lookback_stateEbbT6_jjT7_P12ihipStream_tbENKUlT_T0_SK_SP_E_clISE_SE_SF_SF_EEDaS13_S14_SK_SP_EUlS13_E_NS1_11comp_targetILNS1_3genE3ELNS1_11target_archE908ELNS1_3gpuE7ELNS1_3repE0EEENS1_47radix_sort_onesweep_sort_config_static_selectorELNS0_4arch9wavefront6targetE1EEEvSK_,comdat
.Lfunc_end896:
	.size	_ZN7rocprim17ROCPRIM_400000_NS6detail17trampoline_kernelINS0_14default_configENS1_35radix_sort_onesweep_config_selectorIyNS0_10empty_typeEEEZZNS1_29radix_sort_onesweep_iterationIS3_Lb0EN6thrust23THRUST_200600_302600_NS6detail15normal_iteratorINS9_10device_ptrIyEEEESE_PS5_SF_jNS0_19identity_decomposerENS1_16block_id_wrapperIjLb0EEEEE10hipError_tT1_PNSt15iterator_traitsISK_E10value_typeET2_T3_PNSL_ISQ_E10value_typeET4_T5_PSV_SW_PNS1_23onesweep_lookback_stateEbbT6_jjT7_P12ihipStream_tbENKUlT_T0_SK_SP_E_clISE_SE_SF_SF_EEDaS13_S14_SK_SP_EUlS13_E_NS1_11comp_targetILNS1_3genE3ELNS1_11target_archE908ELNS1_3gpuE7ELNS1_3repE0EEENS1_47radix_sort_onesweep_sort_config_static_selectorELNS0_4arch9wavefront6targetE1EEEvSK_, .Lfunc_end896-_ZN7rocprim17ROCPRIM_400000_NS6detail17trampoline_kernelINS0_14default_configENS1_35radix_sort_onesweep_config_selectorIyNS0_10empty_typeEEEZZNS1_29radix_sort_onesweep_iterationIS3_Lb0EN6thrust23THRUST_200600_302600_NS6detail15normal_iteratorINS9_10device_ptrIyEEEESE_PS5_SF_jNS0_19identity_decomposerENS1_16block_id_wrapperIjLb0EEEEE10hipError_tT1_PNSt15iterator_traitsISK_E10value_typeET2_T3_PNSL_ISQ_E10value_typeET4_T5_PSV_SW_PNS1_23onesweep_lookback_stateEbbT6_jjT7_P12ihipStream_tbENKUlT_T0_SK_SP_E_clISE_SE_SF_SF_EEDaS13_S14_SK_SP_EUlS13_E_NS1_11comp_targetILNS1_3genE3ELNS1_11target_archE908ELNS1_3gpuE7ELNS1_3repE0EEENS1_47radix_sort_onesweep_sort_config_static_selectorELNS0_4arch9wavefront6targetE1EEEvSK_
                                        ; -- End function
	.section	.AMDGPU.csdata,"",@progbits
; Kernel info:
; codeLenInByte = 0
; NumSgprs: 6
; NumVgprs: 0
; NumAgprs: 0
; TotalNumVgprs: 0
; ScratchSize: 0
; MemoryBound: 0
; FloatMode: 240
; IeeeMode: 1
; LDSByteSize: 0 bytes/workgroup (compile time only)
; SGPRBlocks: 0
; VGPRBlocks: 0
; NumSGPRsForWavesPerEU: 6
; NumVGPRsForWavesPerEU: 1
; AccumOffset: 4
; Occupancy: 8
; WaveLimiterHint : 0
; COMPUTE_PGM_RSRC2:SCRATCH_EN: 0
; COMPUTE_PGM_RSRC2:USER_SGPR: 2
; COMPUTE_PGM_RSRC2:TRAP_HANDLER: 0
; COMPUTE_PGM_RSRC2:TGID_X_EN: 1
; COMPUTE_PGM_RSRC2:TGID_Y_EN: 0
; COMPUTE_PGM_RSRC2:TGID_Z_EN: 0
; COMPUTE_PGM_RSRC2:TIDIG_COMP_CNT: 0
; COMPUTE_PGM_RSRC3_GFX90A:ACCUM_OFFSET: 0
; COMPUTE_PGM_RSRC3_GFX90A:TG_SPLIT: 0
	.section	.text._ZN7rocprim17ROCPRIM_400000_NS6detail17trampoline_kernelINS0_14default_configENS1_35radix_sort_onesweep_config_selectorIyNS0_10empty_typeEEEZZNS1_29radix_sort_onesweep_iterationIS3_Lb0EN6thrust23THRUST_200600_302600_NS6detail15normal_iteratorINS9_10device_ptrIyEEEESE_PS5_SF_jNS0_19identity_decomposerENS1_16block_id_wrapperIjLb0EEEEE10hipError_tT1_PNSt15iterator_traitsISK_E10value_typeET2_T3_PNSL_ISQ_E10value_typeET4_T5_PSV_SW_PNS1_23onesweep_lookback_stateEbbT6_jjT7_P12ihipStream_tbENKUlT_T0_SK_SP_E_clISE_SE_SF_SF_EEDaS13_S14_SK_SP_EUlS13_E_NS1_11comp_targetILNS1_3genE10ELNS1_11target_archE1201ELNS1_3gpuE5ELNS1_3repE0EEENS1_47radix_sort_onesweep_sort_config_static_selectorELNS0_4arch9wavefront6targetE1EEEvSK_,"axG",@progbits,_ZN7rocprim17ROCPRIM_400000_NS6detail17trampoline_kernelINS0_14default_configENS1_35radix_sort_onesweep_config_selectorIyNS0_10empty_typeEEEZZNS1_29radix_sort_onesweep_iterationIS3_Lb0EN6thrust23THRUST_200600_302600_NS6detail15normal_iteratorINS9_10device_ptrIyEEEESE_PS5_SF_jNS0_19identity_decomposerENS1_16block_id_wrapperIjLb0EEEEE10hipError_tT1_PNSt15iterator_traitsISK_E10value_typeET2_T3_PNSL_ISQ_E10value_typeET4_T5_PSV_SW_PNS1_23onesweep_lookback_stateEbbT6_jjT7_P12ihipStream_tbENKUlT_T0_SK_SP_E_clISE_SE_SF_SF_EEDaS13_S14_SK_SP_EUlS13_E_NS1_11comp_targetILNS1_3genE10ELNS1_11target_archE1201ELNS1_3gpuE5ELNS1_3repE0EEENS1_47radix_sort_onesweep_sort_config_static_selectorELNS0_4arch9wavefront6targetE1EEEvSK_,comdat
	.protected	_ZN7rocprim17ROCPRIM_400000_NS6detail17trampoline_kernelINS0_14default_configENS1_35radix_sort_onesweep_config_selectorIyNS0_10empty_typeEEEZZNS1_29radix_sort_onesweep_iterationIS3_Lb0EN6thrust23THRUST_200600_302600_NS6detail15normal_iteratorINS9_10device_ptrIyEEEESE_PS5_SF_jNS0_19identity_decomposerENS1_16block_id_wrapperIjLb0EEEEE10hipError_tT1_PNSt15iterator_traitsISK_E10value_typeET2_T3_PNSL_ISQ_E10value_typeET4_T5_PSV_SW_PNS1_23onesweep_lookback_stateEbbT6_jjT7_P12ihipStream_tbENKUlT_T0_SK_SP_E_clISE_SE_SF_SF_EEDaS13_S14_SK_SP_EUlS13_E_NS1_11comp_targetILNS1_3genE10ELNS1_11target_archE1201ELNS1_3gpuE5ELNS1_3repE0EEENS1_47radix_sort_onesweep_sort_config_static_selectorELNS0_4arch9wavefront6targetE1EEEvSK_ ; -- Begin function _ZN7rocprim17ROCPRIM_400000_NS6detail17trampoline_kernelINS0_14default_configENS1_35radix_sort_onesweep_config_selectorIyNS0_10empty_typeEEEZZNS1_29radix_sort_onesweep_iterationIS3_Lb0EN6thrust23THRUST_200600_302600_NS6detail15normal_iteratorINS9_10device_ptrIyEEEESE_PS5_SF_jNS0_19identity_decomposerENS1_16block_id_wrapperIjLb0EEEEE10hipError_tT1_PNSt15iterator_traitsISK_E10value_typeET2_T3_PNSL_ISQ_E10value_typeET4_T5_PSV_SW_PNS1_23onesweep_lookback_stateEbbT6_jjT7_P12ihipStream_tbENKUlT_T0_SK_SP_E_clISE_SE_SF_SF_EEDaS13_S14_SK_SP_EUlS13_E_NS1_11comp_targetILNS1_3genE10ELNS1_11target_archE1201ELNS1_3gpuE5ELNS1_3repE0EEENS1_47radix_sort_onesweep_sort_config_static_selectorELNS0_4arch9wavefront6targetE1EEEvSK_
	.globl	_ZN7rocprim17ROCPRIM_400000_NS6detail17trampoline_kernelINS0_14default_configENS1_35radix_sort_onesweep_config_selectorIyNS0_10empty_typeEEEZZNS1_29radix_sort_onesweep_iterationIS3_Lb0EN6thrust23THRUST_200600_302600_NS6detail15normal_iteratorINS9_10device_ptrIyEEEESE_PS5_SF_jNS0_19identity_decomposerENS1_16block_id_wrapperIjLb0EEEEE10hipError_tT1_PNSt15iterator_traitsISK_E10value_typeET2_T3_PNSL_ISQ_E10value_typeET4_T5_PSV_SW_PNS1_23onesweep_lookback_stateEbbT6_jjT7_P12ihipStream_tbENKUlT_T0_SK_SP_E_clISE_SE_SF_SF_EEDaS13_S14_SK_SP_EUlS13_E_NS1_11comp_targetILNS1_3genE10ELNS1_11target_archE1201ELNS1_3gpuE5ELNS1_3repE0EEENS1_47radix_sort_onesweep_sort_config_static_selectorELNS0_4arch9wavefront6targetE1EEEvSK_
	.p2align	8
	.type	_ZN7rocprim17ROCPRIM_400000_NS6detail17trampoline_kernelINS0_14default_configENS1_35radix_sort_onesweep_config_selectorIyNS0_10empty_typeEEEZZNS1_29radix_sort_onesweep_iterationIS3_Lb0EN6thrust23THRUST_200600_302600_NS6detail15normal_iteratorINS9_10device_ptrIyEEEESE_PS5_SF_jNS0_19identity_decomposerENS1_16block_id_wrapperIjLb0EEEEE10hipError_tT1_PNSt15iterator_traitsISK_E10value_typeET2_T3_PNSL_ISQ_E10value_typeET4_T5_PSV_SW_PNS1_23onesweep_lookback_stateEbbT6_jjT7_P12ihipStream_tbENKUlT_T0_SK_SP_E_clISE_SE_SF_SF_EEDaS13_S14_SK_SP_EUlS13_E_NS1_11comp_targetILNS1_3genE10ELNS1_11target_archE1201ELNS1_3gpuE5ELNS1_3repE0EEENS1_47radix_sort_onesweep_sort_config_static_selectorELNS0_4arch9wavefront6targetE1EEEvSK_,@function
_ZN7rocprim17ROCPRIM_400000_NS6detail17trampoline_kernelINS0_14default_configENS1_35radix_sort_onesweep_config_selectorIyNS0_10empty_typeEEEZZNS1_29radix_sort_onesweep_iterationIS3_Lb0EN6thrust23THRUST_200600_302600_NS6detail15normal_iteratorINS9_10device_ptrIyEEEESE_PS5_SF_jNS0_19identity_decomposerENS1_16block_id_wrapperIjLb0EEEEE10hipError_tT1_PNSt15iterator_traitsISK_E10value_typeET2_T3_PNSL_ISQ_E10value_typeET4_T5_PSV_SW_PNS1_23onesweep_lookback_stateEbbT6_jjT7_P12ihipStream_tbENKUlT_T0_SK_SP_E_clISE_SE_SF_SF_EEDaS13_S14_SK_SP_EUlS13_E_NS1_11comp_targetILNS1_3genE10ELNS1_11target_archE1201ELNS1_3gpuE5ELNS1_3repE0EEENS1_47radix_sort_onesweep_sort_config_static_selectorELNS0_4arch9wavefront6targetE1EEEvSK_: ; @_ZN7rocprim17ROCPRIM_400000_NS6detail17trampoline_kernelINS0_14default_configENS1_35radix_sort_onesweep_config_selectorIyNS0_10empty_typeEEEZZNS1_29radix_sort_onesweep_iterationIS3_Lb0EN6thrust23THRUST_200600_302600_NS6detail15normal_iteratorINS9_10device_ptrIyEEEESE_PS5_SF_jNS0_19identity_decomposerENS1_16block_id_wrapperIjLb0EEEEE10hipError_tT1_PNSt15iterator_traitsISK_E10value_typeET2_T3_PNSL_ISQ_E10value_typeET4_T5_PSV_SW_PNS1_23onesweep_lookback_stateEbbT6_jjT7_P12ihipStream_tbENKUlT_T0_SK_SP_E_clISE_SE_SF_SF_EEDaS13_S14_SK_SP_EUlS13_E_NS1_11comp_targetILNS1_3genE10ELNS1_11target_archE1201ELNS1_3gpuE5ELNS1_3repE0EEENS1_47radix_sort_onesweep_sort_config_static_selectorELNS0_4arch9wavefront6targetE1EEEvSK_
; %bb.0:
	.section	.rodata,"a",@progbits
	.p2align	6, 0x0
	.amdhsa_kernel _ZN7rocprim17ROCPRIM_400000_NS6detail17trampoline_kernelINS0_14default_configENS1_35radix_sort_onesweep_config_selectorIyNS0_10empty_typeEEEZZNS1_29radix_sort_onesweep_iterationIS3_Lb0EN6thrust23THRUST_200600_302600_NS6detail15normal_iteratorINS9_10device_ptrIyEEEESE_PS5_SF_jNS0_19identity_decomposerENS1_16block_id_wrapperIjLb0EEEEE10hipError_tT1_PNSt15iterator_traitsISK_E10value_typeET2_T3_PNSL_ISQ_E10value_typeET4_T5_PSV_SW_PNS1_23onesweep_lookback_stateEbbT6_jjT7_P12ihipStream_tbENKUlT_T0_SK_SP_E_clISE_SE_SF_SF_EEDaS13_S14_SK_SP_EUlS13_E_NS1_11comp_targetILNS1_3genE10ELNS1_11target_archE1201ELNS1_3gpuE5ELNS1_3repE0EEENS1_47radix_sort_onesweep_sort_config_static_selectorELNS0_4arch9wavefront6targetE1EEEvSK_
		.amdhsa_group_segment_fixed_size 0
		.amdhsa_private_segment_fixed_size 0
		.amdhsa_kernarg_size 88
		.amdhsa_user_sgpr_count 2
		.amdhsa_user_sgpr_dispatch_ptr 0
		.amdhsa_user_sgpr_queue_ptr 0
		.amdhsa_user_sgpr_kernarg_segment_ptr 1
		.amdhsa_user_sgpr_dispatch_id 0
		.amdhsa_user_sgpr_kernarg_preload_length 0
		.amdhsa_user_sgpr_kernarg_preload_offset 0
		.amdhsa_user_sgpr_private_segment_size 0
		.amdhsa_uses_dynamic_stack 0
		.amdhsa_enable_private_segment 0
		.amdhsa_system_sgpr_workgroup_id_x 1
		.amdhsa_system_sgpr_workgroup_id_y 0
		.amdhsa_system_sgpr_workgroup_id_z 0
		.amdhsa_system_sgpr_workgroup_info 0
		.amdhsa_system_vgpr_workitem_id 0
		.amdhsa_next_free_vgpr 1
		.amdhsa_next_free_sgpr 0
		.amdhsa_accum_offset 4
		.amdhsa_reserve_vcc 0
		.amdhsa_float_round_mode_32 0
		.amdhsa_float_round_mode_16_64 0
		.amdhsa_float_denorm_mode_32 3
		.amdhsa_float_denorm_mode_16_64 3
		.amdhsa_dx10_clamp 1
		.amdhsa_ieee_mode 1
		.amdhsa_fp16_overflow 0
		.amdhsa_tg_split 0
		.amdhsa_exception_fp_ieee_invalid_op 0
		.amdhsa_exception_fp_denorm_src 0
		.amdhsa_exception_fp_ieee_div_zero 0
		.amdhsa_exception_fp_ieee_overflow 0
		.amdhsa_exception_fp_ieee_underflow 0
		.amdhsa_exception_fp_ieee_inexact 0
		.amdhsa_exception_int_div_zero 0
	.end_amdhsa_kernel
	.section	.text._ZN7rocprim17ROCPRIM_400000_NS6detail17trampoline_kernelINS0_14default_configENS1_35radix_sort_onesweep_config_selectorIyNS0_10empty_typeEEEZZNS1_29radix_sort_onesweep_iterationIS3_Lb0EN6thrust23THRUST_200600_302600_NS6detail15normal_iteratorINS9_10device_ptrIyEEEESE_PS5_SF_jNS0_19identity_decomposerENS1_16block_id_wrapperIjLb0EEEEE10hipError_tT1_PNSt15iterator_traitsISK_E10value_typeET2_T3_PNSL_ISQ_E10value_typeET4_T5_PSV_SW_PNS1_23onesweep_lookback_stateEbbT6_jjT7_P12ihipStream_tbENKUlT_T0_SK_SP_E_clISE_SE_SF_SF_EEDaS13_S14_SK_SP_EUlS13_E_NS1_11comp_targetILNS1_3genE10ELNS1_11target_archE1201ELNS1_3gpuE5ELNS1_3repE0EEENS1_47radix_sort_onesweep_sort_config_static_selectorELNS0_4arch9wavefront6targetE1EEEvSK_,"axG",@progbits,_ZN7rocprim17ROCPRIM_400000_NS6detail17trampoline_kernelINS0_14default_configENS1_35radix_sort_onesweep_config_selectorIyNS0_10empty_typeEEEZZNS1_29radix_sort_onesweep_iterationIS3_Lb0EN6thrust23THRUST_200600_302600_NS6detail15normal_iteratorINS9_10device_ptrIyEEEESE_PS5_SF_jNS0_19identity_decomposerENS1_16block_id_wrapperIjLb0EEEEE10hipError_tT1_PNSt15iterator_traitsISK_E10value_typeET2_T3_PNSL_ISQ_E10value_typeET4_T5_PSV_SW_PNS1_23onesweep_lookback_stateEbbT6_jjT7_P12ihipStream_tbENKUlT_T0_SK_SP_E_clISE_SE_SF_SF_EEDaS13_S14_SK_SP_EUlS13_E_NS1_11comp_targetILNS1_3genE10ELNS1_11target_archE1201ELNS1_3gpuE5ELNS1_3repE0EEENS1_47radix_sort_onesweep_sort_config_static_selectorELNS0_4arch9wavefront6targetE1EEEvSK_,comdat
.Lfunc_end897:
	.size	_ZN7rocprim17ROCPRIM_400000_NS6detail17trampoline_kernelINS0_14default_configENS1_35radix_sort_onesweep_config_selectorIyNS0_10empty_typeEEEZZNS1_29radix_sort_onesweep_iterationIS3_Lb0EN6thrust23THRUST_200600_302600_NS6detail15normal_iteratorINS9_10device_ptrIyEEEESE_PS5_SF_jNS0_19identity_decomposerENS1_16block_id_wrapperIjLb0EEEEE10hipError_tT1_PNSt15iterator_traitsISK_E10value_typeET2_T3_PNSL_ISQ_E10value_typeET4_T5_PSV_SW_PNS1_23onesweep_lookback_stateEbbT6_jjT7_P12ihipStream_tbENKUlT_T0_SK_SP_E_clISE_SE_SF_SF_EEDaS13_S14_SK_SP_EUlS13_E_NS1_11comp_targetILNS1_3genE10ELNS1_11target_archE1201ELNS1_3gpuE5ELNS1_3repE0EEENS1_47radix_sort_onesweep_sort_config_static_selectorELNS0_4arch9wavefront6targetE1EEEvSK_, .Lfunc_end897-_ZN7rocprim17ROCPRIM_400000_NS6detail17trampoline_kernelINS0_14default_configENS1_35radix_sort_onesweep_config_selectorIyNS0_10empty_typeEEEZZNS1_29radix_sort_onesweep_iterationIS3_Lb0EN6thrust23THRUST_200600_302600_NS6detail15normal_iteratorINS9_10device_ptrIyEEEESE_PS5_SF_jNS0_19identity_decomposerENS1_16block_id_wrapperIjLb0EEEEE10hipError_tT1_PNSt15iterator_traitsISK_E10value_typeET2_T3_PNSL_ISQ_E10value_typeET4_T5_PSV_SW_PNS1_23onesweep_lookback_stateEbbT6_jjT7_P12ihipStream_tbENKUlT_T0_SK_SP_E_clISE_SE_SF_SF_EEDaS13_S14_SK_SP_EUlS13_E_NS1_11comp_targetILNS1_3genE10ELNS1_11target_archE1201ELNS1_3gpuE5ELNS1_3repE0EEENS1_47radix_sort_onesweep_sort_config_static_selectorELNS0_4arch9wavefront6targetE1EEEvSK_
                                        ; -- End function
	.section	.AMDGPU.csdata,"",@progbits
; Kernel info:
; codeLenInByte = 0
; NumSgprs: 6
; NumVgprs: 0
; NumAgprs: 0
; TotalNumVgprs: 0
; ScratchSize: 0
; MemoryBound: 0
; FloatMode: 240
; IeeeMode: 1
; LDSByteSize: 0 bytes/workgroup (compile time only)
; SGPRBlocks: 0
; VGPRBlocks: 0
; NumSGPRsForWavesPerEU: 6
; NumVGPRsForWavesPerEU: 1
; AccumOffset: 4
; Occupancy: 8
; WaveLimiterHint : 0
; COMPUTE_PGM_RSRC2:SCRATCH_EN: 0
; COMPUTE_PGM_RSRC2:USER_SGPR: 2
; COMPUTE_PGM_RSRC2:TRAP_HANDLER: 0
; COMPUTE_PGM_RSRC2:TGID_X_EN: 1
; COMPUTE_PGM_RSRC2:TGID_Y_EN: 0
; COMPUTE_PGM_RSRC2:TGID_Z_EN: 0
; COMPUTE_PGM_RSRC2:TIDIG_COMP_CNT: 0
; COMPUTE_PGM_RSRC3_GFX90A:ACCUM_OFFSET: 0
; COMPUTE_PGM_RSRC3_GFX90A:TG_SPLIT: 0
	.section	.text._ZN7rocprim17ROCPRIM_400000_NS6detail17trampoline_kernelINS0_14default_configENS1_35radix_sort_onesweep_config_selectorIyNS0_10empty_typeEEEZZNS1_29radix_sort_onesweep_iterationIS3_Lb0EN6thrust23THRUST_200600_302600_NS6detail15normal_iteratorINS9_10device_ptrIyEEEESE_PS5_SF_jNS0_19identity_decomposerENS1_16block_id_wrapperIjLb0EEEEE10hipError_tT1_PNSt15iterator_traitsISK_E10value_typeET2_T3_PNSL_ISQ_E10value_typeET4_T5_PSV_SW_PNS1_23onesweep_lookback_stateEbbT6_jjT7_P12ihipStream_tbENKUlT_T0_SK_SP_E_clISE_SE_SF_SF_EEDaS13_S14_SK_SP_EUlS13_E_NS1_11comp_targetILNS1_3genE9ELNS1_11target_archE1100ELNS1_3gpuE3ELNS1_3repE0EEENS1_47radix_sort_onesweep_sort_config_static_selectorELNS0_4arch9wavefront6targetE1EEEvSK_,"axG",@progbits,_ZN7rocprim17ROCPRIM_400000_NS6detail17trampoline_kernelINS0_14default_configENS1_35radix_sort_onesweep_config_selectorIyNS0_10empty_typeEEEZZNS1_29radix_sort_onesweep_iterationIS3_Lb0EN6thrust23THRUST_200600_302600_NS6detail15normal_iteratorINS9_10device_ptrIyEEEESE_PS5_SF_jNS0_19identity_decomposerENS1_16block_id_wrapperIjLb0EEEEE10hipError_tT1_PNSt15iterator_traitsISK_E10value_typeET2_T3_PNSL_ISQ_E10value_typeET4_T5_PSV_SW_PNS1_23onesweep_lookback_stateEbbT6_jjT7_P12ihipStream_tbENKUlT_T0_SK_SP_E_clISE_SE_SF_SF_EEDaS13_S14_SK_SP_EUlS13_E_NS1_11comp_targetILNS1_3genE9ELNS1_11target_archE1100ELNS1_3gpuE3ELNS1_3repE0EEENS1_47radix_sort_onesweep_sort_config_static_selectorELNS0_4arch9wavefront6targetE1EEEvSK_,comdat
	.protected	_ZN7rocprim17ROCPRIM_400000_NS6detail17trampoline_kernelINS0_14default_configENS1_35radix_sort_onesweep_config_selectorIyNS0_10empty_typeEEEZZNS1_29radix_sort_onesweep_iterationIS3_Lb0EN6thrust23THRUST_200600_302600_NS6detail15normal_iteratorINS9_10device_ptrIyEEEESE_PS5_SF_jNS0_19identity_decomposerENS1_16block_id_wrapperIjLb0EEEEE10hipError_tT1_PNSt15iterator_traitsISK_E10value_typeET2_T3_PNSL_ISQ_E10value_typeET4_T5_PSV_SW_PNS1_23onesweep_lookback_stateEbbT6_jjT7_P12ihipStream_tbENKUlT_T0_SK_SP_E_clISE_SE_SF_SF_EEDaS13_S14_SK_SP_EUlS13_E_NS1_11comp_targetILNS1_3genE9ELNS1_11target_archE1100ELNS1_3gpuE3ELNS1_3repE0EEENS1_47radix_sort_onesweep_sort_config_static_selectorELNS0_4arch9wavefront6targetE1EEEvSK_ ; -- Begin function _ZN7rocprim17ROCPRIM_400000_NS6detail17trampoline_kernelINS0_14default_configENS1_35radix_sort_onesweep_config_selectorIyNS0_10empty_typeEEEZZNS1_29radix_sort_onesweep_iterationIS3_Lb0EN6thrust23THRUST_200600_302600_NS6detail15normal_iteratorINS9_10device_ptrIyEEEESE_PS5_SF_jNS0_19identity_decomposerENS1_16block_id_wrapperIjLb0EEEEE10hipError_tT1_PNSt15iterator_traitsISK_E10value_typeET2_T3_PNSL_ISQ_E10value_typeET4_T5_PSV_SW_PNS1_23onesweep_lookback_stateEbbT6_jjT7_P12ihipStream_tbENKUlT_T0_SK_SP_E_clISE_SE_SF_SF_EEDaS13_S14_SK_SP_EUlS13_E_NS1_11comp_targetILNS1_3genE9ELNS1_11target_archE1100ELNS1_3gpuE3ELNS1_3repE0EEENS1_47radix_sort_onesweep_sort_config_static_selectorELNS0_4arch9wavefront6targetE1EEEvSK_
	.globl	_ZN7rocprim17ROCPRIM_400000_NS6detail17trampoline_kernelINS0_14default_configENS1_35radix_sort_onesweep_config_selectorIyNS0_10empty_typeEEEZZNS1_29radix_sort_onesweep_iterationIS3_Lb0EN6thrust23THRUST_200600_302600_NS6detail15normal_iteratorINS9_10device_ptrIyEEEESE_PS5_SF_jNS0_19identity_decomposerENS1_16block_id_wrapperIjLb0EEEEE10hipError_tT1_PNSt15iterator_traitsISK_E10value_typeET2_T3_PNSL_ISQ_E10value_typeET4_T5_PSV_SW_PNS1_23onesweep_lookback_stateEbbT6_jjT7_P12ihipStream_tbENKUlT_T0_SK_SP_E_clISE_SE_SF_SF_EEDaS13_S14_SK_SP_EUlS13_E_NS1_11comp_targetILNS1_3genE9ELNS1_11target_archE1100ELNS1_3gpuE3ELNS1_3repE0EEENS1_47radix_sort_onesweep_sort_config_static_selectorELNS0_4arch9wavefront6targetE1EEEvSK_
	.p2align	8
	.type	_ZN7rocprim17ROCPRIM_400000_NS6detail17trampoline_kernelINS0_14default_configENS1_35radix_sort_onesweep_config_selectorIyNS0_10empty_typeEEEZZNS1_29radix_sort_onesweep_iterationIS3_Lb0EN6thrust23THRUST_200600_302600_NS6detail15normal_iteratorINS9_10device_ptrIyEEEESE_PS5_SF_jNS0_19identity_decomposerENS1_16block_id_wrapperIjLb0EEEEE10hipError_tT1_PNSt15iterator_traitsISK_E10value_typeET2_T3_PNSL_ISQ_E10value_typeET4_T5_PSV_SW_PNS1_23onesweep_lookback_stateEbbT6_jjT7_P12ihipStream_tbENKUlT_T0_SK_SP_E_clISE_SE_SF_SF_EEDaS13_S14_SK_SP_EUlS13_E_NS1_11comp_targetILNS1_3genE9ELNS1_11target_archE1100ELNS1_3gpuE3ELNS1_3repE0EEENS1_47radix_sort_onesweep_sort_config_static_selectorELNS0_4arch9wavefront6targetE1EEEvSK_,@function
_ZN7rocprim17ROCPRIM_400000_NS6detail17trampoline_kernelINS0_14default_configENS1_35radix_sort_onesweep_config_selectorIyNS0_10empty_typeEEEZZNS1_29radix_sort_onesweep_iterationIS3_Lb0EN6thrust23THRUST_200600_302600_NS6detail15normal_iteratorINS9_10device_ptrIyEEEESE_PS5_SF_jNS0_19identity_decomposerENS1_16block_id_wrapperIjLb0EEEEE10hipError_tT1_PNSt15iterator_traitsISK_E10value_typeET2_T3_PNSL_ISQ_E10value_typeET4_T5_PSV_SW_PNS1_23onesweep_lookback_stateEbbT6_jjT7_P12ihipStream_tbENKUlT_T0_SK_SP_E_clISE_SE_SF_SF_EEDaS13_S14_SK_SP_EUlS13_E_NS1_11comp_targetILNS1_3genE9ELNS1_11target_archE1100ELNS1_3gpuE3ELNS1_3repE0EEENS1_47radix_sort_onesweep_sort_config_static_selectorELNS0_4arch9wavefront6targetE1EEEvSK_: ; @_ZN7rocprim17ROCPRIM_400000_NS6detail17trampoline_kernelINS0_14default_configENS1_35radix_sort_onesweep_config_selectorIyNS0_10empty_typeEEEZZNS1_29radix_sort_onesweep_iterationIS3_Lb0EN6thrust23THRUST_200600_302600_NS6detail15normal_iteratorINS9_10device_ptrIyEEEESE_PS5_SF_jNS0_19identity_decomposerENS1_16block_id_wrapperIjLb0EEEEE10hipError_tT1_PNSt15iterator_traitsISK_E10value_typeET2_T3_PNSL_ISQ_E10value_typeET4_T5_PSV_SW_PNS1_23onesweep_lookback_stateEbbT6_jjT7_P12ihipStream_tbENKUlT_T0_SK_SP_E_clISE_SE_SF_SF_EEDaS13_S14_SK_SP_EUlS13_E_NS1_11comp_targetILNS1_3genE9ELNS1_11target_archE1100ELNS1_3gpuE3ELNS1_3repE0EEENS1_47radix_sort_onesweep_sort_config_static_selectorELNS0_4arch9wavefront6targetE1EEEvSK_
; %bb.0:
	.section	.rodata,"a",@progbits
	.p2align	6, 0x0
	.amdhsa_kernel _ZN7rocprim17ROCPRIM_400000_NS6detail17trampoline_kernelINS0_14default_configENS1_35radix_sort_onesweep_config_selectorIyNS0_10empty_typeEEEZZNS1_29radix_sort_onesweep_iterationIS3_Lb0EN6thrust23THRUST_200600_302600_NS6detail15normal_iteratorINS9_10device_ptrIyEEEESE_PS5_SF_jNS0_19identity_decomposerENS1_16block_id_wrapperIjLb0EEEEE10hipError_tT1_PNSt15iterator_traitsISK_E10value_typeET2_T3_PNSL_ISQ_E10value_typeET4_T5_PSV_SW_PNS1_23onesweep_lookback_stateEbbT6_jjT7_P12ihipStream_tbENKUlT_T0_SK_SP_E_clISE_SE_SF_SF_EEDaS13_S14_SK_SP_EUlS13_E_NS1_11comp_targetILNS1_3genE9ELNS1_11target_archE1100ELNS1_3gpuE3ELNS1_3repE0EEENS1_47radix_sort_onesweep_sort_config_static_selectorELNS0_4arch9wavefront6targetE1EEEvSK_
		.amdhsa_group_segment_fixed_size 0
		.amdhsa_private_segment_fixed_size 0
		.amdhsa_kernarg_size 88
		.amdhsa_user_sgpr_count 2
		.amdhsa_user_sgpr_dispatch_ptr 0
		.amdhsa_user_sgpr_queue_ptr 0
		.amdhsa_user_sgpr_kernarg_segment_ptr 1
		.amdhsa_user_sgpr_dispatch_id 0
		.amdhsa_user_sgpr_kernarg_preload_length 0
		.amdhsa_user_sgpr_kernarg_preload_offset 0
		.amdhsa_user_sgpr_private_segment_size 0
		.amdhsa_uses_dynamic_stack 0
		.amdhsa_enable_private_segment 0
		.amdhsa_system_sgpr_workgroup_id_x 1
		.amdhsa_system_sgpr_workgroup_id_y 0
		.amdhsa_system_sgpr_workgroup_id_z 0
		.amdhsa_system_sgpr_workgroup_info 0
		.amdhsa_system_vgpr_workitem_id 0
		.amdhsa_next_free_vgpr 1
		.amdhsa_next_free_sgpr 0
		.amdhsa_accum_offset 4
		.amdhsa_reserve_vcc 0
		.amdhsa_float_round_mode_32 0
		.amdhsa_float_round_mode_16_64 0
		.amdhsa_float_denorm_mode_32 3
		.amdhsa_float_denorm_mode_16_64 3
		.amdhsa_dx10_clamp 1
		.amdhsa_ieee_mode 1
		.amdhsa_fp16_overflow 0
		.amdhsa_tg_split 0
		.amdhsa_exception_fp_ieee_invalid_op 0
		.amdhsa_exception_fp_denorm_src 0
		.amdhsa_exception_fp_ieee_div_zero 0
		.amdhsa_exception_fp_ieee_overflow 0
		.amdhsa_exception_fp_ieee_underflow 0
		.amdhsa_exception_fp_ieee_inexact 0
		.amdhsa_exception_int_div_zero 0
	.end_amdhsa_kernel
	.section	.text._ZN7rocprim17ROCPRIM_400000_NS6detail17trampoline_kernelINS0_14default_configENS1_35radix_sort_onesweep_config_selectorIyNS0_10empty_typeEEEZZNS1_29radix_sort_onesweep_iterationIS3_Lb0EN6thrust23THRUST_200600_302600_NS6detail15normal_iteratorINS9_10device_ptrIyEEEESE_PS5_SF_jNS0_19identity_decomposerENS1_16block_id_wrapperIjLb0EEEEE10hipError_tT1_PNSt15iterator_traitsISK_E10value_typeET2_T3_PNSL_ISQ_E10value_typeET4_T5_PSV_SW_PNS1_23onesweep_lookback_stateEbbT6_jjT7_P12ihipStream_tbENKUlT_T0_SK_SP_E_clISE_SE_SF_SF_EEDaS13_S14_SK_SP_EUlS13_E_NS1_11comp_targetILNS1_3genE9ELNS1_11target_archE1100ELNS1_3gpuE3ELNS1_3repE0EEENS1_47radix_sort_onesweep_sort_config_static_selectorELNS0_4arch9wavefront6targetE1EEEvSK_,"axG",@progbits,_ZN7rocprim17ROCPRIM_400000_NS6detail17trampoline_kernelINS0_14default_configENS1_35radix_sort_onesweep_config_selectorIyNS0_10empty_typeEEEZZNS1_29radix_sort_onesweep_iterationIS3_Lb0EN6thrust23THRUST_200600_302600_NS6detail15normal_iteratorINS9_10device_ptrIyEEEESE_PS5_SF_jNS0_19identity_decomposerENS1_16block_id_wrapperIjLb0EEEEE10hipError_tT1_PNSt15iterator_traitsISK_E10value_typeET2_T3_PNSL_ISQ_E10value_typeET4_T5_PSV_SW_PNS1_23onesweep_lookback_stateEbbT6_jjT7_P12ihipStream_tbENKUlT_T0_SK_SP_E_clISE_SE_SF_SF_EEDaS13_S14_SK_SP_EUlS13_E_NS1_11comp_targetILNS1_3genE9ELNS1_11target_archE1100ELNS1_3gpuE3ELNS1_3repE0EEENS1_47radix_sort_onesweep_sort_config_static_selectorELNS0_4arch9wavefront6targetE1EEEvSK_,comdat
.Lfunc_end898:
	.size	_ZN7rocprim17ROCPRIM_400000_NS6detail17trampoline_kernelINS0_14default_configENS1_35radix_sort_onesweep_config_selectorIyNS0_10empty_typeEEEZZNS1_29radix_sort_onesweep_iterationIS3_Lb0EN6thrust23THRUST_200600_302600_NS6detail15normal_iteratorINS9_10device_ptrIyEEEESE_PS5_SF_jNS0_19identity_decomposerENS1_16block_id_wrapperIjLb0EEEEE10hipError_tT1_PNSt15iterator_traitsISK_E10value_typeET2_T3_PNSL_ISQ_E10value_typeET4_T5_PSV_SW_PNS1_23onesweep_lookback_stateEbbT6_jjT7_P12ihipStream_tbENKUlT_T0_SK_SP_E_clISE_SE_SF_SF_EEDaS13_S14_SK_SP_EUlS13_E_NS1_11comp_targetILNS1_3genE9ELNS1_11target_archE1100ELNS1_3gpuE3ELNS1_3repE0EEENS1_47radix_sort_onesweep_sort_config_static_selectorELNS0_4arch9wavefront6targetE1EEEvSK_, .Lfunc_end898-_ZN7rocprim17ROCPRIM_400000_NS6detail17trampoline_kernelINS0_14default_configENS1_35radix_sort_onesweep_config_selectorIyNS0_10empty_typeEEEZZNS1_29radix_sort_onesweep_iterationIS3_Lb0EN6thrust23THRUST_200600_302600_NS6detail15normal_iteratorINS9_10device_ptrIyEEEESE_PS5_SF_jNS0_19identity_decomposerENS1_16block_id_wrapperIjLb0EEEEE10hipError_tT1_PNSt15iterator_traitsISK_E10value_typeET2_T3_PNSL_ISQ_E10value_typeET4_T5_PSV_SW_PNS1_23onesweep_lookback_stateEbbT6_jjT7_P12ihipStream_tbENKUlT_T0_SK_SP_E_clISE_SE_SF_SF_EEDaS13_S14_SK_SP_EUlS13_E_NS1_11comp_targetILNS1_3genE9ELNS1_11target_archE1100ELNS1_3gpuE3ELNS1_3repE0EEENS1_47radix_sort_onesweep_sort_config_static_selectorELNS0_4arch9wavefront6targetE1EEEvSK_
                                        ; -- End function
	.section	.AMDGPU.csdata,"",@progbits
; Kernel info:
; codeLenInByte = 0
; NumSgprs: 6
; NumVgprs: 0
; NumAgprs: 0
; TotalNumVgprs: 0
; ScratchSize: 0
; MemoryBound: 0
; FloatMode: 240
; IeeeMode: 1
; LDSByteSize: 0 bytes/workgroup (compile time only)
; SGPRBlocks: 0
; VGPRBlocks: 0
; NumSGPRsForWavesPerEU: 6
; NumVGPRsForWavesPerEU: 1
; AccumOffset: 4
; Occupancy: 8
; WaveLimiterHint : 0
; COMPUTE_PGM_RSRC2:SCRATCH_EN: 0
; COMPUTE_PGM_RSRC2:USER_SGPR: 2
; COMPUTE_PGM_RSRC2:TRAP_HANDLER: 0
; COMPUTE_PGM_RSRC2:TGID_X_EN: 1
; COMPUTE_PGM_RSRC2:TGID_Y_EN: 0
; COMPUTE_PGM_RSRC2:TGID_Z_EN: 0
; COMPUTE_PGM_RSRC2:TIDIG_COMP_CNT: 0
; COMPUTE_PGM_RSRC3_GFX90A:ACCUM_OFFSET: 0
; COMPUTE_PGM_RSRC3_GFX90A:TG_SPLIT: 0
	.section	.text._ZN7rocprim17ROCPRIM_400000_NS6detail17trampoline_kernelINS0_14default_configENS1_35radix_sort_onesweep_config_selectorIyNS0_10empty_typeEEEZZNS1_29radix_sort_onesweep_iterationIS3_Lb0EN6thrust23THRUST_200600_302600_NS6detail15normal_iteratorINS9_10device_ptrIyEEEESE_PS5_SF_jNS0_19identity_decomposerENS1_16block_id_wrapperIjLb0EEEEE10hipError_tT1_PNSt15iterator_traitsISK_E10value_typeET2_T3_PNSL_ISQ_E10value_typeET4_T5_PSV_SW_PNS1_23onesweep_lookback_stateEbbT6_jjT7_P12ihipStream_tbENKUlT_T0_SK_SP_E_clISE_SE_SF_SF_EEDaS13_S14_SK_SP_EUlS13_E_NS1_11comp_targetILNS1_3genE8ELNS1_11target_archE1030ELNS1_3gpuE2ELNS1_3repE0EEENS1_47radix_sort_onesweep_sort_config_static_selectorELNS0_4arch9wavefront6targetE1EEEvSK_,"axG",@progbits,_ZN7rocprim17ROCPRIM_400000_NS6detail17trampoline_kernelINS0_14default_configENS1_35radix_sort_onesweep_config_selectorIyNS0_10empty_typeEEEZZNS1_29radix_sort_onesweep_iterationIS3_Lb0EN6thrust23THRUST_200600_302600_NS6detail15normal_iteratorINS9_10device_ptrIyEEEESE_PS5_SF_jNS0_19identity_decomposerENS1_16block_id_wrapperIjLb0EEEEE10hipError_tT1_PNSt15iterator_traitsISK_E10value_typeET2_T3_PNSL_ISQ_E10value_typeET4_T5_PSV_SW_PNS1_23onesweep_lookback_stateEbbT6_jjT7_P12ihipStream_tbENKUlT_T0_SK_SP_E_clISE_SE_SF_SF_EEDaS13_S14_SK_SP_EUlS13_E_NS1_11comp_targetILNS1_3genE8ELNS1_11target_archE1030ELNS1_3gpuE2ELNS1_3repE0EEENS1_47radix_sort_onesweep_sort_config_static_selectorELNS0_4arch9wavefront6targetE1EEEvSK_,comdat
	.protected	_ZN7rocprim17ROCPRIM_400000_NS6detail17trampoline_kernelINS0_14default_configENS1_35radix_sort_onesweep_config_selectorIyNS0_10empty_typeEEEZZNS1_29radix_sort_onesweep_iterationIS3_Lb0EN6thrust23THRUST_200600_302600_NS6detail15normal_iteratorINS9_10device_ptrIyEEEESE_PS5_SF_jNS0_19identity_decomposerENS1_16block_id_wrapperIjLb0EEEEE10hipError_tT1_PNSt15iterator_traitsISK_E10value_typeET2_T3_PNSL_ISQ_E10value_typeET4_T5_PSV_SW_PNS1_23onesweep_lookback_stateEbbT6_jjT7_P12ihipStream_tbENKUlT_T0_SK_SP_E_clISE_SE_SF_SF_EEDaS13_S14_SK_SP_EUlS13_E_NS1_11comp_targetILNS1_3genE8ELNS1_11target_archE1030ELNS1_3gpuE2ELNS1_3repE0EEENS1_47radix_sort_onesweep_sort_config_static_selectorELNS0_4arch9wavefront6targetE1EEEvSK_ ; -- Begin function _ZN7rocprim17ROCPRIM_400000_NS6detail17trampoline_kernelINS0_14default_configENS1_35radix_sort_onesweep_config_selectorIyNS0_10empty_typeEEEZZNS1_29radix_sort_onesweep_iterationIS3_Lb0EN6thrust23THRUST_200600_302600_NS6detail15normal_iteratorINS9_10device_ptrIyEEEESE_PS5_SF_jNS0_19identity_decomposerENS1_16block_id_wrapperIjLb0EEEEE10hipError_tT1_PNSt15iterator_traitsISK_E10value_typeET2_T3_PNSL_ISQ_E10value_typeET4_T5_PSV_SW_PNS1_23onesweep_lookback_stateEbbT6_jjT7_P12ihipStream_tbENKUlT_T0_SK_SP_E_clISE_SE_SF_SF_EEDaS13_S14_SK_SP_EUlS13_E_NS1_11comp_targetILNS1_3genE8ELNS1_11target_archE1030ELNS1_3gpuE2ELNS1_3repE0EEENS1_47radix_sort_onesweep_sort_config_static_selectorELNS0_4arch9wavefront6targetE1EEEvSK_
	.globl	_ZN7rocprim17ROCPRIM_400000_NS6detail17trampoline_kernelINS0_14default_configENS1_35radix_sort_onesweep_config_selectorIyNS0_10empty_typeEEEZZNS1_29radix_sort_onesweep_iterationIS3_Lb0EN6thrust23THRUST_200600_302600_NS6detail15normal_iteratorINS9_10device_ptrIyEEEESE_PS5_SF_jNS0_19identity_decomposerENS1_16block_id_wrapperIjLb0EEEEE10hipError_tT1_PNSt15iterator_traitsISK_E10value_typeET2_T3_PNSL_ISQ_E10value_typeET4_T5_PSV_SW_PNS1_23onesweep_lookback_stateEbbT6_jjT7_P12ihipStream_tbENKUlT_T0_SK_SP_E_clISE_SE_SF_SF_EEDaS13_S14_SK_SP_EUlS13_E_NS1_11comp_targetILNS1_3genE8ELNS1_11target_archE1030ELNS1_3gpuE2ELNS1_3repE0EEENS1_47radix_sort_onesweep_sort_config_static_selectorELNS0_4arch9wavefront6targetE1EEEvSK_
	.p2align	8
	.type	_ZN7rocprim17ROCPRIM_400000_NS6detail17trampoline_kernelINS0_14default_configENS1_35radix_sort_onesweep_config_selectorIyNS0_10empty_typeEEEZZNS1_29radix_sort_onesweep_iterationIS3_Lb0EN6thrust23THRUST_200600_302600_NS6detail15normal_iteratorINS9_10device_ptrIyEEEESE_PS5_SF_jNS0_19identity_decomposerENS1_16block_id_wrapperIjLb0EEEEE10hipError_tT1_PNSt15iterator_traitsISK_E10value_typeET2_T3_PNSL_ISQ_E10value_typeET4_T5_PSV_SW_PNS1_23onesweep_lookback_stateEbbT6_jjT7_P12ihipStream_tbENKUlT_T0_SK_SP_E_clISE_SE_SF_SF_EEDaS13_S14_SK_SP_EUlS13_E_NS1_11comp_targetILNS1_3genE8ELNS1_11target_archE1030ELNS1_3gpuE2ELNS1_3repE0EEENS1_47radix_sort_onesweep_sort_config_static_selectorELNS0_4arch9wavefront6targetE1EEEvSK_,@function
_ZN7rocprim17ROCPRIM_400000_NS6detail17trampoline_kernelINS0_14default_configENS1_35radix_sort_onesweep_config_selectorIyNS0_10empty_typeEEEZZNS1_29radix_sort_onesweep_iterationIS3_Lb0EN6thrust23THRUST_200600_302600_NS6detail15normal_iteratorINS9_10device_ptrIyEEEESE_PS5_SF_jNS0_19identity_decomposerENS1_16block_id_wrapperIjLb0EEEEE10hipError_tT1_PNSt15iterator_traitsISK_E10value_typeET2_T3_PNSL_ISQ_E10value_typeET4_T5_PSV_SW_PNS1_23onesweep_lookback_stateEbbT6_jjT7_P12ihipStream_tbENKUlT_T0_SK_SP_E_clISE_SE_SF_SF_EEDaS13_S14_SK_SP_EUlS13_E_NS1_11comp_targetILNS1_3genE8ELNS1_11target_archE1030ELNS1_3gpuE2ELNS1_3repE0EEENS1_47radix_sort_onesweep_sort_config_static_selectorELNS0_4arch9wavefront6targetE1EEEvSK_: ; @_ZN7rocprim17ROCPRIM_400000_NS6detail17trampoline_kernelINS0_14default_configENS1_35radix_sort_onesweep_config_selectorIyNS0_10empty_typeEEEZZNS1_29radix_sort_onesweep_iterationIS3_Lb0EN6thrust23THRUST_200600_302600_NS6detail15normal_iteratorINS9_10device_ptrIyEEEESE_PS5_SF_jNS0_19identity_decomposerENS1_16block_id_wrapperIjLb0EEEEE10hipError_tT1_PNSt15iterator_traitsISK_E10value_typeET2_T3_PNSL_ISQ_E10value_typeET4_T5_PSV_SW_PNS1_23onesweep_lookback_stateEbbT6_jjT7_P12ihipStream_tbENKUlT_T0_SK_SP_E_clISE_SE_SF_SF_EEDaS13_S14_SK_SP_EUlS13_E_NS1_11comp_targetILNS1_3genE8ELNS1_11target_archE1030ELNS1_3gpuE2ELNS1_3repE0EEENS1_47radix_sort_onesweep_sort_config_static_selectorELNS0_4arch9wavefront6targetE1EEEvSK_
; %bb.0:
	.section	.rodata,"a",@progbits
	.p2align	6, 0x0
	.amdhsa_kernel _ZN7rocprim17ROCPRIM_400000_NS6detail17trampoline_kernelINS0_14default_configENS1_35radix_sort_onesweep_config_selectorIyNS0_10empty_typeEEEZZNS1_29radix_sort_onesweep_iterationIS3_Lb0EN6thrust23THRUST_200600_302600_NS6detail15normal_iteratorINS9_10device_ptrIyEEEESE_PS5_SF_jNS0_19identity_decomposerENS1_16block_id_wrapperIjLb0EEEEE10hipError_tT1_PNSt15iterator_traitsISK_E10value_typeET2_T3_PNSL_ISQ_E10value_typeET4_T5_PSV_SW_PNS1_23onesweep_lookback_stateEbbT6_jjT7_P12ihipStream_tbENKUlT_T0_SK_SP_E_clISE_SE_SF_SF_EEDaS13_S14_SK_SP_EUlS13_E_NS1_11comp_targetILNS1_3genE8ELNS1_11target_archE1030ELNS1_3gpuE2ELNS1_3repE0EEENS1_47radix_sort_onesweep_sort_config_static_selectorELNS0_4arch9wavefront6targetE1EEEvSK_
		.amdhsa_group_segment_fixed_size 0
		.amdhsa_private_segment_fixed_size 0
		.amdhsa_kernarg_size 88
		.amdhsa_user_sgpr_count 2
		.amdhsa_user_sgpr_dispatch_ptr 0
		.amdhsa_user_sgpr_queue_ptr 0
		.amdhsa_user_sgpr_kernarg_segment_ptr 1
		.amdhsa_user_sgpr_dispatch_id 0
		.amdhsa_user_sgpr_kernarg_preload_length 0
		.amdhsa_user_sgpr_kernarg_preload_offset 0
		.amdhsa_user_sgpr_private_segment_size 0
		.amdhsa_uses_dynamic_stack 0
		.amdhsa_enable_private_segment 0
		.amdhsa_system_sgpr_workgroup_id_x 1
		.amdhsa_system_sgpr_workgroup_id_y 0
		.amdhsa_system_sgpr_workgroup_id_z 0
		.amdhsa_system_sgpr_workgroup_info 0
		.amdhsa_system_vgpr_workitem_id 0
		.amdhsa_next_free_vgpr 1
		.amdhsa_next_free_sgpr 0
		.amdhsa_accum_offset 4
		.amdhsa_reserve_vcc 0
		.amdhsa_float_round_mode_32 0
		.amdhsa_float_round_mode_16_64 0
		.amdhsa_float_denorm_mode_32 3
		.amdhsa_float_denorm_mode_16_64 3
		.amdhsa_dx10_clamp 1
		.amdhsa_ieee_mode 1
		.amdhsa_fp16_overflow 0
		.amdhsa_tg_split 0
		.amdhsa_exception_fp_ieee_invalid_op 0
		.amdhsa_exception_fp_denorm_src 0
		.amdhsa_exception_fp_ieee_div_zero 0
		.amdhsa_exception_fp_ieee_overflow 0
		.amdhsa_exception_fp_ieee_underflow 0
		.amdhsa_exception_fp_ieee_inexact 0
		.amdhsa_exception_int_div_zero 0
	.end_amdhsa_kernel
	.section	.text._ZN7rocprim17ROCPRIM_400000_NS6detail17trampoline_kernelINS0_14default_configENS1_35radix_sort_onesweep_config_selectorIyNS0_10empty_typeEEEZZNS1_29radix_sort_onesweep_iterationIS3_Lb0EN6thrust23THRUST_200600_302600_NS6detail15normal_iteratorINS9_10device_ptrIyEEEESE_PS5_SF_jNS0_19identity_decomposerENS1_16block_id_wrapperIjLb0EEEEE10hipError_tT1_PNSt15iterator_traitsISK_E10value_typeET2_T3_PNSL_ISQ_E10value_typeET4_T5_PSV_SW_PNS1_23onesweep_lookback_stateEbbT6_jjT7_P12ihipStream_tbENKUlT_T0_SK_SP_E_clISE_SE_SF_SF_EEDaS13_S14_SK_SP_EUlS13_E_NS1_11comp_targetILNS1_3genE8ELNS1_11target_archE1030ELNS1_3gpuE2ELNS1_3repE0EEENS1_47radix_sort_onesweep_sort_config_static_selectorELNS0_4arch9wavefront6targetE1EEEvSK_,"axG",@progbits,_ZN7rocprim17ROCPRIM_400000_NS6detail17trampoline_kernelINS0_14default_configENS1_35radix_sort_onesweep_config_selectorIyNS0_10empty_typeEEEZZNS1_29radix_sort_onesweep_iterationIS3_Lb0EN6thrust23THRUST_200600_302600_NS6detail15normal_iteratorINS9_10device_ptrIyEEEESE_PS5_SF_jNS0_19identity_decomposerENS1_16block_id_wrapperIjLb0EEEEE10hipError_tT1_PNSt15iterator_traitsISK_E10value_typeET2_T3_PNSL_ISQ_E10value_typeET4_T5_PSV_SW_PNS1_23onesweep_lookback_stateEbbT6_jjT7_P12ihipStream_tbENKUlT_T0_SK_SP_E_clISE_SE_SF_SF_EEDaS13_S14_SK_SP_EUlS13_E_NS1_11comp_targetILNS1_3genE8ELNS1_11target_archE1030ELNS1_3gpuE2ELNS1_3repE0EEENS1_47radix_sort_onesweep_sort_config_static_selectorELNS0_4arch9wavefront6targetE1EEEvSK_,comdat
.Lfunc_end899:
	.size	_ZN7rocprim17ROCPRIM_400000_NS6detail17trampoline_kernelINS0_14default_configENS1_35radix_sort_onesweep_config_selectorIyNS0_10empty_typeEEEZZNS1_29radix_sort_onesweep_iterationIS3_Lb0EN6thrust23THRUST_200600_302600_NS6detail15normal_iteratorINS9_10device_ptrIyEEEESE_PS5_SF_jNS0_19identity_decomposerENS1_16block_id_wrapperIjLb0EEEEE10hipError_tT1_PNSt15iterator_traitsISK_E10value_typeET2_T3_PNSL_ISQ_E10value_typeET4_T5_PSV_SW_PNS1_23onesweep_lookback_stateEbbT6_jjT7_P12ihipStream_tbENKUlT_T0_SK_SP_E_clISE_SE_SF_SF_EEDaS13_S14_SK_SP_EUlS13_E_NS1_11comp_targetILNS1_3genE8ELNS1_11target_archE1030ELNS1_3gpuE2ELNS1_3repE0EEENS1_47radix_sort_onesweep_sort_config_static_selectorELNS0_4arch9wavefront6targetE1EEEvSK_, .Lfunc_end899-_ZN7rocprim17ROCPRIM_400000_NS6detail17trampoline_kernelINS0_14default_configENS1_35radix_sort_onesweep_config_selectorIyNS0_10empty_typeEEEZZNS1_29radix_sort_onesweep_iterationIS3_Lb0EN6thrust23THRUST_200600_302600_NS6detail15normal_iteratorINS9_10device_ptrIyEEEESE_PS5_SF_jNS0_19identity_decomposerENS1_16block_id_wrapperIjLb0EEEEE10hipError_tT1_PNSt15iterator_traitsISK_E10value_typeET2_T3_PNSL_ISQ_E10value_typeET4_T5_PSV_SW_PNS1_23onesweep_lookback_stateEbbT6_jjT7_P12ihipStream_tbENKUlT_T0_SK_SP_E_clISE_SE_SF_SF_EEDaS13_S14_SK_SP_EUlS13_E_NS1_11comp_targetILNS1_3genE8ELNS1_11target_archE1030ELNS1_3gpuE2ELNS1_3repE0EEENS1_47radix_sort_onesweep_sort_config_static_selectorELNS0_4arch9wavefront6targetE1EEEvSK_
                                        ; -- End function
	.section	.AMDGPU.csdata,"",@progbits
; Kernel info:
; codeLenInByte = 0
; NumSgprs: 6
; NumVgprs: 0
; NumAgprs: 0
; TotalNumVgprs: 0
; ScratchSize: 0
; MemoryBound: 0
; FloatMode: 240
; IeeeMode: 1
; LDSByteSize: 0 bytes/workgroup (compile time only)
; SGPRBlocks: 0
; VGPRBlocks: 0
; NumSGPRsForWavesPerEU: 6
; NumVGPRsForWavesPerEU: 1
; AccumOffset: 4
; Occupancy: 8
; WaveLimiterHint : 0
; COMPUTE_PGM_RSRC2:SCRATCH_EN: 0
; COMPUTE_PGM_RSRC2:USER_SGPR: 2
; COMPUTE_PGM_RSRC2:TRAP_HANDLER: 0
; COMPUTE_PGM_RSRC2:TGID_X_EN: 1
; COMPUTE_PGM_RSRC2:TGID_Y_EN: 0
; COMPUTE_PGM_RSRC2:TGID_Z_EN: 0
; COMPUTE_PGM_RSRC2:TIDIG_COMP_CNT: 0
; COMPUTE_PGM_RSRC3_GFX90A:ACCUM_OFFSET: 0
; COMPUTE_PGM_RSRC3_GFX90A:TG_SPLIT: 0
	.section	.text._ZN7rocprim17ROCPRIM_400000_NS6detail17trampoline_kernelINS0_14default_configENS1_35radix_sort_onesweep_config_selectorIyNS0_10empty_typeEEEZZNS1_29radix_sort_onesweep_iterationIS3_Lb0EN6thrust23THRUST_200600_302600_NS6detail15normal_iteratorINS9_10device_ptrIyEEEESE_PS5_SF_jNS0_19identity_decomposerENS1_16block_id_wrapperIjLb0EEEEE10hipError_tT1_PNSt15iterator_traitsISK_E10value_typeET2_T3_PNSL_ISQ_E10value_typeET4_T5_PSV_SW_PNS1_23onesweep_lookback_stateEbbT6_jjT7_P12ihipStream_tbENKUlT_T0_SK_SP_E_clISE_PySF_SF_EEDaS13_S14_SK_SP_EUlS13_E_NS1_11comp_targetILNS1_3genE0ELNS1_11target_archE4294967295ELNS1_3gpuE0ELNS1_3repE0EEENS1_47radix_sort_onesweep_sort_config_static_selectorELNS0_4arch9wavefront6targetE1EEEvSK_,"axG",@progbits,_ZN7rocprim17ROCPRIM_400000_NS6detail17trampoline_kernelINS0_14default_configENS1_35radix_sort_onesweep_config_selectorIyNS0_10empty_typeEEEZZNS1_29radix_sort_onesweep_iterationIS3_Lb0EN6thrust23THRUST_200600_302600_NS6detail15normal_iteratorINS9_10device_ptrIyEEEESE_PS5_SF_jNS0_19identity_decomposerENS1_16block_id_wrapperIjLb0EEEEE10hipError_tT1_PNSt15iterator_traitsISK_E10value_typeET2_T3_PNSL_ISQ_E10value_typeET4_T5_PSV_SW_PNS1_23onesweep_lookback_stateEbbT6_jjT7_P12ihipStream_tbENKUlT_T0_SK_SP_E_clISE_PySF_SF_EEDaS13_S14_SK_SP_EUlS13_E_NS1_11comp_targetILNS1_3genE0ELNS1_11target_archE4294967295ELNS1_3gpuE0ELNS1_3repE0EEENS1_47radix_sort_onesweep_sort_config_static_selectorELNS0_4arch9wavefront6targetE1EEEvSK_,comdat
	.protected	_ZN7rocprim17ROCPRIM_400000_NS6detail17trampoline_kernelINS0_14default_configENS1_35radix_sort_onesweep_config_selectorIyNS0_10empty_typeEEEZZNS1_29radix_sort_onesweep_iterationIS3_Lb0EN6thrust23THRUST_200600_302600_NS6detail15normal_iteratorINS9_10device_ptrIyEEEESE_PS5_SF_jNS0_19identity_decomposerENS1_16block_id_wrapperIjLb0EEEEE10hipError_tT1_PNSt15iterator_traitsISK_E10value_typeET2_T3_PNSL_ISQ_E10value_typeET4_T5_PSV_SW_PNS1_23onesweep_lookback_stateEbbT6_jjT7_P12ihipStream_tbENKUlT_T0_SK_SP_E_clISE_PySF_SF_EEDaS13_S14_SK_SP_EUlS13_E_NS1_11comp_targetILNS1_3genE0ELNS1_11target_archE4294967295ELNS1_3gpuE0ELNS1_3repE0EEENS1_47radix_sort_onesweep_sort_config_static_selectorELNS0_4arch9wavefront6targetE1EEEvSK_ ; -- Begin function _ZN7rocprim17ROCPRIM_400000_NS6detail17trampoline_kernelINS0_14default_configENS1_35radix_sort_onesweep_config_selectorIyNS0_10empty_typeEEEZZNS1_29radix_sort_onesweep_iterationIS3_Lb0EN6thrust23THRUST_200600_302600_NS6detail15normal_iteratorINS9_10device_ptrIyEEEESE_PS5_SF_jNS0_19identity_decomposerENS1_16block_id_wrapperIjLb0EEEEE10hipError_tT1_PNSt15iterator_traitsISK_E10value_typeET2_T3_PNSL_ISQ_E10value_typeET4_T5_PSV_SW_PNS1_23onesweep_lookback_stateEbbT6_jjT7_P12ihipStream_tbENKUlT_T0_SK_SP_E_clISE_PySF_SF_EEDaS13_S14_SK_SP_EUlS13_E_NS1_11comp_targetILNS1_3genE0ELNS1_11target_archE4294967295ELNS1_3gpuE0ELNS1_3repE0EEENS1_47radix_sort_onesweep_sort_config_static_selectorELNS0_4arch9wavefront6targetE1EEEvSK_
	.globl	_ZN7rocprim17ROCPRIM_400000_NS6detail17trampoline_kernelINS0_14default_configENS1_35radix_sort_onesweep_config_selectorIyNS0_10empty_typeEEEZZNS1_29radix_sort_onesweep_iterationIS3_Lb0EN6thrust23THRUST_200600_302600_NS6detail15normal_iteratorINS9_10device_ptrIyEEEESE_PS5_SF_jNS0_19identity_decomposerENS1_16block_id_wrapperIjLb0EEEEE10hipError_tT1_PNSt15iterator_traitsISK_E10value_typeET2_T3_PNSL_ISQ_E10value_typeET4_T5_PSV_SW_PNS1_23onesweep_lookback_stateEbbT6_jjT7_P12ihipStream_tbENKUlT_T0_SK_SP_E_clISE_PySF_SF_EEDaS13_S14_SK_SP_EUlS13_E_NS1_11comp_targetILNS1_3genE0ELNS1_11target_archE4294967295ELNS1_3gpuE0ELNS1_3repE0EEENS1_47radix_sort_onesweep_sort_config_static_selectorELNS0_4arch9wavefront6targetE1EEEvSK_
	.p2align	8
	.type	_ZN7rocprim17ROCPRIM_400000_NS6detail17trampoline_kernelINS0_14default_configENS1_35radix_sort_onesweep_config_selectorIyNS0_10empty_typeEEEZZNS1_29radix_sort_onesweep_iterationIS3_Lb0EN6thrust23THRUST_200600_302600_NS6detail15normal_iteratorINS9_10device_ptrIyEEEESE_PS5_SF_jNS0_19identity_decomposerENS1_16block_id_wrapperIjLb0EEEEE10hipError_tT1_PNSt15iterator_traitsISK_E10value_typeET2_T3_PNSL_ISQ_E10value_typeET4_T5_PSV_SW_PNS1_23onesweep_lookback_stateEbbT6_jjT7_P12ihipStream_tbENKUlT_T0_SK_SP_E_clISE_PySF_SF_EEDaS13_S14_SK_SP_EUlS13_E_NS1_11comp_targetILNS1_3genE0ELNS1_11target_archE4294967295ELNS1_3gpuE0ELNS1_3repE0EEENS1_47radix_sort_onesweep_sort_config_static_selectorELNS0_4arch9wavefront6targetE1EEEvSK_,@function
_ZN7rocprim17ROCPRIM_400000_NS6detail17trampoline_kernelINS0_14default_configENS1_35radix_sort_onesweep_config_selectorIyNS0_10empty_typeEEEZZNS1_29radix_sort_onesweep_iterationIS3_Lb0EN6thrust23THRUST_200600_302600_NS6detail15normal_iteratorINS9_10device_ptrIyEEEESE_PS5_SF_jNS0_19identity_decomposerENS1_16block_id_wrapperIjLb0EEEEE10hipError_tT1_PNSt15iterator_traitsISK_E10value_typeET2_T3_PNSL_ISQ_E10value_typeET4_T5_PSV_SW_PNS1_23onesweep_lookback_stateEbbT6_jjT7_P12ihipStream_tbENKUlT_T0_SK_SP_E_clISE_PySF_SF_EEDaS13_S14_SK_SP_EUlS13_E_NS1_11comp_targetILNS1_3genE0ELNS1_11target_archE4294967295ELNS1_3gpuE0ELNS1_3repE0EEENS1_47radix_sort_onesweep_sort_config_static_selectorELNS0_4arch9wavefront6targetE1EEEvSK_: ; @_ZN7rocprim17ROCPRIM_400000_NS6detail17trampoline_kernelINS0_14default_configENS1_35radix_sort_onesweep_config_selectorIyNS0_10empty_typeEEEZZNS1_29radix_sort_onesweep_iterationIS3_Lb0EN6thrust23THRUST_200600_302600_NS6detail15normal_iteratorINS9_10device_ptrIyEEEESE_PS5_SF_jNS0_19identity_decomposerENS1_16block_id_wrapperIjLb0EEEEE10hipError_tT1_PNSt15iterator_traitsISK_E10value_typeET2_T3_PNSL_ISQ_E10value_typeET4_T5_PSV_SW_PNS1_23onesweep_lookback_stateEbbT6_jjT7_P12ihipStream_tbENKUlT_T0_SK_SP_E_clISE_PySF_SF_EEDaS13_S14_SK_SP_EUlS13_E_NS1_11comp_targetILNS1_3genE0ELNS1_11target_archE4294967295ELNS1_3gpuE0ELNS1_3repE0EEENS1_47radix_sort_onesweep_sort_config_static_selectorELNS0_4arch9wavefront6targetE1EEEvSK_
; %bb.0:
	.section	.rodata,"a",@progbits
	.p2align	6, 0x0
	.amdhsa_kernel _ZN7rocprim17ROCPRIM_400000_NS6detail17trampoline_kernelINS0_14default_configENS1_35radix_sort_onesweep_config_selectorIyNS0_10empty_typeEEEZZNS1_29radix_sort_onesweep_iterationIS3_Lb0EN6thrust23THRUST_200600_302600_NS6detail15normal_iteratorINS9_10device_ptrIyEEEESE_PS5_SF_jNS0_19identity_decomposerENS1_16block_id_wrapperIjLb0EEEEE10hipError_tT1_PNSt15iterator_traitsISK_E10value_typeET2_T3_PNSL_ISQ_E10value_typeET4_T5_PSV_SW_PNS1_23onesweep_lookback_stateEbbT6_jjT7_P12ihipStream_tbENKUlT_T0_SK_SP_E_clISE_PySF_SF_EEDaS13_S14_SK_SP_EUlS13_E_NS1_11comp_targetILNS1_3genE0ELNS1_11target_archE4294967295ELNS1_3gpuE0ELNS1_3repE0EEENS1_47radix_sort_onesweep_sort_config_static_selectorELNS0_4arch9wavefront6targetE1EEEvSK_
		.amdhsa_group_segment_fixed_size 0
		.amdhsa_private_segment_fixed_size 0
		.amdhsa_kernarg_size 88
		.amdhsa_user_sgpr_count 2
		.amdhsa_user_sgpr_dispatch_ptr 0
		.amdhsa_user_sgpr_queue_ptr 0
		.amdhsa_user_sgpr_kernarg_segment_ptr 1
		.amdhsa_user_sgpr_dispatch_id 0
		.amdhsa_user_sgpr_kernarg_preload_length 0
		.amdhsa_user_sgpr_kernarg_preload_offset 0
		.amdhsa_user_sgpr_private_segment_size 0
		.amdhsa_uses_dynamic_stack 0
		.amdhsa_enable_private_segment 0
		.amdhsa_system_sgpr_workgroup_id_x 1
		.amdhsa_system_sgpr_workgroup_id_y 0
		.amdhsa_system_sgpr_workgroup_id_z 0
		.amdhsa_system_sgpr_workgroup_info 0
		.amdhsa_system_vgpr_workitem_id 0
		.amdhsa_next_free_vgpr 1
		.amdhsa_next_free_sgpr 0
		.amdhsa_accum_offset 4
		.amdhsa_reserve_vcc 0
		.amdhsa_float_round_mode_32 0
		.amdhsa_float_round_mode_16_64 0
		.amdhsa_float_denorm_mode_32 3
		.amdhsa_float_denorm_mode_16_64 3
		.amdhsa_dx10_clamp 1
		.amdhsa_ieee_mode 1
		.amdhsa_fp16_overflow 0
		.amdhsa_tg_split 0
		.amdhsa_exception_fp_ieee_invalid_op 0
		.amdhsa_exception_fp_denorm_src 0
		.amdhsa_exception_fp_ieee_div_zero 0
		.amdhsa_exception_fp_ieee_overflow 0
		.amdhsa_exception_fp_ieee_underflow 0
		.amdhsa_exception_fp_ieee_inexact 0
		.amdhsa_exception_int_div_zero 0
	.end_amdhsa_kernel
	.section	.text._ZN7rocprim17ROCPRIM_400000_NS6detail17trampoline_kernelINS0_14default_configENS1_35radix_sort_onesweep_config_selectorIyNS0_10empty_typeEEEZZNS1_29radix_sort_onesweep_iterationIS3_Lb0EN6thrust23THRUST_200600_302600_NS6detail15normal_iteratorINS9_10device_ptrIyEEEESE_PS5_SF_jNS0_19identity_decomposerENS1_16block_id_wrapperIjLb0EEEEE10hipError_tT1_PNSt15iterator_traitsISK_E10value_typeET2_T3_PNSL_ISQ_E10value_typeET4_T5_PSV_SW_PNS1_23onesweep_lookback_stateEbbT6_jjT7_P12ihipStream_tbENKUlT_T0_SK_SP_E_clISE_PySF_SF_EEDaS13_S14_SK_SP_EUlS13_E_NS1_11comp_targetILNS1_3genE0ELNS1_11target_archE4294967295ELNS1_3gpuE0ELNS1_3repE0EEENS1_47radix_sort_onesweep_sort_config_static_selectorELNS0_4arch9wavefront6targetE1EEEvSK_,"axG",@progbits,_ZN7rocprim17ROCPRIM_400000_NS6detail17trampoline_kernelINS0_14default_configENS1_35radix_sort_onesweep_config_selectorIyNS0_10empty_typeEEEZZNS1_29radix_sort_onesweep_iterationIS3_Lb0EN6thrust23THRUST_200600_302600_NS6detail15normal_iteratorINS9_10device_ptrIyEEEESE_PS5_SF_jNS0_19identity_decomposerENS1_16block_id_wrapperIjLb0EEEEE10hipError_tT1_PNSt15iterator_traitsISK_E10value_typeET2_T3_PNSL_ISQ_E10value_typeET4_T5_PSV_SW_PNS1_23onesweep_lookback_stateEbbT6_jjT7_P12ihipStream_tbENKUlT_T0_SK_SP_E_clISE_PySF_SF_EEDaS13_S14_SK_SP_EUlS13_E_NS1_11comp_targetILNS1_3genE0ELNS1_11target_archE4294967295ELNS1_3gpuE0ELNS1_3repE0EEENS1_47radix_sort_onesweep_sort_config_static_selectorELNS0_4arch9wavefront6targetE1EEEvSK_,comdat
.Lfunc_end900:
	.size	_ZN7rocprim17ROCPRIM_400000_NS6detail17trampoline_kernelINS0_14default_configENS1_35radix_sort_onesweep_config_selectorIyNS0_10empty_typeEEEZZNS1_29radix_sort_onesweep_iterationIS3_Lb0EN6thrust23THRUST_200600_302600_NS6detail15normal_iteratorINS9_10device_ptrIyEEEESE_PS5_SF_jNS0_19identity_decomposerENS1_16block_id_wrapperIjLb0EEEEE10hipError_tT1_PNSt15iterator_traitsISK_E10value_typeET2_T3_PNSL_ISQ_E10value_typeET4_T5_PSV_SW_PNS1_23onesweep_lookback_stateEbbT6_jjT7_P12ihipStream_tbENKUlT_T0_SK_SP_E_clISE_PySF_SF_EEDaS13_S14_SK_SP_EUlS13_E_NS1_11comp_targetILNS1_3genE0ELNS1_11target_archE4294967295ELNS1_3gpuE0ELNS1_3repE0EEENS1_47radix_sort_onesweep_sort_config_static_selectorELNS0_4arch9wavefront6targetE1EEEvSK_, .Lfunc_end900-_ZN7rocprim17ROCPRIM_400000_NS6detail17trampoline_kernelINS0_14default_configENS1_35radix_sort_onesweep_config_selectorIyNS0_10empty_typeEEEZZNS1_29radix_sort_onesweep_iterationIS3_Lb0EN6thrust23THRUST_200600_302600_NS6detail15normal_iteratorINS9_10device_ptrIyEEEESE_PS5_SF_jNS0_19identity_decomposerENS1_16block_id_wrapperIjLb0EEEEE10hipError_tT1_PNSt15iterator_traitsISK_E10value_typeET2_T3_PNSL_ISQ_E10value_typeET4_T5_PSV_SW_PNS1_23onesweep_lookback_stateEbbT6_jjT7_P12ihipStream_tbENKUlT_T0_SK_SP_E_clISE_PySF_SF_EEDaS13_S14_SK_SP_EUlS13_E_NS1_11comp_targetILNS1_3genE0ELNS1_11target_archE4294967295ELNS1_3gpuE0ELNS1_3repE0EEENS1_47radix_sort_onesweep_sort_config_static_selectorELNS0_4arch9wavefront6targetE1EEEvSK_
                                        ; -- End function
	.section	.AMDGPU.csdata,"",@progbits
; Kernel info:
; codeLenInByte = 0
; NumSgprs: 6
; NumVgprs: 0
; NumAgprs: 0
; TotalNumVgprs: 0
; ScratchSize: 0
; MemoryBound: 0
; FloatMode: 240
; IeeeMode: 1
; LDSByteSize: 0 bytes/workgroup (compile time only)
; SGPRBlocks: 0
; VGPRBlocks: 0
; NumSGPRsForWavesPerEU: 6
; NumVGPRsForWavesPerEU: 1
; AccumOffset: 4
; Occupancy: 8
; WaveLimiterHint : 0
; COMPUTE_PGM_RSRC2:SCRATCH_EN: 0
; COMPUTE_PGM_RSRC2:USER_SGPR: 2
; COMPUTE_PGM_RSRC2:TRAP_HANDLER: 0
; COMPUTE_PGM_RSRC2:TGID_X_EN: 1
; COMPUTE_PGM_RSRC2:TGID_Y_EN: 0
; COMPUTE_PGM_RSRC2:TGID_Z_EN: 0
; COMPUTE_PGM_RSRC2:TIDIG_COMP_CNT: 0
; COMPUTE_PGM_RSRC3_GFX90A:ACCUM_OFFSET: 0
; COMPUTE_PGM_RSRC3_GFX90A:TG_SPLIT: 0
	.section	.text._ZN7rocprim17ROCPRIM_400000_NS6detail17trampoline_kernelINS0_14default_configENS1_35radix_sort_onesweep_config_selectorIyNS0_10empty_typeEEEZZNS1_29radix_sort_onesweep_iterationIS3_Lb0EN6thrust23THRUST_200600_302600_NS6detail15normal_iteratorINS9_10device_ptrIyEEEESE_PS5_SF_jNS0_19identity_decomposerENS1_16block_id_wrapperIjLb0EEEEE10hipError_tT1_PNSt15iterator_traitsISK_E10value_typeET2_T3_PNSL_ISQ_E10value_typeET4_T5_PSV_SW_PNS1_23onesweep_lookback_stateEbbT6_jjT7_P12ihipStream_tbENKUlT_T0_SK_SP_E_clISE_PySF_SF_EEDaS13_S14_SK_SP_EUlS13_E_NS1_11comp_targetILNS1_3genE6ELNS1_11target_archE950ELNS1_3gpuE13ELNS1_3repE0EEENS1_47radix_sort_onesweep_sort_config_static_selectorELNS0_4arch9wavefront6targetE1EEEvSK_,"axG",@progbits,_ZN7rocprim17ROCPRIM_400000_NS6detail17trampoline_kernelINS0_14default_configENS1_35radix_sort_onesweep_config_selectorIyNS0_10empty_typeEEEZZNS1_29radix_sort_onesweep_iterationIS3_Lb0EN6thrust23THRUST_200600_302600_NS6detail15normal_iteratorINS9_10device_ptrIyEEEESE_PS5_SF_jNS0_19identity_decomposerENS1_16block_id_wrapperIjLb0EEEEE10hipError_tT1_PNSt15iterator_traitsISK_E10value_typeET2_T3_PNSL_ISQ_E10value_typeET4_T5_PSV_SW_PNS1_23onesweep_lookback_stateEbbT6_jjT7_P12ihipStream_tbENKUlT_T0_SK_SP_E_clISE_PySF_SF_EEDaS13_S14_SK_SP_EUlS13_E_NS1_11comp_targetILNS1_3genE6ELNS1_11target_archE950ELNS1_3gpuE13ELNS1_3repE0EEENS1_47radix_sort_onesweep_sort_config_static_selectorELNS0_4arch9wavefront6targetE1EEEvSK_,comdat
	.protected	_ZN7rocprim17ROCPRIM_400000_NS6detail17trampoline_kernelINS0_14default_configENS1_35radix_sort_onesweep_config_selectorIyNS0_10empty_typeEEEZZNS1_29radix_sort_onesweep_iterationIS3_Lb0EN6thrust23THRUST_200600_302600_NS6detail15normal_iteratorINS9_10device_ptrIyEEEESE_PS5_SF_jNS0_19identity_decomposerENS1_16block_id_wrapperIjLb0EEEEE10hipError_tT1_PNSt15iterator_traitsISK_E10value_typeET2_T3_PNSL_ISQ_E10value_typeET4_T5_PSV_SW_PNS1_23onesweep_lookback_stateEbbT6_jjT7_P12ihipStream_tbENKUlT_T0_SK_SP_E_clISE_PySF_SF_EEDaS13_S14_SK_SP_EUlS13_E_NS1_11comp_targetILNS1_3genE6ELNS1_11target_archE950ELNS1_3gpuE13ELNS1_3repE0EEENS1_47radix_sort_onesweep_sort_config_static_selectorELNS0_4arch9wavefront6targetE1EEEvSK_ ; -- Begin function _ZN7rocprim17ROCPRIM_400000_NS6detail17trampoline_kernelINS0_14default_configENS1_35radix_sort_onesweep_config_selectorIyNS0_10empty_typeEEEZZNS1_29radix_sort_onesweep_iterationIS3_Lb0EN6thrust23THRUST_200600_302600_NS6detail15normal_iteratorINS9_10device_ptrIyEEEESE_PS5_SF_jNS0_19identity_decomposerENS1_16block_id_wrapperIjLb0EEEEE10hipError_tT1_PNSt15iterator_traitsISK_E10value_typeET2_T3_PNSL_ISQ_E10value_typeET4_T5_PSV_SW_PNS1_23onesweep_lookback_stateEbbT6_jjT7_P12ihipStream_tbENKUlT_T0_SK_SP_E_clISE_PySF_SF_EEDaS13_S14_SK_SP_EUlS13_E_NS1_11comp_targetILNS1_3genE6ELNS1_11target_archE950ELNS1_3gpuE13ELNS1_3repE0EEENS1_47radix_sort_onesweep_sort_config_static_selectorELNS0_4arch9wavefront6targetE1EEEvSK_
	.globl	_ZN7rocprim17ROCPRIM_400000_NS6detail17trampoline_kernelINS0_14default_configENS1_35radix_sort_onesweep_config_selectorIyNS0_10empty_typeEEEZZNS1_29radix_sort_onesweep_iterationIS3_Lb0EN6thrust23THRUST_200600_302600_NS6detail15normal_iteratorINS9_10device_ptrIyEEEESE_PS5_SF_jNS0_19identity_decomposerENS1_16block_id_wrapperIjLb0EEEEE10hipError_tT1_PNSt15iterator_traitsISK_E10value_typeET2_T3_PNSL_ISQ_E10value_typeET4_T5_PSV_SW_PNS1_23onesweep_lookback_stateEbbT6_jjT7_P12ihipStream_tbENKUlT_T0_SK_SP_E_clISE_PySF_SF_EEDaS13_S14_SK_SP_EUlS13_E_NS1_11comp_targetILNS1_3genE6ELNS1_11target_archE950ELNS1_3gpuE13ELNS1_3repE0EEENS1_47radix_sort_onesweep_sort_config_static_selectorELNS0_4arch9wavefront6targetE1EEEvSK_
	.p2align	8
	.type	_ZN7rocprim17ROCPRIM_400000_NS6detail17trampoline_kernelINS0_14default_configENS1_35radix_sort_onesweep_config_selectorIyNS0_10empty_typeEEEZZNS1_29radix_sort_onesweep_iterationIS3_Lb0EN6thrust23THRUST_200600_302600_NS6detail15normal_iteratorINS9_10device_ptrIyEEEESE_PS5_SF_jNS0_19identity_decomposerENS1_16block_id_wrapperIjLb0EEEEE10hipError_tT1_PNSt15iterator_traitsISK_E10value_typeET2_T3_PNSL_ISQ_E10value_typeET4_T5_PSV_SW_PNS1_23onesweep_lookback_stateEbbT6_jjT7_P12ihipStream_tbENKUlT_T0_SK_SP_E_clISE_PySF_SF_EEDaS13_S14_SK_SP_EUlS13_E_NS1_11comp_targetILNS1_3genE6ELNS1_11target_archE950ELNS1_3gpuE13ELNS1_3repE0EEENS1_47radix_sort_onesweep_sort_config_static_selectorELNS0_4arch9wavefront6targetE1EEEvSK_,@function
_ZN7rocprim17ROCPRIM_400000_NS6detail17trampoline_kernelINS0_14default_configENS1_35radix_sort_onesweep_config_selectorIyNS0_10empty_typeEEEZZNS1_29radix_sort_onesweep_iterationIS3_Lb0EN6thrust23THRUST_200600_302600_NS6detail15normal_iteratorINS9_10device_ptrIyEEEESE_PS5_SF_jNS0_19identity_decomposerENS1_16block_id_wrapperIjLb0EEEEE10hipError_tT1_PNSt15iterator_traitsISK_E10value_typeET2_T3_PNSL_ISQ_E10value_typeET4_T5_PSV_SW_PNS1_23onesweep_lookback_stateEbbT6_jjT7_P12ihipStream_tbENKUlT_T0_SK_SP_E_clISE_PySF_SF_EEDaS13_S14_SK_SP_EUlS13_E_NS1_11comp_targetILNS1_3genE6ELNS1_11target_archE950ELNS1_3gpuE13ELNS1_3repE0EEENS1_47radix_sort_onesweep_sort_config_static_selectorELNS0_4arch9wavefront6targetE1EEEvSK_: ; @_ZN7rocprim17ROCPRIM_400000_NS6detail17trampoline_kernelINS0_14default_configENS1_35radix_sort_onesweep_config_selectorIyNS0_10empty_typeEEEZZNS1_29radix_sort_onesweep_iterationIS3_Lb0EN6thrust23THRUST_200600_302600_NS6detail15normal_iteratorINS9_10device_ptrIyEEEESE_PS5_SF_jNS0_19identity_decomposerENS1_16block_id_wrapperIjLb0EEEEE10hipError_tT1_PNSt15iterator_traitsISK_E10value_typeET2_T3_PNSL_ISQ_E10value_typeET4_T5_PSV_SW_PNS1_23onesweep_lookback_stateEbbT6_jjT7_P12ihipStream_tbENKUlT_T0_SK_SP_E_clISE_PySF_SF_EEDaS13_S14_SK_SP_EUlS13_E_NS1_11comp_targetILNS1_3genE6ELNS1_11target_archE950ELNS1_3gpuE13ELNS1_3repE0EEENS1_47radix_sort_onesweep_sort_config_static_selectorELNS0_4arch9wavefront6targetE1EEEvSK_
; %bb.0:
	.section	.rodata,"a",@progbits
	.p2align	6, 0x0
	.amdhsa_kernel _ZN7rocprim17ROCPRIM_400000_NS6detail17trampoline_kernelINS0_14default_configENS1_35radix_sort_onesweep_config_selectorIyNS0_10empty_typeEEEZZNS1_29radix_sort_onesweep_iterationIS3_Lb0EN6thrust23THRUST_200600_302600_NS6detail15normal_iteratorINS9_10device_ptrIyEEEESE_PS5_SF_jNS0_19identity_decomposerENS1_16block_id_wrapperIjLb0EEEEE10hipError_tT1_PNSt15iterator_traitsISK_E10value_typeET2_T3_PNSL_ISQ_E10value_typeET4_T5_PSV_SW_PNS1_23onesweep_lookback_stateEbbT6_jjT7_P12ihipStream_tbENKUlT_T0_SK_SP_E_clISE_PySF_SF_EEDaS13_S14_SK_SP_EUlS13_E_NS1_11comp_targetILNS1_3genE6ELNS1_11target_archE950ELNS1_3gpuE13ELNS1_3repE0EEENS1_47radix_sort_onesweep_sort_config_static_selectorELNS0_4arch9wavefront6targetE1EEEvSK_
		.amdhsa_group_segment_fixed_size 0
		.amdhsa_private_segment_fixed_size 0
		.amdhsa_kernarg_size 88
		.amdhsa_user_sgpr_count 2
		.amdhsa_user_sgpr_dispatch_ptr 0
		.amdhsa_user_sgpr_queue_ptr 0
		.amdhsa_user_sgpr_kernarg_segment_ptr 1
		.amdhsa_user_sgpr_dispatch_id 0
		.amdhsa_user_sgpr_kernarg_preload_length 0
		.amdhsa_user_sgpr_kernarg_preload_offset 0
		.amdhsa_user_sgpr_private_segment_size 0
		.amdhsa_uses_dynamic_stack 0
		.amdhsa_enable_private_segment 0
		.amdhsa_system_sgpr_workgroup_id_x 1
		.amdhsa_system_sgpr_workgroup_id_y 0
		.amdhsa_system_sgpr_workgroup_id_z 0
		.amdhsa_system_sgpr_workgroup_info 0
		.amdhsa_system_vgpr_workitem_id 0
		.amdhsa_next_free_vgpr 1
		.amdhsa_next_free_sgpr 0
		.amdhsa_accum_offset 4
		.amdhsa_reserve_vcc 0
		.amdhsa_float_round_mode_32 0
		.amdhsa_float_round_mode_16_64 0
		.amdhsa_float_denorm_mode_32 3
		.amdhsa_float_denorm_mode_16_64 3
		.amdhsa_dx10_clamp 1
		.amdhsa_ieee_mode 1
		.amdhsa_fp16_overflow 0
		.amdhsa_tg_split 0
		.amdhsa_exception_fp_ieee_invalid_op 0
		.amdhsa_exception_fp_denorm_src 0
		.amdhsa_exception_fp_ieee_div_zero 0
		.amdhsa_exception_fp_ieee_overflow 0
		.amdhsa_exception_fp_ieee_underflow 0
		.amdhsa_exception_fp_ieee_inexact 0
		.amdhsa_exception_int_div_zero 0
	.end_amdhsa_kernel
	.section	.text._ZN7rocprim17ROCPRIM_400000_NS6detail17trampoline_kernelINS0_14default_configENS1_35radix_sort_onesweep_config_selectorIyNS0_10empty_typeEEEZZNS1_29radix_sort_onesweep_iterationIS3_Lb0EN6thrust23THRUST_200600_302600_NS6detail15normal_iteratorINS9_10device_ptrIyEEEESE_PS5_SF_jNS0_19identity_decomposerENS1_16block_id_wrapperIjLb0EEEEE10hipError_tT1_PNSt15iterator_traitsISK_E10value_typeET2_T3_PNSL_ISQ_E10value_typeET4_T5_PSV_SW_PNS1_23onesweep_lookback_stateEbbT6_jjT7_P12ihipStream_tbENKUlT_T0_SK_SP_E_clISE_PySF_SF_EEDaS13_S14_SK_SP_EUlS13_E_NS1_11comp_targetILNS1_3genE6ELNS1_11target_archE950ELNS1_3gpuE13ELNS1_3repE0EEENS1_47radix_sort_onesweep_sort_config_static_selectorELNS0_4arch9wavefront6targetE1EEEvSK_,"axG",@progbits,_ZN7rocprim17ROCPRIM_400000_NS6detail17trampoline_kernelINS0_14default_configENS1_35radix_sort_onesweep_config_selectorIyNS0_10empty_typeEEEZZNS1_29radix_sort_onesweep_iterationIS3_Lb0EN6thrust23THRUST_200600_302600_NS6detail15normal_iteratorINS9_10device_ptrIyEEEESE_PS5_SF_jNS0_19identity_decomposerENS1_16block_id_wrapperIjLb0EEEEE10hipError_tT1_PNSt15iterator_traitsISK_E10value_typeET2_T3_PNSL_ISQ_E10value_typeET4_T5_PSV_SW_PNS1_23onesweep_lookback_stateEbbT6_jjT7_P12ihipStream_tbENKUlT_T0_SK_SP_E_clISE_PySF_SF_EEDaS13_S14_SK_SP_EUlS13_E_NS1_11comp_targetILNS1_3genE6ELNS1_11target_archE950ELNS1_3gpuE13ELNS1_3repE0EEENS1_47radix_sort_onesweep_sort_config_static_selectorELNS0_4arch9wavefront6targetE1EEEvSK_,comdat
.Lfunc_end901:
	.size	_ZN7rocprim17ROCPRIM_400000_NS6detail17trampoline_kernelINS0_14default_configENS1_35radix_sort_onesweep_config_selectorIyNS0_10empty_typeEEEZZNS1_29radix_sort_onesweep_iterationIS3_Lb0EN6thrust23THRUST_200600_302600_NS6detail15normal_iteratorINS9_10device_ptrIyEEEESE_PS5_SF_jNS0_19identity_decomposerENS1_16block_id_wrapperIjLb0EEEEE10hipError_tT1_PNSt15iterator_traitsISK_E10value_typeET2_T3_PNSL_ISQ_E10value_typeET4_T5_PSV_SW_PNS1_23onesweep_lookback_stateEbbT6_jjT7_P12ihipStream_tbENKUlT_T0_SK_SP_E_clISE_PySF_SF_EEDaS13_S14_SK_SP_EUlS13_E_NS1_11comp_targetILNS1_3genE6ELNS1_11target_archE950ELNS1_3gpuE13ELNS1_3repE0EEENS1_47radix_sort_onesweep_sort_config_static_selectorELNS0_4arch9wavefront6targetE1EEEvSK_, .Lfunc_end901-_ZN7rocprim17ROCPRIM_400000_NS6detail17trampoline_kernelINS0_14default_configENS1_35radix_sort_onesweep_config_selectorIyNS0_10empty_typeEEEZZNS1_29radix_sort_onesweep_iterationIS3_Lb0EN6thrust23THRUST_200600_302600_NS6detail15normal_iteratorINS9_10device_ptrIyEEEESE_PS5_SF_jNS0_19identity_decomposerENS1_16block_id_wrapperIjLb0EEEEE10hipError_tT1_PNSt15iterator_traitsISK_E10value_typeET2_T3_PNSL_ISQ_E10value_typeET4_T5_PSV_SW_PNS1_23onesweep_lookback_stateEbbT6_jjT7_P12ihipStream_tbENKUlT_T0_SK_SP_E_clISE_PySF_SF_EEDaS13_S14_SK_SP_EUlS13_E_NS1_11comp_targetILNS1_3genE6ELNS1_11target_archE950ELNS1_3gpuE13ELNS1_3repE0EEENS1_47radix_sort_onesweep_sort_config_static_selectorELNS0_4arch9wavefront6targetE1EEEvSK_
                                        ; -- End function
	.section	.AMDGPU.csdata,"",@progbits
; Kernel info:
; codeLenInByte = 0
; NumSgprs: 6
; NumVgprs: 0
; NumAgprs: 0
; TotalNumVgprs: 0
; ScratchSize: 0
; MemoryBound: 0
; FloatMode: 240
; IeeeMode: 1
; LDSByteSize: 0 bytes/workgroup (compile time only)
; SGPRBlocks: 0
; VGPRBlocks: 0
; NumSGPRsForWavesPerEU: 6
; NumVGPRsForWavesPerEU: 1
; AccumOffset: 4
; Occupancy: 8
; WaveLimiterHint : 0
; COMPUTE_PGM_RSRC2:SCRATCH_EN: 0
; COMPUTE_PGM_RSRC2:USER_SGPR: 2
; COMPUTE_PGM_RSRC2:TRAP_HANDLER: 0
; COMPUTE_PGM_RSRC2:TGID_X_EN: 1
; COMPUTE_PGM_RSRC2:TGID_Y_EN: 0
; COMPUTE_PGM_RSRC2:TGID_Z_EN: 0
; COMPUTE_PGM_RSRC2:TIDIG_COMP_CNT: 0
; COMPUTE_PGM_RSRC3_GFX90A:ACCUM_OFFSET: 0
; COMPUTE_PGM_RSRC3_GFX90A:TG_SPLIT: 0
	.section	.text._ZN7rocprim17ROCPRIM_400000_NS6detail17trampoline_kernelINS0_14default_configENS1_35radix_sort_onesweep_config_selectorIyNS0_10empty_typeEEEZZNS1_29radix_sort_onesweep_iterationIS3_Lb0EN6thrust23THRUST_200600_302600_NS6detail15normal_iteratorINS9_10device_ptrIyEEEESE_PS5_SF_jNS0_19identity_decomposerENS1_16block_id_wrapperIjLb0EEEEE10hipError_tT1_PNSt15iterator_traitsISK_E10value_typeET2_T3_PNSL_ISQ_E10value_typeET4_T5_PSV_SW_PNS1_23onesweep_lookback_stateEbbT6_jjT7_P12ihipStream_tbENKUlT_T0_SK_SP_E_clISE_PySF_SF_EEDaS13_S14_SK_SP_EUlS13_E_NS1_11comp_targetILNS1_3genE5ELNS1_11target_archE942ELNS1_3gpuE9ELNS1_3repE0EEENS1_47radix_sort_onesweep_sort_config_static_selectorELNS0_4arch9wavefront6targetE1EEEvSK_,"axG",@progbits,_ZN7rocprim17ROCPRIM_400000_NS6detail17trampoline_kernelINS0_14default_configENS1_35radix_sort_onesweep_config_selectorIyNS0_10empty_typeEEEZZNS1_29radix_sort_onesweep_iterationIS3_Lb0EN6thrust23THRUST_200600_302600_NS6detail15normal_iteratorINS9_10device_ptrIyEEEESE_PS5_SF_jNS0_19identity_decomposerENS1_16block_id_wrapperIjLb0EEEEE10hipError_tT1_PNSt15iterator_traitsISK_E10value_typeET2_T3_PNSL_ISQ_E10value_typeET4_T5_PSV_SW_PNS1_23onesweep_lookback_stateEbbT6_jjT7_P12ihipStream_tbENKUlT_T0_SK_SP_E_clISE_PySF_SF_EEDaS13_S14_SK_SP_EUlS13_E_NS1_11comp_targetILNS1_3genE5ELNS1_11target_archE942ELNS1_3gpuE9ELNS1_3repE0EEENS1_47radix_sort_onesweep_sort_config_static_selectorELNS0_4arch9wavefront6targetE1EEEvSK_,comdat
	.protected	_ZN7rocprim17ROCPRIM_400000_NS6detail17trampoline_kernelINS0_14default_configENS1_35radix_sort_onesweep_config_selectorIyNS0_10empty_typeEEEZZNS1_29radix_sort_onesweep_iterationIS3_Lb0EN6thrust23THRUST_200600_302600_NS6detail15normal_iteratorINS9_10device_ptrIyEEEESE_PS5_SF_jNS0_19identity_decomposerENS1_16block_id_wrapperIjLb0EEEEE10hipError_tT1_PNSt15iterator_traitsISK_E10value_typeET2_T3_PNSL_ISQ_E10value_typeET4_T5_PSV_SW_PNS1_23onesweep_lookback_stateEbbT6_jjT7_P12ihipStream_tbENKUlT_T0_SK_SP_E_clISE_PySF_SF_EEDaS13_S14_SK_SP_EUlS13_E_NS1_11comp_targetILNS1_3genE5ELNS1_11target_archE942ELNS1_3gpuE9ELNS1_3repE0EEENS1_47radix_sort_onesweep_sort_config_static_selectorELNS0_4arch9wavefront6targetE1EEEvSK_ ; -- Begin function _ZN7rocprim17ROCPRIM_400000_NS6detail17trampoline_kernelINS0_14default_configENS1_35radix_sort_onesweep_config_selectorIyNS0_10empty_typeEEEZZNS1_29radix_sort_onesweep_iterationIS3_Lb0EN6thrust23THRUST_200600_302600_NS6detail15normal_iteratorINS9_10device_ptrIyEEEESE_PS5_SF_jNS0_19identity_decomposerENS1_16block_id_wrapperIjLb0EEEEE10hipError_tT1_PNSt15iterator_traitsISK_E10value_typeET2_T3_PNSL_ISQ_E10value_typeET4_T5_PSV_SW_PNS1_23onesweep_lookback_stateEbbT6_jjT7_P12ihipStream_tbENKUlT_T0_SK_SP_E_clISE_PySF_SF_EEDaS13_S14_SK_SP_EUlS13_E_NS1_11comp_targetILNS1_3genE5ELNS1_11target_archE942ELNS1_3gpuE9ELNS1_3repE0EEENS1_47radix_sort_onesweep_sort_config_static_selectorELNS0_4arch9wavefront6targetE1EEEvSK_
	.globl	_ZN7rocprim17ROCPRIM_400000_NS6detail17trampoline_kernelINS0_14default_configENS1_35radix_sort_onesweep_config_selectorIyNS0_10empty_typeEEEZZNS1_29radix_sort_onesweep_iterationIS3_Lb0EN6thrust23THRUST_200600_302600_NS6detail15normal_iteratorINS9_10device_ptrIyEEEESE_PS5_SF_jNS0_19identity_decomposerENS1_16block_id_wrapperIjLb0EEEEE10hipError_tT1_PNSt15iterator_traitsISK_E10value_typeET2_T3_PNSL_ISQ_E10value_typeET4_T5_PSV_SW_PNS1_23onesweep_lookback_stateEbbT6_jjT7_P12ihipStream_tbENKUlT_T0_SK_SP_E_clISE_PySF_SF_EEDaS13_S14_SK_SP_EUlS13_E_NS1_11comp_targetILNS1_3genE5ELNS1_11target_archE942ELNS1_3gpuE9ELNS1_3repE0EEENS1_47radix_sort_onesweep_sort_config_static_selectorELNS0_4arch9wavefront6targetE1EEEvSK_
	.p2align	8
	.type	_ZN7rocprim17ROCPRIM_400000_NS6detail17trampoline_kernelINS0_14default_configENS1_35radix_sort_onesweep_config_selectorIyNS0_10empty_typeEEEZZNS1_29radix_sort_onesweep_iterationIS3_Lb0EN6thrust23THRUST_200600_302600_NS6detail15normal_iteratorINS9_10device_ptrIyEEEESE_PS5_SF_jNS0_19identity_decomposerENS1_16block_id_wrapperIjLb0EEEEE10hipError_tT1_PNSt15iterator_traitsISK_E10value_typeET2_T3_PNSL_ISQ_E10value_typeET4_T5_PSV_SW_PNS1_23onesweep_lookback_stateEbbT6_jjT7_P12ihipStream_tbENKUlT_T0_SK_SP_E_clISE_PySF_SF_EEDaS13_S14_SK_SP_EUlS13_E_NS1_11comp_targetILNS1_3genE5ELNS1_11target_archE942ELNS1_3gpuE9ELNS1_3repE0EEENS1_47radix_sort_onesweep_sort_config_static_selectorELNS0_4arch9wavefront6targetE1EEEvSK_,@function
_ZN7rocprim17ROCPRIM_400000_NS6detail17trampoline_kernelINS0_14default_configENS1_35radix_sort_onesweep_config_selectorIyNS0_10empty_typeEEEZZNS1_29radix_sort_onesweep_iterationIS3_Lb0EN6thrust23THRUST_200600_302600_NS6detail15normal_iteratorINS9_10device_ptrIyEEEESE_PS5_SF_jNS0_19identity_decomposerENS1_16block_id_wrapperIjLb0EEEEE10hipError_tT1_PNSt15iterator_traitsISK_E10value_typeET2_T3_PNSL_ISQ_E10value_typeET4_T5_PSV_SW_PNS1_23onesweep_lookback_stateEbbT6_jjT7_P12ihipStream_tbENKUlT_T0_SK_SP_E_clISE_PySF_SF_EEDaS13_S14_SK_SP_EUlS13_E_NS1_11comp_targetILNS1_3genE5ELNS1_11target_archE942ELNS1_3gpuE9ELNS1_3repE0EEENS1_47radix_sort_onesweep_sort_config_static_selectorELNS0_4arch9wavefront6targetE1EEEvSK_: ; @_ZN7rocprim17ROCPRIM_400000_NS6detail17trampoline_kernelINS0_14default_configENS1_35radix_sort_onesweep_config_selectorIyNS0_10empty_typeEEEZZNS1_29radix_sort_onesweep_iterationIS3_Lb0EN6thrust23THRUST_200600_302600_NS6detail15normal_iteratorINS9_10device_ptrIyEEEESE_PS5_SF_jNS0_19identity_decomposerENS1_16block_id_wrapperIjLb0EEEEE10hipError_tT1_PNSt15iterator_traitsISK_E10value_typeET2_T3_PNSL_ISQ_E10value_typeET4_T5_PSV_SW_PNS1_23onesweep_lookback_stateEbbT6_jjT7_P12ihipStream_tbENKUlT_T0_SK_SP_E_clISE_PySF_SF_EEDaS13_S14_SK_SP_EUlS13_E_NS1_11comp_targetILNS1_3genE5ELNS1_11target_archE942ELNS1_3gpuE9ELNS1_3repE0EEENS1_47radix_sort_onesweep_sort_config_static_selectorELNS0_4arch9wavefront6targetE1EEEvSK_
; %bb.0:
	s_load_dwordx4 s[20:23], s[0:1], 0x44
	s_load_dwordx2 s[28:29], s[0:1], 0x38
	s_load_dwordx4 s[24:27], s[0:1], 0x0
	s_load_dwordx4 s[16:19], s[0:1], 0x28
	s_mul_i32 s30, s2, 0x1800
	s_waitcnt lgkmcnt(0)
	s_cmp_ge_u32 s2, s22
	v_mbcnt_lo_u32_b32 v1, -1, 0
	s_cbranch_scc0 .LBB902_99
; %bb.1:
	s_load_dword s3, s[0:1], 0x20
	s_mul_i32 s6, s22, 0xffffe800
	s_mov_b32 s31, 0
	v_and_b32_e32 v2, 0x3ff, v0
	s_lshl_b64 s[4:5], s[30:31], 3
	s_waitcnt lgkmcnt(0)
	s_add_i32 s3, s3, s6
	v_mbcnt_hi_u32_b32 v3, -1, v1
	s_add_u32 s4, s24, s4
	v_and_b32_e32 v8, 63, v3
	v_and_b32_e32 v32, 0x1c0, v2
	s_addc_u32 s5, s25, s5
	v_mul_u32_u24_e32 v9, 12, v32
	v_lshlrev_b32_e32 v4, 3, v8
	v_mov_b32_e32 v5, 0
	v_lshl_add_u64 v[6:7], s[4:5], 0, v[4:5]
	v_lshlrev_b32_e32 v4, 3, v9
	v_lshl_add_u64 v[28:29], v[6:7], 0, v[4:5]
	v_or_b32_e32 v30, v8, v9
	v_mov_b64_e32 v[4:5], -1
	v_cmp_gt_u32_e32 vcc, s3, v30
	v_mov_b64_e32 v[6:7], v[4:5]
	s_and_saveexec_b64 s[4:5], vcc
	s_cbranch_execz .LBB902_3
; %bb.2:
	global_load_dwordx2 v[6:7], v[28:29], off
.LBB902_3:
	s_or_b64 exec, exec, s[4:5]
	v_or_b32_e32 v8, 64, v30
	v_cmp_gt_u32_e32 vcc, s3, v8
	s_and_saveexec_b64 s[4:5], vcc
	s_cbranch_execz .LBB902_5
; %bb.4:
	global_load_dwordx2 v[4:5], v[28:29], off offset:512
.LBB902_5:
	s_or_b64 exec, exec, s[4:5]
	v_or_b32_e32 v8, 0x80, v30
	v_cmp_gt_u32_e32 vcc, s3, v8
	v_mov_b64_e32 v[8:9], -1
	v_mov_b64_e32 v[10:11], v[8:9]
	s_and_saveexec_b64 s[4:5], vcc
	s_cbranch_execz .LBB902_7
; %bb.6:
	global_load_dwordx2 v[10:11], v[28:29], off offset:1024
.LBB902_7:
	s_or_b64 exec, exec, s[4:5]
	v_or_b32_e32 v12, 0xc0, v30
	v_cmp_gt_u32_e32 vcc, s3, v12
	s_and_saveexec_b64 s[4:5], vcc
	s_cbranch_execz .LBB902_9
; %bb.8:
	global_load_dwordx2 v[8:9], v[28:29], off offset:1536
.LBB902_9:
	s_or_b64 exec, exec, s[4:5]
	v_add_u32_e32 v12, 0x100, v30
	v_cmp_gt_u32_e32 vcc, s3, v12
	v_mov_b64_e32 v[12:13], -1
	v_mov_b64_e32 v[14:15], v[12:13]
	s_and_saveexec_b64 s[4:5], vcc
	s_cbranch_execz .LBB902_11
; %bb.10:
	global_load_dwordx2 v[14:15], v[28:29], off offset:2048
.LBB902_11:
	s_or_b64 exec, exec, s[4:5]
	v_add_u32_e32 v16, 0x140, v30
	v_cmp_gt_u32_e32 vcc, s3, v16
	s_and_saveexec_b64 s[4:5], vcc
	s_cbranch_execz .LBB902_13
; %bb.12:
	global_load_dwordx2 v[12:13], v[28:29], off offset:2560
.LBB902_13:
	s_or_b64 exec, exec, s[4:5]
	v_add_u32_e32 v16, 0x180, v30
	v_cmp_gt_u32_e32 vcc, s3, v16
	v_mov_b64_e32 v[16:17], -1
	v_mov_b64_e32 v[18:19], v[16:17]
	s_and_saveexec_b64 s[4:5], vcc
	s_cbranch_execz .LBB902_15
; %bb.14:
	global_load_dwordx2 v[18:19], v[28:29], off offset:3072
.LBB902_15:
	s_or_b64 exec, exec, s[4:5]
	v_add_u32_e32 v20, 0x1c0, v30
	v_cmp_gt_u32_e32 vcc, s3, v20
	s_and_saveexec_b64 s[4:5], vcc
	s_cbranch_execz .LBB902_17
; %bb.16:
	global_load_dwordx2 v[16:17], v[28:29], off offset:3584
.LBB902_17:
	s_or_b64 exec, exec, s[4:5]
	v_add_u32_e32 v20, 0x200, v30
	v_cmp_gt_u32_e32 vcc, s3, v20
	v_mov_b64_e32 v[20:21], -1
	v_mov_b64_e32 v[22:23], v[20:21]
	s_and_saveexec_b64 s[4:5], vcc
	s_cbranch_execz .LBB902_19
; %bb.18:
	v_add_co_u32_e32 v22, vcc, 0x1000, v28
	s_nop 1
	v_addc_co_u32_e32 v23, vcc, 0, v29, vcc
	global_load_dwordx2 v[22:23], v[22:23], off
.LBB902_19:
	s_or_b64 exec, exec, s[4:5]
	v_add_u32_e32 v24, 0x240, v30
	v_cmp_gt_u32_e32 vcc, s3, v24
	s_and_saveexec_b64 s[4:5], vcc
	s_cbranch_execz .LBB902_21
; %bb.20:
	v_add_co_u32_e32 v20, vcc, 0x1000, v28
	s_nop 1
	v_addc_co_u32_e32 v21, vcc, 0, v29, vcc
	global_load_dwordx2 v[20:21], v[20:21], off offset:512
.LBB902_21:
	s_or_b64 exec, exec, s[4:5]
	v_add_u32_e32 v24, 0x280, v30
	v_cmp_gt_u32_e32 vcc, s3, v24
	v_mov_b64_e32 v[24:25], -1
	v_mov_b64_e32 v[26:27], v[24:25]
	s_and_saveexec_b64 s[4:5], vcc
	s_cbranch_execz .LBB902_23
; %bb.22:
	v_add_co_u32_e32 v26, vcc, 0x1000, v28
	s_nop 1
	v_addc_co_u32_e32 v27, vcc, 0, v29, vcc
	global_load_dwordx2 v[26:27], v[26:27], off offset:1024
.LBB902_23:
	s_or_b64 exec, exec, s[4:5]
	v_add_u32_e32 v30, 0x2c0, v30
	v_cmp_gt_u32_e32 vcc, s3, v30
	s_and_saveexec_b64 s[4:5], vcc
	s_cbranch_execz .LBB902_25
; %bb.24:
	v_add_co_u32_e32 v24, vcc, 0x1000, v28
	s_nop 1
	v_addc_co_u32_e32 v25, vcc, 0, v29, vcc
	global_load_dwordx2 v[24:25], v[24:25], off offset:1536
.LBB902_25:
	s_or_b64 exec, exec, s[4:5]
	s_load_dword s4, s[0:1], 0x64
	s_load_dword s22, s[0:1], 0x58
	s_add_u32 s5, s0, 0x58
	s_addc_u32 s6, s1, 0
	v_mov_b32_e32 v29, 0
	s_waitcnt lgkmcnt(0)
	s_lshr_b32 s7, s4, 16
	s_cmp_lt_u32 s2, s22
	s_cselect_b32 s4, 12, 18
	s_add_u32 s4, s5, s4
	s_addc_u32 s5, s6, 0
	global_load_ushort v48, v29, s[4:5]
	s_lshl_b32 s4, -1, s21
	s_waitcnt vmcnt(1)
	v_lshrrev_b64 v[30:31], s20, v[6:7]
	s_not_b32 s23, s4
	v_bfe_u32 v28, v0, 10, 10
	v_bfe_u32 v35, v0, 20, 10
	v_and_b32_e32 v30, s23, v30
	v_mad_u32_u24 v49, v35, s7, v28
	v_and_b32_e32 v28, 1, v30
	v_lshlrev_b32_e32 v35, 30, v30
	v_mov_b32_e32 v34, v29
	v_mov_b32_e32 v38, v29
	v_lshlrev_b32_e32 v37, 29, v30
	v_lshlrev_b32_e32 v39, 28, v30
	v_lshl_add_u64 v[46:47], v[28:29], 0, -1
	v_cmp_ne_u32_e32 vcc, 0, v28
	v_not_b32_e32 v28, v35
	v_mov_b32_e32 v36, v29
	v_mov_b32_e32 v40, v29
	v_lshl_add_u32 v50, v30, 3, v30
	v_lshlrev_b32_e32 v41, 27, v30
	v_lshlrev_b32_e32 v43, 26, v30
	;; [unrolled: 1-line block ×4, first 2 shown]
	v_cmp_gt_i64_e64 s[4:5], 0, v[34:35]
	v_not_b32_e32 v30, v37
	v_cmp_gt_i64_e64 s[8:9], 0, v[38:39]
	v_xor_b32_e32 v38, vcc_hi, v47
	v_ashrrev_i32_e32 v28, 31, v28
	v_cmp_gt_i64_e64 s[6:7], 0, v[36:37]
	v_not_b32_e32 v34, v39
	v_cmp_gt_i64_e64 s[10:11], 0, v[40:41]
	v_xor_b32_e32 v39, vcc_lo, v46
	v_ashrrev_i32_e32 v30, 31, v30
	v_and_b32_e32 v38, exec_hi, v38
	v_xor_b32_e32 v40, s5, v28
	v_mov_b32_e32 v42, v29
	v_not_b32_e32 v35, v41
	v_ashrrev_i32_e32 v34, 31, v34
	v_and_b32_e32 v39, exec_lo, v39
	v_xor_b32_e32 v28, s4, v28
	v_xor_b32_e32 v41, s7, v30
	v_and_b32_e32 v38, v38, v40
	v_cmp_gt_i64_e64 s[12:13], 0, v[42:43]
	v_not_b32_e32 v36, v43
	v_ashrrev_i32_e32 v35, 31, v35
	v_xor_b32_e32 v30, s6, v30
	v_xor_b32_e32 v42, s9, v34
	v_and_b32_e32 v28, v39, v28
	v_and_b32_e32 v38, v38, v41
	v_mov_b32_e32 v44, v29
	v_not_b32_e32 v37, v45
	v_ashrrev_i32_e32 v36, 31, v36
	v_xor_b32_e32 v34, s8, v34
	v_xor_b32_e32 v43, s11, v35
	v_and_b32_e32 v28, v28, v30
	v_and_b32_e32 v30, v38, v42
	v_cmp_gt_i64_e64 s[14:15], 0, v[44:45]
	v_ashrrev_i32_e32 v37, 31, v37
	v_xor_b32_e32 v35, s10, v35
	v_xor_b32_e32 v44, s13, v36
	v_and_b32_e32 v28, v28, v34
	v_and_b32_e32 v30, v30, v43
	v_xor_b32_e32 v36, s12, v36
	v_xor_b32_e32 v45, s15, v37
	v_and_b32_e32 v28, v28, v35
	v_and_b32_e32 v30, v30, v44
	;; [unrolled: 1-line block ×4, first 2 shown]
	v_mov_b32_e32 v30, v29
	v_cmp_gt_i64_e32 vcc, 0, v[30:31]
	v_not_b32_e32 v30, v31
	v_xor_b32_e32 v37, s14, v37
	v_ashrrev_i32_e32 v30, 31, v30
	v_and_b32_e32 v28, v28, v37
	v_xor_b32_e32 v31, vcc_hi, v30
	v_xor_b32_e32 v30, vcc_lo, v30
	v_and_b32_e32 v30, v28, v30
	v_and_b32_e32 v31, v36, v31
	v_mbcnt_lo_u32_b32 v28, v30, 0
	s_waitcnt vmcnt(0)
	v_mad_u64_u32 v[34:35], s[4:5], v49, v48, v[2:3]
	v_mbcnt_hi_u32_b32 v35, v31, v28
	v_mul_u32_u24_e32 v33, 5, v2
	v_lshrrev_b32_e32 v45, 6, v34
	v_cmp_eq_u32_e32 vcc, 0, v35
	v_cmp_ne_u64_e64 s[4:5], 0, v[30:31]
	v_lshlrev_b32_e32 v33, 2, v33
	v_add_lshl_u32 v38, v45, v50, 2
	s_and_b64 s[6:7], s[4:5], vcc
	ds_write2_b32 v33, v29, v29 offset0:8 offset1:9
	ds_write2_b32 v33, v29, v29 offset0:10 offset1:11
	ds_write_b32 v33, v29 offset:48
	s_waitcnt lgkmcnt(0)
	s_barrier
	s_waitcnt lgkmcnt(0)
	; wave barrier
	s_and_saveexec_b64 s[4:5], s[6:7]
	s_cbranch_execz .LBB902_27
; %bb.26:
	v_bcnt_u32_b32 v28, v30, 0
	v_bcnt_u32_b32 v28, v31, v28
	ds_write_b32 v38, v28 offset:32
.LBB902_27:
	s_or_b64 exec, exec, s[4:5]
	v_lshrrev_b64 v[30:31], s20, v[4:5]
	v_and_b32_e32 v36, s23, v30
	v_lshl_add_u32 v28, v36, 3, v36
	v_add_lshl_u32 v39, v45, v28, 2
	v_and_b32_e32 v28, 1, v36
	v_lshl_add_u64 v[30:31], v[28:29], 0, -1
	v_cmp_ne_u32_e32 vcc, 0, v28
	; wave barrier
	s_nop 1
	v_xor_b32_e32 v30, vcc_lo, v30
	v_xor_b32_e32 v28, vcc_hi, v31
	v_and_b32_e32 v37, exec_lo, v30
	v_lshlrev_b32_e32 v31, 30, v36
	v_mov_b32_e32 v30, v29
	v_cmp_gt_i64_e32 vcc, 0, v[30:31]
	v_not_b32_e32 v30, v31
	v_ashrrev_i32_e32 v30, 31, v30
	v_and_b32_e32 v28, exec_hi, v28
	v_xor_b32_e32 v31, vcc_hi, v30
	v_xor_b32_e32 v30, vcc_lo, v30
	v_and_b32_e32 v28, v28, v31
	v_and_b32_e32 v37, v37, v30
	v_lshlrev_b32_e32 v31, 29, v36
	v_mov_b32_e32 v30, v29
	v_cmp_gt_i64_e32 vcc, 0, v[30:31]
	v_not_b32_e32 v30, v31
	v_ashrrev_i32_e32 v30, 31, v30
	v_xor_b32_e32 v31, vcc_hi, v30
	v_xor_b32_e32 v30, vcc_lo, v30
	v_and_b32_e32 v28, v28, v31
	v_and_b32_e32 v37, v37, v30
	v_lshlrev_b32_e32 v31, 28, v36
	v_mov_b32_e32 v30, v29
	v_cmp_gt_i64_e32 vcc, 0, v[30:31]
	v_not_b32_e32 v30, v31
	v_ashrrev_i32_e32 v30, 31, v30
	;; [unrolled: 9-line block ×5, first 2 shown]
	v_xor_b32_e32 v31, vcc_hi, v30
	v_xor_b32_e32 v30, vcc_lo, v30
	v_and_b32_e32 v28, v28, v31
	v_lshlrev_b32_e32 v31, 24, v36
	v_and_b32_e32 v37, v37, v30
	v_mov_b32_e32 v30, v29
	v_not_b32_e32 v29, v31
	v_cmp_gt_i64_e32 vcc, 0, v[30:31]
	v_ashrrev_i32_e32 v29, 31, v29
	ds_read_b32 v34, v39 offset:32
	v_xor_b32_e32 v30, vcc_hi, v29
	v_xor_b32_e32 v31, vcc_lo, v29
	v_and_b32_e32 v29, v28, v30
	v_and_b32_e32 v28, v37, v31
	v_mbcnt_lo_u32_b32 v30, v28, 0
	v_mbcnt_hi_u32_b32 v36, v29, v30
	v_cmp_eq_u32_e32 vcc, 0, v36
	v_cmp_ne_u64_e64 s[4:5], 0, v[28:29]
	s_and_b64 s[6:7], s[4:5], vcc
	; wave barrier
	s_and_saveexec_b64 s[4:5], s[6:7]
	s_cbranch_execz .LBB902_29
; %bb.28:
	v_bcnt_u32_b32 v28, v28, 0
	v_bcnt_u32_b32 v28, v29, v28
	s_waitcnt lgkmcnt(0)
	v_add_u32_e32 v28, v34, v28
	ds_write_b32 v39, v28 offset:32
.LBB902_29:
	s_or_b64 exec, exec, s[4:5]
	v_lshrrev_b64 v[28:29], s20, v[10:11]
	v_and_b32_e32 v40, s23, v28
	v_lshl_add_u32 v28, v40, 3, v40
	v_add_lshl_u32 v42, v45, v28, 2
	v_and_b32_e32 v28, 1, v40
	v_mov_b32_e32 v29, 0
	v_lshl_add_u64 v[30:31], v[28:29], 0, -1
	v_cmp_ne_u32_e32 vcc, 0, v28
	; wave barrier
	s_nop 1
	v_xor_b32_e32 v30, vcc_lo, v30
	v_xor_b32_e32 v28, vcc_hi, v31
	v_and_b32_e32 v41, exec_lo, v30
	v_lshlrev_b32_e32 v31, 30, v40
	v_mov_b32_e32 v30, v29
	v_cmp_gt_i64_e32 vcc, 0, v[30:31]
	v_not_b32_e32 v30, v31
	v_ashrrev_i32_e32 v30, 31, v30
	v_and_b32_e32 v28, exec_hi, v28
	v_xor_b32_e32 v31, vcc_hi, v30
	v_xor_b32_e32 v30, vcc_lo, v30
	v_and_b32_e32 v28, v28, v31
	v_and_b32_e32 v41, v41, v30
	v_lshlrev_b32_e32 v31, 29, v40
	v_mov_b32_e32 v30, v29
	v_cmp_gt_i64_e32 vcc, 0, v[30:31]
	v_not_b32_e32 v30, v31
	v_ashrrev_i32_e32 v30, 31, v30
	v_xor_b32_e32 v31, vcc_hi, v30
	v_xor_b32_e32 v30, vcc_lo, v30
	v_and_b32_e32 v28, v28, v31
	v_and_b32_e32 v41, v41, v30
	v_lshlrev_b32_e32 v31, 28, v40
	v_mov_b32_e32 v30, v29
	v_cmp_gt_i64_e32 vcc, 0, v[30:31]
	v_not_b32_e32 v30, v31
	v_ashrrev_i32_e32 v30, 31, v30
	;; [unrolled: 9-line block ×6, first 2 shown]
	v_xor_b32_e32 v31, vcc_hi, v30
	v_xor_b32_e32 v30, vcc_lo, v30
	ds_read_b32 v37, v42 offset:32
	v_and_b32_e32 v30, v41, v30
	v_and_b32_e32 v31, v28, v31
	v_mbcnt_lo_u32_b32 v28, v30, 0
	v_mbcnt_hi_u32_b32 v40, v31, v28
	v_cmp_eq_u32_e32 vcc, 0, v40
	v_cmp_ne_u64_e64 s[4:5], 0, v[30:31]
	s_and_b64 s[6:7], s[4:5], vcc
	; wave barrier
	s_and_saveexec_b64 s[4:5], s[6:7]
	s_cbranch_execz .LBB902_31
; %bb.30:
	v_bcnt_u32_b32 v28, v30, 0
	v_bcnt_u32_b32 v28, v31, v28
	s_waitcnt lgkmcnt(0)
	v_add_u32_e32 v28, v37, v28
	ds_write_b32 v42, v28 offset:32
.LBB902_31:
	s_or_b64 exec, exec, s[4:5]
	v_lshrrev_b64 v[30:31], s20, v[8:9]
	v_and_b32_e32 v43, s23, v30
	v_lshl_add_u32 v28, v43, 3, v43
	v_add_lshl_u32 v46, v45, v28, 2
	v_and_b32_e32 v28, 1, v43
	v_lshl_add_u64 v[30:31], v[28:29], 0, -1
	v_cmp_ne_u32_e32 vcc, 0, v28
	; wave barrier
	s_nop 1
	v_xor_b32_e32 v30, vcc_lo, v30
	v_xor_b32_e32 v28, vcc_hi, v31
	v_and_b32_e32 v44, exec_lo, v30
	v_lshlrev_b32_e32 v31, 30, v43
	v_mov_b32_e32 v30, v29
	v_cmp_gt_i64_e32 vcc, 0, v[30:31]
	v_not_b32_e32 v30, v31
	v_ashrrev_i32_e32 v30, 31, v30
	v_and_b32_e32 v28, exec_hi, v28
	v_xor_b32_e32 v31, vcc_hi, v30
	v_xor_b32_e32 v30, vcc_lo, v30
	v_and_b32_e32 v28, v28, v31
	v_and_b32_e32 v44, v44, v30
	v_lshlrev_b32_e32 v31, 29, v43
	v_mov_b32_e32 v30, v29
	v_cmp_gt_i64_e32 vcc, 0, v[30:31]
	v_not_b32_e32 v30, v31
	v_ashrrev_i32_e32 v30, 31, v30
	v_xor_b32_e32 v31, vcc_hi, v30
	v_xor_b32_e32 v30, vcc_lo, v30
	v_and_b32_e32 v28, v28, v31
	v_and_b32_e32 v44, v44, v30
	v_lshlrev_b32_e32 v31, 28, v43
	v_mov_b32_e32 v30, v29
	v_cmp_gt_i64_e32 vcc, 0, v[30:31]
	v_not_b32_e32 v30, v31
	v_ashrrev_i32_e32 v30, 31, v30
	;; [unrolled: 9-line block ×5, first 2 shown]
	v_xor_b32_e32 v31, vcc_hi, v30
	v_xor_b32_e32 v30, vcc_lo, v30
	v_and_b32_e32 v28, v28, v31
	v_lshlrev_b32_e32 v31, 24, v43
	v_and_b32_e32 v44, v44, v30
	v_mov_b32_e32 v30, v29
	v_not_b32_e32 v29, v31
	v_cmp_gt_i64_e32 vcc, 0, v[30:31]
	v_ashrrev_i32_e32 v29, 31, v29
	ds_read_b32 v41, v46 offset:32
	v_xor_b32_e32 v30, vcc_hi, v29
	v_xor_b32_e32 v31, vcc_lo, v29
	v_and_b32_e32 v29, v28, v30
	v_and_b32_e32 v28, v44, v31
	v_mbcnt_lo_u32_b32 v30, v28, 0
	v_mbcnt_hi_u32_b32 v43, v29, v30
	v_cmp_eq_u32_e32 vcc, 0, v43
	v_cmp_ne_u64_e64 s[4:5], 0, v[28:29]
	s_and_b64 s[6:7], s[4:5], vcc
	; wave barrier
	s_and_saveexec_b64 s[4:5], s[6:7]
	s_cbranch_execz .LBB902_33
; %bb.32:
	v_bcnt_u32_b32 v28, v28, 0
	v_bcnt_u32_b32 v28, v29, v28
	s_waitcnt lgkmcnt(0)
	v_add_u32_e32 v28, v41, v28
	ds_write_b32 v46, v28 offset:32
.LBB902_33:
	s_or_b64 exec, exec, s[4:5]
	v_lshrrev_b64 v[28:29], s20, v[14:15]
	v_and_b32_e32 v47, s23, v28
	v_lshl_add_u32 v28, v47, 3, v47
	v_add_lshl_u32 v49, v45, v28, 2
	v_and_b32_e32 v28, 1, v47
	v_mov_b32_e32 v29, 0
	v_lshl_add_u64 v[30:31], v[28:29], 0, -1
	v_cmp_ne_u32_e32 vcc, 0, v28
	; wave barrier
	s_nop 1
	v_xor_b32_e32 v30, vcc_lo, v30
	v_xor_b32_e32 v28, vcc_hi, v31
	v_and_b32_e32 v48, exec_lo, v30
	v_lshlrev_b32_e32 v31, 30, v47
	v_mov_b32_e32 v30, v29
	v_cmp_gt_i64_e32 vcc, 0, v[30:31]
	v_not_b32_e32 v30, v31
	v_ashrrev_i32_e32 v30, 31, v30
	v_and_b32_e32 v28, exec_hi, v28
	v_xor_b32_e32 v31, vcc_hi, v30
	v_xor_b32_e32 v30, vcc_lo, v30
	v_and_b32_e32 v28, v28, v31
	v_and_b32_e32 v48, v48, v30
	v_lshlrev_b32_e32 v31, 29, v47
	v_mov_b32_e32 v30, v29
	v_cmp_gt_i64_e32 vcc, 0, v[30:31]
	v_not_b32_e32 v30, v31
	v_ashrrev_i32_e32 v30, 31, v30
	v_xor_b32_e32 v31, vcc_hi, v30
	v_xor_b32_e32 v30, vcc_lo, v30
	v_and_b32_e32 v28, v28, v31
	v_and_b32_e32 v48, v48, v30
	v_lshlrev_b32_e32 v31, 28, v47
	v_mov_b32_e32 v30, v29
	v_cmp_gt_i64_e32 vcc, 0, v[30:31]
	v_not_b32_e32 v30, v31
	v_ashrrev_i32_e32 v30, 31, v30
	;; [unrolled: 9-line block ×6, first 2 shown]
	v_xor_b32_e32 v31, vcc_hi, v30
	v_xor_b32_e32 v30, vcc_lo, v30
	ds_read_b32 v44, v49 offset:32
	v_and_b32_e32 v30, v48, v30
	v_and_b32_e32 v31, v28, v31
	v_mbcnt_lo_u32_b32 v28, v30, 0
	v_mbcnt_hi_u32_b32 v47, v31, v28
	v_cmp_eq_u32_e32 vcc, 0, v47
	v_cmp_ne_u64_e64 s[4:5], 0, v[30:31]
	s_and_b64 s[6:7], s[4:5], vcc
	; wave barrier
	s_and_saveexec_b64 s[4:5], s[6:7]
	s_cbranch_execz .LBB902_35
; %bb.34:
	v_bcnt_u32_b32 v28, v30, 0
	v_bcnt_u32_b32 v28, v31, v28
	s_waitcnt lgkmcnt(0)
	v_add_u32_e32 v28, v44, v28
	ds_write_b32 v49, v28 offset:32
.LBB902_35:
	s_or_b64 exec, exec, s[4:5]
	v_lshrrev_b64 v[30:31], s20, v[12:13]
	v_and_b32_e32 v50, s23, v30
	v_lshl_add_u32 v28, v50, 3, v50
	v_add_lshl_u32 v52, v45, v28, 2
	v_and_b32_e32 v28, 1, v50
	v_lshl_add_u64 v[30:31], v[28:29], 0, -1
	v_cmp_ne_u32_e32 vcc, 0, v28
	; wave barrier
	s_nop 1
	v_xor_b32_e32 v30, vcc_lo, v30
	v_xor_b32_e32 v28, vcc_hi, v31
	v_and_b32_e32 v51, exec_lo, v30
	v_lshlrev_b32_e32 v31, 30, v50
	v_mov_b32_e32 v30, v29
	v_cmp_gt_i64_e32 vcc, 0, v[30:31]
	v_not_b32_e32 v30, v31
	v_ashrrev_i32_e32 v30, 31, v30
	v_and_b32_e32 v28, exec_hi, v28
	v_xor_b32_e32 v31, vcc_hi, v30
	v_xor_b32_e32 v30, vcc_lo, v30
	v_and_b32_e32 v28, v28, v31
	v_and_b32_e32 v51, v51, v30
	v_lshlrev_b32_e32 v31, 29, v50
	v_mov_b32_e32 v30, v29
	v_cmp_gt_i64_e32 vcc, 0, v[30:31]
	v_not_b32_e32 v30, v31
	v_ashrrev_i32_e32 v30, 31, v30
	v_xor_b32_e32 v31, vcc_hi, v30
	v_xor_b32_e32 v30, vcc_lo, v30
	v_and_b32_e32 v28, v28, v31
	v_and_b32_e32 v51, v51, v30
	v_lshlrev_b32_e32 v31, 28, v50
	v_mov_b32_e32 v30, v29
	v_cmp_gt_i64_e32 vcc, 0, v[30:31]
	v_not_b32_e32 v30, v31
	v_ashrrev_i32_e32 v30, 31, v30
	;; [unrolled: 9-line block ×5, first 2 shown]
	v_xor_b32_e32 v31, vcc_hi, v30
	v_xor_b32_e32 v30, vcc_lo, v30
	v_and_b32_e32 v28, v28, v31
	v_lshlrev_b32_e32 v31, 24, v50
	v_and_b32_e32 v51, v51, v30
	v_mov_b32_e32 v30, v29
	v_not_b32_e32 v29, v31
	v_cmp_gt_i64_e32 vcc, 0, v[30:31]
	v_ashrrev_i32_e32 v29, 31, v29
	ds_read_b32 v48, v52 offset:32
	v_xor_b32_e32 v30, vcc_hi, v29
	v_xor_b32_e32 v31, vcc_lo, v29
	v_and_b32_e32 v29, v28, v30
	v_and_b32_e32 v28, v51, v31
	v_mbcnt_lo_u32_b32 v30, v28, 0
	v_mbcnt_hi_u32_b32 v50, v29, v30
	v_cmp_eq_u32_e32 vcc, 0, v50
	v_cmp_ne_u64_e64 s[4:5], 0, v[28:29]
	s_and_b64 s[6:7], s[4:5], vcc
	; wave barrier
	s_and_saveexec_b64 s[4:5], s[6:7]
	s_cbranch_execz .LBB902_37
; %bb.36:
	v_bcnt_u32_b32 v28, v28, 0
	v_bcnt_u32_b32 v28, v29, v28
	s_waitcnt lgkmcnt(0)
	v_add_u32_e32 v28, v48, v28
	ds_write_b32 v52, v28 offset:32
.LBB902_37:
	s_or_b64 exec, exec, s[4:5]
	v_lshrrev_b64 v[28:29], s20, v[18:19]
	v_and_b32_e32 v53, s23, v28
	v_lshl_add_u32 v28, v53, 3, v53
	v_add_lshl_u32 v55, v45, v28, 2
	v_and_b32_e32 v28, 1, v53
	v_mov_b32_e32 v29, 0
	v_lshl_add_u64 v[30:31], v[28:29], 0, -1
	v_cmp_ne_u32_e32 vcc, 0, v28
	; wave barrier
	s_nop 1
	v_xor_b32_e32 v30, vcc_lo, v30
	v_xor_b32_e32 v28, vcc_hi, v31
	v_and_b32_e32 v54, exec_lo, v30
	v_lshlrev_b32_e32 v31, 30, v53
	v_mov_b32_e32 v30, v29
	v_cmp_gt_i64_e32 vcc, 0, v[30:31]
	v_not_b32_e32 v30, v31
	v_ashrrev_i32_e32 v30, 31, v30
	v_and_b32_e32 v28, exec_hi, v28
	v_xor_b32_e32 v31, vcc_hi, v30
	v_xor_b32_e32 v30, vcc_lo, v30
	v_and_b32_e32 v28, v28, v31
	v_and_b32_e32 v54, v54, v30
	v_lshlrev_b32_e32 v31, 29, v53
	v_mov_b32_e32 v30, v29
	v_cmp_gt_i64_e32 vcc, 0, v[30:31]
	v_not_b32_e32 v30, v31
	v_ashrrev_i32_e32 v30, 31, v30
	v_xor_b32_e32 v31, vcc_hi, v30
	v_xor_b32_e32 v30, vcc_lo, v30
	v_and_b32_e32 v28, v28, v31
	v_and_b32_e32 v54, v54, v30
	v_lshlrev_b32_e32 v31, 28, v53
	v_mov_b32_e32 v30, v29
	v_cmp_gt_i64_e32 vcc, 0, v[30:31]
	v_not_b32_e32 v30, v31
	v_ashrrev_i32_e32 v30, 31, v30
	v_xor_b32_e32 v31, vcc_hi, v30
	v_xor_b32_e32 v30, vcc_lo, v30
	v_and_b32_e32 v28, v28, v31
	v_and_b32_e32 v54, v54, v30
	v_lshlrev_b32_e32 v31, 27, v53
	v_mov_b32_e32 v30, v29
	v_cmp_gt_i64_e32 vcc, 0, v[30:31]
	v_not_b32_e32 v30, v31
	v_ashrrev_i32_e32 v30, 31, v30
	v_xor_b32_e32 v31, vcc_hi, v30
	v_xor_b32_e32 v30, vcc_lo, v30
	v_and_b32_e32 v28, v28, v31
	v_and_b32_e32 v54, v54, v30
	v_lshlrev_b32_e32 v31, 26, v53
	v_mov_b32_e32 v30, v29
	v_cmp_gt_i64_e32 vcc, 0, v[30:31]
	v_not_b32_e32 v30, v31
	v_ashrrev_i32_e32 v30, 31, v30
	v_xor_b32_e32 v31, vcc_hi, v30
	v_xor_b32_e32 v30, vcc_lo, v30
	v_and_b32_e32 v28, v28, v31
	v_and_b32_e32 v54, v54, v30
	v_lshlrev_b32_e32 v31, 25, v53
	v_mov_b32_e32 v30, v29
	v_cmp_gt_i64_e32 vcc, 0, v[30:31]
	v_not_b32_e32 v30, v31
	v_ashrrev_i32_e32 v30, 31, v30
	v_xor_b32_e32 v31, vcc_hi, v30
	v_xor_b32_e32 v30, vcc_lo, v30
	v_and_b32_e32 v28, v28, v31
	v_and_b32_e32 v54, v54, v30
	v_lshlrev_b32_e32 v31, 24, v53
	v_mov_b32_e32 v30, v29
	v_cmp_gt_i64_e32 vcc, 0, v[30:31]
	v_not_b32_e32 v30, v31
	v_ashrrev_i32_e32 v30, 31, v30
	v_xor_b32_e32 v31, vcc_hi, v30
	v_xor_b32_e32 v30, vcc_lo, v30
	ds_read_b32 v51, v55 offset:32
	v_and_b32_e32 v30, v54, v30
	v_and_b32_e32 v31, v28, v31
	v_mbcnt_lo_u32_b32 v28, v30, 0
	v_mbcnt_hi_u32_b32 v53, v31, v28
	v_cmp_eq_u32_e32 vcc, 0, v53
	v_cmp_ne_u64_e64 s[4:5], 0, v[30:31]
	s_and_b64 s[6:7], s[4:5], vcc
	; wave barrier
	s_and_saveexec_b64 s[4:5], s[6:7]
	s_cbranch_execz .LBB902_39
; %bb.38:
	v_bcnt_u32_b32 v28, v30, 0
	v_bcnt_u32_b32 v28, v31, v28
	s_waitcnt lgkmcnt(0)
	v_add_u32_e32 v28, v51, v28
	ds_write_b32 v55, v28 offset:32
.LBB902_39:
	s_or_b64 exec, exec, s[4:5]
	v_lshrrev_b64 v[30:31], s20, v[16:17]
	v_and_b32_e32 v56, s23, v30
	v_lshl_add_u32 v28, v56, 3, v56
	v_add_lshl_u32 v58, v45, v28, 2
	v_and_b32_e32 v28, 1, v56
	v_lshl_add_u64 v[30:31], v[28:29], 0, -1
	v_cmp_ne_u32_e32 vcc, 0, v28
	; wave barrier
	s_nop 1
	v_xor_b32_e32 v30, vcc_lo, v30
	v_xor_b32_e32 v28, vcc_hi, v31
	v_and_b32_e32 v57, exec_lo, v30
	v_lshlrev_b32_e32 v31, 30, v56
	v_mov_b32_e32 v30, v29
	v_cmp_gt_i64_e32 vcc, 0, v[30:31]
	v_not_b32_e32 v30, v31
	v_ashrrev_i32_e32 v30, 31, v30
	v_and_b32_e32 v28, exec_hi, v28
	v_xor_b32_e32 v31, vcc_hi, v30
	v_xor_b32_e32 v30, vcc_lo, v30
	v_and_b32_e32 v28, v28, v31
	v_and_b32_e32 v57, v57, v30
	v_lshlrev_b32_e32 v31, 29, v56
	v_mov_b32_e32 v30, v29
	v_cmp_gt_i64_e32 vcc, 0, v[30:31]
	v_not_b32_e32 v30, v31
	v_ashrrev_i32_e32 v30, 31, v30
	v_xor_b32_e32 v31, vcc_hi, v30
	v_xor_b32_e32 v30, vcc_lo, v30
	v_and_b32_e32 v28, v28, v31
	v_and_b32_e32 v57, v57, v30
	v_lshlrev_b32_e32 v31, 28, v56
	v_mov_b32_e32 v30, v29
	v_cmp_gt_i64_e32 vcc, 0, v[30:31]
	v_not_b32_e32 v30, v31
	v_ashrrev_i32_e32 v30, 31, v30
	;; [unrolled: 9-line block ×5, first 2 shown]
	v_xor_b32_e32 v31, vcc_hi, v30
	v_xor_b32_e32 v30, vcc_lo, v30
	v_and_b32_e32 v28, v28, v31
	v_lshlrev_b32_e32 v31, 24, v56
	v_and_b32_e32 v57, v57, v30
	v_mov_b32_e32 v30, v29
	v_not_b32_e32 v29, v31
	v_cmp_gt_i64_e32 vcc, 0, v[30:31]
	v_ashrrev_i32_e32 v29, 31, v29
	ds_read_b32 v54, v58 offset:32
	v_xor_b32_e32 v30, vcc_hi, v29
	v_xor_b32_e32 v31, vcc_lo, v29
	v_and_b32_e32 v29, v28, v30
	v_and_b32_e32 v28, v57, v31
	v_mbcnt_lo_u32_b32 v30, v28, 0
	v_mbcnt_hi_u32_b32 v56, v29, v30
	v_cmp_eq_u32_e32 vcc, 0, v56
	v_cmp_ne_u64_e64 s[4:5], 0, v[28:29]
	s_and_b64 s[6:7], s[4:5], vcc
	; wave barrier
	s_and_saveexec_b64 s[4:5], s[6:7]
	s_cbranch_execz .LBB902_41
; %bb.40:
	v_bcnt_u32_b32 v28, v28, 0
	v_bcnt_u32_b32 v28, v29, v28
	s_waitcnt lgkmcnt(0)
	v_add_u32_e32 v28, v54, v28
	ds_write_b32 v58, v28 offset:32
.LBB902_41:
	s_or_b64 exec, exec, s[4:5]
	v_lshrrev_b64 v[28:29], s20, v[22:23]
	v_and_b32_e32 v59, s23, v28
	v_lshl_add_u32 v28, v59, 3, v59
	v_add_lshl_u32 v61, v45, v28, 2
	v_and_b32_e32 v28, 1, v59
	v_mov_b32_e32 v29, 0
	v_lshl_add_u64 v[30:31], v[28:29], 0, -1
	v_cmp_ne_u32_e32 vcc, 0, v28
	; wave barrier
	s_nop 1
	v_xor_b32_e32 v30, vcc_lo, v30
	v_xor_b32_e32 v28, vcc_hi, v31
	v_and_b32_e32 v60, exec_lo, v30
	v_lshlrev_b32_e32 v31, 30, v59
	v_mov_b32_e32 v30, v29
	v_cmp_gt_i64_e32 vcc, 0, v[30:31]
	v_not_b32_e32 v30, v31
	v_ashrrev_i32_e32 v30, 31, v30
	v_and_b32_e32 v28, exec_hi, v28
	v_xor_b32_e32 v31, vcc_hi, v30
	v_xor_b32_e32 v30, vcc_lo, v30
	v_and_b32_e32 v28, v28, v31
	v_and_b32_e32 v60, v60, v30
	v_lshlrev_b32_e32 v31, 29, v59
	v_mov_b32_e32 v30, v29
	v_cmp_gt_i64_e32 vcc, 0, v[30:31]
	v_not_b32_e32 v30, v31
	v_ashrrev_i32_e32 v30, 31, v30
	v_xor_b32_e32 v31, vcc_hi, v30
	v_xor_b32_e32 v30, vcc_lo, v30
	v_and_b32_e32 v28, v28, v31
	v_and_b32_e32 v60, v60, v30
	v_lshlrev_b32_e32 v31, 28, v59
	v_mov_b32_e32 v30, v29
	v_cmp_gt_i64_e32 vcc, 0, v[30:31]
	v_not_b32_e32 v30, v31
	v_ashrrev_i32_e32 v30, 31, v30
	;; [unrolled: 9-line block ×6, first 2 shown]
	v_xor_b32_e32 v31, vcc_hi, v30
	v_xor_b32_e32 v30, vcc_lo, v30
	ds_read_b32 v57, v61 offset:32
	v_and_b32_e32 v30, v60, v30
	v_and_b32_e32 v31, v28, v31
	v_mbcnt_lo_u32_b32 v28, v30, 0
	v_mbcnt_hi_u32_b32 v59, v31, v28
	v_cmp_eq_u32_e32 vcc, 0, v59
	v_cmp_ne_u64_e64 s[4:5], 0, v[30:31]
	s_and_b64 s[6:7], s[4:5], vcc
	; wave barrier
	s_and_saveexec_b64 s[4:5], s[6:7]
	s_cbranch_execz .LBB902_43
; %bb.42:
	v_bcnt_u32_b32 v28, v30, 0
	v_bcnt_u32_b32 v28, v31, v28
	s_waitcnt lgkmcnt(0)
	v_add_u32_e32 v28, v57, v28
	ds_write_b32 v61, v28 offset:32
.LBB902_43:
	s_or_b64 exec, exec, s[4:5]
	v_lshrrev_b64 v[30:31], s20, v[20:21]
	v_and_b32_e32 v62, s23, v30
	v_lshl_add_u32 v28, v62, 3, v62
	v_add_lshl_u32 v64, v45, v28, 2
	v_and_b32_e32 v28, 1, v62
	v_lshl_add_u64 v[30:31], v[28:29], 0, -1
	v_cmp_ne_u32_e32 vcc, 0, v28
	; wave barrier
	s_nop 1
	v_xor_b32_e32 v30, vcc_lo, v30
	v_xor_b32_e32 v28, vcc_hi, v31
	v_and_b32_e32 v63, exec_lo, v30
	v_lshlrev_b32_e32 v31, 30, v62
	v_mov_b32_e32 v30, v29
	v_cmp_gt_i64_e32 vcc, 0, v[30:31]
	v_not_b32_e32 v30, v31
	v_ashrrev_i32_e32 v30, 31, v30
	v_and_b32_e32 v28, exec_hi, v28
	v_xor_b32_e32 v31, vcc_hi, v30
	v_xor_b32_e32 v30, vcc_lo, v30
	v_and_b32_e32 v28, v28, v31
	v_and_b32_e32 v63, v63, v30
	v_lshlrev_b32_e32 v31, 29, v62
	v_mov_b32_e32 v30, v29
	v_cmp_gt_i64_e32 vcc, 0, v[30:31]
	v_not_b32_e32 v30, v31
	v_ashrrev_i32_e32 v30, 31, v30
	v_xor_b32_e32 v31, vcc_hi, v30
	v_xor_b32_e32 v30, vcc_lo, v30
	v_and_b32_e32 v28, v28, v31
	v_and_b32_e32 v63, v63, v30
	v_lshlrev_b32_e32 v31, 28, v62
	v_mov_b32_e32 v30, v29
	v_cmp_gt_i64_e32 vcc, 0, v[30:31]
	v_not_b32_e32 v30, v31
	v_ashrrev_i32_e32 v30, 31, v30
	;; [unrolled: 9-line block ×5, first 2 shown]
	v_xor_b32_e32 v31, vcc_hi, v30
	v_xor_b32_e32 v30, vcc_lo, v30
	v_and_b32_e32 v28, v28, v31
	v_lshlrev_b32_e32 v31, 24, v62
	v_and_b32_e32 v63, v63, v30
	v_mov_b32_e32 v30, v29
	v_not_b32_e32 v29, v31
	v_cmp_gt_i64_e32 vcc, 0, v[30:31]
	v_ashrrev_i32_e32 v29, 31, v29
	ds_read_b32 v60, v64 offset:32
	v_xor_b32_e32 v30, vcc_hi, v29
	v_xor_b32_e32 v31, vcc_lo, v29
	v_and_b32_e32 v29, v28, v30
	v_and_b32_e32 v28, v63, v31
	v_mbcnt_lo_u32_b32 v30, v28, 0
	v_mbcnt_hi_u32_b32 v62, v29, v30
	v_cmp_eq_u32_e32 vcc, 0, v62
	v_cmp_ne_u64_e64 s[4:5], 0, v[28:29]
	s_and_b64 s[6:7], s[4:5], vcc
	; wave barrier
	s_and_saveexec_b64 s[4:5], s[6:7]
	s_cbranch_execz .LBB902_45
; %bb.44:
	v_bcnt_u32_b32 v28, v28, 0
	v_bcnt_u32_b32 v28, v29, v28
	s_waitcnt lgkmcnt(0)
	v_add_u32_e32 v28, v60, v28
	ds_write_b32 v64, v28 offset:32
.LBB902_45:
	s_or_b64 exec, exec, s[4:5]
	v_lshrrev_b64 v[28:29], s20, v[26:27]
	v_and_b32_e32 v65, s23, v28
	v_lshl_add_u32 v28, v65, 3, v65
	v_add_lshl_u32 v66, v45, v28, 2
	v_and_b32_e32 v28, 1, v65
	v_mov_b32_e32 v29, 0
	v_lshl_add_u64 v[30:31], v[28:29], 0, -1
	v_cmp_ne_u32_e32 vcc, 0, v28
	; wave barrier
	s_nop 1
	v_xor_b32_e32 v30, vcc_lo, v30
	v_xor_b32_e32 v28, vcc_hi, v31
	v_and_b32_e32 v67, exec_lo, v30
	v_lshlrev_b32_e32 v31, 30, v65
	v_mov_b32_e32 v30, v29
	v_cmp_gt_i64_e32 vcc, 0, v[30:31]
	v_not_b32_e32 v30, v31
	v_ashrrev_i32_e32 v30, 31, v30
	v_and_b32_e32 v28, exec_hi, v28
	v_xor_b32_e32 v31, vcc_hi, v30
	v_xor_b32_e32 v30, vcc_lo, v30
	v_and_b32_e32 v28, v28, v31
	v_and_b32_e32 v67, v67, v30
	v_lshlrev_b32_e32 v31, 29, v65
	v_mov_b32_e32 v30, v29
	v_cmp_gt_i64_e32 vcc, 0, v[30:31]
	v_not_b32_e32 v30, v31
	v_ashrrev_i32_e32 v30, 31, v30
	v_xor_b32_e32 v31, vcc_hi, v30
	v_xor_b32_e32 v30, vcc_lo, v30
	v_and_b32_e32 v28, v28, v31
	v_and_b32_e32 v67, v67, v30
	v_lshlrev_b32_e32 v31, 28, v65
	v_mov_b32_e32 v30, v29
	v_cmp_gt_i64_e32 vcc, 0, v[30:31]
	v_not_b32_e32 v30, v31
	v_ashrrev_i32_e32 v30, 31, v30
	;; [unrolled: 9-line block ×6, first 2 shown]
	v_xor_b32_e32 v31, vcc_hi, v30
	v_xor_b32_e32 v30, vcc_lo, v30
	ds_read_b32 v63, v66 offset:32
	v_and_b32_e32 v30, v67, v30
	v_and_b32_e32 v31, v28, v31
	v_mbcnt_lo_u32_b32 v28, v30, 0
	v_mbcnt_hi_u32_b32 v65, v31, v28
	v_cmp_eq_u32_e32 vcc, 0, v65
	v_cmp_ne_u64_e64 s[4:5], 0, v[30:31]
	s_and_b64 s[6:7], s[4:5], vcc
	; wave barrier
	s_and_saveexec_b64 s[4:5], s[6:7]
	s_cbranch_execz .LBB902_47
; %bb.46:
	v_bcnt_u32_b32 v28, v30, 0
	v_bcnt_u32_b32 v28, v31, v28
	s_waitcnt lgkmcnt(0)
	v_add_u32_e32 v28, v63, v28
	ds_write_b32 v66, v28 offset:32
.LBB902_47:
	s_or_b64 exec, exec, s[4:5]
	v_lshrrev_b64 v[30:31], s20, v[24:25]
	v_and_b32_e32 v67, s23, v30
	v_lshl_add_u32 v28, v67, 3, v67
	v_add_lshl_u32 v68, v45, v28, 2
	v_and_b32_e32 v28, 1, v67
	v_lshl_add_u64 v[30:31], v[28:29], 0, -1
	v_cmp_ne_u32_e32 vcc, 0, v28
	; wave barrier
	s_nop 1
	v_xor_b32_e32 v30, vcc_lo, v30
	v_xor_b32_e32 v28, vcc_hi, v31
	v_and_b32_e32 v70, exec_lo, v30
	v_lshlrev_b32_e32 v31, 30, v67
	v_mov_b32_e32 v30, v29
	v_cmp_gt_i64_e32 vcc, 0, v[30:31]
	v_not_b32_e32 v30, v31
	v_ashrrev_i32_e32 v30, 31, v30
	v_and_b32_e32 v28, exec_hi, v28
	v_xor_b32_e32 v31, vcc_hi, v30
	v_xor_b32_e32 v30, vcc_lo, v30
	v_and_b32_e32 v28, v28, v31
	v_and_b32_e32 v70, v70, v30
	v_lshlrev_b32_e32 v31, 29, v67
	v_mov_b32_e32 v30, v29
	v_cmp_gt_i64_e32 vcc, 0, v[30:31]
	v_not_b32_e32 v30, v31
	v_ashrrev_i32_e32 v30, 31, v30
	v_xor_b32_e32 v31, vcc_hi, v30
	v_xor_b32_e32 v30, vcc_lo, v30
	v_and_b32_e32 v28, v28, v31
	v_and_b32_e32 v70, v70, v30
	v_lshlrev_b32_e32 v31, 28, v67
	v_mov_b32_e32 v30, v29
	v_cmp_gt_i64_e32 vcc, 0, v[30:31]
	v_not_b32_e32 v30, v31
	v_ashrrev_i32_e32 v30, 31, v30
	;; [unrolled: 9-line block ×5, first 2 shown]
	v_xor_b32_e32 v31, vcc_hi, v30
	v_xor_b32_e32 v30, vcc_lo, v30
	v_and_b32_e32 v28, v28, v31
	v_lshlrev_b32_e32 v31, 24, v67
	v_and_b32_e32 v70, v70, v30
	v_mov_b32_e32 v30, v29
	v_not_b32_e32 v29, v31
	v_cmp_gt_i64_e32 vcc, 0, v[30:31]
	v_ashrrev_i32_e32 v29, 31, v29
	ds_read_b32 v45, v68 offset:32
	v_xor_b32_e32 v30, vcc_hi, v29
	v_xor_b32_e32 v31, vcc_lo, v29
	v_and_b32_e32 v29, v28, v30
	v_and_b32_e32 v28, v70, v31
	v_mbcnt_lo_u32_b32 v30, v28, 0
	v_mbcnt_hi_u32_b32 v67, v29, v30
	v_cmp_eq_u32_e32 vcc, 0, v67
	v_cmp_ne_u64_e64 s[4:5], 0, v[28:29]
	v_add_u32_e32 v69, 32, v33
	s_and_b64 s[6:7], s[4:5], vcc
	; wave barrier
	s_and_saveexec_b64 s[4:5], s[6:7]
	s_cbranch_execz .LBB902_49
; %bb.48:
	v_bcnt_u32_b32 v28, v28, 0
	v_bcnt_u32_b32 v28, v29, v28
	s_waitcnt lgkmcnt(0)
	v_add_u32_e32 v28, v45, v28
	ds_write_b32 v68, v28 offset:32
.LBB902_49:
	s_or_b64 exec, exec, s[4:5]
	; wave barrier
	s_waitcnt lgkmcnt(0)
	s_barrier
	ds_read2_b32 v[30:31], v33 offset0:8 offset1:9
	ds_read2_b32 v[28:29], v69 offset0:2 offset1:3
	ds_read_b32 v70, v69 offset:16
	v_min_u32_e32 v32, 0x1c0, v32
	v_or_b32_e32 v32, 63, v32
	s_waitcnt lgkmcnt(1)
	v_add3_u32 v71, v31, v30, v28
	s_waitcnt lgkmcnt(0)
	v_add3_u32 v70, v71, v29, v70
	v_and_b32_e32 v71, 15, v3
	v_cmp_ne_u32_e32 vcc, 0, v71
	v_mov_b32_dpp v72, v70 row_shr:1 row_mask:0xf bank_mask:0xf
	s_nop 0
	v_cndmask_b32_e32 v72, 0, v72, vcc
	v_add_u32_e32 v70, v72, v70
	v_cmp_lt_u32_e32 vcc, 1, v71
	s_nop 0
	v_mov_b32_dpp v72, v70 row_shr:2 row_mask:0xf bank_mask:0xf
	v_cndmask_b32_e32 v72, 0, v72, vcc
	v_add_u32_e32 v70, v70, v72
	v_cmp_lt_u32_e32 vcc, 3, v71
	s_nop 0
	v_mov_b32_dpp v72, v70 row_shr:4 row_mask:0xf bank_mask:0xf
	;; [unrolled: 5-line block ×3, first 2 shown]
	v_cndmask_b32_e32 v71, 0, v72, vcc
	v_add_u32_e32 v70, v70, v71
	v_bfe_i32 v72, v3, 4, 1
	v_cmp_lt_u32_e32 vcc, 31, v3
	v_mov_b32_dpp v71, v70 row_bcast:15 row_mask:0xf bank_mask:0xf
	v_and_b32_e32 v71, v72, v71
	v_add_u32_e32 v70, v70, v71
	v_lshrrev_b32_e32 v72, 6, v2
	s_nop 0
	v_mov_b32_dpp v71, v70 row_bcast:31 row_mask:0xf bank_mask:0xf
	v_cndmask_b32_e32 v71, 0, v71, vcc
	v_add_u32_e32 v71, v70, v71
	v_cmp_eq_u32_e32 vcc, v32, v2
	s_and_saveexec_b64 s[4:5], vcc
	s_cbranch_execz .LBB902_51
; %bb.50:
	v_lshlrev_b32_e32 v32, 2, v72
	ds_write_b32 v32, v71
.LBB902_51:
	s_or_b64 exec, exec, s[4:5]
	v_cmp_gt_u32_e32 vcc, 8, v2
	v_lshlrev_b32_e32 v70, 2, v2
	s_waitcnt lgkmcnt(0)
	s_barrier
	s_and_saveexec_b64 s[4:5], vcc
	s_cbranch_execz .LBB902_53
; %bb.52:
	ds_read_b32 v32, v70
	v_and_b32_e32 v73, 7, v3
	v_cmp_ne_u32_e32 vcc, 0, v73
	s_waitcnt lgkmcnt(0)
	v_mov_b32_dpp v74, v32 row_shr:1 row_mask:0xf bank_mask:0xf
	v_cndmask_b32_e32 v74, 0, v74, vcc
	v_add_u32_e32 v32, v74, v32
	v_cmp_lt_u32_e32 vcc, 1, v73
	s_nop 0
	v_mov_b32_dpp v74, v32 row_shr:2 row_mask:0xf bank_mask:0xf
	v_cndmask_b32_e32 v74, 0, v74, vcc
	v_add_u32_e32 v32, v32, v74
	v_cmp_lt_u32_e32 vcc, 3, v73
	s_nop 0
	v_mov_b32_dpp v74, v32 row_shr:4 row_mask:0xf bank_mask:0xf
	v_cndmask_b32_e32 v73, 0, v74, vcc
	v_add_u32_e32 v32, v32, v73
	ds_write_b32 v70, v32
.LBB902_53:
	s_or_b64 exec, exec, s[4:5]
	v_cmp_lt_u32_e32 vcc, 63, v2
	v_mov_b32_e32 v32, 0
	s_waitcnt lgkmcnt(0)
	s_barrier
	s_and_saveexec_b64 s[4:5], vcc
	s_cbranch_execz .LBB902_55
; %bb.54:
	v_lshl_add_u32 v32, v72, 2, -4
	ds_read_b32 v32, v32
.LBB902_55:
	s_or_b64 exec, exec, s[4:5]
	v_add_u32_e32 v72, -1, v3
	v_and_b32_e32 v73, 64, v3
	v_cmp_lt_i32_e32 vcc, v72, v73
	s_waitcnt lgkmcnt(0)
	v_add_u32_e32 v71, v32, v71
	s_movk_i32 s4, 0x100
	v_cndmask_b32_e32 v72, v72, v3, vcc
	v_lshlrev_b32_e32 v72, 2, v72
	ds_bpermute_b32 v71, v72, v71
	v_cmp_eq_u32_e32 vcc, 0, v3
	s_waitcnt lgkmcnt(0)
	s_nop 0
	v_cndmask_b32_e32 v3, v71, v32, vcc
	v_cmp_ne_u32_e32 vcc, 0, v2
	s_nop 1
	v_cndmask_b32_e32 v3, 0, v3, vcc
	v_add_u32_e32 v30, v3, v30
	v_add_u32_e32 v31, v30, v31
	;; [unrolled: 1-line block ×4, first 2 shown]
	ds_write2_b32 v33, v3, v30 offset0:8 offset1:9
	ds_write2_b32 v69, v31, v28 offset0:2 offset1:3
	ds_write_b32 v69, v29 offset:16
	s_waitcnt lgkmcnt(0)
	s_barrier
	ds_read_b32 v76, v38 offset:32
	ds_read_b32 v69, v39 offset:32
	;; [unrolled: 1-line block ×12, first 2 shown]
	v_cmp_gt_u32_e32 vcc, s4, v2
                                        ; implicit-def: $vgpr3
                                        ; implicit-def: $vgpr38
	s_and_saveexec_b64 s[6:7], vcc
	s_cbranch_execz .LBB902_59
; %bb.56:
	v_mul_u32_u24_e32 v3, 9, v2
	v_lshlrev_b32_e32 v29, 2, v3
	ds_read_b32 v3, v29 offset:32
	s_movk_i32 s4, 0xff
	v_cmp_ne_u32_e64 s[4:5], s4, v2
	v_mov_b32_e32 v28, 0x1800
	s_and_saveexec_b64 s[8:9], s[4:5]
	s_cbranch_execz .LBB902_58
; %bb.57:
	ds_read_b32 v28, v29 offset:68
.LBB902_58:
	s_or_b64 exec, exec, s[8:9]
	s_waitcnt lgkmcnt(0)
	v_sub_u32_e32 v38, v28, v3
.LBB902_59:
	s_or_b64 exec, exec, s[6:7]
	s_waitcnt lgkmcnt(0)
	s_barrier
	s_and_saveexec_b64 s[6:7], vcc
	s_cbranch_execz .LBB902_69
; %bb.60:
	v_lshl_or_b32 v30, s2, 8, v2
	v_mov_b32_e32 v31, 0
	v_lshl_add_u64 v[28:29], v[30:31], 2, s[28:29]
	v_or_b32_e32 v30, 2.0, v38
	s_mov_b64 s[8:9], 0
	s_brev_b32 s14, 1
	s_mov_b32 s15, s2
	v_mov_b32_e32 v49, 0
	global_store_dword v[28:29], v30, off sc1
                                        ; implicit-def: $sgpr4_sgpr5
	s_branch .LBB902_62
.LBB902_61:                             ;   in Loop: Header=BB902_62 Depth=1
	s_or_b64 exec, exec, s[10:11]
	v_and_b32_e32 v32, 0x3fffffff, v55
	v_add_u32_e32 v49, v32, v49
	v_cmp_eq_u32_e64 s[4:5], s14, v30
	s_and_b64 s[10:11], exec, s[4:5]
	s_or_b64 s[8:9], s[10:11], s[8:9]
	s_andn2_b64 exec, exec, s[8:9]
	s_cbranch_execz .LBB902_68
.LBB902_62:                             ; =>This Loop Header: Depth=1
                                        ;     Child Loop BB902_65 Depth 2
	s_or_b64 s[4:5], s[4:5], exec
	s_cmp_eq_u32 s15, 0
	s_cbranch_scc1 .LBB902_67
; %bb.63:                               ;   in Loop: Header=BB902_62 Depth=1
	s_add_i32 s15, s15, -1
	v_lshl_or_b32 v30, s15, 8, v2
	v_lshl_add_u64 v[32:33], v[30:31], 2, s[28:29]
	global_load_dword v55, v[32:33], off sc1
	s_waitcnt vmcnt(0)
	v_and_b32_e32 v30, -2.0, v55
	v_cmp_eq_u32_e64 s[4:5], 0, v30
	s_and_saveexec_b64 s[10:11], s[4:5]
	s_cbranch_execz .LBB902_61
; %bb.64:                               ;   in Loop: Header=BB902_62 Depth=1
	s_mov_b64 s[12:13], 0
.LBB902_65:                             ;   Parent Loop BB902_62 Depth=1
                                        ; =>  This Inner Loop Header: Depth=2
	global_load_dword v55, v[32:33], off sc1
	s_waitcnt vmcnt(0)
	v_and_b32_e32 v30, -2.0, v55
	v_cmp_ne_u32_e64 s[4:5], 0, v30
	s_or_b64 s[12:13], s[4:5], s[12:13]
	s_andn2_b64 exec, exec, s[12:13]
	s_cbranch_execnz .LBB902_65
; %bb.66:                               ;   in Loop: Header=BB902_62 Depth=1
	s_or_b64 exec, exec, s[12:13]
	s_branch .LBB902_61
.LBB902_67:                             ;   in Loop: Header=BB902_62 Depth=1
                                        ; implicit-def: $sgpr15
	s_and_b64 s[10:11], exec, s[4:5]
	s_or_b64 s[8:9], s[10:11], s[8:9]
	s_andn2_b64 exec, exec, s[8:9]
	s_cbranch_execnz .LBB902_62
.LBB902_68:
	s_or_b64 exec, exec, s[8:9]
	v_add_u32_e32 v30, v49, v38
	v_or_b32_e32 v30, 0x80000000, v30
	global_store_dword v[28:29], v30, off sc1
	global_load_dword v28, v70, s[16:17]
	v_sub_u32_e32 v29, v49, v3
	s_waitcnt vmcnt(0)
	v_add_u32_e32 v28, v29, v28
	ds_write_b32 v70, v28
.LBB902_69:
	s_or_b64 exec, exec, s[6:7]
	v_add_u32_e32 v30, v76, v35
	v_add3_u32 v28, v36, v34, v69
	v_add3_u32 v29, v40, v37, v71
	;; [unrolled: 1-line block ×11, first 2 shown]
	v_lshlrev_b32_e32 v31, 3, v2
	v_mov_b32_e32 v77, 0x400
	s_movk_i32 s8, 0x400
	v_add_u32_e32 v32, 0x400, v31
	v_lshl_add_u32 v33, v33, 3, v77
	v_add3_u32 v35, v67, v39, v45
	v_lshl_add_u32 v39, v76, 3, v77
	v_add3_u32 v42, v65, v42, v63
	;; [unrolled: 2-line block ×11, first 2 shown]
	v_lshl_add_u32 v36, v30, 3, v77
	s_mov_b32 s9, 0
	v_mov_b32_e32 v29, 0
	s_movk_i32 s10, 0x200
	v_mov_b32_e32 v57, v2
	s_mov_b32 s11, 0
	s_branch .LBB902_71
.LBB902_70:                             ;   in Loop: Header=BB902_71 Depth=1
	s_or_b64 exec, exec, s[6:7]
	s_addk_i32 s11, 0xe000
	s_addk_i32 s9, 0xfc00
	s_cmp_eq_u32 s11, 0xffff4000
	v_add_u32_e32 v57, 0x400, v57
	s_barrier
	s_cbranch_scc1 .LBB902_100
.LBB902_71:                             ; =>This Inner Loop Header: Depth=1
	v_add_u32_e32 v28, s9, v30
	v_cmp_gt_u32_e64 s[4:5], s8, v28
	s_and_saveexec_b64 s[6:7], s[4:5]
	s_cbranch_execz .LBB902_73
; %bb.72:                               ;   in Loop: Header=BB902_71 Depth=1
	v_add_u32_e32 v28, s11, v36
	ds_write_b64 v28, v[6:7]
.LBB902_73:                             ;   in Loop: Header=BB902_71 Depth=1
	s_or_b64 exec, exec, s[6:7]
	v_add_u32_e32 v28, s9, v34
	v_cmp_gt_u32_e64 s[4:5], s8, v28
	s_and_saveexec_b64 s[6:7], s[4:5]
	s_cbranch_execz .LBB902_75
; %bb.74:                               ;   in Loop: Header=BB902_71 Depth=1
	v_add_u32_e32 v28, s11, v40
	ds_write_b64 v28, v[4:5]
.LBB902_75:                             ;   in Loop: Header=BB902_71 Depth=1
	s_or_b64 exec, exec, s[6:7]
	;; [unrolled: 9-line block ×12, first 2 shown]
	v_cmp_gt_u32_e64 s[4:5], s3, v57
	s_waitcnt lgkmcnt(0)
	s_barrier
	s_and_saveexec_b64 s[6:7], s[4:5]
	s_cbranch_execz .LBB902_97
; %bb.96:                               ;   in Loop: Header=BB902_71 Depth=1
	ds_read_b64 v[58:59], v31 offset:1024
	s_waitcnt lgkmcnt(0)
	v_lshrrev_b64 v[60:61], s20, v[58:59]
	v_and_b32_e32 v28, s23, v60
	v_lshlrev_b32_e32 v28, 2, v28
	ds_read_b32 v28, v28
	s_waitcnt lgkmcnt(0)
	v_add_u32_e32 v28, v57, v28
	v_lshl_add_u64 v[60:61], v[28:29], 3, s[26:27]
	global_store_dwordx2 v[60:61], v[58:59], off
.LBB902_97:                             ;   in Loop: Header=BB902_71 Depth=1
	s_or_b64 exec, exec, s[6:7]
	v_add_u32_e32 v28, 0x200, v57
	v_cmp_gt_u32_e64 s[4:5], s3, v28
	s_and_saveexec_b64 s[6:7], s[4:5]
	s_cbranch_execz .LBB902_70
; %bb.98:                               ;   in Loop: Header=BB902_71 Depth=1
	ds_read_b64 v[58:59], v32 offset:4096
	s_waitcnt lgkmcnt(0)
	v_lshrrev_b64 v[60:61], s20, v[58:59]
	v_and_b32_e32 v28, s23, v60
	v_lshlrev_b32_e32 v28, 2, v28
	ds_read_b32 v28, v28
	s_waitcnt lgkmcnt(0)
	v_add3_u32 v28, v57, v28, s10
	v_lshl_add_u64 v[60:61], v[28:29], 3, s[26:27]
	global_store_dwordx2 v[60:61], v[58:59], off
	s_branch .LBB902_70
.LBB902_99:
	s_mov_b64 s[8:9], 0
                                        ; implicit-def: $vgpr4
                                        ; implicit-def: $vgpr2
	s_cbranch_execnz .LBB902_103
	s_branch .LBB902_176
.LBB902_100:
	s_add_i32 s22, s22, -1
	s_cmp_eq_u32 s22, s2
	s_cselect_b64 s[4:5], -1, 0
	s_and_b64 s[6:7], vcc, s[4:5]
	s_mov_b64 s[4:5], 0
	s_mov_b64 s[8:9], 0
                                        ; implicit-def: $vgpr4
	s_and_saveexec_b64 s[10:11], s[6:7]
	s_xor_b64 s[6:7], exec, s[10:11]
; %bb.101:
	s_mov_b64 s[8:9], exec
	v_add_u32_e32 v4, v3, v38
; %bb.102:
	s_or_b64 exec, exec, s[6:7]
	s_and_b64 vcc, exec, s[4:5]
	s_cbranch_vccz .LBB902_176
.LBB902_103:
	s_mov_b32 s31, 0
	v_and_b32_e32 v2, 0x3ff, v0
	s_lshl_b64 s[4:5], s[30:31], 3
	v_mbcnt_hi_u32_b32 v3, -1, v1
	s_add_u32 s4, s24, s4
	v_and_b32_e32 v1, 63, v3
	v_and_b32_e32 v30, 0x1c0, v2
	s_addc_u32 s5, s25, s5
	v_mov_b32_e32 v27, 0
	v_mul_u32_u24_e32 v6, 12, v30
	v_lshlrev_b32_e32 v26, 3, v1
	v_lshl_add_u64 v[4:5], s[4:5], 0, v[26:27]
	v_lshlrev_b32_e32 v26, 3, v6
	v_lshl_add_u64 v[18:19], v[4:5], 0, v[26:27]
	global_load_dwordx2 v[4:5], v[18:19], off
	s_load_dword s4, s[0:1], 0x64
	s_load_dword s3, s[0:1], 0x58
	s_add_u32 s0, s0, 0x58
	s_addc_u32 s1, s1, 0
	v_bfe_u32 v20, v0, 10, 10
	s_waitcnt lgkmcnt(0)
	s_lshr_b32 s4, s4, 16
	s_cmp_lt_u32 s2, s3
	s_cselect_b32 s5, 12, 18
	s_add_u32 s0, s0, s5
	s_addc_u32 s1, s1, 0
	global_load_ushort v38, v27, s[0:1]
	v_bfe_u32 v21, v0, 20, 10
	v_mul_u32_u24_e32 v0, 5, v2
	v_lshlrev_b32_e32 v31, 2, v0
	ds_write2_b32 v31, v27, v27 offset0:8 offset1:9
	ds_write2_b32 v31, v27, v27 offset0:10 offset1:11
	ds_write_b32 v31, v27 offset:48
	s_movk_i32 s0, 0x1000
	global_load_dwordx2 v[0:1], v[18:19], off offset:512
	global_load_dwordx2 v[6:7], v[18:19], off offset:1024
	;; [unrolled: 1-line block ×7, first 2 shown]
	v_add_co_u32_e32 v36, vcc, s0, v18
	v_mad_u32_u24 v39, v21, s4, v20
	s_nop 0
	v_addc_co_u32_e32 v37, vcc, 0, v19, vcc
	global_load_dwordx2 v[18:19], v[36:37], off
	global_load_dwordx2 v[20:21], v[36:37], off offset:512
	global_load_dwordx2 v[22:23], v[36:37], off offset:1024
	;; [unrolled: 1-line block ×3, first 2 shown]
	s_lshl_b32 s0, -1, s21
	s_not_b32 s14, s0
	v_mov_b32_e32 v28, v27
	v_mov_b32_e32 v32, v27
	;; [unrolled: 1-line block ×3, first 2 shown]
	s_waitcnt lgkmcnt(0)
	s_barrier
	s_waitcnt lgkmcnt(0)
	; wave barrier
	s_waitcnt vmcnt(12)
	v_lshrrev_b64 v[36:37], s20, v[4:5]
	v_and_b32_e32 v40, s14, v36
	v_and_b32_e32 v26, 1, v40
	v_lshlrev_b32_e32 v29, 30, v40
	v_lshlrev_b32_e32 v33, 29, v40
	;; [unrolled: 1-line block ×3, first 2 shown]
	v_lshl_add_u64 v[36:37], v[26:27], 0, -1
	v_cmp_ne_u32_e32 vcc, 0, v26
	v_cmp_gt_i64_e64 s[0:1], 0, v[28:29]
	v_not_b32_e32 v26, v29
	s_waitcnt vmcnt(11)
	v_mad_u64_u32 v[28:29], s[10:11], v39, v38, v[2:3]
	v_cmp_gt_i64_e64 s[4:5], 0, v[32:33]
	v_not_b32_e32 v32, v33
	v_cmp_gt_i64_e64 s[6:7], 0, v[34:35]
	v_xor_b32_e32 v29, vcc_hi, v37
	v_xor_b32_e32 v34, vcc_lo, v36
	v_ashrrev_i32_e32 v26, 31, v26
	v_not_b32_e32 v33, v35
	v_ashrrev_i32_e32 v32, 31, v32
	v_lshrrev_b32_e32 v43, 6, v28
	v_and_b32_e32 v28, exec_hi, v29
	v_and_b32_e32 v29, exec_lo, v34
	v_xor_b32_e32 v34, s1, v26
	v_ashrrev_i32_e32 v33, 31, v33
	v_xor_b32_e32 v26, s0, v26
	v_xor_b32_e32 v35, s5, v32
	v_and_b32_e32 v28, v28, v34
	v_xor_b32_e32 v32, s4, v32
	v_xor_b32_e32 v37, s7, v33
	v_and_b32_e32 v26, v29, v26
	v_and_b32_e32 v28, v28, v35
	;; [unrolled: 1-line block ×4, first 2 shown]
	v_lshlrev_b32_e32 v29, 27, v40
	v_mov_b32_e32 v28, v27
	v_cmp_gt_i64_e32 vcc, 0, v[28:29]
	v_not_b32_e32 v28, v29
	v_xor_b32_e32 v33, s6, v33
	v_ashrrev_i32_e32 v28, 31, v28
	v_and_b32_e32 v26, v26, v33
	v_xor_b32_e32 v29, vcc_hi, v28
	v_xor_b32_e32 v28, vcc_lo, v28
	v_and_b32_e32 v32, v32, v29
	v_and_b32_e32 v26, v26, v28
	v_lshlrev_b32_e32 v29, 26, v40
	v_mov_b32_e32 v28, v27
	v_cmp_gt_i64_e32 vcc, 0, v[28:29]
	v_not_b32_e32 v28, v29
	v_ashrrev_i32_e32 v28, 31, v28
	v_xor_b32_e32 v29, vcc_hi, v28
	v_xor_b32_e32 v28, vcc_lo, v28
	v_and_b32_e32 v32, v32, v29
	v_and_b32_e32 v26, v26, v28
	v_lshlrev_b32_e32 v29, 25, v40
	v_mov_b32_e32 v28, v27
	v_cmp_gt_i64_e32 vcc, 0, v[28:29]
	v_not_b32_e32 v28, v29
	v_ashrrev_i32_e32 v28, 31, v28
	;; [unrolled: 9-line block ×3, first 2 shown]
	v_xor_b32_e32 v29, vcc_hi, v28
	v_xor_b32_e32 v28, vcc_lo, v28
	v_and_b32_e32 v28, v26, v28
	v_and_b32_e32 v29, v32, v29
	v_mbcnt_lo_u32_b32 v26, v28, 0
	v_mbcnt_hi_u32_b32 v33, v29, v26
	v_lshl_add_u32 v41, v40, 3, v40
	v_cmp_eq_u32_e32 vcc, 0, v33
	v_cmp_ne_u64_e64 s[0:1], 0, v[28:29]
	v_add_lshl_u32 v36, v43, v41, 2
	s_and_b64 s[4:5], s[0:1], vcc
	s_and_saveexec_b64 s[0:1], s[4:5]
	s_cbranch_execz .LBB902_105
; %bb.104:
	v_bcnt_u32_b32 v26, v28, 0
	v_bcnt_u32_b32 v26, v29, v26
	ds_write_b32 v36, v26 offset:32
.LBB902_105:
	s_or_b64 exec, exec, s[0:1]
	s_waitcnt vmcnt(10)
	v_lshrrev_b64 v[28:29], s20, v[0:1]
	v_and_b32_e32 v34, s14, v28
	v_lshl_add_u32 v26, v34, 3, v34
	v_add_lshl_u32 v37, v43, v26, 2
	v_and_b32_e32 v26, 1, v34
	v_lshl_add_u64 v[28:29], v[26:27], 0, -1
	v_cmp_ne_u32_e32 vcc, 0, v26
	; wave barrier
	s_nop 1
	v_xor_b32_e32 v28, vcc_lo, v28
	v_xor_b32_e32 v26, vcc_hi, v29
	v_and_b32_e32 v35, exec_lo, v28
	v_lshlrev_b32_e32 v29, 30, v34
	v_mov_b32_e32 v28, v27
	v_cmp_gt_i64_e32 vcc, 0, v[28:29]
	v_not_b32_e32 v28, v29
	v_ashrrev_i32_e32 v28, 31, v28
	v_and_b32_e32 v26, exec_hi, v26
	v_xor_b32_e32 v29, vcc_hi, v28
	v_xor_b32_e32 v28, vcc_lo, v28
	v_and_b32_e32 v26, v26, v29
	v_and_b32_e32 v35, v35, v28
	v_lshlrev_b32_e32 v29, 29, v34
	v_mov_b32_e32 v28, v27
	v_cmp_gt_i64_e32 vcc, 0, v[28:29]
	v_not_b32_e32 v28, v29
	v_ashrrev_i32_e32 v28, 31, v28
	v_xor_b32_e32 v29, vcc_hi, v28
	v_xor_b32_e32 v28, vcc_lo, v28
	v_and_b32_e32 v26, v26, v29
	v_and_b32_e32 v35, v35, v28
	v_lshlrev_b32_e32 v29, 28, v34
	v_mov_b32_e32 v28, v27
	v_cmp_gt_i64_e32 vcc, 0, v[28:29]
	v_not_b32_e32 v28, v29
	v_ashrrev_i32_e32 v28, 31, v28
	;; [unrolled: 9-line block ×5, first 2 shown]
	v_xor_b32_e32 v29, vcc_hi, v28
	v_xor_b32_e32 v28, vcc_lo, v28
	v_and_b32_e32 v26, v26, v29
	v_lshlrev_b32_e32 v29, 24, v34
	v_and_b32_e32 v35, v35, v28
	v_mov_b32_e32 v28, v27
	v_not_b32_e32 v27, v29
	v_cmp_gt_i64_e32 vcc, 0, v[28:29]
	v_ashrrev_i32_e32 v27, 31, v27
	ds_read_b32 v32, v37 offset:32
	v_xor_b32_e32 v28, vcc_hi, v27
	v_xor_b32_e32 v29, vcc_lo, v27
	v_and_b32_e32 v27, v26, v28
	v_and_b32_e32 v26, v35, v29
	v_mbcnt_lo_u32_b32 v28, v26, 0
	v_mbcnt_hi_u32_b32 v34, v27, v28
	v_cmp_eq_u32_e32 vcc, 0, v34
	v_cmp_ne_u64_e64 s[0:1], 0, v[26:27]
	s_and_b64 s[4:5], s[0:1], vcc
	; wave barrier
	s_and_saveexec_b64 s[0:1], s[4:5]
	s_cbranch_execz .LBB902_107
; %bb.106:
	v_bcnt_u32_b32 v26, v26, 0
	v_bcnt_u32_b32 v26, v27, v26
	s_waitcnt lgkmcnt(0)
	v_add_u32_e32 v26, v32, v26
	ds_write_b32 v37, v26 offset:32
.LBB902_107:
	s_or_b64 exec, exec, s[0:1]
	s_waitcnt vmcnt(9)
	v_lshrrev_b64 v[26:27], s20, v[6:7]
	v_and_b32_e32 v38, s14, v26
	v_lshl_add_u32 v26, v38, 3, v38
	v_add_lshl_u32 v40, v43, v26, 2
	v_and_b32_e32 v26, 1, v38
	v_mov_b32_e32 v27, 0
	v_lshl_add_u64 v[28:29], v[26:27], 0, -1
	v_cmp_ne_u32_e32 vcc, 0, v26
	; wave barrier
	s_nop 1
	v_xor_b32_e32 v28, vcc_lo, v28
	v_xor_b32_e32 v26, vcc_hi, v29
	v_and_b32_e32 v39, exec_lo, v28
	v_lshlrev_b32_e32 v29, 30, v38
	v_mov_b32_e32 v28, v27
	v_cmp_gt_i64_e32 vcc, 0, v[28:29]
	v_not_b32_e32 v28, v29
	v_ashrrev_i32_e32 v28, 31, v28
	v_and_b32_e32 v26, exec_hi, v26
	v_xor_b32_e32 v29, vcc_hi, v28
	v_xor_b32_e32 v28, vcc_lo, v28
	v_and_b32_e32 v26, v26, v29
	v_and_b32_e32 v39, v39, v28
	v_lshlrev_b32_e32 v29, 29, v38
	v_mov_b32_e32 v28, v27
	v_cmp_gt_i64_e32 vcc, 0, v[28:29]
	v_not_b32_e32 v28, v29
	v_ashrrev_i32_e32 v28, 31, v28
	v_xor_b32_e32 v29, vcc_hi, v28
	v_xor_b32_e32 v28, vcc_lo, v28
	v_and_b32_e32 v26, v26, v29
	v_and_b32_e32 v39, v39, v28
	v_lshlrev_b32_e32 v29, 28, v38
	v_mov_b32_e32 v28, v27
	v_cmp_gt_i64_e32 vcc, 0, v[28:29]
	v_not_b32_e32 v28, v29
	v_ashrrev_i32_e32 v28, 31, v28
	;; [unrolled: 9-line block ×6, first 2 shown]
	v_xor_b32_e32 v29, vcc_hi, v28
	v_xor_b32_e32 v28, vcc_lo, v28
	ds_read_b32 v35, v40 offset:32
	v_and_b32_e32 v28, v39, v28
	v_and_b32_e32 v29, v26, v29
	v_mbcnt_lo_u32_b32 v26, v28, 0
	v_mbcnt_hi_u32_b32 v38, v29, v26
	v_cmp_eq_u32_e32 vcc, 0, v38
	v_cmp_ne_u64_e64 s[0:1], 0, v[28:29]
	s_and_b64 s[4:5], s[0:1], vcc
	; wave barrier
	s_and_saveexec_b64 s[0:1], s[4:5]
	s_cbranch_execz .LBB902_109
; %bb.108:
	v_bcnt_u32_b32 v26, v28, 0
	v_bcnt_u32_b32 v26, v29, v26
	s_waitcnt lgkmcnt(0)
	v_add_u32_e32 v26, v35, v26
	ds_write_b32 v40, v26 offset:32
.LBB902_109:
	s_or_b64 exec, exec, s[0:1]
	s_waitcnt vmcnt(8)
	v_lshrrev_b64 v[28:29], s20, v[8:9]
	v_and_b32_e32 v41, s14, v28
	v_lshl_add_u32 v26, v41, 3, v41
	v_add_lshl_u32 v44, v43, v26, 2
	v_and_b32_e32 v26, 1, v41
	v_lshl_add_u64 v[28:29], v[26:27], 0, -1
	v_cmp_ne_u32_e32 vcc, 0, v26
	; wave barrier
	s_nop 1
	v_xor_b32_e32 v28, vcc_lo, v28
	v_xor_b32_e32 v26, vcc_hi, v29
	v_and_b32_e32 v42, exec_lo, v28
	v_lshlrev_b32_e32 v29, 30, v41
	v_mov_b32_e32 v28, v27
	v_cmp_gt_i64_e32 vcc, 0, v[28:29]
	v_not_b32_e32 v28, v29
	v_ashrrev_i32_e32 v28, 31, v28
	v_and_b32_e32 v26, exec_hi, v26
	v_xor_b32_e32 v29, vcc_hi, v28
	v_xor_b32_e32 v28, vcc_lo, v28
	v_and_b32_e32 v26, v26, v29
	v_and_b32_e32 v42, v42, v28
	v_lshlrev_b32_e32 v29, 29, v41
	v_mov_b32_e32 v28, v27
	v_cmp_gt_i64_e32 vcc, 0, v[28:29]
	v_not_b32_e32 v28, v29
	v_ashrrev_i32_e32 v28, 31, v28
	v_xor_b32_e32 v29, vcc_hi, v28
	v_xor_b32_e32 v28, vcc_lo, v28
	v_and_b32_e32 v26, v26, v29
	v_and_b32_e32 v42, v42, v28
	v_lshlrev_b32_e32 v29, 28, v41
	v_mov_b32_e32 v28, v27
	v_cmp_gt_i64_e32 vcc, 0, v[28:29]
	v_not_b32_e32 v28, v29
	v_ashrrev_i32_e32 v28, 31, v28
	;; [unrolled: 9-line block ×5, first 2 shown]
	v_xor_b32_e32 v29, vcc_hi, v28
	v_xor_b32_e32 v28, vcc_lo, v28
	v_and_b32_e32 v26, v26, v29
	v_lshlrev_b32_e32 v29, 24, v41
	v_and_b32_e32 v42, v42, v28
	v_mov_b32_e32 v28, v27
	v_not_b32_e32 v27, v29
	v_cmp_gt_i64_e32 vcc, 0, v[28:29]
	v_ashrrev_i32_e32 v27, 31, v27
	ds_read_b32 v39, v44 offset:32
	v_xor_b32_e32 v28, vcc_hi, v27
	v_xor_b32_e32 v29, vcc_lo, v27
	v_and_b32_e32 v27, v26, v28
	v_and_b32_e32 v26, v42, v29
	v_mbcnt_lo_u32_b32 v28, v26, 0
	v_mbcnt_hi_u32_b32 v41, v27, v28
	v_cmp_eq_u32_e32 vcc, 0, v41
	v_cmp_ne_u64_e64 s[0:1], 0, v[26:27]
	s_and_b64 s[4:5], s[0:1], vcc
	; wave barrier
	s_and_saveexec_b64 s[0:1], s[4:5]
	s_cbranch_execz .LBB902_111
; %bb.110:
	v_bcnt_u32_b32 v26, v26, 0
	v_bcnt_u32_b32 v26, v27, v26
	s_waitcnt lgkmcnt(0)
	v_add_u32_e32 v26, v39, v26
	ds_write_b32 v44, v26 offset:32
.LBB902_111:
	s_or_b64 exec, exec, s[0:1]
	s_waitcnt vmcnt(7)
	v_lshrrev_b64 v[26:27], s20, v[10:11]
	v_and_b32_e32 v45, s14, v26
	v_lshl_add_u32 v26, v45, 3, v45
	v_add_lshl_u32 v47, v43, v26, 2
	v_and_b32_e32 v26, 1, v45
	v_mov_b32_e32 v27, 0
	v_lshl_add_u64 v[28:29], v[26:27], 0, -1
	v_cmp_ne_u32_e32 vcc, 0, v26
	; wave barrier
	s_nop 1
	v_xor_b32_e32 v28, vcc_lo, v28
	v_xor_b32_e32 v26, vcc_hi, v29
	v_and_b32_e32 v46, exec_lo, v28
	v_lshlrev_b32_e32 v29, 30, v45
	v_mov_b32_e32 v28, v27
	v_cmp_gt_i64_e32 vcc, 0, v[28:29]
	v_not_b32_e32 v28, v29
	v_ashrrev_i32_e32 v28, 31, v28
	v_and_b32_e32 v26, exec_hi, v26
	v_xor_b32_e32 v29, vcc_hi, v28
	v_xor_b32_e32 v28, vcc_lo, v28
	v_and_b32_e32 v26, v26, v29
	v_and_b32_e32 v46, v46, v28
	v_lshlrev_b32_e32 v29, 29, v45
	v_mov_b32_e32 v28, v27
	v_cmp_gt_i64_e32 vcc, 0, v[28:29]
	v_not_b32_e32 v28, v29
	v_ashrrev_i32_e32 v28, 31, v28
	v_xor_b32_e32 v29, vcc_hi, v28
	v_xor_b32_e32 v28, vcc_lo, v28
	v_and_b32_e32 v26, v26, v29
	v_and_b32_e32 v46, v46, v28
	v_lshlrev_b32_e32 v29, 28, v45
	v_mov_b32_e32 v28, v27
	v_cmp_gt_i64_e32 vcc, 0, v[28:29]
	v_not_b32_e32 v28, v29
	v_ashrrev_i32_e32 v28, 31, v28
	;; [unrolled: 9-line block ×6, first 2 shown]
	v_xor_b32_e32 v29, vcc_hi, v28
	v_xor_b32_e32 v28, vcc_lo, v28
	ds_read_b32 v42, v47 offset:32
	v_and_b32_e32 v28, v46, v28
	v_and_b32_e32 v29, v26, v29
	v_mbcnt_lo_u32_b32 v26, v28, 0
	v_mbcnt_hi_u32_b32 v45, v29, v26
	v_cmp_eq_u32_e32 vcc, 0, v45
	v_cmp_ne_u64_e64 s[0:1], 0, v[28:29]
	s_and_b64 s[4:5], s[0:1], vcc
	; wave barrier
	s_and_saveexec_b64 s[0:1], s[4:5]
	s_cbranch_execz .LBB902_113
; %bb.112:
	v_bcnt_u32_b32 v26, v28, 0
	v_bcnt_u32_b32 v26, v29, v26
	s_waitcnt lgkmcnt(0)
	v_add_u32_e32 v26, v42, v26
	ds_write_b32 v47, v26 offset:32
.LBB902_113:
	s_or_b64 exec, exec, s[0:1]
	s_waitcnt vmcnt(6)
	v_lshrrev_b64 v[28:29], s20, v[12:13]
	v_and_b32_e32 v48, s14, v28
	v_lshl_add_u32 v26, v48, 3, v48
	v_add_lshl_u32 v50, v43, v26, 2
	v_and_b32_e32 v26, 1, v48
	v_lshl_add_u64 v[28:29], v[26:27], 0, -1
	v_cmp_ne_u32_e32 vcc, 0, v26
	; wave barrier
	s_nop 1
	v_xor_b32_e32 v28, vcc_lo, v28
	v_xor_b32_e32 v26, vcc_hi, v29
	v_and_b32_e32 v49, exec_lo, v28
	v_lshlrev_b32_e32 v29, 30, v48
	v_mov_b32_e32 v28, v27
	v_cmp_gt_i64_e32 vcc, 0, v[28:29]
	v_not_b32_e32 v28, v29
	v_ashrrev_i32_e32 v28, 31, v28
	v_and_b32_e32 v26, exec_hi, v26
	v_xor_b32_e32 v29, vcc_hi, v28
	v_xor_b32_e32 v28, vcc_lo, v28
	v_and_b32_e32 v26, v26, v29
	v_and_b32_e32 v49, v49, v28
	v_lshlrev_b32_e32 v29, 29, v48
	v_mov_b32_e32 v28, v27
	v_cmp_gt_i64_e32 vcc, 0, v[28:29]
	v_not_b32_e32 v28, v29
	v_ashrrev_i32_e32 v28, 31, v28
	v_xor_b32_e32 v29, vcc_hi, v28
	v_xor_b32_e32 v28, vcc_lo, v28
	v_and_b32_e32 v26, v26, v29
	v_and_b32_e32 v49, v49, v28
	v_lshlrev_b32_e32 v29, 28, v48
	v_mov_b32_e32 v28, v27
	v_cmp_gt_i64_e32 vcc, 0, v[28:29]
	v_not_b32_e32 v28, v29
	v_ashrrev_i32_e32 v28, 31, v28
	;; [unrolled: 9-line block ×5, first 2 shown]
	v_xor_b32_e32 v29, vcc_hi, v28
	v_xor_b32_e32 v28, vcc_lo, v28
	v_and_b32_e32 v26, v26, v29
	v_lshlrev_b32_e32 v29, 24, v48
	v_and_b32_e32 v49, v49, v28
	v_mov_b32_e32 v28, v27
	v_not_b32_e32 v27, v29
	v_cmp_gt_i64_e32 vcc, 0, v[28:29]
	v_ashrrev_i32_e32 v27, 31, v27
	ds_read_b32 v46, v50 offset:32
	v_xor_b32_e32 v28, vcc_hi, v27
	v_xor_b32_e32 v29, vcc_lo, v27
	v_and_b32_e32 v27, v26, v28
	v_and_b32_e32 v26, v49, v29
	v_mbcnt_lo_u32_b32 v28, v26, 0
	v_mbcnt_hi_u32_b32 v48, v27, v28
	v_cmp_eq_u32_e32 vcc, 0, v48
	v_cmp_ne_u64_e64 s[0:1], 0, v[26:27]
	s_and_b64 s[4:5], s[0:1], vcc
	; wave barrier
	s_and_saveexec_b64 s[0:1], s[4:5]
	s_cbranch_execz .LBB902_115
; %bb.114:
	v_bcnt_u32_b32 v26, v26, 0
	v_bcnt_u32_b32 v26, v27, v26
	s_waitcnt lgkmcnt(0)
	v_add_u32_e32 v26, v46, v26
	ds_write_b32 v50, v26 offset:32
.LBB902_115:
	s_or_b64 exec, exec, s[0:1]
	s_waitcnt vmcnt(5)
	v_lshrrev_b64 v[26:27], s20, v[14:15]
	v_and_b32_e32 v51, s14, v26
	v_lshl_add_u32 v26, v51, 3, v51
	v_add_lshl_u32 v53, v43, v26, 2
	v_and_b32_e32 v26, 1, v51
	v_mov_b32_e32 v27, 0
	v_lshl_add_u64 v[28:29], v[26:27], 0, -1
	v_cmp_ne_u32_e32 vcc, 0, v26
	; wave barrier
	s_nop 1
	v_xor_b32_e32 v28, vcc_lo, v28
	v_xor_b32_e32 v26, vcc_hi, v29
	v_and_b32_e32 v52, exec_lo, v28
	v_lshlrev_b32_e32 v29, 30, v51
	v_mov_b32_e32 v28, v27
	v_cmp_gt_i64_e32 vcc, 0, v[28:29]
	v_not_b32_e32 v28, v29
	v_ashrrev_i32_e32 v28, 31, v28
	v_and_b32_e32 v26, exec_hi, v26
	v_xor_b32_e32 v29, vcc_hi, v28
	v_xor_b32_e32 v28, vcc_lo, v28
	v_and_b32_e32 v26, v26, v29
	v_and_b32_e32 v52, v52, v28
	v_lshlrev_b32_e32 v29, 29, v51
	v_mov_b32_e32 v28, v27
	v_cmp_gt_i64_e32 vcc, 0, v[28:29]
	v_not_b32_e32 v28, v29
	v_ashrrev_i32_e32 v28, 31, v28
	v_xor_b32_e32 v29, vcc_hi, v28
	v_xor_b32_e32 v28, vcc_lo, v28
	v_and_b32_e32 v26, v26, v29
	v_and_b32_e32 v52, v52, v28
	v_lshlrev_b32_e32 v29, 28, v51
	v_mov_b32_e32 v28, v27
	v_cmp_gt_i64_e32 vcc, 0, v[28:29]
	v_not_b32_e32 v28, v29
	v_ashrrev_i32_e32 v28, 31, v28
	;; [unrolled: 9-line block ×6, first 2 shown]
	v_xor_b32_e32 v29, vcc_hi, v28
	v_xor_b32_e32 v28, vcc_lo, v28
	ds_read_b32 v49, v53 offset:32
	v_and_b32_e32 v28, v52, v28
	v_and_b32_e32 v29, v26, v29
	v_mbcnt_lo_u32_b32 v26, v28, 0
	v_mbcnt_hi_u32_b32 v51, v29, v26
	v_cmp_eq_u32_e32 vcc, 0, v51
	v_cmp_ne_u64_e64 s[0:1], 0, v[28:29]
	s_and_b64 s[4:5], s[0:1], vcc
	; wave barrier
	s_and_saveexec_b64 s[0:1], s[4:5]
	s_cbranch_execz .LBB902_117
; %bb.116:
	v_bcnt_u32_b32 v26, v28, 0
	v_bcnt_u32_b32 v26, v29, v26
	s_waitcnt lgkmcnt(0)
	v_add_u32_e32 v26, v49, v26
	ds_write_b32 v53, v26 offset:32
.LBB902_117:
	s_or_b64 exec, exec, s[0:1]
	s_waitcnt vmcnt(4)
	v_lshrrev_b64 v[28:29], s20, v[16:17]
	v_and_b32_e32 v54, s14, v28
	v_lshl_add_u32 v26, v54, 3, v54
	v_add_lshl_u32 v56, v43, v26, 2
	v_and_b32_e32 v26, 1, v54
	v_lshl_add_u64 v[28:29], v[26:27], 0, -1
	v_cmp_ne_u32_e32 vcc, 0, v26
	; wave barrier
	s_nop 1
	v_xor_b32_e32 v28, vcc_lo, v28
	v_xor_b32_e32 v26, vcc_hi, v29
	v_and_b32_e32 v55, exec_lo, v28
	v_lshlrev_b32_e32 v29, 30, v54
	v_mov_b32_e32 v28, v27
	v_cmp_gt_i64_e32 vcc, 0, v[28:29]
	v_not_b32_e32 v28, v29
	v_ashrrev_i32_e32 v28, 31, v28
	v_and_b32_e32 v26, exec_hi, v26
	v_xor_b32_e32 v29, vcc_hi, v28
	v_xor_b32_e32 v28, vcc_lo, v28
	v_and_b32_e32 v26, v26, v29
	v_and_b32_e32 v55, v55, v28
	v_lshlrev_b32_e32 v29, 29, v54
	v_mov_b32_e32 v28, v27
	v_cmp_gt_i64_e32 vcc, 0, v[28:29]
	v_not_b32_e32 v28, v29
	v_ashrrev_i32_e32 v28, 31, v28
	v_xor_b32_e32 v29, vcc_hi, v28
	v_xor_b32_e32 v28, vcc_lo, v28
	v_and_b32_e32 v26, v26, v29
	v_and_b32_e32 v55, v55, v28
	v_lshlrev_b32_e32 v29, 28, v54
	v_mov_b32_e32 v28, v27
	v_cmp_gt_i64_e32 vcc, 0, v[28:29]
	v_not_b32_e32 v28, v29
	v_ashrrev_i32_e32 v28, 31, v28
	;; [unrolled: 9-line block ×5, first 2 shown]
	v_xor_b32_e32 v29, vcc_hi, v28
	v_xor_b32_e32 v28, vcc_lo, v28
	v_and_b32_e32 v26, v26, v29
	v_lshlrev_b32_e32 v29, 24, v54
	v_and_b32_e32 v55, v55, v28
	v_mov_b32_e32 v28, v27
	v_not_b32_e32 v27, v29
	v_cmp_gt_i64_e32 vcc, 0, v[28:29]
	v_ashrrev_i32_e32 v27, 31, v27
	ds_read_b32 v52, v56 offset:32
	v_xor_b32_e32 v28, vcc_hi, v27
	v_xor_b32_e32 v29, vcc_lo, v27
	v_and_b32_e32 v27, v26, v28
	v_and_b32_e32 v26, v55, v29
	v_mbcnt_lo_u32_b32 v28, v26, 0
	v_mbcnt_hi_u32_b32 v54, v27, v28
	v_cmp_eq_u32_e32 vcc, 0, v54
	v_cmp_ne_u64_e64 s[0:1], 0, v[26:27]
	s_and_b64 s[4:5], s[0:1], vcc
	; wave barrier
	s_and_saveexec_b64 s[0:1], s[4:5]
	s_cbranch_execz .LBB902_119
; %bb.118:
	v_bcnt_u32_b32 v26, v26, 0
	v_bcnt_u32_b32 v26, v27, v26
	s_waitcnt lgkmcnt(0)
	v_add_u32_e32 v26, v52, v26
	ds_write_b32 v56, v26 offset:32
.LBB902_119:
	s_or_b64 exec, exec, s[0:1]
	s_waitcnt vmcnt(3)
	v_lshrrev_b64 v[26:27], s20, v[18:19]
	v_and_b32_e32 v57, s14, v26
	v_lshl_add_u32 v26, v57, 3, v57
	v_add_lshl_u32 v59, v43, v26, 2
	v_and_b32_e32 v26, 1, v57
	v_mov_b32_e32 v27, 0
	v_lshl_add_u64 v[28:29], v[26:27], 0, -1
	v_cmp_ne_u32_e32 vcc, 0, v26
	; wave barrier
	s_nop 1
	v_xor_b32_e32 v28, vcc_lo, v28
	v_xor_b32_e32 v26, vcc_hi, v29
	v_and_b32_e32 v58, exec_lo, v28
	v_lshlrev_b32_e32 v29, 30, v57
	v_mov_b32_e32 v28, v27
	v_cmp_gt_i64_e32 vcc, 0, v[28:29]
	v_not_b32_e32 v28, v29
	v_ashrrev_i32_e32 v28, 31, v28
	v_and_b32_e32 v26, exec_hi, v26
	v_xor_b32_e32 v29, vcc_hi, v28
	v_xor_b32_e32 v28, vcc_lo, v28
	v_and_b32_e32 v26, v26, v29
	v_and_b32_e32 v58, v58, v28
	v_lshlrev_b32_e32 v29, 29, v57
	v_mov_b32_e32 v28, v27
	v_cmp_gt_i64_e32 vcc, 0, v[28:29]
	v_not_b32_e32 v28, v29
	v_ashrrev_i32_e32 v28, 31, v28
	v_xor_b32_e32 v29, vcc_hi, v28
	v_xor_b32_e32 v28, vcc_lo, v28
	v_and_b32_e32 v26, v26, v29
	v_and_b32_e32 v58, v58, v28
	v_lshlrev_b32_e32 v29, 28, v57
	v_mov_b32_e32 v28, v27
	v_cmp_gt_i64_e32 vcc, 0, v[28:29]
	v_not_b32_e32 v28, v29
	v_ashrrev_i32_e32 v28, 31, v28
	;; [unrolled: 9-line block ×6, first 2 shown]
	v_xor_b32_e32 v29, vcc_hi, v28
	v_xor_b32_e32 v28, vcc_lo, v28
	ds_read_b32 v55, v59 offset:32
	v_and_b32_e32 v28, v58, v28
	v_and_b32_e32 v29, v26, v29
	v_mbcnt_lo_u32_b32 v26, v28, 0
	v_mbcnt_hi_u32_b32 v57, v29, v26
	v_cmp_eq_u32_e32 vcc, 0, v57
	v_cmp_ne_u64_e64 s[0:1], 0, v[28:29]
	s_and_b64 s[4:5], s[0:1], vcc
	; wave barrier
	s_and_saveexec_b64 s[0:1], s[4:5]
	s_cbranch_execz .LBB902_121
; %bb.120:
	v_bcnt_u32_b32 v26, v28, 0
	v_bcnt_u32_b32 v26, v29, v26
	s_waitcnt lgkmcnt(0)
	v_add_u32_e32 v26, v55, v26
	ds_write_b32 v59, v26 offset:32
.LBB902_121:
	s_or_b64 exec, exec, s[0:1]
	s_waitcnt vmcnt(2)
	v_lshrrev_b64 v[28:29], s20, v[20:21]
	v_and_b32_e32 v60, s14, v28
	v_lshl_add_u32 v26, v60, 3, v60
	v_add_lshl_u32 v62, v43, v26, 2
	v_and_b32_e32 v26, 1, v60
	v_lshl_add_u64 v[28:29], v[26:27], 0, -1
	v_cmp_ne_u32_e32 vcc, 0, v26
	; wave barrier
	s_nop 1
	v_xor_b32_e32 v28, vcc_lo, v28
	v_xor_b32_e32 v26, vcc_hi, v29
	v_and_b32_e32 v61, exec_lo, v28
	v_lshlrev_b32_e32 v29, 30, v60
	v_mov_b32_e32 v28, v27
	v_cmp_gt_i64_e32 vcc, 0, v[28:29]
	v_not_b32_e32 v28, v29
	v_ashrrev_i32_e32 v28, 31, v28
	v_and_b32_e32 v26, exec_hi, v26
	v_xor_b32_e32 v29, vcc_hi, v28
	v_xor_b32_e32 v28, vcc_lo, v28
	v_and_b32_e32 v26, v26, v29
	v_and_b32_e32 v61, v61, v28
	v_lshlrev_b32_e32 v29, 29, v60
	v_mov_b32_e32 v28, v27
	v_cmp_gt_i64_e32 vcc, 0, v[28:29]
	v_not_b32_e32 v28, v29
	v_ashrrev_i32_e32 v28, 31, v28
	v_xor_b32_e32 v29, vcc_hi, v28
	v_xor_b32_e32 v28, vcc_lo, v28
	v_and_b32_e32 v26, v26, v29
	v_and_b32_e32 v61, v61, v28
	v_lshlrev_b32_e32 v29, 28, v60
	v_mov_b32_e32 v28, v27
	v_cmp_gt_i64_e32 vcc, 0, v[28:29]
	v_not_b32_e32 v28, v29
	v_ashrrev_i32_e32 v28, 31, v28
	;; [unrolled: 9-line block ×5, first 2 shown]
	v_xor_b32_e32 v29, vcc_hi, v28
	v_xor_b32_e32 v28, vcc_lo, v28
	v_and_b32_e32 v26, v26, v29
	v_lshlrev_b32_e32 v29, 24, v60
	v_and_b32_e32 v61, v61, v28
	v_mov_b32_e32 v28, v27
	v_not_b32_e32 v27, v29
	v_cmp_gt_i64_e32 vcc, 0, v[28:29]
	v_ashrrev_i32_e32 v27, 31, v27
	ds_read_b32 v58, v62 offset:32
	v_xor_b32_e32 v28, vcc_hi, v27
	v_xor_b32_e32 v29, vcc_lo, v27
	v_and_b32_e32 v27, v26, v28
	v_and_b32_e32 v26, v61, v29
	v_mbcnt_lo_u32_b32 v28, v26, 0
	v_mbcnt_hi_u32_b32 v60, v27, v28
	v_cmp_eq_u32_e32 vcc, 0, v60
	v_cmp_ne_u64_e64 s[0:1], 0, v[26:27]
	s_and_b64 s[4:5], s[0:1], vcc
	; wave barrier
	s_and_saveexec_b64 s[0:1], s[4:5]
	s_cbranch_execz .LBB902_123
; %bb.122:
	v_bcnt_u32_b32 v26, v26, 0
	v_bcnt_u32_b32 v26, v27, v26
	s_waitcnt lgkmcnt(0)
	v_add_u32_e32 v26, v58, v26
	ds_write_b32 v62, v26 offset:32
.LBB902_123:
	s_or_b64 exec, exec, s[0:1]
	s_waitcnt vmcnt(1)
	v_lshrrev_b64 v[26:27], s20, v[22:23]
	v_and_b32_e32 v63, s14, v26
	v_lshl_add_u32 v26, v63, 3, v63
	v_add_lshl_u32 v64, v43, v26, 2
	v_and_b32_e32 v26, 1, v63
	v_mov_b32_e32 v27, 0
	v_lshl_add_u64 v[28:29], v[26:27], 0, -1
	v_cmp_ne_u32_e32 vcc, 0, v26
	; wave barrier
	s_nop 1
	v_xor_b32_e32 v28, vcc_lo, v28
	v_xor_b32_e32 v26, vcc_hi, v29
	v_and_b32_e32 v65, exec_lo, v28
	v_lshlrev_b32_e32 v29, 30, v63
	v_mov_b32_e32 v28, v27
	v_cmp_gt_i64_e32 vcc, 0, v[28:29]
	v_not_b32_e32 v28, v29
	v_ashrrev_i32_e32 v28, 31, v28
	v_and_b32_e32 v26, exec_hi, v26
	v_xor_b32_e32 v29, vcc_hi, v28
	v_xor_b32_e32 v28, vcc_lo, v28
	v_and_b32_e32 v26, v26, v29
	v_and_b32_e32 v65, v65, v28
	v_lshlrev_b32_e32 v29, 29, v63
	v_mov_b32_e32 v28, v27
	v_cmp_gt_i64_e32 vcc, 0, v[28:29]
	v_not_b32_e32 v28, v29
	v_ashrrev_i32_e32 v28, 31, v28
	v_xor_b32_e32 v29, vcc_hi, v28
	v_xor_b32_e32 v28, vcc_lo, v28
	v_and_b32_e32 v26, v26, v29
	v_and_b32_e32 v65, v65, v28
	v_lshlrev_b32_e32 v29, 28, v63
	v_mov_b32_e32 v28, v27
	v_cmp_gt_i64_e32 vcc, 0, v[28:29]
	v_not_b32_e32 v28, v29
	v_ashrrev_i32_e32 v28, 31, v28
	;; [unrolled: 9-line block ×6, first 2 shown]
	v_xor_b32_e32 v29, vcc_hi, v28
	v_xor_b32_e32 v28, vcc_lo, v28
	ds_read_b32 v61, v64 offset:32
	v_and_b32_e32 v28, v65, v28
	v_and_b32_e32 v29, v26, v29
	v_mbcnt_lo_u32_b32 v26, v28, 0
	v_mbcnt_hi_u32_b32 v63, v29, v26
	v_cmp_eq_u32_e32 vcc, 0, v63
	v_cmp_ne_u64_e64 s[0:1], 0, v[28:29]
	s_and_b64 s[4:5], s[0:1], vcc
	; wave barrier
	s_and_saveexec_b64 s[0:1], s[4:5]
	s_cbranch_execz .LBB902_125
; %bb.124:
	v_bcnt_u32_b32 v26, v28, 0
	v_bcnt_u32_b32 v26, v29, v26
	s_waitcnt lgkmcnt(0)
	v_add_u32_e32 v26, v61, v26
	ds_write_b32 v64, v26 offset:32
.LBB902_125:
	s_or_b64 exec, exec, s[0:1]
	s_waitcnt vmcnt(0)
	v_lshrrev_b64 v[28:29], s20, v[24:25]
	v_and_b32_e32 v65, s14, v28
	v_lshl_add_u32 v26, v65, 3, v65
	v_add_lshl_u32 v66, v43, v26, 2
	v_and_b32_e32 v26, 1, v65
	v_lshl_add_u64 v[28:29], v[26:27], 0, -1
	v_cmp_ne_u32_e32 vcc, 0, v26
	; wave barrier
	s_nop 1
	v_xor_b32_e32 v28, vcc_lo, v28
	v_xor_b32_e32 v26, vcc_hi, v29
	v_and_b32_e32 v68, exec_lo, v28
	v_lshlrev_b32_e32 v29, 30, v65
	v_mov_b32_e32 v28, v27
	v_cmp_gt_i64_e32 vcc, 0, v[28:29]
	v_not_b32_e32 v28, v29
	v_ashrrev_i32_e32 v28, 31, v28
	v_and_b32_e32 v26, exec_hi, v26
	v_xor_b32_e32 v29, vcc_hi, v28
	v_xor_b32_e32 v28, vcc_lo, v28
	v_and_b32_e32 v26, v26, v29
	v_and_b32_e32 v68, v68, v28
	v_lshlrev_b32_e32 v29, 29, v65
	v_mov_b32_e32 v28, v27
	v_cmp_gt_i64_e32 vcc, 0, v[28:29]
	v_not_b32_e32 v28, v29
	v_ashrrev_i32_e32 v28, 31, v28
	v_xor_b32_e32 v29, vcc_hi, v28
	v_xor_b32_e32 v28, vcc_lo, v28
	v_and_b32_e32 v26, v26, v29
	v_and_b32_e32 v68, v68, v28
	v_lshlrev_b32_e32 v29, 28, v65
	v_mov_b32_e32 v28, v27
	v_cmp_gt_i64_e32 vcc, 0, v[28:29]
	v_not_b32_e32 v28, v29
	v_ashrrev_i32_e32 v28, 31, v28
	;; [unrolled: 9-line block ×5, first 2 shown]
	v_xor_b32_e32 v29, vcc_hi, v28
	v_xor_b32_e32 v28, vcc_lo, v28
	v_and_b32_e32 v26, v26, v29
	v_lshlrev_b32_e32 v29, 24, v65
	v_and_b32_e32 v68, v68, v28
	v_mov_b32_e32 v28, v27
	v_not_b32_e32 v27, v29
	v_cmp_gt_i64_e32 vcc, 0, v[28:29]
	v_ashrrev_i32_e32 v27, 31, v27
	ds_read_b32 v43, v66 offset:32
	v_xor_b32_e32 v28, vcc_hi, v27
	v_xor_b32_e32 v29, vcc_lo, v27
	v_and_b32_e32 v27, v26, v28
	v_and_b32_e32 v26, v68, v29
	v_mbcnt_lo_u32_b32 v28, v26, 0
	v_mbcnt_hi_u32_b32 v65, v27, v28
	v_cmp_eq_u32_e32 vcc, 0, v65
	v_cmp_ne_u64_e64 s[0:1], 0, v[26:27]
	v_add_u32_e32 v67, 32, v31
	s_and_b64 s[4:5], s[0:1], vcc
	; wave barrier
	s_and_saveexec_b64 s[0:1], s[4:5]
	s_cbranch_execz .LBB902_127
; %bb.126:
	v_bcnt_u32_b32 v26, v26, 0
	v_bcnt_u32_b32 v26, v27, v26
	s_waitcnt lgkmcnt(0)
	v_add_u32_e32 v26, v43, v26
	ds_write_b32 v66, v26 offset:32
.LBB902_127:
	s_or_b64 exec, exec, s[0:1]
	; wave barrier
	s_waitcnt lgkmcnt(0)
	s_barrier
	ds_read2_b32 v[28:29], v31 offset0:8 offset1:9
	ds_read2_b32 v[26:27], v67 offset0:2 offset1:3
	ds_read_b32 v68, v67 offset:16
	v_min_u32_e32 v30, 0x1c0, v30
	v_or_b32_e32 v30, 63, v30
	s_waitcnt lgkmcnt(1)
	v_add3_u32 v69, v29, v28, v26
	s_waitcnt lgkmcnt(0)
	v_add3_u32 v68, v69, v27, v68
	v_and_b32_e32 v69, 15, v3
	v_cmp_ne_u32_e32 vcc, 0, v69
	v_mov_b32_dpp v70, v68 row_shr:1 row_mask:0xf bank_mask:0xf
	s_nop 0
	v_cndmask_b32_e32 v70, 0, v70, vcc
	v_add_u32_e32 v68, v70, v68
	v_cmp_lt_u32_e32 vcc, 1, v69
	s_nop 0
	v_mov_b32_dpp v70, v68 row_shr:2 row_mask:0xf bank_mask:0xf
	v_cndmask_b32_e32 v70, 0, v70, vcc
	v_add_u32_e32 v68, v68, v70
	v_cmp_lt_u32_e32 vcc, 3, v69
	s_nop 0
	v_mov_b32_dpp v70, v68 row_shr:4 row_mask:0xf bank_mask:0xf
	;; [unrolled: 5-line block ×3, first 2 shown]
	v_cndmask_b32_e32 v69, 0, v70, vcc
	v_add_u32_e32 v68, v68, v69
	v_bfe_i32 v70, v3, 4, 1
	v_cmp_lt_u32_e32 vcc, 31, v3
	v_mov_b32_dpp v69, v68 row_bcast:15 row_mask:0xf bank_mask:0xf
	v_and_b32_e32 v69, v70, v69
	v_add_u32_e32 v68, v68, v69
	v_lshrrev_b32_e32 v70, 6, v2
	s_nop 0
	v_mov_b32_dpp v69, v68 row_bcast:31 row_mask:0xf bank_mask:0xf
	v_cndmask_b32_e32 v69, 0, v69, vcc
	v_add_u32_e32 v69, v68, v69
	v_cmp_eq_u32_e32 vcc, v30, v2
	s_and_saveexec_b64 s[0:1], vcc
	s_cbranch_execz .LBB902_129
; %bb.128:
	v_lshlrev_b32_e32 v30, 2, v70
	ds_write_b32 v30, v69
.LBB902_129:
	s_or_b64 exec, exec, s[0:1]
	v_cmp_gt_u32_e32 vcc, 8, v2
	v_lshlrev_b32_e32 v68, 2, v2
	s_waitcnt lgkmcnt(0)
	s_barrier
	s_and_saveexec_b64 s[0:1], vcc
	s_cbranch_execz .LBB902_131
; %bb.130:
	ds_read_b32 v30, v68
	v_and_b32_e32 v71, 7, v3
	v_cmp_ne_u32_e32 vcc, 0, v71
	s_waitcnt lgkmcnt(0)
	v_mov_b32_dpp v72, v30 row_shr:1 row_mask:0xf bank_mask:0xf
	v_cndmask_b32_e32 v72, 0, v72, vcc
	v_add_u32_e32 v30, v72, v30
	v_cmp_lt_u32_e32 vcc, 1, v71
	s_nop 0
	v_mov_b32_dpp v72, v30 row_shr:2 row_mask:0xf bank_mask:0xf
	v_cndmask_b32_e32 v72, 0, v72, vcc
	v_add_u32_e32 v30, v30, v72
	v_cmp_lt_u32_e32 vcc, 3, v71
	s_nop 0
	v_mov_b32_dpp v72, v30 row_shr:4 row_mask:0xf bank_mask:0xf
	v_cndmask_b32_e32 v71, 0, v72, vcc
	v_add_u32_e32 v30, v30, v71
	ds_write_b32 v68, v30
.LBB902_131:
	s_or_b64 exec, exec, s[0:1]
	v_cmp_lt_u32_e32 vcc, 63, v2
	v_mov_b32_e32 v30, 0
	s_waitcnt lgkmcnt(0)
	s_barrier
	s_and_saveexec_b64 s[0:1], vcc
	s_cbranch_execz .LBB902_133
; %bb.132:
	v_lshl_add_u32 v30, v70, 2, -4
	ds_read_b32 v30, v30
.LBB902_133:
	s_or_b64 exec, exec, s[0:1]
	v_add_u32_e32 v70, -1, v3
	v_and_b32_e32 v71, 64, v3
	v_cmp_lt_i32_e32 vcc, v70, v71
	s_waitcnt lgkmcnt(0)
	v_add_u32_e32 v69, v30, v69
	s_movk_i32 s0, 0x100
	v_cndmask_b32_e32 v70, v70, v3, vcc
	v_lshlrev_b32_e32 v70, 2, v70
	ds_bpermute_b32 v69, v70, v69
	v_cmp_eq_u32_e32 vcc, 0, v3
	s_waitcnt lgkmcnt(0)
	s_nop 0
	v_cndmask_b32_e32 v3, v69, v30, vcc
	v_cmp_ne_u32_e32 vcc, 0, v2
	s_nop 1
	v_cndmask_b32_e32 v3, 0, v3, vcc
	v_add_u32_e32 v28, v3, v28
	v_add_u32_e32 v29, v28, v29
	;; [unrolled: 1-line block ×4, first 2 shown]
	ds_write2_b32 v31, v3, v28 offset0:8 offset1:9
	ds_write2_b32 v67, v29, v26 offset0:2 offset1:3
	ds_write_b32 v67, v27 offset:16
	s_waitcnt lgkmcnt(0)
	s_barrier
	ds_read_b32 v74, v36 offset:32
	ds_read_b32 v67, v37 offset:32
	;; [unrolled: 1-line block ×12, first 2 shown]
	v_cmp_gt_u32_e32 vcc, s0, v2
                                        ; implicit-def: $vgpr3
                                        ; implicit-def: $vgpr36
	s_and_saveexec_b64 s[4:5], vcc
	s_cbranch_execz .LBB902_137
; %bb.134:
	v_mul_u32_u24_e32 v3, 9, v2
	v_lshlrev_b32_e32 v27, 2, v3
	ds_read_b32 v3, v27 offset:32
	s_movk_i32 s0, 0xff
	v_cmp_ne_u32_e64 s[0:1], s0, v2
	v_mov_b32_e32 v26, 0x1800
	s_and_saveexec_b64 s[6:7], s[0:1]
	s_cbranch_execz .LBB902_136
; %bb.135:
	ds_read_b32 v26, v27 offset:68
.LBB902_136:
	s_or_b64 exec, exec, s[6:7]
	s_waitcnt lgkmcnt(0)
	v_sub_u32_e32 v36, v26, v3
.LBB902_137:
	s_or_b64 exec, exec, s[4:5]
	s_waitcnt lgkmcnt(0)
	s_barrier
	s_and_saveexec_b64 s[4:5], vcc
	s_cbranch_execz .LBB902_147
; %bb.138:
	v_lshl_or_b32 v28, s2, 8, v2
	v_mov_b32_e32 v29, 0
	v_lshl_add_u64 v[26:27], v[28:29], 2, s[28:29]
	v_or_b32_e32 v28, 2.0, v36
	s_mov_b64 s[6:7], 0
	s_brev_b32 s15, 1
	s_mov_b32 s21, s2
	v_mov_b32_e32 v47, 0
	global_store_dword v[26:27], v28, off sc1
                                        ; implicit-def: $sgpr0_sgpr1
	s_branch .LBB902_141
.LBB902_139:                            ;   in Loop: Header=BB902_141 Depth=1
	s_or_b64 exec, exec, s[12:13]
.LBB902_140:                            ;   in Loop: Header=BB902_141 Depth=1
	s_or_b64 exec, exec, s[10:11]
	v_and_b32_e32 v30, 0x3fffffff, v53
	v_add_u32_e32 v47, v30, v47
	v_cmp_eq_u32_e64 s[0:1], s15, v28
	s_and_b64 s[10:11], exec, s[0:1]
	s_or_b64 s[6:7], s[10:11], s[6:7]
	s_andn2_b64 exec, exec, s[6:7]
	s_cbranch_execz .LBB902_146
.LBB902_141:                            ; =>This Loop Header: Depth=1
                                        ;     Child Loop BB902_144 Depth 2
	s_or_b64 s[0:1], s[0:1], exec
	s_cmp_eq_u32 s21, 0
	s_cbranch_scc1 .LBB902_145
; %bb.142:                              ;   in Loop: Header=BB902_141 Depth=1
	s_add_i32 s21, s21, -1
	v_lshl_or_b32 v28, s21, 8, v2
	v_lshl_add_u64 v[30:31], v[28:29], 2, s[28:29]
	global_load_dword v53, v[30:31], off sc1
	s_waitcnt vmcnt(0)
	v_and_b32_e32 v28, -2.0, v53
	v_cmp_eq_u32_e64 s[0:1], 0, v28
	s_and_saveexec_b64 s[10:11], s[0:1]
	s_cbranch_execz .LBB902_140
; %bb.143:                              ;   in Loop: Header=BB902_141 Depth=1
	s_mov_b64 s[12:13], 0
.LBB902_144:                            ;   Parent Loop BB902_141 Depth=1
                                        ; =>  This Inner Loop Header: Depth=2
	global_load_dword v53, v[30:31], off sc1
	s_waitcnt vmcnt(0)
	v_and_b32_e32 v28, -2.0, v53
	v_cmp_ne_u32_e64 s[0:1], 0, v28
	s_or_b64 s[12:13], s[0:1], s[12:13]
	s_andn2_b64 exec, exec, s[12:13]
	s_cbranch_execnz .LBB902_144
	s_branch .LBB902_139
.LBB902_145:                            ;   in Loop: Header=BB902_141 Depth=1
                                        ; implicit-def: $sgpr21
	s_and_b64 s[10:11], exec, s[0:1]
	s_or_b64 s[6:7], s[10:11], s[6:7]
	s_andn2_b64 exec, exec, s[6:7]
	s_cbranch_execnz .LBB902_141
.LBB902_146:
	s_or_b64 exec, exec, s[6:7]
	v_add_u32_e32 v28, v47, v36
	v_or_b32_e32 v28, 0x80000000, v28
	global_store_dword v[26:27], v28, off sc1
	global_load_dword v26, v68, s[16:17]
	v_sub_u32_e32 v27, v47, v3
	s_waitcnt vmcnt(0)
	v_add_u32_e32 v26, v27, v26
	ds_write_b32 v68, v26
.LBB902_147:
	s_or_b64 exec, exec, s[4:5]
	v_add_u32_e32 v28, v74, v33
	v_add3_u32 v26, v34, v32, v67
	v_add3_u32 v27, v38, v35, v69
	v_add3_u32 v59, v41, v39, v70
	v_add3_u32 v62, v45, v42, v71
	v_add3_u32 v64, v48, v46, v72
	v_add3_u32 v66, v51, v49, v73
	v_add3_u32 v53, v54, v52, v56
	v_add3_u32 v47, v57, v55, v50
	v_add3_u32 v68, v60, v58, v44
	v_add3_u32 v74, v63, v61, v40
	v_add3_u32 v31, v65, v43, v37
	v_lshlrev_b32_e32 v29, 3, v2
	v_mov_b32_e32 v75, 0x400
	s_movk_i32 s6, 0x400
	v_add_u32_e32 v30, 0x400, v29
	v_lshl_add_u32 v31, v31, 3, v75
	v_add3_u32 v33, v65, v37, v43
	v_lshl_add_u32 v37, v74, 3, v75
	v_add3_u32 v40, v63, v40, v61
	;; [unrolled: 2-line block ×11, first 2 shown]
	v_lshl_add_u32 v34, v28, 3, v75
	s_mov_b32 s7, 0
	s_movk_i32 s10, 0x200
	v_mov_b32_e32 v27, 0
	v_mov_b32_e32 v55, v2
	s_mov_b32 s11, 0
	s_branch .LBB902_149
.LBB902_148:                            ;   in Loop: Header=BB902_149 Depth=1
	s_or_b64 exec, exec, s[4:5]
	s_waitcnt lgkmcnt(0)
	s_barrier
	ds_read_b64 v[56:57], v29 offset:1024
	ds_read_b64 v[58:59], v30 offset:4096
	s_addk_i32 s11, 0xe000
	s_addk_i32 s7, 0xfc00
	s_cmp_eq_u32 s11, 0xffff4000
	s_waitcnt lgkmcnt(1)
	v_lshrrev_b64 v[60:61], s20, v[56:57]
	v_and_b32_e32 v26, s14, v60
	s_waitcnt lgkmcnt(0)
	v_lshrrev_b64 v[60:61], s20, v[58:59]
	v_lshlrev_b32_e32 v26, 2, v26
	v_and_b32_e32 v60, s14, v60
	ds_read_b32 v26, v26
	v_lshlrev_b32_e32 v60, 2, v60
	ds_read_b32 v62, v60
	s_waitcnt lgkmcnt(1)
	v_add_u32_e32 v26, v55, v26
	v_lshl_add_u64 v[60:61], v[26:27], 3, s[26:27]
	s_waitcnt lgkmcnt(0)
	v_add3_u32 v26, v55, v62, s10
	global_store_dwordx2 v[60:61], v[56:57], off
	v_lshl_add_u64 v[56:57], v[26:27], 3, s[26:27]
	v_add_u32_e32 v55, 0x400, v55
	global_store_dwordx2 v[56:57], v[58:59], off
	s_barrier
	s_cbranch_scc1 .LBB902_173
.LBB902_149:                            ; =>This Inner Loop Header: Depth=1
	v_add_u32_e32 v26, s7, v28
	v_cmp_gt_u32_e64 s[0:1], s6, v26
	s_and_saveexec_b64 s[4:5], s[0:1]
	s_cbranch_execz .LBB902_151
; %bb.150:                              ;   in Loop: Header=BB902_149 Depth=1
	v_add_u32_e32 v26, s11, v34
	ds_write_b64 v26, v[4:5]
.LBB902_151:                            ;   in Loop: Header=BB902_149 Depth=1
	s_or_b64 exec, exec, s[4:5]
	v_add_u32_e32 v26, s7, v32
	v_cmp_gt_u32_e64 s[0:1], s6, v26
	s_and_saveexec_b64 s[4:5], s[0:1]
	s_cbranch_execz .LBB902_153
; %bb.152:                              ;   in Loop: Header=BB902_149 Depth=1
	v_add_u32_e32 v26, s11, v38
	ds_write_b64 v26, v[0:1]
.LBB902_153:                            ;   in Loop: Header=BB902_149 Depth=1
	s_or_b64 exec, exec, s[4:5]
	;; [unrolled: 9-line block ×11, first 2 shown]
	v_add_u32_e32 v26, s7, v33
	v_cmp_gt_u32_e64 s[0:1], s6, v26
	s_and_saveexec_b64 s[4:5], s[0:1]
	s_cbranch_execz .LBB902_148
; %bb.172:                              ;   in Loop: Header=BB902_149 Depth=1
	v_add_u32_e32 v26, s11, v31
	ds_write_b64 v26, v[24:25]
	s_branch .LBB902_148
.LBB902_173:
	s_add_i32 s3, s3, -1
	s_cmp_eq_u32 s3, s2
	s_cselect_b64 s[0:1], -1, 0
	s_and_b64 s[2:3], vcc, s[0:1]
                                        ; implicit-def: $vgpr4
	s_and_saveexec_b64 s[0:1], s[2:3]
; %bb.174:
	v_add_u32_e32 v4, v3, v36
	s_or_b64 s[8:9], s[8:9], exec
; %bb.175:
	s_or_b64 exec, exec, s[0:1]
.LBB902_176:
	s_and_saveexec_b64 s[0:1], s[8:9]
	s_cbranch_execnz .LBB902_178
; %bb.177:
	s_endpgm
.LBB902_178:
	v_lshlrev_b32_e32 v0, 2, v2
	ds_read_b32 v5, v0
	v_mov_b32_e32 v0, s18
	v_mov_b32_e32 v1, s19
	;; [unrolled: 1-line block ×3, first 2 shown]
	v_lshl_add_u64 v[0:1], v[2:3], 2, v[0:1]
	s_waitcnt lgkmcnt(0)
	v_add_u32_e32 v2, v5, v4
	global_store_dword v[0:1], v2, off
	s_endpgm
	.section	.rodata,"a",@progbits
	.p2align	6, 0x0
	.amdhsa_kernel _ZN7rocprim17ROCPRIM_400000_NS6detail17trampoline_kernelINS0_14default_configENS1_35radix_sort_onesweep_config_selectorIyNS0_10empty_typeEEEZZNS1_29radix_sort_onesweep_iterationIS3_Lb0EN6thrust23THRUST_200600_302600_NS6detail15normal_iteratorINS9_10device_ptrIyEEEESE_PS5_SF_jNS0_19identity_decomposerENS1_16block_id_wrapperIjLb0EEEEE10hipError_tT1_PNSt15iterator_traitsISK_E10value_typeET2_T3_PNSL_ISQ_E10value_typeET4_T5_PSV_SW_PNS1_23onesweep_lookback_stateEbbT6_jjT7_P12ihipStream_tbENKUlT_T0_SK_SP_E_clISE_PySF_SF_EEDaS13_S14_SK_SP_EUlS13_E_NS1_11comp_targetILNS1_3genE5ELNS1_11target_archE942ELNS1_3gpuE9ELNS1_3repE0EEENS1_47radix_sort_onesweep_sort_config_static_selectorELNS0_4arch9wavefront6targetE1EEEvSK_
		.amdhsa_group_segment_fixed_size 10280
		.amdhsa_private_segment_fixed_size 0
		.amdhsa_kernarg_size 344
		.amdhsa_user_sgpr_count 2
		.amdhsa_user_sgpr_dispatch_ptr 0
		.amdhsa_user_sgpr_queue_ptr 0
		.amdhsa_user_sgpr_kernarg_segment_ptr 1
		.amdhsa_user_sgpr_dispatch_id 0
		.amdhsa_user_sgpr_kernarg_preload_length 0
		.amdhsa_user_sgpr_kernarg_preload_offset 0
		.amdhsa_user_sgpr_private_segment_size 0
		.amdhsa_uses_dynamic_stack 0
		.amdhsa_enable_private_segment 0
		.amdhsa_system_sgpr_workgroup_id_x 1
		.amdhsa_system_sgpr_workgroup_id_y 0
		.amdhsa_system_sgpr_workgroup_id_z 0
		.amdhsa_system_sgpr_workgroup_info 0
		.amdhsa_system_vgpr_workitem_id 2
		.amdhsa_next_free_vgpr 78
		.amdhsa_next_free_sgpr 32
		.amdhsa_accum_offset 80
		.amdhsa_reserve_vcc 1
		.amdhsa_float_round_mode_32 0
		.amdhsa_float_round_mode_16_64 0
		.amdhsa_float_denorm_mode_32 3
		.amdhsa_float_denorm_mode_16_64 3
		.amdhsa_dx10_clamp 1
		.amdhsa_ieee_mode 1
		.amdhsa_fp16_overflow 0
		.amdhsa_tg_split 0
		.amdhsa_exception_fp_ieee_invalid_op 0
		.amdhsa_exception_fp_denorm_src 0
		.amdhsa_exception_fp_ieee_div_zero 0
		.amdhsa_exception_fp_ieee_overflow 0
		.amdhsa_exception_fp_ieee_underflow 0
		.amdhsa_exception_fp_ieee_inexact 0
		.amdhsa_exception_int_div_zero 0
	.end_amdhsa_kernel
	.section	.text._ZN7rocprim17ROCPRIM_400000_NS6detail17trampoline_kernelINS0_14default_configENS1_35radix_sort_onesweep_config_selectorIyNS0_10empty_typeEEEZZNS1_29radix_sort_onesweep_iterationIS3_Lb0EN6thrust23THRUST_200600_302600_NS6detail15normal_iteratorINS9_10device_ptrIyEEEESE_PS5_SF_jNS0_19identity_decomposerENS1_16block_id_wrapperIjLb0EEEEE10hipError_tT1_PNSt15iterator_traitsISK_E10value_typeET2_T3_PNSL_ISQ_E10value_typeET4_T5_PSV_SW_PNS1_23onesweep_lookback_stateEbbT6_jjT7_P12ihipStream_tbENKUlT_T0_SK_SP_E_clISE_PySF_SF_EEDaS13_S14_SK_SP_EUlS13_E_NS1_11comp_targetILNS1_3genE5ELNS1_11target_archE942ELNS1_3gpuE9ELNS1_3repE0EEENS1_47radix_sort_onesweep_sort_config_static_selectorELNS0_4arch9wavefront6targetE1EEEvSK_,"axG",@progbits,_ZN7rocprim17ROCPRIM_400000_NS6detail17trampoline_kernelINS0_14default_configENS1_35radix_sort_onesweep_config_selectorIyNS0_10empty_typeEEEZZNS1_29radix_sort_onesweep_iterationIS3_Lb0EN6thrust23THRUST_200600_302600_NS6detail15normal_iteratorINS9_10device_ptrIyEEEESE_PS5_SF_jNS0_19identity_decomposerENS1_16block_id_wrapperIjLb0EEEEE10hipError_tT1_PNSt15iterator_traitsISK_E10value_typeET2_T3_PNSL_ISQ_E10value_typeET4_T5_PSV_SW_PNS1_23onesweep_lookback_stateEbbT6_jjT7_P12ihipStream_tbENKUlT_T0_SK_SP_E_clISE_PySF_SF_EEDaS13_S14_SK_SP_EUlS13_E_NS1_11comp_targetILNS1_3genE5ELNS1_11target_archE942ELNS1_3gpuE9ELNS1_3repE0EEENS1_47radix_sort_onesweep_sort_config_static_selectorELNS0_4arch9wavefront6targetE1EEEvSK_,comdat
.Lfunc_end902:
	.size	_ZN7rocprim17ROCPRIM_400000_NS6detail17trampoline_kernelINS0_14default_configENS1_35radix_sort_onesweep_config_selectorIyNS0_10empty_typeEEEZZNS1_29radix_sort_onesweep_iterationIS3_Lb0EN6thrust23THRUST_200600_302600_NS6detail15normal_iteratorINS9_10device_ptrIyEEEESE_PS5_SF_jNS0_19identity_decomposerENS1_16block_id_wrapperIjLb0EEEEE10hipError_tT1_PNSt15iterator_traitsISK_E10value_typeET2_T3_PNSL_ISQ_E10value_typeET4_T5_PSV_SW_PNS1_23onesweep_lookback_stateEbbT6_jjT7_P12ihipStream_tbENKUlT_T0_SK_SP_E_clISE_PySF_SF_EEDaS13_S14_SK_SP_EUlS13_E_NS1_11comp_targetILNS1_3genE5ELNS1_11target_archE942ELNS1_3gpuE9ELNS1_3repE0EEENS1_47radix_sort_onesweep_sort_config_static_selectorELNS0_4arch9wavefront6targetE1EEEvSK_, .Lfunc_end902-_ZN7rocprim17ROCPRIM_400000_NS6detail17trampoline_kernelINS0_14default_configENS1_35radix_sort_onesweep_config_selectorIyNS0_10empty_typeEEEZZNS1_29radix_sort_onesweep_iterationIS3_Lb0EN6thrust23THRUST_200600_302600_NS6detail15normal_iteratorINS9_10device_ptrIyEEEESE_PS5_SF_jNS0_19identity_decomposerENS1_16block_id_wrapperIjLb0EEEEE10hipError_tT1_PNSt15iterator_traitsISK_E10value_typeET2_T3_PNSL_ISQ_E10value_typeET4_T5_PSV_SW_PNS1_23onesweep_lookback_stateEbbT6_jjT7_P12ihipStream_tbENKUlT_T0_SK_SP_E_clISE_PySF_SF_EEDaS13_S14_SK_SP_EUlS13_E_NS1_11comp_targetILNS1_3genE5ELNS1_11target_archE942ELNS1_3gpuE9ELNS1_3repE0EEENS1_47radix_sort_onesweep_sort_config_static_selectorELNS0_4arch9wavefront6targetE1EEEvSK_
                                        ; -- End function
	.section	.AMDGPU.csdata,"",@progbits
; Kernel info:
; codeLenInByte = 14888
; NumSgprs: 38
; NumVgprs: 78
; NumAgprs: 0
; TotalNumVgprs: 78
; ScratchSize: 0
; MemoryBound: 0
; FloatMode: 240
; IeeeMode: 1
; LDSByteSize: 10280 bytes/workgroup (compile time only)
; SGPRBlocks: 4
; VGPRBlocks: 9
; NumSGPRsForWavesPerEU: 38
; NumVGPRsForWavesPerEU: 78
; AccumOffset: 80
; Occupancy: 6
; WaveLimiterHint : 1
; COMPUTE_PGM_RSRC2:SCRATCH_EN: 0
; COMPUTE_PGM_RSRC2:USER_SGPR: 2
; COMPUTE_PGM_RSRC2:TRAP_HANDLER: 0
; COMPUTE_PGM_RSRC2:TGID_X_EN: 1
; COMPUTE_PGM_RSRC2:TGID_Y_EN: 0
; COMPUTE_PGM_RSRC2:TGID_Z_EN: 0
; COMPUTE_PGM_RSRC2:TIDIG_COMP_CNT: 2
; COMPUTE_PGM_RSRC3_GFX90A:ACCUM_OFFSET: 19
; COMPUTE_PGM_RSRC3_GFX90A:TG_SPLIT: 0
	.section	.text._ZN7rocprim17ROCPRIM_400000_NS6detail17trampoline_kernelINS0_14default_configENS1_35radix_sort_onesweep_config_selectorIyNS0_10empty_typeEEEZZNS1_29radix_sort_onesweep_iterationIS3_Lb0EN6thrust23THRUST_200600_302600_NS6detail15normal_iteratorINS9_10device_ptrIyEEEESE_PS5_SF_jNS0_19identity_decomposerENS1_16block_id_wrapperIjLb0EEEEE10hipError_tT1_PNSt15iterator_traitsISK_E10value_typeET2_T3_PNSL_ISQ_E10value_typeET4_T5_PSV_SW_PNS1_23onesweep_lookback_stateEbbT6_jjT7_P12ihipStream_tbENKUlT_T0_SK_SP_E_clISE_PySF_SF_EEDaS13_S14_SK_SP_EUlS13_E_NS1_11comp_targetILNS1_3genE2ELNS1_11target_archE906ELNS1_3gpuE6ELNS1_3repE0EEENS1_47radix_sort_onesweep_sort_config_static_selectorELNS0_4arch9wavefront6targetE1EEEvSK_,"axG",@progbits,_ZN7rocprim17ROCPRIM_400000_NS6detail17trampoline_kernelINS0_14default_configENS1_35radix_sort_onesweep_config_selectorIyNS0_10empty_typeEEEZZNS1_29radix_sort_onesweep_iterationIS3_Lb0EN6thrust23THRUST_200600_302600_NS6detail15normal_iteratorINS9_10device_ptrIyEEEESE_PS5_SF_jNS0_19identity_decomposerENS1_16block_id_wrapperIjLb0EEEEE10hipError_tT1_PNSt15iterator_traitsISK_E10value_typeET2_T3_PNSL_ISQ_E10value_typeET4_T5_PSV_SW_PNS1_23onesweep_lookback_stateEbbT6_jjT7_P12ihipStream_tbENKUlT_T0_SK_SP_E_clISE_PySF_SF_EEDaS13_S14_SK_SP_EUlS13_E_NS1_11comp_targetILNS1_3genE2ELNS1_11target_archE906ELNS1_3gpuE6ELNS1_3repE0EEENS1_47radix_sort_onesweep_sort_config_static_selectorELNS0_4arch9wavefront6targetE1EEEvSK_,comdat
	.protected	_ZN7rocprim17ROCPRIM_400000_NS6detail17trampoline_kernelINS0_14default_configENS1_35radix_sort_onesweep_config_selectorIyNS0_10empty_typeEEEZZNS1_29radix_sort_onesweep_iterationIS3_Lb0EN6thrust23THRUST_200600_302600_NS6detail15normal_iteratorINS9_10device_ptrIyEEEESE_PS5_SF_jNS0_19identity_decomposerENS1_16block_id_wrapperIjLb0EEEEE10hipError_tT1_PNSt15iterator_traitsISK_E10value_typeET2_T3_PNSL_ISQ_E10value_typeET4_T5_PSV_SW_PNS1_23onesweep_lookback_stateEbbT6_jjT7_P12ihipStream_tbENKUlT_T0_SK_SP_E_clISE_PySF_SF_EEDaS13_S14_SK_SP_EUlS13_E_NS1_11comp_targetILNS1_3genE2ELNS1_11target_archE906ELNS1_3gpuE6ELNS1_3repE0EEENS1_47radix_sort_onesweep_sort_config_static_selectorELNS0_4arch9wavefront6targetE1EEEvSK_ ; -- Begin function _ZN7rocprim17ROCPRIM_400000_NS6detail17trampoline_kernelINS0_14default_configENS1_35radix_sort_onesweep_config_selectorIyNS0_10empty_typeEEEZZNS1_29radix_sort_onesweep_iterationIS3_Lb0EN6thrust23THRUST_200600_302600_NS6detail15normal_iteratorINS9_10device_ptrIyEEEESE_PS5_SF_jNS0_19identity_decomposerENS1_16block_id_wrapperIjLb0EEEEE10hipError_tT1_PNSt15iterator_traitsISK_E10value_typeET2_T3_PNSL_ISQ_E10value_typeET4_T5_PSV_SW_PNS1_23onesweep_lookback_stateEbbT6_jjT7_P12ihipStream_tbENKUlT_T0_SK_SP_E_clISE_PySF_SF_EEDaS13_S14_SK_SP_EUlS13_E_NS1_11comp_targetILNS1_3genE2ELNS1_11target_archE906ELNS1_3gpuE6ELNS1_3repE0EEENS1_47radix_sort_onesweep_sort_config_static_selectorELNS0_4arch9wavefront6targetE1EEEvSK_
	.globl	_ZN7rocprim17ROCPRIM_400000_NS6detail17trampoline_kernelINS0_14default_configENS1_35radix_sort_onesweep_config_selectorIyNS0_10empty_typeEEEZZNS1_29radix_sort_onesweep_iterationIS3_Lb0EN6thrust23THRUST_200600_302600_NS6detail15normal_iteratorINS9_10device_ptrIyEEEESE_PS5_SF_jNS0_19identity_decomposerENS1_16block_id_wrapperIjLb0EEEEE10hipError_tT1_PNSt15iterator_traitsISK_E10value_typeET2_T3_PNSL_ISQ_E10value_typeET4_T5_PSV_SW_PNS1_23onesweep_lookback_stateEbbT6_jjT7_P12ihipStream_tbENKUlT_T0_SK_SP_E_clISE_PySF_SF_EEDaS13_S14_SK_SP_EUlS13_E_NS1_11comp_targetILNS1_3genE2ELNS1_11target_archE906ELNS1_3gpuE6ELNS1_3repE0EEENS1_47radix_sort_onesweep_sort_config_static_selectorELNS0_4arch9wavefront6targetE1EEEvSK_
	.p2align	8
	.type	_ZN7rocprim17ROCPRIM_400000_NS6detail17trampoline_kernelINS0_14default_configENS1_35radix_sort_onesweep_config_selectorIyNS0_10empty_typeEEEZZNS1_29radix_sort_onesweep_iterationIS3_Lb0EN6thrust23THRUST_200600_302600_NS6detail15normal_iteratorINS9_10device_ptrIyEEEESE_PS5_SF_jNS0_19identity_decomposerENS1_16block_id_wrapperIjLb0EEEEE10hipError_tT1_PNSt15iterator_traitsISK_E10value_typeET2_T3_PNSL_ISQ_E10value_typeET4_T5_PSV_SW_PNS1_23onesweep_lookback_stateEbbT6_jjT7_P12ihipStream_tbENKUlT_T0_SK_SP_E_clISE_PySF_SF_EEDaS13_S14_SK_SP_EUlS13_E_NS1_11comp_targetILNS1_3genE2ELNS1_11target_archE906ELNS1_3gpuE6ELNS1_3repE0EEENS1_47radix_sort_onesweep_sort_config_static_selectorELNS0_4arch9wavefront6targetE1EEEvSK_,@function
_ZN7rocprim17ROCPRIM_400000_NS6detail17trampoline_kernelINS0_14default_configENS1_35radix_sort_onesweep_config_selectorIyNS0_10empty_typeEEEZZNS1_29radix_sort_onesweep_iterationIS3_Lb0EN6thrust23THRUST_200600_302600_NS6detail15normal_iteratorINS9_10device_ptrIyEEEESE_PS5_SF_jNS0_19identity_decomposerENS1_16block_id_wrapperIjLb0EEEEE10hipError_tT1_PNSt15iterator_traitsISK_E10value_typeET2_T3_PNSL_ISQ_E10value_typeET4_T5_PSV_SW_PNS1_23onesweep_lookback_stateEbbT6_jjT7_P12ihipStream_tbENKUlT_T0_SK_SP_E_clISE_PySF_SF_EEDaS13_S14_SK_SP_EUlS13_E_NS1_11comp_targetILNS1_3genE2ELNS1_11target_archE906ELNS1_3gpuE6ELNS1_3repE0EEENS1_47radix_sort_onesweep_sort_config_static_selectorELNS0_4arch9wavefront6targetE1EEEvSK_: ; @_ZN7rocprim17ROCPRIM_400000_NS6detail17trampoline_kernelINS0_14default_configENS1_35radix_sort_onesweep_config_selectorIyNS0_10empty_typeEEEZZNS1_29radix_sort_onesweep_iterationIS3_Lb0EN6thrust23THRUST_200600_302600_NS6detail15normal_iteratorINS9_10device_ptrIyEEEESE_PS5_SF_jNS0_19identity_decomposerENS1_16block_id_wrapperIjLb0EEEEE10hipError_tT1_PNSt15iterator_traitsISK_E10value_typeET2_T3_PNSL_ISQ_E10value_typeET4_T5_PSV_SW_PNS1_23onesweep_lookback_stateEbbT6_jjT7_P12ihipStream_tbENKUlT_T0_SK_SP_E_clISE_PySF_SF_EEDaS13_S14_SK_SP_EUlS13_E_NS1_11comp_targetILNS1_3genE2ELNS1_11target_archE906ELNS1_3gpuE6ELNS1_3repE0EEENS1_47radix_sort_onesweep_sort_config_static_selectorELNS0_4arch9wavefront6targetE1EEEvSK_
; %bb.0:
	.section	.rodata,"a",@progbits
	.p2align	6, 0x0
	.amdhsa_kernel _ZN7rocprim17ROCPRIM_400000_NS6detail17trampoline_kernelINS0_14default_configENS1_35radix_sort_onesweep_config_selectorIyNS0_10empty_typeEEEZZNS1_29radix_sort_onesweep_iterationIS3_Lb0EN6thrust23THRUST_200600_302600_NS6detail15normal_iteratorINS9_10device_ptrIyEEEESE_PS5_SF_jNS0_19identity_decomposerENS1_16block_id_wrapperIjLb0EEEEE10hipError_tT1_PNSt15iterator_traitsISK_E10value_typeET2_T3_PNSL_ISQ_E10value_typeET4_T5_PSV_SW_PNS1_23onesweep_lookback_stateEbbT6_jjT7_P12ihipStream_tbENKUlT_T0_SK_SP_E_clISE_PySF_SF_EEDaS13_S14_SK_SP_EUlS13_E_NS1_11comp_targetILNS1_3genE2ELNS1_11target_archE906ELNS1_3gpuE6ELNS1_3repE0EEENS1_47radix_sort_onesweep_sort_config_static_selectorELNS0_4arch9wavefront6targetE1EEEvSK_
		.amdhsa_group_segment_fixed_size 0
		.amdhsa_private_segment_fixed_size 0
		.amdhsa_kernarg_size 88
		.amdhsa_user_sgpr_count 2
		.amdhsa_user_sgpr_dispatch_ptr 0
		.amdhsa_user_sgpr_queue_ptr 0
		.amdhsa_user_sgpr_kernarg_segment_ptr 1
		.amdhsa_user_sgpr_dispatch_id 0
		.amdhsa_user_sgpr_kernarg_preload_length 0
		.amdhsa_user_sgpr_kernarg_preload_offset 0
		.amdhsa_user_sgpr_private_segment_size 0
		.amdhsa_uses_dynamic_stack 0
		.amdhsa_enable_private_segment 0
		.amdhsa_system_sgpr_workgroup_id_x 1
		.amdhsa_system_sgpr_workgroup_id_y 0
		.amdhsa_system_sgpr_workgroup_id_z 0
		.amdhsa_system_sgpr_workgroup_info 0
		.amdhsa_system_vgpr_workitem_id 0
		.amdhsa_next_free_vgpr 1
		.amdhsa_next_free_sgpr 0
		.amdhsa_accum_offset 4
		.amdhsa_reserve_vcc 0
		.amdhsa_float_round_mode_32 0
		.amdhsa_float_round_mode_16_64 0
		.amdhsa_float_denorm_mode_32 3
		.amdhsa_float_denorm_mode_16_64 3
		.amdhsa_dx10_clamp 1
		.amdhsa_ieee_mode 1
		.amdhsa_fp16_overflow 0
		.amdhsa_tg_split 0
		.amdhsa_exception_fp_ieee_invalid_op 0
		.amdhsa_exception_fp_denorm_src 0
		.amdhsa_exception_fp_ieee_div_zero 0
		.amdhsa_exception_fp_ieee_overflow 0
		.amdhsa_exception_fp_ieee_underflow 0
		.amdhsa_exception_fp_ieee_inexact 0
		.amdhsa_exception_int_div_zero 0
	.end_amdhsa_kernel
	.section	.text._ZN7rocprim17ROCPRIM_400000_NS6detail17trampoline_kernelINS0_14default_configENS1_35radix_sort_onesweep_config_selectorIyNS0_10empty_typeEEEZZNS1_29radix_sort_onesweep_iterationIS3_Lb0EN6thrust23THRUST_200600_302600_NS6detail15normal_iteratorINS9_10device_ptrIyEEEESE_PS5_SF_jNS0_19identity_decomposerENS1_16block_id_wrapperIjLb0EEEEE10hipError_tT1_PNSt15iterator_traitsISK_E10value_typeET2_T3_PNSL_ISQ_E10value_typeET4_T5_PSV_SW_PNS1_23onesweep_lookback_stateEbbT6_jjT7_P12ihipStream_tbENKUlT_T0_SK_SP_E_clISE_PySF_SF_EEDaS13_S14_SK_SP_EUlS13_E_NS1_11comp_targetILNS1_3genE2ELNS1_11target_archE906ELNS1_3gpuE6ELNS1_3repE0EEENS1_47radix_sort_onesweep_sort_config_static_selectorELNS0_4arch9wavefront6targetE1EEEvSK_,"axG",@progbits,_ZN7rocprim17ROCPRIM_400000_NS6detail17trampoline_kernelINS0_14default_configENS1_35radix_sort_onesweep_config_selectorIyNS0_10empty_typeEEEZZNS1_29radix_sort_onesweep_iterationIS3_Lb0EN6thrust23THRUST_200600_302600_NS6detail15normal_iteratorINS9_10device_ptrIyEEEESE_PS5_SF_jNS0_19identity_decomposerENS1_16block_id_wrapperIjLb0EEEEE10hipError_tT1_PNSt15iterator_traitsISK_E10value_typeET2_T3_PNSL_ISQ_E10value_typeET4_T5_PSV_SW_PNS1_23onesweep_lookback_stateEbbT6_jjT7_P12ihipStream_tbENKUlT_T0_SK_SP_E_clISE_PySF_SF_EEDaS13_S14_SK_SP_EUlS13_E_NS1_11comp_targetILNS1_3genE2ELNS1_11target_archE906ELNS1_3gpuE6ELNS1_3repE0EEENS1_47radix_sort_onesweep_sort_config_static_selectorELNS0_4arch9wavefront6targetE1EEEvSK_,comdat
.Lfunc_end903:
	.size	_ZN7rocprim17ROCPRIM_400000_NS6detail17trampoline_kernelINS0_14default_configENS1_35radix_sort_onesweep_config_selectorIyNS0_10empty_typeEEEZZNS1_29radix_sort_onesweep_iterationIS3_Lb0EN6thrust23THRUST_200600_302600_NS6detail15normal_iteratorINS9_10device_ptrIyEEEESE_PS5_SF_jNS0_19identity_decomposerENS1_16block_id_wrapperIjLb0EEEEE10hipError_tT1_PNSt15iterator_traitsISK_E10value_typeET2_T3_PNSL_ISQ_E10value_typeET4_T5_PSV_SW_PNS1_23onesweep_lookback_stateEbbT6_jjT7_P12ihipStream_tbENKUlT_T0_SK_SP_E_clISE_PySF_SF_EEDaS13_S14_SK_SP_EUlS13_E_NS1_11comp_targetILNS1_3genE2ELNS1_11target_archE906ELNS1_3gpuE6ELNS1_3repE0EEENS1_47radix_sort_onesweep_sort_config_static_selectorELNS0_4arch9wavefront6targetE1EEEvSK_, .Lfunc_end903-_ZN7rocprim17ROCPRIM_400000_NS6detail17trampoline_kernelINS0_14default_configENS1_35radix_sort_onesweep_config_selectorIyNS0_10empty_typeEEEZZNS1_29radix_sort_onesweep_iterationIS3_Lb0EN6thrust23THRUST_200600_302600_NS6detail15normal_iteratorINS9_10device_ptrIyEEEESE_PS5_SF_jNS0_19identity_decomposerENS1_16block_id_wrapperIjLb0EEEEE10hipError_tT1_PNSt15iterator_traitsISK_E10value_typeET2_T3_PNSL_ISQ_E10value_typeET4_T5_PSV_SW_PNS1_23onesweep_lookback_stateEbbT6_jjT7_P12ihipStream_tbENKUlT_T0_SK_SP_E_clISE_PySF_SF_EEDaS13_S14_SK_SP_EUlS13_E_NS1_11comp_targetILNS1_3genE2ELNS1_11target_archE906ELNS1_3gpuE6ELNS1_3repE0EEENS1_47radix_sort_onesweep_sort_config_static_selectorELNS0_4arch9wavefront6targetE1EEEvSK_
                                        ; -- End function
	.section	.AMDGPU.csdata,"",@progbits
; Kernel info:
; codeLenInByte = 0
; NumSgprs: 6
; NumVgprs: 0
; NumAgprs: 0
; TotalNumVgprs: 0
; ScratchSize: 0
; MemoryBound: 0
; FloatMode: 240
; IeeeMode: 1
; LDSByteSize: 0 bytes/workgroup (compile time only)
; SGPRBlocks: 0
; VGPRBlocks: 0
; NumSGPRsForWavesPerEU: 6
; NumVGPRsForWavesPerEU: 1
; AccumOffset: 4
; Occupancy: 8
; WaveLimiterHint : 0
; COMPUTE_PGM_RSRC2:SCRATCH_EN: 0
; COMPUTE_PGM_RSRC2:USER_SGPR: 2
; COMPUTE_PGM_RSRC2:TRAP_HANDLER: 0
; COMPUTE_PGM_RSRC2:TGID_X_EN: 1
; COMPUTE_PGM_RSRC2:TGID_Y_EN: 0
; COMPUTE_PGM_RSRC2:TGID_Z_EN: 0
; COMPUTE_PGM_RSRC2:TIDIG_COMP_CNT: 0
; COMPUTE_PGM_RSRC3_GFX90A:ACCUM_OFFSET: 0
; COMPUTE_PGM_RSRC3_GFX90A:TG_SPLIT: 0
	.section	.text._ZN7rocprim17ROCPRIM_400000_NS6detail17trampoline_kernelINS0_14default_configENS1_35radix_sort_onesweep_config_selectorIyNS0_10empty_typeEEEZZNS1_29radix_sort_onesweep_iterationIS3_Lb0EN6thrust23THRUST_200600_302600_NS6detail15normal_iteratorINS9_10device_ptrIyEEEESE_PS5_SF_jNS0_19identity_decomposerENS1_16block_id_wrapperIjLb0EEEEE10hipError_tT1_PNSt15iterator_traitsISK_E10value_typeET2_T3_PNSL_ISQ_E10value_typeET4_T5_PSV_SW_PNS1_23onesweep_lookback_stateEbbT6_jjT7_P12ihipStream_tbENKUlT_T0_SK_SP_E_clISE_PySF_SF_EEDaS13_S14_SK_SP_EUlS13_E_NS1_11comp_targetILNS1_3genE4ELNS1_11target_archE910ELNS1_3gpuE8ELNS1_3repE0EEENS1_47radix_sort_onesweep_sort_config_static_selectorELNS0_4arch9wavefront6targetE1EEEvSK_,"axG",@progbits,_ZN7rocprim17ROCPRIM_400000_NS6detail17trampoline_kernelINS0_14default_configENS1_35radix_sort_onesweep_config_selectorIyNS0_10empty_typeEEEZZNS1_29radix_sort_onesweep_iterationIS3_Lb0EN6thrust23THRUST_200600_302600_NS6detail15normal_iteratorINS9_10device_ptrIyEEEESE_PS5_SF_jNS0_19identity_decomposerENS1_16block_id_wrapperIjLb0EEEEE10hipError_tT1_PNSt15iterator_traitsISK_E10value_typeET2_T3_PNSL_ISQ_E10value_typeET4_T5_PSV_SW_PNS1_23onesweep_lookback_stateEbbT6_jjT7_P12ihipStream_tbENKUlT_T0_SK_SP_E_clISE_PySF_SF_EEDaS13_S14_SK_SP_EUlS13_E_NS1_11comp_targetILNS1_3genE4ELNS1_11target_archE910ELNS1_3gpuE8ELNS1_3repE0EEENS1_47radix_sort_onesweep_sort_config_static_selectorELNS0_4arch9wavefront6targetE1EEEvSK_,comdat
	.protected	_ZN7rocprim17ROCPRIM_400000_NS6detail17trampoline_kernelINS0_14default_configENS1_35radix_sort_onesweep_config_selectorIyNS0_10empty_typeEEEZZNS1_29radix_sort_onesweep_iterationIS3_Lb0EN6thrust23THRUST_200600_302600_NS6detail15normal_iteratorINS9_10device_ptrIyEEEESE_PS5_SF_jNS0_19identity_decomposerENS1_16block_id_wrapperIjLb0EEEEE10hipError_tT1_PNSt15iterator_traitsISK_E10value_typeET2_T3_PNSL_ISQ_E10value_typeET4_T5_PSV_SW_PNS1_23onesweep_lookback_stateEbbT6_jjT7_P12ihipStream_tbENKUlT_T0_SK_SP_E_clISE_PySF_SF_EEDaS13_S14_SK_SP_EUlS13_E_NS1_11comp_targetILNS1_3genE4ELNS1_11target_archE910ELNS1_3gpuE8ELNS1_3repE0EEENS1_47radix_sort_onesweep_sort_config_static_selectorELNS0_4arch9wavefront6targetE1EEEvSK_ ; -- Begin function _ZN7rocprim17ROCPRIM_400000_NS6detail17trampoline_kernelINS0_14default_configENS1_35radix_sort_onesweep_config_selectorIyNS0_10empty_typeEEEZZNS1_29radix_sort_onesweep_iterationIS3_Lb0EN6thrust23THRUST_200600_302600_NS6detail15normal_iteratorINS9_10device_ptrIyEEEESE_PS5_SF_jNS0_19identity_decomposerENS1_16block_id_wrapperIjLb0EEEEE10hipError_tT1_PNSt15iterator_traitsISK_E10value_typeET2_T3_PNSL_ISQ_E10value_typeET4_T5_PSV_SW_PNS1_23onesweep_lookback_stateEbbT6_jjT7_P12ihipStream_tbENKUlT_T0_SK_SP_E_clISE_PySF_SF_EEDaS13_S14_SK_SP_EUlS13_E_NS1_11comp_targetILNS1_3genE4ELNS1_11target_archE910ELNS1_3gpuE8ELNS1_3repE0EEENS1_47radix_sort_onesweep_sort_config_static_selectorELNS0_4arch9wavefront6targetE1EEEvSK_
	.globl	_ZN7rocprim17ROCPRIM_400000_NS6detail17trampoline_kernelINS0_14default_configENS1_35radix_sort_onesweep_config_selectorIyNS0_10empty_typeEEEZZNS1_29radix_sort_onesweep_iterationIS3_Lb0EN6thrust23THRUST_200600_302600_NS6detail15normal_iteratorINS9_10device_ptrIyEEEESE_PS5_SF_jNS0_19identity_decomposerENS1_16block_id_wrapperIjLb0EEEEE10hipError_tT1_PNSt15iterator_traitsISK_E10value_typeET2_T3_PNSL_ISQ_E10value_typeET4_T5_PSV_SW_PNS1_23onesweep_lookback_stateEbbT6_jjT7_P12ihipStream_tbENKUlT_T0_SK_SP_E_clISE_PySF_SF_EEDaS13_S14_SK_SP_EUlS13_E_NS1_11comp_targetILNS1_3genE4ELNS1_11target_archE910ELNS1_3gpuE8ELNS1_3repE0EEENS1_47radix_sort_onesweep_sort_config_static_selectorELNS0_4arch9wavefront6targetE1EEEvSK_
	.p2align	8
	.type	_ZN7rocprim17ROCPRIM_400000_NS6detail17trampoline_kernelINS0_14default_configENS1_35radix_sort_onesweep_config_selectorIyNS0_10empty_typeEEEZZNS1_29radix_sort_onesweep_iterationIS3_Lb0EN6thrust23THRUST_200600_302600_NS6detail15normal_iteratorINS9_10device_ptrIyEEEESE_PS5_SF_jNS0_19identity_decomposerENS1_16block_id_wrapperIjLb0EEEEE10hipError_tT1_PNSt15iterator_traitsISK_E10value_typeET2_T3_PNSL_ISQ_E10value_typeET4_T5_PSV_SW_PNS1_23onesweep_lookback_stateEbbT6_jjT7_P12ihipStream_tbENKUlT_T0_SK_SP_E_clISE_PySF_SF_EEDaS13_S14_SK_SP_EUlS13_E_NS1_11comp_targetILNS1_3genE4ELNS1_11target_archE910ELNS1_3gpuE8ELNS1_3repE0EEENS1_47radix_sort_onesweep_sort_config_static_selectorELNS0_4arch9wavefront6targetE1EEEvSK_,@function
_ZN7rocprim17ROCPRIM_400000_NS6detail17trampoline_kernelINS0_14default_configENS1_35radix_sort_onesweep_config_selectorIyNS0_10empty_typeEEEZZNS1_29radix_sort_onesweep_iterationIS3_Lb0EN6thrust23THRUST_200600_302600_NS6detail15normal_iteratorINS9_10device_ptrIyEEEESE_PS5_SF_jNS0_19identity_decomposerENS1_16block_id_wrapperIjLb0EEEEE10hipError_tT1_PNSt15iterator_traitsISK_E10value_typeET2_T3_PNSL_ISQ_E10value_typeET4_T5_PSV_SW_PNS1_23onesweep_lookback_stateEbbT6_jjT7_P12ihipStream_tbENKUlT_T0_SK_SP_E_clISE_PySF_SF_EEDaS13_S14_SK_SP_EUlS13_E_NS1_11comp_targetILNS1_3genE4ELNS1_11target_archE910ELNS1_3gpuE8ELNS1_3repE0EEENS1_47radix_sort_onesweep_sort_config_static_selectorELNS0_4arch9wavefront6targetE1EEEvSK_: ; @_ZN7rocprim17ROCPRIM_400000_NS6detail17trampoline_kernelINS0_14default_configENS1_35radix_sort_onesweep_config_selectorIyNS0_10empty_typeEEEZZNS1_29radix_sort_onesweep_iterationIS3_Lb0EN6thrust23THRUST_200600_302600_NS6detail15normal_iteratorINS9_10device_ptrIyEEEESE_PS5_SF_jNS0_19identity_decomposerENS1_16block_id_wrapperIjLb0EEEEE10hipError_tT1_PNSt15iterator_traitsISK_E10value_typeET2_T3_PNSL_ISQ_E10value_typeET4_T5_PSV_SW_PNS1_23onesweep_lookback_stateEbbT6_jjT7_P12ihipStream_tbENKUlT_T0_SK_SP_E_clISE_PySF_SF_EEDaS13_S14_SK_SP_EUlS13_E_NS1_11comp_targetILNS1_3genE4ELNS1_11target_archE910ELNS1_3gpuE8ELNS1_3repE0EEENS1_47radix_sort_onesweep_sort_config_static_selectorELNS0_4arch9wavefront6targetE1EEEvSK_
; %bb.0:
	.section	.rodata,"a",@progbits
	.p2align	6, 0x0
	.amdhsa_kernel _ZN7rocprim17ROCPRIM_400000_NS6detail17trampoline_kernelINS0_14default_configENS1_35radix_sort_onesweep_config_selectorIyNS0_10empty_typeEEEZZNS1_29radix_sort_onesweep_iterationIS3_Lb0EN6thrust23THRUST_200600_302600_NS6detail15normal_iteratorINS9_10device_ptrIyEEEESE_PS5_SF_jNS0_19identity_decomposerENS1_16block_id_wrapperIjLb0EEEEE10hipError_tT1_PNSt15iterator_traitsISK_E10value_typeET2_T3_PNSL_ISQ_E10value_typeET4_T5_PSV_SW_PNS1_23onesweep_lookback_stateEbbT6_jjT7_P12ihipStream_tbENKUlT_T0_SK_SP_E_clISE_PySF_SF_EEDaS13_S14_SK_SP_EUlS13_E_NS1_11comp_targetILNS1_3genE4ELNS1_11target_archE910ELNS1_3gpuE8ELNS1_3repE0EEENS1_47radix_sort_onesweep_sort_config_static_selectorELNS0_4arch9wavefront6targetE1EEEvSK_
		.amdhsa_group_segment_fixed_size 0
		.amdhsa_private_segment_fixed_size 0
		.amdhsa_kernarg_size 88
		.amdhsa_user_sgpr_count 2
		.amdhsa_user_sgpr_dispatch_ptr 0
		.amdhsa_user_sgpr_queue_ptr 0
		.amdhsa_user_sgpr_kernarg_segment_ptr 1
		.amdhsa_user_sgpr_dispatch_id 0
		.amdhsa_user_sgpr_kernarg_preload_length 0
		.amdhsa_user_sgpr_kernarg_preload_offset 0
		.amdhsa_user_sgpr_private_segment_size 0
		.amdhsa_uses_dynamic_stack 0
		.amdhsa_enable_private_segment 0
		.amdhsa_system_sgpr_workgroup_id_x 1
		.amdhsa_system_sgpr_workgroup_id_y 0
		.amdhsa_system_sgpr_workgroup_id_z 0
		.amdhsa_system_sgpr_workgroup_info 0
		.amdhsa_system_vgpr_workitem_id 0
		.amdhsa_next_free_vgpr 1
		.amdhsa_next_free_sgpr 0
		.amdhsa_accum_offset 4
		.amdhsa_reserve_vcc 0
		.amdhsa_float_round_mode_32 0
		.amdhsa_float_round_mode_16_64 0
		.amdhsa_float_denorm_mode_32 3
		.amdhsa_float_denorm_mode_16_64 3
		.amdhsa_dx10_clamp 1
		.amdhsa_ieee_mode 1
		.amdhsa_fp16_overflow 0
		.amdhsa_tg_split 0
		.amdhsa_exception_fp_ieee_invalid_op 0
		.amdhsa_exception_fp_denorm_src 0
		.amdhsa_exception_fp_ieee_div_zero 0
		.amdhsa_exception_fp_ieee_overflow 0
		.amdhsa_exception_fp_ieee_underflow 0
		.amdhsa_exception_fp_ieee_inexact 0
		.amdhsa_exception_int_div_zero 0
	.end_amdhsa_kernel
	.section	.text._ZN7rocprim17ROCPRIM_400000_NS6detail17trampoline_kernelINS0_14default_configENS1_35radix_sort_onesweep_config_selectorIyNS0_10empty_typeEEEZZNS1_29radix_sort_onesweep_iterationIS3_Lb0EN6thrust23THRUST_200600_302600_NS6detail15normal_iteratorINS9_10device_ptrIyEEEESE_PS5_SF_jNS0_19identity_decomposerENS1_16block_id_wrapperIjLb0EEEEE10hipError_tT1_PNSt15iterator_traitsISK_E10value_typeET2_T3_PNSL_ISQ_E10value_typeET4_T5_PSV_SW_PNS1_23onesweep_lookback_stateEbbT6_jjT7_P12ihipStream_tbENKUlT_T0_SK_SP_E_clISE_PySF_SF_EEDaS13_S14_SK_SP_EUlS13_E_NS1_11comp_targetILNS1_3genE4ELNS1_11target_archE910ELNS1_3gpuE8ELNS1_3repE0EEENS1_47radix_sort_onesweep_sort_config_static_selectorELNS0_4arch9wavefront6targetE1EEEvSK_,"axG",@progbits,_ZN7rocprim17ROCPRIM_400000_NS6detail17trampoline_kernelINS0_14default_configENS1_35radix_sort_onesweep_config_selectorIyNS0_10empty_typeEEEZZNS1_29radix_sort_onesweep_iterationIS3_Lb0EN6thrust23THRUST_200600_302600_NS6detail15normal_iteratorINS9_10device_ptrIyEEEESE_PS5_SF_jNS0_19identity_decomposerENS1_16block_id_wrapperIjLb0EEEEE10hipError_tT1_PNSt15iterator_traitsISK_E10value_typeET2_T3_PNSL_ISQ_E10value_typeET4_T5_PSV_SW_PNS1_23onesweep_lookback_stateEbbT6_jjT7_P12ihipStream_tbENKUlT_T0_SK_SP_E_clISE_PySF_SF_EEDaS13_S14_SK_SP_EUlS13_E_NS1_11comp_targetILNS1_3genE4ELNS1_11target_archE910ELNS1_3gpuE8ELNS1_3repE0EEENS1_47radix_sort_onesweep_sort_config_static_selectorELNS0_4arch9wavefront6targetE1EEEvSK_,comdat
.Lfunc_end904:
	.size	_ZN7rocprim17ROCPRIM_400000_NS6detail17trampoline_kernelINS0_14default_configENS1_35radix_sort_onesweep_config_selectorIyNS0_10empty_typeEEEZZNS1_29radix_sort_onesweep_iterationIS3_Lb0EN6thrust23THRUST_200600_302600_NS6detail15normal_iteratorINS9_10device_ptrIyEEEESE_PS5_SF_jNS0_19identity_decomposerENS1_16block_id_wrapperIjLb0EEEEE10hipError_tT1_PNSt15iterator_traitsISK_E10value_typeET2_T3_PNSL_ISQ_E10value_typeET4_T5_PSV_SW_PNS1_23onesweep_lookback_stateEbbT6_jjT7_P12ihipStream_tbENKUlT_T0_SK_SP_E_clISE_PySF_SF_EEDaS13_S14_SK_SP_EUlS13_E_NS1_11comp_targetILNS1_3genE4ELNS1_11target_archE910ELNS1_3gpuE8ELNS1_3repE0EEENS1_47radix_sort_onesweep_sort_config_static_selectorELNS0_4arch9wavefront6targetE1EEEvSK_, .Lfunc_end904-_ZN7rocprim17ROCPRIM_400000_NS6detail17trampoline_kernelINS0_14default_configENS1_35radix_sort_onesweep_config_selectorIyNS0_10empty_typeEEEZZNS1_29radix_sort_onesweep_iterationIS3_Lb0EN6thrust23THRUST_200600_302600_NS6detail15normal_iteratorINS9_10device_ptrIyEEEESE_PS5_SF_jNS0_19identity_decomposerENS1_16block_id_wrapperIjLb0EEEEE10hipError_tT1_PNSt15iterator_traitsISK_E10value_typeET2_T3_PNSL_ISQ_E10value_typeET4_T5_PSV_SW_PNS1_23onesweep_lookback_stateEbbT6_jjT7_P12ihipStream_tbENKUlT_T0_SK_SP_E_clISE_PySF_SF_EEDaS13_S14_SK_SP_EUlS13_E_NS1_11comp_targetILNS1_3genE4ELNS1_11target_archE910ELNS1_3gpuE8ELNS1_3repE0EEENS1_47radix_sort_onesweep_sort_config_static_selectorELNS0_4arch9wavefront6targetE1EEEvSK_
                                        ; -- End function
	.section	.AMDGPU.csdata,"",@progbits
; Kernel info:
; codeLenInByte = 0
; NumSgprs: 6
; NumVgprs: 0
; NumAgprs: 0
; TotalNumVgprs: 0
; ScratchSize: 0
; MemoryBound: 0
; FloatMode: 240
; IeeeMode: 1
; LDSByteSize: 0 bytes/workgroup (compile time only)
; SGPRBlocks: 0
; VGPRBlocks: 0
; NumSGPRsForWavesPerEU: 6
; NumVGPRsForWavesPerEU: 1
; AccumOffset: 4
; Occupancy: 8
; WaveLimiterHint : 0
; COMPUTE_PGM_RSRC2:SCRATCH_EN: 0
; COMPUTE_PGM_RSRC2:USER_SGPR: 2
; COMPUTE_PGM_RSRC2:TRAP_HANDLER: 0
; COMPUTE_PGM_RSRC2:TGID_X_EN: 1
; COMPUTE_PGM_RSRC2:TGID_Y_EN: 0
; COMPUTE_PGM_RSRC2:TGID_Z_EN: 0
; COMPUTE_PGM_RSRC2:TIDIG_COMP_CNT: 0
; COMPUTE_PGM_RSRC3_GFX90A:ACCUM_OFFSET: 0
; COMPUTE_PGM_RSRC3_GFX90A:TG_SPLIT: 0
	.section	.text._ZN7rocprim17ROCPRIM_400000_NS6detail17trampoline_kernelINS0_14default_configENS1_35radix_sort_onesweep_config_selectorIyNS0_10empty_typeEEEZZNS1_29radix_sort_onesweep_iterationIS3_Lb0EN6thrust23THRUST_200600_302600_NS6detail15normal_iteratorINS9_10device_ptrIyEEEESE_PS5_SF_jNS0_19identity_decomposerENS1_16block_id_wrapperIjLb0EEEEE10hipError_tT1_PNSt15iterator_traitsISK_E10value_typeET2_T3_PNSL_ISQ_E10value_typeET4_T5_PSV_SW_PNS1_23onesweep_lookback_stateEbbT6_jjT7_P12ihipStream_tbENKUlT_T0_SK_SP_E_clISE_PySF_SF_EEDaS13_S14_SK_SP_EUlS13_E_NS1_11comp_targetILNS1_3genE3ELNS1_11target_archE908ELNS1_3gpuE7ELNS1_3repE0EEENS1_47radix_sort_onesweep_sort_config_static_selectorELNS0_4arch9wavefront6targetE1EEEvSK_,"axG",@progbits,_ZN7rocprim17ROCPRIM_400000_NS6detail17trampoline_kernelINS0_14default_configENS1_35radix_sort_onesweep_config_selectorIyNS0_10empty_typeEEEZZNS1_29radix_sort_onesweep_iterationIS3_Lb0EN6thrust23THRUST_200600_302600_NS6detail15normal_iteratorINS9_10device_ptrIyEEEESE_PS5_SF_jNS0_19identity_decomposerENS1_16block_id_wrapperIjLb0EEEEE10hipError_tT1_PNSt15iterator_traitsISK_E10value_typeET2_T3_PNSL_ISQ_E10value_typeET4_T5_PSV_SW_PNS1_23onesweep_lookback_stateEbbT6_jjT7_P12ihipStream_tbENKUlT_T0_SK_SP_E_clISE_PySF_SF_EEDaS13_S14_SK_SP_EUlS13_E_NS1_11comp_targetILNS1_3genE3ELNS1_11target_archE908ELNS1_3gpuE7ELNS1_3repE0EEENS1_47radix_sort_onesweep_sort_config_static_selectorELNS0_4arch9wavefront6targetE1EEEvSK_,comdat
	.protected	_ZN7rocprim17ROCPRIM_400000_NS6detail17trampoline_kernelINS0_14default_configENS1_35radix_sort_onesweep_config_selectorIyNS0_10empty_typeEEEZZNS1_29radix_sort_onesweep_iterationIS3_Lb0EN6thrust23THRUST_200600_302600_NS6detail15normal_iteratorINS9_10device_ptrIyEEEESE_PS5_SF_jNS0_19identity_decomposerENS1_16block_id_wrapperIjLb0EEEEE10hipError_tT1_PNSt15iterator_traitsISK_E10value_typeET2_T3_PNSL_ISQ_E10value_typeET4_T5_PSV_SW_PNS1_23onesweep_lookback_stateEbbT6_jjT7_P12ihipStream_tbENKUlT_T0_SK_SP_E_clISE_PySF_SF_EEDaS13_S14_SK_SP_EUlS13_E_NS1_11comp_targetILNS1_3genE3ELNS1_11target_archE908ELNS1_3gpuE7ELNS1_3repE0EEENS1_47radix_sort_onesweep_sort_config_static_selectorELNS0_4arch9wavefront6targetE1EEEvSK_ ; -- Begin function _ZN7rocprim17ROCPRIM_400000_NS6detail17trampoline_kernelINS0_14default_configENS1_35radix_sort_onesweep_config_selectorIyNS0_10empty_typeEEEZZNS1_29radix_sort_onesweep_iterationIS3_Lb0EN6thrust23THRUST_200600_302600_NS6detail15normal_iteratorINS9_10device_ptrIyEEEESE_PS5_SF_jNS0_19identity_decomposerENS1_16block_id_wrapperIjLb0EEEEE10hipError_tT1_PNSt15iterator_traitsISK_E10value_typeET2_T3_PNSL_ISQ_E10value_typeET4_T5_PSV_SW_PNS1_23onesweep_lookback_stateEbbT6_jjT7_P12ihipStream_tbENKUlT_T0_SK_SP_E_clISE_PySF_SF_EEDaS13_S14_SK_SP_EUlS13_E_NS1_11comp_targetILNS1_3genE3ELNS1_11target_archE908ELNS1_3gpuE7ELNS1_3repE0EEENS1_47radix_sort_onesweep_sort_config_static_selectorELNS0_4arch9wavefront6targetE1EEEvSK_
	.globl	_ZN7rocprim17ROCPRIM_400000_NS6detail17trampoline_kernelINS0_14default_configENS1_35radix_sort_onesweep_config_selectorIyNS0_10empty_typeEEEZZNS1_29radix_sort_onesweep_iterationIS3_Lb0EN6thrust23THRUST_200600_302600_NS6detail15normal_iteratorINS9_10device_ptrIyEEEESE_PS5_SF_jNS0_19identity_decomposerENS1_16block_id_wrapperIjLb0EEEEE10hipError_tT1_PNSt15iterator_traitsISK_E10value_typeET2_T3_PNSL_ISQ_E10value_typeET4_T5_PSV_SW_PNS1_23onesweep_lookback_stateEbbT6_jjT7_P12ihipStream_tbENKUlT_T0_SK_SP_E_clISE_PySF_SF_EEDaS13_S14_SK_SP_EUlS13_E_NS1_11comp_targetILNS1_3genE3ELNS1_11target_archE908ELNS1_3gpuE7ELNS1_3repE0EEENS1_47radix_sort_onesweep_sort_config_static_selectorELNS0_4arch9wavefront6targetE1EEEvSK_
	.p2align	8
	.type	_ZN7rocprim17ROCPRIM_400000_NS6detail17trampoline_kernelINS0_14default_configENS1_35radix_sort_onesweep_config_selectorIyNS0_10empty_typeEEEZZNS1_29radix_sort_onesweep_iterationIS3_Lb0EN6thrust23THRUST_200600_302600_NS6detail15normal_iteratorINS9_10device_ptrIyEEEESE_PS5_SF_jNS0_19identity_decomposerENS1_16block_id_wrapperIjLb0EEEEE10hipError_tT1_PNSt15iterator_traitsISK_E10value_typeET2_T3_PNSL_ISQ_E10value_typeET4_T5_PSV_SW_PNS1_23onesweep_lookback_stateEbbT6_jjT7_P12ihipStream_tbENKUlT_T0_SK_SP_E_clISE_PySF_SF_EEDaS13_S14_SK_SP_EUlS13_E_NS1_11comp_targetILNS1_3genE3ELNS1_11target_archE908ELNS1_3gpuE7ELNS1_3repE0EEENS1_47radix_sort_onesweep_sort_config_static_selectorELNS0_4arch9wavefront6targetE1EEEvSK_,@function
_ZN7rocprim17ROCPRIM_400000_NS6detail17trampoline_kernelINS0_14default_configENS1_35radix_sort_onesweep_config_selectorIyNS0_10empty_typeEEEZZNS1_29radix_sort_onesweep_iterationIS3_Lb0EN6thrust23THRUST_200600_302600_NS6detail15normal_iteratorINS9_10device_ptrIyEEEESE_PS5_SF_jNS0_19identity_decomposerENS1_16block_id_wrapperIjLb0EEEEE10hipError_tT1_PNSt15iterator_traitsISK_E10value_typeET2_T3_PNSL_ISQ_E10value_typeET4_T5_PSV_SW_PNS1_23onesweep_lookback_stateEbbT6_jjT7_P12ihipStream_tbENKUlT_T0_SK_SP_E_clISE_PySF_SF_EEDaS13_S14_SK_SP_EUlS13_E_NS1_11comp_targetILNS1_3genE3ELNS1_11target_archE908ELNS1_3gpuE7ELNS1_3repE0EEENS1_47radix_sort_onesweep_sort_config_static_selectorELNS0_4arch9wavefront6targetE1EEEvSK_: ; @_ZN7rocprim17ROCPRIM_400000_NS6detail17trampoline_kernelINS0_14default_configENS1_35radix_sort_onesweep_config_selectorIyNS0_10empty_typeEEEZZNS1_29radix_sort_onesweep_iterationIS3_Lb0EN6thrust23THRUST_200600_302600_NS6detail15normal_iteratorINS9_10device_ptrIyEEEESE_PS5_SF_jNS0_19identity_decomposerENS1_16block_id_wrapperIjLb0EEEEE10hipError_tT1_PNSt15iterator_traitsISK_E10value_typeET2_T3_PNSL_ISQ_E10value_typeET4_T5_PSV_SW_PNS1_23onesweep_lookback_stateEbbT6_jjT7_P12ihipStream_tbENKUlT_T0_SK_SP_E_clISE_PySF_SF_EEDaS13_S14_SK_SP_EUlS13_E_NS1_11comp_targetILNS1_3genE3ELNS1_11target_archE908ELNS1_3gpuE7ELNS1_3repE0EEENS1_47radix_sort_onesweep_sort_config_static_selectorELNS0_4arch9wavefront6targetE1EEEvSK_
; %bb.0:
	.section	.rodata,"a",@progbits
	.p2align	6, 0x0
	.amdhsa_kernel _ZN7rocprim17ROCPRIM_400000_NS6detail17trampoline_kernelINS0_14default_configENS1_35radix_sort_onesweep_config_selectorIyNS0_10empty_typeEEEZZNS1_29radix_sort_onesweep_iterationIS3_Lb0EN6thrust23THRUST_200600_302600_NS6detail15normal_iteratorINS9_10device_ptrIyEEEESE_PS5_SF_jNS0_19identity_decomposerENS1_16block_id_wrapperIjLb0EEEEE10hipError_tT1_PNSt15iterator_traitsISK_E10value_typeET2_T3_PNSL_ISQ_E10value_typeET4_T5_PSV_SW_PNS1_23onesweep_lookback_stateEbbT6_jjT7_P12ihipStream_tbENKUlT_T0_SK_SP_E_clISE_PySF_SF_EEDaS13_S14_SK_SP_EUlS13_E_NS1_11comp_targetILNS1_3genE3ELNS1_11target_archE908ELNS1_3gpuE7ELNS1_3repE0EEENS1_47radix_sort_onesweep_sort_config_static_selectorELNS0_4arch9wavefront6targetE1EEEvSK_
		.amdhsa_group_segment_fixed_size 0
		.amdhsa_private_segment_fixed_size 0
		.amdhsa_kernarg_size 88
		.amdhsa_user_sgpr_count 2
		.amdhsa_user_sgpr_dispatch_ptr 0
		.amdhsa_user_sgpr_queue_ptr 0
		.amdhsa_user_sgpr_kernarg_segment_ptr 1
		.amdhsa_user_sgpr_dispatch_id 0
		.amdhsa_user_sgpr_kernarg_preload_length 0
		.amdhsa_user_sgpr_kernarg_preload_offset 0
		.amdhsa_user_sgpr_private_segment_size 0
		.amdhsa_uses_dynamic_stack 0
		.amdhsa_enable_private_segment 0
		.amdhsa_system_sgpr_workgroup_id_x 1
		.amdhsa_system_sgpr_workgroup_id_y 0
		.amdhsa_system_sgpr_workgroup_id_z 0
		.amdhsa_system_sgpr_workgroup_info 0
		.amdhsa_system_vgpr_workitem_id 0
		.amdhsa_next_free_vgpr 1
		.amdhsa_next_free_sgpr 0
		.amdhsa_accum_offset 4
		.amdhsa_reserve_vcc 0
		.amdhsa_float_round_mode_32 0
		.amdhsa_float_round_mode_16_64 0
		.amdhsa_float_denorm_mode_32 3
		.amdhsa_float_denorm_mode_16_64 3
		.amdhsa_dx10_clamp 1
		.amdhsa_ieee_mode 1
		.amdhsa_fp16_overflow 0
		.amdhsa_tg_split 0
		.amdhsa_exception_fp_ieee_invalid_op 0
		.amdhsa_exception_fp_denorm_src 0
		.amdhsa_exception_fp_ieee_div_zero 0
		.amdhsa_exception_fp_ieee_overflow 0
		.amdhsa_exception_fp_ieee_underflow 0
		.amdhsa_exception_fp_ieee_inexact 0
		.amdhsa_exception_int_div_zero 0
	.end_amdhsa_kernel
	.section	.text._ZN7rocprim17ROCPRIM_400000_NS6detail17trampoline_kernelINS0_14default_configENS1_35radix_sort_onesweep_config_selectorIyNS0_10empty_typeEEEZZNS1_29radix_sort_onesweep_iterationIS3_Lb0EN6thrust23THRUST_200600_302600_NS6detail15normal_iteratorINS9_10device_ptrIyEEEESE_PS5_SF_jNS0_19identity_decomposerENS1_16block_id_wrapperIjLb0EEEEE10hipError_tT1_PNSt15iterator_traitsISK_E10value_typeET2_T3_PNSL_ISQ_E10value_typeET4_T5_PSV_SW_PNS1_23onesweep_lookback_stateEbbT6_jjT7_P12ihipStream_tbENKUlT_T0_SK_SP_E_clISE_PySF_SF_EEDaS13_S14_SK_SP_EUlS13_E_NS1_11comp_targetILNS1_3genE3ELNS1_11target_archE908ELNS1_3gpuE7ELNS1_3repE0EEENS1_47radix_sort_onesweep_sort_config_static_selectorELNS0_4arch9wavefront6targetE1EEEvSK_,"axG",@progbits,_ZN7rocprim17ROCPRIM_400000_NS6detail17trampoline_kernelINS0_14default_configENS1_35radix_sort_onesweep_config_selectorIyNS0_10empty_typeEEEZZNS1_29radix_sort_onesweep_iterationIS3_Lb0EN6thrust23THRUST_200600_302600_NS6detail15normal_iteratorINS9_10device_ptrIyEEEESE_PS5_SF_jNS0_19identity_decomposerENS1_16block_id_wrapperIjLb0EEEEE10hipError_tT1_PNSt15iterator_traitsISK_E10value_typeET2_T3_PNSL_ISQ_E10value_typeET4_T5_PSV_SW_PNS1_23onesweep_lookback_stateEbbT6_jjT7_P12ihipStream_tbENKUlT_T0_SK_SP_E_clISE_PySF_SF_EEDaS13_S14_SK_SP_EUlS13_E_NS1_11comp_targetILNS1_3genE3ELNS1_11target_archE908ELNS1_3gpuE7ELNS1_3repE0EEENS1_47radix_sort_onesweep_sort_config_static_selectorELNS0_4arch9wavefront6targetE1EEEvSK_,comdat
.Lfunc_end905:
	.size	_ZN7rocprim17ROCPRIM_400000_NS6detail17trampoline_kernelINS0_14default_configENS1_35radix_sort_onesweep_config_selectorIyNS0_10empty_typeEEEZZNS1_29radix_sort_onesweep_iterationIS3_Lb0EN6thrust23THRUST_200600_302600_NS6detail15normal_iteratorINS9_10device_ptrIyEEEESE_PS5_SF_jNS0_19identity_decomposerENS1_16block_id_wrapperIjLb0EEEEE10hipError_tT1_PNSt15iterator_traitsISK_E10value_typeET2_T3_PNSL_ISQ_E10value_typeET4_T5_PSV_SW_PNS1_23onesweep_lookback_stateEbbT6_jjT7_P12ihipStream_tbENKUlT_T0_SK_SP_E_clISE_PySF_SF_EEDaS13_S14_SK_SP_EUlS13_E_NS1_11comp_targetILNS1_3genE3ELNS1_11target_archE908ELNS1_3gpuE7ELNS1_3repE0EEENS1_47radix_sort_onesweep_sort_config_static_selectorELNS0_4arch9wavefront6targetE1EEEvSK_, .Lfunc_end905-_ZN7rocprim17ROCPRIM_400000_NS6detail17trampoline_kernelINS0_14default_configENS1_35radix_sort_onesweep_config_selectorIyNS0_10empty_typeEEEZZNS1_29radix_sort_onesweep_iterationIS3_Lb0EN6thrust23THRUST_200600_302600_NS6detail15normal_iteratorINS9_10device_ptrIyEEEESE_PS5_SF_jNS0_19identity_decomposerENS1_16block_id_wrapperIjLb0EEEEE10hipError_tT1_PNSt15iterator_traitsISK_E10value_typeET2_T3_PNSL_ISQ_E10value_typeET4_T5_PSV_SW_PNS1_23onesweep_lookback_stateEbbT6_jjT7_P12ihipStream_tbENKUlT_T0_SK_SP_E_clISE_PySF_SF_EEDaS13_S14_SK_SP_EUlS13_E_NS1_11comp_targetILNS1_3genE3ELNS1_11target_archE908ELNS1_3gpuE7ELNS1_3repE0EEENS1_47radix_sort_onesweep_sort_config_static_selectorELNS0_4arch9wavefront6targetE1EEEvSK_
                                        ; -- End function
	.section	.AMDGPU.csdata,"",@progbits
; Kernel info:
; codeLenInByte = 0
; NumSgprs: 6
; NumVgprs: 0
; NumAgprs: 0
; TotalNumVgprs: 0
; ScratchSize: 0
; MemoryBound: 0
; FloatMode: 240
; IeeeMode: 1
; LDSByteSize: 0 bytes/workgroup (compile time only)
; SGPRBlocks: 0
; VGPRBlocks: 0
; NumSGPRsForWavesPerEU: 6
; NumVGPRsForWavesPerEU: 1
; AccumOffset: 4
; Occupancy: 8
; WaveLimiterHint : 0
; COMPUTE_PGM_RSRC2:SCRATCH_EN: 0
; COMPUTE_PGM_RSRC2:USER_SGPR: 2
; COMPUTE_PGM_RSRC2:TRAP_HANDLER: 0
; COMPUTE_PGM_RSRC2:TGID_X_EN: 1
; COMPUTE_PGM_RSRC2:TGID_Y_EN: 0
; COMPUTE_PGM_RSRC2:TGID_Z_EN: 0
; COMPUTE_PGM_RSRC2:TIDIG_COMP_CNT: 0
; COMPUTE_PGM_RSRC3_GFX90A:ACCUM_OFFSET: 0
; COMPUTE_PGM_RSRC3_GFX90A:TG_SPLIT: 0
	.section	.text._ZN7rocprim17ROCPRIM_400000_NS6detail17trampoline_kernelINS0_14default_configENS1_35radix_sort_onesweep_config_selectorIyNS0_10empty_typeEEEZZNS1_29radix_sort_onesweep_iterationIS3_Lb0EN6thrust23THRUST_200600_302600_NS6detail15normal_iteratorINS9_10device_ptrIyEEEESE_PS5_SF_jNS0_19identity_decomposerENS1_16block_id_wrapperIjLb0EEEEE10hipError_tT1_PNSt15iterator_traitsISK_E10value_typeET2_T3_PNSL_ISQ_E10value_typeET4_T5_PSV_SW_PNS1_23onesweep_lookback_stateEbbT6_jjT7_P12ihipStream_tbENKUlT_T0_SK_SP_E_clISE_PySF_SF_EEDaS13_S14_SK_SP_EUlS13_E_NS1_11comp_targetILNS1_3genE10ELNS1_11target_archE1201ELNS1_3gpuE5ELNS1_3repE0EEENS1_47radix_sort_onesweep_sort_config_static_selectorELNS0_4arch9wavefront6targetE1EEEvSK_,"axG",@progbits,_ZN7rocprim17ROCPRIM_400000_NS6detail17trampoline_kernelINS0_14default_configENS1_35radix_sort_onesweep_config_selectorIyNS0_10empty_typeEEEZZNS1_29radix_sort_onesweep_iterationIS3_Lb0EN6thrust23THRUST_200600_302600_NS6detail15normal_iteratorINS9_10device_ptrIyEEEESE_PS5_SF_jNS0_19identity_decomposerENS1_16block_id_wrapperIjLb0EEEEE10hipError_tT1_PNSt15iterator_traitsISK_E10value_typeET2_T3_PNSL_ISQ_E10value_typeET4_T5_PSV_SW_PNS1_23onesweep_lookback_stateEbbT6_jjT7_P12ihipStream_tbENKUlT_T0_SK_SP_E_clISE_PySF_SF_EEDaS13_S14_SK_SP_EUlS13_E_NS1_11comp_targetILNS1_3genE10ELNS1_11target_archE1201ELNS1_3gpuE5ELNS1_3repE0EEENS1_47radix_sort_onesweep_sort_config_static_selectorELNS0_4arch9wavefront6targetE1EEEvSK_,comdat
	.protected	_ZN7rocprim17ROCPRIM_400000_NS6detail17trampoline_kernelINS0_14default_configENS1_35radix_sort_onesweep_config_selectorIyNS0_10empty_typeEEEZZNS1_29radix_sort_onesweep_iterationIS3_Lb0EN6thrust23THRUST_200600_302600_NS6detail15normal_iteratorINS9_10device_ptrIyEEEESE_PS5_SF_jNS0_19identity_decomposerENS1_16block_id_wrapperIjLb0EEEEE10hipError_tT1_PNSt15iterator_traitsISK_E10value_typeET2_T3_PNSL_ISQ_E10value_typeET4_T5_PSV_SW_PNS1_23onesweep_lookback_stateEbbT6_jjT7_P12ihipStream_tbENKUlT_T0_SK_SP_E_clISE_PySF_SF_EEDaS13_S14_SK_SP_EUlS13_E_NS1_11comp_targetILNS1_3genE10ELNS1_11target_archE1201ELNS1_3gpuE5ELNS1_3repE0EEENS1_47radix_sort_onesweep_sort_config_static_selectorELNS0_4arch9wavefront6targetE1EEEvSK_ ; -- Begin function _ZN7rocprim17ROCPRIM_400000_NS6detail17trampoline_kernelINS0_14default_configENS1_35radix_sort_onesweep_config_selectorIyNS0_10empty_typeEEEZZNS1_29radix_sort_onesweep_iterationIS3_Lb0EN6thrust23THRUST_200600_302600_NS6detail15normal_iteratorINS9_10device_ptrIyEEEESE_PS5_SF_jNS0_19identity_decomposerENS1_16block_id_wrapperIjLb0EEEEE10hipError_tT1_PNSt15iterator_traitsISK_E10value_typeET2_T3_PNSL_ISQ_E10value_typeET4_T5_PSV_SW_PNS1_23onesweep_lookback_stateEbbT6_jjT7_P12ihipStream_tbENKUlT_T0_SK_SP_E_clISE_PySF_SF_EEDaS13_S14_SK_SP_EUlS13_E_NS1_11comp_targetILNS1_3genE10ELNS1_11target_archE1201ELNS1_3gpuE5ELNS1_3repE0EEENS1_47radix_sort_onesweep_sort_config_static_selectorELNS0_4arch9wavefront6targetE1EEEvSK_
	.globl	_ZN7rocprim17ROCPRIM_400000_NS6detail17trampoline_kernelINS0_14default_configENS1_35radix_sort_onesweep_config_selectorIyNS0_10empty_typeEEEZZNS1_29radix_sort_onesweep_iterationIS3_Lb0EN6thrust23THRUST_200600_302600_NS6detail15normal_iteratorINS9_10device_ptrIyEEEESE_PS5_SF_jNS0_19identity_decomposerENS1_16block_id_wrapperIjLb0EEEEE10hipError_tT1_PNSt15iterator_traitsISK_E10value_typeET2_T3_PNSL_ISQ_E10value_typeET4_T5_PSV_SW_PNS1_23onesweep_lookback_stateEbbT6_jjT7_P12ihipStream_tbENKUlT_T0_SK_SP_E_clISE_PySF_SF_EEDaS13_S14_SK_SP_EUlS13_E_NS1_11comp_targetILNS1_3genE10ELNS1_11target_archE1201ELNS1_3gpuE5ELNS1_3repE0EEENS1_47radix_sort_onesweep_sort_config_static_selectorELNS0_4arch9wavefront6targetE1EEEvSK_
	.p2align	8
	.type	_ZN7rocprim17ROCPRIM_400000_NS6detail17trampoline_kernelINS0_14default_configENS1_35radix_sort_onesweep_config_selectorIyNS0_10empty_typeEEEZZNS1_29radix_sort_onesweep_iterationIS3_Lb0EN6thrust23THRUST_200600_302600_NS6detail15normal_iteratorINS9_10device_ptrIyEEEESE_PS5_SF_jNS0_19identity_decomposerENS1_16block_id_wrapperIjLb0EEEEE10hipError_tT1_PNSt15iterator_traitsISK_E10value_typeET2_T3_PNSL_ISQ_E10value_typeET4_T5_PSV_SW_PNS1_23onesweep_lookback_stateEbbT6_jjT7_P12ihipStream_tbENKUlT_T0_SK_SP_E_clISE_PySF_SF_EEDaS13_S14_SK_SP_EUlS13_E_NS1_11comp_targetILNS1_3genE10ELNS1_11target_archE1201ELNS1_3gpuE5ELNS1_3repE0EEENS1_47radix_sort_onesweep_sort_config_static_selectorELNS0_4arch9wavefront6targetE1EEEvSK_,@function
_ZN7rocprim17ROCPRIM_400000_NS6detail17trampoline_kernelINS0_14default_configENS1_35radix_sort_onesweep_config_selectorIyNS0_10empty_typeEEEZZNS1_29radix_sort_onesweep_iterationIS3_Lb0EN6thrust23THRUST_200600_302600_NS6detail15normal_iteratorINS9_10device_ptrIyEEEESE_PS5_SF_jNS0_19identity_decomposerENS1_16block_id_wrapperIjLb0EEEEE10hipError_tT1_PNSt15iterator_traitsISK_E10value_typeET2_T3_PNSL_ISQ_E10value_typeET4_T5_PSV_SW_PNS1_23onesweep_lookback_stateEbbT6_jjT7_P12ihipStream_tbENKUlT_T0_SK_SP_E_clISE_PySF_SF_EEDaS13_S14_SK_SP_EUlS13_E_NS1_11comp_targetILNS1_3genE10ELNS1_11target_archE1201ELNS1_3gpuE5ELNS1_3repE0EEENS1_47radix_sort_onesweep_sort_config_static_selectorELNS0_4arch9wavefront6targetE1EEEvSK_: ; @_ZN7rocprim17ROCPRIM_400000_NS6detail17trampoline_kernelINS0_14default_configENS1_35radix_sort_onesweep_config_selectorIyNS0_10empty_typeEEEZZNS1_29radix_sort_onesweep_iterationIS3_Lb0EN6thrust23THRUST_200600_302600_NS6detail15normal_iteratorINS9_10device_ptrIyEEEESE_PS5_SF_jNS0_19identity_decomposerENS1_16block_id_wrapperIjLb0EEEEE10hipError_tT1_PNSt15iterator_traitsISK_E10value_typeET2_T3_PNSL_ISQ_E10value_typeET4_T5_PSV_SW_PNS1_23onesweep_lookback_stateEbbT6_jjT7_P12ihipStream_tbENKUlT_T0_SK_SP_E_clISE_PySF_SF_EEDaS13_S14_SK_SP_EUlS13_E_NS1_11comp_targetILNS1_3genE10ELNS1_11target_archE1201ELNS1_3gpuE5ELNS1_3repE0EEENS1_47radix_sort_onesweep_sort_config_static_selectorELNS0_4arch9wavefront6targetE1EEEvSK_
; %bb.0:
	.section	.rodata,"a",@progbits
	.p2align	6, 0x0
	.amdhsa_kernel _ZN7rocprim17ROCPRIM_400000_NS6detail17trampoline_kernelINS0_14default_configENS1_35radix_sort_onesweep_config_selectorIyNS0_10empty_typeEEEZZNS1_29radix_sort_onesweep_iterationIS3_Lb0EN6thrust23THRUST_200600_302600_NS6detail15normal_iteratorINS9_10device_ptrIyEEEESE_PS5_SF_jNS0_19identity_decomposerENS1_16block_id_wrapperIjLb0EEEEE10hipError_tT1_PNSt15iterator_traitsISK_E10value_typeET2_T3_PNSL_ISQ_E10value_typeET4_T5_PSV_SW_PNS1_23onesweep_lookback_stateEbbT6_jjT7_P12ihipStream_tbENKUlT_T0_SK_SP_E_clISE_PySF_SF_EEDaS13_S14_SK_SP_EUlS13_E_NS1_11comp_targetILNS1_3genE10ELNS1_11target_archE1201ELNS1_3gpuE5ELNS1_3repE0EEENS1_47radix_sort_onesweep_sort_config_static_selectorELNS0_4arch9wavefront6targetE1EEEvSK_
		.amdhsa_group_segment_fixed_size 0
		.amdhsa_private_segment_fixed_size 0
		.amdhsa_kernarg_size 88
		.amdhsa_user_sgpr_count 2
		.amdhsa_user_sgpr_dispatch_ptr 0
		.amdhsa_user_sgpr_queue_ptr 0
		.amdhsa_user_sgpr_kernarg_segment_ptr 1
		.amdhsa_user_sgpr_dispatch_id 0
		.amdhsa_user_sgpr_kernarg_preload_length 0
		.amdhsa_user_sgpr_kernarg_preload_offset 0
		.amdhsa_user_sgpr_private_segment_size 0
		.amdhsa_uses_dynamic_stack 0
		.amdhsa_enable_private_segment 0
		.amdhsa_system_sgpr_workgroup_id_x 1
		.amdhsa_system_sgpr_workgroup_id_y 0
		.amdhsa_system_sgpr_workgroup_id_z 0
		.amdhsa_system_sgpr_workgroup_info 0
		.amdhsa_system_vgpr_workitem_id 0
		.amdhsa_next_free_vgpr 1
		.amdhsa_next_free_sgpr 0
		.amdhsa_accum_offset 4
		.amdhsa_reserve_vcc 0
		.amdhsa_float_round_mode_32 0
		.amdhsa_float_round_mode_16_64 0
		.amdhsa_float_denorm_mode_32 3
		.amdhsa_float_denorm_mode_16_64 3
		.amdhsa_dx10_clamp 1
		.amdhsa_ieee_mode 1
		.amdhsa_fp16_overflow 0
		.amdhsa_tg_split 0
		.amdhsa_exception_fp_ieee_invalid_op 0
		.amdhsa_exception_fp_denorm_src 0
		.amdhsa_exception_fp_ieee_div_zero 0
		.amdhsa_exception_fp_ieee_overflow 0
		.amdhsa_exception_fp_ieee_underflow 0
		.amdhsa_exception_fp_ieee_inexact 0
		.amdhsa_exception_int_div_zero 0
	.end_amdhsa_kernel
	.section	.text._ZN7rocprim17ROCPRIM_400000_NS6detail17trampoline_kernelINS0_14default_configENS1_35radix_sort_onesweep_config_selectorIyNS0_10empty_typeEEEZZNS1_29radix_sort_onesweep_iterationIS3_Lb0EN6thrust23THRUST_200600_302600_NS6detail15normal_iteratorINS9_10device_ptrIyEEEESE_PS5_SF_jNS0_19identity_decomposerENS1_16block_id_wrapperIjLb0EEEEE10hipError_tT1_PNSt15iterator_traitsISK_E10value_typeET2_T3_PNSL_ISQ_E10value_typeET4_T5_PSV_SW_PNS1_23onesweep_lookback_stateEbbT6_jjT7_P12ihipStream_tbENKUlT_T0_SK_SP_E_clISE_PySF_SF_EEDaS13_S14_SK_SP_EUlS13_E_NS1_11comp_targetILNS1_3genE10ELNS1_11target_archE1201ELNS1_3gpuE5ELNS1_3repE0EEENS1_47radix_sort_onesweep_sort_config_static_selectorELNS0_4arch9wavefront6targetE1EEEvSK_,"axG",@progbits,_ZN7rocprim17ROCPRIM_400000_NS6detail17trampoline_kernelINS0_14default_configENS1_35radix_sort_onesweep_config_selectorIyNS0_10empty_typeEEEZZNS1_29radix_sort_onesweep_iterationIS3_Lb0EN6thrust23THRUST_200600_302600_NS6detail15normal_iteratorINS9_10device_ptrIyEEEESE_PS5_SF_jNS0_19identity_decomposerENS1_16block_id_wrapperIjLb0EEEEE10hipError_tT1_PNSt15iterator_traitsISK_E10value_typeET2_T3_PNSL_ISQ_E10value_typeET4_T5_PSV_SW_PNS1_23onesweep_lookback_stateEbbT6_jjT7_P12ihipStream_tbENKUlT_T0_SK_SP_E_clISE_PySF_SF_EEDaS13_S14_SK_SP_EUlS13_E_NS1_11comp_targetILNS1_3genE10ELNS1_11target_archE1201ELNS1_3gpuE5ELNS1_3repE0EEENS1_47radix_sort_onesweep_sort_config_static_selectorELNS0_4arch9wavefront6targetE1EEEvSK_,comdat
.Lfunc_end906:
	.size	_ZN7rocprim17ROCPRIM_400000_NS6detail17trampoline_kernelINS0_14default_configENS1_35radix_sort_onesweep_config_selectorIyNS0_10empty_typeEEEZZNS1_29radix_sort_onesweep_iterationIS3_Lb0EN6thrust23THRUST_200600_302600_NS6detail15normal_iteratorINS9_10device_ptrIyEEEESE_PS5_SF_jNS0_19identity_decomposerENS1_16block_id_wrapperIjLb0EEEEE10hipError_tT1_PNSt15iterator_traitsISK_E10value_typeET2_T3_PNSL_ISQ_E10value_typeET4_T5_PSV_SW_PNS1_23onesweep_lookback_stateEbbT6_jjT7_P12ihipStream_tbENKUlT_T0_SK_SP_E_clISE_PySF_SF_EEDaS13_S14_SK_SP_EUlS13_E_NS1_11comp_targetILNS1_3genE10ELNS1_11target_archE1201ELNS1_3gpuE5ELNS1_3repE0EEENS1_47radix_sort_onesweep_sort_config_static_selectorELNS0_4arch9wavefront6targetE1EEEvSK_, .Lfunc_end906-_ZN7rocprim17ROCPRIM_400000_NS6detail17trampoline_kernelINS0_14default_configENS1_35radix_sort_onesweep_config_selectorIyNS0_10empty_typeEEEZZNS1_29radix_sort_onesweep_iterationIS3_Lb0EN6thrust23THRUST_200600_302600_NS6detail15normal_iteratorINS9_10device_ptrIyEEEESE_PS5_SF_jNS0_19identity_decomposerENS1_16block_id_wrapperIjLb0EEEEE10hipError_tT1_PNSt15iterator_traitsISK_E10value_typeET2_T3_PNSL_ISQ_E10value_typeET4_T5_PSV_SW_PNS1_23onesweep_lookback_stateEbbT6_jjT7_P12ihipStream_tbENKUlT_T0_SK_SP_E_clISE_PySF_SF_EEDaS13_S14_SK_SP_EUlS13_E_NS1_11comp_targetILNS1_3genE10ELNS1_11target_archE1201ELNS1_3gpuE5ELNS1_3repE0EEENS1_47radix_sort_onesweep_sort_config_static_selectorELNS0_4arch9wavefront6targetE1EEEvSK_
                                        ; -- End function
	.section	.AMDGPU.csdata,"",@progbits
; Kernel info:
; codeLenInByte = 0
; NumSgprs: 6
; NumVgprs: 0
; NumAgprs: 0
; TotalNumVgprs: 0
; ScratchSize: 0
; MemoryBound: 0
; FloatMode: 240
; IeeeMode: 1
; LDSByteSize: 0 bytes/workgroup (compile time only)
; SGPRBlocks: 0
; VGPRBlocks: 0
; NumSGPRsForWavesPerEU: 6
; NumVGPRsForWavesPerEU: 1
; AccumOffset: 4
; Occupancy: 8
; WaveLimiterHint : 0
; COMPUTE_PGM_RSRC2:SCRATCH_EN: 0
; COMPUTE_PGM_RSRC2:USER_SGPR: 2
; COMPUTE_PGM_RSRC2:TRAP_HANDLER: 0
; COMPUTE_PGM_RSRC2:TGID_X_EN: 1
; COMPUTE_PGM_RSRC2:TGID_Y_EN: 0
; COMPUTE_PGM_RSRC2:TGID_Z_EN: 0
; COMPUTE_PGM_RSRC2:TIDIG_COMP_CNT: 0
; COMPUTE_PGM_RSRC3_GFX90A:ACCUM_OFFSET: 0
; COMPUTE_PGM_RSRC3_GFX90A:TG_SPLIT: 0
	.section	.text._ZN7rocprim17ROCPRIM_400000_NS6detail17trampoline_kernelINS0_14default_configENS1_35radix_sort_onesweep_config_selectorIyNS0_10empty_typeEEEZZNS1_29radix_sort_onesweep_iterationIS3_Lb0EN6thrust23THRUST_200600_302600_NS6detail15normal_iteratorINS9_10device_ptrIyEEEESE_PS5_SF_jNS0_19identity_decomposerENS1_16block_id_wrapperIjLb0EEEEE10hipError_tT1_PNSt15iterator_traitsISK_E10value_typeET2_T3_PNSL_ISQ_E10value_typeET4_T5_PSV_SW_PNS1_23onesweep_lookback_stateEbbT6_jjT7_P12ihipStream_tbENKUlT_T0_SK_SP_E_clISE_PySF_SF_EEDaS13_S14_SK_SP_EUlS13_E_NS1_11comp_targetILNS1_3genE9ELNS1_11target_archE1100ELNS1_3gpuE3ELNS1_3repE0EEENS1_47radix_sort_onesweep_sort_config_static_selectorELNS0_4arch9wavefront6targetE1EEEvSK_,"axG",@progbits,_ZN7rocprim17ROCPRIM_400000_NS6detail17trampoline_kernelINS0_14default_configENS1_35radix_sort_onesweep_config_selectorIyNS0_10empty_typeEEEZZNS1_29radix_sort_onesweep_iterationIS3_Lb0EN6thrust23THRUST_200600_302600_NS6detail15normal_iteratorINS9_10device_ptrIyEEEESE_PS5_SF_jNS0_19identity_decomposerENS1_16block_id_wrapperIjLb0EEEEE10hipError_tT1_PNSt15iterator_traitsISK_E10value_typeET2_T3_PNSL_ISQ_E10value_typeET4_T5_PSV_SW_PNS1_23onesweep_lookback_stateEbbT6_jjT7_P12ihipStream_tbENKUlT_T0_SK_SP_E_clISE_PySF_SF_EEDaS13_S14_SK_SP_EUlS13_E_NS1_11comp_targetILNS1_3genE9ELNS1_11target_archE1100ELNS1_3gpuE3ELNS1_3repE0EEENS1_47radix_sort_onesweep_sort_config_static_selectorELNS0_4arch9wavefront6targetE1EEEvSK_,comdat
	.protected	_ZN7rocprim17ROCPRIM_400000_NS6detail17trampoline_kernelINS0_14default_configENS1_35radix_sort_onesweep_config_selectorIyNS0_10empty_typeEEEZZNS1_29radix_sort_onesweep_iterationIS3_Lb0EN6thrust23THRUST_200600_302600_NS6detail15normal_iteratorINS9_10device_ptrIyEEEESE_PS5_SF_jNS0_19identity_decomposerENS1_16block_id_wrapperIjLb0EEEEE10hipError_tT1_PNSt15iterator_traitsISK_E10value_typeET2_T3_PNSL_ISQ_E10value_typeET4_T5_PSV_SW_PNS1_23onesweep_lookback_stateEbbT6_jjT7_P12ihipStream_tbENKUlT_T0_SK_SP_E_clISE_PySF_SF_EEDaS13_S14_SK_SP_EUlS13_E_NS1_11comp_targetILNS1_3genE9ELNS1_11target_archE1100ELNS1_3gpuE3ELNS1_3repE0EEENS1_47radix_sort_onesweep_sort_config_static_selectorELNS0_4arch9wavefront6targetE1EEEvSK_ ; -- Begin function _ZN7rocprim17ROCPRIM_400000_NS6detail17trampoline_kernelINS0_14default_configENS1_35radix_sort_onesweep_config_selectorIyNS0_10empty_typeEEEZZNS1_29radix_sort_onesweep_iterationIS3_Lb0EN6thrust23THRUST_200600_302600_NS6detail15normal_iteratorINS9_10device_ptrIyEEEESE_PS5_SF_jNS0_19identity_decomposerENS1_16block_id_wrapperIjLb0EEEEE10hipError_tT1_PNSt15iterator_traitsISK_E10value_typeET2_T3_PNSL_ISQ_E10value_typeET4_T5_PSV_SW_PNS1_23onesweep_lookback_stateEbbT6_jjT7_P12ihipStream_tbENKUlT_T0_SK_SP_E_clISE_PySF_SF_EEDaS13_S14_SK_SP_EUlS13_E_NS1_11comp_targetILNS1_3genE9ELNS1_11target_archE1100ELNS1_3gpuE3ELNS1_3repE0EEENS1_47radix_sort_onesweep_sort_config_static_selectorELNS0_4arch9wavefront6targetE1EEEvSK_
	.globl	_ZN7rocprim17ROCPRIM_400000_NS6detail17trampoline_kernelINS0_14default_configENS1_35radix_sort_onesweep_config_selectorIyNS0_10empty_typeEEEZZNS1_29radix_sort_onesweep_iterationIS3_Lb0EN6thrust23THRUST_200600_302600_NS6detail15normal_iteratorINS9_10device_ptrIyEEEESE_PS5_SF_jNS0_19identity_decomposerENS1_16block_id_wrapperIjLb0EEEEE10hipError_tT1_PNSt15iterator_traitsISK_E10value_typeET2_T3_PNSL_ISQ_E10value_typeET4_T5_PSV_SW_PNS1_23onesweep_lookback_stateEbbT6_jjT7_P12ihipStream_tbENKUlT_T0_SK_SP_E_clISE_PySF_SF_EEDaS13_S14_SK_SP_EUlS13_E_NS1_11comp_targetILNS1_3genE9ELNS1_11target_archE1100ELNS1_3gpuE3ELNS1_3repE0EEENS1_47radix_sort_onesweep_sort_config_static_selectorELNS0_4arch9wavefront6targetE1EEEvSK_
	.p2align	8
	.type	_ZN7rocprim17ROCPRIM_400000_NS6detail17trampoline_kernelINS0_14default_configENS1_35radix_sort_onesweep_config_selectorIyNS0_10empty_typeEEEZZNS1_29radix_sort_onesweep_iterationIS3_Lb0EN6thrust23THRUST_200600_302600_NS6detail15normal_iteratorINS9_10device_ptrIyEEEESE_PS5_SF_jNS0_19identity_decomposerENS1_16block_id_wrapperIjLb0EEEEE10hipError_tT1_PNSt15iterator_traitsISK_E10value_typeET2_T3_PNSL_ISQ_E10value_typeET4_T5_PSV_SW_PNS1_23onesweep_lookback_stateEbbT6_jjT7_P12ihipStream_tbENKUlT_T0_SK_SP_E_clISE_PySF_SF_EEDaS13_S14_SK_SP_EUlS13_E_NS1_11comp_targetILNS1_3genE9ELNS1_11target_archE1100ELNS1_3gpuE3ELNS1_3repE0EEENS1_47radix_sort_onesweep_sort_config_static_selectorELNS0_4arch9wavefront6targetE1EEEvSK_,@function
_ZN7rocprim17ROCPRIM_400000_NS6detail17trampoline_kernelINS0_14default_configENS1_35radix_sort_onesweep_config_selectorIyNS0_10empty_typeEEEZZNS1_29radix_sort_onesweep_iterationIS3_Lb0EN6thrust23THRUST_200600_302600_NS6detail15normal_iteratorINS9_10device_ptrIyEEEESE_PS5_SF_jNS0_19identity_decomposerENS1_16block_id_wrapperIjLb0EEEEE10hipError_tT1_PNSt15iterator_traitsISK_E10value_typeET2_T3_PNSL_ISQ_E10value_typeET4_T5_PSV_SW_PNS1_23onesweep_lookback_stateEbbT6_jjT7_P12ihipStream_tbENKUlT_T0_SK_SP_E_clISE_PySF_SF_EEDaS13_S14_SK_SP_EUlS13_E_NS1_11comp_targetILNS1_3genE9ELNS1_11target_archE1100ELNS1_3gpuE3ELNS1_3repE0EEENS1_47radix_sort_onesweep_sort_config_static_selectorELNS0_4arch9wavefront6targetE1EEEvSK_: ; @_ZN7rocprim17ROCPRIM_400000_NS6detail17trampoline_kernelINS0_14default_configENS1_35radix_sort_onesweep_config_selectorIyNS0_10empty_typeEEEZZNS1_29radix_sort_onesweep_iterationIS3_Lb0EN6thrust23THRUST_200600_302600_NS6detail15normal_iteratorINS9_10device_ptrIyEEEESE_PS5_SF_jNS0_19identity_decomposerENS1_16block_id_wrapperIjLb0EEEEE10hipError_tT1_PNSt15iterator_traitsISK_E10value_typeET2_T3_PNSL_ISQ_E10value_typeET4_T5_PSV_SW_PNS1_23onesweep_lookback_stateEbbT6_jjT7_P12ihipStream_tbENKUlT_T0_SK_SP_E_clISE_PySF_SF_EEDaS13_S14_SK_SP_EUlS13_E_NS1_11comp_targetILNS1_3genE9ELNS1_11target_archE1100ELNS1_3gpuE3ELNS1_3repE0EEENS1_47radix_sort_onesweep_sort_config_static_selectorELNS0_4arch9wavefront6targetE1EEEvSK_
; %bb.0:
	.section	.rodata,"a",@progbits
	.p2align	6, 0x0
	.amdhsa_kernel _ZN7rocprim17ROCPRIM_400000_NS6detail17trampoline_kernelINS0_14default_configENS1_35radix_sort_onesweep_config_selectorIyNS0_10empty_typeEEEZZNS1_29radix_sort_onesweep_iterationIS3_Lb0EN6thrust23THRUST_200600_302600_NS6detail15normal_iteratorINS9_10device_ptrIyEEEESE_PS5_SF_jNS0_19identity_decomposerENS1_16block_id_wrapperIjLb0EEEEE10hipError_tT1_PNSt15iterator_traitsISK_E10value_typeET2_T3_PNSL_ISQ_E10value_typeET4_T5_PSV_SW_PNS1_23onesweep_lookback_stateEbbT6_jjT7_P12ihipStream_tbENKUlT_T0_SK_SP_E_clISE_PySF_SF_EEDaS13_S14_SK_SP_EUlS13_E_NS1_11comp_targetILNS1_3genE9ELNS1_11target_archE1100ELNS1_3gpuE3ELNS1_3repE0EEENS1_47radix_sort_onesweep_sort_config_static_selectorELNS0_4arch9wavefront6targetE1EEEvSK_
		.amdhsa_group_segment_fixed_size 0
		.amdhsa_private_segment_fixed_size 0
		.amdhsa_kernarg_size 88
		.amdhsa_user_sgpr_count 2
		.amdhsa_user_sgpr_dispatch_ptr 0
		.amdhsa_user_sgpr_queue_ptr 0
		.amdhsa_user_sgpr_kernarg_segment_ptr 1
		.amdhsa_user_sgpr_dispatch_id 0
		.amdhsa_user_sgpr_kernarg_preload_length 0
		.amdhsa_user_sgpr_kernarg_preload_offset 0
		.amdhsa_user_sgpr_private_segment_size 0
		.amdhsa_uses_dynamic_stack 0
		.amdhsa_enable_private_segment 0
		.amdhsa_system_sgpr_workgroup_id_x 1
		.amdhsa_system_sgpr_workgroup_id_y 0
		.amdhsa_system_sgpr_workgroup_id_z 0
		.amdhsa_system_sgpr_workgroup_info 0
		.amdhsa_system_vgpr_workitem_id 0
		.amdhsa_next_free_vgpr 1
		.amdhsa_next_free_sgpr 0
		.amdhsa_accum_offset 4
		.amdhsa_reserve_vcc 0
		.amdhsa_float_round_mode_32 0
		.amdhsa_float_round_mode_16_64 0
		.amdhsa_float_denorm_mode_32 3
		.amdhsa_float_denorm_mode_16_64 3
		.amdhsa_dx10_clamp 1
		.amdhsa_ieee_mode 1
		.amdhsa_fp16_overflow 0
		.amdhsa_tg_split 0
		.amdhsa_exception_fp_ieee_invalid_op 0
		.amdhsa_exception_fp_denorm_src 0
		.amdhsa_exception_fp_ieee_div_zero 0
		.amdhsa_exception_fp_ieee_overflow 0
		.amdhsa_exception_fp_ieee_underflow 0
		.amdhsa_exception_fp_ieee_inexact 0
		.amdhsa_exception_int_div_zero 0
	.end_amdhsa_kernel
	.section	.text._ZN7rocprim17ROCPRIM_400000_NS6detail17trampoline_kernelINS0_14default_configENS1_35radix_sort_onesweep_config_selectorIyNS0_10empty_typeEEEZZNS1_29radix_sort_onesweep_iterationIS3_Lb0EN6thrust23THRUST_200600_302600_NS6detail15normal_iteratorINS9_10device_ptrIyEEEESE_PS5_SF_jNS0_19identity_decomposerENS1_16block_id_wrapperIjLb0EEEEE10hipError_tT1_PNSt15iterator_traitsISK_E10value_typeET2_T3_PNSL_ISQ_E10value_typeET4_T5_PSV_SW_PNS1_23onesweep_lookback_stateEbbT6_jjT7_P12ihipStream_tbENKUlT_T0_SK_SP_E_clISE_PySF_SF_EEDaS13_S14_SK_SP_EUlS13_E_NS1_11comp_targetILNS1_3genE9ELNS1_11target_archE1100ELNS1_3gpuE3ELNS1_3repE0EEENS1_47radix_sort_onesweep_sort_config_static_selectorELNS0_4arch9wavefront6targetE1EEEvSK_,"axG",@progbits,_ZN7rocprim17ROCPRIM_400000_NS6detail17trampoline_kernelINS0_14default_configENS1_35radix_sort_onesweep_config_selectorIyNS0_10empty_typeEEEZZNS1_29radix_sort_onesweep_iterationIS3_Lb0EN6thrust23THRUST_200600_302600_NS6detail15normal_iteratorINS9_10device_ptrIyEEEESE_PS5_SF_jNS0_19identity_decomposerENS1_16block_id_wrapperIjLb0EEEEE10hipError_tT1_PNSt15iterator_traitsISK_E10value_typeET2_T3_PNSL_ISQ_E10value_typeET4_T5_PSV_SW_PNS1_23onesweep_lookback_stateEbbT6_jjT7_P12ihipStream_tbENKUlT_T0_SK_SP_E_clISE_PySF_SF_EEDaS13_S14_SK_SP_EUlS13_E_NS1_11comp_targetILNS1_3genE9ELNS1_11target_archE1100ELNS1_3gpuE3ELNS1_3repE0EEENS1_47radix_sort_onesweep_sort_config_static_selectorELNS0_4arch9wavefront6targetE1EEEvSK_,comdat
.Lfunc_end907:
	.size	_ZN7rocprim17ROCPRIM_400000_NS6detail17trampoline_kernelINS0_14default_configENS1_35radix_sort_onesweep_config_selectorIyNS0_10empty_typeEEEZZNS1_29radix_sort_onesweep_iterationIS3_Lb0EN6thrust23THRUST_200600_302600_NS6detail15normal_iteratorINS9_10device_ptrIyEEEESE_PS5_SF_jNS0_19identity_decomposerENS1_16block_id_wrapperIjLb0EEEEE10hipError_tT1_PNSt15iterator_traitsISK_E10value_typeET2_T3_PNSL_ISQ_E10value_typeET4_T5_PSV_SW_PNS1_23onesweep_lookback_stateEbbT6_jjT7_P12ihipStream_tbENKUlT_T0_SK_SP_E_clISE_PySF_SF_EEDaS13_S14_SK_SP_EUlS13_E_NS1_11comp_targetILNS1_3genE9ELNS1_11target_archE1100ELNS1_3gpuE3ELNS1_3repE0EEENS1_47radix_sort_onesweep_sort_config_static_selectorELNS0_4arch9wavefront6targetE1EEEvSK_, .Lfunc_end907-_ZN7rocprim17ROCPRIM_400000_NS6detail17trampoline_kernelINS0_14default_configENS1_35radix_sort_onesweep_config_selectorIyNS0_10empty_typeEEEZZNS1_29radix_sort_onesweep_iterationIS3_Lb0EN6thrust23THRUST_200600_302600_NS6detail15normal_iteratorINS9_10device_ptrIyEEEESE_PS5_SF_jNS0_19identity_decomposerENS1_16block_id_wrapperIjLb0EEEEE10hipError_tT1_PNSt15iterator_traitsISK_E10value_typeET2_T3_PNSL_ISQ_E10value_typeET4_T5_PSV_SW_PNS1_23onesweep_lookback_stateEbbT6_jjT7_P12ihipStream_tbENKUlT_T0_SK_SP_E_clISE_PySF_SF_EEDaS13_S14_SK_SP_EUlS13_E_NS1_11comp_targetILNS1_3genE9ELNS1_11target_archE1100ELNS1_3gpuE3ELNS1_3repE0EEENS1_47radix_sort_onesweep_sort_config_static_selectorELNS0_4arch9wavefront6targetE1EEEvSK_
                                        ; -- End function
	.section	.AMDGPU.csdata,"",@progbits
; Kernel info:
; codeLenInByte = 0
; NumSgprs: 6
; NumVgprs: 0
; NumAgprs: 0
; TotalNumVgprs: 0
; ScratchSize: 0
; MemoryBound: 0
; FloatMode: 240
; IeeeMode: 1
; LDSByteSize: 0 bytes/workgroup (compile time only)
; SGPRBlocks: 0
; VGPRBlocks: 0
; NumSGPRsForWavesPerEU: 6
; NumVGPRsForWavesPerEU: 1
; AccumOffset: 4
; Occupancy: 8
; WaveLimiterHint : 0
; COMPUTE_PGM_RSRC2:SCRATCH_EN: 0
; COMPUTE_PGM_RSRC2:USER_SGPR: 2
; COMPUTE_PGM_RSRC2:TRAP_HANDLER: 0
; COMPUTE_PGM_RSRC2:TGID_X_EN: 1
; COMPUTE_PGM_RSRC2:TGID_Y_EN: 0
; COMPUTE_PGM_RSRC2:TGID_Z_EN: 0
; COMPUTE_PGM_RSRC2:TIDIG_COMP_CNT: 0
; COMPUTE_PGM_RSRC3_GFX90A:ACCUM_OFFSET: 0
; COMPUTE_PGM_RSRC3_GFX90A:TG_SPLIT: 0
	.section	.text._ZN7rocprim17ROCPRIM_400000_NS6detail17trampoline_kernelINS0_14default_configENS1_35radix_sort_onesweep_config_selectorIyNS0_10empty_typeEEEZZNS1_29radix_sort_onesweep_iterationIS3_Lb0EN6thrust23THRUST_200600_302600_NS6detail15normal_iteratorINS9_10device_ptrIyEEEESE_PS5_SF_jNS0_19identity_decomposerENS1_16block_id_wrapperIjLb0EEEEE10hipError_tT1_PNSt15iterator_traitsISK_E10value_typeET2_T3_PNSL_ISQ_E10value_typeET4_T5_PSV_SW_PNS1_23onesweep_lookback_stateEbbT6_jjT7_P12ihipStream_tbENKUlT_T0_SK_SP_E_clISE_PySF_SF_EEDaS13_S14_SK_SP_EUlS13_E_NS1_11comp_targetILNS1_3genE8ELNS1_11target_archE1030ELNS1_3gpuE2ELNS1_3repE0EEENS1_47radix_sort_onesweep_sort_config_static_selectorELNS0_4arch9wavefront6targetE1EEEvSK_,"axG",@progbits,_ZN7rocprim17ROCPRIM_400000_NS6detail17trampoline_kernelINS0_14default_configENS1_35radix_sort_onesweep_config_selectorIyNS0_10empty_typeEEEZZNS1_29radix_sort_onesweep_iterationIS3_Lb0EN6thrust23THRUST_200600_302600_NS6detail15normal_iteratorINS9_10device_ptrIyEEEESE_PS5_SF_jNS0_19identity_decomposerENS1_16block_id_wrapperIjLb0EEEEE10hipError_tT1_PNSt15iterator_traitsISK_E10value_typeET2_T3_PNSL_ISQ_E10value_typeET4_T5_PSV_SW_PNS1_23onesweep_lookback_stateEbbT6_jjT7_P12ihipStream_tbENKUlT_T0_SK_SP_E_clISE_PySF_SF_EEDaS13_S14_SK_SP_EUlS13_E_NS1_11comp_targetILNS1_3genE8ELNS1_11target_archE1030ELNS1_3gpuE2ELNS1_3repE0EEENS1_47radix_sort_onesweep_sort_config_static_selectorELNS0_4arch9wavefront6targetE1EEEvSK_,comdat
	.protected	_ZN7rocprim17ROCPRIM_400000_NS6detail17trampoline_kernelINS0_14default_configENS1_35radix_sort_onesweep_config_selectorIyNS0_10empty_typeEEEZZNS1_29radix_sort_onesweep_iterationIS3_Lb0EN6thrust23THRUST_200600_302600_NS6detail15normal_iteratorINS9_10device_ptrIyEEEESE_PS5_SF_jNS0_19identity_decomposerENS1_16block_id_wrapperIjLb0EEEEE10hipError_tT1_PNSt15iterator_traitsISK_E10value_typeET2_T3_PNSL_ISQ_E10value_typeET4_T5_PSV_SW_PNS1_23onesweep_lookback_stateEbbT6_jjT7_P12ihipStream_tbENKUlT_T0_SK_SP_E_clISE_PySF_SF_EEDaS13_S14_SK_SP_EUlS13_E_NS1_11comp_targetILNS1_3genE8ELNS1_11target_archE1030ELNS1_3gpuE2ELNS1_3repE0EEENS1_47radix_sort_onesweep_sort_config_static_selectorELNS0_4arch9wavefront6targetE1EEEvSK_ ; -- Begin function _ZN7rocprim17ROCPRIM_400000_NS6detail17trampoline_kernelINS0_14default_configENS1_35radix_sort_onesweep_config_selectorIyNS0_10empty_typeEEEZZNS1_29radix_sort_onesweep_iterationIS3_Lb0EN6thrust23THRUST_200600_302600_NS6detail15normal_iteratorINS9_10device_ptrIyEEEESE_PS5_SF_jNS0_19identity_decomposerENS1_16block_id_wrapperIjLb0EEEEE10hipError_tT1_PNSt15iterator_traitsISK_E10value_typeET2_T3_PNSL_ISQ_E10value_typeET4_T5_PSV_SW_PNS1_23onesweep_lookback_stateEbbT6_jjT7_P12ihipStream_tbENKUlT_T0_SK_SP_E_clISE_PySF_SF_EEDaS13_S14_SK_SP_EUlS13_E_NS1_11comp_targetILNS1_3genE8ELNS1_11target_archE1030ELNS1_3gpuE2ELNS1_3repE0EEENS1_47radix_sort_onesweep_sort_config_static_selectorELNS0_4arch9wavefront6targetE1EEEvSK_
	.globl	_ZN7rocprim17ROCPRIM_400000_NS6detail17trampoline_kernelINS0_14default_configENS1_35radix_sort_onesweep_config_selectorIyNS0_10empty_typeEEEZZNS1_29radix_sort_onesweep_iterationIS3_Lb0EN6thrust23THRUST_200600_302600_NS6detail15normal_iteratorINS9_10device_ptrIyEEEESE_PS5_SF_jNS0_19identity_decomposerENS1_16block_id_wrapperIjLb0EEEEE10hipError_tT1_PNSt15iterator_traitsISK_E10value_typeET2_T3_PNSL_ISQ_E10value_typeET4_T5_PSV_SW_PNS1_23onesweep_lookback_stateEbbT6_jjT7_P12ihipStream_tbENKUlT_T0_SK_SP_E_clISE_PySF_SF_EEDaS13_S14_SK_SP_EUlS13_E_NS1_11comp_targetILNS1_3genE8ELNS1_11target_archE1030ELNS1_3gpuE2ELNS1_3repE0EEENS1_47radix_sort_onesweep_sort_config_static_selectorELNS0_4arch9wavefront6targetE1EEEvSK_
	.p2align	8
	.type	_ZN7rocprim17ROCPRIM_400000_NS6detail17trampoline_kernelINS0_14default_configENS1_35radix_sort_onesweep_config_selectorIyNS0_10empty_typeEEEZZNS1_29radix_sort_onesweep_iterationIS3_Lb0EN6thrust23THRUST_200600_302600_NS6detail15normal_iteratorINS9_10device_ptrIyEEEESE_PS5_SF_jNS0_19identity_decomposerENS1_16block_id_wrapperIjLb0EEEEE10hipError_tT1_PNSt15iterator_traitsISK_E10value_typeET2_T3_PNSL_ISQ_E10value_typeET4_T5_PSV_SW_PNS1_23onesweep_lookback_stateEbbT6_jjT7_P12ihipStream_tbENKUlT_T0_SK_SP_E_clISE_PySF_SF_EEDaS13_S14_SK_SP_EUlS13_E_NS1_11comp_targetILNS1_3genE8ELNS1_11target_archE1030ELNS1_3gpuE2ELNS1_3repE0EEENS1_47radix_sort_onesweep_sort_config_static_selectorELNS0_4arch9wavefront6targetE1EEEvSK_,@function
_ZN7rocprim17ROCPRIM_400000_NS6detail17trampoline_kernelINS0_14default_configENS1_35radix_sort_onesweep_config_selectorIyNS0_10empty_typeEEEZZNS1_29radix_sort_onesweep_iterationIS3_Lb0EN6thrust23THRUST_200600_302600_NS6detail15normal_iteratorINS9_10device_ptrIyEEEESE_PS5_SF_jNS0_19identity_decomposerENS1_16block_id_wrapperIjLb0EEEEE10hipError_tT1_PNSt15iterator_traitsISK_E10value_typeET2_T3_PNSL_ISQ_E10value_typeET4_T5_PSV_SW_PNS1_23onesweep_lookback_stateEbbT6_jjT7_P12ihipStream_tbENKUlT_T0_SK_SP_E_clISE_PySF_SF_EEDaS13_S14_SK_SP_EUlS13_E_NS1_11comp_targetILNS1_3genE8ELNS1_11target_archE1030ELNS1_3gpuE2ELNS1_3repE0EEENS1_47radix_sort_onesweep_sort_config_static_selectorELNS0_4arch9wavefront6targetE1EEEvSK_: ; @_ZN7rocprim17ROCPRIM_400000_NS6detail17trampoline_kernelINS0_14default_configENS1_35radix_sort_onesweep_config_selectorIyNS0_10empty_typeEEEZZNS1_29radix_sort_onesweep_iterationIS3_Lb0EN6thrust23THRUST_200600_302600_NS6detail15normal_iteratorINS9_10device_ptrIyEEEESE_PS5_SF_jNS0_19identity_decomposerENS1_16block_id_wrapperIjLb0EEEEE10hipError_tT1_PNSt15iterator_traitsISK_E10value_typeET2_T3_PNSL_ISQ_E10value_typeET4_T5_PSV_SW_PNS1_23onesweep_lookback_stateEbbT6_jjT7_P12ihipStream_tbENKUlT_T0_SK_SP_E_clISE_PySF_SF_EEDaS13_S14_SK_SP_EUlS13_E_NS1_11comp_targetILNS1_3genE8ELNS1_11target_archE1030ELNS1_3gpuE2ELNS1_3repE0EEENS1_47radix_sort_onesweep_sort_config_static_selectorELNS0_4arch9wavefront6targetE1EEEvSK_
; %bb.0:
	.section	.rodata,"a",@progbits
	.p2align	6, 0x0
	.amdhsa_kernel _ZN7rocprim17ROCPRIM_400000_NS6detail17trampoline_kernelINS0_14default_configENS1_35radix_sort_onesweep_config_selectorIyNS0_10empty_typeEEEZZNS1_29radix_sort_onesweep_iterationIS3_Lb0EN6thrust23THRUST_200600_302600_NS6detail15normal_iteratorINS9_10device_ptrIyEEEESE_PS5_SF_jNS0_19identity_decomposerENS1_16block_id_wrapperIjLb0EEEEE10hipError_tT1_PNSt15iterator_traitsISK_E10value_typeET2_T3_PNSL_ISQ_E10value_typeET4_T5_PSV_SW_PNS1_23onesweep_lookback_stateEbbT6_jjT7_P12ihipStream_tbENKUlT_T0_SK_SP_E_clISE_PySF_SF_EEDaS13_S14_SK_SP_EUlS13_E_NS1_11comp_targetILNS1_3genE8ELNS1_11target_archE1030ELNS1_3gpuE2ELNS1_3repE0EEENS1_47radix_sort_onesweep_sort_config_static_selectorELNS0_4arch9wavefront6targetE1EEEvSK_
		.amdhsa_group_segment_fixed_size 0
		.amdhsa_private_segment_fixed_size 0
		.amdhsa_kernarg_size 88
		.amdhsa_user_sgpr_count 2
		.amdhsa_user_sgpr_dispatch_ptr 0
		.amdhsa_user_sgpr_queue_ptr 0
		.amdhsa_user_sgpr_kernarg_segment_ptr 1
		.amdhsa_user_sgpr_dispatch_id 0
		.amdhsa_user_sgpr_kernarg_preload_length 0
		.amdhsa_user_sgpr_kernarg_preload_offset 0
		.amdhsa_user_sgpr_private_segment_size 0
		.amdhsa_uses_dynamic_stack 0
		.amdhsa_enable_private_segment 0
		.amdhsa_system_sgpr_workgroup_id_x 1
		.amdhsa_system_sgpr_workgroup_id_y 0
		.amdhsa_system_sgpr_workgroup_id_z 0
		.amdhsa_system_sgpr_workgroup_info 0
		.amdhsa_system_vgpr_workitem_id 0
		.amdhsa_next_free_vgpr 1
		.amdhsa_next_free_sgpr 0
		.amdhsa_accum_offset 4
		.amdhsa_reserve_vcc 0
		.amdhsa_float_round_mode_32 0
		.amdhsa_float_round_mode_16_64 0
		.amdhsa_float_denorm_mode_32 3
		.amdhsa_float_denorm_mode_16_64 3
		.amdhsa_dx10_clamp 1
		.amdhsa_ieee_mode 1
		.amdhsa_fp16_overflow 0
		.amdhsa_tg_split 0
		.amdhsa_exception_fp_ieee_invalid_op 0
		.amdhsa_exception_fp_denorm_src 0
		.amdhsa_exception_fp_ieee_div_zero 0
		.amdhsa_exception_fp_ieee_overflow 0
		.amdhsa_exception_fp_ieee_underflow 0
		.amdhsa_exception_fp_ieee_inexact 0
		.amdhsa_exception_int_div_zero 0
	.end_amdhsa_kernel
	.section	.text._ZN7rocprim17ROCPRIM_400000_NS6detail17trampoline_kernelINS0_14default_configENS1_35radix_sort_onesweep_config_selectorIyNS0_10empty_typeEEEZZNS1_29radix_sort_onesweep_iterationIS3_Lb0EN6thrust23THRUST_200600_302600_NS6detail15normal_iteratorINS9_10device_ptrIyEEEESE_PS5_SF_jNS0_19identity_decomposerENS1_16block_id_wrapperIjLb0EEEEE10hipError_tT1_PNSt15iterator_traitsISK_E10value_typeET2_T3_PNSL_ISQ_E10value_typeET4_T5_PSV_SW_PNS1_23onesweep_lookback_stateEbbT6_jjT7_P12ihipStream_tbENKUlT_T0_SK_SP_E_clISE_PySF_SF_EEDaS13_S14_SK_SP_EUlS13_E_NS1_11comp_targetILNS1_3genE8ELNS1_11target_archE1030ELNS1_3gpuE2ELNS1_3repE0EEENS1_47radix_sort_onesweep_sort_config_static_selectorELNS0_4arch9wavefront6targetE1EEEvSK_,"axG",@progbits,_ZN7rocprim17ROCPRIM_400000_NS6detail17trampoline_kernelINS0_14default_configENS1_35radix_sort_onesweep_config_selectorIyNS0_10empty_typeEEEZZNS1_29radix_sort_onesweep_iterationIS3_Lb0EN6thrust23THRUST_200600_302600_NS6detail15normal_iteratorINS9_10device_ptrIyEEEESE_PS5_SF_jNS0_19identity_decomposerENS1_16block_id_wrapperIjLb0EEEEE10hipError_tT1_PNSt15iterator_traitsISK_E10value_typeET2_T3_PNSL_ISQ_E10value_typeET4_T5_PSV_SW_PNS1_23onesweep_lookback_stateEbbT6_jjT7_P12ihipStream_tbENKUlT_T0_SK_SP_E_clISE_PySF_SF_EEDaS13_S14_SK_SP_EUlS13_E_NS1_11comp_targetILNS1_3genE8ELNS1_11target_archE1030ELNS1_3gpuE2ELNS1_3repE0EEENS1_47radix_sort_onesweep_sort_config_static_selectorELNS0_4arch9wavefront6targetE1EEEvSK_,comdat
.Lfunc_end908:
	.size	_ZN7rocprim17ROCPRIM_400000_NS6detail17trampoline_kernelINS0_14default_configENS1_35radix_sort_onesweep_config_selectorIyNS0_10empty_typeEEEZZNS1_29radix_sort_onesweep_iterationIS3_Lb0EN6thrust23THRUST_200600_302600_NS6detail15normal_iteratorINS9_10device_ptrIyEEEESE_PS5_SF_jNS0_19identity_decomposerENS1_16block_id_wrapperIjLb0EEEEE10hipError_tT1_PNSt15iterator_traitsISK_E10value_typeET2_T3_PNSL_ISQ_E10value_typeET4_T5_PSV_SW_PNS1_23onesweep_lookback_stateEbbT6_jjT7_P12ihipStream_tbENKUlT_T0_SK_SP_E_clISE_PySF_SF_EEDaS13_S14_SK_SP_EUlS13_E_NS1_11comp_targetILNS1_3genE8ELNS1_11target_archE1030ELNS1_3gpuE2ELNS1_3repE0EEENS1_47radix_sort_onesweep_sort_config_static_selectorELNS0_4arch9wavefront6targetE1EEEvSK_, .Lfunc_end908-_ZN7rocprim17ROCPRIM_400000_NS6detail17trampoline_kernelINS0_14default_configENS1_35radix_sort_onesweep_config_selectorIyNS0_10empty_typeEEEZZNS1_29radix_sort_onesweep_iterationIS3_Lb0EN6thrust23THRUST_200600_302600_NS6detail15normal_iteratorINS9_10device_ptrIyEEEESE_PS5_SF_jNS0_19identity_decomposerENS1_16block_id_wrapperIjLb0EEEEE10hipError_tT1_PNSt15iterator_traitsISK_E10value_typeET2_T3_PNSL_ISQ_E10value_typeET4_T5_PSV_SW_PNS1_23onesweep_lookback_stateEbbT6_jjT7_P12ihipStream_tbENKUlT_T0_SK_SP_E_clISE_PySF_SF_EEDaS13_S14_SK_SP_EUlS13_E_NS1_11comp_targetILNS1_3genE8ELNS1_11target_archE1030ELNS1_3gpuE2ELNS1_3repE0EEENS1_47radix_sort_onesweep_sort_config_static_selectorELNS0_4arch9wavefront6targetE1EEEvSK_
                                        ; -- End function
	.section	.AMDGPU.csdata,"",@progbits
; Kernel info:
; codeLenInByte = 0
; NumSgprs: 6
; NumVgprs: 0
; NumAgprs: 0
; TotalNumVgprs: 0
; ScratchSize: 0
; MemoryBound: 0
; FloatMode: 240
; IeeeMode: 1
; LDSByteSize: 0 bytes/workgroup (compile time only)
; SGPRBlocks: 0
; VGPRBlocks: 0
; NumSGPRsForWavesPerEU: 6
; NumVGPRsForWavesPerEU: 1
; AccumOffset: 4
; Occupancy: 8
; WaveLimiterHint : 0
; COMPUTE_PGM_RSRC2:SCRATCH_EN: 0
; COMPUTE_PGM_RSRC2:USER_SGPR: 2
; COMPUTE_PGM_RSRC2:TRAP_HANDLER: 0
; COMPUTE_PGM_RSRC2:TGID_X_EN: 1
; COMPUTE_PGM_RSRC2:TGID_Y_EN: 0
; COMPUTE_PGM_RSRC2:TGID_Z_EN: 0
; COMPUTE_PGM_RSRC2:TIDIG_COMP_CNT: 0
; COMPUTE_PGM_RSRC3_GFX90A:ACCUM_OFFSET: 0
; COMPUTE_PGM_RSRC3_GFX90A:TG_SPLIT: 0
	.section	.text._ZN7rocprim17ROCPRIM_400000_NS6detail17trampoline_kernelINS0_14default_configENS1_35radix_sort_onesweep_config_selectorIyNS0_10empty_typeEEEZZNS1_29radix_sort_onesweep_iterationIS3_Lb0EN6thrust23THRUST_200600_302600_NS6detail15normal_iteratorINS9_10device_ptrIyEEEESE_PS5_SF_jNS0_19identity_decomposerENS1_16block_id_wrapperIjLb0EEEEE10hipError_tT1_PNSt15iterator_traitsISK_E10value_typeET2_T3_PNSL_ISQ_E10value_typeET4_T5_PSV_SW_PNS1_23onesweep_lookback_stateEbbT6_jjT7_P12ihipStream_tbENKUlT_T0_SK_SP_E_clIPySE_SF_SF_EEDaS13_S14_SK_SP_EUlS13_E_NS1_11comp_targetILNS1_3genE0ELNS1_11target_archE4294967295ELNS1_3gpuE0ELNS1_3repE0EEENS1_47radix_sort_onesweep_sort_config_static_selectorELNS0_4arch9wavefront6targetE1EEEvSK_,"axG",@progbits,_ZN7rocprim17ROCPRIM_400000_NS6detail17trampoline_kernelINS0_14default_configENS1_35radix_sort_onesweep_config_selectorIyNS0_10empty_typeEEEZZNS1_29radix_sort_onesweep_iterationIS3_Lb0EN6thrust23THRUST_200600_302600_NS6detail15normal_iteratorINS9_10device_ptrIyEEEESE_PS5_SF_jNS0_19identity_decomposerENS1_16block_id_wrapperIjLb0EEEEE10hipError_tT1_PNSt15iterator_traitsISK_E10value_typeET2_T3_PNSL_ISQ_E10value_typeET4_T5_PSV_SW_PNS1_23onesweep_lookback_stateEbbT6_jjT7_P12ihipStream_tbENKUlT_T0_SK_SP_E_clIPySE_SF_SF_EEDaS13_S14_SK_SP_EUlS13_E_NS1_11comp_targetILNS1_3genE0ELNS1_11target_archE4294967295ELNS1_3gpuE0ELNS1_3repE0EEENS1_47radix_sort_onesweep_sort_config_static_selectorELNS0_4arch9wavefront6targetE1EEEvSK_,comdat
	.protected	_ZN7rocprim17ROCPRIM_400000_NS6detail17trampoline_kernelINS0_14default_configENS1_35radix_sort_onesweep_config_selectorIyNS0_10empty_typeEEEZZNS1_29radix_sort_onesweep_iterationIS3_Lb0EN6thrust23THRUST_200600_302600_NS6detail15normal_iteratorINS9_10device_ptrIyEEEESE_PS5_SF_jNS0_19identity_decomposerENS1_16block_id_wrapperIjLb0EEEEE10hipError_tT1_PNSt15iterator_traitsISK_E10value_typeET2_T3_PNSL_ISQ_E10value_typeET4_T5_PSV_SW_PNS1_23onesweep_lookback_stateEbbT6_jjT7_P12ihipStream_tbENKUlT_T0_SK_SP_E_clIPySE_SF_SF_EEDaS13_S14_SK_SP_EUlS13_E_NS1_11comp_targetILNS1_3genE0ELNS1_11target_archE4294967295ELNS1_3gpuE0ELNS1_3repE0EEENS1_47radix_sort_onesweep_sort_config_static_selectorELNS0_4arch9wavefront6targetE1EEEvSK_ ; -- Begin function _ZN7rocprim17ROCPRIM_400000_NS6detail17trampoline_kernelINS0_14default_configENS1_35radix_sort_onesweep_config_selectorIyNS0_10empty_typeEEEZZNS1_29radix_sort_onesweep_iterationIS3_Lb0EN6thrust23THRUST_200600_302600_NS6detail15normal_iteratorINS9_10device_ptrIyEEEESE_PS5_SF_jNS0_19identity_decomposerENS1_16block_id_wrapperIjLb0EEEEE10hipError_tT1_PNSt15iterator_traitsISK_E10value_typeET2_T3_PNSL_ISQ_E10value_typeET4_T5_PSV_SW_PNS1_23onesweep_lookback_stateEbbT6_jjT7_P12ihipStream_tbENKUlT_T0_SK_SP_E_clIPySE_SF_SF_EEDaS13_S14_SK_SP_EUlS13_E_NS1_11comp_targetILNS1_3genE0ELNS1_11target_archE4294967295ELNS1_3gpuE0ELNS1_3repE0EEENS1_47radix_sort_onesweep_sort_config_static_selectorELNS0_4arch9wavefront6targetE1EEEvSK_
	.globl	_ZN7rocprim17ROCPRIM_400000_NS6detail17trampoline_kernelINS0_14default_configENS1_35radix_sort_onesweep_config_selectorIyNS0_10empty_typeEEEZZNS1_29radix_sort_onesweep_iterationIS3_Lb0EN6thrust23THRUST_200600_302600_NS6detail15normal_iteratorINS9_10device_ptrIyEEEESE_PS5_SF_jNS0_19identity_decomposerENS1_16block_id_wrapperIjLb0EEEEE10hipError_tT1_PNSt15iterator_traitsISK_E10value_typeET2_T3_PNSL_ISQ_E10value_typeET4_T5_PSV_SW_PNS1_23onesweep_lookback_stateEbbT6_jjT7_P12ihipStream_tbENKUlT_T0_SK_SP_E_clIPySE_SF_SF_EEDaS13_S14_SK_SP_EUlS13_E_NS1_11comp_targetILNS1_3genE0ELNS1_11target_archE4294967295ELNS1_3gpuE0ELNS1_3repE0EEENS1_47radix_sort_onesweep_sort_config_static_selectorELNS0_4arch9wavefront6targetE1EEEvSK_
	.p2align	8
	.type	_ZN7rocprim17ROCPRIM_400000_NS6detail17trampoline_kernelINS0_14default_configENS1_35radix_sort_onesweep_config_selectorIyNS0_10empty_typeEEEZZNS1_29radix_sort_onesweep_iterationIS3_Lb0EN6thrust23THRUST_200600_302600_NS6detail15normal_iteratorINS9_10device_ptrIyEEEESE_PS5_SF_jNS0_19identity_decomposerENS1_16block_id_wrapperIjLb0EEEEE10hipError_tT1_PNSt15iterator_traitsISK_E10value_typeET2_T3_PNSL_ISQ_E10value_typeET4_T5_PSV_SW_PNS1_23onesweep_lookback_stateEbbT6_jjT7_P12ihipStream_tbENKUlT_T0_SK_SP_E_clIPySE_SF_SF_EEDaS13_S14_SK_SP_EUlS13_E_NS1_11comp_targetILNS1_3genE0ELNS1_11target_archE4294967295ELNS1_3gpuE0ELNS1_3repE0EEENS1_47radix_sort_onesweep_sort_config_static_selectorELNS0_4arch9wavefront6targetE1EEEvSK_,@function
_ZN7rocprim17ROCPRIM_400000_NS6detail17trampoline_kernelINS0_14default_configENS1_35radix_sort_onesweep_config_selectorIyNS0_10empty_typeEEEZZNS1_29radix_sort_onesweep_iterationIS3_Lb0EN6thrust23THRUST_200600_302600_NS6detail15normal_iteratorINS9_10device_ptrIyEEEESE_PS5_SF_jNS0_19identity_decomposerENS1_16block_id_wrapperIjLb0EEEEE10hipError_tT1_PNSt15iterator_traitsISK_E10value_typeET2_T3_PNSL_ISQ_E10value_typeET4_T5_PSV_SW_PNS1_23onesweep_lookback_stateEbbT6_jjT7_P12ihipStream_tbENKUlT_T0_SK_SP_E_clIPySE_SF_SF_EEDaS13_S14_SK_SP_EUlS13_E_NS1_11comp_targetILNS1_3genE0ELNS1_11target_archE4294967295ELNS1_3gpuE0ELNS1_3repE0EEENS1_47radix_sort_onesweep_sort_config_static_selectorELNS0_4arch9wavefront6targetE1EEEvSK_: ; @_ZN7rocprim17ROCPRIM_400000_NS6detail17trampoline_kernelINS0_14default_configENS1_35radix_sort_onesweep_config_selectorIyNS0_10empty_typeEEEZZNS1_29radix_sort_onesweep_iterationIS3_Lb0EN6thrust23THRUST_200600_302600_NS6detail15normal_iteratorINS9_10device_ptrIyEEEESE_PS5_SF_jNS0_19identity_decomposerENS1_16block_id_wrapperIjLb0EEEEE10hipError_tT1_PNSt15iterator_traitsISK_E10value_typeET2_T3_PNSL_ISQ_E10value_typeET4_T5_PSV_SW_PNS1_23onesweep_lookback_stateEbbT6_jjT7_P12ihipStream_tbENKUlT_T0_SK_SP_E_clIPySE_SF_SF_EEDaS13_S14_SK_SP_EUlS13_E_NS1_11comp_targetILNS1_3genE0ELNS1_11target_archE4294967295ELNS1_3gpuE0ELNS1_3repE0EEENS1_47radix_sort_onesweep_sort_config_static_selectorELNS0_4arch9wavefront6targetE1EEEvSK_
; %bb.0:
	.section	.rodata,"a",@progbits
	.p2align	6, 0x0
	.amdhsa_kernel _ZN7rocprim17ROCPRIM_400000_NS6detail17trampoline_kernelINS0_14default_configENS1_35radix_sort_onesweep_config_selectorIyNS0_10empty_typeEEEZZNS1_29radix_sort_onesweep_iterationIS3_Lb0EN6thrust23THRUST_200600_302600_NS6detail15normal_iteratorINS9_10device_ptrIyEEEESE_PS5_SF_jNS0_19identity_decomposerENS1_16block_id_wrapperIjLb0EEEEE10hipError_tT1_PNSt15iterator_traitsISK_E10value_typeET2_T3_PNSL_ISQ_E10value_typeET4_T5_PSV_SW_PNS1_23onesweep_lookback_stateEbbT6_jjT7_P12ihipStream_tbENKUlT_T0_SK_SP_E_clIPySE_SF_SF_EEDaS13_S14_SK_SP_EUlS13_E_NS1_11comp_targetILNS1_3genE0ELNS1_11target_archE4294967295ELNS1_3gpuE0ELNS1_3repE0EEENS1_47radix_sort_onesweep_sort_config_static_selectorELNS0_4arch9wavefront6targetE1EEEvSK_
		.amdhsa_group_segment_fixed_size 0
		.amdhsa_private_segment_fixed_size 0
		.amdhsa_kernarg_size 88
		.amdhsa_user_sgpr_count 2
		.amdhsa_user_sgpr_dispatch_ptr 0
		.amdhsa_user_sgpr_queue_ptr 0
		.amdhsa_user_sgpr_kernarg_segment_ptr 1
		.amdhsa_user_sgpr_dispatch_id 0
		.amdhsa_user_sgpr_kernarg_preload_length 0
		.amdhsa_user_sgpr_kernarg_preload_offset 0
		.amdhsa_user_sgpr_private_segment_size 0
		.amdhsa_uses_dynamic_stack 0
		.amdhsa_enable_private_segment 0
		.amdhsa_system_sgpr_workgroup_id_x 1
		.amdhsa_system_sgpr_workgroup_id_y 0
		.amdhsa_system_sgpr_workgroup_id_z 0
		.amdhsa_system_sgpr_workgroup_info 0
		.amdhsa_system_vgpr_workitem_id 0
		.amdhsa_next_free_vgpr 1
		.amdhsa_next_free_sgpr 0
		.amdhsa_accum_offset 4
		.amdhsa_reserve_vcc 0
		.amdhsa_float_round_mode_32 0
		.amdhsa_float_round_mode_16_64 0
		.amdhsa_float_denorm_mode_32 3
		.amdhsa_float_denorm_mode_16_64 3
		.amdhsa_dx10_clamp 1
		.amdhsa_ieee_mode 1
		.amdhsa_fp16_overflow 0
		.amdhsa_tg_split 0
		.amdhsa_exception_fp_ieee_invalid_op 0
		.amdhsa_exception_fp_denorm_src 0
		.amdhsa_exception_fp_ieee_div_zero 0
		.amdhsa_exception_fp_ieee_overflow 0
		.amdhsa_exception_fp_ieee_underflow 0
		.amdhsa_exception_fp_ieee_inexact 0
		.amdhsa_exception_int_div_zero 0
	.end_amdhsa_kernel
	.section	.text._ZN7rocprim17ROCPRIM_400000_NS6detail17trampoline_kernelINS0_14default_configENS1_35radix_sort_onesweep_config_selectorIyNS0_10empty_typeEEEZZNS1_29radix_sort_onesweep_iterationIS3_Lb0EN6thrust23THRUST_200600_302600_NS6detail15normal_iteratorINS9_10device_ptrIyEEEESE_PS5_SF_jNS0_19identity_decomposerENS1_16block_id_wrapperIjLb0EEEEE10hipError_tT1_PNSt15iterator_traitsISK_E10value_typeET2_T3_PNSL_ISQ_E10value_typeET4_T5_PSV_SW_PNS1_23onesweep_lookback_stateEbbT6_jjT7_P12ihipStream_tbENKUlT_T0_SK_SP_E_clIPySE_SF_SF_EEDaS13_S14_SK_SP_EUlS13_E_NS1_11comp_targetILNS1_3genE0ELNS1_11target_archE4294967295ELNS1_3gpuE0ELNS1_3repE0EEENS1_47radix_sort_onesweep_sort_config_static_selectorELNS0_4arch9wavefront6targetE1EEEvSK_,"axG",@progbits,_ZN7rocprim17ROCPRIM_400000_NS6detail17trampoline_kernelINS0_14default_configENS1_35radix_sort_onesweep_config_selectorIyNS0_10empty_typeEEEZZNS1_29radix_sort_onesweep_iterationIS3_Lb0EN6thrust23THRUST_200600_302600_NS6detail15normal_iteratorINS9_10device_ptrIyEEEESE_PS5_SF_jNS0_19identity_decomposerENS1_16block_id_wrapperIjLb0EEEEE10hipError_tT1_PNSt15iterator_traitsISK_E10value_typeET2_T3_PNSL_ISQ_E10value_typeET4_T5_PSV_SW_PNS1_23onesweep_lookback_stateEbbT6_jjT7_P12ihipStream_tbENKUlT_T0_SK_SP_E_clIPySE_SF_SF_EEDaS13_S14_SK_SP_EUlS13_E_NS1_11comp_targetILNS1_3genE0ELNS1_11target_archE4294967295ELNS1_3gpuE0ELNS1_3repE0EEENS1_47radix_sort_onesweep_sort_config_static_selectorELNS0_4arch9wavefront6targetE1EEEvSK_,comdat
.Lfunc_end909:
	.size	_ZN7rocprim17ROCPRIM_400000_NS6detail17trampoline_kernelINS0_14default_configENS1_35radix_sort_onesweep_config_selectorIyNS0_10empty_typeEEEZZNS1_29radix_sort_onesweep_iterationIS3_Lb0EN6thrust23THRUST_200600_302600_NS6detail15normal_iteratorINS9_10device_ptrIyEEEESE_PS5_SF_jNS0_19identity_decomposerENS1_16block_id_wrapperIjLb0EEEEE10hipError_tT1_PNSt15iterator_traitsISK_E10value_typeET2_T3_PNSL_ISQ_E10value_typeET4_T5_PSV_SW_PNS1_23onesweep_lookback_stateEbbT6_jjT7_P12ihipStream_tbENKUlT_T0_SK_SP_E_clIPySE_SF_SF_EEDaS13_S14_SK_SP_EUlS13_E_NS1_11comp_targetILNS1_3genE0ELNS1_11target_archE4294967295ELNS1_3gpuE0ELNS1_3repE0EEENS1_47radix_sort_onesweep_sort_config_static_selectorELNS0_4arch9wavefront6targetE1EEEvSK_, .Lfunc_end909-_ZN7rocprim17ROCPRIM_400000_NS6detail17trampoline_kernelINS0_14default_configENS1_35radix_sort_onesweep_config_selectorIyNS0_10empty_typeEEEZZNS1_29radix_sort_onesweep_iterationIS3_Lb0EN6thrust23THRUST_200600_302600_NS6detail15normal_iteratorINS9_10device_ptrIyEEEESE_PS5_SF_jNS0_19identity_decomposerENS1_16block_id_wrapperIjLb0EEEEE10hipError_tT1_PNSt15iterator_traitsISK_E10value_typeET2_T3_PNSL_ISQ_E10value_typeET4_T5_PSV_SW_PNS1_23onesweep_lookback_stateEbbT6_jjT7_P12ihipStream_tbENKUlT_T0_SK_SP_E_clIPySE_SF_SF_EEDaS13_S14_SK_SP_EUlS13_E_NS1_11comp_targetILNS1_3genE0ELNS1_11target_archE4294967295ELNS1_3gpuE0ELNS1_3repE0EEENS1_47radix_sort_onesweep_sort_config_static_selectorELNS0_4arch9wavefront6targetE1EEEvSK_
                                        ; -- End function
	.section	.AMDGPU.csdata,"",@progbits
; Kernel info:
; codeLenInByte = 0
; NumSgprs: 6
; NumVgprs: 0
; NumAgprs: 0
; TotalNumVgprs: 0
; ScratchSize: 0
; MemoryBound: 0
; FloatMode: 240
; IeeeMode: 1
; LDSByteSize: 0 bytes/workgroup (compile time only)
; SGPRBlocks: 0
; VGPRBlocks: 0
; NumSGPRsForWavesPerEU: 6
; NumVGPRsForWavesPerEU: 1
; AccumOffset: 4
; Occupancy: 8
; WaveLimiterHint : 0
; COMPUTE_PGM_RSRC2:SCRATCH_EN: 0
; COMPUTE_PGM_RSRC2:USER_SGPR: 2
; COMPUTE_PGM_RSRC2:TRAP_HANDLER: 0
; COMPUTE_PGM_RSRC2:TGID_X_EN: 1
; COMPUTE_PGM_RSRC2:TGID_Y_EN: 0
; COMPUTE_PGM_RSRC2:TGID_Z_EN: 0
; COMPUTE_PGM_RSRC2:TIDIG_COMP_CNT: 0
; COMPUTE_PGM_RSRC3_GFX90A:ACCUM_OFFSET: 0
; COMPUTE_PGM_RSRC3_GFX90A:TG_SPLIT: 0
	.section	.text._ZN7rocprim17ROCPRIM_400000_NS6detail17trampoline_kernelINS0_14default_configENS1_35radix_sort_onesweep_config_selectorIyNS0_10empty_typeEEEZZNS1_29radix_sort_onesweep_iterationIS3_Lb0EN6thrust23THRUST_200600_302600_NS6detail15normal_iteratorINS9_10device_ptrIyEEEESE_PS5_SF_jNS0_19identity_decomposerENS1_16block_id_wrapperIjLb0EEEEE10hipError_tT1_PNSt15iterator_traitsISK_E10value_typeET2_T3_PNSL_ISQ_E10value_typeET4_T5_PSV_SW_PNS1_23onesweep_lookback_stateEbbT6_jjT7_P12ihipStream_tbENKUlT_T0_SK_SP_E_clIPySE_SF_SF_EEDaS13_S14_SK_SP_EUlS13_E_NS1_11comp_targetILNS1_3genE6ELNS1_11target_archE950ELNS1_3gpuE13ELNS1_3repE0EEENS1_47radix_sort_onesweep_sort_config_static_selectorELNS0_4arch9wavefront6targetE1EEEvSK_,"axG",@progbits,_ZN7rocprim17ROCPRIM_400000_NS6detail17trampoline_kernelINS0_14default_configENS1_35radix_sort_onesweep_config_selectorIyNS0_10empty_typeEEEZZNS1_29radix_sort_onesweep_iterationIS3_Lb0EN6thrust23THRUST_200600_302600_NS6detail15normal_iteratorINS9_10device_ptrIyEEEESE_PS5_SF_jNS0_19identity_decomposerENS1_16block_id_wrapperIjLb0EEEEE10hipError_tT1_PNSt15iterator_traitsISK_E10value_typeET2_T3_PNSL_ISQ_E10value_typeET4_T5_PSV_SW_PNS1_23onesweep_lookback_stateEbbT6_jjT7_P12ihipStream_tbENKUlT_T0_SK_SP_E_clIPySE_SF_SF_EEDaS13_S14_SK_SP_EUlS13_E_NS1_11comp_targetILNS1_3genE6ELNS1_11target_archE950ELNS1_3gpuE13ELNS1_3repE0EEENS1_47radix_sort_onesweep_sort_config_static_selectorELNS0_4arch9wavefront6targetE1EEEvSK_,comdat
	.protected	_ZN7rocprim17ROCPRIM_400000_NS6detail17trampoline_kernelINS0_14default_configENS1_35radix_sort_onesweep_config_selectorIyNS0_10empty_typeEEEZZNS1_29radix_sort_onesweep_iterationIS3_Lb0EN6thrust23THRUST_200600_302600_NS6detail15normal_iteratorINS9_10device_ptrIyEEEESE_PS5_SF_jNS0_19identity_decomposerENS1_16block_id_wrapperIjLb0EEEEE10hipError_tT1_PNSt15iterator_traitsISK_E10value_typeET2_T3_PNSL_ISQ_E10value_typeET4_T5_PSV_SW_PNS1_23onesweep_lookback_stateEbbT6_jjT7_P12ihipStream_tbENKUlT_T0_SK_SP_E_clIPySE_SF_SF_EEDaS13_S14_SK_SP_EUlS13_E_NS1_11comp_targetILNS1_3genE6ELNS1_11target_archE950ELNS1_3gpuE13ELNS1_3repE0EEENS1_47radix_sort_onesweep_sort_config_static_selectorELNS0_4arch9wavefront6targetE1EEEvSK_ ; -- Begin function _ZN7rocprim17ROCPRIM_400000_NS6detail17trampoline_kernelINS0_14default_configENS1_35radix_sort_onesweep_config_selectorIyNS0_10empty_typeEEEZZNS1_29radix_sort_onesweep_iterationIS3_Lb0EN6thrust23THRUST_200600_302600_NS6detail15normal_iteratorINS9_10device_ptrIyEEEESE_PS5_SF_jNS0_19identity_decomposerENS1_16block_id_wrapperIjLb0EEEEE10hipError_tT1_PNSt15iterator_traitsISK_E10value_typeET2_T3_PNSL_ISQ_E10value_typeET4_T5_PSV_SW_PNS1_23onesweep_lookback_stateEbbT6_jjT7_P12ihipStream_tbENKUlT_T0_SK_SP_E_clIPySE_SF_SF_EEDaS13_S14_SK_SP_EUlS13_E_NS1_11comp_targetILNS1_3genE6ELNS1_11target_archE950ELNS1_3gpuE13ELNS1_3repE0EEENS1_47radix_sort_onesweep_sort_config_static_selectorELNS0_4arch9wavefront6targetE1EEEvSK_
	.globl	_ZN7rocprim17ROCPRIM_400000_NS6detail17trampoline_kernelINS0_14default_configENS1_35radix_sort_onesweep_config_selectorIyNS0_10empty_typeEEEZZNS1_29radix_sort_onesweep_iterationIS3_Lb0EN6thrust23THRUST_200600_302600_NS6detail15normal_iteratorINS9_10device_ptrIyEEEESE_PS5_SF_jNS0_19identity_decomposerENS1_16block_id_wrapperIjLb0EEEEE10hipError_tT1_PNSt15iterator_traitsISK_E10value_typeET2_T3_PNSL_ISQ_E10value_typeET4_T5_PSV_SW_PNS1_23onesweep_lookback_stateEbbT6_jjT7_P12ihipStream_tbENKUlT_T0_SK_SP_E_clIPySE_SF_SF_EEDaS13_S14_SK_SP_EUlS13_E_NS1_11comp_targetILNS1_3genE6ELNS1_11target_archE950ELNS1_3gpuE13ELNS1_3repE0EEENS1_47radix_sort_onesweep_sort_config_static_selectorELNS0_4arch9wavefront6targetE1EEEvSK_
	.p2align	8
	.type	_ZN7rocprim17ROCPRIM_400000_NS6detail17trampoline_kernelINS0_14default_configENS1_35radix_sort_onesweep_config_selectorIyNS0_10empty_typeEEEZZNS1_29radix_sort_onesweep_iterationIS3_Lb0EN6thrust23THRUST_200600_302600_NS6detail15normal_iteratorINS9_10device_ptrIyEEEESE_PS5_SF_jNS0_19identity_decomposerENS1_16block_id_wrapperIjLb0EEEEE10hipError_tT1_PNSt15iterator_traitsISK_E10value_typeET2_T3_PNSL_ISQ_E10value_typeET4_T5_PSV_SW_PNS1_23onesweep_lookback_stateEbbT6_jjT7_P12ihipStream_tbENKUlT_T0_SK_SP_E_clIPySE_SF_SF_EEDaS13_S14_SK_SP_EUlS13_E_NS1_11comp_targetILNS1_3genE6ELNS1_11target_archE950ELNS1_3gpuE13ELNS1_3repE0EEENS1_47radix_sort_onesweep_sort_config_static_selectorELNS0_4arch9wavefront6targetE1EEEvSK_,@function
_ZN7rocprim17ROCPRIM_400000_NS6detail17trampoline_kernelINS0_14default_configENS1_35radix_sort_onesweep_config_selectorIyNS0_10empty_typeEEEZZNS1_29radix_sort_onesweep_iterationIS3_Lb0EN6thrust23THRUST_200600_302600_NS6detail15normal_iteratorINS9_10device_ptrIyEEEESE_PS5_SF_jNS0_19identity_decomposerENS1_16block_id_wrapperIjLb0EEEEE10hipError_tT1_PNSt15iterator_traitsISK_E10value_typeET2_T3_PNSL_ISQ_E10value_typeET4_T5_PSV_SW_PNS1_23onesweep_lookback_stateEbbT6_jjT7_P12ihipStream_tbENKUlT_T0_SK_SP_E_clIPySE_SF_SF_EEDaS13_S14_SK_SP_EUlS13_E_NS1_11comp_targetILNS1_3genE6ELNS1_11target_archE950ELNS1_3gpuE13ELNS1_3repE0EEENS1_47radix_sort_onesweep_sort_config_static_selectorELNS0_4arch9wavefront6targetE1EEEvSK_: ; @_ZN7rocprim17ROCPRIM_400000_NS6detail17trampoline_kernelINS0_14default_configENS1_35radix_sort_onesweep_config_selectorIyNS0_10empty_typeEEEZZNS1_29radix_sort_onesweep_iterationIS3_Lb0EN6thrust23THRUST_200600_302600_NS6detail15normal_iteratorINS9_10device_ptrIyEEEESE_PS5_SF_jNS0_19identity_decomposerENS1_16block_id_wrapperIjLb0EEEEE10hipError_tT1_PNSt15iterator_traitsISK_E10value_typeET2_T3_PNSL_ISQ_E10value_typeET4_T5_PSV_SW_PNS1_23onesweep_lookback_stateEbbT6_jjT7_P12ihipStream_tbENKUlT_T0_SK_SP_E_clIPySE_SF_SF_EEDaS13_S14_SK_SP_EUlS13_E_NS1_11comp_targetILNS1_3genE6ELNS1_11target_archE950ELNS1_3gpuE13ELNS1_3repE0EEENS1_47radix_sort_onesweep_sort_config_static_selectorELNS0_4arch9wavefront6targetE1EEEvSK_
; %bb.0:
	.section	.rodata,"a",@progbits
	.p2align	6, 0x0
	.amdhsa_kernel _ZN7rocprim17ROCPRIM_400000_NS6detail17trampoline_kernelINS0_14default_configENS1_35radix_sort_onesweep_config_selectorIyNS0_10empty_typeEEEZZNS1_29radix_sort_onesweep_iterationIS3_Lb0EN6thrust23THRUST_200600_302600_NS6detail15normal_iteratorINS9_10device_ptrIyEEEESE_PS5_SF_jNS0_19identity_decomposerENS1_16block_id_wrapperIjLb0EEEEE10hipError_tT1_PNSt15iterator_traitsISK_E10value_typeET2_T3_PNSL_ISQ_E10value_typeET4_T5_PSV_SW_PNS1_23onesweep_lookback_stateEbbT6_jjT7_P12ihipStream_tbENKUlT_T0_SK_SP_E_clIPySE_SF_SF_EEDaS13_S14_SK_SP_EUlS13_E_NS1_11comp_targetILNS1_3genE6ELNS1_11target_archE950ELNS1_3gpuE13ELNS1_3repE0EEENS1_47radix_sort_onesweep_sort_config_static_selectorELNS0_4arch9wavefront6targetE1EEEvSK_
		.amdhsa_group_segment_fixed_size 0
		.amdhsa_private_segment_fixed_size 0
		.amdhsa_kernarg_size 88
		.amdhsa_user_sgpr_count 2
		.amdhsa_user_sgpr_dispatch_ptr 0
		.amdhsa_user_sgpr_queue_ptr 0
		.amdhsa_user_sgpr_kernarg_segment_ptr 1
		.amdhsa_user_sgpr_dispatch_id 0
		.amdhsa_user_sgpr_kernarg_preload_length 0
		.amdhsa_user_sgpr_kernarg_preload_offset 0
		.amdhsa_user_sgpr_private_segment_size 0
		.amdhsa_uses_dynamic_stack 0
		.amdhsa_enable_private_segment 0
		.amdhsa_system_sgpr_workgroup_id_x 1
		.amdhsa_system_sgpr_workgroup_id_y 0
		.amdhsa_system_sgpr_workgroup_id_z 0
		.amdhsa_system_sgpr_workgroup_info 0
		.amdhsa_system_vgpr_workitem_id 0
		.amdhsa_next_free_vgpr 1
		.amdhsa_next_free_sgpr 0
		.amdhsa_accum_offset 4
		.amdhsa_reserve_vcc 0
		.amdhsa_float_round_mode_32 0
		.amdhsa_float_round_mode_16_64 0
		.amdhsa_float_denorm_mode_32 3
		.amdhsa_float_denorm_mode_16_64 3
		.amdhsa_dx10_clamp 1
		.amdhsa_ieee_mode 1
		.amdhsa_fp16_overflow 0
		.amdhsa_tg_split 0
		.amdhsa_exception_fp_ieee_invalid_op 0
		.amdhsa_exception_fp_denorm_src 0
		.amdhsa_exception_fp_ieee_div_zero 0
		.amdhsa_exception_fp_ieee_overflow 0
		.amdhsa_exception_fp_ieee_underflow 0
		.amdhsa_exception_fp_ieee_inexact 0
		.amdhsa_exception_int_div_zero 0
	.end_amdhsa_kernel
	.section	.text._ZN7rocprim17ROCPRIM_400000_NS6detail17trampoline_kernelINS0_14default_configENS1_35radix_sort_onesweep_config_selectorIyNS0_10empty_typeEEEZZNS1_29radix_sort_onesweep_iterationIS3_Lb0EN6thrust23THRUST_200600_302600_NS6detail15normal_iteratorINS9_10device_ptrIyEEEESE_PS5_SF_jNS0_19identity_decomposerENS1_16block_id_wrapperIjLb0EEEEE10hipError_tT1_PNSt15iterator_traitsISK_E10value_typeET2_T3_PNSL_ISQ_E10value_typeET4_T5_PSV_SW_PNS1_23onesweep_lookback_stateEbbT6_jjT7_P12ihipStream_tbENKUlT_T0_SK_SP_E_clIPySE_SF_SF_EEDaS13_S14_SK_SP_EUlS13_E_NS1_11comp_targetILNS1_3genE6ELNS1_11target_archE950ELNS1_3gpuE13ELNS1_3repE0EEENS1_47radix_sort_onesweep_sort_config_static_selectorELNS0_4arch9wavefront6targetE1EEEvSK_,"axG",@progbits,_ZN7rocprim17ROCPRIM_400000_NS6detail17trampoline_kernelINS0_14default_configENS1_35radix_sort_onesweep_config_selectorIyNS0_10empty_typeEEEZZNS1_29radix_sort_onesweep_iterationIS3_Lb0EN6thrust23THRUST_200600_302600_NS6detail15normal_iteratorINS9_10device_ptrIyEEEESE_PS5_SF_jNS0_19identity_decomposerENS1_16block_id_wrapperIjLb0EEEEE10hipError_tT1_PNSt15iterator_traitsISK_E10value_typeET2_T3_PNSL_ISQ_E10value_typeET4_T5_PSV_SW_PNS1_23onesweep_lookback_stateEbbT6_jjT7_P12ihipStream_tbENKUlT_T0_SK_SP_E_clIPySE_SF_SF_EEDaS13_S14_SK_SP_EUlS13_E_NS1_11comp_targetILNS1_3genE6ELNS1_11target_archE950ELNS1_3gpuE13ELNS1_3repE0EEENS1_47radix_sort_onesweep_sort_config_static_selectorELNS0_4arch9wavefront6targetE1EEEvSK_,comdat
.Lfunc_end910:
	.size	_ZN7rocprim17ROCPRIM_400000_NS6detail17trampoline_kernelINS0_14default_configENS1_35radix_sort_onesweep_config_selectorIyNS0_10empty_typeEEEZZNS1_29radix_sort_onesweep_iterationIS3_Lb0EN6thrust23THRUST_200600_302600_NS6detail15normal_iteratorINS9_10device_ptrIyEEEESE_PS5_SF_jNS0_19identity_decomposerENS1_16block_id_wrapperIjLb0EEEEE10hipError_tT1_PNSt15iterator_traitsISK_E10value_typeET2_T3_PNSL_ISQ_E10value_typeET4_T5_PSV_SW_PNS1_23onesweep_lookback_stateEbbT6_jjT7_P12ihipStream_tbENKUlT_T0_SK_SP_E_clIPySE_SF_SF_EEDaS13_S14_SK_SP_EUlS13_E_NS1_11comp_targetILNS1_3genE6ELNS1_11target_archE950ELNS1_3gpuE13ELNS1_3repE0EEENS1_47radix_sort_onesweep_sort_config_static_selectorELNS0_4arch9wavefront6targetE1EEEvSK_, .Lfunc_end910-_ZN7rocprim17ROCPRIM_400000_NS6detail17trampoline_kernelINS0_14default_configENS1_35radix_sort_onesweep_config_selectorIyNS0_10empty_typeEEEZZNS1_29radix_sort_onesweep_iterationIS3_Lb0EN6thrust23THRUST_200600_302600_NS6detail15normal_iteratorINS9_10device_ptrIyEEEESE_PS5_SF_jNS0_19identity_decomposerENS1_16block_id_wrapperIjLb0EEEEE10hipError_tT1_PNSt15iterator_traitsISK_E10value_typeET2_T3_PNSL_ISQ_E10value_typeET4_T5_PSV_SW_PNS1_23onesweep_lookback_stateEbbT6_jjT7_P12ihipStream_tbENKUlT_T0_SK_SP_E_clIPySE_SF_SF_EEDaS13_S14_SK_SP_EUlS13_E_NS1_11comp_targetILNS1_3genE6ELNS1_11target_archE950ELNS1_3gpuE13ELNS1_3repE0EEENS1_47radix_sort_onesweep_sort_config_static_selectorELNS0_4arch9wavefront6targetE1EEEvSK_
                                        ; -- End function
	.section	.AMDGPU.csdata,"",@progbits
; Kernel info:
; codeLenInByte = 0
; NumSgprs: 6
; NumVgprs: 0
; NumAgprs: 0
; TotalNumVgprs: 0
; ScratchSize: 0
; MemoryBound: 0
; FloatMode: 240
; IeeeMode: 1
; LDSByteSize: 0 bytes/workgroup (compile time only)
; SGPRBlocks: 0
; VGPRBlocks: 0
; NumSGPRsForWavesPerEU: 6
; NumVGPRsForWavesPerEU: 1
; AccumOffset: 4
; Occupancy: 8
; WaveLimiterHint : 0
; COMPUTE_PGM_RSRC2:SCRATCH_EN: 0
; COMPUTE_PGM_RSRC2:USER_SGPR: 2
; COMPUTE_PGM_RSRC2:TRAP_HANDLER: 0
; COMPUTE_PGM_RSRC2:TGID_X_EN: 1
; COMPUTE_PGM_RSRC2:TGID_Y_EN: 0
; COMPUTE_PGM_RSRC2:TGID_Z_EN: 0
; COMPUTE_PGM_RSRC2:TIDIG_COMP_CNT: 0
; COMPUTE_PGM_RSRC3_GFX90A:ACCUM_OFFSET: 0
; COMPUTE_PGM_RSRC3_GFX90A:TG_SPLIT: 0
	.section	.text._ZN7rocprim17ROCPRIM_400000_NS6detail17trampoline_kernelINS0_14default_configENS1_35radix_sort_onesweep_config_selectorIyNS0_10empty_typeEEEZZNS1_29radix_sort_onesweep_iterationIS3_Lb0EN6thrust23THRUST_200600_302600_NS6detail15normal_iteratorINS9_10device_ptrIyEEEESE_PS5_SF_jNS0_19identity_decomposerENS1_16block_id_wrapperIjLb0EEEEE10hipError_tT1_PNSt15iterator_traitsISK_E10value_typeET2_T3_PNSL_ISQ_E10value_typeET4_T5_PSV_SW_PNS1_23onesweep_lookback_stateEbbT6_jjT7_P12ihipStream_tbENKUlT_T0_SK_SP_E_clIPySE_SF_SF_EEDaS13_S14_SK_SP_EUlS13_E_NS1_11comp_targetILNS1_3genE5ELNS1_11target_archE942ELNS1_3gpuE9ELNS1_3repE0EEENS1_47radix_sort_onesweep_sort_config_static_selectorELNS0_4arch9wavefront6targetE1EEEvSK_,"axG",@progbits,_ZN7rocprim17ROCPRIM_400000_NS6detail17trampoline_kernelINS0_14default_configENS1_35radix_sort_onesweep_config_selectorIyNS0_10empty_typeEEEZZNS1_29radix_sort_onesweep_iterationIS3_Lb0EN6thrust23THRUST_200600_302600_NS6detail15normal_iteratorINS9_10device_ptrIyEEEESE_PS5_SF_jNS0_19identity_decomposerENS1_16block_id_wrapperIjLb0EEEEE10hipError_tT1_PNSt15iterator_traitsISK_E10value_typeET2_T3_PNSL_ISQ_E10value_typeET4_T5_PSV_SW_PNS1_23onesweep_lookback_stateEbbT6_jjT7_P12ihipStream_tbENKUlT_T0_SK_SP_E_clIPySE_SF_SF_EEDaS13_S14_SK_SP_EUlS13_E_NS1_11comp_targetILNS1_3genE5ELNS1_11target_archE942ELNS1_3gpuE9ELNS1_3repE0EEENS1_47radix_sort_onesweep_sort_config_static_selectorELNS0_4arch9wavefront6targetE1EEEvSK_,comdat
	.protected	_ZN7rocprim17ROCPRIM_400000_NS6detail17trampoline_kernelINS0_14default_configENS1_35radix_sort_onesweep_config_selectorIyNS0_10empty_typeEEEZZNS1_29radix_sort_onesweep_iterationIS3_Lb0EN6thrust23THRUST_200600_302600_NS6detail15normal_iteratorINS9_10device_ptrIyEEEESE_PS5_SF_jNS0_19identity_decomposerENS1_16block_id_wrapperIjLb0EEEEE10hipError_tT1_PNSt15iterator_traitsISK_E10value_typeET2_T3_PNSL_ISQ_E10value_typeET4_T5_PSV_SW_PNS1_23onesweep_lookback_stateEbbT6_jjT7_P12ihipStream_tbENKUlT_T0_SK_SP_E_clIPySE_SF_SF_EEDaS13_S14_SK_SP_EUlS13_E_NS1_11comp_targetILNS1_3genE5ELNS1_11target_archE942ELNS1_3gpuE9ELNS1_3repE0EEENS1_47radix_sort_onesweep_sort_config_static_selectorELNS0_4arch9wavefront6targetE1EEEvSK_ ; -- Begin function _ZN7rocprim17ROCPRIM_400000_NS6detail17trampoline_kernelINS0_14default_configENS1_35radix_sort_onesweep_config_selectorIyNS0_10empty_typeEEEZZNS1_29radix_sort_onesweep_iterationIS3_Lb0EN6thrust23THRUST_200600_302600_NS6detail15normal_iteratorINS9_10device_ptrIyEEEESE_PS5_SF_jNS0_19identity_decomposerENS1_16block_id_wrapperIjLb0EEEEE10hipError_tT1_PNSt15iterator_traitsISK_E10value_typeET2_T3_PNSL_ISQ_E10value_typeET4_T5_PSV_SW_PNS1_23onesweep_lookback_stateEbbT6_jjT7_P12ihipStream_tbENKUlT_T0_SK_SP_E_clIPySE_SF_SF_EEDaS13_S14_SK_SP_EUlS13_E_NS1_11comp_targetILNS1_3genE5ELNS1_11target_archE942ELNS1_3gpuE9ELNS1_3repE0EEENS1_47radix_sort_onesweep_sort_config_static_selectorELNS0_4arch9wavefront6targetE1EEEvSK_
	.globl	_ZN7rocprim17ROCPRIM_400000_NS6detail17trampoline_kernelINS0_14default_configENS1_35radix_sort_onesweep_config_selectorIyNS0_10empty_typeEEEZZNS1_29radix_sort_onesweep_iterationIS3_Lb0EN6thrust23THRUST_200600_302600_NS6detail15normal_iteratorINS9_10device_ptrIyEEEESE_PS5_SF_jNS0_19identity_decomposerENS1_16block_id_wrapperIjLb0EEEEE10hipError_tT1_PNSt15iterator_traitsISK_E10value_typeET2_T3_PNSL_ISQ_E10value_typeET4_T5_PSV_SW_PNS1_23onesweep_lookback_stateEbbT6_jjT7_P12ihipStream_tbENKUlT_T0_SK_SP_E_clIPySE_SF_SF_EEDaS13_S14_SK_SP_EUlS13_E_NS1_11comp_targetILNS1_3genE5ELNS1_11target_archE942ELNS1_3gpuE9ELNS1_3repE0EEENS1_47radix_sort_onesweep_sort_config_static_selectorELNS0_4arch9wavefront6targetE1EEEvSK_
	.p2align	8
	.type	_ZN7rocprim17ROCPRIM_400000_NS6detail17trampoline_kernelINS0_14default_configENS1_35radix_sort_onesweep_config_selectorIyNS0_10empty_typeEEEZZNS1_29radix_sort_onesweep_iterationIS3_Lb0EN6thrust23THRUST_200600_302600_NS6detail15normal_iteratorINS9_10device_ptrIyEEEESE_PS5_SF_jNS0_19identity_decomposerENS1_16block_id_wrapperIjLb0EEEEE10hipError_tT1_PNSt15iterator_traitsISK_E10value_typeET2_T3_PNSL_ISQ_E10value_typeET4_T5_PSV_SW_PNS1_23onesweep_lookback_stateEbbT6_jjT7_P12ihipStream_tbENKUlT_T0_SK_SP_E_clIPySE_SF_SF_EEDaS13_S14_SK_SP_EUlS13_E_NS1_11comp_targetILNS1_3genE5ELNS1_11target_archE942ELNS1_3gpuE9ELNS1_3repE0EEENS1_47radix_sort_onesweep_sort_config_static_selectorELNS0_4arch9wavefront6targetE1EEEvSK_,@function
_ZN7rocprim17ROCPRIM_400000_NS6detail17trampoline_kernelINS0_14default_configENS1_35radix_sort_onesweep_config_selectorIyNS0_10empty_typeEEEZZNS1_29radix_sort_onesweep_iterationIS3_Lb0EN6thrust23THRUST_200600_302600_NS6detail15normal_iteratorINS9_10device_ptrIyEEEESE_PS5_SF_jNS0_19identity_decomposerENS1_16block_id_wrapperIjLb0EEEEE10hipError_tT1_PNSt15iterator_traitsISK_E10value_typeET2_T3_PNSL_ISQ_E10value_typeET4_T5_PSV_SW_PNS1_23onesweep_lookback_stateEbbT6_jjT7_P12ihipStream_tbENKUlT_T0_SK_SP_E_clIPySE_SF_SF_EEDaS13_S14_SK_SP_EUlS13_E_NS1_11comp_targetILNS1_3genE5ELNS1_11target_archE942ELNS1_3gpuE9ELNS1_3repE0EEENS1_47radix_sort_onesweep_sort_config_static_selectorELNS0_4arch9wavefront6targetE1EEEvSK_: ; @_ZN7rocprim17ROCPRIM_400000_NS6detail17trampoline_kernelINS0_14default_configENS1_35radix_sort_onesweep_config_selectorIyNS0_10empty_typeEEEZZNS1_29radix_sort_onesweep_iterationIS3_Lb0EN6thrust23THRUST_200600_302600_NS6detail15normal_iteratorINS9_10device_ptrIyEEEESE_PS5_SF_jNS0_19identity_decomposerENS1_16block_id_wrapperIjLb0EEEEE10hipError_tT1_PNSt15iterator_traitsISK_E10value_typeET2_T3_PNSL_ISQ_E10value_typeET4_T5_PSV_SW_PNS1_23onesweep_lookback_stateEbbT6_jjT7_P12ihipStream_tbENKUlT_T0_SK_SP_E_clIPySE_SF_SF_EEDaS13_S14_SK_SP_EUlS13_E_NS1_11comp_targetILNS1_3genE5ELNS1_11target_archE942ELNS1_3gpuE9ELNS1_3repE0EEENS1_47radix_sort_onesweep_sort_config_static_selectorELNS0_4arch9wavefront6targetE1EEEvSK_
; %bb.0:
	s_load_dwordx4 s[20:23], s[0:1], 0x44
	s_load_dwordx2 s[28:29], s[0:1], 0x38
	s_load_dwordx4 s[24:27], s[0:1], 0x0
	s_load_dwordx4 s[16:19], s[0:1], 0x28
	s_mul_i32 s30, s2, 0x1800
	s_waitcnt lgkmcnt(0)
	s_cmp_ge_u32 s2, s22
	v_mbcnt_lo_u32_b32 v1, -1, 0
	s_cbranch_scc0 .LBB911_99
; %bb.1:
	s_load_dword s3, s[0:1], 0x20
	s_mul_i32 s6, s22, 0xffffe800
	s_mov_b32 s31, 0
	v_and_b32_e32 v2, 0x3ff, v0
	s_lshl_b64 s[4:5], s[30:31], 3
	s_waitcnt lgkmcnt(0)
	s_add_i32 s3, s3, s6
	v_mbcnt_hi_u32_b32 v3, -1, v1
	s_add_u32 s4, s24, s4
	v_and_b32_e32 v8, 63, v3
	v_and_b32_e32 v32, 0x1c0, v2
	s_addc_u32 s5, s25, s5
	v_mul_u32_u24_e32 v9, 12, v32
	v_lshlrev_b32_e32 v4, 3, v8
	v_mov_b32_e32 v5, 0
	v_lshl_add_u64 v[6:7], s[4:5], 0, v[4:5]
	v_lshlrev_b32_e32 v4, 3, v9
	v_lshl_add_u64 v[28:29], v[6:7], 0, v[4:5]
	v_or_b32_e32 v30, v8, v9
	v_mov_b64_e32 v[4:5], -1
	v_cmp_gt_u32_e32 vcc, s3, v30
	v_mov_b64_e32 v[6:7], v[4:5]
	s_and_saveexec_b64 s[4:5], vcc
	s_cbranch_execz .LBB911_3
; %bb.2:
	global_load_dwordx2 v[6:7], v[28:29], off
.LBB911_3:
	s_or_b64 exec, exec, s[4:5]
	v_or_b32_e32 v8, 64, v30
	v_cmp_gt_u32_e32 vcc, s3, v8
	s_and_saveexec_b64 s[4:5], vcc
	s_cbranch_execz .LBB911_5
; %bb.4:
	global_load_dwordx2 v[4:5], v[28:29], off offset:512
.LBB911_5:
	s_or_b64 exec, exec, s[4:5]
	v_or_b32_e32 v8, 0x80, v30
	v_cmp_gt_u32_e32 vcc, s3, v8
	v_mov_b64_e32 v[8:9], -1
	v_mov_b64_e32 v[10:11], v[8:9]
	s_and_saveexec_b64 s[4:5], vcc
	s_cbranch_execz .LBB911_7
; %bb.6:
	global_load_dwordx2 v[10:11], v[28:29], off offset:1024
.LBB911_7:
	s_or_b64 exec, exec, s[4:5]
	v_or_b32_e32 v12, 0xc0, v30
	v_cmp_gt_u32_e32 vcc, s3, v12
	s_and_saveexec_b64 s[4:5], vcc
	s_cbranch_execz .LBB911_9
; %bb.8:
	global_load_dwordx2 v[8:9], v[28:29], off offset:1536
.LBB911_9:
	s_or_b64 exec, exec, s[4:5]
	v_add_u32_e32 v12, 0x100, v30
	v_cmp_gt_u32_e32 vcc, s3, v12
	v_mov_b64_e32 v[12:13], -1
	v_mov_b64_e32 v[14:15], v[12:13]
	s_and_saveexec_b64 s[4:5], vcc
	s_cbranch_execz .LBB911_11
; %bb.10:
	global_load_dwordx2 v[14:15], v[28:29], off offset:2048
.LBB911_11:
	s_or_b64 exec, exec, s[4:5]
	v_add_u32_e32 v16, 0x140, v30
	v_cmp_gt_u32_e32 vcc, s3, v16
	s_and_saveexec_b64 s[4:5], vcc
	s_cbranch_execz .LBB911_13
; %bb.12:
	global_load_dwordx2 v[12:13], v[28:29], off offset:2560
.LBB911_13:
	s_or_b64 exec, exec, s[4:5]
	v_add_u32_e32 v16, 0x180, v30
	v_cmp_gt_u32_e32 vcc, s3, v16
	v_mov_b64_e32 v[16:17], -1
	v_mov_b64_e32 v[18:19], v[16:17]
	s_and_saveexec_b64 s[4:5], vcc
	s_cbranch_execz .LBB911_15
; %bb.14:
	global_load_dwordx2 v[18:19], v[28:29], off offset:3072
.LBB911_15:
	s_or_b64 exec, exec, s[4:5]
	v_add_u32_e32 v20, 0x1c0, v30
	v_cmp_gt_u32_e32 vcc, s3, v20
	s_and_saveexec_b64 s[4:5], vcc
	s_cbranch_execz .LBB911_17
; %bb.16:
	global_load_dwordx2 v[16:17], v[28:29], off offset:3584
.LBB911_17:
	s_or_b64 exec, exec, s[4:5]
	v_add_u32_e32 v20, 0x200, v30
	v_cmp_gt_u32_e32 vcc, s3, v20
	v_mov_b64_e32 v[20:21], -1
	v_mov_b64_e32 v[22:23], v[20:21]
	s_and_saveexec_b64 s[4:5], vcc
	s_cbranch_execz .LBB911_19
; %bb.18:
	v_add_co_u32_e32 v22, vcc, 0x1000, v28
	s_nop 1
	v_addc_co_u32_e32 v23, vcc, 0, v29, vcc
	global_load_dwordx2 v[22:23], v[22:23], off
.LBB911_19:
	s_or_b64 exec, exec, s[4:5]
	v_add_u32_e32 v24, 0x240, v30
	v_cmp_gt_u32_e32 vcc, s3, v24
	s_and_saveexec_b64 s[4:5], vcc
	s_cbranch_execz .LBB911_21
; %bb.20:
	v_add_co_u32_e32 v20, vcc, 0x1000, v28
	s_nop 1
	v_addc_co_u32_e32 v21, vcc, 0, v29, vcc
	global_load_dwordx2 v[20:21], v[20:21], off offset:512
.LBB911_21:
	s_or_b64 exec, exec, s[4:5]
	v_add_u32_e32 v24, 0x280, v30
	v_cmp_gt_u32_e32 vcc, s3, v24
	v_mov_b64_e32 v[24:25], -1
	v_mov_b64_e32 v[26:27], v[24:25]
	s_and_saveexec_b64 s[4:5], vcc
	s_cbranch_execz .LBB911_23
; %bb.22:
	v_add_co_u32_e32 v26, vcc, 0x1000, v28
	s_nop 1
	v_addc_co_u32_e32 v27, vcc, 0, v29, vcc
	global_load_dwordx2 v[26:27], v[26:27], off offset:1024
.LBB911_23:
	s_or_b64 exec, exec, s[4:5]
	v_add_u32_e32 v30, 0x2c0, v30
	v_cmp_gt_u32_e32 vcc, s3, v30
	s_and_saveexec_b64 s[4:5], vcc
	s_cbranch_execz .LBB911_25
; %bb.24:
	v_add_co_u32_e32 v24, vcc, 0x1000, v28
	s_nop 1
	v_addc_co_u32_e32 v25, vcc, 0, v29, vcc
	global_load_dwordx2 v[24:25], v[24:25], off offset:1536
.LBB911_25:
	s_or_b64 exec, exec, s[4:5]
	s_load_dword s4, s[0:1], 0x64
	s_load_dword s22, s[0:1], 0x58
	s_add_u32 s5, s0, 0x58
	s_addc_u32 s6, s1, 0
	v_mov_b32_e32 v29, 0
	s_waitcnt lgkmcnt(0)
	s_lshr_b32 s7, s4, 16
	s_cmp_lt_u32 s2, s22
	s_cselect_b32 s4, 12, 18
	s_add_u32 s4, s5, s4
	s_addc_u32 s5, s6, 0
	global_load_ushort v48, v29, s[4:5]
	s_lshl_b32 s4, -1, s21
	s_waitcnt vmcnt(1)
	v_lshrrev_b64 v[30:31], s20, v[6:7]
	s_not_b32 s23, s4
	v_bfe_u32 v28, v0, 10, 10
	v_bfe_u32 v35, v0, 20, 10
	v_and_b32_e32 v30, s23, v30
	v_mad_u32_u24 v49, v35, s7, v28
	v_and_b32_e32 v28, 1, v30
	v_lshlrev_b32_e32 v35, 30, v30
	v_mov_b32_e32 v34, v29
	v_mov_b32_e32 v38, v29
	v_lshlrev_b32_e32 v37, 29, v30
	v_lshlrev_b32_e32 v39, 28, v30
	v_lshl_add_u64 v[46:47], v[28:29], 0, -1
	v_cmp_ne_u32_e32 vcc, 0, v28
	v_not_b32_e32 v28, v35
	v_mov_b32_e32 v36, v29
	v_mov_b32_e32 v40, v29
	v_lshl_add_u32 v50, v30, 3, v30
	v_lshlrev_b32_e32 v41, 27, v30
	v_lshlrev_b32_e32 v43, 26, v30
	;; [unrolled: 1-line block ×4, first 2 shown]
	v_cmp_gt_i64_e64 s[4:5], 0, v[34:35]
	v_not_b32_e32 v30, v37
	v_cmp_gt_i64_e64 s[8:9], 0, v[38:39]
	v_xor_b32_e32 v38, vcc_hi, v47
	v_ashrrev_i32_e32 v28, 31, v28
	v_cmp_gt_i64_e64 s[6:7], 0, v[36:37]
	v_not_b32_e32 v34, v39
	v_cmp_gt_i64_e64 s[10:11], 0, v[40:41]
	v_xor_b32_e32 v39, vcc_lo, v46
	v_ashrrev_i32_e32 v30, 31, v30
	v_and_b32_e32 v38, exec_hi, v38
	v_xor_b32_e32 v40, s5, v28
	v_mov_b32_e32 v42, v29
	v_not_b32_e32 v35, v41
	v_ashrrev_i32_e32 v34, 31, v34
	v_and_b32_e32 v39, exec_lo, v39
	v_xor_b32_e32 v28, s4, v28
	v_xor_b32_e32 v41, s7, v30
	v_and_b32_e32 v38, v38, v40
	v_cmp_gt_i64_e64 s[12:13], 0, v[42:43]
	v_not_b32_e32 v36, v43
	v_ashrrev_i32_e32 v35, 31, v35
	v_xor_b32_e32 v30, s6, v30
	v_xor_b32_e32 v42, s9, v34
	v_and_b32_e32 v28, v39, v28
	v_and_b32_e32 v38, v38, v41
	v_mov_b32_e32 v44, v29
	v_not_b32_e32 v37, v45
	v_ashrrev_i32_e32 v36, 31, v36
	v_xor_b32_e32 v34, s8, v34
	v_xor_b32_e32 v43, s11, v35
	v_and_b32_e32 v28, v28, v30
	v_and_b32_e32 v30, v38, v42
	v_cmp_gt_i64_e64 s[14:15], 0, v[44:45]
	v_ashrrev_i32_e32 v37, 31, v37
	v_xor_b32_e32 v35, s10, v35
	v_xor_b32_e32 v44, s13, v36
	v_and_b32_e32 v28, v28, v34
	v_and_b32_e32 v30, v30, v43
	v_xor_b32_e32 v36, s12, v36
	v_xor_b32_e32 v45, s15, v37
	v_and_b32_e32 v28, v28, v35
	v_and_b32_e32 v30, v30, v44
	;; [unrolled: 1-line block ×4, first 2 shown]
	v_mov_b32_e32 v30, v29
	v_cmp_gt_i64_e32 vcc, 0, v[30:31]
	v_not_b32_e32 v30, v31
	v_xor_b32_e32 v37, s14, v37
	v_ashrrev_i32_e32 v30, 31, v30
	v_and_b32_e32 v28, v28, v37
	v_xor_b32_e32 v31, vcc_hi, v30
	v_xor_b32_e32 v30, vcc_lo, v30
	v_and_b32_e32 v30, v28, v30
	v_and_b32_e32 v31, v36, v31
	v_mbcnt_lo_u32_b32 v28, v30, 0
	s_waitcnt vmcnt(0)
	v_mad_u64_u32 v[34:35], s[4:5], v49, v48, v[2:3]
	v_mbcnt_hi_u32_b32 v35, v31, v28
	v_mul_u32_u24_e32 v33, 5, v2
	v_lshrrev_b32_e32 v45, 6, v34
	v_cmp_eq_u32_e32 vcc, 0, v35
	v_cmp_ne_u64_e64 s[4:5], 0, v[30:31]
	v_lshlrev_b32_e32 v33, 2, v33
	v_add_lshl_u32 v38, v45, v50, 2
	s_and_b64 s[6:7], s[4:5], vcc
	ds_write2_b32 v33, v29, v29 offset0:8 offset1:9
	ds_write2_b32 v33, v29, v29 offset0:10 offset1:11
	ds_write_b32 v33, v29 offset:48
	s_waitcnt lgkmcnt(0)
	s_barrier
	s_waitcnt lgkmcnt(0)
	; wave barrier
	s_and_saveexec_b64 s[4:5], s[6:7]
	s_cbranch_execz .LBB911_27
; %bb.26:
	v_bcnt_u32_b32 v28, v30, 0
	v_bcnt_u32_b32 v28, v31, v28
	ds_write_b32 v38, v28 offset:32
.LBB911_27:
	s_or_b64 exec, exec, s[4:5]
	v_lshrrev_b64 v[30:31], s20, v[4:5]
	v_and_b32_e32 v36, s23, v30
	v_lshl_add_u32 v28, v36, 3, v36
	v_add_lshl_u32 v39, v45, v28, 2
	v_and_b32_e32 v28, 1, v36
	v_lshl_add_u64 v[30:31], v[28:29], 0, -1
	v_cmp_ne_u32_e32 vcc, 0, v28
	; wave barrier
	s_nop 1
	v_xor_b32_e32 v30, vcc_lo, v30
	v_xor_b32_e32 v28, vcc_hi, v31
	v_and_b32_e32 v37, exec_lo, v30
	v_lshlrev_b32_e32 v31, 30, v36
	v_mov_b32_e32 v30, v29
	v_cmp_gt_i64_e32 vcc, 0, v[30:31]
	v_not_b32_e32 v30, v31
	v_ashrrev_i32_e32 v30, 31, v30
	v_and_b32_e32 v28, exec_hi, v28
	v_xor_b32_e32 v31, vcc_hi, v30
	v_xor_b32_e32 v30, vcc_lo, v30
	v_and_b32_e32 v28, v28, v31
	v_and_b32_e32 v37, v37, v30
	v_lshlrev_b32_e32 v31, 29, v36
	v_mov_b32_e32 v30, v29
	v_cmp_gt_i64_e32 vcc, 0, v[30:31]
	v_not_b32_e32 v30, v31
	v_ashrrev_i32_e32 v30, 31, v30
	v_xor_b32_e32 v31, vcc_hi, v30
	v_xor_b32_e32 v30, vcc_lo, v30
	v_and_b32_e32 v28, v28, v31
	v_and_b32_e32 v37, v37, v30
	v_lshlrev_b32_e32 v31, 28, v36
	v_mov_b32_e32 v30, v29
	v_cmp_gt_i64_e32 vcc, 0, v[30:31]
	v_not_b32_e32 v30, v31
	v_ashrrev_i32_e32 v30, 31, v30
	;; [unrolled: 9-line block ×5, first 2 shown]
	v_xor_b32_e32 v31, vcc_hi, v30
	v_xor_b32_e32 v30, vcc_lo, v30
	v_and_b32_e32 v28, v28, v31
	v_lshlrev_b32_e32 v31, 24, v36
	v_and_b32_e32 v37, v37, v30
	v_mov_b32_e32 v30, v29
	v_not_b32_e32 v29, v31
	v_cmp_gt_i64_e32 vcc, 0, v[30:31]
	v_ashrrev_i32_e32 v29, 31, v29
	ds_read_b32 v34, v39 offset:32
	v_xor_b32_e32 v30, vcc_hi, v29
	v_xor_b32_e32 v31, vcc_lo, v29
	v_and_b32_e32 v29, v28, v30
	v_and_b32_e32 v28, v37, v31
	v_mbcnt_lo_u32_b32 v30, v28, 0
	v_mbcnt_hi_u32_b32 v36, v29, v30
	v_cmp_eq_u32_e32 vcc, 0, v36
	v_cmp_ne_u64_e64 s[4:5], 0, v[28:29]
	s_and_b64 s[6:7], s[4:5], vcc
	; wave barrier
	s_and_saveexec_b64 s[4:5], s[6:7]
	s_cbranch_execz .LBB911_29
; %bb.28:
	v_bcnt_u32_b32 v28, v28, 0
	v_bcnt_u32_b32 v28, v29, v28
	s_waitcnt lgkmcnt(0)
	v_add_u32_e32 v28, v34, v28
	ds_write_b32 v39, v28 offset:32
.LBB911_29:
	s_or_b64 exec, exec, s[4:5]
	v_lshrrev_b64 v[28:29], s20, v[10:11]
	v_and_b32_e32 v40, s23, v28
	v_lshl_add_u32 v28, v40, 3, v40
	v_add_lshl_u32 v42, v45, v28, 2
	v_and_b32_e32 v28, 1, v40
	v_mov_b32_e32 v29, 0
	v_lshl_add_u64 v[30:31], v[28:29], 0, -1
	v_cmp_ne_u32_e32 vcc, 0, v28
	; wave barrier
	s_nop 1
	v_xor_b32_e32 v30, vcc_lo, v30
	v_xor_b32_e32 v28, vcc_hi, v31
	v_and_b32_e32 v41, exec_lo, v30
	v_lshlrev_b32_e32 v31, 30, v40
	v_mov_b32_e32 v30, v29
	v_cmp_gt_i64_e32 vcc, 0, v[30:31]
	v_not_b32_e32 v30, v31
	v_ashrrev_i32_e32 v30, 31, v30
	v_and_b32_e32 v28, exec_hi, v28
	v_xor_b32_e32 v31, vcc_hi, v30
	v_xor_b32_e32 v30, vcc_lo, v30
	v_and_b32_e32 v28, v28, v31
	v_and_b32_e32 v41, v41, v30
	v_lshlrev_b32_e32 v31, 29, v40
	v_mov_b32_e32 v30, v29
	v_cmp_gt_i64_e32 vcc, 0, v[30:31]
	v_not_b32_e32 v30, v31
	v_ashrrev_i32_e32 v30, 31, v30
	v_xor_b32_e32 v31, vcc_hi, v30
	v_xor_b32_e32 v30, vcc_lo, v30
	v_and_b32_e32 v28, v28, v31
	v_and_b32_e32 v41, v41, v30
	v_lshlrev_b32_e32 v31, 28, v40
	v_mov_b32_e32 v30, v29
	v_cmp_gt_i64_e32 vcc, 0, v[30:31]
	v_not_b32_e32 v30, v31
	v_ashrrev_i32_e32 v30, 31, v30
	;; [unrolled: 9-line block ×6, first 2 shown]
	v_xor_b32_e32 v31, vcc_hi, v30
	v_xor_b32_e32 v30, vcc_lo, v30
	ds_read_b32 v37, v42 offset:32
	v_and_b32_e32 v30, v41, v30
	v_and_b32_e32 v31, v28, v31
	v_mbcnt_lo_u32_b32 v28, v30, 0
	v_mbcnt_hi_u32_b32 v40, v31, v28
	v_cmp_eq_u32_e32 vcc, 0, v40
	v_cmp_ne_u64_e64 s[4:5], 0, v[30:31]
	s_and_b64 s[6:7], s[4:5], vcc
	; wave barrier
	s_and_saveexec_b64 s[4:5], s[6:7]
	s_cbranch_execz .LBB911_31
; %bb.30:
	v_bcnt_u32_b32 v28, v30, 0
	v_bcnt_u32_b32 v28, v31, v28
	s_waitcnt lgkmcnt(0)
	v_add_u32_e32 v28, v37, v28
	ds_write_b32 v42, v28 offset:32
.LBB911_31:
	s_or_b64 exec, exec, s[4:5]
	v_lshrrev_b64 v[30:31], s20, v[8:9]
	v_and_b32_e32 v43, s23, v30
	v_lshl_add_u32 v28, v43, 3, v43
	v_add_lshl_u32 v46, v45, v28, 2
	v_and_b32_e32 v28, 1, v43
	v_lshl_add_u64 v[30:31], v[28:29], 0, -1
	v_cmp_ne_u32_e32 vcc, 0, v28
	; wave barrier
	s_nop 1
	v_xor_b32_e32 v30, vcc_lo, v30
	v_xor_b32_e32 v28, vcc_hi, v31
	v_and_b32_e32 v44, exec_lo, v30
	v_lshlrev_b32_e32 v31, 30, v43
	v_mov_b32_e32 v30, v29
	v_cmp_gt_i64_e32 vcc, 0, v[30:31]
	v_not_b32_e32 v30, v31
	v_ashrrev_i32_e32 v30, 31, v30
	v_and_b32_e32 v28, exec_hi, v28
	v_xor_b32_e32 v31, vcc_hi, v30
	v_xor_b32_e32 v30, vcc_lo, v30
	v_and_b32_e32 v28, v28, v31
	v_and_b32_e32 v44, v44, v30
	v_lshlrev_b32_e32 v31, 29, v43
	v_mov_b32_e32 v30, v29
	v_cmp_gt_i64_e32 vcc, 0, v[30:31]
	v_not_b32_e32 v30, v31
	v_ashrrev_i32_e32 v30, 31, v30
	v_xor_b32_e32 v31, vcc_hi, v30
	v_xor_b32_e32 v30, vcc_lo, v30
	v_and_b32_e32 v28, v28, v31
	v_and_b32_e32 v44, v44, v30
	v_lshlrev_b32_e32 v31, 28, v43
	v_mov_b32_e32 v30, v29
	v_cmp_gt_i64_e32 vcc, 0, v[30:31]
	v_not_b32_e32 v30, v31
	v_ashrrev_i32_e32 v30, 31, v30
	v_xor_b32_e32 v31, vcc_hi, v30
	v_xor_b32_e32 v30, vcc_lo, v30
	v_and_b32_e32 v28, v28, v31
	v_and_b32_e32 v44, v44, v30
	v_lshlrev_b32_e32 v31, 27, v43
	v_mov_b32_e32 v30, v29
	v_cmp_gt_i64_e32 vcc, 0, v[30:31]
	v_not_b32_e32 v30, v31
	v_ashrrev_i32_e32 v30, 31, v30
	v_xor_b32_e32 v31, vcc_hi, v30
	v_xor_b32_e32 v30, vcc_lo, v30
	v_and_b32_e32 v28, v28, v31
	v_and_b32_e32 v44, v44, v30
	v_lshlrev_b32_e32 v31, 26, v43
	v_mov_b32_e32 v30, v29
	v_cmp_gt_i64_e32 vcc, 0, v[30:31]
	v_not_b32_e32 v30, v31
	v_ashrrev_i32_e32 v30, 31, v30
	v_xor_b32_e32 v31, vcc_hi, v30
	v_xor_b32_e32 v30, vcc_lo, v30
	v_and_b32_e32 v28, v28, v31
	v_and_b32_e32 v44, v44, v30
	v_lshlrev_b32_e32 v31, 25, v43
	v_mov_b32_e32 v30, v29
	v_cmp_gt_i64_e32 vcc, 0, v[30:31]
	v_not_b32_e32 v30, v31
	v_ashrrev_i32_e32 v30, 31, v30
	v_xor_b32_e32 v31, vcc_hi, v30
	v_xor_b32_e32 v30, vcc_lo, v30
	v_and_b32_e32 v28, v28, v31
	v_lshlrev_b32_e32 v31, 24, v43
	v_and_b32_e32 v44, v44, v30
	v_mov_b32_e32 v30, v29
	v_not_b32_e32 v29, v31
	v_cmp_gt_i64_e32 vcc, 0, v[30:31]
	v_ashrrev_i32_e32 v29, 31, v29
	ds_read_b32 v41, v46 offset:32
	v_xor_b32_e32 v30, vcc_hi, v29
	v_xor_b32_e32 v31, vcc_lo, v29
	v_and_b32_e32 v29, v28, v30
	v_and_b32_e32 v28, v44, v31
	v_mbcnt_lo_u32_b32 v30, v28, 0
	v_mbcnt_hi_u32_b32 v43, v29, v30
	v_cmp_eq_u32_e32 vcc, 0, v43
	v_cmp_ne_u64_e64 s[4:5], 0, v[28:29]
	s_and_b64 s[6:7], s[4:5], vcc
	; wave barrier
	s_and_saveexec_b64 s[4:5], s[6:7]
	s_cbranch_execz .LBB911_33
; %bb.32:
	v_bcnt_u32_b32 v28, v28, 0
	v_bcnt_u32_b32 v28, v29, v28
	s_waitcnt lgkmcnt(0)
	v_add_u32_e32 v28, v41, v28
	ds_write_b32 v46, v28 offset:32
.LBB911_33:
	s_or_b64 exec, exec, s[4:5]
	v_lshrrev_b64 v[28:29], s20, v[14:15]
	v_and_b32_e32 v47, s23, v28
	v_lshl_add_u32 v28, v47, 3, v47
	v_add_lshl_u32 v49, v45, v28, 2
	v_and_b32_e32 v28, 1, v47
	v_mov_b32_e32 v29, 0
	v_lshl_add_u64 v[30:31], v[28:29], 0, -1
	v_cmp_ne_u32_e32 vcc, 0, v28
	; wave barrier
	s_nop 1
	v_xor_b32_e32 v30, vcc_lo, v30
	v_xor_b32_e32 v28, vcc_hi, v31
	v_and_b32_e32 v48, exec_lo, v30
	v_lshlrev_b32_e32 v31, 30, v47
	v_mov_b32_e32 v30, v29
	v_cmp_gt_i64_e32 vcc, 0, v[30:31]
	v_not_b32_e32 v30, v31
	v_ashrrev_i32_e32 v30, 31, v30
	v_and_b32_e32 v28, exec_hi, v28
	v_xor_b32_e32 v31, vcc_hi, v30
	v_xor_b32_e32 v30, vcc_lo, v30
	v_and_b32_e32 v28, v28, v31
	v_and_b32_e32 v48, v48, v30
	v_lshlrev_b32_e32 v31, 29, v47
	v_mov_b32_e32 v30, v29
	v_cmp_gt_i64_e32 vcc, 0, v[30:31]
	v_not_b32_e32 v30, v31
	v_ashrrev_i32_e32 v30, 31, v30
	v_xor_b32_e32 v31, vcc_hi, v30
	v_xor_b32_e32 v30, vcc_lo, v30
	v_and_b32_e32 v28, v28, v31
	v_and_b32_e32 v48, v48, v30
	v_lshlrev_b32_e32 v31, 28, v47
	v_mov_b32_e32 v30, v29
	v_cmp_gt_i64_e32 vcc, 0, v[30:31]
	v_not_b32_e32 v30, v31
	v_ashrrev_i32_e32 v30, 31, v30
	;; [unrolled: 9-line block ×6, first 2 shown]
	v_xor_b32_e32 v31, vcc_hi, v30
	v_xor_b32_e32 v30, vcc_lo, v30
	ds_read_b32 v44, v49 offset:32
	v_and_b32_e32 v30, v48, v30
	v_and_b32_e32 v31, v28, v31
	v_mbcnt_lo_u32_b32 v28, v30, 0
	v_mbcnt_hi_u32_b32 v47, v31, v28
	v_cmp_eq_u32_e32 vcc, 0, v47
	v_cmp_ne_u64_e64 s[4:5], 0, v[30:31]
	s_and_b64 s[6:7], s[4:5], vcc
	; wave barrier
	s_and_saveexec_b64 s[4:5], s[6:7]
	s_cbranch_execz .LBB911_35
; %bb.34:
	v_bcnt_u32_b32 v28, v30, 0
	v_bcnt_u32_b32 v28, v31, v28
	s_waitcnt lgkmcnt(0)
	v_add_u32_e32 v28, v44, v28
	ds_write_b32 v49, v28 offset:32
.LBB911_35:
	s_or_b64 exec, exec, s[4:5]
	v_lshrrev_b64 v[30:31], s20, v[12:13]
	v_and_b32_e32 v50, s23, v30
	v_lshl_add_u32 v28, v50, 3, v50
	v_add_lshl_u32 v52, v45, v28, 2
	v_and_b32_e32 v28, 1, v50
	v_lshl_add_u64 v[30:31], v[28:29], 0, -1
	v_cmp_ne_u32_e32 vcc, 0, v28
	; wave barrier
	s_nop 1
	v_xor_b32_e32 v30, vcc_lo, v30
	v_xor_b32_e32 v28, vcc_hi, v31
	v_and_b32_e32 v51, exec_lo, v30
	v_lshlrev_b32_e32 v31, 30, v50
	v_mov_b32_e32 v30, v29
	v_cmp_gt_i64_e32 vcc, 0, v[30:31]
	v_not_b32_e32 v30, v31
	v_ashrrev_i32_e32 v30, 31, v30
	v_and_b32_e32 v28, exec_hi, v28
	v_xor_b32_e32 v31, vcc_hi, v30
	v_xor_b32_e32 v30, vcc_lo, v30
	v_and_b32_e32 v28, v28, v31
	v_and_b32_e32 v51, v51, v30
	v_lshlrev_b32_e32 v31, 29, v50
	v_mov_b32_e32 v30, v29
	v_cmp_gt_i64_e32 vcc, 0, v[30:31]
	v_not_b32_e32 v30, v31
	v_ashrrev_i32_e32 v30, 31, v30
	v_xor_b32_e32 v31, vcc_hi, v30
	v_xor_b32_e32 v30, vcc_lo, v30
	v_and_b32_e32 v28, v28, v31
	v_and_b32_e32 v51, v51, v30
	v_lshlrev_b32_e32 v31, 28, v50
	v_mov_b32_e32 v30, v29
	v_cmp_gt_i64_e32 vcc, 0, v[30:31]
	v_not_b32_e32 v30, v31
	v_ashrrev_i32_e32 v30, 31, v30
	;; [unrolled: 9-line block ×5, first 2 shown]
	v_xor_b32_e32 v31, vcc_hi, v30
	v_xor_b32_e32 v30, vcc_lo, v30
	v_and_b32_e32 v28, v28, v31
	v_lshlrev_b32_e32 v31, 24, v50
	v_and_b32_e32 v51, v51, v30
	v_mov_b32_e32 v30, v29
	v_not_b32_e32 v29, v31
	v_cmp_gt_i64_e32 vcc, 0, v[30:31]
	v_ashrrev_i32_e32 v29, 31, v29
	ds_read_b32 v48, v52 offset:32
	v_xor_b32_e32 v30, vcc_hi, v29
	v_xor_b32_e32 v31, vcc_lo, v29
	v_and_b32_e32 v29, v28, v30
	v_and_b32_e32 v28, v51, v31
	v_mbcnt_lo_u32_b32 v30, v28, 0
	v_mbcnt_hi_u32_b32 v50, v29, v30
	v_cmp_eq_u32_e32 vcc, 0, v50
	v_cmp_ne_u64_e64 s[4:5], 0, v[28:29]
	s_and_b64 s[6:7], s[4:5], vcc
	; wave barrier
	s_and_saveexec_b64 s[4:5], s[6:7]
	s_cbranch_execz .LBB911_37
; %bb.36:
	v_bcnt_u32_b32 v28, v28, 0
	v_bcnt_u32_b32 v28, v29, v28
	s_waitcnt lgkmcnt(0)
	v_add_u32_e32 v28, v48, v28
	ds_write_b32 v52, v28 offset:32
.LBB911_37:
	s_or_b64 exec, exec, s[4:5]
	v_lshrrev_b64 v[28:29], s20, v[18:19]
	v_and_b32_e32 v53, s23, v28
	v_lshl_add_u32 v28, v53, 3, v53
	v_add_lshl_u32 v55, v45, v28, 2
	v_and_b32_e32 v28, 1, v53
	v_mov_b32_e32 v29, 0
	v_lshl_add_u64 v[30:31], v[28:29], 0, -1
	v_cmp_ne_u32_e32 vcc, 0, v28
	; wave barrier
	s_nop 1
	v_xor_b32_e32 v30, vcc_lo, v30
	v_xor_b32_e32 v28, vcc_hi, v31
	v_and_b32_e32 v54, exec_lo, v30
	v_lshlrev_b32_e32 v31, 30, v53
	v_mov_b32_e32 v30, v29
	v_cmp_gt_i64_e32 vcc, 0, v[30:31]
	v_not_b32_e32 v30, v31
	v_ashrrev_i32_e32 v30, 31, v30
	v_and_b32_e32 v28, exec_hi, v28
	v_xor_b32_e32 v31, vcc_hi, v30
	v_xor_b32_e32 v30, vcc_lo, v30
	v_and_b32_e32 v28, v28, v31
	v_and_b32_e32 v54, v54, v30
	v_lshlrev_b32_e32 v31, 29, v53
	v_mov_b32_e32 v30, v29
	v_cmp_gt_i64_e32 vcc, 0, v[30:31]
	v_not_b32_e32 v30, v31
	v_ashrrev_i32_e32 v30, 31, v30
	v_xor_b32_e32 v31, vcc_hi, v30
	v_xor_b32_e32 v30, vcc_lo, v30
	v_and_b32_e32 v28, v28, v31
	v_and_b32_e32 v54, v54, v30
	v_lshlrev_b32_e32 v31, 28, v53
	v_mov_b32_e32 v30, v29
	v_cmp_gt_i64_e32 vcc, 0, v[30:31]
	v_not_b32_e32 v30, v31
	v_ashrrev_i32_e32 v30, 31, v30
	;; [unrolled: 9-line block ×6, first 2 shown]
	v_xor_b32_e32 v31, vcc_hi, v30
	v_xor_b32_e32 v30, vcc_lo, v30
	ds_read_b32 v51, v55 offset:32
	v_and_b32_e32 v30, v54, v30
	v_and_b32_e32 v31, v28, v31
	v_mbcnt_lo_u32_b32 v28, v30, 0
	v_mbcnt_hi_u32_b32 v53, v31, v28
	v_cmp_eq_u32_e32 vcc, 0, v53
	v_cmp_ne_u64_e64 s[4:5], 0, v[30:31]
	s_and_b64 s[6:7], s[4:5], vcc
	; wave barrier
	s_and_saveexec_b64 s[4:5], s[6:7]
	s_cbranch_execz .LBB911_39
; %bb.38:
	v_bcnt_u32_b32 v28, v30, 0
	v_bcnt_u32_b32 v28, v31, v28
	s_waitcnt lgkmcnt(0)
	v_add_u32_e32 v28, v51, v28
	ds_write_b32 v55, v28 offset:32
.LBB911_39:
	s_or_b64 exec, exec, s[4:5]
	v_lshrrev_b64 v[30:31], s20, v[16:17]
	v_and_b32_e32 v56, s23, v30
	v_lshl_add_u32 v28, v56, 3, v56
	v_add_lshl_u32 v58, v45, v28, 2
	v_and_b32_e32 v28, 1, v56
	v_lshl_add_u64 v[30:31], v[28:29], 0, -1
	v_cmp_ne_u32_e32 vcc, 0, v28
	; wave barrier
	s_nop 1
	v_xor_b32_e32 v30, vcc_lo, v30
	v_xor_b32_e32 v28, vcc_hi, v31
	v_and_b32_e32 v57, exec_lo, v30
	v_lshlrev_b32_e32 v31, 30, v56
	v_mov_b32_e32 v30, v29
	v_cmp_gt_i64_e32 vcc, 0, v[30:31]
	v_not_b32_e32 v30, v31
	v_ashrrev_i32_e32 v30, 31, v30
	v_and_b32_e32 v28, exec_hi, v28
	v_xor_b32_e32 v31, vcc_hi, v30
	v_xor_b32_e32 v30, vcc_lo, v30
	v_and_b32_e32 v28, v28, v31
	v_and_b32_e32 v57, v57, v30
	v_lshlrev_b32_e32 v31, 29, v56
	v_mov_b32_e32 v30, v29
	v_cmp_gt_i64_e32 vcc, 0, v[30:31]
	v_not_b32_e32 v30, v31
	v_ashrrev_i32_e32 v30, 31, v30
	v_xor_b32_e32 v31, vcc_hi, v30
	v_xor_b32_e32 v30, vcc_lo, v30
	v_and_b32_e32 v28, v28, v31
	v_and_b32_e32 v57, v57, v30
	v_lshlrev_b32_e32 v31, 28, v56
	v_mov_b32_e32 v30, v29
	v_cmp_gt_i64_e32 vcc, 0, v[30:31]
	v_not_b32_e32 v30, v31
	v_ashrrev_i32_e32 v30, 31, v30
	;; [unrolled: 9-line block ×5, first 2 shown]
	v_xor_b32_e32 v31, vcc_hi, v30
	v_xor_b32_e32 v30, vcc_lo, v30
	v_and_b32_e32 v28, v28, v31
	v_lshlrev_b32_e32 v31, 24, v56
	v_and_b32_e32 v57, v57, v30
	v_mov_b32_e32 v30, v29
	v_not_b32_e32 v29, v31
	v_cmp_gt_i64_e32 vcc, 0, v[30:31]
	v_ashrrev_i32_e32 v29, 31, v29
	ds_read_b32 v54, v58 offset:32
	v_xor_b32_e32 v30, vcc_hi, v29
	v_xor_b32_e32 v31, vcc_lo, v29
	v_and_b32_e32 v29, v28, v30
	v_and_b32_e32 v28, v57, v31
	v_mbcnt_lo_u32_b32 v30, v28, 0
	v_mbcnt_hi_u32_b32 v56, v29, v30
	v_cmp_eq_u32_e32 vcc, 0, v56
	v_cmp_ne_u64_e64 s[4:5], 0, v[28:29]
	s_and_b64 s[6:7], s[4:5], vcc
	; wave barrier
	s_and_saveexec_b64 s[4:5], s[6:7]
	s_cbranch_execz .LBB911_41
; %bb.40:
	v_bcnt_u32_b32 v28, v28, 0
	v_bcnt_u32_b32 v28, v29, v28
	s_waitcnt lgkmcnt(0)
	v_add_u32_e32 v28, v54, v28
	ds_write_b32 v58, v28 offset:32
.LBB911_41:
	s_or_b64 exec, exec, s[4:5]
	v_lshrrev_b64 v[28:29], s20, v[22:23]
	v_and_b32_e32 v59, s23, v28
	v_lshl_add_u32 v28, v59, 3, v59
	v_add_lshl_u32 v61, v45, v28, 2
	v_and_b32_e32 v28, 1, v59
	v_mov_b32_e32 v29, 0
	v_lshl_add_u64 v[30:31], v[28:29], 0, -1
	v_cmp_ne_u32_e32 vcc, 0, v28
	; wave barrier
	s_nop 1
	v_xor_b32_e32 v30, vcc_lo, v30
	v_xor_b32_e32 v28, vcc_hi, v31
	v_and_b32_e32 v60, exec_lo, v30
	v_lshlrev_b32_e32 v31, 30, v59
	v_mov_b32_e32 v30, v29
	v_cmp_gt_i64_e32 vcc, 0, v[30:31]
	v_not_b32_e32 v30, v31
	v_ashrrev_i32_e32 v30, 31, v30
	v_and_b32_e32 v28, exec_hi, v28
	v_xor_b32_e32 v31, vcc_hi, v30
	v_xor_b32_e32 v30, vcc_lo, v30
	v_and_b32_e32 v28, v28, v31
	v_and_b32_e32 v60, v60, v30
	v_lshlrev_b32_e32 v31, 29, v59
	v_mov_b32_e32 v30, v29
	v_cmp_gt_i64_e32 vcc, 0, v[30:31]
	v_not_b32_e32 v30, v31
	v_ashrrev_i32_e32 v30, 31, v30
	v_xor_b32_e32 v31, vcc_hi, v30
	v_xor_b32_e32 v30, vcc_lo, v30
	v_and_b32_e32 v28, v28, v31
	v_and_b32_e32 v60, v60, v30
	v_lshlrev_b32_e32 v31, 28, v59
	v_mov_b32_e32 v30, v29
	v_cmp_gt_i64_e32 vcc, 0, v[30:31]
	v_not_b32_e32 v30, v31
	v_ashrrev_i32_e32 v30, 31, v30
	;; [unrolled: 9-line block ×6, first 2 shown]
	v_xor_b32_e32 v31, vcc_hi, v30
	v_xor_b32_e32 v30, vcc_lo, v30
	ds_read_b32 v57, v61 offset:32
	v_and_b32_e32 v30, v60, v30
	v_and_b32_e32 v31, v28, v31
	v_mbcnt_lo_u32_b32 v28, v30, 0
	v_mbcnt_hi_u32_b32 v59, v31, v28
	v_cmp_eq_u32_e32 vcc, 0, v59
	v_cmp_ne_u64_e64 s[4:5], 0, v[30:31]
	s_and_b64 s[6:7], s[4:5], vcc
	; wave barrier
	s_and_saveexec_b64 s[4:5], s[6:7]
	s_cbranch_execz .LBB911_43
; %bb.42:
	v_bcnt_u32_b32 v28, v30, 0
	v_bcnt_u32_b32 v28, v31, v28
	s_waitcnt lgkmcnt(0)
	v_add_u32_e32 v28, v57, v28
	ds_write_b32 v61, v28 offset:32
.LBB911_43:
	s_or_b64 exec, exec, s[4:5]
	v_lshrrev_b64 v[30:31], s20, v[20:21]
	v_and_b32_e32 v62, s23, v30
	v_lshl_add_u32 v28, v62, 3, v62
	v_add_lshl_u32 v64, v45, v28, 2
	v_and_b32_e32 v28, 1, v62
	v_lshl_add_u64 v[30:31], v[28:29], 0, -1
	v_cmp_ne_u32_e32 vcc, 0, v28
	; wave barrier
	s_nop 1
	v_xor_b32_e32 v30, vcc_lo, v30
	v_xor_b32_e32 v28, vcc_hi, v31
	v_and_b32_e32 v63, exec_lo, v30
	v_lshlrev_b32_e32 v31, 30, v62
	v_mov_b32_e32 v30, v29
	v_cmp_gt_i64_e32 vcc, 0, v[30:31]
	v_not_b32_e32 v30, v31
	v_ashrrev_i32_e32 v30, 31, v30
	v_and_b32_e32 v28, exec_hi, v28
	v_xor_b32_e32 v31, vcc_hi, v30
	v_xor_b32_e32 v30, vcc_lo, v30
	v_and_b32_e32 v28, v28, v31
	v_and_b32_e32 v63, v63, v30
	v_lshlrev_b32_e32 v31, 29, v62
	v_mov_b32_e32 v30, v29
	v_cmp_gt_i64_e32 vcc, 0, v[30:31]
	v_not_b32_e32 v30, v31
	v_ashrrev_i32_e32 v30, 31, v30
	v_xor_b32_e32 v31, vcc_hi, v30
	v_xor_b32_e32 v30, vcc_lo, v30
	v_and_b32_e32 v28, v28, v31
	v_and_b32_e32 v63, v63, v30
	v_lshlrev_b32_e32 v31, 28, v62
	v_mov_b32_e32 v30, v29
	v_cmp_gt_i64_e32 vcc, 0, v[30:31]
	v_not_b32_e32 v30, v31
	v_ashrrev_i32_e32 v30, 31, v30
	;; [unrolled: 9-line block ×5, first 2 shown]
	v_xor_b32_e32 v31, vcc_hi, v30
	v_xor_b32_e32 v30, vcc_lo, v30
	v_and_b32_e32 v28, v28, v31
	v_lshlrev_b32_e32 v31, 24, v62
	v_and_b32_e32 v63, v63, v30
	v_mov_b32_e32 v30, v29
	v_not_b32_e32 v29, v31
	v_cmp_gt_i64_e32 vcc, 0, v[30:31]
	v_ashrrev_i32_e32 v29, 31, v29
	ds_read_b32 v60, v64 offset:32
	v_xor_b32_e32 v30, vcc_hi, v29
	v_xor_b32_e32 v31, vcc_lo, v29
	v_and_b32_e32 v29, v28, v30
	v_and_b32_e32 v28, v63, v31
	v_mbcnt_lo_u32_b32 v30, v28, 0
	v_mbcnt_hi_u32_b32 v62, v29, v30
	v_cmp_eq_u32_e32 vcc, 0, v62
	v_cmp_ne_u64_e64 s[4:5], 0, v[28:29]
	s_and_b64 s[6:7], s[4:5], vcc
	; wave barrier
	s_and_saveexec_b64 s[4:5], s[6:7]
	s_cbranch_execz .LBB911_45
; %bb.44:
	v_bcnt_u32_b32 v28, v28, 0
	v_bcnt_u32_b32 v28, v29, v28
	s_waitcnt lgkmcnt(0)
	v_add_u32_e32 v28, v60, v28
	ds_write_b32 v64, v28 offset:32
.LBB911_45:
	s_or_b64 exec, exec, s[4:5]
	v_lshrrev_b64 v[28:29], s20, v[26:27]
	v_and_b32_e32 v65, s23, v28
	v_lshl_add_u32 v28, v65, 3, v65
	v_add_lshl_u32 v66, v45, v28, 2
	v_and_b32_e32 v28, 1, v65
	v_mov_b32_e32 v29, 0
	v_lshl_add_u64 v[30:31], v[28:29], 0, -1
	v_cmp_ne_u32_e32 vcc, 0, v28
	; wave barrier
	s_nop 1
	v_xor_b32_e32 v30, vcc_lo, v30
	v_xor_b32_e32 v28, vcc_hi, v31
	v_and_b32_e32 v67, exec_lo, v30
	v_lshlrev_b32_e32 v31, 30, v65
	v_mov_b32_e32 v30, v29
	v_cmp_gt_i64_e32 vcc, 0, v[30:31]
	v_not_b32_e32 v30, v31
	v_ashrrev_i32_e32 v30, 31, v30
	v_and_b32_e32 v28, exec_hi, v28
	v_xor_b32_e32 v31, vcc_hi, v30
	v_xor_b32_e32 v30, vcc_lo, v30
	v_and_b32_e32 v28, v28, v31
	v_and_b32_e32 v67, v67, v30
	v_lshlrev_b32_e32 v31, 29, v65
	v_mov_b32_e32 v30, v29
	v_cmp_gt_i64_e32 vcc, 0, v[30:31]
	v_not_b32_e32 v30, v31
	v_ashrrev_i32_e32 v30, 31, v30
	v_xor_b32_e32 v31, vcc_hi, v30
	v_xor_b32_e32 v30, vcc_lo, v30
	v_and_b32_e32 v28, v28, v31
	v_and_b32_e32 v67, v67, v30
	v_lshlrev_b32_e32 v31, 28, v65
	v_mov_b32_e32 v30, v29
	v_cmp_gt_i64_e32 vcc, 0, v[30:31]
	v_not_b32_e32 v30, v31
	v_ashrrev_i32_e32 v30, 31, v30
	;; [unrolled: 9-line block ×6, first 2 shown]
	v_xor_b32_e32 v31, vcc_hi, v30
	v_xor_b32_e32 v30, vcc_lo, v30
	ds_read_b32 v63, v66 offset:32
	v_and_b32_e32 v30, v67, v30
	v_and_b32_e32 v31, v28, v31
	v_mbcnt_lo_u32_b32 v28, v30, 0
	v_mbcnt_hi_u32_b32 v65, v31, v28
	v_cmp_eq_u32_e32 vcc, 0, v65
	v_cmp_ne_u64_e64 s[4:5], 0, v[30:31]
	s_and_b64 s[6:7], s[4:5], vcc
	; wave barrier
	s_and_saveexec_b64 s[4:5], s[6:7]
	s_cbranch_execz .LBB911_47
; %bb.46:
	v_bcnt_u32_b32 v28, v30, 0
	v_bcnt_u32_b32 v28, v31, v28
	s_waitcnt lgkmcnt(0)
	v_add_u32_e32 v28, v63, v28
	ds_write_b32 v66, v28 offset:32
.LBB911_47:
	s_or_b64 exec, exec, s[4:5]
	v_lshrrev_b64 v[30:31], s20, v[24:25]
	v_and_b32_e32 v67, s23, v30
	v_lshl_add_u32 v28, v67, 3, v67
	v_add_lshl_u32 v68, v45, v28, 2
	v_and_b32_e32 v28, 1, v67
	v_lshl_add_u64 v[30:31], v[28:29], 0, -1
	v_cmp_ne_u32_e32 vcc, 0, v28
	; wave barrier
	s_nop 1
	v_xor_b32_e32 v30, vcc_lo, v30
	v_xor_b32_e32 v28, vcc_hi, v31
	v_and_b32_e32 v70, exec_lo, v30
	v_lshlrev_b32_e32 v31, 30, v67
	v_mov_b32_e32 v30, v29
	v_cmp_gt_i64_e32 vcc, 0, v[30:31]
	v_not_b32_e32 v30, v31
	v_ashrrev_i32_e32 v30, 31, v30
	v_and_b32_e32 v28, exec_hi, v28
	v_xor_b32_e32 v31, vcc_hi, v30
	v_xor_b32_e32 v30, vcc_lo, v30
	v_and_b32_e32 v28, v28, v31
	v_and_b32_e32 v70, v70, v30
	v_lshlrev_b32_e32 v31, 29, v67
	v_mov_b32_e32 v30, v29
	v_cmp_gt_i64_e32 vcc, 0, v[30:31]
	v_not_b32_e32 v30, v31
	v_ashrrev_i32_e32 v30, 31, v30
	v_xor_b32_e32 v31, vcc_hi, v30
	v_xor_b32_e32 v30, vcc_lo, v30
	v_and_b32_e32 v28, v28, v31
	v_and_b32_e32 v70, v70, v30
	v_lshlrev_b32_e32 v31, 28, v67
	v_mov_b32_e32 v30, v29
	v_cmp_gt_i64_e32 vcc, 0, v[30:31]
	v_not_b32_e32 v30, v31
	v_ashrrev_i32_e32 v30, 31, v30
	;; [unrolled: 9-line block ×5, first 2 shown]
	v_xor_b32_e32 v31, vcc_hi, v30
	v_xor_b32_e32 v30, vcc_lo, v30
	v_and_b32_e32 v28, v28, v31
	v_lshlrev_b32_e32 v31, 24, v67
	v_and_b32_e32 v70, v70, v30
	v_mov_b32_e32 v30, v29
	v_not_b32_e32 v29, v31
	v_cmp_gt_i64_e32 vcc, 0, v[30:31]
	v_ashrrev_i32_e32 v29, 31, v29
	ds_read_b32 v45, v68 offset:32
	v_xor_b32_e32 v30, vcc_hi, v29
	v_xor_b32_e32 v31, vcc_lo, v29
	v_and_b32_e32 v29, v28, v30
	v_and_b32_e32 v28, v70, v31
	v_mbcnt_lo_u32_b32 v30, v28, 0
	v_mbcnt_hi_u32_b32 v67, v29, v30
	v_cmp_eq_u32_e32 vcc, 0, v67
	v_cmp_ne_u64_e64 s[4:5], 0, v[28:29]
	v_add_u32_e32 v69, 32, v33
	s_and_b64 s[6:7], s[4:5], vcc
	; wave barrier
	s_and_saveexec_b64 s[4:5], s[6:7]
	s_cbranch_execz .LBB911_49
; %bb.48:
	v_bcnt_u32_b32 v28, v28, 0
	v_bcnt_u32_b32 v28, v29, v28
	s_waitcnt lgkmcnt(0)
	v_add_u32_e32 v28, v45, v28
	ds_write_b32 v68, v28 offset:32
.LBB911_49:
	s_or_b64 exec, exec, s[4:5]
	; wave barrier
	s_waitcnt lgkmcnt(0)
	s_barrier
	ds_read2_b32 v[30:31], v33 offset0:8 offset1:9
	ds_read2_b32 v[28:29], v69 offset0:2 offset1:3
	ds_read_b32 v70, v69 offset:16
	v_min_u32_e32 v32, 0x1c0, v32
	v_or_b32_e32 v32, 63, v32
	s_waitcnt lgkmcnt(1)
	v_add3_u32 v71, v31, v30, v28
	s_waitcnt lgkmcnt(0)
	v_add3_u32 v70, v71, v29, v70
	v_and_b32_e32 v71, 15, v3
	v_cmp_ne_u32_e32 vcc, 0, v71
	v_mov_b32_dpp v72, v70 row_shr:1 row_mask:0xf bank_mask:0xf
	s_nop 0
	v_cndmask_b32_e32 v72, 0, v72, vcc
	v_add_u32_e32 v70, v72, v70
	v_cmp_lt_u32_e32 vcc, 1, v71
	s_nop 0
	v_mov_b32_dpp v72, v70 row_shr:2 row_mask:0xf bank_mask:0xf
	v_cndmask_b32_e32 v72, 0, v72, vcc
	v_add_u32_e32 v70, v70, v72
	v_cmp_lt_u32_e32 vcc, 3, v71
	s_nop 0
	v_mov_b32_dpp v72, v70 row_shr:4 row_mask:0xf bank_mask:0xf
	;; [unrolled: 5-line block ×3, first 2 shown]
	v_cndmask_b32_e32 v71, 0, v72, vcc
	v_add_u32_e32 v70, v70, v71
	v_bfe_i32 v72, v3, 4, 1
	v_cmp_lt_u32_e32 vcc, 31, v3
	v_mov_b32_dpp v71, v70 row_bcast:15 row_mask:0xf bank_mask:0xf
	v_and_b32_e32 v71, v72, v71
	v_add_u32_e32 v70, v70, v71
	v_lshrrev_b32_e32 v72, 6, v2
	s_nop 0
	v_mov_b32_dpp v71, v70 row_bcast:31 row_mask:0xf bank_mask:0xf
	v_cndmask_b32_e32 v71, 0, v71, vcc
	v_add_u32_e32 v71, v70, v71
	v_cmp_eq_u32_e32 vcc, v32, v2
	s_and_saveexec_b64 s[4:5], vcc
	s_cbranch_execz .LBB911_51
; %bb.50:
	v_lshlrev_b32_e32 v32, 2, v72
	ds_write_b32 v32, v71
.LBB911_51:
	s_or_b64 exec, exec, s[4:5]
	v_cmp_gt_u32_e32 vcc, 8, v2
	v_lshlrev_b32_e32 v70, 2, v2
	s_waitcnt lgkmcnt(0)
	s_barrier
	s_and_saveexec_b64 s[4:5], vcc
	s_cbranch_execz .LBB911_53
; %bb.52:
	ds_read_b32 v32, v70
	v_and_b32_e32 v73, 7, v3
	v_cmp_ne_u32_e32 vcc, 0, v73
	s_waitcnt lgkmcnt(0)
	v_mov_b32_dpp v74, v32 row_shr:1 row_mask:0xf bank_mask:0xf
	v_cndmask_b32_e32 v74, 0, v74, vcc
	v_add_u32_e32 v32, v74, v32
	v_cmp_lt_u32_e32 vcc, 1, v73
	s_nop 0
	v_mov_b32_dpp v74, v32 row_shr:2 row_mask:0xf bank_mask:0xf
	v_cndmask_b32_e32 v74, 0, v74, vcc
	v_add_u32_e32 v32, v32, v74
	v_cmp_lt_u32_e32 vcc, 3, v73
	s_nop 0
	v_mov_b32_dpp v74, v32 row_shr:4 row_mask:0xf bank_mask:0xf
	v_cndmask_b32_e32 v73, 0, v74, vcc
	v_add_u32_e32 v32, v32, v73
	ds_write_b32 v70, v32
.LBB911_53:
	s_or_b64 exec, exec, s[4:5]
	v_cmp_lt_u32_e32 vcc, 63, v2
	v_mov_b32_e32 v32, 0
	s_waitcnt lgkmcnt(0)
	s_barrier
	s_and_saveexec_b64 s[4:5], vcc
	s_cbranch_execz .LBB911_55
; %bb.54:
	v_lshl_add_u32 v32, v72, 2, -4
	ds_read_b32 v32, v32
.LBB911_55:
	s_or_b64 exec, exec, s[4:5]
	v_add_u32_e32 v72, -1, v3
	v_and_b32_e32 v73, 64, v3
	v_cmp_lt_i32_e32 vcc, v72, v73
	s_waitcnt lgkmcnt(0)
	v_add_u32_e32 v71, v32, v71
	s_movk_i32 s4, 0x100
	v_cndmask_b32_e32 v72, v72, v3, vcc
	v_lshlrev_b32_e32 v72, 2, v72
	ds_bpermute_b32 v71, v72, v71
	v_cmp_eq_u32_e32 vcc, 0, v3
	s_waitcnt lgkmcnt(0)
	s_nop 0
	v_cndmask_b32_e32 v3, v71, v32, vcc
	v_cmp_ne_u32_e32 vcc, 0, v2
	s_nop 1
	v_cndmask_b32_e32 v3, 0, v3, vcc
	v_add_u32_e32 v30, v3, v30
	v_add_u32_e32 v31, v30, v31
	;; [unrolled: 1-line block ×4, first 2 shown]
	ds_write2_b32 v33, v3, v30 offset0:8 offset1:9
	ds_write2_b32 v69, v31, v28 offset0:2 offset1:3
	ds_write_b32 v69, v29 offset:16
	s_waitcnt lgkmcnt(0)
	s_barrier
	ds_read_b32 v76, v38 offset:32
	ds_read_b32 v69, v39 offset:32
	;; [unrolled: 1-line block ×12, first 2 shown]
	v_cmp_gt_u32_e32 vcc, s4, v2
                                        ; implicit-def: $vgpr3
                                        ; implicit-def: $vgpr38
	s_and_saveexec_b64 s[6:7], vcc
	s_cbranch_execz .LBB911_59
; %bb.56:
	v_mul_u32_u24_e32 v3, 9, v2
	v_lshlrev_b32_e32 v29, 2, v3
	ds_read_b32 v3, v29 offset:32
	s_movk_i32 s4, 0xff
	v_cmp_ne_u32_e64 s[4:5], s4, v2
	v_mov_b32_e32 v28, 0x1800
	s_and_saveexec_b64 s[8:9], s[4:5]
	s_cbranch_execz .LBB911_58
; %bb.57:
	ds_read_b32 v28, v29 offset:68
.LBB911_58:
	s_or_b64 exec, exec, s[8:9]
	s_waitcnt lgkmcnt(0)
	v_sub_u32_e32 v38, v28, v3
.LBB911_59:
	s_or_b64 exec, exec, s[6:7]
	s_waitcnt lgkmcnt(0)
	s_barrier
	s_and_saveexec_b64 s[6:7], vcc
	s_cbranch_execz .LBB911_69
; %bb.60:
	v_lshl_or_b32 v30, s2, 8, v2
	v_mov_b32_e32 v31, 0
	v_lshl_add_u64 v[28:29], v[30:31], 2, s[28:29]
	v_or_b32_e32 v30, 2.0, v38
	s_mov_b64 s[8:9], 0
	s_brev_b32 s14, 1
	s_mov_b32 s15, s2
	v_mov_b32_e32 v49, 0
	global_store_dword v[28:29], v30, off sc1
                                        ; implicit-def: $sgpr4_sgpr5
	s_branch .LBB911_62
.LBB911_61:                             ;   in Loop: Header=BB911_62 Depth=1
	s_or_b64 exec, exec, s[10:11]
	v_and_b32_e32 v32, 0x3fffffff, v55
	v_add_u32_e32 v49, v32, v49
	v_cmp_eq_u32_e64 s[4:5], s14, v30
	s_and_b64 s[10:11], exec, s[4:5]
	s_or_b64 s[8:9], s[10:11], s[8:9]
	s_andn2_b64 exec, exec, s[8:9]
	s_cbranch_execz .LBB911_68
.LBB911_62:                             ; =>This Loop Header: Depth=1
                                        ;     Child Loop BB911_65 Depth 2
	s_or_b64 s[4:5], s[4:5], exec
	s_cmp_eq_u32 s15, 0
	s_cbranch_scc1 .LBB911_67
; %bb.63:                               ;   in Loop: Header=BB911_62 Depth=1
	s_add_i32 s15, s15, -1
	v_lshl_or_b32 v30, s15, 8, v2
	v_lshl_add_u64 v[32:33], v[30:31], 2, s[28:29]
	global_load_dword v55, v[32:33], off sc1
	s_waitcnt vmcnt(0)
	v_and_b32_e32 v30, -2.0, v55
	v_cmp_eq_u32_e64 s[4:5], 0, v30
	s_and_saveexec_b64 s[10:11], s[4:5]
	s_cbranch_execz .LBB911_61
; %bb.64:                               ;   in Loop: Header=BB911_62 Depth=1
	s_mov_b64 s[12:13], 0
.LBB911_65:                             ;   Parent Loop BB911_62 Depth=1
                                        ; =>  This Inner Loop Header: Depth=2
	global_load_dword v55, v[32:33], off sc1
	s_waitcnt vmcnt(0)
	v_and_b32_e32 v30, -2.0, v55
	v_cmp_ne_u32_e64 s[4:5], 0, v30
	s_or_b64 s[12:13], s[4:5], s[12:13]
	s_andn2_b64 exec, exec, s[12:13]
	s_cbranch_execnz .LBB911_65
; %bb.66:                               ;   in Loop: Header=BB911_62 Depth=1
	s_or_b64 exec, exec, s[12:13]
	s_branch .LBB911_61
.LBB911_67:                             ;   in Loop: Header=BB911_62 Depth=1
                                        ; implicit-def: $sgpr15
	s_and_b64 s[10:11], exec, s[4:5]
	s_or_b64 s[8:9], s[10:11], s[8:9]
	s_andn2_b64 exec, exec, s[8:9]
	s_cbranch_execnz .LBB911_62
.LBB911_68:
	s_or_b64 exec, exec, s[8:9]
	v_add_u32_e32 v30, v49, v38
	v_or_b32_e32 v30, 0x80000000, v30
	global_store_dword v[28:29], v30, off sc1
	global_load_dword v28, v70, s[16:17]
	v_sub_u32_e32 v29, v49, v3
	s_waitcnt vmcnt(0)
	v_add_u32_e32 v28, v29, v28
	ds_write_b32 v70, v28
.LBB911_69:
	s_or_b64 exec, exec, s[6:7]
	v_add_u32_e32 v30, v76, v35
	v_add3_u32 v28, v36, v34, v69
	v_add3_u32 v29, v40, v37, v71
	;; [unrolled: 1-line block ×11, first 2 shown]
	v_lshlrev_b32_e32 v31, 3, v2
	v_mov_b32_e32 v77, 0x400
	s_movk_i32 s8, 0x400
	v_add_u32_e32 v32, 0x400, v31
	v_lshl_add_u32 v33, v33, 3, v77
	v_add3_u32 v35, v67, v39, v45
	v_lshl_add_u32 v39, v76, 3, v77
	v_add3_u32 v42, v65, v42, v63
	;; [unrolled: 2-line block ×11, first 2 shown]
	v_lshl_add_u32 v36, v30, 3, v77
	s_mov_b32 s9, 0
	v_mov_b32_e32 v29, 0
	s_movk_i32 s10, 0x200
	v_mov_b32_e32 v57, v2
	s_mov_b32 s11, 0
	s_branch .LBB911_71
.LBB911_70:                             ;   in Loop: Header=BB911_71 Depth=1
	s_or_b64 exec, exec, s[6:7]
	s_addk_i32 s11, 0xe000
	s_addk_i32 s9, 0xfc00
	s_cmp_eq_u32 s11, 0xffff4000
	v_add_u32_e32 v57, 0x400, v57
	s_barrier
	s_cbranch_scc1 .LBB911_100
.LBB911_71:                             ; =>This Inner Loop Header: Depth=1
	v_add_u32_e32 v28, s9, v30
	v_cmp_gt_u32_e64 s[4:5], s8, v28
	s_and_saveexec_b64 s[6:7], s[4:5]
	s_cbranch_execz .LBB911_73
; %bb.72:                               ;   in Loop: Header=BB911_71 Depth=1
	v_add_u32_e32 v28, s11, v36
	ds_write_b64 v28, v[6:7]
.LBB911_73:                             ;   in Loop: Header=BB911_71 Depth=1
	s_or_b64 exec, exec, s[6:7]
	v_add_u32_e32 v28, s9, v34
	v_cmp_gt_u32_e64 s[4:5], s8, v28
	s_and_saveexec_b64 s[6:7], s[4:5]
	s_cbranch_execz .LBB911_75
; %bb.74:                               ;   in Loop: Header=BB911_71 Depth=1
	v_add_u32_e32 v28, s11, v40
	ds_write_b64 v28, v[4:5]
.LBB911_75:                             ;   in Loop: Header=BB911_71 Depth=1
	s_or_b64 exec, exec, s[6:7]
	;; [unrolled: 9-line block ×12, first 2 shown]
	v_cmp_gt_u32_e64 s[4:5], s3, v57
	s_waitcnt lgkmcnt(0)
	s_barrier
	s_and_saveexec_b64 s[6:7], s[4:5]
	s_cbranch_execz .LBB911_97
; %bb.96:                               ;   in Loop: Header=BB911_71 Depth=1
	ds_read_b64 v[58:59], v31 offset:1024
	s_waitcnt lgkmcnt(0)
	v_lshrrev_b64 v[60:61], s20, v[58:59]
	v_and_b32_e32 v28, s23, v60
	v_lshlrev_b32_e32 v28, 2, v28
	ds_read_b32 v28, v28
	s_waitcnt lgkmcnt(0)
	v_add_u32_e32 v28, v57, v28
	v_lshl_add_u64 v[60:61], v[28:29], 3, s[26:27]
	global_store_dwordx2 v[60:61], v[58:59], off
.LBB911_97:                             ;   in Loop: Header=BB911_71 Depth=1
	s_or_b64 exec, exec, s[6:7]
	v_add_u32_e32 v28, 0x200, v57
	v_cmp_gt_u32_e64 s[4:5], s3, v28
	s_and_saveexec_b64 s[6:7], s[4:5]
	s_cbranch_execz .LBB911_70
; %bb.98:                               ;   in Loop: Header=BB911_71 Depth=1
	ds_read_b64 v[58:59], v32 offset:4096
	s_waitcnt lgkmcnt(0)
	v_lshrrev_b64 v[60:61], s20, v[58:59]
	v_and_b32_e32 v28, s23, v60
	v_lshlrev_b32_e32 v28, 2, v28
	ds_read_b32 v28, v28
	s_waitcnt lgkmcnt(0)
	v_add3_u32 v28, v57, v28, s10
	v_lshl_add_u64 v[60:61], v[28:29], 3, s[26:27]
	global_store_dwordx2 v[60:61], v[58:59], off
	s_branch .LBB911_70
.LBB911_99:
	s_mov_b64 s[8:9], 0
                                        ; implicit-def: $vgpr4
                                        ; implicit-def: $vgpr2
	s_cbranch_execnz .LBB911_103
	s_branch .LBB911_176
.LBB911_100:
	s_add_i32 s22, s22, -1
	s_cmp_eq_u32 s22, s2
	s_cselect_b64 s[4:5], -1, 0
	s_and_b64 s[6:7], vcc, s[4:5]
	s_mov_b64 s[4:5], 0
	s_mov_b64 s[8:9], 0
                                        ; implicit-def: $vgpr4
	s_and_saveexec_b64 s[10:11], s[6:7]
	s_xor_b64 s[6:7], exec, s[10:11]
; %bb.101:
	s_mov_b64 s[8:9], exec
	v_add_u32_e32 v4, v3, v38
; %bb.102:
	s_or_b64 exec, exec, s[6:7]
	s_and_b64 vcc, exec, s[4:5]
	s_cbranch_vccz .LBB911_176
.LBB911_103:
	s_mov_b32 s31, 0
	v_and_b32_e32 v2, 0x3ff, v0
	s_lshl_b64 s[4:5], s[30:31], 3
	v_mbcnt_hi_u32_b32 v3, -1, v1
	s_add_u32 s4, s24, s4
	v_and_b32_e32 v1, 63, v3
	v_and_b32_e32 v30, 0x1c0, v2
	s_addc_u32 s5, s25, s5
	v_mov_b32_e32 v27, 0
	v_mul_u32_u24_e32 v6, 12, v30
	v_lshlrev_b32_e32 v26, 3, v1
	v_lshl_add_u64 v[4:5], s[4:5], 0, v[26:27]
	v_lshlrev_b32_e32 v26, 3, v6
	v_lshl_add_u64 v[18:19], v[4:5], 0, v[26:27]
	global_load_dwordx2 v[4:5], v[18:19], off
	s_load_dword s4, s[0:1], 0x64
	s_load_dword s3, s[0:1], 0x58
	s_add_u32 s0, s0, 0x58
	s_addc_u32 s1, s1, 0
	v_bfe_u32 v20, v0, 10, 10
	s_waitcnt lgkmcnt(0)
	s_lshr_b32 s4, s4, 16
	s_cmp_lt_u32 s2, s3
	s_cselect_b32 s5, 12, 18
	s_add_u32 s0, s0, s5
	s_addc_u32 s1, s1, 0
	global_load_ushort v38, v27, s[0:1]
	v_bfe_u32 v21, v0, 20, 10
	v_mul_u32_u24_e32 v0, 5, v2
	v_lshlrev_b32_e32 v31, 2, v0
	ds_write2_b32 v31, v27, v27 offset0:8 offset1:9
	ds_write2_b32 v31, v27, v27 offset0:10 offset1:11
	ds_write_b32 v31, v27 offset:48
	s_movk_i32 s0, 0x1000
	global_load_dwordx2 v[0:1], v[18:19], off offset:512
	global_load_dwordx2 v[6:7], v[18:19], off offset:1024
	;; [unrolled: 1-line block ×7, first 2 shown]
	v_add_co_u32_e32 v36, vcc, s0, v18
	v_mad_u32_u24 v39, v21, s4, v20
	s_nop 0
	v_addc_co_u32_e32 v37, vcc, 0, v19, vcc
	global_load_dwordx2 v[18:19], v[36:37], off
	global_load_dwordx2 v[20:21], v[36:37], off offset:512
	global_load_dwordx2 v[22:23], v[36:37], off offset:1024
	;; [unrolled: 1-line block ×3, first 2 shown]
	s_lshl_b32 s0, -1, s21
	s_not_b32 s14, s0
	v_mov_b32_e32 v28, v27
	v_mov_b32_e32 v32, v27
	;; [unrolled: 1-line block ×3, first 2 shown]
	s_waitcnt lgkmcnt(0)
	s_barrier
	s_waitcnt lgkmcnt(0)
	; wave barrier
	s_waitcnt vmcnt(12)
	v_lshrrev_b64 v[36:37], s20, v[4:5]
	v_and_b32_e32 v40, s14, v36
	v_and_b32_e32 v26, 1, v40
	v_lshlrev_b32_e32 v29, 30, v40
	v_lshlrev_b32_e32 v33, 29, v40
	;; [unrolled: 1-line block ×3, first 2 shown]
	v_lshl_add_u64 v[36:37], v[26:27], 0, -1
	v_cmp_ne_u32_e32 vcc, 0, v26
	v_cmp_gt_i64_e64 s[0:1], 0, v[28:29]
	v_not_b32_e32 v26, v29
	s_waitcnt vmcnt(11)
	v_mad_u64_u32 v[28:29], s[10:11], v39, v38, v[2:3]
	v_cmp_gt_i64_e64 s[4:5], 0, v[32:33]
	v_not_b32_e32 v32, v33
	v_cmp_gt_i64_e64 s[6:7], 0, v[34:35]
	v_xor_b32_e32 v29, vcc_hi, v37
	v_xor_b32_e32 v34, vcc_lo, v36
	v_ashrrev_i32_e32 v26, 31, v26
	v_not_b32_e32 v33, v35
	v_ashrrev_i32_e32 v32, 31, v32
	v_lshrrev_b32_e32 v43, 6, v28
	v_and_b32_e32 v28, exec_hi, v29
	v_and_b32_e32 v29, exec_lo, v34
	v_xor_b32_e32 v34, s1, v26
	v_ashrrev_i32_e32 v33, 31, v33
	v_xor_b32_e32 v26, s0, v26
	v_xor_b32_e32 v35, s5, v32
	v_and_b32_e32 v28, v28, v34
	v_xor_b32_e32 v32, s4, v32
	v_xor_b32_e32 v37, s7, v33
	v_and_b32_e32 v26, v29, v26
	v_and_b32_e32 v28, v28, v35
	;; [unrolled: 1-line block ×4, first 2 shown]
	v_lshlrev_b32_e32 v29, 27, v40
	v_mov_b32_e32 v28, v27
	v_cmp_gt_i64_e32 vcc, 0, v[28:29]
	v_not_b32_e32 v28, v29
	v_xor_b32_e32 v33, s6, v33
	v_ashrrev_i32_e32 v28, 31, v28
	v_and_b32_e32 v26, v26, v33
	v_xor_b32_e32 v29, vcc_hi, v28
	v_xor_b32_e32 v28, vcc_lo, v28
	v_and_b32_e32 v32, v32, v29
	v_and_b32_e32 v26, v26, v28
	v_lshlrev_b32_e32 v29, 26, v40
	v_mov_b32_e32 v28, v27
	v_cmp_gt_i64_e32 vcc, 0, v[28:29]
	v_not_b32_e32 v28, v29
	v_ashrrev_i32_e32 v28, 31, v28
	v_xor_b32_e32 v29, vcc_hi, v28
	v_xor_b32_e32 v28, vcc_lo, v28
	v_and_b32_e32 v32, v32, v29
	v_and_b32_e32 v26, v26, v28
	v_lshlrev_b32_e32 v29, 25, v40
	v_mov_b32_e32 v28, v27
	v_cmp_gt_i64_e32 vcc, 0, v[28:29]
	v_not_b32_e32 v28, v29
	v_ashrrev_i32_e32 v28, 31, v28
	;; [unrolled: 9-line block ×3, first 2 shown]
	v_xor_b32_e32 v29, vcc_hi, v28
	v_xor_b32_e32 v28, vcc_lo, v28
	v_and_b32_e32 v28, v26, v28
	v_and_b32_e32 v29, v32, v29
	v_mbcnt_lo_u32_b32 v26, v28, 0
	v_mbcnt_hi_u32_b32 v33, v29, v26
	v_lshl_add_u32 v41, v40, 3, v40
	v_cmp_eq_u32_e32 vcc, 0, v33
	v_cmp_ne_u64_e64 s[0:1], 0, v[28:29]
	v_add_lshl_u32 v36, v43, v41, 2
	s_and_b64 s[4:5], s[0:1], vcc
	s_and_saveexec_b64 s[0:1], s[4:5]
	s_cbranch_execz .LBB911_105
; %bb.104:
	v_bcnt_u32_b32 v26, v28, 0
	v_bcnt_u32_b32 v26, v29, v26
	ds_write_b32 v36, v26 offset:32
.LBB911_105:
	s_or_b64 exec, exec, s[0:1]
	s_waitcnt vmcnt(10)
	v_lshrrev_b64 v[28:29], s20, v[0:1]
	v_and_b32_e32 v34, s14, v28
	v_lshl_add_u32 v26, v34, 3, v34
	v_add_lshl_u32 v37, v43, v26, 2
	v_and_b32_e32 v26, 1, v34
	v_lshl_add_u64 v[28:29], v[26:27], 0, -1
	v_cmp_ne_u32_e32 vcc, 0, v26
	; wave barrier
	s_nop 1
	v_xor_b32_e32 v28, vcc_lo, v28
	v_xor_b32_e32 v26, vcc_hi, v29
	v_and_b32_e32 v35, exec_lo, v28
	v_lshlrev_b32_e32 v29, 30, v34
	v_mov_b32_e32 v28, v27
	v_cmp_gt_i64_e32 vcc, 0, v[28:29]
	v_not_b32_e32 v28, v29
	v_ashrrev_i32_e32 v28, 31, v28
	v_and_b32_e32 v26, exec_hi, v26
	v_xor_b32_e32 v29, vcc_hi, v28
	v_xor_b32_e32 v28, vcc_lo, v28
	v_and_b32_e32 v26, v26, v29
	v_and_b32_e32 v35, v35, v28
	v_lshlrev_b32_e32 v29, 29, v34
	v_mov_b32_e32 v28, v27
	v_cmp_gt_i64_e32 vcc, 0, v[28:29]
	v_not_b32_e32 v28, v29
	v_ashrrev_i32_e32 v28, 31, v28
	v_xor_b32_e32 v29, vcc_hi, v28
	v_xor_b32_e32 v28, vcc_lo, v28
	v_and_b32_e32 v26, v26, v29
	v_and_b32_e32 v35, v35, v28
	v_lshlrev_b32_e32 v29, 28, v34
	v_mov_b32_e32 v28, v27
	v_cmp_gt_i64_e32 vcc, 0, v[28:29]
	v_not_b32_e32 v28, v29
	v_ashrrev_i32_e32 v28, 31, v28
	;; [unrolled: 9-line block ×5, first 2 shown]
	v_xor_b32_e32 v29, vcc_hi, v28
	v_xor_b32_e32 v28, vcc_lo, v28
	v_and_b32_e32 v26, v26, v29
	v_lshlrev_b32_e32 v29, 24, v34
	v_and_b32_e32 v35, v35, v28
	v_mov_b32_e32 v28, v27
	v_not_b32_e32 v27, v29
	v_cmp_gt_i64_e32 vcc, 0, v[28:29]
	v_ashrrev_i32_e32 v27, 31, v27
	ds_read_b32 v32, v37 offset:32
	v_xor_b32_e32 v28, vcc_hi, v27
	v_xor_b32_e32 v29, vcc_lo, v27
	v_and_b32_e32 v27, v26, v28
	v_and_b32_e32 v26, v35, v29
	v_mbcnt_lo_u32_b32 v28, v26, 0
	v_mbcnt_hi_u32_b32 v34, v27, v28
	v_cmp_eq_u32_e32 vcc, 0, v34
	v_cmp_ne_u64_e64 s[0:1], 0, v[26:27]
	s_and_b64 s[4:5], s[0:1], vcc
	; wave barrier
	s_and_saveexec_b64 s[0:1], s[4:5]
	s_cbranch_execz .LBB911_107
; %bb.106:
	v_bcnt_u32_b32 v26, v26, 0
	v_bcnt_u32_b32 v26, v27, v26
	s_waitcnt lgkmcnt(0)
	v_add_u32_e32 v26, v32, v26
	ds_write_b32 v37, v26 offset:32
.LBB911_107:
	s_or_b64 exec, exec, s[0:1]
	s_waitcnt vmcnt(9)
	v_lshrrev_b64 v[26:27], s20, v[6:7]
	v_and_b32_e32 v38, s14, v26
	v_lshl_add_u32 v26, v38, 3, v38
	v_add_lshl_u32 v40, v43, v26, 2
	v_and_b32_e32 v26, 1, v38
	v_mov_b32_e32 v27, 0
	v_lshl_add_u64 v[28:29], v[26:27], 0, -1
	v_cmp_ne_u32_e32 vcc, 0, v26
	; wave barrier
	s_nop 1
	v_xor_b32_e32 v28, vcc_lo, v28
	v_xor_b32_e32 v26, vcc_hi, v29
	v_and_b32_e32 v39, exec_lo, v28
	v_lshlrev_b32_e32 v29, 30, v38
	v_mov_b32_e32 v28, v27
	v_cmp_gt_i64_e32 vcc, 0, v[28:29]
	v_not_b32_e32 v28, v29
	v_ashrrev_i32_e32 v28, 31, v28
	v_and_b32_e32 v26, exec_hi, v26
	v_xor_b32_e32 v29, vcc_hi, v28
	v_xor_b32_e32 v28, vcc_lo, v28
	v_and_b32_e32 v26, v26, v29
	v_and_b32_e32 v39, v39, v28
	v_lshlrev_b32_e32 v29, 29, v38
	v_mov_b32_e32 v28, v27
	v_cmp_gt_i64_e32 vcc, 0, v[28:29]
	v_not_b32_e32 v28, v29
	v_ashrrev_i32_e32 v28, 31, v28
	v_xor_b32_e32 v29, vcc_hi, v28
	v_xor_b32_e32 v28, vcc_lo, v28
	v_and_b32_e32 v26, v26, v29
	v_and_b32_e32 v39, v39, v28
	v_lshlrev_b32_e32 v29, 28, v38
	v_mov_b32_e32 v28, v27
	v_cmp_gt_i64_e32 vcc, 0, v[28:29]
	v_not_b32_e32 v28, v29
	v_ashrrev_i32_e32 v28, 31, v28
	;; [unrolled: 9-line block ×6, first 2 shown]
	v_xor_b32_e32 v29, vcc_hi, v28
	v_xor_b32_e32 v28, vcc_lo, v28
	ds_read_b32 v35, v40 offset:32
	v_and_b32_e32 v28, v39, v28
	v_and_b32_e32 v29, v26, v29
	v_mbcnt_lo_u32_b32 v26, v28, 0
	v_mbcnt_hi_u32_b32 v38, v29, v26
	v_cmp_eq_u32_e32 vcc, 0, v38
	v_cmp_ne_u64_e64 s[0:1], 0, v[28:29]
	s_and_b64 s[4:5], s[0:1], vcc
	; wave barrier
	s_and_saveexec_b64 s[0:1], s[4:5]
	s_cbranch_execz .LBB911_109
; %bb.108:
	v_bcnt_u32_b32 v26, v28, 0
	v_bcnt_u32_b32 v26, v29, v26
	s_waitcnt lgkmcnt(0)
	v_add_u32_e32 v26, v35, v26
	ds_write_b32 v40, v26 offset:32
.LBB911_109:
	s_or_b64 exec, exec, s[0:1]
	s_waitcnt vmcnt(8)
	v_lshrrev_b64 v[28:29], s20, v[8:9]
	v_and_b32_e32 v41, s14, v28
	v_lshl_add_u32 v26, v41, 3, v41
	v_add_lshl_u32 v44, v43, v26, 2
	v_and_b32_e32 v26, 1, v41
	v_lshl_add_u64 v[28:29], v[26:27], 0, -1
	v_cmp_ne_u32_e32 vcc, 0, v26
	; wave barrier
	s_nop 1
	v_xor_b32_e32 v28, vcc_lo, v28
	v_xor_b32_e32 v26, vcc_hi, v29
	v_and_b32_e32 v42, exec_lo, v28
	v_lshlrev_b32_e32 v29, 30, v41
	v_mov_b32_e32 v28, v27
	v_cmp_gt_i64_e32 vcc, 0, v[28:29]
	v_not_b32_e32 v28, v29
	v_ashrrev_i32_e32 v28, 31, v28
	v_and_b32_e32 v26, exec_hi, v26
	v_xor_b32_e32 v29, vcc_hi, v28
	v_xor_b32_e32 v28, vcc_lo, v28
	v_and_b32_e32 v26, v26, v29
	v_and_b32_e32 v42, v42, v28
	v_lshlrev_b32_e32 v29, 29, v41
	v_mov_b32_e32 v28, v27
	v_cmp_gt_i64_e32 vcc, 0, v[28:29]
	v_not_b32_e32 v28, v29
	v_ashrrev_i32_e32 v28, 31, v28
	v_xor_b32_e32 v29, vcc_hi, v28
	v_xor_b32_e32 v28, vcc_lo, v28
	v_and_b32_e32 v26, v26, v29
	v_and_b32_e32 v42, v42, v28
	v_lshlrev_b32_e32 v29, 28, v41
	v_mov_b32_e32 v28, v27
	v_cmp_gt_i64_e32 vcc, 0, v[28:29]
	v_not_b32_e32 v28, v29
	v_ashrrev_i32_e32 v28, 31, v28
	;; [unrolled: 9-line block ×5, first 2 shown]
	v_xor_b32_e32 v29, vcc_hi, v28
	v_xor_b32_e32 v28, vcc_lo, v28
	v_and_b32_e32 v26, v26, v29
	v_lshlrev_b32_e32 v29, 24, v41
	v_and_b32_e32 v42, v42, v28
	v_mov_b32_e32 v28, v27
	v_not_b32_e32 v27, v29
	v_cmp_gt_i64_e32 vcc, 0, v[28:29]
	v_ashrrev_i32_e32 v27, 31, v27
	ds_read_b32 v39, v44 offset:32
	v_xor_b32_e32 v28, vcc_hi, v27
	v_xor_b32_e32 v29, vcc_lo, v27
	v_and_b32_e32 v27, v26, v28
	v_and_b32_e32 v26, v42, v29
	v_mbcnt_lo_u32_b32 v28, v26, 0
	v_mbcnt_hi_u32_b32 v41, v27, v28
	v_cmp_eq_u32_e32 vcc, 0, v41
	v_cmp_ne_u64_e64 s[0:1], 0, v[26:27]
	s_and_b64 s[4:5], s[0:1], vcc
	; wave barrier
	s_and_saveexec_b64 s[0:1], s[4:5]
	s_cbranch_execz .LBB911_111
; %bb.110:
	v_bcnt_u32_b32 v26, v26, 0
	v_bcnt_u32_b32 v26, v27, v26
	s_waitcnt lgkmcnt(0)
	v_add_u32_e32 v26, v39, v26
	ds_write_b32 v44, v26 offset:32
.LBB911_111:
	s_or_b64 exec, exec, s[0:1]
	s_waitcnt vmcnt(7)
	v_lshrrev_b64 v[26:27], s20, v[10:11]
	v_and_b32_e32 v45, s14, v26
	v_lshl_add_u32 v26, v45, 3, v45
	v_add_lshl_u32 v47, v43, v26, 2
	v_and_b32_e32 v26, 1, v45
	v_mov_b32_e32 v27, 0
	v_lshl_add_u64 v[28:29], v[26:27], 0, -1
	v_cmp_ne_u32_e32 vcc, 0, v26
	; wave barrier
	s_nop 1
	v_xor_b32_e32 v28, vcc_lo, v28
	v_xor_b32_e32 v26, vcc_hi, v29
	v_and_b32_e32 v46, exec_lo, v28
	v_lshlrev_b32_e32 v29, 30, v45
	v_mov_b32_e32 v28, v27
	v_cmp_gt_i64_e32 vcc, 0, v[28:29]
	v_not_b32_e32 v28, v29
	v_ashrrev_i32_e32 v28, 31, v28
	v_and_b32_e32 v26, exec_hi, v26
	v_xor_b32_e32 v29, vcc_hi, v28
	v_xor_b32_e32 v28, vcc_lo, v28
	v_and_b32_e32 v26, v26, v29
	v_and_b32_e32 v46, v46, v28
	v_lshlrev_b32_e32 v29, 29, v45
	v_mov_b32_e32 v28, v27
	v_cmp_gt_i64_e32 vcc, 0, v[28:29]
	v_not_b32_e32 v28, v29
	v_ashrrev_i32_e32 v28, 31, v28
	v_xor_b32_e32 v29, vcc_hi, v28
	v_xor_b32_e32 v28, vcc_lo, v28
	v_and_b32_e32 v26, v26, v29
	v_and_b32_e32 v46, v46, v28
	v_lshlrev_b32_e32 v29, 28, v45
	v_mov_b32_e32 v28, v27
	v_cmp_gt_i64_e32 vcc, 0, v[28:29]
	v_not_b32_e32 v28, v29
	v_ashrrev_i32_e32 v28, 31, v28
	;; [unrolled: 9-line block ×6, first 2 shown]
	v_xor_b32_e32 v29, vcc_hi, v28
	v_xor_b32_e32 v28, vcc_lo, v28
	ds_read_b32 v42, v47 offset:32
	v_and_b32_e32 v28, v46, v28
	v_and_b32_e32 v29, v26, v29
	v_mbcnt_lo_u32_b32 v26, v28, 0
	v_mbcnt_hi_u32_b32 v45, v29, v26
	v_cmp_eq_u32_e32 vcc, 0, v45
	v_cmp_ne_u64_e64 s[0:1], 0, v[28:29]
	s_and_b64 s[4:5], s[0:1], vcc
	; wave barrier
	s_and_saveexec_b64 s[0:1], s[4:5]
	s_cbranch_execz .LBB911_113
; %bb.112:
	v_bcnt_u32_b32 v26, v28, 0
	v_bcnt_u32_b32 v26, v29, v26
	s_waitcnt lgkmcnt(0)
	v_add_u32_e32 v26, v42, v26
	ds_write_b32 v47, v26 offset:32
.LBB911_113:
	s_or_b64 exec, exec, s[0:1]
	s_waitcnt vmcnt(6)
	v_lshrrev_b64 v[28:29], s20, v[12:13]
	v_and_b32_e32 v48, s14, v28
	v_lshl_add_u32 v26, v48, 3, v48
	v_add_lshl_u32 v50, v43, v26, 2
	v_and_b32_e32 v26, 1, v48
	v_lshl_add_u64 v[28:29], v[26:27], 0, -1
	v_cmp_ne_u32_e32 vcc, 0, v26
	; wave barrier
	s_nop 1
	v_xor_b32_e32 v28, vcc_lo, v28
	v_xor_b32_e32 v26, vcc_hi, v29
	v_and_b32_e32 v49, exec_lo, v28
	v_lshlrev_b32_e32 v29, 30, v48
	v_mov_b32_e32 v28, v27
	v_cmp_gt_i64_e32 vcc, 0, v[28:29]
	v_not_b32_e32 v28, v29
	v_ashrrev_i32_e32 v28, 31, v28
	v_and_b32_e32 v26, exec_hi, v26
	v_xor_b32_e32 v29, vcc_hi, v28
	v_xor_b32_e32 v28, vcc_lo, v28
	v_and_b32_e32 v26, v26, v29
	v_and_b32_e32 v49, v49, v28
	v_lshlrev_b32_e32 v29, 29, v48
	v_mov_b32_e32 v28, v27
	v_cmp_gt_i64_e32 vcc, 0, v[28:29]
	v_not_b32_e32 v28, v29
	v_ashrrev_i32_e32 v28, 31, v28
	v_xor_b32_e32 v29, vcc_hi, v28
	v_xor_b32_e32 v28, vcc_lo, v28
	v_and_b32_e32 v26, v26, v29
	v_and_b32_e32 v49, v49, v28
	v_lshlrev_b32_e32 v29, 28, v48
	v_mov_b32_e32 v28, v27
	v_cmp_gt_i64_e32 vcc, 0, v[28:29]
	v_not_b32_e32 v28, v29
	v_ashrrev_i32_e32 v28, 31, v28
	;; [unrolled: 9-line block ×5, first 2 shown]
	v_xor_b32_e32 v29, vcc_hi, v28
	v_xor_b32_e32 v28, vcc_lo, v28
	v_and_b32_e32 v26, v26, v29
	v_lshlrev_b32_e32 v29, 24, v48
	v_and_b32_e32 v49, v49, v28
	v_mov_b32_e32 v28, v27
	v_not_b32_e32 v27, v29
	v_cmp_gt_i64_e32 vcc, 0, v[28:29]
	v_ashrrev_i32_e32 v27, 31, v27
	ds_read_b32 v46, v50 offset:32
	v_xor_b32_e32 v28, vcc_hi, v27
	v_xor_b32_e32 v29, vcc_lo, v27
	v_and_b32_e32 v27, v26, v28
	v_and_b32_e32 v26, v49, v29
	v_mbcnt_lo_u32_b32 v28, v26, 0
	v_mbcnt_hi_u32_b32 v48, v27, v28
	v_cmp_eq_u32_e32 vcc, 0, v48
	v_cmp_ne_u64_e64 s[0:1], 0, v[26:27]
	s_and_b64 s[4:5], s[0:1], vcc
	; wave barrier
	s_and_saveexec_b64 s[0:1], s[4:5]
	s_cbranch_execz .LBB911_115
; %bb.114:
	v_bcnt_u32_b32 v26, v26, 0
	v_bcnt_u32_b32 v26, v27, v26
	s_waitcnt lgkmcnt(0)
	v_add_u32_e32 v26, v46, v26
	ds_write_b32 v50, v26 offset:32
.LBB911_115:
	s_or_b64 exec, exec, s[0:1]
	s_waitcnt vmcnt(5)
	v_lshrrev_b64 v[26:27], s20, v[14:15]
	v_and_b32_e32 v51, s14, v26
	v_lshl_add_u32 v26, v51, 3, v51
	v_add_lshl_u32 v53, v43, v26, 2
	v_and_b32_e32 v26, 1, v51
	v_mov_b32_e32 v27, 0
	v_lshl_add_u64 v[28:29], v[26:27], 0, -1
	v_cmp_ne_u32_e32 vcc, 0, v26
	; wave barrier
	s_nop 1
	v_xor_b32_e32 v28, vcc_lo, v28
	v_xor_b32_e32 v26, vcc_hi, v29
	v_and_b32_e32 v52, exec_lo, v28
	v_lshlrev_b32_e32 v29, 30, v51
	v_mov_b32_e32 v28, v27
	v_cmp_gt_i64_e32 vcc, 0, v[28:29]
	v_not_b32_e32 v28, v29
	v_ashrrev_i32_e32 v28, 31, v28
	v_and_b32_e32 v26, exec_hi, v26
	v_xor_b32_e32 v29, vcc_hi, v28
	v_xor_b32_e32 v28, vcc_lo, v28
	v_and_b32_e32 v26, v26, v29
	v_and_b32_e32 v52, v52, v28
	v_lshlrev_b32_e32 v29, 29, v51
	v_mov_b32_e32 v28, v27
	v_cmp_gt_i64_e32 vcc, 0, v[28:29]
	v_not_b32_e32 v28, v29
	v_ashrrev_i32_e32 v28, 31, v28
	v_xor_b32_e32 v29, vcc_hi, v28
	v_xor_b32_e32 v28, vcc_lo, v28
	v_and_b32_e32 v26, v26, v29
	v_and_b32_e32 v52, v52, v28
	v_lshlrev_b32_e32 v29, 28, v51
	v_mov_b32_e32 v28, v27
	v_cmp_gt_i64_e32 vcc, 0, v[28:29]
	v_not_b32_e32 v28, v29
	v_ashrrev_i32_e32 v28, 31, v28
	;; [unrolled: 9-line block ×6, first 2 shown]
	v_xor_b32_e32 v29, vcc_hi, v28
	v_xor_b32_e32 v28, vcc_lo, v28
	ds_read_b32 v49, v53 offset:32
	v_and_b32_e32 v28, v52, v28
	v_and_b32_e32 v29, v26, v29
	v_mbcnt_lo_u32_b32 v26, v28, 0
	v_mbcnt_hi_u32_b32 v51, v29, v26
	v_cmp_eq_u32_e32 vcc, 0, v51
	v_cmp_ne_u64_e64 s[0:1], 0, v[28:29]
	s_and_b64 s[4:5], s[0:1], vcc
	; wave barrier
	s_and_saveexec_b64 s[0:1], s[4:5]
	s_cbranch_execz .LBB911_117
; %bb.116:
	v_bcnt_u32_b32 v26, v28, 0
	v_bcnt_u32_b32 v26, v29, v26
	s_waitcnt lgkmcnt(0)
	v_add_u32_e32 v26, v49, v26
	ds_write_b32 v53, v26 offset:32
.LBB911_117:
	s_or_b64 exec, exec, s[0:1]
	s_waitcnt vmcnt(4)
	v_lshrrev_b64 v[28:29], s20, v[16:17]
	v_and_b32_e32 v54, s14, v28
	v_lshl_add_u32 v26, v54, 3, v54
	v_add_lshl_u32 v56, v43, v26, 2
	v_and_b32_e32 v26, 1, v54
	v_lshl_add_u64 v[28:29], v[26:27], 0, -1
	v_cmp_ne_u32_e32 vcc, 0, v26
	; wave barrier
	s_nop 1
	v_xor_b32_e32 v28, vcc_lo, v28
	v_xor_b32_e32 v26, vcc_hi, v29
	v_and_b32_e32 v55, exec_lo, v28
	v_lshlrev_b32_e32 v29, 30, v54
	v_mov_b32_e32 v28, v27
	v_cmp_gt_i64_e32 vcc, 0, v[28:29]
	v_not_b32_e32 v28, v29
	v_ashrrev_i32_e32 v28, 31, v28
	v_and_b32_e32 v26, exec_hi, v26
	v_xor_b32_e32 v29, vcc_hi, v28
	v_xor_b32_e32 v28, vcc_lo, v28
	v_and_b32_e32 v26, v26, v29
	v_and_b32_e32 v55, v55, v28
	v_lshlrev_b32_e32 v29, 29, v54
	v_mov_b32_e32 v28, v27
	v_cmp_gt_i64_e32 vcc, 0, v[28:29]
	v_not_b32_e32 v28, v29
	v_ashrrev_i32_e32 v28, 31, v28
	v_xor_b32_e32 v29, vcc_hi, v28
	v_xor_b32_e32 v28, vcc_lo, v28
	v_and_b32_e32 v26, v26, v29
	v_and_b32_e32 v55, v55, v28
	v_lshlrev_b32_e32 v29, 28, v54
	v_mov_b32_e32 v28, v27
	v_cmp_gt_i64_e32 vcc, 0, v[28:29]
	v_not_b32_e32 v28, v29
	v_ashrrev_i32_e32 v28, 31, v28
	;; [unrolled: 9-line block ×5, first 2 shown]
	v_xor_b32_e32 v29, vcc_hi, v28
	v_xor_b32_e32 v28, vcc_lo, v28
	v_and_b32_e32 v26, v26, v29
	v_lshlrev_b32_e32 v29, 24, v54
	v_and_b32_e32 v55, v55, v28
	v_mov_b32_e32 v28, v27
	v_not_b32_e32 v27, v29
	v_cmp_gt_i64_e32 vcc, 0, v[28:29]
	v_ashrrev_i32_e32 v27, 31, v27
	ds_read_b32 v52, v56 offset:32
	v_xor_b32_e32 v28, vcc_hi, v27
	v_xor_b32_e32 v29, vcc_lo, v27
	v_and_b32_e32 v27, v26, v28
	v_and_b32_e32 v26, v55, v29
	v_mbcnt_lo_u32_b32 v28, v26, 0
	v_mbcnt_hi_u32_b32 v54, v27, v28
	v_cmp_eq_u32_e32 vcc, 0, v54
	v_cmp_ne_u64_e64 s[0:1], 0, v[26:27]
	s_and_b64 s[4:5], s[0:1], vcc
	; wave barrier
	s_and_saveexec_b64 s[0:1], s[4:5]
	s_cbranch_execz .LBB911_119
; %bb.118:
	v_bcnt_u32_b32 v26, v26, 0
	v_bcnt_u32_b32 v26, v27, v26
	s_waitcnt lgkmcnt(0)
	v_add_u32_e32 v26, v52, v26
	ds_write_b32 v56, v26 offset:32
.LBB911_119:
	s_or_b64 exec, exec, s[0:1]
	s_waitcnt vmcnt(3)
	v_lshrrev_b64 v[26:27], s20, v[18:19]
	v_and_b32_e32 v57, s14, v26
	v_lshl_add_u32 v26, v57, 3, v57
	v_add_lshl_u32 v59, v43, v26, 2
	v_and_b32_e32 v26, 1, v57
	v_mov_b32_e32 v27, 0
	v_lshl_add_u64 v[28:29], v[26:27], 0, -1
	v_cmp_ne_u32_e32 vcc, 0, v26
	; wave barrier
	s_nop 1
	v_xor_b32_e32 v28, vcc_lo, v28
	v_xor_b32_e32 v26, vcc_hi, v29
	v_and_b32_e32 v58, exec_lo, v28
	v_lshlrev_b32_e32 v29, 30, v57
	v_mov_b32_e32 v28, v27
	v_cmp_gt_i64_e32 vcc, 0, v[28:29]
	v_not_b32_e32 v28, v29
	v_ashrrev_i32_e32 v28, 31, v28
	v_and_b32_e32 v26, exec_hi, v26
	v_xor_b32_e32 v29, vcc_hi, v28
	v_xor_b32_e32 v28, vcc_lo, v28
	v_and_b32_e32 v26, v26, v29
	v_and_b32_e32 v58, v58, v28
	v_lshlrev_b32_e32 v29, 29, v57
	v_mov_b32_e32 v28, v27
	v_cmp_gt_i64_e32 vcc, 0, v[28:29]
	v_not_b32_e32 v28, v29
	v_ashrrev_i32_e32 v28, 31, v28
	v_xor_b32_e32 v29, vcc_hi, v28
	v_xor_b32_e32 v28, vcc_lo, v28
	v_and_b32_e32 v26, v26, v29
	v_and_b32_e32 v58, v58, v28
	v_lshlrev_b32_e32 v29, 28, v57
	v_mov_b32_e32 v28, v27
	v_cmp_gt_i64_e32 vcc, 0, v[28:29]
	v_not_b32_e32 v28, v29
	v_ashrrev_i32_e32 v28, 31, v28
	v_xor_b32_e32 v29, vcc_hi, v28
	v_xor_b32_e32 v28, vcc_lo, v28
	v_and_b32_e32 v26, v26, v29
	v_and_b32_e32 v58, v58, v28
	v_lshlrev_b32_e32 v29, 27, v57
	v_mov_b32_e32 v28, v27
	v_cmp_gt_i64_e32 vcc, 0, v[28:29]
	v_not_b32_e32 v28, v29
	v_ashrrev_i32_e32 v28, 31, v28
	v_xor_b32_e32 v29, vcc_hi, v28
	v_xor_b32_e32 v28, vcc_lo, v28
	v_and_b32_e32 v26, v26, v29
	v_and_b32_e32 v58, v58, v28
	v_lshlrev_b32_e32 v29, 26, v57
	v_mov_b32_e32 v28, v27
	v_cmp_gt_i64_e32 vcc, 0, v[28:29]
	v_not_b32_e32 v28, v29
	v_ashrrev_i32_e32 v28, 31, v28
	v_xor_b32_e32 v29, vcc_hi, v28
	v_xor_b32_e32 v28, vcc_lo, v28
	v_and_b32_e32 v26, v26, v29
	v_and_b32_e32 v58, v58, v28
	v_lshlrev_b32_e32 v29, 25, v57
	v_mov_b32_e32 v28, v27
	v_cmp_gt_i64_e32 vcc, 0, v[28:29]
	v_not_b32_e32 v28, v29
	v_ashrrev_i32_e32 v28, 31, v28
	v_xor_b32_e32 v29, vcc_hi, v28
	v_xor_b32_e32 v28, vcc_lo, v28
	v_and_b32_e32 v26, v26, v29
	v_and_b32_e32 v58, v58, v28
	v_lshlrev_b32_e32 v29, 24, v57
	v_mov_b32_e32 v28, v27
	v_cmp_gt_i64_e32 vcc, 0, v[28:29]
	v_not_b32_e32 v28, v29
	v_ashrrev_i32_e32 v28, 31, v28
	v_xor_b32_e32 v29, vcc_hi, v28
	v_xor_b32_e32 v28, vcc_lo, v28
	ds_read_b32 v55, v59 offset:32
	v_and_b32_e32 v28, v58, v28
	v_and_b32_e32 v29, v26, v29
	v_mbcnt_lo_u32_b32 v26, v28, 0
	v_mbcnt_hi_u32_b32 v57, v29, v26
	v_cmp_eq_u32_e32 vcc, 0, v57
	v_cmp_ne_u64_e64 s[0:1], 0, v[28:29]
	s_and_b64 s[4:5], s[0:1], vcc
	; wave barrier
	s_and_saveexec_b64 s[0:1], s[4:5]
	s_cbranch_execz .LBB911_121
; %bb.120:
	v_bcnt_u32_b32 v26, v28, 0
	v_bcnt_u32_b32 v26, v29, v26
	s_waitcnt lgkmcnt(0)
	v_add_u32_e32 v26, v55, v26
	ds_write_b32 v59, v26 offset:32
.LBB911_121:
	s_or_b64 exec, exec, s[0:1]
	s_waitcnt vmcnt(2)
	v_lshrrev_b64 v[28:29], s20, v[20:21]
	v_and_b32_e32 v60, s14, v28
	v_lshl_add_u32 v26, v60, 3, v60
	v_add_lshl_u32 v62, v43, v26, 2
	v_and_b32_e32 v26, 1, v60
	v_lshl_add_u64 v[28:29], v[26:27], 0, -1
	v_cmp_ne_u32_e32 vcc, 0, v26
	; wave barrier
	s_nop 1
	v_xor_b32_e32 v28, vcc_lo, v28
	v_xor_b32_e32 v26, vcc_hi, v29
	v_and_b32_e32 v61, exec_lo, v28
	v_lshlrev_b32_e32 v29, 30, v60
	v_mov_b32_e32 v28, v27
	v_cmp_gt_i64_e32 vcc, 0, v[28:29]
	v_not_b32_e32 v28, v29
	v_ashrrev_i32_e32 v28, 31, v28
	v_and_b32_e32 v26, exec_hi, v26
	v_xor_b32_e32 v29, vcc_hi, v28
	v_xor_b32_e32 v28, vcc_lo, v28
	v_and_b32_e32 v26, v26, v29
	v_and_b32_e32 v61, v61, v28
	v_lshlrev_b32_e32 v29, 29, v60
	v_mov_b32_e32 v28, v27
	v_cmp_gt_i64_e32 vcc, 0, v[28:29]
	v_not_b32_e32 v28, v29
	v_ashrrev_i32_e32 v28, 31, v28
	v_xor_b32_e32 v29, vcc_hi, v28
	v_xor_b32_e32 v28, vcc_lo, v28
	v_and_b32_e32 v26, v26, v29
	v_and_b32_e32 v61, v61, v28
	v_lshlrev_b32_e32 v29, 28, v60
	v_mov_b32_e32 v28, v27
	v_cmp_gt_i64_e32 vcc, 0, v[28:29]
	v_not_b32_e32 v28, v29
	v_ashrrev_i32_e32 v28, 31, v28
	v_xor_b32_e32 v29, vcc_hi, v28
	v_xor_b32_e32 v28, vcc_lo, v28
	v_and_b32_e32 v26, v26, v29
	v_and_b32_e32 v61, v61, v28
	v_lshlrev_b32_e32 v29, 27, v60
	v_mov_b32_e32 v28, v27
	v_cmp_gt_i64_e32 vcc, 0, v[28:29]
	v_not_b32_e32 v28, v29
	v_ashrrev_i32_e32 v28, 31, v28
	v_xor_b32_e32 v29, vcc_hi, v28
	v_xor_b32_e32 v28, vcc_lo, v28
	v_and_b32_e32 v26, v26, v29
	v_and_b32_e32 v61, v61, v28
	v_lshlrev_b32_e32 v29, 26, v60
	v_mov_b32_e32 v28, v27
	v_cmp_gt_i64_e32 vcc, 0, v[28:29]
	v_not_b32_e32 v28, v29
	v_ashrrev_i32_e32 v28, 31, v28
	v_xor_b32_e32 v29, vcc_hi, v28
	v_xor_b32_e32 v28, vcc_lo, v28
	v_and_b32_e32 v26, v26, v29
	v_and_b32_e32 v61, v61, v28
	v_lshlrev_b32_e32 v29, 25, v60
	v_mov_b32_e32 v28, v27
	v_cmp_gt_i64_e32 vcc, 0, v[28:29]
	v_not_b32_e32 v28, v29
	v_ashrrev_i32_e32 v28, 31, v28
	v_xor_b32_e32 v29, vcc_hi, v28
	v_xor_b32_e32 v28, vcc_lo, v28
	v_and_b32_e32 v26, v26, v29
	v_lshlrev_b32_e32 v29, 24, v60
	v_and_b32_e32 v61, v61, v28
	v_mov_b32_e32 v28, v27
	v_not_b32_e32 v27, v29
	v_cmp_gt_i64_e32 vcc, 0, v[28:29]
	v_ashrrev_i32_e32 v27, 31, v27
	ds_read_b32 v58, v62 offset:32
	v_xor_b32_e32 v28, vcc_hi, v27
	v_xor_b32_e32 v29, vcc_lo, v27
	v_and_b32_e32 v27, v26, v28
	v_and_b32_e32 v26, v61, v29
	v_mbcnt_lo_u32_b32 v28, v26, 0
	v_mbcnt_hi_u32_b32 v60, v27, v28
	v_cmp_eq_u32_e32 vcc, 0, v60
	v_cmp_ne_u64_e64 s[0:1], 0, v[26:27]
	s_and_b64 s[4:5], s[0:1], vcc
	; wave barrier
	s_and_saveexec_b64 s[0:1], s[4:5]
	s_cbranch_execz .LBB911_123
; %bb.122:
	v_bcnt_u32_b32 v26, v26, 0
	v_bcnt_u32_b32 v26, v27, v26
	s_waitcnt lgkmcnt(0)
	v_add_u32_e32 v26, v58, v26
	ds_write_b32 v62, v26 offset:32
.LBB911_123:
	s_or_b64 exec, exec, s[0:1]
	s_waitcnt vmcnt(1)
	v_lshrrev_b64 v[26:27], s20, v[22:23]
	v_and_b32_e32 v63, s14, v26
	v_lshl_add_u32 v26, v63, 3, v63
	v_add_lshl_u32 v64, v43, v26, 2
	v_and_b32_e32 v26, 1, v63
	v_mov_b32_e32 v27, 0
	v_lshl_add_u64 v[28:29], v[26:27], 0, -1
	v_cmp_ne_u32_e32 vcc, 0, v26
	; wave barrier
	s_nop 1
	v_xor_b32_e32 v28, vcc_lo, v28
	v_xor_b32_e32 v26, vcc_hi, v29
	v_and_b32_e32 v65, exec_lo, v28
	v_lshlrev_b32_e32 v29, 30, v63
	v_mov_b32_e32 v28, v27
	v_cmp_gt_i64_e32 vcc, 0, v[28:29]
	v_not_b32_e32 v28, v29
	v_ashrrev_i32_e32 v28, 31, v28
	v_and_b32_e32 v26, exec_hi, v26
	v_xor_b32_e32 v29, vcc_hi, v28
	v_xor_b32_e32 v28, vcc_lo, v28
	v_and_b32_e32 v26, v26, v29
	v_and_b32_e32 v65, v65, v28
	v_lshlrev_b32_e32 v29, 29, v63
	v_mov_b32_e32 v28, v27
	v_cmp_gt_i64_e32 vcc, 0, v[28:29]
	v_not_b32_e32 v28, v29
	v_ashrrev_i32_e32 v28, 31, v28
	v_xor_b32_e32 v29, vcc_hi, v28
	v_xor_b32_e32 v28, vcc_lo, v28
	v_and_b32_e32 v26, v26, v29
	v_and_b32_e32 v65, v65, v28
	v_lshlrev_b32_e32 v29, 28, v63
	v_mov_b32_e32 v28, v27
	v_cmp_gt_i64_e32 vcc, 0, v[28:29]
	v_not_b32_e32 v28, v29
	v_ashrrev_i32_e32 v28, 31, v28
	;; [unrolled: 9-line block ×6, first 2 shown]
	v_xor_b32_e32 v29, vcc_hi, v28
	v_xor_b32_e32 v28, vcc_lo, v28
	ds_read_b32 v61, v64 offset:32
	v_and_b32_e32 v28, v65, v28
	v_and_b32_e32 v29, v26, v29
	v_mbcnt_lo_u32_b32 v26, v28, 0
	v_mbcnt_hi_u32_b32 v63, v29, v26
	v_cmp_eq_u32_e32 vcc, 0, v63
	v_cmp_ne_u64_e64 s[0:1], 0, v[28:29]
	s_and_b64 s[4:5], s[0:1], vcc
	; wave barrier
	s_and_saveexec_b64 s[0:1], s[4:5]
	s_cbranch_execz .LBB911_125
; %bb.124:
	v_bcnt_u32_b32 v26, v28, 0
	v_bcnt_u32_b32 v26, v29, v26
	s_waitcnt lgkmcnt(0)
	v_add_u32_e32 v26, v61, v26
	ds_write_b32 v64, v26 offset:32
.LBB911_125:
	s_or_b64 exec, exec, s[0:1]
	s_waitcnt vmcnt(0)
	v_lshrrev_b64 v[28:29], s20, v[24:25]
	v_and_b32_e32 v65, s14, v28
	v_lshl_add_u32 v26, v65, 3, v65
	v_add_lshl_u32 v66, v43, v26, 2
	v_and_b32_e32 v26, 1, v65
	v_lshl_add_u64 v[28:29], v[26:27], 0, -1
	v_cmp_ne_u32_e32 vcc, 0, v26
	; wave barrier
	s_nop 1
	v_xor_b32_e32 v28, vcc_lo, v28
	v_xor_b32_e32 v26, vcc_hi, v29
	v_and_b32_e32 v68, exec_lo, v28
	v_lshlrev_b32_e32 v29, 30, v65
	v_mov_b32_e32 v28, v27
	v_cmp_gt_i64_e32 vcc, 0, v[28:29]
	v_not_b32_e32 v28, v29
	v_ashrrev_i32_e32 v28, 31, v28
	v_and_b32_e32 v26, exec_hi, v26
	v_xor_b32_e32 v29, vcc_hi, v28
	v_xor_b32_e32 v28, vcc_lo, v28
	v_and_b32_e32 v26, v26, v29
	v_and_b32_e32 v68, v68, v28
	v_lshlrev_b32_e32 v29, 29, v65
	v_mov_b32_e32 v28, v27
	v_cmp_gt_i64_e32 vcc, 0, v[28:29]
	v_not_b32_e32 v28, v29
	v_ashrrev_i32_e32 v28, 31, v28
	v_xor_b32_e32 v29, vcc_hi, v28
	v_xor_b32_e32 v28, vcc_lo, v28
	v_and_b32_e32 v26, v26, v29
	v_and_b32_e32 v68, v68, v28
	v_lshlrev_b32_e32 v29, 28, v65
	v_mov_b32_e32 v28, v27
	v_cmp_gt_i64_e32 vcc, 0, v[28:29]
	v_not_b32_e32 v28, v29
	v_ashrrev_i32_e32 v28, 31, v28
	;; [unrolled: 9-line block ×5, first 2 shown]
	v_xor_b32_e32 v29, vcc_hi, v28
	v_xor_b32_e32 v28, vcc_lo, v28
	v_and_b32_e32 v26, v26, v29
	v_lshlrev_b32_e32 v29, 24, v65
	v_and_b32_e32 v68, v68, v28
	v_mov_b32_e32 v28, v27
	v_not_b32_e32 v27, v29
	v_cmp_gt_i64_e32 vcc, 0, v[28:29]
	v_ashrrev_i32_e32 v27, 31, v27
	ds_read_b32 v43, v66 offset:32
	v_xor_b32_e32 v28, vcc_hi, v27
	v_xor_b32_e32 v29, vcc_lo, v27
	v_and_b32_e32 v27, v26, v28
	v_and_b32_e32 v26, v68, v29
	v_mbcnt_lo_u32_b32 v28, v26, 0
	v_mbcnt_hi_u32_b32 v65, v27, v28
	v_cmp_eq_u32_e32 vcc, 0, v65
	v_cmp_ne_u64_e64 s[0:1], 0, v[26:27]
	v_add_u32_e32 v67, 32, v31
	s_and_b64 s[4:5], s[0:1], vcc
	; wave barrier
	s_and_saveexec_b64 s[0:1], s[4:5]
	s_cbranch_execz .LBB911_127
; %bb.126:
	v_bcnt_u32_b32 v26, v26, 0
	v_bcnt_u32_b32 v26, v27, v26
	s_waitcnt lgkmcnt(0)
	v_add_u32_e32 v26, v43, v26
	ds_write_b32 v66, v26 offset:32
.LBB911_127:
	s_or_b64 exec, exec, s[0:1]
	; wave barrier
	s_waitcnt lgkmcnt(0)
	s_barrier
	ds_read2_b32 v[28:29], v31 offset0:8 offset1:9
	ds_read2_b32 v[26:27], v67 offset0:2 offset1:3
	ds_read_b32 v68, v67 offset:16
	v_min_u32_e32 v30, 0x1c0, v30
	v_or_b32_e32 v30, 63, v30
	s_waitcnt lgkmcnt(1)
	v_add3_u32 v69, v29, v28, v26
	s_waitcnt lgkmcnt(0)
	v_add3_u32 v68, v69, v27, v68
	v_and_b32_e32 v69, 15, v3
	v_cmp_ne_u32_e32 vcc, 0, v69
	v_mov_b32_dpp v70, v68 row_shr:1 row_mask:0xf bank_mask:0xf
	s_nop 0
	v_cndmask_b32_e32 v70, 0, v70, vcc
	v_add_u32_e32 v68, v70, v68
	v_cmp_lt_u32_e32 vcc, 1, v69
	s_nop 0
	v_mov_b32_dpp v70, v68 row_shr:2 row_mask:0xf bank_mask:0xf
	v_cndmask_b32_e32 v70, 0, v70, vcc
	v_add_u32_e32 v68, v68, v70
	v_cmp_lt_u32_e32 vcc, 3, v69
	s_nop 0
	v_mov_b32_dpp v70, v68 row_shr:4 row_mask:0xf bank_mask:0xf
	;; [unrolled: 5-line block ×3, first 2 shown]
	v_cndmask_b32_e32 v69, 0, v70, vcc
	v_add_u32_e32 v68, v68, v69
	v_bfe_i32 v70, v3, 4, 1
	v_cmp_lt_u32_e32 vcc, 31, v3
	v_mov_b32_dpp v69, v68 row_bcast:15 row_mask:0xf bank_mask:0xf
	v_and_b32_e32 v69, v70, v69
	v_add_u32_e32 v68, v68, v69
	v_lshrrev_b32_e32 v70, 6, v2
	s_nop 0
	v_mov_b32_dpp v69, v68 row_bcast:31 row_mask:0xf bank_mask:0xf
	v_cndmask_b32_e32 v69, 0, v69, vcc
	v_add_u32_e32 v69, v68, v69
	v_cmp_eq_u32_e32 vcc, v30, v2
	s_and_saveexec_b64 s[0:1], vcc
	s_cbranch_execz .LBB911_129
; %bb.128:
	v_lshlrev_b32_e32 v30, 2, v70
	ds_write_b32 v30, v69
.LBB911_129:
	s_or_b64 exec, exec, s[0:1]
	v_cmp_gt_u32_e32 vcc, 8, v2
	v_lshlrev_b32_e32 v68, 2, v2
	s_waitcnt lgkmcnt(0)
	s_barrier
	s_and_saveexec_b64 s[0:1], vcc
	s_cbranch_execz .LBB911_131
; %bb.130:
	ds_read_b32 v30, v68
	v_and_b32_e32 v71, 7, v3
	v_cmp_ne_u32_e32 vcc, 0, v71
	s_waitcnt lgkmcnt(0)
	v_mov_b32_dpp v72, v30 row_shr:1 row_mask:0xf bank_mask:0xf
	v_cndmask_b32_e32 v72, 0, v72, vcc
	v_add_u32_e32 v30, v72, v30
	v_cmp_lt_u32_e32 vcc, 1, v71
	s_nop 0
	v_mov_b32_dpp v72, v30 row_shr:2 row_mask:0xf bank_mask:0xf
	v_cndmask_b32_e32 v72, 0, v72, vcc
	v_add_u32_e32 v30, v30, v72
	v_cmp_lt_u32_e32 vcc, 3, v71
	s_nop 0
	v_mov_b32_dpp v72, v30 row_shr:4 row_mask:0xf bank_mask:0xf
	v_cndmask_b32_e32 v71, 0, v72, vcc
	v_add_u32_e32 v30, v30, v71
	ds_write_b32 v68, v30
.LBB911_131:
	s_or_b64 exec, exec, s[0:1]
	v_cmp_lt_u32_e32 vcc, 63, v2
	v_mov_b32_e32 v30, 0
	s_waitcnt lgkmcnt(0)
	s_barrier
	s_and_saveexec_b64 s[0:1], vcc
	s_cbranch_execz .LBB911_133
; %bb.132:
	v_lshl_add_u32 v30, v70, 2, -4
	ds_read_b32 v30, v30
.LBB911_133:
	s_or_b64 exec, exec, s[0:1]
	v_add_u32_e32 v70, -1, v3
	v_and_b32_e32 v71, 64, v3
	v_cmp_lt_i32_e32 vcc, v70, v71
	s_waitcnt lgkmcnt(0)
	v_add_u32_e32 v69, v30, v69
	s_movk_i32 s0, 0x100
	v_cndmask_b32_e32 v70, v70, v3, vcc
	v_lshlrev_b32_e32 v70, 2, v70
	ds_bpermute_b32 v69, v70, v69
	v_cmp_eq_u32_e32 vcc, 0, v3
	s_waitcnt lgkmcnt(0)
	s_nop 0
	v_cndmask_b32_e32 v3, v69, v30, vcc
	v_cmp_ne_u32_e32 vcc, 0, v2
	s_nop 1
	v_cndmask_b32_e32 v3, 0, v3, vcc
	v_add_u32_e32 v28, v3, v28
	v_add_u32_e32 v29, v28, v29
	;; [unrolled: 1-line block ×4, first 2 shown]
	ds_write2_b32 v31, v3, v28 offset0:8 offset1:9
	ds_write2_b32 v67, v29, v26 offset0:2 offset1:3
	ds_write_b32 v67, v27 offset:16
	s_waitcnt lgkmcnt(0)
	s_barrier
	ds_read_b32 v74, v36 offset:32
	ds_read_b32 v67, v37 offset:32
	;; [unrolled: 1-line block ×12, first 2 shown]
	v_cmp_gt_u32_e32 vcc, s0, v2
                                        ; implicit-def: $vgpr3
                                        ; implicit-def: $vgpr36
	s_and_saveexec_b64 s[4:5], vcc
	s_cbranch_execz .LBB911_137
; %bb.134:
	v_mul_u32_u24_e32 v3, 9, v2
	v_lshlrev_b32_e32 v27, 2, v3
	ds_read_b32 v3, v27 offset:32
	s_movk_i32 s0, 0xff
	v_cmp_ne_u32_e64 s[0:1], s0, v2
	v_mov_b32_e32 v26, 0x1800
	s_and_saveexec_b64 s[6:7], s[0:1]
	s_cbranch_execz .LBB911_136
; %bb.135:
	ds_read_b32 v26, v27 offset:68
.LBB911_136:
	s_or_b64 exec, exec, s[6:7]
	s_waitcnt lgkmcnt(0)
	v_sub_u32_e32 v36, v26, v3
.LBB911_137:
	s_or_b64 exec, exec, s[4:5]
	s_waitcnt lgkmcnt(0)
	s_barrier
	s_and_saveexec_b64 s[4:5], vcc
	s_cbranch_execz .LBB911_147
; %bb.138:
	v_lshl_or_b32 v28, s2, 8, v2
	v_mov_b32_e32 v29, 0
	v_lshl_add_u64 v[26:27], v[28:29], 2, s[28:29]
	v_or_b32_e32 v28, 2.0, v36
	s_mov_b64 s[6:7], 0
	s_brev_b32 s15, 1
	s_mov_b32 s21, s2
	v_mov_b32_e32 v47, 0
	global_store_dword v[26:27], v28, off sc1
                                        ; implicit-def: $sgpr0_sgpr1
	s_branch .LBB911_141
.LBB911_139:                            ;   in Loop: Header=BB911_141 Depth=1
	s_or_b64 exec, exec, s[12:13]
.LBB911_140:                            ;   in Loop: Header=BB911_141 Depth=1
	s_or_b64 exec, exec, s[10:11]
	v_and_b32_e32 v30, 0x3fffffff, v53
	v_add_u32_e32 v47, v30, v47
	v_cmp_eq_u32_e64 s[0:1], s15, v28
	s_and_b64 s[10:11], exec, s[0:1]
	s_or_b64 s[6:7], s[10:11], s[6:7]
	s_andn2_b64 exec, exec, s[6:7]
	s_cbranch_execz .LBB911_146
.LBB911_141:                            ; =>This Loop Header: Depth=1
                                        ;     Child Loop BB911_144 Depth 2
	s_or_b64 s[0:1], s[0:1], exec
	s_cmp_eq_u32 s21, 0
	s_cbranch_scc1 .LBB911_145
; %bb.142:                              ;   in Loop: Header=BB911_141 Depth=1
	s_add_i32 s21, s21, -1
	v_lshl_or_b32 v28, s21, 8, v2
	v_lshl_add_u64 v[30:31], v[28:29], 2, s[28:29]
	global_load_dword v53, v[30:31], off sc1
	s_waitcnt vmcnt(0)
	v_and_b32_e32 v28, -2.0, v53
	v_cmp_eq_u32_e64 s[0:1], 0, v28
	s_and_saveexec_b64 s[10:11], s[0:1]
	s_cbranch_execz .LBB911_140
; %bb.143:                              ;   in Loop: Header=BB911_141 Depth=1
	s_mov_b64 s[12:13], 0
.LBB911_144:                            ;   Parent Loop BB911_141 Depth=1
                                        ; =>  This Inner Loop Header: Depth=2
	global_load_dword v53, v[30:31], off sc1
	s_waitcnt vmcnt(0)
	v_and_b32_e32 v28, -2.0, v53
	v_cmp_ne_u32_e64 s[0:1], 0, v28
	s_or_b64 s[12:13], s[0:1], s[12:13]
	s_andn2_b64 exec, exec, s[12:13]
	s_cbranch_execnz .LBB911_144
	s_branch .LBB911_139
.LBB911_145:                            ;   in Loop: Header=BB911_141 Depth=1
                                        ; implicit-def: $sgpr21
	s_and_b64 s[10:11], exec, s[0:1]
	s_or_b64 s[6:7], s[10:11], s[6:7]
	s_andn2_b64 exec, exec, s[6:7]
	s_cbranch_execnz .LBB911_141
.LBB911_146:
	s_or_b64 exec, exec, s[6:7]
	v_add_u32_e32 v28, v47, v36
	v_or_b32_e32 v28, 0x80000000, v28
	global_store_dword v[26:27], v28, off sc1
	global_load_dword v26, v68, s[16:17]
	v_sub_u32_e32 v27, v47, v3
	s_waitcnt vmcnt(0)
	v_add_u32_e32 v26, v27, v26
	ds_write_b32 v68, v26
.LBB911_147:
	s_or_b64 exec, exec, s[4:5]
	v_add_u32_e32 v28, v74, v33
	v_add3_u32 v26, v34, v32, v67
	v_add3_u32 v27, v38, v35, v69
	;; [unrolled: 1-line block ×11, first 2 shown]
	v_lshlrev_b32_e32 v29, 3, v2
	v_mov_b32_e32 v75, 0x400
	s_movk_i32 s6, 0x400
	v_add_u32_e32 v30, 0x400, v29
	v_lshl_add_u32 v31, v31, 3, v75
	v_add3_u32 v33, v65, v37, v43
	v_lshl_add_u32 v37, v74, 3, v75
	v_add3_u32 v40, v63, v40, v61
	v_lshl_add_u32 v43, v68, 3, v75
	v_add3_u32 v44, v60, v44, v58
	v_lshl_add_u32 v47, v47, 3, v75
	v_add3_u32 v50, v57, v50, v55
	v_lshl_add_u32 v53, v53, 3, v75
	v_add3_u32 v52, v54, v56, v52
	v_lshl_add_u32 v54, v66, 3, v75
	v_add3_u32 v49, v51, v73, v49
	v_lshl_add_u32 v51, v64, 3, v75
	v_add3_u32 v46, v48, v72, v46
	v_lshl_add_u32 v48, v62, 3, v75
	v_add3_u32 v42, v45, v71, v42
	v_lshl_add_u32 v45, v59, 3, v75
	v_add3_u32 v39, v41, v70, v39
	v_lshl_add_u32 v41, v27, 3, v75
	v_add3_u32 v35, v38, v69, v35
	v_lshl_add_u32 v38, v26, 3, v75
	v_add3_u32 v32, v34, v67, v32
	v_lshl_add_u32 v34, v28, 3, v75
	s_mov_b32 s7, 0
	s_movk_i32 s10, 0x200
	v_mov_b32_e32 v27, 0
	v_mov_b32_e32 v55, v2
	s_mov_b32 s11, 0
	s_branch .LBB911_149
.LBB911_148:                            ;   in Loop: Header=BB911_149 Depth=1
	s_or_b64 exec, exec, s[4:5]
	s_waitcnt lgkmcnt(0)
	s_barrier
	ds_read_b64 v[56:57], v29 offset:1024
	ds_read_b64 v[58:59], v30 offset:4096
	s_addk_i32 s11, 0xe000
	s_addk_i32 s7, 0xfc00
	s_cmp_eq_u32 s11, 0xffff4000
	s_waitcnt lgkmcnt(1)
	v_lshrrev_b64 v[60:61], s20, v[56:57]
	v_and_b32_e32 v26, s14, v60
	s_waitcnt lgkmcnt(0)
	v_lshrrev_b64 v[60:61], s20, v[58:59]
	v_lshlrev_b32_e32 v26, 2, v26
	v_and_b32_e32 v60, s14, v60
	ds_read_b32 v26, v26
	v_lshlrev_b32_e32 v60, 2, v60
	ds_read_b32 v62, v60
	s_waitcnt lgkmcnt(1)
	v_add_u32_e32 v26, v55, v26
	v_lshl_add_u64 v[60:61], v[26:27], 3, s[26:27]
	s_waitcnt lgkmcnt(0)
	v_add3_u32 v26, v55, v62, s10
	global_store_dwordx2 v[60:61], v[56:57], off
	v_lshl_add_u64 v[56:57], v[26:27], 3, s[26:27]
	v_add_u32_e32 v55, 0x400, v55
	global_store_dwordx2 v[56:57], v[58:59], off
	s_barrier
	s_cbranch_scc1 .LBB911_173
.LBB911_149:                            ; =>This Inner Loop Header: Depth=1
	v_add_u32_e32 v26, s7, v28
	v_cmp_gt_u32_e64 s[0:1], s6, v26
	s_and_saveexec_b64 s[4:5], s[0:1]
	s_cbranch_execz .LBB911_151
; %bb.150:                              ;   in Loop: Header=BB911_149 Depth=1
	v_add_u32_e32 v26, s11, v34
	ds_write_b64 v26, v[4:5]
.LBB911_151:                            ;   in Loop: Header=BB911_149 Depth=1
	s_or_b64 exec, exec, s[4:5]
	v_add_u32_e32 v26, s7, v32
	v_cmp_gt_u32_e64 s[0:1], s6, v26
	s_and_saveexec_b64 s[4:5], s[0:1]
	s_cbranch_execz .LBB911_153
; %bb.152:                              ;   in Loop: Header=BB911_149 Depth=1
	v_add_u32_e32 v26, s11, v38
	ds_write_b64 v26, v[0:1]
.LBB911_153:                            ;   in Loop: Header=BB911_149 Depth=1
	s_or_b64 exec, exec, s[4:5]
	v_add_u32_e32 v26, s7, v35
	v_cmp_gt_u32_e64 s[0:1], s6, v26
	s_and_saveexec_b64 s[4:5], s[0:1]
	s_cbranch_execz .LBB911_155
; %bb.154:                              ;   in Loop: Header=BB911_149 Depth=1
	v_add_u32_e32 v26, s11, v41
	ds_write_b64 v26, v[6:7]
.LBB911_155:                            ;   in Loop: Header=BB911_149 Depth=1
	s_or_b64 exec, exec, s[4:5]
	v_add_u32_e32 v26, s7, v39
	v_cmp_gt_u32_e64 s[0:1], s6, v26
	s_and_saveexec_b64 s[4:5], s[0:1]
	s_cbranch_execz .LBB911_157
; %bb.156:                              ;   in Loop: Header=BB911_149 Depth=1
	v_add_u32_e32 v26, s11, v45
	ds_write_b64 v26, v[8:9]
.LBB911_157:                            ;   in Loop: Header=BB911_149 Depth=1
	s_or_b64 exec, exec, s[4:5]
	v_add_u32_e32 v26, s7, v42
	v_cmp_gt_u32_e64 s[0:1], s6, v26
	s_and_saveexec_b64 s[4:5], s[0:1]
	s_cbranch_execz .LBB911_159
; %bb.158:                              ;   in Loop: Header=BB911_149 Depth=1
	v_add_u32_e32 v26, s11, v48
	ds_write_b64 v26, v[10:11]
.LBB911_159:                            ;   in Loop: Header=BB911_149 Depth=1
	s_or_b64 exec, exec, s[4:5]
	v_add_u32_e32 v26, s7, v46
	v_cmp_gt_u32_e64 s[0:1], s6, v26
	s_and_saveexec_b64 s[4:5], s[0:1]
	s_cbranch_execz .LBB911_161
; %bb.160:                              ;   in Loop: Header=BB911_149 Depth=1
	v_add_u32_e32 v26, s11, v51
	ds_write_b64 v26, v[12:13]
.LBB911_161:                            ;   in Loop: Header=BB911_149 Depth=1
	s_or_b64 exec, exec, s[4:5]
	v_add_u32_e32 v26, s7, v49
	v_cmp_gt_u32_e64 s[0:1], s6, v26
	s_and_saveexec_b64 s[4:5], s[0:1]
	s_cbranch_execz .LBB911_163
; %bb.162:                              ;   in Loop: Header=BB911_149 Depth=1
	v_add_u32_e32 v26, s11, v54
	ds_write_b64 v26, v[14:15]
.LBB911_163:                            ;   in Loop: Header=BB911_149 Depth=1
	s_or_b64 exec, exec, s[4:5]
	v_add_u32_e32 v26, s7, v52
	v_cmp_gt_u32_e64 s[0:1], s6, v26
	s_and_saveexec_b64 s[4:5], s[0:1]
	s_cbranch_execz .LBB911_165
; %bb.164:                              ;   in Loop: Header=BB911_149 Depth=1
	v_add_u32_e32 v26, s11, v53
	ds_write_b64 v26, v[16:17]
.LBB911_165:                            ;   in Loop: Header=BB911_149 Depth=1
	s_or_b64 exec, exec, s[4:5]
	v_add_u32_e32 v26, s7, v50
	v_cmp_gt_u32_e64 s[0:1], s6, v26
	s_and_saveexec_b64 s[4:5], s[0:1]
	s_cbranch_execz .LBB911_167
; %bb.166:                              ;   in Loop: Header=BB911_149 Depth=1
	v_add_u32_e32 v26, s11, v47
	ds_write_b64 v26, v[18:19]
.LBB911_167:                            ;   in Loop: Header=BB911_149 Depth=1
	s_or_b64 exec, exec, s[4:5]
	v_add_u32_e32 v26, s7, v44
	v_cmp_gt_u32_e64 s[0:1], s6, v26
	s_and_saveexec_b64 s[4:5], s[0:1]
	s_cbranch_execz .LBB911_169
; %bb.168:                              ;   in Loop: Header=BB911_149 Depth=1
	v_add_u32_e32 v26, s11, v43
	ds_write_b64 v26, v[20:21]
.LBB911_169:                            ;   in Loop: Header=BB911_149 Depth=1
	s_or_b64 exec, exec, s[4:5]
	v_add_u32_e32 v26, s7, v40
	v_cmp_gt_u32_e64 s[0:1], s6, v26
	s_and_saveexec_b64 s[4:5], s[0:1]
	s_cbranch_execz .LBB911_171
; %bb.170:                              ;   in Loop: Header=BB911_149 Depth=1
	v_add_u32_e32 v26, s11, v37
	ds_write_b64 v26, v[22:23]
.LBB911_171:                            ;   in Loop: Header=BB911_149 Depth=1
	s_or_b64 exec, exec, s[4:5]
	v_add_u32_e32 v26, s7, v33
	v_cmp_gt_u32_e64 s[0:1], s6, v26
	s_and_saveexec_b64 s[4:5], s[0:1]
	s_cbranch_execz .LBB911_148
; %bb.172:                              ;   in Loop: Header=BB911_149 Depth=1
	v_add_u32_e32 v26, s11, v31
	ds_write_b64 v26, v[24:25]
	s_branch .LBB911_148
.LBB911_173:
	s_add_i32 s3, s3, -1
	s_cmp_eq_u32 s3, s2
	s_cselect_b64 s[0:1], -1, 0
	s_and_b64 s[2:3], vcc, s[0:1]
                                        ; implicit-def: $vgpr4
	s_and_saveexec_b64 s[0:1], s[2:3]
; %bb.174:
	v_add_u32_e32 v4, v3, v36
	s_or_b64 s[8:9], s[8:9], exec
; %bb.175:
	s_or_b64 exec, exec, s[0:1]
.LBB911_176:
	s_and_saveexec_b64 s[0:1], s[8:9]
	s_cbranch_execnz .LBB911_178
; %bb.177:
	s_endpgm
.LBB911_178:
	v_lshlrev_b32_e32 v0, 2, v2
	ds_read_b32 v5, v0
	v_mov_b32_e32 v0, s18
	v_mov_b32_e32 v1, s19
	;; [unrolled: 1-line block ×3, first 2 shown]
	v_lshl_add_u64 v[0:1], v[2:3], 2, v[0:1]
	s_waitcnt lgkmcnt(0)
	v_add_u32_e32 v2, v5, v4
	global_store_dword v[0:1], v2, off
	s_endpgm
	.section	.rodata,"a",@progbits
	.p2align	6, 0x0
	.amdhsa_kernel _ZN7rocprim17ROCPRIM_400000_NS6detail17trampoline_kernelINS0_14default_configENS1_35radix_sort_onesweep_config_selectorIyNS0_10empty_typeEEEZZNS1_29radix_sort_onesweep_iterationIS3_Lb0EN6thrust23THRUST_200600_302600_NS6detail15normal_iteratorINS9_10device_ptrIyEEEESE_PS5_SF_jNS0_19identity_decomposerENS1_16block_id_wrapperIjLb0EEEEE10hipError_tT1_PNSt15iterator_traitsISK_E10value_typeET2_T3_PNSL_ISQ_E10value_typeET4_T5_PSV_SW_PNS1_23onesweep_lookback_stateEbbT6_jjT7_P12ihipStream_tbENKUlT_T0_SK_SP_E_clIPySE_SF_SF_EEDaS13_S14_SK_SP_EUlS13_E_NS1_11comp_targetILNS1_3genE5ELNS1_11target_archE942ELNS1_3gpuE9ELNS1_3repE0EEENS1_47radix_sort_onesweep_sort_config_static_selectorELNS0_4arch9wavefront6targetE1EEEvSK_
		.amdhsa_group_segment_fixed_size 10280
		.amdhsa_private_segment_fixed_size 0
		.amdhsa_kernarg_size 344
		.amdhsa_user_sgpr_count 2
		.amdhsa_user_sgpr_dispatch_ptr 0
		.amdhsa_user_sgpr_queue_ptr 0
		.amdhsa_user_sgpr_kernarg_segment_ptr 1
		.amdhsa_user_sgpr_dispatch_id 0
		.amdhsa_user_sgpr_kernarg_preload_length 0
		.amdhsa_user_sgpr_kernarg_preload_offset 0
		.amdhsa_user_sgpr_private_segment_size 0
		.amdhsa_uses_dynamic_stack 0
		.amdhsa_enable_private_segment 0
		.amdhsa_system_sgpr_workgroup_id_x 1
		.amdhsa_system_sgpr_workgroup_id_y 0
		.amdhsa_system_sgpr_workgroup_id_z 0
		.amdhsa_system_sgpr_workgroup_info 0
		.amdhsa_system_vgpr_workitem_id 2
		.amdhsa_next_free_vgpr 78
		.amdhsa_next_free_sgpr 32
		.amdhsa_accum_offset 80
		.amdhsa_reserve_vcc 1
		.amdhsa_float_round_mode_32 0
		.amdhsa_float_round_mode_16_64 0
		.amdhsa_float_denorm_mode_32 3
		.amdhsa_float_denorm_mode_16_64 3
		.amdhsa_dx10_clamp 1
		.amdhsa_ieee_mode 1
		.amdhsa_fp16_overflow 0
		.amdhsa_tg_split 0
		.amdhsa_exception_fp_ieee_invalid_op 0
		.amdhsa_exception_fp_denorm_src 0
		.amdhsa_exception_fp_ieee_div_zero 0
		.amdhsa_exception_fp_ieee_overflow 0
		.amdhsa_exception_fp_ieee_underflow 0
		.amdhsa_exception_fp_ieee_inexact 0
		.amdhsa_exception_int_div_zero 0
	.end_amdhsa_kernel
	.section	.text._ZN7rocprim17ROCPRIM_400000_NS6detail17trampoline_kernelINS0_14default_configENS1_35radix_sort_onesweep_config_selectorIyNS0_10empty_typeEEEZZNS1_29radix_sort_onesweep_iterationIS3_Lb0EN6thrust23THRUST_200600_302600_NS6detail15normal_iteratorINS9_10device_ptrIyEEEESE_PS5_SF_jNS0_19identity_decomposerENS1_16block_id_wrapperIjLb0EEEEE10hipError_tT1_PNSt15iterator_traitsISK_E10value_typeET2_T3_PNSL_ISQ_E10value_typeET4_T5_PSV_SW_PNS1_23onesweep_lookback_stateEbbT6_jjT7_P12ihipStream_tbENKUlT_T0_SK_SP_E_clIPySE_SF_SF_EEDaS13_S14_SK_SP_EUlS13_E_NS1_11comp_targetILNS1_3genE5ELNS1_11target_archE942ELNS1_3gpuE9ELNS1_3repE0EEENS1_47radix_sort_onesweep_sort_config_static_selectorELNS0_4arch9wavefront6targetE1EEEvSK_,"axG",@progbits,_ZN7rocprim17ROCPRIM_400000_NS6detail17trampoline_kernelINS0_14default_configENS1_35radix_sort_onesweep_config_selectorIyNS0_10empty_typeEEEZZNS1_29radix_sort_onesweep_iterationIS3_Lb0EN6thrust23THRUST_200600_302600_NS6detail15normal_iteratorINS9_10device_ptrIyEEEESE_PS5_SF_jNS0_19identity_decomposerENS1_16block_id_wrapperIjLb0EEEEE10hipError_tT1_PNSt15iterator_traitsISK_E10value_typeET2_T3_PNSL_ISQ_E10value_typeET4_T5_PSV_SW_PNS1_23onesweep_lookback_stateEbbT6_jjT7_P12ihipStream_tbENKUlT_T0_SK_SP_E_clIPySE_SF_SF_EEDaS13_S14_SK_SP_EUlS13_E_NS1_11comp_targetILNS1_3genE5ELNS1_11target_archE942ELNS1_3gpuE9ELNS1_3repE0EEENS1_47radix_sort_onesweep_sort_config_static_selectorELNS0_4arch9wavefront6targetE1EEEvSK_,comdat
.Lfunc_end911:
	.size	_ZN7rocprim17ROCPRIM_400000_NS6detail17trampoline_kernelINS0_14default_configENS1_35radix_sort_onesweep_config_selectorIyNS0_10empty_typeEEEZZNS1_29radix_sort_onesweep_iterationIS3_Lb0EN6thrust23THRUST_200600_302600_NS6detail15normal_iteratorINS9_10device_ptrIyEEEESE_PS5_SF_jNS0_19identity_decomposerENS1_16block_id_wrapperIjLb0EEEEE10hipError_tT1_PNSt15iterator_traitsISK_E10value_typeET2_T3_PNSL_ISQ_E10value_typeET4_T5_PSV_SW_PNS1_23onesweep_lookback_stateEbbT6_jjT7_P12ihipStream_tbENKUlT_T0_SK_SP_E_clIPySE_SF_SF_EEDaS13_S14_SK_SP_EUlS13_E_NS1_11comp_targetILNS1_3genE5ELNS1_11target_archE942ELNS1_3gpuE9ELNS1_3repE0EEENS1_47radix_sort_onesweep_sort_config_static_selectorELNS0_4arch9wavefront6targetE1EEEvSK_, .Lfunc_end911-_ZN7rocprim17ROCPRIM_400000_NS6detail17trampoline_kernelINS0_14default_configENS1_35radix_sort_onesweep_config_selectorIyNS0_10empty_typeEEEZZNS1_29radix_sort_onesweep_iterationIS3_Lb0EN6thrust23THRUST_200600_302600_NS6detail15normal_iteratorINS9_10device_ptrIyEEEESE_PS5_SF_jNS0_19identity_decomposerENS1_16block_id_wrapperIjLb0EEEEE10hipError_tT1_PNSt15iterator_traitsISK_E10value_typeET2_T3_PNSL_ISQ_E10value_typeET4_T5_PSV_SW_PNS1_23onesweep_lookback_stateEbbT6_jjT7_P12ihipStream_tbENKUlT_T0_SK_SP_E_clIPySE_SF_SF_EEDaS13_S14_SK_SP_EUlS13_E_NS1_11comp_targetILNS1_3genE5ELNS1_11target_archE942ELNS1_3gpuE9ELNS1_3repE0EEENS1_47radix_sort_onesweep_sort_config_static_selectorELNS0_4arch9wavefront6targetE1EEEvSK_
                                        ; -- End function
	.section	.AMDGPU.csdata,"",@progbits
; Kernel info:
; codeLenInByte = 14888
; NumSgprs: 38
; NumVgprs: 78
; NumAgprs: 0
; TotalNumVgprs: 78
; ScratchSize: 0
; MemoryBound: 0
; FloatMode: 240
; IeeeMode: 1
; LDSByteSize: 10280 bytes/workgroup (compile time only)
; SGPRBlocks: 4
; VGPRBlocks: 9
; NumSGPRsForWavesPerEU: 38
; NumVGPRsForWavesPerEU: 78
; AccumOffset: 80
; Occupancy: 6
; WaveLimiterHint : 1
; COMPUTE_PGM_RSRC2:SCRATCH_EN: 0
; COMPUTE_PGM_RSRC2:USER_SGPR: 2
; COMPUTE_PGM_RSRC2:TRAP_HANDLER: 0
; COMPUTE_PGM_RSRC2:TGID_X_EN: 1
; COMPUTE_PGM_RSRC2:TGID_Y_EN: 0
; COMPUTE_PGM_RSRC2:TGID_Z_EN: 0
; COMPUTE_PGM_RSRC2:TIDIG_COMP_CNT: 2
; COMPUTE_PGM_RSRC3_GFX90A:ACCUM_OFFSET: 19
; COMPUTE_PGM_RSRC3_GFX90A:TG_SPLIT: 0
	.section	.text._ZN7rocprim17ROCPRIM_400000_NS6detail17trampoline_kernelINS0_14default_configENS1_35radix_sort_onesweep_config_selectorIyNS0_10empty_typeEEEZZNS1_29radix_sort_onesweep_iterationIS3_Lb0EN6thrust23THRUST_200600_302600_NS6detail15normal_iteratorINS9_10device_ptrIyEEEESE_PS5_SF_jNS0_19identity_decomposerENS1_16block_id_wrapperIjLb0EEEEE10hipError_tT1_PNSt15iterator_traitsISK_E10value_typeET2_T3_PNSL_ISQ_E10value_typeET4_T5_PSV_SW_PNS1_23onesweep_lookback_stateEbbT6_jjT7_P12ihipStream_tbENKUlT_T0_SK_SP_E_clIPySE_SF_SF_EEDaS13_S14_SK_SP_EUlS13_E_NS1_11comp_targetILNS1_3genE2ELNS1_11target_archE906ELNS1_3gpuE6ELNS1_3repE0EEENS1_47radix_sort_onesweep_sort_config_static_selectorELNS0_4arch9wavefront6targetE1EEEvSK_,"axG",@progbits,_ZN7rocprim17ROCPRIM_400000_NS6detail17trampoline_kernelINS0_14default_configENS1_35radix_sort_onesweep_config_selectorIyNS0_10empty_typeEEEZZNS1_29radix_sort_onesweep_iterationIS3_Lb0EN6thrust23THRUST_200600_302600_NS6detail15normal_iteratorINS9_10device_ptrIyEEEESE_PS5_SF_jNS0_19identity_decomposerENS1_16block_id_wrapperIjLb0EEEEE10hipError_tT1_PNSt15iterator_traitsISK_E10value_typeET2_T3_PNSL_ISQ_E10value_typeET4_T5_PSV_SW_PNS1_23onesweep_lookback_stateEbbT6_jjT7_P12ihipStream_tbENKUlT_T0_SK_SP_E_clIPySE_SF_SF_EEDaS13_S14_SK_SP_EUlS13_E_NS1_11comp_targetILNS1_3genE2ELNS1_11target_archE906ELNS1_3gpuE6ELNS1_3repE0EEENS1_47radix_sort_onesweep_sort_config_static_selectorELNS0_4arch9wavefront6targetE1EEEvSK_,comdat
	.protected	_ZN7rocprim17ROCPRIM_400000_NS6detail17trampoline_kernelINS0_14default_configENS1_35radix_sort_onesweep_config_selectorIyNS0_10empty_typeEEEZZNS1_29radix_sort_onesweep_iterationIS3_Lb0EN6thrust23THRUST_200600_302600_NS6detail15normal_iteratorINS9_10device_ptrIyEEEESE_PS5_SF_jNS0_19identity_decomposerENS1_16block_id_wrapperIjLb0EEEEE10hipError_tT1_PNSt15iterator_traitsISK_E10value_typeET2_T3_PNSL_ISQ_E10value_typeET4_T5_PSV_SW_PNS1_23onesweep_lookback_stateEbbT6_jjT7_P12ihipStream_tbENKUlT_T0_SK_SP_E_clIPySE_SF_SF_EEDaS13_S14_SK_SP_EUlS13_E_NS1_11comp_targetILNS1_3genE2ELNS1_11target_archE906ELNS1_3gpuE6ELNS1_3repE0EEENS1_47radix_sort_onesweep_sort_config_static_selectorELNS0_4arch9wavefront6targetE1EEEvSK_ ; -- Begin function _ZN7rocprim17ROCPRIM_400000_NS6detail17trampoline_kernelINS0_14default_configENS1_35radix_sort_onesweep_config_selectorIyNS0_10empty_typeEEEZZNS1_29radix_sort_onesweep_iterationIS3_Lb0EN6thrust23THRUST_200600_302600_NS6detail15normal_iteratorINS9_10device_ptrIyEEEESE_PS5_SF_jNS0_19identity_decomposerENS1_16block_id_wrapperIjLb0EEEEE10hipError_tT1_PNSt15iterator_traitsISK_E10value_typeET2_T3_PNSL_ISQ_E10value_typeET4_T5_PSV_SW_PNS1_23onesweep_lookback_stateEbbT6_jjT7_P12ihipStream_tbENKUlT_T0_SK_SP_E_clIPySE_SF_SF_EEDaS13_S14_SK_SP_EUlS13_E_NS1_11comp_targetILNS1_3genE2ELNS1_11target_archE906ELNS1_3gpuE6ELNS1_3repE0EEENS1_47radix_sort_onesweep_sort_config_static_selectorELNS0_4arch9wavefront6targetE1EEEvSK_
	.globl	_ZN7rocprim17ROCPRIM_400000_NS6detail17trampoline_kernelINS0_14default_configENS1_35radix_sort_onesweep_config_selectorIyNS0_10empty_typeEEEZZNS1_29radix_sort_onesweep_iterationIS3_Lb0EN6thrust23THRUST_200600_302600_NS6detail15normal_iteratorINS9_10device_ptrIyEEEESE_PS5_SF_jNS0_19identity_decomposerENS1_16block_id_wrapperIjLb0EEEEE10hipError_tT1_PNSt15iterator_traitsISK_E10value_typeET2_T3_PNSL_ISQ_E10value_typeET4_T5_PSV_SW_PNS1_23onesweep_lookback_stateEbbT6_jjT7_P12ihipStream_tbENKUlT_T0_SK_SP_E_clIPySE_SF_SF_EEDaS13_S14_SK_SP_EUlS13_E_NS1_11comp_targetILNS1_3genE2ELNS1_11target_archE906ELNS1_3gpuE6ELNS1_3repE0EEENS1_47radix_sort_onesweep_sort_config_static_selectorELNS0_4arch9wavefront6targetE1EEEvSK_
	.p2align	8
	.type	_ZN7rocprim17ROCPRIM_400000_NS6detail17trampoline_kernelINS0_14default_configENS1_35radix_sort_onesweep_config_selectorIyNS0_10empty_typeEEEZZNS1_29radix_sort_onesweep_iterationIS3_Lb0EN6thrust23THRUST_200600_302600_NS6detail15normal_iteratorINS9_10device_ptrIyEEEESE_PS5_SF_jNS0_19identity_decomposerENS1_16block_id_wrapperIjLb0EEEEE10hipError_tT1_PNSt15iterator_traitsISK_E10value_typeET2_T3_PNSL_ISQ_E10value_typeET4_T5_PSV_SW_PNS1_23onesweep_lookback_stateEbbT6_jjT7_P12ihipStream_tbENKUlT_T0_SK_SP_E_clIPySE_SF_SF_EEDaS13_S14_SK_SP_EUlS13_E_NS1_11comp_targetILNS1_3genE2ELNS1_11target_archE906ELNS1_3gpuE6ELNS1_3repE0EEENS1_47radix_sort_onesweep_sort_config_static_selectorELNS0_4arch9wavefront6targetE1EEEvSK_,@function
_ZN7rocprim17ROCPRIM_400000_NS6detail17trampoline_kernelINS0_14default_configENS1_35radix_sort_onesweep_config_selectorIyNS0_10empty_typeEEEZZNS1_29radix_sort_onesweep_iterationIS3_Lb0EN6thrust23THRUST_200600_302600_NS6detail15normal_iteratorINS9_10device_ptrIyEEEESE_PS5_SF_jNS0_19identity_decomposerENS1_16block_id_wrapperIjLb0EEEEE10hipError_tT1_PNSt15iterator_traitsISK_E10value_typeET2_T3_PNSL_ISQ_E10value_typeET4_T5_PSV_SW_PNS1_23onesweep_lookback_stateEbbT6_jjT7_P12ihipStream_tbENKUlT_T0_SK_SP_E_clIPySE_SF_SF_EEDaS13_S14_SK_SP_EUlS13_E_NS1_11comp_targetILNS1_3genE2ELNS1_11target_archE906ELNS1_3gpuE6ELNS1_3repE0EEENS1_47radix_sort_onesweep_sort_config_static_selectorELNS0_4arch9wavefront6targetE1EEEvSK_: ; @_ZN7rocprim17ROCPRIM_400000_NS6detail17trampoline_kernelINS0_14default_configENS1_35radix_sort_onesweep_config_selectorIyNS0_10empty_typeEEEZZNS1_29radix_sort_onesweep_iterationIS3_Lb0EN6thrust23THRUST_200600_302600_NS6detail15normal_iteratorINS9_10device_ptrIyEEEESE_PS5_SF_jNS0_19identity_decomposerENS1_16block_id_wrapperIjLb0EEEEE10hipError_tT1_PNSt15iterator_traitsISK_E10value_typeET2_T3_PNSL_ISQ_E10value_typeET4_T5_PSV_SW_PNS1_23onesweep_lookback_stateEbbT6_jjT7_P12ihipStream_tbENKUlT_T0_SK_SP_E_clIPySE_SF_SF_EEDaS13_S14_SK_SP_EUlS13_E_NS1_11comp_targetILNS1_3genE2ELNS1_11target_archE906ELNS1_3gpuE6ELNS1_3repE0EEENS1_47radix_sort_onesweep_sort_config_static_selectorELNS0_4arch9wavefront6targetE1EEEvSK_
; %bb.0:
	.section	.rodata,"a",@progbits
	.p2align	6, 0x0
	.amdhsa_kernel _ZN7rocprim17ROCPRIM_400000_NS6detail17trampoline_kernelINS0_14default_configENS1_35radix_sort_onesweep_config_selectorIyNS0_10empty_typeEEEZZNS1_29radix_sort_onesweep_iterationIS3_Lb0EN6thrust23THRUST_200600_302600_NS6detail15normal_iteratorINS9_10device_ptrIyEEEESE_PS5_SF_jNS0_19identity_decomposerENS1_16block_id_wrapperIjLb0EEEEE10hipError_tT1_PNSt15iterator_traitsISK_E10value_typeET2_T3_PNSL_ISQ_E10value_typeET4_T5_PSV_SW_PNS1_23onesweep_lookback_stateEbbT6_jjT7_P12ihipStream_tbENKUlT_T0_SK_SP_E_clIPySE_SF_SF_EEDaS13_S14_SK_SP_EUlS13_E_NS1_11comp_targetILNS1_3genE2ELNS1_11target_archE906ELNS1_3gpuE6ELNS1_3repE0EEENS1_47radix_sort_onesweep_sort_config_static_selectorELNS0_4arch9wavefront6targetE1EEEvSK_
		.amdhsa_group_segment_fixed_size 0
		.amdhsa_private_segment_fixed_size 0
		.amdhsa_kernarg_size 88
		.amdhsa_user_sgpr_count 2
		.amdhsa_user_sgpr_dispatch_ptr 0
		.amdhsa_user_sgpr_queue_ptr 0
		.amdhsa_user_sgpr_kernarg_segment_ptr 1
		.amdhsa_user_sgpr_dispatch_id 0
		.amdhsa_user_sgpr_kernarg_preload_length 0
		.amdhsa_user_sgpr_kernarg_preload_offset 0
		.amdhsa_user_sgpr_private_segment_size 0
		.amdhsa_uses_dynamic_stack 0
		.amdhsa_enable_private_segment 0
		.amdhsa_system_sgpr_workgroup_id_x 1
		.amdhsa_system_sgpr_workgroup_id_y 0
		.amdhsa_system_sgpr_workgroup_id_z 0
		.amdhsa_system_sgpr_workgroup_info 0
		.amdhsa_system_vgpr_workitem_id 0
		.amdhsa_next_free_vgpr 1
		.amdhsa_next_free_sgpr 0
		.amdhsa_accum_offset 4
		.amdhsa_reserve_vcc 0
		.amdhsa_float_round_mode_32 0
		.amdhsa_float_round_mode_16_64 0
		.amdhsa_float_denorm_mode_32 3
		.amdhsa_float_denorm_mode_16_64 3
		.amdhsa_dx10_clamp 1
		.amdhsa_ieee_mode 1
		.amdhsa_fp16_overflow 0
		.amdhsa_tg_split 0
		.amdhsa_exception_fp_ieee_invalid_op 0
		.amdhsa_exception_fp_denorm_src 0
		.amdhsa_exception_fp_ieee_div_zero 0
		.amdhsa_exception_fp_ieee_overflow 0
		.amdhsa_exception_fp_ieee_underflow 0
		.amdhsa_exception_fp_ieee_inexact 0
		.amdhsa_exception_int_div_zero 0
	.end_amdhsa_kernel
	.section	.text._ZN7rocprim17ROCPRIM_400000_NS6detail17trampoline_kernelINS0_14default_configENS1_35radix_sort_onesweep_config_selectorIyNS0_10empty_typeEEEZZNS1_29radix_sort_onesweep_iterationIS3_Lb0EN6thrust23THRUST_200600_302600_NS6detail15normal_iteratorINS9_10device_ptrIyEEEESE_PS5_SF_jNS0_19identity_decomposerENS1_16block_id_wrapperIjLb0EEEEE10hipError_tT1_PNSt15iterator_traitsISK_E10value_typeET2_T3_PNSL_ISQ_E10value_typeET4_T5_PSV_SW_PNS1_23onesweep_lookback_stateEbbT6_jjT7_P12ihipStream_tbENKUlT_T0_SK_SP_E_clIPySE_SF_SF_EEDaS13_S14_SK_SP_EUlS13_E_NS1_11comp_targetILNS1_3genE2ELNS1_11target_archE906ELNS1_3gpuE6ELNS1_3repE0EEENS1_47radix_sort_onesweep_sort_config_static_selectorELNS0_4arch9wavefront6targetE1EEEvSK_,"axG",@progbits,_ZN7rocprim17ROCPRIM_400000_NS6detail17trampoline_kernelINS0_14default_configENS1_35radix_sort_onesweep_config_selectorIyNS0_10empty_typeEEEZZNS1_29radix_sort_onesweep_iterationIS3_Lb0EN6thrust23THRUST_200600_302600_NS6detail15normal_iteratorINS9_10device_ptrIyEEEESE_PS5_SF_jNS0_19identity_decomposerENS1_16block_id_wrapperIjLb0EEEEE10hipError_tT1_PNSt15iterator_traitsISK_E10value_typeET2_T3_PNSL_ISQ_E10value_typeET4_T5_PSV_SW_PNS1_23onesweep_lookback_stateEbbT6_jjT7_P12ihipStream_tbENKUlT_T0_SK_SP_E_clIPySE_SF_SF_EEDaS13_S14_SK_SP_EUlS13_E_NS1_11comp_targetILNS1_3genE2ELNS1_11target_archE906ELNS1_3gpuE6ELNS1_3repE0EEENS1_47radix_sort_onesweep_sort_config_static_selectorELNS0_4arch9wavefront6targetE1EEEvSK_,comdat
.Lfunc_end912:
	.size	_ZN7rocprim17ROCPRIM_400000_NS6detail17trampoline_kernelINS0_14default_configENS1_35radix_sort_onesweep_config_selectorIyNS0_10empty_typeEEEZZNS1_29radix_sort_onesweep_iterationIS3_Lb0EN6thrust23THRUST_200600_302600_NS6detail15normal_iteratorINS9_10device_ptrIyEEEESE_PS5_SF_jNS0_19identity_decomposerENS1_16block_id_wrapperIjLb0EEEEE10hipError_tT1_PNSt15iterator_traitsISK_E10value_typeET2_T3_PNSL_ISQ_E10value_typeET4_T5_PSV_SW_PNS1_23onesweep_lookback_stateEbbT6_jjT7_P12ihipStream_tbENKUlT_T0_SK_SP_E_clIPySE_SF_SF_EEDaS13_S14_SK_SP_EUlS13_E_NS1_11comp_targetILNS1_3genE2ELNS1_11target_archE906ELNS1_3gpuE6ELNS1_3repE0EEENS1_47radix_sort_onesweep_sort_config_static_selectorELNS0_4arch9wavefront6targetE1EEEvSK_, .Lfunc_end912-_ZN7rocprim17ROCPRIM_400000_NS6detail17trampoline_kernelINS0_14default_configENS1_35radix_sort_onesweep_config_selectorIyNS0_10empty_typeEEEZZNS1_29radix_sort_onesweep_iterationIS3_Lb0EN6thrust23THRUST_200600_302600_NS6detail15normal_iteratorINS9_10device_ptrIyEEEESE_PS5_SF_jNS0_19identity_decomposerENS1_16block_id_wrapperIjLb0EEEEE10hipError_tT1_PNSt15iterator_traitsISK_E10value_typeET2_T3_PNSL_ISQ_E10value_typeET4_T5_PSV_SW_PNS1_23onesweep_lookback_stateEbbT6_jjT7_P12ihipStream_tbENKUlT_T0_SK_SP_E_clIPySE_SF_SF_EEDaS13_S14_SK_SP_EUlS13_E_NS1_11comp_targetILNS1_3genE2ELNS1_11target_archE906ELNS1_3gpuE6ELNS1_3repE0EEENS1_47radix_sort_onesweep_sort_config_static_selectorELNS0_4arch9wavefront6targetE1EEEvSK_
                                        ; -- End function
	.section	.AMDGPU.csdata,"",@progbits
; Kernel info:
; codeLenInByte = 0
; NumSgprs: 6
; NumVgprs: 0
; NumAgprs: 0
; TotalNumVgprs: 0
; ScratchSize: 0
; MemoryBound: 0
; FloatMode: 240
; IeeeMode: 1
; LDSByteSize: 0 bytes/workgroup (compile time only)
; SGPRBlocks: 0
; VGPRBlocks: 0
; NumSGPRsForWavesPerEU: 6
; NumVGPRsForWavesPerEU: 1
; AccumOffset: 4
; Occupancy: 8
; WaveLimiterHint : 0
; COMPUTE_PGM_RSRC2:SCRATCH_EN: 0
; COMPUTE_PGM_RSRC2:USER_SGPR: 2
; COMPUTE_PGM_RSRC2:TRAP_HANDLER: 0
; COMPUTE_PGM_RSRC2:TGID_X_EN: 1
; COMPUTE_PGM_RSRC2:TGID_Y_EN: 0
; COMPUTE_PGM_RSRC2:TGID_Z_EN: 0
; COMPUTE_PGM_RSRC2:TIDIG_COMP_CNT: 0
; COMPUTE_PGM_RSRC3_GFX90A:ACCUM_OFFSET: 0
; COMPUTE_PGM_RSRC3_GFX90A:TG_SPLIT: 0
	.section	.text._ZN7rocprim17ROCPRIM_400000_NS6detail17trampoline_kernelINS0_14default_configENS1_35radix_sort_onesweep_config_selectorIyNS0_10empty_typeEEEZZNS1_29radix_sort_onesweep_iterationIS3_Lb0EN6thrust23THRUST_200600_302600_NS6detail15normal_iteratorINS9_10device_ptrIyEEEESE_PS5_SF_jNS0_19identity_decomposerENS1_16block_id_wrapperIjLb0EEEEE10hipError_tT1_PNSt15iterator_traitsISK_E10value_typeET2_T3_PNSL_ISQ_E10value_typeET4_T5_PSV_SW_PNS1_23onesweep_lookback_stateEbbT6_jjT7_P12ihipStream_tbENKUlT_T0_SK_SP_E_clIPySE_SF_SF_EEDaS13_S14_SK_SP_EUlS13_E_NS1_11comp_targetILNS1_3genE4ELNS1_11target_archE910ELNS1_3gpuE8ELNS1_3repE0EEENS1_47radix_sort_onesweep_sort_config_static_selectorELNS0_4arch9wavefront6targetE1EEEvSK_,"axG",@progbits,_ZN7rocprim17ROCPRIM_400000_NS6detail17trampoline_kernelINS0_14default_configENS1_35radix_sort_onesweep_config_selectorIyNS0_10empty_typeEEEZZNS1_29radix_sort_onesweep_iterationIS3_Lb0EN6thrust23THRUST_200600_302600_NS6detail15normal_iteratorINS9_10device_ptrIyEEEESE_PS5_SF_jNS0_19identity_decomposerENS1_16block_id_wrapperIjLb0EEEEE10hipError_tT1_PNSt15iterator_traitsISK_E10value_typeET2_T3_PNSL_ISQ_E10value_typeET4_T5_PSV_SW_PNS1_23onesweep_lookback_stateEbbT6_jjT7_P12ihipStream_tbENKUlT_T0_SK_SP_E_clIPySE_SF_SF_EEDaS13_S14_SK_SP_EUlS13_E_NS1_11comp_targetILNS1_3genE4ELNS1_11target_archE910ELNS1_3gpuE8ELNS1_3repE0EEENS1_47radix_sort_onesweep_sort_config_static_selectorELNS0_4arch9wavefront6targetE1EEEvSK_,comdat
	.protected	_ZN7rocprim17ROCPRIM_400000_NS6detail17trampoline_kernelINS0_14default_configENS1_35radix_sort_onesweep_config_selectorIyNS0_10empty_typeEEEZZNS1_29radix_sort_onesweep_iterationIS3_Lb0EN6thrust23THRUST_200600_302600_NS6detail15normal_iteratorINS9_10device_ptrIyEEEESE_PS5_SF_jNS0_19identity_decomposerENS1_16block_id_wrapperIjLb0EEEEE10hipError_tT1_PNSt15iterator_traitsISK_E10value_typeET2_T3_PNSL_ISQ_E10value_typeET4_T5_PSV_SW_PNS1_23onesweep_lookback_stateEbbT6_jjT7_P12ihipStream_tbENKUlT_T0_SK_SP_E_clIPySE_SF_SF_EEDaS13_S14_SK_SP_EUlS13_E_NS1_11comp_targetILNS1_3genE4ELNS1_11target_archE910ELNS1_3gpuE8ELNS1_3repE0EEENS1_47radix_sort_onesweep_sort_config_static_selectorELNS0_4arch9wavefront6targetE1EEEvSK_ ; -- Begin function _ZN7rocprim17ROCPRIM_400000_NS6detail17trampoline_kernelINS0_14default_configENS1_35radix_sort_onesweep_config_selectorIyNS0_10empty_typeEEEZZNS1_29radix_sort_onesweep_iterationIS3_Lb0EN6thrust23THRUST_200600_302600_NS6detail15normal_iteratorINS9_10device_ptrIyEEEESE_PS5_SF_jNS0_19identity_decomposerENS1_16block_id_wrapperIjLb0EEEEE10hipError_tT1_PNSt15iterator_traitsISK_E10value_typeET2_T3_PNSL_ISQ_E10value_typeET4_T5_PSV_SW_PNS1_23onesweep_lookback_stateEbbT6_jjT7_P12ihipStream_tbENKUlT_T0_SK_SP_E_clIPySE_SF_SF_EEDaS13_S14_SK_SP_EUlS13_E_NS1_11comp_targetILNS1_3genE4ELNS1_11target_archE910ELNS1_3gpuE8ELNS1_3repE0EEENS1_47radix_sort_onesweep_sort_config_static_selectorELNS0_4arch9wavefront6targetE1EEEvSK_
	.globl	_ZN7rocprim17ROCPRIM_400000_NS6detail17trampoline_kernelINS0_14default_configENS1_35radix_sort_onesweep_config_selectorIyNS0_10empty_typeEEEZZNS1_29radix_sort_onesweep_iterationIS3_Lb0EN6thrust23THRUST_200600_302600_NS6detail15normal_iteratorINS9_10device_ptrIyEEEESE_PS5_SF_jNS0_19identity_decomposerENS1_16block_id_wrapperIjLb0EEEEE10hipError_tT1_PNSt15iterator_traitsISK_E10value_typeET2_T3_PNSL_ISQ_E10value_typeET4_T5_PSV_SW_PNS1_23onesweep_lookback_stateEbbT6_jjT7_P12ihipStream_tbENKUlT_T0_SK_SP_E_clIPySE_SF_SF_EEDaS13_S14_SK_SP_EUlS13_E_NS1_11comp_targetILNS1_3genE4ELNS1_11target_archE910ELNS1_3gpuE8ELNS1_3repE0EEENS1_47radix_sort_onesweep_sort_config_static_selectorELNS0_4arch9wavefront6targetE1EEEvSK_
	.p2align	8
	.type	_ZN7rocprim17ROCPRIM_400000_NS6detail17trampoline_kernelINS0_14default_configENS1_35radix_sort_onesweep_config_selectorIyNS0_10empty_typeEEEZZNS1_29radix_sort_onesweep_iterationIS3_Lb0EN6thrust23THRUST_200600_302600_NS6detail15normal_iteratorINS9_10device_ptrIyEEEESE_PS5_SF_jNS0_19identity_decomposerENS1_16block_id_wrapperIjLb0EEEEE10hipError_tT1_PNSt15iterator_traitsISK_E10value_typeET2_T3_PNSL_ISQ_E10value_typeET4_T5_PSV_SW_PNS1_23onesweep_lookback_stateEbbT6_jjT7_P12ihipStream_tbENKUlT_T0_SK_SP_E_clIPySE_SF_SF_EEDaS13_S14_SK_SP_EUlS13_E_NS1_11comp_targetILNS1_3genE4ELNS1_11target_archE910ELNS1_3gpuE8ELNS1_3repE0EEENS1_47radix_sort_onesweep_sort_config_static_selectorELNS0_4arch9wavefront6targetE1EEEvSK_,@function
_ZN7rocprim17ROCPRIM_400000_NS6detail17trampoline_kernelINS0_14default_configENS1_35radix_sort_onesweep_config_selectorIyNS0_10empty_typeEEEZZNS1_29radix_sort_onesweep_iterationIS3_Lb0EN6thrust23THRUST_200600_302600_NS6detail15normal_iteratorINS9_10device_ptrIyEEEESE_PS5_SF_jNS0_19identity_decomposerENS1_16block_id_wrapperIjLb0EEEEE10hipError_tT1_PNSt15iterator_traitsISK_E10value_typeET2_T3_PNSL_ISQ_E10value_typeET4_T5_PSV_SW_PNS1_23onesweep_lookback_stateEbbT6_jjT7_P12ihipStream_tbENKUlT_T0_SK_SP_E_clIPySE_SF_SF_EEDaS13_S14_SK_SP_EUlS13_E_NS1_11comp_targetILNS1_3genE4ELNS1_11target_archE910ELNS1_3gpuE8ELNS1_3repE0EEENS1_47radix_sort_onesweep_sort_config_static_selectorELNS0_4arch9wavefront6targetE1EEEvSK_: ; @_ZN7rocprim17ROCPRIM_400000_NS6detail17trampoline_kernelINS0_14default_configENS1_35radix_sort_onesweep_config_selectorIyNS0_10empty_typeEEEZZNS1_29radix_sort_onesweep_iterationIS3_Lb0EN6thrust23THRUST_200600_302600_NS6detail15normal_iteratorINS9_10device_ptrIyEEEESE_PS5_SF_jNS0_19identity_decomposerENS1_16block_id_wrapperIjLb0EEEEE10hipError_tT1_PNSt15iterator_traitsISK_E10value_typeET2_T3_PNSL_ISQ_E10value_typeET4_T5_PSV_SW_PNS1_23onesweep_lookback_stateEbbT6_jjT7_P12ihipStream_tbENKUlT_T0_SK_SP_E_clIPySE_SF_SF_EEDaS13_S14_SK_SP_EUlS13_E_NS1_11comp_targetILNS1_3genE4ELNS1_11target_archE910ELNS1_3gpuE8ELNS1_3repE0EEENS1_47radix_sort_onesweep_sort_config_static_selectorELNS0_4arch9wavefront6targetE1EEEvSK_
; %bb.0:
	.section	.rodata,"a",@progbits
	.p2align	6, 0x0
	.amdhsa_kernel _ZN7rocprim17ROCPRIM_400000_NS6detail17trampoline_kernelINS0_14default_configENS1_35radix_sort_onesweep_config_selectorIyNS0_10empty_typeEEEZZNS1_29radix_sort_onesweep_iterationIS3_Lb0EN6thrust23THRUST_200600_302600_NS6detail15normal_iteratorINS9_10device_ptrIyEEEESE_PS5_SF_jNS0_19identity_decomposerENS1_16block_id_wrapperIjLb0EEEEE10hipError_tT1_PNSt15iterator_traitsISK_E10value_typeET2_T3_PNSL_ISQ_E10value_typeET4_T5_PSV_SW_PNS1_23onesweep_lookback_stateEbbT6_jjT7_P12ihipStream_tbENKUlT_T0_SK_SP_E_clIPySE_SF_SF_EEDaS13_S14_SK_SP_EUlS13_E_NS1_11comp_targetILNS1_3genE4ELNS1_11target_archE910ELNS1_3gpuE8ELNS1_3repE0EEENS1_47radix_sort_onesweep_sort_config_static_selectorELNS0_4arch9wavefront6targetE1EEEvSK_
		.amdhsa_group_segment_fixed_size 0
		.amdhsa_private_segment_fixed_size 0
		.amdhsa_kernarg_size 88
		.amdhsa_user_sgpr_count 2
		.amdhsa_user_sgpr_dispatch_ptr 0
		.amdhsa_user_sgpr_queue_ptr 0
		.amdhsa_user_sgpr_kernarg_segment_ptr 1
		.amdhsa_user_sgpr_dispatch_id 0
		.amdhsa_user_sgpr_kernarg_preload_length 0
		.amdhsa_user_sgpr_kernarg_preload_offset 0
		.amdhsa_user_sgpr_private_segment_size 0
		.amdhsa_uses_dynamic_stack 0
		.amdhsa_enable_private_segment 0
		.amdhsa_system_sgpr_workgroup_id_x 1
		.amdhsa_system_sgpr_workgroup_id_y 0
		.amdhsa_system_sgpr_workgroup_id_z 0
		.amdhsa_system_sgpr_workgroup_info 0
		.amdhsa_system_vgpr_workitem_id 0
		.amdhsa_next_free_vgpr 1
		.amdhsa_next_free_sgpr 0
		.amdhsa_accum_offset 4
		.amdhsa_reserve_vcc 0
		.amdhsa_float_round_mode_32 0
		.amdhsa_float_round_mode_16_64 0
		.amdhsa_float_denorm_mode_32 3
		.amdhsa_float_denorm_mode_16_64 3
		.amdhsa_dx10_clamp 1
		.amdhsa_ieee_mode 1
		.amdhsa_fp16_overflow 0
		.amdhsa_tg_split 0
		.amdhsa_exception_fp_ieee_invalid_op 0
		.amdhsa_exception_fp_denorm_src 0
		.amdhsa_exception_fp_ieee_div_zero 0
		.amdhsa_exception_fp_ieee_overflow 0
		.amdhsa_exception_fp_ieee_underflow 0
		.amdhsa_exception_fp_ieee_inexact 0
		.amdhsa_exception_int_div_zero 0
	.end_amdhsa_kernel
	.section	.text._ZN7rocprim17ROCPRIM_400000_NS6detail17trampoline_kernelINS0_14default_configENS1_35radix_sort_onesweep_config_selectorIyNS0_10empty_typeEEEZZNS1_29radix_sort_onesweep_iterationIS3_Lb0EN6thrust23THRUST_200600_302600_NS6detail15normal_iteratorINS9_10device_ptrIyEEEESE_PS5_SF_jNS0_19identity_decomposerENS1_16block_id_wrapperIjLb0EEEEE10hipError_tT1_PNSt15iterator_traitsISK_E10value_typeET2_T3_PNSL_ISQ_E10value_typeET4_T5_PSV_SW_PNS1_23onesweep_lookback_stateEbbT6_jjT7_P12ihipStream_tbENKUlT_T0_SK_SP_E_clIPySE_SF_SF_EEDaS13_S14_SK_SP_EUlS13_E_NS1_11comp_targetILNS1_3genE4ELNS1_11target_archE910ELNS1_3gpuE8ELNS1_3repE0EEENS1_47radix_sort_onesweep_sort_config_static_selectorELNS0_4arch9wavefront6targetE1EEEvSK_,"axG",@progbits,_ZN7rocprim17ROCPRIM_400000_NS6detail17trampoline_kernelINS0_14default_configENS1_35radix_sort_onesweep_config_selectorIyNS0_10empty_typeEEEZZNS1_29radix_sort_onesweep_iterationIS3_Lb0EN6thrust23THRUST_200600_302600_NS6detail15normal_iteratorINS9_10device_ptrIyEEEESE_PS5_SF_jNS0_19identity_decomposerENS1_16block_id_wrapperIjLb0EEEEE10hipError_tT1_PNSt15iterator_traitsISK_E10value_typeET2_T3_PNSL_ISQ_E10value_typeET4_T5_PSV_SW_PNS1_23onesweep_lookback_stateEbbT6_jjT7_P12ihipStream_tbENKUlT_T0_SK_SP_E_clIPySE_SF_SF_EEDaS13_S14_SK_SP_EUlS13_E_NS1_11comp_targetILNS1_3genE4ELNS1_11target_archE910ELNS1_3gpuE8ELNS1_3repE0EEENS1_47radix_sort_onesweep_sort_config_static_selectorELNS0_4arch9wavefront6targetE1EEEvSK_,comdat
.Lfunc_end913:
	.size	_ZN7rocprim17ROCPRIM_400000_NS6detail17trampoline_kernelINS0_14default_configENS1_35radix_sort_onesweep_config_selectorIyNS0_10empty_typeEEEZZNS1_29radix_sort_onesweep_iterationIS3_Lb0EN6thrust23THRUST_200600_302600_NS6detail15normal_iteratorINS9_10device_ptrIyEEEESE_PS5_SF_jNS0_19identity_decomposerENS1_16block_id_wrapperIjLb0EEEEE10hipError_tT1_PNSt15iterator_traitsISK_E10value_typeET2_T3_PNSL_ISQ_E10value_typeET4_T5_PSV_SW_PNS1_23onesweep_lookback_stateEbbT6_jjT7_P12ihipStream_tbENKUlT_T0_SK_SP_E_clIPySE_SF_SF_EEDaS13_S14_SK_SP_EUlS13_E_NS1_11comp_targetILNS1_3genE4ELNS1_11target_archE910ELNS1_3gpuE8ELNS1_3repE0EEENS1_47radix_sort_onesweep_sort_config_static_selectorELNS0_4arch9wavefront6targetE1EEEvSK_, .Lfunc_end913-_ZN7rocprim17ROCPRIM_400000_NS6detail17trampoline_kernelINS0_14default_configENS1_35radix_sort_onesweep_config_selectorIyNS0_10empty_typeEEEZZNS1_29radix_sort_onesweep_iterationIS3_Lb0EN6thrust23THRUST_200600_302600_NS6detail15normal_iteratorINS9_10device_ptrIyEEEESE_PS5_SF_jNS0_19identity_decomposerENS1_16block_id_wrapperIjLb0EEEEE10hipError_tT1_PNSt15iterator_traitsISK_E10value_typeET2_T3_PNSL_ISQ_E10value_typeET4_T5_PSV_SW_PNS1_23onesweep_lookback_stateEbbT6_jjT7_P12ihipStream_tbENKUlT_T0_SK_SP_E_clIPySE_SF_SF_EEDaS13_S14_SK_SP_EUlS13_E_NS1_11comp_targetILNS1_3genE4ELNS1_11target_archE910ELNS1_3gpuE8ELNS1_3repE0EEENS1_47radix_sort_onesweep_sort_config_static_selectorELNS0_4arch9wavefront6targetE1EEEvSK_
                                        ; -- End function
	.section	.AMDGPU.csdata,"",@progbits
; Kernel info:
; codeLenInByte = 0
; NumSgprs: 6
; NumVgprs: 0
; NumAgprs: 0
; TotalNumVgprs: 0
; ScratchSize: 0
; MemoryBound: 0
; FloatMode: 240
; IeeeMode: 1
; LDSByteSize: 0 bytes/workgroup (compile time only)
; SGPRBlocks: 0
; VGPRBlocks: 0
; NumSGPRsForWavesPerEU: 6
; NumVGPRsForWavesPerEU: 1
; AccumOffset: 4
; Occupancy: 8
; WaveLimiterHint : 0
; COMPUTE_PGM_RSRC2:SCRATCH_EN: 0
; COMPUTE_PGM_RSRC2:USER_SGPR: 2
; COMPUTE_PGM_RSRC2:TRAP_HANDLER: 0
; COMPUTE_PGM_RSRC2:TGID_X_EN: 1
; COMPUTE_PGM_RSRC2:TGID_Y_EN: 0
; COMPUTE_PGM_RSRC2:TGID_Z_EN: 0
; COMPUTE_PGM_RSRC2:TIDIG_COMP_CNT: 0
; COMPUTE_PGM_RSRC3_GFX90A:ACCUM_OFFSET: 0
; COMPUTE_PGM_RSRC3_GFX90A:TG_SPLIT: 0
	.section	.text._ZN7rocprim17ROCPRIM_400000_NS6detail17trampoline_kernelINS0_14default_configENS1_35radix_sort_onesweep_config_selectorIyNS0_10empty_typeEEEZZNS1_29radix_sort_onesweep_iterationIS3_Lb0EN6thrust23THRUST_200600_302600_NS6detail15normal_iteratorINS9_10device_ptrIyEEEESE_PS5_SF_jNS0_19identity_decomposerENS1_16block_id_wrapperIjLb0EEEEE10hipError_tT1_PNSt15iterator_traitsISK_E10value_typeET2_T3_PNSL_ISQ_E10value_typeET4_T5_PSV_SW_PNS1_23onesweep_lookback_stateEbbT6_jjT7_P12ihipStream_tbENKUlT_T0_SK_SP_E_clIPySE_SF_SF_EEDaS13_S14_SK_SP_EUlS13_E_NS1_11comp_targetILNS1_3genE3ELNS1_11target_archE908ELNS1_3gpuE7ELNS1_3repE0EEENS1_47radix_sort_onesweep_sort_config_static_selectorELNS0_4arch9wavefront6targetE1EEEvSK_,"axG",@progbits,_ZN7rocprim17ROCPRIM_400000_NS6detail17trampoline_kernelINS0_14default_configENS1_35radix_sort_onesweep_config_selectorIyNS0_10empty_typeEEEZZNS1_29radix_sort_onesweep_iterationIS3_Lb0EN6thrust23THRUST_200600_302600_NS6detail15normal_iteratorINS9_10device_ptrIyEEEESE_PS5_SF_jNS0_19identity_decomposerENS1_16block_id_wrapperIjLb0EEEEE10hipError_tT1_PNSt15iterator_traitsISK_E10value_typeET2_T3_PNSL_ISQ_E10value_typeET4_T5_PSV_SW_PNS1_23onesweep_lookback_stateEbbT6_jjT7_P12ihipStream_tbENKUlT_T0_SK_SP_E_clIPySE_SF_SF_EEDaS13_S14_SK_SP_EUlS13_E_NS1_11comp_targetILNS1_3genE3ELNS1_11target_archE908ELNS1_3gpuE7ELNS1_3repE0EEENS1_47radix_sort_onesweep_sort_config_static_selectorELNS0_4arch9wavefront6targetE1EEEvSK_,comdat
	.protected	_ZN7rocprim17ROCPRIM_400000_NS6detail17trampoline_kernelINS0_14default_configENS1_35radix_sort_onesweep_config_selectorIyNS0_10empty_typeEEEZZNS1_29radix_sort_onesweep_iterationIS3_Lb0EN6thrust23THRUST_200600_302600_NS6detail15normal_iteratorINS9_10device_ptrIyEEEESE_PS5_SF_jNS0_19identity_decomposerENS1_16block_id_wrapperIjLb0EEEEE10hipError_tT1_PNSt15iterator_traitsISK_E10value_typeET2_T3_PNSL_ISQ_E10value_typeET4_T5_PSV_SW_PNS1_23onesweep_lookback_stateEbbT6_jjT7_P12ihipStream_tbENKUlT_T0_SK_SP_E_clIPySE_SF_SF_EEDaS13_S14_SK_SP_EUlS13_E_NS1_11comp_targetILNS1_3genE3ELNS1_11target_archE908ELNS1_3gpuE7ELNS1_3repE0EEENS1_47radix_sort_onesweep_sort_config_static_selectorELNS0_4arch9wavefront6targetE1EEEvSK_ ; -- Begin function _ZN7rocprim17ROCPRIM_400000_NS6detail17trampoline_kernelINS0_14default_configENS1_35radix_sort_onesweep_config_selectorIyNS0_10empty_typeEEEZZNS1_29radix_sort_onesweep_iterationIS3_Lb0EN6thrust23THRUST_200600_302600_NS6detail15normal_iteratorINS9_10device_ptrIyEEEESE_PS5_SF_jNS0_19identity_decomposerENS1_16block_id_wrapperIjLb0EEEEE10hipError_tT1_PNSt15iterator_traitsISK_E10value_typeET2_T3_PNSL_ISQ_E10value_typeET4_T5_PSV_SW_PNS1_23onesweep_lookback_stateEbbT6_jjT7_P12ihipStream_tbENKUlT_T0_SK_SP_E_clIPySE_SF_SF_EEDaS13_S14_SK_SP_EUlS13_E_NS1_11comp_targetILNS1_3genE3ELNS1_11target_archE908ELNS1_3gpuE7ELNS1_3repE0EEENS1_47radix_sort_onesweep_sort_config_static_selectorELNS0_4arch9wavefront6targetE1EEEvSK_
	.globl	_ZN7rocprim17ROCPRIM_400000_NS6detail17trampoline_kernelINS0_14default_configENS1_35radix_sort_onesweep_config_selectorIyNS0_10empty_typeEEEZZNS1_29radix_sort_onesweep_iterationIS3_Lb0EN6thrust23THRUST_200600_302600_NS6detail15normal_iteratorINS9_10device_ptrIyEEEESE_PS5_SF_jNS0_19identity_decomposerENS1_16block_id_wrapperIjLb0EEEEE10hipError_tT1_PNSt15iterator_traitsISK_E10value_typeET2_T3_PNSL_ISQ_E10value_typeET4_T5_PSV_SW_PNS1_23onesweep_lookback_stateEbbT6_jjT7_P12ihipStream_tbENKUlT_T0_SK_SP_E_clIPySE_SF_SF_EEDaS13_S14_SK_SP_EUlS13_E_NS1_11comp_targetILNS1_3genE3ELNS1_11target_archE908ELNS1_3gpuE7ELNS1_3repE0EEENS1_47radix_sort_onesweep_sort_config_static_selectorELNS0_4arch9wavefront6targetE1EEEvSK_
	.p2align	8
	.type	_ZN7rocprim17ROCPRIM_400000_NS6detail17trampoline_kernelINS0_14default_configENS1_35radix_sort_onesweep_config_selectorIyNS0_10empty_typeEEEZZNS1_29radix_sort_onesweep_iterationIS3_Lb0EN6thrust23THRUST_200600_302600_NS6detail15normal_iteratorINS9_10device_ptrIyEEEESE_PS5_SF_jNS0_19identity_decomposerENS1_16block_id_wrapperIjLb0EEEEE10hipError_tT1_PNSt15iterator_traitsISK_E10value_typeET2_T3_PNSL_ISQ_E10value_typeET4_T5_PSV_SW_PNS1_23onesweep_lookback_stateEbbT6_jjT7_P12ihipStream_tbENKUlT_T0_SK_SP_E_clIPySE_SF_SF_EEDaS13_S14_SK_SP_EUlS13_E_NS1_11comp_targetILNS1_3genE3ELNS1_11target_archE908ELNS1_3gpuE7ELNS1_3repE0EEENS1_47radix_sort_onesweep_sort_config_static_selectorELNS0_4arch9wavefront6targetE1EEEvSK_,@function
_ZN7rocprim17ROCPRIM_400000_NS6detail17trampoline_kernelINS0_14default_configENS1_35radix_sort_onesweep_config_selectorIyNS0_10empty_typeEEEZZNS1_29radix_sort_onesweep_iterationIS3_Lb0EN6thrust23THRUST_200600_302600_NS6detail15normal_iteratorINS9_10device_ptrIyEEEESE_PS5_SF_jNS0_19identity_decomposerENS1_16block_id_wrapperIjLb0EEEEE10hipError_tT1_PNSt15iterator_traitsISK_E10value_typeET2_T3_PNSL_ISQ_E10value_typeET4_T5_PSV_SW_PNS1_23onesweep_lookback_stateEbbT6_jjT7_P12ihipStream_tbENKUlT_T0_SK_SP_E_clIPySE_SF_SF_EEDaS13_S14_SK_SP_EUlS13_E_NS1_11comp_targetILNS1_3genE3ELNS1_11target_archE908ELNS1_3gpuE7ELNS1_3repE0EEENS1_47radix_sort_onesweep_sort_config_static_selectorELNS0_4arch9wavefront6targetE1EEEvSK_: ; @_ZN7rocprim17ROCPRIM_400000_NS6detail17trampoline_kernelINS0_14default_configENS1_35radix_sort_onesweep_config_selectorIyNS0_10empty_typeEEEZZNS1_29radix_sort_onesweep_iterationIS3_Lb0EN6thrust23THRUST_200600_302600_NS6detail15normal_iteratorINS9_10device_ptrIyEEEESE_PS5_SF_jNS0_19identity_decomposerENS1_16block_id_wrapperIjLb0EEEEE10hipError_tT1_PNSt15iterator_traitsISK_E10value_typeET2_T3_PNSL_ISQ_E10value_typeET4_T5_PSV_SW_PNS1_23onesweep_lookback_stateEbbT6_jjT7_P12ihipStream_tbENKUlT_T0_SK_SP_E_clIPySE_SF_SF_EEDaS13_S14_SK_SP_EUlS13_E_NS1_11comp_targetILNS1_3genE3ELNS1_11target_archE908ELNS1_3gpuE7ELNS1_3repE0EEENS1_47radix_sort_onesweep_sort_config_static_selectorELNS0_4arch9wavefront6targetE1EEEvSK_
; %bb.0:
	.section	.rodata,"a",@progbits
	.p2align	6, 0x0
	.amdhsa_kernel _ZN7rocprim17ROCPRIM_400000_NS6detail17trampoline_kernelINS0_14default_configENS1_35radix_sort_onesweep_config_selectorIyNS0_10empty_typeEEEZZNS1_29radix_sort_onesweep_iterationIS3_Lb0EN6thrust23THRUST_200600_302600_NS6detail15normal_iteratorINS9_10device_ptrIyEEEESE_PS5_SF_jNS0_19identity_decomposerENS1_16block_id_wrapperIjLb0EEEEE10hipError_tT1_PNSt15iterator_traitsISK_E10value_typeET2_T3_PNSL_ISQ_E10value_typeET4_T5_PSV_SW_PNS1_23onesweep_lookback_stateEbbT6_jjT7_P12ihipStream_tbENKUlT_T0_SK_SP_E_clIPySE_SF_SF_EEDaS13_S14_SK_SP_EUlS13_E_NS1_11comp_targetILNS1_3genE3ELNS1_11target_archE908ELNS1_3gpuE7ELNS1_3repE0EEENS1_47radix_sort_onesweep_sort_config_static_selectorELNS0_4arch9wavefront6targetE1EEEvSK_
		.amdhsa_group_segment_fixed_size 0
		.amdhsa_private_segment_fixed_size 0
		.amdhsa_kernarg_size 88
		.amdhsa_user_sgpr_count 2
		.amdhsa_user_sgpr_dispatch_ptr 0
		.amdhsa_user_sgpr_queue_ptr 0
		.amdhsa_user_sgpr_kernarg_segment_ptr 1
		.amdhsa_user_sgpr_dispatch_id 0
		.amdhsa_user_sgpr_kernarg_preload_length 0
		.amdhsa_user_sgpr_kernarg_preload_offset 0
		.amdhsa_user_sgpr_private_segment_size 0
		.amdhsa_uses_dynamic_stack 0
		.amdhsa_enable_private_segment 0
		.amdhsa_system_sgpr_workgroup_id_x 1
		.amdhsa_system_sgpr_workgroup_id_y 0
		.amdhsa_system_sgpr_workgroup_id_z 0
		.amdhsa_system_sgpr_workgroup_info 0
		.amdhsa_system_vgpr_workitem_id 0
		.amdhsa_next_free_vgpr 1
		.amdhsa_next_free_sgpr 0
		.amdhsa_accum_offset 4
		.amdhsa_reserve_vcc 0
		.amdhsa_float_round_mode_32 0
		.amdhsa_float_round_mode_16_64 0
		.amdhsa_float_denorm_mode_32 3
		.amdhsa_float_denorm_mode_16_64 3
		.amdhsa_dx10_clamp 1
		.amdhsa_ieee_mode 1
		.amdhsa_fp16_overflow 0
		.amdhsa_tg_split 0
		.amdhsa_exception_fp_ieee_invalid_op 0
		.amdhsa_exception_fp_denorm_src 0
		.amdhsa_exception_fp_ieee_div_zero 0
		.amdhsa_exception_fp_ieee_overflow 0
		.amdhsa_exception_fp_ieee_underflow 0
		.amdhsa_exception_fp_ieee_inexact 0
		.amdhsa_exception_int_div_zero 0
	.end_amdhsa_kernel
	.section	.text._ZN7rocprim17ROCPRIM_400000_NS6detail17trampoline_kernelINS0_14default_configENS1_35radix_sort_onesweep_config_selectorIyNS0_10empty_typeEEEZZNS1_29radix_sort_onesweep_iterationIS3_Lb0EN6thrust23THRUST_200600_302600_NS6detail15normal_iteratorINS9_10device_ptrIyEEEESE_PS5_SF_jNS0_19identity_decomposerENS1_16block_id_wrapperIjLb0EEEEE10hipError_tT1_PNSt15iterator_traitsISK_E10value_typeET2_T3_PNSL_ISQ_E10value_typeET4_T5_PSV_SW_PNS1_23onesweep_lookback_stateEbbT6_jjT7_P12ihipStream_tbENKUlT_T0_SK_SP_E_clIPySE_SF_SF_EEDaS13_S14_SK_SP_EUlS13_E_NS1_11comp_targetILNS1_3genE3ELNS1_11target_archE908ELNS1_3gpuE7ELNS1_3repE0EEENS1_47radix_sort_onesweep_sort_config_static_selectorELNS0_4arch9wavefront6targetE1EEEvSK_,"axG",@progbits,_ZN7rocprim17ROCPRIM_400000_NS6detail17trampoline_kernelINS0_14default_configENS1_35radix_sort_onesweep_config_selectorIyNS0_10empty_typeEEEZZNS1_29radix_sort_onesweep_iterationIS3_Lb0EN6thrust23THRUST_200600_302600_NS6detail15normal_iteratorINS9_10device_ptrIyEEEESE_PS5_SF_jNS0_19identity_decomposerENS1_16block_id_wrapperIjLb0EEEEE10hipError_tT1_PNSt15iterator_traitsISK_E10value_typeET2_T3_PNSL_ISQ_E10value_typeET4_T5_PSV_SW_PNS1_23onesweep_lookback_stateEbbT6_jjT7_P12ihipStream_tbENKUlT_T0_SK_SP_E_clIPySE_SF_SF_EEDaS13_S14_SK_SP_EUlS13_E_NS1_11comp_targetILNS1_3genE3ELNS1_11target_archE908ELNS1_3gpuE7ELNS1_3repE0EEENS1_47radix_sort_onesweep_sort_config_static_selectorELNS0_4arch9wavefront6targetE1EEEvSK_,comdat
.Lfunc_end914:
	.size	_ZN7rocprim17ROCPRIM_400000_NS6detail17trampoline_kernelINS0_14default_configENS1_35radix_sort_onesweep_config_selectorIyNS0_10empty_typeEEEZZNS1_29radix_sort_onesweep_iterationIS3_Lb0EN6thrust23THRUST_200600_302600_NS6detail15normal_iteratorINS9_10device_ptrIyEEEESE_PS5_SF_jNS0_19identity_decomposerENS1_16block_id_wrapperIjLb0EEEEE10hipError_tT1_PNSt15iterator_traitsISK_E10value_typeET2_T3_PNSL_ISQ_E10value_typeET4_T5_PSV_SW_PNS1_23onesweep_lookback_stateEbbT6_jjT7_P12ihipStream_tbENKUlT_T0_SK_SP_E_clIPySE_SF_SF_EEDaS13_S14_SK_SP_EUlS13_E_NS1_11comp_targetILNS1_3genE3ELNS1_11target_archE908ELNS1_3gpuE7ELNS1_3repE0EEENS1_47radix_sort_onesweep_sort_config_static_selectorELNS0_4arch9wavefront6targetE1EEEvSK_, .Lfunc_end914-_ZN7rocprim17ROCPRIM_400000_NS6detail17trampoline_kernelINS0_14default_configENS1_35radix_sort_onesweep_config_selectorIyNS0_10empty_typeEEEZZNS1_29radix_sort_onesweep_iterationIS3_Lb0EN6thrust23THRUST_200600_302600_NS6detail15normal_iteratorINS9_10device_ptrIyEEEESE_PS5_SF_jNS0_19identity_decomposerENS1_16block_id_wrapperIjLb0EEEEE10hipError_tT1_PNSt15iterator_traitsISK_E10value_typeET2_T3_PNSL_ISQ_E10value_typeET4_T5_PSV_SW_PNS1_23onesweep_lookback_stateEbbT6_jjT7_P12ihipStream_tbENKUlT_T0_SK_SP_E_clIPySE_SF_SF_EEDaS13_S14_SK_SP_EUlS13_E_NS1_11comp_targetILNS1_3genE3ELNS1_11target_archE908ELNS1_3gpuE7ELNS1_3repE0EEENS1_47radix_sort_onesweep_sort_config_static_selectorELNS0_4arch9wavefront6targetE1EEEvSK_
                                        ; -- End function
	.section	.AMDGPU.csdata,"",@progbits
; Kernel info:
; codeLenInByte = 0
; NumSgprs: 6
; NumVgprs: 0
; NumAgprs: 0
; TotalNumVgprs: 0
; ScratchSize: 0
; MemoryBound: 0
; FloatMode: 240
; IeeeMode: 1
; LDSByteSize: 0 bytes/workgroup (compile time only)
; SGPRBlocks: 0
; VGPRBlocks: 0
; NumSGPRsForWavesPerEU: 6
; NumVGPRsForWavesPerEU: 1
; AccumOffset: 4
; Occupancy: 8
; WaveLimiterHint : 0
; COMPUTE_PGM_RSRC2:SCRATCH_EN: 0
; COMPUTE_PGM_RSRC2:USER_SGPR: 2
; COMPUTE_PGM_RSRC2:TRAP_HANDLER: 0
; COMPUTE_PGM_RSRC2:TGID_X_EN: 1
; COMPUTE_PGM_RSRC2:TGID_Y_EN: 0
; COMPUTE_PGM_RSRC2:TGID_Z_EN: 0
; COMPUTE_PGM_RSRC2:TIDIG_COMP_CNT: 0
; COMPUTE_PGM_RSRC3_GFX90A:ACCUM_OFFSET: 0
; COMPUTE_PGM_RSRC3_GFX90A:TG_SPLIT: 0
	.section	.text._ZN7rocprim17ROCPRIM_400000_NS6detail17trampoline_kernelINS0_14default_configENS1_35radix_sort_onesweep_config_selectorIyNS0_10empty_typeEEEZZNS1_29radix_sort_onesweep_iterationIS3_Lb0EN6thrust23THRUST_200600_302600_NS6detail15normal_iteratorINS9_10device_ptrIyEEEESE_PS5_SF_jNS0_19identity_decomposerENS1_16block_id_wrapperIjLb0EEEEE10hipError_tT1_PNSt15iterator_traitsISK_E10value_typeET2_T3_PNSL_ISQ_E10value_typeET4_T5_PSV_SW_PNS1_23onesweep_lookback_stateEbbT6_jjT7_P12ihipStream_tbENKUlT_T0_SK_SP_E_clIPySE_SF_SF_EEDaS13_S14_SK_SP_EUlS13_E_NS1_11comp_targetILNS1_3genE10ELNS1_11target_archE1201ELNS1_3gpuE5ELNS1_3repE0EEENS1_47radix_sort_onesweep_sort_config_static_selectorELNS0_4arch9wavefront6targetE1EEEvSK_,"axG",@progbits,_ZN7rocprim17ROCPRIM_400000_NS6detail17trampoline_kernelINS0_14default_configENS1_35radix_sort_onesweep_config_selectorIyNS0_10empty_typeEEEZZNS1_29radix_sort_onesweep_iterationIS3_Lb0EN6thrust23THRUST_200600_302600_NS6detail15normal_iteratorINS9_10device_ptrIyEEEESE_PS5_SF_jNS0_19identity_decomposerENS1_16block_id_wrapperIjLb0EEEEE10hipError_tT1_PNSt15iterator_traitsISK_E10value_typeET2_T3_PNSL_ISQ_E10value_typeET4_T5_PSV_SW_PNS1_23onesweep_lookback_stateEbbT6_jjT7_P12ihipStream_tbENKUlT_T0_SK_SP_E_clIPySE_SF_SF_EEDaS13_S14_SK_SP_EUlS13_E_NS1_11comp_targetILNS1_3genE10ELNS1_11target_archE1201ELNS1_3gpuE5ELNS1_3repE0EEENS1_47radix_sort_onesweep_sort_config_static_selectorELNS0_4arch9wavefront6targetE1EEEvSK_,comdat
	.protected	_ZN7rocprim17ROCPRIM_400000_NS6detail17trampoline_kernelINS0_14default_configENS1_35radix_sort_onesweep_config_selectorIyNS0_10empty_typeEEEZZNS1_29radix_sort_onesweep_iterationIS3_Lb0EN6thrust23THRUST_200600_302600_NS6detail15normal_iteratorINS9_10device_ptrIyEEEESE_PS5_SF_jNS0_19identity_decomposerENS1_16block_id_wrapperIjLb0EEEEE10hipError_tT1_PNSt15iterator_traitsISK_E10value_typeET2_T3_PNSL_ISQ_E10value_typeET4_T5_PSV_SW_PNS1_23onesweep_lookback_stateEbbT6_jjT7_P12ihipStream_tbENKUlT_T0_SK_SP_E_clIPySE_SF_SF_EEDaS13_S14_SK_SP_EUlS13_E_NS1_11comp_targetILNS1_3genE10ELNS1_11target_archE1201ELNS1_3gpuE5ELNS1_3repE0EEENS1_47radix_sort_onesweep_sort_config_static_selectorELNS0_4arch9wavefront6targetE1EEEvSK_ ; -- Begin function _ZN7rocprim17ROCPRIM_400000_NS6detail17trampoline_kernelINS0_14default_configENS1_35radix_sort_onesweep_config_selectorIyNS0_10empty_typeEEEZZNS1_29radix_sort_onesweep_iterationIS3_Lb0EN6thrust23THRUST_200600_302600_NS6detail15normal_iteratorINS9_10device_ptrIyEEEESE_PS5_SF_jNS0_19identity_decomposerENS1_16block_id_wrapperIjLb0EEEEE10hipError_tT1_PNSt15iterator_traitsISK_E10value_typeET2_T3_PNSL_ISQ_E10value_typeET4_T5_PSV_SW_PNS1_23onesweep_lookback_stateEbbT6_jjT7_P12ihipStream_tbENKUlT_T0_SK_SP_E_clIPySE_SF_SF_EEDaS13_S14_SK_SP_EUlS13_E_NS1_11comp_targetILNS1_3genE10ELNS1_11target_archE1201ELNS1_3gpuE5ELNS1_3repE0EEENS1_47radix_sort_onesweep_sort_config_static_selectorELNS0_4arch9wavefront6targetE1EEEvSK_
	.globl	_ZN7rocprim17ROCPRIM_400000_NS6detail17trampoline_kernelINS0_14default_configENS1_35radix_sort_onesweep_config_selectorIyNS0_10empty_typeEEEZZNS1_29radix_sort_onesweep_iterationIS3_Lb0EN6thrust23THRUST_200600_302600_NS6detail15normal_iteratorINS9_10device_ptrIyEEEESE_PS5_SF_jNS0_19identity_decomposerENS1_16block_id_wrapperIjLb0EEEEE10hipError_tT1_PNSt15iterator_traitsISK_E10value_typeET2_T3_PNSL_ISQ_E10value_typeET4_T5_PSV_SW_PNS1_23onesweep_lookback_stateEbbT6_jjT7_P12ihipStream_tbENKUlT_T0_SK_SP_E_clIPySE_SF_SF_EEDaS13_S14_SK_SP_EUlS13_E_NS1_11comp_targetILNS1_3genE10ELNS1_11target_archE1201ELNS1_3gpuE5ELNS1_3repE0EEENS1_47radix_sort_onesweep_sort_config_static_selectorELNS0_4arch9wavefront6targetE1EEEvSK_
	.p2align	8
	.type	_ZN7rocprim17ROCPRIM_400000_NS6detail17trampoline_kernelINS0_14default_configENS1_35radix_sort_onesweep_config_selectorIyNS0_10empty_typeEEEZZNS1_29radix_sort_onesweep_iterationIS3_Lb0EN6thrust23THRUST_200600_302600_NS6detail15normal_iteratorINS9_10device_ptrIyEEEESE_PS5_SF_jNS0_19identity_decomposerENS1_16block_id_wrapperIjLb0EEEEE10hipError_tT1_PNSt15iterator_traitsISK_E10value_typeET2_T3_PNSL_ISQ_E10value_typeET4_T5_PSV_SW_PNS1_23onesweep_lookback_stateEbbT6_jjT7_P12ihipStream_tbENKUlT_T0_SK_SP_E_clIPySE_SF_SF_EEDaS13_S14_SK_SP_EUlS13_E_NS1_11comp_targetILNS1_3genE10ELNS1_11target_archE1201ELNS1_3gpuE5ELNS1_3repE0EEENS1_47radix_sort_onesweep_sort_config_static_selectorELNS0_4arch9wavefront6targetE1EEEvSK_,@function
_ZN7rocprim17ROCPRIM_400000_NS6detail17trampoline_kernelINS0_14default_configENS1_35radix_sort_onesweep_config_selectorIyNS0_10empty_typeEEEZZNS1_29radix_sort_onesweep_iterationIS3_Lb0EN6thrust23THRUST_200600_302600_NS6detail15normal_iteratorINS9_10device_ptrIyEEEESE_PS5_SF_jNS0_19identity_decomposerENS1_16block_id_wrapperIjLb0EEEEE10hipError_tT1_PNSt15iterator_traitsISK_E10value_typeET2_T3_PNSL_ISQ_E10value_typeET4_T5_PSV_SW_PNS1_23onesweep_lookback_stateEbbT6_jjT7_P12ihipStream_tbENKUlT_T0_SK_SP_E_clIPySE_SF_SF_EEDaS13_S14_SK_SP_EUlS13_E_NS1_11comp_targetILNS1_3genE10ELNS1_11target_archE1201ELNS1_3gpuE5ELNS1_3repE0EEENS1_47radix_sort_onesweep_sort_config_static_selectorELNS0_4arch9wavefront6targetE1EEEvSK_: ; @_ZN7rocprim17ROCPRIM_400000_NS6detail17trampoline_kernelINS0_14default_configENS1_35radix_sort_onesweep_config_selectorIyNS0_10empty_typeEEEZZNS1_29radix_sort_onesweep_iterationIS3_Lb0EN6thrust23THRUST_200600_302600_NS6detail15normal_iteratorINS9_10device_ptrIyEEEESE_PS5_SF_jNS0_19identity_decomposerENS1_16block_id_wrapperIjLb0EEEEE10hipError_tT1_PNSt15iterator_traitsISK_E10value_typeET2_T3_PNSL_ISQ_E10value_typeET4_T5_PSV_SW_PNS1_23onesweep_lookback_stateEbbT6_jjT7_P12ihipStream_tbENKUlT_T0_SK_SP_E_clIPySE_SF_SF_EEDaS13_S14_SK_SP_EUlS13_E_NS1_11comp_targetILNS1_3genE10ELNS1_11target_archE1201ELNS1_3gpuE5ELNS1_3repE0EEENS1_47radix_sort_onesweep_sort_config_static_selectorELNS0_4arch9wavefront6targetE1EEEvSK_
; %bb.0:
	.section	.rodata,"a",@progbits
	.p2align	6, 0x0
	.amdhsa_kernel _ZN7rocprim17ROCPRIM_400000_NS6detail17trampoline_kernelINS0_14default_configENS1_35radix_sort_onesweep_config_selectorIyNS0_10empty_typeEEEZZNS1_29radix_sort_onesweep_iterationIS3_Lb0EN6thrust23THRUST_200600_302600_NS6detail15normal_iteratorINS9_10device_ptrIyEEEESE_PS5_SF_jNS0_19identity_decomposerENS1_16block_id_wrapperIjLb0EEEEE10hipError_tT1_PNSt15iterator_traitsISK_E10value_typeET2_T3_PNSL_ISQ_E10value_typeET4_T5_PSV_SW_PNS1_23onesweep_lookback_stateEbbT6_jjT7_P12ihipStream_tbENKUlT_T0_SK_SP_E_clIPySE_SF_SF_EEDaS13_S14_SK_SP_EUlS13_E_NS1_11comp_targetILNS1_3genE10ELNS1_11target_archE1201ELNS1_3gpuE5ELNS1_3repE0EEENS1_47radix_sort_onesweep_sort_config_static_selectorELNS0_4arch9wavefront6targetE1EEEvSK_
		.amdhsa_group_segment_fixed_size 0
		.amdhsa_private_segment_fixed_size 0
		.amdhsa_kernarg_size 88
		.amdhsa_user_sgpr_count 2
		.amdhsa_user_sgpr_dispatch_ptr 0
		.amdhsa_user_sgpr_queue_ptr 0
		.amdhsa_user_sgpr_kernarg_segment_ptr 1
		.amdhsa_user_sgpr_dispatch_id 0
		.amdhsa_user_sgpr_kernarg_preload_length 0
		.amdhsa_user_sgpr_kernarg_preload_offset 0
		.amdhsa_user_sgpr_private_segment_size 0
		.amdhsa_uses_dynamic_stack 0
		.amdhsa_enable_private_segment 0
		.amdhsa_system_sgpr_workgroup_id_x 1
		.amdhsa_system_sgpr_workgroup_id_y 0
		.amdhsa_system_sgpr_workgroup_id_z 0
		.amdhsa_system_sgpr_workgroup_info 0
		.amdhsa_system_vgpr_workitem_id 0
		.amdhsa_next_free_vgpr 1
		.amdhsa_next_free_sgpr 0
		.amdhsa_accum_offset 4
		.amdhsa_reserve_vcc 0
		.amdhsa_float_round_mode_32 0
		.amdhsa_float_round_mode_16_64 0
		.amdhsa_float_denorm_mode_32 3
		.amdhsa_float_denorm_mode_16_64 3
		.amdhsa_dx10_clamp 1
		.amdhsa_ieee_mode 1
		.amdhsa_fp16_overflow 0
		.amdhsa_tg_split 0
		.amdhsa_exception_fp_ieee_invalid_op 0
		.amdhsa_exception_fp_denorm_src 0
		.amdhsa_exception_fp_ieee_div_zero 0
		.amdhsa_exception_fp_ieee_overflow 0
		.amdhsa_exception_fp_ieee_underflow 0
		.amdhsa_exception_fp_ieee_inexact 0
		.amdhsa_exception_int_div_zero 0
	.end_amdhsa_kernel
	.section	.text._ZN7rocprim17ROCPRIM_400000_NS6detail17trampoline_kernelINS0_14default_configENS1_35radix_sort_onesweep_config_selectorIyNS0_10empty_typeEEEZZNS1_29radix_sort_onesweep_iterationIS3_Lb0EN6thrust23THRUST_200600_302600_NS6detail15normal_iteratorINS9_10device_ptrIyEEEESE_PS5_SF_jNS0_19identity_decomposerENS1_16block_id_wrapperIjLb0EEEEE10hipError_tT1_PNSt15iterator_traitsISK_E10value_typeET2_T3_PNSL_ISQ_E10value_typeET4_T5_PSV_SW_PNS1_23onesweep_lookback_stateEbbT6_jjT7_P12ihipStream_tbENKUlT_T0_SK_SP_E_clIPySE_SF_SF_EEDaS13_S14_SK_SP_EUlS13_E_NS1_11comp_targetILNS1_3genE10ELNS1_11target_archE1201ELNS1_3gpuE5ELNS1_3repE0EEENS1_47radix_sort_onesweep_sort_config_static_selectorELNS0_4arch9wavefront6targetE1EEEvSK_,"axG",@progbits,_ZN7rocprim17ROCPRIM_400000_NS6detail17trampoline_kernelINS0_14default_configENS1_35radix_sort_onesweep_config_selectorIyNS0_10empty_typeEEEZZNS1_29radix_sort_onesweep_iterationIS3_Lb0EN6thrust23THRUST_200600_302600_NS6detail15normal_iteratorINS9_10device_ptrIyEEEESE_PS5_SF_jNS0_19identity_decomposerENS1_16block_id_wrapperIjLb0EEEEE10hipError_tT1_PNSt15iterator_traitsISK_E10value_typeET2_T3_PNSL_ISQ_E10value_typeET4_T5_PSV_SW_PNS1_23onesweep_lookback_stateEbbT6_jjT7_P12ihipStream_tbENKUlT_T0_SK_SP_E_clIPySE_SF_SF_EEDaS13_S14_SK_SP_EUlS13_E_NS1_11comp_targetILNS1_3genE10ELNS1_11target_archE1201ELNS1_3gpuE5ELNS1_3repE0EEENS1_47radix_sort_onesweep_sort_config_static_selectorELNS0_4arch9wavefront6targetE1EEEvSK_,comdat
.Lfunc_end915:
	.size	_ZN7rocprim17ROCPRIM_400000_NS6detail17trampoline_kernelINS0_14default_configENS1_35radix_sort_onesweep_config_selectorIyNS0_10empty_typeEEEZZNS1_29radix_sort_onesweep_iterationIS3_Lb0EN6thrust23THRUST_200600_302600_NS6detail15normal_iteratorINS9_10device_ptrIyEEEESE_PS5_SF_jNS0_19identity_decomposerENS1_16block_id_wrapperIjLb0EEEEE10hipError_tT1_PNSt15iterator_traitsISK_E10value_typeET2_T3_PNSL_ISQ_E10value_typeET4_T5_PSV_SW_PNS1_23onesweep_lookback_stateEbbT6_jjT7_P12ihipStream_tbENKUlT_T0_SK_SP_E_clIPySE_SF_SF_EEDaS13_S14_SK_SP_EUlS13_E_NS1_11comp_targetILNS1_3genE10ELNS1_11target_archE1201ELNS1_3gpuE5ELNS1_3repE0EEENS1_47radix_sort_onesweep_sort_config_static_selectorELNS0_4arch9wavefront6targetE1EEEvSK_, .Lfunc_end915-_ZN7rocprim17ROCPRIM_400000_NS6detail17trampoline_kernelINS0_14default_configENS1_35radix_sort_onesweep_config_selectorIyNS0_10empty_typeEEEZZNS1_29radix_sort_onesweep_iterationIS3_Lb0EN6thrust23THRUST_200600_302600_NS6detail15normal_iteratorINS9_10device_ptrIyEEEESE_PS5_SF_jNS0_19identity_decomposerENS1_16block_id_wrapperIjLb0EEEEE10hipError_tT1_PNSt15iterator_traitsISK_E10value_typeET2_T3_PNSL_ISQ_E10value_typeET4_T5_PSV_SW_PNS1_23onesweep_lookback_stateEbbT6_jjT7_P12ihipStream_tbENKUlT_T0_SK_SP_E_clIPySE_SF_SF_EEDaS13_S14_SK_SP_EUlS13_E_NS1_11comp_targetILNS1_3genE10ELNS1_11target_archE1201ELNS1_3gpuE5ELNS1_3repE0EEENS1_47radix_sort_onesweep_sort_config_static_selectorELNS0_4arch9wavefront6targetE1EEEvSK_
                                        ; -- End function
	.section	.AMDGPU.csdata,"",@progbits
; Kernel info:
; codeLenInByte = 0
; NumSgprs: 6
; NumVgprs: 0
; NumAgprs: 0
; TotalNumVgprs: 0
; ScratchSize: 0
; MemoryBound: 0
; FloatMode: 240
; IeeeMode: 1
; LDSByteSize: 0 bytes/workgroup (compile time only)
; SGPRBlocks: 0
; VGPRBlocks: 0
; NumSGPRsForWavesPerEU: 6
; NumVGPRsForWavesPerEU: 1
; AccumOffset: 4
; Occupancy: 8
; WaveLimiterHint : 0
; COMPUTE_PGM_RSRC2:SCRATCH_EN: 0
; COMPUTE_PGM_RSRC2:USER_SGPR: 2
; COMPUTE_PGM_RSRC2:TRAP_HANDLER: 0
; COMPUTE_PGM_RSRC2:TGID_X_EN: 1
; COMPUTE_PGM_RSRC2:TGID_Y_EN: 0
; COMPUTE_PGM_RSRC2:TGID_Z_EN: 0
; COMPUTE_PGM_RSRC2:TIDIG_COMP_CNT: 0
; COMPUTE_PGM_RSRC3_GFX90A:ACCUM_OFFSET: 0
; COMPUTE_PGM_RSRC3_GFX90A:TG_SPLIT: 0
	.section	.text._ZN7rocprim17ROCPRIM_400000_NS6detail17trampoline_kernelINS0_14default_configENS1_35radix_sort_onesweep_config_selectorIyNS0_10empty_typeEEEZZNS1_29radix_sort_onesweep_iterationIS3_Lb0EN6thrust23THRUST_200600_302600_NS6detail15normal_iteratorINS9_10device_ptrIyEEEESE_PS5_SF_jNS0_19identity_decomposerENS1_16block_id_wrapperIjLb0EEEEE10hipError_tT1_PNSt15iterator_traitsISK_E10value_typeET2_T3_PNSL_ISQ_E10value_typeET4_T5_PSV_SW_PNS1_23onesweep_lookback_stateEbbT6_jjT7_P12ihipStream_tbENKUlT_T0_SK_SP_E_clIPySE_SF_SF_EEDaS13_S14_SK_SP_EUlS13_E_NS1_11comp_targetILNS1_3genE9ELNS1_11target_archE1100ELNS1_3gpuE3ELNS1_3repE0EEENS1_47radix_sort_onesweep_sort_config_static_selectorELNS0_4arch9wavefront6targetE1EEEvSK_,"axG",@progbits,_ZN7rocprim17ROCPRIM_400000_NS6detail17trampoline_kernelINS0_14default_configENS1_35radix_sort_onesweep_config_selectorIyNS0_10empty_typeEEEZZNS1_29radix_sort_onesweep_iterationIS3_Lb0EN6thrust23THRUST_200600_302600_NS6detail15normal_iteratorINS9_10device_ptrIyEEEESE_PS5_SF_jNS0_19identity_decomposerENS1_16block_id_wrapperIjLb0EEEEE10hipError_tT1_PNSt15iterator_traitsISK_E10value_typeET2_T3_PNSL_ISQ_E10value_typeET4_T5_PSV_SW_PNS1_23onesweep_lookback_stateEbbT6_jjT7_P12ihipStream_tbENKUlT_T0_SK_SP_E_clIPySE_SF_SF_EEDaS13_S14_SK_SP_EUlS13_E_NS1_11comp_targetILNS1_3genE9ELNS1_11target_archE1100ELNS1_3gpuE3ELNS1_3repE0EEENS1_47radix_sort_onesweep_sort_config_static_selectorELNS0_4arch9wavefront6targetE1EEEvSK_,comdat
	.protected	_ZN7rocprim17ROCPRIM_400000_NS6detail17trampoline_kernelINS0_14default_configENS1_35radix_sort_onesweep_config_selectorIyNS0_10empty_typeEEEZZNS1_29radix_sort_onesweep_iterationIS3_Lb0EN6thrust23THRUST_200600_302600_NS6detail15normal_iteratorINS9_10device_ptrIyEEEESE_PS5_SF_jNS0_19identity_decomposerENS1_16block_id_wrapperIjLb0EEEEE10hipError_tT1_PNSt15iterator_traitsISK_E10value_typeET2_T3_PNSL_ISQ_E10value_typeET4_T5_PSV_SW_PNS1_23onesweep_lookback_stateEbbT6_jjT7_P12ihipStream_tbENKUlT_T0_SK_SP_E_clIPySE_SF_SF_EEDaS13_S14_SK_SP_EUlS13_E_NS1_11comp_targetILNS1_3genE9ELNS1_11target_archE1100ELNS1_3gpuE3ELNS1_3repE0EEENS1_47radix_sort_onesweep_sort_config_static_selectorELNS0_4arch9wavefront6targetE1EEEvSK_ ; -- Begin function _ZN7rocprim17ROCPRIM_400000_NS6detail17trampoline_kernelINS0_14default_configENS1_35radix_sort_onesweep_config_selectorIyNS0_10empty_typeEEEZZNS1_29radix_sort_onesweep_iterationIS3_Lb0EN6thrust23THRUST_200600_302600_NS6detail15normal_iteratorINS9_10device_ptrIyEEEESE_PS5_SF_jNS0_19identity_decomposerENS1_16block_id_wrapperIjLb0EEEEE10hipError_tT1_PNSt15iterator_traitsISK_E10value_typeET2_T3_PNSL_ISQ_E10value_typeET4_T5_PSV_SW_PNS1_23onesweep_lookback_stateEbbT6_jjT7_P12ihipStream_tbENKUlT_T0_SK_SP_E_clIPySE_SF_SF_EEDaS13_S14_SK_SP_EUlS13_E_NS1_11comp_targetILNS1_3genE9ELNS1_11target_archE1100ELNS1_3gpuE3ELNS1_3repE0EEENS1_47radix_sort_onesweep_sort_config_static_selectorELNS0_4arch9wavefront6targetE1EEEvSK_
	.globl	_ZN7rocprim17ROCPRIM_400000_NS6detail17trampoline_kernelINS0_14default_configENS1_35radix_sort_onesweep_config_selectorIyNS0_10empty_typeEEEZZNS1_29radix_sort_onesweep_iterationIS3_Lb0EN6thrust23THRUST_200600_302600_NS6detail15normal_iteratorINS9_10device_ptrIyEEEESE_PS5_SF_jNS0_19identity_decomposerENS1_16block_id_wrapperIjLb0EEEEE10hipError_tT1_PNSt15iterator_traitsISK_E10value_typeET2_T3_PNSL_ISQ_E10value_typeET4_T5_PSV_SW_PNS1_23onesweep_lookback_stateEbbT6_jjT7_P12ihipStream_tbENKUlT_T0_SK_SP_E_clIPySE_SF_SF_EEDaS13_S14_SK_SP_EUlS13_E_NS1_11comp_targetILNS1_3genE9ELNS1_11target_archE1100ELNS1_3gpuE3ELNS1_3repE0EEENS1_47radix_sort_onesweep_sort_config_static_selectorELNS0_4arch9wavefront6targetE1EEEvSK_
	.p2align	8
	.type	_ZN7rocprim17ROCPRIM_400000_NS6detail17trampoline_kernelINS0_14default_configENS1_35radix_sort_onesweep_config_selectorIyNS0_10empty_typeEEEZZNS1_29radix_sort_onesweep_iterationIS3_Lb0EN6thrust23THRUST_200600_302600_NS6detail15normal_iteratorINS9_10device_ptrIyEEEESE_PS5_SF_jNS0_19identity_decomposerENS1_16block_id_wrapperIjLb0EEEEE10hipError_tT1_PNSt15iterator_traitsISK_E10value_typeET2_T3_PNSL_ISQ_E10value_typeET4_T5_PSV_SW_PNS1_23onesweep_lookback_stateEbbT6_jjT7_P12ihipStream_tbENKUlT_T0_SK_SP_E_clIPySE_SF_SF_EEDaS13_S14_SK_SP_EUlS13_E_NS1_11comp_targetILNS1_3genE9ELNS1_11target_archE1100ELNS1_3gpuE3ELNS1_3repE0EEENS1_47radix_sort_onesweep_sort_config_static_selectorELNS0_4arch9wavefront6targetE1EEEvSK_,@function
_ZN7rocprim17ROCPRIM_400000_NS6detail17trampoline_kernelINS0_14default_configENS1_35radix_sort_onesweep_config_selectorIyNS0_10empty_typeEEEZZNS1_29radix_sort_onesweep_iterationIS3_Lb0EN6thrust23THRUST_200600_302600_NS6detail15normal_iteratorINS9_10device_ptrIyEEEESE_PS5_SF_jNS0_19identity_decomposerENS1_16block_id_wrapperIjLb0EEEEE10hipError_tT1_PNSt15iterator_traitsISK_E10value_typeET2_T3_PNSL_ISQ_E10value_typeET4_T5_PSV_SW_PNS1_23onesweep_lookback_stateEbbT6_jjT7_P12ihipStream_tbENKUlT_T0_SK_SP_E_clIPySE_SF_SF_EEDaS13_S14_SK_SP_EUlS13_E_NS1_11comp_targetILNS1_3genE9ELNS1_11target_archE1100ELNS1_3gpuE3ELNS1_3repE0EEENS1_47radix_sort_onesweep_sort_config_static_selectorELNS0_4arch9wavefront6targetE1EEEvSK_: ; @_ZN7rocprim17ROCPRIM_400000_NS6detail17trampoline_kernelINS0_14default_configENS1_35radix_sort_onesweep_config_selectorIyNS0_10empty_typeEEEZZNS1_29radix_sort_onesweep_iterationIS3_Lb0EN6thrust23THRUST_200600_302600_NS6detail15normal_iteratorINS9_10device_ptrIyEEEESE_PS5_SF_jNS0_19identity_decomposerENS1_16block_id_wrapperIjLb0EEEEE10hipError_tT1_PNSt15iterator_traitsISK_E10value_typeET2_T3_PNSL_ISQ_E10value_typeET4_T5_PSV_SW_PNS1_23onesweep_lookback_stateEbbT6_jjT7_P12ihipStream_tbENKUlT_T0_SK_SP_E_clIPySE_SF_SF_EEDaS13_S14_SK_SP_EUlS13_E_NS1_11comp_targetILNS1_3genE9ELNS1_11target_archE1100ELNS1_3gpuE3ELNS1_3repE0EEENS1_47radix_sort_onesweep_sort_config_static_selectorELNS0_4arch9wavefront6targetE1EEEvSK_
; %bb.0:
	.section	.rodata,"a",@progbits
	.p2align	6, 0x0
	.amdhsa_kernel _ZN7rocprim17ROCPRIM_400000_NS6detail17trampoline_kernelINS0_14default_configENS1_35radix_sort_onesweep_config_selectorIyNS0_10empty_typeEEEZZNS1_29radix_sort_onesweep_iterationIS3_Lb0EN6thrust23THRUST_200600_302600_NS6detail15normal_iteratorINS9_10device_ptrIyEEEESE_PS5_SF_jNS0_19identity_decomposerENS1_16block_id_wrapperIjLb0EEEEE10hipError_tT1_PNSt15iterator_traitsISK_E10value_typeET2_T3_PNSL_ISQ_E10value_typeET4_T5_PSV_SW_PNS1_23onesweep_lookback_stateEbbT6_jjT7_P12ihipStream_tbENKUlT_T0_SK_SP_E_clIPySE_SF_SF_EEDaS13_S14_SK_SP_EUlS13_E_NS1_11comp_targetILNS1_3genE9ELNS1_11target_archE1100ELNS1_3gpuE3ELNS1_3repE0EEENS1_47radix_sort_onesweep_sort_config_static_selectorELNS0_4arch9wavefront6targetE1EEEvSK_
		.amdhsa_group_segment_fixed_size 0
		.amdhsa_private_segment_fixed_size 0
		.amdhsa_kernarg_size 88
		.amdhsa_user_sgpr_count 2
		.amdhsa_user_sgpr_dispatch_ptr 0
		.amdhsa_user_sgpr_queue_ptr 0
		.amdhsa_user_sgpr_kernarg_segment_ptr 1
		.amdhsa_user_sgpr_dispatch_id 0
		.amdhsa_user_sgpr_kernarg_preload_length 0
		.amdhsa_user_sgpr_kernarg_preload_offset 0
		.amdhsa_user_sgpr_private_segment_size 0
		.amdhsa_uses_dynamic_stack 0
		.amdhsa_enable_private_segment 0
		.amdhsa_system_sgpr_workgroup_id_x 1
		.amdhsa_system_sgpr_workgroup_id_y 0
		.amdhsa_system_sgpr_workgroup_id_z 0
		.amdhsa_system_sgpr_workgroup_info 0
		.amdhsa_system_vgpr_workitem_id 0
		.amdhsa_next_free_vgpr 1
		.amdhsa_next_free_sgpr 0
		.amdhsa_accum_offset 4
		.amdhsa_reserve_vcc 0
		.amdhsa_float_round_mode_32 0
		.amdhsa_float_round_mode_16_64 0
		.amdhsa_float_denorm_mode_32 3
		.amdhsa_float_denorm_mode_16_64 3
		.amdhsa_dx10_clamp 1
		.amdhsa_ieee_mode 1
		.amdhsa_fp16_overflow 0
		.amdhsa_tg_split 0
		.amdhsa_exception_fp_ieee_invalid_op 0
		.amdhsa_exception_fp_denorm_src 0
		.amdhsa_exception_fp_ieee_div_zero 0
		.amdhsa_exception_fp_ieee_overflow 0
		.amdhsa_exception_fp_ieee_underflow 0
		.amdhsa_exception_fp_ieee_inexact 0
		.amdhsa_exception_int_div_zero 0
	.end_amdhsa_kernel
	.section	.text._ZN7rocprim17ROCPRIM_400000_NS6detail17trampoline_kernelINS0_14default_configENS1_35radix_sort_onesweep_config_selectorIyNS0_10empty_typeEEEZZNS1_29radix_sort_onesweep_iterationIS3_Lb0EN6thrust23THRUST_200600_302600_NS6detail15normal_iteratorINS9_10device_ptrIyEEEESE_PS5_SF_jNS0_19identity_decomposerENS1_16block_id_wrapperIjLb0EEEEE10hipError_tT1_PNSt15iterator_traitsISK_E10value_typeET2_T3_PNSL_ISQ_E10value_typeET4_T5_PSV_SW_PNS1_23onesweep_lookback_stateEbbT6_jjT7_P12ihipStream_tbENKUlT_T0_SK_SP_E_clIPySE_SF_SF_EEDaS13_S14_SK_SP_EUlS13_E_NS1_11comp_targetILNS1_3genE9ELNS1_11target_archE1100ELNS1_3gpuE3ELNS1_3repE0EEENS1_47radix_sort_onesweep_sort_config_static_selectorELNS0_4arch9wavefront6targetE1EEEvSK_,"axG",@progbits,_ZN7rocprim17ROCPRIM_400000_NS6detail17trampoline_kernelINS0_14default_configENS1_35radix_sort_onesweep_config_selectorIyNS0_10empty_typeEEEZZNS1_29radix_sort_onesweep_iterationIS3_Lb0EN6thrust23THRUST_200600_302600_NS6detail15normal_iteratorINS9_10device_ptrIyEEEESE_PS5_SF_jNS0_19identity_decomposerENS1_16block_id_wrapperIjLb0EEEEE10hipError_tT1_PNSt15iterator_traitsISK_E10value_typeET2_T3_PNSL_ISQ_E10value_typeET4_T5_PSV_SW_PNS1_23onesweep_lookback_stateEbbT6_jjT7_P12ihipStream_tbENKUlT_T0_SK_SP_E_clIPySE_SF_SF_EEDaS13_S14_SK_SP_EUlS13_E_NS1_11comp_targetILNS1_3genE9ELNS1_11target_archE1100ELNS1_3gpuE3ELNS1_3repE0EEENS1_47radix_sort_onesweep_sort_config_static_selectorELNS0_4arch9wavefront6targetE1EEEvSK_,comdat
.Lfunc_end916:
	.size	_ZN7rocprim17ROCPRIM_400000_NS6detail17trampoline_kernelINS0_14default_configENS1_35radix_sort_onesweep_config_selectorIyNS0_10empty_typeEEEZZNS1_29radix_sort_onesweep_iterationIS3_Lb0EN6thrust23THRUST_200600_302600_NS6detail15normal_iteratorINS9_10device_ptrIyEEEESE_PS5_SF_jNS0_19identity_decomposerENS1_16block_id_wrapperIjLb0EEEEE10hipError_tT1_PNSt15iterator_traitsISK_E10value_typeET2_T3_PNSL_ISQ_E10value_typeET4_T5_PSV_SW_PNS1_23onesweep_lookback_stateEbbT6_jjT7_P12ihipStream_tbENKUlT_T0_SK_SP_E_clIPySE_SF_SF_EEDaS13_S14_SK_SP_EUlS13_E_NS1_11comp_targetILNS1_3genE9ELNS1_11target_archE1100ELNS1_3gpuE3ELNS1_3repE0EEENS1_47radix_sort_onesweep_sort_config_static_selectorELNS0_4arch9wavefront6targetE1EEEvSK_, .Lfunc_end916-_ZN7rocprim17ROCPRIM_400000_NS6detail17trampoline_kernelINS0_14default_configENS1_35radix_sort_onesweep_config_selectorIyNS0_10empty_typeEEEZZNS1_29radix_sort_onesweep_iterationIS3_Lb0EN6thrust23THRUST_200600_302600_NS6detail15normal_iteratorINS9_10device_ptrIyEEEESE_PS5_SF_jNS0_19identity_decomposerENS1_16block_id_wrapperIjLb0EEEEE10hipError_tT1_PNSt15iterator_traitsISK_E10value_typeET2_T3_PNSL_ISQ_E10value_typeET4_T5_PSV_SW_PNS1_23onesweep_lookback_stateEbbT6_jjT7_P12ihipStream_tbENKUlT_T0_SK_SP_E_clIPySE_SF_SF_EEDaS13_S14_SK_SP_EUlS13_E_NS1_11comp_targetILNS1_3genE9ELNS1_11target_archE1100ELNS1_3gpuE3ELNS1_3repE0EEENS1_47radix_sort_onesweep_sort_config_static_selectorELNS0_4arch9wavefront6targetE1EEEvSK_
                                        ; -- End function
	.section	.AMDGPU.csdata,"",@progbits
; Kernel info:
; codeLenInByte = 0
; NumSgprs: 6
; NumVgprs: 0
; NumAgprs: 0
; TotalNumVgprs: 0
; ScratchSize: 0
; MemoryBound: 0
; FloatMode: 240
; IeeeMode: 1
; LDSByteSize: 0 bytes/workgroup (compile time only)
; SGPRBlocks: 0
; VGPRBlocks: 0
; NumSGPRsForWavesPerEU: 6
; NumVGPRsForWavesPerEU: 1
; AccumOffset: 4
; Occupancy: 8
; WaveLimiterHint : 0
; COMPUTE_PGM_RSRC2:SCRATCH_EN: 0
; COMPUTE_PGM_RSRC2:USER_SGPR: 2
; COMPUTE_PGM_RSRC2:TRAP_HANDLER: 0
; COMPUTE_PGM_RSRC2:TGID_X_EN: 1
; COMPUTE_PGM_RSRC2:TGID_Y_EN: 0
; COMPUTE_PGM_RSRC2:TGID_Z_EN: 0
; COMPUTE_PGM_RSRC2:TIDIG_COMP_CNT: 0
; COMPUTE_PGM_RSRC3_GFX90A:ACCUM_OFFSET: 0
; COMPUTE_PGM_RSRC3_GFX90A:TG_SPLIT: 0
	.section	.text._ZN7rocprim17ROCPRIM_400000_NS6detail17trampoline_kernelINS0_14default_configENS1_35radix_sort_onesweep_config_selectorIyNS0_10empty_typeEEEZZNS1_29radix_sort_onesweep_iterationIS3_Lb0EN6thrust23THRUST_200600_302600_NS6detail15normal_iteratorINS9_10device_ptrIyEEEESE_PS5_SF_jNS0_19identity_decomposerENS1_16block_id_wrapperIjLb0EEEEE10hipError_tT1_PNSt15iterator_traitsISK_E10value_typeET2_T3_PNSL_ISQ_E10value_typeET4_T5_PSV_SW_PNS1_23onesweep_lookback_stateEbbT6_jjT7_P12ihipStream_tbENKUlT_T0_SK_SP_E_clIPySE_SF_SF_EEDaS13_S14_SK_SP_EUlS13_E_NS1_11comp_targetILNS1_3genE8ELNS1_11target_archE1030ELNS1_3gpuE2ELNS1_3repE0EEENS1_47radix_sort_onesweep_sort_config_static_selectorELNS0_4arch9wavefront6targetE1EEEvSK_,"axG",@progbits,_ZN7rocprim17ROCPRIM_400000_NS6detail17trampoline_kernelINS0_14default_configENS1_35radix_sort_onesweep_config_selectorIyNS0_10empty_typeEEEZZNS1_29radix_sort_onesweep_iterationIS3_Lb0EN6thrust23THRUST_200600_302600_NS6detail15normal_iteratorINS9_10device_ptrIyEEEESE_PS5_SF_jNS0_19identity_decomposerENS1_16block_id_wrapperIjLb0EEEEE10hipError_tT1_PNSt15iterator_traitsISK_E10value_typeET2_T3_PNSL_ISQ_E10value_typeET4_T5_PSV_SW_PNS1_23onesweep_lookback_stateEbbT6_jjT7_P12ihipStream_tbENKUlT_T0_SK_SP_E_clIPySE_SF_SF_EEDaS13_S14_SK_SP_EUlS13_E_NS1_11comp_targetILNS1_3genE8ELNS1_11target_archE1030ELNS1_3gpuE2ELNS1_3repE0EEENS1_47radix_sort_onesweep_sort_config_static_selectorELNS0_4arch9wavefront6targetE1EEEvSK_,comdat
	.protected	_ZN7rocprim17ROCPRIM_400000_NS6detail17trampoline_kernelINS0_14default_configENS1_35radix_sort_onesweep_config_selectorIyNS0_10empty_typeEEEZZNS1_29radix_sort_onesweep_iterationIS3_Lb0EN6thrust23THRUST_200600_302600_NS6detail15normal_iteratorINS9_10device_ptrIyEEEESE_PS5_SF_jNS0_19identity_decomposerENS1_16block_id_wrapperIjLb0EEEEE10hipError_tT1_PNSt15iterator_traitsISK_E10value_typeET2_T3_PNSL_ISQ_E10value_typeET4_T5_PSV_SW_PNS1_23onesweep_lookback_stateEbbT6_jjT7_P12ihipStream_tbENKUlT_T0_SK_SP_E_clIPySE_SF_SF_EEDaS13_S14_SK_SP_EUlS13_E_NS1_11comp_targetILNS1_3genE8ELNS1_11target_archE1030ELNS1_3gpuE2ELNS1_3repE0EEENS1_47radix_sort_onesweep_sort_config_static_selectorELNS0_4arch9wavefront6targetE1EEEvSK_ ; -- Begin function _ZN7rocprim17ROCPRIM_400000_NS6detail17trampoline_kernelINS0_14default_configENS1_35radix_sort_onesweep_config_selectorIyNS0_10empty_typeEEEZZNS1_29radix_sort_onesweep_iterationIS3_Lb0EN6thrust23THRUST_200600_302600_NS6detail15normal_iteratorINS9_10device_ptrIyEEEESE_PS5_SF_jNS0_19identity_decomposerENS1_16block_id_wrapperIjLb0EEEEE10hipError_tT1_PNSt15iterator_traitsISK_E10value_typeET2_T3_PNSL_ISQ_E10value_typeET4_T5_PSV_SW_PNS1_23onesweep_lookback_stateEbbT6_jjT7_P12ihipStream_tbENKUlT_T0_SK_SP_E_clIPySE_SF_SF_EEDaS13_S14_SK_SP_EUlS13_E_NS1_11comp_targetILNS1_3genE8ELNS1_11target_archE1030ELNS1_3gpuE2ELNS1_3repE0EEENS1_47radix_sort_onesweep_sort_config_static_selectorELNS0_4arch9wavefront6targetE1EEEvSK_
	.globl	_ZN7rocprim17ROCPRIM_400000_NS6detail17trampoline_kernelINS0_14default_configENS1_35radix_sort_onesweep_config_selectorIyNS0_10empty_typeEEEZZNS1_29radix_sort_onesweep_iterationIS3_Lb0EN6thrust23THRUST_200600_302600_NS6detail15normal_iteratorINS9_10device_ptrIyEEEESE_PS5_SF_jNS0_19identity_decomposerENS1_16block_id_wrapperIjLb0EEEEE10hipError_tT1_PNSt15iterator_traitsISK_E10value_typeET2_T3_PNSL_ISQ_E10value_typeET4_T5_PSV_SW_PNS1_23onesweep_lookback_stateEbbT6_jjT7_P12ihipStream_tbENKUlT_T0_SK_SP_E_clIPySE_SF_SF_EEDaS13_S14_SK_SP_EUlS13_E_NS1_11comp_targetILNS1_3genE8ELNS1_11target_archE1030ELNS1_3gpuE2ELNS1_3repE0EEENS1_47radix_sort_onesweep_sort_config_static_selectorELNS0_4arch9wavefront6targetE1EEEvSK_
	.p2align	8
	.type	_ZN7rocprim17ROCPRIM_400000_NS6detail17trampoline_kernelINS0_14default_configENS1_35radix_sort_onesweep_config_selectorIyNS0_10empty_typeEEEZZNS1_29radix_sort_onesweep_iterationIS3_Lb0EN6thrust23THRUST_200600_302600_NS6detail15normal_iteratorINS9_10device_ptrIyEEEESE_PS5_SF_jNS0_19identity_decomposerENS1_16block_id_wrapperIjLb0EEEEE10hipError_tT1_PNSt15iterator_traitsISK_E10value_typeET2_T3_PNSL_ISQ_E10value_typeET4_T5_PSV_SW_PNS1_23onesweep_lookback_stateEbbT6_jjT7_P12ihipStream_tbENKUlT_T0_SK_SP_E_clIPySE_SF_SF_EEDaS13_S14_SK_SP_EUlS13_E_NS1_11comp_targetILNS1_3genE8ELNS1_11target_archE1030ELNS1_3gpuE2ELNS1_3repE0EEENS1_47radix_sort_onesweep_sort_config_static_selectorELNS0_4arch9wavefront6targetE1EEEvSK_,@function
_ZN7rocprim17ROCPRIM_400000_NS6detail17trampoline_kernelINS0_14default_configENS1_35radix_sort_onesweep_config_selectorIyNS0_10empty_typeEEEZZNS1_29radix_sort_onesweep_iterationIS3_Lb0EN6thrust23THRUST_200600_302600_NS6detail15normal_iteratorINS9_10device_ptrIyEEEESE_PS5_SF_jNS0_19identity_decomposerENS1_16block_id_wrapperIjLb0EEEEE10hipError_tT1_PNSt15iterator_traitsISK_E10value_typeET2_T3_PNSL_ISQ_E10value_typeET4_T5_PSV_SW_PNS1_23onesweep_lookback_stateEbbT6_jjT7_P12ihipStream_tbENKUlT_T0_SK_SP_E_clIPySE_SF_SF_EEDaS13_S14_SK_SP_EUlS13_E_NS1_11comp_targetILNS1_3genE8ELNS1_11target_archE1030ELNS1_3gpuE2ELNS1_3repE0EEENS1_47radix_sort_onesweep_sort_config_static_selectorELNS0_4arch9wavefront6targetE1EEEvSK_: ; @_ZN7rocprim17ROCPRIM_400000_NS6detail17trampoline_kernelINS0_14default_configENS1_35radix_sort_onesweep_config_selectorIyNS0_10empty_typeEEEZZNS1_29radix_sort_onesweep_iterationIS3_Lb0EN6thrust23THRUST_200600_302600_NS6detail15normal_iteratorINS9_10device_ptrIyEEEESE_PS5_SF_jNS0_19identity_decomposerENS1_16block_id_wrapperIjLb0EEEEE10hipError_tT1_PNSt15iterator_traitsISK_E10value_typeET2_T3_PNSL_ISQ_E10value_typeET4_T5_PSV_SW_PNS1_23onesweep_lookback_stateEbbT6_jjT7_P12ihipStream_tbENKUlT_T0_SK_SP_E_clIPySE_SF_SF_EEDaS13_S14_SK_SP_EUlS13_E_NS1_11comp_targetILNS1_3genE8ELNS1_11target_archE1030ELNS1_3gpuE2ELNS1_3repE0EEENS1_47radix_sort_onesweep_sort_config_static_selectorELNS0_4arch9wavefront6targetE1EEEvSK_
; %bb.0:
	.section	.rodata,"a",@progbits
	.p2align	6, 0x0
	.amdhsa_kernel _ZN7rocprim17ROCPRIM_400000_NS6detail17trampoline_kernelINS0_14default_configENS1_35radix_sort_onesweep_config_selectorIyNS0_10empty_typeEEEZZNS1_29radix_sort_onesweep_iterationIS3_Lb0EN6thrust23THRUST_200600_302600_NS6detail15normal_iteratorINS9_10device_ptrIyEEEESE_PS5_SF_jNS0_19identity_decomposerENS1_16block_id_wrapperIjLb0EEEEE10hipError_tT1_PNSt15iterator_traitsISK_E10value_typeET2_T3_PNSL_ISQ_E10value_typeET4_T5_PSV_SW_PNS1_23onesweep_lookback_stateEbbT6_jjT7_P12ihipStream_tbENKUlT_T0_SK_SP_E_clIPySE_SF_SF_EEDaS13_S14_SK_SP_EUlS13_E_NS1_11comp_targetILNS1_3genE8ELNS1_11target_archE1030ELNS1_3gpuE2ELNS1_3repE0EEENS1_47radix_sort_onesweep_sort_config_static_selectorELNS0_4arch9wavefront6targetE1EEEvSK_
		.amdhsa_group_segment_fixed_size 0
		.amdhsa_private_segment_fixed_size 0
		.amdhsa_kernarg_size 88
		.amdhsa_user_sgpr_count 2
		.amdhsa_user_sgpr_dispatch_ptr 0
		.amdhsa_user_sgpr_queue_ptr 0
		.amdhsa_user_sgpr_kernarg_segment_ptr 1
		.amdhsa_user_sgpr_dispatch_id 0
		.amdhsa_user_sgpr_kernarg_preload_length 0
		.amdhsa_user_sgpr_kernarg_preload_offset 0
		.amdhsa_user_sgpr_private_segment_size 0
		.amdhsa_uses_dynamic_stack 0
		.amdhsa_enable_private_segment 0
		.amdhsa_system_sgpr_workgroup_id_x 1
		.amdhsa_system_sgpr_workgroup_id_y 0
		.amdhsa_system_sgpr_workgroup_id_z 0
		.amdhsa_system_sgpr_workgroup_info 0
		.amdhsa_system_vgpr_workitem_id 0
		.amdhsa_next_free_vgpr 1
		.amdhsa_next_free_sgpr 0
		.amdhsa_accum_offset 4
		.amdhsa_reserve_vcc 0
		.amdhsa_float_round_mode_32 0
		.amdhsa_float_round_mode_16_64 0
		.amdhsa_float_denorm_mode_32 3
		.amdhsa_float_denorm_mode_16_64 3
		.amdhsa_dx10_clamp 1
		.amdhsa_ieee_mode 1
		.amdhsa_fp16_overflow 0
		.amdhsa_tg_split 0
		.amdhsa_exception_fp_ieee_invalid_op 0
		.amdhsa_exception_fp_denorm_src 0
		.amdhsa_exception_fp_ieee_div_zero 0
		.amdhsa_exception_fp_ieee_overflow 0
		.amdhsa_exception_fp_ieee_underflow 0
		.amdhsa_exception_fp_ieee_inexact 0
		.amdhsa_exception_int_div_zero 0
	.end_amdhsa_kernel
	.section	.text._ZN7rocprim17ROCPRIM_400000_NS6detail17trampoline_kernelINS0_14default_configENS1_35radix_sort_onesweep_config_selectorIyNS0_10empty_typeEEEZZNS1_29radix_sort_onesweep_iterationIS3_Lb0EN6thrust23THRUST_200600_302600_NS6detail15normal_iteratorINS9_10device_ptrIyEEEESE_PS5_SF_jNS0_19identity_decomposerENS1_16block_id_wrapperIjLb0EEEEE10hipError_tT1_PNSt15iterator_traitsISK_E10value_typeET2_T3_PNSL_ISQ_E10value_typeET4_T5_PSV_SW_PNS1_23onesweep_lookback_stateEbbT6_jjT7_P12ihipStream_tbENKUlT_T0_SK_SP_E_clIPySE_SF_SF_EEDaS13_S14_SK_SP_EUlS13_E_NS1_11comp_targetILNS1_3genE8ELNS1_11target_archE1030ELNS1_3gpuE2ELNS1_3repE0EEENS1_47radix_sort_onesweep_sort_config_static_selectorELNS0_4arch9wavefront6targetE1EEEvSK_,"axG",@progbits,_ZN7rocprim17ROCPRIM_400000_NS6detail17trampoline_kernelINS0_14default_configENS1_35radix_sort_onesweep_config_selectorIyNS0_10empty_typeEEEZZNS1_29radix_sort_onesweep_iterationIS3_Lb0EN6thrust23THRUST_200600_302600_NS6detail15normal_iteratorINS9_10device_ptrIyEEEESE_PS5_SF_jNS0_19identity_decomposerENS1_16block_id_wrapperIjLb0EEEEE10hipError_tT1_PNSt15iterator_traitsISK_E10value_typeET2_T3_PNSL_ISQ_E10value_typeET4_T5_PSV_SW_PNS1_23onesweep_lookback_stateEbbT6_jjT7_P12ihipStream_tbENKUlT_T0_SK_SP_E_clIPySE_SF_SF_EEDaS13_S14_SK_SP_EUlS13_E_NS1_11comp_targetILNS1_3genE8ELNS1_11target_archE1030ELNS1_3gpuE2ELNS1_3repE0EEENS1_47radix_sort_onesweep_sort_config_static_selectorELNS0_4arch9wavefront6targetE1EEEvSK_,comdat
.Lfunc_end917:
	.size	_ZN7rocprim17ROCPRIM_400000_NS6detail17trampoline_kernelINS0_14default_configENS1_35radix_sort_onesweep_config_selectorIyNS0_10empty_typeEEEZZNS1_29radix_sort_onesweep_iterationIS3_Lb0EN6thrust23THRUST_200600_302600_NS6detail15normal_iteratorINS9_10device_ptrIyEEEESE_PS5_SF_jNS0_19identity_decomposerENS1_16block_id_wrapperIjLb0EEEEE10hipError_tT1_PNSt15iterator_traitsISK_E10value_typeET2_T3_PNSL_ISQ_E10value_typeET4_T5_PSV_SW_PNS1_23onesweep_lookback_stateEbbT6_jjT7_P12ihipStream_tbENKUlT_T0_SK_SP_E_clIPySE_SF_SF_EEDaS13_S14_SK_SP_EUlS13_E_NS1_11comp_targetILNS1_3genE8ELNS1_11target_archE1030ELNS1_3gpuE2ELNS1_3repE0EEENS1_47radix_sort_onesweep_sort_config_static_selectorELNS0_4arch9wavefront6targetE1EEEvSK_, .Lfunc_end917-_ZN7rocprim17ROCPRIM_400000_NS6detail17trampoline_kernelINS0_14default_configENS1_35radix_sort_onesweep_config_selectorIyNS0_10empty_typeEEEZZNS1_29radix_sort_onesweep_iterationIS3_Lb0EN6thrust23THRUST_200600_302600_NS6detail15normal_iteratorINS9_10device_ptrIyEEEESE_PS5_SF_jNS0_19identity_decomposerENS1_16block_id_wrapperIjLb0EEEEE10hipError_tT1_PNSt15iterator_traitsISK_E10value_typeET2_T3_PNSL_ISQ_E10value_typeET4_T5_PSV_SW_PNS1_23onesweep_lookback_stateEbbT6_jjT7_P12ihipStream_tbENKUlT_T0_SK_SP_E_clIPySE_SF_SF_EEDaS13_S14_SK_SP_EUlS13_E_NS1_11comp_targetILNS1_3genE8ELNS1_11target_archE1030ELNS1_3gpuE2ELNS1_3repE0EEENS1_47radix_sort_onesweep_sort_config_static_selectorELNS0_4arch9wavefront6targetE1EEEvSK_
                                        ; -- End function
	.section	.AMDGPU.csdata,"",@progbits
; Kernel info:
; codeLenInByte = 0
; NumSgprs: 6
; NumVgprs: 0
; NumAgprs: 0
; TotalNumVgprs: 0
; ScratchSize: 0
; MemoryBound: 0
; FloatMode: 240
; IeeeMode: 1
; LDSByteSize: 0 bytes/workgroup (compile time only)
; SGPRBlocks: 0
; VGPRBlocks: 0
; NumSGPRsForWavesPerEU: 6
; NumVGPRsForWavesPerEU: 1
; AccumOffset: 4
; Occupancy: 8
; WaveLimiterHint : 0
; COMPUTE_PGM_RSRC2:SCRATCH_EN: 0
; COMPUTE_PGM_RSRC2:USER_SGPR: 2
; COMPUTE_PGM_RSRC2:TRAP_HANDLER: 0
; COMPUTE_PGM_RSRC2:TGID_X_EN: 1
; COMPUTE_PGM_RSRC2:TGID_Y_EN: 0
; COMPUTE_PGM_RSRC2:TGID_Z_EN: 0
; COMPUTE_PGM_RSRC2:TIDIG_COMP_CNT: 0
; COMPUTE_PGM_RSRC3_GFX90A:ACCUM_OFFSET: 0
; COMPUTE_PGM_RSRC3_GFX90A:TG_SPLIT: 0
	.section	.text._ZN6thrust23THRUST_200600_302600_NS11hip_rocprim14__parallel_for6kernelILj256ENS1_20__uninitialized_copy7functorINS0_6detail15normal_iteratorINS0_10device_ptrIjEEEENS7_INS0_7pointerIjNS1_3tagENS0_11use_defaultESD_EEEEEElLj1EEEvT0_T1_SI_,"axG",@progbits,_ZN6thrust23THRUST_200600_302600_NS11hip_rocprim14__parallel_for6kernelILj256ENS1_20__uninitialized_copy7functorINS0_6detail15normal_iteratorINS0_10device_ptrIjEEEENS7_INS0_7pointerIjNS1_3tagENS0_11use_defaultESD_EEEEEElLj1EEEvT0_T1_SI_,comdat
	.protected	_ZN6thrust23THRUST_200600_302600_NS11hip_rocprim14__parallel_for6kernelILj256ENS1_20__uninitialized_copy7functorINS0_6detail15normal_iteratorINS0_10device_ptrIjEEEENS7_INS0_7pointerIjNS1_3tagENS0_11use_defaultESD_EEEEEElLj1EEEvT0_T1_SI_ ; -- Begin function _ZN6thrust23THRUST_200600_302600_NS11hip_rocprim14__parallel_for6kernelILj256ENS1_20__uninitialized_copy7functorINS0_6detail15normal_iteratorINS0_10device_ptrIjEEEENS7_INS0_7pointerIjNS1_3tagENS0_11use_defaultESD_EEEEEElLj1EEEvT0_T1_SI_
	.globl	_ZN6thrust23THRUST_200600_302600_NS11hip_rocprim14__parallel_for6kernelILj256ENS1_20__uninitialized_copy7functorINS0_6detail15normal_iteratorINS0_10device_ptrIjEEEENS7_INS0_7pointerIjNS1_3tagENS0_11use_defaultESD_EEEEEElLj1EEEvT0_T1_SI_
	.p2align	8
	.type	_ZN6thrust23THRUST_200600_302600_NS11hip_rocprim14__parallel_for6kernelILj256ENS1_20__uninitialized_copy7functorINS0_6detail15normal_iteratorINS0_10device_ptrIjEEEENS7_INS0_7pointerIjNS1_3tagENS0_11use_defaultESD_EEEEEElLj1EEEvT0_T1_SI_,@function
_ZN6thrust23THRUST_200600_302600_NS11hip_rocprim14__parallel_for6kernelILj256ENS1_20__uninitialized_copy7functorINS0_6detail15normal_iteratorINS0_10device_ptrIjEEEENS7_INS0_7pointerIjNS1_3tagENS0_11use_defaultESD_EEEEEElLj1EEEvT0_T1_SI_: ; @_ZN6thrust23THRUST_200600_302600_NS11hip_rocprim14__parallel_for6kernelILj256ENS1_20__uninitialized_copy7functorINS0_6detail15normal_iteratorINS0_10device_ptrIjEEEENS7_INS0_7pointerIjNS1_3tagENS0_11use_defaultESD_EEEEEElLj1EEEvT0_T1_SI_
; %bb.0:
	s_load_dwordx8 s[4:11], s[0:1], 0x0
	s_lshl_b32 s0, s2, 8
	v_mov_b64_e32 v[2:3], 0x100
	s_waitcnt lgkmcnt(0)
	s_add_u32 s0, s0, s10
	s_addc_u32 s1, 0, s11
	s_sub_u32 s2, s8, s0
	s_subb_u32 s3, s9, s1
	v_cmp_lt_i64_e32 vcc, s[2:3], v[2:3]
	s_and_b64 s[8:9], vcc, exec
	s_cselect_b32 s2, s2, 0x100
	s_cmpk_lg_i32 s2, 0x100
	s_cbranch_scc0 .LBB918_4
; %bb.1:
	v_cmp_gt_u32_e32 vcc, s2, v0
	s_mov_b64 s[8:9], 0
	s_mov_b64 s[2:3], 0
                                        ; implicit-def: $vgpr2_vgpr3
                                        ; implicit-def: $vgpr4_vgpr5
	s_and_saveexec_b64 s[10:11], vcc
	s_xor_b64 s[10:11], exec, s[10:11]
; %bb.2:
	v_mov_b32_e32 v1, 0
	v_lshl_add_u64 v[2:3], s[0:1], 0, v[0:1]
	v_lshlrev_b64 v[4:5], 2, v[2:3]
	s_mov_b64 s[2:3], exec
	v_lshl_add_u64 v[2:3], s[6:7], 0, v[4:5]
	v_lshl_add_u64 v[4:5], s[4:5], 0, v[4:5]
; %bb.3:
	s_or_b64 exec, exec, s[10:11]
	s_and_b64 vcc, exec, s[8:9]
	s_cbranch_vccnz .LBB918_5
	s_branch .LBB918_6
.LBB918_4:
	s_mov_b64 s[2:3], 0
                                        ; implicit-def: $vgpr2_vgpr3
                                        ; implicit-def: $vgpr4_vgpr5
	s_cbranch_execz .LBB918_6
.LBB918_5:
	v_mov_b32_e32 v1, 0
	v_lshl_add_u64 v[0:1], s[0:1], 0, v[0:1]
	v_lshlrev_b64 v[0:1], 2, v[0:1]
	v_lshl_add_u64 v[4:5], s[4:5], 0, v[0:1]
	v_lshl_add_u64 v[2:3], s[6:7], 0, v[0:1]
	s_or_b64 s[2:3], s[2:3], exec
.LBB918_6:
	s_and_saveexec_b64 s[0:1], s[2:3]
	s_cbranch_execnz .LBB918_8
; %bb.7:
	s_endpgm
.LBB918_8:
	flat_load_dword v0, v[4:5]
	s_waitcnt vmcnt(0) lgkmcnt(0)
	flat_store_dword v[2:3], v0
	s_endpgm
	.section	.rodata,"a",@progbits
	.p2align	6, 0x0
	.amdhsa_kernel _ZN6thrust23THRUST_200600_302600_NS11hip_rocprim14__parallel_for6kernelILj256ENS1_20__uninitialized_copy7functorINS0_6detail15normal_iteratorINS0_10device_ptrIjEEEENS7_INS0_7pointerIjNS1_3tagENS0_11use_defaultESD_EEEEEElLj1EEEvT0_T1_SI_
		.amdhsa_group_segment_fixed_size 0
		.amdhsa_private_segment_fixed_size 0
		.amdhsa_kernarg_size 32
		.amdhsa_user_sgpr_count 2
		.amdhsa_user_sgpr_dispatch_ptr 0
		.amdhsa_user_sgpr_queue_ptr 0
		.amdhsa_user_sgpr_kernarg_segment_ptr 1
		.amdhsa_user_sgpr_dispatch_id 0
		.amdhsa_user_sgpr_kernarg_preload_length 0
		.amdhsa_user_sgpr_kernarg_preload_offset 0
		.amdhsa_user_sgpr_private_segment_size 0
		.amdhsa_uses_dynamic_stack 0
		.amdhsa_enable_private_segment 0
		.amdhsa_system_sgpr_workgroup_id_x 1
		.amdhsa_system_sgpr_workgroup_id_y 0
		.amdhsa_system_sgpr_workgroup_id_z 0
		.amdhsa_system_sgpr_workgroup_info 0
		.amdhsa_system_vgpr_workitem_id 0
		.amdhsa_next_free_vgpr 6
		.amdhsa_next_free_sgpr 12
		.amdhsa_accum_offset 8
		.amdhsa_reserve_vcc 1
		.amdhsa_float_round_mode_32 0
		.amdhsa_float_round_mode_16_64 0
		.amdhsa_float_denorm_mode_32 3
		.amdhsa_float_denorm_mode_16_64 3
		.amdhsa_dx10_clamp 1
		.amdhsa_ieee_mode 1
		.amdhsa_fp16_overflow 0
		.amdhsa_tg_split 0
		.amdhsa_exception_fp_ieee_invalid_op 0
		.amdhsa_exception_fp_denorm_src 0
		.amdhsa_exception_fp_ieee_div_zero 0
		.amdhsa_exception_fp_ieee_overflow 0
		.amdhsa_exception_fp_ieee_underflow 0
		.amdhsa_exception_fp_ieee_inexact 0
		.amdhsa_exception_int_div_zero 0
	.end_amdhsa_kernel
	.section	.text._ZN6thrust23THRUST_200600_302600_NS11hip_rocprim14__parallel_for6kernelILj256ENS1_20__uninitialized_copy7functorINS0_6detail15normal_iteratorINS0_10device_ptrIjEEEENS7_INS0_7pointerIjNS1_3tagENS0_11use_defaultESD_EEEEEElLj1EEEvT0_T1_SI_,"axG",@progbits,_ZN6thrust23THRUST_200600_302600_NS11hip_rocprim14__parallel_for6kernelILj256ENS1_20__uninitialized_copy7functorINS0_6detail15normal_iteratorINS0_10device_ptrIjEEEENS7_INS0_7pointerIjNS1_3tagENS0_11use_defaultESD_EEEEEElLj1EEEvT0_T1_SI_,comdat
.Lfunc_end918:
	.size	_ZN6thrust23THRUST_200600_302600_NS11hip_rocprim14__parallel_for6kernelILj256ENS1_20__uninitialized_copy7functorINS0_6detail15normal_iteratorINS0_10device_ptrIjEEEENS7_INS0_7pointerIjNS1_3tagENS0_11use_defaultESD_EEEEEElLj1EEEvT0_T1_SI_, .Lfunc_end918-_ZN6thrust23THRUST_200600_302600_NS11hip_rocprim14__parallel_for6kernelILj256ENS1_20__uninitialized_copy7functorINS0_6detail15normal_iteratorINS0_10device_ptrIjEEEENS7_INS0_7pointerIjNS1_3tagENS0_11use_defaultESD_EEEEEElLj1EEEvT0_T1_SI_
                                        ; -- End function
	.section	.AMDGPU.csdata,"",@progbits
; Kernel info:
; codeLenInByte = 224
; NumSgprs: 18
; NumVgprs: 6
; NumAgprs: 0
; TotalNumVgprs: 6
; ScratchSize: 0
; MemoryBound: 0
; FloatMode: 240
; IeeeMode: 1
; LDSByteSize: 0 bytes/workgroup (compile time only)
; SGPRBlocks: 2
; VGPRBlocks: 0
; NumSGPRsForWavesPerEU: 18
; NumVGPRsForWavesPerEU: 6
; AccumOffset: 8
; Occupancy: 8
; WaveLimiterHint : 0
; COMPUTE_PGM_RSRC2:SCRATCH_EN: 0
; COMPUTE_PGM_RSRC2:USER_SGPR: 2
; COMPUTE_PGM_RSRC2:TRAP_HANDLER: 0
; COMPUTE_PGM_RSRC2:TGID_X_EN: 1
; COMPUTE_PGM_RSRC2:TGID_Y_EN: 0
; COMPUTE_PGM_RSRC2:TGID_Z_EN: 0
; COMPUTE_PGM_RSRC2:TIDIG_COMP_CNT: 0
; COMPUTE_PGM_RSRC3_GFX90A:ACCUM_OFFSET: 1
; COMPUTE_PGM_RSRC3_GFX90A:TG_SPLIT: 0
	.section	.text._ZN7rocprim17ROCPRIM_400000_NS6detail17trampoline_kernelINS0_14default_configENS1_25partition_config_selectorILNS1_17partition_subalgoE3EjNS0_10empty_typeEbEEZZNS1_14partition_implILS5_3ELb0ES3_jN6thrust23THRUST_200600_302600_NS6detail15normal_iteratorINSA_7pointerIjNSA_11hip_rocprim3tagENSA_11use_defaultESG_EEEEPS6_SJ_NS0_5tupleIJPjSJ_EEENSK_IJSJ_SJ_EEES6_PlJ7is_evenIjEEEE10hipError_tPvRmT3_T4_T5_T6_T7_T9_mT8_P12ihipStream_tbDpT10_ENKUlT_T0_E_clISt17integral_constantIbLb0EES1A_EEDaS15_S16_EUlS15_E_NS1_11comp_targetILNS1_3genE0ELNS1_11target_archE4294967295ELNS1_3gpuE0ELNS1_3repE0EEENS1_30default_config_static_selectorELNS0_4arch9wavefront6targetE1EEEvT1_,"axG",@progbits,_ZN7rocprim17ROCPRIM_400000_NS6detail17trampoline_kernelINS0_14default_configENS1_25partition_config_selectorILNS1_17partition_subalgoE3EjNS0_10empty_typeEbEEZZNS1_14partition_implILS5_3ELb0ES3_jN6thrust23THRUST_200600_302600_NS6detail15normal_iteratorINSA_7pointerIjNSA_11hip_rocprim3tagENSA_11use_defaultESG_EEEEPS6_SJ_NS0_5tupleIJPjSJ_EEENSK_IJSJ_SJ_EEES6_PlJ7is_evenIjEEEE10hipError_tPvRmT3_T4_T5_T6_T7_T9_mT8_P12ihipStream_tbDpT10_ENKUlT_T0_E_clISt17integral_constantIbLb0EES1A_EEDaS15_S16_EUlS15_E_NS1_11comp_targetILNS1_3genE0ELNS1_11target_archE4294967295ELNS1_3gpuE0ELNS1_3repE0EEENS1_30default_config_static_selectorELNS0_4arch9wavefront6targetE1EEEvT1_,comdat
	.protected	_ZN7rocprim17ROCPRIM_400000_NS6detail17trampoline_kernelINS0_14default_configENS1_25partition_config_selectorILNS1_17partition_subalgoE3EjNS0_10empty_typeEbEEZZNS1_14partition_implILS5_3ELb0ES3_jN6thrust23THRUST_200600_302600_NS6detail15normal_iteratorINSA_7pointerIjNSA_11hip_rocprim3tagENSA_11use_defaultESG_EEEEPS6_SJ_NS0_5tupleIJPjSJ_EEENSK_IJSJ_SJ_EEES6_PlJ7is_evenIjEEEE10hipError_tPvRmT3_T4_T5_T6_T7_T9_mT8_P12ihipStream_tbDpT10_ENKUlT_T0_E_clISt17integral_constantIbLb0EES1A_EEDaS15_S16_EUlS15_E_NS1_11comp_targetILNS1_3genE0ELNS1_11target_archE4294967295ELNS1_3gpuE0ELNS1_3repE0EEENS1_30default_config_static_selectorELNS0_4arch9wavefront6targetE1EEEvT1_ ; -- Begin function _ZN7rocprim17ROCPRIM_400000_NS6detail17trampoline_kernelINS0_14default_configENS1_25partition_config_selectorILNS1_17partition_subalgoE3EjNS0_10empty_typeEbEEZZNS1_14partition_implILS5_3ELb0ES3_jN6thrust23THRUST_200600_302600_NS6detail15normal_iteratorINSA_7pointerIjNSA_11hip_rocprim3tagENSA_11use_defaultESG_EEEEPS6_SJ_NS0_5tupleIJPjSJ_EEENSK_IJSJ_SJ_EEES6_PlJ7is_evenIjEEEE10hipError_tPvRmT3_T4_T5_T6_T7_T9_mT8_P12ihipStream_tbDpT10_ENKUlT_T0_E_clISt17integral_constantIbLb0EES1A_EEDaS15_S16_EUlS15_E_NS1_11comp_targetILNS1_3genE0ELNS1_11target_archE4294967295ELNS1_3gpuE0ELNS1_3repE0EEENS1_30default_config_static_selectorELNS0_4arch9wavefront6targetE1EEEvT1_
	.globl	_ZN7rocprim17ROCPRIM_400000_NS6detail17trampoline_kernelINS0_14default_configENS1_25partition_config_selectorILNS1_17partition_subalgoE3EjNS0_10empty_typeEbEEZZNS1_14partition_implILS5_3ELb0ES3_jN6thrust23THRUST_200600_302600_NS6detail15normal_iteratorINSA_7pointerIjNSA_11hip_rocprim3tagENSA_11use_defaultESG_EEEEPS6_SJ_NS0_5tupleIJPjSJ_EEENSK_IJSJ_SJ_EEES6_PlJ7is_evenIjEEEE10hipError_tPvRmT3_T4_T5_T6_T7_T9_mT8_P12ihipStream_tbDpT10_ENKUlT_T0_E_clISt17integral_constantIbLb0EES1A_EEDaS15_S16_EUlS15_E_NS1_11comp_targetILNS1_3genE0ELNS1_11target_archE4294967295ELNS1_3gpuE0ELNS1_3repE0EEENS1_30default_config_static_selectorELNS0_4arch9wavefront6targetE1EEEvT1_
	.p2align	8
	.type	_ZN7rocprim17ROCPRIM_400000_NS6detail17trampoline_kernelINS0_14default_configENS1_25partition_config_selectorILNS1_17partition_subalgoE3EjNS0_10empty_typeEbEEZZNS1_14partition_implILS5_3ELb0ES3_jN6thrust23THRUST_200600_302600_NS6detail15normal_iteratorINSA_7pointerIjNSA_11hip_rocprim3tagENSA_11use_defaultESG_EEEEPS6_SJ_NS0_5tupleIJPjSJ_EEENSK_IJSJ_SJ_EEES6_PlJ7is_evenIjEEEE10hipError_tPvRmT3_T4_T5_T6_T7_T9_mT8_P12ihipStream_tbDpT10_ENKUlT_T0_E_clISt17integral_constantIbLb0EES1A_EEDaS15_S16_EUlS15_E_NS1_11comp_targetILNS1_3genE0ELNS1_11target_archE4294967295ELNS1_3gpuE0ELNS1_3repE0EEENS1_30default_config_static_selectorELNS0_4arch9wavefront6targetE1EEEvT1_,@function
_ZN7rocprim17ROCPRIM_400000_NS6detail17trampoline_kernelINS0_14default_configENS1_25partition_config_selectorILNS1_17partition_subalgoE3EjNS0_10empty_typeEbEEZZNS1_14partition_implILS5_3ELb0ES3_jN6thrust23THRUST_200600_302600_NS6detail15normal_iteratorINSA_7pointerIjNSA_11hip_rocprim3tagENSA_11use_defaultESG_EEEEPS6_SJ_NS0_5tupleIJPjSJ_EEENSK_IJSJ_SJ_EEES6_PlJ7is_evenIjEEEE10hipError_tPvRmT3_T4_T5_T6_T7_T9_mT8_P12ihipStream_tbDpT10_ENKUlT_T0_E_clISt17integral_constantIbLb0EES1A_EEDaS15_S16_EUlS15_E_NS1_11comp_targetILNS1_3genE0ELNS1_11target_archE4294967295ELNS1_3gpuE0ELNS1_3repE0EEENS1_30default_config_static_selectorELNS0_4arch9wavefront6targetE1EEEvT1_: ; @_ZN7rocprim17ROCPRIM_400000_NS6detail17trampoline_kernelINS0_14default_configENS1_25partition_config_selectorILNS1_17partition_subalgoE3EjNS0_10empty_typeEbEEZZNS1_14partition_implILS5_3ELb0ES3_jN6thrust23THRUST_200600_302600_NS6detail15normal_iteratorINSA_7pointerIjNSA_11hip_rocprim3tagENSA_11use_defaultESG_EEEEPS6_SJ_NS0_5tupleIJPjSJ_EEENSK_IJSJ_SJ_EEES6_PlJ7is_evenIjEEEE10hipError_tPvRmT3_T4_T5_T6_T7_T9_mT8_P12ihipStream_tbDpT10_ENKUlT_T0_E_clISt17integral_constantIbLb0EES1A_EEDaS15_S16_EUlS15_E_NS1_11comp_targetILNS1_3genE0ELNS1_11target_archE4294967295ELNS1_3gpuE0ELNS1_3repE0EEENS1_30default_config_static_selectorELNS0_4arch9wavefront6targetE1EEEvT1_
; %bb.0:
	.section	.rodata,"a",@progbits
	.p2align	6, 0x0
	.amdhsa_kernel _ZN7rocprim17ROCPRIM_400000_NS6detail17trampoline_kernelINS0_14default_configENS1_25partition_config_selectorILNS1_17partition_subalgoE3EjNS0_10empty_typeEbEEZZNS1_14partition_implILS5_3ELb0ES3_jN6thrust23THRUST_200600_302600_NS6detail15normal_iteratorINSA_7pointerIjNSA_11hip_rocprim3tagENSA_11use_defaultESG_EEEEPS6_SJ_NS0_5tupleIJPjSJ_EEENSK_IJSJ_SJ_EEES6_PlJ7is_evenIjEEEE10hipError_tPvRmT3_T4_T5_T6_T7_T9_mT8_P12ihipStream_tbDpT10_ENKUlT_T0_E_clISt17integral_constantIbLb0EES1A_EEDaS15_S16_EUlS15_E_NS1_11comp_targetILNS1_3genE0ELNS1_11target_archE4294967295ELNS1_3gpuE0ELNS1_3repE0EEENS1_30default_config_static_selectorELNS0_4arch9wavefront6targetE1EEEvT1_
		.amdhsa_group_segment_fixed_size 0
		.amdhsa_private_segment_fixed_size 0
		.amdhsa_kernarg_size 120
		.amdhsa_user_sgpr_count 2
		.amdhsa_user_sgpr_dispatch_ptr 0
		.amdhsa_user_sgpr_queue_ptr 0
		.amdhsa_user_sgpr_kernarg_segment_ptr 1
		.amdhsa_user_sgpr_dispatch_id 0
		.amdhsa_user_sgpr_kernarg_preload_length 0
		.amdhsa_user_sgpr_kernarg_preload_offset 0
		.amdhsa_user_sgpr_private_segment_size 0
		.amdhsa_uses_dynamic_stack 0
		.amdhsa_enable_private_segment 0
		.amdhsa_system_sgpr_workgroup_id_x 1
		.amdhsa_system_sgpr_workgroup_id_y 0
		.amdhsa_system_sgpr_workgroup_id_z 0
		.amdhsa_system_sgpr_workgroup_info 0
		.amdhsa_system_vgpr_workitem_id 0
		.amdhsa_next_free_vgpr 1
		.amdhsa_next_free_sgpr 0
		.amdhsa_accum_offset 4
		.amdhsa_reserve_vcc 0
		.amdhsa_float_round_mode_32 0
		.amdhsa_float_round_mode_16_64 0
		.amdhsa_float_denorm_mode_32 3
		.amdhsa_float_denorm_mode_16_64 3
		.amdhsa_dx10_clamp 1
		.amdhsa_ieee_mode 1
		.amdhsa_fp16_overflow 0
		.amdhsa_tg_split 0
		.amdhsa_exception_fp_ieee_invalid_op 0
		.amdhsa_exception_fp_denorm_src 0
		.amdhsa_exception_fp_ieee_div_zero 0
		.amdhsa_exception_fp_ieee_overflow 0
		.amdhsa_exception_fp_ieee_underflow 0
		.amdhsa_exception_fp_ieee_inexact 0
		.amdhsa_exception_int_div_zero 0
	.end_amdhsa_kernel
	.section	.text._ZN7rocprim17ROCPRIM_400000_NS6detail17trampoline_kernelINS0_14default_configENS1_25partition_config_selectorILNS1_17partition_subalgoE3EjNS0_10empty_typeEbEEZZNS1_14partition_implILS5_3ELb0ES3_jN6thrust23THRUST_200600_302600_NS6detail15normal_iteratorINSA_7pointerIjNSA_11hip_rocprim3tagENSA_11use_defaultESG_EEEEPS6_SJ_NS0_5tupleIJPjSJ_EEENSK_IJSJ_SJ_EEES6_PlJ7is_evenIjEEEE10hipError_tPvRmT3_T4_T5_T6_T7_T9_mT8_P12ihipStream_tbDpT10_ENKUlT_T0_E_clISt17integral_constantIbLb0EES1A_EEDaS15_S16_EUlS15_E_NS1_11comp_targetILNS1_3genE0ELNS1_11target_archE4294967295ELNS1_3gpuE0ELNS1_3repE0EEENS1_30default_config_static_selectorELNS0_4arch9wavefront6targetE1EEEvT1_,"axG",@progbits,_ZN7rocprim17ROCPRIM_400000_NS6detail17trampoline_kernelINS0_14default_configENS1_25partition_config_selectorILNS1_17partition_subalgoE3EjNS0_10empty_typeEbEEZZNS1_14partition_implILS5_3ELb0ES3_jN6thrust23THRUST_200600_302600_NS6detail15normal_iteratorINSA_7pointerIjNSA_11hip_rocprim3tagENSA_11use_defaultESG_EEEEPS6_SJ_NS0_5tupleIJPjSJ_EEENSK_IJSJ_SJ_EEES6_PlJ7is_evenIjEEEE10hipError_tPvRmT3_T4_T5_T6_T7_T9_mT8_P12ihipStream_tbDpT10_ENKUlT_T0_E_clISt17integral_constantIbLb0EES1A_EEDaS15_S16_EUlS15_E_NS1_11comp_targetILNS1_3genE0ELNS1_11target_archE4294967295ELNS1_3gpuE0ELNS1_3repE0EEENS1_30default_config_static_selectorELNS0_4arch9wavefront6targetE1EEEvT1_,comdat
.Lfunc_end919:
	.size	_ZN7rocprim17ROCPRIM_400000_NS6detail17trampoline_kernelINS0_14default_configENS1_25partition_config_selectorILNS1_17partition_subalgoE3EjNS0_10empty_typeEbEEZZNS1_14partition_implILS5_3ELb0ES3_jN6thrust23THRUST_200600_302600_NS6detail15normal_iteratorINSA_7pointerIjNSA_11hip_rocprim3tagENSA_11use_defaultESG_EEEEPS6_SJ_NS0_5tupleIJPjSJ_EEENSK_IJSJ_SJ_EEES6_PlJ7is_evenIjEEEE10hipError_tPvRmT3_T4_T5_T6_T7_T9_mT8_P12ihipStream_tbDpT10_ENKUlT_T0_E_clISt17integral_constantIbLb0EES1A_EEDaS15_S16_EUlS15_E_NS1_11comp_targetILNS1_3genE0ELNS1_11target_archE4294967295ELNS1_3gpuE0ELNS1_3repE0EEENS1_30default_config_static_selectorELNS0_4arch9wavefront6targetE1EEEvT1_, .Lfunc_end919-_ZN7rocprim17ROCPRIM_400000_NS6detail17trampoline_kernelINS0_14default_configENS1_25partition_config_selectorILNS1_17partition_subalgoE3EjNS0_10empty_typeEbEEZZNS1_14partition_implILS5_3ELb0ES3_jN6thrust23THRUST_200600_302600_NS6detail15normal_iteratorINSA_7pointerIjNSA_11hip_rocprim3tagENSA_11use_defaultESG_EEEEPS6_SJ_NS0_5tupleIJPjSJ_EEENSK_IJSJ_SJ_EEES6_PlJ7is_evenIjEEEE10hipError_tPvRmT3_T4_T5_T6_T7_T9_mT8_P12ihipStream_tbDpT10_ENKUlT_T0_E_clISt17integral_constantIbLb0EES1A_EEDaS15_S16_EUlS15_E_NS1_11comp_targetILNS1_3genE0ELNS1_11target_archE4294967295ELNS1_3gpuE0ELNS1_3repE0EEENS1_30default_config_static_selectorELNS0_4arch9wavefront6targetE1EEEvT1_
                                        ; -- End function
	.section	.AMDGPU.csdata,"",@progbits
; Kernel info:
; codeLenInByte = 0
; NumSgprs: 6
; NumVgprs: 0
; NumAgprs: 0
; TotalNumVgprs: 0
; ScratchSize: 0
; MemoryBound: 0
; FloatMode: 240
; IeeeMode: 1
; LDSByteSize: 0 bytes/workgroup (compile time only)
; SGPRBlocks: 0
; VGPRBlocks: 0
; NumSGPRsForWavesPerEU: 6
; NumVGPRsForWavesPerEU: 1
; AccumOffset: 4
; Occupancy: 8
; WaveLimiterHint : 0
; COMPUTE_PGM_RSRC2:SCRATCH_EN: 0
; COMPUTE_PGM_RSRC2:USER_SGPR: 2
; COMPUTE_PGM_RSRC2:TRAP_HANDLER: 0
; COMPUTE_PGM_RSRC2:TGID_X_EN: 1
; COMPUTE_PGM_RSRC2:TGID_Y_EN: 0
; COMPUTE_PGM_RSRC2:TGID_Z_EN: 0
; COMPUTE_PGM_RSRC2:TIDIG_COMP_CNT: 0
; COMPUTE_PGM_RSRC3_GFX90A:ACCUM_OFFSET: 0
; COMPUTE_PGM_RSRC3_GFX90A:TG_SPLIT: 0
	.section	.text._ZN7rocprim17ROCPRIM_400000_NS6detail17trampoline_kernelINS0_14default_configENS1_25partition_config_selectorILNS1_17partition_subalgoE3EjNS0_10empty_typeEbEEZZNS1_14partition_implILS5_3ELb0ES3_jN6thrust23THRUST_200600_302600_NS6detail15normal_iteratorINSA_7pointerIjNSA_11hip_rocprim3tagENSA_11use_defaultESG_EEEEPS6_SJ_NS0_5tupleIJPjSJ_EEENSK_IJSJ_SJ_EEES6_PlJ7is_evenIjEEEE10hipError_tPvRmT3_T4_T5_T6_T7_T9_mT8_P12ihipStream_tbDpT10_ENKUlT_T0_E_clISt17integral_constantIbLb0EES1A_EEDaS15_S16_EUlS15_E_NS1_11comp_targetILNS1_3genE5ELNS1_11target_archE942ELNS1_3gpuE9ELNS1_3repE0EEENS1_30default_config_static_selectorELNS0_4arch9wavefront6targetE1EEEvT1_,"axG",@progbits,_ZN7rocprim17ROCPRIM_400000_NS6detail17trampoline_kernelINS0_14default_configENS1_25partition_config_selectorILNS1_17partition_subalgoE3EjNS0_10empty_typeEbEEZZNS1_14partition_implILS5_3ELb0ES3_jN6thrust23THRUST_200600_302600_NS6detail15normal_iteratorINSA_7pointerIjNSA_11hip_rocprim3tagENSA_11use_defaultESG_EEEEPS6_SJ_NS0_5tupleIJPjSJ_EEENSK_IJSJ_SJ_EEES6_PlJ7is_evenIjEEEE10hipError_tPvRmT3_T4_T5_T6_T7_T9_mT8_P12ihipStream_tbDpT10_ENKUlT_T0_E_clISt17integral_constantIbLb0EES1A_EEDaS15_S16_EUlS15_E_NS1_11comp_targetILNS1_3genE5ELNS1_11target_archE942ELNS1_3gpuE9ELNS1_3repE0EEENS1_30default_config_static_selectorELNS0_4arch9wavefront6targetE1EEEvT1_,comdat
	.protected	_ZN7rocprim17ROCPRIM_400000_NS6detail17trampoline_kernelINS0_14default_configENS1_25partition_config_selectorILNS1_17partition_subalgoE3EjNS0_10empty_typeEbEEZZNS1_14partition_implILS5_3ELb0ES3_jN6thrust23THRUST_200600_302600_NS6detail15normal_iteratorINSA_7pointerIjNSA_11hip_rocprim3tagENSA_11use_defaultESG_EEEEPS6_SJ_NS0_5tupleIJPjSJ_EEENSK_IJSJ_SJ_EEES6_PlJ7is_evenIjEEEE10hipError_tPvRmT3_T4_T5_T6_T7_T9_mT8_P12ihipStream_tbDpT10_ENKUlT_T0_E_clISt17integral_constantIbLb0EES1A_EEDaS15_S16_EUlS15_E_NS1_11comp_targetILNS1_3genE5ELNS1_11target_archE942ELNS1_3gpuE9ELNS1_3repE0EEENS1_30default_config_static_selectorELNS0_4arch9wavefront6targetE1EEEvT1_ ; -- Begin function _ZN7rocprim17ROCPRIM_400000_NS6detail17trampoline_kernelINS0_14default_configENS1_25partition_config_selectorILNS1_17partition_subalgoE3EjNS0_10empty_typeEbEEZZNS1_14partition_implILS5_3ELb0ES3_jN6thrust23THRUST_200600_302600_NS6detail15normal_iteratorINSA_7pointerIjNSA_11hip_rocprim3tagENSA_11use_defaultESG_EEEEPS6_SJ_NS0_5tupleIJPjSJ_EEENSK_IJSJ_SJ_EEES6_PlJ7is_evenIjEEEE10hipError_tPvRmT3_T4_T5_T6_T7_T9_mT8_P12ihipStream_tbDpT10_ENKUlT_T0_E_clISt17integral_constantIbLb0EES1A_EEDaS15_S16_EUlS15_E_NS1_11comp_targetILNS1_3genE5ELNS1_11target_archE942ELNS1_3gpuE9ELNS1_3repE0EEENS1_30default_config_static_selectorELNS0_4arch9wavefront6targetE1EEEvT1_
	.globl	_ZN7rocprim17ROCPRIM_400000_NS6detail17trampoline_kernelINS0_14default_configENS1_25partition_config_selectorILNS1_17partition_subalgoE3EjNS0_10empty_typeEbEEZZNS1_14partition_implILS5_3ELb0ES3_jN6thrust23THRUST_200600_302600_NS6detail15normal_iteratorINSA_7pointerIjNSA_11hip_rocprim3tagENSA_11use_defaultESG_EEEEPS6_SJ_NS0_5tupleIJPjSJ_EEENSK_IJSJ_SJ_EEES6_PlJ7is_evenIjEEEE10hipError_tPvRmT3_T4_T5_T6_T7_T9_mT8_P12ihipStream_tbDpT10_ENKUlT_T0_E_clISt17integral_constantIbLb0EES1A_EEDaS15_S16_EUlS15_E_NS1_11comp_targetILNS1_3genE5ELNS1_11target_archE942ELNS1_3gpuE9ELNS1_3repE0EEENS1_30default_config_static_selectorELNS0_4arch9wavefront6targetE1EEEvT1_
	.p2align	8
	.type	_ZN7rocprim17ROCPRIM_400000_NS6detail17trampoline_kernelINS0_14default_configENS1_25partition_config_selectorILNS1_17partition_subalgoE3EjNS0_10empty_typeEbEEZZNS1_14partition_implILS5_3ELb0ES3_jN6thrust23THRUST_200600_302600_NS6detail15normal_iteratorINSA_7pointerIjNSA_11hip_rocprim3tagENSA_11use_defaultESG_EEEEPS6_SJ_NS0_5tupleIJPjSJ_EEENSK_IJSJ_SJ_EEES6_PlJ7is_evenIjEEEE10hipError_tPvRmT3_T4_T5_T6_T7_T9_mT8_P12ihipStream_tbDpT10_ENKUlT_T0_E_clISt17integral_constantIbLb0EES1A_EEDaS15_S16_EUlS15_E_NS1_11comp_targetILNS1_3genE5ELNS1_11target_archE942ELNS1_3gpuE9ELNS1_3repE0EEENS1_30default_config_static_selectorELNS0_4arch9wavefront6targetE1EEEvT1_,@function
_ZN7rocprim17ROCPRIM_400000_NS6detail17trampoline_kernelINS0_14default_configENS1_25partition_config_selectorILNS1_17partition_subalgoE3EjNS0_10empty_typeEbEEZZNS1_14partition_implILS5_3ELb0ES3_jN6thrust23THRUST_200600_302600_NS6detail15normal_iteratorINSA_7pointerIjNSA_11hip_rocprim3tagENSA_11use_defaultESG_EEEEPS6_SJ_NS0_5tupleIJPjSJ_EEENSK_IJSJ_SJ_EEES6_PlJ7is_evenIjEEEE10hipError_tPvRmT3_T4_T5_T6_T7_T9_mT8_P12ihipStream_tbDpT10_ENKUlT_T0_E_clISt17integral_constantIbLb0EES1A_EEDaS15_S16_EUlS15_E_NS1_11comp_targetILNS1_3genE5ELNS1_11target_archE942ELNS1_3gpuE9ELNS1_3repE0EEENS1_30default_config_static_selectorELNS0_4arch9wavefront6targetE1EEEvT1_: ; @_ZN7rocprim17ROCPRIM_400000_NS6detail17trampoline_kernelINS0_14default_configENS1_25partition_config_selectorILNS1_17partition_subalgoE3EjNS0_10empty_typeEbEEZZNS1_14partition_implILS5_3ELb0ES3_jN6thrust23THRUST_200600_302600_NS6detail15normal_iteratorINSA_7pointerIjNSA_11hip_rocprim3tagENSA_11use_defaultESG_EEEEPS6_SJ_NS0_5tupleIJPjSJ_EEENSK_IJSJ_SJ_EEES6_PlJ7is_evenIjEEEE10hipError_tPvRmT3_T4_T5_T6_T7_T9_mT8_P12ihipStream_tbDpT10_ENKUlT_T0_E_clISt17integral_constantIbLb0EES1A_EEDaS15_S16_EUlS15_E_NS1_11comp_targetILNS1_3genE5ELNS1_11target_archE942ELNS1_3gpuE9ELNS1_3repE0EEENS1_30default_config_static_selectorELNS0_4arch9wavefront6targetE1EEEvT1_
; %bb.0:
	s_load_dwordx4 s[20:23], s[0:1], 0x8
	s_load_dwordx4 s[24:27], s[0:1], 0x48
	s_load_dwordx2 s[28:29], s[0:1], 0x58
	s_load_dword s3, s[0:1], 0x70
	s_mul_i32 s30, s2, 0x1e00
	s_waitcnt lgkmcnt(0)
	s_lshl_b64 s[4:5], s[22:23], 2
	s_add_u32 s8, s20, s4
	s_addc_u32 s9, s21, s5
	s_add_i32 s6, s3, -1
	s_mulk_i32 s3, 0x1e00
	s_add_i32 s4, s3, s22
	s_sub_i32 s33, s28, s4
	s_addk_i32 s33, 0x1e00
	s_add_u32 s4, s22, s3
	s_addc_u32 s5, s23, 0
	s_cmp_eq_u32 s2, s6
	s_load_dwordx2 s[34:35], s[26:27], 0x0
	v_mov_b64_e32 v[2:3], s[28:29]
	s_cselect_b64 s[26:27], -1, 0
	s_cmp_lg_u32 s2, s6
	s_mov_b32 s31, 0
	v_cmp_lt_u64_e32 vcc, s[4:5], v[2:3]
	s_cselect_b64 s[4:5], -1, 0
	s_or_b64 s[6:7], s[4:5], vcc
	s_lshl_b64 s[4:5], s[30:31], 2
	s_add_u32 s8, s8, s4
	s_addc_u32 s9, s9, s5
	s_mov_b64 s[4:5], -1
	s_and_b64 vcc, exec, s[6:7]
	v_lshlrev_b32_e32 v18, 2, v0
	s_cbranch_vccz .LBB920_2
; %bb.1:
	v_mov_b32_e32 v19, 0
	v_lshl_add_u64 v[2:3], s[8:9], 0, v[18:19]
	v_add_co_u32_e32 v4, vcc, 0x1000, v2
	s_mov_b64 s[4:5], 0
	s_nop 0
	v_addc_co_u32_e32 v5, vcc, 0, v3, vcc
	v_add_co_u32_e32 v6, vcc, 0x2000, v2
	s_nop 1
	v_addc_co_u32_e32 v7, vcc, 0, v3, vcc
	v_add_co_u32_e32 v8, vcc, 0x3000, v2
	s_nop 1
	v_addc_co_u32_e32 v9, vcc, 0, v3, vcc
	flat_load_dword v1, v[2:3]
	flat_load_dword v10, v[2:3] offset:2048
	flat_load_dword v11, v[4:5]
	flat_load_dword v12, v[4:5] offset:2048
	;; [unrolled: 2-line block ×4, first 2 shown]
	v_add_co_u32_e32 v4, vcc, 0x4000, v2
	s_nop 1
	v_addc_co_u32_e32 v5, vcc, 0, v3, vcc
	v_add_co_u32_e32 v6, vcc, 0x5000, v2
	s_nop 1
	v_addc_co_u32_e32 v7, vcc, 0, v3, vcc
	;; [unrolled: 3-line block ×4, first 2 shown]
	flat_load_dword v17, v[4:5]
	flat_load_dword v19, v[4:5] offset:2048
	flat_load_dword v20, v[6:7]
	flat_load_dword v21, v[6:7] offset:2048
	;; [unrolled: 2-line block ×3, first 2 shown]
	flat_load_dword v24, v[2:3]
	s_waitcnt vmcnt(0) lgkmcnt(0)
	ds_write2st64_b32 v18, v1, v10 offset1:8
	ds_write2st64_b32 v18, v11, v12 offset0:16 offset1:24
	ds_write2st64_b32 v18, v13, v14 offset0:32 offset1:40
	;; [unrolled: 1-line block ×6, first 2 shown]
	ds_write_b32 v18, v24 offset:28672
	s_waitcnt lgkmcnt(0)
	s_barrier
.LBB920_2:
	s_andn2_b64 vcc, exec, s[4:5]
	v_cmp_gt_u32_e64 s[4:5], s33, v0
	s_cbranch_vccnz .LBB920_34
; %bb.3:
                                        ; implicit-def: $vgpr2_vgpr3_vgpr4_vgpr5_vgpr6_vgpr7_vgpr8_vgpr9_vgpr10_vgpr11_vgpr12_vgpr13_vgpr14_vgpr15_vgpr16_vgpr17
	s_and_saveexec_b64 s[10:11], s[4:5]
	s_cbranch_execz .LBB920_5
; %bb.4:
	v_mov_b32_e32 v19, 0
	v_lshl_add_u64 v[2:3], s[8:9], 0, v[18:19]
	flat_load_dword v2, v[2:3]
.LBB920_5:
	s_or_b64 exec, exec, s[10:11]
	v_or_b32_e32 v1, 0x200, v0
	v_cmp_gt_u32_e32 vcc, s33, v1
	s_and_saveexec_b64 s[4:5], vcc
	s_cbranch_execz .LBB920_7
; %bb.6:
	v_mov_b32_e32 v19, 0
	v_lshl_add_u64 v[20:21], s[8:9], 0, v[18:19]
	flat_load_dword v3, v[20:21] offset:2048
.LBB920_7:
	s_or_b64 exec, exec, s[4:5]
	v_or_b32_e32 v1, 0x400, v0
	v_cmp_gt_u32_e32 vcc, s33, v1
	s_and_saveexec_b64 s[4:5], vcc
	s_cbranch_execz .LBB920_9
; %bb.8:
	v_lshlrev_b32_e32 v20, 2, v1
	v_mov_b32_e32 v21, 0
	v_lshl_add_u64 v[20:21], s[8:9], 0, v[20:21]
	flat_load_dword v4, v[20:21]
.LBB920_9:
	s_or_b64 exec, exec, s[4:5]
	v_or_b32_e32 v1, 0x600, v0
	v_cmp_gt_u32_e32 vcc, s33, v1
	s_and_saveexec_b64 s[4:5], vcc
	s_cbranch_execz .LBB920_11
; %bb.10:
	v_lshlrev_b32_e32 v20, 2, v1
	v_mov_b32_e32 v21, 0
	v_lshl_add_u64 v[20:21], s[8:9], 0, v[20:21]
	flat_load_dword v5, v[20:21]
.LBB920_11:
	;; [unrolled: 11-line block ×13, first 2 shown]
	s_or_b64 exec, exec, s[4:5]
	s_waitcnt vmcnt(0) lgkmcnt(0)
	ds_write2st64_b32 v18, v2, v3 offset1:8
	ds_write2st64_b32 v18, v4, v5 offset0:16 offset1:24
	ds_write2st64_b32 v18, v6, v7 offset0:32 offset1:40
	ds_write2st64_b32 v18, v8, v9 offset0:48 offset1:56
	ds_write2st64_b32 v18, v10, v11 offset0:64 offset1:72
	ds_write2st64_b32 v18, v12, v13 offset0:80 offset1:88
	ds_write2st64_b32 v18, v14, v15 offset0:96 offset1:104
	ds_write_b32 v18, v16 offset:28672
	s_waitcnt lgkmcnt(0)
	s_barrier
.LBB920_34:
	v_mul_u32_u24_e32 v37, 15, v0
	v_lshlrev_b32_e32 v1, 2, v37
	s_waitcnt lgkmcnt(0)
	ds_read2_b32 v[34:35], v1 offset1:1
	ds_read2_b32 v[32:33], v1 offset0:2 offset1:3
	ds_read2_b32 v[30:31], v1 offset0:4 offset1:5
	;; [unrolled: 1-line block ×6, first 2 shown]
	ds_read_b32 v1, v1 offset:56
	v_cndmask_b32_e64 v2, 0, 1, s[6:7]
	v_cmp_ne_u32_e64 s[20:21], 1, v2
	s_andn2_b64 vcc, exec, s[6:7]
	s_waitcnt lgkmcnt(7)
	v_xor_b32_e32 v16, -1, v34
	v_xor_b32_e32 v15, -1, v35
	s_waitcnt lgkmcnt(6)
	v_xor_b32_e32 v14, -1, v32
	v_xor_b32_e32 v13, -1, v33
	;; [unrolled: 3-line block ×7, first 2 shown]
	s_waitcnt lgkmcnt(0)
	v_xor_b32_e32 v2, -1, v1
	s_barrier
	s_cbranch_vccnz .LBB920_36
; %bb.35:
	v_and_b32_e32 v50, 1, v16
	v_and_b32_e32 v49, 1, v15
	;; [unrolled: 1-line block ×15, first 2 shown]
	s_load_dwordx2 s[36:37], s[0:1], 0x68
	s_cbranch_execz .LBB920_37
	s_branch .LBB920_38
.LBB920_36:
                                        ; implicit-def: $vgpr19
                                        ; implicit-def: $vgpr36
                                        ; implicit-def: $vgpr38
                                        ; implicit-def: $vgpr39
                                        ; implicit-def: $vgpr40
                                        ; implicit-def: $vgpr41
                                        ; implicit-def: $vgpr42
                                        ; implicit-def: $vgpr43
                                        ; implicit-def: $vgpr44
                                        ; implicit-def: $vgpr50
                                        ; implicit-def: $vgpr49
                                        ; implicit-def: $vgpr48
                                        ; implicit-def: $vgpr47
                                        ; implicit-def: $vgpr46
                                        ; implicit-def: $vgpr45
	s_load_dwordx2 s[36:37], s[0:1], 0x68
.LBB920_37:
	v_add_u32_e32 v44, 1, v37
	v_cmp_gt_u32_e32 vcc, s33, v37
	v_add_u32_e32 v17, 2, v37
	v_add_u32_e32 v43, 3, v37
	v_cndmask_b32_e64 v45, 0, 1, vcc
	v_cmp_gt_u32_e32 vcc, s33, v44
	v_and_b32_e32 v50, v45, v16
	v_add_u32_e32 v19, 4, v37
	v_cndmask_b32_e64 v16, 0, 1, vcc
	v_cmp_gt_u32_e32 vcc, s33, v17
	v_and_b32_e32 v49, v16, v15
	;; [unrolled: 4-line block ×12, first 2 shown]
	s_nop 0
	v_cndmask_b32_e64 v5, 0, 1, vcc
	v_cmp_gt_u32_e32 vcc, s33, v52
	v_and_b32_e32 v38, v5, v4
	s_nop 0
	v_cndmask_b32_e64 v4, 0, 1, vcc
	v_cmp_gt_u32_e32 vcc, s33, v51
	v_and_b32_e32 v36, v4, v3
	s_nop 0
	v_cndmask_b32_e64 v3, 0, 1, vcc
	v_and_b32_e32 v19, v3, v2
.LBB920_38:
	v_and_b32_e32 v55, 0xff, v47
	v_and_b32_e32 v56, 0xff, v46
	;; [unrolled: 1-line block ×5, first 2 shown]
	v_add3_u32 v3, v56, v57, v55
	v_and_b32_e32 v51, 0xff, v50
	v_and_b32_e32 v58, 0xff, v44
	v_add3_u32 v3, v3, v54, v53
	v_and_b32_e32 v59, 0xff, v43
	v_and_b32_e32 v60, 0xff, v42
	;; [unrolled: 3-line block ×5, first 2 shown]
	v_add3_u32 v3, v3, v63, v64
	v_add3_u32 v68, v3, v65, v2
	v_mbcnt_lo_u32_b32 v2, -1, 0
	v_mbcnt_hi_u32_b32 v66, -1, v2
	v_and_b32_e32 v2, 15, v66
	v_cmp_eq_u32_e64 s[16:17], 0, v2
	v_cmp_lt_u32_e64 s[14:15], 1, v2
	v_cmp_lt_u32_e64 s[12:13], 3, v2
	;; [unrolled: 1-line block ×3, first 2 shown]
	v_and_b32_e32 v2, 16, v66
	v_cmp_eq_u32_e64 s[8:9], 0, v2
	v_or_b32_e32 v2, 63, v0
	s_cmp_lg_u32 s2, 0
	v_cmp_lt_u32_e64 s[4:5], 31, v66
	v_lshrrev_b32_e32 v67, 6, v0
	v_cmp_eq_u32_e64 s[6:7], v2, v0
	s_cbranch_scc0 .LBB920_65
; %bb.39:
	v_mov_b32_dpp v2, v68 row_shr:1 row_mask:0xf bank_mask:0xf
	v_cndmask_b32_e64 v2, v2, 0, s[16:17]
	v_add_u32_e32 v2, v2, v68
	s_nop 1
	v_mov_b32_dpp v3, v2 row_shr:2 row_mask:0xf bank_mask:0xf
	v_cndmask_b32_e64 v3, 0, v3, s[14:15]
	v_add_u32_e32 v2, v2, v3
	s_nop 1
	;; [unrolled: 4-line block ×4, first 2 shown]
	v_mov_b32_dpp v3, v2 row_bcast:15 row_mask:0xf bank_mask:0xf
	v_cndmask_b32_e64 v3, v3, 0, s[8:9]
	v_add_u32_e32 v2, v2, v3
	s_nop 1
	v_mov_b32_dpp v3, v2 row_bcast:31 row_mask:0xf bank_mask:0xf
	v_cndmask_b32_e64 v3, 0, v3, s[4:5]
	v_add_u32_e32 v2, v2, v3
	s_and_saveexec_b64 s[18:19], s[6:7]
	s_cbranch_execz .LBB920_41
; %bb.40:
	v_lshlrev_b32_e32 v3, 2, v67
	ds_write_b32 v3, v2
.LBB920_41:
	s_or_b64 exec, exec, s[18:19]
	v_cmp_gt_u32_e32 vcc, 8, v0
	s_waitcnt lgkmcnt(0)
	s_barrier
	s_and_saveexec_b64 s[18:19], vcc
	s_cbranch_execz .LBB920_43
; %bb.42:
	ds_read_b32 v3, v18
	v_and_b32_e32 v4, 7, v66
	v_cmp_ne_u32_e32 vcc, 0, v4
	s_waitcnt lgkmcnt(0)
	v_mov_b32_dpp v5, v3 row_shr:1 row_mask:0xf bank_mask:0xf
	v_cndmask_b32_e32 v5, 0, v5, vcc
	v_add_u32_e32 v3, v5, v3
	v_cmp_lt_u32_e32 vcc, 1, v4
	s_nop 0
	v_mov_b32_dpp v5, v3 row_shr:2 row_mask:0xf bank_mask:0xf
	v_cndmask_b32_e32 v5, 0, v5, vcc
	v_add_u32_e32 v3, v3, v5
	v_cmp_lt_u32_e32 vcc, 3, v4
	s_nop 0
	v_mov_b32_dpp v5, v3 row_shr:4 row_mask:0xf bank_mask:0xf
	v_cndmask_b32_e32 v4, 0, v5, vcc
	v_add_u32_e32 v3, v3, v4
	ds_write_b32 v18, v3
.LBB920_43:
	s_or_b64 exec, exec, s[18:19]
	v_cmp_gt_u32_e32 vcc, 64, v0
	v_cmp_lt_u32_e64 s[18:19], 63, v0
	s_waitcnt lgkmcnt(0)
	s_barrier
	s_waitcnt lgkmcnt(0)
                                        ; implicit-def: $vgpr12
	s_and_saveexec_b64 s[38:39], s[18:19]
	s_cbranch_execz .LBB920_45
; %bb.44:
	v_lshl_add_u32 v3, v67, 2, -4
	ds_read_b32 v12, v3
	s_waitcnt lgkmcnt(0)
	v_add_u32_e32 v2, v12, v2
.LBB920_45:
	s_or_b64 exec, exec, s[38:39]
	v_add_u32_e32 v3, -1, v66
	v_and_b32_e32 v4, 64, v66
	v_cmp_lt_i32_e64 s[18:19], v3, v4
	s_nop 1
	v_cndmask_b32_e64 v3, v3, v66, s[18:19]
	v_lshlrev_b32_e32 v3, 2, v3
	ds_bpermute_b32 v13, v3, v2
	v_cmp_eq_u32_e64 s[18:19], 0, v66
	s_and_saveexec_b64 s[38:39], vcc
	s_cbranch_execz .LBB920_64
; %bb.46:
	v_mov_b32_e32 v9, 0
	ds_read_b32 v2, v9 offset:28
	s_and_saveexec_b64 s[40:41], s[18:19]
	s_cbranch_execz .LBB920_48
; %bb.47:
	s_add_i32 s42, s2, 64
	s_mov_b32 s43, 0
	s_lshl_b64 s[42:43], s[42:43], 3
	s_add_u32 s42, s36, s42
	v_mov_b32_e32 v3, 1
	s_addc_u32 s43, s37, s43
	s_waitcnt lgkmcnt(0)
	global_store_dwordx2 v9, v[2:3], s[42:43] sc1
.LBB920_48:
	s_or_b64 exec, exec, s[40:41]
	v_xad_u32 v4, v66, -1, s2
	v_add_u32_e32 v8, 64, v4
	v_lshl_add_u64 v[10:11], v[8:9], 3, s[36:37]
	global_load_dwordx2 v[6:7], v[10:11], off sc1
	s_waitcnt vmcnt(0)
	v_cmp_eq_u16_sdwa s[42:43], v7, v9 src0_sel:BYTE_0 src1_sel:DWORD
	s_and_saveexec_b64 s[40:41], s[42:43]
	s_cbranch_execz .LBB920_52
; %bb.49:
	s_mov_b64 s[42:43], 0
	v_mov_b32_e32 v3, 0
.LBB920_50:                             ; =>This Inner Loop Header: Depth=1
	global_load_dwordx2 v[6:7], v[10:11], off sc1
	s_waitcnt vmcnt(0)
	v_cmp_ne_u16_sdwa s[44:45], v7, v3 src0_sel:BYTE_0 src1_sel:DWORD
	s_or_b64 s[42:43], s[44:45], s[42:43]
	s_andn2_b64 exec, exec, s[42:43]
	s_cbranch_execnz .LBB920_50
; %bb.51:
	s_or_b64 exec, exec, s[42:43]
.LBB920_52:
	s_or_b64 exec, exec, s[40:41]
	v_and_b32_e32 v15, 63, v66
	v_mov_b32_e32 v14, 2
	v_cmp_ne_u32_e32 vcc, 63, v15
	v_cmp_eq_u16_sdwa s[40:41], v7, v14 src0_sel:BYTE_0 src1_sel:DWORD
	v_lshlrev_b64 v[8:9], v66, -1
	v_addc_co_u32_e32 v10, vcc, 0, v66, vcc
	v_and_b32_e32 v3, s41, v9
	v_lshlrev_b32_e32 v16, 2, v10
	v_or_b32_e32 v3, 0x80000000, v3
	ds_bpermute_b32 v10, v16, v6
	v_and_b32_e32 v5, s40, v8
	v_ffbl_b32_e32 v3, v3
	v_add_u32_e32 v3, 32, v3
	v_ffbl_b32_e32 v5, v5
	v_min_u32_e32 v3, v5, v3
	v_cmp_lt_u32_e32 vcc, v15, v3
	v_add_u32_e32 v20, 2, v15
	v_add_u32_e32 v52, 4, v15
	s_waitcnt lgkmcnt(0)
	v_cndmask_b32_e32 v5, 0, v10, vcc
	v_cmp_gt_u32_e32 vcc, 62, v15
	v_add_u32_e32 v5, v5, v6
	v_add_u32_e32 v70, 8, v15
	v_cndmask_b32_e64 v6, 0, 1, vcc
	v_lshlrev_b32_e32 v6, 1, v6
	v_add_lshl_u32 v17, v6, v66, 2
	ds_bpermute_b32 v6, v17, v5
	v_cmp_le_u32_e32 vcc, v20, v3
	v_add_u32_e32 v72, 16, v15
	v_add_u32_e32 v74, 32, v15
	s_waitcnt lgkmcnt(0)
	v_cndmask_b32_e32 v6, 0, v6, vcc
	v_cmp_gt_u32_e32 vcc, 60, v15
	v_add_u32_e32 v5, v5, v6
	s_nop 0
	v_cndmask_b32_e64 v6, 0, 1, vcc
	v_lshlrev_b32_e32 v6, 2, v6
	v_add_lshl_u32 v21, v6, v66, 2
	ds_bpermute_b32 v6, v21, v5
	v_cmp_le_u32_e32 vcc, v52, v3
	s_waitcnt lgkmcnt(0)
	s_nop 0
	v_cndmask_b32_e32 v6, 0, v6, vcc
	v_cmp_gt_u32_e32 vcc, 56, v15
	v_add_u32_e32 v5, v5, v6
	s_nop 0
	v_cndmask_b32_e64 v6, 0, 1, vcc
	v_lshlrev_b32_e32 v6, 3, v6
	v_add_lshl_u32 v69, v6, v66, 2
	ds_bpermute_b32 v6, v69, v5
	v_cmp_le_u32_e32 vcc, v70, v3
	s_waitcnt lgkmcnt(0)
	s_nop 0
	;; [unrolled: 11-line block ×4, first 2 shown]
	v_cndmask_b32_e32 v3, 0, v6, vcc
	v_add_u32_e32 v6, v5, v3
	v_mov_b32_e32 v5, 0
	s_branch .LBB920_54
.LBB920_53:                             ;   in Loop: Header=BB920_54 Depth=1
	s_or_b64 exec, exec, s[40:41]
	v_cmp_eq_u16_sdwa s[40:41], v7, v14 src0_sel:BYTE_0 src1_sel:DWORD
	ds_bpermute_b32 v75, v16, v6
	v_subrev_u32_e32 v4, 64, v4
	v_and_b32_e32 v10, s41, v9
	v_or_b32_e32 v10, 0x80000000, v10
	v_and_b32_e32 v11, s40, v8
	v_ffbl_b32_e32 v10, v10
	v_add_u32_e32 v10, 32, v10
	v_ffbl_b32_e32 v11, v11
	v_min_u32_e32 v10, v11, v10
	v_cmp_lt_u32_e32 vcc, v15, v10
	s_waitcnt lgkmcnt(0)
	s_nop 0
	v_cndmask_b32_e32 v11, 0, v75, vcc
	v_add_u32_e32 v6, v11, v6
	ds_bpermute_b32 v11, v17, v6
	v_cmp_le_u32_e32 vcc, v20, v10
	s_waitcnt lgkmcnt(0)
	s_nop 0
	v_cndmask_b32_e32 v11, 0, v11, vcc
	v_add_u32_e32 v6, v6, v11
	ds_bpermute_b32 v11, v21, v6
	v_cmp_le_u32_e32 vcc, v52, v10
	s_waitcnt lgkmcnt(0)
	s_nop 0
	v_cndmask_b32_e32 v11, 0, v11, vcc
	v_add_u32_e32 v6, v6, v11
	ds_bpermute_b32 v11, v69, v6
	v_cmp_le_u32_e32 vcc, v70, v10
	s_waitcnt lgkmcnt(0)
	s_nop 0
	v_cndmask_b32_e32 v11, 0, v11, vcc
	v_add_u32_e32 v6, v6, v11
	ds_bpermute_b32 v11, v71, v6
	v_cmp_le_u32_e32 vcc, v72, v10
	s_waitcnt lgkmcnt(0)
	s_nop 0
	v_cndmask_b32_e32 v11, 0, v11, vcc
	v_add_u32_e32 v6, v6, v11
	ds_bpermute_b32 v11, v73, v6
	v_cmp_le_u32_e32 vcc, v74, v10
	s_waitcnt lgkmcnt(0)
	s_nop 0
	v_cndmask_b32_e32 v10, 0, v11, vcc
	v_add3_u32 v6, v10, v3, v6
.LBB920_54:                             ; =>This Loop Header: Depth=1
                                        ;     Child Loop BB920_57 Depth 2
	v_cmp_ne_u16_sdwa s[40:41], v7, v14 src0_sel:BYTE_0 src1_sel:DWORD
	s_nop 1
	v_cndmask_b32_e64 v3, 0, 1, s[40:41]
	;;#ASMSTART
	;;#ASMEND
	s_nop 0
	v_cmp_ne_u32_e32 vcc, 0, v3
	s_cmp_lg_u64 vcc, exec
	v_mov_b32_e32 v3, v6
	s_cbranch_scc1 .LBB920_59
; %bb.55:                               ;   in Loop: Header=BB920_54 Depth=1
	v_lshl_add_u64 v[10:11], v[4:5], 3, s[36:37]
	global_load_dwordx2 v[6:7], v[10:11], off sc1
	s_waitcnt vmcnt(0)
	v_cmp_eq_u16_sdwa s[42:43], v7, v5 src0_sel:BYTE_0 src1_sel:DWORD
	s_and_saveexec_b64 s[40:41], s[42:43]
	s_cbranch_execz .LBB920_53
; %bb.56:                               ;   in Loop: Header=BB920_54 Depth=1
	s_mov_b64 s[42:43], 0
.LBB920_57:                             ;   Parent Loop BB920_54 Depth=1
                                        ; =>  This Inner Loop Header: Depth=2
	global_load_dwordx2 v[6:7], v[10:11], off sc1
	s_waitcnt vmcnt(0)
	v_cmp_ne_u16_sdwa s[44:45], v7, v5 src0_sel:BYTE_0 src1_sel:DWORD
	s_or_b64 s[42:43], s[44:45], s[42:43]
	s_andn2_b64 exec, exec, s[42:43]
	s_cbranch_execnz .LBB920_57
; %bb.58:                               ;   in Loop: Header=BB920_54 Depth=1
	s_or_b64 exec, exec, s[42:43]
	s_branch .LBB920_53
.LBB920_59:                             ;   in Loop: Header=BB920_54 Depth=1
                                        ; implicit-def: $vgpr6
                                        ; implicit-def: $vgpr7
	s_cbranch_execz .LBB920_54
; %bb.60:
	s_and_saveexec_b64 s[40:41], s[18:19]
	s_cbranch_execz .LBB920_62
; %bb.61:
	s_add_i32 s2, s2, 64
	s_mov_b32 s3, 0
	s_lshl_b64 s[2:3], s[2:3], 3
	s_add_u32 s2, s36, s2
	v_add_u32_e32 v4, v3, v2
	v_mov_b32_e32 v5, 2
	s_addc_u32 s3, s37, s3
	v_mov_b32_e32 v6, 0
	global_store_dwordx2 v6, v[4:5], s[2:3] sc1
	ds_write_b64 v6, v[2:3] offset:30720
.LBB920_62:
	s_or_b64 exec, exec, s[40:41]
	v_cmp_eq_u32_e32 vcc, 0, v0
	s_and_b64 exec, exec, vcc
	s_cbranch_execz .LBB920_64
; %bb.63:
	v_mov_b32_e32 v2, 0
	ds_write_b32 v2, v3 offset:28
.LBB920_64:
	s_or_b64 exec, exec, s[38:39]
	v_mov_b32_e32 v14, 0
	s_waitcnt lgkmcnt(0)
	s_barrier
	ds_read_b32 v2, v14 offset:28
	v_cndmask_b32_e64 v3, v13, v12, s[18:19]
	v_cmp_ne_u32_e32 vcc, 0, v0
	s_waitcnt lgkmcnt(0)
	s_barrier
	v_cndmask_b32_e32 v3, 0, v3, vcc
	v_add_u32_e32 v2, v2, v3
	v_add_u32_e32 v3, v2, v51
	;; [unrolled: 1-line block ×10, first 2 shown]
	ds_read_b64 v[20:21], v14 offset:30720
	v_add_u32_e32 v12, v11, v61
	v_add_u32_e32 v13, v12, v62
	;; [unrolled: 1-line block ×5, first 2 shown]
	s_waitcnt lgkmcnt(0)
	v_mov_b32_e32 v52, v21
	s_load_dwordx2 s[2:3], s[0:1], 0x28
	s_branch .LBB920_75
.LBB920_65:
                                        ; implicit-def: $vgpr52
                                        ; implicit-def: $vgpr20
                                        ; implicit-def: $vgpr2_vgpr3_vgpr4_vgpr5_vgpr6_vgpr7_vgpr8_vgpr9_vgpr10_vgpr11_vgpr12_vgpr13_vgpr14_vgpr15_vgpr16_vgpr17
	s_load_dwordx2 s[2:3], s[0:1], 0x28
	s_cbranch_execz .LBB920_75
; %bb.66:
	v_mov_b32_dpp v2, v68 row_shr:1 row_mask:0xf bank_mask:0xf
	v_cndmask_b32_e64 v2, v2, 0, s[16:17]
	v_add_u32_e32 v2, v2, v68
	s_nop 1
	v_mov_b32_dpp v3, v2 row_shr:2 row_mask:0xf bank_mask:0xf
	v_cndmask_b32_e64 v3, 0, v3, s[14:15]
	v_add_u32_e32 v2, v2, v3
	s_nop 1
	;; [unrolled: 4-line block ×4, first 2 shown]
	v_mov_b32_dpp v3, v2 row_bcast:15 row_mask:0xf bank_mask:0xf
	v_cndmask_b32_e64 v3, v3, 0, s[8:9]
	v_add_u32_e32 v2, v2, v3
	s_nop 1
	v_mov_b32_dpp v3, v2 row_bcast:31 row_mask:0xf bank_mask:0xf
	v_cndmask_b32_e64 v3, 0, v3, s[4:5]
	v_add_u32_e32 v2, v2, v3
	s_and_saveexec_b64 s[0:1], s[6:7]
	s_cbranch_execz .LBB920_68
; %bb.67:
	v_lshlrev_b32_e32 v3, 2, v67
	ds_write_b32 v3, v2
.LBB920_68:
	s_or_b64 exec, exec, s[0:1]
	v_cmp_gt_u32_e32 vcc, 8, v0
	s_waitcnt lgkmcnt(0)
	s_barrier
	s_and_saveexec_b64 s[0:1], vcc
	s_cbranch_execz .LBB920_70
; %bb.69:
	ds_read_b32 v3, v18
	v_and_b32_e32 v4, 7, v66
	v_cmp_ne_u32_e32 vcc, 0, v4
	s_waitcnt lgkmcnt(0)
	v_mov_b32_dpp v5, v3 row_shr:1 row_mask:0xf bank_mask:0xf
	v_cndmask_b32_e32 v5, 0, v5, vcc
	v_add_u32_e32 v3, v5, v3
	v_cmp_lt_u32_e32 vcc, 1, v4
	s_nop 0
	v_mov_b32_dpp v5, v3 row_shr:2 row_mask:0xf bank_mask:0xf
	v_cndmask_b32_e32 v5, 0, v5, vcc
	v_add_u32_e32 v3, v3, v5
	v_cmp_lt_u32_e32 vcc, 3, v4
	s_nop 0
	v_mov_b32_dpp v5, v3 row_shr:4 row_mask:0xf bank_mask:0xf
	v_cndmask_b32_e32 v4, 0, v5, vcc
	v_add_u32_e32 v3, v3, v4
	ds_write_b32 v18, v3
.LBB920_70:
	s_or_b64 exec, exec, s[0:1]
	v_cmp_lt_u32_e32 vcc, 63, v0
	v_mov_b32_e32 v4, 0
	v_mov_b32_e32 v3, 0
	s_waitcnt lgkmcnt(0)
	s_barrier
	s_and_saveexec_b64 s[0:1], vcc
	s_cbranch_execz .LBB920_72
; %bb.71:
	v_lshl_add_u32 v3, v67, 2, -4
	ds_read_b32 v3, v3
.LBB920_72:
	s_or_b64 exec, exec, s[0:1]
	v_add_u32_e32 v5, -1, v66
	v_and_b32_e32 v6, 64, v66
	v_cmp_lt_i32_e32 vcc, v5, v6
	s_waitcnt lgkmcnt(0)
	v_add_u32_e32 v2, v3, v2
	ds_read_b32 v20, v4 offset:28
	v_cndmask_b32_e32 v5, v5, v66, vcc
	v_lshlrev_b32_e32 v5, 2, v5
	ds_bpermute_b32 v2, v5, v2
	v_cmp_eq_u32_e32 vcc, 0, v0
	s_and_saveexec_b64 s[0:1], vcc
	s_cbranch_execz .LBB920_74
; %bb.73:
	v_mov_b32_e32 v4, 0
	v_mov_b32_e32 v21, 2
	s_waitcnt lgkmcnt(1)
	global_store_dwordx2 v4, v[20:21], s[36:37] offset:512 sc1
.LBB920_74:
	s_or_b64 exec, exec, s[0:1]
	v_cmp_eq_u32_e64 s[0:1], 0, v66
	v_mov_b32_e32 v52, 0
	s_waitcnt lgkmcnt(0)
	v_cndmask_b32_e64 v2, v2, v3, s[0:1]
	v_cndmask_b32_e64 v2, v2, 0, vcc
	v_add_u32_e32 v3, v2, v51
	v_add_u32_e32 v4, v3, v53
	;; [unrolled: 1-line block ×14, first 2 shown]
	s_barrier
.LBB920_75:
	v_add_u32_e32 v17, v20, v37
	v_sub_u32_e32 v2, v2, v52
	v_and_b32_e32 v37, 1, v50
	v_sub_u32_e32 v21, v17, v2
	v_cmp_eq_u32_e32 vcc, 1, v37
	s_add_u32 s0, s22, s30
	s_addc_u32 s1, s23, 0
	v_cndmask_b32_e32 v2, v21, v2, vcc
	v_lshlrev_b32_e32 v2, 2, v2
	ds_write_b32 v2, v34
	v_sub_u32_e32 v2, v3, v52
	v_sub_u32_e32 v3, v17, v2
	v_and_b32_e32 v21, 1, v49
	v_add_u32_e32 v3, 1, v3
	v_cmp_eq_u32_e32 vcc, 1, v21
	s_sub_u32 s0, s28, s0
	s_subb_u32 s1, s29, s1
	v_cndmask_b32_e32 v2, v3, v2, vcc
	v_lshlrev_b32_e32 v2, 2, v2
	ds_write_b32 v2, v35
	v_sub_u32_e32 v2, v4, v52
	v_sub_u32_e32 v3, v17, v2
	v_and_b32_e32 v4, 1, v48
	v_add_u32_e32 v3, 2, v3
	v_cmp_eq_u32_e32 vcc, 1, v4
	v_and_b32_e32 v4, 1, v47
	v_or_b32_e32 v50, 0x200, v0
	v_cndmask_b32_e32 v2, v3, v2, vcc
	v_lshlrev_b32_e32 v2, 2, v2
	ds_write_b32 v2, v32
	v_sub_u32_e32 v2, v5, v52
	v_sub_u32_e32 v3, v17, v2
	v_add_u32_e32 v3, 3, v3
	v_cmp_eq_u32_e32 vcc, 1, v4
	v_and_b32_e32 v4, 1, v46
	v_or_b32_e32 v46, 0x400, v0
	v_cndmask_b32_e32 v2, v3, v2, vcc
	v_lshlrev_b32_e32 v2, 2, v2
	ds_write_b32 v2, v33
	v_sub_u32_e32 v2, v6, v52
	v_sub_u32_e32 v3, v17, v2
	;; [unrolled: 9-line block ×12, first 2 shown]
	v_add_u32_e32 v3, 14, v3
	v_cmp_eq_u32_e32 vcc, 1, v4
	v_or_b32_e32 v16, 0x1600, v0
	v_or_b32_e32 v4, 0x1c00, v0
	v_cndmask_b32_e32 v2, v3, v2, vcc
	v_lshlrev_b32_e32 v2, 2, v2
	ds_write_b32 v2, v1
	s_waitcnt lgkmcnt(0)
	s_barrier
	ds_read2st64_b32 v[48:49], v18 offset1:8
	ds_read2st64_b32 v[42:43], v18 offset0:16 offset1:24
	ds_read2st64_b32 v[36:37], v18 offset0:32 offset1:40
	;; [unrolled: 1-line block ×6, first 2 shown]
	ds_read_b32 v54, v18 offset:28672
	v_mov_b32_e32 v1, 0
	v_mov_b32_e32 v53, v1
	;; [unrolled: 1-line block ×3, first 2 shown]
	v_lshl_add_u64 v[2:3], s[34:35], 0, v[52:53]
	v_lshl_add_u64 v[6:7], s[0:1], 0, v[20:21]
	v_mov_b32_e32 v51, v1
	v_mov_b32_e32 v47, v1
	;; [unrolled: 1-line block ×14, first 2 shown]
	s_and_b64 vcc, exec, s[20:21]
	v_lshl_add_u64 v[6:7], v[6:7], 0, v[2:3]
	s_cbranch_vccnz .LBB920_137
; %bb.76:
	v_cmp_ge_u32_e32 vcc, v0, v20
                                        ; implicit-def: $vgpr18_vgpr19
	s_and_saveexec_b64 s[0:1], vcc
	s_xor_b64 s[0:1], exec, s[0:1]
; %bb.77:
	v_not_b32_e32 v18, v0
	v_ashrrev_i32_e32 v19, 31, v18
	v_lshl_add_u64 v[18:19], v[6:7], 0, v[18:19]
; %bb.78:
	s_andn2_saveexec_b64 s[0:1], s[0:1]
; %bb.79:
	v_lshl_add_u64 v[18:19], v[2:3], 0, v[0:1]
; %bb.80:
	s_or_b64 exec, exec, s[0:1]
	v_lshl_add_u64 v[18:19], v[18:19], 2, s[2:3]
	v_cmp_ge_u32_e32 vcc, v50, v20
	s_waitcnt lgkmcnt(7)
	global_store_dword v[18:19], v48, off
                                        ; implicit-def: $vgpr18_vgpr19
	s_and_saveexec_b64 s[0:1], vcc
	s_xor_b64 s[0:1], exec, s[0:1]
; %bb.81:
	v_xor_b32_e32 v18, 0xfffffdff, v0
	v_ashrrev_i32_e32 v19, 31, v18
	v_lshl_add_u64 v[18:19], v[6:7], 0, v[18:19]
; %bb.82:
	s_andn2_saveexec_b64 s[0:1], s[0:1]
; %bb.83:
	v_lshl_add_u64 v[18:19], v[2:3], 0, v[50:51]
; %bb.84:
	s_or_b64 exec, exec, s[0:1]
	v_lshl_add_u64 v[18:19], v[18:19], 2, s[2:3]
	v_cmp_ge_u32_e32 vcc, v46, v20
	global_store_dword v[18:19], v49, off
                                        ; implicit-def: $vgpr18_vgpr19
	s_and_saveexec_b64 s[0:1], vcc
	s_xor_b64 s[0:1], exec, s[0:1]
; %bb.85:
	v_xor_b32_e32 v18, 0xfffffbff, v0
	v_ashrrev_i32_e32 v19, 31, v18
	v_lshl_add_u64 v[18:19], v[6:7], 0, v[18:19]
; %bb.86:
	s_andn2_saveexec_b64 s[0:1], s[0:1]
; %bb.87:
	v_lshl_add_u64 v[18:19], v[2:3], 0, v[46:47]
; %bb.88:
	s_or_b64 exec, exec, s[0:1]
	v_lshl_add_u64 v[18:19], v[18:19], 2, s[2:3]
	v_cmp_ge_u32_e32 vcc, v44, v20
	s_waitcnt lgkmcnt(6)
	global_store_dword v[18:19], v42, off
                                        ; implicit-def: $vgpr18_vgpr19
	s_and_saveexec_b64 s[0:1], vcc
	s_xor_b64 s[0:1], exec, s[0:1]
; %bb.89:
	v_xor_b32_e32 v18, 0xfffff9ff, v0
	v_ashrrev_i32_e32 v19, 31, v18
	v_lshl_add_u64 v[18:19], v[6:7], 0, v[18:19]
; %bb.90:
	s_andn2_saveexec_b64 s[0:1], s[0:1]
; %bb.91:
	v_lshl_add_u64 v[18:19], v[2:3], 0, v[44:45]
; %bb.92:
	s_or_b64 exec, exec, s[0:1]
	v_lshl_add_u64 v[18:19], v[18:19], 2, s[2:3]
	v_cmp_ge_u32_e32 vcc, v40, v20
	global_store_dword v[18:19], v43, off
                                        ; implicit-def: $vgpr18_vgpr19
	s_and_saveexec_b64 s[0:1], vcc
	s_xor_b64 s[0:1], exec, s[0:1]
; %bb.93:
	v_xor_b32_e32 v18, 0xfffff7ff, v0
	;; [unrolled: 33-line block ×7, first 2 shown]
	v_ashrrev_i32_e32 v19, 31, v18
	v_lshl_add_u64 v[18:19], v[6:7], 0, v[18:19]
; %bb.134:
	s_andn2_saveexec_b64 s[0:1], s[0:1]
; %bb.135:
	v_lshl_add_u64 v[18:19], v[2:3], 0, v[4:5]
; %bb.136:
	s_or_b64 exec, exec, s[0:1]
	s_mov_b64 s[0:1], -1
	s_branch .LBB920_229
.LBB920_137:
	s_mov_b64 s[0:1], 0
                                        ; implicit-def: $vgpr18_vgpr19
	s_cbranch_execz .LBB920_229
; %bb.138:
	v_cmp_gt_u32_e32 vcc, s33, v0
	s_and_saveexec_b64 s[4:5], vcc
	s_cbranch_execz .LBB920_180
; %bb.139:
	v_cmp_ge_u32_e32 vcc, v0, v20
                                        ; implicit-def: $vgpr18_vgpr19
	s_and_saveexec_b64 s[6:7], vcc
	s_xor_b64 s[6:7], exec, s[6:7]
; %bb.140:
	v_not_b32_e32 v18, v0
	v_ashrrev_i32_e32 v19, 31, v18
	v_lshl_add_u64 v[18:19], v[6:7], 0, v[18:19]
; %bb.141:
	s_andn2_saveexec_b64 s[6:7], s[6:7]
; %bb.142:
	v_lshl_add_u64 v[18:19], v[2:3], 0, v[0:1]
; %bb.143:
	s_or_b64 exec, exec, s[6:7]
	v_lshl_add_u64 v[18:19], v[18:19], 2, s[2:3]
	s_waitcnt lgkmcnt(7)
	global_store_dword v[18:19], v48, off
	s_or_b64 exec, exec, s[4:5]
	v_cmp_gt_u32_e32 vcc, s33, v50
	s_and_saveexec_b64 s[4:5], vcc
	s_cbranch_execnz .LBB920_181
.LBB920_144:
	s_or_b64 exec, exec, s[4:5]
	v_cmp_gt_u32_e32 vcc, s33, v46
	s_and_saveexec_b64 s[4:5], vcc
	s_cbranch_execz .LBB920_186
.LBB920_145:
	v_cmp_ge_u32_e32 vcc, v46, v20
                                        ; implicit-def: $vgpr18_vgpr19
	s_and_saveexec_b64 s[6:7], vcc
	s_xor_b64 s[6:7], exec, s[6:7]
; %bb.146:
	v_xor_b32_e32 v18, 0xfffffbff, v0
	v_ashrrev_i32_e32 v19, 31, v18
	v_lshl_add_u64 v[18:19], v[6:7], 0, v[18:19]
                                        ; implicit-def: $vgpr46_vgpr47
; %bb.147:
	s_andn2_saveexec_b64 s[6:7], s[6:7]
; %bb.148:
	v_lshl_add_u64 v[18:19], v[2:3], 0, v[46:47]
; %bb.149:
	s_or_b64 exec, exec, s[6:7]
	v_lshl_add_u64 v[18:19], v[18:19], 2, s[2:3]
	s_waitcnt lgkmcnt(6)
	global_store_dword v[18:19], v42, off
	s_or_b64 exec, exec, s[4:5]
	v_cmp_gt_u32_e32 vcc, s33, v44
	s_and_saveexec_b64 s[4:5], vcc
	s_cbranch_execnz .LBB920_187
.LBB920_150:
	s_or_b64 exec, exec, s[4:5]
	v_cmp_gt_u32_e32 vcc, s33, v40
	s_and_saveexec_b64 s[4:5], vcc
	s_cbranch_execz .LBB920_192
.LBB920_151:
	v_cmp_ge_u32_e32 vcc, v40, v20
                                        ; implicit-def: $vgpr18_vgpr19
	s_and_saveexec_b64 s[6:7], vcc
	s_xor_b64 s[6:7], exec, s[6:7]
; %bb.152:
	v_xor_b32_e32 v18, 0xfffff7ff, v0
	v_ashrrev_i32_e32 v19, 31, v18
	v_lshl_add_u64 v[18:19], v[6:7], 0, v[18:19]
                                        ; implicit-def: $vgpr40_vgpr41
; %bb.153:
	s_andn2_saveexec_b64 s[6:7], s[6:7]
; %bb.154:
	v_lshl_add_u64 v[18:19], v[2:3], 0, v[40:41]
; %bb.155:
	s_or_b64 exec, exec, s[6:7]
	v_lshl_add_u64 v[18:19], v[18:19], 2, s[2:3]
	s_waitcnt lgkmcnt(5)
	global_store_dword v[18:19], v36, off
	s_or_b64 exec, exec, s[4:5]
	v_cmp_gt_u32_e32 vcc, s33, v38
	s_and_saveexec_b64 s[4:5], vcc
	s_cbranch_execnz .LBB920_193
.LBB920_156:
	s_or_b64 exec, exec, s[4:5]
	v_cmp_gt_u32_e32 vcc, s33, v34
	s_and_saveexec_b64 s[4:5], vcc
	s_cbranch_execz .LBB920_198
.LBB920_157:
	v_cmp_ge_u32_e32 vcc, v34, v20
                                        ; implicit-def: $vgpr18_vgpr19
	s_and_saveexec_b64 s[6:7], vcc
	s_xor_b64 s[6:7], exec, s[6:7]
; %bb.158:
	v_xor_b32_e32 v18, 0xfffff3ff, v0
	v_ashrrev_i32_e32 v19, 31, v18
	v_lshl_add_u64 v[18:19], v[6:7], 0, v[18:19]
                                        ; implicit-def: $vgpr34_vgpr35
; %bb.159:
	s_andn2_saveexec_b64 s[6:7], s[6:7]
; %bb.160:
	v_lshl_add_u64 v[18:19], v[2:3], 0, v[34:35]
; %bb.161:
	s_or_b64 exec, exec, s[6:7]
	v_lshl_add_u64 v[18:19], v[18:19], 2, s[2:3]
	s_waitcnt lgkmcnt(4)
	global_store_dword v[18:19], v30, off
	s_or_b64 exec, exec, s[4:5]
	v_cmp_gt_u32_e32 vcc, s33, v32
	s_and_saveexec_b64 s[4:5], vcc
	s_cbranch_execnz .LBB920_199
.LBB920_162:
	s_or_b64 exec, exec, s[4:5]
	v_cmp_gt_u32_e32 vcc, s33, v28
	s_and_saveexec_b64 s[4:5], vcc
	s_cbranch_execz .LBB920_204
.LBB920_163:
	v_cmp_ge_u32_e32 vcc, v28, v20
                                        ; implicit-def: $vgpr18_vgpr19
	s_and_saveexec_b64 s[6:7], vcc
	s_xor_b64 s[6:7], exec, s[6:7]
; %bb.164:
	v_xor_b32_e32 v18, 0xffffefff, v0
	v_ashrrev_i32_e32 v19, 31, v18
	v_lshl_add_u64 v[18:19], v[6:7], 0, v[18:19]
                                        ; implicit-def: $vgpr28_vgpr29
; %bb.165:
	s_andn2_saveexec_b64 s[6:7], s[6:7]
; %bb.166:
	v_lshl_add_u64 v[18:19], v[2:3], 0, v[28:29]
; %bb.167:
	s_or_b64 exec, exec, s[6:7]
	v_lshl_add_u64 v[18:19], v[18:19], 2, s[2:3]
	s_waitcnt lgkmcnt(3)
	global_store_dword v[18:19], v24, off
	s_or_b64 exec, exec, s[4:5]
	v_cmp_gt_u32_e32 vcc, s33, v26
	s_and_saveexec_b64 s[4:5], vcc
	s_cbranch_execnz .LBB920_205
.LBB920_168:
	s_or_b64 exec, exec, s[4:5]
	v_cmp_gt_u32_e32 vcc, s33, v22
	s_and_saveexec_b64 s[4:5], vcc
	s_cbranch_execz .LBB920_210
.LBB920_169:
	v_cmp_ge_u32_e32 vcc, v22, v20
                                        ; implicit-def: $vgpr18_vgpr19
	s_and_saveexec_b64 s[6:7], vcc
	s_xor_b64 s[6:7], exec, s[6:7]
; %bb.170:
	v_xor_b32_e32 v18, 0xffffebff, v0
	v_ashrrev_i32_e32 v19, 31, v18
	v_lshl_add_u64 v[18:19], v[6:7], 0, v[18:19]
                                        ; implicit-def: $vgpr22_vgpr23
; %bb.171:
	s_andn2_saveexec_b64 s[6:7], s[6:7]
; %bb.172:
	v_lshl_add_u64 v[18:19], v[2:3], 0, v[22:23]
; %bb.173:
	s_or_b64 exec, exec, s[6:7]
	v_lshl_add_u64 v[18:19], v[18:19], 2, s[2:3]
	s_waitcnt lgkmcnt(2)
	global_store_dword v[18:19], v14, off
	s_or_b64 exec, exec, s[4:5]
	v_cmp_gt_u32_e32 vcc, s33, v16
	s_and_saveexec_b64 s[4:5], vcc
	s_cbranch_execnz .LBB920_211
.LBB920_174:
	s_or_b64 exec, exec, s[4:5]
	v_cmp_gt_u32_e32 vcc, s33, v12
	s_and_saveexec_b64 s[4:5], vcc
	s_cbranch_execz .LBB920_216
.LBB920_175:
	v_cmp_ge_u32_e32 vcc, v12, v20
                                        ; implicit-def: $vgpr14_vgpr15
	s_and_saveexec_b64 s[6:7], vcc
	s_xor_b64 s[6:7], exec, s[6:7]
	s_cbranch_execz .LBB920_177
; %bb.176:
	v_xor_b32_e32 v12, 0xffffe7ff, v0
	v_ashrrev_i32_e32 v13, 31, v12
	s_waitcnt lgkmcnt(2)
	v_lshl_add_u64 v[14:15], v[6:7], 0, v[12:13]
                                        ; implicit-def: $vgpr12_vgpr13
.LBB920_177:
	s_andn2_saveexec_b64 s[6:7], s[6:7]
	s_cbranch_execz .LBB920_179
; %bb.178:
	s_waitcnt lgkmcnt(2)
	v_lshl_add_u64 v[14:15], v[2:3], 0, v[12:13]
.LBB920_179:
	s_or_b64 exec, exec, s[6:7]
	s_waitcnt lgkmcnt(2)
	v_lshl_add_u64 v[12:13], v[14:15], 2, s[2:3]
	s_waitcnt lgkmcnt(1)
	global_store_dword v[12:13], v8, off
	s_or_b64 exec, exec, s[4:5]
	v_cmp_gt_u32_e32 vcc, s33, v10
	s_and_saveexec_b64 s[4:5], vcc
	s_cbranch_execz .LBB920_222
	s_branch .LBB920_217
.LBB920_180:
	s_or_b64 exec, exec, s[4:5]
	v_cmp_gt_u32_e32 vcc, s33, v50
	s_and_saveexec_b64 s[4:5], vcc
	s_cbranch_execz .LBB920_144
.LBB920_181:
	v_cmp_ge_u32_e32 vcc, v50, v20
                                        ; implicit-def: $vgpr18_vgpr19
	s_and_saveexec_b64 s[6:7], vcc
	s_xor_b64 s[6:7], exec, s[6:7]
; %bb.182:
	v_xor_b32_e32 v18, 0xfffffdff, v0
	v_ashrrev_i32_e32 v19, 31, v18
	v_lshl_add_u64 v[18:19], v[6:7], 0, v[18:19]
                                        ; implicit-def: $vgpr50_vgpr51
; %bb.183:
	s_andn2_saveexec_b64 s[6:7], s[6:7]
; %bb.184:
	v_lshl_add_u64 v[18:19], v[2:3], 0, v[50:51]
; %bb.185:
	s_or_b64 exec, exec, s[6:7]
	v_lshl_add_u64 v[18:19], v[18:19], 2, s[2:3]
	s_waitcnt lgkmcnt(7)
	global_store_dword v[18:19], v49, off
	s_or_b64 exec, exec, s[4:5]
	v_cmp_gt_u32_e32 vcc, s33, v46
	s_and_saveexec_b64 s[4:5], vcc
	s_cbranch_execnz .LBB920_145
.LBB920_186:
	s_or_b64 exec, exec, s[4:5]
	v_cmp_gt_u32_e32 vcc, s33, v44
	s_and_saveexec_b64 s[4:5], vcc
	s_cbranch_execz .LBB920_150
.LBB920_187:
	v_cmp_ge_u32_e32 vcc, v44, v20
                                        ; implicit-def: $vgpr18_vgpr19
	s_and_saveexec_b64 s[6:7], vcc
	s_xor_b64 s[6:7], exec, s[6:7]
; %bb.188:
	v_xor_b32_e32 v18, 0xfffff9ff, v0
	v_ashrrev_i32_e32 v19, 31, v18
	v_lshl_add_u64 v[18:19], v[6:7], 0, v[18:19]
                                        ; implicit-def: $vgpr44_vgpr45
; %bb.189:
	s_andn2_saveexec_b64 s[6:7], s[6:7]
; %bb.190:
	v_lshl_add_u64 v[18:19], v[2:3], 0, v[44:45]
; %bb.191:
	s_or_b64 exec, exec, s[6:7]
	v_lshl_add_u64 v[18:19], v[18:19], 2, s[2:3]
	s_waitcnt lgkmcnt(6)
	global_store_dword v[18:19], v43, off
	s_or_b64 exec, exec, s[4:5]
	v_cmp_gt_u32_e32 vcc, s33, v40
	s_and_saveexec_b64 s[4:5], vcc
	s_cbranch_execnz .LBB920_151
.LBB920_192:
	s_or_b64 exec, exec, s[4:5]
	v_cmp_gt_u32_e32 vcc, s33, v38
	s_and_saveexec_b64 s[4:5], vcc
	s_cbranch_execz .LBB920_156
.LBB920_193:
	v_cmp_ge_u32_e32 vcc, v38, v20
                                        ; implicit-def: $vgpr18_vgpr19
	s_and_saveexec_b64 s[6:7], vcc
	s_xor_b64 s[6:7], exec, s[6:7]
; %bb.194:
	v_xor_b32_e32 v18, 0xfffff5ff, v0
	v_ashrrev_i32_e32 v19, 31, v18
	v_lshl_add_u64 v[18:19], v[6:7], 0, v[18:19]
                                        ; implicit-def: $vgpr38_vgpr39
; %bb.195:
	s_andn2_saveexec_b64 s[6:7], s[6:7]
; %bb.196:
	v_lshl_add_u64 v[18:19], v[2:3], 0, v[38:39]
; %bb.197:
	s_or_b64 exec, exec, s[6:7]
	v_lshl_add_u64 v[18:19], v[18:19], 2, s[2:3]
	s_waitcnt lgkmcnt(5)
	global_store_dword v[18:19], v37, off
	s_or_b64 exec, exec, s[4:5]
	v_cmp_gt_u32_e32 vcc, s33, v34
	s_and_saveexec_b64 s[4:5], vcc
	s_cbranch_execnz .LBB920_157
.LBB920_198:
	s_or_b64 exec, exec, s[4:5]
	v_cmp_gt_u32_e32 vcc, s33, v32
	s_and_saveexec_b64 s[4:5], vcc
	s_cbranch_execz .LBB920_162
.LBB920_199:
	v_cmp_ge_u32_e32 vcc, v32, v20
                                        ; implicit-def: $vgpr18_vgpr19
	s_and_saveexec_b64 s[6:7], vcc
	s_xor_b64 s[6:7], exec, s[6:7]
; %bb.200:
	v_xor_b32_e32 v18, 0xfffff1ff, v0
	v_ashrrev_i32_e32 v19, 31, v18
	v_lshl_add_u64 v[18:19], v[6:7], 0, v[18:19]
                                        ; implicit-def: $vgpr32_vgpr33
; %bb.201:
	s_andn2_saveexec_b64 s[6:7], s[6:7]
; %bb.202:
	v_lshl_add_u64 v[18:19], v[2:3], 0, v[32:33]
; %bb.203:
	s_or_b64 exec, exec, s[6:7]
	v_lshl_add_u64 v[18:19], v[18:19], 2, s[2:3]
	s_waitcnt lgkmcnt(4)
	global_store_dword v[18:19], v31, off
	s_or_b64 exec, exec, s[4:5]
	v_cmp_gt_u32_e32 vcc, s33, v28
	s_and_saveexec_b64 s[4:5], vcc
	s_cbranch_execnz .LBB920_163
.LBB920_204:
	s_or_b64 exec, exec, s[4:5]
	v_cmp_gt_u32_e32 vcc, s33, v26
	s_and_saveexec_b64 s[4:5], vcc
	s_cbranch_execz .LBB920_168
.LBB920_205:
	v_cmp_ge_u32_e32 vcc, v26, v20
                                        ; implicit-def: $vgpr18_vgpr19
	s_and_saveexec_b64 s[6:7], vcc
	s_xor_b64 s[6:7], exec, s[6:7]
; %bb.206:
	v_xor_b32_e32 v18, 0xffffedff, v0
	v_ashrrev_i32_e32 v19, 31, v18
	v_lshl_add_u64 v[18:19], v[6:7], 0, v[18:19]
                                        ; implicit-def: $vgpr26_vgpr27
; %bb.207:
	s_andn2_saveexec_b64 s[6:7], s[6:7]
; %bb.208:
	v_lshl_add_u64 v[18:19], v[2:3], 0, v[26:27]
; %bb.209:
	s_or_b64 exec, exec, s[6:7]
	v_lshl_add_u64 v[18:19], v[18:19], 2, s[2:3]
	s_waitcnt lgkmcnt(3)
	global_store_dword v[18:19], v25, off
	s_or_b64 exec, exec, s[4:5]
	v_cmp_gt_u32_e32 vcc, s33, v22
	s_and_saveexec_b64 s[4:5], vcc
	s_cbranch_execnz .LBB920_169
.LBB920_210:
	s_or_b64 exec, exec, s[4:5]
	v_cmp_gt_u32_e32 vcc, s33, v16
	s_and_saveexec_b64 s[4:5], vcc
	s_cbranch_execz .LBB920_174
.LBB920_211:
	v_cmp_ge_u32_e32 vcc, v16, v20
                                        ; implicit-def: $vgpr18_vgpr19
	s_and_saveexec_b64 s[6:7], vcc
	s_xor_b64 s[6:7], exec, s[6:7]
; %bb.212:
	v_xor_b32_e32 v16, 0xffffe9ff, v0
	v_ashrrev_i32_e32 v17, 31, v16
	v_lshl_add_u64 v[18:19], v[6:7], 0, v[16:17]
                                        ; implicit-def: $vgpr16_vgpr17
; %bb.213:
	s_andn2_saveexec_b64 s[6:7], s[6:7]
; %bb.214:
	v_lshl_add_u64 v[18:19], v[2:3], 0, v[16:17]
; %bb.215:
	s_or_b64 exec, exec, s[6:7]
	v_lshl_add_u64 v[16:17], v[18:19], 2, s[2:3]
	s_waitcnt lgkmcnt(2)
	global_store_dword v[16:17], v15, off
	s_or_b64 exec, exec, s[4:5]
	v_cmp_gt_u32_e32 vcc, s33, v12
	s_and_saveexec_b64 s[4:5], vcc
	s_cbranch_execnz .LBB920_175
.LBB920_216:
	s_or_b64 exec, exec, s[4:5]
	v_cmp_gt_u32_e32 vcc, s33, v10
	s_and_saveexec_b64 s[4:5], vcc
	s_cbranch_execz .LBB920_222
.LBB920_217:
	v_cmp_ge_u32_e32 vcc, v10, v20
                                        ; implicit-def: $vgpr12_vgpr13
	s_and_saveexec_b64 s[6:7], vcc
	s_xor_b64 s[6:7], exec, s[6:7]
; %bb.218:
	v_xor_b32_e32 v10, 0xffffe5ff, v0
	v_ashrrev_i32_e32 v11, 31, v10
	v_lshl_add_u64 v[12:13], v[6:7], 0, v[10:11]
                                        ; implicit-def: $vgpr10_vgpr11
; %bb.219:
	s_andn2_saveexec_b64 s[6:7], s[6:7]
; %bb.220:
	v_lshl_add_u64 v[12:13], v[2:3], 0, v[10:11]
; %bb.221:
	s_or_b64 exec, exec, s[6:7]
	v_lshl_add_u64 v[10:11], v[12:13], 2, s[2:3]
	s_waitcnt lgkmcnt(1)
	global_store_dword v[10:11], v9, off
.LBB920_222:
	s_or_b64 exec, exec, s[4:5]
	v_cmp_gt_u32_e32 vcc, s33, v4
                                        ; implicit-def: $vgpr18_vgpr19
	s_and_saveexec_b64 s[4:5], vcc
	s_cbranch_execz .LBB920_228
; %bb.223:
	v_cmp_ge_u32_e32 vcc, v4, v20
                                        ; implicit-def: $vgpr18_vgpr19
	s_and_saveexec_b64 s[6:7], vcc
	s_xor_b64 s[6:7], exec, s[6:7]
; %bb.224:
	v_xor_b32_e32 v4, 0xffffe3ff, v0
	v_ashrrev_i32_e32 v5, 31, v4
	v_lshl_add_u64 v[18:19], v[6:7], 0, v[4:5]
                                        ; implicit-def: $vgpr4_vgpr5
; %bb.225:
	s_andn2_saveexec_b64 s[6:7], s[6:7]
; %bb.226:
	v_lshl_add_u64 v[18:19], v[2:3], 0, v[4:5]
; %bb.227:
	s_or_b64 exec, exec, s[6:7]
	s_or_b64 s[0:1], s[0:1], exec
.LBB920_228:
	s_or_b64 exec, exec, s[4:5]
.LBB920_229:
	s_and_saveexec_b64 s[4:5], s[0:1]
	s_cbranch_execz .LBB920_231
; %bb.230:
	v_lshl_add_u64 v[4:5], v[18:19], 2, s[2:3]
	s_waitcnt lgkmcnt(0)
	global_store_dword v[4:5], v54, off
.LBB920_231:
	s_or_b64 exec, exec, s[4:5]
	v_cmp_eq_u32_e32 vcc, 0, v0
	s_and_b64 s[0:1], vcc, s[26:27]
	s_and_saveexec_b64 s[2:3], s[0:1]
	s_cbranch_execz .LBB920_233
; %bb.232:
	v_mov_b32_e32 v4, 0
	v_lshl_add_u64 v[0:1], v[2:3], 0, v[20:21]
	global_store_dwordx2 v4, v[0:1], s[24:25]
.LBB920_233:
	s_endpgm
	.section	.rodata,"a",@progbits
	.p2align	6, 0x0
	.amdhsa_kernel _ZN7rocprim17ROCPRIM_400000_NS6detail17trampoline_kernelINS0_14default_configENS1_25partition_config_selectorILNS1_17partition_subalgoE3EjNS0_10empty_typeEbEEZZNS1_14partition_implILS5_3ELb0ES3_jN6thrust23THRUST_200600_302600_NS6detail15normal_iteratorINSA_7pointerIjNSA_11hip_rocprim3tagENSA_11use_defaultESG_EEEEPS6_SJ_NS0_5tupleIJPjSJ_EEENSK_IJSJ_SJ_EEES6_PlJ7is_evenIjEEEE10hipError_tPvRmT3_T4_T5_T6_T7_T9_mT8_P12ihipStream_tbDpT10_ENKUlT_T0_E_clISt17integral_constantIbLb0EES1A_EEDaS15_S16_EUlS15_E_NS1_11comp_targetILNS1_3genE5ELNS1_11target_archE942ELNS1_3gpuE9ELNS1_3repE0EEENS1_30default_config_static_selectorELNS0_4arch9wavefront6targetE1EEEvT1_
		.amdhsa_group_segment_fixed_size 30728
		.amdhsa_private_segment_fixed_size 0
		.amdhsa_kernarg_size 120
		.amdhsa_user_sgpr_count 2
		.amdhsa_user_sgpr_dispatch_ptr 0
		.amdhsa_user_sgpr_queue_ptr 0
		.amdhsa_user_sgpr_kernarg_segment_ptr 1
		.amdhsa_user_sgpr_dispatch_id 0
		.amdhsa_user_sgpr_kernarg_preload_length 0
		.amdhsa_user_sgpr_kernarg_preload_offset 0
		.amdhsa_user_sgpr_private_segment_size 0
		.amdhsa_uses_dynamic_stack 0
		.amdhsa_enable_private_segment 0
		.amdhsa_system_sgpr_workgroup_id_x 1
		.amdhsa_system_sgpr_workgroup_id_y 0
		.amdhsa_system_sgpr_workgroup_id_z 0
		.amdhsa_system_sgpr_workgroup_info 0
		.amdhsa_system_vgpr_workitem_id 0
		.amdhsa_next_free_vgpr 76
		.amdhsa_next_free_sgpr 46
		.amdhsa_accum_offset 76
		.amdhsa_reserve_vcc 1
		.amdhsa_float_round_mode_32 0
		.amdhsa_float_round_mode_16_64 0
		.amdhsa_float_denorm_mode_32 3
		.amdhsa_float_denorm_mode_16_64 3
		.amdhsa_dx10_clamp 1
		.amdhsa_ieee_mode 1
		.amdhsa_fp16_overflow 0
		.amdhsa_tg_split 0
		.amdhsa_exception_fp_ieee_invalid_op 0
		.amdhsa_exception_fp_denorm_src 0
		.amdhsa_exception_fp_ieee_div_zero 0
		.amdhsa_exception_fp_ieee_overflow 0
		.amdhsa_exception_fp_ieee_underflow 0
		.amdhsa_exception_fp_ieee_inexact 0
		.amdhsa_exception_int_div_zero 0
	.end_amdhsa_kernel
	.section	.text._ZN7rocprim17ROCPRIM_400000_NS6detail17trampoline_kernelINS0_14default_configENS1_25partition_config_selectorILNS1_17partition_subalgoE3EjNS0_10empty_typeEbEEZZNS1_14partition_implILS5_3ELb0ES3_jN6thrust23THRUST_200600_302600_NS6detail15normal_iteratorINSA_7pointerIjNSA_11hip_rocprim3tagENSA_11use_defaultESG_EEEEPS6_SJ_NS0_5tupleIJPjSJ_EEENSK_IJSJ_SJ_EEES6_PlJ7is_evenIjEEEE10hipError_tPvRmT3_T4_T5_T6_T7_T9_mT8_P12ihipStream_tbDpT10_ENKUlT_T0_E_clISt17integral_constantIbLb0EES1A_EEDaS15_S16_EUlS15_E_NS1_11comp_targetILNS1_3genE5ELNS1_11target_archE942ELNS1_3gpuE9ELNS1_3repE0EEENS1_30default_config_static_selectorELNS0_4arch9wavefront6targetE1EEEvT1_,"axG",@progbits,_ZN7rocprim17ROCPRIM_400000_NS6detail17trampoline_kernelINS0_14default_configENS1_25partition_config_selectorILNS1_17partition_subalgoE3EjNS0_10empty_typeEbEEZZNS1_14partition_implILS5_3ELb0ES3_jN6thrust23THRUST_200600_302600_NS6detail15normal_iteratorINSA_7pointerIjNSA_11hip_rocprim3tagENSA_11use_defaultESG_EEEEPS6_SJ_NS0_5tupleIJPjSJ_EEENSK_IJSJ_SJ_EEES6_PlJ7is_evenIjEEEE10hipError_tPvRmT3_T4_T5_T6_T7_T9_mT8_P12ihipStream_tbDpT10_ENKUlT_T0_E_clISt17integral_constantIbLb0EES1A_EEDaS15_S16_EUlS15_E_NS1_11comp_targetILNS1_3genE5ELNS1_11target_archE942ELNS1_3gpuE9ELNS1_3repE0EEENS1_30default_config_static_selectorELNS0_4arch9wavefront6targetE1EEEvT1_,comdat
.Lfunc_end920:
	.size	_ZN7rocprim17ROCPRIM_400000_NS6detail17trampoline_kernelINS0_14default_configENS1_25partition_config_selectorILNS1_17partition_subalgoE3EjNS0_10empty_typeEbEEZZNS1_14partition_implILS5_3ELb0ES3_jN6thrust23THRUST_200600_302600_NS6detail15normal_iteratorINSA_7pointerIjNSA_11hip_rocprim3tagENSA_11use_defaultESG_EEEEPS6_SJ_NS0_5tupleIJPjSJ_EEENSK_IJSJ_SJ_EEES6_PlJ7is_evenIjEEEE10hipError_tPvRmT3_T4_T5_T6_T7_T9_mT8_P12ihipStream_tbDpT10_ENKUlT_T0_E_clISt17integral_constantIbLb0EES1A_EEDaS15_S16_EUlS15_E_NS1_11comp_targetILNS1_3genE5ELNS1_11target_archE942ELNS1_3gpuE9ELNS1_3repE0EEENS1_30default_config_static_selectorELNS0_4arch9wavefront6targetE1EEEvT1_, .Lfunc_end920-_ZN7rocprim17ROCPRIM_400000_NS6detail17trampoline_kernelINS0_14default_configENS1_25partition_config_selectorILNS1_17partition_subalgoE3EjNS0_10empty_typeEbEEZZNS1_14partition_implILS5_3ELb0ES3_jN6thrust23THRUST_200600_302600_NS6detail15normal_iteratorINSA_7pointerIjNSA_11hip_rocprim3tagENSA_11use_defaultESG_EEEEPS6_SJ_NS0_5tupleIJPjSJ_EEENSK_IJSJ_SJ_EEES6_PlJ7is_evenIjEEEE10hipError_tPvRmT3_T4_T5_T6_T7_T9_mT8_P12ihipStream_tbDpT10_ENKUlT_T0_E_clISt17integral_constantIbLb0EES1A_EEDaS15_S16_EUlS15_E_NS1_11comp_targetILNS1_3genE5ELNS1_11target_archE942ELNS1_3gpuE9ELNS1_3repE0EEENS1_30default_config_static_selectorELNS0_4arch9wavefront6targetE1EEEvT1_
                                        ; -- End function
	.section	.AMDGPU.csdata,"",@progbits
; Kernel info:
; codeLenInByte = 7516
; NumSgprs: 52
; NumVgprs: 76
; NumAgprs: 0
; TotalNumVgprs: 76
; ScratchSize: 0
; MemoryBound: 0
; FloatMode: 240
; IeeeMode: 1
; LDSByteSize: 30728 bytes/workgroup (compile time only)
; SGPRBlocks: 6
; VGPRBlocks: 9
; NumSGPRsForWavesPerEU: 52
; NumVGPRsForWavesPerEU: 76
; AccumOffset: 76
; Occupancy: 4
; WaveLimiterHint : 1
; COMPUTE_PGM_RSRC2:SCRATCH_EN: 0
; COMPUTE_PGM_RSRC2:USER_SGPR: 2
; COMPUTE_PGM_RSRC2:TRAP_HANDLER: 0
; COMPUTE_PGM_RSRC2:TGID_X_EN: 1
; COMPUTE_PGM_RSRC2:TGID_Y_EN: 0
; COMPUTE_PGM_RSRC2:TGID_Z_EN: 0
; COMPUTE_PGM_RSRC2:TIDIG_COMP_CNT: 0
; COMPUTE_PGM_RSRC3_GFX90A:ACCUM_OFFSET: 18
; COMPUTE_PGM_RSRC3_GFX90A:TG_SPLIT: 0
	.section	.text._ZN7rocprim17ROCPRIM_400000_NS6detail17trampoline_kernelINS0_14default_configENS1_25partition_config_selectorILNS1_17partition_subalgoE3EjNS0_10empty_typeEbEEZZNS1_14partition_implILS5_3ELb0ES3_jN6thrust23THRUST_200600_302600_NS6detail15normal_iteratorINSA_7pointerIjNSA_11hip_rocprim3tagENSA_11use_defaultESG_EEEEPS6_SJ_NS0_5tupleIJPjSJ_EEENSK_IJSJ_SJ_EEES6_PlJ7is_evenIjEEEE10hipError_tPvRmT3_T4_T5_T6_T7_T9_mT8_P12ihipStream_tbDpT10_ENKUlT_T0_E_clISt17integral_constantIbLb0EES1A_EEDaS15_S16_EUlS15_E_NS1_11comp_targetILNS1_3genE4ELNS1_11target_archE910ELNS1_3gpuE8ELNS1_3repE0EEENS1_30default_config_static_selectorELNS0_4arch9wavefront6targetE1EEEvT1_,"axG",@progbits,_ZN7rocprim17ROCPRIM_400000_NS6detail17trampoline_kernelINS0_14default_configENS1_25partition_config_selectorILNS1_17partition_subalgoE3EjNS0_10empty_typeEbEEZZNS1_14partition_implILS5_3ELb0ES3_jN6thrust23THRUST_200600_302600_NS6detail15normal_iteratorINSA_7pointerIjNSA_11hip_rocprim3tagENSA_11use_defaultESG_EEEEPS6_SJ_NS0_5tupleIJPjSJ_EEENSK_IJSJ_SJ_EEES6_PlJ7is_evenIjEEEE10hipError_tPvRmT3_T4_T5_T6_T7_T9_mT8_P12ihipStream_tbDpT10_ENKUlT_T0_E_clISt17integral_constantIbLb0EES1A_EEDaS15_S16_EUlS15_E_NS1_11comp_targetILNS1_3genE4ELNS1_11target_archE910ELNS1_3gpuE8ELNS1_3repE0EEENS1_30default_config_static_selectorELNS0_4arch9wavefront6targetE1EEEvT1_,comdat
	.protected	_ZN7rocprim17ROCPRIM_400000_NS6detail17trampoline_kernelINS0_14default_configENS1_25partition_config_selectorILNS1_17partition_subalgoE3EjNS0_10empty_typeEbEEZZNS1_14partition_implILS5_3ELb0ES3_jN6thrust23THRUST_200600_302600_NS6detail15normal_iteratorINSA_7pointerIjNSA_11hip_rocprim3tagENSA_11use_defaultESG_EEEEPS6_SJ_NS0_5tupleIJPjSJ_EEENSK_IJSJ_SJ_EEES6_PlJ7is_evenIjEEEE10hipError_tPvRmT3_T4_T5_T6_T7_T9_mT8_P12ihipStream_tbDpT10_ENKUlT_T0_E_clISt17integral_constantIbLb0EES1A_EEDaS15_S16_EUlS15_E_NS1_11comp_targetILNS1_3genE4ELNS1_11target_archE910ELNS1_3gpuE8ELNS1_3repE0EEENS1_30default_config_static_selectorELNS0_4arch9wavefront6targetE1EEEvT1_ ; -- Begin function _ZN7rocprim17ROCPRIM_400000_NS6detail17trampoline_kernelINS0_14default_configENS1_25partition_config_selectorILNS1_17partition_subalgoE3EjNS0_10empty_typeEbEEZZNS1_14partition_implILS5_3ELb0ES3_jN6thrust23THRUST_200600_302600_NS6detail15normal_iteratorINSA_7pointerIjNSA_11hip_rocprim3tagENSA_11use_defaultESG_EEEEPS6_SJ_NS0_5tupleIJPjSJ_EEENSK_IJSJ_SJ_EEES6_PlJ7is_evenIjEEEE10hipError_tPvRmT3_T4_T5_T6_T7_T9_mT8_P12ihipStream_tbDpT10_ENKUlT_T0_E_clISt17integral_constantIbLb0EES1A_EEDaS15_S16_EUlS15_E_NS1_11comp_targetILNS1_3genE4ELNS1_11target_archE910ELNS1_3gpuE8ELNS1_3repE0EEENS1_30default_config_static_selectorELNS0_4arch9wavefront6targetE1EEEvT1_
	.globl	_ZN7rocprim17ROCPRIM_400000_NS6detail17trampoline_kernelINS0_14default_configENS1_25partition_config_selectorILNS1_17partition_subalgoE3EjNS0_10empty_typeEbEEZZNS1_14partition_implILS5_3ELb0ES3_jN6thrust23THRUST_200600_302600_NS6detail15normal_iteratorINSA_7pointerIjNSA_11hip_rocprim3tagENSA_11use_defaultESG_EEEEPS6_SJ_NS0_5tupleIJPjSJ_EEENSK_IJSJ_SJ_EEES6_PlJ7is_evenIjEEEE10hipError_tPvRmT3_T4_T5_T6_T7_T9_mT8_P12ihipStream_tbDpT10_ENKUlT_T0_E_clISt17integral_constantIbLb0EES1A_EEDaS15_S16_EUlS15_E_NS1_11comp_targetILNS1_3genE4ELNS1_11target_archE910ELNS1_3gpuE8ELNS1_3repE0EEENS1_30default_config_static_selectorELNS0_4arch9wavefront6targetE1EEEvT1_
	.p2align	8
	.type	_ZN7rocprim17ROCPRIM_400000_NS6detail17trampoline_kernelINS0_14default_configENS1_25partition_config_selectorILNS1_17partition_subalgoE3EjNS0_10empty_typeEbEEZZNS1_14partition_implILS5_3ELb0ES3_jN6thrust23THRUST_200600_302600_NS6detail15normal_iteratorINSA_7pointerIjNSA_11hip_rocprim3tagENSA_11use_defaultESG_EEEEPS6_SJ_NS0_5tupleIJPjSJ_EEENSK_IJSJ_SJ_EEES6_PlJ7is_evenIjEEEE10hipError_tPvRmT3_T4_T5_T6_T7_T9_mT8_P12ihipStream_tbDpT10_ENKUlT_T0_E_clISt17integral_constantIbLb0EES1A_EEDaS15_S16_EUlS15_E_NS1_11comp_targetILNS1_3genE4ELNS1_11target_archE910ELNS1_3gpuE8ELNS1_3repE0EEENS1_30default_config_static_selectorELNS0_4arch9wavefront6targetE1EEEvT1_,@function
_ZN7rocprim17ROCPRIM_400000_NS6detail17trampoline_kernelINS0_14default_configENS1_25partition_config_selectorILNS1_17partition_subalgoE3EjNS0_10empty_typeEbEEZZNS1_14partition_implILS5_3ELb0ES3_jN6thrust23THRUST_200600_302600_NS6detail15normal_iteratorINSA_7pointerIjNSA_11hip_rocprim3tagENSA_11use_defaultESG_EEEEPS6_SJ_NS0_5tupleIJPjSJ_EEENSK_IJSJ_SJ_EEES6_PlJ7is_evenIjEEEE10hipError_tPvRmT3_T4_T5_T6_T7_T9_mT8_P12ihipStream_tbDpT10_ENKUlT_T0_E_clISt17integral_constantIbLb0EES1A_EEDaS15_S16_EUlS15_E_NS1_11comp_targetILNS1_3genE4ELNS1_11target_archE910ELNS1_3gpuE8ELNS1_3repE0EEENS1_30default_config_static_selectorELNS0_4arch9wavefront6targetE1EEEvT1_: ; @_ZN7rocprim17ROCPRIM_400000_NS6detail17trampoline_kernelINS0_14default_configENS1_25partition_config_selectorILNS1_17partition_subalgoE3EjNS0_10empty_typeEbEEZZNS1_14partition_implILS5_3ELb0ES3_jN6thrust23THRUST_200600_302600_NS6detail15normal_iteratorINSA_7pointerIjNSA_11hip_rocprim3tagENSA_11use_defaultESG_EEEEPS6_SJ_NS0_5tupleIJPjSJ_EEENSK_IJSJ_SJ_EEES6_PlJ7is_evenIjEEEE10hipError_tPvRmT3_T4_T5_T6_T7_T9_mT8_P12ihipStream_tbDpT10_ENKUlT_T0_E_clISt17integral_constantIbLb0EES1A_EEDaS15_S16_EUlS15_E_NS1_11comp_targetILNS1_3genE4ELNS1_11target_archE910ELNS1_3gpuE8ELNS1_3repE0EEENS1_30default_config_static_selectorELNS0_4arch9wavefront6targetE1EEEvT1_
; %bb.0:
	.section	.rodata,"a",@progbits
	.p2align	6, 0x0
	.amdhsa_kernel _ZN7rocprim17ROCPRIM_400000_NS6detail17trampoline_kernelINS0_14default_configENS1_25partition_config_selectorILNS1_17partition_subalgoE3EjNS0_10empty_typeEbEEZZNS1_14partition_implILS5_3ELb0ES3_jN6thrust23THRUST_200600_302600_NS6detail15normal_iteratorINSA_7pointerIjNSA_11hip_rocprim3tagENSA_11use_defaultESG_EEEEPS6_SJ_NS0_5tupleIJPjSJ_EEENSK_IJSJ_SJ_EEES6_PlJ7is_evenIjEEEE10hipError_tPvRmT3_T4_T5_T6_T7_T9_mT8_P12ihipStream_tbDpT10_ENKUlT_T0_E_clISt17integral_constantIbLb0EES1A_EEDaS15_S16_EUlS15_E_NS1_11comp_targetILNS1_3genE4ELNS1_11target_archE910ELNS1_3gpuE8ELNS1_3repE0EEENS1_30default_config_static_selectorELNS0_4arch9wavefront6targetE1EEEvT1_
		.amdhsa_group_segment_fixed_size 0
		.amdhsa_private_segment_fixed_size 0
		.amdhsa_kernarg_size 120
		.amdhsa_user_sgpr_count 2
		.amdhsa_user_sgpr_dispatch_ptr 0
		.amdhsa_user_sgpr_queue_ptr 0
		.amdhsa_user_sgpr_kernarg_segment_ptr 1
		.amdhsa_user_sgpr_dispatch_id 0
		.amdhsa_user_sgpr_kernarg_preload_length 0
		.amdhsa_user_sgpr_kernarg_preload_offset 0
		.amdhsa_user_sgpr_private_segment_size 0
		.amdhsa_uses_dynamic_stack 0
		.amdhsa_enable_private_segment 0
		.amdhsa_system_sgpr_workgroup_id_x 1
		.amdhsa_system_sgpr_workgroup_id_y 0
		.amdhsa_system_sgpr_workgroup_id_z 0
		.amdhsa_system_sgpr_workgroup_info 0
		.amdhsa_system_vgpr_workitem_id 0
		.amdhsa_next_free_vgpr 1
		.amdhsa_next_free_sgpr 0
		.amdhsa_accum_offset 4
		.amdhsa_reserve_vcc 0
		.amdhsa_float_round_mode_32 0
		.amdhsa_float_round_mode_16_64 0
		.amdhsa_float_denorm_mode_32 3
		.amdhsa_float_denorm_mode_16_64 3
		.amdhsa_dx10_clamp 1
		.amdhsa_ieee_mode 1
		.amdhsa_fp16_overflow 0
		.amdhsa_tg_split 0
		.amdhsa_exception_fp_ieee_invalid_op 0
		.amdhsa_exception_fp_denorm_src 0
		.amdhsa_exception_fp_ieee_div_zero 0
		.amdhsa_exception_fp_ieee_overflow 0
		.amdhsa_exception_fp_ieee_underflow 0
		.amdhsa_exception_fp_ieee_inexact 0
		.amdhsa_exception_int_div_zero 0
	.end_amdhsa_kernel
	.section	.text._ZN7rocprim17ROCPRIM_400000_NS6detail17trampoline_kernelINS0_14default_configENS1_25partition_config_selectorILNS1_17partition_subalgoE3EjNS0_10empty_typeEbEEZZNS1_14partition_implILS5_3ELb0ES3_jN6thrust23THRUST_200600_302600_NS6detail15normal_iteratorINSA_7pointerIjNSA_11hip_rocprim3tagENSA_11use_defaultESG_EEEEPS6_SJ_NS0_5tupleIJPjSJ_EEENSK_IJSJ_SJ_EEES6_PlJ7is_evenIjEEEE10hipError_tPvRmT3_T4_T5_T6_T7_T9_mT8_P12ihipStream_tbDpT10_ENKUlT_T0_E_clISt17integral_constantIbLb0EES1A_EEDaS15_S16_EUlS15_E_NS1_11comp_targetILNS1_3genE4ELNS1_11target_archE910ELNS1_3gpuE8ELNS1_3repE0EEENS1_30default_config_static_selectorELNS0_4arch9wavefront6targetE1EEEvT1_,"axG",@progbits,_ZN7rocprim17ROCPRIM_400000_NS6detail17trampoline_kernelINS0_14default_configENS1_25partition_config_selectorILNS1_17partition_subalgoE3EjNS0_10empty_typeEbEEZZNS1_14partition_implILS5_3ELb0ES3_jN6thrust23THRUST_200600_302600_NS6detail15normal_iteratorINSA_7pointerIjNSA_11hip_rocprim3tagENSA_11use_defaultESG_EEEEPS6_SJ_NS0_5tupleIJPjSJ_EEENSK_IJSJ_SJ_EEES6_PlJ7is_evenIjEEEE10hipError_tPvRmT3_T4_T5_T6_T7_T9_mT8_P12ihipStream_tbDpT10_ENKUlT_T0_E_clISt17integral_constantIbLb0EES1A_EEDaS15_S16_EUlS15_E_NS1_11comp_targetILNS1_3genE4ELNS1_11target_archE910ELNS1_3gpuE8ELNS1_3repE0EEENS1_30default_config_static_selectorELNS0_4arch9wavefront6targetE1EEEvT1_,comdat
.Lfunc_end921:
	.size	_ZN7rocprim17ROCPRIM_400000_NS6detail17trampoline_kernelINS0_14default_configENS1_25partition_config_selectorILNS1_17partition_subalgoE3EjNS0_10empty_typeEbEEZZNS1_14partition_implILS5_3ELb0ES3_jN6thrust23THRUST_200600_302600_NS6detail15normal_iteratorINSA_7pointerIjNSA_11hip_rocprim3tagENSA_11use_defaultESG_EEEEPS6_SJ_NS0_5tupleIJPjSJ_EEENSK_IJSJ_SJ_EEES6_PlJ7is_evenIjEEEE10hipError_tPvRmT3_T4_T5_T6_T7_T9_mT8_P12ihipStream_tbDpT10_ENKUlT_T0_E_clISt17integral_constantIbLb0EES1A_EEDaS15_S16_EUlS15_E_NS1_11comp_targetILNS1_3genE4ELNS1_11target_archE910ELNS1_3gpuE8ELNS1_3repE0EEENS1_30default_config_static_selectorELNS0_4arch9wavefront6targetE1EEEvT1_, .Lfunc_end921-_ZN7rocprim17ROCPRIM_400000_NS6detail17trampoline_kernelINS0_14default_configENS1_25partition_config_selectorILNS1_17partition_subalgoE3EjNS0_10empty_typeEbEEZZNS1_14partition_implILS5_3ELb0ES3_jN6thrust23THRUST_200600_302600_NS6detail15normal_iteratorINSA_7pointerIjNSA_11hip_rocprim3tagENSA_11use_defaultESG_EEEEPS6_SJ_NS0_5tupleIJPjSJ_EEENSK_IJSJ_SJ_EEES6_PlJ7is_evenIjEEEE10hipError_tPvRmT3_T4_T5_T6_T7_T9_mT8_P12ihipStream_tbDpT10_ENKUlT_T0_E_clISt17integral_constantIbLb0EES1A_EEDaS15_S16_EUlS15_E_NS1_11comp_targetILNS1_3genE4ELNS1_11target_archE910ELNS1_3gpuE8ELNS1_3repE0EEENS1_30default_config_static_selectorELNS0_4arch9wavefront6targetE1EEEvT1_
                                        ; -- End function
	.section	.AMDGPU.csdata,"",@progbits
; Kernel info:
; codeLenInByte = 0
; NumSgprs: 6
; NumVgprs: 0
; NumAgprs: 0
; TotalNumVgprs: 0
; ScratchSize: 0
; MemoryBound: 0
; FloatMode: 240
; IeeeMode: 1
; LDSByteSize: 0 bytes/workgroup (compile time only)
; SGPRBlocks: 0
; VGPRBlocks: 0
; NumSGPRsForWavesPerEU: 6
; NumVGPRsForWavesPerEU: 1
; AccumOffset: 4
; Occupancy: 8
; WaveLimiterHint : 0
; COMPUTE_PGM_RSRC2:SCRATCH_EN: 0
; COMPUTE_PGM_RSRC2:USER_SGPR: 2
; COMPUTE_PGM_RSRC2:TRAP_HANDLER: 0
; COMPUTE_PGM_RSRC2:TGID_X_EN: 1
; COMPUTE_PGM_RSRC2:TGID_Y_EN: 0
; COMPUTE_PGM_RSRC2:TGID_Z_EN: 0
; COMPUTE_PGM_RSRC2:TIDIG_COMP_CNT: 0
; COMPUTE_PGM_RSRC3_GFX90A:ACCUM_OFFSET: 0
; COMPUTE_PGM_RSRC3_GFX90A:TG_SPLIT: 0
	.section	.text._ZN7rocprim17ROCPRIM_400000_NS6detail17trampoline_kernelINS0_14default_configENS1_25partition_config_selectorILNS1_17partition_subalgoE3EjNS0_10empty_typeEbEEZZNS1_14partition_implILS5_3ELb0ES3_jN6thrust23THRUST_200600_302600_NS6detail15normal_iteratorINSA_7pointerIjNSA_11hip_rocprim3tagENSA_11use_defaultESG_EEEEPS6_SJ_NS0_5tupleIJPjSJ_EEENSK_IJSJ_SJ_EEES6_PlJ7is_evenIjEEEE10hipError_tPvRmT3_T4_T5_T6_T7_T9_mT8_P12ihipStream_tbDpT10_ENKUlT_T0_E_clISt17integral_constantIbLb0EES1A_EEDaS15_S16_EUlS15_E_NS1_11comp_targetILNS1_3genE3ELNS1_11target_archE908ELNS1_3gpuE7ELNS1_3repE0EEENS1_30default_config_static_selectorELNS0_4arch9wavefront6targetE1EEEvT1_,"axG",@progbits,_ZN7rocprim17ROCPRIM_400000_NS6detail17trampoline_kernelINS0_14default_configENS1_25partition_config_selectorILNS1_17partition_subalgoE3EjNS0_10empty_typeEbEEZZNS1_14partition_implILS5_3ELb0ES3_jN6thrust23THRUST_200600_302600_NS6detail15normal_iteratorINSA_7pointerIjNSA_11hip_rocprim3tagENSA_11use_defaultESG_EEEEPS6_SJ_NS0_5tupleIJPjSJ_EEENSK_IJSJ_SJ_EEES6_PlJ7is_evenIjEEEE10hipError_tPvRmT3_T4_T5_T6_T7_T9_mT8_P12ihipStream_tbDpT10_ENKUlT_T0_E_clISt17integral_constantIbLb0EES1A_EEDaS15_S16_EUlS15_E_NS1_11comp_targetILNS1_3genE3ELNS1_11target_archE908ELNS1_3gpuE7ELNS1_3repE0EEENS1_30default_config_static_selectorELNS0_4arch9wavefront6targetE1EEEvT1_,comdat
	.protected	_ZN7rocprim17ROCPRIM_400000_NS6detail17trampoline_kernelINS0_14default_configENS1_25partition_config_selectorILNS1_17partition_subalgoE3EjNS0_10empty_typeEbEEZZNS1_14partition_implILS5_3ELb0ES3_jN6thrust23THRUST_200600_302600_NS6detail15normal_iteratorINSA_7pointerIjNSA_11hip_rocprim3tagENSA_11use_defaultESG_EEEEPS6_SJ_NS0_5tupleIJPjSJ_EEENSK_IJSJ_SJ_EEES6_PlJ7is_evenIjEEEE10hipError_tPvRmT3_T4_T5_T6_T7_T9_mT8_P12ihipStream_tbDpT10_ENKUlT_T0_E_clISt17integral_constantIbLb0EES1A_EEDaS15_S16_EUlS15_E_NS1_11comp_targetILNS1_3genE3ELNS1_11target_archE908ELNS1_3gpuE7ELNS1_3repE0EEENS1_30default_config_static_selectorELNS0_4arch9wavefront6targetE1EEEvT1_ ; -- Begin function _ZN7rocprim17ROCPRIM_400000_NS6detail17trampoline_kernelINS0_14default_configENS1_25partition_config_selectorILNS1_17partition_subalgoE3EjNS0_10empty_typeEbEEZZNS1_14partition_implILS5_3ELb0ES3_jN6thrust23THRUST_200600_302600_NS6detail15normal_iteratorINSA_7pointerIjNSA_11hip_rocprim3tagENSA_11use_defaultESG_EEEEPS6_SJ_NS0_5tupleIJPjSJ_EEENSK_IJSJ_SJ_EEES6_PlJ7is_evenIjEEEE10hipError_tPvRmT3_T4_T5_T6_T7_T9_mT8_P12ihipStream_tbDpT10_ENKUlT_T0_E_clISt17integral_constantIbLb0EES1A_EEDaS15_S16_EUlS15_E_NS1_11comp_targetILNS1_3genE3ELNS1_11target_archE908ELNS1_3gpuE7ELNS1_3repE0EEENS1_30default_config_static_selectorELNS0_4arch9wavefront6targetE1EEEvT1_
	.globl	_ZN7rocprim17ROCPRIM_400000_NS6detail17trampoline_kernelINS0_14default_configENS1_25partition_config_selectorILNS1_17partition_subalgoE3EjNS0_10empty_typeEbEEZZNS1_14partition_implILS5_3ELb0ES3_jN6thrust23THRUST_200600_302600_NS6detail15normal_iteratorINSA_7pointerIjNSA_11hip_rocprim3tagENSA_11use_defaultESG_EEEEPS6_SJ_NS0_5tupleIJPjSJ_EEENSK_IJSJ_SJ_EEES6_PlJ7is_evenIjEEEE10hipError_tPvRmT3_T4_T5_T6_T7_T9_mT8_P12ihipStream_tbDpT10_ENKUlT_T0_E_clISt17integral_constantIbLb0EES1A_EEDaS15_S16_EUlS15_E_NS1_11comp_targetILNS1_3genE3ELNS1_11target_archE908ELNS1_3gpuE7ELNS1_3repE0EEENS1_30default_config_static_selectorELNS0_4arch9wavefront6targetE1EEEvT1_
	.p2align	8
	.type	_ZN7rocprim17ROCPRIM_400000_NS6detail17trampoline_kernelINS0_14default_configENS1_25partition_config_selectorILNS1_17partition_subalgoE3EjNS0_10empty_typeEbEEZZNS1_14partition_implILS5_3ELb0ES3_jN6thrust23THRUST_200600_302600_NS6detail15normal_iteratorINSA_7pointerIjNSA_11hip_rocprim3tagENSA_11use_defaultESG_EEEEPS6_SJ_NS0_5tupleIJPjSJ_EEENSK_IJSJ_SJ_EEES6_PlJ7is_evenIjEEEE10hipError_tPvRmT3_T4_T5_T6_T7_T9_mT8_P12ihipStream_tbDpT10_ENKUlT_T0_E_clISt17integral_constantIbLb0EES1A_EEDaS15_S16_EUlS15_E_NS1_11comp_targetILNS1_3genE3ELNS1_11target_archE908ELNS1_3gpuE7ELNS1_3repE0EEENS1_30default_config_static_selectorELNS0_4arch9wavefront6targetE1EEEvT1_,@function
_ZN7rocprim17ROCPRIM_400000_NS6detail17trampoline_kernelINS0_14default_configENS1_25partition_config_selectorILNS1_17partition_subalgoE3EjNS0_10empty_typeEbEEZZNS1_14partition_implILS5_3ELb0ES3_jN6thrust23THRUST_200600_302600_NS6detail15normal_iteratorINSA_7pointerIjNSA_11hip_rocprim3tagENSA_11use_defaultESG_EEEEPS6_SJ_NS0_5tupleIJPjSJ_EEENSK_IJSJ_SJ_EEES6_PlJ7is_evenIjEEEE10hipError_tPvRmT3_T4_T5_T6_T7_T9_mT8_P12ihipStream_tbDpT10_ENKUlT_T0_E_clISt17integral_constantIbLb0EES1A_EEDaS15_S16_EUlS15_E_NS1_11comp_targetILNS1_3genE3ELNS1_11target_archE908ELNS1_3gpuE7ELNS1_3repE0EEENS1_30default_config_static_selectorELNS0_4arch9wavefront6targetE1EEEvT1_: ; @_ZN7rocprim17ROCPRIM_400000_NS6detail17trampoline_kernelINS0_14default_configENS1_25partition_config_selectorILNS1_17partition_subalgoE3EjNS0_10empty_typeEbEEZZNS1_14partition_implILS5_3ELb0ES3_jN6thrust23THRUST_200600_302600_NS6detail15normal_iteratorINSA_7pointerIjNSA_11hip_rocprim3tagENSA_11use_defaultESG_EEEEPS6_SJ_NS0_5tupleIJPjSJ_EEENSK_IJSJ_SJ_EEES6_PlJ7is_evenIjEEEE10hipError_tPvRmT3_T4_T5_T6_T7_T9_mT8_P12ihipStream_tbDpT10_ENKUlT_T0_E_clISt17integral_constantIbLb0EES1A_EEDaS15_S16_EUlS15_E_NS1_11comp_targetILNS1_3genE3ELNS1_11target_archE908ELNS1_3gpuE7ELNS1_3repE0EEENS1_30default_config_static_selectorELNS0_4arch9wavefront6targetE1EEEvT1_
; %bb.0:
	.section	.rodata,"a",@progbits
	.p2align	6, 0x0
	.amdhsa_kernel _ZN7rocprim17ROCPRIM_400000_NS6detail17trampoline_kernelINS0_14default_configENS1_25partition_config_selectorILNS1_17partition_subalgoE3EjNS0_10empty_typeEbEEZZNS1_14partition_implILS5_3ELb0ES3_jN6thrust23THRUST_200600_302600_NS6detail15normal_iteratorINSA_7pointerIjNSA_11hip_rocprim3tagENSA_11use_defaultESG_EEEEPS6_SJ_NS0_5tupleIJPjSJ_EEENSK_IJSJ_SJ_EEES6_PlJ7is_evenIjEEEE10hipError_tPvRmT3_T4_T5_T6_T7_T9_mT8_P12ihipStream_tbDpT10_ENKUlT_T0_E_clISt17integral_constantIbLb0EES1A_EEDaS15_S16_EUlS15_E_NS1_11comp_targetILNS1_3genE3ELNS1_11target_archE908ELNS1_3gpuE7ELNS1_3repE0EEENS1_30default_config_static_selectorELNS0_4arch9wavefront6targetE1EEEvT1_
		.amdhsa_group_segment_fixed_size 0
		.amdhsa_private_segment_fixed_size 0
		.amdhsa_kernarg_size 120
		.amdhsa_user_sgpr_count 2
		.amdhsa_user_sgpr_dispatch_ptr 0
		.amdhsa_user_sgpr_queue_ptr 0
		.amdhsa_user_sgpr_kernarg_segment_ptr 1
		.amdhsa_user_sgpr_dispatch_id 0
		.amdhsa_user_sgpr_kernarg_preload_length 0
		.amdhsa_user_sgpr_kernarg_preload_offset 0
		.amdhsa_user_sgpr_private_segment_size 0
		.amdhsa_uses_dynamic_stack 0
		.amdhsa_enable_private_segment 0
		.amdhsa_system_sgpr_workgroup_id_x 1
		.amdhsa_system_sgpr_workgroup_id_y 0
		.amdhsa_system_sgpr_workgroup_id_z 0
		.amdhsa_system_sgpr_workgroup_info 0
		.amdhsa_system_vgpr_workitem_id 0
		.amdhsa_next_free_vgpr 1
		.amdhsa_next_free_sgpr 0
		.amdhsa_accum_offset 4
		.amdhsa_reserve_vcc 0
		.amdhsa_float_round_mode_32 0
		.amdhsa_float_round_mode_16_64 0
		.amdhsa_float_denorm_mode_32 3
		.amdhsa_float_denorm_mode_16_64 3
		.amdhsa_dx10_clamp 1
		.amdhsa_ieee_mode 1
		.amdhsa_fp16_overflow 0
		.amdhsa_tg_split 0
		.amdhsa_exception_fp_ieee_invalid_op 0
		.amdhsa_exception_fp_denorm_src 0
		.amdhsa_exception_fp_ieee_div_zero 0
		.amdhsa_exception_fp_ieee_overflow 0
		.amdhsa_exception_fp_ieee_underflow 0
		.amdhsa_exception_fp_ieee_inexact 0
		.amdhsa_exception_int_div_zero 0
	.end_amdhsa_kernel
	.section	.text._ZN7rocprim17ROCPRIM_400000_NS6detail17trampoline_kernelINS0_14default_configENS1_25partition_config_selectorILNS1_17partition_subalgoE3EjNS0_10empty_typeEbEEZZNS1_14partition_implILS5_3ELb0ES3_jN6thrust23THRUST_200600_302600_NS6detail15normal_iteratorINSA_7pointerIjNSA_11hip_rocprim3tagENSA_11use_defaultESG_EEEEPS6_SJ_NS0_5tupleIJPjSJ_EEENSK_IJSJ_SJ_EEES6_PlJ7is_evenIjEEEE10hipError_tPvRmT3_T4_T5_T6_T7_T9_mT8_P12ihipStream_tbDpT10_ENKUlT_T0_E_clISt17integral_constantIbLb0EES1A_EEDaS15_S16_EUlS15_E_NS1_11comp_targetILNS1_3genE3ELNS1_11target_archE908ELNS1_3gpuE7ELNS1_3repE0EEENS1_30default_config_static_selectorELNS0_4arch9wavefront6targetE1EEEvT1_,"axG",@progbits,_ZN7rocprim17ROCPRIM_400000_NS6detail17trampoline_kernelINS0_14default_configENS1_25partition_config_selectorILNS1_17partition_subalgoE3EjNS0_10empty_typeEbEEZZNS1_14partition_implILS5_3ELb0ES3_jN6thrust23THRUST_200600_302600_NS6detail15normal_iteratorINSA_7pointerIjNSA_11hip_rocprim3tagENSA_11use_defaultESG_EEEEPS6_SJ_NS0_5tupleIJPjSJ_EEENSK_IJSJ_SJ_EEES6_PlJ7is_evenIjEEEE10hipError_tPvRmT3_T4_T5_T6_T7_T9_mT8_P12ihipStream_tbDpT10_ENKUlT_T0_E_clISt17integral_constantIbLb0EES1A_EEDaS15_S16_EUlS15_E_NS1_11comp_targetILNS1_3genE3ELNS1_11target_archE908ELNS1_3gpuE7ELNS1_3repE0EEENS1_30default_config_static_selectorELNS0_4arch9wavefront6targetE1EEEvT1_,comdat
.Lfunc_end922:
	.size	_ZN7rocprim17ROCPRIM_400000_NS6detail17trampoline_kernelINS0_14default_configENS1_25partition_config_selectorILNS1_17partition_subalgoE3EjNS0_10empty_typeEbEEZZNS1_14partition_implILS5_3ELb0ES3_jN6thrust23THRUST_200600_302600_NS6detail15normal_iteratorINSA_7pointerIjNSA_11hip_rocprim3tagENSA_11use_defaultESG_EEEEPS6_SJ_NS0_5tupleIJPjSJ_EEENSK_IJSJ_SJ_EEES6_PlJ7is_evenIjEEEE10hipError_tPvRmT3_T4_T5_T6_T7_T9_mT8_P12ihipStream_tbDpT10_ENKUlT_T0_E_clISt17integral_constantIbLb0EES1A_EEDaS15_S16_EUlS15_E_NS1_11comp_targetILNS1_3genE3ELNS1_11target_archE908ELNS1_3gpuE7ELNS1_3repE0EEENS1_30default_config_static_selectorELNS0_4arch9wavefront6targetE1EEEvT1_, .Lfunc_end922-_ZN7rocprim17ROCPRIM_400000_NS6detail17trampoline_kernelINS0_14default_configENS1_25partition_config_selectorILNS1_17partition_subalgoE3EjNS0_10empty_typeEbEEZZNS1_14partition_implILS5_3ELb0ES3_jN6thrust23THRUST_200600_302600_NS6detail15normal_iteratorINSA_7pointerIjNSA_11hip_rocprim3tagENSA_11use_defaultESG_EEEEPS6_SJ_NS0_5tupleIJPjSJ_EEENSK_IJSJ_SJ_EEES6_PlJ7is_evenIjEEEE10hipError_tPvRmT3_T4_T5_T6_T7_T9_mT8_P12ihipStream_tbDpT10_ENKUlT_T0_E_clISt17integral_constantIbLb0EES1A_EEDaS15_S16_EUlS15_E_NS1_11comp_targetILNS1_3genE3ELNS1_11target_archE908ELNS1_3gpuE7ELNS1_3repE0EEENS1_30default_config_static_selectorELNS0_4arch9wavefront6targetE1EEEvT1_
                                        ; -- End function
	.section	.AMDGPU.csdata,"",@progbits
; Kernel info:
; codeLenInByte = 0
; NumSgprs: 6
; NumVgprs: 0
; NumAgprs: 0
; TotalNumVgprs: 0
; ScratchSize: 0
; MemoryBound: 0
; FloatMode: 240
; IeeeMode: 1
; LDSByteSize: 0 bytes/workgroup (compile time only)
; SGPRBlocks: 0
; VGPRBlocks: 0
; NumSGPRsForWavesPerEU: 6
; NumVGPRsForWavesPerEU: 1
; AccumOffset: 4
; Occupancy: 8
; WaveLimiterHint : 0
; COMPUTE_PGM_RSRC2:SCRATCH_EN: 0
; COMPUTE_PGM_RSRC2:USER_SGPR: 2
; COMPUTE_PGM_RSRC2:TRAP_HANDLER: 0
; COMPUTE_PGM_RSRC2:TGID_X_EN: 1
; COMPUTE_PGM_RSRC2:TGID_Y_EN: 0
; COMPUTE_PGM_RSRC2:TGID_Z_EN: 0
; COMPUTE_PGM_RSRC2:TIDIG_COMP_CNT: 0
; COMPUTE_PGM_RSRC3_GFX90A:ACCUM_OFFSET: 0
; COMPUTE_PGM_RSRC3_GFX90A:TG_SPLIT: 0
	.section	.text._ZN7rocprim17ROCPRIM_400000_NS6detail17trampoline_kernelINS0_14default_configENS1_25partition_config_selectorILNS1_17partition_subalgoE3EjNS0_10empty_typeEbEEZZNS1_14partition_implILS5_3ELb0ES3_jN6thrust23THRUST_200600_302600_NS6detail15normal_iteratorINSA_7pointerIjNSA_11hip_rocprim3tagENSA_11use_defaultESG_EEEEPS6_SJ_NS0_5tupleIJPjSJ_EEENSK_IJSJ_SJ_EEES6_PlJ7is_evenIjEEEE10hipError_tPvRmT3_T4_T5_T6_T7_T9_mT8_P12ihipStream_tbDpT10_ENKUlT_T0_E_clISt17integral_constantIbLb0EES1A_EEDaS15_S16_EUlS15_E_NS1_11comp_targetILNS1_3genE2ELNS1_11target_archE906ELNS1_3gpuE6ELNS1_3repE0EEENS1_30default_config_static_selectorELNS0_4arch9wavefront6targetE1EEEvT1_,"axG",@progbits,_ZN7rocprim17ROCPRIM_400000_NS6detail17trampoline_kernelINS0_14default_configENS1_25partition_config_selectorILNS1_17partition_subalgoE3EjNS0_10empty_typeEbEEZZNS1_14partition_implILS5_3ELb0ES3_jN6thrust23THRUST_200600_302600_NS6detail15normal_iteratorINSA_7pointerIjNSA_11hip_rocprim3tagENSA_11use_defaultESG_EEEEPS6_SJ_NS0_5tupleIJPjSJ_EEENSK_IJSJ_SJ_EEES6_PlJ7is_evenIjEEEE10hipError_tPvRmT3_T4_T5_T6_T7_T9_mT8_P12ihipStream_tbDpT10_ENKUlT_T0_E_clISt17integral_constantIbLb0EES1A_EEDaS15_S16_EUlS15_E_NS1_11comp_targetILNS1_3genE2ELNS1_11target_archE906ELNS1_3gpuE6ELNS1_3repE0EEENS1_30default_config_static_selectorELNS0_4arch9wavefront6targetE1EEEvT1_,comdat
	.protected	_ZN7rocprim17ROCPRIM_400000_NS6detail17trampoline_kernelINS0_14default_configENS1_25partition_config_selectorILNS1_17partition_subalgoE3EjNS0_10empty_typeEbEEZZNS1_14partition_implILS5_3ELb0ES3_jN6thrust23THRUST_200600_302600_NS6detail15normal_iteratorINSA_7pointerIjNSA_11hip_rocprim3tagENSA_11use_defaultESG_EEEEPS6_SJ_NS0_5tupleIJPjSJ_EEENSK_IJSJ_SJ_EEES6_PlJ7is_evenIjEEEE10hipError_tPvRmT3_T4_T5_T6_T7_T9_mT8_P12ihipStream_tbDpT10_ENKUlT_T0_E_clISt17integral_constantIbLb0EES1A_EEDaS15_S16_EUlS15_E_NS1_11comp_targetILNS1_3genE2ELNS1_11target_archE906ELNS1_3gpuE6ELNS1_3repE0EEENS1_30default_config_static_selectorELNS0_4arch9wavefront6targetE1EEEvT1_ ; -- Begin function _ZN7rocprim17ROCPRIM_400000_NS6detail17trampoline_kernelINS0_14default_configENS1_25partition_config_selectorILNS1_17partition_subalgoE3EjNS0_10empty_typeEbEEZZNS1_14partition_implILS5_3ELb0ES3_jN6thrust23THRUST_200600_302600_NS6detail15normal_iteratorINSA_7pointerIjNSA_11hip_rocprim3tagENSA_11use_defaultESG_EEEEPS6_SJ_NS0_5tupleIJPjSJ_EEENSK_IJSJ_SJ_EEES6_PlJ7is_evenIjEEEE10hipError_tPvRmT3_T4_T5_T6_T7_T9_mT8_P12ihipStream_tbDpT10_ENKUlT_T0_E_clISt17integral_constantIbLb0EES1A_EEDaS15_S16_EUlS15_E_NS1_11comp_targetILNS1_3genE2ELNS1_11target_archE906ELNS1_3gpuE6ELNS1_3repE0EEENS1_30default_config_static_selectorELNS0_4arch9wavefront6targetE1EEEvT1_
	.globl	_ZN7rocprim17ROCPRIM_400000_NS6detail17trampoline_kernelINS0_14default_configENS1_25partition_config_selectorILNS1_17partition_subalgoE3EjNS0_10empty_typeEbEEZZNS1_14partition_implILS5_3ELb0ES3_jN6thrust23THRUST_200600_302600_NS6detail15normal_iteratorINSA_7pointerIjNSA_11hip_rocprim3tagENSA_11use_defaultESG_EEEEPS6_SJ_NS0_5tupleIJPjSJ_EEENSK_IJSJ_SJ_EEES6_PlJ7is_evenIjEEEE10hipError_tPvRmT3_T4_T5_T6_T7_T9_mT8_P12ihipStream_tbDpT10_ENKUlT_T0_E_clISt17integral_constantIbLb0EES1A_EEDaS15_S16_EUlS15_E_NS1_11comp_targetILNS1_3genE2ELNS1_11target_archE906ELNS1_3gpuE6ELNS1_3repE0EEENS1_30default_config_static_selectorELNS0_4arch9wavefront6targetE1EEEvT1_
	.p2align	8
	.type	_ZN7rocprim17ROCPRIM_400000_NS6detail17trampoline_kernelINS0_14default_configENS1_25partition_config_selectorILNS1_17partition_subalgoE3EjNS0_10empty_typeEbEEZZNS1_14partition_implILS5_3ELb0ES3_jN6thrust23THRUST_200600_302600_NS6detail15normal_iteratorINSA_7pointerIjNSA_11hip_rocprim3tagENSA_11use_defaultESG_EEEEPS6_SJ_NS0_5tupleIJPjSJ_EEENSK_IJSJ_SJ_EEES6_PlJ7is_evenIjEEEE10hipError_tPvRmT3_T4_T5_T6_T7_T9_mT8_P12ihipStream_tbDpT10_ENKUlT_T0_E_clISt17integral_constantIbLb0EES1A_EEDaS15_S16_EUlS15_E_NS1_11comp_targetILNS1_3genE2ELNS1_11target_archE906ELNS1_3gpuE6ELNS1_3repE0EEENS1_30default_config_static_selectorELNS0_4arch9wavefront6targetE1EEEvT1_,@function
_ZN7rocprim17ROCPRIM_400000_NS6detail17trampoline_kernelINS0_14default_configENS1_25partition_config_selectorILNS1_17partition_subalgoE3EjNS0_10empty_typeEbEEZZNS1_14partition_implILS5_3ELb0ES3_jN6thrust23THRUST_200600_302600_NS6detail15normal_iteratorINSA_7pointerIjNSA_11hip_rocprim3tagENSA_11use_defaultESG_EEEEPS6_SJ_NS0_5tupleIJPjSJ_EEENSK_IJSJ_SJ_EEES6_PlJ7is_evenIjEEEE10hipError_tPvRmT3_T4_T5_T6_T7_T9_mT8_P12ihipStream_tbDpT10_ENKUlT_T0_E_clISt17integral_constantIbLb0EES1A_EEDaS15_S16_EUlS15_E_NS1_11comp_targetILNS1_3genE2ELNS1_11target_archE906ELNS1_3gpuE6ELNS1_3repE0EEENS1_30default_config_static_selectorELNS0_4arch9wavefront6targetE1EEEvT1_: ; @_ZN7rocprim17ROCPRIM_400000_NS6detail17trampoline_kernelINS0_14default_configENS1_25partition_config_selectorILNS1_17partition_subalgoE3EjNS0_10empty_typeEbEEZZNS1_14partition_implILS5_3ELb0ES3_jN6thrust23THRUST_200600_302600_NS6detail15normal_iteratorINSA_7pointerIjNSA_11hip_rocprim3tagENSA_11use_defaultESG_EEEEPS6_SJ_NS0_5tupleIJPjSJ_EEENSK_IJSJ_SJ_EEES6_PlJ7is_evenIjEEEE10hipError_tPvRmT3_T4_T5_T6_T7_T9_mT8_P12ihipStream_tbDpT10_ENKUlT_T0_E_clISt17integral_constantIbLb0EES1A_EEDaS15_S16_EUlS15_E_NS1_11comp_targetILNS1_3genE2ELNS1_11target_archE906ELNS1_3gpuE6ELNS1_3repE0EEENS1_30default_config_static_selectorELNS0_4arch9wavefront6targetE1EEEvT1_
; %bb.0:
	.section	.rodata,"a",@progbits
	.p2align	6, 0x0
	.amdhsa_kernel _ZN7rocprim17ROCPRIM_400000_NS6detail17trampoline_kernelINS0_14default_configENS1_25partition_config_selectorILNS1_17partition_subalgoE3EjNS0_10empty_typeEbEEZZNS1_14partition_implILS5_3ELb0ES3_jN6thrust23THRUST_200600_302600_NS6detail15normal_iteratorINSA_7pointerIjNSA_11hip_rocprim3tagENSA_11use_defaultESG_EEEEPS6_SJ_NS0_5tupleIJPjSJ_EEENSK_IJSJ_SJ_EEES6_PlJ7is_evenIjEEEE10hipError_tPvRmT3_T4_T5_T6_T7_T9_mT8_P12ihipStream_tbDpT10_ENKUlT_T0_E_clISt17integral_constantIbLb0EES1A_EEDaS15_S16_EUlS15_E_NS1_11comp_targetILNS1_3genE2ELNS1_11target_archE906ELNS1_3gpuE6ELNS1_3repE0EEENS1_30default_config_static_selectorELNS0_4arch9wavefront6targetE1EEEvT1_
		.amdhsa_group_segment_fixed_size 0
		.amdhsa_private_segment_fixed_size 0
		.amdhsa_kernarg_size 120
		.amdhsa_user_sgpr_count 2
		.amdhsa_user_sgpr_dispatch_ptr 0
		.amdhsa_user_sgpr_queue_ptr 0
		.amdhsa_user_sgpr_kernarg_segment_ptr 1
		.amdhsa_user_sgpr_dispatch_id 0
		.amdhsa_user_sgpr_kernarg_preload_length 0
		.amdhsa_user_sgpr_kernarg_preload_offset 0
		.amdhsa_user_sgpr_private_segment_size 0
		.amdhsa_uses_dynamic_stack 0
		.amdhsa_enable_private_segment 0
		.amdhsa_system_sgpr_workgroup_id_x 1
		.amdhsa_system_sgpr_workgroup_id_y 0
		.amdhsa_system_sgpr_workgroup_id_z 0
		.amdhsa_system_sgpr_workgroup_info 0
		.amdhsa_system_vgpr_workitem_id 0
		.amdhsa_next_free_vgpr 1
		.amdhsa_next_free_sgpr 0
		.amdhsa_accum_offset 4
		.amdhsa_reserve_vcc 0
		.amdhsa_float_round_mode_32 0
		.amdhsa_float_round_mode_16_64 0
		.amdhsa_float_denorm_mode_32 3
		.amdhsa_float_denorm_mode_16_64 3
		.amdhsa_dx10_clamp 1
		.amdhsa_ieee_mode 1
		.amdhsa_fp16_overflow 0
		.amdhsa_tg_split 0
		.amdhsa_exception_fp_ieee_invalid_op 0
		.amdhsa_exception_fp_denorm_src 0
		.amdhsa_exception_fp_ieee_div_zero 0
		.amdhsa_exception_fp_ieee_overflow 0
		.amdhsa_exception_fp_ieee_underflow 0
		.amdhsa_exception_fp_ieee_inexact 0
		.amdhsa_exception_int_div_zero 0
	.end_amdhsa_kernel
	.section	.text._ZN7rocprim17ROCPRIM_400000_NS6detail17trampoline_kernelINS0_14default_configENS1_25partition_config_selectorILNS1_17partition_subalgoE3EjNS0_10empty_typeEbEEZZNS1_14partition_implILS5_3ELb0ES3_jN6thrust23THRUST_200600_302600_NS6detail15normal_iteratorINSA_7pointerIjNSA_11hip_rocprim3tagENSA_11use_defaultESG_EEEEPS6_SJ_NS0_5tupleIJPjSJ_EEENSK_IJSJ_SJ_EEES6_PlJ7is_evenIjEEEE10hipError_tPvRmT3_T4_T5_T6_T7_T9_mT8_P12ihipStream_tbDpT10_ENKUlT_T0_E_clISt17integral_constantIbLb0EES1A_EEDaS15_S16_EUlS15_E_NS1_11comp_targetILNS1_3genE2ELNS1_11target_archE906ELNS1_3gpuE6ELNS1_3repE0EEENS1_30default_config_static_selectorELNS0_4arch9wavefront6targetE1EEEvT1_,"axG",@progbits,_ZN7rocprim17ROCPRIM_400000_NS6detail17trampoline_kernelINS0_14default_configENS1_25partition_config_selectorILNS1_17partition_subalgoE3EjNS0_10empty_typeEbEEZZNS1_14partition_implILS5_3ELb0ES3_jN6thrust23THRUST_200600_302600_NS6detail15normal_iteratorINSA_7pointerIjNSA_11hip_rocprim3tagENSA_11use_defaultESG_EEEEPS6_SJ_NS0_5tupleIJPjSJ_EEENSK_IJSJ_SJ_EEES6_PlJ7is_evenIjEEEE10hipError_tPvRmT3_T4_T5_T6_T7_T9_mT8_P12ihipStream_tbDpT10_ENKUlT_T0_E_clISt17integral_constantIbLb0EES1A_EEDaS15_S16_EUlS15_E_NS1_11comp_targetILNS1_3genE2ELNS1_11target_archE906ELNS1_3gpuE6ELNS1_3repE0EEENS1_30default_config_static_selectorELNS0_4arch9wavefront6targetE1EEEvT1_,comdat
.Lfunc_end923:
	.size	_ZN7rocprim17ROCPRIM_400000_NS6detail17trampoline_kernelINS0_14default_configENS1_25partition_config_selectorILNS1_17partition_subalgoE3EjNS0_10empty_typeEbEEZZNS1_14partition_implILS5_3ELb0ES3_jN6thrust23THRUST_200600_302600_NS6detail15normal_iteratorINSA_7pointerIjNSA_11hip_rocprim3tagENSA_11use_defaultESG_EEEEPS6_SJ_NS0_5tupleIJPjSJ_EEENSK_IJSJ_SJ_EEES6_PlJ7is_evenIjEEEE10hipError_tPvRmT3_T4_T5_T6_T7_T9_mT8_P12ihipStream_tbDpT10_ENKUlT_T0_E_clISt17integral_constantIbLb0EES1A_EEDaS15_S16_EUlS15_E_NS1_11comp_targetILNS1_3genE2ELNS1_11target_archE906ELNS1_3gpuE6ELNS1_3repE0EEENS1_30default_config_static_selectorELNS0_4arch9wavefront6targetE1EEEvT1_, .Lfunc_end923-_ZN7rocprim17ROCPRIM_400000_NS6detail17trampoline_kernelINS0_14default_configENS1_25partition_config_selectorILNS1_17partition_subalgoE3EjNS0_10empty_typeEbEEZZNS1_14partition_implILS5_3ELb0ES3_jN6thrust23THRUST_200600_302600_NS6detail15normal_iteratorINSA_7pointerIjNSA_11hip_rocprim3tagENSA_11use_defaultESG_EEEEPS6_SJ_NS0_5tupleIJPjSJ_EEENSK_IJSJ_SJ_EEES6_PlJ7is_evenIjEEEE10hipError_tPvRmT3_T4_T5_T6_T7_T9_mT8_P12ihipStream_tbDpT10_ENKUlT_T0_E_clISt17integral_constantIbLb0EES1A_EEDaS15_S16_EUlS15_E_NS1_11comp_targetILNS1_3genE2ELNS1_11target_archE906ELNS1_3gpuE6ELNS1_3repE0EEENS1_30default_config_static_selectorELNS0_4arch9wavefront6targetE1EEEvT1_
                                        ; -- End function
	.section	.AMDGPU.csdata,"",@progbits
; Kernel info:
; codeLenInByte = 0
; NumSgprs: 6
; NumVgprs: 0
; NumAgprs: 0
; TotalNumVgprs: 0
; ScratchSize: 0
; MemoryBound: 0
; FloatMode: 240
; IeeeMode: 1
; LDSByteSize: 0 bytes/workgroup (compile time only)
; SGPRBlocks: 0
; VGPRBlocks: 0
; NumSGPRsForWavesPerEU: 6
; NumVGPRsForWavesPerEU: 1
; AccumOffset: 4
; Occupancy: 8
; WaveLimiterHint : 0
; COMPUTE_PGM_RSRC2:SCRATCH_EN: 0
; COMPUTE_PGM_RSRC2:USER_SGPR: 2
; COMPUTE_PGM_RSRC2:TRAP_HANDLER: 0
; COMPUTE_PGM_RSRC2:TGID_X_EN: 1
; COMPUTE_PGM_RSRC2:TGID_Y_EN: 0
; COMPUTE_PGM_RSRC2:TGID_Z_EN: 0
; COMPUTE_PGM_RSRC2:TIDIG_COMP_CNT: 0
; COMPUTE_PGM_RSRC3_GFX90A:ACCUM_OFFSET: 0
; COMPUTE_PGM_RSRC3_GFX90A:TG_SPLIT: 0
	.section	.text._ZN7rocprim17ROCPRIM_400000_NS6detail17trampoline_kernelINS0_14default_configENS1_25partition_config_selectorILNS1_17partition_subalgoE3EjNS0_10empty_typeEbEEZZNS1_14partition_implILS5_3ELb0ES3_jN6thrust23THRUST_200600_302600_NS6detail15normal_iteratorINSA_7pointerIjNSA_11hip_rocprim3tagENSA_11use_defaultESG_EEEEPS6_SJ_NS0_5tupleIJPjSJ_EEENSK_IJSJ_SJ_EEES6_PlJ7is_evenIjEEEE10hipError_tPvRmT3_T4_T5_T6_T7_T9_mT8_P12ihipStream_tbDpT10_ENKUlT_T0_E_clISt17integral_constantIbLb0EES1A_EEDaS15_S16_EUlS15_E_NS1_11comp_targetILNS1_3genE10ELNS1_11target_archE1200ELNS1_3gpuE4ELNS1_3repE0EEENS1_30default_config_static_selectorELNS0_4arch9wavefront6targetE1EEEvT1_,"axG",@progbits,_ZN7rocprim17ROCPRIM_400000_NS6detail17trampoline_kernelINS0_14default_configENS1_25partition_config_selectorILNS1_17partition_subalgoE3EjNS0_10empty_typeEbEEZZNS1_14partition_implILS5_3ELb0ES3_jN6thrust23THRUST_200600_302600_NS6detail15normal_iteratorINSA_7pointerIjNSA_11hip_rocprim3tagENSA_11use_defaultESG_EEEEPS6_SJ_NS0_5tupleIJPjSJ_EEENSK_IJSJ_SJ_EEES6_PlJ7is_evenIjEEEE10hipError_tPvRmT3_T4_T5_T6_T7_T9_mT8_P12ihipStream_tbDpT10_ENKUlT_T0_E_clISt17integral_constantIbLb0EES1A_EEDaS15_S16_EUlS15_E_NS1_11comp_targetILNS1_3genE10ELNS1_11target_archE1200ELNS1_3gpuE4ELNS1_3repE0EEENS1_30default_config_static_selectorELNS0_4arch9wavefront6targetE1EEEvT1_,comdat
	.protected	_ZN7rocprim17ROCPRIM_400000_NS6detail17trampoline_kernelINS0_14default_configENS1_25partition_config_selectorILNS1_17partition_subalgoE3EjNS0_10empty_typeEbEEZZNS1_14partition_implILS5_3ELb0ES3_jN6thrust23THRUST_200600_302600_NS6detail15normal_iteratorINSA_7pointerIjNSA_11hip_rocprim3tagENSA_11use_defaultESG_EEEEPS6_SJ_NS0_5tupleIJPjSJ_EEENSK_IJSJ_SJ_EEES6_PlJ7is_evenIjEEEE10hipError_tPvRmT3_T4_T5_T6_T7_T9_mT8_P12ihipStream_tbDpT10_ENKUlT_T0_E_clISt17integral_constantIbLb0EES1A_EEDaS15_S16_EUlS15_E_NS1_11comp_targetILNS1_3genE10ELNS1_11target_archE1200ELNS1_3gpuE4ELNS1_3repE0EEENS1_30default_config_static_selectorELNS0_4arch9wavefront6targetE1EEEvT1_ ; -- Begin function _ZN7rocprim17ROCPRIM_400000_NS6detail17trampoline_kernelINS0_14default_configENS1_25partition_config_selectorILNS1_17partition_subalgoE3EjNS0_10empty_typeEbEEZZNS1_14partition_implILS5_3ELb0ES3_jN6thrust23THRUST_200600_302600_NS6detail15normal_iteratorINSA_7pointerIjNSA_11hip_rocprim3tagENSA_11use_defaultESG_EEEEPS6_SJ_NS0_5tupleIJPjSJ_EEENSK_IJSJ_SJ_EEES6_PlJ7is_evenIjEEEE10hipError_tPvRmT3_T4_T5_T6_T7_T9_mT8_P12ihipStream_tbDpT10_ENKUlT_T0_E_clISt17integral_constantIbLb0EES1A_EEDaS15_S16_EUlS15_E_NS1_11comp_targetILNS1_3genE10ELNS1_11target_archE1200ELNS1_3gpuE4ELNS1_3repE0EEENS1_30default_config_static_selectorELNS0_4arch9wavefront6targetE1EEEvT1_
	.globl	_ZN7rocprim17ROCPRIM_400000_NS6detail17trampoline_kernelINS0_14default_configENS1_25partition_config_selectorILNS1_17partition_subalgoE3EjNS0_10empty_typeEbEEZZNS1_14partition_implILS5_3ELb0ES3_jN6thrust23THRUST_200600_302600_NS6detail15normal_iteratorINSA_7pointerIjNSA_11hip_rocprim3tagENSA_11use_defaultESG_EEEEPS6_SJ_NS0_5tupleIJPjSJ_EEENSK_IJSJ_SJ_EEES6_PlJ7is_evenIjEEEE10hipError_tPvRmT3_T4_T5_T6_T7_T9_mT8_P12ihipStream_tbDpT10_ENKUlT_T0_E_clISt17integral_constantIbLb0EES1A_EEDaS15_S16_EUlS15_E_NS1_11comp_targetILNS1_3genE10ELNS1_11target_archE1200ELNS1_3gpuE4ELNS1_3repE0EEENS1_30default_config_static_selectorELNS0_4arch9wavefront6targetE1EEEvT1_
	.p2align	8
	.type	_ZN7rocprim17ROCPRIM_400000_NS6detail17trampoline_kernelINS0_14default_configENS1_25partition_config_selectorILNS1_17partition_subalgoE3EjNS0_10empty_typeEbEEZZNS1_14partition_implILS5_3ELb0ES3_jN6thrust23THRUST_200600_302600_NS6detail15normal_iteratorINSA_7pointerIjNSA_11hip_rocprim3tagENSA_11use_defaultESG_EEEEPS6_SJ_NS0_5tupleIJPjSJ_EEENSK_IJSJ_SJ_EEES6_PlJ7is_evenIjEEEE10hipError_tPvRmT3_T4_T5_T6_T7_T9_mT8_P12ihipStream_tbDpT10_ENKUlT_T0_E_clISt17integral_constantIbLb0EES1A_EEDaS15_S16_EUlS15_E_NS1_11comp_targetILNS1_3genE10ELNS1_11target_archE1200ELNS1_3gpuE4ELNS1_3repE0EEENS1_30default_config_static_selectorELNS0_4arch9wavefront6targetE1EEEvT1_,@function
_ZN7rocprim17ROCPRIM_400000_NS6detail17trampoline_kernelINS0_14default_configENS1_25partition_config_selectorILNS1_17partition_subalgoE3EjNS0_10empty_typeEbEEZZNS1_14partition_implILS5_3ELb0ES3_jN6thrust23THRUST_200600_302600_NS6detail15normal_iteratorINSA_7pointerIjNSA_11hip_rocprim3tagENSA_11use_defaultESG_EEEEPS6_SJ_NS0_5tupleIJPjSJ_EEENSK_IJSJ_SJ_EEES6_PlJ7is_evenIjEEEE10hipError_tPvRmT3_T4_T5_T6_T7_T9_mT8_P12ihipStream_tbDpT10_ENKUlT_T0_E_clISt17integral_constantIbLb0EES1A_EEDaS15_S16_EUlS15_E_NS1_11comp_targetILNS1_3genE10ELNS1_11target_archE1200ELNS1_3gpuE4ELNS1_3repE0EEENS1_30default_config_static_selectorELNS0_4arch9wavefront6targetE1EEEvT1_: ; @_ZN7rocprim17ROCPRIM_400000_NS6detail17trampoline_kernelINS0_14default_configENS1_25partition_config_selectorILNS1_17partition_subalgoE3EjNS0_10empty_typeEbEEZZNS1_14partition_implILS5_3ELb0ES3_jN6thrust23THRUST_200600_302600_NS6detail15normal_iteratorINSA_7pointerIjNSA_11hip_rocprim3tagENSA_11use_defaultESG_EEEEPS6_SJ_NS0_5tupleIJPjSJ_EEENSK_IJSJ_SJ_EEES6_PlJ7is_evenIjEEEE10hipError_tPvRmT3_T4_T5_T6_T7_T9_mT8_P12ihipStream_tbDpT10_ENKUlT_T0_E_clISt17integral_constantIbLb0EES1A_EEDaS15_S16_EUlS15_E_NS1_11comp_targetILNS1_3genE10ELNS1_11target_archE1200ELNS1_3gpuE4ELNS1_3repE0EEENS1_30default_config_static_selectorELNS0_4arch9wavefront6targetE1EEEvT1_
; %bb.0:
	.section	.rodata,"a",@progbits
	.p2align	6, 0x0
	.amdhsa_kernel _ZN7rocprim17ROCPRIM_400000_NS6detail17trampoline_kernelINS0_14default_configENS1_25partition_config_selectorILNS1_17partition_subalgoE3EjNS0_10empty_typeEbEEZZNS1_14partition_implILS5_3ELb0ES3_jN6thrust23THRUST_200600_302600_NS6detail15normal_iteratorINSA_7pointerIjNSA_11hip_rocprim3tagENSA_11use_defaultESG_EEEEPS6_SJ_NS0_5tupleIJPjSJ_EEENSK_IJSJ_SJ_EEES6_PlJ7is_evenIjEEEE10hipError_tPvRmT3_T4_T5_T6_T7_T9_mT8_P12ihipStream_tbDpT10_ENKUlT_T0_E_clISt17integral_constantIbLb0EES1A_EEDaS15_S16_EUlS15_E_NS1_11comp_targetILNS1_3genE10ELNS1_11target_archE1200ELNS1_3gpuE4ELNS1_3repE0EEENS1_30default_config_static_selectorELNS0_4arch9wavefront6targetE1EEEvT1_
		.amdhsa_group_segment_fixed_size 0
		.amdhsa_private_segment_fixed_size 0
		.amdhsa_kernarg_size 120
		.amdhsa_user_sgpr_count 2
		.amdhsa_user_sgpr_dispatch_ptr 0
		.amdhsa_user_sgpr_queue_ptr 0
		.amdhsa_user_sgpr_kernarg_segment_ptr 1
		.amdhsa_user_sgpr_dispatch_id 0
		.amdhsa_user_sgpr_kernarg_preload_length 0
		.amdhsa_user_sgpr_kernarg_preload_offset 0
		.amdhsa_user_sgpr_private_segment_size 0
		.amdhsa_uses_dynamic_stack 0
		.amdhsa_enable_private_segment 0
		.amdhsa_system_sgpr_workgroup_id_x 1
		.amdhsa_system_sgpr_workgroup_id_y 0
		.amdhsa_system_sgpr_workgroup_id_z 0
		.amdhsa_system_sgpr_workgroup_info 0
		.amdhsa_system_vgpr_workitem_id 0
		.amdhsa_next_free_vgpr 1
		.amdhsa_next_free_sgpr 0
		.amdhsa_accum_offset 4
		.amdhsa_reserve_vcc 0
		.amdhsa_float_round_mode_32 0
		.amdhsa_float_round_mode_16_64 0
		.amdhsa_float_denorm_mode_32 3
		.amdhsa_float_denorm_mode_16_64 3
		.amdhsa_dx10_clamp 1
		.amdhsa_ieee_mode 1
		.amdhsa_fp16_overflow 0
		.amdhsa_tg_split 0
		.amdhsa_exception_fp_ieee_invalid_op 0
		.amdhsa_exception_fp_denorm_src 0
		.amdhsa_exception_fp_ieee_div_zero 0
		.amdhsa_exception_fp_ieee_overflow 0
		.amdhsa_exception_fp_ieee_underflow 0
		.amdhsa_exception_fp_ieee_inexact 0
		.amdhsa_exception_int_div_zero 0
	.end_amdhsa_kernel
	.section	.text._ZN7rocprim17ROCPRIM_400000_NS6detail17trampoline_kernelINS0_14default_configENS1_25partition_config_selectorILNS1_17partition_subalgoE3EjNS0_10empty_typeEbEEZZNS1_14partition_implILS5_3ELb0ES3_jN6thrust23THRUST_200600_302600_NS6detail15normal_iteratorINSA_7pointerIjNSA_11hip_rocprim3tagENSA_11use_defaultESG_EEEEPS6_SJ_NS0_5tupleIJPjSJ_EEENSK_IJSJ_SJ_EEES6_PlJ7is_evenIjEEEE10hipError_tPvRmT3_T4_T5_T6_T7_T9_mT8_P12ihipStream_tbDpT10_ENKUlT_T0_E_clISt17integral_constantIbLb0EES1A_EEDaS15_S16_EUlS15_E_NS1_11comp_targetILNS1_3genE10ELNS1_11target_archE1200ELNS1_3gpuE4ELNS1_3repE0EEENS1_30default_config_static_selectorELNS0_4arch9wavefront6targetE1EEEvT1_,"axG",@progbits,_ZN7rocprim17ROCPRIM_400000_NS6detail17trampoline_kernelINS0_14default_configENS1_25partition_config_selectorILNS1_17partition_subalgoE3EjNS0_10empty_typeEbEEZZNS1_14partition_implILS5_3ELb0ES3_jN6thrust23THRUST_200600_302600_NS6detail15normal_iteratorINSA_7pointerIjNSA_11hip_rocprim3tagENSA_11use_defaultESG_EEEEPS6_SJ_NS0_5tupleIJPjSJ_EEENSK_IJSJ_SJ_EEES6_PlJ7is_evenIjEEEE10hipError_tPvRmT3_T4_T5_T6_T7_T9_mT8_P12ihipStream_tbDpT10_ENKUlT_T0_E_clISt17integral_constantIbLb0EES1A_EEDaS15_S16_EUlS15_E_NS1_11comp_targetILNS1_3genE10ELNS1_11target_archE1200ELNS1_3gpuE4ELNS1_3repE0EEENS1_30default_config_static_selectorELNS0_4arch9wavefront6targetE1EEEvT1_,comdat
.Lfunc_end924:
	.size	_ZN7rocprim17ROCPRIM_400000_NS6detail17trampoline_kernelINS0_14default_configENS1_25partition_config_selectorILNS1_17partition_subalgoE3EjNS0_10empty_typeEbEEZZNS1_14partition_implILS5_3ELb0ES3_jN6thrust23THRUST_200600_302600_NS6detail15normal_iteratorINSA_7pointerIjNSA_11hip_rocprim3tagENSA_11use_defaultESG_EEEEPS6_SJ_NS0_5tupleIJPjSJ_EEENSK_IJSJ_SJ_EEES6_PlJ7is_evenIjEEEE10hipError_tPvRmT3_T4_T5_T6_T7_T9_mT8_P12ihipStream_tbDpT10_ENKUlT_T0_E_clISt17integral_constantIbLb0EES1A_EEDaS15_S16_EUlS15_E_NS1_11comp_targetILNS1_3genE10ELNS1_11target_archE1200ELNS1_3gpuE4ELNS1_3repE0EEENS1_30default_config_static_selectorELNS0_4arch9wavefront6targetE1EEEvT1_, .Lfunc_end924-_ZN7rocprim17ROCPRIM_400000_NS6detail17trampoline_kernelINS0_14default_configENS1_25partition_config_selectorILNS1_17partition_subalgoE3EjNS0_10empty_typeEbEEZZNS1_14partition_implILS5_3ELb0ES3_jN6thrust23THRUST_200600_302600_NS6detail15normal_iteratorINSA_7pointerIjNSA_11hip_rocprim3tagENSA_11use_defaultESG_EEEEPS6_SJ_NS0_5tupleIJPjSJ_EEENSK_IJSJ_SJ_EEES6_PlJ7is_evenIjEEEE10hipError_tPvRmT3_T4_T5_T6_T7_T9_mT8_P12ihipStream_tbDpT10_ENKUlT_T0_E_clISt17integral_constantIbLb0EES1A_EEDaS15_S16_EUlS15_E_NS1_11comp_targetILNS1_3genE10ELNS1_11target_archE1200ELNS1_3gpuE4ELNS1_3repE0EEENS1_30default_config_static_selectorELNS0_4arch9wavefront6targetE1EEEvT1_
                                        ; -- End function
	.section	.AMDGPU.csdata,"",@progbits
; Kernel info:
; codeLenInByte = 0
; NumSgprs: 6
; NumVgprs: 0
; NumAgprs: 0
; TotalNumVgprs: 0
; ScratchSize: 0
; MemoryBound: 0
; FloatMode: 240
; IeeeMode: 1
; LDSByteSize: 0 bytes/workgroup (compile time only)
; SGPRBlocks: 0
; VGPRBlocks: 0
; NumSGPRsForWavesPerEU: 6
; NumVGPRsForWavesPerEU: 1
; AccumOffset: 4
; Occupancy: 8
; WaveLimiterHint : 0
; COMPUTE_PGM_RSRC2:SCRATCH_EN: 0
; COMPUTE_PGM_RSRC2:USER_SGPR: 2
; COMPUTE_PGM_RSRC2:TRAP_HANDLER: 0
; COMPUTE_PGM_RSRC2:TGID_X_EN: 1
; COMPUTE_PGM_RSRC2:TGID_Y_EN: 0
; COMPUTE_PGM_RSRC2:TGID_Z_EN: 0
; COMPUTE_PGM_RSRC2:TIDIG_COMP_CNT: 0
; COMPUTE_PGM_RSRC3_GFX90A:ACCUM_OFFSET: 0
; COMPUTE_PGM_RSRC3_GFX90A:TG_SPLIT: 0
	.section	.text._ZN7rocprim17ROCPRIM_400000_NS6detail17trampoline_kernelINS0_14default_configENS1_25partition_config_selectorILNS1_17partition_subalgoE3EjNS0_10empty_typeEbEEZZNS1_14partition_implILS5_3ELb0ES3_jN6thrust23THRUST_200600_302600_NS6detail15normal_iteratorINSA_7pointerIjNSA_11hip_rocprim3tagENSA_11use_defaultESG_EEEEPS6_SJ_NS0_5tupleIJPjSJ_EEENSK_IJSJ_SJ_EEES6_PlJ7is_evenIjEEEE10hipError_tPvRmT3_T4_T5_T6_T7_T9_mT8_P12ihipStream_tbDpT10_ENKUlT_T0_E_clISt17integral_constantIbLb0EES1A_EEDaS15_S16_EUlS15_E_NS1_11comp_targetILNS1_3genE9ELNS1_11target_archE1100ELNS1_3gpuE3ELNS1_3repE0EEENS1_30default_config_static_selectorELNS0_4arch9wavefront6targetE1EEEvT1_,"axG",@progbits,_ZN7rocprim17ROCPRIM_400000_NS6detail17trampoline_kernelINS0_14default_configENS1_25partition_config_selectorILNS1_17partition_subalgoE3EjNS0_10empty_typeEbEEZZNS1_14partition_implILS5_3ELb0ES3_jN6thrust23THRUST_200600_302600_NS6detail15normal_iteratorINSA_7pointerIjNSA_11hip_rocprim3tagENSA_11use_defaultESG_EEEEPS6_SJ_NS0_5tupleIJPjSJ_EEENSK_IJSJ_SJ_EEES6_PlJ7is_evenIjEEEE10hipError_tPvRmT3_T4_T5_T6_T7_T9_mT8_P12ihipStream_tbDpT10_ENKUlT_T0_E_clISt17integral_constantIbLb0EES1A_EEDaS15_S16_EUlS15_E_NS1_11comp_targetILNS1_3genE9ELNS1_11target_archE1100ELNS1_3gpuE3ELNS1_3repE0EEENS1_30default_config_static_selectorELNS0_4arch9wavefront6targetE1EEEvT1_,comdat
	.protected	_ZN7rocprim17ROCPRIM_400000_NS6detail17trampoline_kernelINS0_14default_configENS1_25partition_config_selectorILNS1_17partition_subalgoE3EjNS0_10empty_typeEbEEZZNS1_14partition_implILS5_3ELb0ES3_jN6thrust23THRUST_200600_302600_NS6detail15normal_iteratorINSA_7pointerIjNSA_11hip_rocprim3tagENSA_11use_defaultESG_EEEEPS6_SJ_NS0_5tupleIJPjSJ_EEENSK_IJSJ_SJ_EEES6_PlJ7is_evenIjEEEE10hipError_tPvRmT3_T4_T5_T6_T7_T9_mT8_P12ihipStream_tbDpT10_ENKUlT_T0_E_clISt17integral_constantIbLb0EES1A_EEDaS15_S16_EUlS15_E_NS1_11comp_targetILNS1_3genE9ELNS1_11target_archE1100ELNS1_3gpuE3ELNS1_3repE0EEENS1_30default_config_static_selectorELNS0_4arch9wavefront6targetE1EEEvT1_ ; -- Begin function _ZN7rocprim17ROCPRIM_400000_NS6detail17trampoline_kernelINS0_14default_configENS1_25partition_config_selectorILNS1_17partition_subalgoE3EjNS0_10empty_typeEbEEZZNS1_14partition_implILS5_3ELb0ES3_jN6thrust23THRUST_200600_302600_NS6detail15normal_iteratorINSA_7pointerIjNSA_11hip_rocprim3tagENSA_11use_defaultESG_EEEEPS6_SJ_NS0_5tupleIJPjSJ_EEENSK_IJSJ_SJ_EEES6_PlJ7is_evenIjEEEE10hipError_tPvRmT3_T4_T5_T6_T7_T9_mT8_P12ihipStream_tbDpT10_ENKUlT_T0_E_clISt17integral_constantIbLb0EES1A_EEDaS15_S16_EUlS15_E_NS1_11comp_targetILNS1_3genE9ELNS1_11target_archE1100ELNS1_3gpuE3ELNS1_3repE0EEENS1_30default_config_static_selectorELNS0_4arch9wavefront6targetE1EEEvT1_
	.globl	_ZN7rocprim17ROCPRIM_400000_NS6detail17trampoline_kernelINS0_14default_configENS1_25partition_config_selectorILNS1_17partition_subalgoE3EjNS0_10empty_typeEbEEZZNS1_14partition_implILS5_3ELb0ES3_jN6thrust23THRUST_200600_302600_NS6detail15normal_iteratorINSA_7pointerIjNSA_11hip_rocprim3tagENSA_11use_defaultESG_EEEEPS6_SJ_NS0_5tupleIJPjSJ_EEENSK_IJSJ_SJ_EEES6_PlJ7is_evenIjEEEE10hipError_tPvRmT3_T4_T5_T6_T7_T9_mT8_P12ihipStream_tbDpT10_ENKUlT_T0_E_clISt17integral_constantIbLb0EES1A_EEDaS15_S16_EUlS15_E_NS1_11comp_targetILNS1_3genE9ELNS1_11target_archE1100ELNS1_3gpuE3ELNS1_3repE0EEENS1_30default_config_static_selectorELNS0_4arch9wavefront6targetE1EEEvT1_
	.p2align	8
	.type	_ZN7rocprim17ROCPRIM_400000_NS6detail17trampoline_kernelINS0_14default_configENS1_25partition_config_selectorILNS1_17partition_subalgoE3EjNS0_10empty_typeEbEEZZNS1_14partition_implILS5_3ELb0ES3_jN6thrust23THRUST_200600_302600_NS6detail15normal_iteratorINSA_7pointerIjNSA_11hip_rocprim3tagENSA_11use_defaultESG_EEEEPS6_SJ_NS0_5tupleIJPjSJ_EEENSK_IJSJ_SJ_EEES6_PlJ7is_evenIjEEEE10hipError_tPvRmT3_T4_T5_T6_T7_T9_mT8_P12ihipStream_tbDpT10_ENKUlT_T0_E_clISt17integral_constantIbLb0EES1A_EEDaS15_S16_EUlS15_E_NS1_11comp_targetILNS1_3genE9ELNS1_11target_archE1100ELNS1_3gpuE3ELNS1_3repE0EEENS1_30default_config_static_selectorELNS0_4arch9wavefront6targetE1EEEvT1_,@function
_ZN7rocprim17ROCPRIM_400000_NS6detail17trampoline_kernelINS0_14default_configENS1_25partition_config_selectorILNS1_17partition_subalgoE3EjNS0_10empty_typeEbEEZZNS1_14partition_implILS5_3ELb0ES3_jN6thrust23THRUST_200600_302600_NS6detail15normal_iteratorINSA_7pointerIjNSA_11hip_rocprim3tagENSA_11use_defaultESG_EEEEPS6_SJ_NS0_5tupleIJPjSJ_EEENSK_IJSJ_SJ_EEES6_PlJ7is_evenIjEEEE10hipError_tPvRmT3_T4_T5_T6_T7_T9_mT8_P12ihipStream_tbDpT10_ENKUlT_T0_E_clISt17integral_constantIbLb0EES1A_EEDaS15_S16_EUlS15_E_NS1_11comp_targetILNS1_3genE9ELNS1_11target_archE1100ELNS1_3gpuE3ELNS1_3repE0EEENS1_30default_config_static_selectorELNS0_4arch9wavefront6targetE1EEEvT1_: ; @_ZN7rocprim17ROCPRIM_400000_NS6detail17trampoline_kernelINS0_14default_configENS1_25partition_config_selectorILNS1_17partition_subalgoE3EjNS0_10empty_typeEbEEZZNS1_14partition_implILS5_3ELb0ES3_jN6thrust23THRUST_200600_302600_NS6detail15normal_iteratorINSA_7pointerIjNSA_11hip_rocprim3tagENSA_11use_defaultESG_EEEEPS6_SJ_NS0_5tupleIJPjSJ_EEENSK_IJSJ_SJ_EEES6_PlJ7is_evenIjEEEE10hipError_tPvRmT3_T4_T5_T6_T7_T9_mT8_P12ihipStream_tbDpT10_ENKUlT_T0_E_clISt17integral_constantIbLb0EES1A_EEDaS15_S16_EUlS15_E_NS1_11comp_targetILNS1_3genE9ELNS1_11target_archE1100ELNS1_3gpuE3ELNS1_3repE0EEENS1_30default_config_static_selectorELNS0_4arch9wavefront6targetE1EEEvT1_
; %bb.0:
	.section	.rodata,"a",@progbits
	.p2align	6, 0x0
	.amdhsa_kernel _ZN7rocprim17ROCPRIM_400000_NS6detail17trampoline_kernelINS0_14default_configENS1_25partition_config_selectorILNS1_17partition_subalgoE3EjNS0_10empty_typeEbEEZZNS1_14partition_implILS5_3ELb0ES3_jN6thrust23THRUST_200600_302600_NS6detail15normal_iteratorINSA_7pointerIjNSA_11hip_rocprim3tagENSA_11use_defaultESG_EEEEPS6_SJ_NS0_5tupleIJPjSJ_EEENSK_IJSJ_SJ_EEES6_PlJ7is_evenIjEEEE10hipError_tPvRmT3_T4_T5_T6_T7_T9_mT8_P12ihipStream_tbDpT10_ENKUlT_T0_E_clISt17integral_constantIbLb0EES1A_EEDaS15_S16_EUlS15_E_NS1_11comp_targetILNS1_3genE9ELNS1_11target_archE1100ELNS1_3gpuE3ELNS1_3repE0EEENS1_30default_config_static_selectorELNS0_4arch9wavefront6targetE1EEEvT1_
		.amdhsa_group_segment_fixed_size 0
		.amdhsa_private_segment_fixed_size 0
		.amdhsa_kernarg_size 120
		.amdhsa_user_sgpr_count 2
		.amdhsa_user_sgpr_dispatch_ptr 0
		.amdhsa_user_sgpr_queue_ptr 0
		.amdhsa_user_sgpr_kernarg_segment_ptr 1
		.amdhsa_user_sgpr_dispatch_id 0
		.amdhsa_user_sgpr_kernarg_preload_length 0
		.amdhsa_user_sgpr_kernarg_preload_offset 0
		.amdhsa_user_sgpr_private_segment_size 0
		.amdhsa_uses_dynamic_stack 0
		.amdhsa_enable_private_segment 0
		.amdhsa_system_sgpr_workgroup_id_x 1
		.amdhsa_system_sgpr_workgroup_id_y 0
		.amdhsa_system_sgpr_workgroup_id_z 0
		.amdhsa_system_sgpr_workgroup_info 0
		.amdhsa_system_vgpr_workitem_id 0
		.amdhsa_next_free_vgpr 1
		.amdhsa_next_free_sgpr 0
		.amdhsa_accum_offset 4
		.amdhsa_reserve_vcc 0
		.amdhsa_float_round_mode_32 0
		.amdhsa_float_round_mode_16_64 0
		.amdhsa_float_denorm_mode_32 3
		.amdhsa_float_denorm_mode_16_64 3
		.amdhsa_dx10_clamp 1
		.amdhsa_ieee_mode 1
		.amdhsa_fp16_overflow 0
		.amdhsa_tg_split 0
		.amdhsa_exception_fp_ieee_invalid_op 0
		.amdhsa_exception_fp_denorm_src 0
		.amdhsa_exception_fp_ieee_div_zero 0
		.amdhsa_exception_fp_ieee_overflow 0
		.amdhsa_exception_fp_ieee_underflow 0
		.amdhsa_exception_fp_ieee_inexact 0
		.amdhsa_exception_int_div_zero 0
	.end_amdhsa_kernel
	.section	.text._ZN7rocprim17ROCPRIM_400000_NS6detail17trampoline_kernelINS0_14default_configENS1_25partition_config_selectorILNS1_17partition_subalgoE3EjNS0_10empty_typeEbEEZZNS1_14partition_implILS5_3ELb0ES3_jN6thrust23THRUST_200600_302600_NS6detail15normal_iteratorINSA_7pointerIjNSA_11hip_rocprim3tagENSA_11use_defaultESG_EEEEPS6_SJ_NS0_5tupleIJPjSJ_EEENSK_IJSJ_SJ_EEES6_PlJ7is_evenIjEEEE10hipError_tPvRmT3_T4_T5_T6_T7_T9_mT8_P12ihipStream_tbDpT10_ENKUlT_T0_E_clISt17integral_constantIbLb0EES1A_EEDaS15_S16_EUlS15_E_NS1_11comp_targetILNS1_3genE9ELNS1_11target_archE1100ELNS1_3gpuE3ELNS1_3repE0EEENS1_30default_config_static_selectorELNS0_4arch9wavefront6targetE1EEEvT1_,"axG",@progbits,_ZN7rocprim17ROCPRIM_400000_NS6detail17trampoline_kernelINS0_14default_configENS1_25partition_config_selectorILNS1_17partition_subalgoE3EjNS0_10empty_typeEbEEZZNS1_14partition_implILS5_3ELb0ES3_jN6thrust23THRUST_200600_302600_NS6detail15normal_iteratorINSA_7pointerIjNSA_11hip_rocprim3tagENSA_11use_defaultESG_EEEEPS6_SJ_NS0_5tupleIJPjSJ_EEENSK_IJSJ_SJ_EEES6_PlJ7is_evenIjEEEE10hipError_tPvRmT3_T4_T5_T6_T7_T9_mT8_P12ihipStream_tbDpT10_ENKUlT_T0_E_clISt17integral_constantIbLb0EES1A_EEDaS15_S16_EUlS15_E_NS1_11comp_targetILNS1_3genE9ELNS1_11target_archE1100ELNS1_3gpuE3ELNS1_3repE0EEENS1_30default_config_static_selectorELNS0_4arch9wavefront6targetE1EEEvT1_,comdat
.Lfunc_end925:
	.size	_ZN7rocprim17ROCPRIM_400000_NS6detail17trampoline_kernelINS0_14default_configENS1_25partition_config_selectorILNS1_17partition_subalgoE3EjNS0_10empty_typeEbEEZZNS1_14partition_implILS5_3ELb0ES3_jN6thrust23THRUST_200600_302600_NS6detail15normal_iteratorINSA_7pointerIjNSA_11hip_rocprim3tagENSA_11use_defaultESG_EEEEPS6_SJ_NS0_5tupleIJPjSJ_EEENSK_IJSJ_SJ_EEES6_PlJ7is_evenIjEEEE10hipError_tPvRmT3_T4_T5_T6_T7_T9_mT8_P12ihipStream_tbDpT10_ENKUlT_T0_E_clISt17integral_constantIbLb0EES1A_EEDaS15_S16_EUlS15_E_NS1_11comp_targetILNS1_3genE9ELNS1_11target_archE1100ELNS1_3gpuE3ELNS1_3repE0EEENS1_30default_config_static_selectorELNS0_4arch9wavefront6targetE1EEEvT1_, .Lfunc_end925-_ZN7rocprim17ROCPRIM_400000_NS6detail17trampoline_kernelINS0_14default_configENS1_25partition_config_selectorILNS1_17partition_subalgoE3EjNS0_10empty_typeEbEEZZNS1_14partition_implILS5_3ELb0ES3_jN6thrust23THRUST_200600_302600_NS6detail15normal_iteratorINSA_7pointerIjNSA_11hip_rocprim3tagENSA_11use_defaultESG_EEEEPS6_SJ_NS0_5tupleIJPjSJ_EEENSK_IJSJ_SJ_EEES6_PlJ7is_evenIjEEEE10hipError_tPvRmT3_T4_T5_T6_T7_T9_mT8_P12ihipStream_tbDpT10_ENKUlT_T0_E_clISt17integral_constantIbLb0EES1A_EEDaS15_S16_EUlS15_E_NS1_11comp_targetILNS1_3genE9ELNS1_11target_archE1100ELNS1_3gpuE3ELNS1_3repE0EEENS1_30default_config_static_selectorELNS0_4arch9wavefront6targetE1EEEvT1_
                                        ; -- End function
	.section	.AMDGPU.csdata,"",@progbits
; Kernel info:
; codeLenInByte = 0
; NumSgprs: 6
; NumVgprs: 0
; NumAgprs: 0
; TotalNumVgprs: 0
; ScratchSize: 0
; MemoryBound: 0
; FloatMode: 240
; IeeeMode: 1
; LDSByteSize: 0 bytes/workgroup (compile time only)
; SGPRBlocks: 0
; VGPRBlocks: 0
; NumSGPRsForWavesPerEU: 6
; NumVGPRsForWavesPerEU: 1
; AccumOffset: 4
; Occupancy: 8
; WaveLimiterHint : 0
; COMPUTE_PGM_RSRC2:SCRATCH_EN: 0
; COMPUTE_PGM_RSRC2:USER_SGPR: 2
; COMPUTE_PGM_RSRC2:TRAP_HANDLER: 0
; COMPUTE_PGM_RSRC2:TGID_X_EN: 1
; COMPUTE_PGM_RSRC2:TGID_Y_EN: 0
; COMPUTE_PGM_RSRC2:TGID_Z_EN: 0
; COMPUTE_PGM_RSRC2:TIDIG_COMP_CNT: 0
; COMPUTE_PGM_RSRC3_GFX90A:ACCUM_OFFSET: 0
; COMPUTE_PGM_RSRC3_GFX90A:TG_SPLIT: 0
	.section	.text._ZN7rocprim17ROCPRIM_400000_NS6detail17trampoline_kernelINS0_14default_configENS1_25partition_config_selectorILNS1_17partition_subalgoE3EjNS0_10empty_typeEbEEZZNS1_14partition_implILS5_3ELb0ES3_jN6thrust23THRUST_200600_302600_NS6detail15normal_iteratorINSA_7pointerIjNSA_11hip_rocprim3tagENSA_11use_defaultESG_EEEEPS6_SJ_NS0_5tupleIJPjSJ_EEENSK_IJSJ_SJ_EEES6_PlJ7is_evenIjEEEE10hipError_tPvRmT3_T4_T5_T6_T7_T9_mT8_P12ihipStream_tbDpT10_ENKUlT_T0_E_clISt17integral_constantIbLb0EES1A_EEDaS15_S16_EUlS15_E_NS1_11comp_targetILNS1_3genE8ELNS1_11target_archE1030ELNS1_3gpuE2ELNS1_3repE0EEENS1_30default_config_static_selectorELNS0_4arch9wavefront6targetE1EEEvT1_,"axG",@progbits,_ZN7rocprim17ROCPRIM_400000_NS6detail17trampoline_kernelINS0_14default_configENS1_25partition_config_selectorILNS1_17partition_subalgoE3EjNS0_10empty_typeEbEEZZNS1_14partition_implILS5_3ELb0ES3_jN6thrust23THRUST_200600_302600_NS6detail15normal_iteratorINSA_7pointerIjNSA_11hip_rocprim3tagENSA_11use_defaultESG_EEEEPS6_SJ_NS0_5tupleIJPjSJ_EEENSK_IJSJ_SJ_EEES6_PlJ7is_evenIjEEEE10hipError_tPvRmT3_T4_T5_T6_T7_T9_mT8_P12ihipStream_tbDpT10_ENKUlT_T0_E_clISt17integral_constantIbLb0EES1A_EEDaS15_S16_EUlS15_E_NS1_11comp_targetILNS1_3genE8ELNS1_11target_archE1030ELNS1_3gpuE2ELNS1_3repE0EEENS1_30default_config_static_selectorELNS0_4arch9wavefront6targetE1EEEvT1_,comdat
	.protected	_ZN7rocprim17ROCPRIM_400000_NS6detail17trampoline_kernelINS0_14default_configENS1_25partition_config_selectorILNS1_17partition_subalgoE3EjNS0_10empty_typeEbEEZZNS1_14partition_implILS5_3ELb0ES3_jN6thrust23THRUST_200600_302600_NS6detail15normal_iteratorINSA_7pointerIjNSA_11hip_rocprim3tagENSA_11use_defaultESG_EEEEPS6_SJ_NS0_5tupleIJPjSJ_EEENSK_IJSJ_SJ_EEES6_PlJ7is_evenIjEEEE10hipError_tPvRmT3_T4_T5_T6_T7_T9_mT8_P12ihipStream_tbDpT10_ENKUlT_T0_E_clISt17integral_constantIbLb0EES1A_EEDaS15_S16_EUlS15_E_NS1_11comp_targetILNS1_3genE8ELNS1_11target_archE1030ELNS1_3gpuE2ELNS1_3repE0EEENS1_30default_config_static_selectorELNS0_4arch9wavefront6targetE1EEEvT1_ ; -- Begin function _ZN7rocprim17ROCPRIM_400000_NS6detail17trampoline_kernelINS0_14default_configENS1_25partition_config_selectorILNS1_17partition_subalgoE3EjNS0_10empty_typeEbEEZZNS1_14partition_implILS5_3ELb0ES3_jN6thrust23THRUST_200600_302600_NS6detail15normal_iteratorINSA_7pointerIjNSA_11hip_rocprim3tagENSA_11use_defaultESG_EEEEPS6_SJ_NS0_5tupleIJPjSJ_EEENSK_IJSJ_SJ_EEES6_PlJ7is_evenIjEEEE10hipError_tPvRmT3_T4_T5_T6_T7_T9_mT8_P12ihipStream_tbDpT10_ENKUlT_T0_E_clISt17integral_constantIbLb0EES1A_EEDaS15_S16_EUlS15_E_NS1_11comp_targetILNS1_3genE8ELNS1_11target_archE1030ELNS1_3gpuE2ELNS1_3repE0EEENS1_30default_config_static_selectorELNS0_4arch9wavefront6targetE1EEEvT1_
	.globl	_ZN7rocprim17ROCPRIM_400000_NS6detail17trampoline_kernelINS0_14default_configENS1_25partition_config_selectorILNS1_17partition_subalgoE3EjNS0_10empty_typeEbEEZZNS1_14partition_implILS5_3ELb0ES3_jN6thrust23THRUST_200600_302600_NS6detail15normal_iteratorINSA_7pointerIjNSA_11hip_rocprim3tagENSA_11use_defaultESG_EEEEPS6_SJ_NS0_5tupleIJPjSJ_EEENSK_IJSJ_SJ_EEES6_PlJ7is_evenIjEEEE10hipError_tPvRmT3_T4_T5_T6_T7_T9_mT8_P12ihipStream_tbDpT10_ENKUlT_T0_E_clISt17integral_constantIbLb0EES1A_EEDaS15_S16_EUlS15_E_NS1_11comp_targetILNS1_3genE8ELNS1_11target_archE1030ELNS1_3gpuE2ELNS1_3repE0EEENS1_30default_config_static_selectorELNS0_4arch9wavefront6targetE1EEEvT1_
	.p2align	8
	.type	_ZN7rocprim17ROCPRIM_400000_NS6detail17trampoline_kernelINS0_14default_configENS1_25partition_config_selectorILNS1_17partition_subalgoE3EjNS0_10empty_typeEbEEZZNS1_14partition_implILS5_3ELb0ES3_jN6thrust23THRUST_200600_302600_NS6detail15normal_iteratorINSA_7pointerIjNSA_11hip_rocprim3tagENSA_11use_defaultESG_EEEEPS6_SJ_NS0_5tupleIJPjSJ_EEENSK_IJSJ_SJ_EEES6_PlJ7is_evenIjEEEE10hipError_tPvRmT3_T4_T5_T6_T7_T9_mT8_P12ihipStream_tbDpT10_ENKUlT_T0_E_clISt17integral_constantIbLb0EES1A_EEDaS15_S16_EUlS15_E_NS1_11comp_targetILNS1_3genE8ELNS1_11target_archE1030ELNS1_3gpuE2ELNS1_3repE0EEENS1_30default_config_static_selectorELNS0_4arch9wavefront6targetE1EEEvT1_,@function
_ZN7rocprim17ROCPRIM_400000_NS6detail17trampoline_kernelINS0_14default_configENS1_25partition_config_selectorILNS1_17partition_subalgoE3EjNS0_10empty_typeEbEEZZNS1_14partition_implILS5_3ELb0ES3_jN6thrust23THRUST_200600_302600_NS6detail15normal_iteratorINSA_7pointerIjNSA_11hip_rocprim3tagENSA_11use_defaultESG_EEEEPS6_SJ_NS0_5tupleIJPjSJ_EEENSK_IJSJ_SJ_EEES6_PlJ7is_evenIjEEEE10hipError_tPvRmT3_T4_T5_T6_T7_T9_mT8_P12ihipStream_tbDpT10_ENKUlT_T0_E_clISt17integral_constantIbLb0EES1A_EEDaS15_S16_EUlS15_E_NS1_11comp_targetILNS1_3genE8ELNS1_11target_archE1030ELNS1_3gpuE2ELNS1_3repE0EEENS1_30default_config_static_selectorELNS0_4arch9wavefront6targetE1EEEvT1_: ; @_ZN7rocprim17ROCPRIM_400000_NS6detail17trampoline_kernelINS0_14default_configENS1_25partition_config_selectorILNS1_17partition_subalgoE3EjNS0_10empty_typeEbEEZZNS1_14partition_implILS5_3ELb0ES3_jN6thrust23THRUST_200600_302600_NS6detail15normal_iteratorINSA_7pointerIjNSA_11hip_rocprim3tagENSA_11use_defaultESG_EEEEPS6_SJ_NS0_5tupleIJPjSJ_EEENSK_IJSJ_SJ_EEES6_PlJ7is_evenIjEEEE10hipError_tPvRmT3_T4_T5_T6_T7_T9_mT8_P12ihipStream_tbDpT10_ENKUlT_T0_E_clISt17integral_constantIbLb0EES1A_EEDaS15_S16_EUlS15_E_NS1_11comp_targetILNS1_3genE8ELNS1_11target_archE1030ELNS1_3gpuE2ELNS1_3repE0EEENS1_30default_config_static_selectorELNS0_4arch9wavefront6targetE1EEEvT1_
; %bb.0:
	.section	.rodata,"a",@progbits
	.p2align	6, 0x0
	.amdhsa_kernel _ZN7rocprim17ROCPRIM_400000_NS6detail17trampoline_kernelINS0_14default_configENS1_25partition_config_selectorILNS1_17partition_subalgoE3EjNS0_10empty_typeEbEEZZNS1_14partition_implILS5_3ELb0ES3_jN6thrust23THRUST_200600_302600_NS6detail15normal_iteratorINSA_7pointerIjNSA_11hip_rocprim3tagENSA_11use_defaultESG_EEEEPS6_SJ_NS0_5tupleIJPjSJ_EEENSK_IJSJ_SJ_EEES6_PlJ7is_evenIjEEEE10hipError_tPvRmT3_T4_T5_T6_T7_T9_mT8_P12ihipStream_tbDpT10_ENKUlT_T0_E_clISt17integral_constantIbLb0EES1A_EEDaS15_S16_EUlS15_E_NS1_11comp_targetILNS1_3genE8ELNS1_11target_archE1030ELNS1_3gpuE2ELNS1_3repE0EEENS1_30default_config_static_selectorELNS0_4arch9wavefront6targetE1EEEvT1_
		.amdhsa_group_segment_fixed_size 0
		.amdhsa_private_segment_fixed_size 0
		.amdhsa_kernarg_size 120
		.amdhsa_user_sgpr_count 2
		.amdhsa_user_sgpr_dispatch_ptr 0
		.amdhsa_user_sgpr_queue_ptr 0
		.amdhsa_user_sgpr_kernarg_segment_ptr 1
		.amdhsa_user_sgpr_dispatch_id 0
		.amdhsa_user_sgpr_kernarg_preload_length 0
		.amdhsa_user_sgpr_kernarg_preload_offset 0
		.amdhsa_user_sgpr_private_segment_size 0
		.amdhsa_uses_dynamic_stack 0
		.amdhsa_enable_private_segment 0
		.amdhsa_system_sgpr_workgroup_id_x 1
		.amdhsa_system_sgpr_workgroup_id_y 0
		.amdhsa_system_sgpr_workgroup_id_z 0
		.amdhsa_system_sgpr_workgroup_info 0
		.amdhsa_system_vgpr_workitem_id 0
		.amdhsa_next_free_vgpr 1
		.amdhsa_next_free_sgpr 0
		.amdhsa_accum_offset 4
		.amdhsa_reserve_vcc 0
		.amdhsa_float_round_mode_32 0
		.amdhsa_float_round_mode_16_64 0
		.amdhsa_float_denorm_mode_32 3
		.amdhsa_float_denorm_mode_16_64 3
		.amdhsa_dx10_clamp 1
		.amdhsa_ieee_mode 1
		.amdhsa_fp16_overflow 0
		.amdhsa_tg_split 0
		.amdhsa_exception_fp_ieee_invalid_op 0
		.amdhsa_exception_fp_denorm_src 0
		.amdhsa_exception_fp_ieee_div_zero 0
		.amdhsa_exception_fp_ieee_overflow 0
		.amdhsa_exception_fp_ieee_underflow 0
		.amdhsa_exception_fp_ieee_inexact 0
		.amdhsa_exception_int_div_zero 0
	.end_amdhsa_kernel
	.section	.text._ZN7rocprim17ROCPRIM_400000_NS6detail17trampoline_kernelINS0_14default_configENS1_25partition_config_selectorILNS1_17partition_subalgoE3EjNS0_10empty_typeEbEEZZNS1_14partition_implILS5_3ELb0ES3_jN6thrust23THRUST_200600_302600_NS6detail15normal_iteratorINSA_7pointerIjNSA_11hip_rocprim3tagENSA_11use_defaultESG_EEEEPS6_SJ_NS0_5tupleIJPjSJ_EEENSK_IJSJ_SJ_EEES6_PlJ7is_evenIjEEEE10hipError_tPvRmT3_T4_T5_T6_T7_T9_mT8_P12ihipStream_tbDpT10_ENKUlT_T0_E_clISt17integral_constantIbLb0EES1A_EEDaS15_S16_EUlS15_E_NS1_11comp_targetILNS1_3genE8ELNS1_11target_archE1030ELNS1_3gpuE2ELNS1_3repE0EEENS1_30default_config_static_selectorELNS0_4arch9wavefront6targetE1EEEvT1_,"axG",@progbits,_ZN7rocprim17ROCPRIM_400000_NS6detail17trampoline_kernelINS0_14default_configENS1_25partition_config_selectorILNS1_17partition_subalgoE3EjNS0_10empty_typeEbEEZZNS1_14partition_implILS5_3ELb0ES3_jN6thrust23THRUST_200600_302600_NS6detail15normal_iteratorINSA_7pointerIjNSA_11hip_rocprim3tagENSA_11use_defaultESG_EEEEPS6_SJ_NS0_5tupleIJPjSJ_EEENSK_IJSJ_SJ_EEES6_PlJ7is_evenIjEEEE10hipError_tPvRmT3_T4_T5_T6_T7_T9_mT8_P12ihipStream_tbDpT10_ENKUlT_T0_E_clISt17integral_constantIbLb0EES1A_EEDaS15_S16_EUlS15_E_NS1_11comp_targetILNS1_3genE8ELNS1_11target_archE1030ELNS1_3gpuE2ELNS1_3repE0EEENS1_30default_config_static_selectorELNS0_4arch9wavefront6targetE1EEEvT1_,comdat
.Lfunc_end926:
	.size	_ZN7rocprim17ROCPRIM_400000_NS6detail17trampoline_kernelINS0_14default_configENS1_25partition_config_selectorILNS1_17partition_subalgoE3EjNS0_10empty_typeEbEEZZNS1_14partition_implILS5_3ELb0ES3_jN6thrust23THRUST_200600_302600_NS6detail15normal_iteratorINSA_7pointerIjNSA_11hip_rocprim3tagENSA_11use_defaultESG_EEEEPS6_SJ_NS0_5tupleIJPjSJ_EEENSK_IJSJ_SJ_EEES6_PlJ7is_evenIjEEEE10hipError_tPvRmT3_T4_T5_T6_T7_T9_mT8_P12ihipStream_tbDpT10_ENKUlT_T0_E_clISt17integral_constantIbLb0EES1A_EEDaS15_S16_EUlS15_E_NS1_11comp_targetILNS1_3genE8ELNS1_11target_archE1030ELNS1_3gpuE2ELNS1_3repE0EEENS1_30default_config_static_selectorELNS0_4arch9wavefront6targetE1EEEvT1_, .Lfunc_end926-_ZN7rocprim17ROCPRIM_400000_NS6detail17trampoline_kernelINS0_14default_configENS1_25partition_config_selectorILNS1_17partition_subalgoE3EjNS0_10empty_typeEbEEZZNS1_14partition_implILS5_3ELb0ES3_jN6thrust23THRUST_200600_302600_NS6detail15normal_iteratorINSA_7pointerIjNSA_11hip_rocprim3tagENSA_11use_defaultESG_EEEEPS6_SJ_NS0_5tupleIJPjSJ_EEENSK_IJSJ_SJ_EEES6_PlJ7is_evenIjEEEE10hipError_tPvRmT3_T4_T5_T6_T7_T9_mT8_P12ihipStream_tbDpT10_ENKUlT_T0_E_clISt17integral_constantIbLb0EES1A_EEDaS15_S16_EUlS15_E_NS1_11comp_targetILNS1_3genE8ELNS1_11target_archE1030ELNS1_3gpuE2ELNS1_3repE0EEENS1_30default_config_static_selectorELNS0_4arch9wavefront6targetE1EEEvT1_
                                        ; -- End function
	.section	.AMDGPU.csdata,"",@progbits
; Kernel info:
; codeLenInByte = 0
; NumSgprs: 6
; NumVgprs: 0
; NumAgprs: 0
; TotalNumVgprs: 0
; ScratchSize: 0
; MemoryBound: 0
; FloatMode: 240
; IeeeMode: 1
; LDSByteSize: 0 bytes/workgroup (compile time only)
; SGPRBlocks: 0
; VGPRBlocks: 0
; NumSGPRsForWavesPerEU: 6
; NumVGPRsForWavesPerEU: 1
; AccumOffset: 4
; Occupancy: 8
; WaveLimiterHint : 0
; COMPUTE_PGM_RSRC2:SCRATCH_EN: 0
; COMPUTE_PGM_RSRC2:USER_SGPR: 2
; COMPUTE_PGM_RSRC2:TRAP_HANDLER: 0
; COMPUTE_PGM_RSRC2:TGID_X_EN: 1
; COMPUTE_PGM_RSRC2:TGID_Y_EN: 0
; COMPUTE_PGM_RSRC2:TGID_Z_EN: 0
; COMPUTE_PGM_RSRC2:TIDIG_COMP_CNT: 0
; COMPUTE_PGM_RSRC3_GFX90A:ACCUM_OFFSET: 0
; COMPUTE_PGM_RSRC3_GFX90A:TG_SPLIT: 0
	.section	.text._ZN7rocprim17ROCPRIM_400000_NS6detail17trampoline_kernelINS0_14default_configENS1_25partition_config_selectorILNS1_17partition_subalgoE3EjNS0_10empty_typeEbEEZZNS1_14partition_implILS5_3ELb0ES3_jN6thrust23THRUST_200600_302600_NS6detail15normal_iteratorINSA_7pointerIjNSA_11hip_rocprim3tagENSA_11use_defaultESG_EEEEPS6_SJ_NS0_5tupleIJPjSJ_EEENSK_IJSJ_SJ_EEES6_PlJ7is_evenIjEEEE10hipError_tPvRmT3_T4_T5_T6_T7_T9_mT8_P12ihipStream_tbDpT10_ENKUlT_T0_E_clISt17integral_constantIbLb1EES1A_EEDaS15_S16_EUlS15_E_NS1_11comp_targetILNS1_3genE0ELNS1_11target_archE4294967295ELNS1_3gpuE0ELNS1_3repE0EEENS1_30default_config_static_selectorELNS0_4arch9wavefront6targetE1EEEvT1_,"axG",@progbits,_ZN7rocprim17ROCPRIM_400000_NS6detail17trampoline_kernelINS0_14default_configENS1_25partition_config_selectorILNS1_17partition_subalgoE3EjNS0_10empty_typeEbEEZZNS1_14partition_implILS5_3ELb0ES3_jN6thrust23THRUST_200600_302600_NS6detail15normal_iteratorINSA_7pointerIjNSA_11hip_rocprim3tagENSA_11use_defaultESG_EEEEPS6_SJ_NS0_5tupleIJPjSJ_EEENSK_IJSJ_SJ_EEES6_PlJ7is_evenIjEEEE10hipError_tPvRmT3_T4_T5_T6_T7_T9_mT8_P12ihipStream_tbDpT10_ENKUlT_T0_E_clISt17integral_constantIbLb1EES1A_EEDaS15_S16_EUlS15_E_NS1_11comp_targetILNS1_3genE0ELNS1_11target_archE4294967295ELNS1_3gpuE0ELNS1_3repE0EEENS1_30default_config_static_selectorELNS0_4arch9wavefront6targetE1EEEvT1_,comdat
	.protected	_ZN7rocprim17ROCPRIM_400000_NS6detail17trampoline_kernelINS0_14default_configENS1_25partition_config_selectorILNS1_17partition_subalgoE3EjNS0_10empty_typeEbEEZZNS1_14partition_implILS5_3ELb0ES3_jN6thrust23THRUST_200600_302600_NS6detail15normal_iteratorINSA_7pointerIjNSA_11hip_rocprim3tagENSA_11use_defaultESG_EEEEPS6_SJ_NS0_5tupleIJPjSJ_EEENSK_IJSJ_SJ_EEES6_PlJ7is_evenIjEEEE10hipError_tPvRmT3_T4_T5_T6_T7_T9_mT8_P12ihipStream_tbDpT10_ENKUlT_T0_E_clISt17integral_constantIbLb1EES1A_EEDaS15_S16_EUlS15_E_NS1_11comp_targetILNS1_3genE0ELNS1_11target_archE4294967295ELNS1_3gpuE0ELNS1_3repE0EEENS1_30default_config_static_selectorELNS0_4arch9wavefront6targetE1EEEvT1_ ; -- Begin function _ZN7rocprim17ROCPRIM_400000_NS6detail17trampoline_kernelINS0_14default_configENS1_25partition_config_selectorILNS1_17partition_subalgoE3EjNS0_10empty_typeEbEEZZNS1_14partition_implILS5_3ELb0ES3_jN6thrust23THRUST_200600_302600_NS6detail15normal_iteratorINSA_7pointerIjNSA_11hip_rocprim3tagENSA_11use_defaultESG_EEEEPS6_SJ_NS0_5tupleIJPjSJ_EEENSK_IJSJ_SJ_EEES6_PlJ7is_evenIjEEEE10hipError_tPvRmT3_T4_T5_T6_T7_T9_mT8_P12ihipStream_tbDpT10_ENKUlT_T0_E_clISt17integral_constantIbLb1EES1A_EEDaS15_S16_EUlS15_E_NS1_11comp_targetILNS1_3genE0ELNS1_11target_archE4294967295ELNS1_3gpuE0ELNS1_3repE0EEENS1_30default_config_static_selectorELNS0_4arch9wavefront6targetE1EEEvT1_
	.globl	_ZN7rocprim17ROCPRIM_400000_NS6detail17trampoline_kernelINS0_14default_configENS1_25partition_config_selectorILNS1_17partition_subalgoE3EjNS0_10empty_typeEbEEZZNS1_14partition_implILS5_3ELb0ES3_jN6thrust23THRUST_200600_302600_NS6detail15normal_iteratorINSA_7pointerIjNSA_11hip_rocprim3tagENSA_11use_defaultESG_EEEEPS6_SJ_NS0_5tupleIJPjSJ_EEENSK_IJSJ_SJ_EEES6_PlJ7is_evenIjEEEE10hipError_tPvRmT3_T4_T5_T6_T7_T9_mT8_P12ihipStream_tbDpT10_ENKUlT_T0_E_clISt17integral_constantIbLb1EES1A_EEDaS15_S16_EUlS15_E_NS1_11comp_targetILNS1_3genE0ELNS1_11target_archE4294967295ELNS1_3gpuE0ELNS1_3repE0EEENS1_30default_config_static_selectorELNS0_4arch9wavefront6targetE1EEEvT1_
	.p2align	8
	.type	_ZN7rocprim17ROCPRIM_400000_NS6detail17trampoline_kernelINS0_14default_configENS1_25partition_config_selectorILNS1_17partition_subalgoE3EjNS0_10empty_typeEbEEZZNS1_14partition_implILS5_3ELb0ES3_jN6thrust23THRUST_200600_302600_NS6detail15normal_iteratorINSA_7pointerIjNSA_11hip_rocprim3tagENSA_11use_defaultESG_EEEEPS6_SJ_NS0_5tupleIJPjSJ_EEENSK_IJSJ_SJ_EEES6_PlJ7is_evenIjEEEE10hipError_tPvRmT3_T4_T5_T6_T7_T9_mT8_P12ihipStream_tbDpT10_ENKUlT_T0_E_clISt17integral_constantIbLb1EES1A_EEDaS15_S16_EUlS15_E_NS1_11comp_targetILNS1_3genE0ELNS1_11target_archE4294967295ELNS1_3gpuE0ELNS1_3repE0EEENS1_30default_config_static_selectorELNS0_4arch9wavefront6targetE1EEEvT1_,@function
_ZN7rocprim17ROCPRIM_400000_NS6detail17trampoline_kernelINS0_14default_configENS1_25partition_config_selectorILNS1_17partition_subalgoE3EjNS0_10empty_typeEbEEZZNS1_14partition_implILS5_3ELb0ES3_jN6thrust23THRUST_200600_302600_NS6detail15normal_iteratorINSA_7pointerIjNSA_11hip_rocprim3tagENSA_11use_defaultESG_EEEEPS6_SJ_NS0_5tupleIJPjSJ_EEENSK_IJSJ_SJ_EEES6_PlJ7is_evenIjEEEE10hipError_tPvRmT3_T4_T5_T6_T7_T9_mT8_P12ihipStream_tbDpT10_ENKUlT_T0_E_clISt17integral_constantIbLb1EES1A_EEDaS15_S16_EUlS15_E_NS1_11comp_targetILNS1_3genE0ELNS1_11target_archE4294967295ELNS1_3gpuE0ELNS1_3repE0EEENS1_30default_config_static_selectorELNS0_4arch9wavefront6targetE1EEEvT1_: ; @_ZN7rocprim17ROCPRIM_400000_NS6detail17trampoline_kernelINS0_14default_configENS1_25partition_config_selectorILNS1_17partition_subalgoE3EjNS0_10empty_typeEbEEZZNS1_14partition_implILS5_3ELb0ES3_jN6thrust23THRUST_200600_302600_NS6detail15normal_iteratorINSA_7pointerIjNSA_11hip_rocprim3tagENSA_11use_defaultESG_EEEEPS6_SJ_NS0_5tupleIJPjSJ_EEENSK_IJSJ_SJ_EEES6_PlJ7is_evenIjEEEE10hipError_tPvRmT3_T4_T5_T6_T7_T9_mT8_P12ihipStream_tbDpT10_ENKUlT_T0_E_clISt17integral_constantIbLb1EES1A_EEDaS15_S16_EUlS15_E_NS1_11comp_targetILNS1_3genE0ELNS1_11target_archE4294967295ELNS1_3gpuE0ELNS1_3repE0EEENS1_30default_config_static_selectorELNS0_4arch9wavefront6targetE1EEEvT1_
; %bb.0:
	.section	.rodata,"a",@progbits
	.p2align	6, 0x0
	.amdhsa_kernel _ZN7rocprim17ROCPRIM_400000_NS6detail17trampoline_kernelINS0_14default_configENS1_25partition_config_selectorILNS1_17partition_subalgoE3EjNS0_10empty_typeEbEEZZNS1_14partition_implILS5_3ELb0ES3_jN6thrust23THRUST_200600_302600_NS6detail15normal_iteratorINSA_7pointerIjNSA_11hip_rocprim3tagENSA_11use_defaultESG_EEEEPS6_SJ_NS0_5tupleIJPjSJ_EEENSK_IJSJ_SJ_EEES6_PlJ7is_evenIjEEEE10hipError_tPvRmT3_T4_T5_T6_T7_T9_mT8_P12ihipStream_tbDpT10_ENKUlT_T0_E_clISt17integral_constantIbLb1EES1A_EEDaS15_S16_EUlS15_E_NS1_11comp_targetILNS1_3genE0ELNS1_11target_archE4294967295ELNS1_3gpuE0ELNS1_3repE0EEENS1_30default_config_static_selectorELNS0_4arch9wavefront6targetE1EEEvT1_
		.amdhsa_group_segment_fixed_size 0
		.amdhsa_private_segment_fixed_size 0
		.amdhsa_kernarg_size 136
		.amdhsa_user_sgpr_count 2
		.amdhsa_user_sgpr_dispatch_ptr 0
		.amdhsa_user_sgpr_queue_ptr 0
		.amdhsa_user_sgpr_kernarg_segment_ptr 1
		.amdhsa_user_sgpr_dispatch_id 0
		.amdhsa_user_sgpr_kernarg_preload_length 0
		.amdhsa_user_sgpr_kernarg_preload_offset 0
		.amdhsa_user_sgpr_private_segment_size 0
		.amdhsa_uses_dynamic_stack 0
		.amdhsa_enable_private_segment 0
		.amdhsa_system_sgpr_workgroup_id_x 1
		.amdhsa_system_sgpr_workgroup_id_y 0
		.amdhsa_system_sgpr_workgroup_id_z 0
		.amdhsa_system_sgpr_workgroup_info 0
		.amdhsa_system_vgpr_workitem_id 0
		.amdhsa_next_free_vgpr 1
		.amdhsa_next_free_sgpr 0
		.amdhsa_accum_offset 4
		.amdhsa_reserve_vcc 0
		.amdhsa_float_round_mode_32 0
		.amdhsa_float_round_mode_16_64 0
		.amdhsa_float_denorm_mode_32 3
		.amdhsa_float_denorm_mode_16_64 3
		.amdhsa_dx10_clamp 1
		.amdhsa_ieee_mode 1
		.amdhsa_fp16_overflow 0
		.amdhsa_tg_split 0
		.amdhsa_exception_fp_ieee_invalid_op 0
		.amdhsa_exception_fp_denorm_src 0
		.amdhsa_exception_fp_ieee_div_zero 0
		.amdhsa_exception_fp_ieee_overflow 0
		.amdhsa_exception_fp_ieee_underflow 0
		.amdhsa_exception_fp_ieee_inexact 0
		.amdhsa_exception_int_div_zero 0
	.end_amdhsa_kernel
	.section	.text._ZN7rocprim17ROCPRIM_400000_NS6detail17trampoline_kernelINS0_14default_configENS1_25partition_config_selectorILNS1_17partition_subalgoE3EjNS0_10empty_typeEbEEZZNS1_14partition_implILS5_3ELb0ES3_jN6thrust23THRUST_200600_302600_NS6detail15normal_iteratorINSA_7pointerIjNSA_11hip_rocprim3tagENSA_11use_defaultESG_EEEEPS6_SJ_NS0_5tupleIJPjSJ_EEENSK_IJSJ_SJ_EEES6_PlJ7is_evenIjEEEE10hipError_tPvRmT3_T4_T5_T6_T7_T9_mT8_P12ihipStream_tbDpT10_ENKUlT_T0_E_clISt17integral_constantIbLb1EES1A_EEDaS15_S16_EUlS15_E_NS1_11comp_targetILNS1_3genE0ELNS1_11target_archE4294967295ELNS1_3gpuE0ELNS1_3repE0EEENS1_30default_config_static_selectorELNS0_4arch9wavefront6targetE1EEEvT1_,"axG",@progbits,_ZN7rocprim17ROCPRIM_400000_NS6detail17trampoline_kernelINS0_14default_configENS1_25partition_config_selectorILNS1_17partition_subalgoE3EjNS0_10empty_typeEbEEZZNS1_14partition_implILS5_3ELb0ES3_jN6thrust23THRUST_200600_302600_NS6detail15normal_iteratorINSA_7pointerIjNSA_11hip_rocprim3tagENSA_11use_defaultESG_EEEEPS6_SJ_NS0_5tupleIJPjSJ_EEENSK_IJSJ_SJ_EEES6_PlJ7is_evenIjEEEE10hipError_tPvRmT3_T4_T5_T6_T7_T9_mT8_P12ihipStream_tbDpT10_ENKUlT_T0_E_clISt17integral_constantIbLb1EES1A_EEDaS15_S16_EUlS15_E_NS1_11comp_targetILNS1_3genE0ELNS1_11target_archE4294967295ELNS1_3gpuE0ELNS1_3repE0EEENS1_30default_config_static_selectorELNS0_4arch9wavefront6targetE1EEEvT1_,comdat
.Lfunc_end927:
	.size	_ZN7rocprim17ROCPRIM_400000_NS6detail17trampoline_kernelINS0_14default_configENS1_25partition_config_selectorILNS1_17partition_subalgoE3EjNS0_10empty_typeEbEEZZNS1_14partition_implILS5_3ELb0ES3_jN6thrust23THRUST_200600_302600_NS6detail15normal_iteratorINSA_7pointerIjNSA_11hip_rocprim3tagENSA_11use_defaultESG_EEEEPS6_SJ_NS0_5tupleIJPjSJ_EEENSK_IJSJ_SJ_EEES6_PlJ7is_evenIjEEEE10hipError_tPvRmT3_T4_T5_T6_T7_T9_mT8_P12ihipStream_tbDpT10_ENKUlT_T0_E_clISt17integral_constantIbLb1EES1A_EEDaS15_S16_EUlS15_E_NS1_11comp_targetILNS1_3genE0ELNS1_11target_archE4294967295ELNS1_3gpuE0ELNS1_3repE0EEENS1_30default_config_static_selectorELNS0_4arch9wavefront6targetE1EEEvT1_, .Lfunc_end927-_ZN7rocprim17ROCPRIM_400000_NS6detail17trampoline_kernelINS0_14default_configENS1_25partition_config_selectorILNS1_17partition_subalgoE3EjNS0_10empty_typeEbEEZZNS1_14partition_implILS5_3ELb0ES3_jN6thrust23THRUST_200600_302600_NS6detail15normal_iteratorINSA_7pointerIjNSA_11hip_rocprim3tagENSA_11use_defaultESG_EEEEPS6_SJ_NS0_5tupleIJPjSJ_EEENSK_IJSJ_SJ_EEES6_PlJ7is_evenIjEEEE10hipError_tPvRmT3_T4_T5_T6_T7_T9_mT8_P12ihipStream_tbDpT10_ENKUlT_T0_E_clISt17integral_constantIbLb1EES1A_EEDaS15_S16_EUlS15_E_NS1_11comp_targetILNS1_3genE0ELNS1_11target_archE4294967295ELNS1_3gpuE0ELNS1_3repE0EEENS1_30default_config_static_selectorELNS0_4arch9wavefront6targetE1EEEvT1_
                                        ; -- End function
	.section	.AMDGPU.csdata,"",@progbits
; Kernel info:
; codeLenInByte = 0
; NumSgprs: 6
; NumVgprs: 0
; NumAgprs: 0
; TotalNumVgprs: 0
; ScratchSize: 0
; MemoryBound: 0
; FloatMode: 240
; IeeeMode: 1
; LDSByteSize: 0 bytes/workgroup (compile time only)
; SGPRBlocks: 0
; VGPRBlocks: 0
; NumSGPRsForWavesPerEU: 6
; NumVGPRsForWavesPerEU: 1
; AccumOffset: 4
; Occupancy: 8
; WaveLimiterHint : 0
; COMPUTE_PGM_RSRC2:SCRATCH_EN: 0
; COMPUTE_PGM_RSRC2:USER_SGPR: 2
; COMPUTE_PGM_RSRC2:TRAP_HANDLER: 0
; COMPUTE_PGM_RSRC2:TGID_X_EN: 1
; COMPUTE_PGM_RSRC2:TGID_Y_EN: 0
; COMPUTE_PGM_RSRC2:TGID_Z_EN: 0
; COMPUTE_PGM_RSRC2:TIDIG_COMP_CNT: 0
; COMPUTE_PGM_RSRC3_GFX90A:ACCUM_OFFSET: 0
; COMPUTE_PGM_RSRC3_GFX90A:TG_SPLIT: 0
	.section	.text._ZN7rocprim17ROCPRIM_400000_NS6detail17trampoline_kernelINS0_14default_configENS1_25partition_config_selectorILNS1_17partition_subalgoE3EjNS0_10empty_typeEbEEZZNS1_14partition_implILS5_3ELb0ES3_jN6thrust23THRUST_200600_302600_NS6detail15normal_iteratorINSA_7pointerIjNSA_11hip_rocprim3tagENSA_11use_defaultESG_EEEEPS6_SJ_NS0_5tupleIJPjSJ_EEENSK_IJSJ_SJ_EEES6_PlJ7is_evenIjEEEE10hipError_tPvRmT3_T4_T5_T6_T7_T9_mT8_P12ihipStream_tbDpT10_ENKUlT_T0_E_clISt17integral_constantIbLb1EES1A_EEDaS15_S16_EUlS15_E_NS1_11comp_targetILNS1_3genE5ELNS1_11target_archE942ELNS1_3gpuE9ELNS1_3repE0EEENS1_30default_config_static_selectorELNS0_4arch9wavefront6targetE1EEEvT1_,"axG",@progbits,_ZN7rocprim17ROCPRIM_400000_NS6detail17trampoline_kernelINS0_14default_configENS1_25partition_config_selectorILNS1_17partition_subalgoE3EjNS0_10empty_typeEbEEZZNS1_14partition_implILS5_3ELb0ES3_jN6thrust23THRUST_200600_302600_NS6detail15normal_iteratorINSA_7pointerIjNSA_11hip_rocprim3tagENSA_11use_defaultESG_EEEEPS6_SJ_NS0_5tupleIJPjSJ_EEENSK_IJSJ_SJ_EEES6_PlJ7is_evenIjEEEE10hipError_tPvRmT3_T4_T5_T6_T7_T9_mT8_P12ihipStream_tbDpT10_ENKUlT_T0_E_clISt17integral_constantIbLb1EES1A_EEDaS15_S16_EUlS15_E_NS1_11comp_targetILNS1_3genE5ELNS1_11target_archE942ELNS1_3gpuE9ELNS1_3repE0EEENS1_30default_config_static_selectorELNS0_4arch9wavefront6targetE1EEEvT1_,comdat
	.protected	_ZN7rocprim17ROCPRIM_400000_NS6detail17trampoline_kernelINS0_14default_configENS1_25partition_config_selectorILNS1_17partition_subalgoE3EjNS0_10empty_typeEbEEZZNS1_14partition_implILS5_3ELb0ES3_jN6thrust23THRUST_200600_302600_NS6detail15normal_iteratorINSA_7pointerIjNSA_11hip_rocprim3tagENSA_11use_defaultESG_EEEEPS6_SJ_NS0_5tupleIJPjSJ_EEENSK_IJSJ_SJ_EEES6_PlJ7is_evenIjEEEE10hipError_tPvRmT3_T4_T5_T6_T7_T9_mT8_P12ihipStream_tbDpT10_ENKUlT_T0_E_clISt17integral_constantIbLb1EES1A_EEDaS15_S16_EUlS15_E_NS1_11comp_targetILNS1_3genE5ELNS1_11target_archE942ELNS1_3gpuE9ELNS1_3repE0EEENS1_30default_config_static_selectorELNS0_4arch9wavefront6targetE1EEEvT1_ ; -- Begin function _ZN7rocprim17ROCPRIM_400000_NS6detail17trampoline_kernelINS0_14default_configENS1_25partition_config_selectorILNS1_17partition_subalgoE3EjNS0_10empty_typeEbEEZZNS1_14partition_implILS5_3ELb0ES3_jN6thrust23THRUST_200600_302600_NS6detail15normal_iteratorINSA_7pointerIjNSA_11hip_rocprim3tagENSA_11use_defaultESG_EEEEPS6_SJ_NS0_5tupleIJPjSJ_EEENSK_IJSJ_SJ_EEES6_PlJ7is_evenIjEEEE10hipError_tPvRmT3_T4_T5_T6_T7_T9_mT8_P12ihipStream_tbDpT10_ENKUlT_T0_E_clISt17integral_constantIbLb1EES1A_EEDaS15_S16_EUlS15_E_NS1_11comp_targetILNS1_3genE5ELNS1_11target_archE942ELNS1_3gpuE9ELNS1_3repE0EEENS1_30default_config_static_selectorELNS0_4arch9wavefront6targetE1EEEvT1_
	.globl	_ZN7rocprim17ROCPRIM_400000_NS6detail17trampoline_kernelINS0_14default_configENS1_25partition_config_selectorILNS1_17partition_subalgoE3EjNS0_10empty_typeEbEEZZNS1_14partition_implILS5_3ELb0ES3_jN6thrust23THRUST_200600_302600_NS6detail15normal_iteratorINSA_7pointerIjNSA_11hip_rocprim3tagENSA_11use_defaultESG_EEEEPS6_SJ_NS0_5tupleIJPjSJ_EEENSK_IJSJ_SJ_EEES6_PlJ7is_evenIjEEEE10hipError_tPvRmT3_T4_T5_T6_T7_T9_mT8_P12ihipStream_tbDpT10_ENKUlT_T0_E_clISt17integral_constantIbLb1EES1A_EEDaS15_S16_EUlS15_E_NS1_11comp_targetILNS1_3genE5ELNS1_11target_archE942ELNS1_3gpuE9ELNS1_3repE0EEENS1_30default_config_static_selectorELNS0_4arch9wavefront6targetE1EEEvT1_
	.p2align	8
	.type	_ZN7rocprim17ROCPRIM_400000_NS6detail17trampoline_kernelINS0_14default_configENS1_25partition_config_selectorILNS1_17partition_subalgoE3EjNS0_10empty_typeEbEEZZNS1_14partition_implILS5_3ELb0ES3_jN6thrust23THRUST_200600_302600_NS6detail15normal_iteratorINSA_7pointerIjNSA_11hip_rocprim3tagENSA_11use_defaultESG_EEEEPS6_SJ_NS0_5tupleIJPjSJ_EEENSK_IJSJ_SJ_EEES6_PlJ7is_evenIjEEEE10hipError_tPvRmT3_T4_T5_T6_T7_T9_mT8_P12ihipStream_tbDpT10_ENKUlT_T0_E_clISt17integral_constantIbLb1EES1A_EEDaS15_S16_EUlS15_E_NS1_11comp_targetILNS1_3genE5ELNS1_11target_archE942ELNS1_3gpuE9ELNS1_3repE0EEENS1_30default_config_static_selectorELNS0_4arch9wavefront6targetE1EEEvT1_,@function
_ZN7rocprim17ROCPRIM_400000_NS6detail17trampoline_kernelINS0_14default_configENS1_25partition_config_selectorILNS1_17partition_subalgoE3EjNS0_10empty_typeEbEEZZNS1_14partition_implILS5_3ELb0ES3_jN6thrust23THRUST_200600_302600_NS6detail15normal_iteratorINSA_7pointerIjNSA_11hip_rocprim3tagENSA_11use_defaultESG_EEEEPS6_SJ_NS0_5tupleIJPjSJ_EEENSK_IJSJ_SJ_EEES6_PlJ7is_evenIjEEEE10hipError_tPvRmT3_T4_T5_T6_T7_T9_mT8_P12ihipStream_tbDpT10_ENKUlT_T0_E_clISt17integral_constantIbLb1EES1A_EEDaS15_S16_EUlS15_E_NS1_11comp_targetILNS1_3genE5ELNS1_11target_archE942ELNS1_3gpuE9ELNS1_3repE0EEENS1_30default_config_static_selectorELNS0_4arch9wavefront6targetE1EEEvT1_: ; @_ZN7rocprim17ROCPRIM_400000_NS6detail17trampoline_kernelINS0_14default_configENS1_25partition_config_selectorILNS1_17partition_subalgoE3EjNS0_10empty_typeEbEEZZNS1_14partition_implILS5_3ELb0ES3_jN6thrust23THRUST_200600_302600_NS6detail15normal_iteratorINSA_7pointerIjNSA_11hip_rocprim3tagENSA_11use_defaultESG_EEEEPS6_SJ_NS0_5tupleIJPjSJ_EEENSK_IJSJ_SJ_EEES6_PlJ7is_evenIjEEEE10hipError_tPvRmT3_T4_T5_T6_T7_T9_mT8_P12ihipStream_tbDpT10_ENKUlT_T0_E_clISt17integral_constantIbLb1EES1A_EEDaS15_S16_EUlS15_E_NS1_11comp_targetILNS1_3genE5ELNS1_11target_archE942ELNS1_3gpuE9ELNS1_3repE0EEENS1_30default_config_static_selectorELNS0_4arch9wavefront6targetE1EEEvT1_
; %bb.0:
	s_load_dwordx2 s[22:23], s[0:1], 0x28
	s_load_dwordx4 s[24:27], s[0:1], 0x48
	s_load_dwordx2 s[34:35], s[0:1], 0x58
	s_load_dwordx2 s[36:37], s[0:1], 0x68
	v_cmp_eq_u32_e64 s[20:21], 0, v0
	s_and_saveexec_b64 s[2:3], s[20:21]
	s_cbranch_execz .LBB928_4
; %bb.1:
	s_mov_b64 s[6:7], exec
	v_mbcnt_lo_u32_b32 v1, s6, 0
	v_mbcnt_hi_u32_b32 v1, s7, v1
	v_cmp_eq_u32_e32 vcc, 0, v1
                                        ; implicit-def: $vgpr2
	s_and_saveexec_b64 s[4:5], vcc
	s_cbranch_execz .LBB928_3
; %bb.2:
	s_load_dwordx2 s[8:9], s[0:1], 0x78
	s_bcnt1_i32_b64 s6, s[6:7]
	v_mov_b32_e32 v2, 0
	v_mov_b32_e32 v3, s6
	s_waitcnt lgkmcnt(0)
	global_atomic_add v2, v2, v3, s[8:9] sc0
.LBB928_3:
	s_or_b64 exec, exec, s[4:5]
	s_waitcnt vmcnt(0)
	v_readfirstlane_b32 s4, v2
	v_mov_b32_e32 v2, 0
	s_nop 0
	v_add_u32_e32 v1, s4, v1
	ds_write_b32 v2, v1
.LBB928_4:
	s_or_b64 exec, exec, s[2:3]
	v_mov_b32_e32 v19, 0
	s_load_dwordx4 s[28:31], s[0:1], 0x8
	s_load_dword s2, s[0:1], 0x70
	s_waitcnt lgkmcnt(0)
	s_barrier
	ds_read_b32 v1, v19
	s_waitcnt lgkmcnt(0)
	s_barrier
	global_load_dwordx2 v[20:21], v19, s[26:27]
	s_lshl_b64 s[0:1], s[30:31], 2
	s_add_u32 s0, s28, s0
	s_addc_u32 s1, s29, s1
	s_movk_i32 s3, 0x1e00
	s_add_i32 s4, s2, -1
	s_mulk_i32 s2, 0x1e00
	v_mul_lo_u32 v18, v1, s3
	s_add_i32 s3, s2, s30
	s_sub_i32 s33, s34, s3
	s_addk_i32 s33, 0x1e00
	s_add_u32 s2, s30, s2
	v_readfirstlane_b32 s40, v1
	s_addc_u32 s3, s31, 0
	s_cmp_eq_u32 s40, s4
	v_mov_b64_e32 v[2:3], s[34:35]
	s_cselect_b64 s[26:27], -1, 0
	s_cmp_lg_u32 s40, s4
	v_cmp_lt_u64_e32 vcc, s[2:3], v[2:3]
	s_cselect_b64 s[2:3], -1, 0
	s_or_b64 s[4:5], vcc, s[2:3]
	v_lshlrev_b64 v[2:3], 2, v[18:19]
	v_lshl_add_u64 v[24:25], s[0:1], 0, v[2:3]
	s_mov_b64 s[0:1], -1
	s_and_b64 vcc, exec, s[4:5]
	v_lshlrev_b32_e32 v22, 2, v0
	s_cbranch_vccz .LBB928_6
; %bb.5:
	v_mov_b32_e32 v23, v19
	v_lshl_add_u64 v[2:3], v[24:25], 0, v[22:23]
	v_add_co_u32_e32 v4, vcc, 0x1000, v2
	s_mov_b64 s[0:1], 0
	s_nop 0
	v_addc_co_u32_e32 v5, vcc, 0, v3, vcc
	v_add_co_u32_e32 v6, vcc, 0x2000, v2
	s_nop 1
	v_addc_co_u32_e32 v7, vcc, 0, v3, vcc
	v_add_co_u32_e32 v8, vcc, 0x3000, v2
	s_nop 1
	v_addc_co_u32_e32 v9, vcc, 0, v3, vcc
	flat_load_dword v1, v[2:3]
	flat_load_dword v10, v[2:3] offset:2048
	flat_load_dword v11, v[4:5]
	flat_load_dword v12, v[4:5] offset:2048
	;; [unrolled: 2-line block ×4, first 2 shown]
	v_add_co_u32_e32 v4, vcc, 0x4000, v2
	s_nop 1
	v_addc_co_u32_e32 v5, vcc, 0, v3, vcc
	v_add_co_u32_e32 v6, vcc, 0x5000, v2
	s_nop 1
	v_addc_co_u32_e32 v7, vcc, 0, v3, vcc
	;; [unrolled: 3-line block ×4, first 2 shown]
	flat_load_dword v17, v[4:5]
	flat_load_dword v23, v[4:5] offset:2048
	flat_load_dword v26, v[6:7]
	flat_load_dword v27, v[6:7] offset:2048
	;; [unrolled: 2-line block ×3, first 2 shown]
	flat_load_dword v30, v[2:3]
	s_waitcnt vmcnt(0) lgkmcnt(0)
	ds_write2st64_b32 v22, v1, v10 offset1:8
	ds_write2st64_b32 v22, v11, v12 offset0:16 offset1:24
	ds_write2st64_b32 v22, v13, v14 offset0:32 offset1:40
	;; [unrolled: 1-line block ×6, first 2 shown]
	ds_write_b32 v22, v30 offset:28672
	s_waitcnt lgkmcnt(0)
	s_barrier
.LBB928_6:
	s_andn2_b64 vcc, exec, s[0:1]
	v_cmp_gt_u32_e64 s[0:1], s33, v0
	s_cbranch_vccnz .LBB928_38
; %bb.7:
                                        ; implicit-def: $vgpr2_vgpr3_vgpr4_vgpr5_vgpr6_vgpr7_vgpr8_vgpr9_vgpr10_vgpr11_vgpr12_vgpr13_vgpr14_vgpr15_vgpr16_vgpr17
	s_and_saveexec_b64 s[2:3], s[0:1]
	s_cbranch_execz .LBB928_9
; %bb.8:
	v_mov_b32_e32 v23, 0
	v_lshl_add_u64 v[2:3], v[24:25], 0, v[22:23]
	flat_load_dword v2, v[2:3]
.LBB928_9:
	s_or_b64 exec, exec, s[2:3]
	v_or_b32_e32 v1, 0x200, v0
	v_cmp_gt_u32_e32 vcc, s33, v1
	s_and_saveexec_b64 s[0:1], vcc
	s_cbranch_execz .LBB928_11
; %bb.10:
	v_mov_b32_e32 v23, 0
	v_lshl_add_u64 v[26:27], v[24:25], 0, v[22:23]
	flat_load_dword v3, v[26:27] offset:2048
.LBB928_11:
	s_or_b64 exec, exec, s[0:1]
	v_or_b32_e32 v1, 0x400, v0
	v_cmp_gt_u32_e32 vcc, s33, v1
	s_and_saveexec_b64 s[0:1], vcc
	s_cbranch_execz .LBB928_13
; %bb.12:
	v_lshlrev_b32_e32 v26, 2, v1
	v_mov_b32_e32 v27, 0
	v_lshl_add_u64 v[26:27], v[24:25], 0, v[26:27]
	flat_load_dword v4, v[26:27]
.LBB928_13:
	s_or_b64 exec, exec, s[0:1]
	v_or_b32_e32 v1, 0x600, v0
	v_cmp_gt_u32_e32 vcc, s33, v1
	s_and_saveexec_b64 s[0:1], vcc
	s_cbranch_execz .LBB928_15
; %bb.14:
	v_lshlrev_b32_e32 v26, 2, v1
	v_mov_b32_e32 v27, 0
	v_lshl_add_u64 v[26:27], v[24:25], 0, v[26:27]
	flat_load_dword v5, v[26:27]
.LBB928_15:
	;; [unrolled: 11-line block ×13, first 2 shown]
	s_or_b64 exec, exec, s[0:1]
	s_waitcnt vmcnt(0) lgkmcnt(0)
	ds_write2st64_b32 v22, v2, v3 offset1:8
	ds_write2st64_b32 v22, v4, v5 offset0:16 offset1:24
	ds_write2st64_b32 v22, v6, v7 offset0:32 offset1:40
	;; [unrolled: 1-line block ×6, first 2 shown]
	ds_write_b32 v22, v16 offset:28672
	s_waitcnt lgkmcnt(0)
	s_barrier
.LBB928_38:
	v_mul_u32_u24_e32 v41, 15, v0
	v_lshlrev_b32_e32 v1, 2, v41
	ds_read2_b32 v[38:39], v1 offset1:1
	ds_read2_b32 v[36:37], v1 offset0:2 offset1:3
	ds_read2_b32 v[34:35], v1 offset0:4 offset1:5
	;; [unrolled: 1-line block ×6, first 2 shown]
	ds_read_b32 v1, v1 offset:56
	v_cndmask_b32_e64 v2, 0, 1, s[4:5]
	v_cmp_ne_u32_e64 s[2:3], 1, v2
	s_andn2_b64 vcc, exec, s[4:5]
	s_waitcnt lgkmcnt(7)
	v_xor_b32_e32 v16, -1, v38
	v_xor_b32_e32 v15, -1, v39
	s_waitcnt lgkmcnt(6)
	v_xor_b32_e32 v14, -1, v36
	v_xor_b32_e32 v13, -1, v37
	;; [unrolled: 3-line block ×7, first 2 shown]
	s_waitcnt lgkmcnt(0)
	v_xor_b32_e32 v2, -1, v1
	s_barrier
	s_cbranch_vccnz .LBB928_40
; %bb.39:
	v_and_b32_e32 v54, 1, v16
	v_and_b32_e32 v53, 1, v15
	v_and_b32_e32 v52, 1, v14
	v_and_b32_e32 v51, 1, v13
	v_and_b32_e32 v50, 1, v12
	v_and_b32_e32 v49, 1, v11
	v_and_b32_e32 v48, 1, v10
	v_and_b32_e32 v47, 1, v9
	v_and_b32_e32 v46, 1, v8
	v_and_b32_e32 v45, 1, v7
	v_and_b32_e32 v44, 1, v6
	v_and_b32_e32 v43, 1, v5
	v_and_b32_e32 v42, 1, v4
	v_and_b32_e32 v40, 1, v3
	v_and_b32_e32 v23, 1, v2
	s_cbranch_execz .LBB928_41
	s_branch .LBB928_42
.LBB928_40:
                                        ; implicit-def: $vgpr23
                                        ; implicit-def: $vgpr40
                                        ; implicit-def: $vgpr42
                                        ; implicit-def: $vgpr43
                                        ; implicit-def: $vgpr44
                                        ; implicit-def: $vgpr45
                                        ; implicit-def: $vgpr46
                                        ; implicit-def: $vgpr47
                                        ; implicit-def: $vgpr48
                                        ; implicit-def: $vgpr54
                                        ; implicit-def: $vgpr53
                                        ; implicit-def: $vgpr52
                                        ; implicit-def: $vgpr51
                                        ; implicit-def: $vgpr50
                                        ; implicit-def: $vgpr49
.LBB928_41:
	v_add_u32_e32 v48, 1, v41
	v_cmp_gt_u32_e32 vcc, s33, v41
	v_add_u32_e32 v17, 2, v41
	v_add_u32_e32 v47, 3, v41
	v_cndmask_b32_e64 v49, 0, 1, vcc
	v_cmp_gt_u32_e32 vcc, s33, v48
	v_and_b32_e32 v54, v49, v16
	v_add_u32_e32 v23, 4, v41
	v_cndmask_b32_e64 v16, 0, 1, vcc
	v_cmp_gt_u32_e32 vcc, s33, v17
	v_and_b32_e32 v53, v16, v15
	;; [unrolled: 4-line block ×12, first 2 shown]
	s_nop 0
	v_cndmask_b32_e64 v5, 0, 1, vcc
	v_cmp_gt_u32_e32 vcc, s33, v56
	v_and_b32_e32 v42, v5, v4
	s_nop 0
	v_cndmask_b32_e64 v4, 0, 1, vcc
	v_cmp_gt_u32_e32 vcc, s33, v55
	v_and_b32_e32 v40, v4, v3
	s_nop 0
	v_cndmask_b32_e64 v3, 0, 1, vcc
	v_and_b32_e32 v23, v3, v2
.LBB928_42:
	v_and_b32_e32 v59, 0xff, v51
	v_and_b32_e32 v60, 0xff, v50
	;; [unrolled: 1-line block ×5, first 2 shown]
	v_add3_u32 v3, v60, v61, v59
	v_and_b32_e32 v55, 0xff, v54
	v_and_b32_e32 v62, 0xff, v48
	v_add3_u32 v3, v3, v58, v57
	v_and_b32_e32 v63, 0xff, v47
	v_and_b32_e32 v64, 0xff, v46
	;; [unrolled: 3-line block ×5, first 2 shown]
	v_add3_u32 v3, v3, v67, v68
	v_add3_u32 v72, v3, v69, v2
	v_mbcnt_lo_u32_b32 v2, -1, 0
	v_mbcnt_hi_u32_b32 v70, -1, v2
	v_and_b32_e32 v2, 15, v70
	v_cmp_eq_u32_e64 s[16:17], 0, v2
	v_cmp_lt_u32_e64 s[14:15], 1, v2
	v_cmp_lt_u32_e64 s[12:13], 3, v2
	;; [unrolled: 1-line block ×3, first 2 shown]
	v_and_b32_e32 v2, 16, v70
	v_cmp_eq_u32_e64 s[8:9], 0, v2
	v_or_b32_e32 v2, 63, v0
	s_cmp_lg_u32 s40, 0
	v_cmp_lt_u32_e64 s[4:5], 31, v70
	v_lshrrev_b32_e32 v71, 6, v0
	v_cmp_eq_u32_e64 s[6:7], v2, v0
	s_cbranch_scc0 .LBB928_73
; %bb.43:
	v_mov_b32_dpp v2, v72 row_shr:1 row_mask:0xf bank_mask:0xf
	v_cndmask_b32_e64 v2, v2, 0, s[16:17]
	v_add_u32_e32 v2, v2, v72
	s_nop 1
	v_mov_b32_dpp v3, v2 row_shr:2 row_mask:0xf bank_mask:0xf
	v_cndmask_b32_e64 v3, 0, v3, s[14:15]
	v_add_u32_e32 v2, v2, v3
	s_nop 1
	;; [unrolled: 4-line block ×4, first 2 shown]
	v_mov_b32_dpp v3, v2 row_bcast:15 row_mask:0xf bank_mask:0xf
	v_cndmask_b32_e64 v3, v3, 0, s[8:9]
	v_add_u32_e32 v2, v2, v3
	s_nop 1
	v_mov_b32_dpp v3, v2 row_bcast:31 row_mask:0xf bank_mask:0xf
	v_cndmask_b32_e64 v3, 0, v3, s[4:5]
	v_add_u32_e32 v2, v2, v3
	s_and_saveexec_b64 s[0:1], s[6:7]
	s_cbranch_execz .LBB928_45
; %bb.44:
	v_lshlrev_b32_e32 v3, 2, v71
	ds_write_b32 v3, v2
.LBB928_45:
	s_or_b64 exec, exec, s[0:1]
	v_cmp_gt_u32_e32 vcc, 8, v0
	s_waitcnt lgkmcnt(0)
	s_barrier
	s_and_saveexec_b64 s[0:1], vcc
	s_cbranch_execz .LBB928_47
; %bb.46:
	ds_read_b32 v3, v22
	v_and_b32_e32 v4, 7, v70
	v_cmp_ne_u32_e32 vcc, 0, v4
	s_waitcnt lgkmcnt(0)
	v_mov_b32_dpp v5, v3 row_shr:1 row_mask:0xf bank_mask:0xf
	v_cndmask_b32_e32 v5, 0, v5, vcc
	v_add_u32_e32 v3, v5, v3
	v_cmp_lt_u32_e32 vcc, 1, v4
	s_nop 0
	v_mov_b32_dpp v5, v3 row_shr:2 row_mask:0xf bank_mask:0xf
	v_cndmask_b32_e32 v5, 0, v5, vcc
	v_add_u32_e32 v3, v3, v5
	v_cmp_lt_u32_e32 vcc, 3, v4
	s_nop 0
	v_mov_b32_dpp v5, v3 row_shr:4 row_mask:0xf bank_mask:0xf
	v_cndmask_b32_e32 v4, 0, v5, vcc
	v_add_u32_e32 v3, v3, v4
	ds_write_b32 v22, v3
.LBB928_47:
	s_or_b64 exec, exec, s[0:1]
	v_cmp_gt_u32_e32 vcc, 64, v0
	v_cmp_lt_u32_e64 s[0:1], 63, v0
	s_waitcnt lgkmcnt(0)
	s_barrier
	s_waitcnt lgkmcnt(0)
                                        ; implicit-def: $vgpr12
	s_and_saveexec_b64 s[18:19], s[0:1]
	s_cbranch_execz .LBB928_49
; %bb.48:
	v_lshl_add_u32 v3, v71, 2, -4
	ds_read_b32 v12, v3
	s_waitcnt lgkmcnt(0)
	v_add_u32_e32 v2, v12, v2
.LBB928_49:
	s_or_b64 exec, exec, s[18:19]
	v_add_u32_e32 v3, -1, v70
	v_and_b32_e32 v4, 64, v70
	v_cmp_lt_i32_e64 s[0:1], v3, v4
	v_cmp_eq_u32_e64 s[18:19], 0, v70
	s_nop 0
	v_cndmask_b32_e64 v3, v3, v70, s[0:1]
	v_lshlrev_b32_e32 v3, 2, v3
	ds_bpermute_b32 v13, v3, v2
	s_and_saveexec_b64 s[0:1], vcc
	s_cbranch_execz .LBB928_72
; %bb.50:
	v_mov_b32_e32 v11, 0
	ds_read_b32 v2, v11 offset:28
	s_and_saveexec_b64 s[28:29], s[18:19]
	s_cbranch_execz .LBB928_52
; %bb.51:
	s_add_i32 s38, s40, 64
	s_mov_b32 s39, 0
	s_lshl_b64 s[38:39], s[38:39], 3
	s_add_u32 s38, s36, s38
	v_mov_b32_e32 v3, 1
	s_addc_u32 s39, s37, s39
	s_waitcnt lgkmcnt(0)
	global_store_dwordx2 v11, v[2:3], s[38:39] sc1
.LBB928_52:
	s_or_b64 exec, exec, s[28:29]
	v_xad_u32 v4, v70, -1, s40
	v_add_u32_e32 v10, 64, v4
	v_lshl_add_u64 v[6:7], v[10:11], 3, s[36:37]
	global_load_dwordx2 v[8:9], v[6:7], off sc1
	s_waitcnt vmcnt(0)
	v_cmp_eq_u16_sdwa s[38:39], v9, v11 src0_sel:BYTE_0 src1_sel:DWORD
	s_and_saveexec_b64 s[28:29], s[38:39]
	s_cbranch_execz .LBB928_58
; %bb.53:
	s_mov_b32 s41, 1
	s_mov_b64 s[38:39], 0
	v_mov_b32_e32 v3, 0
.LBB928_54:                             ; =>This Loop Header: Depth=1
                                        ;     Child Loop BB928_55 Depth 2
	s_max_u32 s42, s41, 1
.LBB928_55:                             ;   Parent Loop BB928_54 Depth=1
                                        ; =>  This Inner Loop Header: Depth=2
	s_add_i32 s42, s42, -1
	s_cmp_eq_u32 s42, 0
	s_sleep 1
	s_cbranch_scc0 .LBB928_55
; %bb.56:                               ;   in Loop: Header=BB928_54 Depth=1
	global_load_dwordx2 v[8:9], v[6:7], off sc1
	s_cmp_lt_u32 s41, 32
	s_cselect_b64 s[42:43], -1, 0
	s_cmp_lg_u64 s[42:43], 0
	s_addc_u32 s41, s41, 0
	s_waitcnt vmcnt(0)
	v_cmp_ne_u16_sdwa s[42:43], v9, v3 src0_sel:BYTE_0 src1_sel:DWORD
	s_or_b64 s[38:39], s[42:43], s[38:39]
	s_andn2_b64 exec, exec, s[38:39]
	s_cbranch_execnz .LBB928_54
; %bb.57:
	s_or_b64 exec, exec, s[38:39]
.LBB928_58:
	s_or_b64 exec, exec, s[28:29]
	v_and_b32_e32 v15, 63, v70
	v_mov_b32_e32 v14, 2
	v_cmp_ne_u32_e32 vcc, 63, v15
	v_cmp_eq_u16_sdwa s[28:29], v9, v14 src0_sel:BYTE_0 src1_sel:DWORD
	v_lshlrev_b64 v[6:7], v70, -1
	v_addc_co_u32_e32 v10, vcc, 0, v70, vcc
	v_and_b32_e32 v3, s29, v7
	v_lshlrev_b32_e32 v16, 2, v10
	v_or_b32_e32 v3, 0x80000000, v3
	ds_bpermute_b32 v10, v16, v8
	v_and_b32_e32 v5, s28, v6
	v_ffbl_b32_e32 v3, v3
	v_add_u32_e32 v3, 32, v3
	v_ffbl_b32_e32 v5, v5
	v_min_u32_e32 v3, v5, v3
	v_cmp_lt_u32_e32 vcc, v15, v3
	v_add_u32_e32 v24, 2, v15
	v_add_u32_e32 v56, 4, v15
	s_waitcnt lgkmcnt(0)
	v_cndmask_b32_e32 v5, 0, v10, vcc
	v_cmp_gt_u32_e32 vcc, 62, v15
	v_add_u32_e32 v5, v5, v8
	v_add_u32_e32 v74, 8, v15
	v_cndmask_b32_e64 v8, 0, 1, vcc
	v_lshlrev_b32_e32 v8, 1, v8
	v_add_lshl_u32 v17, v8, v70, 2
	ds_bpermute_b32 v8, v17, v5
	v_cmp_le_u32_e32 vcc, v24, v3
	v_add_u32_e32 v76, 16, v15
	v_add_u32_e32 v78, 32, v15
	s_waitcnt lgkmcnt(0)
	v_cndmask_b32_e32 v8, 0, v8, vcc
	v_cmp_gt_u32_e32 vcc, 60, v15
	v_add_u32_e32 v5, v5, v8
	s_nop 0
	v_cndmask_b32_e64 v8, 0, 1, vcc
	v_lshlrev_b32_e32 v8, 2, v8
	v_add_lshl_u32 v25, v8, v70, 2
	ds_bpermute_b32 v8, v25, v5
	v_cmp_le_u32_e32 vcc, v56, v3
	s_waitcnt lgkmcnt(0)
	s_nop 0
	v_cndmask_b32_e32 v8, 0, v8, vcc
	v_cmp_gt_u32_e32 vcc, 56, v15
	v_add_u32_e32 v5, v5, v8
	s_nop 0
	v_cndmask_b32_e64 v8, 0, 1, vcc
	v_lshlrev_b32_e32 v8, 3, v8
	v_add_lshl_u32 v73, v8, v70, 2
	ds_bpermute_b32 v8, v73, v5
	v_cmp_le_u32_e32 vcc, v74, v3
	s_waitcnt lgkmcnt(0)
	s_nop 0
	;; [unrolled: 11-line block ×4, first 2 shown]
	v_cndmask_b32_e32 v3, 0, v8, vcc
	v_add_u32_e32 v8, v5, v3
	v_mov_b32_e32 v5, 0
	s_branch .LBB928_60
.LBB928_59:                             ;   in Loop: Header=BB928_60 Depth=1
	s_or_b64 exec, exec, s[28:29]
	v_cmp_eq_u16_sdwa s[28:29], v9, v14 src0_sel:BYTE_0 src1_sel:DWORD
	ds_bpermute_b32 v79, v16, v8
	v_subrev_u32_e32 v4, 64, v4
	v_and_b32_e32 v10, s29, v7
	v_or_b32_e32 v10, 0x80000000, v10
	v_and_b32_e32 v11, s28, v6
	v_ffbl_b32_e32 v10, v10
	v_add_u32_e32 v10, 32, v10
	v_ffbl_b32_e32 v11, v11
	v_min_u32_e32 v10, v11, v10
	v_cmp_lt_u32_e32 vcc, v15, v10
	s_waitcnt lgkmcnt(0)
	s_nop 0
	v_cndmask_b32_e32 v11, 0, v79, vcc
	v_add_u32_e32 v8, v11, v8
	ds_bpermute_b32 v11, v17, v8
	v_cmp_le_u32_e32 vcc, v24, v10
	s_waitcnt lgkmcnt(0)
	s_nop 0
	v_cndmask_b32_e32 v11, 0, v11, vcc
	v_add_u32_e32 v8, v8, v11
	ds_bpermute_b32 v11, v25, v8
	v_cmp_le_u32_e32 vcc, v56, v10
	;; [unrolled: 6-line block ×5, first 2 shown]
	s_waitcnt lgkmcnt(0)
	s_nop 0
	v_cndmask_b32_e32 v10, 0, v11, vcc
	v_add3_u32 v8, v10, v3, v8
.LBB928_60:                             ; =>This Loop Header: Depth=1
                                        ;     Child Loop BB928_63 Depth 2
                                        ;       Child Loop BB928_64 Depth 3
	v_cmp_ne_u16_sdwa s[28:29], v9, v14 src0_sel:BYTE_0 src1_sel:DWORD
	s_nop 1
	v_cndmask_b32_e64 v3, 0, 1, s[28:29]
	;;#ASMSTART
	;;#ASMEND
	s_nop 0
	v_cmp_ne_u32_e32 vcc, 0, v3
	s_cmp_lg_u64 vcc, exec
	v_mov_b32_e32 v3, v8
	s_cbranch_scc1 .LBB928_67
; %bb.61:                               ;   in Loop: Header=BB928_60 Depth=1
	v_lshl_add_u64 v[10:11], v[4:5], 3, s[36:37]
	global_load_dwordx2 v[8:9], v[10:11], off sc1
	s_waitcnt vmcnt(0)
	v_cmp_eq_u16_sdwa s[38:39], v9, v5 src0_sel:BYTE_0 src1_sel:DWORD
	s_and_saveexec_b64 s[28:29], s[38:39]
	s_cbranch_execz .LBB928_59
; %bb.62:                               ;   in Loop: Header=BB928_60 Depth=1
	s_mov_b32 s41, 1
	s_mov_b64 s[38:39], 0
.LBB928_63:                             ;   Parent Loop BB928_60 Depth=1
                                        ; =>  This Loop Header: Depth=2
                                        ;       Child Loop BB928_64 Depth 3
	s_max_u32 s42, s41, 1
.LBB928_64:                             ;   Parent Loop BB928_60 Depth=1
                                        ;     Parent Loop BB928_63 Depth=2
                                        ; =>    This Inner Loop Header: Depth=3
	s_add_i32 s42, s42, -1
	s_cmp_eq_u32 s42, 0
	s_sleep 1
	s_cbranch_scc0 .LBB928_64
; %bb.65:                               ;   in Loop: Header=BB928_63 Depth=2
	global_load_dwordx2 v[8:9], v[10:11], off sc1
	s_cmp_lt_u32 s41, 32
	s_cselect_b64 s[42:43], -1, 0
	s_cmp_lg_u64 s[42:43], 0
	s_addc_u32 s41, s41, 0
	s_waitcnt vmcnt(0)
	v_cmp_ne_u16_sdwa s[42:43], v9, v5 src0_sel:BYTE_0 src1_sel:DWORD
	s_or_b64 s[38:39], s[42:43], s[38:39]
	s_andn2_b64 exec, exec, s[38:39]
	s_cbranch_execnz .LBB928_63
; %bb.66:                               ;   in Loop: Header=BB928_60 Depth=1
	s_or_b64 exec, exec, s[38:39]
	s_branch .LBB928_59
.LBB928_67:                             ;   in Loop: Header=BB928_60 Depth=1
                                        ; implicit-def: $vgpr8
                                        ; implicit-def: $vgpr9
	s_cbranch_execz .LBB928_60
; %bb.68:
	s_and_saveexec_b64 s[28:29], s[18:19]
	s_cbranch_execz .LBB928_70
; %bb.69:
	s_add_i32 s38, s40, 64
	s_mov_b32 s39, 0
	s_lshl_b64 s[38:39], s[38:39], 3
	s_add_u32 s38, s36, s38
	v_add_u32_e32 v4, v3, v2
	v_mov_b32_e32 v5, 2
	s_addc_u32 s39, s37, s39
	v_mov_b32_e32 v6, 0
	global_store_dwordx2 v6, v[4:5], s[38:39] sc1
	ds_write_b64 v6, v[2:3] offset:30720
.LBB928_70:
	s_or_b64 exec, exec, s[28:29]
	s_and_b64 exec, exec, s[20:21]
	s_cbranch_execz .LBB928_72
; %bb.71:
	v_mov_b32_e32 v2, 0
	ds_write_b32 v2, v3 offset:28
.LBB928_72:
	s_or_b64 exec, exec, s[0:1]
	v_mov_b32_e32 v14, 0
	s_waitcnt lgkmcnt(0)
	s_barrier
	ds_read_b32 v2, v14 offset:28
	v_cndmask_b32_e64 v3, v13, v12, s[18:19]
	v_cndmask_b32_e64 v3, v3, 0, s[20:21]
	s_waitcnt lgkmcnt(0)
	s_barrier
	v_add_u32_e32 v2, v2, v3
	v_add_u32_e32 v3, v2, v55
	;; [unrolled: 1-line block ×10, first 2 shown]
	ds_read_b64 v[24:25], v14 offset:30720
	v_add_u32_e32 v12, v11, v65
	v_add_u32_e32 v13, v12, v66
	;; [unrolled: 1-line block ×5, first 2 shown]
	s_waitcnt lgkmcnt(0)
	v_mov_b32_e32 v56, v25
	s_branch .LBB928_83
.LBB928_73:
                                        ; implicit-def: $vgpr56
                                        ; implicit-def: $vgpr24
                                        ; implicit-def: $vgpr2_vgpr3_vgpr4_vgpr5_vgpr6_vgpr7_vgpr8_vgpr9_vgpr10_vgpr11_vgpr12_vgpr13_vgpr14_vgpr15_vgpr16_vgpr17
	s_cbranch_execz .LBB928_83
; %bb.74:
	s_nop 0
	v_mov_b32_dpp v2, v72 row_shr:1 row_mask:0xf bank_mask:0xf
	v_cndmask_b32_e64 v2, v2, 0, s[16:17]
	v_add_u32_e32 v2, v2, v72
	s_nop 1
	v_mov_b32_dpp v3, v2 row_shr:2 row_mask:0xf bank_mask:0xf
	v_cndmask_b32_e64 v3, 0, v3, s[14:15]
	v_add_u32_e32 v2, v2, v3
	;; [unrolled: 4-line block ×4, first 2 shown]
	s_nop 1
	v_mov_b32_dpp v3, v2 row_bcast:15 row_mask:0xf bank_mask:0xf
	v_cndmask_b32_e64 v3, v3, 0, s[8:9]
	v_add_u32_e32 v2, v2, v3
	s_nop 1
	v_mov_b32_dpp v3, v2 row_bcast:31 row_mask:0xf bank_mask:0xf
	v_cndmask_b32_e64 v3, 0, v3, s[4:5]
	v_add_u32_e32 v2, v2, v3
	s_and_saveexec_b64 s[0:1], s[6:7]
	s_cbranch_execz .LBB928_76
; %bb.75:
	v_lshlrev_b32_e32 v3, 2, v71
	ds_write_b32 v3, v2
.LBB928_76:
	s_or_b64 exec, exec, s[0:1]
	v_cmp_gt_u32_e32 vcc, 8, v0
	s_waitcnt lgkmcnt(0)
	s_barrier
	s_and_saveexec_b64 s[0:1], vcc
	s_cbranch_execz .LBB928_78
; %bb.77:
	ds_read_b32 v3, v22
	v_and_b32_e32 v4, 7, v70
	v_cmp_ne_u32_e32 vcc, 0, v4
	s_waitcnt lgkmcnt(0)
	v_mov_b32_dpp v5, v3 row_shr:1 row_mask:0xf bank_mask:0xf
	v_cndmask_b32_e32 v5, 0, v5, vcc
	v_add_u32_e32 v3, v5, v3
	v_cmp_lt_u32_e32 vcc, 1, v4
	s_nop 0
	v_mov_b32_dpp v5, v3 row_shr:2 row_mask:0xf bank_mask:0xf
	v_cndmask_b32_e32 v5, 0, v5, vcc
	v_add_u32_e32 v3, v3, v5
	v_cmp_lt_u32_e32 vcc, 3, v4
	s_nop 0
	v_mov_b32_dpp v5, v3 row_shr:4 row_mask:0xf bank_mask:0xf
	v_cndmask_b32_e32 v4, 0, v5, vcc
	v_add_u32_e32 v3, v3, v4
	ds_write_b32 v22, v3
.LBB928_78:
	s_or_b64 exec, exec, s[0:1]
	v_cmp_lt_u32_e32 vcc, 63, v0
	v_mov_b32_e32 v4, 0
	v_mov_b32_e32 v3, 0
	s_waitcnt lgkmcnt(0)
	s_barrier
	s_and_saveexec_b64 s[0:1], vcc
	s_cbranch_execz .LBB928_80
; %bb.79:
	v_lshl_add_u32 v3, v71, 2, -4
	ds_read_b32 v3, v3
.LBB928_80:
	s_or_b64 exec, exec, s[0:1]
	v_add_u32_e32 v5, -1, v70
	v_and_b32_e32 v6, 64, v70
	v_cmp_lt_i32_e32 vcc, v5, v6
	s_waitcnt lgkmcnt(0)
	v_add_u32_e32 v2, v3, v2
	ds_read_b32 v24, v4 offset:28
	v_cndmask_b32_e32 v5, v5, v70, vcc
	v_lshlrev_b32_e32 v5, 2, v5
	ds_bpermute_b32 v2, v5, v2
	s_and_saveexec_b64 s[0:1], s[20:21]
	s_cbranch_execz .LBB928_82
; %bb.81:
	v_mov_b32_e32 v4, 0
	v_mov_b32_e32 v25, 2
	s_waitcnt lgkmcnt(1)
	global_store_dwordx2 v4, v[24:25], s[36:37] offset:512 sc1
.LBB928_82:
	s_or_b64 exec, exec, s[0:1]
	v_cmp_eq_u32_e32 vcc, 0, v70
	v_mov_b32_e32 v56, 0
	s_waitcnt lgkmcnt(0)
	v_cndmask_b32_e32 v2, v2, v3, vcc
	v_cndmask_b32_e64 v2, v2, 0, s[20:21]
	v_add_u32_e32 v3, v2, v55
	v_add_u32_e32 v4, v3, v57
	;; [unrolled: 1-line block ×14, first 2 shown]
	s_barrier
.LBB928_83:
	v_add_u32_e32 v17, v24, v41
	v_sub_u32_e32 v2, v2, v56
	v_and_b32_e32 v41, 1, v54
	v_sub_u32_e32 v25, v17, v2
	v_cmp_eq_u32_e32 vcc, 1, v41
	v_or_b32_e32 v54, 0x200, v0
	s_nop 0
	v_cndmask_b32_e32 v2, v25, v2, vcc
	v_lshlrev_b32_e32 v2, 2, v2
	ds_write_b32 v2, v38
	v_sub_u32_e32 v2, v3, v56
	v_sub_u32_e32 v3, v17, v2
	v_and_b32_e32 v25, 1, v53
	v_add_u32_e32 v3, 1, v3
	v_cmp_eq_u32_e32 vcc, 1, v25
	v_or_b32_e32 v38, 0xc00, v0
	s_nop 0
	v_cndmask_b32_e32 v2, v3, v2, vcc
	v_lshlrev_b32_e32 v2, 2, v2
	ds_write_b32 v2, v39
	v_sub_u32_e32 v2, v4, v56
	v_sub_u32_e32 v3, v17, v2
	v_and_b32_e32 v4, 1, v52
	v_add_u32_e32 v3, 2, v3
	v_cmp_eq_u32_e32 vcc, 1, v4
	v_and_b32_e32 v4, 1, v51
	s_nop 0
	v_cndmask_b32_e32 v2, v3, v2, vcc
	v_lshlrev_b32_e32 v2, 2, v2
	ds_write_b32 v2, v36
	v_sub_u32_e32 v2, v5, v56
	v_sub_u32_e32 v3, v17, v2
	v_add_u32_e32 v3, 3, v3
	v_cmp_eq_u32_e32 vcc, 1, v4
	v_and_b32_e32 v4, 1, v50
	v_or_b32_e32 v50, 0x400, v0
	v_cndmask_b32_e32 v2, v3, v2, vcc
	v_lshlrev_b32_e32 v2, 2, v2
	ds_write_b32 v2, v37
	v_sub_u32_e32 v2, v6, v56
	v_sub_u32_e32 v3, v17, v2
	v_add_u32_e32 v3, 4, v3
	v_cmp_eq_u32_e32 vcc, 1, v4
	v_and_b32_e32 v4, 1, v49
	v_or_b32_e32 v36, 0xe00, v0
	v_cndmask_b32_e32 v2, v3, v2, vcc
	v_lshlrev_b32_e32 v2, 2, v2
	ds_write_b32 v2, v34
	v_sub_u32_e32 v2, v7, v56
	v_sub_u32_e32 v3, v17, v2
	v_add_u32_e32 v3, 5, v3
	v_cmp_eq_u32_e32 vcc, 1, v4
	v_and_b32_e32 v4, 1, v48
	v_lshl_add_u64 v[6:7], s[30:31], 0, v[18:19]
	v_cndmask_b32_e32 v2, v3, v2, vcc
	v_lshlrev_b32_e32 v2, 2, v2
	ds_write_b32 v2, v35
	v_sub_u32_e32 v2, v8, v56
	v_sub_u32_e32 v3, v17, v2
	v_add_u32_e32 v3, 6, v3
	v_cmp_eq_u32_e32 vcc, 1, v4
	v_and_b32_e32 v4, 1, v47
	v_mov_b32_e32 v18, s35
	v_cndmask_b32_e32 v2, v3, v2, vcc
	v_lshlrev_b32_e32 v2, 2, v2
	ds_write_b32 v2, v32
	v_sub_u32_e32 v2, v9, v56
	v_sub_u32_e32 v3, v17, v2
	v_add_u32_e32 v3, 7, v3
	v_cmp_eq_u32_e32 vcc, 1, v4
	v_and_b32_e32 v4, 1, v46
	v_or_b32_e32 v48, 0x600, v0
	v_cndmask_b32_e32 v2, v3, v2, vcc
	v_lshlrev_b32_e32 v2, 2, v2
	ds_write_b32 v2, v33
	v_sub_u32_e32 v2, v10, v56
	v_sub_u32_e32 v3, v17, v2
	v_add_u32_e32 v3, 8, v3
	v_cmp_eq_u32_e32 vcc, 1, v4
	v_and_b32_e32 v4, 1, v45
	v_or_b32_e32 v32, 0x1000, v0
	;; [unrolled: 9-line block ×7, first 2 shown]
	v_cndmask_b32_e32 v2, v3, v2, vcc
	v_lshlrev_b32_e32 v2, 2, v2
	ds_write_b32 v2, v27
	v_sub_u32_e32 v2, v16, v56
	v_sub_u32_e32 v3, v17, v2
	v_add_u32_e32 v3, 14, v3
	v_cmp_eq_u32_e32 vcc, 1, v4
	v_or_b32_e32 v16, 0x1600, v0
	v_or_b32_e32 v10, 0x1a00, v0
	v_cndmask_b32_e32 v2, v3, v2, vcc
	v_lshlrev_b32_e32 v2, 2, v2
	ds_write_b32 v2, v1
	s_waitcnt lgkmcnt(0)
	s_barrier
	ds_read2st64_b32 v[52:53], v22 offset1:8
	ds_read2st64_b32 v[46:47], v22 offset0:16 offset1:24
	ds_read2st64_b32 v[40:41], v22 offset0:32 offset1:40
	ds_read2st64_b32 v[34:35], v22 offset0:48 offset1:56
	ds_read2st64_b32 v[28:29], v22 offset0:64 offset1:72
	ds_read2st64_b32 v[14:15], v22 offset0:80 offset1:88
	ds_read2st64_b32 v[8:9], v22 offset0:96 offset1:104
	ds_read_b32 v22, v22 offset:28672
	v_mov_b32_e32 v1, 0
	v_sub_co_u32_e32 v6, vcc, s34, v6
	v_mov_b32_e32 v57, v1
	v_mov_b32_e32 v25, v1
	v_subb_co_u32_e32 v7, vcc, v18, v7, vcc
	s_waitcnt vmcnt(0)
	v_lshl_add_u64 v[2:3], v[20:21], 0, v[56:57]
	v_lshl_add_u64 v[6:7], v[6:7], 0, v[24:25]
	v_mov_b32_e32 v55, v1
	v_mov_b32_e32 v51, v1
	;; [unrolled: 1-line block ×13, first 2 shown]
	v_or_b32_e32 v4, 0x1c00, v0
	v_mov_b32_e32 v5, v1
	s_and_b64 vcc, exec, s[2:3]
	v_lshl_add_u64 v[6:7], v[6:7], 0, v[2:3]
	s_cbranch_vccnz .LBB928_148
; %bb.84:
	v_cmp_ge_u32_e32 vcc, v0, v24
                                        ; implicit-def: $vgpr18_vgpr19
	s_and_saveexec_b64 s[0:1], vcc
	s_xor_b64 s[0:1], exec, s[0:1]
; %bb.85:
	v_not_b32_e32 v18, v0
	v_ashrrev_i32_e32 v19, 31, v18
	v_lshl_add_u64 v[18:19], v[6:7], 0, v[18:19]
; %bb.86:
	s_andn2_saveexec_b64 s[0:1], s[0:1]
; %bb.87:
	v_lshl_add_u64 v[18:19], v[2:3], 0, v[0:1]
; %bb.88:
	s_or_b64 exec, exec, s[0:1]
	v_lshl_add_u64 v[18:19], v[18:19], 2, s[22:23]
	v_cmp_ge_u32_e32 vcc, v54, v24
	s_waitcnt lgkmcnt(7)
	global_store_dword v[18:19], v52, off
                                        ; implicit-def: $vgpr18_vgpr19
	s_and_saveexec_b64 s[0:1], vcc
	s_xor_b64 s[0:1], exec, s[0:1]
; %bb.89:
	v_xor_b32_e32 v18, 0xfffffdff, v0
	v_ashrrev_i32_e32 v19, 31, v18
	v_lshl_add_u64 v[18:19], v[6:7], 0, v[18:19]
; %bb.90:
	s_andn2_saveexec_b64 s[0:1], s[0:1]
; %bb.91:
	v_lshl_add_u64 v[18:19], v[2:3], 0, v[54:55]
; %bb.92:
	s_or_b64 exec, exec, s[0:1]
	v_lshl_add_u64 v[18:19], v[18:19], 2, s[22:23]
	v_cmp_ge_u32_e32 vcc, v50, v24
	global_store_dword v[18:19], v53, off
                                        ; implicit-def: $vgpr18_vgpr19
	s_and_saveexec_b64 s[0:1], vcc
	s_xor_b64 s[0:1], exec, s[0:1]
; %bb.93:
	v_xor_b32_e32 v18, 0xfffffbff, v0
	v_ashrrev_i32_e32 v19, 31, v18
	v_lshl_add_u64 v[18:19], v[6:7], 0, v[18:19]
; %bb.94:
	s_andn2_saveexec_b64 s[0:1], s[0:1]
; %bb.95:
	v_lshl_add_u64 v[18:19], v[2:3], 0, v[50:51]
; %bb.96:
	s_or_b64 exec, exec, s[0:1]
	v_lshl_add_u64 v[18:19], v[18:19], 2, s[22:23]
	v_cmp_ge_u32_e32 vcc, v48, v24
	s_waitcnt lgkmcnt(6)
	global_store_dword v[18:19], v46, off
                                        ; implicit-def: $vgpr18_vgpr19
	s_and_saveexec_b64 s[0:1], vcc
	s_xor_b64 s[0:1], exec, s[0:1]
; %bb.97:
	v_xor_b32_e32 v18, 0xfffff9ff, v0
	v_ashrrev_i32_e32 v19, 31, v18
	v_lshl_add_u64 v[18:19], v[6:7], 0, v[18:19]
; %bb.98:
	s_andn2_saveexec_b64 s[0:1], s[0:1]
; %bb.99:
	v_lshl_add_u64 v[18:19], v[2:3], 0, v[48:49]
; %bb.100:
	s_or_b64 exec, exec, s[0:1]
	v_lshl_add_u64 v[18:19], v[18:19], 2, s[22:23]
	v_cmp_ge_u32_e32 vcc, v44, v24
	global_store_dword v[18:19], v47, off
                                        ; implicit-def: $vgpr18_vgpr19
	s_and_saveexec_b64 s[0:1], vcc
	s_xor_b64 s[0:1], exec, s[0:1]
; %bb.101:
	v_xor_b32_e32 v18, 0xfffff7ff, v0
	;; [unrolled: 33-line block ×7, first 2 shown]
	v_ashrrev_i32_e32 v19, 31, v18
	v_lshl_add_u64 v[18:19], v[6:7], 0, v[18:19]
; %bb.142:
	s_andn2_saveexec_b64 s[0:1], s[0:1]
; %bb.143:
	v_lshl_add_u64 v[18:19], v[2:3], 0, v[4:5]
; %bb.144:
	s_or_b64 exec, exec, s[0:1]
	s_mov_b64 s[0:1], -1
.LBB928_145:
	s_and_saveexec_b64 s[2:3], s[0:1]
	s_cbranch_execz .LBB928_240
.LBB928_146:
	v_lshl_add_u64 v[0:1], v[18:19], 2, s[22:23]
	s_waitcnt lgkmcnt(0)
	global_store_dword v[0:1], v22, off
	s_or_b64 exec, exec, s[2:3]
	s_and_b64 s[0:1], s[20:21], s[26:27]
	s_and_saveexec_b64 s[2:3], s[0:1]
	s_cbranch_execnz .LBB928_241
.LBB928_147:
	s_endpgm
.LBB928_148:
	s_mov_b64 s[0:1], 0
                                        ; implicit-def: $vgpr18_vgpr19
	s_cbranch_execz .LBB928_145
; %bb.149:
	v_cmp_gt_u32_e32 vcc, s33, v0
	s_and_saveexec_b64 s[2:3], vcc
	s_cbranch_execz .LBB928_191
; %bb.150:
	v_cmp_ge_u32_e32 vcc, v0, v24
                                        ; implicit-def: $vgpr18_vgpr19
	s_and_saveexec_b64 s[4:5], vcc
	s_xor_b64 s[4:5], exec, s[4:5]
; %bb.151:
	v_not_b32_e32 v18, v0
	v_ashrrev_i32_e32 v19, 31, v18
	v_lshl_add_u64 v[18:19], v[6:7], 0, v[18:19]
; %bb.152:
	s_andn2_saveexec_b64 s[4:5], s[4:5]
; %bb.153:
	v_lshl_add_u64 v[18:19], v[2:3], 0, v[0:1]
; %bb.154:
	s_or_b64 exec, exec, s[4:5]
	v_lshl_add_u64 v[18:19], v[18:19], 2, s[22:23]
	s_waitcnt lgkmcnt(7)
	global_store_dword v[18:19], v52, off
	s_or_b64 exec, exec, s[2:3]
	v_cmp_gt_u32_e32 vcc, s33, v54
	s_and_saveexec_b64 s[2:3], vcc
	s_cbranch_execnz .LBB928_192
.LBB928_155:
	s_or_b64 exec, exec, s[2:3]
	v_cmp_gt_u32_e32 vcc, s33, v50
	s_and_saveexec_b64 s[2:3], vcc
	s_cbranch_execz .LBB928_197
.LBB928_156:
	v_cmp_ge_u32_e32 vcc, v50, v24
                                        ; implicit-def: $vgpr18_vgpr19
	s_and_saveexec_b64 s[4:5], vcc
	s_xor_b64 s[4:5], exec, s[4:5]
; %bb.157:
	v_xor_b32_e32 v18, 0xfffffbff, v0
	v_ashrrev_i32_e32 v19, 31, v18
	v_lshl_add_u64 v[18:19], v[6:7], 0, v[18:19]
                                        ; implicit-def: $vgpr50_vgpr51
; %bb.158:
	s_andn2_saveexec_b64 s[4:5], s[4:5]
; %bb.159:
	v_lshl_add_u64 v[18:19], v[2:3], 0, v[50:51]
; %bb.160:
	s_or_b64 exec, exec, s[4:5]
	v_lshl_add_u64 v[18:19], v[18:19], 2, s[22:23]
	s_waitcnt lgkmcnt(6)
	global_store_dword v[18:19], v46, off
	s_or_b64 exec, exec, s[2:3]
	v_cmp_gt_u32_e32 vcc, s33, v48
	s_and_saveexec_b64 s[2:3], vcc
	s_cbranch_execnz .LBB928_198
.LBB928_161:
	s_or_b64 exec, exec, s[2:3]
	v_cmp_gt_u32_e32 vcc, s33, v44
	s_and_saveexec_b64 s[2:3], vcc
	s_cbranch_execz .LBB928_203
.LBB928_162:
	v_cmp_ge_u32_e32 vcc, v44, v24
                                        ; implicit-def: $vgpr18_vgpr19
	s_and_saveexec_b64 s[4:5], vcc
	s_xor_b64 s[4:5], exec, s[4:5]
; %bb.163:
	v_xor_b32_e32 v18, 0xfffff7ff, v0
	v_ashrrev_i32_e32 v19, 31, v18
	v_lshl_add_u64 v[18:19], v[6:7], 0, v[18:19]
                                        ; implicit-def: $vgpr44_vgpr45
; %bb.164:
	s_andn2_saveexec_b64 s[4:5], s[4:5]
; %bb.165:
	v_lshl_add_u64 v[18:19], v[2:3], 0, v[44:45]
; %bb.166:
	s_or_b64 exec, exec, s[4:5]
	v_lshl_add_u64 v[18:19], v[18:19], 2, s[22:23]
	s_waitcnt lgkmcnt(5)
	global_store_dword v[18:19], v40, off
	s_or_b64 exec, exec, s[2:3]
	v_cmp_gt_u32_e32 vcc, s33, v42
	s_and_saveexec_b64 s[2:3], vcc
	s_cbranch_execnz .LBB928_204
.LBB928_167:
	s_or_b64 exec, exec, s[2:3]
	v_cmp_gt_u32_e32 vcc, s33, v38
	s_and_saveexec_b64 s[2:3], vcc
	s_cbranch_execz .LBB928_209
.LBB928_168:
	v_cmp_ge_u32_e32 vcc, v38, v24
                                        ; implicit-def: $vgpr18_vgpr19
	s_and_saveexec_b64 s[4:5], vcc
	s_xor_b64 s[4:5], exec, s[4:5]
; %bb.169:
	v_xor_b32_e32 v18, 0xfffff3ff, v0
	v_ashrrev_i32_e32 v19, 31, v18
	v_lshl_add_u64 v[18:19], v[6:7], 0, v[18:19]
                                        ; implicit-def: $vgpr38_vgpr39
; %bb.170:
	s_andn2_saveexec_b64 s[4:5], s[4:5]
; %bb.171:
	v_lshl_add_u64 v[18:19], v[2:3], 0, v[38:39]
; %bb.172:
	s_or_b64 exec, exec, s[4:5]
	v_lshl_add_u64 v[18:19], v[18:19], 2, s[22:23]
	s_waitcnt lgkmcnt(4)
	global_store_dword v[18:19], v34, off
	s_or_b64 exec, exec, s[2:3]
	v_cmp_gt_u32_e32 vcc, s33, v36
	s_and_saveexec_b64 s[2:3], vcc
	s_cbranch_execnz .LBB928_210
.LBB928_173:
	s_or_b64 exec, exec, s[2:3]
	v_cmp_gt_u32_e32 vcc, s33, v32
	s_and_saveexec_b64 s[2:3], vcc
	s_cbranch_execz .LBB928_215
.LBB928_174:
	v_cmp_ge_u32_e32 vcc, v32, v24
                                        ; implicit-def: $vgpr18_vgpr19
	s_and_saveexec_b64 s[4:5], vcc
	s_xor_b64 s[4:5], exec, s[4:5]
; %bb.175:
	v_xor_b32_e32 v18, 0xffffefff, v0
	v_ashrrev_i32_e32 v19, 31, v18
	v_lshl_add_u64 v[18:19], v[6:7], 0, v[18:19]
                                        ; implicit-def: $vgpr32_vgpr33
; %bb.176:
	s_andn2_saveexec_b64 s[4:5], s[4:5]
; %bb.177:
	v_lshl_add_u64 v[18:19], v[2:3], 0, v[32:33]
; %bb.178:
	s_or_b64 exec, exec, s[4:5]
	v_lshl_add_u64 v[18:19], v[18:19], 2, s[22:23]
	s_waitcnt lgkmcnt(3)
	global_store_dword v[18:19], v28, off
	s_or_b64 exec, exec, s[2:3]
	v_cmp_gt_u32_e32 vcc, s33, v30
	s_and_saveexec_b64 s[2:3], vcc
	s_cbranch_execnz .LBB928_216
.LBB928_179:
	s_or_b64 exec, exec, s[2:3]
	v_cmp_gt_u32_e32 vcc, s33, v26
	s_and_saveexec_b64 s[2:3], vcc
	s_cbranch_execz .LBB928_221
.LBB928_180:
	v_cmp_ge_u32_e32 vcc, v26, v24
                                        ; implicit-def: $vgpr18_vgpr19
	s_and_saveexec_b64 s[4:5], vcc
	s_xor_b64 s[4:5], exec, s[4:5]
; %bb.181:
	v_xor_b32_e32 v18, 0xffffebff, v0
	v_ashrrev_i32_e32 v19, 31, v18
	v_lshl_add_u64 v[18:19], v[6:7], 0, v[18:19]
                                        ; implicit-def: $vgpr26_vgpr27
; %bb.182:
	s_andn2_saveexec_b64 s[4:5], s[4:5]
; %bb.183:
	v_lshl_add_u64 v[18:19], v[2:3], 0, v[26:27]
; %bb.184:
	s_or_b64 exec, exec, s[4:5]
	v_lshl_add_u64 v[18:19], v[18:19], 2, s[22:23]
	s_waitcnt lgkmcnt(2)
	global_store_dword v[18:19], v14, off
	s_or_b64 exec, exec, s[2:3]
	v_cmp_gt_u32_e32 vcc, s33, v16
	s_and_saveexec_b64 s[2:3], vcc
	s_cbranch_execnz .LBB928_222
.LBB928_185:
	s_or_b64 exec, exec, s[2:3]
	v_cmp_gt_u32_e32 vcc, s33, v12
	s_and_saveexec_b64 s[2:3], vcc
	s_cbranch_execz .LBB928_227
.LBB928_186:
	v_cmp_ge_u32_e32 vcc, v12, v24
                                        ; implicit-def: $vgpr14_vgpr15
	s_and_saveexec_b64 s[4:5], vcc
	s_xor_b64 s[4:5], exec, s[4:5]
	s_cbranch_execz .LBB928_188
; %bb.187:
	v_xor_b32_e32 v12, 0xffffe7ff, v0
	v_ashrrev_i32_e32 v13, 31, v12
	s_waitcnt lgkmcnt(2)
	v_lshl_add_u64 v[14:15], v[6:7], 0, v[12:13]
                                        ; implicit-def: $vgpr12_vgpr13
.LBB928_188:
	s_andn2_saveexec_b64 s[4:5], s[4:5]
	s_cbranch_execz .LBB928_190
; %bb.189:
	s_waitcnt lgkmcnt(2)
	v_lshl_add_u64 v[14:15], v[2:3], 0, v[12:13]
.LBB928_190:
	s_or_b64 exec, exec, s[4:5]
	s_waitcnt lgkmcnt(2)
	v_lshl_add_u64 v[12:13], v[14:15], 2, s[22:23]
	s_waitcnt lgkmcnt(1)
	global_store_dword v[12:13], v8, off
	s_or_b64 exec, exec, s[2:3]
	v_cmp_gt_u32_e32 vcc, s33, v10
	s_and_saveexec_b64 s[2:3], vcc
	s_cbranch_execz .LBB928_233
	s_branch .LBB928_228
.LBB928_191:
	s_or_b64 exec, exec, s[2:3]
	v_cmp_gt_u32_e32 vcc, s33, v54
	s_and_saveexec_b64 s[2:3], vcc
	s_cbranch_execz .LBB928_155
.LBB928_192:
	v_cmp_ge_u32_e32 vcc, v54, v24
                                        ; implicit-def: $vgpr18_vgpr19
	s_and_saveexec_b64 s[4:5], vcc
	s_xor_b64 s[4:5], exec, s[4:5]
; %bb.193:
	v_xor_b32_e32 v18, 0xfffffdff, v0
	v_ashrrev_i32_e32 v19, 31, v18
	v_lshl_add_u64 v[18:19], v[6:7], 0, v[18:19]
                                        ; implicit-def: $vgpr54_vgpr55
; %bb.194:
	s_andn2_saveexec_b64 s[4:5], s[4:5]
; %bb.195:
	v_lshl_add_u64 v[18:19], v[2:3], 0, v[54:55]
; %bb.196:
	s_or_b64 exec, exec, s[4:5]
	v_lshl_add_u64 v[18:19], v[18:19], 2, s[22:23]
	s_waitcnt lgkmcnt(7)
	global_store_dword v[18:19], v53, off
	s_or_b64 exec, exec, s[2:3]
	v_cmp_gt_u32_e32 vcc, s33, v50
	s_and_saveexec_b64 s[2:3], vcc
	s_cbranch_execnz .LBB928_156
.LBB928_197:
	s_or_b64 exec, exec, s[2:3]
	v_cmp_gt_u32_e32 vcc, s33, v48
	s_and_saveexec_b64 s[2:3], vcc
	s_cbranch_execz .LBB928_161
.LBB928_198:
	v_cmp_ge_u32_e32 vcc, v48, v24
                                        ; implicit-def: $vgpr18_vgpr19
	s_and_saveexec_b64 s[4:5], vcc
	s_xor_b64 s[4:5], exec, s[4:5]
; %bb.199:
	v_xor_b32_e32 v18, 0xfffff9ff, v0
	v_ashrrev_i32_e32 v19, 31, v18
	v_lshl_add_u64 v[18:19], v[6:7], 0, v[18:19]
                                        ; implicit-def: $vgpr48_vgpr49
; %bb.200:
	s_andn2_saveexec_b64 s[4:5], s[4:5]
; %bb.201:
	v_lshl_add_u64 v[18:19], v[2:3], 0, v[48:49]
; %bb.202:
	s_or_b64 exec, exec, s[4:5]
	v_lshl_add_u64 v[18:19], v[18:19], 2, s[22:23]
	s_waitcnt lgkmcnt(6)
	global_store_dword v[18:19], v47, off
	s_or_b64 exec, exec, s[2:3]
	v_cmp_gt_u32_e32 vcc, s33, v44
	s_and_saveexec_b64 s[2:3], vcc
	s_cbranch_execnz .LBB928_162
.LBB928_203:
	s_or_b64 exec, exec, s[2:3]
	v_cmp_gt_u32_e32 vcc, s33, v42
	s_and_saveexec_b64 s[2:3], vcc
	s_cbranch_execz .LBB928_167
.LBB928_204:
	v_cmp_ge_u32_e32 vcc, v42, v24
                                        ; implicit-def: $vgpr18_vgpr19
	s_and_saveexec_b64 s[4:5], vcc
	s_xor_b64 s[4:5], exec, s[4:5]
; %bb.205:
	v_xor_b32_e32 v18, 0xfffff5ff, v0
	v_ashrrev_i32_e32 v19, 31, v18
	v_lshl_add_u64 v[18:19], v[6:7], 0, v[18:19]
                                        ; implicit-def: $vgpr42_vgpr43
; %bb.206:
	s_andn2_saveexec_b64 s[4:5], s[4:5]
; %bb.207:
	v_lshl_add_u64 v[18:19], v[2:3], 0, v[42:43]
; %bb.208:
	s_or_b64 exec, exec, s[4:5]
	v_lshl_add_u64 v[18:19], v[18:19], 2, s[22:23]
	s_waitcnt lgkmcnt(5)
	global_store_dword v[18:19], v41, off
	s_or_b64 exec, exec, s[2:3]
	v_cmp_gt_u32_e32 vcc, s33, v38
	s_and_saveexec_b64 s[2:3], vcc
	s_cbranch_execnz .LBB928_168
.LBB928_209:
	s_or_b64 exec, exec, s[2:3]
	v_cmp_gt_u32_e32 vcc, s33, v36
	s_and_saveexec_b64 s[2:3], vcc
	s_cbranch_execz .LBB928_173
.LBB928_210:
	v_cmp_ge_u32_e32 vcc, v36, v24
                                        ; implicit-def: $vgpr18_vgpr19
	s_and_saveexec_b64 s[4:5], vcc
	s_xor_b64 s[4:5], exec, s[4:5]
; %bb.211:
	v_xor_b32_e32 v18, 0xfffff1ff, v0
	v_ashrrev_i32_e32 v19, 31, v18
	v_lshl_add_u64 v[18:19], v[6:7], 0, v[18:19]
                                        ; implicit-def: $vgpr36_vgpr37
; %bb.212:
	s_andn2_saveexec_b64 s[4:5], s[4:5]
; %bb.213:
	v_lshl_add_u64 v[18:19], v[2:3], 0, v[36:37]
; %bb.214:
	s_or_b64 exec, exec, s[4:5]
	v_lshl_add_u64 v[18:19], v[18:19], 2, s[22:23]
	s_waitcnt lgkmcnt(4)
	global_store_dword v[18:19], v35, off
	s_or_b64 exec, exec, s[2:3]
	v_cmp_gt_u32_e32 vcc, s33, v32
	s_and_saveexec_b64 s[2:3], vcc
	s_cbranch_execnz .LBB928_174
.LBB928_215:
	s_or_b64 exec, exec, s[2:3]
	v_cmp_gt_u32_e32 vcc, s33, v30
	s_and_saveexec_b64 s[2:3], vcc
	s_cbranch_execz .LBB928_179
.LBB928_216:
	v_cmp_ge_u32_e32 vcc, v30, v24
                                        ; implicit-def: $vgpr18_vgpr19
	s_and_saveexec_b64 s[4:5], vcc
	s_xor_b64 s[4:5], exec, s[4:5]
; %bb.217:
	v_xor_b32_e32 v18, 0xffffedff, v0
	v_ashrrev_i32_e32 v19, 31, v18
	v_lshl_add_u64 v[18:19], v[6:7], 0, v[18:19]
                                        ; implicit-def: $vgpr30_vgpr31
; %bb.218:
	s_andn2_saveexec_b64 s[4:5], s[4:5]
; %bb.219:
	v_lshl_add_u64 v[18:19], v[2:3], 0, v[30:31]
; %bb.220:
	s_or_b64 exec, exec, s[4:5]
	v_lshl_add_u64 v[18:19], v[18:19], 2, s[22:23]
	s_waitcnt lgkmcnt(3)
	global_store_dword v[18:19], v29, off
	s_or_b64 exec, exec, s[2:3]
	v_cmp_gt_u32_e32 vcc, s33, v26
	s_and_saveexec_b64 s[2:3], vcc
	s_cbranch_execnz .LBB928_180
.LBB928_221:
	s_or_b64 exec, exec, s[2:3]
	v_cmp_gt_u32_e32 vcc, s33, v16
	s_and_saveexec_b64 s[2:3], vcc
	s_cbranch_execz .LBB928_185
.LBB928_222:
	v_cmp_ge_u32_e32 vcc, v16, v24
                                        ; implicit-def: $vgpr18_vgpr19
	s_and_saveexec_b64 s[4:5], vcc
	s_xor_b64 s[4:5], exec, s[4:5]
; %bb.223:
	v_xor_b32_e32 v16, 0xffffe9ff, v0
	v_ashrrev_i32_e32 v17, 31, v16
	v_lshl_add_u64 v[18:19], v[6:7], 0, v[16:17]
                                        ; implicit-def: $vgpr16_vgpr17
; %bb.224:
	s_andn2_saveexec_b64 s[4:5], s[4:5]
; %bb.225:
	v_lshl_add_u64 v[18:19], v[2:3], 0, v[16:17]
; %bb.226:
	s_or_b64 exec, exec, s[4:5]
	v_lshl_add_u64 v[16:17], v[18:19], 2, s[22:23]
	s_waitcnt lgkmcnt(2)
	global_store_dword v[16:17], v15, off
	s_or_b64 exec, exec, s[2:3]
	v_cmp_gt_u32_e32 vcc, s33, v12
	s_and_saveexec_b64 s[2:3], vcc
	s_cbranch_execnz .LBB928_186
.LBB928_227:
	s_or_b64 exec, exec, s[2:3]
	v_cmp_gt_u32_e32 vcc, s33, v10
	s_and_saveexec_b64 s[2:3], vcc
	s_cbranch_execz .LBB928_233
.LBB928_228:
	v_cmp_ge_u32_e32 vcc, v10, v24
                                        ; implicit-def: $vgpr12_vgpr13
	s_and_saveexec_b64 s[4:5], vcc
	s_xor_b64 s[4:5], exec, s[4:5]
; %bb.229:
	v_xor_b32_e32 v10, 0xffffe5ff, v0
	v_ashrrev_i32_e32 v11, 31, v10
	v_lshl_add_u64 v[12:13], v[6:7], 0, v[10:11]
                                        ; implicit-def: $vgpr10_vgpr11
; %bb.230:
	s_andn2_saveexec_b64 s[4:5], s[4:5]
; %bb.231:
	v_lshl_add_u64 v[12:13], v[2:3], 0, v[10:11]
; %bb.232:
	s_or_b64 exec, exec, s[4:5]
	v_lshl_add_u64 v[10:11], v[12:13], 2, s[22:23]
	s_waitcnt lgkmcnt(1)
	global_store_dword v[10:11], v9, off
.LBB928_233:
	s_or_b64 exec, exec, s[2:3]
	v_cmp_gt_u32_e32 vcc, s33, v4
                                        ; implicit-def: $vgpr18_vgpr19
	s_and_saveexec_b64 s[2:3], vcc
	s_cbranch_execz .LBB928_239
; %bb.234:
	v_cmp_ge_u32_e32 vcc, v4, v24
                                        ; implicit-def: $vgpr18_vgpr19
	s_and_saveexec_b64 s[4:5], vcc
	s_xor_b64 s[4:5], exec, s[4:5]
; %bb.235:
	v_xor_b32_e32 v0, 0xffffe3ff, v0
	v_ashrrev_i32_e32 v1, 31, v0
	v_lshl_add_u64 v[18:19], v[6:7], 0, v[0:1]
                                        ; implicit-def: $vgpr4_vgpr5
; %bb.236:
	s_andn2_saveexec_b64 s[4:5], s[4:5]
; %bb.237:
	v_lshl_add_u64 v[18:19], v[2:3], 0, v[4:5]
; %bb.238:
	s_or_b64 exec, exec, s[4:5]
	s_or_b64 s[0:1], s[0:1], exec
.LBB928_239:
	s_or_b64 exec, exec, s[2:3]
	s_and_saveexec_b64 s[2:3], s[0:1]
	s_cbranch_execnz .LBB928_146
.LBB928_240:
	s_or_b64 exec, exec, s[2:3]
	s_and_b64 s[0:1], s[20:21], s[26:27]
	s_and_saveexec_b64 s[2:3], s[0:1]
	s_cbranch_execz .LBB928_147
.LBB928_241:
	v_mov_b32_e32 v4, 0
	v_lshl_add_u64 v[0:1], v[2:3], 0, v[24:25]
	global_store_dwordx2 v4, v[0:1], s[24:25]
	s_endpgm
	.section	.rodata,"a",@progbits
	.p2align	6, 0x0
	.amdhsa_kernel _ZN7rocprim17ROCPRIM_400000_NS6detail17trampoline_kernelINS0_14default_configENS1_25partition_config_selectorILNS1_17partition_subalgoE3EjNS0_10empty_typeEbEEZZNS1_14partition_implILS5_3ELb0ES3_jN6thrust23THRUST_200600_302600_NS6detail15normal_iteratorINSA_7pointerIjNSA_11hip_rocprim3tagENSA_11use_defaultESG_EEEEPS6_SJ_NS0_5tupleIJPjSJ_EEENSK_IJSJ_SJ_EEES6_PlJ7is_evenIjEEEE10hipError_tPvRmT3_T4_T5_T6_T7_T9_mT8_P12ihipStream_tbDpT10_ENKUlT_T0_E_clISt17integral_constantIbLb1EES1A_EEDaS15_S16_EUlS15_E_NS1_11comp_targetILNS1_3genE5ELNS1_11target_archE942ELNS1_3gpuE9ELNS1_3repE0EEENS1_30default_config_static_selectorELNS0_4arch9wavefront6targetE1EEEvT1_
		.amdhsa_group_segment_fixed_size 30728
		.amdhsa_private_segment_fixed_size 0
		.amdhsa_kernarg_size 136
		.amdhsa_user_sgpr_count 2
		.amdhsa_user_sgpr_dispatch_ptr 0
		.amdhsa_user_sgpr_queue_ptr 0
		.amdhsa_user_sgpr_kernarg_segment_ptr 1
		.amdhsa_user_sgpr_dispatch_id 0
		.amdhsa_user_sgpr_kernarg_preload_length 0
		.amdhsa_user_sgpr_kernarg_preload_offset 0
		.amdhsa_user_sgpr_private_segment_size 0
		.amdhsa_uses_dynamic_stack 0
		.amdhsa_enable_private_segment 0
		.amdhsa_system_sgpr_workgroup_id_x 1
		.amdhsa_system_sgpr_workgroup_id_y 0
		.amdhsa_system_sgpr_workgroup_id_z 0
		.amdhsa_system_sgpr_workgroup_info 0
		.amdhsa_system_vgpr_workitem_id 0
		.amdhsa_next_free_vgpr 80
		.amdhsa_next_free_sgpr 44
		.amdhsa_accum_offset 80
		.amdhsa_reserve_vcc 1
		.amdhsa_float_round_mode_32 0
		.amdhsa_float_round_mode_16_64 0
		.amdhsa_float_denorm_mode_32 3
		.amdhsa_float_denorm_mode_16_64 3
		.amdhsa_dx10_clamp 1
		.amdhsa_ieee_mode 1
		.amdhsa_fp16_overflow 0
		.amdhsa_tg_split 0
		.amdhsa_exception_fp_ieee_invalid_op 0
		.amdhsa_exception_fp_denorm_src 0
		.amdhsa_exception_fp_ieee_div_zero 0
		.amdhsa_exception_fp_ieee_overflow 0
		.amdhsa_exception_fp_ieee_underflow 0
		.amdhsa_exception_fp_ieee_inexact 0
		.amdhsa_exception_int_div_zero 0
	.end_amdhsa_kernel
	.section	.text._ZN7rocprim17ROCPRIM_400000_NS6detail17trampoline_kernelINS0_14default_configENS1_25partition_config_selectorILNS1_17partition_subalgoE3EjNS0_10empty_typeEbEEZZNS1_14partition_implILS5_3ELb0ES3_jN6thrust23THRUST_200600_302600_NS6detail15normal_iteratorINSA_7pointerIjNSA_11hip_rocprim3tagENSA_11use_defaultESG_EEEEPS6_SJ_NS0_5tupleIJPjSJ_EEENSK_IJSJ_SJ_EEES6_PlJ7is_evenIjEEEE10hipError_tPvRmT3_T4_T5_T6_T7_T9_mT8_P12ihipStream_tbDpT10_ENKUlT_T0_E_clISt17integral_constantIbLb1EES1A_EEDaS15_S16_EUlS15_E_NS1_11comp_targetILNS1_3genE5ELNS1_11target_archE942ELNS1_3gpuE9ELNS1_3repE0EEENS1_30default_config_static_selectorELNS0_4arch9wavefront6targetE1EEEvT1_,"axG",@progbits,_ZN7rocprim17ROCPRIM_400000_NS6detail17trampoline_kernelINS0_14default_configENS1_25partition_config_selectorILNS1_17partition_subalgoE3EjNS0_10empty_typeEbEEZZNS1_14partition_implILS5_3ELb0ES3_jN6thrust23THRUST_200600_302600_NS6detail15normal_iteratorINSA_7pointerIjNSA_11hip_rocprim3tagENSA_11use_defaultESG_EEEEPS6_SJ_NS0_5tupleIJPjSJ_EEENSK_IJSJ_SJ_EEES6_PlJ7is_evenIjEEEE10hipError_tPvRmT3_T4_T5_T6_T7_T9_mT8_P12ihipStream_tbDpT10_ENKUlT_T0_E_clISt17integral_constantIbLb1EES1A_EEDaS15_S16_EUlS15_E_NS1_11comp_targetILNS1_3genE5ELNS1_11target_archE942ELNS1_3gpuE9ELNS1_3repE0EEENS1_30default_config_static_selectorELNS0_4arch9wavefront6targetE1EEEvT1_,comdat
.Lfunc_end928:
	.size	_ZN7rocprim17ROCPRIM_400000_NS6detail17trampoline_kernelINS0_14default_configENS1_25partition_config_selectorILNS1_17partition_subalgoE3EjNS0_10empty_typeEbEEZZNS1_14partition_implILS5_3ELb0ES3_jN6thrust23THRUST_200600_302600_NS6detail15normal_iteratorINSA_7pointerIjNSA_11hip_rocprim3tagENSA_11use_defaultESG_EEEEPS6_SJ_NS0_5tupleIJPjSJ_EEENSK_IJSJ_SJ_EEES6_PlJ7is_evenIjEEEE10hipError_tPvRmT3_T4_T5_T6_T7_T9_mT8_P12ihipStream_tbDpT10_ENKUlT_T0_E_clISt17integral_constantIbLb1EES1A_EEDaS15_S16_EUlS15_E_NS1_11comp_targetILNS1_3genE5ELNS1_11target_archE942ELNS1_3gpuE9ELNS1_3repE0EEENS1_30default_config_static_selectorELNS0_4arch9wavefront6targetE1EEEvT1_, .Lfunc_end928-_ZN7rocprim17ROCPRIM_400000_NS6detail17trampoline_kernelINS0_14default_configENS1_25partition_config_selectorILNS1_17partition_subalgoE3EjNS0_10empty_typeEbEEZZNS1_14partition_implILS5_3ELb0ES3_jN6thrust23THRUST_200600_302600_NS6detail15normal_iteratorINSA_7pointerIjNSA_11hip_rocprim3tagENSA_11use_defaultESG_EEEEPS6_SJ_NS0_5tupleIJPjSJ_EEENSK_IJSJ_SJ_EEES6_PlJ7is_evenIjEEEE10hipError_tPvRmT3_T4_T5_T6_T7_T9_mT8_P12ihipStream_tbDpT10_ENKUlT_T0_E_clISt17integral_constantIbLb1EES1A_EEDaS15_S16_EUlS15_E_NS1_11comp_targetILNS1_3genE5ELNS1_11target_archE942ELNS1_3gpuE9ELNS1_3repE0EEENS1_30default_config_static_selectorELNS0_4arch9wavefront6targetE1EEEvT1_
                                        ; -- End function
	.section	.AMDGPU.csdata,"",@progbits
; Kernel info:
; codeLenInByte = 7752
; NumSgprs: 50
; NumVgprs: 80
; NumAgprs: 0
; TotalNumVgprs: 80
; ScratchSize: 0
; MemoryBound: 0
; FloatMode: 240
; IeeeMode: 1
; LDSByteSize: 30728 bytes/workgroup (compile time only)
; SGPRBlocks: 6
; VGPRBlocks: 9
; NumSGPRsForWavesPerEU: 50
; NumVGPRsForWavesPerEU: 80
; AccumOffset: 80
; Occupancy: 4
; WaveLimiterHint : 1
; COMPUTE_PGM_RSRC2:SCRATCH_EN: 0
; COMPUTE_PGM_RSRC2:USER_SGPR: 2
; COMPUTE_PGM_RSRC2:TRAP_HANDLER: 0
; COMPUTE_PGM_RSRC2:TGID_X_EN: 1
; COMPUTE_PGM_RSRC2:TGID_Y_EN: 0
; COMPUTE_PGM_RSRC2:TGID_Z_EN: 0
; COMPUTE_PGM_RSRC2:TIDIG_COMP_CNT: 0
; COMPUTE_PGM_RSRC3_GFX90A:ACCUM_OFFSET: 19
; COMPUTE_PGM_RSRC3_GFX90A:TG_SPLIT: 0
	.section	.text._ZN7rocprim17ROCPRIM_400000_NS6detail17trampoline_kernelINS0_14default_configENS1_25partition_config_selectorILNS1_17partition_subalgoE3EjNS0_10empty_typeEbEEZZNS1_14partition_implILS5_3ELb0ES3_jN6thrust23THRUST_200600_302600_NS6detail15normal_iteratorINSA_7pointerIjNSA_11hip_rocprim3tagENSA_11use_defaultESG_EEEEPS6_SJ_NS0_5tupleIJPjSJ_EEENSK_IJSJ_SJ_EEES6_PlJ7is_evenIjEEEE10hipError_tPvRmT3_T4_T5_T6_T7_T9_mT8_P12ihipStream_tbDpT10_ENKUlT_T0_E_clISt17integral_constantIbLb1EES1A_EEDaS15_S16_EUlS15_E_NS1_11comp_targetILNS1_3genE4ELNS1_11target_archE910ELNS1_3gpuE8ELNS1_3repE0EEENS1_30default_config_static_selectorELNS0_4arch9wavefront6targetE1EEEvT1_,"axG",@progbits,_ZN7rocprim17ROCPRIM_400000_NS6detail17trampoline_kernelINS0_14default_configENS1_25partition_config_selectorILNS1_17partition_subalgoE3EjNS0_10empty_typeEbEEZZNS1_14partition_implILS5_3ELb0ES3_jN6thrust23THRUST_200600_302600_NS6detail15normal_iteratorINSA_7pointerIjNSA_11hip_rocprim3tagENSA_11use_defaultESG_EEEEPS6_SJ_NS0_5tupleIJPjSJ_EEENSK_IJSJ_SJ_EEES6_PlJ7is_evenIjEEEE10hipError_tPvRmT3_T4_T5_T6_T7_T9_mT8_P12ihipStream_tbDpT10_ENKUlT_T0_E_clISt17integral_constantIbLb1EES1A_EEDaS15_S16_EUlS15_E_NS1_11comp_targetILNS1_3genE4ELNS1_11target_archE910ELNS1_3gpuE8ELNS1_3repE0EEENS1_30default_config_static_selectorELNS0_4arch9wavefront6targetE1EEEvT1_,comdat
	.protected	_ZN7rocprim17ROCPRIM_400000_NS6detail17trampoline_kernelINS0_14default_configENS1_25partition_config_selectorILNS1_17partition_subalgoE3EjNS0_10empty_typeEbEEZZNS1_14partition_implILS5_3ELb0ES3_jN6thrust23THRUST_200600_302600_NS6detail15normal_iteratorINSA_7pointerIjNSA_11hip_rocprim3tagENSA_11use_defaultESG_EEEEPS6_SJ_NS0_5tupleIJPjSJ_EEENSK_IJSJ_SJ_EEES6_PlJ7is_evenIjEEEE10hipError_tPvRmT3_T4_T5_T6_T7_T9_mT8_P12ihipStream_tbDpT10_ENKUlT_T0_E_clISt17integral_constantIbLb1EES1A_EEDaS15_S16_EUlS15_E_NS1_11comp_targetILNS1_3genE4ELNS1_11target_archE910ELNS1_3gpuE8ELNS1_3repE0EEENS1_30default_config_static_selectorELNS0_4arch9wavefront6targetE1EEEvT1_ ; -- Begin function _ZN7rocprim17ROCPRIM_400000_NS6detail17trampoline_kernelINS0_14default_configENS1_25partition_config_selectorILNS1_17partition_subalgoE3EjNS0_10empty_typeEbEEZZNS1_14partition_implILS5_3ELb0ES3_jN6thrust23THRUST_200600_302600_NS6detail15normal_iteratorINSA_7pointerIjNSA_11hip_rocprim3tagENSA_11use_defaultESG_EEEEPS6_SJ_NS0_5tupleIJPjSJ_EEENSK_IJSJ_SJ_EEES6_PlJ7is_evenIjEEEE10hipError_tPvRmT3_T4_T5_T6_T7_T9_mT8_P12ihipStream_tbDpT10_ENKUlT_T0_E_clISt17integral_constantIbLb1EES1A_EEDaS15_S16_EUlS15_E_NS1_11comp_targetILNS1_3genE4ELNS1_11target_archE910ELNS1_3gpuE8ELNS1_3repE0EEENS1_30default_config_static_selectorELNS0_4arch9wavefront6targetE1EEEvT1_
	.globl	_ZN7rocprim17ROCPRIM_400000_NS6detail17trampoline_kernelINS0_14default_configENS1_25partition_config_selectorILNS1_17partition_subalgoE3EjNS0_10empty_typeEbEEZZNS1_14partition_implILS5_3ELb0ES3_jN6thrust23THRUST_200600_302600_NS6detail15normal_iteratorINSA_7pointerIjNSA_11hip_rocprim3tagENSA_11use_defaultESG_EEEEPS6_SJ_NS0_5tupleIJPjSJ_EEENSK_IJSJ_SJ_EEES6_PlJ7is_evenIjEEEE10hipError_tPvRmT3_T4_T5_T6_T7_T9_mT8_P12ihipStream_tbDpT10_ENKUlT_T0_E_clISt17integral_constantIbLb1EES1A_EEDaS15_S16_EUlS15_E_NS1_11comp_targetILNS1_3genE4ELNS1_11target_archE910ELNS1_3gpuE8ELNS1_3repE0EEENS1_30default_config_static_selectorELNS0_4arch9wavefront6targetE1EEEvT1_
	.p2align	8
	.type	_ZN7rocprim17ROCPRIM_400000_NS6detail17trampoline_kernelINS0_14default_configENS1_25partition_config_selectorILNS1_17partition_subalgoE3EjNS0_10empty_typeEbEEZZNS1_14partition_implILS5_3ELb0ES3_jN6thrust23THRUST_200600_302600_NS6detail15normal_iteratorINSA_7pointerIjNSA_11hip_rocprim3tagENSA_11use_defaultESG_EEEEPS6_SJ_NS0_5tupleIJPjSJ_EEENSK_IJSJ_SJ_EEES6_PlJ7is_evenIjEEEE10hipError_tPvRmT3_T4_T5_T6_T7_T9_mT8_P12ihipStream_tbDpT10_ENKUlT_T0_E_clISt17integral_constantIbLb1EES1A_EEDaS15_S16_EUlS15_E_NS1_11comp_targetILNS1_3genE4ELNS1_11target_archE910ELNS1_3gpuE8ELNS1_3repE0EEENS1_30default_config_static_selectorELNS0_4arch9wavefront6targetE1EEEvT1_,@function
_ZN7rocprim17ROCPRIM_400000_NS6detail17trampoline_kernelINS0_14default_configENS1_25partition_config_selectorILNS1_17partition_subalgoE3EjNS0_10empty_typeEbEEZZNS1_14partition_implILS5_3ELb0ES3_jN6thrust23THRUST_200600_302600_NS6detail15normal_iteratorINSA_7pointerIjNSA_11hip_rocprim3tagENSA_11use_defaultESG_EEEEPS6_SJ_NS0_5tupleIJPjSJ_EEENSK_IJSJ_SJ_EEES6_PlJ7is_evenIjEEEE10hipError_tPvRmT3_T4_T5_T6_T7_T9_mT8_P12ihipStream_tbDpT10_ENKUlT_T0_E_clISt17integral_constantIbLb1EES1A_EEDaS15_S16_EUlS15_E_NS1_11comp_targetILNS1_3genE4ELNS1_11target_archE910ELNS1_3gpuE8ELNS1_3repE0EEENS1_30default_config_static_selectorELNS0_4arch9wavefront6targetE1EEEvT1_: ; @_ZN7rocprim17ROCPRIM_400000_NS6detail17trampoline_kernelINS0_14default_configENS1_25partition_config_selectorILNS1_17partition_subalgoE3EjNS0_10empty_typeEbEEZZNS1_14partition_implILS5_3ELb0ES3_jN6thrust23THRUST_200600_302600_NS6detail15normal_iteratorINSA_7pointerIjNSA_11hip_rocprim3tagENSA_11use_defaultESG_EEEEPS6_SJ_NS0_5tupleIJPjSJ_EEENSK_IJSJ_SJ_EEES6_PlJ7is_evenIjEEEE10hipError_tPvRmT3_T4_T5_T6_T7_T9_mT8_P12ihipStream_tbDpT10_ENKUlT_T0_E_clISt17integral_constantIbLb1EES1A_EEDaS15_S16_EUlS15_E_NS1_11comp_targetILNS1_3genE4ELNS1_11target_archE910ELNS1_3gpuE8ELNS1_3repE0EEENS1_30default_config_static_selectorELNS0_4arch9wavefront6targetE1EEEvT1_
; %bb.0:
	.section	.rodata,"a",@progbits
	.p2align	6, 0x0
	.amdhsa_kernel _ZN7rocprim17ROCPRIM_400000_NS6detail17trampoline_kernelINS0_14default_configENS1_25partition_config_selectorILNS1_17partition_subalgoE3EjNS0_10empty_typeEbEEZZNS1_14partition_implILS5_3ELb0ES3_jN6thrust23THRUST_200600_302600_NS6detail15normal_iteratorINSA_7pointerIjNSA_11hip_rocprim3tagENSA_11use_defaultESG_EEEEPS6_SJ_NS0_5tupleIJPjSJ_EEENSK_IJSJ_SJ_EEES6_PlJ7is_evenIjEEEE10hipError_tPvRmT3_T4_T5_T6_T7_T9_mT8_P12ihipStream_tbDpT10_ENKUlT_T0_E_clISt17integral_constantIbLb1EES1A_EEDaS15_S16_EUlS15_E_NS1_11comp_targetILNS1_3genE4ELNS1_11target_archE910ELNS1_3gpuE8ELNS1_3repE0EEENS1_30default_config_static_selectorELNS0_4arch9wavefront6targetE1EEEvT1_
		.amdhsa_group_segment_fixed_size 0
		.amdhsa_private_segment_fixed_size 0
		.amdhsa_kernarg_size 136
		.amdhsa_user_sgpr_count 2
		.amdhsa_user_sgpr_dispatch_ptr 0
		.amdhsa_user_sgpr_queue_ptr 0
		.amdhsa_user_sgpr_kernarg_segment_ptr 1
		.amdhsa_user_sgpr_dispatch_id 0
		.amdhsa_user_sgpr_kernarg_preload_length 0
		.amdhsa_user_sgpr_kernarg_preload_offset 0
		.amdhsa_user_sgpr_private_segment_size 0
		.amdhsa_uses_dynamic_stack 0
		.amdhsa_enable_private_segment 0
		.amdhsa_system_sgpr_workgroup_id_x 1
		.amdhsa_system_sgpr_workgroup_id_y 0
		.amdhsa_system_sgpr_workgroup_id_z 0
		.amdhsa_system_sgpr_workgroup_info 0
		.amdhsa_system_vgpr_workitem_id 0
		.amdhsa_next_free_vgpr 1
		.amdhsa_next_free_sgpr 0
		.amdhsa_accum_offset 4
		.amdhsa_reserve_vcc 0
		.amdhsa_float_round_mode_32 0
		.amdhsa_float_round_mode_16_64 0
		.amdhsa_float_denorm_mode_32 3
		.amdhsa_float_denorm_mode_16_64 3
		.amdhsa_dx10_clamp 1
		.amdhsa_ieee_mode 1
		.amdhsa_fp16_overflow 0
		.amdhsa_tg_split 0
		.amdhsa_exception_fp_ieee_invalid_op 0
		.amdhsa_exception_fp_denorm_src 0
		.amdhsa_exception_fp_ieee_div_zero 0
		.amdhsa_exception_fp_ieee_overflow 0
		.amdhsa_exception_fp_ieee_underflow 0
		.amdhsa_exception_fp_ieee_inexact 0
		.amdhsa_exception_int_div_zero 0
	.end_amdhsa_kernel
	.section	.text._ZN7rocprim17ROCPRIM_400000_NS6detail17trampoline_kernelINS0_14default_configENS1_25partition_config_selectorILNS1_17partition_subalgoE3EjNS0_10empty_typeEbEEZZNS1_14partition_implILS5_3ELb0ES3_jN6thrust23THRUST_200600_302600_NS6detail15normal_iteratorINSA_7pointerIjNSA_11hip_rocprim3tagENSA_11use_defaultESG_EEEEPS6_SJ_NS0_5tupleIJPjSJ_EEENSK_IJSJ_SJ_EEES6_PlJ7is_evenIjEEEE10hipError_tPvRmT3_T4_T5_T6_T7_T9_mT8_P12ihipStream_tbDpT10_ENKUlT_T0_E_clISt17integral_constantIbLb1EES1A_EEDaS15_S16_EUlS15_E_NS1_11comp_targetILNS1_3genE4ELNS1_11target_archE910ELNS1_3gpuE8ELNS1_3repE0EEENS1_30default_config_static_selectorELNS0_4arch9wavefront6targetE1EEEvT1_,"axG",@progbits,_ZN7rocprim17ROCPRIM_400000_NS6detail17trampoline_kernelINS0_14default_configENS1_25partition_config_selectorILNS1_17partition_subalgoE3EjNS0_10empty_typeEbEEZZNS1_14partition_implILS5_3ELb0ES3_jN6thrust23THRUST_200600_302600_NS6detail15normal_iteratorINSA_7pointerIjNSA_11hip_rocprim3tagENSA_11use_defaultESG_EEEEPS6_SJ_NS0_5tupleIJPjSJ_EEENSK_IJSJ_SJ_EEES6_PlJ7is_evenIjEEEE10hipError_tPvRmT3_T4_T5_T6_T7_T9_mT8_P12ihipStream_tbDpT10_ENKUlT_T0_E_clISt17integral_constantIbLb1EES1A_EEDaS15_S16_EUlS15_E_NS1_11comp_targetILNS1_3genE4ELNS1_11target_archE910ELNS1_3gpuE8ELNS1_3repE0EEENS1_30default_config_static_selectorELNS0_4arch9wavefront6targetE1EEEvT1_,comdat
.Lfunc_end929:
	.size	_ZN7rocprim17ROCPRIM_400000_NS6detail17trampoline_kernelINS0_14default_configENS1_25partition_config_selectorILNS1_17partition_subalgoE3EjNS0_10empty_typeEbEEZZNS1_14partition_implILS5_3ELb0ES3_jN6thrust23THRUST_200600_302600_NS6detail15normal_iteratorINSA_7pointerIjNSA_11hip_rocprim3tagENSA_11use_defaultESG_EEEEPS6_SJ_NS0_5tupleIJPjSJ_EEENSK_IJSJ_SJ_EEES6_PlJ7is_evenIjEEEE10hipError_tPvRmT3_T4_T5_T6_T7_T9_mT8_P12ihipStream_tbDpT10_ENKUlT_T0_E_clISt17integral_constantIbLb1EES1A_EEDaS15_S16_EUlS15_E_NS1_11comp_targetILNS1_3genE4ELNS1_11target_archE910ELNS1_3gpuE8ELNS1_3repE0EEENS1_30default_config_static_selectorELNS0_4arch9wavefront6targetE1EEEvT1_, .Lfunc_end929-_ZN7rocprim17ROCPRIM_400000_NS6detail17trampoline_kernelINS0_14default_configENS1_25partition_config_selectorILNS1_17partition_subalgoE3EjNS0_10empty_typeEbEEZZNS1_14partition_implILS5_3ELb0ES3_jN6thrust23THRUST_200600_302600_NS6detail15normal_iteratorINSA_7pointerIjNSA_11hip_rocprim3tagENSA_11use_defaultESG_EEEEPS6_SJ_NS0_5tupleIJPjSJ_EEENSK_IJSJ_SJ_EEES6_PlJ7is_evenIjEEEE10hipError_tPvRmT3_T4_T5_T6_T7_T9_mT8_P12ihipStream_tbDpT10_ENKUlT_T0_E_clISt17integral_constantIbLb1EES1A_EEDaS15_S16_EUlS15_E_NS1_11comp_targetILNS1_3genE4ELNS1_11target_archE910ELNS1_3gpuE8ELNS1_3repE0EEENS1_30default_config_static_selectorELNS0_4arch9wavefront6targetE1EEEvT1_
                                        ; -- End function
	.section	.AMDGPU.csdata,"",@progbits
; Kernel info:
; codeLenInByte = 0
; NumSgprs: 6
; NumVgprs: 0
; NumAgprs: 0
; TotalNumVgprs: 0
; ScratchSize: 0
; MemoryBound: 0
; FloatMode: 240
; IeeeMode: 1
; LDSByteSize: 0 bytes/workgroup (compile time only)
; SGPRBlocks: 0
; VGPRBlocks: 0
; NumSGPRsForWavesPerEU: 6
; NumVGPRsForWavesPerEU: 1
; AccumOffset: 4
; Occupancy: 8
; WaveLimiterHint : 0
; COMPUTE_PGM_RSRC2:SCRATCH_EN: 0
; COMPUTE_PGM_RSRC2:USER_SGPR: 2
; COMPUTE_PGM_RSRC2:TRAP_HANDLER: 0
; COMPUTE_PGM_RSRC2:TGID_X_EN: 1
; COMPUTE_PGM_RSRC2:TGID_Y_EN: 0
; COMPUTE_PGM_RSRC2:TGID_Z_EN: 0
; COMPUTE_PGM_RSRC2:TIDIG_COMP_CNT: 0
; COMPUTE_PGM_RSRC3_GFX90A:ACCUM_OFFSET: 0
; COMPUTE_PGM_RSRC3_GFX90A:TG_SPLIT: 0
	.section	.text._ZN7rocprim17ROCPRIM_400000_NS6detail17trampoline_kernelINS0_14default_configENS1_25partition_config_selectorILNS1_17partition_subalgoE3EjNS0_10empty_typeEbEEZZNS1_14partition_implILS5_3ELb0ES3_jN6thrust23THRUST_200600_302600_NS6detail15normal_iteratorINSA_7pointerIjNSA_11hip_rocprim3tagENSA_11use_defaultESG_EEEEPS6_SJ_NS0_5tupleIJPjSJ_EEENSK_IJSJ_SJ_EEES6_PlJ7is_evenIjEEEE10hipError_tPvRmT3_T4_T5_T6_T7_T9_mT8_P12ihipStream_tbDpT10_ENKUlT_T0_E_clISt17integral_constantIbLb1EES1A_EEDaS15_S16_EUlS15_E_NS1_11comp_targetILNS1_3genE3ELNS1_11target_archE908ELNS1_3gpuE7ELNS1_3repE0EEENS1_30default_config_static_selectorELNS0_4arch9wavefront6targetE1EEEvT1_,"axG",@progbits,_ZN7rocprim17ROCPRIM_400000_NS6detail17trampoline_kernelINS0_14default_configENS1_25partition_config_selectorILNS1_17partition_subalgoE3EjNS0_10empty_typeEbEEZZNS1_14partition_implILS5_3ELb0ES3_jN6thrust23THRUST_200600_302600_NS6detail15normal_iteratorINSA_7pointerIjNSA_11hip_rocprim3tagENSA_11use_defaultESG_EEEEPS6_SJ_NS0_5tupleIJPjSJ_EEENSK_IJSJ_SJ_EEES6_PlJ7is_evenIjEEEE10hipError_tPvRmT3_T4_T5_T6_T7_T9_mT8_P12ihipStream_tbDpT10_ENKUlT_T0_E_clISt17integral_constantIbLb1EES1A_EEDaS15_S16_EUlS15_E_NS1_11comp_targetILNS1_3genE3ELNS1_11target_archE908ELNS1_3gpuE7ELNS1_3repE0EEENS1_30default_config_static_selectorELNS0_4arch9wavefront6targetE1EEEvT1_,comdat
	.protected	_ZN7rocprim17ROCPRIM_400000_NS6detail17trampoline_kernelINS0_14default_configENS1_25partition_config_selectorILNS1_17partition_subalgoE3EjNS0_10empty_typeEbEEZZNS1_14partition_implILS5_3ELb0ES3_jN6thrust23THRUST_200600_302600_NS6detail15normal_iteratorINSA_7pointerIjNSA_11hip_rocprim3tagENSA_11use_defaultESG_EEEEPS6_SJ_NS0_5tupleIJPjSJ_EEENSK_IJSJ_SJ_EEES6_PlJ7is_evenIjEEEE10hipError_tPvRmT3_T4_T5_T6_T7_T9_mT8_P12ihipStream_tbDpT10_ENKUlT_T0_E_clISt17integral_constantIbLb1EES1A_EEDaS15_S16_EUlS15_E_NS1_11comp_targetILNS1_3genE3ELNS1_11target_archE908ELNS1_3gpuE7ELNS1_3repE0EEENS1_30default_config_static_selectorELNS0_4arch9wavefront6targetE1EEEvT1_ ; -- Begin function _ZN7rocprim17ROCPRIM_400000_NS6detail17trampoline_kernelINS0_14default_configENS1_25partition_config_selectorILNS1_17partition_subalgoE3EjNS0_10empty_typeEbEEZZNS1_14partition_implILS5_3ELb0ES3_jN6thrust23THRUST_200600_302600_NS6detail15normal_iteratorINSA_7pointerIjNSA_11hip_rocprim3tagENSA_11use_defaultESG_EEEEPS6_SJ_NS0_5tupleIJPjSJ_EEENSK_IJSJ_SJ_EEES6_PlJ7is_evenIjEEEE10hipError_tPvRmT3_T4_T5_T6_T7_T9_mT8_P12ihipStream_tbDpT10_ENKUlT_T0_E_clISt17integral_constantIbLb1EES1A_EEDaS15_S16_EUlS15_E_NS1_11comp_targetILNS1_3genE3ELNS1_11target_archE908ELNS1_3gpuE7ELNS1_3repE0EEENS1_30default_config_static_selectorELNS0_4arch9wavefront6targetE1EEEvT1_
	.globl	_ZN7rocprim17ROCPRIM_400000_NS6detail17trampoline_kernelINS0_14default_configENS1_25partition_config_selectorILNS1_17partition_subalgoE3EjNS0_10empty_typeEbEEZZNS1_14partition_implILS5_3ELb0ES3_jN6thrust23THRUST_200600_302600_NS6detail15normal_iteratorINSA_7pointerIjNSA_11hip_rocprim3tagENSA_11use_defaultESG_EEEEPS6_SJ_NS0_5tupleIJPjSJ_EEENSK_IJSJ_SJ_EEES6_PlJ7is_evenIjEEEE10hipError_tPvRmT3_T4_T5_T6_T7_T9_mT8_P12ihipStream_tbDpT10_ENKUlT_T0_E_clISt17integral_constantIbLb1EES1A_EEDaS15_S16_EUlS15_E_NS1_11comp_targetILNS1_3genE3ELNS1_11target_archE908ELNS1_3gpuE7ELNS1_3repE0EEENS1_30default_config_static_selectorELNS0_4arch9wavefront6targetE1EEEvT1_
	.p2align	8
	.type	_ZN7rocprim17ROCPRIM_400000_NS6detail17trampoline_kernelINS0_14default_configENS1_25partition_config_selectorILNS1_17partition_subalgoE3EjNS0_10empty_typeEbEEZZNS1_14partition_implILS5_3ELb0ES3_jN6thrust23THRUST_200600_302600_NS6detail15normal_iteratorINSA_7pointerIjNSA_11hip_rocprim3tagENSA_11use_defaultESG_EEEEPS6_SJ_NS0_5tupleIJPjSJ_EEENSK_IJSJ_SJ_EEES6_PlJ7is_evenIjEEEE10hipError_tPvRmT3_T4_T5_T6_T7_T9_mT8_P12ihipStream_tbDpT10_ENKUlT_T0_E_clISt17integral_constantIbLb1EES1A_EEDaS15_S16_EUlS15_E_NS1_11comp_targetILNS1_3genE3ELNS1_11target_archE908ELNS1_3gpuE7ELNS1_3repE0EEENS1_30default_config_static_selectorELNS0_4arch9wavefront6targetE1EEEvT1_,@function
_ZN7rocprim17ROCPRIM_400000_NS6detail17trampoline_kernelINS0_14default_configENS1_25partition_config_selectorILNS1_17partition_subalgoE3EjNS0_10empty_typeEbEEZZNS1_14partition_implILS5_3ELb0ES3_jN6thrust23THRUST_200600_302600_NS6detail15normal_iteratorINSA_7pointerIjNSA_11hip_rocprim3tagENSA_11use_defaultESG_EEEEPS6_SJ_NS0_5tupleIJPjSJ_EEENSK_IJSJ_SJ_EEES6_PlJ7is_evenIjEEEE10hipError_tPvRmT3_T4_T5_T6_T7_T9_mT8_P12ihipStream_tbDpT10_ENKUlT_T0_E_clISt17integral_constantIbLb1EES1A_EEDaS15_S16_EUlS15_E_NS1_11comp_targetILNS1_3genE3ELNS1_11target_archE908ELNS1_3gpuE7ELNS1_3repE0EEENS1_30default_config_static_selectorELNS0_4arch9wavefront6targetE1EEEvT1_: ; @_ZN7rocprim17ROCPRIM_400000_NS6detail17trampoline_kernelINS0_14default_configENS1_25partition_config_selectorILNS1_17partition_subalgoE3EjNS0_10empty_typeEbEEZZNS1_14partition_implILS5_3ELb0ES3_jN6thrust23THRUST_200600_302600_NS6detail15normal_iteratorINSA_7pointerIjNSA_11hip_rocprim3tagENSA_11use_defaultESG_EEEEPS6_SJ_NS0_5tupleIJPjSJ_EEENSK_IJSJ_SJ_EEES6_PlJ7is_evenIjEEEE10hipError_tPvRmT3_T4_T5_T6_T7_T9_mT8_P12ihipStream_tbDpT10_ENKUlT_T0_E_clISt17integral_constantIbLb1EES1A_EEDaS15_S16_EUlS15_E_NS1_11comp_targetILNS1_3genE3ELNS1_11target_archE908ELNS1_3gpuE7ELNS1_3repE0EEENS1_30default_config_static_selectorELNS0_4arch9wavefront6targetE1EEEvT1_
; %bb.0:
	.section	.rodata,"a",@progbits
	.p2align	6, 0x0
	.amdhsa_kernel _ZN7rocprim17ROCPRIM_400000_NS6detail17trampoline_kernelINS0_14default_configENS1_25partition_config_selectorILNS1_17partition_subalgoE3EjNS0_10empty_typeEbEEZZNS1_14partition_implILS5_3ELb0ES3_jN6thrust23THRUST_200600_302600_NS6detail15normal_iteratorINSA_7pointerIjNSA_11hip_rocprim3tagENSA_11use_defaultESG_EEEEPS6_SJ_NS0_5tupleIJPjSJ_EEENSK_IJSJ_SJ_EEES6_PlJ7is_evenIjEEEE10hipError_tPvRmT3_T4_T5_T6_T7_T9_mT8_P12ihipStream_tbDpT10_ENKUlT_T0_E_clISt17integral_constantIbLb1EES1A_EEDaS15_S16_EUlS15_E_NS1_11comp_targetILNS1_3genE3ELNS1_11target_archE908ELNS1_3gpuE7ELNS1_3repE0EEENS1_30default_config_static_selectorELNS0_4arch9wavefront6targetE1EEEvT1_
		.amdhsa_group_segment_fixed_size 0
		.amdhsa_private_segment_fixed_size 0
		.amdhsa_kernarg_size 136
		.amdhsa_user_sgpr_count 2
		.amdhsa_user_sgpr_dispatch_ptr 0
		.amdhsa_user_sgpr_queue_ptr 0
		.amdhsa_user_sgpr_kernarg_segment_ptr 1
		.amdhsa_user_sgpr_dispatch_id 0
		.amdhsa_user_sgpr_kernarg_preload_length 0
		.amdhsa_user_sgpr_kernarg_preload_offset 0
		.amdhsa_user_sgpr_private_segment_size 0
		.amdhsa_uses_dynamic_stack 0
		.amdhsa_enable_private_segment 0
		.amdhsa_system_sgpr_workgroup_id_x 1
		.amdhsa_system_sgpr_workgroup_id_y 0
		.amdhsa_system_sgpr_workgroup_id_z 0
		.amdhsa_system_sgpr_workgroup_info 0
		.amdhsa_system_vgpr_workitem_id 0
		.amdhsa_next_free_vgpr 1
		.amdhsa_next_free_sgpr 0
		.amdhsa_accum_offset 4
		.amdhsa_reserve_vcc 0
		.amdhsa_float_round_mode_32 0
		.amdhsa_float_round_mode_16_64 0
		.amdhsa_float_denorm_mode_32 3
		.amdhsa_float_denorm_mode_16_64 3
		.amdhsa_dx10_clamp 1
		.amdhsa_ieee_mode 1
		.amdhsa_fp16_overflow 0
		.amdhsa_tg_split 0
		.amdhsa_exception_fp_ieee_invalid_op 0
		.amdhsa_exception_fp_denorm_src 0
		.amdhsa_exception_fp_ieee_div_zero 0
		.amdhsa_exception_fp_ieee_overflow 0
		.amdhsa_exception_fp_ieee_underflow 0
		.amdhsa_exception_fp_ieee_inexact 0
		.amdhsa_exception_int_div_zero 0
	.end_amdhsa_kernel
	.section	.text._ZN7rocprim17ROCPRIM_400000_NS6detail17trampoline_kernelINS0_14default_configENS1_25partition_config_selectorILNS1_17partition_subalgoE3EjNS0_10empty_typeEbEEZZNS1_14partition_implILS5_3ELb0ES3_jN6thrust23THRUST_200600_302600_NS6detail15normal_iteratorINSA_7pointerIjNSA_11hip_rocprim3tagENSA_11use_defaultESG_EEEEPS6_SJ_NS0_5tupleIJPjSJ_EEENSK_IJSJ_SJ_EEES6_PlJ7is_evenIjEEEE10hipError_tPvRmT3_T4_T5_T6_T7_T9_mT8_P12ihipStream_tbDpT10_ENKUlT_T0_E_clISt17integral_constantIbLb1EES1A_EEDaS15_S16_EUlS15_E_NS1_11comp_targetILNS1_3genE3ELNS1_11target_archE908ELNS1_3gpuE7ELNS1_3repE0EEENS1_30default_config_static_selectorELNS0_4arch9wavefront6targetE1EEEvT1_,"axG",@progbits,_ZN7rocprim17ROCPRIM_400000_NS6detail17trampoline_kernelINS0_14default_configENS1_25partition_config_selectorILNS1_17partition_subalgoE3EjNS0_10empty_typeEbEEZZNS1_14partition_implILS5_3ELb0ES3_jN6thrust23THRUST_200600_302600_NS6detail15normal_iteratorINSA_7pointerIjNSA_11hip_rocprim3tagENSA_11use_defaultESG_EEEEPS6_SJ_NS0_5tupleIJPjSJ_EEENSK_IJSJ_SJ_EEES6_PlJ7is_evenIjEEEE10hipError_tPvRmT3_T4_T5_T6_T7_T9_mT8_P12ihipStream_tbDpT10_ENKUlT_T0_E_clISt17integral_constantIbLb1EES1A_EEDaS15_S16_EUlS15_E_NS1_11comp_targetILNS1_3genE3ELNS1_11target_archE908ELNS1_3gpuE7ELNS1_3repE0EEENS1_30default_config_static_selectorELNS0_4arch9wavefront6targetE1EEEvT1_,comdat
.Lfunc_end930:
	.size	_ZN7rocprim17ROCPRIM_400000_NS6detail17trampoline_kernelINS0_14default_configENS1_25partition_config_selectorILNS1_17partition_subalgoE3EjNS0_10empty_typeEbEEZZNS1_14partition_implILS5_3ELb0ES3_jN6thrust23THRUST_200600_302600_NS6detail15normal_iteratorINSA_7pointerIjNSA_11hip_rocprim3tagENSA_11use_defaultESG_EEEEPS6_SJ_NS0_5tupleIJPjSJ_EEENSK_IJSJ_SJ_EEES6_PlJ7is_evenIjEEEE10hipError_tPvRmT3_T4_T5_T6_T7_T9_mT8_P12ihipStream_tbDpT10_ENKUlT_T0_E_clISt17integral_constantIbLb1EES1A_EEDaS15_S16_EUlS15_E_NS1_11comp_targetILNS1_3genE3ELNS1_11target_archE908ELNS1_3gpuE7ELNS1_3repE0EEENS1_30default_config_static_selectorELNS0_4arch9wavefront6targetE1EEEvT1_, .Lfunc_end930-_ZN7rocprim17ROCPRIM_400000_NS6detail17trampoline_kernelINS0_14default_configENS1_25partition_config_selectorILNS1_17partition_subalgoE3EjNS0_10empty_typeEbEEZZNS1_14partition_implILS5_3ELb0ES3_jN6thrust23THRUST_200600_302600_NS6detail15normal_iteratorINSA_7pointerIjNSA_11hip_rocprim3tagENSA_11use_defaultESG_EEEEPS6_SJ_NS0_5tupleIJPjSJ_EEENSK_IJSJ_SJ_EEES6_PlJ7is_evenIjEEEE10hipError_tPvRmT3_T4_T5_T6_T7_T9_mT8_P12ihipStream_tbDpT10_ENKUlT_T0_E_clISt17integral_constantIbLb1EES1A_EEDaS15_S16_EUlS15_E_NS1_11comp_targetILNS1_3genE3ELNS1_11target_archE908ELNS1_3gpuE7ELNS1_3repE0EEENS1_30default_config_static_selectorELNS0_4arch9wavefront6targetE1EEEvT1_
                                        ; -- End function
	.section	.AMDGPU.csdata,"",@progbits
; Kernel info:
; codeLenInByte = 0
; NumSgprs: 6
; NumVgprs: 0
; NumAgprs: 0
; TotalNumVgprs: 0
; ScratchSize: 0
; MemoryBound: 0
; FloatMode: 240
; IeeeMode: 1
; LDSByteSize: 0 bytes/workgroup (compile time only)
; SGPRBlocks: 0
; VGPRBlocks: 0
; NumSGPRsForWavesPerEU: 6
; NumVGPRsForWavesPerEU: 1
; AccumOffset: 4
; Occupancy: 8
; WaveLimiterHint : 0
; COMPUTE_PGM_RSRC2:SCRATCH_EN: 0
; COMPUTE_PGM_RSRC2:USER_SGPR: 2
; COMPUTE_PGM_RSRC2:TRAP_HANDLER: 0
; COMPUTE_PGM_RSRC2:TGID_X_EN: 1
; COMPUTE_PGM_RSRC2:TGID_Y_EN: 0
; COMPUTE_PGM_RSRC2:TGID_Z_EN: 0
; COMPUTE_PGM_RSRC2:TIDIG_COMP_CNT: 0
; COMPUTE_PGM_RSRC3_GFX90A:ACCUM_OFFSET: 0
; COMPUTE_PGM_RSRC3_GFX90A:TG_SPLIT: 0
	.section	.text._ZN7rocprim17ROCPRIM_400000_NS6detail17trampoline_kernelINS0_14default_configENS1_25partition_config_selectorILNS1_17partition_subalgoE3EjNS0_10empty_typeEbEEZZNS1_14partition_implILS5_3ELb0ES3_jN6thrust23THRUST_200600_302600_NS6detail15normal_iteratorINSA_7pointerIjNSA_11hip_rocprim3tagENSA_11use_defaultESG_EEEEPS6_SJ_NS0_5tupleIJPjSJ_EEENSK_IJSJ_SJ_EEES6_PlJ7is_evenIjEEEE10hipError_tPvRmT3_T4_T5_T6_T7_T9_mT8_P12ihipStream_tbDpT10_ENKUlT_T0_E_clISt17integral_constantIbLb1EES1A_EEDaS15_S16_EUlS15_E_NS1_11comp_targetILNS1_3genE2ELNS1_11target_archE906ELNS1_3gpuE6ELNS1_3repE0EEENS1_30default_config_static_selectorELNS0_4arch9wavefront6targetE1EEEvT1_,"axG",@progbits,_ZN7rocprim17ROCPRIM_400000_NS6detail17trampoline_kernelINS0_14default_configENS1_25partition_config_selectorILNS1_17partition_subalgoE3EjNS0_10empty_typeEbEEZZNS1_14partition_implILS5_3ELb0ES3_jN6thrust23THRUST_200600_302600_NS6detail15normal_iteratorINSA_7pointerIjNSA_11hip_rocprim3tagENSA_11use_defaultESG_EEEEPS6_SJ_NS0_5tupleIJPjSJ_EEENSK_IJSJ_SJ_EEES6_PlJ7is_evenIjEEEE10hipError_tPvRmT3_T4_T5_T6_T7_T9_mT8_P12ihipStream_tbDpT10_ENKUlT_T0_E_clISt17integral_constantIbLb1EES1A_EEDaS15_S16_EUlS15_E_NS1_11comp_targetILNS1_3genE2ELNS1_11target_archE906ELNS1_3gpuE6ELNS1_3repE0EEENS1_30default_config_static_selectorELNS0_4arch9wavefront6targetE1EEEvT1_,comdat
	.protected	_ZN7rocprim17ROCPRIM_400000_NS6detail17trampoline_kernelINS0_14default_configENS1_25partition_config_selectorILNS1_17partition_subalgoE3EjNS0_10empty_typeEbEEZZNS1_14partition_implILS5_3ELb0ES3_jN6thrust23THRUST_200600_302600_NS6detail15normal_iteratorINSA_7pointerIjNSA_11hip_rocprim3tagENSA_11use_defaultESG_EEEEPS6_SJ_NS0_5tupleIJPjSJ_EEENSK_IJSJ_SJ_EEES6_PlJ7is_evenIjEEEE10hipError_tPvRmT3_T4_T5_T6_T7_T9_mT8_P12ihipStream_tbDpT10_ENKUlT_T0_E_clISt17integral_constantIbLb1EES1A_EEDaS15_S16_EUlS15_E_NS1_11comp_targetILNS1_3genE2ELNS1_11target_archE906ELNS1_3gpuE6ELNS1_3repE0EEENS1_30default_config_static_selectorELNS0_4arch9wavefront6targetE1EEEvT1_ ; -- Begin function _ZN7rocprim17ROCPRIM_400000_NS6detail17trampoline_kernelINS0_14default_configENS1_25partition_config_selectorILNS1_17partition_subalgoE3EjNS0_10empty_typeEbEEZZNS1_14partition_implILS5_3ELb0ES3_jN6thrust23THRUST_200600_302600_NS6detail15normal_iteratorINSA_7pointerIjNSA_11hip_rocprim3tagENSA_11use_defaultESG_EEEEPS6_SJ_NS0_5tupleIJPjSJ_EEENSK_IJSJ_SJ_EEES6_PlJ7is_evenIjEEEE10hipError_tPvRmT3_T4_T5_T6_T7_T9_mT8_P12ihipStream_tbDpT10_ENKUlT_T0_E_clISt17integral_constantIbLb1EES1A_EEDaS15_S16_EUlS15_E_NS1_11comp_targetILNS1_3genE2ELNS1_11target_archE906ELNS1_3gpuE6ELNS1_3repE0EEENS1_30default_config_static_selectorELNS0_4arch9wavefront6targetE1EEEvT1_
	.globl	_ZN7rocprim17ROCPRIM_400000_NS6detail17trampoline_kernelINS0_14default_configENS1_25partition_config_selectorILNS1_17partition_subalgoE3EjNS0_10empty_typeEbEEZZNS1_14partition_implILS5_3ELb0ES3_jN6thrust23THRUST_200600_302600_NS6detail15normal_iteratorINSA_7pointerIjNSA_11hip_rocprim3tagENSA_11use_defaultESG_EEEEPS6_SJ_NS0_5tupleIJPjSJ_EEENSK_IJSJ_SJ_EEES6_PlJ7is_evenIjEEEE10hipError_tPvRmT3_T4_T5_T6_T7_T9_mT8_P12ihipStream_tbDpT10_ENKUlT_T0_E_clISt17integral_constantIbLb1EES1A_EEDaS15_S16_EUlS15_E_NS1_11comp_targetILNS1_3genE2ELNS1_11target_archE906ELNS1_3gpuE6ELNS1_3repE0EEENS1_30default_config_static_selectorELNS0_4arch9wavefront6targetE1EEEvT1_
	.p2align	8
	.type	_ZN7rocprim17ROCPRIM_400000_NS6detail17trampoline_kernelINS0_14default_configENS1_25partition_config_selectorILNS1_17partition_subalgoE3EjNS0_10empty_typeEbEEZZNS1_14partition_implILS5_3ELb0ES3_jN6thrust23THRUST_200600_302600_NS6detail15normal_iteratorINSA_7pointerIjNSA_11hip_rocprim3tagENSA_11use_defaultESG_EEEEPS6_SJ_NS0_5tupleIJPjSJ_EEENSK_IJSJ_SJ_EEES6_PlJ7is_evenIjEEEE10hipError_tPvRmT3_T4_T5_T6_T7_T9_mT8_P12ihipStream_tbDpT10_ENKUlT_T0_E_clISt17integral_constantIbLb1EES1A_EEDaS15_S16_EUlS15_E_NS1_11comp_targetILNS1_3genE2ELNS1_11target_archE906ELNS1_3gpuE6ELNS1_3repE0EEENS1_30default_config_static_selectorELNS0_4arch9wavefront6targetE1EEEvT1_,@function
_ZN7rocprim17ROCPRIM_400000_NS6detail17trampoline_kernelINS0_14default_configENS1_25partition_config_selectorILNS1_17partition_subalgoE3EjNS0_10empty_typeEbEEZZNS1_14partition_implILS5_3ELb0ES3_jN6thrust23THRUST_200600_302600_NS6detail15normal_iteratorINSA_7pointerIjNSA_11hip_rocprim3tagENSA_11use_defaultESG_EEEEPS6_SJ_NS0_5tupleIJPjSJ_EEENSK_IJSJ_SJ_EEES6_PlJ7is_evenIjEEEE10hipError_tPvRmT3_T4_T5_T6_T7_T9_mT8_P12ihipStream_tbDpT10_ENKUlT_T0_E_clISt17integral_constantIbLb1EES1A_EEDaS15_S16_EUlS15_E_NS1_11comp_targetILNS1_3genE2ELNS1_11target_archE906ELNS1_3gpuE6ELNS1_3repE0EEENS1_30default_config_static_selectorELNS0_4arch9wavefront6targetE1EEEvT1_: ; @_ZN7rocprim17ROCPRIM_400000_NS6detail17trampoline_kernelINS0_14default_configENS1_25partition_config_selectorILNS1_17partition_subalgoE3EjNS0_10empty_typeEbEEZZNS1_14partition_implILS5_3ELb0ES3_jN6thrust23THRUST_200600_302600_NS6detail15normal_iteratorINSA_7pointerIjNSA_11hip_rocprim3tagENSA_11use_defaultESG_EEEEPS6_SJ_NS0_5tupleIJPjSJ_EEENSK_IJSJ_SJ_EEES6_PlJ7is_evenIjEEEE10hipError_tPvRmT3_T4_T5_T6_T7_T9_mT8_P12ihipStream_tbDpT10_ENKUlT_T0_E_clISt17integral_constantIbLb1EES1A_EEDaS15_S16_EUlS15_E_NS1_11comp_targetILNS1_3genE2ELNS1_11target_archE906ELNS1_3gpuE6ELNS1_3repE0EEENS1_30default_config_static_selectorELNS0_4arch9wavefront6targetE1EEEvT1_
; %bb.0:
	.section	.rodata,"a",@progbits
	.p2align	6, 0x0
	.amdhsa_kernel _ZN7rocprim17ROCPRIM_400000_NS6detail17trampoline_kernelINS0_14default_configENS1_25partition_config_selectorILNS1_17partition_subalgoE3EjNS0_10empty_typeEbEEZZNS1_14partition_implILS5_3ELb0ES3_jN6thrust23THRUST_200600_302600_NS6detail15normal_iteratorINSA_7pointerIjNSA_11hip_rocprim3tagENSA_11use_defaultESG_EEEEPS6_SJ_NS0_5tupleIJPjSJ_EEENSK_IJSJ_SJ_EEES6_PlJ7is_evenIjEEEE10hipError_tPvRmT3_T4_T5_T6_T7_T9_mT8_P12ihipStream_tbDpT10_ENKUlT_T0_E_clISt17integral_constantIbLb1EES1A_EEDaS15_S16_EUlS15_E_NS1_11comp_targetILNS1_3genE2ELNS1_11target_archE906ELNS1_3gpuE6ELNS1_3repE0EEENS1_30default_config_static_selectorELNS0_4arch9wavefront6targetE1EEEvT1_
		.amdhsa_group_segment_fixed_size 0
		.amdhsa_private_segment_fixed_size 0
		.amdhsa_kernarg_size 136
		.amdhsa_user_sgpr_count 2
		.amdhsa_user_sgpr_dispatch_ptr 0
		.amdhsa_user_sgpr_queue_ptr 0
		.amdhsa_user_sgpr_kernarg_segment_ptr 1
		.amdhsa_user_sgpr_dispatch_id 0
		.amdhsa_user_sgpr_kernarg_preload_length 0
		.amdhsa_user_sgpr_kernarg_preload_offset 0
		.amdhsa_user_sgpr_private_segment_size 0
		.amdhsa_uses_dynamic_stack 0
		.amdhsa_enable_private_segment 0
		.amdhsa_system_sgpr_workgroup_id_x 1
		.amdhsa_system_sgpr_workgroup_id_y 0
		.amdhsa_system_sgpr_workgroup_id_z 0
		.amdhsa_system_sgpr_workgroup_info 0
		.amdhsa_system_vgpr_workitem_id 0
		.amdhsa_next_free_vgpr 1
		.amdhsa_next_free_sgpr 0
		.amdhsa_accum_offset 4
		.amdhsa_reserve_vcc 0
		.amdhsa_float_round_mode_32 0
		.amdhsa_float_round_mode_16_64 0
		.amdhsa_float_denorm_mode_32 3
		.amdhsa_float_denorm_mode_16_64 3
		.amdhsa_dx10_clamp 1
		.amdhsa_ieee_mode 1
		.amdhsa_fp16_overflow 0
		.amdhsa_tg_split 0
		.amdhsa_exception_fp_ieee_invalid_op 0
		.amdhsa_exception_fp_denorm_src 0
		.amdhsa_exception_fp_ieee_div_zero 0
		.amdhsa_exception_fp_ieee_overflow 0
		.amdhsa_exception_fp_ieee_underflow 0
		.amdhsa_exception_fp_ieee_inexact 0
		.amdhsa_exception_int_div_zero 0
	.end_amdhsa_kernel
	.section	.text._ZN7rocprim17ROCPRIM_400000_NS6detail17trampoline_kernelINS0_14default_configENS1_25partition_config_selectorILNS1_17partition_subalgoE3EjNS0_10empty_typeEbEEZZNS1_14partition_implILS5_3ELb0ES3_jN6thrust23THRUST_200600_302600_NS6detail15normal_iteratorINSA_7pointerIjNSA_11hip_rocprim3tagENSA_11use_defaultESG_EEEEPS6_SJ_NS0_5tupleIJPjSJ_EEENSK_IJSJ_SJ_EEES6_PlJ7is_evenIjEEEE10hipError_tPvRmT3_T4_T5_T6_T7_T9_mT8_P12ihipStream_tbDpT10_ENKUlT_T0_E_clISt17integral_constantIbLb1EES1A_EEDaS15_S16_EUlS15_E_NS1_11comp_targetILNS1_3genE2ELNS1_11target_archE906ELNS1_3gpuE6ELNS1_3repE0EEENS1_30default_config_static_selectorELNS0_4arch9wavefront6targetE1EEEvT1_,"axG",@progbits,_ZN7rocprim17ROCPRIM_400000_NS6detail17trampoline_kernelINS0_14default_configENS1_25partition_config_selectorILNS1_17partition_subalgoE3EjNS0_10empty_typeEbEEZZNS1_14partition_implILS5_3ELb0ES3_jN6thrust23THRUST_200600_302600_NS6detail15normal_iteratorINSA_7pointerIjNSA_11hip_rocprim3tagENSA_11use_defaultESG_EEEEPS6_SJ_NS0_5tupleIJPjSJ_EEENSK_IJSJ_SJ_EEES6_PlJ7is_evenIjEEEE10hipError_tPvRmT3_T4_T5_T6_T7_T9_mT8_P12ihipStream_tbDpT10_ENKUlT_T0_E_clISt17integral_constantIbLb1EES1A_EEDaS15_S16_EUlS15_E_NS1_11comp_targetILNS1_3genE2ELNS1_11target_archE906ELNS1_3gpuE6ELNS1_3repE0EEENS1_30default_config_static_selectorELNS0_4arch9wavefront6targetE1EEEvT1_,comdat
.Lfunc_end931:
	.size	_ZN7rocprim17ROCPRIM_400000_NS6detail17trampoline_kernelINS0_14default_configENS1_25partition_config_selectorILNS1_17partition_subalgoE3EjNS0_10empty_typeEbEEZZNS1_14partition_implILS5_3ELb0ES3_jN6thrust23THRUST_200600_302600_NS6detail15normal_iteratorINSA_7pointerIjNSA_11hip_rocprim3tagENSA_11use_defaultESG_EEEEPS6_SJ_NS0_5tupleIJPjSJ_EEENSK_IJSJ_SJ_EEES6_PlJ7is_evenIjEEEE10hipError_tPvRmT3_T4_T5_T6_T7_T9_mT8_P12ihipStream_tbDpT10_ENKUlT_T0_E_clISt17integral_constantIbLb1EES1A_EEDaS15_S16_EUlS15_E_NS1_11comp_targetILNS1_3genE2ELNS1_11target_archE906ELNS1_3gpuE6ELNS1_3repE0EEENS1_30default_config_static_selectorELNS0_4arch9wavefront6targetE1EEEvT1_, .Lfunc_end931-_ZN7rocprim17ROCPRIM_400000_NS6detail17trampoline_kernelINS0_14default_configENS1_25partition_config_selectorILNS1_17partition_subalgoE3EjNS0_10empty_typeEbEEZZNS1_14partition_implILS5_3ELb0ES3_jN6thrust23THRUST_200600_302600_NS6detail15normal_iteratorINSA_7pointerIjNSA_11hip_rocprim3tagENSA_11use_defaultESG_EEEEPS6_SJ_NS0_5tupleIJPjSJ_EEENSK_IJSJ_SJ_EEES6_PlJ7is_evenIjEEEE10hipError_tPvRmT3_T4_T5_T6_T7_T9_mT8_P12ihipStream_tbDpT10_ENKUlT_T0_E_clISt17integral_constantIbLb1EES1A_EEDaS15_S16_EUlS15_E_NS1_11comp_targetILNS1_3genE2ELNS1_11target_archE906ELNS1_3gpuE6ELNS1_3repE0EEENS1_30default_config_static_selectorELNS0_4arch9wavefront6targetE1EEEvT1_
                                        ; -- End function
	.section	.AMDGPU.csdata,"",@progbits
; Kernel info:
; codeLenInByte = 0
; NumSgprs: 6
; NumVgprs: 0
; NumAgprs: 0
; TotalNumVgprs: 0
; ScratchSize: 0
; MemoryBound: 0
; FloatMode: 240
; IeeeMode: 1
; LDSByteSize: 0 bytes/workgroup (compile time only)
; SGPRBlocks: 0
; VGPRBlocks: 0
; NumSGPRsForWavesPerEU: 6
; NumVGPRsForWavesPerEU: 1
; AccumOffset: 4
; Occupancy: 8
; WaveLimiterHint : 0
; COMPUTE_PGM_RSRC2:SCRATCH_EN: 0
; COMPUTE_PGM_RSRC2:USER_SGPR: 2
; COMPUTE_PGM_RSRC2:TRAP_HANDLER: 0
; COMPUTE_PGM_RSRC2:TGID_X_EN: 1
; COMPUTE_PGM_RSRC2:TGID_Y_EN: 0
; COMPUTE_PGM_RSRC2:TGID_Z_EN: 0
; COMPUTE_PGM_RSRC2:TIDIG_COMP_CNT: 0
; COMPUTE_PGM_RSRC3_GFX90A:ACCUM_OFFSET: 0
; COMPUTE_PGM_RSRC3_GFX90A:TG_SPLIT: 0
	.section	.text._ZN7rocprim17ROCPRIM_400000_NS6detail17trampoline_kernelINS0_14default_configENS1_25partition_config_selectorILNS1_17partition_subalgoE3EjNS0_10empty_typeEbEEZZNS1_14partition_implILS5_3ELb0ES3_jN6thrust23THRUST_200600_302600_NS6detail15normal_iteratorINSA_7pointerIjNSA_11hip_rocprim3tagENSA_11use_defaultESG_EEEEPS6_SJ_NS0_5tupleIJPjSJ_EEENSK_IJSJ_SJ_EEES6_PlJ7is_evenIjEEEE10hipError_tPvRmT3_T4_T5_T6_T7_T9_mT8_P12ihipStream_tbDpT10_ENKUlT_T0_E_clISt17integral_constantIbLb1EES1A_EEDaS15_S16_EUlS15_E_NS1_11comp_targetILNS1_3genE10ELNS1_11target_archE1200ELNS1_3gpuE4ELNS1_3repE0EEENS1_30default_config_static_selectorELNS0_4arch9wavefront6targetE1EEEvT1_,"axG",@progbits,_ZN7rocprim17ROCPRIM_400000_NS6detail17trampoline_kernelINS0_14default_configENS1_25partition_config_selectorILNS1_17partition_subalgoE3EjNS0_10empty_typeEbEEZZNS1_14partition_implILS5_3ELb0ES3_jN6thrust23THRUST_200600_302600_NS6detail15normal_iteratorINSA_7pointerIjNSA_11hip_rocprim3tagENSA_11use_defaultESG_EEEEPS6_SJ_NS0_5tupleIJPjSJ_EEENSK_IJSJ_SJ_EEES6_PlJ7is_evenIjEEEE10hipError_tPvRmT3_T4_T5_T6_T7_T9_mT8_P12ihipStream_tbDpT10_ENKUlT_T0_E_clISt17integral_constantIbLb1EES1A_EEDaS15_S16_EUlS15_E_NS1_11comp_targetILNS1_3genE10ELNS1_11target_archE1200ELNS1_3gpuE4ELNS1_3repE0EEENS1_30default_config_static_selectorELNS0_4arch9wavefront6targetE1EEEvT1_,comdat
	.protected	_ZN7rocprim17ROCPRIM_400000_NS6detail17trampoline_kernelINS0_14default_configENS1_25partition_config_selectorILNS1_17partition_subalgoE3EjNS0_10empty_typeEbEEZZNS1_14partition_implILS5_3ELb0ES3_jN6thrust23THRUST_200600_302600_NS6detail15normal_iteratorINSA_7pointerIjNSA_11hip_rocprim3tagENSA_11use_defaultESG_EEEEPS6_SJ_NS0_5tupleIJPjSJ_EEENSK_IJSJ_SJ_EEES6_PlJ7is_evenIjEEEE10hipError_tPvRmT3_T4_T5_T6_T7_T9_mT8_P12ihipStream_tbDpT10_ENKUlT_T0_E_clISt17integral_constantIbLb1EES1A_EEDaS15_S16_EUlS15_E_NS1_11comp_targetILNS1_3genE10ELNS1_11target_archE1200ELNS1_3gpuE4ELNS1_3repE0EEENS1_30default_config_static_selectorELNS0_4arch9wavefront6targetE1EEEvT1_ ; -- Begin function _ZN7rocprim17ROCPRIM_400000_NS6detail17trampoline_kernelINS0_14default_configENS1_25partition_config_selectorILNS1_17partition_subalgoE3EjNS0_10empty_typeEbEEZZNS1_14partition_implILS5_3ELb0ES3_jN6thrust23THRUST_200600_302600_NS6detail15normal_iteratorINSA_7pointerIjNSA_11hip_rocprim3tagENSA_11use_defaultESG_EEEEPS6_SJ_NS0_5tupleIJPjSJ_EEENSK_IJSJ_SJ_EEES6_PlJ7is_evenIjEEEE10hipError_tPvRmT3_T4_T5_T6_T7_T9_mT8_P12ihipStream_tbDpT10_ENKUlT_T0_E_clISt17integral_constantIbLb1EES1A_EEDaS15_S16_EUlS15_E_NS1_11comp_targetILNS1_3genE10ELNS1_11target_archE1200ELNS1_3gpuE4ELNS1_3repE0EEENS1_30default_config_static_selectorELNS0_4arch9wavefront6targetE1EEEvT1_
	.globl	_ZN7rocprim17ROCPRIM_400000_NS6detail17trampoline_kernelINS0_14default_configENS1_25partition_config_selectorILNS1_17partition_subalgoE3EjNS0_10empty_typeEbEEZZNS1_14partition_implILS5_3ELb0ES3_jN6thrust23THRUST_200600_302600_NS6detail15normal_iteratorINSA_7pointerIjNSA_11hip_rocprim3tagENSA_11use_defaultESG_EEEEPS6_SJ_NS0_5tupleIJPjSJ_EEENSK_IJSJ_SJ_EEES6_PlJ7is_evenIjEEEE10hipError_tPvRmT3_T4_T5_T6_T7_T9_mT8_P12ihipStream_tbDpT10_ENKUlT_T0_E_clISt17integral_constantIbLb1EES1A_EEDaS15_S16_EUlS15_E_NS1_11comp_targetILNS1_3genE10ELNS1_11target_archE1200ELNS1_3gpuE4ELNS1_3repE0EEENS1_30default_config_static_selectorELNS0_4arch9wavefront6targetE1EEEvT1_
	.p2align	8
	.type	_ZN7rocprim17ROCPRIM_400000_NS6detail17trampoline_kernelINS0_14default_configENS1_25partition_config_selectorILNS1_17partition_subalgoE3EjNS0_10empty_typeEbEEZZNS1_14partition_implILS5_3ELb0ES3_jN6thrust23THRUST_200600_302600_NS6detail15normal_iteratorINSA_7pointerIjNSA_11hip_rocprim3tagENSA_11use_defaultESG_EEEEPS6_SJ_NS0_5tupleIJPjSJ_EEENSK_IJSJ_SJ_EEES6_PlJ7is_evenIjEEEE10hipError_tPvRmT3_T4_T5_T6_T7_T9_mT8_P12ihipStream_tbDpT10_ENKUlT_T0_E_clISt17integral_constantIbLb1EES1A_EEDaS15_S16_EUlS15_E_NS1_11comp_targetILNS1_3genE10ELNS1_11target_archE1200ELNS1_3gpuE4ELNS1_3repE0EEENS1_30default_config_static_selectorELNS0_4arch9wavefront6targetE1EEEvT1_,@function
_ZN7rocprim17ROCPRIM_400000_NS6detail17trampoline_kernelINS0_14default_configENS1_25partition_config_selectorILNS1_17partition_subalgoE3EjNS0_10empty_typeEbEEZZNS1_14partition_implILS5_3ELb0ES3_jN6thrust23THRUST_200600_302600_NS6detail15normal_iteratorINSA_7pointerIjNSA_11hip_rocprim3tagENSA_11use_defaultESG_EEEEPS6_SJ_NS0_5tupleIJPjSJ_EEENSK_IJSJ_SJ_EEES6_PlJ7is_evenIjEEEE10hipError_tPvRmT3_T4_T5_T6_T7_T9_mT8_P12ihipStream_tbDpT10_ENKUlT_T0_E_clISt17integral_constantIbLb1EES1A_EEDaS15_S16_EUlS15_E_NS1_11comp_targetILNS1_3genE10ELNS1_11target_archE1200ELNS1_3gpuE4ELNS1_3repE0EEENS1_30default_config_static_selectorELNS0_4arch9wavefront6targetE1EEEvT1_: ; @_ZN7rocprim17ROCPRIM_400000_NS6detail17trampoline_kernelINS0_14default_configENS1_25partition_config_selectorILNS1_17partition_subalgoE3EjNS0_10empty_typeEbEEZZNS1_14partition_implILS5_3ELb0ES3_jN6thrust23THRUST_200600_302600_NS6detail15normal_iteratorINSA_7pointerIjNSA_11hip_rocprim3tagENSA_11use_defaultESG_EEEEPS6_SJ_NS0_5tupleIJPjSJ_EEENSK_IJSJ_SJ_EEES6_PlJ7is_evenIjEEEE10hipError_tPvRmT3_T4_T5_T6_T7_T9_mT8_P12ihipStream_tbDpT10_ENKUlT_T0_E_clISt17integral_constantIbLb1EES1A_EEDaS15_S16_EUlS15_E_NS1_11comp_targetILNS1_3genE10ELNS1_11target_archE1200ELNS1_3gpuE4ELNS1_3repE0EEENS1_30default_config_static_selectorELNS0_4arch9wavefront6targetE1EEEvT1_
; %bb.0:
	.section	.rodata,"a",@progbits
	.p2align	6, 0x0
	.amdhsa_kernel _ZN7rocprim17ROCPRIM_400000_NS6detail17trampoline_kernelINS0_14default_configENS1_25partition_config_selectorILNS1_17partition_subalgoE3EjNS0_10empty_typeEbEEZZNS1_14partition_implILS5_3ELb0ES3_jN6thrust23THRUST_200600_302600_NS6detail15normal_iteratorINSA_7pointerIjNSA_11hip_rocprim3tagENSA_11use_defaultESG_EEEEPS6_SJ_NS0_5tupleIJPjSJ_EEENSK_IJSJ_SJ_EEES6_PlJ7is_evenIjEEEE10hipError_tPvRmT3_T4_T5_T6_T7_T9_mT8_P12ihipStream_tbDpT10_ENKUlT_T0_E_clISt17integral_constantIbLb1EES1A_EEDaS15_S16_EUlS15_E_NS1_11comp_targetILNS1_3genE10ELNS1_11target_archE1200ELNS1_3gpuE4ELNS1_3repE0EEENS1_30default_config_static_selectorELNS0_4arch9wavefront6targetE1EEEvT1_
		.amdhsa_group_segment_fixed_size 0
		.amdhsa_private_segment_fixed_size 0
		.amdhsa_kernarg_size 136
		.amdhsa_user_sgpr_count 2
		.amdhsa_user_sgpr_dispatch_ptr 0
		.amdhsa_user_sgpr_queue_ptr 0
		.amdhsa_user_sgpr_kernarg_segment_ptr 1
		.amdhsa_user_sgpr_dispatch_id 0
		.amdhsa_user_sgpr_kernarg_preload_length 0
		.amdhsa_user_sgpr_kernarg_preload_offset 0
		.amdhsa_user_sgpr_private_segment_size 0
		.amdhsa_uses_dynamic_stack 0
		.amdhsa_enable_private_segment 0
		.amdhsa_system_sgpr_workgroup_id_x 1
		.amdhsa_system_sgpr_workgroup_id_y 0
		.amdhsa_system_sgpr_workgroup_id_z 0
		.amdhsa_system_sgpr_workgroup_info 0
		.amdhsa_system_vgpr_workitem_id 0
		.amdhsa_next_free_vgpr 1
		.amdhsa_next_free_sgpr 0
		.amdhsa_accum_offset 4
		.amdhsa_reserve_vcc 0
		.amdhsa_float_round_mode_32 0
		.amdhsa_float_round_mode_16_64 0
		.amdhsa_float_denorm_mode_32 3
		.amdhsa_float_denorm_mode_16_64 3
		.amdhsa_dx10_clamp 1
		.amdhsa_ieee_mode 1
		.amdhsa_fp16_overflow 0
		.amdhsa_tg_split 0
		.amdhsa_exception_fp_ieee_invalid_op 0
		.amdhsa_exception_fp_denorm_src 0
		.amdhsa_exception_fp_ieee_div_zero 0
		.amdhsa_exception_fp_ieee_overflow 0
		.amdhsa_exception_fp_ieee_underflow 0
		.amdhsa_exception_fp_ieee_inexact 0
		.amdhsa_exception_int_div_zero 0
	.end_amdhsa_kernel
	.section	.text._ZN7rocprim17ROCPRIM_400000_NS6detail17trampoline_kernelINS0_14default_configENS1_25partition_config_selectorILNS1_17partition_subalgoE3EjNS0_10empty_typeEbEEZZNS1_14partition_implILS5_3ELb0ES3_jN6thrust23THRUST_200600_302600_NS6detail15normal_iteratorINSA_7pointerIjNSA_11hip_rocprim3tagENSA_11use_defaultESG_EEEEPS6_SJ_NS0_5tupleIJPjSJ_EEENSK_IJSJ_SJ_EEES6_PlJ7is_evenIjEEEE10hipError_tPvRmT3_T4_T5_T6_T7_T9_mT8_P12ihipStream_tbDpT10_ENKUlT_T0_E_clISt17integral_constantIbLb1EES1A_EEDaS15_S16_EUlS15_E_NS1_11comp_targetILNS1_3genE10ELNS1_11target_archE1200ELNS1_3gpuE4ELNS1_3repE0EEENS1_30default_config_static_selectorELNS0_4arch9wavefront6targetE1EEEvT1_,"axG",@progbits,_ZN7rocprim17ROCPRIM_400000_NS6detail17trampoline_kernelINS0_14default_configENS1_25partition_config_selectorILNS1_17partition_subalgoE3EjNS0_10empty_typeEbEEZZNS1_14partition_implILS5_3ELb0ES3_jN6thrust23THRUST_200600_302600_NS6detail15normal_iteratorINSA_7pointerIjNSA_11hip_rocprim3tagENSA_11use_defaultESG_EEEEPS6_SJ_NS0_5tupleIJPjSJ_EEENSK_IJSJ_SJ_EEES6_PlJ7is_evenIjEEEE10hipError_tPvRmT3_T4_T5_T6_T7_T9_mT8_P12ihipStream_tbDpT10_ENKUlT_T0_E_clISt17integral_constantIbLb1EES1A_EEDaS15_S16_EUlS15_E_NS1_11comp_targetILNS1_3genE10ELNS1_11target_archE1200ELNS1_3gpuE4ELNS1_3repE0EEENS1_30default_config_static_selectorELNS0_4arch9wavefront6targetE1EEEvT1_,comdat
.Lfunc_end932:
	.size	_ZN7rocprim17ROCPRIM_400000_NS6detail17trampoline_kernelINS0_14default_configENS1_25partition_config_selectorILNS1_17partition_subalgoE3EjNS0_10empty_typeEbEEZZNS1_14partition_implILS5_3ELb0ES3_jN6thrust23THRUST_200600_302600_NS6detail15normal_iteratorINSA_7pointerIjNSA_11hip_rocprim3tagENSA_11use_defaultESG_EEEEPS6_SJ_NS0_5tupleIJPjSJ_EEENSK_IJSJ_SJ_EEES6_PlJ7is_evenIjEEEE10hipError_tPvRmT3_T4_T5_T6_T7_T9_mT8_P12ihipStream_tbDpT10_ENKUlT_T0_E_clISt17integral_constantIbLb1EES1A_EEDaS15_S16_EUlS15_E_NS1_11comp_targetILNS1_3genE10ELNS1_11target_archE1200ELNS1_3gpuE4ELNS1_3repE0EEENS1_30default_config_static_selectorELNS0_4arch9wavefront6targetE1EEEvT1_, .Lfunc_end932-_ZN7rocprim17ROCPRIM_400000_NS6detail17trampoline_kernelINS0_14default_configENS1_25partition_config_selectorILNS1_17partition_subalgoE3EjNS0_10empty_typeEbEEZZNS1_14partition_implILS5_3ELb0ES3_jN6thrust23THRUST_200600_302600_NS6detail15normal_iteratorINSA_7pointerIjNSA_11hip_rocprim3tagENSA_11use_defaultESG_EEEEPS6_SJ_NS0_5tupleIJPjSJ_EEENSK_IJSJ_SJ_EEES6_PlJ7is_evenIjEEEE10hipError_tPvRmT3_T4_T5_T6_T7_T9_mT8_P12ihipStream_tbDpT10_ENKUlT_T0_E_clISt17integral_constantIbLb1EES1A_EEDaS15_S16_EUlS15_E_NS1_11comp_targetILNS1_3genE10ELNS1_11target_archE1200ELNS1_3gpuE4ELNS1_3repE0EEENS1_30default_config_static_selectorELNS0_4arch9wavefront6targetE1EEEvT1_
                                        ; -- End function
	.section	.AMDGPU.csdata,"",@progbits
; Kernel info:
; codeLenInByte = 0
; NumSgprs: 6
; NumVgprs: 0
; NumAgprs: 0
; TotalNumVgprs: 0
; ScratchSize: 0
; MemoryBound: 0
; FloatMode: 240
; IeeeMode: 1
; LDSByteSize: 0 bytes/workgroup (compile time only)
; SGPRBlocks: 0
; VGPRBlocks: 0
; NumSGPRsForWavesPerEU: 6
; NumVGPRsForWavesPerEU: 1
; AccumOffset: 4
; Occupancy: 8
; WaveLimiterHint : 0
; COMPUTE_PGM_RSRC2:SCRATCH_EN: 0
; COMPUTE_PGM_RSRC2:USER_SGPR: 2
; COMPUTE_PGM_RSRC2:TRAP_HANDLER: 0
; COMPUTE_PGM_RSRC2:TGID_X_EN: 1
; COMPUTE_PGM_RSRC2:TGID_Y_EN: 0
; COMPUTE_PGM_RSRC2:TGID_Z_EN: 0
; COMPUTE_PGM_RSRC2:TIDIG_COMP_CNT: 0
; COMPUTE_PGM_RSRC3_GFX90A:ACCUM_OFFSET: 0
; COMPUTE_PGM_RSRC3_GFX90A:TG_SPLIT: 0
	.section	.text._ZN7rocprim17ROCPRIM_400000_NS6detail17trampoline_kernelINS0_14default_configENS1_25partition_config_selectorILNS1_17partition_subalgoE3EjNS0_10empty_typeEbEEZZNS1_14partition_implILS5_3ELb0ES3_jN6thrust23THRUST_200600_302600_NS6detail15normal_iteratorINSA_7pointerIjNSA_11hip_rocprim3tagENSA_11use_defaultESG_EEEEPS6_SJ_NS0_5tupleIJPjSJ_EEENSK_IJSJ_SJ_EEES6_PlJ7is_evenIjEEEE10hipError_tPvRmT3_T4_T5_T6_T7_T9_mT8_P12ihipStream_tbDpT10_ENKUlT_T0_E_clISt17integral_constantIbLb1EES1A_EEDaS15_S16_EUlS15_E_NS1_11comp_targetILNS1_3genE9ELNS1_11target_archE1100ELNS1_3gpuE3ELNS1_3repE0EEENS1_30default_config_static_selectorELNS0_4arch9wavefront6targetE1EEEvT1_,"axG",@progbits,_ZN7rocprim17ROCPRIM_400000_NS6detail17trampoline_kernelINS0_14default_configENS1_25partition_config_selectorILNS1_17partition_subalgoE3EjNS0_10empty_typeEbEEZZNS1_14partition_implILS5_3ELb0ES3_jN6thrust23THRUST_200600_302600_NS6detail15normal_iteratorINSA_7pointerIjNSA_11hip_rocprim3tagENSA_11use_defaultESG_EEEEPS6_SJ_NS0_5tupleIJPjSJ_EEENSK_IJSJ_SJ_EEES6_PlJ7is_evenIjEEEE10hipError_tPvRmT3_T4_T5_T6_T7_T9_mT8_P12ihipStream_tbDpT10_ENKUlT_T0_E_clISt17integral_constantIbLb1EES1A_EEDaS15_S16_EUlS15_E_NS1_11comp_targetILNS1_3genE9ELNS1_11target_archE1100ELNS1_3gpuE3ELNS1_3repE0EEENS1_30default_config_static_selectorELNS0_4arch9wavefront6targetE1EEEvT1_,comdat
	.protected	_ZN7rocprim17ROCPRIM_400000_NS6detail17trampoline_kernelINS0_14default_configENS1_25partition_config_selectorILNS1_17partition_subalgoE3EjNS0_10empty_typeEbEEZZNS1_14partition_implILS5_3ELb0ES3_jN6thrust23THRUST_200600_302600_NS6detail15normal_iteratorINSA_7pointerIjNSA_11hip_rocprim3tagENSA_11use_defaultESG_EEEEPS6_SJ_NS0_5tupleIJPjSJ_EEENSK_IJSJ_SJ_EEES6_PlJ7is_evenIjEEEE10hipError_tPvRmT3_T4_T5_T6_T7_T9_mT8_P12ihipStream_tbDpT10_ENKUlT_T0_E_clISt17integral_constantIbLb1EES1A_EEDaS15_S16_EUlS15_E_NS1_11comp_targetILNS1_3genE9ELNS1_11target_archE1100ELNS1_3gpuE3ELNS1_3repE0EEENS1_30default_config_static_selectorELNS0_4arch9wavefront6targetE1EEEvT1_ ; -- Begin function _ZN7rocprim17ROCPRIM_400000_NS6detail17trampoline_kernelINS0_14default_configENS1_25partition_config_selectorILNS1_17partition_subalgoE3EjNS0_10empty_typeEbEEZZNS1_14partition_implILS5_3ELb0ES3_jN6thrust23THRUST_200600_302600_NS6detail15normal_iteratorINSA_7pointerIjNSA_11hip_rocprim3tagENSA_11use_defaultESG_EEEEPS6_SJ_NS0_5tupleIJPjSJ_EEENSK_IJSJ_SJ_EEES6_PlJ7is_evenIjEEEE10hipError_tPvRmT3_T4_T5_T6_T7_T9_mT8_P12ihipStream_tbDpT10_ENKUlT_T0_E_clISt17integral_constantIbLb1EES1A_EEDaS15_S16_EUlS15_E_NS1_11comp_targetILNS1_3genE9ELNS1_11target_archE1100ELNS1_3gpuE3ELNS1_3repE0EEENS1_30default_config_static_selectorELNS0_4arch9wavefront6targetE1EEEvT1_
	.globl	_ZN7rocprim17ROCPRIM_400000_NS6detail17trampoline_kernelINS0_14default_configENS1_25partition_config_selectorILNS1_17partition_subalgoE3EjNS0_10empty_typeEbEEZZNS1_14partition_implILS5_3ELb0ES3_jN6thrust23THRUST_200600_302600_NS6detail15normal_iteratorINSA_7pointerIjNSA_11hip_rocprim3tagENSA_11use_defaultESG_EEEEPS6_SJ_NS0_5tupleIJPjSJ_EEENSK_IJSJ_SJ_EEES6_PlJ7is_evenIjEEEE10hipError_tPvRmT3_T4_T5_T6_T7_T9_mT8_P12ihipStream_tbDpT10_ENKUlT_T0_E_clISt17integral_constantIbLb1EES1A_EEDaS15_S16_EUlS15_E_NS1_11comp_targetILNS1_3genE9ELNS1_11target_archE1100ELNS1_3gpuE3ELNS1_3repE0EEENS1_30default_config_static_selectorELNS0_4arch9wavefront6targetE1EEEvT1_
	.p2align	8
	.type	_ZN7rocprim17ROCPRIM_400000_NS6detail17trampoline_kernelINS0_14default_configENS1_25partition_config_selectorILNS1_17partition_subalgoE3EjNS0_10empty_typeEbEEZZNS1_14partition_implILS5_3ELb0ES3_jN6thrust23THRUST_200600_302600_NS6detail15normal_iteratorINSA_7pointerIjNSA_11hip_rocprim3tagENSA_11use_defaultESG_EEEEPS6_SJ_NS0_5tupleIJPjSJ_EEENSK_IJSJ_SJ_EEES6_PlJ7is_evenIjEEEE10hipError_tPvRmT3_T4_T5_T6_T7_T9_mT8_P12ihipStream_tbDpT10_ENKUlT_T0_E_clISt17integral_constantIbLb1EES1A_EEDaS15_S16_EUlS15_E_NS1_11comp_targetILNS1_3genE9ELNS1_11target_archE1100ELNS1_3gpuE3ELNS1_3repE0EEENS1_30default_config_static_selectorELNS0_4arch9wavefront6targetE1EEEvT1_,@function
_ZN7rocprim17ROCPRIM_400000_NS6detail17trampoline_kernelINS0_14default_configENS1_25partition_config_selectorILNS1_17partition_subalgoE3EjNS0_10empty_typeEbEEZZNS1_14partition_implILS5_3ELb0ES3_jN6thrust23THRUST_200600_302600_NS6detail15normal_iteratorINSA_7pointerIjNSA_11hip_rocprim3tagENSA_11use_defaultESG_EEEEPS6_SJ_NS0_5tupleIJPjSJ_EEENSK_IJSJ_SJ_EEES6_PlJ7is_evenIjEEEE10hipError_tPvRmT3_T4_T5_T6_T7_T9_mT8_P12ihipStream_tbDpT10_ENKUlT_T0_E_clISt17integral_constantIbLb1EES1A_EEDaS15_S16_EUlS15_E_NS1_11comp_targetILNS1_3genE9ELNS1_11target_archE1100ELNS1_3gpuE3ELNS1_3repE0EEENS1_30default_config_static_selectorELNS0_4arch9wavefront6targetE1EEEvT1_: ; @_ZN7rocprim17ROCPRIM_400000_NS6detail17trampoline_kernelINS0_14default_configENS1_25partition_config_selectorILNS1_17partition_subalgoE3EjNS0_10empty_typeEbEEZZNS1_14partition_implILS5_3ELb0ES3_jN6thrust23THRUST_200600_302600_NS6detail15normal_iteratorINSA_7pointerIjNSA_11hip_rocprim3tagENSA_11use_defaultESG_EEEEPS6_SJ_NS0_5tupleIJPjSJ_EEENSK_IJSJ_SJ_EEES6_PlJ7is_evenIjEEEE10hipError_tPvRmT3_T4_T5_T6_T7_T9_mT8_P12ihipStream_tbDpT10_ENKUlT_T0_E_clISt17integral_constantIbLb1EES1A_EEDaS15_S16_EUlS15_E_NS1_11comp_targetILNS1_3genE9ELNS1_11target_archE1100ELNS1_3gpuE3ELNS1_3repE0EEENS1_30default_config_static_selectorELNS0_4arch9wavefront6targetE1EEEvT1_
; %bb.0:
	.section	.rodata,"a",@progbits
	.p2align	6, 0x0
	.amdhsa_kernel _ZN7rocprim17ROCPRIM_400000_NS6detail17trampoline_kernelINS0_14default_configENS1_25partition_config_selectorILNS1_17partition_subalgoE3EjNS0_10empty_typeEbEEZZNS1_14partition_implILS5_3ELb0ES3_jN6thrust23THRUST_200600_302600_NS6detail15normal_iteratorINSA_7pointerIjNSA_11hip_rocprim3tagENSA_11use_defaultESG_EEEEPS6_SJ_NS0_5tupleIJPjSJ_EEENSK_IJSJ_SJ_EEES6_PlJ7is_evenIjEEEE10hipError_tPvRmT3_T4_T5_T6_T7_T9_mT8_P12ihipStream_tbDpT10_ENKUlT_T0_E_clISt17integral_constantIbLb1EES1A_EEDaS15_S16_EUlS15_E_NS1_11comp_targetILNS1_3genE9ELNS1_11target_archE1100ELNS1_3gpuE3ELNS1_3repE0EEENS1_30default_config_static_selectorELNS0_4arch9wavefront6targetE1EEEvT1_
		.amdhsa_group_segment_fixed_size 0
		.amdhsa_private_segment_fixed_size 0
		.amdhsa_kernarg_size 136
		.amdhsa_user_sgpr_count 2
		.amdhsa_user_sgpr_dispatch_ptr 0
		.amdhsa_user_sgpr_queue_ptr 0
		.amdhsa_user_sgpr_kernarg_segment_ptr 1
		.amdhsa_user_sgpr_dispatch_id 0
		.amdhsa_user_sgpr_kernarg_preload_length 0
		.amdhsa_user_sgpr_kernarg_preload_offset 0
		.amdhsa_user_sgpr_private_segment_size 0
		.amdhsa_uses_dynamic_stack 0
		.amdhsa_enable_private_segment 0
		.amdhsa_system_sgpr_workgroup_id_x 1
		.amdhsa_system_sgpr_workgroup_id_y 0
		.amdhsa_system_sgpr_workgroup_id_z 0
		.amdhsa_system_sgpr_workgroup_info 0
		.amdhsa_system_vgpr_workitem_id 0
		.amdhsa_next_free_vgpr 1
		.amdhsa_next_free_sgpr 0
		.amdhsa_accum_offset 4
		.amdhsa_reserve_vcc 0
		.amdhsa_float_round_mode_32 0
		.amdhsa_float_round_mode_16_64 0
		.amdhsa_float_denorm_mode_32 3
		.amdhsa_float_denorm_mode_16_64 3
		.amdhsa_dx10_clamp 1
		.amdhsa_ieee_mode 1
		.amdhsa_fp16_overflow 0
		.amdhsa_tg_split 0
		.amdhsa_exception_fp_ieee_invalid_op 0
		.amdhsa_exception_fp_denorm_src 0
		.amdhsa_exception_fp_ieee_div_zero 0
		.amdhsa_exception_fp_ieee_overflow 0
		.amdhsa_exception_fp_ieee_underflow 0
		.amdhsa_exception_fp_ieee_inexact 0
		.amdhsa_exception_int_div_zero 0
	.end_amdhsa_kernel
	.section	.text._ZN7rocprim17ROCPRIM_400000_NS6detail17trampoline_kernelINS0_14default_configENS1_25partition_config_selectorILNS1_17partition_subalgoE3EjNS0_10empty_typeEbEEZZNS1_14partition_implILS5_3ELb0ES3_jN6thrust23THRUST_200600_302600_NS6detail15normal_iteratorINSA_7pointerIjNSA_11hip_rocprim3tagENSA_11use_defaultESG_EEEEPS6_SJ_NS0_5tupleIJPjSJ_EEENSK_IJSJ_SJ_EEES6_PlJ7is_evenIjEEEE10hipError_tPvRmT3_T4_T5_T6_T7_T9_mT8_P12ihipStream_tbDpT10_ENKUlT_T0_E_clISt17integral_constantIbLb1EES1A_EEDaS15_S16_EUlS15_E_NS1_11comp_targetILNS1_3genE9ELNS1_11target_archE1100ELNS1_3gpuE3ELNS1_3repE0EEENS1_30default_config_static_selectorELNS0_4arch9wavefront6targetE1EEEvT1_,"axG",@progbits,_ZN7rocprim17ROCPRIM_400000_NS6detail17trampoline_kernelINS0_14default_configENS1_25partition_config_selectorILNS1_17partition_subalgoE3EjNS0_10empty_typeEbEEZZNS1_14partition_implILS5_3ELb0ES3_jN6thrust23THRUST_200600_302600_NS6detail15normal_iteratorINSA_7pointerIjNSA_11hip_rocprim3tagENSA_11use_defaultESG_EEEEPS6_SJ_NS0_5tupleIJPjSJ_EEENSK_IJSJ_SJ_EEES6_PlJ7is_evenIjEEEE10hipError_tPvRmT3_T4_T5_T6_T7_T9_mT8_P12ihipStream_tbDpT10_ENKUlT_T0_E_clISt17integral_constantIbLb1EES1A_EEDaS15_S16_EUlS15_E_NS1_11comp_targetILNS1_3genE9ELNS1_11target_archE1100ELNS1_3gpuE3ELNS1_3repE0EEENS1_30default_config_static_selectorELNS0_4arch9wavefront6targetE1EEEvT1_,comdat
.Lfunc_end933:
	.size	_ZN7rocprim17ROCPRIM_400000_NS6detail17trampoline_kernelINS0_14default_configENS1_25partition_config_selectorILNS1_17partition_subalgoE3EjNS0_10empty_typeEbEEZZNS1_14partition_implILS5_3ELb0ES3_jN6thrust23THRUST_200600_302600_NS6detail15normal_iteratorINSA_7pointerIjNSA_11hip_rocprim3tagENSA_11use_defaultESG_EEEEPS6_SJ_NS0_5tupleIJPjSJ_EEENSK_IJSJ_SJ_EEES6_PlJ7is_evenIjEEEE10hipError_tPvRmT3_T4_T5_T6_T7_T9_mT8_P12ihipStream_tbDpT10_ENKUlT_T0_E_clISt17integral_constantIbLb1EES1A_EEDaS15_S16_EUlS15_E_NS1_11comp_targetILNS1_3genE9ELNS1_11target_archE1100ELNS1_3gpuE3ELNS1_3repE0EEENS1_30default_config_static_selectorELNS0_4arch9wavefront6targetE1EEEvT1_, .Lfunc_end933-_ZN7rocprim17ROCPRIM_400000_NS6detail17trampoline_kernelINS0_14default_configENS1_25partition_config_selectorILNS1_17partition_subalgoE3EjNS0_10empty_typeEbEEZZNS1_14partition_implILS5_3ELb0ES3_jN6thrust23THRUST_200600_302600_NS6detail15normal_iteratorINSA_7pointerIjNSA_11hip_rocprim3tagENSA_11use_defaultESG_EEEEPS6_SJ_NS0_5tupleIJPjSJ_EEENSK_IJSJ_SJ_EEES6_PlJ7is_evenIjEEEE10hipError_tPvRmT3_T4_T5_T6_T7_T9_mT8_P12ihipStream_tbDpT10_ENKUlT_T0_E_clISt17integral_constantIbLb1EES1A_EEDaS15_S16_EUlS15_E_NS1_11comp_targetILNS1_3genE9ELNS1_11target_archE1100ELNS1_3gpuE3ELNS1_3repE0EEENS1_30default_config_static_selectorELNS0_4arch9wavefront6targetE1EEEvT1_
                                        ; -- End function
	.section	.AMDGPU.csdata,"",@progbits
; Kernel info:
; codeLenInByte = 0
; NumSgprs: 6
; NumVgprs: 0
; NumAgprs: 0
; TotalNumVgprs: 0
; ScratchSize: 0
; MemoryBound: 0
; FloatMode: 240
; IeeeMode: 1
; LDSByteSize: 0 bytes/workgroup (compile time only)
; SGPRBlocks: 0
; VGPRBlocks: 0
; NumSGPRsForWavesPerEU: 6
; NumVGPRsForWavesPerEU: 1
; AccumOffset: 4
; Occupancy: 8
; WaveLimiterHint : 0
; COMPUTE_PGM_RSRC2:SCRATCH_EN: 0
; COMPUTE_PGM_RSRC2:USER_SGPR: 2
; COMPUTE_PGM_RSRC2:TRAP_HANDLER: 0
; COMPUTE_PGM_RSRC2:TGID_X_EN: 1
; COMPUTE_PGM_RSRC2:TGID_Y_EN: 0
; COMPUTE_PGM_RSRC2:TGID_Z_EN: 0
; COMPUTE_PGM_RSRC2:TIDIG_COMP_CNT: 0
; COMPUTE_PGM_RSRC3_GFX90A:ACCUM_OFFSET: 0
; COMPUTE_PGM_RSRC3_GFX90A:TG_SPLIT: 0
	.section	.text._ZN7rocprim17ROCPRIM_400000_NS6detail17trampoline_kernelINS0_14default_configENS1_25partition_config_selectorILNS1_17partition_subalgoE3EjNS0_10empty_typeEbEEZZNS1_14partition_implILS5_3ELb0ES3_jN6thrust23THRUST_200600_302600_NS6detail15normal_iteratorINSA_7pointerIjNSA_11hip_rocprim3tagENSA_11use_defaultESG_EEEEPS6_SJ_NS0_5tupleIJPjSJ_EEENSK_IJSJ_SJ_EEES6_PlJ7is_evenIjEEEE10hipError_tPvRmT3_T4_T5_T6_T7_T9_mT8_P12ihipStream_tbDpT10_ENKUlT_T0_E_clISt17integral_constantIbLb1EES1A_EEDaS15_S16_EUlS15_E_NS1_11comp_targetILNS1_3genE8ELNS1_11target_archE1030ELNS1_3gpuE2ELNS1_3repE0EEENS1_30default_config_static_selectorELNS0_4arch9wavefront6targetE1EEEvT1_,"axG",@progbits,_ZN7rocprim17ROCPRIM_400000_NS6detail17trampoline_kernelINS0_14default_configENS1_25partition_config_selectorILNS1_17partition_subalgoE3EjNS0_10empty_typeEbEEZZNS1_14partition_implILS5_3ELb0ES3_jN6thrust23THRUST_200600_302600_NS6detail15normal_iteratorINSA_7pointerIjNSA_11hip_rocprim3tagENSA_11use_defaultESG_EEEEPS6_SJ_NS0_5tupleIJPjSJ_EEENSK_IJSJ_SJ_EEES6_PlJ7is_evenIjEEEE10hipError_tPvRmT3_T4_T5_T6_T7_T9_mT8_P12ihipStream_tbDpT10_ENKUlT_T0_E_clISt17integral_constantIbLb1EES1A_EEDaS15_S16_EUlS15_E_NS1_11comp_targetILNS1_3genE8ELNS1_11target_archE1030ELNS1_3gpuE2ELNS1_3repE0EEENS1_30default_config_static_selectorELNS0_4arch9wavefront6targetE1EEEvT1_,comdat
	.protected	_ZN7rocprim17ROCPRIM_400000_NS6detail17trampoline_kernelINS0_14default_configENS1_25partition_config_selectorILNS1_17partition_subalgoE3EjNS0_10empty_typeEbEEZZNS1_14partition_implILS5_3ELb0ES3_jN6thrust23THRUST_200600_302600_NS6detail15normal_iteratorINSA_7pointerIjNSA_11hip_rocprim3tagENSA_11use_defaultESG_EEEEPS6_SJ_NS0_5tupleIJPjSJ_EEENSK_IJSJ_SJ_EEES6_PlJ7is_evenIjEEEE10hipError_tPvRmT3_T4_T5_T6_T7_T9_mT8_P12ihipStream_tbDpT10_ENKUlT_T0_E_clISt17integral_constantIbLb1EES1A_EEDaS15_S16_EUlS15_E_NS1_11comp_targetILNS1_3genE8ELNS1_11target_archE1030ELNS1_3gpuE2ELNS1_3repE0EEENS1_30default_config_static_selectorELNS0_4arch9wavefront6targetE1EEEvT1_ ; -- Begin function _ZN7rocprim17ROCPRIM_400000_NS6detail17trampoline_kernelINS0_14default_configENS1_25partition_config_selectorILNS1_17partition_subalgoE3EjNS0_10empty_typeEbEEZZNS1_14partition_implILS5_3ELb0ES3_jN6thrust23THRUST_200600_302600_NS6detail15normal_iteratorINSA_7pointerIjNSA_11hip_rocprim3tagENSA_11use_defaultESG_EEEEPS6_SJ_NS0_5tupleIJPjSJ_EEENSK_IJSJ_SJ_EEES6_PlJ7is_evenIjEEEE10hipError_tPvRmT3_T4_T5_T6_T7_T9_mT8_P12ihipStream_tbDpT10_ENKUlT_T0_E_clISt17integral_constantIbLb1EES1A_EEDaS15_S16_EUlS15_E_NS1_11comp_targetILNS1_3genE8ELNS1_11target_archE1030ELNS1_3gpuE2ELNS1_3repE0EEENS1_30default_config_static_selectorELNS0_4arch9wavefront6targetE1EEEvT1_
	.globl	_ZN7rocprim17ROCPRIM_400000_NS6detail17trampoline_kernelINS0_14default_configENS1_25partition_config_selectorILNS1_17partition_subalgoE3EjNS0_10empty_typeEbEEZZNS1_14partition_implILS5_3ELb0ES3_jN6thrust23THRUST_200600_302600_NS6detail15normal_iteratorINSA_7pointerIjNSA_11hip_rocprim3tagENSA_11use_defaultESG_EEEEPS6_SJ_NS0_5tupleIJPjSJ_EEENSK_IJSJ_SJ_EEES6_PlJ7is_evenIjEEEE10hipError_tPvRmT3_T4_T5_T6_T7_T9_mT8_P12ihipStream_tbDpT10_ENKUlT_T0_E_clISt17integral_constantIbLb1EES1A_EEDaS15_S16_EUlS15_E_NS1_11comp_targetILNS1_3genE8ELNS1_11target_archE1030ELNS1_3gpuE2ELNS1_3repE0EEENS1_30default_config_static_selectorELNS0_4arch9wavefront6targetE1EEEvT1_
	.p2align	8
	.type	_ZN7rocprim17ROCPRIM_400000_NS6detail17trampoline_kernelINS0_14default_configENS1_25partition_config_selectorILNS1_17partition_subalgoE3EjNS0_10empty_typeEbEEZZNS1_14partition_implILS5_3ELb0ES3_jN6thrust23THRUST_200600_302600_NS6detail15normal_iteratorINSA_7pointerIjNSA_11hip_rocprim3tagENSA_11use_defaultESG_EEEEPS6_SJ_NS0_5tupleIJPjSJ_EEENSK_IJSJ_SJ_EEES6_PlJ7is_evenIjEEEE10hipError_tPvRmT3_T4_T5_T6_T7_T9_mT8_P12ihipStream_tbDpT10_ENKUlT_T0_E_clISt17integral_constantIbLb1EES1A_EEDaS15_S16_EUlS15_E_NS1_11comp_targetILNS1_3genE8ELNS1_11target_archE1030ELNS1_3gpuE2ELNS1_3repE0EEENS1_30default_config_static_selectorELNS0_4arch9wavefront6targetE1EEEvT1_,@function
_ZN7rocprim17ROCPRIM_400000_NS6detail17trampoline_kernelINS0_14default_configENS1_25partition_config_selectorILNS1_17partition_subalgoE3EjNS0_10empty_typeEbEEZZNS1_14partition_implILS5_3ELb0ES3_jN6thrust23THRUST_200600_302600_NS6detail15normal_iteratorINSA_7pointerIjNSA_11hip_rocprim3tagENSA_11use_defaultESG_EEEEPS6_SJ_NS0_5tupleIJPjSJ_EEENSK_IJSJ_SJ_EEES6_PlJ7is_evenIjEEEE10hipError_tPvRmT3_T4_T5_T6_T7_T9_mT8_P12ihipStream_tbDpT10_ENKUlT_T0_E_clISt17integral_constantIbLb1EES1A_EEDaS15_S16_EUlS15_E_NS1_11comp_targetILNS1_3genE8ELNS1_11target_archE1030ELNS1_3gpuE2ELNS1_3repE0EEENS1_30default_config_static_selectorELNS0_4arch9wavefront6targetE1EEEvT1_: ; @_ZN7rocprim17ROCPRIM_400000_NS6detail17trampoline_kernelINS0_14default_configENS1_25partition_config_selectorILNS1_17partition_subalgoE3EjNS0_10empty_typeEbEEZZNS1_14partition_implILS5_3ELb0ES3_jN6thrust23THRUST_200600_302600_NS6detail15normal_iteratorINSA_7pointerIjNSA_11hip_rocprim3tagENSA_11use_defaultESG_EEEEPS6_SJ_NS0_5tupleIJPjSJ_EEENSK_IJSJ_SJ_EEES6_PlJ7is_evenIjEEEE10hipError_tPvRmT3_T4_T5_T6_T7_T9_mT8_P12ihipStream_tbDpT10_ENKUlT_T0_E_clISt17integral_constantIbLb1EES1A_EEDaS15_S16_EUlS15_E_NS1_11comp_targetILNS1_3genE8ELNS1_11target_archE1030ELNS1_3gpuE2ELNS1_3repE0EEENS1_30default_config_static_selectorELNS0_4arch9wavefront6targetE1EEEvT1_
; %bb.0:
	.section	.rodata,"a",@progbits
	.p2align	6, 0x0
	.amdhsa_kernel _ZN7rocprim17ROCPRIM_400000_NS6detail17trampoline_kernelINS0_14default_configENS1_25partition_config_selectorILNS1_17partition_subalgoE3EjNS0_10empty_typeEbEEZZNS1_14partition_implILS5_3ELb0ES3_jN6thrust23THRUST_200600_302600_NS6detail15normal_iteratorINSA_7pointerIjNSA_11hip_rocprim3tagENSA_11use_defaultESG_EEEEPS6_SJ_NS0_5tupleIJPjSJ_EEENSK_IJSJ_SJ_EEES6_PlJ7is_evenIjEEEE10hipError_tPvRmT3_T4_T5_T6_T7_T9_mT8_P12ihipStream_tbDpT10_ENKUlT_T0_E_clISt17integral_constantIbLb1EES1A_EEDaS15_S16_EUlS15_E_NS1_11comp_targetILNS1_3genE8ELNS1_11target_archE1030ELNS1_3gpuE2ELNS1_3repE0EEENS1_30default_config_static_selectorELNS0_4arch9wavefront6targetE1EEEvT1_
		.amdhsa_group_segment_fixed_size 0
		.amdhsa_private_segment_fixed_size 0
		.amdhsa_kernarg_size 136
		.amdhsa_user_sgpr_count 2
		.amdhsa_user_sgpr_dispatch_ptr 0
		.amdhsa_user_sgpr_queue_ptr 0
		.amdhsa_user_sgpr_kernarg_segment_ptr 1
		.amdhsa_user_sgpr_dispatch_id 0
		.amdhsa_user_sgpr_kernarg_preload_length 0
		.amdhsa_user_sgpr_kernarg_preload_offset 0
		.amdhsa_user_sgpr_private_segment_size 0
		.amdhsa_uses_dynamic_stack 0
		.amdhsa_enable_private_segment 0
		.amdhsa_system_sgpr_workgroup_id_x 1
		.amdhsa_system_sgpr_workgroup_id_y 0
		.amdhsa_system_sgpr_workgroup_id_z 0
		.amdhsa_system_sgpr_workgroup_info 0
		.amdhsa_system_vgpr_workitem_id 0
		.amdhsa_next_free_vgpr 1
		.amdhsa_next_free_sgpr 0
		.amdhsa_accum_offset 4
		.amdhsa_reserve_vcc 0
		.amdhsa_float_round_mode_32 0
		.amdhsa_float_round_mode_16_64 0
		.amdhsa_float_denorm_mode_32 3
		.amdhsa_float_denorm_mode_16_64 3
		.amdhsa_dx10_clamp 1
		.amdhsa_ieee_mode 1
		.amdhsa_fp16_overflow 0
		.amdhsa_tg_split 0
		.amdhsa_exception_fp_ieee_invalid_op 0
		.amdhsa_exception_fp_denorm_src 0
		.amdhsa_exception_fp_ieee_div_zero 0
		.amdhsa_exception_fp_ieee_overflow 0
		.amdhsa_exception_fp_ieee_underflow 0
		.amdhsa_exception_fp_ieee_inexact 0
		.amdhsa_exception_int_div_zero 0
	.end_amdhsa_kernel
	.section	.text._ZN7rocprim17ROCPRIM_400000_NS6detail17trampoline_kernelINS0_14default_configENS1_25partition_config_selectorILNS1_17partition_subalgoE3EjNS0_10empty_typeEbEEZZNS1_14partition_implILS5_3ELb0ES3_jN6thrust23THRUST_200600_302600_NS6detail15normal_iteratorINSA_7pointerIjNSA_11hip_rocprim3tagENSA_11use_defaultESG_EEEEPS6_SJ_NS0_5tupleIJPjSJ_EEENSK_IJSJ_SJ_EEES6_PlJ7is_evenIjEEEE10hipError_tPvRmT3_T4_T5_T6_T7_T9_mT8_P12ihipStream_tbDpT10_ENKUlT_T0_E_clISt17integral_constantIbLb1EES1A_EEDaS15_S16_EUlS15_E_NS1_11comp_targetILNS1_3genE8ELNS1_11target_archE1030ELNS1_3gpuE2ELNS1_3repE0EEENS1_30default_config_static_selectorELNS0_4arch9wavefront6targetE1EEEvT1_,"axG",@progbits,_ZN7rocprim17ROCPRIM_400000_NS6detail17trampoline_kernelINS0_14default_configENS1_25partition_config_selectorILNS1_17partition_subalgoE3EjNS0_10empty_typeEbEEZZNS1_14partition_implILS5_3ELb0ES3_jN6thrust23THRUST_200600_302600_NS6detail15normal_iteratorINSA_7pointerIjNSA_11hip_rocprim3tagENSA_11use_defaultESG_EEEEPS6_SJ_NS0_5tupleIJPjSJ_EEENSK_IJSJ_SJ_EEES6_PlJ7is_evenIjEEEE10hipError_tPvRmT3_T4_T5_T6_T7_T9_mT8_P12ihipStream_tbDpT10_ENKUlT_T0_E_clISt17integral_constantIbLb1EES1A_EEDaS15_S16_EUlS15_E_NS1_11comp_targetILNS1_3genE8ELNS1_11target_archE1030ELNS1_3gpuE2ELNS1_3repE0EEENS1_30default_config_static_selectorELNS0_4arch9wavefront6targetE1EEEvT1_,comdat
.Lfunc_end934:
	.size	_ZN7rocprim17ROCPRIM_400000_NS6detail17trampoline_kernelINS0_14default_configENS1_25partition_config_selectorILNS1_17partition_subalgoE3EjNS0_10empty_typeEbEEZZNS1_14partition_implILS5_3ELb0ES3_jN6thrust23THRUST_200600_302600_NS6detail15normal_iteratorINSA_7pointerIjNSA_11hip_rocprim3tagENSA_11use_defaultESG_EEEEPS6_SJ_NS0_5tupleIJPjSJ_EEENSK_IJSJ_SJ_EEES6_PlJ7is_evenIjEEEE10hipError_tPvRmT3_T4_T5_T6_T7_T9_mT8_P12ihipStream_tbDpT10_ENKUlT_T0_E_clISt17integral_constantIbLb1EES1A_EEDaS15_S16_EUlS15_E_NS1_11comp_targetILNS1_3genE8ELNS1_11target_archE1030ELNS1_3gpuE2ELNS1_3repE0EEENS1_30default_config_static_selectorELNS0_4arch9wavefront6targetE1EEEvT1_, .Lfunc_end934-_ZN7rocprim17ROCPRIM_400000_NS6detail17trampoline_kernelINS0_14default_configENS1_25partition_config_selectorILNS1_17partition_subalgoE3EjNS0_10empty_typeEbEEZZNS1_14partition_implILS5_3ELb0ES3_jN6thrust23THRUST_200600_302600_NS6detail15normal_iteratorINSA_7pointerIjNSA_11hip_rocprim3tagENSA_11use_defaultESG_EEEEPS6_SJ_NS0_5tupleIJPjSJ_EEENSK_IJSJ_SJ_EEES6_PlJ7is_evenIjEEEE10hipError_tPvRmT3_T4_T5_T6_T7_T9_mT8_P12ihipStream_tbDpT10_ENKUlT_T0_E_clISt17integral_constantIbLb1EES1A_EEDaS15_S16_EUlS15_E_NS1_11comp_targetILNS1_3genE8ELNS1_11target_archE1030ELNS1_3gpuE2ELNS1_3repE0EEENS1_30default_config_static_selectorELNS0_4arch9wavefront6targetE1EEEvT1_
                                        ; -- End function
	.section	.AMDGPU.csdata,"",@progbits
; Kernel info:
; codeLenInByte = 0
; NumSgprs: 6
; NumVgprs: 0
; NumAgprs: 0
; TotalNumVgprs: 0
; ScratchSize: 0
; MemoryBound: 0
; FloatMode: 240
; IeeeMode: 1
; LDSByteSize: 0 bytes/workgroup (compile time only)
; SGPRBlocks: 0
; VGPRBlocks: 0
; NumSGPRsForWavesPerEU: 6
; NumVGPRsForWavesPerEU: 1
; AccumOffset: 4
; Occupancy: 8
; WaveLimiterHint : 0
; COMPUTE_PGM_RSRC2:SCRATCH_EN: 0
; COMPUTE_PGM_RSRC2:USER_SGPR: 2
; COMPUTE_PGM_RSRC2:TRAP_HANDLER: 0
; COMPUTE_PGM_RSRC2:TGID_X_EN: 1
; COMPUTE_PGM_RSRC2:TGID_Y_EN: 0
; COMPUTE_PGM_RSRC2:TGID_Z_EN: 0
; COMPUTE_PGM_RSRC2:TIDIG_COMP_CNT: 0
; COMPUTE_PGM_RSRC3_GFX90A:ACCUM_OFFSET: 0
; COMPUTE_PGM_RSRC3_GFX90A:TG_SPLIT: 0
	.section	.text._ZN7rocprim17ROCPRIM_400000_NS6detail17trampoline_kernelINS0_14default_configENS1_25partition_config_selectorILNS1_17partition_subalgoE3EjNS0_10empty_typeEbEEZZNS1_14partition_implILS5_3ELb0ES3_jN6thrust23THRUST_200600_302600_NS6detail15normal_iteratorINSA_7pointerIjNSA_11hip_rocprim3tagENSA_11use_defaultESG_EEEEPS6_SJ_NS0_5tupleIJPjSJ_EEENSK_IJSJ_SJ_EEES6_PlJ7is_evenIjEEEE10hipError_tPvRmT3_T4_T5_T6_T7_T9_mT8_P12ihipStream_tbDpT10_ENKUlT_T0_E_clISt17integral_constantIbLb1EES19_IbLb0EEEEDaS15_S16_EUlS15_E_NS1_11comp_targetILNS1_3genE0ELNS1_11target_archE4294967295ELNS1_3gpuE0ELNS1_3repE0EEENS1_30default_config_static_selectorELNS0_4arch9wavefront6targetE1EEEvT1_,"axG",@progbits,_ZN7rocprim17ROCPRIM_400000_NS6detail17trampoline_kernelINS0_14default_configENS1_25partition_config_selectorILNS1_17partition_subalgoE3EjNS0_10empty_typeEbEEZZNS1_14partition_implILS5_3ELb0ES3_jN6thrust23THRUST_200600_302600_NS6detail15normal_iteratorINSA_7pointerIjNSA_11hip_rocprim3tagENSA_11use_defaultESG_EEEEPS6_SJ_NS0_5tupleIJPjSJ_EEENSK_IJSJ_SJ_EEES6_PlJ7is_evenIjEEEE10hipError_tPvRmT3_T4_T5_T6_T7_T9_mT8_P12ihipStream_tbDpT10_ENKUlT_T0_E_clISt17integral_constantIbLb1EES19_IbLb0EEEEDaS15_S16_EUlS15_E_NS1_11comp_targetILNS1_3genE0ELNS1_11target_archE4294967295ELNS1_3gpuE0ELNS1_3repE0EEENS1_30default_config_static_selectorELNS0_4arch9wavefront6targetE1EEEvT1_,comdat
	.protected	_ZN7rocprim17ROCPRIM_400000_NS6detail17trampoline_kernelINS0_14default_configENS1_25partition_config_selectorILNS1_17partition_subalgoE3EjNS0_10empty_typeEbEEZZNS1_14partition_implILS5_3ELb0ES3_jN6thrust23THRUST_200600_302600_NS6detail15normal_iteratorINSA_7pointerIjNSA_11hip_rocprim3tagENSA_11use_defaultESG_EEEEPS6_SJ_NS0_5tupleIJPjSJ_EEENSK_IJSJ_SJ_EEES6_PlJ7is_evenIjEEEE10hipError_tPvRmT3_T4_T5_T6_T7_T9_mT8_P12ihipStream_tbDpT10_ENKUlT_T0_E_clISt17integral_constantIbLb1EES19_IbLb0EEEEDaS15_S16_EUlS15_E_NS1_11comp_targetILNS1_3genE0ELNS1_11target_archE4294967295ELNS1_3gpuE0ELNS1_3repE0EEENS1_30default_config_static_selectorELNS0_4arch9wavefront6targetE1EEEvT1_ ; -- Begin function _ZN7rocprim17ROCPRIM_400000_NS6detail17trampoline_kernelINS0_14default_configENS1_25partition_config_selectorILNS1_17partition_subalgoE3EjNS0_10empty_typeEbEEZZNS1_14partition_implILS5_3ELb0ES3_jN6thrust23THRUST_200600_302600_NS6detail15normal_iteratorINSA_7pointerIjNSA_11hip_rocprim3tagENSA_11use_defaultESG_EEEEPS6_SJ_NS0_5tupleIJPjSJ_EEENSK_IJSJ_SJ_EEES6_PlJ7is_evenIjEEEE10hipError_tPvRmT3_T4_T5_T6_T7_T9_mT8_P12ihipStream_tbDpT10_ENKUlT_T0_E_clISt17integral_constantIbLb1EES19_IbLb0EEEEDaS15_S16_EUlS15_E_NS1_11comp_targetILNS1_3genE0ELNS1_11target_archE4294967295ELNS1_3gpuE0ELNS1_3repE0EEENS1_30default_config_static_selectorELNS0_4arch9wavefront6targetE1EEEvT1_
	.globl	_ZN7rocprim17ROCPRIM_400000_NS6detail17trampoline_kernelINS0_14default_configENS1_25partition_config_selectorILNS1_17partition_subalgoE3EjNS0_10empty_typeEbEEZZNS1_14partition_implILS5_3ELb0ES3_jN6thrust23THRUST_200600_302600_NS6detail15normal_iteratorINSA_7pointerIjNSA_11hip_rocprim3tagENSA_11use_defaultESG_EEEEPS6_SJ_NS0_5tupleIJPjSJ_EEENSK_IJSJ_SJ_EEES6_PlJ7is_evenIjEEEE10hipError_tPvRmT3_T4_T5_T6_T7_T9_mT8_P12ihipStream_tbDpT10_ENKUlT_T0_E_clISt17integral_constantIbLb1EES19_IbLb0EEEEDaS15_S16_EUlS15_E_NS1_11comp_targetILNS1_3genE0ELNS1_11target_archE4294967295ELNS1_3gpuE0ELNS1_3repE0EEENS1_30default_config_static_selectorELNS0_4arch9wavefront6targetE1EEEvT1_
	.p2align	8
	.type	_ZN7rocprim17ROCPRIM_400000_NS6detail17trampoline_kernelINS0_14default_configENS1_25partition_config_selectorILNS1_17partition_subalgoE3EjNS0_10empty_typeEbEEZZNS1_14partition_implILS5_3ELb0ES3_jN6thrust23THRUST_200600_302600_NS6detail15normal_iteratorINSA_7pointerIjNSA_11hip_rocprim3tagENSA_11use_defaultESG_EEEEPS6_SJ_NS0_5tupleIJPjSJ_EEENSK_IJSJ_SJ_EEES6_PlJ7is_evenIjEEEE10hipError_tPvRmT3_T4_T5_T6_T7_T9_mT8_P12ihipStream_tbDpT10_ENKUlT_T0_E_clISt17integral_constantIbLb1EES19_IbLb0EEEEDaS15_S16_EUlS15_E_NS1_11comp_targetILNS1_3genE0ELNS1_11target_archE4294967295ELNS1_3gpuE0ELNS1_3repE0EEENS1_30default_config_static_selectorELNS0_4arch9wavefront6targetE1EEEvT1_,@function
_ZN7rocprim17ROCPRIM_400000_NS6detail17trampoline_kernelINS0_14default_configENS1_25partition_config_selectorILNS1_17partition_subalgoE3EjNS0_10empty_typeEbEEZZNS1_14partition_implILS5_3ELb0ES3_jN6thrust23THRUST_200600_302600_NS6detail15normal_iteratorINSA_7pointerIjNSA_11hip_rocprim3tagENSA_11use_defaultESG_EEEEPS6_SJ_NS0_5tupleIJPjSJ_EEENSK_IJSJ_SJ_EEES6_PlJ7is_evenIjEEEE10hipError_tPvRmT3_T4_T5_T6_T7_T9_mT8_P12ihipStream_tbDpT10_ENKUlT_T0_E_clISt17integral_constantIbLb1EES19_IbLb0EEEEDaS15_S16_EUlS15_E_NS1_11comp_targetILNS1_3genE0ELNS1_11target_archE4294967295ELNS1_3gpuE0ELNS1_3repE0EEENS1_30default_config_static_selectorELNS0_4arch9wavefront6targetE1EEEvT1_: ; @_ZN7rocprim17ROCPRIM_400000_NS6detail17trampoline_kernelINS0_14default_configENS1_25partition_config_selectorILNS1_17partition_subalgoE3EjNS0_10empty_typeEbEEZZNS1_14partition_implILS5_3ELb0ES3_jN6thrust23THRUST_200600_302600_NS6detail15normal_iteratorINSA_7pointerIjNSA_11hip_rocprim3tagENSA_11use_defaultESG_EEEEPS6_SJ_NS0_5tupleIJPjSJ_EEENSK_IJSJ_SJ_EEES6_PlJ7is_evenIjEEEE10hipError_tPvRmT3_T4_T5_T6_T7_T9_mT8_P12ihipStream_tbDpT10_ENKUlT_T0_E_clISt17integral_constantIbLb1EES19_IbLb0EEEEDaS15_S16_EUlS15_E_NS1_11comp_targetILNS1_3genE0ELNS1_11target_archE4294967295ELNS1_3gpuE0ELNS1_3repE0EEENS1_30default_config_static_selectorELNS0_4arch9wavefront6targetE1EEEvT1_
; %bb.0:
	.section	.rodata,"a",@progbits
	.p2align	6, 0x0
	.amdhsa_kernel _ZN7rocprim17ROCPRIM_400000_NS6detail17trampoline_kernelINS0_14default_configENS1_25partition_config_selectorILNS1_17partition_subalgoE3EjNS0_10empty_typeEbEEZZNS1_14partition_implILS5_3ELb0ES3_jN6thrust23THRUST_200600_302600_NS6detail15normal_iteratorINSA_7pointerIjNSA_11hip_rocprim3tagENSA_11use_defaultESG_EEEEPS6_SJ_NS0_5tupleIJPjSJ_EEENSK_IJSJ_SJ_EEES6_PlJ7is_evenIjEEEE10hipError_tPvRmT3_T4_T5_T6_T7_T9_mT8_P12ihipStream_tbDpT10_ENKUlT_T0_E_clISt17integral_constantIbLb1EES19_IbLb0EEEEDaS15_S16_EUlS15_E_NS1_11comp_targetILNS1_3genE0ELNS1_11target_archE4294967295ELNS1_3gpuE0ELNS1_3repE0EEENS1_30default_config_static_selectorELNS0_4arch9wavefront6targetE1EEEvT1_
		.amdhsa_group_segment_fixed_size 0
		.amdhsa_private_segment_fixed_size 0
		.amdhsa_kernarg_size 120
		.amdhsa_user_sgpr_count 2
		.amdhsa_user_sgpr_dispatch_ptr 0
		.amdhsa_user_sgpr_queue_ptr 0
		.amdhsa_user_sgpr_kernarg_segment_ptr 1
		.amdhsa_user_sgpr_dispatch_id 0
		.amdhsa_user_sgpr_kernarg_preload_length 0
		.amdhsa_user_sgpr_kernarg_preload_offset 0
		.amdhsa_user_sgpr_private_segment_size 0
		.amdhsa_uses_dynamic_stack 0
		.amdhsa_enable_private_segment 0
		.amdhsa_system_sgpr_workgroup_id_x 1
		.amdhsa_system_sgpr_workgroup_id_y 0
		.amdhsa_system_sgpr_workgroup_id_z 0
		.amdhsa_system_sgpr_workgroup_info 0
		.amdhsa_system_vgpr_workitem_id 0
		.amdhsa_next_free_vgpr 1
		.amdhsa_next_free_sgpr 0
		.amdhsa_accum_offset 4
		.amdhsa_reserve_vcc 0
		.amdhsa_float_round_mode_32 0
		.amdhsa_float_round_mode_16_64 0
		.amdhsa_float_denorm_mode_32 3
		.amdhsa_float_denorm_mode_16_64 3
		.amdhsa_dx10_clamp 1
		.amdhsa_ieee_mode 1
		.amdhsa_fp16_overflow 0
		.amdhsa_tg_split 0
		.amdhsa_exception_fp_ieee_invalid_op 0
		.amdhsa_exception_fp_denorm_src 0
		.amdhsa_exception_fp_ieee_div_zero 0
		.amdhsa_exception_fp_ieee_overflow 0
		.amdhsa_exception_fp_ieee_underflow 0
		.amdhsa_exception_fp_ieee_inexact 0
		.amdhsa_exception_int_div_zero 0
	.end_amdhsa_kernel
	.section	.text._ZN7rocprim17ROCPRIM_400000_NS6detail17trampoline_kernelINS0_14default_configENS1_25partition_config_selectorILNS1_17partition_subalgoE3EjNS0_10empty_typeEbEEZZNS1_14partition_implILS5_3ELb0ES3_jN6thrust23THRUST_200600_302600_NS6detail15normal_iteratorINSA_7pointerIjNSA_11hip_rocprim3tagENSA_11use_defaultESG_EEEEPS6_SJ_NS0_5tupleIJPjSJ_EEENSK_IJSJ_SJ_EEES6_PlJ7is_evenIjEEEE10hipError_tPvRmT3_T4_T5_T6_T7_T9_mT8_P12ihipStream_tbDpT10_ENKUlT_T0_E_clISt17integral_constantIbLb1EES19_IbLb0EEEEDaS15_S16_EUlS15_E_NS1_11comp_targetILNS1_3genE0ELNS1_11target_archE4294967295ELNS1_3gpuE0ELNS1_3repE0EEENS1_30default_config_static_selectorELNS0_4arch9wavefront6targetE1EEEvT1_,"axG",@progbits,_ZN7rocprim17ROCPRIM_400000_NS6detail17trampoline_kernelINS0_14default_configENS1_25partition_config_selectorILNS1_17partition_subalgoE3EjNS0_10empty_typeEbEEZZNS1_14partition_implILS5_3ELb0ES3_jN6thrust23THRUST_200600_302600_NS6detail15normal_iteratorINSA_7pointerIjNSA_11hip_rocprim3tagENSA_11use_defaultESG_EEEEPS6_SJ_NS0_5tupleIJPjSJ_EEENSK_IJSJ_SJ_EEES6_PlJ7is_evenIjEEEE10hipError_tPvRmT3_T4_T5_T6_T7_T9_mT8_P12ihipStream_tbDpT10_ENKUlT_T0_E_clISt17integral_constantIbLb1EES19_IbLb0EEEEDaS15_S16_EUlS15_E_NS1_11comp_targetILNS1_3genE0ELNS1_11target_archE4294967295ELNS1_3gpuE0ELNS1_3repE0EEENS1_30default_config_static_selectorELNS0_4arch9wavefront6targetE1EEEvT1_,comdat
.Lfunc_end935:
	.size	_ZN7rocprim17ROCPRIM_400000_NS6detail17trampoline_kernelINS0_14default_configENS1_25partition_config_selectorILNS1_17partition_subalgoE3EjNS0_10empty_typeEbEEZZNS1_14partition_implILS5_3ELb0ES3_jN6thrust23THRUST_200600_302600_NS6detail15normal_iteratorINSA_7pointerIjNSA_11hip_rocprim3tagENSA_11use_defaultESG_EEEEPS6_SJ_NS0_5tupleIJPjSJ_EEENSK_IJSJ_SJ_EEES6_PlJ7is_evenIjEEEE10hipError_tPvRmT3_T4_T5_T6_T7_T9_mT8_P12ihipStream_tbDpT10_ENKUlT_T0_E_clISt17integral_constantIbLb1EES19_IbLb0EEEEDaS15_S16_EUlS15_E_NS1_11comp_targetILNS1_3genE0ELNS1_11target_archE4294967295ELNS1_3gpuE0ELNS1_3repE0EEENS1_30default_config_static_selectorELNS0_4arch9wavefront6targetE1EEEvT1_, .Lfunc_end935-_ZN7rocprim17ROCPRIM_400000_NS6detail17trampoline_kernelINS0_14default_configENS1_25partition_config_selectorILNS1_17partition_subalgoE3EjNS0_10empty_typeEbEEZZNS1_14partition_implILS5_3ELb0ES3_jN6thrust23THRUST_200600_302600_NS6detail15normal_iteratorINSA_7pointerIjNSA_11hip_rocprim3tagENSA_11use_defaultESG_EEEEPS6_SJ_NS0_5tupleIJPjSJ_EEENSK_IJSJ_SJ_EEES6_PlJ7is_evenIjEEEE10hipError_tPvRmT3_T4_T5_T6_T7_T9_mT8_P12ihipStream_tbDpT10_ENKUlT_T0_E_clISt17integral_constantIbLb1EES19_IbLb0EEEEDaS15_S16_EUlS15_E_NS1_11comp_targetILNS1_3genE0ELNS1_11target_archE4294967295ELNS1_3gpuE0ELNS1_3repE0EEENS1_30default_config_static_selectorELNS0_4arch9wavefront6targetE1EEEvT1_
                                        ; -- End function
	.section	.AMDGPU.csdata,"",@progbits
; Kernel info:
; codeLenInByte = 0
; NumSgprs: 6
; NumVgprs: 0
; NumAgprs: 0
; TotalNumVgprs: 0
; ScratchSize: 0
; MemoryBound: 0
; FloatMode: 240
; IeeeMode: 1
; LDSByteSize: 0 bytes/workgroup (compile time only)
; SGPRBlocks: 0
; VGPRBlocks: 0
; NumSGPRsForWavesPerEU: 6
; NumVGPRsForWavesPerEU: 1
; AccumOffset: 4
; Occupancy: 8
; WaveLimiterHint : 0
; COMPUTE_PGM_RSRC2:SCRATCH_EN: 0
; COMPUTE_PGM_RSRC2:USER_SGPR: 2
; COMPUTE_PGM_RSRC2:TRAP_HANDLER: 0
; COMPUTE_PGM_RSRC2:TGID_X_EN: 1
; COMPUTE_PGM_RSRC2:TGID_Y_EN: 0
; COMPUTE_PGM_RSRC2:TGID_Z_EN: 0
; COMPUTE_PGM_RSRC2:TIDIG_COMP_CNT: 0
; COMPUTE_PGM_RSRC3_GFX90A:ACCUM_OFFSET: 0
; COMPUTE_PGM_RSRC3_GFX90A:TG_SPLIT: 0
	.section	.text._ZN7rocprim17ROCPRIM_400000_NS6detail17trampoline_kernelINS0_14default_configENS1_25partition_config_selectorILNS1_17partition_subalgoE3EjNS0_10empty_typeEbEEZZNS1_14partition_implILS5_3ELb0ES3_jN6thrust23THRUST_200600_302600_NS6detail15normal_iteratorINSA_7pointerIjNSA_11hip_rocprim3tagENSA_11use_defaultESG_EEEEPS6_SJ_NS0_5tupleIJPjSJ_EEENSK_IJSJ_SJ_EEES6_PlJ7is_evenIjEEEE10hipError_tPvRmT3_T4_T5_T6_T7_T9_mT8_P12ihipStream_tbDpT10_ENKUlT_T0_E_clISt17integral_constantIbLb1EES19_IbLb0EEEEDaS15_S16_EUlS15_E_NS1_11comp_targetILNS1_3genE5ELNS1_11target_archE942ELNS1_3gpuE9ELNS1_3repE0EEENS1_30default_config_static_selectorELNS0_4arch9wavefront6targetE1EEEvT1_,"axG",@progbits,_ZN7rocprim17ROCPRIM_400000_NS6detail17trampoline_kernelINS0_14default_configENS1_25partition_config_selectorILNS1_17partition_subalgoE3EjNS0_10empty_typeEbEEZZNS1_14partition_implILS5_3ELb0ES3_jN6thrust23THRUST_200600_302600_NS6detail15normal_iteratorINSA_7pointerIjNSA_11hip_rocprim3tagENSA_11use_defaultESG_EEEEPS6_SJ_NS0_5tupleIJPjSJ_EEENSK_IJSJ_SJ_EEES6_PlJ7is_evenIjEEEE10hipError_tPvRmT3_T4_T5_T6_T7_T9_mT8_P12ihipStream_tbDpT10_ENKUlT_T0_E_clISt17integral_constantIbLb1EES19_IbLb0EEEEDaS15_S16_EUlS15_E_NS1_11comp_targetILNS1_3genE5ELNS1_11target_archE942ELNS1_3gpuE9ELNS1_3repE0EEENS1_30default_config_static_selectorELNS0_4arch9wavefront6targetE1EEEvT1_,comdat
	.protected	_ZN7rocprim17ROCPRIM_400000_NS6detail17trampoline_kernelINS0_14default_configENS1_25partition_config_selectorILNS1_17partition_subalgoE3EjNS0_10empty_typeEbEEZZNS1_14partition_implILS5_3ELb0ES3_jN6thrust23THRUST_200600_302600_NS6detail15normal_iteratorINSA_7pointerIjNSA_11hip_rocprim3tagENSA_11use_defaultESG_EEEEPS6_SJ_NS0_5tupleIJPjSJ_EEENSK_IJSJ_SJ_EEES6_PlJ7is_evenIjEEEE10hipError_tPvRmT3_T4_T5_T6_T7_T9_mT8_P12ihipStream_tbDpT10_ENKUlT_T0_E_clISt17integral_constantIbLb1EES19_IbLb0EEEEDaS15_S16_EUlS15_E_NS1_11comp_targetILNS1_3genE5ELNS1_11target_archE942ELNS1_3gpuE9ELNS1_3repE0EEENS1_30default_config_static_selectorELNS0_4arch9wavefront6targetE1EEEvT1_ ; -- Begin function _ZN7rocprim17ROCPRIM_400000_NS6detail17trampoline_kernelINS0_14default_configENS1_25partition_config_selectorILNS1_17partition_subalgoE3EjNS0_10empty_typeEbEEZZNS1_14partition_implILS5_3ELb0ES3_jN6thrust23THRUST_200600_302600_NS6detail15normal_iteratorINSA_7pointerIjNSA_11hip_rocprim3tagENSA_11use_defaultESG_EEEEPS6_SJ_NS0_5tupleIJPjSJ_EEENSK_IJSJ_SJ_EEES6_PlJ7is_evenIjEEEE10hipError_tPvRmT3_T4_T5_T6_T7_T9_mT8_P12ihipStream_tbDpT10_ENKUlT_T0_E_clISt17integral_constantIbLb1EES19_IbLb0EEEEDaS15_S16_EUlS15_E_NS1_11comp_targetILNS1_3genE5ELNS1_11target_archE942ELNS1_3gpuE9ELNS1_3repE0EEENS1_30default_config_static_selectorELNS0_4arch9wavefront6targetE1EEEvT1_
	.globl	_ZN7rocprim17ROCPRIM_400000_NS6detail17trampoline_kernelINS0_14default_configENS1_25partition_config_selectorILNS1_17partition_subalgoE3EjNS0_10empty_typeEbEEZZNS1_14partition_implILS5_3ELb0ES3_jN6thrust23THRUST_200600_302600_NS6detail15normal_iteratorINSA_7pointerIjNSA_11hip_rocprim3tagENSA_11use_defaultESG_EEEEPS6_SJ_NS0_5tupleIJPjSJ_EEENSK_IJSJ_SJ_EEES6_PlJ7is_evenIjEEEE10hipError_tPvRmT3_T4_T5_T6_T7_T9_mT8_P12ihipStream_tbDpT10_ENKUlT_T0_E_clISt17integral_constantIbLb1EES19_IbLb0EEEEDaS15_S16_EUlS15_E_NS1_11comp_targetILNS1_3genE5ELNS1_11target_archE942ELNS1_3gpuE9ELNS1_3repE0EEENS1_30default_config_static_selectorELNS0_4arch9wavefront6targetE1EEEvT1_
	.p2align	8
	.type	_ZN7rocprim17ROCPRIM_400000_NS6detail17trampoline_kernelINS0_14default_configENS1_25partition_config_selectorILNS1_17partition_subalgoE3EjNS0_10empty_typeEbEEZZNS1_14partition_implILS5_3ELb0ES3_jN6thrust23THRUST_200600_302600_NS6detail15normal_iteratorINSA_7pointerIjNSA_11hip_rocprim3tagENSA_11use_defaultESG_EEEEPS6_SJ_NS0_5tupleIJPjSJ_EEENSK_IJSJ_SJ_EEES6_PlJ7is_evenIjEEEE10hipError_tPvRmT3_T4_T5_T6_T7_T9_mT8_P12ihipStream_tbDpT10_ENKUlT_T0_E_clISt17integral_constantIbLb1EES19_IbLb0EEEEDaS15_S16_EUlS15_E_NS1_11comp_targetILNS1_3genE5ELNS1_11target_archE942ELNS1_3gpuE9ELNS1_3repE0EEENS1_30default_config_static_selectorELNS0_4arch9wavefront6targetE1EEEvT1_,@function
_ZN7rocprim17ROCPRIM_400000_NS6detail17trampoline_kernelINS0_14default_configENS1_25partition_config_selectorILNS1_17partition_subalgoE3EjNS0_10empty_typeEbEEZZNS1_14partition_implILS5_3ELb0ES3_jN6thrust23THRUST_200600_302600_NS6detail15normal_iteratorINSA_7pointerIjNSA_11hip_rocprim3tagENSA_11use_defaultESG_EEEEPS6_SJ_NS0_5tupleIJPjSJ_EEENSK_IJSJ_SJ_EEES6_PlJ7is_evenIjEEEE10hipError_tPvRmT3_T4_T5_T6_T7_T9_mT8_P12ihipStream_tbDpT10_ENKUlT_T0_E_clISt17integral_constantIbLb1EES19_IbLb0EEEEDaS15_S16_EUlS15_E_NS1_11comp_targetILNS1_3genE5ELNS1_11target_archE942ELNS1_3gpuE9ELNS1_3repE0EEENS1_30default_config_static_selectorELNS0_4arch9wavefront6targetE1EEEvT1_: ; @_ZN7rocprim17ROCPRIM_400000_NS6detail17trampoline_kernelINS0_14default_configENS1_25partition_config_selectorILNS1_17partition_subalgoE3EjNS0_10empty_typeEbEEZZNS1_14partition_implILS5_3ELb0ES3_jN6thrust23THRUST_200600_302600_NS6detail15normal_iteratorINSA_7pointerIjNSA_11hip_rocprim3tagENSA_11use_defaultESG_EEEEPS6_SJ_NS0_5tupleIJPjSJ_EEENSK_IJSJ_SJ_EEES6_PlJ7is_evenIjEEEE10hipError_tPvRmT3_T4_T5_T6_T7_T9_mT8_P12ihipStream_tbDpT10_ENKUlT_T0_E_clISt17integral_constantIbLb1EES19_IbLb0EEEEDaS15_S16_EUlS15_E_NS1_11comp_targetILNS1_3genE5ELNS1_11target_archE942ELNS1_3gpuE9ELNS1_3repE0EEENS1_30default_config_static_selectorELNS0_4arch9wavefront6targetE1EEEvT1_
; %bb.0:
	s_load_dwordx4 s[20:23], s[0:1], 0x8
	s_load_dwordx4 s[24:27], s[0:1], 0x48
	s_load_dwordx2 s[28:29], s[0:1], 0x58
	s_load_dword s3, s[0:1], 0x70
	s_mul_i32 s30, s2, 0x1e00
	s_waitcnt lgkmcnt(0)
	s_lshl_b64 s[4:5], s[22:23], 2
	s_add_u32 s8, s20, s4
	s_addc_u32 s9, s21, s5
	s_add_i32 s6, s3, -1
	s_mulk_i32 s3, 0x1e00
	s_add_i32 s4, s3, s22
	s_sub_i32 s33, s28, s4
	s_addk_i32 s33, 0x1e00
	s_add_u32 s4, s22, s3
	s_addc_u32 s5, s23, 0
	s_cmp_eq_u32 s2, s6
	s_load_dwordx2 s[34:35], s[26:27], 0x0
	v_mov_b64_e32 v[2:3], s[28:29]
	s_cselect_b64 s[26:27], -1, 0
	s_cmp_lg_u32 s2, s6
	s_mov_b32 s31, 0
	v_cmp_lt_u64_e32 vcc, s[4:5], v[2:3]
	s_cselect_b64 s[4:5], -1, 0
	s_or_b64 s[6:7], s[4:5], vcc
	s_lshl_b64 s[4:5], s[30:31], 2
	s_add_u32 s8, s8, s4
	s_addc_u32 s9, s9, s5
	s_mov_b64 s[4:5], -1
	s_and_b64 vcc, exec, s[6:7]
	v_lshlrev_b32_e32 v18, 2, v0
	s_cbranch_vccz .LBB936_2
; %bb.1:
	v_mov_b32_e32 v19, 0
	v_lshl_add_u64 v[2:3], s[8:9], 0, v[18:19]
	v_add_co_u32_e32 v4, vcc, 0x1000, v2
	s_mov_b64 s[4:5], 0
	s_nop 0
	v_addc_co_u32_e32 v5, vcc, 0, v3, vcc
	v_add_co_u32_e32 v6, vcc, 0x2000, v2
	s_nop 1
	v_addc_co_u32_e32 v7, vcc, 0, v3, vcc
	v_add_co_u32_e32 v8, vcc, 0x3000, v2
	s_nop 1
	v_addc_co_u32_e32 v9, vcc, 0, v3, vcc
	flat_load_dword v1, v[2:3]
	flat_load_dword v10, v[2:3] offset:2048
	flat_load_dword v11, v[4:5]
	flat_load_dword v12, v[4:5] offset:2048
	;; [unrolled: 2-line block ×4, first 2 shown]
	v_add_co_u32_e32 v4, vcc, 0x4000, v2
	s_nop 1
	v_addc_co_u32_e32 v5, vcc, 0, v3, vcc
	v_add_co_u32_e32 v6, vcc, 0x5000, v2
	s_nop 1
	v_addc_co_u32_e32 v7, vcc, 0, v3, vcc
	v_add_co_u32_e32 v8, vcc, 0x6000, v2
	s_nop 1
	v_addc_co_u32_e32 v9, vcc, 0, v3, vcc
	v_add_co_u32_e32 v2, vcc, 0x7000, v2
	s_nop 1
	v_addc_co_u32_e32 v3, vcc, 0, v3, vcc
	flat_load_dword v17, v[4:5]
	flat_load_dword v19, v[4:5] offset:2048
	flat_load_dword v20, v[6:7]
	flat_load_dword v21, v[6:7] offset:2048
	flat_load_dword v22, v[8:9]
	flat_load_dword v23, v[8:9] offset:2048
	flat_load_dword v24, v[2:3]
	s_waitcnt vmcnt(0) lgkmcnt(0)
	ds_write2st64_b32 v18, v1, v10 offset1:8
	ds_write2st64_b32 v18, v11, v12 offset0:16 offset1:24
	ds_write2st64_b32 v18, v13, v14 offset0:32 offset1:40
	;; [unrolled: 1-line block ×6, first 2 shown]
	ds_write_b32 v18, v24 offset:28672
	s_waitcnt lgkmcnt(0)
	s_barrier
.LBB936_2:
	s_andn2_b64 vcc, exec, s[4:5]
	v_cmp_gt_u32_e64 s[4:5], s33, v0
	s_cbranch_vccnz .LBB936_34
; %bb.3:
                                        ; implicit-def: $vgpr2_vgpr3_vgpr4_vgpr5_vgpr6_vgpr7_vgpr8_vgpr9_vgpr10_vgpr11_vgpr12_vgpr13_vgpr14_vgpr15_vgpr16_vgpr17
	s_and_saveexec_b64 s[10:11], s[4:5]
	s_cbranch_execz .LBB936_5
; %bb.4:
	v_mov_b32_e32 v19, 0
	v_lshl_add_u64 v[2:3], s[8:9], 0, v[18:19]
	flat_load_dword v2, v[2:3]
.LBB936_5:
	s_or_b64 exec, exec, s[10:11]
	v_or_b32_e32 v1, 0x200, v0
	v_cmp_gt_u32_e32 vcc, s33, v1
	s_and_saveexec_b64 s[4:5], vcc
	s_cbranch_execz .LBB936_7
; %bb.6:
	v_mov_b32_e32 v19, 0
	v_lshl_add_u64 v[20:21], s[8:9], 0, v[18:19]
	flat_load_dword v3, v[20:21] offset:2048
.LBB936_7:
	s_or_b64 exec, exec, s[4:5]
	v_or_b32_e32 v1, 0x400, v0
	v_cmp_gt_u32_e32 vcc, s33, v1
	s_and_saveexec_b64 s[4:5], vcc
	s_cbranch_execz .LBB936_9
; %bb.8:
	v_lshlrev_b32_e32 v20, 2, v1
	v_mov_b32_e32 v21, 0
	v_lshl_add_u64 v[20:21], s[8:9], 0, v[20:21]
	flat_load_dword v4, v[20:21]
.LBB936_9:
	s_or_b64 exec, exec, s[4:5]
	v_or_b32_e32 v1, 0x600, v0
	v_cmp_gt_u32_e32 vcc, s33, v1
	s_and_saveexec_b64 s[4:5], vcc
	s_cbranch_execz .LBB936_11
; %bb.10:
	v_lshlrev_b32_e32 v20, 2, v1
	v_mov_b32_e32 v21, 0
	v_lshl_add_u64 v[20:21], s[8:9], 0, v[20:21]
	flat_load_dword v5, v[20:21]
.LBB936_11:
	;; [unrolled: 11-line block ×13, first 2 shown]
	s_or_b64 exec, exec, s[4:5]
	s_waitcnt vmcnt(0) lgkmcnt(0)
	ds_write2st64_b32 v18, v2, v3 offset1:8
	ds_write2st64_b32 v18, v4, v5 offset0:16 offset1:24
	ds_write2st64_b32 v18, v6, v7 offset0:32 offset1:40
	ds_write2st64_b32 v18, v8, v9 offset0:48 offset1:56
	ds_write2st64_b32 v18, v10, v11 offset0:64 offset1:72
	ds_write2st64_b32 v18, v12, v13 offset0:80 offset1:88
	ds_write2st64_b32 v18, v14, v15 offset0:96 offset1:104
	ds_write_b32 v18, v16 offset:28672
	s_waitcnt lgkmcnt(0)
	s_barrier
.LBB936_34:
	v_mul_u32_u24_e32 v37, 15, v0
	v_lshlrev_b32_e32 v1, 2, v37
	s_waitcnt lgkmcnt(0)
	ds_read2_b32 v[34:35], v1 offset1:1
	ds_read2_b32 v[32:33], v1 offset0:2 offset1:3
	ds_read2_b32 v[30:31], v1 offset0:4 offset1:5
	;; [unrolled: 1-line block ×6, first 2 shown]
	ds_read_b32 v1, v1 offset:56
	v_cndmask_b32_e64 v2, 0, 1, s[6:7]
	v_cmp_ne_u32_e64 s[20:21], 1, v2
	s_andn2_b64 vcc, exec, s[6:7]
	s_waitcnt lgkmcnt(7)
	v_xor_b32_e32 v16, -1, v34
	v_xor_b32_e32 v15, -1, v35
	s_waitcnt lgkmcnt(6)
	v_xor_b32_e32 v14, -1, v32
	v_xor_b32_e32 v13, -1, v33
	;; [unrolled: 3-line block ×7, first 2 shown]
	s_waitcnt lgkmcnt(0)
	v_xor_b32_e32 v2, -1, v1
	s_barrier
	s_cbranch_vccnz .LBB936_36
; %bb.35:
	v_and_b32_e32 v50, 1, v16
	v_and_b32_e32 v49, 1, v15
	;; [unrolled: 1-line block ×15, first 2 shown]
	s_load_dwordx2 s[36:37], s[0:1], 0x68
	s_cbranch_execz .LBB936_37
	s_branch .LBB936_38
.LBB936_36:
                                        ; implicit-def: $vgpr19
                                        ; implicit-def: $vgpr36
                                        ; implicit-def: $vgpr38
                                        ; implicit-def: $vgpr39
                                        ; implicit-def: $vgpr40
                                        ; implicit-def: $vgpr41
                                        ; implicit-def: $vgpr42
                                        ; implicit-def: $vgpr43
                                        ; implicit-def: $vgpr44
                                        ; implicit-def: $vgpr50
                                        ; implicit-def: $vgpr49
                                        ; implicit-def: $vgpr48
                                        ; implicit-def: $vgpr47
                                        ; implicit-def: $vgpr46
                                        ; implicit-def: $vgpr45
	s_load_dwordx2 s[36:37], s[0:1], 0x68
.LBB936_37:
	v_add_u32_e32 v44, 1, v37
	v_cmp_gt_u32_e32 vcc, s33, v37
	v_add_u32_e32 v17, 2, v37
	v_add_u32_e32 v43, 3, v37
	v_cndmask_b32_e64 v45, 0, 1, vcc
	v_cmp_gt_u32_e32 vcc, s33, v44
	v_and_b32_e32 v50, v45, v16
	v_add_u32_e32 v19, 4, v37
	v_cndmask_b32_e64 v16, 0, 1, vcc
	v_cmp_gt_u32_e32 vcc, s33, v17
	v_and_b32_e32 v49, v16, v15
	;; [unrolled: 4-line block ×12, first 2 shown]
	s_nop 0
	v_cndmask_b32_e64 v5, 0, 1, vcc
	v_cmp_gt_u32_e32 vcc, s33, v52
	v_and_b32_e32 v38, v5, v4
	s_nop 0
	v_cndmask_b32_e64 v4, 0, 1, vcc
	v_cmp_gt_u32_e32 vcc, s33, v51
	v_and_b32_e32 v36, v4, v3
	s_nop 0
	v_cndmask_b32_e64 v3, 0, 1, vcc
	v_and_b32_e32 v19, v3, v2
.LBB936_38:
	v_and_b32_e32 v55, 0xff, v47
	v_and_b32_e32 v56, 0xff, v46
	;; [unrolled: 1-line block ×5, first 2 shown]
	v_add3_u32 v3, v56, v57, v55
	v_and_b32_e32 v51, 0xff, v50
	v_and_b32_e32 v58, 0xff, v44
	v_add3_u32 v3, v3, v54, v53
	v_and_b32_e32 v59, 0xff, v43
	v_and_b32_e32 v60, 0xff, v42
	;; [unrolled: 3-line block ×5, first 2 shown]
	v_add3_u32 v3, v3, v63, v64
	v_add3_u32 v68, v3, v65, v2
	v_mbcnt_lo_u32_b32 v2, -1, 0
	v_mbcnt_hi_u32_b32 v66, -1, v2
	v_and_b32_e32 v2, 15, v66
	v_cmp_eq_u32_e64 s[16:17], 0, v2
	v_cmp_lt_u32_e64 s[14:15], 1, v2
	v_cmp_lt_u32_e64 s[12:13], 3, v2
	;; [unrolled: 1-line block ×3, first 2 shown]
	v_and_b32_e32 v2, 16, v66
	v_cmp_eq_u32_e64 s[8:9], 0, v2
	v_or_b32_e32 v2, 63, v0
	s_cmp_lg_u32 s2, 0
	v_cmp_lt_u32_e64 s[4:5], 31, v66
	v_lshrrev_b32_e32 v67, 6, v0
	v_cmp_eq_u32_e64 s[6:7], v2, v0
	s_cbranch_scc0 .LBB936_69
; %bb.39:
	v_mov_b32_dpp v2, v68 row_shr:1 row_mask:0xf bank_mask:0xf
	v_cndmask_b32_e64 v2, v2, 0, s[16:17]
	v_add_u32_e32 v2, v2, v68
	s_nop 1
	v_mov_b32_dpp v3, v2 row_shr:2 row_mask:0xf bank_mask:0xf
	v_cndmask_b32_e64 v3, 0, v3, s[14:15]
	v_add_u32_e32 v2, v2, v3
	s_nop 1
	;; [unrolled: 4-line block ×4, first 2 shown]
	v_mov_b32_dpp v3, v2 row_bcast:15 row_mask:0xf bank_mask:0xf
	v_cndmask_b32_e64 v3, v3, 0, s[8:9]
	v_add_u32_e32 v2, v2, v3
	s_nop 1
	v_mov_b32_dpp v3, v2 row_bcast:31 row_mask:0xf bank_mask:0xf
	v_cndmask_b32_e64 v3, 0, v3, s[4:5]
	v_add_u32_e32 v2, v2, v3
	s_and_saveexec_b64 s[18:19], s[6:7]
	s_cbranch_execz .LBB936_41
; %bb.40:
	v_lshlrev_b32_e32 v3, 2, v67
	ds_write_b32 v3, v2
.LBB936_41:
	s_or_b64 exec, exec, s[18:19]
	v_cmp_gt_u32_e32 vcc, 8, v0
	s_waitcnt lgkmcnt(0)
	s_barrier
	s_and_saveexec_b64 s[18:19], vcc
	s_cbranch_execz .LBB936_43
; %bb.42:
	ds_read_b32 v3, v18
	v_and_b32_e32 v4, 7, v66
	v_cmp_ne_u32_e32 vcc, 0, v4
	s_waitcnt lgkmcnt(0)
	v_mov_b32_dpp v5, v3 row_shr:1 row_mask:0xf bank_mask:0xf
	v_cndmask_b32_e32 v5, 0, v5, vcc
	v_add_u32_e32 v3, v5, v3
	v_cmp_lt_u32_e32 vcc, 1, v4
	s_nop 0
	v_mov_b32_dpp v5, v3 row_shr:2 row_mask:0xf bank_mask:0xf
	v_cndmask_b32_e32 v5, 0, v5, vcc
	v_add_u32_e32 v3, v3, v5
	v_cmp_lt_u32_e32 vcc, 3, v4
	s_nop 0
	v_mov_b32_dpp v5, v3 row_shr:4 row_mask:0xf bank_mask:0xf
	v_cndmask_b32_e32 v4, 0, v5, vcc
	v_add_u32_e32 v3, v3, v4
	ds_write_b32 v18, v3
.LBB936_43:
	s_or_b64 exec, exec, s[18:19]
	v_cmp_gt_u32_e32 vcc, 64, v0
	v_cmp_lt_u32_e64 s[18:19], 63, v0
	s_waitcnt lgkmcnt(0)
	s_barrier
	s_waitcnt lgkmcnt(0)
                                        ; implicit-def: $vgpr12
	s_and_saveexec_b64 s[38:39], s[18:19]
	s_cbranch_execz .LBB936_45
; %bb.44:
	v_lshl_add_u32 v3, v67, 2, -4
	ds_read_b32 v12, v3
	s_waitcnt lgkmcnt(0)
	v_add_u32_e32 v2, v12, v2
.LBB936_45:
	s_or_b64 exec, exec, s[38:39]
	v_add_u32_e32 v3, -1, v66
	v_and_b32_e32 v4, 64, v66
	v_cmp_lt_i32_e64 s[18:19], v3, v4
	s_nop 1
	v_cndmask_b32_e64 v3, v3, v66, s[18:19]
	v_lshlrev_b32_e32 v3, 2, v3
	ds_bpermute_b32 v13, v3, v2
	v_cmp_eq_u32_e64 s[18:19], 0, v66
	s_and_saveexec_b64 s[38:39], vcc
	s_cbranch_execz .LBB936_68
; %bb.46:
	v_mov_b32_e32 v11, 0
	ds_read_b32 v2, v11 offset:28
	s_and_saveexec_b64 s[40:41], s[18:19]
	s_cbranch_execz .LBB936_48
; %bb.47:
	s_add_i32 s42, s2, 64
	s_mov_b32 s43, 0
	s_lshl_b64 s[42:43], s[42:43], 3
	s_add_u32 s42, s36, s42
	v_mov_b32_e32 v3, 1
	s_addc_u32 s43, s37, s43
	s_waitcnt lgkmcnt(0)
	global_store_dwordx2 v11, v[2:3], s[42:43] sc1
.LBB936_48:
	s_or_b64 exec, exec, s[40:41]
	v_xad_u32 v4, v66, -1, s2
	v_add_u32_e32 v10, 64, v4
	v_lshl_add_u64 v[6:7], v[10:11], 3, s[36:37]
	global_load_dwordx2 v[8:9], v[6:7], off sc1
	s_waitcnt vmcnt(0)
	v_cmp_eq_u16_sdwa s[42:43], v9, v11 src0_sel:BYTE_0 src1_sel:DWORD
	s_and_saveexec_b64 s[40:41], s[42:43]
	s_cbranch_execz .LBB936_54
; %bb.49:
	s_mov_b32 s3, 1
	s_mov_b64 s[42:43], 0
	v_mov_b32_e32 v3, 0
.LBB936_50:                             ; =>This Loop Header: Depth=1
                                        ;     Child Loop BB936_51 Depth 2
	s_max_u32 s31, s3, 1
.LBB936_51:                             ;   Parent Loop BB936_50 Depth=1
                                        ; =>  This Inner Loop Header: Depth=2
	s_add_i32 s31, s31, -1
	s_cmp_eq_u32 s31, 0
	s_sleep 1
	s_cbranch_scc0 .LBB936_51
; %bb.52:                               ;   in Loop: Header=BB936_50 Depth=1
	global_load_dwordx2 v[8:9], v[6:7], off sc1
	s_cmp_lt_u32 s3, 32
	s_cselect_b64 s[44:45], -1, 0
	s_cmp_lg_u64 s[44:45], 0
	s_addc_u32 s3, s3, 0
	s_waitcnt vmcnt(0)
	v_cmp_ne_u16_sdwa s[44:45], v9, v3 src0_sel:BYTE_0 src1_sel:DWORD
	s_or_b64 s[42:43], s[44:45], s[42:43]
	s_andn2_b64 exec, exec, s[42:43]
	s_cbranch_execnz .LBB936_50
; %bb.53:
	s_or_b64 exec, exec, s[42:43]
.LBB936_54:
	s_or_b64 exec, exec, s[40:41]
	v_and_b32_e32 v15, 63, v66
	v_mov_b32_e32 v14, 2
	v_cmp_ne_u32_e32 vcc, 63, v15
	v_cmp_eq_u16_sdwa s[40:41], v9, v14 src0_sel:BYTE_0 src1_sel:DWORD
	v_lshlrev_b64 v[6:7], v66, -1
	v_addc_co_u32_e32 v10, vcc, 0, v66, vcc
	v_and_b32_e32 v3, s41, v7
	v_lshlrev_b32_e32 v16, 2, v10
	v_or_b32_e32 v3, 0x80000000, v3
	ds_bpermute_b32 v10, v16, v8
	v_and_b32_e32 v5, s40, v6
	v_ffbl_b32_e32 v3, v3
	v_add_u32_e32 v3, 32, v3
	v_ffbl_b32_e32 v5, v5
	v_min_u32_e32 v3, v5, v3
	v_cmp_lt_u32_e32 vcc, v15, v3
	v_add_u32_e32 v20, 2, v15
	v_add_u32_e32 v52, 4, v15
	s_waitcnt lgkmcnt(0)
	v_cndmask_b32_e32 v5, 0, v10, vcc
	v_cmp_gt_u32_e32 vcc, 62, v15
	v_add_u32_e32 v5, v5, v8
	v_add_u32_e32 v70, 8, v15
	v_cndmask_b32_e64 v8, 0, 1, vcc
	v_lshlrev_b32_e32 v8, 1, v8
	v_add_lshl_u32 v17, v8, v66, 2
	ds_bpermute_b32 v8, v17, v5
	v_cmp_le_u32_e32 vcc, v20, v3
	v_add_u32_e32 v72, 16, v15
	v_add_u32_e32 v74, 32, v15
	s_waitcnt lgkmcnt(0)
	v_cndmask_b32_e32 v8, 0, v8, vcc
	v_cmp_gt_u32_e32 vcc, 60, v15
	v_add_u32_e32 v5, v5, v8
	s_nop 0
	v_cndmask_b32_e64 v8, 0, 1, vcc
	v_lshlrev_b32_e32 v8, 2, v8
	v_add_lshl_u32 v21, v8, v66, 2
	ds_bpermute_b32 v8, v21, v5
	v_cmp_le_u32_e32 vcc, v52, v3
	s_waitcnt lgkmcnt(0)
	s_nop 0
	v_cndmask_b32_e32 v8, 0, v8, vcc
	v_cmp_gt_u32_e32 vcc, 56, v15
	v_add_u32_e32 v5, v5, v8
	s_nop 0
	v_cndmask_b32_e64 v8, 0, 1, vcc
	v_lshlrev_b32_e32 v8, 3, v8
	v_add_lshl_u32 v69, v8, v66, 2
	ds_bpermute_b32 v8, v69, v5
	v_cmp_le_u32_e32 vcc, v70, v3
	s_waitcnt lgkmcnt(0)
	s_nop 0
	;; [unrolled: 11-line block ×4, first 2 shown]
	v_cndmask_b32_e32 v3, 0, v8, vcc
	v_add_u32_e32 v8, v5, v3
	v_mov_b32_e32 v5, 0
	s_branch .LBB936_56
.LBB936_55:                             ;   in Loop: Header=BB936_56 Depth=1
	s_or_b64 exec, exec, s[40:41]
	v_cmp_eq_u16_sdwa s[40:41], v9, v14 src0_sel:BYTE_0 src1_sel:DWORD
	ds_bpermute_b32 v75, v16, v8
	v_subrev_u32_e32 v4, 64, v4
	v_and_b32_e32 v10, s41, v7
	v_or_b32_e32 v10, 0x80000000, v10
	v_and_b32_e32 v11, s40, v6
	v_ffbl_b32_e32 v10, v10
	v_add_u32_e32 v10, 32, v10
	v_ffbl_b32_e32 v11, v11
	v_min_u32_e32 v10, v11, v10
	v_cmp_lt_u32_e32 vcc, v15, v10
	s_waitcnt lgkmcnt(0)
	s_nop 0
	v_cndmask_b32_e32 v11, 0, v75, vcc
	v_add_u32_e32 v8, v11, v8
	ds_bpermute_b32 v11, v17, v8
	v_cmp_le_u32_e32 vcc, v20, v10
	s_waitcnt lgkmcnt(0)
	s_nop 0
	v_cndmask_b32_e32 v11, 0, v11, vcc
	v_add_u32_e32 v8, v8, v11
	ds_bpermute_b32 v11, v21, v8
	v_cmp_le_u32_e32 vcc, v52, v10
	;; [unrolled: 6-line block ×5, first 2 shown]
	s_waitcnt lgkmcnt(0)
	s_nop 0
	v_cndmask_b32_e32 v10, 0, v11, vcc
	v_add3_u32 v8, v10, v3, v8
.LBB936_56:                             ; =>This Loop Header: Depth=1
                                        ;     Child Loop BB936_59 Depth 2
                                        ;       Child Loop BB936_60 Depth 3
	v_cmp_ne_u16_sdwa s[40:41], v9, v14 src0_sel:BYTE_0 src1_sel:DWORD
	s_nop 1
	v_cndmask_b32_e64 v3, 0, 1, s[40:41]
	;;#ASMSTART
	;;#ASMEND
	s_nop 0
	v_cmp_ne_u32_e32 vcc, 0, v3
	s_cmp_lg_u64 vcc, exec
	v_mov_b32_e32 v3, v8
	s_cbranch_scc1 .LBB936_63
; %bb.57:                               ;   in Loop: Header=BB936_56 Depth=1
	v_lshl_add_u64 v[10:11], v[4:5], 3, s[36:37]
	global_load_dwordx2 v[8:9], v[10:11], off sc1
	s_waitcnt vmcnt(0)
	v_cmp_eq_u16_sdwa s[42:43], v9, v5 src0_sel:BYTE_0 src1_sel:DWORD
	s_and_saveexec_b64 s[40:41], s[42:43]
	s_cbranch_execz .LBB936_55
; %bb.58:                               ;   in Loop: Header=BB936_56 Depth=1
	s_mov_b32 s3, 1
	s_mov_b64 s[42:43], 0
.LBB936_59:                             ;   Parent Loop BB936_56 Depth=1
                                        ; =>  This Loop Header: Depth=2
                                        ;       Child Loop BB936_60 Depth 3
	s_max_u32 s31, s3, 1
.LBB936_60:                             ;   Parent Loop BB936_56 Depth=1
                                        ;     Parent Loop BB936_59 Depth=2
                                        ; =>    This Inner Loop Header: Depth=3
	s_add_i32 s31, s31, -1
	s_cmp_eq_u32 s31, 0
	s_sleep 1
	s_cbranch_scc0 .LBB936_60
; %bb.61:                               ;   in Loop: Header=BB936_59 Depth=2
	global_load_dwordx2 v[8:9], v[10:11], off sc1
	s_cmp_lt_u32 s3, 32
	s_cselect_b64 s[44:45], -1, 0
	s_cmp_lg_u64 s[44:45], 0
	s_addc_u32 s3, s3, 0
	s_waitcnt vmcnt(0)
	v_cmp_ne_u16_sdwa s[44:45], v9, v5 src0_sel:BYTE_0 src1_sel:DWORD
	s_or_b64 s[42:43], s[44:45], s[42:43]
	s_andn2_b64 exec, exec, s[42:43]
	s_cbranch_execnz .LBB936_59
; %bb.62:                               ;   in Loop: Header=BB936_56 Depth=1
	s_or_b64 exec, exec, s[42:43]
	s_branch .LBB936_55
.LBB936_63:                             ;   in Loop: Header=BB936_56 Depth=1
                                        ; implicit-def: $vgpr8
                                        ; implicit-def: $vgpr9
	s_cbranch_execz .LBB936_56
; %bb.64:
	s_and_saveexec_b64 s[40:41], s[18:19]
	s_cbranch_execz .LBB936_66
; %bb.65:
	s_add_i32 s2, s2, 64
	s_mov_b32 s3, 0
	s_lshl_b64 s[2:3], s[2:3], 3
	s_add_u32 s2, s36, s2
	v_add_u32_e32 v4, v3, v2
	v_mov_b32_e32 v5, 2
	s_addc_u32 s3, s37, s3
	v_mov_b32_e32 v6, 0
	global_store_dwordx2 v6, v[4:5], s[2:3] sc1
	ds_write_b64 v6, v[2:3] offset:30720
.LBB936_66:
	s_or_b64 exec, exec, s[40:41]
	v_cmp_eq_u32_e32 vcc, 0, v0
	s_and_b64 exec, exec, vcc
	s_cbranch_execz .LBB936_68
; %bb.67:
	v_mov_b32_e32 v2, 0
	ds_write_b32 v2, v3 offset:28
.LBB936_68:
	s_or_b64 exec, exec, s[38:39]
	v_mov_b32_e32 v14, 0
	s_waitcnt lgkmcnt(0)
	s_barrier
	ds_read_b32 v2, v14 offset:28
	v_cndmask_b32_e64 v3, v13, v12, s[18:19]
	v_cmp_ne_u32_e32 vcc, 0, v0
	s_waitcnt lgkmcnt(0)
	s_barrier
	v_cndmask_b32_e32 v3, 0, v3, vcc
	v_add_u32_e32 v2, v2, v3
	v_add_u32_e32 v3, v2, v51
	;; [unrolled: 1-line block ×10, first 2 shown]
	ds_read_b64 v[20:21], v14 offset:30720
	v_add_u32_e32 v12, v11, v61
	v_add_u32_e32 v13, v12, v62
	;; [unrolled: 1-line block ×5, first 2 shown]
	s_waitcnt lgkmcnt(0)
	v_mov_b32_e32 v52, v21
	s_load_dwordx2 s[2:3], s[0:1], 0x28
	s_branch .LBB936_79
.LBB936_69:
                                        ; implicit-def: $vgpr52
                                        ; implicit-def: $vgpr20
                                        ; implicit-def: $vgpr2_vgpr3_vgpr4_vgpr5_vgpr6_vgpr7_vgpr8_vgpr9_vgpr10_vgpr11_vgpr12_vgpr13_vgpr14_vgpr15_vgpr16_vgpr17
	s_load_dwordx2 s[2:3], s[0:1], 0x28
	s_cbranch_execz .LBB936_79
; %bb.70:
	v_mov_b32_dpp v2, v68 row_shr:1 row_mask:0xf bank_mask:0xf
	v_cndmask_b32_e64 v2, v2, 0, s[16:17]
	v_add_u32_e32 v2, v2, v68
	s_nop 1
	v_mov_b32_dpp v3, v2 row_shr:2 row_mask:0xf bank_mask:0xf
	v_cndmask_b32_e64 v3, 0, v3, s[14:15]
	v_add_u32_e32 v2, v2, v3
	s_nop 1
	;; [unrolled: 4-line block ×4, first 2 shown]
	v_mov_b32_dpp v3, v2 row_bcast:15 row_mask:0xf bank_mask:0xf
	v_cndmask_b32_e64 v3, v3, 0, s[8:9]
	v_add_u32_e32 v2, v2, v3
	s_nop 1
	v_mov_b32_dpp v3, v2 row_bcast:31 row_mask:0xf bank_mask:0xf
	v_cndmask_b32_e64 v3, 0, v3, s[4:5]
	v_add_u32_e32 v2, v2, v3
	s_and_saveexec_b64 s[0:1], s[6:7]
	s_cbranch_execz .LBB936_72
; %bb.71:
	v_lshlrev_b32_e32 v3, 2, v67
	ds_write_b32 v3, v2
.LBB936_72:
	s_or_b64 exec, exec, s[0:1]
	v_cmp_gt_u32_e32 vcc, 8, v0
	s_waitcnt lgkmcnt(0)
	s_barrier
	s_and_saveexec_b64 s[0:1], vcc
	s_cbranch_execz .LBB936_74
; %bb.73:
	ds_read_b32 v3, v18
	v_and_b32_e32 v4, 7, v66
	v_cmp_ne_u32_e32 vcc, 0, v4
	s_waitcnt lgkmcnt(0)
	v_mov_b32_dpp v5, v3 row_shr:1 row_mask:0xf bank_mask:0xf
	v_cndmask_b32_e32 v5, 0, v5, vcc
	v_add_u32_e32 v3, v5, v3
	v_cmp_lt_u32_e32 vcc, 1, v4
	s_nop 0
	v_mov_b32_dpp v5, v3 row_shr:2 row_mask:0xf bank_mask:0xf
	v_cndmask_b32_e32 v5, 0, v5, vcc
	v_add_u32_e32 v3, v3, v5
	v_cmp_lt_u32_e32 vcc, 3, v4
	s_nop 0
	v_mov_b32_dpp v5, v3 row_shr:4 row_mask:0xf bank_mask:0xf
	v_cndmask_b32_e32 v4, 0, v5, vcc
	v_add_u32_e32 v3, v3, v4
	ds_write_b32 v18, v3
.LBB936_74:
	s_or_b64 exec, exec, s[0:1]
	v_cmp_lt_u32_e32 vcc, 63, v0
	v_mov_b32_e32 v4, 0
	v_mov_b32_e32 v3, 0
	s_waitcnt lgkmcnt(0)
	s_barrier
	s_and_saveexec_b64 s[0:1], vcc
	s_cbranch_execz .LBB936_76
; %bb.75:
	v_lshl_add_u32 v3, v67, 2, -4
	ds_read_b32 v3, v3
.LBB936_76:
	s_or_b64 exec, exec, s[0:1]
	v_add_u32_e32 v5, -1, v66
	v_and_b32_e32 v6, 64, v66
	v_cmp_lt_i32_e32 vcc, v5, v6
	s_waitcnt lgkmcnt(0)
	v_add_u32_e32 v2, v3, v2
	ds_read_b32 v20, v4 offset:28
	v_cndmask_b32_e32 v5, v5, v66, vcc
	v_lshlrev_b32_e32 v5, 2, v5
	ds_bpermute_b32 v2, v5, v2
	v_cmp_eq_u32_e32 vcc, 0, v0
	s_and_saveexec_b64 s[0:1], vcc
	s_cbranch_execz .LBB936_78
; %bb.77:
	v_mov_b32_e32 v4, 0
	v_mov_b32_e32 v21, 2
	s_waitcnt lgkmcnt(1)
	global_store_dwordx2 v4, v[20:21], s[36:37] offset:512 sc1
.LBB936_78:
	s_or_b64 exec, exec, s[0:1]
	v_cmp_eq_u32_e64 s[0:1], 0, v66
	v_mov_b32_e32 v52, 0
	s_waitcnt lgkmcnt(0)
	v_cndmask_b32_e64 v2, v2, v3, s[0:1]
	v_cndmask_b32_e64 v2, v2, 0, vcc
	v_add_u32_e32 v3, v2, v51
	v_add_u32_e32 v4, v3, v53
	;; [unrolled: 1-line block ×14, first 2 shown]
	s_barrier
.LBB936_79:
	v_add_u32_e32 v17, v20, v37
	v_sub_u32_e32 v2, v2, v52
	v_and_b32_e32 v37, 1, v50
	v_sub_u32_e32 v21, v17, v2
	v_cmp_eq_u32_e32 vcc, 1, v37
	s_add_u32 s0, s22, s30
	s_addc_u32 s1, s23, 0
	v_cndmask_b32_e32 v2, v21, v2, vcc
	v_lshlrev_b32_e32 v2, 2, v2
	ds_write_b32 v2, v34
	v_sub_u32_e32 v2, v3, v52
	v_sub_u32_e32 v3, v17, v2
	v_and_b32_e32 v21, 1, v49
	v_add_u32_e32 v3, 1, v3
	v_cmp_eq_u32_e32 vcc, 1, v21
	s_sub_u32 s0, s28, s0
	s_subb_u32 s1, s29, s1
	v_cndmask_b32_e32 v2, v3, v2, vcc
	v_lshlrev_b32_e32 v2, 2, v2
	ds_write_b32 v2, v35
	v_sub_u32_e32 v2, v4, v52
	v_sub_u32_e32 v3, v17, v2
	v_and_b32_e32 v4, 1, v48
	v_add_u32_e32 v3, 2, v3
	v_cmp_eq_u32_e32 vcc, 1, v4
	v_and_b32_e32 v4, 1, v47
	v_or_b32_e32 v50, 0x200, v0
	v_cndmask_b32_e32 v2, v3, v2, vcc
	v_lshlrev_b32_e32 v2, 2, v2
	ds_write_b32 v2, v32
	v_sub_u32_e32 v2, v5, v52
	v_sub_u32_e32 v3, v17, v2
	v_add_u32_e32 v3, 3, v3
	v_cmp_eq_u32_e32 vcc, 1, v4
	v_and_b32_e32 v4, 1, v46
	v_or_b32_e32 v46, 0x400, v0
	v_cndmask_b32_e32 v2, v3, v2, vcc
	v_lshlrev_b32_e32 v2, 2, v2
	ds_write_b32 v2, v33
	v_sub_u32_e32 v2, v6, v52
	v_sub_u32_e32 v3, v17, v2
	;; [unrolled: 9-line block ×12, first 2 shown]
	v_add_u32_e32 v3, 14, v3
	v_cmp_eq_u32_e32 vcc, 1, v4
	v_or_b32_e32 v16, 0x1600, v0
	v_or_b32_e32 v4, 0x1c00, v0
	v_cndmask_b32_e32 v2, v3, v2, vcc
	v_lshlrev_b32_e32 v2, 2, v2
	ds_write_b32 v2, v1
	s_waitcnt lgkmcnt(0)
	s_barrier
	ds_read2st64_b32 v[48:49], v18 offset1:8
	ds_read2st64_b32 v[42:43], v18 offset0:16 offset1:24
	ds_read2st64_b32 v[36:37], v18 offset0:32 offset1:40
	;; [unrolled: 1-line block ×6, first 2 shown]
	ds_read_b32 v54, v18 offset:28672
	v_mov_b32_e32 v1, 0
	v_mov_b32_e32 v53, v1
	;; [unrolled: 1-line block ×3, first 2 shown]
	v_lshl_add_u64 v[2:3], s[34:35], 0, v[52:53]
	v_lshl_add_u64 v[6:7], s[0:1], 0, v[20:21]
	v_mov_b32_e32 v51, v1
	v_mov_b32_e32 v47, v1
	;; [unrolled: 1-line block ×14, first 2 shown]
	s_and_b64 vcc, exec, s[20:21]
	v_lshl_add_u64 v[6:7], v[6:7], 0, v[2:3]
	s_cbranch_vccnz .LBB936_141
; %bb.80:
	v_cmp_ge_u32_e32 vcc, v0, v20
                                        ; implicit-def: $vgpr18_vgpr19
	s_and_saveexec_b64 s[0:1], vcc
	s_xor_b64 s[0:1], exec, s[0:1]
; %bb.81:
	v_not_b32_e32 v18, v0
	v_ashrrev_i32_e32 v19, 31, v18
	v_lshl_add_u64 v[18:19], v[6:7], 0, v[18:19]
; %bb.82:
	s_andn2_saveexec_b64 s[0:1], s[0:1]
; %bb.83:
	v_lshl_add_u64 v[18:19], v[2:3], 0, v[0:1]
; %bb.84:
	s_or_b64 exec, exec, s[0:1]
	v_lshl_add_u64 v[18:19], v[18:19], 2, s[2:3]
	v_cmp_ge_u32_e32 vcc, v50, v20
	s_waitcnt lgkmcnt(7)
	global_store_dword v[18:19], v48, off
                                        ; implicit-def: $vgpr18_vgpr19
	s_and_saveexec_b64 s[0:1], vcc
	s_xor_b64 s[0:1], exec, s[0:1]
; %bb.85:
	v_xor_b32_e32 v18, 0xfffffdff, v0
	v_ashrrev_i32_e32 v19, 31, v18
	v_lshl_add_u64 v[18:19], v[6:7], 0, v[18:19]
; %bb.86:
	s_andn2_saveexec_b64 s[0:1], s[0:1]
; %bb.87:
	v_lshl_add_u64 v[18:19], v[2:3], 0, v[50:51]
; %bb.88:
	s_or_b64 exec, exec, s[0:1]
	v_lshl_add_u64 v[18:19], v[18:19], 2, s[2:3]
	v_cmp_ge_u32_e32 vcc, v46, v20
	global_store_dword v[18:19], v49, off
                                        ; implicit-def: $vgpr18_vgpr19
	s_and_saveexec_b64 s[0:1], vcc
	s_xor_b64 s[0:1], exec, s[0:1]
; %bb.89:
	v_xor_b32_e32 v18, 0xfffffbff, v0
	v_ashrrev_i32_e32 v19, 31, v18
	v_lshl_add_u64 v[18:19], v[6:7], 0, v[18:19]
; %bb.90:
	s_andn2_saveexec_b64 s[0:1], s[0:1]
; %bb.91:
	v_lshl_add_u64 v[18:19], v[2:3], 0, v[46:47]
; %bb.92:
	s_or_b64 exec, exec, s[0:1]
	v_lshl_add_u64 v[18:19], v[18:19], 2, s[2:3]
	v_cmp_ge_u32_e32 vcc, v44, v20
	s_waitcnt lgkmcnt(6)
	global_store_dword v[18:19], v42, off
                                        ; implicit-def: $vgpr18_vgpr19
	s_and_saveexec_b64 s[0:1], vcc
	s_xor_b64 s[0:1], exec, s[0:1]
; %bb.93:
	v_xor_b32_e32 v18, 0xfffff9ff, v0
	v_ashrrev_i32_e32 v19, 31, v18
	v_lshl_add_u64 v[18:19], v[6:7], 0, v[18:19]
; %bb.94:
	s_andn2_saveexec_b64 s[0:1], s[0:1]
; %bb.95:
	v_lshl_add_u64 v[18:19], v[2:3], 0, v[44:45]
; %bb.96:
	s_or_b64 exec, exec, s[0:1]
	v_lshl_add_u64 v[18:19], v[18:19], 2, s[2:3]
	v_cmp_ge_u32_e32 vcc, v40, v20
	global_store_dword v[18:19], v43, off
                                        ; implicit-def: $vgpr18_vgpr19
	s_and_saveexec_b64 s[0:1], vcc
	s_xor_b64 s[0:1], exec, s[0:1]
; %bb.97:
	v_xor_b32_e32 v18, 0xfffff7ff, v0
	;; [unrolled: 33-line block ×7, first 2 shown]
	v_ashrrev_i32_e32 v19, 31, v18
	v_lshl_add_u64 v[18:19], v[6:7], 0, v[18:19]
; %bb.138:
	s_andn2_saveexec_b64 s[0:1], s[0:1]
; %bb.139:
	v_lshl_add_u64 v[18:19], v[2:3], 0, v[4:5]
; %bb.140:
	s_or_b64 exec, exec, s[0:1]
	s_mov_b64 s[0:1], -1
	s_branch .LBB936_233
.LBB936_141:
	s_mov_b64 s[0:1], 0
                                        ; implicit-def: $vgpr18_vgpr19
	s_cbranch_execz .LBB936_233
; %bb.142:
	v_cmp_gt_u32_e32 vcc, s33, v0
	s_and_saveexec_b64 s[4:5], vcc
	s_cbranch_execz .LBB936_184
; %bb.143:
	v_cmp_ge_u32_e32 vcc, v0, v20
                                        ; implicit-def: $vgpr18_vgpr19
	s_and_saveexec_b64 s[6:7], vcc
	s_xor_b64 s[6:7], exec, s[6:7]
; %bb.144:
	v_not_b32_e32 v18, v0
	v_ashrrev_i32_e32 v19, 31, v18
	v_lshl_add_u64 v[18:19], v[6:7], 0, v[18:19]
; %bb.145:
	s_andn2_saveexec_b64 s[6:7], s[6:7]
; %bb.146:
	v_lshl_add_u64 v[18:19], v[2:3], 0, v[0:1]
; %bb.147:
	s_or_b64 exec, exec, s[6:7]
	v_lshl_add_u64 v[18:19], v[18:19], 2, s[2:3]
	s_waitcnt lgkmcnt(7)
	global_store_dword v[18:19], v48, off
	s_or_b64 exec, exec, s[4:5]
	v_cmp_gt_u32_e32 vcc, s33, v50
	s_and_saveexec_b64 s[4:5], vcc
	s_cbranch_execnz .LBB936_185
.LBB936_148:
	s_or_b64 exec, exec, s[4:5]
	v_cmp_gt_u32_e32 vcc, s33, v46
	s_and_saveexec_b64 s[4:5], vcc
	s_cbranch_execz .LBB936_190
.LBB936_149:
	v_cmp_ge_u32_e32 vcc, v46, v20
                                        ; implicit-def: $vgpr18_vgpr19
	s_and_saveexec_b64 s[6:7], vcc
	s_xor_b64 s[6:7], exec, s[6:7]
; %bb.150:
	v_xor_b32_e32 v18, 0xfffffbff, v0
	v_ashrrev_i32_e32 v19, 31, v18
	v_lshl_add_u64 v[18:19], v[6:7], 0, v[18:19]
                                        ; implicit-def: $vgpr46_vgpr47
; %bb.151:
	s_andn2_saveexec_b64 s[6:7], s[6:7]
; %bb.152:
	v_lshl_add_u64 v[18:19], v[2:3], 0, v[46:47]
; %bb.153:
	s_or_b64 exec, exec, s[6:7]
	v_lshl_add_u64 v[18:19], v[18:19], 2, s[2:3]
	s_waitcnt lgkmcnt(6)
	global_store_dword v[18:19], v42, off
	s_or_b64 exec, exec, s[4:5]
	v_cmp_gt_u32_e32 vcc, s33, v44
	s_and_saveexec_b64 s[4:5], vcc
	s_cbranch_execnz .LBB936_191
.LBB936_154:
	s_or_b64 exec, exec, s[4:5]
	v_cmp_gt_u32_e32 vcc, s33, v40
	s_and_saveexec_b64 s[4:5], vcc
	s_cbranch_execz .LBB936_196
.LBB936_155:
	v_cmp_ge_u32_e32 vcc, v40, v20
                                        ; implicit-def: $vgpr18_vgpr19
	s_and_saveexec_b64 s[6:7], vcc
	s_xor_b64 s[6:7], exec, s[6:7]
; %bb.156:
	v_xor_b32_e32 v18, 0xfffff7ff, v0
	v_ashrrev_i32_e32 v19, 31, v18
	v_lshl_add_u64 v[18:19], v[6:7], 0, v[18:19]
                                        ; implicit-def: $vgpr40_vgpr41
; %bb.157:
	s_andn2_saveexec_b64 s[6:7], s[6:7]
; %bb.158:
	v_lshl_add_u64 v[18:19], v[2:3], 0, v[40:41]
; %bb.159:
	s_or_b64 exec, exec, s[6:7]
	v_lshl_add_u64 v[18:19], v[18:19], 2, s[2:3]
	s_waitcnt lgkmcnt(5)
	global_store_dword v[18:19], v36, off
	s_or_b64 exec, exec, s[4:5]
	v_cmp_gt_u32_e32 vcc, s33, v38
	s_and_saveexec_b64 s[4:5], vcc
	s_cbranch_execnz .LBB936_197
.LBB936_160:
	s_or_b64 exec, exec, s[4:5]
	v_cmp_gt_u32_e32 vcc, s33, v34
	s_and_saveexec_b64 s[4:5], vcc
	s_cbranch_execz .LBB936_202
.LBB936_161:
	v_cmp_ge_u32_e32 vcc, v34, v20
                                        ; implicit-def: $vgpr18_vgpr19
	s_and_saveexec_b64 s[6:7], vcc
	s_xor_b64 s[6:7], exec, s[6:7]
; %bb.162:
	v_xor_b32_e32 v18, 0xfffff3ff, v0
	v_ashrrev_i32_e32 v19, 31, v18
	v_lshl_add_u64 v[18:19], v[6:7], 0, v[18:19]
                                        ; implicit-def: $vgpr34_vgpr35
; %bb.163:
	s_andn2_saveexec_b64 s[6:7], s[6:7]
; %bb.164:
	v_lshl_add_u64 v[18:19], v[2:3], 0, v[34:35]
; %bb.165:
	s_or_b64 exec, exec, s[6:7]
	v_lshl_add_u64 v[18:19], v[18:19], 2, s[2:3]
	s_waitcnt lgkmcnt(4)
	global_store_dword v[18:19], v30, off
	s_or_b64 exec, exec, s[4:5]
	v_cmp_gt_u32_e32 vcc, s33, v32
	s_and_saveexec_b64 s[4:5], vcc
	s_cbranch_execnz .LBB936_203
.LBB936_166:
	s_or_b64 exec, exec, s[4:5]
	v_cmp_gt_u32_e32 vcc, s33, v28
	s_and_saveexec_b64 s[4:5], vcc
	s_cbranch_execz .LBB936_208
.LBB936_167:
	v_cmp_ge_u32_e32 vcc, v28, v20
                                        ; implicit-def: $vgpr18_vgpr19
	s_and_saveexec_b64 s[6:7], vcc
	s_xor_b64 s[6:7], exec, s[6:7]
; %bb.168:
	v_xor_b32_e32 v18, 0xffffefff, v0
	v_ashrrev_i32_e32 v19, 31, v18
	v_lshl_add_u64 v[18:19], v[6:7], 0, v[18:19]
                                        ; implicit-def: $vgpr28_vgpr29
; %bb.169:
	s_andn2_saveexec_b64 s[6:7], s[6:7]
; %bb.170:
	v_lshl_add_u64 v[18:19], v[2:3], 0, v[28:29]
; %bb.171:
	s_or_b64 exec, exec, s[6:7]
	v_lshl_add_u64 v[18:19], v[18:19], 2, s[2:3]
	s_waitcnt lgkmcnt(3)
	global_store_dword v[18:19], v24, off
	s_or_b64 exec, exec, s[4:5]
	v_cmp_gt_u32_e32 vcc, s33, v26
	s_and_saveexec_b64 s[4:5], vcc
	s_cbranch_execnz .LBB936_209
.LBB936_172:
	s_or_b64 exec, exec, s[4:5]
	v_cmp_gt_u32_e32 vcc, s33, v22
	s_and_saveexec_b64 s[4:5], vcc
	s_cbranch_execz .LBB936_214
.LBB936_173:
	v_cmp_ge_u32_e32 vcc, v22, v20
                                        ; implicit-def: $vgpr18_vgpr19
	s_and_saveexec_b64 s[6:7], vcc
	s_xor_b64 s[6:7], exec, s[6:7]
; %bb.174:
	v_xor_b32_e32 v18, 0xffffebff, v0
	v_ashrrev_i32_e32 v19, 31, v18
	v_lshl_add_u64 v[18:19], v[6:7], 0, v[18:19]
                                        ; implicit-def: $vgpr22_vgpr23
; %bb.175:
	s_andn2_saveexec_b64 s[6:7], s[6:7]
; %bb.176:
	v_lshl_add_u64 v[18:19], v[2:3], 0, v[22:23]
; %bb.177:
	s_or_b64 exec, exec, s[6:7]
	v_lshl_add_u64 v[18:19], v[18:19], 2, s[2:3]
	s_waitcnt lgkmcnt(2)
	global_store_dword v[18:19], v14, off
	s_or_b64 exec, exec, s[4:5]
	v_cmp_gt_u32_e32 vcc, s33, v16
	s_and_saveexec_b64 s[4:5], vcc
	s_cbranch_execnz .LBB936_215
.LBB936_178:
	s_or_b64 exec, exec, s[4:5]
	v_cmp_gt_u32_e32 vcc, s33, v12
	s_and_saveexec_b64 s[4:5], vcc
	s_cbranch_execz .LBB936_220
.LBB936_179:
	v_cmp_ge_u32_e32 vcc, v12, v20
                                        ; implicit-def: $vgpr14_vgpr15
	s_and_saveexec_b64 s[6:7], vcc
	s_xor_b64 s[6:7], exec, s[6:7]
	s_cbranch_execz .LBB936_181
; %bb.180:
	v_xor_b32_e32 v12, 0xffffe7ff, v0
	v_ashrrev_i32_e32 v13, 31, v12
	s_waitcnt lgkmcnt(2)
	v_lshl_add_u64 v[14:15], v[6:7], 0, v[12:13]
                                        ; implicit-def: $vgpr12_vgpr13
.LBB936_181:
	s_andn2_saveexec_b64 s[6:7], s[6:7]
	s_cbranch_execz .LBB936_183
; %bb.182:
	s_waitcnt lgkmcnt(2)
	v_lshl_add_u64 v[14:15], v[2:3], 0, v[12:13]
.LBB936_183:
	s_or_b64 exec, exec, s[6:7]
	s_waitcnt lgkmcnt(2)
	v_lshl_add_u64 v[12:13], v[14:15], 2, s[2:3]
	s_waitcnt lgkmcnt(1)
	global_store_dword v[12:13], v8, off
	s_or_b64 exec, exec, s[4:5]
	v_cmp_gt_u32_e32 vcc, s33, v10
	s_and_saveexec_b64 s[4:5], vcc
	s_cbranch_execz .LBB936_226
	s_branch .LBB936_221
.LBB936_184:
	s_or_b64 exec, exec, s[4:5]
	v_cmp_gt_u32_e32 vcc, s33, v50
	s_and_saveexec_b64 s[4:5], vcc
	s_cbranch_execz .LBB936_148
.LBB936_185:
	v_cmp_ge_u32_e32 vcc, v50, v20
                                        ; implicit-def: $vgpr18_vgpr19
	s_and_saveexec_b64 s[6:7], vcc
	s_xor_b64 s[6:7], exec, s[6:7]
; %bb.186:
	v_xor_b32_e32 v18, 0xfffffdff, v0
	v_ashrrev_i32_e32 v19, 31, v18
	v_lshl_add_u64 v[18:19], v[6:7], 0, v[18:19]
                                        ; implicit-def: $vgpr50_vgpr51
; %bb.187:
	s_andn2_saveexec_b64 s[6:7], s[6:7]
; %bb.188:
	v_lshl_add_u64 v[18:19], v[2:3], 0, v[50:51]
; %bb.189:
	s_or_b64 exec, exec, s[6:7]
	v_lshl_add_u64 v[18:19], v[18:19], 2, s[2:3]
	s_waitcnt lgkmcnt(7)
	global_store_dword v[18:19], v49, off
	s_or_b64 exec, exec, s[4:5]
	v_cmp_gt_u32_e32 vcc, s33, v46
	s_and_saveexec_b64 s[4:5], vcc
	s_cbranch_execnz .LBB936_149
.LBB936_190:
	s_or_b64 exec, exec, s[4:5]
	v_cmp_gt_u32_e32 vcc, s33, v44
	s_and_saveexec_b64 s[4:5], vcc
	s_cbranch_execz .LBB936_154
.LBB936_191:
	v_cmp_ge_u32_e32 vcc, v44, v20
                                        ; implicit-def: $vgpr18_vgpr19
	s_and_saveexec_b64 s[6:7], vcc
	s_xor_b64 s[6:7], exec, s[6:7]
; %bb.192:
	v_xor_b32_e32 v18, 0xfffff9ff, v0
	v_ashrrev_i32_e32 v19, 31, v18
	v_lshl_add_u64 v[18:19], v[6:7], 0, v[18:19]
                                        ; implicit-def: $vgpr44_vgpr45
; %bb.193:
	s_andn2_saveexec_b64 s[6:7], s[6:7]
; %bb.194:
	v_lshl_add_u64 v[18:19], v[2:3], 0, v[44:45]
; %bb.195:
	s_or_b64 exec, exec, s[6:7]
	v_lshl_add_u64 v[18:19], v[18:19], 2, s[2:3]
	s_waitcnt lgkmcnt(6)
	global_store_dword v[18:19], v43, off
	s_or_b64 exec, exec, s[4:5]
	v_cmp_gt_u32_e32 vcc, s33, v40
	s_and_saveexec_b64 s[4:5], vcc
	s_cbranch_execnz .LBB936_155
.LBB936_196:
	s_or_b64 exec, exec, s[4:5]
	v_cmp_gt_u32_e32 vcc, s33, v38
	s_and_saveexec_b64 s[4:5], vcc
	s_cbranch_execz .LBB936_160
.LBB936_197:
	v_cmp_ge_u32_e32 vcc, v38, v20
                                        ; implicit-def: $vgpr18_vgpr19
	s_and_saveexec_b64 s[6:7], vcc
	s_xor_b64 s[6:7], exec, s[6:7]
; %bb.198:
	v_xor_b32_e32 v18, 0xfffff5ff, v0
	v_ashrrev_i32_e32 v19, 31, v18
	v_lshl_add_u64 v[18:19], v[6:7], 0, v[18:19]
                                        ; implicit-def: $vgpr38_vgpr39
; %bb.199:
	s_andn2_saveexec_b64 s[6:7], s[6:7]
; %bb.200:
	v_lshl_add_u64 v[18:19], v[2:3], 0, v[38:39]
; %bb.201:
	s_or_b64 exec, exec, s[6:7]
	v_lshl_add_u64 v[18:19], v[18:19], 2, s[2:3]
	s_waitcnt lgkmcnt(5)
	global_store_dword v[18:19], v37, off
	s_or_b64 exec, exec, s[4:5]
	v_cmp_gt_u32_e32 vcc, s33, v34
	s_and_saveexec_b64 s[4:5], vcc
	s_cbranch_execnz .LBB936_161
.LBB936_202:
	s_or_b64 exec, exec, s[4:5]
	v_cmp_gt_u32_e32 vcc, s33, v32
	s_and_saveexec_b64 s[4:5], vcc
	s_cbranch_execz .LBB936_166
.LBB936_203:
	v_cmp_ge_u32_e32 vcc, v32, v20
                                        ; implicit-def: $vgpr18_vgpr19
	s_and_saveexec_b64 s[6:7], vcc
	s_xor_b64 s[6:7], exec, s[6:7]
; %bb.204:
	v_xor_b32_e32 v18, 0xfffff1ff, v0
	v_ashrrev_i32_e32 v19, 31, v18
	v_lshl_add_u64 v[18:19], v[6:7], 0, v[18:19]
                                        ; implicit-def: $vgpr32_vgpr33
; %bb.205:
	s_andn2_saveexec_b64 s[6:7], s[6:7]
; %bb.206:
	v_lshl_add_u64 v[18:19], v[2:3], 0, v[32:33]
; %bb.207:
	s_or_b64 exec, exec, s[6:7]
	v_lshl_add_u64 v[18:19], v[18:19], 2, s[2:3]
	s_waitcnt lgkmcnt(4)
	global_store_dword v[18:19], v31, off
	s_or_b64 exec, exec, s[4:5]
	v_cmp_gt_u32_e32 vcc, s33, v28
	s_and_saveexec_b64 s[4:5], vcc
	s_cbranch_execnz .LBB936_167
.LBB936_208:
	s_or_b64 exec, exec, s[4:5]
	v_cmp_gt_u32_e32 vcc, s33, v26
	s_and_saveexec_b64 s[4:5], vcc
	s_cbranch_execz .LBB936_172
.LBB936_209:
	v_cmp_ge_u32_e32 vcc, v26, v20
                                        ; implicit-def: $vgpr18_vgpr19
	s_and_saveexec_b64 s[6:7], vcc
	s_xor_b64 s[6:7], exec, s[6:7]
; %bb.210:
	v_xor_b32_e32 v18, 0xffffedff, v0
	v_ashrrev_i32_e32 v19, 31, v18
	v_lshl_add_u64 v[18:19], v[6:7], 0, v[18:19]
                                        ; implicit-def: $vgpr26_vgpr27
; %bb.211:
	s_andn2_saveexec_b64 s[6:7], s[6:7]
; %bb.212:
	v_lshl_add_u64 v[18:19], v[2:3], 0, v[26:27]
; %bb.213:
	s_or_b64 exec, exec, s[6:7]
	v_lshl_add_u64 v[18:19], v[18:19], 2, s[2:3]
	s_waitcnt lgkmcnt(3)
	global_store_dword v[18:19], v25, off
	s_or_b64 exec, exec, s[4:5]
	v_cmp_gt_u32_e32 vcc, s33, v22
	s_and_saveexec_b64 s[4:5], vcc
	s_cbranch_execnz .LBB936_173
.LBB936_214:
	s_or_b64 exec, exec, s[4:5]
	v_cmp_gt_u32_e32 vcc, s33, v16
	s_and_saveexec_b64 s[4:5], vcc
	s_cbranch_execz .LBB936_178
.LBB936_215:
	v_cmp_ge_u32_e32 vcc, v16, v20
                                        ; implicit-def: $vgpr18_vgpr19
	s_and_saveexec_b64 s[6:7], vcc
	s_xor_b64 s[6:7], exec, s[6:7]
; %bb.216:
	v_xor_b32_e32 v16, 0xffffe9ff, v0
	v_ashrrev_i32_e32 v17, 31, v16
	v_lshl_add_u64 v[18:19], v[6:7], 0, v[16:17]
                                        ; implicit-def: $vgpr16_vgpr17
; %bb.217:
	s_andn2_saveexec_b64 s[6:7], s[6:7]
; %bb.218:
	v_lshl_add_u64 v[18:19], v[2:3], 0, v[16:17]
; %bb.219:
	s_or_b64 exec, exec, s[6:7]
	v_lshl_add_u64 v[16:17], v[18:19], 2, s[2:3]
	s_waitcnt lgkmcnt(2)
	global_store_dword v[16:17], v15, off
	s_or_b64 exec, exec, s[4:5]
	v_cmp_gt_u32_e32 vcc, s33, v12
	s_and_saveexec_b64 s[4:5], vcc
	s_cbranch_execnz .LBB936_179
.LBB936_220:
	s_or_b64 exec, exec, s[4:5]
	v_cmp_gt_u32_e32 vcc, s33, v10
	s_and_saveexec_b64 s[4:5], vcc
	s_cbranch_execz .LBB936_226
.LBB936_221:
	v_cmp_ge_u32_e32 vcc, v10, v20
                                        ; implicit-def: $vgpr12_vgpr13
	s_and_saveexec_b64 s[6:7], vcc
	s_xor_b64 s[6:7], exec, s[6:7]
; %bb.222:
	v_xor_b32_e32 v10, 0xffffe5ff, v0
	v_ashrrev_i32_e32 v11, 31, v10
	v_lshl_add_u64 v[12:13], v[6:7], 0, v[10:11]
                                        ; implicit-def: $vgpr10_vgpr11
; %bb.223:
	s_andn2_saveexec_b64 s[6:7], s[6:7]
; %bb.224:
	v_lshl_add_u64 v[12:13], v[2:3], 0, v[10:11]
; %bb.225:
	s_or_b64 exec, exec, s[6:7]
	v_lshl_add_u64 v[10:11], v[12:13], 2, s[2:3]
	s_waitcnt lgkmcnt(1)
	global_store_dword v[10:11], v9, off
.LBB936_226:
	s_or_b64 exec, exec, s[4:5]
	v_cmp_gt_u32_e32 vcc, s33, v4
                                        ; implicit-def: $vgpr18_vgpr19
	s_and_saveexec_b64 s[4:5], vcc
	s_cbranch_execz .LBB936_232
; %bb.227:
	v_cmp_ge_u32_e32 vcc, v4, v20
                                        ; implicit-def: $vgpr18_vgpr19
	s_and_saveexec_b64 s[6:7], vcc
	s_xor_b64 s[6:7], exec, s[6:7]
; %bb.228:
	v_xor_b32_e32 v4, 0xffffe3ff, v0
	v_ashrrev_i32_e32 v5, 31, v4
	v_lshl_add_u64 v[18:19], v[6:7], 0, v[4:5]
                                        ; implicit-def: $vgpr4_vgpr5
; %bb.229:
	s_andn2_saveexec_b64 s[6:7], s[6:7]
; %bb.230:
	v_lshl_add_u64 v[18:19], v[2:3], 0, v[4:5]
; %bb.231:
	s_or_b64 exec, exec, s[6:7]
	s_or_b64 s[0:1], s[0:1], exec
.LBB936_232:
	s_or_b64 exec, exec, s[4:5]
.LBB936_233:
	s_and_saveexec_b64 s[4:5], s[0:1]
	s_cbranch_execz .LBB936_235
; %bb.234:
	v_lshl_add_u64 v[4:5], v[18:19], 2, s[2:3]
	s_waitcnt lgkmcnt(0)
	global_store_dword v[4:5], v54, off
.LBB936_235:
	s_or_b64 exec, exec, s[4:5]
	v_cmp_eq_u32_e32 vcc, 0, v0
	s_and_b64 s[0:1], vcc, s[26:27]
	s_and_saveexec_b64 s[2:3], s[0:1]
	s_cbranch_execz .LBB936_237
; %bb.236:
	v_mov_b32_e32 v4, 0
	v_lshl_add_u64 v[0:1], v[2:3], 0, v[20:21]
	global_store_dwordx2 v4, v[0:1], s[24:25]
.LBB936_237:
	s_endpgm
	.section	.rodata,"a",@progbits
	.p2align	6, 0x0
	.amdhsa_kernel _ZN7rocprim17ROCPRIM_400000_NS6detail17trampoline_kernelINS0_14default_configENS1_25partition_config_selectorILNS1_17partition_subalgoE3EjNS0_10empty_typeEbEEZZNS1_14partition_implILS5_3ELb0ES3_jN6thrust23THRUST_200600_302600_NS6detail15normal_iteratorINSA_7pointerIjNSA_11hip_rocprim3tagENSA_11use_defaultESG_EEEEPS6_SJ_NS0_5tupleIJPjSJ_EEENSK_IJSJ_SJ_EEES6_PlJ7is_evenIjEEEE10hipError_tPvRmT3_T4_T5_T6_T7_T9_mT8_P12ihipStream_tbDpT10_ENKUlT_T0_E_clISt17integral_constantIbLb1EES19_IbLb0EEEEDaS15_S16_EUlS15_E_NS1_11comp_targetILNS1_3genE5ELNS1_11target_archE942ELNS1_3gpuE9ELNS1_3repE0EEENS1_30default_config_static_selectorELNS0_4arch9wavefront6targetE1EEEvT1_
		.amdhsa_group_segment_fixed_size 30728
		.amdhsa_private_segment_fixed_size 0
		.amdhsa_kernarg_size 120
		.amdhsa_user_sgpr_count 2
		.amdhsa_user_sgpr_dispatch_ptr 0
		.amdhsa_user_sgpr_queue_ptr 0
		.amdhsa_user_sgpr_kernarg_segment_ptr 1
		.amdhsa_user_sgpr_dispatch_id 0
		.amdhsa_user_sgpr_kernarg_preload_length 0
		.amdhsa_user_sgpr_kernarg_preload_offset 0
		.amdhsa_user_sgpr_private_segment_size 0
		.amdhsa_uses_dynamic_stack 0
		.amdhsa_enable_private_segment 0
		.amdhsa_system_sgpr_workgroup_id_x 1
		.amdhsa_system_sgpr_workgroup_id_y 0
		.amdhsa_system_sgpr_workgroup_id_z 0
		.amdhsa_system_sgpr_workgroup_info 0
		.amdhsa_system_vgpr_workitem_id 0
		.amdhsa_next_free_vgpr 76
		.amdhsa_next_free_sgpr 46
		.amdhsa_accum_offset 76
		.amdhsa_reserve_vcc 1
		.amdhsa_float_round_mode_32 0
		.amdhsa_float_round_mode_16_64 0
		.amdhsa_float_denorm_mode_32 3
		.amdhsa_float_denorm_mode_16_64 3
		.amdhsa_dx10_clamp 1
		.amdhsa_ieee_mode 1
		.amdhsa_fp16_overflow 0
		.amdhsa_tg_split 0
		.amdhsa_exception_fp_ieee_invalid_op 0
		.amdhsa_exception_fp_denorm_src 0
		.amdhsa_exception_fp_ieee_div_zero 0
		.amdhsa_exception_fp_ieee_overflow 0
		.amdhsa_exception_fp_ieee_underflow 0
		.amdhsa_exception_fp_ieee_inexact 0
		.amdhsa_exception_int_div_zero 0
	.end_amdhsa_kernel
	.section	.text._ZN7rocprim17ROCPRIM_400000_NS6detail17trampoline_kernelINS0_14default_configENS1_25partition_config_selectorILNS1_17partition_subalgoE3EjNS0_10empty_typeEbEEZZNS1_14partition_implILS5_3ELb0ES3_jN6thrust23THRUST_200600_302600_NS6detail15normal_iteratorINSA_7pointerIjNSA_11hip_rocprim3tagENSA_11use_defaultESG_EEEEPS6_SJ_NS0_5tupleIJPjSJ_EEENSK_IJSJ_SJ_EEES6_PlJ7is_evenIjEEEE10hipError_tPvRmT3_T4_T5_T6_T7_T9_mT8_P12ihipStream_tbDpT10_ENKUlT_T0_E_clISt17integral_constantIbLb1EES19_IbLb0EEEEDaS15_S16_EUlS15_E_NS1_11comp_targetILNS1_3genE5ELNS1_11target_archE942ELNS1_3gpuE9ELNS1_3repE0EEENS1_30default_config_static_selectorELNS0_4arch9wavefront6targetE1EEEvT1_,"axG",@progbits,_ZN7rocprim17ROCPRIM_400000_NS6detail17trampoline_kernelINS0_14default_configENS1_25partition_config_selectorILNS1_17partition_subalgoE3EjNS0_10empty_typeEbEEZZNS1_14partition_implILS5_3ELb0ES3_jN6thrust23THRUST_200600_302600_NS6detail15normal_iteratorINSA_7pointerIjNSA_11hip_rocprim3tagENSA_11use_defaultESG_EEEEPS6_SJ_NS0_5tupleIJPjSJ_EEENSK_IJSJ_SJ_EEES6_PlJ7is_evenIjEEEE10hipError_tPvRmT3_T4_T5_T6_T7_T9_mT8_P12ihipStream_tbDpT10_ENKUlT_T0_E_clISt17integral_constantIbLb1EES19_IbLb0EEEEDaS15_S16_EUlS15_E_NS1_11comp_targetILNS1_3genE5ELNS1_11target_archE942ELNS1_3gpuE9ELNS1_3repE0EEENS1_30default_config_static_selectorELNS0_4arch9wavefront6targetE1EEEvT1_,comdat
.Lfunc_end936:
	.size	_ZN7rocprim17ROCPRIM_400000_NS6detail17trampoline_kernelINS0_14default_configENS1_25partition_config_selectorILNS1_17partition_subalgoE3EjNS0_10empty_typeEbEEZZNS1_14partition_implILS5_3ELb0ES3_jN6thrust23THRUST_200600_302600_NS6detail15normal_iteratorINSA_7pointerIjNSA_11hip_rocprim3tagENSA_11use_defaultESG_EEEEPS6_SJ_NS0_5tupleIJPjSJ_EEENSK_IJSJ_SJ_EEES6_PlJ7is_evenIjEEEE10hipError_tPvRmT3_T4_T5_T6_T7_T9_mT8_P12ihipStream_tbDpT10_ENKUlT_T0_E_clISt17integral_constantIbLb1EES19_IbLb0EEEEDaS15_S16_EUlS15_E_NS1_11comp_targetILNS1_3genE5ELNS1_11target_archE942ELNS1_3gpuE9ELNS1_3repE0EEENS1_30default_config_static_selectorELNS0_4arch9wavefront6targetE1EEEvT1_, .Lfunc_end936-_ZN7rocprim17ROCPRIM_400000_NS6detail17trampoline_kernelINS0_14default_configENS1_25partition_config_selectorILNS1_17partition_subalgoE3EjNS0_10empty_typeEbEEZZNS1_14partition_implILS5_3ELb0ES3_jN6thrust23THRUST_200600_302600_NS6detail15normal_iteratorINSA_7pointerIjNSA_11hip_rocprim3tagENSA_11use_defaultESG_EEEEPS6_SJ_NS0_5tupleIJPjSJ_EEENSK_IJSJ_SJ_EEES6_PlJ7is_evenIjEEEE10hipError_tPvRmT3_T4_T5_T6_T7_T9_mT8_P12ihipStream_tbDpT10_ENKUlT_T0_E_clISt17integral_constantIbLb1EES19_IbLb0EEEEDaS15_S16_EUlS15_E_NS1_11comp_targetILNS1_3genE5ELNS1_11target_archE942ELNS1_3gpuE9ELNS1_3repE0EEENS1_30default_config_static_selectorELNS0_4arch9wavefront6targetE1EEEvT1_
                                        ; -- End function
	.section	.AMDGPU.csdata,"",@progbits
; Kernel info:
; codeLenInByte = 7596
; NumSgprs: 52
; NumVgprs: 76
; NumAgprs: 0
; TotalNumVgprs: 76
; ScratchSize: 0
; MemoryBound: 0
; FloatMode: 240
; IeeeMode: 1
; LDSByteSize: 30728 bytes/workgroup (compile time only)
; SGPRBlocks: 6
; VGPRBlocks: 9
; NumSGPRsForWavesPerEU: 52
; NumVGPRsForWavesPerEU: 76
; AccumOffset: 76
; Occupancy: 4
; WaveLimiterHint : 1
; COMPUTE_PGM_RSRC2:SCRATCH_EN: 0
; COMPUTE_PGM_RSRC2:USER_SGPR: 2
; COMPUTE_PGM_RSRC2:TRAP_HANDLER: 0
; COMPUTE_PGM_RSRC2:TGID_X_EN: 1
; COMPUTE_PGM_RSRC2:TGID_Y_EN: 0
; COMPUTE_PGM_RSRC2:TGID_Z_EN: 0
; COMPUTE_PGM_RSRC2:TIDIG_COMP_CNT: 0
; COMPUTE_PGM_RSRC3_GFX90A:ACCUM_OFFSET: 18
; COMPUTE_PGM_RSRC3_GFX90A:TG_SPLIT: 0
	.section	.text._ZN7rocprim17ROCPRIM_400000_NS6detail17trampoline_kernelINS0_14default_configENS1_25partition_config_selectorILNS1_17partition_subalgoE3EjNS0_10empty_typeEbEEZZNS1_14partition_implILS5_3ELb0ES3_jN6thrust23THRUST_200600_302600_NS6detail15normal_iteratorINSA_7pointerIjNSA_11hip_rocprim3tagENSA_11use_defaultESG_EEEEPS6_SJ_NS0_5tupleIJPjSJ_EEENSK_IJSJ_SJ_EEES6_PlJ7is_evenIjEEEE10hipError_tPvRmT3_T4_T5_T6_T7_T9_mT8_P12ihipStream_tbDpT10_ENKUlT_T0_E_clISt17integral_constantIbLb1EES19_IbLb0EEEEDaS15_S16_EUlS15_E_NS1_11comp_targetILNS1_3genE4ELNS1_11target_archE910ELNS1_3gpuE8ELNS1_3repE0EEENS1_30default_config_static_selectorELNS0_4arch9wavefront6targetE1EEEvT1_,"axG",@progbits,_ZN7rocprim17ROCPRIM_400000_NS6detail17trampoline_kernelINS0_14default_configENS1_25partition_config_selectorILNS1_17partition_subalgoE3EjNS0_10empty_typeEbEEZZNS1_14partition_implILS5_3ELb0ES3_jN6thrust23THRUST_200600_302600_NS6detail15normal_iteratorINSA_7pointerIjNSA_11hip_rocprim3tagENSA_11use_defaultESG_EEEEPS6_SJ_NS0_5tupleIJPjSJ_EEENSK_IJSJ_SJ_EEES6_PlJ7is_evenIjEEEE10hipError_tPvRmT3_T4_T5_T6_T7_T9_mT8_P12ihipStream_tbDpT10_ENKUlT_T0_E_clISt17integral_constantIbLb1EES19_IbLb0EEEEDaS15_S16_EUlS15_E_NS1_11comp_targetILNS1_3genE4ELNS1_11target_archE910ELNS1_3gpuE8ELNS1_3repE0EEENS1_30default_config_static_selectorELNS0_4arch9wavefront6targetE1EEEvT1_,comdat
	.protected	_ZN7rocprim17ROCPRIM_400000_NS6detail17trampoline_kernelINS0_14default_configENS1_25partition_config_selectorILNS1_17partition_subalgoE3EjNS0_10empty_typeEbEEZZNS1_14partition_implILS5_3ELb0ES3_jN6thrust23THRUST_200600_302600_NS6detail15normal_iteratorINSA_7pointerIjNSA_11hip_rocprim3tagENSA_11use_defaultESG_EEEEPS6_SJ_NS0_5tupleIJPjSJ_EEENSK_IJSJ_SJ_EEES6_PlJ7is_evenIjEEEE10hipError_tPvRmT3_T4_T5_T6_T7_T9_mT8_P12ihipStream_tbDpT10_ENKUlT_T0_E_clISt17integral_constantIbLb1EES19_IbLb0EEEEDaS15_S16_EUlS15_E_NS1_11comp_targetILNS1_3genE4ELNS1_11target_archE910ELNS1_3gpuE8ELNS1_3repE0EEENS1_30default_config_static_selectorELNS0_4arch9wavefront6targetE1EEEvT1_ ; -- Begin function _ZN7rocprim17ROCPRIM_400000_NS6detail17trampoline_kernelINS0_14default_configENS1_25partition_config_selectorILNS1_17partition_subalgoE3EjNS0_10empty_typeEbEEZZNS1_14partition_implILS5_3ELb0ES3_jN6thrust23THRUST_200600_302600_NS6detail15normal_iteratorINSA_7pointerIjNSA_11hip_rocprim3tagENSA_11use_defaultESG_EEEEPS6_SJ_NS0_5tupleIJPjSJ_EEENSK_IJSJ_SJ_EEES6_PlJ7is_evenIjEEEE10hipError_tPvRmT3_T4_T5_T6_T7_T9_mT8_P12ihipStream_tbDpT10_ENKUlT_T0_E_clISt17integral_constantIbLb1EES19_IbLb0EEEEDaS15_S16_EUlS15_E_NS1_11comp_targetILNS1_3genE4ELNS1_11target_archE910ELNS1_3gpuE8ELNS1_3repE0EEENS1_30default_config_static_selectorELNS0_4arch9wavefront6targetE1EEEvT1_
	.globl	_ZN7rocprim17ROCPRIM_400000_NS6detail17trampoline_kernelINS0_14default_configENS1_25partition_config_selectorILNS1_17partition_subalgoE3EjNS0_10empty_typeEbEEZZNS1_14partition_implILS5_3ELb0ES3_jN6thrust23THRUST_200600_302600_NS6detail15normal_iteratorINSA_7pointerIjNSA_11hip_rocprim3tagENSA_11use_defaultESG_EEEEPS6_SJ_NS0_5tupleIJPjSJ_EEENSK_IJSJ_SJ_EEES6_PlJ7is_evenIjEEEE10hipError_tPvRmT3_T4_T5_T6_T7_T9_mT8_P12ihipStream_tbDpT10_ENKUlT_T0_E_clISt17integral_constantIbLb1EES19_IbLb0EEEEDaS15_S16_EUlS15_E_NS1_11comp_targetILNS1_3genE4ELNS1_11target_archE910ELNS1_3gpuE8ELNS1_3repE0EEENS1_30default_config_static_selectorELNS0_4arch9wavefront6targetE1EEEvT1_
	.p2align	8
	.type	_ZN7rocprim17ROCPRIM_400000_NS6detail17trampoline_kernelINS0_14default_configENS1_25partition_config_selectorILNS1_17partition_subalgoE3EjNS0_10empty_typeEbEEZZNS1_14partition_implILS5_3ELb0ES3_jN6thrust23THRUST_200600_302600_NS6detail15normal_iteratorINSA_7pointerIjNSA_11hip_rocprim3tagENSA_11use_defaultESG_EEEEPS6_SJ_NS0_5tupleIJPjSJ_EEENSK_IJSJ_SJ_EEES6_PlJ7is_evenIjEEEE10hipError_tPvRmT3_T4_T5_T6_T7_T9_mT8_P12ihipStream_tbDpT10_ENKUlT_T0_E_clISt17integral_constantIbLb1EES19_IbLb0EEEEDaS15_S16_EUlS15_E_NS1_11comp_targetILNS1_3genE4ELNS1_11target_archE910ELNS1_3gpuE8ELNS1_3repE0EEENS1_30default_config_static_selectorELNS0_4arch9wavefront6targetE1EEEvT1_,@function
_ZN7rocprim17ROCPRIM_400000_NS6detail17trampoline_kernelINS0_14default_configENS1_25partition_config_selectorILNS1_17partition_subalgoE3EjNS0_10empty_typeEbEEZZNS1_14partition_implILS5_3ELb0ES3_jN6thrust23THRUST_200600_302600_NS6detail15normal_iteratorINSA_7pointerIjNSA_11hip_rocprim3tagENSA_11use_defaultESG_EEEEPS6_SJ_NS0_5tupleIJPjSJ_EEENSK_IJSJ_SJ_EEES6_PlJ7is_evenIjEEEE10hipError_tPvRmT3_T4_T5_T6_T7_T9_mT8_P12ihipStream_tbDpT10_ENKUlT_T0_E_clISt17integral_constantIbLb1EES19_IbLb0EEEEDaS15_S16_EUlS15_E_NS1_11comp_targetILNS1_3genE4ELNS1_11target_archE910ELNS1_3gpuE8ELNS1_3repE0EEENS1_30default_config_static_selectorELNS0_4arch9wavefront6targetE1EEEvT1_: ; @_ZN7rocprim17ROCPRIM_400000_NS6detail17trampoline_kernelINS0_14default_configENS1_25partition_config_selectorILNS1_17partition_subalgoE3EjNS0_10empty_typeEbEEZZNS1_14partition_implILS5_3ELb0ES3_jN6thrust23THRUST_200600_302600_NS6detail15normal_iteratorINSA_7pointerIjNSA_11hip_rocprim3tagENSA_11use_defaultESG_EEEEPS6_SJ_NS0_5tupleIJPjSJ_EEENSK_IJSJ_SJ_EEES6_PlJ7is_evenIjEEEE10hipError_tPvRmT3_T4_T5_T6_T7_T9_mT8_P12ihipStream_tbDpT10_ENKUlT_T0_E_clISt17integral_constantIbLb1EES19_IbLb0EEEEDaS15_S16_EUlS15_E_NS1_11comp_targetILNS1_3genE4ELNS1_11target_archE910ELNS1_3gpuE8ELNS1_3repE0EEENS1_30default_config_static_selectorELNS0_4arch9wavefront6targetE1EEEvT1_
; %bb.0:
	.section	.rodata,"a",@progbits
	.p2align	6, 0x0
	.amdhsa_kernel _ZN7rocprim17ROCPRIM_400000_NS6detail17trampoline_kernelINS0_14default_configENS1_25partition_config_selectorILNS1_17partition_subalgoE3EjNS0_10empty_typeEbEEZZNS1_14partition_implILS5_3ELb0ES3_jN6thrust23THRUST_200600_302600_NS6detail15normal_iteratorINSA_7pointerIjNSA_11hip_rocprim3tagENSA_11use_defaultESG_EEEEPS6_SJ_NS0_5tupleIJPjSJ_EEENSK_IJSJ_SJ_EEES6_PlJ7is_evenIjEEEE10hipError_tPvRmT3_T4_T5_T6_T7_T9_mT8_P12ihipStream_tbDpT10_ENKUlT_T0_E_clISt17integral_constantIbLb1EES19_IbLb0EEEEDaS15_S16_EUlS15_E_NS1_11comp_targetILNS1_3genE4ELNS1_11target_archE910ELNS1_3gpuE8ELNS1_3repE0EEENS1_30default_config_static_selectorELNS0_4arch9wavefront6targetE1EEEvT1_
		.amdhsa_group_segment_fixed_size 0
		.amdhsa_private_segment_fixed_size 0
		.amdhsa_kernarg_size 120
		.amdhsa_user_sgpr_count 2
		.amdhsa_user_sgpr_dispatch_ptr 0
		.amdhsa_user_sgpr_queue_ptr 0
		.amdhsa_user_sgpr_kernarg_segment_ptr 1
		.amdhsa_user_sgpr_dispatch_id 0
		.amdhsa_user_sgpr_kernarg_preload_length 0
		.amdhsa_user_sgpr_kernarg_preload_offset 0
		.amdhsa_user_sgpr_private_segment_size 0
		.amdhsa_uses_dynamic_stack 0
		.amdhsa_enable_private_segment 0
		.amdhsa_system_sgpr_workgroup_id_x 1
		.amdhsa_system_sgpr_workgroup_id_y 0
		.amdhsa_system_sgpr_workgroup_id_z 0
		.amdhsa_system_sgpr_workgroup_info 0
		.amdhsa_system_vgpr_workitem_id 0
		.amdhsa_next_free_vgpr 1
		.amdhsa_next_free_sgpr 0
		.amdhsa_accum_offset 4
		.amdhsa_reserve_vcc 0
		.amdhsa_float_round_mode_32 0
		.amdhsa_float_round_mode_16_64 0
		.amdhsa_float_denorm_mode_32 3
		.amdhsa_float_denorm_mode_16_64 3
		.amdhsa_dx10_clamp 1
		.amdhsa_ieee_mode 1
		.amdhsa_fp16_overflow 0
		.amdhsa_tg_split 0
		.amdhsa_exception_fp_ieee_invalid_op 0
		.amdhsa_exception_fp_denorm_src 0
		.amdhsa_exception_fp_ieee_div_zero 0
		.amdhsa_exception_fp_ieee_overflow 0
		.amdhsa_exception_fp_ieee_underflow 0
		.amdhsa_exception_fp_ieee_inexact 0
		.amdhsa_exception_int_div_zero 0
	.end_amdhsa_kernel
	.section	.text._ZN7rocprim17ROCPRIM_400000_NS6detail17trampoline_kernelINS0_14default_configENS1_25partition_config_selectorILNS1_17partition_subalgoE3EjNS0_10empty_typeEbEEZZNS1_14partition_implILS5_3ELb0ES3_jN6thrust23THRUST_200600_302600_NS6detail15normal_iteratorINSA_7pointerIjNSA_11hip_rocprim3tagENSA_11use_defaultESG_EEEEPS6_SJ_NS0_5tupleIJPjSJ_EEENSK_IJSJ_SJ_EEES6_PlJ7is_evenIjEEEE10hipError_tPvRmT3_T4_T5_T6_T7_T9_mT8_P12ihipStream_tbDpT10_ENKUlT_T0_E_clISt17integral_constantIbLb1EES19_IbLb0EEEEDaS15_S16_EUlS15_E_NS1_11comp_targetILNS1_3genE4ELNS1_11target_archE910ELNS1_3gpuE8ELNS1_3repE0EEENS1_30default_config_static_selectorELNS0_4arch9wavefront6targetE1EEEvT1_,"axG",@progbits,_ZN7rocprim17ROCPRIM_400000_NS6detail17trampoline_kernelINS0_14default_configENS1_25partition_config_selectorILNS1_17partition_subalgoE3EjNS0_10empty_typeEbEEZZNS1_14partition_implILS5_3ELb0ES3_jN6thrust23THRUST_200600_302600_NS6detail15normal_iteratorINSA_7pointerIjNSA_11hip_rocprim3tagENSA_11use_defaultESG_EEEEPS6_SJ_NS0_5tupleIJPjSJ_EEENSK_IJSJ_SJ_EEES6_PlJ7is_evenIjEEEE10hipError_tPvRmT3_T4_T5_T6_T7_T9_mT8_P12ihipStream_tbDpT10_ENKUlT_T0_E_clISt17integral_constantIbLb1EES19_IbLb0EEEEDaS15_S16_EUlS15_E_NS1_11comp_targetILNS1_3genE4ELNS1_11target_archE910ELNS1_3gpuE8ELNS1_3repE0EEENS1_30default_config_static_selectorELNS0_4arch9wavefront6targetE1EEEvT1_,comdat
.Lfunc_end937:
	.size	_ZN7rocprim17ROCPRIM_400000_NS6detail17trampoline_kernelINS0_14default_configENS1_25partition_config_selectorILNS1_17partition_subalgoE3EjNS0_10empty_typeEbEEZZNS1_14partition_implILS5_3ELb0ES3_jN6thrust23THRUST_200600_302600_NS6detail15normal_iteratorINSA_7pointerIjNSA_11hip_rocprim3tagENSA_11use_defaultESG_EEEEPS6_SJ_NS0_5tupleIJPjSJ_EEENSK_IJSJ_SJ_EEES6_PlJ7is_evenIjEEEE10hipError_tPvRmT3_T4_T5_T6_T7_T9_mT8_P12ihipStream_tbDpT10_ENKUlT_T0_E_clISt17integral_constantIbLb1EES19_IbLb0EEEEDaS15_S16_EUlS15_E_NS1_11comp_targetILNS1_3genE4ELNS1_11target_archE910ELNS1_3gpuE8ELNS1_3repE0EEENS1_30default_config_static_selectorELNS0_4arch9wavefront6targetE1EEEvT1_, .Lfunc_end937-_ZN7rocprim17ROCPRIM_400000_NS6detail17trampoline_kernelINS0_14default_configENS1_25partition_config_selectorILNS1_17partition_subalgoE3EjNS0_10empty_typeEbEEZZNS1_14partition_implILS5_3ELb0ES3_jN6thrust23THRUST_200600_302600_NS6detail15normal_iteratorINSA_7pointerIjNSA_11hip_rocprim3tagENSA_11use_defaultESG_EEEEPS6_SJ_NS0_5tupleIJPjSJ_EEENSK_IJSJ_SJ_EEES6_PlJ7is_evenIjEEEE10hipError_tPvRmT3_T4_T5_T6_T7_T9_mT8_P12ihipStream_tbDpT10_ENKUlT_T0_E_clISt17integral_constantIbLb1EES19_IbLb0EEEEDaS15_S16_EUlS15_E_NS1_11comp_targetILNS1_3genE4ELNS1_11target_archE910ELNS1_3gpuE8ELNS1_3repE0EEENS1_30default_config_static_selectorELNS0_4arch9wavefront6targetE1EEEvT1_
                                        ; -- End function
	.section	.AMDGPU.csdata,"",@progbits
; Kernel info:
; codeLenInByte = 0
; NumSgprs: 6
; NumVgprs: 0
; NumAgprs: 0
; TotalNumVgprs: 0
; ScratchSize: 0
; MemoryBound: 0
; FloatMode: 240
; IeeeMode: 1
; LDSByteSize: 0 bytes/workgroup (compile time only)
; SGPRBlocks: 0
; VGPRBlocks: 0
; NumSGPRsForWavesPerEU: 6
; NumVGPRsForWavesPerEU: 1
; AccumOffset: 4
; Occupancy: 8
; WaveLimiterHint : 0
; COMPUTE_PGM_RSRC2:SCRATCH_EN: 0
; COMPUTE_PGM_RSRC2:USER_SGPR: 2
; COMPUTE_PGM_RSRC2:TRAP_HANDLER: 0
; COMPUTE_PGM_RSRC2:TGID_X_EN: 1
; COMPUTE_PGM_RSRC2:TGID_Y_EN: 0
; COMPUTE_PGM_RSRC2:TGID_Z_EN: 0
; COMPUTE_PGM_RSRC2:TIDIG_COMP_CNT: 0
; COMPUTE_PGM_RSRC3_GFX90A:ACCUM_OFFSET: 0
; COMPUTE_PGM_RSRC3_GFX90A:TG_SPLIT: 0
	.section	.text._ZN7rocprim17ROCPRIM_400000_NS6detail17trampoline_kernelINS0_14default_configENS1_25partition_config_selectorILNS1_17partition_subalgoE3EjNS0_10empty_typeEbEEZZNS1_14partition_implILS5_3ELb0ES3_jN6thrust23THRUST_200600_302600_NS6detail15normal_iteratorINSA_7pointerIjNSA_11hip_rocprim3tagENSA_11use_defaultESG_EEEEPS6_SJ_NS0_5tupleIJPjSJ_EEENSK_IJSJ_SJ_EEES6_PlJ7is_evenIjEEEE10hipError_tPvRmT3_T4_T5_T6_T7_T9_mT8_P12ihipStream_tbDpT10_ENKUlT_T0_E_clISt17integral_constantIbLb1EES19_IbLb0EEEEDaS15_S16_EUlS15_E_NS1_11comp_targetILNS1_3genE3ELNS1_11target_archE908ELNS1_3gpuE7ELNS1_3repE0EEENS1_30default_config_static_selectorELNS0_4arch9wavefront6targetE1EEEvT1_,"axG",@progbits,_ZN7rocprim17ROCPRIM_400000_NS6detail17trampoline_kernelINS0_14default_configENS1_25partition_config_selectorILNS1_17partition_subalgoE3EjNS0_10empty_typeEbEEZZNS1_14partition_implILS5_3ELb0ES3_jN6thrust23THRUST_200600_302600_NS6detail15normal_iteratorINSA_7pointerIjNSA_11hip_rocprim3tagENSA_11use_defaultESG_EEEEPS6_SJ_NS0_5tupleIJPjSJ_EEENSK_IJSJ_SJ_EEES6_PlJ7is_evenIjEEEE10hipError_tPvRmT3_T4_T5_T6_T7_T9_mT8_P12ihipStream_tbDpT10_ENKUlT_T0_E_clISt17integral_constantIbLb1EES19_IbLb0EEEEDaS15_S16_EUlS15_E_NS1_11comp_targetILNS1_3genE3ELNS1_11target_archE908ELNS1_3gpuE7ELNS1_3repE0EEENS1_30default_config_static_selectorELNS0_4arch9wavefront6targetE1EEEvT1_,comdat
	.protected	_ZN7rocprim17ROCPRIM_400000_NS6detail17trampoline_kernelINS0_14default_configENS1_25partition_config_selectorILNS1_17partition_subalgoE3EjNS0_10empty_typeEbEEZZNS1_14partition_implILS5_3ELb0ES3_jN6thrust23THRUST_200600_302600_NS6detail15normal_iteratorINSA_7pointerIjNSA_11hip_rocprim3tagENSA_11use_defaultESG_EEEEPS6_SJ_NS0_5tupleIJPjSJ_EEENSK_IJSJ_SJ_EEES6_PlJ7is_evenIjEEEE10hipError_tPvRmT3_T4_T5_T6_T7_T9_mT8_P12ihipStream_tbDpT10_ENKUlT_T0_E_clISt17integral_constantIbLb1EES19_IbLb0EEEEDaS15_S16_EUlS15_E_NS1_11comp_targetILNS1_3genE3ELNS1_11target_archE908ELNS1_3gpuE7ELNS1_3repE0EEENS1_30default_config_static_selectorELNS0_4arch9wavefront6targetE1EEEvT1_ ; -- Begin function _ZN7rocprim17ROCPRIM_400000_NS6detail17trampoline_kernelINS0_14default_configENS1_25partition_config_selectorILNS1_17partition_subalgoE3EjNS0_10empty_typeEbEEZZNS1_14partition_implILS5_3ELb0ES3_jN6thrust23THRUST_200600_302600_NS6detail15normal_iteratorINSA_7pointerIjNSA_11hip_rocprim3tagENSA_11use_defaultESG_EEEEPS6_SJ_NS0_5tupleIJPjSJ_EEENSK_IJSJ_SJ_EEES6_PlJ7is_evenIjEEEE10hipError_tPvRmT3_T4_T5_T6_T7_T9_mT8_P12ihipStream_tbDpT10_ENKUlT_T0_E_clISt17integral_constantIbLb1EES19_IbLb0EEEEDaS15_S16_EUlS15_E_NS1_11comp_targetILNS1_3genE3ELNS1_11target_archE908ELNS1_3gpuE7ELNS1_3repE0EEENS1_30default_config_static_selectorELNS0_4arch9wavefront6targetE1EEEvT1_
	.globl	_ZN7rocprim17ROCPRIM_400000_NS6detail17trampoline_kernelINS0_14default_configENS1_25partition_config_selectorILNS1_17partition_subalgoE3EjNS0_10empty_typeEbEEZZNS1_14partition_implILS5_3ELb0ES3_jN6thrust23THRUST_200600_302600_NS6detail15normal_iteratorINSA_7pointerIjNSA_11hip_rocprim3tagENSA_11use_defaultESG_EEEEPS6_SJ_NS0_5tupleIJPjSJ_EEENSK_IJSJ_SJ_EEES6_PlJ7is_evenIjEEEE10hipError_tPvRmT3_T4_T5_T6_T7_T9_mT8_P12ihipStream_tbDpT10_ENKUlT_T0_E_clISt17integral_constantIbLb1EES19_IbLb0EEEEDaS15_S16_EUlS15_E_NS1_11comp_targetILNS1_3genE3ELNS1_11target_archE908ELNS1_3gpuE7ELNS1_3repE0EEENS1_30default_config_static_selectorELNS0_4arch9wavefront6targetE1EEEvT1_
	.p2align	8
	.type	_ZN7rocprim17ROCPRIM_400000_NS6detail17trampoline_kernelINS0_14default_configENS1_25partition_config_selectorILNS1_17partition_subalgoE3EjNS0_10empty_typeEbEEZZNS1_14partition_implILS5_3ELb0ES3_jN6thrust23THRUST_200600_302600_NS6detail15normal_iteratorINSA_7pointerIjNSA_11hip_rocprim3tagENSA_11use_defaultESG_EEEEPS6_SJ_NS0_5tupleIJPjSJ_EEENSK_IJSJ_SJ_EEES6_PlJ7is_evenIjEEEE10hipError_tPvRmT3_T4_T5_T6_T7_T9_mT8_P12ihipStream_tbDpT10_ENKUlT_T0_E_clISt17integral_constantIbLb1EES19_IbLb0EEEEDaS15_S16_EUlS15_E_NS1_11comp_targetILNS1_3genE3ELNS1_11target_archE908ELNS1_3gpuE7ELNS1_3repE0EEENS1_30default_config_static_selectorELNS0_4arch9wavefront6targetE1EEEvT1_,@function
_ZN7rocprim17ROCPRIM_400000_NS6detail17trampoline_kernelINS0_14default_configENS1_25partition_config_selectorILNS1_17partition_subalgoE3EjNS0_10empty_typeEbEEZZNS1_14partition_implILS5_3ELb0ES3_jN6thrust23THRUST_200600_302600_NS6detail15normal_iteratorINSA_7pointerIjNSA_11hip_rocprim3tagENSA_11use_defaultESG_EEEEPS6_SJ_NS0_5tupleIJPjSJ_EEENSK_IJSJ_SJ_EEES6_PlJ7is_evenIjEEEE10hipError_tPvRmT3_T4_T5_T6_T7_T9_mT8_P12ihipStream_tbDpT10_ENKUlT_T0_E_clISt17integral_constantIbLb1EES19_IbLb0EEEEDaS15_S16_EUlS15_E_NS1_11comp_targetILNS1_3genE3ELNS1_11target_archE908ELNS1_3gpuE7ELNS1_3repE0EEENS1_30default_config_static_selectorELNS0_4arch9wavefront6targetE1EEEvT1_: ; @_ZN7rocprim17ROCPRIM_400000_NS6detail17trampoline_kernelINS0_14default_configENS1_25partition_config_selectorILNS1_17partition_subalgoE3EjNS0_10empty_typeEbEEZZNS1_14partition_implILS5_3ELb0ES3_jN6thrust23THRUST_200600_302600_NS6detail15normal_iteratorINSA_7pointerIjNSA_11hip_rocprim3tagENSA_11use_defaultESG_EEEEPS6_SJ_NS0_5tupleIJPjSJ_EEENSK_IJSJ_SJ_EEES6_PlJ7is_evenIjEEEE10hipError_tPvRmT3_T4_T5_T6_T7_T9_mT8_P12ihipStream_tbDpT10_ENKUlT_T0_E_clISt17integral_constantIbLb1EES19_IbLb0EEEEDaS15_S16_EUlS15_E_NS1_11comp_targetILNS1_3genE3ELNS1_11target_archE908ELNS1_3gpuE7ELNS1_3repE0EEENS1_30default_config_static_selectorELNS0_4arch9wavefront6targetE1EEEvT1_
; %bb.0:
	.section	.rodata,"a",@progbits
	.p2align	6, 0x0
	.amdhsa_kernel _ZN7rocprim17ROCPRIM_400000_NS6detail17trampoline_kernelINS0_14default_configENS1_25partition_config_selectorILNS1_17partition_subalgoE3EjNS0_10empty_typeEbEEZZNS1_14partition_implILS5_3ELb0ES3_jN6thrust23THRUST_200600_302600_NS6detail15normal_iteratorINSA_7pointerIjNSA_11hip_rocprim3tagENSA_11use_defaultESG_EEEEPS6_SJ_NS0_5tupleIJPjSJ_EEENSK_IJSJ_SJ_EEES6_PlJ7is_evenIjEEEE10hipError_tPvRmT3_T4_T5_T6_T7_T9_mT8_P12ihipStream_tbDpT10_ENKUlT_T0_E_clISt17integral_constantIbLb1EES19_IbLb0EEEEDaS15_S16_EUlS15_E_NS1_11comp_targetILNS1_3genE3ELNS1_11target_archE908ELNS1_3gpuE7ELNS1_3repE0EEENS1_30default_config_static_selectorELNS0_4arch9wavefront6targetE1EEEvT1_
		.amdhsa_group_segment_fixed_size 0
		.amdhsa_private_segment_fixed_size 0
		.amdhsa_kernarg_size 120
		.amdhsa_user_sgpr_count 2
		.amdhsa_user_sgpr_dispatch_ptr 0
		.amdhsa_user_sgpr_queue_ptr 0
		.amdhsa_user_sgpr_kernarg_segment_ptr 1
		.amdhsa_user_sgpr_dispatch_id 0
		.amdhsa_user_sgpr_kernarg_preload_length 0
		.amdhsa_user_sgpr_kernarg_preload_offset 0
		.amdhsa_user_sgpr_private_segment_size 0
		.amdhsa_uses_dynamic_stack 0
		.amdhsa_enable_private_segment 0
		.amdhsa_system_sgpr_workgroup_id_x 1
		.amdhsa_system_sgpr_workgroup_id_y 0
		.amdhsa_system_sgpr_workgroup_id_z 0
		.amdhsa_system_sgpr_workgroup_info 0
		.amdhsa_system_vgpr_workitem_id 0
		.amdhsa_next_free_vgpr 1
		.amdhsa_next_free_sgpr 0
		.amdhsa_accum_offset 4
		.amdhsa_reserve_vcc 0
		.amdhsa_float_round_mode_32 0
		.amdhsa_float_round_mode_16_64 0
		.amdhsa_float_denorm_mode_32 3
		.amdhsa_float_denorm_mode_16_64 3
		.amdhsa_dx10_clamp 1
		.amdhsa_ieee_mode 1
		.amdhsa_fp16_overflow 0
		.amdhsa_tg_split 0
		.amdhsa_exception_fp_ieee_invalid_op 0
		.amdhsa_exception_fp_denorm_src 0
		.amdhsa_exception_fp_ieee_div_zero 0
		.amdhsa_exception_fp_ieee_overflow 0
		.amdhsa_exception_fp_ieee_underflow 0
		.amdhsa_exception_fp_ieee_inexact 0
		.amdhsa_exception_int_div_zero 0
	.end_amdhsa_kernel
	.section	.text._ZN7rocprim17ROCPRIM_400000_NS6detail17trampoline_kernelINS0_14default_configENS1_25partition_config_selectorILNS1_17partition_subalgoE3EjNS0_10empty_typeEbEEZZNS1_14partition_implILS5_3ELb0ES3_jN6thrust23THRUST_200600_302600_NS6detail15normal_iteratorINSA_7pointerIjNSA_11hip_rocprim3tagENSA_11use_defaultESG_EEEEPS6_SJ_NS0_5tupleIJPjSJ_EEENSK_IJSJ_SJ_EEES6_PlJ7is_evenIjEEEE10hipError_tPvRmT3_T4_T5_T6_T7_T9_mT8_P12ihipStream_tbDpT10_ENKUlT_T0_E_clISt17integral_constantIbLb1EES19_IbLb0EEEEDaS15_S16_EUlS15_E_NS1_11comp_targetILNS1_3genE3ELNS1_11target_archE908ELNS1_3gpuE7ELNS1_3repE0EEENS1_30default_config_static_selectorELNS0_4arch9wavefront6targetE1EEEvT1_,"axG",@progbits,_ZN7rocprim17ROCPRIM_400000_NS6detail17trampoline_kernelINS0_14default_configENS1_25partition_config_selectorILNS1_17partition_subalgoE3EjNS0_10empty_typeEbEEZZNS1_14partition_implILS5_3ELb0ES3_jN6thrust23THRUST_200600_302600_NS6detail15normal_iteratorINSA_7pointerIjNSA_11hip_rocprim3tagENSA_11use_defaultESG_EEEEPS6_SJ_NS0_5tupleIJPjSJ_EEENSK_IJSJ_SJ_EEES6_PlJ7is_evenIjEEEE10hipError_tPvRmT3_T4_T5_T6_T7_T9_mT8_P12ihipStream_tbDpT10_ENKUlT_T0_E_clISt17integral_constantIbLb1EES19_IbLb0EEEEDaS15_S16_EUlS15_E_NS1_11comp_targetILNS1_3genE3ELNS1_11target_archE908ELNS1_3gpuE7ELNS1_3repE0EEENS1_30default_config_static_selectorELNS0_4arch9wavefront6targetE1EEEvT1_,comdat
.Lfunc_end938:
	.size	_ZN7rocprim17ROCPRIM_400000_NS6detail17trampoline_kernelINS0_14default_configENS1_25partition_config_selectorILNS1_17partition_subalgoE3EjNS0_10empty_typeEbEEZZNS1_14partition_implILS5_3ELb0ES3_jN6thrust23THRUST_200600_302600_NS6detail15normal_iteratorINSA_7pointerIjNSA_11hip_rocprim3tagENSA_11use_defaultESG_EEEEPS6_SJ_NS0_5tupleIJPjSJ_EEENSK_IJSJ_SJ_EEES6_PlJ7is_evenIjEEEE10hipError_tPvRmT3_T4_T5_T6_T7_T9_mT8_P12ihipStream_tbDpT10_ENKUlT_T0_E_clISt17integral_constantIbLb1EES19_IbLb0EEEEDaS15_S16_EUlS15_E_NS1_11comp_targetILNS1_3genE3ELNS1_11target_archE908ELNS1_3gpuE7ELNS1_3repE0EEENS1_30default_config_static_selectorELNS0_4arch9wavefront6targetE1EEEvT1_, .Lfunc_end938-_ZN7rocprim17ROCPRIM_400000_NS6detail17trampoline_kernelINS0_14default_configENS1_25partition_config_selectorILNS1_17partition_subalgoE3EjNS0_10empty_typeEbEEZZNS1_14partition_implILS5_3ELb0ES3_jN6thrust23THRUST_200600_302600_NS6detail15normal_iteratorINSA_7pointerIjNSA_11hip_rocprim3tagENSA_11use_defaultESG_EEEEPS6_SJ_NS0_5tupleIJPjSJ_EEENSK_IJSJ_SJ_EEES6_PlJ7is_evenIjEEEE10hipError_tPvRmT3_T4_T5_T6_T7_T9_mT8_P12ihipStream_tbDpT10_ENKUlT_T0_E_clISt17integral_constantIbLb1EES19_IbLb0EEEEDaS15_S16_EUlS15_E_NS1_11comp_targetILNS1_3genE3ELNS1_11target_archE908ELNS1_3gpuE7ELNS1_3repE0EEENS1_30default_config_static_selectorELNS0_4arch9wavefront6targetE1EEEvT1_
                                        ; -- End function
	.section	.AMDGPU.csdata,"",@progbits
; Kernel info:
; codeLenInByte = 0
; NumSgprs: 6
; NumVgprs: 0
; NumAgprs: 0
; TotalNumVgprs: 0
; ScratchSize: 0
; MemoryBound: 0
; FloatMode: 240
; IeeeMode: 1
; LDSByteSize: 0 bytes/workgroup (compile time only)
; SGPRBlocks: 0
; VGPRBlocks: 0
; NumSGPRsForWavesPerEU: 6
; NumVGPRsForWavesPerEU: 1
; AccumOffset: 4
; Occupancy: 8
; WaveLimiterHint : 0
; COMPUTE_PGM_RSRC2:SCRATCH_EN: 0
; COMPUTE_PGM_RSRC2:USER_SGPR: 2
; COMPUTE_PGM_RSRC2:TRAP_HANDLER: 0
; COMPUTE_PGM_RSRC2:TGID_X_EN: 1
; COMPUTE_PGM_RSRC2:TGID_Y_EN: 0
; COMPUTE_PGM_RSRC2:TGID_Z_EN: 0
; COMPUTE_PGM_RSRC2:TIDIG_COMP_CNT: 0
; COMPUTE_PGM_RSRC3_GFX90A:ACCUM_OFFSET: 0
; COMPUTE_PGM_RSRC3_GFX90A:TG_SPLIT: 0
	.section	.text._ZN7rocprim17ROCPRIM_400000_NS6detail17trampoline_kernelINS0_14default_configENS1_25partition_config_selectorILNS1_17partition_subalgoE3EjNS0_10empty_typeEbEEZZNS1_14partition_implILS5_3ELb0ES3_jN6thrust23THRUST_200600_302600_NS6detail15normal_iteratorINSA_7pointerIjNSA_11hip_rocprim3tagENSA_11use_defaultESG_EEEEPS6_SJ_NS0_5tupleIJPjSJ_EEENSK_IJSJ_SJ_EEES6_PlJ7is_evenIjEEEE10hipError_tPvRmT3_T4_T5_T6_T7_T9_mT8_P12ihipStream_tbDpT10_ENKUlT_T0_E_clISt17integral_constantIbLb1EES19_IbLb0EEEEDaS15_S16_EUlS15_E_NS1_11comp_targetILNS1_3genE2ELNS1_11target_archE906ELNS1_3gpuE6ELNS1_3repE0EEENS1_30default_config_static_selectorELNS0_4arch9wavefront6targetE1EEEvT1_,"axG",@progbits,_ZN7rocprim17ROCPRIM_400000_NS6detail17trampoline_kernelINS0_14default_configENS1_25partition_config_selectorILNS1_17partition_subalgoE3EjNS0_10empty_typeEbEEZZNS1_14partition_implILS5_3ELb0ES3_jN6thrust23THRUST_200600_302600_NS6detail15normal_iteratorINSA_7pointerIjNSA_11hip_rocprim3tagENSA_11use_defaultESG_EEEEPS6_SJ_NS0_5tupleIJPjSJ_EEENSK_IJSJ_SJ_EEES6_PlJ7is_evenIjEEEE10hipError_tPvRmT3_T4_T5_T6_T7_T9_mT8_P12ihipStream_tbDpT10_ENKUlT_T0_E_clISt17integral_constantIbLb1EES19_IbLb0EEEEDaS15_S16_EUlS15_E_NS1_11comp_targetILNS1_3genE2ELNS1_11target_archE906ELNS1_3gpuE6ELNS1_3repE0EEENS1_30default_config_static_selectorELNS0_4arch9wavefront6targetE1EEEvT1_,comdat
	.protected	_ZN7rocprim17ROCPRIM_400000_NS6detail17trampoline_kernelINS0_14default_configENS1_25partition_config_selectorILNS1_17partition_subalgoE3EjNS0_10empty_typeEbEEZZNS1_14partition_implILS5_3ELb0ES3_jN6thrust23THRUST_200600_302600_NS6detail15normal_iteratorINSA_7pointerIjNSA_11hip_rocprim3tagENSA_11use_defaultESG_EEEEPS6_SJ_NS0_5tupleIJPjSJ_EEENSK_IJSJ_SJ_EEES6_PlJ7is_evenIjEEEE10hipError_tPvRmT3_T4_T5_T6_T7_T9_mT8_P12ihipStream_tbDpT10_ENKUlT_T0_E_clISt17integral_constantIbLb1EES19_IbLb0EEEEDaS15_S16_EUlS15_E_NS1_11comp_targetILNS1_3genE2ELNS1_11target_archE906ELNS1_3gpuE6ELNS1_3repE0EEENS1_30default_config_static_selectorELNS0_4arch9wavefront6targetE1EEEvT1_ ; -- Begin function _ZN7rocprim17ROCPRIM_400000_NS6detail17trampoline_kernelINS0_14default_configENS1_25partition_config_selectorILNS1_17partition_subalgoE3EjNS0_10empty_typeEbEEZZNS1_14partition_implILS5_3ELb0ES3_jN6thrust23THRUST_200600_302600_NS6detail15normal_iteratorINSA_7pointerIjNSA_11hip_rocprim3tagENSA_11use_defaultESG_EEEEPS6_SJ_NS0_5tupleIJPjSJ_EEENSK_IJSJ_SJ_EEES6_PlJ7is_evenIjEEEE10hipError_tPvRmT3_T4_T5_T6_T7_T9_mT8_P12ihipStream_tbDpT10_ENKUlT_T0_E_clISt17integral_constantIbLb1EES19_IbLb0EEEEDaS15_S16_EUlS15_E_NS1_11comp_targetILNS1_3genE2ELNS1_11target_archE906ELNS1_3gpuE6ELNS1_3repE0EEENS1_30default_config_static_selectorELNS0_4arch9wavefront6targetE1EEEvT1_
	.globl	_ZN7rocprim17ROCPRIM_400000_NS6detail17trampoline_kernelINS0_14default_configENS1_25partition_config_selectorILNS1_17partition_subalgoE3EjNS0_10empty_typeEbEEZZNS1_14partition_implILS5_3ELb0ES3_jN6thrust23THRUST_200600_302600_NS6detail15normal_iteratorINSA_7pointerIjNSA_11hip_rocprim3tagENSA_11use_defaultESG_EEEEPS6_SJ_NS0_5tupleIJPjSJ_EEENSK_IJSJ_SJ_EEES6_PlJ7is_evenIjEEEE10hipError_tPvRmT3_T4_T5_T6_T7_T9_mT8_P12ihipStream_tbDpT10_ENKUlT_T0_E_clISt17integral_constantIbLb1EES19_IbLb0EEEEDaS15_S16_EUlS15_E_NS1_11comp_targetILNS1_3genE2ELNS1_11target_archE906ELNS1_3gpuE6ELNS1_3repE0EEENS1_30default_config_static_selectorELNS0_4arch9wavefront6targetE1EEEvT1_
	.p2align	8
	.type	_ZN7rocprim17ROCPRIM_400000_NS6detail17trampoline_kernelINS0_14default_configENS1_25partition_config_selectorILNS1_17partition_subalgoE3EjNS0_10empty_typeEbEEZZNS1_14partition_implILS5_3ELb0ES3_jN6thrust23THRUST_200600_302600_NS6detail15normal_iteratorINSA_7pointerIjNSA_11hip_rocprim3tagENSA_11use_defaultESG_EEEEPS6_SJ_NS0_5tupleIJPjSJ_EEENSK_IJSJ_SJ_EEES6_PlJ7is_evenIjEEEE10hipError_tPvRmT3_T4_T5_T6_T7_T9_mT8_P12ihipStream_tbDpT10_ENKUlT_T0_E_clISt17integral_constantIbLb1EES19_IbLb0EEEEDaS15_S16_EUlS15_E_NS1_11comp_targetILNS1_3genE2ELNS1_11target_archE906ELNS1_3gpuE6ELNS1_3repE0EEENS1_30default_config_static_selectorELNS0_4arch9wavefront6targetE1EEEvT1_,@function
_ZN7rocprim17ROCPRIM_400000_NS6detail17trampoline_kernelINS0_14default_configENS1_25partition_config_selectorILNS1_17partition_subalgoE3EjNS0_10empty_typeEbEEZZNS1_14partition_implILS5_3ELb0ES3_jN6thrust23THRUST_200600_302600_NS6detail15normal_iteratorINSA_7pointerIjNSA_11hip_rocprim3tagENSA_11use_defaultESG_EEEEPS6_SJ_NS0_5tupleIJPjSJ_EEENSK_IJSJ_SJ_EEES6_PlJ7is_evenIjEEEE10hipError_tPvRmT3_T4_T5_T6_T7_T9_mT8_P12ihipStream_tbDpT10_ENKUlT_T0_E_clISt17integral_constantIbLb1EES19_IbLb0EEEEDaS15_S16_EUlS15_E_NS1_11comp_targetILNS1_3genE2ELNS1_11target_archE906ELNS1_3gpuE6ELNS1_3repE0EEENS1_30default_config_static_selectorELNS0_4arch9wavefront6targetE1EEEvT1_: ; @_ZN7rocprim17ROCPRIM_400000_NS6detail17trampoline_kernelINS0_14default_configENS1_25partition_config_selectorILNS1_17partition_subalgoE3EjNS0_10empty_typeEbEEZZNS1_14partition_implILS5_3ELb0ES3_jN6thrust23THRUST_200600_302600_NS6detail15normal_iteratorINSA_7pointerIjNSA_11hip_rocprim3tagENSA_11use_defaultESG_EEEEPS6_SJ_NS0_5tupleIJPjSJ_EEENSK_IJSJ_SJ_EEES6_PlJ7is_evenIjEEEE10hipError_tPvRmT3_T4_T5_T6_T7_T9_mT8_P12ihipStream_tbDpT10_ENKUlT_T0_E_clISt17integral_constantIbLb1EES19_IbLb0EEEEDaS15_S16_EUlS15_E_NS1_11comp_targetILNS1_3genE2ELNS1_11target_archE906ELNS1_3gpuE6ELNS1_3repE0EEENS1_30default_config_static_selectorELNS0_4arch9wavefront6targetE1EEEvT1_
; %bb.0:
	.section	.rodata,"a",@progbits
	.p2align	6, 0x0
	.amdhsa_kernel _ZN7rocprim17ROCPRIM_400000_NS6detail17trampoline_kernelINS0_14default_configENS1_25partition_config_selectorILNS1_17partition_subalgoE3EjNS0_10empty_typeEbEEZZNS1_14partition_implILS5_3ELb0ES3_jN6thrust23THRUST_200600_302600_NS6detail15normal_iteratorINSA_7pointerIjNSA_11hip_rocprim3tagENSA_11use_defaultESG_EEEEPS6_SJ_NS0_5tupleIJPjSJ_EEENSK_IJSJ_SJ_EEES6_PlJ7is_evenIjEEEE10hipError_tPvRmT3_T4_T5_T6_T7_T9_mT8_P12ihipStream_tbDpT10_ENKUlT_T0_E_clISt17integral_constantIbLb1EES19_IbLb0EEEEDaS15_S16_EUlS15_E_NS1_11comp_targetILNS1_3genE2ELNS1_11target_archE906ELNS1_3gpuE6ELNS1_3repE0EEENS1_30default_config_static_selectorELNS0_4arch9wavefront6targetE1EEEvT1_
		.amdhsa_group_segment_fixed_size 0
		.amdhsa_private_segment_fixed_size 0
		.amdhsa_kernarg_size 120
		.amdhsa_user_sgpr_count 2
		.amdhsa_user_sgpr_dispatch_ptr 0
		.amdhsa_user_sgpr_queue_ptr 0
		.amdhsa_user_sgpr_kernarg_segment_ptr 1
		.amdhsa_user_sgpr_dispatch_id 0
		.amdhsa_user_sgpr_kernarg_preload_length 0
		.amdhsa_user_sgpr_kernarg_preload_offset 0
		.amdhsa_user_sgpr_private_segment_size 0
		.amdhsa_uses_dynamic_stack 0
		.amdhsa_enable_private_segment 0
		.amdhsa_system_sgpr_workgroup_id_x 1
		.amdhsa_system_sgpr_workgroup_id_y 0
		.amdhsa_system_sgpr_workgroup_id_z 0
		.amdhsa_system_sgpr_workgroup_info 0
		.amdhsa_system_vgpr_workitem_id 0
		.amdhsa_next_free_vgpr 1
		.amdhsa_next_free_sgpr 0
		.amdhsa_accum_offset 4
		.amdhsa_reserve_vcc 0
		.amdhsa_float_round_mode_32 0
		.amdhsa_float_round_mode_16_64 0
		.amdhsa_float_denorm_mode_32 3
		.amdhsa_float_denorm_mode_16_64 3
		.amdhsa_dx10_clamp 1
		.amdhsa_ieee_mode 1
		.amdhsa_fp16_overflow 0
		.amdhsa_tg_split 0
		.amdhsa_exception_fp_ieee_invalid_op 0
		.amdhsa_exception_fp_denorm_src 0
		.amdhsa_exception_fp_ieee_div_zero 0
		.amdhsa_exception_fp_ieee_overflow 0
		.amdhsa_exception_fp_ieee_underflow 0
		.amdhsa_exception_fp_ieee_inexact 0
		.amdhsa_exception_int_div_zero 0
	.end_amdhsa_kernel
	.section	.text._ZN7rocprim17ROCPRIM_400000_NS6detail17trampoline_kernelINS0_14default_configENS1_25partition_config_selectorILNS1_17partition_subalgoE3EjNS0_10empty_typeEbEEZZNS1_14partition_implILS5_3ELb0ES3_jN6thrust23THRUST_200600_302600_NS6detail15normal_iteratorINSA_7pointerIjNSA_11hip_rocprim3tagENSA_11use_defaultESG_EEEEPS6_SJ_NS0_5tupleIJPjSJ_EEENSK_IJSJ_SJ_EEES6_PlJ7is_evenIjEEEE10hipError_tPvRmT3_T4_T5_T6_T7_T9_mT8_P12ihipStream_tbDpT10_ENKUlT_T0_E_clISt17integral_constantIbLb1EES19_IbLb0EEEEDaS15_S16_EUlS15_E_NS1_11comp_targetILNS1_3genE2ELNS1_11target_archE906ELNS1_3gpuE6ELNS1_3repE0EEENS1_30default_config_static_selectorELNS0_4arch9wavefront6targetE1EEEvT1_,"axG",@progbits,_ZN7rocprim17ROCPRIM_400000_NS6detail17trampoline_kernelINS0_14default_configENS1_25partition_config_selectorILNS1_17partition_subalgoE3EjNS0_10empty_typeEbEEZZNS1_14partition_implILS5_3ELb0ES3_jN6thrust23THRUST_200600_302600_NS6detail15normal_iteratorINSA_7pointerIjNSA_11hip_rocprim3tagENSA_11use_defaultESG_EEEEPS6_SJ_NS0_5tupleIJPjSJ_EEENSK_IJSJ_SJ_EEES6_PlJ7is_evenIjEEEE10hipError_tPvRmT3_T4_T5_T6_T7_T9_mT8_P12ihipStream_tbDpT10_ENKUlT_T0_E_clISt17integral_constantIbLb1EES19_IbLb0EEEEDaS15_S16_EUlS15_E_NS1_11comp_targetILNS1_3genE2ELNS1_11target_archE906ELNS1_3gpuE6ELNS1_3repE0EEENS1_30default_config_static_selectorELNS0_4arch9wavefront6targetE1EEEvT1_,comdat
.Lfunc_end939:
	.size	_ZN7rocprim17ROCPRIM_400000_NS6detail17trampoline_kernelINS0_14default_configENS1_25partition_config_selectorILNS1_17partition_subalgoE3EjNS0_10empty_typeEbEEZZNS1_14partition_implILS5_3ELb0ES3_jN6thrust23THRUST_200600_302600_NS6detail15normal_iteratorINSA_7pointerIjNSA_11hip_rocprim3tagENSA_11use_defaultESG_EEEEPS6_SJ_NS0_5tupleIJPjSJ_EEENSK_IJSJ_SJ_EEES6_PlJ7is_evenIjEEEE10hipError_tPvRmT3_T4_T5_T6_T7_T9_mT8_P12ihipStream_tbDpT10_ENKUlT_T0_E_clISt17integral_constantIbLb1EES19_IbLb0EEEEDaS15_S16_EUlS15_E_NS1_11comp_targetILNS1_3genE2ELNS1_11target_archE906ELNS1_3gpuE6ELNS1_3repE0EEENS1_30default_config_static_selectorELNS0_4arch9wavefront6targetE1EEEvT1_, .Lfunc_end939-_ZN7rocprim17ROCPRIM_400000_NS6detail17trampoline_kernelINS0_14default_configENS1_25partition_config_selectorILNS1_17partition_subalgoE3EjNS0_10empty_typeEbEEZZNS1_14partition_implILS5_3ELb0ES3_jN6thrust23THRUST_200600_302600_NS6detail15normal_iteratorINSA_7pointerIjNSA_11hip_rocprim3tagENSA_11use_defaultESG_EEEEPS6_SJ_NS0_5tupleIJPjSJ_EEENSK_IJSJ_SJ_EEES6_PlJ7is_evenIjEEEE10hipError_tPvRmT3_T4_T5_T6_T7_T9_mT8_P12ihipStream_tbDpT10_ENKUlT_T0_E_clISt17integral_constantIbLb1EES19_IbLb0EEEEDaS15_S16_EUlS15_E_NS1_11comp_targetILNS1_3genE2ELNS1_11target_archE906ELNS1_3gpuE6ELNS1_3repE0EEENS1_30default_config_static_selectorELNS0_4arch9wavefront6targetE1EEEvT1_
                                        ; -- End function
	.section	.AMDGPU.csdata,"",@progbits
; Kernel info:
; codeLenInByte = 0
; NumSgprs: 6
; NumVgprs: 0
; NumAgprs: 0
; TotalNumVgprs: 0
; ScratchSize: 0
; MemoryBound: 0
; FloatMode: 240
; IeeeMode: 1
; LDSByteSize: 0 bytes/workgroup (compile time only)
; SGPRBlocks: 0
; VGPRBlocks: 0
; NumSGPRsForWavesPerEU: 6
; NumVGPRsForWavesPerEU: 1
; AccumOffset: 4
; Occupancy: 8
; WaveLimiterHint : 0
; COMPUTE_PGM_RSRC2:SCRATCH_EN: 0
; COMPUTE_PGM_RSRC2:USER_SGPR: 2
; COMPUTE_PGM_RSRC2:TRAP_HANDLER: 0
; COMPUTE_PGM_RSRC2:TGID_X_EN: 1
; COMPUTE_PGM_RSRC2:TGID_Y_EN: 0
; COMPUTE_PGM_RSRC2:TGID_Z_EN: 0
; COMPUTE_PGM_RSRC2:TIDIG_COMP_CNT: 0
; COMPUTE_PGM_RSRC3_GFX90A:ACCUM_OFFSET: 0
; COMPUTE_PGM_RSRC3_GFX90A:TG_SPLIT: 0
	.section	.text._ZN7rocprim17ROCPRIM_400000_NS6detail17trampoline_kernelINS0_14default_configENS1_25partition_config_selectorILNS1_17partition_subalgoE3EjNS0_10empty_typeEbEEZZNS1_14partition_implILS5_3ELb0ES3_jN6thrust23THRUST_200600_302600_NS6detail15normal_iteratorINSA_7pointerIjNSA_11hip_rocprim3tagENSA_11use_defaultESG_EEEEPS6_SJ_NS0_5tupleIJPjSJ_EEENSK_IJSJ_SJ_EEES6_PlJ7is_evenIjEEEE10hipError_tPvRmT3_T4_T5_T6_T7_T9_mT8_P12ihipStream_tbDpT10_ENKUlT_T0_E_clISt17integral_constantIbLb1EES19_IbLb0EEEEDaS15_S16_EUlS15_E_NS1_11comp_targetILNS1_3genE10ELNS1_11target_archE1200ELNS1_3gpuE4ELNS1_3repE0EEENS1_30default_config_static_selectorELNS0_4arch9wavefront6targetE1EEEvT1_,"axG",@progbits,_ZN7rocprim17ROCPRIM_400000_NS6detail17trampoline_kernelINS0_14default_configENS1_25partition_config_selectorILNS1_17partition_subalgoE3EjNS0_10empty_typeEbEEZZNS1_14partition_implILS5_3ELb0ES3_jN6thrust23THRUST_200600_302600_NS6detail15normal_iteratorINSA_7pointerIjNSA_11hip_rocprim3tagENSA_11use_defaultESG_EEEEPS6_SJ_NS0_5tupleIJPjSJ_EEENSK_IJSJ_SJ_EEES6_PlJ7is_evenIjEEEE10hipError_tPvRmT3_T4_T5_T6_T7_T9_mT8_P12ihipStream_tbDpT10_ENKUlT_T0_E_clISt17integral_constantIbLb1EES19_IbLb0EEEEDaS15_S16_EUlS15_E_NS1_11comp_targetILNS1_3genE10ELNS1_11target_archE1200ELNS1_3gpuE4ELNS1_3repE0EEENS1_30default_config_static_selectorELNS0_4arch9wavefront6targetE1EEEvT1_,comdat
	.protected	_ZN7rocprim17ROCPRIM_400000_NS6detail17trampoline_kernelINS0_14default_configENS1_25partition_config_selectorILNS1_17partition_subalgoE3EjNS0_10empty_typeEbEEZZNS1_14partition_implILS5_3ELb0ES3_jN6thrust23THRUST_200600_302600_NS6detail15normal_iteratorINSA_7pointerIjNSA_11hip_rocprim3tagENSA_11use_defaultESG_EEEEPS6_SJ_NS0_5tupleIJPjSJ_EEENSK_IJSJ_SJ_EEES6_PlJ7is_evenIjEEEE10hipError_tPvRmT3_T4_T5_T6_T7_T9_mT8_P12ihipStream_tbDpT10_ENKUlT_T0_E_clISt17integral_constantIbLb1EES19_IbLb0EEEEDaS15_S16_EUlS15_E_NS1_11comp_targetILNS1_3genE10ELNS1_11target_archE1200ELNS1_3gpuE4ELNS1_3repE0EEENS1_30default_config_static_selectorELNS0_4arch9wavefront6targetE1EEEvT1_ ; -- Begin function _ZN7rocprim17ROCPRIM_400000_NS6detail17trampoline_kernelINS0_14default_configENS1_25partition_config_selectorILNS1_17partition_subalgoE3EjNS0_10empty_typeEbEEZZNS1_14partition_implILS5_3ELb0ES3_jN6thrust23THRUST_200600_302600_NS6detail15normal_iteratorINSA_7pointerIjNSA_11hip_rocprim3tagENSA_11use_defaultESG_EEEEPS6_SJ_NS0_5tupleIJPjSJ_EEENSK_IJSJ_SJ_EEES6_PlJ7is_evenIjEEEE10hipError_tPvRmT3_T4_T5_T6_T7_T9_mT8_P12ihipStream_tbDpT10_ENKUlT_T0_E_clISt17integral_constantIbLb1EES19_IbLb0EEEEDaS15_S16_EUlS15_E_NS1_11comp_targetILNS1_3genE10ELNS1_11target_archE1200ELNS1_3gpuE4ELNS1_3repE0EEENS1_30default_config_static_selectorELNS0_4arch9wavefront6targetE1EEEvT1_
	.globl	_ZN7rocprim17ROCPRIM_400000_NS6detail17trampoline_kernelINS0_14default_configENS1_25partition_config_selectorILNS1_17partition_subalgoE3EjNS0_10empty_typeEbEEZZNS1_14partition_implILS5_3ELb0ES3_jN6thrust23THRUST_200600_302600_NS6detail15normal_iteratorINSA_7pointerIjNSA_11hip_rocprim3tagENSA_11use_defaultESG_EEEEPS6_SJ_NS0_5tupleIJPjSJ_EEENSK_IJSJ_SJ_EEES6_PlJ7is_evenIjEEEE10hipError_tPvRmT3_T4_T5_T6_T7_T9_mT8_P12ihipStream_tbDpT10_ENKUlT_T0_E_clISt17integral_constantIbLb1EES19_IbLb0EEEEDaS15_S16_EUlS15_E_NS1_11comp_targetILNS1_3genE10ELNS1_11target_archE1200ELNS1_3gpuE4ELNS1_3repE0EEENS1_30default_config_static_selectorELNS0_4arch9wavefront6targetE1EEEvT1_
	.p2align	8
	.type	_ZN7rocprim17ROCPRIM_400000_NS6detail17trampoline_kernelINS0_14default_configENS1_25partition_config_selectorILNS1_17partition_subalgoE3EjNS0_10empty_typeEbEEZZNS1_14partition_implILS5_3ELb0ES3_jN6thrust23THRUST_200600_302600_NS6detail15normal_iteratorINSA_7pointerIjNSA_11hip_rocprim3tagENSA_11use_defaultESG_EEEEPS6_SJ_NS0_5tupleIJPjSJ_EEENSK_IJSJ_SJ_EEES6_PlJ7is_evenIjEEEE10hipError_tPvRmT3_T4_T5_T6_T7_T9_mT8_P12ihipStream_tbDpT10_ENKUlT_T0_E_clISt17integral_constantIbLb1EES19_IbLb0EEEEDaS15_S16_EUlS15_E_NS1_11comp_targetILNS1_3genE10ELNS1_11target_archE1200ELNS1_3gpuE4ELNS1_3repE0EEENS1_30default_config_static_selectorELNS0_4arch9wavefront6targetE1EEEvT1_,@function
_ZN7rocprim17ROCPRIM_400000_NS6detail17trampoline_kernelINS0_14default_configENS1_25partition_config_selectorILNS1_17partition_subalgoE3EjNS0_10empty_typeEbEEZZNS1_14partition_implILS5_3ELb0ES3_jN6thrust23THRUST_200600_302600_NS6detail15normal_iteratorINSA_7pointerIjNSA_11hip_rocprim3tagENSA_11use_defaultESG_EEEEPS6_SJ_NS0_5tupleIJPjSJ_EEENSK_IJSJ_SJ_EEES6_PlJ7is_evenIjEEEE10hipError_tPvRmT3_T4_T5_T6_T7_T9_mT8_P12ihipStream_tbDpT10_ENKUlT_T0_E_clISt17integral_constantIbLb1EES19_IbLb0EEEEDaS15_S16_EUlS15_E_NS1_11comp_targetILNS1_3genE10ELNS1_11target_archE1200ELNS1_3gpuE4ELNS1_3repE0EEENS1_30default_config_static_selectorELNS0_4arch9wavefront6targetE1EEEvT1_: ; @_ZN7rocprim17ROCPRIM_400000_NS6detail17trampoline_kernelINS0_14default_configENS1_25partition_config_selectorILNS1_17partition_subalgoE3EjNS0_10empty_typeEbEEZZNS1_14partition_implILS5_3ELb0ES3_jN6thrust23THRUST_200600_302600_NS6detail15normal_iteratorINSA_7pointerIjNSA_11hip_rocprim3tagENSA_11use_defaultESG_EEEEPS6_SJ_NS0_5tupleIJPjSJ_EEENSK_IJSJ_SJ_EEES6_PlJ7is_evenIjEEEE10hipError_tPvRmT3_T4_T5_T6_T7_T9_mT8_P12ihipStream_tbDpT10_ENKUlT_T0_E_clISt17integral_constantIbLb1EES19_IbLb0EEEEDaS15_S16_EUlS15_E_NS1_11comp_targetILNS1_3genE10ELNS1_11target_archE1200ELNS1_3gpuE4ELNS1_3repE0EEENS1_30default_config_static_selectorELNS0_4arch9wavefront6targetE1EEEvT1_
; %bb.0:
	.section	.rodata,"a",@progbits
	.p2align	6, 0x0
	.amdhsa_kernel _ZN7rocprim17ROCPRIM_400000_NS6detail17trampoline_kernelINS0_14default_configENS1_25partition_config_selectorILNS1_17partition_subalgoE3EjNS0_10empty_typeEbEEZZNS1_14partition_implILS5_3ELb0ES3_jN6thrust23THRUST_200600_302600_NS6detail15normal_iteratorINSA_7pointerIjNSA_11hip_rocprim3tagENSA_11use_defaultESG_EEEEPS6_SJ_NS0_5tupleIJPjSJ_EEENSK_IJSJ_SJ_EEES6_PlJ7is_evenIjEEEE10hipError_tPvRmT3_T4_T5_T6_T7_T9_mT8_P12ihipStream_tbDpT10_ENKUlT_T0_E_clISt17integral_constantIbLb1EES19_IbLb0EEEEDaS15_S16_EUlS15_E_NS1_11comp_targetILNS1_3genE10ELNS1_11target_archE1200ELNS1_3gpuE4ELNS1_3repE0EEENS1_30default_config_static_selectorELNS0_4arch9wavefront6targetE1EEEvT1_
		.amdhsa_group_segment_fixed_size 0
		.amdhsa_private_segment_fixed_size 0
		.amdhsa_kernarg_size 120
		.amdhsa_user_sgpr_count 2
		.amdhsa_user_sgpr_dispatch_ptr 0
		.amdhsa_user_sgpr_queue_ptr 0
		.amdhsa_user_sgpr_kernarg_segment_ptr 1
		.amdhsa_user_sgpr_dispatch_id 0
		.amdhsa_user_sgpr_kernarg_preload_length 0
		.amdhsa_user_sgpr_kernarg_preload_offset 0
		.amdhsa_user_sgpr_private_segment_size 0
		.amdhsa_uses_dynamic_stack 0
		.amdhsa_enable_private_segment 0
		.amdhsa_system_sgpr_workgroup_id_x 1
		.amdhsa_system_sgpr_workgroup_id_y 0
		.amdhsa_system_sgpr_workgroup_id_z 0
		.amdhsa_system_sgpr_workgroup_info 0
		.amdhsa_system_vgpr_workitem_id 0
		.amdhsa_next_free_vgpr 1
		.amdhsa_next_free_sgpr 0
		.amdhsa_accum_offset 4
		.amdhsa_reserve_vcc 0
		.amdhsa_float_round_mode_32 0
		.amdhsa_float_round_mode_16_64 0
		.amdhsa_float_denorm_mode_32 3
		.amdhsa_float_denorm_mode_16_64 3
		.amdhsa_dx10_clamp 1
		.amdhsa_ieee_mode 1
		.amdhsa_fp16_overflow 0
		.amdhsa_tg_split 0
		.amdhsa_exception_fp_ieee_invalid_op 0
		.amdhsa_exception_fp_denorm_src 0
		.amdhsa_exception_fp_ieee_div_zero 0
		.amdhsa_exception_fp_ieee_overflow 0
		.amdhsa_exception_fp_ieee_underflow 0
		.amdhsa_exception_fp_ieee_inexact 0
		.amdhsa_exception_int_div_zero 0
	.end_amdhsa_kernel
	.section	.text._ZN7rocprim17ROCPRIM_400000_NS6detail17trampoline_kernelINS0_14default_configENS1_25partition_config_selectorILNS1_17partition_subalgoE3EjNS0_10empty_typeEbEEZZNS1_14partition_implILS5_3ELb0ES3_jN6thrust23THRUST_200600_302600_NS6detail15normal_iteratorINSA_7pointerIjNSA_11hip_rocprim3tagENSA_11use_defaultESG_EEEEPS6_SJ_NS0_5tupleIJPjSJ_EEENSK_IJSJ_SJ_EEES6_PlJ7is_evenIjEEEE10hipError_tPvRmT3_T4_T5_T6_T7_T9_mT8_P12ihipStream_tbDpT10_ENKUlT_T0_E_clISt17integral_constantIbLb1EES19_IbLb0EEEEDaS15_S16_EUlS15_E_NS1_11comp_targetILNS1_3genE10ELNS1_11target_archE1200ELNS1_3gpuE4ELNS1_3repE0EEENS1_30default_config_static_selectorELNS0_4arch9wavefront6targetE1EEEvT1_,"axG",@progbits,_ZN7rocprim17ROCPRIM_400000_NS6detail17trampoline_kernelINS0_14default_configENS1_25partition_config_selectorILNS1_17partition_subalgoE3EjNS0_10empty_typeEbEEZZNS1_14partition_implILS5_3ELb0ES3_jN6thrust23THRUST_200600_302600_NS6detail15normal_iteratorINSA_7pointerIjNSA_11hip_rocprim3tagENSA_11use_defaultESG_EEEEPS6_SJ_NS0_5tupleIJPjSJ_EEENSK_IJSJ_SJ_EEES6_PlJ7is_evenIjEEEE10hipError_tPvRmT3_T4_T5_T6_T7_T9_mT8_P12ihipStream_tbDpT10_ENKUlT_T0_E_clISt17integral_constantIbLb1EES19_IbLb0EEEEDaS15_S16_EUlS15_E_NS1_11comp_targetILNS1_3genE10ELNS1_11target_archE1200ELNS1_3gpuE4ELNS1_3repE0EEENS1_30default_config_static_selectorELNS0_4arch9wavefront6targetE1EEEvT1_,comdat
.Lfunc_end940:
	.size	_ZN7rocprim17ROCPRIM_400000_NS6detail17trampoline_kernelINS0_14default_configENS1_25partition_config_selectorILNS1_17partition_subalgoE3EjNS0_10empty_typeEbEEZZNS1_14partition_implILS5_3ELb0ES3_jN6thrust23THRUST_200600_302600_NS6detail15normal_iteratorINSA_7pointerIjNSA_11hip_rocprim3tagENSA_11use_defaultESG_EEEEPS6_SJ_NS0_5tupleIJPjSJ_EEENSK_IJSJ_SJ_EEES6_PlJ7is_evenIjEEEE10hipError_tPvRmT3_T4_T5_T6_T7_T9_mT8_P12ihipStream_tbDpT10_ENKUlT_T0_E_clISt17integral_constantIbLb1EES19_IbLb0EEEEDaS15_S16_EUlS15_E_NS1_11comp_targetILNS1_3genE10ELNS1_11target_archE1200ELNS1_3gpuE4ELNS1_3repE0EEENS1_30default_config_static_selectorELNS0_4arch9wavefront6targetE1EEEvT1_, .Lfunc_end940-_ZN7rocprim17ROCPRIM_400000_NS6detail17trampoline_kernelINS0_14default_configENS1_25partition_config_selectorILNS1_17partition_subalgoE3EjNS0_10empty_typeEbEEZZNS1_14partition_implILS5_3ELb0ES3_jN6thrust23THRUST_200600_302600_NS6detail15normal_iteratorINSA_7pointerIjNSA_11hip_rocprim3tagENSA_11use_defaultESG_EEEEPS6_SJ_NS0_5tupleIJPjSJ_EEENSK_IJSJ_SJ_EEES6_PlJ7is_evenIjEEEE10hipError_tPvRmT3_T4_T5_T6_T7_T9_mT8_P12ihipStream_tbDpT10_ENKUlT_T0_E_clISt17integral_constantIbLb1EES19_IbLb0EEEEDaS15_S16_EUlS15_E_NS1_11comp_targetILNS1_3genE10ELNS1_11target_archE1200ELNS1_3gpuE4ELNS1_3repE0EEENS1_30default_config_static_selectorELNS0_4arch9wavefront6targetE1EEEvT1_
                                        ; -- End function
	.section	.AMDGPU.csdata,"",@progbits
; Kernel info:
; codeLenInByte = 0
; NumSgprs: 6
; NumVgprs: 0
; NumAgprs: 0
; TotalNumVgprs: 0
; ScratchSize: 0
; MemoryBound: 0
; FloatMode: 240
; IeeeMode: 1
; LDSByteSize: 0 bytes/workgroup (compile time only)
; SGPRBlocks: 0
; VGPRBlocks: 0
; NumSGPRsForWavesPerEU: 6
; NumVGPRsForWavesPerEU: 1
; AccumOffset: 4
; Occupancy: 8
; WaveLimiterHint : 0
; COMPUTE_PGM_RSRC2:SCRATCH_EN: 0
; COMPUTE_PGM_RSRC2:USER_SGPR: 2
; COMPUTE_PGM_RSRC2:TRAP_HANDLER: 0
; COMPUTE_PGM_RSRC2:TGID_X_EN: 1
; COMPUTE_PGM_RSRC2:TGID_Y_EN: 0
; COMPUTE_PGM_RSRC2:TGID_Z_EN: 0
; COMPUTE_PGM_RSRC2:TIDIG_COMP_CNT: 0
; COMPUTE_PGM_RSRC3_GFX90A:ACCUM_OFFSET: 0
; COMPUTE_PGM_RSRC3_GFX90A:TG_SPLIT: 0
	.section	.text._ZN7rocprim17ROCPRIM_400000_NS6detail17trampoline_kernelINS0_14default_configENS1_25partition_config_selectorILNS1_17partition_subalgoE3EjNS0_10empty_typeEbEEZZNS1_14partition_implILS5_3ELb0ES3_jN6thrust23THRUST_200600_302600_NS6detail15normal_iteratorINSA_7pointerIjNSA_11hip_rocprim3tagENSA_11use_defaultESG_EEEEPS6_SJ_NS0_5tupleIJPjSJ_EEENSK_IJSJ_SJ_EEES6_PlJ7is_evenIjEEEE10hipError_tPvRmT3_T4_T5_T6_T7_T9_mT8_P12ihipStream_tbDpT10_ENKUlT_T0_E_clISt17integral_constantIbLb1EES19_IbLb0EEEEDaS15_S16_EUlS15_E_NS1_11comp_targetILNS1_3genE9ELNS1_11target_archE1100ELNS1_3gpuE3ELNS1_3repE0EEENS1_30default_config_static_selectorELNS0_4arch9wavefront6targetE1EEEvT1_,"axG",@progbits,_ZN7rocprim17ROCPRIM_400000_NS6detail17trampoline_kernelINS0_14default_configENS1_25partition_config_selectorILNS1_17partition_subalgoE3EjNS0_10empty_typeEbEEZZNS1_14partition_implILS5_3ELb0ES3_jN6thrust23THRUST_200600_302600_NS6detail15normal_iteratorINSA_7pointerIjNSA_11hip_rocprim3tagENSA_11use_defaultESG_EEEEPS6_SJ_NS0_5tupleIJPjSJ_EEENSK_IJSJ_SJ_EEES6_PlJ7is_evenIjEEEE10hipError_tPvRmT3_T4_T5_T6_T7_T9_mT8_P12ihipStream_tbDpT10_ENKUlT_T0_E_clISt17integral_constantIbLb1EES19_IbLb0EEEEDaS15_S16_EUlS15_E_NS1_11comp_targetILNS1_3genE9ELNS1_11target_archE1100ELNS1_3gpuE3ELNS1_3repE0EEENS1_30default_config_static_selectorELNS0_4arch9wavefront6targetE1EEEvT1_,comdat
	.protected	_ZN7rocprim17ROCPRIM_400000_NS6detail17trampoline_kernelINS0_14default_configENS1_25partition_config_selectorILNS1_17partition_subalgoE3EjNS0_10empty_typeEbEEZZNS1_14partition_implILS5_3ELb0ES3_jN6thrust23THRUST_200600_302600_NS6detail15normal_iteratorINSA_7pointerIjNSA_11hip_rocprim3tagENSA_11use_defaultESG_EEEEPS6_SJ_NS0_5tupleIJPjSJ_EEENSK_IJSJ_SJ_EEES6_PlJ7is_evenIjEEEE10hipError_tPvRmT3_T4_T5_T6_T7_T9_mT8_P12ihipStream_tbDpT10_ENKUlT_T0_E_clISt17integral_constantIbLb1EES19_IbLb0EEEEDaS15_S16_EUlS15_E_NS1_11comp_targetILNS1_3genE9ELNS1_11target_archE1100ELNS1_3gpuE3ELNS1_3repE0EEENS1_30default_config_static_selectorELNS0_4arch9wavefront6targetE1EEEvT1_ ; -- Begin function _ZN7rocprim17ROCPRIM_400000_NS6detail17trampoline_kernelINS0_14default_configENS1_25partition_config_selectorILNS1_17partition_subalgoE3EjNS0_10empty_typeEbEEZZNS1_14partition_implILS5_3ELb0ES3_jN6thrust23THRUST_200600_302600_NS6detail15normal_iteratorINSA_7pointerIjNSA_11hip_rocprim3tagENSA_11use_defaultESG_EEEEPS6_SJ_NS0_5tupleIJPjSJ_EEENSK_IJSJ_SJ_EEES6_PlJ7is_evenIjEEEE10hipError_tPvRmT3_T4_T5_T6_T7_T9_mT8_P12ihipStream_tbDpT10_ENKUlT_T0_E_clISt17integral_constantIbLb1EES19_IbLb0EEEEDaS15_S16_EUlS15_E_NS1_11comp_targetILNS1_3genE9ELNS1_11target_archE1100ELNS1_3gpuE3ELNS1_3repE0EEENS1_30default_config_static_selectorELNS0_4arch9wavefront6targetE1EEEvT1_
	.globl	_ZN7rocprim17ROCPRIM_400000_NS6detail17trampoline_kernelINS0_14default_configENS1_25partition_config_selectorILNS1_17partition_subalgoE3EjNS0_10empty_typeEbEEZZNS1_14partition_implILS5_3ELb0ES3_jN6thrust23THRUST_200600_302600_NS6detail15normal_iteratorINSA_7pointerIjNSA_11hip_rocprim3tagENSA_11use_defaultESG_EEEEPS6_SJ_NS0_5tupleIJPjSJ_EEENSK_IJSJ_SJ_EEES6_PlJ7is_evenIjEEEE10hipError_tPvRmT3_T4_T5_T6_T7_T9_mT8_P12ihipStream_tbDpT10_ENKUlT_T0_E_clISt17integral_constantIbLb1EES19_IbLb0EEEEDaS15_S16_EUlS15_E_NS1_11comp_targetILNS1_3genE9ELNS1_11target_archE1100ELNS1_3gpuE3ELNS1_3repE0EEENS1_30default_config_static_selectorELNS0_4arch9wavefront6targetE1EEEvT1_
	.p2align	8
	.type	_ZN7rocprim17ROCPRIM_400000_NS6detail17trampoline_kernelINS0_14default_configENS1_25partition_config_selectorILNS1_17partition_subalgoE3EjNS0_10empty_typeEbEEZZNS1_14partition_implILS5_3ELb0ES3_jN6thrust23THRUST_200600_302600_NS6detail15normal_iteratorINSA_7pointerIjNSA_11hip_rocprim3tagENSA_11use_defaultESG_EEEEPS6_SJ_NS0_5tupleIJPjSJ_EEENSK_IJSJ_SJ_EEES6_PlJ7is_evenIjEEEE10hipError_tPvRmT3_T4_T5_T6_T7_T9_mT8_P12ihipStream_tbDpT10_ENKUlT_T0_E_clISt17integral_constantIbLb1EES19_IbLb0EEEEDaS15_S16_EUlS15_E_NS1_11comp_targetILNS1_3genE9ELNS1_11target_archE1100ELNS1_3gpuE3ELNS1_3repE0EEENS1_30default_config_static_selectorELNS0_4arch9wavefront6targetE1EEEvT1_,@function
_ZN7rocprim17ROCPRIM_400000_NS6detail17trampoline_kernelINS0_14default_configENS1_25partition_config_selectorILNS1_17partition_subalgoE3EjNS0_10empty_typeEbEEZZNS1_14partition_implILS5_3ELb0ES3_jN6thrust23THRUST_200600_302600_NS6detail15normal_iteratorINSA_7pointerIjNSA_11hip_rocprim3tagENSA_11use_defaultESG_EEEEPS6_SJ_NS0_5tupleIJPjSJ_EEENSK_IJSJ_SJ_EEES6_PlJ7is_evenIjEEEE10hipError_tPvRmT3_T4_T5_T6_T7_T9_mT8_P12ihipStream_tbDpT10_ENKUlT_T0_E_clISt17integral_constantIbLb1EES19_IbLb0EEEEDaS15_S16_EUlS15_E_NS1_11comp_targetILNS1_3genE9ELNS1_11target_archE1100ELNS1_3gpuE3ELNS1_3repE0EEENS1_30default_config_static_selectorELNS0_4arch9wavefront6targetE1EEEvT1_: ; @_ZN7rocprim17ROCPRIM_400000_NS6detail17trampoline_kernelINS0_14default_configENS1_25partition_config_selectorILNS1_17partition_subalgoE3EjNS0_10empty_typeEbEEZZNS1_14partition_implILS5_3ELb0ES3_jN6thrust23THRUST_200600_302600_NS6detail15normal_iteratorINSA_7pointerIjNSA_11hip_rocprim3tagENSA_11use_defaultESG_EEEEPS6_SJ_NS0_5tupleIJPjSJ_EEENSK_IJSJ_SJ_EEES6_PlJ7is_evenIjEEEE10hipError_tPvRmT3_T4_T5_T6_T7_T9_mT8_P12ihipStream_tbDpT10_ENKUlT_T0_E_clISt17integral_constantIbLb1EES19_IbLb0EEEEDaS15_S16_EUlS15_E_NS1_11comp_targetILNS1_3genE9ELNS1_11target_archE1100ELNS1_3gpuE3ELNS1_3repE0EEENS1_30default_config_static_selectorELNS0_4arch9wavefront6targetE1EEEvT1_
; %bb.0:
	.section	.rodata,"a",@progbits
	.p2align	6, 0x0
	.amdhsa_kernel _ZN7rocprim17ROCPRIM_400000_NS6detail17trampoline_kernelINS0_14default_configENS1_25partition_config_selectorILNS1_17partition_subalgoE3EjNS0_10empty_typeEbEEZZNS1_14partition_implILS5_3ELb0ES3_jN6thrust23THRUST_200600_302600_NS6detail15normal_iteratorINSA_7pointerIjNSA_11hip_rocprim3tagENSA_11use_defaultESG_EEEEPS6_SJ_NS0_5tupleIJPjSJ_EEENSK_IJSJ_SJ_EEES6_PlJ7is_evenIjEEEE10hipError_tPvRmT3_T4_T5_T6_T7_T9_mT8_P12ihipStream_tbDpT10_ENKUlT_T0_E_clISt17integral_constantIbLb1EES19_IbLb0EEEEDaS15_S16_EUlS15_E_NS1_11comp_targetILNS1_3genE9ELNS1_11target_archE1100ELNS1_3gpuE3ELNS1_3repE0EEENS1_30default_config_static_selectorELNS0_4arch9wavefront6targetE1EEEvT1_
		.amdhsa_group_segment_fixed_size 0
		.amdhsa_private_segment_fixed_size 0
		.amdhsa_kernarg_size 120
		.amdhsa_user_sgpr_count 2
		.amdhsa_user_sgpr_dispatch_ptr 0
		.amdhsa_user_sgpr_queue_ptr 0
		.amdhsa_user_sgpr_kernarg_segment_ptr 1
		.amdhsa_user_sgpr_dispatch_id 0
		.amdhsa_user_sgpr_kernarg_preload_length 0
		.amdhsa_user_sgpr_kernarg_preload_offset 0
		.amdhsa_user_sgpr_private_segment_size 0
		.amdhsa_uses_dynamic_stack 0
		.amdhsa_enable_private_segment 0
		.amdhsa_system_sgpr_workgroup_id_x 1
		.amdhsa_system_sgpr_workgroup_id_y 0
		.amdhsa_system_sgpr_workgroup_id_z 0
		.amdhsa_system_sgpr_workgroup_info 0
		.amdhsa_system_vgpr_workitem_id 0
		.amdhsa_next_free_vgpr 1
		.amdhsa_next_free_sgpr 0
		.amdhsa_accum_offset 4
		.amdhsa_reserve_vcc 0
		.amdhsa_float_round_mode_32 0
		.amdhsa_float_round_mode_16_64 0
		.amdhsa_float_denorm_mode_32 3
		.amdhsa_float_denorm_mode_16_64 3
		.amdhsa_dx10_clamp 1
		.amdhsa_ieee_mode 1
		.amdhsa_fp16_overflow 0
		.amdhsa_tg_split 0
		.amdhsa_exception_fp_ieee_invalid_op 0
		.amdhsa_exception_fp_denorm_src 0
		.amdhsa_exception_fp_ieee_div_zero 0
		.amdhsa_exception_fp_ieee_overflow 0
		.amdhsa_exception_fp_ieee_underflow 0
		.amdhsa_exception_fp_ieee_inexact 0
		.amdhsa_exception_int_div_zero 0
	.end_amdhsa_kernel
	.section	.text._ZN7rocprim17ROCPRIM_400000_NS6detail17trampoline_kernelINS0_14default_configENS1_25partition_config_selectorILNS1_17partition_subalgoE3EjNS0_10empty_typeEbEEZZNS1_14partition_implILS5_3ELb0ES3_jN6thrust23THRUST_200600_302600_NS6detail15normal_iteratorINSA_7pointerIjNSA_11hip_rocprim3tagENSA_11use_defaultESG_EEEEPS6_SJ_NS0_5tupleIJPjSJ_EEENSK_IJSJ_SJ_EEES6_PlJ7is_evenIjEEEE10hipError_tPvRmT3_T4_T5_T6_T7_T9_mT8_P12ihipStream_tbDpT10_ENKUlT_T0_E_clISt17integral_constantIbLb1EES19_IbLb0EEEEDaS15_S16_EUlS15_E_NS1_11comp_targetILNS1_3genE9ELNS1_11target_archE1100ELNS1_3gpuE3ELNS1_3repE0EEENS1_30default_config_static_selectorELNS0_4arch9wavefront6targetE1EEEvT1_,"axG",@progbits,_ZN7rocprim17ROCPRIM_400000_NS6detail17trampoline_kernelINS0_14default_configENS1_25partition_config_selectorILNS1_17partition_subalgoE3EjNS0_10empty_typeEbEEZZNS1_14partition_implILS5_3ELb0ES3_jN6thrust23THRUST_200600_302600_NS6detail15normal_iteratorINSA_7pointerIjNSA_11hip_rocprim3tagENSA_11use_defaultESG_EEEEPS6_SJ_NS0_5tupleIJPjSJ_EEENSK_IJSJ_SJ_EEES6_PlJ7is_evenIjEEEE10hipError_tPvRmT3_T4_T5_T6_T7_T9_mT8_P12ihipStream_tbDpT10_ENKUlT_T0_E_clISt17integral_constantIbLb1EES19_IbLb0EEEEDaS15_S16_EUlS15_E_NS1_11comp_targetILNS1_3genE9ELNS1_11target_archE1100ELNS1_3gpuE3ELNS1_3repE0EEENS1_30default_config_static_selectorELNS0_4arch9wavefront6targetE1EEEvT1_,comdat
.Lfunc_end941:
	.size	_ZN7rocprim17ROCPRIM_400000_NS6detail17trampoline_kernelINS0_14default_configENS1_25partition_config_selectorILNS1_17partition_subalgoE3EjNS0_10empty_typeEbEEZZNS1_14partition_implILS5_3ELb0ES3_jN6thrust23THRUST_200600_302600_NS6detail15normal_iteratorINSA_7pointerIjNSA_11hip_rocprim3tagENSA_11use_defaultESG_EEEEPS6_SJ_NS0_5tupleIJPjSJ_EEENSK_IJSJ_SJ_EEES6_PlJ7is_evenIjEEEE10hipError_tPvRmT3_T4_T5_T6_T7_T9_mT8_P12ihipStream_tbDpT10_ENKUlT_T0_E_clISt17integral_constantIbLb1EES19_IbLb0EEEEDaS15_S16_EUlS15_E_NS1_11comp_targetILNS1_3genE9ELNS1_11target_archE1100ELNS1_3gpuE3ELNS1_3repE0EEENS1_30default_config_static_selectorELNS0_4arch9wavefront6targetE1EEEvT1_, .Lfunc_end941-_ZN7rocprim17ROCPRIM_400000_NS6detail17trampoline_kernelINS0_14default_configENS1_25partition_config_selectorILNS1_17partition_subalgoE3EjNS0_10empty_typeEbEEZZNS1_14partition_implILS5_3ELb0ES3_jN6thrust23THRUST_200600_302600_NS6detail15normal_iteratorINSA_7pointerIjNSA_11hip_rocprim3tagENSA_11use_defaultESG_EEEEPS6_SJ_NS0_5tupleIJPjSJ_EEENSK_IJSJ_SJ_EEES6_PlJ7is_evenIjEEEE10hipError_tPvRmT3_T4_T5_T6_T7_T9_mT8_P12ihipStream_tbDpT10_ENKUlT_T0_E_clISt17integral_constantIbLb1EES19_IbLb0EEEEDaS15_S16_EUlS15_E_NS1_11comp_targetILNS1_3genE9ELNS1_11target_archE1100ELNS1_3gpuE3ELNS1_3repE0EEENS1_30default_config_static_selectorELNS0_4arch9wavefront6targetE1EEEvT1_
                                        ; -- End function
	.section	.AMDGPU.csdata,"",@progbits
; Kernel info:
; codeLenInByte = 0
; NumSgprs: 6
; NumVgprs: 0
; NumAgprs: 0
; TotalNumVgprs: 0
; ScratchSize: 0
; MemoryBound: 0
; FloatMode: 240
; IeeeMode: 1
; LDSByteSize: 0 bytes/workgroup (compile time only)
; SGPRBlocks: 0
; VGPRBlocks: 0
; NumSGPRsForWavesPerEU: 6
; NumVGPRsForWavesPerEU: 1
; AccumOffset: 4
; Occupancy: 8
; WaveLimiterHint : 0
; COMPUTE_PGM_RSRC2:SCRATCH_EN: 0
; COMPUTE_PGM_RSRC2:USER_SGPR: 2
; COMPUTE_PGM_RSRC2:TRAP_HANDLER: 0
; COMPUTE_PGM_RSRC2:TGID_X_EN: 1
; COMPUTE_PGM_RSRC2:TGID_Y_EN: 0
; COMPUTE_PGM_RSRC2:TGID_Z_EN: 0
; COMPUTE_PGM_RSRC2:TIDIG_COMP_CNT: 0
; COMPUTE_PGM_RSRC3_GFX90A:ACCUM_OFFSET: 0
; COMPUTE_PGM_RSRC3_GFX90A:TG_SPLIT: 0
	.section	.text._ZN7rocprim17ROCPRIM_400000_NS6detail17trampoline_kernelINS0_14default_configENS1_25partition_config_selectorILNS1_17partition_subalgoE3EjNS0_10empty_typeEbEEZZNS1_14partition_implILS5_3ELb0ES3_jN6thrust23THRUST_200600_302600_NS6detail15normal_iteratorINSA_7pointerIjNSA_11hip_rocprim3tagENSA_11use_defaultESG_EEEEPS6_SJ_NS0_5tupleIJPjSJ_EEENSK_IJSJ_SJ_EEES6_PlJ7is_evenIjEEEE10hipError_tPvRmT3_T4_T5_T6_T7_T9_mT8_P12ihipStream_tbDpT10_ENKUlT_T0_E_clISt17integral_constantIbLb1EES19_IbLb0EEEEDaS15_S16_EUlS15_E_NS1_11comp_targetILNS1_3genE8ELNS1_11target_archE1030ELNS1_3gpuE2ELNS1_3repE0EEENS1_30default_config_static_selectorELNS0_4arch9wavefront6targetE1EEEvT1_,"axG",@progbits,_ZN7rocprim17ROCPRIM_400000_NS6detail17trampoline_kernelINS0_14default_configENS1_25partition_config_selectorILNS1_17partition_subalgoE3EjNS0_10empty_typeEbEEZZNS1_14partition_implILS5_3ELb0ES3_jN6thrust23THRUST_200600_302600_NS6detail15normal_iteratorINSA_7pointerIjNSA_11hip_rocprim3tagENSA_11use_defaultESG_EEEEPS6_SJ_NS0_5tupleIJPjSJ_EEENSK_IJSJ_SJ_EEES6_PlJ7is_evenIjEEEE10hipError_tPvRmT3_T4_T5_T6_T7_T9_mT8_P12ihipStream_tbDpT10_ENKUlT_T0_E_clISt17integral_constantIbLb1EES19_IbLb0EEEEDaS15_S16_EUlS15_E_NS1_11comp_targetILNS1_3genE8ELNS1_11target_archE1030ELNS1_3gpuE2ELNS1_3repE0EEENS1_30default_config_static_selectorELNS0_4arch9wavefront6targetE1EEEvT1_,comdat
	.protected	_ZN7rocprim17ROCPRIM_400000_NS6detail17trampoline_kernelINS0_14default_configENS1_25partition_config_selectorILNS1_17partition_subalgoE3EjNS0_10empty_typeEbEEZZNS1_14partition_implILS5_3ELb0ES3_jN6thrust23THRUST_200600_302600_NS6detail15normal_iteratorINSA_7pointerIjNSA_11hip_rocprim3tagENSA_11use_defaultESG_EEEEPS6_SJ_NS0_5tupleIJPjSJ_EEENSK_IJSJ_SJ_EEES6_PlJ7is_evenIjEEEE10hipError_tPvRmT3_T4_T5_T6_T7_T9_mT8_P12ihipStream_tbDpT10_ENKUlT_T0_E_clISt17integral_constantIbLb1EES19_IbLb0EEEEDaS15_S16_EUlS15_E_NS1_11comp_targetILNS1_3genE8ELNS1_11target_archE1030ELNS1_3gpuE2ELNS1_3repE0EEENS1_30default_config_static_selectorELNS0_4arch9wavefront6targetE1EEEvT1_ ; -- Begin function _ZN7rocprim17ROCPRIM_400000_NS6detail17trampoline_kernelINS0_14default_configENS1_25partition_config_selectorILNS1_17partition_subalgoE3EjNS0_10empty_typeEbEEZZNS1_14partition_implILS5_3ELb0ES3_jN6thrust23THRUST_200600_302600_NS6detail15normal_iteratorINSA_7pointerIjNSA_11hip_rocprim3tagENSA_11use_defaultESG_EEEEPS6_SJ_NS0_5tupleIJPjSJ_EEENSK_IJSJ_SJ_EEES6_PlJ7is_evenIjEEEE10hipError_tPvRmT3_T4_T5_T6_T7_T9_mT8_P12ihipStream_tbDpT10_ENKUlT_T0_E_clISt17integral_constantIbLb1EES19_IbLb0EEEEDaS15_S16_EUlS15_E_NS1_11comp_targetILNS1_3genE8ELNS1_11target_archE1030ELNS1_3gpuE2ELNS1_3repE0EEENS1_30default_config_static_selectorELNS0_4arch9wavefront6targetE1EEEvT1_
	.globl	_ZN7rocprim17ROCPRIM_400000_NS6detail17trampoline_kernelINS0_14default_configENS1_25partition_config_selectorILNS1_17partition_subalgoE3EjNS0_10empty_typeEbEEZZNS1_14partition_implILS5_3ELb0ES3_jN6thrust23THRUST_200600_302600_NS6detail15normal_iteratorINSA_7pointerIjNSA_11hip_rocprim3tagENSA_11use_defaultESG_EEEEPS6_SJ_NS0_5tupleIJPjSJ_EEENSK_IJSJ_SJ_EEES6_PlJ7is_evenIjEEEE10hipError_tPvRmT3_T4_T5_T6_T7_T9_mT8_P12ihipStream_tbDpT10_ENKUlT_T0_E_clISt17integral_constantIbLb1EES19_IbLb0EEEEDaS15_S16_EUlS15_E_NS1_11comp_targetILNS1_3genE8ELNS1_11target_archE1030ELNS1_3gpuE2ELNS1_3repE0EEENS1_30default_config_static_selectorELNS0_4arch9wavefront6targetE1EEEvT1_
	.p2align	8
	.type	_ZN7rocprim17ROCPRIM_400000_NS6detail17trampoline_kernelINS0_14default_configENS1_25partition_config_selectorILNS1_17partition_subalgoE3EjNS0_10empty_typeEbEEZZNS1_14partition_implILS5_3ELb0ES3_jN6thrust23THRUST_200600_302600_NS6detail15normal_iteratorINSA_7pointerIjNSA_11hip_rocprim3tagENSA_11use_defaultESG_EEEEPS6_SJ_NS0_5tupleIJPjSJ_EEENSK_IJSJ_SJ_EEES6_PlJ7is_evenIjEEEE10hipError_tPvRmT3_T4_T5_T6_T7_T9_mT8_P12ihipStream_tbDpT10_ENKUlT_T0_E_clISt17integral_constantIbLb1EES19_IbLb0EEEEDaS15_S16_EUlS15_E_NS1_11comp_targetILNS1_3genE8ELNS1_11target_archE1030ELNS1_3gpuE2ELNS1_3repE0EEENS1_30default_config_static_selectorELNS0_4arch9wavefront6targetE1EEEvT1_,@function
_ZN7rocprim17ROCPRIM_400000_NS6detail17trampoline_kernelINS0_14default_configENS1_25partition_config_selectorILNS1_17partition_subalgoE3EjNS0_10empty_typeEbEEZZNS1_14partition_implILS5_3ELb0ES3_jN6thrust23THRUST_200600_302600_NS6detail15normal_iteratorINSA_7pointerIjNSA_11hip_rocprim3tagENSA_11use_defaultESG_EEEEPS6_SJ_NS0_5tupleIJPjSJ_EEENSK_IJSJ_SJ_EEES6_PlJ7is_evenIjEEEE10hipError_tPvRmT3_T4_T5_T6_T7_T9_mT8_P12ihipStream_tbDpT10_ENKUlT_T0_E_clISt17integral_constantIbLb1EES19_IbLb0EEEEDaS15_S16_EUlS15_E_NS1_11comp_targetILNS1_3genE8ELNS1_11target_archE1030ELNS1_3gpuE2ELNS1_3repE0EEENS1_30default_config_static_selectorELNS0_4arch9wavefront6targetE1EEEvT1_: ; @_ZN7rocprim17ROCPRIM_400000_NS6detail17trampoline_kernelINS0_14default_configENS1_25partition_config_selectorILNS1_17partition_subalgoE3EjNS0_10empty_typeEbEEZZNS1_14partition_implILS5_3ELb0ES3_jN6thrust23THRUST_200600_302600_NS6detail15normal_iteratorINSA_7pointerIjNSA_11hip_rocprim3tagENSA_11use_defaultESG_EEEEPS6_SJ_NS0_5tupleIJPjSJ_EEENSK_IJSJ_SJ_EEES6_PlJ7is_evenIjEEEE10hipError_tPvRmT3_T4_T5_T6_T7_T9_mT8_P12ihipStream_tbDpT10_ENKUlT_T0_E_clISt17integral_constantIbLb1EES19_IbLb0EEEEDaS15_S16_EUlS15_E_NS1_11comp_targetILNS1_3genE8ELNS1_11target_archE1030ELNS1_3gpuE2ELNS1_3repE0EEENS1_30default_config_static_selectorELNS0_4arch9wavefront6targetE1EEEvT1_
; %bb.0:
	.section	.rodata,"a",@progbits
	.p2align	6, 0x0
	.amdhsa_kernel _ZN7rocprim17ROCPRIM_400000_NS6detail17trampoline_kernelINS0_14default_configENS1_25partition_config_selectorILNS1_17partition_subalgoE3EjNS0_10empty_typeEbEEZZNS1_14partition_implILS5_3ELb0ES3_jN6thrust23THRUST_200600_302600_NS6detail15normal_iteratorINSA_7pointerIjNSA_11hip_rocprim3tagENSA_11use_defaultESG_EEEEPS6_SJ_NS0_5tupleIJPjSJ_EEENSK_IJSJ_SJ_EEES6_PlJ7is_evenIjEEEE10hipError_tPvRmT3_T4_T5_T6_T7_T9_mT8_P12ihipStream_tbDpT10_ENKUlT_T0_E_clISt17integral_constantIbLb1EES19_IbLb0EEEEDaS15_S16_EUlS15_E_NS1_11comp_targetILNS1_3genE8ELNS1_11target_archE1030ELNS1_3gpuE2ELNS1_3repE0EEENS1_30default_config_static_selectorELNS0_4arch9wavefront6targetE1EEEvT1_
		.amdhsa_group_segment_fixed_size 0
		.amdhsa_private_segment_fixed_size 0
		.amdhsa_kernarg_size 120
		.amdhsa_user_sgpr_count 2
		.amdhsa_user_sgpr_dispatch_ptr 0
		.amdhsa_user_sgpr_queue_ptr 0
		.amdhsa_user_sgpr_kernarg_segment_ptr 1
		.amdhsa_user_sgpr_dispatch_id 0
		.amdhsa_user_sgpr_kernarg_preload_length 0
		.amdhsa_user_sgpr_kernarg_preload_offset 0
		.amdhsa_user_sgpr_private_segment_size 0
		.amdhsa_uses_dynamic_stack 0
		.amdhsa_enable_private_segment 0
		.amdhsa_system_sgpr_workgroup_id_x 1
		.amdhsa_system_sgpr_workgroup_id_y 0
		.amdhsa_system_sgpr_workgroup_id_z 0
		.amdhsa_system_sgpr_workgroup_info 0
		.amdhsa_system_vgpr_workitem_id 0
		.amdhsa_next_free_vgpr 1
		.amdhsa_next_free_sgpr 0
		.amdhsa_accum_offset 4
		.amdhsa_reserve_vcc 0
		.amdhsa_float_round_mode_32 0
		.amdhsa_float_round_mode_16_64 0
		.amdhsa_float_denorm_mode_32 3
		.amdhsa_float_denorm_mode_16_64 3
		.amdhsa_dx10_clamp 1
		.amdhsa_ieee_mode 1
		.amdhsa_fp16_overflow 0
		.amdhsa_tg_split 0
		.amdhsa_exception_fp_ieee_invalid_op 0
		.amdhsa_exception_fp_denorm_src 0
		.amdhsa_exception_fp_ieee_div_zero 0
		.amdhsa_exception_fp_ieee_overflow 0
		.amdhsa_exception_fp_ieee_underflow 0
		.amdhsa_exception_fp_ieee_inexact 0
		.amdhsa_exception_int_div_zero 0
	.end_amdhsa_kernel
	.section	.text._ZN7rocprim17ROCPRIM_400000_NS6detail17trampoline_kernelINS0_14default_configENS1_25partition_config_selectorILNS1_17partition_subalgoE3EjNS0_10empty_typeEbEEZZNS1_14partition_implILS5_3ELb0ES3_jN6thrust23THRUST_200600_302600_NS6detail15normal_iteratorINSA_7pointerIjNSA_11hip_rocprim3tagENSA_11use_defaultESG_EEEEPS6_SJ_NS0_5tupleIJPjSJ_EEENSK_IJSJ_SJ_EEES6_PlJ7is_evenIjEEEE10hipError_tPvRmT3_T4_T5_T6_T7_T9_mT8_P12ihipStream_tbDpT10_ENKUlT_T0_E_clISt17integral_constantIbLb1EES19_IbLb0EEEEDaS15_S16_EUlS15_E_NS1_11comp_targetILNS1_3genE8ELNS1_11target_archE1030ELNS1_3gpuE2ELNS1_3repE0EEENS1_30default_config_static_selectorELNS0_4arch9wavefront6targetE1EEEvT1_,"axG",@progbits,_ZN7rocprim17ROCPRIM_400000_NS6detail17trampoline_kernelINS0_14default_configENS1_25partition_config_selectorILNS1_17partition_subalgoE3EjNS0_10empty_typeEbEEZZNS1_14partition_implILS5_3ELb0ES3_jN6thrust23THRUST_200600_302600_NS6detail15normal_iteratorINSA_7pointerIjNSA_11hip_rocprim3tagENSA_11use_defaultESG_EEEEPS6_SJ_NS0_5tupleIJPjSJ_EEENSK_IJSJ_SJ_EEES6_PlJ7is_evenIjEEEE10hipError_tPvRmT3_T4_T5_T6_T7_T9_mT8_P12ihipStream_tbDpT10_ENKUlT_T0_E_clISt17integral_constantIbLb1EES19_IbLb0EEEEDaS15_S16_EUlS15_E_NS1_11comp_targetILNS1_3genE8ELNS1_11target_archE1030ELNS1_3gpuE2ELNS1_3repE0EEENS1_30default_config_static_selectorELNS0_4arch9wavefront6targetE1EEEvT1_,comdat
.Lfunc_end942:
	.size	_ZN7rocprim17ROCPRIM_400000_NS6detail17trampoline_kernelINS0_14default_configENS1_25partition_config_selectorILNS1_17partition_subalgoE3EjNS0_10empty_typeEbEEZZNS1_14partition_implILS5_3ELb0ES3_jN6thrust23THRUST_200600_302600_NS6detail15normal_iteratorINSA_7pointerIjNSA_11hip_rocprim3tagENSA_11use_defaultESG_EEEEPS6_SJ_NS0_5tupleIJPjSJ_EEENSK_IJSJ_SJ_EEES6_PlJ7is_evenIjEEEE10hipError_tPvRmT3_T4_T5_T6_T7_T9_mT8_P12ihipStream_tbDpT10_ENKUlT_T0_E_clISt17integral_constantIbLb1EES19_IbLb0EEEEDaS15_S16_EUlS15_E_NS1_11comp_targetILNS1_3genE8ELNS1_11target_archE1030ELNS1_3gpuE2ELNS1_3repE0EEENS1_30default_config_static_selectorELNS0_4arch9wavefront6targetE1EEEvT1_, .Lfunc_end942-_ZN7rocprim17ROCPRIM_400000_NS6detail17trampoline_kernelINS0_14default_configENS1_25partition_config_selectorILNS1_17partition_subalgoE3EjNS0_10empty_typeEbEEZZNS1_14partition_implILS5_3ELb0ES3_jN6thrust23THRUST_200600_302600_NS6detail15normal_iteratorINSA_7pointerIjNSA_11hip_rocprim3tagENSA_11use_defaultESG_EEEEPS6_SJ_NS0_5tupleIJPjSJ_EEENSK_IJSJ_SJ_EEES6_PlJ7is_evenIjEEEE10hipError_tPvRmT3_T4_T5_T6_T7_T9_mT8_P12ihipStream_tbDpT10_ENKUlT_T0_E_clISt17integral_constantIbLb1EES19_IbLb0EEEEDaS15_S16_EUlS15_E_NS1_11comp_targetILNS1_3genE8ELNS1_11target_archE1030ELNS1_3gpuE2ELNS1_3repE0EEENS1_30default_config_static_selectorELNS0_4arch9wavefront6targetE1EEEvT1_
                                        ; -- End function
	.section	.AMDGPU.csdata,"",@progbits
; Kernel info:
; codeLenInByte = 0
; NumSgprs: 6
; NumVgprs: 0
; NumAgprs: 0
; TotalNumVgprs: 0
; ScratchSize: 0
; MemoryBound: 0
; FloatMode: 240
; IeeeMode: 1
; LDSByteSize: 0 bytes/workgroup (compile time only)
; SGPRBlocks: 0
; VGPRBlocks: 0
; NumSGPRsForWavesPerEU: 6
; NumVGPRsForWavesPerEU: 1
; AccumOffset: 4
; Occupancy: 8
; WaveLimiterHint : 0
; COMPUTE_PGM_RSRC2:SCRATCH_EN: 0
; COMPUTE_PGM_RSRC2:USER_SGPR: 2
; COMPUTE_PGM_RSRC2:TRAP_HANDLER: 0
; COMPUTE_PGM_RSRC2:TGID_X_EN: 1
; COMPUTE_PGM_RSRC2:TGID_Y_EN: 0
; COMPUTE_PGM_RSRC2:TGID_Z_EN: 0
; COMPUTE_PGM_RSRC2:TIDIG_COMP_CNT: 0
; COMPUTE_PGM_RSRC3_GFX90A:ACCUM_OFFSET: 0
; COMPUTE_PGM_RSRC3_GFX90A:TG_SPLIT: 0
	.section	.text._ZN7rocprim17ROCPRIM_400000_NS6detail17trampoline_kernelINS0_14default_configENS1_25partition_config_selectorILNS1_17partition_subalgoE3EjNS0_10empty_typeEbEEZZNS1_14partition_implILS5_3ELb0ES3_jN6thrust23THRUST_200600_302600_NS6detail15normal_iteratorINSA_7pointerIjNSA_11hip_rocprim3tagENSA_11use_defaultESG_EEEEPS6_SJ_NS0_5tupleIJPjSJ_EEENSK_IJSJ_SJ_EEES6_PlJ7is_evenIjEEEE10hipError_tPvRmT3_T4_T5_T6_T7_T9_mT8_P12ihipStream_tbDpT10_ENKUlT_T0_E_clISt17integral_constantIbLb0EES19_IbLb1EEEEDaS15_S16_EUlS15_E_NS1_11comp_targetILNS1_3genE0ELNS1_11target_archE4294967295ELNS1_3gpuE0ELNS1_3repE0EEENS1_30default_config_static_selectorELNS0_4arch9wavefront6targetE1EEEvT1_,"axG",@progbits,_ZN7rocprim17ROCPRIM_400000_NS6detail17trampoline_kernelINS0_14default_configENS1_25partition_config_selectorILNS1_17partition_subalgoE3EjNS0_10empty_typeEbEEZZNS1_14partition_implILS5_3ELb0ES3_jN6thrust23THRUST_200600_302600_NS6detail15normal_iteratorINSA_7pointerIjNSA_11hip_rocprim3tagENSA_11use_defaultESG_EEEEPS6_SJ_NS0_5tupleIJPjSJ_EEENSK_IJSJ_SJ_EEES6_PlJ7is_evenIjEEEE10hipError_tPvRmT3_T4_T5_T6_T7_T9_mT8_P12ihipStream_tbDpT10_ENKUlT_T0_E_clISt17integral_constantIbLb0EES19_IbLb1EEEEDaS15_S16_EUlS15_E_NS1_11comp_targetILNS1_3genE0ELNS1_11target_archE4294967295ELNS1_3gpuE0ELNS1_3repE0EEENS1_30default_config_static_selectorELNS0_4arch9wavefront6targetE1EEEvT1_,comdat
	.protected	_ZN7rocprim17ROCPRIM_400000_NS6detail17trampoline_kernelINS0_14default_configENS1_25partition_config_selectorILNS1_17partition_subalgoE3EjNS0_10empty_typeEbEEZZNS1_14partition_implILS5_3ELb0ES3_jN6thrust23THRUST_200600_302600_NS6detail15normal_iteratorINSA_7pointerIjNSA_11hip_rocprim3tagENSA_11use_defaultESG_EEEEPS6_SJ_NS0_5tupleIJPjSJ_EEENSK_IJSJ_SJ_EEES6_PlJ7is_evenIjEEEE10hipError_tPvRmT3_T4_T5_T6_T7_T9_mT8_P12ihipStream_tbDpT10_ENKUlT_T0_E_clISt17integral_constantIbLb0EES19_IbLb1EEEEDaS15_S16_EUlS15_E_NS1_11comp_targetILNS1_3genE0ELNS1_11target_archE4294967295ELNS1_3gpuE0ELNS1_3repE0EEENS1_30default_config_static_selectorELNS0_4arch9wavefront6targetE1EEEvT1_ ; -- Begin function _ZN7rocprim17ROCPRIM_400000_NS6detail17trampoline_kernelINS0_14default_configENS1_25partition_config_selectorILNS1_17partition_subalgoE3EjNS0_10empty_typeEbEEZZNS1_14partition_implILS5_3ELb0ES3_jN6thrust23THRUST_200600_302600_NS6detail15normal_iteratorINSA_7pointerIjNSA_11hip_rocprim3tagENSA_11use_defaultESG_EEEEPS6_SJ_NS0_5tupleIJPjSJ_EEENSK_IJSJ_SJ_EEES6_PlJ7is_evenIjEEEE10hipError_tPvRmT3_T4_T5_T6_T7_T9_mT8_P12ihipStream_tbDpT10_ENKUlT_T0_E_clISt17integral_constantIbLb0EES19_IbLb1EEEEDaS15_S16_EUlS15_E_NS1_11comp_targetILNS1_3genE0ELNS1_11target_archE4294967295ELNS1_3gpuE0ELNS1_3repE0EEENS1_30default_config_static_selectorELNS0_4arch9wavefront6targetE1EEEvT1_
	.globl	_ZN7rocprim17ROCPRIM_400000_NS6detail17trampoline_kernelINS0_14default_configENS1_25partition_config_selectorILNS1_17partition_subalgoE3EjNS0_10empty_typeEbEEZZNS1_14partition_implILS5_3ELb0ES3_jN6thrust23THRUST_200600_302600_NS6detail15normal_iteratorINSA_7pointerIjNSA_11hip_rocprim3tagENSA_11use_defaultESG_EEEEPS6_SJ_NS0_5tupleIJPjSJ_EEENSK_IJSJ_SJ_EEES6_PlJ7is_evenIjEEEE10hipError_tPvRmT3_T4_T5_T6_T7_T9_mT8_P12ihipStream_tbDpT10_ENKUlT_T0_E_clISt17integral_constantIbLb0EES19_IbLb1EEEEDaS15_S16_EUlS15_E_NS1_11comp_targetILNS1_3genE0ELNS1_11target_archE4294967295ELNS1_3gpuE0ELNS1_3repE0EEENS1_30default_config_static_selectorELNS0_4arch9wavefront6targetE1EEEvT1_
	.p2align	8
	.type	_ZN7rocprim17ROCPRIM_400000_NS6detail17trampoline_kernelINS0_14default_configENS1_25partition_config_selectorILNS1_17partition_subalgoE3EjNS0_10empty_typeEbEEZZNS1_14partition_implILS5_3ELb0ES3_jN6thrust23THRUST_200600_302600_NS6detail15normal_iteratorINSA_7pointerIjNSA_11hip_rocprim3tagENSA_11use_defaultESG_EEEEPS6_SJ_NS0_5tupleIJPjSJ_EEENSK_IJSJ_SJ_EEES6_PlJ7is_evenIjEEEE10hipError_tPvRmT3_T4_T5_T6_T7_T9_mT8_P12ihipStream_tbDpT10_ENKUlT_T0_E_clISt17integral_constantIbLb0EES19_IbLb1EEEEDaS15_S16_EUlS15_E_NS1_11comp_targetILNS1_3genE0ELNS1_11target_archE4294967295ELNS1_3gpuE0ELNS1_3repE0EEENS1_30default_config_static_selectorELNS0_4arch9wavefront6targetE1EEEvT1_,@function
_ZN7rocprim17ROCPRIM_400000_NS6detail17trampoline_kernelINS0_14default_configENS1_25partition_config_selectorILNS1_17partition_subalgoE3EjNS0_10empty_typeEbEEZZNS1_14partition_implILS5_3ELb0ES3_jN6thrust23THRUST_200600_302600_NS6detail15normal_iteratorINSA_7pointerIjNSA_11hip_rocprim3tagENSA_11use_defaultESG_EEEEPS6_SJ_NS0_5tupleIJPjSJ_EEENSK_IJSJ_SJ_EEES6_PlJ7is_evenIjEEEE10hipError_tPvRmT3_T4_T5_T6_T7_T9_mT8_P12ihipStream_tbDpT10_ENKUlT_T0_E_clISt17integral_constantIbLb0EES19_IbLb1EEEEDaS15_S16_EUlS15_E_NS1_11comp_targetILNS1_3genE0ELNS1_11target_archE4294967295ELNS1_3gpuE0ELNS1_3repE0EEENS1_30default_config_static_selectorELNS0_4arch9wavefront6targetE1EEEvT1_: ; @_ZN7rocprim17ROCPRIM_400000_NS6detail17trampoline_kernelINS0_14default_configENS1_25partition_config_selectorILNS1_17partition_subalgoE3EjNS0_10empty_typeEbEEZZNS1_14partition_implILS5_3ELb0ES3_jN6thrust23THRUST_200600_302600_NS6detail15normal_iteratorINSA_7pointerIjNSA_11hip_rocprim3tagENSA_11use_defaultESG_EEEEPS6_SJ_NS0_5tupleIJPjSJ_EEENSK_IJSJ_SJ_EEES6_PlJ7is_evenIjEEEE10hipError_tPvRmT3_T4_T5_T6_T7_T9_mT8_P12ihipStream_tbDpT10_ENKUlT_T0_E_clISt17integral_constantIbLb0EES19_IbLb1EEEEDaS15_S16_EUlS15_E_NS1_11comp_targetILNS1_3genE0ELNS1_11target_archE4294967295ELNS1_3gpuE0ELNS1_3repE0EEENS1_30default_config_static_selectorELNS0_4arch9wavefront6targetE1EEEvT1_
; %bb.0:
	.section	.rodata,"a",@progbits
	.p2align	6, 0x0
	.amdhsa_kernel _ZN7rocprim17ROCPRIM_400000_NS6detail17trampoline_kernelINS0_14default_configENS1_25partition_config_selectorILNS1_17partition_subalgoE3EjNS0_10empty_typeEbEEZZNS1_14partition_implILS5_3ELb0ES3_jN6thrust23THRUST_200600_302600_NS6detail15normal_iteratorINSA_7pointerIjNSA_11hip_rocprim3tagENSA_11use_defaultESG_EEEEPS6_SJ_NS0_5tupleIJPjSJ_EEENSK_IJSJ_SJ_EEES6_PlJ7is_evenIjEEEE10hipError_tPvRmT3_T4_T5_T6_T7_T9_mT8_P12ihipStream_tbDpT10_ENKUlT_T0_E_clISt17integral_constantIbLb0EES19_IbLb1EEEEDaS15_S16_EUlS15_E_NS1_11comp_targetILNS1_3genE0ELNS1_11target_archE4294967295ELNS1_3gpuE0ELNS1_3repE0EEENS1_30default_config_static_selectorELNS0_4arch9wavefront6targetE1EEEvT1_
		.amdhsa_group_segment_fixed_size 0
		.amdhsa_private_segment_fixed_size 0
		.amdhsa_kernarg_size 136
		.amdhsa_user_sgpr_count 2
		.amdhsa_user_sgpr_dispatch_ptr 0
		.amdhsa_user_sgpr_queue_ptr 0
		.amdhsa_user_sgpr_kernarg_segment_ptr 1
		.amdhsa_user_sgpr_dispatch_id 0
		.amdhsa_user_sgpr_kernarg_preload_length 0
		.amdhsa_user_sgpr_kernarg_preload_offset 0
		.amdhsa_user_sgpr_private_segment_size 0
		.amdhsa_uses_dynamic_stack 0
		.amdhsa_enable_private_segment 0
		.amdhsa_system_sgpr_workgroup_id_x 1
		.amdhsa_system_sgpr_workgroup_id_y 0
		.amdhsa_system_sgpr_workgroup_id_z 0
		.amdhsa_system_sgpr_workgroup_info 0
		.amdhsa_system_vgpr_workitem_id 0
		.amdhsa_next_free_vgpr 1
		.amdhsa_next_free_sgpr 0
		.amdhsa_accum_offset 4
		.amdhsa_reserve_vcc 0
		.amdhsa_float_round_mode_32 0
		.amdhsa_float_round_mode_16_64 0
		.amdhsa_float_denorm_mode_32 3
		.amdhsa_float_denorm_mode_16_64 3
		.amdhsa_dx10_clamp 1
		.amdhsa_ieee_mode 1
		.amdhsa_fp16_overflow 0
		.amdhsa_tg_split 0
		.amdhsa_exception_fp_ieee_invalid_op 0
		.amdhsa_exception_fp_denorm_src 0
		.amdhsa_exception_fp_ieee_div_zero 0
		.amdhsa_exception_fp_ieee_overflow 0
		.amdhsa_exception_fp_ieee_underflow 0
		.amdhsa_exception_fp_ieee_inexact 0
		.amdhsa_exception_int_div_zero 0
	.end_amdhsa_kernel
	.section	.text._ZN7rocprim17ROCPRIM_400000_NS6detail17trampoline_kernelINS0_14default_configENS1_25partition_config_selectorILNS1_17partition_subalgoE3EjNS0_10empty_typeEbEEZZNS1_14partition_implILS5_3ELb0ES3_jN6thrust23THRUST_200600_302600_NS6detail15normal_iteratorINSA_7pointerIjNSA_11hip_rocprim3tagENSA_11use_defaultESG_EEEEPS6_SJ_NS0_5tupleIJPjSJ_EEENSK_IJSJ_SJ_EEES6_PlJ7is_evenIjEEEE10hipError_tPvRmT3_T4_T5_T6_T7_T9_mT8_P12ihipStream_tbDpT10_ENKUlT_T0_E_clISt17integral_constantIbLb0EES19_IbLb1EEEEDaS15_S16_EUlS15_E_NS1_11comp_targetILNS1_3genE0ELNS1_11target_archE4294967295ELNS1_3gpuE0ELNS1_3repE0EEENS1_30default_config_static_selectorELNS0_4arch9wavefront6targetE1EEEvT1_,"axG",@progbits,_ZN7rocprim17ROCPRIM_400000_NS6detail17trampoline_kernelINS0_14default_configENS1_25partition_config_selectorILNS1_17partition_subalgoE3EjNS0_10empty_typeEbEEZZNS1_14partition_implILS5_3ELb0ES3_jN6thrust23THRUST_200600_302600_NS6detail15normal_iteratorINSA_7pointerIjNSA_11hip_rocprim3tagENSA_11use_defaultESG_EEEEPS6_SJ_NS0_5tupleIJPjSJ_EEENSK_IJSJ_SJ_EEES6_PlJ7is_evenIjEEEE10hipError_tPvRmT3_T4_T5_T6_T7_T9_mT8_P12ihipStream_tbDpT10_ENKUlT_T0_E_clISt17integral_constantIbLb0EES19_IbLb1EEEEDaS15_S16_EUlS15_E_NS1_11comp_targetILNS1_3genE0ELNS1_11target_archE4294967295ELNS1_3gpuE0ELNS1_3repE0EEENS1_30default_config_static_selectorELNS0_4arch9wavefront6targetE1EEEvT1_,comdat
.Lfunc_end943:
	.size	_ZN7rocprim17ROCPRIM_400000_NS6detail17trampoline_kernelINS0_14default_configENS1_25partition_config_selectorILNS1_17partition_subalgoE3EjNS0_10empty_typeEbEEZZNS1_14partition_implILS5_3ELb0ES3_jN6thrust23THRUST_200600_302600_NS6detail15normal_iteratorINSA_7pointerIjNSA_11hip_rocprim3tagENSA_11use_defaultESG_EEEEPS6_SJ_NS0_5tupleIJPjSJ_EEENSK_IJSJ_SJ_EEES6_PlJ7is_evenIjEEEE10hipError_tPvRmT3_T4_T5_T6_T7_T9_mT8_P12ihipStream_tbDpT10_ENKUlT_T0_E_clISt17integral_constantIbLb0EES19_IbLb1EEEEDaS15_S16_EUlS15_E_NS1_11comp_targetILNS1_3genE0ELNS1_11target_archE4294967295ELNS1_3gpuE0ELNS1_3repE0EEENS1_30default_config_static_selectorELNS0_4arch9wavefront6targetE1EEEvT1_, .Lfunc_end943-_ZN7rocprim17ROCPRIM_400000_NS6detail17trampoline_kernelINS0_14default_configENS1_25partition_config_selectorILNS1_17partition_subalgoE3EjNS0_10empty_typeEbEEZZNS1_14partition_implILS5_3ELb0ES3_jN6thrust23THRUST_200600_302600_NS6detail15normal_iteratorINSA_7pointerIjNSA_11hip_rocprim3tagENSA_11use_defaultESG_EEEEPS6_SJ_NS0_5tupleIJPjSJ_EEENSK_IJSJ_SJ_EEES6_PlJ7is_evenIjEEEE10hipError_tPvRmT3_T4_T5_T6_T7_T9_mT8_P12ihipStream_tbDpT10_ENKUlT_T0_E_clISt17integral_constantIbLb0EES19_IbLb1EEEEDaS15_S16_EUlS15_E_NS1_11comp_targetILNS1_3genE0ELNS1_11target_archE4294967295ELNS1_3gpuE0ELNS1_3repE0EEENS1_30default_config_static_selectorELNS0_4arch9wavefront6targetE1EEEvT1_
                                        ; -- End function
	.section	.AMDGPU.csdata,"",@progbits
; Kernel info:
; codeLenInByte = 0
; NumSgprs: 6
; NumVgprs: 0
; NumAgprs: 0
; TotalNumVgprs: 0
; ScratchSize: 0
; MemoryBound: 0
; FloatMode: 240
; IeeeMode: 1
; LDSByteSize: 0 bytes/workgroup (compile time only)
; SGPRBlocks: 0
; VGPRBlocks: 0
; NumSGPRsForWavesPerEU: 6
; NumVGPRsForWavesPerEU: 1
; AccumOffset: 4
; Occupancy: 8
; WaveLimiterHint : 0
; COMPUTE_PGM_RSRC2:SCRATCH_EN: 0
; COMPUTE_PGM_RSRC2:USER_SGPR: 2
; COMPUTE_PGM_RSRC2:TRAP_HANDLER: 0
; COMPUTE_PGM_RSRC2:TGID_X_EN: 1
; COMPUTE_PGM_RSRC2:TGID_Y_EN: 0
; COMPUTE_PGM_RSRC2:TGID_Z_EN: 0
; COMPUTE_PGM_RSRC2:TIDIG_COMP_CNT: 0
; COMPUTE_PGM_RSRC3_GFX90A:ACCUM_OFFSET: 0
; COMPUTE_PGM_RSRC3_GFX90A:TG_SPLIT: 0
	.section	.text._ZN7rocprim17ROCPRIM_400000_NS6detail17trampoline_kernelINS0_14default_configENS1_25partition_config_selectorILNS1_17partition_subalgoE3EjNS0_10empty_typeEbEEZZNS1_14partition_implILS5_3ELb0ES3_jN6thrust23THRUST_200600_302600_NS6detail15normal_iteratorINSA_7pointerIjNSA_11hip_rocprim3tagENSA_11use_defaultESG_EEEEPS6_SJ_NS0_5tupleIJPjSJ_EEENSK_IJSJ_SJ_EEES6_PlJ7is_evenIjEEEE10hipError_tPvRmT3_T4_T5_T6_T7_T9_mT8_P12ihipStream_tbDpT10_ENKUlT_T0_E_clISt17integral_constantIbLb0EES19_IbLb1EEEEDaS15_S16_EUlS15_E_NS1_11comp_targetILNS1_3genE5ELNS1_11target_archE942ELNS1_3gpuE9ELNS1_3repE0EEENS1_30default_config_static_selectorELNS0_4arch9wavefront6targetE1EEEvT1_,"axG",@progbits,_ZN7rocprim17ROCPRIM_400000_NS6detail17trampoline_kernelINS0_14default_configENS1_25partition_config_selectorILNS1_17partition_subalgoE3EjNS0_10empty_typeEbEEZZNS1_14partition_implILS5_3ELb0ES3_jN6thrust23THRUST_200600_302600_NS6detail15normal_iteratorINSA_7pointerIjNSA_11hip_rocprim3tagENSA_11use_defaultESG_EEEEPS6_SJ_NS0_5tupleIJPjSJ_EEENSK_IJSJ_SJ_EEES6_PlJ7is_evenIjEEEE10hipError_tPvRmT3_T4_T5_T6_T7_T9_mT8_P12ihipStream_tbDpT10_ENKUlT_T0_E_clISt17integral_constantIbLb0EES19_IbLb1EEEEDaS15_S16_EUlS15_E_NS1_11comp_targetILNS1_3genE5ELNS1_11target_archE942ELNS1_3gpuE9ELNS1_3repE0EEENS1_30default_config_static_selectorELNS0_4arch9wavefront6targetE1EEEvT1_,comdat
	.protected	_ZN7rocprim17ROCPRIM_400000_NS6detail17trampoline_kernelINS0_14default_configENS1_25partition_config_selectorILNS1_17partition_subalgoE3EjNS0_10empty_typeEbEEZZNS1_14partition_implILS5_3ELb0ES3_jN6thrust23THRUST_200600_302600_NS6detail15normal_iteratorINSA_7pointerIjNSA_11hip_rocprim3tagENSA_11use_defaultESG_EEEEPS6_SJ_NS0_5tupleIJPjSJ_EEENSK_IJSJ_SJ_EEES6_PlJ7is_evenIjEEEE10hipError_tPvRmT3_T4_T5_T6_T7_T9_mT8_P12ihipStream_tbDpT10_ENKUlT_T0_E_clISt17integral_constantIbLb0EES19_IbLb1EEEEDaS15_S16_EUlS15_E_NS1_11comp_targetILNS1_3genE5ELNS1_11target_archE942ELNS1_3gpuE9ELNS1_3repE0EEENS1_30default_config_static_selectorELNS0_4arch9wavefront6targetE1EEEvT1_ ; -- Begin function _ZN7rocprim17ROCPRIM_400000_NS6detail17trampoline_kernelINS0_14default_configENS1_25partition_config_selectorILNS1_17partition_subalgoE3EjNS0_10empty_typeEbEEZZNS1_14partition_implILS5_3ELb0ES3_jN6thrust23THRUST_200600_302600_NS6detail15normal_iteratorINSA_7pointerIjNSA_11hip_rocprim3tagENSA_11use_defaultESG_EEEEPS6_SJ_NS0_5tupleIJPjSJ_EEENSK_IJSJ_SJ_EEES6_PlJ7is_evenIjEEEE10hipError_tPvRmT3_T4_T5_T6_T7_T9_mT8_P12ihipStream_tbDpT10_ENKUlT_T0_E_clISt17integral_constantIbLb0EES19_IbLb1EEEEDaS15_S16_EUlS15_E_NS1_11comp_targetILNS1_3genE5ELNS1_11target_archE942ELNS1_3gpuE9ELNS1_3repE0EEENS1_30default_config_static_selectorELNS0_4arch9wavefront6targetE1EEEvT1_
	.globl	_ZN7rocprim17ROCPRIM_400000_NS6detail17trampoline_kernelINS0_14default_configENS1_25partition_config_selectorILNS1_17partition_subalgoE3EjNS0_10empty_typeEbEEZZNS1_14partition_implILS5_3ELb0ES3_jN6thrust23THRUST_200600_302600_NS6detail15normal_iteratorINSA_7pointerIjNSA_11hip_rocprim3tagENSA_11use_defaultESG_EEEEPS6_SJ_NS0_5tupleIJPjSJ_EEENSK_IJSJ_SJ_EEES6_PlJ7is_evenIjEEEE10hipError_tPvRmT3_T4_T5_T6_T7_T9_mT8_P12ihipStream_tbDpT10_ENKUlT_T0_E_clISt17integral_constantIbLb0EES19_IbLb1EEEEDaS15_S16_EUlS15_E_NS1_11comp_targetILNS1_3genE5ELNS1_11target_archE942ELNS1_3gpuE9ELNS1_3repE0EEENS1_30default_config_static_selectorELNS0_4arch9wavefront6targetE1EEEvT1_
	.p2align	8
	.type	_ZN7rocprim17ROCPRIM_400000_NS6detail17trampoline_kernelINS0_14default_configENS1_25partition_config_selectorILNS1_17partition_subalgoE3EjNS0_10empty_typeEbEEZZNS1_14partition_implILS5_3ELb0ES3_jN6thrust23THRUST_200600_302600_NS6detail15normal_iteratorINSA_7pointerIjNSA_11hip_rocprim3tagENSA_11use_defaultESG_EEEEPS6_SJ_NS0_5tupleIJPjSJ_EEENSK_IJSJ_SJ_EEES6_PlJ7is_evenIjEEEE10hipError_tPvRmT3_T4_T5_T6_T7_T9_mT8_P12ihipStream_tbDpT10_ENKUlT_T0_E_clISt17integral_constantIbLb0EES19_IbLb1EEEEDaS15_S16_EUlS15_E_NS1_11comp_targetILNS1_3genE5ELNS1_11target_archE942ELNS1_3gpuE9ELNS1_3repE0EEENS1_30default_config_static_selectorELNS0_4arch9wavefront6targetE1EEEvT1_,@function
_ZN7rocprim17ROCPRIM_400000_NS6detail17trampoline_kernelINS0_14default_configENS1_25partition_config_selectorILNS1_17partition_subalgoE3EjNS0_10empty_typeEbEEZZNS1_14partition_implILS5_3ELb0ES3_jN6thrust23THRUST_200600_302600_NS6detail15normal_iteratorINSA_7pointerIjNSA_11hip_rocprim3tagENSA_11use_defaultESG_EEEEPS6_SJ_NS0_5tupleIJPjSJ_EEENSK_IJSJ_SJ_EEES6_PlJ7is_evenIjEEEE10hipError_tPvRmT3_T4_T5_T6_T7_T9_mT8_P12ihipStream_tbDpT10_ENKUlT_T0_E_clISt17integral_constantIbLb0EES19_IbLb1EEEEDaS15_S16_EUlS15_E_NS1_11comp_targetILNS1_3genE5ELNS1_11target_archE942ELNS1_3gpuE9ELNS1_3repE0EEENS1_30default_config_static_selectorELNS0_4arch9wavefront6targetE1EEEvT1_: ; @_ZN7rocprim17ROCPRIM_400000_NS6detail17trampoline_kernelINS0_14default_configENS1_25partition_config_selectorILNS1_17partition_subalgoE3EjNS0_10empty_typeEbEEZZNS1_14partition_implILS5_3ELb0ES3_jN6thrust23THRUST_200600_302600_NS6detail15normal_iteratorINSA_7pointerIjNSA_11hip_rocprim3tagENSA_11use_defaultESG_EEEEPS6_SJ_NS0_5tupleIJPjSJ_EEENSK_IJSJ_SJ_EEES6_PlJ7is_evenIjEEEE10hipError_tPvRmT3_T4_T5_T6_T7_T9_mT8_P12ihipStream_tbDpT10_ENKUlT_T0_E_clISt17integral_constantIbLb0EES19_IbLb1EEEEDaS15_S16_EUlS15_E_NS1_11comp_targetILNS1_3genE5ELNS1_11target_archE942ELNS1_3gpuE9ELNS1_3repE0EEENS1_30default_config_static_selectorELNS0_4arch9wavefront6targetE1EEEvT1_
; %bb.0:
	s_load_dwordx2 s[22:23], s[0:1], 0x28
	s_load_dwordx4 s[24:27], s[0:1], 0x48
	s_load_dwordx2 s[34:35], s[0:1], 0x58
	s_load_dwordx2 s[36:37], s[0:1], 0x68
	v_cmp_eq_u32_e64 s[20:21], 0, v0
	s_and_saveexec_b64 s[2:3], s[20:21]
	s_cbranch_execz .LBB944_4
; %bb.1:
	s_mov_b64 s[6:7], exec
	v_mbcnt_lo_u32_b32 v1, s6, 0
	v_mbcnt_hi_u32_b32 v1, s7, v1
	v_cmp_eq_u32_e32 vcc, 0, v1
                                        ; implicit-def: $vgpr2
	s_and_saveexec_b64 s[4:5], vcc
	s_cbranch_execz .LBB944_3
; %bb.2:
	s_load_dwordx2 s[8:9], s[0:1], 0x78
	s_bcnt1_i32_b64 s6, s[6:7]
	v_mov_b32_e32 v2, 0
	v_mov_b32_e32 v3, s6
	s_waitcnt lgkmcnt(0)
	global_atomic_add v2, v2, v3, s[8:9] sc0
.LBB944_3:
	s_or_b64 exec, exec, s[4:5]
	s_waitcnt vmcnt(0)
	v_readfirstlane_b32 s4, v2
	v_mov_b32_e32 v2, 0
	s_nop 0
	v_add_u32_e32 v1, s4, v1
	ds_write_b32 v2, v1
.LBB944_4:
	s_or_b64 exec, exec, s[2:3]
	v_mov_b32_e32 v19, 0
	s_load_dwordx4 s[28:31], s[0:1], 0x8
	s_load_dword s2, s[0:1], 0x70
	s_waitcnt lgkmcnt(0)
	s_barrier
	ds_read_b32 v1, v19
	s_waitcnt lgkmcnt(0)
	s_barrier
	global_load_dwordx2 v[20:21], v19, s[26:27]
	s_lshl_b64 s[0:1], s[30:31], 2
	s_add_u32 s0, s28, s0
	s_addc_u32 s1, s29, s1
	s_movk_i32 s3, 0x1e00
	s_add_i32 s4, s2, -1
	s_mulk_i32 s2, 0x1e00
	v_mul_lo_u32 v18, v1, s3
	s_add_i32 s3, s2, s30
	s_sub_i32 s33, s34, s3
	s_addk_i32 s33, 0x1e00
	s_add_u32 s2, s30, s2
	v_readfirstlane_b32 s40, v1
	s_addc_u32 s3, s31, 0
	s_cmp_eq_u32 s40, s4
	v_mov_b64_e32 v[2:3], s[34:35]
	s_cselect_b64 s[26:27], -1, 0
	s_cmp_lg_u32 s40, s4
	v_cmp_lt_u64_e32 vcc, s[2:3], v[2:3]
	s_cselect_b64 s[2:3], -1, 0
	s_or_b64 s[4:5], vcc, s[2:3]
	v_lshlrev_b64 v[2:3], 2, v[18:19]
	v_lshl_add_u64 v[24:25], s[0:1], 0, v[2:3]
	s_mov_b64 s[0:1], -1
	s_and_b64 vcc, exec, s[4:5]
	v_lshlrev_b32_e32 v22, 2, v0
	s_cbranch_vccz .LBB944_6
; %bb.5:
	v_mov_b32_e32 v23, v19
	v_lshl_add_u64 v[2:3], v[24:25], 0, v[22:23]
	v_add_co_u32_e32 v4, vcc, 0x1000, v2
	s_mov_b64 s[0:1], 0
	s_nop 0
	v_addc_co_u32_e32 v5, vcc, 0, v3, vcc
	v_add_co_u32_e32 v6, vcc, 0x2000, v2
	s_nop 1
	v_addc_co_u32_e32 v7, vcc, 0, v3, vcc
	v_add_co_u32_e32 v8, vcc, 0x3000, v2
	s_nop 1
	v_addc_co_u32_e32 v9, vcc, 0, v3, vcc
	flat_load_dword v1, v[2:3]
	flat_load_dword v10, v[2:3] offset:2048
	flat_load_dword v11, v[4:5]
	flat_load_dword v12, v[4:5] offset:2048
	;; [unrolled: 2-line block ×4, first 2 shown]
	v_add_co_u32_e32 v4, vcc, 0x4000, v2
	s_nop 1
	v_addc_co_u32_e32 v5, vcc, 0, v3, vcc
	v_add_co_u32_e32 v6, vcc, 0x5000, v2
	s_nop 1
	v_addc_co_u32_e32 v7, vcc, 0, v3, vcc
	;; [unrolled: 3-line block ×4, first 2 shown]
	flat_load_dword v17, v[4:5]
	flat_load_dword v23, v[4:5] offset:2048
	flat_load_dword v26, v[6:7]
	flat_load_dword v27, v[6:7] offset:2048
	flat_load_dword v28, v[8:9]
	flat_load_dword v29, v[8:9] offset:2048
	flat_load_dword v30, v[2:3]
	s_waitcnt vmcnt(0) lgkmcnt(0)
	ds_write2st64_b32 v22, v1, v10 offset1:8
	ds_write2st64_b32 v22, v11, v12 offset0:16 offset1:24
	ds_write2st64_b32 v22, v13, v14 offset0:32 offset1:40
	;; [unrolled: 1-line block ×6, first 2 shown]
	ds_write_b32 v22, v30 offset:28672
	s_waitcnt lgkmcnt(0)
	s_barrier
.LBB944_6:
	s_andn2_b64 vcc, exec, s[0:1]
	v_cmp_gt_u32_e64 s[0:1], s33, v0
	s_cbranch_vccnz .LBB944_38
; %bb.7:
                                        ; implicit-def: $vgpr2_vgpr3_vgpr4_vgpr5_vgpr6_vgpr7_vgpr8_vgpr9_vgpr10_vgpr11_vgpr12_vgpr13_vgpr14_vgpr15_vgpr16_vgpr17
	s_and_saveexec_b64 s[2:3], s[0:1]
	s_cbranch_execz .LBB944_9
; %bb.8:
	v_mov_b32_e32 v23, 0
	v_lshl_add_u64 v[2:3], v[24:25], 0, v[22:23]
	flat_load_dword v2, v[2:3]
.LBB944_9:
	s_or_b64 exec, exec, s[2:3]
	v_or_b32_e32 v1, 0x200, v0
	v_cmp_gt_u32_e32 vcc, s33, v1
	s_and_saveexec_b64 s[0:1], vcc
	s_cbranch_execz .LBB944_11
; %bb.10:
	v_mov_b32_e32 v23, 0
	v_lshl_add_u64 v[26:27], v[24:25], 0, v[22:23]
	flat_load_dword v3, v[26:27] offset:2048
.LBB944_11:
	s_or_b64 exec, exec, s[0:1]
	v_or_b32_e32 v1, 0x400, v0
	v_cmp_gt_u32_e32 vcc, s33, v1
	s_and_saveexec_b64 s[0:1], vcc
	s_cbranch_execz .LBB944_13
; %bb.12:
	v_lshlrev_b32_e32 v26, 2, v1
	v_mov_b32_e32 v27, 0
	v_lshl_add_u64 v[26:27], v[24:25], 0, v[26:27]
	flat_load_dword v4, v[26:27]
.LBB944_13:
	s_or_b64 exec, exec, s[0:1]
	v_or_b32_e32 v1, 0x600, v0
	v_cmp_gt_u32_e32 vcc, s33, v1
	s_and_saveexec_b64 s[0:1], vcc
	s_cbranch_execz .LBB944_15
; %bb.14:
	v_lshlrev_b32_e32 v26, 2, v1
	v_mov_b32_e32 v27, 0
	v_lshl_add_u64 v[26:27], v[24:25], 0, v[26:27]
	flat_load_dword v5, v[26:27]
.LBB944_15:
	;; [unrolled: 11-line block ×13, first 2 shown]
	s_or_b64 exec, exec, s[0:1]
	s_waitcnt vmcnt(0) lgkmcnt(0)
	ds_write2st64_b32 v22, v2, v3 offset1:8
	ds_write2st64_b32 v22, v4, v5 offset0:16 offset1:24
	ds_write2st64_b32 v22, v6, v7 offset0:32 offset1:40
	;; [unrolled: 1-line block ×6, first 2 shown]
	ds_write_b32 v22, v16 offset:28672
	s_waitcnt lgkmcnt(0)
	s_barrier
.LBB944_38:
	v_mul_u32_u24_e32 v41, 15, v0
	v_lshlrev_b32_e32 v1, 2, v41
	ds_read2_b32 v[38:39], v1 offset1:1
	ds_read2_b32 v[36:37], v1 offset0:2 offset1:3
	ds_read2_b32 v[34:35], v1 offset0:4 offset1:5
	;; [unrolled: 1-line block ×6, first 2 shown]
	ds_read_b32 v1, v1 offset:56
	v_cndmask_b32_e64 v2, 0, 1, s[4:5]
	v_cmp_ne_u32_e64 s[2:3], 1, v2
	s_andn2_b64 vcc, exec, s[4:5]
	s_waitcnt lgkmcnt(7)
	v_xor_b32_e32 v16, -1, v38
	v_xor_b32_e32 v15, -1, v39
	s_waitcnt lgkmcnt(6)
	v_xor_b32_e32 v14, -1, v36
	v_xor_b32_e32 v13, -1, v37
	;; [unrolled: 3-line block ×7, first 2 shown]
	s_waitcnt lgkmcnt(0)
	v_xor_b32_e32 v2, -1, v1
	s_barrier
	s_cbranch_vccnz .LBB944_40
; %bb.39:
	v_and_b32_e32 v54, 1, v16
	v_and_b32_e32 v53, 1, v15
	;; [unrolled: 1-line block ×15, first 2 shown]
	s_cbranch_execz .LBB944_41
	s_branch .LBB944_42
.LBB944_40:
                                        ; implicit-def: $vgpr23
                                        ; implicit-def: $vgpr40
                                        ; implicit-def: $vgpr42
                                        ; implicit-def: $vgpr43
                                        ; implicit-def: $vgpr44
                                        ; implicit-def: $vgpr45
                                        ; implicit-def: $vgpr46
                                        ; implicit-def: $vgpr47
                                        ; implicit-def: $vgpr48
                                        ; implicit-def: $vgpr54
                                        ; implicit-def: $vgpr53
                                        ; implicit-def: $vgpr52
                                        ; implicit-def: $vgpr51
                                        ; implicit-def: $vgpr50
                                        ; implicit-def: $vgpr49
.LBB944_41:
	v_add_u32_e32 v48, 1, v41
	v_cmp_gt_u32_e32 vcc, s33, v41
	v_add_u32_e32 v17, 2, v41
	v_add_u32_e32 v47, 3, v41
	v_cndmask_b32_e64 v49, 0, 1, vcc
	v_cmp_gt_u32_e32 vcc, s33, v48
	v_and_b32_e32 v54, v49, v16
	v_add_u32_e32 v23, 4, v41
	v_cndmask_b32_e64 v16, 0, 1, vcc
	v_cmp_gt_u32_e32 vcc, s33, v17
	v_and_b32_e32 v53, v16, v15
	;; [unrolled: 4-line block ×12, first 2 shown]
	s_nop 0
	v_cndmask_b32_e64 v5, 0, 1, vcc
	v_cmp_gt_u32_e32 vcc, s33, v56
	v_and_b32_e32 v42, v5, v4
	s_nop 0
	v_cndmask_b32_e64 v4, 0, 1, vcc
	v_cmp_gt_u32_e32 vcc, s33, v55
	v_and_b32_e32 v40, v4, v3
	s_nop 0
	v_cndmask_b32_e64 v3, 0, 1, vcc
	v_and_b32_e32 v23, v3, v2
.LBB944_42:
	v_and_b32_e32 v59, 0xff, v51
	v_and_b32_e32 v60, 0xff, v50
	;; [unrolled: 1-line block ×5, first 2 shown]
	v_add3_u32 v3, v60, v61, v59
	v_and_b32_e32 v55, 0xff, v54
	v_and_b32_e32 v62, 0xff, v48
	v_add3_u32 v3, v3, v58, v57
	v_and_b32_e32 v63, 0xff, v47
	v_and_b32_e32 v64, 0xff, v46
	;; [unrolled: 3-line block ×5, first 2 shown]
	v_add3_u32 v3, v3, v67, v68
	v_add3_u32 v72, v3, v69, v2
	v_mbcnt_lo_u32_b32 v2, -1, 0
	v_mbcnt_hi_u32_b32 v70, -1, v2
	v_and_b32_e32 v2, 15, v70
	v_cmp_eq_u32_e64 s[16:17], 0, v2
	v_cmp_lt_u32_e64 s[14:15], 1, v2
	v_cmp_lt_u32_e64 s[12:13], 3, v2
	;; [unrolled: 1-line block ×3, first 2 shown]
	v_and_b32_e32 v2, 16, v70
	v_cmp_eq_u32_e64 s[8:9], 0, v2
	v_or_b32_e32 v2, 63, v0
	s_cmp_lg_u32 s40, 0
	v_cmp_lt_u32_e64 s[4:5], 31, v70
	v_lshrrev_b32_e32 v71, 6, v0
	v_cmp_eq_u32_e64 s[6:7], v2, v0
	s_cbranch_scc0 .LBB944_69
; %bb.43:
	v_mov_b32_dpp v2, v72 row_shr:1 row_mask:0xf bank_mask:0xf
	v_cndmask_b32_e64 v2, v2, 0, s[16:17]
	v_add_u32_e32 v2, v2, v72
	s_nop 1
	v_mov_b32_dpp v3, v2 row_shr:2 row_mask:0xf bank_mask:0xf
	v_cndmask_b32_e64 v3, 0, v3, s[14:15]
	v_add_u32_e32 v2, v2, v3
	s_nop 1
	;; [unrolled: 4-line block ×4, first 2 shown]
	v_mov_b32_dpp v3, v2 row_bcast:15 row_mask:0xf bank_mask:0xf
	v_cndmask_b32_e64 v3, v3, 0, s[8:9]
	v_add_u32_e32 v2, v2, v3
	s_nop 1
	v_mov_b32_dpp v3, v2 row_bcast:31 row_mask:0xf bank_mask:0xf
	v_cndmask_b32_e64 v3, 0, v3, s[4:5]
	v_add_u32_e32 v2, v2, v3
	s_and_saveexec_b64 s[0:1], s[6:7]
	s_cbranch_execz .LBB944_45
; %bb.44:
	v_lshlrev_b32_e32 v3, 2, v71
	ds_write_b32 v3, v2
.LBB944_45:
	s_or_b64 exec, exec, s[0:1]
	v_cmp_gt_u32_e32 vcc, 8, v0
	s_waitcnt lgkmcnt(0)
	s_barrier
	s_and_saveexec_b64 s[0:1], vcc
	s_cbranch_execz .LBB944_47
; %bb.46:
	ds_read_b32 v3, v22
	v_and_b32_e32 v4, 7, v70
	v_cmp_ne_u32_e32 vcc, 0, v4
	s_waitcnt lgkmcnt(0)
	v_mov_b32_dpp v5, v3 row_shr:1 row_mask:0xf bank_mask:0xf
	v_cndmask_b32_e32 v5, 0, v5, vcc
	v_add_u32_e32 v3, v5, v3
	v_cmp_lt_u32_e32 vcc, 1, v4
	s_nop 0
	v_mov_b32_dpp v5, v3 row_shr:2 row_mask:0xf bank_mask:0xf
	v_cndmask_b32_e32 v5, 0, v5, vcc
	v_add_u32_e32 v3, v3, v5
	v_cmp_lt_u32_e32 vcc, 3, v4
	s_nop 0
	v_mov_b32_dpp v5, v3 row_shr:4 row_mask:0xf bank_mask:0xf
	v_cndmask_b32_e32 v4, 0, v5, vcc
	v_add_u32_e32 v3, v3, v4
	ds_write_b32 v22, v3
.LBB944_47:
	s_or_b64 exec, exec, s[0:1]
	v_cmp_gt_u32_e32 vcc, 64, v0
	v_cmp_lt_u32_e64 s[0:1], 63, v0
	s_waitcnt lgkmcnt(0)
	s_barrier
	s_waitcnt lgkmcnt(0)
                                        ; implicit-def: $vgpr12
	s_and_saveexec_b64 s[18:19], s[0:1]
	s_cbranch_execz .LBB944_49
; %bb.48:
	v_lshl_add_u32 v3, v71, 2, -4
	ds_read_b32 v12, v3
	s_waitcnt lgkmcnt(0)
	v_add_u32_e32 v2, v12, v2
.LBB944_49:
	s_or_b64 exec, exec, s[18:19]
	v_add_u32_e32 v3, -1, v70
	v_and_b32_e32 v4, 64, v70
	v_cmp_lt_i32_e64 s[0:1], v3, v4
	v_cmp_eq_u32_e64 s[18:19], 0, v70
	s_nop 0
	v_cndmask_b32_e64 v3, v3, v70, s[0:1]
	v_lshlrev_b32_e32 v3, 2, v3
	ds_bpermute_b32 v13, v3, v2
	s_and_saveexec_b64 s[0:1], vcc
	s_cbranch_execz .LBB944_68
; %bb.50:
	v_mov_b32_e32 v9, 0
	ds_read_b32 v2, v9 offset:28
	s_and_saveexec_b64 s[28:29], s[18:19]
	s_cbranch_execz .LBB944_52
; %bb.51:
	s_add_i32 s38, s40, 64
	s_mov_b32 s39, 0
	s_lshl_b64 s[38:39], s[38:39], 3
	s_add_u32 s38, s36, s38
	v_mov_b32_e32 v3, 1
	s_addc_u32 s39, s37, s39
	s_waitcnt lgkmcnt(0)
	global_store_dwordx2 v9, v[2:3], s[38:39] sc1
.LBB944_52:
	s_or_b64 exec, exec, s[28:29]
	v_xad_u32 v4, v70, -1, s40
	v_add_u32_e32 v8, 64, v4
	v_lshl_add_u64 v[10:11], v[8:9], 3, s[36:37]
	global_load_dwordx2 v[6:7], v[10:11], off sc1
	s_waitcnt vmcnt(0)
	v_cmp_eq_u16_sdwa s[38:39], v7, v9 src0_sel:BYTE_0 src1_sel:DWORD
	s_and_saveexec_b64 s[28:29], s[38:39]
	s_cbranch_execz .LBB944_56
; %bb.53:
	s_mov_b64 s[38:39], 0
	v_mov_b32_e32 v3, 0
.LBB944_54:                             ; =>This Inner Loop Header: Depth=1
	global_load_dwordx2 v[6:7], v[10:11], off sc1
	s_waitcnt vmcnt(0)
	v_cmp_ne_u16_sdwa s[42:43], v7, v3 src0_sel:BYTE_0 src1_sel:DWORD
	s_or_b64 s[38:39], s[42:43], s[38:39]
	s_andn2_b64 exec, exec, s[38:39]
	s_cbranch_execnz .LBB944_54
; %bb.55:
	s_or_b64 exec, exec, s[38:39]
.LBB944_56:
	s_or_b64 exec, exec, s[28:29]
	v_and_b32_e32 v15, 63, v70
	v_mov_b32_e32 v14, 2
	v_cmp_ne_u32_e32 vcc, 63, v15
	v_cmp_eq_u16_sdwa s[28:29], v7, v14 src0_sel:BYTE_0 src1_sel:DWORD
	v_lshlrev_b64 v[8:9], v70, -1
	v_addc_co_u32_e32 v10, vcc, 0, v70, vcc
	v_and_b32_e32 v3, s29, v9
	v_lshlrev_b32_e32 v16, 2, v10
	v_or_b32_e32 v3, 0x80000000, v3
	ds_bpermute_b32 v10, v16, v6
	v_and_b32_e32 v5, s28, v8
	v_ffbl_b32_e32 v3, v3
	v_add_u32_e32 v3, 32, v3
	v_ffbl_b32_e32 v5, v5
	v_min_u32_e32 v3, v5, v3
	v_cmp_lt_u32_e32 vcc, v15, v3
	v_add_u32_e32 v24, 2, v15
	v_add_u32_e32 v56, 4, v15
	s_waitcnt lgkmcnt(0)
	v_cndmask_b32_e32 v5, 0, v10, vcc
	v_cmp_gt_u32_e32 vcc, 62, v15
	v_add_u32_e32 v5, v5, v6
	v_add_u32_e32 v74, 8, v15
	v_cndmask_b32_e64 v6, 0, 1, vcc
	v_lshlrev_b32_e32 v6, 1, v6
	v_add_lshl_u32 v17, v6, v70, 2
	ds_bpermute_b32 v6, v17, v5
	v_cmp_le_u32_e32 vcc, v24, v3
	v_add_u32_e32 v76, 16, v15
	v_add_u32_e32 v78, 32, v15
	s_waitcnt lgkmcnt(0)
	v_cndmask_b32_e32 v6, 0, v6, vcc
	v_cmp_gt_u32_e32 vcc, 60, v15
	v_add_u32_e32 v5, v5, v6
	s_nop 0
	v_cndmask_b32_e64 v6, 0, 1, vcc
	v_lshlrev_b32_e32 v6, 2, v6
	v_add_lshl_u32 v25, v6, v70, 2
	ds_bpermute_b32 v6, v25, v5
	v_cmp_le_u32_e32 vcc, v56, v3
	s_waitcnt lgkmcnt(0)
	s_nop 0
	v_cndmask_b32_e32 v6, 0, v6, vcc
	v_cmp_gt_u32_e32 vcc, 56, v15
	v_add_u32_e32 v5, v5, v6
	s_nop 0
	v_cndmask_b32_e64 v6, 0, 1, vcc
	v_lshlrev_b32_e32 v6, 3, v6
	v_add_lshl_u32 v73, v6, v70, 2
	ds_bpermute_b32 v6, v73, v5
	v_cmp_le_u32_e32 vcc, v74, v3
	s_waitcnt lgkmcnt(0)
	s_nop 0
	;; [unrolled: 11-line block ×4, first 2 shown]
	v_cndmask_b32_e32 v3, 0, v6, vcc
	v_add_u32_e32 v6, v5, v3
	v_mov_b32_e32 v5, 0
	s_branch .LBB944_58
.LBB944_57:                             ;   in Loop: Header=BB944_58 Depth=1
	s_or_b64 exec, exec, s[28:29]
	v_cmp_eq_u16_sdwa s[28:29], v7, v14 src0_sel:BYTE_0 src1_sel:DWORD
	ds_bpermute_b32 v79, v16, v6
	v_subrev_u32_e32 v4, 64, v4
	v_and_b32_e32 v10, s29, v9
	v_or_b32_e32 v10, 0x80000000, v10
	v_and_b32_e32 v11, s28, v8
	v_ffbl_b32_e32 v10, v10
	v_add_u32_e32 v10, 32, v10
	v_ffbl_b32_e32 v11, v11
	v_min_u32_e32 v10, v11, v10
	v_cmp_lt_u32_e32 vcc, v15, v10
	s_waitcnt lgkmcnt(0)
	s_nop 0
	v_cndmask_b32_e32 v11, 0, v79, vcc
	v_add_u32_e32 v6, v11, v6
	ds_bpermute_b32 v11, v17, v6
	v_cmp_le_u32_e32 vcc, v24, v10
	s_waitcnt lgkmcnt(0)
	s_nop 0
	v_cndmask_b32_e32 v11, 0, v11, vcc
	v_add_u32_e32 v6, v6, v11
	ds_bpermute_b32 v11, v25, v6
	v_cmp_le_u32_e32 vcc, v56, v10
	;; [unrolled: 6-line block ×5, first 2 shown]
	s_waitcnt lgkmcnt(0)
	s_nop 0
	v_cndmask_b32_e32 v10, 0, v11, vcc
	v_add3_u32 v6, v10, v3, v6
.LBB944_58:                             ; =>This Loop Header: Depth=1
                                        ;     Child Loop BB944_61 Depth 2
	v_cmp_ne_u16_sdwa s[28:29], v7, v14 src0_sel:BYTE_0 src1_sel:DWORD
	s_nop 1
	v_cndmask_b32_e64 v3, 0, 1, s[28:29]
	;;#ASMSTART
	;;#ASMEND
	s_nop 0
	v_cmp_ne_u32_e32 vcc, 0, v3
	s_cmp_lg_u64 vcc, exec
	v_mov_b32_e32 v3, v6
	s_cbranch_scc1 .LBB944_63
; %bb.59:                               ;   in Loop: Header=BB944_58 Depth=1
	v_lshl_add_u64 v[10:11], v[4:5], 3, s[36:37]
	global_load_dwordx2 v[6:7], v[10:11], off sc1
	s_waitcnt vmcnt(0)
	v_cmp_eq_u16_sdwa s[38:39], v7, v5 src0_sel:BYTE_0 src1_sel:DWORD
	s_and_saveexec_b64 s[28:29], s[38:39]
	s_cbranch_execz .LBB944_57
; %bb.60:                               ;   in Loop: Header=BB944_58 Depth=1
	s_mov_b64 s[38:39], 0
.LBB944_61:                             ;   Parent Loop BB944_58 Depth=1
                                        ; =>  This Inner Loop Header: Depth=2
	global_load_dwordx2 v[6:7], v[10:11], off sc1
	s_waitcnt vmcnt(0)
	v_cmp_ne_u16_sdwa s[42:43], v7, v5 src0_sel:BYTE_0 src1_sel:DWORD
	s_or_b64 s[38:39], s[42:43], s[38:39]
	s_andn2_b64 exec, exec, s[38:39]
	s_cbranch_execnz .LBB944_61
; %bb.62:                               ;   in Loop: Header=BB944_58 Depth=1
	s_or_b64 exec, exec, s[38:39]
	s_branch .LBB944_57
.LBB944_63:                             ;   in Loop: Header=BB944_58 Depth=1
                                        ; implicit-def: $vgpr6
                                        ; implicit-def: $vgpr7
	s_cbranch_execz .LBB944_58
; %bb.64:
	s_and_saveexec_b64 s[28:29], s[18:19]
	s_cbranch_execz .LBB944_66
; %bb.65:
	s_add_i32 s38, s40, 64
	s_mov_b32 s39, 0
	s_lshl_b64 s[38:39], s[38:39], 3
	s_add_u32 s38, s36, s38
	v_add_u32_e32 v4, v3, v2
	v_mov_b32_e32 v5, 2
	s_addc_u32 s39, s37, s39
	v_mov_b32_e32 v6, 0
	global_store_dwordx2 v6, v[4:5], s[38:39] sc1
	ds_write_b64 v6, v[2:3] offset:30720
.LBB944_66:
	s_or_b64 exec, exec, s[28:29]
	s_and_b64 exec, exec, s[20:21]
	s_cbranch_execz .LBB944_68
; %bb.67:
	v_mov_b32_e32 v2, 0
	ds_write_b32 v2, v3 offset:28
.LBB944_68:
	s_or_b64 exec, exec, s[0:1]
	v_mov_b32_e32 v14, 0
	s_waitcnt lgkmcnt(0)
	s_barrier
	ds_read_b32 v2, v14 offset:28
	v_cndmask_b32_e64 v3, v13, v12, s[18:19]
	v_cndmask_b32_e64 v3, v3, 0, s[20:21]
	s_waitcnt lgkmcnt(0)
	s_barrier
	v_add_u32_e32 v2, v2, v3
	v_add_u32_e32 v3, v2, v55
	;; [unrolled: 1-line block ×10, first 2 shown]
	ds_read_b64 v[24:25], v14 offset:30720
	v_add_u32_e32 v12, v11, v65
	v_add_u32_e32 v13, v12, v66
	v_add_u32_e32 v14, v13, v67
	v_add_u32_e32 v15, v14, v68
	v_add_u32_e32 v16, v15, v69
	s_waitcnt lgkmcnt(0)
	v_mov_b32_e32 v56, v25
	s_branch .LBB944_79
.LBB944_69:
                                        ; implicit-def: $vgpr56
                                        ; implicit-def: $vgpr24
                                        ; implicit-def: $vgpr2_vgpr3_vgpr4_vgpr5_vgpr6_vgpr7_vgpr8_vgpr9_vgpr10_vgpr11_vgpr12_vgpr13_vgpr14_vgpr15_vgpr16_vgpr17
	s_cbranch_execz .LBB944_79
; %bb.70:
	s_nop 0
	v_mov_b32_dpp v2, v72 row_shr:1 row_mask:0xf bank_mask:0xf
	v_cndmask_b32_e64 v2, v2, 0, s[16:17]
	v_add_u32_e32 v2, v2, v72
	s_nop 1
	v_mov_b32_dpp v3, v2 row_shr:2 row_mask:0xf bank_mask:0xf
	v_cndmask_b32_e64 v3, 0, v3, s[14:15]
	v_add_u32_e32 v2, v2, v3
	;; [unrolled: 4-line block ×4, first 2 shown]
	s_nop 1
	v_mov_b32_dpp v3, v2 row_bcast:15 row_mask:0xf bank_mask:0xf
	v_cndmask_b32_e64 v3, v3, 0, s[8:9]
	v_add_u32_e32 v2, v2, v3
	s_nop 1
	v_mov_b32_dpp v3, v2 row_bcast:31 row_mask:0xf bank_mask:0xf
	v_cndmask_b32_e64 v3, 0, v3, s[4:5]
	v_add_u32_e32 v2, v2, v3
	s_and_saveexec_b64 s[0:1], s[6:7]
	s_cbranch_execz .LBB944_72
; %bb.71:
	v_lshlrev_b32_e32 v3, 2, v71
	ds_write_b32 v3, v2
.LBB944_72:
	s_or_b64 exec, exec, s[0:1]
	v_cmp_gt_u32_e32 vcc, 8, v0
	s_waitcnt lgkmcnt(0)
	s_barrier
	s_and_saveexec_b64 s[0:1], vcc
	s_cbranch_execz .LBB944_74
; %bb.73:
	ds_read_b32 v3, v22
	v_and_b32_e32 v4, 7, v70
	v_cmp_ne_u32_e32 vcc, 0, v4
	s_waitcnt lgkmcnt(0)
	v_mov_b32_dpp v5, v3 row_shr:1 row_mask:0xf bank_mask:0xf
	v_cndmask_b32_e32 v5, 0, v5, vcc
	v_add_u32_e32 v3, v5, v3
	v_cmp_lt_u32_e32 vcc, 1, v4
	s_nop 0
	v_mov_b32_dpp v5, v3 row_shr:2 row_mask:0xf bank_mask:0xf
	v_cndmask_b32_e32 v5, 0, v5, vcc
	v_add_u32_e32 v3, v3, v5
	v_cmp_lt_u32_e32 vcc, 3, v4
	s_nop 0
	v_mov_b32_dpp v5, v3 row_shr:4 row_mask:0xf bank_mask:0xf
	v_cndmask_b32_e32 v4, 0, v5, vcc
	v_add_u32_e32 v3, v3, v4
	ds_write_b32 v22, v3
.LBB944_74:
	s_or_b64 exec, exec, s[0:1]
	v_cmp_lt_u32_e32 vcc, 63, v0
	v_mov_b32_e32 v4, 0
	v_mov_b32_e32 v3, 0
	s_waitcnt lgkmcnt(0)
	s_barrier
	s_and_saveexec_b64 s[0:1], vcc
	s_cbranch_execz .LBB944_76
; %bb.75:
	v_lshl_add_u32 v3, v71, 2, -4
	ds_read_b32 v3, v3
.LBB944_76:
	s_or_b64 exec, exec, s[0:1]
	v_add_u32_e32 v5, -1, v70
	v_and_b32_e32 v6, 64, v70
	v_cmp_lt_i32_e32 vcc, v5, v6
	s_waitcnt lgkmcnt(0)
	v_add_u32_e32 v2, v3, v2
	ds_read_b32 v24, v4 offset:28
	v_cndmask_b32_e32 v5, v5, v70, vcc
	v_lshlrev_b32_e32 v5, 2, v5
	ds_bpermute_b32 v2, v5, v2
	s_and_saveexec_b64 s[0:1], s[20:21]
	s_cbranch_execz .LBB944_78
; %bb.77:
	v_mov_b32_e32 v4, 0
	v_mov_b32_e32 v25, 2
	s_waitcnt lgkmcnt(1)
	global_store_dwordx2 v4, v[24:25], s[36:37] offset:512 sc1
.LBB944_78:
	s_or_b64 exec, exec, s[0:1]
	v_cmp_eq_u32_e32 vcc, 0, v70
	v_mov_b32_e32 v56, 0
	s_waitcnt lgkmcnt(0)
	v_cndmask_b32_e32 v2, v2, v3, vcc
	v_cndmask_b32_e64 v2, v2, 0, s[20:21]
	v_add_u32_e32 v3, v2, v55
	v_add_u32_e32 v4, v3, v57
	;; [unrolled: 1-line block ×14, first 2 shown]
	s_barrier
.LBB944_79:
	v_add_u32_e32 v17, v24, v41
	v_sub_u32_e32 v2, v2, v56
	v_and_b32_e32 v41, 1, v54
	v_sub_u32_e32 v25, v17, v2
	v_cmp_eq_u32_e32 vcc, 1, v41
	v_or_b32_e32 v54, 0x200, v0
	s_nop 0
	v_cndmask_b32_e32 v2, v25, v2, vcc
	v_lshlrev_b32_e32 v2, 2, v2
	ds_write_b32 v2, v38
	v_sub_u32_e32 v2, v3, v56
	v_sub_u32_e32 v3, v17, v2
	v_and_b32_e32 v25, 1, v53
	v_add_u32_e32 v3, 1, v3
	v_cmp_eq_u32_e32 vcc, 1, v25
	v_or_b32_e32 v38, 0xc00, v0
	s_nop 0
	v_cndmask_b32_e32 v2, v3, v2, vcc
	v_lshlrev_b32_e32 v2, 2, v2
	ds_write_b32 v2, v39
	v_sub_u32_e32 v2, v4, v56
	v_sub_u32_e32 v3, v17, v2
	v_and_b32_e32 v4, 1, v52
	v_add_u32_e32 v3, 2, v3
	v_cmp_eq_u32_e32 vcc, 1, v4
	v_and_b32_e32 v4, 1, v51
	s_nop 0
	v_cndmask_b32_e32 v2, v3, v2, vcc
	v_lshlrev_b32_e32 v2, 2, v2
	ds_write_b32 v2, v36
	v_sub_u32_e32 v2, v5, v56
	v_sub_u32_e32 v3, v17, v2
	v_add_u32_e32 v3, 3, v3
	v_cmp_eq_u32_e32 vcc, 1, v4
	v_and_b32_e32 v4, 1, v50
	v_or_b32_e32 v50, 0x400, v0
	v_cndmask_b32_e32 v2, v3, v2, vcc
	v_lshlrev_b32_e32 v2, 2, v2
	ds_write_b32 v2, v37
	v_sub_u32_e32 v2, v6, v56
	v_sub_u32_e32 v3, v17, v2
	v_add_u32_e32 v3, 4, v3
	v_cmp_eq_u32_e32 vcc, 1, v4
	v_and_b32_e32 v4, 1, v49
	v_or_b32_e32 v36, 0xe00, v0
	v_cndmask_b32_e32 v2, v3, v2, vcc
	v_lshlrev_b32_e32 v2, 2, v2
	ds_write_b32 v2, v34
	v_sub_u32_e32 v2, v7, v56
	v_sub_u32_e32 v3, v17, v2
	v_add_u32_e32 v3, 5, v3
	v_cmp_eq_u32_e32 vcc, 1, v4
	v_and_b32_e32 v4, 1, v48
	v_lshl_add_u64 v[6:7], s[30:31], 0, v[18:19]
	v_cndmask_b32_e32 v2, v3, v2, vcc
	v_lshlrev_b32_e32 v2, 2, v2
	ds_write_b32 v2, v35
	v_sub_u32_e32 v2, v8, v56
	v_sub_u32_e32 v3, v17, v2
	v_add_u32_e32 v3, 6, v3
	v_cmp_eq_u32_e32 vcc, 1, v4
	v_and_b32_e32 v4, 1, v47
	v_mov_b32_e32 v18, s35
	v_cndmask_b32_e32 v2, v3, v2, vcc
	v_lshlrev_b32_e32 v2, 2, v2
	ds_write_b32 v2, v32
	v_sub_u32_e32 v2, v9, v56
	v_sub_u32_e32 v3, v17, v2
	v_add_u32_e32 v3, 7, v3
	v_cmp_eq_u32_e32 vcc, 1, v4
	v_and_b32_e32 v4, 1, v46
	v_or_b32_e32 v48, 0x600, v0
	v_cndmask_b32_e32 v2, v3, v2, vcc
	v_lshlrev_b32_e32 v2, 2, v2
	ds_write_b32 v2, v33
	v_sub_u32_e32 v2, v10, v56
	v_sub_u32_e32 v3, v17, v2
	v_add_u32_e32 v3, 8, v3
	v_cmp_eq_u32_e32 vcc, 1, v4
	v_and_b32_e32 v4, 1, v45
	v_or_b32_e32 v32, 0x1000, v0
	;; [unrolled: 9-line block ×7, first 2 shown]
	v_cndmask_b32_e32 v2, v3, v2, vcc
	v_lshlrev_b32_e32 v2, 2, v2
	ds_write_b32 v2, v27
	v_sub_u32_e32 v2, v16, v56
	v_sub_u32_e32 v3, v17, v2
	v_add_u32_e32 v3, 14, v3
	v_cmp_eq_u32_e32 vcc, 1, v4
	v_or_b32_e32 v16, 0x1600, v0
	v_or_b32_e32 v10, 0x1a00, v0
	v_cndmask_b32_e32 v2, v3, v2, vcc
	v_lshlrev_b32_e32 v2, 2, v2
	ds_write_b32 v2, v1
	s_waitcnt lgkmcnt(0)
	s_barrier
	ds_read2st64_b32 v[52:53], v22 offset1:8
	ds_read2st64_b32 v[46:47], v22 offset0:16 offset1:24
	ds_read2st64_b32 v[40:41], v22 offset0:32 offset1:40
	;; [unrolled: 1-line block ×6, first 2 shown]
	ds_read_b32 v22, v22 offset:28672
	v_mov_b32_e32 v1, 0
	v_sub_co_u32_e32 v6, vcc, s34, v6
	v_mov_b32_e32 v57, v1
	v_mov_b32_e32 v25, v1
	v_subb_co_u32_e32 v7, vcc, v18, v7, vcc
	s_waitcnt vmcnt(0)
	v_lshl_add_u64 v[2:3], v[20:21], 0, v[56:57]
	v_lshl_add_u64 v[6:7], v[6:7], 0, v[24:25]
	v_mov_b32_e32 v55, v1
	v_mov_b32_e32 v51, v1
	;; [unrolled: 1-line block ×13, first 2 shown]
	v_or_b32_e32 v4, 0x1c00, v0
	v_mov_b32_e32 v5, v1
	s_and_b64 vcc, exec, s[2:3]
	v_lshl_add_u64 v[6:7], v[6:7], 0, v[2:3]
	s_cbranch_vccnz .LBB944_144
; %bb.80:
	v_cmp_ge_u32_e32 vcc, v0, v24
                                        ; implicit-def: $vgpr18_vgpr19
	s_and_saveexec_b64 s[0:1], vcc
	s_xor_b64 s[0:1], exec, s[0:1]
; %bb.81:
	v_not_b32_e32 v18, v0
	v_ashrrev_i32_e32 v19, 31, v18
	v_lshl_add_u64 v[18:19], v[6:7], 0, v[18:19]
; %bb.82:
	s_andn2_saveexec_b64 s[0:1], s[0:1]
; %bb.83:
	v_lshl_add_u64 v[18:19], v[2:3], 0, v[0:1]
; %bb.84:
	s_or_b64 exec, exec, s[0:1]
	v_lshl_add_u64 v[18:19], v[18:19], 2, s[22:23]
	v_cmp_ge_u32_e32 vcc, v54, v24
	s_waitcnt lgkmcnt(7)
	global_store_dword v[18:19], v52, off
                                        ; implicit-def: $vgpr18_vgpr19
	s_and_saveexec_b64 s[0:1], vcc
	s_xor_b64 s[0:1], exec, s[0:1]
; %bb.85:
	v_xor_b32_e32 v18, 0xfffffdff, v0
	v_ashrrev_i32_e32 v19, 31, v18
	v_lshl_add_u64 v[18:19], v[6:7], 0, v[18:19]
; %bb.86:
	s_andn2_saveexec_b64 s[0:1], s[0:1]
; %bb.87:
	v_lshl_add_u64 v[18:19], v[2:3], 0, v[54:55]
; %bb.88:
	s_or_b64 exec, exec, s[0:1]
	v_lshl_add_u64 v[18:19], v[18:19], 2, s[22:23]
	v_cmp_ge_u32_e32 vcc, v50, v24
	global_store_dword v[18:19], v53, off
                                        ; implicit-def: $vgpr18_vgpr19
	s_and_saveexec_b64 s[0:1], vcc
	s_xor_b64 s[0:1], exec, s[0:1]
; %bb.89:
	v_xor_b32_e32 v18, 0xfffffbff, v0
	v_ashrrev_i32_e32 v19, 31, v18
	v_lshl_add_u64 v[18:19], v[6:7], 0, v[18:19]
; %bb.90:
	s_andn2_saveexec_b64 s[0:1], s[0:1]
; %bb.91:
	v_lshl_add_u64 v[18:19], v[2:3], 0, v[50:51]
; %bb.92:
	s_or_b64 exec, exec, s[0:1]
	v_lshl_add_u64 v[18:19], v[18:19], 2, s[22:23]
	v_cmp_ge_u32_e32 vcc, v48, v24
	s_waitcnt lgkmcnt(6)
	global_store_dword v[18:19], v46, off
                                        ; implicit-def: $vgpr18_vgpr19
	s_and_saveexec_b64 s[0:1], vcc
	s_xor_b64 s[0:1], exec, s[0:1]
; %bb.93:
	v_xor_b32_e32 v18, 0xfffff9ff, v0
	v_ashrrev_i32_e32 v19, 31, v18
	v_lshl_add_u64 v[18:19], v[6:7], 0, v[18:19]
; %bb.94:
	s_andn2_saveexec_b64 s[0:1], s[0:1]
; %bb.95:
	v_lshl_add_u64 v[18:19], v[2:3], 0, v[48:49]
; %bb.96:
	s_or_b64 exec, exec, s[0:1]
	v_lshl_add_u64 v[18:19], v[18:19], 2, s[22:23]
	v_cmp_ge_u32_e32 vcc, v44, v24
	global_store_dword v[18:19], v47, off
                                        ; implicit-def: $vgpr18_vgpr19
	s_and_saveexec_b64 s[0:1], vcc
	s_xor_b64 s[0:1], exec, s[0:1]
; %bb.97:
	v_xor_b32_e32 v18, 0xfffff7ff, v0
	;; [unrolled: 33-line block ×7, first 2 shown]
	v_ashrrev_i32_e32 v19, 31, v18
	v_lshl_add_u64 v[18:19], v[6:7], 0, v[18:19]
; %bb.138:
	s_andn2_saveexec_b64 s[0:1], s[0:1]
; %bb.139:
	v_lshl_add_u64 v[18:19], v[2:3], 0, v[4:5]
; %bb.140:
	s_or_b64 exec, exec, s[0:1]
	s_mov_b64 s[0:1], -1
.LBB944_141:
	s_and_saveexec_b64 s[2:3], s[0:1]
	s_cbranch_execz .LBB944_236
.LBB944_142:
	v_lshl_add_u64 v[0:1], v[18:19], 2, s[22:23]
	s_waitcnt lgkmcnt(0)
	global_store_dword v[0:1], v22, off
	s_or_b64 exec, exec, s[2:3]
	s_and_b64 s[0:1], s[20:21], s[26:27]
	s_and_saveexec_b64 s[2:3], s[0:1]
	s_cbranch_execnz .LBB944_237
.LBB944_143:
	s_endpgm
.LBB944_144:
	s_mov_b64 s[0:1], 0
                                        ; implicit-def: $vgpr18_vgpr19
	s_cbranch_execz .LBB944_141
; %bb.145:
	v_cmp_gt_u32_e32 vcc, s33, v0
	s_and_saveexec_b64 s[2:3], vcc
	s_cbranch_execz .LBB944_187
; %bb.146:
	v_cmp_ge_u32_e32 vcc, v0, v24
                                        ; implicit-def: $vgpr18_vgpr19
	s_and_saveexec_b64 s[4:5], vcc
	s_xor_b64 s[4:5], exec, s[4:5]
; %bb.147:
	v_not_b32_e32 v18, v0
	v_ashrrev_i32_e32 v19, 31, v18
	v_lshl_add_u64 v[18:19], v[6:7], 0, v[18:19]
; %bb.148:
	s_andn2_saveexec_b64 s[4:5], s[4:5]
; %bb.149:
	v_lshl_add_u64 v[18:19], v[2:3], 0, v[0:1]
; %bb.150:
	s_or_b64 exec, exec, s[4:5]
	v_lshl_add_u64 v[18:19], v[18:19], 2, s[22:23]
	s_waitcnt lgkmcnt(7)
	global_store_dword v[18:19], v52, off
	s_or_b64 exec, exec, s[2:3]
	v_cmp_gt_u32_e32 vcc, s33, v54
	s_and_saveexec_b64 s[2:3], vcc
	s_cbranch_execnz .LBB944_188
.LBB944_151:
	s_or_b64 exec, exec, s[2:3]
	v_cmp_gt_u32_e32 vcc, s33, v50
	s_and_saveexec_b64 s[2:3], vcc
	s_cbranch_execz .LBB944_193
.LBB944_152:
	v_cmp_ge_u32_e32 vcc, v50, v24
                                        ; implicit-def: $vgpr18_vgpr19
	s_and_saveexec_b64 s[4:5], vcc
	s_xor_b64 s[4:5], exec, s[4:5]
; %bb.153:
	v_xor_b32_e32 v18, 0xfffffbff, v0
	v_ashrrev_i32_e32 v19, 31, v18
	v_lshl_add_u64 v[18:19], v[6:7], 0, v[18:19]
                                        ; implicit-def: $vgpr50_vgpr51
; %bb.154:
	s_andn2_saveexec_b64 s[4:5], s[4:5]
; %bb.155:
	v_lshl_add_u64 v[18:19], v[2:3], 0, v[50:51]
; %bb.156:
	s_or_b64 exec, exec, s[4:5]
	v_lshl_add_u64 v[18:19], v[18:19], 2, s[22:23]
	s_waitcnt lgkmcnt(6)
	global_store_dword v[18:19], v46, off
	s_or_b64 exec, exec, s[2:3]
	v_cmp_gt_u32_e32 vcc, s33, v48
	s_and_saveexec_b64 s[2:3], vcc
	s_cbranch_execnz .LBB944_194
.LBB944_157:
	s_or_b64 exec, exec, s[2:3]
	v_cmp_gt_u32_e32 vcc, s33, v44
	s_and_saveexec_b64 s[2:3], vcc
	s_cbranch_execz .LBB944_199
.LBB944_158:
	v_cmp_ge_u32_e32 vcc, v44, v24
                                        ; implicit-def: $vgpr18_vgpr19
	s_and_saveexec_b64 s[4:5], vcc
	s_xor_b64 s[4:5], exec, s[4:5]
; %bb.159:
	v_xor_b32_e32 v18, 0xfffff7ff, v0
	v_ashrrev_i32_e32 v19, 31, v18
	v_lshl_add_u64 v[18:19], v[6:7], 0, v[18:19]
                                        ; implicit-def: $vgpr44_vgpr45
; %bb.160:
	s_andn2_saveexec_b64 s[4:5], s[4:5]
; %bb.161:
	v_lshl_add_u64 v[18:19], v[2:3], 0, v[44:45]
; %bb.162:
	s_or_b64 exec, exec, s[4:5]
	v_lshl_add_u64 v[18:19], v[18:19], 2, s[22:23]
	s_waitcnt lgkmcnt(5)
	global_store_dword v[18:19], v40, off
	s_or_b64 exec, exec, s[2:3]
	v_cmp_gt_u32_e32 vcc, s33, v42
	s_and_saveexec_b64 s[2:3], vcc
	s_cbranch_execnz .LBB944_200
.LBB944_163:
	s_or_b64 exec, exec, s[2:3]
	v_cmp_gt_u32_e32 vcc, s33, v38
	s_and_saveexec_b64 s[2:3], vcc
	s_cbranch_execz .LBB944_205
.LBB944_164:
	v_cmp_ge_u32_e32 vcc, v38, v24
                                        ; implicit-def: $vgpr18_vgpr19
	s_and_saveexec_b64 s[4:5], vcc
	s_xor_b64 s[4:5], exec, s[4:5]
; %bb.165:
	v_xor_b32_e32 v18, 0xfffff3ff, v0
	v_ashrrev_i32_e32 v19, 31, v18
	v_lshl_add_u64 v[18:19], v[6:7], 0, v[18:19]
                                        ; implicit-def: $vgpr38_vgpr39
; %bb.166:
	s_andn2_saveexec_b64 s[4:5], s[4:5]
; %bb.167:
	v_lshl_add_u64 v[18:19], v[2:3], 0, v[38:39]
; %bb.168:
	s_or_b64 exec, exec, s[4:5]
	v_lshl_add_u64 v[18:19], v[18:19], 2, s[22:23]
	s_waitcnt lgkmcnt(4)
	global_store_dword v[18:19], v34, off
	s_or_b64 exec, exec, s[2:3]
	v_cmp_gt_u32_e32 vcc, s33, v36
	s_and_saveexec_b64 s[2:3], vcc
	s_cbranch_execnz .LBB944_206
.LBB944_169:
	s_or_b64 exec, exec, s[2:3]
	v_cmp_gt_u32_e32 vcc, s33, v32
	s_and_saveexec_b64 s[2:3], vcc
	s_cbranch_execz .LBB944_211
.LBB944_170:
	v_cmp_ge_u32_e32 vcc, v32, v24
                                        ; implicit-def: $vgpr18_vgpr19
	s_and_saveexec_b64 s[4:5], vcc
	s_xor_b64 s[4:5], exec, s[4:5]
; %bb.171:
	v_xor_b32_e32 v18, 0xffffefff, v0
	v_ashrrev_i32_e32 v19, 31, v18
	v_lshl_add_u64 v[18:19], v[6:7], 0, v[18:19]
                                        ; implicit-def: $vgpr32_vgpr33
; %bb.172:
	s_andn2_saveexec_b64 s[4:5], s[4:5]
; %bb.173:
	v_lshl_add_u64 v[18:19], v[2:3], 0, v[32:33]
; %bb.174:
	s_or_b64 exec, exec, s[4:5]
	v_lshl_add_u64 v[18:19], v[18:19], 2, s[22:23]
	s_waitcnt lgkmcnt(3)
	global_store_dword v[18:19], v28, off
	s_or_b64 exec, exec, s[2:3]
	v_cmp_gt_u32_e32 vcc, s33, v30
	s_and_saveexec_b64 s[2:3], vcc
	s_cbranch_execnz .LBB944_212
.LBB944_175:
	s_or_b64 exec, exec, s[2:3]
	v_cmp_gt_u32_e32 vcc, s33, v26
	s_and_saveexec_b64 s[2:3], vcc
	s_cbranch_execz .LBB944_217
.LBB944_176:
	v_cmp_ge_u32_e32 vcc, v26, v24
                                        ; implicit-def: $vgpr18_vgpr19
	s_and_saveexec_b64 s[4:5], vcc
	s_xor_b64 s[4:5], exec, s[4:5]
; %bb.177:
	v_xor_b32_e32 v18, 0xffffebff, v0
	v_ashrrev_i32_e32 v19, 31, v18
	v_lshl_add_u64 v[18:19], v[6:7], 0, v[18:19]
                                        ; implicit-def: $vgpr26_vgpr27
; %bb.178:
	s_andn2_saveexec_b64 s[4:5], s[4:5]
; %bb.179:
	v_lshl_add_u64 v[18:19], v[2:3], 0, v[26:27]
; %bb.180:
	s_or_b64 exec, exec, s[4:5]
	v_lshl_add_u64 v[18:19], v[18:19], 2, s[22:23]
	s_waitcnt lgkmcnt(2)
	global_store_dword v[18:19], v14, off
	s_or_b64 exec, exec, s[2:3]
	v_cmp_gt_u32_e32 vcc, s33, v16
	s_and_saveexec_b64 s[2:3], vcc
	s_cbranch_execnz .LBB944_218
.LBB944_181:
	s_or_b64 exec, exec, s[2:3]
	v_cmp_gt_u32_e32 vcc, s33, v12
	s_and_saveexec_b64 s[2:3], vcc
	s_cbranch_execz .LBB944_223
.LBB944_182:
	v_cmp_ge_u32_e32 vcc, v12, v24
                                        ; implicit-def: $vgpr14_vgpr15
	s_and_saveexec_b64 s[4:5], vcc
	s_xor_b64 s[4:5], exec, s[4:5]
	s_cbranch_execz .LBB944_184
; %bb.183:
	v_xor_b32_e32 v12, 0xffffe7ff, v0
	v_ashrrev_i32_e32 v13, 31, v12
	s_waitcnt lgkmcnt(2)
	v_lshl_add_u64 v[14:15], v[6:7], 0, v[12:13]
                                        ; implicit-def: $vgpr12_vgpr13
.LBB944_184:
	s_andn2_saveexec_b64 s[4:5], s[4:5]
	s_cbranch_execz .LBB944_186
; %bb.185:
	s_waitcnt lgkmcnt(2)
	v_lshl_add_u64 v[14:15], v[2:3], 0, v[12:13]
.LBB944_186:
	s_or_b64 exec, exec, s[4:5]
	s_waitcnt lgkmcnt(2)
	v_lshl_add_u64 v[12:13], v[14:15], 2, s[22:23]
	s_waitcnt lgkmcnt(1)
	global_store_dword v[12:13], v8, off
	s_or_b64 exec, exec, s[2:3]
	v_cmp_gt_u32_e32 vcc, s33, v10
	s_and_saveexec_b64 s[2:3], vcc
	s_cbranch_execz .LBB944_229
	s_branch .LBB944_224
.LBB944_187:
	s_or_b64 exec, exec, s[2:3]
	v_cmp_gt_u32_e32 vcc, s33, v54
	s_and_saveexec_b64 s[2:3], vcc
	s_cbranch_execz .LBB944_151
.LBB944_188:
	v_cmp_ge_u32_e32 vcc, v54, v24
                                        ; implicit-def: $vgpr18_vgpr19
	s_and_saveexec_b64 s[4:5], vcc
	s_xor_b64 s[4:5], exec, s[4:5]
; %bb.189:
	v_xor_b32_e32 v18, 0xfffffdff, v0
	v_ashrrev_i32_e32 v19, 31, v18
	v_lshl_add_u64 v[18:19], v[6:7], 0, v[18:19]
                                        ; implicit-def: $vgpr54_vgpr55
; %bb.190:
	s_andn2_saveexec_b64 s[4:5], s[4:5]
; %bb.191:
	v_lshl_add_u64 v[18:19], v[2:3], 0, v[54:55]
; %bb.192:
	s_or_b64 exec, exec, s[4:5]
	v_lshl_add_u64 v[18:19], v[18:19], 2, s[22:23]
	s_waitcnt lgkmcnt(7)
	global_store_dword v[18:19], v53, off
	s_or_b64 exec, exec, s[2:3]
	v_cmp_gt_u32_e32 vcc, s33, v50
	s_and_saveexec_b64 s[2:3], vcc
	s_cbranch_execnz .LBB944_152
.LBB944_193:
	s_or_b64 exec, exec, s[2:3]
	v_cmp_gt_u32_e32 vcc, s33, v48
	s_and_saveexec_b64 s[2:3], vcc
	s_cbranch_execz .LBB944_157
.LBB944_194:
	v_cmp_ge_u32_e32 vcc, v48, v24
                                        ; implicit-def: $vgpr18_vgpr19
	s_and_saveexec_b64 s[4:5], vcc
	s_xor_b64 s[4:5], exec, s[4:5]
; %bb.195:
	v_xor_b32_e32 v18, 0xfffff9ff, v0
	v_ashrrev_i32_e32 v19, 31, v18
	v_lshl_add_u64 v[18:19], v[6:7], 0, v[18:19]
                                        ; implicit-def: $vgpr48_vgpr49
; %bb.196:
	s_andn2_saveexec_b64 s[4:5], s[4:5]
; %bb.197:
	v_lshl_add_u64 v[18:19], v[2:3], 0, v[48:49]
; %bb.198:
	s_or_b64 exec, exec, s[4:5]
	v_lshl_add_u64 v[18:19], v[18:19], 2, s[22:23]
	s_waitcnt lgkmcnt(6)
	global_store_dword v[18:19], v47, off
	s_or_b64 exec, exec, s[2:3]
	v_cmp_gt_u32_e32 vcc, s33, v44
	s_and_saveexec_b64 s[2:3], vcc
	s_cbranch_execnz .LBB944_158
.LBB944_199:
	s_or_b64 exec, exec, s[2:3]
	v_cmp_gt_u32_e32 vcc, s33, v42
	s_and_saveexec_b64 s[2:3], vcc
	s_cbranch_execz .LBB944_163
.LBB944_200:
	v_cmp_ge_u32_e32 vcc, v42, v24
                                        ; implicit-def: $vgpr18_vgpr19
	s_and_saveexec_b64 s[4:5], vcc
	s_xor_b64 s[4:5], exec, s[4:5]
; %bb.201:
	v_xor_b32_e32 v18, 0xfffff5ff, v0
	v_ashrrev_i32_e32 v19, 31, v18
	v_lshl_add_u64 v[18:19], v[6:7], 0, v[18:19]
                                        ; implicit-def: $vgpr42_vgpr43
; %bb.202:
	s_andn2_saveexec_b64 s[4:5], s[4:5]
; %bb.203:
	v_lshl_add_u64 v[18:19], v[2:3], 0, v[42:43]
; %bb.204:
	s_or_b64 exec, exec, s[4:5]
	v_lshl_add_u64 v[18:19], v[18:19], 2, s[22:23]
	s_waitcnt lgkmcnt(5)
	global_store_dword v[18:19], v41, off
	s_or_b64 exec, exec, s[2:3]
	v_cmp_gt_u32_e32 vcc, s33, v38
	s_and_saveexec_b64 s[2:3], vcc
	s_cbranch_execnz .LBB944_164
.LBB944_205:
	s_or_b64 exec, exec, s[2:3]
	v_cmp_gt_u32_e32 vcc, s33, v36
	s_and_saveexec_b64 s[2:3], vcc
	s_cbranch_execz .LBB944_169
.LBB944_206:
	v_cmp_ge_u32_e32 vcc, v36, v24
                                        ; implicit-def: $vgpr18_vgpr19
	s_and_saveexec_b64 s[4:5], vcc
	s_xor_b64 s[4:5], exec, s[4:5]
; %bb.207:
	v_xor_b32_e32 v18, 0xfffff1ff, v0
	v_ashrrev_i32_e32 v19, 31, v18
	v_lshl_add_u64 v[18:19], v[6:7], 0, v[18:19]
                                        ; implicit-def: $vgpr36_vgpr37
; %bb.208:
	s_andn2_saveexec_b64 s[4:5], s[4:5]
; %bb.209:
	v_lshl_add_u64 v[18:19], v[2:3], 0, v[36:37]
; %bb.210:
	s_or_b64 exec, exec, s[4:5]
	v_lshl_add_u64 v[18:19], v[18:19], 2, s[22:23]
	s_waitcnt lgkmcnt(4)
	global_store_dword v[18:19], v35, off
	s_or_b64 exec, exec, s[2:3]
	v_cmp_gt_u32_e32 vcc, s33, v32
	s_and_saveexec_b64 s[2:3], vcc
	s_cbranch_execnz .LBB944_170
.LBB944_211:
	s_or_b64 exec, exec, s[2:3]
	v_cmp_gt_u32_e32 vcc, s33, v30
	s_and_saveexec_b64 s[2:3], vcc
	s_cbranch_execz .LBB944_175
.LBB944_212:
	v_cmp_ge_u32_e32 vcc, v30, v24
                                        ; implicit-def: $vgpr18_vgpr19
	s_and_saveexec_b64 s[4:5], vcc
	s_xor_b64 s[4:5], exec, s[4:5]
; %bb.213:
	v_xor_b32_e32 v18, 0xffffedff, v0
	v_ashrrev_i32_e32 v19, 31, v18
	v_lshl_add_u64 v[18:19], v[6:7], 0, v[18:19]
                                        ; implicit-def: $vgpr30_vgpr31
; %bb.214:
	s_andn2_saveexec_b64 s[4:5], s[4:5]
; %bb.215:
	v_lshl_add_u64 v[18:19], v[2:3], 0, v[30:31]
; %bb.216:
	s_or_b64 exec, exec, s[4:5]
	v_lshl_add_u64 v[18:19], v[18:19], 2, s[22:23]
	s_waitcnt lgkmcnt(3)
	global_store_dword v[18:19], v29, off
	s_or_b64 exec, exec, s[2:3]
	v_cmp_gt_u32_e32 vcc, s33, v26
	s_and_saveexec_b64 s[2:3], vcc
	s_cbranch_execnz .LBB944_176
.LBB944_217:
	s_or_b64 exec, exec, s[2:3]
	v_cmp_gt_u32_e32 vcc, s33, v16
	s_and_saveexec_b64 s[2:3], vcc
	s_cbranch_execz .LBB944_181
.LBB944_218:
	v_cmp_ge_u32_e32 vcc, v16, v24
                                        ; implicit-def: $vgpr18_vgpr19
	s_and_saveexec_b64 s[4:5], vcc
	s_xor_b64 s[4:5], exec, s[4:5]
; %bb.219:
	v_xor_b32_e32 v16, 0xffffe9ff, v0
	v_ashrrev_i32_e32 v17, 31, v16
	v_lshl_add_u64 v[18:19], v[6:7], 0, v[16:17]
                                        ; implicit-def: $vgpr16_vgpr17
; %bb.220:
	s_andn2_saveexec_b64 s[4:5], s[4:5]
; %bb.221:
	v_lshl_add_u64 v[18:19], v[2:3], 0, v[16:17]
; %bb.222:
	s_or_b64 exec, exec, s[4:5]
	v_lshl_add_u64 v[16:17], v[18:19], 2, s[22:23]
	s_waitcnt lgkmcnt(2)
	global_store_dword v[16:17], v15, off
	s_or_b64 exec, exec, s[2:3]
	v_cmp_gt_u32_e32 vcc, s33, v12
	s_and_saveexec_b64 s[2:3], vcc
	s_cbranch_execnz .LBB944_182
.LBB944_223:
	s_or_b64 exec, exec, s[2:3]
	v_cmp_gt_u32_e32 vcc, s33, v10
	s_and_saveexec_b64 s[2:3], vcc
	s_cbranch_execz .LBB944_229
.LBB944_224:
	v_cmp_ge_u32_e32 vcc, v10, v24
                                        ; implicit-def: $vgpr12_vgpr13
	s_and_saveexec_b64 s[4:5], vcc
	s_xor_b64 s[4:5], exec, s[4:5]
; %bb.225:
	v_xor_b32_e32 v10, 0xffffe5ff, v0
	v_ashrrev_i32_e32 v11, 31, v10
	v_lshl_add_u64 v[12:13], v[6:7], 0, v[10:11]
                                        ; implicit-def: $vgpr10_vgpr11
; %bb.226:
	s_andn2_saveexec_b64 s[4:5], s[4:5]
; %bb.227:
	v_lshl_add_u64 v[12:13], v[2:3], 0, v[10:11]
; %bb.228:
	s_or_b64 exec, exec, s[4:5]
	v_lshl_add_u64 v[10:11], v[12:13], 2, s[22:23]
	s_waitcnt lgkmcnt(1)
	global_store_dword v[10:11], v9, off
.LBB944_229:
	s_or_b64 exec, exec, s[2:3]
	v_cmp_gt_u32_e32 vcc, s33, v4
                                        ; implicit-def: $vgpr18_vgpr19
	s_and_saveexec_b64 s[2:3], vcc
	s_cbranch_execz .LBB944_235
; %bb.230:
	v_cmp_ge_u32_e32 vcc, v4, v24
                                        ; implicit-def: $vgpr18_vgpr19
	s_and_saveexec_b64 s[4:5], vcc
	s_xor_b64 s[4:5], exec, s[4:5]
; %bb.231:
	v_xor_b32_e32 v0, 0xffffe3ff, v0
	v_ashrrev_i32_e32 v1, 31, v0
	v_lshl_add_u64 v[18:19], v[6:7], 0, v[0:1]
                                        ; implicit-def: $vgpr4_vgpr5
; %bb.232:
	s_andn2_saveexec_b64 s[4:5], s[4:5]
; %bb.233:
	v_lshl_add_u64 v[18:19], v[2:3], 0, v[4:5]
; %bb.234:
	s_or_b64 exec, exec, s[4:5]
	s_or_b64 s[0:1], s[0:1], exec
.LBB944_235:
	s_or_b64 exec, exec, s[2:3]
	s_and_saveexec_b64 s[2:3], s[0:1]
	s_cbranch_execnz .LBB944_142
.LBB944_236:
	s_or_b64 exec, exec, s[2:3]
	s_and_b64 s[0:1], s[20:21], s[26:27]
	s_and_saveexec_b64 s[2:3], s[0:1]
	s_cbranch_execz .LBB944_143
.LBB944_237:
	v_mov_b32_e32 v4, 0
	v_lshl_add_u64 v[0:1], v[2:3], 0, v[24:25]
	global_store_dwordx2 v4, v[0:1], s[24:25]
	s_endpgm
	.section	.rodata,"a",@progbits
	.p2align	6, 0x0
	.amdhsa_kernel _ZN7rocprim17ROCPRIM_400000_NS6detail17trampoline_kernelINS0_14default_configENS1_25partition_config_selectorILNS1_17partition_subalgoE3EjNS0_10empty_typeEbEEZZNS1_14partition_implILS5_3ELb0ES3_jN6thrust23THRUST_200600_302600_NS6detail15normal_iteratorINSA_7pointerIjNSA_11hip_rocprim3tagENSA_11use_defaultESG_EEEEPS6_SJ_NS0_5tupleIJPjSJ_EEENSK_IJSJ_SJ_EEES6_PlJ7is_evenIjEEEE10hipError_tPvRmT3_T4_T5_T6_T7_T9_mT8_P12ihipStream_tbDpT10_ENKUlT_T0_E_clISt17integral_constantIbLb0EES19_IbLb1EEEEDaS15_S16_EUlS15_E_NS1_11comp_targetILNS1_3genE5ELNS1_11target_archE942ELNS1_3gpuE9ELNS1_3repE0EEENS1_30default_config_static_selectorELNS0_4arch9wavefront6targetE1EEEvT1_
		.amdhsa_group_segment_fixed_size 30728
		.amdhsa_private_segment_fixed_size 0
		.amdhsa_kernarg_size 136
		.amdhsa_user_sgpr_count 2
		.amdhsa_user_sgpr_dispatch_ptr 0
		.amdhsa_user_sgpr_queue_ptr 0
		.amdhsa_user_sgpr_kernarg_segment_ptr 1
		.amdhsa_user_sgpr_dispatch_id 0
		.amdhsa_user_sgpr_kernarg_preload_length 0
		.amdhsa_user_sgpr_kernarg_preload_offset 0
		.amdhsa_user_sgpr_private_segment_size 0
		.amdhsa_uses_dynamic_stack 0
		.amdhsa_enable_private_segment 0
		.amdhsa_system_sgpr_workgroup_id_x 1
		.amdhsa_system_sgpr_workgroup_id_y 0
		.amdhsa_system_sgpr_workgroup_id_z 0
		.amdhsa_system_sgpr_workgroup_info 0
		.amdhsa_system_vgpr_workitem_id 0
		.amdhsa_next_free_vgpr 80
		.amdhsa_next_free_sgpr 44
		.amdhsa_accum_offset 80
		.amdhsa_reserve_vcc 1
		.amdhsa_float_round_mode_32 0
		.amdhsa_float_round_mode_16_64 0
		.amdhsa_float_denorm_mode_32 3
		.amdhsa_float_denorm_mode_16_64 3
		.amdhsa_dx10_clamp 1
		.amdhsa_ieee_mode 1
		.amdhsa_fp16_overflow 0
		.amdhsa_tg_split 0
		.amdhsa_exception_fp_ieee_invalid_op 0
		.amdhsa_exception_fp_denorm_src 0
		.amdhsa_exception_fp_ieee_div_zero 0
		.amdhsa_exception_fp_ieee_overflow 0
		.amdhsa_exception_fp_ieee_underflow 0
		.amdhsa_exception_fp_ieee_inexact 0
		.amdhsa_exception_int_div_zero 0
	.end_amdhsa_kernel
	.section	.text._ZN7rocprim17ROCPRIM_400000_NS6detail17trampoline_kernelINS0_14default_configENS1_25partition_config_selectorILNS1_17partition_subalgoE3EjNS0_10empty_typeEbEEZZNS1_14partition_implILS5_3ELb0ES3_jN6thrust23THRUST_200600_302600_NS6detail15normal_iteratorINSA_7pointerIjNSA_11hip_rocprim3tagENSA_11use_defaultESG_EEEEPS6_SJ_NS0_5tupleIJPjSJ_EEENSK_IJSJ_SJ_EEES6_PlJ7is_evenIjEEEE10hipError_tPvRmT3_T4_T5_T6_T7_T9_mT8_P12ihipStream_tbDpT10_ENKUlT_T0_E_clISt17integral_constantIbLb0EES19_IbLb1EEEEDaS15_S16_EUlS15_E_NS1_11comp_targetILNS1_3genE5ELNS1_11target_archE942ELNS1_3gpuE9ELNS1_3repE0EEENS1_30default_config_static_selectorELNS0_4arch9wavefront6targetE1EEEvT1_,"axG",@progbits,_ZN7rocprim17ROCPRIM_400000_NS6detail17trampoline_kernelINS0_14default_configENS1_25partition_config_selectorILNS1_17partition_subalgoE3EjNS0_10empty_typeEbEEZZNS1_14partition_implILS5_3ELb0ES3_jN6thrust23THRUST_200600_302600_NS6detail15normal_iteratorINSA_7pointerIjNSA_11hip_rocprim3tagENSA_11use_defaultESG_EEEEPS6_SJ_NS0_5tupleIJPjSJ_EEENSK_IJSJ_SJ_EEES6_PlJ7is_evenIjEEEE10hipError_tPvRmT3_T4_T5_T6_T7_T9_mT8_P12ihipStream_tbDpT10_ENKUlT_T0_E_clISt17integral_constantIbLb0EES19_IbLb1EEEEDaS15_S16_EUlS15_E_NS1_11comp_targetILNS1_3genE5ELNS1_11target_archE942ELNS1_3gpuE9ELNS1_3repE0EEENS1_30default_config_static_selectorELNS0_4arch9wavefront6targetE1EEEvT1_,comdat
.Lfunc_end944:
	.size	_ZN7rocprim17ROCPRIM_400000_NS6detail17trampoline_kernelINS0_14default_configENS1_25partition_config_selectorILNS1_17partition_subalgoE3EjNS0_10empty_typeEbEEZZNS1_14partition_implILS5_3ELb0ES3_jN6thrust23THRUST_200600_302600_NS6detail15normal_iteratorINSA_7pointerIjNSA_11hip_rocprim3tagENSA_11use_defaultESG_EEEEPS6_SJ_NS0_5tupleIJPjSJ_EEENSK_IJSJ_SJ_EEES6_PlJ7is_evenIjEEEE10hipError_tPvRmT3_T4_T5_T6_T7_T9_mT8_P12ihipStream_tbDpT10_ENKUlT_T0_E_clISt17integral_constantIbLb0EES19_IbLb1EEEEDaS15_S16_EUlS15_E_NS1_11comp_targetILNS1_3genE5ELNS1_11target_archE942ELNS1_3gpuE9ELNS1_3repE0EEENS1_30default_config_static_selectorELNS0_4arch9wavefront6targetE1EEEvT1_, .Lfunc_end944-_ZN7rocprim17ROCPRIM_400000_NS6detail17trampoline_kernelINS0_14default_configENS1_25partition_config_selectorILNS1_17partition_subalgoE3EjNS0_10empty_typeEbEEZZNS1_14partition_implILS5_3ELb0ES3_jN6thrust23THRUST_200600_302600_NS6detail15normal_iteratorINSA_7pointerIjNSA_11hip_rocprim3tagENSA_11use_defaultESG_EEEEPS6_SJ_NS0_5tupleIJPjSJ_EEENSK_IJSJ_SJ_EEES6_PlJ7is_evenIjEEEE10hipError_tPvRmT3_T4_T5_T6_T7_T9_mT8_P12ihipStream_tbDpT10_ENKUlT_T0_E_clISt17integral_constantIbLb0EES19_IbLb1EEEEDaS15_S16_EUlS15_E_NS1_11comp_targetILNS1_3genE5ELNS1_11target_archE942ELNS1_3gpuE9ELNS1_3repE0EEENS1_30default_config_static_selectorELNS0_4arch9wavefront6targetE1EEEvT1_
                                        ; -- End function
	.section	.AMDGPU.csdata,"",@progbits
; Kernel info:
; codeLenInByte = 7672
; NumSgprs: 50
; NumVgprs: 80
; NumAgprs: 0
; TotalNumVgprs: 80
; ScratchSize: 0
; MemoryBound: 0
; FloatMode: 240
; IeeeMode: 1
; LDSByteSize: 30728 bytes/workgroup (compile time only)
; SGPRBlocks: 6
; VGPRBlocks: 9
; NumSGPRsForWavesPerEU: 50
; NumVGPRsForWavesPerEU: 80
; AccumOffset: 80
; Occupancy: 4
; WaveLimiterHint : 1
; COMPUTE_PGM_RSRC2:SCRATCH_EN: 0
; COMPUTE_PGM_RSRC2:USER_SGPR: 2
; COMPUTE_PGM_RSRC2:TRAP_HANDLER: 0
; COMPUTE_PGM_RSRC2:TGID_X_EN: 1
; COMPUTE_PGM_RSRC2:TGID_Y_EN: 0
; COMPUTE_PGM_RSRC2:TGID_Z_EN: 0
; COMPUTE_PGM_RSRC2:TIDIG_COMP_CNT: 0
; COMPUTE_PGM_RSRC3_GFX90A:ACCUM_OFFSET: 19
; COMPUTE_PGM_RSRC3_GFX90A:TG_SPLIT: 0
	.section	.text._ZN7rocprim17ROCPRIM_400000_NS6detail17trampoline_kernelINS0_14default_configENS1_25partition_config_selectorILNS1_17partition_subalgoE3EjNS0_10empty_typeEbEEZZNS1_14partition_implILS5_3ELb0ES3_jN6thrust23THRUST_200600_302600_NS6detail15normal_iteratorINSA_7pointerIjNSA_11hip_rocprim3tagENSA_11use_defaultESG_EEEEPS6_SJ_NS0_5tupleIJPjSJ_EEENSK_IJSJ_SJ_EEES6_PlJ7is_evenIjEEEE10hipError_tPvRmT3_T4_T5_T6_T7_T9_mT8_P12ihipStream_tbDpT10_ENKUlT_T0_E_clISt17integral_constantIbLb0EES19_IbLb1EEEEDaS15_S16_EUlS15_E_NS1_11comp_targetILNS1_3genE4ELNS1_11target_archE910ELNS1_3gpuE8ELNS1_3repE0EEENS1_30default_config_static_selectorELNS0_4arch9wavefront6targetE1EEEvT1_,"axG",@progbits,_ZN7rocprim17ROCPRIM_400000_NS6detail17trampoline_kernelINS0_14default_configENS1_25partition_config_selectorILNS1_17partition_subalgoE3EjNS0_10empty_typeEbEEZZNS1_14partition_implILS5_3ELb0ES3_jN6thrust23THRUST_200600_302600_NS6detail15normal_iteratorINSA_7pointerIjNSA_11hip_rocprim3tagENSA_11use_defaultESG_EEEEPS6_SJ_NS0_5tupleIJPjSJ_EEENSK_IJSJ_SJ_EEES6_PlJ7is_evenIjEEEE10hipError_tPvRmT3_T4_T5_T6_T7_T9_mT8_P12ihipStream_tbDpT10_ENKUlT_T0_E_clISt17integral_constantIbLb0EES19_IbLb1EEEEDaS15_S16_EUlS15_E_NS1_11comp_targetILNS1_3genE4ELNS1_11target_archE910ELNS1_3gpuE8ELNS1_3repE0EEENS1_30default_config_static_selectorELNS0_4arch9wavefront6targetE1EEEvT1_,comdat
	.protected	_ZN7rocprim17ROCPRIM_400000_NS6detail17trampoline_kernelINS0_14default_configENS1_25partition_config_selectorILNS1_17partition_subalgoE3EjNS0_10empty_typeEbEEZZNS1_14partition_implILS5_3ELb0ES3_jN6thrust23THRUST_200600_302600_NS6detail15normal_iteratorINSA_7pointerIjNSA_11hip_rocprim3tagENSA_11use_defaultESG_EEEEPS6_SJ_NS0_5tupleIJPjSJ_EEENSK_IJSJ_SJ_EEES6_PlJ7is_evenIjEEEE10hipError_tPvRmT3_T4_T5_T6_T7_T9_mT8_P12ihipStream_tbDpT10_ENKUlT_T0_E_clISt17integral_constantIbLb0EES19_IbLb1EEEEDaS15_S16_EUlS15_E_NS1_11comp_targetILNS1_3genE4ELNS1_11target_archE910ELNS1_3gpuE8ELNS1_3repE0EEENS1_30default_config_static_selectorELNS0_4arch9wavefront6targetE1EEEvT1_ ; -- Begin function _ZN7rocprim17ROCPRIM_400000_NS6detail17trampoline_kernelINS0_14default_configENS1_25partition_config_selectorILNS1_17partition_subalgoE3EjNS0_10empty_typeEbEEZZNS1_14partition_implILS5_3ELb0ES3_jN6thrust23THRUST_200600_302600_NS6detail15normal_iteratorINSA_7pointerIjNSA_11hip_rocprim3tagENSA_11use_defaultESG_EEEEPS6_SJ_NS0_5tupleIJPjSJ_EEENSK_IJSJ_SJ_EEES6_PlJ7is_evenIjEEEE10hipError_tPvRmT3_T4_T5_T6_T7_T9_mT8_P12ihipStream_tbDpT10_ENKUlT_T0_E_clISt17integral_constantIbLb0EES19_IbLb1EEEEDaS15_S16_EUlS15_E_NS1_11comp_targetILNS1_3genE4ELNS1_11target_archE910ELNS1_3gpuE8ELNS1_3repE0EEENS1_30default_config_static_selectorELNS0_4arch9wavefront6targetE1EEEvT1_
	.globl	_ZN7rocprim17ROCPRIM_400000_NS6detail17trampoline_kernelINS0_14default_configENS1_25partition_config_selectorILNS1_17partition_subalgoE3EjNS0_10empty_typeEbEEZZNS1_14partition_implILS5_3ELb0ES3_jN6thrust23THRUST_200600_302600_NS6detail15normal_iteratorINSA_7pointerIjNSA_11hip_rocprim3tagENSA_11use_defaultESG_EEEEPS6_SJ_NS0_5tupleIJPjSJ_EEENSK_IJSJ_SJ_EEES6_PlJ7is_evenIjEEEE10hipError_tPvRmT3_T4_T5_T6_T7_T9_mT8_P12ihipStream_tbDpT10_ENKUlT_T0_E_clISt17integral_constantIbLb0EES19_IbLb1EEEEDaS15_S16_EUlS15_E_NS1_11comp_targetILNS1_3genE4ELNS1_11target_archE910ELNS1_3gpuE8ELNS1_3repE0EEENS1_30default_config_static_selectorELNS0_4arch9wavefront6targetE1EEEvT1_
	.p2align	8
	.type	_ZN7rocprim17ROCPRIM_400000_NS6detail17trampoline_kernelINS0_14default_configENS1_25partition_config_selectorILNS1_17partition_subalgoE3EjNS0_10empty_typeEbEEZZNS1_14partition_implILS5_3ELb0ES3_jN6thrust23THRUST_200600_302600_NS6detail15normal_iteratorINSA_7pointerIjNSA_11hip_rocprim3tagENSA_11use_defaultESG_EEEEPS6_SJ_NS0_5tupleIJPjSJ_EEENSK_IJSJ_SJ_EEES6_PlJ7is_evenIjEEEE10hipError_tPvRmT3_T4_T5_T6_T7_T9_mT8_P12ihipStream_tbDpT10_ENKUlT_T0_E_clISt17integral_constantIbLb0EES19_IbLb1EEEEDaS15_S16_EUlS15_E_NS1_11comp_targetILNS1_3genE4ELNS1_11target_archE910ELNS1_3gpuE8ELNS1_3repE0EEENS1_30default_config_static_selectorELNS0_4arch9wavefront6targetE1EEEvT1_,@function
_ZN7rocprim17ROCPRIM_400000_NS6detail17trampoline_kernelINS0_14default_configENS1_25partition_config_selectorILNS1_17partition_subalgoE3EjNS0_10empty_typeEbEEZZNS1_14partition_implILS5_3ELb0ES3_jN6thrust23THRUST_200600_302600_NS6detail15normal_iteratorINSA_7pointerIjNSA_11hip_rocprim3tagENSA_11use_defaultESG_EEEEPS6_SJ_NS0_5tupleIJPjSJ_EEENSK_IJSJ_SJ_EEES6_PlJ7is_evenIjEEEE10hipError_tPvRmT3_T4_T5_T6_T7_T9_mT8_P12ihipStream_tbDpT10_ENKUlT_T0_E_clISt17integral_constantIbLb0EES19_IbLb1EEEEDaS15_S16_EUlS15_E_NS1_11comp_targetILNS1_3genE4ELNS1_11target_archE910ELNS1_3gpuE8ELNS1_3repE0EEENS1_30default_config_static_selectorELNS0_4arch9wavefront6targetE1EEEvT1_: ; @_ZN7rocprim17ROCPRIM_400000_NS6detail17trampoline_kernelINS0_14default_configENS1_25partition_config_selectorILNS1_17partition_subalgoE3EjNS0_10empty_typeEbEEZZNS1_14partition_implILS5_3ELb0ES3_jN6thrust23THRUST_200600_302600_NS6detail15normal_iteratorINSA_7pointerIjNSA_11hip_rocprim3tagENSA_11use_defaultESG_EEEEPS6_SJ_NS0_5tupleIJPjSJ_EEENSK_IJSJ_SJ_EEES6_PlJ7is_evenIjEEEE10hipError_tPvRmT3_T4_T5_T6_T7_T9_mT8_P12ihipStream_tbDpT10_ENKUlT_T0_E_clISt17integral_constantIbLb0EES19_IbLb1EEEEDaS15_S16_EUlS15_E_NS1_11comp_targetILNS1_3genE4ELNS1_11target_archE910ELNS1_3gpuE8ELNS1_3repE0EEENS1_30default_config_static_selectorELNS0_4arch9wavefront6targetE1EEEvT1_
; %bb.0:
	.section	.rodata,"a",@progbits
	.p2align	6, 0x0
	.amdhsa_kernel _ZN7rocprim17ROCPRIM_400000_NS6detail17trampoline_kernelINS0_14default_configENS1_25partition_config_selectorILNS1_17partition_subalgoE3EjNS0_10empty_typeEbEEZZNS1_14partition_implILS5_3ELb0ES3_jN6thrust23THRUST_200600_302600_NS6detail15normal_iteratorINSA_7pointerIjNSA_11hip_rocprim3tagENSA_11use_defaultESG_EEEEPS6_SJ_NS0_5tupleIJPjSJ_EEENSK_IJSJ_SJ_EEES6_PlJ7is_evenIjEEEE10hipError_tPvRmT3_T4_T5_T6_T7_T9_mT8_P12ihipStream_tbDpT10_ENKUlT_T0_E_clISt17integral_constantIbLb0EES19_IbLb1EEEEDaS15_S16_EUlS15_E_NS1_11comp_targetILNS1_3genE4ELNS1_11target_archE910ELNS1_3gpuE8ELNS1_3repE0EEENS1_30default_config_static_selectorELNS0_4arch9wavefront6targetE1EEEvT1_
		.amdhsa_group_segment_fixed_size 0
		.amdhsa_private_segment_fixed_size 0
		.amdhsa_kernarg_size 136
		.amdhsa_user_sgpr_count 2
		.amdhsa_user_sgpr_dispatch_ptr 0
		.amdhsa_user_sgpr_queue_ptr 0
		.amdhsa_user_sgpr_kernarg_segment_ptr 1
		.amdhsa_user_sgpr_dispatch_id 0
		.amdhsa_user_sgpr_kernarg_preload_length 0
		.amdhsa_user_sgpr_kernarg_preload_offset 0
		.amdhsa_user_sgpr_private_segment_size 0
		.amdhsa_uses_dynamic_stack 0
		.amdhsa_enable_private_segment 0
		.amdhsa_system_sgpr_workgroup_id_x 1
		.amdhsa_system_sgpr_workgroup_id_y 0
		.amdhsa_system_sgpr_workgroup_id_z 0
		.amdhsa_system_sgpr_workgroup_info 0
		.amdhsa_system_vgpr_workitem_id 0
		.amdhsa_next_free_vgpr 1
		.amdhsa_next_free_sgpr 0
		.amdhsa_accum_offset 4
		.amdhsa_reserve_vcc 0
		.amdhsa_float_round_mode_32 0
		.amdhsa_float_round_mode_16_64 0
		.amdhsa_float_denorm_mode_32 3
		.amdhsa_float_denorm_mode_16_64 3
		.amdhsa_dx10_clamp 1
		.amdhsa_ieee_mode 1
		.amdhsa_fp16_overflow 0
		.amdhsa_tg_split 0
		.amdhsa_exception_fp_ieee_invalid_op 0
		.amdhsa_exception_fp_denorm_src 0
		.amdhsa_exception_fp_ieee_div_zero 0
		.amdhsa_exception_fp_ieee_overflow 0
		.amdhsa_exception_fp_ieee_underflow 0
		.amdhsa_exception_fp_ieee_inexact 0
		.amdhsa_exception_int_div_zero 0
	.end_amdhsa_kernel
	.section	.text._ZN7rocprim17ROCPRIM_400000_NS6detail17trampoline_kernelINS0_14default_configENS1_25partition_config_selectorILNS1_17partition_subalgoE3EjNS0_10empty_typeEbEEZZNS1_14partition_implILS5_3ELb0ES3_jN6thrust23THRUST_200600_302600_NS6detail15normal_iteratorINSA_7pointerIjNSA_11hip_rocprim3tagENSA_11use_defaultESG_EEEEPS6_SJ_NS0_5tupleIJPjSJ_EEENSK_IJSJ_SJ_EEES6_PlJ7is_evenIjEEEE10hipError_tPvRmT3_T4_T5_T6_T7_T9_mT8_P12ihipStream_tbDpT10_ENKUlT_T0_E_clISt17integral_constantIbLb0EES19_IbLb1EEEEDaS15_S16_EUlS15_E_NS1_11comp_targetILNS1_3genE4ELNS1_11target_archE910ELNS1_3gpuE8ELNS1_3repE0EEENS1_30default_config_static_selectorELNS0_4arch9wavefront6targetE1EEEvT1_,"axG",@progbits,_ZN7rocprim17ROCPRIM_400000_NS6detail17trampoline_kernelINS0_14default_configENS1_25partition_config_selectorILNS1_17partition_subalgoE3EjNS0_10empty_typeEbEEZZNS1_14partition_implILS5_3ELb0ES3_jN6thrust23THRUST_200600_302600_NS6detail15normal_iteratorINSA_7pointerIjNSA_11hip_rocprim3tagENSA_11use_defaultESG_EEEEPS6_SJ_NS0_5tupleIJPjSJ_EEENSK_IJSJ_SJ_EEES6_PlJ7is_evenIjEEEE10hipError_tPvRmT3_T4_T5_T6_T7_T9_mT8_P12ihipStream_tbDpT10_ENKUlT_T0_E_clISt17integral_constantIbLb0EES19_IbLb1EEEEDaS15_S16_EUlS15_E_NS1_11comp_targetILNS1_3genE4ELNS1_11target_archE910ELNS1_3gpuE8ELNS1_3repE0EEENS1_30default_config_static_selectorELNS0_4arch9wavefront6targetE1EEEvT1_,comdat
.Lfunc_end945:
	.size	_ZN7rocprim17ROCPRIM_400000_NS6detail17trampoline_kernelINS0_14default_configENS1_25partition_config_selectorILNS1_17partition_subalgoE3EjNS0_10empty_typeEbEEZZNS1_14partition_implILS5_3ELb0ES3_jN6thrust23THRUST_200600_302600_NS6detail15normal_iteratorINSA_7pointerIjNSA_11hip_rocprim3tagENSA_11use_defaultESG_EEEEPS6_SJ_NS0_5tupleIJPjSJ_EEENSK_IJSJ_SJ_EEES6_PlJ7is_evenIjEEEE10hipError_tPvRmT3_T4_T5_T6_T7_T9_mT8_P12ihipStream_tbDpT10_ENKUlT_T0_E_clISt17integral_constantIbLb0EES19_IbLb1EEEEDaS15_S16_EUlS15_E_NS1_11comp_targetILNS1_3genE4ELNS1_11target_archE910ELNS1_3gpuE8ELNS1_3repE0EEENS1_30default_config_static_selectorELNS0_4arch9wavefront6targetE1EEEvT1_, .Lfunc_end945-_ZN7rocprim17ROCPRIM_400000_NS6detail17trampoline_kernelINS0_14default_configENS1_25partition_config_selectorILNS1_17partition_subalgoE3EjNS0_10empty_typeEbEEZZNS1_14partition_implILS5_3ELb0ES3_jN6thrust23THRUST_200600_302600_NS6detail15normal_iteratorINSA_7pointerIjNSA_11hip_rocprim3tagENSA_11use_defaultESG_EEEEPS6_SJ_NS0_5tupleIJPjSJ_EEENSK_IJSJ_SJ_EEES6_PlJ7is_evenIjEEEE10hipError_tPvRmT3_T4_T5_T6_T7_T9_mT8_P12ihipStream_tbDpT10_ENKUlT_T0_E_clISt17integral_constantIbLb0EES19_IbLb1EEEEDaS15_S16_EUlS15_E_NS1_11comp_targetILNS1_3genE4ELNS1_11target_archE910ELNS1_3gpuE8ELNS1_3repE0EEENS1_30default_config_static_selectorELNS0_4arch9wavefront6targetE1EEEvT1_
                                        ; -- End function
	.section	.AMDGPU.csdata,"",@progbits
; Kernel info:
; codeLenInByte = 0
; NumSgprs: 6
; NumVgprs: 0
; NumAgprs: 0
; TotalNumVgprs: 0
; ScratchSize: 0
; MemoryBound: 0
; FloatMode: 240
; IeeeMode: 1
; LDSByteSize: 0 bytes/workgroup (compile time only)
; SGPRBlocks: 0
; VGPRBlocks: 0
; NumSGPRsForWavesPerEU: 6
; NumVGPRsForWavesPerEU: 1
; AccumOffset: 4
; Occupancy: 8
; WaveLimiterHint : 0
; COMPUTE_PGM_RSRC2:SCRATCH_EN: 0
; COMPUTE_PGM_RSRC2:USER_SGPR: 2
; COMPUTE_PGM_RSRC2:TRAP_HANDLER: 0
; COMPUTE_PGM_RSRC2:TGID_X_EN: 1
; COMPUTE_PGM_RSRC2:TGID_Y_EN: 0
; COMPUTE_PGM_RSRC2:TGID_Z_EN: 0
; COMPUTE_PGM_RSRC2:TIDIG_COMP_CNT: 0
; COMPUTE_PGM_RSRC3_GFX90A:ACCUM_OFFSET: 0
; COMPUTE_PGM_RSRC3_GFX90A:TG_SPLIT: 0
	.section	.text._ZN7rocprim17ROCPRIM_400000_NS6detail17trampoline_kernelINS0_14default_configENS1_25partition_config_selectorILNS1_17partition_subalgoE3EjNS0_10empty_typeEbEEZZNS1_14partition_implILS5_3ELb0ES3_jN6thrust23THRUST_200600_302600_NS6detail15normal_iteratorINSA_7pointerIjNSA_11hip_rocprim3tagENSA_11use_defaultESG_EEEEPS6_SJ_NS0_5tupleIJPjSJ_EEENSK_IJSJ_SJ_EEES6_PlJ7is_evenIjEEEE10hipError_tPvRmT3_T4_T5_T6_T7_T9_mT8_P12ihipStream_tbDpT10_ENKUlT_T0_E_clISt17integral_constantIbLb0EES19_IbLb1EEEEDaS15_S16_EUlS15_E_NS1_11comp_targetILNS1_3genE3ELNS1_11target_archE908ELNS1_3gpuE7ELNS1_3repE0EEENS1_30default_config_static_selectorELNS0_4arch9wavefront6targetE1EEEvT1_,"axG",@progbits,_ZN7rocprim17ROCPRIM_400000_NS6detail17trampoline_kernelINS0_14default_configENS1_25partition_config_selectorILNS1_17partition_subalgoE3EjNS0_10empty_typeEbEEZZNS1_14partition_implILS5_3ELb0ES3_jN6thrust23THRUST_200600_302600_NS6detail15normal_iteratorINSA_7pointerIjNSA_11hip_rocprim3tagENSA_11use_defaultESG_EEEEPS6_SJ_NS0_5tupleIJPjSJ_EEENSK_IJSJ_SJ_EEES6_PlJ7is_evenIjEEEE10hipError_tPvRmT3_T4_T5_T6_T7_T9_mT8_P12ihipStream_tbDpT10_ENKUlT_T0_E_clISt17integral_constantIbLb0EES19_IbLb1EEEEDaS15_S16_EUlS15_E_NS1_11comp_targetILNS1_3genE3ELNS1_11target_archE908ELNS1_3gpuE7ELNS1_3repE0EEENS1_30default_config_static_selectorELNS0_4arch9wavefront6targetE1EEEvT1_,comdat
	.protected	_ZN7rocprim17ROCPRIM_400000_NS6detail17trampoline_kernelINS0_14default_configENS1_25partition_config_selectorILNS1_17partition_subalgoE3EjNS0_10empty_typeEbEEZZNS1_14partition_implILS5_3ELb0ES3_jN6thrust23THRUST_200600_302600_NS6detail15normal_iteratorINSA_7pointerIjNSA_11hip_rocprim3tagENSA_11use_defaultESG_EEEEPS6_SJ_NS0_5tupleIJPjSJ_EEENSK_IJSJ_SJ_EEES6_PlJ7is_evenIjEEEE10hipError_tPvRmT3_T4_T5_T6_T7_T9_mT8_P12ihipStream_tbDpT10_ENKUlT_T0_E_clISt17integral_constantIbLb0EES19_IbLb1EEEEDaS15_S16_EUlS15_E_NS1_11comp_targetILNS1_3genE3ELNS1_11target_archE908ELNS1_3gpuE7ELNS1_3repE0EEENS1_30default_config_static_selectorELNS0_4arch9wavefront6targetE1EEEvT1_ ; -- Begin function _ZN7rocprim17ROCPRIM_400000_NS6detail17trampoline_kernelINS0_14default_configENS1_25partition_config_selectorILNS1_17partition_subalgoE3EjNS0_10empty_typeEbEEZZNS1_14partition_implILS5_3ELb0ES3_jN6thrust23THRUST_200600_302600_NS6detail15normal_iteratorINSA_7pointerIjNSA_11hip_rocprim3tagENSA_11use_defaultESG_EEEEPS6_SJ_NS0_5tupleIJPjSJ_EEENSK_IJSJ_SJ_EEES6_PlJ7is_evenIjEEEE10hipError_tPvRmT3_T4_T5_T6_T7_T9_mT8_P12ihipStream_tbDpT10_ENKUlT_T0_E_clISt17integral_constantIbLb0EES19_IbLb1EEEEDaS15_S16_EUlS15_E_NS1_11comp_targetILNS1_3genE3ELNS1_11target_archE908ELNS1_3gpuE7ELNS1_3repE0EEENS1_30default_config_static_selectorELNS0_4arch9wavefront6targetE1EEEvT1_
	.globl	_ZN7rocprim17ROCPRIM_400000_NS6detail17trampoline_kernelINS0_14default_configENS1_25partition_config_selectorILNS1_17partition_subalgoE3EjNS0_10empty_typeEbEEZZNS1_14partition_implILS5_3ELb0ES3_jN6thrust23THRUST_200600_302600_NS6detail15normal_iteratorINSA_7pointerIjNSA_11hip_rocprim3tagENSA_11use_defaultESG_EEEEPS6_SJ_NS0_5tupleIJPjSJ_EEENSK_IJSJ_SJ_EEES6_PlJ7is_evenIjEEEE10hipError_tPvRmT3_T4_T5_T6_T7_T9_mT8_P12ihipStream_tbDpT10_ENKUlT_T0_E_clISt17integral_constantIbLb0EES19_IbLb1EEEEDaS15_S16_EUlS15_E_NS1_11comp_targetILNS1_3genE3ELNS1_11target_archE908ELNS1_3gpuE7ELNS1_3repE0EEENS1_30default_config_static_selectorELNS0_4arch9wavefront6targetE1EEEvT1_
	.p2align	8
	.type	_ZN7rocprim17ROCPRIM_400000_NS6detail17trampoline_kernelINS0_14default_configENS1_25partition_config_selectorILNS1_17partition_subalgoE3EjNS0_10empty_typeEbEEZZNS1_14partition_implILS5_3ELb0ES3_jN6thrust23THRUST_200600_302600_NS6detail15normal_iteratorINSA_7pointerIjNSA_11hip_rocprim3tagENSA_11use_defaultESG_EEEEPS6_SJ_NS0_5tupleIJPjSJ_EEENSK_IJSJ_SJ_EEES6_PlJ7is_evenIjEEEE10hipError_tPvRmT3_T4_T5_T6_T7_T9_mT8_P12ihipStream_tbDpT10_ENKUlT_T0_E_clISt17integral_constantIbLb0EES19_IbLb1EEEEDaS15_S16_EUlS15_E_NS1_11comp_targetILNS1_3genE3ELNS1_11target_archE908ELNS1_3gpuE7ELNS1_3repE0EEENS1_30default_config_static_selectorELNS0_4arch9wavefront6targetE1EEEvT1_,@function
_ZN7rocprim17ROCPRIM_400000_NS6detail17trampoline_kernelINS0_14default_configENS1_25partition_config_selectorILNS1_17partition_subalgoE3EjNS0_10empty_typeEbEEZZNS1_14partition_implILS5_3ELb0ES3_jN6thrust23THRUST_200600_302600_NS6detail15normal_iteratorINSA_7pointerIjNSA_11hip_rocprim3tagENSA_11use_defaultESG_EEEEPS6_SJ_NS0_5tupleIJPjSJ_EEENSK_IJSJ_SJ_EEES6_PlJ7is_evenIjEEEE10hipError_tPvRmT3_T4_T5_T6_T7_T9_mT8_P12ihipStream_tbDpT10_ENKUlT_T0_E_clISt17integral_constantIbLb0EES19_IbLb1EEEEDaS15_S16_EUlS15_E_NS1_11comp_targetILNS1_3genE3ELNS1_11target_archE908ELNS1_3gpuE7ELNS1_3repE0EEENS1_30default_config_static_selectorELNS0_4arch9wavefront6targetE1EEEvT1_: ; @_ZN7rocprim17ROCPRIM_400000_NS6detail17trampoline_kernelINS0_14default_configENS1_25partition_config_selectorILNS1_17partition_subalgoE3EjNS0_10empty_typeEbEEZZNS1_14partition_implILS5_3ELb0ES3_jN6thrust23THRUST_200600_302600_NS6detail15normal_iteratorINSA_7pointerIjNSA_11hip_rocprim3tagENSA_11use_defaultESG_EEEEPS6_SJ_NS0_5tupleIJPjSJ_EEENSK_IJSJ_SJ_EEES6_PlJ7is_evenIjEEEE10hipError_tPvRmT3_T4_T5_T6_T7_T9_mT8_P12ihipStream_tbDpT10_ENKUlT_T0_E_clISt17integral_constantIbLb0EES19_IbLb1EEEEDaS15_S16_EUlS15_E_NS1_11comp_targetILNS1_3genE3ELNS1_11target_archE908ELNS1_3gpuE7ELNS1_3repE0EEENS1_30default_config_static_selectorELNS0_4arch9wavefront6targetE1EEEvT1_
; %bb.0:
	.section	.rodata,"a",@progbits
	.p2align	6, 0x0
	.amdhsa_kernel _ZN7rocprim17ROCPRIM_400000_NS6detail17trampoline_kernelINS0_14default_configENS1_25partition_config_selectorILNS1_17partition_subalgoE3EjNS0_10empty_typeEbEEZZNS1_14partition_implILS5_3ELb0ES3_jN6thrust23THRUST_200600_302600_NS6detail15normal_iteratorINSA_7pointerIjNSA_11hip_rocprim3tagENSA_11use_defaultESG_EEEEPS6_SJ_NS0_5tupleIJPjSJ_EEENSK_IJSJ_SJ_EEES6_PlJ7is_evenIjEEEE10hipError_tPvRmT3_T4_T5_T6_T7_T9_mT8_P12ihipStream_tbDpT10_ENKUlT_T0_E_clISt17integral_constantIbLb0EES19_IbLb1EEEEDaS15_S16_EUlS15_E_NS1_11comp_targetILNS1_3genE3ELNS1_11target_archE908ELNS1_3gpuE7ELNS1_3repE0EEENS1_30default_config_static_selectorELNS0_4arch9wavefront6targetE1EEEvT1_
		.amdhsa_group_segment_fixed_size 0
		.amdhsa_private_segment_fixed_size 0
		.amdhsa_kernarg_size 136
		.amdhsa_user_sgpr_count 2
		.amdhsa_user_sgpr_dispatch_ptr 0
		.amdhsa_user_sgpr_queue_ptr 0
		.amdhsa_user_sgpr_kernarg_segment_ptr 1
		.amdhsa_user_sgpr_dispatch_id 0
		.amdhsa_user_sgpr_kernarg_preload_length 0
		.amdhsa_user_sgpr_kernarg_preload_offset 0
		.amdhsa_user_sgpr_private_segment_size 0
		.amdhsa_uses_dynamic_stack 0
		.amdhsa_enable_private_segment 0
		.amdhsa_system_sgpr_workgroup_id_x 1
		.amdhsa_system_sgpr_workgroup_id_y 0
		.amdhsa_system_sgpr_workgroup_id_z 0
		.amdhsa_system_sgpr_workgroup_info 0
		.amdhsa_system_vgpr_workitem_id 0
		.amdhsa_next_free_vgpr 1
		.amdhsa_next_free_sgpr 0
		.amdhsa_accum_offset 4
		.amdhsa_reserve_vcc 0
		.amdhsa_float_round_mode_32 0
		.amdhsa_float_round_mode_16_64 0
		.amdhsa_float_denorm_mode_32 3
		.amdhsa_float_denorm_mode_16_64 3
		.amdhsa_dx10_clamp 1
		.amdhsa_ieee_mode 1
		.amdhsa_fp16_overflow 0
		.amdhsa_tg_split 0
		.amdhsa_exception_fp_ieee_invalid_op 0
		.amdhsa_exception_fp_denorm_src 0
		.amdhsa_exception_fp_ieee_div_zero 0
		.amdhsa_exception_fp_ieee_overflow 0
		.amdhsa_exception_fp_ieee_underflow 0
		.amdhsa_exception_fp_ieee_inexact 0
		.amdhsa_exception_int_div_zero 0
	.end_amdhsa_kernel
	.section	.text._ZN7rocprim17ROCPRIM_400000_NS6detail17trampoline_kernelINS0_14default_configENS1_25partition_config_selectorILNS1_17partition_subalgoE3EjNS0_10empty_typeEbEEZZNS1_14partition_implILS5_3ELb0ES3_jN6thrust23THRUST_200600_302600_NS6detail15normal_iteratorINSA_7pointerIjNSA_11hip_rocprim3tagENSA_11use_defaultESG_EEEEPS6_SJ_NS0_5tupleIJPjSJ_EEENSK_IJSJ_SJ_EEES6_PlJ7is_evenIjEEEE10hipError_tPvRmT3_T4_T5_T6_T7_T9_mT8_P12ihipStream_tbDpT10_ENKUlT_T0_E_clISt17integral_constantIbLb0EES19_IbLb1EEEEDaS15_S16_EUlS15_E_NS1_11comp_targetILNS1_3genE3ELNS1_11target_archE908ELNS1_3gpuE7ELNS1_3repE0EEENS1_30default_config_static_selectorELNS0_4arch9wavefront6targetE1EEEvT1_,"axG",@progbits,_ZN7rocprim17ROCPRIM_400000_NS6detail17trampoline_kernelINS0_14default_configENS1_25partition_config_selectorILNS1_17partition_subalgoE3EjNS0_10empty_typeEbEEZZNS1_14partition_implILS5_3ELb0ES3_jN6thrust23THRUST_200600_302600_NS6detail15normal_iteratorINSA_7pointerIjNSA_11hip_rocprim3tagENSA_11use_defaultESG_EEEEPS6_SJ_NS0_5tupleIJPjSJ_EEENSK_IJSJ_SJ_EEES6_PlJ7is_evenIjEEEE10hipError_tPvRmT3_T4_T5_T6_T7_T9_mT8_P12ihipStream_tbDpT10_ENKUlT_T0_E_clISt17integral_constantIbLb0EES19_IbLb1EEEEDaS15_S16_EUlS15_E_NS1_11comp_targetILNS1_3genE3ELNS1_11target_archE908ELNS1_3gpuE7ELNS1_3repE0EEENS1_30default_config_static_selectorELNS0_4arch9wavefront6targetE1EEEvT1_,comdat
.Lfunc_end946:
	.size	_ZN7rocprim17ROCPRIM_400000_NS6detail17trampoline_kernelINS0_14default_configENS1_25partition_config_selectorILNS1_17partition_subalgoE3EjNS0_10empty_typeEbEEZZNS1_14partition_implILS5_3ELb0ES3_jN6thrust23THRUST_200600_302600_NS6detail15normal_iteratorINSA_7pointerIjNSA_11hip_rocprim3tagENSA_11use_defaultESG_EEEEPS6_SJ_NS0_5tupleIJPjSJ_EEENSK_IJSJ_SJ_EEES6_PlJ7is_evenIjEEEE10hipError_tPvRmT3_T4_T5_T6_T7_T9_mT8_P12ihipStream_tbDpT10_ENKUlT_T0_E_clISt17integral_constantIbLb0EES19_IbLb1EEEEDaS15_S16_EUlS15_E_NS1_11comp_targetILNS1_3genE3ELNS1_11target_archE908ELNS1_3gpuE7ELNS1_3repE0EEENS1_30default_config_static_selectorELNS0_4arch9wavefront6targetE1EEEvT1_, .Lfunc_end946-_ZN7rocprim17ROCPRIM_400000_NS6detail17trampoline_kernelINS0_14default_configENS1_25partition_config_selectorILNS1_17partition_subalgoE3EjNS0_10empty_typeEbEEZZNS1_14partition_implILS5_3ELb0ES3_jN6thrust23THRUST_200600_302600_NS6detail15normal_iteratorINSA_7pointerIjNSA_11hip_rocprim3tagENSA_11use_defaultESG_EEEEPS6_SJ_NS0_5tupleIJPjSJ_EEENSK_IJSJ_SJ_EEES6_PlJ7is_evenIjEEEE10hipError_tPvRmT3_T4_T5_T6_T7_T9_mT8_P12ihipStream_tbDpT10_ENKUlT_T0_E_clISt17integral_constantIbLb0EES19_IbLb1EEEEDaS15_S16_EUlS15_E_NS1_11comp_targetILNS1_3genE3ELNS1_11target_archE908ELNS1_3gpuE7ELNS1_3repE0EEENS1_30default_config_static_selectorELNS0_4arch9wavefront6targetE1EEEvT1_
                                        ; -- End function
	.section	.AMDGPU.csdata,"",@progbits
; Kernel info:
; codeLenInByte = 0
; NumSgprs: 6
; NumVgprs: 0
; NumAgprs: 0
; TotalNumVgprs: 0
; ScratchSize: 0
; MemoryBound: 0
; FloatMode: 240
; IeeeMode: 1
; LDSByteSize: 0 bytes/workgroup (compile time only)
; SGPRBlocks: 0
; VGPRBlocks: 0
; NumSGPRsForWavesPerEU: 6
; NumVGPRsForWavesPerEU: 1
; AccumOffset: 4
; Occupancy: 8
; WaveLimiterHint : 0
; COMPUTE_PGM_RSRC2:SCRATCH_EN: 0
; COMPUTE_PGM_RSRC2:USER_SGPR: 2
; COMPUTE_PGM_RSRC2:TRAP_HANDLER: 0
; COMPUTE_PGM_RSRC2:TGID_X_EN: 1
; COMPUTE_PGM_RSRC2:TGID_Y_EN: 0
; COMPUTE_PGM_RSRC2:TGID_Z_EN: 0
; COMPUTE_PGM_RSRC2:TIDIG_COMP_CNT: 0
; COMPUTE_PGM_RSRC3_GFX90A:ACCUM_OFFSET: 0
; COMPUTE_PGM_RSRC3_GFX90A:TG_SPLIT: 0
	.section	.text._ZN7rocprim17ROCPRIM_400000_NS6detail17trampoline_kernelINS0_14default_configENS1_25partition_config_selectorILNS1_17partition_subalgoE3EjNS0_10empty_typeEbEEZZNS1_14partition_implILS5_3ELb0ES3_jN6thrust23THRUST_200600_302600_NS6detail15normal_iteratorINSA_7pointerIjNSA_11hip_rocprim3tagENSA_11use_defaultESG_EEEEPS6_SJ_NS0_5tupleIJPjSJ_EEENSK_IJSJ_SJ_EEES6_PlJ7is_evenIjEEEE10hipError_tPvRmT3_T4_T5_T6_T7_T9_mT8_P12ihipStream_tbDpT10_ENKUlT_T0_E_clISt17integral_constantIbLb0EES19_IbLb1EEEEDaS15_S16_EUlS15_E_NS1_11comp_targetILNS1_3genE2ELNS1_11target_archE906ELNS1_3gpuE6ELNS1_3repE0EEENS1_30default_config_static_selectorELNS0_4arch9wavefront6targetE1EEEvT1_,"axG",@progbits,_ZN7rocprim17ROCPRIM_400000_NS6detail17trampoline_kernelINS0_14default_configENS1_25partition_config_selectorILNS1_17partition_subalgoE3EjNS0_10empty_typeEbEEZZNS1_14partition_implILS5_3ELb0ES3_jN6thrust23THRUST_200600_302600_NS6detail15normal_iteratorINSA_7pointerIjNSA_11hip_rocprim3tagENSA_11use_defaultESG_EEEEPS6_SJ_NS0_5tupleIJPjSJ_EEENSK_IJSJ_SJ_EEES6_PlJ7is_evenIjEEEE10hipError_tPvRmT3_T4_T5_T6_T7_T9_mT8_P12ihipStream_tbDpT10_ENKUlT_T0_E_clISt17integral_constantIbLb0EES19_IbLb1EEEEDaS15_S16_EUlS15_E_NS1_11comp_targetILNS1_3genE2ELNS1_11target_archE906ELNS1_3gpuE6ELNS1_3repE0EEENS1_30default_config_static_selectorELNS0_4arch9wavefront6targetE1EEEvT1_,comdat
	.protected	_ZN7rocprim17ROCPRIM_400000_NS6detail17trampoline_kernelINS0_14default_configENS1_25partition_config_selectorILNS1_17partition_subalgoE3EjNS0_10empty_typeEbEEZZNS1_14partition_implILS5_3ELb0ES3_jN6thrust23THRUST_200600_302600_NS6detail15normal_iteratorINSA_7pointerIjNSA_11hip_rocprim3tagENSA_11use_defaultESG_EEEEPS6_SJ_NS0_5tupleIJPjSJ_EEENSK_IJSJ_SJ_EEES6_PlJ7is_evenIjEEEE10hipError_tPvRmT3_T4_T5_T6_T7_T9_mT8_P12ihipStream_tbDpT10_ENKUlT_T0_E_clISt17integral_constantIbLb0EES19_IbLb1EEEEDaS15_S16_EUlS15_E_NS1_11comp_targetILNS1_3genE2ELNS1_11target_archE906ELNS1_3gpuE6ELNS1_3repE0EEENS1_30default_config_static_selectorELNS0_4arch9wavefront6targetE1EEEvT1_ ; -- Begin function _ZN7rocprim17ROCPRIM_400000_NS6detail17trampoline_kernelINS0_14default_configENS1_25partition_config_selectorILNS1_17partition_subalgoE3EjNS0_10empty_typeEbEEZZNS1_14partition_implILS5_3ELb0ES3_jN6thrust23THRUST_200600_302600_NS6detail15normal_iteratorINSA_7pointerIjNSA_11hip_rocprim3tagENSA_11use_defaultESG_EEEEPS6_SJ_NS0_5tupleIJPjSJ_EEENSK_IJSJ_SJ_EEES6_PlJ7is_evenIjEEEE10hipError_tPvRmT3_T4_T5_T6_T7_T9_mT8_P12ihipStream_tbDpT10_ENKUlT_T0_E_clISt17integral_constantIbLb0EES19_IbLb1EEEEDaS15_S16_EUlS15_E_NS1_11comp_targetILNS1_3genE2ELNS1_11target_archE906ELNS1_3gpuE6ELNS1_3repE0EEENS1_30default_config_static_selectorELNS0_4arch9wavefront6targetE1EEEvT1_
	.globl	_ZN7rocprim17ROCPRIM_400000_NS6detail17trampoline_kernelINS0_14default_configENS1_25partition_config_selectorILNS1_17partition_subalgoE3EjNS0_10empty_typeEbEEZZNS1_14partition_implILS5_3ELb0ES3_jN6thrust23THRUST_200600_302600_NS6detail15normal_iteratorINSA_7pointerIjNSA_11hip_rocprim3tagENSA_11use_defaultESG_EEEEPS6_SJ_NS0_5tupleIJPjSJ_EEENSK_IJSJ_SJ_EEES6_PlJ7is_evenIjEEEE10hipError_tPvRmT3_T4_T5_T6_T7_T9_mT8_P12ihipStream_tbDpT10_ENKUlT_T0_E_clISt17integral_constantIbLb0EES19_IbLb1EEEEDaS15_S16_EUlS15_E_NS1_11comp_targetILNS1_3genE2ELNS1_11target_archE906ELNS1_3gpuE6ELNS1_3repE0EEENS1_30default_config_static_selectorELNS0_4arch9wavefront6targetE1EEEvT1_
	.p2align	8
	.type	_ZN7rocprim17ROCPRIM_400000_NS6detail17trampoline_kernelINS0_14default_configENS1_25partition_config_selectorILNS1_17partition_subalgoE3EjNS0_10empty_typeEbEEZZNS1_14partition_implILS5_3ELb0ES3_jN6thrust23THRUST_200600_302600_NS6detail15normal_iteratorINSA_7pointerIjNSA_11hip_rocprim3tagENSA_11use_defaultESG_EEEEPS6_SJ_NS0_5tupleIJPjSJ_EEENSK_IJSJ_SJ_EEES6_PlJ7is_evenIjEEEE10hipError_tPvRmT3_T4_T5_T6_T7_T9_mT8_P12ihipStream_tbDpT10_ENKUlT_T0_E_clISt17integral_constantIbLb0EES19_IbLb1EEEEDaS15_S16_EUlS15_E_NS1_11comp_targetILNS1_3genE2ELNS1_11target_archE906ELNS1_3gpuE6ELNS1_3repE0EEENS1_30default_config_static_selectorELNS0_4arch9wavefront6targetE1EEEvT1_,@function
_ZN7rocprim17ROCPRIM_400000_NS6detail17trampoline_kernelINS0_14default_configENS1_25partition_config_selectorILNS1_17partition_subalgoE3EjNS0_10empty_typeEbEEZZNS1_14partition_implILS5_3ELb0ES3_jN6thrust23THRUST_200600_302600_NS6detail15normal_iteratorINSA_7pointerIjNSA_11hip_rocprim3tagENSA_11use_defaultESG_EEEEPS6_SJ_NS0_5tupleIJPjSJ_EEENSK_IJSJ_SJ_EEES6_PlJ7is_evenIjEEEE10hipError_tPvRmT3_T4_T5_T6_T7_T9_mT8_P12ihipStream_tbDpT10_ENKUlT_T0_E_clISt17integral_constantIbLb0EES19_IbLb1EEEEDaS15_S16_EUlS15_E_NS1_11comp_targetILNS1_3genE2ELNS1_11target_archE906ELNS1_3gpuE6ELNS1_3repE0EEENS1_30default_config_static_selectorELNS0_4arch9wavefront6targetE1EEEvT1_: ; @_ZN7rocprim17ROCPRIM_400000_NS6detail17trampoline_kernelINS0_14default_configENS1_25partition_config_selectorILNS1_17partition_subalgoE3EjNS0_10empty_typeEbEEZZNS1_14partition_implILS5_3ELb0ES3_jN6thrust23THRUST_200600_302600_NS6detail15normal_iteratorINSA_7pointerIjNSA_11hip_rocprim3tagENSA_11use_defaultESG_EEEEPS6_SJ_NS0_5tupleIJPjSJ_EEENSK_IJSJ_SJ_EEES6_PlJ7is_evenIjEEEE10hipError_tPvRmT3_T4_T5_T6_T7_T9_mT8_P12ihipStream_tbDpT10_ENKUlT_T0_E_clISt17integral_constantIbLb0EES19_IbLb1EEEEDaS15_S16_EUlS15_E_NS1_11comp_targetILNS1_3genE2ELNS1_11target_archE906ELNS1_3gpuE6ELNS1_3repE0EEENS1_30default_config_static_selectorELNS0_4arch9wavefront6targetE1EEEvT1_
; %bb.0:
	.section	.rodata,"a",@progbits
	.p2align	6, 0x0
	.amdhsa_kernel _ZN7rocprim17ROCPRIM_400000_NS6detail17trampoline_kernelINS0_14default_configENS1_25partition_config_selectorILNS1_17partition_subalgoE3EjNS0_10empty_typeEbEEZZNS1_14partition_implILS5_3ELb0ES3_jN6thrust23THRUST_200600_302600_NS6detail15normal_iteratorINSA_7pointerIjNSA_11hip_rocprim3tagENSA_11use_defaultESG_EEEEPS6_SJ_NS0_5tupleIJPjSJ_EEENSK_IJSJ_SJ_EEES6_PlJ7is_evenIjEEEE10hipError_tPvRmT3_T4_T5_T6_T7_T9_mT8_P12ihipStream_tbDpT10_ENKUlT_T0_E_clISt17integral_constantIbLb0EES19_IbLb1EEEEDaS15_S16_EUlS15_E_NS1_11comp_targetILNS1_3genE2ELNS1_11target_archE906ELNS1_3gpuE6ELNS1_3repE0EEENS1_30default_config_static_selectorELNS0_4arch9wavefront6targetE1EEEvT1_
		.amdhsa_group_segment_fixed_size 0
		.amdhsa_private_segment_fixed_size 0
		.amdhsa_kernarg_size 136
		.amdhsa_user_sgpr_count 2
		.amdhsa_user_sgpr_dispatch_ptr 0
		.amdhsa_user_sgpr_queue_ptr 0
		.amdhsa_user_sgpr_kernarg_segment_ptr 1
		.amdhsa_user_sgpr_dispatch_id 0
		.amdhsa_user_sgpr_kernarg_preload_length 0
		.amdhsa_user_sgpr_kernarg_preload_offset 0
		.amdhsa_user_sgpr_private_segment_size 0
		.amdhsa_uses_dynamic_stack 0
		.amdhsa_enable_private_segment 0
		.amdhsa_system_sgpr_workgroup_id_x 1
		.amdhsa_system_sgpr_workgroup_id_y 0
		.amdhsa_system_sgpr_workgroup_id_z 0
		.amdhsa_system_sgpr_workgroup_info 0
		.amdhsa_system_vgpr_workitem_id 0
		.amdhsa_next_free_vgpr 1
		.amdhsa_next_free_sgpr 0
		.amdhsa_accum_offset 4
		.amdhsa_reserve_vcc 0
		.amdhsa_float_round_mode_32 0
		.amdhsa_float_round_mode_16_64 0
		.amdhsa_float_denorm_mode_32 3
		.amdhsa_float_denorm_mode_16_64 3
		.amdhsa_dx10_clamp 1
		.amdhsa_ieee_mode 1
		.amdhsa_fp16_overflow 0
		.amdhsa_tg_split 0
		.amdhsa_exception_fp_ieee_invalid_op 0
		.amdhsa_exception_fp_denorm_src 0
		.amdhsa_exception_fp_ieee_div_zero 0
		.amdhsa_exception_fp_ieee_overflow 0
		.amdhsa_exception_fp_ieee_underflow 0
		.amdhsa_exception_fp_ieee_inexact 0
		.amdhsa_exception_int_div_zero 0
	.end_amdhsa_kernel
	.section	.text._ZN7rocprim17ROCPRIM_400000_NS6detail17trampoline_kernelINS0_14default_configENS1_25partition_config_selectorILNS1_17partition_subalgoE3EjNS0_10empty_typeEbEEZZNS1_14partition_implILS5_3ELb0ES3_jN6thrust23THRUST_200600_302600_NS6detail15normal_iteratorINSA_7pointerIjNSA_11hip_rocprim3tagENSA_11use_defaultESG_EEEEPS6_SJ_NS0_5tupleIJPjSJ_EEENSK_IJSJ_SJ_EEES6_PlJ7is_evenIjEEEE10hipError_tPvRmT3_T4_T5_T6_T7_T9_mT8_P12ihipStream_tbDpT10_ENKUlT_T0_E_clISt17integral_constantIbLb0EES19_IbLb1EEEEDaS15_S16_EUlS15_E_NS1_11comp_targetILNS1_3genE2ELNS1_11target_archE906ELNS1_3gpuE6ELNS1_3repE0EEENS1_30default_config_static_selectorELNS0_4arch9wavefront6targetE1EEEvT1_,"axG",@progbits,_ZN7rocprim17ROCPRIM_400000_NS6detail17trampoline_kernelINS0_14default_configENS1_25partition_config_selectorILNS1_17partition_subalgoE3EjNS0_10empty_typeEbEEZZNS1_14partition_implILS5_3ELb0ES3_jN6thrust23THRUST_200600_302600_NS6detail15normal_iteratorINSA_7pointerIjNSA_11hip_rocprim3tagENSA_11use_defaultESG_EEEEPS6_SJ_NS0_5tupleIJPjSJ_EEENSK_IJSJ_SJ_EEES6_PlJ7is_evenIjEEEE10hipError_tPvRmT3_T4_T5_T6_T7_T9_mT8_P12ihipStream_tbDpT10_ENKUlT_T0_E_clISt17integral_constantIbLb0EES19_IbLb1EEEEDaS15_S16_EUlS15_E_NS1_11comp_targetILNS1_3genE2ELNS1_11target_archE906ELNS1_3gpuE6ELNS1_3repE0EEENS1_30default_config_static_selectorELNS0_4arch9wavefront6targetE1EEEvT1_,comdat
.Lfunc_end947:
	.size	_ZN7rocprim17ROCPRIM_400000_NS6detail17trampoline_kernelINS0_14default_configENS1_25partition_config_selectorILNS1_17partition_subalgoE3EjNS0_10empty_typeEbEEZZNS1_14partition_implILS5_3ELb0ES3_jN6thrust23THRUST_200600_302600_NS6detail15normal_iteratorINSA_7pointerIjNSA_11hip_rocprim3tagENSA_11use_defaultESG_EEEEPS6_SJ_NS0_5tupleIJPjSJ_EEENSK_IJSJ_SJ_EEES6_PlJ7is_evenIjEEEE10hipError_tPvRmT3_T4_T5_T6_T7_T9_mT8_P12ihipStream_tbDpT10_ENKUlT_T0_E_clISt17integral_constantIbLb0EES19_IbLb1EEEEDaS15_S16_EUlS15_E_NS1_11comp_targetILNS1_3genE2ELNS1_11target_archE906ELNS1_3gpuE6ELNS1_3repE0EEENS1_30default_config_static_selectorELNS0_4arch9wavefront6targetE1EEEvT1_, .Lfunc_end947-_ZN7rocprim17ROCPRIM_400000_NS6detail17trampoline_kernelINS0_14default_configENS1_25partition_config_selectorILNS1_17partition_subalgoE3EjNS0_10empty_typeEbEEZZNS1_14partition_implILS5_3ELb0ES3_jN6thrust23THRUST_200600_302600_NS6detail15normal_iteratorINSA_7pointerIjNSA_11hip_rocprim3tagENSA_11use_defaultESG_EEEEPS6_SJ_NS0_5tupleIJPjSJ_EEENSK_IJSJ_SJ_EEES6_PlJ7is_evenIjEEEE10hipError_tPvRmT3_T4_T5_T6_T7_T9_mT8_P12ihipStream_tbDpT10_ENKUlT_T0_E_clISt17integral_constantIbLb0EES19_IbLb1EEEEDaS15_S16_EUlS15_E_NS1_11comp_targetILNS1_3genE2ELNS1_11target_archE906ELNS1_3gpuE6ELNS1_3repE0EEENS1_30default_config_static_selectorELNS0_4arch9wavefront6targetE1EEEvT1_
                                        ; -- End function
	.section	.AMDGPU.csdata,"",@progbits
; Kernel info:
; codeLenInByte = 0
; NumSgprs: 6
; NumVgprs: 0
; NumAgprs: 0
; TotalNumVgprs: 0
; ScratchSize: 0
; MemoryBound: 0
; FloatMode: 240
; IeeeMode: 1
; LDSByteSize: 0 bytes/workgroup (compile time only)
; SGPRBlocks: 0
; VGPRBlocks: 0
; NumSGPRsForWavesPerEU: 6
; NumVGPRsForWavesPerEU: 1
; AccumOffset: 4
; Occupancy: 8
; WaveLimiterHint : 0
; COMPUTE_PGM_RSRC2:SCRATCH_EN: 0
; COMPUTE_PGM_RSRC2:USER_SGPR: 2
; COMPUTE_PGM_RSRC2:TRAP_HANDLER: 0
; COMPUTE_PGM_RSRC2:TGID_X_EN: 1
; COMPUTE_PGM_RSRC2:TGID_Y_EN: 0
; COMPUTE_PGM_RSRC2:TGID_Z_EN: 0
; COMPUTE_PGM_RSRC2:TIDIG_COMP_CNT: 0
; COMPUTE_PGM_RSRC3_GFX90A:ACCUM_OFFSET: 0
; COMPUTE_PGM_RSRC3_GFX90A:TG_SPLIT: 0
	.section	.text._ZN7rocprim17ROCPRIM_400000_NS6detail17trampoline_kernelINS0_14default_configENS1_25partition_config_selectorILNS1_17partition_subalgoE3EjNS0_10empty_typeEbEEZZNS1_14partition_implILS5_3ELb0ES3_jN6thrust23THRUST_200600_302600_NS6detail15normal_iteratorINSA_7pointerIjNSA_11hip_rocprim3tagENSA_11use_defaultESG_EEEEPS6_SJ_NS0_5tupleIJPjSJ_EEENSK_IJSJ_SJ_EEES6_PlJ7is_evenIjEEEE10hipError_tPvRmT3_T4_T5_T6_T7_T9_mT8_P12ihipStream_tbDpT10_ENKUlT_T0_E_clISt17integral_constantIbLb0EES19_IbLb1EEEEDaS15_S16_EUlS15_E_NS1_11comp_targetILNS1_3genE10ELNS1_11target_archE1200ELNS1_3gpuE4ELNS1_3repE0EEENS1_30default_config_static_selectorELNS0_4arch9wavefront6targetE1EEEvT1_,"axG",@progbits,_ZN7rocprim17ROCPRIM_400000_NS6detail17trampoline_kernelINS0_14default_configENS1_25partition_config_selectorILNS1_17partition_subalgoE3EjNS0_10empty_typeEbEEZZNS1_14partition_implILS5_3ELb0ES3_jN6thrust23THRUST_200600_302600_NS6detail15normal_iteratorINSA_7pointerIjNSA_11hip_rocprim3tagENSA_11use_defaultESG_EEEEPS6_SJ_NS0_5tupleIJPjSJ_EEENSK_IJSJ_SJ_EEES6_PlJ7is_evenIjEEEE10hipError_tPvRmT3_T4_T5_T6_T7_T9_mT8_P12ihipStream_tbDpT10_ENKUlT_T0_E_clISt17integral_constantIbLb0EES19_IbLb1EEEEDaS15_S16_EUlS15_E_NS1_11comp_targetILNS1_3genE10ELNS1_11target_archE1200ELNS1_3gpuE4ELNS1_3repE0EEENS1_30default_config_static_selectorELNS0_4arch9wavefront6targetE1EEEvT1_,comdat
	.protected	_ZN7rocprim17ROCPRIM_400000_NS6detail17trampoline_kernelINS0_14default_configENS1_25partition_config_selectorILNS1_17partition_subalgoE3EjNS0_10empty_typeEbEEZZNS1_14partition_implILS5_3ELb0ES3_jN6thrust23THRUST_200600_302600_NS6detail15normal_iteratorINSA_7pointerIjNSA_11hip_rocprim3tagENSA_11use_defaultESG_EEEEPS6_SJ_NS0_5tupleIJPjSJ_EEENSK_IJSJ_SJ_EEES6_PlJ7is_evenIjEEEE10hipError_tPvRmT3_T4_T5_T6_T7_T9_mT8_P12ihipStream_tbDpT10_ENKUlT_T0_E_clISt17integral_constantIbLb0EES19_IbLb1EEEEDaS15_S16_EUlS15_E_NS1_11comp_targetILNS1_3genE10ELNS1_11target_archE1200ELNS1_3gpuE4ELNS1_3repE0EEENS1_30default_config_static_selectorELNS0_4arch9wavefront6targetE1EEEvT1_ ; -- Begin function _ZN7rocprim17ROCPRIM_400000_NS6detail17trampoline_kernelINS0_14default_configENS1_25partition_config_selectorILNS1_17partition_subalgoE3EjNS0_10empty_typeEbEEZZNS1_14partition_implILS5_3ELb0ES3_jN6thrust23THRUST_200600_302600_NS6detail15normal_iteratorINSA_7pointerIjNSA_11hip_rocprim3tagENSA_11use_defaultESG_EEEEPS6_SJ_NS0_5tupleIJPjSJ_EEENSK_IJSJ_SJ_EEES6_PlJ7is_evenIjEEEE10hipError_tPvRmT3_T4_T5_T6_T7_T9_mT8_P12ihipStream_tbDpT10_ENKUlT_T0_E_clISt17integral_constantIbLb0EES19_IbLb1EEEEDaS15_S16_EUlS15_E_NS1_11comp_targetILNS1_3genE10ELNS1_11target_archE1200ELNS1_3gpuE4ELNS1_3repE0EEENS1_30default_config_static_selectorELNS0_4arch9wavefront6targetE1EEEvT1_
	.globl	_ZN7rocprim17ROCPRIM_400000_NS6detail17trampoline_kernelINS0_14default_configENS1_25partition_config_selectorILNS1_17partition_subalgoE3EjNS0_10empty_typeEbEEZZNS1_14partition_implILS5_3ELb0ES3_jN6thrust23THRUST_200600_302600_NS6detail15normal_iteratorINSA_7pointerIjNSA_11hip_rocprim3tagENSA_11use_defaultESG_EEEEPS6_SJ_NS0_5tupleIJPjSJ_EEENSK_IJSJ_SJ_EEES6_PlJ7is_evenIjEEEE10hipError_tPvRmT3_T4_T5_T6_T7_T9_mT8_P12ihipStream_tbDpT10_ENKUlT_T0_E_clISt17integral_constantIbLb0EES19_IbLb1EEEEDaS15_S16_EUlS15_E_NS1_11comp_targetILNS1_3genE10ELNS1_11target_archE1200ELNS1_3gpuE4ELNS1_3repE0EEENS1_30default_config_static_selectorELNS0_4arch9wavefront6targetE1EEEvT1_
	.p2align	8
	.type	_ZN7rocprim17ROCPRIM_400000_NS6detail17trampoline_kernelINS0_14default_configENS1_25partition_config_selectorILNS1_17partition_subalgoE3EjNS0_10empty_typeEbEEZZNS1_14partition_implILS5_3ELb0ES3_jN6thrust23THRUST_200600_302600_NS6detail15normal_iteratorINSA_7pointerIjNSA_11hip_rocprim3tagENSA_11use_defaultESG_EEEEPS6_SJ_NS0_5tupleIJPjSJ_EEENSK_IJSJ_SJ_EEES6_PlJ7is_evenIjEEEE10hipError_tPvRmT3_T4_T5_T6_T7_T9_mT8_P12ihipStream_tbDpT10_ENKUlT_T0_E_clISt17integral_constantIbLb0EES19_IbLb1EEEEDaS15_S16_EUlS15_E_NS1_11comp_targetILNS1_3genE10ELNS1_11target_archE1200ELNS1_3gpuE4ELNS1_3repE0EEENS1_30default_config_static_selectorELNS0_4arch9wavefront6targetE1EEEvT1_,@function
_ZN7rocprim17ROCPRIM_400000_NS6detail17trampoline_kernelINS0_14default_configENS1_25partition_config_selectorILNS1_17partition_subalgoE3EjNS0_10empty_typeEbEEZZNS1_14partition_implILS5_3ELb0ES3_jN6thrust23THRUST_200600_302600_NS6detail15normal_iteratorINSA_7pointerIjNSA_11hip_rocprim3tagENSA_11use_defaultESG_EEEEPS6_SJ_NS0_5tupleIJPjSJ_EEENSK_IJSJ_SJ_EEES6_PlJ7is_evenIjEEEE10hipError_tPvRmT3_T4_T5_T6_T7_T9_mT8_P12ihipStream_tbDpT10_ENKUlT_T0_E_clISt17integral_constantIbLb0EES19_IbLb1EEEEDaS15_S16_EUlS15_E_NS1_11comp_targetILNS1_3genE10ELNS1_11target_archE1200ELNS1_3gpuE4ELNS1_3repE0EEENS1_30default_config_static_selectorELNS0_4arch9wavefront6targetE1EEEvT1_: ; @_ZN7rocprim17ROCPRIM_400000_NS6detail17trampoline_kernelINS0_14default_configENS1_25partition_config_selectorILNS1_17partition_subalgoE3EjNS0_10empty_typeEbEEZZNS1_14partition_implILS5_3ELb0ES3_jN6thrust23THRUST_200600_302600_NS6detail15normal_iteratorINSA_7pointerIjNSA_11hip_rocprim3tagENSA_11use_defaultESG_EEEEPS6_SJ_NS0_5tupleIJPjSJ_EEENSK_IJSJ_SJ_EEES6_PlJ7is_evenIjEEEE10hipError_tPvRmT3_T4_T5_T6_T7_T9_mT8_P12ihipStream_tbDpT10_ENKUlT_T0_E_clISt17integral_constantIbLb0EES19_IbLb1EEEEDaS15_S16_EUlS15_E_NS1_11comp_targetILNS1_3genE10ELNS1_11target_archE1200ELNS1_3gpuE4ELNS1_3repE0EEENS1_30default_config_static_selectorELNS0_4arch9wavefront6targetE1EEEvT1_
; %bb.0:
	.section	.rodata,"a",@progbits
	.p2align	6, 0x0
	.amdhsa_kernel _ZN7rocprim17ROCPRIM_400000_NS6detail17trampoline_kernelINS0_14default_configENS1_25partition_config_selectorILNS1_17partition_subalgoE3EjNS0_10empty_typeEbEEZZNS1_14partition_implILS5_3ELb0ES3_jN6thrust23THRUST_200600_302600_NS6detail15normal_iteratorINSA_7pointerIjNSA_11hip_rocprim3tagENSA_11use_defaultESG_EEEEPS6_SJ_NS0_5tupleIJPjSJ_EEENSK_IJSJ_SJ_EEES6_PlJ7is_evenIjEEEE10hipError_tPvRmT3_T4_T5_T6_T7_T9_mT8_P12ihipStream_tbDpT10_ENKUlT_T0_E_clISt17integral_constantIbLb0EES19_IbLb1EEEEDaS15_S16_EUlS15_E_NS1_11comp_targetILNS1_3genE10ELNS1_11target_archE1200ELNS1_3gpuE4ELNS1_3repE0EEENS1_30default_config_static_selectorELNS0_4arch9wavefront6targetE1EEEvT1_
		.amdhsa_group_segment_fixed_size 0
		.amdhsa_private_segment_fixed_size 0
		.amdhsa_kernarg_size 136
		.amdhsa_user_sgpr_count 2
		.amdhsa_user_sgpr_dispatch_ptr 0
		.amdhsa_user_sgpr_queue_ptr 0
		.amdhsa_user_sgpr_kernarg_segment_ptr 1
		.amdhsa_user_sgpr_dispatch_id 0
		.amdhsa_user_sgpr_kernarg_preload_length 0
		.amdhsa_user_sgpr_kernarg_preload_offset 0
		.amdhsa_user_sgpr_private_segment_size 0
		.amdhsa_uses_dynamic_stack 0
		.amdhsa_enable_private_segment 0
		.amdhsa_system_sgpr_workgroup_id_x 1
		.amdhsa_system_sgpr_workgroup_id_y 0
		.amdhsa_system_sgpr_workgroup_id_z 0
		.amdhsa_system_sgpr_workgroup_info 0
		.amdhsa_system_vgpr_workitem_id 0
		.amdhsa_next_free_vgpr 1
		.amdhsa_next_free_sgpr 0
		.amdhsa_accum_offset 4
		.amdhsa_reserve_vcc 0
		.amdhsa_float_round_mode_32 0
		.amdhsa_float_round_mode_16_64 0
		.amdhsa_float_denorm_mode_32 3
		.amdhsa_float_denorm_mode_16_64 3
		.amdhsa_dx10_clamp 1
		.amdhsa_ieee_mode 1
		.amdhsa_fp16_overflow 0
		.amdhsa_tg_split 0
		.amdhsa_exception_fp_ieee_invalid_op 0
		.amdhsa_exception_fp_denorm_src 0
		.amdhsa_exception_fp_ieee_div_zero 0
		.amdhsa_exception_fp_ieee_overflow 0
		.amdhsa_exception_fp_ieee_underflow 0
		.amdhsa_exception_fp_ieee_inexact 0
		.amdhsa_exception_int_div_zero 0
	.end_amdhsa_kernel
	.section	.text._ZN7rocprim17ROCPRIM_400000_NS6detail17trampoline_kernelINS0_14default_configENS1_25partition_config_selectorILNS1_17partition_subalgoE3EjNS0_10empty_typeEbEEZZNS1_14partition_implILS5_3ELb0ES3_jN6thrust23THRUST_200600_302600_NS6detail15normal_iteratorINSA_7pointerIjNSA_11hip_rocprim3tagENSA_11use_defaultESG_EEEEPS6_SJ_NS0_5tupleIJPjSJ_EEENSK_IJSJ_SJ_EEES6_PlJ7is_evenIjEEEE10hipError_tPvRmT3_T4_T5_T6_T7_T9_mT8_P12ihipStream_tbDpT10_ENKUlT_T0_E_clISt17integral_constantIbLb0EES19_IbLb1EEEEDaS15_S16_EUlS15_E_NS1_11comp_targetILNS1_3genE10ELNS1_11target_archE1200ELNS1_3gpuE4ELNS1_3repE0EEENS1_30default_config_static_selectorELNS0_4arch9wavefront6targetE1EEEvT1_,"axG",@progbits,_ZN7rocprim17ROCPRIM_400000_NS6detail17trampoline_kernelINS0_14default_configENS1_25partition_config_selectorILNS1_17partition_subalgoE3EjNS0_10empty_typeEbEEZZNS1_14partition_implILS5_3ELb0ES3_jN6thrust23THRUST_200600_302600_NS6detail15normal_iteratorINSA_7pointerIjNSA_11hip_rocprim3tagENSA_11use_defaultESG_EEEEPS6_SJ_NS0_5tupleIJPjSJ_EEENSK_IJSJ_SJ_EEES6_PlJ7is_evenIjEEEE10hipError_tPvRmT3_T4_T5_T6_T7_T9_mT8_P12ihipStream_tbDpT10_ENKUlT_T0_E_clISt17integral_constantIbLb0EES19_IbLb1EEEEDaS15_S16_EUlS15_E_NS1_11comp_targetILNS1_3genE10ELNS1_11target_archE1200ELNS1_3gpuE4ELNS1_3repE0EEENS1_30default_config_static_selectorELNS0_4arch9wavefront6targetE1EEEvT1_,comdat
.Lfunc_end948:
	.size	_ZN7rocprim17ROCPRIM_400000_NS6detail17trampoline_kernelINS0_14default_configENS1_25partition_config_selectorILNS1_17partition_subalgoE3EjNS0_10empty_typeEbEEZZNS1_14partition_implILS5_3ELb0ES3_jN6thrust23THRUST_200600_302600_NS6detail15normal_iteratorINSA_7pointerIjNSA_11hip_rocprim3tagENSA_11use_defaultESG_EEEEPS6_SJ_NS0_5tupleIJPjSJ_EEENSK_IJSJ_SJ_EEES6_PlJ7is_evenIjEEEE10hipError_tPvRmT3_T4_T5_T6_T7_T9_mT8_P12ihipStream_tbDpT10_ENKUlT_T0_E_clISt17integral_constantIbLb0EES19_IbLb1EEEEDaS15_S16_EUlS15_E_NS1_11comp_targetILNS1_3genE10ELNS1_11target_archE1200ELNS1_3gpuE4ELNS1_3repE0EEENS1_30default_config_static_selectorELNS0_4arch9wavefront6targetE1EEEvT1_, .Lfunc_end948-_ZN7rocprim17ROCPRIM_400000_NS6detail17trampoline_kernelINS0_14default_configENS1_25partition_config_selectorILNS1_17partition_subalgoE3EjNS0_10empty_typeEbEEZZNS1_14partition_implILS5_3ELb0ES3_jN6thrust23THRUST_200600_302600_NS6detail15normal_iteratorINSA_7pointerIjNSA_11hip_rocprim3tagENSA_11use_defaultESG_EEEEPS6_SJ_NS0_5tupleIJPjSJ_EEENSK_IJSJ_SJ_EEES6_PlJ7is_evenIjEEEE10hipError_tPvRmT3_T4_T5_T6_T7_T9_mT8_P12ihipStream_tbDpT10_ENKUlT_T0_E_clISt17integral_constantIbLb0EES19_IbLb1EEEEDaS15_S16_EUlS15_E_NS1_11comp_targetILNS1_3genE10ELNS1_11target_archE1200ELNS1_3gpuE4ELNS1_3repE0EEENS1_30default_config_static_selectorELNS0_4arch9wavefront6targetE1EEEvT1_
                                        ; -- End function
	.section	.AMDGPU.csdata,"",@progbits
; Kernel info:
; codeLenInByte = 0
; NumSgprs: 6
; NumVgprs: 0
; NumAgprs: 0
; TotalNumVgprs: 0
; ScratchSize: 0
; MemoryBound: 0
; FloatMode: 240
; IeeeMode: 1
; LDSByteSize: 0 bytes/workgroup (compile time only)
; SGPRBlocks: 0
; VGPRBlocks: 0
; NumSGPRsForWavesPerEU: 6
; NumVGPRsForWavesPerEU: 1
; AccumOffset: 4
; Occupancy: 8
; WaveLimiterHint : 0
; COMPUTE_PGM_RSRC2:SCRATCH_EN: 0
; COMPUTE_PGM_RSRC2:USER_SGPR: 2
; COMPUTE_PGM_RSRC2:TRAP_HANDLER: 0
; COMPUTE_PGM_RSRC2:TGID_X_EN: 1
; COMPUTE_PGM_RSRC2:TGID_Y_EN: 0
; COMPUTE_PGM_RSRC2:TGID_Z_EN: 0
; COMPUTE_PGM_RSRC2:TIDIG_COMP_CNT: 0
; COMPUTE_PGM_RSRC3_GFX90A:ACCUM_OFFSET: 0
; COMPUTE_PGM_RSRC3_GFX90A:TG_SPLIT: 0
	.section	.text._ZN7rocprim17ROCPRIM_400000_NS6detail17trampoline_kernelINS0_14default_configENS1_25partition_config_selectorILNS1_17partition_subalgoE3EjNS0_10empty_typeEbEEZZNS1_14partition_implILS5_3ELb0ES3_jN6thrust23THRUST_200600_302600_NS6detail15normal_iteratorINSA_7pointerIjNSA_11hip_rocprim3tagENSA_11use_defaultESG_EEEEPS6_SJ_NS0_5tupleIJPjSJ_EEENSK_IJSJ_SJ_EEES6_PlJ7is_evenIjEEEE10hipError_tPvRmT3_T4_T5_T6_T7_T9_mT8_P12ihipStream_tbDpT10_ENKUlT_T0_E_clISt17integral_constantIbLb0EES19_IbLb1EEEEDaS15_S16_EUlS15_E_NS1_11comp_targetILNS1_3genE9ELNS1_11target_archE1100ELNS1_3gpuE3ELNS1_3repE0EEENS1_30default_config_static_selectorELNS0_4arch9wavefront6targetE1EEEvT1_,"axG",@progbits,_ZN7rocprim17ROCPRIM_400000_NS6detail17trampoline_kernelINS0_14default_configENS1_25partition_config_selectorILNS1_17partition_subalgoE3EjNS0_10empty_typeEbEEZZNS1_14partition_implILS5_3ELb0ES3_jN6thrust23THRUST_200600_302600_NS6detail15normal_iteratorINSA_7pointerIjNSA_11hip_rocprim3tagENSA_11use_defaultESG_EEEEPS6_SJ_NS0_5tupleIJPjSJ_EEENSK_IJSJ_SJ_EEES6_PlJ7is_evenIjEEEE10hipError_tPvRmT3_T4_T5_T6_T7_T9_mT8_P12ihipStream_tbDpT10_ENKUlT_T0_E_clISt17integral_constantIbLb0EES19_IbLb1EEEEDaS15_S16_EUlS15_E_NS1_11comp_targetILNS1_3genE9ELNS1_11target_archE1100ELNS1_3gpuE3ELNS1_3repE0EEENS1_30default_config_static_selectorELNS0_4arch9wavefront6targetE1EEEvT1_,comdat
	.protected	_ZN7rocprim17ROCPRIM_400000_NS6detail17trampoline_kernelINS0_14default_configENS1_25partition_config_selectorILNS1_17partition_subalgoE3EjNS0_10empty_typeEbEEZZNS1_14partition_implILS5_3ELb0ES3_jN6thrust23THRUST_200600_302600_NS6detail15normal_iteratorINSA_7pointerIjNSA_11hip_rocprim3tagENSA_11use_defaultESG_EEEEPS6_SJ_NS0_5tupleIJPjSJ_EEENSK_IJSJ_SJ_EEES6_PlJ7is_evenIjEEEE10hipError_tPvRmT3_T4_T5_T6_T7_T9_mT8_P12ihipStream_tbDpT10_ENKUlT_T0_E_clISt17integral_constantIbLb0EES19_IbLb1EEEEDaS15_S16_EUlS15_E_NS1_11comp_targetILNS1_3genE9ELNS1_11target_archE1100ELNS1_3gpuE3ELNS1_3repE0EEENS1_30default_config_static_selectorELNS0_4arch9wavefront6targetE1EEEvT1_ ; -- Begin function _ZN7rocprim17ROCPRIM_400000_NS6detail17trampoline_kernelINS0_14default_configENS1_25partition_config_selectorILNS1_17partition_subalgoE3EjNS0_10empty_typeEbEEZZNS1_14partition_implILS5_3ELb0ES3_jN6thrust23THRUST_200600_302600_NS6detail15normal_iteratorINSA_7pointerIjNSA_11hip_rocprim3tagENSA_11use_defaultESG_EEEEPS6_SJ_NS0_5tupleIJPjSJ_EEENSK_IJSJ_SJ_EEES6_PlJ7is_evenIjEEEE10hipError_tPvRmT3_T4_T5_T6_T7_T9_mT8_P12ihipStream_tbDpT10_ENKUlT_T0_E_clISt17integral_constantIbLb0EES19_IbLb1EEEEDaS15_S16_EUlS15_E_NS1_11comp_targetILNS1_3genE9ELNS1_11target_archE1100ELNS1_3gpuE3ELNS1_3repE0EEENS1_30default_config_static_selectorELNS0_4arch9wavefront6targetE1EEEvT1_
	.globl	_ZN7rocprim17ROCPRIM_400000_NS6detail17trampoline_kernelINS0_14default_configENS1_25partition_config_selectorILNS1_17partition_subalgoE3EjNS0_10empty_typeEbEEZZNS1_14partition_implILS5_3ELb0ES3_jN6thrust23THRUST_200600_302600_NS6detail15normal_iteratorINSA_7pointerIjNSA_11hip_rocprim3tagENSA_11use_defaultESG_EEEEPS6_SJ_NS0_5tupleIJPjSJ_EEENSK_IJSJ_SJ_EEES6_PlJ7is_evenIjEEEE10hipError_tPvRmT3_T4_T5_T6_T7_T9_mT8_P12ihipStream_tbDpT10_ENKUlT_T0_E_clISt17integral_constantIbLb0EES19_IbLb1EEEEDaS15_S16_EUlS15_E_NS1_11comp_targetILNS1_3genE9ELNS1_11target_archE1100ELNS1_3gpuE3ELNS1_3repE0EEENS1_30default_config_static_selectorELNS0_4arch9wavefront6targetE1EEEvT1_
	.p2align	8
	.type	_ZN7rocprim17ROCPRIM_400000_NS6detail17trampoline_kernelINS0_14default_configENS1_25partition_config_selectorILNS1_17partition_subalgoE3EjNS0_10empty_typeEbEEZZNS1_14partition_implILS5_3ELb0ES3_jN6thrust23THRUST_200600_302600_NS6detail15normal_iteratorINSA_7pointerIjNSA_11hip_rocprim3tagENSA_11use_defaultESG_EEEEPS6_SJ_NS0_5tupleIJPjSJ_EEENSK_IJSJ_SJ_EEES6_PlJ7is_evenIjEEEE10hipError_tPvRmT3_T4_T5_T6_T7_T9_mT8_P12ihipStream_tbDpT10_ENKUlT_T0_E_clISt17integral_constantIbLb0EES19_IbLb1EEEEDaS15_S16_EUlS15_E_NS1_11comp_targetILNS1_3genE9ELNS1_11target_archE1100ELNS1_3gpuE3ELNS1_3repE0EEENS1_30default_config_static_selectorELNS0_4arch9wavefront6targetE1EEEvT1_,@function
_ZN7rocprim17ROCPRIM_400000_NS6detail17trampoline_kernelINS0_14default_configENS1_25partition_config_selectorILNS1_17partition_subalgoE3EjNS0_10empty_typeEbEEZZNS1_14partition_implILS5_3ELb0ES3_jN6thrust23THRUST_200600_302600_NS6detail15normal_iteratorINSA_7pointerIjNSA_11hip_rocprim3tagENSA_11use_defaultESG_EEEEPS6_SJ_NS0_5tupleIJPjSJ_EEENSK_IJSJ_SJ_EEES6_PlJ7is_evenIjEEEE10hipError_tPvRmT3_T4_T5_T6_T7_T9_mT8_P12ihipStream_tbDpT10_ENKUlT_T0_E_clISt17integral_constantIbLb0EES19_IbLb1EEEEDaS15_S16_EUlS15_E_NS1_11comp_targetILNS1_3genE9ELNS1_11target_archE1100ELNS1_3gpuE3ELNS1_3repE0EEENS1_30default_config_static_selectorELNS0_4arch9wavefront6targetE1EEEvT1_: ; @_ZN7rocprim17ROCPRIM_400000_NS6detail17trampoline_kernelINS0_14default_configENS1_25partition_config_selectorILNS1_17partition_subalgoE3EjNS0_10empty_typeEbEEZZNS1_14partition_implILS5_3ELb0ES3_jN6thrust23THRUST_200600_302600_NS6detail15normal_iteratorINSA_7pointerIjNSA_11hip_rocprim3tagENSA_11use_defaultESG_EEEEPS6_SJ_NS0_5tupleIJPjSJ_EEENSK_IJSJ_SJ_EEES6_PlJ7is_evenIjEEEE10hipError_tPvRmT3_T4_T5_T6_T7_T9_mT8_P12ihipStream_tbDpT10_ENKUlT_T0_E_clISt17integral_constantIbLb0EES19_IbLb1EEEEDaS15_S16_EUlS15_E_NS1_11comp_targetILNS1_3genE9ELNS1_11target_archE1100ELNS1_3gpuE3ELNS1_3repE0EEENS1_30default_config_static_selectorELNS0_4arch9wavefront6targetE1EEEvT1_
; %bb.0:
	.section	.rodata,"a",@progbits
	.p2align	6, 0x0
	.amdhsa_kernel _ZN7rocprim17ROCPRIM_400000_NS6detail17trampoline_kernelINS0_14default_configENS1_25partition_config_selectorILNS1_17partition_subalgoE3EjNS0_10empty_typeEbEEZZNS1_14partition_implILS5_3ELb0ES3_jN6thrust23THRUST_200600_302600_NS6detail15normal_iteratorINSA_7pointerIjNSA_11hip_rocprim3tagENSA_11use_defaultESG_EEEEPS6_SJ_NS0_5tupleIJPjSJ_EEENSK_IJSJ_SJ_EEES6_PlJ7is_evenIjEEEE10hipError_tPvRmT3_T4_T5_T6_T7_T9_mT8_P12ihipStream_tbDpT10_ENKUlT_T0_E_clISt17integral_constantIbLb0EES19_IbLb1EEEEDaS15_S16_EUlS15_E_NS1_11comp_targetILNS1_3genE9ELNS1_11target_archE1100ELNS1_3gpuE3ELNS1_3repE0EEENS1_30default_config_static_selectorELNS0_4arch9wavefront6targetE1EEEvT1_
		.amdhsa_group_segment_fixed_size 0
		.amdhsa_private_segment_fixed_size 0
		.amdhsa_kernarg_size 136
		.amdhsa_user_sgpr_count 2
		.amdhsa_user_sgpr_dispatch_ptr 0
		.amdhsa_user_sgpr_queue_ptr 0
		.amdhsa_user_sgpr_kernarg_segment_ptr 1
		.amdhsa_user_sgpr_dispatch_id 0
		.amdhsa_user_sgpr_kernarg_preload_length 0
		.amdhsa_user_sgpr_kernarg_preload_offset 0
		.amdhsa_user_sgpr_private_segment_size 0
		.amdhsa_uses_dynamic_stack 0
		.amdhsa_enable_private_segment 0
		.amdhsa_system_sgpr_workgroup_id_x 1
		.amdhsa_system_sgpr_workgroup_id_y 0
		.amdhsa_system_sgpr_workgroup_id_z 0
		.amdhsa_system_sgpr_workgroup_info 0
		.amdhsa_system_vgpr_workitem_id 0
		.amdhsa_next_free_vgpr 1
		.amdhsa_next_free_sgpr 0
		.amdhsa_accum_offset 4
		.amdhsa_reserve_vcc 0
		.amdhsa_float_round_mode_32 0
		.amdhsa_float_round_mode_16_64 0
		.amdhsa_float_denorm_mode_32 3
		.amdhsa_float_denorm_mode_16_64 3
		.amdhsa_dx10_clamp 1
		.amdhsa_ieee_mode 1
		.amdhsa_fp16_overflow 0
		.amdhsa_tg_split 0
		.amdhsa_exception_fp_ieee_invalid_op 0
		.amdhsa_exception_fp_denorm_src 0
		.amdhsa_exception_fp_ieee_div_zero 0
		.amdhsa_exception_fp_ieee_overflow 0
		.amdhsa_exception_fp_ieee_underflow 0
		.amdhsa_exception_fp_ieee_inexact 0
		.amdhsa_exception_int_div_zero 0
	.end_amdhsa_kernel
	.section	.text._ZN7rocprim17ROCPRIM_400000_NS6detail17trampoline_kernelINS0_14default_configENS1_25partition_config_selectorILNS1_17partition_subalgoE3EjNS0_10empty_typeEbEEZZNS1_14partition_implILS5_3ELb0ES3_jN6thrust23THRUST_200600_302600_NS6detail15normal_iteratorINSA_7pointerIjNSA_11hip_rocprim3tagENSA_11use_defaultESG_EEEEPS6_SJ_NS0_5tupleIJPjSJ_EEENSK_IJSJ_SJ_EEES6_PlJ7is_evenIjEEEE10hipError_tPvRmT3_T4_T5_T6_T7_T9_mT8_P12ihipStream_tbDpT10_ENKUlT_T0_E_clISt17integral_constantIbLb0EES19_IbLb1EEEEDaS15_S16_EUlS15_E_NS1_11comp_targetILNS1_3genE9ELNS1_11target_archE1100ELNS1_3gpuE3ELNS1_3repE0EEENS1_30default_config_static_selectorELNS0_4arch9wavefront6targetE1EEEvT1_,"axG",@progbits,_ZN7rocprim17ROCPRIM_400000_NS6detail17trampoline_kernelINS0_14default_configENS1_25partition_config_selectorILNS1_17partition_subalgoE3EjNS0_10empty_typeEbEEZZNS1_14partition_implILS5_3ELb0ES3_jN6thrust23THRUST_200600_302600_NS6detail15normal_iteratorINSA_7pointerIjNSA_11hip_rocprim3tagENSA_11use_defaultESG_EEEEPS6_SJ_NS0_5tupleIJPjSJ_EEENSK_IJSJ_SJ_EEES6_PlJ7is_evenIjEEEE10hipError_tPvRmT3_T4_T5_T6_T7_T9_mT8_P12ihipStream_tbDpT10_ENKUlT_T0_E_clISt17integral_constantIbLb0EES19_IbLb1EEEEDaS15_S16_EUlS15_E_NS1_11comp_targetILNS1_3genE9ELNS1_11target_archE1100ELNS1_3gpuE3ELNS1_3repE0EEENS1_30default_config_static_selectorELNS0_4arch9wavefront6targetE1EEEvT1_,comdat
.Lfunc_end949:
	.size	_ZN7rocprim17ROCPRIM_400000_NS6detail17trampoline_kernelINS0_14default_configENS1_25partition_config_selectorILNS1_17partition_subalgoE3EjNS0_10empty_typeEbEEZZNS1_14partition_implILS5_3ELb0ES3_jN6thrust23THRUST_200600_302600_NS6detail15normal_iteratorINSA_7pointerIjNSA_11hip_rocprim3tagENSA_11use_defaultESG_EEEEPS6_SJ_NS0_5tupleIJPjSJ_EEENSK_IJSJ_SJ_EEES6_PlJ7is_evenIjEEEE10hipError_tPvRmT3_T4_T5_T6_T7_T9_mT8_P12ihipStream_tbDpT10_ENKUlT_T0_E_clISt17integral_constantIbLb0EES19_IbLb1EEEEDaS15_S16_EUlS15_E_NS1_11comp_targetILNS1_3genE9ELNS1_11target_archE1100ELNS1_3gpuE3ELNS1_3repE0EEENS1_30default_config_static_selectorELNS0_4arch9wavefront6targetE1EEEvT1_, .Lfunc_end949-_ZN7rocprim17ROCPRIM_400000_NS6detail17trampoline_kernelINS0_14default_configENS1_25partition_config_selectorILNS1_17partition_subalgoE3EjNS0_10empty_typeEbEEZZNS1_14partition_implILS5_3ELb0ES3_jN6thrust23THRUST_200600_302600_NS6detail15normal_iteratorINSA_7pointerIjNSA_11hip_rocprim3tagENSA_11use_defaultESG_EEEEPS6_SJ_NS0_5tupleIJPjSJ_EEENSK_IJSJ_SJ_EEES6_PlJ7is_evenIjEEEE10hipError_tPvRmT3_T4_T5_T6_T7_T9_mT8_P12ihipStream_tbDpT10_ENKUlT_T0_E_clISt17integral_constantIbLb0EES19_IbLb1EEEEDaS15_S16_EUlS15_E_NS1_11comp_targetILNS1_3genE9ELNS1_11target_archE1100ELNS1_3gpuE3ELNS1_3repE0EEENS1_30default_config_static_selectorELNS0_4arch9wavefront6targetE1EEEvT1_
                                        ; -- End function
	.section	.AMDGPU.csdata,"",@progbits
; Kernel info:
; codeLenInByte = 0
; NumSgprs: 6
; NumVgprs: 0
; NumAgprs: 0
; TotalNumVgprs: 0
; ScratchSize: 0
; MemoryBound: 0
; FloatMode: 240
; IeeeMode: 1
; LDSByteSize: 0 bytes/workgroup (compile time only)
; SGPRBlocks: 0
; VGPRBlocks: 0
; NumSGPRsForWavesPerEU: 6
; NumVGPRsForWavesPerEU: 1
; AccumOffset: 4
; Occupancy: 8
; WaveLimiterHint : 0
; COMPUTE_PGM_RSRC2:SCRATCH_EN: 0
; COMPUTE_PGM_RSRC2:USER_SGPR: 2
; COMPUTE_PGM_RSRC2:TRAP_HANDLER: 0
; COMPUTE_PGM_RSRC2:TGID_X_EN: 1
; COMPUTE_PGM_RSRC2:TGID_Y_EN: 0
; COMPUTE_PGM_RSRC2:TGID_Z_EN: 0
; COMPUTE_PGM_RSRC2:TIDIG_COMP_CNT: 0
; COMPUTE_PGM_RSRC3_GFX90A:ACCUM_OFFSET: 0
; COMPUTE_PGM_RSRC3_GFX90A:TG_SPLIT: 0
	.section	.text._ZN7rocprim17ROCPRIM_400000_NS6detail17trampoline_kernelINS0_14default_configENS1_25partition_config_selectorILNS1_17partition_subalgoE3EjNS0_10empty_typeEbEEZZNS1_14partition_implILS5_3ELb0ES3_jN6thrust23THRUST_200600_302600_NS6detail15normal_iteratorINSA_7pointerIjNSA_11hip_rocprim3tagENSA_11use_defaultESG_EEEEPS6_SJ_NS0_5tupleIJPjSJ_EEENSK_IJSJ_SJ_EEES6_PlJ7is_evenIjEEEE10hipError_tPvRmT3_T4_T5_T6_T7_T9_mT8_P12ihipStream_tbDpT10_ENKUlT_T0_E_clISt17integral_constantIbLb0EES19_IbLb1EEEEDaS15_S16_EUlS15_E_NS1_11comp_targetILNS1_3genE8ELNS1_11target_archE1030ELNS1_3gpuE2ELNS1_3repE0EEENS1_30default_config_static_selectorELNS0_4arch9wavefront6targetE1EEEvT1_,"axG",@progbits,_ZN7rocprim17ROCPRIM_400000_NS6detail17trampoline_kernelINS0_14default_configENS1_25partition_config_selectorILNS1_17partition_subalgoE3EjNS0_10empty_typeEbEEZZNS1_14partition_implILS5_3ELb0ES3_jN6thrust23THRUST_200600_302600_NS6detail15normal_iteratorINSA_7pointerIjNSA_11hip_rocprim3tagENSA_11use_defaultESG_EEEEPS6_SJ_NS0_5tupleIJPjSJ_EEENSK_IJSJ_SJ_EEES6_PlJ7is_evenIjEEEE10hipError_tPvRmT3_T4_T5_T6_T7_T9_mT8_P12ihipStream_tbDpT10_ENKUlT_T0_E_clISt17integral_constantIbLb0EES19_IbLb1EEEEDaS15_S16_EUlS15_E_NS1_11comp_targetILNS1_3genE8ELNS1_11target_archE1030ELNS1_3gpuE2ELNS1_3repE0EEENS1_30default_config_static_selectorELNS0_4arch9wavefront6targetE1EEEvT1_,comdat
	.protected	_ZN7rocprim17ROCPRIM_400000_NS6detail17trampoline_kernelINS0_14default_configENS1_25partition_config_selectorILNS1_17partition_subalgoE3EjNS0_10empty_typeEbEEZZNS1_14partition_implILS5_3ELb0ES3_jN6thrust23THRUST_200600_302600_NS6detail15normal_iteratorINSA_7pointerIjNSA_11hip_rocprim3tagENSA_11use_defaultESG_EEEEPS6_SJ_NS0_5tupleIJPjSJ_EEENSK_IJSJ_SJ_EEES6_PlJ7is_evenIjEEEE10hipError_tPvRmT3_T4_T5_T6_T7_T9_mT8_P12ihipStream_tbDpT10_ENKUlT_T0_E_clISt17integral_constantIbLb0EES19_IbLb1EEEEDaS15_S16_EUlS15_E_NS1_11comp_targetILNS1_3genE8ELNS1_11target_archE1030ELNS1_3gpuE2ELNS1_3repE0EEENS1_30default_config_static_selectorELNS0_4arch9wavefront6targetE1EEEvT1_ ; -- Begin function _ZN7rocprim17ROCPRIM_400000_NS6detail17trampoline_kernelINS0_14default_configENS1_25partition_config_selectorILNS1_17partition_subalgoE3EjNS0_10empty_typeEbEEZZNS1_14partition_implILS5_3ELb0ES3_jN6thrust23THRUST_200600_302600_NS6detail15normal_iteratorINSA_7pointerIjNSA_11hip_rocprim3tagENSA_11use_defaultESG_EEEEPS6_SJ_NS0_5tupleIJPjSJ_EEENSK_IJSJ_SJ_EEES6_PlJ7is_evenIjEEEE10hipError_tPvRmT3_T4_T5_T6_T7_T9_mT8_P12ihipStream_tbDpT10_ENKUlT_T0_E_clISt17integral_constantIbLb0EES19_IbLb1EEEEDaS15_S16_EUlS15_E_NS1_11comp_targetILNS1_3genE8ELNS1_11target_archE1030ELNS1_3gpuE2ELNS1_3repE0EEENS1_30default_config_static_selectorELNS0_4arch9wavefront6targetE1EEEvT1_
	.globl	_ZN7rocprim17ROCPRIM_400000_NS6detail17trampoline_kernelINS0_14default_configENS1_25partition_config_selectorILNS1_17partition_subalgoE3EjNS0_10empty_typeEbEEZZNS1_14partition_implILS5_3ELb0ES3_jN6thrust23THRUST_200600_302600_NS6detail15normal_iteratorINSA_7pointerIjNSA_11hip_rocprim3tagENSA_11use_defaultESG_EEEEPS6_SJ_NS0_5tupleIJPjSJ_EEENSK_IJSJ_SJ_EEES6_PlJ7is_evenIjEEEE10hipError_tPvRmT3_T4_T5_T6_T7_T9_mT8_P12ihipStream_tbDpT10_ENKUlT_T0_E_clISt17integral_constantIbLb0EES19_IbLb1EEEEDaS15_S16_EUlS15_E_NS1_11comp_targetILNS1_3genE8ELNS1_11target_archE1030ELNS1_3gpuE2ELNS1_3repE0EEENS1_30default_config_static_selectorELNS0_4arch9wavefront6targetE1EEEvT1_
	.p2align	8
	.type	_ZN7rocprim17ROCPRIM_400000_NS6detail17trampoline_kernelINS0_14default_configENS1_25partition_config_selectorILNS1_17partition_subalgoE3EjNS0_10empty_typeEbEEZZNS1_14partition_implILS5_3ELb0ES3_jN6thrust23THRUST_200600_302600_NS6detail15normal_iteratorINSA_7pointerIjNSA_11hip_rocprim3tagENSA_11use_defaultESG_EEEEPS6_SJ_NS0_5tupleIJPjSJ_EEENSK_IJSJ_SJ_EEES6_PlJ7is_evenIjEEEE10hipError_tPvRmT3_T4_T5_T6_T7_T9_mT8_P12ihipStream_tbDpT10_ENKUlT_T0_E_clISt17integral_constantIbLb0EES19_IbLb1EEEEDaS15_S16_EUlS15_E_NS1_11comp_targetILNS1_3genE8ELNS1_11target_archE1030ELNS1_3gpuE2ELNS1_3repE0EEENS1_30default_config_static_selectorELNS0_4arch9wavefront6targetE1EEEvT1_,@function
_ZN7rocprim17ROCPRIM_400000_NS6detail17trampoline_kernelINS0_14default_configENS1_25partition_config_selectorILNS1_17partition_subalgoE3EjNS0_10empty_typeEbEEZZNS1_14partition_implILS5_3ELb0ES3_jN6thrust23THRUST_200600_302600_NS6detail15normal_iteratorINSA_7pointerIjNSA_11hip_rocprim3tagENSA_11use_defaultESG_EEEEPS6_SJ_NS0_5tupleIJPjSJ_EEENSK_IJSJ_SJ_EEES6_PlJ7is_evenIjEEEE10hipError_tPvRmT3_T4_T5_T6_T7_T9_mT8_P12ihipStream_tbDpT10_ENKUlT_T0_E_clISt17integral_constantIbLb0EES19_IbLb1EEEEDaS15_S16_EUlS15_E_NS1_11comp_targetILNS1_3genE8ELNS1_11target_archE1030ELNS1_3gpuE2ELNS1_3repE0EEENS1_30default_config_static_selectorELNS0_4arch9wavefront6targetE1EEEvT1_: ; @_ZN7rocprim17ROCPRIM_400000_NS6detail17trampoline_kernelINS0_14default_configENS1_25partition_config_selectorILNS1_17partition_subalgoE3EjNS0_10empty_typeEbEEZZNS1_14partition_implILS5_3ELb0ES3_jN6thrust23THRUST_200600_302600_NS6detail15normal_iteratorINSA_7pointerIjNSA_11hip_rocprim3tagENSA_11use_defaultESG_EEEEPS6_SJ_NS0_5tupleIJPjSJ_EEENSK_IJSJ_SJ_EEES6_PlJ7is_evenIjEEEE10hipError_tPvRmT3_T4_T5_T6_T7_T9_mT8_P12ihipStream_tbDpT10_ENKUlT_T0_E_clISt17integral_constantIbLb0EES19_IbLb1EEEEDaS15_S16_EUlS15_E_NS1_11comp_targetILNS1_3genE8ELNS1_11target_archE1030ELNS1_3gpuE2ELNS1_3repE0EEENS1_30default_config_static_selectorELNS0_4arch9wavefront6targetE1EEEvT1_
; %bb.0:
	.section	.rodata,"a",@progbits
	.p2align	6, 0x0
	.amdhsa_kernel _ZN7rocprim17ROCPRIM_400000_NS6detail17trampoline_kernelINS0_14default_configENS1_25partition_config_selectorILNS1_17partition_subalgoE3EjNS0_10empty_typeEbEEZZNS1_14partition_implILS5_3ELb0ES3_jN6thrust23THRUST_200600_302600_NS6detail15normal_iteratorINSA_7pointerIjNSA_11hip_rocprim3tagENSA_11use_defaultESG_EEEEPS6_SJ_NS0_5tupleIJPjSJ_EEENSK_IJSJ_SJ_EEES6_PlJ7is_evenIjEEEE10hipError_tPvRmT3_T4_T5_T6_T7_T9_mT8_P12ihipStream_tbDpT10_ENKUlT_T0_E_clISt17integral_constantIbLb0EES19_IbLb1EEEEDaS15_S16_EUlS15_E_NS1_11comp_targetILNS1_3genE8ELNS1_11target_archE1030ELNS1_3gpuE2ELNS1_3repE0EEENS1_30default_config_static_selectorELNS0_4arch9wavefront6targetE1EEEvT1_
		.amdhsa_group_segment_fixed_size 0
		.amdhsa_private_segment_fixed_size 0
		.amdhsa_kernarg_size 136
		.amdhsa_user_sgpr_count 2
		.amdhsa_user_sgpr_dispatch_ptr 0
		.amdhsa_user_sgpr_queue_ptr 0
		.amdhsa_user_sgpr_kernarg_segment_ptr 1
		.amdhsa_user_sgpr_dispatch_id 0
		.amdhsa_user_sgpr_kernarg_preload_length 0
		.amdhsa_user_sgpr_kernarg_preload_offset 0
		.amdhsa_user_sgpr_private_segment_size 0
		.amdhsa_uses_dynamic_stack 0
		.amdhsa_enable_private_segment 0
		.amdhsa_system_sgpr_workgroup_id_x 1
		.amdhsa_system_sgpr_workgroup_id_y 0
		.amdhsa_system_sgpr_workgroup_id_z 0
		.amdhsa_system_sgpr_workgroup_info 0
		.amdhsa_system_vgpr_workitem_id 0
		.amdhsa_next_free_vgpr 1
		.amdhsa_next_free_sgpr 0
		.amdhsa_accum_offset 4
		.amdhsa_reserve_vcc 0
		.amdhsa_float_round_mode_32 0
		.amdhsa_float_round_mode_16_64 0
		.amdhsa_float_denorm_mode_32 3
		.amdhsa_float_denorm_mode_16_64 3
		.amdhsa_dx10_clamp 1
		.amdhsa_ieee_mode 1
		.amdhsa_fp16_overflow 0
		.amdhsa_tg_split 0
		.amdhsa_exception_fp_ieee_invalid_op 0
		.amdhsa_exception_fp_denorm_src 0
		.amdhsa_exception_fp_ieee_div_zero 0
		.amdhsa_exception_fp_ieee_overflow 0
		.amdhsa_exception_fp_ieee_underflow 0
		.amdhsa_exception_fp_ieee_inexact 0
		.amdhsa_exception_int_div_zero 0
	.end_amdhsa_kernel
	.section	.text._ZN7rocprim17ROCPRIM_400000_NS6detail17trampoline_kernelINS0_14default_configENS1_25partition_config_selectorILNS1_17partition_subalgoE3EjNS0_10empty_typeEbEEZZNS1_14partition_implILS5_3ELb0ES3_jN6thrust23THRUST_200600_302600_NS6detail15normal_iteratorINSA_7pointerIjNSA_11hip_rocprim3tagENSA_11use_defaultESG_EEEEPS6_SJ_NS0_5tupleIJPjSJ_EEENSK_IJSJ_SJ_EEES6_PlJ7is_evenIjEEEE10hipError_tPvRmT3_T4_T5_T6_T7_T9_mT8_P12ihipStream_tbDpT10_ENKUlT_T0_E_clISt17integral_constantIbLb0EES19_IbLb1EEEEDaS15_S16_EUlS15_E_NS1_11comp_targetILNS1_3genE8ELNS1_11target_archE1030ELNS1_3gpuE2ELNS1_3repE0EEENS1_30default_config_static_selectorELNS0_4arch9wavefront6targetE1EEEvT1_,"axG",@progbits,_ZN7rocprim17ROCPRIM_400000_NS6detail17trampoline_kernelINS0_14default_configENS1_25partition_config_selectorILNS1_17partition_subalgoE3EjNS0_10empty_typeEbEEZZNS1_14partition_implILS5_3ELb0ES3_jN6thrust23THRUST_200600_302600_NS6detail15normal_iteratorINSA_7pointerIjNSA_11hip_rocprim3tagENSA_11use_defaultESG_EEEEPS6_SJ_NS0_5tupleIJPjSJ_EEENSK_IJSJ_SJ_EEES6_PlJ7is_evenIjEEEE10hipError_tPvRmT3_T4_T5_T6_T7_T9_mT8_P12ihipStream_tbDpT10_ENKUlT_T0_E_clISt17integral_constantIbLb0EES19_IbLb1EEEEDaS15_S16_EUlS15_E_NS1_11comp_targetILNS1_3genE8ELNS1_11target_archE1030ELNS1_3gpuE2ELNS1_3repE0EEENS1_30default_config_static_selectorELNS0_4arch9wavefront6targetE1EEEvT1_,comdat
.Lfunc_end950:
	.size	_ZN7rocprim17ROCPRIM_400000_NS6detail17trampoline_kernelINS0_14default_configENS1_25partition_config_selectorILNS1_17partition_subalgoE3EjNS0_10empty_typeEbEEZZNS1_14partition_implILS5_3ELb0ES3_jN6thrust23THRUST_200600_302600_NS6detail15normal_iteratorINSA_7pointerIjNSA_11hip_rocprim3tagENSA_11use_defaultESG_EEEEPS6_SJ_NS0_5tupleIJPjSJ_EEENSK_IJSJ_SJ_EEES6_PlJ7is_evenIjEEEE10hipError_tPvRmT3_T4_T5_T6_T7_T9_mT8_P12ihipStream_tbDpT10_ENKUlT_T0_E_clISt17integral_constantIbLb0EES19_IbLb1EEEEDaS15_S16_EUlS15_E_NS1_11comp_targetILNS1_3genE8ELNS1_11target_archE1030ELNS1_3gpuE2ELNS1_3repE0EEENS1_30default_config_static_selectorELNS0_4arch9wavefront6targetE1EEEvT1_, .Lfunc_end950-_ZN7rocprim17ROCPRIM_400000_NS6detail17trampoline_kernelINS0_14default_configENS1_25partition_config_selectorILNS1_17partition_subalgoE3EjNS0_10empty_typeEbEEZZNS1_14partition_implILS5_3ELb0ES3_jN6thrust23THRUST_200600_302600_NS6detail15normal_iteratorINSA_7pointerIjNSA_11hip_rocprim3tagENSA_11use_defaultESG_EEEEPS6_SJ_NS0_5tupleIJPjSJ_EEENSK_IJSJ_SJ_EEES6_PlJ7is_evenIjEEEE10hipError_tPvRmT3_T4_T5_T6_T7_T9_mT8_P12ihipStream_tbDpT10_ENKUlT_T0_E_clISt17integral_constantIbLb0EES19_IbLb1EEEEDaS15_S16_EUlS15_E_NS1_11comp_targetILNS1_3genE8ELNS1_11target_archE1030ELNS1_3gpuE2ELNS1_3repE0EEENS1_30default_config_static_selectorELNS0_4arch9wavefront6targetE1EEEvT1_
                                        ; -- End function
	.section	.AMDGPU.csdata,"",@progbits
; Kernel info:
; codeLenInByte = 0
; NumSgprs: 6
; NumVgprs: 0
; NumAgprs: 0
; TotalNumVgprs: 0
; ScratchSize: 0
; MemoryBound: 0
; FloatMode: 240
; IeeeMode: 1
; LDSByteSize: 0 bytes/workgroup (compile time only)
; SGPRBlocks: 0
; VGPRBlocks: 0
; NumSGPRsForWavesPerEU: 6
; NumVGPRsForWavesPerEU: 1
; AccumOffset: 4
; Occupancy: 8
; WaveLimiterHint : 0
; COMPUTE_PGM_RSRC2:SCRATCH_EN: 0
; COMPUTE_PGM_RSRC2:USER_SGPR: 2
; COMPUTE_PGM_RSRC2:TRAP_HANDLER: 0
; COMPUTE_PGM_RSRC2:TGID_X_EN: 1
; COMPUTE_PGM_RSRC2:TGID_Y_EN: 0
; COMPUTE_PGM_RSRC2:TGID_Z_EN: 0
; COMPUTE_PGM_RSRC2:TIDIG_COMP_CNT: 0
; COMPUTE_PGM_RSRC3_GFX90A:ACCUM_OFFSET: 0
; COMPUTE_PGM_RSRC3_GFX90A:TG_SPLIT: 0
	.section	.text._ZN7rocprim17ROCPRIM_400000_NS6detail17trampoline_kernelINS0_13kernel_configILj256ELj4ELj4294967295EEENS1_37radix_sort_block_sort_config_selectorIjNS0_10empty_typeEEEZNS1_21radix_sort_block_sortIS4_Lb0EN6thrust23THRUST_200600_302600_NS6detail15normal_iteratorINSA_10device_ptrIjEEEESF_PS6_SG_NS0_19identity_decomposerEEE10hipError_tT1_T2_T3_T4_jRjT5_jjP12ihipStream_tbEUlT_E_NS1_11comp_targetILNS1_3genE0ELNS1_11target_archE4294967295ELNS1_3gpuE0ELNS1_3repE0EEENS1_44radix_sort_block_sort_config_static_selectorELNS0_4arch9wavefront6targetE1EEEvSJ_,"axG",@progbits,_ZN7rocprim17ROCPRIM_400000_NS6detail17trampoline_kernelINS0_13kernel_configILj256ELj4ELj4294967295EEENS1_37radix_sort_block_sort_config_selectorIjNS0_10empty_typeEEEZNS1_21radix_sort_block_sortIS4_Lb0EN6thrust23THRUST_200600_302600_NS6detail15normal_iteratorINSA_10device_ptrIjEEEESF_PS6_SG_NS0_19identity_decomposerEEE10hipError_tT1_T2_T3_T4_jRjT5_jjP12ihipStream_tbEUlT_E_NS1_11comp_targetILNS1_3genE0ELNS1_11target_archE4294967295ELNS1_3gpuE0ELNS1_3repE0EEENS1_44radix_sort_block_sort_config_static_selectorELNS0_4arch9wavefront6targetE1EEEvSJ_,comdat
	.protected	_ZN7rocprim17ROCPRIM_400000_NS6detail17trampoline_kernelINS0_13kernel_configILj256ELj4ELj4294967295EEENS1_37radix_sort_block_sort_config_selectorIjNS0_10empty_typeEEEZNS1_21radix_sort_block_sortIS4_Lb0EN6thrust23THRUST_200600_302600_NS6detail15normal_iteratorINSA_10device_ptrIjEEEESF_PS6_SG_NS0_19identity_decomposerEEE10hipError_tT1_T2_T3_T4_jRjT5_jjP12ihipStream_tbEUlT_E_NS1_11comp_targetILNS1_3genE0ELNS1_11target_archE4294967295ELNS1_3gpuE0ELNS1_3repE0EEENS1_44radix_sort_block_sort_config_static_selectorELNS0_4arch9wavefront6targetE1EEEvSJ_ ; -- Begin function _ZN7rocprim17ROCPRIM_400000_NS6detail17trampoline_kernelINS0_13kernel_configILj256ELj4ELj4294967295EEENS1_37radix_sort_block_sort_config_selectorIjNS0_10empty_typeEEEZNS1_21radix_sort_block_sortIS4_Lb0EN6thrust23THRUST_200600_302600_NS6detail15normal_iteratorINSA_10device_ptrIjEEEESF_PS6_SG_NS0_19identity_decomposerEEE10hipError_tT1_T2_T3_T4_jRjT5_jjP12ihipStream_tbEUlT_E_NS1_11comp_targetILNS1_3genE0ELNS1_11target_archE4294967295ELNS1_3gpuE0ELNS1_3repE0EEENS1_44radix_sort_block_sort_config_static_selectorELNS0_4arch9wavefront6targetE1EEEvSJ_
	.globl	_ZN7rocprim17ROCPRIM_400000_NS6detail17trampoline_kernelINS0_13kernel_configILj256ELj4ELj4294967295EEENS1_37radix_sort_block_sort_config_selectorIjNS0_10empty_typeEEEZNS1_21radix_sort_block_sortIS4_Lb0EN6thrust23THRUST_200600_302600_NS6detail15normal_iteratorINSA_10device_ptrIjEEEESF_PS6_SG_NS0_19identity_decomposerEEE10hipError_tT1_T2_T3_T4_jRjT5_jjP12ihipStream_tbEUlT_E_NS1_11comp_targetILNS1_3genE0ELNS1_11target_archE4294967295ELNS1_3gpuE0ELNS1_3repE0EEENS1_44radix_sort_block_sort_config_static_selectorELNS0_4arch9wavefront6targetE1EEEvSJ_
	.p2align	8
	.type	_ZN7rocprim17ROCPRIM_400000_NS6detail17trampoline_kernelINS0_13kernel_configILj256ELj4ELj4294967295EEENS1_37radix_sort_block_sort_config_selectorIjNS0_10empty_typeEEEZNS1_21radix_sort_block_sortIS4_Lb0EN6thrust23THRUST_200600_302600_NS6detail15normal_iteratorINSA_10device_ptrIjEEEESF_PS6_SG_NS0_19identity_decomposerEEE10hipError_tT1_T2_T3_T4_jRjT5_jjP12ihipStream_tbEUlT_E_NS1_11comp_targetILNS1_3genE0ELNS1_11target_archE4294967295ELNS1_3gpuE0ELNS1_3repE0EEENS1_44radix_sort_block_sort_config_static_selectorELNS0_4arch9wavefront6targetE1EEEvSJ_,@function
_ZN7rocprim17ROCPRIM_400000_NS6detail17trampoline_kernelINS0_13kernel_configILj256ELj4ELj4294967295EEENS1_37radix_sort_block_sort_config_selectorIjNS0_10empty_typeEEEZNS1_21radix_sort_block_sortIS4_Lb0EN6thrust23THRUST_200600_302600_NS6detail15normal_iteratorINSA_10device_ptrIjEEEESF_PS6_SG_NS0_19identity_decomposerEEE10hipError_tT1_T2_T3_T4_jRjT5_jjP12ihipStream_tbEUlT_E_NS1_11comp_targetILNS1_3genE0ELNS1_11target_archE4294967295ELNS1_3gpuE0ELNS1_3repE0EEENS1_44radix_sort_block_sort_config_static_selectorELNS0_4arch9wavefront6targetE1EEEvSJ_: ; @_ZN7rocprim17ROCPRIM_400000_NS6detail17trampoline_kernelINS0_13kernel_configILj256ELj4ELj4294967295EEENS1_37radix_sort_block_sort_config_selectorIjNS0_10empty_typeEEEZNS1_21radix_sort_block_sortIS4_Lb0EN6thrust23THRUST_200600_302600_NS6detail15normal_iteratorINSA_10device_ptrIjEEEESF_PS6_SG_NS0_19identity_decomposerEEE10hipError_tT1_T2_T3_T4_jRjT5_jjP12ihipStream_tbEUlT_E_NS1_11comp_targetILNS1_3genE0ELNS1_11target_archE4294967295ELNS1_3gpuE0ELNS1_3repE0EEENS1_44radix_sort_block_sort_config_static_selectorELNS0_4arch9wavefront6targetE1EEEvSJ_
; %bb.0:
	.section	.rodata,"a",@progbits
	.p2align	6, 0x0
	.amdhsa_kernel _ZN7rocprim17ROCPRIM_400000_NS6detail17trampoline_kernelINS0_13kernel_configILj256ELj4ELj4294967295EEENS1_37radix_sort_block_sort_config_selectorIjNS0_10empty_typeEEEZNS1_21radix_sort_block_sortIS4_Lb0EN6thrust23THRUST_200600_302600_NS6detail15normal_iteratorINSA_10device_ptrIjEEEESF_PS6_SG_NS0_19identity_decomposerEEE10hipError_tT1_T2_T3_T4_jRjT5_jjP12ihipStream_tbEUlT_E_NS1_11comp_targetILNS1_3genE0ELNS1_11target_archE4294967295ELNS1_3gpuE0ELNS1_3repE0EEENS1_44radix_sort_block_sort_config_static_selectorELNS0_4arch9wavefront6targetE1EEEvSJ_
		.amdhsa_group_segment_fixed_size 0
		.amdhsa_private_segment_fixed_size 0
		.amdhsa_kernarg_size 48
		.amdhsa_user_sgpr_count 2
		.amdhsa_user_sgpr_dispatch_ptr 0
		.amdhsa_user_sgpr_queue_ptr 0
		.amdhsa_user_sgpr_kernarg_segment_ptr 1
		.amdhsa_user_sgpr_dispatch_id 0
		.amdhsa_user_sgpr_kernarg_preload_length 0
		.amdhsa_user_sgpr_kernarg_preload_offset 0
		.amdhsa_user_sgpr_private_segment_size 0
		.amdhsa_uses_dynamic_stack 0
		.amdhsa_enable_private_segment 0
		.amdhsa_system_sgpr_workgroup_id_x 1
		.amdhsa_system_sgpr_workgroup_id_y 0
		.amdhsa_system_sgpr_workgroup_id_z 0
		.amdhsa_system_sgpr_workgroup_info 0
		.amdhsa_system_vgpr_workitem_id 0
		.amdhsa_next_free_vgpr 1
		.amdhsa_next_free_sgpr 0
		.amdhsa_accum_offset 4
		.amdhsa_reserve_vcc 0
		.amdhsa_float_round_mode_32 0
		.amdhsa_float_round_mode_16_64 0
		.amdhsa_float_denorm_mode_32 3
		.amdhsa_float_denorm_mode_16_64 3
		.amdhsa_dx10_clamp 1
		.amdhsa_ieee_mode 1
		.amdhsa_fp16_overflow 0
		.amdhsa_tg_split 0
		.amdhsa_exception_fp_ieee_invalid_op 0
		.amdhsa_exception_fp_denorm_src 0
		.amdhsa_exception_fp_ieee_div_zero 0
		.amdhsa_exception_fp_ieee_overflow 0
		.amdhsa_exception_fp_ieee_underflow 0
		.amdhsa_exception_fp_ieee_inexact 0
		.amdhsa_exception_int_div_zero 0
	.end_amdhsa_kernel
	.section	.text._ZN7rocprim17ROCPRIM_400000_NS6detail17trampoline_kernelINS0_13kernel_configILj256ELj4ELj4294967295EEENS1_37radix_sort_block_sort_config_selectorIjNS0_10empty_typeEEEZNS1_21radix_sort_block_sortIS4_Lb0EN6thrust23THRUST_200600_302600_NS6detail15normal_iteratorINSA_10device_ptrIjEEEESF_PS6_SG_NS0_19identity_decomposerEEE10hipError_tT1_T2_T3_T4_jRjT5_jjP12ihipStream_tbEUlT_E_NS1_11comp_targetILNS1_3genE0ELNS1_11target_archE4294967295ELNS1_3gpuE0ELNS1_3repE0EEENS1_44radix_sort_block_sort_config_static_selectorELNS0_4arch9wavefront6targetE1EEEvSJ_,"axG",@progbits,_ZN7rocprim17ROCPRIM_400000_NS6detail17trampoline_kernelINS0_13kernel_configILj256ELj4ELj4294967295EEENS1_37radix_sort_block_sort_config_selectorIjNS0_10empty_typeEEEZNS1_21radix_sort_block_sortIS4_Lb0EN6thrust23THRUST_200600_302600_NS6detail15normal_iteratorINSA_10device_ptrIjEEEESF_PS6_SG_NS0_19identity_decomposerEEE10hipError_tT1_T2_T3_T4_jRjT5_jjP12ihipStream_tbEUlT_E_NS1_11comp_targetILNS1_3genE0ELNS1_11target_archE4294967295ELNS1_3gpuE0ELNS1_3repE0EEENS1_44radix_sort_block_sort_config_static_selectorELNS0_4arch9wavefront6targetE1EEEvSJ_,comdat
.Lfunc_end951:
	.size	_ZN7rocprim17ROCPRIM_400000_NS6detail17trampoline_kernelINS0_13kernel_configILj256ELj4ELj4294967295EEENS1_37radix_sort_block_sort_config_selectorIjNS0_10empty_typeEEEZNS1_21radix_sort_block_sortIS4_Lb0EN6thrust23THRUST_200600_302600_NS6detail15normal_iteratorINSA_10device_ptrIjEEEESF_PS6_SG_NS0_19identity_decomposerEEE10hipError_tT1_T2_T3_T4_jRjT5_jjP12ihipStream_tbEUlT_E_NS1_11comp_targetILNS1_3genE0ELNS1_11target_archE4294967295ELNS1_3gpuE0ELNS1_3repE0EEENS1_44radix_sort_block_sort_config_static_selectorELNS0_4arch9wavefront6targetE1EEEvSJ_, .Lfunc_end951-_ZN7rocprim17ROCPRIM_400000_NS6detail17trampoline_kernelINS0_13kernel_configILj256ELj4ELj4294967295EEENS1_37radix_sort_block_sort_config_selectorIjNS0_10empty_typeEEEZNS1_21radix_sort_block_sortIS4_Lb0EN6thrust23THRUST_200600_302600_NS6detail15normal_iteratorINSA_10device_ptrIjEEEESF_PS6_SG_NS0_19identity_decomposerEEE10hipError_tT1_T2_T3_T4_jRjT5_jjP12ihipStream_tbEUlT_E_NS1_11comp_targetILNS1_3genE0ELNS1_11target_archE4294967295ELNS1_3gpuE0ELNS1_3repE0EEENS1_44radix_sort_block_sort_config_static_selectorELNS0_4arch9wavefront6targetE1EEEvSJ_
                                        ; -- End function
	.section	.AMDGPU.csdata,"",@progbits
; Kernel info:
; codeLenInByte = 0
; NumSgprs: 6
; NumVgprs: 0
; NumAgprs: 0
; TotalNumVgprs: 0
; ScratchSize: 0
; MemoryBound: 0
; FloatMode: 240
; IeeeMode: 1
; LDSByteSize: 0 bytes/workgroup (compile time only)
; SGPRBlocks: 0
; VGPRBlocks: 0
; NumSGPRsForWavesPerEU: 6
; NumVGPRsForWavesPerEU: 1
; AccumOffset: 4
; Occupancy: 8
; WaveLimiterHint : 0
; COMPUTE_PGM_RSRC2:SCRATCH_EN: 0
; COMPUTE_PGM_RSRC2:USER_SGPR: 2
; COMPUTE_PGM_RSRC2:TRAP_HANDLER: 0
; COMPUTE_PGM_RSRC2:TGID_X_EN: 1
; COMPUTE_PGM_RSRC2:TGID_Y_EN: 0
; COMPUTE_PGM_RSRC2:TGID_Z_EN: 0
; COMPUTE_PGM_RSRC2:TIDIG_COMP_CNT: 0
; COMPUTE_PGM_RSRC3_GFX90A:ACCUM_OFFSET: 0
; COMPUTE_PGM_RSRC3_GFX90A:TG_SPLIT: 0
	.section	.text._ZN7rocprim17ROCPRIM_400000_NS6detail17trampoline_kernelINS0_13kernel_configILj256ELj4ELj4294967295EEENS1_37radix_sort_block_sort_config_selectorIjNS0_10empty_typeEEEZNS1_21radix_sort_block_sortIS4_Lb0EN6thrust23THRUST_200600_302600_NS6detail15normal_iteratorINSA_10device_ptrIjEEEESF_PS6_SG_NS0_19identity_decomposerEEE10hipError_tT1_T2_T3_T4_jRjT5_jjP12ihipStream_tbEUlT_E_NS1_11comp_targetILNS1_3genE5ELNS1_11target_archE942ELNS1_3gpuE9ELNS1_3repE0EEENS1_44radix_sort_block_sort_config_static_selectorELNS0_4arch9wavefront6targetE1EEEvSJ_,"axG",@progbits,_ZN7rocprim17ROCPRIM_400000_NS6detail17trampoline_kernelINS0_13kernel_configILj256ELj4ELj4294967295EEENS1_37radix_sort_block_sort_config_selectorIjNS0_10empty_typeEEEZNS1_21radix_sort_block_sortIS4_Lb0EN6thrust23THRUST_200600_302600_NS6detail15normal_iteratorINSA_10device_ptrIjEEEESF_PS6_SG_NS0_19identity_decomposerEEE10hipError_tT1_T2_T3_T4_jRjT5_jjP12ihipStream_tbEUlT_E_NS1_11comp_targetILNS1_3genE5ELNS1_11target_archE942ELNS1_3gpuE9ELNS1_3repE0EEENS1_44radix_sort_block_sort_config_static_selectorELNS0_4arch9wavefront6targetE1EEEvSJ_,comdat
	.protected	_ZN7rocprim17ROCPRIM_400000_NS6detail17trampoline_kernelINS0_13kernel_configILj256ELj4ELj4294967295EEENS1_37radix_sort_block_sort_config_selectorIjNS0_10empty_typeEEEZNS1_21radix_sort_block_sortIS4_Lb0EN6thrust23THRUST_200600_302600_NS6detail15normal_iteratorINSA_10device_ptrIjEEEESF_PS6_SG_NS0_19identity_decomposerEEE10hipError_tT1_T2_T3_T4_jRjT5_jjP12ihipStream_tbEUlT_E_NS1_11comp_targetILNS1_3genE5ELNS1_11target_archE942ELNS1_3gpuE9ELNS1_3repE0EEENS1_44radix_sort_block_sort_config_static_selectorELNS0_4arch9wavefront6targetE1EEEvSJ_ ; -- Begin function _ZN7rocprim17ROCPRIM_400000_NS6detail17trampoline_kernelINS0_13kernel_configILj256ELj4ELj4294967295EEENS1_37radix_sort_block_sort_config_selectorIjNS0_10empty_typeEEEZNS1_21radix_sort_block_sortIS4_Lb0EN6thrust23THRUST_200600_302600_NS6detail15normal_iteratorINSA_10device_ptrIjEEEESF_PS6_SG_NS0_19identity_decomposerEEE10hipError_tT1_T2_T3_T4_jRjT5_jjP12ihipStream_tbEUlT_E_NS1_11comp_targetILNS1_3genE5ELNS1_11target_archE942ELNS1_3gpuE9ELNS1_3repE0EEENS1_44radix_sort_block_sort_config_static_selectorELNS0_4arch9wavefront6targetE1EEEvSJ_
	.globl	_ZN7rocprim17ROCPRIM_400000_NS6detail17trampoline_kernelINS0_13kernel_configILj256ELj4ELj4294967295EEENS1_37radix_sort_block_sort_config_selectorIjNS0_10empty_typeEEEZNS1_21radix_sort_block_sortIS4_Lb0EN6thrust23THRUST_200600_302600_NS6detail15normal_iteratorINSA_10device_ptrIjEEEESF_PS6_SG_NS0_19identity_decomposerEEE10hipError_tT1_T2_T3_T4_jRjT5_jjP12ihipStream_tbEUlT_E_NS1_11comp_targetILNS1_3genE5ELNS1_11target_archE942ELNS1_3gpuE9ELNS1_3repE0EEENS1_44radix_sort_block_sort_config_static_selectorELNS0_4arch9wavefront6targetE1EEEvSJ_
	.p2align	8
	.type	_ZN7rocprim17ROCPRIM_400000_NS6detail17trampoline_kernelINS0_13kernel_configILj256ELj4ELj4294967295EEENS1_37radix_sort_block_sort_config_selectorIjNS0_10empty_typeEEEZNS1_21radix_sort_block_sortIS4_Lb0EN6thrust23THRUST_200600_302600_NS6detail15normal_iteratorINSA_10device_ptrIjEEEESF_PS6_SG_NS0_19identity_decomposerEEE10hipError_tT1_T2_T3_T4_jRjT5_jjP12ihipStream_tbEUlT_E_NS1_11comp_targetILNS1_3genE5ELNS1_11target_archE942ELNS1_3gpuE9ELNS1_3repE0EEENS1_44radix_sort_block_sort_config_static_selectorELNS0_4arch9wavefront6targetE1EEEvSJ_,@function
_ZN7rocprim17ROCPRIM_400000_NS6detail17trampoline_kernelINS0_13kernel_configILj256ELj4ELj4294967295EEENS1_37radix_sort_block_sort_config_selectorIjNS0_10empty_typeEEEZNS1_21radix_sort_block_sortIS4_Lb0EN6thrust23THRUST_200600_302600_NS6detail15normal_iteratorINSA_10device_ptrIjEEEESF_PS6_SG_NS0_19identity_decomposerEEE10hipError_tT1_T2_T3_T4_jRjT5_jjP12ihipStream_tbEUlT_E_NS1_11comp_targetILNS1_3genE5ELNS1_11target_archE942ELNS1_3gpuE9ELNS1_3repE0EEENS1_44radix_sort_block_sort_config_static_selectorELNS0_4arch9wavefront6targetE1EEEvSJ_: ; @_ZN7rocprim17ROCPRIM_400000_NS6detail17trampoline_kernelINS0_13kernel_configILj256ELj4ELj4294967295EEENS1_37radix_sort_block_sort_config_selectorIjNS0_10empty_typeEEEZNS1_21radix_sort_block_sortIS4_Lb0EN6thrust23THRUST_200600_302600_NS6detail15normal_iteratorINSA_10device_ptrIjEEEESF_PS6_SG_NS0_19identity_decomposerEEE10hipError_tT1_T2_T3_T4_jRjT5_jjP12ihipStream_tbEUlT_E_NS1_11comp_targetILNS1_3genE5ELNS1_11target_archE942ELNS1_3gpuE9ELNS1_3repE0EEENS1_44radix_sort_block_sort_config_static_selectorELNS0_4arch9wavefront6targetE1EEEvSJ_
; %bb.0:
	s_load_dword s6, s[0:1], 0x20
	s_load_dwordx4 s[28:31], s[0:1], 0x0
	s_lshl_b32 s4, s2, 10
	s_mov_b32 s5, 0
	v_mbcnt_lo_u32_b32 v1, -1, 0
	s_waitcnt lgkmcnt(0)
	s_lshr_b32 s3, s6, 10
	s_cmp_lg_u32 s2, s3
	v_and_b32_e32 v8, 0x3ff, v0
	s_cselect_b64 s[34:35], -1, 0
	s_lshl_b64 s[36:37], s[4:5], 2
	v_mbcnt_hi_u32_b32 v1, -1, v1
	s_add_u32 s8, s28, s36
	v_and_b32_e32 v11, 63, v1
	v_lshlrev_b32_e32 v10, 2, v8
	s_addc_u32 s9, s29, s37
	v_and_b32_e32 v12, 0x300, v10
	v_lshlrev_b32_e32 v2, 2, v11
	v_mov_b32_e32 v3, 0
	v_lshl_add_u64 v[4:5], s[8:9], 0, v[2:3]
	v_lshlrev_b32_e32 v2, 2, v12
	s_cmp_eq_u32 s2, s3
	v_lshl_add_u64 v[2:3], v[4:5], 0, v[2:3]
	v_or_b32_e32 v9, v11, v12
	s_cbranch_scc1 .LBB952_2
; %bb.1:
	global_load_dword v4, v[2:3], off
	global_load_dword v5, v[2:3], off offset:256
	global_load_dword v6, v[2:3], off offset:512
	;; [unrolled: 1-line block ×3, first 2 shown]
	v_or_b32_e32 v15, v11, v12
	v_or_b32_e32 v12, 64, v15
	;; [unrolled: 1-line block ×4, first 2 shown]
	s_load_dwordx2 s[28:29], s[0:1], 0x28
	s_sub_i32 s33, s6, s4
	s_cbranch_execz .LBB952_3
	s_branch .LBB952_12
.LBB952_2:
                                        ; implicit-def: $vgpr4_vgpr5_vgpr6_vgpr7
                                        ; implicit-def: $vgpr15
                                        ; implicit-def: $vgpr12
                                        ; implicit-def: $vgpr13
                                        ; implicit-def: $vgpr14
	s_load_dwordx2 s[28:29], s[0:1], 0x28
	s_sub_i32 s33, s6, s4
.LBB952_3:
	s_mov_b32 s4, -1
	s_mov_b32 s5, s4
	s_mov_b32 s6, s4
	;; [unrolled: 1-line block ×3, first 2 shown]
	s_waitcnt vmcnt(0)
	v_mov_b64_e32 v[4:5], s[4:5]
	v_cmp_gt_u32_e32 vcc, s33, v9
	v_mov_b64_e32 v[6:7], s[6:7]
	s_and_saveexec_b64 s[2:3], vcc
	s_cbranch_execz .LBB952_5
; %bb.4:
	global_load_dword v4, v[2:3], off
	v_mov_b32_e32 v5, -1
	v_mov_b32_e32 v6, v5
	v_mov_b32_e32 v7, v5
.LBB952_5:
	s_or_b64 exec, exec, s[2:3]
	v_or_b32_e32 v12, 64, v9
	v_cmp_gt_u32_e32 vcc, s33, v12
	s_and_saveexec_b64 s[2:3], vcc
	s_cbranch_execz .LBB952_7
; %bb.6:
	global_load_dword v5, v[2:3], off offset:256
.LBB952_7:
	s_or_b64 exec, exec, s[2:3]
	v_or_b32_e32 v13, 0x80, v9
	v_cmp_gt_u32_e32 vcc, s33, v13
	s_and_saveexec_b64 s[2:3], vcc
	s_cbranch_execz .LBB952_9
; %bb.8:
	global_load_dword v6, v[2:3], off offset:512
.LBB952_9:
	;; [unrolled: 8-line block ×3, first 2 shown]
	s_or_b64 exec, exec, s[2:3]
	v_mov_b32_e32 v15, v9
.LBB952_12:
	s_load_dword s2, s[0:1], 0x3c
	s_waitcnt lgkmcnt(0)
	s_add_i32 s38, s29, s28
	s_getpc_b64 s[0:1]
	s_add_u32 s0, s0, _ZN7rocprim17ROCPRIM_400000_NS16block_radix_sortIjLj256ELj4ENS0_10empty_typeELj1ELj1ELj0ELNS0_26block_radix_rank_algorithmE1ELNS0_18block_padding_hintE2ELNS0_4arch9wavefront6targetE1EE19radix_bits_per_passE@rel32@lo+4
	s_addc_u32 s1, s1, _ZN7rocprim17ROCPRIM_400000_NS16block_radix_sortIjLj256ELj4ENS0_10empty_typeELj1ELj1ELj0ELNS0_26block_radix_rank_algorithmE1ELNS0_18block_padding_hintE2ELNS0_4arch9wavefront6targetE1EE19radix_bits_per_passE@rel32@hi+12
	s_load_dword s39, s[0:1], 0x0
	v_bfe_u32 v2, v0, 10, 10
	s_lshr_b32 s0, s2, 16
	v_bfe_u32 v0, v0, 20, 10
	s_and_b32 s1, s2, 0xffff
	v_mad_u32_u24 v0, v0, s0, v2
	v_mad_u64_u32 v[2:3], s[0:1], v0, s1, v[8:9]
	v_and_b32_e32 v0, 15, v1
	v_cmp_eq_u32_e64 s[0:1], 0, v0
	v_cmp_lt_u32_e64 s[2:3], 1, v0
	v_cmp_lt_u32_e64 s[4:5], 3, v0
	;; [unrolled: 1-line block ×3, first 2 shown]
	v_and_b32_e32 v0, 16, v1
	v_cmp_eq_u32_e64 s[8:9], 0, v0
	v_and_b32_e32 v0, 0x3c0, v8
	v_min_u32_e32 v0, 0xc0, v0
	v_or_b32_e32 v0, 63, v0
	v_lshrrev_b32_e32 v11, 6, v2
	v_cmp_eq_u32_e64 s[12:13], v0, v8
	v_add_u32_e32 v0, -1, v1
	v_and_b32_e32 v2, 64, v1
	v_cmp_lt_i32_e32 vcc, v0, v2
	s_mov_b32 s26, 0
	s_mov_b32 s27, s26
	v_cndmask_b32_e32 v0, v0, v1, vcc
	v_lshlrev_b32_e32 v19, 2, v0
	v_lshrrev_b32_e32 v0, 4, v8
	v_and_b32_e32 v20, 60, v0
	v_and_b32_e32 v0, 3, v1
	s_mov_b32 s40, s26
	s_mov_b32 s41, s26
	v_lshlrev_b32_e32 v9, 2, v10
	v_cmp_lt_u32_e64 s[10:11], 31, v1
	v_cmp_gt_u32_e64 s[14:15], 4, v8
	v_cmp_lt_u32_e64 s[16:17], 63, v8
	v_cmp_eq_u32_e64 s[18:19], 0, v1
	v_cmp_eq_u32_e64 s[20:21], 0, v8
	v_mul_i32_i24_e32 v18, -12, v8
	v_cmp_eq_u32_e64 s[22:23], 0, v0
	v_cmp_lt_u32_e64 s[24:25], 1, v0
	v_add_u32_e32 v21, -4, v20
	v_lshlrev_b32_e32 v22, 2, v15
	v_lshlrev_b32_e32 v23, 2, v12
	;; [unrolled: 1-line block ×4, first 2 shown]
	v_mov_b64_e32 v[12:13], s[26:27]
	v_mov_b64_e32 v[14:15], s[40:41]
	v_mov_b32_e32 v17, 0
	s_branch .LBB952_14
.LBB952_13:                             ;   in Loop: Header=BB952_14 Depth=1
	s_barrier
	ds_write_b32 v26, v0
	ds_write_b32 v27, v1
	;; [unrolled: 1-line block ×4, first 2 shown]
	s_waitcnt lgkmcnt(0)
	s_barrier
	ds_read_b32 v4, v22
	ds_read_b32 v5, v23
	ds_read_b32 v6, v24
	ds_read_b32 v7, v25
	s_add_i32 s29, s29, -8
	s_waitcnt lgkmcnt(0)
	s_barrier
	s_cbranch_execz .LBB952_30
.LBB952_14:                             ; =>This Inner Loop Header: Depth=1
	s_waitcnt lgkmcnt(0)
	s_min_u32 s26, s39, s29
	s_waitcnt vmcnt(0)
	v_mov_b64_e32 v[0:1], v[4:5]
	s_lshl_b32 s26, -1, s26
	v_mov_b64_e32 v[2:3], v[6:7]
	s_not_b32 s40, s26
	v_lshrrev_b32_e32 v4, s28, v0
	v_and_b32_e32 v6, s40, v4
	v_lshl_add_u32 v4, v6, 2, v11
	v_and_b32_e32 v16, 1, v6
	v_lshl_add_u32 v26, v4, 2, 16
	v_lshl_add_u64 v[4:5], v[16:17], 0, -1
	v_cmp_ne_u32_e32 vcc, 0, v16
	ds_write2_b64 v9, v[12:13], v[14:15] offset0:2 offset1:3
	s_waitcnt lgkmcnt(0)
	v_xor_b32_e32 v5, vcc_hi, v5
	v_xor_b32_e32 v4, vcc_lo, v4
	v_and_b32_e32 v7, exec_hi, v5
	v_and_b32_e32 v16, exec_lo, v4
	v_lshlrev_b32_e32 v5, 30, v6
	v_mov_b32_e32 v4, v17
	v_cmp_gt_i64_e32 vcc, 0, v[4:5]
	v_not_b32_e32 v4, v5
	v_ashrrev_i32_e32 v4, 31, v4
	v_xor_b32_e32 v5, vcc_hi, v4
	v_xor_b32_e32 v4, vcc_lo, v4
	v_and_b32_e32 v7, v7, v5
	v_and_b32_e32 v16, v16, v4
	v_lshlrev_b32_e32 v5, 29, v6
	v_mov_b32_e32 v4, v17
	v_cmp_gt_i64_e32 vcc, 0, v[4:5]
	v_not_b32_e32 v4, v5
	v_ashrrev_i32_e32 v4, 31, v4
	v_xor_b32_e32 v5, vcc_hi, v4
	v_xor_b32_e32 v4, vcc_lo, v4
	v_and_b32_e32 v7, v7, v5
	v_and_b32_e32 v16, v16, v4
	;; [unrolled: 9-line block ×7, first 2 shown]
	v_mbcnt_lo_u32_b32 v6, v4, 0
	v_mbcnt_hi_u32_b32 v27, v5, v6
	v_cmp_eq_u32_e32 vcc, 0, v27
	v_cmp_ne_u64_e64 s[26:27], 0, v[4:5]
	s_and_b64 s[42:43], s[26:27], vcc
	s_barrier
	s_waitcnt lgkmcnt(0)
	; wave barrier
	s_and_saveexec_b64 s[26:27], s[42:43]
	s_cbranch_execz .LBB952_16
; %bb.15:                               ;   in Loop: Header=BB952_14 Depth=1
	v_bcnt_u32_b32 v4, v4, 0
	v_bcnt_u32_b32 v4, v5, v4
	ds_write_b32 v26, v4
.LBB952_16:                             ;   in Loop: Header=BB952_14 Depth=1
	s_or_b64 exec, exec, s[26:27]
	v_lshrrev_b32_e32 v4, s28, v1
	v_and_b32_e32 v6, s40, v4
	v_lshlrev_b32_e32 v4, 2, v6
	v_add_lshl_u32 v4, v4, v11, 2
	v_and_b32_e32 v16, 1, v6
	; wave barrier
	v_add_u32_e32 v29, 16, v4
	ds_read_b32 v28, v4 offset:16
	v_lshl_add_u64 v[4:5], v[16:17], 0, -1
	v_cmp_ne_u32_e32 vcc, 0, v16
	; wave barrier
	s_nop 1
	v_xor_b32_e32 v5, vcc_hi, v5
	v_xor_b32_e32 v4, vcc_lo, v4
	v_and_b32_e32 v7, exec_hi, v5
	v_and_b32_e32 v16, exec_lo, v4
	v_lshlrev_b32_e32 v5, 30, v6
	v_mov_b32_e32 v4, v17
	v_cmp_gt_i64_e32 vcc, 0, v[4:5]
	v_not_b32_e32 v4, v5
	v_ashrrev_i32_e32 v4, 31, v4
	v_xor_b32_e32 v5, vcc_hi, v4
	v_xor_b32_e32 v4, vcc_lo, v4
	v_and_b32_e32 v7, v7, v5
	v_and_b32_e32 v16, v16, v4
	v_lshlrev_b32_e32 v5, 29, v6
	v_mov_b32_e32 v4, v17
	v_cmp_gt_i64_e32 vcc, 0, v[4:5]
	v_not_b32_e32 v4, v5
	v_ashrrev_i32_e32 v4, 31, v4
	v_xor_b32_e32 v5, vcc_hi, v4
	v_xor_b32_e32 v4, vcc_lo, v4
	v_and_b32_e32 v7, v7, v5
	v_and_b32_e32 v16, v16, v4
	;; [unrolled: 9-line block ×7, first 2 shown]
	v_mbcnt_lo_u32_b32 v6, v4, 0
	v_mbcnt_hi_u32_b32 v30, v5, v6
	v_cmp_eq_u32_e32 vcc, 0, v30
	v_cmp_ne_u64_e64 s[26:27], 0, v[4:5]
	s_and_b64 s[42:43], s[26:27], vcc
	s_and_saveexec_b64 s[26:27], s[42:43]
	s_cbranch_execz .LBB952_18
; %bb.17:                               ;   in Loop: Header=BB952_14 Depth=1
	v_bcnt_u32_b32 v4, v4, 0
	v_bcnt_u32_b32 v4, v5, v4
	s_waitcnt lgkmcnt(0)
	v_add_u32_e32 v4, v28, v4
	ds_write_b32 v29, v4
.LBB952_18:                             ;   in Loop: Header=BB952_14 Depth=1
	s_or_b64 exec, exec, s[26:27]
	v_lshrrev_b32_e32 v4, s28, v2
	v_and_b32_e32 v6, s40, v4
	v_lshlrev_b32_e32 v4, 2, v6
	v_add_lshl_u32 v4, v4, v11, 2
	v_and_b32_e32 v16, 1, v6
	; wave barrier
	v_add_u32_e32 v32, 16, v4
	ds_read_b32 v31, v4 offset:16
	v_lshl_add_u64 v[4:5], v[16:17], 0, -1
	v_cmp_ne_u32_e32 vcc, 0, v16
	; wave barrier
	s_nop 1
	v_xor_b32_e32 v5, vcc_hi, v5
	v_xor_b32_e32 v4, vcc_lo, v4
	v_and_b32_e32 v7, exec_hi, v5
	v_and_b32_e32 v16, exec_lo, v4
	v_lshlrev_b32_e32 v5, 30, v6
	v_mov_b32_e32 v4, v17
	v_cmp_gt_i64_e32 vcc, 0, v[4:5]
	v_not_b32_e32 v4, v5
	v_ashrrev_i32_e32 v4, 31, v4
	v_xor_b32_e32 v5, vcc_hi, v4
	v_xor_b32_e32 v4, vcc_lo, v4
	v_and_b32_e32 v7, v7, v5
	v_and_b32_e32 v16, v16, v4
	v_lshlrev_b32_e32 v5, 29, v6
	v_mov_b32_e32 v4, v17
	v_cmp_gt_i64_e32 vcc, 0, v[4:5]
	v_not_b32_e32 v4, v5
	v_ashrrev_i32_e32 v4, 31, v4
	v_xor_b32_e32 v5, vcc_hi, v4
	v_xor_b32_e32 v4, vcc_lo, v4
	v_and_b32_e32 v7, v7, v5
	v_and_b32_e32 v16, v16, v4
	;; [unrolled: 9-line block ×7, first 2 shown]
	v_mbcnt_lo_u32_b32 v6, v4, 0
	v_mbcnt_hi_u32_b32 v33, v5, v6
	v_cmp_eq_u32_e32 vcc, 0, v33
	v_cmp_ne_u64_e64 s[26:27], 0, v[4:5]
	s_and_b64 s[42:43], s[26:27], vcc
	s_and_saveexec_b64 s[26:27], s[42:43]
	s_cbranch_execz .LBB952_20
; %bb.19:                               ;   in Loop: Header=BB952_14 Depth=1
	v_bcnt_u32_b32 v4, v4, 0
	v_bcnt_u32_b32 v4, v5, v4
	s_waitcnt lgkmcnt(0)
	v_add_u32_e32 v4, v31, v4
	ds_write_b32 v32, v4
.LBB952_20:                             ;   in Loop: Header=BB952_14 Depth=1
	s_or_b64 exec, exec, s[26:27]
	v_lshrrev_b32_e32 v4, s28, v3
	v_and_b32_e32 v6, s40, v4
	v_lshlrev_b32_e32 v4, 2, v6
	v_add_lshl_u32 v4, v4, v11, 2
	v_and_b32_e32 v16, 1, v6
	; wave barrier
	v_add_u32_e32 v35, 16, v4
	ds_read_b32 v34, v4 offset:16
	v_lshl_add_u64 v[4:5], v[16:17], 0, -1
	v_cmp_ne_u32_e32 vcc, 0, v16
	; wave barrier
	s_nop 1
	v_xor_b32_e32 v5, vcc_hi, v5
	v_xor_b32_e32 v4, vcc_lo, v4
	v_and_b32_e32 v7, exec_hi, v5
	v_and_b32_e32 v16, exec_lo, v4
	v_lshlrev_b32_e32 v5, 30, v6
	v_mov_b32_e32 v4, v17
	v_cmp_gt_i64_e32 vcc, 0, v[4:5]
	v_not_b32_e32 v4, v5
	v_ashrrev_i32_e32 v4, 31, v4
	v_xor_b32_e32 v5, vcc_hi, v4
	v_xor_b32_e32 v4, vcc_lo, v4
	v_and_b32_e32 v7, v7, v5
	v_and_b32_e32 v16, v16, v4
	v_lshlrev_b32_e32 v5, 29, v6
	v_mov_b32_e32 v4, v17
	v_cmp_gt_i64_e32 vcc, 0, v[4:5]
	v_not_b32_e32 v4, v5
	v_ashrrev_i32_e32 v4, 31, v4
	v_xor_b32_e32 v5, vcc_hi, v4
	v_xor_b32_e32 v4, vcc_lo, v4
	v_and_b32_e32 v7, v7, v5
	v_and_b32_e32 v16, v16, v4
	v_lshlrev_b32_e32 v5, 28, v6
	v_mov_b32_e32 v4, v17
	v_cmp_gt_i64_e32 vcc, 0, v[4:5]
	v_not_b32_e32 v4, v5
	v_ashrrev_i32_e32 v4, 31, v4
	v_xor_b32_e32 v5, vcc_hi, v4
	v_xor_b32_e32 v4, vcc_lo, v4
	v_and_b32_e32 v7, v7, v5
	v_and_b32_e32 v16, v16, v4
	v_lshlrev_b32_e32 v5, 27, v6
	v_mov_b32_e32 v4, v17
	v_cmp_gt_i64_e32 vcc, 0, v[4:5]
	v_not_b32_e32 v4, v5
	v_ashrrev_i32_e32 v4, 31, v4
	v_xor_b32_e32 v5, vcc_hi, v4
	v_xor_b32_e32 v4, vcc_lo, v4
	v_and_b32_e32 v7, v7, v5
	v_and_b32_e32 v16, v16, v4
	v_lshlrev_b32_e32 v5, 26, v6
	v_mov_b32_e32 v4, v17
	v_cmp_gt_i64_e32 vcc, 0, v[4:5]
	v_not_b32_e32 v4, v5
	v_ashrrev_i32_e32 v4, 31, v4
	v_xor_b32_e32 v5, vcc_hi, v4
	v_xor_b32_e32 v4, vcc_lo, v4
	v_and_b32_e32 v7, v7, v5
	v_and_b32_e32 v16, v16, v4
	v_lshlrev_b32_e32 v5, 25, v6
	v_mov_b32_e32 v4, v17
	v_cmp_gt_i64_e32 vcc, 0, v[4:5]
	v_not_b32_e32 v4, v5
	v_ashrrev_i32_e32 v4, 31, v4
	v_xor_b32_e32 v5, vcc_hi, v4
	v_xor_b32_e32 v4, vcc_lo, v4
	v_and_b32_e32 v7, v7, v5
	v_and_b32_e32 v16, v16, v4
	v_lshlrev_b32_e32 v5, 24, v6
	v_mov_b32_e32 v4, v17
	v_cmp_gt_i64_e32 vcc, 0, v[4:5]
	v_not_b32_e32 v4, v5
	v_ashrrev_i32_e32 v4, 31, v4
	v_xor_b32_e32 v5, vcc_hi, v4
	v_xor_b32_e32 v4, vcc_lo, v4
	v_and_b32_e32 v4, v16, v4
	v_and_b32_e32 v5, v7, v5
	v_mbcnt_lo_u32_b32 v6, v4, 0
	v_mbcnt_hi_u32_b32 v16, v5, v6
	v_cmp_eq_u32_e32 vcc, 0, v16
	v_cmp_ne_u64_e64 s[26:27], 0, v[4:5]
	s_and_b64 s[40:41], s[26:27], vcc
	s_and_saveexec_b64 s[26:27], s[40:41]
	s_cbranch_execz .LBB952_22
; %bb.21:                               ;   in Loop: Header=BB952_14 Depth=1
	v_bcnt_u32_b32 v4, v4, 0
	v_bcnt_u32_b32 v4, v5, v4
	s_waitcnt lgkmcnt(0)
	v_add_u32_e32 v4, v34, v4
	ds_write_b32 v35, v4
.LBB952_22:                             ;   in Loop: Header=BB952_14 Depth=1
	s_or_b64 exec, exec, s[26:27]
	; wave barrier
	s_waitcnt lgkmcnt(0)
	s_barrier
	ds_read2_b64 v[4:7], v9 offset0:2 offset1:3
	s_waitcnt lgkmcnt(0)
	v_add_u32_e32 v36, v5, v4
	v_add3_u32 v7, v36, v6, v7
	s_nop 1
	v_mov_b32_dpp v36, v7 row_shr:1 row_mask:0xf bank_mask:0xf
	v_cndmask_b32_e64 v36, v36, 0, s[0:1]
	v_add_u32_e32 v7, v36, v7
	s_nop 1
	v_mov_b32_dpp v36, v7 row_shr:2 row_mask:0xf bank_mask:0xf
	v_cndmask_b32_e64 v36, 0, v36, s[2:3]
	v_add_u32_e32 v7, v7, v36
	;; [unrolled: 4-line block ×4, first 2 shown]
	s_nop 1
	v_mov_b32_dpp v36, v7 row_bcast:15 row_mask:0xf bank_mask:0xf
	v_cndmask_b32_e64 v36, v36, 0, s[8:9]
	v_add_u32_e32 v7, v7, v36
	s_nop 1
	v_mov_b32_dpp v36, v7 row_bcast:31 row_mask:0xf bank_mask:0xf
	v_cndmask_b32_e64 v36, 0, v36, s[10:11]
	v_add_u32_e32 v7, v7, v36
	s_and_saveexec_b64 s[26:27], s[12:13]
	s_cbranch_execz .LBB952_24
; %bb.23:                               ;   in Loop: Header=BB952_14 Depth=1
	ds_write_b32 v20, v7
.LBB952_24:                             ;   in Loop: Header=BB952_14 Depth=1
	s_or_b64 exec, exec, s[26:27]
	s_waitcnt lgkmcnt(0)
	s_barrier
	s_and_saveexec_b64 s[26:27], s[14:15]
	s_cbranch_execz .LBB952_26
; %bb.25:                               ;   in Loop: Header=BB952_14 Depth=1
	v_add_u32_e32 v36, v9, v18
	ds_read_b32 v37, v36
	s_waitcnt lgkmcnt(0)
	s_nop 0
	v_mov_b32_dpp v38, v37 row_shr:1 row_mask:0xf bank_mask:0xf
	v_cndmask_b32_e64 v38, v38, 0, s[22:23]
	v_add_u32_e32 v37, v38, v37
	s_nop 1
	v_mov_b32_dpp v38, v37 row_shr:2 row_mask:0xf bank_mask:0xf
	v_cndmask_b32_e64 v38, 0, v38, s[24:25]
	v_add_u32_e32 v37, v37, v38
	ds_write_b32 v36, v37
.LBB952_26:                             ;   in Loop: Header=BB952_14 Depth=1
	s_or_b64 exec, exec, s[26:27]
	v_mov_b32_e32 v36, 0
	s_waitcnt lgkmcnt(0)
	s_barrier
	s_and_saveexec_b64 s[26:27], s[16:17]
	s_cbranch_execz .LBB952_28
; %bb.27:                               ;   in Loop: Header=BB952_14 Depth=1
	ds_read_b32 v36, v21
.LBB952_28:                             ;   in Loop: Header=BB952_14 Depth=1
	s_or_b64 exec, exec, s[26:27]
	s_waitcnt lgkmcnt(0)
	v_add_u32_e32 v7, v36, v7
	ds_bpermute_b32 v7, v19, v7
	s_add_i32 s28, s28, 8
	s_cmp_ge_u32 s28, s38
	s_waitcnt lgkmcnt(0)
	v_cndmask_b32_e64 v7, v7, v36, s[18:19]
	v_cndmask_b32_e64 v36, v7, 0, s[20:21]
	v_add_u32_e32 v37, v36, v4
	v_add_u32_e32 v4, v37, v5
	;; [unrolled: 1-line block ×3, first 2 shown]
	ds_write2_b64 v9, v[36:37], v[4:5] offset0:2 offset1:3
	s_waitcnt lgkmcnt(0)
	s_barrier
	ds_read_b32 v4, v26
	ds_read_b32 v5, v29
	;; [unrolled: 1-line block ×4, first 2 shown]
	v_lshlrev_b32_e32 v26, 2, v27
	s_waitcnt lgkmcnt(3)
	v_lshl_add_u32 v26, v4, 2, v26
	v_lshlrev_b32_e32 v4, 2, v30
	v_lshlrev_b32_e32 v27, 2, v28
	s_waitcnt lgkmcnt(2)
	v_lshlrev_b32_e32 v5, 2, v5
	v_add3_u32 v27, v4, v27, v5
	v_lshlrev_b32_e32 v4, 2, v33
	v_lshlrev_b32_e32 v5, 2, v31
	s_waitcnt lgkmcnt(1)
	v_lshlrev_b32_e32 v6, 2, v6
	v_add3_u32 v28, v4, v5, v6
	;; [unrolled: 5-line block ×3, first 2 shown]
	s_cbranch_scc0 .LBB952_13
; %bb.29:
                                        ; implicit-def: $sgpr28
                                        ; implicit-def: $vgpr4_vgpr5_vgpr6_vgpr7
.LBB952_30:
	s_barrier
	ds_write_b32 v26, v0
	ds_write_b32 v27, v1
	;; [unrolled: 1-line block ×4, first 2 shown]
	s_waitcnt lgkmcnt(0)
	s_barrier
	v_add_u32_e32 v0, v9, v18
	ds_read2st64_b32 v[2:3], v10 offset0:4 offset1:8
	ds_read_b32 v5, v0
	ds_read_b32 v4, v10 offset:3072
	s_add_u32 s0, s30, s36
	s_addc_u32 s1, s31, s37
	v_mov_b32_e32 v11, 0
	s_andn2_b64 vcc, exec, s[34:35]
	v_lshl_add_u64 v[0:1], s[0:1], 0, v[10:11]
	s_cbranch_vccnz .LBB952_32
; %bb.31:
	s_mov_b64 s[0:1], -1
	s_waitcnt lgkmcnt(1)
	global_store_dword v[0:1], v5, off
	global_store_dword v[0:1], v2, off offset:1024
	global_store_dword v[0:1], v3, off offset:2048
	s_cbranch_execz .LBB952_33
	s_branch .LBB952_40
.LBB952_32:
	s_mov_b64 s[0:1], 0
.LBB952_33:
	v_cmp_gt_u32_e32 vcc, s33, v8
	s_and_saveexec_b64 s[0:1], vcc
	s_cbranch_execz .LBB952_35
; %bb.34:
	s_waitcnt lgkmcnt(1)
	global_store_dword v[0:1], v5, off
.LBB952_35:
	s_or_b64 exec, exec, s[0:1]
	s_waitcnt lgkmcnt(1)
	v_add_u32_e32 v5, 0x100, v8
	v_cmp_gt_u32_e32 vcc, s33, v5
	s_and_saveexec_b64 s[0:1], vcc
	s_cbranch_execz .LBB952_37
; %bb.36:
	global_store_dword v[0:1], v2, off offset:1024
.LBB952_37:
	s_or_b64 exec, exec, s[0:1]
	v_add_u32_e32 v2, 0x200, v8
	v_cmp_gt_u32_e32 vcc, s33, v2
	s_and_saveexec_b64 s[0:1], vcc
	s_cbranch_execz .LBB952_39
; %bb.38:
	global_store_dword v[0:1], v3, off offset:2048
.LBB952_39:
	s_or_b64 exec, exec, s[0:1]
	v_add_u32_e32 v2, 0x300, v8
	v_cmp_gt_u32_e64 s[0:1], s33, v2
.LBB952_40:
	s_and_saveexec_b64 s[2:3], s[0:1]
	s_cbranch_execnz .LBB952_42
; %bb.41:
	s_endpgm
.LBB952_42:
	s_waitcnt lgkmcnt(0)
	global_store_dword v[0:1], v4, off offset:3072
	s_endpgm
	.section	.rodata,"a",@progbits
	.p2align	6, 0x0
	.amdhsa_kernel _ZN7rocprim17ROCPRIM_400000_NS6detail17trampoline_kernelINS0_13kernel_configILj256ELj4ELj4294967295EEENS1_37radix_sort_block_sort_config_selectorIjNS0_10empty_typeEEEZNS1_21radix_sort_block_sortIS4_Lb0EN6thrust23THRUST_200600_302600_NS6detail15normal_iteratorINSA_10device_ptrIjEEEESF_PS6_SG_NS0_19identity_decomposerEEE10hipError_tT1_T2_T3_T4_jRjT5_jjP12ihipStream_tbEUlT_E_NS1_11comp_targetILNS1_3genE5ELNS1_11target_archE942ELNS1_3gpuE9ELNS1_3repE0EEENS1_44radix_sort_block_sort_config_static_selectorELNS0_4arch9wavefront6targetE1EEEvSJ_
		.amdhsa_group_segment_fixed_size 4112
		.amdhsa_private_segment_fixed_size 0
		.amdhsa_kernarg_size 304
		.amdhsa_user_sgpr_count 2
		.amdhsa_user_sgpr_dispatch_ptr 0
		.amdhsa_user_sgpr_queue_ptr 0
		.amdhsa_user_sgpr_kernarg_segment_ptr 1
		.amdhsa_user_sgpr_dispatch_id 0
		.amdhsa_user_sgpr_kernarg_preload_length 0
		.amdhsa_user_sgpr_kernarg_preload_offset 0
		.amdhsa_user_sgpr_private_segment_size 0
		.amdhsa_uses_dynamic_stack 0
		.amdhsa_enable_private_segment 0
		.amdhsa_system_sgpr_workgroup_id_x 1
		.amdhsa_system_sgpr_workgroup_id_y 0
		.amdhsa_system_sgpr_workgroup_id_z 0
		.amdhsa_system_sgpr_workgroup_info 0
		.amdhsa_system_vgpr_workitem_id 2
		.amdhsa_next_free_vgpr 39
		.amdhsa_next_free_sgpr 44
		.amdhsa_accum_offset 40
		.amdhsa_reserve_vcc 1
		.amdhsa_float_round_mode_32 0
		.amdhsa_float_round_mode_16_64 0
		.amdhsa_float_denorm_mode_32 3
		.amdhsa_float_denorm_mode_16_64 3
		.amdhsa_dx10_clamp 1
		.amdhsa_ieee_mode 1
		.amdhsa_fp16_overflow 0
		.amdhsa_tg_split 0
		.amdhsa_exception_fp_ieee_invalid_op 0
		.amdhsa_exception_fp_denorm_src 0
		.amdhsa_exception_fp_ieee_div_zero 0
		.amdhsa_exception_fp_ieee_overflow 0
		.amdhsa_exception_fp_ieee_underflow 0
		.amdhsa_exception_fp_ieee_inexact 0
		.amdhsa_exception_int_div_zero 0
	.end_amdhsa_kernel
	.section	.text._ZN7rocprim17ROCPRIM_400000_NS6detail17trampoline_kernelINS0_13kernel_configILj256ELj4ELj4294967295EEENS1_37radix_sort_block_sort_config_selectorIjNS0_10empty_typeEEEZNS1_21radix_sort_block_sortIS4_Lb0EN6thrust23THRUST_200600_302600_NS6detail15normal_iteratorINSA_10device_ptrIjEEEESF_PS6_SG_NS0_19identity_decomposerEEE10hipError_tT1_T2_T3_T4_jRjT5_jjP12ihipStream_tbEUlT_E_NS1_11comp_targetILNS1_3genE5ELNS1_11target_archE942ELNS1_3gpuE9ELNS1_3repE0EEENS1_44radix_sort_block_sort_config_static_selectorELNS0_4arch9wavefront6targetE1EEEvSJ_,"axG",@progbits,_ZN7rocprim17ROCPRIM_400000_NS6detail17trampoline_kernelINS0_13kernel_configILj256ELj4ELj4294967295EEENS1_37radix_sort_block_sort_config_selectorIjNS0_10empty_typeEEEZNS1_21radix_sort_block_sortIS4_Lb0EN6thrust23THRUST_200600_302600_NS6detail15normal_iteratorINSA_10device_ptrIjEEEESF_PS6_SG_NS0_19identity_decomposerEEE10hipError_tT1_T2_T3_T4_jRjT5_jjP12ihipStream_tbEUlT_E_NS1_11comp_targetILNS1_3genE5ELNS1_11target_archE942ELNS1_3gpuE9ELNS1_3repE0EEENS1_44radix_sort_block_sort_config_static_selectorELNS0_4arch9wavefront6targetE1EEEvSJ_,comdat
.Lfunc_end952:
	.size	_ZN7rocprim17ROCPRIM_400000_NS6detail17trampoline_kernelINS0_13kernel_configILj256ELj4ELj4294967295EEENS1_37radix_sort_block_sort_config_selectorIjNS0_10empty_typeEEEZNS1_21radix_sort_block_sortIS4_Lb0EN6thrust23THRUST_200600_302600_NS6detail15normal_iteratorINSA_10device_ptrIjEEEESF_PS6_SG_NS0_19identity_decomposerEEE10hipError_tT1_T2_T3_T4_jRjT5_jjP12ihipStream_tbEUlT_E_NS1_11comp_targetILNS1_3genE5ELNS1_11target_archE942ELNS1_3gpuE9ELNS1_3repE0EEENS1_44radix_sort_block_sort_config_static_selectorELNS0_4arch9wavefront6targetE1EEEvSJ_, .Lfunc_end952-_ZN7rocprim17ROCPRIM_400000_NS6detail17trampoline_kernelINS0_13kernel_configILj256ELj4ELj4294967295EEENS1_37radix_sort_block_sort_config_selectorIjNS0_10empty_typeEEEZNS1_21radix_sort_block_sortIS4_Lb0EN6thrust23THRUST_200600_302600_NS6detail15normal_iteratorINSA_10device_ptrIjEEEESF_PS6_SG_NS0_19identity_decomposerEEE10hipError_tT1_T2_T3_T4_jRjT5_jjP12ihipStream_tbEUlT_E_NS1_11comp_targetILNS1_3genE5ELNS1_11target_archE942ELNS1_3gpuE9ELNS1_3repE0EEENS1_44radix_sort_block_sort_config_static_selectorELNS0_4arch9wavefront6targetE1EEEvSJ_
                                        ; -- End function
	.section	.AMDGPU.csdata,"",@progbits
; Kernel info:
; codeLenInByte = 3200
; NumSgprs: 50
; NumVgprs: 39
; NumAgprs: 0
; TotalNumVgprs: 39
; ScratchSize: 0
; MemoryBound: 0
; FloatMode: 240
; IeeeMode: 1
; LDSByteSize: 4112 bytes/workgroup (compile time only)
; SGPRBlocks: 6
; VGPRBlocks: 4
; NumSGPRsForWavesPerEU: 50
; NumVGPRsForWavesPerEU: 39
; AccumOffset: 40
; Occupancy: 8
; WaveLimiterHint : 1
; COMPUTE_PGM_RSRC2:SCRATCH_EN: 0
; COMPUTE_PGM_RSRC2:USER_SGPR: 2
; COMPUTE_PGM_RSRC2:TRAP_HANDLER: 0
; COMPUTE_PGM_RSRC2:TGID_X_EN: 1
; COMPUTE_PGM_RSRC2:TGID_Y_EN: 0
; COMPUTE_PGM_RSRC2:TGID_Z_EN: 0
; COMPUTE_PGM_RSRC2:TIDIG_COMP_CNT: 2
; COMPUTE_PGM_RSRC3_GFX90A:ACCUM_OFFSET: 9
; COMPUTE_PGM_RSRC3_GFX90A:TG_SPLIT: 0
	.section	.text._ZN7rocprim17ROCPRIM_400000_NS6detail17trampoline_kernelINS0_13kernel_configILj256ELj4ELj4294967295EEENS1_37radix_sort_block_sort_config_selectorIjNS0_10empty_typeEEEZNS1_21radix_sort_block_sortIS4_Lb0EN6thrust23THRUST_200600_302600_NS6detail15normal_iteratorINSA_10device_ptrIjEEEESF_PS6_SG_NS0_19identity_decomposerEEE10hipError_tT1_T2_T3_T4_jRjT5_jjP12ihipStream_tbEUlT_E_NS1_11comp_targetILNS1_3genE4ELNS1_11target_archE910ELNS1_3gpuE8ELNS1_3repE0EEENS1_44radix_sort_block_sort_config_static_selectorELNS0_4arch9wavefront6targetE1EEEvSJ_,"axG",@progbits,_ZN7rocprim17ROCPRIM_400000_NS6detail17trampoline_kernelINS0_13kernel_configILj256ELj4ELj4294967295EEENS1_37radix_sort_block_sort_config_selectorIjNS0_10empty_typeEEEZNS1_21radix_sort_block_sortIS4_Lb0EN6thrust23THRUST_200600_302600_NS6detail15normal_iteratorINSA_10device_ptrIjEEEESF_PS6_SG_NS0_19identity_decomposerEEE10hipError_tT1_T2_T3_T4_jRjT5_jjP12ihipStream_tbEUlT_E_NS1_11comp_targetILNS1_3genE4ELNS1_11target_archE910ELNS1_3gpuE8ELNS1_3repE0EEENS1_44radix_sort_block_sort_config_static_selectorELNS0_4arch9wavefront6targetE1EEEvSJ_,comdat
	.protected	_ZN7rocprim17ROCPRIM_400000_NS6detail17trampoline_kernelINS0_13kernel_configILj256ELj4ELj4294967295EEENS1_37radix_sort_block_sort_config_selectorIjNS0_10empty_typeEEEZNS1_21radix_sort_block_sortIS4_Lb0EN6thrust23THRUST_200600_302600_NS6detail15normal_iteratorINSA_10device_ptrIjEEEESF_PS6_SG_NS0_19identity_decomposerEEE10hipError_tT1_T2_T3_T4_jRjT5_jjP12ihipStream_tbEUlT_E_NS1_11comp_targetILNS1_3genE4ELNS1_11target_archE910ELNS1_3gpuE8ELNS1_3repE0EEENS1_44radix_sort_block_sort_config_static_selectorELNS0_4arch9wavefront6targetE1EEEvSJ_ ; -- Begin function _ZN7rocprim17ROCPRIM_400000_NS6detail17trampoline_kernelINS0_13kernel_configILj256ELj4ELj4294967295EEENS1_37radix_sort_block_sort_config_selectorIjNS0_10empty_typeEEEZNS1_21radix_sort_block_sortIS4_Lb0EN6thrust23THRUST_200600_302600_NS6detail15normal_iteratorINSA_10device_ptrIjEEEESF_PS6_SG_NS0_19identity_decomposerEEE10hipError_tT1_T2_T3_T4_jRjT5_jjP12ihipStream_tbEUlT_E_NS1_11comp_targetILNS1_3genE4ELNS1_11target_archE910ELNS1_3gpuE8ELNS1_3repE0EEENS1_44radix_sort_block_sort_config_static_selectorELNS0_4arch9wavefront6targetE1EEEvSJ_
	.globl	_ZN7rocprim17ROCPRIM_400000_NS6detail17trampoline_kernelINS0_13kernel_configILj256ELj4ELj4294967295EEENS1_37radix_sort_block_sort_config_selectorIjNS0_10empty_typeEEEZNS1_21radix_sort_block_sortIS4_Lb0EN6thrust23THRUST_200600_302600_NS6detail15normal_iteratorINSA_10device_ptrIjEEEESF_PS6_SG_NS0_19identity_decomposerEEE10hipError_tT1_T2_T3_T4_jRjT5_jjP12ihipStream_tbEUlT_E_NS1_11comp_targetILNS1_3genE4ELNS1_11target_archE910ELNS1_3gpuE8ELNS1_3repE0EEENS1_44radix_sort_block_sort_config_static_selectorELNS0_4arch9wavefront6targetE1EEEvSJ_
	.p2align	8
	.type	_ZN7rocprim17ROCPRIM_400000_NS6detail17trampoline_kernelINS0_13kernel_configILj256ELj4ELj4294967295EEENS1_37radix_sort_block_sort_config_selectorIjNS0_10empty_typeEEEZNS1_21radix_sort_block_sortIS4_Lb0EN6thrust23THRUST_200600_302600_NS6detail15normal_iteratorINSA_10device_ptrIjEEEESF_PS6_SG_NS0_19identity_decomposerEEE10hipError_tT1_T2_T3_T4_jRjT5_jjP12ihipStream_tbEUlT_E_NS1_11comp_targetILNS1_3genE4ELNS1_11target_archE910ELNS1_3gpuE8ELNS1_3repE0EEENS1_44radix_sort_block_sort_config_static_selectorELNS0_4arch9wavefront6targetE1EEEvSJ_,@function
_ZN7rocprim17ROCPRIM_400000_NS6detail17trampoline_kernelINS0_13kernel_configILj256ELj4ELj4294967295EEENS1_37radix_sort_block_sort_config_selectorIjNS0_10empty_typeEEEZNS1_21radix_sort_block_sortIS4_Lb0EN6thrust23THRUST_200600_302600_NS6detail15normal_iteratorINSA_10device_ptrIjEEEESF_PS6_SG_NS0_19identity_decomposerEEE10hipError_tT1_T2_T3_T4_jRjT5_jjP12ihipStream_tbEUlT_E_NS1_11comp_targetILNS1_3genE4ELNS1_11target_archE910ELNS1_3gpuE8ELNS1_3repE0EEENS1_44radix_sort_block_sort_config_static_selectorELNS0_4arch9wavefront6targetE1EEEvSJ_: ; @_ZN7rocprim17ROCPRIM_400000_NS6detail17trampoline_kernelINS0_13kernel_configILj256ELj4ELj4294967295EEENS1_37radix_sort_block_sort_config_selectorIjNS0_10empty_typeEEEZNS1_21radix_sort_block_sortIS4_Lb0EN6thrust23THRUST_200600_302600_NS6detail15normal_iteratorINSA_10device_ptrIjEEEESF_PS6_SG_NS0_19identity_decomposerEEE10hipError_tT1_T2_T3_T4_jRjT5_jjP12ihipStream_tbEUlT_E_NS1_11comp_targetILNS1_3genE4ELNS1_11target_archE910ELNS1_3gpuE8ELNS1_3repE0EEENS1_44radix_sort_block_sort_config_static_selectorELNS0_4arch9wavefront6targetE1EEEvSJ_
; %bb.0:
	.section	.rodata,"a",@progbits
	.p2align	6, 0x0
	.amdhsa_kernel _ZN7rocprim17ROCPRIM_400000_NS6detail17trampoline_kernelINS0_13kernel_configILj256ELj4ELj4294967295EEENS1_37radix_sort_block_sort_config_selectorIjNS0_10empty_typeEEEZNS1_21radix_sort_block_sortIS4_Lb0EN6thrust23THRUST_200600_302600_NS6detail15normal_iteratorINSA_10device_ptrIjEEEESF_PS6_SG_NS0_19identity_decomposerEEE10hipError_tT1_T2_T3_T4_jRjT5_jjP12ihipStream_tbEUlT_E_NS1_11comp_targetILNS1_3genE4ELNS1_11target_archE910ELNS1_3gpuE8ELNS1_3repE0EEENS1_44radix_sort_block_sort_config_static_selectorELNS0_4arch9wavefront6targetE1EEEvSJ_
		.amdhsa_group_segment_fixed_size 0
		.amdhsa_private_segment_fixed_size 0
		.amdhsa_kernarg_size 48
		.amdhsa_user_sgpr_count 2
		.amdhsa_user_sgpr_dispatch_ptr 0
		.amdhsa_user_sgpr_queue_ptr 0
		.amdhsa_user_sgpr_kernarg_segment_ptr 1
		.amdhsa_user_sgpr_dispatch_id 0
		.amdhsa_user_sgpr_kernarg_preload_length 0
		.amdhsa_user_sgpr_kernarg_preload_offset 0
		.amdhsa_user_sgpr_private_segment_size 0
		.amdhsa_uses_dynamic_stack 0
		.amdhsa_enable_private_segment 0
		.amdhsa_system_sgpr_workgroup_id_x 1
		.amdhsa_system_sgpr_workgroup_id_y 0
		.amdhsa_system_sgpr_workgroup_id_z 0
		.amdhsa_system_sgpr_workgroup_info 0
		.amdhsa_system_vgpr_workitem_id 0
		.amdhsa_next_free_vgpr 1
		.amdhsa_next_free_sgpr 0
		.amdhsa_accum_offset 4
		.amdhsa_reserve_vcc 0
		.amdhsa_float_round_mode_32 0
		.amdhsa_float_round_mode_16_64 0
		.amdhsa_float_denorm_mode_32 3
		.amdhsa_float_denorm_mode_16_64 3
		.amdhsa_dx10_clamp 1
		.amdhsa_ieee_mode 1
		.amdhsa_fp16_overflow 0
		.amdhsa_tg_split 0
		.amdhsa_exception_fp_ieee_invalid_op 0
		.amdhsa_exception_fp_denorm_src 0
		.amdhsa_exception_fp_ieee_div_zero 0
		.amdhsa_exception_fp_ieee_overflow 0
		.amdhsa_exception_fp_ieee_underflow 0
		.amdhsa_exception_fp_ieee_inexact 0
		.amdhsa_exception_int_div_zero 0
	.end_amdhsa_kernel
	.section	.text._ZN7rocprim17ROCPRIM_400000_NS6detail17trampoline_kernelINS0_13kernel_configILj256ELj4ELj4294967295EEENS1_37radix_sort_block_sort_config_selectorIjNS0_10empty_typeEEEZNS1_21radix_sort_block_sortIS4_Lb0EN6thrust23THRUST_200600_302600_NS6detail15normal_iteratorINSA_10device_ptrIjEEEESF_PS6_SG_NS0_19identity_decomposerEEE10hipError_tT1_T2_T3_T4_jRjT5_jjP12ihipStream_tbEUlT_E_NS1_11comp_targetILNS1_3genE4ELNS1_11target_archE910ELNS1_3gpuE8ELNS1_3repE0EEENS1_44radix_sort_block_sort_config_static_selectorELNS0_4arch9wavefront6targetE1EEEvSJ_,"axG",@progbits,_ZN7rocprim17ROCPRIM_400000_NS6detail17trampoline_kernelINS0_13kernel_configILj256ELj4ELj4294967295EEENS1_37radix_sort_block_sort_config_selectorIjNS0_10empty_typeEEEZNS1_21radix_sort_block_sortIS4_Lb0EN6thrust23THRUST_200600_302600_NS6detail15normal_iteratorINSA_10device_ptrIjEEEESF_PS6_SG_NS0_19identity_decomposerEEE10hipError_tT1_T2_T3_T4_jRjT5_jjP12ihipStream_tbEUlT_E_NS1_11comp_targetILNS1_3genE4ELNS1_11target_archE910ELNS1_3gpuE8ELNS1_3repE0EEENS1_44radix_sort_block_sort_config_static_selectorELNS0_4arch9wavefront6targetE1EEEvSJ_,comdat
.Lfunc_end953:
	.size	_ZN7rocprim17ROCPRIM_400000_NS6detail17trampoline_kernelINS0_13kernel_configILj256ELj4ELj4294967295EEENS1_37radix_sort_block_sort_config_selectorIjNS0_10empty_typeEEEZNS1_21radix_sort_block_sortIS4_Lb0EN6thrust23THRUST_200600_302600_NS6detail15normal_iteratorINSA_10device_ptrIjEEEESF_PS6_SG_NS0_19identity_decomposerEEE10hipError_tT1_T2_T3_T4_jRjT5_jjP12ihipStream_tbEUlT_E_NS1_11comp_targetILNS1_3genE4ELNS1_11target_archE910ELNS1_3gpuE8ELNS1_3repE0EEENS1_44radix_sort_block_sort_config_static_selectorELNS0_4arch9wavefront6targetE1EEEvSJ_, .Lfunc_end953-_ZN7rocprim17ROCPRIM_400000_NS6detail17trampoline_kernelINS0_13kernel_configILj256ELj4ELj4294967295EEENS1_37radix_sort_block_sort_config_selectorIjNS0_10empty_typeEEEZNS1_21radix_sort_block_sortIS4_Lb0EN6thrust23THRUST_200600_302600_NS6detail15normal_iteratorINSA_10device_ptrIjEEEESF_PS6_SG_NS0_19identity_decomposerEEE10hipError_tT1_T2_T3_T4_jRjT5_jjP12ihipStream_tbEUlT_E_NS1_11comp_targetILNS1_3genE4ELNS1_11target_archE910ELNS1_3gpuE8ELNS1_3repE0EEENS1_44radix_sort_block_sort_config_static_selectorELNS0_4arch9wavefront6targetE1EEEvSJ_
                                        ; -- End function
	.section	.AMDGPU.csdata,"",@progbits
; Kernel info:
; codeLenInByte = 0
; NumSgprs: 6
; NumVgprs: 0
; NumAgprs: 0
; TotalNumVgprs: 0
; ScratchSize: 0
; MemoryBound: 0
; FloatMode: 240
; IeeeMode: 1
; LDSByteSize: 0 bytes/workgroup (compile time only)
; SGPRBlocks: 0
; VGPRBlocks: 0
; NumSGPRsForWavesPerEU: 6
; NumVGPRsForWavesPerEU: 1
; AccumOffset: 4
; Occupancy: 8
; WaveLimiterHint : 0
; COMPUTE_PGM_RSRC2:SCRATCH_EN: 0
; COMPUTE_PGM_RSRC2:USER_SGPR: 2
; COMPUTE_PGM_RSRC2:TRAP_HANDLER: 0
; COMPUTE_PGM_RSRC2:TGID_X_EN: 1
; COMPUTE_PGM_RSRC2:TGID_Y_EN: 0
; COMPUTE_PGM_RSRC2:TGID_Z_EN: 0
; COMPUTE_PGM_RSRC2:TIDIG_COMP_CNT: 0
; COMPUTE_PGM_RSRC3_GFX90A:ACCUM_OFFSET: 0
; COMPUTE_PGM_RSRC3_GFX90A:TG_SPLIT: 0
	.section	.text._ZN7rocprim17ROCPRIM_400000_NS6detail17trampoline_kernelINS0_13kernel_configILj256ELj4ELj4294967295EEENS1_37radix_sort_block_sort_config_selectorIjNS0_10empty_typeEEEZNS1_21radix_sort_block_sortIS4_Lb0EN6thrust23THRUST_200600_302600_NS6detail15normal_iteratorINSA_10device_ptrIjEEEESF_PS6_SG_NS0_19identity_decomposerEEE10hipError_tT1_T2_T3_T4_jRjT5_jjP12ihipStream_tbEUlT_E_NS1_11comp_targetILNS1_3genE3ELNS1_11target_archE908ELNS1_3gpuE7ELNS1_3repE0EEENS1_44radix_sort_block_sort_config_static_selectorELNS0_4arch9wavefront6targetE1EEEvSJ_,"axG",@progbits,_ZN7rocprim17ROCPRIM_400000_NS6detail17trampoline_kernelINS0_13kernel_configILj256ELj4ELj4294967295EEENS1_37radix_sort_block_sort_config_selectorIjNS0_10empty_typeEEEZNS1_21radix_sort_block_sortIS4_Lb0EN6thrust23THRUST_200600_302600_NS6detail15normal_iteratorINSA_10device_ptrIjEEEESF_PS6_SG_NS0_19identity_decomposerEEE10hipError_tT1_T2_T3_T4_jRjT5_jjP12ihipStream_tbEUlT_E_NS1_11comp_targetILNS1_3genE3ELNS1_11target_archE908ELNS1_3gpuE7ELNS1_3repE0EEENS1_44radix_sort_block_sort_config_static_selectorELNS0_4arch9wavefront6targetE1EEEvSJ_,comdat
	.protected	_ZN7rocprim17ROCPRIM_400000_NS6detail17trampoline_kernelINS0_13kernel_configILj256ELj4ELj4294967295EEENS1_37radix_sort_block_sort_config_selectorIjNS0_10empty_typeEEEZNS1_21radix_sort_block_sortIS4_Lb0EN6thrust23THRUST_200600_302600_NS6detail15normal_iteratorINSA_10device_ptrIjEEEESF_PS6_SG_NS0_19identity_decomposerEEE10hipError_tT1_T2_T3_T4_jRjT5_jjP12ihipStream_tbEUlT_E_NS1_11comp_targetILNS1_3genE3ELNS1_11target_archE908ELNS1_3gpuE7ELNS1_3repE0EEENS1_44radix_sort_block_sort_config_static_selectorELNS0_4arch9wavefront6targetE1EEEvSJ_ ; -- Begin function _ZN7rocprim17ROCPRIM_400000_NS6detail17trampoline_kernelINS0_13kernel_configILj256ELj4ELj4294967295EEENS1_37radix_sort_block_sort_config_selectorIjNS0_10empty_typeEEEZNS1_21radix_sort_block_sortIS4_Lb0EN6thrust23THRUST_200600_302600_NS6detail15normal_iteratorINSA_10device_ptrIjEEEESF_PS6_SG_NS0_19identity_decomposerEEE10hipError_tT1_T2_T3_T4_jRjT5_jjP12ihipStream_tbEUlT_E_NS1_11comp_targetILNS1_3genE3ELNS1_11target_archE908ELNS1_3gpuE7ELNS1_3repE0EEENS1_44radix_sort_block_sort_config_static_selectorELNS0_4arch9wavefront6targetE1EEEvSJ_
	.globl	_ZN7rocprim17ROCPRIM_400000_NS6detail17trampoline_kernelINS0_13kernel_configILj256ELj4ELj4294967295EEENS1_37radix_sort_block_sort_config_selectorIjNS0_10empty_typeEEEZNS1_21radix_sort_block_sortIS4_Lb0EN6thrust23THRUST_200600_302600_NS6detail15normal_iteratorINSA_10device_ptrIjEEEESF_PS6_SG_NS0_19identity_decomposerEEE10hipError_tT1_T2_T3_T4_jRjT5_jjP12ihipStream_tbEUlT_E_NS1_11comp_targetILNS1_3genE3ELNS1_11target_archE908ELNS1_3gpuE7ELNS1_3repE0EEENS1_44radix_sort_block_sort_config_static_selectorELNS0_4arch9wavefront6targetE1EEEvSJ_
	.p2align	8
	.type	_ZN7rocprim17ROCPRIM_400000_NS6detail17trampoline_kernelINS0_13kernel_configILj256ELj4ELj4294967295EEENS1_37radix_sort_block_sort_config_selectorIjNS0_10empty_typeEEEZNS1_21radix_sort_block_sortIS4_Lb0EN6thrust23THRUST_200600_302600_NS6detail15normal_iteratorINSA_10device_ptrIjEEEESF_PS6_SG_NS0_19identity_decomposerEEE10hipError_tT1_T2_T3_T4_jRjT5_jjP12ihipStream_tbEUlT_E_NS1_11comp_targetILNS1_3genE3ELNS1_11target_archE908ELNS1_3gpuE7ELNS1_3repE0EEENS1_44radix_sort_block_sort_config_static_selectorELNS0_4arch9wavefront6targetE1EEEvSJ_,@function
_ZN7rocprim17ROCPRIM_400000_NS6detail17trampoline_kernelINS0_13kernel_configILj256ELj4ELj4294967295EEENS1_37radix_sort_block_sort_config_selectorIjNS0_10empty_typeEEEZNS1_21radix_sort_block_sortIS4_Lb0EN6thrust23THRUST_200600_302600_NS6detail15normal_iteratorINSA_10device_ptrIjEEEESF_PS6_SG_NS0_19identity_decomposerEEE10hipError_tT1_T2_T3_T4_jRjT5_jjP12ihipStream_tbEUlT_E_NS1_11comp_targetILNS1_3genE3ELNS1_11target_archE908ELNS1_3gpuE7ELNS1_3repE0EEENS1_44radix_sort_block_sort_config_static_selectorELNS0_4arch9wavefront6targetE1EEEvSJ_: ; @_ZN7rocprim17ROCPRIM_400000_NS6detail17trampoline_kernelINS0_13kernel_configILj256ELj4ELj4294967295EEENS1_37radix_sort_block_sort_config_selectorIjNS0_10empty_typeEEEZNS1_21radix_sort_block_sortIS4_Lb0EN6thrust23THRUST_200600_302600_NS6detail15normal_iteratorINSA_10device_ptrIjEEEESF_PS6_SG_NS0_19identity_decomposerEEE10hipError_tT1_T2_T3_T4_jRjT5_jjP12ihipStream_tbEUlT_E_NS1_11comp_targetILNS1_3genE3ELNS1_11target_archE908ELNS1_3gpuE7ELNS1_3repE0EEENS1_44radix_sort_block_sort_config_static_selectorELNS0_4arch9wavefront6targetE1EEEvSJ_
; %bb.0:
	.section	.rodata,"a",@progbits
	.p2align	6, 0x0
	.amdhsa_kernel _ZN7rocprim17ROCPRIM_400000_NS6detail17trampoline_kernelINS0_13kernel_configILj256ELj4ELj4294967295EEENS1_37radix_sort_block_sort_config_selectorIjNS0_10empty_typeEEEZNS1_21radix_sort_block_sortIS4_Lb0EN6thrust23THRUST_200600_302600_NS6detail15normal_iteratorINSA_10device_ptrIjEEEESF_PS6_SG_NS0_19identity_decomposerEEE10hipError_tT1_T2_T3_T4_jRjT5_jjP12ihipStream_tbEUlT_E_NS1_11comp_targetILNS1_3genE3ELNS1_11target_archE908ELNS1_3gpuE7ELNS1_3repE0EEENS1_44radix_sort_block_sort_config_static_selectorELNS0_4arch9wavefront6targetE1EEEvSJ_
		.amdhsa_group_segment_fixed_size 0
		.amdhsa_private_segment_fixed_size 0
		.amdhsa_kernarg_size 48
		.amdhsa_user_sgpr_count 2
		.amdhsa_user_sgpr_dispatch_ptr 0
		.amdhsa_user_sgpr_queue_ptr 0
		.amdhsa_user_sgpr_kernarg_segment_ptr 1
		.amdhsa_user_sgpr_dispatch_id 0
		.amdhsa_user_sgpr_kernarg_preload_length 0
		.amdhsa_user_sgpr_kernarg_preload_offset 0
		.amdhsa_user_sgpr_private_segment_size 0
		.amdhsa_uses_dynamic_stack 0
		.amdhsa_enable_private_segment 0
		.amdhsa_system_sgpr_workgroup_id_x 1
		.amdhsa_system_sgpr_workgroup_id_y 0
		.amdhsa_system_sgpr_workgroup_id_z 0
		.amdhsa_system_sgpr_workgroup_info 0
		.amdhsa_system_vgpr_workitem_id 0
		.amdhsa_next_free_vgpr 1
		.amdhsa_next_free_sgpr 0
		.amdhsa_accum_offset 4
		.amdhsa_reserve_vcc 0
		.amdhsa_float_round_mode_32 0
		.amdhsa_float_round_mode_16_64 0
		.amdhsa_float_denorm_mode_32 3
		.amdhsa_float_denorm_mode_16_64 3
		.amdhsa_dx10_clamp 1
		.amdhsa_ieee_mode 1
		.amdhsa_fp16_overflow 0
		.amdhsa_tg_split 0
		.amdhsa_exception_fp_ieee_invalid_op 0
		.amdhsa_exception_fp_denorm_src 0
		.amdhsa_exception_fp_ieee_div_zero 0
		.amdhsa_exception_fp_ieee_overflow 0
		.amdhsa_exception_fp_ieee_underflow 0
		.amdhsa_exception_fp_ieee_inexact 0
		.amdhsa_exception_int_div_zero 0
	.end_amdhsa_kernel
	.section	.text._ZN7rocprim17ROCPRIM_400000_NS6detail17trampoline_kernelINS0_13kernel_configILj256ELj4ELj4294967295EEENS1_37radix_sort_block_sort_config_selectorIjNS0_10empty_typeEEEZNS1_21radix_sort_block_sortIS4_Lb0EN6thrust23THRUST_200600_302600_NS6detail15normal_iteratorINSA_10device_ptrIjEEEESF_PS6_SG_NS0_19identity_decomposerEEE10hipError_tT1_T2_T3_T4_jRjT5_jjP12ihipStream_tbEUlT_E_NS1_11comp_targetILNS1_3genE3ELNS1_11target_archE908ELNS1_3gpuE7ELNS1_3repE0EEENS1_44radix_sort_block_sort_config_static_selectorELNS0_4arch9wavefront6targetE1EEEvSJ_,"axG",@progbits,_ZN7rocprim17ROCPRIM_400000_NS6detail17trampoline_kernelINS0_13kernel_configILj256ELj4ELj4294967295EEENS1_37radix_sort_block_sort_config_selectorIjNS0_10empty_typeEEEZNS1_21radix_sort_block_sortIS4_Lb0EN6thrust23THRUST_200600_302600_NS6detail15normal_iteratorINSA_10device_ptrIjEEEESF_PS6_SG_NS0_19identity_decomposerEEE10hipError_tT1_T2_T3_T4_jRjT5_jjP12ihipStream_tbEUlT_E_NS1_11comp_targetILNS1_3genE3ELNS1_11target_archE908ELNS1_3gpuE7ELNS1_3repE0EEENS1_44radix_sort_block_sort_config_static_selectorELNS0_4arch9wavefront6targetE1EEEvSJ_,comdat
.Lfunc_end954:
	.size	_ZN7rocprim17ROCPRIM_400000_NS6detail17trampoline_kernelINS0_13kernel_configILj256ELj4ELj4294967295EEENS1_37radix_sort_block_sort_config_selectorIjNS0_10empty_typeEEEZNS1_21radix_sort_block_sortIS4_Lb0EN6thrust23THRUST_200600_302600_NS6detail15normal_iteratorINSA_10device_ptrIjEEEESF_PS6_SG_NS0_19identity_decomposerEEE10hipError_tT1_T2_T3_T4_jRjT5_jjP12ihipStream_tbEUlT_E_NS1_11comp_targetILNS1_3genE3ELNS1_11target_archE908ELNS1_3gpuE7ELNS1_3repE0EEENS1_44radix_sort_block_sort_config_static_selectorELNS0_4arch9wavefront6targetE1EEEvSJ_, .Lfunc_end954-_ZN7rocprim17ROCPRIM_400000_NS6detail17trampoline_kernelINS0_13kernel_configILj256ELj4ELj4294967295EEENS1_37radix_sort_block_sort_config_selectorIjNS0_10empty_typeEEEZNS1_21radix_sort_block_sortIS4_Lb0EN6thrust23THRUST_200600_302600_NS6detail15normal_iteratorINSA_10device_ptrIjEEEESF_PS6_SG_NS0_19identity_decomposerEEE10hipError_tT1_T2_T3_T4_jRjT5_jjP12ihipStream_tbEUlT_E_NS1_11comp_targetILNS1_3genE3ELNS1_11target_archE908ELNS1_3gpuE7ELNS1_3repE0EEENS1_44radix_sort_block_sort_config_static_selectorELNS0_4arch9wavefront6targetE1EEEvSJ_
                                        ; -- End function
	.section	.AMDGPU.csdata,"",@progbits
; Kernel info:
; codeLenInByte = 0
; NumSgprs: 6
; NumVgprs: 0
; NumAgprs: 0
; TotalNumVgprs: 0
; ScratchSize: 0
; MemoryBound: 0
; FloatMode: 240
; IeeeMode: 1
; LDSByteSize: 0 bytes/workgroup (compile time only)
; SGPRBlocks: 0
; VGPRBlocks: 0
; NumSGPRsForWavesPerEU: 6
; NumVGPRsForWavesPerEU: 1
; AccumOffset: 4
; Occupancy: 8
; WaveLimiterHint : 0
; COMPUTE_PGM_RSRC2:SCRATCH_EN: 0
; COMPUTE_PGM_RSRC2:USER_SGPR: 2
; COMPUTE_PGM_RSRC2:TRAP_HANDLER: 0
; COMPUTE_PGM_RSRC2:TGID_X_EN: 1
; COMPUTE_PGM_RSRC2:TGID_Y_EN: 0
; COMPUTE_PGM_RSRC2:TGID_Z_EN: 0
; COMPUTE_PGM_RSRC2:TIDIG_COMP_CNT: 0
; COMPUTE_PGM_RSRC3_GFX90A:ACCUM_OFFSET: 0
; COMPUTE_PGM_RSRC3_GFX90A:TG_SPLIT: 0
	.section	.text._ZN7rocprim17ROCPRIM_400000_NS6detail17trampoline_kernelINS0_13kernel_configILj256ELj4ELj4294967295EEENS1_37radix_sort_block_sort_config_selectorIjNS0_10empty_typeEEEZNS1_21radix_sort_block_sortIS4_Lb0EN6thrust23THRUST_200600_302600_NS6detail15normal_iteratorINSA_10device_ptrIjEEEESF_PS6_SG_NS0_19identity_decomposerEEE10hipError_tT1_T2_T3_T4_jRjT5_jjP12ihipStream_tbEUlT_E_NS1_11comp_targetILNS1_3genE2ELNS1_11target_archE906ELNS1_3gpuE6ELNS1_3repE0EEENS1_44radix_sort_block_sort_config_static_selectorELNS0_4arch9wavefront6targetE1EEEvSJ_,"axG",@progbits,_ZN7rocprim17ROCPRIM_400000_NS6detail17trampoline_kernelINS0_13kernel_configILj256ELj4ELj4294967295EEENS1_37radix_sort_block_sort_config_selectorIjNS0_10empty_typeEEEZNS1_21radix_sort_block_sortIS4_Lb0EN6thrust23THRUST_200600_302600_NS6detail15normal_iteratorINSA_10device_ptrIjEEEESF_PS6_SG_NS0_19identity_decomposerEEE10hipError_tT1_T2_T3_T4_jRjT5_jjP12ihipStream_tbEUlT_E_NS1_11comp_targetILNS1_3genE2ELNS1_11target_archE906ELNS1_3gpuE6ELNS1_3repE0EEENS1_44radix_sort_block_sort_config_static_selectorELNS0_4arch9wavefront6targetE1EEEvSJ_,comdat
	.protected	_ZN7rocprim17ROCPRIM_400000_NS6detail17trampoline_kernelINS0_13kernel_configILj256ELj4ELj4294967295EEENS1_37radix_sort_block_sort_config_selectorIjNS0_10empty_typeEEEZNS1_21radix_sort_block_sortIS4_Lb0EN6thrust23THRUST_200600_302600_NS6detail15normal_iteratorINSA_10device_ptrIjEEEESF_PS6_SG_NS0_19identity_decomposerEEE10hipError_tT1_T2_T3_T4_jRjT5_jjP12ihipStream_tbEUlT_E_NS1_11comp_targetILNS1_3genE2ELNS1_11target_archE906ELNS1_3gpuE6ELNS1_3repE0EEENS1_44radix_sort_block_sort_config_static_selectorELNS0_4arch9wavefront6targetE1EEEvSJ_ ; -- Begin function _ZN7rocprim17ROCPRIM_400000_NS6detail17trampoline_kernelINS0_13kernel_configILj256ELj4ELj4294967295EEENS1_37radix_sort_block_sort_config_selectorIjNS0_10empty_typeEEEZNS1_21radix_sort_block_sortIS4_Lb0EN6thrust23THRUST_200600_302600_NS6detail15normal_iteratorINSA_10device_ptrIjEEEESF_PS6_SG_NS0_19identity_decomposerEEE10hipError_tT1_T2_T3_T4_jRjT5_jjP12ihipStream_tbEUlT_E_NS1_11comp_targetILNS1_3genE2ELNS1_11target_archE906ELNS1_3gpuE6ELNS1_3repE0EEENS1_44radix_sort_block_sort_config_static_selectorELNS0_4arch9wavefront6targetE1EEEvSJ_
	.globl	_ZN7rocprim17ROCPRIM_400000_NS6detail17trampoline_kernelINS0_13kernel_configILj256ELj4ELj4294967295EEENS1_37radix_sort_block_sort_config_selectorIjNS0_10empty_typeEEEZNS1_21radix_sort_block_sortIS4_Lb0EN6thrust23THRUST_200600_302600_NS6detail15normal_iteratorINSA_10device_ptrIjEEEESF_PS6_SG_NS0_19identity_decomposerEEE10hipError_tT1_T2_T3_T4_jRjT5_jjP12ihipStream_tbEUlT_E_NS1_11comp_targetILNS1_3genE2ELNS1_11target_archE906ELNS1_3gpuE6ELNS1_3repE0EEENS1_44radix_sort_block_sort_config_static_selectorELNS0_4arch9wavefront6targetE1EEEvSJ_
	.p2align	8
	.type	_ZN7rocprim17ROCPRIM_400000_NS6detail17trampoline_kernelINS0_13kernel_configILj256ELj4ELj4294967295EEENS1_37radix_sort_block_sort_config_selectorIjNS0_10empty_typeEEEZNS1_21radix_sort_block_sortIS4_Lb0EN6thrust23THRUST_200600_302600_NS6detail15normal_iteratorINSA_10device_ptrIjEEEESF_PS6_SG_NS0_19identity_decomposerEEE10hipError_tT1_T2_T3_T4_jRjT5_jjP12ihipStream_tbEUlT_E_NS1_11comp_targetILNS1_3genE2ELNS1_11target_archE906ELNS1_3gpuE6ELNS1_3repE0EEENS1_44radix_sort_block_sort_config_static_selectorELNS0_4arch9wavefront6targetE1EEEvSJ_,@function
_ZN7rocprim17ROCPRIM_400000_NS6detail17trampoline_kernelINS0_13kernel_configILj256ELj4ELj4294967295EEENS1_37radix_sort_block_sort_config_selectorIjNS0_10empty_typeEEEZNS1_21radix_sort_block_sortIS4_Lb0EN6thrust23THRUST_200600_302600_NS6detail15normal_iteratorINSA_10device_ptrIjEEEESF_PS6_SG_NS0_19identity_decomposerEEE10hipError_tT1_T2_T3_T4_jRjT5_jjP12ihipStream_tbEUlT_E_NS1_11comp_targetILNS1_3genE2ELNS1_11target_archE906ELNS1_3gpuE6ELNS1_3repE0EEENS1_44radix_sort_block_sort_config_static_selectorELNS0_4arch9wavefront6targetE1EEEvSJ_: ; @_ZN7rocprim17ROCPRIM_400000_NS6detail17trampoline_kernelINS0_13kernel_configILj256ELj4ELj4294967295EEENS1_37radix_sort_block_sort_config_selectorIjNS0_10empty_typeEEEZNS1_21radix_sort_block_sortIS4_Lb0EN6thrust23THRUST_200600_302600_NS6detail15normal_iteratorINSA_10device_ptrIjEEEESF_PS6_SG_NS0_19identity_decomposerEEE10hipError_tT1_T2_T3_T4_jRjT5_jjP12ihipStream_tbEUlT_E_NS1_11comp_targetILNS1_3genE2ELNS1_11target_archE906ELNS1_3gpuE6ELNS1_3repE0EEENS1_44radix_sort_block_sort_config_static_selectorELNS0_4arch9wavefront6targetE1EEEvSJ_
; %bb.0:
	.section	.rodata,"a",@progbits
	.p2align	6, 0x0
	.amdhsa_kernel _ZN7rocprim17ROCPRIM_400000_NS6detail17trampoline_kernelINS0_13kernel_configILj256ELj4ELj4294967295EEENS1_37radix_sort_block_sort_config_selectorIjNS0_10empty_typeEEEZNS1_21radix_sort_block_sortIS4_Lb0EN6thrust23THRUST_200600_302600_NS6detail15normal_iteratorINSA_10device_ptrIjEEEESF_PS6_SG_NS0_19identity_decomposerEEE10hipError_tT1_T2_T3_T4_jRjT5_jjP12ihipStream_tbEUlT_E_NS1_11comp_targetILNS1_3genE2ELNS1_11target_archE906ELNS1_3gpuE6ELNS1_3repE0EEENS1_44radix_sort_block_sort_config_static_selectorELNS0_4arch9wavefront6targetE1EEEvSJ_
		.amdhsa_group_segment_fixed_size 0
		.amdhsa_private_segment_fixed_size 0
		.amdhsa_kernarg_size 48
		.amdhsa_user_sgpr_count 2
		.amdhsa_user_sgpr_dispatch_ptr 0
		.amdhsa_user_sgpr_queue_ptr 0
		.amdhsa_user_sgpr_kernarg_segment_ptr 1
		.amdhsa_user_sgpr_dispatch_id 0
		.amdhsa_user_sgpr_kernarg_preload_length 0
		.amdhsa_user_sgpr_kernarg_preload_offset 0
		.amdhsa_user_sgpr_private_segment_size 0
		.amdhsa_uses_dynamic_stack 0
		.amdhsa_enable_private_segment 0
		.amdhsa_system_sgpr_workgroup_id_x 1
		.amdhsa_system_sgpr_workgroup_id_y 0
		.amdhsa_system_sgpr_workgroup_id_z 0
		.amdhsa_system_sgpr_workgroup_info 0
		.amdhsa_system_vgpr_workitem_id 0
		.amdhsa_next_free_vgpr 1
		.amdhsa_next_free_sgpr 0
		.amdhsa_accum_offset 4
		.amdhsa_reserve_vcc 0
		.amdhsa_float_round_mode_32 0
		.amdhsa_float_round_mode_16_64 0
		.amdhsa_float_denorm_mode_32 3
		.amdhsa_float_denorm_mode_16_64 3
		.amdhsa_dx10_clamp 1
		.amdhsa_ieee_mode 1
		.amdhsa_fp16_overflow 0
		.amdhsa_tg_split 0
		.amdhsa_exception_fp_ieee_invalid_op 0
		.amdhsa_exception_fp_denorm_src 0
		.amdhsa_exception_fp_ieee_div_zero 0
		.amdhsa_exception_fp_ieee_overflow 0
		.amdhsa_exception_fp_ieee_underflow 0
		.amdhsa_exception_fp_ieee_inexact 0
		.amdhsa_exception_int_div_zero 0
	.end_amdhsa_kernel
	.section	.text._ZN7rocprim17ROCPRIM_400000_NS6detail17trampoline_kernelINS0_13kernel_configILj256ELj4ELj4294967295EEENS1_37radix_sort_block_sort_config_selectorIjNS0_10empty_typeEEEZNS1_21radix_sort_block_sortIS4_Lb0EN6thrust23THRUST_200600_302600_NS6detail15normal_iteratorINSA_10device_ptrIjEEEESF_PS6_SG_NS0_19identity_decomposerEEE10hipError_tT1_T2_T3_T4_jRjT5_jjP12ihipStream_tbEUlT_E_NS1_11comp_targetILNS1_3genE2ELNS1_11target_archE906ELNS1_3gpuE6ELNS1_3repE0EEENS1_44radix_sort_block_sort_config_static_selectorELNS0_4arch9wavefront6targetE1EEEvSJ_,"axG",@progbits,_ZN7rocprim17ROCPRIM_400000_NS6detail17trampoline_kernelINS0_13kernel_configILj256ELj4ELj4294967295EEENS1_37radix_sort_block_sort_config_selectorIjNS0_10empty_typeEEEZNS1_21radix_sort_block_sortIS4_Lb0EN6thrust23THRUST_200600_302600_NS6detail15normal_iteratorINSA_10device_ptrIjEEEESF_PS6_SG_NS0_19identity_decomposerEEE10hipError_tT1_T2_T3_T4_jRjT5_jjP12ihipStream_tbEUlT_E_NS1_11comp_targetILNS1_3genE2ELNS1_11target_archE906ELNS1_3gpuE6ELNS1_3repE0EEENS1_44radix_sort_block_sort_config_static_selectorELNS0_4arch9wavefront6targetE1EEEvSJ_,comdat
.Lfunc_end955:
	.size	_ZN7rocprim17ROCPRIM_400000_NS6detail17trampoline_kernelINS0_13kernel_configILj256ELj4ELj4294967295EEENS1_37radix_sort_block_sort_config_selectorIjNS0_10empty_typeEEEZNS1_21radix_sort_block_sortIS4_Lb0EN6thrust23THRUST_200600_302600_NS6detail15normal_iteratorINSA_10device_ptrIjEEEESF_PS6_SG_NS0_19identity_decomposerEEE10hipError_tT1_T2_T3_T4_jRjT5_jjP12ihipStream_tbEUlT_E_NS1_11comp_targetILNS1_3genE2ELNS1_11target_archE906ELNS1_3gpuE6ELNS1_3repE0EEENS1_44radix_sort_block_sort_config_static_selectorELNS0_4arch9wavefront6targetE1EEEvSJ_, .Lfunc_end955-_ZN7rocprim17ROCPRIM_400000_NS6detail17trampoline_kernelINS0_13kernel_configILj256ELj4ELj4294967295EEENS1_37radix_sort_block_sort_config_selectorIjNS0_10empty_typeEEEZNS1_21radix_sort_block_sortIS4_Lb0EN6thrust23THRUST_200600_302600_NS6detail15normal_iteratorINSA_10device_ptrIjEEEESF_PS6_SG_NS0_19identity_decomposerEEE10hipError_tT1_T2_T3_T4_jRjT5_jjP12ihipStream_tbEUlT_E_NS1_11comp_targetILNS1_3genE2ELNS1_11target_archE906ELNS1_3gpuE6ELNS1_3repE0EEENS1_44radix_sort_block_sort_config_static_selectorELNS0_4arch9wavefront6targetE1EEEvSJ_
                                        ; -- End function
	.section	.AMDGPU.csdata,"",@progbits
; Kernel info:
; codeLenInByte = 0
; NumSgprs: 6
; NumVgprs: 0
; NumAgprs: 0
; TotalNumVgprs: 0
; ScratchSize: 0
; MemoryBound: 0
; FloatMode: 240
; IeeeMode: 1
; LDSByteSize: 0 bytes/workgroup (compile time only)
; SGPRBlocks: 0
; VGPRBlocks: 0
; NumSGPRsForWavesPerEU: 6
; NumVGPRsForWavesPerEU: 1
; AccumOffset: 4
; Occupancy: 8
; WaveLimiterHint : 0
; COMPUTE_PGM_RSRC2:SCRATCH_EN: 0
; COMPUTE_PGM_RSRC2:USER_SGPR: 2
; COMPUTE_PGM_RSRC2:TRAP_HANDLER: 0
; COMPUTE_PGM_RSRC2:TGID_X_EN: 1
; COMPUTE_PGM_RSRC2:TGID_Y_EN: 0
; COMPUTE_PGM_RSRC2:TGID_Z_EN: 0
; COMPUTE_PGM_RSRC2:TIDIG_COMP_CNT: 0
; COMPUTE_PGM_RSRC3_GFX90A:ACCUM_OFFSET: 0
; COMPUTE_PGM_RSRC3_GFX90A:TG_SPLIT: 0
	.section	.text._ZN7rocprim17ROCPRIM_400000_NS6detail17trampoline_kernelINS0_13kernel_configILj256ELj4ELj4294967295EEENS1_37radix_sort_block_sort_config_selectorIjNS0_10empty_typeEEEZNS1_21radix_sort_block_sortIS4_Lb0EN6thrust23THRUST_200600_302600_NS6detail15normal_iteratorINSA_10device_ptrIjEEEESF_PS6_SG_NS0_19identity_decomposerEEE10hipError_tT1_T2_T3_T4_jRjT5_jjP12ihipStream_tbEUlT_E_NS1_11comp_targetILNS1_3genE10ELNS1_11target_archE1201ELNS1_3gpuE5ELNS1_3repE0EEENS1_44radix_sort_block_sort_config_static_selectorELNS0_4arch9wavefront6targetE1EEEvSJ_,"axG",@progbits,_ZN7rocprim17ROCPRIM_400000_NS6detail17trampoline_kernelINS0_13kernel_configILj256ELj4ELj4294967295EEENS1_37radix_sort_block_sort_config_selectorIjNS0_10empty_typeEEEZNS1_21radix_sort_block_sortIS4_Lb0EN6thrust23THRUST_200600_302600_NS6detail15normal_iteratorINSA_10device_ptrIjEEEESF_PS6_SG_NS0_19identity_decomposerEEE10hipError_tT1_T2_T3_T4_jRjT5_jjP12ihipStream_tbEUlT_E_NS1_11comp_targetILNS1_3genE10ELNS1_11target_archE1201ELNS1_3gpuE5ELNS1_3repE0EEENS1_44radix_sort_block_sort_config_static_selectorELNS0_4arch9wavefront6targetE1EEEvSJ_,comdat
	.protected	_ZN7rocprim17ROCPRIM_400000_NS6detail17trampoline_kernelINS0_13kernel_configILj256ELj4ELj4294967295EEENS1_37radix_sort_block_sort_config_selectorIjNS0_10empty_typeEEEZNS1_21radix_sort_block_sortIS4_Lb0EN6thrust23THRUST_200600_302600_NS6detail15normal_iteratorINSA_10device_ptrIjEEEESF_PS6_SG_NS0_19identity_decomposerEEE10hipError_tT1_T2_T3_T4_jRjT5_jjP12ihipStream_tbEUlT_E_NS1_11comp_targetILNS1_3genE10ELNS1_11target_archE1201ELNS1_3gpuE5ELNS1_3repE0EEENS1_44radix_sort_block_sort_config_static_selectorELNS0_4arch9wavefront6targetE1EEEvSJ_ ; -- Begin function _ZN7rocprim17ROCPRIM_400000_NS6detail17trampoline_kernelINS0_13kernel_configILj256ELj4ELj4294967295EEENS1_37radix_sort_block_sort_config_selectorIjNS0_10empty_typeEEEZNS1_21radix_sort_block_sortIS4_Lb0EN6thrust23THRUST_200600_302600_NS6detail15normal_iteratorINSA_10device_ptrIjEEEESF_PS6_SG_NS0_19identity_decomposerEEE10hipError_tT1_T2_T3_T4_jRjT5_jjP12ihipStream_tbEUlT_E_NS1_11comp_targetILNS1_3genE10ELNS1_11target_archE1201ELNS1_3gpuE5ELNS1_3repE0EEENS1_44radix_sort_block_sort_config_static_selectorELNS0_4arch9wavefront6targetE1EEEvSJ_
	.globl	_ZN7rocprim17ROCPRIM_400000_NS6detail17trampoline_kernelINS0_13kernel_configILj256ELj4ELj4294967295EEENS1_37radix_sort_block_sort_config_selectorIjNS0_10empty_typeEEEZNS1_21radix_sort_block_sortIS4_Lb0EN6thrust23THRUST_200600_302600_NS6detail15normal_iteratorINSA_10device_ptrIjEEEESF_PS6_SG_NS0_19identity_decomposerEEE10hipError_tT1_T2_T3_T4_jRjT5_jjP12ihipStream_tbEUlT_E_NS1_11comp_targetILNS1_3genE10ELNS1_11target_archE1201ELNS1_3gpuE5ELNS1_3repE0EEENS1_44radix_sort_block_sort_config_static_selectorELNS0_4arch9wavefront6targetE1EEEvSJ_
	.p2align	8
	.type	_ZN7rocprim17ROCPRIM_400000_NS6detail17trampoline_kernelINS0_13kernel_configILj256ELj4ELj4294967295EEENS1_37radix_sort_block_sort_config_selectorIjNS0_10empty_typeEEEZNS1_21radix_sort_block_sortIS4_Lb0EN6thrust23THRUST_200600_302600_NS6detail15normal_iteratorINSA_10device_ptrIjEEEESF_PS6_SG_NS0_19identity_decomposerEEE10hipError_tT1_T2_T3_T4_jRjT5_jjP12ihipStream_tbEUlT_E_NS1_11comp_targetILNS1_3genE10ELNS1_11target_archE1201ELNS1_3gpuE5ELNS1_3repE0EEENS1_44radix_sort_block_sort_config_static_selectorELNS0_4arch9wavefront6targetE1EEEvSJ_,@function
_ZN7rocprim17ROCPRIM_400000_NS6detail17trampoline_kernelINS0_13kernel_configILj256ELj4ELj4294967295EEENS1_37radix_sort_block_sort_config_selectorIjNS0_10empty_typeEEEZNS1_21radix_sort_block_sortIS4_Lb0EN6thrust23THRUST_200600_302600_NS6detail15normal_iteratorINSA_10device_ptrIjEEEESF_PS6_SG_NS0_19identity_decomposerEEE10hipError_tT1_T2_T3_T4_jRjT5_jjP12ihipStream_tbEUlT_E_NS1_11comp_targetILNS1_3genE10ELNS1_11target_archE1201ELNS1_3gpuE5ELNS1_3repE0EEENS1_44radix_sort_block_sort_config_static_selectorELNS0_4arch9wavefront6targetE1EEEvSJ_: ; @_ZN7rocprim17ROCPRIM_400000_NS6detail17trampoline_kernelINS0_13kernel_configILj256ELj4ELj4294967295EEENS1_37radix_sort_block_sort_config_selectorIjNS0_10empty_typeEEEZNS1_21radix_sort_block_sortIS4_Lb0EN6thrust23THRUST_200600_302600_NS6detail15normal_iteratorINSA_10device_ptrIjEEEESF_PS6_SG_NS0_19identity_decomposerEEE10hipError_tT1_T2_T3_T4_jRjT5_jjP12ihipStream_tbEUlT_E_NS1_11comp_targetILNS1_3genE10ELNS1_11target_archE1201ELNS1_3gpuE5ELNS1_3repE0EEENS1_44radix_sort_block_sort_config_static_selectorELNS0_4arch9wavefront6targetE1EEEvSJ_
; %bb.0:
	.section	.rodata,"a",@progbits
	.p2align	6, 0x0
	.amdhsa_kernel _ZN7rocprim17ROCPRIM_400000_NS6detail17trampoline_kernelINS0_13kernel_configILj256ELj4ELj4294967295EEENS1_37radix_sort_block_sort_config_selectorIjNS0_10empty_typeEEEZNS1_21radix_sort_block_sortIS4_Lb0EN6thrust23THRUST_200600_302600_NS6detail15normal_iteratorINSA_10device_ptrIjEEEESF_PS6_SG_NS0_19identity_decomposerEEE10hipError_tT1_T2_T3_T4_jRjT5_jjP12ihipStream_tbEUlT_E_NS1_11comp_targetILNS1_3genE10ELNS1_11target_archE1201ELNS1_3gpuE5ELNS1_3repE0EEENS1_44radix_sort_block_sort_config_static_selectorELNS0_4arch9wavefront6targetE1EEEvSJ_
		.amdhsa_group_segment_fixed_size 0
		.amdhsa_private_segment_fixed_size 0
		.amdhsa_kernarg_size 48
		.amdhsa_user_sgpr_count 2
		.amdhsa_user_sgpr_dispatch_ptr 0
		.amdhsa_user_sgpr_queue_ptr 0
		.amdhsa_user_sgpr_kernarg_segment_ptr 1
		.amdhsa_user_sgpr_dispatch_id 0
		.amdhsa_user_sgpr_kernarg_preload_length 0
		.amdhsa_user_sgpr_kernarg_preload_offset 0
		.amdhsa_user_sgpr_private_segment_size 0
		.amdhsa_uses_dynamic_stack 0
		.amdhsa_enable_private_segment 0
		.amdhsa_system_sgpr_workgroup_id_x 1
		.amdhsa_system_sgpr_workgroup_id_y 0
		.amdhsa_system_sgpr_workgroup_id_z 0
		.amdhsa_system_sgpr_workgroup_info 0
		.amdhsa_system_vgpr_workitem_id 0
		.amdhsa_next_free_vgpr 1
		.amdhsa_next_free_sgpr 0
		.amdhsa_accum_offset 4
		.amdhsa_reserve_vcc 0
		.amdhsa_float_round_mode_32 0
		.amdhsa_float_round_mode_16_64 0
		.amdhsa_float_denorm_mode_32 3
		.amdhsa_float_denorm_mode_16_64 3
		.amdhsa_dx10_clamp 1
		.amdhsa_ieee_mode 1
		.amdhsa_fp16_overflow 0
		.amdhsa_tg_split 0
		.amdhsa_exception_fp_ieee_invalid_op 0
		.amdhsa_exception_fp_denorm_src 0
		.amdhsa_exception_fp_ieee_div_zero 0
		.amdhsa_exception_fp_ieee_overflow 0
		.amdhsa_exception_fp_ieee_underflow 0
		.amdhsa_exception_fp_ieee_inexact 0
		.amdhsa_exception_int_div_zero 0
	.end_amdhsa_kernel
	.section	.text._ZN7rocprim17ROCPRIM_400000_NS6detail17trampoline_kernelINS0_13kernel_configILj256ELj4ELj4294967295EEENS1_37radix_sort_block_sort_config_selectorIjNS0_10empty_typeEEEZNS1_21radix_sort_block_sortIS4_Lb0EN6thrust23THRUST_200600_302600_NS6detail15normal_iteratorINSA_10device_ptrIjEEEESF_PS6_SG_NS0_19identity_decomposerEEE10hipError_tT1_T2_T3_T4_jRjT5_jjP12ihipStream_tbEUlT_E_NS1_11comp_targetILNS1_3genE10ELNS1_11target_archE1201ELNS1_3gpuE5ELNS1_3repE0EEENS1_44radix_sort_block_sort_config_static_selectorELNS0_4arch9wavefront6targetE1EEEvSJ_,"axG",@progbits,_ZN7rocprim17ROCPRIM_400000_NS6detail17trampoline_kernelINS0_13kernel_configILj256ELj4ELj4294967295EEENS1_37radix_sort_block_sort_config_selectorIjNS0_10empty_typeEEEZNS1_21radix_sort_block_sortIS4_Lb0EN6thrust23THRUST_200600_302600_NS6detail15normal_iteratorINSA_10device_ptrIjEEEESF_PS6_SG_NS0_19identity_decomposerEEE10hipError_tT1_T2_T3_T4_jRjT5_jjP12ihipStream_tbEUlT_E_NS1_11comp_targetILNS1_3genE10ELNS1_11target_archE1201ELNS1_3gpuE5ELNS1_3repE0EEENS1_44radix_sort_block_sort_config_static_selectorELNS0_4arch9wavefront6targetE1EEEvSJ_,comdat
.Lfunc_end956:
	.size	_ZN7rocprim17ROCPRIM_400000_NS6detail17trampoline_kernelINS0_13kernel_configILj256ELj4ELj4294967295EEENS1_37radix_sort_block_sort_config_selectorIjNS0_10empty_typeEEEZNS1_21radix_sort_block_sortIS4_Lb0EN6thrust23THRUST_200600_302600_NS6detail15normal_iteratorINSA_10device_ptrIjEEEESF_PS6_SG_NS0_19identity_decomposerEEE10hipError_tT1_T2_T3_T4_jRjT5_jjP12ihipStream_tbEUlT_E_NS1_11comp_targetILNS1_3genE10ELNS1_11target_archE1201ELNS1_3gpuE5ELNS1_3repE0EEENS1_44radix_sort_block_sort_config_static_selectorELNS0_4arch9wavefront6targetE1EEEvSJ_, .Lfunc_end956-_ZN7rocprim17ROCPRIM_400000_NS6detail17trampoline_kernelINS0_13kernel_configILj256ELj4ELj4294967295EEENS1_37radix_sort_block_sort_config_selectorIjNS0_10empty_typeEEEZNS1_21radix_sort_block_sortIS4_Lb0EN6thrust23THRUST_200600_302600_NS6detail15normal_iteratorINSA_10device_ptrIjEEEESF_PS6_SG_NS0_19identity_decomposerEEE10hipError_tT1_T2_T3_T4_jRjT5_jjP12ihipStream_tbEUlT_E_NS1_11comp_targetILNS1_3genE10ELNS1_11target_archE1201ELNS1_3gpuE5ELNS1_3repE0EEENS1_44radix_sort_block_sort_config_static_selectorELNS0_4arch9wavefront6targetE1EEEvSJ_
                                        ; -- End function
	.section	.AMDGPU.csdata,"",@progbits
; Kernel info:
; codeLenInByte = 0
; NumSgprs: 6
; NumVgprs: 0
; NumAgprs: 0
; TotalNumVgprs: 0
; ScratchSize: 0
; MemoryBound: 0
; FloatMode: 240
; IeeeMode: 1
; LDSByteSize: 0 bytes/workgroup (compile time only)
; SGPRBlocks: 0
; VGPRBlocks: 0
; NumSGPRsForWavesPerEU: 6
; NumVGPRsForWavesPerEU: 1
; AccumOffset: 4
; Occupancy: 8
; WaveLimiterHint : 0
; COMPUTE_PGM_RSRC2:SCRATCH_EN: 0
; COMPUTE_PGM_RSRC2:USER_SGPR: 2
; COMPUTE_PGM_RSRC2:TRAP_HANDLER: 0
; COMPUTE_PGM_RSRC2:TGID_X_EN: 1
; COMPUTE_PGM_RSRC2:TGID_Y_EN: 0
; COMPUTE_PGM_RSRC2:TGID_Z_EN: 0
; COMPUTE_PGM_RSRC2:TIDIG_COMP_CNT: 0
; COMPUTE_PGM_RSRC3_GFX90A:ACCUM_OFFSET: 0
; COMPUTE_PGM_RSRC3_GFX90A:TG_SPLIT: 0
	.section	.text._ZN7rocprim17ROCPRIM_400000_NS6detail17trampoline_kernelINS0_13kernel_configILj256ELj4ELj4294967295EEENS1_37radix_sort_block_sort_config_selectorIjNS0_10empty_typeEEEZNS1_21radix_sort_block_sortIS4_Lb0EN6thrust23THRUST_200600_302600_NS6detail15normal_iteratorINSA_10device_ptrIjEEEESF_PS6_SG_NS0_19identity_decomposerEEE10hipError_tT1_T2_T3_T4_jRjT5_jjP12ihipStream_tbEUlT_E_NS1_11comp_targetILNS1_3genE10ELNS1_11target_archE1200ELNS1_3gpuE4ELNS1_3repE0EEENS1_44radix_sort_block_sort_config_static_selectorELNS0_4arch9wavefront6targetE1EEEvSJ_,"axG",@progbits,_ZN7rocprim17ROCPRIM_400000_NS6detail17trampoline_kernelINS0_13kernel_configILj256ELj4ELj4294967295EEENS1_37radix_sort_block_sort_config_selectorIjNS0_10empty_typeEEEZNS1_21radix_sort_block_sortIS4_Lb0EN6thrust23THRUST_200600_302600_NS6detail15normal_iteratorINSA_10device_ptrIjEEEESF_PS6_SG_NS0_19identity_decomposerEEE10hipError_tT1_T2_T3_T4_jRjT5_jjP12ihipStream_tbEUlT_E_NS1_11comp_targetILNS1_3genE10ELNS1_11target_archE1200ELNS1_3gpuE4ELNS1_3repE0EEENS1_44radix_sort_block_sort_config_static_selectorELNS0_4arch9wavefront6targetE1EEEvSJ_,comdat
	.protected	_ZN7rocprim17ROCPRIM_400000_NS6detail17trampoline_kernelINS0_13kernel_configILj256ELj4ELj4294967295EEENS1_37radix_sort_block_sort_config_selectorIjNS0_10empty_typeEEEZNS1_21radix_sort_block_sortIS4_Lb0EN6thrust23THRUST_200600_302600_NS6detail15normal_iteratorINSA_10device_ptrIjEEEESF_PS6_SG_NS0_19identity_decomposerEEE10hipError_tT1_T2_T3_T4_jRjT5_jjP12ihipStream_tbEUlT_E_NS1_11comp_targetILNS1_3genE10ELNS1_11target_archE1200ELNS1_3gpuE4ELNS1_3repE0EEENS1_44radix_sort_block_sort_config_static_selectorELNS0_4arch9wavefront6targetE1EEEvSJ_ ; -- Begin function _ZN7rocprim17ROCPRIM_400000_NS6detail17trampoline_kernelINS0_13kernel_configILj256ELj4ELj4294967295EEENS1_37radix_sort_block_sort_config_selectorIjNS0_10empty_typeEEEZNS1_21radix_sort_block_sortIS4_Lb0EN6thrust23THRUST_200600_302600_NS6detail15normal_iteratorINSA_10device_ptrIjEEEESF_PS6_SG_NS0_19identity_decomposerEEE10hipError_tT1_T2_T3_T4_jRjT5_jjP12ihipStream_tbEUlT_E_NS1_11comp_targetILNS1_3genE10ELNS1_11target_archE1200ELNS1_3gpuE4ELNS1_3repE0EEENS1_44radix_sort_block_sort_config_static_selectorELNS0_4arch9wavefront6targetE1EEEvSJ_
	.globl	_ZN7rocprim17ROCPRIM_400000_NS6detail17trampoline_kernelINS0_13kernel_configILj256ELj4ELj4294967295EEENS1_37radix_sort_block_sort_config_selectorIjNS0_10empty_typeEEEZNS1_21radix_sort_block_sortIS4_Lb0EN6thrust23THRUST_200600_302600_NS6detail15normal_iteratorINSA_10device_ptrIjEEEESF_PS6_SG_NS0_19identity_decomposerEEE10hipError_tT1_T2_T3_T4_jRjT5_jjP12ihipStream_tbEUlT_E_NS1_11comp_targetILNS1_3genE10ELNS1_11target_archE1200ELNS1_3gpuE4ELNS1_3repE0EEENS1_44radix_sort_block_sort_config_static_selectorELNS0_4arch9wavefront6targetE1EEEvSJ_
	.p2align	8
	.type	_ZN7rocprim17ROCPRIM_400000_NS6detail17trampoline_kernelINS0_13kernel_configILj256ELj4ELj4294967295EEENS1_37radix_sort_block_sort_config_selectorIjNS0_10empty_typeEEEZNS1_21radix_sort_block_sortIS4_Lb0EN6thrust23THRUST_200600_302600_NS6detail15normal_iteratorINSA_10device_ptrIjEEEESF_PS6_SG_NS0_19identity_decomposerEEE10hipError_tT1_T2_T3_T4_jRjT5_jjP12ihipStream_tbEUlT_E_NS1_11comp_targetILNS1_3genE10ELNS1_11target_archE1200ELNS1_3gpuE4ELNS1_3repE0EEENS1_44radix_sort_block_sort_config_static_selectorELNS0_4arch9wavefront6targetE1EEEvSJ_,@function
_ZN7rocprim17ROCPRIM_400000_NS6detail17trampoline_kernelINS0_13kernel_configILj256ELj4ELj4294967295EEENS1_37radix_sort_block_sort_config_selectorIjNS0_10empty_typeEEEZNS1_21radix_sort_block_sortIS4_Lb0EN6thrust23THRUST_200600_302600_NS6detail15normal_iteratorINSA_10device_ptrIjEEEESF_PS6_SG_NS0_19identity_decomposerEEE10hipError_tT1_T2_T3_T4_jRjT5_jjP12ihipStream_tbEUlT_E_NS1_11comp_targetILNS1_3genE10ELNS1_11target_archE1200ELNS1_3gpuE4ELNS1_3repE0EEENS1_44radix_sort_block_sort_config_static_selectorELNS0_4arch9wavefront6targetE1EEEvSJ_: ; @_ZN7rocprim17ROCPRIM_400000_NS6detail17trampoline_kernelINS0_13kernel_configILj256ELj4ELj4294967295EEENS1_37radix_sort_block_sort_config_selectorIjNS0_10empty_typeEEEZNS1_21radix_sort_block_sortIS4_Lb0EN6thrust23THRUST_200600_302600_NS6detail15normal_iteratorINSA_10device_ptrIjEEEESF_PS6_SG_NS0_19identity_decomposerEEE10hipError_tT1_T2_T3_T4_jRjT5_jjP12ihipStream_tbEUlT_E_NS1_11comp_targetILNS1_3genE10ELNS1_11target_archE1200ELNS1_3gpuE4ELNS1_3repE0EEENS1_44radix_sort_block_sort_config_static_selectorELNS0_4arch9wavefront6targetE1EEEvSJ_
; %bb.0:
	.section	.rodata,"a",@progbits
	.p2align	6, 0x0
	.amdhsa_kernel _ZN7rocprim17ROCPRIM_400000_NS6detail17trampoline_kernelINS0_13kernel_configILj256ELj4ELj4294967295EEENS1_37radix_sort_block_sort_config_selectorIjNS0_10empty_typeEEEZNS1_21radix_sort_block_sortIS4_Lb0EN6thrust23THRUST_200600_302600_NS6detail15normal_iteratorINSA_10device_ptrIjEEEESF_PS6_SG_NS0_19identity_decomposerEEE10hipError_tT1_T2_T3_T4_jRjT5_jjP12ihipStream_tbEUlT_E_NS1_11comp_targetILNS1_3genE10ELNS1_11target_archE1200ELNS1_3gpuE4ELNS1_3repE0EEENS1_44radix_sort_block_sort_config_static_selectorELNS0_4arch9wavefront6targetE1EEEvSJ_
		.amdhsa_group_segment_fixed_size 0
		.amdhsa_private_segment_fixed_size 0
		.amdhsa_kernarg_size 48
		.amdhsa_user_sgpr_count 2
		.amdhsa_user_sgpr_dispatch_ptr 0
		.amdhsa_user_sgpr_queue_ptr 0
		.amdhsa_user_sgpr_kernarg_segment_ptr 1
		.amdhsa_user_sgpr_dispatch_id 0
		.amdhsa_user_sgpr_kernarg_preload_length 0
		.amdhsa_user_sgpr_kernarg_preload_offset 0
		.amdhsa_user_sgpr_private_segment_size 0
		.amdhsa_uses_dynamic_stack 0
		.amdhsa_enable_private_segment 0
		.amdhsa_system_sgpr_workgroup_id_x 1
		.amdhsa_system_sgpr_workgroup_id_y 0
		.amdhsa_system_sgpr_workgroup_id_z 0
		.amdhsa_system_sgpr_workgroup_info 0
		.amdhsa_system_vgpr_workitem_id 0
		.amdhsa_next_free_vgpr 1
		.amdhsa_next_free_sgpr 0
		.amdhsa_accum_offset 4
		.amdhsa_reserve_vcc 0
		.amdhsa_float_round_mode_32 0
		.amdhsa_float_round_mode_16_64 0
		.amdhsa_float_denorm_mode_32 3
		.amdhsa_float_denorm_mode_16_64 3
		.amdhsa_dx10_clamp 1
		.amdhsa_ieee_mode 1
		.amdhsa_fp16_overflow 0
		.amdhsa_tg_split 0
		.amdhsa_exception_fp_ieee_invalid_op 0
		.amdhsa_exception_fp_denorm_src 0
		.amdhsa_exception_fp_ieee_div_zero 0
		.amdhsa_exception_fp_ieee_overflow 0
		.amdhsa_exception_fp_ieee_underflow 0
		.amdhsa_exception_fp_ieee_inexact 0
		.amdhsa_exception_int_div_zero 0
	.end_amdhsa_kernel
	.section	.text._ZN7rocprim17ROCPRIM_400000_NS6detail17trampoline_kernelINS0_13kernel_configILj256ELj4ELj4294967295EEENS1_37radix_sort_block_sort_config_selectorIjNS0_10empty_typeEEEZNS1_21radix_sort_block_sortIS4_Lb0EN6thrust23THRUST_200600_302600_NS6detail15normal_iteratorINSA_10device_ptrIjEEEESF_PS6_SG_NS0_19identity_decomposerEEE10hipError_tT1_T2_T3_T4_jRjT5_jjP12ihipStream_tbEUlT_E_NS1_11comp_targetILNS1_3genE10ELNS1_11target_archE1200ELNS1_3gpuE4ELNS1_3repE0EEENS1_44radix_sort_block_sort_config_static_selectorELNS0_4arch9wavefront6targetE1EEEvSJ_,"axG",@progbits,_ZN7rocprim17ROCPRIM_400000_NS6detail17trampoline_kernelINS0_13kernel_configILj256ELj4ELj4294967295EEENS1_37radix_sort_block_sort_config_selectorIjNS0_10empty_typeEEEZNS1_21radix_sort_block_sortIS4_Lb0EN6thrust23THRUST_200600_302600_NS6detail15normal_iteratorINSA_10device_ptrIjEEEESF_PS6_SG_NS0_19identity_decomposerEEE10hipError_tT1_T2_T3_T4_jRjT5_jjP12ihipStream_tbEUlT_E_NS1_11comp_targetILNS1_3genE10ELNS1_11target_archE1200ELNS1_3gpuE4ELNS1_3repE0EEENS1_44radix_sort_block_sort_config_static_selectorELNS0_4arch9wavefront6targetE1EEEvSJ_,comdat
.Lfunc_end957:
	.size	_ZN7rocprim17ROCPRIM_400000_NS6detail17trampoline_kernelINS0_13kernel_configILj256ELj4ELj4294967295EEENS1_37radix_sort_block_sort_config_selectorIjNS0_10empty_typeEEEZNS1_21radix_sort_block_sortIS4_Lb0EN6thrust23THRUST_200600_302600_NS6detail15normal_iteratorINSA_10device_ptrIjEEEESF_PS6_SG_NS0_19identity_decomposerEEE10hipError_tT1_T2_T3_T4_jRjT5_jjP12ihipStream_tbEUlT_E_NS1_11comp_targetILNS1_3genE10ELNS1_11target_archE1200ELNS1_3gpuE4ELNS1_3repE0EEENS1_44radix_sort_block_sort_config_static_selectorELNS0_4arch9wavefront6targetE1EEEvSJ_, .Lfunc_end957-_ZN7rocprim17ROCPRIM_400000_NS6detail17trampoline_kernelINS0_13kernel_configILj256ELj4ELj4294967295EEENS1_37radix_sort_block_sort_config_selectorIjNS0_10empty_typeEEEZNS1_21radix_sort_block_sortIS4_Lb0EN6thrust23THRUST_200600_302600_NS6detail15normal_iteratorINSA_10device_ptrIjEEEESF_PS6_SG_NS0_19identity_decomposerEEE10hipError_tT1_T2_T3_T4_jRjT5_jjP12ihipStream_tbEUlT_E_NS1_11comp_targetILNS1_3genE10ELNS1_11target_archE1200ELNS1_3gpuE4ELNS1_3repE0EEENS1_44radix_sort_block_sort_config_static_selectorELNS0_4arch9wavefront6targetE1EEEvSJ_
                                        ; -- End function
	.section	.AMDGPU.csdata,"",@progbits
; Kernel info:
; codeLenInByte = 0
; NumSgprs: 6
; NumVgprs: 0
; NumAgprs: 0
; TotalNumVgprs: 0
; ScratchSize: 0
; MemoryBound: 0
; FloatMode: 240
; IeeeMode: 1
; LDSByteSize: 0 bytes/workgroup (compile time only)
; SGPRBlocks: 0
; VGPRBlocks: 0
; NumSGPRsForWavesPerEU: 6
; NumVGPRsForWavesPerEU: 1
; AccumOffset: 4
; Occupancy: 8
; WaveLimiterHint : 0
; COMPUTE_PGM_RSRC2:SCRATCH_EN: 0
; COMPUTE_PGM_RSRC2:USER_SGPR: 2
; COMPUTE_PGM_RSRC2:TRAP_HANDLER: 0
; COMPUTE_PGM_RSRC2:TGID_X_EN: 1
; COMPUTE_PGM_RSRC2:TGID_Y_EN: 0
; COMPUTE_PGM_RSRC2:TGID_Z_EN: 0
; COMPUTE_PGM_RSRC2:TIDIG_COMP_CNT: 0
; COMPUTE_PGM_RSRC3_GFX90A:ACCUM_OFFSET: 0
; COMPUTE_PGM_RSRC3_GFX90A:TG_SPLIT: 0
	.section	.text._ZN7rocprim17ROCPRIM_400000_NS6detail17trampoline_kernelINS0_13kernel_configILj256ELj4ELj4294967295EEENS1_37radix_sort_block_sort_config_selectorIjNS0_10empty_typeEEEZNS1_21radix_sort_block_sortIS4_Lb0EN6thrust23THRUST_200600_302600_NS6detail15normal_iteratorINSA_10device_ptrIjEEEESF_PS6_SG_NS0_19identity_decomposerEEE10hipError_tT1_T2_T3_T4_jRjT5_jjP12ihipStream_tbEUlT_E_NS1_11comp_targetILNS1_3genE9ELNS1_11target_archE1100ELNS1_3gpuE3ELNS1_3repE0EEENS1_44radix_sort_block_sort_config_static_selectorELNS0_4arch9wavefront6targetE1EEEvSJ_,"axG",@progbits,_ZN7rocprim17ROCPRIM_400000_NS6detail17trampoline_kernelINS0_13kernel_configILj256ELj4ELj4294967295EEENS1_37radix_sort_block_sort_config_selectorIjNS0_10empty_typeEEEZNS1_21radix_sort_block_sortIS4_Lb0EN6thrust23THRUST_200600_302600_NS6detail15normal_iteratorINSA_10device_ptrIjEEEESF_PS6_SG_NS0_19identity_decomposerEEE10hipError_tT1_T2_T3_T4_jRjT5_jjP12ihipStream_tbEUlT_E_NS1_11comp_targetILNS1_3genE9ELNS1_11target_archE1100ELNS1_3gpuE3ELNS1_3repE0EEENS1_44radix_sort_block_sort_config_static_selectorELNS0_4arch9wavefront6targetE1EEEvSJ_,comdat
	.protected	_ZN7rocprim17ROCPRIM_400000_NS6detail17trampoline_kernelINS0_13kernel_configILj256ELj4ELj4294967295EEENS1_37radix_sort_block_sort_config_selectorIjNS0_10empty_typeEEEZNS1_21radix_sort_block_sortIS4_Lb0EN6thrust23THRUST_200600_302600_NS6detail15normal_iteratorINSA_10device_ptrIjEEEESF_PS6_SG_NS0_19identity_decomposerEEE10hipError_tT1_T2_T3_T4_jRjT5_jjP12ihipStream_tbEUlT_E_NS1_11comp_targetILNS1_3genE9ELNS1_11target_archE1100ELNS1_3gpuE3ELNS1_3repE0EEENS1_44radix_sort_block_sort_config_static_selectorELNS0_4arch9wavefront6targetE1EEEvSJ_ ; -- Begin function _ZN7rocprim17ROCPRIM_400000_NS6detail17trampoline_kernelINS0_13kernel_configILj256ELj4ELj4294967295EEENS1_37radix_sort_block_sort_config_selectorIjNS0_10empty_typeEEEZNS1_21radix_sort_block_sortIS4_Lb0EN6thrust23THRUST_200600_302600_NS6detail15normal_iteratorINSA_10device_ptrIjEEEESF_PS6_SG_NS0_19identity_decomposerEEE10hipError_tT1_T2_T3_T4_jRjT5_jjP12ihipStream_tbEUlT_E_NS1_11comp_targetILNS1_3genE9ELNS1_11target_archE1100ELNS1_3gpuE3ELNS1_3repE0EEENS1_44radix_sort_block_sort_config_static_selectorELNS0_4arch9wavefront6targetE1EEEvSJ_
	.globl	_ZN7rocprim17ROCPRIM_400000_NS6detail17trampoline_kernelINS0_13kernel_configILj256ELj4ELj4294967295EEENS1_37radix_sort_block_sort_config_selectorIjNS0_10empty_typeEEEZNS1_21radix_sort_block_sortIS4_Lb0EN6thrust23THRUST_200600_302600_NS6detail15normal_iteratorINSA_10device_ptrIjEEEESF_PS6_SG_NS0_19identity_decomposerEEE10hipError_tT1_T2_T3_T4_jRjT5_jjP12ihipStream_tbEUlT_E_NS1_11comp_targetILNS1_3genE9ELNS1_11target_archE1100ELNS1_3gpuE3ELNS1_3repE0EEENS1_44radix_sort_block_sort_config_static_selectorELNS0_4arch9wavefront6targetE1EEEvSJ_
	.p2align	8
	.type	_ZN7rocprim17ROCPRIM_400000_NS6detail17trampoline_kernelINS0_13kernel_configILj256ELj4ELj4294967295EEENS1_37radix_sort_block_sort_config_selectorIjNS0_10empty_typeEEEZNS1_21radix_sort_block_sortIS4_Lb0EN6thrust23THRUST_200600_302600_NS6detail15normal_iteratorINSA_10device_ptrIjEEEESF_PS6_SG_NS0_19identity_decomposerEEE10hipError_tT1_T2_T3_T4_jRjT5_jjP12ihipStream_tbEUlT_E_NS1_11comp_targetILNS1_3genE9ELNS1_11target_archE1100ELNS1_3gpuE3ELNS1_3repE0EEENS1_44radix_sort_block_sort_config_static_selectorELNS0_4arch9wavefront6targetE1EEEvSJ_,@function
_ZN7rocprim17ROCPRIM_400000_NS6detail17trampoline_kernelINS0_13kernel_configILj256ELj4ELj4294967295EEENS1_37radix_sort_block_sort_config_selectorIjNS0_10empty_typeEEEZNS1_21radix_sort_block_sortIS4_Lb0EN6thrust23THRUST_200600_302600_NS6detail15normal_iteratorINSA_10device_ptrIjEEEESF_PS6_SG_NS0_19identity_decomposerEEE10hipError_tT1_T2_T3_T4_jRjT5_jjP12ihipStream_tbEUlT_E_NS1_11comp_targetILNS1_3genE9ELNS1_11target_archE1100ELNS1_3gpuE3ELNS1_3repE0EEENS1_44radix_sort_block_sort_config_static_selectorELNS0_4arch9wavefront6targetE1EEEvSJ_: ; @_ZN7rocprim17ROCPRIM_400000_NS6detail17trampoline_kernelINS0_13kernel_configILj256ELj4ELj4294967295EEENS1_37radix_sort_block_sort_config_selectorIjNS0_10empty_typeEEEZNS1_21radix_sort_block_sortIS4_Lb0EN6thrust23THRUST_200600_302600_NS6detail15normal_iteratorINSA_10device_ptrIjEEEESF_PS6_SG_NS0_19identity_decomposerEEE10hipError_tT1_T2_T3_T4_jRjT5_jjP12ihipStream_tbEUlT_E_NS1_11comp_targetILNS1_3genE9ELNS1_11target_archE1100ELNS1_3gpuE3ELNS1_3repE0EEENS1_44radix_sort_block_sort_config_static_selectorELNS0_4arch9wavefront6targetE1EEEvSJ_
; %bb.0:
	.section	.rodata,"a",@progbits
	.p2align	6, 0x0
	.amdhsa_kernel _ZN7rocprim17ROCPRIM_400000_NS6detail17trampoline_kernelINS0_13kernel_configILj256ELj4ELj4294967295EEENS1_37radix_sort_block_sort_config_selectorIjNS0_10empty_typeEEEZNS1_21radix_sort_block_sortIS4_Lb0EN6thrust23THRUST_200600_302600_NS6detail15normal_iteratorINSA_10device_ptrIjEEEESF_PS6_SG_NS0_19identity_decomposerEEE10hipError_tT1_T2_T3_T4_jRjT5_jjP12ihipStream_tbEUlT_E_NS1_11comp_targetILNS1_3genE9ELNS1_11target_archE1100ELNS1_3gpuE3ELNS1_3repE0EEENS1_44radix_sort_block_sort_config_static_selectorELNS0_4arch9wavefront6targetE1EEEvSJ_
		.amdhsa_group_segment_fixed_size 0
		.amdhsa_private_segment_fixed_size 0
		.amdhsa_kernarg_size 48
		.amdhsa_user_sgpr_count 2
		.amdhsa_user_sgpr_dispatch_ptr 0
		.amdhsa_user_sgpr_queue_ptr 0
		.amdhsa_user_sgpr_kernarg_segment_ptr 1
		.amdhsa_user_sgpr_dispatch_id 0
		.amdhsa_user_sgpr_kernarg_preload_length 0
		.amdhsa_user_sgpr_kernarg_preload_offset 0
		.amdhsa_user_sgpr_private_segment_size 0
		.amdhsa_uses_dynamic_stack 0
		.amdhsa_enable_private_segment 0
		.amdhsa_system_sgpr_workgroup_id_x 1
		.amdhsa_system_sgpr_workgroup_id_y 0
		.amdhsa_system_sgpr_workgroup_id_z 0
		.amdhsa_system_sgpr_workgroup_info 0
		.amdhsa_system_vgpr_workitem_id 0
		.amdhsa_next_free_vgpr 1
		.amdhsa_next_free_sgpr 0
		.amdhsa_accum_offset 4
		.amdhsa_reserve_vcc 0
		.amdhsa_float_round_mode_32 0
		.amdhsa_float_round_mode_16_64 0
		.amdhsa_float_denorm_mode_32 3
		.amdhsa_float_denorm_mode_16_64 3
		.amdhsa_dx10_clamp 1
		.amdhsa_ieee_mode 1
		.amdhsa_fp16_overflow 0
		.amdhsa_tg_split 0
		.amdhsa_exception_fp_ieee_invalid_op 0
		.amdhsa_exception_fp_denorm_src 0
		.amdhsa_exception_fp_ieee_div_zero 0
		.amdhsa_exception_fp_ieee_overflow 0
		.amdhsa_exception_fp_ieee_underflow 0
		.amdhsa_exception_fp_ieee_inexact 0
		.amdhsa_exception_int_div_zero 0
	.end_amdhsa_kernel
	.section	.text._ZN7rocprim17ROCPRIM_400000_NS6detail17trampoline_kernelINS0_13kernel_configILj256ELj4ELj4294967295EEENS1_37radix_sort_block_sort_config_selectorIjNS0_10empty_typeEEEZNS1_21radix_sort_block_sortIS4_Lb0EN6thrust23THRUST_200600_302600_NS6detail15normal_iteratorINSA_10device_ptrIjEEEESF_PS6_SG_NS0_19identity_decomposerEEE10hipError_tT1_T2_T3_T4_jRjT5_jjP12ihipStream_tbEUlT_E_NS1_11comp_targetILNS1_3genE9ELNS1_11target_archE1100ELNS1_3gpuE3ELNS1_3repE0EEENS1_44radix_sort_block_sort_config_static_selectorELNS0_4arch9wavefront6targetE1EEEvSJ_,"axG",@progbits,_ZN7rocprim17ROCPRIM_400000_NS6detail17trampoline_kernelINS0_13kernel_configILj256ELj4ELj4294967295EEENS1_37radix_sort_block_sort_config_selectorIjNS0_10empty_typeEEEZNS1_21radix_sort_block_sortIS4_Lb0EN6thrust23THRUST_200600_302600_NS6detail15normal_iteratorINSA_10device_ptrIjEEEESF_PS6_SG_NS0_19identity_decomposerEEE10hipError_tT1_T2_T3_T4_jRjT5_jjP12ihipStream_tbEUlT_E_NS1_11comp_targetILNS1_3genE9ELNS1_11target_archE1100ELNS1_3gpuE3ELNS1_3repE0EEENS1_44radix_sort_block_sort_config_static_selectorELNS0_4arch9wavefront6targetE1EEEvSJ_,comdat
.Lfunc_end958:
	.size	_ZN7rocprim17ROCPRIM_400000_NS6detail17trampoline_kernelINS0_13kernel_configILj256ELj4ELj4294967295EEENS1_37radix_sort_block_sort_config_selectorIjNS0_10empty_typeEEEZNS1_21radix_sort_block_sortIS4_Lb0EN6thrust23THRUST_200600_302600_NS6detail15normal_iteratorINSA_10device_ptrIjEEEESF_PS6_SG_NS0_19identity_decomposerEEE10hipError_tT1_T2_T3_T4_jRjT5_jjP12ihipStream_tbEUlT_E_NS1_11comp_targetILNS1_3genE9ELNS1_11target_archE1100ELNS1_3gpuE3ELNS1_3repE0EEENS1_44radix_sort_block_sort_config_static_selectorELNS0_4arch9wavefront6targetE1EEEvSJ_, .Lfunc_end958-_ZN7rocprim17ROCPRIM_400000_NS6detail17trampoline_kernelINS0_13kernel_configILj256ELj4ELj4294967295EEENS1_37radix_sort_block_sort_config_selectorIjNS0_10empty_typeEEEZNS1_21radix_sort_block_sortIS4_Lb0EN6thrust23THRUST_200600_302600_NS6detail15normal_iteratorINSA_10device_ptrIjEEEESF_PS6_SG_NS0_19identity_decomposerEEE10hipError_tT1_T2_T3_T4_jRjT5_jjP12ihipStream_tbEUlT_E_NS1_11comp_targetILNS1_3genE9ELNS1_11target_archE1100ELNS1_3gpuE3ELNS1_3repE0EEENS1_44radix_sort_block_sort_config_static_selectorELNS0_4arch9wavefront6targetE1EEEvSJ_
                                        ; -- End function
	.section	.AMDGPU.csdata,"",@progbits
; Kernel info:
; codeLenInByte = 0
; NumSgprs: 6
; NumVgprs: 0
; NumAgprs: 0
; TotalNumVgprs: 0
; ScratchSize: 0
; MemoryBound: 0
; FloatMode: 240
; IeeeMode: 1
; LDSByteSize: 0 bytes/workgroup (compile time only)
; SGPRBlocks: 0
; VGPRBlocks: 0
; NumSGPRsForWavesPerEU: 6
; NumVGPRsForWavesPerEU: 1
; AccumOffset: 4
; Occupancy: 8
; WaveLimiterHint : 0
; COMPUTE_PGM_RSRC2:SCRATCH_EN: 0
; COMPUTE_PGM_RSRC2:USER_SGPR: 2
; COMPUTE_PGM_RSRC2:TRAP_HANDLER: 0
; COMPUTE_PGM_RSRC2:TGID_X_EN: 1
; COMPUTE_PGM_RSRC2:TGID_Y_EN: 0
; COMPUTE_PGM_RSRC2:TGID_Z_EN: 0
; COMPUTE_PGM_RSRC2:TIDIG_COMP_CNT: 0
; COMPUTE_PGM_RSRC3_GFX90A:ACCUM_OFFSET: 0
; COMPUTE_PGM_RSRC3_GFX90A:TG_SPLIT: 0
	.section	.text._ZN7rocprim17ROCPRIM_400000_NS6detail17trampoline_kernelINS0_13kernel_configILj256ELj4ELj4294967295EEENS1_37radix_sort_block_sort_config_selectorIjNS0_10empty_typeEEEZNS1_21radix_sort_block_sortIS4_Lb0EN6thrust23THRUST_200600_302600_NS6detail15normal_iteratorINSA_10device_ptrIjEEEESF_PS6_SG_NS0_19identity_decomposerEEE10hipError_tT1_T2_T3_T4_jRjT5_jjP12ihipStream_tbEUlT_E_NS1_11comp_targetILNS1_3genE8ELNS1_11target_archE1030ELNS1_3gpuE2ELNS1_3repE0EEENS1_44radix_sort_block_sort_config_static_selectorELNS0_4arch9wavefront6targetE1EEEvSJ_,"axG",@progbits,_ZN7rocprim17ROCPRIM_400000_NS6detail17trampoline_kernelINS0_13kernel_configILj256ELj4ELj4294967295EEENS1_37radix_sort_block_sort_config_selectorIjNS0_10empty_typeEEEZNS1_21radix_sort_block_sortIS4_Lb0EN6thrust23THRUST_200600_302600_NS6detail15normal_iteratorINSA_10device_ptrIjEEEESF_PS6_SG_NS0_19identity_decomposerEEE10hipError_tT1_T2_T3_T4_jRjT5_jjP12ihipStream_tbEUlT_E_NS1_11comp_targetILNS1_3genE8ELNS1_11target_archE1030ELNS1_3gpuE2ELNS1_3repE0EEENS1_44radix_sort_block_sort_config_static_selectorELNS0_4arch9wavefront6targetE1EEEvSJ_,comdat
	.protected	_ZN7rocprim17ROCPRIM_400000_NS6detail17trampoline_kernelINS0_13kernel_configILj256ELj4ELj4294967295EEENS1_37radix_sort_block_sort_config_selectorIjNS0_10empty_typeEEEZNS1_21radix_sort_block_sortIS4_Lb0EN6thrust23THRUST_200600_302600_NS6detail15normal_iteratorINSA_10device_ptrIjEEEESF_PS6_SG_NS0_19identity_decomposerEEE10hipError_tT1_T2_T3_T4_jRjT5_jjP12ihipStream_tbEUlT_E_NS1_11comp_targetILNS1_3genE8ELNS1_11target_archE1030ELNS1_3gpuE2ELNS1_3repE0EEENS1_44radix_sort_block_sort_config_static_selectorELNS0_4arch9wavefront6targetE1EEEvSJ_ ; -- Begin function _ZN7rocprim17ROCPRIM_400000_NS6detail17trampoline_kernelINS0_13kernel_configILj256ELj4ELj4294967295EEENS1_37radix_sort_block_sort_config_selectorIjNS0_10empty_typeEEEZNS1_21radix_sort_block_sortIS4_Lb0EN6thrust23THRUST_200600_302600_NS6detail15normal_iteratorINSA_10device_ptrIjEEEESF_PS6_SG_NS0_19identity_decomposerEEE10hipError_tT1_T2_T3_T4_jRjT5_jjP12ihipStream_tbEUlT_E_NS1_11comp_targetILNS1_3genE8ELNS1_11target_archE1030ELNS1_3gpuE2ELNS1_3repE0EEENS1_44radix_sort_block_sort_config_static_selectorELNS0_4arch9wavefront6targetE1EEEvSJ_
	.globl	_ZN7rocprim17ROCPRIM_400000_NS6detail17trampoline_kernelINS0_13kernel_configILj256ELj4ELj4294967295EEENS1_37radix_sort_block_sort_config_selectorIjNS0_10empty_typeEEEZNS1_21radix_sort_block_sortIS4_Lb0EN6thrust23THRUST_200600_302600_NS6detail15normal_iteratorINSA_10device_ptrIjEEEESF_PS6_SG_NS0_19identity_decomposerEEE10hipError_tT1_T2_T3_T4_jRjT5_jjP12ihipStream_tbEUlT_E_NS1_11comp_targetILNS1_3genE8ELNS1_11target_archE1030ELNS1_3gpuE2ELNS1_3repE0EEENS1_44radix_sort_block_sort_config_static_selectorELNS0_4arch9wavefront6targetE1EEEvSJ_
	.p2align	8
	.type	_ZN7rocprim17ROCPRIM_400000_NS6detail17trampoline_kernelINS0_13kernel_configILj256ELj4ELj4294967295EEENS1_37radix_sort_block_sort_config_selectorIjNS0_10empty_typeEEEZNS1_21radix_sort_block_sortIS4_Lb0EN6thrust23THRUST_200600_302600_NS6detail15normal_iteratorINSA_10device_ptrIjEEEESF_PS6_SG_NS0_19identity_decomposerEEE10hipError_tT1_T2_T3_T4_jRjT5_jjP12ihipStream_tbEUlT_E_NS1_11comp_targetILNS1_3genE8ELNS1_11target_archE1030ELNS1_3gpuE2ELNS1_3repE0EEENS1_44radix_sort_block_sort_config_static_selectorELNS0_4arch9wavefront6targetE1EEEvSJ_,@function
_ZN7rocprim17ROCPRIM_400000_NS6detail17trampoline_kernelINS0_13kernel_configILj256ELj4ELj4294967295EEENS1_37radix_sort_block_sort_config_selectorIjNS0_10empty_typeEEEZNS1_21radix_sort_block_sortIS4_Lb0EN6thrust23THRUST_200600_302600_NS6detail15normal_iteratorINSA_10device_ptrIjEEEESF_PS6_SG_NS0_19identity_decomposerEEE10hipError_tT1_T2_T3_T4_jRjT5_jjP12ihipStream_tbEUlT_E_NS1_11comp_targetILNS1_3genE8ELNS1_11target_archE1030ELNS1_3gpuE2ELNS1_3repE0EEENS1_44radix_sort_block_sort_config_static_selectorELNS0_4arch9wavefront6targetE1EEEvSJ_: ; @_ZN7rocprim17ROCPRIM_400000_NS6detail17trampoline_kernelINS0_13kernel_configILj256ELj4ELj4294967295EEENS1_37radix_sort_block_sort_config_selectorIjNS0_10empty_typeEEEZNS1_21radix_sort_block_sortIS4_Lb0EN6thrust23THRUST_200600_302600_NS6detail15normal_iteratorINSA_10device_ptrIjEEEESF_PS6_SG_NS0_19identity_decomposerEEE10hipError_tT1_T2_T3_T4_jRjT5_jjP12ihipStream_tbEUlT_E_NS1_11comp_targetILNS1_3genE8ELNS1_11target_archE1030ELNS1_3gpuE2ELNS1_3repE0EEENS1_44radix_sort_block_sort_config_static_selectorELNS0_4arch9wavefront6targetE1EEEvSJ_
; %bb.0:
	.section	.rodata,"a",@progbits
	.p2align	6, 0x0
	.amdhsa_kernel _ZN7rocprim17ROCPRIM_400000_NS6detail17trampoline_kernelINS0_13kernel_configILj256ELj4ELj4294967295EEENS1_37radix_sort_block_sort_config_selectorIjNS0_10empty_typeEEEZNS1_21radix_sort_block_sortIS4_Lb0EN6thrust23THRUST_200600_302600_NS6detail15normal_iteratorINSA_10device_ptrIjEEEESF_PS6_SG_NS0_19identity_decomposerEEE10hipError_tT1_T2_T3_T4_jRjT5_jjP12ihipStream_tbEUlT_E_NS1_11comp_targetILNS1_3genE8ELNS1_11target_archE1030ELNS1_3gpuE2ELNS1_3repE0EEENS1_44radix_sort_block_sort_config_static_selectorELNS0_4arch9wavefront6targetE1EEEvSJ_
		.amdhsa_group_segment_fixed_size 0
		.amdhsa_private_segment_fixed_size 0
		.amdhsa_kernarg_size 48
		.amdhsa_user_sgpr_count 2
		.amdhsa_user_sgpr_dispatch_ptr 0
		.amdhsa_user_sgpr_queue_ptr 0
		.amdhsa_user_sgpr_kernarg_segment_ptr 1
		.amdhsa_user_sgpr_dispatch_id 0
		.amdhsa_user_sgpr_kernarg_preload_length 0
		.amdhsa_user_sgpr_kernarg_preload_offset 0
		.amdhsa_user_sgpr_private_segment_size 0
		.amdhsa_uses_dynamic_stack 0
		.amdhsa_enable_private_segment 0
		.amdhsa_system_sgpr_workgroup_id_x 1
		.amdhsa_system_sgpr_workgroup_id_y 0
		.amdhsa_system_sgpr_workgroup_id_z 0
		.amdhsa_system_sgpr_workgroup_info 0
		.amdhsa_system_vgpr_workitem_id 0
		.amdhsa_next_free_vgpr 1
		.amdhsa_next_free_sgpr 0
		.amdhsa_accum_offset 4
		.amdhsa_reserve_vcc 0
		.amdhsa_float_round_mode_32 0
		.amdhsa_float_round_mode_16_64 0
		.amdhsa_float_denorm_mode_32 3
		.amdhsa_float_denorm_mode_16_64 3
		.amdhsa_dx10_clamp 1
		.amdhsa_ieee_mode 1
		.amdhsa_fp16_overflow 0
		.amdhsa_tg_split 0
		.amdhsa_exception_fp_ieee_invalid_op 0
		.amdhsa_exception_fp_denorm_src 0
		.amdhsa_exception_fp_ieee_div_zero 0
		.amdhsa_exception_fp_ieee_overflow 0
		.amdhsa_exception_fp_ieee_underflow 0
		.amdhsa_exception_fp_ieee_inexact 0
		.amdhsa_exception_int_div_zero 0
	.end_amdhsa_kernel
	.section	.text._ZN7rocprim17ROCPRIM_400000_NS6detail17trampoline_kernelINS0_13kernel_configILj256ELj4ELj4294967295EEENS1_37radix_sort_block_sort_config_selectorIjNS0_10empty_typeEEEZNS1_21radix_sort_block_sortIS4_Lb0EN6thrust23THRUST_200600_302600_NS6detail15normal_iteratorINSA_10device_ptrIjEEEESF_PS6_SG_NS0_19identity_decomposerEEE10hipError_tT1_T2_T3_T4_jRjT5_jjP12ihipStream_tbEUlT_E_NS1_11comp_targetILNS1_3genE8ELNS1_11target_archE1030ELNS1_3gpuE2ELNS1_3repE0EEENS1_44radix_sort_block_sort_config_static_selectorELNS0_4arch9wavefront6targetE1EEEvSJ_,"axG",@progbits,_ZN7rocprim17ROCPRIM_400000_NS6detail17trampoline_kernelINS0_13kernel_configILj256ELj4ELj4294967295EEENS1_37radix_sort_block_sort_config_selectorIjNS0_10empty_typeEEEZNS1_21radix_sort_block_sortIS4_Lb0EN6thrust23THRUST_200600_302600_NS6detail15normal_iteratorINSA_10device_ptrIjEEEESF_PS6_SG_NS0_19identity_decomposerEEE10hipError_tT1_T2_T3_T4_jRjT5_jjP12ihipStream_tbEUlT_E_NS1_11comp_targetILNS1_3genE8ELNS1_11target_archE1030ELNS1_3gpuE2ELNS1_3repE0EEENS1_44radix_sort_block_sort_config_static_selectorELNS0_4arch9wavefront6targetE1EEEvSJ_,comdat
.Lfunc_end959:
	.size	_ZN7rocprim17ROCPRIM_400000_NS6detail17trampoline_kernelINS0_13kernel_configILj256ELj4ELj4294967295EEENS1_37radix_sort_block_sort_config_selectorIjNS0_10empty_typeEEEZNS1_21radix_sort_block_sortIS4_Lb0EN6thrust23THRUST_200600_302600_NS6detail15normal_iteratorINSA_10device_ptrIjEEEESF_PS6_SG_NS0_19identity_decomposerEEE10hipError_tT1_T2_T3_T4_jRjT5_jjP12ihipStream_tbEUlT_E_NS1_11comp_targetILNS1_3genE8ELNS1_11target_archE1030ELNS1_3gpuE2ELNS1_3repE0EEENS1_44radix_sort_block_sort_config_static_selectorELNS0_4arch9wavefront6targetE1EEEvSJ_, .Lfunc_end959-_ZN7rocprim17ROCPRIM_400000_NS6detail17trampoline_kernelINS0_13kernel_configILj256ELj4ELj4294967295EEENS1_37radix_sort_block_sort_config_selectorIjNS0_10empty_typeEEEZNS1_21radix_sort_block_sortIS4_Lb0EN6thrust23THRUST_200600_302600_NS6detail15normal_iteratorINSA_10device_ptrIjEEEESF_PS6_SG_NS0_19identity_decomposerEEE10hipError_tT1_T2_T3_T4_jRjT5_jjP12ihipStream_tbEUlT_E_NS1_11comp_targetILNS1_3genE8ELNS1_11target_archE1030ELNS1_3gpuE2ELNS1_3repE0EEENS1_44radix_sort_block_sort_config_static_selectorELNS0_4arch9wavefront6targetE1EEEvSJ_
                                        ; -- End function
	.section	.AMDGPU.csdata,"",@progbits
; Kernel info:
; codeLenInByte = 0
; NumSgprs: 6
; NumVgprs: 0
; NumAgprs: 0
; TotalNumVgprs: 0
; ScratchSize: 0
; MemoryBound: 0
; FloatMode: 240
; IeeeMode: 1
; LDSByteSize: 0 bytes/workgroup (compile time only)
; SGPRBlocks: 0
; VGPRBlocks: 0
; NumSGPRsForWavesPerEU: 6
; NumVGPRsForWavesPerEU: 1
; AccumOffset: 4
; Occupancy: 8
; WaveLimiterHint : 0
; COMPUTE_PGM_RSRC2:SCRATCH_EN: 0
; COMPUTE_PGM_RSRC2:USER_SGPR: 2
; COMPUTE_PGM_RSRC2:TRAP_HANDLER: 0
; COMPUTE_PGM_RSRC2:TGID_X_EN: 1
; COMPUTE_PGM_RSRC2:TGID_Y_EN: 0
; COMPUTE_PGM_RSRC2:TGID_Z_EN: 0
; COMPUTE_PGM_RSRC2:TIDIG_COMP_CNT: 0
; COMPUTE_PGM_RSRC3_GFX90A:ACCUM_OFFSET: 0
; COMPUTE_PGM_RSRC3_GFX90A:TG_SPLIT: 0
	.section	.text._ZN7rocprim17ROCPRIM_400000_NS6detail44device_merge_sort_compile_time_verifier_archINS1_11comp_targetILNS1_3genE0ELNS1_11target_archE4294967295ELNS1_3gpuE0ELNS1_3repE0EEES8_NS1_28merge_sort_block_sort_configILj256ELj4ELNS0_20block_sort_algorithmE0EEENS0_14default_configENS1_37merge_sort_block_sort_config_selectorIjNS0_10empty_typeEEENS1_38merge_sort_block_merge_config_selectorIjSE_EEEEvv,"axG",@progbits,_ZN7rocprim17ROCPRIM_400000_NS6detail44device_merge_sort_compile_time_verifier_archINS1_11comp_targetILNS1_3genE0ELNS1_11target_archE4294967295ELNS1_3gpuE0ELNS1_3repE0EEES8_NS1_28merge_sort_block_sort_configILj256ELj4ELNS0_20block_sort_algorithmE0EEENS0_14default_configENS1_37merge_sort_block_sort_config_selectorIjNS0_10empty_typeEEENS1_38merge_sort_block_merge_config_selectorIjSE_EEEEvv,comdat
	.protected	_ZN7rocprim17ROCPRIM_400000_NS6detail44device_merge_sort_compile_time_verifier_archINS1_11comp_targetILNS1_3genE0ELNS1_11target_archE4294967295ELNS1_3gpuE0ELNS1_3repE0EEES8_NS1_28merge_sort_block_sort_configILj256ELj4ELNS0_20block_sort_algorithmE0EEENS0_14default_configENS1_37merge_sort_block_sort_config_selectorIjNS0_10empty_typeEEENS1_38merge_sort_block_merge_config_selectorIjSE_EEEEvv ; -- Begin function _ZN7rocprim17ROCPRIM_400000_NS6detail44device_merge_sort_compile_time_verifier_archINS1_11comp_targetILNS1_3genE0ELNS1_11target_archE4294967295ELNS1_3gpuE0ELNS1_3repE0EEES8_NS1_28merge_sort_block_sort_configILj256ELj4ELNS0_20block_sort_algorithmE0EEENS0_14default_configENS1_37merge_sort_block_sort_config_selectorIjNS0_10empty_typeEEENS1_38merge_sort_block_merge_config_selectorIjSE_EEEEvv
	.globl	_ZN7rocprim17ROCPRIM_400000_NS6detail44device_merge_sort_compile_time_verifier_archINS1_11comp_targetILNS1_3genE0ELNS1_11target_archE4294967295ELNS1_3gpuE0ELNS1_3repE0EEES8_NS1_28merge_sort_block_sort_configILj256ELj4ELNS0_20block_sort_algorithmE0EEENS0_14default_configENS1_37merge_sort_block_sort_config_selectorIjNS0_10empty_typeEEENS1_38merge_sort_block_merge_config_selectorIjSE_EEEEvv
	.p2align	8
	.type	_ZN7rocprim17ROCPRIM_400000_NS6detail44device_merge_sort_compile_time_verifier_archINS1_11comp_targetILNS1_3genE0ELNS1_11target_archE4294967295ELNS1_3gpuE0ELNS1_3repE0EEES8_NS1_28merge_sort_block_sort_configILj256ELj4ELNS0_20block_sort_algorithmE0EEENS0_14default_configENS1_37merge_sort_block_sort_config_selectorIjNS0_10empty_typeEEENS1_38merge_sort_block_merge_config_selectorIjSE_EEEEvv,@function
_ZN7rocprim17ROCPRIM_400000_NS6detail44device_merge_sort_compile_time_verifier_archINS1_11comp_targetILNS1_3genE0ELNS1_11target_archE4294967295ELNS1_3gpuE0ELNS1_3repE0EEES8_NS1_28merge_sort_block_sort_configILj256ELj4ELNS0_20block_sort_algorithmE0EEENS0_14default_configENS1_37merge_sort_block_sort_config_selectorIjNS0_10empty_typeEEENS1_38merge_sort_block_merge_config_selectorIjSE_EEEEvv: ; @_ZN7rocprim17ROCPRIM_400000_NS6detail44device_merge_sort_compile_time_verifier_archINS1_11comp_targetILNS1_3genE0ELNS1_11target_archE4294967295ELNS1_3gpuE0ELNS1_3repE0EEES8_NS1_28merge_sort_block_sort_configILj256ELj4ELNS0_20block_sort_algorithmE0EEENS0_14default_configENS1_37merge_sort_block_sort_config_selectorIjNS0_10empty_typeEEENS1_38merge_sort_block_merge_config_selectorIjSE_EEEEvv
; %bb.0:
	s_endpgm
	.section	.rodata,"a",@progbits
	.p2align	6, 0x0
	.amdhsa_kernel _ZN7rocprim17ROCPRIM_400000_NS6detail44device_merge_sort_compile_time_verifier_archINS1_11comp_targetILNS1_3genE0ELNS1_11target_archE4294967295ELNS1_3gpuE0ELNS1_3repE0EEES8_NS1_28merge_sort_block_sort_configILj256ELj4ELNS0_20block_sort_algorithmE0EEENS0_14default_configENS1_37merge_sort_block_sort_config_selectorIjNS0_10empty_typeEEENS1_38merge_sort_block_merge_config_selectorIjSE_EEEEvv
		.amdhsa_group_segment_fixed_size 0
		.amdhsa_private_segment_fixed_size 0
		.amdhsa_kernarg_size 0
		.amdhsa_user_sgpr_count 0
		.amdhsa_user_sgpr_dispatch_ptr 0
		.amdhsa_user_sgpr_queue_ptr 0
		.amdhsa_user_sgpr_kernarg_segment_ptr 0
		.amdhsa_user_sgpr_dispatch_id 0
		.amdhsa_user_sgpr_kernarg_preload_length 0
		.amdhsa_user_sgpr_kernarg_preload_offset 0
		.amdhsa_user_sgpr_private_segment_size 0
		.amdhsa_uses_dynamic_stack 0
		.amdhsa_enable_private_segment 0
		.amdhsa_system_sgpr_workgroup_id_x 1
		.amdhsa_system_sgpr_workgroup_id_y 0
		.amdhsa_system_sgpr_workgroup_id_z 0
		.amdhsa_system_sgpr_workgroup_info 0
		.amdhsa_system_vgpr_workitem_id 0
		.amdhsa_next_free_vgpr 1
		.amdhsa_next_free_sgpr 0
		.amdhsa_accum_offset 4
		.amdhsa_reserve_vcc 0
		.amdhsa_float_round_mode_32 0
		.amdhsa_float_round_mode_16_64 0
		.amdhsa_float_denorm_mode_32 3
		.amdhsa_float_denorm_mode_16_64 3
		.amdhsa_dx10_clamp 1
		.amdhsa_ieee_mode 1
		.amdhsa_fp16_overflow 0
		.amdhsa_tg_split 0
		.amdhsa_exception_fp_ieee_invalid_op 0
		.amdhsa_exception_fp_denorm_src 0
		.amdhsa_exception_fp_ieee_div_zero 0
		.amdhsa_exception_fp_ieee_overflow 0
		.amdhsa_exception_fp_ieee_underflow 0
		.amdhsa_exception_fp_ieee_inexact 0
		.amdhsa_exception_int_div_zero 0
	.end_amdhsa_kernel
	.section	.text._ZN7rocprim17ROCPRIM_400000_NS6detail44device_merge_sort_compile_time_verifier_archINS1_11comp_targetILNS1_3genE0ELNS1_11target_archE4294967295ELNS1_3gpuE0ELNS1_3repE0EEES8_NS1_28merge_sort_block_sort_configILj256ELj4ELNS0_20block_sort_algorithmE0EEENS0_14default_configENS1_37merge_sort_block_sort_config_selectorIjNS0_10empty_typeEEENS1_38merge_sort_block_merge_config_selectorIjSE_EEEEvv,"axG",@progbits,_ZN7rocprim17ROCPRIM_400000_NS6detail44device_merge_sort_compile_time_verifier_archINS1_11comp_targetILNS1_3genE0ELNS1_11target_archE4294967295ELNS1_3gpuE0ELNS1_3repE0EEES8_NS1_28merge_sort_block_sort_configILj256ELj4ELNS0_20block_sort_algorithmE0EEENS0_14default_configENS1_37merge_sort_block_sort_config_selectorIjNS0_10empty_typeEEENS1_38merge_sort_block_merge_config_selectorIjSE_EEEEvv,comdat
.Lfunc_end960:
	.size	_ZN7rocprim17ROCPRIM_400000_NS6detail44device_merge_sort_compile_time_verifier_archINS1_11comp_targetILNS1_3genE0ELNS1_11target_archE4294967295ELNS1_3gpuE0ELNS1_3repE0EEES8_NS1_28merge_sort_block_sort_configILj256ELj4ELNS0_20block_sort_algorithmE0EEENS0_14default_configENS1_37merge_sort_block_sort_config_selectorIjNS0_10empty_typeEEENS1_38merge_sort_block_merge_config_selectorIjSE_EEEEvv, .Lfunc_end960-_ZN7rocprim17ROCPRIM_400000_NS6detail44device_merge_sort_compile_time_verifier_archINS1_11comp_targetILNS1_3genE0ELNS1_11target_archE4294967295ELNS1_3gpuE0ELNS1_3repE0EEES8_NS1_28merge_sort_block_sort_configILj256ELj4ELNS0_20block_sort_algorithmE0EEENS0_14default_configENS1_37merge_sort_block_sort_config_selectorIjNS0_10empty_typeEEENS1_38merge_sort_block_merge_config_selectorIjSE_EEEEvv
                                        ; -- End function
	.section	.AMDGPU.csdata,"",@progbits
; Kernel info:
; codeLenInByte = 4
; NumSgprs: 6
; NumVgprs: 0
; NumAgprs: 0
; TotalNumVgprs: 0
; ScratchSize: 0
; MemoryBound: 0
; FloatMode: 240
; IeeeMode: 1
; LDSByteSize: 0 bytes/workgroup (compile time only)
; SGPRBlocks: 0
; VGPRBlocks: 0
; NumSGPRsForWavesPerEU: 6
; NumVGPRsForWavesPerEU: 1
; AccumOffset: 4
; Occupancy: 8
; WaveLimiterHint : 0
; COMPUTE_PGM_RSRC2:SCRATCH_EN: 0
; COMPUTE_PGM_RSRC2:USER_SGPR: 0
; COMPUTE_PGM_RSRC2:TRAP_HANDLER: 0
; COMPUTE_PGM_RSRC2:TGID_X_EN: 1
; COMPUTE_PGM_RSRC2:TGID_Y_EN: 0
; COMPUTE_PGM_RSRC2:TGID_Z_EN: 0
; COMPUTE_PGM_RSRC2:TIDIG_COMP_CNT: 0
; COMPUTE_PGM_RSRC3_GFX90A:ACCUM_OFFSET: 0
; COMPUTE_PGM_RSRC3_GFX90A:TG_SPLIT: 0
	.section	.text._ZN7rocprim17ROCPRIM_400000_NS6detail44device_merge_sort_compile_time_verifier_archINS1_11comp_targetILNS1_3genE5ELNS1_11target_archE942ELNS1_3gpuE9ELNS1_3repE0EEES8_NS1_28merge_sort_block_sort_configILj256ELj4ELNS0_20block_sort_algorithmE0EEENS0_14default_configENS1_37merge_sort_block_sort_config_selectorIjNS0_10empty_typeEEENS1_38merge_sort_block_merge_config_selectorIjSE_EEEEvv,"axG",@progbits,_ZN7rocprim17ROCPRIM_400000_NS6detail44device_merge_sort_compile_time_verifier_archINS1_11comp_targetILNS1_3genE5ELNS1_11target_archE942ELNS1_3gpuE9ELNS1_3repE0EEES8_NS1_28merge_sort_block_sort_configILj256ELj4ELNS0_20block_sort_algorithmE0EEENS0_14default_configENS1_37merge_sort_block_sort_config_selectorIjNS0_10empty_typeEEENS1_38merge_sort_block_merge_config_selectorIjSE_EEEEvv,comdat
	.protected	_ZN7rocprim17ROCPRIM_400000_NS6detail44device_merge_sort_compile_time_verifier_archINS1_11comp_targetILNS1_3genE5ELNS1_11target_archE942ELNS1_3gpuE9ELNS1_3repE0EEES8_NS1_28merge_sort_block_sort_configILj256ELj4ELNS0_20block_sort_algorithmE0EEENS0_14default_configENS1_37merge_sort_block_sort_config_selectorIjNS0_10empty_typeEEENS1_38merge_sort_block_merge_config_selectorIjSE_EEEEvv ; -- Begin function _ZN7rocprim17ROCPRIM_400000_NS6detail44device_merge_sort_compile_time_verifier_archINS1_11comp_targetILNS1_3genE5ELNS1_11target_archE942ELNS1_3gpuE9ELNS1_3repE0EEES8_NS1_28merge_sort_block_sort_configILj256ELj4ELNS0_20block_sort_algorithmE0EEENS0_14default_configENS1_37merge_sort_block_sort_config_selectorIjNS0_10empty_typeEEENS1_38merge_sort_block_merge_config_selectorIjSE_EEEEvv
	.globl	_ZN7rocprim17ROCPRIM_400000_NS6detail44device_merge_sort_compile_time_verifier_archINS1_11comp_targetILNS1_3genE5ELNS1_11target_archE942ELNS1_3gpuE9ELNS1_3repE0EEES8_NS1_28merge_sort_block_sort_configILj256ELj4ELNS0_20block_sort_algorithmE0EEENS0_14default_configENS1_37merge_sort_block_sort_config_selectorIjNS0_10empty_typeEEENS1_38merge_sort_block_merge_config_selectorIjSE_EEEEvv
	.p2align	8
	.type	_ZN7rocprim17ROCPRIM_400000_NS6detail44device_merge_sort_compile_time_verifier_archINS1_11comp_targetILNS1_3genE5ELNS1_11target_archE942ELNS1_3gpuE9ELNS1_3repE0EEES8_NS1_28merge_sort_block_sort_configILj256ELj4ELNS0_20block_sort_algorithmE0EEENS0_14default_configENS1_37merge_sort_block_sort_config_selectorIjNS0_10empty_typeEEENS1_38merge_sort_block_merge_config_selectorIjSE_EEEEvv,@function
_ZN7rocprim17ROCPRIM_400000_NS6detail44device_merge_sort_compile_time_verifier_archINS1_11comp_targetILNS1_3genE5ELNS1_11target_archE942ELNS1_3gpuE9ELNS1_3repE0EEES8_NS1_28merge_sort_block_sort_configILj256ELj4ELNS0_20block_sort_algorithmE0EEENS0_14default_configENS1_37merge_sort_block_sort_config_selectorIjNS0_10empty_typeEEENS1_38merge_sort_block_merge_config_selectorIjSE_EEEEvv: ; @_ZN7rocprim17ROCPRIM_400000_NS6detail44device_merge_sort_compile_time_verifier_archINS1_11comp_targetILNS1_3genE5ELNS1_11target_archE942ELNS1_3gpuE9ELNS1_3repE0EEES8_NS1_28merge_sort_block_sort_configILj256ELj4ELNS0_20block_sort_algorithmE0EEENS0_14default_configENS1_37merge_sort_block_sort_config_selectorIjNS0_10empty_typeEEENS1_38merge_sort_block_merge_config_selectorIjSE_EEEEvv
; %bb.0:
	s_endpgm
	.section	.rodata,"a",@progbits
	.p2align	6, 0x0
	.amdhsa_kernel _ZN7rocprim17ROCPRIM_400000_NS6detail44device_merge_sort_compile_time_verifier_archINS1_11comp_targetILNS1_3genE5ELNS1_11target_archE942ELNS1_3gpuE9ELNS1_3repE0EEES8_NS1_28merge_sort_block_sort_configILj256ELj4ELNS0_20block_sort_algorithmE0EEENS0_14default_configENS1_37merge_sort_block_sort_config_selectorIjNS0_10empty_typeEEENS1_38merge_sort_block_merge_config_selectorIjSE_EEEEvv
		.amdhsa_group_segment_fixed_size 0
		.amdhsa_private_segment_fixed_size 0
		.amdhsa_kernarg_size 0
		.amdhsa_user_sgpr_count 0
		.amdhsa_user_sgpr_dispatch_ptr 0
		.amdhsa_user_sgpr_queue_ptr 0
		.amdhsa_user_sgpr_kernarg_segment_ptr 0
		.amdhsa_user_sgpr_dispatch_id 0
		.amdhsa_user_sgpr_kernarg_preload_length 0
		.amdhsa_user_sgpr_kernarg_preload_offset 0
		.amdhsa_user_sgpr_private_segment_size 0
		.amdhsa_uses_dynamic_stack 0
		.amdhsa_enable_private_segment 0
		.amdhsa_system_sgpr_workgroup_id_x 1
		.amdhsa_system_sgpr_workgroup_id_y 0
		.amdhsa_system_sgpr_workgroup_id_z 0
		.amdhsa_system_sgpr_workgroup_info 0
		.amdhsa_system_vgpr_workitem_id 0
		.amdhsa_next_free_vgpr 1
		.amdhsa_next_free_sgpr 0
		.amdhsa_accum_offset 4
		.amdhsa_reserve_vcc 0
		.amdhsa_float_round_mode_32 0
		.amdhsa_float_round_mode_16_64 0
		.amdhsa_float_denorm_mode_32 3
		.amdhsa_float_denorm_mode_16_64 3
		.amdhsa_dx10_clamp 1
		.amdhsa_ieee_mode 1
		.amdhsa_fp16_overflow 0
		.amdhsa_tg_split 0
		.amdhsa_exception_fp_ieee_invalid_op 0
		.amdhsa_exception_fp_denorm_src 0
		.amdhsa_exception_fp_ieee_div_zero 0
		.amdhsa_exception_fp_ieee_overflow 0
		.amdhsa_exception_fp_ieee_underflow 0
		.amdhsa_exception_fp_ieee_inexact 0
		.amdhsa_exception_int_div_zero 0
	.end_amdhsa_kernel
	.section	.text._ZN7rocprim17ROCPRIM_400000_NS6detail44device_merge_sort_compile_time_verifier_archINS1_11comp_targetILNS1_3genE5ELNS1_11target_archE942ELNS1_3gpuE9ELNS1_3repE0EEES8_NS1_28merge_sort_block_sort_configILj256ELj4ELNS0_20block_sort_algorithmE0EEENS0_14default_configENS1_37merge_sort_block_sort_config_selectorIjNS0_10empty_typeEEENS1_38merge_sort_block_merge_config_selectorIjSE_EEEEvv,"axG",@progbits,_ZN7rocprim17ROCPRIM_400000_NS6detail44device_merge_sort_compile_time_verifier_archINS1_11comp_targetILNS1_3genE5ELNS1_11target_archE942ELNS1_3gpuE9ELNS1_3repE0EEES8_NS1_28merge_sort_block_sort_configILj256ELj4ELNS0_20block_sort_algorithmE0EEENS0_14default_configENS1_37merge_sort_block_sort_config_selectorIjNS0_10empty_typeEEENS1_38merge_sort_block_merge_config_selectorIjSE_EEEEvv,comdat
.Lfunc_end961:
	.size	_ZN7rocprim17ROCPRIM_400000_NS6detail44device_merge_sort_compile_time_verifier_archINS1_11comp_targetILNS1_3genE5ELNS1_11target_archE942ELNS1_3gpuE9ELNS1_3repE0EEES8_NS1_28merge_sort_block_sort_configILj256ELj4ELNS0_20block_sort_algorithmE0EEENS0_14default_configENS1_37merge_sort_block_sort_config_selectorIjNS0_10empty_typeEEENS1_38merge_sort_block_merge_config_selectorIjSE_EEEEvv, .Lfunc_end961-_ZN7rocprim17ROCPRIM_400000_NS6detail44device_merge_sort_compile_time_verifier_archINS1_11comp_targetILNS1_3genE5ELNS1_11target_archE942ELNS1_3gpuE9ELNS1_3repE0EEES8_NS1_28merge_sort_block_sort_configILj256ELj4ELNS0_20block_sort_algorithmE0EEENS0_14default_configENS1_37merge_sort_block_sort_config_selectorIjNS0_10empty_typeEEENS1_38merge_sort_block_merge_config_selectorIjSE_EEEEvv
                                        ; -- End function
	.section	.AMDGPU.csdata,"",@progbits
; Kernel info:
; codeLenInByte = 4
; NumSgprs: 6
; NumVgprs: 0
; NumAgprs: 0
; TotalNumVgprs: 0
; ScratchSize: 0
; MemoryBound: 0
; FloatMode: 240
; IeeeMode: 1
; LDSByteSize: 0 bytes/workgroup (compile time only)
; SGPRBlocks: 0
; VGPRBlocks: 0
; NumSGPRsForWavesPerEU: 6
; NumVGPRsForWavesPerEU: 1
; AccumOffset: 4
; Occupancy: 8
; WaveLimiterHint : 0
; COMPUTE_PGM_RSRC2:SCRATCH_EN: 0
; COMPUTE_PGM_RSRC2:USER_SGPR: 0
; COMPUTE_PGM_RSRC2:TRAP_HANDLER: 0
; COMPUTE_PGM_RSRC2:TGID_X_EN: 1
; COMPUTE_PGM_RSRC2:TGID_Y_EN: 0
; COMPUTE_PGM_RSRC2:TGID_Z_EN: 0
; COMPUTE_PGM_RSRC2:TIDIG_COMP_CNT: 0
; COMPUTE_PGM_RSRC3_GFX90A:ACCUM_OFFSET: 0
; COMPUTE_PGM_RSRC3_GFX90A:TG_SPLIT: 0
	.section	.text._ZN7rocprim17ROCPRIM_400000_NS6detail44device_merge_sort_compile_time_verifier_archINS1_11comp_targetILNS1_3genE4ELNS1_11target_archE910ELNS1_3gpuE8ELNS1_3repE0EEES8_NS1_28merge_sort_block_sort_configILj256ELj4ELNS0_20block_sort_algorithmE0EEENS0_14default_configENS1_37merge_sort_block_sort_config_selectorIjNS0_10empty_typeEEENS1_38merge_sort_block_merge_config_selectorIjSE_EEEEvv,"axG",@progbits,_ZN7rocprim17ROCPRIM_400000_NS6detail44device_merge_sort_compile_time_verifier_archINS1_11comp_targetILNS1_3genE4ELNS1_11target_archE910ELNS1_3gpuE8ELNS1_3repE0EEES8_NS1_28merge_sort_block_sort_configILj256ELj4ELNS0_20block_sort_algorithmE0EEENS0_14default_configENS1_37merge_sort_block_sort_config_selectorIjNS0_10empty_typeEEENS1_38merge_sort_block_merge_config_selectorIjSE_EEEEvv,comdat
	.protected	_ZN7rocprim17ROCPRIM_400000_NS6detail44device_merge_sort_compile_time_verifier_archINS1_11comp_targetILNS1_3genE4ELNS1_11target_archE910ELNS1_3gpuE8ELNS1_3repE0EEES8_NS1_28merge_sort_block_sort_configILj256ELj4ELNS0_20block_sort_algorithmE0EEENS0_14default_configENS1_37merge_sort_block_sort_config_selectorIjNS0_10empty_typeEEENS1_38merge_sort_block_merge_config_selectorIjSE_EEEEvv ; -- Begin function _ZN7rocprim17ROCPRIM_400000_NS6detail44device_merge_sort_compile_time_verifier_archINS1_11comp_targetILNS1_3genE4ELNS1_11target_archE910ELNS1_3gpuE8ELNS1_3repE0EEES8_NS1_28merge_sort_block_sort_configILj256ELj4ELNS0_20block_sort_algorithmE0EEENS0_14default_configENS1_37merge_sort_block_sort_config_selectorIjNS0_10empty_typeEEENS1_38merge_sort_block_merge_config_selectorIjSE_EEEEvv
	.globl	_ZN7rocprim17ROCPRIM_400000_NS6detail44device_merge_sort_compile_time_verifier_archINS1_11comp_targetILNS1_3genE4ELNS1_11target_archE910ELNS1_3gpuE8ELNS1_3repE0EEES8_NS1_28merge_sort_block_sort_configILj256ELj4ELNS0_20block_sort_algorithmE0EEENS0_14default_configENS1_37merge_sort_block_sort_config_selectorIjNS0_10empty_typeEEENS1_38merge_sort_block_merge_config_selectorIjSE_EEEEvv
	.p2align	8
	.type	_ZN7rocprim17ROCPRIM_400000_NS6detail44device_merge_sort_compile_time_verifier_archINS1_11comp_targetILNS1_3genE4ELNS1_11target_archE910ELNS1_3gpuE8ELNS1_3repE0EEES8_NS1_28merge_sort_block_sort_configILj256ELj4ELNS0_20block_sort_algorithmE0EEENS0_14default_configENS1_37merge_sort_block_sort_config_selectorIjNS0_10empty_typeEEENS1_38merge_sort_block_merge_config_selectorIjSE_EEEEvv,@function
_ZN7rocprim17ROCPRIM_400000_NS6detail44device_merge_sort_compile_time_verifier_archINS1_11comp_targetILNS1_3genE4ELNS1_11target_archE910ELNS1_3gpuE8ELNS1_3repE0EEES8_NS1_28merge_sort_block_sort_configILj256ELj4ELNS0_20block_sort_algorithmE0EEENS0_14default_configENS1_37merge_sort_block_sort_config_selectorIjNS0_10empty_typeEEENS1_38merge_sort_block_merge_config_selectorIjSE_EEEEvv: ; @_ZN7rocprim17ROCPRIM_400000_NS6detail44device_merge_sort_compile_time_verifier_archINS1_11comp_targetILNS1_3genE4ELNS1_11target_archE910ELNS1_3gpuE8ELNS1_3repE0EEES8_NS1_28merge_sort_block_sort_configILj256ELj4ELNS0_20block_sort_algorithmE0EEENS0_14default_configENS1_37merge_sort_block_sort_config_selectorIjNS0_10empty_typeEEENS1_38merge_sort_block_merge_config_selectorIjSE_EEEEvv
; %bb.0:
	s_endpgm
	.section	.rodata,"a",@progbits
	.p2align	6, 0x0
	.amdhsa_kernel _ZN7rocprim17ROCPRIM_400000_NS6detail44device_merge_sort_compile_time_verifier_archINS1_11comp_targetILNS1_3genE4ELNS1_11target_archE910ELNS1_3gpuE8ELNS1_3repE0EEES8_NS1_28merge_sort_block_sort_configILj256ELj4ELNS0_20block_sort_algorithmE0EEENS0_14default_configENS1_37merge_sort_block_sort_config_selectorIjNS0_10empty_typeEEENS1_38merge_sort_block_merge_config_selectorIjSE_EEEEvv
		.amdhsa_group_segment_fixed_size 0
		.amdhsa_private_segment_fixed_size 0
		.amdhsa_kernarg_size 0
		.amdhsa_user_sgpr_count 0
		.amdhsa_user_sgpr_dispatch_ptr 0
		.amdhsa_user_sgpr_queue_ptr 0
		.amdhsa_user_sgpr_kernarg_segment_ptr 0
		.amdhsa_user_sgpr_dispatch_id 0
		.amdhsa_user_sgpr_kernarg_preload_length 0
		.amdhsa_user_sgpr_kernarg_preload_offset 0
		.amdhsa_user_sgpr_private_segment_size 0
		.amdhsa_uses_dynamic_stack 0
		.amdhsa_enable_private_segment 0
		.amdhsa_system_sgpr_workgroup_id_x 1
		.amdhsa_system_sgpr_workgroup_id_y 0
		.amdhsa_system_sgpr_workgroup_id_z 0
		.amdhsa_system_sgpr_workgroup_info 0
		.amdhsa_system_vgpr_workitem_id 0
		.amdhsa_next_free_vgpr 1
		.amdhsa_next_free_sgpr 0
		.amdhsa_accum_offset 4
		.amdhsa_reserve_vcc 0
		.amdhsa_float_round_mode_32 0
		.amdhsa_float_round_mode_16_64 0
		.amdhsa_float_denorm_mode_32 3
		.amdhsa_float_denorm_mode_16_64 3
		.amdhsa_dx10_clamp 1
		.amdhsa_ieee_mode 1
		.amdhsa_fp16_overflow 0
		.amdhsa_tg_split 0
		.amdhsa_exception_fp_ieee_invalid_op 0
		.amdhsa_exception_fp_denorm_src 0
		.amdhsa_exception_fp_ieee_div_zero 0
		.amdhsa_exception_fp_ieee_overflow 0
		.amdhsa_exception_fp_ieee_underflow 0
		.amdhsa_exception_fp_ieee_inexact 0
		.amdhsa_exception_int_div_zero 0
	.end_amdhsa_kernel
	.section	.text._ZN7rocprim17ROCPRIM_400000_NS6detail44device_merge_sort_compile_time_verifier_archINS1_11comp_targetILNS1_3genE4ELNS1_11target_archE910ELNS1_3gpuE8ELNS1_3repE0EEES8_NS1_28merge_sort_block_sort_configILj256ELj4ELNS0_20block_sort_algorithmE0EEENS0_14default_configENS1_37merge_sort_block_sort_config_selectorIjNS0_10empty_typeEEENS1_38merge_sort_block_merge_config_selectorIjSE_EEEEvv,"axG",@progbits,_ZN7rocprim17ROCPRIM_400000_NS6detail44device_merge_sort_compile_time_verifier_archINS1_11comp_targetILNS1_3genE4ELNS1_11target_archE910ELNS1_3gpuE8ELNS1_3repE0EEES8_NS1_28merge_sort_block_sort_configILj256ELj4ELNS0_20block_sort_algorithmE0EEENS0_14default_configENS1_37merge_sort_block_sort_config_selectorIjNS0_10empty_typeEEENS1_38merge_sort_block_merge_config_selectorIjSE_EEEEvv,comdat
.Lfunc_end962:
	.size	_ZN7rocprim17ROCPRIM_400000_NS6detail44device_merge_sort_compile_time_verifier_archINS1_11comp_targetILNS1_3genE4ELNS1_11target_archE910ELNS1_3gpuE8ELNS1_3repE0EEES8_NS1_28merge_sort_block_sort_configILj256ELj4ELNS0_20block_sort_algorithmE0EEENS0_14default_configENS1_37merge_sort_block_sort_config_selectorIjNS0_10empty_typeEEENS1_38merge_sort_block_merge_config_selectorIjSE_EEEEvv, .Lfunc_end962-_ZN7rocprim17ROCPRIM_400000_NS6detail44device_merge_sort_compile_time_verifier_archINS1_11comp_targetILNS1_3genE4ELNS1_11target_archE910ELNS1_3gpuE8ELNS1_3repE0EEES8_NS1_28merge_sort_block_sort_configILj256ELj4ELNS0_20block_sort_algorithmE0EEENS0_14default_configENS1_37merge_sort_block_sort_config_selectorIjNS0_10empty_typeEEENS1_38merge_sort_block_merge_config_selectorIjSE_EEEEvv
                                        ; -- End function
	.section	.AMDGPU.csdata,"",@progbits
; Kernel info:
; codeLenInByte = 4
; NumSgprs: 6
; NumVgprs: 0
; NumAgprs: 0
; TotalNumVgprs: 0
; ScratchSize: 0
; MemoryBound: 0
; FloatMode: 240
; IeeeMode: 1
; LDSByteSize: 0 bytes/workgroup (compile time only)
; SGPRBlocks: 0
; VGPRBlocks: 0
; NumSGPRsForWavesPerEU: 6
; NumVGPRsForWavesPerEU: 1
; AccumOffset: 4
; Occupancy: 8
; WaveLimiterHint : 0
; COMPUTE_PGM_RSRC2:SCRATCH_EN: 0
; COMPUTE_PGM_RSRC2:USER_SGPR: 0
; COMPUTE_PGM_RSRC2:TRAP_HANDLER: 0
; COMPUTE_PGM_RSRC2:TGID_X_EN: 1
; COMPUTE_PGM_RSRC2:TGID_Y_EN: 0
; COMPUTE_PGM_RSRC2:TGID_Z_EN: 0
; COMPUTE_PGM_RSRC2:TIDIG_COMP_CNT: 0
; COMPUTE_PGM_RSRC3_GFX90A:ACCUM_OFFSET: 0
; COMPUTE_PGM_RSRC3_GFX90A:TG_SPLIT: 0
	.section	.text._ZN7rocprim17ROCPRIM_400000_NS6detail44device_merge_sort_compile_time_verifier_archINS1_11comp_targetILNS1_3genE3ELNS1_11target_archE908ELNS1_3gpuE7ELNS1_3repE0EEES8_NS1_28merge_sort_block_sort_configILj256ELj4ELNS0_20block_sort_algorithmE0EEENS0_14default_configENS1_37merge_sort_block_sort_config_selectorIjNS0_10empty_typeEEENS1_38merge_sort_block_merge_config_selectorIjSE_EEEEvv,"axG",@progbits,_ZN7rocprim17ROCPRIM_400000_NS6detail44device_merge_sort_compile_time_verifier_archINS1_11comp_targetILNS1_3genE3ELNS1_11target_archE908ELNS1_3gpuE7ELNS1_3repE0EEES8_NS1_28merge_sort_block_sort_configILj256ELj4ELNS0_20block_sort_algorithmE0EEENS0_14default_configENS1_37merge_sort_block_sort_config_selectorIjNS0_10empty_typeEEENS1_38merge_sort_block_merge_config_selectorIjSE_EEEEvv,comdat
	.protected	_ZN7rocprim17ROCPRIM_400000_NS6detail44device_merge_sort_compile_time_verifier_archINS1_11comp_targetILNS1_3genE3ELNS1_11target_archE908ELNS1_3gpuE7ELNS1_3repE0EEES8_NS1_28merge_sort_block_sort_configILj256ELj4ELNS0_20block_sort_algorithmE0EEENS0_14default_configENS1_37merge_sort_block_sort_config_selectorIjNS0_10empty_typeEEENS1_38merge_sort_block_merge_config_selectorIjSE_EEEEvv ; -- Begin function _ZN7rocprim17ROCPRIM_400000_NS6detail44device_merge_sort_compile_time_verifier_archINS1_11comp_targetILNS1_3genE3ELNS1_11target_archE908ELNS1_3gpuE7ELNS1_3repE0EEES8_NS1_28merge_sort_block_sort_configILj256ELj4ELNS0_20block_sort_algorithmE0EEENS0_14default_configENS1_37merge_sort_block_sort_config_selectorIjNS0_10empty_typeEEENS1_38merge_sort_block_merge_config_selectorIjSE_EEEEvv
	.globl	_ZN7rocprim17ROCPRIM_400000_NS6detail44device_merge_sort_compile_time_verifier_archINS1_11comp_targetILNS1_3genE3ELNS1_11target_archE908ELNS1_3gpuE7ELNS1_3repE0EEES8_NS1_28merge_sort_block_sort_configILj256ELj4ELNS0_20block_sort_algorithmE0EEENS0_14default_configENS1_37merge_sort_block_sort_config_selectorIjNS0_10empty_typeEEENS1_38merge_sort_block_merge_config_selectorIjSE_EEEEvv
	.p2align	8
	.type	_ZN7rocprim17ROCPRIM_400000_NS6detail44device_merge_sort_compile_time_verifier_archINS1_11comp_targetILNS1_3genE3ELNS1_11target_archE908ELNS1_3gpuE7ELNS1_3repE0EEES8_NS1_28merge_sort_block_sort_configILj256ELj4ELNS0_20block_sort_algorithmE0EEENS0_14default_configENS1_37merge_sort_block_sort_config_selectorIjNS0_10empty_typeEEENS1_38merge_sort_block_merge_config_selectorIjSE_EEEEvv,@function
_ZN7rocprim17ROCPRIM_400000_NS6detail44device_merge_sort_compile_time_verifier_archINS1_11comp_targetILNS1_3genE3ELNS1_11target_archE908ELNS1_3gpuE7ELNS1_3repE0EEES8_NS1_28merge_sort_block_sort_configILj256ELj4ELNS0_20block_sort_algorithmE0EEENS0_14default_configENS1_37merge_sort_block_sort_config_selectorIjNS0_10empty_typeEEENS1_38merge_sort_block_merge_config_selectorIjSE_EEEEvv: ; @_ZN7rocprim17ROCPRIM_400000_NS6detail44device_merge_sort_compile_time_verifier_archINS1_11comp_targetILNS1_3genE3ELNS1_11target_archE908ELNS1_3gpuE7ELNS1_3repE0EEES8_NS1_28merge_sort_block_sort_configILj256ELj4ELNS0_20block_sort_algorithmE0EEENS0_14default_configENS1_37merge_sort_block_sort_config_selectorIjNS0_10empty_typeEEENS1_38merge_sort_block_merge_config_selectorIjSE_EEEEvv
; %bb.0:
	s_endpgm
	.section	.rodata,"a",@progbits
	.p2align	6, 0x0
	.amdhsa_kernel _ZN7rocprim17ROCPRIM_400000_NS6detail44device_merge_sort_compile_time_verifier_archINS1_11comp_targetILNS1_3genE3ELNS1_11target_archE908ELNS1_3gpuE7ELNS1_3repE0EEES8_NS1_28merge_sort_block_sort_configILj256ELj4ELNS0_20block_sort_algorithmE0EEENS0_14default_configENS1_37merge_sort_block_sort_config_selectorIjNS0_10empty_typeEEENS1_38merge_sort_block_merge_config_selectorIjSE_EEEEvv
		.amdhsa_group_segment_fixed_size 0
		.amdhsa_private_segment_fixed_size 0
		.amdhsa_kernarg_size 0
		.amdhsa_user_sgpr_count 0
		.amdhsa_user_sgpr_dispatch_ptr 0
		.amdhsa_user_sgpr_queue_ptr 0
		.amdhsa_user_sgpr_kernarg_segment_ptr 0
		.amdhsa_user_sgpr_dispatch_id 0
		.amdhsa_user_sgpr_kernarg_preload_length 0
		.amdhsa_user_sgpr_kernarg_preload_offset 0
		.amdhsa_user_sgpr_private_segment_size 0
		.amdhsa_uses_dynamic_stack 0
		.amdhsa_enable_private_segment 0
		.amdhsa_system_sgpr_workgroup_id_x 1
		.amdhsa_system_sgpr_workgroup_id_y 0
		.amdhsa_system_sgpr_workgroup_id_z 0
		.amdhsa_system_sgpr_workgroup_info 0
		.amdhsa_system_vgpr_workitem_id 0
		.amdhsa_next_free_vgpr 1
		.amdhsa_next_free_sgpr 0
		.amdhsa_accum_offset 4
		.amdhsa_reserve_vcc 0
		.amdhsa_float_round_mode_32 0
		.amdhsa_float_round_mode_16_64 0
		.amdhsa_float_denorm_mode_32 3
		.amdhsa_float_denorm_mode_16_64 3
		.amdhsa_dx10_clamp 1
		.amdhsa_ieee_mode 1
		.amdhsa_fp16_overflow 0
		.amdhsa_tg_split 0
		.amdhsa_exception_fp_ieee_invalid_op 0
		.amdhsa_exception_fp_denorm_src 0
		.amdhsa_exception_fp_ieee_div_zero 0
		.amdhsa_exception_fp_ieee_overflow 0
		.amdhsa_exception_fp_ieee_underflow 0
		.amdhsa_exception_fp_ieee_inexact 0
		.amdhsa_exception_int_div_zero 0
	.end_amdhsa_kernel
	.section	.text._ZN7rocprim17ROCPRIM_400000_NS6detail44device_merge_sort_compile_time_verifier_archINS1_11comp_targetILNS1_3genE3ELNS1_11target_archE908ELNS1_3gpuE7ELNS1_3repE0EEES8_NS1_28merge_sort_block_sort_configILj256ELj4ELNS0_20block_sort_algorithmE0EEENS0_14default_configENS1_37merge_sort_block_sort_config_selectorIjNS0_10empty_typeEEENS1_38merge_sort_block_merge_config_selectorIjSE_EEEEvv,"axG",@progbits,_ZN7rocprim17ROCPRIM_400000_NS6detail44device_merge_sort_compile_time_verifier_archINS1_11comp_targetILNS1_3genE3ELNS1_11target_archE908ELNS1_3gpuE7ELNS1_3repE0EEES8_NS1_28merge_sort_block_sort_configILj256ELj4ELNS0_20block_sort_algorithmE0EEENS0_14default_configENS1_37merge_sort_block_sort_config_selectorIjNS0_10empty_typeEEENS1_38merge_sort_block_merge_config_selectorIjSE_EEEEvv,comdat
.Lfunc_end963:
	.size	_ZN7rocprim17ROCPRIM_400000_NS6detail44device_merge_sort_compile_time_verifier_archINS1_11comp_targetILNS1_3genE3ELNS1_11target_archE908ELNS1_3gpuE7ELNS1_3repE0EEES8_NS1_28merge_sort_block_sort_configILj256ELj4ELNS0_20block_sort_algorithmE0EEENS0_14default_configENS1_37merge_sort_block_sort_config_selectorIjNS0_10empty_typeEEENS1_38merge_sort_block_merge_config_selectorIjSE_EEEEvv, .Lfunc_end963-_ZN7rocprim17ROCPRIM_400000_NS6detail44device_merge_sort_compile_time_verifier_archINS1_11comp_targetILNS1_3genE3ELNS1_11target_archE908ELNS1_3gpuE7ELNS1_3repE0EEES8_NS1_28merge_sort_block_sort_configILj256ELj4ELNS0_20block_sort_algorithmE0EEENS0_14default_configENS1_37merge_sort_block_sort_config_selectorIjNS0_10empty_typeEEENS1_38merge_sort_block_merge_config_selectorIjSE_EEEEvv
                                        ; -- End function
	.section	.AMDGPU.csdata,"",@progbits
; Kernel info:
; codeLenInByte = 4
; NumSgprs: 6
; NumVgprs: 0
; NumAgprs: 0
; TotalNumVgprs: 0
; ScratchSize: 0
; MemoryBound: 0
; FloatMode: 240
; IeeeMode: 1
; LDSByteSize: 0 bytes/workgroup (compile time only)
; SGPRBlocks: 0
; VGPRBlocks: 0
; NumSGPRsForWavesPerEU: 6
; NumVGPRsForWavesPerEU: 1
; AccumOffset: 4
; Occupancy: 8
; WaveLimiterHint : 0
; COMPUTE_PGM_RSRC2:SCRATCH_EN: 0
; COMPUTE_PGM_RSRC2:USER_SGPR: 0
; COMPUTE_PGM_RSRC2:TRAP_HANDLER: 0
; COMPUTE_PGM_RSRC2:TGID_X_EN: 1
; COMPUTE_PGM_RSRC2:TGID_Y_EN: 0
; COMPUTE_PGM_RSRC2:TGID_Z_EN: 0
; COMPUTE_PGM_RSRC2:TIDIG_COMP_CNT: 0
; COMPUTE_PGM_RSRC3_GFX90A:ACCUM_OFFSET: 0
; COMPUTE_PGM_RSRC3_GFX90A:TG_SPLIT: 0
	.section	.text._ZN7rocprim17ROCPRIM_400000_NS6detail44device_merge_sort_compile_time_verifier_archINS1_11comp_targetILNS1_3genE2ELNS1_11target_archE906ELNS1_3gpuE6ELNS1_3repE0EEES8_NS1_28merge_sort_block_sort_configILj256ELj4ELNS0_20block_sort_algorithmE0EEENS0_14default_configENS1_37merge_sort_block_sort_config_selectorIjNS0_10empty_typeEEENS1_38merge_sort_block_merge_config_selectorIjSE_EEEEvv,"axG",@progbits,_ZN7rocprim17ROCPRIM_400000_NS6detail44device_merge_sort_compile_time_verifier_archINS1_11comp_targetILNS1_3genE2ELNS1_11target_archE906ELNS1_3gpuE6ELNS1_3repE0EEES8_NS1_28merge_sort_block_sort_configILj256ELj4ELNS0_20block_sort_algorithmE0EEENS0_14default_configENS1_37merge_sort_block_sort_config_selectorIjNS0_10empty_typeEEENS1_38merge_sort_block_merge_config_selectorIjSE_EEEEvv,comdat
	.protected	_ZN7rocprim17ROCPRIM_400000_NS6detail44device_merge_sort_compile_time_verifier_archINS1_11comp_targetILNS1_3genE2ELNS1_11target_archE906ELNS1_3gpuE6ELNS1_3repE0EEES8_NS1_28merge_sort_block_sort_configILj256ELj4ELNS0_20block_sort_algorithmE0EEENS0_14default_configENS1_37merge_sort_block_sort_config_selectorIjNS0_10empty_typeEEENS1_38merge_sort_block_merge_config_selectorIjSE_EEEEvv ; -- Begin function _ZN7rocprim17ROCPRIM_400000_NS6detail44device_merge_sort_compile_time_verifier_archINS1_11comp_targetILNS1_3genE2ELNS1_11target_archE906ELNS1_3gpuE6ELNS1_3repE0EEES8_NS1_28merge_sort_block_sort_configILj256ELj4ELNS0_20block_sort_algorithmE0EEENS0_14default_configENS1_37merge_sort_block_sort_config_selectorIjNS0_10empty_typeEEENS1_38merge_sort_block_merge_config_selectorIjSE_EEEEvv
	.globl	_ZN7rocprim17ROCPRIM_400000_NS6detail44device_merge_sort_compile_time_verifier_archINS1_11comp_targetILNS1_3genE2ELNS1_11target_archE906ELNS1_3gpuE6ELNS1_3repE0EEES8_NS1_28merge_sort_block_sort_configILj256ELj4ELNS0_20block_sort_algorithmE0EEENS0_14default_configENS1_37merge_sort_block_sort_config_selectorIjNS0_10empty_typeEEENS1_38merge_sort_block_merge_config_selectorIjSE_EEEEvv
	.p2align	8
	.type	_ZN7rocprim17ROCPRIM_400000_NS6detail44device_merge_sort_compile_time_verifier_archINS1_11comp_targetILNS1_3genE2ELNS1_11target_archE906ELNS1_3gpuE6ELNS1_3repE0EEES8_NS1_28merge_sort_block_sort_configILj256ELj4ELNS0_20block_sort_algorithmE0EEENS0_14default_configENS1_37merge_sort_block_sort_config_selectorIjNS0_10empty_typeEEENS1_38merge_sort_block_merge_config_selectorIjSE_EEEEvv,@function
_ZN7rocprim17ROCPRIM_400000_NS6detail44device_merge_sort_compile_time_verifier_archINS1_11comp_targetILNS1_3genE2ELNS1_11target_archE906ELNS1_3gpuE6ELNS1_3repE0EEES8_NS1_28merge_sort_block_sort_configILj256ELj4ELNS0_20block_sort_algorithmE0EEENS0_14default_configENS1_37merge_sort_block_sort_config_selectorIjNS0_10empty_typeEEENS1_38merge_sort_block_merge_config_selectorIjSE_EEEEvv: ; @_ZN7rocprim17ROCPRIM_400000_NS6detail44device_merge_sort_compile_time_verifier_archINS1_11comp_targetILNS1_3genE2ELNS1_11target_archE906ELNS1_3gpuE6ELNS1_3repE0EEES8_NS1_28merge_sort_block_sort_configILj256ELj4ELNS0_20block_sort_algorithmE0EEENS0_14default_configENS1_37merge_sort_block_sort_config_selectorIjNS0_10empty_typeEEENS1_38merge_sort_block_merge_config_selectorIjSE_EEEEvv
; %bb.0:
	s_endpgm
	.section	.rodata,"a",@progbits
	.p2align	6, 0x0
	.amdhsa_kernel _ZN7rocprim17ROCPRIM_400000_NS6detail44device_merge_sort_compile_time_verifier_archINS1_11comp_targetILNS1_3genE2ELNS1_11target_archE906ELNS1_3gpuE6ELNS1_3repE0EEES8_NS1_28merge_sort_block_sort_configILj256ELj4ELNS0_20block_sort_algorithmE0EEENS0_14default_configENS1_37merge_sort_block_sort_config_selectorIjNS0_10empty_typeEEENS1_38merge_sort_block_merge_config_selectorIjSE_EEEEvv
		.amdhsa_group_segment_fixed_size 0
		.amdhsa_private_segment_fixed_size 0
		.amdhsa_kernarg_size 0
		.amdhsa_user_sgpr_count 0
		.amdhsa_user_sgpr_dispatch_ptr 0
		.amdhsa_user_sgpr_queue_ptr 0
		.amdhsa_user_sgpr_kernarg_segment_ptr 0
		.amdhsa_user_sgpr_dispatch_id 0
		.amdhsa_user_sgpr_kernarg_preload_length 0
		.amdhsa_user_sgpr_kernarg_preload_offset 0
		.amdhsa_user_sgpr_private_segment_size 0
		.amdhsa_uses_dynamic_stack 0
		.amdhsa_enable_private_segment 0
		.amdhsa_system_sgpr_workgroup_id_x 1
		.amdhsa_system_sgpr_workgroup_id_y 0
		.amdhsa_system_sgpr_workgroup_id_z 0
		.amdhsa_system_sgpr_workgroup_info 0
		.amdhsa_system_vgpr_workitem_id 0
		.amdhsa_next_free_vgpr 1
		.amdhsa_next_free_sgpr 0
		.amdhsa_accum_offset 4
		.amdhsa_reserve_vcc 0
		.amdhsa_float_round_mode_32 0
		.amdhsa_float_round_mode_16_64 0
		.amdhsa_float_denorm_mode_32 3
		.amdhsa_float_denorm_mode_16_64 3
		.amdhsa_dx10_clamp 1
		.amdhsa_ieee_mode 1
		.amdhsa_fp16_overflow 0
		.amdhsa_tg_split 0
		.amdhsa_exception_fp_ieee_invalid_op 0
		.amdhsa_exception_fp_denorm_src 0
		.amdhsa_exception_fp_ieee_div_zero 0
		.amdhsa_exception_fp_ieee_overflow 0
		.amdhsa_exception_fp_ieee_underflow 0
		.amdhsa_exception_fp_ieee_inexact 0
		.amdhsa_exception_int_div_zero 0
	.end_amdhsa_kernel
	.section	.text._ZN7rocprim17ROCPRIM_400000_NS6detail44device_merge_sort_compile_time_verifier_archINS1_11comp_targetILNS1_3genE2ELNS1_11target_archE906ELNS1_3gpuE6ELNS1_3repE0EEES8_NS1_28merge_sort_block_sort_configILj256ELj4ELNS0_20block_sort_algorithmE0EEENS0_14default_configENS1_37merge_sort_block_sort_config_selectorIjNS0_10empty_typeEEENS1_38merge_sort_block_merge_config_selectorIjSE_EEEEvv,"axG",@progbits,_ZN7rocprim17ROCPRIM_400000_NS6detail44device_merge_sort_compile_time_verifier_archINS1_11comp_targetILNS1_3genE2ELNS1_11target_archE906ELNS1_3gpuE6ELNS1_3repE0EEES8_NS1_28merge_sort_block_sort_configILj256ELj4ELNS0_20block_sort_algorithmE0EEENS0_14default_configENS1_37merge_sort_block_sort_config_selectorIjNS0_10empty_typeEEENS1_38merge_sort_block_merge_config_selectorIjSE_EEEEvv,comdat
.Lfunc_end964:
	.size	_ZN7rocprim17ROCPRIM_400000_NS6detail44device_merge_sort_compile_time_verifier_archINS1_11comp_targetILNS1_3genE2ELNS1_11target_archE906ELNS1_3gpuE6ELNS1_3repE0EEES8_NS1_28merge_sort_block_sort_configILj256ELj4ELNS0_20block_sort_algorithmE0EEENS0_14default_configENS1_37merge_sort_block_sort_config_selectorIjNS0_10empty_typeEEENS1_38merge_sort_block_merge_config_selectorIjSE_EEEEvv, .Lfunc_end964-_ZN7rocprim17ROCPRIM_400000_NS6detail44device_merge_sort_compile_time_verifier_archINS1_11comp_targetILNS1_3genE2ELNS1_11target_archE906ELNS1_3gpuE6ELNS1_3repE0EEES8_NS1_28merge_sort_block_sort_configILj256ELj4ELNS0_20block_sort_algorithmE0EEENS0_14default_configENS1_37merge_sort_block_sort_config_selectorIjNS0_10empty_typeEEENS1_38merge_sort_block_merge_config_selectorIjSE_EEEEvv
                                        ; -- End function
	.section	.AMDGPU.csdata,"",@progbits
; Kernel info:
; codeLenInByte = 4
; NumSgprs: 6
; NumVgprs: 0
; NumAgprs: 0
; TotalNumVgprs: 0
; ScratchSize: 0
; MemoryBound: 0
; FloatMode: 240
; IeeeMode: 1
; LDSByteSize: 0 bytes/workgroup (compile time only)
; SGPRBlocks: 0
; VGPRBlocks: 0
; NumSGPRsForWavesPerEU: 6
; NumVGPRsForWavesPerEU: 1
; AccumOffset: 4
; Occupancy: 8
; WaveLimiterHint : 0
; COMPUTE_PGM_RSRC2:SCRATCH_EN: 0
; COMPUTE_PGM_RSRC2:USER_SGPR: 0
; COMPUTE_PGM_RSRC2:TRAP_HANDLER: 0
; COMPUTE_PGM_RSRC2:TGID_X_EN: 1
; COMPUTE_PGM_RSRC2:TGID_Y_EN: 0
; COMPUTE_PGM_RSRC2:TGID_Z_EN: 0
; COMPUTE_PGM_RSRC2:TIDIG_COMP_CNT: 0
; COMPUTE_PGM_RSRC3_GFX90A:ACCUM_OFFSET: 0
; COMPUTE_PGM_RSRC3_GFX90A:TG_SPLIT: 0
	.section	.text._ZN7rocprim17ROCPRIM_400000_NS6detail44device_merge_sort_compile_time_verifier_archINS1_11comp_targetILNS1_3genE10ELNS1_11target_archE1201ELNS1_3gpuE5ELNS1_3repE0EEES8_NS1_28merge_sort_block_sort_configILj256ELj4ELNS0_20block_sort_algorithmE0EEENS0_14default_configENS1_37merge_sort_block_sort_config_selectorIjNS0_10empty_typeEEENS1_38merge_sort_block_merge_config_selectorIjSE_EEEEvv,"axG",@progbits,_ZN7rocprim17ROCPRIM_400000_NS6detail44device_merge_sort_compile_time_verifier_archINS1_11comp_targetILNS1_3genE10ELNS1_11target_archE1201ELNS1_3gpuE5ELNS1_3repE0EEES8_NS1_28merge_sort_block_sort_configILj256ELj4ELNS0_20block_sort_algorithmE0EEENS0_14default_configENS1_37merge_sort_block_sort_config_selectorIjNS0_10empty_typeEEENS1_38merge_sort_block_merge_config_selectorIjSE_EEEEvv,comdat
	.protected	_ZN7rocprim17ROCPRIM_400000_NS6detail44device_merge_sort_compile_time_verifier_archINS1_11comp_targetILNS1_3genE10ELNS1_11target_archE1201ELNS1_3gpuE5ELNS1_3repE0EEES8_NS1_28merge_sort_block_sort_configILj256ELj4ELNS0_20block_sort_algorithmE0EEENS0_14default_configENS1_37merge_sort_block_sort_config_selectorIjNS0_10empty_typeEEENS1_38merge_sort_block_merge_config_selectorIjSE_EEEEvv ; -- Begin function _ZN7rocprim17ROCPRIM_400000_NS6detail44device_merge_sort_compile_time_verifier_archINS1_11comp_targetILNS1_3genE10ELNS1_11target_archE1201ELNS1_3gpuE5ELNS1_3repE0EEES8_NS1_28merge_sort_block_sort_configILj256ELj4ELNS0_20block_sort_algorithmE0EEENS0_14default_configENS1_37merge_sort_block_sort_config_selectorIjNS0_10empty_typeEEENS1_38merge_sort_block_merge_config_selectorIjSE_EEEEvv
	.globl	_ZN7rocprim17ROCPRIM_400000_NS6detail44device_merge_sort_compile_time_verifier_archINS1_11comp_targetILNS1_3genE10ELNS1_11target_archE1201ELNS1_3gpuE5ELNS1_3repE0EEES8_NS1_28merge_sort_block_sort_configILj256ELj4ELNS0_20block_sort_algorithmE0EEENS0_14default_configENS1_37merge_sort_block_sort_config_selectorIjNS0_10empty_typeEEENS1_38merge_sort_block_merge_config_selectorIjSE_EEEEvv
	.p2align	8
	.type	_ZN7rocprim17ROCPRIM_400000_NS6detail44device_merge_sort_compile_time_verifier_archINS1_11comp_targetILNS1_3genE10ELNS1_11target_archE1201ELNS1_3gpuE5ELNS1_3repE0EEES8_NS1_28merge_sort_block_sort_configILj256ELj4ELNS0_20block_sort_algorithmE0EEENS0_14default_configENS1_37merge_sort_block_sort_config_selectorIjNS0_10empty_typeEEENS1_38merge_sort_block_merge_config_selectorIjSE_EEEEvv,@function
_ZN7rocprim17ROCPRIM_400000_NS6detail44device_merge_sort_compile_time_verifier_archINS1_11comp_targetILNS1_3genE10ELNS1_11target_archE1201ELNS1_3gpuE5ELNS1_3repE0EEES8_NS1_28merge_sort_block_sort_configILj256ELj4ELNS0_20block_sort_algorithmE0EEENS0_14default_configENS1_37merge_sort_block_sort_config_selectorIjNS0_10empty_typeEEENS1_38merge_sort_block_merge_config_selectorIjSE_EEEEvv: ; @_ZN7rocprim17ROCPRIM_400000_NS6detail44device_merge_sort_compile_time_verifier_archINS1_11comp_targetILNS1_3genE10ELNS1_11target_archE1201ELNS1_3gpuE5ELNS1_3repE0EEES8_NS1_28merge_sort_block_sort_configILj256ELj4ELNS0_20block_sort_algorithmE0EEENS0_14default_configENS1_37merge_sort_block_sort_config_selectorIjNS0_10empty_typeEEENS1_38merge_sort_block_merge_config_selectorIjSE_EEEEvv
; %bb.0:
	s_endpgm
	.section	.rodata,"a",@progbits
	.p2align	6, 0x0
	.amdhsa_kernel _ZN7rocprim17ROCPRIM_400000_NS6detail44device_merge_sort_compile_time_verifier_archINS1_11comp_targetILNS1_3genE10ELNS1_11target_archE1201ELNS1_3gpuE5ELNS1_3repE0EEES8_NS1_28merge_sort_block_sort_configILj256ELj4ELNS0_20block_sort_algorithmE0EEENS0_14default_configENS1_37merge_sort_block_sort_config_selectorIjNS0_10empty_typeEEENS1_38merge_sort_block_merge_config_selectorIjSE_EEEEvv
		.amdhsa_group_segment_fixed_size 0
		.amdhsa_private_segment_fixed_size 0
		.amdhsa_kernarg_size 0
		.amdhsa_user_sgpr_count 0
		.amdhsa_user_sgpr_dispatch_ptr 0
		.amdhsa_user_sgpr_queue_ptr 0
		.amdhsa_user_sgpr_kernarg_segment_ptr 0
		.amdhsa_user_sgpr_dispatch_id 0
		.amdhsa_user_sgpr_kernarg_preload_length 0
		.amdhsa_user_sgpr_kernarg_preload_offset 0
		.amdhsa_user_sgpr_private_segment_size 0
		.amdhsa_uses_dynamic_stack 0
		.amdhsa_enable_private_segment 0
		.amdhsa_system_sgpr_workgroup_id_x 1
		.amdhsa_system_sgpr_workgroup_id_y 0
		.amdhsa_system_sgpr_workgroup_id_z 0
		.amdhsa_system_sgpr_workgroup_info 0
		.amdhsa_system_vgpr_workitem_id 0
		.amdhsa_next_free_vgpr 1
		.amdhsa_next_free_sgpr 0
		.amdhsa_accum_offset 4
		.amdhsa_reserve_vcc 0
		.amdhsa_float_round_mode_32 0
		.amdhsa_float_round_mode_16_64 0
		.amdhsa_float_denorm_mode_32 3
		.amdhsa_float_denorm_mode_16_64 3
		.amdhsa_dx10_clamp 1
		.amdhsa_ieee_mode 1
		.amdhsa_fp16_overflow 0
		.amdhsa_tg_split 0
		.amdhsa_exception_fp_ieee_invalid_op 0
		.amdhsa_exception_fp_denorm_src 0
		.amdhsa_exception_fp_ieee_div_zero 0
		.amdhsa_exception_fp_ieee_overflow 0
		.amdhsa_exception_fp_ieee_underflow 0
		.amdhsa_exception_fp_ieee_inexact 0
		.amdhsa_exception_int_div_zero 0
	.end_amdhsa_kernel
	.section	.text._ZN7rocprim17ROCPRIM_400000_NS6detail44device_merge_sort_compile_time_verifier_archINS1_11comp_targetILNS1_3genE10ELNS1_11target_archE1201ELNS1_3gpuE5ELNS1_3repE0EEES8_NS1_28merge_sort_block_sort_configILj256ELj4ELNS0_20block_sort_algorithmE0EEENS0_14default_configENS1_37merge_sort_block_sort_config_selectorIjNS0_10empty_typeEEENS1_38merge_sort_block_merge_config_selectorIjSE_EEEEvv,"axG",@progbits,_ZN7rocprim17ROCPRIM_400000_NS6detail44device_merge_sort_compile_time_verifier_archINS1_11comp_targetILNS1_3genE10ELNS1_11target_archE1201ELNS1_3gpuE5ELNS1_3repE0EEES8_NS1_28merge_sort_block_sort_configILj256ELj4ELNS0_20block_sort_algorithmE0EEENS0_14default_configENS1_37merge_sort_block_sort_config_selectorIjNS0_10empty_typeEEENS1_38merge_sort_block_merge_config_selectorIjSE_EEEEvv,comdat
.Lfunc_end965:
	.size	_ZN7rocprim17ROCPRIM_400000_NS6detail44device_merge_sort_compile_time_verifier_archINS1_11comp_targetILNS1_3genE10ELNS1_11target_archE1201ELNS1_3gpuE5ELNS1_3repE0EEES8_NS1_28merge_sort_block_sort_configILj256ELj4ELNS0_20block_sort_algorithmE0EEENS0_14default_configENS1_37merge_sort_block_sort_config_selectorIjNS0_10empty_typeEEENS1_38merge_sort_block_merge_config_selectorIjSE_EEEEvv, .Lfunc_end965-_ZN7rocprim17ROCPRIM_400000_NS6detail44device_merge_sort_compile_time_verifier_archINS1_11comp_targetILNS1_3genE10ELNS1_11target_archE1201ELNS1_3gpuE5ELNS1_3repE0EEES8_NS1_28merge_sort_block_sort_configILj256ELj4ELNS0_20block_sort_algorithmE0EEENS0_14default_configENS1_37merge_sort_block_sort_config_selectorIjNS0_10empty_typeEEENS1_38merge_sort_block_merge_config_selectorIjSE_EEEEvv
                                        ; -- End function
	.section	.AMDGPU.csdata,"",@progbits
; Kernel info:
; codeLenInByte = 4
; NumSgprs: 6
; NumVgprs: 0
; NumAgprs: 0
; TotalNumVgprs: 0
; ScratchSize: 0
; MemoryBound: 0
; FloatMode: 240
; IeeeMode: 1
; LDSByteSize: 0 bytes/workgroup (compile time only)
; SGPRBlocks: 0
; VGPRBlocks: 0
; NumSGPRsForWavesPerEU: 6
; NumVGPRsForWavesPerEU: 1
; AccumOffset: 4
; Occupancy: 8
; WaveLimiterHint : 0
; COMPUTE_PGM_RSRC2:SCRATCH_EN: 0
; COMPUTE_PGM_RSRC2:USER_SGPR: 0
; COMPUTE_PGM_RSRC2:TRAP_HANDLER: 0
; COMPUTE_PGM_RSRC2:TGID_X_EN: 1
; COMPUTE_PGM_RSRC2:TGID_Y_EN: 0
; COMPUTE_PGM_RSRC2:TGID_Z_EN: 0
; COMPUTE_PGM_RSRC2:TIDIG_COMP_CNT: 0
; COMPUTE_PGM_RSRC3_GFX90A:ACCUM_OFFSET: 0
; COMPUTE_PGM_RSRC3_GFX90A:TG_SPLIT: 0
	.section	.text._ZN7rocprim17ROCPRIM_400000_NS6detail44device_merge_sort_compile_time_verifier_archINS1_11comp_targetILNS1_3genE10ELNS1_11target_archE1200ELNS1_3gpuE4ELNS1_3repE0EEENS3_ILS4_10ELS5_1201ELS6_5ELS7_0EEENS1_28merge_sort_block_sort_configILj256ELj4ELNS0_20block_sort_algorithmE0EEENS0_14default_configENS1_37merge_sort_block_sort_config_selectorIjNS0_10empty_typeEEENS1_38merge_sort_block_merge_config_selectorIjSF_EEEEvv,"axG",@progbits,_ZN7rocprim17ROCPRIM_400000_NS6detail44device_merge_sort_compile_time_verifier_archINS1_11comp_targetILNS1_3genE10ELNS1_11target_archE1200ELNS1_3gpuE4ELNS1_3repE0EEENS3_ILS4_10ELS5_1201ELS6_5ELS7_0EEENS1_28merge_sort_block_sort_configILj256ELj4ELNS0_20block_sort_algorithmE0EEENS0_14default_configENS1_37merge_sort_block_sort_config_selectorIjNS0_10empty_typeEEENS1_38merge_sort_block_merge_config_selectorIjSF_EEEEvv,comdat
	.protected	_ZN7rocprim17ROCPRIM_400000_NS6detail44device_merge_sort_compile_time_verifier_archINS1_11comp_targetILNS1_3genE10ELNS1_11target_archE1200ELNS1_3gpuE4ELNS1_3repE0EEENS3_ILS4_10ELS5_1201ELS6_5ELS7_0EEENS1_28merge_sort_block_sort_configILj256ELj4ELNS0_20block_sort_algorithmE0EEENS0_14default_configENS1_37merge_sort_block_sort_config_selectorIjNS0_10empty_typeEEENS1_38merge_sort_block_merge_config_selectorIjSF_EEEEvv ; -- Begin function _ZN7rocprim17ROCPRIM_400000_NS6detail44device_merge_sort_compile_time_verifier_archINS1_11comp_targetILNS1_3genE10ELNS1_11target_archE1200ELNS1_3gpuE4ELNS1_3repE0EEENS3_ILS4_10ELS5_1201ELS6_5ELS7_0EEENS1_28merge_sort_block_sort_configILj256ELj4ELNS0_20block_sort_algorithmE0EEENS0_14default_configENS1_37merge_sort_block_sort_config_selectorIjNS0_10empty_typeEEENS1_38merge_sort_block_merge_config_selectorIjSF_EEEEvv
	.globl	_ZN7rocprim17ROCPRIM_400000_NS6detail44device_merge_sort_compile_time_verifier_archINS1_11comp_targetILNS1_3genE10ELNS1_11target_archE1200ELNS1_3gpuE4ELNS1_3repE0EEENS3_ILS4_10ELS5_1201ELS6_5ELS7_0EEENS1_28merge_sort_block_sort_configILj256ELj4ELNS0_20block_sort_algorithmE0EEENS0_14default_configENS1_37merge_sort_block_sort_config_selectorIjNS0_10empty_typeEEENS1_38merge_sort_block_merge_config_selectorIjSF_EEEEvv
	.p2align	8
	.type	_ZN7rocprim17ROCPRIM_400000_NS6detail44device_merge_sort_compile_time_verifier_archINS1_11comp_targetILNS1_3genE10ELNS1_11target_archE1200ELNS1_3gpuE4ELNS1_3repE0EEENS3_ILS4_10ELS5_1201ELS6_5ELS7_0EEENS1_28merge_sort_block_sort_configILj256ELj4ELNS0_20block_sort_algorithmE0EEENS0_14default_configENS1_37merge_sort_block_sort_config_selectorIjNS0_10empty_typeEEENS1_38merge_sort_block_merge_config_selectorIjSF_EEEEvv,@function
_ZN7rocprim17ROCPRIM_400000_NS6detail44device_merge_sort_compile_time_verifier_archINS1_11comp_targetILNS1_3genE10ELNS1_11target_archE1200ELNS1_3gpuE4ELNS1_3repE0EEENS3_ILS4_10ELS5_1201ELS6_5ELS7_0EEENS1_28merge_sort_block_sort_configILj256ELj4ELNS0_20block_sort_algorithmE0EEENS0_14default_configENS1_37merge_sort_block_sort_config_selectorIjNS0_10empty_typeEEENS1_38merge_sort_block_merge_config_selectorIjSF_EEEEvv: ; @_ZN7rocprim17ROCPRIM_400000_NS6detail44device_merge_sort_compile_time_verifier_archINS1_11comp_targetILNS1_3genE10ELNS1_11target_archE1200ELNS1_3gpuE4ELNS1_3repE0EEENS3_ILS4_10ELS5_1201ELS6_5ELS7_0EEENS1_28merge_sort_block_sort_configILj256ELj4ELNS0_20block_sort_algorithmE0EEENS0_14default_configENS1_37merge_sort_block_sort_config_selectorIjNS0_10empty_typeEEENS1_38merge_sort_block_merge_config_selectorIjSF_EEEEvv
; %bb.0:
	s_endpgm
	.section	.rodata,"a",@progbits
	.p2align	6, 0x0
	.amdhsa_kernel _ZN7rocprim17ROCPRIM_400000_NS6detail44device_merge_sort_compile_time_verifier_archINS1_11comp_targetILNS1_3genE10ELNS1_11target_archE1200ELNS1_3gpuE4ELNS1_3repE0EEENS3_ILS4_10ELS5_1201ELS6_5ELS7_0EEENS1_28merge_sort_block_sort_configILj256ELj4ELNS0_20block_sort_algorithmE0EEENS0_14default_configENS1_37merge_sort_block_sort_config_selectorIjNS0_10empty_typeEEENS1_38merge_sort_block_merge_config_selectorIjSF_EEEEvv
		.amdhsa_group_segment_fixed_size 0
		.amdhsa_private_segment_fixed_size 0
		.amdhsa_kernarg_size 0
		.amdhsa_user_sgpr_count 0
		.amdhsa_user_sgpr_dispatch_ptr 0
		.amdhsa_user_sgpr_queue_ptr 0
		.amdhsa_user_sgpr_kernarg_segment_ptr 0
		.amdhsa_user_sgpr_dispatch_id 0
		.amdhsa_user_sgpr_kernarg_preload_length 0
		.amdhsa_user_sgpr_kernarg_preload_offset 0
		.amdhsa_user_sgpr_private_segment_size 0
		.amdhsa_uses_dynamic_stack 0
		.amdhsa_enable_private_segment 0
		.amdhsa_system_sgpr_workgroup_id_x 1
		.amdhsa_system_sgpr_workgroup_id_y 0
		.amdhsa_system_sgpr_workgroup_id_z 0
		.amdhsa_system_sgpr_workgroup_info 0
		.amdhsa_system_vgpr_workitem_id 0
		.amdhsa_next_free_vgpr 1
		.amdhsa_next_free_sgpr 0
		.amdhsa_accum_offset 4
		.amdhsa_reserve_vcc 0
		.amdhsa_float_round_mode_32 0
		.amdhsa_float_round_mode_16_64 0
		.amdhsa_float_denorm_mode_32 3
		.amdhsa_float_denorm_mode_16_64 3
		.amdhsa_dx10_clamp 1
		.amdhsa_ieee_mode 1
		.amdhsa_fp16_overflow 0
		.amdhsa_tg_split 0
		.amdhsa_exception_fp_ieee_invalid_op 0
		.amdhsa_exception_fp_denorm_src 0
		.amdhsa_exception_fp_ieee_div_zero 0
		.amdhsa_exception_fp_ieee_overflow 0
		.amdhsa_exception_fp_ieee_underflow 0
		.amdhsa_exception_fp_ieee_inexact 0
		.amdhsa_exception_int_div_zero 0
	.end_amdhsa_kernel
	.section	.text._ZN7rocprim17ROCPRIM_400000_NS6detail44device_merge_sort_compile_time_verifier_archINS1_11comp_targetILNS1_3genE10ELNS1_11target_archE1200ELNS1_3gpuE4ELNS1_3repE0EEENS3_ILS4_10ELS5_1201ELS6_5ELS7_0EEENS1_28merge_sort_block_sort_configILj256ELj4ELNS0_20block_sort_algorithmE0EEENS0_14default_configENS1_37merge_sort_block_sort_config_selectorIjNS0_10empty_typeEEENS1_38merge_sort_block_merge_config_selectorIjSF_EEEEvv,"axG",@progbits,_ZN7rocprim17ROCPRIM_400000_NS6detail44device_merge_sort_compile_time_verifier_archINS1_11comp_targetILNS1_3genE10ELNS1_11target_archE1200ELNS1_3gpuE4ELNS1_3repE0EEENS3_ILS4_10ELS5_1201ELS6_5ELS7_0EEENS1_28merge_sort_block_sort_configILj256ELj4ELNS0_20block_sort_algorithmE0EEENS0_14default_configENS1_37merge_sort_block_sort_config_selectorIjNS0_10empty_typeEEENS1_38merge_sort_block_merge_config_selectorIjSF_EEEEvv,comdat
.Lfunc_end966:
	.size	_ZN7rocprim17ROCPRIM_400000_NS6detail44device_merge_sort_compile_time_verifier_archINS1_11comp_targetILNS1_3genE10ELNS1_11target_archE1200ELNS1_3gpuE4ELNS1_3repE0EEENS3_ILS4_10ELS5_1201ELS6_5ELS7_0EEENS1_28merge_sort_block_sort_configILj256ELj4ELNS0_20block_sort_algorithmE0EEENS0_14default_configENS1_37merge_sort_block_sort_config_selectorIjNS0_10empty_typeEEENS1_38merge_sort_block_merge_config_selectorIjSF_EEEEvv, .Lfunc_end966-_ZN7rocprim17ROCPRIM_400000_NS6detail44device_merge_sort_compile_time_verifier_archINS1_11comp_targetILNS1_3genE10ELNS1_11target_archE1200ELNS1_3gpuE4ELNS1_3repE0EEENS3_ILS4_10ELS5_1201ELS6_5ELS7_0EEENS1_28merge_sort_block_sort_configILj256ELj4ELNS0_20block_sort_algorithmE0EEENS0_14default_configENS1_37merge_sort_block_sort_config_selectorIjNS0_10empty_typeEEENS1_38merge_sort_block_merge_config_selectorIjSF_EEEEvv
                                        ; -- End function
	.section	.AMDGPU.csdata,"",@progbits
; Kernel info:
; codeLenInByte = 4
; NumSgprs: 6
; NumVgprs: 0
; NumAgprs: 0
; TotalNumVgprs: 0
; ScratchSize: 0
; MemoryBound: 0
; FloatMode: 240
; IeeeMode: 1
; LDSByteSize: 0 bytes/workgroup (compile time only)
; SGPRBlocks: 0
; VGPRBlocks: 0
; NumSGPRsForWavesPerEU: 6
; NumVGPRsForWavesPerEU: 1
; AccumOffset: 4
; Occupancy: 8
; WaveLimiterHint : 0
; COMPUTE_PGM_RSRC2:SCRATCH_EN: 0
; COMPUTE_PGM_RSRC2:USER_SGPR: 0
; COMPUTE_PGM_RSRC2:TRAP_HANDLER: 0
; COMPUTE_PGM_RSRC2:TGID_X_EN: 1
; COMPUTE_PGM_RSRC2:TGID_Y_EN: 0
; COMPUTE_PGM_RSRC2:TGID_Z_EN: 0
; COMPUTE_PGM_RSRC2:TIDIG_COMP_CNT: 0
; COMPUTE_PGM_RSRC3_GFX90A:ACCUM_OFFSET: 0
; COMPUTE_PGM_RSRC3_GFX90A:TG_SPLIT: 0
	.section	.text._ZN7rocprim17ROCPRIM_400000_NS6detail44device_merge_sort_compile_time_verifier_archINS1_11comp_targetILNS1_3genE9ELNS1_11target_archE1100ELNS1_3gpuE3ELNS1_3repE0EEES8_NS1_28merge_sort_block_sort_configILj256ELj4ELNS0_20block_sort_algorithmE0EEENS0_14default_configENS1_37merge_sort_block_sort_config_selectorIjNS0_10empty_typeEEENS1_38merge_sort_block_merge_config_selectorIjSE_EEEEvv,"axG",@progbits,_ZN7rocprim17ROCPRIM_400000_NS6detail44device_merge_sort_compile_time_verifier_archINS1_11comp_targetILNS1_3genE9ELNS1_11target_archE1100ELNS1_3gpuE3ELNS1_3repE0EEES8_NS1_28merge_sort_block_sort_configILj256ELj4ELNS0_20block_sort_algorithmE0EEENS0_14default_configENS1_37merge_sort_block_sort_config_selectorIjNS0_10empty_typeEEENS1_38merge_sort_block_merge_config_selectorIjSE_EEEEvv,comdat
	.protected	_ZN7rocprim17ROCPRIM_400000_NS6detail44device_merge_sort_compile_time_verifier_archINS1_11comp_targetILNS1_3genE9ELNS1_11target_archE1100ELNS1_3gpuE3ELNS1_3repE0EEES8_NS1_28merge_sort_block_sort_configILj256ELj4ELNS0_20block_sort_algorithmE0EEENS0_14default_configENS1_37merge_sort_block_sort_config_selectorIjNS0_10empty_typeEEENS1_38merge_sort_block_merge_config_selectorIjSE_EEEEvv ; -- Begin function _ZN7rocprim17ROCPRIM_400000_NS6detail44device_merge_sort_compile_time_verifier_archINS1_11comp_targetILNS1_3genE9ELNS1_11target_archE1100ELNS1_3gpuE3ELNS1_3repE0EEES8_NS1_28merge_sort_block_sort_configILj256ELj4ELNS0_20block_sort_algorithmE0EEENS0_14default_configENS1_37merge_sort_block_sort_config_selectorIjNS0_10empty_typeEEENS1_38merge_sort_block_merge_config_selectorIjSE_EEEEvv
	.globl	_ZN7rocprim17ROCPRIM_400000_NS6detail44device_merge_sort_compile_time_verifier_archINS1_11comp_targetILNS1_3genE9ELNS1_11target_archE1100ELNS1_3gpuE3ELNS1_3repE0EEES8_NS1_28merge_sort_block_sort_configILj256ELj4ELNS0_20block_sort_algorithmE0EEENS0_14default_configENS1_37merge_sort_block_sort_config_selectorIjNS0_10empty_typeEEENS1_38merge_sort_block_merge_config_selectorIjSE_EEEEvv
	.p2align	8
	.type	_ZN7rocprim17ROCPRIM_400000_NS6detail44device_merge_sort_compile_time_verifier_archINS1_11comp_targetILNS1_3genE9ELNS1_11target_archE1100ELNS1_3gpuE3ELNS1_3repE0EEES8_NS1_28merge_sort_block_sort_configILj256ELj4ELNS0_20block_sort_algorithmE0EEENS0_14default_configENS1_37merge_sort_block_sort_config_selectorIjNS0_10empty_typeEEENS1_38merge_sort_block_merge_config_selectorIjSE_EEEEvv,@function
_ZN7rocprim17ROCPRIM_400000_NS6detail44device_merge_sort_compile_time_verifier_archINS1_11comp_targetILNS1_3genE9ELNS1_11target_archE1100ELNS1_3gpuE3ELNS1_3repE0EEES8_NS1_28merge_sort_block_sort_configILj256ELj4ELNS0_20block_sort_algorithmE0EEENS0_14default_configENS1_37merge_sort_block_sort_config_selectorIjNS0_10empty_typeEEENS1_38merge_sort_block_merge_config_selectorIjSE_EEEEvv: ; @_ZN7rocprim17ROCPRIM_400000_NS6detail44device_merge_sort_compile_time_verifier_archINS1_11comp_targetILNS1_3genE9ELNS1_11target_archE1100ELNS1_3gpuE3ELNS1_3repE0EEES8_NS1_28merge_sort_block_sort_configILj256ELj4ELNS0_20block_sort_algorithmE0EEENS0_14default_configENS1_37merge_sort_block_sort_config_selectorIjNS0_10empty_typeEEENS1_38merge_sort_block_merge_config_selectorIjSE_EEEEvv
; %bb.0:
	s_endpgm
	.section	.rodata,"a",@progbits
	.p2align	6, 0x0
	.amdhsa_kernel _ZN7rocprim17ROCPRIM_400000_NS6detail44device_merge_sort_compile_time_verifier_archINS1_11comp_targetILNS1_3genE9ELNS1_11target_archE1100ELNS1_3gpuE3ELNS1_3repE0EEES8_NS1_28merge_sort_block_sort_configILj256ELj4ELNS0_20block_sort_algorithmE0EEENS0_14default_configENS1_37merge_sort_block_sort_config_selectorIjNS0_10empty_typeEEENS1_38merge_sort_block_merge_config_selectorIjSE_EEEEvv
		.amdhsa_group_segment_fixed_size 0
		.amdhsa_private_segment_fixed_size 0
		.amdhsa_kernarg_size 0
		.amdhsa_user_sgpr_count 0
		.amdhsa_user_sgpr_dispatch_ptr 0
		.amdhsa_user_sgpr_queue_ptr 0
		.amdhsa_user_sgpr_kernarg_segment_ptr 0
		.amdhsa_user_sgpr_dispatch_id 0
		.amdhsa_user_sgpr_kernarg_preload_length 0
		.amdhsa_user_sgpr_kernarg_preload_offset 0
		.amdhsa_user_sgpr_private_segment_size 0
		.amdhsa_uses_dynamic_stack 0
		.amdhsa_enable_private_segment 0
		.amdhsa_system_sgpr_workgroup_id_x 1
		.amdhsa_system_sgpr_workgroup_id_y 0
		.amdhsa_system_sgpr_workgroup_id_z 0
		.amdhsa_system_sgpr_workgroup_info 0
		.amdhsa_system_vgpr_workitem_id 0
		.amdhsa_next_free_vgpr 1
		.amdhsa_next_free_sgpr 0
		.amdhsa_accum_offset 4
		.amdhsa_reserve_vcc 0
		.amdhsa_float_round_mode_32 0
		.amdhsa_float_round_mode_16_64 0
		.amdhsa_float_denorm_mode_32 3
		.amdhsa_float_denorm_mode_16_64 3
		.amdhsa_dx10_clamp 1
		.amdhsa_ieee_mode 1
		.amdhsa_fp16_overflow 0
		.amdhsa_tg_split 0
		.amdhsa_exception_fp_ieee_invalid_op 0
		.amdhsa_exception_fp_denorm_src 0
		.amdhsa_exception_fp_ieee_div_zero 0
		.amdhsa_exception_fp_ieee_overflow 0
		.amdhsa_exception_fp_ieee_underflow 0
		.amdhsa_exception_fp_ieee_inexact 0
		.amdhsa_exception_int_div_zero 0
	.end_amdhsa_kernel
	.section	.text._ZN7rocprim17ROCPRIM_400000_NS6detail44device_merge_sort_compile_time_verifier_archINS1_11comp_targetILNS1_3genE9ELNS1_11target_archE1100ELNS1_3gpuE3ELNS1_3repE0EEES8_NS1_28merge_sort_block_sort_configILj256ELj4ELNS0_20block_sort_algorithmE0EEENS0_14default_configENS1_37merge_sort_block_sort_config_selectorIjNS0_10empty_typeEEENS1_38merge_sort_block_merge_config_selectorIjSE_EEEEvv,"axG",@progbits,_ZN7rocprim17ROCPRIM_400000_NS6detail44device_merge_sort_compile_time_verifier_archINS1_11comp_targetILNS1_3genE9ELNS1_11target_archE1100ELNS1_3gpuE3ELNS1_3repE0EEES8_NS1_28merge_sort_block_sort_configILj256ELj4ELNS0_20block_sort_algorithmE0EEENS0_14default_configENS1_37merge_sort_block_sort_config_selectorIjNS0_10empty_typeEEENS1_38merge_sort_block_merge_config_selectorIjSE_EEEEvv,comdat
.Lfunc_end967:
	.size	_ZN7rocprim17ROCPRIM_400000_NS6detail44device_merge_sort_compile_time_verifier_archINS1_11comp_targetILNS1_3genE9ELNS1_11target_archE1100ELNS1_3gpuE3ELNS1_3repE0EEES8_NS1_28merge_sort_block_sort_configILj256ELj4ELNS0_20block_sort_algorithmE0EEENS0_14default_configENS1_37merge_sort_block_sort_config_selectorIjNS0_10empty_typeEEENS1_38merge_sort_block_merge_config_selectorIjSE_EEEEvv, .Lfunc_end967-_ZN7rocprim17ROCPRIM_400000_NS6detail44device_merge_sort_compile_time_verifier_archINS1_11comp_targetILNS1_3genE9ELNS1_11target_archE1100ELNS1_3gpuE3ELNS1_3repE0EEES8_NS1_28merge_sort_block_sort_configILj256ELj4ELNS0_20block_sort_algorithmE0EEENS0_14default_configENS1_37merge_sort_block_sort_config_selectorIjNS0_10empty_typeEEENS1_38merge_sort_block_merge_config_selectorIjSE_EEEEvv
                                        ; -- End function
	.section	.AMDGPU.csdata,"",@progbits
; Kernel info:
; codeLenInByte = 4
; NumSgprs: 6
; NumVgprs: 0
; NumAgprs: 0
; TotalNumVgprs: 0
; ScratchSize: 0
; MemoryBound: 0
; FloatMode: 240
; IeeeMode: 1
; LDSByteSize: 0 bytes/workgroup (compile time only)
; SGPRBlocks: 0
; VGPRBlocks: 0
; NumSGPRsForWavesPerEU: 6
; NumVGPRsForWavesPerEU: 1
; AccumOffset: 4
; Occupancy: 8
; WaveLimiterHint : 0
; COMPUTE_PGM_RSRC2:SCRATCH_EN: 0
; COMPUTE_PGM_RSRC2:USER_SGPR: 0
; COMPUTE_PGM_RSRC2:TRAP_HANDLER: 0
; COMPUTE_PGM_RSRC2:TGID_X_EN: 1
; COMPUTE_PGM_RSRC2:TGID_Y_EN: 0
; COMPUTE_PGM_RSRC2:TGID_Z_EN: 0
; COMPUTE_PGM_RSRC2:TIDIG_COMP_CNT: 0
; COMPUTE_PGM_RSRC3_GFX90A:ACCUM_OFFSET: 0
; COMPUTE_PGM_RSRC3_GFX90A:TG_SPLIT: 0
	.section	.text._ZN7rocprim17ROCPRIM_400000_NS6detail44device_merge_sort_compile_time_verifier_archINS1_11comp_targetILNS1_3genE8ELNS1_11target_archE1030ELNS1_3gpuE2ELNS1_3repE0EEES8_NS1_28merge_sort_block_sort_configILj256ELj4ELNS0_20block_sort_algorithmE0EEENS0_14default_configENS1_37merge_sort_block_sort_config_selectorIjNS0_10empty_typeEEENS1_38merge_sort_block_merge_config_selectorIjSE_EEEEvv,"axG",@progbits,_ZN7rocprim17ROCPRIM_400000_NS6detail44device_merge_sort_compile_time_verifier_archINS1_11comp_targetILNS1_3genE8ELNS1_11target_archE1030ELNS1_3gpuE2ELNS1_3repE0EEES8_NS1_28merge_sort_block_sort_configILj256ELj4ELNS0_20block_sort_algorithmE0EEENS0_14default_configENS1_37merge_sort_block_sort_config_selectorIjNS0_10empty_typeEEENS1_38merge_sort_block_merge_config_selectorIjSE_EEEEvv,comdat
	.protected	_ZN7rocprim17ROCPRIM_400000_NS6detail44device_merge_sort_compile_time_verifier_archINS1_11comp_targetILNS1_3genE8ELNS1_11target_archE1030ELNS1_3gpuE2ELNS1_3repE0EEES8_NS1_28merge_sort_block_sort_configILj256ELj4ELNS0_20block_sort_algorithmE0EEENS0_14default_configENS1_37merge_sort_block_sort_config_selectorIjNS0_10empty_typeEEENS1_38merge_sort_block_merge_config_selectorIjSE_EEEEvv ; -- Begin function _ZN7rocprim17ROCPRIM_400000_NS6detail44device_merge_sort_compile_time_verifier_archINS1_11comp_targetILNS1_3genE8ELNS1_11target_archE1030ELNS1_3gpuE2ELNS1_3repE0EEES8_NS1_28merge_sort_block_sort_configILj256ELj4ELNS0_20block_sort_algorithmE0EEENS0_14default_configENS1_37merge_sort_block_sort_config_selectorIjNS0_10empty_typeEEENS1_38merge_sort_block_merge_config_selectorIjSE_EEEEvv
	.globl	_ZN7rocprim17ROCPRIM_400000_NS6detail44device_merge_sort_compile_time_verifier_archINS1_11comp_targetILNS1_3genE8ELNS1_11target_archE1030ELNS1_3gpuE2ELNS1_3repE0EEES8_NS1_28merge_sort_block_sort_configILj256ELj4ELNS0_20block_sort_algorithmE0EEENS0_14default_configENS1_37merge_sort_block_sort_config_selectorIjNS0_10empty_typeEEENS1_38merge_sort_block_merge_config_selectorIjSE_EEEEvv
	.p2align	8
	.type	_ZN7rocprim17ROCPRIM_400000_NS6detail44device_merge_sort_compile_time_verifier_archINS1_11comp_targetILNS1_3genE8ELNS1_11target_archE1030ELNS1_3gpuE2ELNS1_3repE0EEES8_NS1_28merge_sort_block_sort_configILj256ELj4ELNS0_20block_sort_algorithmE0EEENS0_14default_configENS1_37merge_sort_block_sort_config_selectorIjNS0_10empty_typeEEENS1_38merge_sort_block_merge_config_selectorIjSE_EEEEvv,@function
_ZN7rocprim17ROCPRIM_400000_NS6detail44device_merge_sort_compile_time_verifier_archINS1_11comp_targetILNS1_3genE8ELNS1_11target_archE1030ELNS1_3gpuE2ELNS1_3repE0EEES8_NS1_28merge_sort_block_sort_configILj256ELj4ELNS0_20block_sort_algorithmE0EEENS0_14default_configENS1_37merge_sort_block_sort_config_selectorIjNS0_10empty_typeEEENS1_38merge_sort_block_merge_config_selectorIjSE_EEEEvv: ; @_ZN7rocprim17ROCPRIM_400000_NS6detail44device_merge_sort_compile_time_verifier_archINS1_11comp_targetILNS1_3genE8ELNS1_11target_archE1030ELNS1_3gpuE2ELNS1_3repE0EEES8_NS1_28merge_sort_block_sort_configILj256ELj4ELNS0_20block_sort_algorithmE0EEENS0_14default_configENS1_37merge_sort_block_sort_config_selectorIjNS0_10empty_typeEEENS1_38merge_sort_block_merge_config_selectorIjSE_EEEEvv
; %bb.0:
	s_endpgm
	.section	.rodata,"a",@progbits
	.p2align	6, 0x0
	.amdhsa_kernel _ZN7rocprim17ROCPRIM_400000_NS6detail44device_merge_sort_compile_time_verifier_archINS1_11comp_targetILNS1_3genE8ELNS1_11target_archE1030ELNS1_3gpuE2ELNS1_3repE0EEES8_NS1_28merge_sort_block_sort_configILj256ELj4ELNS0_20block_sort_algorithmE0EEENS0_14default_configENS1_37merge_sort_block_sort_config_selectorIjNS0_10empty_typeEEENS1_38merge_sort_block_merge_config_selectorIjSE_EEEEvv
		.amdhsa_group_segment_fixed_size 0
		.amdhsa_private_segment_fixed_size 0
		.amdhsa_kernarg_size 0
		.amdhsa_user_sgpr_count 0
		.amdhsa_user_sgpr_dispatch_ptr 0
		.amdhsa_user_sgpr_queue_ptr 0
		.amdhsa_user_sgpr_kernarg_segment_ptr 0
		.amdhsa_user_sgpr_dispatch_id 0
		.amdhsa_user_sgpr_kernarg_preload_length 0
		.amdhsa_user_sgpr_kernarg_preload_offset 0
		.amdhsa_user_sgpr_private_segment_size 0
		.amdhsa_uses_dynamic_stack 0
		.amdhsa_enable_private_segment 0
		.amdhsa_system_sgpr_workgroup_id_x 1
		.amdhsa_system_sgpr_workgroup_id_y 0
		.amdhsa_system_sgpr_workgroup_id_z 0
		.amdhsa_system_sgpr_workgroup_info 0
		.amdhsa_system_vgpr_workitem_id 0
		.amdhsa_next_free_vgpr 1
		.amdhsa_next_free_sgpr 0
		.amdhsa_accum_offset 4
		.amdhsa_reserve_vcc 0
		.amdhsa_float_round_mode_32 0
		.amdhsa_float_round_mode_16_64 0
		.amdhsa_float_denorm_mode_32 3
		.amdhsa_float_denorm_mode_16_64 3
		.amdhsa_dx10_clamp 1
		.amdhsa_ieee_mode 1
		.amdhsa_fp16_overflow 0
		.amdhsa_tg_split 0
		.amdhsa_exception_fp_ieee_invalid_op 0
		.amdhsa_exception_fp_denorm_src 0
		.amdhsa_exception_fp_ieee_div_zero 0
		.amdhsa_exception_fp_ieee_overflow 0
		.amdhsa_exception_fp_ieee_underflow 0
		.amdhsa_exception_fp_ieee_inexact 0
		.amdhsa_exception_int_div_zero 0
	.end_amdhsa_kernel
	.section	.text._ZN7rocprim17ROCPRIM_400000_NS6detail44device_merge_sort_compile_time_verifier_archINS1_11comp_targetILNS1_3genE8ELNS1_11target_archE1030ELNS1_3gpuE2ELNS1_3repE0EEES8_NS1_28merge_sort_block_sort_configILj256ELj4ELNS0_20block_sort_algorithmE0EEENS0_14default_configENS1_37merge_sort_block_sort_config_selectorIjNS0_10empty_typeEEENS1_38merge_sort_block_merge_config_selectorIjSE_EEEEvv,"axG",@progbits,_ZN7rocprim17ROCPRIM_400000_NS6detail44device_merge_sort_compile_time_verifier_archINS1_11comp_targetILNS1_3genE8ELNS1_11target_archE1030ELNS1_3gpuE2ELNS1_3repE0EEES8_NS1_28merge_sort_block_sort_configILj256ELj4ELNS0_20block_sort_algorithmE0EEENS0_14default_configENS1_37merge_sort_block_sort_config_selectorIjNS0_10empty_typeEEENS1_38merge_sort_block_merge_config_selectorIjSE_EEEEvv,comdat
.Lfunc_end968:
	.size	_ZN7rocprim17ROCPRIM_400000_NS6detail44device_merge_sort_compile_time_verifier_archINS1_11comp_targetILNS1_3genE8ELNS1_11target_archE1030ELNS1_3gpuE2ELNS1_3repE0EEES8_NS1_28merge_sort_block_sort_configILj256ELj4ELNS0_20block_sort_algorithmE0EEENS0_14default_configENS1_37merge_sort_block_sort_config_selectorIjNS0_10empty_typeEEENS1_38merge_sort_block_merge_config_selectorIjSE_EEEEvv, .Lfunc_end968-_ZN7rocprim17ROCPRIM_400000_NS6detail44device_merge_sort_compile_time_verifier_archINS1_11comp_targetILNS1_3genE8ELNS1_11target_archE1030ELNS1_3gpuE2ELNS1_3repE0EEES8_NS1_28merge_sort_block_sort_configILj256ELj4ELNS0_20block_sort_algorithmE0EEENS0_14default_configENS1_37merge_sort_block_sort_config_selectorIjNS0_10empty_typeEEENS1_38merge_sort_block_merge_config_selectorIjSE_EEEEvv
                                        ; -- End function
	.section	.AMDGPU.csdata,"",@progbits
; Kernel info:
; codeLenInByte = 4
; NumSgprs: 6
; NumVgprs: 0
; NumAgprs: 0
; TotalNumVgprs: 0
; ScratchSize: 0
; MemoryBound: 0
; FloatMode: 240
; IeeeMode: 1
; LDSByteSize: 0 bytes/workgroup (compile time only)
; SGPRBlocks: 0
; VGPRBlocks: 0
; NumSGPRsForWavesPerEU: 6
; NumVGPRsForWavesPerEU: 1
; AccumOffset: 4
; Occupancy: 8
; WaveLimiterHint : 0
; COMPUTE_PGM_RSRC2:SCRATCH_EN: 0
; COMPUTE_PGM_RSRC2:USER_SGPR: 0
; COMPUTE_PGM_RSRC2:TRAP_HANDLER: 0
; COMPUTE_PGM_RSRC2:TGID_X_EN: 1
; COMPUTE_PGM_RSRC2:TGID_Y_EN: 0
; COMPUTE_PGM_RSRC2:TGID_Z_EN: 0
; COMPUTE_PGM_RSRC2:TIDIG_COMP_CNT: 0
; COMPUTE_PGM_RSRC3_GFX90A:ACCUM_OFFSET: 0
; COMPUTE_PGM_RSRC3_GFX90A:TG_SPLIT: 0
	.section	.text._ZN7rocprim17ROCPRIM_400000_NS6detail17trampoline_kernelINS0_14default_configENS1_38merge_sort_block_merge_config_selectorIjNS0_10empty_typeEEEZZNS1_27merge_sort_block_merge_implIS3_N6thrust23THRUST_200600_302600_NS6detail15normal_iteratorINS9_10device_ptrIjEEEEPS5_jNS1_19radix_merge_compareILb0ELb0EjNS0_19identity_decomposerEEEEE10hipError_tT0_T1_T2_jT3_P12ihipStream_tbPNSt15iterator_traitsISK_E10value_typeEPNSQ_ISL_E10value_typeEPSM_NS1_7vsmem_tEENKUlT_SK_SL_SM_E_clIPjSE_SF_SF_EESJ_SZ_SK_SL_SM_EUlSZ_E_NS1_11comp_targetILNS1_3genE0ELNS1_11target_archE4294967295ELNS1_3gpuE0ELNS1_3repE0EEENS1_48merge_mergepath_partition_config_static_selectorELNS0_4arch9wavefront6targetE1EEEvSL_,"axG",@progbits,_ZN7rocprim17ROCPRIM_400000_NS6detail17trampoline_kernelINS0_14default_configENS1_38merge_sort_block_merge_config_selectorIjNS0_10empty_typeEEEZZNS1_27merge_sort_block_merge_implIS3_N6thrust23THRUST_200600_302600_NS6detail15normal_iteratorINS9_10device_ptrIjEEEEPS5_jNS1_19radix_merge_compareILb0ELb0EjNS0_19identity_decomposerEEEEE10hipError_tT0_T1_T2_jT3_P12ihipStream_tbPNSt15iterator_traitsISK_E10value_typeEPNSQ_ISL_E10value_typeEPSM_NS1_7vsmem_tEENKUlT_SK_SL_SM_E_clIPjSE_SF_SF_EESJ_SZ_SK_SL_SM_EUlSZ_E_NS1_11comp_targetILNS1_3genE0ELNS1_11target_archE4294967295ELNS1_3gpuE0ELNS1_3repE0EEENS1_48merge_mergepath_partition_config_static_selectorELNS0_4arch9wavefront6targetE1EEEvSL_,comdat
	.protected	_ZN7rocprim17ROCPRIM_400000_NS6detail17trampoline_kernelINS0_14default_configENS1_38merge_sort_block_merge_config_selectorIjNS0_10empty_typeEEEZZNS1_27merge_sort_block_merge_implIS3_N6thrust23THRUST_200600_302600_NS6detail15normal_iteratorINS9_10device_ptrIjEEEEPS5_jNS1_19radix_merge_compareILb0ELb0EjNS0_19identity_decomposerEEEEE10hipError_tT0_T1_T2_jT3_P12ihipStream_tbPNSt15iterator_traitsISK_E10value_typeEPNSQ_ISL_E10value_typeEPSM_NS1_7vsmem_tEENKUlT_SK_SL_SM_E_clIPjSE_SF_SF_EESJ_SZ_SK_SL_SM_EUlSZ_E_NS1_11comp_targetILNS1_3genE0ELNS1_11target_archE4294967295ELNS1_3gpuE0ELNS1_3repE0EEENS1_48merge_mergepath_partition_config_static_selectorELNS0_4arch9wavefront6targetE1EEEvSL_ ; -- Begin function _ZN7rocprim17ROCPRIM_400000_NS6detail17trampoline_kernelINS0_14default_configENS1_38merge_sort_block_merge_config_selectorIjNS0_10empty_typeEEEZZNS1_27merge_sort_block_merge_implIS3_N6thrust23THRUST_200600_302600_NS6detail15normal_iteratorINS9_10device_ptrIjEEEEPS5_jNS1_19radix_merge_compareILb0ELb0EjNS0_19identity_decomposerEEEEE10hipError_tT0_T1_T2_jT3_P12ihipStream_tbPNSt15iterator_traitsISK_E10value_typeEPNSQ_ISL_E10value_typeEPSM_NS1_7vsmem_tEENKUlT_SK_SL_SM_E_clIPjSE_SF_SF_EESJ_SZ_SK_SL_SM_EUlSZ_E_NS1_11comp_targetILNS1_3genE0ELNS1_11target_archE4294967295ELNS1_3gpuE0ELNS1_3repE0EEENS1_48merge_mergepath_partition_config_static_selectorELNS0_4arch9wavefront6targetE1EEEvSL_
	.globl	_ZN7rocprim17ROCPRIM_400000_NS6detail17trampoline_kernelINS0_14default_configENS1_38merge_sort_block_merge_config_selectorIjNS0_10empty_typeEEEZZNS1_27merge_sort_block_merge_implIS3_N6thrust23THRUST_200600_302600_NS6detail15normal_iteratorINS9_10device_ptrIjEEEEPS5_jNS1_19radix_merge_compareILb0ELb0EjNS0_19identity_decomposerEEEEE10hipError_tT0_T1_T2_jT3_P12ihipStream_tbPNSt15iterator_traitsISK_E10value_typeEPNSQ_ISL_E10value_typeEPSM_NS1_7vsmem_tEENKUlT_SK_SL_SM_E_clIPjSE_SF_SF_EESJ_SZ_SK_SL_SM_EUlSZ_E_NS1_11comp_targetILNS1_3genE0ELNS1_11target_archE4294967295ELNS1_3gpuE0ELNS1_3repE0EEENS1_48merge_mergepath_partition_config_static_selectorELNS0_4arch9wavefront6targetE1EEEvSL_
	.p2align	8
	.type	_ZN7rocprim17ROCPRIM_400000_NS6detail17trampoline_kernelINS0_14default_configENS1_38merge_sort_block_merge_config_selectorIjNS0_10empty_typeEEEZZNS1_27merge_sort_block_merge_implIS3_N6thrust23THRUST_200600_302600_NS6detail15normal_iteratorINS9_10device_ptrIjEEEEPS5_jNS1_19radix_merge_compareILb0ELb0EjNS0_19identity_decomposerEEEEE10hipError_tT0_T1_T2_jT3_P12ihipStream_tbPNSt15iterator_traitsISK_E10value_typeEPNSQ_ISL_E10value_typeEPSM_NS1_7vsmem_tEENKUlT_SK_SL_SM_E_clIPjSE_SF_SF_EESJ_SZ_SK_SL_SM_EUlSZ_E_NS1_11comp_targetILNS1_3genE0ELNS1_11target_archE4294967295ELNS1_3gpuE0ELNS1_3repE0EEENS1_48merge_mergepath_partition_config_static_selectorELNS0_4arch9wavefront6targetE1EEEvSL_,@function
_ZN7rocprim17ROCPRIM_400000_NS6detail17trampoline_kernelINS0_14default_configENS1_38merge_sort_block_merge_config_selectorIjNS0_10empty_typeEEEZZNS1_27merge_sort_block_merge_implIS3_N6thrust23THRUST_200600_302600_NS6detail15normal_iteratorINS9_10device_ptrIjEEEEPS5_jNS1_19radix_merge_compareILb0ELb0EjNS0_19identity_decomposerEEEEE10hipError_tT0_T1_T2_jT3_P12ihipStream_tbPNSt15iterator_traitsISK_E10value_typeEPNSQ_ISL_E10value_typeEPSM_NS1_7vsmem_tEENKUlT_SK_SL_SM_E_clIPjSE_SF_SF_EESJ_SZ_SK_SL_SM_EUlSZ_E_NS1_11comp_targetILNS1_3genE0ELNS1_11target_archE4294967295ELNS1_3gpuE0ELNS1_3repE0EEENS1_48merge_mergepath_partition_config_static_selectorELNS0_4arch9wavefront6targetE1EEEvSL_: ; @_ZN7rocprim17ROCPRIM_400000_NS6detail17trampoline_kernelINS0_14default_configENS1_38merge_sort_block_merge_config_selectorIjNS0_10empty_typeEEEZZNS1_27merge_sort_block_merge_implIS3_N6thrust23THRUST_200600_302600_NS6detail15normal_iteratorINS9_10device_ptrIjEEEEPS5_jNS1_19radix_merge_compareILb0ELb0EjNS0_19identity_decomposerEEEEE10hipError_tT0_T1_T2_jT3_P12ihipStream_tbPNSt15iterator_traitsISK_E10value_typeEPNSQ_ISL_E10value_typeEPSM_NS1_7vsmem_tEENKUlT_SK_SL_SM_E_clIPjSE_SF_SF_EESJ_SZ_SK_SL_SM_EUlSZ_E_NS1_11comp_targetILNS1_3genE0ELNS1_11target_archE4294967295ELNS1_3gpuE0ELNS1_3repE0EEENS1_48merge_mergepath_partition_config_static_selectorELNS0_4arch9wavefront6targetE1EEEvSL_
; %bb.0:
	.section	.rodata,"a",@progbits
	.p2align	6, 0x0
	.amdhsa_kernel _ZN7rocprim17ROCPRIM_400000_NS6detail17trampoline_kernelINS0_14default_configENS1_38merge_sort_block_merge_config_selectorIjNS0_10empty_typeEEEZZNS1_27merge_sort_block_merge_implIS3_N6thrust23THRUST_200600_302600_NS6detail15normal_iteratorINS9_10device_ptrIjEEEEPS5_jNS1_19radix_merge_compareILb0ELb0EjNS0_19identity_decomposerEEEEE10hipError_tT0_T1_T2_jT3_P12ihipStream_tbPNSt15iterator_traitsISK_E10value_typeEPNSQ_ISL_E10value_typeEPSM_NS1_7vsmem_tEENKUlT_SK_SL_SM_E_clIPjSE_SF_SF_EESJ_SZ_SK_SL_SM_EUlSZ_E_NS1_11comp_targetILNS1_3genE0ELNS1_11target_archE4294967295ELNS1_3gpuE0ELNS1_3repE0EEENS1_48merge_mergepath_partition_config_static_selectorELNS0_4arch9wavefront6targetE1EEEvSL_
		.amdhsa_group_segment_fixed_size 0
		.amdhsa_private_segment_fixed_size 0
		.amdhsa_kernarg_size 40
		.amdhsa_user_sgpr_count 2
		.amdhsa_user_sgpr_dispatch_ptr 0
		.amdhsa_user_sgpr_queue_ptr 0
		.amdhsa_user_sgpr_kernarg_segment_ptr 1
		.amdhsa_user_sgpr_dispatch_id 0
		.amdhsa_user_sgpr_kernarg_preload_length 0
		.amdhsa_user_sgpr_kernarg_preload_offset 0
		.amdhsa_user_sgpr_private_segment_size 0
		.amdhsa_uses_dynamic_stack 0
		.amdhsa_enable_private_segment 0
		.amdhsa_system_sgpr_workgroup_id_x 1
		.amdhsa_system_sgpr_workgroup_id_y 0
		.amdhsa_system_sgpr_workgroup_id_z 0
		.amdhsa_system_sgpr_workgroup_info 0
		.amdhsa_system_vgpr_workitem_id 0
		.amdhsa_next_free_vgpr 1
		.amdhsa_next_free_sgpr 0
		.amdhsa_accum_offset 4
		.amdhsa_reserve_vcc 0
		.amdhsa_float_round_mode_32 0
		.amdhsa_float_round_mode_16_64 0
		.amdhsa_float_denorm_mode_32 3
		.amdhsa_float_denorm_mode_16_64 3
		.amdhsa_dx10_clamp 1
		.amdhsa_ieee_mode 1
		.amdhsa_fp16_overflow 0
		.amdhsa_tg_split 0
		.amdhsa_exception_fp_ieee_invalid_op 0
		.amdhsa_exception_fp_denorm_src 0
		.amdhsa_exception_fp_ieee_div_zero 0
		.amdhsa_exception_fp_ieee_overflow 0
		.amdhsa_exception_fp_ieee_underflow 0
		.amdhsa_exception_fp_ieee_inexact 0
		.amdhsa_exception_int_div_zero 0
	.end_amdhsa_kernel
	.section	.text._ZN7rocprim17ROCPRIM_400000_NS6detail17trampoline_kernelINS0_14default_configENS1_38merge_sort_block_merge_config_selectorIjNS0_10empty_typeEEEZZNS1_27merge_sort_block_merge_implIS3_N6thrust23THRUST_200600_302600_NS6detail15normal_iteratorINS9_10device_ptrIjEEEEPS5_jNS1_19radix_merge_compareILb0ELb0EjNS0_19identity_decomposerEEEEE10hipError_tT0_T1_T2_jT3_P12ihipStream_tbPNSt15iterator_traitsISK_E10value_typeEPNSQ_ISL_E10value_typeEPSM_NS1_7vsmem_tEENKUlT_SK_SL_SM_E_clIPjSE_SF_SF_EESJ_SZ_SK_SL_SM_EUlSZ_E_NS1_11comp_targetILNS1_3genE0ELNS1_11target_archE4294967295ELNS1_3gpuE0ELNS1_3repE0EEENS1_48merge_mergepath_partition_config_static_selectorELNS0_4arch9wavefront6targetE1EEEvSL_,"axG",@progbits,_ZN7rocprim17ROCPRIM_400000_NS6detail17trampoline_kernelINS0_14default_configENS1_38merge_sort_block_merge_config_selectorIjNS0_10empty_typeEEEZZNS1_27merge_sort_block_merge_implIS3_N6thrust23THRUST_200600_302600_NS6detail15normal_iteratorINS9_10device_ptrIjEEEEPS5_jNS1_19radix_merge_compareILb0ELb0EjNS0_19identity_decomposerEEEEE10hipError_tT0_T1_T2_jT3_P12ihipStream_tbPNSt15iterator_traitsISK_E10value_typeEPNSQ_ISL_E10value_typeEPSM_NS1_7vsmem_tEENKUlT_SK_SL_SM_E_clIPjSE_SF_SF_EESJ_SZ_SK_SL_SM_EUlSZ_E_NS1_11comp_targetILNS1_3genE0ELNS1_11target_archE4294967295ELNS1_3gpuE0ELNS1_3repE0EEENS1_48merge_mergepath_partition_config_static_selectorELNS0_4arch9wavefront6targetE1EEEvSL_,comdat
.Lfunc_end969:
	.size	_ZN7rocprim17ROCPRIM_400000_NS6detail17trampoline_kernelINS0_14default_configENS1_38merge_sort_block_merge_config_selectorIjNS0_10empty_typeEEEZZNS1_27merge_sort_block_merge_implIS3_N6thrust23THRUST_200600_302600_NS6detail15normal_iteratorINS9_10device_ptrIjEEEEPS5_jNS1_19radix_merge_compareILb0ELb0EjNS0_19identity_decomposerEEEEE10hipError_tT0_T1_T2_jT3_P12ihipStream_tbPNSt15iterator_traitsISK_E10value_typeEPNSQ_ISL_E10value_typeEPSM_NS1_7vsmem_tEENKUlT_SK_SL_SM_E_clIPjSE_SF_SF_EESJ_SZ_SK_SL_SM_EUlSZ_E_NS1_11comp_targetILNS1_3genE0ELNS1_11target_archE4294967295ELNS1_3gpuE0ELNS1_3repE0EEENS1_48merge_mergepath_partition_config_static_selectorELNS0_4arch9wavefront6targetE1EEEvSL_, .Lfunc_end969-_ZN7rocprim17ROCPRIM_400000_NS6detail17trampoline_kernelINS0_14default_configENS1_38merge_sort_block_merge_config_selectorIjNS0_10empty_typeEEEZZNS1_27merge_sort_block_merge_implIS3_N6thrust23THRUST_200600_302600_NS6detail15normal_iteratorINS9_10device_ptrIjEEEEPS5_jNS1_19radix_merge_compareILb0ELb0EjNS0_19identity_decomposerEEEEE10hipError_tT0_T1_T2_jT3_P12ihipStream_tbPNSt15iterator_traitsISK_E10value_typeEPNSQ_ISL_E10value_typeEPSM_NS1_7vsmem_tEENKUlT_SK_SL_SM_E_clIPjSE_SF_SF_EESJ_SZ_SK_SL_SM_EUlSZ_E_NS1_11comp_targetILNS1_3genE0ELNS1_11target_archE4294967295ELNS1_3gpuE0ELNS1_3repE0EEENS1_48merge_mergepath_partition_config_static_selectorELNS0_4arch9wavefront6targetE1EEEvSL_
                                        ; -- End function
	.section	.AMDGPU.csdata,"",@progbits
; Kernel info:
; codeLenInByte = 0
; NumSgprs: 6
; NumVgprs: 0
; NumAgprs: 0
; TotalNumVgprs: 0
; ScratchSize: 0
; MemoryBound: 0
; FloatMode: 240
; IeeeMode: 1
; LDSByteSize: 0 bytes/workgroup (compile time only)
; SGPRBlocks: 0
; VGPRBlocks: 0
; NumSGPRsForWavesPerEU: 6
; NumVGPRsForWavesPerEU: 1
; AccumOffset: 4
; Occupancy: 8
; WaveLimiterHint : 0
; COMPUTE_PGM_RSRC2:SCRATCH_EN: 0
; COMPUTE_PGM_RSRC2:USER_SGPR: 2
; COMPUTE_PGM_RSRC2:TRAP_HANDLER: 0
; COMPUTE_PGM_RSRC2:TGID_X_EN: 1
; COMPUTE_PGM_RSRC2:TGID_Y_EN: 0
; COMPUTE_PGM_RSRC2:TGID_Z_EN: 0
; COMPUTE_PGM_RSRC2:TIDIG_COMP_CNT: 0
; COMPUTE_PGM_RSRC3_GFX90A:ACCUM_OFFSET: 0
; COMPUTE_PGM_RSRC3_GFX90A:TG_SPLIT: 0
	.section	.text._ZN7rocprim17ROCPRIM_400000_NS6detail17trampoline_kernelINS0_14default_configENS1_38merge_sort_block_merge_config_selectorIjNS0_10empty_typeEEEZZNS1_27merge_sort_block_merge_implIS3_N6thrust23THRUST_200600_302600_NS6detail15normal_iteratorINS9_10device_ptrIjEEEEPS5_jNS1_19radix_merge_compareILb0ELb0EjNS0_19identity_decomposerEEEEE10hipError_tT0_T1_T2_jT3_P12ihipStream_tbPNSt15iterator_traitsISK_E10value_typeEPNSQ_ISL_E10value_typeEPSM_NS1_7vsmem_tEENKUlT_SK_SL_SM_E_clIPjSE_SF_SF_EESJ_SZ_SK_SL_SM_EUlSZ_E_NS1_11comp_targetILNS1_3genE10ELNS1_11target_archE1201ELNS1_3gpuE5ELNS1_3repE0EEENS1_48merge_mergepath_partition_config_static_selectorELNS0_4arch9wavefront6targetE1EEEvSL_,"axG",@progbits,_ZN7rocprim17ROCPRIM_400000_NS6detail17trampoline_kernelINS0_14default_configENS1_38merge_sort_block_merge_config_selectorIjNS0_10empty_typeEEEZZNS1_27merge_sort_block_merge_implIS3_N6thrust23THRUST_200600_302600_NS6detail15normal_iteratorINS9_10device_ptrIjEEEEPS5_jNS1_19radix_merge_compareILb0ELb0EjNS0_19identity_decomposerEEEEE10hipError_tT0_T1_T2_jT3_P12ihipStream_tbPNSt15iterator_traitsISK_E10value_typeEPNSQ_ISL_E10value_typeEPSM_NS1_7vsmem_tEENKUlT_SK_SL_SM_E_clIPjSE_SF_SF_EESJ_SZ_SK_SL_SM_EUlSZ_E_NS1_11comp_targetILNS1_3genE10ELNS1_11target_archE1201ELNS1_3gpuE5ELNS1_3repE0EEENS1_48merge_mergepath_partition_config_static_selectorELNS0_4arch9wavefront6targetE1EEEvSL_,comdat
	.protected	_ZN7rocprim17ROCPRIM_400000_NS6detail17trampoline_kernelINS0_14default_configENS1_38merge_sort_block_merge_config_selectorIjNS0_10empty_typeEEEZZNS1_27merge_sort_block_merge_implIS3_N6thrust23THRUST_200600_302600_NS6detail15normal_iteratorINS9_10device_ptrIjEEEEPS5_jNS1_19radix_merge_compareILb0ELb0EjNS0_19identity_decomposerEEEEE10hipError_tT0_T1_T2_jT3_P12ihipStream_tbPNSt15iterator_traitsISK_E10value_typeEPNSQ_ISL_E10value_typeEPSM_NS1_7vsmem_tEENKUlT_SK_SL_SM_E_clIPjSE_SF_SF_EESJ_SZ_SK_SL_SM_EUlSZ_E_NS1_11comp_targetILNS1_3genE10ELNS1_11target_archE1201ELNS1_3gpuE5ELNS1_3repE0EEENS1_48merge_mergepath_partition_config_static_selectorELNS0_4arch9wavefront6targetE1EEEvSL_ ; -- Begin function _ZN7rocprim17ROCPRIM_400000_NS6detail17trampoline_kernelINS0_14default_configENS1_38merge_sort_block_merge_config_selectorIjNS0_10empty_typeEEEZZNS1_27merge_sort_block_merge_implIS3_N6thrust23THRUST_200600_302600_NS6detail15normal_iteratorINS9_10device_ptrIjEEEEPS5_jNS1_19radix_merge_compareILb0ELb0EjNS0_19identity_decomposerEEEEE10hipError_tT0_T1_T2_jT3_P12ihipStream_tbPNSt15iterator_traitsISK_E10value_typeEPNSQ_ISL_E10value_typeEPSM_NS1_7vsmem_tEENKUlT_SK_SL_SM_E_clIPjSE_SF_SF_EESJ_SZ_SK_SL_SM_EUlSZ_E_NS1_11comp_targetILNS1_3genE10ELNS1_11target_archE1201ELNS1_3gpuE5ELNS1_3repE0EEENS1_48merge_mergepath_partition_config_static_selectorELNS0_4arch9wavefront6targetE1EEEvSL_
	.globl	_ZN7rocprim17ROCPRIM_400000_NS6detail17trampoline_kernelINS0_14default_configENS1_38merge_sort_block_merge_config_selectorIjNS0_10empty_typeEEEZZNS1_27merge_sort_block_merge_implIS3_N6thrust23THRUST_200600_302600_NS6detail15normal_iteratorINS9_10device_ptrIjEEEEPS5_jNS1_19radix_merge_compareILb0ELb0EjNS0_19identity_decomposerEEEEE10hipError_tT0_T1_T2_jT3_P12ihipStream_tbPNSt15iterator_traitsISK_E10value_typeEPNSQ_ISL_E10value_typeEPSM_NS1_7vsmem_tEENKUlT_SK_SL_SM_E_clIPjSE_SF_SF_EESJ_SZ_SK_SL_SM_EUlSZ_E_NS1_11comp_targetILNS1_3genE10ELNS1_11target_archE1201ELNS1_3gpuE5ELNS1_3repE0EEENS1_48merge_mergepath_partition_config_static_selectorELNS0_4arch9wavefront6targetE1EEEvSL_
	.p2align	8
	.type	_ZN7rocprim17ROCPRIM_400000_NS6detail17trampoline_kernelINS0_14default_configENS1_38merge_sort_block_merge_config_selectorIjNS0_10empty_typeEEEZZNS1_27merge_sort_block_merge_implIS3_N6thrust23THRUST_200600_302600_NS6detail15normal_iteratorINS9_10device_ptrIjEEEEPS5_jNS1_19radix_merge_compareILb0ELb0EjNS0_19identity_decomposerEEEEE10hipError_tT0_T1_T2_jT3_P12ihipStream_tbPNSt15iterator_traitsISK_E10value_typeEPNSQ_ISL_E10value_typeEPSM_NS1_7vsmem_tEENKUlT_SK_SL_SM_E_clIPjSE_SF_SF_EESJ_SZ_SK_SL_SM_EUlSZ_E_NS1_11comp_targetILNS1_3genE10ELNS1_11target_archE1201ELNS1_3gpuE5ELNS1_3repE0EEENS1_48merge_mergepath_partition_config_static_selectorELNS0_4arch9wavefront6targetE1EEEvSL_,@function
_ZN7rocprim17ROCPRIM_400000_NS6detail17trampoline_kernelINS0_14default_configENS1_38merge_sort_block_merge_config_selectorIjNS0_10empty_typeEEEZZNS1_27merge_sort_block_merge_implIS3_N6thrust23THRUST_200600_302600_NS6detail15normal_iteratorINS9_10device_ptrIjEEEEPS5_jNS1_19radix_merge_compareILb0ELb0EjNS0_19identity_decomposerEEEEE10hipError_tT0_T1_T2_jT3_P12ihipStream_tbPNSt15iterator_traitsISK_E10value_typeEPNSQ_ISL_E10value_typeEPSM_NS1_7vsmem_tEENKUlT_SK_SL_SM_E_clIPjSE_SF_SF_EESJ_SZ_SK_SL_SM_EUlSZ_E_NS1_11comp_targetILNS1_3genE10ELNS1_11target_archE1201ELNS1_3gpuE5ELNS1_3repE0EEENS1_48merge_mergepath_partition_config_static_selectorELNS0_4arch9wavefront6targetE1EEEvSL_: ; @_ZN7rocprim17ROCPRIM_400000_NS6detail17trampoline_kernelINS0_14default_configENS1_38merge_sort_block_merge_config_selectorIjNS0_10empty_typeEEEZZNS1_27merge_sort_block_merge_implIS3_N6thrust23THRUST_200600_302600_NS6detail15normal_iteratorINS9_10device_ptrIjEEEEPS5_jNS1_19radix_merge_compareILb0ELb0EjNS0_19identity_decomposerEEEEE10hipError_tT0_T1_T2_jT3_P12ihipStream_tbPNSt15iterator_traitsISK_E10value_typeEPNSQ_ISL_E10value_typeEPSM_NS1_7vsmem_tEENKUlT_SK_SL_SM_E_clIPjSE_SF_SF_EESJ_SZ_SK_SL_SM_EUlSZ_E_NS1_11comp_targetILNS1_3genE10ELNS1_11target_archE1201ELNS1_3gpuE5ELNS1_3repE0EEENS1_48merge_mergepath_partition_config_static_selectorELNS0_4arch9wavefront6targetE1EEEvSL_
; %bb.0:
	.section	.rodata,"a",@progbits
	.p2align	6, 0x0
	.amdhsa_kernel _ZN7rocprim17ROCPRIM_400000_NS6detail17trampoline_kernelINS0_14default_configENS1_38merge_sort_block_merge_config_selectorIjNS0_10empty_typeEEEZZNS1_27merge_sort_block_merge_implIS3_N6thrust23THRUST_200600_302600_NS6detail15normal_iteratorINS9_10device_ptrIjEEEEPS5_jNS1_19radix_merge_compareILb0ELb0EjNS0_19identity_decomposerEEEEE10hipError_tT0_T1_T2_jT3_P12ihipStream_tbPNSt15iterator_traitsISK_E10value_typeEPNSQ_ISL_E10value_typeEPSM_NS1_7vsmem_tEENKUlT_SK_SL_SM_E_clIPjSE_SF_SF_EESJ_SZ_SK_SL_SM_EUlSZ_E_NS1_11comp_targetILNS1_3genE10ELNS1_11target_archE1201ELNS1_3gpuE5ELNS1_3repE0EEENS1_48merge_mergepath_partition_config_static_selectorELNS0_4arch9wavefront6targetE1EEEvSL_
		.amdhsa_group_segment_fixed_size 0
		.amdhsa_private_segment_fixed_size 0
		.amdhsa_kernarg_size 40
		.amdhsa_user_sgpr_count 2
		.amdhsa_user_sgpr_dispatch_ptr 0
		.amdhsa_user_sgpr_queue_ptr 0
		.amdhsa_user_sgpr_kernarg_segment_ptr 1
		.amdhsa_user_sgpr_dispatch_id 0
		.amdhsa_user_sgpr_kernarg_preload_length 0
		.amdhsa_user_sgpr_kernarg_preload_offset 0
		.amdhsa_user_sgpr_private_segment_size 0
		.amdhsa_uses_dynamic_stack 0
		.amdhsa_enable_private_segment 0
		.amdhsa_system_sgpr_workgroup_id_x 1
		.amdhsa_system_sgpr_workgroup_id_y 0
		.amdhsa_system_sgpr_workgroup_id_z 0
		.amdhsa_system_sgpr_workgroup_info 0
		.amdhsa_system_vgpr_workitem_id 0
		.amdhsa_next_free_vgpr 1
		.amdhsa_next_free_sgpr 0
		.amdhsa_accum_offset 4
		.amdhsa_reserve_vcc 0
		.amdhsa_float_round_mode_32 0
		.amdhsa_float_round_mode_16_64 0
		.amdhsa_float_denorm_mode_32 3
		.amdhsa_float_denorm_mode_16_64 3
		.amdhsa_dx10_clamp 1
		.amdhsa_ieee_mode 1
		.amdhsa_fp16_overflow 0
		.amdhsa_tg_split 0
		.amdhsa_exception_fp_ieee_invalid_op 0
		.amdhsa_exception_fp_denorm_src 0
		.amdhsa_exception_fp_ieee_div_zero 0
		.amdhsa_exception_fp_ieee_overflow 0
		.amdhsa_exception_fp_ieee_underflow 0
		.amdhsa_exception_fp_ieee_inexact 0
		.amdhsa_exception_int_div_zero 0
	.end_amdhsa_kernel
	.section	.text._ZN7rocprim17ROCPRIM_400000_NS6detail17trampoline_kernelINS0_14default_configENS1_38merge_sort_block_merge_config_selectorIjNS0_10empty_typeEEEZZNS1_27merge_sort_block_merge_implIS3_N6thrust23THRUST_200600_302600_NS6detail15normal_iteratorINS9_10device_ptrIjEEEEPS5_jNS1_19radix_merge_compareILb0ELb0EjNS0_19identity_decomposerEEEEE10hipError_tT0_T1_T2_jT3_P12ihipStream_tbPNSt15iterator_traitsISK_E10value_typeEPNSQ_ISL_E10value_typeEPSM_NS1_7vsmem_tEENKUlT_SK_SL_SM_E_clIPjSE_SF_SF_EESJ_SZ_SK_SL_SM_EUlSZ_E_NS1_11comp_targetILNS1_3genE10ELNS1_11target_archE1201ELNS1_3gpuE5ELNS1_3repE0EEENS1_48merge_mergepath_partition_config_static_selectorELNS0_4arch9wavefront6targetE1EEEvSL_,"axG",@progbits,_ZN7rocprim17ROCPRIM_400000_NS6detail17trampoline_kernelINS0_14default_configENS1_38merge_sort_block_merge_config_selectorIjNS0_10empty_typeEEEZZNS1_27merge_sort_block_merge_implIS3_N6thrust23THRUST_200600_302600_NS6detail15normal_iteratorINS9_10device_ptrIjEEEEPS5_jNS1_19radix_merge_compareILb0ELb0EjNS0_19identity_decomposerEEEEE10hipError_tT0_T1_T2_jT3_P12ihipStream_tbPNSt15iterator_traitsISK_E10value_typeEPNSQ_ISL_E10value_typeEPSM_NS1_7vsmem_tEENKUlT_SK_SL_SM_E_clIPjSE_SF_SF_EESJ_SZ_SK_SL_SM_EUlSZ_E_NS1_11comp_targetILNS1_3genE10ELNS1_11target_archE1201ELNS1_3gpuE5ELNS1_3repE0EEENS1_48merge_mergepath_partition_config_static_selectorELNS0_4arch9wavefront6targetE1EEEvSL_,comdat
.Lfunc_end970:
	.size	_ZN7rocprim17ROCPRIM_400000_NS6detail17trampoline_kernelINS0_14default_configENS1_38merge_sort_block_merge_config_selectorIjNS0_10empty_typeEEEZZNS1_27merge_sort_block_merge_implIS3_N6thrust23THRUST_200600_302600_NS6detail15normal_iteratorINS9_10device_ptrIjEEEEPS5_jNS1_19radix_merge_compareILb0ELb0EjNS0_19identity_decomposerEEEEE10hipError_tT0_T1_T2_jT3_P12ihipStream_tbPNSt15iterator_traitsISK_E10value_typeEPNSQ_ISL_E10value_typeEPSM_NS1_7vsmem_tEENKUlT_SK_SL_SM_E_clIPjSE_SF_SF_EESJ_SZ_SK_SL_SM_EUlSZ_E_NS1_11comp_targetILNS1_3genE10ELNS1_11target_archE1201ELNS1_3gpuE5ELNS1_3repE0EEENS1_48merge_mergepath_partition_config_static_selectorELNS0_4arch9wavefront6targetE1EEEvSL_, .Lfunc_end970-_ZN7rocprim17ROCPRIM_400000_NS6detail17trampoline_kernelINS0_14default_configENS1_38merge_sort_block_merge_config_selectorIjNS0_10empty_typeEEEZZNS1_27merge_sort_block_merge_implIS3_N6thrust23THRUST_200600_302600_NS6detail15normal_iteratorINS9_10device_ptrIjEEEEPS5_jNS1_19radix_merge_compareILb0ELb0EjNS0_19identity_decomposerEEEEE10hipError_tT0_T1_T2_jT3_P12ihipStream_tbPNSt15iterator_traitsISK_E10value_typeEPNSQ_ISL_E10value_typeEPSM_NS1_7vsmem_tEENKUlT_SK_SL_SM_E_clIPjSE_SF_SF_EESJ_SZ_SK_SL_SM_EUlSZ_E_NS1_11comp_targetILNS1_3genE10ELNS1_11target_archE1201ELNS1_3gpuE5ELNS1_3repE0EEENS1_48merge_mergepath_partition_config_static_selectorELNS0_4arch9wavefront6targetE1EEEvSL_
                                        ; -- End function
	.section	.AMDGPU.csdata,"",@progbits
; Kernel info:
; codeLenInByte = 0
; NumSgprs: 6
; NumVgprs: 0
; NumAgprs: 0
; TotalNumVgprs: 0
; ScratchSize: 0
; MemoryBound: 0
; FloatMode: 240
; IeeeMode: 1
; LDSByteSize: 0 bytes/workgroup (compile time only)
; SGPRBlocks: 0
; VGPRBlocks: 0
; NumSGPRsForWavesPerEU: 6
; NumVGPRsForWavesPerEU: 1
; AccumOffset: 4
; Occupancy: 8
; WaveLimiterHint : 0
; COMPUTE_PGM_RSRC2:SCRATCH_EN: 0
; COMPUTE_PGM_RSRC2:USER_SGPR: 2
; COMPUTE_PGM_RSRC2:TRAP_HANDLER: 0
; COMPUTE_PGM_RSRC2:TGID_X_EN: 1
; COMPUTE_PGM_RSRC2:TGID_Y_EN: 0
; COMPUTE_PGM_RSRC2:TGID_Z_EN: 0
; COMPUTE_PGM_RSRC2:TIDIG_COMP_CNT: 0
; COMPUTE_PGM_RSRC3_GFX90A:ACCUM_OFFSET: 0
; COMPUTE_PGM_RSRC3_GFX90A:TG_SPLIT: 0
	.section	.text._ZN7rocprim17ROCPRIM_400000_NS6detail17trampoline_kernelINS0_14default_configENS1_38merge_sort_block_merge_config_selectorIjNS0_10empty_typeEEEZZNS1_27merge_sort_block_merge_implIS3_N6thrust23THRUST_200600_302600_NS6detail15normal_iteratorINS9_10device_ptrIjEEEEPS5_jNS1_19radix_merge_compareILb0ELb0EjNS0_19identity_decomposerEEEEE10hipError_tT0_T1_T2_jT3_P12ihipStream_tbPNSt15iterator_traitsISK_E10value_typeEPNSQ_ISL_E10value_typeEPSM_NS1_7vsmem_tEENKUlT_SK_SL_SM_E_clIPjSE_SF_SF_EESJ_SZ_SK_SL_SM_EUlSZ_E_NS1_11comp_targetILNS1_3genE5ELNS1_11target_archE942ELNS1_3gpuE9ELNS1_3repE0EEENS1_48merge_mergepath_partition_config_static_selectorELNS0_4arch9wavefront6targetE1EEEvSL_,"axG",@progbits,_ZN7rocprim17ROCPRIM_400000_NS6detail17trampoline_kernelINS0_14default_configENS1_38merge_sort_block_merge_config_selectorIjNS0_10empty_typeEEEZZNS1_27merge_sort_block_merge_implIS3_N6thrust23THRUST_200600_302600_NS6detail15normal_iteratorINS9_10device_ptrIjEEEEPS5_jNS1_19radix_merge_compareILb0ELb0EjNS0_19identity_decomposerEEEEE10hipError_tT0_T1_T2_jT3_P12ihipStream_tbPNSt15iterator_traitsISK_E10value_typeEPNSQ_ISL_E10value_typeEPSM_NS1_7vsmem_tEENKUlT_SK_SL_SM_E_clIPjSE_SF_SF_EESJ_SZ_SK_SL_SM_EUlSZ_E_NS1_11comp_targetILNS1_3genE5ELNS1_11target_archE942ELNS1_3gpuE9ELNS1_3repE0EEENS1_48merge_mergepath_partition_config_static_selectorELNS0_4arch9wavefront6targetE1EEEvSL_,comdat
	.protected	_ZN7rocprim17ROCPRIM_400000_NS6detail17trampoline_kernelINS0_14default_configENS1_38merge_sort_block_merge_config_selectorIjNS0_10empty_typeEEEZZNS1_27merge_sort_block_merge_implIS3_N6thrust23THRUST_200600_302600_NS6detail15normal_iteratorINS9_10device_ptrIjEEEEPS5_jNS1_19radix_merge_compareILb0ELb0EjNS0_19identity_decomposerEEEEE10hipError_tT0_T1_T2_jT3_P12ihipStream_tbPNSt15iterator_traitsISK_E10value_typeEPNSQ_ISL_E10value_typeEPSM_NS1_7vsmem_tEENKUlT_SK_SL_SM_E_clIPjSE_SF_SF_EESJ_SZ_SK_SL_SM_EUlSZ_E_NS1_11comp_targetILNS1_3genE5ELNS1_11target_archE942ELNS1_3gpuE9ELNS1_3repE0EEENS1_48merge_mergepath_partition_config_static_selectorELNS0_4arch9wavefront6targetE1EEEvSL_ ; -- Begin function _ZN7rocprim17ROCPRIM_400000_NS6detail17trampoline_kernelINS0_14default_configENS1_38merge_sort_block_merge_config_selectorIjNS0_10empty_typeEEEZZNS1_27merge_sort_block_merge_implIS3_N6thrust23THRUST_200600_302600_NS6detail15normal_iteratorINS9_10device_ptrIjEEEEPS5_jNS1_19radix_merge_compareILb0ELb0EjNS0_19identity_decomposerEEEEE10hipError_tT0_T1_T2_jT3_P12ihipStream_tbPNSt15iterator_traitsISK_E10value_typeEPNSQ_ISL_E10value_typeEPSM_NS1_7vsmem_tEENKUlT_SK_SL_SM_E_clIPjSE_SF_SF_EESJ_SZ_SK_SL_SM_EUlSZ_E_NS1_11comp_targetILNS1_3genE5ELNS1_11target_archE942ELNS1_3gpuE9ELNS1_3repE0EEENS1_48merge_mergepath_partition_config_static_selectorELNS0_4arch9wavefront6targetE1EEEvSL_
	.globl	_ZN7rocprim17ROCPRIM_400000_NS6detail17trampoline_kernelINS0_14default_configENS1_38merge_sort_block_merge_config_selectorIjNS0_10empty_typeEEEZZNS1_27merge_sort_block_merge_implIS3_N6thrust23THRUST_200600_302600_NS6detail15normal_iteratorINS9_10device_ptrIjEEEEPS5_jNS1_19radix_merge_compareILb0ELb0EjNS0_19identity_decomposerEEEEE10hipError_tT0_T1_T2_jT3_P12ihipStream_tbPNSt15iterator_traitsISK_E10value_typeEPNSQ_ISL_E10value_typeEPSM_NS1_7vsmem_tEENKUlT_SK_SL_SM_E_clIPjSE_SF_SF_EESJ_SZ_SK_SL_SM_EUlSZ_E_NS1_11comp_targetILNS1_3genE5ELNS1_11target_archE942ELNS1_3gpuE9ELNS1_3repE0EEENS1_48merge_mergepath_partition_config_static_selectorELNS0_4arch9wavefront6targetE1EEEvSL_
	.p2align	8
	.type	_ZN7rocprim17ROCPRIM_400000_NS6detail17trampoline_kernelINS0_14default_configENS1_38merge_sort_block_merge_config_selectorIjNS0_10empty_typeEEEZZNS1_27merge_sort_block_merge_implIS3_N6thrust23THRUST_200600_302600_NS6detail15normal_iteratorINS9_10device_ptrIjEEEEPS5_jNS1_19radix_merge_compareILb0ELb0EjNS0_19identity_decomposerEEEEE10hipError_tT0_T1_T2_jT3_P12ihipStream_tbPNSt15iterator_traitsISK_E10value_typeEPNSQ_ISL_E10value_typeEPSM_NS1_7vsmem_tEENKUlT_SK_SL_SM_E_clIPjSE_SF_SF_EESJ_SZ_SK_SL_SM_EUlSZ_E_NS1_11comp_targetILNS1_3genE5ELNS1_11target_archE942ELNS1_3gpuE9ELNS1_3repE0EEENS1_48merge_mergepath_partition_config_static_selectorELNS0_4arch9wavefront6targetE1EEEvSL_,@function
_ZN7rocprim17ROCPRIM_400000_NS6detail17trampoline_kernelINS0_14default_configENS1_38merge_sort_block_merge_config_selectorIjNS0_10empty_typeEEEZZNS1_27merge_sort_block_merge_implIS3_N6thrust23THRUST_200600_302600_NS6detail15normal_iteratorINS9_10device_ptrIjEEEEPS5_jNS1_19radix_merge_compareILb0ELb0EjNS0_19identity_decomposerEEEEE10hipError_tT0_T1_T2_jT3_P12ihipStream_tbPNSt15iterator_traitsISK_E10value_typeEPNSQ_ISL_E10value_typeEPSM_NS1_7vsmem_tEENKUlT_SK_SL_SM_E_clIPjSE_SF_SF_EESJ_SZ_SK_SL_SM_EUlSZ_E_NS1_11comp_targetILNS1_3genE5ELNS1_11target_archE942ELNS1_3gpuE9ELNS1_3repE0EEENS1_48merge_mergepath_partition_config_static_selectorELNS0_4arch9wavefront6targetE1EEEvSL_: ; @_ZN7rocprim17ROCPRIM_400000_NS6detail17trampoline_kernelINS0_14default_configENS1_38merge_sort_block_merge_config_selectorIjNS0_10empty_typeEEEZZNS1_27merge_sort_block_merge_implIS3_N6thrust23THRUST_200600_302600_NS6detail15normal_iteratorINS9_10device_ptrIjEEEEPS5_jNS1_19radix_merge_compareILb0ELb0EjNS0_19identity_decomposerEEEEE10hipError_tT0_T1_T2_jT3_P12ihipStream_tbPNSt15iterator_traitsISK_E10value_typeEPNSQ_ISL_E10value_typeEPSM_NS1_7vsmem_tEENKUlT_SK_SL_SM_E_clIPjSE_SF_SF_EESJ_SZ_SK_SL_SM_EUlSZ_E_NS1_11comp_targetILNS1_3genE5ELNS1_11target_archE942ELNS1_3gpuE9ELNS1_3repE0EEENS1_48merge_mergepath_partition_config_static_selectorELNS0_4arch9wavefront6targetE1EEEvSL_
; %bb.0:
	s_load_dword s3, s[0:1], 0x0
	v_lshl_or_b32 v0, s2, 7, v0
	s_waitcnt lgkmcnt(0)
	v_cmp_gt_u32_e32 vcc, s3, v0
	s_and_saveexec_b64 s[2:3], vcc
	s_cbranch_execz .LBB971_6
; %bb.1:
	s_load_dwordx2 s[4:5], s[0:1], 0x4
	s_load_dwordx2 s[2:3], s[0:1], 0x20
	s_waitcnt lgkmcnt(0)
	s_lshr_b32 s6, s4, 9
	s_and_b32 s6, s6, 0x7ffffe
	s_add_i32 s7, s6, -1
	s_sub_i32 s6, 0, s6
	v_and_b32_e32 v1, s6, v0
	v_lshlrev_b32_e32 v1, 10, v1
	v_min_u32_e32 v2, s5, v1
	v_add_u32_e32 v1, s4, v1
	v_min_u32_e32 v4, s5, v1
	v_add_u32_e32 v1, s4, v4
	v_and_b32_e32 v3, s7, v0
	v_min_u32_e32 v1, s5, v1
	v_sub_u32_e32 v5, v1, v2
	v_lshlrev_b32_e32 v3, 10, v3
	v_min_u32_e32 v10, v5, v3
	v_sub_u32_e32 v3, v4, v2
	v_sub_u32_e32 v1, v1, v4
	v_sub_u32_e64 v1, v10, v1 clamp
	v_min_u32_e32 v11, v10, v3
	v_cmp_lt_u32_e32 vcc, v1, v11
	s_and_saveexec_b64 s[4:5], vcc
	s_cbranch_execz .LBB971_5
; %bb.2:
	s_load_dwordx2 s[0:1], s[0:1], 0x10
	v_mov_b32_e32 v5, 0
	v_mov_b32_e32 v3, v5
	s_waitcnt lgkmcnt(0)
	v_lshl_add_u64 v[6:7], v[2:3], 2, s[0:1]
	v_lshl_add_u64 v[8:9], v[4:5], 2, s[0:1]
	s_mov_b64 s[0:1], 0
.LBB971_3:                              ; =>This Inner Loop Header: Depth=1
	v_add_u32_e32 v3, v11, v1
	v_lshrrev_b32_e32 v4, 1, v3
	v_mov_b32_e32 v13, v5
	v_xad_u32 v12, v4, -1, v10
	v_lshl_add_u64 v[14:15], v[4:5], 2, v[6:7]
	v_lshl_add_u64 v[12:13], v[12:13], 2, v[8:9]
	global_load_dword v3, v[14:15], off
	global_load_dword v16, v[12:13], off
	v_add_u32_e32 v12, 1, v4
	s_waitcnt vmcnt(0)
	v_cmp_gt_u32_e32 vcc, v3, v16
	s_nop 1
	v_cndmask_b32_e32 v11, v11, v4, vcc
	v_cndmask_b32_e32 v1, v12, v1, vcc
	v_cmp_ge_u32_e32 vcc, v1, v11
	s_or_b64 s[0:1], vcc, s[0:1]
	s_andn2_b64 exec, exec, s[0:1]
	s_cbranch_execnz .LBB971_3
; %bb.4:
	s_or_b64 exec, exec, s[0:1]
.LBB971_5:
	s_or_b64 exec, exec, s[4:5]
	v_add_u32_e32 v2, v1, v2
	v_mov_b32_e32 v1, 0
	v_lshl_add_u64 v[0:1], v[0:1], 2, s[2:3]
	global_store_dword v[0:1], v2, off
.LBB971_6:
	s_endpgm
	.section	.rodata,"a",@progbits
	.p2align	6, 0x0
	.amdhsa_kernel _ZN7rocprim17ROCPRIM_400000_NS6detail17trampoline_kernelINS0_14default_configENS1_38merge_sort_block_merge_config_selectorIjNS0_10empty_typeEEEZZNS1_27merge_sort_block_merge_implIS3_N6thrust23THRUST_200600_302600_NS6detail15normal_iteratorINS9_10device_ptrIjEEEEPS5_jNS1_19radix_merge_compareILb0ELb0EjNS0_19identity_decomposerEEEEE10hipError_tT0_T1_T2_jT3_P12ihipStream_tbPNSt15iterator_traitsISK_E10value_typeEPNSQ_ISL_E10value_typeEPSM_NS1_7vsmem_tEENKUlT_SK_SL_SM_E_clIPjSE_SF_SF_EESJ_SZ_SK_SL_SM_EUlSZ_E_NS1_11comp_targetILNS1_3genE5ELNS1_11target_archE942ELNS1_3gpuE9ELNS1_3repE0EEENS1_48merge_mergepath_partition_config_static_selectorELNS0_4arch9wavefront6targetE1EEEvSL_
		.amdhsa_group_segment_fixed_size 0
		.amdhsa_private_segment_fixed_size 0
		.amdhsa_kernarg_size 40
		.amdhsa_user_sgpr_count 2
		.amdhsa_user_sgpr_dispatch_ptr 0
		.amdhsa_user_sgpr_queue_ptr 0
		.amdhsa_user_sgpr_kernarg_segment_ptr 1
		.amdhsa_user_sgpr_dispatch_id 0
		.amdhsa_user_sgpr_kernarg_preload_length 0
		.amdhsa_user_sgpr_kernarg_preload_offset 0
		.amdhsa_user_sgpr_private_segment_size 0
		.amdhsa_uses_dynamic_stack 0
		.amdhsa_enable_private_segment 0
		.amdhsa_system_sgpr_workgroup_id_x 1
		.amdhsa_system_sgpr_workgroup_id_y 0
		.amdhsa_system_sgpr_workgroup_id_z 0
		.amdhsa_system_sgpr_workgroup_info 0
		.amdhsa_system_vgpr_workitem_id 0
		.amdhsa_next_free_vgpr 17
		.amdhsa_next_free_sgpr 8
		.amdhsa_accum_offset 20
		.amdhsa_reserve_vcc 1
		.amdhsa_float_round_mode_32 0
		.amdhsa_float_round_mode_16_64 0
		.amdhsa_float_denorm_mode_32 3
		.amdhsa_float_denorm_mode_16_64 3
		.amdhsa_dx10_clamp 1
		.amdhsa_ieee_mode 1
		.amdhsa_fp16_overflow 0
		.amdhsa_tg_split 0
		.amdhsa_exception_fp_ieee_invalid_op 0
		.amdhsa_exception_fp_denorm_src 0
		.amdhsa_exception_fp_ieee_div_zero 0
		.amdhsa_exception_fp_ieee_overflow 0
		.amdhsa_exception_fp_ieee_underflow 0
		.amdhsa_exception_fp_ieee_inexact 0
		.amdhsa_exception_int_div_zero 0
	.end_amdhsa_kernel
	.section	.text._ZN7rocprim17ROCPRIM_400000_NS6detail17trampoline_kernelINS0_14default_configENS1_38merge_sort_block_merge_config_selectorIjNS0_10empty_typeEEEZZNS1_27merge_sort_block_merge_implIS3_N6thrust23THRUST_200600_302600_NS6detail15normal_iteratorINS9_10device_ptrIjEEEEPS5_jNS1_19radix_merge_compareILb0ELb0EjNS0_19identity_decomposerEEEEE10hipError_tT0_T1_T2_jT3_P12ihipStream_tbPNSt15iterator_traitsISK_E10value_typeEPNSQ_ISL_E10value_typeEPSM_NS1_7vsmem_tEENKUlT_SK_SL_SM_E_clIPjSE_SF_SF_EESJ_SZ_SK_SL_SM_EUlSZ_E_NS1_11comp_targetILNS1_3genE5ELNS1_11target_archE942ELNS1_3gpuE9ELNS1_3repE0EEENS1_48merge_mergepath_partition_config_static_selectorELNS0_4arch9wavefront6targetE1EEEvSL_,"axG",@progbits,_ZN7rocprim17ROCPRIM_400000_NS6detail17trampoline_kernelINS0_14default_configENS1_38merge_sort_block_merge_config_selectorIjNS0_10empty_typeEEEZZNS1_27merge_sort_block_merge_implIS3_N6thrust23THRUST_200600_302600_NS6detail15normal_iteratorINS9_10device_ptrIjEEEEPS5_jNS1_19radix_merge_compareILb0ELb0EjNS0_19identity_decomposerEEEEE10hipError_tT0_T1_T2_jT3_P12ihipStream_tbPNSt15iterator_traitsISK_E10value_typeEPNSQ_ISL_E10value_typeEPSM_NS1_7vsmem_tEENKUlT_SK_SL_SM_E_clIPjSE_SF_SF_EESJ_SZ_SK_SL_SM_EUlSZ_E_NS1_11comp_targetILNS1_3genE5ELNS1_11target_archE942ELNS1_3gpuE9ELNS1_3repE0EEENS1_48merge_mergepath_partition_config_static_selectorELNS0_4arch9wavefront6targetE1EEEvSL_,comdat
.Lfunc_end971:
	.size	_ZN7rocprim17ROCPRIM_400000_NS6detail17trampoline_kernelINS0_14default_configENS1_38merge_sort_block_merge_config_selectorIjNS0_10empty_typeEEEZZNS1_27merge_sort_block_merge_implIS3_N6thrust23THRUST_200600_302600_NS6detail15normal_iteratorINS9_10device_ptrIjEEEEPS5_jNS1_19radix_merge_compareILb0ELb0EjNS0_19identity_decomposerEEEEE10hipError_tT0_T1_T2_jT3_P12ihipStream_tbPNSt15iterator_traitsISK_E10value_typeEPNSQ_ISL_E10value_typeEPSM_NS1_7vsmem_tEENKUlT_SK_SL_SM_E_clIPjSE_SF_SF_EESJ_SZ_SK_SL_SM_EUlSZ_E_NS1_11comp_targetILNS1_3genE5ELNS1_11target_archE942ELNS1_3gpuE9ELNS1_3repE0EEENS1_48merge_mergepath_partition_config_static_selectorELNS0_4arch9wavefront6targetE1EEEvSL_, .Lfunc_end971-_ZN7rocprim17ROCPRIM_400000_NS6detail17trampoline_kernelINS0_14default_configENS1_38merge_sort_block_merge_config_selectorIjNS0_10empty_typeEEEZZNS1_27merge_sort_block_merge_implIS3_N6thrust23THRUST_200600_302600_NS6detail15normal_iteratorINS9_10device_ptrIjEEEEPS5_jNS1_19radix_merge_compareILb0ELb0EjNS0_19identity_decomposerEEEEE10hipError_tT0_T1_T2_jT3_P12ihipStream_tbPNSt15iterator_traitsISK_E10value_typeEPNSQ_ISL_E10value_typeEPSM_NS1_7vsmem_tEENKUlT_SK_SL_SM_E_clIPjSE_SF_SF_EESJ_SZ_SK_SL_SM_EUlSZ_E_NS1_11comp_targetILNS1_3genE5ELNS1_11target_archE942ELNS1_3gpuE9ELNS1_3repE0EEENS1_48merge_mergepath_partition_config_static_selectorELNS0_4arch9wavefront6targetE1EEEvSL_
                                        ; -- End function
	.section	.AMDGPU.csdata,"",@progbits
; Kernel info:
; codeLenInByte = 316
; NumSgprs: 14
; NumVgprs: 17
; NumAgprs: 0
; TotalNumVgprs: 17
; ScratchSize: 0
; MemoryBound: 0
; FloatMode: 240
; IeeeMode: 1
; LDSByteSize: 0 bytes/workgroup (compile time only)
; SGPRBlocks: 1
; VGPRBlocks: 2
; NumSGPRsForWavesPerEU: 14
; NumVGPRsForWavesPerEU: 17
; AccumOffset: 20
; Occupancy: 8
; WaveLimiterHint : 0
; COMPUTE_PGM_RSRC2:SCRATCH_EN: 0
; COMPUTE_PGM_RSRC2:USER_SGPR: 2
; COMPUTE_PGM_RSRC2:TRAP_HANDLER: 0
; COMPUTE_PGM_RSRC2:TGID_X_EN: 1
; COMPUTE_PGM_RSRC2:TGID_Y_EN: 0
; COMPUTE_PGM_RSRC2:TGID_Z_EN: 0
; COMPUTE_PGM_RSRC2:TIDIG_COMP_CNT: 0
; COMPUTE_PGM_RSRC3_GFX90A:ACCUM_OFFSET: 4
; COMPUTE_PGM_RSRC3_GFX90A:TG_SPLIT: 0
	.section	.text._ZN7rocprim17ROCPRIM_400000_NS6detail17trampoline_kernelINS0_14default_configENS1_38merge_sort_block_merge_config_selectorIjNS0_10empty_typeEEEZZNS1_27merge_sort_block_merge_implIS3_N6thrust23THRUST_200600_302600_NS6detail15normal_iteratorINS9_10device_ptrIjEEEEPS5_jNS1_19radix_merge_compareILb0ELb0EjNS0_19identity_decomposerEEEEE10hipError_tT0_T1_T2_jT3_P12ihipStream_tbPNSt15iterator_traitsISK_E10value_typeEPNSQ_ISL_E10value_typeEPSM_NS1_7vsmem_tEENKUlT_SK_SL_SM_E_clIPjSE_SF_SF_EESJ_SZ_SK_SL_SM_EUlSZ_E_NS1_11comp_targetILNS1_3genE4ELNS1_11target_archE910ELNS1_3gpuE8ELNS1_3repE0EEENS1_48merge_mergepath_partition_config_static_selectorELNS0_4arch9wavefront6targetE1EEEvSL_,"axG",@progbits,_ZN7rocprim17ROCPRIM_400000_NS6detail17trampoline_kernelINS0_14default_configENS1_38merge_sort_block_merge_config_selectorIjNS0_10empty_typeEEEZZNS1_27merge_sort_block_merge_implIS3_N6thrust23THRUST_200600_302600_NS6detail15normal_iteratorINS9_10device_ptrIjEEEEPS5_jNS1_19radix_merge_compareILb0ELb0EjNS0_19identity_decomposerEEEEE10hipError_tT0_T1_T2_jT3_P12ihipStream_tbPNSt15iterator_traitsISK_E10value_typeEPNSQ_ISL_E10value_typeEPSM_NS1_7vsmem_tEENKUlT_SK_SL_SM_E_clIPjSE_SF_SF_EESJ_SZ_SK_SL_SM_EUlSZ_E_NS1_11comp_targetILNS1_3genE4ELNS1_11target_archE910ELNS1_3gpuE8ELNS1_3repE0EEENS1_48merge_mergepath_partition_config_static_selectorELNS0_4arch9wavefront6targetE1EEEvSL_,comdat
	.protected	_ZN7rocprim17ROCPRIM_400000_NS6detail17trampoline_kernelINS0_14default_configENS1_38merge_sort_block_merge_config_selectorIjNS0_10empty_typeEEEZZNS1_27merge_sort_block_merge_implIS3_N6thrust23THRUST_200600_302600_NS6detail15normal_iteratorINS9_10device_ptrIjEEEEPS5_jNS1_19radix_merge_compareILb0ELb0EjNS0_19identity_decomposerEEEEE10hipError_tT0_T1_T2_jT3_P12ihipStream_tbPNSt15iterator_traitsISK_E10value_typeEPNSQ_ISL_E10value_typeEPSM_NS1_7vsmem_tEENKUlT_SK_SL_SM_E_clIPjSE_SF_SF_EESJ_SZ_SK_SL_SM_EUlSZ_E_NS1_11comp_targetILNS1_3genE4ELNS1_11target_archE910ELNS1_3gpuE8ELNS1_3repE0EEENS1_48merge_mergepath_partition_config_static_selectorELNS0_4arch9wavefront6targetE1EEEvSL_ ; -- Begin function _ZN7rocprim17ROCPRIM_400000_NS6detail17trampoline_kernelINS0_14default_configENS1_38merge_sort_block_merge_config_selectorIjNS0_10empty_typeEEEZZNS1_27merge_sort_block_merge_implIS3_N6thrust23THRUST_200600_302600_NS6detail15normal_iteratorINS9_10device_ptrIjEEEEPS5_jNS1_19radix_merge_compareILb0ELb0EjNS0_19identity_decomposerEEEEE10hipError_tT0_T1_T2_jT3_P12ihipStream_tbPNSt15iterator_traitsISK_E10value_typeEPNSQ_ISL_E10value_typeEPSM_NS1_7vsmem_tEENKUlT_SK_SL_SM_E_clIPjSE_SF_SF_EESJ_SZ_SK_SL_SM_EUlSZ_E_NS1_11comp_targetILNS1_3genE4ELNS1_11target_archE910ELNS1_3gpuE8ELNS1_3repE0EEENS1_48merge_mergepath_partition_config_static_selectorELNS0_4arch9wavefront6targetE1EEEvSL_
	.globl	_ZN7rocprim17ROCPRIM_400000_NS6detail17trampoline_kernelINS0_14default_configENS1_38merge_sort_block_merge_config_selectorIjNS0_10empty_typeEEEZZNS1_27merge_sort_block_merge_implIS3_N6thrust23THRUST_200600_302600_NS6detail15normal_iteratorINS9_10device_ptrIjEEEEPS5_jNS1_19radix_merge_compareILb0ELb0EjNS0_19identity_decomposerEEEEE10hipError_tT0_T1_T2_jT3_P12ihipStream_tbPNSt15iterator_traitsISK_E10value_typeEPNSQ_ISL_E10value_typeEPSM_NS1_7vsmem_tEENKUlT_SK_SL_SM_E_clIPjSE_SF_SF_EESJ_SZ_SK_SL_SM_EUlSZ_E_NS1_11comp_targetILNS1_3genE4ELNS1_11target_archE910ELNS1_3gpuE8ELNS1_3repE0EEENS1_48merge_mergepath_partition_config_static_selectorELNS0_4arch9wavefront6targetE1EEEvSL_
	.p2align	8
	.type	_ZN7rocprim17ROCPRIM_400000_NS6detail17trampoline_kernelINS0_14default_configENS1_38merge_sort_block_merge_config_selectorIjNS0_10empty_typeEEEZZNS1_27merge_sort_block_merge_implIS3_N6thrust23THRUST_200600_302600_NS6detail15normal_iteratorINS9_10device_ptrIjEEEEPS5_jNS1_19radix_merge_compareILb0ELb0EjNS0_19identity_decomposerEEEEE10hipError_tT0_T1_T2_jT3_P12ihipStream_tbPNSt15iterator_traitsISK_E10value_typeEPNSQ_ISL_E10value_typeEPSM_NS1_7vsmem_tEENKUlT_SK_SL_SM_E_clIPjSE_SF_SF_EESJ_SZ_SK_SL_SM_EUlSZ_E_NS1_11comp_targetILNS1_3genE4ELNS1_11target_archE910ELNS1_3gpuE8ELNS1_3repE0EEENS1_48merge_mergepath_partition_config_static_selectorELNS0_4arch9wavefront6targetE1EEEvSL_,@function
_ZN7rocprim17ROCPRIM_400000_NS6detail17trampoline_kernelINS0_14default_configENS1_38merge_sort_block_merge_config_selectorIjNS0_10empty_typeEEEZZNS1_27merge_sort_block_merge_implIS3_N6thrust23THRUST_200600_302600_NS6detail15normal_iteratorINS9_10device_ptrIjEEEEPS5_jNS1_19radix_merge_compareILb0ELb0EjNS0_19identity_decomposerEEEEE10hipError_tT0_T1_T2_jT3_P12ihipStream_tbPNSt15iterator_traitsISK_E10value_typeEPNSQ_ISL_E10value_typeEPSM_NS1_7vsmem_tEENKUlT_SK_SL_SM_E_clIPjSE_SF_SF_EESJ_SZ_SK_SL_SM_EUlSZ_E_NS1_11comp_targetILNS1_3genE4ELNS1_11target_archE910ELNS1_3gpuE8ELNS1_3repE0EEENS1_48merge_mergepath_partition_config_static_selectorELNS0_4arch9wavefront6targetE1EEEvSL_: ; @_ZN7rocprim17ROCPRIM_400000_NS6detail17trampoline_kernelINS0_14default_configENS1_38merge_sort_block_merge_config_selectorIjNS0_10empty_typeEEEZZNS1_27merge_sort_block_merge_implIS3_N6thrust23THRUST_200600_302600_NS6detail15normal_iteratorINS9_10device_ptrIjEEEEPS5_jNS1_19radix_merge_compareILb0ELb0EjNS0_19identity_decomposerEEEEE10hipError_tT0_T1_T2_jT3_P12ihipStream_tbPNSt15iterator_traitsISK_E10value_typeEPNSQ_ISL_E10value_typeEPSM_NS1_7vsmem_tEENKUlT_SK_SL_SM_E_clIPjSE_SF_SF_EESJ_SZ_SK_SL_SM_EUlSZ_E_NS1_11comp_targetILNS1_3genE4ELNS1_11target_archE910ELNS1_3gpuE8ELNS1_3repE0EEENS1_48merge_mergepath_partition_config_static_selectorELNS0_4arch9wavefront6targetE1EEEvSL_
; %bb.0:
	.section	.rodata,"a",@progbits
	.p2align	6, 0x0
	.amdhsa_kernel _ZN7rocprim17ROCPRIM_400000_NS6detail17trampoline_kernelINS0_14default_configENS1_38merge_sort_block_merge_config_selectorIjNS0_10empty_typeEEEZZNS1_27merge_sort_block_merge_implIS3_N6thrust23THRUST_200600_302600_NS6detail15normal_iteratorINS9_10device_ptrIjEEEEPS5_jNS1_19radix_merge_compareILb0ELb0EjNS0_19identity_decomposerEEEEE10hipError_tT0_T1_T2_jT3_P12ihipStream_tbPNSt15iterator_traitsISK_E10value_typeEPNSQ_ISL_E10value_typeEPSM_NS1_7vsmem_tEENKUlT_SK_SL_SM_E_clIPjSE_SF_SF_EESJ_SZ_SK_SL_SM_EUlSZ_E_NS1_11comp_targetILNS1_3genE4ELNS1_11target_archE910ELNS1_3gpuE8ELNS1_3repE0EEENS1_48merge_mergepath_partition_config_static_selectorELNS0_4arch9wavefront6targetE1EEEvSL_
		.amdhsa_group_segment_fixed_size 0
		.amdhsa_private_segment_fixed_size 0
		.amdhsa_kernarg_size 40
		.amdhsa_user_sgpr_count 2
		.amdhsa_user_sgpr_dispatch_ptr 0
		.amdhsa_user_sgpr_queue_ptr 0
		.amdhsa_user_sgpr_kernarg_segment_ptr 1
		.amdhsa_user_sgpr_dispatch_id 0
		.amdhsa_user_sgpr_kernarg_preload_length 0
		.amdhsa_user_sgpr_kernarg_preload_offset 0
		.amdhsa_user_sgpr_private_segment_size 0
		.amdhsa_uses_dynamic_stack 0
		.amdhsa_enable_private_segment 0
		.amdhsa_system_sgpr_workgroup_id_x 1
		.amdhsa_system_sgpr_workgroup_id_y 0
		.amdhsa_system_sgpr_workgroup_id_z 0
		.amdhsa_system_sgpr_workgroup_info 0
		.amdhsa_system_vgpr_workitem_id 0
		.amdhsa_next_free_vgpr 1
		.amdhsa_next_free_sgpr 0
		.amdhsa_accum_offset 4
		.amdhsa_reserve_vcc 0
		.amdhsa_float_round_mode_32 0
		.amdhsa_float_round_mode_16_64 0
		.amdhsa_float_denorm_mode_32 3
		.amdhsa_float_denorm_mode_16_64 3
		.amdhsa_dx10_clamp 1
		.amdhsa_ieee_mode 1
		.amdhsa_fp16_overflow 0
		.amdhsa_tg_split 0
		.amdhsa_exception_fp_ieee_invalid_op 0
		.amdhsa_exception_fp_denorm_src 0
		.amdhsa_exception_fp_ieee_div_zero 0
		.amdhsa_exception_fp_ieee_overflow 0
		.amdhsa_exception_fp_ieee_underflow 0
		.amdhsa_exception_fp_ieee_inexact 0
		.amdhsa_exception_int_div_zero 0
	.end_amdhsa_kernel
	.section	.text._ZN7rocprim17ROCPRIM_400000_NS6detail17trampoline_kernelINS0_14default_configENS1_38merge_sort_block_merge_config_selectorIjNS0_10empty_typeEEEZZNS1_27merge_sort_block_merge_implIS3_N6thrust23THRUST_200600_302600_NS6detail15normal_iteratorINS9_10device_ptrIjEEEEPS5_jNS1_19radix_merge_compareILb0ELb0EjNS0_19identity_decomposerEEEEE10hipError_tT0_T1_T2_jT3_P12ihipStream_tbPNSt15iterator_traitsISK_E10value_typeEPNSQ_ISL_E10value_typeEPSM_NS1_7vsmem_tEENKUlT_SK_SL_SM_E_clIPjSE_SF_SF_EESJ_SZ_SK_SL_SM_EUlSZ_E_NS1_11comp_targetILNS1_3genE4ELNS1_11target_archE910ELNS1_3gpuE8ELNS1_3repE0EEENS1_48merge_mergepath_partition_config_static_selectorELNS0_4arch9wavefront6targetE1EEEvSL_,"axG",@progbits,_ZN7rocprim17ROCPRIM_400000_NS6detail17trampoline_kernelINS0_14default_configENS1_38merge_sort_block_merge_config_selectorIjNS0_10empty_typeEEEZZNS1_27merge_sort_block_merge_implIS3_N6thrust23THRUST_200600_302600_NS6detail15normal_iteratorINS9_10device_ptrIjEEEEPS5_jNS1_19radix_merge_compareILb0ELb0EjNS0_19identity_decomposerEEEEE10hipError_tT0_T1_T2_jT3_P12ihipStream_tbPNSt15iterator_traitsISK_E10value_typeEPNSQ_ISL_E10value_typeEPSM_NS1_7vsmem_tEENKUlT_SK_SL_SM_E_clIPjSE_SF_SF_EESJ_SZ_SK_SL_SM_EUlSZ_E_NS1_11comp_targetILNS1_3genE4ELNS1_11target_archE910ELNS1_3gpuE8ELNS1_3repE0EEENS1_48merge_mergepath_partition_config_static_selectorELNS0_4arch9wavefront6targetE1EEEvSL_,comdat
.Lfunc_end972:
	.size	_ZN7rocprim17ROCPRIM_400000_NS6detail17trampoline_kernelINS0_14default_configENS1_38merge_sort_block_merge_config_selectorIjNS0_10empty_typeEEEZZNS1_27merge_sort_block_merge_implIS3_N6thrust23THRUST_200600_302600_NS6detail15normal_iteratorINS9_10device_ptrIjEEEEPS5_jNS1_19radix_merge_compareILb0ELb0EjNS0_19identity_decomposerEEEEE10hipError_tT0_T1_T2_jT3_P12ihipStream_tbPNSt15iterator_traitsISK_E10value_typeEPNSQ_ISL_E10value_typeEPSM_NS1_7vsmem_tEENKUlT_SK_SL_SM_E_clIPjSE_SF_SF_EESJ_SZ_SK_SL_SM_EUlSZ_E_NS1_11comp_targetILNS1_3genE4ELNS1_11target_archE910ELNS1_3gpuE8ELNS1_3repE0EEENS1_48merge_mergepath_partition_config_static_selectorELNS0_4arch9wavefront6targetE1EEEvSL_, .Lfunc_end972-_ZN7rocprim17ROCPRIM_400000_NS6detail17trampoline_kernelINS0_14default_configENS1_38merge_sort_block_merge_config_selectorIjNS0_10empty_typeEEEZZNS1_27merge_sort_block_merge_implIS3_N6thrust23THRUST_200600_302600_NS6detail15normal_iteratorINS9_10device_ptrIjEEEEPS5_jNS1_19radix_merge_compareILb0ELb0EjNS0_19identity_decomposerEEEEE10hipError_tT0_T1_T2_jT3_P12ihipStream_tbPNSt15iterator_traitsISK_E10value_typeEPNSQ_ISL_E10value_typeEPSM_NS1_7vsmem_tEENKUlT_SK_SL_SM_E_clIPjSE_SF_SF_EESJ_SZ_SK_SL_SM_EUlSZ_E_NS1_11comp_targetILNS1_3genE4ELNS1_11target_archE910ELNS1_3gpuE8ELNS1_3repE0EEENS1_48merge_mergepath_partition_config_static_selectorELNS0_4arch9wavefront6targetE1EEEvSL_
                                        ; -- End function
	.section	.AMDGPU.csdata,"",@progbits
; Kernel info:
; codeLenInByte = 0
; NumSgprs: 6
; NumVgprs: 0
; NumAgprs: 0
; TotalNumVgprs: 0
; ScratchSize: 0
; MemoryBound: 0
; FloatMode: 240
; IeeeMode: 1
; LDSByteSize: 0 bytes/workgroup (compile time only)
; SGPRBlocks: 0
; VGPRBlocks: 0
; NumSGPRsForWavesPerEU: 6
; NumVGPRsForWavesPerEU: 1
; AccumOffset: 4
; Occupancy: 8
; WaveLimiterHint : 0
; COMPUTE_PGM_RSRC2:SCRATCH_EN: 0
; COMPUTE_PGM_RSRC2:USER_SGPR: 2
; COMPUTE_PGM_RSRC2:TRAP_HANDLER: 0
; COMPUTE_PGM_RSRC2:TGID_X_EN: 1
; COMPUTE_PGM_RSRC2:TGID_Y_EN: 0
; COMPUTE_PGM_RSRC2:TGID_Z_EN: 0
; COMPUTE_PGM_RSRC2:TIDIG_COMP_CNT: 0
; COMPUTE_PGM_RSRC3_GFX90A:ACCUM_OFFSET: 0
; COMPUTE_PGM_RSRC3_GFX90A:TG_SPLIT: 0
	.section	.text._ZN7rocprim17ROCPRIM_400000_NS6detail17trampoline_kernelINS0_14default_configENS1_38merge_sort_block_merge_config_selectorIjNS0_10empty_typeEEEZZNS1_27merge_sort_block_merge_implIS3_N6thrust23THRUST_200600_302600_NS6detail15normal_iteratorINS9_10device_ptrIjEEEEPS5_jNS1_19radix_merge_compareILb0ELb0EjNS0_19identity_decomposerEEEEE10hipError_tT0_T1_T2_jT3_P12ihipStream_tbPNSt15iterator_traitsISK_E10value_typeEPNSQ_ISL_E10value_typeEPSM_NS1_7vsmem_tEENKUlT_SK_SL_SM_E_clIPjSE_SF_SF_EESJ_SZ_SK_SL_SM_EUlSZ_E_NS1_11comp_targetILNS1_3genE3ELNS1_11target_archE908ELNS1_3gpuE7ELNS1_3repE0EEENS1_48merge_mergepath_partition_config_static_selectorELNS0_4arch9wavefront6targetE1EEEvSL_,"axG",@progbits,_ZN7rocprim17ROCPRIM_400000_NS6detail17trampoline_kernelINS0_14default_configENS1_38merge_sort_block_merge_config_selectorIjNS0_10empty_typeEEEZZNS1_27merge_sort_block_merge_implIS3_N6thrust23THRUST_200600_302600_NS6detail15normal_iteratorINS9_10device_ptrIjEEEEPS5_jNS1_19radix_merge_compareILb0ELb0EjNS0_19identity_decomposerEEEEE10hipError_tT0_T1_T2_jT3_P12ihipStream_tbPNSt15iterator_traitsISK_E10value_typeEPNSQ_ISL_E10value_typeEPSM_NS1_7vsmem_tEENKUlT_SK_SL_SM_E_clIPjSE_SF_SF_EESJ_SZ_SK_SL_SM_EUlSZ_E_NS1_11comp_targetILNS1_3genE3ELNS1_11target_archE908ELNS1_3gpuE7ELNS1_3repE0EEENS1_48merge_mergepath_partition_config_static_selectorELNS0_4arch9wavefront6targetE1EEEvSL_,comdat
	.protected	_ZN7rocprim17ROCPRIM_400000_NS6detail17trampoline_kernelINS0_14default_configENS1_38merge_sort_block_merge_config_selectorIjNS0_10empty_typeEEEZZNS1_27merge_sort_block_merge_implIS3_N6thrust23THRUST_200600_302600_NS6detail15normal_iteratorINS9_10device_ptrIjEEEEPS5_jNS1_19radix_merge_compareILb0ELb0EjNS0_19identity_decomposerEEEEE10hipError_tT0_T1_T2_jT3_P12ihipStream_tbPNSt15iterator_traitsISK_E10value_typeEPNSQ_ISL_E10value_typeEPSM_NS1_7vsmem_tEENKUlT_SK_SL_SM_E_clIPjSE_SF_SF_EESJ_SZ_SK_SL_SM_EUlSZ_E_NS1_11comp_targetILNS1_3genE3ELNS1_11target_archE908ELNS1_3gpuE7ELNS1_3repE0EEENS1_48merge_mergepath_partition_config_static_selectorELNS0_4arch9wavefront6targetE1EEEvSL_ ; -- Begin function _ZN7rocprim17ROCPRIM_400000_NS6detail17trampoline_kernelINS0_14default_configENS1_38merge_sort_block_merge_config_selectorIjNS0_10empty_typeEEEZZNS1_27merge_sort_block_merge_implIS3_N6thrust23THRUST_200600_302600_NS6detail15normal_iteratorINS9_10device_ptrIjEEEEPS5_jNS1_19radix_merge_compareILb0ELb0EjNS0_19identity_decomposerEEEEE10hipError_tT0_T1_T2_jT3_P12ihipStream_tbPNSt15iterator_traitsISK_E10value_typeEPNSQ_ISL_E10value_typeEPSM_NS1_7vsmem_tEENKUlT_SK_SL_SM_E_clIPjSE_SF_SF_EESJ_SZ_SK_SL_SM_EUlSZ_E_NS1_11comp_targetILNS1_3genE3ELNS1_11target_archE908ELNS1_3gpuE7ELNS1_3repE0EEENS1_48merge_mergepath_partition_config_static_selectorELNS0_4arch9wavefront6targetE1EEEvSL_
	.globl	_ZN7rocprim17ROCPRIM_400000_NS6detail17trampoline_kernelINS0_14default_configENS1_38merge_sort_block_merge_config_selectorIjNS0_10empty_typeEEEZZNS1_27merge_sort_block_merge_implIS3_N6thrust23THRUST_200600_302600_NS6detail15normal_iteratorINS9_10device_ptrIjEEEEPS5_jNS1_19radix_merge_compareILb0ELb0EjNS0_19identity_decomposerEEEEE10hipError_tT0_T1_T2_jT3_P12ihipStream_tbPNSt15iterator_traitsISK_E10value_typeEPNSQ_ISL_E10value_typeEPSM_NS1_7vsmem_tEENKUlT_SK_SL_SM_E_clIPjSE_SF_SF_EESJ_SZ_SK_SL_SM_EUlSZ_E_NS1_11comp_targetILNS1_3genE3ELNS1_11target_archE908ELNS1_3gpuE7ELNS1_3repE0EEENS1_48merge_mergepath_partition_config_static_selectorELNS0_4arch9wavefront6targetE1EEEvSL_
	.p2align	8
	.type	_ZN7rocprim17ROCPRIM_400000_NS6detail17trampoline_kernelINS0_14default_configENS1_38merge_sort_block_merge_config_selectorIjNS0_10empty_typeEEEZZNS1_27merge_sort_block_merge_implIS3_N6thrust23THRUST_200600_302600_NS6detail15normal_iteratorINS9_10device_ptrIjEEEEPS5_jNS1_19radix_merge_compareILb0ELb0EjNS0_19identity_decomposerEEEEE10hipError_tT0_T1_T2_jT3_P12ihipStream_tbPNSt15iterator_traitsISK_E10value_typeEPNSQ_ISL_E10value_typeEPSM_NS1_7vsmem_tEENKUlT_SK_SL_SM_E_clIPjSE_SF_SF_EESJ_SZ_SK_SL_SM_EUlSZ_E_NS1_11comp_targetILNS1_3genE3ELNS1_11target_archE908ELNS1_3gpuE7ELNS1_3repE0EEENS1_48merge_mergepath_partition_config_static_selectorELNS0_4arch9wavefront6targetE1EEEvSL_,@function
_ZN7rocprim17ROCPRIM_400000_NS6detail17trampoline_kernelINS0_14default_configENS1_38merge_sort_block_merge_config_selectorIjNS0_10empty_typeEEEZZNS1_27merge_sort_block_merge_implIS3_N6thrust23THRUST_200600_302600_NS6detail15normal_iteratorINS9_10device_ptrIjEEEEPS5_jNS1_19radix_merge_compareILb0ELb0EjNS0_19identity_decomposerEEEEE10hipError_tT0_T1_T2_jT3_P12ihipStream_tbPNSt15iterator_traitsISK_E10value_typeEPNSQ_ISL_E10value_typeEPSM_NS1_7vsmem_tEENKUlT_SK_SL_SM_E_clIPjSE_SF_SF_EESJ_SZ_SK_SL_SM_EUlSZ_E_NS1_11comp_targetILNS1_3genE3ELNS1_11target_archE908ELNS1_3gpuE7ELNS1_3repE0EEENS1_48merge_mergepath_partition_config_static_selectorELNS0_4arch9wavefront6targetE1EEEvSL_: ; @_ZN7rocprim17ROCPRIM_400000_NS6detail17trampoline_kernelINS0_14default_configENS1_38merge_sort_block_merge_config_selectorIjNS0_10empty_typeEEEZZNS1_27merge_sort_block_merge_implIS3_N6thrust23THRUST_200600_302600_NS6detail15normal_iteratorINS9_10device_ptrIjEEEEPS5_jNS1_19radix_merge_compareILb0ELb0EjNS0_19identity_decomposerEEEEE10hipError_tT0_T1_T2_jT3_P12ihipStream_tbPNSt15iterator_traitsISK_E10value_typeEPNSQ_ISL_E10value_typeEPSM_NS1_7vsmem_tEENKUlT_SK_SL_SM_E_clIPjSE_SF_SF_EESJ_SZ_SK_SL_SM_EUlSZ_E_NS1_11comp_targetILNS1_3genE3ELNS1_11target_archE908ELNS1_3gpuE7ELNS1_3repE0EEENS1_48merge_mergepath_partition_config_static_selectorELNS0_4arch9wavefront6targetE1EEEvSL_
; %bb.0:
	.section	.rodata,"a",@progbits
	.p2align	6, 0x0
	.amdhsa_kernel _ZN7rocprim17ROCPRIM_400000_NS6detail17trampoline_kernelINS0_14default_configENS1_38merge_sort_block_merge_config_selectorIjNS0_10empty_typeEEEZZNS1_27merge_sort_block_merge_implIS3_N6thrust23THRUST_200600_302600_NS6detail15normal_iteratorINS9_10device_ptrIjEEEEPS5_jNS1_19radix_merge_compareILb0ELb0EjNS0_19identity_decomposerEEEEE10hipError_tT0_T1_T2_jT3_P12ihipStream_tbPNSt15iterator_traitsISK_E10value_typeEPNSQ_ISL_E10value_typeEPSM_NS1_7vsmem_tEENKUlT_SK_SL_SM_E_clIPjSE_SF_SF_EESJ_SZ_SK_SL_SM_EUlSZ_E_NS1_11comp_targetILNS1_3genE3ELNS1_11target_archE908ELNS1_3gpuE7ELNS1_3repE0EEENS1_48merge_mergepath_partition_config_static_selectorELNS0_4arch9wavefront6targetE1EEEvSL_
		.amdhsa_group_segment_fixed_size 0
		.amdhsa_private_segment_fixed_size 0
		.amdhsa_kernarg_size 40
		.amdhsa_user_sgpr_count 2
		.amdhsa_user_sgpr_dispatch_ptr 0
		.amdhsa_user_sgpr_queue_ptr 0
		.amdhsa_user_sgpr_kernarg_segment_ptr 1
		.amdhsa_user_sgpr_dispatch_id 0
		.amdhsa_user_sgpr_kernarg_preload_length 0
		.amdhsa_user_sgpr_kernarg_preload_offset 0
		.amdhsa_user_sgpr_private_segment_size 0
		.amdhsa_uses_dynamic_stack 0
		.amdhsa_enable_private_segment 0
		.amdhsa_system_sgpr_workgroup_id_x 1
		.amdhsa_system_sgpr_workgroup_id_y 0
		.amdhsa_system_sgpr_workgroup_id_z 0
		.amdhsa_system_sgpr_workgroup_info 0
		.amdhsa_system_vgpr_workitem_id 0
		.amdhsa_next_free_vgpr 1
		.amdhsa_next_free_sgpr 0
		.amdhsa_accum_offset 4
		.amdhsa_reserve_vcc 0
		.amdhsa_float_round_mode_32 0
		.amdhsa_float_round_mode_16_64 0
		.amdhsa_float_denorm_mode_32 3
		.amdhsa_float_denorm_mode_16_64 3
		.amdhsa_dx10_clamp 1
		.amdhsa_ieee_mode 1
		.amdhsa_fp16_overflow 0
		.amdhsa_tg_split 0
		.amdhsa_exception_fp_ieee_invalid_op 0
		.amdhsa_exception_fp_denorm_src 0
		.amdhsa_exception_fp_ieee_div_zero 0
		.amdhsa_exception_fp_ieee_overflow 0
		.amdhsa_exception_fp_ieee_underflow 0
		.amdhsa_exception_fp_ieee_inexact 0
		.amdhsa_exception_int_div_zero 0
	.end_amdhsa_kernel
	.section	.text._ZN7rocprim17ROCPRIM_400000_NS6detail17trampoline_kernelINS0_14default_configENS1_38merge_sort_block_merge_config_selectorIjNS0_10empty_typeEEEZZNS1_27merge_sort_block_merge_implIS3_N6thrust23THRUST_200600_302600_NS6detail15normal_iteratorINS9_10device_ptrIjEEEEPS5_jNS1_19radix_merge_compareILb0ELb0EjNS0_19identity_decomposerEEEEE10hipError_tT0_T1_T2_jT3_P12ihipStream_tbPNSt15iterator_traitsISK_E10value_typeEPNSQ_ISL_E10value_typeEPSM_NS1_7vsmem_tEENKUlT_SK_SL_SM_E_clIPjSE_SF_SF_EESJ_SZ_SK_SL_SM_EUlSZ_E_NS1_11comp_targetILNS1_3genE3ELNS1_11target_archE908ELNS1_3gpuE7ELNS1_3repE0EEENS1_48merge_mergepath_partition_config_static_selectorELNS0_4arch9wavefront6targetE1EEEvSL_,"axG",@progbits,_ZN7rocprim17ROCPRIM_400000_NS6detail17trampoline_kernelINS0_14default_configENS1_38merge_sort_block_merge_config_selectorIjNS0_10empty_typeEEEZZNS1_27merge_sort_block_merge_implIS3_N6thrust23THRUST_200600_302600_NS6detail15normal_iteratorINS9_10device_ptrIjEEEEPS5_jNS1_19radix_merge_compareILb0ELb0EjNS0_19identity_decomposerEEEEE10hipError_tT0_T1_T2_jT3_P12ihipStream_tbPNSt15iterator_traitsISK_E10value_typeEPNSQ_ISL_E10value_typeEPSM_NS1_7vsmem_tEENKUlT_SK_SL_SM_E_clIPjSE_SF_SF_EESJ_SZ_SK_SL_SM_EUlSZ_E_NS1_11comp_targetILNS1_3genE3ELNS1_11target_archE908ELNS1_3gpuE7ELNS1_3repE0EEENS1_48merge_mergepath_partition_config_static_selectorELNS0_4arch9wavefront6targetE1EEEvSL_,comdat
.Lfunc_end973:
	.size	_ZN7rocprim17ROCPRIM_400000_NS6detail17trampoline_kernelINS0_14default_configENS1_38merge_sort_block_merge_config_selectorIjNS0_10empty_typeEEEZZNS1_27merge_sort_block_merge_implIS3_N6thrust23THRUST_200600_302600_NS6detail15normal_iteratorINS9_10device_ptrIjEEEEPS5_jNS1_19radix_merge_compareILb0ELb0EjNS0_19identity_decomposerEEEEE10hipError_tT0_T1_T2_jT3_P12ihipStream_tbPNSt15iterator_traitsISK_E10value_typeEPNSQ_ISL_E10value_typeEPSM_NS1_7vsmem_tEENKUlT_SK_SL_SM_E_clIPjSE_SF_SF_EESJ_SZ_SK_SL_SM_EUlSZ_E_NS1_11comp_targetILNS1_3genE3ELNS1_11target_archE908ELNS1_3gpuE7ELNS1_3repE0EEENS1_48merge_mergepath_partition_config_static_selectorELNS0_4arch9wavefront6targetE1EEEvSL_, .Lfunc_end973-_ZN7rocprim17ROCPRIM_400000_NS6detail17trampoline_kernelINS0_14default_configENS1_38merge_sort_block_merge_config_selectorIjNS0_10empty_typeEEEZZNS1_27merge_sort_block_merge_implIS3_N6thrust23THRUST_200600_302600_NS6detail15normal_iteratorINS9_10device_ptrIjEEEEPS5_jNS1_19radix_merge_compareILb0ELb0EjNS0_19identity_decomposerEEEEE10hipError_tT0_T1_T2_jT3_P12ihipStream_tbPNSt15iterator_traitsISK_E10value_typeEPNSQ_ISL_E10value_typeEPSM_NS1_7vsmem_tEENKUlT_SK_SL_SM_E_clIPjSE_SF_SF_EESJ_SZ_SK_SL_SM_EUlSZ_E_NS1_11comp_targetILNS1_3genE3ELNS1_11target_archE908ELNS1_3gpuE7ELNS1_3repE0EEENS1_48merge_mergepath_partition_config_static_selectorELNS0_4arch9wavefront6targetE1EEEvSL_
                                        ; -- End function
	.section	.AMDGPU.csdata,"",@progbits
; Kernel info:
; codeLenInByte = 0
; NumSgprs: 6
; NumVgprs: 0
; NumAgprs: 0
; TotalNumVgprs: 0
; ScratchSize: 0
; MemoryBound: 0
; FloatMode: 240
; IeeeMode: 1
; LDSByteSize: 0 bytes/workgroup (compile time only)
; SGPRBlocks: 0
; VGPRBlocks: 0
; NumSGPRsForWavesPerEU: 6
; NumVGPRsForWavesPerEU: 1
; AccumOffset: 4
; Occupancy: 8
; WaveLimiterHint : 0
; COMPUTE_PGM_RSRC2:SCRATCH_EN: 0
; COMPUTE_PGM_RSRC2:USER_SGPR: 2
; COMPUTE_PGM_RSRC2:TRAP_HANDLER: 0
; COMPUTE_PGM_RSRC2:TGID_X_EN: 1
; COMPUTE_PGM_RSRC2:TGID_Y_EN: 0
; COMPUTE_PGM_RSRC2:TGID_Z_EN: 0
; COMPUTE_PGM_RSRC2:TIDIG_COMP_CNT: 0
; COMPUTE_PGM_RSRC3_GFX90A:ACCUM_OFFSET: 0
; COMPUTE_PGM_RSRC3_GFX90A:TG_SPLIT: 0
	.section	.text._ZN7rocprim17ROCPRIM_400000_NS6detail17trampoline_kernelINS0_14default_configENS1_38merge_sort_block_merge_config_selectorIjNS0_10empty_typeEEEZZNS1_27merge_sort_block_merge_implIS3_N6thrust23THRUST_200600_302600_NS6detail15normal_iteratorINS9_10device_ptrIjEEEEPS5_jNS1_19radix_merge_compareILb0ELb0EjNS0_19identity_decomposerEEEEE10hipError_tT0_T1_T2_jT3_P12ihipStream_tbPNSt15iterator_traitsISK_E10value_typeEPNSQ_ISL_E10value_typeEPSM_NS1_7vsmem_tEENKUlT_SK_SL_SM_E_clIPjSE_SF_SF_EESJ_SZ_SK_SL_SM_EUlSZ_E_NS1_11comp_targetILNS1_3genE2ELNS1_11target_archE906ELNS1_3gpuE6ELNS1_3repE0EEENS1_48merge_mergepath_partition_config_static_selectorELNS0_4arch9wavefront6targetE1EEEvSL_,"axG",@progbits,_ZN7rocprim17ROCPRIM_400000_NS6detail17trampoline_kernelINS0_14default_configENS1_38merge_sort_block_merge_config_selectorIjNS0_10empty_typeEEEZZNS1_27merge_sort_block_merge_implIS3_N6thrust23THRUST_200600_302600_NS6detail15normal_iteratorINS9_10device_ptrIjEEEEPS5_jNS1_19radix_merge_compareILb0ELb0EjNS0_19identity_decomposerEEEEE10hipError_tT0_T1_T2_jT3_P12ihipStream_tbPNSt15iterator_traitsISK_E10value_typeEPNSQ_ISL_E10value_typeEPSM_NS1_7vsmem_tEENKUlT_SK_SL_SM_E_clIPjSE_SF_SF_EESJ_SZ_SK_SL_SM_EUlSZ_E_NS1_11comp_targetILNS1_3genE2ELNS1_11target_archE906ELNS1_3gpuE6ELNS1_3repE0EEENS1_48merge_mergepath_partition_config_static_selectorELNS0_4arch9wavefront6targetE1EEEvSL_,comdat
	.protected	_ZN7rocprim17ROCPRIM_400000_NS6detail17trampoline_kernelINS0_14default_configENS1_38merge_sort_block_merge_config_selectorIjNS0_10empty_typeEEEZZNS1_27merge_sort_block_merge_implIS3_N6thrust23THRUST_200600_302600_NS6detail15normal_iteratorINS9_10device_ptrIjEEEEPS5_jNS1_19radix_merge_compareILb0ELb0EjNS0_19identity_decomposerEEEEE10hipError_tT0_T1_T2_jT3_P12ihipStream_tbPNSt15iterator_traitsISK_E10value_typeEPNSQ_ISL_E10value_typeEPSM_NS1_7vsmem_tEENKUlT_SK_SL_SM_E_clIPjSE_SF_SF_EESJ_SZ_SK_SL_SM_EUlSZ_E_NS1_11comp_targetILNS1_3genE2ELNS1_11target_archE906ELNS1_3gpuE6ELNS1_3repE0EEENS1_48merge_mergepath_partition_config_static_selectorELNS0_4arch9wavefront6targetE1EEEvSL_ ; -- Begin function _ZN7rocprim17ROCPRIM_400000_NS6detail17trampoline_kernelINS0_14default_configENS1_38merge_sort_block_merge_config_selectorIjNS0_10empty_typeEEEZZNS1_27merge_sort_block_merge_implIS3_N6thrust23THRUST_200600_302600_NS6detail15normal_iteratorINS9_10device_ptrIjEEEEPS5_jNS1_19radix_merge_compareILb0ELb0EjNS0_19identity_decomposerEEEEE10hipError_tT0_T1_T2_jT3_P12ihipStream_tbPNSt15iterator_traitsISK_E10value_typeEPNSQ_ISL_E10value_typeEPSM_NS1_7vsmem_tEENKUlT_SK_SL_SM_E_clIPjSE_SF_SF_EESJ_SZ_SK_SL_SM_EUlSZ_E_NS1_11comp_targetILNS1_3genE2ELNS1_11target_archE906ELNS1_3gpuE6ELNS1_3repE0EEENS1_48merge_mergepath_partition_config_static_selectorELNS0_4arch9wavefront6targetE1EEEvSL_
	.globl	_ZN7rocprim17ROCPRIM_400000_NS6detail17trampoline_kernelINS0_14default_configENS1_38merge_sort_block_merge_config_selectorIjNS0_10empty_typeEEEZZNS1_27merge_sort_block_merge_implIS3_N6thrust23THRUST_200600_302600_NS6detail15normal_iteratorINS9_10device_ptrIjEEEEPS5_jNS1_19radix_merge_compareILb0ELb0EjNS0_19identity_decomposerEEEEE10hipError_tT0_T1_T2_jT3_P12ihipStream_tbPNSt15iterator_traitsISK_E10value_typeEPNSQ_ISL_E10value_typeEPSM_NS1_7vsmem_tEENKUlT_SK_SL_SM_E_clIPjSE_SF_SF_EESJ_SZ_SK_SL_SM_EUlSZ_E_NS1_11comp_targetILNS1_3genE2ELNS1_11target_archE906ELNS1_3gpuE6ELNS1_3repE0EEENS1_48merge_mergepath_partition_config_static_selectorELNS0_4arch9wavefront6targetE1EEEvSL_
	.p2align	8
	.type	_ZN7rocprim17ROCPRIM_400000_NS6detail17trampoline_kernelINS0_14default_configENS1_38merge_sort_block_merge_config_selectorIjNS0_10empty_typeEEEZZNS1_27merge_sort_block_merge_implIS3_N6thrust23THRUST_200600_302600_NS6detail15normal_iteratorINS9_10device_ptrIjEEEEPS5_jNS1_19radix_merge_compareILb0ELb0EjNS0_19identity_decomposerEEEEE10hipError_tT0_T1_T2_jT3_P12ihipStream_tbPNSt15iterator_traitsISK_E10value_typeEPNSQ_ISL_E10value_typeEPSM_NS1_7vsmem_tEENKUlT_SK_SL_SM_E_clIPjSE_SF_SF_EESJ_SZ_SK_SL_SM_EUlSZ_E_NS1_11comp_targetILNS1_3genE2ELNS1_11target_archE906ELNS1_3gpuE6ELNS1_3repE0EEENS1_48merge_mergepath_partition_config_static_selectorELNS0_4arch9wavefront6targetE1EEEvSL_,@function
_ZN7rocprim17ROCPRIM_400000_NS6detail17trampoline_kernelINS0_14default_configENS1_38merge_sort_block_merge_config_selectorIjNS0_10empty_typeEEEZZNS1_27merge_sort_block_merge_implIS3_N6thrust23THRUST_200600_302600_NS6detail15normal_iteratorINS9_10device_ptrIjEEEEPS5_jNS1_19radix_merge_compareILb0ELb0EjNS0_19identity_decomposerEEEEE10hipError_tT0_T1_T2_jT3_P12ihipStream_tbPNSt15iterator_traitsISK_E10value_typeEPNSQ_ISL_E10value_typeEPSM_NS1_7vsmem_tEENKUlT_SK_SL_SM_E_clIPjSE_SF_SF_EESJ_SZ_SK_SL_SM_EUlSZ_E_NS1_11comp_targetILNS1_3genE2ELNS1_11target_archE906ELNS1_3gpuE6ELNS1_3repE0EEENS1_48merge_mergepath_partition_config_static_selectorELNS0_4arch9wavefront6targetE1EEEvSL_: ; @_ZN7rocprim17ROCPRIM_400000_NS6detail17trampoline_kernelINS0_14default_configENS1_38merge_sort_block_merge_config_selectorIjNS0_10empty_typeEEEZZNS1_27merge_sort_block_merge_implIS3_N6thrust23THRUST_200600_302600_NS6detail15normal_iteratorINS9_10device_ptrIjEEEEPS5_jNS1_19radix_merge_compareILb0ELb0EjNS0_19identity_decomposerEEEEE10hipError_tT0_T1_T2_jT3_P12ihipStream_tbPNSt15iterator_traitsISK_E10value_typeEPNSQ_ISL_E10value_typeEPSM_NS1_7vsmem_tEENKUlT_SK_SL_SM_E_clIPjSE_SF_SF_EESJ_SZ_SK_SL_SM_EUlSZ_E_NS1_11comp_targetILNS1_3genE2ELNS1_11target_archE906ELNS1_3gpuE6ELNS1_3repE0EEENS1_48merge_mergepath_partition_config_static_selectorELNS0_4arch9wavefront6targetE1EEEvSL_
; %bb.0:
	.section	.rodata,"a",@progbits
	.p2align	6, 0x0
	.amdhsa_kernel _ZN7rocprim17ROCPRIM_400000_NS6detail17trampoline_kernelINS0_14default_configENS1_38merge_sort_block_merge_config_selectorIjNS0_10empty_typeEEEZZNS1_27merge_sort_block_merge_implIS3_N6thrust23THRUST_200600_302600_NS6detail15normal_iteratorINS9_10device_ptrIjEEEEPS5_jNS1_19radix_merge_compareILb0ELb0EjNS0_19identity_decomposerEEEEE10hipError_tT0_T1_T2_jT3_P12ihipStream_tbPNSt15iterator_traitsISK_E10value_typeEPNSQ_ISL_E10value_typeEPSM_NS1_7vsmem_tEENKUlT_SK_SL_SM_E_clIPjSE_SF_SF_EESJ_SZ_SK_SL_SM_EUlSZ_E_NS1_11comp_targetILNS1_3genE2ELNS1_11target_archE906ELNS1_3gpuE6ELNS1_3repE0EEENS1_48merge_mergepath_partition_config_static_selectorELNS0_4arch9wavefront6targetE1EEEvSL_
		.amdhsa_group_segment_fixed_size 0
		.amdhsa_private_segment_fixed_size 0
		.amdhsa_kernarg_size 40
		.amdhsa_user_sgpr_count 2
		.amdhsa_user_sgpr_dispatch_ptr 0
		.amdhsa_user_sgpr_queue_ptr 0
		.amdhsa_user_sgpr_kernarg_segment_ptr 1
		.amdhsa_user_sgpr_dispatch_id 0
		.amdhsa_user_sgpr_kernarg_preload_length 0
		.amdhsa_user_sgpr_kernarg_preload_offset 0
		.amdhsa_user_sgpr_private_segment_size 0
		.amdhsa_uses_dynamic_stack 0
		.amdhsa_enable_private_segment 0
		.amdhsa_system_sgpr_workgroup_id_x 1
		.amdhsa_system_sgpr_workgroup_id_y 0
		.amdhsa_system_sgpr_workgroup_id_z 0
		.amdhsa_system_sgpr_workgroup_info 0
		.amdhsa_system_vgpr_workitem_id 0
		.amdhsa_next_free_vgpr 1
		.amdhsa_next_free_sgpr 0
		.amdhsa_accum_offset 4
		.amdhsa_reserve_vcc 0
		.amdhsa_float_round_mode_32 0
		.amdhsa_float_round_mode_16_64 0
		.amdhsa_float_denorm_mode_32 3
		.amdhsa_float_denorm_mode_16_64 3
		.amdhsa_dx10_clamp 1
		.amdhsa_ieee_mode 1
		.amdhsa_fp16_overflow 0
		.amdhsa_tg_split 0
		.amdhsa_exception_fp_ieee_invalid_op 0
		.amdhsa_exception_fp_denorm_src 0
		.amdhsa_exception_fp_ieee_div_zero 0
		.amdhsa_exception_fp_ieee_overflow 0
		.amdhsa_exception_fp_ieee_underflow 0
		.amdhsa_exception_fp_ieee_inexact 0
		.amdhsa_exception_int_div_zero 0
	.end_amdhsa_kernel
	.section	.text._ZN7rocprim17ROCPRIM_400000_NS6detail17trampoline_kernelINS0_14default_configENS1_38merge_sort_block_merge_config_selectorIjNS0_10empty_typeEEEZZNS1_27merge_sort_block_merge_implIS3_N6thrust23THRUST_200600_302600_NS6detail15normal_iteratorINS9_10device_ptrIjEEEEPS5_jNS1_19radix_merge_compareILb0ELb0EjNS0_19identity_decomposerEEEEE10hipError_tT0_T1_T2_jT3_P12ihipStream_tbPNSt15iterator_traitsISK_E10value_typeEPNSQ_ISL_E10value_typeEPSM_NS1_7vsmem_tEENKUlT_SK_SL_SM_E_clIPjSE_SF_SF_EESJ_SZ_SK_SL_SM_EUlSZ_E_NS1_11comp_targetILNS1_3genE2ELNS1_11target_archE906ELNS1_3gpuE6ELNS1_3repE0EEENS1_48merge_mergepath_partition_config_static_selectorELNS0_4arch9wavefront6targetE1EEEvSL_,"axG",@progbits,_ZN7rocprim17ROCPRIM_400000_NS6detail17trampoline_kernelINS0_14default_configENS1_38merge_sort_block_merge_config_selectorIjNS0_10empty_typeEEEZZNS1_27merge_sort_block_merge_implIS3_N6thrust23THRUST_200600_302600_NS6detail15normal_iteratorINS9_10device_ptrIjEEEEPS5_jNS1_19radix_merge_compareILb0ELb0EjNS0_19identity_decomposerEEEEE10hipError_tT0_T1_T2_jT3_P12ihipStream_tbPNSt15iterator_traitsISK_E10value_typeEPNSQ_ISL_E10value_typeEPSM_NS1_7vsmem_tEENKUlT_SK_SL_SM_E_clIPjSE_SF_SF_EESJ_SZ_SK_SL_SM_EUlSZ_E_NS1_11comp_targetILNS1_3genE2ELNS1_11target_archE906ELNS1_3gpuE6ELNS1_3repE0EEENS1_48merge_mergepath_partition_config_static_selectorELNS0_4arch9wavefront6targetE1EEEvSL_,comdat
.Lfunc_end974:
	.size	_ZN7rocprim17ROCPRIM_400000_NS6detail17trampoline_kernelINS0_14default_configENS1_38merge_sort_block_merge_config_selectorIjNS0_10empty_typeEEEZZNS1_27merge_sort_block_merge_implIS3_N6thrust23THRUST_200600_302600_NS6detail15normal_iteratorINS9_10device_ptrIjEEEEPS5_jNS1_19radix_merge_compareILb0ELb0EjNS0_19identity_decomposerEEEEE10hipError_tT0_T1_T2_jT3_P12ihipStream_tbPNSt15iterator_traitsISK_E10value_typeEPNSQ_ISL_E10value_typeEPSM_NS1_7vsmem_tEENKUlT_SK_SL_SM_E_clIPjSE_SF_SF_EESJ_SZ_SK_SL_SM_EUlSZ_E_NS1_11comp_targetILNS1_3genE2ELNS1_11target_archE906ELNS1_3gpuE6ELNS1_3repE0EEENS1_48merge_mergepath_partition_config_static_selectorELNS0_4arch9wavefront6targetE1EEEvSL_, .Lfunc_end974-_ZN7rocprim17ROCPRIM_400000_NS6detail17trampoline_kernelINS0_14default_configENS1_38merge_sort_block_merge_config_selectorIjNS0_10empty_typeEEEZZNS1_27merge_sort_block_merge_implIS3_N6thrust23THRUST_200600_302600_NS6detail15normal_iteratorINS9_10device_ptrIjEEEEPS5_jNS1_19radix_merge_compareILb0ELb0EjNS0_19identity_decomposerEEEEE10hipError_tT0_T1_T2_jT3_P12ihipStream_tbPNSt15iterator_traitsISK_E10value_typeEPNSQ_ISL_E10value_typeEPSM_NS1_7vsmem_tEENKUlT_SK_SL_SM_E_clIPjSE_SF_SF_EESJ_SZ_SK_SL_SM_EUlSZ_E_NS1_11comp_targetILNS1_3genE2ELNS1_11target_archE906ELNS1_3gpuE6ELNS1_3repE0EEENS1_48merge_mergepath_partition_config_static_selectorELNS0_4arch9wavefront6targetE1EEEvSL_
                                        ; -- End function
	.section	.AMDGPU.csdata,"",@progbits
; Kernel info:
; codeLenInByte = 0
; NumSgprs: 6
; NumVgprs: 0
; NumAgprs: 0
; TotalNumVgprs: 0
; ScratchSize: 0
; MemoryBound: 0
; FloatMode: 240
; IeeeMode: 1
; LDSByteSize: 0 bytes/workgroup (compile time only)
; SGPRBlocks: 0
; VGPRBlocks: 0
; NumSGPRsForWavesPerEU: 6
; NumVGPRsForWavesPerEU: 1
; AccumOffset: 4
; Occupancy: 8
; WaveLimiterHint : 0
; COMPUTE_PGM_RSRC2:SCRATCH_EN: 0
; COMPUTE_PGM_RSRC2:USER_SGPR: 2
; COMPUTE_PGM_RSRC2:TRAP_HANDLER: 0
; COMPUTE_PGM_RSRC2:TGID_X_EN: 1
; COMPUTE_PGM_RSRC2:TGID_Y_EN: 0
; COMPUTE_PGM_RSRC2:TGID_Z_EN: 0
; COMPUTE_PGM_RSRC2:TIDIG_COMP_CNT: 0
; COMPUTE_PGM_RSRC3_GFX90A:ACCUM_OFFSET: 0
; COMPUTE_PGM_RSRC3_GFX90A:TG_SPLIT: 0
	.section	.text._ZN7rocprim17ROCPRIM_400000_NS6detail17trampoline_kernelINS0_14default_configENS1_38merge_sort_block_merge_config_selectorIjNS0_10empty_typeEEEZZNS1_27merge_sort_block_merge_implIS3_N6thrust23THRUST_200600_302600_NS6detail15normal_iteratorINS9_10device_ptrIjEEEEPS5_jNS1_19radix_merge_compareILb0ELb0EjNS0_19identity_decomposerEEEEE10hipError_tT0_T1_T2_jT3_P12ihipStream_tbPNSt15iterator_traitsISK_E10value_typeEPNSQ_ISL_E10value_typeEPSM_NS1_7vsmem_tEENKUlT_SK_SL_SM_E_clIPjSE_SF_SF_EESJ_SZ_SK_SL_SM_EUlSZ_E_NS1_11comp_targetILNS1_3genE9ELNS1_11target_archE1100ELNS1_3gpuE3ELNS1_3repE0EEENS1_48merge_mergepath_partition_config_static_selectorELNS0_4arch9wavefront6targetE1EEEvSL_,"axG",@progbits,_ZN7rocprim17ROCPRIM_400000_NS6detail17trampoline_kernelINS0_14default_configENS1_38merge_sort_block_merge_config_selectorIjNS0_10empty_typeEEEZZNS1_27merge_sort_block_merge_implIS3_N6thrust23THRUST_200600_302600_NS6detail15normal_iteratorINS9_10device_ptrIjEEEEPS5_jNS1_19radix_merge_compareILb0ELb0EjNS0_19identity_decomposerEEEEE10hipError_tT0_T1_T2_jT3_P12ihipStream_tbPNSt15iterator_traitsISK_E10value_typeEPNSQ_ISL_E10value_typeEPSM_NS1_7vsmem_tEENKUlT_SK_SL_SM_E_clIPjSE_SF_SF_EESJ_SZ_SK_SL_SM_EUlSZ_E_NS1_11comp_targetILNS1_3genE9ELNS1_11target_archE1100ELNS1_3gpuE3ELNS1_3repE0EEENS1_48merge_mergepath_partition_config_static_selectorELNS0_4arch9wavefront6targetE1EEEvSL_,comdat
	.protected	_ZN7rocprim17ROCPRIM_400000_NS6detail17trampoline_kernelINS0_14default_configENS1_38merge_sort_block_merge_config_selectorIjNS0_10empty_typeEEEZZNS1_27merge_sort_block_merge_implIS3_N6thrust23THRUST_200600_302600_NS6detail15normal_iteratorINS9_10device_ptrIjEEEEPS5_jNS1_19radix_merge_compareILb0ELb0EjNS0_19identity_decomposerEEEEE10hipError_tT0_T1_T2_jT3_P12ihipStream_tbPNSt15iterator_traitsISK_E10value_typeEPNSQ_ISL_E10value_typeEPSM_NS1_7vsmem_tEENKUlT_SK_SL_SM_E_clIPjSE_SF_SF_EESJ_SZ_SK_SL_SM_EUlSZ_E_NS1_11comp_targetILNS1_3genE9ELNS1_11target_archE1100ELNS1_3gpuE3ELNS1_3repE0EEENS1_48merge_mergepath_partition_config_static_selectorELNS0_4arch9wavefront6targetE1EEEvSL_ ; -- Begin function _ZN7rocprim17ROCPRIM_400000_NS6detail17trampoline_kernelINS0_14default_configENS1_38merge_sort_block_merge_config_selectorIjNS0_10empty_typeEEEZZNS1_27merge_sort_block_merge_implIS3_N6thrust23THRUST_200600_302600_NS6detail15normal_iteratorINS9_10device_ptrIjEEEEPS5_jNS1_19radix_merge_compareILb0ELb0EjNS0_19identity_decomposerEEEEE10hipError_tT0_T1_T2_jT3_P12ihipStream_tbPNSt15iterator_traitsISK_E10value_typeEPNSQ_ISL_E10value_typeEPSM_NS1_7vsmem_tEENKUlT_SK_SL_SM_E_clIPjSE_SF_SF_EESJ_SZ_SK_SL_SM_EUlSZ_E_NS1_11comp_targetILNS1_3genE9ELNS1_11target_archE1100ELNS1_3gpuE3ELNS1_3repE0EEENS1_48merge_mergepath_partition_config_static_selectorELNS0_4arch9wavefront6targetE1EEEvSL_
	.globl	_ZN7rocprim17ROCPRIM_400000_NS6detail17trampoline_kernelINS0_14default_configENS1_38merge_sort_block_merge_config_selectorIjNS0_10empty_typeEEEZZNS1_27merge_sort_block_merge_implIS3_N6thrust23THRUST_200600_302600_NS6detail15normal_iteratorINS9_10device_ptrIjEEEEPS5_jNS1_19radix_merge_compareILb0ELb0EjNS0_19identity_decomposerEEEEE10hipError_tT0_T1_T2_jT3_P12ihipStream_tbPNSt15iterator_traitsISK_E10value_typeEPNSQ_ISL_E10value_typeEPSM_NS1_7vsmem_tEENKUlT_SK_SL_SM_E_clIPjSE_SF_SF_EESJ_SZ_SK_SL_SM_EUlSZ_E_NS1_11comp_targetILNS1_3genE9ELNS1_11target_archE1100ELNS1_3gpuE3ELNS1_3repE0EEENS1_48merge_mergepath_partition_config_static_selectorELNS0_4arch9wavefront6targetE1EEEvSL_
	.p2align	8
	.type	_ZN7rocprim17ROCPRIM_400000_NS6detail17trampoline_kernelINS0_14default_configENS1_38merge_sort_block_merge_config_selectorIjNS0_10empty_typeEEEZZNS1_27merge_sort_block_merge_implIS3_N6thrust23THRUST_200600_302600_NS6detail15normal_iteratorINS9_10device_ptrIjEEEEPS5_jNS1_19radix_merge_compareILb0ELb0EjNS0_19identity_decomposerEEEEE10hipError_tT0_T1_T2_jT3_P12ihipStream_tbPNSt15iterator_traitsISK_E10value_typeEPNSQ_ISL_E10value_typeEPSM_NS1_7vsmem_tEENKUlT_SK_SL_SM_E_clIPjSE_SF_SF_EESJ_SZ_SK_SL_SM_EUlSZ_E_NS1_11comp_targetILNS1_3genE9ELNS1_11target_archE1100ELNS1_3gpuE3ELNS1_3repE0EEENS1_48merge_mergepath_partition_config_static_selectorELNS0_4arch9wavefront6targetE1EEEvSL_,@function
_ZN7rocprim17ROCPRIM_400000_NS6detail17trampoline_kernelINS0_14default_configENS1_38merge_sort_block_merge_config_selectorIjNS0_10empty_typeEEEZZNS1_27merge_sort_block_merge_implIS3_N6thrust23THRUST_200600_302600_NS6detail15normal_iteratorINS9_10device_ptrIjEEEEPS5_jNS1_19radix_merge_compareILb0ELb0EjNS0_19identity_decomposerEEEEE10hipError_tT0_T1_T2_jT3_P12ihipStream_tbPNSt15iterator_traitsISK_E10value_typeEPNSQ_ISL_E10value_typeEPSM_NS1_7vsmem_tEENKUlT_SK_SL_SM_E_clIPjSE_SF_SF_EESJ_SZ_SK_SL_SM_EUlSZ_E_NS1_11comp_targetILNS1_3genE9ELNS1_11target_archE1100ELNS1_3gpuE3ELNS1_3repE0EEENS1_48merge_mergepath_partition_config_static_selectorELNS0_4arch9wavefront6targetE1EEEvSL_: ; @_ZN7rocprim17ROCPRIM_400000_NS6detail17trampoline_kernelINS0_14default_configENS1_38merge_sort_block_merge_config_selectorIjNS0_10empty_typeEEEZZNS1_27merge_sort_block_merge_implIS3_N6thrust23THRUST_200600_302600_NS6detail15normal_iteratorINS9_10device_ptrIjEEEEPS5_jNS1_19radix_merge_compareILb0ELb0EjNS0_19identity_decomposerEEEEE10hipError_tT0_T1_T2_jT3_P12ihipStream_tbPNSt15iterator_traitsISK_E10value_typeEPNSQ_ISL_E10value_typeEPSM_NS1_7vsmem_tEENKUlT_SK_SL_SM_E_clIPjSE_SF_SF_EESJ_SZ_SK_SL_SM_EUlSZ_E_NS1_11comp_targetILNS1_3genE9ELNS1_11target_archE1100ELNS1_3gpuE3ELNS1_3repE0EEENS1_48merge_mergepath_partition_config_static_selectorELNS0_4arch9wavefront6targetE1EEEvSL_
; %bb.0:
	.section	.rodata,"a",@progbits
	.p2align	6, 0x0
	.amdhsa_kernel _ZN7rocprim17ROCPRIM_400000_NS6detail17trampoline_kernelINS0_14default_configENS1_38merge_sort_block_merge_config_selectorIjNS0_10empty_typeEEEZZNS1_27merge_sort_block_merge_implIS3_N6thrust23THRUST_200600_302600_NS6detail15normal_iteratorINS9_10device_ptrIjEEEEPS5_jNS1_19radix_merge_compareILb0ELb0EjNS0_19identity_decomposerEEEEE10hipError_tT0_T1_T2_jT3_P12ihipStream_tbPNSt15iterator_traitsISK_E10value_typeEPNSQ_ISL_E10value_typeEPSM_NS1_7vsmem_tEENKUlT_SK_SL_SM_E_clIPjSE_SF_SF_EESJ_SZ_SK_SL_SM_EUlSZ_E_NS1_11comp_targetILNS1_3genE9ELNS1_11target_archE1100ELNS1_3gpuE3ELNS1_3repE0EEENS1_48merge_mergepath_partition_config_static_selectorELNS0_4arch9wavefront6targetE1EEEvSL_
		.amdhsa_group_segment_fixed_size 0
		.amdhsa_private_segment_fixed_size 0
		.amdhsa_kernarg_size 40
		.amdhsa_user_sgpr_count 2
		.amdhsa_user_sgpr_dispatch_ptr 0
		.amdhsa_user_sgpr_queue_ptr 0
		.amdhsa_user_sgpr_kernarg_segment_ptr 1
		.amdhsa_user_sgpr_dispatch_id 0
		.amdhsa_user_sgpr_kernarg_preload_length 0
		.amdhsa_user_sgpr_kernarg_preload_offset 0
		.amdhsa_user_sgpr_private_segment_size 0
		.amdhsa_uses_dynamic_stack 0
		.amdhsa_enable_private_segment 0
		.amdhsa_system_sgpr_workgroup_id_x 1
		.amdhsa_system_sgpr_workgroup_id_y 0
		.amdhsa_system_sgpr_workgroup_id_z 0
		.amdhsa_system_sgpr_workgroup_info 0
		.amdhsa_system_vgpr_workitem_id 0
		.amdhsa_next_free_vgpr 1
		.amdhsa_next_free_sgpr 0
		.amdhsa_accum_offset 4
		.amdhsa_reserve_vcc 0
		.amdhsa_float_round_mode_32 0
		.amdhsa_float_round_mode_16_64 0
		.amdhsa_float_denorm_mode_32 3
		.amdhsa_float_denorm_mode_16_64 3
		.amdhsa_dx10_clamp 1
		.amdhsa_ieee_mode 1
		.amdhsa_fp16_overflow 0
		.amdhsa_tg_split 0
		.amdhsa_exception_fp_ieee_invalid_op 0
		.amdhsa_exception_fp_denorm_src 0
		.amdhsa_exception_fp_ieee_div_zero 0
		.amdhsa_exception_fp_ieee_overflow 0
		.amdhsa_exception_fp_ieee_underflow 0
		.amdhsa_exception_fp_ieee_inexact 0
		.amdhsa_exception_int_div_zero 0
	.end_amdhsa_kernel
	.section	.text._ZN7rocprim17ROCPRIM_400000_NS6detail17trampoline_kernelINS0_14default_configENS1_38merge_sort_block_merge_config_selectorIjNS0_10empty_typeEEEZZNS1_27merge_sort_block_merge_implIS3_N6thrust23THRUST_200600_302600_NS6detail15normal_iteratorINS9_10device_ptrIjEEEEPS5_jNS1_19radix_merge_compareILb0ELb0EjNS0_19identity_decomposerEEEEE10hipError_tT0_T1_T2_jT3_P12ihipStream_tbPNSt15iterator_traitsISK_E10value_typeEPNSQ_ISL_E10value_typeEPSM_NS1_7vsmem_tEENKUlT_SK_SL_SM_E_clIPjSE_SF_SF_EESJ_SZ_SK_SL_SM_EUlSZ_E_NS1_11comp_targetILNS1_3genE9ELNS1_11target_archE1100ELNS1_3gpuE3ELNS1_3repE0EEENS1_48merge_mergepath_partition_config_static_selectorELNS0_4arch9wavefront6targetE1EEEvSL_,"axG",@progbits,_ZN7rocprim17ROCPRIM_400000_NS6detail17trampoline_kernelINS0_14default_configENS1_38merge_sort_block_merge_config_selectorIjNS0_10empty_typeEEEZZNS1_27merge_sort_block_merge_implIS3_N6thrust23THRUST_200600_302600_NS6detail15normal_iteratorINS9_10device_ptrIjEEEEPS5_jNS1_19radix_merge_compareILb0ELb0EjNS0_19identity_decomposerEEEEE10hipError_tT0_T1_T2_jT3_P12ihipStream_tbPNSt15iterator_traitsISK_E10value_typeEPNSQ_ISL_E10value_typeEPSM_NS1_7vsmem_tEENKUlT_SK_SL_SM_E_clIPjSE_SF_SF_EESJ_SZ_SK_SL_SM_EUlSZ_E_NS1_11comp_targetILNS1_3genE9ELNS1_11target_archE1100ELNS1_3gpuE3ELNS1_3repE0EEENS1_48merge_mergepath_partition_config_static_selectorELNS0_4arch9wavefront6targetE1EEEvSL_,comdat
.Lfunc_end975:
	.size	_ZN7rocprim17ROCPRIM_400000_NS6detail17trampoline_kernelINS0_14default_configENS1_38merge_sort_block_merge_config_selectorIjNS0_10empty_typeEEEZZNS1_27merge_sort_block_merge_implIS3_N6thrust23THRUST_200600_302600_NS6detail15normal_iteratorINS9_10device_ptrIjEEEEPS5_jNS1_19radix_merge_compareILb0ELb0EjNS0_19identity_decomposerEEEEE10hipError_tT0_T1_T2_jT3_P12ihipStream_tbPNSt15iterator_traitsISK_E10value_typeEPNSQ_ISL_E10value_typeEPSM_NS1_7vsmem_tEENKUlT_SK_SL_SM_E_clIPjSE_SF_SF_EESJ_SZ_SK_SL_SM_EUlSZ_E_NS1_11comp_targetILNS1_3genE9ELNS1_11target_archE1100ELNS1_3gpuE3ELNS1_3repE0EEENS1_48merge_mergepath_partition_config_static_selectorELNS0_4arch9wavefront6targetE1EEEvSL_, .Lfunc_end975-_ZN7rocprim17ROCPRIM_400000_NS6detail17trampoline_kernelINS0_14default_configENS1_38merge_sort_block_merge_config_selectorIjNS0_10empty_typeEEEZZNS1_27merge_sort_block_merge_implIS3_N6thrust23THRUST_200600_302600_NS6detail15normal_iteratorINS9_10device_ptrIjEEEEPS5_jNS1_19radix_merge_compareILb0ELb0EjNS0_19identity_decomposerEEEEE10hipError_tT0_T1_T2_jT3_P12ihipStream_tbPNSt15iterator_traitsISK_E10value_typeEPNSQ_ISL_E10value_typeEPSM_NS1_7vsmem_tEENKUlT_SK_SL_SM_E_clIPjSE_SF_SF_EESJ_SZ_SK_SL_SM_EUlSZ_E_NS1_11comp_targetILNS1_3genE9ELNS1_11target_archE1100ELNS1_3gpuE3ELNS1_3repE0EEENS1_48merge_mergepath_partition_config_static_selectorELNS0_4arch9wavefront6targetE1EEEvSL_
                                        ; -- End function
	.section	.AMDGPU.csdata,"",@progbits
; Kernel info:
; codeLenInByte = 0
; NumSgprs: 6
; NumVgprs: 0
; NumAgprs: 0
; TotalNumVgprs: 0
; ScratchSize: 0
; MemoryBound: 0
; FloatMode: 240
; IeeeMode: 1
; LDSByteSize: 0 bytes/workgroup (compile time only)
; SGPRBlocks: 0
; VGPRBlocks: 0
; NumSGPRsForWavesPerEU: 6
; NumVGPRsForWavesPerEU: 1
; AccumOffset: 4
; Occupancy: 8
; WaveLimiterHint : 0
; COMPUTE_PGM_RSRC2:SCRATCH_EN: 0
; COMPUTE_PGM_RSRC2:USER_SGPR: 2
; COMPUTE_PGM_RSRC2:TRAP_HANDLER: 0
; COMPUTE_PGM_RSRC2:TGID_X_EN: 1
; COMPUTE_PGM_RSRC2:TGID_Y_EN: 0
; COMPUTE_PGM_RSRC2:TGID_Z_EN: 0
; COMPUTE_PGM_RSRC2:TIDIG_COMP_CNT: 0
; COMPUTE_PGM_RSRC3_GFX90A:ACCUM_OFFSET: 0
; COMPUTE_PGM_RSRC3_GFX90A:TG_SPLIT: 0
	.section	.text._ZN7rocprim17ROCPRIM_400000_NS6detail17trampoline_kernelINS0_14default_configENS1_38merge_sort_block_merge_config_selectorIjNS0_10empty_typeEEEZZNS1_27merge_sort_block_merge_implIS3_N6thrust23THRUST_200600_302600_NS6detail15normal_iteratorINS9_10device_ptrIjEEEEPS5_jNS1_19radix_merge_compareILb0ELb0EjNS0_19identity_decomposerEEEEE10hipError_tT0_T1_T2_jT3_P12ihipStream_tbPNSt15iterator_traitsISK_E10value_typeEPNSQ_ISL_E10value_typeEPSM_NS1_7vsmem_tEENKUlT_SK_SL_SM_E_clIPjSE_SF_SF_EESJ_SZ_SK_SL_SM_EUlSZ_E_NS1_11comp_targetILNS1_3genE8ELNS1_11target_archE1030ELNS1_3gpuE2ELNS1_3repE0EEENS1_48merge_mergepath_partition_config_static_selectorELNS0_4arch9wavefront6targetE1EEEvSL_,"axG",@progbits,_ZN7rocprim17ROCPRIM_400000_NS6detail17trampoline_kernelINS0_14default_configENS1_38merge_sort_block_merge_config_selectorIjNS0_10empty_typeEEEZZNS1_27merge_sort_block_merge_implIS3_N6thrust23THRUST_200600_302600_NS6detail15normal_iteratorINS9_10device_ptrIjEEEEPS5_jNS1_19radix_merge_compareILb0ELb0EjNS0_19identity_decomposerEEEEE10hipError_tT0_T1_T2_jT3_P12ihipStream_tbPNSt15iterator_traitsISK_E10value_typeEPNSQ_ISL_E10value_typeEPSM_NS1_7vsmem_tEENKUlT_SK_SL_SM_E_clIPjSE_SF_SF_EESJ_SZ_SK_SL_SM_EUlSZ_E_NS1_11comp_targetILNS1_3genE8ELNS1_11target_archE1030ELNS1_3gpuE2ELNS1_3repE0EEENS1_48merge_mergepath_partition_config_static_selectorELNS0_4arch9wavefront6targetE1EEEvSL_,comdat
	.protected	_ZN7rocprim17ROCPRIM_400000_NS6detail17trampoline_kernelINS0_14default_configENS1_38merge_sort_block_merge_config_selectorIjNS0_10empty_typeEEEZZNS1_27merge_sort_block_merge_implIS3_N6thrust23THRUST_200600_302600_NS6detail15normal_iteratorINS9_10device_ptrIjEEEEPS5_jNS1_19radix_merge_compareILb0ELb0EjNS0_19identity_decomposerEEEEE10hipError_tT0_T1_T2_jT3_P12ihipStream_tbPNSt15iterator_traitsISK_E10value_typeEPNSQ_ISL_E10value_typeEPSM_NS1_7vsmem_tEENKUlT_SK_SL_SM_E_clIPjSE_SF_SF_EESJ_SZ_SK_SL_SM_EUlSZ_E_NS1_11comp_targetILNS1_3genE8ELNS1_11target_archE1030ELNS1_3gpuE2ELNS1_3repE0EEENS1_48merge_mergepath_partition_config_static_selectorELNS0_4arch9wavefront6targetE1EEEvSL_ ; -- Begin function _ZN7rocprim17ROCPRIM_400000_NS6detail17trampoline_kernelINS0_14default_configENS1_38merge_sort_block_merge_config_selectorIjNS0_10empty_typeEEEZZNS1_27merge_sort_block_merge_implIS3_N6thrust23THRUST_200600_302600_NS6detail15normal_iteratorINS9_10device_ptrIjEEEEPS5_jNS1_19radix_merge_compareILb0ELb0EjNS0_19identity_decomposerEEEEE10hipError_tT0_T1_T2_jT3_P12ihipStream_tbPNSt15iterator_traitsISK_E10value_typeEPNSQ_ISL_E10value_typeEPSM_NS1_7vsmem_tEENKUlT_SK_SL_SM_E_clIPjSE_SF_SF_EESJ_SZ_SK_SL_SM_EUlSZ_E_NS1_11comp_targetILNS1_3genE8ELNS1_11target_archE1030ELNS1_3gpuE2ELNS1_3repE0EEENS1_48merge_mergepath_partition_config_static_selectorELNS0_4arch9wavefront6targetE1EEEvSL_
	.globl	_ZN7rocprim17ROCPRIM_400000_NS6detail17trampoline_kernelINS0_14default_configENS1_38merge_sort_block_merge_config_selectorIjNS0_10empty_typeEEEZZNS1_27merge_sort_block_merge_implIS3_N6thrust23THRUST_200600_302600_NS6detail15normal_iteratorINS9_10device_ptrIjEEEEPS5_jNS1_19radix_merge_compareILb0ELb0EjNS0_19identity_decomposerEEEEE10hipError_tT0_T1_T2_jT3_P12ihipStream_tbPNSt15iterator_traitsISK_E10value_typeEPNSQ_ISL_E10value_typeEPSM_NS1_7vsmem_tEENKUlT_SK_SL_SM_E_clIPjSE_SF_SF_EESJ_SZ_SK_SL_SM_EUlSZ_E_NS1_11comp_targetILNS1_3genE8ELNS1_11target_archE1030ELNS1_3gpuE2ELNS1_3repE0EEENS1_48merge_mergepath_partition_config_static_selectorELNS0_4arch9wavefront6targetE1EEEvSL_
	.p2align	8
	.type	_ZN7rocprim17ROCPRIM_400000_NS6detail17trampoline_kernelINS0_14default_configENS1_38merge_sort_block_merge_config_selectorIjNS0_10empty_typeEEEZZNS1_27merge_sort_block_merge_implIS3_N6thrust23THRUST_200600_302600_NS6detail15normal_iteratorINS9_10device_ptrIjEEEEPS5_jNS1_19radix_merge_compareILb0ELb0EjNS0_19identity_decomposerEEEEE10hipError_tT0_T1_T2_jT3_P12ihipStream_tbPNSt15iterator_traitsISK_E10value_typeEPNSQ_ISL_E10value_typeEPSM_NS1_7vsmem_tEENKUlT_SK_SL_SM_E_clIPjSE_SF_SF_EESJ_SZ_SK_SL_SM_EUlSZ_E_NS1_11comp_targetILNS1_3genE8ELNS1_11target_archE1030ELNS1_3gpuE2ELNS1_3repE0EEENS1_48merge_mergepath_partition_config_static_selectorELNS0_4arch9wavefront6targetE1EEEvSL_,@function
_ZN7rocprim17ROCPRIM_400000_NS6detail17trampoline_kernelINS0_14default_configENS1_38merge_sort_block_merge_config_selectorIjNS0_10empty_typeEEEZZNS1_27merge_sort_block_merge_implIS3_N6thrust23THRUST_200600_302600_NS6detail15normal_iteratorINS9_10device_ptrIjEEEEPS5_jNS1_19radix_merge_compareILb0ELb0EjNS0_19identity_decomposerEEEEE10hipError_tT0_T1_T2_jT3_P12ihipStream_tbPNSt15iterator_traitsISK_E10value_typeEPNSQ_ISL_E10value_typeEPSM_NS1_7vsmem_tEENKUlT_SK_SL_SM_E_clIPjSE_SF_SF_EESJ_SZ_SK_SL_SM_EUlSZ_E_NS1_11comp_targetILNS1_3genE8ELNS1_11target_archE1030ELNS1_3gpuE2ELNS1_3repE0EEENS1_48merge_mergepath_partition_config_static_selectorELNS0_4arch9wavefront6targetE1EEEvSL_: ; @_ZN7rocprim17ROCPRIM_400000_NS6detail17trampoline_kernelINS0_14default_configENS1_38merge_sort_block_merge_config_selectorIjNS0_10empty_typeEEEZZNS1_27merge_sort_block_merge_implIS3_N6thrust23THRUST_200600_302600_NS6detail15normal_iteratorINS9_10device_ptrIjEEEEPS5_jNS1_19radix_merge_compareILb0ELb0EjNS0_19identity_decomposerEEEEE10hipError_tT0_T1_T2_jT3_P12ihipStream_tbPNSt15iterator_traitsISK_E10value_typeEPNSQ_ISL_E10value_typeEPSM_NS1_7vsmem_tEENKUlT_SK_SL_SM_E_clIPjSE_SF_SF_EESJ_SZ_SK_SL_SM_EUlSZ_E_NS1_11comp_targetILNS1_3genE8ELNS1_11target_archE1030ELNS1_3gpuE2ELNS1_3repE0EEENS1_48merge_mergepath_partition_config_static_selectorELNS0_4arch9wavefront6targetE1EEEvSL_
; %bb.0:
	.section	.rodata,"a",@progbits
	.p2align	6, 0x0
	.amdhsa_kernel _ZN7rocprim17ROCPRIM_400000_NS6detail17trampoline_kernelINS0_14default_configENS1_38merge_sort_block_merge_config_selectorIjNS0_10empty_typeEEEZZNS1_27merge_sort_block_merge_implIS3_N6thrust23THRUST_200600_302600_NS6detail15normal_iteratorINS9_10device_ptrIjEEEEPS5_jNS1_19radix_merge_compareILb0ELb0EjNS0_19identity_decomposerEEEEE10hipError_tT0_T1_T2_jT3_P12ihipStream_tbPNSt15iterator_traitsISK_E10value_typeEPNSQ_ISL_E10value_typeEPSM_NS1_7vsmem_tEENKUlT_SK_SL_SM_E_clIPjSE_SF_SF_EESJ_SZ_SK_SL_SM_EUlSZ_E_NS1_11comp_targetILNS1_3genE8ELNS1_11target_archE1030ELNS1_3gpuE2ELNS1_3repE0EEENS1_48merge_mergepath_partition_config_static_selectorELNS0_4arch9wavefront6targetE1EEEvSL_
		.amdhsa_group_segment_fixed_size 0
		.amdhsa_private_segment_fixed_size 0
		.amdhsa_kernarg_size 40
		.amdhsa_user_sgpr_count 2
		.amdhsa_user_sgpr_dispatch_ptr 0
		.amdhsa_user_sgpr_queue_ptr 0
		.amdhsa_user_sgpr_kernarg_segment_ptr 1
		.amdhsa_user_sgpr_dispatch_id 0
		.amdhsa_user_sgpr_kernarg_preload_length 0
		.amdhsa_user_sgpr_kernarg_preload_offset 0
		.amdhsa_user_sgpr_private_segment_size 0
		.amdhsa_uses_dynamic_stack 0
		.amdhsa_enable_private_segment 0
		.amdhsa_system_sgpr_workgroup_id_x 1
		.amdhsa_system_sgpr_workgroup_id_y 0
		.amdhsa_system_sgpr_workgroup_id_z 0
		.amdhsa_system_sgpr_workgroup_info 0
		.amdhsa_system_vgpr_workitem_id 0
		.amdhsa_next_free_vgpr 1
		.amdhsa_next_free_sgpr 0
		.amdhsa_accum_offset 4
		.amdhsa_reserve_vcc 0
		.amdhsa_float_round_mode_32 0
		.amdhsa_float_round_mode_16_64 0
		.amdhsa_float_denorm_mode_32 3
		.amdhsa_float_denorm_mode_16_64 3
		.amdhsa_dx10_clamp 1
		.amdhsa_ieee_mode 1
		.amdhsa_fp16_overflow 0
		.amdhsa_tg_split 0
		.amdhsa_exception_fp_ieee_invalid_op 0
		.amdhsa_exception_fp_denorm_src 0
		.amdhsa_exception_fp_ieee_div_zero 0
		.amdhsa_exception_fp_ieee_overflow 0
		.amdhsa_exception_fp_ieee_underflow 0
		.amdhsa_exception_fp_ieee_inexact 0
		.amdhsa_exception_int_div_zero 0
	.end_amdhsa_kernel
	.section	.text._ZN7rocprim17ROCPRIM_400000_NS6detail17trampoline_kernelINS0_14default_configENS1_38merge_sort_block_merge_config_selectorIjNS0_10empty_typeEEEZZNS1_27merge_sort_block_merge_implIS3_N6thrust23THRUST_200600_302600_NS6detail15normal_iteratorINS9_10device_ptrIjEEEEPS5_jNS1_19radix_merge_compareILb0ELb0EjNS0_19identity_decomposerEEEEE10hipError_tT0_T1_T2_jT3_P12ihipStream_tbPNSt15iterator_traitsISK_E10value_typeEPNSQ_ISL_E10value_typeEPSM_NS1_7vsmem_tEENKUlT_SK_SL_SM_E_clIPjSE_SF_SF_EESJ_SZ_SK_SL_SM_EUlSZ_E_NS1_11comp_targetILNS1_3genE8ELNS1_11target_archE1030ELNS1_3gpuE2ELNS1_3repE0EEENS1_48merge_mergepath_partition_config_static_selectorELNS0_4arch9wavefront6targetE1EEEvSL_,"axG",@progbits,_ZN7rocprim17ROCPRIM_400000_NS6detail17trampoline_kernelINS0_14default_configENS1_38merge_sort_block_merge_config_selectorIjNS0_10empty_typeEEEZZNS1_27merge_sort_block_merge_implIS3_N6thrust23THRUST_200600_302600_NS6detail15normal_iteratorINS9_10device_ptrIjEEEEPS5_jNS1_19radix_merge_compareILb0ELb0EjNS0_19identity_decomposerEEEEE10hipError_tT0_T1_T2_jT3_P12ihipStream_tbPNSt15iterator_traitsISK_E10value_typeEPNSQ_ISL_E10value_typeEPSM_NS1_7vsmem_tEENKUlT_SK_SL_SM_E_clIPjSE_SF_SF_EESJ_SZ_SK_SL_SM_EUlSZ_E_NS1_11comp_targetILNS1_3genE8ELNS1_11target_archE1030ELNS1_3gpuE2ELNS1_3repE0EEENS1_48merge_mergepath_partition_config_static_selectorELNS0_4arch9wavefront6targetE1EEEvSL_,comdat
.Lfunc_end976:
	.size	_ZN7rocprim17ROCPRIM_400000_NS6detail17trampoline_kernelINS0_14default_configENS1_38merge_sort_block_merge_config_selectorIjNS0_10empty_typeEEEZZNS1_27merge_sort_block_merge_implIS3_N6thrust23THRUST_200600_302600_NS6detail15normal_iteratorINS9_10device_ptrIjEEEEPS5_jNS1_19radix_merge_compareILb0ELb0EjNS0_19identity_decomposerEEEEE10hipError_tT0_T1_T2_jT3_P12ihipStream_tbPNSt15iterator_traitsISK_E10value_typeEPNSQ_ISL_E10value_typeEPSM_NS1_7vsmem_tEENKUlT_SK_SL_SM_E_clIPjSE_SF_SF_EESJ_SZ_SK_SL_SM_EUlSZ_E_NS1_11comp_targetILNS1_3genE8ELNS1_11target_archE1030ELNS1_3gpuE2ELNS1_3repE0EEENS1_48merge_mergepath_partition_config_static_selectorELNS0_4arch9wavefront6targetE1EEEvSL_, .Lfunc_end976-_ZN7rocprim17ROCPRIM_400000_NS6detail17trampoline_kernelINS0_14default_configENS1_38merge_sort_block_merge_config_selectorIjNS0_10empty_typeEEEZZNS1_27merge_sort_block_merge_implIS3_N6thrust23THRUST_200600_302600_NS6detail15normal_iteratorINS9_10device_ptrIjEEEEPS5_jNS1_19radix_merge_compareILb0ELb0EjNS0_19identity_decomposerEEEEE10hipError_tT0_T1_T2_jT3_P12ihipStream_tbPNSt15iterator_traitsISK_E10value_typeEPNSQ_ISL_E10value_typeEPSM_NS1_7vsmem_tEENKUlT_SK_SL_SM_E_clIPjSE_SF_SF_EESJ_SZ_SK_SL_SM_EUlSZ_E_NS1_11comp_targetILNS1_3genE8ELNS1_11target_archE1030ELNS1_3gpuE2ELNS1_3repE0EEENS1_48merge_mergepath_partition_config_static_selectorELNS0_4arch9wavefront6targetE1EEEvSL_
                                        ; -- End function
	.section	.AMDGPU.csdata,"",@progbits
; Kernel info:
; codeLenInByte = 0
; NumSgprs: 6
; NumVgprs: 0
; NumAgprs: 0
; TotalNumVgprs: 0
; ScratchSize: 0
; MemoryBound: 0
; FloatMode: 240
; IeeeMode: 1
; LDSByteSize: 0 bytes/workgroup (compile time only)
; SGPRBlocks: 0
; VGPRBlocks: 0
; NumSGPRsForWavesPerEU: 6
; NumVGPRsForWavesPerEU: 1
; AccumOffset: 4
; Occupancy: 8
; WaveLimiterHint : 0
; COMPUTE_PGM_RSRC2:SCRATCH_EN: 0
; COMPUTE_PGM_RSRC2:USER_SGPR: 2
; COMPUTE_PGM_RSRC2:TRAP_HANDLER: 0
; COMPUTE_PGM_RSRC2:TGID_X_EN: 1
; COMPUTE_PGM_RSRC2:TGID_Y_EN: 0
; COMPUTE_PGM_RSRC2:TGID_Z_EN: 0
; COMPUTE_PGM_RSRC2:TIDIG_COMP_CNT: 0
; COMPUTE_PGM_RSRC3_GFX90A:ACCUM_OFFSET: 0
; COMPUTE_PGM_RSRC3_GFX90A:TG_SPLIT: 0
	.section	.text._ZN7rocprim17ROCPRIM_400000_NS6detail17trampoline_kernelINS0_14default_configENS1_38merge_sort_block_merge_config_selectorIjNS0_10empty_typeEEEZZNS1_27merge_sort_block_merge_implIS3_N6thrust23THRUST_200600_302600_NS6detail15normal_iteratorINS9_10device_ptrIjEEEEPS5_jNS1_19radix_merge_compareILb0ELb0EjNS0_19identity_decomposerEEEEE10hipError_tT0_T1_T2_jT3_P12ihipStream_tbPNSt15iterator_traitsISK_E10value_typeEPNSQ_ISL_E10value_typeEPSM_NS1_7vsmem_tEENKUlT_SK_SL_SM_E_clIPjSE_SF_SF_EESJ_SZ_SK_SL_SM_EUlSZ_E0_NS1_11comp_targetILNS1_3genE0ELNS1_11target_archE4294967295ELNS1_3gpuE0ELNS1_3repE0EEENS1_38merge_mergepath_config_static_selectorELNS0_4arch9wavefront6targetE1EEEvSL_,"axG",@progbits,_ZN7rocprim17ROCPRIM_400000_NS6detail17trampoline_kernelINS0_14default_configENS1_38merge_sort_block_merge_config_selectorIjNS0_10empty_typeEEEZZNS1_27merge_sort_block_merge_implIS3_N6thrust23THRUST_200600_302600_NS6detail15normal_iteratorINS9_10device_ptrIjEEEEPS5_jNS1_19radix_merge_compareILb0ELb0EjNS0_19identity_decomposerEEEEE10hipError_tT0_T1_T2_jT3_P12ihipStream_tbPNSt15iterator_traitsISK_E10value_typeEPNSQ_ISL_E10value_typeEPSM_NS1_7vsmem_tEENKUlT_SK_SL_SM_E_clIPjSE_SF_SF_EESJ_SZ_SK_SL_SM_EUlSZ_E0_NS1_11comp_targetILNS1_3genE0ELNS1_11target_archE4294967295ELNS1_3gpuE0ELNS1_3repE0EEENS1_38merge_mergepath_config_static_selectorELNS0_4arch9wavefront6targetE1EEEvSL_,comdat
	.protected	_ZN7rocprim17ROCPRIM_400000_NS6detail17trampoline_kernelINS0_14default_configENS1_38merge_sort_block_merge_config_selectorIjNS0_10empty_typeEEEZZNS1_27merge_sort_block_merge_implIS3_N6thrust23THRUST_200600_302600_NS6detail15normal_iteratorINS9_10device_ptrIjEEEEPS5_jNS1_19radix_merge_compareILb0ELb0EjNS0_19identity_decomposerEEEEE10hipError_tT0_T1_T2_jT3_P12ihipStream_tbPNSt15iterator_traitsISK_E10value_typeEPNSQ_ISL_E10value_typeEPSM_NS1_7vsmem_tEENKUlT_SK_SL_SM_E_clIPjSE_SF_SF_EESJ_SZ_SK_SL_SM_EUlSZ_E0_NS1_11comp_targetILNS1_3genE0ELNS1_11target_archE4294967295ELNS1_3gpuE0ELNS1_3repE0EEENS1_38merge_mergepath_config_static_selectorELNS0_4arch9wavefront6targetE1EEEvSL_ ; -- Begin function _ZN7rocprim17ROCPRIM_400000_NS6detail17trampoline_kernelINS0_14default_configENS1_38merge_sort_block_merge_config_selectorIjNS0_10empty_typeEEEZZNS1_27merge_sort_block_merge_implIS3_N6thrust23THRUST_200600_302600_NS6detail15normal_iteratorINS9_10device_ptrIjEEEEPS5_jNS1_19radix_merge_compareILb0ELb0EjNS0_19identity_decomposerEEEEE10hipError_tT0_T1_T2_jT3_P12ihipStream_tbPNSt15iterator_traitsISK_E10value_typeEPNSQ_ISL_E10value_typeEPSM_NS1_7vsmem_tEENKUlT_SK_SL_SM_E_clIPjSE_SF_SF_EESJ_SZ_SK_SL_SM_EUlSZ_E0_NS1_11comp_targetILNS1_3genE0ELNS1_11target_archE4294967295ELNS1_3gpuE0ELNS1_3repE0EEENS1_38merge_mergepath_config_static_selectorELNS0_4arch9wavefront6targetE1EEEvSL_
	.globl	_ZN7rocprim17ROCPRIM_400000_NS6detail17trampoline_kernelINS0_14default_configENS1_38merge_sort_block_merge_config_selectorIjNS0_10empty_typeEEEZZNS1_27merge_sort_block_merge_implIS3_N6thrust23THRUST_200600_302600_NS6detail15normal_iteratorINS9_10device_ptrIjEEEEPS5_jNS1_19radix_merge_compareILb0ELb0EjNS0_19identity_decomposerEEEEE10hipError_tT0_T1_T2_jT3_P12ihipStream_tbPNSt15iterator_traitsISK_E10value_typeEPNSQ_ISL_E10value_typeEPSM_NS1_7vsmem_tEENKUlT_SK_SL_SM_E_clIPjSE_SF_SF_EESJ_SZ_SK_SL_SM_EUlSZ_E0_NS1_11comp_targetILNS1_3genE0ELNS1_11target_archE4294967295ELNS1_3gpuE0ELNS1_3repE0EEENS1_38merge_mergepath_config_static_selectorELNS0_4arch9wavefront6targetE1EEEvSL_
	.p2align	8
	.type	_ZN7rocprim17ROCPRIM_400000_NS6detail17trampoline_kernelINS0_14default_configENS1_38merge_sort_block_merge_config_selectorIjNS0_10empty_typeEEEZZNS1_27merge_sort_block_merge_implIS3_N6thrust23THRUST_200600_302600_NS6detail15normal_iteratorINS9_10device_ptrIjEEEEPS5_jNS1_19radix_merge_compareILb0ELb0EjNS0_19identity_decomposerEEEEE10hipError_tT0_T1_T2_jT3_P12ihipStream_tbPNSt15iterator_traitsISK_E10value_typeEPNSQ_ISL_E10value_typeEPSM_NS1_7vsmem_tEENKUlT_SK_SL_SM_E_clIPjSE_SF_SF_EESJ_SZ_SK_SL_SM_EUlSZ_E0_NS1_11comp_targetILNS1_3genE0ELNS1_11target_archE4294967295ELNS1_3gpuE0ELNS1_3repE0EEENS1_38merge_mergepath_config_static_selectorELNS0_4arch9wavefront6targetE1EEEvSL_,@function
_ZN7rocprim17ROCPRIM_400000_NS6detail17trampoline_kernelINS0_14default_configENS1_38merge_sort_block_merge_config_selectorIjNS0_10empty_typeEEEZZNS1_27merge_sort_block_merge_implIS3_N6thrust23THRUST_200600_302600_NS6detail15normal_iteratorINS9_10device_ptrIjEEEEPS5_jNS1_19radix_merge_compareILb0ELb0EjNS0_19identity_decomposerEEEEE10hipError_tT0_T1_T2_jT3_P12ihipStream_tbPNSt15iterator_traitsISK_E10value_typeEPNSQ_ISL_E10value_typeEPSM_NS1_7vsmem_tEENKUlT_SK_SL_SM_E_clIPjSE_SF_SF_EESJ_SZ_SK_SL_SM_EUlSZ_E0_NS1_11comp_targetILNS1_3genE0ELNS1_11target_archE4294967295ELNS1_3gpuE0ELNS1_3repE0EEENS1_38merge_mergepath_config_static_selectorELNS0_4arch9wavefront6targetE1EEEvSL_: ; @_ZN7rocprim17ROCPRIM_400000_NS6detail17trampoline_kernelINS0_14default_configENS1_38merge_sort_block_merge_config_selectorIjNS0_10empty_typeEEEZZNS1_27merge_sort_block_merge_implIS3_N6thrust23THRUST_200600_302600_NS6detail15normal_iteratorINS9_10device_ptrIjEEEEPS5_jNS1_19radix_merge_compareILb0ELb0EjNS0_19identity_decomposerEEEEE10hipError_tT0_T1_T2_jT3_P12ihipStream_tbPNSt15iterator_traitsISK_E10value_typeEPNSQ_ISL_E10value_typeEPSM_NS1_7vsmem_tEENKUlT_SK_SL_SM_E_clIPjSE_SF_SF_EESJ_SZ_SK_SL_SM_EUlSZ_E0_NS1_11comp_targetILNS1_3genE0ELNS1_11target_archE4294967295ELNS1_3gpuE0ELNS1_3repE0EEENS1_38merge_mergepath_config_static_selectorELNS0_4arch9wavefront6targetE1EEEvSL_
; %bb.0:
	.section	.rodata,"a",@progbits
	.p2align	6, 0x0
	.amdhsa_kernel _ZN7rocprim17ROCPRIM_400000_NS6detail17trampoline_kernelINS0_14default_configENS1_38merge_sort_block_merge_config_selectorIjNS0_10empty_typeEEEZZNS1_27merge_sort_block_merge_implIS3_N6thrust23THRUST_200600_302600_NS6detail15normal_iteratorINS9_10device_ptrIjEEEEPS5_jNS1_19radix_merge_compareILb0ELb0EjNS0_19identity_decomposerEEEEE10hipError_tT0_T1_T2_jT3_P12ihipStream_tbPNSt15iterator_traitsISK_E10value_typeEPNSQ_ISL_E10value_typeEPSM_NS1_7vsmem_tEENKUlT_SK_SL_SM_E_clIPjSE_SF_SF_EESJ_SZ_SK_SL_SM_EUlSZ_E0_NS1_11comp_targetILNS1_3genE0ELNS1_11target_archE4294967295ELNS1_3gpuE0ELNS1_3repE0EEENS1_38merge_mergepath_config_static_selectorELNS0_4arch9wavefront6targetE1EEEvSL_
		.amdhsa_group_segment_fixed_size 0
		.amdhsa_private_segment_fixed_size 0
		.amdhsa_kernarg_size 64
		.amdhsa_user_sgpr_count 2
		.amdhsa_user_sgpr_dispatch_ptr 0
		.amdhsa_user_sgpr_queue_ptr 0
		.amdhsa_user_sgpr_kernarg_segment_ptr 1
		.amdhsa_user_sgpr_dispatch_id 0
		.amdhsa_user_sgpr_kernarg_preload_length 0
		.amdhsa_user_sgpr_kernarg_preload_offset 0
		.amdhsa_user_sgpr_private_segment_size 0
		.amdhsa_uses_dynamic_stack 0
		.amdhsa_enable_private_segment 0
		.amdhsa_system_sgpr_workgroup_id_x 1
		.amdhsa_system_sgpr_workgroup_id_y 0
		.amdhsa_system_sgpr_workgroup_id_z 0
		.amdhsa_system_sgpr_workgroup_info 0
		.amdhsa_system_vgpr_workitem_id 0
		.amdhsa_next_free_vgpr 1
		.amdhsa_next_free_sgpr 0
		.amdhsa_accum_offset 4
		.amdhsa_reserve_vcc 0
		.amdhsa_float_round_mode_32 0
		.amdhsa_float_round_mode_16_64 0
		.amdhsa_float_denorm_mode_32 3
		.amdhsa_float_denorm_mode_16_64 3
		.amdhsa_dx10_clamp 1
		.amdhsa_ieee_mode 1
		.amdhsa_fp16_overflow 0
		.amdhsa_tg_split 0
		.amdhsa_exception_fp_ieee_invalid_op 0
		.amdhsa_exception_fp_denorm_src 0
		.amdhsa_exception_fp_ieee_div_zero 0
		.amdhsa_exception_fp_ieee_overflow 0
		.amdhsa_exception_fp_ieee_underflow 0
		.amdhsa_exception_fp_ieee_inexact 0
		.amdhsa_exception_int_div_zero 0
	.end_amdhsa_kernel
	.section	.text._ZN7rocprim17ROCPRIM_400000_NS6detail17trampoline_kernelINS0_14default_configENS1_38merge_sort_block_merge_config_selectorIjNS0_10empty_typeEEEZZNS1_27merge_sort_block_merge_implIS3_N6thrust23THRUST_200600_302600_NS6detail15normal_iteratorINS9_10device_ptrIjEEEEPS5_jNS1_19radix_merge_compareILb0ELb0EjNS0_19identity_decomposerEEEEE10hipError_tT0_T1_T2_jT3_P12ihipStream_tbPNSt15iterator_traitsISK_E10value_typeEPNSQ_ISL_E10value_typeEPSM_NS1_7vsmem_tEENKUlT_SK_SL_SM_E_clIPjSE_SF_SF_EESJ_SZ_SK_SL_SM_EUlSZ_E0_NS1_11comp_targetILNS1_3genE0ELNS1_11target_archE4294967295ELNS1_3gpuE0ELNS1_3repE0EEENS1_38merge_mergepath_config_static_selectorELNS0_4arch9wavefront6targetE1EEEvSL_,"axG",@progbits,_ZN7rocprim17ROCPRIM_400000_NS6detail17trampoline_kernelINS0_14default_configENS1_38merge_sort_block_merge_config_selectorIjNS0_10empty_typeEEEZZNS1_27merge_sort_block_merge_implIS3_N6thrust23THRUST_200600_302600_NS6detail15normal_iteratorINS9_10device_ptrIjEEEEPS5_jNS1_19radix_merge_compareILb0ELb0EjNS0_19identity_decomposerEEEEE10hipError_tT0_T1_T2_jT3_P12ihipStream_tbPNSt15iterator_traitsISK_E10value_typeEPNSQ_ISL_E10value_typeEPSM_NS1_7vsmem_tEENKUlT_SK_SL_SM_E_clIPjSE_SF_SF_EESJ_SZ_SK_SL_SM_EUlSZ_E0_NS1_11comp_targetILNS1_3genE0ELNS1_11target_archE4294967295ELNS1_3gpuE0ELNS1_3repE0EEENS1_38merge_mergepath_config_static_selectorELNS0_4arch9wavefront6targetE1EEEvSL_,comdat
.Lfunc_end977:
	.size	_ZN7rocprim17ROCPRIM_400000_NS6detail17trampoline_kernelINS0_14default_configENS1_38merge_sort_block_merge_config_selectorIjNS0_10empty_typeEEEZZNS1_27merge_sort_block_merge_implIS3_N6thrust23THRUST_200600_302600_NS6detail15normal_iteratorINS9_10device_ptrIjEEEEPS5_jNS1_19radix_merge_compareILb0ELb0EjNS0_19identity_decomposerEEEEE10hipError_tT0_T1_T2_jT3_P12ihipStream_tbPNSt15iterator_traitsISK_E10value_typeEPNSQ_ISL_E10value_typeEPSM_NS1_7vsmem_tEENKUlT_SK_SL_SM_E_clIPjSE_SF_SF_EESJ_SZ_SK_SL_SM_EUlSZ_E0_NS1_11comp_targetILNS1_3genE0ELNS1_11target_archE4294967295ELNS1_3gpuE0ELNS1_3repE0EEENS1_38merge_mergepath_config_static_selectorELNS0_4arch9wavefront6targetE1EEEvSL_, .Lfunc_end977-_ZN7rocprim17ROCPRIM_400000_NS6detail17trampoline_kernelINS0_14default_configENS1_38merge_sort_block_merge_config_selectorIjNS0_10empty_typeEEEZZNS1_27merge_sort_block_merge_implIS3_N6thrust23THRUST_200600_302600_NS6detail15normal_iteratorINS9_10device_ptrIjEEEEPS5_jNS1_19radix_merge_compareILb0ELb0EjNS0_19identity_decomposerEEEEE10hipError_tT0_T1_T2_jT3_P12ihipStream_tbPNSt15iterator_traitsISK_E10value_typeEPNSQ_ISL_E10value_typeEPSM_NS1_7vsmem_tEENKUlT_SK_SL_SM_E_clIPjSE_SF_SF_EESJ_SZ_SK_SL_SM_EUlSZ_E0_NS1_11comp_targetILNS1_3genE0ELNS1_11target_archE4294967295ELNS1_3gpuE0ELNS1_3repE0EEENS1_38merge_mergepath_config_static_selectorELNS0_4arch9wavefront6targetE1EEEvSL_
                                        ; -- End function
	.section	.AMDGPU.csdata,"",@progbits
; Kernel info:
; codeLenInByte = 0
; NumSgprs: 6
; NumVgprs: 0
; NumAgprs: 0
; TotalNumVgprs: 0
; ScratchSize: 0
; MemoryBound: 0
; FloatMode: 240
; IeeeMode: 1
; LDSByteSize: 0 bytes/workgroup (compile time only)
; SGPRBlocks: 0
; VGPRBlocks: 0
; NumSGPRsForWavesPerEU: 6
; NumVGPRsForWavesPerEU: 1
; AccumOffset: 4
; Occupancy: 8
; WaveLimiterHint : 0
; COMPUTE_PGM_RSRC2:SCRATCH_EN: 0
; COMPUTE_PGM_RSRC2:USER_SGPR: 2
; COMPUTE_PGM_RSRC2:TRAP_HANDLER: 0
; COMPUTE_PGM_RSRC2:TGID_X_EN: 1
; COMPUTE_PGM_RSRC2:TGID_Y_EN: 0
; COMPUTE_PGM_RSRC2:TGID_Z_EN: 0
; COMPUTE_PGM_RSRC2:TIDIG_COMP_CNT: 0
; COMPUTE_PGM_RSRC3_GFX90A:ACCUM_OFFSET: 0
; COMPUTE_PGM_RSRC3_GFX90A:TG_SPLIT: 0
	.section	.text._ZN7rocprim17ROCPRIM_400000_NS6detail17trampoline_kernelINS0_14default_configENS1_38merge_sort_block_merge_config_selectorIjNS0_10empty_typeEEEZZNS1_27merge_sort_block_merge_implIS3_N6thrust23THRUST_200600_302600_NS6detail15normal_iteratorINS9_10device_ptrIjEEEEPS5_jNS1_19radix_merge_compareILb0ELb0EjNS0_19identity_decomposerEEEEE10hipError_tT0_T1_T2_jT3_P12ihipStream_tbPNSt15iterator_traitsISK_E10value_typeEPNSQ_ISL_E10value_typeEPSM_NS1_7vsmem_tEENKUlT_SK_SL_SM_E_clIPjSE_SF_SF_EESJ_SZ_SK_SL_SM_EUlSZ_E0_NS1_11comp_targetILNS1_3genE10ELNS1_11target_archE1201ELNS1_3gpuE5ELNS1_3repE0EEENS1_38merge_mergepath_config_static_selectorELNS0_4arch9wavefront6targetE1EEEvSL_,"axG",@progbits,_ZN7rocprim17ROCPRIM_400000_NS6detail17trampoline_kernelINS0_14default_configENS1_38merge_sort_block_merge_config_selectorIjNS0_10empty_typeEEEZZNS1_27merge_sort_block_merge_implIS3_N6thrust23THRUST_200600_302600_NS6detail15normal_iteratorINS9_10device_ptrIjEEEEPS5_jNS1_19radix_merge_compareILb0ELb0EjNS0_19identity_decomposerEEEEE10hipError_tT0_T1_T2_jT3_P12ihipStream_tbPNSt15iterator_traitsISK_E10value_typeEPNSQ_ISL_E10value_typeEPSM_NS1_7vsmem_tEENKUlT_SK_SL_SM_E_clIPjSE_SF_SF_EESJ_SZ_SK_SL_SM_EUlSZ_E0_NS1_11comp_targetILNS1_3genE10ELNS1_11target_archE1201ELNS1_3gpuE5ELNS1_3repE0EEENS1_38merge_mergepath_config_static_selectorELNS0_4arch9wavefront6targetE1EEEvSL_,comdat
	.protected	_ZN7rocprim17ROCPRIM_400000_NS6detail17trampoline_kernelINS0_14default_configENS1_38merge_sort_block_merge_config_selectorIjNS0_10empty_typeEEEZZNS1_27merge_sort_block_merge_implIS3_N6thrust23THRUST_200600_302600_NS6detail15normal_iteratorINS9_10device_ptrIjEEEEPS5_jNS1_19radix_merge_compareILb0ELb0EjNS0_19identity_decomposerEEEEE10hipError_tT0_T1_T2_jT3_P12ihipStream_tbPNSt15iterator_traitsISK_E10value_typeEPNSQ_ISL_E10value_typeEPSM_NS1_7vsmem_tEENKUlT_SK_SL_SM_E_clIPjSE_SF_SF_EESJ_SZ_SK_SL_SM_EUlSZ_E0_NS1_11comp_targetILNS1_3genE10ELNS1_11target_archE1201ELNS1_3gpuE5ELNS1_3repE0EEENS1_38merge_mergepath_config_static_selectorELNS0_4arch9wavefront6targetE1EEEvSL_ ; -- Begin function _ZN7rocprim17ROCPRIM_400000_NS6detail17trampoline_kernelINS0_14default_configENS1_38merge_sort_block_merge_config_selectorIjNS0_10empty_typeEEEZZNS1_27merge_sort_block_merge_implIS3_N6thrust23THRUST_200600_302600_NS6detail15normal_iteratorINS9_10device_ptrIjEEEEPS5_jNS1_19radix_merge_compareILb0ELb0EjNS0_19identity_decomposerEEEEE10hipError_tT0_T1_T2_jT3_P12ihipStream_tbPNSt15iterator_traitsISK_E10value_typeEPNSQ_ISL_E10value_typeEPSM_NS1_7vsmem_tEENKUlT_SK_SL_SM_E_clIPjSE_SF_SF_EESJ_SZ_SK_SL_SM_EUlSZ_E0_NS1_11comp_targetILNS1_3genE10ELNS1_11target_archE1201ELNS1_3gpuE5ELNS1_3repE0EEENS1_38merge_mergepath_config_static_selectorELNS0_4arch9wavefront6targetE1EEEvSL_
	.globl	_ZN7rocprim17ROCPRIM_400000_NS6detail17trampoline_kernelINS0_14default_configENS1_38merge_sort_block_merge_config_selectorIjNS0_10empty_typeEEEZZNS1_27merge_sort_block_merge_implIS3_N6thrust23THRUST_200600_302600_NS6detail15normal_iteratorINS9_10device_ptrIjEEEEPS5_jNS1_19radix_merge_compareILb0ELb0EjNS0_19identity_decomposerEEEEE10hipError_tT0_T1_T2_jT3_P12ihipStream_tbPNSt15iterator_traitsISK_E10value_typeEPNSQ_ISL_E10value_typeEPSM_NS1_7vsmem_tEENKUlT_SK_SL_SM_E_clIPjSE_SF_SF_EESJ_SZ_SK_SL_SM_EUlSZ_E0_NS1_11comp_targetILNS1_3genE10ELNS1_11target_archE1201ELNS1_3gpuE5ELNS1_3repE0EEENS1_38merge_mergepath_config_static_selectorELNS0_4arch9wavefront6targetE1EEEvSL_
	.p2align	8
	.type	_ZN7rocprim17ROCPRIM_400000_NS6detail17trampoline_kernelINS0_14default_configENS1_38merge_sort_block_merge_config_selectorIjNS0_10empty_typeEEEZZNS1_27merge_sort_block_merge_implIS3_N6thrust23THRUST_200600_302600_NS6detail15normal_iteratorINS9_10device_ptrIjEEEEPS5_jNS1_19radix_merge_compareILb0ELb0EjNS0_19identity_decomposerEEEEE10hipError_tT0_T1_T2_jT3_P12ihipStream_tbPNSt15iterator_traitsISK_E10value_typeEPNSQ_ISL_E10value_typeEPSM_NS1_7vsmem_tEENKUlT_SK_SL_SM_E_clIPjSE_SF_SF_EESJ_SZ_SK_SL_SM_EUlSZ_E0_NS1_11comp_targetILNS1_3genE10ELNS1_11target_archE1201ELNS1_3gpuE5ELNS1_3repE0EEENS1_38merge_mergepath_config_static_selectorELNS0_4arch9wavefront6targetE1EEEvSL_,@function
_ZN7rocprim17ROCPRIM_400000_NS6detail17trampoline_kernelINS0_14default_configENS1_38merge_sort_block_merge_config_selectorIjNS0_10empty_typeEEEZZNS1_27merge_sort_block_merge_implIS3_N6thrust23THRUST_200600_302600_NS6detail15normal_iteratorINS9_10device_ptrIjEEEEPS5_jNS1_19radix_merge_compareILb0ELb0EjNS0_19identity_decomposerEEEEE10hipError_tT0_T1_T2_jT3_P12ihipStream_tbPNSt15iterator_traitsISK_E10value_typeEPNSQ_ISL_E10value_typeEPSM_NS1_7vsmem_tEENKUlT_SK_SL_SM_E_clIPjSE_SF_SF_EESJ_SZ_SK_SL_SM_EUlSZ_E0_NS1_11comp_targetILNS1_3genE10ELNS1_11target_archE1201ELNS1_3gpuE5ELNS1_3repE0EEENS1_38merge_mergepath_config_static_selectorELNS0_4arch9wavefront6targetE1EEEvSL_: ; @_ZN7rocprim17ROCPRIM_400000_NS6detail17trampoline_kernelINS0_14default_configENS1_38merge_sort_block_merge_config_selectorIjNS0_10empty_typeEEEZZNS1_27merge_sort_block_merge_implIS3_N6thrust23THRUST_200600_302600_NS6detail15normal_iteratorINS9_10device_ptrIjEEEEPS5_jNS1_19radix_merge_compareILb0ELb0EjNS0_19identity_decomposerEEEEE10hipError_tT0_T1_T2_jT3_P12ihipStream_tbPNSt15iterator_traitsISK_E10value_typeEPNSQ_ISL_E10value_typeEPSM_NS1_7vsmem_tEENKUlT_SK_SL_SM_E_clIPjSE_SF_SF_EESJ_SZ_SK_SL_SM_EUlSZ_E0_NS1_11comp_targetILNS1_3genE10ELNS1_11target_archE1201ELNS1_3gpuE5ELNS1_3repE0EEENS1_38merge_mergepath_config_static_selectorELNS0_4arch9wavefront6targetE1EEEvSL_
; %bb.0:
	.section	.rodata,"a",@progbits
	.p2align	6, 0x0
	.amdhsa_kernel _ZN7rocprim17ROCPRIM_400000_NS6detail17trampoline_kernelINS0_14default_configENS1_38merge_sort_block_merge_config_selectorIjNS0_10empty_typeEEEZZNS1_27merge_sort_block_merge_implIS3_N6thrust23THRUST_200600_302600_NS6detail15normal_iteratorINS9_10device_ptrIjEEEEPS5_jNS1_19radix_merge_compareILb0ELb0EjNS0_19identity_decomposerEEEEE10hipError_tT0_T1_T2_jT3_P12ihipStream_tbPNSt15iterator_traitsISK_E10value_typeEPNSQ_ISL_E10value_typeEPSM_NS1_7vsmem_tEENKUlT_SK_SL_SM_E_clIPjSE_SF_SF_EESJ_SZ_SK_SL_SM_EUlSZ_E0_NS1_11comp_targetILNS1_3genE10ELNS1_11target_archE1201ELNS1_3gpuE5ELNS1_3repE0EEENS1_38merge_mergepath_config_static_selectorELNS0_4arch9wavefront6targetE1EEEvSL_
		.amdhsa_group_segment_fixed_size 0
		.amdhsa_private_segment_fixed_size 0
		.amdhsa_kernarg_size 64
		.amdhsa_user_sgpr_count 2
		.amdhsa_user_sgpr_dispatch_ptr 0
		.amdhsa_user_sgpr_queue_ptr 0
		.amdhsa_user_sgpr_kernarg_segment_ptr 1
		.amdhsa_user_sgpr_dispatch_id 0
		.amdhsa_user_sgpr_kernarg_preload_length 0
		.amdhsa_user_sgpr_kernarg_preload_offset 0
		.amdhsa_user_sgpr_private_segment_size 0
		.amdhsa_uses_dynamic_stack 0
		.amdhsa_enable_private_segment 0
		.amdhsa_system_sgpr_workgroup_id_x 1
		.amdhsa_system_sgpr_workgroup_id_y 0
		.amdhsa_system_sgpr_workgroup_id_z 0
		.amdhsa_system_sgpr_workgroup_info 0
		.amdhsa_system_vgpr_workitem_id 0
		.amdhsa_next_free_vgpr 1
		.amdhsa_next_free_sgpr 0
		.amdhsa_accum_offset 4
		.amdhsa_reserve_vcc 0
		.amdhsa_float_round_mode_32 0
		.amdhsa_float_round_mode_16_64 0
		.amdhsa_float_denorm_mode_32 3
		.amdhsa_float_denorm_mode_16_64 3
		.amdhsa_dx10_clamp 1
		.amdhsa_ieee_mode 1
		.amdhsa_fp16_overflow 0
		.amdhsa_tg_split 0
		.amdhsa_exception_fp_ieee_invalid_op 0
		.amdhsa_exception_fp_denorm_src 0
		.amdhsa_exception_fp_ieee_div_zero 0
		.amdhsa_exception_fp_ieee_overflow 0
		.amdhsa_exception_fp_ieee_underflow 0
		.amdhsa_exception_fp_ieee_inexact 0
		.amdhsa_exception_int_div_zero 0
	.end_amdhsa_kernel
	.section	.text._ZN7rocprim17ROCPRIM_400000_NS6detail17trampoline_kernelINS0_14default_configENS1_38merge_sort_block_merge_config_selectorIjNS0_10empty_typeEEEZZNS1_27merge_sort_block_merge_implIS3_N6thrust23THRUST_200600_302600_NS6detail15normal_iteratorINS9_10device_ptrIjEEEEPS5_jNS1_19radix_merge_compareILb0ELb0EjNS0_19identity_decomposerEEEEE10hipError_tT0_T1_T2_jT3_P12ihipStream_tbPNSt15iterator_traitsISK_E10value_typeEPNSQ_ISL_E10value_typeEPSM_NS1_7vsmem_tEENKUlT_SK_SL_SM_E_clIPjSE_SF_SF_EESJ_SZ_SK_SL_SM_EUlSZ_E0_NS1_11comp_targetILNS1_3genE10ELNS1_11target_archE1201ELNS1_3gpuE5ELNS1_3repE0EEENS1_38merge_mergepath_config_static_selectorELNS0_4arch9wavefront6targetE1EEEvSL_,"axG",@progbits,_ZN7rocprim17ROCPRIM_400000_NS6detail17trampoline_kernelINS0_14default_configENS1_38merge_sort_block_merge_config_selectorIjNS0_10empty_typeEEEZZNS1_27merge_sort_block_merge_implIS3_N6thrust23THRUST_200600_302600_NS6detail15normal_iteratorINS9_10device_ptrIjEEEEPS5_jNS1_19radix_merge_compareILb0ELb0EjNS0_19identity_decomposerEEEEE10hipError_tT0_T1_T2_jT3_P12ihipStream_tbPNSt15iterator_traitsISK_E10value_typeEPNSQ_ISL_E10value_typeEPSM_NS1_7vsmem_tEENKUlT_SK_SL_SM_E_clIPjSE_SF_SF_EESJ_SZ_SK_SL_SM_EUlSZ_E0_NS1_11comp_targetILNS1_3genE10ELNS1_11target_archE1201ELNS1_3gpuE5ELNS1_3repE0EEENS1_38merge_mergepath_config_static_selectorELNS0_4arch9wavefront6targetE1EEEvSL_,comdat
.Lfunc_end978:
	.size	_ZN7rocprim17ROCPRIM_400000_NS6detail17trampoline_kernelINS0_14default_configENS1_38merge_sort_block_merge_config_selectorIjNS0_10empty_typeEEEZZNS1_27merge_sort_block_merge_implIS3_N6thrust23THRUST_200600_302600_NS6detail15normal_iteratorINS9_10device_ptrIjEEEEPS5_jNS1_19radix_merge_compareILb0ELb0EjNS0_19identity_decomposerEEEEE10hipError_tT0_T1_T2_jT3_P12ihipStream_tbPNSt15iterator_traitsISK_E10value_typeEPNSQ_ISL_E10value_typeEPSM_NS1_7vsmem_tEENKUlT_SK_SL_SM_E_clIPjSE_SF_SF_EESJ_SZ_SK_SL_SM_EUlSZ_E0_NS1_11comp_targetILNS1_3genE10ELNS1_11target_archE1201ELNS1_3gpuE5ELNS1_3repE0EEENS1_38merge_mergepath_config_static_selectorELNS0_4arch9wavefront6targetE1EEEvSL_, .Lfunc_end978-_ZN7rocprim17ROCPRIM_400000_NS6detail17trampoline_kernelINS0_14default_configENS1_38merge_sort_block_merge_config_selectorIjNS0_10empty_typeEEEZZNS1_27merge_sort_block_merge_implIS3_N6thrust23THRUST_200600_302600_NS6detail15normal_iteratorINS9_10device_ptrIjEEEEPS5_jNS1_19radix_merge_compareILb0ELb0EjNS0_19identity_decomposerEEEEE10hipError_tT0_T1_T2_jT3_P12ihipStream_tbPNSt15iterator_traitsISK_E10value_typeEPNSQ_ISL_E10value_typeEPSM_NS1_7vsmem_tEENKUlT_SK_SL_SM_E_clIPjSE_SF_SF_EESJ_SZ_SK_SL_SM_EUlSZ_E0_NS1_11comp_targetILNS1_3genE10ELNS1_11target_archE1201ELNS1_3gpuE5ELNS1_3repE0EEENS1_38merge_mergepath_config_static_selectorELNS0_4arch9wavefront6targetE1EEEvSL_
                                        ; -- End function
	.section	.AMDGPU.csdata,"",@progbits
; Kernel info:
; codeLenInByte = 0
; NumSgprs: 6
; NumVgprs: 0
; NumAgprs: 0
; TotalNumVgprs: 0
; ScratchSize: 0
; MemoryBound: 0
; FloatMode: 240
; IeeeMode: 1
; LDSByteSize: 0 bytes/workgroup (compile time only)
; SGPRBlocks: 0
; VGPRBlocks: 0
; NumSGPRsForWavesPerEU: 6
; NumVGPRsForWavesPerEU: 1
; AccumOffset: 4
; Occupancy: 8
; WaveLimiterHint : 0
; COMPUTE_PGM_RSRC2:SCRATCH_EN: 0
; COMPUTE_PGM_RSRC2:USER_SGPR: 2
; COMPUTE_PGM_RSRC2:TRAP_HANDLER: 0
; COMPUTE_PGM_RSRC2:TGID_X_EN: 1
; COMPUTE_PGM_RSRC2:TGID_Y_EN: 0
; COMPUTE_PGM_RSRC2:TGID_Z_EN: 0
; COMPUTE_PGM_RSRC2:TIDIG_COMP_CNT: 0
; COMPUTE_PGM_RSRC3_GFX90A:ACCUM_OFFSET: 0
; COMPUTE_PGM_RSRC3_GFX90A:TG_SPLIT: 0
	.section	.text._ZN7rocprim17ROCPRIM_400000_NS6detail17trampoline_kernelINS0_14default_configENS1_38merge_sort_block_merge_config_selectorIjNS0_10empty_typeEEEZZNS1_27merge_sort_block_merge_implIS3_N6thrust23THRUST_200600_302600_NS6detail15normal_iteratorINS9_10device_ptrIjEEEEPS5_jNS1_19radix_merge_compareILb0ELb0EjNS0_19identity_decomposerEEEEE10hipError_tT0_T1_T2_jT3_P12ihipStream_tbPNSt15iterator_traitsISK_E10value_typeEPNSQ_ISL_E10value_typeEPSM_NS1_7vsmem_tEENKUlT_SK_SL_SM_E_clIPjSE_SF_SF_EESJ_SZ_SK_SL_SM_EUlSZ_E0_NS1_11comp_targetILNS1_3genE5ELNS1_11target_archE942ELNS1_3gpuE9ELNS1_3repE0EEENS1_38merge_mergepath_config_static_selectorELNS0_4arch9wavefront6targetE1EEEvSL_,"axG",@progbits,_ZN7rocprim17ROCPRIM_400000_NS6detail17trampoline_kernelINS0_14default_configENS1_38merge_sort_block_merge_config_selectorIjNS0_10empty_typeEEEZZNS1_27merge_sort_block_merge_implIS3_N6thrust23THRUST_200600_302600_NS6detail15normal_iteratorINS9_10device_ptrIjEEEEPS5_jNS1_19radix_merge_compareILb0ELb0EjNS0_19identity_decomposerEEEEE10hipError_tT0_T1_T2_jT3_P12ihipStream_tbPNSt15iterator_traitsISK_E10value_typeEPNSQ_ISL_E10value_typeEPSM_NS1_7vsmem_tEENKUlT_SK_SL_SM_E_clIPjSE_SF_SF_EESJ_SZ_SK_SL_SM_EUlSZ_E0_NS1_11comp_targetILNS1_3genE5ELNS1_11target_archE942ELNS1_3gpuE9ELNS1_3repE0EEENS1_38merge_mergepath_config_static_selectorELNS0_4arch9wavefront6targetE1EEEvSL_,comdat
	.protected	_ZN7rocprim17ROCPRIM_400000_NS6detail17trampoline_kernelINS0_14default_configENS1_38merge_sort_block_merge_config_selectorIjNS0_10empty_typeEEEZZNS1_27merge_sort_block_merge_implIS3_N6thrust23THRUST_200600_302600_NS6detail15normal_iteratorINS9_10device_ptrIjEEEEPS5_jNS1_19radix_merge_compareILb0ELb0EjNS0_19identity_decomposerEEEEE10hipError_tT0_T1_T2_jT3_P12ihipStream_tbPNSt15iterator_traitsISK_E10value_typeEPNSQ_ISL_E10value_typeEPSM_NS1_7vsmem_tEENKUlT_SK_SL_SM_E_clIPjSE_SF_SF_EESJ_SZ_SK_SL_SM_EUlSZ_E0_NS1_11comp_targetILNS1_3genE5ELNS1_11target_archE942ELNS1_3gpuE9ELNS1_3repE0EEENS1_38merge_mergepath_config_static_selectorELNS0_4arch9wavefront6targetE1EEEvSL_ ; -- Begin function _ZN7rocprim17ROCPRIM_400000_NS6detail17trampoline_kernelINS0_14default_configENS1_38merge_sort_block_merge_config_selectorIjNS0_10empty_typeEEEZZNS1_27merge_sort_block_merge_implIS3_N6thrust23THRUST_200600_302600_NS6detail15normal_iteratorINS9_10device_ptrIjEEEEPS5_jNS1_19radix_merge_compareILb0ELb0EjNS0_19identity_decomposerEEEEE10hipError_tT0_T1_T2_jT3_P12ihipStream_tbPNSt15iterator_traitsISK_E10value_typeEPNSQ_ISL_E10value_typeEPSM_NS1_7vsmem_tEENKUlT_SK_SL_SM_E_clIPjSE_SF_SF_EESJ_SZ_SK_SL_SM_EUlSZ_E0_NS1_11comp_targetILNS1_3genE5ELNS1_11target_archE942ELNS1_3gpuE9ELNS1_3repE0EEENS1_38merge_mergepath_config_static_selectorELNS0_4arch9wavefront6targetE1EEEvSL_
	.globl	_ZN7rocprim17ROCPRIM_400000_NS6detail17trampoline_kernelINS0_14default_configENS1_38merge_sort_block_merge_config_selectorIjNS0_10empty_typeEEEZZNS1_27merge_sort_block_merge_implIS3_N6thrust23THRUST_200600_302600_NS6detail15normal_iteratorINS9_10device_ptrIjEEEEPS5_jNS1_19radix_merge_compareILb0ELb0EjNS0_19identity_decomposerEEEEE10hipError_tT0_T1_T2_jT3_P12ihipStream_tbPNSt15iterator_traitsISK_E10value_typeEPNSQ_ISL_E10value_typeEPSM_NS1_7vsmem_tEENKUlT_SK_SL_SM_E_clIPjSE_SF_SF_EESJ_SZ_SK_SL_SM_EUlSZ_E0_NS1_11comp_targetILNS1_3genE5ELNS1_11target_archE942ELNS1_3gpuE9ELNS1_3repE0EEENS1_38merge_mergepath_config_static_selectorELNS0_4arch9wavefront6targetE1EEEvSL_
	.p2align	8
	.type	_ZN7rocprim17ROCPRIM_400000_NS6detail17trampoline_kernelINS0_14default_configENS1_38merge_sort_block_merge_config_selectorIjNS0_10empty_typeEEEZZNS1_27merge_sort_block_merge_implIS3_N6thrust23THRUST_200600_302600_NS6detail15normal_iteratorINS9_10device_ptrIjEEEEPS5_jNS1_19radix_merge_compareILb0ELb0EjNS0_19identity_decomposerEEEEE10hipError_tT0_T1_T2_jT3_P12ihipStream_tbPNSt15iterator_traitsISK_E10value_typeEPNSQ_ISL_E10value_typeEPSM_NS1_7vsmem_tEENKUlT_SK_SL_SM_E_clIPjSE_SF_SF_EESJ_SZ_SK_SL_SM_EUlSZ_E0_NS1_11comp_targetILNS1_3genE5ELNS1_11target_archE942ELNS1_3gpuE9ELNS1_3repE0EEENS1_38merge_mergepath_config_static_selectorELNS0_4arch9wavefront6targetE1EEEvSL_,@function
_ZN7rocprim17ROCPRIM_400000_NS6detail17trampoline_kernelINS0_14default_configENS1_38merge_sort_block_merge_config_selectorIjNS0_10empty_typeEEEZZNS1_27merge_sort_block_merge_implIS3_N6thrust23THRUST_200600_302600_NS6detail15normal_iteratorINS9_10device_ptrIjEEEEPS5_jNS1_19radix_merge_compareILb0ELb0EjNS0_19identity_decomposerEEEEE10hipError_tT0_T1_T2_jT3_P12ihipStream_tbPNSt15iterator_traitsISK_E10value_typeEPNSQ_ISL_E10value_typeEPSM_NS1_7vsmem_tEENKUlT_SK_SL_SM_E_clIPjSE_SF_SF_EESJ_SZ_SK_SL_SM_EUlSZ_E0_NS1_11comp_targetILNS1_3genE5ELNS1_11target_archE942ELNS1_3gpuE9ELNS1_3repE0EEENS1_38merge_mergepath_config_static_selectorELNS0_4arch9wavefront6targetE1EEEvSL_: ; @_ZN7rocprim17ROCPRIM_400000_NS6detail17trampoline_kernelINS0_14default_configENS1_38merge_sort_block_merge_config_selectorIjNS0_10empty_typeEEEZZNS1_27merge_sort_block_merge_implIS3_N6thrust23THRUST_200600_302600_NS6detail15normal_iteratorINS9_10device_ptrIjEEEEPS5_jNS1_19radix_merge_compareILb0ELb0EjNS0_19identity_decomposerEEEEE10hipError_tT0_T1_T2_jT3_P12ihipStream_tbPNSt15iterator_traitsISK_E10value_typeEPNSQ_ISL_E10value_typeEPSM_NS1_7vsmem_tEENKUlT_SK_SL_SM_E_clIPjSE_SF_SF_EESJ_SZ_SK_SL_SM_EUlSZ_E0_NS1_11comp_targetILNS1_3genE5ELNS1_11target_archE942ELNS1_3gpuE9ELNS1_3repE0EEENS1_38merge_mergepath_config_static_selectorELNS0_4arch9wavefront6targetE1EEEvSL_
; %bb.0:
	s_load_dwordx2 s[12:13], s[0:1], 0x40
	s_load_dword s5, s[0:1], 0x30
	s_add_u32 s8, s0, 64
	s_addc_u32 s9, s1, 0
	s_waitcnt lgkmcnt(0)
	s_mul_i32 s4, s13, s4
	s_add_i32 s3, s4, s3
	s_mul_i32 s3, s3, s12
	s_add_i32 s10, s3, s2
	s_cmp_ge_u32 s10, s5
	s_cbranch_scc1 .LBB979_43
; %bb.1:
	s_load_dwordx2 s[14:15], s[0:1], 0x28
	s_load_dwordx2 s[4:5], s[0:1], 0x38
	;; [unrolled: 1-line block ×3, first 2 shown]
	s_mov_b32 s11, 0
	v_mov_b32_e32 v11, 0
	s_waitcnt lgkmcnt(0)
	s_lshr_b32 s22, s14, 10
	s_cmp_lg_u32 s10, s22
	s_cselect_b64 s[18:19], -1, 0
	s_lshl_b64 s[16:17], s[10:11], 2
	s_add_u32 s4, s4, s16
	s_addc_u32 s5, s5, s17
	s_lshr_b32 s3, s15, 9
	s_and_b32 s3, s3, 0x7ffffe
	s_load_dwordx2 s[4:5], s[4:5], 0x0
	s_sub_i32 s3, 0, s3
	s_and_b32 s13, s10, s3
	s_lshl_b32 s17, s13, 10
	s_lshl_b32 s16, s10, 10
	;; [unrolled: 1-line block ×3, first 2 shown]
	s_sub_i32 s20, s16, s17
	s_add_i32 s13, s13, s15
	s_add_i32 s21, s13, s20
	s_waitcnt lgkmcnt(0)
	s_sub_i32 s20, s21, s4
	s_sub_i32 s21, s21, s5
	s_sub_i32 s13, s13, s17
	s_min_u32 s20, s14, s20
	s_addk_i32 s21, 0x400
	s_or_b32 s3, s10, s3
	s_min_u32 s17, s14, s13
	s_add_i32 s13, s13, s15
	s_cmp_eq_u32 s3, -1
	s_cselect_b32 s3, s13, s21
	s_cselect_b32 s5, s17, s5
	s_min_u32 s3, s3, s14
	s_sub_i32 s15, s5, s4
	s_mov_b32 s5, s11
	s_sub_i32 s13, s3, s20
	s_lshl_b64 s[4:5], s[4:5], 2
	s_add_u32 s4, s6, s4
	s_mov_b32 s21, s11
	s_addc_u32 s5, s7, s5
	s_lshl_b64 s[20:21], s[20:21], 2
	s_add_u32 s6, s6, s20
	s_addc_u32 s7, s7, s21
	s_cmp_lt_u32 s2, s12
	s_cselect_b32 s2, 12, 18
	global_load_dword v1, v11, s[8:9] offset:14
	s_add_u32 s2, s8, s2
	s_addc_u32 s3, s9, 0
	global_load_ushort v2, v11, s[2:3]
	s_cmp_eq_u32 s10, s22
	v_lshlrev_b32_e32 v10, 2, v0
	s_waitcnt vmcnt(1)
	v_lshrrev_b32_e32 v3, 16, v1
	v_and_b32_e32 v1, 0xffff, v1
	v_mul_lo_u32 v1, v1, v3
	s_waitcnt vmcnt(0)
	v_mul_lo_u32 v1, v1, v2
	v_add_u32_e32 v14, v1, v0
	v_add_u32_e32 v12, v14, v1
	s_cbranch_scc1 .LBB979_3
; %bb.2:
	v_subrev_u32_e32 v4, s15, v0
	v_mov_b32_e32 v5, v11
	v_lshl_add_u64 v[2:3], s[4:5], 0, v[10:11]
	v_lshl_add_u64 v[4:5], v[4:5], 2, s[6:7]
	v_cmp_gt_u32_e32 vcc, s15, v0
	v_mov_b32_e32 v15, v11
	v_subrev_u32_e32 v6, s15, v14
	v_mov_b32_e32 v7, v11
	v_cndmask_b32_e32 v3, v5, v3, vcc
	v_cndmask_b32_e32 v2, v4, v2, vcc
	v_lshl_add_u64 v[4:5], v[14:15], 2, s[4:5]
	v_lshl_add_u64 v[6:7], v[6:7], 2, s[6:7]
	v_cmp_gt_u32_e32 vcc, s15, v14
	v_mov_b32_e32 v13, v11
	global_load_dword v2, v[2:3], off
	v_cndmask_b32_e32 v5, v7, v5, vcc
	v_cndmask_b32_e32 v4, v6, v4, vcc
	v_subrev_u32_e32 v6, s15, v12
	v_mov_b32_e32 v7, v11
	global_load_dword v3, v[4:5], off
	v_lshl_add_u64 v[4:5], v[12:13], 2, s[4:5]
	v_lshl_add_u64 v[6:7], v[6:7], 2, s[6:7]
	v_cmp_gt_u32_e32 vcc, s15, v12
	v_mov_b32_e32 v17, v11
	v_mov_b32_e32 v19, v11
	v_cndmask_b32_e32 v4, v6, v4, vcc
	v_add_u32_e32 v6, v12, v1
	v_cndmask_b32_e32 v5, v7, v5, vcc
	v_mov_b32_e32 v7, v11
	v_subrev_u32_e32 v16, s15, v6
	v_lshl_add_u64 v[8:9], v[6:7], 2, s[4:5]
	v_lshl_add_u64 v[16:17], v[16:17], 2, s[6:7]
	v_cmp_gt_u32_e32 vcc, s15, v6
	global_load_dword v4, v[4:5], off
	v_mov_b32_e32 v21, v11
	v_cndmask_b32_e32 v9, v17, v9, vcc
	v_cndmask_b32_e32 v8, v16, v8, vcc
	global_load_dword v5, v[8:9], off
	v_add_u32_e32 v8, v6, v1
	v_mov_b32_e32 v9, v11
	v_lshl_add_u64 v[6:7], v[8:9], 2, s[4:5]
	v_subrev_u32_e32 v16, s15, v8
	v_mov_b32_e32 v17, v11
	v_cmp_gt_u32_e32 vcc, s15, v8
	v_add_u32_e32 v8, v8, v1
	v_lshl_add_u64 v[16:17], v[16:17], 2, s[6:7]
	v_subrev_u32_e32 v18, s15, v8
	v_cndmask_b32_e32 v7, v17, v7, vcc
	v_cndmask_b32_e32 v6, v16, v6, vcc
	v_lshl_add_u64 v[16:17], v[8:9], 2, s[4:5]
	v_lshl_add_u64 v[18:19], v[18:19], 2, s[6:7]
	v_cmp_gt_u32_e32 vcc, s15, v8
	global_load_dword v6, v[6:7], off
	s_add_i32 s17, s13, s15
	v_cndmask_b32_e32 v17, v19, v17, vcc
	v_cndmask_b32_e32 v16, v18, v16, vcc
	global_load_dword v7, v[16:17], off
	v_add_u32_e32 v16, v8, v1
	v_mov_b32_e32 v17, v11
	v_lshl_add_u64 v[8:9], v[16:17], 2, s[4:5]
	v_subrev_u32_e32 v18, s15, v16
	v_mov_b32_e32 v19, v11
	v_cmp_gt_u32_e32 vcc, s15, v16
	v_add_u32_e32 v16, v16, v1
	v_lshl_add_u64 v[18:19], v[18:19], 2, s[6:7]
	v_subrev_u32_e32 v20, s15, v16
	v_cndmask_b32_e32 v9, v19, v9, vcc
	v_cndmask_b32_e32 v8, v18, v8, vcc
	v_lshl_add_u64 v[18:19], v[16:17], 2, s[4:5]
	v_lshl_add_u64 v[20:21], v[20:21], 2, s[6:7]
	v_cmp_gt_u32_e32 vcc, s15, v16
	global_load_dword v8, v[8:9], off
	s_nop 0
	v_cndmask_b32_e32 v17, v21, v19, vcc
	v_cndmask_b32_e32 v16, v20, v18, vcc
	global_load_dword v9, v[16:17], off
	s_load_dwordx2 s[20:21], s[0:1], 0x10
	s_cbranch_execz .LBB979_4
	s_branch .LBB979_19
.LBB979_3:
                                        ; implicit-def: $vgpr2_vgpr3_vgpr4_vgpr5_vgpr6_vgpr7_vgpr8_vgpr9
                                        ; implicit-def: $sgpr17
	s_load_dwordx2 s[20:21], s[0:1], 0x10
.LBB979_4:
	s_add_i32 s17, s13, s15
	v_cmp_gt_u32_e32 vcc, s17, v0
                                        ; implicit-def: $vgpr2_vgpr3_vgpr4_vgpr5_vgpr6_vgpr7_vgpr8_vgpr9
	s_and_saveexec_b64 s[0:1], vcc
	s_cbranch_execnz .LBB979_44
; %bb.5:
	s_or_b64 exec, exec, s[0:1]
	v_cmp_gt_u32_e32 vcc, s17, v14
	s_and_saveexec_b64 s[0:1], vcc
	s_cbranch_execnz .LBB979_45
.LBB979_6:
	s_or_b64 exec, exec, s[0:1]
	v_cmp_gt_u32_e32 vcc, s17, v12
	s_and_saveexec_b64 s[0:1], vcc
	s_cbranch_execz .LBB979_8
.LBB979_7:
	v_mov_b32_e32 v13, 0
	v_subrev_u32_e32 v16, s15, v12
	v_mov_b32_e32 v17, v13
	v_lshl_add_u64 v[14:15], v[12:13], 2, s[4:5]
	v_lshl_add_u64 v[16:17], v[16:17], 2, s[6:7]
	v_cmp_gt_u32_e32 vcc, s15, v12
	s_nop 1
	v_cndmask_b32_e32 v15, v17, v15, vcc
	v_cndmask_b32_e32 v14, v16, v14, vcc
	global_load_dword v4, v[14:15], off
.LBB979_8:
	s_or_b64 exec, exec, s[0:1]
	v_add_u32_e32 v12, v12, v1
	v_cmp_gt_u32_e32 vcc, s17, v12
	s_and_saveexec_b64 s[0:1], vcc
	s_cbranch_execz .LBB979_10
; %bb.9:
	v_mov_b32_e32 v13, 0
	v_subrev_u32_e32 v16, s15, v12
	v_mov_b32_e32 v17, v13
	v_lshl_add_u64 v[14:15], v[12:13], 2, s[4:5]
	v_lshl_add_u64 v[16:17], v[16:17], 2, s[6:7]
	v_cmp_gt_u32_e32 vcc, s15, v12
	s_nop 1
	v_cndmask_b32_e32 v15, v17, v15, vcc
	v_cndmask_b32_e32 v14, v16, v14, vcc
	global_load_dword v5, v[14:15], off
.LBB979_10:
	s_or_b64 exec, exec, s[0:1]
	v_add_u32_e32 v12, v12, v1
	v_cmp_gt_u32_e32 vcc, s17, v12
	s_and_saveexec_b64 s[0:1], vcc
	s_cbranch_execz .LBB979_12
; %bb.11:
	v_mov_b32_e32 v13, 0
	v_subrev_u32_e32 v16, s15, v12
	v_mov_b32_e32 v17, v13
	v_lshl_add_u64 v[14:15], v[12:13], 2, s[4:5]
	v_lshl_add_u64 v[16:17], v[16:17], 2, s[6:7]
	v_cmp_gt_u32_e32 vcc, s15, v12
	s_nop 1
	v_cndmask_b32_e32 v15, v17, v15, vcc
	v_cndmask_b32_e32 v14, v16, v14, vcc
	global_load_dword v6, v[14:15], off
.LBB979_12:
	;; [unrolled: 17-line block ×4, first 2 shown]
	s_or_b64 exec, exec, s[0:1]
	v_add_u32_e32 v12, v12, v1
	v_cmp_gt_u32_e32 vcc, s17, v12
	s_and_saveexec_b64 s[0:1], vcc
	s_cbranch_execz .LBB979_18
; %bb.17:
	v_mov_b32_e32 v13, 0
	v_lshl_add_u64 v[14:15], v[12:13], 2, s[4:5]
	v_cmp_gt_u32_e32 vcc, s15, v12
	v_subrev_u32_e32 v12, s15, v12
	v_lshl_add_u64 v[12:13], v[12:13], 2, s[6:7]
	v_cndmask_b32_e32 v13, v13, v15, vcc
	v_cndmask_b32_e32 v12, v12, v14, vcc
	global_load_dword v9, v[12:13], off
.LBB979_18:
	s_or_b64 exec, exec, s[0:1]
.LBB979_19:
	v_lshlrev_b32_e32 v1, 3, v0
	v_min_u32_e32 v12, s17, v1
	v_sub_u32_e64 v11, v12, s13 clamp
	v_min_u32_e32 v13, s15, v12
	v_cmp_lt_u32_e32 vcc, v11, v13
	s_waitcnt vmcnt(0)
	ds_write2st64_b32 v10, v2, v3 offset1:2
	ds_write2st64_b32 v10, v4, v5 offset0:4 offset1:6
	ds_write2st64_b32 v10, v6, v7 offset0:8 offset1:10
	ds_write2st64_b32 v10, v8, v9 offset0:12 offset1:14
	s_waitcnt lgkmcnt(0)
	s_barrier
	s_and_saveexec_b64 s[0:1], vcc
	s_cbranch_execz .LBB979_23
; %bb.20:
	v_lshlrev_b32_e32 v14, 2, v12
	v_lshl_add_u32 v14, s15, 2, v14
	s_mov_b64 s[2:3], 0
.LBB979_21:                             ; =>This Inner Loop Header: Depth=1
	v_add_u32_e32 v15, v13, v11
	v_lshrrev_b32_e32 v15, 1, v15
	v_not_b32_e32 v16, v15
	v_lshlrev_b32_e32 v17, 2, v15
	v_lshl_add_u32 v16, v16, 2, v14
	ds_read_b32 v17, v17
	ds_read_b32 v16, v16
	v_add_u32_e32 v18, 1, v15
	s_waitcnt lgkmcnt(0)
	v_cmp_gt_u32_e32 vcc, v17, v16
	s_nop 1
	v_cndmask_b32_e32 v13, v13, v15, vcc
	v_cndmask_b32_e32 v11, v18, v11, vcc
	v_cmp_ge_u32_e32 vcc, v11, v13
	s_or_b64 s[2:3], vcc, s[2:3]
	s_andn2_b64 exec, exec, s[2:3]
	s_cbranch_execnz .LBB979_21
; %bb.22:
	s_or_b64 exec, exec, s[2:3]
.LBB979_23:
	s_or_b64 exec, exec, s[0:1]
	v_sub_u32_e32 v12, v12, v11
	v_add_u32_e32 v12, s15, v12
	v_cmp_ge_u32_e32 vcc, s15, v11
	v_cmp_ge_u32_e64 s[0:1], s17, v12
	s_or_b64 s[0:1], vcc, s[0:1]
	s_and_saveexec_b64 s[22:23], s[0:1]
	s_cbranch_execz .LBB979_29
; %bb.24:
	v_cmp_gt_u32_e32 vcc, s15, v11
                                        ; implicit-def: $vgpr2
	s_and_saveexec_b64 s[0:1], vcc
	s_cbranch_execz .LBB979_26
; %bb.25:
	v_lshlrev_b32_e32 v2, 2, v11
	ds_read_b32 v2, v2
.LBB979_26:
	s_or_b64 exec, exec, s[0:1]
	v_cmp_le_u32_e64 s[0:1], s17, v12
	v_cmp_gt_u32_e64 s[2:3], s17, v12
                                        ; implicit-def: $vgpr3
	s_and_saveexec_b64 s[4:5], s[2:3]
	s_cbranch_execz .LBB979_28
; %bb.27:
	v_lshlrev_b32_e32 v3, 2, v12
	ds_read_b32 v3, v3
.LBB979_28:
	s_or_b64 exec, exec, s[4:5]
	s_waitcnt lgkmcnt(0)
	v_cmp_le_u32_e64 s[2:3], v2, v3
	s_and_b64 s[2:3], vcc, s[2:3]
	s_or_b64 vcc, s[0:1], s[2:3]
	v_mov_b32_e32 v5, s17
	v_mov_b32_e32 v6, s15
	v_cndmask_b32_e32 v4, v12, v11, vcc
	v_cndmask_b32_e32 v7, v5, v6, vcc
	v_add_u32_e32 v4, 1, v4
	v_add_u32_e32 v7, -1, v7
	v_min_u32_e32 v7, v4, v7
	v_lshlrev_b32_e32 v7, 2, v7
	ds_read_b32 v7, v7
	v_cndmask_b32_e32 v9, v4, v12, vcc
	v_cndmask_b32_e32 v4, v11, v4, vcc
	v_cmp_gt_u32_e64 s[2:3], s15, v4
	v_cmp_le_u32_e64 s[0:1], s17, v9
	s_waitcnt lgkmcnt(0)
	v_cndmask_b32_e32 v8, v7, v3, vcc
	v_cndmask_b32_e32 v7, v2, v7, vcc
	v_cmp_le_u32_e64 s[4:5], v7, v8
	s_and_b64 s[2:3], s[2:3], s[4:5]
	s_or_b64 s[0:1], s[0:1], s[2:3]
	v_cndmask_b32_e64 v11, v9, v4, s[0:1]
	v_cndmask_b32_e64 v12, v5, v6, s[0:1]
	v_add_u32_e32 v11, 1, v11
	v_add_u32_e32 v12, -1, v12
	v_min_u32_e32 v12, v11, v12
	v_lshlrev_b32_e32 v12, 2, v12
	ds_read_b32 v12, v12
	v_cndmask_b32_e64 v4, v4, v11, s[0:1]
	v_cndmask_b32_e64 v9, v11, v9, s[0:1]
	v_cmp_gt_u32_e64 s[4:5], s15, v4
	v_cmp_le_u32_e64 s[2:3], s17, v9
	s_waitcnt lgkmcnt(0)
	v_cndmask_b32_e64 v13, v12, v8, s[0:1]
	v_cndmask_b32_e64 v12, v7, v12, s[0:1]
	v_cmp_le_u32_e64 s[6:7], v12, v13
	s_and_b64 s[4:5], s[4:5], s[6:7]
	s_or_b64 s[2:3], s[2:3], s[4:5]
	v_cndmask_b32_e64 v11, v9, v4, s[2:3]
	v_cndmask_b32_e64 v14, v5, v6, s[2:3]
	v_add_u32_e32 v11, 1, v11
	v_add_u32_e32 v14, -1, v14
	v_min_u32_e32 v14, v11, v14
	v_lshlrev_b32_e32 v14, 2, v14
	ds_read_b32 v14, v14
	v_cndmask_b32_e64 v4, v4, v11, s[2:3]
	v_cndmask_b32_e64 v9, v11, v9, s[2:3]
	v_cmp_gt_u32_e64 s[6:7], s15, v4
	v_cmp_le_u32_e64 s[4:5], s17, v9
	s_waitcnt lgkmcnt(0)
	v_cndmask_b32_e64 v15, v14, v13, s[2:3]
	v_cndmask_b32_e64 v14, v12, v14, s[2:3]
	;; [unrolled: 17-line block ×4, first 2 shown]
	v_cmp_le_u32_e64 s[12:13], v18, v19
	s_and_b64 s[10:11], s[10:11], s[12:13]
	s_or_b64 s[8:9], s[8:9], s[10:11]
	v_cndmask_b32_e64 v4, v9, v11, s[8:9]
	v_cndmask_b32_e64 v20, v5, v6, s[8:9]
	v_add_u32_e32 v21, 1, v4
	v_add_u32_e32 v4, -1, v20
	v_min_u32_e32 v4, v21, v4
	v_lshlrev_b32_e32 v4, 2, v4
	ds_read_b32 v20, v4
	v_cndmask_b32_e64 v4, v13, v12, s[2:3]
	v_cndmask_b32_e64 v11, v11, v21, s[8:9]
	v_cndmask_b32_e32 v2, v3, v2, vcc
	v_cndmask_b32_e64 v3, v8, v7, s[0:1]
	s_waitcnt lgkmcnt(0)
	v_cndmask_b32_e64 v12, v20, v19, s[8:9]
	v_cndmask_b32_e64 v13, v18, v20, s[8:9]
	;; [unrolled: 1-line block ×3, first 2 shown]
	v_cmp_gt_u32_e64 s[0:1], s15, v11
	v_cmp_le_u32_e64 s[2:3], v13, v12
	v_cmp_le_u32_e32 vcc, s17, v9
	s_and_b64 s[0:1], s[0:1], s[2:3]
	s_or_b64 vcc, vcc, s[0:1]
	v_cndmask_b32_e32 v7, v9, v11, vcc
	v_cndmask_b32_e32 v5, v5, v6, vcc
	v_add_u32_e32 v20, 1, v7
	v_add_u32_e32 v5, -1, v5
	v_min_u32_e32 v5, v20, v5
	v_lshlrev_b32_e32 v5, 2, v5
	ds_read_b32 v21, v5
	v_cndmask_b32_e32 v8, v12, v13, vcc
	v_cndmask_b32_e32 v11, v11, v20, vcc
	;; [unrolled: 1-line block ×3, first 2 shown]
	v_cmp_gt_u32_e64 s[0:1], s15, v11
	s_waitcnt lgkmcnt(0)
	v_cndmask_b32_e32 v12, v21, v12, vcc
	v_cndmask_b32_e32 v13, v13, v21, vcc
	v_cmp_le_u32_e64 s[2:3], v13, v12
	v_cmp_le_u32_e32 vcc, s17, v9
	s_and_b64 s[0:1], s[0:1], s[2:3]
	s_or_b64 vcc, vcc, s[0:1]
	v_cndmask_b32_e64 v5, v15, v14, s[4:5]
	v_cndmask_b32_e64 v6, v17, v16, s[6:7]
	;; [unrolled: 1-line block ×3, first 2 shown]
	v_cndmask_b32_e32 v9, v12, v13, vcc
.LBB979_29:
	s_or_b64 exec, exec, s[22:23]
	v_and_b32_e32 v11, 0x7c, v0
	v_lshl_add_u32 v1, v1, 2, v11
	s_barrier
	s_barrier
	ds_write2_b32 v1, v2, v3 offset1:1
	ds_write2_b32 v1, v4, v5 offset0:2 offset1:3
	ds_write2_b32 v1, v6, v7 offset0:4 offset1:5
	;; [unrolled: 1-line block ×3, first 2 shown]
	v_lshrrev_b32_e32 v1, 3, v0
	v_and_b32_e32 v1, 12, v1
	v_or_b32_e32 v12, 0x80, v0
	v_add_u32_e32 v13, v10, v1
	v_lshrrev_b32_e32 v1, 3, v12
	v_and_b32_e32 v1, 28, v1
	v_or_b32_e32 v9, 0x100, v0
	v_add_u32_e32 v14, v10, v1
	;; [unrolled: 4-line block ×6, first 2 shown]
	v_lshrrev_b32_e32 v1, 3, v4
	s_mov_b32 s17, 0
	v_and_b32_e32 v1, 0x6c, v1
	s_lshl_b64 s[0:1], s[16:17], 2
	v_add_u32_e32 v19, v10, v1
	v_or_b32_e32 v1, 0x380, v0
	s_add_u32 s0, s20, s0
	v_lshrrev_b32_e32 v2, 3, v1
	s_addc_u32 s1, s21, s1
	v_and_b32_e32 v2, 0x7c, v2
	v_mov_b32_e32 v11, 0
	v_add_u32_e32 v20, v10, v2
	v_lshl_add_u64 v[2:3], s[0:1], 0, v[10:11]
	s_and_b64 vcc, exec, s[18:19]
	s_waitcnt lgkmcnt(0)
	s_cbranch_vccz .LBB979_31
; %bb.30:
	s_barrier
	ds_read_b32 v10, v13
	ds_read_b32 v11, v14 offset:512
	ds_read_b32 v21, v15 offset:1024
	;; [unrolled: 1-line block ×7, first 2 shown]
	s_waitcnt lgkmcnt(7)
	global_store_dword v[2:3], v10, off
	s_waitcnt lgkmcnt(6)
	global_store_dword v[2:3], v11, off offset:512
	s_waitcnt lgkmcnt(5)
	global_store_dword v[2:3], v21, off offset:1024
	;; [unrolled: 2-line block ×6, first 2 shown]
	s_mov_b64 s[0:1], -1
	s_cbranch_execz .LBB979_32
	s_branch .LBB979_41
.LBB979_31:
	s_mov_b64 s[0:1], 0
                                        ; implicit-def: $vgpr7
.LBB979_32:
	s_barrier
	s_waitcnt lgkmcnt(0)
	ds_read_b32 v22, v14 offset:512
	ds_read_b32 v21, v15 offset:1024
	;; [unrolled: 1-line block ×7, first 2 shown]
	s_sub_i32 s2, s14, s16
	v_cmp_gt_u32_e32 vcc, s2, v0
	s_and_saveexec_b64 s[0:1], vcc
	s_cbranch_execnz .LBB979_46
; %bb.33:
	s_or_b64 exec, exec, s[0:1]
	v_cmp_gt_u32_e32 vcc, s2, v12
	s_and_saveexec_b64 s[0:1], vcc
	s_cbranch_execnz .LBB979_47
.LBB979_34:
	s_or_b64 exec, exec, s[0:1]
	v_cmp_gt_u32_e32 vcc, s2, v9
	s_and_saveexec_b64 s[0:1], vcc
	s_cbranch_execnz .LBB979_48
.LBB979_35:
	s_or_b64 exec, exec, s[0:1]
	v_cmp_gt_u32_e32 vcc, s2, v8
	s_and_saveexec_b64 s[0:1], vcc
	s_cbranch_execnz .LBB979_49
.LBB979_36:
	s_or_b64 exec, exec, s[0:1]
	v_cmp_gt_u32_e32 vcc, s2, v6
	s_and_saveexec_b64 s[0:1], vcc
	s_cbranch_execnz .LBB979_50
.LBB979_37:
	s_or_b64 exec, exec, s[0:1]
	v_cmp_gt_u32_e32 vcc, s2, v5
	s_and_saveexec_b64 s[0:1], vcc
	s_cbranch_execnz .LBB979_51
.LBB979_38:
	s_or_b64 exec, exec, s[0:1]
	v_cmp_gt_u32_e32 vcc, s2, v4
	s_and_saveexec_b64 s[0:1], vcc
	s_cbranch_execz .LBB979_40
.LBB979_39:
	s_waitcnt lgkmcnt(1)
	global_store_dword v[2:3], v10, off offset:3072
.LBB979_40:
	s_or_b64 exec, exec, s[0:1]
	v_cmp_gt_u32_e64 s[0:1], s2, v1
.LBB979_41:
	s_and_saveexec_b64 s[2:3], s[0:1]
	s_cbranch_execz .LBB979_43
; %bb.42:
	s_waitcnt lgkmcnt(0)
	global_store_dword v[2:3], v7, off offset:3584
.LBB979_43:
	s_endpgm
.LBB979_44:
	v_mov_b32_e32 v11, 0
	s_waitcnt vmcnt(5)
	v_subrev_u32_e32 v4, s15, v0
	s_waitcnt vmcnt(4)
	v_mov_b32_e32 v5, v11
	v_lshl_add_u64 v[2:3], s[4:5], 0, v[10:11]
	v_lshl_add_u64 v[4:5], v[4:5], 2, s[6:7]
	v_cmp_gt_u32_e32 vcc, s15, v0
	s_nop 1
	v_cndmask_b32_e32 v3, v5, v3, vcc
	v_cndmask_b32_e32 v2, v4, v2, vcc
	global_load_dword v2, v[2:3], off
	s_or_b64 exec, exec, s[0:1]
	v_cmp_gt_u32_e32 vcc, s17, v14
	s_and_saveexec_b64 s[0:1], vcc
	s_cbranch_execz .LBB979_6
.LBB979_45:
	v_mov_b32_e32 v15, 0
	v_lshl_add_u64 v[16:17], v[14:15], 2, s[4:5]
	v_cmp_gt_u32_e32 vcc, s15, v14
	v_subrev_u32_e32 v14, s15, v14
	v_lshl_add_u64 v[14:15], v[14:15], 2, s[6:7]
	v_cndmask_b32_e32 v15, v15, v17, vcc
	v_cndmask_b32_e32 v14, v14, v16, vcc
	global_load_dword v3, v[14:15], off
	s_or_b64 exec, exec, s[0:1]
	v_cmp_gt_u32_e32 vcc, s17, v12
	s_and_saveexec_b64 s[0:1], vcc
	s_cbranch_execnz .LBB979_7
	s_branch .LBB979_8
.LBB979_46:
	ds_read_b32 v0, v13
	s_waitcnt lgkmcnt(0)
	global_store_dword v[2:3], v0, off
	s_or_b64 exec, exec, s[0:1]
	v_cmp_gt_u32_e32 vcc, s2, v12
	s_and_saveexec_b64 s[0:1], vcc
	s_cbranch_execz .LBB979_34
.LBB979_47:
	s_waitcnt lgkmcnt(6)
	global_store_dword v[2:3], v22, off offset:512
	s_or_b64 exec, exec, s[0:1]
	v_cmp_gt_u32_e32 vcc, s2, v9
	s_and_saveexec_b64 s[0:1], vcc
	s_cbranch_execz .LBB979_35
.LBB979_48:
	s_waitcnt lgkmcnt(5)
	global_store_dword v[2:3], v21, off offset:1024
	s_or_b64 exec, exec, s[0:1]
	v_cmp_gt_u32_e32 vcc, s2, v8
	s_and_saveexec_b64 s[0:1], vcc
	s_cbranch_execz .LBB979_36
.LBB979_49:
	s_waitcnt lgkmcnt(4)
	global_store_dword v[2:3], v15, off offset:1536
	s_or_b64 exec, exec, s[0:1]
	v_cmp_gt_u32_e32 vcc, s2, v6
	s_and_saveexec_b64 s[0:1], vcc
	s_cbranch_execz .LBB979_37
.LBB979_50:
	s_waitcnt lgkmcnt(3)
	global_store_dword v[2:3], v14, off offset:2048
	s_or_b64 exec, exec, s[0:1]
	v_cmp_gt_u32_e32 vcc, s2, v5
	s_and_saveexec_b64 s[0:1], vcc
	s_cbranch_execz .LBB979_38
.LBB979_51:
	s_waitcnt lgkmcnt(2)
	global_store_dword v[2:3], v11, off offset:2560
	s_or_b64 exec, exec, s[0:1]
	v_cmp_gt_u32_e32 vcc, s2, v4
	s_and_saveexec_b64 s[0:1], vcc
	s_cbranch_execnz .LBB979_39
	s_branch .LBB979_40
	.section	.rodata,"a",@progbits
	.p2align	6, 0x0
	.amdhsa_kernel _ZN7rocprim17ROCPRIM_400000_NS6detail17trampoline_kernelINS0_14default_configENS1_38merge_sort_block_merge_config_selectorIjNS0_10empty_typeEEEZZNS1_27merge_sort_block_merge_implIS3_N6thrust23THRUST_200600_302600_NS6detail15normal_iteratorINS9_10device_ptrIjEEEEPS5_jNS1_19radix_merge_compareILb0ELb0EjNS0_19identity_decomposerEEEEE10hipError_tT0_T1_T2_jT3_P12ihipStream_tbPNSt15iterator_traitsISK_E10value_typeEPNSQ_ISL_E10value_typeEPSM_NS1_7vsmem_tEENKUlT_SK_SL_SM_E_clIPjSE_SF_SF_EESJ_SZ_SK_SL_SM_EUlSZ_E0_NS1_11comp_targetILNS1_3genE5ELNS1_11target_archE942ELNS1_3gpuE9ELNS1_3repE0EEENS1_38merge_mergepath_config_static_selectorELNS0_4arch9wavefront6targetE1EEEvSL_
		.amdhsa_group_segment_fixed_size 4224
		.amdhsa_private_segment_fixed_size 0
		.amdhsa_kernarg_size 320
		.amdhsa_user_sgpr_count 2
		.amdhsa_user_sgpr_dispatch_ptr 0
		.amdhsa_user_sgpr_queue_ptr 0
		.amdhsa_user_sgpr_kernarg_segment_ptr 1
		.amdhsa_user_sgpr_dispatch_id 0
		.amdhsa_user_sgpr_kernarg_preload_length 0
		.amdhsa_user_sgpr_kernarg_preload_offset 0
		.amdhsa_user_sgpr_private_segment_size 0
		.amdhsa_uses_dynamic_stack 0
		.amdhsa_enable_private_segment 0
		.amdhsa_system_sgpr_workgroup_id_x 1
		.amdhsa_system_sgpr_workgroup_id_y 1
		.amdhsa_system_sgpr_workgroup_id_z 1
		.amdhsa_system_sgpr_workgroup_info 0
		.amdhsa_system_vgpr_workitem_id 0
		.amdhsa_next_free_vgpr 26
		.amdhsa_next_free_sgpr 24
		.amdhsa_accum_offset 28
		.amdhsa_reserve_vcc 1
		.amdhsa_float_round_mode_32 0
		.amdhsa_float_round_mode_16_64 0
		.amdhsa_float_denorm_mode_32 3
		.amdhsa_float_denorm_mode_16_64 3
		.amdhsa_dx10_clamp 1
		.amdhsa_ieee_mode 1
		.amdhsa_fp16_overflow 0
		.amdhsa_tg_split 0
		.amdhsa_exception_fp_ieee_invalid_op 0
		.amdhsa_exception_fp_denorm_src 0
		.amdhsa_exception_fp_ieee_div_zero 0
		.amdhsa_exception_fp_ieee_overflow 0
		.amdhsa_exception_fp_ieee_underflow 0
		.amdhsa_exception_fp_ieee_inexact 0
		.amdhsa_exception_int_div_zero 0
	.end_amdhsa_kernel
	.section	.text._ZN7rocprim17ROCPRIM_400000_NS6detail17trampoline_kernelINS0_14default_configENS1_38merge_sort_block_merge_config_selectorIjNS0_10empty_typeEEEZZNS1_27merge_sort_block_merge_implIS3_N6thrust23THRUST_200600_302600_NS6detail15normal_iteratorINS9_10device_ptrIjEEEEPS5_jNS1_19radix_merge_compareILb0ELb0EjNS0_19identity_decomposerEEEEE10hipError_tT0_T1_T2_jT3_P12ihipStream_tbPNSt15iterator_traitsISK_E10value_typeEPNSQ_ISL_E10value_typeEPSM_NS1_7vsmem_tEENKUlT_SK_SL_SM_E_clIPjSE_SF_SF_EESJ_SZ_SK_SL_SM_EUlSZ_E0_NS1_11comp_targetILNS1_3genE5ELNS1_11target_archE942ELNS1_3gpuE9ELNS1_3repE0EEENS1_38merge_mergepath_config_static_selectorELNS0_4arch9wavefront6targetE1EEEvSL_,"axG",@progbits,_ZN7rocprim17ROCPRIM_400000_NS6detail17trampoline_kernelINS0_14default_configENS1_38merge_sort_block_merge_config_selectorIjNS0_10empty_typeEEEZZNS1_27merge_sort_block_merge_implIS3_N6thrust23THRUST_200600_302600_NS6detail15normal_iteratorINS9_10device_ptrIjEEEEPS5_jNS1_19radix_merge_compareILb0ELb0EjNS0_19identity_decomposerEEEEE10hipError_tT0_T1_T2_jT3_P12ihipStream_tbPNSt15iterator_traitsISK_E10value_typeEPNSQ_ISL_E10value_typeEPSM_NS1_7vsmem_tEENKUlT_SK_SL_SM_E_clIPjSE_SF_SF_EESJ_SZ_SK_SL_SM_EUlSZ_E0_NS1_11comp_targetILNS1_3genE5ELNS1_11target_archE942ELNS1_3gpuE9ELNS1_3repE0EEENS1_38merge_mergepath_config_static_selectorELNS0_4arch9wavefront6targetE1EEEvSL_,comdat
.Lfunc_end979:
	.size	_ZN7rocprim17ROCPRIM_400000_NS6detail17trampoline_kernelINS0_14default_configENS1_38merge_sort_block_merge_config_selectorIjNS0_10empty_typeEEEZZNS1_27merge_sort_block_merge_implIS3_N6thrust23THRUST_200600_302600_NS6detail15normal_iteratorINS9_10device_ptrIjEEEEPS5_jNS1_19radix_merge_compareILb0ELb0EjNS0_19identity_decomposerEEEEE10hipError_tT0_T1_T2_jT3_P12ihipStream_tbPNSt15iterator_traitsISK_E10value_typeEPNSQ_ISL_E10value_typeEPSM_NS1_7vsmem_tEENKUlT_SK_SL_SM_E_clIPjSE_SF_SF_EESJ_SZ_SK_SL_SM_EUlSZ_E0_NS1_11comp_targetILNS1_3genE5ELNS1_11target_archE942ELNS1_3gpuE9ELNS1_3repE0EEENS1_38merge_mergepath_config_static_selectorELNS0_4arch9wavefront6targetE1EEEvSL_, .Lfunc_end979-_ZN7rocprim17ROCPRIM_400000_NS6detail17trampoline_kernelINS0_14default_configENS1_38merge_sort_block_merge_config_selectorIjNS0_10empty_typeEEEZZNS1_27merge_sort_block_merge_implIS3_N6thrust23THRUST_200600_302600_NS6detail15normal_iteratorINS9_10device_ptrIjEEEEPS5_jNS1_19radix_merge_compareILb0ELb0EjNS0_19identity_decomposerEEEEE10hipError_tT0_T1_T2_jT3_P12ihipStream_tbPNSt15iterator_traitsISK_E10value_typeEPNSQ_ISL_E10value_typeEPSM_NS1_7vsmem_tEENKUlT_SK_SL_SM_E_clIPjSE_SF_SF_EESJ_SZ_SK_SL_SM_EUlSZ_E0_NS1_11comp_targetILNS1_3genE5ELNS1_11target_archE942ELNS1_3gpuE9ELNS1_3repE0EEENS1_38merge_mergepath_config_static_selectorELNS0_4arch9wavefront6targetE1EEEvSL_
                                        ; -- End function
	.section	.AMDGPU.csdata,"",@progbits
; Kernel info:
; codeLenInByte = 3264
; NumSgprs: 30
; NumVgprs: 26
; NumAgprs: 0
; TotalNumVgprs: 26
; ScratchSize: 0
; MemoryBound: 0
; FloatMode: 240
; IeeeMode: 1
; LDSByteSize: 4224 bytes/workgroup (compile time only)
; SGPRBlocks: 3
; VGPRBlocks: 3
; NumSGPRsForWavesPerEU: 30
; NumVGPRsForWavesPerEU: 26
; AccumOffset: 28
; Occupancy: 8
; WaveLimiterHint : 1
; COMPUTE_PGM_RSRC2:SCRATCH_EN: 0
; COMPUTE_PGM_RSRC2:USER_SGPR: 2
; COMPUTE_PGM_RSRC2:TRAP_HANDLER: 0
; COMPUTE_PGM_RSRC2:TGID_X_EN: 1
; COMPUTE_PGM_RSRC2:TGID_Y_EN: 1
; COMPUTE_PGM_RSRC2:TGID_Z_EN: 1
; COMPUTE_PGM_RSRC2:TIDIG_COMP_CNT: 0
; COMPUTE_PGM_RSRC3_GFX90A:ACCUM_OFFSET: 6
; COMPUTE_PGM_RSRC3_GFX90A:TG_SPLIT: 0
	.section	.text._ZN7rocprim17ROCPRIM_400000_NS6detail17trampoline_kernelINS0_14default_configENS1_38merge_sort_block_merge_config_selectorIjNS0_10empty_typeEEEZZNS1_27merge_sort_block_merge_implIS3_N6thrust23THRUST_200600_302600_NS6detail15normal_iteratorINS9_10device_ptrIjEEEEPS5_jNS1_19radix_merge_compareILb0ELb0EjNS0_19identity_decomposerEEEEE10hipError_tT0_T1_T2_jT3_P12ihipStream_tbPNSt15iterator_traitsISK_E10value_typeEPNSQ_ISL_E10value_typeEPSM_NS1_7vsmem_tEENKUlT_SK_SL_SM_E_clIPjSE_SF_SF_EESJ_SZ_SK_SL_SM_EUlSZ_E0_NS1_11comp_targetILNS1_3genE4ELNS1_11target_archE910ELNS1_3gpuE8ELNS1_3repE0EEENS1_38merge_mergepath_config_static_selectorELNS0_4arch9wavefront6targetE1EEEvSL_,"axG",@progbits,_ZN7rocprim17ROCPRIM_400000_NS6detail17trampoline_kernelINS0_14default_configENS1_38merge_sort_block_merge_config_selectorIjNS0_10empty_typeEEEZZNS1_27merge_sort_block_merge_implIS3_N6thrust23THRUST_200600_302600_NS6detail15normal_iteratorINS9_10device_ptrIjEEEEPS5_jNS1_19radix_merge_compareILb0ELb0EjNS0_19identity_decomposerEEEEE10hipError_tT0_T1_T2_jT3_P12ihipStream_tbPNSt15iterator_traitsISK_E10value_typeEPNSQ_ISL_E10value_typeEPSM_NS1_7vsmem_tEENKUlT_SK_SL_SM_E_clIPjSE_SF_SF_EESJ_SZ_SK_SL_SM_EUlSZ_E0_NS1_11comp_targetILNS1_3genE4ELNS1_11target_archE910ELNS1_3gpuE8ELNS1_3repE0EEENS1_38merge_mergepath_config_static_selectorELNS0_4arch9wavefront6targetE1EEEvSL_,comdat
	.protected	_ZN7rocprim17ROCPRIM_400000_NS6detail17trampoline_kernelINS0_14default_configENS1_38merge_sort_block_merge_config_selectorIjNS0_10empty_typeEEEZZNS1_27merge_sort_block_merge_implIS3_N6thrust23THRUST_200600_302600_NS6detail15normal_iteratorINS9_10device_ptrIjEEEEPS5_jNS1_19radix_merge_compareILb0ELb0EjNS0_19identity_decomposerEEEEE10hipError_tT0_T1_T2_jT3_P12ihipStream_tbPNSt15iterator_traitsISK_E10value_typeEPNSQ_ISL_E10value_typeEPSM_NS1_7vsmem_tEENKUlT_SK_SL_SM_E_clIPjSE_SF_SF_EESJ_SZ_SK_SL_SM_EUlSZ_E0_NS1_11comp_targetILNS1_3genE4ELNS1_11target_archE910ELNS1_3gpuE8ELNS1_3repE0EEENS1_38merge_mergepath_config_static_selectorELNS0_4arch9wavefront6targetE1EEEvSL_ ; -- Begin function _ZN7rocprim17ROCPRIM_400000_NS6detail17trampoline_kernelINS0_14default_configENS1_38merge_sort_block_merge_config_selectorIjNS0_10empty_typeEEEZZNS1_27merge_sort_block_merge_implIS3_N6thrust23THRUST_200600_302600_NS6detail15normal_iteratorINS9_10device_ptrIjEEEEPS5_jNS1_19radix_merge_compareILb0ELb0EjNS0_19identity_decomposerEEEEE10hipError_tT0_T1_T2_jT3_P12ihipStream_tbPNSt15iterator_traitsISK_E10value_typeEPNSQ_ISL_E10value_typeEPSM_NS1_7vsmem_tEENKUlT_SK_SL_SM_E_clIPjSE_SF_SF_EESJ_SZ_SK_SL_SM_EUlSZ_E0_NS1_11comp_targetILNS1_3genE4ELNS1_11target_archE910ELNS1_3gpuE8ELNS1_3repE0EEENS1_38merge_mergepath_config_static_selectorELNS0_4arch9wavefront6targetE1EEEvSL_
	.globl	_ZN7rocprim17ROCPRIM_400000_NS6detail17trampoline_kernelINS0_14default_configENS1_38merge_sort_block_merge_config_selectorIjNS0_10empty_typeEEEZZNS1_27merge_sort_block_merge_implIS3_N6thrust23THRUST_200600_302600_NS6detail15normal_iteratorINS9_10device_ptrIjEEEEPS5_jNS1_19radix_merge_compareILb0ELb0EjNS0_19identity_decomposerEEEEE10hipError_tT0_T1_T2_jT3_P12ihipStream_tbPNSt15iterator_traitsISK_E10value_typeEPNSQ_ISL_E10value_typeEPSM_NS1_7vsmem_tEENKUlT_SK_SL_SM_E_clIPjSE_SF_SF_EESJ_SZ_SK_SL_SM_EUlSZ_E0_NS1_11comp_targetILNS1_3genE4ELNS1_11target_archE910ELNS1_3gpuE8ELNS1_3repE0EEENS1_38merge_mergepath_config_static_selectorELNS0_4arch9wavefront6targetE1EEEvSL_
	.p2align	8
	.type	_ZN7rocprim17ROCPRIM_400000_NS6detail17trampoline_kernelINS0_14default_configENS1_38merge_sort_block_merge_config_selectorIjNS0_10empty_typeEEEZZNS1_27merge_sort_block_merge_implIS3_N6thrust23THRUST_200600_302600_NS6detail15normal_iteratorINS9_10device_ptrIjEEEEPS5_jNS1_19radix_merge_compareILb0ELb0EjNS0_19identity_decomposerEEEEE10hipError_tT0_T1_T2_jT3_P12ihipStream_tbPNSt15iterator_traitsISK_E10value_typeEPNSQ_ISL_E10value_typeEPSM_NS1_7vsmem_tEENKUlT_SK_SL_SM_E_clIPjSE_SF_SF_EESJ_SZ_SK_SL_SM_EUlSZ_E0_NS1_11comp_targetILNS1_3genE4ELNS1_11target_archE910ELNS1_3gpuE8ELNS1_3repE0EEENS1_38merge_mergepath_config_static_selectorELNS0_4arch9wavefront6targetE1EEEvSL_,@function
_ZN7rocprim17ROCPRIM_400000_NS6detail17trampoline_kernelINS0_14default_configENS1_38merge_sort_block_merge_config_selectorIjNS0_10empty_typeEEEZZNS1_27merge_sort_block_merge_implIS3_N6thrust23THRUST_200600_302600_NS6detail15normal_iteratorINS9_10device_ptrIjEEEEPS5_jNS1_19radix_merge_compareILb0ELb0EjNS0_19identity_decomposerEEEEE10hipError_tT0_T1_T2_jT3_P12ihipStream_tbPNSt15iterator_traitsISK_E10value_typeEPNSQ_ISL_E10value_typeEPSM_NS1_7vsmem_tEENKUlT_SK_SL_SM_E_clIPjSE_SF_SF_EESJ_SZ_SK_SL_SM_EUlSZ_E0_NS1_11comp_targetILNS1_3genE4ELNS1_11target_archE910ELNS1_3gpuE8ELNS1_3repE0EEENS1_38merge_mergepath_config_static_selectorELNS0_4arch9wavefront6targetE1EEEvSL_: ; @_ZN7rocprim17ROCPRIM_400000_NS6detail17trampoline_kernelINS0_14default_configENS1_38merge_sort_block_merge_config_selectorIjNS0_10empty_typeEEEZZNS1_27merge_sort_block_merge_implIS3_N6thrust23THRUST_200600_302600_NS6detail15normal_iteratorINS9_10device_ptrIjEEEEPS5_jNS1_19radix_merge_compareILb0ELb0EjNS0_19identity_decomposerEEEEE10hipError_tT0_T1_T2_jT3_P12ihipStream_tbPNSt15iterator_traitsISK_E10value_typeEPNSQ_ISL_E10value_typeEPSM_NS1_7vsmem_tEENKUlT_SK_SL_SM_E_clIPjSE_SF_SF_EESJ_SZ_SK_SL_SM_EUlSZ_E0_NS1_11comp_targetILNS1_3genE4ELNS1_11target_archE910ELNS1_3gpuE8ELNS1_3repE0EEENS1_38merge_mergepath_config_static_selectorELNS0_4arch9wavefront6targetE1EEEvSL_
; %bb.0:
	.section	.rodata,"a",@progbits
	.p2align	6, 0x0
	.amdhsa_kernel _ZN7rocprim17ROCPRIM_400000_NS6detail17trampoline_kernelINS0_14default_configENS1_38merge_sort_block_merge_config_selectorIjNS0_10empty_typeEEEZZNS1_27merge_sort_block_merge_implIS3_N6thrust23THRUST_200600_302600_NS6detail15normal_iteratorINS9_10device_ptrIjEEEEPS5_jNS1_19radix_merge_compareILb0ELb0EjNS0_19identity_decomposerEEEEE10hipError_tT0_T1_T2_jT3_P12ihipStream_tbPNSt15iterator_traitsISK_E10value_typeEPNSQ_ISL_E10value_typeEPSM_NS1_7vsmem_tEENKUlT_SK_SL_SM_E_clIPjSE_SF_SF_EESJ_SZ_SK_SL_SM_EUlSZ_E0_NS1_11comp_targetILNS1_3genE4ELNS1_11target_archE910ELNS1_3gpuE8ELNS1_3repE0EEENS1_38merge_mergepath_config_static_selectorELNS0_4arch9wavefront6targetE1EEEvSL_
		.amdhsa_group_segment_fixed_size 0
		.amdhsa_private_segment_fixed_size 0
		.amdhsa_kernarg_size 64
		.amdhsa_user_sgpr_count 2
		.amdhsa_user_sgpr_dispatch_ptr 0
		.amdhsa_user_sgpr_queue_ptr 0
		.amdhsa_user_sgpr_kernarg_segment_ptr 1
		.amdhsa_user_sgpr_dispatch_id 0
		.amdhsa_user_sgpr_kernarg_preload_length 0
		.amdhsa_user_sgpr_kernarg_preload_offset 0
		.amdhsa_user_sgpr_private_segment_size 0
		.amdhsa_uses_dynamic_stack 0
		.amdhsa_enable_private_segment 0
		.amdhsa_system_sgpr_workgroup_id_x 1
		.amdhsa_system_sgpr_workgroup_id_y 0
		.amdhsa_system_sgpr_workgroup_id_z 0
		.amdhsa_system_sgpr_workgroup_info 0
		.amdhsa_system_vgpr_workitem_id 0
		.amdhsa_next_free_vgpr 1
		.amdhsa_next_free_sgpr 0
		.amdhsa_accum_offset 4
		.amdhsa_reserve_vcc 0
		.amdhsa_float_round_mode_32 0
		.amdhsa_float_round_mode_16_64 0
		.amdhsa_float_denorm_mode_32 3
		.amdhsa_float_denorm_mode_16_64 3
		.amdhsa_dx10_clamp 1
		.amdhsa_ieee_mode 1
		.amdhsa_fp16_overflow 0
		.amdhsa_tg_split 0
		.amdhsa_exception_fp_ieee_invalid_op 0
		.amdhsa_exception_fp_denorm_src 0
		.amdhsa_exception_fp_ieee_div_zero 0
		.amdhsa_exception_fp_ieee_overflow 0
		.amdhsa_exception_fp_ieee_underflow 0
		.amdhsa_exception_fp_ieee_inexact 0
		.amdhsa_exception_int_div_zero 0
	.end_amdhsa_kernel
	.section	.text._ZN7rocprim17ROCPRIM_400000_NS6detail17trampoline_kernelINS0_14default_configENS1_38merge_sort_block_merge_config_selectorIjNS0_10empty_typeEEEZZNS1_27merge_sort_block_merge_implIS3_N6thrust23THRUST_200600_302600_NS6detail15normal_iteratorINS9_10device_ptrIjEEEEPS5_jNS1_19radix_merge_compareILb0ELb0EjNS0_19identity_decomposerEEEEE10hipError_tT0_T1_T2_jT3_P12ihipStream_tbPNSt15iterator_traitsISK_E10value_typeEPNSQ_ISL_E10value_typeEPSM_NS1_7vsmem_tEENKUlT_SK_SL_SM_E_clIPjSE_SF_SF_EESJ_SZ_SK_SL_SM_EUlSZ_E0_NS1_11comp_targetILNS1_3genE4ELNS1_11target_archE910ELNS1_3gpuE8ELNS1_3repE0EEENS1_38merge_mergepath_config_static_selectorELNS0_4arch9wavefront6targetE1EEEvSL_,"axG",@progbits,_ZN7rocprim17ROCPRIM_400000_NS6detail17trampoline_kernelINS0_14default_configENS1_38merge_sort_block_merge_config_selectorIjNS0_10empty_typeEEEZZNS1_27merge_sort_block_merge_implIS3_N6thrust23THRUST_200600_302600_NS6detail15normal_iteratorINS9_10device_ptrIjEEEEPS5_jNS1_19radix_merge_compareILb0ELb0EjNS0_19identity_decomposerEEEEE10hipError_tT0_T1_T2_jT3_P12ihipStream_tbPNSt15iterator_traitsISK_E10value_typeEPNSQ_ISL_E10value_typeEPSM_NS1_7vsmem_tEENKUlT_SK_SL_SM_E_clIPjSE_SF_SF_EESJ_SZ_SK_SL_SM_EUlSZ_E0_NS1_11comp_targetILNS1_3genE4ELNS1_11target_archE910ELNS1_3gpuE8ELNS1_3repE0EEENS1_38merge_mergepath_config_static_selectorELNS0_4arch9wavefront6targetE1EEEvSL_,comdat
.Lfunc_end980:
	.size	_ZN7rocprim17ROCPRIM_400000_NS6detail17trampoline_kernelINS0_14default_configENS1_38merge_sort_block_merge_config_selectorIjNS0_10empty_typeEEEZZNS1_27merge_sort_block_merge_implIS3_N6thrust23THRUST_200600_302600_NS6detail15normal_iteratorINS9_10device_ptrIjEEEEPS5_jNS1_19radix_merge_compareILb0ELb0EjNS0_19identity_decomposerEEEEE10hipError_tT0_T1_T2_jT3_P12ihipStream_tbPNSt15iterator_traitsISK_E10value_typeEPNSQ_ISL_E10value_typeEPSM_NS1_7vsmem_tEENKUlT_SK_SL_SM_E_clIPjSE_SF_SF_EESJ_SZ_SK_SL_SM_EUlSZ_E0_NS1_11comp_targetILNS1_3genE4ELNS1_11target_archE910ELNS1_3gpuE8ELNS1_3repE0EEENS1_38merge_mergepath_config_static_selectorELNS0_4arch9wavefront6targetE1EEEvSL_, .Lfunc_end980-_ZN7rocprim17ROCPRIM_400000_NS6detail17trampoline_kernelINS0_14default_configENS1_38merge_sort_block_merge_config_selectorIjNS0_10empty_typeEEEZZNS1_27merge_sort_block_merge_implIS3_N6thrust23THRUST_200600_302600_NS6detail15normal_iteratorINS9_10device_ptrIjEEEEPS5_jNS1_19radix_merge_compareILb0ELb0EjNS0_19identity_decomposerEEEEE10hipError_tT0_T1_T2_jT3_P12ihipStream_tbPNSt15iterator_traitsISK_E10value_typeEPNSQ_ISL_E10value_typeEPSM_NS1_7vsmem_tEENKUlT_SK_SL_SM_E_clIPjSE_SF_SF_EESJ_SZ_SK_SL_SM_EUlSZ_E0_NS1_11comp_targetILNS1_3genE4ELNS1_11target_archE910ELNS1_3gpuE8ELNS1_3repE0EEENS1_38merge_mergepath_config_static_selectorELNS0_4arch9wavefront6targetE1EEEvSL_
                                        ; -- End function
	.section	.AMDGPU.csdata,"",@progbits
; Kernel info:
; codeLenInByte = 0
; NumSgprs: 6
; NumVgprs: 0
; NumAgprs: 0
; TotalNumVgprs: 0
; ScratchSize: 0
; MemoryBound: 0
; FloatMode: 240
; IeeeMode: 1
; LDSByteSize: 0 bytes/workgroup (compile time only)
; SGPRBlocks: 0
; VGPRBlocks: 0
; NumSGPRsForWavesPerEU: 6
; NumVGPRsForWavesPerEU: 1
; AccumOffset: 4
; Occupancy: 8
; WaveLimiterHint : 0
; COMPUTE_PGM_RSRC2:SCRATCH_EN: 0
; COMPUTE_PGM_RSRC2:USER_SGPR: 2
; COMPUTE_PGM_RSRC2:TRAP_HANDLER: 0
; COMPUTE_PGM_RSRC2:TGID_X_EN: 1
; COMPUTE_PGM_RSRC2:TGID_Y_EN: 0
; COMPUTE_PGM_RSRC2:TGID_Z_EN: 0
; COMPUTE_PGM_RSRC2:TIDIG_COMP_CNT: 0
; COMPUTE_PGM_RSRC3_GFX90A:ACCUM_OFFSET: 0
; COMPUTE_PGM_RSRC3_GFX90A:TG_SPLIT: 0
	.section	.text._ZN7rocprim17ROCPRIM_400000_NS6detail17trampoline_kernelINS0_14default_configENS1_38merge_sort_block_merge_config_selectorIjNS0_10empty_typeEEEZZNS1_27merge_sort_block_merge_implIS3_N6thrust23THRUST_200600_302600_NS6detail15normal_iteratorINS9_10device_ptrIjEEEEPS5_jNS1_19radix_merge_compareILb0ELb0EjNS0_19identity_decomposerEEEEE10hipError_tT0_T1_T2_jT3_P12ihipStream_tbPNSt15iterator_traitsISK_E10value_typeEPNSQ_ISL_E10value_typeEPSM_NS1_7vsmem_tEENKUlT_SK_SL_SM_E_clIPjSE_SF_SF_EESJ_SZ_SK_SL_SM_EUlSZ_E0_NS1_11comp_targetILNS1_3genE3ELNS1_11target_archE908ELNS1_3gpuE7ELNS1_3repE0EEENS1_38merge_mergepath_config_static_selectorELNS0_4arch9wavefront6targetE1EEEvSL_,"axG",@progbits,_ZN7rocprim17ROCPRIM_400000_NS6detail17trampoline_kernelINS0_14default_configENS1_38merge_sort_block_merge_config_selectorIjNS0_10empty_typeEEEZZNS1_27merge_sort_block_merge_implIS3_N6thrust23THRUST_200600_302600_NS6detail15normal_iteratorINS9_10device_ptrIjEEEEPS5_jNS1_19radix_merge_compareILb0ELb0EjNS0_19identity_decomposerEEEEE10hipError_tT0_T1_T2_jT3_P12ihipStream_tbPNSt15iterator_traitsISK_E10value_typeEPNSQ_ISL_E10value_typeEPSM_NS1_7vsmem_tEENKUlT_SK_SL_SM_E_clIPjSE_SF_SF_EESJ_SZ_SK_SL_SM_EUlSZ_E0_NS1_11comp_targetILNS1_3genE3ELNS1_11target_archE908ELNS1_3gpuE7ELNS1_3repE0EEENS1_38merge_mergepath_config_static_selectorELNS0_4arch9wavefront6targetE1EEEvSL_,comdat
	.protected	_ZN7rocprim17ROCPRIM_400000_NS6detail17trampoline_kernelINS0_14default_configENS1_38merge_sort_block_merge_config_selectorIjNS0_10empty_typeEEEZZNS1_27merge_sort_block_merge_implIS3_N6thrust23THRUST_200600_302600_NS6detail15normal_iteratorINS9_10device_ptrIjEEEEPS5_jNS1_19radix_merge_compareILb0ELb0EjNS0_19identity_decomposerEEEEE10hipError_tT0_T1_T2_jT3_P12ihipStream_tbPNSt15iterator_traitsISK_E10value_typeEPNSQ_ISL_E10value_typeEPSM_NS1_7vsmem_tEENKUlT_SK_SL_SM_E_clIPjSE_SF_SF_EESJ_SZ_SK_SL_SM_EUlSZ_E0_NS1_11comp_targetILNS1_3genE3ELNS1_11target_archE908ELNS1_3gpuE7ELNS1_3repE0EEENS1_38merge_mergepath_config_static_selectorELNS0_4arch9wavefront6targetE1EEEvSL_ ; -- Begin function _ZN7rocprim17ROCPRIM_400000_NS6detail17trampoline_kernelINS0_14default_configENS1_38merge_sort_block_merge_config_selectorIjNS0_10empty_typeEEEZZNS1_27merge_sort_block_merge_implIS3_N6thrust23THRUST_200600_302600_NS6detail15normal_iteratorINS9_10device_ptrIjEEEEPS5_jNS1_19radix_merge_compareILb0ELb0EjNS0_19identity_decomposerEEEEE10hipError_tT0_T1_T2_jT3_P12ihipStream_tbPNSt15iterator_traitsISK_E10value_typeEPNSQ_ISL_E10value_typeEPSM_NS1_7vsmem_tEENKUlT_SK_SL_SM_E_clIPjSE_SF_SF_EESJ_SZ_SK_SL_SM_EUlSZ_E0_NS1_11comp_targetILNS1_3genE3ELNS1_11target_archE908ELNS1_3gpuE7ELNS1_3repE0EEENS1_38merge_mergepath_config_static_selectorELNS0_4arch9wavefront6targetE1EEEvSL_
	.globl	_ZN7rocprim17ROCPRIM_400000_NS6detail17trampoline_kernelINS0_14default_configENS1_38merge_sort_block_merge_config_selectorIjNS0_10empty_typeEEEZZNS1_27merge_sort_block_merge_implIS3_N6thrust23THRUST_200600_302600_NS6detail15normal_iteratorINS9_10device_ptrIjEEEEPS5_jNS1_19radix_merge_compareILb0ELb0EjNS0_19identity_decomposerEEEEE10hipError_tT0_T1_T2_jT3_P12ihipStream_tbPNSt15iterator_traitsISK_E10value_typeEPNSQ_ISL_E10value_typeEPSM_NS1_7vsmem_tEENKUlT_SK_SL_SM_E_clIPjSE_SF_SF_EESJ_SZ_SK_SL_SM_EUlSZ_E0_NS1_11comp_targetILNS1_3genE3ELNS1_11target_archE908ELNS1_3gpuE7ELNS1_3repE0EEENS1_38merge_mergepath_config_static_selectorELNS0_4arch9wavefront6targetE1EEEvSL_
	.p2align	8
	.type	_ZN7rocprim17ROCPRIM_400000_NS6detail17trampoline_kernelINS0_14default_configENS1_38merge_sort_block_merge_config_selectorIjNS0_10empty_typeEEEZZNS1_27merge_sort_block_merge_implIS3_N6thrust23THRUST_200600_302600_NS6detail15normal_iteratorINS9_10device_ptrIjEEEEPS5_jNS1_19radix_merge_compareILb0ELb0EjNS0_19identity_decomposerEEEEE10hipError_tT0_T1_T2_jT3_P12ihipStream_tbPNSt15iterator_traitsISK_E10value_typeEPNSQ_ISL_E10value_typeEPSM_NS1_7vsmem_tEENKUlT_SK_SL_SM_E_clIPjSE_SF_SF_EESJ_SZ_SK_SL_SM_EUlSZ_E0_NS1_11comp_targetILNS1_3genE3ELNS1_11target_archE908ELNS1_3gpuE7ELNS1_3repE0EEENS1_38merge_mergepath_config_static_selectorELNS0_4arch9wavefront6targetE1EEEvSL_,@function
_ZN7rocprim17ROCPRIM_400000_NS6detail17trampoline_kernelINS0_14default_configENS1_38merge_sort_block_merge_config_selectorIjNS0_10empty_typeEEEZZNS1_27merge_sort_block_merge_implIS3_N6thrust23THRUST_200600_302600_NS6detail15normal_iteratorINS9_10device_ptrIjEEEEPS5_jNS1_19radix_merge_compareILb0ELb0EjNS0_19identity_decomposerEEEEE10hipError_tT0_T1_T2_jT3_P12ihipStream_tbPNSt15iterator_traitsISK_E10value_typeEPNSQ_ISL_E10value_typeEPSM_NS1_7vsmem_tEENKUlT_SK_SL_SM_E_clIPjSE_SF_SF_EESJ_SZ_SK_SL_SM_EUlSZ_E0_NS1_11comp_targetILNS1_3genE3ELNS1_11target_archE908ELNS1_3gpuE7ELNS1_3repE0EEENS1_38merge_mergepath_config_static_selectorELNS0_4arch9wavefront6targetE1EEEvSL_: ; @_ZN7rocprim17ROCPRIM_400000_NS6detail17trampoline_kernelINS0_14default_configENS1_38merge_sort_block_merge_config_selectorIjNS0_10empty_typeEEEZZNS1_27merge_sort_block_merge_implIS3_N6thrust23THRUST_200600_302600_NS6detail15normal_iteratorINS9_10device_ptrIjEEEEPS5_jNS1_19radix_merge_compareILb0ELb0EjNS0_19identity_decomposerEEEEE10hipError_tT0_T1_T2_jT3_P12ihipStream_tbPNSt15iterator_traitsISK_E10value_typeEPNSQ_ISL_E10value_typeEPSM_NS1_7vsmem_tEENKUlT_SK_SL_SM_E_clIPjSE_SF_SF_EESJ_SZ_SK_SL_SM_EUlSZ_E0_NS1_11comp_targetILNS1_3genE3ELNS1_11target_archE908ELNS1_3gpuE7ELNS1_3repE0EEENS1_38merge_mergepath_config_static_selectorELNS0_4arch9wavefront6targetE1EEEvSL_
; %bb.0:
	.section	.rodata,"a",@progbits
	.p2align	6, 0x0
	.amdhsa_kernel _ZN7rocprim17ROCPRIM_400000_NS6detail17trampoline_kernelINS0_14default_configENS1_38merge_sort_block_merge_config_selectorIjNS0_10empty_typeEEEZZNS1_27merge_sort_block_merge_implIS3_N6thrust23THRUST_200600_302600_NS6detail15normal_iteratorINS9_10device_ptrIjEEEEPS5_jNS1_19radix_merge_compareILb0ELb0EjNS0_19identity_decomposerEEEEE10hipError_tT0_T1_T2_jT3_P12ihipStream_tbPNSt15iterator_traitsISK_E10value_typeEPNSQ_ISL_E10value_typeEPSM_NS1_7vsmem_tEENKUlT_SK_SL_SM_E_clIPjSE_SF_SF_EESJ_SZ_SK_SL_SM_EUlSZ_E0_NS1_11comp_targetILNS1_3genE3ELNS1_11target_archE908ELNS1_3gpuE7ELNS1_3repE0EEENS1_38merge_mergepath_config_static_selectorELNS0_4arch9wavefront6targetE1EEEvSL_
		.amdhsa_group_segment_fixed_size 0
		.amdhsa_private_segment_fixed_size 0
		.amdhsa_kernarg_size 64
		.amdhsa_user_sgpr_count 2
		.amdhsa_user_sgpr_dispatch_ptr 0
		.amdhsa_user_sgpr_queue_ptr 0
		.amdhsa_user_sgpr_kernarg_segment_ptr 1
		.amdhsa_user_sgpr_dispatch_id 0
		.amdhsa_user_sgpr_kernarg_preload_length 0
		.amdhsa_user_sgpr_kernarg_preload_offset 0
		.amdhsa_user_sgpr_private_segment_size 0
		.amdhsa_uses_dynamic_stack 0
		.amdhsa_enable_private_segment 0
		.amdhsa_system_sgpr_workgroup_id_x 1
		.amdhsa_system_sgpr_workgroup_id_y 0
		.amdhsa_system_sgpr_workgroup_id_z 0
		.amdhsa_system_sgpr_workgroup_info 0
		.amdhsa_system_vgpr_workitem_id 0
		.amdhsa_next_free_vgpr 1
		.amdhsa_next_free_sgpr 0
		.amdhsa_accum_offset 4
		.amdhsa_reserve_vcc 0
		.amdhsa_float_round_mode_32 0
		.amdhsa_float_round_mode_16_64 0
		.amdhsa_float_denorm_mode_32 3
		.amdhsa_float_denorm_mode_16_64 3
		.amdhsa_dx10_clamp 1
		.amdhsa_ieee_mode 1
		.amdhsa_fp16_overflow 0
		.amdhsa_tg_split 0
		.amdhsa_exception_fp_ieee_invalid_op 0
		.amdhsa_exception_fp_denorm_src 0
		.amdhsa_exception_fp_ieee_div_zero 0
		.amdhsa_exception_fp_ieee_overflow 0
		.amdhsa_exception_fp_ieee_underflow 0
		.amdhsa_exception_fp_ieee_inexact 0
		.amdhsa_exception_int_div_zero 0
	.end_amdhsa_kernel
	.section	.text._ZN7rocprim17ROCPRIM_400000_NS6detail17trampoline_kernelINS0_14default_configENS1_38merge_sort_block_merge_config_selectorIjNS0_10empty_typeEEEZZNS1_27merge_sort_block_merge_implIS3_N6thrust23THRUST_200600_302600_NS6detail15normal_iteratorINS9_10device_ptrIjEEEEPS5_jNS1_19radix_merge_compareILb0ELb0EjNS0_19identity_decomposerEEEEE10hipError_tT0_T1_T2_jT3_P12ihipStream_tbPNSt15iterator_traitsISK_E10value_typeEPNSQ_ISL_E10value_typeEPSM_NS1_7vsmem_tEENKUlT_SK_SL_SM_E_clIPjSE_SF_SF_EESJ_SZ_SK_SL_SM_EUlSZ_E0_NS1_11comp_targetILNS1_3genE3ELNS1_11target_archE908ELNS1_3gpuE7ELNS1_3repE0EEENS1_38merge_mergepath_config_static_selectorELNS0_4arch9wavefront6targetE1EEEvSL_,"axG",@progbits,_ZN7rocprim17ROCPRIM_400000_NS6detail17trampoline_kernelINS0_14default_configENS1_38merge_sort_block_merge_config_selectorIjNS0_10empty_typeEEEZZNS1_27merge_sort_block_merge_implIS3_N6thrust23THRUST_200600_302600_NS6detail15normal_iteratorINS9_10device_ptrIjEEEEPS5_jNS1_19radix_merge_compareILb0ELb0EjNS0_19identity_decomposerEEEEE10hipError_tT0_T1_T2_jT3_P12ihipStream_tbPNSt15iterator_traitsISK_E10value_typeEPNSQ_ISL_E10value_typeEPSM_NS1_7vsmem_tEENKUlT_SK_SL_SM_E_clIPjSE_SF_SF_EESJ_SZ_SK_SL_SM_EUlSZ_E0_NS1_11comp_targetILNS1_3genE3ELNS1_11target_archE908ELNS1_3gpuE7ELNS1_3repE0EEENS1_38merge_mergepath_config_static_selectorELNS0_4arch9wavefront6targetE1EEEvSL_,comdat
.Lfunc_end981:
	.size	_ZN7rocprim17ROCPRIM_400000_NS6detail17trampoline_kernelINS0_14default_configENS1_38merge_sort_block_merge_config_selectorIjNS0_10empty_typeEEEZZNS1_27merge_sort_block_merge_implIS3_N6thrust23THRUST_200600_302600_NS6detail15normal_iteratorINS9_10device_ptrIjEEEEPS5_jNS1_19radix_merge_compareILb0ELb0EjNS0_19identity_decomposerEEEEE10hipError_tT0_T1_T2_jT3_P12ihipStream_tbPNSt15iterator_traitsISK_E10value_typeEPNSQ_ISL_E10value_typeEPSM_NS1_7vsmem_tEENKUlT_SK_SL_SM_E_clIPjSE_SF_SF_EESJ_SZ_SK_SL_SM_EUlSZ_E0_NS1_11comp_targetILNS1_3genE3ELNS1_11target_archE908ELNS1_3gpuE7ELNS1_3repE0EEENS1_38merge_mergepath_config_static_selectorELNS0_4arch9wavefront6targetE1EEEvSL_, .Lfunc_end981-_ZN7rocprim17ROCPRIM_400000_NS6detail17trampoline_kernelINS0_14default_configENS1_38merge_sort_block_merge_config_selectorIjNS0_10empty_typeEEEZZNS1_27merge_sort_block_merge_implIS3_N6thrust23THRUST_200600_302600_NS6detail15normal_iteratorINS9_10device_ptrIjEEEEPS5_jNS1_19radix_merge_compareILb0ELb0EjNS0_19identity_decomposerEEEEE10hipError_tT0_T1_T2_jT3_P12ihipStream_tbPNSt15iterator_traitsISK_E10value_typeEPNSQ_ISL_E10value_typeEPSM_NS1_7vsmem_tEENKUlT_SK_SL_SM_E_clIPjSE_SF_SF_EESJ_SZ_SK_SL_SM_EUlSZ_E0_NS1_11comp_targetILNS1_3genE3ELNS1_11target_archE908ELNS1_3gpuE7ELNS1_3repE0EEENS1_38merge_mergepath_config_static_selectorELNS0_4arch9wavefront6targetE1EEEvSL_
                                        ; -- End function
	.section	.AMDGPU.csdata,"",@progbits
; Kernel info:
; codeLenInByte = 0
; NumSgprs: 6
; NumVgprs: 0
; NumAgprs: 0
; TotalNumVgprs: 0
; ScratchSize: 0
; MemoryBound: 0
; FloatMode: 240
; IeeeMode: 1
; LDSByteSize: 0 bytes/workgroup (compile time only)
; SGPRBlocks: 0
; VGPRBlocks: 0
; NumSGPRsForWavesPerEU: 6
; NumVGPRsForWavesPerEU: 1
; AccumOffset: 4
; Occupancy: 8
; WaveLimiterHint : 0
; COMPUTE_PGM_RSRC2:SCRATCH_EN: 0
; COMPUTE_PGM_RSRC2:USER_SGPR: 2
; COMPUTE_PGM_RSRC2:TRAP_HANDLER: 0
; COMPUTE_PGM_RSRC2:TGID_X_EN: 1
; COMPUTE_PGM_RSRC2:TGID_Y_EN: 0
; COMPUTE_PGM_RSRC2:TGID_Z_EN: 0
; COMPUTE_PGM_RSRC2:TIDIG_COMP_CNT: 0
; COMPUTE_PGM_RSRC3_GFX90A:ACCUM_OFFSET: 0
; COMPUTE_PGM_RSRC3_GFX90A:TG_SPLIT: 0
	.section	.text._ZN7rocprim17ROCPRIM_400000_NS6detail17trampoline_kernelINS0_14default_configENS1_38merge_sort_block_merge_config_selectorIjNS0_10empty_typeEEEZZNS1_27merge_sort_block_merge_implIS3_N6thrust23THRUST_200600_302600_NS6detail15normal_iteratorINS9_10device_ptrIjEEEEPS5_jNS1_19radix_merge_compareILb0ELb0EjNS0_19identity_decomposerEEEEE10hipError_tT0_T1_T2_jT3_P12ihipStream_tbPNSt15iterator_traitsISK_E10value_typeEPNSQ_ISL_E10value_typeEPSM_NS1_7vsmem_tEENKUlT_SK_SL_SM_E_clIPjSE_SF_SF_EESJ_SZ_SK_SL_SM_EUlSZ_E0_NS1_11comp_targetILNS1_3genE2ELNS1_11target_archE906ELNS1_3gpuE6ELNS1_3repE0EEENS1_38merge_mergepath_config_static_selectorELNS0_4arch9wavefront6targetE1EEEvSL_,"axG",@progbits,_ZN7rocprim17ROCPRIM_400000_NS6detail17trampoline_kernelINS0_14default_configENS1_38merge_sort_block_merge_config_selectorIjNS0_10empty_typeEEEZZNS1_27merge_sort_block_merge_implIS3_N6thrust23THRUST_200600_302600_NS6detail15normal_iteratorINS9_10device_ptrIjEEEEPS5_jNS1_19radix_merge_compareILb0ELb0EjNS0_19identity_decomposerEEEEE10hipError_tT0_T1_T2_jT3_P12ihipStream_tbPNSt15iterator_traitsISK_E10value_typeEPNSQ_ISL_E10value_typeEPSM_NS1_7vsmem_tEENKUlT_SK_SL_SM_E_clIPjSE_SF_SF_EESJ_SZ_SK_SL_SM_EUlSZ_E0_NS1_11comp_targetILNS1_3genE2ELNS1_11target_archE906ELNS1_3gpuE6ELNS1_3repE0EEENS1_38merge_mergepath_config_static_selectorELNS0_4arch9wavefront6targetE1EEEvSL_,comdat
	.protected	_ZN7rocprim17ROCPRIM_400000_NS6detail17trampoline_kernelINS0_14default_configENS1_38merge_sort_block_merge_config_selectorIjNS0_10empty_typeEEEZZNS1_27merge_sort_block_merge_implIS3_N6thrust23THRUST_200600_302600_NS6detail15normal_iteratorINS9_10device_ptrIjEEEEPS5_jNS1_19radix_merge_compareILb0ELb0EjNS0_19identity_decomposerEEEEE10hipError_tT0_T1_T2_jT3_P12ihipStream_tbPNSt15iterator_traitsISK_E10value_typeEPNSQ_ISL_E10value_typeEPSM_NS1_7vsmem_tEENKUlT_SK_SL_SM_E_clIPjSE_SF_SF_EESJ_SZ_SK_SL_SM_EUlSZ_E0_NS1_11comp_targetILNS1_3genE2ELNS1_11target_archE906ELNS1_3gpuE6ELNS1_3repE0EEENS1_38merge_mergepath_config_static_selectorELNS0_4arch9wavefront6targetE1EEEvSL_ ; -- Begin function _ZN7rocprim17ROCPRIM_400000_NS6detail17trampoline_kernelINS0_14default_configENS1_38merge_sort_block_merge_config_selectorIjNS0_10empty_typeEEEZZNS1_27merge_sort_block_merge_implIS3_N6thrust23THRUST_200600_302600_NS6detail15normal_iteratorINS9_10device_ptrIjEEEEPS5_jNS1_19radix_merge_compareILb0ELb0EjNS0_19identity_decomposerEEEEE10hipError_tT0_T1_T2_jT3_P12ihipStream_tbPNSt15iterator_traitsISK_E10value_typeEPNSQ_ISL_E10value_typeEPSM_NS1_7vsmem_tEENKUlT_SK_SL_SM_E_clIPjSE_SF_SF_EESJ_SZ_SK_SL_SM_EUlSZ_E0_NS1_11comp_targetILNS1_3genE2ELNS1_11target_archE906ELNS1_3gpuE6ELNS1_3repE0EEENS1_38merge_mergepath_config_static_selectorELNS0_4arch9wavefront6targetE1EEEvSL_
	.globl	_ZN7rocprim17ROCPRIM_400000_NS6detail17trampoline_kernelINS0_14default_configENS1_38merge_sort_block_merge_config_selectorIjNS0_10empty_typeEEEZZNS1_27merge_sort_block_merge_implIS3_N6thrust23THRUST_200600_302600_NS6detail15normal_iteratorINS9_10device_ptrIjEEEEPS5_jNS1_19radix_merge_compareILb0ELb0EjNS0_19identity_decomposerEEEEE10hipError_tT0_T1_T2_jT3_P12ihipStream_tbPNSt15iterator_traitsISK_E10value_typeEPNSQ_ISL_E10value_typeEPSM_NS1_7vsmem_tEENKUlT_SK_SL_SM_E_clIPjSE_SF_SF_EESJ_SZ_SK_SL_SM_EUlSZ_E0_NS1_11comp_targetILNS1_3genE2ELNS1_11target_archE906ELNS1_3gpuE6ELNS1_3repE0EEENS1_38merge_mergepath_config_static_selectorELNS0_4arch9wavefront6targetE1EEEvSL_
	.p2align	8
	.type	_ZN7rocprim17ROCPRIM_400000_NS6detail17trampoline_kernelINS0_14default_configENS1_38merge_sort_block_merge_config_selectorIjNS0_10empty_typeEEEZZNS1_27merge_sort_block_merge_implIS3_N6thrust23THRUST_200600_302600_NS6detail15normal_iteratorINS9_10device_ptrIjEEEEPS5_jNS1_19radix_merge_compareILb0ELb0EjNS0_19identity_decomposerEEEEE10hipError_tT0_T1_T2_jT3_P12ihipStream_tbPNSt15iterator_traitsISK_E10value_typeEPNSQ_ISL_E10value_typeEPSM_NS1_7vsmem_tEENKUlT_SK_SL_SM_E_clIPjSE_SF_SF_EESJ_SZ_SK_SL_SM_EUlSZ_E0_NS1_11comp_targetILNS1_3genE2ELNS1_11target_archE906ELNS1_3gpuE6ELNS1_3repE0EEENS1_38merge_mergepath_config_static_selectorELNS0_4arch9wavefront6targetE1EEEvSL_,@function
_ZN7rocprim17ROCPRIM_400000_NS6detail17trampoline_kernelINS0_14default_configENS1_38merge_sort_block_merge_config_selectorIjNS0_10empty_typeEEEZZNS1_27merge_sort_block_merge_implIS3_N6thrust23THRUST_200600_302600_NS6detail15normal_iteratorINS9_10device_ptrIjEEEEPS5_jNS1_19radix_merge_compareILb0ELb0EjNS0_19identity_decomposerEEEEE10hipError_tT0_T1_T2_jT3_P12ihipStream_tbPNSt15iterator_traitsISK_E10value_typeEPNSQ_ISL_E10value_typeEPSM_NS1_7vsmem_tEENKUlT_SK_SL_SM_E_clIPjSE_SF_SF_EESJ_SZ_SK_SL_SM_EUlSZ_E0_NS1_11comp_targetILNS1_3genE2ELNS1_11target_archE906ELNS1_3gpuE6ELNS1_3repE0EEENS1_38merge_mergepath_config_static_selectorELNS0_4arch9wavefront6targetE1EEEvSL_: ; @_ZN7rocprim17ROCPRIM_400000_NS6detail17trampoline_kernelINS0_14default_configENS1_38merge_sort_block_merge_config_selectorIjNS0_10empty_typeEEEZZNS1_27merge_sort_block_merge_implIS3_N6thrust23THRUST_200600_302600_NS6detail15normal_iteratorINS9_10device_ptrIjEEEEPS5_jNS1_19radix_merge_compareILb0ELb0EjNS0_19identity_decomposerEEEEE10hipError_tT0_T1_T2_jT3_P12ihipStream_tbPNSt15iterator_traitsISK_E10value_typeEPNSQ_ISL_E10value_typeEPSM_NS1_7vsmem_tEENKUlT_SK_SL_SM_E_clIPjSE_SF_SF_EESJ_SZ_SK_SL_SM_EUlSZ_E0_NS1_11comp_targetILNS1_3genE2ELNS1_11target_archE906ELNS1_3gpuE6ELNS1_3repE0EEENS1_38merge_mergepath_config_static_selectorELNS0_4arch9wavefront6targetE1EEEvSL_
; %bb.0:
	.section	.rodata,"a",@progbits
	.p2align	6, 0x0
	.amdhsa_kernel _ZN7rocprim17ROCPRIM_400000_NS6detail17trampoline_kernelINS0_14default_configENS1_38merge_sort_block_merge_config_selectorIjNS0_10empty_typeEEEZZNS1_27merge_sort_block_merge_implIS3_N6thrust23THRUST_200600_302600_NS6detail15normal_iteratorINS9_10device_ptrIjEEEEPS5_jNS1_19radix_merge_compareILb0ELb0EjNS0_19identity_decomposerEEEEE10hipError_tT0_T1_T2_jT3_P12ihipStream_tbPNSt15iterator_traitsISK_E10value_typeEPNSQ_ISL_E10value_typeEPSM_NS1_7vsmem_tEENKUlT_SK_SL_SM_E_clIPjSE_SF_SF_EESJ_SZ_SK_SL_SM_EUlSZ_E0_NS1_11comp_targetILNS1_3genE2ELNS1_11target_archE906ELNS1_3gpuE6ELNS1_3repE0EEENS1_38merge_mergepath_config_static_selectorELNS0_4arch9wavefront6targetE1EEEvSL_
		.amdhsa_group_segment_fixed_size 0
		.amdhsa_private_segment_fixed_size 0
		.amdhsa_kernarg_size 64
		.amdhsa_user_sgpr_count 2
		.amdhsa_user_sgpr_dispatch_ptr 0
		.amdhsa_user_sgpr_queue_ptr 0
		.amdhsa_user_sgpr_kernarg_segment_ptr 1
		.amdhsa_user_sgpr_dispatch_id 0
		.amdhsa_user_sgpr_kernarg_preload_length 0
		.amdhsa_user_sgpr_kernarg_preload_offset 0
		.amdhsa_user_sgpr_private_segment_size 0
		.amdhsa_uses_dynamic_stack 0
		.amdhsa_enable_private_segment 0
		.amdhsa_system_sgpr_workgroup_id_x 1
		.amdhsa_system_sgpr_workgroup_id_y 0
		.amdhsa_system_sgpr_workgroup_id_z 0
		.amdhsa_system_sgpr_workgroup_info 0
		.amdhsa_system_vgpr_workitem_id 0
		.amdhsa_next_free_vgpr 1
		.amdhsa_next_free_sgpr 0
		.amdhsa_accum_offset 4
		.amdhsa_reserve_vcc 0
		.amdhsa_float_round_mode_32 0
		.amdhsa_float_round_mode_16_64 0
		.amdhsa_float_denorm_mode_32 3
		.amdhsa_float_denorm_mode_16_64 3
		.amdhsa_dx10_clamp 1
		.amdhsa_ieee_mode 1
		.amdhsa_fp16_overflow 0
		.amdhsa_tg_split 0
		.amdhsa_exception_fp_ieee_invalid_op 0
		.amdhsa_exception_fp_denorm_src 0
		.amdhsa_exception_fp_ieee_div_zero 0
		.amdhsa_exception_fp_ieee_overflow 0
		.amdhsa_exception_fp_ieee_underflow 0
		.amdhsa_exception_fp_ieee_inexact 0
		.amdhsa_exception_int_div_zero 0
	.end_amdhsa_kernel
	.section	.text._ZN7rocprim17ROCPRIM_400000_NS6detail17trampoline_kernelINS0_14default_configENS1_38merge_sort_block_merge_config_selectorIjNS0_10empty_typeEEEZZNS1_27merge_sort_block_merge_implIS3_N6thrust23THRUST_200600_302600_NS6detail15normal_iteratorINS9_10device_ptrIjEEEEPS5_jNS1_19radix_merge_compareILb0ELb0EjNS0_19identity_decomposerEEEEE10hipError_tT0_T1_T2_jT3_P12ihipStream_tbPNSt15iterator_traitsISK_E10value_typeEPNSQ_ISL_E10value_typeEPSM_NS1_7vsmem_tEENKUlT_SK_SL_SM_E_clIPjSE_SF_SF_EESJ_SZ_SK_SL_SM_EUlSZ_E0_NS1_11comp_targetILNS1_3genE2ELNS1_11target_archE906ELNS1_3gpuE6ELNS1_3repE0EEENS1_38merge_mergepath_config_static_selectorELNS0_4arch9wavefront6targetE1EEEvSL_,"axG",@progbits,_ZN7rocprim17ROCPRIM_400000_NS6detail17trampoline_kernelINS0_14default_configENS1_38merge_sort_block_merge_config_selectorIjNS0_10empty_typeEEEZZNS1_27merge_sort_block_merge_implIS3_N6thrust23THRUST_200600_302600_NS6detail15normal_iteratorINS9_10device_ptrIjEEEEPS5_jNS1_19radix_merge_compareILb0ELb0EjNS0_19identity_decomposerEEEEE10hipError_tT0_T1_T2_jT3_P12ihipStream_tbPNSt15iterator_traitsISK_E10value_typeEPNSQ_ISL_E10value_typeEPSM_NS1_7vsmem_tEENKUlT_SK_SL_SM_E_clIPjSE_SF_SF_EESJ_SZ_SK_SL_SM_EUlSZ_E0_NS1_11comp_targetILNS1_3genE2ELNS1_11target_archE906ELNS1_3gpuE6ELNS1_3repE0EEENS1_38merge_mergepath_config_static_selectorELNS0_4arch9wavefront6targetE1EEEvSL_,comdat
.Lfunc_end982:
	.size	_ZN7rocprim17ROCPRIM_400000_NS6detail17trampoline_kernelINS0_14default_configENS1_38merge_sort_block_merge_config_selectorIjNS0_10empty_typeEEEZZNS1_27merge_sort_block_merge_implIS3_N6thrust23THRUST_200600_302600_NS6detail15normal_iteratorINS9_10device_ptrIjEEEEPS5_jNS1_19radix_merge_compareILb0ELb0EjNS0_19identity_decomposerEEEEE10hipError_tT0_T1_T2_jT3_P12ihipStream_tbPNSt15iterator_traitsISK_E10value_typeEPNSQ_ISL_E10value_typeEPSM_NS1_7vsmem_tEENKUlT_SK_SL_SM_E_clIPjSE_SF_SF_EESJ_SZ_SK_SL_SM_EUlSZ_E0_NS1_11comp_targetILNS1_3genE2ELNS1_11target_archE906ELNS1_3gpuE6ELNS1_3repE0EEENS1_38merge_mergepath_config_static_selectorELNS0_4arch9wavefront6targetE1EEEvSL_, .Lfunc_end982-_ZN7rocprim17ROCPRIM_400000_NS6detail17trampoline_kernelINS0_14default_configENS1_38merge_sort_block_merge_config_selectorIjNS0_10empty_typeEEEZZNS1_27merge_sort_block_merge_implIS3_N6thrust23THRUST_200600_302600_NS6detail15normal_iteratorINS9_10device_ptrIjEEEEPS5_jNS1_19radix_merge_compareILb0ELb0EjNS0_19identity_decomposerEEEEE10hipError_tT0_T1_T2_jT3_P12ihipStream_tbPNSt15iterator_traitsISK_E10value_typeEPNSQ_ISL_E10value_typeEPSM_NS1_7vsmem_tEENKUlT_SK_SL_SM_E_clIPjSE_SF_SF_EESJ_SZ_SK_SL_SM_EUlSZ_E0_NS1_11comp_targetILNS1_3genE2ELNS1_11target_archE906ELNS1_3gpuE6ELNS1_3repE0EEENS1_38merge_mergepath_config_static_selectorELNS0_4arch9wavefront6targetE1EEEvSL_
                                        ; -- End function
	.section	.AMDGPU.csdata,"",@progbits
; Kernel info:
; codeLenInByte = 0
; NumSgprs: 6
; NumVgprs: 0
; NumAgprs: 0
; TotalNumVgprs: 0
; ScratchSize: 0
; MemoryBound: 0
; FloatMode: 240
; IeeeMode: 1
; LDSByteSize: 0 bytes/workgroup (compile time only)
; SGPRBlocks: 0
; VGPRBlocks: 0
; NumSGPRsForWavesPerEU: 6
; NumVGPRsForWavesPerEU: 1
; AccumOffset: 4
; Occupancy: 8
; WaveLimiterHint : 0
; COMPUTE_PGM_RSRC2:SCRATCH_EN: 0
; COMPUTE_PGM_RSRC2:USER_SGPR: 2
; COMPUTE_PGM_RSRC2:TRAP_HANDLER: 0
; COMPUTE_PGM_RSRC2:TGID_X_EN: 1
; COMPUTE_PGM_RSRC2:TGID_Y_EN: 0
; COMPUTE_PGM_RSRC2:TGID_Z_EN: 0
; COMPUTE_PGM_RSRC2:TIDIG_COMP_CNT: 0
; COMPUTE_PGM_RSRC3_GFX90A:ACCUM_OFFSET: 0
; COMPUTE_PGM_RSRC3_GFX90A:TG_SPLIT: 0
	.section	.text._ZN7rocprim17ROCPRIM_400000_NS6detail17trampoline_kernelINS0_14default_configENS1_38merge_sort_block_merge_config_selectorIjNS0_10empty_typeEEEZZNS1_27merge_sort_block_merge_implIS3_N6thrust23THRUST_200600_302600_NS6detail15normal_iteratorINS9_10device_ptrIjEEEEPS5_jNS1_19radix_merge_compareILb0ELb0EjNS0_19identity_decomposerEEEEE10hipError_tT0_T1_T2_jT3_P12ihipStream_tbPNSt15iterator_traitsISK_E10value_typeEPNSQ_ISL_E10value_typeEPSM_NS1_7vsmem_tEENKUlT_SK_SL_SM_E_clIPjSE_SF_SF_EESJ_SZ_SK_SL_SM_EUlSZ_E0_NS1_11comp_targetILNS1_3genE9ELNS1_11target_archE1100ELNS1_3gpuE3ELNS1_3repE0EEENS1_38merge_mergepath_config_static_selectorELNS0_4arch9wavefront6targetE1EEEvSL_,"axG",@progbits,_ZN7rocprim17ROCPRIM_400000_NS6detail17trampoline_kernelINS0_14default_configENS1_38merge_sort_block_merge_config_selectorIjNS0_10empty_typeEEEZZNS1_27merge_sort_block_merge_implIS3_N6thrust23THRUST_200600_302600_NS6detail15normal_iteratorINS9_10device_ptrIjEEEEPS5_jNS1_19radix_merge_compareILb0ELb0EjNS0_19identity_decomposerEEEEE10hipError_tT0_T1_T2_jT3_P12ihipStream_tbPNSt15iterator_traitsISK_E10value_typeEPNSQ_ISL_E10value_typeEPSM_NS1_7vsmem_tEENKUlT_SK_SL_SM_E_clIPjSE_SF_SF_EESJ_SZ_SK_SL_SM_EUlSZ_E0_NS1_11comp_targetILNS1_3genE9ELNS1_11target_archE1100ELNS1_3gpuE3ELNS1_3repE0EEENS1_38merge_mergepath_config_static_selectorELNS0_4arch9wavefront6targetE1EEEvSL_,comdat
	.protected	_ZN7rocprim17ROCPRIM_400000_NS6detail17trampoline_kernelINS0_14default_configENS1_38merge_sort_block_merge_config_selectorIjNS0_10empty_typeEEEZZNS1_27merge_sort_block_merge_implIS3_N6thrust23THRUST_200600_302600_NS6detail15normal_iteratorINS9_10device_ptrIjEEEEPS5_jNS1_19radix_merge_compareILb0ELb0EjNS0_19identity_decomposerEEEEE10hipError_tT0_T1_T2_jT3_P12ihipStream_tbPNSt15iterator_traitsISK_E10value_typeEPNSQ_ISL_E10value_typeEPSM_NS1_7vsmem_tEENKUlT_SK_SL_SM_E_clIPjSE_SF_SF_EESJ_SZ_SK_SL_SM_EUlSZ_E0_NS1_11comp_targetILNS1_3genE9ELNS1_11target_archE1100ELNS1_3gpuE3ELNS1_3repE0EEENS1_38merge_mergepath_config_static_selectorELNS0_4arch9wavefront6targetE1EEEvSL_ ; -- Begin function _ZN7rocprim17ROCPRIM_400000_NS6detail17trampoline_kernelINS0_14default_configENS1_38merge_sort_block_merge_config_selectorIjNS0_10empty_typeEEEZZNS1_27merge_sort_block_merge_implIS3_N6thrust23THRUST_200600_302600_NS6detail15normal_iteratorINS9_10device_ptrIjEEEEPS5_jNS1_19radix_merge_compareILb0ELb0EjNS0_19identity_decomposerEEEEE10hipError_tT0_T1_T2_jT3_P12ihipStream_tbPNSt15iterator_traitsISK_E10value_typeEPNSQ_ISL_E10value_typeEPSM_NS1_7vsmem_tEENKUlT_SK_SL_SM_E_clIPjSE_SF_SF_EESJ_SZ_SK_SL_SM_EUlSZ_E0_NS1_11comp_targetILNS1_3genE9ELNS1_11target_archE1100ELNS1_3gpuE3ELNS1_3repE0EEENS1_38merge_mergepath_config_static_selectorELNS0_4arch9wavefront6targetE1EEEvSL_
	.globl	_ZN7rocprim17ROCPRIM_400000_NS6detail17trampoline_kernelINS0_14default_configENS1_38merge_sort_block_merge_config_selectorIjNS0_10empty_typeEEEZZNS1_27merge_sort_block_merge_implIS3_N6thrust23THRUST_200600_302600_NS6detail15normal_iteratorINS9_10device_ptrIjEEEEPS5_jNS1_19radix_merge_compareILb0ELb0EjNS0_19identity_decomposerEEEEE10hipError_tT0_T1_T2_jT3_P12ihipStream_tbPNSt15iterator_traitsISK_E10value_typeEPNSQ_ISL_E10value_typeEPSM_NS1_7vsmem_tEENKUlT_SK_SL_SM_E_clIPjSE_SF_SF_EESJ_SZ_SK_SL_SM_EUlSZ_E0_NS1_11comp_targetILNS1_3genE9ELNS1_11target_archE1100ELNS1_3gpuE3ELNS1_3repE0EEENS1_38merge_mergepath_config_static_selectorELNS0_4arch9wavefront6targetE1EEEvSL_
	.p2align	8
	.type	_ZN7rocprim17ROCPRIM_400000_NS6detail17trampoline_kernelINS0_14default_configENS1_38merge_sort_block_merge_config_selectorIjNS0_10empty_typeEEEZZNS1_27merge_sort_block_merge_implIS3_N6thrust23THRUST_200600_302600_NS6detail15normal_iteratorINS9_10device_ptrIjEEEEPS5_jNS1_19radix_merge_compareILb0ELb0EjNS0_19identity_decomposerEEEEE10hipError_tT0_T1_T2_jT3_P12ihipStream_tbPNSt15iterator_traitsISK_E10value_typeEPNSQ_ISL_E10value_typeEPSM_NS1_7vsmem_tEENKUlT_SK_SL_SM_E_clIPjSE_SF_SF_EESJ_SZ_SK_SL_SM_EUlSZ_E0_NS1_11comp_targetILNS1_3genE9ELNS1_11target_archE1100ELNS1_3gpuE3ELNS1_3repE0EEENS1_38merge_mergepath_config_static_selectorELNS0_4arch9wavefront6targetE1EEEvSL_,@function
_ZN7rocprim17ROCPRIM_400000_NS6detail17trampoline_kernelINS0_14default_configENS1_38merge_sort_block_merge_config_selectorIjNS0_10empty_typeEEEZZNS1_27merge_sort_block_merge_implIS3_N6thrust23THRUST_200600_302600_NS6detail15normal_iteratorINS9_10device_ptrIjEEEEPS5_jNS1_19radix_merge_compareILb0ELb0EjNS0_19identity_decomposerEEEEE10hipError_tT0_T1_T2_jT3_P12ihipStream_tbPNSt15iterator_traitsISK_E10value_typeEPNSQ_ISL_E10value_typeEPSM_NS1_7vsmem_tEENKUlT_SK_SL_SM_E_clIPjSE_SF_SF_EESJ_SZ_SK_SL_SM_EUlSZ_E0_NS1_11comp_targetILNS1_3genE9ELNS1_11target_archE1100ELNS1_3gpuE3ELNS1_3repE0EEENS1_38merge_mergepath_config_static_selectorELNS0_4arch9wavefront6targetE1EEEvSL_: ; @_ZN7rocprim17ROCPRIM_400000_NS6detail17trampoline_kernelINS0_14default_configENS1_38merge_sort_block_merge_config_selectorIjNS0_10empty_typeEEEZZNS1_27merge_sort_block_merge_implIS3_N6thrust23THRUST_200600_302600_NS6detail15normal_iteratorINS9_10device_ptrIjEEEEPS5_jNS1_19radix_merge_compareILb0ELb0EjNS0_19identity_decomposerEEEEE10hipError_tT0_T1_T2_jT3_P12ihipStream_tbPNSt15iterator_traitsISK_E10value_typeEPNSQ_ISL_E10value_typeEPSM_NS1_7vsmem_tEENKUlT_SK_SL_SM_E_clIPjSE_SF_SF_EESJ_SZ_SK_SL_SM_EUlSZ_E0_NS1_11comp_targetILNS1_3genE9ELNS1_11target_archE1100ELNS1_3gpuE3ELNS1_3repE0EEENS1_38merge_mergepath_config_static_selectorELNS0_4arch9wavefront6targetE1EEEvSL_
; %bb.0:
	.section	.rodata,"a",@progbits
	.p2align	6, 0x0
	.amdhsa_kernel _ZN7rocprim17ROCPRIM_400000_NS6detail17trampoline_kernelINS0_14default_configENS1_38merge_sort_block_merge_config_selectorIjNS0_10empty_typeEEEZZNS1_27merge_sort_block_merge_implIS3_N6thrust23THRUST_200600_302600_NS6detail15normal_iteratorINS9_10device_ptrIjEEEEPS5_jNS1_19radix_merge_compareILb0ELb0EjNS0_19identity_decomposerEEEEE10hipError_tT0_T1_T2_jT3_P12ihipStream_tbPNSt15iterator_traitsISK_E10value_typeEPNSQ_ISL_E10value_typeEPSM_NS1_7vsmem_tEENKUlT_SK_SL_SM_E_clIPjSE_SF_SF_EESJ_SZ_SK_SL_SM_EUlSZ_E0_NS1_11comp_targetILNS1_3genE9ELNS1_11target_archE1100ELNS1_3gpuE3ELNS1_3repE0EEENS1_38merge_mergepath_config_static_selectorELNS0_4arch9wavefront6targetE1EEEvSL_
		.amdhsa_group_segment_fixed_size 0
		.amdhsa_private_segment_fixed_size 0
		.amdhsa_kernarg_size 64
		.amdhsa_user_sgpr_count 2
		.amdhsa_user_sgpr_dispatch_ptr 0
		.amdhsa_user_sgpr_queue_ptr 0
		.amdhsa_user_sgpr_kernarg_segment_ptr 1
		.amdhsa_user_sgpr_dispatch_id 0
		.amdhsa_user_sgpr_kernarg_preload_length 0
		.amdhsa_user_sgpr_kernarg_preload_offset 0
		.amdhsa_user_sgpr_private_segment_size 0
		.amdhsa_uses_dynamic_stack 0
		.amdhsa_enable_private_segment 0
		.amdhsa_system_sgpr_workgroup_id_x 1
		.amdhsa_system_sgpr_workgroup_id_y 0
		.amdhsa_system_sgpr_workgroup_id_z 0
		.amdhsa_system_sgpr_workgroup_info 0
		.amdhsa_system_vgpr_workitem_id 0
		.amdhsa_next_free_vgpr 1
		.amdhsa_next_free_sgpr 0
		.amdhsa_accum_offset 4
		.amdhsa_reserve_vcc 0
		.amdhsa_float_round_mode_32 0
		.amdhsa_float_round_mode_16_64 0
		.amdhsa_float_denorm_mode_32 3
		.amdhsa_float_denorm_mode_16_64 3
		.amdhsa_dx10_clamp 1
		.amdhsa_ieee_mode 1
		.amdhsa_fp16_overflow 0
		.amdhsa_tg_split 0
		.amdhsa_exception_fp_ieee_invalid_op 0
		.amdhsa_exception_fp_denorm_src 0
		.amdhsa_exception_fp_ieee_div_zero 0
		.amdhsa_exception_fp_ieee_overflow 0
		.amdhsa_exception_fp_ieee_underflow 0
		.amdhsa_exception_fp_ieee_inexact 0
		.amdhsa_exception_int_div_zero 0
	.end_amdhsa_kernel
	.section	.text._ZN7rocprim17ROCPRIM_400000_NS6detail17trampoline_kernelINS0_14default_configENS1_38merge_sort_block_merge_config_selectorIjNS0_10empty_typeEEEZZNS1_27merge_sort_block_merge_implIS3_N6thrust23THRUST_200600_302600_NS6detail15normal_iteratorINS9_10device_ptrIjEEEEPS5_jNS1_19radix_merge_compareILb0ELb0EjNS0_19identity_decomposerEEEEE10hipError_tT0_T1_T2_jT3_P12ihipStream_tbPNSt15iterator_traitsISK_E10value_typeEPNSQ_ISL_E10value_typeEPSM_NS1_7vsmem_tEENKUlT_SK_SL_SM_E_clIPjSE_SF_SF_EESJ_SZ_SK_SL_SM_EUlSZ_E0_NS1_11comp_targetILNS1_3genE9ELNS1_11target_archE1100ELNS1_3gpuE3ELNS1_3repE0EEENS1_38merge_mergepath_config_static_selectorELNS0_4arch9wavefront6targetE1EEEvSL_,"axG",@progbits,_ZN7rocprim17ROCPRIM_400000_NS6detail17trampoline_kernelINS0_14default_configENS1_38merge_sort_block_merge_config_selectorIjNS0_10empty_typeEEEZZNS1_27merge_sort_block_merge_implIS3_N6thrust23THRUST_200600_302600_NS6detail15normal_iteratorINS9_10device_ptrIjEEEEPS5_jNS1_19radix_merge_compareILb0ELb0EjNS0_19identity_decomposerEEEEE10hipError_tT0_T1_T2_jT3_P12ihipStream_tbPNSt15iterator_traitsISK_E10value_typeEPNSQ_ISL_E10value_typeEPSM_NS1_7vsmem_tEENKUlT_SK_SL_SM_E_clIPjSE_SF_SF_EESJ_SZ_SK_SL_SM_EUlSZ_E0_NS1_11comp_targetILNS1_3genE9ELNS1_11target_archE1100ELNS1_3gpuE3ELNS1_3repE0EEENS1_38merge_mergepath_config_static_selectorELNS0_4arch9wavefront6targetE1EEEvSL_,comdat
.Lfunc_end983:
	.size	_ZN7rocprim17ROCPRIM_400000_NS6detail17trampoline_kernelINS0_14default_configENS1_38merge_sort_block_merge_config_selectorIjNS0_10empty_typeEEEZZNS1_27merge_sort_block_merge_implIS3_N6thrust23THRUST_200600_302600_NS6detail15normal_iteratorINS9_10device_ptrIjEEEEPS5_jNS1_19radix_merge_compareILb0ELb0EjNS0_19identity_decomposerEEEEE10hipError_tT0_T1_T2_jT3_P12ihipStream_tbPNSt15iterator_traitsISK_E10value_typeEPNSQ_ISL_E10value_typeEPSM_NS1_7vsmem_tEENKUlT_SK_SL_SM_E_clIPjSE_SF_SF_EESJ_SZ_SK_SL_SM_EUlSZ_E0_NS1_11comp_targetILNS1_3genE9ELNS1_11target_archE1100ELNS1_3gpuE3ELNS1_3repE0EEENS1_38merge_mergepath_config_static_selectorELNS0_4arch9wavefront6targetE1EEEvSL_, .Lfunc_end983-_ZN7rocprim17ROCPRIM_400000_NS6detail17trampoline_kernelINS0_14default_configENS1_38merge_sort_block_merge_config_selectorIjNS0_10empty_typeEEEZZNS1_27merge_sort_block_merge_implIS3_N6thrust23THRUST_200600_302600_NS6detail15normal_iteratorINS9_10device_ptrIjEEEEPS5_jNS1_19radix_merge_compareILb0ELb0EjNS0_19identity_decomposerEEEEE10hipError_tT0_T1_T2_jT3_P12ihipStream_tbPNSt15iterator_traitsISK_E10value_typeEPNSQ_ISL_E10value_typeEPSM_NS1_7vsmem_tEENKUlT_SK_SL_SM_E_clIPjSE_SF_SF_EESJ_SZ_SK_SL_SM_EUlSZ_E0_NS1_11comp_targetILNS1_3genE9ELNS1_11target_archE1100ELNS1_3gpuE3ELNS1_3repE0EEENS1_38merge_mergepath_config_static_selectorELNS0_4arch9wavefront6targetE1EEEvSL_
                                        ; -- End function
	.section	.AMDGPU.csdata,"",@progbits
; Kernel info:
; codeLenInByte = 0
; NumSgprs: 6
; NumVgprs: 0
; NumAgprs: 0
; TotalNumVgprs: 0
; ScratchSize: 0
; MemoryBound: 0
; FloatMode: 240
; IeeeMode: 1
; LDSByteSize: 0 bytes/workgroup (compile time only)
; SGPRBlocks: 0
; VGPRBlocks: 0
; NumSGPRsForWavesPerEU: 6
; NumVGPRsForWavesPerEU: 1
; AccumOffset: 4
; Occupancy: 8
; WaveLimiterHint : 0
; COMPUTE_PGM_RSRC2:SCRATCH_EN: 0
; COMPUTE_PGM_RSRC2:USER_SGPR: 2
; COMPUTE_PGM_RSRC2:TRAP_HANDLER: 0
; COMPUTE_PGM_RSRC2:TGID_X_EN: 1
; COMPUTE_PGM_RSRC2:TGID_Y_EN: 0
; COMPUTE_PGM_RSRC2:TGID_Z_EN: 0
; COMPUTE_PGM_RSRC2:TIDIG_COMP_CNT: 0
; COMPUTE_PGM_RSRC3_GFX90A:ACCUM_OFFSET: 0
; COMPUTE_PGM_RSRC3_GFX90A:TG_SPLIT: 0
	.section	.text._ZN7rocprim17ROCPRIM_400000_NS6detail17trampoline_kernelINS0_14default_configENS1_38merge_sort_block_merge_config_selectorIjNS0_10empty_typeEEEZZNS1_27merge_sort_block_merge_implIS3_N6thrust23THRUST_200600_302600_NS6detail15normal_iteratorINS9_10device_ptrIjEEEEPS5_jNS1_19radix_merge_compareILb0ELb0EjNS0_19identity_decomposerEEEEE10hipError_tT0_T1_T2_jT3_P12ihipStream_tbPNSt15iterator_traitsISK_E10value_typeEPNSQ_ISL_E10value_typeEPSM_NS1_7vsmem_tEENKUlT_SK_SL_SM_E_clIPjSE_SF_SF_EESJ_SZ_SK_SL_SM_EUlSZ_E0_NS1_11comp_targetILNS1_3genE8ELNS1_11target_archE1030ELNS1_3gpuE2ELNS1_3repE0EEENS1_38merge_mergepath_config_static_selectorELNS0_4arch9wavefront6targetE1EEEvSL_,"axG",@progbits,_ZN7rocprim17ROCPRIM_400000_NS6detail17trampoline_kernelINS0_14default_configENS1_38merge_sort_block_merge_config_selectorIjNS0_10empty_typeEEEZZNS1_27merge_sort_block_merge_implIS3_N6thrust23THRUST_200600_302600_NS6detail15normal_iteratorINS9_10device_ptrIjEEEEPS5_jNS1_19radix_merge_compareILb0ELb0EjNS0_19identity_decomposerEEEEE10hipError_tT0_T1_T2_jT3_P12ihipStream_tbPNSt15iterator_traitsISK_E10value_typeEPNSQ_ISL_E10value_typeEPSM_NS1_7vsmem_tEENKUlT_SK_SL_SM_E_clIPjSE_SF_SF_EESJ_SZ_SK_SL_SM_EUlSZ_E0_NS1_11comp_targetILNS1_3genE8ELNS1_11target_archE1030ELNS1_3gpuE2ELNS1_3repE0EEENS1_38merge_mergepath_config_static_selectorELNS0_4arch9wavefront6targetE1EEEvSL_,comdat
	.protected	_ZN7rocprim17ROCPRIM_400000_NS6detail17trampoline_kernelINS0_14default_configENS1_38merge_sort_block_merge_config_selectorIjNS0_10empty_typeEEEZZNS1_27merge_sort_block_merge_implIS3_N6thrust23THRUST_200600_302600_NS6detail15normal_iteratorINS9_10device_ptrIjEEEEPS5_jNS1_19radix_merge_compareILb0ELb0EjNS0_19identity_decomposerEEEEE10hipError_tT0_T1_T2_jT3_P12ihipStream_tbPNSt15iterator_traitsISK_E10value_typeEPNSQ_ISL_E10value_typeEPSM_NS1_7vsmem_tEENKUlT_SK_SL_SM_E_clIPjSE_SF_SF_EESJ_SZ_SK_SL_SM_EUlSZ_E0_NS1_11comp_targetILNS1_3genE8ELNS1_11target_archE1030ELNS1_3gpuE2ELNS1_3repE0EEENS1_38merge_mergepath_config_static_selectorELNS0_4arch9wavefront6targetE1EEEvSL_ ; -- Begin function _ZN7rocprim17ROCPRIM_400000_NS6detail17trampoline_kernelINS0_14default_configENS1_38merge_sort_block_merge_config_selectorIjNS0_10empty_typeEEEZZNS1_27merge_sort_block_merge_implIS3_N6thrust23THRUST_200600_302600_NS6detail15normal_iteratorINS9_10device_ptrIjEEEEPS5_jNS1_19radix_merge_compareILb0ELb0EjNS0_19identity_decomposerEEEEE10hipError_tT0_T1_T2_jT3_P12ihipStream_tbPNSt15iterator_traitsISK_E10value_typeEPNSQ_ISL_E10value_typeEPSM_NS1_7vsmem_tEENKUlT_SK_SL_SM_E_clIPjSE_SF_SF_EESJ_SZ_SK_SL_SM_EUlSZ_E0_NS1_11comp_targetILNS1_3genE8ELNS1_11target_archE1030ELNS1_3gpuE2ELNS1_3repE0EEENS1_38merge_mergepath_config_static_selectorELNS0_4arch9wavefront6targetE1EEEvSL_
	.globl	_ZN7rocprim17ROCPRIM_400000_NS6detail17trampoline_kernelINS0_14default_configENS1_38merge_sort_block_merge_config_selectorIjNS0_10empty_typeEEEZZNS1_27merge_sort_block_merge_implIS3_N6thrust23THRUST_200600_302600_NS6detail15normal_iteratorINS9_10device_ptrIjEEEEPS5_jNS1_19radix_merge_compareILb0ELb0EjNS0_19identity_decomposerEEEEE10hipError_tT0_T1_T2_jT3_P12ihipStream_tbPNSt15iterator_traitsISK_E10value_typeEPNSQ_ISL_E10value_typeEPSM_NS1_7vsmem_tEENKUlT_SK_SL_SM_E_clIPjSE_SF_SF_EESJ_SZ_SK_SL_SM_EUlSZ_E0_NS1_11comp_targetILNS1_3genE8ELNS1_11target_archE1030ELNS1_3gpuE2ELNS1_3repE0EEENS1_38merge_mergepath_config_static_selectorELNS0_4arch9wavefront6targetE1EEEvSL_
	.p2align	8
	.type	_ZN7rocprim17ROCPRIM_400000_NS6detail17trampoline_kernelINS0_14default_configENS1_38merge_sort_block_merge_config_selectorIjNS0_10empty_typeEEEZZNS1_27merge_sort_block_merge_implIS3_N6thrust23THRUST_200600_302600_NS6detail15normal_iteratorINS9_10device_ptrIjEEEEPS5_jNS1_19radix_merge_compareILb0ELb0EjNS0_19identity_decomposerEEEEE10hipError_tT0_T1_T2_jT3_P12ihipStream_tbPNSt15iterator_traitsISK_E10value_typeEPNSQ_ISL_E10value_typeEPSM_NS1_7vsmem_tEENKUlT_SK_SL_SM_E_clIPjSE_SF_SF_EESJ_SZ_SK_SL_SM_EUlSZ_E0_NS1_11comp_targetILNS1_3genE8ELNS1_11target_archE1030ELNS1_3gpuE2ELNS1_3repE0EEENS1_38merge_mergepath_config_static_selectorELNS0_4arch9wavefront6targetE1EEEvSL_,@function
_ZN7rocprim17ROCPRIM_400000_NS6detail17trampoline_kernelINS0_14default_configENS1_38merge_sort_block_merge_config_selectorIjNS0_10empty_typeEEEZZNS1_27merge_sort_block_merge_implIS3_N6thrust23THRUST_200600_302600_NS6detail15normal_iteratorINS9_10device_ptrIjEEEEPS5_jNS1_19radix_merge_compareILb0ELb0EjNS0_19identity_decomposerEEEEE10hipError_tT0_T1_T2_jT3_P12ihipStream_tbPNSt15iterator_traitsISK_E10value_typeEPNSQ_ISL_E10value_typeEPSM_NS1_7vsmem_tEENKUlT_SK_SL_SM_E_clIPjSE_SF_SF_EESJ_SZ_SK_SL_SM_EUlSZ_E0_NS1_11comp_targetILNS1_3genE8ELNS1_11target_archE1030ELNS1_3gpuE2ELNS1_3repE0EEENS1_38merge_mergepath_config_static_selectorELNS0_4arch9wavefront6targetE1EEEvSL_: ; @_ZN7rocprim17ROCPRIM_400000_NS6detail17trampoline_kernelINS0_14default_configENS1_38merge_sort_block_merge_config_selectorIjNS0_10empty_typeEEEZZNS1_27merge_sort_block_merge_implIS3_N6thrust23THRUST_200600_302600_NS6detail15normal_iteratorINS9_10device_ptrIjEEEEPS5_jNS1_19radix_merge_compareILb0ELb0EjNS0_19identity_decomposerEEEEE10hipError_tT0_T1_T2_jT3_P12ihipStream_tbPNSt15iterator_traitsISK_E10value_typeEPNSQ_ISL_E10value_typeEPSM_NS1_7vsmem_tEENKUlT_SK_SL_SM_E_clIPjSE_SF_SF_EESJ_SZ_SK_SL_SM_EUlSZ_E0_NS1_11comp_targetILNS1_3genE8ELNS1_11target_archE1030ELNS1_3gpuE2ELNS1_3repE0EEENS1_38merge_mergepath_config_static_selectorELNS0_4arch9wavefront6targetE1EEEvSL_
; %bb.0:
	.section	.rodata,"a",@progbits
	.p2align	6, 0x0
	.amdhsa_kernel _ZN7rocprim17ROCPRIM_400000_NS6detail17trampoline_kernelINS0_14default_configENS1_38merge_sort_block_merge_config_selectorIjNS0_10empty_typeEEEZZNS1_27merge_sort_block_merge_implIS3_N6thrust23THRUST_200600_302600_NS6detail15normal_iteratorINS9_10device_ptrIjEEEEPS5_jNS1_19radix_merge_compareILb0ELb0EjNS0_19identity_decomposerEEEEE10hipError_tT0_T1_T2_jT3_P12ihipStream_tbPNSt15iterator_traitsISK_E10value_typeEPNSQ_ISL_E10value_typeEPSM_NS1_7vsmem_tEENKUlT_SK_SL_SM_E_clIPjSE_SF_SF_EESJ_SZ_SK_SL_SM_EUlSZ_E0_NS1_11comp_targetILNS1_3genE8ELNS1_11target_archE1030ELNS1_3gpuE2ELNS1_3repE0EEENS1_38merge_mergepath_config_static_selectorELNS0_4arch9wavefront6targetE1EEEvSL_
		.amdhsa_group_segment_fixed_size 0
		.amdhsa_private_segment_fixed_size 0
		.amdhsa_kernarg_size 64
		.amdhsa_user_sgpr_count 2
		.amdhsa_user_sgpr_dispatch_ptr 0
		.amdhsa_user_sgpr_queue_ptr 0
		.amdhsa_user_sgpr_kernarg_segment_ptr 1
		.amdhsa_user_sgpr_dispatch_id 0
		.amdhsa_user_sgpr_kernarg_preload_length 0
		.amdhsa_user_sgpr_kernarg_preload_offset 0
		.amdhsa_user_sgpr_private_segment_size 0
		.amdhsa_uses_dynamic_stack 0
		.amdhsa_enable_private_segment 0
		.amdhsa_system_sgpr_workgroup_id_x 1
		.amdhsa_system_sgpr_workgroup_id_y 0
		.amdhsa_system_sgpr_workgroup_id_z 0
		.amdhsa_system_sgpr_workgroup_info 0
		.amdhsa_system_vgpr_workitem_id 0
		.amdhsa_next_free_vgpr 1
		.amdhsa_next_free_sgpr 0
		.amdhsa_accum_offset 4
		.amdhsa_reserve_vcc 0
		.amdhsa_float_round_mode_32 0
		.amdhsa_float_round_mode_16_64 0
		.amdhsa_float_denorm_mode_32 3
		.amdhsa_float_denorm_mode_16_64 3
		.amdhsa_dx10_clamp 1
		.amdhsa_ieee_mode 1
		.amdhsa_fp16_overflow 0
		.amdhsa_tg_split 0
		.amdhsa_exception_fp_ieee_invalid_op 0
		.amdhsa_exception_fp_denorm_src 0
		.amdhsa_exception_fp_ieee_div_zero 0
		.amdhsa_exception_fp_ieee_overflow 0
		.amdhsa_exception_fp_ieee_underflow 0
		.amdhsa_exception_fp_ieee_inexact 0
		.amdhsa_exception_int_div_zero 0
	.end_amdhsa_kernel
	.section	.text._ZN7rocprim17ROCPRIM_400000_NS6detail17trampoline_kernelINS0_14default_configENS1_38merge_sort_block_merge_config_selectorIjNS0_10empty_typeEEEZZNS1_27merge_sort_block_merge_implIS3_N6thrust23THRUST_200600_302600_NS6detail15normal_iteratorINS9_10device_ptrIjEEEEPS5_jNS1_19radix_merge_compareILb0ELb0EjNS0_19identity_decomposerEEEEE10hipError_tT0_T1_T2_jT3_P12ihipStream_tbPNSt15iterator_traitsISK_E10value_typeEPNSQ_ISL_E10value_typeEPSM_NS1_7vsmem_tEENKUlT_SK_SL_SM_E_clIPjSE_SF_SF_EESJ_SZ_SK_SL_SM_EUlSZ_E0_NS1_11comp_targetILNS1_3genE8ELNS1_11target_archE1030ELNS1_3gpuE2ELNS1_3repE0EEENS1_38merge_mergepath_config_static_selectorELNS0_4arch9wavefront6targetE1EEEvSL_,"axG",@progbits,_ZN7rocprim17ROCPRIM_400000_NS6detail17trampoline_kernelINS0_14default_configENS1_38merge_sort_block_merge_config_selectorIjNS0_10empty_typeEEEZZNS1_27merge_sort_block_merge_implIS3_N6thrust23THRUST_200600_302600_NS6detail15normal_iteratorINS9_10device_ptrIjEEEEPS5_jNS1_19radix_merge_compareILb0ELb0EjNS0_19identity_decomposerEEEEE10hipError_tT0_T1_T2_jT3_P12ihipStream_tbPNSt15iterator_traitsISK_E10value_typeEPNSQ_ISL_E10value_typeEPSM_NS1_7vsmem_tEENKUlT_SK_SL_SM_E_clIPjSE_SF_SF_EESJ_SZ_SK_SL_SM_EUlSZ_E0_NS1_11comp_targetILNS1_3genE8ELNS1_11target_archE1030ELNS1_3gpuE2ELNS1_3repE0EEENS1_38merge_mergepath_config_static_selectorELNS0_4arch9wavefront6targetE1EEEvSL_,comdat
.Lfunc_end984:
	.size	_ZN7rocprim17ROCPRIM_400000_NS6detail17trampoline_kernelINS0_14default_configENS1_38merge_sort_block_merge_config_selectorIjNS0_10empty_typeEEEZZNS1_27merge_sort_block_merge_implIS3_N6thrust23THRUST_200600_302600_NS6detail15normal_iteratorINS9_10device_ptrIjEEEEPS5_jNS1_19radix_merge_compareILb0ELb0EjNS0_19identity_decomposerEEEEE10hipError_tT0_T1_T2_jT3_P12ihipStream_tbPNSt15iterator_traitsISK_E10value_typeEPNSQ_ISL_E10value_typeEPSM_NS1_7vsmem_tEENKUlT_SK_SL_SM_E_clIPjSE_SF_SF_EESJ_SZ_SK_SL_SM_EUlSZ_E0_NS1_11comp_targetILNS1_3genE8ELNS1_11target_archE1030ELNS1_3gpuE2ELNS1_3repE0EEENS1_38merge_mergepath_config_static_selectorELNS0_4arch9wavefront6targetE1EEEvSL_, .Lfunc_end984-_ZN7rocprim17ROCPRIM_400000_NS6detail17trampoline_kernelINS0_14default_configENS1_38merge_sort_block_merge_config_selectorIjNS0_10empty_typeEEEZZNS1_27merge_sort_block_merge_implIS3_N6thrust23THRUST_200600_302600_NS6detail15normal_iteratorINS9_10device_ptrIjEEEEPS5_jNS1_19radix_merge_compareILb0ELb0EjNS0_19identity_decomposerEEEEE10hipError_tT0_T1_T2_jT3_P12ihipStream_tbPNSt15iterator_traitsISK_E10value_typeEPNSQ_ISL_E10value_typeEPSM_NS1_7vsmem_tEENKUlT_SK_SL_SM_E_clIPjSE_SF_SF_EESJ_SZ_SK_SL_SM_EUlSZ_E0_NS1_11comp_targetILNS1_3genE8ELNS1_11target_archE1030ELNS1_3gpuE2ELNS1_3repE0EEENS1_38merge_mergepath_config_static_selectorELNS0_4arch9wavefront6targetE1EEEvSL_
                                        ; -- End function
	.section	.AMDGPU.csdata,"",@progbits
; Kernel info:
; codeLenInByte = 0
; NumSgprs: 6
; NumVgprs: 0
; NumAgprs: 0
; TotalNumVgprs: 0
; ScratchSize: 0
; MemoryBound: 0
; FloatMode: 240
; IeeeMode: 1
; LDSByteSize: 0 bytes/workgroup (compile time only)
; SGPRBlocks: 0
; VGPRBlocks: 0
; NumSGPRsForWavesPerEU: 6
; NumVGPRsForWavesPerEU: 1
; AccumOffset: 4
; Occupancy: 8
; WaveLimiterHint : 0
; COMPUTE_PGM_RSRC2:SCRATCH_EN: 0
; COMPUTE_PGM_RSRC2:USER_SGPR: 2
; COMPUTE_PGM_RSRC2:TRAP_HANDLER: 0
; COMPUTE_PGM_RSRC2:TGID_X_EN: 1
; COMPUTE_PGM_RSRC2:TGID_Y_EN: 0
; COMPUTE_PGM_RSRC2:TGID_Z_EN: 0
; COMPUTE_PGM_RSRC2:TIDIG_COMP_CNT: 0
; COMPUTE_PGM_RSRC3_GFX90A:ACCUM_OFFSET: 0
; COMPUTE_PGM_RSRC3_GFX90A:TG_SPLIT: 0
	.section	.text._ZN7rocprim17ROCPRIM_400000_NS6detail17trampoline_kernelINS0_14default_configENS1_38merge_sort_block_merge_config_selectorIjNS0_10empty_typeEEEZZNS1_27merge_sort_block_merge_implIS3_N6thrust23THRUST_200600_302600_NS6detail15normal_iteratorINS9_10device_ptrIjEEEEPS5_jNS1_19radix_merge_compareILb0ELb0EjNS0_19identity_decomposerEEEEE10hipError_tT0_T1_T2_jT3_P12ihipStream_tbPNSt15iterator_traitsISK_E10value_typeEPNSQ_ISL_E10value_typeEPSM_NS1_7vsmem_tEENKUlT_SK_SL_SM_E_clIPjSE_SF_SF_EESJ_SZ_SK_SL_SM_EUlSZ_E1_NS1_11comp_targetILNS1_3genE0ELNS1_11target_archE4294967295ELNS1_3gpuE0ELNS1_3repE0EEENS1_36merge_oddeven_config_static_selectorELNS0_4arch9wavefront6targetE1EEEvSL_,"axG",@progbits,_ZN7rocprim17ROCPRIM_400000_NS6detail17trampoline_kernelINS0_14default_configENS1_38merge_sort_block_merge_config_selectorIjNS0_10empty_typeEEEZZNS1_27merge_sort_block_merge_implIS3_N6thrust23THRUST_200600_302600_NS6detail15normal_iteratorINS9_10device_ptrIjEEEEPS5_jNS1_19radix_merge_compareILb0ELb0EjNS0_19identity_decomposerEEEEE10hipError_tT0_T1_T2_jT3_P12ihipStream_tbPNSt15iterator_traitsISK_E10value_typeEPNSQ_ISL_E10value_typeEPSM_NS1_7vsmem_tEENKUlT_SK_SL_SM_E_clIPjSE_SF_SF_EESJ_SZ_SK_SL_SM_EUlSZ_E1_NS1_11comp_targetILNS1_3genE0ELNS1_11target_archE4294967295ELNS1_3gpuE0ELNS1_3repE0EEENS1_36merge_oddeven_config_static_selectorELNS0_4arch9wavefront6targetE1EEEvSL_,comdat
	.protected	_ZN7rocprim17ROCPRIM_400000_NS6detail17trampoline_kernelINS0_14default_configENS1_38merge_sort_block_merge_config_selectorIjNS0_10empty_typeEEEZZNS1_27merge_sort_block_merge_implIS3_N6thrust23THRUST_200600_302600_NS6detail15normal_iteratorINS9_10device_ptrIjEEEEPS5_jNS1_19radix_merge_compareILb0ELb0EjNS0_19identity_decomposerEEEEE10hipError_tT0_T1_T2_jT3_P12ihipStream_tbPNSt15iterator_traitsISK_E10value_typeEPNSQ_ISL_E10value_typeEPSM_NS1_7vsmem_tEENKUlT_SK_SL_SM_E_clIPjSE_SF_SF_EESJ_SZ_SK_SL_SM_EUlSZ_E1_NS1_11comp_targetILNS1_3genE0ELNS1_11target_archE4294967295ELNS1_3gpuE0ELNS1_3repE0EEENS1_36merge_oddeven_config_static_selectorELNS0_4arch9wavefront6targetE1EEEvSL_ ; -- Begin function _ZN7rocprim17ROCPRIM_400000_NS6detail17trampoline_kernelINS0_14default_configENS1_38merge_sort_block_merge_config_selectorIjNS0_10empty_typeEEEZZNS1_27merge_sort_block_merge_implIS3_N6thrust23THRUST_200600_302600_NS6detail15normal_iteratorINS9_10device_ptrIjEEEEPS5_jNS1_19radix_merge_compareILb0ELb0EjNS0_19identity_decomposerEEEEE10hipError_tT0_T1_T2_jT3_P12ihipStream_tbPNSt15iterator_traitsISK_E10value_typeEPNSQ_ISL_E10value_typeEPSM_NS1_7vsmem_tEENKUlT_SK_SL_SM_E_clIPjSE_SF_SF_EESJ_SZ_SK_SL_SM_EUlSZ_E1_NS1_11comp_targetILNS1_3genE0ELNS1_11target_archE4294967295ELNS1_3gpuE0ELNS1_3repE0EEENS1_36merge_oddeven_config_static_selectorELNS0_4arch9wavefront6targetE1EEEvSL_
	.globl	_ZN7rocprim17ROCPRIM_400000_NS6detail17trampoline_kernelINS0_14default_configENS1_38merge_sort_block_merge_config_selectorIjNS0_10empty_typeEEEZZNS1_27merge_sort_block_merge_implIS3_N6thrust23THRUST_200600_302600_NS6detail15normal_iteratorINS9_10device_ptrIjEEEEPS5_jNS1_19radix_merge_compareILb0ELb0EjNS0_19identity_decomposerEEEEE10hipError_tT0_T1_T2_jT3_P12ihipStream_tbPNSt15iterator_traitsISK_E10value_typeEPNSQ_ISL_E10value_typeEPSM_NS1_7vsmem_tEENKUlT_SK_SL_SM_E_clIPjSE_SF_SF_EESJ_SZ_SK_SL_SM_EUlSZ_E1_NS1_11comp_targetILNS1_3genE0ELNS1_11target_archE4294967295ELNS1_3gpuE0ELNS1_3repE0EEENS1_36merge_oddeven_config_static_selectorELNS0_4arch9wavefront6targetE1EEEvSL_
	.p2align	8
	.type	_ZN7rocprim17ROCPRIM_400000_NS6detail17trampoline_kernelINS0_14default_configENS1_38merge_sort_block_merge_config_selectorIjNS0_10empty_typeEEEZZNS1_27merge_sort_block_merge_implIS3_N6thrust23THRUST_200600_302600_NS6detail15normal_iteratorINS9_10device_ptrIjEEEEPS5_jNS1_19radix_merge_compareILb0ELb0EjNS0_19identity_decomposerEEEEE10hipError_tT0_T1_T2_jT3_P12ihipStream_tbPNSt15iterator_traitsISK_E10value_typeEPNSQ_ISL_E10value_typeEPSM_NS1_7vsmem_tEENKUlT_SK_SL_SM_E_clIPjSE_SF_SF_EESJ_SZ_SK_SL_SM_EUlSZ_E1_NS1_11comp_targetILNS1_3genE0ELNS1_11target_archE4294967295ELNS1_3gpuE0ELNS1_3repE0EEENS1_36merge_oddeven_config_static_selectorELNS0_4arch9wavefront6targetE1EEEvSL_,@function
_ZN7rocprim17ROCPRIM_400000_NS6detail17trampoline_kernelINS0_14default_configENS1_38merge_sort_block_merge_config_selectorIjNS0_10empty_typeEEEZZNS1_27merge_sort_block_merge_implIS3_N6thrust23THRUST_200600_302600_NS6detail15normal_iteratorINS9_10device_ptrIjEEEEPS5_jNS1_19radix_merge_compareILb0ELb0EjNS0_19identity_decomposerEEEEE10hipError_tT0_T1_T2_jT3_P12ihipStream_tbPNSt15iterator_traitsISK_E10value_typeEPNSQ_ISL_E10value_typeEPSM_NS1_7vsmem_tEENKUlT_SK_SL_SM_E_clIPjSE_SF_SF_EESJ_SZ_SK_SL_SM_EUlSZ_E1_NS1_11comp_targetILNS1_3genE0ELNS1_11target_archE4294967295ELNS1_3gpuE0ELNS1_3repE0EEENS1_36merge_oddeven_config_static_selectorELNS0_4arch9wavefront6targetE1EEEvSL_: ; @_ZN7rocprim17ROCPRIM_400000_NS6detail17trampoline_kernelINS0_14default_configENS1_38merge_sort_block_merge_config_selectorIjNS0_10empty_typeEEEZZNS1_27merge_sort_block_merge_implIS3_N6thrust23THRUST_200600_302600_NS6detail15normal_iteratorINS9_10device_ptrIjEEEEPS5_jNS1_19radix_merge_compareILb0ELb0EjNS0_19identity_decomposerEEEEE10hipError_tT0_T1_T2_jT3_P12ihipStream_tbPNSt15iterator_traitsISK_E10value_typeEPNSQ_ISL_E10value_typeEPSM_NS1_7vsmem_tEENKUlT_SK_SL_SM_E_clIPjSE_SF_SF_EESJ_SZ_SK_SL_SM_EUlSZ_E1_NS1_11comp_targetILNS1_3genE0ELNS1_11target_archE4294967295ELNS1_3gpuE0ELNS1_3repE0EEENS1_36merge_oddeven_config_static_selectorELNS0_4arch9wavefront6targetE1EEEvSL_
; %bb.0:
	.section	.rodata,"a",@progbits
	.p2align	6, 0x0
	.amdhsa_kernel _ZN7rocprim17ROCPRIM_400000_NS6detail17trampoline_kernelINS0_14default_configENS1_38merge_sort_block_merge_config_selectorIjNS0_10empty_typeEEEZZNS1_27merge_sort_block_merge_implIS3_N6thrust23THRUST_200600_302600_NS6detail15normal_iteratorINS9_10device_ptrIjEEEEPS5_jNS1_19radix_merge_compareILb0ELb0EjNS0_19identity_decomposerEEEEE10hipError_tT0_T1_T2_jT3_P12ihipStream_tbPNSt15iterator_traitsISK_E10value_typeEPNSQ_ISL_E10value_typeEPSM_NS1_7vsmem_tEENKUlT_SK_SL_SM_E_clIPjSE_SF_SF_EESJ_SZ_SK_SL_SM_EUlSZ_E1_NS1_11comp_targetILNS1_3genE0ELNS1_11target_archE4294967295ELNS1_3gpuE0ELNS1_3repE0EEENS1_36merge_oddeven_config_static_selectorELNS0_4arch9wavefront6targetE1EEEvSL_
		.amdhsa_group_segment_fixed_size 0
		.amdhsa_private_segment_fixed_size 0
		.amdhsa_kernarg_size 48
		.amdhsa_user_sgpr_count 2
		.amdhsa_user_sgpr_dispatch_ptr 0
		.amdhsa_user_sgpr_queue_ptr 0
		.amdhsa_user_sgpr_kernarg_segment_ptr 1
		.amdhsa_user_sgpr_dispatch_id 0
		.amdhsa_user_sgpr_kernarg_preload_length 0
		.amdhsa_user_sgpr_kernarg_preload_offset 0
		.amdhsa_user_sgpr_private_segment_size 0
		.amdhsa_uses_dynamic_stack 0
		.amdhsa_enable_private_segment 0
		.amdhsa_system_sgpr_workgroup_id_x 1
		.amdhsa_system_sgpr_workgroup_id_y 0
		.amdhsa_system_sgpr_workgroup_id_z 0
		.amdhsa_system_sgpr_workgroup_info 0
		.amdhsa_system_vgpr_workitem_id 0
		.amdhsa_next_free_vgpr 1
		.amdhsa_next_free_sgpr 0
		.amdhsa_accum_offset 4
		.amdhsa_reserve_vcc 0
		.amdhsa_float_round_mode_32 0
		.amdhsa_float_round_mode_16_64 0
		.amdhsa_float_denorm_mode_32 3
		.amdhsa_float_denorm_mode_16_64 3
		.amdhsa_dx10_clamp 1
		.amdhsa_ieee_mode 1
		.amdhsa_fp16_overflow 0
		.amdhsa_tg_split 0
		.amdhsa_exception_fp_ieee_invalid_op 0
		.amdhsa_exception_fp_denorm_src 0
		.amdhsa_exception_fp_ieee_div_zero 0
		.amdhsa_exception_fp_ieee_overflow 0
		.amdhsa_exception_fp_ieee_underflow 0
		.amdhsa_exception_fp_ieee_inexact 0
		.amdhsa_exception_int_div_zero 0
	.end_amdhsa_kernel
	.section	.text._ZN7rocprim17ROCPRIM_400000_NS6detail17trampoline_kernelINS0_14default_configENS1_38merge_sort_block_merge_config_selectorIjNS0_10empty_typeEEEZZNS1_27merge_sort_block_merge_implIS3_N6thrust23THRUST_200600_302600_NS6detail15normal_iteratorINS9_10device_ptrIjEEEEPS5_jNS1_19radix_merge_compareILb0ELb0EjNS0_19identity_decomposerEEEEE10hipError_tT0_T1_T2_jT3_P12ihipStream_tbPNSt15iterator_traitsISK_E10value_typeEPNSQ_ISL_E10value_typeEPSM_NS1_7vsmem_tEENKUlT_SK_SL_SM_E_clIPjSE_SF_SF_EESJ_SZ_SK_SL_SM_EUlSZ_E1_NS1_11comp_targetILNS1_3genE0ELNS1_11target_archE4294967295ELNS1_3gpuE0ELNS1_3repE0EEENS1_36merge_oddeven_config_static_selectorELNS0_4arch9wavefront6targetE1EEEvSL_,"axG",@progbits,_ZN7rocprim17ROCPRIM_400000_NS6detail17trampoline_kernelINS0_14default_configENS1_38merge_sort_block_merge_config_selectorIjNS0_10empty_typeEEEZZNS1_27merge_sort_block_merge_implIS3_N6thrust23THRUST_200600_302600_NS6detail15normal_iteratorINS9_10device_ptrIjEEEEPS5_jNS1_19radix_merge_compareILb0ELb0EjNS0_19identity_decomposerEEEEE10hipError_tT0_T1_T2_jT3_P12ihipStream_tbPNSt15iterator_traitsISK_E10value_typeEPNSQ_ISL_E10value_typeEPSM_NS1_7vsmem_tEENKUlT_SK_SL_SM_E_clIPjSE_SF_SF_EESJ_SZ_SK_SL_SM_EUlSZ_E1_NS1_11comp_targetILNS1_3genE0ELNS1_11target_archE4294967295ELNS1_3gpuE0ELNS1_3repE0EEENS1_36merge_oddeven_config_static_selectorELNS0_4arch9wavefront6targetE1EEEvSL_,comdat
.Lfunc_end985:
	.size	_ZN7rocprim17ROCPRIM_400000_NS6detail17trampoline_kernelINS0_14default_configENS1_38merge_sort_block_merge_config_selectorIjNS0_10empty_typeEEEZZNS1_27merge_sort_block_merge_implIS3_N6thrust23THRUST_200600_302600_NS6detail15normal_iteratorINS9_10device_ptrIjEEEEPS5_jNS1_19radix_merge_compareILb0ELb0EjNS0_19identity_decomposerEEEEE10hipError_tT0_T1_T2_jT3_P12ihipStream_tbPNSt15iterator_traitsISK_E10value_typeEPNSQ_ISL_E10value_typeEPSM_NS1_7vsmem_tEENKUlT_SK_SL_SM_E_clIPjSE_SF_SF_EESJ_SZ_SK_SL_SM_EUlSZ_E1_NS1_11comp_targetILNS1_3genE0ELNS1_11target_archE4294967295ELNS1_3gpuE0ELNS1_3repE0EEENS1_36merge_oddeven_config_static_selectorELNS0_4arch9wavefront6targetE1EEEvSL_, .Lfunc_end985-_ZN7rocprim17ROCPRIM_400000_NS6detail17trampoline_kernelINS0_14default_configENS1_38merge_sort_block_merge_config_selectorIjNS0_10empty_typeEEEZZNS1_27merge_sort_block_merge_implIS3_N6thrust23THRUST_200600_302600_NS6detail15normal_iteratorINS9_10device_ptrIjEEEEPS5_jNS1_19radix_merge_compareILb0ELb0EjNS0_19identity_decomposerEEEEE10hipError_tT0_T1_T2_jT3_P12ihipStream_tbPNSt15iterator_traitsISK_E10value_typeEPNSQ_ISL_E10value_typeEPSM_NS1_7vsmem_tEENKUlT_SK_SL_SM_E_clIPjSE_SF_SF_EESJ_SZ_SK_SL_SM_EUlSZ_E1_NS1_11comp_targetILNS1_3genE0ELNS1_11target_archE4294967295ELNS1_3gpuE0ELNS1_3repE0EEENS1_36merge_oddeven_config_static_selectorELNS0_4arch9wavefront6targetE1EEEvSL_
                                        ; -- End function
	.section	.AMDGPU.csdata,"",@progbits
; Kernel info:
; codeLenInByte = 0
; NumSgprs: 6
; NumVgprs: 0
; NumAgprs: 0
; TotalNumVgprs: 0
; ScratchSize: 0
; MemoryBound: 0
; FloatMode: 240
; IeeeMode: 1
; LDSByteSize: 0 bytes/workgroup (compile time only)
; SGPRBlocks: 0
; VGPRBlocks: 0
; NumSGPRsForWavesPerEU: 6
; NumVGPRsForWavesPerEU: 1
; AccumOffset: 4
; Occupancy: 8
; WaveLimiterHint : 0
; COMPUTE_PGM_RSRC2:SCRATCH_EN: 0
; COMPUTE_PGM_RSRC2:USER_SGPR: 2
; COMPUTE_PGM_RSRC2:TRAP_HANDLER: 0
; COMPUTE_PGM_RSRC2:TGID_X_EN: 1
; COMPUTE_PGM_RSRC2:TGID_Y_EN: 0
; COMPUTE_PGM_RSRC2:TGID_Z_EN: 0
; COMPUTE_PGM_RSRC2:TIDIG_COMP_CNT: 0
; COMPUTE_PGM_RSRC3_GFX90A:ACCUM_OFFSET: 0
; COMPUTE_PGM_RSRC3_GFX90A:TG_SPLIT: 0
	.section	.text._ZN7rocprim17ROCPRIM_400000_NS6detail17trampoline_kernelINS0_14default_configENS1_38merge_sort_block_merge_config_selectorIjNS0_10empty_typeEEEZZNS1_27merge_sort_block_merge_implIS3_N6thrust23THRUST_200600_302600_NS6detail15normal_iteratorINS9_10device_ptrIjEEEEPS5_jNS1_19radix_merge_compareILb0ELb0EjNS0_19identity_decomposerEEEEE10hipError_tT0_T1_T2_jT3_P12ihipStream_tbPNSt15iterator_traitsISK_E10value_typeEPNSQ_ISL_E10value_typeEPSM_NS1_7vsmem_tEENKUlT_SK_SL_SM_E_clIPjSE_SF_SF_EESJ_SZ_SK_SL_SM_EUlSZ_E1_NS1_11comp_targetILNS1_3genE10ELNS1_11target_archE1201ELNS1_3gpuE5ELNS1_3repE0EEENS1_36merge_oddeven_config_static_selectorELNS0_4arch9wavefront6targetE1EEEvSL_,"axG",@progbits,_ZN7rocprim17ROCPRIM_400000_NS6detail17trampoline_kernelINS0_14default_configENS1_38merge_sort_block_merge_config_selectorIjNS0_10empty_typeEEEZZNS1_27merge_sort_block_merge_implIS3_N6thrust23THRUST_200600_302600_NS6detail15normal_iteratorINS9_10device_ptrIjEEEEPS5_jNS1_19radix_merge_compareILb0ELb0EjNS0_19identity_decomposerEEEEE10hipError_tT0_T1_T2_jT3_P12ihipStream_tbPNSt15iterator_traitsISK_E10value_typeEPNSQ_ISL_E10value_typeEPSM_NS1_7vsmem_tEENKUlT_SK_SL_SM_E_clIPjSE_SF_SF_EESJ_SZ_SK_SL_SM_EUlSZ_E1_NS1_11comp_targetILNS1_3genE10ELNS1_11target_archE1201ELNS1_3gpuE5ELNS1_3repE0EEENS1_36merge_oddeven_config_static_selectorELNS0_4arch9wavefront6targetE1EEEvSL_,comdat
	.protected	_ZN7rocprim17ROCPRIM_400000_NS6detail17trampoline_kernelINS0_14default_configENS1_38merge_sort_block_merge_config_selectorIjNS0_10empty_typeEEEZZNS1_27merge_sort_block_merge_implIS3_N6thrust23THRUST_200600_302600_NS6detail15normal_iteratorINS9_10device_ptrIjEEEEPS5_jNS1_19radix_merge_compareILb0ELb0EjNS0_19identity_decomposerEEEEE10hipError_tT0_T1_T2_jT3_P12ihipStream_tbPNSt15iterator_traitsISK_E10value_typeEPNSQ_ISL_E10value_typeEPSM_NS1_7vsmem_tEENKUlT_SK_SL_SM_E_clIPjSE_SF_SF_EESJ_SZ_SK_SL_SM_EUlSZ_E1_NS1_11comp_targetILNS1_3genE10ELNS1_11target_archE1201ELNS1_3gpuE5ELNS1_3repE0EEENS1_36merge_oddeven_config_static_selectorELNS0_4arch9wavefront6targetE1EEEvSL_ ; -- Begin function _ZN7rocprim17ROCPRIM_400000_NS6detail17trampoline_kernelINS0_14default_configENS1_38merge_sort_block_merge_config_selectorIjNS0_10empty_typeEEEZZNS1_27merge_sort_block_merge_implIS3_N6thrust23THRUST_200600_302600_NS6detail15normal_iteratorINS9_10device_ptrIjEEEEPS5_jNS1_19radix_merge_compareILb0ELb0EjNS0_19identity_decomposerEEEEE10hipError_tT0_T1_T2_jT3_P12ihipStream_tbPNSt15iterator_traitsISK_E10value_typeEPNSQ_ISL_E10value_typeEPSM_NS1_7vsmem_tEENKUlT_SK_SL_SM_E_clIPjSE_SF_SF_EESJ_SZ_SK_SL_SM_EUlSZ_E1_NS1_11comp_targetILNS1_3genE10ELNS1_11target_archE1201ELNS1_3gpuE5ELNS1_3repE0EEENS1_36merge_oddeven_config_static_selectorELNS0_4arch9wavefront6targetE1EEEvSL_
	.globl	_ZN7rocprim17ROCPRIM_400000_NS6detail17trampoline_kernelINS0_14default_configENS1_38merge_sort_block_merge_config_selectorIjNS0_10empty_typeEEEZZNS1_27merge_sort_block_merge_implIS3_N6thrust23THRUST_200600_302600_NS6detail15normal_iteratorINS9_10device_ptrIjEEEEPS5_jNS1_19radix_merge_compareILb0ELb0EjNS0_19identity_decomposerEEEEE10hipError_tT0_T1_T2_jT3_P12ihipStream_tbPNSt15iterator_traitsISK_E10value_typeEPNSQ_ISL_E10value_typeEPSM_NS1_7vsmem_tEENKUlT_SK_SL_SM_E_clIPjSE_SF_SF_EESJ_SZ_SK_SL_SM_EUlSZ_E1_NS1_11comp_targetILNS1_3genE10ELNS1_11target_archE1201ELNS1_3gpuE5ELNS1_3repE0EEENS1_36merge_oddeven_config_static_selectorELNS0_4arch9wavefront6targetE1EEEvSL_
	.p2align	8
	.type	_ZN7rocprim17ROCPRIM_400000_NS6detail17trampoline_kernelINS0_14default_configENS1_38merge_sort_block_merge_config_selectorIjNS0_10empty_typeEEEZZNS1_27merge_sort_block_merge_implIS3_N6thrust23THRUST_200600_302600_NS6detail15normal_iteratorINS9_10device_ptrIjEEEEPS5_jNS1_19radix_merge_compareILb0ELb0EjNS0_19identity_decomposerEEEEE10hipError_tT0_T1_T2_jT3_P12ihipStream_tbPNSt15iterator_traitsISK_E10value_typeEPNSQ_ISL_E10value_typeEPSM_NS1_7vsmem_tEENKUlT_SK_SL_SM_E_clIPjSE_SF_SF_EESJ_SZ_SK_SL_SM_EUlSZ_E1_NS1_11comp_targetILNS1_3genE10ELNS1_11target_archE1201ELNS1_3gpuE5ELNS1_3repE0EEENS1_36merge_oddeven_config_static_selectorELNS0_4arch9wavefront6targetE1EEEvSL_,@function
_ZN7rocprim17ROCPRIM_400000_NS6detail17trampoline_kernelINS0_14default_configENS1_38merge_sort_block_merge_config_selectorIjNS0_10empty_typeEEEZZNS1_27merge_sort_block_merge_implIS3_N6thrust23THRUST_200600_302600_NS6detail15normal_iteratorINS9_10device_ptrIjEEEEPS5_jNS1_19radix_merge_compareILb0ELb0EjNS0_19identity_decomposerEEEEE10hipError_tT0_T1_T2_jT3_P12ihipStream_tbPNSt15iterator_traitsISK_E10value_typeEPNSQ_ISL_E10value_typeEPSM_NS1_7vsmem_tEENKUlT_SK_SL_SM_E_clIPjSE_SF_SF_EESJ_SZ_SK_SL_SM_EUlSZ_E1_NS1_11comp_targetILNS1_3genE10ELNS1_11target_archE1201ELNS1_3gpuE5ELNS1_3repE0EEENS1_36merge_oddeven_config_static_selectorELNS0_4arch9wavefront6targetE1EEEvSL_: ; @_ZN7rocprim17ROCPRIM_400000_NS6detail17trampoline_kernelINS0_14default_configENS1_38merge_sort_block_merge_config_selectorIjNS0_10empty_typeEEEZZNS1_27merge_sort_block_merge_implIS3_N6thrust23THRUST_200600_302600_NS6detail15normal_iteratorINS9_10device_ptrIjEEEEPS5_jNS1_19radix_merge_compareILb0ELb0EjNS0_19identity_decomposerEEEEE10hipError_tT0_T1_T2_jT3_P12ihipStream_tbPNSt15iterator_traitsISK_E10value_typeEPNSQ_ISL_E10value_typeEPSM_NS1_7vsmem_tEENKUlT_SK_SL_SM_E_clIPjSE_SF_SF_EESJ_SZ_SK_SL_SM_EUlSZ_E1_NS1_11comp_targetILNS1_3genE10ELNS1_11target_archE1201ELNS1_3gpuE5ELNS1_3repE0EEENS1_36merge_oddeven_config_static_selectorELNS0_4arch9wavefront6targetE1EEEvSL_
; %bb.0:
	.section	.rodata,"a",@progbits
	.p2align	6, 0x0
	.amdhsa_kernel _ZN7rocprim17ROCPRIM_400000_NS6detail17trampoline_kernelINS0_14default_configENS1_38merge_sort_block_merge_config_selectorIjNS0_10empty_typeEEEZZNS1_27merge_sort_block_merge_implIS3_N6thrust23THRUST_200600_302600_NS6detail15normal_iteratorINS9_10device_ptrIjEEEEPS5_jNS1_19radix_merge_compareILb0ELb0EjNS0_19identity_decomposerEEEEE10hipError_tT0_T1_T2_jT3_P12ihipStream_tbPNSt15iterator_traitsISK_E10value_typeEPNSQ_ISL_E10value_typeEPSM_NS1_7vsmem_tEENKUlT_SK_SL_SM_E_clIPjSE_SF_SF_EESJ_SZ_SK_SL_SM_EUlSZ_E1_NS1_11comp_targetILNS1_3genE10ELNS1_11target_archE1201ELNS1_3gpuE5ELNS1_3repE0EEENS1_36merge_oddeven_config_static_selectorELNS0_4arch9wavefront6targetE1EEEvSL_
		.amdhsa_group_segment_fixed_size 0
		.amdhsa_private_segment_fixed_size 0
		.amdhsa_kernarg_size 48
		.amdhsa_user_sgpr_count 2
		.amdhsa_user_sgpr_dispatch_ptr 0
		.amdhsa_user_sgpr_queue_ptr 0
		.amdhsa_user_sgpr_kernarg_segment_ptr 1
		.amdhsa_user_sgpr_dispatch_id 0
		.amdhsa_user_sgpr_kernarg_preload_length 0
		.amdhsa_user_sgpr_kernarg_preload_offset 0
		.amdhsa_user_sgpr_private_segment_size 0
		.amdhsa_uses_dynamic_stack 0
		.amdhsa_enable_private_segment 0
		.amdhsa_system_sgpr_workgroup_id_x 1
		.amdhsa_system_sgpr_workgroup_id_y 0
		.amdhsa_system_sgpr_workgroup_id_z 0
		.amdhsa_system_sgpr_workgroup_info 0
		.amdhsa_system_vgpr_workitem_id 0
		.amdhsa_next_free_vgpr 1
		.amdhsa_next_free_sgpr 0
		.amdhsa_accum_offset 4
		.amdhsa_reserve_vcc 0
		.amdhsa_float_round_mode_32 0
		.amdhsa_float_round_mode_16_64 0
		.amdhsa_float_denorm_mode_32 3
		.amdhsa_float_denorm_mode_16_64 3
		.amdhsa_dx10_clamp 1
		.amdhsa_ieee_mode 1
		.amdhsa_fp16_overflow 0
		.amdhsa_tg_split 0
		.amdhsa_exception_fp_ieee_invalid_op 0
		.amdhsa_exception_fp_denorm_src 0
		.amdhsa_exception_fp_ieee_div_zero 0
		.amdhsa_exception_fp_ieee_overflow 0
		.amdhsa_exception_fp_ieee_underflow 0
		.amdhsa_exception_fp_ieee_inexact 0
		.amdhsa_exception_int_div_zero 0
	.end_amdhsa_kernel
	.section	.text._ZN7rocprim17ROCPRIM_400000_NS6detail17trampoline_kernelINS0_14default_configENS1_38merge_sort_block_merge_config_selectorIjNS0_10empty_typeEEEZZNS1_27merge_sort_block_merge_implIS3_N6thrust23THRUST_200600_302600_NS6detail15normal_iteratorINS9_10device_ptrIjEEEEPS5_jNS1_19radix_merge_compareILb0ELb0EjNS0_19identity_decomposerEEEEE10hipError_tT0_T1_T2_jT3_P12ihipStream_tbPNSt15iterator_traitsISK_E10value_typeEPNSQ_ISL_E10value_typeEPSM_NS1_7vsmem_tEENKUlT_SK_SL_SM_E_clIPjSE_SF_SF_EESJ_SZ_SK_SL_SM_EUlSZ_E1_NS1_11comp_targetILNS1_3genE10ELNS1_11target_archE1201ELNS1_3gpuE5ELNS1_3repE0EEENS1_36merge_oddeven_config_static_selectorELNS0_4arch9wavefront6targetE1EEEvSL_,"axG",@progbits,_ZN7rocprim17ROCPRIM_400000_NS6detail17trampoline_kernelINS0_14default_configENS1_38merge_sort_block_merge_config_selectorIjNS0_10empty_typeEEEZZNS1_27merge_sort_block_merge_implIS3_N6thrust23THRUST_200600_302600_NS6detail15normal_iteratorINS9_10device_ptrIjEEEEPS5_jNS1_19radix_merge_compareILb0ELb0EjNS0_19identity_decomposerEEEEE10hipError_tT0_T1_T2_jT3_P12ihipStream_tbPNSt15iterator_traitsISK_E10value_typeEPNSQ_ISL_E10value_typeEPSM_NS1_7vsmem_tEENKUlT_SK_SL_SM_E_clIPjSE_SF_SF_EESJ_SZ_SK_SL_SM_EUlSZ_E1_NS1_11comp_targetILNS1_3genE10ELNS1_11target_archE1201ELNS1_3gpuE5ELNS1_3repE0EEENS1_36merge_oddeven_config_static_selectorELNS0_4arch9wavefront6targetE1EEEvSL_,comdat
.Lfunc_end986:
	.size	_ZN7rocprim17ROCPRIM_400000_NS6detail17trampoline_kernelINS0_14default_configENS1_38merge_sort_block_merge_config_selectorIjNS0_10empty_typeEEEZZNS1_27merge_sort_block_merge_implIS3_N6thrust23THRUST_200600_302600_NS6detail15normal_iteratorINS9_10device_ptrIjEEEEPS5_jNS1_19radix_merge_compareILb0ELb0EjNS0_19identity_decomposerEEEEE10hipError_tT0_T1_T2_jT3_P12ihipStream_tbPNSt15iterator_traitsISK_E10value_typeEPNSQ_ISL_E10value_typeEPSM_NS1_7vsmem_tEENKUlT_SK_SL_SM_E_clIPjSE_SF_SF_EESJ_SZ_SK_SL_SM_EUlSZ_E1_NS1_11comp_targetILNS1_3genE10ELNS1_11target_archE1201ELNS1_3gpuE5ELNS1_3repE0EEENS1_36merge_oddeven_config_static_selectorELNS0_4arch9wavefront6targetE1EEEvSL_, .Lfunc_end986-_ZN7rocprim17ROCPRIM_400000_NS6detail17trampoline_kernelINS0_14default_configENS1_38merge_sort_block_merge_config_selectorIjNS0_10empty_typeEEEZZNS1_27merge_sort_block_merge_implIS3_N6thrust23THRUST_200600_302600_NS6detail15normal_iteratorINS9_10device_ptrIjEEEEPS5_jNS1_19radix_merge_compareILb0ELb0EjNS0_19identity_decomposerEEEEE10hipError_tT0_T1_T2_jT3_P12ihipStream_tbPNSt15iterator_traitsISK_E10value_typeEPNSQ_ISL_E10value_typeEPSM_NS1_7vsmem_tEENKUlT_SK_SL_SM_E_clIPjSE_SF_SF_EESJ_SZ_SK_SL_SM_EUlSZ_E1_NS1_11comp_targetILNS1_3genE10ELNS1_11target_archE1201ELNS1_3gpuE5ELNS1_3repE0EEENS1_36merge_oddeven_config_static_selectorELNS0_4arch9wavefront6targetE1EEEvSL_
                                        ; -- End function
	.section	.AMDGPU.csdata,"",@progbits
; Kernel info:
; codeLenInByte = 0
; NumSgprs: 6
; NumVgprs: 0
; NumAgprs: 0
; TotalNumVgprs: 0
; ScratchSize: 0
; MemoryBound: 0
; FloatMode: 240
; IeeeMode: 1
; LDSByteSize: 0 bytes/workgroup (compile time only)
; SGPRBlocks: 0
; VGPRBlocks: 0
; NumSGPRsForWavesPerEU: 6
; NumVGPRsForWavesPerEU: 1
; AccumOffset: 4
; Occupancy: 8
; WaveLimiterHint : 0
; COMPUTE_PGM_RSRC2:SCRATCH_EN: 0
; COMPUTE_PGM_RSRC2:USER_SGPR: 2
; COMPUTE_PGM_RSRC2:TRAP_HANDLER: 0
; COMPUTE_PGM_RSRC2:TGID_X_EN: 1
; COMPUTE_PGM_RSRC2:TGID_Y_EN: 0
; COMPUTE_PGM_RSRC2:TGID_Z_EN: 0
; COMPUTE_PGM_RSRC2:TIDIG_COMP_CNT: 0
; COMPUTE_PGM_RSRC3_GFX90A:ACCUM_OFFSET: 0
; COMPUTE_PGM_RSRC3_GFX90A:TG_SPLIT: 0
	.section	.text._ZN7rocprim17ROCPRIM_400000_NS6detail17trampoline_kernelINS0_14default_configENS1_38merge_sort_block_merge_config_selectorIjNS0_10empty_typeEEEZZNS1_27merge_sort_block_merge_implIS3_N6thrust23THRUST_200600_302600_NS6detail15normal_iteratorINS9_10device_ptrIjEEEEPS5_jNS1_19radix_merge_compareILb0ELb0EjNS0_19identity_decomposerEEEEE10hipError_tT0_T1_T2_jT3_P12ihipStream_tbPNSt15iterator_traitsISK_E10value_typeEPNSQ_ISL_E10value_typeEPSM_NS1_7vsmem_tEENKUlT_SK_SL_SM_E_clIPjSE_SF_SF_EESJ_SZ_SK_SL_SM_EUlSZ_E1_NS1_11comp_targetILNS1_3genE5ELNS1_11target_archE942ELNS1_3gpuE9ELNS1_3repE0EEENS1_36merge_oddeven_config_static_selectorELNS0_4arch9wavefront6targetE1EEEvSL_,"axG",@progbits,_ZN7rocprim17ROCPRIM_400000_NS6detail17trampoline_kernelINS0_14default_configENS1_38merge_sort_block_merge_config_selectorIjNS0_10empty_typeEEEZZNS1_27merge_sort_block_merge_implIS3_N6thrust23THRUST_200600_302600_NS6detail15normal_iteratorINS9_10device_ptrIjEEEEPS5_jNS1_19radix_merge_compareILb0ELb0EjNS0_19identity_decomposerEEEEE10hipError_tT0_T1_T2_jT3_P12ihipStream_tbPNSt15iterator_traitsISK_E10value_typeEPNSQ_ISL_E10value_typeEPSM_NS1_7vsmem_tEENKUlT_SK_SL_SM_E_clIPjSE_SF_SF_EESJ_SZ_SK_SL_SM_EUlSZ_E1_NS1_11comp_targetILNS1_3genE5ELNS1_11target_archE942ELNS1_3gpuE9ELNS1_3repE0EEENS1_36merge_oddeven_config_static_selectorELNS0_4arch9wavefront6targetE1EEEvSL_,comdat
	.protected	_ZN7rocprim17ROCPRIM_400000_NS6detail17trampoline_kernelINS0_14default_configENS1_38merge_sort_block_merge_config_selectorIjNS0_10empty_typeEEEZZNS1_27merge_sort_block_merge_implIS3_N6thrust23THRUST_200600_302600_NS6detail15normal_iteratorINS9_10device_ptrIjEEEEPS5_jNS1_19radix_merge_compareILb0ELb0EjNS0_19identity_decomposerEEEEE10hipError_tT0_T1_T2_jT3_P12ihipStream_tbPNSt15iterator_traitsISK_E10value_typeEPNSQ_ISL_E10value_typeEPSM_NS1_7vsmem_tEENKUlT_SK_SL_SM_E_clIPjSE_SF_SF_EESJ_SZ_SK_SL_SM_EUlSZ_E1_NS1_11comp_targetILNS1_3genE5ELNS1_11target_archE942ELNS1_3gpuE9ELNS1_3repE0EEENS1_36merge_oddeven_config_static_selectorELNS0_4arch9wavefront6targetE1EEEvSL_ ; -- Begin function _ZN7rocprim17ROCPRIM_400000_NS6detail17trampoline_kernelINS0_14default_configENS1_38merge_sort_block_merge_config_selectorIjNS0_10empty_typeEEEZZNS1_27merge_sort_block_merge_implIS3_N6thrust23THRUST_200600_302600_NS6detail15normal_iteratorINS9_10device_ptrIjEEEEPS5_jNS1_19radix_merge_compareILb0ELb0EjNS0_19identity_decomposerEEEEE10hipError_tT0_T1_T2_jT3_P12ihipStream_tbPNSt15iterator_traitsISK_E10value_typeEPNSQ_ISL_E10value_typeEPSM_NS1_7vsmem_tEENKUlT_SK_SL_SM_E_clIPjSE_SF_SF_EESJ_SZ_SK_SL_SM_EUlSZ_E1_NS1_11comp_targetILNS1_3genE5ELNS1_11target_archE942ELNS1_3gpuE9ELNS1_3repE0EEENS1_36merge_oddeven_config_static_selectorELNS0_4arch9wavefront6targetE1EEEvSL_
	.globl	_ZN7rocprim17ROCPRIM_400000_NS6detail17trampoline_kernelINS0_14default_configENS1_38merge_sort_block_merge_config_selectorIjNS0_10empty_typeEEEZZNS1_27merge_sort_block_merge_implIS3_N6thrust23THRUST_200600_302600_NS6detail15normal_iteratorINS9_10device_ptrIjEEEEPS5_jNS1_19radix_merge_compareILb0ELb0EjNS0_19identity_decomposerEEEEE10hipError_tT0_T1_T2_jT3_P12ihipStream_tbPNSt15iterator_traitsISK_E10value_typeEPNSQ_ISL_E10value_typeEPSM_NS1_7vsmem_tEENKUlT_SK_SL_SM_E_clIPjSE_SF_SF_EESJ_SZ_SK_SL_SM_EUlSZ_E1_NS1_11comp_targetILNS1_3genE5ELNS1_11target_archE942ELNS1_3gpuE9ELNS1_3repE0EEENS1_36merge_oddeven_config_static_selectorELNS0_4arch9wavefront6targetE1EEEvSL_
	.p2align	8
	.type	_ZN7rocprim17ROCPRIM_400000_NS6detail17trampoline_kernelINS0_14default_configENS1_38merge_sort_block_merge_config_selectorIjNS0_10empty_typeEEEZZNS1_27merge_sort_block_merge_implIS3_N6thrust23THRUST_200600_302600_NS6detail15normal_iteratorINS9_10device_ptrIjEEEEPS5_jNS1_19radix_merge_compareILb0ELb0EjNS0_19identity_decomposerEEEEE10hipError_tT0_T1_T2_jT3_P12ihipStream_tbPNSt15iterator_traitsISK_E10value_typeEPNSQ_ISL_E10value_typeEPSM_NS1_7vsmem_tEENKUlT_SK_SL_SM_E_clIPjSE_SF_SF_EESJ_SZ_SK_SL_SM_EUlSZ_E1_NS1_11comp_targetILNS1_3genE5ELNS1_11target_archE942ELNS1_3gpuE9ELNS1_3repE0EEENS1_36merge_oddeven_config_static_selectorELNS0_4arch9wavefront6targetE1EEEvSL_,@function
_ZN7rocprim17ROCPRIM_400000_NS6detail17trampoline_kernelINS0_14default_configENS1_38merge_sort_block_merge_config_selectorIjNS0_10empty_typeEEEZZNS1_27merge_sort_block_merge_implIS3_N6thrust23THRUST_200600_302600_NS6detail15normal_iteratorINS9_10device_ptrIjEEEEPS5_jNS1_19radix_merge_compareILb0ELb0EjNS0_19identity_decomposerEEEEE10hipError_tT0_T1_T2_jT3_P12ihipStream_tbPNSt15iterator_traitsISK_E10value_typeEPNSQ_ISL_E10value_typeEPSM_NS1_7vsmem_tEENKUlT_SK_SL_SM_E_clIPjSE_SF_SF_EESJ_SZ_SK_SL_SM_EUlSZ_E1_NS1_11comp_targetILNS1_3genE5ELNS1_11target_archE942ELNS1_3gpuE9ELNS1_3repE0EEENS1_36merge_oddeven_config_static_selectorELNS0_4arch9wavefront6targetE1EEEvSL_: ; @_ZN7rocprim17ROCPRIM_400000_NS6detail17trampoline_kernelINS0_14default_configENS1_38merge_sort_block_merge_config_selectorIjNS0_10empty_typeEEEZZNS1_27merge_sort_block_merge_implIS3_N6thrust23THRUST_200600_302600_NS6detail15normal_iteratorINS9_10device_ptrIjEEEEPS5_jNS1_19radix_merge_compareILb0ELb0EjNS0_19identity_decomposerEEEEE10hipError_tT0_T1_T2_jT3_P12ihipStream_tbPNSt15iterator_traitsISK_E10value_typeEPNSQ_ISL_E10value_typeEPSM_NS1_7vsmem_tEENKUlT_SK_SL_SM_E_clIPjSE_SF_SF_EESJ_SZ_SK_SL_SM_EUlSZ_E1_NS1_11comp_targetILNS1_3genE5ELNS1_11target_archE942ELNS1_3gpuE9ELNS1_3repE0EEENS1_36merge_oddeven_config_static_selectorELNS0_4arch9wavefront6targetE1EEEvSL_
; %bb.0:
	s_load_dword s16, s[0:1], 0x20
	s_waitcnt lgkmcnt(0)
	s_lshr_b32 s3, s16, 8
	s_cmp_lg_u32 s2, s3
	s_cselect_b64 s[12:13], -1, 0
	s_cmp_eq_u32 s2, s3
	s_cselect_b64 s[6:7], -1, 0
	s_lshl_b32 s14, s2, 8
	s_sub_i32 s3, s16, s14
	v_cmp_gt_u32_e64 s[4:5], s3, v0
	s_or_b64 s[8:9], s[12:13], s[4:5]
	s_and_saveexec_b64 s[10:11], s[8:9]
	s_cbranch_execz .LBB987_20
; %bb.1:
	s_load_dwordx4 s[8:11], s[0:1], 0x0
	s_load_dword s17, s[0:1], 0x24
	s_mov_b32 s15, 0
	s_lshl_b64 s[0:1], s[14:15], 2
	v_lshlrev_b32_e32 v1, 2, v0
	s_waitcnt lgkmcnt(0)
	s_add_u32 s0, s8, s0
	s_addc_u32 s1, s9, s1
	global_load_dword v2, v1, s[0:1]
	s_lshr_b32 s0, s17, 8
	s_sub_i32 s1, 0, s0
	s_and_b32 s1, s2, s1
	s_and_b32 s0, s1, s0
	s_lshl_b32 s18, s1, 8
	s_sub_i32 s15, 0, s17
	s_cmp_eq_u32 s0, 0
	s_cselect_b64 s[0:1], -1, 0
	s_and_b64 s[2:3], s[0:1], exec
	s_cselect_b32 s15, s17, s15
	s_add_i32 s15, s15, s18
	s_cmp_lt_u32 s15, s16
	v_add_u32_e32 v0, s14, v0
	s_cbranch_scc1 .LBB987_3
; %bb.2:
	v_cmp_gt_u32_e32 vcc, s16, v0
	s_or_b64 s[2:3], vcc, s[12:13]
	s_and_b64 s[2:3], s[2:3], exec
	s_cbranch_execz .LBB987_4
	s_branch .LBB987_18
.LBB987_3:
	s_mov_b64 s[2:3], 0
.LBB987_4:
	s_min_u32 s12, s15, s16
	s_min_u32 s14, s18, s12
	s_add_i32 s18, s18, s12
	s_add_i32 s13, s12, s17
	v_subrev_u32_e32 v0, s18, v0
	s_min_u32 s13, s13, s16
	v_add_u32_e32 v3, s14, v0
	s_and_b64 vcc, exec, s[6:7]
	s_cbranch_vccz .LBB987_12
; %bb.5:
                                        ; implicit-def: $vgpr0
	s_and_saveexec_b64 s[6:7], s[4:5]
	s_cbranch_execz .LBB987_11
; %bb.6:
	s_cmp_ge_u32 s15, s13
	v_mov_b32_e32 v4, s12
	s_cbranch_scc1 .LBB987_10
; %bb.7:
	s_mov_b64 s[4:5], 0
	v_mov_b32_e32 v5, s13
	v_mov_b32_e32 v4, s12
	v_mov_b32_e32 v1, 0
.LBB987_8:                              ; =>This Inner Loop Header: Depth=1
	v_add_u32_e32 v0, v4, v5
	v_lshrrev_b32_e32 v0, 1, v0
	v_lshl_add_u64 v[6:7], v[0:1], 2, s[8:9]
	global_load_dword v6, v[6:7], off
	v_add_u32_e32 v7, 1, v0
	s_waitcnt vmcnt(0)
	v_cmp_gt_u32_e32 vcc, v2, v6
	s_nop 1
	v_cndmask_b32_e64 v8, 0, 1, vcc
	v_cmp_le_u32_e32 vcc, v6, v2
	s_nop 1
	v_cndmask_b32_e64 v6, 0, 1, vcc
	v_cndmask_b32_e64 v6, v6, v8, s[0:1]
	v_and_b32_e32 v6, 1, v6
	v_cmp_eq_u32_e32 vcc, 1, v6
	s_nop 1
	v_cndmask_b32_e32 v5, v0, v5, vcc
	v_cndmask_b32_e32 v4, v4, v7, vcc
	v_cmp_ge_u32_e32 vcc, v4, v5
	s_or_b64 s[4:5], vcc, s[4:5]
	s_andn2_b64 exec, exec, s[4:5]
	s_cbranch_execnz .LBB987_8
; %bb.9:
	s_or_b64 exec, exec, s[4:5]
.LBB987_10:
	v_add_u32_e32 v0, v4, v3
	s_or_b64 s[2:3], s[2:3], exec
.LBB987_11:
	s_or_b64 exec, exec, s[6:7]
	s_branch .LBB987_18
.LBB987_12:
                                        ; implicit-def: $vgpr0
	s_cbranch_execz .LBB987_18
; %bb.13:
	s_cmp_ge_u32 s15, s13
	v_mov_b32_e32 v4, s12
	s_cbranch_scc1 .LBB987_17
; %bb.14:
	s_mov_b64 s[2:3], 0
	v_mov_b32_e32 v5, s13
	v_mov_b32_e32 v4, s12
	;; [unrolled: 1-line block ×3, first 2 shown]
.LBB987_15:                             ; =>This Inner Loop Header: Depth=1
	v_add_u32_e32 v0, v4, v5
	v_lshrrev_b32_e32 v0, 1, v0
	v_lshl_add_u64 v[6:7], v[0:1], 2, s[8:9]
	global_load_dword v6, v[6:7], off
	v_add_u32_e32 v7, 1, v0
	s_waitcnt vmcnt(0)
	v_cmp_gt_u32_e32 vcc, v2, v6
	s_nop 1
	v_cndmask_b32_e64 v8, 0, 1, vcc
	v_cmp_le_u32_e32 vcc, v6, v2
	s_nop 1
	v_cndmask_b32_e64 v6, 0, 1, vcc
	v_cndmask_b32_e64 v6, v6, v8, s[0:1]
	v_and_b32_e32 v6, 1, v6
	v_cmp_eq_u32_e32 vcc, 1, v6
	s_nop 1
	v_cndmask_b32_e32 v5, v0, v5, vcc
	v_cndmask_b32_e32 v4, v4, v7, vcc
	v_cmp_ge_u32_e32 vcc, v4, v5
	s_or_b64 s[2:3], vcc, s[2:3]
	s_andn2_b64 exec, exec, s[2:3]
	s_cbranch_execnz .LBB987_15
; %bb.16:
	s_or_b64 exec, exec, s[2:3]
.LBB987_17:
	v_add_u32_e32 v0, v4, v3
	s_mov_b64 s[2:3], -1
.LBB987_18:
	s_and_b64 exec, exec, s[2:3]
	s_cbranch_execz .LBB987_20
; %bb.19:
	v_mov_b32_e32 v4, s10
	v_mov_b32_e32 v5, s11
	;; [unrolled: 1-line block ×3, first 2 shown]
	v_lshl_add_u64 v[0:1], v[0:1], 2, v[4:5]
	s_waitcnt vmcnt(0)
	global_store_dword v[0:1], v2, off
.LBB987_20:
	s_endpgm
	.section	.rodata,"a",@progbits
	.p2align	6, 0x0
	.amdhsa_kernel _ZN7rocprim17ROCPRIM_400000_NS6detail17trampoline_kernelINS0_14default_configENS1_38merge_sort_block_merge_config_selectorIjNS0_10empty_typeEEEZZNS1_27merge_sort_block_merge_implIS3_N6thrust23THRUST_200600_302600_NS6detail15normal_iteratorINS9_10device_ptrIjEEEEPS5_jNS1_19radix_merge_compareILb0ELb0EjNS0_19identity_decomposerEEEEE10hipError_tT0_T1_T2_jT3_P12ihipStream_tbPNSt15iterator_traitsISK_E10value_typeEPNSQ_ISL_E10value_typeEPSM_NS1_7vsmem_tEENKUlT_SK_SL_SM_E_clIPjSE_SF_SF_EESJ_SZ_SK_SL_SM_EUlSZ_E1_NS1_11comp_targetILNS1_3genE5ELNS1_11target_archE942ELNS1_3gpuE9ELNS1_3repE0EEENS1_36merge_oddeven_config_static_selectorELNS0_4arch9wavefront6targetE1EEEvSL_
		.amdhsa_group_segment_fixed_size 0
		.amdhsa_private_segment_fixed_size 0
		.amdhsa_kernarg_size 48
		.amdhsa_user_sgpr_count 2
		.amdhsa_user_sgpr_dispatch_ptr 0
		.amdhsa_user_sgpr_queue_ptr 0
		.amdhsa_user_sgpr_kernarg_segment_ptr 1
		.amdhsa_user_sgpr_dispatch_id 0
		.amdhsa_user_sgpr_kernarg_preload_length 0
		.amdhsa_user_sgpr_kernarg_preload_offset 0
		.amdhsa_user_sgpr_private_segment_size 0
		.amdhsa_uses_dynamic_stack 0
		.amdhsa_enable_private_segment 0
		.amdhsa_system_sgpr_workgroup_id_x 1
		.amdhsa_system_sgpr_workgroup_id_y 0
		.amdhsa_system_sgpr_workgroup_id_z 0
		.amdhsa_system_sgpr_workgroup_info 0
		.amdhsa_system_vgpr_workitem_id 0
		.amdhsa_next_free_vgpr 9
		.amdhsa_next_free_sgpr 19
		.amdhsa_accum_offset 12
		.amdhsa_reserve_vcc 1
		.amdhsa_float_round_mode_32 0
		.amdhsa_float_round_mode_16_64 0
		.amdhsa_float_denorm_mode_32 3
		.amdhsa_float_denorm_mode_16_64 3
		.amdhsa_dx10_clamp 1
		.amdhsa_ieee_mode 1
		.amdhsa_fp16_overflow 0
		.amdhsa_tg_split 0
		.amdhsa_exception_fp_ieee_invalid_op 0
		.amdhsa_exception_fp_denorm_src 0
		.amdhsa_exception_fp_ieee_div_zero 0
		.amdhsa_exception_fp_ieee_overflow 0
		.amdhsa_exception_fp_ieee_underflow 0
		.amdhsa_exception_fp_ieee_inexact 0
		.amdhsa_exception_int_div_zero 0
	.end_amdhsa_kernel
	.section	.text._ZN7rocprim17ROCPRIM_400000_NS6detail17trampoline_kernelINS0_14default_configENS1_38merge_sort_block_merge_config_selectorIjNS0_10empty_typeEEEZZNS1_27merge_sort_block_merge_implIS3_N6thrust23THRUST_200600_302600_NS6detail15normal_iteratorINS9_10device_ptrIjEEEEPS5_jNS1_19radix_merge_compareILb0ELb0EjNS0_19identity_decomposerEEEEE10hipError_tT0_T1_T2_jT3_P12ihipStream_tbPNSt15iterator_traitsISK_E10value_typeEPNSQ_ISL_E10value_typeEPSM_NS1_7vsmem_tEENKUlT_SK_SL_SM_E_clIPjSE_SF_SF_EESJ_SZ_SK_SL_SM_EUlSZ_E1_NS1_11comp_targetILNS1_3genE5ELNS1_11target_archE942ELNS1_3gpuE9ELNS1_3repE0EEENS1_36merge_oddeven_config_static_selectorELNS0_4arch9wavefront6targetE1EEEvSL_,"axG",@progbits,_ZN7rocprim17ROCPRIM_400000_NS6detail17trampoline_kernelINS0_14default_configENS1_38merge_sort_block_merge_config_selectorIjNS0_10empty_typeEEEZZNS1_27merge_sort_block_merge_implIS3_N6thrust23THRUST_200600_302600_NS6detail15normal_iteratorINS9_10device_ptrIjEEEEPS5_jNS1_19radix_merge_compareILb0ELb0EjNS0_19identity_decomposerEEEEE10hipError_tT0_T1_T2_jT3_P12ihipStream_tbPNSt15iterator_traitsISK_E10value_typeEPNSQ_ISL_E10value_typeEPSM_NS1_7vsmem_tEENKUlT_SK_SL_SM_E_clIPjSE_SF_SF_EESJ_SZ_SK_SL_SM_EUlSZ_E1_NS1_11comp_targetILNS1_3genE5ELNS1_11target_archE942ELNS1_3gpuE9ELNS1_3repE0EEENS1_36merge_oddeven_config_static_selectorELNS0_4arch9wavefront6targetE1EEEvSL_,comdat
.Lfunc_end987:
	.size	_ZN7rocprim17ROCPRIM_400000_NS6detail17trampoline_kernelINS0_14default_configENS1_38merge_sort_block_merge_config_selectorIjNS0_10empty_typeEEEZZNS1_27merge_sort_block_merge_implIS3_N6thrust23THRUST_200600_302600_NS6detail15normal_iteratorINS9_10device_ptrIjEEEEPS5_jNS1_19radix_merge_compareILb0ELb0EjNS0_19identity_decomposerEEEEE10hipError_tT0_T1_T2_jT3_P12ihipStream_tbPNSt15iterator_traitsISK_E10value_typeEPNSQ_ISL_E10value_typeEPSM_NS1_7vsmem_tEENKUlT_SK_SL_SM_E_clIPjSE_SF_SF_EESJ_SZ_SK_SL_SM_EUlSZ_E1_NS1_11comp_targetILNS1_3genE5ELNS1_11target_archE942ELNS1_3gpuE9ELNS1_3repE0EEENS1_36merge_oddeven_config_static_selectorELNS0_4arch9wavefront6targetE1EEEvSL_, .Lfunc_end987-_ZN7rocprim17ROCPRIM_400000_NS6detail17trampoline_kernelINS0_14default_configENS1_38merge_sort_block_merge_config_selectorIjNS0_10empty_typeEEEZZNS1_27merge_sort_block_merge_implIS3_N6thrust23THRUST_200600_302600_NS6detail15normal_iteratorINS9_10device_ptrIjEEEEPS5_jNS1_19radix_merge_compareILb0ELb0EjNS0_19identity_decomposerEEEEE10hipError_tT0_T1_T2_jT3_P12ihipStream_tbPNSt15iterator_traitsISK_E10value_typeEPNSQ_ISL_E10value_typeEPSM_NS1_7vsmem_tEENKUlT_SK_SL_SM_E_clIPjSE_SF_SF_EESJ_SZ_SK_SL_SM_EUlSZ_E1_NS1_11comp_targetILNS1_3genE5ELNS1_11target_archE942ELNS1_3gpuE9ELNS1_3repE0EEENS1_36merge_oddeven_config_static_selectorELNS0_4arch9wavefront6targetE1EEEvSL_
                                        ; -- End function
	.section	.AMDGPU.csdata,"",@progbits
; Kernel info:
; codeLenInByte = 584
; NumSgprs: 25
; NumVgprs: 9
; NumAgprs: 0
; TotalNumVgprs: 9
; ScratchSize: 0
; MemoryBound: 0
; FloatMode: 240
; IeeeMode: 1
; LDSByteSize: 0 bytes/workgroup (compile time only)
; SGPRBlocks: 3
; VGPRBlocks: 1
; NumSGPRsForWavesPerEU: 25
; NumVGPRsForWavesPerEU: 9
; AccumOffset: 12
; Occupancy: 8
; WaveLimiterHint : 0
; COMPUTE_PGM_RSRC2:SCRATCH_EN: 0
; COMPUTE_PGM_RSRC2:USER_SGPR: 2
; COMPUTE_PGM_RSRC2:TRAP_HANDLER: 0
; COMPUTE_PGM_RSRC2:TGID_X_EN: 1
; COMPUTE_PGM_RSRC2:TGID_Y_EN: 0
; COMPUTE_PGM_RSRC2:TGID_Z_EN: 0
; COMPUTE_PGM_RSRC2:TIDIG_COMP_CNT: 0
; COMPUTE_PGM_RSRC3_GFX90A:ACCUM_OFFSET: 2
; COMPUTE_PGM_RSRC3_GFX90A:TG_SPLIT: 0
	.section	.text._ZN7rocprim17ROCPRIM_400000_NS6detail17trampoline_kernelINS0_14default_configENS1_38merge_sort_block_merge_config_selectorIjNS0_10empty_typeEEEZZNS1_27merge_sort_block_merge_implIS3_N6thrust23THRUST_200600_302600_NS6detail15normal_iteratorINS9_10device_ptrIjEEEEPS5_jNS1_19radix_merge_compareILb0ELb0EjNS0_19identity_decomposerEEEEE10hipError_tT0_T1_T2_jT3_P12ihipStream_tbPNSt15iterator_traitsISK_E10value_typeEPNSQ_ISL_E10value_typeEPSM_NS1_7vsmem_tEENKUlT_SK_SL_SM_E_clIPjSE_SF_SF_EESJ_SZ_SK_SL_SM_EUlSZ_E1_NS1_11comp_targetILNS1_3genE4ELNS1_11target_archE910ELNS1_3gpuE8ELNS1_3repE0EEENS1_36merge_oddeven_config_static_selectorELNS0_4arch9wavefront6targetE1EEEvSL_,"axG",@progbits,_ZN7rocprim17ROCPRIM_400000_NS6detail17trampoline_kernelINS0_14default_configENS1_38merge_sort_block_merge_config_selectorIjNS0_10empty_typeEEEZZNS1_27merge_sort_block_merge_implIS3_N6thrust23THRUST_200600_302600_NS6detail15normal_iteratorINS9_10device_ptrIjEEEEPS5_jNS1_19radix_merge_compareILb0ELb0EjNS0_19identity_decomposerEEEEE10hipError_tT0_T1_T2_jT3_P12ihipStream_tbPNSt15iterator_traitsISK_E10value_typeEPNSQ_ISL_E10value_typeEPSM_NS1_7vsmem_tEENKUlT_SK_SL_SM_E_clIPjSE_SF_SF_EESJ_SZ_SK_SL_SM_EUlSZ_E1_NS1_11comp_targetILNS1_3genE4ELNS1_11target_archE910ELNS1_3gpuE8ELNS1_3repE0EEENS1_36merge_oddeven_config_static_selectorELNS0_4arch9wavefront6targetE1EEEvSL_,comdat
	.protected	_ZN7rocprim17ROCPRIM_400000_NS6detail17trampoline_kernelINS0_14default_configENS1_38merge_sort_block_merge_config_selectorIjNS0_10empty_typeEEEZZNS1_27merge_sort_block_merge_implIS3_N6thrust23THRUST_200600_302600_NS6detail15normal_iteratorINS9_10device_ptrIjEEEEPS5_jNS1_19radix_merge_compareILb0ELb0EjNS0_19identity_decomposerEEEEE10hipError_tT0_T1_T2_jT3_P12ihipStream_tbPNSt15iterator_traitsISK_E10value_typeEPNSQ_ISL_E10value_typeEPSM_NS1_7vsmem_tEENKUlT_SK_SL_SM_E_clIPjSE_SF_SF_EESJ_SZ_SK_SL_SM_EUlSZ_E1_NS1_11comp_targetILNS1_3genE4ELNS1_11target_archE910ELNS1_3gpuE8ELNS1_3repE0EEENS1_36merge_oddeven_config_static_selectorELNS0_4arch9wavefront6targetE1EEEvSL_ ; -- Begin function _ZN7rocprim17ROCPRIM_400000_NS6detail17trampoline_kernelINS0_14default_configENS1_38merge_sort_block_merge_config_selectorIjNS0_10empty_typeEEEZZNS1_27merge_sort_block_merge_implIS3_N6thrust23THRUST_200600_302600_NS6detail15normal_iteratorINS9_10device_ptrIjEEEEPS5_jNS1_19radix_merge_compareILb0ELb0EjNS0_19identity_decomposerEEEEE10hipError_tT0_T1_T2_jT3_P12ihipStream_tbPNSt15iterator_traitsISK_E10value_typeEPNSQ_ISL_E10value_typeEPSM_NS1_7vsmem_tEENKUlT_SK_SL_SM_E_clIPjSE_SF_SF_EESJ_SZ_SK_SL_SM_EUlSZ_E1_NS1_11comp_targetILNS1_3genE4ELNS1_11target_archE910ELNS1_3gpuE8ELNS1_3repE0EEENS1_36merge_oddeven_config_static_selectorELNS0_4arch9wavefront6targetE1EEEvSL_
	.globl	_ZN7rocprim17ROCPRIM_400000_NS6detail17trampoline_kernelINS0_14default_configENS1_38merge_sort_block_merge_config_selectorIjNS0_10empty_typeEEEZZNS1_27merge_sort_block_merge_implIS3_N6thrust23THRUST_200600_302600_NS6detail15normal_iteratorINS9_10device_ptrIjEEEEPS5_jNS1_19radix_merge_compareILb0ELb0EjNS0_19identity_decomposerEEEEE10hipError_tT0_T1_T2_jT3_P12ihipStream_tbPNSt15iterator_traitsISK_E10value_typeEPNSQ_ISL_E10value_typeEPSM_NS1_7vsmem_tEENKUlT_SK_SL_SM_E_clIPjSE_SF_SF_EESJ_SZ_SK_SL_SM_EUlSZ_E1_NS1_11comp_targetILNS1_3genE4ELNS1_11target_archE910ELNS1_3gpuE8ELNS1_3repE0EEENS1_36merge_oddeven_config_static_selectorELNS0_4arch9wavefront6targetE1EEEvSL_
	.p2align	8
	.type	_ZN7rocprim17ROCPRIM_400000_NS6detail17trampoline_kernelINS0_14default_configENS1_38merge_sort_block_merge_config_selectorIjNS0_10empty_typeEEEZZNS1_27merge_sort_block_merge_implIS3_N6thrust23THRUST_200600_302600_NS6detail15normal_iteratorINS9_10device_ptrIjEEEEPS5_jNS1_19radix_merge_compareILb0ELb0EjNS0_19identity_decomposerEEEEE10hipError_tT0_T1_T2_jT3_P12ihipStream_tbPNSt15iterator_traitsISK_E10value_typeEPNSQ_ISL_E10value_typeEPSM_NS1_7vsmem_tEENKUlT_SK_SL_SM_E_clIPjSE_SF_SF_EESJ_SZ_SK_SL_SM_EUlSZ_E1_NS1_11comp_targetILNS1_3genE4ELNS1_11target_archE910ELNS1_3gpuE8ELNS1_3repE0EEENS1_36merge_oddeven_config_static_selectorELNS0_4arch9wavefront6targetE1EEEvSL_,@function
_ZN7rocprim17ROCPRIM_400000_NS6detail17trampoline_kernelINS0_14default_configENS1_38merge_sort_block_merge_config_selectorIjNS0_10empty_typeEEEZZNS1_27merge_sort_block_merge_implIS3_N6thrust23THRUST_200600_302600_NS6detail15normal_iteratorINS9_10device_ptrIjEEEEPS5_jNS1_19radix_merge_compareILb0ELb0EjNS0_19identity_decomposerEEEEE10hipError_tT0_T1_T2_jT3_P12ihipStream_tbPNSt15iterator_traitsISK_E10value_typeEPNSQ_ISL_E10value_typeEPSM_NS1_7vsmem_tEENKUlT_SK_SL_SM_E_clIPjSE_SF_SF_EESJ_SZ_SK_SL_SM_EUlSZ_E1_NS1_11comp_targetILNS1_3genE4ELNS1_11target_archE910ELNS1_3gpuE8ELNS1_3repE0EEENS1_36merge_oddeven_config_static_selectorELNS0_4arch9wavefront6targetE1EEEvSL_: ; @_ZN7rocprim17ROCPRIM_400000_NS6detail17trampoline_kernelINS0_14default_configENS1_38merge_sort_block_merge_config_selectorIjNS0_10empty_typeEEEZZNS1_27merge_sort_block_merge_implIS3_N6thrust23THRUST_200600_302600_NS6detail15normal_iteratorINS9_10device_ptrIjEEEEPS5_jNS1_19radix_merge_compareILb0ELb0EjNS0_19identity_decomposerEEEEE10hipError_tT0_T1_T2_jT3_P12ihipStream_tbPNSt15iterator_traitsISK_E10value_typeEPNSQ_ISL_E10value_typeEPSM_NS1_7vsmem_tEENKUlT_SK_SL_SM_E_clIPjSE_SF_SF_EESJ_SZ_SK_SL_SM_EUlSZ_E1_NS1_11comp_targetILNS1_3genE4ELNS1_11target_archE910ELNS1_3gpuE8ELNS1_3repE0EEENS1_36merge_oddeven_config_static_selectorELNS0_4arch9wavefront6targetE1EEEvSL_
; %bb.0:
	.section	.rodata,"a",@progbits
	.p2align	6, 0x0
	.amdhsa_kernel _ZN7rocprim17ROCPRIM_400000_NS6detail17trampoline_kernelINS0_14default_configENS1_38merge_sort_block_merge_config_selectorIjNS0_10empty_typeEEEZZNS1_27merge_sort_block_merge_implIS3_N6thrust23THRUST_200600_302600_NS6detail15normal_iteratorINS9_10device_ptrIjEEEEPS5_jNS1_19radix_merge_compareILb0ELb0EjNS0_19identity_decomposerEEEEE10hipError_tT0_T1_T2_jT3_P12ihipStream_tbPNSt15iterator_traitsISK_E10value_typeEPNSQ_ISL_E10value_typeEPSM_NS1_7vsmem_tEENKUlT_SK_SL_SM_E_clIPjSE_SF_SF_EESJ_SZ_SK_SL_SM_EUlSZ_E1_NS1_11comp_targetILNS1_3genE4ELNS1_11target_archE910ELNS1_3gpuE8ELNS1_3repE0EEENS1_36merge_oddeven_config_static_selectorELNS0_4arch9wavefront6targetE1EEEvSL_
		.amdhsa_group_segment_fixed_size 0
		.amdhsa_private_segment_fixed_size 0
		.amdhsa_kernarg_size 48
		.amdhsa_user_sgpr_count 2
		.amdhsa_user_sgpr_dispatch_ptr 0
		.amdhsa_user_sgpr_queue_ptr 0
		.amdhsa_user_sgpr_kernarg_segment_ptr 1
		.amdhsa_user_sgpr_dispatch_id 0
		.amdhsa_user_sgpr_kernarg_preload_length 0
		.amdhsa_user_sgpr_kernarg_preload_offset 0
		.amdhsa_user_sgpr_private_segment_size 0
		.amdhsa_uses_dynamic_stack 0
		.amdhsa_enable_private_segment 0
		.amdhsa_system_sgpr_workgroup_id_x 1
		.amdhsa_system_sgpr_workgroup_id_y 0
		.amdhsa_system_sgpr_workgroup_id_z 0
		.amdhsa_system_sgpr_workgroup_info 0
		.amdhsa_system_vgpr_workitem_id 0
		.amdhsa_next_free_vgpr 1
		.amdhsa_next_free_sgpr 0
		.amdhsa_accum_offset 4
		.amdhsa_reserve_vcc 0
		.amdhsa_float_round_mode_32 0
		.amdhsa_float_round_mode_16_64 0
		.amdhsa_float_denorm_mode_32 3
		.amdhsa_float_denorm_mode_16_64 3
		.amdhsa_dx10_clamp 1
		.amdhsa_ieee_mode 1
		.amdhsa_fp16_overflow 0
		.amdhsa_tg_split 0
		.amdhsa_exception_fp_ieee_invalid_op 0
		.amdhsa_exception_fp_denorm_src 0
		.amdhsa_exception_fp_ieee_div_zero 0
		.amdhsa_exception_fp_ieee_overflow 0
		.amdhsa_exception_fp_ieee_underflow 0
		.amdhsa_exception_fp_ieee_inexact 0
		.amdhsa_exception_int_div_zero 0
	.end_amdhsa_kernel
	.section	.text._ZN7rocprim17ROCPRIM_400000_NS6detail17trampoline_kernelINS0_14default_configENS1_38merge_sort_block_merge_config_selectorIjNS0_10empty_typeEEEZZNS1_27merge_sort_block_merge_implIS3_N6thrust23THRUST_200600_302600_NS6detail15normal_iteratorINS9_10device_ptrIjEEEEPS5_jNS1_19radix_merge_compareILb0ELb0EjNS0_19identity_decomposerEEEEE10hipError_tT0_T1_T2_jT3_P12ihipStream_tbPNSt15iterator_traitsISK_E10value_typeEPNSQ_ISL_E10value_typeEPSM_NS1_7vsmem_tEENKUlT_SK_SL_SM_E_clIPjSE_SF_SF_EESJ_SZ_SK_SL_SM_EUlSZ_E1_NS1_11comp_targetILNS1_3genE4ELNS1_11target_archE910ELNS1_3gpuE8ELNS1_3repE0EEENS1_36merge_oddeven_config_static_selectorELNS0_4arch9wavefront6targetE1EEEvSL_,"axG",@progbits,_ZN7rocprim17ROCPRIM_400000_NS6detail17trampoline_kernelINS0_14default_configENS1_38merge_sort_block_merge_config_selectorIjNS0_10empty_typeEEEZZNS1_27merge_sort_block_merge_implIS3_N6thrust23THRUST_200600_302600_NS6detail15normal_iteratorINS9_10device_ptrIjEEEEPS5_jNS1_19radix_merge_compareILb0ELb0EjNS0_19identity_decomposerEEEEE10hipError_tT0_T1_T2_jT3_P12ihipStream_tbPNSt15iterator_traitsISK_E10value_typeEPNSQ_ISL_E10value_typeEPSM_NS1_7vsmem_tEENKUlT_SK_SL_SM_E_clIPjSE_SF_SF_EESJ_SZ_SK_SL_SM_EUlSZ_E1_NS1_11comp_targetILNS1_3genE4ELNS1_11target_archE910ELNS1_3gpuE8ELNS1_3repE0EEENS1_36merge_oddeven_config_static_selectorELNS0_4arch9wavefront6targetE1EEEvSL_,comdat
.Lfunc_end988:
	.size	_ZN7rocprim17ROCPRIM_400000_NS6detail17trampoline_kernelINS0_14default_configENS1_38merge_sort_block_merge_config_selectorIjNS0_10empty_typeEEEZZNS1_27merge_sort_block_merge_implIS3_N6thrust23THRUST_200600_302600_NS6detail15normal_iteratorINS9_10device_ptrIjEEEEPS5_jNS1_19radix_merge_compareILb0ELb0EjNS0_19identity_decomposerEEEEE10hipError_tT0_T1_T2_jT3_P12ihipStream_tbPNSt15iterator_traitsISK_E10value_typeEPNSQ_ISL_E10value_typeEPSM_NS1_7vsmem_tEENKUlT_SK_SL_SM_E_clIPjSE_SF_SF_EESJ_SZ_SK_SL_SM_EUlSZ_E1_NS1_11comp_targetILNS1_3genE4ELNS1_11target_archE910ELNS1_3gpuE8ELNS1_3repE0EEENS1_36merge_oddeven_config_static_selectorELNS0_4arch9wavefront6targetE1EEEvSL_, .Lfunc_end988-_ZN7rocprim17ROCPRIM_400000_NS6detail17trampoline_kernelINS0_14default_configENS1_38merge_sort_block_merge_config_selectorIjNS0_10empty_typeEEEZZNS1_27merge_sort_block_merge_implIS3_N6thrust23THRUST_200600_302600_NS6detail15normal_iteratorINS9_10device_ptrIjEEEEPS5_jNS1_19radix_merge_compareILb0ELb0EjNS0_19identity_decomposerEEEEE10hipError_tT0_T1_T2_jT3_P12ihipStream_tbPNSt15iterator_traitsISK_E10value_typeEPNSQ_ISL_E10value_typeEPSM_NS1_7vsmem_tEENKUlT_SK_SL_SM_E_clIPjSE_SF_SF_EESJ_SZ_SK_SL_SM_EUlSZ_E1_NS1_11comp_targetILNS1_3genE4ELNS1_11target_archE910ELNS1_3gpuE8ELNS1_3repE0EEENS1_36merge_oddeven_config_static_selectorELNS0_4arch9wavefront6targetE1EEEvSL_
                                        ; -- End function
	.section	.AMDGPU.csdata,"",@progbits
; Kernel info:
; codeLenInByte = 0
; NumSgprs: 6
; NumVgprs: 0
; NumAgprs: 0
; TotalNumVgprs: 0
; ScratchSize: 0
; MemoryBound: 0
; FloatMode: 240
; IeeeMode: 1
; LDSByteSize: 0 bytes/workgroup (compile time only)
; SGPRBlocks: 0
; VGPRBlocks: 0
; NumSGPRsForWavesPerEU: 6
; NumVGPRsForWavesPerEU: 1
; AccumOffset: 4
; Occupancy: 8
; WaveLimiterHint : 0
; COMPUTE_PGM_RSRC2:SCRATCH_EN: 0
; COMPUTE_PGM_RSRC2:USER_SGPR: 2
; COMPUTE_PGM_RSRC2:TRAP_HANDLER: 0
; COMPUTE_PGM_RSRC2:TGID_X_EN: 1
; COMPUTE_PGM_RSRC2:TGID_Y_EN: 0
; COMPUTE_PGM_RSRC2:TGID_Z_EN: 0
; COMPUTE_PGM_RSRC2:TIDIG_COMP_CNT: 0
; COMPUTE_PGM_RSRC3_GFX90A:ACCUM_OFFSET: 0
; COMPUTE_PGM_RSRC3_GFX90A:TG_SPLIT: 0
	.section	.text._ZN7rocprim17ROCPRIM_400000_NS6detail17trampoline_kernelINS0_14default_configENS1_38merge_sort_block_merge_config_selectorIjNS0_10empty_typeEEEZZNS1_27merge_sort_block_merge_implIS3_N6thrust23THRUST_200600_302600_NS6detail15normal_iteratorINS9_10device_ptrIjEEEEPS5_jNS1_19radix_merge_compareILb0ELb0EjNS0_19identity_decomposerEEEEE10hipError_tT0_T1_T2_jT3_P12ihipStream_tbPNSt15iterator_traitsISK_E10value_typeEPNSQ_ISL_E10value_typeEPSM_NS1_7vsmem_tEENKUlT_SK_SL_SM_E_clIPjSE_SF_SF_EESJ_SZ_SK_SL_SM_EUlSZ_E1_NS1_11comp_targetILNS1_3genE3ELNS1_11target_archE908ELNS1_3gpuE7ELNS1_3repE0EEENS1_36merge_oddeven_config_static_selectorELNS0_4arch9wavefront6targetE1EEEvSL_,"axG",@progbits,_ZN7rocprim17ROCPRIM_400000_NS6detail17trampoline_kernelINS0_14default_configENS1_38merge_sort_block_merge_config_selectorIjNS0_10empty_typeEEEZZNS1_27merge_sort_block_merge_implIS3_N6thrust23THRUST_200600_302600_NS6detail15normal_iteratorINS9_10device_ptrIjEEEEPS5_jNS1_19radix_merge_compareILb0ELb0EjNS0_19identity_decomposerEEEEE10hipError_tT0_T1_T2_jT3_P12ihipStream_tbPNSt15iterator_traitsISK_E10value_typeEPNSQ_ISL_E10value_typeEPSM_NS1_7vsmem_tEENKUlT_SK_SL_SM_E_clIPjSE_SF_SF_EESJ_SZ_SK_SL_SM_EUlSZ_E1_NS1_11comp_targetILNS1_3genE3ELNS1_11target_archE908ELNS1_3gpuE7ELNS1_3repE0EEENS1_36merge_oddeven_config_static_selectorELNS0_4arch9wavefront6targetE1EEEvSL_,comdat
	.protected	_ZN7rocprim17ROCPRIM_400000_NS6detail17trampoline_kernelINS0_14default_configENS1_38merge_sort_block_merge_config_selectorIjNS0_10empty_typeEEEZZNS1_27merge_sort_block_merge_implIS3_N6thrust23THRUST_200600_302600_NS6detail15normal_iteratorINS9_10device_ptrIjEEEEPS5_jNS1_19radix_merge_compareILb0ELb0EjNS0_19identity_decomposerEEEEE10hipError_tT0_T1_T2_jT3_P12ihipStream_tbPNSt15iterator_traitsISK_E10value_typeEPNSQ_ISL_E10value_typeEPSM_NS1_7vsmem_tEENKUlT_SK_SL_SM_E_clIPjSE_SF_SF_EESJ_SZ_SK_SL_SM_EUlSZ_E1_NS1_11comp_targetILNS1_3genE3ELNS1_11target_archE908ELNS1_3gpuE7ELNS1_3repE0EEENS1_36merge_oddeven_config_static_selectorELNS0_4arch9wavefront6targetE1EEEvSL_ ; -- Begin function _ZN7rocprim17ROCPRIM_400000_NS6detail17trampoline_kernelINS0_14default_configENS1_38merge_sort_block_merge_config_selectorIjNS0_10empty_typeEEEZZNS1_27merge_sort_block_merge_implIS3_N6thrust23THRUST_200600_302600_NS6detail15normal_iteratorINS9_10device_ptrIjEEEEPS5_jNS1_19radix_merge_compareILb0ELb0EjNS0_19identity_decomposerEEEEE10hipError_tT0_T1_T2_jT3_P12ihipStream_tbPNSt15iterator_traitsISK_E10value_typeEPNSQ_ISL_E10value_typeEPSM_NS1_7vsmem_tEENKUlT_SK_SL_SM_E_clIPjSE_SF_SF_EESJ_SZ_SK_SL_SM_EUlSZ_E1_NS1_11comp_targetILNS1_3genE3ELNS1_11target_archE908ELNS1_3gpuE7ELNS1_3repE0EEENS1_36merge_oddeven_config_static_selectorELNS0_4arch9wavefront6targetE1EEEvSL_
	.globl	_ZN7rocprim17ROCPRIM_400000_NS6detail17trampoline_kernelINS0_14default_configENS1_38merge_sort_block_merge_config_selectorIjNS0_10empty_typeEEEZZNS1_27merge_sort_block_merge_implIS3_N6thrust23THRUST_200600_302600_NS6detail15normal_iteratorINS9_10device_ptrIjEEEEPS5_jNS1_19radix_merge_compareILb0ELb0EjNS0_19identity_decomposerEEEEE10hipError_tT0_T1_T2_jT3_P12ihipStream_tbPNSt15iterator_traitsISK_E10value_typeEPNSQ_ISL_E10value_typeEPSM_NS1_7vsmem_tEENKUlT_SK_SL_SM_E_clIPjSE_SF_SF_EESJ_SZ_SK_SL_SM_EUlSZ_E1_NS1_11comp_targetILNS1_3genE3ELNS1_11target_archE908ELNS1_3gpuE7ELNS1_3repE0EEENS1_36merge_oddeven_config_static_selectorELNS0_4arch9wavefront6targetE1EEEvSL_
	.p2align	8
	.type	_ZN7rocprim17ROCPRIM_400000_NS6detail17trampoline_kernelINS0_14default_configENS1_38merge_sort_block_merge_config_selectorIjNS0_10empty_typeEEEZZNS1_27merge_sort_block_merge_implIS3_N6thrust23THRUST_200600_302600_NS6detail15normal_iteratorINS9_10device_ptrIjEEEEPS5_jNS1_19radix_merge_compareILb0ELb0EjNS0_19identity_decomposerEEEEE10hipError_tT0_T1_T2_jT3_P12ihipStream_tbPNSt15iterator_traitsISK_E10value_typeEPNSQ_ISL_E10value_typeEPSM_NS1_7vsmem_tEENKUlT_SK_SL_SM_E_clIPjSE_SF_SF_EESJ_SZ_SK_SL_SM_EUlSZ_E1_NS1_11comp_targetILNS1_3genE3ELNS1_11target_archE908ELNS1_3gpuE7ELNS1_3repE0EEENS1_36merge_oddeven_config_static_selectorELNS0_4arch9wavefront6targetE1EEEvSL_,@function
_ZN7rocprim17ROCPRIM_400000_NS6detail17trampoline_kernelINS0_14default_configENS1_38merge_sort_block_merge_config_selectorIjNS0_10empty_typeEEEZZNS1_27merge_sort_block_merge_implIS3_N6thrust23THRUST_200600_302600_NS6detail15normal_iteratorINS9_10device_ptrIjEEEEPS5_jNS1_19radix_merge_compareILb0ELb0EjNS0_19identity_decomposerEEEEE10hipError_tT0_T1_T2_jT3_P12ihipStream_tbPNSt15iterator_traitsISK_E10value_typeEPNSQ_ISL_E10value_typeEPSM_NS1_7vsmem_tEENKUlT_SK_SL_SM_E_clIPjSE_SF_SF_EESJ_SZ_SK_SL_SM_EUlSZ_E1_NS1_11comp_targetILNS1_3genE3ELNS1_11target_archE908ELNS1_3gpuE7ELNS1_3repE0EEENS1_36merge_oddeven_config_static_selectorELNS0_4arch9wavefront6targetE1EEEvSL_: ; @_ZN7rocprim17ROCPRIM_400000_NS6detail17trampoline_kernelINS0_14default_configENS1_38merge_sort_block_merge_config_selectorIjNS0_10empty_typeEEEZZNS1_27merge_sort_block_merge_implIS3_N6thrust23THRUST_200600_302600_NS6detail15normal_iteratorINS9_10device_ptrIjEEEEPS5_jNS1_19radix_merge_compareILb0ELb0EjNS0_19identity_decomposerEEEEE10hipError_tT0_T1_T2_jT3_P12ihipStream_tbPNSt15iterator_traitsISK_E10value_typeEPNSQ_ISL_E10value_typeEPSM_NS1_7vsmem_tEENKUlT_SK_SL_SM_E_clIPjSE_SF_SF_EESJ_SZ_SK_SL_SM_EUlSZ_E1_NS1_11comp_targetILNS1_3genE3ELNS1_11target_archE908ELNS1_3gpuE7ELNS1_3repE0EEENS1_36merge_oddeven_config_static_selectorELNS0_4arch9wavefront6targetE1EEEvSL_
; %bb.0:
	.section	.rodata,"a",@progbits
	.p2align	6, 0x0
	.amdhsa_kernel _ZN7rocprim17ROCPRIM_400000_NS6detail17trampoline_kernelINS0_14default_configENS1_38merge_sort_block_merge_config_selectorIjNS0_10empty_typeEEEZZNS1_27merge_sort_block_merge_implIS3_N6thrust23THRUST_200600_302600_NS6detail15normal_iteratorINS9_10device_ptrIjEEEEPS5_jNS1_19radix_merge_compareILb0ELb0EjNS0_19identity_decomposerEEEEE10hipError_tT0_T1_T2_jT3_P12ihipStream_tbPNSt15iterator_traitsISK_E10value_typeEPNSQ_ISL_E10value_typeEPSM_NS1_7vsmem_tEENKUlT_SK_SL_SM_E_clIPjSE_SF_SF_EESJ_SZ_SK_SL_SM_EUlSZ_E1_NS1_11comp_targetILNS1_3genE3ELNS1_11target_archE908ELNS1_3gpuE7ELNS1_3repE0EEENS1_36merge_oddeven_config_static_selectorELNS0_4arch9wavefront6targetE1EEEvSL_
		.amdhsa_group_segment_fixed_size 0
		.amdhsa_private_segment_fixed_size 0
		.amdhsa_kernarg_size 48
		.amdhsa_user_sgpr_count 2
		.amdhsa_user_sgpr_dispatch_ptr 0
		.amdhsa_user_sgpr_queue_ptr 0
		.amdhsa_user_sgpr_kernarg_segment_ptr 1
		.amdhsa_user_sgpr_dispatch_id 0
		.amdhsa_user_sgpr_kernarg_preload_length 0
		.amdhsa_user_sgpr_kernarg_preload_offset 0
		.amdhsa_user_sgpr_private_segment_size 0
		.amdhsa_uses_dynamic_stack 0
		.amdhsa_enable_private_segment 0
		.amdhsa_system_sgpr_workgroup_id_x 1
		.amdhsa_system_sgpr_workgroup_id_y 0
		.amdhsa_system_sgpr_workgroup_id_z 0
		.amdhsa_system_sgpr_workgroup_info 0
		.amdhsa_system_vgpr_workitem_id 0
		.amdhsa_next_free_vgpr 1
		.amdhsa_next_free_sgpr 0
		.amdhsa_accum_offset 4
		.amdhsa_reserve_vcc 0
		.amdhsa_float_round_mode_32 0
		.amdhsa_float_round_mode_16_64 0
		.amdhsa_float_denorm_mode_32 3
		.amdhsa_float_denorm_mode_16_64 3
		.amdhsa_dx10_clamp 1
		.amdhsa_ieee_mode 1
		.amdhsa_fp16_overflow 0
		.amdhsa_tg_split 0
		.amdhsa_exception_fp_ieee_invalid_op 0
		.amdhsa_exception_fp_denorm_src 0
		.amdhsa_exception_fp_ieee_div_zero 0
		.amdhsa_exception_fp_ieee_overflow 0
		.amdhsa_exception_fp_ieee_underflow 0
		.amdhsa_exception_fp_ieee_inexact 0
		.amdhsa_exception_int_div_zero 0
	.end_amdhsa_kernel
	.section	.text._ZN7rocprim17ROCPRIM_400000_NS6detail17trampoline_kernelINS0_14default_configENS1_38merge_sort_block_merge_config_selectorIjNS0_10empty_typeEEEZZNS1_27merge_sort_block_merge_implIS3_N6thrust23THRUST_200600_302600_NS6detail15normal_iteratorINS9_10device_ptrIjEEEEPS5_jNS1_19radix_merge_compareILb0ELb0EjNS0_19identity_decomposerEEEEE10hipError_tT0_T1_T2_jT3_P12ihipStream_tbPNSt15iterator_traitsISK_E10value_typeEPNSQ_ISL_E10value_typeEPSM_NS1_7vsmem_tEENKUlT_SK_SL_SM_E_clIPjSE_SF_SF_EESJ_SZ_SK_SL_SM_EUlSZ_E1_NS1_11comp_targetILNS1_3genE3ELNS1_11target_archE908ELNS1_3gpuE7ELNS1_3repE0EEENS1_36merge_oddeven_config_static_selectorELNS0_4arch9wavefront6targetE1EEEvSL_,"axG",@progbits,_ZN7rocprim17ROCPRIM_400000_NS6detail17trampoline_kernelINS0_14default_configENS1_38merge_sort_block_merge_config_selectorIjNS0_10empty_typeEEEZZNS1_27merge_sort_block_merge_implIS3_N6thrust23THRUST_200600_302600_NS6detail15normal_iteratorINS9_10device_ptrIjEEEEPS5_jNS1_19radix_merge_compareILb0ELb0EjNS0_19identity_decomposerEEEEE10hipError_tT0_T1_T2_jT3_P12ihipStream_tbPNSt15iterator_traitsISK_E10value_typeEPNSQ_ISL_E10value_typeEPSM_NS1_7vsmem_tEENKUlT_SK_SL_SM_E_clIPjSE_SF_SF_EESJ_SZ_SK_SL_SM_EUlSZ_E1_NS1_11comp_targetILNS1_3genE3ELNS1_11target_archE908ELNS1_3gpuE7ELNS1_3repE0EEENS1_36merge_oddeven_config_static_selectorELNS0_4arch9wavefront6targetE1EEEvSL_,comdat
.Lfunc_end989:
	.size	_ZN7rocprim17ROCPRIM_400000_NS6detail17trampoline_kernelINS0_14default_configENS1_38merge_sort_block_merge_config_selectorIjNS0_10empty_typeEEEZZNS1_27merge_sort_block_merge_implIS3_N6thrust23THRUST_200600_302600_NS6detail15normal_iteratorINS9_10device_ptrIjEEEEPS5_jNS1_19radix_merge_compareILb0ELb0EjNS0_19identity_decomposerEEEEE10hipError_tT0_T1_T2_jT3_P12ihipStream_tbPNSt15iterator_traitsISK_E10value_typeEPNSQ_ISL_E10value_typeEPSM_NS1_7vsmem_tEENKUlT_SK_SL_SM_E_clIPjSE_SF_SF_EESJ_SZ_SK_SL_SM_EUlSZ_E1_NS1_11comp_targetILNS1_3genE3ELNS1_11target_archE908ELNS1_3gpuE7ELNS1_3repE0EEENS1_36merge_oddeven_config_static_selectorELNS0_4arch9wavefront6targetE1EEEvSL_, .Lfunc_end989-_ZN7rocprim17ROCPRIM_400000_NS6detail17trampoline_kernelINS0_14default_configENS1_38merge_sort_block_merge_config_selectorIjNS0_10empty_typeEEEZZNS1_27merge_sort_block_merge_implIS3_N6thrust23THRUST_200600_302600_NS6detail15normal_iteratorINS9_10device_ptrIjEEEEPS5_jNS1_19radix_merge_compareILb0ELb0EjNS0_19identity_decomposerEEEEE10hipError_tT0_T1_T2_jT3_P12ihipStream_tbPNSt15iterator_traitsISK_E10value_typeEPNSQ_ISL_E10value_typeEPSM_NS1_7vsmem_tEENKUlT_SK_SL_SM_E_clIPjSE_SF_SF_EESJ_SZ_SK_SL_SM_EUlSZ_E1_NS1_11comp_targetILNS1_3genE3ELNS1_11target_archE908ELNS1_3gpuE7ELNS1_3repE0EEENS1_36merge_oddeven_config_static_selectorELNS0_4arch9wavefront6targetE1EEEvSL_
                                        ; -- End function
	.section	.AMDGPU.csdata,"",@progbits
; Kernel info:
; codeLenInByte = 0
; NumSgprs: 6
; NumVgprs: 0
; NumAgprs: 0
; TotalNumVgprs: 0
; ScratchSize: 0
; MemoryBound: 0
; FloatMode: 240
; IeeeMode: 1
; LDSByteSize: 0 bytes/workgroup (compile time only)
; SGPRBlocks: 0
; VGPRBlocks: 0
; NumSGPRsForWavesPerEU: 6
; NumVGPRsForWavesPerEU: 1
; AccumOffset: 4
; Occupancy: 8
; WaveLimiterHint : 0
; COMPUTE_PGM_RSRC2:SCRATCH_EN: 0
; COMPUTE_PGM_RSRC2:USER_SGPR: 2
; COMPUTE_PGM_RSRC2:TRAP_HANDLER: 0
; COMPUTE_PGM_RSRC2:TGID_X_EN: 1
; COMPUTE_PGM_RSRC2:TGID_Y_EN: 0
; COMPUTE_PGM_RSRC2:TGID_Z_EN: 0
; COMPUTE_PGM_RSRC2:TIDIG_COMP_CNT: 0
; COMPUTE_PGM_RSRC3_GFX90A:ACCUM_OFFSET: 0
; COMPUTE_PGM_RSRC3_GFX90A:TG_SPLIT: 0
	.section	.text._ZN7rocprim17ROCPRIM_400000_NS6detail17trampoline_kernelINS0_14default_configENS1_38merge_sort_block_merge_config_selectorIjNS0_10empty_typeEEEZZNS1_27merge_sort_block_merge_implIS3_N6thrust23THRUST_200600_302600_NS6detail15normal_iteratorINS9_10device_ptrIjEEEEPS5_jNS1_19radix_merge_compareILb0ELb0EjNS0_19identity_decomposerEEEEE10hipError_tT0_T1_T2_jT3_P12ihipStream_tbPNSt15iterator_traitsISK_E10value_typeEPNSQ_ISL_E10value_typeEPSM_NS1_7vsmem_tEENKUlT_SK_SL_SM_E_clIPjSE_SF_SF_EESJ_SZ_SK_SL_SM_EUlSZ_E1_NS1_11comp_targetILNS1_3genE2ELNS1_11target_archE906ELNS1_3gpuE6ELNS1_3repE0EEENS1_36merge_oddeven_config_static_selectorELNS0_4arch9wavefront6targetE1EEEvSL_,"axG",@progbits,_ZN7rocprim17ROCPRIM_400000_NS6detail17trampoline_kernelINS0_14default_configENS1_38merge_sort_block_merge_config_selectorIjNS0_10empty_typeEEEZZNS1_27merge_sort_block_merge_implIS3_N6thrust23THRUST_200600_302600_NS6detail15normal_iteratorINS9_10device_ptrIjEEEEPS5_jNS1_19radix_merge_compareILb0ELb0EjNS0_19identity_decomposerEEEEE10hipError_tT0_T1_T2_jT3_P12ihipStream_tbPNSt15iterator_traitsISK_E10value_typeEPNSQ_ISL_E10value_typeEPSM_NS1_7vsmem_tEENKUlT_SK_SL_SM_E_clIPjSE_SF_SF_EESJ_SZ_SK_SL_SM_EUlSZ_E1_NS1_11comp_targetILNS1_3genE2ELNS1_11target_archE906ELNS1_3gpuE6ELNS1_3repE0EEENS1_36merge_oddeven_config_static_selectorELNS0_4arch9wavefront6targetE1EEEvSL_,comdat
	.protected	_ZN7rocprim17ROCPRIM_400000_NS6detail17trampoline_kernelINS0_14default_configENS1_38merge_sort_block_merge_config_selectorIjNS0_10empty_typeEEEZZNS1_27merge_sort_block_merge_implIS3_N6thrust23THRUST_200600_302600_NS6detail15normal_iteratorINS9_10device_ptrIjEEEEPS5_jNS1_19radix_merge_compareILb0ELb0EjNS0_19identity_decomposerEEEEE10hipError_tT0_T1_T2_jT3_P12ihipStream_tbPNSt15iterator_traitsISK_E10value_typeEPNSQ_ISL_E10value_typeEPSM_NS1_7vsmem_tEENKUlT_SK_SL_SM_E_clIPjSE_SF_SF_EESJ_SZ_SK_SL_SM_EUlSZ_E1_NS1_11comp_targetILNS1_3genE2ELNS1_11target_archE906ELNS1_3gpuE6ELNS1_3repE0EEENS1_36merge_oddeven_config_static_selectorELNS0_4arch9wavefront6targetE1EEEvSL_ ; -- Begin function _ZN7rocprim17ROCPRIM_400000_NS6detail17trampoline_kernelINS0_14default_configENS1_38merge_sort_block_merge_config_selectorIjNS0_10empty_typeEEEZZNS1_27merge_sort_block_merge_implIS3_N6thrust23THRUST_200600_302600_NS6detail15normal_iteratorINS9_10device_ptrIjEEEEPS5_jNS1_19radix_merge_compareILb0ELb0EjNS0_19identity_decomposerEEEEE10hipError_tT0_T1_T2_jT3_P12ihipStream_tbPNSt15iterator_traitsISK_E10value_typeEPNSQ_ISL_E10value_typeEPSM_NS1_7vsmem_tEENKUlT_SK_SL_SM_E_clIPjSE_SF_SF_EESJ_SZ_SK_SL_SM_EUlSZ_E1_NS1_11comp_targetILNS1_3genE2ELNS1_11target_archE906ELNS1_3gpuE6ELNS1_3repE0EEENS1_36merge_oddeven_config_static_selectorELNS0_4arch9wavefront6targetE1EEEvSL_
	.globl	_ZN7rocprim17ROCPRIM_400000_NS6detail17trampoline_kernelINS0_14default_configENS1_38merge_sort_block_merge_config_selectorIjNS0_10empty_typeEEEZZNS1_27merge_sort_block_merge_implIS3_N6thrust23THRUST_200600_302600_NS6detail15normal_iteratorINS9_10device_ptrIjEEEEPS5_jNS1_19radix_merge_compareILb0ELb0EjNS0_19identity_decomposerEEEEE10hipError_tT0_T1_T2_jT3_P12ihipStream_tbPNSt15iterator_traitsISK_E10value_typeEPNSQ_ISL_E10value_typeEPSM_NS1_7vsmem_tEENKUlT_SK_SL_SM_E_clIPjSE_SF_SF_EESJ_SZ_SK_SL_SM_EUlSZ_E1_NS1_11comp_targetILNS1_3genE2ELNS1_11target_archE906ELNS1_3gpuE6ELNS1_3repE0EEENS1_36merge_oddeven_config_static_selectorELNS0_4arch9wavefront6targetE1EEEvSL_
	.p2align	8
	.type	_ZN7rocprim17ROCPRIM_400000_NS6detail17trampoline_kernelINS0_14default_configENS1_38merge_sort_block_merge_config_selectorIjNS0_10empty_typeEEEZZNS1_27merge_sort_block_merge_implIS3_N6thrust23THRUST_200600_302600_NS6detail15normal_iteratorINS9_10device_ptrIjEEEEPS5_jNS1_19radix_merge_compareILb0ELb0EjNS0_19identity_decomposerEEEEE10hipError_tT0_T1_T2_jT3_P12ihipStream_tbPNSt15iterator_traitsISK_E10value_typeEPNSQ_ISL_E10value_typeEPSM_NS1_7vsmem_tEENKUlT_SK_SL_SM_E_clIPjSE_SF_SF_EESJ_SZ_SK_SL_SM_EUlSZ_E1_NS1_11comp_targetILNS1_3genE2ELNS1_11target_archE906ELNS1_3gpuE6ELNS1_3repE0EEENS1_36merge_oddeven_config_static_selectorELNS0_4arch9wavefront6targetE1EEEvSL_,@function
_ZN7rocprim17ROCPRIM_400000_NS6detail17trampoline_kernelINS0_14default_configENS1_38merge_sort_block_merge_config_selectorIjNS0_10empty_typeEEEZZNS1_27merge_sort_block_merge_implIS3_N6thrust23THRUST_200600_302600_NS6detail15normal_iteratorINS9_10device_ptrIjEEEEPS5_jNS1_19radix_merge_compareILb0ELb0EjNS0_19identity_decomposerEEEEE10hipError_tT0_T1_T2_jT3_P12ihipStream_tbPNSt15iterator_traitsISK_E10value_typeEPNSQ_ISL_E10value_typeEPSM_NS1_7vsmem_tEENKUlT_SK_SL_SM_E_clIPjSE_SF_SF_EESJ_SZ_SK_SL_SM_EUlSZ_E1_NS1_11comp_targetILNS1_3genE2ELNS1_11target_archE906ELNS1_3gpuE6ELNS1_3repE0EEENS1_36merge_oddeven_config_static_selectorELNS0_4arch9wavefront6targetE1EEEvSL_: ; @_ZN7rocprim17ROCPRIM_400000_NS6detail17trampoline_kernelINS0_14default_configENS1_38merge_sort_block_merge_config_selectorIjNS0_10empty_typeEEEZZNS1_27merge_sort_block_merge_implIS3_N6thrust23THRUST_200600_302600_NS6detail15normal_iteratorINS9_10device_ptrIjEEEEPS5_jNS1_19radix_merge_compareILb0ELb0EjNS0_19identity_decomposerEEEEE10hipError_tT0_T1_T2_jT3_P12ihipStream_tbPNSt15iterator_traitsISK_E10value_typeEPNSQ_ISL_E10value_typeEPSM_NS1_7vsmem_tEENKUlT_SK_SL_SM_E_clIPjSE_SF_SF_EESJ_SZ_SK_SL_SM_EUlSZ_E1_NS1_11comp_targetILNS1_3genE2ELNS1_11target_archE906ELNS1_3gpuE6ELNS1_3repE0EEENS1_36merge_oddeven_config_static_selectorELNS0_4arch9wavefront6targetE1EEEvSL_
; %bb.0:
	.section	.rodata,"a",@progbits
	.p2align	6, 0x0
	.amdhsa_kernel _ZN7rocprim17ROCPRIM_400000_NS6detail17trampoline_kernelINS0_14default_configENS1_38merge_sort_block_merge_config_selectorIjNS0_10empty_typeEEEZZNS1_27merge_sort_block_merge_implIS3_N6thrust23THRUST_200600_302600_NS6detail15normal_iteratorINS9_10device_ptrIjEEEEPS5_jNS1_19radix_merge_compareILb0ELb0EjNS0_19identity_decomposerEEEEE10hipError_tT0_T1_T2_jT3_P12ihipStream_tbPNSt15iterator_traitsISK_E10value_typeEPNSQ_ISL_E10value_typeEPSM_NS1_7vsmem_tEENKUlT_SK_SL_SM_E_clIPjSE_SF_SF_EESJ_SZ_SK_SL_SM_EUlSZ_E1_NS1_11comp_targetILNS1_3genE2ELNS1_11target_archE906ELNS1_3gpuE6ELNS1_3repE0EEENS1_36merge_oddeven_config_static_selectorELNS0_4arch9wavefront6targetE1EEEvSL_
		.amdhsa_group_segment_fixed_size 0
		.amdhsa_private_segment_fixed_size 0
		.amdhsa_kernarg_size 48
		.amdhsa_user_sgpr_count 2
		.amdhsa_user_sgpr_dispatch_ptr 0
		.amdhsa_user_sgpr_queue_ptr 0
		.amdhsa_user_sgpr_kernarg_segment_ptr 1
		.amdhsa_user_sgpr_dispatch_id 0
		.amdhsa_user_sgpr_kernarg_preload_length 0
		.amdhsa_user_sgpr_kernarg_preload_offset 0
		.amdhsa_user_sgpr_private_segment_size 0
		.amdhsa_uses_dynamic_stack 0
		.amdhsa_enable_private_segment 0
		.amdhsa_system_sgpr_workgroup_id_x 1
		.amdhsa_system_sgpr_workgroup_id_y 0
		.amdhsa_system_sgpr_workgroup_id_z 0
		.amdhsa_system_sgpr_workgroup_info 0
		.amdhsa_system_vgpr_workitem_id 0
		.amdhsa_next_free_vgpr 1
		.amdhsa_next_free_sgpr 0
		.amdhsa_accum_offset 4
		.amdhsa_reserve_vcc 0
		.amdhsa_float_round_mode_32 0
		.amdhsa_float_round_mode_16_64 0
		.amdhsa_float_denorm_mode_32 3
		.amdhsa_float_denorm_mode_16_64 3
		.amdhsa_dx10_clamp 1
		.amdhsa_ieee_mode 1
		.amdhsa_fp16_overflow 0
		.amdhsa_tg_split 0
		.amdhsa_exception_fp_ieee_invalid_op 0
		.amdhsa_exception_fp_denorm_src 0
		.amdhsa_exception_fp_ieee_div_zero 0
		.amdhsa_exception_fp_ieee_overflow 0
		.amdhsa_exception_fp_ieee_underflow 0
		.amdhsa_exception_fp_ieee_inexact 0
		.amdhsa_exception_int_div_zero 0
	.end_amdhsa_kernel
	.section	.text._ZN7rocprim17ROCPRIM_400000_NS6detail17trampoline_kernelINS0_14default_configENS1_38merge_sort_block_merge_config_selectorIjNS0_10empty_typeEEEZZNS1_27merge_sort_block_merge_implIS3_N6thrust23THRUST_200600_302600_NS6detail15normal_iteratorINS9_10device_ptrIjEEEEPS5_jNS1_19radix_merge_compareILb0ELb0EjNS0_19identity_decomposerEEEEE10hipError_tT0_T1_T2_jT3_P12ihipStream_tbPNSt15iterator_traitsISK_E10value_typeEPNSQ_ISL_E10value_typeEPSM_NS1_7vsmem_tEENKUlT_SK_SL_SM_E_clIPjSE_SF_SF_EESJ_SZ_SK_SL_SM_EUlSZ_E1_NS1_11comp_targetILNS1_3genE2ELNS1_11target_archE906ELNS1_3gpuE6ELNS1_3repE0EEENS1_36merge_oddeven_config_static_selectorELNS0_4arch9wavefront6targetE1EEEvSL_,"axG",@progbits,_ZN7rocprim17ROCPRIM_400000_NS6detail17trampoline_kernelINS0_14default_configENS1_38merge_sort_block_merge_config_selectorIjNS0_10empty_typeEEEZZNS1_27merge_sort_block_merge_implIS3_N6thrust23THRUST_200600_302600_NS6detail15normal_iteratorINS9_10device_ptrIjEEEEPS5_jNS1_19radix_merge_compareILb0ELb0EjNS0_19identity_decomposerEEEEE10hipError_tT0_T1_T2_jT3_P12ihipStream_tbPNSt15iterator_traitsISK_E10value_typeEPNSQ_ISL_E10value_typeEPSM_NS1_7vsmem_tEENKUlT_SK_SL_SM_E_clIPjSE_SF_SF_EESJ_SZ_SK_SL_SM_EUlSZ_E1_NS1_11comp_targetILNS1_3genE2ELNS1_11target_archE906ELNS1_3gpuE6ELNS1_3repE0EEENS1_36merge_oddeven_config_static_selectorELNS0_4arch9wavefront6targetE1EEEvSL_,comdat
.Lfunc_end990:
	.size	_ZN7rocprim17ROCPRIM_400000_NS6detail17trampoline_kernelINS0_14default_configENS1_38merge_sort_block_merge_config_selectorIjNS0_10empty_typeEEEZZNS1_27merge_sort_block_merge_implIS3_N6thrust23THRUST_200600_302600_NS6detail15normal_iteratorINS9_10device_ptrIjEEEEPS5_jNS1_19radix_merge_compareILb0ELb0EjNS0_19identity_decomposerEEEEE10hipError_tT0_T1_T2_jT3_P12ihipStream_tbPNSt15iterator_traitsISK_E10value_typeEPNSQ_ISL_E10value_typeEPSM_NS1_7vsmem_tEENKUlT_SK_SL_SM_E_clIPjSE_SF_SF_EESJ_SZ_SK_SL_SM_EUlSZ_E1_NS1_11comp_targetILNS1_3genE2ELNS1_11target_archE906ELNS1_3gpuE6ELNS1_3repE0EEENS1_36merge_oddeven_config_static_selectorELNS0_4arch9wavefront6targetE1EEEvSL_, .Lfunc_end990-_ZN7rocprim17ROCPRIM_400000_NS6detail17trampoline_kernelINS0_14default_configENS1_38merge_sort_block_merge_config_selectorIjNS0_10empty_typeEEEZZNS1_27merge_sort_block_merge_implIS3_N6thrust23THRUST_200600_302600_NS6detail15normal_iteratorINS9_10device_ptrIjEEEEPS5_jNS1_19radix_merge_compareILb0ELb0EjNS0_19identity_decomposerEEEEE10hipError_tT0_T1_T2_jT3_P12ihipStream_tbPNSt15iterator_traitsISK_E10value_typeEPNSQ_ISL_E10value_typeEPSM_NS1_7vsmem_tEENKUlT_SK_SL_SM_E_clIPjSE_SF_SF_EESJ_SZ_SK_SL_SM_EUlSZ_E1_NS1_11comp_targetILNS1_3genE2ELNS1_11target_archE906ELNS1_3gpuE6ELNS1_3repE0EEENS1_36merge_oddeven_config_static_selectorELNS0_4arch9wavefront6targetE1EEEvSL_
                                        ; -- End function
	.section	.AMDGPU.csdata,"",@progbits
; Kernel info:
; codeLenInByte = 0
; NumSgprs: 6
; NumVgprs: 0
; NumAgprs: 0
; TotalNumVgprs: 0
; ScratchSize: 0
; MemoryBound: 0
; FloatMode: 240
; IeeeMode: 1
; LDSByteSize: 0 bytes/workgroup (compile time only)
; SGPRBlocks: 0
; VGPRBlocks: 0
; NumSGPRsForWavesPerEU: 6
; NumVGPRsForWavesPerEU: 1
; AccumOffset: 4
; Occupancy: 8
; WaveLimiterHint : 0
; COMPUTE_PGM_RSRC2:SCRATCH_EN: 0
; COMPUTE_PGM_RSRC2:USER_SGPR: 2
; COMPUTE_PGM_RSRC2:TRAP_HANDLER: 0
; COMPUTE_PGM_RSRC2:TGID_X_EN: 1
; COMPUTE_PGM_RSRC2:TGID_Y_EN: 0
; COMPUTE_PGM_RSRC2:TGID_Z_EN: 0
; COMPUTE_PGM_RSRC2:TIDIG_COMP_CNT: 0
; COMPUTE_PGM_RSRC3_GFX90A:ACCUM_OFFSET: 0
; COMPUTE_PGM_RSRC3_GFX90A:TG_SPLIT: 0
	.section	.text._ZN7rocprim17ROCPRIM_400000_NS6detail17trampoline_kernelINS0_14default_configENS1_38merge_sort_block_merge_config_selectorIjNS0_10empty_typeEEEZZNS1_27merge_sort_block_merge_implIS3_N6thrust23THRUST_200600_302600_NS6detail15normal_iteratorINS9_10device_ptrIjEEEEPS5_jNS1_19radix_merge_compareILb0ELb0EjNS0_19identity_decomposerEEEEE10hipError_tT0_T1_T2_jT3_P12ihipStream_tbPNSt15iterator_traitsISK_E10value_typeEPNSQ_ISL_E10value_typeEPSM_NS1_7vsmem_tEENKUlT_SK_SL_SM_E_clIPjSE_SF_SF_EESJ_SZ_SK_SL_SM_EUlSZ_E1_NS1_11comp_targetILNS1_3genE9ELNS1_11target_archE1100ELNS1_3gpuE3ELNS1_3repE0EEENS1_36merge_oddeven_config_static_selectorELNS0_4arch9wavefront6targetE1EEEvSL_,"axG",@progbits,_ZN7rocprim17ROCPRIM_400000_NS6detail17trampoline_kernelINS0_14default_configENS1_38merge_sort_block_merge_config_selectorIjNS0_10empty_typeEEEZZNS1_27merge_sort_block_merge_implIS3_N6thrust23THRUST_200600_302600_NS6detail15normal_iteratorINS9_10device_ptrIjEEEEPS5_jNS1_19radix_merge_compareILb0ELb0EjNS0_19identity_decomposerEEEEE10hipError_tT0_T1_T2_jT3_P12ihipStream_tbPNSt15iterator_traitsISK_E10value_typeEPNSQ_ISL_E10value_typeEPSM_NS1_7vsmem_tEENKUlT_SK_SL_SM_E_clIPjSE_SF_SF_EESJ_SZ_SK_SL_SM_EUlSZ_E1_NS1_11comp_targetILNS1_3genE9ELNS1_11target_archE1100ELNS1_3gpuE3ELNS1_3repE0EEENS1_36merge_oddeven_config_static_selectorELNS0_4arch9wavefront6targetE1EEEvSL_,comdat
	.protected	_ZN7rocprim17ROCPRIM_400000_NS6detail17trampoline_kernelINS0_14default_configENS1_38merge_sort_block_merge_config_selectorIjNS0_10empty_typeEEEZZNS1_27merge_sort_block_merge_implIS3_N6thrust23THRUST_200600_302600_NS6detail15normal_iteratorINS9_10device_ptrIjEEEEPS5_jNS1_19radix_merge_compareILb0ELb0EjNS0_19identity_decomposerEEEEE10hipError_tT0_T1_T2_jT3_P12ihipStream_tbPNSt15iterator_traitsISK_E10value_typeEPNSQ_ISL_E10value_typeEPSM_NS1_7vsmem_tEENKUlT_SK_SL_SM_E_clIPjSE_SF_SF_EESJ_SZ_SK_SL_SM_EUlSZ_E1_NS1_11comp_targetILNS1_3genE9ELNS1_11target_archE1100ELNS1_3gpuE3ELNS1_3repE0EEENS1_36merge_oddeven_config_static_selectorELNS0_4arch9wavefront6targetE1EEEvSL_ ; -- Begin function _ZN7rocprim17ROCPRIM_400000_NS6detail17trampoline_kernelINS0_14default_configENS1_38merge_sort_block_merge_config_selectorIjNS0_10empty_typeEEEZZNS1_27merge_sort_block_merge_implIS3_N6thrust23THRUST_200600_302600_NS6detail15normal_iteratorINS9_10device_ptrIjEEEEPS5_jNS1_19radix_merge_compareILb0ELb0EjNS0_19identity_decomposerEEEEE10hipError_tT0_T1_T2_jT3_P12ihipStream_tbPNSt15iterator_traitsISK_E10value_typeEPNSQ_ISL_E10value_typeEPSM_NS1_7vsmem_tEENKUlT_SK_SL_SM_E_clIPjSE_SF_SF_EESJ_SZ_SK_SL_SM_EUlSZ_E1_NS1_11comp_targetILNS1_3genE9ELNS1_11target_archE1100ELNS1_3gpuE3ELNS1_3repE0EEENS1_36merge_oddeven_config_static_selectorELNS0_4arch9wavefront6targetE1EEEvSL_
	.globl	_ZN7rocprim17ROCPRIM_400000_NS6detail17trampoline_kernelINS0_14default_configENS1_38merge_sort_block_merge_config_selectorIjNS0_10empty_typeEEEZZNS1_27merge_sort_block_merge_implIS3_N6thrust23THRUST_200600_302600_NS6detail15normal_iteratorINS9_10device_ptrIjEEEEPS5_jNS1_19radix_merge_compareILb0ELb0EjNS0_19identity_decomposerEEEEE10hipError_tT0_T1_T2_jT3_P12ihipStream_tbPNSt15iterator_traitsISK_E10value_typeEPNSQ_ISL_E10value_typeEPSM_NS1_7vsmem_tEENKUlT_SK_SL_SM_E_clIPjSE_SF_SF_EESJ_SZ_SK_SL_SM_EUlSZ_E1_NS1_11comp_targetILNS1_3genE9ELNS1_11target_archE1100ELNS1_3gpuE3ELNS1_3repE0EEENS1_36merge_oddeven_config_static_selectorELNS0_4arch9wavefront6targetE1EEEvSL_
	.p2align	8
	.type	_ZN7rocprim17ROCPRIM_400000_NS6detail17trampoline_kernelINS0_14default_configENS1_38merge_sort_block_merge_config_selectorIjNS0_10empty_typeEEEZZNS1_27merge_sort_block_merge_implIS3_N6thrust23THRUST_200600_302600_NS6detail15normal_iteratorINS9_10device_ptrIjEEEEPS5_jNS1_19radix_merge_compareILb0ELb0EjNS0_19identity_decomposerEEEEE10hipError_tT0_T1_T2_jT3_P12ihipStream_tbPNSt15iterator_traitsISK_E10value_typeEPNSQ_ISL_E10value_typeEPSM_NS1_7vsmem_tEENKUlT_SK_SL_SM_E_clIPjSE_SF_SF_EESJ_SZ_SK_SL_SM_EUlSZ_E1_NS1_11comp_targetILNS1_3genE9ELNS1_11target_archE1100ELNS1_3gpuE3ELNS1_3repE0EEENS1_36merge_oddeven_config_static_selectorELNS0_4arch9wavefront6targetE1EEEvSL_,@function
_ZN7rocprim17ROCPRIM_400000_NS6detail17trampoline_kernelINS0_14default_configENS1_38merge_sort_block_merge_config_selectorIjNS0_10empty_typeEEEZZNS1_27merge_sort_block_merge_implIS3_N6thrust23THRUST_200600_302600_NS6detail15normal_iteratorINS9_10device_ptrIjEEEEPS5_jNS1_19radix_merge_compareILb0ELb0EjNS0_19identity_decomposerEEEEE10hipError_tT0_T1_T2_jT3_P12ihipStream_tbPNSt15iterator_traitsISK_E10value_typeEPNSQ_ISL_E10value_typeEPSM_NS1_7vsmem_tEENKUlT_SK_SL_SM_E_clIPjSE_SF_SF_EESJ_SZ_SK_SL_SM_EUlSZ_E1_NS1_11comp_targetILNS1_3genE9ELNS1_11target_archE1100ELNS1_3gpuE3ELNS1_3repE0EEENS1_36merge_oddeven_config_static_selectorELNS0_4arch9wavefront6targetE1EEEvSL_: ; @_ZN7rocprim17ROCPRIM_400000_NS6detail17trampoline_kernelINS0_14default_configENS1_38merge_sort_block_merge_config_selectorIjNS0_10empty_typeEEEZZNS1_27merge_sort_block_merge_implIS3_N6thrust23THRUST_200600_302600_NS6detail15normal_iteratorINS9_10device_ptrIjEEEEPS5_jNS1_19radix_merge_compareILb0ELb0EjNS0_19identity_decomposerEEEEE10hipError_tT0_T1_T2_jT3_P12ihipStream_tbPNSt15iterator_traitsISK_E10value_typeEPNSQ_ISL_E10value_typeEPSM_NS1_7vsmem_tEENKUlT_SK_SL_SM_E_clIPjSE_SF_SF_EESJ_SZ_SK_SL_SM_EUlSZ_E1_NS1_11comp_targetILNS1_3genE9ELNS1_11target_archE1100ELNS1_3gpuE3ELNS1_3repE0EEENS1_36merge_oddeven_config_static_selectorELNS0_4arch9wavefront6targetE1EEEvSL_
; %bb.0:
	.section	.rodata,"a",@progbits
	.p2align	6, 0x0
	.amdhsa_kernel _ZN7rocprim17ROCPRIM_400000_NS6detail17trampoline_kernelINS0_14default_configENS1_38merge_sort_block_merge_config_selectorIjNS0_10empty_typeEEEZZNS1_27merge_sort_block_merge_implIS3_N6thrust23THRUST_200600_302600_NS6detail15normal_iteratorINS9_10device_ptrIjEEEEPS5_jNS1_19radix_merge_compareILb0ELb0EjNS0_19identity_decomposerEEEEE10hipError_tT0_T1_T2_jT3_P12ihipStream_tbPNSt15iterator_traitsISK_E10value_typeEPNSQ_ISL_E10value_typeEPSM_NS1_7vsmem_tEENKUlT_SK_SL_SM_E_clIPjSE_SF_SF_EESJ_SZ_SK_SL_SM_EUlSZ_E1_NS1_11comp_targetILNS1_3genE9ELNS1_11target_archE1100ELNS1_3gpuE3ELNS1_3repE0EEENS1_36merge_oddeven_config_static_selectorELNS0_4arch9wavefront6targetE1EEEvSL_
		.amdhsa_group_segment_fixed_size 0
		.amdhsa_private_segment_fixed_size 0
		.amdhsa_kernarg_size 48
		.amdhsa_user_sgpr_count 2
		.amdhsa_user_sgpr_dispatch_ptr 0
		.amdhsa_user_sgpr_queue_ptr 0
		.amdhsa_user_sgpr_kernarg_segment_ptr 1
		.amdhsa_user_sgpr_dispatch_id 0
		.amdhsa_user_sgpr_kernarg_preload_length 0
		.amdhsa_user_sgpr_kernarg_preload_offset 0
		.amdhsa_user_sgpr_private_segment_size 0
		.amdhsa_uses_dynamic_stack 0
		.amdhsa_enable_private_segment 0
		.amdhsa_system_sgpr_workgroup_id_x 1
		.amdhsa_system_sgpr_workgroup_id_y 0
		.amdhsa_system_sgpr_workgroup_id_z 0
		.amdhsa_system_sgpr_workgroup_info 0
		.amdhsa_system_vgpr_workitem_id 0
		.amdhsa_next_free_vgpr 1
		.amdhsa_next_free_sgpr 0
		.amdhsa_accum_offset 4
		.amdhsa_reserve_vcc 0
		.amdhsa_float_round_mode_32 0
		.amdhsa_float_round_mode_16_64 0
		.amdhsa_float_denorm_mode_32 3
		.amdhsa_float_denorm_mode_16_64 3
		.amdhsa_dx10_clamp 1
		.amdhsa_ieee_mode 1
		.amdhsa_fp16_overflow 0
		.amdhsa_tg_split 0
		.amdhsa_exception_fp_ieee_invalid_op 0
		.amdhsa_exception_fp_denorm_src 0
		.amdhsa_exception_fp_ieee_div_zero 0
		.amdhsa_exception_fp_ieee_overflow 0
		.amdhsa_exception_fp_ieee_underflow 0
		.amdhsa_exception_fp_ieee_inexact 0
		.amdhsa_exception_int_div_zero 0
	.end_amdhsa_kernel
	.section	.text._ZN7rocprim17ROCPRIM_400000_NS6detail17trampoline_kernelINS0_14default_configENS1_38merge_sort_block_merge_config_selectorIjNS0_10empty_typeEEEZZNS1_27merge_sort_block_merge_implIS3_N6thrust23THRUST_200600_302600_NS6detail15normal_iteratorINS9_10device_ptrIjEEEEPS5_jNS1_19radix_merge_compareILb0ELb0EjNS0_19identity_decomposerEEEEE10hipError_tT0_T1_T2_jT3_P12ihipStream_tbPNSt15iterator_traitsISK_E10value_typeEPNSQ_ISL_E10value_typeEPSM_NS1_7vsmem_tEENKUlT_SK_SL_SM_E_clIPjSE_SF_SF_EESJ_SZ_SK_SL_SM_EUlSZ_E1_NS1_11comp_targetILNS1_3genE9ELNS1_11target_archE1100ELNS1_3gpuE3ELNS1_3repE0EEENS1_36merge_oddeven_config_static_selectorELNS0_4arch9wavefront6targetE1EEEvSL_,"axG",@progbits,_ZN7rocprim17ROCPRIM_400000_NS6detail17trampoline_kernelINS0_14default_configENS1_38merge_sort_block_merge_config_selectorIjNS0_10empty_typeEEEZZNS1_27merge_sort_block_merge_implIS3_N6thrust23THRUST_200600_302600_NS6detail15normal_iteratorINS9_10device_ptrIjEEEEPS5_jNS1_19radix_merge_compareILb0ELb0EjNS0_19identity_decomposerEEEEE10hipError_tT0_T1_T2_jT3_P12ihipStream_tbPNSt15iterator_traitsISK_E10value_typeEPNSQ_ISL_E10value_typeEPSM_NS1_7vsmem_tEENKUlT_SK_SL_SM_E_clIPjSE_SF_SF_EESJ_SZ_SK_SL_SM_EUlSZ_E1_NS1_11comp_targetILNS1_3genE9ELNS1_11target_archE1100ELNS1_3gpuE3ELNS1_3repE0EEENS1_36merge_oddeven_config_static_selectorELNS0_4arch9wavefront6targetE1EEEvSL_,comdat
.Lfunc_end991:
	.size	_ZN7rocprim17ROCPRIM_400000_NS6detail17trampoline_kernelINS0_14default_configENS1_38merge_sort_block_merge_config_selectorIjNS0_10empty_typeEEEZZNS1_27merge_sort_block_merge_implIS3_N6thrust23THRUST_200600_302600_NS6detail15normal_iteratorINS9_10device_ptrIjEEEEPS5_jNS1_19radix_merge_compareILb0ELb0EjNS0_19identity_decomposerEEEEE10hipError_tT0_T1_T2_jT3_P12ihipStream_tbPNSt15iterator_traitsISK_E10value_typeEPNSQ_ISL_E10value_typeEPSM_NS1_7vsmem_tEENKUlT_SK_SL_SM_E_clIPjSE_SF_SF_EESJ_SZ_SK_SL_SM_EUlSZ_E1_NS1_11comp_targetILNS1_3genE9ELNS1_11target_archE1100ELNS1_3gpuE3ELNS1_3repE0EEENS1_36merge_oddeven_config_static_selectorELNS0_4arch9wavefront6targetE1EEEvSL_, .Lfunc_end991-_ZN7rocprim17ROCPRIM_400000_NS6detail17trampoline_kernelINS0_14default_configENS1_38merge_sort_block_merge_config_selectorIjNS0_10empty_typeEEEZZNS1_27merge_sort_block_merge_implIS3_N6thrust23THRUST_200600_302600_NS6detail15normal_iteratorINS9_10device_ptrIjEEEEPS5_jNS1_19radix_merge_compareILb0ELb0EjNS0_19identity_decomposerEEEEE10hipError_tT0_T1_T2_jT3_P12ihipStream_tbPNSt15iterator_traitsISK_E10value_typeEPNSQ_ISL_E10value_typeEPSM_NS1_7vsmem_tEENKUlT_SK_SL_SM_E_clIPjSE_SF_SF_EESJ_SZ_SK_SL_SM_EUlSZ_E1_NS1_11comp_targetILNS1_3genE9ELNS1_11target_archE1100ELNS1_3gpuE3ELNS1_3repE0EEENS1_36merge_oddeven_config_static_selectorELNS0_4arch9wavefront6targetE1EEEvSL_
                                        ; -- End function
	.section	.AMDGPU.csdata,"",@progbits
; Kernel info:
; codeLenInByte = 0
; NumSgprs: 6
; NumVgprs: 0
; NumAgprs: 0
; TotalNumVgprs: 0
; ScratchSize: 0
; MemoryBound: 0
; FloatMode: 240
; IeeeMode: 1
; LDSByteSize: 0 bytes/workgroup (compile time only)
; SGPRBlocks: 0
; VGPRBlocks: 0
; NumSGPRsForWavesPerEU: 6
; NumVGPRsForWavesPerEU: 1
; AccumOffset: 4
; Occupancy: 8
; WaveLimiterHint : 0
; COMPUTE_PGM_RSRC2:SCRATCH_EN: 0
; COMPUTE_PGM_RSRC2:USER_SGPR: 2
; COMPUTE_PGM_RSRC2:TRAP_HANDLER: 0
; COMPUTE_PGM_RSRC2:TGID_X_EN: 1
; COMPUTE_PGM_RSRC2:TGID_Y_EN: 0
; COMPUTE_PGM_RSRC2:TGID_Z_EN: 0
; COMPUTE_PGM_RSRC2:TIDIG_COMP_CNT: 0
; COMPUTE_PGM_RSRC3_GFX90A:ACCUM_OFFSET: 0
; COMPUTE_PGM_RSRC3_GFX90A:TG_SPLIT: 0
	.section	.text._ZN7rocprim17ROCPRIM_400000_NS6detail17trampoline_kernelINS0_14default_configENS1_38merge_sort_block_merge_config_selectorIjNS0_10empty_typeEEEZZNS1_27merge_sort_block_merge_implIS3_N6thrust23THRUST_200600_302600_NS6detail15normal_iteratorINS9_10device_ptrIjEEEEPS5_jNS1_19radix_merge_compareILb0ELb0EjNS0_19identity_decomposerEEEEE10hipError_tT0_T1_T2_jT3_P12ihipStream_tbPNSt15iterator_traitsISK_E10value_typeEPNSQ_ISL_E10value_typeEPSM_NS1_7vsmem_tEENKUlT_SK_SL_SM_E_clIPjSE_SF_SF_EESJ_SZ_SK_SL_SM_EUlSZ_E1_NS1_11comp_targetILNS1_3genE8ELNS1_11target_archE1030ELNS1_3gpuE2ELNS1_3repE0EEENS1_36merge_oddeven_config_static_selectorELNS0_4arch9wavefront6targetE1EEEvSL_,"axG",@progbits,_ZN7rocprim17ROCPRIM_400000_NS6detail17trampoline_kernelINS0_14default_configENS1_38merge_sort_block_merge_config_selectorIjNS0_10empty_typeEEEZZNS1_27merge_sort_block_merge_implIS3_N6thrust23THRUST_200600_302600_NS6detail15normal_iteratorINS9_10device_ptrIjEEEEPS5_jNS1_19radix_merge_compareILb0ELb0EjNS0_19identity_decomposerEEEEE10hipError_tT0_T1_T2_jT3_P12ihipStream_tbPNSt15iterator_traitsISK_E10value_typeEPNSQ_ISL_E10value_typeEPSM_NS1_7vsmem_tEENKUlT_SK_SL_SM_E_clIPjSE_SF_SF_EESJ_SZ_SK_SL_SM_EUlSZ_E1_NS1_11comp_targetILNS1_3genE8ELNS1_11target_archE1030ELNS1_3gpuE2ELNS1_3repE0EEENS1_36merge_oddeven_config_static_selectorELNS0_4arch9wavefront6targetE1EEEvSL_,comdat
	.protected	_ZN7rocprim17ROCPRIM_400000_NS6detail17trampoline_kernelINS0_14default_configENS1_38merge_sort_block_merge_config_selectorIjNS0_10empty_typeEEEZZNS1_27merge_sort_block_merge_implIS3_N6thrust23THRUST_200600_302600_NS6detail15normal_iteratorINS9_10device_ptrIjEEEEPS5_jNS1_19radix_merge_compareILb0ELb0EjNS0_19identity_decomposerEEEEE10hipError_tT0_T1_T2_jT3_P12ihipStream_tbPNSt15iterator_traitsISK_E10value_typeEPNSQ_ISL_E10value_typeEPSM_NS1_7vsmem_tEENKUlT_SK_SL_SM_E_clIPjSE_SF_SF_EESJ_SZ_SK_SL_SM_EUlSZ_E1_NS1_11comp_targetILNS1_3genE8ELNS1_11target_archE1030ELNS1_3gpuE2ELNS1_3repE0EEENS1_36merge_oddeven_config_static_selectorELNS0_4arch9wavefront6targetE1EEEvSL_ ; -- Begin function _ZN7rocprim17ROCPRIM_400000_NS6detail17trampoline_kernelINS0_14default_configENS1_38merge_sort_block_merge_config_selectorIjNS0_10empty_typeEEEZZNS1_27merge_sort_block_merge_implIS3_N6thrust23THRUST_200600_302600_NS6detail15normal_iteratorINS9_10device_ptrIjEEEEPS5_jNS1_19radix_merge_compareILb0ELb0EjNS0_19identity_decomposerEEEEE10hipError_tT0_T1_T2_jT3_P12ihipStream_tbPNSt15iterator_traitsISK_E10value_typeEPNSQ_ISL_E10value_typeEPSM_NS1_7vsmem_tEENKUlT_SK_SL_SM_E_clIPjSE_SF_SF_EESJ_SZ_SK_SL_SM_EUlSZ_E1_NS1_11comp_targetILNS1_3genE8ELNS1_11target_archE1030ELNS1_3gpuE2ELNS1_3repE0EEENS1_36merge_oddeven_config_static_selectorELNS0_4arch9wavefront6targetE1EEEvSL_
	.globl	_ZN7rocprim17ROCPRIM_400000_NS6detail17trampoline_kernelINS0_14default_configENS1_38merge_sort_block_merge_config_selectorIjNS0_10empty_typeEEEZZNS1_27merge_sort_block_merge_implIS3_N6thrust23THRUST_200600_302600_NS6detail15normal_iteratorINS9_10device_ptrIjEEEEPS5_jNS1_19radix_merge_compareILb0ELb0EjNS0_19identity_decomposerEEEEE10hipError_tT0_T1_T2_jT3_P12ihipStream_tbPNSt15iterator_traitsISK_E10value_typeEPNSQ_ISL_E10value_typeEPSM_NS1_7vsmem_tEENKUlT_SK_SL_SM_E_clIPjSE_SF_SF_EESJ_SZ_SK_SL_SM_EUlSZ_E1_NS1_11comp_targetILNS1_3genE8ELNS1_11target_archE1030ELNS1_3gpuE2ELNS1_3repE0EEENS1_36merge_oddeven_config_static_selectorELNS0_4arch9wavefront6targetE1EEEvSL_
	.p2align	8
	.type	_ZN7rocprim17ROCPRIM_400000_NS6detail17trampoline_kernelINS0_14default_configENS1_38merge_sort_block_merge_config_selectorIjNS0_10empty_typeEEEZZNS1_27merge_sort_block_merge_implIS3_N6thrust23THRUST_200600_302600_NS6detail15normal_iteratorINS9_10device_ptrIjEEEEPS5_jNS1_19radix_merge_compareILb0ELb0EjNS0_19identity_decomposerEEEEE10hipError_tT0_T1_T2_jT3_P12ihipStream_tbPNSt15iterator_traitsISK_E10value_typeEPNSQ_ISL_E10value_typeEPSM_NS1_7vsmem_tEENKUlT_SK_SL_SM_E_clIPjSE_SF_SF_EESJ_SZ_SK_SL_SM_EUlSZ_E1_NS1_11comp_targetILNS1_3genE8ELNS1_11target_archE1030ELNS1_3gpuE2ELNS1_3repE0EEENS1_36merge_oddeven_config_static_selectorELNS0_4arch9wavefront6targetE1EEEvSL_,@function
_ZN7rocprim17ROCPRIM_400000_NS6detail17trampoline_kernelINS0_14default_configENS1_38merge_sort_block_merge_config_selectorIjNS0_10empty_typeEEEZZNS1_27merge_sort_block_merge_implIS3_N6thrust23THRUST_200600_302600_NS6detail15normal_iteratorINS9_10device_ptrIjEEEEPS5_jNS1_19radix_merge_compareILb0ELb0EjNS0_19identity_decomposerEEEEE10hipError_tT0_T1_T2_jT3_P12ihipStream_tbPNSt15iterator_traitsISK_E10value_typeEPNSQ_ISL_E10value_typeEPSM_NS1_7vsmem_tEENKUlT_SK_SL_SM_E_clIPjSE_SF_SF_EESJ_SZ_SK_SL_SM_EUlSZ_E1_NS1_11comp_targetILNS1_3genE8ELNS1_11target_archE1030ELNS1_3gpuE2ELNS1_3repE0EEENS1_36merge_oddeven_config_static_selectorELNS0_4arch9wavefront6targetE1EEEvSL_: ; @_ZN7rocprim17ROCPRIM_400000_NS6detail17trampoline_kernelINS0_14default_configENS1_38merge_sort_block_merge_config_selectorIjNS0_10empty_typeEEEZZNS1_27merge_sort_block_merge_implIS3_N6thrust23THRUST_200600_302600_NS6detail15normal_iteratorINS9_10device_ptrIjEEEEPS5_jNS1_19radix_merge_compareILb0ELb0EjNS0_19identity_decomposerEEEEE10hipError_tT0_T1_T2_jT3_P12ihipStream_tbPNSt15iterator_traitsISK_E10value_typeEPNSQ_ISL_E10value_typeEPSM_NS1_7vsmem_tEENKUlT_SK_SL_SM_E_clIPjSE_SF_SF_EESJ_SZ_SK_SL_SM_EUlSZ_E1_NS1_11comp_targetILNS1_3genE8ELNS1_11target_archE1030ELNS1_3gpuE2ELNS1_3repE0EEENS1_36merge_oddeven_config_static_selectorELNS0_4arch9wavefront6targetE1EEEvSL_
; %bb.0:
	.section	.rodata,"a",@progbits
	.p2align	6, 0x0
	.amdhsa_kernel _ZN7rocprim17ROCPRIM_400000_NS6detail17trampoline_kernelINS0_14default_configENS1_38merge_sort_block_merge_config_selectorIjNS0_10empty_typeEEEZZNS1_27merge_sort_block_merge_implIS3_N6thrust23THRUST_200600_302600_NS6detail15normal_iteratorINS9_10device_ptrIjEEEEPS5_jNS1_19radix_merge_compareILb0ELb0EjNS0_19identity_decomposerEEEEE10hipError_tT0_T1_T2_jT3_P12ihipStream_tbPNSt15iterator_traitsISK_E10value_typeEPNSQ_ISL_E10value_typeEPSM_NS1_7vsmem_tEENKUlT_SK_SL_SM_E_clIPjSE_SF_SF_EESJ_SZ_SK_SL_SM_EUlSZ_E1_NS1_11comp_targetILNS1_3genE8ELNS1_11target_archE1030ELNS1_3gpuE2ELNS1_3repE0EEENS1_36merge_oddeven_config_static_selectorELNS0_4arch9wavefront6targetE1EEEvSL_
		.amdhsa_group_segment_fixed_size 0
		.amdhsa_private_segment_fixed_size 0
		.amdhsa_kernarg_size 48
		.amdhsa_user_sgpr_count 2
		.amdhsa_user_sgpr_dispatch_ptr 0
		.amdhsa_user_sgpr_queue_ptr 0
		.amdhsa_user_sgpr_kernarg_segment_ptr 1
		.amdhsa_user_sgpr_dispatch_id 0
		.amdhsa_user_sgpr_kernarg_preload_length 0
		.amdhsa_user_sgpr_kernarg_preload_offset 0
		.amdhsa_user_sgpr_private_segment_size 0
		.amdhsa_uses_dynamic_stack 0
		.amdhsa_enable_private_segment 0
		.amdhsa_system_sgpr_workgroup_id_x 1
		.amdhsa_system_sgpr_workgroup_id_y 0
		.amdhsa_system_sgpr_workgroup_id_z 0
		.amdhsa_system_sgpr_workgroup_info 0
		.amdhsa_system_vgpr_workitem_id 0
		.amdhsa_next_free_vgpr 1
		.amdhsa_next_free_sgpr 0
		.amdhsa_accum_offset 4
		.amdhsa_reserve_vcc 0
		.amdhsa_float_round_mode_32 0
		.amdhsa_float_round_mode_16_64 0
		.amdhsa_float_denorm_mode_32 3
		.amdhsa_float_denorm_mode_16_64 3
		.amdhsa_dx10_clamp 1
		.amdhsa_ieee_mode 1
		.amdhsa_fp16_overflow 0
		.amdhsa_tg_split 0
		.amdhsa_exception_fp_ieee_invalid_op 0
		.amdhsa_exception_fp_denorm_src 0
		.amdhsa_exception_fp_ieee_div_zero 0
		.amdhsa_exception_fp_ieee_overflow 0
		.amdhsa_exception_fp_ieee_underflow 0
		.amdhsa_exception_fp_ieee_inexact 0
		.amdhsa_exception_int_div_zero 0
	.end_amdhsa_kernel
	.section	.text._ZN7rocprim17ROCPRIM_400000_NS6detail17trampoline_kernelINS0_14default_configENS1_38merge_sort_block_merge_config_selectorIjNS0_10empty_typeEEEZZNS1_27merge_sort_block_merge_implIS3_N6thrust23THRUST_200600_302600_NS6detail15normal_iteratorINS9_10device_ptrIjEEEEPS5_jNS1_19radix_merge_compareILb0ELb0EjNS0_19identity_decomposerEEEEE10hipError_tT0_T1_T2_jT3_P12ihipStream_tbPNSt15iterator_traitsISK_E10value_typeEPNSQ_ISL_E10value_typeEPSM_NS1_7vsmem_tEENKUlT_SK_SL_SM_E_clIPjSE_SF_SF_EESJ_SZ_SK_SL_SM_EUlSZ_E1_NS1_11comp_targetILNS1_3genE8ELNS1_11target_archE1030ELNS1_3gpuE2ELNS1_3repE0EEENS1_36merge_oddeven_config_static_selectorELNS0_4arch9wavefront6targetE1EEEvSL_,"axG",@progbits,_ZN7rocprim17ROCPRIM_400000_NS6detail17trampoline_kernelINS0_14default_configENS1_38merge_sort_block_merge_config_selectorIjNS0_10empty_typeEEEZZNS1_27merge_sort_block_merge_implIS3_N6thrust23THRUST_200600_302600_NS6detail15normal_iteratorINS9_10device_ptrIjEEEEPS5_jNS1_19radix_merge_compareILb0ELb0EjNS0_19identity_decomposerEEEEE10hipError_tT0_T1_T2_jT3_P12ihipStream_tbPNSt15iterator_traitsISK_E10value_typeEPNSQ_ISL_E10value_typeEPSM_NS1_7vsmem_tEENKUlT_SK_SL_SM_E_clIPjSE_SF_SF_EESJ_SZ_SK_SL_SM_EUlSZ_E1_NS1_11comp_targetILNS1_3genE8ELNS1_11target_archE1030ELNS1_3gpuE2ELNS1_3repE0EEENS1_36merge_oddeven_config_static_selectorELNS0_4arch9wavefront6targetE1EEEvSL_,comdat
.Lfunc_end992:
	.size	_ZN7rocprim17ROCPRIM_400000_NS6detail17trampoline_kernelINS0_14default_configENS1_38merge_sort_block_merge_config_selectorIjNS0_10empty_typeEEEZZNS1_27merge_sort_block_merge_implIS3_N6thrust23THRUST_200600_302600_NS6detail15normal_iteratorINS9_10device_ptrIjEEEEPS5_jNS1_19radix_merge_compareILb0ELb0EjNS0_19identity_decomposerEEEEE10hipError_tT0_T1_T2_jT3_P12ihipStream_tbPNSt15iterator_traitsISK_E10value_typeEPNSQ_ISL_E10value_typeEPSM_NS1_7vsmem_tEENKUlT_SK_SL_SM_E_clIPjSE_SF_SF_EESJ_SZ_SK_SL_SM_EUlSZ_E1_NS1_11comp_targetILNS1_3genE8ELNS1_11target_archE1030ELNS1_3gpuE2ELNS1_3repE0EEENS1_36merge_oddeven_config_static_selectorELNS0_4arch9wavefront6targetE1EEEvSL_, .Lfunc_end992-_ZN7rocprim17ROCPRIM_400000_NS6detail17trampoline_kernelINS0_14default_configENS1_38merge_sort_block_merge_config_selectorIjNS0_10empty_typeEEEZZNS1_27merge_sort_block_merge_implIS3_N6thrust23THRUST_200600_302600_NS6detail15normal_iteratorINS9_10device_ptrIjEEEEPS5_jNS1_19radix_merge_compareILb0ELb0EjNS0_19identity_decomposerEEEEE10hipError_tT0_T1_T2_jT3_P12ihipStream_tbPNSt15iterator_traitsISK_E10value_typeEPNSQ_ISL_E10value_typeEPSM_NS1_7vsmem_tEENKUlT_SK_SL_SM_E_clIPjSE_SF_SF_EESJ_SZ_SK_SL_SM_EUlSZ_E1_NS1_11comp_targetILNS1_3genE8ELNS1_11target_archE1030ELNS1_3gpuE2ELNS1_3repE0EEENS1_36merge_oddeven_config_static_selectorELNS0_4arch9wavefront6targetE1EEEvSL_
                                        ; -- End function
	.section	.AMDGPU.csdata,"",@progbits
; Kernel info:
; codeLenInByte = 0
; NumSgprs: 6
; NumVgprs: 0
; NumAgprs: 0
; TotalNumVgprs: 0
; ScratchSize: 0
; MemoryBound: 0
; FloatMode: 240
; IeeeMode: 1
; LDSByteSize: 0 bytes/workgroup (compile time only)
; SGPRBlocks: 0
; VGPRBlocks: 0
; NumSGPRsForWavesPerEU: 6
; NumVGPRsForWavesPerEU: 1
; AccumOffset: 4
; Occupancy: 8
; WaveLimiterHint : 0
; COMPUTE_PGM_RSRC2:SCRATCH_EN: 0
; COMPUTE_PGM_RSRC2:USER_SGPR: 2
; COMPUTE_PGM_RSRC2:TRAP_HANDLER: 0
; COMPUTE_PGM_RSRC2:TGID_X_EN: 1
; COMPUTE_PGM_RSRC2:TGID_Y_EN: 0
; COMPUTE_PGM_RSRC2:TGID_Z_EN: 0
; COMPUTE_PGM_RSRC2:TIDIG_COMP_CNT: 0
; COMPUTE_PGM_RSRC3_GFX90A:ACCUM_OFFSET: 0
; COMPUTE_PGM_RSRC3_GFX90A:TG_SPLIT: 0
	.section	.text._ZN7rocprim17ROCPRIM_400000_NS6detail17trampoline_kernelINS0_14default_configENS1_38merge_sort_block_merge_config_selectorIjNS0_10empty_typeEEEZZNS1_27merge_sort_block_merge_implIS3_N6thrust23THRUST_200600_302600_NS6detail15normal_iteratorINS9_10device_ptrIjEEEEPS5_jNS1_19radix_merge_compareILb0ELb0EjNS0_19identity_decomposerEEEEE10hipError_tT0_T1_T2_jT3_P12ihipStream_tbPNSt15iterator_traitsISK_E10value_typeEPNSQ_ISL_E10value_typeEPSM_NS1_7vsmem_tEENKUlT_SK_SL_SM_E_clISE_PjSF_SF_EESJ_SZ_SK_SL_SM_EUlSZ_E_NS1_11comp_targetILNS1_3genE0ELNS1_11target_archE4294967295ELNS1_3gpuE0ELNS1_3repE0EEENS1_48merge_mergepath_partition_config_static_selectorELNS0_4arch9wavefront6targetE1EEEvSL_,"axG",@progbits,_ZN7rocprim17ROCPRIM_400000_NS6detail17trampoline_kernelINS0_14default_configENS1_38merge_sort_block_merge_config_selectorIjNS0_10empty_typeEEEZZNS1_27merge_sort_block_merge_implIS3_N6thrust23THRUST_200600_302600_NS6detail15normal_iteratorINS9_10device_ptrIjEEEEPS5_jNS1_19radix_merge_compareILb0ELb0EjNS0_19identity_decomposerEEEEE10hipError_tT0_T1_T2_jT3_P12ihipStream_tbPNSt15iterator_traitsISK_E10value_typeEPNSQ_ISL_E10value_typeEPSM_NS1_7vsmem_tEENKUlT_SK_SL_SM_E_clISE_PjSF_SF_EESJ_SZ_SK_SL_SM_EUlSZ_E_NS1_11comp_targetILNS1_3genE0ELNS1_11target_archE4294967295ELNS1_3gpuE0ELNS1_3repE0EEENS1_48merge_mergepath_partition_config_static_selectorELNS0_4arch9wavefront6targetE1EEEvSL_,comdat
	.protected	_ZN7rocprim17ROCPRIM_400000_NS6detail17trampoline_kernelINS0_14default_configENS1_38merge_sort_block_merge_config_selectorIjNS0_10empty_typeEEEZZNS1_27merge_sort_block_merge_implIS3_N6thrust23THRUST_200600_302600_NS6detail15normal_iteratorINS9_10device_ptrIjEEEEPS5_jNS1_19radix_merge_compareILb0ELb0EjNS0_19identity_decomposerEEEEE10hipError_tT0_T1_T2_jT3_P12ihipStream_tbPNSt15iterator_traitsISK_E10value_typeEPNSQ_ISL_E10value_typeEPSM_NS1_7vsmem_tEENKUlT_SK_SL_SM_E_clISE_PjSF_SF_EESJ_SZ_SK_SL_SM_EUlSZ_E_NS1_11comp_targetILNS1_3genE0ELNS1_11target_archE4294967295ELNS1_3gpuE0ELNS1_3repE0EEENS1_48merge_mergepath_partition_config_static_selectorELNS0_4arch9wavefront6targetE1EEEvSL_ ; -- Begin function _ZN7rocprim17ROCPRIM_400000_NS6detail17trampoline_kernelINS0_14default_configENS1_38merge_sort_block_merge_config_selectorIjNS0_10empty_typeEEEZZNS1_27merge_sort_block_merge_implIS3_N6thrust23THRUST_200600_302600_NS6detail15normal_iteratorINS9_10device_ptrIjEEEEPS5_jNS1_19radix_merge_compareILb0ELb0EjNS0_19identity_decomposerEEEEE10hipError_tT0_T1_T2_jT3_P12ihipStream_tbPNSt15iterator_traitsISK_E10value_typeEPNSQ_ISL_E10value_typeEPSM_NS1_7vsmem_tEENKUlT_SK_SL_SM_E_clISE_PjSF_SF_EESJ_SZ_SK_SL_SM_EUlSZ_E_NS1_11comp_targetILNS1_3genE0ELNS1_11target_archE4294967295ELNS1_3gpuE0ELNS1_3repE0EEENS1_48merge_mergepath_partition_config_static_selectorELNS0_4arch9wavefront6targetE1EEEvSL_
	.globl	_ZN7rocprim17ROCPRIM_400000_NS6detail17trampoline_kernelINS0_14default_configENS1_38merge_sort_block_merge_config_selectorIjNS0_10empty_typeEEEZZNS1_27merge_sort_block_merge_implIS3_N6thrust23THRUST_200600_302600_NS6detail15normal_iteratorINS9_10device_ptrIjEEEEPS5_jNS1_19radix_merge_compareILb0ELb0EjNS0_19identity_decomposerEEEEE10hipError_tT0_T1_T2_jT3_P12ihipStream_tbPNSt15iterator_traitsISK_E10value_typeEPNSQ_ISL_E10value_typeEPSM_NS1_7vsmem_tEENKUlT_SK_SL_SM_E_clISE_PjSF_SF_EESJ_SZ_SK_SL_SM_EUlSZ_E_NS1_11comp_targetILNS1_3genE0ELNS1_11target_archE4294967295ELNS1_3gpuE0ELNS1_3repE0EEENS1_48merge_mergepath_partition_config_static_selectorELNS0_4arch9wavefront6targetE1EEEvSL_
	.p2align	8
	.type	_ZN7rocprim17ROCPRIM_400000_NS6detail17trampoline_kernelINS0_14default_configENS1_38merge_sort_block_merge_config_selectorIjNS0_10empty_typeEEEZZNS1_27merge_sort_block_merge_implIS3_N6thrust23THRUST_200600_302600_NS6detail15normal_iteratorINS9_10device_ptrIjEEEEPS5_jNS1_19radix_merge_compareILb0ELb0EjNS0_19identity_decomposerEEEEE10hipError_tT0_T1_T2_jT3_P12ihipStream_tbPNSt15iterator_traitsISK_E10value_typeEPNSQ_ISL_E10value_typeEPSM_NS1_7vsmem_tEENKUlT_SK_SL_SM_E_clISE_PjSF_SF_EESJ_SZ_SK_SL_SM_EUlSZ_E_NS1_11comp_targetILNS1_3genE0ELNS1_11target_archE4294967295ELNS1_3gpuE0ELNS1_3repE0EEENS1_48merge_mergepath_partition_config_static_selectorELNS0_4arch9wavefront6targetE1EEEvSL_,@function
_ZN7rocprim17ROCPRIM_400000_NS6detail17trampoline_kernelINS0_14default_configENS1_38merge_sort_block_merge_config_selectorIjNS0_10empty_typeEEEZZNS1_27merge_sort_block_merge_implIS3_N6thrust23THRUST_200600_302600_NS6detail15normal_iteratorINS9_10device_ptrIjEEEEPS5_jNS1_19radix_merge_compareILb0ELb0EjNS0_19identity_decomposerEEEEE10hipError_tT0_T1_T2_jT3_P12ihipStream_tbPNSt15iterator_traitsISK_E10value_typeEPNSQ_ISL_E10value_typeEPSM_NS1_7vsmem_tEENKUlT_SK_SL_SM_E_clISE_PjSF_SF_EESJ_SZ_SK_SL_SM_EUlSZ_E_NS1_11comp_targetILNS1_3genE0ELNS1_11target_archE4294967295ELNS1_3gpuE0ELNS1_3repE0EEENS1_48merge_mergepath_partition_config_static_selectorELNS0_4arch9wavefront6targetE1EEEvSL_: ; @_ZN7rocprim17ROCPRIM_400000_NS6detail17trampoline_kernelINS0_14default_configENS1_38merge_sort_block_merge_config_selectorIjNS0_10empty_typeEEEZZNS1_27merge_sort_block_merge_implIS3_N6thrust23THRUST_200600_302600_NS6detail15normal_iteratorINS9_10device_ptrIjEEEEPS5_jNS1_19radix_merge_compareILb0ELb0EjNS0_19identity_decomposerEEEEE10hipError_tT0_T1_T2_jT3_P12ihipStream_tbPNSt15iterator_traitsISK_E10value_typeEPNSQ_ISL_E10value_typeEPSM_NS1_7vsmem_tEENKUlT_SK_SL_SM_E_clISE_PjSF_SF_EESJ_SZ_SK_SL_SM_EUlSZ_E_NS1_11comp_targetILNS1_3genE0ELNS1_11target_archE4294967295ELNS1_3gpuE0ELNS1_3repE0EEENS1_48merge_mergepath_partition_config_static_selectorELNS0_4arch9wavefront6targetE1EEEvSL_
; %bb.0:
	.section	.rodata,"a",@progbits
	.p2align	6, 0x0
	.amdhsa_kernel _ZN7rocprim17ROCPRIM_400000_NS6detail17trampoline_kernelINS0_14default_configENS1_38merge_sort_block_merge_config_selectorIjNS0_10empty_typeEEEZZNS1_27merge_sort_block_merge_implIS3_N6thrust23THRUST_200600_302600_NS6detail15normal_iteratorINS9_10device_ptrIjEEEEPS5_jNS1_19radix_merge_compareILb0ELb0EjNS0_19identity_decomposerEEEEE10hipError_tT0_T1_T2_jT3_P12ihipStream_tbPNSt15iterator_traitsISK_E10value_typeEPNSQ_ISL_E10value_typeEPSM_NS1_7vsmem_tEENKUlT_SK_SL_SM_E_clISE_PjSF_SF_EESJ_SZ_SK_SL_SM_EUlSZ_E_NS1_11comp_targetILNS1_3genE0ELNS1_11target_archE4294967295ELNS1_3gpuE0ELNS1_3repE0EEENS1_48merge_mergepath_partition_config_static_selectorELNS0_4arch9wavefront6targetE1EEEvSL_
		.amdhsa_group_segment_fixed_size 0
		.amdhsa_private_segment_fixed_size 0
		.amdhsa_kernarg_size 40
		.amdhsa_user_sgpr_count 2
		.amdhsa_user_sgpr_dispatch_ptr 0
		.amdhsa_user_sgpr_queue_ptr 0
		.amdhsa_user_sgpr_kernarg_segment_ptr 1
		.amdhsa_user_sgpr_dispatch_id 0
		.amdhsa_user_sgpr_kernarg_preload_length 0
		.amdhsa_user_sgpr_kernarg_preload_offset 0
		.amdhsa_user_sgpr_private_segment_size 0
		.amdhsa_uses_dynamic_stack 0
		.amdhsa_enable_private_segment 0
		.amdhsa_system_sgpr_workgroup_id_x 1
		.amdhsa_system_sgpr_workgroup_id_y 0
		.amdhsa_system_sgpr_workgroup_id_z 0
		.amdhsa_system_sgpr_workgroup_info 0
		.amdhsa_system_vgpr_workitem_id 0
		.amdhsa_next_free_vgpr 1
		.amdhsa_next_free_sgpr 0
		.amdhsa_accum_offset 4
		.amdhsa_reserve_vcc 0
		.amdhsa_float_round_mode_32 0
		.amdhsa_float_round_mode_16_64 0
		.amdhsa_float_denorm_mode_32 3
		.amdhsa_float_denorm_mode_16_64 3
		.amdhsa_dx10_clamp 1
		.amdhsa_ieee_mode 1
		.amdhsa_fp16_overflow 0
		.amdhsa_tg_split 0
		.amdhsa_exception_fp_ieee_invalid_op 0
		.amdhsa_exception_fp_denorm_src 0
		.amdhsa_exception_fp_ieee_div_zero 0
		.amdhsa_exception_fp_ieee_overflow 0
		.amdhsa_exception_fp_ieee_underflow 0
		.amdhsa_exception_fp_ieee_inexact 0
		.amdhsa_exception_int_div_zero 0
	.end_amdhsa_kernel
	.section	.text._ZN7rocprim17ROCPRIM_400000_NS6detail17trampoline_kernelINS0_14default_configENS1_38merge_sort_block_merge_config_selectorIjNS0_10empty_typeEEEZZNS1_27merge_sort_block_merge_implIS3_N6thrust23THRUST_200600_302600_NS6detail15normal_iteratorINS9_10device_ptrIjEEEEPS5_jNS1_19radix_merge_compareILb0ELb0EjNS0_19identity_decomposerEEEEE10hipError_tT0_T1_T2_jT3_P12ihipStream_tbPNSt15iterator_traitsISK_E10value_typeEPNSQ_ISL_E10value_typeEPSM_NS1_7vsmem_tEENKUlT_SK_SL_SM_E_clISE_PjSF_SF_EESJ_SZ_SK_SL_SM_EUlSZ_E_NS1_11comp_targetILNS1_3genE0ELNS1_11target_archE4294967295ELNS1_3gpuE0ELNS1_3repE0EEENS1_48merge_mergepath_partition_config_static_selectorELNS0_4arch9wavefront6targetE1EEEvSL_,"axG",@progbits,_ZN7rocprim17ROCPRIM_400000_NS6detail17trampoline_kernelINS0_14default_configENS1_38merge_sort_block_merge_config_selectorIjNS0_10empty_typeEEEZZNS1_27merge_sort_block_merge_implIS3_N6thrust23THRUST_200600_302600_NS6detail15normal_iteratorINS9_10device_ptrIjEEEEPS5_jNS1_19radix_merge_compareILb0ELb0EjNS0_19identity_decomposerEEEEE10hipError_tT0_T1_T2_jT3_P12ihipStream_tbPNSt15iterator_traitsISK_E10value_typeEPNSQ_ISL_E10value_typeEPSM_NS1_7vsmem_tEENKUlT_SK_SL_SM_E_clISE_PjSF_SF_EESJ_SZ_SK_SL_SM_EUlSZ_E_NS1_11comp_targetILNS1_3genE0ELNS1_11target_archE4294967295ELNS1_3gpuE0ELNS1_3repE0EEENS1_48merge_mergepath_partition_config_static_selectorELNS0_4arch9wavefront6targetE1EEEvSL_,comdat
.Lfunc_end993:
	.size	_ZN7rocprim17ROCPRIM_400000_NS6detail17trampoline_kernelINS0_14default_configENS1_38merge_sort_block_merge_config_selectorIjNS0_10empty_typeEEEZZNS1_27merge_sort_block_merge_implIS3_N6thrust23THRUST_200600_302600_NS6detail15normal_iteratorINS9_10device_ptrIjEEEEPS5_jNS1_19radix_merge_compareILb0ELb0EjNS0_19identity_decomposerEEEEE10hipError_tT0_T1_T2_jT3_P12ihipStream_tbPNSt15iterator_traitsISK_E10value_typeEPNSQ_ISL_E10value_typeEPSM_NS1_7vsmem_tEENKUlT_SK_SL_SM_E_clISE_PjSF_SF_EESJ_SZ_SK_SL_SM_EUlSZ_E_NS1_11comp_targetILNS1_3genE0ELNS1_11target_archE4294967295ELNS1_3gpuE0ELNS1_3repE0EEENS1_48merge_mergepath_partition_config_static_selectorELNS0_4arch9wavefront6targetE1EEEvSL_, .Lfunc_end993-_ZN7rocprim17ROCPRIM_400000_NS6detail17trampoline_kernelINS0_14default_configENS1_38merge_sort_block_merge_config_selectorIjNS0_10empty_typeEEEZZNS1_27merge_sort_block_merge_implIS3_N6thrust23THRUST_200600_302600_NS6detail15normal_iteratorINS9_10device_ptrIjEEEEPS5_jNS1_19radix_merge_compareILb0ELb0EjNS0_19identity_decomposerEEEEE10hipError_tT0_T1_T2_jT3_P12ihipStream_tbPNSt15iterator_traitsISK_E10value_typeEPNSQ_ISL_E10value_typeEPSM_NS1_7vsmem_tEENKUlT_SK_SL_SM_E_clISE_PjSF_SF_EESJ_SZ_SK_SL_SM_EUlSZ_E_NS1_11comp_targetILNS1_3genE0ELNS1_11target_archE4294967295ELNS1_3gpuE0ELNS1_3repE0EEENS1_48merge_mergepath_partition_config_static_selectorELNS0_4arch9wavefront6targetE1EEEvSL_
                                        ; -- End function
	.section	.AMDGPU.csdata,"",@progbits
; Kernel info:
; codeLenInByte = 0
; NumSgprs: 6
; NumVgprs: 0
; NumAgprs: 0
; TotalNumVgprs: 0
; ScratchSize: 0
; MemoryBound: 0
; FloatMode: 240
; IeeeMode: 1
; LDSByteSize: 0 bytes/workgroup (compile time only)
; SGPRBlocks: 0
; VGPRBlocks: 0
; NumSGPRsForWavesPerEU: 6
; NumVGPRsForWavesPerEU: 1
; AccumOffset: 4
; Occupancy: 8
; WaveLimiterHint : 0
; COMPUTE_PGM_RSRC2:SCRATCH_EN: 0
; COMPUTE_PGM_RSRC2:USER_SGPR: 2
; COMPUTE_PGM_RSRC2:TRAP_HANDLER: 0
; COMPUTE_PGM_RSRC2:TGID_X_EN: 1
; COMPUTE_PGM_RSRC2:TGID_Y_EN: 0
; COMPUTE_PGM_RSRC2:TGID_Z_EN: 0
; COMPUTE_PGM_RSRC2:TIDIG_COMP_CNT: 0
; COMPUTE_PGM_RSRC3_GFX90A:ACCUM_OFFSET: 0
; COMPUTE_PGM_RSRC3_GFX90A:TG_SPLIT: 0
	.section	.text._ZN7rocprim17ROCPRIM_400000_NS6detail17trampoline_kernelINS0_14default_configENS1_38merge_sort_block_merge_config_selectorIjNS0_10empty_typeEEEZZNS1_27merge_sort_block_merge_implIS3_N6thrust23THRUST_200600_302600_NS6detail15normal_iteratorINS9_10device_ptrIjEEEEPS5_jNS1_19radix_merge_compareILb0ELb0EjNS0_19identity_decomposerEEEEE10hipError_tT0_T1_T2_jT3_P12ihipStream_tbPNSt15iterator_traitsISK_E10value_typeEPNSQ_ISL_E10value_typeEPSM_NS1_7vsmem_tEENKUlT_SK_SL_SM_E_clISE_PjSF_SF_EESJ_SZ_SK_SL_SM_EUlSZ_E_NS1_11comp_targetILNS1_3genE10ELNS1_11target_archE1201ELNS1_3gpuE5ELNS1_3repE0EEENS1_48merge_mergepath_partition_config_static_selectorELNS0_4arch9wavefront6targetE1EEEvSL_,"axG",@progbits,_ZN7rocprim17ROCPRIM_400000_NS6detail17trampoline_kernelINS0_14default_configENS1_38merge_sort_block_merge_config_selectorIjNS0_10empty_typeEEEZZNS1_27merge_sort_block_merge_implIS3_N6thrust23THRUST_200600_302600_NS6detail15normal_iteratorINS9_10device_ptrIjEEEEPS5_jNS1_19radix_merge_compareILb0ELb0EjNS0_19identity_decomposerEEEEE10hipError_tT0_T1_T2_jT3_P12ihipStream_tbPNSt15iterator_traitsISK_E10value_typeEPNSQ_ISL_E10value_typeEPSM_NS1_7vsmem_tEENKUlT_SK_SL_SM_E_clISE_PjSF_SF_EESJ_SZ_SK_SL_SM_EUlSZ_E_NS1_11comp_targetILNS1_3genE10ELNS1_11target_archE1201ELNS1_3gpuE5ELNS1_3repE0EEENS1_48merge_mergepath_partition_config_static_selectorELNS0_4arch9wavefront6targetE1EEEvSL_,comdat
	.protected	_ZN7rocprim17ROCPRIM_400000_NS6detail17trampoline_kernelINS0_14default_configENS1_38merge_sort_block_merge_config_selectorIjNS0_10empty_typeEEEZZNS1_27merge_sort_block_merge_implIS3_N6thrust23THRUST_200600_302600_NS6detail15normal_iteratorINS9_10device_ptrIjEEEEPS5_jNS1_19radix_merge_compareILb0ELb0EjNS0_19identity_decomposerEEEEE10hipError_tT0_T1_T2_jT3_P12ihipStream_tbPNSt15iterator_traitsISK_E10value_typeEPNSQ_ISL_E10value_typeEPSM_NS1_7vsmem_tEENKUlT_SK_SL_SM_E_clISE_PjSF_SF_EESJ_SZ_SK_SL_SM_EUlSZ_E_NS1_11comp_targetILNS1_3genE10ELNS1_11target_archE1201ELNS1_3gpuE5ELNS1_3repE0EEENS1_48merge_mergepath_partition_config_static_selectorELNS0_4arch9wavefront6targetE1EEEvSL_ ; -- Begin function _ZN7rocprim17ROCPRIM_400000_NS6detail17trampoline_kernelINS0_14default_configENS1_38merge_sort_block_merge_config_selectorIjNS0_10empty_typeEEEZZNS1_27merge_sort_block_merge_implIS3_N6thrust23THRUST_200600_302600_NS6detail15normal_iteratorINS9_10device_ptrIjEEEEPS5_jNS1_19radix_merge_compareILb0ELb0EjNS0_19identity_decomposerEEEEE10hipError_tT0_T1_T2_jT3_P12ihipStream_tbPNSt15iterator_traitsISK_E10value_typeEPNSQ_ISL_E10value_typeEPSM_NS1_7vsmem_tEENKUlT_SK_SL_SM_E_clISE_PjSF_SF_EESJ_SZ_SK_SL_SM_EUlSZ_E_NS1_11comp_targetILNS1_3genE10ELNS1_11target_archE1201ELNS1_3gpuE5ELNS1_3repE0EEENS1_48merge_mergepath_partition_config_static_selectorELNS0_4arch9wavefront6targetE1EEEvSL_
	.globl	_ZN7rocprim17ROCPRIM_400000_NS6detail17trampoline_kernelINS0_14default_configENS1_38merge_sort_block_merge_config_selectorIjNS0_10empty_typeEEEZZNS1_27merge_sort_block_merge_implIS3_N6thrust23THRUST_200600_302600_NS6detail15normal_iteratorINS9_10device_ptrIjEEEEPS5_jNS1_19radix_merge_compareILb0ELb0EjNS0_19identity_decomposerEEEEE10hipError_tT0_T1_T2_jT3_P12ihipStream_tbPNSt15iterator_traitsISK_E10value_typeEPNSQ_ISL_E10value_typeEPSM_NS1_7vsmem_tEENKUlT_SK_SL_SM_E_clISE_PjSF_SF_EESJ_SZ_SK_SL_SM_EUlSZ_E_NS1_11comp_targetILNS1_3genE10ELNS1_11target_archE1201ELNS1_3gpuE5ELNS1_3repE0EEENS1_48merge_mergepath_partition_config_static_selectorELNS0_4arch9wavefront6targetE1EEEvSL_
	.p2align	8
	.type	_ZN7rocprim17ROCPRIM_400000_NS6detail17trampoline_kernelINS0_14default_configENS1_38merge_sort_block_merge_config_selectorIjNS0_10empty_typeEEEZZNS1_27merge_sort_block_merge_implIS3_N6thrust23THRUST_200600_302600_NS6detail15normal_iteratorINS9_10device_ptrIjEEEEPS5_jNS1_19radix_merge_compareILb0ELb0EjNS0_19identity_decomposerEEEEE10hipError_tT0_T1_T2_jT3_P12ihipStream_tbPNSt15iterator_traitsISK_E10value_typeEPNSQ_ISL_E10value_typeEPSM_NS1_7vsmem_tEENKUlT_SK_SL_SM_E_clISE_PjSF_SF_EESJ_SZ_SK_SL_SM_EUlSZ_E_NS1_11comp_targetILNS1_3genE10ELNS1_11target_archE1201ELNS1_3gpuE5ELNS1_3repE0EEENS1_48merge_mergepath_partition_config_static_selectorELNS0_4arch9wavefront6targetE1EEEvSL_,@function
_ZN7rocprim17ROCPRIM_400000_NS6detail17trampoline_kernelINS0_14default_configENS1_38merge_sort_block_merge_config_selectorIjNS0_10empty_typeEEEZZNS1_27merge_sort_block_merge_implIS3_N6thrust23THRUST_200600_302600_NS6detail15normal_iteratorINS9_10device_ptrIjEEEEPS5_jNS1_19radix_merge_compareILb0ELb0EjNS0_19identity_decomposerEEEEE10hipError_tT0_T1_T2_jT3_P12ihipStream_tbPNSt15iterator_traitsISK_E10value_typeEPNSQ_ISL_E10value_typeEPSM_NS1_7vsmem_tEENKUlT_SK_SL_SM_E_clISE_PjSF_SF_EESJ_SZ_SK_SL_SM_EUlSZ_E_NS1_11comp_targetILNS1_3genE10ELNS1_11target_archE1201ELNS1_3gpuE5ELNS1_3repE0EEENS1_48merge_mergepath_partition_config_static_selectorELNS0_4arch9wavefront6targetE1EEEvSL_: ; @_ZN7rocprim17ROCPRIM_400000_NS6detail17trampoline_kernelINS0_14default_configENS1_38merge_sort_block_merge_config_selectorIjNS0_10empty_typeEEEZZNS1_27merge_sort_block_merge_implIS3_N6thrust23THRUST_200600_302600_NS6detail15normal_iteratorINS9_10device_ptrIjEEEEPS5_jNS1_19radix_merge_compareILb0ELb0EjNS0_19identity_decomposerEEEEE10hipError_tT0_T1_T2_jT3_P12ihipStream_tbPNSt15iterator_traitsISK_E10value_typeEPNSQ_ISL_E10value_typeEPSM_NS1_7vsmem_tEENKUlT_SK_SL_SM_E_clISE_PjSF_SF_EESJ_SZ_SK_SL_SM_EUlSZ_E_NS1_11comp_targetILNS1_3genE10ELNS1_11target_archE1201ELNS1_3gpuE5ELNS1_3repE0EEENS1_48merge_mergepath_partition_config_static_selectorELNS0_4arch9wavefront6targetE1EEEvSL_
; %bb.0:
	.section	.rodata,"a",@progbits
	.p2align	6, 0x0
	.amdhsa_kernel _ZN7rocprim17ROCPRIM_400000_NS6detail17trampoline_kernelINS0_14default_configENS1_38merge_sort_block_merge_config_selectorIjNS0_10empty_typeEEEZZNS1_27merge_sort_block_merge_implIS3_N6thrust23THRUST_200600_302600_NS6detail15normal_iteratorINS9_10device_ptrIjEEEEPS5_jNS1_19radix_merge_compareILb0ELb0EjNS0_19identity_decomposerEEEEE10hipError_tT0_T1_T2_jT3_P12ihipStream_tbPNSt15iterator_traitsISK_E10value_typeEPNSQ_ISL_E10value_typeEPSM_NS1_7vsmem_tEENKUlT_SK_SL_SM_E_clISE_PjSF_SF_EESJ_SZ_SK_SL_SM_EUlSZ_E_NS1_11comp_targetILNS1_3genE10ELNS1_11target_archE1201ELNS1_3gpuE5ELNS1_3repE0EEENS1_48merge_mergepath_partition_config_static_selectorELNS0_4arch9wavefront6targetE1EEEvSL_
		.amdhsa_group_segment_fixed_size 0
		.amdhsa_private_segment_fixed_size 0
		.amdhsa_kernarg_size 40
		.amdhsa_user_sgpr_count 2
		.amdhsa_user_sgpr_dispatch_ptr 0
		.amdhsa_user_sgpr_queue_ptr 0
		.amdhsa_user_sgpr_kernarg_segment_ptr 1
		.amdhsa_user_sgpr_dispatch_id 0
		.amdhsa_user_sgpr_kernarg_preload_length 0
		.amdhsa_user_sgpr_kernarg_preload_offset 0
		.amdhsa_user_sgpr_private_segment_size 0
		.amdhsa_uses_dynamic_stack 0
		.amdhsa_enable_private_segment 0
		.amdhsa_system_sgpr_workgroup_id_x 1
		.amdhsa_system_sgpr_workgroup_id_y 0
		.amdhsa_system_sgpr_workgroup_id_z 0
		.amdhsa_system_sgpr_workgroup_info 0
		.amdhsa_system_vgpr_workitem_id 0
		.amdhsa_next_free_vgpr 1
		.amdhsa_next_free_sgpr 0
		.amdhsa_accum_offset 4
		.amdhsa_reserve_vcc 0
		.amdhsa_float_round_mode_32 0
		.amdhsa_float_round_mode_16_64 0
		.amdhsa_float_denorm_mode_32 3
		.amdhsa_float_denorm_mode_16_64 3
		.amdhsa_dx10_clamp 1
		.amdhsa_ieee_mode 1
		.amdhsa_fp16_overflow 0
		.amdhsa_tg_split 0
		.amdhsa_exception_fp_ieee_invalid_op 0
		.amdhsa_exception_fp_denorm_src 0
		.amdhsa_exception_fp_ieee_div_zero 0
		.amdhsa_exception_fp_ieee_overflow 0
		.amdhsa_exception_fp_ieee_underflow 0
		.amdhsa_exception_fp_ieee_inexact 0
		.amdhsa_exception_int_div_zero 0
	.end_amdhsa_kernel
	.section	.text._ZN7rocprim17ROCPRIM_400000_NS6detail17trampoline_kernelINS0_14default_configENS1_38merge_sort_block_merge_config_selectorIjNS0_10empty_typeEEEZZNS1_27merge_sort_block_merge_implIS3_N6thrust23THRUST_200600_302600_NS6detail15normal_iteratorINS9_10device_ptrIjEEEEPS5_jNS1_19radix_merge_compareILb0ELb0EjNS0_19identity_decomposerEEEEE10hipError_tT0_T1_T2_jT3_P12ihipStream_tbPNSt15iterator_traitsISK_E10value_typeEPNSQ_ISL_E10value_typeEPSM_NS1_7vsmem_tEENKUlT_SK_SL_SM_E_clISE_PjSF_SF_EESJ_SZ_SK_SL_SM_EUlSZ_E_NS1_11comp_targetILNS1_3genE10ELNS1_11target_archE1201ELNS1_3gpuE5ELNS1_3repE0EEENS1_48merge_mergepath_partition_config_static_selectorELNS0_4arch9wavefront6targetE1EEEvSL_,"axG",@progbits,_ZN7rocprim17ROCPRIM_400000_NS6detail17trampoline_kernelINS0_14default_configENS1_38merge_sort_block_merge_config_selectorIjNS0_10empty_typeEEEZZNS1_27merge_sort_block_merge_implIS3_N6thrust23THRUST_200600_302600_NS6detail15normal_iteratorINS9_10device_ptrIjEEEEPS5_jNS1_19radix_merge_compareILb0ELb0EjNS0_19identity_decomposerEEEEE10hipError_tT0_T1_T2_jT3_P12ihipStream_tbPNSt15iterator_traitsISK_E10value_typeEPNSQ_ISL_E10value_typeEPSM_NS1_7vsmem_tEENKUlT_SK_SL_SM_E_clISE_PjSF_SF_EESJ_SZ_SK_SL_SM_EUlSZ_E_NS1_11comp_targetILNS1_3genE10ELNS1_11target_archE1201ELNS1_3gpuE5ELNS1_3repE0EEENS1_48merge_mergepath_partition_config_static_selectorELNS0_4arch9wavefront6targetE1EEEvSL_,comdat
.Lfunc_end994:
	.size	_ZN7rocprim17ROCPRIM_400000_NS6detail17trampoline_kernelINS0_14default_configENS1_38merge_sort_block_merge_config_selectorIjNS0_10empty_typeEEEZZNS1_27merge_sort_block_merge_implIS3_N6thrust23THRUST_200600_302600_NS6detail15normal_iteratorINS9_10device_ptrIjEEEEPS5_jNS1_19radix_merge_compareILb0ELb0EjNS0_19identity_decomposerEEEEE10hipError_tT0_T1_T2_jT3_P12ihipStream_tbPNSt15iterator_traitsISK_E10value_typeEPNSQ_ISL_E10value_typeEPSM_NS1_7vsmem_tEENKUlT_SK_SL_SM_E_clISE_PjSF_SF_EESJ_SZ_SK_SL_SM_EUlSZ_E_NS1_11comp_targetILNS1_3genE10ELNS1_11target_archE1201ELNS1_3gpuE5ELNS1_3repE0EEENS1_48merge_mergepath_partition_config_static_selectorELNS0_4arch9wavefront6targetE1EEEvSL_, .Lfunc_end994-_ZN7rocprim17ROCPRIM_400000_NS6detail17trampoline_kernelINS0_14default_configENS1_38merge_sort_block_merge_config_selectorIjNS0_10empty_typeEEEZZNS1_27merge_sort_block_merge_implIS3_N6thrust23THRUST_200600_302600_NS6detail15normal_iteratorINS9_10device_ptrIjEEEEPS5_jNS1_19radix_merge_compareILb0ELb0EjNS0_19identity_decomposerEEEEE10hipError_tT0_T1_T2_jT3_P12ihipStream_tbPNSt15iterator_traitsISK_E10value_typeEPNSQ_ISL_E10value_typeEPSM_NS1_7vsmem_tEENKUlT_SK_SL_SM_E_clISE_PjSF_SF_EESJ_SZ_SK_SL_SM_EUlSZ_E_NS1_11comp_targetILNS1_3genE10ELNS1_11target_archE1201ELNS1_3gpuE5ELNS1_3repE0EEENS1_48merge_mergepath_partition_config_static_selectorELNS0_4arch9wavefront6targetE1EEEvSL_
                                        ; -- End function
	.section	.AMDGPU.csdata,"",@progbits
; Kernel info:
; codeLenInByte = 0
; NumSgprs: 6
; NumVgprs: 0
; NumAgprs: 0
; TotalNumVgprs: 0
; ScratchSize: 0
; MemoryBound: 0
; FloatMode: 240
; IeeeMode: 1
; LDSByteSize: 0 bytes/workgroup (compile time only)
; SGPRBlocks: 0
; VGPRBlocks: 0
; NumSGPRsForWavesPerEU: 6
; NumVGPRsForWavesPerEU: 1
; AccumOffset: 4
; Occupancy: 8
; WaveLimiterHint : 0
; COMPUTE_PGM_RSRC2:SCRATCH_EN: 0
; COMPUTE_PGM_RSRC2:USER_SGPR: 2
; COMPUTE_PGM_RSRC2:TRAP_HANDLER: 0
; COMPUTE_PGM_RSRC2:TGID_X_EN: 1
; COMPUTE_PGM_RSRC2:TGID_Y_EN: 0
; COMPUTE_PGM_RSRC2:TGID_Z_EN: 0
; COMPUTE_PGM_RSRC2:TIDIG_COMP_CNT: 0
; COMPUTE_PGM_RSRC3_GFX90A:ACCUM_OFFSET: 0
; COMPUTE_PGM_RSRC3_GFX90A:TG_SPLIT: 0
	.section	.text._ZN7rocprim17ROCPRIM_400000_NS6detail17trampoline_kernelINS0_14default_configENS1_38merge_sort_block_merge_config_selectorIjNS0_10empty_typeEEEZZNS1_27merge_sort_block_merge_implIS3_N6thrust23THRUST_200600_302600_NS6detail15normal_iteratorINS9_10device_ptrIjEEEEPS5_jNS1_19radix_merge_compareILb0ELb0EjNS0_19identity_decomposerEEEEE10hipError_tT0_T1_T2_jT3_P12ihipStream_tbPNSt15iterator_traitsISK_E10value_typeEPNSQ_ISL_E10value_typeEPSM_NS1_7vsmem_tEENKUlT_SK_SL_SM_E_clISE_PjSF_SF_EESJ_SZ_SK_SL_SM_EUlSZ_E_NS1_11comp_targetILNS1_3genE5ELNS1_11target_archE942ELNS1_3gpuE9ELNS1_3repE0EEENS1_48merge_mergepath_partition_config_static_selectorELNS0_4arch9wavefront6targetE1EEEvSL_,"axG",@progbits,_ZN7rocprim17ROCPRIM_400000_NS6detail17trampoline_kernelINS0_14default_configENS1_38merge_sort_block_merge_config_selectorIjNS0_10empty_typeEEEZZNS1_27merge_sort_block_merge_implIS3_N6thrust23THRUST_200600_302600_NS6detail15normal_iteratorINS9_10device_ptrIjEEEEPS5_jNS1_19radix_merge_compareILb0ELb0EjNS0_19identity_decomposerEEEEE10hipError_tT0_T1_T2_jT3_P12ihipStream_tbPNSt15iterator_traitsISK_E10value_typeEPNSQ_ISL_E10value_typeEPSM_NS1_7vsmem_tEENKUlT_SK_SL_SM_E_clISE_PjSF_SF_EESJ_SZ_SK_SL_SM_EUlSZ_E_NS1_11comp_targetILNS1_3genE5ELNS1_11target_archE942ELNS1_3gpuE9ELNS1_3repE0EEENS1_48merge_mergepath_partition_config_static_selectorELNS0_4arch9wavefront6targetE1EEEvSL_,comdat
	.protected	_ZN7rocprim17ROCPRIM_400000_NS6detail17trampoline_kernelINS0_14default_configENS1_38merge_sort_block_merge_config_selectorIjNS0_10empty_typeEEEZZNS1_27merge_sort_block_merge_implIS3_N6thrust23THRUST_200600_302600_NS6detail15normal_iteratorINS9_10device_ptrIjEEEEPS5_jNS1_19radix_merge_compareILb0ELb0EjNS0_19identity_decomposerEEEEE10hipError_tT0_T1_T2_jT3_P12ihipStream_tbPNSt15iterator_traitsISK_E10value_typeEPNSQ_ISL_E10value_typeEPSM_NS1_7vsmem_tEENKUlT_SK_SL_SM_E_clISE_PjSF_SF_EESJ_SZ_SK_SL_SM_EUlSZ_E_NS1_11comp_targetILNS1_3genE5ELNS1_11target_archE942ELNS1_3gpuE9ELNS1_3repE0EEENS1_48merge_mergepath_partition_config_static_selectorELNS0_4arch9wavefront6targetE1EEEvSL_ ; -- Begin function _ZN7rocprim17ROCPRIM_400000_NS6detail17trampoline_kernelINS0_14default_configENS1_38merge_sort_block_merge_config_selectorIjNS0_10empty_typeEEEZZNS1_27merge_sort_block_merge_implIS3_N6thrust23THRUST_200600_302600_NS6detail15normal_iteratorINS9_10device_ptrIjEEEEPS5_jNS1_19radix_merge_compareILb0ELb0EjNS0_19identity_decomposerEEEEE10hipError_tT0_T1_T2_jT3_P12ihipStream_tbPNSt15iterator_traitsISK_E10value_typeEPNSQ_ISL_E10value_typeEPSM_NS1_7vsmem_tEENKUlT_SK_SL_SM_E_clISE_PjSF_SF_EESJ_SZ_SK_SL_SM_EUlSZ_E_NS1_11comp_targetILNS1_3genE5ELNS1_11target_archE942ELNS1_3gpuE9ELNS1_3repE0EEENS1_48merge_mergepath_partition_config_static_selectorELNS0_4arch9wavefront6targetE1EEEvSL_
	.globl	_ZN7rocprim17ROCPRIM_400000_NS6detail17trampoline_kernelINS0_14default_configENS1_38merge_sort_block_merge_config_selectorIjNS0_10empty_typeEEEZZNS1_27merge_sort_block_merge_implIS3_N6thrust23THRUST_200600_302600_NS6detail15normal_iteratorINS9_10device_ptrIjEEEEPS5_jNS1_19radix_merge_compareILb0ELb0EjNS0_19identity_decomposerEEEEE10hipError_tT0_T1_T2_jT3_P12ihipStream_tbPNSt15iterator_traitsISK_E10value_typeEPNSQ_ISL_E10value_typeEPSM_NS1_7vsmem_tEENKUlT_SK_SL_SM_E_clISE_PjSF_SF_EESJ_SZ_SK_SL_SM_EUlSZ_E_NS1_11comp_targetILNS1_3genE5ELNS1_11target_archE942ELNS1_3gpuE9ELNS1_3repE0EEENS1_48merge_mergepath_partition_config_static_selectorELNS0_4arch9wavefront6targetE1EEEvSL_
	.p2align	8
	.type	_ZN7rocprim17ROCPRIM_400000_NS6detail17trampoline_kernelINS0_14default_configENS1_38merge_sort_block_merge_config_selectorIjNS0_10empty_typeEEEZZNS1_27merge_sort_block_merge_implIS3_N6thrust23THRUST_200600_302600_NS6detail15normal_iteratorINS9_10device_ptrIjEEEEPS5_jNS1_19radix_merge_compareILb0ELb0EjNS0_19identity_decomposerEEEEE10hipError_tT0_T1_T2_jT3_P12ihipStream_tbPNSt15iterator_traitsISK_E10value_typeEPNSQ_ISL_E10value_typeEPSM_NS1_7vsmem_tEENKUlT_SK_SL_SM_E_clISE_PjSF_SF_EESJ_SZ_SK_SL_SM_EUlSZ_E_NS1_11comp_targetILNS1_3genE5ELNS1_11target_archE942ELNS1_3gpuE9ELNS1_3repE0EEENS1_48merge_mergepath_partition_config_static_selectorELNS0_4arch9wavefront6targetE1EEEvSL_,@function
_ZN7rocprim17ROCPRIM_400000_NS6detail17trampoline_kernelINS0_14default_configENS1_38merge_sort_block_merge_config_selectorIjNS0_10empty_typeEEEZZNS1_27merge_sort_block_merge_implIS3_N6thrust23THRUST_200600_302600_NS6detail15normal_iteratorINS9_10device_ptrIjEEEEPS5_jNS1_19radix_merge_compareILb0ELb0EjNS0_19identity_decomposerEEEEE10hipError_tT0_T1_T2_jT3_P12ihipStream_tbPNSt15iterator_traitsISK_E10value_typeEPNSQ_ISL_E10value_typeEPSM_NS1_7vsmem_tEENKUlT_SK_SL_SM_E_clISE_PjSF_SF_EESJ_SZ_SK_SL_SM_EUlSZ_E_NS1_11comp_targetILNS1_3genE5ELNS1_11target_archE942ELNS1_3gpuE9ELNS1_3repE0EEENS1_48merge_mergepath_partition_config_static_selectorELNS0_4arch9wavefront6targetE1EEEvSL_: ; @_ZN7rocprim17ROCPRIM_400000_NS6detail17trampoline_kernelINS0_14default_configENS1_38merge_sort_block_merge_config_selectorIjNS0_10empty_typeEEEZZNS1_27merge_sort_block_merge_implIS3_N6thrust23THRUST_200600_302600_NS6detail15normal_iteratorINS9_10device_ptrIjEEEEPS5_jNS1_19radix_merge_compareILb0ELb0EjNS0_19identity_decomposerEEEEE10hipError_tT0_T1_T2_jT3_P12ihipStream_tbPNSt15iterator_traitsISK_E10value_typeEPNSQ_ISL_E10value_typeEPSM_NS1_7vsmem_tEENKUlT_SK_SL_SM_E_clISE_PjSF_SF_EESJ_SZ_SK_SL_SM_EUlSZ_E_NS1_11comp_targetILNS1_3genE5ELNS1_11target_archE942ELNS1_3gpuE9ELNS1_3repE0EEENS1_48merge_mergepath_partition_config_static_selectorELNS0_4arch9wavefront6targetE1EEEvSL_
; %bb.0:
	s_load_dword s3, s[0:1], 0x0
	v_lshl_or_b32 v0, s2, 7, v0
	s_waitcnt lgkmcnt(0)
	v_cmp_gt_u32_e32 vcc, s3, v0
	s_and_saveexec_b64 s[2:3], vcc
	s_cbranch_execz .LBB995_6
; %bb.1:
	s_load_dwordx2 s[4:5], s[0:1], 0x4
	s_load_dwordx2 s[2:3], s[0:1], 0x20
	s_waitcnt lgkmcnt(0)
	s_lshr_b32 s6, s4, 9
	s_and_b32 s6, s6, 0x7ffffe
	s_add_i32 s7, s6, -1
	s_sub_i32 s6, 0, s6
	v_and_b32_e32 v1, s6, v0
	v_lshlrev_b32_e32 v1, 10, v1
	v_min_u32_e32 v2, s5, v1
	v_add_u32_e32 v1, s4, v1
	v_min_u32_e32 v4, s5, v1
	v_add_u32_e32 v1, s4, v4
	v_and_b32_e32 v3, s7, v0
	v_min_u32_e32 v1, s5, v1
	v_sub_u32_e32 v5, v1, v2
	v_lshlrev_b32_e32 v3, 10, v3
	v_min_u32_e32 v10, v5, v3
	v_sub_u32_e32 v3, v4, v2
	v_sub_u32_e32 v1, v1, v4
	v_sub_u32_e64 v1, v10, v1 clamp
	v_min_u32_e32 v11, v10, v3
	v_cmp_lt_u32_e32 vcc, v1, v11
	s_and_saveexec_b64 s[4:5], vcc
	s_cbranch_execz .LBB995_5
; %bb.2:
	s_load_dwordx2 s[0:1], s[0:1], 0x10
	v_mov_b32_e32 v5, 0
	v_mov_b32_e32 v3, v5
	s_waitcnt lgkmcnt(0)
	v_lshl_add_u64 v[6:7], v[2:3], 2, s[0:1]
	v_lshl_add_u64 v[8:9], v[4:5], 2, s[0:1]
	s_mov_b64 s[0:1], 0
.LBB995_3:                              ; =>This Inner Loop Header: Depth=1
	v_add_u32_e32 v3, v11, v1
	v_lshrrev_b32_e32 v4, 1, v3
	v_mov_b32_e32 v13, v5
	v_xad_u32 v12, v4, -1, v10
	v_lshl_add_u64 v[14:15], v[4:5], 2, v[6:7]
	v_lshl_add_u64 v[12:13], v[12:13], 2, v[8:9]
	flat_load_dword v3, v[14:15]
	flat_load_dword v16, v[12:13]
	v_add_u32_e32 v12, 1, v4
	s_waitcnt vmcnt(0) lgkmcnt(0)
	v_cmp_gt_u32_e32 vcc, v3, v16
	s_nop 1
	v_cndmask_b32_e32 v11, v11, v4, vcc
	v_cndmask_b32_e32 v1, v12, v1, vcc
	v_cmp_ge_u32_e32 vcc, v1, v11
	s_or_b64 s[0:1], vcc, s[0:1]
	s_andn2_b64 exec, exec, s[0:1]
	s_cbranch_execnz .LBB995_3
; %bb.4:
	s_or_b64 exec, exec, s[0:1]
.LBB995_5:
	s_or_b64 exec, exec, s[4:5]
	v_add_u32_e32 v2, v1, v2
	v_mov_b32_e32 v1, 0
	v_lshl_add_u64 v[0:1], v[0:1], 2, s[2:3]
	global_store_dword v[0:1], v2, off
.LBB995_6:
	s_endpgm
	.section	.rodata,"a",@progbits
	.p2align	6, 0x0
	.amdhsa_kernel _ZN7rocprim17ROCPRIM_400000_NS6detail17trampoline_kernelINS0_14default_configENS1_38merge_sort_block_merge_config_selectorIjNS0_10empty_typeEEEZZNS1_27merge_sort_block_merge_implIS3_N6thrust23THRUST_200600_302600_NS6detail15normal_iteratorINS9_10device_ptrIjEEEEPS5_jNS1_19radix_merge_compareILb0ELb0EjNS0_19identity_decomposerEEEEE10hipError_tT0_T1_T2_jT3_P12ihipStream_tbPNSt15iterator_traitsISK_E10value_typeEPNSQ_ISL_E10value_typeEPSM_NS1_7vsmem_tEENKUlT_SK_SL_SM_E_clISE_PjSF_SF_EESJ_SZ_SK_SL_SM_EUlSZ_E_NS1_11comp_targetILNS1_3genE5ELNS1_11target_archE942ELNS1_3gpuE9ELNS1_3repE0EEENS1_48merge_mergepath_partition_config_static_selectorELNS0_4arch9wavefront6targetE1EEEvSL_
		.amdhsa_group_segment_fixed_size 0
		.amdhsa_private_segment_fixed_size 0
		.amdhsa_kernarg_size 40
		.amdhsa_user_sgpr_count 2
		.amdhsa_user_sgpr_dispatch_ptr 0
		.amdhsa_user_sgpr_queue_ptr 0
		.amdhsa_user_sgpr_kernarg_segment_ptr 1
		.amdhsa_user_sgpr_dispatch_id 0
		.amdhsa_user_sgpr_kernarg_preload_length 0
		.amdhsa_user_sgpr_kernarg_preload_offset 0
		.amdhsa_user_sgpr_private_segment_size 0
		.amdhsa_uses_dynamic_stack 0
		.amdhsa_enable_private_segment 0
		.amdhsa_system_sgpr_workgroup_id_x 1
		.amdhsa_system_sgpr_workgroup_id_y 0
		.amdhsa_system_sgpr_workgroup_id_z 0
		.amdhsa_system_sgpr_workgroup_info 0
		.amdhsa_system_vgpr_workitem_id 0
		.amdhsa_next_free_vgpr 17
		.amdhsa_next_free_sgpr 8
		.amdhsa_accum_offset 20
		.amdhsa_reserve_vcc 1
		.amdhsa_float_round_mode_32 0
		.amdhsa_float_round_mode_16_64 0
		.amdhsa_float_denorm_mode_32 3
		.amdhsa_float_denorm_mode_16_64 3
		.amdhsa_dx10_clamp 1
		.amdhsa_ieee_mode 1
		.amdhsa_fp16_overflow 0
		.amdhsa_tg_split 0
		.amdhsa_exception_fp_ieee_invalid_op 0
		.amdhsa_exception_fp_denorm_src 0
		.amdhsa_exception_fp_ieee_div_zero 0
		.amdhsa_exception_fp_ieee_overflow 0
		.amdhsa_exception_fp_ieee_underflow 0
		.amdhsa_exception_fp_ieee_inexact 0
		.amdhsa_exception_int_div_zero 0
	.end_amdhsa_kernel
	.section	.text._ZN7rocprim17ROCPRIM_400000_NS6detail17trampoline_kernelINS0_14default_configENS1_38merge_sort_block_merge_config_selectorIjNS0_10empty_typeEEEZZNS1_27merge_sort_block_merge_implIS3_N6thrust23THRUST_200600_302600_NS6detail15normal_iteratorINS9_10device_ptrIjEEEEPS5_jNS1_19radix_merge_compareILb0ELb0EjNS0_19identity_decomposerEEEEE10hipError_tT0_T1_T2_jT3_P12ihipStream_tbPNSt15iterator_traitsISK_E10value_typeEPNSQ_ISL_E10value_typeEPSM_NS1_7vsmem_tEENKUlT_SK_SL_SM_E_clISE_PjSF_SF_EESJ_SZ_SK_SL_SM_EUlSZ_E_NS1_11comp_targetILNS1_3genE5ELNS1_11target_archE942ELNS1_3gpuE9ELNS1_3repE0EEENS1_48merge_mergepath_partition_config_static_selectorELNS0_4arch9wavefront6targetE1EEEvSL_,"axG",@progbits,_ZN7rocprim17ROCPRIM_400000_NS6detail17trampoline_kernelINS0_14default_configENS1_38merge_sort_block_merge_config_selectorIjNS0_10empty_typeEEEZZNS1_27merge_sort_block_merge_implIS3_N6thrust23THRUST_200600_302600_NS6detail15normal_iteratorINS9_10device_ptrIjEEEEPS5_jNS1_19radix_merge_compareILb0ELb0EjNS0_19identity_decomposerEEEEE10hipError_tT0_T1_T2_jT3_P12ihipStream_tbPNSt15iterator_traitsISK_E10value_typeEPNSQ_ISL_E10value_typeEPSM_NS1_7vsmem_tEENKUlT_SK_SL_SM_E_clISE_PjSF_SF_EESJ_SZ_SK_SL_SM_EUlSZ_E_NS1_11comp_targetILNS1_3genE5ELNS1_11target_archE942ELNS1_3gpuE9ELNS1_3repE0EEENS1_48merge_mergepath_partition_config_static_selectorELNS0_4arch9wavefront6targetE1EEEvSL_,comdat
.Lfunc_end995:
	.size	_ZN7rocprim17ROCPRIM_400000_NS6detail17trampoline_kernelINS0_14default_configENS1_38merge_sort_block_merge_config_selectorIjNS0_10empty_typeEEEZZNS1_27merge_sort_block_merge_implIS3_N6thrust23THRUST_200600_302600_NS6detail15normal_iteratorINS9_10device_ptrIjEEEEPS5_jNS1_19radix_merge_compareILb0ELb0EjNS0_19identity_decomposerEEEEE10hipError_tT0_T1_T2_jT3_P12ihipStream_tbPNSt15iterator_traitsISK_E10value_typeEPNSQ_ISL_E10value_typeEPSM_NS1_7vsmem_tEENKUlT_SK_SL_SM_E_clISE_PjSF_SF_EESJ_SZ_SK_SL_SM_EUlSZ_E_NS1_11comp_targetILNS1_3genE5ELNS1_11target_archE942ELNS1_3gpuE9ELNS1_3repE0EEENS1_48merge_mergepath_partition_config_static_selectorELNS0_4arch9wavefront6targetE1EEEvSL_, .Lfunc_end995-_ZN7rocprim17ROCPRIM_400000_NS6detail17trampoline_kernelINS0_14default_configENS1_38merge_sort_block_merge_config_selectorIjNS0_10empty_typeEEEZZNS1_27merge_sort_block_merge_implIS3_N6thrust23THRUST_200600_302600_NS6detail15normal_iteratorINS9_10device_ptrIjEEEEPS5_jNS1_19radix_merge_compareILb0ELb0EjNS0_19identity_decomposerEEEEE10hipError_tT0_T1_T2_jT3_P12ihipStream_tbPNSt15iterator_traitsISK_E10value_typeEPNSQ_ISL_E10value_typeEPSM_NS1_7vsmem_tEENKUlT_SK_SL_SM_E_clISE_PjSF_SF_EESJ_SZ_SK_SL_SM_EUlSZ_E_NS1_11comp_targetILNS1_3genE5ELNS1_11target_archE942ELNS1_3gpuE9ELNS1_3repE0EEENS1_48merge_mergepath_partition_config_static_selectorELNS0_4arch9wavefront6targetE1EEEvSL_
                                        ; -- End function
	.section	.AMDGPU.csdata,"",@progbits
; Kernel info:
; codeLenInByte = 316
; NumSgprs: 14
; NumVgprs: 17
; NumAgprs: 0
; TotalNumVgprs: 17
; ScratchSize: 0
; MemoryBound: 0
; FloatMode: 240
; IeeeMode: 1
; LDSByteSize: 0 bytes/workgroup (compile time only)
; SGPRBlocks: 1
; VGPRBlocks: 2
; NumSGPRsForWavesPerEU: 14
; NumVGPRsForWavesPerEU: 17
; AccumOffset: 20
; Occupancy: 8
; WaveLimiterHint : 0
; COMPUTE_PGM_RSRC2:SCRATCH_EN: 0
; COMPUTE_PGM_RSRC2:USER_SGPR: 2
; COMPUTE_PGM_RSRC2:TRAP_HANDLER: 0
; COMPUTE_PGM_RSRC2:TGID_X_EN: 1
; COMPUTE_PGM_RSRC2:TGID_Y_EN: 0
; COMPUTE_PGM_RSRC2:TGID_Z_EN: 0
; COMPUTE_PGM_RSRC2:TIDIG_COMP_CNT: 0
; COMPUTE_PGM_RSRC3_GFX90A:ACCUM_OFFSET: 4
; COMPUTE_PGM_RSRC3_GFX90A:TG_SPLIT: 0
	.section	.text._ZN7rocprim17ROCPRIM_400000_NS6detail17trampoline_kernelINS0_14default_configENS1_38merge_sort_block_merge_config_selectorIjNS0_10empty_typeEEEZZNS1_27merge_sort_block_merge_implIS3_N6thrust23THRUST_200600_302600_NS6detail15normal_iteratorINS9_10device_ptrIjEEEEPS5_jNS1_19radix_merge_compareILb0ELb0EjNS0_19identity_decomposerEEEEE10hipError_tT0_T1_T2_jT3_P12ihipStream_tbPNSt15iterator_traitsISK_E10value_typeEPNSQ_ISL_E10value_typeEPSM_NS1_7vsmem_tEENKUlT_SK_SL_SM_E_clISE_PjSF_SF_EESJ_SZ_SK_SL_SM_EUlSZ_E_NS1_11comp_targetILNS1_3genE4ELNS1_11target_archE910ELNS1_3gpuE8ELNS1_3repE0EEENS1_48merge_mergepath_partition_config_static_selectorELNS0_4arch9wavefront6targetE1EEEvSL_,"axG",@progbits,_ZN7rocprim17ROCPRIM_400000_NS6detail17trampoline_kernelINS0_14default_configENS1_38merge_sort_block_merge_config_selectorIjNS0_10empty_typeEEEZZNS1_27merge_sort_block_merge_implIS3_N6thrust23THRUST_200600_302600_NS6detail15normal_iteratorINS9_10device_ptrIjEEEEPS5_jNS1_19radix_merge_compareILb0ELb0EjNS0_19identity_decomposerEEEEE10hipError_tT0_T1_T2_jT3_P12ihipStream_tbPNSt15iterator_traitsISK_E10value_typeEPNSQ_ISL_E10value_typeEPSM_NS1_7vsmem_tEENKUlT_SK_SL_SM_E_clISE_PjSF_SF_EESJ_SZ_SK_SL_SM_EUlSZ_E_NS1_11comp_targetILNS1_3genE4ELNS1_11target_archE910ELNS1_3gpuE8ELNS1_3repE0EEENS1_48merge_mergepath_partition_config_static_selectorELNS0_4arch9wavefront6targetE1EEEvSL_,comdat
	.protected	_ZN7rocprim17ROCPRIM_400000_NS6detail17trampoline_kernelINS0_14default_configENS1_38merge_sort_block_merge_config_selectorIjNS0_10empty_typeEEEZZNS1_27merge_sort_block_merge_implIS3_N6thrust23THRUST_200600_302600_NS6detail15normal_iteratorINS9_10device_ptrIjEEEEPS5_jNS1_19radix_merge_compareILb0ELb0EjNS0_19identity_decomposerEEEEE10hipError_tT0_T1_T2_jT3_P12ihipStream_tbPNSt15iterator_traitsISK_E10value_typeEPNSQ_ISL_E10value_typeEPSM_NS1_7vsmem_tEENKUlT_SK_SL_SM_E_clISE_PjSF_SF_EESJ_SZ_SK_SL_SM_EUlSZ_E_NS1_11comp_targetILNS1_3genE4ELNS1_11target_archE910ELNS1_3gpuE8ELNS1_3repE0EEENS1_48merge_mergepath_partition_config_static_selectorELNS0_4arch9wavefront6targetE1EEEvSL_ ; -- Begin function _ZN7rocprim17ROCPRIM_400000_NS6detail17trampoline_kernelINS0_14default_configENS1_38merge_sort_block_merge_config_selectorIjNS0_10empty_typeEEEZZNS1_27merge_sort_block_merge_implIS3_N6thrust23THRUST_200600_302600_NS6detail15normal_iteratorINS9_10device_ptrIjEEEEPS5_jNS1_19radix_merge_compareILb0ELb0EjNS0_19identity_decomposerEEEEE10hipError_tT0_T1_T2_jT3_P12ihipStream_tbPNSt15iterator_traitsISK_E10value_typeEPNSQ_ISL_E10value_typeEPSM_NS1_7vsmem_tEENKUlT_SK_SL_SM_E_clISE_PjSF_SF_EESJ_SZ_SK_SL_SM_EUlSZ_E_NS1_11comp_targetILNS1_3genE4ELNS1_11target_archE910ELNS1_3gpuE8ELNS1_3repE0EEENS1_48merge_mergepath_partition_config_static_selectorELNS0_4arch9wavefront6targetE1EEEvSL_
	.globl	_ZN7rocprim17ROCPRIM_400000_NS6detail17trampoline_kernelINS0_14default_configENS1_38merge_sort_block_merge_config_selectorIjNS0_10empty_typeEEEZZNS1_27merge_sort_block_merge_implIS3_N6thrust23THRUST_200600_302600_NS6detail15normal_iteratorINS9_10device_ptrIjEEEEPS5_jNS1_19radix_merge_compareILb0ELb0EjNS0_19identity_decomposerEEEEE10hipError_tT0_T1_T2_jT3_P12ihipStream_tbPNSt15iterator_traitsISK_E10value_typeEPNSQ_ISL_E10value_typeEPSM_NS1_7vsmem_tEENKUlT_SK_SL_SM_E_clISE_PjSF_SF_EESJ_SZ_SK_SL_SM_EUlSZ_E_NS1_11comp_targetILNS1_3genE4ELNS1_11target_archE910ELNS1_3gpuE8ELNS1_3repE0EEENS1_48merge_mergepath_partition_config_static_selectorELNS0_4arch9wavefront6targetE1EEEvSL_
	.p2align	8
	.type	_ZN7rocprim17ROCPRIM_400000_NS6detail17trampoline_kernelINS0_14default_configENS1_38merge_sort_block_merge_config_selectorIjNS0_10empty_typeEEEZZNS1_27merge_sort_block_merge_implIS3_N6thrust23THRUST_200600_302600_NS6detail15normal_iteratorINS9_10device_ptrIjEEEEPS5_jNS1_19radix_merge_compareILb0ELb0EjNS0_19identity_decomposerEEEEE10hipError_tT0_T1_T2_jT3_P12ihipStream_tbPNSt15iterator_traitsISK_E10value_typeEPNSQ_ISL_E10value_typeEPSM_NS1_7vsmem_tEENKUlT_SK_SL_SM_E_clISE_PjSF_SF_EESJ_SZ_SK_SL_SM_EUlSZ_E_NS1_11comp_targetILNS1_3genE4ELNS1_11target_archE910ELNS1_3gpuE8ELNS1_3repE0EEENS1_48merge_mergepath_partition_config_static_selectorELNS0_4arch9wavefront6targetE1EEEvSL_,@function
_ZN7rocprim17ROCPRIM_400000_NS6detail17trampoline_kernelINS0_14default_configENS1_38merge_sort_block_merge_config_selectorIjNS0_10empty_typeEEEZZNS1_27merge_sort_block_merge_implIS3_N6thrust23THRUST_200600_302600_NS6detail15normal_iteratorINS9_10device_ptrIjEEEEPS5_jNS1_19radix_merge_compareILb0ELb0EjNS0_19identity_decomposerEEEEE10hipError_tT0_T1_T2_jT3_P12ihipStream_tbPNSt15iterator_traitsISK_E10value_typeEPNSQ_ISL_E10value_typeEPSM_NS1_7vsmem_tEENKUlT_SK_SL_SM_E_clISE_PjSF_SF_EESJ_SZ_SK_SL_SM_EUlSZ_E_NS1_11comp_targetILNS1_3genE4ELNS1_11target_archE910ELNS1_3gpuE8ELNS1_3repE0EEENS1_48merge_mergepath_partition_config_static_selectorELNS0_4arch9wavefront6targetE1EEEvSL_: ; @_ZN7rocprim17ROCPRIM_400000_NS6detail17trampoline_kernelINS0_14default_configENS1_38merge_sort_block_merge_config_selectorIjNS0_10empty_typeEEEZZNS1_27merge_sort_block_merge_implIS3_N6thrust23THRUST_200600_302600_NS6detail15normal_iteratorINS9_10device_ptrIjEEEEPS5_jNS1_19radix_merge_compareILb0ELb0EjNS0_19identity_decomposerEEEEE10hipError_tT0_T1_T2_jT3_P12ihipStream_tbPNSt15iterator_traitsISK_E10value_typeEPNSQ_ISL_E10value_typeEPSM_NS1_7vsmem_tEENKUlT_SK_SL_SM_E_clISE_PjSF_SF_EESJ_SZ_SK_SL_SM_EUlSZ_E_NS1_11comp_targetILNS1_3genE4ELNS1_11target_archE910ELNS1_3gpuE8ELNS1_3repE0EEENS1_48merge_mergepath_partition_config_static_selectorELNS0_4arch9wavefront6targetE1EEEvSL_
; %bb.0:
	.section	.rodata,"a",@progbits
	.p2align	6, 0x0
	.amdhsa_kernel _ZN7rocprim17ROCPRIM_400000_NS6detail17trampoline_kernelINS0_14default_configENS1_38merge_sort_block_merge_config_selectorIjNS0_10empty_typeEEEZZNS1_27merge_sort_block_merge_implIS3_N6thrust23THRUST_200600_302600_NS6detail15normal_iteratorINS9_10device_ptrIjEEEEPS5_jNS1_19radix_merge_compareILb0ELb0EjNS0_19identity_decomposerEEEEE10hipError_tT0_T1_T2_jT3_P12ihipStream_tbPNSt15iterator_traitsISK_E10value_typeEPNSQ_ISL_E10value_typeEPSM_NS1_7vsmem_tEENKUlT_SK_SL_SM_E_clISE_PjSF_SF_EESJ_SZ_SK_SL_SM_EUlSZ_E_NS1_11comp_targetILNS1_3genE4ELNS1_11target_archE910ELNS1_3gpuE8ELNS1_3repE0EEENS1_48merge_mergepath_partition_config_static_selectorELNS0_4arch9wavefront6targetE1EEEvSL_
		.amdhsa_group_segment_fixed_size 0
		.amdhsa_private_segment_fixed_size 0
		.amdhsa_kernarg_size 40
		.amdhsa_user_sgpr_count 2
		.amdhsa_user_sgpr_dispatch_ptr 0
		.amdhsa_user_sgpr_queue_ptr 0
		.amdhsa_user_sgpr_kernarg_segment_ptr 1
		.amdhsa_user_sgpr_dispatch_id 0
		.amdhsa_user_sgpr_kernarg_preload_length 0
		.amdhsa_user_sgpr_kernarg_preload_offset 0
		.amdhsa_user_sgpr_private_segment_size 0
		.amdhsa_uses_dynamic_stack 0
		.amdhsa_enable_private_segment 0
		.amdhsa_system_sgpr_workgroup_id_x 1
		.amdhsa_system_sgpr_workgroup_id_y 0
		.amdhsa_system_sgpr_workgroup_id_z 0
		.amdhsa_system_sgpr_workgroup_info 0
		.amdhsa_system_vgpr_workitem_id 0
		.amdhsa_next_free_vgpr 1
		.amdhsa_next_free_sgpr 0
		.amdhsa_accum_offset 4
		.amdhsa_reserve_vcc 0
		.amdhsa_float_round_mode_32 0
		.amdhsa_float_round_mode_16_64 0
		.amdhsa_float_denorm_mode_32 3
		.amdhsa_float_denorm_mode_16_64 3
		.amdhsa_dx10_clamp 1
		.amdhsa_ieee_mode 1
		.amdhsa_fp16_overflow 0
		.amdhsa_tg_split 0
		.amdhsa_exception_fp_ieee_invalid_op 0
		.amdhsa_exception_fp_denorm_src 0
		.amdhsa_exception_fp_ieee_div_zero 0
		.amdhsa_exception_fp_ieee_overflow 0
		.amdhsa_exception_fp_ieee_underflow 0
		.amdhsa_exception_fp_ieee_inexact 0
		.amdhsa_exception_int_div_zero 0
	.end_amdhsa_kernel
	.section	.text._ZN7rocprim17ROCPRIM_400000_NS6detail17trampoline_kernelINS0_14default_configENS1_38merge_sort_block_merge_config_selectorIjNS0_10empty_typeEEEZZNS1_27merge_sort_block_merge_implIS3_N6thrust23THRUST_200600_302600_NS6detail15normal_iteratorINS9_10device_ptrIjEEEEPS5_jNS1_19radix_merge_compareILb0ELb0EjNS0_19identity_decomposerEEEEE10hipError_tT0_T1_T2_jT3_P12ihipStream_tbPNSt15iterator_traitsISK_E10value_typeEPNSQ_ISL_E10value_typeEPSM_NS1_7vsmem_tEENKUlT_SK_SL_SM_E_clISE_PjSF_SF_EESJ_SZ_SK_SL_SM_EUlSZ_E_NS1_11comp_targetILNS1_3genE4ELNS1_11target_archE910ELNS1_3gpuE8ELNS1_3repE0EEENS1_48merge_mergepath_partition_config_static_selectorELNS0_4arch9wavefront6targetE1EEEvSL_,"axG",@progbits,_ZN7rocprim17ROCPRIM_400000_NS6detail17trampoline_kernelINS0_14default_configENS1_38merge_sort_block_merge_config_selectorIjNS0_10empty_typeEEEZZNS1_27merge_sort_block_merge_implIS3_N6thrust23THRUST_200600_302600_NS6detail15normal_iteratorINS9_10device_ptrIjEEEEPS5_jNS1_19radix_merge_compareILb0ELb0EjNS0_19identity_decomposerEEEEE10hipError_tT0_T1_T2_jT3_P12ihipStream_tbPNSt15iterator_traitsISK_E10value_typeEPNSQ_ISL_E10value_typeEPSM_NS1_7vsmem_tEENKUlT_SK_SL_SM_E_clISE_PjSF_SF_EESJ_SZ_SK_SL_SM_EUlSZ_E_NS1_11comp_targetILNS1_3genE4ELNS1_11target_archE910ELNS1_3gpuE8ELNS1_3repE0EEENS1_48merge_mergepath_partition_config_static_selectorELNS0_4arch9wavefront6targetE1EEEvSL_,comdat
.Lfunc_end996:
	.size	_ZN7rocprim17ROCPRIM_400000_NS6detail17trampoline_kernelINS0_14default_configENS1_38merge_sort_block_merge_config_selectorIjNS0_10empty_typeEEEZZNS1_27merge_sort_block_merge_implIS3_N6thrust23THRUST_200600_302600_NS6detail15normal_iteratorINS9_10device_ptrIjEEEEPS5_jNS1_19radix_merge_compareILb0ELb0EjNS0_19identity_decomposerEEEEE10hipError_tT0_T1_T2_jT3_P12ihipStream_tbPNSt15iterator_traitsISK_E10value_typeEPNSQ_ISL_E10value_typeEPSM_NS1_7vsmem_tEENKUlT_SK_SL_SM_E_clISE_PjSF_SF_EESJ_SZ_SK_SL_SM_EUlSZ_E_NS1_11comp_targetILNS1_3genE4ELNS1_11target_archE910ELNS1_3gpuE8ELNS1_3repE0EEENS1_48merge_mergepath_partition_config_static_selectorELNS0_4arch9wavefront6targetE1EEEvSL_, .Lfunc_end996-_ZN7rocprim17ROCPRIM_400000_NS6detail17trampoline_kernelINS0_14default_configENS1_38merge_sort_block_merge_config_selectorIjNS0_10empty_typeEEEZZNS1_27merge_sort_block_merge_implIS3_N6thrust23THRUST_200600_302600_NS6detail15normal_iteratorINS9_10device_ptrIjEEEEPS5_jNS1_19radix_merge_compareILb0ELb0EjNS0_19identity_decomposerEEEEE10hipError_tT0_T1_T2_jT3_P12ihipStream_tbPNSt15iterator_traitsISK_E10value_typeEPNSQ_ISL_E10value_typeEPSM_NS1_7vsmem_tEENKUlT_SK_SL_SM_E_clISE_PjSF_SF_EESJ_SZ_SK_SL_SM_EUlSZ_E_NS1_11comp_targetILNS1_3genE4ELNS1_11target_archE910ELNS1_3gpuE8ELNS1_3repE0EEENS1_48merge_mergepath_partition_config_static_selectorELNS0_4arch9wavefront6targetE1EEEvSL_
                                        ; -- End function
	.section	.AMDGPU.csdata,"",@progbits
; Kernel info:
; codeLenInByte = 0
; NumSgprs: 6
; NumVgprs: 0
; NumAgprs: 0
; TotalNumVgprs: 0
; ScratchSize: 0
; MemoryBound: 0
; FloatMode: 240
; IeeeMode: 1
; LDSByteSize: 0 bytes/workgroup (compile time only)
; SGPRBlocks: 0
; VGPRBlocks: 0
; NumSGPRsForWavesPerEU: 6
; NumVGPRsForWavesPerEU: 1
; AccumOffset: 4
; Occupancy: 8
; WaveLimiterHint : 0
; COMPUTE_PGM_RSRC2:SCRATCH_EN: 0
; COMPUTE_PGM_RSRC2:USER_SGPR: 2
; COMPUTE_PGM_RSRC2:TRAP_HANDLER: 0
; COMPUTE_PGM_RSRC2:TGID_X_EN: 1
; COMPUTE_PGM_RSRC2:TGID_Y_EN: 0
; COMPUTE_PGM_RSRC2:TGID_Z_EN: 0
; COMPUTE_PGM_RSRC2:TIDIG_COMP_CNT: 0
; COMPUTE_PGM_RSRC3_GFX90A:ACCUM_OFFSET: 0
; COMPUTE_PGM_RSRC3_GFX90A:TG_SPLIT: 0
	.section	.text._ZN7rocprim17ROCPRIM_400000_NS6detail17trampoline_kernelINS0_14default_configENS1_38merge_sort_block_merge_config_selectorIjNS0_10empty_typeEEEZZNS1_27merge_sort_block_merge_implIS3_N6thrust23THRUST_200600_302600_NS6detail15normal_iteratorINS9_10device_ptrIjEEEEPS5_jNS1_19radix_merge_compareILb0ELb0EjNS0_19identity_decomposerEEEEE10hipError_tT0_T1_T2_jT3_P12ihipStream_tbPNSt15iterator_traitsISK_E10value_typeEPNSQ_ISL_E10value_typeEPSM_NS1_7vsmem_tEENKUlT_SK_SL_SM_E_clISE_PjSF_SF_EESJ_SZ_SK_SL_SM_EUlSZ_E_NS1_11comp_targetILNS1_3genE3ELNS1_11target_archE908ELNS1_3gpuE7ELNS1_3repE0EEENS1_48merge_mergepath_partition_config_static_selectorELNS0_4arch9wavefront6targetE1EEEvSL_,"axG",@progbits,_ZN7rocprim17ROCPRIM_400000_NS6detail17trampoline_kernelINS0_14default_configENS1_38merge_sort_block_merge_config_selectorIjNS0_10empty_typeEEEZZNS1_27merge_sort_block_merge_implIS3_N6thrust23THRUST_200600_302600_NS6detail15normal_iteratorINS9_10device_ptrIjEEEEPS5_jNS1_19radix_merge_compareILb0ELb0EjNS0_19identity_decomposerEEEEE10hipError_tT0_T1_T2_jT3_P12ihipStream_tbPNSt15iterator_traitsISK_E10value_typeEPNSQ_ISL_E10value_typeEPSM_NS1_7vsmem_tEENKUlT_SK_SL_SM_E_clISE_PjSF_SF_EESJ_SZ_SK_SL_SM_EUlSZ_E_NS1_11comp_targetILNS1_3genE3ELNS1_11target_archE908ELNS1_3gpuE7ELNS1_3repE0EEENS1_48merge_mergepath_partition_config_static_selectorELNS0_4arch9wavefront6targetE1EEEvSL_,comdat
	.protected	_ZN7rocprim17ROCPRIM_400000_NS6detail17trampoline_kernelINS0_14default_configENS1_38merge_sort_block_merge_config_selectorIjNS0_10empty_typeEEEZZNS1_27merge_sort_block_merge_implIS3_N6thrust23THRUST_200600_302600_NS6detail15normal_iteratorINS9_10device_ptrIjEEEEPS5_jNS1_19radix_merge_compareILb0ELb0EjNS0_19identity_decomposerEEEEE10hipError_tT0_T1_T2_jT3_P12ihipStream_tbPNSt15iterator_traitsISK_E10value_typeEPNSQ_ISL_E10value_typeEPSM_NS1_7vsmem_tEENKUlT_SK_SL_SM_E_clISE_PjSF_SF_EESJ_SZ_SK_SL_SM_EUlSZ_E_NS1_11comp_targetILNS1_3genE3ELNS1_11target_archE908ELNS1_3gpuE7ELNS1_3repE0EEENS1_48merge_mergepath_partition_config_static_selectorELNS0_4arch9wavefront6targetE1EEEvSL_ ; -- Begin function _ZN7rocprim17ROCPRIM_400000_NS6detail17trampoline_kernelINS0_14default_configENS1_38merge_sort_block_merge_config_selectorIjNS0_10empty_typeEEEZZNS1_27merge_sort_block_merge_implIS3_N6thrust23THRUST_200600_302600_NS6detail15normal_iteratorINS9_10device_ptrIjEEEEPS5_jNS1_19radix_merge_compareILb0ELb0EjNS0_19identity_decomposerEEEEE10hipError_tT0_T1_T2_jT3_P12ihipStream_tbPNSt15iterator_traitsISK_E10value_typeEPNSQ_ISL_E10value_typeEPSM_NS1_7vsmem_tEENKUlT_SK_SL_SM_E_clISE_PjSF_SF_EESJ_SZ_SK_SL_SM_EUlSZ_E_NS1_11comp_targetILNS1_3genE3ELNS1_11target_archE908ELNS1_3gpuE7ELNS1_3repE0EEENS1_48merge_mergepath_partition_config_static_selectorELNS0_4arch9wavefront6targetE1EEEvSL_
	.globl	_ZN7rocprim17ROCPRIM_400000_NS6detail17trampoline_kernelINS0_14default_configENS1_38merge_sort_block_merge_config_selectorIjNS0_10empty_typeEEEZZNS1_27merge_sort_block_merge_implIS3_N6thrust23THRUST_200600_302600_NS6detail15normal_iteratorINS9_10device_ptrIjEEEEPS5_jNS1_19radix_merge_compareILb0ELb0EjNS0_19identity_decomposerEEEEE10hipError_tT0_T1_T2_jT3_P12ihipStream_tbPNSt15iterator_traitsISK_E10value_typeEPNSQ_ISL_E10value_typeEPSM_NS1_7vsmem_tEENKUlT_SK_SL_SM_E_clISE_PjSF_SF_EESJ_SZ_SK_SL_SM_EUlSZ_E_NS1_11comp_targetILNS1_3genE3ELNS1_11target_archE908ELNS1_3gpuE7ELNS1_3repE0EEENS1_48merge_mergepath_partition_config_static_selectorELNS0_4arch9wavefront6targetE1EEEvSL_
	.p2align	8
	.type	_ZN7rocprim17ROCPRIM_400000_NS6detail17trampoline_kernelINS0_14default_configENS1_38merge_sort_block_merge_config_selectorIjNS0_10empty_typeEEEZZNS1_27merge_sort_block_merge_implIS3_N6thrust23THRUST_200600_302600_NS6detail15normal_iteratorINS9_10device_ptrIjEEEEPS5_jNS1_19radix_merge_compareILb0ELb0EjNS0_19identity_decomposerEEEEE10hipError_tT0_T1_T2_jT3_P12ihipStream_tbPNSt15iterator_traitsISK_E10value_typeEPNSQ_ISL_E10value_typeEPSM_NS1_7vsmem_tEENKUlT_SK_SL_SM_E_clISE_PjSF_SF_EESJ_SZ_SK_SL_SM_EUlSZ_E_NS1_11comp_targetILNS1_3genE3ELNS1_11target_archE908ELNS1_3gpuE7ELNS1_3repE0EEENS1_48merge_mergepath_partition_config_static_selectorELNS0_4arch9wavefront6targetE1EEEvSL_,@function
_ZN7rocprim17ROCPRIM_400000_NS6detail17trampoline_kernelINS0_14default_configENS1_38merge_sort_block_merge_config_selectorIjNS0_10empty_typeEEEZZNS1_27merge_sort_block_merge_implIS3_N6thrust23THRUST_200600_302600_NS6detail15normal_iteratorINS9_10device_ptrIjEEEEPS5_jNS1_19radix_merge_compareILb0ELb0EjNS0_19identity_decomposerEEEEE10hipError_tT0_T1_T2_jT3_P12ihipStream_tbPNSt15iterator_traitsISK_E10value_typeEPNSQ_ISL_E10value_typeEPSM_NS1_7vsmem_tEENKUlT_SK_SL_SM_E_clISE_PjSF_SF_EESJ_SZ_SK_SL_SM_EUlSZ_E_NS1_11comp_targetILNS1_3genE3ELNS1_11target_archE908ELNS1_3gpuE7ELNS1_3repE0EEENS1_48merge_mergepath_partition_config_static_selectorELNS0_4arch9wavefront6targetE1EEEvSL_: ; @_ZN7rocprim17ROCPRIM_400000_NS6detail17trampoline_kernelINS0_14default_configENS1_38merge_sort_block_merge_config_selectorIjNS0_10empty_typeEEEZZNS1_27merge_sort_block_merge_implIS3_N6thrust23THRUST_200600_302600_NS6detail15normal_iteratorINS9_10device_ptrIjEEEEPS5_jNS1_19radix_merge_compareILb0ELb0EjNS0_19identity_decomposerEEEEE10hipError_tT0_T1_T2_jT3_P12ihipStream_tbPNSt15iterator_traitsISK_E10value_typeEPNSQ_ISL_E10value_typeEPSM_NS1_7vsmem_tEENKUlT_SK_SL_SM_E_clISE_PjSF_SF_EESJ_SZ_SK_SL_SM_EUlSZ_E_NS1_11comp_targetILNS1_3genE3ELNS1_11target_archE908ELNS1_3gpuE7ELNS1_3repE0EEENS1_48merge_mergepath_partition_config_static_selectorELNS0_4arch9wavefront6targetE1EEEvSL_
; %bb.0:
	.section	.rodata,"a",@progbits
	.p2align	6, 0x0
	.amdhsa_kernel _ZN7rocprim17ROCPRIM_400000_NS6detail17trampoline_kernelINS0_14default_configENS1_38merge_sort_block_merge_config_selectorIjNS0_10empty_typeEEEZZNS1_27merge_sort_block_merge_implIS3_N6thrust23THRUST_200600_302600_NS6detail15normal_iteratorINS9_10device_ptrIjEEEEPS5_jNS1_19radix_merge_compareILb0ELb0EjNS0_19identity_decomposerEEEEE10hipError_tT0_T1_T2_jT3_P12ihipStream_tbPNSt15iterator_traitsISK_E10value_typeEPNSQ_ISL_E10value_typeEPSM_NS1_7vsmem_tEENKUlT_SK_SL_SM_E_clISE_PjSF_SF_EESJ_SZ_SK_SL_SM_EUlSZ_E_NS1_11comp_targetILNS1_3genE3ELNS1_11target_archE908ELNS1_3gpuE7ELNS1_3repE0EEENS1_48merge_mergepath_partition_config_static_selectorELNS0_4arch9wavefront6targetE1EEEvSL_
		.amdhsa_group_segment_fixed_size 0
		.amdhsa_private_segment_fixed_size 0
		.amdhsa_kernarg_size 40
		.amdhsa_user_sgpr_count 2
		.amdhsa_user_sgpr_dispatch_ptr 0
		.amdhsa_user_sgpr_queue_ptr 0
		.amdhsa_user_sgpr_kernarg_segment_ptr 1
		.amdhsa_user_sgpr_dispatch_id 0
		.amdhsa_user_sgpr_kernarg_preload_length 0
		.amdhsa_user_sgpr_kernarg_preload_offset 0
		.amdhsa_user_sgpr_private_segment_size 0
		.amdhsa_uses_dynamic_stack 0
		.amdhsa_enable_private_segment 0
		.amdhsa_system_sgpr_workgroup_id_x 1
		.amdhsa_system_sgpr_workgroup_id_y 0
		.amdhsa_system_sgpr_workgroup_id_z 0
		.amdhsa_system_sgpr_workgroup_info 0
		.amdhsa_system_vgpr_workitem_id 0
		.amdhsa_next_free_vgpr 1
		.amdhsa_next_free_sgpr 0
		.amdhsa_accum_offset 4
		.amdhsa_reserve_vcc 0
		.amdhsa_float_round_mode_32 0
		.amdhsa_float_round_mode_16_64 0
		.amdhsa_float_denorm_mode_32 3
		.amdhsa_float_denorm_mode_16_64 3
		.amdhsa_dx10_clamp 1
		.amdhsa_ieee_mode 1
		.amdhsa_fp16_overflow 0
		.amdhsa_tg_split 0
		.amdhsa_exception_fp_ieee_invalid_op 0
		.amdhsa_exception_fp_denorm_src 0
		.amdhsa_exception_fp_ieee_div_zero 0
		.amdhsa_exception_fp_ieee_overflow 0
		.amdhsa_exception_fp_ieee_underflow 0
		.amdhsa_exception_fp_ieee_inexact 0
		.amdhsa_exception_int_div_zero 0
	.end_amdhsa_kernel
	.section	.text._ZN7rocprim17ROCPRIM_400000_NS6detail17trampoline_kernelINS0_14default_configENS1_38merge_sort_block_merge_config_selectorIjNS0_10empty_typeEEEZZNS1_27merge_sort_block_merge_implIS3_N6thrust23THRUST_200600_302600_NS6detail15normal_iteratorINS9_10device_ptrIjEEEEPS5_jNS1_19radix_merge_compareILb0ELb0EjNS0_19identity_decomposerEEEEE10hipError_tT0_T1_T2_jT3_P12ihipStream_tbPNSt15iterator_traitsISK_E10value_typeEPNSQ_ISL_E10value_typeEPSM_NS1_7vsmem_tEENKUlT_SK_SL_SM_E_clISE_PjSF_SF_EESJ_SZ_SK_SL_SM_EUlSZ_E_NS1_11comp_targetILNS1_3genE3ELNS1_11target_archE908ELNS1_3gpuE7ELNS1_3repE0EEENS1_48merge_mergepath_partition_config_static_selectorELNS0_4arch9wavefront6targetE1EEEvSL_,"axG",@progbits,_ZN7rocprim17ROCPRIM_400000_NS6detail17trampoline_kernelINS0_14default_configENS1_38merge_sort_block_merge_config_selectorIjNS0_10empty_typeEEEZZNS1_27merge_sort_block_merge_implIS3_N6thrust23THRUST_200600_302600_NS6detail15normal_iteratorINS9_10device_ptrIjEEEEPS5_jNS1_19radix_merge_compareILb0ELb0EjNS0_19identity_decomposerEEEEE10hipError_tT0_T1_T2_jT3_P12ihipStream_tbPNSt15iterator_traitsISK_E10value_typeEPNSQ_ISL_E10value_typeEPSM_NS1_7vsmem_tEENKUlT_SK_SL_SM_E_clISE_PjSF_SF_EESJ_SZ_SK_SL_SM_EUlSZ_E_NS1_11comp_targetILNS1_3genE3ELNS1_11target_archE908ELNS1_3gpuE7ELNS1_3repE0EEENS1_48merge_mergepath_partition_config_static_selectorELNS0_4arch9wavefront6targetE1EEEvSL_,comdat
.Lfunc_end997:
	.size	_ZN7rocprim17ROCPRIM_400000_NS6detail17trampoline_kernelINS0_14default_configENS1_38merge_sort_block_merge_config_selectorIjNS0_10empty_typeEEEZZNS1_27merge_sort_block_merge_implIS3_N6thrust23THRUST_200600_302600_NS6detail15normal_iteratorINS9_10device_ptrIjEEEEPS5_jNS1_19radix_merge_compareILb0ELb0EjNS0_19identity_decomposerEEEEE10hipError_tT0_T1_T2_jT3_P12ihipStream_tbPNSt15iterator_traitsISK_E10value_typeEPNSQ_ISL_E10value_typeEPSM_NS1_7vsmem_tEENKUlT_SK_SL_SM_E_clISE_PjSF_SF_EESJ_SZ_SK_SL_SM_EUlSZ_E_NS1_11comp_targetILNS1_3genE3ELNS1_11target_archE908ELNS1_3gpuE7ELNS1_3repE0EEENS1_48merge_mergepath_partition_config_static_selectorELNS0_4arch9wavefront6targetE1EEEvSL_, .Lfunc_end997-_ZN7rocprim17ROCPRIM_400000_NS6detail17trampoline_kernelINS0_14default_configENS1_38merge_sort_block_merge_config_selectorIjNS0_10empty_typeEEEZZNS1_27merge_sort_block_merge_implIS3_N6thrust23THRUST_200600_302600_NS6detail15normal_iteratorINS9_10device_ptrIjEEEEPS5_jNS1_19radix_merge_compareILb0ELb0EjNS0_19identity_decomposerEEEEE10hipError_tT0_T1_T2_jT3_P12ihipStream_tbPNSt15iterator_traitsISK_E10value_typeEPNSQ_ISL_E10value_typeEPSM_NS1_7vsmem_tEENKUlT_SK_SL_SM_E_clISE_PjSF_SF_EESJ_SZ_SK_SL_SM_EUlSZ_E_NS1_11comp_targetILNS1_3genE3ELNS1_11target_archE908ELNS1_3gpuE7ELNS1_3repE0EEENS1_48merge_mergepath_partition_config_static_selectorELNS0_4arch9wavefront6targetE1EEEvSL_
                                        ; -- End function
	.section	.AMDGPU.csdata,"",@progbits
; Kernel info:
; codeLenInByte = 0
; NumSgprs: 6
; NumVgprs: 0
; NumAgprs: 0
; TotalNumVgprs: 0
; ScratchSize: 0
; MemoryBound: 0
; FloatMode: 240
; IeeeMode: 1
; LDSByteSize: 0 bytes/workgroup (compile time only)
; SGPRBlocks: 0
; VGPRBlocks: 0
; NumSGPRsForWavesPerEU: 6
; NumVGPRsForWavesPerEU: 1
; AccumOffset: 4
; Occupancy: 8
; WaveLimiterHint : 0
; COMPUTE_PGM_RSRC2:SCRATCH_EN: 0
; COMPUTE_PGM_RSRC2:USER_SGPR: 2
; COMPUTE_PGM_RSRC2:TRAP_HANDLER: 0
; COMPUTE_PGM_RSRC2:TGID_X_EN: 1
; COMPUTE_PGM_RSRC2:TGID_Y_EN: 0
; COMPUTE_PGM_RSRC2:TGID_Z_EN: 0
; COMPUTE_PGM_RSRC2:TIDIG_COMP_CNT: 0
; COMPUTE_PGM_RSRC3_GFX90A:ACCUM_OFFSET: 0
; COMPUTE_PGM_RSRC3_GFX90A:TG_SPLIT: 0
	.section	.text._ZN7rocprim17ROCPRIM_400000_NS6detail17trampoline_kernelINS0_14default_configENS1_38merge_sort_block_merge_config_selectorIjNS0_10empty_typeEEEZZNS1_27merge_sort_block_merge_implIS3_N6thrust23THRUST_200600_302600_NS6detail15normal_iteratorINS9_10device_ptrIjEEEEPS5_jNS1_19radix_merge_compareILb0ELb0EjNS0_19identity_decomposerEEEEE10hipError_tT0_T1_T2_jT3_P12ihipStream_tbPNSt15iterator_traitsISK_E10value_typeEPNSQ_ISL_E10value_typeEPSM_NS1_7vsmem_tEENKUlT_SK_SL_SM_E_clISE_PjSF_SF_EESJ_SZ_SK_SL_SM_EUlSZ_E_NS1_11comp_targetILNS1_3genE2ELNS1_11target_archE906ELNS1_3gpuE6ELNS1_3repE0EEENS1_48merge_mergepath_partition_config_static_selectorELNS0_4arch9wavefront6targetE1EEEvSL_,"axG",@progbits,_ZN7rocprim17ROCPRIM_400000_NS6detail17trampoline_kernelINS0_14default_configENS1_38merge_sort_block_merge_config_selectorIjNS0_10empty_typeEEEZZNS1_27merge_sort_block_merge_implIS3_N6thrust23THRUST_200600_302600_NS6detail15normal_iteratorINS9_10device_ptrIjEEEEPS5_jNS1_19radix_merge_compareILb0ELb0EjNS0_19identity_decomposerEEEEE10hipError_tT0_T1_T2_jT3_P12ihipStream_tbPNSt15iterator_traitsISK_E10value_typeEPNSQ_ISL_E10value_typeEPSM_NS1_7vsmem_tEENKUlT_SK_SL_SM_E_clISE_PjSF_SF_EESJ_SZ_SK_SL_SM_EUlSZ_E_NS1_11comp_targetILNS1_3genE2ELNS1_11target_archE906ELNS1_3gpuE6ELNS1_3repE0EEENS1_48merge_mergepath_partition_config_static_selectorELNS0_4arch9wavefront6targetE1EEEvSL_,comdat
	.protected	_ZN7rocprim17ROCPRIM_400000_NS6detail17trampoline_kernelINS0_14default_configENS1_38merge_sort_block_merge_config_selectorIjNS0_10empty_typeEEEZZNS1_27merge_sort_block_merge_implIS3_N6thrust23THRUST_200600_302600_NS6detail15normal_iteratorINS9_10device_ptrIjEEEEPS5_jNS1_19radix_merge_compareILb0ELb0EjNS0_19identity_decomposerEEEEE10hipError_tT0_T1_T2_jT3_P12ihipStream_tbPNSt15iterator_traitsISK_E10value_typeEPNSQ_ISL_E10value_typeEPSM_NS1_7vsmem_tEENKUlT_SK_SL_SM_E_clISE_PjSF_SF_EESJ_SZ_SK_SL_SM_EUlSZ_E_NS1_11comp_targetILNS1_3genE2ELNS1_11target_archE906ELNS1_3gpuE6ELNS1_3repE0EEENS1_48merge_mergepath_partition_config_static_selectorELNS0_4arch9wavefront6targetE1EEEvSL_ ; -- Begin function _ZN7rocprim17ROCPRIM_400000_NS6detail17trampoline_kernelINS0_14default_configENS1_38merge_sort_block_merge_config_selectorIjNS0_10empty_typeEEEZZNS1_27merge_sort_block_merge_implIS3_N6thrust23THRUST_200600_302600_NS6detail15normal_iteratorINS9_10device_ptrIjEEEEPS5_jNS1_19radix_merge_compareILb0ELb0EjNS0_19identity_decomposerEEEEE10hipError_tT0_T1_T2_jT3_P12ihipStream_tbPNSt15iterator_traitsISK_E10value_typeEPNSQ_ISL_E10value_typeEPSM_NS1_7vsmem_tEENKUlT_SK_SL_SM_E_clISE_PjSF_SF_EESJ_SZ_SK_SL_SM_EUlSZ_E_NS1_11comp_targetILNS1_3genE2ELNS1_11target_archE906ELNS1_3gpuE6ELNS1_3repE0EEENS1_48merge_mergepath_partition_config_static_selectorELNS0_4arch9wavefront6targetE1EEEvSL_
	.globl	_ZN7rocprim17ROCPRIM_400000_NS6detail17trampoline_kernelINS0_14default_configENS1_38merge_sort_block_merge_config_selectorIjNS0_10empty_typeEEEZZNS1_27merge_sort_block_merge_implIS3_N6thrust23THRUST_200600_302600_NS6detail15normal_iteratorINS9_10device_ptrIjEEEEPS5_jNS1_19radix_merge_compareILb0ELb0EjNS0_19identity_decomposerEEEEE10hipError_tT0_T1_T2_jT3_P12ihipStream_tbPNSt15iterator_traitsISK_E10value_typeEPNSQ_ISL_E10value_typeEPSM_NS1_7vsmem_tEENKUlT_SK_SL_SM_E_clISE_PjSF_SF_EESJ_SZ_SK_SL_SM_EUlSZ_E_NS1_11comp_targetILNS1_3genE2ELNS1_11target_archE906ELNS1_3gpuE6ELNS1_3repE0EEENS1_48merge_mergepath_partition_config_static_selectorELNS0_4arch9wavefront6targetE1EEEvSL_
	.p2align	8
	.type	_ZN7rocprim17ROCPRIM_400000_NS6detail17trampoline_kernelINS0_14default_configENS1_38merge_sort_block_merge_config_selectorIjNS0_10empty_typeEEEZZNS1_27merge_sort_block_merge_implIS3_N6thrust23THRUST_200600_302600_NS6detail15normal_iteratorINS9_10device_ptrIjEEEEPS5_jNS1_19radix_merge_compareILb0ELb0EjNS0_19identity_decomposerEEEEE10hipError_tT0_T1_T2_jT3_P12ihipStream_tbPNSt15iterator_traitsISK_E10value_typeEPNSQ_ISL_E10value_typeEPSM_NS1_7vsmem_tEENKUlT_SK_SL_SM_E_clISE_PjSF_SF_EESJ_SZ_SK_SL_SM_EUlSZ_E_NS1_11comp_targetILNS1_3genE2ELNS1_11target_archE906ELNS1_3gpuE6ELNS1_3repE0EEENS1_48merge_mergepath_partition_config_static_selectorELNS0_4arch9wavefront6targetE1EEEvSL_,@function
_ZN7rocprim17ROCPRIM_400000_NS6detail17trampoline_kernelINS0_14default_configENS1_38merge_sort_block_merge_config_selectorIjNS0_10empty_typeEEEZZNS1_27merge_sort_block_merge_implIS3_N6thrust23THRUST_200600_302600_NS6detail15normal_iteratorINS9_10device_ptrIjEEEEPS5_jNS1_19radix_merge_compareILb0ELb0EjNS0_19identity_decomposerEEEEE10hipError_tT0_T1_T2_jT3_P12ihipStream_tbPNSt15iterator_traitsISK_E10value_typeEPNSQ_ISL_E10value_typeEPSM_NS1_7vsmem_tEENKUlT_SK_SL_SM_E_clISE_PjSF_SF_EESJ_SZ_SK_SL_SM_EUlSZ_E_NS1_11comp_targetILNS1_3genE2ELNS1_11target_archE906ELNS1_3gpuE6ELNS1_3repE0EEENS1_48merge_mergepath_partition_config_static_selectorELNS0_4arch9wavefront6targetE1EEEvSL_: ; @_ZN7rocprim17ROCPRIM_400000_NS6detail17trampoline_kernelINS0_14default_configENS1_38merge_sort_block_merge_config_selectorIjNS0_10empty_typeEEEZZNS1_27merge_sort_block_merge_implIS3_N6thrust23THRUST_200600_302600_NS6detail15normal_iteratorINS9_10device_ptrIjEEEEPS5_jNS1_19radix_merge_compareILb0ELb0EjNS0_19identity_decomposerEEEEE10hipError_tT0_T1_T2_jT3_P12ihipStream_tbPNSt15iterator_traitsISK_E10value_typeEPNSQ_ISL_E10value_typeEPSM_NS1_7vsmem_tEENKUlT_SK_SL_SM_E_clISE_PjSF_SF_EESJ_SZ_SK_SL_SM_EUlSZ_E_NS1_11comp_targetILNS1_3genE2ELNS1_11target_archE906ELNS1_3gpuE6ELNS1_3repE0EEENS1_48merge_mergepath_partition_config_static_selectorELNS0_4arch9wavefront6targetE1EEEvSL_
; %bb.0:
	.section	.rodata,"a",@progbits
	.p2align	6, 0x0
	.amdhsa_kernel _ZN7rocprim17ROCPRIM_400000_NS6detail17trampoline_kernelINS0_14default_configENS1_38merge_sort_block_merge_config_selectorIjNS0_10empty_typeEEEZZNS1_27merge_sort_block_merge_implIS3_N6thrust23THRUST_200600_302600_NS6detail15normal_iteratorINS9_10device_ptrIjEEEEPS5_jNS1_19radix_merge_compareILb0ELb0EjNS0_19identity_decomposerEEEEE10hipError_tT0_T1_T2_jT3_P12ihipStream_tbPNSt15iterator_traitsISK_E10value_typeEPNSQ_ISL_E10value_typeEPSM_NS1_7vsmem_tEENKUlT_SK_SL_SM_E_clISE_PjSF_SF_EESJ_SZ_SK_SL_SM_EUlSZ_E_NS1_11comp_targetILNS1_3genE2ELNS1_11target_archE906ELNS1_3gpuE6ELNS1_3repE0EEENS1_48merge_mergepath_partition_config_static_selectorELNS0_4arch9wavefront6targetE1EEEvSL_
		.amdhsa_group_segment_fixed_size 0
		.amdhsa_private_segment_fixed_size 0
		.amdhsa_kernarg_size 40
		.amdhsa_user_sgpr_count 2
		.amdhsa_user_sgpr_dispatch_ptr 0
		.amdhsa_user_sgpr_queue_ptr 0
		.amdhsa_user_sgpr_kernarg_segment_ptr 1
		.amdhsa_user_sgpr_dispatch_id 0
		.amdhsa_user_sgpr_kernarg_preload_length 0
		.amdhsa_user_sgpr_kernarg_preload_offset 0
		.amdhsa_user_sgpr_private_segment_size 0
		.amdhsa_uses_dynamic_stack 0
		.amdhsa_enable_private_segment 0
		.amdhsa_system_sgpr_workgroup_id_x 1
		.amdhsa_system_sgpr_workgroup_id_y 0
		.amdhsa_system_sgpr_workgroup_id_z 0
		.amdhsa_system_sgpr_workgroup_info 0
		.amdhsa_system_vgpr_workitem_id 0
		.amdhsa_next_free_vgpr 1
		.amdhsa_next_free_sgpr 0
		.amdhsa_accum_offset 4
		.amdhsa_reserve_vcc 0
		.amdhsa_float_round_mode_32 0
		.amdhsa_float_round_mode_16_64 0
		.amdhsa_float_denorm_mode_32 3
		.amdhsa_float_denorm_mode_16_64 3
		.amdhsa_dx10_clamp 1
		.amdhsa_ieee_mode 1
		.amdhsa_fp16_overflow 0
		.amdhsa_tg_split 0
		.amdhsa_exception_fp_ieee_invalid_op 0
		.amdhsa_exception_fp_denorm_src 0
		.amdhsa_exception_fp_ieee_div_zero 0
		.amdhsa_exception_fp_ieee_overflow 0
		.amdhsa_exception_fp_ieee_underflow 0
		.amdhsa_exception_fp_ieee_inexact 0
		.amdhsa_exception_int_div_zero 0
	.end_amdhsa_kernel
	.section	.text._ZN7rocprim17ROCPRIM_400000_NS6detail17trampoline_kernelINS0_14default_configENS1_38merge_sort_block_merge_config_selectorIjNS0_10empty_typeEEEZZNS1_27merge_sort_block_merge_implIS3_N6thrust23THRUST_200600_302600_NS6detail15normal_iteratorINS9_10device_ptrIjEEEEPS5_jNS1_19radix_merge_compareILb0ELb0EjNS0_19identity_decomposerEEEEE10hipError_tT0_T1_T2_jT3_P12ihipStream_tbPNSt15iterator_traitsISK_E10value_typeEPNSQ_ISL_E10value_typeEPSM_NS1_7vsmem_tEENKUlT_SK_SL_SM_E_clISE_PjSF_SF_EESJ_SZ_SK_SL_SM_EUlSZ_E_NS1_11comp_targetILNS1_3genE2ELNS1_11target_archE906ELNS1_3gpuE6ELNS1_3repE0EEENS1_48merge_mergepath_partition_config_static_selectorELNS0_4arch9wavefront6targetE1EEEvSL_,"axG",@progbits,_ZN7rocprim17ROCPRIM_400000_NS6detail17trampoline_kernelINS0_14default_configENS1_38merge_sort_block_merge_config_selectorIjNS0_10empty_typeEEEZZNS1_27merge_sort_block_merge_implIS3_N6thrust23THRUST_200600_302600_NS6detail15normal_iteratorINS9_10device_ptrIjEEEEPS5_jNS1_19radix_merge_compareILb0ELb0EjNS0_19identity_decomposerEEEEE10hipError_tT0_T1_T2_jT3_P12ihipStream_tbPNSt15iterator_traitsISK_E10value_typeEPNSQ_ISL_E10value_typeEPSM_NS1_7vsmem_tEENKUlT_SK_SL_SM_E_clISE_PjSF_SF_EESJ_SZ_SK_SL_SM_EUlSZ_E_NS1_11comp_targetILNS1_3genE2ELNS1_11target_archE906ELNS1_3gpuE6ELNS1_3repE0EEENS1_48merge_mergepath_partition_config_static_selectorELNS0_4arch9wavefront6targetE1EEEvSL_,comdat
.Lfunc_end998:
	.size	_ZN7rocprim17ROCPRIM_400000_NS6detail17trampoline_kernelINS0_14default_configENS1_38merge_sort_block_merge_config_selectorIjNS0_10empty_typeEEEZZNS1_27merge_sort_block_merge_implIS3_N6thrust23THRUST_200600_302600_NS6detail15normal_iteratorINS9_10device_ptrIjEEEEPS5_jNS1_19radix_merge_compareILb0ELb0EjNS0_19identity_decomposerEEEEE10hipError_tT0_T1_T2_jT3_P12ihipStream_tbPNSt15iterator_traitsISK_E10value_typeEPNSQ_ISL_E10value_typeEPSM_NS1_7vsmem_tEENKUlT_SK_SL_SM_E_clISE_PjSF_SF_EESJ_SZ_SK_SL_SM_EUlSZ_E_NS1_11comp_targetILNS1_3genE2ELNS1_11target_archE906ELNS1_3gpuE6ELNS1_3repE0EEENS1_48merge_mergepath_partition_config_static_selectorELNS0_4arch9wavefront6targetE1EEEvSL_, .Lfunc_end998-_ZN7rocprim17ROCPRIM_400000_NS6detail17trampoline_kernelINS0_14default_configENS1_38merge_sort_block_merge_config_selectorIjNS0_10empty_typeEEEZZNS1_27merge_sort_block_merge_implIS3_N6thrust23THRUST_200600_302600_NS6detail15normal_iteratorINS9_10device_ptrIjEEEEPS5_jNS1_19radix_merge_compareILb0ELb0EjNS0_19identity_decomposerEEEEE10hipError_tT0_T1_T2_jT3_P12ihipStream_tbPNSt15iterator_traitsISK_E10value_typeEPNSQ_ISL_E10value_typeEPSM_NS1_7vsmem_tEENKUlT_SK_SL_SM_E_clISE_PjSF_SF_EESJ_SZ_SK_SL_SM_EUlSZ_E_NS1_11comp_targetILNS1_3genE2ELNS1_11target_archE906ELNS1_3gpuE6ELNS1_3repE0EEENS1_48merge_mergepath_partition_config_static_selectorELNS0_4arch9wavefront6targetE1EEEvSL_
                                        ; -- End function
	.section	.AMDGPU.csdata,"",@progbits
; Kernel info:
; codeLenInByte = 0
; NumSgprs: 6
; NumVgprs: 0
; NumAgprs: 0
; TotalNumVgprs: 0
; ScratchSize: 0
; MemoryBound: 0
; FloatMode: 240
; IeeeMode: 1
; LDSByteSize: 0 bytes/workgroup (compile time only)
; SGPRBlocks: 0
; VGPRBlocks: 0
; NumSGPRsForWavesPerEU: 6
; NumVGPRsForWavesPerEU: 1
; AccumOffset: 4
; Occupancy: 8
; WaveLimiterHint : 0
; COMPUTE_PGM_RSRC2:SCRATCH_EN: 0
; COMPUTE_PGM_RSRC2:USER_SGPR: 2
; COMPUTE_PGM_RSRC2:TRAP_HANDLER: 0
; COMPUTE_PGM_RSRC2:TGID_X_EN: 1
; COMPUTE_PGM_RSRC2:TGID_Y_EN: 0
; COMPUTE_PGM_RSRC2:TGID_Z_EN: 0
; COMPUTE_PGM_RSRC2:TIDIG_COMP_CNT: 0
; COMPUTE_PGM_RSRC3_GFX90A:ACCUM_OFFSET: 0
; COMPUTE_PGM_RSRC3_GFX90A:TG_SPLIT: 0
	.section	.text._ZN7rocprim17ROCPRIM_400000_NS6detail17trampoline_kernelINS0_14default_configENS1_38merge_sort_block_merge_config_selectorIjNS0_10empty_typeEEEZZNS1_27merge_sort_block_merge_implIS3_N6thrust23THRUST_200600_302600_NS6detail15normal_iteratorINS9_10device_ptrIjEEEEPS5_jNS1_19radix_merge_compareILb0ELb0EjNS0_19identity_decomposerEEEEE10hipError_tT0_T1_T2_jT3_P12ihipStream_tbPNSt15iterator_traitsISK_E10value_typeEPNSQ_ISL_E10value_typeEPSM_NS1_7vsmem_tEENKUlT_SK_SL_SM_E_clISE_PjSF_SF_EESJ_SZ_SK_SL_SM_EUlSZ_E_NS1_11comp_targetILNS1_3genE9ELNS1_11target_archE1100ELNS1_3gpuE3ELNS1_3repE0EEENS1_48merge_mergepath_partition_config_static_selectorELNS0_4arch9wavefront6targetE1EEEvSL_,"axG",@progbits,_ZN7rocprim17ROCPRIM_400000_NS6detail17trampoline_kernelINS0_14default_configENS1_38merge_sort_block_merge_config_selectorIjNS0_10empty_typeEEEZZNS1_27merge_sort_block_merge_implIS3_N6thrust23THRUST_200600_302600_NS6detail15normal_iteratorINS9_10device_ptrIjEEEEPS5_jNS1_19radix_merge_compareILb0ELb0EjNS0_19identity_decomposerEEEEE10hipError_tT0_T1_T2_jT3_P12ihipStream_tbPNSt15iterator_traitsISK_E10value_typeEPNSQ_ISL_E10value_typeEPSM_NS1_7vsmem_tEENKUlT_SK_SL_SM_E_clISE_PjSF_SF_EESJ_SZ_SK_SL_SM_EUlSZ_E_NS1_11comp_targetILNS1_3genE9ELNS1_11target_archE1100ELNS1_3gpuE3ELNS1_3repE0EEENS1_48merge_mergepath_partition_config_static_selectorELNS0_4arch9wavefront6targetE1EEEvSL_,comdat
	.protected	_ZN7rocprim17ROCPRIM_400000_NS6detail17trampoline_kernelINS0_14default_configENS1_38merge_sort_block_merge_config_selectorIjNS0_10empty_typeEEEZZNS1_27merge_sort_block_merge_implIS3_N6thrust23THRUST_200600_302600_NS6detail15normal_iteratorINS9_10device_ptrIjEEEEPS5_jNS1_19radix_merge_compareILb0ELb0EjNS0_19identity_decomposerEEEEE10hipError_tT0_T1_T2_jT3_P12ihipStream_tbPNSt15iterator_traitsISK_E10value_typeEPNSQ_ISL_E10value_typeEPSM_NS1_7vsmem_tEENKUlT_SK_SL_SM_E_clISE_PjSF_SF_EESJ_SZ_SK_SL_SM_EUlSZ_E_NS1_11comp_targetILNS1_3genE9ELNS1_11target_archE1100ELNS1_3gpuE3ELNS1_3repE0EEENS1_48merge_mergepath_partition_config_static_selectorELNS0_4arch9wavefront6targetE1EEEvSL_ ; -- Begin function _ZN7rocprim17ROCPRIM_400000_NS6detail17trampoline_kernelINS0_14default_configENS1_38merge_sort_block_merge_config_selectorIjNS0_10empty_typeEEEZZNS1_27merge_sort_block_merge_implIS3_N6thrust23THRUST_200600_302600_NS6detail15normal_iteratorINS9_10device_ptrIjEEEEPS5_jNS1_19radix_merge_compareILb0ELb0EjNS0_19identity_decomposerEEEEE10hipError_tT0_T1_T2_jT3_P12ihipStream_tbPNSt15iterator_traitsISK_E10value_typeEPNSQ_ISL_E10value_typeEPSM_NS1_7vsmem_tEENKUlT_SK_SL_SM_E_clISE_PjSF_SF_EESJ_SZ_SK_SL_SM_EUlSZ_E_NS1_11comp_targetILNS1_3genE9ELNS1_11target_archE1100ELNS1_3gpuE3ELNS1_3repE0EEENS1_48merge_mergepath_partition_config_static_selectorELNS0_4arch9wavefront6targetE1EEEvSL_
	.globl	_ZN7rocprim17ROCPRIM_400000_NS6detail17trampoline_kernelINS0_14default_configENS1_38merge_sort_block_merge_config_selectorIjNS0_10empty_typeEEEZZNS1_27merge_sort_block_merge_implIS3_N6thrust23THRUST_200600_302600_NS6detail15normal_iteratorINS9_10device_ptrIjEEEEPS5_jNS1_19radix_merge_compareILb0ELb0EjNS0_19identity_decomposerEEEEE10hipError_tT0_T1_T2_jT3_P12ihipStream_tbPNSt15iterator_traitsISK_E10value_typeEPNSQ_ISL_E10value_typeEPSM_NS1_7vsmem_tEENKUlT_SK_SL_SM_E_clISE_PjSF_SF_EESJ_SZ_SK_SL_SM_EUlSZ_E_NS1_11comp_targetILNS1_3genE9ELNS1_11target_archE1100ELNS1_3gpuE3ELNS1_3repE0EEENS1_48merge_mergepath_partition_config_static_selectorELNS0_4arch9wavefront6targetE1EEEvSL_
	.p2align	8
	.type	_ZN7rocprim17ROCPRIM_400000_NS6detail17trampoline_kernelINS0_14default_configENS1_38merge_sort_block_merge_config_selectorIjNS0_10empty_typeEEEZZNS1_27merge_sort_block_merge_implIS3_N6thrust23THRUST_200600_302600_NS6detail15normal_iteratorINS9_10device_ptrIjEEEEPS5_jNS1_19radix_merge_compareILb0ELb0EjNS0_19identity_decomposerEEEEE10hipError_tT0_T1_T2_jT3_P12ihipStream_tbPNSt15iterator_traitsISK_E10value_typeEPNSQ_ISL_E10value_typeEPSM_NS1_7vsmem_tEENKUlT_SK_SL_SM_E_clISE_PjSF_SF_EESJ_SZ_SK_SL_SM_EUlSZ_E_NS1_11comp_targetILNS1_3genE9ELNS1_11target_archE1100ELNS1_3gpuE3ELNS1_3repE0EEENS1_48merge_mergepath_partition_config_static_selectorELNS0_4arch9wavefront6targetE1EEEvSL_,@function
_ZN7rocprim17ROCPRIM_400000_NS6detail17trampoline_kernelINS0_14default_configENS1_38merge_sort_block_merge_config_selectorIjNS0_10empty_typeEEEZZNS1_27merge_sort_block_merge_implIS3_N6thrust23THRUST_200600_302600_NS6detail15normal_iteratorINS9_10device_ptrIjEEEEPS5_jNS1_19radix_merge_compareILb0ELb0EjNS0_19identity_decomposerEEEEE10hipError_tT0_T1_T2_jT3_P12ihipStream_tbPNSt15iterator_traitsISK_E10value_typeEPNSQ_ISL_E10value_typeEPSM_NS1_7vsmem_tEENKUlT_SK_SL_SM_E_clISE_PjSF_SF_EESJ_SZ_SK_SL_SM_EUlSZ_E_NS1_11comp_targetILNS1_3genE9ELNS1_11target_archE1100ELNS1_3gpuE3ELNS1_3repE0EEENS1_48merge_mergepath_partition_config_static_selectorELNS0_4arch9wavefront6targetE1EEEvSL_: ; @_ZN7rocprim17ROCPRIM_400000_NS6detail17trampoline_kernelINS0_14default_configENS1_38merge_sort_block_merge_config_selectorIjNS0_10empty_typeEEEZZNS1_27merge_sort_block_merge_implIS3_N6thrust23THRUST_200600_302600_NS6detail15normal_iteratorINS9_10device_ptrIjEEEEPS5_jNS1_19radix_merge_compareILb0ELb0EjNS0_19identity_decomposerEEEEE10hipError_tT0_T1_T2_jT3_P12ihipStream_tbPNSt15iterator_traitsISK_E10value_typeEPNSQ_ISL_E10value_typeEPSM_NS1_7vsmem_tEENKUlT_SK_SL_SM_E_clISE_PjSF_SF_EESJ_SZ_SK_SL_SM_EUlSZ_E_NS1_11comp_targetILNS1_3genE9ELNS1_11target_archE1100ELNS1_3gpuE3ELNS1_3repE0EEENS1_48merge_mergepath_partition_config_static_selectorELNS0_4arch9wavefront6targetE1EEEvSL_
; %bb.0:
	.section	.rodata,"a",@progbits
	.p2align	6, 0x0
	.amdhsa_kernel _ZN7rocprim17ROCPRIM_400000_NS6detail17trampoline_kernelINS0_14default_configENS1_38merge_sort_block_merge_config_selectorIjNS0_10empty_typeEEEZZNS1_27merge_sort_block_merge_implIS3_N6thrust23THRUST_200600_302600_NS6detail15normal_iteratorINS9_10device_ptrIjEEEEPS5_jNS1_19radix_merge_compareILb0ELb0EjNS0_19identity_decomposerEEEEE10hipError_tT0_T1_T2_jT3_P12ihipStream_tbPNSt15iterator_traitsISK_E10value_typeEPNSQ_ISL_E10value_typeEPSM_NS1_7vsmem_tEENKUlT_SK_SL_SM_E_clISE_PjSF_SF_EESJ_SZ_SK_SL_SM_EUlSZ_E_NS1_11comp_targetILNS1_3genE9ELNS1_11target_archE1100ELNS1_3gpuE3ELNS1_3repE0EEENS1_48merge_mergepath_partition_config_static_selectorELNS0_4arch9wavefront6targetE1EEEvSL_
		.amdhsa_group_segment_fixed_size 0
		.amdhsa_private_segment_fixed_size 0
		.amdhsa_kernarg_size 40
		.amdhsa_user_sgpr_count 2
		.amdhsa_user_sgpr_dispatch_ptr 0
		.amdhsa_user_sgpr_queue_ptr 0
		.amdhsa_user_sgpr_kernarg_segment_ptr 1
		.amdhsa_user_sgpr_dispatch_id 0
		.amdhsa_user_sgpr_kernarg_preload_length 0
		.amdhsa_user_sgpr_kernarg_preload_offset 0
		.amdhsa_user_sgpr_private_segment_size 0
		.amdhsa_uses_dynamic_stack 0
		.amdhsa_enable_private_segment 0
		.amdhsa_system_sgpr_workgroup_id_x 1
		.amdhsa_system_sgpr_workgroup_id_y 0
		.amdhsa_system_sgpr_workgroup_id_z 0
		.amdhsa_system_sgpr_workgroup_info 0
		.amdhsa_system_vgpr_workitem_id 0
		.amdhsa_next_free_vgpr 1
		.amdhsa_next_free_sgpr 0
		.amdhsa_accum_offset 4
		.amdhsa_reserve_vcc 0
		.amdhsa_float_round_mode_32 0
		.amdhsa_float_round_mode_16_64 0
		.amdhsa_float_denorm_mode_32 3
		.amdhsa_float_denorm_mode_16_64 3
		.amdhsa_dx10_clamp 1
		.amdhsa_ieee_mode 1
		.amdhsa_fp16_overflow 0
		.amdhsa_tg_split 0
		.amdhsa_exception_fp_ieee_invalid_op 0
		.amdhsa_exception_fp_denorm_src 0
		.amdhsa_exception_fp_ieee_div_zero 0
		.amdhsa_exception_fp_ieee_overflow 0
		.amdhsa_exception_fp_ieee_underflow 0
		.amdhsa_exception_fp_ieee_inexact 0
		.amdhsa_exception_int_div_zero 0
	.end_amdhsa_kernel
	.section	.text._ZN7rocprim17ROCPRIM_400000_NS6detail17trampoline_kernelINS0_14default_configENS1_38merge_sort_block_merge_config_selectorIjNS0_10empty_typeEEEZZNS1_27merge_sort_block_merge_implIS3_N6thrust23THRUST_200600_302600_NS6detail15normal_iteratorINS9_10device_ptrIjEEEEPS5_jNS1_19radix_merge_compareILb0ELb0EjNS0_19identity_decomposerEEEEE10hipError_tT0_T1_T2_jT3_P12ihipStream_tbPNSt15iterator_traitsISK_E10value_typeEPNSQ_ISL_E10value_typeEPSM_NS1_7vsmem_tEENKUlT_SK_SL_SM_E_clISE_PjSF_SF_EESJ_SZ_SK_SL_SM_EUlSZ_E_NS1_11comp_targetILNS1_3genE9ELNS1_11target_archE1100ELNS1_3gpuE3ELNS1_3repE0EEENS1_48merge_mergepath_partition_config_static_selectorELNS0_4arch9wavefront6targetE1EEEvSL_,"axG",@progbits,_ZN7rocprim17ROCPRIM_400000_NS6detail17trampoline_kernelINS0_14default_configENS1_38merge_sort_block_merge_config_selectorIjNS0_10empty_typeEEEZZNS1_27merge_sort_block_merge_implIS3_N6thrust23THRUST_200600_302600_NS6detail15normal_iteratorINS9_10device_ptrIjEEEEPS5_jNS1_19radix_merge_compareILb0ELb0EjNS0_19identity_decomposerEEEEE10hipError_tT0_T1_T2_jT3_P12ihipStream_tbPNSt15iterator_traitsISK_E10value_typeEPNSQ_ISL_E10value_typeEPSM_NS1_7vsmem_tEENKUlT_SK_SL_SM_E_clISE_PjSF_SF_EESJ_SZ_SK_SL_SM_EUlSZ_E_NS1_11comp_targetILNS1_3genE9ELNS1_11target_archE1100ELNS1_3gpuE3ELNS1_3repE0EEENS1_48merge_mergepath_partition_config_static_selectorELNS0_4arch9wavefront6targetE1EEEvSL_,comdat
.Lfunc_end999:
	.size	_ZN7rocprim17ROCPRIM_400000_NS6detail17trampoline_kernelINS0_14default_configENS1_38merge_sort_block_merge_config_selectorIjNS0_10empty_typeEEEZZNS1_27merge_sort_block_merge_implIS3_N6thrust23THRUST_200600_302600_NS6detail15normal_iteratorINS9_10device_ptrIjEEEEPS5_jNS1_19radix_merge_compareILb0ELb0EjNS0_19identity_decomposerEEEEE10hipError_tT0_T1_T2_jT3_P12ihipStream_tbPNSt15iterator_traitsISK_E10value_typeEPNSQ_ISL_E10value_typeEPSM_NS1_7vsmem_tEENKUlT_SK_SL_SM_E_clISE_PjSF_SF_EESJ_SZ_SK_SL_SM_EUlSZ_E_NS1_11comp_targetILNS1_3genE9ELNS1_11target_archE1100ELNS1_3gpuE3ELNS1_3repE0EEENS1_48merge_mergepath_partition_config_static_selectorELNS0_4arch9wavefront6targetE1EEEvSL_, .Lfunc_end999-_ZN7rocprim17ROCPRIM_400000_NS6detail17trampoline_kernelINS0_14default_configENS1_38merge_sort_block_merge_config_selectorIjNS0_10empty_typeEEEZZNS1_27merge_sort_block_merge_implIS3_N6thrust23THRUST_200600_302600_NS6detail15normal_iteratorINS9_10device_ptrIjEEEEPS5_jNS1_19radix_merge_compareILb0ELb0EjNS0_19identity_decomposerEEEEE10hipError_tT0_T1_T2_jT3_P12ihipStream_tbPNSt15iterator_traitsISK_E10value_typeEPNSQ_ISL_E10value_typeEPSM_NS1_7vsmem_tEENKUlT_SK_SL_SM_E_clISE_PjSF_SF_EESJ_SZ_SK_SL_SM_EUlSZ_E_NS1_11comp_targetILNS1_3genE9ELNS1_11target_archE1100ELNS1_3gpuE3ELNS1_3repE0EEENS1_48merge_mergepath_partition_config_static_selectorELNS0_4arch9wavefront6targetE1EEEvSL_
                                        ; -- End function
	.section	.AMDGPU.csdata,"",@progbits
; Kernel info:
; codeLenInByte = 0
; NumSgprs: 6
; NumVgprs: 0
; NumAgprs: 0
; TotalNumVgprs: 0
; ScratchSize: 0
; MemoryBound: 0
; FloatMode: 240
; IeeeMode: 1
; LDSByteSize: 0 bytes/workgroup (compile time only)
; SGPRBlocks: 0
; VGPRBlocks: 0
; NumSGPRsForWavesPerEU: 6
; NumVGPRsForWavesPerEU: 1
; AccumOffset: 4
; Occupancy: 8
; WaveLimiterHint : 0
; COMPUTE_PGM_RSRC2:SCRATCH_EN: 0
; COMPUTE_PGM_RSRC2:USER_SGPR: 2
; COMPUTE_PGM_RSRC2:TRAP_HANDLER: 0
; COMPUTE_PGM_RSRC2:TGID_X_EN: 1
; COMPUTE_PGM_RSRC2:TGID_Y_EN: 0
; COMPUTE_PGM_RSRC2:TGID_Z_EN: 0
; COMPUTE_PGM_RSRC2:TIDIG_COMP_CNT: 0
; COMPUTE_PGM_RSRC3_GFX90A:ACCUM_OFFSET: 0
; COMPUTE_PGM_RSRC3_GFX90A:TG_SPLIT: 0
	.section	.text._ZN7rocprim17ROCPRIM_400000_NS6detail17trampoline_kernelINS0_14default_configENS1_38merge_sort_block_merge_config_selectorIjNS0_10empty_typeEEEZZNS1_27merge_sort_block_merge_implIS3_N6thrust23THRUST_200600_302600_NS6detail15normal_iteratorINS9_10device_ptrIjEEEEPS5_jNS1_19radix_merge_compareILb0ELb0EjNS0_19identity_decomposerEEEEE10hipError_tT0_T1_T2_jT3_P12ihipStream_tbPNSt15iterator_traitsISK_E10value_typeEPNSQ_ISL_E10value_typeEPSM_NS1_7vsmem_tEENKUlT_SK_SL_SM_E_clISE_PjSF_SF_EESJ_SZ_SK_SL_SM_EUlSZ_E_NS1_11comp_targetILNS1_3genE8ELNS1_11target_archE1030ELNS1_3gpuE2ELNS1_3repE0EEENS1_48merge_mergepath_partition_config_static_selectorELNS0_4arch9wavefront6targetE1EEEvSL_,"axG",@progbits,_ZN7rocprim17ROCPRIM_400000_NS6detail17trampoline_kernelINS0_14default_configENS1_38merge_sort_block_merge_config_selectorIjNS0_10empty_typeEEEZZNS1_27merge_sort_block_merge_implIS3_N6thrust23THRUST_200600_302600_NS6detail15normal_iteratorINS9_10device_ptrIjEEEEPS5_jNS1_19radix_merge_compareILb0ELb0EjNS0_19identity_decomposerEEEEE10hipError_tT0_T1_T2_jT3_P12ihipStream_tbPNSt15iterator_traitsISK_E10value_typeEPNSQ_ISL_E10value_typeEPSM_NS1_7vsmem_tEENKUlT_SK_SL_SM_E_clISE_PjSF_SF_EESJ_SZ_SK_SL_SM_EUlSZ_E_NS1_11comp_targetILNS1_3genE8ELNS1_11target_archE1030ELNS1_3gpuE2ELNS1_3repE0EEENS1_48merge_mergepath_partition_config_static_selectorELNS0_4arch9wavefront6targetE1EEEvSL_,comdat
	.protected	_ZN7rocprim17ROCPRIM_400000_NS6detail17trampoline_kernelINS0_14default_configENS1_38merge_sort_block_merge_config_selectorIjNS0_10empty_typeEEEZZNS1_27merge_sort_block_merge_implIS3_N6thrust23THRUST_200600_302600_NS6detail15normal_iteratorINS9_10device_ptrIjEEEEPS5_jNS1_19radix_merge_compareILb0ELb0EjNS0_19identity_decomposerEEEEE10hipError_tT0_T1_T2_jT3_P12ihipStream_tbPNSt15iterator_traitsISK_E10value_typeEPNSQ_ISL_E10value_typeEPSM_NS1_7vsmem_tEENKUlT_SK_SL_SM_E_clISE_PjSF_SF_EESJ_SZ_SK_SL_SM_EUlSZ_E_NS1_11comp_targetILNS1_3genE8ELNS1_11target_archE1030ELNS1_3gpuE2ELNS1_3repE0EEENS1_48merge_mergepath_partition_config_static_selectorELNS0_4arch9wavefront6targetE1EEEvSL_ ; -- Begin function _ZN7rocprim17ROCPRIM_400000_NS6detail17trampoline_kernelINS0_14default_configENS1_38merge_sort_block_merge_config_selectorIjNS0_10empty_typeEEEZZNS1_27merge_sort_block_merge_implIS3_N6thrust23THRUST_200600_302600_NS6detail15normal_iteratorINS9_10device_ptrIjEEEEPS5_jNS1_19radix_merge_compareILb0ELb0EjNS0_19identity_decomposerEEEEE10hipError_tT0_T1_T2_jT3_P12ihipStream_tbPNSt15iterator_traitsISK_E10value_typeEPNSQ_ISL_E10value_typeEPSM_NS1_7vsmem_tEENKUlT_SK_SL_SM_E_clISE_PjSF_SF_EESJ_SZ_SK_SL_SM_EUlSZ_E_NS1_11comp_targetILNS1_3genE8ELNS1_11target_archE1030ELNS1_3gpuE2ELNS1_3repE0EEENS1_48merge_mergepath_partition_config_static_selectorELNS0_4arch9wavefront6targetE1EEEvSL_
	.globl	_ZN7rocprim17ROCPRIM_400000_NS6detail17trampoline_kernelINS0_14default_configENS1_38merge_sort_block_merge_config_selectorIjNS0_10empty_typeEEEZZNS1_27merge_sort_block_merge_implIS3_N6thrust23THRUST_200600_302600_NS6detail15normal_iteratorINS9_10device_ptrIjEEEEPS5_jNS1_19radix_merge_compareILb0ELb0EjNS0_19identity_decomposerEEEEE10hipError_tT0_T1_T2_jT3_P12ihipStream_tbPNSt15iterator_traitsISK_E10value_typeEPNSQ_ISL_E10value_typeEPSM_NS1_7vsmem_tEENKUlT_SK_SL_SM_E_clISE_PjSF_SF_EESJ_SZ_SK_SL_SM_EUlSZ_E_NS1_11comp_targetILNS1_3genE8ELNS1_11target_archE1030ELNS1_3gpuE2ELNS1_3repE0EEENS1_48merge_mergepath_partition_config_static_selectorELNS0_4arch9wavefront6targetE1EEEvSL_
	.p2align	8
	.type	_ZN7rocprim17ROCPRIM_400000_NS6detail17trampoline_kernelINS0_14default_configENS1_38merge_sort_block_merge_config_selectorIjNS0_10empty_typeEEEZZNS1_27merge_sort_block_merge_implIS3_N6thrust23THRUST_200600_302600_NS6detail15normal_iteratorINS9_10device_ptrIjEEEEPS5_jNS1_19radix_merge_compareILb0ELb0EjNS0_19identity_decomposerEEEEE10hipError_tT0_T1_T2_jT3_P12ihipStream_tbPNSt15iterator_traitsISK_E10value_typeEPNSQ_ISL_E10value_typeEPSM_NS1_7vsmem_tEENKUlT_SK_SL_SM_E_clISE_PjSF_SF_EESJ_SZ_SK_SL_SM_EUlSZ_E_NS1_11comp_targetILNS1_3genE8ELNS1_11target_archE1030ELNS1_3gpuE2ELNS1_3repE0EEENS1_48merge_mergepath_partition_config_static_selectorELNS0_4arch9wavefront6targetE1EEEvSL_,@function
_ZN7rocprim17ROCPRIM_400000_NS6detail17trampoline_kernelINS0_14default_configENS1_38merge_sort_block_merge_config_selectorIjNS0_10empty_typeEEEZZNS1_27merge_sort_block_merge_implIS3_N6thrust23THRUST_200600_302600_NS6detail15normal_iteratorINS9_10device_ptrIjEEEEPS5_jNS1_19radix_merge_compareILb0ELb0EjNS0_19identity_decomposerEEEEE10hipError_tT0_T1_T2_jT3_P12ihipStream_tbPNSt15iterator_traitsISK_E10value_typeEPNSQ_ISL_E10value_typeEPSM_NS1_7vsmem_tEENKUlT_SK_SL_SM_E_clISE_PjSF_SF_EESJ_SZ_SK_SL_SM_EUlSZ_E_NS1_11comp_targetILNS1_3genE8ELNS1_11target_archE1030ELNS1_3gpuE2ELNS1_3repE0EEENS1_48merge_mergepath_partition_config_static_selectorELNS0_4arch9wavefront6targetE1EEEvSL_: ; @_ZN7rocprim17ROCPRIM_400000_NS6detail17trampoline_kernelINS0_14default_configENS1_38merge_sort_block_merge_config_selectorIjNS0_10empty_typeEEEZZNS1_27merge_sort_block_merge_implIS3_N6thrust23THRUST_200600_302600_NS6detail15normal_iteratorINS9_10device_ptrIjEEEEPS5_jNS1_19radix_merge_compareILb0ELb0EjNS0_19identity_decomposerEEEEE10hipError_tT0_T1_T2_jT3_P12ihipStream_tbPNSt15iterator_traitsISK_E10value_typeEPNSQ_ISL_E10value_typeEPSM_NS1_7vsmem_tEENKUlT_SK_SL_SM_E_clISE_PjSF_SF_EESJ_SZ_SK_SL_SM_EUlSZ_E_NS1_11comp_targetILNS1_3genE8ELNS1_11target_archE1030ELNS1_3gpuE2ELNS1_3repE0EEENS1_48merge_mergepath_partition_config_static_selectorELNS0_4arch9wavefront6targetE1EEEvSL_
; %bb.0:
	.section	.rodata,"a",@progbits
	.p2align	6, 0x0
	.amdhsa_kernel _ZN7rocprim17ROCPRIM_400000_NS6detail17trampoline_kernelINS0_14default_configENS1_38merge_sort_block_merge_config_selectorIjNS0_10empty_typeEEEZZNS1_27merge_sort_block_merge_implIS3_N6thrust23THRUST_200600_302600_NS6detail15normal_iteratorINS9_10device_ptrIjEEEEPS5_jNS1_19radix_merge_compareILb0ELb0EjNS0_19identity_decomposerEEEEE10hipError_tT0_T1_T2_jT3_P12ihipStream_tbPNSt15iterator_traitsISK_E10value_typeEPNSQ_ISL_E10value_typeEPSM_NS1_7vsmem_tEENKUlT_SK_SL_SM_E_clISE_PjSF_SF_EESJ_SZ_SK_SL_SM_EUlSZ_E_NS1_11comp_targetILNS1_3genE8ELNS1_11target_archE1030ELNS1_3gpuE2ELNS1_3repE0EEENS1_48merge_mergepath_partition_config_static_selectorELNS0_4arch9wavefront6targetE1EEEvSL_
		.amdhsa_group_segment_fixed_size 0
		.amdhsa_private_segment_fixed_size 0
		.amdhsa_kernarg_size 40
		.amdhsa_user_sgpr_count 2
		.amdhsa_user_sgpr_dispatch_ptr 0
		.amdhsa_user_sgpr_queue_ptr 0
		.amdhsa_user_sgpr_kernarg_segment_ptr 1
		.amdhsa_user_sgpr_dispatch_id 0
		.amdhsa_user_sgpr_kernarg_preload_length 0
		.amdhsa_user_sgpr_kernarg_preload_offset 0
		.amdhsa_user_sgpr_private_segment_size 0
		.amdhsa_uses_dynamic_stack 0
		.amdhsa_enable_private_segment 0
		.amdhsa_system_sgpr_workgroup_id_x 1
		.amdhsa_system_sgpr_workgroup_id_y 0
		.amdhsa_system_sgpr_workgroup_id_z 0
		.amdhsa_system_sgpr_workgroup_info 0
		.amdhsa_system_vgpr_workitem_id 0
		.amdhsa_next_free_vgpr 1
		.amdhsa_next_free_sgpr 0
		.amdhsa_accum_offset 4
		.amdhsa_reserve_vcc 0
		.amdhsa_float_round_mode_32 0
		.amdhsa_float_round_mode_16_64 0
		.amdhsa_float_denorm_mode_32 3
		.amdhsa_float_denorm_mode_16_64 3
		.amdhsa_dx10_clamp 1
		.amdhsa_ieee_mode 1
		.amdhsa_fp16_overflow 0
		.amdhsa_tg_split 0
		.amdhsa_exception_fp_ieee_invalid_op 0
		.amdhsa_exception_fp_denorm_src 0
		.amdhsa_exception_fp_ieee_div_zero 0
		.amdhsa_exception_fp_ieee_overflow 0
		.amdhsa_exception_fp_ieee_underflow 0
		.amdhsa_exception_fp_ieee_inexact 0
		.amdhsa_exception_int_div_zero 0
	.end_amdhsa_kernel
	.section	.text._ZN7rocprim17ROCPRIM_400000_NS6detail17trampoline_kernelINS0_14default_configENS1_38merge_sort_block_merge_config_selectorIjNS0_10empty_typeEEEZZNS1_27merge_sort_block_merge_implIS3_N6thrust23THRUST_200600_302600_NS6detail15normal_iteratorINS9_10device_ptrIjEEEEPS5_jNS1_19radix_merge_compareILb0ELb0EjNS0_19identity_decomposerEEEEE10hipError_tT0_T1_T2_jT3_P12ihipStream_tbPNSt15iterator_traitsISK_E10value_typeEPNSQ_ISL_E10value_typeEPSM_NS1_7vsmem_tEENKUlT_SK_SL_SM_E_clISE_PjSF_SF_EESJ_SZ_SK_SL_SM_EUlSZ_E_NS1_11comp_targetILNS1_3genE8ELNS1_11target_archE1030ELNS1_3gpuE2ELNS1_3repE0EEENS1_48merge_mergepath_partition_config_static_selectorELNS0_4arch9wavefront6targetE1EEEvSL_,"axG",@progbits,_ZN7rocprim17ROCPRIM_400000_NS6detail17trampoline_kernelINS0_14default_configENS1_38merge_sort_block_merge_config_selectorIjNS0_10empty_typeEEEZZNS1_27merge_sort_block_merge_implIS3_N6thrust23THRUST_200600_302600_NS6detail15normal_iteratorINS9_10device_ptrIjEEEEPS5_jNS1_19radix_merge_compareILb0ELb0EjNS0_19identity_decomposerEEEEE10hipError_tT0_T1_T2_jT3_P12ihipStream_tbPNSt15iterator_traitsISK_E10value_typeEPNSQ_ISL_E10value_typeEPSM_NS1_7vsmem_tEENKUlT_SK_SL_SM_E_clISE_PjSF_SF_EESJ_SZ_SK_SL_SM_EUlSZ_E_NS1_11comp_targetILNS1_3genE8ELNS1_11target_archE1030ELNS1_3gpuE2ELNS1_3repE0EEENS1_48merge_mergepath_partition_config_static_selectorELNS0_4arch9wavefront6targetE1EEEvSL_,comdat
.Lfunc_end1000:
	.size	_ZN7rocprim17ROCPRIM_400000_NS6detail17trampoline_kernelINS0_14default_configENS1_38merge_sort_block_merge_config_selectorIjNS0_10empty_typeEEEZZNS1_27merge_sort_block_merge_implIS3_N6thrust23THRUST_200600_302600_NS6detail15normal_iteratorINS9_10device_ptrIjEEEEPS5_jNS1_19radix_merge_compareILb0ELb0EjNS0_19identity_decomposerEEEEE10hipError_tT0_T1_T2_jT3_P12ihipStream_tbPNSt15iterator_traitsISK_E10value_typeEPNSQ_ISL_E10value_typeEPSM_NS1_7vsmem_tEENKUlT_SK_SL_SM_E_clISE_PjSF_SF_EESJ_SZ_SK_SL_SM_EUlSZ_E_NS1_11comp_targetILNS1_3genE8ELNS1_11target_archE1030ELNS1_3gpuE2ELNS1_3repE0EEENS1_48merge_mergepath_partition_config_static_selectorELNS0_4arch9wavefront6targetE1EEEvSL_, .Lfunc_end1000-_ZN7rocprim17ROCPRIM_400000_NS6detail17trampoline_kernelINS0_14default_configENS1_38merge_sort_block_merge_config_selectorIjNS0_10empty_typeEEEZZNS1_27merge_sort_block_merge_implIS3_N6thrust23THRUST_200600_302600_NS6detail15normal_iteratorINS9_10device_ptrIjEEEEPS5_jNS1_19radix_merge_compareILb0ELb0EjNS0_19identity_decomposerEEEEE10hipError_tT0_T1_T2_jT3_P12ihipStream_tbPNSt15iterator_traitsISK_E10value_typeEPNSQ_ISL_E10value_typeEPSM_NS1_7vsmem_tEENKUlT_SK_SL_SM_E_clISE_PjSF_SF_EESJ_SZ_SK_SL_SM_EUlSZ_E_NS1_11comp_targetILNS1_3genE8ELNS1_11target_archE1030ELNS1_3gpuE2ELNS1_3repE0EEENS1_48merge_mergepath_partition_config_static_selectorELNS0_4arch9wavefront6targetE1EEEvSL_
                                        ; -- End function
	.section	.AMDGPU.csdata,"",@progbits
; Kernel info:
; codeLenInByte = 0
; NumSgprs: 6
; NumVgprs: 0
; NumAgprs: 0
; TotalNumVgprs: 0
; ScratchSize: 0
; MemoryBound: 0
; FloatMode: 240
; IeeeMode: 1
; LDSByteSize: 0 bytes/workgroup (compile time only)
; SGPRBlocks: 0
; VGPRBlocks: 0
; NumSGPRsForWavesPerEU: 6
; NumVGPRsForWavesPerEU: 1
; AccumOffset: 4
; Occupancy: 8
; WaveLimiterHint : 0
; COMPUTE_PGM_RSRC2:SCRATCH_EN: 0
; COMPUTE_PGM_RSRC2:USER_SGPR: 2
; COMPUTE_PGM_RSRC2:TRAP_HANDLER: 0
; COMPUTE_PGM_RSRC2:TGID_X_EN: 1
; COMPUTE_PGM_RSRC2:TGID_Y_EN: 0
; COMPUTE_PGM_RSRC2:TGID_Z_EN: 0
; COMPUTE_PGM_RSRC2:TIDIG_COMP_CNT: 0
; COMPUTE_PGM_RSRC3_GFX90A:ACCUM_OFFSET: 0
; COMPUTE_PGM_RSRC3_GFX90A:TG_SPLIT: 0
	.section	.text._ZN7rocprim17ROCPRIM_400000_NS6detail17trampoline_kernelINS0_14default_configENS1_38merge_sort_block_merge_config_selectorIjNS0_10empty_typeEEEZZNS1_27merge_sort_block_merge_implIS3_N6thrust23THRUST_200600_302600_NS6detail15normal_iteratorINS9_10device_ptrIjEEEEPS5_jNS1_19radix_merge_compareILb0ELb0EjNS0_19identity_decomposerEEEEE10hipError_tT0_T1_T2_jT3_P12ihipStream_tbPNSt15iterator_traitsISK_E10value_typeEPNSQ_ISL_E10value_typeEPSM_NS1_7vsmem_tEENKUlT_SK_SL_SM_E_clISE_PjSF_SF_EESJ_SZ_SK_SL_SM_EUlSZ_E0_NS1_11comp_targetILNS1_3genE0ELNS1_11target_archE4294967295ELNS1_3gpuE0ELNS1_3repE0EEENS1_38merge_mergepath_config_static_selectorELNS0_4arch9wavefront6targetE1EEEvSL_,"axG",@progbits,_ZN7rocprim17ROCPRIM_400000_NS6detail17trampoline_kernelINS0_14default_configENS1_38merge_sort_block_merge_config_selectorIjNS0_10empty_typeEEEZZNS1_27merge_sort_block_merge_implIS3_N6thrust23THRUST_200600_302600_NS6detail15normal_iteratorINS9_10device_ptrIjEEEEPS5_jNS1_19radix_merge_compareILb0ELb0EjNS0_19identity_decomposerEEEEE10hipError_tT0_T1_T2_jT3_P12ihipStream_tbPNSt15iterator_traitsISK_E10value_typeEPNSQ_ISL_E10value_typeEPSM_NS1_7vsmem_tEENKUlT_SK_SL_SM_E_clISE_PjSF_SF_EESJ_SZ_SK_SL_SM_EUlSZ_E0_NS1_11comp_targetILNS1_3genE0ELNS1_11target_archE4294967295ELNS1_3gpuE0ELNS1_3repE0EEENS1_38merge_mergepath_config_static_selectorELNS0_4arch9wavefront6targetE1EEEvSL_,comdat
	.protected	_ZN7rocprim17ROCPRIM_400000_NS6detail17trampoline_kernelINS0_14default_configENS1_38merge_sort_block_merge_config_selectorIjNS0_10empty_typeEEEZZNS1_27merge_sort_block_merge_implIS3_N6thrust23THRUST_200600_302600_NS6detail15normal_iteratorINS9_10device_ptrIjEEEEPS5_jNS1_19radix_merge_compareILb0ELb0EjNS0_19identity_decomposerEEEEE10hipError_tT0_T1_T2_jT3_P12ihipStream_tbPNSt15iterator_traitsISK_E10value_typeEPNSQ_ISL_E10value_typeEPSM_NS1_7vsmem_tEENKUlT_SK_SL_SM_E_clISE_PjSF_SF_EESJ_SZ_SK_SL_SM_EUlSZ_E0_NS1_11comp_targetILNS1_3genE0ELNS1_11target_archE4294967295ELNS1_3gpuE0ELNS1_3repE0EEENS1_38merge_mergepath_config_static_selectorELNS0_4arch9wavefront6targetE1EEEvSL_ ; -- Begin function _ZN7rocprim17ROCPRIM_400000_NS6detail17trampoline_kernelINS0_14default_configENS1_38merge_sort_block_merge_config_selectorIjNS0_10empty_typeEEEZZNS1_27merge_sort_block_merge_implIS3_N6thrust23THRUST_200600_302600_NS6detail15normal_iteratorINS9_10device_ptrIjEEEEPS5_jNS1_19radix_merge_compareILb0ELb0EjNS0_19identity_decomposerEEEEE10hipError_tT0_T1_T2_jT3_P12ihipStream_tbPNSt15iterator_traitsISK_E10value_typeEPNSQ_ISL_E10value_typeEPSM_NS1_7vsmem_tEENKUlT_SK_SL_SM_E_clISE_PjSF_SF_EESJ_SZ_SK_SL_SM_EUlSZ_E0_NS1_11comp_targetILNS1_3genE0ELNS1_11target_archE4294967295ELNS1_3gpuE0ELNS1_3repE0EEENS1_38merge_mergepath_config_static_selectorELNS0_4arch9wavefront6targetE1EEEvSL_
	.globl	_ZN7rocprim17ROCPRIM_400000_NS6detail17trampoline_kernelINS0_14default_configENS1_38merge_sort_block_merge_config_selectorIjNS0_10empty_typeEEEZZNS1_27merge_sort_block_merge_implIS3_N6thrust23THRUST_200600_302600_NS6detail15normal_iteratorINS9_10device_ptrIjEEEEPS5_jNS1_19radix_merge_compareILb0ELb0EjNS0_19identity_decomposerEEEEE10hipError_tT0_T1_T2_jT3_P12ihipStream_tbPNSt15iterator_traitsISK_E10value_typeEPNSQ_ISL_E10value_typeEPSM_NS1_7vsmem_tEENKUlT_SK_SL_SM_E_clISE_PjSF_SF_EESJ_SZ_SK_SL_SM_EUlSZ_E0_NS1_11comp_targetILNS1_3genE0ELNS1_11target_archE4294967295ELNS1_3gpuE0ELNS1_3repE0EEENS1_38merge_mergepath_config_static_selectorELNS0_4arch9wavefront6targetE1EEEvSL_
	.p2align	8
	.type	_ZN7rocprim17ROCPRIM_400000_NS6detail17trampoline_kernelINS0_14default_configENS1_38merge_sort_block_merge_config_selectorIjNS0_10empty_typeEEEZZNS1_27merge_sort_block_merge_implIS3_N6thrust23THRUST_200600_302600_NS6detail15normal_iteratorINS9_10device_ptrIjEEEEPS5_jNS1_19radix_merge_compareILb0ELb0EjNS0_19identity_decomposerEEEEE10hipError_tT0_T1_T2_jT3_P12ihipStream_tbPNSt15iterator_traitsISK_E10value_typeEPNSQ_ISL_E10value_typeEPSM_NS1_7vsmem_tEENKUlT_SK_SL_SM_E_clISE_PjSF_SF_EESJ_SZ_SK_SL_SM_EUlSZ_E0_NS1_11comp_targetILNS1_3genE0ELNS1_11target_archE4294967295ELNS1_3gpuE0ELNS1_3repE0EEENS1_38merge_mergepath_config_static_selectorELNS0_4arch9wavefront6targetE1EEEvSL_,@function
_ZN7rocprim17ROCPRIM_400000_NS6detail17trampoline_kernelINS0_14default_configENS1_38merge_sort_block_merge_config_selectorIjNS0_10empty_typeEEEZZNS1_27merge_sort_block_merge_implIS3_N6thrust23THRUST_200600_302600_NS6detail15normal_iteratorINS9_10device_ptrIjEEEEPS5_jNS1_19radix_merge_compareILb0ELb0EjNS0_19identity_decomposerEEEEE10hipError_tT0_T1_T2_jT3_P12ihipStream_tbPNSt15iterator_traitsISK_E10value_typeEPNSQ_ISL_E10value_typeEPSM_NS1_7vsmem_tEENKUlT_SK_SL_SM_E_clISE_PjSF_SF_EESJ_SZ_SK_SL_SM_EUlSZ_E0_NS1_11comp_targetILNS1_3genE0ELNS1_11target_archE4294967295ELNS1_3gpuE0ELNS1_3repE0EEENS1_38merge_mergepath_config_static_selectorELNS0_4arch9wavefront6targetE1EEEvSL_: ; @_ZN7rocprim17ROCPRIM_400000_NS6detail17trampoline_kernelINS0_14default_configENS1_38merge_sort_block_merge_config_selectorIjNS0_10empty_typeEEEZZNS1_27merge_sort_block_merge_implIS3_N6thrust23THRUST_200600_302600_NS6detail15normal_iteratorINS9_10device_ptrIjEEEEPS5_jNS1_19radix_merge_compareILb0ELb0EjNS0_19identity_decomposerEEEEE10hipError_tT0_T1_T2_jT3_P12ihipStream_tbPNSt15iterator_traitsISK_E10value_typeEPNSQ_ISL_E10value_typeEPSM_NS1_7vsmem_tEENKUlT_SK_SL_SM_E_clISE_PjSF_SF_EESJ_SZ_SK_SL_SM_EUlSZ_E0_NS1_11comp_targetILNS1_3genE0ELNS1_11target_archE4294967295ELNS1_3gpuE0ELNS1_3repE0EEENS1_38merge_mergepath_config_static_selectorELNS0_4arch9wavefront6targetE1EEEvSL_
; %bb.0:
	.section	.rodata,"a",@progbits
	.p2align	6, 0x0
	.amdhsa_kernel _ZN7rocprim17ROCPRIM_400000_NS6detail17trampoline_kernelINS0_14default_configENS1_38merge_sort_block_merge_config_selectorIjNS0_10empty_typeEEEZZNS1_27merge_sort_block_merge_implIS3_N6thrust23THRUST_200600_302600_NS6detail15normal_iteratorINS9_10device_ptrIjEEEEPS5_jNS1_19radix_merge_compareILb0ELb0EjNS0_19identity_decomposerEEEEE10hipError_tT0_T1_T2_jT3_P12ihipStream_tbPNSt15iterator_traitsISK_E10value_typeEPNSQ_ISL_E10value_typeEPSM_NS1_7vsmem_tEENKUlT_SK_SL_SM_E_clISE_PjSF_SF_EESJ_SZ_SK_SL_SM_EUlSZ_E0_NS1_11comp_targetILNS1_3genE0ELNS1_11target_archE4294967295ELNS1_3gpuE0ELNS1_3repE0EEENS1_38merge_mergepath_config_static_selectorELNS0_4arch9wavefront6targetE1EEEvSL_
		.amdhsa_group_segment_fixed_size 0
		.amdhsa_private_segment_fixed_size 0
		.amdhsa_kernarg_size 64
		.amdhsa_user_sgpr_count 2
		.amdhsa_user_sgpr_dispatch_ptr 0
		.amdhsa_user_sgpr_queue_ptr 0
		.amdhsa_user_sgpr_kernarg_segment_ptr 1
		.amdhsa_user_sgpr_dispatch_id 0
		.amdhsa_user_sgpr_kernarg_preload_length 0
		.amdhsa_user_sgpr_kernarg_preload_offset 0
		.amdhsa_user_sgpr_private_segment_size 0
		.amdhsa_uses_dynamic_stack 0
		.amdhsa_enable_private_segment 0
		.amdhsa_system_sgpr_workgroup_id_x 1
		.amdhsa_system_sgpr_workgroup_id_y 0
		.amdhsa_system_sgpr_workgroup_id_z 0
		.amdhsa_system_sgpr_workgroup_info 0
		.amdhsa_system_vgpr_workitem_id 0
		.amdhsa_next_free_vgpr 1
		.amdhsa_next_free_sgpr 0
		.amdhsa_accum_offset 4
		.amdhsa_reserve_vcc 0
		.amdhsa_float_round_mode_32 0
		.amdhsa_float_round_mode_16_64 0
		.amdhsa_float_denorm_mode_32 3
		.amdhsa_float_denorm_mode_16_64 3
		.amdhsa_dx10_clamp 1
		.amdhsa_ieee_mode 1
		.amdhsa_fp16_overflow 0
		.amdhsa_tg_split 0
		.amdhsa_exception_fp_ieee_invalid_op 0
		.amdhsa_exception_fp_denorm_src 0
		.amdhsa_exception_fp_ieee_div_zero 0
		.amdhsa_exception_fp_ieee_overflow 0
		.amdhsa_exception_fp_ieee_underflow 0
		.amdhsa_exception_fp_ieee_inexact 0
		.amdhsa_exception_int_div_zero 0
	.end_amdhsa_kernel
	.section	.text._ZN7rocprim17ROCPRIM_400000_NS6detail17trampoline_kernelINS0_14default_configENS1_38merge_sort_block_merge_config_selectorIjNS0_10empty_typeEEEZZNS1_27merge_sort_block_merge_implIS3_N6thrust23THRUST_200600_302600_NS6detail15normal_iteratorINS9_10device_ptrIjEEEEPS5_jNS1_19radix_merge_compareILb0ELb0EjNS0_19identity_decomposerEEEEE10hipError_tT0_T1_T2_jT3_P12ihipStream_tbPNSt15iterator_traitsISK_E10value_typeEPNSQ_ISL_E10value_typeEPSM_NS1_7vsmem_tEENKUlT_SK_SL_SM_E_clISE_PjSF_SF_EESJ_SZ_SK_SL_SM_EUlSZ_E0_NS1_11comp_targetILNS1_3genE0ELNS1_11target_archE4294967295ELNS1_3gpuE0ELNS1_3repE0EEENS1_38merge_mergepath_config_static_selectorELNS0_4arch9wavefront6targetE1EEEvSL_,"axG",@progbits,_ZN7rocprim17ROCPRIM_400000_NS6detail17trampoline_kernelINS0_14default_configENS1_38merge_sort_block_merge_config_selectorIjNS0_10empty_typeEEEZZNS1_27merge_sort_block_merge_implIS3_N6thrust23THRUST_200600_302600_NS6detail15normal_iteratorINS9_10device_ptrIjEEEEPS5_jNS1_19radix_merge_compareILb0ELb0EjNS0_19identity_decomposerEEEEE10hipError_tT0_T1_T2_jT3_P12ihipStream_tbPNSt15iterator_traitsISK_E10value_typeEPNSQ_ISL_E10value_typeEPSM_NS1_7vsmem_tEENKUlT_SK_SL_SM_E_clISE_PjSF_SF_EESJ_SZ_SK_SL_SM_EUlSZ_E0_NS1_11comp_targetILNS1_3genE0ELNS1_11target_archE4294967295ELNS1_3gpuE0ELNS1_3repE0EEENS1_38merge_mergepath_config_static_selectorELNS0_4arch9wavefront6targetE1EEEvSL_,comdat
.Lfunc_end1001:
	.size	_ZN7rocprim17ROCPRIM_400000_NS6detail17trampoline_kernelINS0_14default_configENS1_38merge_sort_block_merge_config_selectorIjNS0_10empty_typeEEEZZNS1_27merge_sort_block_merge_implIS3_N6thrust23THRUST_200600_302600_NS6detail15normal_iteratorINS9_10device_ptrIjEEEEPS5_jNS1_19radix_merge_compareILb0ELb0EjNS0_19identity_decomposerEEEEE10hipError_tT0_T1_T2_jT3_P12ihipStream_tbPNSt15iterator_traitsISK_E10value_typeEPNSQ_ISL_E10value_typeEPSM_NS1_7vsmem_tEENKUlT_SK_SL_SM_E_clISE_PjSF_SF_EESJ_SZ_SK_SL_SM_EUlSZ_E0_NS1_11comp_targetILNS1_3genE0ELNS1_11target_archE4294967295ELNS1_3gpuE0ELNS1_3repE0EEENS1_38merge_mergepath_config_static_selectorELNS0_4arch9wavefront6targetE1EEEvSL_, .Lfunc_end1001-_ZN7rocprim17ROCPRIM_400000_NS6detail17trampoline_kernelINS0_14default_configENS1_38merge_sort_block_merge_config_selectorIjNS0_10empty_typeEEEZZNS1_27merge_sort_block_merge_implIS3_N6thrust23THRUST_200600_302600_NS6detail15normal_iteratorINS9_10device_ptrIjEEEEPS5_jNS1_19radix_merge_compareILb0ELb0EjNS0_19identity_decomposerEEEEE10hipError_tT0_T1_T2_jT3_P12ihipStream_tbPNSt15iterator_traitsISK_E10value_typeEPNSQ_ISL_E10value_typeEPSM_NS1_7vsmem_tEENKUlT_SK_SL_SM_E_clISE_PjSF_SF_EESJ_SZ_SK_SL_SM_EUlSZ_E0_NS1_11comp_targetILNS1_3genE0ELNS1_11target_archE4294967295ELNS1_3gpuE0ELNS1_3repE0EEENS1_38merge_mergepath_config_static_selectorELNS0_4arch9wavefront6targetE1EEEvSL_
                                        ; -- End function
	.section	.AMDGPU.csdata,"",@progbits
; Kernel info:
; codeLenInByte = 0
; NumSgprs: 6
; NumVgprs: 0
; NumAgprs: 0
; TotalNumVgprs: 0
; ScratchSize: 0
; MemoryBound: 0
; FloatMode: 240
; IeeeMode: 1
; LDSByteSize: 0 bytes/workgroup (compile time only)
; SGPRBlocks: 0
; VGPRBlocks: 0
; NumSGPRsForWavesPerEU: 6
; NumVGPRsForWavesPerEU: 1
; AccumOffset: 4
; Occupancy: 8
; WaveLimiterHint : 0
; COMPUTE_PGM_RSRC2:SCRATCH_EN: 0
; COMPUTE_PGM_RSRC2:USER_SGPR: 2
; COMPUTE_PGM_RSRC2:TRAP_HANDLER: 0
; COMPUTE_PGM_RSRC2:TGID_X_EN: 1
; COMPUTE_PGM_RSRC2:TGID_Y_EN: 0
; COMPUTE_PGM_RSRC2:TGID_Z_EN: 0
; COMPUTE_PGM_RSRC2:TIDIG_COMP_CNT: 0
; COMPUTE_PGM_RSRC3_GFX90A:ACCUM_OFFSET: 0
; COMPUTE_PGM_RSRC3_GFX90A:TG_SPLIT: 0
	.section	.text._ZN7rocprim17ROCPRIM_400000_NS6detail17trampoline_kernelINS0_14default_configENS1_38merge_sort_block_merge_config_selectorIjNS0_10empty_typeEEEZZNS1_27merge_sort_block_merge_implIS3_N6thrust23THRUST_200600_302600_NS6detail15normal_iteratorINS9_10device_ptrIjEEEEPS5_jNS1_19radix_merge_compareILb0ELb0EjNS0_19identity_decomposerEEEEE10hipError_tT0_T1_T2_jT3_P12ihipStream_tbPNSt15iterator_traitsISK_E10value_typeEPNSQ_ISL_E10value_typeEPSM_NS1_7vsmem_tEENKUlT_SK_SL_SM_E_clISE_PjSF_SF_EESJ_SZ_SK_SL_SM_EUlSZ_E0_NS1_11comp_targetILNS1_3genE10ELNS1_11target_archE1201ELNS1_3gpuE5ELNS1_3repE0EEENS1_38merge_mergepath_config_static_selectorELNS0_4arch9wavefront6targetE1EEEvSL_,"axG",@progbits,_ZN7rocprim17ROCPRIM_400000_NS6detail17trampoline_kernelINS0_14default_configENS1_38merge_sort_block_merge_config_selectorIjNS0_10empty_typeEEEZZNS1_27merge_sort_block_merge_implIS3_N6thrust23THRUST_200600_302600_NS6detail15normal_iteratorINS9_10device_ptrIjEEEEPS5_jNS1_19radix_merge_compareILb0ELb0EjNS0_19identity_decomposerEEEEE10hipError_tT0_T1_T2_jT3_P12ihipStream_tbPNSt15iterator_traitsISK_E10value_typeEPNSQ_ISL_E10value_typeEPSM_NS1_7vsmem_tEENKUlT_SK_SL_SM_E_clISE_PjSF_SF_EESJ_SZ_SK_SL_SM_EUlSZ_E0_NS1_11comp_targetILNS1_3genE10ELNS1_11target_archE1201ELNS1_3gpuE5ELNS1_3repE0EEENS1_38merge_mergepath_config_static_selectorELNS0_4arch9wavefront6targetE1EEEvSL_,comdat
	.protected	_ZN7rocprim17ROCPRIM_400000_NS6detail17trampoline_kernelINS0_14default_configENS1_38merge_sort_block_merge_config_selectorIjNS0_10empty_typeEEEZZNS1_27merge_sort_block_merge_implIS3_N6thrust23THRUST_200600_302600_NS6detail15normal_iteratorINS9_10device_ptrIjEEEEPS5_jNS1_19radix_merge_compareILb0ELb0EjNS0_19identity_decomposerEEEEE10hipError_tT0_T1_T2_jT3_P12ihipStream_tbPNSt15iterator_traitsISK_E10value_typeEPNSQ_ISL_E10value_typeEPSM_NS1_7vsmem_tEENKUlT_SK_SL_SM_E_clISE_PjSF_SF_EESJ_SZ_SK_SL_SM_EUlSZ_E0_NS1_11comp_targetILNS1_3genE10ELNS1_11target_archE1201ELNS1_3gpuE5ELNS1_3repE0EEENS1_38merge_mergepath_config_static_selectorELNS0_4arch9wavefront6targetE1EEEvSL_ ; -- Begin function _ZN7rocprim17ROCPRIM_400000_NS6detail17trampoline_kernelINS0_14default_configENS1_38merge_sort_block_merge_config_selectorIjNS0_10empty_typeEEEZZNS1_27merge_sort_block_merge_implIS3_N6thrust23THRUST_200600_302600_NS6detail15normal_iteratorINS9_10device_ptrIjEEEEPS5_jNS1_19radix_merge_compareILb0ELb0EjNS0_19identity_decomposerEEEEE10hipError_tT0_T1_T2_jT3_P12ihipStream_tbPNSt15iterator_traitsISK_E10value_typeEPNSQ_ISL_E10value_typeEPSM_NS1_7vsmem_tEENKUlT_SK_SL_SM_E_clISE_PjSF_SF_EESJ_SZ_SK_SL_SM_EUlSZ_E0_NS1_11comp_targetILNS1_3genE10ELNS1_11target_archE1201ELNS1_3gpuE5ELNS1_3repE0EEENS1_38merge_mergepath_config_static_selectorELNS0_4arch9wavefront6targetE1EEEvSL_
	.globl	_ZN7rocprim17ROCPRIM_400000_NS6detail17trampoline_kernelINS0_14default_configENS1_38merge_sort_block_merge_config_selectorIjNS0_10empty_typeEEEZZNS1_27merge_sort_block_merge_implIS3_N6thrust23THRUST_200600_302600_NS6detail15normal_iteratorINS9_10device_ptrIjEEEEPS5_jNS1_19radix_merge_compareILb0ELb0EjNS0_19identity_decomposerEEEEE10hipError_tT0_T1_T2_jT3_P12ihipStream_tbPNSt15iterator_traitsISK_E10value_typeEPNSQ_ISL_E10value_typeEPSM_NS1_7vsmem_tEENKUlT_SK_SL_SM_E_clISE_PjSF_SF_EESJ_SZ_SK_SL_SM_EUlSZ_E0_NS1_11comp_targetILNS1_3genE10ELNS1_11target_archE1201ELNS1_3gpuE5ELNS1_3repE0EEENS1_38merge_mergepath_config_static_selectorELNS0_4arch9wavefront6targetE1EEEvSL_
	.p2align	8
	.type	_ZN7rocprim17ROCPRIM_400000_NS6detail17trampoline_kernelINS0_14default_configENS1_38merge_sort_block_merge_config_selectorIjNS0_10empty_typeEEEZZNS1_27merge_sort_block_merge_implIS3_N6thrust23THRUST_200600_302600_NS6detail15normal_iteratorINS9_10device_ptrIjEEEEPS5_jNS1_19radix_merge_compareILb0ELb0EjNS0_19identity_decomposerEEEEE10hipError_tT0_T1_T2_jT3_P12ihipStream_tbPNSt15iterator_traitsISK_E10value_typeEPNSQ_ISL_E10value_typeEPSM_NS1_7vsmem_tEENKUlT_SK_SL_SM_E_clISE_PjSF_SF_EESJ_SZ_SK_SL_SM_EUlSZ_E0_NS1_11comp_targetILNS1_3genE10ELNS1_11target_archE1201ELNS1_3gpuE5ELNS1_3repE0EEENS1_38merge_mergepath_config_static_selectorELNS0_4arch9wavefront6targetE1EEEvSL_,@function
_ZN7rocprim17ROCPRIM_400000_NS6detail17trampoline_kernelINS0_14default_configENS1_38merge_sort_block_merge_config_selectorIjNS0_10empty_typeEEEZZNS1_27merge_sort_block_merge_implIS3_N6thrust23THRUST_200600_302600_NS6detail15normal_iteratorINS9_10device_ptrIjEEEEPS5_jNS1_19radix_merge_compareILb0ELb0EjNS0_19identity_decomposerEEEEE10hipError_tT0_T1_T2_jT3_P12ihipStream_tbPNSt15iterator_traitsISK_E10value_typeEPNSQ_ISL_E10value_typeEPSM_NS1_7vsmem_tEENKUlT_SK_SL_SM_E_clISE_PjSF_SF_EESJ_SZ_SK_SL_SM_EUlSZ_E0_NS1_11comp_targetILNS1_3genE10ELNS1_11target_archE1201ELNS1_3gpuE5ELNS1_3repE0EEENS1_38merge_mergepath_config_static_selectorELNS0_4arch9wavefront6targetE1EEEvSL_: ; @_ZN7rocprim17ROCPRIM_400000_NS6detail17trampoline_kernelINS0_14default_configENS1_38merge_sort_block_merge_config_selectorIjNS0_10empty_typeEEEZZNS1_27merge_sort_block_merge_implIS3_N6thrust23THRUST_200600_302600_NS6detail15normal_iteratorINS9_10device_ptrIjEEEEPS5_jNS1_19radix_merge_compareILb0ELb0EjNS0_19identity_decomposerEEEEE10hipError_tT0_T1_T2_jT3_P12ihipStream_tbPNSt15iterator_traitsISK_E10value_typeEPNSQ_ISL_E10value_typeEPSM_NS1_7vsmem_tEENKUlT_SK_SL_SM_E_clISE_PjSF_SF_EESJ_SZ_SK_SL_SM_EUlSZ_E0_NS1_11comp_targetILNS1_3genE10ELNS1_11target_archE1201ELNS1_3gpuE5ELNS1_3repE0EEENS1_38merge_mergepath_config_static_selectorELNS0_4arch9wavefront6targetE1EEEvSL_
; %bb.0:
	.section	.rodata,"a",@progbits
	.p2align	6, 0x0
	.amdhsa_kernel _ZN7rocprim17ROCPRIM_400000_NS6detail17trampoline_kernelINS0_14default_configENS1_38merge_sort_block_merge_config_selectorIjNS0_10empty_typeEEEZZNS1_27merge_sort_block_merge_implIS3_N6thrust23THRUST_200600_302600_NS6detail15normal_iteratorINS9_10device_ptrIjEEEEPS5_jNS1_19radix_merge_compareILb0ELb0EjNS0_19identity_decomposerEEEEE10hipError_tT0_T1_T2_jT3_P12ihipStream_tbPNSt15iterator_traitsISK_E10value_typeEPNSQ_ISL_E10value_typeEPSM_NS1_7vsmem_tEENKUlT_SK_SL_SM_E_clISE_PjSF_SF_EESJ_SZ_SK_SL_SM_EUlSZ_E0_NS1_11comp_targetILNS1_3genE10ELNS1_11target_archE1201ELNS1_3gpuE5ELNS1_3repE0EEENS1_38merge_mergepath_config_static_selectorELNS0_4arch9wavefront6targetE1EEEvSL_
		.amdhsa_group_segment_fixed_size 0
		.amdhsa_private_segment_fixed_size 0
		.amdhsa_kernarg_size 64
		.amdhsa_user_sgpr_count 2
		.amdhsa_user_sgpr_dispatch_ptr 0
		.amdhsa_user_sgpr_queue_ptr 0
		.amdhsa_user_sgpr_kernarg_segment_ptr 1
		.amdhsa_user_sgpr_dispatch_id 0
		.amdhsa_user_sgpr_kernarg_preload_length 0
		.amdhsa_user_sgpr_kernarg_preload_offset 0
		.amdhsa_user_sgpr_private_segment_size 0
		.amdhsa_uses_dynamic_stack 0
		.amdhsa_enable_private_segment 0
		.amdhsa_system_sgpr_workgroup_id_x 1
		.amdhsa_system_sgpr_workgroup_id_y 0
		.amdhsa_system_sgpr_workgroup_id_z 0
		.amdhsa_system_sgpr_workgroup_info 0
		.amdhsa_system_vgpr_workitem_id 0
		.amdhsa_next_free_vgpr 1
		.amdhsa_next_free_sgpr 0
		.amdhsa_accum_offset 4
		.amdhsa_reserve_vcc 0
		.amdhsa_float_round_mode_32 0
		.amdhsa_float_round_mode_16_64 0
		.amdhsa_float_denorm_mode_32 3
		.amdhsa_float_denorm_mode_16_64 3
		.amdhsa_dx10_clamp 1
		.amdhsa_ieee_mode 1
		.amdhsa_fp16_overflow 0
		.amdhsa_tg_split 0
		.amdhsa_exception_fp_ieee_invalid_op 0
		.amdhsa_exception_fp_denorm_src 0
		.amdhsa_exception_fp_ieee_div_zero 0
		.amdhsa_exception_fp_ieee_overflow 0
		.amdhsa_exception_fp_ieee_underflow 0
		.amdhsa_exception_fp_ieee_inexact 0
		.amdhsa_exception_int_div_zero 0
	.end_amdhsa_kernel
	.section	.text._ZN7rocprim17ROCPRIM_400000_NS6detail17trampoline_kernelINS0_14default_configENS1_38merge_sort_block_merge_config_selectorIjNS0_10empty_typeEEEZZNS1_27merge_sort_block_merge_implIS3_N6thrust23THRUST_200600_302600_NS6detail15normal_iteratorINS9_10device_ptrIjEEEEPS5_jNS1_19radix_merge_compareILb0ELb0EjNS0_19identity_decomposerEEEEE10hipError_tT0_T1_T2_jT3_P12ihipStream_tbPNSt15iterator_traitsISK_E10value_typeEPNSQ_ISL_E10value_typeEPSM_NS1_7vsmem_tEENKUlT_SK_SL_SM_E_clISE_PjSF_SF_EESJ_SZ_SK_SL_SM_EUlSZ_E0_NS1_11comp_targetILNS1_3genE10ELNS1_11target_archE1201ELNS1_3gpuE5ELNS1_3repE0EEENS1_38merge_mergepath_config_static_selectorELNS0_4arch9wavefront6targetE1EEEvSL_,"axG",@progbits,_ZN7rocprim17ROCPRIM_400000_NS6detail17trampoline_kernelINS0_14default_configENS1_38merge_sort_block_merge_config_selectorIjNS0_10empty_typeEEEZZNS1_27merge_sort_block_merge_implIS3_N6thrust23THRUST_200600_302600_NS6detail15normal_iteratorINS9_10device_ptrIjEEEEPS5_jNS1_19radix_merge_compareILb0ELb0EjNS0_19identity_decomposerEEEEE10hipError_tT0_T1_T2_jT3_P12ihipStream_tbPNSt15iterator_traitsISK_E10value_typeEPNSQ_ISL_E10value_typeEPSM_NS1_7vsmem_tEENKUlT_SK_SL_SM_E_clISE_PjSF_SF_EESJ_SZ_SK_SL_SM_EUlSZ_E0_NS1_11comp_targetILNS1_3genE10ELNS1_11target_archE1201ELNS1_3gpuE5ELNS1_3repE0EEENS1_38merge_mergepath_config_static_selectorELNS0_4arch9wavefront6targetE1EEEvSL_,comdat
.Lfunc_end1002:
	.size	_ZN7rocprim17ROCPRIM_400000_NS6detail17trampoline_kernelINS0_14default_configENS1_38merge_sort_block_merge_config_selectorIjNS0_10empty_typeEEEZZNS1_27merge_sort_block_merge_implIS3_N6thrust23THRUST_200600_302600_NS6detail15normal_iteratorINS9_10device_ptrIjEEEEPS5_jNS1_19radix_merge_compareILb0ELb0EjNS0_19identity_decomposerEEEEE10hipError_tT0_T1_T2_jT3_P12ihipStream_tbPNSt15iterator_traitsISK_E10value_typeEPNSQ_ISL_E10value_typeEPSM_NS1_7vsmem_tEENKUlT_SK_SL_SM_E_clISE_PjSF_SF_EESJ_SZ_SK_SL_SM_EUlSZ_E0_NS1_11comp_targetILNS1_3genE10ELNS1_11target_archE1201ELNS1_3gpuE5ELNS1_3repE0EEENS1_38merge_mergepath_config_static_selectorELNS0_4arch9wavefront6targetE1EEEvSL_, .Lfunc_end1002-_ZN7rocprim17ROCPRIM_400000_NS6detail17trampoline_kernelINS0_14default_configENS1_38merge_sort_block_merge_config_selectorIjNS0_10empty_typeEEEZZNS1_27merge_sort_block_merge_implIS3_N6thrust23THRUST_200600_302600_NS6detail15normal_iteratorINS9_10device_ptrIjEEEEPS5_jNS1_19radix_merge_compareILb0ELb0EjNS0_19identity_decomposerEEEEE10hipError_tT0_T1_T2_jT3_P12ihipStream_tbPNSt15iterator_traitsISK_E10value_typeEPNSQ_ISL_E10value_typeEPSM_NS1_7vsmem_tEENKUlT_SK_SL_SM_E_clISE_PjSF_SF_EESJ_SZ_SK_SL_SM_EUlSZ_E0_NS1_11comp_targetILNS1_3genE10ELNS1_11target_archE1201ELNS1_3gpuE5ELNS1_3repE0EEENS1_38merge_mergepath_config_static_selectorELNS0_4arch9wavefront6targetE1EEEvSL_
                                        ; -- End function
	.section	.AMDGPU.csdata,"",@progbits
; Kernel info:
; codeLenInByte = 0
; NumSgprs: 6
; NumVgprs: 0
; NumAgprs: 0
; TotalNumVgprs: 0
; ScratchSize: 0
; MemoryBound: 0
; FloatMode: 240
; IeeeMode: 1
; LDSByteSize: 0 bytes/workgroup (compile time only)
; SGPRBlocks: 0
; VGPRBlocks: 0
; NumSGPRsForWavesPerEU: 6
; NumVGPRsForWavesPerEU: 1
; AccumOffset: 4
; Occupancy: 8
; WaveLimiterHint : 0
; COMPUTE_PGM_RSRC2:SCRATCH_EN: 0
; COMPUTE_PGM_RSRC2:USER_SGPR: 2
; COMPUTE_PGM_RSRC2:TRAP_HANDLER: 0
; COMPUTE_PGM_RSRC2:TGID_X_EN: 1
; COMPUTE_PGM_RSRC2:TGID_Y_EN: 0
; COMPUTE_PGM_RSRC2:TGID_Z_EN: 0
; COMPUTE_PGM_RSRC2:TIDIG_COMP_CNT: 0
; COMPUTE_PGM_RSRC3_GFX90A:ACCUM_OFFSET: 0
; COMPUTE_PGM_RSRC3_GFX90A:TG_SPLIT: 0
	.section	.text._ZN7rocprim17ROCPRIM_400000_NS6detail17trampoline_kernelINS0_14default_configENS1_38merge_sort_block_merge_config_selectorIjNS0_10empty_typeEEEZZNS1_27merge_sort_block_merge_implIS3_N6thrust23THRUST_200600_302600_NS6detail15normal_iteratorINS9_10device_ptrIjEEEEPS5_jNS1_19radix_merge_compareILb0ELb0EjNS0_19identity_decomposerEEEEE10hipError_tT0_T1_T2_jT3_P12ihipStream_tbPNSt15iterator_traitsISK_E10value_typeEPNSQ_ISL_E10value_typeEPSM_NS1_7vsmem_tEENKUlT_SK_SL_SM_E_clISE_PjSF_SF_EESJ_SZ_SK_SL_SM_EUlSZ_E0_NS1_11comp_targetILNS1_3genE5ELNS1_11target_archE942ELNS1_3gpuE9ELNS1_3repE0EEENS1_38merge_mergepath_config_static_selectorELNS0_4arch9wavefront6targetE1EEEvSL_,"axG",@progbits,_ZN7rocprim17ROCPRIM_400000_NS6detail17trampoline_kernelINS0_14default_configENS1_38merge_sort_block_merge_config_selectorIjNS0_10empty_typeEEEZZNS1_27merge_sort_block_merge_implIS3_N6thrust23THRUST_200600_302600_NS6detail15normal_iteratorINS9_10device_ptrIjEEEEPS5_jNS1_19radix_merge_compareILb0ELb0EjNS0_19identity_decomposerEEEEE10hipError_tT0_T1_T2_jT3_P12ihipStream_tbPNSt15iterator_traitsISK_E10value_typeEPNSQ_ISL_E10value_typeEPSM_NS1_7vsmem_tEENKUlT_SK_SL_SM_E_clISE_PjSF_SF_EESJ_SZ_SK_SL_SM_EUlSZ_E0_NS1_11comp_targetILNS1_3genE5ELNS1_11target_archE942ELNS1_3gpuE9ELNS1_3repE0EEENS1_38merge_mergepath_config_static_selectorELNS0_4arch9wavefront6targetE1EEEvSL_,comdat
	.protected	_ZN7rocprim17ROCPRIM_400000_NS6detail17trampoline_kernelINS0_14default_configENS1_38merge_sort_block_merge_config_selectorIjNS0_10empty_typeEEEZZNS1_27merge_sort_block_merge_implIS3_N6thrust23THRUST_200600_302600_NS6detail15normal_iteratorINS9_10device_ptrIjEEEEPS5_jNS1_19radix_merge_compareILb0ELb0EjNS0_19identity_decomposerEEEEE10hipError_tT0_T1_T2_jT3_P12ihipStream_tbPNSt15iterator_traitsISK_E10value_typeEPNSQ_ISL_E10value_typeEPSM_NS1_7vsmem_tEENKUlT_SK_SL_SM_E_clISE_PjSF_SF_EESJ_SZ_SK_SL_SM_EUlSZ_E0_NS1_11comp_targetILNS1_3genE5ELNS1_11target_archE942ELNS1_3gpuE9ELNS1_3repE0EEENS1_38merge_mergepath_config_static_selectorELNS0_4arch9wavefront6targetE1EEEvSL_ ; -- Begin function _ZN7rocprim17ROCPRIM_400000_NS6detail17trampoline_kernelINS0_14default_configENS1_38merge_sort_block_merge_config_selectorIjNS0_10empty_typeEEEZZNS1_27merge_sort_block_merge_implIS3_N6thrust23THRUST_200600_302600_NS6detail15normal_iteratorINS9_10device_ptrIjEEEEPS5_jNS1_19radix_merge_compareILb0ELb0EjNS0_19identity_decomposerEEEEE10hipError_tT0_T1_T2_jT3_P12ihipStream_tbPNSt15iterator_traitsISK_E10value_typeEPNSQ_ISL_E10value_typeEPSM_NS1_7vsmem_tEENKUlT_SK_SL_SM_E_clISE_PjSF_SF_EESJ_SZ_SK_SL_SM_EUlSZ_E0_NS1_11comp_targetILNS1_3genE5ELNS1_11target_archE942ELNS1_3gpuE9ELNS1_3repE0EEENS1_38merge_mergepath_config_static_selectorELNS0_4arch9wavefront6targetE1EEEvSL_
	.globl	_ZN7rocprim17ROCPRIM_400000_NS6detail17trampoline_kernelINS0_14default_configENS1_38merge_sort_block_merge_config_selectorIjNS0_10empty_typeEEEZZNS1_27merge_sort_block_merge_implIS3_N6thrust23THRUST_200600_302600_NS6detail15normal_iteratorINS9_10device_ptrIjEEEEPS5_jNS1_19radix_merge_compareILb0ELb0EjNS0_19identity_decomposerEEEEE10hipError_tT0_T1_T2_jT3_P12ihipStream_tbPNSt15iterator_traitsISK_E10value_typeEPNSQ_ISL_E10value_typeEPSM_NS1_7vsmem_tEENKUlT_SK_SL_SM_E_clISE_PjSF_SF_EESJ_SZ_SK_SL_SM_EUlSZ_E0_NS1_11comp_targetILNS1_3genE5ELNS1_11target_archE942ELNS1_3gpuE9ELNS1_3repE0EEENS1_38merge_mergepath_config_static_selectorELNS0_4arch9wavefront6targetE1EEEvSL_
	.p2align	8
	.type	_ZN7rocprim17ROCPRIM_400000_NS6detail17trampoline_kernelINS0_14default_configENS1_38merge_sort_block_merge_config_selectorIjNS0_10empty_typeEEEZZNS1_27merge_sort_block_merge_implIS3_N6thrust23THRUST_200600_302600_NS6detail15normal_iteratorINS9_10device_ptrIjEEEEPS5_jNS1_19radix_merge_compareILb0ELb0EjNS0_19identity_decomposerEEEEE10hipError_tT0_T1_T2_jT3_P12ihipStream_tbPNSt15iterator_traitsISK_E10value_typeEPNSQ_ISL_E10value_typeEPSM_NS1_7vsmem_tEENKUlT_SK_SL_SM_E_clISE_PjSF_SF_EESJ_SZ_SK_SL_SM_EUlSZ_E0_NS1_11comp_targetILNS1_3genE5ELNS1_11target_archE942ELNS1_3gpuE9ELNS1_3repE0EEENS1_38merge_mergepath_config_static_selectorELNS0_4arch9wavefront6targetE1EEEvSL_,@function
_ZN7rocprim17ROCPRIM_400000_NS6detail17trampoline_kernelINS0_14default_configENS1_38merge_sort_block_merge_config_selectorIjNS0_10empty_typeEEEZZNS1_27merge_sort_block_merge_implIS3_N6thrust23THRUST_200600_302600_NS6detail15normal_iteratorINS9_10device_ptrIjEEEEPS5_jNS1_19radix_merge_compareILb0ELb0EjNS0_19identity_decomposerEEEEE10hipError_tT0_T1_T2_jT3_P12ihipStream_tbPNSt15iterator_traitsISK_E10value_typeEPNSQ_ISL_E10value_typeEPSM_NS1_7vsmem_tEENKUlT_SK_SL_SM_E_clISE_PjSF_SF_EESJ_SZ_SK_SL_SM_EUlSZ_E0_NS1_11comp_targetILNS1_3genE5ELNS1_11target_archE942ELNS1_3gpuE9ELNS1_3repE0EEENS1_38merge_mergepath_config_static_selectorELNS0_4arch9wavefront6targetE1EEEvSL_: ; @_ZN7rocprim17ROCPRIM_400000_NS6detail17trampoline_kernelINS0_14default_configENS1_38merge_sort_block_merge_config_selectorIjNS0_10empty_typeEEEZZNS1_27merge_sort_block_merge_implIS3_N6thrust23THRUST_200600_302600_NS6detail15normal_iteratorINS9_10device_ptrIjEEEEPS5_jNS1_19radix_merge_compareILb0ELb0EjNS0_19identity_decomposerEEEEE10hipError_tT0_T1_T2_jT3_P12ihipStream_tbPNSt15iterator_traitsISK_E10value_typeEPNSQ_ISL_E10value_typeEPSM_NS1_7vsmem_tEENKUlT_SK_SL_SM_E_clISE_PjSF_SF_EESJ_SZ_SK_SL_SM_EUlSZ_E0_NS1_11comp_targetILNS1_3genE5ELNS1_11target_archE942ELNS1_3gpuE9ELNS1_3repE0EEENS1_38merge_mergepath_config_static_selectorELNS0_4arch9wavefront6targetE1EEEvSL_
; %bb.0:
	s_load_dwordx2 s[12:13], s[0:1], 0x40
	s_load_dword s5, s[0:1], 0x30
	s_add_u32 s8, s0, 64
	s_addc_u32 s9, s1, 0
	s_waitcnt lgkmcnt(0)
	s_mul_i32 s4, s13, s4
	s_add_i32 s3, s4, s3
	s_mul_i32 s3, s3, s12
	s_add_i32 s10, s3, s2
	s_cmp_ge_u32 s10, s5
	s_cbranch_scc1 .LBB1003_43
; %bb.1:
	s_load_dwordx2 s[14:15], s[0:1], 0x28
	s_load_dwordx2 s[4:5], s[0:1], 0x38
	;; [unrolled: 1-line block ×3, first 2 shown]
	s_mov_b32 s11, 0
	v_mov_b32_e32 v9, 0
	s_waitcnt lgkmcnt(0)
	s_lshr_b32 s22, s14, 10
	s_cmp_lg_u32 s10, s22
	s_cselect_b64 s[18:19], -1, 0
	s_lshl_b64 s[16:17], s[10:11], 2
	s_add_u32 s4, s4, s16
	s_addc_u32 s5, s5, s17
	s_lshr_b32 s3, s15, 9
	s_and_b32 s3, s3, 0x7ffffe
	s_load_dwordx2 s[4:5], s[4:5], 0x0
	s_sub_i32 s3, 0, s3
	s_and_b32 s13, s10, s3
	s_lshl_b32 s17, s13, 10
	s_lshl_b32 s16, s10, 10
	;; [unrolled: 1-line block ×3, first 2 shown]
	s_sub_i32 s20, s16, s17
	s_add_i32 s13, s13, s15
	s_add_i32 s21, s13, s20
	s_waitcnt lgkmcnt(0)
	s_sub_i32 s20, s21, s4
	s_sub_i32 s21, s21, s5
	;; [unrolled: 1-line block ×3, first 2 shown]
	s_min_u32 s20, s14, s20
	s_addk_i32 s21, 0x400
	s_or_b32 s3, s10, s3
	s_min_u32 s17, s14, s13
	s_add_i32 s13, s13, s15
	s_cmp_eq_u32 s3, -1
	s_cselect_b32 s3, s13, s21
	s_cselect_b32 s5, s17, s5
	s_min_u32 s3, s3, s14
	s_sub_i32 s15, s5, s4
	s_mov_b32 s5, s11
	s_sub_i32 s13, s3, s20
	s_lshl_b64 s[4:5], s[4:5], 2
	s_add_u32 s4, s6, s4
	s_mov_b32 s21, s11
	s_addc_u32 s5, s7, s5
	s_lshl_b64 s[20:21], s[20:21], 2
	s_add_u32 s6, s6, s20
	s_addc_u32 s7, s7, s21
	s_cmp_lt_u32 s2, s12
	s_cselect_b32 s2, 12, 18
	global_load_dword v1, v9, s[8:9] offset:14
	s_add_u32 s2, s8, s2
	s_addc_u32 s3, s9, 0
	global_load_ushort v2, v9, s[2:3]
	s_cmp_eq_u32 s10, s22
	v_lshlrev_b32_e32 v10, 2, v0
	s_waitcnt vmcnt(1)
	v_lshrrev_b32_e32 v3, 16, v1
	v_and_b32_e32 v1, 0xffff, v1
	v_mul_lo_u32 v1, v1, v3
	s_waitcnt vmcnt(0)
	v_mul_lo_u32 v1, v1, v2
	v_add_u32_e32 v14, v1, v0
	v_add_u32_e32 v12, v14, v1
	s_cbranch_scc1 .LBB1003_3
; %bb.2:
	v_subrev_u32_e32 v8, s15, v0
	v_mov_b32_e32 v11, v9
	v_lshl_add_u64 v[2:3], v[8:9], 2, s[6:7]
	v_lshl_add_u64 v[4:5], s[4:5], 0, v[10:11]
	v_cmp_gt_u32_e32 vcc, s15, v0
	v_subrev_u32_e32 v8, s15, v14
	v_mov_b32_e32 v15, v9
	v_cndmask_b32_e32 v3, v3, v5, vcc
	v_cndmask_b32_e32 v2, v2, v4, vcc
	v_lshl_add_u64 v[4:5], v[8:9], 2, s[6:7]
	v_lshl_add_u64 v[6:7], v[14:15], 2, s[4:5]
	v_cmp_gt_u32_e32 vcc, s15, v14
	v_subrev_u32_e32 v8, s15, v12
	v_mov_b32_e32 v13, v9
	v_cndmask_b32_e32 v5, v5, v7, vcc
	v_cndmask_b32_e32 v4, v4, v6, vcc
	global_load_dword v2, v[2:3], off
	v_lshl_add_u64 v[6:7], v[12:13], 2, s[4:5]
	global_load_dword v3, v[4:5], off
	v_lshl_add_u64 v[4:5], v[8:9], 2, s[6:7]
	v_cmp_gt_u32_e32 vcc, s15, v12
	s_add_i32 s10, s13, s15
	s_nop 0
	v_cndmask_b32_e32 v4, v4, v6, vcc
	v_add_u32_e32 v6, v12, v1
	v_cndmask_b32_e32 v5, v5, v7, vcc
	v_subrev_u32_e32 v8, s15, v6
	v_mov_b32_e32 v7, v9
	v_lshl_add_u64 v[16:17], v[8:9], 2, s[6:7]
	v_lshl_add_u64 v[18:19], v[6:7], 2, s[4:5]
	v_cmp_gt_u32_e32 vcc, s15, v6
	global_load_dword v4, v[4:5], off
	s_mov_b64 s[2:3], -1
	v_cndmask_b32_e32 v17, v17, v19, vcc
	v_cndmask_b32_e32 v16, v16, v18, vcc
	global_load_dword v5, v[16:17], off
	v_add_u32_e32 v16, v6, v1
	v_mov_b32_e32 v17, v9
	v_subrev_u32_e32 v8, s15, v16
	v_lshl_add_u64 v[18:19], v[16:17], 2, s[4:5]
	v_cmp_gt_u32_e32 vcc, s15, v16
	v_add_u32_e32 v16, v16, v1
	v_lshl_add_u64 v[6:7], v[8:9], 2, s[6:7]
	v_subrev_u32_e32 v8, s15, v16
	v_cndmask_b32_e32 v7, v7, v19, vcc
	v_cndmask_b32_e32 v6, v6, v18, vcc
	v_lshl_add_u64 v[18:19], v[8:9], 2, s[6:7]
	v_lshl_add_u64 v[20:21], v[16:17], 2, s[4:5]
	v_cmp_gt_u32_e32 vcc, s15, v16
	v_add_u32_e32 v16, v16, v1
	v_subrev_u32_e32 v8, s15, v16
	v_cndmask_b32_e32 v19, v19, v21, vcc
	v_cndmask_b32_e32 v18, v18, v20, vcc
	global_load_dword v6, v[6:7], off
	v_cmp_gt_u32_e32 vcc, s15, v16
	global_load_dword v7, v[18:19], off
	v_lshl_add_u64 v[18:19], v[8:9], 2, s[6:7]
	v_lshl_add_u64 v[8:9], v[16:17], 2, s[4:5]
	v_cndmask_b32_e32 v9, v19, v9, vcc
	v_cndmask_b32_e32 v8, v18, v8, vcc
	global_load_dword v8, v[8:9], off
	v_add_u32_e32 v16, v16, v1
	s_cbranch_execz .LBB1003_4
	s_branch .LBB1003_17
.LBB1003_3:
	s_mov_b64 s[2:3], 0
                                        ; implicit-def: $vgpr16
                                        ; implicit-def: $vgpr2_vgpr3_vgpr4_vgpr5_vgpr6_vgpr7_vgpr8_vgpr9
                                        ; implicit-def: $sgpr10
.LBB1003_4:
	s_add_i32 s10, s13, s15
	v_cmp_gt_u32_e32 vcc, s10, v0
                                        ; implicit-def: $vgpr2_vgpr3_vgpr4_vgpr5_vgpr6_vgpr7_vgpr8_vgpr9
	s_and_saveexec_b64 s[2:3], vcc
	s_cbranch_execnz .LBB1003_44
; %bb.5:
	s_or_b64 exec, exec, s[2:3]
	v_cmp_gt_u32_e32 vcc, s10, v14
	s_and_saveexec_b64 s[2:3], vcc
	s_cbranch_execnz .LBB1003_45
.LBB1003_6:
	s_or_b64 exec, exec, s[2:3]
	v_cmp_gt_u32_e32 vcc, s10, v12
	s_and_saveexec_b64 s[2:3], vcc
	s_cbranch_execz .LBB1003_8
.LBB1003_7:
	v_mov_b32_e32 v13, 0
	v_subrev_u32_e32 v16, s15, v12
	v_mov_b32_e32 v17, v13
	v_lshl_add_u64 v[14:15], v[12:13], 2, s[4:5]
	v_lshl_add_u64 v[16:17], v[16:17], 2, s[6:7]
	v_cmp_gt_u32_e32 vcc, s15, v12
	s_nop 1
	v_cndmask_b32_e32 v15, v17, v15, vcc
	v_cndmask_b32_e32 v14, v16, v14, vcc
	global_load_dword v4, v[14:15], off
.LBB1003_8:
	s_or_b64 exec, exec, s[2:3]
	v_add_u32_e32 v12, v12, v1
	v_cmp_gt_u32_e32 vcc, s10, v12
	s_and_saveexec_b64 s[2:3], vcc
	s_cbranch_execz .LBB1003_10
; %bb.9:
	v_mov_b32_e32 v13, 0
	v_subrev_u32_e32 v16, s15, v12
	v_mov_b32_e32 v17, v13
	v_lshl_add_u64 v[14:15], v[12:13], 2, s[4:5]
	v_lshl_add_u64 v[16:17], v[16:17], 2, s[6:7]
	v_cmp_gt_u32_e32 vcc, s15, v12
	s_nop 1
	v_cndmask_b32_e32 v15, v17, v15, vcc
	v_cndmask_b32_e32 v14, v16, v14, vcc
	global_load_dword v5, v[14:15], off
.LBB1003_10:
	s_or_b64 exec, exec, s[2:3]
	v_add_u32_e32 v12, v12, v1
	v_cmp_gt_u32_e32 vcc, s10, v12
	s_and_saveexec_b64 s[2:3], vcc
	s_cbranch_execz .LBB1003_12
; %bb.11:
	v_mov_b32_e32 v13, 0
	v_subrev_u32_e32 v16, s15, v12
	v_mov_b32_e32 v17, v13
	v_lshl_add_u64 v[14:15], v[12:13], 2, s[4:5]
	v_lshl_add_u64 v[16:17], v[16:17], 2, s[6:7]
	v_cmp_gt_u32_e32 vcc, s15, v12
	s_nop 1
	v_cndmask_b32_e32 v15, v17, v15, vcc
	v_cndmask_b32_e32 v14, v16, v14, vcc
	global_load_dword v6, v[14:15], off
.LBB1003_12:
	;; [unrolled: 17-line block ×4, first 2 shown]
	s_or_b64 exec, exec, s[2:3]
	v_add_u32_e32 v16, v12, v1
	v_cmp_gt_u32_e64 s[2:3], s10, v16
.LBB1003_17:
	v_mov_b32_e32 v11, s10
	s_and_saveexec_b64 s[8:9], s[2:3]
	s_cbranch_execz .LBB1003_19
; %bb.18:
	v_mov_b32_e32 v13, 0
	v_subrev_u32_e32 v12, s15, v16
	v_mov_b32_e32 v17, v13
	v_lshl_add_u64 v[14:15], v[12:13], 2, s[6:7]
	v_lshl_add_u64 v[12:13], v[16:17], 2, s[4:5]
	v_cmp_gt_u32_e32 vcc, s15, v16
	v_mov_b32_e32 v11, s10
	s_nop 0
	v_cndmask_b32_e32 v13, v15, v13, vcc
	v_cndmask_b32_e32 v12, v14, v12, vcc
	global_load_dword v9, v[12:13], off
.LBB1003_19:
	s_or_b64 exec, exec, s[8:9]
	s_load_dwordx2 s[20:21], s[0:1], 0x10
	v_lshlrev_b32_e32 v1, 3, v0
	v_min_u32_e32 v13, v11, v1
	v_sub_u32_e64 v12, v13, s13 clamp
	v_min_u32_e32 v14, s15, v13
	v_cmp_lt_u32_e32 vcc, v12, v14
	s_waitcnt vmcnt(0)
	ds_write2st64_b32 v10, v2, v3 offset1:2
	ds_write2st64_b32 v10, v4, v5 offset0:4 offset1:6
	ds_write2st64_b32 v10, v6, v7 offset0:8 offset1:10
	;; [unrolled: 1-line block ×3, first 2 shown]
	s_waitcnt lgkmcnt(0)
	s_barrier
	s_and_saveexec_b64 s[0:1], vcc
	s_cbranch_execz .LBB1003_23
; %bb.20:
	v_lshlrev_b32_e32 v15, 2, v13
	v_lshl_add_u32 v15, s15, 2, v15
	s_mov_b64 s[2:3], 0
.LBB1003_21:                            ; =>This Inner Loop Header: Depth=1
	v_add_u32_e32 v16, v14, v12
	v_lshrrev_b32_e32 v16, 1, v16
	v_not_b32_e32 v17, v16
	v_lshlrev_b32_e32 v18, 2, v16
	v_lshl_add_u32 v17, v17, 2, v15
	ds_read_b32 v18, v18
	ds_read_b32 v17, v17
	v_add_u32_e32 v19, 1, v16
	s_waitcnt lgkmcnt(0)
	v_cmp_gt_u32_e32 vcc, v18, v17
	s_nop 1
	v_cndmask_b32_e32 v14, v14, v16, vcc
	v_cndmask_b32_e32 v12, v19, v12, vcc
	v_cmp_ge_u32_e32 vcc, v12, v14
	s_or_b64 s[2:3], vcc, s[2:3]
	s_andn2_b64 exec, exec, s[2:3]
	s_cbranch_execnz .LBB1003_21
; %bb.22:
	s_or_b64 exec, exec, s[2:3]
.LBB1003_23:
	s_or_b64 exec, exec, s[0:1]
	v_sub_u32_e32 v13, v13, v12
	v_add_u32_e32 v13, s15, v13
	v_cmp_ge_u32_e32 vcc, s15, v12
	v_cmp_le_u32_e64 s[0:1], v13, v11
	s_or_b64 s[0:1], vcc, s[0:1]
	s_and_saveexec_b64 s[22:23], s[0:1]
	s_cbranch_execz .LBB1003_29
; %bb.24:
	v_cmp_gt_u32_e32 vcc, s15, v12
                                        ; implicit-def: $vgpr2
	s_and_saveexec_b64 s[0:1], vcc
	s_cbranch_execz .LBB1003_26
; %bb.25:
	v_lshlrev_b32_e32 v2, 2, v12
	ds_read_b32 v2, v2
.LBB1003_26:
	s_or_b64 exec, exec, s[0:1]
	v_cmp_ge_u32_e64 s[0:1], v13, v11
	v_cmp_lt_u32_e64 s[2:3], v13, v11
                                        ; implicit-def: $vgpr3
	s_and_saveexec_b64 s[4:5], s[2:3]
	s_cbranch_execz .LBB1003_28
; %bb.27:
	v_lshlrev_b32_e32 v3, 2, v13
	ds_read_b32 v3, v3
.LBB1003_28:
	s_or_b64 exec, exec, s[4:5]
	s_waitcnt lgkmcnt(0)
	v_cmp_le_u32_e64 s[2:3], v2, v3
	s_and_b64 s[2:3], vcc, s[2:3]
	s_or_b64 vcc, s[0:1], s[2:3]
	v_mov_b32_e32 v5, s15
	v_cndmask_b32_e32 v4, v13, v12, vcc
	v_cndmask_b32_e32 v6, v11, v5, vcc
	v_add_u32_e32 v4, 1, v4
	v_add_u32_e32 v6, -1, v6
	v_min_u32_e32 v6, v4, v6
	v_lshlrev_b32_e32 v6, 2, v6
	ds_read_b32 v6, v6
	v_cndmask_b32_e32 v8, v4, v13, vcc
	v_cndmask_b32_e32 v4, v12, v4, vcc
	v_cmp_gt_u32_e64 s[2:3], s15, v4
	v_cmp_ge_u32_e64 s[0:1], v8, v11
	s_waitcnt lgkmcnt(0)
	v_cndmask_b32_e32 v7, v6, v3, vcc
	v_cndmask_b32_e32 v6, v2, v6, vcc
	v_cmp_le_u32_e64 s[4:5], v6, v7
	s_and_b64 s[2:3], s[2:3], s[4:5]
	s_or_b64 s[0:1], s[0:1], s[2:3]
	v_cndmask_b32_e64 v9, v8, v4, s[0:1]
	v_cndmask_b32_e64 v12, v11, v5, s[0:1]
	v_add_u32_e32 v9, 1, v9
	v_add_u32_e32 v12, -1, v12
	v_min_u32_e32 v12, v9, v12
	v_lshlrev_b32_e32 v12, 2, v12
	ds_read_b32 v12, v12
	v_cndmask_b32_e64 v4, v4, v9, s[0:1]
	v_cndmask_b32_e64 v8, v9, v8, s[0:1]
	v_cmp_gt_u32_e64 s[4:5], s15, v4
	v_cmp_ge_u32_e64 s[2:3], v8, v11
	s_waitcnt lgkmcnt(0)
	v_cndmask_b32_e64 v13, v12, v7, s[0:1]
	v_cndmask_b32_e64 v12, v6, v12, s[0:1]
	v_cmp_le_u32_e64 s[6:7], v12, v13
	s_and_b64 s[4:5], s[4:5], s[6:7]
	s_or_b64 s[2:3], s[2:3], s[4:5]
	v_cndmask_b32_e64 v9, v8, v4, s[2:3]
	v_cndmask_b32_e64 v14, v11, v5, s[2:3]
	v_add_u32_e32 v9, 1, v9
	v_add_u32_e32 v14, -1, v14
	v_min_u32_e32 v14, v9, v14
	v_lshlrev_b32_e32 v14, 2, v14
	ds_read_b32 v14, v14
	v_cndmask_b32_e64 v4, v4, v9, s[2:3]
	v_cndmask_b32_e64 v8, v9, v8, s[2:3]
	v_cmp_gt_u32_e64 s[6:7], s15, v4
	v_cmp_ge_u32_e64 s[4:5], v8, v11
	s_waitcnt lgkmcnt(0)
	v_cndmask_b32_e64 v15, v14, v13, s[2:3]
	v_cndmask_b32_e64 v14, v12, v14, s[2:3]
	;; [unrolled: 17-line block ×4, first 2 shown]
	v_cmp_le_u32_e64 s[12:13], v18, v19
	s_and_b64 s[10:11], s[10:11], s[12:13]
	s_or_b64 s[8:9], s[8:9], s[10:11]
	v_cndmask_b32_e64 v4, v8, v9, s[8:9]
	v_cndmask_b32_e64 v20, v11, v5, s[8:9]
	v_add_u32_e32 v21, 1, v4
	v_add_u32_e32 v4, -1, v20
	v_min_u32_e32 v4, v21, v4
	v_lshlrev_b32_e32 v4, 2, v4
	ds_read_b32 v20, v4
	v_cndmask_b32_e64 v4, v13, v12, s[2:3]
	v_cndmask_b32_e64 v9, v9, v21, s[8:9]
	v_cndmask_b32_e32 v2, v3, v2, vcc
	v_cndmask_b32_e64 v3, v7, v6, s[0:1]
	s_waitcnt lgkmcnt(0)
	v_cndmask_b32_e64 v12, v20, v19, s[8:9]
	v_cndmask_b32_e64 v13, v18, v20, s[8:9]
	;; [unrolled: 1-line block ×3, first 2 shown]
	v_cmp_gt_u32_e64 s[0:1], s15, v9
	v_cmp_le_u32_e64 s[2:3], v13, v12
	v_cmp_ge_u32_e32 vcc, v20, v11
	s_and_b64 s[0:1], s[0:1], s[2:3]
	s_or_b64 vcc, vcc, s[0:1]
	v_cndmask_b32_e32 v6, v20, v9, vcc
	v_cndmask_b32_e32 v5, v11, v5, vcc
	v_add_u32_e32 v21, 1, v6
	v_add_u32_e32 v5, -1, v5
	v_min_u32_e32 v5, v21, v5
	v_lshlrev_b32_e32 v5, 2, v5
	ds_read_b32 v22, v5
	v_cndmask_b32_e32 v8, v12, v13, vcc
	v_cndmask_b32_e32 v9, v9, v21, vcc
	v_cndmask_b32_e64 v5, v15, v14, s[4:5]
	v_cndmask_b32_e32 v14, v21, v20, vcc
	s_waitcnt lgkmcnt(0)
	v_cndmask_b32_e32 v12, v22, v12, vcc
	v_cndmask_b32_e32 v13, v13, v22, vcc
	v_cmp_gt_u32_e64 s[0:1], s15, v9
	v_cmp_le_u32_e64 s[2:3], v13, v12
	v_cmp_ge_u32_e32 vcc, v14, v11
	s_and_b64 s[0:1], s[0:1], s[2:3]
	s_or_b64 vcc, vcc, s[0:1]
	v_cndmask_b32_e64 v6, v17, v16, s[6:7]
	v_cndmask_b32_e64 v7, v19, v18, s[8:9]
	v_cndmask_b32_e32 v9, v12, v13, vcc
.LBB1003_29:
	s_or_b64 exec, exec, s[22:23]
	v_and_b32_e32 v11, 0x7c, v0
	v_lshl_add_u32 v1, v1, 2, v11
	s_barrier
	s_barrier
	ds_write2_b32 v1, v2, v3 offset1:1
	ds_write2_b32 v1, v4, v5 offset0:2 offset1:3
	ds_write2_b32 v1, v6, v7 offset0:4 offset1:5
	;; [unrolled: 1-line block ×3, first 2 shown]
	v_lshrrev_b32_e32 v1, 3, v0
	v_and_b32_e32 v1, 12, v1
	v_or_b32_e32 v12, 0x80, v0
	v_add_u32_e32 v13, v10, v1
	v_lshrrev_b32_e32 v1, 3, v12
	v_and_b32_e32 v1, 28, v1
	v_or_b32_e32 v9, 0x100, v0
	v_add_u32_e32 v14, v10, v1
	;; [unrolled: 4-line block ×6, first 2 shown]
	v_lshrrev_b32_e32 v1, 3, v4
	s_mov_b32 s17, 0
	v_and_b32_e32 v1, 0x6c, v1
	s_lshl_b64 s[0:1], s[16:17], 2
	v_add_u32_e32 v19, v10, v1
	v_or_b32_e32 v1, 0x380, v0
	s_add_u32 s0, s20, s0
	v_lshrrev_b32_e32 v2, 3, v1
	s_addc_u32 s1, s21, s1
	v_and_b32_e32 v2, 0x7c, v2
	v_mov_b32_e32 v11, 0
	v_add_u32_e32 v20, v10, v2
	v_lshl_add_u64 v[2:3], s[0:1], 0, v[10:11]
	s_and_b64 vcc, exec, s[18:19]
	s_waitcnt lgkmcnt(0)
	s_cbranch_vccz .LBB1003_31
; %bb.30:
	s_barrier
	ds_read_b32 v10, v13
	ds_read_b32 v11, v14 offset:512
	ds_read_b32 v21, v15 offset:1024
	ds_read_b32 v22, v16 offset:1536
	ds_read_b32 v23, v17 offset:2048
	ds_read_b32 v24, v18 offset:2560
	ds_read_b32 v25, v19 offset:3072
	ds_read_b32 v7, v20 offset:3584
	s_waitcnt lgkmcnt(7)
	global_store_dword v[2:3], v10, off
	s_waitcnt lgkmcnt(6)
	global_store_dword v[2:3], v11, off offset:512
	s_waitcnt lgkmcnt(5)
	global_store_dword v[2:3], v21, off offset:1024
	;; [unrolled: 2-line block ×6, first 2 shown]
	s_mov_b64 s[0:1], -1
	s_cbranch_execz .LBB1003_32
	s_branch .LBB1003_41
.LBB1003_31:
	s_mov_b64 s[0:1], 0
                                        ; implicit-def: $vgpr7
.LBB1003_32:
	s_barrier
	s_waitcnt lgkmcnt(0)
	ds_read_b32 v22, v14 offset:512
	ds_read_b32 v21, v15 offset:1024
	;; [unrolled: 1-line block ×7, first 2 shown]
	s_sub_i32 s2, s14, s16
	v_cmp_gt_u32_e32 vcc, s2, v0
	s_and_saveexec_b64 s[0:1], vcc
	s_cbranch_execnz .LBB1003_46
; %bb.33:
	s_or_b64 exec, exec, s[0:1]
	v_cmp_gt_u32_e32 vcc, s2, v12
	s_and_saveexec_b64 s[0:1], vcc
	s_cbranch_execnz .LBB1003_47
.LBB1003_34:
	s_or_b64 exec, exec, s[0:1]
	v_cmp_gt_u32_e32 vcc, s2, v9
	s_and_saveexec_b64 s[0:1], vcc
	s_cbranch_execnz .LBB1003_48
.LBB1003_35:
	s_or_b64 exec, exec, s[0:1]
	v_cmp_gt_u32_e32 vcc, s2, v8
	s_and_saveexec_b64 s[0:1], vcc
	s_cbranch_execnz .LBB1003_49
.LBB1003_36:
	s_or_b64 exec, exec, s[0:1]
	v_cmp_gt_u32_e32 vcc, s2, v6
	s_and_saveexec_b64 s[0:1], vcc
	s_cbranch_execnz .LBB1003_50
.LBB1003_37:
	s_or_b64 exec, exec, s[0:1]
	v_cmp_gt_u32_e32 vcc, s2, v5
	s_and_saveexec_b64 s[0:1], vcc
	s_cbranch_execnz .LBB1003_51
.LBB1003_38:
	s_or_b64 exec, exec, s[0:1]
	v_cmp_gt_u32_e32 vcc, s2, v4
	s_and_saveexec_b64 s[0:1], vcc
	s_cbranch_execz .LBB1003_40
.LBB1003_39:
	s_waitcnt lgkmcnt(1)
	global_store_dword v[2:3], v10, off offset:3072
.LBB1003_40:
	s_or_b64 exec, exec, s[0:1]
	v_cmp_gt_u32_e64 s[0:1], s2, v1
.LBB1003_41:
	s_and_saveexec_b64 s[2:3], s[0:1]
	s_cbranch_execz .LBB1003_43
; %bb.42:
	s_waitcnt lgkmcnt(0)
	global_store_dword v[2:3], v7, off offset:3584
.LBB1003_43:
	s_endpgm
.LBB1003_44:
	v_mov_b32_e32 v11, 0
	s_waitcnt vmcnt(4)
	v_subrev_u32_e32 v4, s15, v0
	s_waitcnt vmcnt(3)
	v_mov_b32_e32 v5, v11
	v_lshl_add_u64 v[2:3], s[4:5], 0, v[10:11]
	v_lshl_add_u64 v[4:5], v[4:5], 2, s[6:7]
	v_cmp_gt_u32_e32 vcc, s15, v0
	s_nop 1
	v_cndmask_b32_e32 v3, v5, v3, vcc
	v_cndmask_b32_e32 v2, v4, v2, vcc
	global_load_dword v2, v[2:3], off
	s_or_b64 exec, exec, s[2:3]
	v_cmp_gt_u32_e32 vcc, s10, v14
	s_and_saveexec_b64 s[2:3], vcc
	s_cbranch_execz .LBB1003_6
.LBB1003_45:
	v_mov_b32_e32 v15, 0
	v_lshl_add_u64 v[16:17], v[14:15], 2, s[4:5]
	v_cmp_gt_u32_e32 vcc, s15, v14
	v_subrev_u32_e32 v14, s15, v14
	v_lshl_add_u64 v[14:15], v[14:15], 2, s[6:7]
	v_cndmask_b32_e32 v15, v15, v17, vcc
	v_cndmask_b32_e32 v14, v14, v16, vcc
	global_load_dword v3, v[14:15], off
	s_or_b64 exec, exec, s[2:3]
	v_cmp_gt_u32_e32 vcc, s10, v12
	s_and_saveexec_b64 s[2:3], vcc
	s_cbranch_execnz .LBB1003_7
	s_branch .LBB1003_8
.LBB1003_46:
	ds_read_b32 v0, v13
	s_waitcnt lgkmcnt(0)
	global_store_dword v[2:3], v0, off
	s_or_b64 exec, exec, s[0:1]
	v_cmp_gt_u32_e32 vcc, s2, v12
	s_and_saveexec_b64 s[0:1], vcc
	s_cbranch_execz .LBB1003_34
.LBB1003_47:
	s_waitcnt lgkmcnt(6)
	global_store_dword v[2:3], v22, off offset:512
	s_or_b64 exec, exec, s[0:1]
	v_cmp_gt_u32_e32 vcc, s2, v9
	s_and_saveexec_b64 s[0:1], vcc
	s_cbranch_execz .LBB1003_35
.LBB1003_48:
	s_waitcnt lgkmcnt(5)
	global_store_dword v[2:3], v21, off offset:1024
	s_or_b64 exec, exec, s[0:1]
	v_cmp_gt_u32_e32 vcc, s2, v8
	s_and_saveexec_b64 s[0:1], vcc
	s_cbranch_execz .LBB1003_36
.LBB1003_49:
	s_waitcnt lgkmcnt(4)
	global_store_dword v[2:3], v15, off offset:1536
	s_or_b64 exec, exec, s[0:1]
	v_cmp_gt_u32_e32 vcc, s2, v6
	s_and_saveexec_b64 s[0:1], vcc
	s_cbranch_execz .LBB1003_37
.LBB1003_50:
	s_waitcnt lgkmcnt(3)
	global_store_dword v[2:3], v14, off offset:2048
	s_or_b64 exec, exec, s[0:1]
	v_cmp_gt_u32_e32 vcc, s2, v5
	s_and_saveexec_b64 s[0:1], vcc
	s_cbranch_execz .LBB1003_38
.LBB1003_51:
	s_waitcnt lgkmcnt(2)
	global_store_dword v[2:3], v11, off offset:2560
	s_or_b64 exec, exec, s[0:1]
	v_cmp_gt_u32_e32 vcc, s2, v4
	s_and_saveexec_b64 s[0:1], vcc
	s_cbranch_execnz .LBB1003_39
	s_branch .LBB1003_40
	.section	.rodata,"a",@progbits
	.p2align	6, 0x0
	.amdhsa_kernel _ZN7rocprim17ROCPRIM_400000_NS6detail17trampoline_kernelINS0_14default_configENS1_38merge_sort_block_merge_config_selectorIjNS0_10empty_typeEEEZZNS1_27merge_sort_block_merge_implIS3_N6thrust23THRUST_200600_302600_NS6detail15normal_iteratorINS9_10device_ptrIjEEEEPS5_jNS1_19radix_merge_compareILb0ELb0EjNS0_19identity_decomposerEEEEE10hipError_tT0_T1_T2_jT3_P12ihipStream_tbPNSt15iterator_traitsISK_E10value_typeEPNSQ_ISL_E10value_typeEPSM_NS1_7vsmem_tEENKUlT_SK_SL_SM_E_clISE_PjSF_SF_EESJ_SZ_SK_SL_SM_EUlSZ_E0_NS1_11comp_targetILNS1_3genE5ELNS1_11target_archE942ELNS1_3gpuE9ELNS1_3repE0EEENS1_38merge_mergepath_config_static_selectorELNS0_4arch9wavefront6targetE1EEEvSL_
		.amdhsa_group_segment_fixed_size 4224
		.amdhsa_private_segment_fixed_size 0
		.amdhsa_kernarg_size 320
		.amdhsa_user_sgpr_count 2
		.amdhsa_user_sgpr_dispatch_ptr 0
		.amdhsa_user_sgpr_queue_ptr 0
		.amdhsa_user_sgpr_kernarg_segment_ptr 1
		.amdhsa_user_sgpr_dispatch_id 0
		.amdhsa_user_sgpr_kernarg_preload_length 0
		.amdhsa_user_sgpr_kernarg_preload_offset 0
		.amdhsa_user_sgpr_private_segment_size 0
		.amdhsa_uses_dynamic_stack 0
		.amdhsa_enable_private_segment 0
		.amdhsa_system_sgpr_workgroup_id_x 1
		.amdhsa_system_sgpr_workgroup_id_y 1
		.amdhsa_system_sgpr_workgroup_id_z 1
		.amdhsa_system_sgpr_workgroup_info 0
		.amdhsa_system_vgpr_workitem_id 0
		.amdhsa_next_free_vgpr 26
		.amdhsa_next_free_sgpr 24
		.amdhsa_accum_offset 28
		.amdhsa_reserve_vcc 1
		.amdhsa_float_round_mode_32 0
		.amdhsa_float_round_mode_16_64 0
		.amdhsa_float_denorm_mode_32 3
		.amdhsa_float_denorm_mode_16_64 3
		.amdhsa_dx10_clamp 1
		.amdhsa_ieee_mode 1
		.amdhsa_fp16_overflow 0
		.amdhsa_tg_split 0
		.amdhsa_exception_fp_ieee_invalid_op 0
		.amdhsa_exception_fp_denorm_src 0
		.amdhsa_exception_fp_ieee_div_zero 0
		.amdhsa_exception_fp_ieee_overflow 0
		.amdhsa_exception_fp_ieee_underflow 0
		.amdhsa_exception_fp_ieee_inexact 0
		.amdhsa_exception_int_div_zero 0
	.end_amdhsa_kernel
	.section	.text._ZN7rocprim17ROCPRIM_400000_NS6detail17trampoline_kernelINS0_14default_configENS1_38merge_sort_block_merge_config_selectorIjNS0_10empty_typeEEEZZNS1_27merge_sort_block_merge_implIS3_N6thrust23THRUST_200600_302600_NS6detail15normal_iteratorINS9_10device_ptrIjEEEEPS5_jNS1_19radix_merge_compareILb0ELb0EjNS0_19identity_decomposerEEEEE10hipError_tT0_T1_T2_jT3_P12ihipStream_tbPNSt15iterator_traitsISK_E10value_typeEPNSQ_ISL_E10value_typeEPSM_NS1_7vsmem_tEENKUlT_SK_SL_SM_E_clISE_PjSF_SF_EESJ_SZ_SK_SL_SM_EUlSZ_E0_NS1_11comp_targetILNS1_3genE5ELNS1_11target_archE942ELNS1_3gpuE9ELNS1_3repE0EEENS1_38merge_mergepath_config_static_selectorELNS0_4arch9wavefront6targetE1EEEvSL_,"axG",@progbits,_ZN7rocprim17ROCPRIM_400000_NS6detail17trampoline_kernelINS0_14default_configENS1_38merge_sort_block_merge_config_selectorIjNS0_10empty_typeEEEZZNS1_27merge_sort_block_merge_implIS3_N6thrust23THRUST_200600_302600_NS6detail15normal_iteratorINS9_10device_ptrIjEEEEPS5_jNS1_19radix_merge_compareILb0ELb0EjNS0_19identity_decomposerEEEEE10hipError_tT0_T1_T2_jT3_P12ihipStream_tbPNSt15iterator_traitsISK_E10value_typeEPNSQ_ISL_E10value_typeEPSM_NS1_7vsmem_tEENKUlT_SK_SL_SM_E_clISE_PjSF_SF_EESJ_SZ_SK_SL_SM_EUlSZ_E0_NS1_11comp_targetILNS1_3genE5ELNS1_11target_archE942ELNS1_3gpuE9ELNS1_3repE0EEENS1_38merge_mergepath_config_static_selectorELNS0_4arch9wavefront6targetE1EEEvSL_,comdat
.Lfunc_end1003:
	.size	_ZN7rocprim17ROCPRIM_400000_NS6detail17trampoline_kernelINS0_14default_configENS1_38merge_sort_block_merge_config_selectorIjNS0_10empty_typeEEEZZNS1_27merge_sort_block_merge_implIS3_N6thrust23THRUST_200600_302600_NS6detail15normal_iteratorINS9_10device_ptrIjEEEEPS5_jNS1_19radix_merge_compareILb0ELb0EjNS0_19identity_decomposerEEEEE10hipError_tT0_T1_T2_jT3_P12ihipStream_tbPNSt15iterator_traitsISK_E10value_typeEPNSQ_ISL_E10value_typeEPSM_NS1_7vsmem_tEENKUlT_SK_SL_SM_E_clISE_PjSF_SF_EESJ_SZ_SK_SL_SM_EUlSZ_E0_NS1_11comp_targetILNS1_3genE5ELNS1_11target_archE942ELNS1_3gpuE9ELNS1_3repE0EEENS1_38merge_mergepath_config_static_selectorELNS0_4arch9wavefront6targetE1EEEvSL_, .Lfunc_end1003-_ZN7rocprim17ROCPRIM_400000_NS6detail17trampoline_kernelINS0_14default_configENS1_38merge_sort_block_merge_config_selectorIjNS0_10empty_typeEEEZZNS1_27merge_sort_block_merge_implIS3_N6thrust23THRUST_200600_302600_NS6detail15normal_iteratorINS9_10device_ptrIjEEEEPS5_jNS1_19radix_merge_compareILb0ELb0EjNS0_19identity_decomposerEEEEE10hipError_tT0_T1_T2_jT3_P12ihipStream_tbPNSt15iterator_traitsISK_E10value_typeEPNSQ_ISL_E10value_typeEPSM_NS1_7vsmem_tEENKUlT_SK_SL_SM_E_clISE_PjSF_SF_EESJ_SZ_SK_SL_SM_EUlSZ_E0_NS1_11comp_targetILNS1_3genE5ELNS1_11target_archE942ELNS1_3gpuE9ELNS1_3repE0EEENS1_38merge_mergepath_config_static_selectorELNS0_4arch9wavefront6targetE1EEEvSL_
                                        ; -- End function
	.section	.AMDGPU.csdata,"",@progbits
; Kernel info:
; codeLenInByte = 3208
; NumSgprs: 30
; NumVgprs: 26
; NumAgprs: 0
; TotalNumVgprs: 26
; ScratchSize: 0
; MemoryBound: 0
; FloatMode: 240
; IeeeMode: 1
; LDSByteSize: 4224 bytes/workgroup (compile time only)
; SGPRBlocks: 3
; VGPRBlocks: 3
; NumSGPRsForWavesPerEU: 30
; NumVGPRsForWavesPerEU: 26
; AccumOffset: 28
; Occupancy: 8
; WaveLimiterHint : 1
; COMPUTE_PGM_RSRC2:SCRATCH_EN: 0
; COMPUTE_PGM_RSRC2:USER_SGPR: 2
; COMPUTE_PGM_RSRC2:TRAP_HANDLER: 0
; COMPUTE_PGM_RSRC2:TGID_X_EN: 1
; COMPUTE_PGM_RSRC2:TGID_Y_EN: 1
; COMPUTE_PGM_RSRC2:TGID_Z_EN: 1
; COMPUTE_PGM_RSRC2:TIDIG_COMP_CNT: 0
; COMPUTE_PGM_RSRC3_GFX90A:ACCUM_OFFSET: 6
; COMPUTE_PGM_RSRC3_GFX90A:TG_SPLIT: 0
	.section	.text._ZN7rocprim17ROCPRIM_400000_NS6detail17trampoline_kernelINS0_14default_configENS1_38merge_sort_block_merge_config_selectorIjNS0_10empty_typeEEEZZNS1_27merge_sort_block_merge_implIS3_N6thrust23THRUST_200600_302600_NS6detail15normal_iteratorINS9_10device_ptrIjEEEEPS5_jNS1_19radix_merge_compareILb0ELb0EjNS0_19identity_decomposerEEEEE10hipError_tT0_T1_T2_jT3_P12ihipStream_tbPNSt15iterator_traitsISK_E10value_typeEPNSQ_ISL_E10value_typeEPSM_NS1_7vsmem_tEENKUlT_SK_SL_SM_E_clISE_PjSF_SF_EESJ_SZ_SK_SL_SM_EUlSZ_E0_NS1_11comp_targetILNS1_3genE4ELNS1_11target_archE910ELNS1_3gpuE8ELNS1_3repE0EEENS1_38merge_mergepath_config_static_selectorELNS0_4arch9wavefront6targetE1EEEvSL_,"axG",@progbits,_ZN7rocprim17ROCPRIM_400000_NS6detail17trampoline_kernelINS0_14default_configENS1_38merge_sort_block_merge_config_selectorIjNS0_10empty_typeEEEZZNS1_27merge_sort_block_merge_implIS3_N6thrust23THRUST_200600_302600_NS6detail15normal_iteratorINS9_10device_ptrIjEEEEPS5_jNS1_19radix_merge_compareILb0ELb0EjNS0_19identity_decomposerEEEEE10hipError_tT0_T1_T2_jT3_P12ihipStream_tbPNSt15iterator_traitsISK_E10value_typeEPNSQ_ISL_E10value_typeEPSM_NS1_7vsmem_tEENKUlT_SK_SL_SM_E_clISE_PjSF_SF_EESJ_SZ_SK_SL_SM_EUlSZ_E0_NS1_11comp_targetILNS1_3genE4ELNS1_11target_archE910ELNS1_3gpuE8ELNS1_3repE0EEENS1_38merge_mergepath_config_static_selectorELNS0_4arch9wavefront6targetE1EEEvSL_,comdat
	.protected	_ZN7rocprim17ROCPRIM_400000_NS6detail17trampoline_kernelINS0_14default_configENS1_38merge_sort_block_merge_config_selectorIjNS0_10empty_typeEEEZZNS1_27merge_sort_block_merge_implIS3_N6thrust23THRUST_200600_302600_NS6detail15normal_iteratorINS9_10device_ptrIjEEEEPS5_jNS1_19radix_merge_compareILb0ELb0EjNS0_19identity_decomposerEEEEE10hipError_tT0_T1_T2_jT3_P12ihipStream_tbPNSt15iterator_traitsISK_E10value_typeEPNSQ_ISL_E10value_typeEPSM_NS1_7vsmem_tEENKUlT_SK_SL_SM_E_clISE_PjSF_SF_EESJ_SZ_SK_SL_SM_EUlSZ_E0_NS1_11comp_targetILNS1_3genE4ELNS1_11target_archE910ELNS1_3gpuE8ELNS1_3repE0EEENS1_38merge_mergepath_config_static_selectorELNS0_4arch9wavefront6targetE1EEEvSL_ ; -- Begin function _ZN7rocprim17ROCPRIM_400000_NS6detail17trampoline_kernelINS0_14default_configENS1_38merge_sort_block_merge_config_selectorIjNS0_10empty_typeEEEZZNS1_27merge_sort_block_merge_implIS3_N6thrust23THRUST_200600_302600_NS6detail15normal_iteratorINS9_10device_ptrIjEEEEPS5_jNS1_19radix_merge_compareILb0ELb0EjNS0_19identity_decomposerEEEEE10hipError_tT0_T1_T2_jT3_P12ihipStream_tbPNSt15iterator_traitsISK_E10value_typeEPNSQ_ISL_E10value_typeEPSM_NS1_7vsmem_tEENKUlT_SK_SL_SM_E_clISE_PjSF_SF_EESJ_SZ_SK_SL_SM_EUlSZ_E0_NS1_11comp_targetILNS1_3genE4ELNS1_11target_archE910ELNS1_3gpuE8ELNS1_3repE0EEENS1_38merge_mergepath_config_static_selectorELNS0_4arch9wavefront6targetE1EEEvSL_
	.globl	_ZN7rocprim17ROCPRIM_400000_NS6detail17trampoline_kernelINS0_14default_configENS1_38merge_sort_block_merge_config_selectorIjNS0_10empty_typeEEEZZNS1_27merge_sort_block_merge_implIS3_N6thrust23THRUST_200600_302600_NS6detail15normal_iteratorINS9_10device_ptrIjEEEEPS5_jNS1_19radix_merge_compareILb0ELb0EjNS0_19identity_decomposerEEEEE10hipError_tT0_T1_T2_jT3_P12ihipStream_tbPNSt15iterator_traitsISK_E10value_typeEPNSQ_ISL_E10value_typeEPSM_NS1_7vsmem_tEENKUlT_SK_SL_SM_E_clISE_PjSF_SF_EESJ_SZ_SK_SL_SM_EUlSZ_E0_NS1_11comp_targetILNS1_3genE4ELNS1_11target_archE910ELNS1_3gpuE8ELNS1_3repE0EEENS1_38merge_mergepath_config_static_selectorELNS0_4arch9wavefront6targetE1EEEvSL_
	.p2align	8
	.type	_ZN7rocprim17ROCPRIM_400000_NS6detail17trampoline_kernelINS0_14default_configENS1_38merge_sort_block_merge_config_selectorIjNS0_10empty_typeEEEZZNS1_27merge_sort_block_merge_implIS3_N6thrust23THRUST_200600_302600_NS6detail15normal_iteratorINS9_10device_ptrIjEEEEPS5_jNS1_19radix_merge_compareILb0ELb0EjNS0_19identity_decomposerEEEEE10hipError_tT0_T1_T2_jT3_P12ihipStream_tbPNSt15iterator_traitsISK_E10value_typeEPNSQ_ISL_E10value_typeEPSM_NS1_7vsmem_tEENKUlT_SK_SL_SM_E_clISE_PjSF_SF_EESJ_SZ_SK_SL_SM_EUlSZ_E0_NS1_11comp_targetILNS1_3genE4ELNS1_11target_archE910ELNS1_3gpuE8ELNS1_3repE0EEENS1_38merge_mergepath_config_static_selectorELNS0_4arch9wavefront6targetE1EEEvSL_,@function
_ZN7rocprim17ROCPRIM_400000_NS6detail17trampoline_kernelINS0_14default_configENS1_38merge_sort_block_merge_config_selectorIjNS0_10empty_typeEEEZZNS1_27merge_sort_block_merge_implIS3_N6thrust23THRUST_200600_302600_NS6detail15normal_iteratorINS9_10device_ptrIjEEEEPS5_jNS1_19radix_merge_compareILb0ELb0EjNS0_19identity_decomposerEEEEE10hipError_tT0_T1_T2_jT3_P12ihipStream_tbPNSt15iterator_traitsISK_E10value_typeEPNSQ_ISL_E10value_typeEPSM_NS1_7vsmem_tEENKUlT_SK_SL_SM_E_clISE_PjSF_SF_EESJ_SZ_SK_SL_SM_EUlSZ_E0_NS1_11comp_targetILNS1_3genE4ELNS1_11target_archE910ELNS1_3gpuE8ELNS1_3repE0EEENS1_38merge_mergepath_config_static_selectorELNS0_4arch9wavefront6targetE1EEEvSL_: ; @_ZN7rocprim17ROCPRIM_400000_NS6detail17trampoline_kernelINS0_14default_configENS1_38merge_sort_block_merge_config_selectorIjNS0_10empty_typeEEEZZNS1_27merge_sort_block_merge_implIS3_N6thrust23THRUST_200600_302600_NS6detail15normal_iteratorINS9_10device_ptrIjEEEEPS5_jNS1_19radix_merge_compareILb0ELb0EjNS0_19identity_decomposerEEEEE10hipError_tT0_T1_T2_jT3_P12ihipStream_tbPNSt15iterator_traitsISK_E10value_typeEPNSQ_ISL_E10value_typeEPSM_NS1_7vsmem_tEENKUlT_SK_SL_SM_E_clISE_PjSF_SF_EESJ_SZ_SK_SL_SM_EUlSZ_E0_NS1_11comp_targetILNS1_3genE4ELNS1_11target_archE910ELNS1_3gpuE8ELNS1_3repE0EEENS1_38merge_mergepath_config_static_selectorELNS0_4arch9wavefront6targetE1EEEvSL_
; %bb.0:
	.section	.rodata,"a",@progbits
	.p2align	6, 0x0
	.amdhsa_kernel _ZN7rocprim17ROCPRIM_400000_NS6detail17trampoline_kernelINS0_14default_configENS1_38merge_sort_block_merge_config_selectorIjNS0_10empty_typeEEEZZNS1_27merge_sort_block_merge_implIS3_N6thrust23THRUST_200600_302600_NS6detail15normal_iteratorINS9_10device_ptrIjEEEEPS5_jNS1_19radix_merge_compareILb0ELb0EjNS0_19identity_decomposerEEEEE10hipError_tT0_T1_T2_jT3_P12ihipStream_tbPNSt15iterator_traitsISK_E10value_typeEPNSQ_ISL_E10value_typeEPSM_NS1_7vsmem_tEENKUlT_SK_SL_SM_E_clISE_PjSF_SF_EESJ_SZ_SK_SL_SM_EUlSZ_E0_NS1_11comp_targetILNS1_3genE4ELNS1_11target_archE910ELNS1_3gpuE8ELNS1_3repE0EEENS1_38merge_mergepath_config_static_selectorELNS0_4arch9wavefront6targetE1EEEvSL_
		.amdhsa_group_segment_fixed_size 0
		.amdhsa_private_segment_fixed_size 0
		.amdhsa_kernarg_size 64
		.amdhsa_user_sgpr_count 2
		.amdhsa_user_sgpr_dispatch_ptr 0
		.amdhsa_user_sgpr_queue_ptr 0
		.amdhsa_user_sgpr_kernarg_segment_ptr 1
		.amdhsa_user_sgpr_dispatch_id 0
		.amdhsa_user_sgpr_kernarg_preload_length 0
		.amdhsa_user_sgpr_kernarg_preload_offset 0
		.amdhsa_user_sgpr_private_segment_size 0
		.amdhsa_uses_dynamic_stack 0
		.amdhsa_enable_private_segment 0
		.amdhsa_system_sgpr_workgroup_id_x 1
		.amdhsa_system_sgpr_workgroup_id_y 0
		.amdhsa_system_sgpr_workgroup_id_z 0
		.amdhsa_system_sgpr_workgroup_info 0
		.amdhsa_system_vgpr_workitem_id 0
		.amdhsa_next_free_vgpr 1
		.amdhsa_next_free_sgpr 0
		.amdhsa_accum_offset 4
		.amdhsa_reserve_vcc 0
		.amdhsa_float_round_mode_32 0
		.amdhsa_float_round_mode_16_64 0
		.amdhsa_float_denorm_mode_32 3
		.amdhsa_float_denorm_mode_16_64 3
		.amdhsa_dx10_clamp 1
		.amdhsa_ieee_mode 1
		.amdhsa_fp16_overflow 0
		.amdhsa_tg_split 0
		.amdhsa_exception_fp_ieee_invalid_op 0
		.amdhsa_exception_fp_denorm_src 0
		.amdhsa_exception_fp_ieee_div_zero 0
		.amdhsa_exception_fp_ieee_overflow 0
		.amdhsa_exception_fp_ieee_underflow 0
		.amdhsa_exception_fp_ieee_inexact 0
		.amdhsa_exception_int_div_zero 0
	.end_amdhsa_kernel
	.section	.text._ZN7rocprim17ROCPRIM_400000_NS6detail17trampoline_kernelINS0_14default_configENS1_38merge_sort_block_merge_config_selectorIjNS0_10empty_typeEEEZZNS1_27merge_sort_block_merge_implIS3_N6thrust23THRUST_200600_302600_NS6detail15normal_iteratorINS9_10device_ptrIjEEEEPS5_jNS1_19radix_merge_compareILb0ELb0EjNS0_19identity_decomposerEEEEE10hipError_tT0_T1_T2_jT3_P12ihipStream_tbPNSt15iterator_traitsISK_E10value_typeEPNSQ_ISL_E10value_typeEPSM_NS1_7vsmem_tEENKUlT_SK_SL_SM_E_clISE_PjSF_SF_EESJ_SZ_SK_SL_SM_EUlSZ_E0_NS1_11comp_targetILNS1_3genE4ELNS1_11target_archE910ELNS1_3gpuE8ELNS1_3repE0EEENS1_38merge_mergepath_config_static_selectorELNS0_4arch9wavefront6targetE1EEEvSL_,"axG",@progbits,_ZN7rocprim17ROCPRIM_400000_NS6detail17trampoline_kernelINS0_14default_configENS1_38merge_sort_block_merge_config_selectorIjNS0_10empty_typeEEEZZNS1_27merge_sort_block_merge_implIS3_N6thrust23THRUST_200600_302600_NS6detail15normal_iteratorINS9_10device_ptrIjEEEEPS5_jNS1_19radix_merge_compareILb0ELb0EjNS0_19identity_decomposerEEEEE10hipError_tT0_T1_T2_jT3_P12ihipStream_tbPNSt15iterator_traitsISK_E10value_typeEPNSQ_ISL_E10value_typeEPSM_NS1_7vsmem_tEENKUlT_SK_SL_SM_E_clISE_PjSF_SF_EESJ_SZ_SK_SL_SM_EUlSZ_E0_NS1_11comp_targetILNS1_3genE4ELNS1_11target_archE910ELNS1_3gpuE8ELNS1_3repE0EEENS1_38merge_mergepath_config_static_selectorELNS0_4arch9wavefront6targetE1EEEvSL_,comdat
.Lfunc_end1004:
	.size	_ZN7rocprim17ROCPRIM_400000_NS6detail17trampoline_kernelINS0_14default_configENS1_38merge_sort_block_merge_config_selectorIjNS0_10empty_typeEEEZZNS1_27merge_sort_block_merge_implIS3_N6thrust23THRUST_200600_302600_NS6detail15normal_iteratorINS9_10device_ptrIjEEEEPS5_jNS1_19radix_merge_compareILb0ELb0EjNS0_19identity_decomposerEEEEE10hipError_tT0_T1_T2_jT3_P12ihipStream_tbPNSt15iterator_traitsISK_E10value_typeEPNSQ_ISL_E10value_typeEPSM_NS1_7vsmem_tEENKUlT_SK_SL_SM_E_clISE_PjSF_SF_EESJ_SZ_SK_SL_SM_EUlSZ_E0_NS1_11comp_targetILNS1_3genE4ELNS1_11target_archE910ELNS1_3gpuE8ELNS1_3repE0EEENS1_38merge_mergepath_config_static_selectorELNS0_4arch9wavefront6targetE1EEEvSL_, .Lfunc_end1004-_ZN7rocprim17ROCPRIM_400000_NS6detail17trampoline_kernelINS0_14default_configENS1_38merge_sort_block_merge_config_selectorIjNS0_10empty_typeEEEZZNS1_27merge_sort_block_merge_implIS3_N6thrust23THRUST_200600_302600_NS6detail15normal_iteratorINS9_10device_ptrIjEEEEPS5_jNS1_19radix_merge_compareILb0ELb0EjNS0_19identity_decomposerEEEEE10hipError_tT0_T1_T2_jT3_P12ihipStream_tbPNSt15iterator_traitsISK_E10value_typeEPNSQ_ISL_E10value_typeEPSM_NS1_7vsmem_tEENKUlT_SK_SL_SM_E_clISE_PjSF_SF_EESJ_SZ_SK_SL_SM_EUlSZ_E0_NS1_11comp_targetILNS1_3genE4ELNS1_11target_archE910ELNS1_3gpuE8ELNS1_3repE0EEENS1_38merge_mergepath_config_static_selectorELNS0_4arch9wavefront6targetE1EEEvSL_
                                        ; -- End function
	.section	.AMDGPU.csdata,"",@progbits
; Kernel info:
; codeLenInByte = 0
; NumSgprs: 6
; NumVgprs: 0
; NumAgprs: 0
; TotalNumVgprs: 0
; ScratchSize: 0
; MemoryBound: 0
; FloatMode: 240
; IeeeMode: 1
; LDSByteSize: 0 bytes/workgroup (compile time only)
; SGPRBlocks: 0
; VGPRBlocks: 0
; NumSGPRsForWavesPerEU: 6
; NumVGPRsForWavesPerEU: 1
; AccumOffset: 4
; Occupancy: 8
; WaveLimiterHint : 0
; COMPUTE_PGM_RSRC2:SCRATCH_EN: 0
; COMPUTE_PGM_RSRC2:USER_SGPR: 2
; COMPUTE_PGM_RSRC2:TRAP_HANDLER: 0
; COMPUTE_PGM_RSRC2:TGID_X_EN: 1
; COMPUTE_PGM_RSRC2:TGID_Y_EN: 0
; COMPUTE_PGM_RSRC2:TGID_Z_EN: 0
; COMPUTE_PGM_RSRC2:TIDIG_COMP_CNT: 0
; COMPUTE_PGM_RSRC3_GFX90A:ACCUM_OFFSET: 0
; COMPUTE_PGM_RSRC3_GFX90A:TG_SPLIT: 0
	.section	.text._ZN7rocprim17ROCPRIM_400000_NS6detail17trampoline_kernelINS0_14default_configENS1_38merge_sort_block_merge_config_selectorIjNS0_10empty_typeEEEZZNS1_27merge_sort_block_merge_implIS3_N6thrust23THRUST_200600_302600_NS6detail15normal_iteratorINS9_10device_ptrIjEEEEPS5_jNS1_19radix_merge_compareILb0ELb0EjNS0_19identity_decomposerEEEEE10hipError_tT0_T1_T2_jT3_P12ihipStream_tbPNSt15iterator_traitsISK_E10value_typeEPNSQ_ISL_E10value_typeEPSM_NS1_7vsmem_tEENKUlT_SK_SL_SM_E_clISE_PjSF_SF_EESJ_SZ_SK_SL_SM_EUlSZ_E0_NS1_11comp_targetILNS1_3genE3ELNS1_11target_archE908ELNS1_3gpuE7ELNS1_3repE0EEENS1_38merge_mergepath_config_static_selectorELNS0_4arch9wavefront6targetE1EEEvSL_,"axG",@progbits,_ZN7rocprim17ROCPRIM_400000_NS6detail17trampoline_kernelINS0_14default_configENS1_38merge_sort_block_merge_config_selectorIjNS0_10empty_typeEEEZZNS1_27merge_sort_block_merge_implIS3_N6thrust23THRUST_200600_302600_NS6detail15normal_iteratorINS9_10device_ptrIjEEEEPS5_jNS1_19radix_merge_compareILb0ELb0EjNS0_19identity_decomposerEEEEE10hipError_tT0_T1_T2_jT3_P12ihipStream_tbPNSt15iterator_traitsISK_E10value_typeEPNSQ_ISL_E10value_typeEPSM_NS1_7vsmem_tEENKUlT_SK_SL_SM_E_clISE_PjSF_SF_EESJ_SZ_SK_SL_SM_EUlSZ_E0_NS1_11comp_targetILNS1_3genE3ELNS1_11target_archE908ELNS1_3gpuE7ELNS1_3repE0EEENS1_38merge_mergepath_config_static_selectorELNS0_4arch9wavefront6targetE1EEEvSL_,comdat
	.protected	_ZN7rocprim17ROCPRIM_400000_NS6detail17trampoline_kernelINS0_14default_configENS1_38merge_sort_block_merge_config_selectorIjNS0_10empty_typeEEEZZNS1_27merge_sort_block_merge_implIS3_N6thrust23THRUST_200600_302600_NS6detail15normal_iteratorINS9_10device_ptrIjEEEEPS5_jNS1_19radix_merge_compareILb0ELb0EjNS0_19identity_decomposerEEEEE10hipError_tT0_T1_T2_jT3_P12ihipStream_tbPNSt15iterator_traitsISK_E10value_typeEPNSQ_ISL_E10value_typeEPSM_NS1_7vsmem_tEENKUlT_SK_SL_SM_E_clISE_PjSF_SF_EESJ_SZ_SK_SL_SM_EUlSZ_E0_NS1_11comp_targetILNS1_3genE3ELNS1_11target_archE908ELNS1_3gpuE7ELNS1_3repE0EEENS1_38merge_mergepath_config_static_selectorELNS0_4arch9wavefront6targetE1EEEvSL_ ; -- Begin function _ZN7rocprim17ROCPRIM_400000_NS6detail17trampoline_kernelINS0_14default_configENS1_38merge_sort_block_merge_config_selectorIjNS0_10empty_typeEEEZZNS1_27merge_sort_block_merge_implIS3_N6thrust23THRUST_200600_302600_NS6detail15normal_iteratorINS9_10device_ptrIjEEEEPS5_jNS1_19radix_merge_compareILb0ELb0EjNS0_19identity_decomposerEEEEE10hipError_tT0_T1_T2_jT3_P12ihipStream_tbPNSt15iterator_traitsISK_E10value_typeEPNSQ_ISL_E10value_typeEPSM_NS1_7vsmem_tEENKUlT_SK_SL_SM_E_clISE_PjSF_SF_EESJ_SZ_SK_SL_SM_EUlSZ_E0_NS1_11comp_targetILNS1_3genE3ELNS1_11target_archE908ELNS1_3gpuE7ELNS1_3repE0EEENS1_38merge_mergepath_config_static_selectorELNS0_4arch9wavefront6targetE1EEEvSL_
	.globl	_ZN7rocprim17ROCPRIM_400000_NS6detail17trampoline_kernelINS0_14default_configENS1_38merge_sort_block_merge_config_selectorIjNS0_10empty_typeEEEZZNS1_27merge_sort_block_merge_implIS3_N6thrust23THRUST_200600_302600_NS6detail15normal_iteratorINS9_10device_ptrIjEEEEPS5_jNS1_19radix_merge_compareILb0ELb0EjNS0_19identity_decomposerEEEEE10hipError_tT0_T1_T2_jT3_P12ihipStream_tbPNSt15iterator_traitsISK_E10value_typeEPNSQ_ISL_E10value_typeEPSM_NS1_7vsmem_tEENKUlT_SK_SL_SM_E_clISE_PjSF_SF_EESJ_SZ_SK_SL_SM_EUlSZ_E0_NS1_11comp_targetILNS1_3genE3ELNS1_11target_archE908ELNS1_3gpuE7ELNS1_3repE0EEENS1_38merge_mergepath_config_static_selectorELNS0_4arch9wavefront6targetE1EEEvSL_
	.p2align	8
	.type	_ZN7rocprim17ROCPRIM_400000_NS6detail17trampoline_kernelINS0_14default_configENS1_38merge_sort_block_merge_config_selectorIjNS0_10empty_typeEEEZZNS1_27merge_sort_block_merge_implIS3_N6thrust23THRUST_200600_302600_NS6detail15normal_iteratorINS9_10device_ptrIjEEEEPS5_jNS1_19radix_merge_compareILb0ELb0EjNS0_19identity_decomposerEEEEE10hipError_tT0_T1_T2_jT3_P12ihipStream_tbPNSt15iterator_traitsISK_E10value_typeEPNSQ_ISL_E10value_typeEPSM_NS1_7vsmem_tEENKUlT_SK_SL_SM_E_clISE_PjSF_SF_EESJ_SZ_SK_SL_SM_EUlSZ_E0_NS1_11comp_targetILNS1_3genE3ELNS1_11target_archE908ELNS1_3gpuE7ELNS1_3repE0EEENS1_38merge_mergepath_config_static_selectorELNS0_4arch9wavefront6targetE1EEEvSL_,@function
_ZN7rocprim17ROCPRIM_400000_NS6detail17trampoline_kernelINS0_14default_configENS1_38merge_sort_block_merge_config_selectorIjNS0_10empty_typeEEEZZNS1_27merge_sort_block_merge_implIS3_N6thrust23THRUST_200600_302600_NS6detail15normal_iteratorINS9_10device_ptrIjEEEEPS5_jNS1_19radix_merge_compareILb0ELb0EjNS0_19identity_decomposerEEEEE10hipError_tT0_T1_T2_jT3_P12ihipStream_tbPNSt15iterator_traitsISK_E10value_typeEPNSQ_ISL_E10value_typeEPSM_NS1_7vsmem_tEENKUlT_SK_SL_SM_E_clISE_PjSF_SF_EESJ_SZ_SK_SL_SM_EUlSZ_E0_NS1_11comp_targetILNS1_3genE3ELNS1_11target_archE908ELNS1_3gpuE7ELNS1_3repE0EEENS1_38merge_mergepath_config_static_selectorELNS0_4arch9wavefront6targetE1EEEvSL_: ; @_ZN7rocprim17ROCPRIM_400000_NS6detail17trampoline_kernelINS0_14default_configENS1_38merge_sort_block_merge_config_selectorIjNS0_10empty_typeEEEZZNS1_27merge_sort_block_merge_implIS3_N6thrust23THRUST_200600_302600_NS6detail15normal_iteratorINS9_10device_ptrIjEEEEPS5_jNS1_19radix_merge_compareILb0ELb0EjNS0_19identity_decomposerEEEEE10hipError_tT0_T1_T2_jT3_P12ihipStream_tbPNSt15iterator_traitsISK_E10value_typeEPNSQ_ISL_E10value_typeEPSM_NS1_7vsmem_tEENKUlT_SK_SL_SM_E_clISE_PjSF_SF_EESJ_SZ_SK_SL_SM_EUlSZ_E0_NS1_11comp_targetILNS1_3genE3ELNS1_11target_archE908ELNS1_3gpuE7ELNS1_3repE0EEENS1_38merge_mergepath_config_static_selectorELNS0_4arch9wavefront6targetE1EEEvSL_
; %bb.0:
	.section	.rodata,"a",@progbits
	.p2align	6, 0x0
	.amdhsa_kernel _ZN7rocprim17ROCPRIM_400000_NS6detail17trampoline_kernelINS0_14default_configENS1_38merge_sort_block_merge_config_selectorIjNS0_10empty_typeEEEZZNS1_27merge_sort_block_merge_implIS3_N6thrust23THRUST_200600_302600_NS6detail15normal_iteratorINS9_10device_ptrIjEEEEPS5_jNS1_19radix_merge_compareILb0ELb0EjNS0_19identity_decomposerEEEEE10hipError_tT0_T1_T2_jT3_P12ihipStream_tbPNSt15iterator_traitsISK_E10value_typeEPNSQ_ISL_E10value_typeEPSM_NS1_7vsmem_tEENKUlT_SK_SL_SM_E_clISE_PjSF_SF_EESJ_SZ_SK_SL_SM_EUlSZ_E0_NS1_11comp_targetILNS1_3genE3ELNS1_11target_archE908ELNS1_3gpuE7ELNS1_3repE0EEENS1_38merge_mergepath_config_static_selectorELNS0_4arch9wavefront6targetE1EEEvSL_
		.amdhsa_group_segment_fixed_size 0
		.amdhsa_private_segment_fixed_size 0
		.amdhsa_kernarg_size 64
		.amdhsa_user_sgpr_count 2
		.amdhsa_user_sgpr_dispatch_ptr 0
		.amdhsa_user_sgpr_queue_ptr 0
		.amdhsa_user_sgpr_kernarg_segment_ptr 1
		.amdhsa_user_sgpr_dispatch_id 0
		.amdhsa_user_sgpr_kernarg_preload_length 0
		.amdhsa_user_sgpr_kernarg_preload_offset 0
		.amdhsa_user_sgpr_private_segment_size 0
		.amdhsa_uses_dynamic_stack 0
		.amdhsa_enable_private_segment 0
		.amdhsa_system_sgpr_workgroup_id_x 1
		.amdhsa_system_sgpr_workgroup_id_y 0
		.amdhsa_system_sgpr_workgroup_id_z 0
		.amdhsa_system_sgpr_workgroup_info 0
		.amdhsa_system_vgpr_workitem_id 0
		.amdhsa_next_free_vgpr 1
		.amdhsa_next_free_sgpr 0
		.amdhsa_accum_offset 4
		.amdhsa_reserve_vcc 0
		.amdhsa_float_round_mode_32 0
		.amdhsa_float_round_mode_16_64 0
		.amdhsa_float_denorm_mode_32 3
		.amdhsa_float_denorm_mode_16_64 3
		.amdhsa_dx10_clamp 1
		.amdhsa_ieee_mode 1
		.amdhsa_fp16_overflow 0
		.amdhsa_tg_split 0
		.amdhsa_exception_fp_ieee_invalid_op 0
		.amdhsa_exception_fp_denorm_src 0
		.amdhsa_exception_fp_ieee_div_zero 0
		.amdhsa_exception_fp_ieee_overflow 0
		.amdhsa_exception_fp_ieee_underflow 0
		.amdhsa_exception_fp_ieee_inexact 0
		.amdhsa_exception_int_div_zero 0
	.end_amdhsa_kernel
	.section	.text._ZN7rocprim17ROCPRIM_400000_NS6detail17trampoline_kernelINS0_14default_configENS1_38merge_sort_block_merge_config_selectorIjNS0_10empty_typeEEEZZNS1_27merge_sort_block_merge_implIS3_N6thrust23THRUST_200600_302600_NS6detail15normal_iteratorINS9_10device_ptrIjEEEEPS5_jNS1_19radix_merge_compareILb0ELb0EjNS0_19identity_decomposerEEEEE10hipError_tT0_T1_T2_jT3_P12ihipStream_tbPNSt15iterator_traitsISK_E10value_typeEPNSQ_ISL_E10value_typeEPSM_NS1_7vsmem_tEENKUlT_SK_SL_SM_E_clISE_PjSF_SF_EESJ_SZ_SK_SL_SM_EUlSZ_E0_NS1_11comp_targetILNS1_3genE3ELNS1_11target_archE908ELNS1_3gpuE7ELNS1_3repE0EEENS1_38merge_mergepath_config_static_selectorELNS0_4arch9wavefront6targetE1EEEvSL_,"axG",@progbits,_ZN7rocprim17ROCPRIM_400000_NS6detail17trampoline_kernelINS0_14default_configENS1_38merge_sort_block_merge_config_selectorIjNS0_10empty_typeEEEZZNS1_27merge_sort_block_merge_implIS3_N6thrust23THRUST_200600_302600_NS6detail15normal_iteratorINS9_10device_ptrIjEEEEPS5_jNS1_19radix_merge_compareILb0ELb0EjNS0_19identity_decomposerEEEEE10hipError_tT0_T1_T2_jT3_P12ihipStream_tbPNSt15iterator_traitsISK_E10value_typeEPNSQ_ISL_E10value_typeEPSM_NS1_7vsmem_tEENKUlT_SK_SL_SM_E_clISE_PjSF_SF_EESJ_SZ_SK_SL_SM_EUlSZ_E0_NS1_11comp_targetILNS1_3genE3ELNS1_11target_archE908ELNS1_3gpuE7ELNS1_3repE0EEENS1_38merge_mergepath_config_static_selectorELNS0_4arch9wavefront6targetE1EEEvSL_,comdat
.Lfunc_end1005:
	.size	_ZN7rocprim17ROCPRIM_400000_NS6detail17trampoline_kernelINS0_14default_configENS1_38merge_sort_block_merge_config_selectorIjNS0_10empty_typeEEEZZNS1_27merge_sort_block_merge_implIS3_N6thrust23THRUST_200600_302600_NS6detail15normal_iteratorINS9_10device_ptrIjEEEEPS5_jNS1_19radix_merge_compareILb0ELb0EjNS0_19identity_decomposerEEEEE10hipError_tT0_T1_T2_jT3_P12ihipStream_tbPNSt15iterator_traitsISK_E10value_typeEPNSQ_ISL_E10value_typeEPSM_NS1_7vsmem_tEENKUlT_SK_SL_SM_E_clISE_PjSF_SF_EESJ_SZ_SK_SL_SM_EUlSZ_E0_NS1_11comp_targetILNS1_3genE3ELNS1_11target_archE908ELNS1_3gpuE7ELNS1_3repE0EEENS1_38merge_mergepath_config_static_selectorELNS0_4arch9wavefront6targetE1EEEvSL_, .Lfunc_end1005-_ZN7rocprim17ROCPRIM_400000_NS6detail17trampoline_kernelINS0_14default_configENS1_38merge_sort_block_merge_config_selectorIjNS0_10empty_typeEEEZZNS1_27merge_sort_block_merge_implIS3_N6thrust23THRUST_200600_302600_NS6detail15normal_iteratorINS9_10device_ptrIjEEEEPS5_jNS1_19radix_merge_compareILb0ELb0EjNS0_19identity_decomposerEEEEE10hipError_tT0_T1_T2_jT3_P12ihipStream_tbPNSt15iterator_traitsISK_E10value_typeEPNSQ_ISL_E10value_typeEPSM_NS1_7vsmem_tEENKUlT_SK_SL_SM_E_clISE_PjSF_SF_EESJ_SZ_SK_SL_SM_EUlSZ_E0_NS1_11comp_targetILNS1_3genE3ELNS1_11target_archE908ELNS1_3gpuE7ELNS1_3repE0EEENS1_38merge_mergepath_config_static_selectorELNS0_4arch9wavefront6targetE1EEEvSL_
                                        ; -- End function
	.section	.AMDGPU.csdata,"",@progbits
; Kernel info:
; codeLenInByte = 0
; NumSgprs: 6
; NumVgprs: 0
; NumAgprs: 0
; TotalNumVgprs: 0
; ScratchSize: 0
; MemoryBound: 0
; FloatMode: 240
; IeeeMode: 1
; LDSByteSize: 0 bytes/workgroup (compile time only)
; SGPRBlocks: 0
; VGPRBlocks: 0
; NumSGPRsForWavesPerEU: 6
; NumVGPRsForWavesPerEU: 1
; AccumOffset: 4
; Occupancy: 8
; WaveLimiterHint : 0
; COMPUTE_PGM_RSRC2:SCRATCH_EN: 0
; COMPUTE_PGM_RSRC2:USER_SGPR: 2
; COMPUTE_PGM_RSRC2:TRAP_HANDLER: 0
; COMPUTE_PGM_RSRC2:TGID_X_EN: 1
; COMPUTE_PGM_RSRC2:TGID_Y_EN: 0
; COMPUTE_PGM_RSRC2:TGID_Z_EN: 0
; COMPUTE_PGM_RSRC2:TIDIG_COMP_CNT: 0
; COMPUTE_PGM_RSRC3_GFX90A:ACCUM_OFFSET: 0
; COMPUTE_PGM_RSRC3_GFX90A:TG_SPLIT: 0
	.section	.text._ZN7rocprim17ROCPRIM_400000_NS6detail17trampoline_kernelINS0_14default_configENS1_38merge_sort_block_merge_config_selectorIjNS0_10empty_typeEEEZZNS1_27merge_sort_block_merge_implIS3_N6thrust23THRUST_200600_302600_NS6detail15normal_iteratorINS9_10device_ptrIjEEEEPS5_jNS1_19radix_merge_compareILb0ELb0EjNS0_19identity_decomposerEEEEE10hipError_tT0_T1_T2_jT3_P12ihipStream_tbPNSt15iterator_traitsISK_E10value_typeEPNSQ_ISL_E10value_typeEPSM_NS1_7vsmem_tEENKUlT_SK_SL_SM_E_clISE_PjSF_SF_EESJ_SZ_SK_SL_SM_EUlSZ_E0_NS1_11comp_targetILNS1_3genE2ELNS1_11target_archE906ELNS1_3gpuE6ELNS1_3repE0EEENS1_38merge_mergepath_config_static_selectorELNS0_4arch9wavefront6targetE1EEEvSL_,"axG",@progbits,_ZN7rocprim17ROCPRIM_400000_NS6detail17trampoline_kernelINS0_14default_configENS1_38merge_sort_block_merge_config_selectorIjNS0_10empty_typeEEEZZNS1_27merge_sort_block_merge_implIS3_N6thrust23THRUST_200600_302600_NS6detail15normal_iteratorINS9_10device_ptrIjEEEEPS5_jNS1_19radix_merge_compareILb0ELb0EjNS0_19identity_decomposerEEEEE10hipError_tT0_T1_T2_jT3_P12ihipStream_tbPNSt15iterator_traitsISK_E10value_typeEPNSQ_ISL_E10value_typeEPSM_NS1_7vsmem_tEENKUlT_SK_SL_SM_E_clISE_PjSF_SF_EESJ_SZ_SK_SL_SM_EUlSZ_E0_NS1_11comp_targetILNS1_3genE2ELNS1_11target_archE906ELNS1_3gpuE6ELNS1_3repE0EEENS1_38merge_mergepath_config_static_selectorELNS0_4arch9wavefront6targetE1EEEvSL_,comdat
	.protected	_ZN7rocprim17ROCPRIM_400000_NS6detail17trampoline_kernelINS0_14default_configENS1_38merge_sort_block_merge_config_selectorIjNS0_10empty_typeEEEZZNS1_27merge_sort_block_merge_implIS3_N6thrust23THRUST_200600_302600_NS6detail15normal_iteratorINS9_10device_ptrIjEEEEPS5_jNS1_19radix_merge_compareILb0ELb0EjNS0_19identity_decomposerEEEEE10hipError_tT0_T1_T2_jT3_P12ihipStream_tbPNSt15iterator_traitsISK_E10value_typeEPNSQ_ISL_E10value_typeEPSM_NS1_7vsmem_tEENKUlT_SK_SL_SM_E_clISE_PjSF_SF_EESJ_SZ_SK_SL_SM_EUlSZ_E0_NS1_11comp_targetILNS1_3genE2ELNS1_11target_archE906ELNS1_3gpuE6ELNS1_3repE0EEENS1_38merge_mergepath_config_static_selectorELNS0_4arch9wavefront6targetE1EEEvSL_ ; -- Begin function _ZN7rocprim17ROCPRIM_400000_NS6detail17trampoline_kernelINS0_14default_configENS1_38merge_sort_block_merge_config_selectorIjNS0_10empty_typeEEEZZNS1_27merge_sort_block_merge_implIS3_N6thrust23THRUST_200600_302600_NS6detail15normal_iteratorINS9_10device_ptrIjEEEEPS5_jNS1_19radix_merge_compareILb0ELb0EjNS0_19identity_decomposerEEEEE10hipError_tT0_T1_T2_jT3_P12ihipStream_tbPNSt15iterator_traitsISK_E10value_typeEPNSQ_ISL_E10value_typeEPSM_NS1_7vsmem_tEENKUlT_SK_SL_SM_E_clISE_PjSF_SF_EESJ_SZ_SK_SL_SM_EUlSZ_E0_NS1_11comp_targetILNS1_3genE2ELNS1_11target_archE906ELNS1_3gpuE6ELNS1_3repE0EEENS1_38merge_mergepath_config_static_selectorELNS0_4arch9wavefront6targetE1EEEvSL_
	.globl	_ZN7rocprim17ROCPRIM_400000_NS6detail17trampoline_kernelINS0_14default_configENS1_38merge_sort_block_merge_config_selectorIjNS0_10empty_typeEEEZZNS1_27merge_sort_block_merge_implIS3_N6thrust23THRUST_200600_302600_NS6detail15normal_iteratorINS9_10device_ptrIjEEEEPS5_jNS1_19radix_merge_compareILb0ELb0EjNS0_19identity_decomposerEEEEE10hipError_tT0_T1_T2_jT3_P12ihipStream_tbPNSt15iterator_traitsISK_E10value_typeEPNSQ_ISL_E10value_typeEPSM_NS1_7vsmem_tEENKUlT_SK_SL_SM_E_clISE_PjSF_SF_EESJ_SZ_SK_SL_SM_EUlSZ_E0_NS1_11comp_targetILNS1_3genE2ELNS1_11target_archE906ELNS1_3gpuE6ELNS1_3repE0EEENS1_38merge_mergepath_config_static_selectorELNS0_4arch9wavefront6targetE1EEEvSL_
	.p2align	8
	.type	_ZN7rocprim17ROCPRIM_400000_NS6detail17trampoline_kernelINS0_14default_configENS1_38merge_sort_block_merge_config_selectorIjNS0_10empty_typeEEEZZNS1_27merge_sort_block_merge_implIS3_N6thrust23THRUST_200600_302600_NS6detail15normal_iteratorINS9_10device_ptrIjEEEEPS5_jNS1_19radix_merge_compareILb0ELb0EjNS0_19identity_decomposerEEEEE10hipError_tT0_T1_T2_jT3_P12ihipStream_tbPNSt15iterator_traitsISK_E10value_typeEPNSQ_ISL_E10value_typeEPSM_NS1_7vsmem_tEENKUlT_SK_SL_SM_E_clISE_PjSF_SF_EESJ_SZ_SK_SL_SM_EUlSZ_E0_NS1_11comp_targetILNS1_3genE2ELNS1_11target_archE906ELNS1_3gpuE6ELNS1_3repE0EEENS1_38merge_mergepath_config_static_selectorELNS0_4arch9wavefront6targetE1EEEvSL_,@function
_ZN7rocprim17ROCPRIM_400000_NS6detail17trampoline_kernelINS0_14default_configENS1_38merge_sort_block_merge_config_selectorIjNS0_10empty_typeEEEZZNS1_27merge_sort_block_merge_implIS3_N6thrust23THRUST_200600_302600_NS6detail15normal_iteratorINS9_10device_ptrIjEEEEPS5_jNS1_19radix_merge_compareILb0ELb0EjNS0_19identity_decomposerEEEEE10hipError_tT0_T1_T2_jT3_P12ihipStream_tbPNSt15iterator_traitsISK_E10value_typeEPNSQ_ISL_E10value_typeEPSM_NS1_7vsmem_tEENKUlT_SK_SL_SM_E_clISE_PjSF_SF_EESJ_SZ_SK_SL_SM_EUlSZ_E0_NS1_11comp_targetILNS1_3genE2ELNS1_11target_archE906ELNS1_3gpuE6ELNS1_3repE0EEENS1_38merge_mergepath_config_static_selectorELNS0_4arch9wavefront6targetE1EEEvSL_: ; @_ZN7rocprim17ROCPRIM_400000_NS6detail17trampoline_kernelINS0_14default_configENS1_38merge_sort_block_merge_config_selectorIjNS0_10empty_typeEEEZZNS1_27merge_sort_block_merge_implIS3_N6thrust23THRUST_200600_302600_NS6detail15normal_iteratorINS9_10device_ptrIjEEEEPS5_jNS1_19radix_merge_compareILb0ELb0EjNS0_19identity_decomposerEEEEE10hipError_tT0_T1_T2_jT3_P12ihipStream_tbPNSt15iterator_traitsISK_E10value_typeEPNSQ_ISL_E10value_typeEPSM_NS1_7vsmem_tEENKUlT_SK_SL_SM_E_clISE_PjSF_SF_EESJ_SZ_SK_SL_SM_EUlSZ_E0_NS1_11comp_targetILNS1_3genE2ELNS1_11target_archE906ELNS1_3gpuE6ELNS1_3repE0EEENS1_38merge_mergepath_config_static_selectorELNS0_4arch9wavefront6targetE1EEEvSL_
; %bb.0:
	.section	.rodata,"a",@progbits
	.p2align	6, 0x0
	.amdhsa_kernel _ZN7rocprim17ROCPRIM_400000_NS6detail17trampoline_kernelINS0_14default_configENS1_38merge_sort_block_merge_config_selectorIjNS0_10empty_typeEEEZZNS1_27merge_sort_block_merge_implIS3_N6thrust23THRUST_200600_302600_NS6detail15normal_iteratorINS9_10device_ptrIjEEEEPS5_jNS1_19radix_merge_compareILb0ELb0EjNS0_19identity_decomposerEEEEE10hipError_tT0_T1_T2_jT3_P12ihipStream_tbPNSt15iterator_traitsISK_E10value_typeEPNSQ_ISL_E10value_typeEPSM_NS1_7vsmem_tEENKUlT_SK_SL_SM_E_clISE_PjSF_SF_EESJ_SZ_SK_SL_SM_EUlSZ_E0_NS1_11comp_targetILNS1_3genE2ELNS1_11target_archE906ELNS1_3gpuE6ELNS1_3repE0EEENS1_38merge_mergepath_config_static_selectorELNS0_4arch9wavefront6targetE1EEEvSL_
		.amdhsa_group_segment_fixed_size 0
		.amdhsa_private_segment_fixed_size 0
		.amdhsa_kernarg_size 64
		.amdhsa_user_sgpr_count 2
		.amdhsa_user_sgpr_dispatch_ptr 0
		.amdhsa_user_sgpr_queue_ptr 0
		.amdhsa_user_sgpr_kernarg_segment_ptr 1
		.amdhsa_user_sgpr_dispatch_id 0
		.amdhsa_user_sgpr_kernarg_preload_length 0
		.amdhsa_user_sgpr_kernarg_preload_offset 0
		.amdhsa_user_sgpr_private_segment_size 0
		.amdhsa_uses_dynamic_stack 0
		.amdhsa_enable_private_segment 0
		.amdhsa_system_sgpr_workgroup_id_x 1
		.amdhsa_system_sgpr_workgroup_id_y 0
		.amdhsa_system_sgpr_workgroup_id_z 0
		.amdhsa_system_sgpr_workgroup_info 0
		.amdhsa_system_vgpr_workitem_id 0
		.amdhsa_next_free_vgpr 1
		.amdhsa_next_free_sgpr 0
		.amdhsa_accum_offset 4
		.amdhsa_reserve_vcc 0
		.amdhsa_float_round_mode_32 0
		.amdhsa_float_round_mode_16_64 0
		.amdhsa_float_denorm_mode_32 3
		.amdhsa_float_denorm_mode_16_64 3
		.amdhsa_dx10_clamp 1
		.amdhsa_ieee_mode 1
		.amdhsa_fp16_overflow 0
		.amdhsa_tg_split 0
		.amdhsa_exception_fp_ieee_invalid_op 0
		.amdhsa_exception_fp_denorm_src 0
		.amdhsa_exception_fp_ieee_div_zero 0
		.amdhsa_exception_fp_ieee_overflow 0
		.amdhsa_exception_fp_ieee_underflow 0
		.amdhsa_exception_fp_ieee_inexact 0
		.amdhsa_exception_int_div_zero 0
	.end_amdhsa_kernel
	.section	.text._ZN7rocprim17ROCPRIM_400000_NS6detail17trampoline_kernelINS0_14default_configENS1_38merge_sort_block_merge_config_selectorIjNS0_10empty_typeEEEZZNS1_27merge_sort_block_merge_implIS3_N6thrust23THRUST_200600_302600_NS6detail15normal_iteratorINS9_10device_ptrIjEEEEPS5_jNS1_19radix_merge_compareILb0ELb0EjNS0_19identity_decomposerEEEEE10hipError_tT0_T1_T2_jT3_P12ihipStream_tbPNSt15iterator_traitsISK_E10value_typeEPNSQ_ISL_E10value_typeEPSM_NS1_7vsmem_tEENKUlT_SK_SL_SM_E_clISE_PjSF_SF_EESJ_SZ_SK_SL_SM_EUlSZ_E0_NS1_11comp_targetILNS1_3genE2ELNS1_11target_archE906ELNS1_3gpuE6ELNS1_3repE0EEENS1_38merge_mergepath_config_static_selectorELNS0_4arch9wavefront6targetE1EEEvSL_,"axG",@progbits,_ZN7rocprim17ROCPRIM_400000_NS6detail17trampoline_kernelINS0_14default_configENS1_38merge_sort_block_merge_config_selectorIjNS0_10empty_typeEEEZZNS1_27merge_sort_block_merge_implIS3_N6thrust23THRUST_200600_302600_NS6detail15normal_iteratorINS9_10device_ptrIjEEEEPS5_jNS1_19radix_merge_compareILb0ELb0EjNS0_19identity_decomposerEEEEE10hipError_tT0_T1_T2_jT3_P12ihipStream_tbPNSt15iterator_traitsISK_E10value_typeEPNSQ_ISL_E10value_typeEPSM_NS1_7vsmem_tEENKUlT_SK_SL_SM_E_clISE_PjSF_SF_EESJ_SZ_SK_SL_SM_EUlSZ_E0_NS1_11comp_targetILNS1_3genE2ELNS1_11target_archE906ELNS1_3gpuE6ELNS1_3repE0EEENS1_38merge_mergepath_config_static_selectorELNS0_4arch9wavefront6targetE1EEEvSL_,comdat
.Lfunc_end1006:
	.size	_ZN7rocprim17ROCPRIM_400000_NS6detail17trampoline_kernelINS0_14default_configENS1_38merge_sort_block_merge_config_selectorIjNS0_10empty_typeEEEZZNS1_27merge_sort_block_merge_implIS3_N6thrust23THRUST_200600_302600_NS6detail15normal_iteratorINS9_10device_ptrIjEEEEPS5_jNS1_19radix_merge_compareILb0ELb0EjNS0_19identity_decomposerEEEEE10hipError_tT0_T1_T2_jT3_P12ihipStream_tbPNSt15iterator_traitsISK_E10value_typeEPNSQ_ISL_E10value_typeEPSM_NS1_7vsmem_tEENKUlT_SK_SL_SM_E_clISE_PjSF_SF_EESJ_SZ_SK_SL_SM_EUlSZ_E0_NS1_11comp_targetILNS1_3genE2ELNS1_11target_archE906ELNS1_3gpuE6ELNS1_3repE0EEENS1_38merge_mergepath_config_static_selectorELNS0_4arch9wavefront6targetE1EEEvSL_, .Lfunc_end1006-_ZN7rocprim17ROCPRIM_400000_NS6detail17trampoline_kernelINS0_14default_configENS1_38merge_sort_block_merge_config_selectorIjNS0_10empty_typeEEEZZNS1_27merge_sort_block_merge_implIS3_N6thrust23THRUST_200600_302600_NS6detail15normal_iteratorINS9_10device_ptrIjEEEEPS5_jNS1_19radix_merge_compareILb0ELb0EjNS0_19identity_decomposerEEEEE10hipError_tT0_T1_T2_jT3_P12ihipStream_tbPNSt15iterator_traitsISK_E10value_typeEPNSQ_ISL_E10value_typeEPSM_NS1_7vsmem_tEENKUlT_SK_SL_SM_E_clISE_PjSF_SF_EESJ_SZ_SK_SL_SM_EUlSZ_E0_NS1_11comp_targetILNS1_3genE2ELNS1_11target_archE906ELNS1_3gpuE6ELNS1_3repE0EEENS1_38merge_mergepath_config_static_selectorELNS0_4arch9wavefront6targetE1EEEvSL_
                                        ; -- End function
	.section	.AMDGPU.csdata,"",@progbits
; Kernel info:
; codeLenInByte = 0
; NumSgprs: 6
; NumVgprs: 0
; NumAgprs: 0
; TotalNumVgprs: 0
; ScratchSize: 0
; MemoryBound: 0
; FloatMode: 240
; IeeeMode: 1
; LDSByteSize: 0 bytes/workgroup (compile time only)
; SGPRBlocks: 0
; VGPRBlocks: 0
; NumSGPRsForWavesPerEU: 6
; NumVGPRsForWavesPerEU: 1
; AccumOffset: 4
; Occupancy: 8
; WaveLimiterHint : 0
; COMPUTE_PGM_RSRC2:SCRATCH_EN: 0
; COMPUTE_PGM_RSRC2:USER_SGPR: 2
; COMPUTE_PGM_RSRC2:TRAP_HANDLER: 0
; COMPUTE_PGM_RSRC2:TGID_X_EN: 1
; COMPUTE_PGM_RSRC2:TGID_Y_EN: 0
; COMPUTE_PGM_RSRC2:TGID_Z_EN: 0
; COMPUTE_PGM_RSRC2:TIDIG_COMP_CNT: 0
; COMPUTE_PGM_RSRC3_GFX90A:ACCUM_OFFSET: 0
; COMPUTE_PGM_RSRC3_GFX90A:TG_SPLIT: 0
	.section	.text._ZN7rocprim17ROCPRIM_400000_NS6detail17trampoline_kernelINS0_14default_configENS1_38merge_sort_block_merge_config_selectorIjNS0_10empty_typeEEEZZNS1_27merge_sort_block_merge_implIS3_N6thrust23THRUST_200600_302600_NS6detail15normal_iteratorINS9_10device_ptrIjEEEEPS5_jNS1_19radix_merge_compareILb0ELb0EjNS0_19identity_decomposerEEEEE10hipError_tT0_T1_T2_jT3_P12ihipStream_tbPNSt15iterator_traitsISK_E10value_typeEPNSQ_ISL_E10value_typeEPSM_NS1_7vsmem_tEENKUlT_SK_SL_SM_E_clISE_PjSF_SF_EESJ_SZ_SK_SL_SM_EUlSZ_E0_NS1_11comp_targetILNS1_3genE9ELNS1_11target_archE1100ELNS1_3gpuE3ELNS1_3repE0EEENS1_38merge_mergepath_config_static_selectorELNS0_4arch9wavefront6targetE1EEEvSL_,"axG",@progbits,_ZN7rocprim17ROCPRIM_400000_NS6detail17trampoline_kernelINS0_14default_configENS1_38merge_sort_block_merge_config_selectorIjNS0_10empty_typeEEEZZNS1_27merge_sort_block_merge_implIS3_N6thrust23THRUST_200600_302600_NS6detail15normal_iteratorINS9_10device_ptrIjEEEEPS5_jNS1_19radix_merge_compareILb0ELb0EjNS0_19identity_decomposerEEEEE10hipError_tT0_T1_T2_jT3_P12ihipStream_tbPNSt15iterator_traitsISK_E10value_typeEPNSQ_ISL_E10value_typeEPSM_NS1_7vsmem_tEENKUlT_SK_SL_SM_E_clISE_PjSF_SF_EESJ_SZ_SK_SL_SM_EUlSZ_E0_NS1_11comp_targetILNS1_3genE9ELNS1_11target_archE1100ELNS1_3gpuE3ELNS1_3repE0EEENS1_38merge_mergepath_config_static_selectorELNS0_4arch9wavefront6targetE1EEEvSL_,comdat
	.protected	_ZN7rocprim17ROCPRIM_400000_NS6detail17trampoline_kernelINS0_14default_configENS1_38merge_sort_block_merge_config_selectorIjNS0_10empty_typeEEEZZNS1_27merge_sort_block_merge_implIS3_N6thrust23THRUST_200600_302600_NS6detail15normal_iteratorINS9_10device_ptrIjEEEEPS5_jNS1_19radix_merge_compareILb0ELb0EjNS0_19identity_decomposerEEEEE10hipError_tT0_T1_T2_jT3_P12ihipStream_tbPNSt15iterator_traitsISK_E10value_typeEPNSQ_ISL_E10value_typeEPSM_NS1_7vsmem_tEENKUlT_SK_SL_SM_E_clISE_PjSF_SF_EESJ_SZ_SK_SL_SM_EUlSZ_E0_NS1_11comp_targetILNS1_3genE9ELNS1_11target_archE1100ELNS1_3gpuE3ELNS1_3repE0EEENS1_38merge_mergepath_config_static_selectorELNS0_4arch9wavefront6targetE1EEEvSL_ ; -- Begin function _ZN7rocprim17ROCPRIM_400000_NS6detail17trampoline_kernelINS0_14default_configENS1_38merge_sort_block_merge_config_selectorIjNS0_10empty_typeEEEZZNS1_27merge_sort_block_merge_implIS3_N6thrust23THRUST_200600_302600_NS6detail15normal_iteratorINS9_10device_ptrIjEEEEPS5_jNS1_19radix_merge_compareILb0ELb0EjNS0_19identity_decomposerEEEEE10hipError_tT0_T1_T2_jT3_P12ihipStream_tbPNSt15iterator_traitsISK_E10value_typeEPNSQ_ISL_E10value_typeEPSM_NS1_7vsmem_tEENKUlT_SK_SL_SM_E_clISE_PjSF_SF_EESJ_SZ_SK_SL_SM_EUlSZ_E0_NS1_11comp_targetILNS1_3genE9ELNS1_11target_archE1100ELNS1_3gpuE3ELNS1_3repE0EEENS1_38merge_mergepath_config_static_selectorELNS0_4arch9wavefront6targetE1EEEvSL_
	.globl	_ZN7rocprim17ROCPRIM_400000_NS6detail17trampoline_kernelINS0_14default_configENS1_38merge_sort_block_merge_config_selectorIjNS0_10empty_typeEEEZZNS1_27merge_sort_block_merge_implIS3_N6thrust23THRUST_200600_302600_NS6detail15normal_iteratorINS9_10device_ptrIjEEEEPS5_jNS1_19radix_merge_compareILb0ELb0EjNS0_19identity_decomposerEEEEE10hipError_tT0_T1_T2_jT3_P12ihipStream_tbPNSt15iterator_traitsISK_E10value_typeEPNSQ_ISL_E10value_typeEPSM_NS1_7vsmem_tEENKUlT_SK_SL_SM_E_clISE_PjSF_SF_EESJ_SZ_SK_SL_SM_EUlSZ_E0_NS1_11comp_targetILNS1_3genE9ELNS1_11target_archE1100ELNS1_3gpuE3ELNS1_3repE0EEENS1_38merge_mergepath_config_static_selectorELNS0_4arch9wavefront6targetE1EEEvSL_
	.p2align	8
	.type	_ZN7rocprim17ROCPRIM_400000_NS6detail17trampoline_kernelINS0_14default_configENS1_38merge_sort_block_merge_config_selectorIjNS0_10empty_typeEEEZZNS1_27merge_sort_block_merge_implIS3_N6thrust23THRUST_200600_302600_NS6detail15normal_iteratorINS9_10device_ptrIjEEEEPS5_jNS1_19radix_merge_compareILb0ELb0EjNS0_19identity_decomposerEEEEE10hipError_tT0_T1_T2_jT3_P12ihipStream_tbPNSt15iterator_traitsISK_E10value_typeEPNSQ_ISL_E10value_typeEPSM_NS1_7vsmem_tEENKUlT_SK_SL_SM_E_clISE_PjSF_SF_EESJ_SZ_SK_SL_SM_EUlSZ_E0_NS1_11comp_targetILNS1_3genE9ELNS1_11target_archE1100ELNS1_3gpuE3ELNS1_3repE0EEENS1_38merge_mergepath_config_static_selectorELNS0_4arch9wavefront6targetE1EEEvSL_,@function
_ZN7rocprim17ROCPRIM_400000_NS6detail17trampoline_kernelINS0_14default_configENS1_38merge_sort_block_merge_config_selectorIjNS0_10empty_typeEEEZZNS1_27merge_sort_block_merge_implIS3_N6thrust23THRUST_200600_302600_NS6detail15normal_iteratorINS9_10device_ptrIjEEEEPS5_jNS1_19radix_merge_compareILb0ELb0EjNS0_19identity_decomposerEEEEE10hipError_tT0_T1_T2_jT3_P12ihipStream_tbPNSt15iterator_traitsISK_E10value_typeEPNSQ_ISL_E10value_typeEPSM_NS1_7vsmem_tEENKUlT_SK_SL_SM_E_clISE_PjSF_SF_EESJ_SZ_SK_SL_SM_EUlSZ_E0_NS1_11comp_targetILNS1_3genE9ELNS1_11target_archE1100ELNS1_3gpuE3ELNS1_3repE0EEENS1_38merge_mergepath_config_static_selectorELNS0_4arch9wavefront6targetE1EEEvSL_: ; @_ZN7rocprim17ROCPRIM_400000_NS6detail17trampoline_kernelINS0_14default_configENS1_38merge_sort_block_merge_config_selectorIjNS0_10empty_typeEEEZZNS1_27merge_sort_block_merge_implIS3_N6thrust23THRUST_200600_302600_NS6detail15normal_iteratorINS9_10device_ptrIjEEEEPS5_jNS1_19radix_merge_compareILb0ELb0EjNS0_19identity_decomposerEEEEE10hipError_tT0_T1_T2_jT3_P12ihipStream_tbPNSt15iterator_traitsISK_E10value_typeEPNSQ_ISL_E10value_typeEPSM_NS1_7vsmem_tEENKUlT_SK_SL_SM_E_clISE_PjSF_SF_EESJ_SZ_SK_SL_SM_EUlSZ_E0_NS1_11comp_targetILNS1_3genE9ELNS1_11target_archE1100ELNS1_3gpuE3ELNS1_3repE0EEENS1_38merge_mergepath_config_static_selectorELNS0_4arch9wavefront6targetE1EEEvSL_
; %bb.0:
	.section	.rodata,"a",@progbits
	.p2align	6, 0x0
	.amdhsa_kernel _ZN7rocprim17ROCPRIM_400000_NS6detail17trampoline_kernelINS0_14default_configENS1_38merge_sort_block_merge_config_selectorIjNS0_10empty_typeEEEZZNS1_27merge_sort_block_merge_implIS3_N6thrust23THRUST_200600_302600_NS6detail15normal_iteratorINS9_10device_ptrIjEEEEPS5_jNS1_19radix_merge_compareILb0ELb0EjNS0_19identity_decomposerEEEEE10hipError_tT0_T1_T2_jT3_P12ihipStream_tbPNSt15iterator_traitsISK_E10value_typeEPNSQ_ISL_E10value_typeEPSM_NS1_7vsmem_tEENKUlT_SK_SL_SM_E_clISE_PjSF_SF_EESJ_SZ_SK_SL_SM_EUlSZ_E0_NS1_11comp_targetILNS1_3genE9ELNS1_11target_archE1100ELNS1_3gpuE3ELNS1_3repE0EEENS1_38merge_mergepath_config_static_selectorELNS0_4arch9wavefront6targetE1EEEvSL_
		.amdhsa_group_segment_fixed_size 0
		.amdhsa_private_segment_fixed_size 0
		.amdhsa_kernarg_size 64
		.amdhsa_user_sgpr_count 2
		.amdhsa_user_sgpr_dispatch_ptr 0
		.amdhsa_user_sgpr_queue_ptr 0
		.amdhsa_user_sgpr_kernarg_segment_ptr 1
		.amdhsa_user_sgpr_dispatch_id 0
		.amdhsa_user_sgpr_kernarg_preload_length 0
		.amdhsa_user_sgpr_kernarg_preload_offset 0
		.amdhsa_user_sgpr_private_segment_size 0
		.amdhsa_uses_dynamic_stack 0
		.amdhsa_enable_private_segment 0
		.amdhsa_system_sgpr_workgroup_id_x 1
		.amdhsa_system_sgpr_workgroup_id_y 0
		.amdhsa_system_sgpr_workgroup_id_z 0
		.amdhsa_system_sgpr_workgroup_info 0
		.amdhsa_system_vgpr_workitem_id 0
		.amdhsa_next_free_vgpr 1
		.amdhsa_next_free_sgpr 0
		.amdhsa_accum_offset 4
		.amdhsa_reserve_vcc 0
		.amdhsa_float_round_mode_32 0
		.amdhsa_float_round_mode_16_64 0
		.amdhsa_float_denorm_mode_32 3
		.amdhsa_float_denorm_mode_16_64 3
		.amdhsa_dx10_clamp 1
		.amdhsa_ieee_mode 1
		.amdhsa_fp16_overflow 0
		.amdhsa_tg_split 0
		.amdhsa_exception_fp_ieee_invalid_op 0
		.amdhsa_exception_fp_denorm_src 0
		.amdhsa_exception_fp_ieee_div_zero 0
		.amdhsa_exception_fp_ieee_overflow 0
		.amdhsa_exception_fp_ieee_underflow 0
		.amdhsa_exception_fp_ieee_inexact 0
		.amdhsa_exception_int_div_zero 0
	.end_amdhsa_kernel
	.section	.text._ZN7rocprim17ROCPRIM_400000_NS6detail17trampoline_kernelINS0_14default_configENS1_38merge_sort_block_merge_config_selectorIjNS0_10empty_typeEEEZZNS1_27merge_sort_block_merge_implIS3_N6thrust23THRUST_200600_302600_NS6detail15normal_iteratorINS9_10device_ptrIjEEEEPS5_jNS1_19radix_merge_compareILb0ELb0EjNS0_19identity_decomposerEEEEE10hipError_tT0_T1_T2_jT3_P12ihipStream_tbPNSt15iterator_traitsISK_E10value_typeEPNSQ_ISL_E10value_typeEPSM_NS1_7vsmem_tEENKUlT_SK_SL_SM_E_clISE_PjSF_SF_EESJ_SZ_SK_SL_SM_EUlSZ_E0_NS1_11comp_targetILNS1_3genE9ELNS1_11target_archE1100ELNS1_3gpuE3ELNS1_3repE0EEENS1_38merge_mergepath_config_static_selectorELNS0_4arch9wavefront6targetE1EEEvSL_,"axG",@progbits,_ZN7rocprim17ROCPRIM_400000_NS6detail17trampoline_kernelINS0_14default_configENS1_38merge_sort_block_merge_config_selectorIjNS0_10empty_typeEEEZZNS1_27merge_sort_block_merge_implIS3_N6thrust23THRUST_200600_302600_NS6detail15normal_iteratorINS9_10device_ptrIjEEEEPS5_jNS1_19radix_merge_compareILb0ELb0EjNS0_19identity_decomposerEEEEE10hipError_tT0_T1_T2_jT3_P12ihipStream_tbPNSt15iterator_traitsISK_E10value_typeEPNSQ_ISL_E10value_typeEPSM_NS1_7vsmem_tEENKUlT_SK_SL_SM_E_clISE_PjSF_SF_EESJ_SZ_SK_SL_SM_EUlSZ_E0_NS1_11comp_targetILNS1_3genE9ELNS1_11target_archE1100ELNS1_3gpuE3ELNS1_3repE0EEENS1_38merge_mergepath_config_static_selectorELNS0_4arch9wavefront6targetE1EEEvSL_,comdat
.Lfunc_end1007:
	.size	_ZN7rocprim17ROCPRIM_400000_NS6detail17trampoline_kernelINS0_14default_configENS1_38merge_sort_block_merge_config_selectorIjNS0_10empty_typeEEEZZNS1_27merge_sort_block_merge_implIS3_N6thrust23THRUST_200600_302600_NS6detail15normal_iteratorINS9_10device_ptrIjEEEEPS5_jNS1_19radix_merge_compareILb0ELb0EjNS0_19identity_decomposerEEEEE10hipError_tT0_T1_T2_jT3_P12ihipStream_tbPNSt15iterator_traitsISK_E10value_typeEPNSQ_ISL_E10value_typeEPSM_NS1_7vsmem_tEENKUlT_SK_SL_SM_E_clISE_PjSF_SF_EESJ_SZ_SK_SL_SM_EUlSZ_E0_NS1_11comp_targetILNS1_3genE9ELNS1_11target_archE1100ELNS1_3gpuE3ELNS1_3repE0EEENS1_38merge_mergepath_config_static_selectorELNS0_4arch9wavefront6targetE1EEEvSL_, .Lfunc_end1007-_ZN7rocprim17ROCPRIM_400000_NS6detail17trampoline_kernelINS0_14default_configENS1_38merge_sort_block_merge_config_selectorIjNS0_10empty_typeEEEZZNS1_27merge_sort_block_merge_implIS3_N6thrust23THRUST_200600_302600_NS6detail15normal_iteratorINS9_10device_ptrIjEEEEPS5_jNS1_19radix_merge_compareILb0ELb0EjNS0_19identity_decomposerEEEEE10hipError_tT0_T1_T2_jT3_P12ihipStream_tbPNSt15iterator_traitsISK_E10value_typeEPNSQ_ISL_E10value_typeEPSM_NS1_7vsmem_tEENKUlT_SK_SL_SM_E_clISE_PjSF_SF_EESJ_SZ_SK_SL_SM_EUlSZ_E0_NS1_11comp_targetILNS1_3genE9ELNS1_11target_archE1100ELNS1_3gpuE3ELNS1_3repE0EEENS1_38merge_mergepath_config_static_selectorELNS0_4arch9wavefront6targetE1EEEvSL_
                                        ; -- End function
	.section	.AMDGPU.csdata,"",@progbits
; Kernel info:
; codeLenInByte = 0
; NumSgprs: 6
; NumVgprs: 0
; NumAgprs: 0
; TotalNumVgprs: 0
; ScratchSize: 0
; MemoryBound: 0
; FloatMode: 240
; IeeeMode: 1
; LDSByteSize: 0 bytes/workgroup (compile time only)
; SGPRBlocks: 0
; VGPRBlocks: 0
; NumSGPRsForWavesPerEU: 6
; NumVGPRsForWavesPerEU: 1
; AccumOffset: 4
; Occupancy: 8
; WaveLimiterHint : 0
; COMPUTE_PGM_RSRC2:SCRATCH_EN: 0
; COMPUTE_PGM_RSRC2:USER_SGPR: 2
; COMPUTE_PGM_RSRC2:TRAP_HANDLER: 0
; COMPUTE_PGM_RSRC2:TGID_X_EN: 1
; COMPUTE_PGM_RSRC2:TGID_Y_EN: 0
; COMPUTE_PGM_RSRC2:TGID_Z_EN: 0
; COMPUTE_PGM_RSRC2:TIDIG_COMP_CNT: 0
; COMPUTE_PGM_RSRC3_GFX90A:ACCUM_OFFSET: 0
; COMPUTE_PGM_RSRC3_GFX90A:TG_SPLIT: 0
	.section	.text._ZN7rocprim17ROCPRIM_400000_NS6detail17trampoline_kernelINS0_14default_configENS1_38merge_sort_block_merge_config_selectorIjNS0_10empty_typeEEEZZNS1_27merge_sort_block_merge_implIS3_N6thrust23THRUST_200600_302600_NS6detail15normal_iteratorINS9_10device_ptrIjEEEEPS5_jNS1_19radix_merge_compareILb0ELb0EjNS0_19identity_decomposerEEEEE10hipError_tT0_T1_T2_jT3_P12ihipStream_tbPNSt15iterator_traitsISK_E10value_typeEPNSQ_ISL_E10value_typeEPSM_NS1_7vsmem_tEENKUlT_SK_SL_SM_E_clISE_PjSF_SF_EESJ_SZ_SK_SL_SM_EUlSZ_E0_NS1_11comp_targetILNS1_3genE8ELNS1_11target_archE1030ELNS1_3gpuE2ELNS1_3repE0EEENS1_38merge_mergepath_config_static_selectorELNS0_4arch9wavefront6targetE1EEEvSL_,"axG",@progbits,_ZN7rocprim17ROCPRIM_400000_NS6detail17trampoline_kernelINS0_14default_configENS1_38merge_sort_block_merge_config_selectorIjNS0_10empty_typeEEEZZNS1_27merge_sort_block_merge_implIS3_N6thrust23THRUST_200600_302600_NS6detail15normal_iteratorINS9_10device_ptrIjEEEEPS5_jNS1_19radix_merge_compareILb0ELb0EjNS0_19identity_decomposerEEEEE10hipError_tT0_T1_T2_jT3_P12ihipStream_tbPNSt15iterator_traitsISK_E10value_typeEPNSQ_ISL_E10value_typeEPSM_NS1_7vsmem_tEENKUlT_SK_SL_SM_E_clISE_PjSF_SF_EESJ_SZ_SK_SL_SM_EUlSZ_E0_NS1_11comp_targetILNS1_3genE8ELNS1_11target_archE1030ELNS1_3gpuE2ELNS1_3repE0EEENS1_38merge_mergepath_config_static_selectorELNS0_4arch9wavefront6targetE1EEEvSL_,comdat
	.protected	_ZN7rocprim17ROCPRIM_400000_NS6detail17trampoline_kernelINS0_14default_configENS1_38merge_sort_block_merge_config_selectorIjNS0_10empty_typeEEEZZNS1_27merge_sort_block_merge_implIS3_N6thrust23THRUST_200600_302600_NS6detail15normal_iteratorINS9_10device_ptrIjEEEEPS5_jNS1_19radix_merge_compareILb0ELb0EjNS0_19identity_decomposerEEEEE10hipError_tT0_T1_T2_jT3_P12ihipStream_tbPNSt15iterator_traitsISK_E10value_typeEPNSQ_ISL_E10value_typeEPSM_NS1_7vsmem_tEENKUlT_SK_SL_SM_E_clISE_PjSF_SF_EESJ_SZ_SK_SL_SM_EUlSZ_E0_NS1_11comp_targetILNS1_3genE8ELNS1_11target_archE1030ELNS1_3gpuE2ELNS1_3repE0EEENS1_38merge_mergepath_config_static_selectorELNS0_4arch9wavefront6targetE1EEEvSL_ ; -- Begin function _ZN7rocprim17ROCPRIM_400000_NS6detail17trampoline_kernelINS0_14default_configENS1_38merge_sort_block_merge_config_selectorIjNS0_10empty_typeEEEZZNS1_27merge_sort_block_merge_implIS3_N6thrust23THRUST_200600_302600_NS6detail15normal_iteratorINS9_10device_ptrIjEEEEPS5_jNS1_19radix_merge_compareILb0ELb0EjNS0_19identity_decomposerEEEEE10hipError_tT0_T1_T2_jT3_P12ihipStream_tbPNSt15iterator_traitsISK_E10value_typeEPNSQ_ISL_E10value_typeEPSM_NS1_7vsmem_tEENKUlT_SK_SL_SM_E_clISE_PjSF_SF_EESJ_SZ_SK_SL_SM_EUlSZ_E0_NS1_11comp_targetILNS1_3genE8ELNS1_11target_archE1030ELNS1_3gpuE2ELNS1_3repE0EEENS1_38merge_mergepath_config_static_selectorELNS0_4arch9wavefront6targetE1EEEvSL_
	.globl	_ZN7rocprim17ROCPRIM_400000_NS6detail17trampoline_kernelINS0_14default_configENS1_38merge_sort_block_merge_config_selectorIjNS0_10empty_typeEEEZZNS1_27merge_sort_block_merge_implIS3_N6thrust23THRUST_200600_302600_NS6detail15normal_iteratorINS9_10device_ptrIjEEEEPS5_jNS1_19radix_merge_compareILb0ELb0EjNS0_19identity_decomposerEEEEE10hipError_tT0_T1_T2_jT3_P12ihipStream_tbPNSt15iterator_traitsISK_E10value_typeEPNSQ_ISL_E10value_typeEPSM_NS1_7vsmem_tEENKUlT_SK_SL_SM_E_clISE_PjSF_SF_EESJ_SZ_SK_SL_SM_EUlSZ_E0_NS1_11comp_targetILNS1_3genE8ELNS1_11target_archE1030ELNS1_3gpuE2ELNS1_3repE0EEENS1_38merge_mergepath_config_static_selectorELNS0_4arch9wavefront6targetE1EEEvSL_
	.p2align	8
	.type	_ZN7rocprim17ROCPRIM_400000_NS6detail17trampoline_kernelINS0_14default_configENS1_38merge_sort_block_merge_config_selectorIjNS0_10empty_typeEEEZZNS1_27merge_sort_block_merge_implIS3_N6thrust23THRUST_200600_302600_NS6detail15normal_iteratorINS9_10device_ptrIjEEEEPS5_jNS1_19radix_merge_compareILb0ELb0EjNS0_19identity_decomposerEEEEE10hipError_tT0_T1_T2_jT3_P12ihipStream_tbPNSt15iterator_traitsISK_E10value_typeEPNSQ_ISL_E10value_typeEPSM_NS1_7vsmem_tEENKUlT_SK_SL_SM_E_clISE_PjSF_SF_EESJ_SZ_SK_SL_SM_EUlSZ_E0_NS1_11comp_targetILNS1_3genE8ELNS1_11target_archE1030ELNS1_3gpuE2ELNS1_3repE0EEENS1_38merge_mergepath_config_static_selectorELNS0_4arch9wavefront6targetE1EEEvSL_,@function
_ZN7rocprim17ROCPRIM_400000_NS6detail17trampoline_kernelINS0_14default_configENS1_38merge_sort_block_merge_config_selectorIjNS0_10empty_typeEEEZZNS1_27merge_sort_block_merge_implIS3_N6thrust23THRUST_200600_302600_NS6detail15normal_iteratorINS9_10device_ptrIjEEEEPS5_jNS1_19radix_merge_compareILb0ELb0EjNS0_19identity_decomposerEEEEE10hipError_tT0_T1_T2_jT3_P12ihipStream_tbPNSt15iterator_traitsISK_E10value_typeEPNSQ_ISL_E10value_typeEPSM_NS1_7vsmem_tEENKUlT_SK_SL_SM_E_clISE_PjSF_SF_EESJ_SZ_SK_SL_SM_EUlSZ_E0_NS1_11comp_targetILNS1_3genE8ELNS1_11target_archE1030ELNS1_3gpuE2ELNS1_3repE0EEENS1_38merge_mergepath_config_static_selectorELNS0_4arch9wavefront6targetE1EEEvSL_: ; @_ZN7rocprim17ROCPRIM_400000_NS6detail17trampoline_kernelINS0_14default_configENS1_38merge_sort_block_merge_config_selectorIjNS0_10empty_typeEEEZZNS1_27merge_sort_block_merge_implIS3_N6thrust23THRUST_200600_302600_NS6detail15normal_iteratorINS9_10device_ptrIjEEEEPS5_jNS1_19radix_merge_compareILb0ELb0EjNS0_19identity_decomposerEEEEE10hipError_tT0_T1_T2_jT3_P12ihipStream_tbPNSt15iterator_traitsISK_E10value_typeEPNSQ_ISL_E10value_typeEPSM_NS1_7vsmem_tEENKUlT_SK_SL_SM_E_clISE_PjSF_SF_EESJ_SZ_SK_SL_SM_EUlSZ_E0_NS1_11comp_targetILNS1_3genE8ELNS1_11target_archE1030ELNS1_3gpuE2ELNS1_3repE0EEENS1_38merge_mergepath_config_static_selectorELNS0_4arch9wavefront6targetE1EEEvSL_
; %bb.0:
	.section	.rodata,"a",@progbits
	.p2align	6, 0x0
	.amdhsa_kernel _ZN7rocprim17ROCPRIM_400000_NS6detail17trampoline_kernelINS0_14default_configENS1_38merge_sort_block_merge_config_selectorIjNS0_10empty_typeEEEZZNS1_27merge_sort_block_merge_implIS3_N6thrust23THRUST_200600_302600_NS6detail15normal_iteratorINS9_10device_ptrIjEEEEPS5_jNS1_19radix_merge_compareILb0ELb0EjNS0_19identity_decomposerEEEEE10hipError_tT0_T1_T2_jT3_P12ihipStream_tbPNSt15iterator_traitsISK_E10value_typeEPNSQ_ISL_E10value_typeEPSM_NS1_7vsmem_tEENKUlT_SK_SL_SM_E_clISE_PjSF_SF_EESJ_SZ_SK_SL_SM_EUlSZ_E0_NS1_11comp_targetILNS1_3genE8ELNS1_11target_archE1030ELNS1_3gpuE2ELNS1_3repE0EEENS1_38merge_mergepath_config_static_selectorELNS0_4arch9wavefront6targetE1EEEvSL_
		.amdhsa_group_segment_fixed_size 0
		.amdhsa_private_segment_fixed_size 0
		.amdhsa_kernarg_size 64
		.amdhsa_user_sgpr_count 2
		.amdhsa_user_sgpr_dispatch_ptr 0
		.amdhsa_user_sgpr_queue_ptr 0
		.amdhsa_user_sgpr_kernarg_segment_ptr 1
		.amdhsa_user_sgpr_dispatch_id 0
		.amdhsa_user_sgpr_kernarg_preload_length 0
		.amdhsa_user_sgpr_kernarg_preload_offset 0
		.amdhsa_user_sgpr_private_segment_size 0
		.amdhsa_uses_dynamic_stack 0
		.amdhsa_enable_private_segment 0
		.amdhsa_system_sgpr_workgroup_id_x 1
		.amdhsa_system_sgpr_workgroup_id_y 0
		.amdhsa_system_sgpr_workgroup_id_z 0
		.amdhsa_system_sgpr_workgroup_info 0
		.amdhsa_system_vgpr_workitem_id 0
		.amdhsa_next_free_vgpr 1
		.amdhsa_next_free_sgpr 0
		.amdhsa_accum_offset 4
		.amdhsa_reserve_vcc 0
		.amdhsa_float_round_mode_32 0
		.amdhsa_float_round_mode_16_64 0
		.amdhsa_float_denorm_mode_32 3
		.amdhsa_float_denorm_mode_16_64 3
		.amdhsa_dx10_clamp 1
		.amdhsa_ieee_mode 1
		.amdhsa_fp16_overflow 0
		.amdhsa_tg_split 0
		.amdhsa_exception_fp_ieee_invalid_op 0
		.amdhsa_exception_fp_denorm_src 0
		.amdhsa_exception_fp_ieee_div_zero 0
		.amdhsa_exception_fp_ieee_overflow 0
		.amdhsa_exception_fp_ieee_underflow 0
		.amdhsa_exception_fp_ieee_inexact 0
		.amdhsa_exception_int_div_zero 0
	.end_amdhsa_kernel
	.section	.text._ZN7rocprim17ROCPRIM_400000_NS6detail17trampoline_kernelINS0_14default_configENS1_38merge_sort_block_merge_config_selectorIjNS0_10empty_typeEEEZZNS1_27merge_sort_block_merge_implIS3_N6thrust23THRUST_200600_302600_NS6detail15normal_iteratorINS9_10device_ptrIjEEEEPS5_jNS1_19radix_merge_compareILb0ELb0EjNS0_19identity_decomposerEEEEE10hipError_tT0_T1_T2_jT3_P12ihipStream_tbPNSt15iterator_traitsISK_E10value_typeEPNSQ_ISL_E10value_typeEPSM_NS1_7vsmem_tEENKUlT_SK_SL_SM_E_clISE_PjSF_SF_EESJ_SZ_SK_SL_SM_EUlSZ_E0_NS1_11comp_targetILNS1_3genE8ELNS1_11target_archE1030ELNS1_3gpuE2ELNS1_3repE0EEENS1_38merge_mergepath_config_static_selectorELNS0_4arch9wavefront6targetE1EEEvSL_,"axG",@progbits,_ZN7rocprim17ROCPRIM_400000_NS6detail17trampoline_kernelINS0_14default_configENS1_38merge_sort_block_merge_config_selectorIjNS0_10empty_typeEEEZZNS1_27merge_sort_block_merge_implIS3_N6thrust23THRUST_200600_302600_NS6detail15normal_iteratorINS9_10device_ptrIjEEEEPS5_jNS1_19radix_merge_compareILb0ELb0EjNS0_19identity_decomposerEEEEE10hipError_tT0_T1_T2_jT3_P12ihipStream_tbPNSt15iterator_traitsISK_E10value_typeEPNSQ_ISL_E10value_typeEPSM_NS1_7vsmem_tEENKUlT_SK_SL_SM_E_clISE_PjSF_SF_EESJ_SZ_SK_SL_SM_EUlSZ_E0_NS1_11comp_targetILNS1_3genE8ELNS1_11target_archE1030ELNS1_3gpuE2ELNS1_3repE0EEENS1_38merge_mergepath_config_static_selectorELNS0_4arch9wavefront6targetE1EEEvSL_,comdat
.Lfunc_end1008:
	.size	_ZN7rocprim17ROCPRIM_400000_NS6detail17trampoline_kernelINS0_14default_configENS1_38merge_sort_block_merge_config_selectorIjNS0_10empty_typeEEEZZNS1_27merge_sort_block_merge_implIS3_N6thrust23THRUST_200600_302600_NS6detail15normal_iteratorINS9_10device_ptrIjEEEEPS5_jNS1_19radix_merge_compareILb0ELb0EjNS0_19identity_decomposerEEEEE10hipError_tT0_T1_T2_jT3_P12ihipStream_tbPNSt15iterator_traitsISK_E10value_typeEPNSQ_ISL_E10value_typeEPSM_NS1_7vsmem_tEENKUlT_SK_SL_SM_E_clISE_PjSF_SF_EESJ_SZ_SK_SL_SM_EUlSZ_E0_NS1_11comp_targetILNS1_3genE8ELNS1_11target_archE1030ELNS1_3gpuE2ELNS1_3repE0EEENS1_38merge_mergepath_config_static_selectorELNS0_4arch9wavefront6targetE1EEEvSL_, .Lfunc_end1008-_ZN7rocprim17ROCPRIM_400000_NS6detail17trampoline_kernelINS0_14default_configENS1_38merge_sort_block_merge_config_selectorIjNS0_10empty_typeEEEZZNS1_27merge_sort_block_merge_implIS3_N6thrust23THRUST_200600_302600_NS6detail15normal_iteratorINS9_10device_ptrIjEEEEPS5_jNS1_19radix_merge_compareILb0ELb0EjNS0_19identity_decomposerEEEEE10hipError_tT0_T1_T2_jT3_P12ihipStream_tbPNSt15iterator_traitsISK_E10value_typeEPNSQ_ISL_E10value_typeEPSM_NS1_7vsmem_tEENKUlT_SK_SL_SM_E_clISE_PjSF_SF_EESJ_SZ_SK_SL_SM_EUlSZ_E0_NS1_11comp_targetILNS1_3genE8ELNS1_11target_archE1030ELNS1_3gpuE2ELNS1_3repE0EEENS1_38merge_mergepath_config_static_selectorELNS0_4arch9wavefront6targetE1EEEvSL_
                                        ; -- End function
	.section	.AMDGPU.csdata,"",@progbits
; Kernel info:
; codeLenInByte = 0
; NumSgprs: 6
; NumVgprs: 0
; NumAgprs: 0
; TotalNumVgprs: 0
; ScratchSize: 0
; MemoryBound: 0
; FloatMode: 240
; IeeeMode: 1
; LDSByteSize: 0 bytes/workgroup (compile time only)
; SGPRBlocks: 0
; VGPRBlocks: 0
; NumSGPRsForWavesPerEU: 6
; NumVGPRsForWavesPerEU: 1
; AccumOffset: 4
; Occupancy: 8
; WaveLimiterHint : 0
; COMPUTE_PGM_RSRC2:SCRATCH_EN: 0
; COMPUTE_PGM_RSRC2:USER_SGPR: 2
; COMPUTE_PGM_RSRC2:TRAP_HANDLER: 0
; COMPUTE_PGM_RSRC2:TGID_X_EN: 1
; COMPUTE_PGM_RSRC2:TGID_Y_EN: 0
; COMPUTE_PGM_RSRC2:TGID_Z_EN: 0
; COMPUTE_PGM_RSRC2:TIDIG_COMP_CNT: 0
; COMPUTE_PGM_RSRC3_GFX90A:ACCUM_OFFSET: 0
; COMPUTE_PGM_RSRC3_GFX90A:TG_SPLIT: 0
	.section	.text._ZN7rocprim17ROCPRIM_400000_NS6detail17trampoline_kernelINS0_14default_configENS1_38merge_sort_block_merge_config_selectorIjNS0_10empty_typeEEEZZNS1_27merge_sort_block_merge_implIS3_N6thrust23THRUST_200600_302600_NS6detail15normal_iteratorINS9_10device_ptrIjEEEEPS5_jNS1_19radix_merge_compareILb0ELb0EjNS0_19identity_decomposerEEEEE10hipError_tT0_T1_T2_jT3_P12ihipStream_tbPNSt15iterator_traitsISK_E10value_typeEPNSQ_ISL_E10value_typeEPSM_NS1_7vsmem_tEENKUlT_SK_SL_SM_E_clISE_PjSF_SF_EESJ_SZ_SK_SL_SM_EUlSZ_E1_NS1_11comp_targetILNS1_3genE0ELNS1_11target_archE4294967295ELNS1_3gpuE0ELNS1_3repE0EEENS1_36merge_oddeven_config_static_selectorELNS0_4arch9wavefront6targetE1EEEvSL_,"axG",@progbits,_ZN7rocprim17ROCPRIM_400000_NS6detail17trampoline_kernelINS0_14default_configENS1_38merge_sort_block_merge_config_selectorIjNS0_10empty_typeEEEZZNS1_27merge_sort_block_merge_implIS3_N6thrust23THRUST_200600_302600_NS6detail15normal_iteratorINS9_10device_ptrIjEEEEPS5_jNS1_19radix_merge_compareILb0ELb0EjNS0_19identity_decomposerEEEEE10hipError_tT0_T1_T2_jT3_P12ihipStream_tbPNSt15iterator_traitsISK_E10value_typeEPNSQ_ISL_E10value_typeEPSM_NS1_7vsmem_tEENKUlT_SK_SL_SM_E_clISE_PjSF_SF_EESJ_SZ_SK_SL_SM_EUlSZ_E1_NS1_11comp_targetILNS1_3genE0ELNS1_11target_archE4294967295ELNS1_3gpuE0ELNS1_3repE0EEENS1_36merge_oddeven_config_static_selectorELNS0_4arch9wavefront6targetE1EEEvSL_,comdat
	.protected	_ZN7rocprim17ROCPRIM_400000_NS6detail17trampoline_kernelINS0_14default_configENS1_38merge_sort_block_merge_config_selectorIjNS0_10empty_typeEEEZZNS1_27merge_sort_block_merge_implIS3_N6thrust23THRUST_200600_302600_NS6detail15normal_iteratorINS9_10device_ptrIjEEEEPS5_jNS1_19radix_merge_compareILb0ELb0EjNS0_19identity_decomposerEEEEE10hipError_tT0_T1_T2_jT3_P12ihipStream_tbPNSt15iterator_traitsISK_E10value_typeEPNSQ_ISL_E10value_typeEPSM_NS1_7vsmem_tEENKUlT_SK_SL_SM_E_clISE_PjSF_SF_EESJ_SZ_SK_SL_SM_EUlSZ_E1_NS1_11comp_targetILNS1_3genE0ELNS1_11target_archE4294967295ELNS1_3gpuE0ELNS1_3repE0EEENS1_36merge_oddeven_config_static_selectorELNS0_4arch9wavefront6targetE1EEEvSL_ ; -- Begin function _ZN7rocprim17ROCPRIM_400000_NS6detail17trampoline_kernelINS0_14default_configENS1_38merge_sort_block_merge_config_selectorIjNS0_10empty_typeEEEZZNS1_27merge_sort_block_merge_implIS3_N6thrust23THRUST_200600_302600_NS6detail15normal_iteratorINS9_10device_ptrIjEEEEPS5_jNS1_19radix_merge_compareILb0ELb0EjNS0_19identity_decomposerEEEEE10hipError_tT0_T1_T2_jT3_P12ihipStream_tbPNSt15iterator_traitsISK_E10value_typeEPNSQ_ISL_E10value_typeEPSM_NS1_7vsmem_tEENKUlT_SK_SL_SM_E_clISE_PjSF_SF_EESJ_SZ_SK_SL_SM_EUlSZ_E1_NS1_11comp_targetILNS1_3genE0ELNS1_11target_archE4294967295ELNS1_3gpuE0ELNS1_3repE0EEENS1_36merge_oddeven_config_static_selectorELNS0_4arch9wavefront6targetE1EEEvSL_
	.globl	_ZN7rocprim17ROCPRIM_400000_NS6detail17trampoline_kernelINS0_14default_configENS1_38merge_sort_block_merge_config_selectorIjNS0_10empty_typeEEEZZNS1_27merge_sort_block_merge_implIS3_N6thrust23THRUST_200600_302600_NS6detail15normal_iteratorINS9_10device_ptrIjEEEEPS5_jNS1_19radix_merge_compareILb0ELb0EjNS0_19identity_decomposerEEEEE10hipError_tT0_T1_T2_jT3_P12ihipStream_tbPNSt15iterator_traitsISK_E10value_typeEPNSQ_ISL_E10value_typeEPSM_NS1_7vsmem_tEENKUlT_SK_SL_SM_E_clISE_PjSF_SF_EESJ_SZ_SK_SL_SM_EUlSZ_E1_NS1_11comp_targetILNS1_3genE0ELNS1_11target_archE4294967295ELNS1_3gpuE0ELNS1_3repE0EEENS1_36merge_oddeven_config_static_selectorELNS0_4arch9wavefront6targetE1EEEvSL_
	.p2align	8
	.type	_ZN7rocprim17ROCPRIM_400000_NS6detail17trampoline_kernelINS0_14default_configENS1_38merge_sort_block_merge_config_selectorIjNS0_10empty_typeEEEZZNS1_27merge_sort_block_merge_implIS3_N6thrust23THRUST_200600_302600_NS6detail15normal_iteratorINS9_10device_ptrIjEEEEPS5_jNS1_19radix_merge_compareILb0ELb0EjNS0_19identity_decomposerEEEEE10hipError_tT0_T1_T2_jT3_P12ihipStream_tbPNSt15iterator_traitsISK_E10value_typeEPNSQ_ISL_E10value_typeEPSM_NS1_7vsmem_tEENKUlT_SK_SL_SM_E_clISE_PjSF_SF_EESJ_SZ_SK_SL_SM_EUlSZ_E1_NS1_11comp_targetILNS1_3genE0ELNS1_11target_archE4294967295ELNS1_3gpuE0ELNS1_3repE0EEENS1_36merge_oddeven_config_static_selectorELNS0_4arch9wavefront6targetE1EEEvSL_,@function
_ZN7rocprim17ROCPRIM_400000_NS6detail17trampoline_kernelINS0_14default_configENS1_38merge_sort_block_merge_config_selectorIjNS0_10empty_typeEEEZZNS1_27merge_sort_block_merge_implIS3_N6thrust23THRUST_200600_302600_NS6detail15normal_iteratorINS9_10device_ptrIjEEEEPS5_jNS1_19radix_merge_compareILb0ELb0EjNS0_19identity_decomposerEEEEE10hipError_tT0_T1_T2_jT3_P12ihipStream_tbPNSt15iterator_traitsISK_E10value_typeEPNSQ_ISL_E10value_typeEPSM_NS1_7vsmem_tEENKUlT_SK_SL_SM_E_clISE_PjSF_SF_EESJ_SZ_SK_SL_SM_EUlSZ_E1_NS1_11comp_targetILNS1_3genE0ELNS1_11target_archE4294967295ELNS1_3gpuE0ELNS1_3repE0EEENS1_36merge_oddeven_config_static_selectorELNS0_4arch9wavefront6targetE1EEEvSL_: ; @_ZN7rocprim17ROCPRIM_400000_NS6detail17trampoline_kernelINS0_14default_configENS1_38merge_sort_block_merge_config_selectorIjNS0_10empty_typeEEEZZNS1_27merge_sort_block_merge_implIS3_N6thrust23THRUST_200600_302600_NS6detail15normal_iteratorINS9_10device_ptrIjEEEEPS5_jNS1_19radix_merge_compareILb0ELb0EjNS0_19identity_decomposerEEEEE10hipError_tT0_T1_T2_jT3_P12ihipStream_tbPNSt15iterator_traitsISK_E10value_typeEPNSQ_ISL_E10value_typeEPSM_NS1_7vsmem_tEENKUlT_SK_SL_SM_E_clISE_PjSF_SF_EESJ_SZ_SK_SL_SM_EUlSZ_E1_NS1_11comp_targetILNS1_3genE0ELNS1_11target_archE4294967295ELNS1_3gpuE0ELNS1_3repE0EEENS1_36merge_oddeven_config_static_selectorELNS0_4arch9wavefront6targetE1EEEvSL_
; %bb.0:
	.section	.rodata,"a",@progbits
	.p2align	6, 0x0
	.amdhsa_kernel _ZN7rocprim17ROCPRIM_400000_NS6detail17trampoline_kernelINS0_14default_configENS1_38merge_sort_block_merge_config_selectorIjNS0_10empty_typeEEEZZNS1_27merge_sort_block_merge_implIS3_N6thrust23THRUST_200600_302600_NS6detail15normal_iteratorINS9_10device_ptrIjEEEEPS5_jNS1_19radix_merge_compareILb0ELb0EjNS0_19identity_decomposerEEEEE10hipError_tT0_T1_T2_jT3_P12ihipStream_tbPNSt15iterator_traitsISK_E10value_typeEPNSQ_ISL_E10value_typeEPSM_NS1_7vsmem_tEENKUlT_SK_SL_SM_E_clISE_PjSF_SF_EESJ_SZ_SK_SL_SM_EUlSZ_E1_NS1_11comp_targetILNS1_3genE0ELNS1_11target_archE4294967295ELNS1_3gpuE0ELNS1_3repE0EEENS1_36merge_oddeven_config_static_selectorELNS0_4arch9wavefront6targetE1EEEvSL_
		.amdhsa_group_segment_fixed_size 0
		.amdhsa_private_segment_fixed_size 0
		.amdhsa_kernarg_size 48
		.amdhsa_user_sgpr_count 2
		.amdhsa_user_sgpr_dispatch_ptr 0
		.amdhsa_user_sgpr_queue_ptr 0
		.amdhsa_user_sgpr_kernarg_segment_ptr 1
		.amdhsa_user_sgpr_dispatch_id 0
		.amdhsa_user_sgpr_kernarg_preload_length 0
		.amdhsa_user_sgpr_kernarg_preload_offset 0
		.amdhsa_user_sgpr_private_segment_size 0
		.amdhsa_uses_dynamic_stack 0
		.amdhsa_enable_private_segment 0
		.amdhsa_system_sgpr_workgroup_id_x 1
		.amdhsa_system_sgpr_workgroup_id_y 0
		.amdhsa_system_sgpr_workgroup_id_z 0
		.amdhsa_system_sgpr_workgroup_info 0
		.amdhsa_system_vgpr_workitem_id 0
		.amdhsa_next_free_vgpr 1
		.amdhsa_next_free_sgpr 0
		.amdhsa_accum_offset 4
		.amdhsa_reserve_vcc 0
		.amdhsa_float_round_mode_32 0
		.amdhsa_float_round_mode_16_64 0
		.amdhsa_float_denorm_mode_32 3
		.amdhsa_float_denorm_mode_16_64 3
		.amdhsa_dx10_clamp 1
		.amdhsa_ieee_mode 1
		.amdhsa_fp16_overflow 0
		.amdhsa_tg_split 0
		.amdhsa_exception_fp_ieee_invalid_op 0
		.amdhsa_exception_fp_denorm_src 0
		.amdhsa_exception_fp_ieee_div_zero 0
		.amdhsa_exception_fp_ieee_overflow 0
		.amdhsa_exception_fp_ieee_underflow 0
		.amdhsa_exception_fp_ieee_inexact 0
		.amdhsa_exception_int_div_zero 0
	.end_amdhsa_kernel
	.section	.text._ZN7rocprim17ROCPRIM_400000_NS6detail17trampoline_kernelINS0_14default_configENS1_38merge_sort_block_merge_config_selectorIjNS0_10empty_typeEEEZZNS1_27merge_sort_block_merge_implIS3_N6thrust23THRUST_200600_302600_NS6detail15normal_iteratorINS9_10device_ptrIjEEEEPS5_jNS1_19radix_merge_compareILb0ELb0EjNS0_19identity_decomposerEEEEE10hipError_tT0_T1_T2_jT3_P12ihipStream_tbPNSt15iterator_traitsISK_E10value_typeEPNSQ_ISL_E10value_typeEPSM_NS1_7vsmem_tEENKUlT_SK_SL_SM_E_clISE_PjSF_SF_EESJ_SZ_SK_SL_SM_EUlSZ_E1_NS1_11comp_targetILNS1_3genE0ELNS1_11target_archE4294967295ELNS1_3gpuE0ELNS1_3repE0EEENS1_36merge_oddeven_config_static_selectorELNS0_4arch9wavefront6targetE1EEEvSL_,"axG",@progbits,_ZN7rocprim17ROCPRIM_400000_NS6detail17trampoline_kernelINS0_14default_configENS1_38merge_sort_block_merge_config_selectorIjNS0_10empty_typeEEEZZNS1_27merge_sort_block_merge_implIS3_N6thrust23THRUST_200600_302600_NS6detail15normal_iteratorINS9_10device_ptrIjEEEEPS5_jNS1_19radix_merge_compareILb0ELb0EjNS0_19identity_decomposerEEEEE10hipError_tT0_T1_T2_jT3_P12ihipStream_tbPNSt15iterator_traitsISK_E10value_typeEPNSQ_ISL_E10value_typeEPSM_NS1_7vsmem_tEENKUlT_SK_SL_SM_E_clISE_PjSF_SF_EESJ_SZ_SK_SL_SM_EUlSZ_E1_NS1_11comp_targetILNS1_3genE0ELNS1_11target_archE4294967295ELNS1_3gpuE0ELNS1_3repE0EEENS1_36merge_oddeven_config_static_selectorELNS0_4arch9wavefront6targetE1EEEvSL_,comdat
.Lfunc_end1009:
	.size	_ZN7rocprim17ROCPRIM_400000_NS6detail17trampoline_kernelINS0_14default_configENS1_38merge_sort_block_merge_config_selectorIjNS0_10empty_typeEEEZZNS1_27merge_sort_block_merge_implIS3_N6thrust23THRUST_200600_302600_NS6detail15normal_iteratorINS9_10device_ptrIjEEEEPS5_jNS1_19radix_merge_compareILb0ELb0EjNS0_19identity_decomposerEEEEE10hipError_tT0_T1_T2_jT3_P12ihipStream_tbPNSt15iterator_traitsISK_E10value_typeEPNSQ_ISL_E10value_typeEPSM_NS1_7vsmem_tEENKUlT_SK_SL_SM_E_clISE_PjSF_SF_EESJ_SZ_SK_SL_SM_EUlSZ_E1_NS1_11comp_targetILNS1_3genE0ELNS1_11target_archE4294967295ELNS1_3gpuE0ELNS1_3repE0EEENS1_36merge_oddeven_config_static_selectorELNS0_4arch9wavefront6targetE1EEEvSL_, .Lfunc_end1009-_ZN7rocprim17ROCPRIM_400000_NS6detail17trampoline_kernelINS0_14default_configENS1_38merge_sort_block_merge_config_selectorIjNS0_10empty_typeEEEZZNS1_27merge_sort_block_merge_implIS3_N6thrust23THRUST_200600_302600_NS6detail15normal_iteratorINS9_10device_ptrIjEEEEPS5_jNS1_19radix_merge_compareILb0ELb0EjNS0_19identity_decomposerEEEEE10hipError_tT0_T1_T2_jT3_P12ihipStream_tbPNSt15iterator_traitsISK_E10value_typeEPNSQ_ISL_E10value_typeEPSM_NS1_7vsmem_tEENKUlT_SK_SL_SM_E_clISE_PjSF_SF_EESJ_SZ_SK_SL_SM_EUlSZ_E1_NS1_11comp_targetILNS1_3genE0ELNS1_11target_archE4294967295ELNS1_3gpuE0ELNS1_3repE0EEENS1_36merge_oddeven_config_static_selectorELNS0_4arch9wavefront6targetE1EEEvSL_
                                        ; -- End function
	.section	.AMDGPU.csdata,"",@progbits
; Kernel info:
; codeLenInByte = 0
; NumSgprs: 6
; NumVgprs: 0
; NumAgprs: 0
; TotalNumVgprs: 0
; ScratchSize: 0
; MemoryBound: 0
; FloatMode: 240
; IeeeMode: 1
; LDSByteSize: 0 bytes/workgroup (compile time only)
; SGPRBlocks: 0
; VGPRBlocks: 0
; NumSGPRsForWavesPerEU: 6
; NumVGPRsForWavesPerEU: 1
; AccumOffset: 4
; Occupancy: 8
; WaveLimiterHint : 0
; COMPUTE_PGM_RSRC2:SCRATCH_EN: 0
; COMPUTE_PGM_RSRC2:USER_SGPR: 2
; COMPUTE_PGM_RSRC2:TRAP_HANDLER: 0
; COMPUTE_PGM_RSRC2:TGID_X_EN: 1
; COMPUTE_PGM_RSRC2:TGID_Y_EN: 0
; COMPUTE_PGM_RSRC2:TGID_Z_EN: 0
; COMPUTE_PGM_RSRC2:TIDIG_COMP_CNT: 0
; COMPUTE_PGM_RSRC3_GFX90A:ACCUM_OFFSET: 0
; COMPUTE_PGM_RSRC3_GFX90A:TG_SPLIT: 0
	.section	.text._ZN7rocprim17ROCPRIM_400000_NS6detail17trampoline_kernelINS0_14default_configENS1_38merge_sort_block_merge_config_selectorIjNS0_10empty_typeEEEZZNS1_27merge_sort_block_merge_implIS3_N6thrust23THRUST_200600_302600_NS6detail15normal_iteratorINS9_10device_ptrIjEEEEPS5_jNS1_19radix_merge_compareILb0ELb0EjNS0_19identity_decomposerEEEEE10hipError_tT0_T1_T2_jT3_P12ihipStream_tbPNSt15iterator_traitsISK_E10value_typeEPNSQ_ISL_E10value_typeEPSM_NS1_7vsmem_tEENKUlT_SK_SL_SM_E_clISE_PjSF_SF_EESJ_SZ_SK_SL_SM_EUlSZ_E1_NS1_11comp_targetILNS1_3genE10ELNS1_11target_archE1201ELNS1_3gpuE5ELNS1_3repE0EEENS1_36merge_oddeven_config_static_selectorELNS0_4arch9wavefront6targetE1EEEvSL_,"axG",@progbits,_ZN7rocprim17ROCPRIM_400000_NS6detail17trampoline_kernelINS0_14default_configENS1_38merge_sort_block_merge_config_selectorIjNS0_10empty_typeEEEZZNS1_27merge_sort_block_merge_implIS3_N6thrust23THRUST_200600_302600_NS6detail15normal_iteratorINS9_10device_ptrIjEEEEPS5_jNS1_19radix_merge_compareILb0ELb0EjNS0_19identity_decomposerEEEEE10hipError_tT0_T1_T2_jT3_P12ihipStream_tbPNSt15iterator_traitsISK_E10value_typeEPNSQ_ISL_E10value_typeEPSM_NS1_7vsmem_tEENKUlT_SK_SL_SM_E_clISE_PjSF_SF_EESJ_SZ_SK_SL_SM_EUlSZ_E1_NS1_11comp_targetILNS1_3genE10ELNS1_11target_archE1201ELNS1_3gpuE5ELNS1_3repE0EEENS1_36merge_oddeven_config_static_selectorELNS0_4arch9wavefront6targetE1EEEvSL_,comdat
	.protected	_ZN7rocprim17ROCPRIM_400000_NS6detail17trampoline_kernelINS0_14default_configENS1_38merge_sort_block_merge_config_selectorIjNS0_10empty_typeEEEZZNS1_27merge_sort_block_merge_implIS3_N6thrust23THRUST_200600_302600_NS6detail15normal_iteratorINS9_10device_ptrIjEEEEPS5_jNS1_19radix_merge_compareILb0ELb0EjNS0_19identity_decomposerEEEEE10hipError_tT0_T1_T2_jT3_P12ihipStream_tbPNSt15iterator_traitsISK_E10value_typeEPNSQ_ISL_E10value_typeEPSM_NS1_7vsmem_tEENKUlT_SK_SL_SM_E_clISE_PjSF_SF_EESJ_SZ_SK_SL_SM_EUlSZ_E1_NS1_11comp_targetILNS1_3genE10ELNS1_11target_archE1201ELNS1_3gpuE5ELNS1_3repE0EEENS1_36merge_oddeven_config_static_selectorELNS0_4arch9wavefront6targetE1EEEvSL_ ; -- Begin function _ZN7rocprim17ROCPRIM_400000_NS6detail17trampoline_kernelINS0_14default_configENS1_38merge_sort_block_merge_config_selectorIjNS0_10empty_typeEEEZZNS1_27merge_sort_block_merge_implIS3_N6thrust23THRUST_200600_302600_NS6detail15normal_iteratorINS9_10device_ptrIjEEEEPS5_jNS1_19radix_merge_compareILb0ELb0EjNS0_19identity_decomposerEEEEE10hipError_tT0_T1_T2_jT3_P12ihipStream_tbPNSt15iterator_traitsISK_E10value_typeEPNSQ_ISL_E10value_typeEPSM_NS1_7vsmem_tEENKUlT_SK_SL_SM_E_clISE_PjSF_SF_EESJ_SZ_SK_SL_SM_EUlSZ_E1_NS1_11comp_targetILNS1_3genE10ELNS1_11target_archE1201ELNS1_3gpuE5ELNS1_3repE0EEENS1_36merge_oddeven_config_static_selectorELNS0_4arch9wavefront6targetE1EEEvSL_
	.globl	_ZN7rocprim17ROCPRIM_400000_NS6detail17trampoline_kernelINS0_14default_configENS1_38merge_sort_block_merge_config_selectorIjNS0_10empty_typeEEEZZNS1_27merge_sort_block_merge_implIS3_N6thrust23THRUST_200600_302600_NS6detail15normal_iteratorINS9_10device_ptrIjEEEEPS5_jNS1_19radix_merge_compareILb0ELb0EjNS0_19identity_decomposerEEEEE10hipError_tT0_T1_T2_jT3_P12ihipStream_tbPNSt15iterator_traitsISK_E10value_typeEPNSQ_ISL_E10value_typeEPSM_NS1_7vsmem_tEENKUlT_SK_SL_SM_E_clISE_PjSF_SF_EESJ_SZ_SK_SL_SM_EUlSZ_E1_NS1_11comp_targetILNS1_3genE10ELNS1_11target_archE1201ELNS1_3gpuE5ELNS1_3repE0EEENS1_36merge_oddeven_config_static_selectorELNS0_4arch9wavefront6targetE1EEEvSL_
	.p2align	8
	.type	_ZN7rocprim17ROCPRIM_400000_NS6detail17trampoline_kernelINS0_14default_configENS1_38merge_sort_block_merge_config_selectorIjNS0_10empty_typeEEEZZNS1_27merge_sort_block_merge_implIS3_N6thrust23THRUST_200600_302600_NS6detail15normal_iteratorINS9_10device_ptrIjEEEEPS5_jNS1_19radix_merge_compareILb0ELb0EjNS0_19identity_decomposerEEEEE10hipError_tT0_T1_T2_jT3_P12ihipStream_tbPNSt15iterator_traitsISK_E10value_typeEPNSQ_ISL_E10value_typeEPSM_NS1_7vsmem_tEENKUlT_SK_SL_SM_E_clISE_PjSF_SF_EESJ_SZ_SK_SL_SM_EUlSZ_E1_NS1_11comp_targetILNS1_3genE10ELNS1_11target_archE1201ELNS1_3gpuE5ELNS1_3repE0EEENS1_36merge_oddeven_config_static_selectorELNS0_4arch9wavefront6targetE1EEEvSL_,@function
_ZN7rocprim17ROCPRIM_400000_NS6detail17trampoline_kernelINS0_14default_configENS1_38merge_sort_block_merge_config_selectorIjNS0_10empty_typeEEEZZNS1_27merge_sort_block_merge_implIS3_N6thrust23THRUST_200600_302600_NS6detail15normal_iteratorINS9_10device_ptrIjEEEEPS5_jNS1_19radix_merge_compareILb0ELb0EjNS0_19identity_decomposerEEEEE10hipError_tT0_T1_T2_jT3_P12ihipStream_tbPNSt15iterator_traitsISK_E10value_typeEPNSQ_ISL_E10value_typeEPSM_NS1_7vsmem_tEENKUlT_SK_SL_SM_E_clISE_PjSF_SF_EESJ_SZ_SK_SL_SM_EUlSZ_E1_NS1_11comp_targetILNS1_3genE10ELNS1_11target_archE1201ELNS1_3gpuE5ELNS1_3repE0EEENS1_36merge_oddeven_config_static_selectorELNS0_4arch9wavefront6targetE1EEEvSL_: ; @_ZN7rocprim17ROCPRIM_400000_NS6detail17trampoline_kernelINS0_14default_configENS1_38merge_sort_block_merge_config_selectorIjNS0_10empty_typeEEEZZNS1_27merge_sort_block_merge_implIS3_N6thrust23THRUST_200600_302600_NS6detail15normal_iteratorINS9_10device_ptrIjEEEEPS5_jNS1_19radix_merge_compareILb0ELb0EjNS0_19identity_decomposerEEEEE10hipError_tT0_T1_T2_jT3_P12ihipStream_tbPNSt15iterator_traitsISK_E10value_typeEPNSQ_ISL_E10value_typeEPSM_NS1_7vsmem_tEENKUlT_SK_SL_SM_E_clISE_PjSF_SF_EESJ_SZ_SK_SL_SM_EUlSZ_E1_NS1_11comp_targetILNS1_3genE10ELNS1_11target_archE1201ELNS1_3gpuE5ELNS1_3repE0EEENS1_36merge_oddeven_config_static_selectorELNS0_4arch9wavefront6targetE1EEEvSL_
; %bb.0:
	.section	.rodata,"a",@progbits
	.p2align	6, 0x0
	.amdhsa_kernel _ZN7rocprim17ROCPRIM_400000_NS6detail17trampoline_kernelINS0_14default_configENS1_38merge_sort_block_merge_config_selectorIjNS0_10empty_typeEEEZZNS1_27merge_sort_block_merge_implIS3_N6thrust23THRUST_200600_302600_NS6detail15normal_iteratorINS9_10device_ptrIjEEEEPS5_jNS1_19radix_merge_compareILb0ELb0EjNS0_19identity_decomposerEEEEE10hipError_tT0_T1_T2_jT3_P12ihipStream_tbPNSt15iterator_traitsISK_E10value_typeEPNSQ_ISL_E10value_typeEPSM_NS1_7vsmem_tEENKUlT_SK_SL_SM_E_clISE_PjSF_SF_EESJ_SZ_SK_SL_SM_EUlSZ_E1_NS1_11comp_targetILNS1_3genE10ELNS1_11target_archE1201ELNS1_3gpuE5ELNS1_3repE0EEENS1_36merge_oddeven_config_static_selectorELNS0_4arch9wavefront6targetE1EEEvSL_
		.amdhsa_group_segment_fixed_size 0
		.amdhsa_private_segment_fixed_size 0
		.amdhsa_kernarg_size 48
		.amdhsa_user_sgpr_count 2
		.amdhsa_user_sgpr_dispatch_ptr 0
		.amdhsa_user_sgpr_queue_ptr 0
		.amdhsa_user_sgpr_kernarg_segment_ptr 1
		.amdhsa_user_sgpr_dispatch_id 0
		.amdhsa_user_sgpr_kernarg_preload_length 0
		.amdhsa_user_sgpr_kernarg_preload_offset 0
		.amdhsa_user_sgpr_private_segment_size 0
		.amdhsa_uses_dynamic_stack 0
		.amdhsa_enable_private_segment 0
		.amdhsa_system_sgpr_workgroup_id_x 1
		.amdhsa_system_sgpr_workgroup_id_y 0
		.amdhsa_system_sgpr_workgroup_id_z 0
		.amdhsa_system_sgpr_workgroup_info 0
		.amdhsa_system_vgpr_workitem_id 0
		.amdhsa_next_free_vgpr 1
		.amdhsa_next_free_sgpr 0
		.amdhsa_accum_offset 4
		.amdhsa_reserve_vcc 0
		.amdhsa_float_round_mode_32 0
		.amdhsa_float_round_mode_16_64 0
		.amdhsa_float_denorm_mode_32 3
		.amdhsa_float_denorm_mode_16_64 3
		.amdhsa_dx10_clamp 1
		.amdhsa_ieee_mode 1
		.amdhsa_fp16_overflow 0
		.amdhsa_tg_split 0
		.amdhsa_exception_fp_ieee_invalid_op 0
		.amdhsa_exception_fp_denorm_src 0
		.amdhsa_exception_fp_ieee_div_zero 0
		.amdhsa_exception_fp_ieee_overflow 0
		.amdhsa_exception_fp_ieee_underflow 0
		.amdhsa_exception_fp_ieee_inexact 0
		.amdhsa_exception_int_div_zero 0
	.end_amdhsa_kernel
	.section	.text._ZN7rocprim17ROCPRIM_400000_NS6detail17trampoline_kernelINS0_14default_configENS1_38merge_sort_block_merge_config_selectorIjNS0_10empty_typeEEEZZNS1_27merge_sort_block_merge_implIS3_N6thrust23THRUST_200600_302600_NS6detail15normal_iteratorINS9_10device_ptrIjEEEEPS5_jNS1_19radix_merge_compareILb0ELb0EjNS0_19identity_decomposerEEEEE10hipError_tT0_T1_T2_jT3_P12ihipStream_tbPNSt15iterator_traitsISK_E10value_typeEPNSQ_ISL_E10value_typeEPSM_NS1_7vsmem_tEENKUlT_SK_SL_SM_E_clISE_PjSF_SF_EESJ_SZ_SK_SL_SM_EUlSZ_E1_NS1_11comp_targetILNS1_3genE10ELNS1_11target_archE1201ELNS1_3gpuE5ELNS1_3repE0EEENS1_36merge_oddeven_config_static_selectorELNS0_4arch9wavefront6targetE1EEEvSL_,"axG",@progbits,_ZN7rocprim17ROCPRIM_400000_NS6detail17trampoline_kernelINS0_14default_configENS1_38merge_sort_block_merge_config_selectorIjNS0_10empty_typeEEEZZNS1_27merge_sort_block_merge_implIS3_N6thrust23THRUST_200600_302600_NS6detail15normal_iteratorINS9_10device_ptrIjEEEEPS5_jNS1_19radix_merge_compareILb0ELb0EjNS0_19identity_decomposerEEEEE10hipError_tT0_T1_T2_jT3_P12ihipStream_tbPNSt15iterator_traitsISK_E10value_typeEPNSQ_ISL_E10value_typeEPSM_NS1_7vsmem_tEENKUlT_SK_SL_SM_E_clISE_PjSF_SF_EESJ_SZ_SK_SL_SM_EUlSZ_E1_NS1_11comp_targetILNS1_3genE10ELNS1_11target_archE1201ELNS1_3gpuE5ELNS1_3repE0EEENS1_36merge_oddeven_config_static_selectorELNS0_4arch9wavefront6targetE1EEEvSL_,comdat
.Lfunc_end1010:
	.size	_ZN7rocprim17ROCPRIM_400000_NS6detail17trampoline_kernelINS0_14default_configENS1_38merge_sort_block_merge_config_selectorIjNS0_10empty_typeEEEZZNS1_27merge_sort_block_merge_implIS3_N6thrust23THRUST_200600_302600_NS6detail15normal_iteratorINS9_10device_ptrIjEEEEPS5_jNS1_19radix_merge_compareILb0ELb0EjNS0_19identity_decomposerEEEEE10hipError_tT0_T1_T2_jT3_P12ihipStream_tbPNSt15iterator_traitsISK_E10value_typeEPNSQ_ISL_E10value_typeEPSM_NS1_7vsmem_tEENKUlT_SK_SL_SM_E_clISE_PjSF_SF_EESJ_SZ_SK_SL_SM_EUlSZ_E1_NS1_11comp_targetILNS1_3genE10ELNS1_11target_archE1201ELNS1_3gpuE5ELNS1_3repE0EEENS1_36merge_oddeven_config_static_selectorELNS0_4arch9wavefront6targetE1EEEvSL_, .Lfunc_end1010-_ZN7rocprim17ROCPRIM_400000_NS6detail17trampoline_kernelINS0_14default_configENS1_38merge_sort_block_merge_config_selectorIjNS0_10empty_typeEEEZZNS1_27merge_sort_block_merge_implIS3_N6thrust23THRUST_200600_302600_NS6detail15normal_iteratorINS9_10device_ptrIjEEEEPS5_jNS1_19radix_merge_compareILb0ELb0EjNS0_19identity_decomposerEEEEE10hipError_tT0_T1_T2_jT3_P12ihipStream_tbPNSt15iterator_traitsISK_E10value_typeEPNSQ_ISL_E10value_typeEPSM_NS1_7vsmem_tEENKUlT_SK_SL_SM_E_clISE_PjSF_SF_EESJ_SZ_SK_SL_SM_EUlSZ_E1_NS1_11comp_targetILNS1_3genE10ELNS1_11target_archE1201ELNS1_3gpuE5ELNS1_3repE0EEENS1_36merge_oddeven_config_static_selectorELNS0_4arch9wavefront6targetE1EEEvSL_
                                        ; -- End function
	.section	.AMDGPU.csdata,"",@progbits
; Kernel info:
; codeLenInByte = 0
; NumSgprs: 6
; NumVgprs: 0
; NumAgprs: 0
; TotalNumVgprs: 0
; ScratchSize: 0
; MemoryBound: 0
; FloatMode: 240
; IeeeMode: 1
; LDSByteSize: 0 bytes/workgroup (compile time only)
; SGPRBlocks: 0
; VGPRBlocks: 0
; NumSGPRsForWavesPerEU: 6
; NumVGPRsForWavesPerEU: 1
; AccumOffset: 4
; Occupancy: 8
; WaveLimiterHint : 0
; COMPUTE_PGM_RSRC2:SCRATCH_EN: 0
; COMPUTE_PGM_RSRC2:USER_SGPR: 2
; COMPUTE_PGM_RSRC2:TRAP_HANDLER: 0
; COMPUTE_PGM_RSRC2:TGID_X_EN: 1
; COMPUTE_PGM_RSRC2:TGID_Y_EN: 0
; COMPUTE_PGM_RSRC2:TGID_Z_EN: 0
; COMPUTE_PGM_RSRC2:TIDIG_COMP_CNT: 0
; COMPUTE_PGM_RSRC3_GFX90A:ACCUM_OFFSET: 0
; COMPUTE_PGM_RSRC3_GFX90A:TG_SPLIT: 0
	.section	.text._ZN7rocprim17ROCPRIM_400000_NS6detail17trampoline_kernelINS0_14default_configENS1_38merge_sort_block_merge_config_selectorIjNS0_10empty_typeEEEZZNS1_27merge_sort_block_merge_implIS3_N6thrust23THRUST_200600_302600_NS6detail15normal_iteratorINS9_10device_ptrIjEEEEPS5_jNS1_19radix_merge_compareILb0ELb0EjNS0_19identity_decomposerEEEEE10hipError_tT0_T1_T2_jT3_P12ihipStream_tbPNSt15iterator_traitsISK_E10value_typeEPNSQ_ISL_E10value_typeEPSM_NS1_7vsmem_tEENKUlT_SK_SL_SM_E_clISE_PjSF_SF_EESJ_SZ_SK_SL_SM_EUlSZ_E1_NS1_11comp_targetILNS1_3genE5ELNS1_11target_archE942ELNS1_3gpuE9ELNS1_3repE0EEENS1_36merge_oddeven_config_static_selectorELNS0_4arch9wavefront6targetE1EEEvSL_,"axG",@progbits,_ZN7rocprim17ROCPRIM_400000_NS6detail17trampoline_kernelINS0_14default_configENS1_38merge_sort_block_merge_config_selectorIjNS0_10empty_typeEEEZZNS1_27merge_sort_block_merge_implIS3_N6thrust23THRUST_200600_302600_NS6detail15normal_iteratorINS9_10device_ptrIjEEEEPS5_jNS1_19radix_merge_compareILb0ELb0EjNS0_19identity_decomposerEEEEE10hipError_tT0_T1_T2_jT3_P12ihipStream_tbPNSt15iterator_traitsISK_E10value_typeEPNSQ_ISL_E10value_typeEPSM_NS1_7vsmem_tEENKUlT_SK_SL_SM_E_clISE_PjSF_SF_EESJ_SZ_SK_SL_SM_EUlSZ_E1_NS1_11comp_targetILNS1_3genE5ELNS1_11target_archE942ELNS1_3gpuE9ELNS1_3repE0EEENS1_36merge_oddeven_config_static_selectorELNS0_4arch9wavefront6targetE1EEEvSL_,comdat
	.protected	_ZN7rocprim17ROCPRIM_400000_NS6detail17trampoline_kernelINS0_14default_configENS1_38merge_sort_block_merge_config_selectorIjNS0_10empty_typeEEEZZNS1_27merge_sort_block_merge_implIS3_N6thrust23THRUST_200600_302600_NS6detail15normal_iteratorINS9_10device_ptrIjEEEEPS5_jNS1_19radix_merge_compareILb0ELb0EjNS0_19identity_decomposerEEEEE10hipError_tT0_T1_T2_jT3_P12ihipStream_tbPNSt15iterator_traitsISK_E10value_typeEPNSQ_ISL_E10value_typeEPSM_NS1_7vsmem_tEENKUlT_SK_SL_SM_E_clISE_PjSF_SF_EESJ_SZ_SK_SL_SM_EUlSZ_E1_NS1_11comp_targetILNS1_3genE5ELNS1_11target_archE942ELNS1_3gpuE9ELNS1_3repE0EEENS1_36merge_oddeven_config_static_selectorELNS0_4arch9wavefront6targetE1EEEvSL_ ; -- Begin function _ZN7rocprim17ROCPRIM_400000_NS6detail17trampoline_kernelINS0_14default_configENS1_38merge_sort_block_merge_config_selectorIjNS0_10empty_typeEEEZZNS1_27merge_sort_block_merge_implIS3_N6thrust23THRUST_200600_302600_NS6detail15normal_iteratorINS9_10device_ptrIjEEEEPS5_jNS1_19radix_merge_compareILb0ELb0EjNS0_19identity_decomposerEEEEE10hipError_tT0_T1_T2_jT3_P12ihipStream_tbPNSt15iterator_traitsISK_E10value_typeEPNSQ_ISL_E10value_typeEPSM_NS1_7vsmem_tEENKUlT_SK_SL_SM_E_clISE_PjSF_SF_EESJ_SZ_SK_SL_SM_EUlSZ_E1_NS1_11comp_targetILNS1_3genE5ELNS1_11target_archE942ELNS1_3gpuE9ELNS1_3repE0EEENS1_36merge_oddeven_config_static_selectorELNS0_4arch9wavefront6targetE1EEEvSL_
	.globl	_ZN7rocprim17ROCPRIM_400000_NS6detail17trampoline_kernelINS0_14default_configENS1_38merge_sort_block_merge_config_selectorIjNS0_10empty_typeEEEZZNS1_27merge_sort_block_merge_implIS3_N6thrust23THRUST_200600_302600_NS6detail15normal_iteratorINS9_10device_ptrIjEEEEPS5_jNS1_19radix_merge_compareILb0ELb0EjNS0_19identity_decomposerEEEEE10hipError_tT0_T1_T2_jT3_P12ihipStream_tbPNSt15iterator_traitsISK_E10value_typeEPNSQ_ISL_E10value_typeEPSM_NS1_7vsmem_tEENKUlT_SK_SL_SM_E_clISE_PjSF_SF_EESJ_SZ_SK_SL_SM_EUlSZ_E1_NS1_11comp_targetILNS1_3genE5ELNS1_11target_archE942ELNS1_3gpuE9ELNS1_3repE0EEENS1_36merge_oddeven_config_static_selectorELNS0_4arch9wavefront6targetE1EEEvSL_
	.p2align	8
	.type	_ZN7rocprim17ROCPRIM_400000_NS6detail17trampoline_kernelINS0_14default_configENS1_38merge_sort_block_merge_config_selectorIjNS0_10empty_typeEEEZZNS1_27merge_sort_block_merge_implIS3_N6thrust23THRUST_200600_302600_NS6detail15normal_iteratorINS9_10device_ptrIjEEEEPS5_jNS1_19radix_merge_compareILb0ELb0EjNS0_19identity_decomposerEEEEE10hipError_tT0_T1_T2_jT3_P12ihipStream_tbPNSt15iterator_traitsISK_E10value_typeEPNSQ_ISL_E10value_typeEPSM_NS1_7vsmem_tEENKUlT_SK_SL_SM_E_clISE_PjSF_SF_EESJ_SZ_SK_SL_SM_EUlSZ_E1_NS1_11comp_targetILNS1_3genE5ELNS1_11target_archE942ELNS1_3gpuE9ELNS1_3repE0EEENS1_36merge_oddeven_config_static_selectorELNS0_4arch9wavefront6targetE1EEEvSL_,@function
_ZN7rocprim17ROCPRIM_400000_NS6detail17trampoline_kernelINS0_14default_configENS1_38merge_sort_block_merge_config_selectorIjNS0_10empty_typeEEEZZNS1_27merge_sort_block_merge_implIS3_N6thrust23THRUST_200600_302600_NS6detail15normal_iteratorINS9_10device_ptrIjEEEEPS5_jNS1_19radix_merge_compareILb0ELb0EjNS0_19identity_decomposerEEEEE10hipError_tT0_T1_T2_jT3_P12ihipStream_tbPNSt15iterator_traitsISK_E10value_typeEPNSQ_ISL_E10value_typeEPSM_NS1_7vsmem_tEENKUlT_SK_SL_SM_E_clISE_PjSF_SF_EESJ_SZ_SK_SL_SM_EUlSZ_E1_NS1_11comp_targetILNS1_3genE5ELNS1_11target_archE942ELNS1_3gpuE9ELNS1_3repE0EEENS1_36merge_oddeven_config_static_selectorELNS0_4arch9wavefront6targetE1EEEvSL_: ; @_ZN7rocprim17ROCPRIM_400000_NS6detail17trampoline_kernelINS0_14default_configENS1_38merge_sort_block_merge_config_selectorIjNS0_10empty_typeEEEZZNS1_27merge_sort_block_merge_implIS3_N6thrust23THRUST_200600_302600_NS6detail15normal_iteratorINS9_10device_ptrIjEEEEPS5_jNS1_19radix_merge_compareILb0ELb0EjNS0_19identity_decomposerEEEEE10hipError_tT0_T1_T2_jT3_P12ihipStream_tbPNSt15iterator_traitsISK_E10value_typeEPNSQ_ISL_E10value_typeEPSM_NS1_7vsmem_tEENKUlT_SK_SL_SM_E_clISE_PjSF_SF_EESJ_SZ_SK_SL_SM_EUlSZ_E1_NS1_11comp_targetILNS1_3genE5ELNS1_11target_archE942ELNS1_3gpuE9ELNS1_3repE0EEENS1_36merge_oddeven_config_static_selectorELNS0_4arch9wavefront6targetE1EEEvSL_
; %bb.0:
	s_load_dword s16, s[0:1], 0x20
	s_waitcnt lgkmcnt(0)
	s_lshr_b32 s3, s16, 8
	s_cmp_lg_u32 s2, s3
	s_cselect_b64 s[12:13], -1, 0
	s_cmp_eq_u32 s2, s3
	s_cselect_b64 s[6:7], -1, 0
	s_lshl_b32 s14, s2, 8
	s_sub_i32 s3, s16, s14
	v_cmp_gt_u32_e64 s[4:5], s3, v0
	s_or_b64 s[8:9], s[12:13], s[4:5]
	s_and_saveexec_b64 s[10:11], s[8:9]
	s_cbranch_execz .LBB1011_20
; %bb.1:
	s_load_dwordx4 s[8:11], s[0:1], 0x0
	s_load_dword s17, s[0:1], 0x24
	s_mov_b32 s15, 0
	s_lshl_b64 s[0:1], s[14:15], 2
	v_lshlrev_b32_e32 v1, 2, v0
	s_waitcnt lgkmcnt(0)
	s_add_u32 s0, s8, s0
	s_addc_u32 s1, s9, s1
	global_load_dword v2, v1, s[0:1]
	s_lshr_b32 s0, s17, 8
	s_sub_i32 s1, 0, s0
	s_and_b32 s1, s2, s1
	s_and_b32 s0, s1, s0
	s_lshl_b32 s18, s1, 8
	s_sub_i32 s15, 0, s17
	s_cmp_eq_u32 s0, 0
	s_cselect_b64 s[0:1], -1, 0
	s_and_b64 s[2:3], s[0:1], exec
	s_cselect_b32 s15, s17, s15
	s_add_i32 s15, s15, s18
	s_cmp_lt_u32 s15, s16
	v_add_u32_e32 v0, s14, v0
	s_cbranch_scc1 .LBB1011_3
; %bb.2:
	v_cmp_gt_u32_e32 vcc, s16, v0
	s_or_b64 s[2:3], vcc, s[12:13]
	s_and_b64 s[2:3], s[2:3], exec
	s_cbranch_execz .LBB1011_4
	s_branch .LBB1011_18
.LBB1011_3:
	s_mov_b64 s[2:3], 0
.LBB1011_4:
	s_min_u32 s12, s15, s16
	s_min_u32 s14, s18, s12
	s_add_i32 s18, s18, s12
	s_add_i32 s13, s12, s17
	v_subrev_u32_e32 v0, s18, v0
	s_min_u32 s13, s13, s16
	v_add_u32_e32 v3, s14, v0
	s_and_b64 vcc, exec, s[6:7]
	s_cbranch_vccz .LBB1011_12
; %bb.5:
                                        ; implicit-def: $vgpr0
	s_and_saveexec_b64 s[6:7], s[4:5]
	s_cbranch_execz .LBB1011_11
; %bb.6:
	s_cmp_ge_u32 s15, s13
	v_mov_b32_e32 v4, s12
	s_cbranch_scc1 .LBB1011_10
; %bb.7:
	s_mov_b64 s[4:5], 0
	v_mov_b32_e32 v5, s13
	v_mov_b32_e32 v4, s12
	;; [unrolled: 1-line block ×3, first 2 shown]
.LBB1011_8:                             ; =>This Inner Loop Header: Depth=1
	v_add_u32_e32 v0, v4, v5
	v_lshrrev_b32_e32 v0, 1, v0
	v_lshl_add_u64 v[6:7], v[0:1], 2, s[8:9]
	global_load_dword v6, v[6:7], off
	v_add_u32_e32 v7, 1, v0
	s_waitcnt vmcnt(0)
	v_cmp_gt_u32_e32 vcc, v2, v6
	s_nop 1
	v_cndmask_b32_e64 v8, 0, 1, vcc
	v_cmp_le_u32_e32 vcc, v6, v2
	s_nop 1
	v_cndmask_b32_e64 v6, 0, 1, vcc
	v_cndmask_b32_e64 v6, v6, v8, s[0:1]
	v_and_b32_e32 v6, 1, v6
	v_cmp_eq_u32_e32 vcc, 1, v6
	s_nop 1
	v_cndmask_b32_e32 v5, v0, v5, vcc
	v_cndmask_b32_e32 v4, v4, v7, vcc
	v_cmp_ge_u32_e32 vcc, v4, v5
	s_or_b64 s[4:5], vcc, s[4:5]
	s_andn2_b64 exec, exec, s[4:5]
	s_cbranch_execnz .LBB1011_8
; %bb.9:
	s_or_b64 exec, exec, s[4:5]
.LBB1011_10:
	v_add_u32_e32 v0, v4, v3
	s_or_b64 s[2:3], s[2:3], exec
.LBB1011_11:
	s_or_b64 exec, exec, s[6:7]
	s_branch .LBB1011_18
.LBB1011_12:
                                        ; implicit-def: $vgpr0
	s_cbranch_execz .LBB1011_18
; %bb.13:
	s_cmp_ge_u32 s15, s13
	v_mov_b32_e32 v4, s12
	s_cbranch_scc1 .LBB1011_17
; %bb.14:
	s_mov_b64 s[2:3], 0
	v_mov_b32_e32 v5, s13
	v_mov_b32_e32 v4, s12
	;; [unrolled: 1-line block ×3, first 2 shown]
.LBB1011_15:                            ; =>This Inner Loop Header: Depth=1
	v_add_u32_e32 v0, v4, v5
	v_lshrrev_b32_e32 v0, 1, v0
	v_lshl_add_u64 v[6:7], v[0:1], 2, s[8:9]
	global_load_dword v6, v[6:7], off
	v_add_u32_e32 v7, 1, v0
	s_waitcnt vmcnt(0)
	v_cmp_gt_u32_e32 vcc, v2, v6
	s_nop 1
	v_cndmask_b32_e64 v8, 0, 1, vcc
	v_cmp_le_u32_e32 vcc, v6, v2
	s_nop 1
	v_cndmask_b32_e64 v6, 0, 1, vcc
	v_cndmask_b32_e64 v6, v6, v8, s[0:1]
	v_and_b32_e32 v6, 1, v6
	v_cmp_eq_u32_e32 vcc, 1, v6
	s_nop 1
	v_cndmask_b32_e32 v5, v0, v5, vcc
	v_cndmask_b32_e32 v4, v4, v7, vcc
	v_cmp_ge_u32_e32 vcc, v4, v5
	s_or_b64 s[2:3], vcc, s[2:3]
	s_andn2_b64 exec, exec, s[2:3]
	s_cbranch_execnz .LBB1011_15
; %bb.16:
	s_or_b64 exec, exec, s[2:3]
.LBB1011_17:
	v_add_u32_e32 v0, v4, v3
	s_mov_b64 s[2:3], -1
.LBB1011_18:
	s_and_b64 exec, exec, s[2:3]
	s_cbranch_execz .LBB1011_20
; %bb.19:
	v_mov_b32_e32 v4, s10
	v_mov_b32_e32 v5, s11
	;; [unrolled: 1-line block ×3, first 2 shown]
	v_lshl_add_u64 v[0:1], v[0:1], 2, v[4:5]
	s_waitcnt vmcnt(0)
	global_store_dword v[0:1], v2, off
.LBB1011_20:
	s_endpgm
	.section	.rodata,"a",@progbits
	.p2align	6, 0x0
	.amdhsa_kernel _ZN7rocprim17ROCPRIM_400000_NS6detail17trampoline_kernelINS0_14default_configENS1_38merge_sort_block_merge_config_selectorIjNS0_10empty_typeEEEZZNS1_27merge_sort_block_merge_implIS3_N6thrust23THRUST_200600_302600_NS6detail15normal_iteratorINS9_10device_ptrIjEEEEPS5_jNS1_19radix_merge_compareILb0ELb0EjNS0_19identity_decomposerEEEEE10hipError_tT0_T1_T2_jT3_P12ihipStream_tbPNSt15iterator_traitsISK_E10value_typeEPNSQ_ISL_E10value_typeEPSM_NS1_7vsmem_tEENKUlT_SK_SL_SM_E_clISE_PjSF_SF_EESJ_SZ_SK_SL_SM_EUlSZ_E1_NS1_11comp_targetILNS1_3genE5ELNS1_11target_archE942ELNS1_3gpuE9ELNS1_3repE0EEENS1_36merge_oddeven_config_static_selectorELNS0_4arch9wavefront6targetE1EEEvSL_
		.amdhsa_group_segment_fixed_size 0
		.amdhsa_private_segment_fixed_size 0
		.amdhsa_kernarg_size 48
		.amdhsa_user_sgpr_count 2
		.amdhsa_user_sgpr_dispatch_ptr 0
		.amdhsa_user_sgpr_queue_ptr 0
		.amdhsa_user_sgpr_kernarg_segment_ptr 1
		.amdhsa_user_sgpr_dispatch_id 0
		.amdhsa_user_sgpr_kernarg_preload_length 0
		.amdhsa_user_sgpr_kernarg_preload_offset 0
		.amdhsa_user_sgpr_private_segment_size 0
		.amdhsa_uses_dynamic_stack 0
		.amdhsa_enable_private_segment 0
		.amdhsa_system_sgpr_workgroup_id_x 1
		.amdhsa_system_sgpr_workgroup_id_y 0
		.amdhsa_system_sgpr_workgroup_id_z 0
		.amdhsa_system_sgpr_workgroup_info 0
		.amdhsa_system_vgpr_workitem_id 0
		.amdhsa_next_free_vgpr 9
		.amdhsa_next_free_sgpr 19
		.amdhsa_accum_offset 12
		.amdhsa_reserve_vcc 1
		.amdhsa_float_round_mode_32 0
		.amdhsa_float_round_mode_16_64 0
		.amdhsa_float_denorm_mode_32 3
		.amdhsa_float_denorm_mode_16_64 3
		.amdhsa_dx10_clamp 1
		.amdhsa_ieee_mode 1
		.amdhsa_fp16_overflow 0
		.amdhsa_tg_split 0
		.amdhsa_exception_fp_ieee_invalid_op 0
		.amdhsa_exception_fp_denorm_src 0
		.amdhsa_exception_fp_ieee_div_zero 0
		.amdhsa_exception_fp_ieee_overflow 0
		.amdhsa_exception_fp_ieee_underflow 0
		.amdhsa_exception_fp_ieee_inexact 0
		.amdhsa_exception_int_div_zero 0
	.end_amdhsa_kernel
	.section	.text._ZN7rocprim17ROCPRIM_400000_NS6detail17trampoline_kernelINS0_14default_configENS1_38merge_sort_block_merge_config_selectorIjNS0_10empty_typeEEEZZNS1_27merge_sort_block_merge_implIS3_N6thrust23THRUST_200600_302600_NS6detail15normal_iteratorINS9_10device_ptrIjEEEEPS5_jNS1_19radix_merge_compareILb0ELb0EjNS0_19identity_decomposerEEEEE10hipError_tT0_T1_T2_jT3_P12ihipStream_tbPNSt15iterator_traitsISK_E10value_typeEPNSQ_ISL_E10value_typeEPSM_NS1_7vsmem_tEENKUlT_SK_SL_SM_E_clISE_PjSF_SF_EESJ_SZ_SK_SL_SM_EUlSZ_E1_NS1_11comp_targetILNS1_3genE5ELNS1_11target_archE942ELNS1_3gpuE9ELNS1_3repE0EEENS1_36merge_oddeven_config_static_selectorELNS0_4arch9wavefront6targetE1EEEvSL_,"axG",@progbits,_ZN7rocprim17ROCPRIM_400000_NS6detail17trampoline_kernelINS0_14default_configENS1_38merge_sort_block_merge_config_selectorIjNS0_10empty_typeEEEZZNS1_27merge_sort_block_merge_implIS3_N6thrust23THRUST_200600_302600_NS6detail15normal_iteratorINS9_10device_ptrIjEEEEPS5_jNS1_19radix_merge_compareILb0ELb0EjNS0_19identity_decomposerEEEEE10hipError_tT0_T1_T2_jT3_P12ihipStream_tbPNSt15iterator_traitsISK_E10value_typeEPNSQ_ISL_E10value_typeEPSM_NS1_7vsmem_tEENKUlT_SK_SL_SM_E_clISE_PjSF_SF_EESJ_SZ_SK_SL_SM_EUlSZ_E1_NS1_11comp_targetILNS1_3genE5ELNS1_11target_archE942ELNS1_3gpuE9ELNS1_3repE0EEENS1_36merge_oddeven_config_static_selectorELNS0_4arch9wavefront6targetE1EEEvSL_,comdat
.Lfunc_end1011:
	.size	_ZN7rocprim17ROCPRIM_400000_NS6detail17trampoline_kernelINS0_14default_configENS1_38merge_sort_block_merge_config_selectorIjNS0_10empty_typeEEEZZNS1_27merge_sort_block_merge_implIS3_N6thrust23THRUST_200600_302600_NS6detail15normal_iteratorINS9_10device_ptrIjEEEEPS5_jNS1_19radix_merge_compareILb0ELb0EjNS0_19identity_decomposerEEEEE10hipError_tT0_T1_T2_jT3_P12ihipStream_tbPNSt15iterator_traitsISK_E10value_typeEPNSQ_ISL_E10value_typeEPSM_NS1_7vsmem_tEENKUlT_SK_SL_SM_E_clISE_PjSF_SF_EESJ_SZ_SK_SL_SM_EUlSZ_E1_NS1_11comp_targetILNS1_3genE5ELNS1_11target_archE942ELNS1_3gpuE9ELNS1_3repE0EEENS1_36merge_oddeven_config_static_selectorELNS0_4arch9wavefront6targetE1EEEvSL_, .Lfunc_end1011-_ZN7rocprim17ROCPRIM_400000_NS6detail17trampoline_kernelINS0_14default_configENS1_38merge_sort_block_merge_config_selectorIjNS0_10empty_typeEEEZZNS1_27merge_sort_block_merge_implIS3_N6thrust23THRUST_200600_302600_NS6detail15normal_iteratorINS9_10device_ptrIjEEEEPS5_jNS1_19radix_merge_compareILb0ELb0EjNS0_19identity_decomposerEEEEE10hipError_tT0_T1_T2_jT3_P12ihipStream_tbPNSt15iterator_traitsISK_E10value_typeEPNSQ_ISL_E10value_typeEPSM_NS1_7vsmem_tEENKUlT_SK_SL_SM_E_clISE_PjSF_SF_EESJ_SZ_SK_SL_SM_EUlSZ_E1_NS1_11comp_targetILNS1_3genE5ELNS1_11target_archE942ELNS1_3gpuE9ELNS1_3repE0EEENS1_36merge_oddeven_config_static_selectorELNS0_4arch9wavefront6targetE1EEEvSL_
                                        ; -- End function
	.section	.AMDGPU.csdata,"",@progbits
; Kernel info:
; codeLenInByte = 584
; NumSgprs: 25
; NumVgprs: 9
; NumAgprs: 0
; TotalNumVgprs: 9
; ScratchSize: 0
; MemoryBound: 0
; FloatMode: 240
; IeeeMode: 1
; LDSByteSize: 0 bytes/workgroup (compile time only)
; SGPRBlocks: 3
; VGPRBlocks: 1
; NumSGPRsForWavesPerEU: 25
; NumVGPRsForWavesPerEU: 9
; AccumOffset: 12
; Occupancy: 8
; WaveLimiterHint : 0
; COMPUTE_PGM_RSRC2:SCRATCH_EN: 0
; COMPUTE_PGM_RSRC2:USER_SGPR: 2
; COMPUTE_PGM_RSRC2:TRAP_HANDLER: 0
; COMPUTE_PGM_RSRC2:TGID_X_EN: 1
; COMPUTE_PGM_RSRC2:TGID_Y_EN: 0
; COMPUTE_PGM_RSRC2:TGID_Z_EN: 0
; COMPUTE_PGM_RSRC2:TIDIG_COMP_CNT: 0
; COMPUTE_PGM_RSRC3_GFX90A:ACCUM_OFFSET: 2
; COMPUTE_PGM_RSRC3_GFX90A:TG_SPLIT: 0
	.section	.text._ZN7rocprim17ROCPRIM_400000_NS6detail17trampoline_kernelINS0_14default_configENS1_38merge_sort_block_merge_config_selectorIjNS0_10empty_typeEEEZZNS1_27merge_sort_block_merge_implIS3_N6thrust23THRUST_200600_302600_NS6detail15normal_iteratorINS9_10device_ptrIjEEEEPS5_jNS1_19radix_merge_compareILb0ELb0EjNS0_19identity_decomposerEEEEE10hipError_tT0_T1_T2_jT3_P12ihipStream_tbPNSt15iterator_traitsISK_E10value_typeEPNSQ_ISL_E10value_typeEPSM_NS1_7vsmem_tEENKUlT_SK_SL_SM_E_clISE_PjSF_SF_EESJ_SZ_SK_SL_SM_EUlSZ_E1_NS1_11comp_targetILNS1_3genE4ELNS1_11target_archE910ELNS1_3gpuE8ELNS1_3repE0EEENS1_36merge_oddeven_config_static_selectorELNS0_4arch9wavefront6targetE1EEEvSL_,"axG",@progbits,_ZN7rocprim17ROCPRIM_400000_NS6detail17trampoline_kernelINS0_14default_configENS1_38merge_sort_block_merge_config_selectorIjNS0_10empty_typeEEEZZNS1_27merge_sort_block_merge_implIS3_N6thrust23THRUST_200600_302600_NS6detail15normal_iteratorINS9_10device_ptrIjEEEEPS5_jNS1_19radix_merge_compareILb0ELb0EjNS0_19identity_decomposerEEEEE10hipError_tT0_T1_T2_jT3_P12ihipStream_tbPNSt15iterator_traitsISK_E10value_typeEPNSQ_ISL_E10value_typeEPSM_NS1_7vsmem_tEENKUlT_SK_SL_SM_E_clISE_PjSF_SF_EESJ_SZ_SK_SL_SM_EUlSZ_E1_NS1_11comp_targetILNS1_3genE4ELNS1_11target_archE910ELNS1_3gpuE8ELNS1_3repE0EEENS1_36merge_oddeven_config_static_selectorELNS0_4arch9wavefront6targetE1EEEvSL_,comdat
	.protected	_ZN7rocprim17ROCPRIM_400000_NS6detail17trampoline_kernelINS0_14default_configENS1_38merge_sort_block_merge_config_selectorIjNS0_10empty_typeEEEZZNS1_27merge_sort_block_merge_implIS3_N6thrust23THRUST_200600_302600_NS6detail15normal_iteratorINS9_10device_ptrIjEEEEPS5_jNS1_19radix_merge_compareILb0ELb0EjNS0_19identity_decomposerEEEEE10hipError_tT0_T1_T2_jT3_P12ihipStream_tbPNSt15iterator_traitsISK_E10value_typeEPNSQ_ISL_E10value_typeEPSM_NS1_7vsmem_tEENKUlT_SK_SL_SM_E_clISE_PjSF_SF_EESJ_SZ_SK_SL_SM_EUlSZ_E1_NS1_11comp_targetILNS1_3genE4ELNS1_11target_archE910ELNS1_3gpuE8ELNS1_3repE0EEENS1_36merge_oddeven_config_static_selectorELNS0_4arch9wavefront6targetE1EEEvSL_ ; -- Begin function _ZN7rocprim17ROCPRIM_400000_NS6detail17trampoline_kernelINS0_14default_configENS1_38merge_sort_block_merge_config_selectorIjNS0_10empty_typeEEEZZNS1_27merge_sort_block_merge_implIS3_N6thrust23THRUST_200600_302600_NS6detail15normal_iteratorINS9_10device_ptrIjEEEEPS5_jNS1_19radix_merge_compareILb0ELb0EjNS0_19identity_decomposerEEEEE10hipError_tT0_T1_T2_jT3_P12ihipStream_tbPNSt15iterator_traitsISK_E10value_typeEPNSQ_ISL_E10value_typeEPSM_NS1_7vsmem_tEENKUlT_SK_SL_SM_E_clISE_PjSF_SF_EESJ_SZ_SK_SL_SM_EUlSZ_E1_NS1_11comp_targetILNS1_3genE4ELNS1_11target_archE910ELNS1_3gpuE8ELNS1_3repE0EEENS1_36merge_oddeven_config_static_selectorELNS0_4arch9wavefront6targetE1EEEvSL_
	.globl	_ZN7rocprim17ROCPRIM_400000_NS6detail17trampoline_kernelINS0_14default_configENS1_38merge_sort_block_merge_config_selectorIjNS0_10empty_typeEEEZZNS1_27merge_sort_block_merge_implIS3_N6thrust23THRUST_200600_302600_NS6detail15normal_iteratorINS9_10device_ptrIjEEEEPS5_jNS1_19radix_merge_compareILb0ELb0EjNS0_19identity_decomposerEEEEE10hipError_tT0_T1_T2_jT3_P12ihipStream_tbPNSt15iterator_traitsISK_E10value_typeEPNSQ_ISL_E10value_typeEPSM_NS1_7vsmem_tEENKUlT_SK_SL_SM_E_clISE_PjSF_SF_EESJ_SZ_SK_SL_SM_EUlSZ_E1_NS1_11comp_targetILNS1_3genE4ELNS1_11target_archE910ELNS1_3gpuE8ELNS1_3repE0EEENS1_36merge_oddeven_config_static_selectorELNS0_4arch9wavefront6targetE1EEEvSL_
	.p2align	8
	.type	_ZN7rocprim17ROCPRIM_400000_NS6detail17trampoline_kernelINS0_14default_configENS1_38merge_sort_block_merge_config_selectorIjNS0_10empty_typeEEEZZNS1_27merge_sort_block_merge_implIS3_N6thrust23THRUST_200600_302600_NS6detail15normal_iteratorINS9_10device_ptrIjEEEEPS5_jNS1_19radix_merge_compareILb0ELb0EjNS0_19identity_decomposerEEEEE10hipError_tT0_T1_T2_jT3_P12ihipStream_tbPNSt15iterator_traitsISK_E10value_typeEPNSQ_ISL_E10value_typeEPSM_NS1_7vsmem_tEENKUlT_SK_SL_SM_E_clISE_PjSF_SF_EESJ_SZ_SK_SL_SM_EUlSZ_E1_NS1_11comp_targetILNS1_3genE4ELNS1_11target_archE910ELNS1_3gpuE8ELNS1_3repE0EEENS1_36merge_oddeven_config_static_selectorELNS0_4arch9wavefront6targetE1EEEvSL_,@function
_ZN7rocprim17ROCPRIM_400000_NS6detail17trampoline_kernelINS0_14default_configENS1_38merge_sort_block_merge_config_selectorIjNS0_10empty_typeEEEZZNS1_27merge_sort_block_merge_implIS3_N6thrust23THRUST_200600_302600_NS6detail15normal_iteratorINS9_10device_ptrIjEEEEPS5_jNS1_19radix_merge_compareILb0ELb0EjNS0_19identity_decomposerEEEEE10hipError_tT0_T1_T2_jT3_P12ihipStream_tbPNSt15iterator_traitsISK_E10value_typeEPNSQ_ISL_E10value_typeEPSM_NS1_7vsmem_tEENKUlT_SK_SL_SM_E_clISE_PjSF_SF_EESJ_SZ_SK_SL_SM_EUlSZ_E1_NS1_11comp_targetILNS1_3genE4ELNS1_11target_archE910ELNS1_3gpuE8ELNS1_3repE0EEENS1_36merge_oddeven_config_static_selectorELNS0_4arch9wavefront6targetE1EEEvSL_: ; @_ZN7rocprim17ROCPRIM_400000_NS6detail17trampoline_kernelINS0_14default_configENS1_38merge_sort_block_merge_config_selectorIjNS0_10empty_typeEEEZZNS1_27merge_sort_block_merge_implIS3_N6thrust23THRUST_200600_302600_NS6detail15normal_iteratorINS9_10device_ptrIjEEEEPS5_jNS1_19radix_merge_compareILb0ELb0EjNS0_19identity_decomposerEEEEE10hipError_tT0_T1_T2_jT3_P12ihipStream_tbPNSt15iterator_traitsISK_E10value_typeEPNSQ_ISL_E10value_typeEPSM_NS1_7vsmem_tEENKUlT_SK_SL_SM_E_clISE_PjSF_SF_EESJ_SZ_SK_SL_SM_EUlSZ_E1_NS1_11comp_targetILNS1_3genE4ELNS1_11target_archE910ELNS1_3gpuE8ELNS1_3repE0EEENS1_36merge_oddeven_config_static_selectorELNS0_4arch9wavefront6targetE1EEEvSL_
; %bb.0:
	.section	.rodata,"a",@progbits
	.p2align	6, 0x0
	.amdhsa_kernel _ZN7rocprim17ROCPRIM_400000_NS6detail17trampoline_kernelINS0_14default_configENS1_38merge_sort_block_merge_config_selectorIjNS0_10empty_typeEEEZZNS1_27merge_sort_block_merge_implIS3_N6thrust23THRUST_200600_302600_NS6detail15normal_iteratorINS9_10device_ptrIjEEEEPS5_jNS1_19radix_merge_compareILb0ELb0EjNS0_19identity_decomposerEEEEE10hipError_tT0_T1_T2_jT3_P12ihipStream_tbPNSt15iterator_traitsISK_E10value_typeEPNSQ_ISL_E10value_typeEPSM_NS1_7vsmem_tEENKUlT_SK_SL_SM_E_clISE_PjSF_SF_EESJ_SZ_SK_SL_SM_EUlSZ_E1_NS1_11comp_targetILNS1_3genE4ELNS1_11target_archE910ELNS1_3gpuE8ELNS1_3repE0EEENS1_36merge_oddeven_config_static_selectorELNS0_4arch9wavefront6targetE1EEEvSL_
		.amdhsa_group_segment_fixed_size 0
		.amdhsa_private_segment_fixed_size 0
		.amdhsa_kernarg_size 48
		.amdhsa_user_sgpr_count 2
		.amdhsa_user_sgpr_dispatch_ptr 0
		.amdhsa_user_sgpr_queue_ptr 0
		.amdhsa_user_sgpr_kernarg_segment_ptr 1
		.amdhsa_user_sgpr_dispatch_id 0
		.amdhsa_user_sgpr_kernarg_preload_length 0
		.amdhsa_user_sgpr_kernarg_preload_offset 0
		.amdhsa_user_sgpr_private_segment_size 0
		.amdhsa_uses_dynamic_stack 0
		.amdhsa_enable_private_segment 0
		.amdhsa_system_sgpr_workgroup_id_x 1
		.amdhsa_system_sgpr_workgroup_id_y 0
		.amdhsa_system_sgpr_workgroup_id_z 0
		.amdhsa_system_sgpr_workgroup_info 0
		.amdhsa_system_vgpr_workitem_id 0
		.amdhsa_next_free_vgpr 1
		.amdhsa_next_free_sgpr 0
		.amdhsa_accum_offset 4
		.amdhsa_reserve_vcc 0
		.amdhsa_float_round_mode_32 0
		.amdhsa_float_round_mode_16_64 0
		.amdhsa_float_denorm_mode_32 3
		.amdhsa_float_denorm_mode_16_64 3
		.amdhsa_dx10_clamp 1
		.amdhsa_ieee_mode 1
		.amdhsa_fp16_overflow 0
		.amdhsa_tg_split 0
		.amdhsa_exception_fp_ieee_invalid_op 0
		.amdhsa_exception_fp_denorm_src 0
		.amdhsa_exception_fp_ieee_div_zero 0
		.amdhsa_exception_fp_ieee_overflow 0
		.amdhsa_exception_fp_ieee_underflow 0
		.amdhsa_exception_fp_ieee_inexact 0
		.amdhsa_exception_int_div_zero 0
	.end_amdhsa_kernel
	.section	.text._ZN7rocprim17ROCPRIM_400000_NS6detail17trampoline_kernelINS0_14default_configENS1_38merge_sort_block_merge_config_selectorIjNS0_10empty_typeEEEZZNS1_27merge_sort_block_merge_implIS3_N6thrust23THRUST_200600_302600_NS6detail15normal_iteratorINS9_10device_ptrIjEEEEPS5_jNS1_19radix_merge_compareILb0ELb0EjNS0_19identity_decomposerEEEEE10hipError_tT0_T1_T2_jT3_P12ihipStream_tbPNSt15iterator_traitsISK_E10value_typeEPNSQ_ISL_E10value_typeEPSM_NS1_7vsmem_tEENKUlT_SK_SL_SM_E_clISE_PjSF_SF_EESJ_SZ_SK_SL_SM_EUlSZ_E1_NS1_11comp_targetILNS1_3genE4ELNS1_11target_archE910ELNS1_3gpuE8ELNS1_3repE0EEENS1_36merge_oddeven_config_static_selectorELNS0_4arch9wavefront6targetE1EEEvSL_,"axG",@progbits,_ZN7rocprim17ROCPRIM_400000_NS6detail17trampoline_kernelINS0_14default_configENS1_38merge_sort_block_merge_config_selectorIjNS0_10empty_typeEEEZZNS1_27merge_sort_block_merge_implIS3_N6thrust23THRUST_200600_302600_NS6detail15normal_iteratorINS9_10device_ptrIjEEEEPS5_jNS1_19radix_merge_compareILb0ELb0EjNS0_19identity_decomposerEEEEE10hipError_tT0_T1_T2_jT3_P12ihipStream_tbPNSt15iterator_traitsISK_E10value_typeEPNSQ_ISL_E10value_typeEPSM_NS1_7vsmem_tEENKUlT_SK_SL_SM_E_clISE_PjSF_SF_EESJ_SZ_SK_SL_SM_EUlSZ_E1_NS1_11comp_targetILNS1_3genE4ELNS1_11target_archE910ELNS1_3gpuE8ELNS1_3repE0EEENS1_36merge_oddeven_config_static_selectorELNS0_4arch9wavefront6targetE1EEEvSL_,comdat
.Lfunc_end1012:
	.size	_ZN7rocprim17ROCPRIM_400000_NS6detail17trampoline_kernelINS0_14default_configENS1_38merge_sort_block_merge_config_selectorIjNS0_10empty_typeEEEZZNS1_27merge_sort_block_merge_implIS3_N6thrust23THRUST_200600_302600_NS6detail15normal_iteratorINS9_10device_ptrIjEEEEPS5_jNS1_19radix_merge_compareILb0ELb0EjNS0_19identity_decomposerEEEEE10hipError_tT0_T1_T2_jT3_P12ihipStream_tbPNSt15iterator_traitsISK_E10value_typeEPNSQ_ISL_E10value_typeEPSM_NS1_7vsmem_tEENKUlT_SK_SL_SM_E_clISE_PjSF_SF_EESJ_SZ_SK_SL_SM_EUlSZ_E1_NS1_11comp_targetILNS1_3genE4ELNS1_11target_archE910ELNS1_3gpuE8ELNS1_3repE0EEENS1_36merge_oddeven_config_static_selectorELNS0_4arch9wavefront6targetE1EEEvSL_, .Lfunc_end1012-_ZN7rocprim17ROCPRIM_400000_NS6detail17trampoline_kernelINS0_14default_configENS1_38merge_sort_block_merge_config_selectorIjNS0_10empty_typeEEEZZNS1_27merge_sort_block_merge_implIS3_N6thrust23THRUST_200600_302600_NS6detail15normal_iteratorINS9_10device_ptrIjEEEEPS5_jNS1_19radix_merge_compareILb0ELb0EjNS0_19identity_decomposerEEEEE10hipError_tT0_T1_T2_jT3_P12ihipStream_tbPNSt15iterator_traitsISK_E10value_typeEPNSQ_ISL_E10value_typeEPSM_NS1_7vsmem_tEENKUlT_SK_SL_SM_E_clISE_PjSF_SF_EESJ_SZ_SK_SL_SM_EUlSZ_E1_NS1_11comp_targetILNS1_3genE4ELNS1_11target_archE910ELNS1_3gpuE8ELNS1_3repE0EEENS1_36merge_oddeven_config_static_selectorELNS0_4arch9wavefront6targetE1EEEvSL_
                                        ; -- End function
	.section	.AMDGPU.csdata,"",@progbits
; Kernel info:
; codeLenInByte = 0
; NumSgprs: 6
; NumVgprs: 0
; NumAgprs: 0
; TotalNumVgprs: 0
; ScratchSize: 0
; MemoryBound: 0
; FloatMode: 240
; IeeeMode: 1
; LDSByteSize: 0 bytes/workgroup (compile time only)
; SGPRBlocks: 0
; VGPRBlocks: 0
; NumSGPRsForWavesPerEU: 6
; NumVGPRsForWavesPerEU: 1
; AccumOffset: 4
; Occupancy: 8
; WaveLimiterHint : 0
; COMPUTE_PGM_RSRC2:SCRATCH_EN: 0
; COMPUTE_PGM_RSRC2:USER_SGPR: 2
; COMPUTE_PGM_RSRC2:TRAP_HANDLER: 0
; COMPUTE_PGM_RSRC2:TGID_X_EN: 1
; COMPUTE_PGM_RSRC2:TGID_Y_EN: 0
; COMPUTE_PGM_RSRC2:TGID_Z_EN: 0
; COMPUTE_PGM_RSRC2:TIDIG_COMP_CNT: 0
; COMPUTE_PGM_RSRC3_GFX90A:ACCUM_OFFSET: 0
; COMPUTE_PGM_RSRC3_GFX90A:TG_SPLIT: 0
	.section	.text._ZN7rocprim17ROCPRIM_400000_NS6detail17trampoline_kernelINS0_14default_configENS1_38merge_sort_block_merge_config_selectorIjNS0_10empty_typeEEEZZNS1_27merge_sort_block_merge_implIS3_N6thrust23THRUST_200600_302600_NS6detail15normal_iteratorINS9_10device_ptrIjEEEEPS5_jNS1_19radix_merge_compareILb0ELb0EjNS0_19identity_decomposerEEEEE10hipError_tT0_T1_T2_jT3_P12ihipStream_tbPNSt15iterator_traitsISK_E10value_typeEPNSQ_ISL_E10value_typeEPSM_NS1_7vsmem_tEENKUlT_SK_SL_SM_E_clISE_PjSF_SF_EESJ_SZ_SK_SL_SM_EUlSZ_E1_NS1_11comp_targetILNS1_3genE3ELNS1_11target_archE908ELNS1_3gpuE7ELNS1_3repE0EEENS1_36merge_oddeven_config_static_selectorELNS0_4arch9wavefront6targetE1EEEvSL_,"axG",@progbits,_ZN7rocprim17ROCPRIM_400000_NS6detail17trampoline_kernelINS0_14default_configENS1_38merge_sort_block_merge_config_selectorIjNS0_10empty_typeEEEZZNS1_27merge_sort_block_merge_implIS3_N6thrust23THRUST_200600_302600_NS6detail15normal_iteratorINS9_10device_ptrIjEEEEPS5_jNS1_19radix_merge_compareILb0ELb0EjNS0_19identity_decomposerEEEEE10hipError_tT0_T1_T2_jT3_P12ihipStream_tbPNSt15iterator_traitsISK_E10value_typeEPNSQ_ISL_E10value_typeEPSM_NS1_7vsmem_tEENKUlT_SK_SL_SM_E_clISE_PjSF_SF_EESJ_SZ_SK_SL_SM_EUlSZ_E1_NS1_11comp_targetILNS1_3genE3ELNS1_11target_archE908ELNS1_3gpuE7ELNS1_3repE0EEENS1_36merge_oddeven_config_static_selectorELNS0_4arch9wavefront6targetE1EEEvSL_,comdat
	.protected	_ZN7rocprim17ROCPRIM_400000_NS6detail17trampoline_kernelINS0_14default_configENS1_38merge_sort_block_merge_config_selectorIjNS0_10empty_typeEEEZZNS1_27merge_sort_block_merge_implIS3_N6thrust23THRUST_200600_302600_NS6detail15normal_iteratorINS9_10device_ptrIjEEEEPS5_jNS1_19radix_merge_compareILb0ELb0EjNS0_19identity_decomposerEEEEE10hipError_tT0_T1_T2_jT3_P12ihipStream_tbPNSt15iterator_traitsISK_E10value_typeEPNSQ_ISL_E10value_typeEPSM_NS1_7vsmem_tEENKUlT_SK_SL_SM_E_clISE_PjSF_SF_EESJ_SZ_SK_SL_SM_EUlSZ_E1_NS1_11comp_targetILNS1_3genE3ELNS1_11target_archE908ELNS1_3gpuE7ELNS1_3repE0EEENS1_36merge_oddeven_config_static_selectorELNS0_4arch9wavefront6targetE1EEEvSL_ ; -- Begin function _ZN7rocprim17ROCPRIM_400000_NS6detail17trampoline_kernelINS0_14default_configENS1_38merge_sort_block_merge_config_selectorIjNS0_10empty_typeEEEZZNS1_27merge_sort_block_merge_implIS3_N6thrust23THRUST_200600_302600_NS6detail15normal_iteratorINS9_10device_ptrIjEEEEPS5_jNS1_19radix_merge_compareILb0ELb0EjNS0_19identity_decomposerEEEEE10hipError_tT0_T1_T2_jT3_P12ihipStream_tbPNSt15iterator_traitsISK_E10value_typeEPNSQ_ISL_E10value_typeEPSM_NS1_7vsmem_tEENKUlT_SK_SL_SM_E_clISE_PjSF_SF_EESJ_SZ_SK_SL_SM_EUlSZ_E1_NS1_11comp_targetILNS1_3genE3ELNS1_11target_archE908ELNS1_3gpuE7ELNS1_3repE0EEENS1_36merge_oddeven_config_static_selectorELNS0_4arch9wavefront6targetE1EEEvSL_
	.globl	_ZN7rocprim17ROCPRIM_400000_NS6detail17trampoline_kernelINS0_14default_configENS1_38merge_sort_block_merge_config_selectorIjNS0_10empty_typeEEEZZNS1_27merge_sort_block_merge_implIS3_N6thrust23THRUST_200600_302600_NS6detail15normal_iteratorINS9_10device_ptrIjEEEEPS5_jNS1_19radix_merge_compareILb0ELb0EjNS0_19identity_decomposerEEEEE10hipError_tT0_T1_T2_jT3_P12ihipStream_tbPNSt15iterator_traitsISK_E10value_typeEPNSQ_ISL_E10value_typeEPSM_NS1_7vsmem_tEENKUlT_SK_SL_SM_E_clISE_PjSF_SF_EESJ_SZ_SK_SL_SM_EUlSZ_E1_NS1_11comp_targetILNS1_3genE3ELNS1_11target_archE908ELNS1_3gpuE7ELNS1_3repE0EEENS1_36merge_oddeven_config_static_selectorELNS0_4arch9wavefront6targetE1EEEvSL_
	.p2align	8
	.type	_ZN7rocprim17ROCPRIM_400000_NS6detail17trampoline_kernelINS0_14default_configENS1_38merge_sort_block_merge_config_selectorIjNS0_10empty_typeEEEZZNS1_27merge_sort_block_merge_implIS3_N6thrust23THRUST_200600_302600_NS6detail15normal_iteratorINS9_10device_ptrIjEEEEPS5_jNS1_19radix_merge_compareILb0ELb0EjNS0_19identity_decomposerEEEEE10hipError_tT0_T1_T2_jT3_P12ihipStream_tbPNSt15iterator_traitsISK_E10value_typeEPNSQ_ISL_E10value_typeEPSM_NS1_7vsmem_tEENKUlT_SK_SL_SM_E_clISE_PjSF_SF_EESJ_SZ_SK_SL_SM_EUlSZ_E1_NS1_11comp_targetILNS1_3genE3ELNS1_11target_archE908ELNS1_3gpuE7ELNS1_3repE0EEENS1_36merge_oddeven_config_static_selectorELNS0_4arch9wavefront6targetE1EEEvSL_,@function
_ZN7rocprim17ROCPRIM_400000_NS6detail17trampoline_kernelINS0_14default_configENS1_38merge_sort_block_merge_config_selectorIjNS0_10empty_typeEEEZZNS1_27merge_sort_block_merge_implIS3_N6thrust23THRUST_200600_302600_NS6detail15normal_iteratorINS9_10device_ptrIjEEEEPS5_jNS1_19radix_merge_compareILb0ELb0EjNS0_19identity_decomposerEEEEE10hipError_tT0_T1_T2_jT3_P12ihipStream_tbPNSt15iterator_traitsISK_E10value_typeEPNSQ_ISL_E10value_typeEPSM_NS1_7vsmem_tEENKUlT_SK_SL_SM_E_clISE_PjSF_SF_EESJ_SZ_SK_SL_SM_EUlSZ_E1_NS1_11comp_targetILNS1_3genE3ELNS1_11target_archE908ELNS1_3gpuE7ELNS1_3repE0EEENS1_36merge_oddeven_config_static_selectorELNS0_4arch9wavefront6targetE1EEEvSL_: ; @_ZN7rocprim17ROCPRIM_400000_NS6detail17trampoline_kernelINS0_14default_configENS1_38merge_sort_block_merge_config_selectorIjNS0_10empty_typeEEEZZNS1_27merge_sort_block_merge_implIS3_N6thrust23THRUST_200600_302600_NS6detail15normal_iteratorINS9_10device_ptrIjEEEEPS5_jNS1_19radix_merge_compareILb0ELb0EjNS0_19identity_decomposerEEEEE10hipError_tT0_T1_T2_jT3_P12ihipStream_tbPNSt15iterator_traitsISK_E10value_typeEPNSQ_ISL_E10value_typeEPSM_NS1_7vsmem_tEENKUlT_SK_SL_SM_E_clISE_PjSF_SF_EESJ_SZ_SK_SL_SM_EUlSZ_E1_NS1_11comp_targetILNS1_3genE3ELNS1_11target_archE908ELNS1_3gpuE7ELNS1_3repE0EEENS1_36merge_oddeven_config_static_selectorELNS0_4arch9wavefront6targetE1EEEvSL_
; %bb.0:
	.section	.rodata,"a",@progbits
	.p2align	6, 0x0
	.amdhsa_kernel _ZN7rocprim17ROCPRIM_400000_NS6detail17trampoline_kernelINS0_14default_configENS1_38merge_sort_block_merge_config_selectorIjNS0_10empty_typeEEEZZNS1_27merge_sort_block_merge_implIS3_N6thrust23THRUST_200600_302600_NS6detail15normal_iteratorINS9_10device_ptrIjEEEEPS5_jNS1_19radix_merge_compareILb0ELb0EjNS0_19identity_decomposerEEEEE10hipError_tT0_T1_T2_jT3_P12ihipStream_tbPNSt15iterator_traitsISK_E10value_typeEPNSQ_ISL_E10value_typeEPSM_NS1_7vsmem_tEENKUlT_SK_SL_SM_E_clISE_PjSF_SF_EESJ_SZ_SK_SL_SM_EUlSZ_E1_NS1_11comp_targetILNS1_3genE3ELNS1_11target_archE908ELNS1_3gpuE7ELNS1_3repE0EEENS1_36merge_oddeven_config_static_selectorELNS0_4arch9wavefront6targetE1EEEvSL_
		.amdhsa_group_segment_fixed_size 0
		.amdhsa_private_segment_fixed_size 0
		.amdhsa_kernarg_size 48
		.amdhsa_user_sgpr_count 2
		.amdhsa_user_sgpr_dispatch_ptr 0
		.amdhsa_user_sgpr_queue_ptr 0
		.amdhsa_user_sgpr_kernarg_segment_ptr 1
		.amdhsa_user_sgpr_dispatch_id 0
		.amdhsa_user_sgpr_kernarg_preload_length 0
		.amdhsa_user_sgpr_kernarg_preload_offset 0
		.amdhsa_user_sgpr_private_segment_size 0
		.amdhsa_uses_dynamic_stack 0
		.amdhsa_enable_private_segment 0
		.amdhsa_system_sgpr_workgroup_id_x 1
		.amdhsa_system_sgpr_workgroup_id_y 0
		.amdhsa_system_sgpr_workgroup_id_z 0
		.amdhsa_system_sgpr_workgroup_info 0
		.amdhsa_system_vgpr_workitem_id 0
		.amdhsa_next_free_vgpr 1
		.amdhsa_next_free_sgpr 0
		.amdhsa_accum_offset 4
		.amdhsa_reserve_vcc 0
		.amdhsa_float_round_mode_32 0
		.amdhsa_float_round_mode_16_64 0
		.amdhsa_float_denorm_mode_32 3
		.amdhsa_float_denorm_mode_16_64 3
		.amdhsa_dx10_clamp 1
		.amdhsa_ieee_mode 1
		.amdhsa_fp16_overflow 0
		.amdhsa_tg_split 0
		.amdhsa_exception_fp_ieee_invalid_op 0
		.amdhsa_exception_fp_denorm_src 0
		.amdhsa_exception_fp_ieee_div_zero 0
		.amdhsa_exception_fp_ieee_overflow 0
		.amdhsa_exception_fp_ieee_underflow 0
		.amdhsa_exception_fp_ieee_inexact 0
		.amdhsa_exception_int_div_zero 0
	.end_amdhsa_kernel
	.section	.text._ZN7rocprim17ROCPRIM_400000_NS6detail17trampoline_kernelINS0_14default_configENS1_38merge_sort_block_merge_config_selectorIjNS0_10empty_typeEEEZZNS1_27merge_sort_block_merge_implIS3_N6thrust23THRUST_200600_302600_NS6detail15normal_iteratorINS9_10device_ptrIjEEEEPS5_jNS1_19radix_merge_compareILb0ELb0EjNS0_19identity_decomposerEEEEE10hipError_tT0_T1_T2_jT3_P12ihipStream_tbPNSt15iterator_traitsISK_E10value_typeEPNSQ_ISL_E10value_typeEPSM_NS1_7vsmem_tEENKUlT_SK_SL_SM_E_clISE_PjSF_SF_EESJ_SZ_SK_SL_SM_EUlSZ_E1_NS1_11comp_targetILNS1_3genE3ELNS1_11target_archE908ELNS1_3gpuE7ELNS1_3repE0EEENS1_36merge_oddeven_config_static_selectorELNS0_4arch9wavefront6targetE1EEEvSL_,"axG",@progbits,_ZN7rocprim17ROCPRIM_400000_NS6detail17trampoline_kernelINS0_14default_configENS1_38merge_sort_block_merge_config_selectorIjNS0_10empty_typeEEEZZNS1_27merge_sort_block_merge_implIS3_N6thrust23THRUST_200600_302600_NS6detail15normal_iteratorINS9_10device_ptrIjEEEEPS5_jNS1_19radix_merge_compareILb0ELb0EjNS0_19identity_decomposerEEEEE10hipError_tT0_T1_T2_jT3_P12ihipStream_tbPNSt15iterator_traitsISK_E10value_typeEPNSQ_ISL_E10value_typeEPSM_NS1_7vsmem_tEENKUlT_SK_SL_SM_E_clISE_PjSF_SF_EESJ_SZ_SK_SL_SM_EUlSZ_E1_NS1_11comp_targetILNS1_3genE3ELNS1_11target_archE908ELNS1_3gpuE7ELNS1_3repE0EEENS1_36merge_oddeven_config_static_selectorELNS0_4arch9wavefront6targetE1EEEvSL_,comdat
.Lfunc_end1013:
	.size	_ZN7rocprim17ROCPRIM_400000_NS6detail17trampoline_kernelINS0_14default_configENS1_38merge_sort_block_merge_config_selectorIjNS0_10empty_typeEEEZZNS1_27merge_sort_block_merge_implIS3_N6thrust23THRUST_200600_302600_NS6detail15normal_iteratorINS9_10device_ptrIjEEEEPS5_jNS1_19radix_merge_compareILb0ELb0EjNS0_19identity_decomposerEEEEE10hipError_tT0_T1_T2_jT3_P12ihipStream_tbPNSt15iterator_traitsISK_E10value_typeEPNSQ_ISL_E10value_typeEPSM_NS1_7vsmem_tEENKUlT_SK_SL_SM_E_clISE_PjSF_SF_EESJ_SZ_SK_SL_SM_EUlSZ_E1_NS1_11comp_targetILNS1_3genE3ELNS1_11target_archE908ELNS1_3gpuE7ELNS1_3repE0EEENS1_36merge_oddeven_config_static_selectorELNS0_4arch9wavefront6targetE1EEEvSL_, .Lfunc_end1013-_ZN7rocprim17ROCPRIM_400000_NS6detail17trampoline_kernelINS0_14default_configENS1_38merge_sort_block_merge_config_selectorIjNS0_10empty_typeEEEZZNS1_27merge_sort_block_merge_implIS3_N6thrust23THRUST_200600_302600_NS6detail15normal_iteratorINS9_10device_ptrIjEEEEPS5_jNS1_19radix_merge_compareILb0ELb0EjNS0_19identity_decomposerEEEEE10hipError_tT0_T1_T2_jT3_P12ihipStream_tbPNSt15iterator_traitsISK_E10value_typeEPNSQ_ISL_E10value_typeEPSM_NS1_7vsmem_tEENKUlT_SK_SL_SM_E_clISE_PjSF_SF_EESJ_SZ_SK_SL_SM_EUlSZ_E1_NS1_11comp_targetILNS1_3genE3ELNS1_11target_archE908ELNS1_3gpuE7ELNS1_3repE0EEENS1_36merge_oddeven_config_static_selectorELNS0_4arch9wavefront6targetE1EEEvSL_
                                        ; -- End function
	.section	.AMDGPU.csdata,"",@progbits
; Kernel info:
; codeLenInByte = 0
; NumSgprs: 6
; NumVgprs: 0
; NumAgprs: 0
; TotalNumVgprs: 0
; ScratchSize: 0
; MemoryBound: 0
; FloatMode: 240
; IeeeMode: 1
; LDSByteSize: 0 bytes/workgroup (compile time only)
; SGPRBlocks: 0
; VGPRBlocks: 0
; NumSGPRsForWavesPerEU: 6
; NumVGPRsForWavesPerEU: 1
; AccumOffset: 4
; Occupancy: 8
; WaveLimiterHint : 0
; COMPUTE_PGM_RSRC2:SCRATCH_EN: 0
; COMPUTE_PGM_RSRC2:USER_SGPR: 2
; COMPUTE_PGM_RSRC2:TRAP_HANDLER: 0
; COMPUTE_PGM_RSRC2:TGID_X_EN: 1
; COMPUTE_PGM_RSRC2:TGID_Y_EN: 0
; COMPUTE_PGM_RSRC2:TGID_Z_EN: 0
; COMPUTE_PGM_RSRC2:TIDIG_COMP_CNT: 0
; COMPUTE_PGM_RSRC3_GFX90A:ACCUM_OFFSET: 0
; COMPUTE_PGM_RSRC3_GFX90A:TG_SPLIT: 0
	.section	.text._ZN7rocprim17ROCPRIM_400000_NS6detail17trampoline_kernelINS0_14default_configENS1_38merge_sort_block_merge_config_selectorIjNS0_10empty_typeEEEZZNS1_27merge_sort_block_merge_implIS3_N6thrust23THRUST_200600_302600_NS6detail15normal_iteratorINS9_10device_ptrIjEEEEPS5_jNS1_19radix_merge_compareILb0ELb0EjNS0_19identity_decomposerEEEEE10hipError_tT0_T1_T2_jT3_P12ihipStream_tbPNSt15iterator_traitsISK_E10value_typeEPNSQ_ISL_E10value_typeEPSM_NS1_7vsmem_tEENKUlT_SK_SL_SM_E_clISE_PjSF_SF_EESJ_SZ_SK_SL_SM_EUlSZ_E1_NS1_11comp_targetILNS1_3genE2ELNS1_11target_archE906ELNS1_3gpuE6ELNS1_3repE0EEENS1_36merge_oddeven_config_static_selectorELNS0_4arch9wavefront6targetE1EEEvSL_,"axG",@progbits,_ZN7rocprim17ROCPRIM_400000_NS6detail17trampoline_kernelINS0_14default_configENS1_38merge_sort_block_merge_config_selectorIjNS0_10empty_typeEEEZZNS1_27merge_sort_block_merge_implIS3_N6thrust23THRUST_200600_302600_NS6detail15normal_iteratorINS9_10device_ptrIjEEEEPS5_jNS1_19radix_merge_compareILb0ELb0EjNS0_19identity_decomposerEEEEE10hipError_tT0_T1_T2_jT3_P12ihipStream_tbPNSt15iterator_traitsISK_E10value_typeEPNSQ_ISL_E10value_typeEPSM_NS1_7vsmem_tEENKUlT_SK_SL_SM_E_clISE_PjSF_SF_EESJ_SZ_SK_SL_SM_EUlSZ_E1_NS1_11comp_targetILNS1_3genE2ELNS1_11target_archE906ELNS1_3gpuE6ELNS1_3repE0EEENS1_36merge_oddeven_config_static_selectorELNS0_4arch9wavefront6targetE1EEEvSL_,comdat
	.protected	_ZN7rocprim17ROCPRIM_400000_NS6detail17trampoline_kernelINS0_14default_configENS1_38merge_sort_block_merge_config_selectorIjNS0_10empty_typeEEEZZNS1_27merge_sort_block_merge_implIS3_N6thrust23THRUST_200600_302600_NS6detail15normal_iteratorINS9_10device_ptrIjEEEEPS5_jNS1_19radix_merge_compareILb0ELb0EjNS0_19identity_decomposerEEEEE10hipError_tT0_T1_T2_jT3_P12ihipStream_tbPNSt15iterator_traitsISK_E10value_typeEPNSQ_ISL_E10value_typeEPSM_NS1_7vsmem_tEENKUlT_SK_SL_SM_E_clISE_PjSF_SF_EESJ_SZ_SK_SL_SM_EUlSZ_E1_NS1_11comp_targetILNS1_3genE2ELNS1_11target_archE906ELNS1_3gpuE6ELNS1_3repE0EEENS1_36merge_oddeven_config_static_selectorELNS0_4arch9wavefront6targetE1EEEvSL_ ; -- Begin function _ZN7rocprim17ROCPRIM_400000_NS6detail17trampoline_kernelINS0_14default_configENS1_38merge_sort_block_merge_config_selectorIjNS0_10empty_typeEEEZZNS1_27merge_sort_block_merge_implIS3_N6thrust23THRUST_200600_302600_NS6detail15normal_iteratorINS9_10device_ptrIjEEEEPS5_jNS1_19radix_merge_compareILb0ELb0EjNS0_19identity_decomposerEEEEE10hipError_tT0_T1_T2_jT3_P12ihipStream_tbPNSt15iterator_traitsISK_E10value_typeEPNSQ_ISL_E10value_typeEPSM_NS1_7vsmem_tEENKUlT_SK_SL_SM_E_clISE_PjSF_SF_EESJ_SZ_SK_SL_SM_EUlSZ_E1_NS1_11comp_targetILNS1_3genE2ELNS1_11target_archE906ELNS1_3gpuE6ELNS1_3repE0EEENS1_36merge_oddeven_config_static_selectorELNS0_4arch9wavefront6targetE1EEEvSL_
	.globl	_ZN7rocprim17ROCPRIM_400000_NS6detail17trampoline_kernelINS0_14default_configENS1_38merge_sort_block_merge_config_selectorIjNS0_10empty_typeEEEZZNS1_27merge_sort_block_merge_implIS3_N6thrust23THRUST_200600_302600_NS6detail15normal_iteratorINS9_10device_ptrIjEEEEPS5_jNS1_19radix_merge_compareILb0ELb0EjNS0_19identity_decomposerEEEEE10hipError_tT0_T1_T2_jT3_P12ihipStream_tbPNSt15iterator_traitsISK_E10value_typeEPNSQ_ISL_E10value_typeEPSM_NS1_7vsmem_tEENKUlT_SK_SL_SM_E_clISE_PjSF_SF_EESJ_SZ_SK_SL_SM_EUlSZ_E1_NS1_11comp_targetILNS1_3genE2ELNS1_11target_archE906ELNS1_3gpuE6ELNS1_3repE0EEENS1_36merge_oddeven_config_static_selectorELNS0_4arch9wavefront6targetE1EEEvSL_
	.p2align	8
	.type	_ZN7rocprim17ROCPRIM_400000_NS6detail17trampoline_kernelINS0_14default_configENS1_38merge_sort_block_merge_config_selectorIjNS0_10empty_typeEEEZZNS1_27merge_sort_block_merge_implIS3_N6thrust23THRUST_200600_302600_NS6detail15normal_iteratorINS9_10device_ptrIjEEEEPS5_jNS1_19radix_merge_compareILb0ELb0EjNS0_19identity_decomposerEEEEE10hipError_tT0_T1_T2_jT3_P12ihipStream_tbPNSt15iterator_traitsISK_E10value_typeEPNSQ_ISL_E10value_typeEPSM_NS1_7vsmem_tEENKUlT_SK_SL_SM_E_clISE_PjSF_SF_EESJ_SZ_SK_SL_SM_EUlSZ_E1_NS1_11comp_targetILNS1_3genE2ELNS1_11target_archE906ELNS1_3gpuE6ELNS1_3repE0EEENS1_36merge_oddeven_config_static_selectorELNS0_4arch9wavefront6targetE1EEEvSL_,@function
_ZN7rocprim17ROCPRIM_400000_NS6detail17trampoline_kernelINS0_14default_configENS1_38merge_sort_block_merge_config_selectorIjNS0_10empty_typeEEEZZNS1_27merge_sort_block_merge_implIS3_N6thrust23THRUST_200600_302600_NS6detail15normal_iteratorINS9_10device_ptrIjEEEEPS5_jNS1_19radix_merge_compareILb0ELb0EjNS0_19identity_decomposerEEEEE10hipError_tT0_T1_T2_jT3_P12ihipStream_tbPNSt15iterator_traitsISK_E10value_typeEPNSQ_ISL_E10value_typeEPSM_NS1_7vsmem_tEENKUlT_SK_SL_SM_E_clISE_PjSF_SF_EESJ_SZ_SK_SL_SM_EUlSZ_E1_NS1_11comp_targetILNS1_3genE2ELNS1_11target_archE906ELNS1_3gpuE6ELNS1_3repE0EEENS1_36merge_oddeven_config_static_selectorELNS0_4arch9wavefront6targetE1EEEvSL_: ; @_ZN7rocprim17ROCPRIM_400000_NS6detail17trampoline_kernelINS0_14default_configENS1_38merge_sort_block_merge_config_selectorIjNS0_10empty_typeEEEZZNS1_27merge_sort_block_merge_implIS3_N6thrust23THRUST_200600_302600_NS6detail15normal_iteratorINS9_10device_ptrIjEEEEPS5_jNS1_19radix_merge_compareILb0ELb0EjNS0_19identity_decomposerEEEEE10hipError_tT0_T1_T2_jT3_P12ihipStream_tbPNSt15iterator_traitsISK_E10value_typeEPNSQ_ISL_E10value_typeEPSM_NS1_7vsmem_tEENKUlT_SK_SL_SM_E_clISE_PjSF_SF_EESJ_SZ_SK_SL_SM_EUlSZ_E1_NS1_11comp_targetILNS1_3genE2ELNS1_11target_archE906ELNS1_3gpuE6ELNS1_3repE0EEENS1_36merge_oddeven_config_static_selectorELNS0_4arch9wavefront6targetE1EEEvSL_
; %bb.0:
	.section	.rodata,"a",@progbits
	.p2align	6, 0x0
	.amdhsa_kernel _ZN7rocprim17ROCPRIM_400000_NS6detail17trampoline_kernelINS0_14default_configENS1_38merge_sort_block_merge_config_selectorIjNS0_10empty_typeEEEZZNS1_27merge_sort_block_merge_implIS3_N6thrust23THRUST_200600_302600_NS6detail15normal_iteratorINS9_10device_ptrIjEEEEPS5_jNS1_19radix_merge_compareILb0ELb0EjNS0_19identity_decomposerEEEEE10hipError_tT0_T1_T2_jT3_P12ihipStream_tbPNSt15iterator_traitsISK_E10value_typeEPNSQ_ISL_E10value_typeEPSM_NS1_7vsmem_tEENKUlT_SK_SL_SM_E_clISE_PjSF_SF_EESJ_SZ_SK_SL_SM_EUlSZ_E1_NS1_11comp_targetILNS1_3genE2ELNS1_11target_archE906ELNS1_3gpuE6ELNS1_3repE0EEENS1_36merge_oddeven_config_static_selectorELNS0_4arch9wavefront6targetE1EEEvSL_
		.amdhsa_group_segment_fixed_size 0
		.amdhsa_private_segment_fixed_size 0
		.amdhsa_kernarg_size 48
		.amdhsa_user_sgpr_count 2
		.amdhsa_user_sgpr_dispatch_ptr 0
		.amdhsa_user_sgpr_queue_ptr 0
		.amdhsa_user_sgpr_kernarg_segment_ptr 1
		.amdhsa_user_sgpr_dispatch_id 0
		.amdhsa_user_sgpr_kernarg_preload_length 0
		.amdhsa_user_sgpr_kernarg_preload_offset 0
		.amdhsa_user_sgpr_private_segment_size 0
		.amdhsa_uses_dynamic_stack 0
		.amdhsa_enable_private_segment 0
		.amdhsa_system_sgpr_workgroup_id_x 1
		.amdhsa_system_sgpr_workgroup_id_y 0
		.amdhsa_system_sgpr_workgroup_id_z 0
		.amdhsa_system_sgpr_workgroup_info 0
		.amdhsa_system_vgpr_workitem_id 0
		.amdhsa_next_free_vgpr 1
		.amdhsa_next_free_sgpr 0
		.amdhsa_accum_offset 4
		.amdhsa_reserve_vcc 0
		.amdhsa_float_round_mode_32 0
		.amdhsa_float_round_mode_16_64 0
		.amdhsa_float_denorm_mode_32 3
		.amdhsa_float_denorm_mode_16_64 3
		.amdhsa_dx10_clamp 1
		.amdhsa_ieee_mode 1
		.amdhsa_fp16_overflow 0
		.amdhsa_tg_split 0
		.amdhsa_exception_fp_ieee_invalid_op 0
		.amdhsa_exception_fp_denorm_src 0
		.amdhsa_exception_fp_ieee_div_zero 0
		.amdhsa_exception_fp_ieee_overflow 0
		.amdhsa_exception_fp_ieee_underflow 0
		.amdhsa_exception_fp_ieee_inexact 0
		.amdhsa_exception_int_div_zero 0
	.end_amdhsa_kernel
	.section	.text._ZN7rocprim17ROCPRIM_400000_NS6detail17trampoline_kernelINS0_14default_configENS1_38merge_sort_block_merge_config_selectorIjNS0_10empty_typeEEEZZNS1_27merge_sort_block_merge_implIS3_N6thrust23THRUST_200600_302600_NS6detail15normal_iteratorINS9_10device_ptrIjEEEEPS5_jNS1_19radix_merge_compareILb0ELb0EjNS0_19identity_decomposerEEEEE10hipError_tT0_T1_T2_jT3_P12ihipStream_tbPNSt15iterator_traitsISK_E10value_typeEPNSQ_ISL_E10value_typeEPSM_NS1_7vsmem_tEENKUlT_SK_SL_SM_E_clISE_PjSF_SF_EESJ_SZ_SK_SL_SM_EUlSZ_E1_NS1_11comp_targetILNS1_3genE2ELNS1_11target_archE906ELNS1_3gpuE6ELNS1_3repE0EEENS1_36merge_oddeven_config_static_selectorELNS0_4arch9wavefront6targetE1EEEvSL_,"axG",@progbits,_ZN7rocprim17ROCPRIM_400000_NS6detail17trampoline_kernelINS0_14default_configENS1_38merge_sort_block_merge_config_selectorIjNS0_10empty_typeEEEZZNS1_27merge_sort_block_merge_implIS3_N6thrust23THRUST_200600_302600_NS6detail15normal_iteratorINS9_10device_ptrIjEEEEPS5_jNS1_19radix_merge_compareILb0ELb0EjNS0_19identity_decomposerEEEEE10hipError_tT0_T1_T2_jT3_P12ihipStream_tbPNSt15iterator_traitsISK_E10value_typeEPNSQ_ISL_E10value_typeEPSM_NS1_7vsmem_tEENKUlT_SK_SL_SM_E_clISE_PjSF_SF_EESJ_SZ_SK_SL_SM_EUlSZ_E1_NS1_11comp_targetILNS1_3genE2ELNS1_11target_archE906ELNS1_3gpuE6ELNS1_3repE0EEENS1_36merge_oddeven_config_static_selectorELNS0_4arch9wavefront6targetE1EEEvSL_,comdat
.Lfunc_end1014:
	.size	_ZN7rocprim17ROCPRIM_400000_NS6detail17trampoline_kernelINS0_14default_configENS1_38merge_sort_block_merge_config_selectorIjNS0_10empty_typeEEEZZNS1_27merge_sort_block_merge_implIS3_N6thrust23THRUST_200600_302600_NS6detail15normal_iteratorINS9_10device_ptrIjEEEEPS5_jNS1_19radix_merge_compareILb0ELb0EjNS0_19identity_decomposerEEEEE10hipError_tT0_T1_T2_jT3_P12ihipStream_tbPNSt15iterator_traitsISK_E10value_typeEPNSQ_ISL_E10value_typeEPSM_NS1_7vsmem_tEENKUlT_SK_SL_SM_E_clISE_PjSF_SF_EESJ_SZ_SK_SL_SM_EUlSZ_E1_NS1_11comp_targetILNS1_3genE2ELNS1_11target_archE906ELNS1_3gpuE6ELNS1_3repE0EEENS1_36merge_oddeven_config_static_selectorELNS0_4arch9wavefront6targetE1EEEvSL_, .Lfunc_end1014-_ZN7rocprim17ROCPRIM_400000_NS6detail17trampoline_kernelINS0_14default_configENS1_38merge_sort_block_merge_config_selectorIjNS0_10empty_typeEEEZZNS1_27merge_sort_block_merge_implIS3_N6thrust23THRUST_200600_302600_NS6detail15normal_iteratorINS9_10device_ptrIjEEEEPS5_jNS1_19radix_merge_compareILb0ELb0EjNS0_19identity_decomposerEEEEE10hipError_tT0_T1_T2_jT3_P12ihipStream_tbPNSt15iterator_traitsISK_E10value_typeEPNSQ_ISL_E10value_typeEPSM_NS1_7vsmem_tEENKUlT_SK_SL_SM_E_clISE_PjSF_SF_EESJ_SZ_SK_SL_SM_EUlSZ_E1_NS1_11comp_targetILNS1_3genE2ELNS1_11target_archE906ELNS1_3gpuE6ELNS1_3repE0EEENS1_36merge_oddeven_config_static_selectorELNS0_4arch9wavefront6targetE1EEEvSL_
                                        ; -- End function
	.section	.AMDGPU.csdata,"",@progbits
; Kernel info:
; codeLenInByte = 0
; NumSgprs: 6
; NumVgprs: 0
; NumAgprs: 0
; TotalNumVgprs: 0
; ScratchSize: 0
; MemoryBound: 0
; FloatMode: 240
; IeeeMode: 1
; LDSByteSize: 0 bytes/workgroup (compile time only)
; SGPRBlocks: 0
; VGPRBlocks: 0
; NumSGPRsForWavesPerEU: 6
; NumVGPRsForWavesPerEU: 1
; AccumOffset: 4
; Occupancy: 8
; WaveLimiterHint : 0
; COMPUTE_PGM_RSRC2:SCRATCH_EN: 0
; COMPUTE_PGM_RSRC2:USER_SGPR: 2
; COMPUTE_PGM_RSRC2:TRAP_HANDLER: 0
; COMPUTE_PGM_RSRC2:TGID_X_EN: 1
; COMPUTE_PGM_RSRC2:TGID_Y_EN: 0
; COMPUTE_PGM_RSRC2:TGID_Z_EN: 0
; COMPUTE_PGM_RSRC2:TIDIG_COMP_CNT: 0
; COMPUTE_PGM_RSRC3_GFX90A:ACCUM_OFFSET: 0
; COMPUTE_PGM_RSRC3_GFX90A:TG_SPLIT: 0
	.section	.text._ZN7rocprim17ROCPRIM_400000_NS6detail17trampoline_kernelINS0_14default_configENS1_38merge_sort_block_merge_config_selectorIjNS0_10empty_typeEEEZZNS1_27merge_sort_block_merge_implIS3_N6thrust23THRUST_200600_302600_NS6detail15normal_iteratorINS9_10device_ptrIjEEEEPS5_jNS1_19radix_merge_compareILb0ELb0EjNS0_19identity_decomposerEEEEE10hipError_tT0_T1_T2_jT3_P12ihipStream_tbPNSt15iterator_traitsISK_E10value_typeEPNSQ_ISL_E10value_typeEPSM_NS1_7vsmem_tEENKUlT_SK_SL_SM_E_clISE_PjSF_SF_EESJ_SZ_SK_SL_SM_EUlSZ_E1_NS1_11comp_targetILNS1_3genE9ELNS1_11target_archE1100ELNS1_3gpuE3ELNS1_3repE0EEENS1_36merge_oddeven_config_static_selectorELNS0_4arch9wavefront6targetE1EEEvSL_,"axG",@progbits,_ZN7rocprim17ROCPRIM_400000_NS6detail17trampoline_kernelINS0_14default_configENS1_38merge_sort_block_merge_config_selectorIjNS0_10empty_typeEEEZZNS1_27merge_sort_block_merge_implIS3_N6thrust23THRUST_200600_302600_NS6detail15normal_iteratorINS9_10device_ptrIjEEEEPS5_jNS1_19radix_merge_compareILb0ELb0EjNS0_19identity_decomposerEEEEE10hipError_tT0_T1_T2_jT3_P12ihipStream_tbPNSt15iterator_traitsISK_E10value_typeEPNSQ_ISL_E10value_typeEPSM_NS1_7vsmem_tEENKUlT_SK_SL_SM_E_clISE_PjSF_SF_EESJ_SZ_SK_SL_SM_EUlSZ_E1_NS1_11comp_targetILNS1_3genE9ELNS1_11target_archE1100ELNS1_3gpuE3ELNS1_3repE0EEENS1_36merge_oddeven_config_static_selectorELNS0_4arch9wavefront6targetE1EEEvSL_,comdat
	.protected	_ZN7rocprim17ROCPRIM_400000_NS6detail17trampoline_kernelINS0_14default_configENS1_38merge_sort_block_merge_config_selectorIjNS0_10empty_typeEEEZZNS1_27merge_sort_block_merge_implIS3_N6thrust23THRUST_200600_302600_NS6detail15normal_iteratorINS9_10device_ptrIjEEEEPS5_jNS1_19radix_merge_compareILb0ELb0EjNS0_19identity_decomposerEEEEE10hipError_tT0_T1_T2_jT3_P12ihipStream_tbPNSt15iterator_traitsISK_E10value_typeEPNSQ_ISL_E10value_typeEPSM_NS1_7vsmem_tEENKUlT_SK_SL_SM_E_clISE_PjSF_SF_EESJ_SZ_SK_SL_SM_EUlSZ_E1_NS1_11comp_targetILNS1_3genE9ELNS1_11target_archE1100ELNS1_3gpuE3ELNS1_3repE0EEENS1_36merge_oddeven_config_static_selectorELNS0_4arch9wavefront6targetE1EEEvSL_ ; -- Begin function _ZN7rocprim17ROCPRIM_400000_NS6detail17trampoline_kernelINS0_14default_configENS1_38merge_sort_block_merge_config_selectorIjNS0_10empty_typeEEEZZNS1_27merge_sort_block_merge_implIS3_N6thrust23THRUST_200600_302600_NS6detail15normal_iteratorINS9_10device_ptrIjEEEEPS5_jNS1_19radix_merge_compareILb0ELb0EjNS0_19identity_decomposerEEEEE10hipError_tT0_T1_T2_jT3_P12ihipStream_tbPNSt15iterator_traitsISK_E10value_typeEPNSQ_ISL_E10value_typeEPSM_NS1_7vsmem_tEENKUlT_SK_SL_SM_E_clISE_PjSF_SF_EESJ_SZ_SK_SL_SM_EUlSZ_E1_NS1_11comp_targetILNS1_3genE9ELNS1_11target_archE1100ELNS1_3gpuE3ELNS1_3repE0EEENS1_36merge_oddeven_config_static_selectorELNS0_4arch9wavefront6targetE1EEEvSL_
	.globl	_ZN7rocprim17ROCPRIM_400000_NS6detail17trampoline_kernelINS0_14default_configENS1_38merge_sort_block_merge_config_selectorIjNS0_10empty_typeEEEZZNS1_27merge_sort_block_merge_implIS3_N6thrust23THRUST_200600_302600_NS6detail15normal_iteratorINS9_10device_ptrIjEEEEPS5_jNS1_19radix_merge_compareILb0ELb0EjNS0_19identity_decomposerEEEEE10hipError_tT0_T1_T2_jT3_P12ihipStream_tbPNSt15iterator_traitsISK_E10value_typeEPNSQ_ISL_E10value_typeEPSM_NS1_7vsmem_tEENKUlT_SK_SL_SM_E_clISE_PjSF_SF_EESJ_SZ_SK_SL_SM_EUlSZ_E1_NS1_11comp_targetILNS1_3genE9ELNS1_11target_archE1100ELNS1_3gpuE3ELNS1_3repE0EEENS1_36merge_oddeven_config_static_selectorELNS0_4arch9wavefront6targetE1EEEvSL_
	.p2align	8
	.type	_ZN7rocprim17ROCPRIM_400000_NS6detail17trampoline_kernelINS0_14default_configENS1_38merge_sort_block_merge_config_selectorIjNS0_10empty_typeEEEZZNS1_27merge_sort_block_merge_implIS3_N6thrust23THRUST_200600_302600_NS6detail15normal_iteratorINS9_10device_ptrIjEEEEPS5_jNS1_19radix_merge_compareILb0ELb0EjNS0_19identity_decomposerEEEEE10hipError_tT0_T1_T2_jT3_P12ihipStream_tbPNSt15iterator_traitsISK_E10value_typeEPNSQ_ISL_E10value_typeEPSM_NS1_7vsmem_tEENKUlT_SK_SL_SM_E_clISE_PjSF_SF_EESJ_SZ_SK_SL_SM_EUlSZ_E1_NS1_11comp_targetILNS1_3genE9ELNS1_11target_archE1100ELNS1_3gpuE3ELNS1_3repE0EEENS1_36merge_oddeven_config_static_selectorELNS0_4arch9wavefront6targetE1EEEvSL_,@function
_ZN7rocprim17ROCPRIM_400000_NS6detail17trampoline_kernelINS0_14default_configENS1_38merge_sort_block_merge_config_selectorIjNS0_10empty_typeEEEZZNS1_27merge_sort_block_merge_implIS3_N6thrust23THRUST_200600_302600_NS6detail15normal_iteratorINS9_10device_ptrIjEEEEPS5_jNS1_19radix_merge_compareILb0ELb0EjNS0_19identity_decomposerEEEEE10hipError_tT0_T1_T2_jT3_P12ihipStream_tbPNSt15iterator_traitsISK_E10value_typeEPNSQ_ISL_E10value_typeEPSM_NS1_7vsmem_tEENKUlT_SK_SL_SM_E_clISE_PjSF_SF_EESJ_SZ_SK_SL_SM_EUlSZ_E1_NS1_11comp_targetILNS1_3genE9ELNS1_11target_archE1100ELNS1_3gpuE3ELNS1_3repE0EEENS1_36merge_oddeven_config_static_selectorELNS0_4arch9wavefront6targetE1EEEvSL_: ; @_ZN7rocprim17ROCPRIM_400000_NS6detail17trampoline_kernelINS0_14default_configENS1_38merge_sort_block_merge_config_selectorIjNS0_10empty_typeEEEZZNS1_27merge_sort_block_merge_implIS3_N6thrust23THRUST_200600_302600_NS6detail15normal_iteratorINS9_10device_ptrIjEEEEPS5_jNS1_19radix_merge_compareILb0ELb0EjNS0_19identity_decomposerEEEEE10hipError_tT0_T1_T2_jT3_P12ihipStream_tbPNSt15iterator_traitsISK_E10value_typeEPNSQ_ISL_E10value_typeEPSM_NS1_7vsmem_tEENKUlT_SK_SL_SM_E_clISE_PjSF_SF_EESJ_SZ_SK_SL_SM_EUlSZ_E1_NS1_11comp_targetILNS1_3genE9ELNS1_11target_archE1100ELNS1_3gpuE3ELNS1_3repE0EEENS1_36merge_oddeven_config_static_selectorELNS0_4arch9wavefront6targetE1EEEvSL_
; %bb.0:
	.section	.rodata,"a",@progbits
	.p2align	6, 0x0
	.amdhsa_kernel _ZN7rocprim17ROCPRIM_400000_NS6detail17trampoline_kernelINS0_14default_configENS1_38merge_sort_block_merge_config_selectorIjNS0_10empty_typeEEEZZNS1_27merge_sort_block_merge_implIS3_N6thrust23THRUST_200600_302600_NS6detail15normal_iteratorINS9_10device_ptrIjEEEEPS5_jNS1_19radix_merge_compareILb0ELb0EjNS0_19identity_decomposerEEEEE10hipError_tT0_T1_T2_jT3_P12ihipStream_tbPNSt15iterator_traitsISK_E10value_typeEPNSQ_ISL_E10value_typeEPSM_NS1_7vsmem_tEENKUlT_SK_SL_SM_E_clISE_PjSF_SF_EESJ_SZ_SK_SL_SM_EUlSZ_E1_NS1_11comp_targetILNS1_3genE9ELNS1_11target_archE1100ELNS1_3gpuE3ELNS1_3repE0EEENS1_36merge_oddeven_config_static_selectorELNS0_4arch9wavefront6targetE1EEEvSL_
		.amdhsa_group_segment_fixed_size 0
		.amdhsa_private_segment_fixed_size 0
		.amdhsa_kernarg_size 48
		.amdhsa_user_sgpr_count 2
		.amdhsa_user_sgpr_dispatch_ptr 0
		.amdhsa_user_sgpr_queue_ptr 0
		.amdhsa_user_sgpr_kernarg_segment_ptr 1
		.amdhsa_user_sgpr_dispatch_id 0
		.amdhsa_user_sgpr_kernarg_preload_length 0
		.amdhsa_user_sgpr_kernarg_preload_offset 0
		.amdhsa_user_sgpr_private_segment_size 0
		.amdhsa_uses_dynamic_stack 0
		.amdhsa_enable_private_segment 0
		.amdhsa_system_sgpr_workgroup_id_x 1
		.amdhsa_system_sgpr_workgroup_id_y 0
		.amdhsa_system_sgpr_workgroup_id_z 0
		.amdhsa_system_sgpr_workgroup_info 0
		.amdhsa_system_vgpr_workitem_id 0
		.amdhsa_next_free_vgpr 1
		.amdhsa_next_free_sgpr 0
		.amdhsa_accum_offset 4
		.amdhsa_reserve_vcc 0
		.amdhsa_float_round_mode_32 0
		.amdhsa_float_round_mode_16_64 0
		.amdhsa_float_denorm_mode_32 3
		.amdhsa_float_denorm_mode_16_64 3
		.amdhsa_dx10_clamp 1
		.amdhsa_ieee_mode 1
		.amdhsa_fp16_overflow 0
		.amdhsa_tg_split 0
		.amdhsa_exception_fp_ieee_invalid_op 0
		.amdhsa_exception_fp_denorm_src 0
		.amdhsa_exception_fp_ieee_div_zero 0
		.amdhsa_exception_fp_ieee_overflow 0
		.amdhsa_exception_fp_ieee_underflow 0
		.amdhsa_exception_fp_ieee_inexact 0
		.amdhsa_exception_int_div_zero 0
	.end_amdhsa_kernel
	.section	.text._ZN7rocprim17ROCPRIM_400000_NS6detail17trampoline_kernelINS0_14default_configENS1_38merge_sort_block_merge_config_selectorIjNS0_10empty_typeEEEZZNS1_27merge_sort_block_merge_implIS3_N6thrust23THRUST_200600_302600_NS6detail15normal_iteratorINS9_10device_ptrIjEEEEPS5_jNS1_19radix_merge_compareILb0ELb0EjNS0_19identity_decomposerEEEEE10hipError_tT0_T1_T2_jT3_P12ihipStream_tbPNSt15iterator_traitsISK_E10value_typeEPNSQ_ISL_E10value_typeEPSM_NS1_7vsmem_tEENKUlT_SK_SL_SM_E_clISE_PjSF_SF_EESJ_SZ_SK_SL_SM_EUlSZ_E1_NS1_11comp_targetILNS1_3genE9ELNS1_11target_archE1100ELNS1_3gpuE3ELNS1_3repE0EEENS1_36merge_oddeven_config_static_selectorELNS0_4arch9wavefront6targetE1EEEvSL_,"axG",@progbits,_ZN7rocprim17ROCPRIM_400000_NS6detail17trampoline_kernelINS0_14default_configENS1_38merge_sort_block_merge_config_selectorIjNS0_10empty_typeEEEZZNS1_27merge_sort_block_merge_implIS3_N6thrust23THRUST_200600_302600_NS6detail15normal_iteratorINS9_10device_ptrIjEEEEPS5_jNS1_19radix_merge_compareILb0ELb0EjNS0_19identity_decomposerEEEEE10hipError_tT0_T1_T2_jT3_P12ihipStream_tbPNSt15iterator_traitsISK_E10value_typeEPNSQ_ISL_E10value_typeEPSM_NS1_7vsmem_tEENKUlT_SK_SL_SM_E_clISE_PjSF_SF_EESJ_SZ_SK_SL_SM_EUlSZ_E1_NS1_11comp_targetILNS1_3genE9ELNS1_11target_archE1100ELNS1_3gpuE3ELNS1_3repE0EEENS1_36merge_oddeven_config_static_selectorELNS0_4arch9wavefront6targetE1EEEvSL_,comdat
.Lfunc_end1015:
	.size	_ZN7rocprim17ROCPRIM_400000_NS6detail17trampoline_kernelINS0_14default_configENS1_38merge_sort_block_merge_config_selectorIjNS0_10empty_typeEEEZZNS1_27merge_sort_block_merge_implIS3_N6thrust23THRUST_200600_302600_NS6detail15normal_iteratorINS9_10device_ptrIjEEEEPS5_jNS1_19radix_merge_compareILb0ELb0EjNS0_19identity_decomposerEEEEE10hipError_tT0_T1_T2_jT3_P12ihipStream_tbPNSt15iterator_traitsISK_E10value_typeEPNSQ_ISL_E10value_typeEPSM_NS1_7vsmem_tEENKUlT_SK_SL_SM_E_clISE_PjSF_SF_EESJ_SZ_SK_SL_SM_EUlSZ_E1_NS1_11comp_targetILNS1_3genE9ELNS1_11target_archE1100ELNS1_3gpuE3ELNS1_3repE0EEENS1_36merge_oddeven_config_static_selectorELNS0_4arch9wavefront6targetE1EEEvSL_, .Lfunc_end1015-_ZN7rocprim17ROCPRIM_400000_NS6detail17trampoline_kernelINS0_14default_configENS1_38merge_sort_block_merge_config_selectorIjNS0_10empty_typeEEEZZNS1_27merge_sort_block_merge_implIS3_N6thrust23THRUST_200600_302600_NS6detail15normal_iteratorINS9_10device_ptrIjEEEEPS5_jNS1_19radix_merge_compareILb0ELb0EjNS0_19identity_decomposerEEEEE10hipError_tT0_T1_T2_jT3_P12ihipStream_tbPNSt15iterator_traitsISK_E10value_typeEPNSQ_ISL_E10value_typeEPSM_NS1_7vsmem_tEENKUlT_SK_SL_SM_E_clISE_PjSF_SF_EESJ_SZ_SK_SL_SM_EUlSZ_E1_NS1_11comp_targetILNS1_3genE9ELNS1_11target_archE1100ELNS1_3gpuE3ELNS1_3repE0EEENS1_36merge_oddeven_config_static_selectorELNS0_4arch9wavefront6targetE1EEEvSL_
                                        ; -- End function
	.section	.AMDGPU.csdata,"",@progbits
; Kernel info:
; codeLenInByte = 0
; NumSgprs: 6
; NumVgprs: 0
; NumAgprs: 0
; TotalNumVgprs: 0
; ScratchSize: 0
; MemoryBound: 0
; FloatMode: 240
; IeeeMode: 1
; LDSByteSize: 0 bytes/workgroup (compile time only)
; SGPRBlocks: 0
; VGPRBlocks: 0
; NumSGPRsForWavesPerEU: 6
; NumVGPRsForWavesPerEU: 1
; AccumOffset: 4
; Occupancy: 8
; WaveLimiterHint : 0
; COMPUTE_PGM_RSRC2:SCRATCH_EN: 0
; COMPUTE_PGM_RSRC2:USER_SGPR: 2
; COMPUTE_PGM_RSRC2:TRAP_HANDLER: 0
; COMPUTE_PGM_RSRC2:TGID_X_EN: 1
; COMPUTE_PGM_RSRC2:TGID_Y_EN: 0
; COMPUTE_PGM_RSRC2:TGID_Z_EN: 0
; COMPUTE_PGM_RSRC2:TIDIG_COMP_CNT: 0
; COMPUTE_PGM_RSRC3_GFX90A:ACCUM_OFFSET: 0
; COMPUTE_PGM_RSRC3_GFX90A:TG_SPLIT: 0
	.section	.text._ZN7rocprim17ROCPRIM_400000_NS6detail17trampoline_kernelINS0_14default_configENS1_38merge_sort_block_merge_config_selectorIjNS0_10empty_typeEEEZZNS1_27merge_sort_block_merge_implIS3_N6thrust23THRUST_200600_302600_NS6detail15normal_iteratorINS9_10device_ptrIjEEEEPS5_jNS1_19radix_merge_compareILb0ELb0EjNS0_19identity_decomposerEEEEE10hipError_tT0_T1_T2_jT3_P12ihipStream_tbPNSt15iterator_traitsISK_E10value_typeEPNSQ_ISL_E10value_typeEPSM_NS1_7vsmem_tEENKUlT_SK_SL_SM_E_clISE_PjSF_SF_EESJ_SZ_SK_SL_SM_EUlSZ_E1_NS1_11comp_targetILNS1_3genE8ELNS1_11target_archE1030ELNS1_3gpuE2ELNS1_3repE0EEENS1_36merge_oddeven_config_static_selectorELNS0_4arch9wavefront6targetE1EEEvSL_,"axG",@progbits,_ZN7rocprim17ROCPRIM_400000_NS6detail17trampoline_kernelINS0_14default_configENS1_38merge_sort_block_merge_config_selectorIjNS0_10empty_typeEEEZZNS1_27merge_sort_block_merge_implIS3_N6thrust23THRUST_200600_302600_NS6detail15normal_iteratorINS9_10device_ptrIjEEEEPS5_jNS1_19radix_merge_compareILb0ELb0EjNS0_19identity_decomposerEEEEE10hipError_tT0_T1_T2_jT3_P12ihipStream_tbPNSt15iterator_traitsISK_E10value_typeEPNSQ_ISL_E10value_typeEPSM_NS1_7vsmem_tEENKUlT_SK_SL_SM_E_clISE_PjSF_SF_EESJ_SZ_SK_SL_SM_EUlSZ_E1_NS1_11comp_targetILNS1_3genE8ELNS1_11target_archE1030ELNS1_3gpuE2ELNS1_3repE0EEENS1_36merge_oddeven_config_static_selectorELNS0_4arch9wavefront6targetE1EEEvSL_,comdat
	.protected	_ZN7rocprim17ROCPRIM_400000_NS6detail17trampoline_kernelINS0_14default_configENS1_38merge_sort_block_merge_config_selectorIjNS0_10empty_typeEEEZZNS1_27merge_sort_block_merge_implIS3_N6thrust23THRUST_200600_302600_NS6detail15normal_iteratorINS9_10device_ptrIjEEEEPS5_jNS1_19radix_merge_compareILb0ELb0EjNS0_19identity_decomposerEEEEE10hipError_tT0_T1_T2_jT3_P12ihipStream_tbPNSt15iterator_traitsISK_E10value_typeEPNSQ_ISL_E10value_typeEPSM_NS1_7vsmem_tEENKUlT_SK_SL_SM_E_clISE_PjSF_SF_EESJ_SZ_SK_SL_SM_EUlSZ_E1_NS1_11comp_targetILNS1_3genE8ELNS1_11target_archE1030ELNS1_3gpuE2ELNS1_3repE0EEENS1_36merge_oddeven_config_static_selectorELNS0_4arch9wavefront6targetE1EEEvSL_ ; -- Begin function _ZN7rocprim17ROCPRIM_400000_NS6detail17trampoline_kernelINS0_14default_configENS1_38merge_sort_block_merge_config_selectorIjNS0_10empty_typeEEEZZNS1_27merge_sort_block_merge_implIS3_N6thrust23THRUST_200600_302600_NS6detail15normal_iteratorINS9_10device_ptrIjEEEEPS5_jNS1_19radix_merge_compareILb0ELb0EjNS0_19identity_decomposerEEEEE10hipError_tT0_T1_T2_jT3_P12ihipStream_tbPNSt15iterator_traitsISK_E10value_typeEPNSQ_ISL_E10value_typeEPSM_NS1_7vsmem_tEENKUlT_SK_SL_SM_E_clISE_PjSF_SF_EESJ_SZ_SK_SL_SM_EUlSZ_E1_NS1_11comp_targetILNS1_3genE8ELNS1_11target_archE1030ELNS1_3gpuE2ELNS1_3repE0EEENS1_36merge_oddeven_config_static_selectorELNS0_4arch9wavefront6targetE1EEEvSL_
	.globl	_ZN7rocprim17ROCPRIM_400000_NS6detail17trampoline_kernelINS0_14default_configENS1_38merge_sort_block_merge_config_selectorIjNS0_10empty_typeEEEZZNS1_27merge_sort_block_merge_implIS3_N6thrust23THRUST_200600_302600_NS6detail15normal_iteratorINS9_10device_ptrIjEEEEPS5_jNS1_19radix_merge_compareILb0ELb0EjNS0_19identity_decomposerEEEEE10hipError_tT0_T1_T2_jT3_P12ihipStream_tbPNSt15iterator_traitsISK_E10value_typeEPNSQ_ISL_E10value_typeEPSM_NS1_7vsmem_tEENKUlT_SK_SL_SM_E_clISE_PjSF_SF_EESJ_SZ_SK_SL_SM_EUlSZ_E1_NS1_11comp_targetILNS1_3genE8ELNS1_11target_archE1030ELNS1_3gpuE2ELNS1_3repE0EEENS1_36merge_oddeven_config_static_selectorELNS0_4arch9wavefront6targetE1EEEvSL_
	.p2align	8
	.type	_ZN7rocprim17ROCPRIM_400000_NS6detail17trampoline_kernelINS0_14default_configENS1_38merge_sort_block_merge_config_selectorIjNS0_10empty_typeEEEZZNS1_27merge_sort_block_merge_implIS3_N6thrust23THRUST_200600_302600_NS6detail15normal_iteratorINS9_10device_ptrIjEEEEPS5_jNS1_19radix_merge_compareILb0ELb0EjNS0_19identity_decomposerEEEEE10hipError_tT0_T1_T2_jT3_P12ihipStream_tbPNSt15iterator_traitsISK_E10value_typeEPNSQ_ISL_E10value_typeEPSM_NS1_7vsmem_tEENKUlT_SK_SL_SM_E_clISE_PjSF_SF_EESJ_SZ_SK_SL_SM_EUlSZ_E1_NS1_11comp_targetILNS1_3genE8ELNS1_11target_archE1030ELNS1_3gpuE2ELNS1_3repE0EEENS1_36merge_oddeven_config_static_selectorELNS0_4arch9wavefront6targetE1EEEvSL_,@function
_ZN7rocprim17ROCPRIM_400000_NS6detail17trampoline_kernelINS0_14default_configENS1_38merge_sort_block_merge_config_selectorIjNS0_10empty_typeEEEZZNS1_27merge_sort_block_merge_implIS3_N6thrust23THRUST_200600_302600_NS6detail15normal_iteratorINS9_10device_ptrIjEEEEPS5_jNS1_19radix_merge_compareILb0ELb0EjNS0_19identity_decomposerEEEEE10hipError_tT0_T1_T2_jT3_P12ihipStream_tbPNSt15iterator_traitsISK_E10value_typeEPNSQ_ISL_E10value_typeEPSM_NS1_7vsmem_tEENKUlT_SK_SL_SM_E_clISE_PjSF_SF_EESJ_SZ_SK_SL_SM_EUlSZ_E1_NS1_11comp_targetILNS1_3genE8ELNS1_11target_archE1030ELNS1_3gpuE2ELNS1_3repE0EEENS1_36merge_oddeven_config_static_selectorELNS0_4arch9wavefront6targetE1EEEvSL_: ; @_ZN7rocprim17ROCPRIM_400000_NS6detail17trampoline_kernelINS0_14default_configENS1_38merge_sort_block_merge_config_selectorIjNS0_10empty_typeEEEZZNS1_27merge_sort_block_merge_implIS3_N6thrust23THRUST_200600_302600_NS6detail15normal_iteratorINS9_10device_ptrIjEEEEPS5_jNS1_19radix_merge_compareILb0ELb0EjNS0_19identity_decomposerEEEEE10hipError_tT0_T1_T2_jT3_P12ihipStream_tbPNSt15iterator_traitsISK_E10value_typeEPNSQ_ISL_E10value_typeEPSM_NS1_7vsmem_tEENKUlT_SK_SL_SM_E_clISE_PjSF_SF_EESJ_SZ_SK_SL_SM_EUlSZ_E1_NS1_11comp_targetILNS1_3genE8ELNS1_11target_archE1030ELNS1_3gpuE2ELNS1_3repE0EEENS1_36merge_oddeven_config_static_selectorELNS0_4arch9wavefront6targetE1EEEvSL_
; %bb.0:
	.section	.rodata,"a",@progbits
	.p2align	6, 0x0
	.amdhsa_kernel _ZN7rocprim17ROCPRIM_400000_NS6detail17trampoline_kernelINS0_14default_configENS1_38merge_sort_block_merge_config_selectorIjNS0_10empty_typeEEEZZNS1_27merge_sort_block_merge_implIS3_N6thrust23THRUST_200600_302600_NS6detail15normal_iteratorINS9_10device_ptrIjEEEEPS5_jNS1_19radix_merge_compareILb0ELb0EjNS0_19identity_decomposerEEEEE10hipError_tT0_T1_T2_jT3_P12ihipStream_tbPNSt15iterator_traitsISK_E10value_typeEPNSQ_ISL_E10value_typeEPSM_NS1_7vsmem_tEENKUlT_SK_SL_SM_E_clISE_PjSF_SF_EESJ_SZ_SK_SL_SM_EUlSZ_E1_NS1_11comp_targetILNS1_3genE8ELNS1_11target_archE1030ELNS1_3gpuE2ELNS1_3repE0EEENS1_36merge_oddeven_config_static_selectorELNS0_4arch9wavefront6targetE1EEEvSL_
		.amdhsa_group_segment_fixed_size 0
		.amdhsa_private_segment_fixed_size 0
		.amdhsa_kernarg_size 48
		.amdhsa_user_sgpr_count 2
		.amdhsa_user_sgpr_dispatch_ptr 0
		.amdhsa_user_sgpr_queue_ptr 0
		.amdhsa_user_sgpr_kernarg_segment_ptr 1
		.amdhsa_user_sgpr_dispatch_id 0
		.amdhsa_user_sgpr_kernarg_preload_length 0
		.amdhsa_user_sgpr_kernarg_preload_offset 0
		.amdhsa_user_sgpr_private_segment_size 0
		.amdhsa_uses_dynamic_stack 0
		.amdhsa_enable_private_segment 0
		.amdhsa_system_sgpr_workgroup_id_x 1
		.amdhsa_system_sgpr_workgroup_id_y 0
		.amdhsa_system_sgpr_workgroup_id_z 0
		.amdhsa_system_sgpr_workgroup_info 0
		.amdhsa_system_vgpr_workitem_id 0
		.amdhsa_next_free_vgpr 1
		.amdhsa_next_free_sgpr 0
		.amdhsa_accum_offset 4
		.amdhsa_reserve_vcc 0
		.amdhsa_float_round_mode_32 0
		.amdhsa_float_round_mode_16_64 0
		.amdhsa_float_denorm_mode_32 3
		.amdhsa_float_denorm_mode_16_64 3
		.amdhsa_dx10_clamp 1
		.amdhsa_ieee_mode 1
		.amdhsa_fp16_overflow 0
		.amdhsa_tg_split 0
		.amdhsa_exception_fp_ieee_invalid_op 0
		.amdhsa_exception_fp_denorm_src 0
		.amdhsa_exception_fp_ieee_div_zero 0
		.amdhsa_exception_fp_ieee_overflow 0
		.amdhsa_exception_fp_ieee_underflow 0
		.amdhsa_exception_fp_ieee_inexact 0
		.amdhsa_exception_int_div_zero 0
	.end_amdhsa_kernel
	.section	.text._ZN7rocprim17ROCPRIM_400000_NS6detail17trampoline_kernelINS0_14default_configENS1_38merge_sort_block_merge_config_selectorIjNS0_10empty_typeEEEZZNS1_27merge_sort_block_merge_implIS3_N6thrust23THRUST_200600_302600_NS6detail15normal_iteratorINS9_10device_ptrIjEEEEPS5_jNS1_19radix_merge_compareILb0ELb0EjNS0_19identity_decomposerEEEEE10hipError_tT0_T1_T2_jT3_P12ihipStream_tbPNSt15iterator_traitsISK_E10value_typeEPNSQ_ISL_E10value_typeEPSM_NS1_7vsmem_tEENKUlT_SK_SL_SM_E_clISE_PjSF_SF_EESJ_SZ_SK_SL_SM_EUlSZ_E1_NS1_11comp_targetILNS1_3genE8ELNS1_11target_archE1030ELNS1_3gpuE2ELNS1_3repE0EEENS1_36merge_oddeven_config_static_selectorELNS0_4arch9wavefront6targetE1EEEvSL_,"axG",@progbits,_ZN7rocprim17ROCPRIM_400000_NS6detail17trampoline_kernelINS0_14default_configENS1_38merge_sort_block_merge_config_selectorIjNS0_10empty_typeEEEZZNS1_27merge_sort_block_merge_implIS3_N6thrust23THRUST_200600_302600_NS6detail15normal_iteratorINS9_10device_ptrIjEEEEPS5_jNS1_19radix_merge_compareILb0ELb0EjNS0_19identity_decomposerEEEEE10hipError_tT0_T1_T2_jT3_P12ihipStream_tbPNSt15iterator_traitsISK_E10value_typeEPNSQ_ISL_E10value_typeEPSM_NS1_7vsmem_tEENKUlT_SK_SL_SM_E_clISE_PjSF_SF_EESJ_SZ_SK_SL_SM_EUlSZ_E1_NS1_11comp_targetILNS1_3genE8ELNS1_11target_archE1030ELNS1_3gpuE2ELNS1_3repE0EEENS1_36merge_oddeven_config_static_selectorELNS0_4arch9wavefront6targetE1EEEvSL_,comdat
.Lfunc_end1016:
	.size	_ZN7rocprim17ROCPRIM_400000_NS6detail17trampoline_kernelINS0_14default_configENS1_38merge_sort_block_merge_config_selectorIjNS0_10empty_typeEEEZZNS1_27merge_sort_block_merge_implIS3_N6thrust23THRUST_200600_302600_NS6detail15normal_iteratorINS9_10device_ptrIjEEEEPS5_jNS1_19radix_merge_compareILb0ELb0EjNS0_19identity_decomposerEEEEE10hipError_tT0_T1_T2_jT3_P12ihipStream_tbPNSt15iterator_traitsISK_E10value_typeEPNSQ_ISL_E10value_typeEPSM_NS1_7vsmem_tEENKUlT_SK_SL_SM_E_clISE_PjSF_SF_EESJ_SZ_SK_SL_SM_EUlSZ_E1_NS1_11comp_targetILNS1_3genE8ELNS1_11target_archE1030ELNS1_3gpuE2ELNS1_3repE0EEENS1_36merge_oddeven_config_static_selectorELNS0_4arch9wavefront6targetE1EEEvSL_, .Lfunc_end1016-_ZN7rocprim17ROCPRIM_400000_NS6detail17trampoline_kernelINS0_14default_configENS1_38merge_sort_block_merge_config_selectorIjNS0_10empty_typeEEEZZNS1_27merge_sort_block_merge_implIS3_N6thrust23THRUST_200600_302600_NS6detail15normal_iteratorINS9_10device_ptrIjEEEEPS5_jNS1_19radix_merge_compareILb0ELb0EjNS0_19identity_decomposerEEEEE10hipError_tT0_T1_T2_jT3_P12ihipStream_tbPNSt15iterator_traitsISK_E10value_typeEPNSQ_ISL_E10value_typeEPSM_NS1_7vsmem_tEENKUlT_SK_SL_SM_E_clISE_PjSF_SF_EESJ_SZ_SK_SL_SM_EUlSZ_E1_NS1_11comp_targetILNS1_3genE8ELNS1_11target_archE1030ELNS1_3gpuE2ELNS1_3repE0EEENS1_36merge_oddeven_config_static_selectorELNS0_4arch9wavefront6targetE1EEEvSL_
                                        ; -- End function
	.section	.AMDGPU.csdata,"",@progbits
; Kernel info:
; codeLenInByte = 0
; NumSgprs: 6
; NumVgprs: 0
; NumAgprs: 0
; TotalNumVgprs: 0
; ScratchSize: 0
; MemoryBound: 0
; FloatMode: 240
; IeeeMode: 1
; LDSByteSize: 0 bytes/workgroup (compile time only)
; SGPRBlocks: 0
; VGPRBlocks: 0
; NumSGPRsForWavesPerEU: 6
; NumVGPRsForWavesPerEU: 1
; AccumOffset: 4
; Occupancy: 8
; WaveLimiterHint : 0
; COMPUTE_PGM_RSRC2:SCRATCH_EN: 0
; COMPUTE_PGM_RSRC2:USER_SGPR: 2
; COMPUTE_PGM_RSRC2:TRAP_HANDLER: 0
; COMPUTE_PGM_RSRC2:TGID_X_EN: 1
; COMPUTE_PGM_RSRC2:TGID_Y_EN: 0
; COMPUTE_PGM_RSRC2:TGID_Z_EN: 0
; COMPUTE_PGM_RSRC2:TIDIG_COMP_CNT: 0
; COMPUTE_PGM_RSRC3_GFX90A:ACCUM_OFFSET: 0
; COMPUTE_PGM_RSRC3_GFX90A:TG_SPLIT: 0
	.section	.text._ZN7rocprim17ROCPRIM_400000_NS6detail17trampoline_kernelINS0_14default_configENS1_25transform_config_selectorIjLb0EEEZNS1_14transform_implILb0ES3_S5_PjN6thrust23THRUST_200600_302600_NS6detail15normal_iteratorINS9_10device_ptrIjEEEENS0_8identityIjEEEE10hipError_tT2_T3_mT4_P12ihipStream_tbEUlT_E_NS1_11comp_targetILNS1_3genE0ELNS1_11target_archE4294967295ELNS1_3gpuE0ELNS1_3repE0EEENS1_30default_config_static_selectorELNS0_4arch9wavefront6targetE1EEEvT1_,"axG",@progbits,_ZN7rocprim17ROCPRIM_400000_NS6detail17trampoline_kernelINS0_14default_configENS1_25transform_config_selectorIjLb0EEEZNS1_14transform_implILb0ES3_S5_PjN6thrust23THRUST_200600_302600_NS6detail15normal_iteratorINS9_10device_ptrIjEEEENS0_8identityIjEEEE10hipError_tT2_T3_mT4_P12ihipStream_tbEUlT_E_NS1_11comp_targetILNS1_3genE0ELNS1_11target_archE4294967295ELNS1_3gpuE0ELNS1_3repE0EEENS1_30default_config_static_selectorELNS0_4arch9wavefront6targetE1EEEvT1_,comdat
	.protected	_ZN7rocprim17ROCPRIM_400000_NS6detail17trampoline_kernelINS0_14default_configENS1_25transform_config_selectorIjLb0EEEZNS1_14transform_implILb0ES3_S5_PjN6thrust23THRUST_200600_302600_NS6detail15normal_iteratorINS9_10device_ptrIjEEEENS0_8identityIjEEEE10hipError_tT2_T3_mT4_P12ihipStream_tbEUlT_E_NS1_11comp_targetILNS1_3genE0ELNS1_11target_archE4294967295ELNS1_3gpuE0ELNS1_3repE0EEENS1_30default_config_static_selectorELNS0_4arch9wavefront6targetE1EEEvT1_ ; -- Begin function _ZN7rocprim17ROCPRIM_400000_NS6detail17trampoline_kernelINS0_14default_configENS1_25transform_config_selectorIjLb0EEEZNS1_14transform_implILb0ES3_S5_PjN6thrust23THRUST_200600_302600_NS6detail15normal_iteratorINS9_10device_ptrIjEEEENS0_8identityIjEEEE10hipError_tT2_T3_mT4_P12ihipStream_tbEUlT_E_NS1_11comp_targetILNS1_3genE0ELNS1_11target_archE4294967295ELNS1_3gpuE0ELNS1_3repE0EEENS1_30default_config_static_selectorELNS0_4arch9wavefront6targetE1EEEvT1_
	.globl	_ZN7rocprim17ROCPRIM_400000_NS6detail17trampoline_kernelINS0_14default_configENS1_25transform_config_selectorIjLb0EEEZNS1_14transform_implILb0ES3_S5_PjN6thrust23THRUST_200600_302600_NS6detail15normal_iteratorINS9_10device_ptrIjEEEENS0_8identityIjEEEE10hipError_tT2_T3_mT4_P12ihipStream_tbEUlT_E_NS1_11comp_targetILNS1_3genE0ELNS1_11target_archE4294967295ELNS1_3gpuE0ELNS1_3repE0EEENS1_30default_config_static_selectorELNS0_4arch9wavefront6targetE1EEEvT1_
	.p2align	8
	.type	_ZN7rocprim17ROCPRIM_400000_NS6detail17trampoline_kernelINS0_14default_configENS1_25transform_config_selectorIjLb0EEEZNS1_14transform_implILb0ES3_S5_PjN6thrust23THRUST_200600_302600_NS6detail15normal_iteratorINS9_10device_ptrIjEEEENS0_8identityIjEEEE10hipError_tT2_T3_mT4_P12ihipStream_tbEUlT_E_NS1_11comp_targetILNS1_3genE0ELNS1_11target_archE4294967295ELNS1_3gpuE0ELNS1_3repE0EEENS1_30default_config_static_selectorELNS0_4arch9wavefront6targetE1EEEvT1_,@function
_ZN7rocprim17ROCPRIM_400000_NS6detail17trampoline_kernelINS0_14default_configENS1_25transform_config_selectorIjLb0EEEZNS1_14transform_implILb0ES3_S5_PjN6thrust23THRUST_200600_302600_NS6detail15normal_iteratorINS9_10device_ptrIjEEEENS0_8identityIjEEEE10hipError_tT2_T3_mT4_P12ihipStream_tbEUlT_E_NS1_11comp_targetILNS1_3genE0ELNS1_11target_archE4294967295ELNS1_3gpuE0ELNS1_3repE0EEENS1_30default_config_static_selectorELNS0_4arch9wavefront6targetE1EEEvT1_: ; @_ZN7rocprim17ROCPRIM_400000_NS6detail17trampoline_kernelINS0_14default_configENS1_25transform_config_selectorIjLb0EEEZNS1_14transform_implILb0ES3_S5_PjN6thrust23THRUST_200600_302600_NS6detail15normal_iteratorINS9_10device_ptrIjEEEENS0_8identityIjEEEE10hipError_tT2_T3_mT4_P12ihipStream_tbEUlT_E_NS1_11comp_targetILNS1_3genE0ELNS1_11target_archE4294967295ELNS1_3gpuE0ELNS1_3repE0EEENS1_30default_config_static_selectorELNS0_4arch9wavefront6targetE1EEEvT1_
; %bb.0:
	.section	.rodata,"a",@progbits
	.p2align	6, 0x0
	.amdhsa_kernel _ZN7rocprim17ROCPRIM_400000_NS6detail17trampoline_kernelINS0_14default_configENS1_25transform_config_selectorIjLb0EEEZNS1_14transform_implILb0ES3_S5_PjN6thrust23THRUST_200600_302600_NS6detail15normal_iteratorINS9_10device_ptrIjEEEENS0_8identityIjEEEE10hipError_tT2_T3_mT4_P12ihipStream_tbEUlT_E_NS1_11comp_targetILNS1_3genE0ELNS1_11target_archE4294967295ELNS1_3gpuE0ELNS1_3repE0EEENS1_30default_config_static_selectorELNS0_4arch9wavefront6targetE1EEEvT1_
		.amdhsa_group_segment_fixed_size 0
		.amdhsa_private_segment_fixed_size 0
		.amdhsa_kernarg_size 40
		.amdhsa_user_sgpr_count 2
		.amdhsa_user_sgpr_dispatch_ptr 0
		.amdhsa_user_sgpr_queue_ptr 0
		.amdhsa_user_sgpr_kernarg_segment_ptr 1
		.amdhsa_user_sgpr_dispatch_id 0
		.amdhsa_user_sgpr_kernarg_preload_length 0
		.amdhsa_user_sgpr_kernarg_preload_offset 0
		.amdhsa_user_sgpr_private_segment_size 0
		.amdhsa_uses_dynamic_stack 0
		.amdhsa_enable_private_segment 0
		.amdhsa_system_sgpr_workgroup_id_x 1
		.amdhsa_system_sgpr_workgroup_id_y 0
		.amdhsa_system_sgpr_workgroup_id_z 0
		.amdhsa_system_sgpr_workgroup_info 0
		.amdhsa_system_vgpr_workitem_id 0
		.amdhsa_next_free_vgpr 1
		.amdhsa_next_free_sgpr 0
		.amdhsa_accum_offset 4
		.amdhsa_reserve_vcc 0
		.amdhsa_float_round_mode_32 0
		.amdhsa_float_round_mode_16_64 0
		.amdhsa_float_denorm_mode_32 3
		.amdhsa_float_denorm_mode_16_64 3
		.amdhsa_dx10_clamp 1
		.amdhsa_ieee_mode 1
		.amdhsa_fp16_overflow 0
		.amdhsa_tg_split 0
		.amdhsa_exception_fp_ieee_invalid_op 0
		.amdhsa_exception_fp_denorm_src 0
		.amdhsa_exception_fp_ieee_div_zero 0
		.amdhsa_exception_fp_ieee_overflow 0
		.amdhsa_exception_fp_ieee_underflow 0
		.amdhsa_exception_fp_ieee_inexact 0
		.amdhsa_exception_int_div_zero 0
	.end_amdhsa_kernel
	.section	.text._ZN7rocprim17ROCPRIM_400000_NS6detail17trampoline_kernelINS0_14default_configENS1_25transform_config_selectorIjLb0EEEZNS1_14transform_implILb0ES3_S5_PjN6thrust23THRUST_200600_302600_NS6detail15normal_iteratorINS9_10device_ptrIjEEEENS0_8identityIjEEEE10hipError_tT2_T3_mT4_P12ihipStream_tbEUlT_E_NS1_11comp_targetILNS1_3genE0ELNS1_11target_archE4294967295ELNS1_3gpuE0ELNS1_3repE0EEENS1_30default_config_static_selectorELNS0_4arch9wavefront6targetE1EEEvT1_,"axG",@progbits,_ZN7rocprim17ROCPRIM_400000_NS6detail17trampoline_kernelINS0_14default_configENS1_25transform_config_selectorIjLb0EEEZNS1_14transform_implILb0ES3_S5_PjN6thrust23THRUST_200600_302600_NS6detail15normal_iteratorINS9_10device_ptrIjEEEENS0_8identityIjEEEE10hipError_tT2_T3_mT4_P12ihipStream_tbEUlT_E_NS1_11comp_targetILNS1_3genE0ELNS1_11target_archE4294967295ELNS1_3gpuE0ELNS1_3repE0EEENS1_30default_config_static_selectorELNS0_4arch9wavefront6targetE1EEEvT1_,comdat
.Lfunc_end1017:
	.size	_ZN7rocprim17ROCPRIM_400000_NS6detail17trampoline_kernelINS0_14default_configENS1_25transform_config_selectorIjLb0EEEZNS1_14transform_implILb0ES3_S5_PjN6thrust23THRUST_200600_302600_NS6detail15normal_iteratorINS9_10device_ptrIjEEEENS0_8identityIjEEEE10hipError_tT2_T3_mT4_P12ihipStream_tbEUlT_E_NS1_11comp_targetILNS1_3genE0ELNS1_11target_archE4294967295ELNS1_3gpuE0ELNS1_3repE0EEENS1_30default_config_static_selectorELNS0_4arch9wavefront6targetE1EEEvT1_, .Lfunc_end1017-_ZN7rocprim17ROCPRIM_400000_NS6detail17trampoline_kernelINS0_14default_configENS1_25transform_config_selectorIjLb0EEEZNS1_14transform_implILb0ES3_S5_PjN6thrust23THRUST_200600_302600_NS6detail15normal_iteratorINS9_10device_ptrIjEEEENS0_8identityIjEEEE10hipError_tT2_T3_mT4_P12ihipStream_tbEUlT_E_NS1_11comp_targetILNS1_3genE0ELNS1_11target_archE4294967295ELNS1_3gpuE0ELNS1_3repE0EEENS1_30default_config_static_selectorELNS0_4arch9wavefront6targetE1EEEvT1_
                                        ; -- End function
	.section	.AMDGPU.csdata,"",@progbits
; Kernel info:
; codeLenInByte = 0
; NumSgprs: 6
; NumVgprs: 0
; NumAgprs: 0
; TotalNumVgprs: 0
; ScratchSize: 0
; MemoryBound: 0
; FloatMode: 240
; IeeeMode: 1
; LDSByteSize: 0 bytes/workgroup (compile time only)
; SGPRBlocks: 0
; VGPRBlocks: 0
; NumSGPRsForWavesPerEU: 6
; NumVGPRsForWavesPerEU: 1
; AccumOffset: 4
; Occupancy: 8
; WaveLimiterHint : 0
; COMPUTE_PGM_RSRC2:SCRATCH_EN: 0
; COMPUTE_PGM_RSRC2:USER_SGPR: 2
; COMPUTE_PGM_RSRC2:TRAP_HANDLER: 0
; COMPUTE_PGM_RSRC2:TGID_X_EN: 1
; COMPUTE_PGM_RSRC2:TGID_Y_EN: 0
; COMPUTE_PGM_RSRC2:TGID_Z_EN: 0
; COMPUTE_PGM_RSRC2:TIDIG_COMP_CNT: 0
; COMPUTE_PGM_RSRC3_GFX90A:ACCUM_OFFSET: 0
; COMPUTE_PGM_RSRC3_GFX90A:TG_SPLIT: 0
	.section	.text._ZN7rocprim17ROCPRIM_400000_NS6detail17trampoline_kernelINS0_14default_configENS1_25transform_config_selectorIjLb0EEEZNS1_14transform_implILb0ES3_S5_PjN6thrust23THRUST_200600_302600_NS6detail15normal_iteratorINS9_10device_ptrIjEEEENS0_8identityIjEEEE10hipError_tT2_T3_mT4_P12ihipStream_tbEUlT_E_NS1_11comp_targetILNS1_3genE5ELNS1_11target_archE942ELNS1_3gpuE9ELNS1_3repE0EEENS1_30default_config_static_selectorELNS0_4arch9wavefront6targetE1EEEvT1_,"axG",@progbits,_ZN7rocprim17ROCPRIM_400000_NS6detail17trampoline_kernelINS0_14default_configENS1_25transform_config_selectorIjLb0EEEZNS1_14transform_implILb0ES3_S5_PjN6thrust23THRUST_200600_302600_NS6detail15normal_iteratorINS9_10device_ptrIjEEEENS0_8identityIjEEEE10hipError_tT2_T3_mT4_P12ihipStream_tbEUlT_E_NS1_11comp_targetILNS1_3genE5ELNS1_11target_archE942ELNS1_3gpuE9ELNS1_3repE0EEENS1_30default_config_static_selectorELNS0_4arch9wavefront6targetE1EEEvT1_,comdat
	.protected	_ZN7rocprim17ROCPRIM_400000_NS6detail17trampoline_kernelINS0_14default_configENS1_25transform_config_selectorIjLb0EEEZNS1_14transform_implILb0ES3_S5_PjN6thrust23THRUST_200600_302600_NS6detail15normal_iteratorINS9_10device_ptrIjEEEENS0_8identityIjEEEE10hipError_tT2_T3_mT4_P12ihipStream_tbEUlT_E_NS1_11comp_targetILNS1_3genE5ELNS1_11target_archE942ELNS1_3gpuE9ELNS1_3repE0EEENS1_30default_config_static_selectorELNS0_4arch9wavefront6targetE1EEEvT1_ ; -- Begin function _ZN7rocprim17ROCPRIM_400000_NS6detail17trampoline_kernelINS0_14default_configENS1_25transform_config_selectorIjLb0EEEZNS1_14transform_implILb0ES3_S5_PjN6thrust23THRUST_200600_302600_NS6detail15normal_iteratorINS9_10device_ptrIjEEEENS0_8identityIjEEEE10hipError_tT2_T3_mT4_P12ihipStream_tbEUlT_E_NS1_11comp_targetILNS1_3genE5ELNS1_11target_archE942ELNS1_3gpuE9ELNS1_3repE0EEENS1_30default_config_static_selectorELNS0_4arch9wavefront6targetE1EEEvT1_
	.globl	_ZN7rocprim17ROCPRIM_400000_NS6detail17trampoline_kernelINS0_14default_configENS1_25transform_config_selectorIjLb0EEEZNS1_14transform_implILb0ES3_S5_PjN6thrust23THRUST_200600_302600_NS6detail15normal_iteratorINS9_10device_ptrIjEEEENS0_8identityIjEEEE10hipError_tT2_T3_mT4_P12ihipStream_tbEUlT_E_NS1_11comp_targetILNS1_3genE5ELNS1_11target_archE942ELNS1_3gpuE9ELNS1_3repE0EEENS1_30default_config_static_selectorELNS0_4arch9wavefront6targetE1EEEvT1_
	.p2align	8
	.type	_ZN7rocprim17ROCPRIM_400000_NS6detail17trampoline_kernelINS0_14default_configENS1_25transform_config_selectorIjLb0EEEZNS1_14transform_implILb0ES3_S5_PjN6thrust23THRUST_200600_302600_NS6detail15normal_iteratorINS9_10device_ptrIjEEEENS0_8identityIjEEEE10hipError_tT2_T3_mT4_P12ihipStream_tbEUlT_E_NS1_11comp_targetILNS1_3genE5ELNS1_11target_archE942ELNS1_3gpuE9ELNS1_3repE0EEENS1_30default_config_static_selectorELNS0_4arch9wavefront6targetE1EEEvT1_,@function
_ZN7rocprim17ROCPRIM_400000_NS6detail17trampoline_kernelINS0_14default_configENS1_25transform_config_selectorIjLb0EEEZNS1_14transform_implILb0ES3_S5_PjN6thrust23THRUST_200600_302600_NS6detail15normal_iteratorINS9_10device_ptrIjEEEENS0_8identityIjEEEE10hipError_tT2_T3_mT4_P12ihipStream_tbEUlT_E_NS1_11comp_targetILNS1_3genE5ELNS1_11target_archE942ELNS1_3gpuE9ELNS1_3repE0EEENS1_30default_config_static_selectorELNS0_4arch9wavefront6targetE1EEEvT1_: ; @_ZN7rocprim17ROCPRIM_400000_NS6detail17trampoline_kernelINS0_14default_configENS1_25transform_config_selectorIjLb0EEEZNS1_14transform_implILb0ES3_S5_PjN6thrust23THRUST_200600_302600_NS6detail15normal_iteratorINS9_10device_ptrIjEEEENS0_8identityIjEEEE10hipError_tT2_T3_mT4_P12ihipStream_tbEUlT_E_NS1_11comp_targetILNS1_3genE5ELNS1_11target_archE942ELNS1_3gpuE9ELNS1_3repE0EEENS1_30default_config_static_selectorELNS0_4arch9wavefront6targetE1EEEvT1_
; %bb.0:
	s_load_dwordx8 s[4:11], s[0:1], 0x0
	s_load_dword s3, s[0:1], 0x28
	v_lshlrev_b32_e32 v6, 2, v0
	s_waitcnt lgkmcnt(0)
	s_lshl_b64 s[0:1], s[6:7], 2
	s_add_u32 s4, s4, s0
	s_addc_u32 s5, s5, s1
	s_add_u32 s14, s10, s0
	s_addc_u32 s15, s11, s1
	s_lshl_b32 s0, s2, 11
	s_mov_b32 s1, 0
	s_add_i32 s3, s3, -1
	s_lshl_b64 s[10:11], s[0:1], 2
	s_add_u32 s12, s4, s10
	s_addc_u32 s13, s5, s11
	s_cmp_lg_u32 s2, s3
	s_cbranch_scc0 .LBB1018_2
; %bb.1:
	v_mov_b32_e32 v7, 0
	v_lshl_add_u64 v[2:3], s[12:13], 0, v[6:7]
	v_add_co_u32_e32 v2, vcc, 0x1000, v2
	global_load_dword v4, v6, s[12:13]
	global_load_dword v5, v6, s[12:13] offset:2048
	v_addc_co_u32_e32 v3, vcc, 0, v3, vcc
	global_load_dword v10, v[2:3], off
	global_load_dword v1, v[2:3], off offset:2048
	s_add_u32 s4, s14, s10
	s_addc_u32 s5, s15, s11
	v_lshl_add_u64 v[8:9], s[4:5], 0, v[6:7]
	v_add_co_u32_e32 v2, vcc, 0x1000, v8
	s_nop 1
	v_addc_co_u32_e32 v3, vcc, 0, v9, vcc
	s_mov_b64 s[6:7], -1
	s_waitcnt vmcnt(3)
	flat_store_dword v[8:9], v4
	s_waitcnt vmcnt(0)
	flat_store_dword v[8:9], v5 offset:2048
	flat_store_dword v[2:3], v10
	s_cbranch_execz .LBB1018_3
	s_branch .LBB1018_17
.LBB1018_2:
	s_mov_b64 s[6:7], 0
                                        ; implicit-def: $vgpr1
                                        ; implicit-def: $vgpr8_vgpr9
.LBB1018_3:
	s_sub_i32 s8, s8, s0
	v_cmp_gt_u32_e32 vcc, s8, v0
                                        ; implicit-def: $vgpr2_vgpr3_vgpr4_vgpr5
	s_and_saveexec_b64 s[0:1], vcc
	s_cbranch_execz .LBB1018_5
; %bb.4:
	global_load_dword v2, v6, s[12:13]
.LBB1018_5:
	s_or_b64 exec, exec, s[0:1]
	v_or_b32_e32 v1, 0x200, v0
	v_cmp_gt_u32_e64 s[2:3], s8, v1
	s_and_saveexec_b64 s[0:1], s[2:3]
	s_cbranch_execz .LBB1018_7
; %bb.6:
	global_load_dword v3, v6, s[12:13] offset:2048
.LBB1018_7:
	s_or_b64 exec, exec, s[0:1]
	v_or_b32_e32 v1, 0x400, v0
	v_cmp_gt_u32_e64 s[4:5], s8, v1
	s_and_saveexec_b64 s[0:1], s[4:5]
	s_cbranch_execz .LBB1018_9
; %bb.8:
	v_lshlrev_b32_e32 v1, 2, v1
	global_load_dword v4, v1, s[12:13]
.LBB1018_9:
	s_or_b64 exec, exec, s[0:1]
	v_or_b32_e32 v0, 0x600, v0
	v_cmp_gt_u32_e64 s[0:1], s8, v0
	s_and_saveexec_b64 s[8:9], s[0:1]
	s_cbranch_execz .LBB1018_11
; %bb.10:
	v_lshlrev_b32_e32 v0, 2, v0
	global_load_dword v5, v0, s[12:13]
.LBB1018_11:
	s_or_b64 exec, exec, s[8:9]
	s_add_u32 s8, s14, s10
	s_addc_u32 s9, s15, s11
	v_mov_b32_e32 v7, 0
	v_lshl_add_u64 v[8:9], s[8:9], 0, v[6:7]
	s_and_saveexec_b64 s[8:9], vcc
	s_cbranch_execnz .LBB1018_20
; %bb.12:
	s_or_b64 exec, exec, s[8:9]
	s_and_saveexec_b64 s[8:9], s[2:3]
	s_cbranch_execnz .LBB1018_21
.LBB1018_13:
	s_or_b64 exec, exec, s[8:9]
	s_and_saveexec_b64 s[2:3], s[4:5]
	s_cbranch_execnz .LBB1018_22
.LBB1018_14:
	s_or_b64 exec, exec, s[2:3]
                                        ; implicit-def: $vgpr1
	s_and_saveexec_b64 s[2:3], s[0:1]
	s_cbranch_execz .LBB1018_16
.LBB1018_15:
	s_waitcnt vmcnt(0)
	v_cndmask_b32_e64 v1, v5, v5, s[0:1]
	s_or_b64 s[6:7], s[6:7], exec
.LBB1018_16:
	s_or_b64 exec, exec, s[2:3]
.LBB1018_17:
	s_and_saveexec_b64 s[0:1], s[6:7]
	s_cbranch_execnz .LBB1018_19
; %bb.18:
	s_endpgm
.LBB1018_19:
	s_waitcnt vmcnt(0)
	v_add_co_u32_e32 v2, vcc, 0x1000, v8
	s_nop 1
	v_addc_co_u32_e32 v3, vcc, 0, v9, vcc
	flat_store_dword v[2:3], v1 offset:2048
	s_endpgm
.LBB1018_20:
	s_waitcnt vmcnt(0)
	flat_store_dword v[8:9], v2
	s_or_b64 exec, exec, s[8:9]
	s_and_saveexec_b64 s[8:9], s[2:3]
	s_cbranch_execz .LBB1018_13
.LBB1018_21:
	s_waitcnt vmcnt(0)
	flat_store_dword v[8:9], v3 offset:2048
	s_or_b64 exec, exec, s[8:9]
	s_and_saveexec_b64 s[2:3], s[4:5]
	s_cbranch_execz .LBB1018_14
.LBB1018_22:
	v_add_co_u32_e32 v0, vcc, 0x1000, v8
	s_waitcnt vmcnt(0)
	v_cndmask_b32_e64 v2, v4, v4, s[4:5]
	v_addc_co_u32_e32 v1, vcc, 0, v9, vcc
	flat_store_dword v[0:1], v2
	s_or_b64 exec, exec, s[2:3]
                                        ; implicit-def: $vgpr1
	s_and_saveexec_b64 s[2:3], s[0:1]
	s_cbranch_execnz .LBB1018_15
	s_branch .LBB1018_16
	.section	.rodata,"a",@progbits
	.p2align	6, 0x0
	.amdhsa_kernel _ZN7rocprim17ROCPRIM_400000_NS6detail17trampoline_kernelINS0_14default_configENS1_25transform_config_selectorIjLb0EEEZNS1_14transform_implILb0ES3_S5_PjN6thrust23THRUST_200600_302600_NS6detail15normal_iteratorINS9_10device_ptrIjEEEENS0_8identityIjEEEE10hipError_tT2_T3_mT4_P12ihipStream_tbEUlT_E_NS1_11comp_targetILNS1_3genE5ELNS1_11target_archE942ELNS1_3gpuE9ELNS1_3repE0EEENS1_30default_config_static_selectorELNS0_4arch9wavefront6targetE1EEEvT1_
		.amdhsa_group_segment_fixed_size 0
		.amdhsa_private_segment_fixed_size 0
		.amdhsa_kernarg_size 296
		.amdhsa_user_sgpr_count 2
		.amdhsa_user_sgpr_dispatch_ptr 0
		.amdhsa_user_sgpr_queue_ptr 0
		.amdhsa_user_sgpr_kernarg_segment_ptr 1
		.amdhsa_user_sgpr_dispatch_id 0
		.amdhsa_user_sgpr_kernarg_preload_length 0
		.amdhsa_user_sgpr_kernarg_preload_offset 0
		.amdhsa_user_sgpr_private_segment_size 0
		.amdhsa_uses_dynamic_stack 0
		.amdhsa_enable_private_segment 0
		.amdhsa_system_sgpr_workgroup_id_x 1
		.amdhsa_system_sgpr_workgroup_id_y 0
		.amdhsa_system_sgpr_workgroup_id_z 0
		.amdhsa_system_sgpr_workgroup_info 0
		.amdhsa_system_vgpr_workitem_id 0
		.amdhsa_next_free_vgpr 11
		.amdhsa_next_free_sgpr 16
		.amdhsa_accum_offset 12
		.amdhsa_reserve_vcc 1
		.amdhsa_float_round_mode_32 0
		.amdhsa_float_round_mode_16_64 0
		.amdhsa_float_denorm_mode_32 3
		.amdhsa_float_denorm_mode_16_64 3
		.amdhsa_dx10_clamp 1
		.amdhsa_ieee_mode 1
		.amdhsa_fp16_overflow 0
		.amdhsa_tg_split 0
		.amdhsa_exception_fp_ieee_invalid_op 0
		.amdhsa_exception_fp_denorm_src 0
		.amdhsa_exception_fp_ieee_div_zero 0
		.amdhsa_exception_fp_ieee_overflow 0
		.amdhsa_exception_fp_ieee_underflow 0
		.amdhsa_exception_fp_ieee_inexact 0
		.amdhsa_exception_int_div_zero 0
	.end_amdhsa_kernel
	.section	.text._ZN7rocprim17ROCPRIM_400000_NS6detail17trampoline_kernelINS0_14default_configENS1_25transform_config_selectorIjLb0EEEZNS1_14transform_implILb0ES3_S5_PjN6thrust23THRUST_200600_302600_NS6detail15normal_iteratorINS9_10device_ptrIjEEEENS0_8identityIjEEEE10hipError_tT2_T3_mT4_P12ihipStream_tbEUlT_E_NS1_11comp_targetILNS1_3genE5ELNS1_11target_archE942ELNS1_3gpuE9ELNS1_3repE0EEENS1_30default_config_static_selectorELNS0_4arch9wavefront6targetE1EEEvT1_,"axG",@progbits,_ZN7rocprim17ROCPRIM_400000_NS6detail17trampoline_kernelINS0_14default_configENS1_25transform_config_selectorIjLb0EEEZNS1_14transform_implILb0ES3_S5_PjN6thrust23THRUST_200600_302600_NS6detail15normal_iteratorINS9_10device_ptrIjEEEENS0_8identityIjEEEE10hipError_tT2_T3_mT4_P12ihipStream_tbEUlT_E_NS1_11comp_targetILNS1_3genE5ELNS1_11target_archE942ELNS1_3gpuE9ELNS1_3repE0EEENS1_30default_config_static_selectorELNS0_4arch9wavefront6targetE1EEEvT1_,comdat
.Lfunc_end1018:
	.size	_ZN7rocprim17ROCPRIM_400000_NS6detail17trampoline_kernelINS0_14default_configENS1_25transform_config_selectorIjLb0EEEZNS1_14transform_implILb0ES3_S5_PjN6thrust23THRUST_200600_302600_NS6detail15normal_iteratorINS9_10device_ptrIjEEEENS0_8identityIjEEEE10hipError_tT2_T3_mT4_P12ihipStream_tbEUlT_E_NS1_11comp_targetILNS1_3genE5ELNS1_11target_archE942ELNS1_3gpuE9ELNS1_3repE0EEENS1_30default_config_static_selectorELNS0_4arch9wavefront6targetE1EEEvT1_, .Lfunc_end1018-_ZN7rocprim17ROCPRIM_400000_NS6detail17trampoline_kernelINS0_14default_configENS1_25transform_config_selectorIjLb0EEEZNS1_14transform_implILb0ES3_S5_PjN6thrust23THRUST_200600_302600_NS6detail15normal_iteratorINS9_10device_ptrIjEEEENS0_8identityIjEEEE10hipError_tT2_T3_mT4_P12ihipStream_tbEUlT_E_NS1_11comp_targetILNS1_3genE5ELNS1_11target_archE942ELNS1_3gpuE9ELNS1_3repE0EEENS1_30default_config_static_selectorELNS0_4arch9wavefront6targetE1EEEvT1_
                                        ; -- End function
	.section	.AMDGPU.csdata,"",@progbits
; Kernel info:
; codeLenInByte = 580
; NumSgprs: 22
; NumVgprs: 11
; NumAgprs: 0
; TotalNumVgprs: 11
; ScratchSize: 0
; MemoryBound: 0
; FloatMode: 240
; IeeeMode: 1
; LDSByteSize: 0 bytes/workgroup (compile time only)
; SGPRBlocks: 2
; VGPRBlocks: 1
; NumSGPRsForWavesPerEU: 22
; NumVGPRsForWavesPerEU: 11
; AccumOffset: 12
; Occupancy: 8
; WaveLimiterHint : 1
; COMPUTE_PGM_RSRC2:SCRATCH_EN: 0
; COMPUTE_PGM_RSRC2:USER_SGPR: 2
; COMPUTE_PGM_RSRC2:TRAP_HANDLER: 0
; COMPUTE_PGM_RSRC2:TGID_X_EN: 1
; COMPUTE_PGM_RSRC2:TGID_Y_EN: 0
; COMPUTE_PGM_RSRC2:TGID_Z_EN: 0
; COMPUTE_PGM_RSRC2:TIDIG_COMP_CNT: 0
; COMPUTE_PGM_RSRC3_GFX90A:ACCUM_OFFSET: 2
; COMPUTE_PGM_RSRC3_GFX90A:TG_SPLIT: 0
	.section	.text._ZN7rocprim17ROCPRIM_400000_NS6detail17trampoline_kernelINS0_14default_configENS1_25transform_config_selectorIjLb0EEEZNS1_14transform_implILb0ES3_S5_PjN6thrust23THRUST_200600_302600_NS6detail15normal_iteratorINS9_10device_ptrIjEEEENS0_8identityIjEEEE10hipError_tT2_T3_mT4_P12ihipStream_tbEUlT_E_NS1_11comp_targetILNS1_3genE4ELNS1_11target_archE910ELNS1_3gpuE8ELNS1_3repE0EEENS1_30default_config_static_selectorELNS0_4arch9wavefront6targetE1EEEvT1_,"axG",@progbits,_ZN7rocprim17ROCPRIM_400000_NS6detail17trampoline_kernelINS0_14default_configENS1_25transform_config_selectorIjLb0EEEZNS1_14transform_implILb0ES3_S5_PjN6thrust23THRUST_200600_302600_NS6detail15normal_iteratorINS9_10device_ptrIjEEEENS0_8identityIjEEEE10hipError_tT2_T3_mT4_P12ihipStream_tbEUlT_E_NS1_11comp_targetILNS1_3genE4ELNS1_11target_archE910ELNS1_3gpuE8ELNS1_3repE0EEENS1_30default_config_static_selectorELNS0_4arch9wavefront6targetE1EEEvT1_,comdat
	.protected	_ZN7rocprim17ROCPRIM_400000_NS6detail17trampoline_kernelINS0_14default_configENS1_25transform_config_selectorIjLb0EEEZNS1_14transform_implILb0ES3_S5_PjN6thrust23THRUST_200600_302600_NS6detail15normal_iteratorINS9_10device_ptrIjEEEENS0_8identityIjEEEE10hipError_tT2_T3_mT4_P12ihipStream_tbEUlT_E_NS1_11comp_targetILNS1_3genE4ELNS1_11target_archE910ELNS1_3gpuE8ELNS1_3repE0EEENS1_30default_config_static_selectorELNS0_4arch9wavefront6targetE1EEEvT1_ ; -- Begin function _ZN7rocprim17ROCPRIM_400000_NS6detail17trampoline_kernelINS0_14default_configENS1_25transform_config_selectorIjLb0EEEZNS1_14transform_implILb0ES3_S5_PjN6thrust23THRUST_200600_302600_NS6detail15normal_iteratorINS9_10device_ptrIjEEEENS0_8identityIjEEEE10hipError_tT2_T3_mT4_P12ihipStream_tbEUlT_E_NS1_11comp_targetILNS1_3genE4ELNS1_11target_archE910ELNS1_3gpuE8ELNS1_3repE0EEENS1_30default_config_static_selectorELNS0_4arch9wavefront6targetE1EEEvT1_
	.globl	_ZN7rocprim17ROCPRIM_400000_NS6detail17trampoline_kernelINS0_14default_configENS1_25transform_config_selectorIjLb0EEEZNS1_14transform_implILb0ES3_S5_PjN6thrust23THRUST_200600_302600_NS6detail15normal_iteratorINS9_10device_ptrIjEEEENS0_8identityIjEEEE10hipError_tT2_T3_mT4_P12ihipStream_tbEUlT_E_NS1_11comp_targetILNS1_3genE4ELNS1_11target_archE910ELNS1_3gpuE8ELNS1_3repE0EEENS1_30default_config_static_selectorELNS0_4arch9wavefront6targetE1EEEvT1_
	.p2align	8
	.type	_ZN7rocprim17ROCPRIM_400000_NS6detail17trampoline_kernelINS0_14default_configENS1_25transform_config_selectorIjLb0EEEZNS1_14transform_implILb0ES3_S5_PjN6thrust23THRUST_200600_302600_NS6detail15normal_iteratorINS9_10device_ptrIjEEEENS0_8identityIjEEEE10hipError_tT2_T3_mT4_P12ihipStream_tbEUlT_E_NS1_11comp_targetILNS1_3genE4ELNS1_11target_archE910ELNS1_3gpuE8ELNS1_3repE0EEENS1_30default_config_static_selectorELNS0_4arch9wavefront6targetE1EEEvT1_,@function
_ZN7rocprim17ROCPRIM_400000_NS6detail17trampoline_kernelINS0_14default_configENS1_25transform_config_selectorIjLb0EEEZNS1_14transform_implILb0ES3_S5_PjN6thrust23THRUST_200600_302600_NS6detail15normal_iteratorINS9_10device_ptrIjEEEENS0_8identityIjEEEE10hipError_tT2_T3_mT4_P12ihipStream_tbEUlT_E_NS1_11comp_targetILNS1_3genE4ELNS1_11target_archE910ELNS1_3gpuE8ELNS1_3repE0EEENS1_30default_config_static_selectorELNS0_4arch9wavefront6targetE1EEEvT1_: ; @_ZN7rocprim17ROCPRIM_400000_NS6detail17trampoline_kernelINS0_14default_configENS1_25transform_config_selectorIjLb0EEEZNS1_14transform_implILb0ES3_S5_PjN6thrust23THRUST_200600_302600_NS6detail15normal_iteratorINS9_10device_ptrIjEEEENS0_8identityIjEEEE10hipError_tT2_T3_mT4_P12ihipStream_tbEUlT_E_NS1_11comp_targetILNS1_3genE4ELNS1_11target_archE910ELNS1_3gpuE8ELNS1_3repE0EEENS1_30default_config_static_selectorELNS0_4arch9wavefront6targetE1EEEvT1_
; %bb.0:
	.section	.rodata,"a",@progbits
	.p2align	6, 0x0
	.amdhsa_kernel _ZN7rocprim17ROCPRIM_400000_NS6detail17trampoline_kernelINS0_14default_configENS1_25transform_config_selectorIjLb0EEEZNS1_14transform_implILb0ES3_S5_PjN6thrust23THRUST_200600_302600_NS6detail15normal_iteratorINS9_10device_ptrIjEEEENS0_8identityIjEEEE10hipError_tT2_T3_mT4_P12ihipStream_tbEUlT_E_NS1_11comp_targetILNS1_3genE4ELNS1_11target_archE910ELNS1_3gpuE8ELNS1_3repE0EEENS1_30default_config_static_selectorELNS0_4arch9wavefront6targetE1EEEvT1_
		.amdhsa_group_segment_fixed_size 0
		.amdhsa_private_segment_fixed_size 0
		.amdhsa_kernarg_size 40
		.amdhsa_user_sgpr_count 2
		.amdhsa_user_sgpr_dispatch_ptr 0
		.amdhsa_user_sgpr_queue_ptr 0
		.amdhsa_user_sgpr_kernarg_segment_ptr 1
		.amdhsa_user_sgpr_dispatch_id 0
		.amdhsa_user_sgpr_kernarg_preload_length 0
		.amdhsa_user_sgpr_kernarg_preload_offset 0
		.amdhsa_user_sgpr_private_segment_size 0
		.amdhsa_uses_dynamic_stack 0
		.amdhsa_enable_private_segment 0
		.amdhsa_system_sgpr_workgroup_id_x 1
		.amdhsa_system_sgpr_workgroup_id_y 0
		.amdhsa_system_sgpr_workgroup_id_z 0
		.amdhsa_system_sgpr_workgroup_info 0
		.amdhsa_system_vgpr_workitem_id 0
		.amdhsa_next_free_vgpr 1
		.amdhsa_next_free_sgpr 0
		.amdhsa_accum_offset 4
		.amdhsa_reserve_vcc 0
		.amdhsa_float_round_mode_32 0
		.amdhsa_float_round_mode_16_64 0
		.amdhsa_float_denorm_mode_32 3
		.amdhsa_float_denorm_mode_16_64 3
		.amdhsa_dx10_clamp 1
		.amdhsa_ieee_mode 1
		.amdhsa_fp16_overflow 0
		.amdhsa_tg_split 0
		.amdhsa_exception_fp_ieee_invalid_op 0
		.amdhsa_exception_fp_denorm_src 0
		.amdhsa_exception_fp_ieee_div_zero 0
		.amdhsa_exception_fp_ieee_overflow 0
		.amdhsa_exception_fp_ieee_underflow 0
		.amdhsa_exception_fp_ieee_inexact 0
		.amdhsa_exception_int_div_zero 0
	.end_amdhsa_kernel
	.section	.text._ZN7rocprim17ROCPRIM_400000_NS6detail17trampoline_kernelINS0_14default_configENS1_25transform_config_selectorIjLb0EEEZNS1_14transform_implILb0ES3_S5_PjN6thrust23THRUST_200600_302600_NS6detail15normal_iteratorINS9_10device_ptrIjEEEENS0_8identityIjEEEE10hipError_tT2_T3_mT4_P12ihipStream_tbEUlT_E_NS1_11comp_targetILNS1_3genE4ELNS1_11target_archE910ELNS1_3gpuE8ELNS1_3repE0EEENS1_30default_config_static_selectorELNS0_4arch9wavefront6targetE1EEEvT1_,"axG",@progbits,_ZN7rocprim17ROCPRIM_400000_NS6detail17trampoline_kernelINS0_14default_configENS1_25transform_config_selectorIjLb0EEEZNS1_14transform_implILb0ES3_S5_PjN6thrust23THRUST_200600_302600_NS6detail15normal_iteratorINS9_10device_ptrIjEEEENS0_8identityIjEEEE10hipError_tT2_T3_mT4_P12ihipStream_tbEUlT_E_NS1_11comp_targetILNS1_3genE4ELNS1_11target_archE910ELNS1_3gpuE8ELNS1_3repE0EEENS1_30default_config_static_selectorELNS0_4arch9wavefront6targetE1EEEvT1_,comdat
.Lfunc_end1019:
	.size	_ZN7rocprim17ROCPRIM_400000_NS6detail17trampoline_kernelINS0_14default_configENS1_25transform_config_selectorIjLb0EEEZNS1_14transform_implILb0ES3_S5_PjN6thrust23THRUST_200600_302600_NS6detail15normal_iteratorINS9_10device_ptrIjEEEENS0_8identityIjEEEE10hipError_tT2_T3_mT4_P12ihipStream_tbEUlT_E_NS1_11comp_targetILNS1_3genE4ELNS1_11target_archE910ELNS1_3gpuE8ELNS1_3repE0EEENS1_30default_config_static_selectorELNS0_4arch9wavefront6targetE1EEEvT1_, .Lfunc_end1019-_ZN7rocprim17ROCPRIM_400000_NS6detail17trampoline_kernelINS0_14default_configENS1_25transform_config_selectorIjLb0EEEZNS1_14transform_implILb0ES3_S5_PjN6thrust23THRUST_200600_302600_NS6detail15normal_iteratorINS9_10device_ptrIjEEEENS0_8identityIjEEEE10hipError_tT2_T3_mT4_P12ihipStream_tbEUlT_E_NS1_11comp_targetILNS1_3genE4ELNS1_11target_archE910ELNS1_3gpuE8ELNS1_3repE0EEENS1_30default_config_static_selectorELNS0_4arch9wavefront6targetE1EEEvT1_
                                        ; -- End function
	.section	.AMDGPU.csdata,"",@progbits
; Kernel info:
; codeLenInByte = 0
; NumSgprs: 6
; NumVgprs: 0
; NumAgprs: 0
; TotalNumVgprs: 0
; ScratchSize: 0
; MemoryBound: 0
; FloatMode: 240
; IeeeMode: 1
; LDSByteSize: 0 bytes/workgroup (compile time only)
; SGPRBlocks: 0
; VGPRBlocks: 0
; NumSGPRsForWavesPerEU: 6
; NumVGPRsForWavesPerEU: 1
; AccumOffset: 4
; Occupancy: 8
; WaveLimiterHint : 0
; COMPUTE_PGM_RSRC2:SCRATCH_EN: 0
; COMPUTE_PGM_RSRC2:USER_SGPR: 2
; COMPUTE_PGM_RSRC2:TRAP_HANDLER: 0
; COMPUTE_PGM_RSRC2:TGID_X_EN: 1
; COMPUTE_PGM_RSRC2:TGID_Y_EN: 0
; COMPUTE_PGM_RSRC2:TGID_Z_EN: 0
; COMPUTE_PGM_RSRC2:TIDIG_COMP_CNT: 0
; COMPUTE_PGM_RSRC3_GFX90A:ACCUM_OFFSET: 0
; COMPUTE_PGM_RSRC3_GFX90A:TG_SPLIT: 0
	.section	.text._ZN7rocprim17ROCPRIM_400000_NS6detail17trampoline_kernelINS0_14default_configENS1_25transform_config_selectorIjLb0EEEZNS1_14transform_implILb0ES3_S5_PjN6thrust23THRUST_200600_302600_NS6detail15normal_iteratorINS9_10device_ptrIjEEEENS0_8identityIjEEEE10hipError_tT2_T3_mT4_P12ihipStream_tbEUlT_E_NS1_11comp_targetILNS1_3genE3ELNS1_11target_archE908ELNS1_3gpuE7ELNS1_3repE0EEENS1_30default_config_static_selectorELNS0_4arch9wavefront6targetE1EEEvT1_,"axG",@progbits,_ZN7rocprim17ROCPRIM_400000_NS6detail17trampoline_kernelINS0_14default_configENS1_25transform_config_selectorIjLb0EEEZNS1_14transform_implILb0ES3_S5_PjN6thrust23THRUST_200600_302600_NS6detail15normal_iteratorINS9_10device_ptrIjEEEENS0_8identityIjEEEE10hipError_tT2_T3_mT4_P12ihipStream_tbEUlT_E_NS1_11comp_targetILNS1_3genE3ELNS1_11target_archE908ELNS1_3gpuE7ELNS1_3repE0EEENS1_30default_config_static_selectorELNS0_4arch9wavefront6targetE1EEEvT1_,comdat
	.protected	_ZN7rocprim17ROCPRIM_400000_NS6detail17trampoline_kernelINS0_14default_configENS1_25transform_config_selectorIjLb0EEEZNS1_14transform_implILb0ES3_S5_PjN6thrust23THRUST_200600_302600_NS6detail15normal_iteratorINS9_10device_ptrIjEEEENS0_8identityIjEEEE10hipError_tT2_T3_mT4_P12ihipStream_tbEUlT_E_NS1_11comp_targetILNS1_3genE3ELNS1_11target_archE908ELNS1_3gpuE7ELNS1_3repE0EEENS1_30default_config_static_selectorELNS0_4arch9wavefront6targetE1EEEvT1_ ; -- Begin function _ZN7rocprim17ROCPRIM_400000_NS6detail17trampoline_kernelINS0_14default_configENS1_25transform_config_selectorIjLb0EEEZNS1_14transform_implILb0ES3_S5_PjN6thrust23THRUST_200600_302600_NS6detail15normal_iteratorINS9_10device_ptrIjEEEENS0_8identityIjEEEE10hipError_tT2_T3_mT4_P12ihipStream_tbEUlT_E_NS1_11comp_targetILNS1_3genE3ELNS1_11target_archE908ELNS1_3gpuE7ELNS1_3repE0EEENS1_30default_config_static_selectorELNS0_4arch9wavefront6targetE1EEEvT1_
	.globl	_ZN7rocprim17ROCPRIM_400000_NS6detail17trampoline_kernelINS0_14default_configENS1_25transform_config_selectorIjLb0EEEZNS1_14transform_implILb0ES3_S5_PjN6thrust23THRUST_200600_302600_NS6detail15normal_iteratorINS9_10device_ptrIjEEEENS0_8identityIjEEEE10hipError_tT2_T3_mT4_P12ihipStream_tbEUlT_E_NS1_11comp_targetILNS1_3genE3ELNS1_11target_archE908ELNS1_3gpuE7ELNS1_3repE0EEENS1_30default_config_static_selectorELNS0_4arch9wavefront6targetE1EEEvT1_
	.p2align	8
	.type	_ZN7rocprim17ROCPRIM_400000_NS6detail17trampoline_kernelINS0_14default_configENS1_25transform_config_selectorIjLb0EEEZNS1_14transform_implILb0ES3_S5_PjN6thrust23THRUST_200600_302600_NS6detail15normal_iteratorINS9_10device_ptrIjEEEENS0_8identityIjEEEE10hipError_tT2_T3_mT4_P12ihipStream_tbEUlT_E_NS1_11comp_targetILNS1_3genE3ELNS1_11target_archE908ELNS1_3gpuE7ELNS1_3repE0EEENS1_30default_config_static_selectorELNS0_4arch9wavefront6targetE1EEEvT1_,@function
_ZN7rocprim17ROCPRIM_400000_NS6detail17trampoline_kernelINS0_14default_configENS1_25transform_config_selectorIjLb0EEEZNS1_14transform_implILb0ES3_S5_PjN6thrust23THRUST_200600_302600_NS6detail15normal_iteratorINS9_10device_ptrIjEEEENS0_8identityIjEEEE10hipError_tT2_T3_mT4_P12ihipStream_tbEUlT_E_NS1_11comp_targetILNS1_3genE3ELNS1_11target_archE908ELNS1_3gpuE7ELNS1_3repE0EEENS1_30default_config_static_selectorELNS0_4arch9wavefront6targetE1EEEvT1_: ; @_ZN7rocprim17ROCPRIM_400000_NS6detail17trampoline_kernelINS0_14default_configENS1_25transform_config_selectorIjLb0EEEZNS1_14transform_implILb0ES3_S5_PjN6thrust23THRUST_200600_302600_NS6detail15normal_iteratorINS9_10device_ptrIjEEEENS0_8identityIjEEEE10hipError_tT2_T3_mT4_P12ihipStream_tbEUlT_E_NS1_11comp_targetILNS1_3genE3ELNS1_11target_archE908ELNS1_3gpuE7ELNS1_3repE0EEENS1_30default_config_static_selectorELNS0_4arch9wavefront6targetE1EEEvT1_
; %bb.0:
	.section	.rodata,"a",@progbits
	.p2align	6, 0x0
	.amdhsa_kernel _ZN7rocprim17ROCPRIM_400000_NS6detail17trampoline_kernelINS0_14default_configENS1_25transform_config_selectorIjLb0EEEZNS1_14transform_implILb0ES3_S5_PjN6thrust23THRUST_200600_302600_NS6detail15normal_iteratorINS9_10device_ptrIjEEEENS0_8identityIjEEEE10hipError_tT2_T3_mT4_P12ihipStream_tbEUlT_E_NS1_11comp_targetILNS1_3genE3ELNS1_11target_archE908ELNS1_3gpuE7ELNS1_3repE0EEENS1_30default_config_static_selectorELNS0_4arch9wavefront6targetE1EEEvT1_
		.amdhsa_group_segment_fixed_size 0
		.amdhsa_private_segment_fixed_size 0
		.amdhsa_kernarg_size 40
		.amdhsa_user_sgpr_count 2
		.amdhsa_user_sgpr_dispatch_ptr 0
		.amdhsa_user_sgpr_queue_ptr 0
		.amdhsa_user_sgpr_kernarg_segment_ptr 1
		.amdhsa_user_sgpr_dispatch_id 0
		.amdhsa_user_sgpr_kernarg_preload_length 0
		.amdhsa_user_sgpr_kernarg_preload_offset 0
		.amdhsa_user_sgpr_private_segment_size 0
		.amdhsa_uses_dynamic_stack 0
		.amdhsa_enable_private_segment 0
		.amdhsa_system_sgpr_workgroup_id_x 1
		.amdhsa_system_sgpr_workgroup_id_y 0
		.amdhsa_system_sgpr_workgroup_id_z 0
		.amdhsa_system_sgpr_workgroup_info 0
		.amdhsa_system_vgpr_workitem_id 0
		.amdhsa_next_free_vgpr 1
		.amdhsa_next_free_sgpr 0
		.amdhsa_accum_offset 4
		.amdhsa_reserve_vcc 0
		.amdhsa_float_round_mode_32 0
		.amdhsa_float_round_mode_16_64 0
		.amdhsa_float_denorm_mode_32 3
		.amdhsa_float_denorm_mode_16_64 3
		.amdhsa_dx10_clamp 1
		.amdhsa_ieee_mode 1
		.amdhsa_fp16_overflow 0
		.amdhsa_tg_split 0
		.amdhsa_exception_fp_ieee_invalid_op 0
		.amdhsa_exception_fp_denorm_src 0
		.amdhsa_exception_fp_ieee_div_zero 0
		.amdhsa_exception_fp_ieee_overflow 0
		.amdhsa_exception_fp_ieee_underflow 0
		.amdhsa_exception_fp_ieee_inexact 0
		.amdhsa_exception_int_div_zero 0
	.end_amdhsa_kernel
	.section	.text._ZN7rocprim17ROCPRIM_400000_NS6detail17trampoline_kernelINS0_14default_configENS1_25transform_config_selectorIjLb0EEEZNS1_14transform_implILb0ES3_S5_PjN6thrust23THRUST_200600_302600_NS6detail15normal_iteratorINS9_10device_ptrIjEEEENS0_8identityIjEEEE10hipError_tT2_T3_mT4_P12ihipStream_tbEUlT_E_NS1_11comp_targetILNS1_3genE3ELNS1_11target_archE908ELNS1_3gpuE7ELNS1_3repE0EEENS1_30default_config_static_selectorELNS0_4arch9wavefront6targetE1EEEvT1_,"axG",@progbits,_ZN7rocprim17ROCPRIM_400000_NS6detail17trampoline_kernelINS0_14default_configENS1_25transform_config_selectorIjLb0EEEZNS1_14transform_implILb0ES3_S5_PjN6thrust23THRUST_200600_302600_NS6detail15normal_iteratorINS9_10device_ptrIjEEEENS0_8identityIjEEEE10hipError_tT2_T3_mT4_P12ihipStream_tbEUlT_E_NS1_11comp_targetILNS1_3genE3ELNS1_11target_archE908ELNS1_3gpuE7ELNS1_3repE0EEENS1_30default_config_static_selectorELNS0_4arch9wavefront6targetE1EEEvT1_,comdat
.Lfunc_end1020:
	.size	_ZN7rocprim17ROCPRIM_400000_NS6detail17trampoline_kernelINS0_14default_configENS1_25transform_config_selectorIjLb0EEEZNS1_14transform_implILb0ES3_S5_PjN6thrust23THRUST_200600_302600_NS6detail15normal_iteratorINS9_10device_ptrIjEEEENS0_8identityIjEEEE10hipError_tT2_T3_mT4_P12ihipStream_tbEUlT_E_NS1_11comp_targetILNS1_3genE3ELNS1_11target_archE908ELNS1_3gpuE7ELNS1_3repE0EEENS1_30default_config_static_selectorELNS0_4arch9wavefront6targetE1EEEvT1_, .Lfunc_end1020-_ZN7rocprim17ROCPRIM_400000_NS6detail17trampoline_kernelINS0_14default_configENS1_25transform_config_selectorIjLb0EEEZNS1_14transform_implILb0ES3_S5_PjN6thrust23THRUST_200600_302600_NS6detail15normal_iteratorINS9_10device_ptrIjEEEENS0_8identityIjEEEE10hipError_tT2_T3_mT4_P12ihipStream_tbEUlT_E_NS1_11comp_targetILNS1_3genE3ELNS1_11target_archE908ELNS1_3gpuE7ELNS1_3repE0EEENS1_30default_config_static_selectorELNS0_4arch9wavefront6targetE1EEEvT1_
                                        ; -- End function
	.section	.AMDGPU.csdata,"",@progbits
; Kernel info:
; codeLenInByte = 0
; NumSgprs: 6
; NumVgprs: 0
; NumAgprs: 0
; TotalNumVgprs: 0
; ScratchSize: 0
; MemoryBound: 0
; FloatMode: 240
; IeeeMode: 1
; LDSByteSize: 0 bytes/workgroup (compile time only)
; SGPRBlocks: 0
; VGPRBlocks: 0
; NumSGPRsForWavesPerEU: 6
; NumVGPRsForWavesPerEU: 1
; AccumOffset: 4
; Occupancy: 8
; WaveLimiterHint : 0
; COMPUTE_PGM_RSRC2:SCRATCH_EN: 0
; COMPUTE_PGM_RSRC2:USER_SGPR: 2
; COMPUTE_PGM_RSRC2:TRAP_HANDLER: 0
; COMPUTE_PGM_RSRC2:TGID_X_EN: 1
; COMPUTE_PGM_RSRC2:TGID_Y_EN: 0
; COMPUTE_PGM_RSRC2:TGID_Z_EN: 0
; COMPUTE_PGM_RSRC2:TIDIG_COMP_CNT: 0
; COMPUTE_PGM_RSRC3_GFX90A:ACCUM_OFFSET: 0
; COMPUTE_PGM_RSRC3_GFX90A:TG_SPLIT: 0
	.section	.text._ZN7rocprim17ROCPRIM_400000_NS6detail17trampoline_kernelINS0_14default_configENS1_25transform_config_selectorIjLb0EEEZNS1_14transform_implILb0ES3_S5_PjN6thrust23THRUST_200600_302600_NS6detail15normal_iteratorINS9_10device_ptrIjEEEENS0_8identityIjEEEE10hipError_tT2_T3_mT4_P12ihipStream_tbEUlT_E_NS1_11comp_targetILNS1_3genE2ELNS1_11target_archE906ELNS1_3gpuE6ELNS1_3repE0EEENS1_30default_config_static_selectorELNS0_4arch9wavefront6targetE1EEEvT1_,"axG",@progbits,_ZN7rocprim17ROCPRIM_400000_NS6detail17trampoline_kernelINS0_14default_configENS1_25transform_config_selectorIjLb0EEEZNS1_14transform_implILb0ES3_S5_PjN6thrust23THRUST_200600_302600_NS6detail15normal_iteratorINS9_10device_ptrIjEEEENS0_8identityIjEEEE10hipError_tT2_T3_mT4_P12ihipStream_tbEUlT_E_NS1_11comp_targetILNS1_3genE2ELNS1_11target_archE906ELNS1_3gpuE6ELNS1_3repE0EEENS1_30default_config_static_selectorELNS0_4arch9wavefront6targetE1EEEvT1_,comdat
	.protected	_ZN7rocprim17ROCPRIM_400000_NS6detail17trampoline_kernelINS0_14default_configENS1_25transform_config_selectorIjLb0EEEZNS1_14transform_implILb0ES3_S5_PjN6thrust23THRUST_200600_302600_NS6detail15normal_iteratorINS9_10device_ptrIjEEEENS0_8identityIjEEEE10hipError_tT2_T3_mT4_P12ihipStream_tbEUlT_E_NS1_11comp_targetILNS1_3genE2ELNS1_11target_archE906ELNS1_3gpuE6ELNS1_3repE0EEENS1_30default_config_static_selectorELNS0_4arch9wavefront6targetE1EEEvT1_ ; -- Begin function _ZN7rocprim17ROCPRIM_400000_NS6detail17trampoline_kernelINS0_14default_configENS1_25transform_config_selectorIjLb0EEEZNS1_14transform_implILb0ES3_S5_PjN6thrust23THRUST_200600_302600_NS6detail15normal_iteratorINS9_10device_ptrIjEEEENS0_8identityIjEEEE10hipError_tT2_T3_mT4_P12ihipStream_tbEUlT_E_NS1_11comp_targetILNS1_3genE2ELNS1_11target_archE906ELNS1_3gpuE6ELNS1_3repE0EEENS1_30default_config_static_selectorELNS0_4arch9wavefront6targetE1EEEvT1_
	.globl	_ZN7rocprim17ROCPRIM_400000_NS6detail17trampoline_kernelINS0_14default_configENS1_25transform_config_selectorIjLb0EEEZNS1_14transform_implILb0ES3_S5_PjN6thrust23THRUST_200600_302600_NS6detail15normal_iteratorINS9_10device_ptrIjEEEENS0_8identityIjEEEE10hipError_tT2_T3_mT4_P12ihipStream_tbEUlT_E_NS1_11comp_targetILNS1_3genE2ELNS1_11target_archE906ELNS1_3gpuE6ELNS1_3repE0EEENS1_30default_config_static_selectorELNS0_4arch9wavefront6targetE1EEEvT1_
	.p2align	8
	.type	_ZN7rocprim17ROCPRIM_400000_NS6detail17trampoline_kernelINS0_14default_configENS1_25transform_config_selectorIjLb0EEEZNS1_14transform_implILb0ES3_S5_PjN6thrust23THRUST_200600_302600_NS6detail15normal_iteratorINS9_10device_ptrIjEEEENS0_8identityIjEEEE10hipError_tT2_T3_mT4_P12ihipStream_tbEUlT_E_NS1_11comp_targetILNS1_3genE2ELNS1_11target_archE906ELNS1_3gpuE6ELNS1_3repE0EEENS1_30default_config_static_selectorELNS0_4arch9wavefront6targetE1EEEvT1_,@function
_ZN7rocprim17ROCPRIM_400000_NS6detail17trampoline_kernelINS0_14default_configENS1_25transform_config_selectorIjLb0EEEZNS1_14transform_implILb0ES3_S5_PjN6thrust23THRUST_200600_302600_NS6detail15normal_iteratorINS9_10device_ptrIjEEEENS0_8identityIjEEEE10hipError_tT2_T3_mT4_P12ihipStream_tbEUlT_E_NS1_11comp_targetILNS1_3genE2ELNS1_11target_archE906ELNS1_3gpuE6ELNS1_3repE0EEENS1_30default_config_static_selectorELNS0_4arch9wavefront6targetE1EEEvT1_: ; @_ZN7rocprim17ROCPRIM_400000_NS6detail17trampoline_kernelINS0_14default_configENS1_25transform_config_selectorIjLb0EEEZNS1_14transform_implILb0ES3_S5_PjN6thrust23THRUST_200600_302600_NS6detail15normal_iteratorINS9_10device_ptrIjEEEENS0_8identityIjEEEE10hipError_tT2_T3_mT4_P12ihipStream_tbEUlT_E_NS1_11comp_targetILNS1_3genE2ELNS1_11target_archE906ELNS1_3gpuE6ELNS1_3repE0EEENS1_30default_config_static_selectorELNS0_4arch9wavefront6targetE1EEEvT1_
; %bb.0:
	.section	.rodata,"a",@progbits
	.p2align	6, 0x0
	.amdhsa_kernel _ZN7rocprim17ROCPRIM_400000_NS6detail17trampoline_kernelINS0_14default_configENS1_25transform_config_selectorIjLb0EEEZNS1_14transform_implILb0ES3_S5_PjN6thrust23THRUST_200600_302600_NS6detail15normal_iteratorINS9_10device_ptrIjEEEENS0_8identityIjEEEE10hipError_tT2_T3_mT4_P12ihipStream_tbEUlT_E_NS1_11comp_targetILNS1_3genE2ELNS1_11target_archE906ELNS1_3gpuE6ELNS1_3repE0EEENS1_30default_config_static_selectorELNS0_4arch9wavefront6targetE1EEEvT1_
		.amdhsa_group_segment_fixed_size 0
		.amdhsa_private_segment_fixed_size 0
		.amdhsa_kernarg_size 40
		.amdhsa_user_sgpr_count 2
		.amdhsa_user_sgpr_dispatch_ptr 0
		.amdhsa_user_sgpr_queue_ptr 0
		.amdhsa_user_sgpr_kernarg_segment_ptr 1
		.amdhsa_user_sgpr_dispatch_id 0
		.amdhsa_user_sgpr_kernarg_preload_length 0
		.amdhsa_user_sgpr_kernarg_preload_offset 0
		.amdhsa_user_sgpr_private_segment_size 0
		.amdhsa_uses_dynamic_stack 0
		.amdhsa_enable_private_segment 0
		.amdhsa_system_sgpr_workgroup_id_x 1
		.amdhsa_system_sgpr_workgroup_id_y 0
		.amdhsa_system_sgpr_workgroup_id_z 0
		.amdhsa_system_sgpr_workgroup_info 0
		.amdhsa_system_vgpr_workitem_id 0
		.amdhsa_next_free_vgpr 1
		.amdhsa_next_free_sgpr 0
		.amdhsa_accum_offset 4
		.amdhsa_reserve_vcc 0
		.amdhsa_float_round_mode_32 0
		.amdhsa_float_round_mode_16_64 0
		.amdhsa_float_denorm_mode_32 3
		.amdhsa_float_denorm_mode_16_64 3
		.amdhsa_dx10_clamp 1
		.amdhsa_ieee_mode 1
		.amdhsa_fp16_overflow 0
		.amdhsa_tg_split 0
		.amdhsa_exception_fp_ieee_invalid_op 0
		.amdhsa_exception_fp_denorm_src 0
		.amdhsa_exception_fp_ieee_div_zero 0
		.amdhsa_exception_fp_ieee_overflow 0
		.amdhsa_exception_fp_ieee_underflow 0
		.amdhsa_exception_fp_ieee_inexact 0
		.amdhsa_exception_int_div_zero 0
	.end_amdhsa_kernel
	.section	.text._ZN7rocprim17ROCPRIM_400000_NS6detail17trampoline_kernelINS0_14default_configENS1_25transform_config_selectorIjLb0EEEZNS1_14transform_implILb0ES3_S5_PjN6thrust23THRUST_200600_302600_NS6detail15normal_iteratorINS9_10device_ptrIjEEEENS0_8identityIjEEEE10hipError_tT2_T3_mT4_P12ihipStream_tbEUlT_E_NS1_11comp_targetILNS1_3genE2ELNS1_11target_archE906ELNS1_3gpuE6ELNS1_3repE0EEENS1_30default_config_static_selectorELNS0_4arch9wavefront6targetE1EEEvT1_,"axG",@progbits,_ZN7rocprim17ROCPRIM_400000_NS6detail17trampoline_kernelINS0_14default_configENS1_25transform_config_selectorIjLb0EEEZNS1_14transform_implILb0ES3_S5_PjN6thrust23THRUST_200600_302600_NS6detail15normal_iteratorINS9_10device_ptrIjEEEENS0_8identityIjEEEE10hipError_tT2_T3_mT4_P12ihipStream_tbEUlT_E_NS1_11comp_targetILNS1_3genE2ELNS1_11target_archE906ELNS1_3gpuE6ELNS1_3repE0EEENS1_30default_config_static_selectorELNS0_4arch9wavefront6targetE1EEEvT1_,comdat
.Lfunc_end1021:
	.size	_ZN7rocprim17ROCPRIM_400000_NS6detail17trampoline_kernelINS0_14default_configENS1_25transform_config_selectorIjLb0EEEZNS1_14transform_implILb0ES3_S5_PjN6thrust23THRUST_200600_302600_NS6detail15normal_iteratorINS9_10device_ptrIjEEEENS0_8identityIjEEEE10hipError_tT2_T3_mT4_P12ihipStream_tbEUlT_E_NS1_11comp_targetILNS1_3genE2ELNS1_11target_archE906ELNS1_3gpuE6ELNS1_3repE0EEENS1_30default_config_static_selectorELNS0_4arch9wavefront6targetE1EEEvT1_, .Lfunc_end1021-_ZN7rocprim17ROCPRIM_400000_NS6detail17trampoline_kernelINS0_14default_configENS1_25transform_config_selectorIjLb0EEEZNS1_14transform_implILb0ES3_S5_PjN6thrust23THRUST_200600_302600_NS6detail15normal_iteratorINS9_10device_ptrIjEEEENS0_8identityIjEEEE10hipError_tT2_T3_mT4_P12ihipStream_tbEUlT_E_NS1_11comp_targetILNS1_3genE2ELNS1_11target_archE906ELNS1_3gpuE6ELNS1_3repE0EEENS1_30default_config_static_selectorELNS0_4arch9wavefront6targetE1EEEvT1_
                                        ; -- End function
	.section	.AMDGPU.csdata,"",@progbits
; Kernel info:
; codeLenInByte = 0
; NumSgprs: 6
; NumVgprs: 0
; NumAgprs: 0
; TotalNumVgprs: 0
; ScratchSize: 0
; MemoryBound: 0
; FloatMode: 240
; IeeeMode: 1
; LDSByteSize: 0 bytes/workgroup (compile time only)
; SGPRBlocks: 0
; VGPRBlocks: 0
; NumSGPRsForWavesPerEU: 6
; NumVGPRsForWavesPerEU: 1
; AccumOffset: 4
; Occupancy: 8
; WaveLimiterHint : 0
; COMPUTE_PGM_RSRC2:SCRATCH_EN: 0
; COMPUTE_PGM_RSRC2:USER_SGPR: 2
; COMPUTE_PGM_RSRC2:TRAP_HANDLER: 0
; COMPUTE_PGM_RSRC2:TGID_X_EN: 1
; COMPUTE_PGM_RSRC2:TGID_Y_EN: 0
; COMPUTE_PGM_RSRC2:TGID_Z_EN: 0
; COMPUTE_PGM_RSRC2:TIDIG_COMP_CNT: 0
; COMPUTE_PGM_RSRC3_GFX90A:ACCUM_OFFSET: 0
; COMPUTE_PGM_RSRC3_GFX90A:TG_SPLIT: 0
	.section	.text._ZN7rocprim17ROCPRIM_400000_NS6detail17trampoline_kernelINS0_14default_configENS1_25transform_config_selectorIjLb0EEEZNS1_14transform_implILb0ES3_S5_PjN6thrust23THRUST_200600_302600_NS6detail15normal_iteratorINS9_10device_ptrIjEEEENS0_8identityIjEEEE10hipError_tT2_T3_mT4_P12ihipStream_tbEUlT_E_NS1_11comp_targetILNS1_3genE10ELNS1_11target_archE1201ELNS1_3gpuE5ELNS1_3repE0EEENS1_30default_config_static_selectorELNS0_4arch9wavefront6targetE1EEEvT1_,"axG",@progbits,_ZN7rocprim17ROCPRIM_400000_NS6detail17trampoline_kernelINS0_14default_configENS1_25transform_config_selectorIjLb0EEEZNS1_14transform_implILb0ES3_S5_PjN6thrust23THRUST_200600_302600_NS6detail15normal_iteratorINS9_10device_ptrIjEEEENS0_8identityIjEEEE10hipError_tT2_T3_mT4_P12ihipStream_tbEUlT_E_NS1_11comp_targetILNS1_3genE10ELNS1_11target_archE1201ELNS1_3gpuE5ELNS1_3repE0EEENS1_30default_config_static_selectorELNS0_4arch9wavefront6targetE1EEEvT1_,comdat
	.protected	_ZN7rocprim17ROCPRIM_400000_NS6detail17trampoline_kernelINS0_14default_configENS1_25transform_config_selectorIjLb0EEEZNS1_14transform_implILb0ES3_S5_PjN6thrust23THRUST_200600_302600_NS6detail15normal_iteratorINS9_10device_ptrIjEEEENS0_8identityIjEEEE10hipError_tT2_T3_mT4_P12ihipStream_tbEUlT_E_NS1_11comp_targetILNS1_3genE10ELNS1_11target_archE1201ELNS1_3gpuE5ELNS1_3repE0EEENS1_30default_config_static_selectorELNS0_4arch9wavefront6targetE1EEEvT1_ ; -- Begin function _ZN7rocprim17ROCPRIM_400000_NS6detail17trampoline_kernelINS0_14default_configENS1_25transform_config_selectorIjLb0EEEZNS1_14transform_implILb0ES3_S5_PjN6thrust23THRUST_200600_302600_NS6detail15normal_iteratorINS9_10device_ptrIjEEEENS0_8identityIjEEEE10hipError_tT2_T3_mT4_P12ihipStream_tbEUlT_E_NS1_11comp_targetILNS1_3genE10ELNS1_11target_archE1201ELNS1_3gpuE5ELNS1_3repE0EEENS1_30default_config_static_selectorELNS0_4arch9wavefront6targetE1EEEvT1_
	.globl	_ZN7rocprim17ROCPRIM_400000_NS6detail17trampoline_kernelINS0_14default_configENS1_25transform_config_selectorIjLb0EEEZNS1_14transform_implILb0ES3_S5_PjN6thrust23THRUST_200600_302600_NS6detail15normal_iteratorINS9_10device_ptrIjEEEENS0_8identityIjEEEE10hipError_tT2_T3_mT4_P12ihipStream_tbEUlT_E_NS1_11comp_targetILNS1_3genE10ELNS1_11target_archE1201ELNS1_3gpuE5ELNS1_3repE0EEENS1_30default_config_static_selectorELNS0_4arch9wavefront6targetE1EEEvT1_
	.p2align	8
	.type	_ZN7rocprim17ROCPRIM_400000_NS6detail17trampoline_kernelINS0_14default_configENS1_25transform_config_selectorIjLb0EEEZNS1_14transform_implILb0ES3_S5_PjN6thrust23THRUST_200600_302600_NS6detail15normal_iteratorINS9_10device_ptrIjEEEENS0_8identityIjEEEE10hipError_tT2_T3_mT4_P12ihipStream_tbEUlT_E_NS1_11comp_targetILNS1_3genE10ELNS1_11target_archE1201ELNS1_3gpuE5ELNS1_3repE0EEENS1_30default_config_static_selectorELNS0_4arch9wavefront6targetE1EEEvT1_,@function
_ZN7rocprim17ROCPRIM_400000_NS6detail17trampoline_kernelINS0_14default_configENS1_25transform_config_selectorIjLb0EEEZNS1_14transform_implILb0ES3_S5_PjN6thrust23THRUST_200600_302600_NS6detail15normal_iteratorINS9_10device_ptrIjEEEENS0_8identityIjEEEE10hipError_tT2_T3_mT4_P12ihipStream_tbEUlT_E_NS1_11comp_targetILNS1_3genE10ELNS1_11target_archE1201ELNS1_3gpuE5ELNS1_3repE0EEENS1_30default_config_static_selectorELNS0_4arch9wavefront6targetE1EEEvT1_: ; @_ZN7rocprim17ROCPRIM_400000_NS6detail17trampoline_kernelINS0_14default_configENS1_25transform_config_selectorIjLb0EEEZNS1_14transform_implILb0ES3_S5_PjN6thrust23THRUST_200600_302600_NS6detail15normal_iteratorINS9_10device_ptrIjEEEENS0_8identityIjEEEE10hipError_tT2_T3_mT4_P12ihipStream_tbEUlT_E_NS1_11comp_targetILNS1_3genE10ELNS1_11target_archE1201ELNS1_3gpuE5ELNS1_3repE0EEENS1_30default_config_static_selectorELNS0_4arch9wavefront6targetE1EEEvT1_
; %bb.0:
	.section	.rodata,"a",@progbits
	.p2align	6, 0x0
	.amdhsa_kernel _ZN7rocprim17ROCPRIM_400000_NS6detail17trampoline_kernelINS0_14default_configENS1_25transform_config_selectorIjLb0EEEZNS1_14transform_implILb0ES3_S5_PjN6thrust23THRUST_200600_302600_NS6detail15normal_iteratorINS9_10device_ptrIjEEEENS0_8identityIjEEEE10hipError_tT2_T3_mT4_P12ihipStream_tbEUlT_E_NS1_11comp_targetILNS1_3genE10ELNS1_11target_archE1201ELNS1_3gpuE5ELNS1_3repE0EEENS1_30default_config_static_selectorELNS0_4arch9wavefront6targetE1EEEvT1_
		.amdhsa_group_segment_fixed_size 0
		.amdhsa_private_segment_fixed_size 0
		.amdhsa_kernarg_size 40
		.amdhsa_user_sgpr_count 2
		.amdhsa_user_sgpr_dispatch_ptr 0
		.amdhsa_user_sgpr_queue_ptr 0
		.amdhsa_user_sgpr_kernarg_segment_ptr 1
		.amdhsa_user_sgpr_dispatch_id 0
		.amdhsa_user_sgpr_kernarg_preload_length 0
		.amdhsa_user_sgpr_kernarg_preload_offset 0
		.amdhsa_user_sgpr_private_segment_size 0
		.amdhsa_uses_dynamic_stack 0
		.amdhsa_enable_private_segment 0
		.amdhsa_system_sgpr_workgroup_id_x 1
		.amdhsa_system_sgpr_workgroup_id_y 0
		.amdhsa_system_sgpr_workgroup_id_z 0
		.amdhsa_system_sgpr_workgroup_info 0
		.amdhsa_system_vgpr_workitem_id 0
		.amdhsa_next_free_vgpr 1
		.amdhsa_next_free_sgpr 0
		.amdhsa_accum_offset 4
		.amdhsa_reserve_vcc 0
		.amdhsa_float_round_mode_32 0
		.amdhsa_float_round_mode_16_64 0
		.amdhsa_float_denorm_mode_32 3
		.amdhsa_float_denorm_mode_16_64 3
		.amdhsa_dx10_clamp 1
		.amdhsa_ieee_mode 1
		.amdhsa_fp16_overflow 0
		.amdhsa_tg_split 0
		.amdhsa_exception_fp_ieee_invalid_op 0
		.amdhsa_exception_fp_denorm_src 0
		.amdhsa_exception_fp_ieee_div_zero 0
		.amdhsa_exception_fp_ieee_overflow 0
		.amdhsa_exception_fp_ieee_underflow 0
		.amdhsa_exception_fp_ieee_inexact 0
		.amdhsa_exception_int_div_zero 0
	.end_amdhsa_kernel
	.section	.text._ZN7rocprim17ROCPRIM_400000_NS6detail17trampoline_kernelINS0_14default_configENS1_25transform_config_selectorIjLb0EEEZNS1_14transform_implILb0ES3_S5_PjN6thrust23THRUST_200600_302600_NS6detail15normal_iteratorINS9_10device_ptrIjEEEENS0_8identityIjEEEE10hipError_tT2_T3_mT4_P12ihipStream_tbEUlT_E_NS1_11comp_targetILNS1_3genE10ELNS1_11target_archE1201ELNS1_3gpuE5ELNS1_3repE0EEENS1_30default_config_static_selectorELNS0_4arch9wavefront6targetE1EEEvT1_,"axG",@progbits,_ZN7rocprim17ROCPRIM_400000_NS6detail17trampoline_kernelINS0_14default_configENS1_25transform_config_selectorIjLb0EEEZNS1_14transform_implILb0ES3_S5_PjN6thrust23THRUST_200600_302600_NS6detail15normal_iteratorINS9_10device_ptrIjEEEENS0_8identityIjEEEE10hipError_tT2_T3_mT4_P12ihipStream_tbEUlT_E_NS1_11comp_targetILNS1_3genE10ELNS1_11target_archE1201ELNS1_3gpuE5ELNS1_3repE0EEENS1_30default_config_static_selectorELNS0_4arch9wavefront6targetE1EEEvT1_,comdat
.Lfunc_end1022:
	.size	_ZN7rocprim17ROCPRIM_400000_NS6detail17trampoline_kernelINS0_14default_configENS1_25transform_config_selectorIjLb0EEEZNS1_14transform_implILb0ES3_S5_PjN6thrust23THRUST_200600_302600_NS6detail15normal_iteratorINS9_10device_ptrIjEEEENS0_8identityIjEEEE10hipError_tT2_T3_mT4_P12ihipStream_tbEUlT_E_NS1_11comp_targetILNS1_3genE10ELNS1_11target_archE1201ELNS1_3gpuE5ELNS1_3repE0EEENS1_30default_config_static_selectorELNS0_4arch9wavefront6targetE1EEEvT1_, .Lfunc_end1022-_ZN7rocprim17ROCPRIM_400000_NS6detail17trampoline_kernelINS0_14default_configENS1_25transform_config_selectorIjLb0EEEZNS1_14transform_implILb0ES3_S5_PjN6thrust23THRUST_200600_302600_NS6detail15normal_iteratorINS9_10device_ptrIjEEEENS0_8identityIjEEEE10hipError_tT2_T3_mT4_P12ihipStream_tbEUlT_E_NS1_11comp_targetILNS1_3genE10ELNS1_11target_archE1201ELNS1_3gpuE5ELNS1_3repE0EEENS1_30default_config_static_selectorELNS0_4arch9wavefront6targetE1EEEvT1_
                                        ; -- End function
	.section	.AMDGPU.csdata,"",@progbits
; Kernel info:
; codeLenInByte = 0
; NumSgprs: 6
; NumVgprs: 0
; NumAgprs: 0
; TotalNumVgprs: 0
; ScratchSize: 0
; MemoryBound: 0
; FloatMode: 240
; IeeeMode: 1
; LDSByteSize: 0 bytes/workgroup (compile time only)
; SGPRBlocks: 0
; VGPRBlocks: 0
; NumSGPRsForWavesPerEU: 6
; NumVGPRsForWavesPerEU: 1
; AccumOffset: 4
; Occupancy: 8
; WaveLimiterHint : 0
; COMPUTE_PGM_RSRC2:SCRATCH_EN: 0
; COMPUTE_PGM_RSRC2:USER_SGPR: 2
; COMPUTE_PGM_RSRC2:TRAP_HANDLER: 0
; COMPUTE_PGM_RSRC2:TGID_X_EN: 1
; COMPUTE_PGM_RSRC2:TGID_Y_EN: 0
; COMPUTE_PGM_RSRC2:TGID_Z_EN: 0
; COMPUTE_PGM_RSRC2:TIDIG_COMP_CNT: 0
; COMPUTE_PGM_RSRC3_GFX90A:ACCUM_OFFSET: 0
; COMPUTE_PGM_RSRC3_GFX90A:TG_SPLIT: 0
	.section	.text._ZN7rocprim17ROCPRIM_400000_NS6detail17trampoline_kernelINS0_14default_configENS1_25transform_config_selectorIjLb0EEEZNS1_14transform_implILb0ES3_S5_PjN6thrust23THRUST_200600_302600_NS6detail15normal_iteratorINS9_10device_ptrIjEEEENS0_8identityIjEEEE10hipError_tT2_T3_mT4_P12ihipStream_tbEUlT_E_NS1_11comp_targetILNS1_3genE10ELNS1_11target_archE1200ELNS1_3gpuE4ELNS1_3repE0EEENS1_30default_config_static_selectorELNS0_4arch9wavefront6targetE1EEEvT1_,"axG",@progbits,_ZN7rocprim17ROCPRIM_400000_NS6detail17trampoline_kernelINS0_14default_configENS1_25transform_config_selectorIjLb0EEEZNS1_14transform_implILb0ES3_S5_PjN6thrust23THRUST_200600_302600_NS6detail15normal_iteratorINS9_10device_ptrIjEEEENS0_8identityIjEEEE10hipError_tT2_T3_mT4_P12ihipStream_tbEUlT_E_NS1_11comp_targetILNS1_3genE10ELNS1_11target_archE1200ELNS1_3gpuE4ELNS1_3repE0EEENS1_30default_config_static_selectorELNS0_4arch9wavefront6targetE1EEEvT1_,comdat
	.protected	_ZN7rocprim17ROCPRIM_400000_NS6detail17trampoline_kernelINS0_14default_configENS1_25transform_config_selectorIjLb0EEEZNS1_14transform_implILb0ES3_S5_PjN6thrust23THRUST_200600_302600_NS6detail15normal_iteratorINS9_10device_ptrIjEEEENS0_8identityIjEEEE10hipError_tT2_T3_mT4_P12ihipStream_tbEUlT_E_NS1_11comp_targetILNS1_3genE10ELNS1_11target_archE1200ELNS1_3gpuE4ELNS1_3repE0EEENS1_30default_config_static_selectorELNS0_4arch9wavefront6targetE1EEEvT1_ ; -- Begin function _ZN7rocprim17ROCPRIM_400000_NS6detail17trampoline_kernelINS0_14default_configENS1_25transform_config_selectorIjLb0EEEZNS1_14transform_implILb0ES3_S5_PjN6thrust23THRUST_200600_302600_NS6detail15normal_iteratorINS9_10device_ptrIjEEEENS0_8identityIjEEEE10hipError_tT2_T3_mT4_P12ihipStream_tbEUlT_E_NS1_11comp_targetILNS1_3genE10ELNS1_11target_archE1200ELNS1_3gpuE4ELNS1_3repE0EEENS1_30default_config_static_selectorELNS0_4arch9wavefront6targetE1EEEvT1_
	.globl	_ZN7rocprim17ROCPRIM_400000_NS6detail17trampoline_kernelINS0_14default_configENS1_25transform_config_selectorIjLb0EEEZNS1_14transform_implILb0ES3_S5_PjN6thrust23THRUST_200600_302600_NS6detail15normal_iteratorINS9_10device_ptrIjEEEENS0_8identityIjEEEE10hipError_tT2_T3_mT4_P12ihipStream_tbEUlT_E_NS1_11comp_targetILNS1_3genE10ELNS1_11target_archE1200ELNS1_3gpuE4ELNS1_3repE0EEENS1_30default_config_static_selectorELNS0_4arch9wavefront6targetE1EEEvT1_
	.p2align	8
	.type	_ZN7rocprim17ROCPRIM_400000_NS6detail17trampoline_kernelINS0_14default_configENS1_25transform_config_selectorIjLb0EEEZNS1_14transform_implILb0ES3_S5_PjN6thrust23THRUST_200600_302600_NS6detail15normal_iteratorINS9_10device_ptrIjEEEENS0_8identityIjEEEE10hipError_tT2_T3_mT4_P12ihipStream_tbEUlT_E_NS1_11comp_targetILNS1_3genE10ELNS1_11target_archE1200ELNS1_3gpuE4ELNS1_3repE0EEENS1_30default_config_static_selectorELNS0_4arch9wavefront6targetE1EEEvT1_,@function
_ZN7rocprim17ROCPRIM_400000_NS6detail17trampoline_kernelINS0_14default_configENS1_25transform_config_selectorIjLb0EEEZNS1_14transform_implILb0ES3_S5_PjN6thrust23THRUST_200600_302600_NS6detail15normal_iteratorINS9_10device_ptrIjEEEENS0_8identityIjEEEE10hipError_tT2_T3_mT4_P12ihipStream_tbEUlT_E_NS1_11comp_targetILNS1_3genE10ELNS1_11target_archE1200ELNS1_3gpuE4ELNS1_3repE0EEENS1_30default_config_static_selectorELNS0_4arch9wavefront6targetE1EEEvT1_: ; @_ZN7rocprim17ROCPRIM_400000_NS6detail17trampoline_kernelINS0_14default_configENS1_25transform_config_selectorIjLb0EEEZNS1_14transform_implILb0ES3_S5_PjN6thrust23THRUST_200600_302600_NS6detail15normal_iteratorINS9_10device_ptrIjEEEENS0_8identityIjEEEE10hipError_tT2_T3_mT4_P12ihipStream_tbEUlT_E_NS1_11comp_targetILNS1_3genE10ELNS1_11target_archE1200ELNS1_3gpuE4ELNS1_3repE0EEENS1_30default_config_static_selectorELNS0_4arch9wavefront6targetE1EEEvT1_
; %bb.0:
	.section	.rodata,"a",@progbits
	.p2align	6, 0x0
	.amdhsa_kernel _ZN7rocprim17ROCPRIM_400000_NS6detail17trampoline_kernelINS0_14default_configENS1_25transform_config_selectorIjLb0EEEZNS1_14transform_implILb0ES3_S5_PjN6thrust23THRUST_200600_302600_NS6detail15normal_iteratorINS9_10device_ptrIjEEEENS0_8identityIjEEEE10hipError_tT2_T3_mT4_P12ihipStream_tbEUlT_E_NS1_11comp_targetILNS1_3genE10ELNS1_11target_archE1200ELNS1_3gpuE4ELNS1_3repE0EEENS1_30default_config_static_selectorELNS0_4arch9wavefront6targetE1EEEvT1_
		.amdhsa_group_segment_fixed_size 0
		.amdhsa_private_segment_fixed_size 0
		.amdhsa_kernarg_size 40
		.amdhsa_user_sgpr_count 2
		.amdhsa_user_sgpr_dispatch_ptr 0
		.amdhsa_user_sgpr_queue_ptr 0
		.amdhsa_user_sgpr_kernarg_segment_ptr 1
		.amdhsa_user_sgpr_dispatch_id 0
		.amdhsa_user_sgpr_kernarg_preload_length 0
		.amdhsa_user_sgpr_kernarg_preload_offset 0
		.amdhsa_user_sgpr_private_segment_size 0
		.amdhsa_uses_dynamic_stack 0
		.amdhsa_enable_private_segment 0
		.amdhsa_system_sgpr_workgroup_id_x 1
		.amdhsa_system_sgpr_workgroup_id_y 0
		.amdhsa_system_sgpr_workgroup_id_z 0
		.amdhsa_system_sgpr_workgroup_info 0
		.amdhsa_system_vgpr_workitem_id 0
		.amdhsa_next_free_vgpr 1
		.amdhsa_next_free_sgpr 0
		.amdhsa_accum_offset 4
		.amdhsa_reserve_vcc 0
		.amdhsa_float_round_mode_32 0
		.amdhsa_float_round_mode_16_64 0
		.amdhsa_float_denorm_mode_32 3
		.amdhsa_float_denorm_mode_16_64 3
		.amdhsa_dx10_clamp 1
		.amdhsa_ieee_mode 1
		.amdhsa_fp16_overflow 0
		.amdhsa_tg_split 0
		.amdhsa_exception_fp_ieee_invalid_op 0
		.amdhsa_exception_fp_denorm_src 0
		.amdhsa_exception_fp_ieee_div_zero 0
		.amdhsa_exception_fp_ieee_overflow 0
		.amdhsa_exception_fp_ieee_underflow 0
		.amdhsa_exception_fp_ieee_inexact 0
		.amdhsa_exception_int_div_zero 0
	.end_amdhsa_kernel
	.section	.text._ZN7rocprim17ROCPRIM_400000_NS6detail17trampoline_kernelINS0_14default_configENS1_25transform_config_selectorIjLb0EEEZNS1_14transform_implILb0ES3_S5_PjN6thrust23THRUST_200600_302600_NS6detail15normal_iteratorINS9_10device_ptrIjEEEENS0_8identityIjEEEE10hipError_tT2_T3_mT4_P12ihipStream_tbEUlT_E_NS1_11comp_targetILNS1_3genE10ELNS1_11target_archE1200ELNS1_3gpuE4ELNS1_3repE0EEENS1_30default_config_static_selectorELNS0_4arch9wavefront6targetE1EEEvT1_,"axG",@progbits,_ZN7rocprim17ROCPRIM_400000_NS6detail17trampoline_kernelINS0_14default_configENS1_25transform_config_selectorIjLb0EEEZNS1_14transform_implILb0ES3_S5_PjN6thrust23THRUST_200600_302600_NS6detail15normal_iteratorINS9_10device_ptrIjEEEENS0_8identityIjEEEE10hipError_tT2_T3_mT4_P12ihipStream_tbEUlT_E_NS1_11comp_targetILNS1_3genE10ELNS1_11target_archE1200ELNS1_3gpuE4ELNS1_3repE0EEENS1_30default_config_static_selectorELNS0_4arch9wavefront6targetE1EEEvT1_,comdat
.Lfunc_end1023:
	.size	_ZN7rocprim17ROCPRIM_400000_NS6detail17trampoline_kernelINS0_14default_configENS1_25transform_config_selectorIjLb0EEEZNS1_14transform_implILb0ES3_S5_PjN6thrust23THRUST_200600_302600_NS6detail15normal_iteratorINS9_10device_ptrIjEEEENS0_8identityIjEEEE10hipError_tT2_T3_mT4_P12ihipStream_tbEUlT_E_NS1_11comp_targetILNS1_3genE10ELNS1_11target_archE1200ELNS1_3gpuE4ELNS1_3repE0EEENS1_30default_config_static_selectorELNS0_4arch9wavefront6targetE1EEEvT1_, .Lfunc_end1023-_ZN7rocprim17ROCPRIM_400000_NS6detail17trampoline_kernelINS0_14default_configENS1_25transform_config_selectorIjLb0EEEZNS1_14transform_implILb0ES3_S5_PjN6thrust23THRUST_200600_302600_NS6detail15normal_iteratorINS9_10device_ptrIjEEEENS0_8identityIjEEEE10hipError_tT2_T3_mT4_P12ihipStream_tbEUlT_E_NS1_11comp_targetILNS1_3genE10ELNS1_11target_archE1200ELNS1_3gpuE4ELNS1_3repE0EEENS1_30default_config_static_selectorELNS0_4arch9wavefront6targetE1EEEvT1_
                                        ; -- End function
	.section	.AMDGPU.csdata,"",@progbits
; Kernel info:
; codeLenInByte = 0
; NumSgprs: 6
; NumVgprs: 0
; NumAgprs: 0
; TotalNumVgprs: 0
; ScratchSize: 0
; MemoryBound: 0
; FloatMode: 240
; IeeeMode: 1
; LDSByteSize: 0 bytes/workgroup (compile time only)
; SGPRBlocks: 0
; VGPRBlocks: 0
; NumSGPRsForWavesPerEU: 6
; NumVGPRsForWavesPerEU: 1
; AccumOffset: 4
; Occupancy: 8
; WaveLimiterHint : 0
; COMPUTE_PGM_RSRC2:SCRATCH_EN: 0
; COMPUTE_PGM_RSRC2:USER_SGPR: 2
; COMPUTE_PGM_RSRC2:TRAP_HANDLER: 0
; COMPUTE_PGM_RSRC2:TGID_X_EN: 1
; COMPUTE_PGM_RSRC2:TGID_Y_EN: 0
; COMPUTE_PGM_RSRC2:TGID_Z_EN: 0
; COMPUTE_PGM_RSRC2:TIDIG_COMP_CNT: 0
; COMPUTE_PGM_RSRC3_GFX90A:ACCUM_OFFSET: 0
; COMPUTE_PGM_RSRC3_GFX90A:TG_SPLIT: 0
	.section	.text._ZN7rocprim17ROCPRIM_400000_NS6detail17trampoline_kernelINS0_14default_configENS1_25transform_config_selectorIjLb0EEEZNS1_14transform_implILb0ES3_S5_PjN6thrust23THRUST_200600_302600_NS6detail15normal_iteratorINS9_10device_ptrIjEEEENS0_8identityIjEEEE10hipError_tT2_T3_mT4_P12ihipStream_tbEUlT_E_NS1_11comp_targetILNS1_3genE9ELNS1_11target_archE1100ELNS1_3gpuE3ELNS1_3repE0EEENS1_30default_config_static_selectorELNS0_4arch9wavefront6targetE1EEEvT1_,"axG",@progbits,_ZN7rocprim17ROCPRIM_400000_NS6detail17trampoline_kernelINS0_14default_configENS1_25transform_config_selectorIjLb0EEEZNS1_14transform_implILb0ES3_S5_PjN6thrust23THRUST_200600_302600_NS6detail15normal_iteratorINS9_10device_ptrIjEEEENS0_8identityIjEEEE10hipError_tT2_T3_mT4_P12ihipStream_tbEUlT_E_NS1_11comp_targetILNS1_3genE9ELNS1_11target_archE1100ELNS1_3gpuE3ELNS1_3repE0EEENS1_30default_config_static_selectorELNS0_4arch9wavefront6targetE1EEEvT1_,comdat
	.protected	_ZN7rocprim17ROCPRIM_400000_NS6detail17trampoline_kernelINS0_14default_configENS1_25transform_config_selectorIjLb0EEEZNS1_14transform_implILb0ES3_S5_PjN6thrust23THRUST_200600_302600_NS6detail15normal_iteratorINS9_10device_ptrIjEEEENS0_8identityIjEEEE10hipError_tT2_T3_mT4_P12ihipStream_tbEUlT_E_NS1_11comp_targetILNS1_3genE9ELNS1_11target_archE1100ELNS1_3gpuE3ELNS1_3repE0EEENS1_30default_config_static_selectorELNS0_4arch9wavefront6targetE1EEEvT1_ ; -- Begin function _ZN7rocprim17ROCPRIM_400000_NS6detail17trampoline_kernelINS0_14default_configENS1_25transform_config_selectorIjLb0EEEZNS1_14transform_implILb0ES3_S5_PjN6thrust23THRUST_200600_302600_NS6detail15normal_iteratorINS9_10device_ptrIjEEEENS0_8identityIjEEEE10hipError_tT2_T3_mT4_P12ihipStream_tbEUlT_E_NS1_11comp_targetILNS1_3genE9ELNS1_11target_archE1100ELNS1_3gpuE3ELNS1_3repE0EEENS1_30default_config_static_selectorELNS0_4arch9wavefront6targetE1EEEvT1_
	.globl	_ZN7rocprim17ROCPRIM_400000_NS6detail17trampoline_kernelINS0_14default_configENS1_25transform_config_selectorIjLb0EEEZNS1_14transform_implILb0ES3_S5_PjN6thrust23THRUST_200600_302600_NS6detail15normal_iteratorINS9_10device_ptrIjEEEENS0_8identityIjEEEE10hipError_tT2_T3_mT4_P12ihipStream_tbEUlT_E_NS1_11comp_targetILNS1_3genE9ELNS1_11target_archE1100ELNS1_3gpuE3ELNS1_3repE0EEENS1_30default_config_static_selectorELNS0_4arch9wavefront6targetE1EEEvT1_
	.p2align	8
	.type	_ZN7rocprim17ROCPRIM_400000_NS6detail17trampoline_kernelINS0_14default_configENS1_25transform_config_selectorIjLb0EEEZNS1_14transform_implILb0ES3_S5_PjN6thrust23THRUST_200600_302600_NS6detail15normal_iteratorINS9_10device_ptrIjEEEENS0_8identityIjEEEE10hipError_tT2_T3_mT4_P12ihipStream_tbEUlT_E_NS1_11comp_targetILNS1_3genE9ELNS1_11target_archE1100ELNS1_3gpuE3ELNS1_3repE0EEENS1_30default_config_static_selectorELNS0_4arch9wavefront6targetE1EEEvT1_,@function
_ZN7rocprim17ROCPRIM_400000_NS6detail17trampoline_kernelINS0_14default_configENS1_25transform_config_selectorIjLb0EEEZNS1_14transform_implILb0ES3_S5_PjN6thrust23THRUST_200600_302600_NS6detail15normal_iteratorINS9_10device_ptrIjEEEENS0_8identityIjEEEE10hipError_tT2_T3_mT4_P12ihipStream_tbEUlT_E_NS1_11comp_targetILNS1_3genE9ELNS1_11target_archE1100ELNS1_3gpuE3ELNS1_3repE0EEENS1_30default_config_static_selectorELNS0_4arch9wavefront6targetE1EEEvT1_: ; @_ZN7rocprim17ROCPRIM_400000_NS6detail17trampoline_kernelINS0_14default_configENS1_25transform_config_selectorIjLb0EEEZNS1_14transform_implILb0ES3_S5_PjN6thrust23THRUST_200600_302600_NS6detail15normal_iteratorINS9_10device_ptrIjEEEENS0_8identityIjEEEE10hipError_tT2_T3_mT4_P12ihipStream_tbEUlT_E_NS1_11comp_targetILNS1_3genE9ELNS1_11target_archE1100ELNS1_3gpuE3ELNS1_3repE0EEENS1_30default_config_static_selectorELNS0_4arch9wavefront6targetE1EEEvT1_
; %bb.0:
	.section	.rodata,"a",@progbits
	.p2align	6, 0x0
	.amdhsa_kernel _ZN7rocprim17ROCPRIM_400000_NS6detail17trampoline_kernelINS0_14default_configENS1_25transform_config_selectorIjLb0EEEZNS1_14transform_implILb0ES3_S5_PjN6thrust23THRUST_200600_302600_NS6detail15normal_iteratorINS9_10device_ptrIjEEEENS0_8identityIjEEEE10hipError_tT2_T3_mT4_P12ihipStream_tbEUlT_E_NS1_11comp_targetILNS1_3genE9ELNS1_11target_archE1100ELNS1_3gpuE3ELNS1_3repE0EEENS1_30default_config_static_selectorELNS0_4arch9wavefront6targetE1EEEvT1_
		.amdhsa_group_segment_fixed_size 0
		.amdhsa_private_segment_fixed_size 0
		.amdhsa_kernarg_size 40
		.amdhsa_user_sgpr_count 2
		.amdhsa_user_sgpr_dispatch_ptr 0
		.amdhsa_user_sgpr_queue_ptr 0
		.amdhsa_user_sgpr_kernarg_segment_ptr 1
		.amdhsa_user_sgpr_dispatch_id 0
		.amdhsa_user_sgpr_kernarg_preload_length 0
		.amdhsa_user_sgpr_kernarg_preload_offset 0
		.amdhsa_user_sgpr_private_segment_size 0
		.amdhsa_uses_dynamic_stack 0
		.amdhsa_enable_private_segment 0
		.amdhsa_system_sgpr_workgroup_id_x 1
		.amdhsa_system_sgpr_workgroup_id_y 0
		.amdhsa_system_sgpr_workgroup_id_z 0
		.amdhsa_system_sgpr_workgroup_info 0
		.amdhsa_system_vgpr_workitem_id 0
		.amdhsa_next_free_vgpr 1
		.amdhsa_next_free_sgpr 0
		.amdhsa_accum_offset 4
		.amdhsa_reserve_vcc 0
		.amdhsa_float_round_mode_32 0
		.amdhsa_float_round_mode_16_64 0
		.amdhsa_float_denorm_mode_32 3
		.amdhsa_float_denorm_mode_16_64 3
		.amdhsa_dx10_clamp 1
		.amdhsa_ieee_mode 1
		.amdhsa_fp16_overflow 0
		.amdhsa_tg_split 0
		.amdhsa_exception_fp_ieee_invalid_op 0
		.amdhsa_exception_fp_denorm_src 0
		.amdhsa_exception_fp_ieee_div_zero 0
		.amdhsa_exception_fp_ieee_overflow 0
		.amdhsa_exception_fp_ieee_underflow 0
		.amdhsa_exception_fp_ieee_inexact 0
		.amdhsa_exception_int_div_zero 0
	.end_amdhsa_kernel
	.section	.text._ZN7rocprim17ROCPRIM_400000_NS6detail17trampoline_kernelINS0_14default_configENS1_25transform_config_selectorIjLb0EEEZNS1_14transform_implILb0ES3_S5_PjN6thrust23THRUST_200600_302600_NS6detail15normal_iteratorINS9_10device_ptrIjEEEENS0_8identityIjEEEE10hipError_tT2_T3_mT4_P12ihipStream_tbEUlT_E_NS1_11comp_targetILNS1_3genE9ELNS1_11target_archE1100ELNS1_3gpuE3ELNS1_3repE0EEENS1_30default_config_static_selectorELNS0_4arch9wavefront6targetE1EEEvT1_,"axG",@progbits,_ZN7rocprim17ROCPRIM_400000_NS6detail17trampoline_kernelINS0_14default_configENS1_25transform_config_selectorIjLb0EEEZNS1_14transform_implILb0ES3_S5_PjN6thrust23THRUST_200600_302600_NS6detail15normal_iteratorINS9_10device_ptrIjEEEENS0_8identityIjEEEE10hipError_tT2_T3_mT4_P12ihipStream_tbEUlT_E_NS1_11comp_targetILNS1_3genE9ELNS1_11target_archE1100ELNS1_3gpuE3ELNS1_3repE0EEENS1_30default_config_static_selectorELNS0_4arch9wavefront6targetE1EEEvT1_,comdat
.Lfunc_end1024:
	.size	_ZN7rocprim17ROCPRIM_400000_NS6detail17trampoline_kernelINS0_14default_configENS1_25transform_config_selectorIjLb0EEEZNS1_14transform_implILb0ES3_S5_PjN6thrust23THRUST_200600_302600_NS6detail15normal_iteratorINS9_10device_ptrIjEEEENS0_8identityIjEEEE10hipError_tT2_T3_mT4_P12ihipStream_tbEUlT_E_NS1_11comp_targetILNS1_3genE9ELNS1_11target_archE1100ELNS1_3gpuE3ELNS1_3repE0EEENS1_30default_config_static_selectorELNS0_4arch9wavefront6targetE1EEEvT1_, .Lfunc_end1024-_ZN7rocprim17ROCPRIM_400000_NS6detail17trampoline_kernelINS0_14default_configENS1_25transform_config_selectorIjLb0EEEZNS1_14transform_implILb0ES3_S5_PjN6thrust23THRUST_200600_302600_NS6detail15normal_iteratorINS9_10device_ptrIjEEEENS0_8identityIjEEEE10hipError_tT2_T3_mT4_P12ihipStream_tbEUlT_E_NS1_11comp_targetILNS1_3genE9ELNS1_11target_archE1100ELNS1_3gpuE3ELNS1_3repE0EEENS1_30default_config_static_selectorELNS0_4arch9wavefront6targetE1EEEvT1_
                                        ; -- End function
	.section	.AMDGPU.csdata,"",@progbits
; Kernel info:
; codeLenInByte = 0
; NumSgprs: 6
; NumVgprs: 0
; NumAgprs: 0
; TotalNumVgprs: 0
; ScratchSize: 0
; MemoryBound: 0
; FloatMode: 240
; IeeeMode: 1
; LDSByteSize: 0 bytes/workgroup (compile time only)
; SGPRBlocks: 0
; VGPRBlocks: 0
; NumSGPRsForWavesPerEU: 6
; NumVGPRsForWavesPerEU: 1
; AccumOffset: 4
; Occupancy: 8
; WaveLimiterHint : 0
; COMPUTE_PGM_RSRC2:SCRATCH_EN: 0
; COMPUTE_PGM_RSRC2:USER_SGPR: 2
; COMPUTE_PGM_RSRC2:TRAP_HANDLER: 0
; COMPUTE_PGM_RSRC2:TGID_X_EN: 1
; COMPUTE_PGM_RSRC2:TGID_Y_EN: 0
; COMPUTE_PGM_RSRC2:TGID_Z_EN: 0
; COMPUTE_PGM_RSRC2:TIDIG_COMP_CNT: 0
; COMPUTE_PGM_RSRC3_GFX90A:ACCUM_OFFSET: 0
; COMPUTE_PGM_RSRC3_GFX90A:TG_SPLIT: 0
	.section	.text._ZN7rocprim17ROCPRIM_400000_NS6detail17trampoline_kernelINS0_14default_configENS1_25transform_config_selectorIjLb0EEEZNS1_14transform_implILb0ES3_S5_PjN6thrust23THRUST_200600_302600_NS6detail15normal_iteratorINS9_10device_ptrIjEEEENS0_8identityIjEEEE10hipError_tT2_T3_mT4_P12ihipStream_tbEUlT_E_NS1_11comp_targetILNS1_3genE8ELNS1_11target_archE1030ELNS1_3gpuE2ELNS1_3repE0EEENS1_30default_config_static_selectorELNS0_4arch9wavefront6targetE1EEEvT1_,"axG",@progbits,_ZN7rocprim17ROCPRIM_400000_NS6detail17trampoline_kernelINS0_14default_configENS1_25transform_config_selectorIjLb0EEEZNS1_14transform_implILb0ES3_S5_PjN6thrust23THRUST_200600_302600_NS6detail15normal_iteratorINS9_10device_ptrIjEEEENS0_8identityIjEEEE10hipError_tT2_T3_mT4_P12ihipStream_tbEUlT_E_NS1_11comp_targetILNS1_3genE8ELNS1_11target_archE1030ELNS1_3gpuE2ELNS1_3repE0EEENS1_30default_config_static_selectorELNS0_4arch9wavefront6targetE1EEEvT1_,comdat
	.protected	_ZN7rocprim17ROCPRIM_400000_NS6detail17trampoline_kernelINS0_14default_configENS1_25transform_config_selectorIjLb0EEEZNS1_14transform_implILb0ES3_S5_PjN6thrust23THRUST_200600_302600_NS6detail15normal_iteratorINS9_10device_ptrIjEEEENS0_8identityIjEEEE10hipError_tT2_T3_mT4_P12ihipStream_tbEUlT_E_NS1_11comp_targetILNS1_3genE8ELNS1_11target_archE1030ELNS1_3gpuE2ELNS1_3repE0EEENS1_30default_config_static_selectorELNS0_4arch9wavefront6targetE1EEEvT1_ ; -- Begin function _ZN7rocprim17ROCPRIM_400000_NS6detail17trampoline_kernelINS0_14default_configENS1_25transform_config_selectorIjLb0EEEZNS1_14transform_implILb0ES3_S5_PjN6thrust23THRUST_200600_302600_NS6detail15normal_iteratorINS9_10device_ptrIjEEEENS0_8identityIjEEEE10hipError_tT2_T3_mT4_P12ihipStream_tbEUlT_E_NS1_11comp_targetILNS1_3genE8ELNS1_11target_archE1030ELNS1_3gpuE2ELNS1_3repE0EEENS1_30default_config_static_selectorELNS0_4arch9wavefront6targetE1EEEvT1_
	.globl	_ZN7rocprim17ROCPRIM_400000_NS6detail17trampoline_kernelINS0_14default_configENS1_25transform_config_selectorIjLb0EEEZNS1_14transform_implILb0ES3_S5_PjN6thrust23THRUST_200600_302600_NS6detail15normal_iteratorINS9_10device_ptrIjEEEENS0_8identityIjEEEE10hipError_tT2_T3_mT4_P12ihipStream_tbEUlT_E_NS1_11comp_targetILNS1_3genE8ELNS1_11target_archE1030ELNS1_3gpuE2ELNS1_3repE0EEENS1_30default_config_static_selectorELNS0_4arch9wavefront6targetE1EEEvT1_
	.p2align	8
	.type	_ZN7rocprim17ROCPRIM_400000_NS6detail17trampoline_kernelINS0_14default_configENS1_25transform_config_selectorIjLb0EEEZNS1_14transform_implILb0ES3_S5_PjN6thrust23THRUST_200600_302600_NS6detail15normal_iteratorINS9_10device_ptrIjEEEENS0_8identityIjEEEE10hipError_tT2_T3_mT4_P12ihipStream_tbEUlT_E_NS1_11comp_targetILNS1_3genE8ELNS1_11target_archE1030ELNS1_3gpuE2ELNS1_3repE0EEENS1_30default_config_static_selectorELNS0_4arch9wavefront6targetE1EEEvT1_,@function
_ZN7rocprim17ROCPRIM_400000_NS6detail17trampoline_kernelINS0_14default_configENS1_25transform_config_selectorIjLb0EEEZNS1_14transform_implILb0ES3_S5_PjN6thrust23THRUST_200600_302600_NS6detail15normal_iteratorINS9_10device_ptrIjEEEENS0_8identityIjEEEE10hipError_tT2_T3_mT4_P12ihipStream_tbEUlT_E_NS1_11comp_targetILNS1_3genE8ELNS1_11target_archE1030ELNS1_3gpuE2ELNS1_3repE0EEENS1_30default_config_static_selectorELNS0_4arch9wavefront6targetE1EEEvT1_: ; @_ZN7rocprim17ROCPRIM_400000_NS6detail17trampoline_kernelINS0_14default_configENS1_25transform_config_selectorIjLb0EEEZNS1_14transform_implILb0ES3_S5_PjN6thrust23THRUST_200600_302600_NS6detail15normal_iteratorINS9_10device_ptrIjEEEENS0_8identityIjEEEE10hipError_tT2_T3_mT4_P12ihipStream_tbEUlT_E_NS1_11comp_targetILNS1_3genE8ELNS1_11target_archE1030ELNS1_3gpuE2ELNS1_3repE0EEENS1_30default_config_static_selectorELNS0_4arch9wavefront6targetE1EEEvT1_
; %bb.0:
	.section	.rodata,"a",@progbits
	.p2align	6, 0x0
	.amdhsa_kernel _ZN7rocprim17ROCPRIM_400000_NS6detail17trampoline_kernelINS0_14default_configENS1_25transform_config_selectorIjLb0EEEZNS1_14transform_implILb0ES3_S5_PjN6thrust23THRUST_200600_302600_NS6detail15normal_iteratorINS9_10device_ptrIjEEEENS0_8identityIjEEEE10hipError_tT2_T3_mT4_P12ihipStream_tbEUlT_E_NS1_11comp_targetILNS1_3genE8ELNS1_11target_archE1030ELNS1_3gpuE2ELNS1_3repE0EEENS1_30default_config_static_selectorELNS0_4arch9wavefront6targetE1EEEvT1_
		.amdhsa_group_segment_fixed_size 0
		.amdhsa_private_segment_fixed_size 0
		.amdhsa_kernarg_size 40
		.amdhsa_user_sgpr_count 2
		.amdhsa_user_sgpr_dispatch_ptr 0
		.amdhsa_user_sgpr_queue_ptr 0
		.amdhsa_user_sgpr_kernarg_segment_ptr 1
		.amdhsa_user_sgpr_dispatch_id 0
		.amdhsa_user_sgpr_kernarg_preload_length 0
		.amdhsa_user_sgpr_kernarg_preload_offset 0
		.amdhsa_user_sgpr_private_segment_size 0
		.amdhsa_uses_dynamic_stack 0
		.amdhsa_enable_private_segment 0
		.amdhsa_system_sgpr_workgroup_id_x 1
		.amdhsa_system_sgpr_workgroup_id_y 0
		.amdhsa_system_sgpr_workgroup_id_z 0
		.amdhsa_system_sgpr_workgroup_info 0
		.amdhsa_system_vgpr_workitem_id 0
		.amdhsa_next_free_vgpr 1
		.amdhsa_next_free_sgpr 0
		.amdhsa_accum_offset 4
		.amdhsa_reserve_vcc 0
		.amdhsa_float_round_mode_32 0
		.amdhsa_float_round_mode_16_64 0
		.amdhsa_float_denorm_mode_32 3
		.amdhsa_float_denorm_mode_16_64 3
		.amdhsa_dx10_clamp 1
		.amdhsa_ieee_mode 1
		.amdhsa_fp16_overflow 0
		.amdhsa_tg_split 0
		.amdhsa_exception_fp_ieee_invalid_op 0
		.amdhsa_exception_fp_denorm_src 0
		.amdhsa_exception_fp_ieee_div_zero 0
		.amdhsa_exception_fp_ieee_overflow 0
		.amdhsa_exception_fp_ieee_underflow 0
		.amdhsa_exception_fp_ieee_inexact 0
		.amdhsa_exception_int_div_zero 0
	.end_amdhsa_kernel
	.section	.text._ZN7rocprim17ROCPRIM_400000_NS6detail17trampoline_kernelINS0_14default_configENS1_25transform_config_selectorIjLb0EEEZNS1_14transform_implILb0ES3_S5_PjN6thrust23THRUST_200600_302600_NS6detail15normal_iteratorINS9_10device_ptrIjEEEENS0_8identityIjEEEE10hipError_tT2_T3_mT4_P12ihipStream_tbEUlT_E_NS1_11comp_targetILNS1_3genE8ELNS1_11target_archE1030ELNS1_3gpuE2ELNS1_3repE0EEENS1_30default_config_static_selectorELNS0_4arch9wavefront6targetE1EEEvT1_,"axG",@progbits,_ZN7rocprim17ROCPRIM_400000_NS6detail17trampoline_kernelINS0_14default_configENS1_25transform_config_selectorIjLb0EEEZNS1_14transform_implILb0ES3_S5_PjN6thrust23THRUST_200600_302600_NS6detail15normal_iteratorINS9_10device_ptrIjEEEENS0_8identityIjEEEE10hipError_tT2_T3_mT4_P12ihipStream_tbEUlT_E_NS1_11comp_targetILNS1_3genE8ELNS1_11target_archE1030ELNS1_3gpuE2ELNS1_3repE0EEENS1_30default_config_static_selectorELNS0_4arch9wavefront6targetE1EEEvT1_,comdat
.Lfunc_end1025:
	.size	_ZN7rocprim17ROCPRIM_400000_NS6detail17trampoline_kernelINS0_14default_configENS1_25transform_config_selectorIjLb0EEEZNS1_14transform_implILb0ES3_S5_PjN6thrust23THRUST_200600_302600_NS6detail15normal_iteratorINS9_10device_ptrIjEEEENS0_8identityIjEEEE10hipError_tT2_T3_mT4_P12ihipStream_tbEUlT_E_NS1_11comp_targetILNS1_3genE8ELNS1_11target_archE1030ELNS1_3gpuE2ELNS1_3repE0EEENS1_30default_config_static_selectorELNS0_4arch9wavefront6targetE1EEEvT1_, .Lfunc_end1025-_ZN7rocprim17ROCPRIM_400000_NS6detail17trampoline_kernelINS0_14default_configENS1_25transform_config_selectorIjLb0EEEZNS1_14transform_implILb0ES3_S5_PjN6thrust23THRUST_200600_302600_NS6detail15normal_iteratorINS9_10device_ptrIjEEEENS0_8identityIjEEEE10hipError_tT2_T3_mT4_P12ihipStream_tbEUlT_E_NS1_11comp_targetILNS1_3genE8ELNS1_11target_archE1030ELNS1_3gpuE2ELNS1_3repE0EEENS1_30default_config_static_selectorELNS0_4arch9wavefront6targetE1EEEvT1_
                                        ; -- End function
	.section	.AMDGPU.csdata,"",@progbits
; Kernel info:
; codeLenInByte = 0
; NumSgprs: 6
; NumVgprs: 0
; NumAgprs: 0
; TotalNumVgprs: 0
; ScratchSize: 0
; MemoryBound: 0
; FloatMode: 240
; IeeeMode: 1
; LDSByteSize: 0 bytes/workgroup (compile time only)
; SGPRBlocks: 0
; VGPRBlocks: 0
; NumSGPRsForWavesPerEU: 6
; NumVGPRsForWavesPerEU: 1
; AccumOffset: 4
; Occupancy: 8
; WaveLimiterHint : 0
; COMPUTE_PGM_RSRC2:SCRATCH_EN: 0
; COMPUTE_PGM_RSRC2:USER_SGPR: 2
; COMPUTE_PGM_RSRC2:TRAP_HANDLER: 0
; COMPUTE_PGM_RSRC2:TGID_X_EN: 1
; COMPUTE_PGM_RSRC2:TGID_Y_EN: 0
; COMPUTE_PGM_RSRC2:TGID_Z_EN: 0
; COMPUTE_PGM_RSRC2:TIDIG_COMP_CNT: 0
; COMPUTE_PGM_RSRC3_GFX90A:ACCUM_OFFSET: 0
; COMPUTE_PGM_RSRC3_GFX90A:TG_SPLIT: 0
	.section	.text._ZN7rocprim17ROCPRIM_400000_NS6detail17trampoline_kernelINS0_14default_configENS1_38merge_sort_block_merge_config_selectorIjNS0_10empty_typeEEEZZNS1_27merge_sort_block_merge_implIS3_N6thrust23THRUST_200600_302600_NS6detail15normal_iteratorINS9_10device_ptrIjEEEEPS5_jNS1_19radix_merge_compareILb0ELb1EjNS0_19identity_decomposerEEEEE10hipError_tT0_T1_T2_jT3_P12ihipStream_tbPNSt15iterator_traitsISK_E10value_typeEPNSQ_ISL_E10value_typeEPSM_NS1_7vsmem_tEENKUlT_SK_SL_SM_E_clIPjSE_SF_SF_EESJ_SZ_SK_SL_SM_EUlSZ_E_NS1_11comp_targetILNS1_3genE0ELNS1_11target_archE4294967295ELNS1_3gpuE0ELNS1_3repE0EEENS1_48merge_mergepath_partition_config_static_selectorELNS0_4arch9wavefront6targetE1EEEvSL_,"axG",@progbits,_ZN7rocprim17ROCPRIM_400000_NS6detail17trampoline_kernelINS0_14default_configENS1_38merge_sort_block_merge_config_selectorIjNS0_10empty_typeEEEZZNS1_27merge_sort_block_merge_implIS3_N6thrust23THRUST_200600_302600_NS6detail15normal_iteratorINS9_10device_ptrIjEEEEPS5_jNS1_19radix_merge_compareILb0ELb1EjNS0_19identity_decomposerEEEEE10hipError_tT0_T1_T2_jT3_P12ihipStream_tbPNSt15iterator_traitsISK_E10value_typeEPNSQ_ISL_E10value_typeEPSM_NS1_7vsmem_tEENKUlT_SK_SL_SM_E_clIPjSE_SF_SF_EESJ_SZ_SK_SL_SM_EUlSZ_E_NS1_11comp_targetILNS1_3genE0ELNS1_11target_archE4294967295ELNS1_3gpuE0ELNS1_3repE0EEENS1_48merge_mergepath_partition_config_static_selectorELNS0_4arch9wavefront6targetE1EEEvSL_,comdat
	.protected	_ZN7rocprim17ROCPRIM_400000_NS6detail17trampoline_kernelINS0_14default_configENS1_38merge_sort_block_merge_config_selectorIjNS0_10empty_typeEEEZZNS1_27merge_sort_block_merge_implIS3_N6thrust23THRUST_200600_302600_NS6detail15normal_iteratorINS9_10device_ptrIjEEEEPS5_jNS1_19radix_merge_compareILb0ELb1EjNS0_19identity_decomposerEEEEE10hipError_tT0_T1_T2_jT3_P12ihipStream_tbPNSt15iterator_traitsISK_E10value_typeEPNSQ_ISL_E10value_typeEPSM_NS1_7vsmem_tEENKUlT_SK_SL_SM_E_clIPjSE_SF_SF_EESJ_SZ_SK_SL_SM_EUlSZ_E_NS1_11comp_targetILNS1_3genE0ELNS1_11target_archE4294967295ELNS1_3gpuE0ELNS1_3repE0EEENS1_48merge_mergepath_partition_config_static_selectorELNS0_4arch9wavefront6targetE1EEEvSL_ ; -- Begin function _ZN7rocprim17ROCPRIM_400000_NS6detail17trampoline_kernelINS0_14default_configENS1_38merge_sort_block_merge_config_selectorIjNS0_10empty_typeEEEZZNS1_27merge_sort_block_merge_implIS3_N6thrust23THRUST_200600_302600_NS6detail15normal_iteratorINS9_10device_ptrIjEEEEPS5_jNS1_19radix_merge_compareILb0ELb1EjNS0_19identity_decomposerEEEEE10hipError_tT0_T1_T2_jT3_P12ihipStream_tbPNSt15iterator_traitsISK_E10value_typeEPNSQ_ISL_E10value_typeEPSM_NS1_7vsmem_tEENKUlT_SK_SL_SM_E_clIPjSE_SF_SF_EESJ_SZ_SK_SL_SM_EUlSZ_E_NS1_11comp_targetILNS1_3genE0ELNS1_11target_archE4294967295ELNS1_3gpuE0ELNS1_3repE0EEENS1_48merge_mergepath_partition_config_static_selectorELNS0_4arch9wavefront6targetE1EEEvSL_
	.globl	_ZN7rocprim17ROCPRIM_400000_NS6detail17trampoline_kernelINS0_14default_configENS1_38merge_sort_block_merge_config_selectorIjNS0_10empty_typeEEEZZNS1_27merge_sort_block_merge_implIS3_N6thrust23THRUST_200600_302600_NS6detail15normal_iteratorINS9_10device_ptrIjEEEEPS5_jNS1_19radix_merge_compareILb0ELb1EjNS0_19identity_decomposerEEEEE10hipError_tT0_T1_T2_jT3_P12ihipStream_tbPNSt15iterator_traitsISK_E10value_typeEPNSQ_ISL_E10value_typeEPSM_NS1_7vsmem_tEENKUlT_SK_SL_SM_E_clIPjSE_SF_SF_EESJ_SZ_SK_SL_SM_EUlSZ_E_NS1_11comp_targetILNS1_3genE0ELNS1_11target_archE4294967295ELNS1_3gpuE0ELNS1_3repE0EEENS1_48merge_mergepath_partition_config_static_selectorELNS0_4arch9wavefront6targetE1EEEvSL_
	.p2align	8
	.type	_ZN7rocprim17ROCPRIM_400000_NS6detail17trampoline_kernelINS0_14default_configENS1_38merge_sort_block_merge_config_selectorIjNS0_10empty_typeEEEZZNS1_27merge_sort_block_merge_implIS3_N6thrust23THRUST_200600_302600_NS6detail15normal_iteratorINS9_10device_ptrIjEEEEPS5_jNS1_19radix_merge_compareILb0ELb1EjNS0_19identity_decomposerEEEEE10hipError_tT0_T1_T2_jT3_P12ihipStream_tbPNSt15iterator_traitsISK_E10value_typeEPNSQ_ISL_E10value_typeEPSM_NS1_7vsmem_tEENKUlT_SK_SL_SM_E_clIPjSE_SF_SF_EESJ_SZ_SK_SL_SM_EUlSZ_E_NS1_11comp_targetILNS1_3genE0ELNS1_11target_archE4294967295ELNS1_3gpuE0ELNS1_3repE0EEENS1_48merge_mergepath_partition_config_static_selectorELNS0_4arch9wavefront6targetE1EEEvSL_,@function
_ZN7rocprim17ROCPRIM_400000_NS6detail17trampoline_kernelINS0_14default_configENS1_38merge_sort_block_merge_config_selectorIjNS0_10empty_typeEEEZZNS1_27merge_sort_block_merge_implIS3_N6thrust23THRUST_200600_302600_NS6detail15normal_iteratorINS9_10device_ptrIjEEEEPS5_jNS1_19radix_merge_compareILb0ELb1EjNS0_19identity_decomposerEEEEE10hipError_tT0_T1_T2_jT3_P12ihipStream_tbPNSt15iterator_traitsISK_E10value_typeEPNSQ_ISL_E10value_typeEPSM_NS1_7vsmem_tEENKUlT_SK_SL_SM_E_clIPjSE_SF_SF_EESJ_SZ_SK_SL_SM_EUlSZ_E_NS1_11comp_targetILNS1_3genE0ELNS1_11target_archE4294967295ELNS1_3gpuE0ELNS1_3repE0EEENS1_48merge_mergepath_partition_config_static_selectorELNS0_4arch9wavefront6targetE1EEEvSL_: ; @_ZN7rocprim17ROCPRIM_400000_NS6detail17trampoline_kernelINS0_14default_configENS1_38merge_sort_block_merge_config_selectorIjNS0_10empty_typeEEEZZNS1_27merge_sort_block_merge_implIS3_N6thrust23THRUST_200600_302600_NS6detail15normal_iteratorINS9_10device_ptrIjEEEEPS5_jNS1_19radix_merge_compareILb0ELb1EjNS0_19identity_decomposerEEEEE10hipError_tT0_T1_T2_jT3_P12ihipStream_tbPNSt15iterator_traitsISK_E10value_typeEPNSQ_ISL_E10value_typeEPSM_NS1_7vsmem_tEENKUlT_SK_SL_SM_E_clIPjSE_SF_SF_EESJ_SZ_SK_SL_SM_EUlSZ_E_NS1_11comp_targetILNS1_3genE0ELNS1_11target_archE4294967295ELNS1_3gpuE0ELNS1_3repE0EEENS1_48merge_mergepath_partition_config_static_selectorELNS0_4arch9wavefront6targetE1EEEvSL_
; %bb.0:
	.section	.rodata,"a",@progbits
	.p2align	6, 0x0
	.amdhsa_kernel _ZN7rocprim17ROCPRIM_400000_NS6detail17trampoline_kernelINS0_14default_configENS1_38merge_sort_block_merge_config_selectorIjNS0_10empty_typeEEEZZNS1_27merge_sort_block_merge_implIS3_N6thrust23THRUST_200600_302600_NS6detail15normal_iteratorINS9_10device_ptrIjEEEEPS5_jNS1_19radix_merge_compareILb0ELb1EjNS0_19identity_decomposerEEEEE10hipError_tT0_T1_T2_jT3_P12ihipStream_tbPNSt15iterator_traitsISK_E10value_typeEPNSQ_ISL_E10value_typeEPSM_NS1_7vsmem_tEENKUlT_SK_SL_SM_E_clIPjSE_SF_SF_EESJ_SZ_SK_SL_SM_EUlSZ_E_NS1_11comp_targetILNS1_3genE0ELNS1_11target_archE4294967295ELNS1_3gpuE0ELNS1_3repE0EEENS1_48merge_mergepath_partition_config_static_selectorELNS0_4arch9wavefront6targetE1EEEvSL_
		.amdhsa_group_segment_fixed_size 0
		.amdhsa_private_segment_fixed_size 0
		.amdhsa_kernarg_size 40
		.amdhsa_user_sgpr_count 2
		.amdhsa_user_sgpr_dispatch_ptr 0
		.amdhsa_user_sgpr_queue_ptr 0
		.amdhsa_user_sgpr_kernarg_segment_ptr 1
		.amdhsa_user_sgpr_dispatch_id 0
		.amdhsa_user_sgpr_kernarg_preload_length 0
		.amdhsa_user_sgpr_kernarg_preload_offset 0
		.amdhsa_user_sgpr_private_segment_size 0
		.amdhsa_uses_dynamic_stack 0
		.amdhsa_enable_private_segment 0
		.amdhsa_system_sgpr_workgroup_id_x 1
		.amdhsa_system_sgpr_workgroup_id_y 0
		.amdhsa_system_sgpr_workgroup_id_z 0
		.amdhsa_system_sgpr_workgroup_info 0
		.amdhsa_system_vgpr_workitem_id 0
		.amdhsa_next_free_vgpr 1
		.amdhsa_next_free_sgpr 0
		.amdhsa_accum_offset 4
		.amdhsa_reserve_vcc 0
		.amdhsa_float_round_mode_32 0
		.amdhsa_float_round_mode_16_64 0
		.amdhsa_float_denorm_mode_32 3
		.amdhsa_float_denorm_mode_16_64 3
		.amdhsa_dx10_clamp 1
		.amdhsa_ieee_mode 1
		.amdhsa_fp16_overflow 0
		.amdhsa_tg_split 0
		.amdhsa_exception_fp_ieee_invalid_op 0
		.amdhsa_exception_fp_denorm_src 0
		.amdhsa_exception_fp_ieee_div_zero 0
		.amdhsa_exception_fp_ieee_overflow 0
		.amdhsa_exception_fp_ieee_underflow 0
		.amdhsa_exception_fp_ieee_inexact 0
		.amdhsa_exception_int_div_zero 0
	.end_amdhsa_kernel
	.section	.text._ZN7rocprim17ROCPRIM_400000_NS6detail17trampoline_kernelINS0_14default_configENS1_38merge_sort_block_merge_config_selectorIjNS0_10empty_typeEEEZZNS1_27merge_sort_block_merge_implIS3_N6thrust23THRUST_200600_302600_NS6detail15normal_iteratorINS9_10device_ptrIjEEEEPS5_jNS1_19radix_merge_compareILb0ELb1EjNS0_19identity_decomposerEEEEE10hipError_tT0_T1_T2_jT3_P12ihipStream_tbPNSt15iterator_traitsISK_E10value_typeEPNSQ_ISL_E10value_typeEPSM_NS1_7vsmem_tEENKUlT_SK_SL_SM_E_clIPjSE_SF_SF_EESJ_SZ_SK_SL_SM_EUlSZ_E_NS1_11comp_targetILNS1_3genE0ELNS1_11target_archE4294967295ELNS1_3gpuE0ELNS1_3repE0EEENS1_48merge_mergepath_partition_config_static_selectorELNS0_4arch9wavefront6targetE1EEEvSL_,"axG",@progbits,_ZN7rocprim17ROCPRIM_400000_NS6detail17trampoline_kernelINS0_14default_configENS1_38merge_sort_block_merge_config_selectorIjNS0_10empty_typeEEEZZNS1_27merge_sort_block_merge_implIS3_N6thrust23THRUST_200600_302600_NS6detail15normal_iteratorINS9_10device_ptrIjEEEEPS5_jNS1_19radix_merge_compareILb0ELb1EjNS0_19identity_decomposerEEEEE10hipError_tT0_T1_T2_jT3_P12ihipStream_tbPNSt15iterator_traitsISK_E10value_typeEPNSQ_ISL_E10value_typeEPSM_NS1_7vsmem_tEENKUlT_SK_SL_SM_E_clIPjSE_SF_SF_EESJ_SZ_SK_SL_SM_EUlSZ_E_NS1_11comp_targetILNS1_3genE0ELNS1_11target_archE4294967295ELNS1_3gpuE0ELNS1_3repE0EEENS1_48merge_mergepath_partition_config_static_selectorELNS0_4arch9wavefront6targetE1EEEvSL_,comdat
.Lfunc_end1026:
	.size	_ZN7rocprim17ROCPRIM_400000_NS6detail17trampoline_kernelINS0_14default_configENS1_38merge_sort_block_merge_config_selectorIjNS0_10empty_typeEEEZZNS1_27merge_sort_block_merge_implIS3_N6thrust23THRUST_200600_302600_NS6detail15normal_iteratorINS9_10device_ptrIjEEEEPS5_jNS1_19radix_merge_compareILb0ELb1EjNS0_19identity_decomposerEEEEE10hipError_tT0_T1_T2_jT3_P12ihipStream_tbPNSt15iterator_traitsISK_E10value_typeEPNSQ_ISL_E10value_typeEPSM_NS1_7vsmem_tEENKUlT_SK_SL_SM_E_clIPjSE_SF_SF_EESJ_SZ_SK_SL_SM_EUlSZ_E_NS1_11comp_targetILNS1_3genE0ELNS1_11target_archE4294967295ELNS1_3gpuE0ELNS1_3repE0EEENS1_48merge_mergepath_partition_config_static_selectorELNS0_4arch9wavefront6targetE1EEEvSL_, .Lfunc_end1026-_ZN7rocprim17ROCPRIM_400000_NS6detail17trampoline_kernelINS0_14default_configENS1_38merge_sort_block_merge_config_selectorIjNS0_10empty_typeEEEZZNS1_27merge_sort_block_merge_implIS3_N6thrust23THRUST_200600_302600_NS6detail15normal_iteratorINS9_10device_ptrIjEEEEPS5_jNS1_19radix_merge_compareILb0ELb1EjNS0_19identity_decomposerEEEEE10hipError_tT0_T1_T2_jT3_P12ihipStream_tbPNSt15iterator_traitsISK_E10value_typeEPNSQ_ISL_E10value_typeEPSM_NS1_7vsmem_tEENKUlT_SK_SL_SM_E_clIPjSE_SF_SF_EESJ_SZ_SK_SL_SM_EUlSZ_E_NS1_11comp_targetILNS1_3genE0ELNS1_11target_archE4294967295ELNS1_3gpuE0ELNS1_3repE0EEENS1_48merge_mergepath_partition_config_static_selectorELNS0_4arch9wavefront6targetE1EEEvSL_
                                        ; -- End function
	.section	.AMDGPU.csdata,"",@progbits
; Kernel info:
; codeLenInByte = 0
; NumSgprs: 6
; NumVgprs: 0
; NumAgprs: 0
; TotalNumVgprs: 0
; ScratchSize: 0
; MemoryBound: 0
; FloatMode: 240
; IeeeMode: 1
; LDSByteSize: 0 bytes/workgroup (compile time only)
; SGPRBlocks: 0
; VGPRBlocks: 0
; NumSGPRsForWavesPerEU: 6
; NumVGPRsForWavesPerEU: 1
; AccumOffset: 4
; Occupancy: 8
; WaveLimiterHint : 0
; COMPUTE_PGM_RSRC2:SCRATCH_EN: 0
; COMPUTE_PGM_RSRC2:USER_SGPR: 2
; COMPUTE_PGM_RSRC2:TRAP_HANDLER: 0
; COMPUTE_PGM_RSRC2:TGID_X_EN: 1
; COMPUTE_PGM_RSRC2:TGID_Y_EN: 0
; COMPUTE_PGM_RSRC2:TGID_Z_EN: 0
; COMPUTE_PGM_RSRC2:TIDIG_COMP_CNT: 0
; COMPUTE_PGM_RSRC3_GFX90A:ACCUM_OFFSET: 0
; COMPUTE_PGM_RSRC3_GFX90A:TG_SPLIT: 0
	.section	.text._ZN7rocprim17ROCPRIM_400000_NS6detail17trampoline_kernelINS0_14default_configENS1_38merge_sort_block_merge_config_selectorIjNS0_10empty_typeEEEZZNS1_27merge_sort_block_merge_implIS3_N6thrust23THRUST_200600_302600_NS6detail15normal_iteratorINS9_10device_ptrIjEEEEPS5_jNS1_19radix_merge_compareILb0ELb1EjNS0_19identity_decomposerEEEEE10hipError_tT0_T1_T2_jT3_P12ihipStream_tbPNSt15iterator_traitsISK_E10value_typeEPNSQ_ISL_E10value_typeEPSM_NS1_7vsmem_tEENKUlT_SK_SL_SM_E_clIPjSE_SF_SF_EESJ_SZ_SK_SL_SM_EUlSZ_E_NS1_11comp_targetILNS1_3genE10ELNS1_11target_archE1201ELNS1_3gpuE5ELNS1_3repE0EEENS1_48merge_mergepath_partition_config_static_selectorELNS0_4arch9wavefront6targetE1EEEvSL_,"axG",@progbits,_ZN7rocprim17ROCPRIM_400000_NS6detail17trampoline_kernelINS0_14default_configENS1_38merge_sort_block_merge_config_selectorIjNS0_10empty_typeEEEZZNS1_27merge_sort_block_merge_implIS3_N6thrust23THRUST_200600_302600_NS6detail15normal_iteratorINS9_10device_ptrIjEEEEPS5_jNS1_19radix_merge_compareILb0ELb1EjNS0_19identity_decomposerEEEEE10hipError_tT0_T1_T2_jT3_P12ihipStream_tbPNSt15iterator_traitsISK_E10value_typeEPNSQ_ISL_E10value_typeEPSM_NS1_7vsmem_tEENKUlT_SK_SL_SM_E_clIPjSE_SF_SF_EESJ_SZ_SK_SL_SM_EUlSZ_E_NS1_11comp_targetILNS1_3genE10ELNS1_11target_archE1201ELNS1_3gpuE5ELNS1_3repE0EEENS1_48merge_mergepath_partition_config_static_selectorELNS0_4arch9wavefront6targetE1EEEvSL_,comdat
	.protected	_ZN7rocprim17ROCPRIM_400000_NS6detail17trampoline_kernelINS0_14default_configENS1_38merge_sort_block_merge_config_selectorIjNS0_10empty_typeEEEZZNS1_27merge_sort_block_merge_implIS3_N6thrust23THRUST_200600_302600_NS6detail15normal_iteratorINS9_10device_ptrIjEEEEPS5_jNS1_19radix_merge_compareILb0ELb1EjNS0_19identity_decomposerEEEEE10hipError_tT0_T1_T2_jT3_P12ihipStream_tbPNSt15iterator_traitsISK_E10value_typeEPNSQ_ISL_E10value_typeEPSM_NS1_7vsmem_tEENKUlT_SK_SL_SM_E_clIPjSE_SF_SF_EESJ_SZ_SK_SL_SM_EUlSZ_E_NS1_11comp_targetILNS1_3genE10ELNS1_11target_archE1201ELNS1_3gpuE5ELNS1_3repE0EEENS1_48merge_mergepath_partition_config_static_selectorELNS0_4arch9wavefront6targetE1EEEvSL_ ; -- Begin function _ZN7rocprim17ROCPRIM_400000_NS6detail17trampoline_kernelINS0_14default_configENS1_38merge_sort_block_merge_config_selectorIjNS0_10empty_typeEEEZZNS1_27merge_sort_block_merge_implIS3_N6thrust23THRUST_200600_302600_NS6detail15normal_iteratorINS9_10device_ptrIjEEEEPS5_jNS1_19radix_merge_compareILb0ELb1EjNS0_19identity_decomposerEEEEE10hipError_tT0_T1_T2_jT3_P12ihipStream_tbPNSt15iterator_traitsISK_E10value_typeEPNSQ_ISL_E10value_typeEPSM_NS1_7vsmem_tEENKUlT_SK_SL_SM_E_clIPjSE_SF_SF_EESJ_SZ_SK_SL_SM_EUlSZ_E_NS1_11comp_targetILNS1_3genE10ELNS1_11target_archE1201ELNS1_3gpuE5ELNS1_3repE0EEENS1_48merge_mergepath_partition_config_static_selectorELNS0_4arch9wavefront6targetE1EEEvSL_
	.globl	_ZN7rocprim17ROCPRIM_400000_NS6detail17trampoline_kernelINS0_14default_configENS1_38merge_sort_block_merge_config_selectorIjNS0_10empty_typeEEEZZNS1_27merge_sort_block_merge_implIS3_N6thrust23THRUST_200600_302600_NS6detail15normal_iteratorINS9_10device_ptrIjEEEEPS5_jNS1_19radix_merge_compareILb0ELb1EjNS0_19identity_decomposerEEEEE10hipError_tT0_T1_T2_jT3_P12ihipStream_tbPNSt15iterator_traitsISK_E10value_typeEPNSQ_ISL_E10value_typeEPSM_NS1_7vsmem_tEENKUlT_SK_SL_SM_E_clIPjSE_SF_SF_EESJ_SZ_SK_SL_SM_EUlSZ_E_NS1_11comp_targetILNS1_3genE10ELNS1_11target_archE1201ELNS1_3gpuE5ELNS1_3repE0EEENS1_48merge_mergepath_partition_config_static_selectorELNS0_4arch9wavefront6targetE1EEEvSL_
	.p2align	8
	.type	_ZN7rocprim17ROCPRIM_400000_NS6detail17trampoline_kernelINS0_14default_configENS1_38merge_sort_block_merge_config_selectorIjNS0_10empty_typeEEEZZNS1_27merge_sort_block_merge_implIS3_N6thrust23THRUST_200600_302600_NS6detail15normal_iteratorINS9_10device_ptrIjEEEEPS5_jNS1_19radix_merge_compareILb0ELb1EjNS0_19identity_decomposerEEEEE10hipError_tT0_T1_T2_jT3_P12ihipStream_tbPNSt15iterator_traitsISK_E10value_typeEPNSQ_ISL_E10value_typeEPSM_NS1_7vsmem_tEENKUlT_SK_SL_SM_E_clIPjSE_SF_SF_EESJ_SZ_SK_SL_SM_EUlSZ_E_NS1_11comp_targetILNS1_3genE10ELNS1_11target_archE1201ELNS1_3gpuE5ELNS1_3repE0EEENS1_48merge_mergepath_partition_config_static_selectorELNS0_4arch9wavefront6targetE1EEEvSL_,@function
_ZN7rocprim17ROCPRIM_400000_NS6detail17trampoline_kernelINS0_14default_configENS1_38merge_sort_block_merge_config_selectorIjNS0_10empty_typeEEEZZNS1_27merge_sort_block_merge_implIS3_N6thrust23THRUST_200600_302600_NS6detail15normal_iteratorINS9_10device_ptrIjEEEEPS5_jNS1_19radix_merge_compareILb0ELb1EjNS0_19identity_decomposerEEEEE10hipError_tT0_T1_T2_jT3_P12ihipStream_tbPNSt15iterator_traitsISK_E10value_typeEPNSQ_ISL_E10value_typeEPSM_NS1_7vsmem_tEENKUlT_SK_SL_SM_E_clIPjSE_SF_SF_EESJ_SZ_SK_SL_SM_EUlSZ_E_NS1_11comp_targetILNS1_3genE10ELNS1_11target_archE1201ELNS1_3gpuE5ELNS1_3repE0EEENS1_48merge_mergepath_partition_config_static_selectorELNS0_4arch9wavefront6targetE1EEEvSL_: ; @_ZN7rocprim17ROCPRIM_400000_NS6detail17trampoline_kernelINS0_14default_configENS1_38merge_sort_block_merge_config_selectorIjNS0_10empty_typeEEEZZNS1_27merge_sort_block_merge_implIS3_N6thrust23THRUST_200600_302600_NS6detail15normal_iteratorINS9_10device_ptrIjEEEEPS5_jNS1_19radix_merge_compareILb0ELb1EjNS0_19identity_decomposerEEEEE10hipError_tT0_T1_T2_jT3_P12ihipStream_tbPNSt15iterator_traitsISK_E10value_typeEPNSQ_ISL_E10value_typeEPSM_NS1_7vsmem_tEENKUlT_SK_SL_SM_E_clIPjSE_SF_SF_EESJ_SZ_SK_SL_SM_EUlSZ_E_NS1_11comp_targetILNS1_3genE10ELNS1_11target_archE1201ELNS1_3gpuE5ELNS1_3repE0EEENS1_48merge_mergepath_partition_config_static_selectorELNS0_4arch9wavefront6targetE1EEEvSL_
; %bb.0:
	.section	.rodata,"a",@progbits
	.p2align	6, 0x0
	.amdhsa_kernel _ZN7rocprim17ROCPRIM_400000_NS6detail17trampoline_kernelINS0_14default_configENS1_38merge_sort_block_merge_config_selectorIjNS0_10empty_typeEEEZZNS1_27merge_sort_block_merge_implIS3_N6thrust23THRUST_200600_302600_NS6detail15normal_iteratorINS9_10device_ptrIjEEEEPS5_jNS1_19radix_merge_compareILb0ELb1EjNS0_19identity_decomposerEEEEE10hipError_tT0_T1_T2_jT3_P12ihipStream_tbPNSt15iterator_traitsISK_E10value_typeEPNSQ_ISL_E10value_typeEPSM_NS1_7vsmem_tEENKUlT_SK_SL_SM_E_clIPjSE_SF_SF_EESJ_SZ_SK_SL_SM_EUlSZ_E_NS1_11comp_targetILNS1_3genE10ELNS1_11target_archE1201ELNS1_3gpuE5ELNS1_3repE0EEENS1_48merge_mergepath_partition_config_static_selectorELNS0_4arch9wavefront6targetE1EEEvSL_
		.amdhsa_group_segment_fixed_size 0
		.amdhsa_private_segment_fixed_size 0
		.amdhsa_kernarg_size 40
		.amdhsa_user_sgpr_count 2
		.amdhsa_user_sgpr_dispatch_ptr 0
		.amdhsa_user_sgpr_queue_ptr 0
		.amdhsa_user_sgpr_kernarg_segment_ptr 1
		.amdhsa_user_sgpr_dispatch_id 0
		.amdhsa_user_sgpr_kernarg_preload_length 0
		.amdhsa_user_sgpr_kernarg_preload_offset 0
		.amdhsa_user_sgpr_private_segment_size 0
		.amdhsa_uses_dynamic_stack 0
		.amdhsa_enable_private_segment 0
		.amdhsa_system_sgpr_workgroup_id_x 1
		.amdhsa_system_sgpr_workgroup_id_y 0
		.amdhsa_system_sgpr_workgroup_id_z 0
		.amdhsa_system_sgpr_workgroup_info 0
		.amdhsa_system_vgpr_workitem_id 0
		.amdhsa_next_free_vgpr 1
		.amdhsa_next_free_sgpr 0
		.amdhsa_accum_offset 4
		.amdhsa_reserve_vcc 0
		.amdhsa_float_round_mode_32 0
		.amdhsa_float_round_mode_16_64 0
		.amdhsa_float_denorm_mode_32 3
		.amdhsa_float_denorm_mode_16_64 3
		.amdhsa_dx10_clamp 1
		.amdhsa_ieee_mode 1
		.amdhsa_fp16_overflow 0
		.amdhsa_tg_split 0
		.amdhsa_exception_fp_ieee_invalid_op 0
		.amdhsa_exception_fp_denorm_src 0
		.amdhsa_exception_fp_ieee_div_zero 0
		.amdhsa_exception_fp_ieee_overflow 0
		.amdhsa_exception_fp_ieee_underflow 0
		.amdhsa_exception_fp_ieee_inexact 0
		.amdhsa_exception_int_div_zero 0
	.end_amdhsa_kernel
	.section	.text._ZN7rocprim17ROCPRIM_400000_NS6detail17trampoline_kernelINS0_14default_configENS1_38merge_sort_block_merge_config_selectorIjNS0_10empty_typeEEEZZNS1_27merge_sort_block_merge_implIS3_N6thrust23THRUST_200600_302600_NS6detail15normal_iteratorINS9_10device_ptrIjEEEEPS5_jNS1_19radix_merge_compareILb0ELb1EjNS0_19identity_decomposerEEEEE10hipError_tT0_T1_T2_jT3_P12ihipStream_tbPNSt15iterator_traitsISK_E10value_typeEPNSQ_ISL_E10value_typeEPSM_NS1_7vsmem_tEENKUlT_SK_SL_SM_E_clIPjSE_SF_SF_EESJ_SZ_SK_SL_SM_EUlSZ_E_NS1_11comp_targetILNS1_3genE10ELNS1_11target_archE1201ELNS1_3gpuE5ELNS1_3repE0EEENS1_48merge_mergepath_partition_config_static_selectorELNS0_4arch9wavefront6targetE1EEEvSL_,"axG",@progbits,_ZN7rocprim17ROCPRIM_400000_NS6detail17trampoline_kernelINS0_14default_configENS1_38merge_sort_block_merge_config_selectorIjNS0_10empty_typeEEEZZNS1_27merge_sort_block_merge_implIS3_N6thrust23THRUST_200600_302600_NS6detail15normal_iteratorINS9_10device_ptrIjEEEEPS5_jNS1_19radix_merge_compareILb0ELb1EjNS0_19identity_decomposerEEEEE10hipError_tT0_T1_T2_jT3_P12ihipStream_tbPNSt15iterator_traitsISK_E10value_typeEPNSQ_ISL_E10value_typeEPSM_NS1_7vsmem_tEENKUlT_SK_SL_SM_E_clIPjSE_SF_SF_EESJ_SZ_SK_SL_SM_EUlSZ_E_NS1_11comp_targetILNS1_3genE10ELNS1_11target_archE1201ELNS1_3gpuE5ELNS1_3repE0EEENS1_48merge_mergepath_partition_config_static_selectorELNS0_4arch9wavefront6targetE1EEEvSL_,comdat
.Lfunc_end1027:
	.size	_ZN7rocprim17ROCPRIM_400000_NS6detail17trampoline_kernelINS0_14default_configENS1_38merge_sort_block_merge_config_selectorIjNS0_10empty_typeEEEZZNS1_27merge_sort_block_merge_implIS3_N6thrust23THRUST_200600_302600_NS6detail15normal_iteratorINS9_10device_ptrIjEEEEPS5_jNS1_19radix_merge_compareILb0ELb1EjNS0_19identity_decomposerEEEEE10hipError_tT0_T1_T2_jT3_P12ihipStream_tbPNSt15iterator_traitsISK_E10value_typeEPNSQ_ISL_E10value_typeEPSM_NS1_7vsmem_tEENKUlT_SK_SL_SM_E_clIPjSE_SF_SF_EESJ_SZ_SK_SL_SM_EUlSZ_E_NS1_11comp_targetILNS1_3genE10ELNS1_11target_archE1201ELNS1_3gpuE5ELNS1_3repE0EEENS1_48merge_mergepath_partition_config_static_selectorELNS0_4arch9wavefront6targetE1EEEvSL_, .Lfunc_end1027-_ZN7rocprim17ROCPRIM_400000_NS6detail17trampoline_kernelINS0_14default_configENS1_38merge_sort_block_merge_config_selectorIjNS0_10empty_typeEEEZZNS1_27merge_sort_block_merge_implIS3_N6thrust23THRUST_200600_302600_NS6detail15normal_iteratorINS9_10device_ptrIjEEEEPS5_jNS1_19radix_merge_compareILb0ELb1EjNS0_19identity_decomposerEEEEE10hipError_tT0_T1_T2_jT3_P12ihipStream_tbPNSt15iterator_traitsISK_E10value_typeEPNSQ_ISL_E10value_typeEPSM_NS1_7vsmem_tEENKUlT_SK_SL_SM_E_clIPjSE_SF_SF_EESJ_SZ_SK_SL_SM_EUlSZ_E_NS1_11comp_targetILNS1_3genE10ELNS1_11target_archE1201ELNS1_3gpuE5ELNS1_3repE0EEENS1_48merge_mergepath_partition_config_static_selectorELNS0_4arch9wavefront6targetE1EEEvSL_
                                        ; -- End function
	.section	.AMDGPU.csdata,"",@progbits
; Kernel info:
; codeLenInByte = 0
; NumSgprs: 6
; NumVgprs: 0
; NumAgprs: 0
; TotalNumVgprs: 0
; ScratchSize: 0
; MemoryBound: 0
; FloatMode: 240
; IeeeMode: 1
; LDSByteSize: 0 bytes/workgroup (compile time only)
; SGPRBlocks: 0
; VGPRBlocks: 0
; NumSGPRsForWavesPerEU: 6
; NumVGPRsForWavesPerEU: 1
; AccumOffset: 4
; Occupancy: 8
; WaveLimiterHint : 0
; COMPUTE_PGM_RSRC2:SCRATCH_EN: 0
; COMPUTE_PGM_RSRC2:USER_SGPR: 2
; COMPUTE_PGM_RSRC2:TRAP_HANDLER: 0
; COMPUTE_PGM_RSRC2:TGID_X_EN: 1
; COMPUTE_PGM_RSRC2:TGID_Y_EN: 0
; COMPUTE_PGM_RSRC2:TGID_Z_EN: 0
; COMPUTE_PGM_RSRC2:TIDIG_COMP_CNT: 0
; COMPUTE_PGM_RSRC3_GFX90A:ACCUM_OFFSET: 0
; COMPUTE_PGM_RSRC3_GFX90A:TG_SPLIT: 0
	.section	.text._ZN7rocprim17ROCPRIM_400000_NS6detail17trampoline_kernelINS0_14default_configENS1_38merge_sort_block_merge_config_selectorIjNS0_10empty_typeEEEZZNS1_27merge_sort_block_merge_implIS3_N6thrust23THRUST_200600_302600_NS6detail15normal_iteratorINS9_10device_ptrIjEEEEPS5_jNS1_19radix_merge_compareILb0ELb1EjNS0_19identity_decomposerEEEEE10hipError_tT0_T1_T2_jT3_P12ihipStream_tbPNSt15iterator_traitsISK_E10value_typeEPNSQ_ISL_E10value_typeEPSM_NS1_7vsmem_tEENKUlT_SK_SL_SM_E_clIPjSE_SF_SF_EESJ_SZ_SK_SL_SM_EUlSZ_E_NS1_11comp_targetILNS1_3genE5ELNS1_11target_archE942ELNS1_3gpuE9ELNS1_3repE0EEENS1_48merge_mergepath_partition_config_static_selectorELNS0_4arch9wavefront6targetE1EEEvSL_,"axG",@progbits,_ZN7rocprim17ROCPRIM_400000_NS6detail17trampoline_kernelINS0_14default_configENS1_38merge_sort_block_merge_config_selectorIjNS0_10empty_typeEEEZZNS1_27merge_sort_block_merge_implIS3_N6thrust23THRUST_200600_302600_NS6detail15normal_iteratorINS9_10device_ptrIjEEEEPS5_jNS1_19radix_merge_compareILb0ELb1EjNS0_19identity_decomposerEEEEE10hipError_tT0_T1_T2_jT3_P12ihipStream_tbPNSt15iterator_traitsISK_E10value_typeEPNSQ_ISL_E10value_typeEPSM_NS1_7vsmem_tEENKUlT_SK_SL_SM_E_clIPjSE_SF_SF_EESJ_SZ_SK_SL_SM_EUlSZ_E_NS1_11comp_targetILNS1_3genE5ELNS1_11target_archE942ELNS1_3gpuE9ELNS1_3repE0EEENS1_48merge_mergepath_partition_config_static_selectorELNS0_4arch9wavefront6targetE1EEEvSL_,comdat
	.protected	_ZN7rocprim17ROCPRIM_400000_NS6detail17trampoline_kernelINS0_14default_configENS1_38merge_sort_block_merge_config_selectorIjNS0_10empty_typeEEEZZNS1_27merge_sort_block_merge_implIS3_N6thrust23THRUST_200600_302600_NS6detail15normal_iteratorINS9_10device_ptrIjEEEEPS5_jNS1_19radix_merge_compareILb0ELb1EjNS0_19identity_decomposerEEEEE10hipError_tT0_T1_T2_jT3_P12ihipStream_tbPNSt15iterator_traitsISK_E10value_typeEPNSQ_ISL_E10value_typeEPSM_NS1_7vsmem_tEENKUlT_SK_SL_SM_E_clIPjSE_SF_SF_EESJ_SZ_SK_SL_SM_EUlSZ_E_NS1_11comp_targetILNS1_3genE5ELNS1_11target_archE942ELNS1_3gpuE9ELNS1_3repE0EEENS1_48merge_mergepath_partition_config_static_selectorELNS0_4arch9wavefront6targetE1EEEvSL_ ; -- Begin function _ZN7rocprim17ROCPRIM_400000_NS6detail17trampoline_kernelINS0_14default_configENS1_38merge_sort_block_merge_config_selectorIjNS0_10empty_typeEEEZZNS1_27merge_sort_block_merge_implIS3_N6thrust23THRUST_200600_302600_NS6detail15normal_iteratorINS9_10device_ptrIjEEEEPS5_jNS1_19radix_merge_compareILb0ELb1EjNS0_19identity_decomposerEEEEE10hipError_tT0_T1_T2_jT3_P12ihipStream_tbPNSt15iterator_traitsISK_E10value_typeEPNSQ_ISL_E10value_typeEPSM_NS1_7vsmem_tEENKUlT_SK_SL_SM_E_clIPjSE_SF_SF_EESJ_SZ_SK_SL_SM_EUlSZ_E_NS1_11comp_targetILNS1_3genE5ELNS1_11target_archE942ELNS1_3gpuE9ELNS1_3repE0EEENS1_48merge_mergepath_partition_config_static_selectorELNS0_4arch9wavefront6targetE1EEEvSL_
	.globl	_ZN7rocprim17ROCPRIM_400000_NS6detail17trampoline_kernelINS0_14default_configENS1_38merge_sort_block_merge_config_selectorIjNS0_10empty_typeEEEZZNS1_27merge_sort_block_merge_implIS3_N6thrust23THRUST_200600_302600_NS6detail15normal_iteratorINS9_10device_ptrIjEEEEPS5_jNS1_19radix_merge_compareILb0ELb1EjNS0_19identity_decomposerEEEEE10hipError_tT0_T1_T2_jT3_P12ihipStream_tbPNSt15iterator_traitsISK_E10value_typeEPNSQ_ISL_E10value_typeEPSM_NS1_7vsmem_tEENKUlT_SK_SL_SM_E_clIPjSE_SF_SF_EESJ_SZ_SK_SL_SM_EUlSZ_E_NS1_11comp_targetILNS1_3genE5ELNS1_11target_archE942ELNS1_3gpuE9ELNS1_3repE0EEENS1_48merge_mergepath_partition_config_static_selectorELNS0_4arch9wavefront6targetE1EEEvSL_
	.p2align	8
	.type	_ZN7rocprim17ROCPRIM_400000_NS6detail17trampoline_kernelINS0_14default_configENS1_38merge_sort_block_merge_config_selectorIjNS0_10empty_typeEEEZZNS1_27merge_sort_block_merge_implIS3_N6thrust23THRUST_200600_302600_NS6detail15normal_iteratorINS9_10device_ptrIjEEEEPS5_jNS1_19radix_merge_compareILb0ELb1EjNS0_19identity_decomposerEEEEE10hipError_tT0_T1_T2_jT3_P12ihipStream_tbPNSt15iterator_traitsISK_E10value_typeEPNSQ_ISL_E10value_typeEPSM_NS1_7vsmem_tEENKUlT_SK_SL_SM_E_clIPjSE_SF_SF_EESJ_SZ_SK_SL_SM_EUlSZ_E_NS1_11comp_targetILNS1_3genE5ELNS1_11target_archE942ELNS1_3gpuE9ELNS1_3repE0EEENS1_48merge_mergepath_partition_config_static_selectorELNS0_4arch9wavefront6targetE1EEEvSL_,@function
_ZN7rocprim17ROCPRIM_400000_NS6detail17trampoline_kernelINS0_14default_configENS1_38merge_sort_block_merge_config_selectorIjNS0_10empty_typeEEEZZNS1_27merge_sort_block_merge_implIS3_N6thrust23THRUST_200600_302600_NS6detail15normal_iteratorINS9_10device_ptrIjEEEEPS5_jNS1_19radix_merge_compareILb0ELb1EjNS0_19identity_decomposerEEEEE10hipError_tT0_T1_T2_jT3_P12ihipStream_tbPNSt15iterator_traitsISK_E10value_typeEPNSQ_ISL_E10value_typeEPSM_NS1_7vsmem_tEENKUlT_SK_SL_SM_E_clIPjSE_SF_SF_EESJ_SZ_SK_SL_SM_EUlSZ_E_NS1_11comp_targetILNS1_3genE5ELNS1_11target_archE942ELNS1_3gpuE9ELNS1_3repE0EEENS1_48merge_mergepath_partition_config_static_selectorELNS0_4arch9wavefront6targetE1EEEvSL_: ; @_ZN7rocprim17ROCPRIM_400000_NS6detail17trampoline_kernelINS0_14default_configENS1_38merge_sort_block_merge_config_selectorIjNS0_10empty_typeEEEZZNS1_27merge_sort_block_merge_implIS3_N6thrust23THRUST_200600_302600_NS6detail15normal_iteratorINS9_10device_ptrIjEEEEPS5_jNS1_19radix_merge_compareILb0ELb1EjNS0_19identity_decomposerEEEEE10hipError_tT0_T1_T2_jT3_P12ihipStream_tbPNSt15iterator_traitsISK_E10value_typeEPNSQ_ISL_E10value_typeEPSM_NS1_7vsmem_tEENKUlT_SK_SL_SM_E_clIPjSE_SF_SF_EESJ_SZ_SK_SL_SM_EUlSZ_E_NS1_11comp_targetILNS1_3genE5ELNS1_11target_archE942ELNS1_3gpuE9ELNS1_3repE0EEENS1_48merge_mergepath_partition_config_static_selectorELNS0_4arch9wavefront6targetE1EEEvSL_
; %bb.0:
	s_load_dword s3, s[0:1], 0x0
	v_lshl_or_b32 v0, s2, 7, v0
	s_waitcnt lgkmcnt(0)
	v_cmp_gt_u32_e32 vcc, s3, v0
	s_and_saveexec_b64 s[2:3], vcc
	s_cbranch_execz .LBB1028_6
; %bb.1:
	s_load_dwordx2 s[4:5], s[0:1], 0x4
	s_load_dwordx2 s[2:3], s[0:1], 0x20
	s_waitcnt lgkmcnt(0)
	s_lshr_b32 s6, s4, 9
	s_and_b32 s6, s6, 0x7ffffe
	s_add_i32 s7, s6, -1
	s_sub_i32 s6, 0, s6
	v_and_b32_e32 v1, s6, v0
	v_lshlrev_b32_e32 v1, 10, v1
	v_min_u32_e32 v2, s5, v1
	v_add_u32_e32 v1, s4, v1
	v_min_u32_e32 v4, s5, v1
	v_add_u32_e32 v1, s4, v4
	v_and_b32_e32 v3, s7, v0
	v_min_u32_e32 v1, s5, v1
	v_sub_u32_e32 v5, v1, v2
	v_lshlrev_b32_e32 v3, 10, v3
	v_min_u32_e32 v10, v5, v3
	v_sub_u32_e32 v3, v4, v2
	v_sub_u32_e32 v1, v1, v4
	v_sub_u32_e64 v1, v10, v1 clamp
	v_min_u32_e32 v11, v10, v3
	v_cmp_lt_u32_e32 vcc, v1, v11
	s_and_saveexec_b64 s[4:5], vcc
	s_cbranch_execz .LBB1028_5
; %bb.2:
	s_load_dwordx2 s[8:9], s[0:1], 0x10
	s_load_dword s6, s[0:1], 0x18
	v_mov_b32_e32 v5, 0
	v_mov_b32_e32 v3, v5
	s_mov_b64 s[0:1], 0
	s_waitcnt lgkmcnt(0)
	v_lshl_add_u64 v[6:7], v[2:3], 2, s[8:9]
	v_lshl_add_u64 v[8:9], v[4:5], 2, s[8:9]
.LBB1028_3:                             ; =>This Inner Loop Header: Depth=1
	v_add_u32_e32 v3, v11, v1
	v_lshrrev_b32_e32 v4, 1, v3
	v_mov_b32_e32 v13, v5
	v_xad_u32 v12, v4, -1, v10
	v_lshl_add_u64 v[14:15], v[4:5], 2, v[6:7]
	v_lshl_add_u64 v[12:13], v[12:13], 2, v[8:9]
	global_load_dword v3, v[14:15], off
	global_load_dword v16, v[12:13], off
	v_add_u32_e32 v12, 1, v4
	s_waitcnt vmcnt(1)
	v_and_b32_e32 v3, s6, v3
	s_waitcnt vmcnt(0)
	v_and_b32_e32 v13, s6, v16
	v_cmp_gt_u32_e32 vcc, v3, v13
	s_nop 1
	v_cndmask_b32_e32 v11, v11, v4, vcc
	v_cndmask_b32_e32 v1, v12, v1, vcc
	v_cmp_ge_u32_e32 vcc, v1, v11
	s_or_b64 s[0:1], vcc, s[0:1]
	s_andn2_b64 exec, exec, s[0:1]
	s_cbranch_execnz .LBB1028_3
; %bb.4:
	s_or_b64 exec, exec, s[0:1]
.LBB1028_5:
	s_or_b64 exec, exec, s[4:5]
	v_add_u32_e32 v2, v1, v2
	v_mov_b32_e32 v1, 0
	v_lshl_add_u64 v[0:1], v[0:1], 2, s[2:3]
	global_store_dword v[0:1], v2, off
.LBB1028_6:
	s_endpgm
	.section	.rodata,"a",@progbits
	.p2align	6, 0x0
	.amdhsa_kernel _ZN7rocprim17ROCPRIM_400000_NS6detail17trampoline_kernelINS0_14default_configENS1_38merge_sort_block_merge_config_selectorIjNS0_10empty_typeEEEZZNS1_27merge_sort_block_merge_implIS3_N6thrust23THRUST_200600_302600_NS6detail15normal_iteratorINS9_10device_ptrIjEEEEPS5_jNS1_19radix_merge_compareILb0ELb1EjNS0_19identity_decomposerEEEEE10hipError_tT0_T1_T2_jT3_P12ihipStream_tbPNSt15iterator_traitsISK_E10value_typeEPNSQ_ISL_E10value_typeEPSM_NS1_7vsmem_tEENKUlT_SK_SL_SM_E_clIPjSE_SF_SF_EESJ_SZ_SK_SL_SM_EUlSZ_E_NS1_11comp_targetILNS1_3genE5ELNS1_11target_archE942ELNS1_3gpuE9ELNS1_3repE0EEENS1_48merge_mergepath_partition_config_static_selectorELNS0_4arch9wavefront6targetE1EEEvSL_
		.amdhsa_group_segment_fixed_size 0
		.amdhsa_private_segment_fixed_size 0
		.amdhsa_kernarg_size 40
		.amdhsa_user_sgpr_count 2
		.amdhsa_user_sgpr_dispatch_ptr 0
		.amdhsa_user_sgpr_queue_ptr 0
		.amdhsa_user_sgpr_kernarg_segment_ptr 1
		.amdhsa_user_sgpr_dispatch_id 0
		.amdhsa_user_sgpr_kernarg_preload_length 0
		.amdhsa_user_sgpr_kernarg_preload_offset 0
		.amdhsa_user_sgpr_private_segment_size 0
		.amdhsa_uses_dynamic_stack 0
		.amdhsa_enable_private_segment 0
		.amdhsa_system_sgpr_workgroup_id_x 1
		.amdhsa_system_sgpr_workgroup_id_y 0
		.amdhsa_system_sgpr_workgroup_id_z 0
		.amdhsa_system_sgpr_workgroup_info 0
		.amdhsa_system_vgpr_workitem_id 0
		.amdhsa_next_free_vgpr 17
		.amdhsa_next_free_sgpr 10
		.amdhsa_accum_offset 20
		.amdhsa_reserve_vcc 1
		.amdhsa_float_round_mode_32 0
		.amdhsa_float_round_mode_16_64 0
		.amdhsa_float_denorm_mode_32 3
		.amdhsa_float_denorm_mode_16_64 3
		.amdhsa_dx10_clamp 1
		.amdhsa_ieee_mode 1
		.amdhsa_fp16_overflow 0
		.amdhsa_tg_split 0
		.amdhsa_exception_fp_ieee_invalid_op 0
		.amdhsa_exception_fp_denorm_src 0
		.amdhsa_exception_fp_ieee_div_zero 0
		.amdhsa_exception_fp_ieee_overflow 0
		.amdhsa_exception_fp_ieee_underflow 0
		.amdhsa_exception_fp_ieee_inexact 0
		.amdhsa_exception_int_div_zero 0
	.end_amdhsa_kernel
	.section	.text._ZN7rocprim17ROCPRIM_400000_NS6detail17trampoline_kernelINS0_14default_configENS1_38merge_sort_block_merge_config_selectorIjNS0_10empty_typeEEEZZNS1_27merge_sort_block_merge_implIS3_N6thrust23THRUST_200600_302600_NS6detail15normal_iteratorINS9_10device_ptrIjEEEEPS5_jNS1_19radix_merge_compareILb0ELb1EjNS0_19identity_decomposerEEEEE10hipError_tT0_T1_T2_jT3_P12ihipStream_tbPNSt15iterator_traitsISK_E10value_typeEPNSQ_ISL_E10value_typeEPSM_NS1_7vsmem_tEENKUlT_SK_SL_SM_E_clIPjSE_SF_SF_EESJ_SZ_SK_SL_SM_EUlSZ_E_NS1_11comp_targetILNS1_3genE5ELNS1_11target_archE942ELNS1_3gpuE9ELNS1_3repE0EEENS1_48merge_mergepath_partition_config_static_selectorELNS0_4arch9wavefront6targetE1EEEvSL_,"axG",@progbits,_ZN7rocprim17ROCPRIM_400000_NS6detail17trampoline_kernelINS0_14default_configENS1_38merge_sort_block_merge_config_selectorIjNS0_10empty_typeEEEZZNS1_27merge_sort_block_merge_implIS3_N6thrust23THRUST_200600_302600_NS6detail15normal_iteratorINS9_10device_ptrIjEEEEPS5_jNS1_19radix_merge_compareILb0ELb1EjNS0_19identity_decomposerEEEEE10hipError_tT0_T1_T2_jT3_P12ihipStream_tbPNSt15iterator_traitsISK_E10value_typeEPNSQ_ISL_E10value_typeEPSM_NS1_7vsmem_tEENKUlT_SK_SL_SM_E_clIPjSE_SF_SF_EESJ_SZ_SK_SL_SM_EUlSZ_E_NS1_11comp_targetILNS1_3genE5ELNS1_11target_archE942ELNS1_3gpuE9ELNS1_3repE0EEENS1_48merge_mergepath_partition_config_static_selectorELNS0_4arch9wavefront6targetE1EEEvSL_,comdat
.Lfunc_end1028:
	.size	_ZN7rocprim17ROCPRIM_400000_NS6detail17trampoline_kernelINS0_14default_configENS1_38merge_sort_block_merge_config_selectorIjNS0_10empty_typeEEEZZNS1_27merge_sort_block_merge_implIS3_N6thrust23THRUST_200600_302600_NS6detail15normal_iteratorINS9_10device_ptrIjEEEEPS5_jNS1_19radix_merge_compareILb0ELb1EjNS0_19identity_decomposerEEEEE10hipError_tT0_T1_T2_jT3_P12ihipStream_tbPNSt15iterator_traitsISK_E10value_typeEPNSQ_ISL_E10value_typeEPSM_NS1_7vsmem_tEENKUlT_SK_SL_SM_E_clIPjSE_SF_SF_EESJ_SZ_SK_SL_SM_EUlSZ_E_NS1_11comp_targetILNS1_3genE5ELNS1_11target_archE942ELNS1_3gpuE9ELNS1_3repE0EEENS1_48merge_mergepath_partition_config_static_selectorELNS0_4arch9wavefront6targetE1EEEvSL_, .Lfunc_end1028-_ZN7rocprim17ROCPRIM_400000_NS6detail17trampoline_kernelINS0_14default_configENS1_38merge_sort_block_merge_config_selectorIjNS0_10empty_typeEEEZZNS1_27merge_sort_block_merge_implIS3_N6thrust23THRUST_200600_302600_NS6detail15normal_iteratorINS9_10device_ptrIjEEEEPS5_jNS1_19radix_merge_compareILb0ELb1EjNS0_19identity_decomposerEEEEE10hipError_tT0_T1_T2_jT3_P12ihipStream_tbPNSt15iterator_traitsISK_E10value_typeEPNSQ_ISL_E10value_typeEPSM_NS1_7vsmem_tEENKUlT_SK_SL_SM_E_clIPjSE_SF_SF_EESJ_SZ_SK_SL_SM_EUlSZ_E_NS1_11comp_targetILNS1_3genE5ELNS1_11target_archE942ELNS1_3gpuE9ELNS1_3repE0EEENS1_48merge_mergepath_partition_config_static_selectorELNS0_4arch9wavefront6targetE1EEEvSL_
                                        ; -- End function
	.section	.AMDGPU.csdata,"",@progbits
; Kernel info:
; codeLenInByte = 336
; NumSgprs: 16
; NumVgprs: 17
; NumAgprs: 0
; TotalNumVgprs: 17
; ScratchSize: 0
; MemoryBound: 0
; FloatMode: 240
; IeeeMode: 1
; LDSByteSize: 0 bytes/workgroup (compile time only)
; SGPRBlocks: 1
; VGPRBlocks: 2
; NumSGPRsForWavesPerEU: 16
; NumVGPRsForWavesPerEU: 17
; AccumOffset: 20
; Occupancy: 8
; WaveLimiterHint : 0
; COMPUTE_PGM_RSRC2:SCRATCH_EN: 0
; COMPUTE_PGM_RSRC2:USER_SGPR: 2
; COMPUTE_PGM_RSRC2:TRAP_HANDLER: 0
; COMPUTE_PGM_RSRC2:TGID_X_EN: 1
; COMPUTE_PGM_RSRC2:TGID_Y_EN: 0
; COMPUTE_PGM_RSRC2:TGID_Z_EN: 0
; COMPUTE_PGM_RSRC2:TIDIG_COMP_CNT: 0
; COMPUTE_PGM_RSRC3_GFX90A:ACCUM_OFFSET: 4
; COMPUTE_PGM_RSRC3_GFX90A:TG_SPLIT: 0
	.section	.text._ZN7rocprim17ROCPRIM_400000_NS6detail17trampoline_kernelINS0_14default_configENS1_38merge_sort_block_merge_config_selectorIjNS0_10empty_typeEEEZZNS1_27merge_sort_block_merge_implIS3_N6thrust23THRUST_200600_302600_NS6detail15normal_iteratorINS9_10device_ptrIjEEEEPS5_jNS1_19radix_merge_compareILb0ELb1EjNS0_19identity_decomposerEEEEE10hipError_tT0_T1_T2_jT3_P12ihipStream_tbPNSt15iterator_traitsISK_E10value_typeEPNSQ_ISL_E10value_typeEPSM_NS1_7vsmem_tEENKUlT_SK_SL_SM_E_clIPjSE_SF_SF_EESJ_SZ_SK_SL_SM_EUlSZ_E_NS1_11comp_targetILNS1_3genE4ELNS1_11target_archE910ELNS1_3gpuE8ELNS1_3repE0EEENS1_48merge_mergepath_partition_config_static_selectorELNS0_4arch9wavefront6targetE1EEEvSL_,"axG",@progbits,_ZN7rocprim17ROCPRIM_400000_NS6detail17trampoline_kernelINS0_14default_configENS1_38merge_sort_block_merge_config_selectorIjNS0_10empty_typeEEEZZNS1_27merge_sort_block_merge_implIS3_N6thrust23THRUST_200600_302600_NS6detail15normal_iteratorINS9_10device_ptrIjEEEEPS5_jNS1_19radix_merge_compareILb0ELb1EjNS0_19identity_decomposerEEEEE10hipError_tT0_T1_T2_jT3_P12ihipStream_tbPNSt15iterator_traitsISK_E10value_typeEPNSQ_ISL_E10value_typeEPSM_NS1_7vsmem_tEENKUlT_SK_SL_SM_E_clIPjSE_SF_SF_EESJ_SZ_SK_SL_SM_EUlSZ_E_NS1_11comp_targetILNS1_3genE4ELNS1_11target_archE910ELNS1_3gpuE8ELNS1_3repE0EEENS1_48merge_mergepath_partition_config_static_selectorELNS0_4arch9wavefront6targetE1EEEvSL_,comdat
	.protected	_ZN7rocprim17ROCPRIM_400000_NS6detail17trampoline_kernelINS0_14default_configENS1_38merge_sort_block_merge_config_selectorIjNS0_10empty_typeEEEZZNS1_27merge_sort_block_merge_implIS3_N6thrust23THRUST_200600_302600_NS6detail15normal_iteratorINS9_10device_ptrIjEEEEPS5_jNS1_19radix_merge_compareILb0ELb1EjNS0_19identity_decomposerEEEEE10hipError_tT0_T1_T2_jT3_P12ihipStream_tbPNSt15iterator_traitsISK_E10value_typeEPNSQ_ISL_E10value_typeEPSM_NS1_7vsmem_tEENKUlT_SK_SL_SM_E_clIPjSE_SF_SF_EESJ_SZ_SK_SL_SM_EUlSZ_E_NS1_11comp_targetILNS1_3genE4ELNS1_11target_archE910ELNS1_3gpuE8ELNS1_3repE0EEENS1_48merge_mergepath_partition_config_static_selectorELNS0_4arch9wavefront6targetE1EEEvSL_ ; -- Begin function _ZN7rocprim17ROCPRIM_400000_NS6detail17trampoline_kernelINS0_14default_configENS1_38merge_sort_block_merge_config_selectorIjNS0_10empty_typeEEEZZNS1_27merge_sort_block_merge_implIS3_N6thrust23THRUST_200600_302600_NS6detail15normal_iteratorINS9_10device_ptrIjEEEEPS5_jNS1_19radix_merge_compareILb0ELb1EjNS0_19identity_decomposerEEEEE10hipError_tT0_T1_T2_jT3_P12ihipStream_tbPNSt15iterator_traitsISK_E10value_typeEPNSQ_ISL_E10value_typeEPSM_NS1_7vsmem_tEENKUlT_SK_SL_SM_E_clIPjSE_SF_SF_EESJ_SZ_SK_SL_SM_EUlSZ_E_NS1_11comp_targetILNS1_3genE4ELNS1_11target_archE910ELNS1_3gpuE8ELNS1_3repE0EEENS1_48merge_mergepath_partition_config_static_selectorELNS0_4arch9wavefront6targetE1EEEvSL_
	.globl	_ZN7rocprim17ROCPRIM_400000_NS6detail17trampoline_kernelINS0_14default_configENS1_38merge_sort_block_merge_config_selectorIjNS0_10empty_typeEEEZZNS1_27merge_sort_block_merge_implIS3_N6thrust23THRUST_200600_302600_NS6detail15normal_iteratorINS9_10device_ptrIjEEEEPS5_jNS1_19radix_merge_compareILb0ELb1EjNS0_19identity_decomposerEEEEE10hipError_tT0_T1_T2_jT3_P12ihipStream_tbPNSt15iterator_traitsISK_E10value_typeEPNSQ_ISL_E10value_typeEPSM_NS1_7vsmem_tEENKUlT_SK_SL_SM_E_clIPjSE_SF_SF_EESJ_SZ_SK_SL_SM_EUlSZ_E_NS1_11comp_targetILNS1_3genE4ELNS1_11target_archE910ELNS1_3gpuE8ELNS1_3repE0EEENS1_48merge_mergepath_partition_config_static_selectorELNS0_4arch9wavefront6targetE1EEEvSL_
	.p2align	8
	.type	_ZN7rocprim17ROCPRIM_400000_NS6detail17trampoline_kernelINS0_14default_configENS1_38merge_sort_block_merge_config_selectorIjNS0_10empty_typeEEEZZNS1_27merge_sort_block_merge_implIS3_N6thrust23THRUST_200600_302600_NS6detail15normal_iteratorINS9_10device_ptrIjEEEEPS5_jNS1_19radix_merge_compareILb0ELb1EjNS0_19identity_decomposerEEEEE10hipError_tT0_T1_T2_jT3_P12ihipStream_tbPNSt15iterator_traitsISK_E10value_typeEPNSQ_ISL_E10value_typeEPSM_NS1_7vsmem_tEENKUlT_SK_SL_SM_E_clIPjSE_SF_SF_EESJ_SZ_SK_SL_SM_EUlSZ_E_NS1_11comp_targetILNS1_3genE4ELNS1_11target_archE910ELNS1_3gpuE8ELNS1_3repE0EEENS1_48merge_mergepath_partition_config_static_selectorELNS0_4arch9wavefront6targetE1EEEvSL_,@function
_ZN7rocprim17ROCPRIM_400000_NS6detail17trampoline_kernelINS0_14default_configENS1_38merge_sort_block_merge_config_selectorIjNS0_10empty_typeEEEZZNS1_27merge_sort_block_merge_implIS3_N6thrust23THRUST_200600_302600_NS6detail15normal_iteratorINS9_10device_ptrIjEEEEPS5_jNS1_19radix_merge_compareILb0ELb1EjNS0_19identity_decomposerEEEEE10hipError_tT0_T1_T2_jT3_P12ihipStream_tbPNSt15iterator_traitsISK_E10value_typeEPNSQ_ISL_E10value_typeEPSM_NS1_7vsmem_tEENKUlT_SK_SL_SM_E_clIPjSE_SF_SF_EESJ_SZ_SK_SL_SM_EUlSZ_E_NS1_11comp_targetILNS1_3genE4ELNS1_11target_archE910ELNS1_3gpuE8ELNS1_3repE0EEENS1_48merge_mergepath_partition_config_static_selectorELNS0_4arch9wavefront6targetE1EEEvSL_: ; @_ZN7rocprim17ROCPRIM_400000_NS6detail17trampoline_kernelINS0_14default_configENS1_38merge_sort_block_merge_config_selectorIjNS0_10empty_typeEEEZZNS1_27merge_sort_block_merge_implIS3_N6thrust23THRUST_200600_302600_NS6detail15normal_iteratorINS9_10device_ptrIjEEEEPS5_jNS1_19radix_merge_compareILb0ELb1EjNS0_19identity_decomposerEEEEE10hipError_tT0_T1_T2_jT3_P12ihipStream_tbPNSt15iterator_traitsISK_E10value_typeEPNSQ_ISL_E10value_typeEPSM_NS1_7vsmem_tEENKUlT_SK_SL_SM_E_clIPjSE_SF_SF_EESJ_SZ_SK_SL_SM_EUlSZ_E_NS1_11comp_targetILNS1_3genE4ELNS1_11target_archE910ELNS1_3gpuE8ELNS1_3repE0EEENS1_48merge_mergepath_partition_config_static_selectorELNS0_4arch9wavefront6targetE1EEEvSL_
; %bb.0:
	.section	.rodata,"a",@progbits
	.p2align	6, 0x0
	.amdhsa_kernel _ZN7rocprim17ROCPRIM_400000_NS6detail17trampoline_kernelINS0_14default_configENS1_38merge_sort_block_merge_config_selectorIjNS0_10empty_typeEEEZZNS1_27merge_sort_block_merge_implIS3_N6thrust23THRUST_200600_302600_NS6detail15normal_iteratorINS9_10device_ptrIjEEEEPS5_jNS1_19radix_merge_compareILb0ELb1EjNS0_19identity_decomposerEEEEE10hipError_tT0_T1_T2_jT3_P12ihipStream_tbPNSt15iterator_traitsISK_E10value_typeEPNSQ_ISL_E10value_typeEPSM_NS1_7vsmem_tEENKUlT_SK_SL_SM_E_clIPjSE_SF_SF_EESJ_SZ_SK_SL_SM_EUlSZ_E_NS1_11comp_targetILNS1_3genE4ELNS1_11target_archE910ELNS1_3gpuE8ELNS1_3repE0EEENS1_48merge_mergepath_partition_config_static_selectorELNS0_4arch9wavefront6targetE1EEEvSL_
		.amdhsa_group_segment_fixed_size 0
		.amdhsa_private_segment_fixed_size 0
		.amdhsa_kernarg_size 40
		.amdhsa_user_sgpr_count 2
		.amdhsa_user_sgpr_dispatch_ptr 0
		.amdhsa_user_sgpr_queue_ptr 0
		.amdhsa_user_sgpr_kernarg_segment_ptr 1
		.amdhsa_user_sgpr_dispatch_id 0
		.amdhsa_user_sgpr_kernarg_preload_length 0
		.amdhsa_user_sgpr_kernarg_preload_offset 0
		.amdhsa_user_sgpr_private_segment_size 0
		.amdhsa_uses_dynamic_stack 0
		.amdhsa_enable_private_segment 0
		.amdhsa_system_sgpr_workgroup_id_x 1
		.amdhsa_system_sgpr_workgroup_id_y 0
		.amdhsa_system_sgpr_workgroup_id_z 0
		.amdhsa_system_sgpr_workgroup_info 0
		.amdhsa_system_vgpr_workitem_id 0
		.amdhsa_next_free_vgpr 1
		.amdhsa_next_free_sgpr 0
		.amdhsa_accum_offset 4
		.amdhsa_reserve_vcc 0
		.amdhsa_float_round_mode_32 0
		.amdhsa_float_round_mode_16_64 0
		.amdhsa_float_denorm_mode_32 3
		.amdhsa_float_denorm_mode_16_64 3
		.amdhsa_dx10_clamp 1
		.amdhsa_ieee_mode 1
		.amdhsa_fp16_overflow 0
		.amdhsa_tg_split 0
		.amdhsa_exception_fp_ieee_invalid_op 0
		.amdhsa_exception_fp_denorm_src 0
		.amdhsa_exception_fp_ieee_div_zero 0
		.amdhsa_exception_fp_ieee_overflow 0
		.amdhsa_exception_fp_ieee_underflow 0
		.amdhsa_exception_fp_ieee_inexact 0
		.amdhsa_exception_int_div_zero 0
	.end_amdhsa_kernel
	.section	.text._ZN7rocprim17ROCPRIM_400000_NS6detail17trampoline_kernelINS0_14default_configENS1_38merge_sort_block_merge_config_selectorIjNS0_10empty_typeEEEZZNS1_27merge_sort_block_merge_implIS3_N6thrust23THRUST_200600_302600_NS6detail15normal_iteratorINS9_10device_ptrIjEEEEPS5_jNS1_19radix_merge_compareILb0ELb1EjNS0_19identity_decomposerEEEEE10hipError_tT0_T1_T2_jT3_P12ihipStream_tbPNSt15iterator_traitsISK_E10value_typeEPNSQ_ISL_E10value_typeEPSM_NS1_7vsmem_tEENKUlT_SK_SL_SM_E_clIPjSE_SF_SF_EESJ_SZ_SK_SL_SM_EUlSZ_E_NS1_11comp_targetILNS1_3genE4ELNS1_11target_archE910ELNS1_3gpuE8ELNS1_3repE0EEENS1_48merge_mergepath_partition_config_static_selectorELNS0_4arch9wavefront6targetE1EEEvSL_,"axG",@progbits,_ZN7rocprim17ROCPRIM_400000_NS6detail17trampoline_kernelINS0_14default_configENS1_38merge_sort_block_merge_config_selectorIjNS0_10empty_typeEEEZZNS1_27merge_sort_block_merge_implIS3_N6thrust23THRUST_200600_302600_NS6detail15normal_iteratorINS9_10device_ptrIjEEEEPS5_jNS1_19radix_merge_compareILb0ELb1EjNS0_19identity_decomposerEEEEE10hipError_tT0_T1_T2_jT3_P12ihipStream_tbPNSt15iterator_traitsISK_E10value_typeEPNSQ_ISL_E10value_typeEPSM_NS1_7vsmem_tEENKUlT_SK_SL_SM_E_clIPjSE_SF_SF_EESJ_SZ_SK_SL_SM_EUlSZ_E_NS1_11comp_targetILNS1_3genE4ELNS1_11target_archE910ELNS1_3gpuE8ELNS1_3repE0EEENS1_48merge_mergepath_partition_config_static_selectorELNS0_4arch9wavefront6targetE1EEEvSL_,comdat
.Lfunc_end1029:
	.size	_ZN7rocprim17ROCPRIM_400000_NS6detail17trampoline_kernelINS0_14default_configENS1_38merge_sort_block_merge_config_selectorIjNS0_10empty_typeEEEZZNS1_27merge_sort_block_merge_implIS3_N6thrust23THRUST_200600_302600_NS6detail15normal_iteratorINS9_10device_ptrIjEEEEPS5_jNS1_19radix_merge_compareILb0ELb1EjNS0_19identity_decomposerEEEEE10hipError_tT0_T1_T2_jT3_P12ihipStream_tbPNSt15iterator_traitsISK_E10value_typeEPNSQ_ISL_E10value_typeEPSM_NS1_7vsmem_tEENKUlT_SK_SL_SM_E_clIPjSE_SF_SF_EESJ_SZ_SK_SL_SM_EUlSZ_E_NS1_11comp_targetILNS1_3genE4ELNS1_11target_archE910ELNS1_3gpuE8ELNS1_3repE0EEENS1_48merge_mergepath_partition_config_static_selectorELNS0_4arch9wavefront6targetE1EEEvSL_, .Lfunc_end1029-_ZN7rocprim17ROCPRIM_400000_NS6detail17trampoline_kernelINS0_14default_configENS1_38merge_sort_block_merge_config_selectorIjNS0_10empty_typeEEEZZNS1_27merge_sort_block_merge_implIS3_N6thrust23THRUST_200600_302600_NS6detail15normal_iteratorINS9_10device_ptrIjEEEEPS5_jNS1_19radix_merge_compareILb0ELb1EjNS0_19identity_decomposerEEEEE10hipError_tT0_T1_T2_jT3_P12ihipStream_tbPNSt15iterator_traitsISK_E10value_typeEPNSQ_ISL_E10value_typeEPSM_NS1_7vsmem_tEENKUlT_SK_SL_SM_E_clIPjSE_SF_SF_EESJ_SZ_SK_SL_SM_EUlSZ_E_NS1_11comp_targetILNS1_3genE4ELNS1_11target_archE910ELNS1_3gpuE8ELNS1_3repE0EEENS1_48merge_mergepath_partition_config_static_selectorELNS0_4arch9wavefront6targetE1EEEvSL_
                                        ; -- End function
	.section	.AMDGPU.csdata,"",@progbits
; Kernel info:
; codeLenInByte = 0
; NumSgprs: 6
; NumVgprs: 0
; NumAgprs: 0
; TotalNumVgprs: 0
; ScratchSize: 0
; MemoryBound: 0
; FloatMode: 240
; IeeeMode: 1
; LDSByteSize: 0 bytes/workgroup (compile time only)
; SGPRBlocks: 0
; VGPRBlocks: 0
; NumSGPRsForWavesPerEU: 6
; NumVGPRsForWavesPerEU: 1
; AccumOffset: 4
; Occupancy: 8
; WaveLimiterHint : 0
; COMPUTE_PGM_RSRC2:SCRATCH_EN: 0
; COMPUTE_PGM_RSRC2:USER_SGPR: 2
; COMPUTE_PGM_RSRC2:TRAP_HANDLER: 0
; COMPUTE_PGM_RSRC2:TGID_X_EN: 1
; COMPUTE_PGM_RSRC2:TGID_Y_EN: 0
; COMPUTE_PGM_RSRC2:TGID_Z_EN: 0
; COMPUTE_PGM_RSRC2:TIDIG_COMP_CNT: 0
; COMPUTE_PGM_RSRC3_GFX90A:ACCUM_OFFSET: 0
; COMPUTE_PGM_RSRC3_GFX90A:TG_SPLIT: 0
	.section	.text._ZN7rocprim17ROCPRIM_400000_NS6detail17trampoline_kernelINS0_14default_configENS1_38merge_sort_block_merge_config_selectorIjNS0_10empty_typeEEEZZNS1_27merge_sort_block_merge_implIS3_N6thrust23THRUST_200600_302600_NS6detail15normal_iteratorINS9_10device_ptrIjEEEEPS5_jNS1_19radix_merge_compareILb0ELb1EjNS0_19identity_decomposerEEEEE10hipError_tT0_T1_T2_jT3_P12ihipStream_tbPNSt15iterator_traitsISK_E10value_typeEPNSQ_ISL_E10value_typeEPSM_NS1_7vsmem_tEENKUlT_SK_SL_SM_E_clIPjSE_SF_SF_EESJ_SZ_SK_SL_SM_EUlSZ_E_NS1_11comp_targetILNS1_3genE3ELNS1_11target_archE908ELNS1_3gpuE7ELNS1_3repE0EEENS1_48merge_mergepath_partition_config_static_selectorELNS0_4arch9wavefront6targetE1EEEvSL_,"axG",@progbits,_ZN7rocprim17ROCPRIM_400000_NS6detail17trampoline_kernelINS0_14default_configENS1_38merge_sort_block_merge_config_selectorIjNS0_10empty_typeEEEZZNS1_27merge_sort_block_merge_implIS3_N6thrust23THRUST_200600_302600_NS6detail15normal_iteratorINS9_10device_ptrIjEEEEPS5_jNS1_19radix_merge_compareILb0ELb1EjNS0_19identity_decomposerEEEEE10hipError_tT0_T1_T2_jT3_P12ihipStream_tbPNSt15iterator_traitsISK_E10value_typeEPNSQ_ISL_E10value_typeEPSM_NS1_7vsmem_tEENKUlT_SK_SL_SM_E_clIPjSE_SF_SF_EESJ_SZ_SK_SL_SM_EUlSZ_E_NS1_11comp_targetILNS1_3genE3ELNS1_11target_archE908ELNS1_3gpuE7ELNS1_3repE0EEENS1_48merge_mergepath_partition_config_static_selectorELNS0_4arch9wavefront6targetE1EEEvSL_,comdat
	.protected	_ZN7rocprim17ROCPRIM_400000_NS6detail17trampoline_kernelINS0_14default_configENS1_38merge_sort_block_merge_config_selectorIjNS0_10empty_typeEEEZZNS1_27merge_sort_block_merge_implIS3_N6thrust23THRUST_200600_302600_NS6detail15normal_iteratorINS9_10device_ptrIjEEEEPS5_jNS1_19radix_merge_compareILb0ELb1EjNS0_19identity_decomposerEEEEE10hipError_tT0_T1_T2_jT3_P12ihipStream_tbPNSt15iterator_traitsISK_E10value_typeEPNSQ_ISL_E10value_typeEPSM_NS1_7vsmem_tEENKUlT_SK_SL_SM_E_clIPjSE_SF_SF_EESJ_SZ_SK_SL_SM_EUlSZ_E_NS1_11comp_targetILNS1_3genE3ELNS1_11target_archE908ELNS1_3gpuE7ELNS1_3repE0EEENS1_48merge_mergepath_partition_config_static_selectorELNS0_4arch9wavefront6targetE1EEEvSL_ ; -- Begin function _ZN7rocprim17ROCPRIM_400000_NS6detail17trampoline_kernelINS0_14default_configENS1_38merge_sort_block_merge_config_selectorIjNS0_10empty_typeEEEZZNS1_27merge_sort_block_merge_implIS3_N6thrust23THRUST_200600_302600_NS6detail15normal_iteratorINS9_10device_ptrIjEEEEPS5_jNS1_19radix_merge_compareILb0ELb1EjNS0_19identity_decomposerEEEEE10hipError_tT0_T1_T2_jT3_P12ihipStream_tbPNSt15iterator_traitsISK_E10value_typeEPNSQ_ISL_E10value_typeEPSM_NS1_7vsmem_tEENKUlT_SK_SL_SM_E_clIPjSE_SF_SF_EESJ_SZ_SK_SL_SM_EUlSZ_E_NS1_11comp_targetILNS1_3genE3ELNS1_11target_archE908ELNS1_3gpuE7ELNS1_3repE0EEENS1_48merge_mergepath_partition_config_static_selectorELNS0_4arch9wavefront6targetE1EEEvSL_
	.globl	_ZN7rocprim17ROCPRIM_400000_NS6detail17trampoline_kernelINS0_14default_configENS1_38merge_sort_block_merge_config_selectorIjNS0_10empty_typeEEEZZNS1_27merge_sort_block_merge_implIS3_N6thrust23THRUST_200600_302600_NS6detail15normal_iteratorINS9_10device_ptrIjEEEEPS5_jNS1_19radix_merge_compareILb0ELb1EjNS0_19identity_decomposerEEEEE10hipError_tT0_T1_T2_jT3_P12ihipStream_tbPNSt15iterator_traitsISK_E10value_typeEPNSQ_ISL_E10value_typeEPSM_NS1_7vsmem_tEENKUlT_SK_SL_SM_E_clIPjSE_SF_SF_EESJ_SZ_SK_SL_SM_EUlSZ_E_NS1_11comp_targetILNS1_3genE3ELNS1_11target_archE908ELNS1_3gpuE7ELNS1_3repE0EEENS1_48merge_mergepath_partition_config_static_selectorELNS0_4arch9wavefront6targetE1EEEvSL_
	.p2align	8
	.type	_ZN7rocprim17ROCPRIM_400000_NS6detail17trampoline_kernelINS0_14default_configENS1_38merge_sort_block_merge_config_selectorIjNS0_10empty_typeEEEZZNS1_27merge_sort_block_merge_implIS3_N6thrust23THRUST_200600_302600_NS6detail15normal_iteratorINS9_10device_ptrIjEEEEPS5_jNS1_19radix_merge_compareILb0ELb1EjNS0_19identity_decomposerEEEEE10hipError_tT0_T1_T2_jT3_P12ihipStream_tbPNSt15iterator_traitsISK_E10value_typeEPNSQ_ISL_E10value_typeEPSM_NS1_7vsmem_tEENKUlT_SK_SL_SM_E_clIPjSE_SF_SF_EESJ_SZ_SK_SL_SM_EUlSZ_E_NS1_11comp_targetILNS1_3genE3ELNS1_11target_archE908ELNS1_3gpuE7ELNS1_3repE0EEENS1_48merge_mergepath_partition_config_static_selectorELNS0_4arch9wavefront6targetE1EEEvSL_,@function
_ZN7rocprim17ROCPRIM_400000_NS6detail17trampoline_kernelINS0_14default_configENS1_38merge_sort_block_merge_config_selectorIjNS0_10empty_typeEEEZZNS1_27merge_sort_block_merge_implIS3_N6thrust23THRUST_200600_302600_NS6detail15normal_iteratorINS9_10device_ptrIjEEEEPS5_jNS1_19radix_merge_compareILb0ELb1EjNS0_19identity_decomposerEEEEE10hipError_tT0_T1_T2_jT3_P12ihipStream_tbPNSt15iterator_traitsISK_E10value_typeEPNSQ_ISL_E10value_typeEPSM_NS1_7vsmem_tEENKUlT_SK_SL_SM_E_clIPjSE_SF_SF_EESJ_SZ_SK_SL_SM_EUlSZ_E_NS1_11comp_targetILNS1_3genE3ELNS1_11target_archE908ELNS1_3gpuE7ELNS1_3repE0EEENS1_48merge_mergepath_partition_config_static_selectorELNS0_4arch9wavefront6targetE1EEEvSL_: ; @_ZN7rocprim17ROCPRIM_400000_NS6detail17trampoline_kernelINS0_14default_configENS1_38merge_sort_block_merge_config_selectorIjNS0_10empty_typeEEEZZNS1_27merge_sort_block_merge_implIS3_N6thrust23THRUST_200600_302600_NS6detail15normal_iteratorINS9_10device_ptrIjEEEEPS5_jNS1_19radix_merge_compareILb0ELb1EjNS0_19identity_decomposerEEEEE10hipError_tT0_T1_T2_jT3_P12ihipStream_tbPNSt15iterator_traitsISK_E10value_typeEPNSQ_ISL_E10value_typeEPSM_NS1_7vsmem_tEENKUlT_SK_SL_SM_E_clIPjSE_SF_SF_EESJ_SZ_SK_SL_SM_EUlSZ_E_NS1_11comp_targetILNS1_3genE3ELNS1_11target_archE908ELNS1_3gpuE7ELNS1_3repE0EEENS1_48merge_mergepath_partition_config_static_selectorELNS0_4arch9wavefront6targetE1EEEvSL_
; %bb.0:
	.section	.rodata,"a",@progbits
	.p2align	6, 0x0
	.amdhsa_kernel _ZN7rocprim17ROCPRIM_400000_NS6detail17trampoline_kernelINS0_14default_configENS1_38merge_sort_block_merge_config_selectorIjNS0_10empty_typeEEEZZNS1_27merge_sort_block_merge_implIS3_N6thrust23THRUST_200600_302600_NS6detail15normal_iteratorINS9_10device_ptrIjEEEEPS5_jNS1_19radix_merge_compareILb0ELb1EjNS0_19identity_decomposerEEEEE10hipError_tT0_T1_T2_jT3_P12ihipStream_tbPNSt15iterator_traitsISK_E10value_typeEPNSQ_ISL_E10value_typeEPSM_NS1_7vsmem_tEENKUlT_SK_SL_SM_E_clIPjSE_SF_SF_EESJ_SZ_SK_SL_SM_EUlSZ_E_NS1_11comp_targetILNS1_3genE3ELNS1_11target_archE908ELNS1_3gpuE7ELNS1_3repE0EEENS1_48merge_mergepath_partition_config_static_selectorELNS0_4arch9wavefront6targetE1EEEvSL_
		.amdhsa_group_segment_fixed_size 0
		.amdhsa_private_segment_fixed_size 0
		.amdhsa_kernarg_size 40
		.amdhsa_user_sgpr_count 2
		.amdhsa_user_sgpr_dispatch_ptr 0
		.amdhsa_user_sgpr_queue_ptr 0
		.amdhsa_user_sgpr_kernarg_segment_ptr 1
		.amdhsa_user_sgpr_dispatch_id 0
		.amdhsa_user_sgpr_kernarg_preload_length 0
		.amdhsa_user_sgpr_kernarg_preload_offset 0
		.amdhsa_user_sgpr_private_segment_size 0
		.amdhsa_uses_dynamic_stack 0
		.amdhsa_enable_private_segment 0
		.amdhsa_system_sgpr_workgroup_id_x 1
		.amdhsa_system_sgpr_workgroup_id_y 0
		.amdhsa_system_sgpr_workgroup_id_z 0
		.amdhsa_system_sgpr_workgroup_info 0
		.amdhsa_system_vgpr_workitem_id 0
		.amdhsa_next_free_vgpr 1
		.amdhsa_next_free_sgpr 0
		.amdhsa_accum_offset 4
		.amdhsa_reserve_vcc 0
		.amdhsa_float_round_mode_32 0
		.amdhsa_float_round_mode_16_64 0
		.amdhsa_float_denorm_mode_32 3
		.amdhsa_float_denorm_mode_16_64 3
		.amdhsa_dx10_clamp 1
		.amdhsa_ieee_mode 1
		.amdhsa_fp16_overflow 0
		.amdhsa_tg_split 0
		.amdhsa_exception_fp_ieee_invalid_op 0
		.amdhsa_exception_fp_denorm_src 0
		.amdhsa_exception_fp_ieee_div_zero 0
		.amdhsa_exception_fp_ieee_overflow 0
		.amdhsa_exception_fp_ieee_underflow 0
		.amdhsa_exception_fp_ieee_inexact 0
		.amdhsa_exception_int_div_zero 0
	.end_amdhsa_kernel
	.section	.text._ZN7rocprim17ROCPRIM_400000_NS6detail17trampoline_kernelINS0_14default_configENS1_38merge_sort_block_merge_config_selectorIjNS0_10empty_typeEEEZZNS1_27merge_sort_block_merge_implIS3_N6thrust23THRUST_200600_302600_NS6detail15normal_iteratorINS9_10device_ptrIjEEEEPS5_jNS1_19radix_merge_compareILb0ELb1EjNS0_19identity_decomposerEEEEE10hipError_tT0_T1_T2_jT3_P12ihipStream_tbPNSt15iterator_traitsISK_E10value_typeEPNSQ_ISL_E10value_typeEPSM_NS1_7vsmem_tEENKUlT_SK_SL_SM_E_clIPjSE_SF_SF_EESJ_SZ_SK_SL_SM_EUlSZ_E_NS1_11comp_targetILNS1_3genE3ELNS1_11target_archE908ELNS1_3gpuE7ELNS1_3repE0EEENS1_48merge_mergepath_partition_config_static_selectorELNS0_4arch9wavefront6targetE1EEEvSL_,"axG",@progbits,_ZN7rocprim17ROCPRIM_400000_NS6detail17trampoline_kernelINS0_14default_configENS1_38merge_sort_block_merge_config_selectorIjNS0_10empty_typeEEEZZNS1_27merge_sort_block_merge_implIS3_N6thrust23THRUST_200600_302600_NS6detail15normal_iteratorINS9_10device_ptrIjEEEEPS5_jNS1_19radix_merge_compareILb0ELb1EjNS0_19identity_decomposerEEEEE10hipError_tT0_T1_T2_jT3_P12ihipStream_tbPNSt15iterator_traitsISK_E10value_typeEPNSQ_ISL_E10value_typeEPSM_NS1_7vsmem_tEENKUlT_SK_SL_SM_E_clIPjSE_SF_SF_EESJ_SZ_SK_SL_SM_EUlSZ_E_NS1_11comp_targetILNS1_3genE3ELNS1_11target_archE908ELNS1_3gpuE7ELNS1_3repE0EEENS1_48merge_mergepath_partition_config_static_selectorELNS0_4arch9wavefront6targetE1EEEvSL_,comdat
.Lfunc_end1030:
	.size	_ZN7rocprim17ROCPRIM_400000_NS6detail17trampoline_kernelINS0_14default_configENS1_38merge_sort_block_merge_config_selectorIjNS0_10empty_typeEEEZZNS1_27merge_sort_block_merge_implIS3_N6thrust23THRUST_200600_302600_NS6detail15normal_iteratorINS9_10device_ptrIjEEEEPS5_jNS1_19radix_merge_compareILb0ELb1EjNS0_19identity_decomposerEEEEE10hipError_tT0_T1_T2_jT3_P12ihipStream_tbPNSt15iterator_traitsISK_E10value_typeEPNSQ_ISL_E10value_typeEPSM_NS1_7vsmem_tEENKUlT_SK_SL_SM_E_clIPjSE_SF_SF_EESJ_SZ_SK_SL_SM_EUlSZ_E_NS1_11comp_targetILNS1_3genE3ELNS1_11target_archE908ELNS1_3gpuE7ELNS1_3repE0EEENS1_48merge_mergepath_partition_config_static_selectorELNS0_4arch9wavefront6targetE1EEEvSL_, .Lfunc_end1030-_ZN7rocprim17ROCPRIM_400000_NS6detail17trampoline_kernelINS0_14default_configENS1_38merge_sort_block_merge_config_selectorIjNS0_10empty_typeEEEZZNS1_27merge_sort_block_merge_implIS3_N6thrust23THRUST_200600_302600_NS6detail15normal_iteratorINS9_10device_ptrIjEEEEPS5_jNS1_19radix_merge_compareILb0ELb1EjNS0_19identity_decomposerEEEEE10hipError_tT0_T1_T2_jT3_P12ihipStream_tbPNSt15iterator_traitsISK_E10value_typeEPNSQ_ISL_E10value_typeEPSM_NS1_7vsmem_tEENKUlT_SK_SL_SM_E_clIPjSE_SF_SF_EESJ_SZ_SK_SL_SM_EUlSZ_E_NS1_11comp_targetILNS1_3genE3ELNS1_11target_archE908ELNS1_3gpuE7ELNS1_3repE0EEENS1_48merge_mergepath_partition_config_static_selectorELNS0_4arch9wavefront6targetE1EEEvSL_
                                        ; -- End function
	.section	.AMDGPU.csdata,"",@progbits
; Kernel info:
; codeLenInByte = 0
; NumSgprs: 6
; NumVgprs: 0
; NumAgprs: 0
; TotalNumVgprs: 0
; ScratchSize: 0
; MemoryBound: 0
; FloatMode: 240
; IeeeMode: 1
; LDSByteSize: 0 bytes/workgroup (compile time only)
; SGPRBlocks: 0
; VGPRBlocks: 0
; NumSGPRsForWavesPerEU: 6
; NumVGPRsForWavesPerEU: 1
; AccumOffset: 4
; Occupancy: 8
; WaveLimiterHint : 0
; COMPUTE_PGM_RSRC2:SCRATCH_EN: 0
; COMPUTE_PGM_RSRC2:USER_SGPR: 2
; COMPUTE_PGM_RSRC2:TRAP_HANDLER: 0
; COMPUTE_PGM_RSRC2:TGID_X_EN: 1
; COMPUTE_PGM_RSRC2:TGID_Y_EN: 0
; COMPUTE_PGM_RSRC2:TGID_Z_EN: 0
; COMPUTE_PGM_RSRC2:TIDIG_COMP_CNT: 0
; COMPUTE_PGM_RSRC3_GFX90A:ACCUM_OFFSET: 0
; COMPUTE_PGM_RSRC3_GFX90A:TG_SPLIT: 0
	.section	.text._ZN7rocprim17ROCPRIM_400000_NS6detail17trampoline_kernelINS0_14default_configENS1_38merge_sort_block_merge_config_selectorIjNS0_10empty_typeEEEZZNS1_27merge_sort_block_merge_implIS3_N6thrust23THRUST_200600_302600_NS6detail15normal_iteratorINS9_10device_ptrIjEEEEPS5_jNS1_19radix_merge_compareILb0ELb1EjNS0_19identity_decomposerEEEEE10hipError_tT0_T1_T2_jT3_P12ihipStream_tbPNSt15iterator_traitsISK_E10value_typeEPNSQ_ISL_E10value_typeEPSM_NS1_7vsmem_tEENKUlT_SK_SL_SM_E_clIPjSE_SF_SF_EESJ_SZ_SK_SL_SM_EUlSZ_E_NS1_11comp_targetILNS1_3genE2ELNS1_11target_archE906ELNS1_3gpuE6ELNS1_3repE0EEENS1_48merge_mergepath_partition_config_static_selectorELNS0_4arch9wavefront6targetE1EEEvSL_,"axG",@progbits,_ZN7rocprim17ROCPRIM_400000_NS6detail17trampoline_kernelINS0_14default_configENS1_38merge_sort_block_merge_config_selectorIjNS0_10empty_typeEEEZZNS1_27merge_sort_block_merge_implIS3_N6thrust23THRUST_200600_302600_NS6detail15normal_iteratorINS9_10device_ptrIjEEEEPS5_jNS1_19radix_merge_compareILb0ELb1EjNS0_19identity_decomposerEEEEE10hipError_tT0_T1_T2_jT3_P12ihipStream_tbPNSt15iterator_traitsISK_E10value_typeEPNSQ_ISL_E10value_typeEPSM_NS1_7vsmem_tEENKUlT_SK_SL_SM_E_clIPjSE_SF_SF_EESJ_SZ_SK_SL_SM_EUlSZ_E_NS1_11comp_targetILNS1_3genE2ELNS1_11target_archE906ELNS1_3gpuE6ELNS1_3repE0EEENS1_48merge_mergepath_partition_config_static_selectorELNS0_4arch9wavefront6targetE1EEEvSL_,comdat
	.protected	_ZN7rocprim17ROCPRIM_400000_NS6detail17trampoline_kernelINS0_14default_configENS1_38merge_sort_block_merge_config_selectorIjNS0_10empty_typeEEEZZNS1_27merge_sort_block_merge_implIS3_N6thrust23THRUST_200600_302600_NS6detail15normal_iteratorINS9_10device_ptrIjEEEEPS5_jNS1_19radix_merge_compareILb0ELb1EjNS0_19identity_decomposerEEEEE10hipError_tT0_T1_T2_jT3_P12ihipStream_tbPNSt15iterator_traitsISK_E10value_typeEPNSQ_ISL_E10value_typeEPSM_NS1_7vsmem_tEENKUlT_SK_SL_SM_E_clIPjSE_SF_SF_EESJ_SZ_SK_SL_SM_EUlSZ_E_NS1_11comp_targetILNS1_3genE2ELNS1_11target_archE906ELNS1_3gpuE6ELNS1_3repE0EEENS1_48merge_mergepath_partition_config_static_selectorELNS0_4arch9wavefront6targetE1EEEvSL_ ; -- Begin function _ZN7rocprim17ROCPRIM_400000_NS6detail17trampoline_kernelINS0_14default_configENS1_38merge_sort_block_merge_config_selectorIjNS0_10empty_typeEEEZZNS1_27merge_sort_block_merge_implIS3_N6thrust23THRUST_200600_302600_NS6detail15normal_iteratorINS9_10device_ptrIjEEEEPS5_jNS1_19radix_merge_compareILb0ELb1EjNS0_19identity_decomposerEEEEE10hipError_tT0_T1_T2_jT3_P12ihipStream_tbPNSt15iterator_traitsISK_E10value_typeEPNSQ_ISL_E10value_typeEPSM_NS1_7vsmem_tEENKUlT_SK_SL_SM_E_clIPjSE_SF_SF_EESJ_SZ_SK_SL_SM_EUlSZ_E_NS1_11comp_targetILNS1_3genE2ELNS1_11target_archE906ELNS1_3gpuE6ELNS1_3repE0EEENS1_48merge_mergepath_partition_config_static_selectorELNS0_4arch9wavefront6targetE1EEEvSL_
	.globl	_ZN7rocprim17ROCPRIM_400000_NS6detail17trampoline_kernelINS0_14default_configENS1_38merge_sort_block_merge_config_selectorIjNS0_10empty_typeEEEZZNS1_27merge_sort_block_merge_implIS3_N6thrust23THRUST_200600_302600_NS6detail15normal_iteratorINS9_10device_ptrIjEEEEPS5_jNS1_19radix_merge_compareILb0ELb1EjNS0_19identity_decomposerEEEEE10hipError_tT0_T1_T2_jT3_P12ihipStream_tbPNSt15iterator_traitsISK_E10value_typeEPNSQ_ISL_E10value_typeEPSM_NS1_7vsmem_tEENKUlT_SK_SL_SM_E_clIPjSE_SF_SF_EESJ_SZ_SK_SL_SM_EUlSZ_E_NS1_11comp_targetILNS1_3genE2ELNS1_11target_archE906ELNS1_3gpuE6ELNS1_3repE0EEENS1_48merge_mergepath_partition_config_static_selectorELNS0_4arch9wavefront6targetE1EEEvSL_
	.p2align	8
	.type	_ZN7rocprim17ROCPRIM_400000_NS6detail17trampoline_kernelINS0_14default_configENS1_38merge_sort_block_merge_config_selectorIjNS0_10empty_typeEEEZZNS1_27merge_sort_block_merge_implIS3_N6thrust23THRUST_200600_302600_NS6detail15normal_iteratorINS9_10device_ptrIjEEEEPS5_jNS1_19radix_merge_compareILb0ELb1EjNS0_19identity_decomposerEEEEE10hipError_tT0_T1_T2_jT3_P12ihipStream_tbPNSt15iterator_traitsISK_E10value_typeEPNSQ_ISL_E10value_typeEPSM_NS1_7vsmem_tEENKUlT_SK_SL_SM_E_clIPjSE_SF_SF_EESJ_SZ_SK_SL_SM_EUlSZ_E_NS1_11comp_targetILNS1_3genE2ELNS1_11target_archE906ELNS1_3gpuE6ELNS1_3repE0EEENS1_48merge_mergepath_partition_config_static_selectorELNS0_4arch9wavefront6targetE1EEEvSL_,@function
_ZN7rocprim17ROCPRIM_400000_NS6detail17trampoline_kernelINS0_14default_configENS1_38merge_sort_block_merge_config_selectorIjNS0_10empty_typeEEEZZNS1_27merge_sort_block_merge_implIS3_N6thrust23THRUST_200600_302600_NS6detail15normal_iteratorINS9_10device_ptrIjEEEEPS5_jNS1_19radix_merge_compareILb0ELb1EjNS0_19identity_decomposerEEEEE10hipError_tT0_T1_T2_jT3_P12ihipStream_tbPNSt15iterator_traitsISK_E10value_typeEPNSQ_ISL_E10value_typeEPSM_NS1_7vsmem_tEENKUlT_SK_SL_SM_E_clIPjSE_SF_SF_EESJ_SZ_SK_SL_SM_EUlSZ_E_NS1_11comp_targetILNS1_3genE2ELNS1_11target_archE906ELNS1_3gpuE6ELNS1_3repE0EEENS1_48merge_mergepath_partition_config_static_selectorELNS0_4arch9wavefront6targetE1EEEvSL_: ; @_ZN7rocprim17ROCPRIM_400000_NS6detail17trampoline_kernelINS0_14default_configENS1_38merge_sort_block_merge_config_selectorIjNS0_10empty_typeEEEZZNS1_27merge_sort_block_merge_implIS3_N6thrust23THRUST_200600_302600_NS6detail15normal_iteratorINS9_10device_ptrIjEEEEPS5_jNS1_19radix_merge_compareILb0ELb1EjNS0_19identity_decomposerEEEEE10hipError_tT0_T1_T2_jT3_P12ihipStream_tbPNSt15iterator_traitsISK_E10value_typeEPNSQ_ISL_E10value_typeEPSM_NS1_7vsmem_tEENKUlT_SK_SL_SM_E_clIPjSE_SF_SF_EESJ_SZ_SK_SL_SM_EUlSZ_E_NS1_11comp_targetILNS1_3genE2ELNS1_11target_archE906ELNS1_3gpuE6ELNS1_3repE0EEENS1_48merge_mergepath_partition_config_static_selectorELNS0_4arch9wavefront6targetE1EEEvSL_
; %bb.0:
	.section	.rodata,"a",@progbits
	.p2align	6, 0x0
	.amdhsa_kernel _ZN7rocprim17ROCPRIM_400000_NS6detail17trampoline_kernelINS0_14default_configENS1_38merge_sort_block_merge_config_selectorIjNS0_10empty_typeEEEZZNS1_27merge_sort_block_merge_implIS3_N6thrust23THRUST_200600_302600_NS6detail15normal_iteratorINS9_10device_ptrIjEEEEPS5_jNS1_19radix_merge_compareILb0ELb1EjNS0_19identity_decomposerEEEEE10hipError_tT0_T1_T2_jT3_P12ihipStream_tbPNSt15iterator_traitsISK_E10value_typeEPNSQ_ISL_E10value_typeEPSM_NS1_7vsmem_tEENKUlT_SK_SL_SM_E_clIPjSE_SF_SF_EESJ_SZ_SK_SL_SM_EUlSZ_E_NS1_11comp_targetILNS1_3genE2ELNS1_11target_archE906ELNS1_3gpuE6ELNS1_3repE0EEENS1_48merge_mergepath_partition_config_static_selectorELNS0_4arch9wavefront6targetE1EEEvSL_
		.amdhsa_group_segment_fixed_size 0
		.amdhsa_private_segment_fixed_size 0
		.amdhsa_kernarg_size 40
		.amdhsa_user_sgpr_count 2
		.amdhsa_user_sgpr_dispatch_ptr 0
		.amdhsa_user_sgpr_queue_ptr 0
		.amdhsa_user_sgpr_kernarg_segment_ptr 1
		.amdhsa_user_sgpr_dispatch_id 0
		.amdhsa_user_sgpr_kernarg_preload_length 0
		.amdhsa_user_sgpr_kernarg_preload_offset 0
		.amdhsa_user_sgpr_private_segment_size 0
		.amdhsa_uses_dynamic_stack 0
		.amdhsa_enable_private_segment 0
		.amdhsa_system_sgpr_workgroup_id_x 1
		.amdhsa_system_sgpr_workgroup_id_y 0
		.amdhsa_system_sgpr_workgroup_id_z 0
		.amdhsa_system_sgpr_workgroup_info 0
		.amdhsa_system_vgpr_workitem_id 0
		.amdhsa_next_free_vgpr 1
		.amdhsa_next_free_sgpr 0
		.amdhsa_accum_offset 4
		.amdhsa_reserve_vcc 0
		.amdhsa_float_round_mode_32 0
		.amdhsa_float_round_mode_16_64 0
		.amdhsa_float_denorm_mode_32 3
		.amdhsa_float_denorm_mode_16_64 3
		.amdhsa_dx10_clamp 1
		.amdhsa_ieee_mode 1
		.amdhsa_fp16_overflow 0
		.amdhsa_tg_split 0
		.amdhsa_exception_fp_ieee_invalid_op 0
		.amdhsa_exception_fp_denorm_src 0
		.amdhsa_exception_fp_ieee_div_zero 0
		.amdhsa_exception_fp_ieee_overflow 0
		.amdhsa_exception_fp_ieee_underflow 0
		.amdhsa_exception_fp_ieee_inexact 0
		.amdhsa_exception_int_div_zero 0
	.end_amdhsa_kernel
	.section	.text._ZN7rocprim17ROCPRIM_400000_NS6detail17trampoline_kernelINS0_14default_configENS1_38merge_sort_block_merge_config_selectorIjNS0_10empty_typeEEEZZNS1_27merge_sort_block_merge_implIS3_N6thrust23THRUST_200600_302600_NS6detail15normal_iteratorINS9_10device_ptrIjEEEEPS5_jNS1_19radix_merge_compareILb0ELb1EjNS0_19identity_decomposerEEEEE10hipError_tT0_T1_T2_jT3_P12ihipStream_tbPNSt15iterator_traitsISK_E10value_typeEPNSQ_ISL_E10value_typeEPSM_NS1_7vsmem_tEENKUlT_SK_SL_SM_E_clIPjSE_SF_SF_EESJ_SZ_SK_SL_SM_EUlSZ_E_NS1_11comp_targetILNS1_3genE2ELNS1_11target_archE906ELNS1_3gpuE6ELNS1_3repE0EEENS1_48merge_mergepath_partition_config_static_selectorELNS0_4arch9wavefront6targetE1EEEvSL_,"axG",@progbits,_ZN7rocprim17ROCPRIM_400000_NS6detail17trampoline_kernelINS0_14default_configENS1_38merge_sort_block_merge_config_selectorIjNS0_10empty_typeEEEZZNS1_27merge_sort_block_merge_implIS3_N6thrust23THRUST_200600_302600_NS6detail15normal_iteratorINS9_10device_ptrIjEEEEPS5_jNS1_19radix_merge_compareILb0ELb1EjNS0_19identity_decomposerEEEEE10hipError_tT0_T1_T2_jT3_P12ihipStream_tbPNSt15iterator_traitsISK_E10value_typeEPNSQ_ISL_E10value_typeEPSM_NS1_7vsmem_tEENKUlT_SK_SL_SM_E_clIPjSE_SF_SF_EESJ_SZ_SK_SL_SM_EUlSZ_E_NS1_11comp_targetILNS1_3genE2ELNS1_11target_archE906ELNS1_3gpuE6ELNS1_3repE0EEENS1_48merge_mergepath_partition_config_static_selectorELNS0_4arch9wavefront6targetE1EEEvSL_,comdat
.Lfunc_end1031:
	.size	_ZN7rocprim17ROCPRIM_400000_NS6detail17trampoline_kernelINS0_14default_configENS1_38merge_sort_block_merge_config_selectorIjNS0_10empty_typeEEEZZNS1_27merge_sort_block_merge_implIS3_N6thrust23THRUST_200600_302600_NS6detail15normal_iteratorINS9_10device_ptrIjEEEEPS5_jNS1_19radix_merge_compareILb0ELb1EjNS0_19identity_decomposerEEEEE10hipError_tT0_T1_T2_jT3_P12ihipStream_tbPNSt15iterator_traitsISK_E10value_typeEPNSQ_ISL_E10value_typeEPSM_NS1_7vsmem_tEENKUlT_SK_SL_SM_E_clIPjSE_SF_SF_EESJ_SZ_SK_SL_SM_EUlSZ_E_NS1_11comp_targetILNS1_3genE2ELNS1_11target_archE906ELNS1_3gpuE6ELNS1_3repE0EEENS1_48merge_mergepath_partition_config_static_selectorELNS0_4arch9wavefront6targetE1EEEvSL_, .Lfunc_end1031-_ZN7rocprim17ROCPRIM_400000_NS6detail17trampoline_kernelINS0_14default_configENS1_38merge_sort_block_merge_config_selectorIjNS0_10empty_typeEEEZZNS1_27merge_sort_block_merge_implIS3_N6thrust23THRUST_200600_302600_NS6detail15normal_iteratorINS9_10device_ptrIjEEEEPS5_jNS1_19radix_merge_compareILb0ELb1EjNS0_19identity_decomposerEEEEE10hipError_tT0_T1_T2_jT3_P12ihipStream_tbPNSt15iterator_traitsISK_E10value_typeEPNSQ_ISL_E10value_typeEPSM_NS1_7vsmem_tEENKUlT_SK_SL_SM_E_clIPjSE_SF_SF_EESJ_SZ_SK_SL_SM_EUlSZ_E_NS1_11comp_targetILNS1_3genE2ELNS1_11target_archE906ELNS1_3gpuE6ELNS1_3repE0EEENS1_48merge_mergepath_partition_config_static_selectorELNS0_4arch9wavefront6targetE1EEEvSL_
                                        ; -- End function
	.section	.AMDGPU.csdata,"",@progbits
; Kernel info:
; codeLenInByte = 0
; NumSgprs: 6
; NumVgprs: 0
; NumAgprs: 0
; TotalNumVgprs: 0
; ScratchSize: 0
; MemoryBound: 0
; FloatMode: 240
; IeeeMode: 1
; LDSByteSize: 0 bytes/workgroup (compile time only)
; SGPRBlocks: 0
; VGPRBlocks: 0
; NumSGPRsForWavesPerEU: 6
; NumVGPRsForWavesPerEU: 1
; AccumOffset: 4
; Occupancy: 8
; WaveLimiterHint : 0
; COMPUTE_PGM_RSRC2:SCRATCH_EN: 0
; COMPUTE_PGM_RSRC2:USER_SGPR: 2
; COMPUTE_PGM_RSRC2:TRAP_HANDLER: 0
; COMPUTE_PGM_RSRC2:TGID_X_EN: 1
; COMPUTE_PGM_RSRC2:TGID_Y_EN: 0
; COMPUTE_PGM_RSRC2:TGID_Z_EN: 0
; COMPUTE_PGM_RSRC2:TIDIG_COMP_CNT: 0
; COMPUTE_PGM_RSRC3_GFX90A:ACCUM_OFFSET: 0
; COMPUTE_PGM_RSRC3_GFX90A:TG_SPLIT: 0
	.section	.text._ZN7rocprim17ROCPRIM_400000_NS6detail17trampoline_kernelINS0_14default_configENS1_38merge_sort_block_merge_config_selectorIjNS0_10empty_typeEEEZZNS1_27merge_sort_block_merge_implIS3_N6thrust23THRUST_200600_302600_NS6detail15normal_iteratorINS9_10device_ptrIjEEEEPS5_jNS1_19radix_merge_compareILb0ELb1EjNS0_19identity_decomposerEEEEE10hipError_tT0_T1_T2_jT3_P12ihipStream_tbPNSt15iterator_traitsISK_E10value_typeEPNSQ_ISL_E10value_typeEPSM_NS1_7vsmem_tEENKUlT_SK_SL_SM_E_clIPjSE_SF_SF_EESJ_SZ_SK_SL_SM_EUlSZ_E_NS1_11comp_targetILNS1_3genE9ELNS1_11target_archE1100ELNS1_3gpuE3ELNS1_3repE0EEENS1_48merge_mergepath_partition_config_static_selectorELNS0_4arch9wavefront6targetE1EEEvSL_,"axG",@progbits,_ZN7rocprim17ROCPRIM_400000_NS6detail17trampoline_kernelINS0_14default_configENS1_38merge_sort_block_merge_config_selectorIjNS0_10empty_typeEEEZZNS1_27merge_sort_block_merge_implIS3_N6thrust23THRUST_200600_302600_NS6detail15normal_iteratorINS9_10device_ptrIjEEEEPS5_jNS1_19radix_merge_compareILb0ELb1EjNS0_19identity_decomposerEEEEE10hipError_tT0_T1_T2_jT3_P12ihipStream_tbPNSt15iterator_traitsISK_E10value_typeEPNSQ_ISL_E10value_typeEPSM_NS1_7vsmem_tEENKUlT_SK_SL_SM_E_clIPjSE_SF_SF_EESJ_SZ_SK_SL_SM_EUlSZ_E_NS1_11comp_targetILNS1_3genE9ELNS1_11target_archE1100ELNS1_3gpuE3ELNS1_3repE0EEENS1_48merge_mergepath_partition_config_static_selectorELNS0_4arch9wavefront6targetE1EEEvSL_,comdat
	.protected	_ZN7rocprim17ROCPRIM_400000_NS6detail17trampoline_kernelINS0_14default_configENS1_38merge_sort_block_merge_config_selectorIjNS0_10empty_typeEEEZZNS1_27merge_sort_block_merge_implIS3_N6thrust23THRUST_200600_302600_NS6detail15normal_iteratorINS9_10device_ptrIjEEEEPS5_jNS1_19radix_merge_compareILb0ELb1EjNS0_19identity_decomposerEEEEE10hipError_tT0_T1_T2_jT3_P12ihipStream_tbPNSt15iterator_traitsISK_E10value_typeEPNSQ_ISL_E10value_typeEPSM_NS1_7vsmem_tEENKUlT_SK_SL_SM_E_clIPjSE_SF_SF_EESJ_SZ_SK_SL_SM_EUlSZ_E_NS1_11comp_targetILNS1_3genE9ELNS1_11target_archE1100ELNS1_3gpuE3ELNS1_3repE0EEENS1_48merge_mergepath_partition_config_static_selectorELNS0_4arch9wavefront6targetE1EEEvSL_ ; -- Begin function _ZN7rocprim17ROCPRIM_400000_NS6detail17trampoline_kernelINS0_14default_configENS1_38merge_sort_block_merge_config_selectorIjNS0_10empty_typeEEEZZNS1_27merge_sort_block_merge_implIS3_N6thrust23THRUST_200600_302600_NS6detail15normal_iteratorINS9_10device_ptrIjEEEEPS5_jNS1_19radix_merge_compareILb0ELb1EjNS0_19identity_decomposerEEEEE10hipError_tT0_T1_T2_jT3_P12ihipStream_tbPNSt15iterator_traitsISK_E10value_typeEPNSQ_ISL_E10value_typeEPSM_NS1_7vsmem_tEENKUlT_SK_SL_SM_E_clIPjSE_SF_SF_EESJ_SZ_SK_SL_SM_EUlSZ_E_NS1_11comp_targetILNS1_3genE9ELNS1_11target_archE1100ELNS1_3gpuE3ELNS1_3repE0EEENS1_48merge_mergepath_partition_config_static_selectorELNS0_4arch9wavefront6targetE1EEEvSL_
	.globl	_ZN7rocprim17ROCPRIM_400000_NS6detail17trampoline_kernelINS0_14default_configENS1_38merge_sort_block_merge_config_selectorIjNS0_10empty_typeEEEZZNS1_27merge_sort_block_merge_implIS3_N6thrust23THRUST_200600_302600_NS6detail15normal_iteratorINS9_10device_ptrIjEEEEPS5_jNS1_19radix_merge_compareILb0ELb1EjNS0_19identity_decomposerEEEEE10hipError_tT0_T1_T2_jT3_P12ihipStream_tbPNSt15iterator_traitsISK_E10value_typeEPNSQ_ISL_E10value_typeEPSM_NS1_7vsmem_tEENKUlT_SK_SL_SM_E_clIPjSE_SF_SF_EESJ_SZ_SK_SL_SM_EUlSZ_E_NS1_11comp_targetILNS1_3genE9ELNS1_11target_archE1100ELNS1_3gpuE3ELNS1_3repE0EEENS1_48merge_mergepath_partition_config_static_selectorELNS0_4arch9wavefront6targetE1EEEvSL_
	.p2align	8
	.type	_ZN7rocprim17ROCPRIM_400000_NS6detail17trampoline_kernelINS0_14default_configENS1_38merge_sort_block_merge_config_selectorIjNS0_10empty_typeEEEZZNS1_27merge_sort_block_merge_implIS3_N6thrust23THRUST_200600_302600_NS6detail15normal_iteratorINS9_10device_ptrIjEEEEPS5_jNS1_19radix_merge_compareILb0ELb1EjNS0_19identity_decomposerEEEEE10hipError_tT0_T1_T2_jT3_P12ihipStream_tbPNSt15iterator_traitsISK_E10value_typeEPNSQ_ISL_E10value_typeEPSM_NS1_7vsmem_tEENKUlT_SK_SL_SM_E_clIPjSE_SF_SF_EESJ_SZ_SK_SL_SM_EUlSZ_E_NS1_11comp_targetILNS1_3genE9ELNS1_11target_archE1100ELNS1_3gpuE3ELNS1_3repE0EEENS1_48merge_mergepath_partition_config_static_selectorELNS0_4arch9wavefront6targetE1EEEvSL_,@function
_ZN7rocprim17ROCPRIM_400000_NS6detail17trampoline_kernelINS0_14default_configENS1_38merge_sort_block_merge_config_selectorIjNS0_10empty_typeEEEZZNS1_27merge_sort_block_merge_implIS3_N6thrust23THRUST_200600_302600_NS6detail15normal_iteratorINS9_10device_ptrIjEEEEPS5_jNS1_19radix_merge_compareILb0ELb1EjNS0_19identity_decomposerEEEEE10hipError_tT0_T1_T2_jT3_P12ihipStream_tbPNSt15iterator_traitsISK_E10value_typeEPNSQ_ISL_E10value_typeEPSM_NS1_7vsmem_tEENKUlT_SK_SL_SM_E_clIPjSE_SF_SF_EESJ_SZ_SK_SL_SM_EUlSZ_E_NS1_11comp_targetILNS1_3genE9ELNS1_11target_archE1100ELNS1_3gpuE3ELNS1_3repE0EEENS1_48merge_mergepath_partition_config_static_selectorELNS0_4arch9wavefront6targetE1EEEvSL_: ; @_ZN7rocprim17ROCPRIM_400000_NS6detail17trampoline_kernelINS0_14default_configENS1_38merge_sort_block_merge_config_selectorIjNS0_10empty_typeEEEZZNS1_27merge_sort_block_merge_implIS3_N6thrust23THRUST_200600_302600_NS6detail15normal_iteratorINS9_10device_ptrIjEEEEPS5_jNS1_19radix_merge_compareILb0ELb1EjNS0_19identity_decomposerEEEEE10hipError_tT0_T1_T2_jT3_P12ihipStream_tbPNSt15iterator_traitsISK_E10value_typeEPNSQ_ISL_E10value_typeEPSM_NS1_7vsmem_tEENKUlT_SK_SL_SM_E_clIPjSE_SF_SF_EESJ_SZ_SK_SL_SM_EUlSZ_E_NS1_11comp_targetILNS1_3genE9ELNS1_11target_archE1100ELNS1_3gpuE3ELNS1_3repE0EEENS1_48merge_mergepath_partition_config_static_selectorELNS0_4arch9wavefront6targetE1EEEvSL_
; %bb.0:
	.section	.rodata,"a",@progbits
	.p2align	6, 0x0
	.amdhsa_kernel _ZN7rocprim17ROCPRIM_400000_NS6detail17trampoline_kernelINS0_14default_configENS1_38merge_sort_block_merge_config_selectorIjNS0_10empty_typeEEEZZNS1_27merge_sort_block_merge_implIS3_N6thrust23THRUST_200600_302600_NS6detail15normal_iteratorINS9_10device_ptrIjEEEEPS5_jNS1_19radix_merge_compareILb0ELb1EjNS0_19identity_decomposerEEEEE10hipError_tT0_T1_T2_jT3_P12ihipStream_tbPNSt15iterator_traitsISK_E10value_typeEPNSQ_ISL_E10value_typeEPSM_NS1_7vsmem_tEENKUlT_SK_SL_SM_E_clIPjSE_SF_SF_EESJ_SZ_SK_SL_SM_EUlSZ_E_NS1_11comp_targetILNS1_3genE9ELNS1_11target_archE1100ELNS1_3gpuE3ELNS1_3repE0EEENS1_48merge_mergepath_partition_config_static_selectorELNS0_4arch9wavefront6targetE1EEEvSL_
		.amdhsa_group_segment_fixed_size 0
		.amdhsa_private_segment_fixed_size 0
		.amdhsa_kernarg_size 40
		.amdhsa_user_sgpr_count 2
		.amdhsa_user_sgpr_dispatch_ptr 0
		.amdhsa_user_sgpr_queue_ptr 0
		.amdhsa_user_sgpr_kernarg_segment_ptr 1
		.amdhsa_user_sgpr_dispatch_id 0
		.amdhsa_user_sgpr_kernarg_preload_length 0
		.amdhsa_user_sgpr_kernarg_preload_offset 0
		.amdhsa_user_sgpr_private_segment_size 0
		.amdhsa_uses_dynamic_stack 0
		.amdhsa_enable_private_segment 0
		.amdhsa_system_sgpr_workgroup_id_x 1
		.amdhsa_system_sgpr_workgroup_id_y 0
		.amdhsa_system_sgpr_workgroup_id_z 0
		.amdhsa_system_sgpr_workgroup_info 0
		.amdhsa_system_vgpr_workitem_id 0
		.amdhsa_next_free_vgpr 1
		.amdhsa_next_free_sgpr 0
		.amdhsa_accum_offset 4
		.amdhsa_reserve_vcc 0
		.amdhsa_float_round_mode_32 0
		.amdhsa_float_round_mode_16_64 0
		.amdhsa_float_denorm_mode_32 3
		.amdhsa_float_denorm_mode_16_64 3
		.amdhsa_dx10_clamp 1
		.amdhsa_ieee_mode 1
		.amdhsa_fp16_overflow 0
		.amdhsa_tg_split 0
		.amdhsa_exception_fp_ieee_invalid_op 0
		.amdhsa_exception_fp_denorm_src 0
		.amdhsa_exception_fp_ieee_div_zero 0
		.amdhsa_exception_fp_ieee_overflow 0
		.amdhsa_exception_fp_ieee_underflow 0
		.amdhsa_exception_fp_ieee_inexact 0
		.amdhsa_exception_int_div_zero 0
	.end_amdhsa_kernel
	.section	.text._ZN7rocprim17ROCPRIM_400000_NS6detail17trampoline_kernelINS0_14default_configENS1_38merge_sort_block_merge_config_selectorIjNS0_10empty_typeEEEZZNS1_27merge_sort_block_merge_implIS3_N6thrust23THRUST_200600_302600_NS6detail15normal_iteratorINS9_10device_ptrIjEEEEPS5_jNS1_19radix_merge_compareILb0ELb1EjNS0_19identity_decomposerEEEEE10hipError_tT0_T1_T2_jT3_P12ihipStream_tbPNSt15iterator_traitsISK_E10value_typeEPNSQ_ISL_E10value_typeEPSM_NS1_7vsmem_tEENKUlT_SK_SL_SM_E_clIPjSE_SF_SF_EESJ_SZ_SK_SL_SM_EUlSZ_E_NS1_11comp_targetILNS1_3genE9ELNS1_11target_archE1100ELNS1_3gpuE3ELNS1_3repE0EEENS1_48merge_mergepath_partition_config_static_selectorELNS0_4arch9wavefront6targetE1EEEvSL_,"axG",@progbits,_ZN7rocprim17ROCPRIM_400000_NS6detail17trampoline_kernelINS0_14default_configENS1_38merge_sort_block_merge_config_selectorIjNS0_10empty_typeEEEZZNS1_27merge_sort_block_merge_implIS3_N6thrust23THRUST_200600_302600_NS6detail15normal_iteratorINS9_10device_ptrIjEEEEPS5_jNS1_19radix_merge_compareILb0ELb1EjNS0_19identity_decomposerEEEEE10hipError_tT0_T1_T2_jT3_P12ihipStream_tbPNSt15iterator_traitsISK_E10value_typeEPNSQ_ISL_E10value_typeEPSM_NS1_7vsmem_tEENKUlT_SK_SL_SM_E_clIPjSE_SF_SF_EESJ_SZ_SK_SL_SM_EUlSZ_E_NS1_11comp_targetILNS1_3genE9ELNS1_11target_archE1100ELNS1_3gpuE3ELNS1_3repE0EEENS1_48merge_mergepath_partition_config_static_selectorELNS0_4arch9wavefront6targetE1EEEvSL_,comdat
.Lfunc_end1032:
	.size	_ZN7rocprim17ROCPRIM_400000_NS6detail17trampoline_kernelINS0_14default_configENS1_38merge_sort_block_merge_config_selectorIjNS0_10empty_typeEEEZZNS1_27merge_sort_block_merge_implIS3_N6thrust23THRUST_200600_302600_NS6detail15normal_iteratorINS9_10device_ptrIjEEEEPS5_jNS1_19radix_merge_compareILb0ELb1EjNS0_19identity_decomposerEEEEE10hipError_tT0_T1_T2_jT3_P12ihipStream_tbPNSt15iterator_traitsISK_E10value_typeEPNSQ_ISL_E10value_typeEPSM_NS1_7vsmem_tEENKUlT_SK_SL_SM_E_clIPjSE_SF_SF_EESJ_SZ_SK_SL_SM_EUlSZ_E_NS1_11comp_targetILNS1_3genE9ELNS1_11target_archE1100ELNS1_3gpuE3ELNS1_3repE0EEENS1_48merge_mergepath_partition_config_static_selectorELNS0_4arch9wavefront6targetE1EEEvSL_, .Lfunc_end1032-_ZN7rocprim17ROCPRIM_400000_NS6detail17trampoline_kernelINS0_14default_configENS1_38merge_sort_block_merge_config_selectorIjNS0_10empty_typeEEEZZNS1_27merge_sort_block_merge_implIS3_N6thrust23THRUST_200600_302600_NS6detail15normal_iteratorINS9_10device_ptrIjEEEEPS5_jNS1_19radix_merge_compareILb0ELb1EjNS0_19identity_decomposerEEEEE10hipError_tT0_T1_T2_jT3_P12ihipStream_tbPNSt15iterator_traitsISK_E10value_typeEPNSQ_ISL_E10value_typeEPSM_NS1_7vsmem_tEENKUlT_SK_SL_SM_E_clIPjSE_SF_SF_EESJ_SZ_SK_SL_SM_EUlSZ_E_NS1_11comp_targetILNS1_3genE9ELNS1_11target_archE1100ELNS1_3gpuE3ELNS1_3repE0EEENS1_48merge_mergepath_partition_config_static_selectorELNS0_4arch9wavefront6targetE1EEEvSL_
                                        ; -- End function
	.section	.AMDGPU.csdata,"",@progbits
; Kernel info:
; codeLenInByte = 0
; NumSgprs: 6
; NumVgprs: 0
; NumAgprs: 0
; TotalNumVgprs: 0
; ScratchSize: 0
; MemoryBound: 0
; FloatMode: 240
; IeeeMode: 1
; LDSByteSize: 0 bytes/workgroup (compile time only)
; SGPRBlocks: 0
; VGPRBlocks: 0
; NumSGPRsForWavesPerEU: 6
; NumVGPRsForWavesPerEU: 1
; AccumOffset: 4
; Occupancy: 8
; WaveLimiterHint : 0
; COMPUTE_PGM_RSRC2:SCRATCH_EN: 0
; COMPUTE_PGM_RSRC2:USER_SGPR: 2
; COMPUTE_PGM_RSRC2:TRAP_HANDLER: 0
; COMPUTE_PGM_RSRC2:TGID_X_EN: 1
; COMPUTE_PGM_RSRC2:TGID_Y_EN: 0
; COMPUTE_PGM_RSRC2:TGID_Z_EN: 0
; COMPUTE_PGM_RSRC2:TIDIG_COMP_CNT: 0
; COMPUTE_PGM_RSRC3_GFX90A:ACCUM_OFFSET: 0
; COMPUTE_PGM_RSRC3_GFX90A:TG_SPLIT: 0
	.section	.text._ZN7rocprim17ROCPRIM_400000_NS6detail17trampoline_kernelINS0_14default_configENS1_38merge_sort_block_merge_config_selectorIjNS0_10empty_typeEEEZZNS1_27merge_sort_block_merge_implIS3_N6thrust23THRUST_200600_302600_NS6detail15normal_iteratorINS9_10device_ptrIjEEEEPS5_jNS1_19radix_merge_compareILb0ELb1EjNS0_19identity_decomposerEEEEE10hipError_tT0_T1_T2_jT3_P12ihipStream_tbPNSt15iterator_traitsISK_E10value_typeEPNSQ_ISL_E10value_typeEPSM_NS1_7vsmem_tEENKUlT_SK_SL_SM_E_clIPjSE_SF_SF_EESJ_SZ_SK_SL_SM_EUlSZ_E_NS1_11comp_targetILNS1_3genE8ELNS1_11target_archE1030ELNS1_3gpuE2ELNS1_3repE0EEENS1_48merge_mergepath_partition_config_static_selectorELNS0_4arch9wavefront6targetE1EEEvSL_,"axG",@progbits,_ZN7rocprim17ROCPRIM_400000_NS6detail17trampoline_kernelINS0_14default_configENS1_38merge_sort_block_merge_config_selectorIjNS0_10empty_typeEEEZZNS1_27merge_sort_block_merge_implIS3_N6thrust23THRUST_200600_302600_NS6detail15normal_iteratorINS9_10device_ptrIjEEEEPS5_jNS1_19radix_merge_compareILb0ELb1EjNS0_19identity_decomposerEEEEE10hipError_tT0_T1_T2_jT3_P12ihipStream_tbPNSt15iterator_traitsISK_E10value_typeEPNSQ_ISL_E10value_typeEPSM_NS1_7vsmem_tEENKUlT_SK_SL_SM_E_clIPjSE_SF_SF_EESJ_SZ_SK_SL_SM_EUlSZ_E_NS1_11comp_targetILNS1_3genE8ELNS1_11target_archE1030ELNS1_3gpuE2ELNS1_3repE0EEENS1_48merge_mergepath_partition_config_static_selectorELNS0_4arch9wavefront6targetE1EEEvSL_,comdat
	.protected	_ZN7rocprim17ROCPRIM_400000_NS6detail17trampoline_kernelINS0_14default_configENS1_38merge_sort_block_merge_config_selectorIjNS0_10empty_typeEEEZZNS1_27merge_sort_block_merge_implIS3_N6thrust23THRUST_200600_302600_NS6detail15normal_iteratorINS9_10device_ptrIjEEEEPS5_jNS1_19radix_merge_compareILb0ELb1EjNS0_19identity_decomposerEEEEE10hipError_tT0_T1_T2_jT3_P12ihipStream_tbPNSt15iterator_traitsISK_E10value_typeEPNSQ_ISL_E10value_typeEPSM_NS1_7vsmem_tEENKUlT_SK_SL_SM_E_clIPjSE_SF_SF_EESJ_SZ_SK_SL_SM_EUlSZ_E_NS1_11comp_targetILNS1_3genE8ELNS1_11target_archE1030ELNS1_3gpuE2ELNS1_3repE0EEENS1_48merge_mergepath_partition_config_static_selectorELNS0_4arch9wavefront6targetE1EEEvSL_ ; -- Begin function _ZN7rocprim17ROCPRIM_400000_NS6detail17trampoline_kernelINS0_14default_configENS1_38merge_sort_block_merge_config_selectorIjNS0_10empty_typeEEEZZNS1_27merge_sort_block_merge_implIS3_N6thrust23THRUST_200600_302600_NS6detail15normal_iteratorINS9_10device_ptrIjEEEEPS5_jNS1_19radix_merge_compareILb0ELb1EjNS0_19identity_decomposerEEEEE10hipError_tT0_T1_T2_jT3_P12ihipStream_tbPNSt15iterator_traitsISK_E10value_typeEPNSQ_ISL_E10value_typeEPSM_NS1_7vsmem_tEENKUlT_SK_SL_SM_E_clIPjSE_SF_SF_EESJ_SZ_SK_SL_SM_EUlSZ_E_NS1_11comp_targetILNS1_3genE8ELNS1_11target_archE1030ELNS1_3gpuE2ELNS1_3repE0EEENS1_48merge_mergepath_partition_config_static_selectorELNS0_4arch9wavefront6targetE1EEEvSL_
	.globl	_ZN7rocprim17ROCPRIM_400000_NS6detail17trampoline_kernelINS0_14default_configENS1_38merge_sort_block_merge_config_selectorIjNS0_10empty_typeEEEZZNS1_27merge_sort_block_merge_implIS3_N6thrust23THRUST_200600_302600_NS6detail15normal_iteratorINS9_10device_ptrIjEEEEPS5_jNS1_19radix_merge_compareILb0ELb1EjNS0_19identity_decomposerEEEEE10hipError_tT0_T1_T2_jT3_P12ihipStream_tbPNSt15iterator_traitsISK_E10value_typeEPNSQ_ISL_E10value_typeEPSM_NS1_7vsmem_tEENKUlT_SK_SL_SM_E_clIPjSE_SF_SF_EESJ_SZ_SK_SL_SM_EUlSZ_E_NS1_11comp_targetILNS1_3genE8ELNS1_11target_archE1030ELNS1_3gpuE2ELNS1_3repE0EEENS1_48merge_mergepath_partition_config_static_selectorELNS0_4arch9wavefront6targetE1EEEvSL_
	.p2align	8
	.type	_ZN7rocprim17ROCPRIM_400000_NS6detail17trampoline_kernelINS0_14default_configENS1_38merge_sort_block_merge_config_selectorIjNS0_10empty_typeEEEZZNS1_27merge_sort_block_merge_implIS3_N6thrust23THRUST_200600_302600_NS6detail15normal_iteratorINS9_10device_ptrIjEEEEPS5_jNS1_19radix_merge_compareILb0ELb1EjNS0_19identity_decomposerEEEEE10hipError_tT0_T1_T2_jT3_P12ihipStream_tbPNSt15iterator_traitsISK_E10value_typeEPNSQ_ISL_E10value_typeEPSM_NS1_7vsmem_tEENKUlT_SK_SL_SM_E_clIPjSE_SF_SF_EESJ_SZ_SK_SL_SM_EUlSZ_E_NS1_11comp_targetILNS1_3genE8ELNS1_11target_archE1030ELNS1_3gpuE2ELNS1_3repE0EEENS1_48merge_mergepath_partition_config_static_selectorELNS0_4arch9wavefront6targetE1EEEvSL_,@function
_ZN7rocprim17ROCPRIM_400000_NS6detail17trampoline_kernelINS0_14default_configENS1_38merge_sort_block_merge_config_selectorIjNS0_10empty_typeEEEZZNS1_27merge_sort_block_merge_implIS3_N6thrust23THRUST_200600_302600_NS6detail15normal_iteratorINS9_10device_ptrIjEEEEPS5_jNS1_19radix_merge_compareILb0ELb1EjNS0_19identity_decomposerEEEEE10hipError_tT0_T1_T2_jT3_P12ihipStream_tbPNSt15iterator_traitsISK_E10value_typeEPNSQ_ISL_E10value_typeEPSM_NS1_7vsmem_tEENKUlT_SK_SL_SM_E_clIPjSE_SF_SF_EESJ_SZ_SK_SL_SM_EUlSZ_E_NS1_11comp_targetILNS1_3genE8ELNS1_11target_archE1030ELNS1_3gpuE2ELNS1_3repE0EEENS1_48merge_mergepath_partition_config_static_selectorELNS0_4arch9wavefront6targetE1EEEvSL_: ; @_ZN7rocprim17ROCPRIM_400000_NS6detail17trampoline_kernelINS0_14default_configENS1_38merge_sort_block_merge_config_selectorIjNS0_10empty_typeEEEZZNS1_27merge_sort_block_merge_implIS3_N6thrust23THRUST_200600_302600_NS6detail15normal_iteratorINS9_10device_ptrIjEEEEPS5_jNS1_19radix_merge_compareILb0ELb1EjNS0_19identity_decomposerEEEEE10hipError_tT0_T1_T2_jT3_P12ihipStream_tbPNSt15iterator_traitsISK_E10value_typeEPNSQ_ISL_E10value_typeEPSM_NS1_7vsmem_tEENKUlT_SK_SL_SM_E_clIPjSE_SF_SF_EESJ_SZ_SK_SL_SM_EUlSZ_E_NS1_11comp_targetILNS1_3genE8ELNS1_11target_archE1030ELNS1_3gpuE2ELNS1_3repE0EEENS1_48merge_mergepath_partition_config_static_selectorELNS0_4arch9wavefront6targetE1EEEvSL_
; %bb.0:
	.section	.rodata,"a",@progbits
	.p2align	6, 0x0
	.amdhsa_kernel _ZN7rocprim17ROCPRIM_400000_NS6detail17trampoline_kernelINS0_14default_configENS1_38merge_sort_block_merge_config_selectorIjNS0_10empty_typeEEEZZNS1_27merge_sort_block_merge_implIS3_N6thrust23THRUST_200600_302600_NS6detail15normal_iteratorINS9_10device_ptrIjEEEEPS5_jNS1_19radix_merge_compareILb0ELb1EjNS0_19identity_decomposerEEEEE10hipError_tT0_T1_T2_jT3_P12ihipStream_tbPNSt15iterator_traitsISK_E10value_typeEPNSQ_ISL_E10value_typeEPSM_NS1_7vsmem_tEENKUlT_SK_SL_SM_E_clIPjSE_SF_SF_EESJ_SZ_SK_SL_SM_EUlSZ_E_NS1_11comp_targetILNS1_3genE8ELNS1_11target_archE1030ELNS1_3gpuE2ELNS1_3repE0EEENS1_48merge_mergepath_partition_config_static_selectorELNS0_4arch9wavefront6targetE1EEEvSL_
		.amdhsa_group_segment_fixed_size 0
		.amdhsa_private_segment_fixed_size 0
		.amdhsa_kernarg_size 40
		.amdhsa_user_sgpr_count 2
		.amdhsa_user_sgpr_dispatch_ptr 0
		.amdhsa_user_sgpr_queue_ptr 0
		.amdhsa_user_sgpr_kernarg_segment_ptr 1
		.amdhsa_user_sgpr_dispatch_id 0
		.amdhsa_user_sgpr_kernarg_preload_length 0
		.amdhsa_user_sgpr_kernarg_preload_offset 0
		.amdhsa_user_sgpr_private_segment_size 0
		.amdhsa_uses_dynamic_stack 0
		.amdhsa_enable_private_segment 0
		.amdhsa_system_sgpr_workgroup_id_x 1
		.amdhsa_system_sgpr_workgroup_id_y 0
		.amdhsa_system_sgpr_workgroup_id_z 0
		.amdhsa_system_sgpr_workgroup_info 0
		.amdhsa_system_vgpr_workitem_id 0
		.amdhsa_next_free_vgpr 1
		.amdhsa_next_free_sgpr 0
		.amdhsa_accum_offset 4
		.amdhsa_reserve_vcc 0
		.amdhsa_float_round_mode_32 0
		.amdhsa_float_round_mode_16_64 0
		.amdhsa_float_denorm_mode_32 3
		.amdhsa_float_denorm_mode_16_64 3
		.amdhsa_dx10_clamp 1
		.amdhsa_ieee_mode 1
		.amdhsa_fp16_overflow 0
		.amdhsa_tg_split 0
		.amdhsa_exception_fp_ieee_invalid_op 0
		.amdhsa_exception_fp_denorm_src 0
		.amdhsa_exception_fp_ieee_div_zero 0
		.amdhsa_exception_fp_ieee_overflow 0
		.amdhsa_exception_fp_ieee_underflow 0
		.amdhsa_exception_fp_ieee_inexact 0
		.amdhsa_exception_int_div_zero 0
	.end_amdhsa_kernel
	.section	.text._ZN7rocprim17ROCPRIM_400000_NS6detail17trampoline_kernelINS0_14default_configENS1_38merge_sort_block_merge_config_selectorIjNS0_10empty_typeEEEZZNS1_27merge_sort_block_merge_implIS3_N6thrust23THRUST_200600_302600_NS6detail15normal_iteratorINS9_10device_ptrIjEEEEPS5_jNS1_19radix_merge_compareILb0ELb1EjNS0_19identity_decomposerEEEEE10hipError_tT0_T1_T2_jT3_P12ihipStream_tbPNSt15iterator_traitsISK_E10value_typeEPNSQ_ISL_E10value_typeEPSM_NS1_7vsmem_tEENKUlT_SK_SL_SM_E_clIPjSE_SF_SF_EESJ_SZ_SK_SL_SM_EUlSZ_E_NS1_11comp_targetILNS1_3genE8ELNS1_11target_archE1030ELNS1_3gpuE2ELNS1_3repE0EEENS1_48merge_mergepath_partition_config_static_selectorELNS0_4arch9wavefront6targetE1EEEvSL_,"axG",@progbits,_ZN7rocprim17ROCPRIM_400000_NS6detail17trampoline_kernelINS0_14default_configENS1_38merge_sort_block_merge_config_selectorIjNS0_10empty_typeEEEZZNS1_27merge_sort_block_merge_implIS3_N6thrust23THRUST_200600_302600_NS6detail15normal_iteratorINS9_10device_ptrIjEEEEPS5_jNS1_19radix_merge_compareILb0ELb1EjNS0_19identity_decomposerEEEEE10hipError_tT0_T1_T2_jT3_P12ihipStream_tbPNSt15iterator_traitsISK_E10value_typeEPNSQ_ISL_E10value_typeEPSM_NS1_7vsmem_tEENKUlT_SK_SL_SM_E_clIPjSE_SF_SF_EESJ_SZ_SK_SL_SM_EUlSZ_E_NS1_11comp_targetILNS1_3genE8ELNS1_11target_archE1030ELNS1_3gpuE2ELNS1_3repE0EEENS1_48merge_mergepath_partition_config_static_selectorELNS0_4arch9wavefront6targetE1EEEvSL_,comdat
.Lfunc_end1033:
	.size	_ZN7rocprim17ROCPRIM_400000_NS6detail17trampoline_kernelINS0_14default_configENS1_38merge_sort_block_merge_config_selectorIjNS0_10empty_typeEEEZZNS1_27merge_sort_block_merge_implIS3_N6thrust23THRUST_200600_302600_NS6detail15normal_iteratorINS9_10device_ptrIjEEEEPS5_jNS1_19radix_merge_compareILb0ELb1EjNS0_19identity_decomposerEEEEE10hipError_tT0_T1_T2_jT3_P12ihipStream_tbPNSt15iterator_traitsISK_E10value_typeEPNSQ_ISL_E10value_typeEPSM_NS1_7vsmem_tEENKUlT_SK_SL_SM_E_clIPjSE_SF_SF_EESJ_SZ_SK_SL_SM_EUlSZ_E_NS1_11comp_targetILNS1_3genE8ELNS1_11target_archE1030ELNS1_3gpuE2ELNS1_3repE0EEENS1_48merge_mergepath_partition_config_static_selectorELNS0_4arch9wavefront6targetE1EEEvSL_, .Lfunc_end1033-_ZN7rocprim17ROCPRIM_400000_NS6detail17trampoline_kernelINS0_14default_configENS1_38merge_sort_block_merge_config_selectorIjNS0_10empty_typeEEEZZNS1_27merge_sort_block_merge_implIS3_N6thrust23THRUST_200600_302600_NS6detail15normal_iteratorINS9_10device_ptrIjEEEEPS5_jNS1_19radix_merge_compareILb0ELb1EjNS0_19identity_decomposerEEEEE10hipError_tT0_T1_T2_jT3_P12ihipStream_tbPNSt15iterator_traitsISK_E10value_typeEPNSQ_ISL_E10value_typeEPSM_NS1_7vsmem_tEENKUlT_SK_SL_SM_E_clIPjSE_SF_SF_EESJ_SZ_SK_SL_SM_EUlSZ_E_NS1_11comp_targetILNS1_3genE8ELNS1_11target_archE1030ELNS1_3gpuE2ELNS1_3repE0EEENS1_48merge_mergepath_partition_config_static_selectorELNS0_4arch9wavefront6targetE1EEEvSL_
                                        ; -- End function
	.section	.AMDGPU.csdata,"",@progbits
; Kernel info:
; codeLenInByte = 0
; NumSgprs: 6
; NumVgprs: 0
; NumAgprs: 0
; TotalNumVgprs: 0
; ScratchSize: 0
; MemoryBound: 0
; FloatMode: 240
; IeeeMode: 1
; LDSByteSize: 0 bytes/workgroup (compile time only)
; SGPRBlocks: 0
; VGPRBlocks: 0
; NumSGPRsForWavesPerEU: 6
; NumVGPRsForWavesPerEU: 1
; AccumOffset: 4
; Occupancy: 8
; WaveLimiterHint : 0
; COMPUTE_PGM_RSRC2:SCRATCH_EN: 0
; COMPUTE_PGM_RSRC2:USER_SGPR: 2
; COMPUTE_PGM_RSRC2:TRAP_HANDLER: 0
; COMPUTE_PGM_RSRC2:TGID_X_EN: 1
; COMPUTE_PGM_RSRC2:TGID_Y_EN: 0
; COMPUTE_PGM_RSRC2:TGID_Z_EN: 0
; COMPUTE_PGM_RSRC2:TIDIG_COMP_CNT: 0
; COMPUTE_PGM_RSRC3_GFX90A:ACCUM_OFFSET: 0
; COMPUTE_PGM_RSRC3_GFX90A:TG_SPLIT: 0
	.section	.text._ZN7rocprim17ROCPRIM_400000_NS6detail17trampoline_kernelINS0_14default_configENS1_38merge_sort_block_merge_config_selectorIjNS0_10empty_typeEEEZZNS1_27merge_sort_block_merge_implIS3_N6thrust23THRUST_200600_302600_NS6detail15normal_iteratorINS9_10device_ptrIjEEEEPS5_jNS1_19radix_merge_compareILb0ELb1EjNS0_19identity_decomposerEEEEE10hipError_tT0_T1_T2_jT3_P12ihipStream_tbPNSt15iterator_traitsISK_E10value_typeEPNSQ_ISL_E10value_typeEPSM_NS1_7vsmem_tEENKUlT_SK_SL_SM_E_clIPjSE_SF_SF_EESJ_SZ_SK_SL_SM_EUlSZ_E0_NS1_11comp_targetILNS1_3genE0ELNS1_11target_archE4294967295ELNS1_3gpuE0ELNS1_3repE0EEENS1_38merge_mergepath_config_static_selectorELNS0_4arch9wavefront6targetE1EEEvSL_,"axG",@progbits,_ZN7rocprim17ROCPRIM_400000_NS6detail17trampoline_kernelINS0_14default_configENS1_38merge_sort_block_merge_config_selectorIjNS0_10empty_typeEEEZZNS1_27merge_sort_block_merge_implIS3_N6thrust23THRUST_200600_302600_NS6detail15normal_iteratorINS9_10device_ptrIjEEEEPS5_jNS1_19radix_merge_compareILb0ELb1EjNS0_19identity_decomposerEEEEE10hipError_tT0_T1_T2_jT3_P12ihipStream_tbPNSt15iterator_traitsISK_E10value_typeEPNSQ_ISL_E10value_typeEPSM_NS1_7vsmem_tEENKUlT_SK_SL_SM_E_clIPjSE_SF_SF_EESJ_SZ_SK_SL_SM_EUlSZ_E0_NS1_11comp_targetILNS1_3genE0ELNS1_11target_archE4294967295ELNS1_3gpuE0ELNS1_3repE0EEENS1_38merge_mergepath_config_static_selectorELNS0_4arch9wavefront6targetE1EEEvSL_,comdat
	.protected	_ZN7rocprim17ROCPRIM_400000_NS6detail17trampoline_kernelINS0_14default_configENS1_38merge_sort_block_merge_config_selectorIjNS0_10empty_typeEEEZZNS1_27merge_sort_block_merge_implIS3_N6thrust23THRUST_200600_302600_NS6detail15normal_iteratorINS9_10device_ptrIjEEEEPS5_jNS1_19radix_merge_compareILb0ELb1EjNS0_19identity_decomposerEEEEE10hipError_tT0_T1_T2_jT3_P12ihipStream_tbPNSt15iterator_traitsISK_E10value_typeEPNSQ_ISL_E10value_typeEPSM_NS1_7vsmem_tEENKUlT_SK_SL_SM_E_clIPjSE_SF_SF_EESJ_SZ_SK_SL_SM_EUlSZ_E0_NS1_11comp_targetILNS1_3genE0ELNS1_11target_archE4294967295ELNS1_3gpuE0ELNS1_3repE0EEENS1_38merge_mergepath_config_static_selectorELNS0_4arch9wavefront6targetE1EEEvSL_ ; -- Begin function _ZN7rocprim17ROCPRIM_400000_NS6detail17trampoline_kernelINS0_14default_configENS1_38merge_sort_block_merge_config_selectorIjNS0_10empty_typeEEEZZNS1_27merge_sort_block_merge_implIS3_N6thrust23THRUST_200600_302600_NS6detail15normal_iteratorINS9_10device_ptrIjEEEEPS5_jNS1_19radix_merge_compareILb0ELb1EjNS0_19identity_decomposerEEEEE10hipError_tT0_T1_T2_jT3_P12ihipStream_tbPNSt15iterator_traitsISK_E10value_typeEPNSQ_ISL_E10value_typeEPSM_NS1_7vsmem_tEENKUlT_SK_SL_SM_E_clIPjSE_SF_SF_EESJ_SZ_SK_SL_SM_EUlSZ_E0_NS1_11comp_targetILNS1_3genE0ELNS1_11target_archE4294967295ELNS1_3gpuE0ELNS1_3repE0EEENS1_38merge_mergepath_config_static_selectorELNS0_4arch9wavefront6targetE1EEEvSL_
	.globl	_ZN7rocprim17ROCPRIM_400000_NS6detail17trampoline_kernelINS0_14default_configENS1_38merge_sort_block_merge_config_selectorIjNS0_10empty_typeEEEZZNS1_27merge_sort_block_merge_implIS3_N6thrust23THRUST_200600_302600_NS6detail15normal_iteratorINS9_10device_ptrIjEEEEPS5_jNS1_19radix_merge_compareILb0ELb1EjNS0_19identity_decomposerEEEEE10hipError_tT0_T1_T2_jT3_P12ihipStream_tbPNSt15iterator_traitsISK_E10value_typeEPNSQ_ISL_E10value_typeEPSM_NS1_7vsmem_tEENKUlT_SK_SL_SM_E_clIPjSE_SF_SF_EESJ_SZ_SK_SL_SM_EUlSZ_E0_NS1_11comp_targetILNS1_3genE0ELNS1_11target_archE4294967295ELNS1_3gpuE0ELNS1_3repE0EEENS1_38merge_mergepath_config_static_selectorELNS0_4arch9wavefront6targetE1EEEvSL_
	.p2align	8
	.type	_ZN7rocprim17ROCPRIM_400000_NS6detail17trampoline_kernelINS0_14default_configENS1_38merge_sort_block_merge_config_selectorIjNS0_10empty_typeEEEZZNS1_27merge_sort_block_merge_implIS3_N6thrust23THRUST_200600_302600_NS6detail15normal_iteratorINS9_10device_ptrIjEEEEPS5_jNS1_19radix_merge_compareILb0ELb1EjNS0_19identity_decomposerEEEEE10hipError_tT0_T1_T2_jT3_P12ihipStream_tbPNSt15iterator_traitsISK_E10value_typeEPNSQ_ISL_E10value_typeEPSM_NS1_7vsmem_tEENKUlT_SK_SL_SM_E_clIPjSE_SF_SF_EESJ_SZ_SK_SL_SM_EUlSZ_E0_NS1_11comp_targetILNS1_3genE0ELNS1_11target_archE4294967295ELNS1_3gpuE0ELNS1_3repE0EEENS1_38merge_mergepath_config_static_selectorELNS0_4arch9wavefront6targetE1EEEvSL_,@function
_ZN7rocprim17ROCPRIM_400000_NS6detail17trampoline_kernelINS0_14default_configENS1_38merge_sort_block_merge_config_selectorIjNS0_10empty_typeEEEZZNS1_27merge_sort_block_merge_implIS3_N6thrust23THRUST_200600_302600_NS6detail15normal_iteratorINS9_10device_ptrIjEEEEPS5_jNS1_19radix_merge_compareILb0ELb1EjNS0_19identity_decomposerEEEEE10hipError_tT0_T1_T2_jT3_P12ihipStream_tbPNSt15iterator_traitsISK_E10value_typeEPNSQ_ISL_E10value_typeEPSM_NS1_7vsmem_tEENKUlT_SK_SL_SM_E_clIPjSE_SF_SF_EESJ_SZ_SK_SL_SM_EUlSZ_E0_NS1_11comp_targetILNS1_3genE0ELNS1_11target_archE4294967295ELNS1_3gpuE0ELNS1_3repE0EEENS1_38merge_mergepath_config_static_selectorELNS0_4arch9wavefront6targetE1EEEvSL_: ; @_ZN7rocprim17ROCPRIM_400000_NS6detail17trampoline_kernelINS0_14default_configENS1_38merge_sort_block_merge_config_selectorIjNS0_10empty_typeEEEZZNS1_27merge_sort_block_merge_implIS3_N6thrust23THRUST_200600_302600_NS6detail15normal_iteratorINS9_10device_ptrIjEEEEPS5_jNS1_19radix_merge_compareILb0ELb1EjNS0_19identity_decomposerEEEEE10hipError_tT0_T1_T2_jT3_P12ihipStream_tbPNSt15iterator_traitsISK_E10value_typeEPNSQ_ISL_E10value_typeEPSM_NS1_7vsmem_tEENKUlT_SK_SL_SM_E_clIPjSE_SF_SF_EESJ_SZ_SK_SL_SM_EUlSZ_E0_NS1_11comp_targetILNS1_3genE0ELNS1_11target_archE4294967295ELNS1_3gpuE0ELNS1_3repE0EEENS1_38merge_mergepath_config_static_selectorELNS0_4arch9wavefront6targetE1EEEvSL_
; %bb.0:
	.section	.rodata,"a",@progbits
	.p2align	6, 0x0
	.amdhsa_kernel _ZN7rocprim17ROCPRIM_400000_NS6detail17trampoline_kernelINS0_14default_configENS1_38merge_sort_block_merge_config_selectorIjNS0_10empty_typeEEEZZNS1_27merge_sort_block_merge_implIS3_N6thrust23THRUST_200600_302600_NS6detail15normal_iteratorINS9_10device_ptrIjEEEEPS5_jNS1_19radix_merge_compareILb0ELb1EjNS0_19identity_decomposerEEEEE10hipError_tT0_T1_T2_jT3_P12ihipStream_tbPNSt15iterator_traitsISK_E10value_typeEPNSQ_ISL_E10value_typeEPSM_NS1_7vsmem_tEENKUlT_SK_SL_SM_E_clIPjSE_SF_SF_EESJ_SZ_SK_SL_SM_EUlSZ_E0_NS1_11comp_targetILNS1_3genE0ELNS1_11target_archE4294967295ELNS1_3gpuE0ELNS1_3repE0EEENS1_38merge_mergepath_config_static_selectorELNS0_4arch9wavefront6targetE1EEEvSL_
		.amdhsa_group_segment_fixed_size 0
		.amdhsa_private_segment_fixed_size 0
		.amdhsa_kernarg_size 64
		.amdhsa_user_sgpr_count 2
		.amdhsa_user_sgpr_dispatch_ptr 0
		.amdhsa_user_sgpr_queue_ptr 0
		.amdhsa_user_sgpr_kernarg_segment_ptr 1
		.amdhsa_user_sgpr_dispatch_id 0
		.amdhsa_user_sgpr_kernarg_preload_length 0
		.amdhsa_user_sgpr_kernarg_preload_offset 0
		.amdhsa_user_sgpr_private_segment_size 0
		.amdhsa_uses_dynamic_stack 0
		.amdhsa_enable_private_segment 0
		.amdhsa_system_sgpr_workgroup_id_x 1
		.amdhsa_system_sgpr_workgroup_id_y 0
		.amdhsa_system_sgpr_workgroup_id_z 0
		.amdhsa_system_sgpr_workgroup_info 0
		.amdhsa_system_vgpr_workitem_id 0
		.amdhsa_next_free_vgpr 1
		.amdhsa_next_free_sgpr 0
		.amdhsa_accum_offset 4
		.amdhsa_reserve_vcc 0
		.amdhsa_float_round_mode_32 0
		.amdhsa_float_round_mode_16_64 0
		.amdhsa_float_denorm_mode_32 3
		.amdhsa_float_denorm_mode_16_64 3
		.amdhsa_dx10_clamp 1
		.amdhsa_ieee_mode 1
		.amdhsa_fp16_overflow 0
		.amdhsa_tg_split 0
		.amdhsa_exception_fp_ieee_invalid_op 0
		.amdhsa_exception_fp_denorm_src 0
		.amdhsa_exception_fp_ieee_div_zero 0
		.amdhsa_exception_fp_ieee_overflow 0
		.amdhsa_exception_fp_ieee_underflow 0
		.amdhsa_exception_fp_ieee_inexact 0
		.amdhsa_exception_int_div_zero 0
	.end_amdhsa_kernel
	.section	.text._ZN7rocprim17ROCPRIM_400000_NS6detail17trampoline_kernelINS0_14default_configENS1_38merge_sort_block_merge_config_selectorIjNS0_10empty_typeEEEZZNS1_27merge_sort_block_merge_implIS3_N6thrust23THRUST_200600_302600_NS6detail15normal_iteratorINS9_10device_ptrIjEEEEPS5_jNS1_19radix_merge_compareILb0ELb1EjNS0_19identity_decomposerEEEEE10hipError_tT0_T1_T2_jT3_P12ihipStream_tbPNSt15iterator_traitsISK_E10value_typeEPNSQ_ISL_E10value_typeEPSM_NS1_7vsmem_tEENKUlT_SK_SL_SM_E_clIPjSE_SF_SF_EESJ_SZ_SK_SL_SM_EUlSZ_E0_NS1_11comp_targetILNS1_3genE0ELNS1_11target_archE4294967295ELNS1_3gpuE0ELNS1_3repE0EEENS1_38merge_mergepath_config_static_selectorELNS0_4arch9wavefront6targetE1EEEvSL_,"axG",@progbits,_ZN7rocprim17ROCPRIM_400000_NS6detail17trampoline_kernelINS0_14default_configENS1_38merge_sort_block_merge_config_selectorIjNS0_10empty_typeEEEZZNS1_27merge_sort_block_merge_implIS3_N6thrust23THRUST_200600_302600_NS6detail15normal_iteratorINS9_10device_ptrIjEEEEPS5_jNS1_19radix_merge_compareILb0ELb1EjNS0_19identity_decomposerEEEEE10hipError_tT0_T1_T2_jT3_P12ihipStream_tbPNSt15iterator_traitsISK_E10value_typeEPNSQ_ISL_E10value_typeEPSM_NS1_7vsmem_tEENKUlT_SK_SL_SM_E_clIPjSE_SF_SF_EESJ_SZ_SK_SL_SM_EUlSZ_E0_NS1_11comp_targetILNS1_3genE0ELNS1_11target_archE4294967295ELNS1_3gpuE0ELNS1_3repE0EEENS1_38merge_mergepath_config_static_selectorELNS0_4arch9wavefront6targetE1EEEvSL_,comdat
.Lfunc_end1034:
	.size	_ZN7rocprim17ROCPRIM_400000_NS6detail17trampoline_kernelINS0_14default_configENS1_38merge_sort_block_merge_config_selectorIjNS0_10empty_typeEEEZZNS1_27merge_sort_block_merge_implIS3_N6thrust23THRUST_200600_302600_NS6detail15normal_iteratorINS9_10device_ptrIjEEEEPS5_jNS1_19radix_merge_compareILb0ELb1EjNS0_19identity_decomposerEEEEE10hipError_tT0_T1_T2_jT3_P12ihipStream_tbPNSt15iterator_traitsISK_E10value_typeEPNSQ_ISL_E10value_typeEPSM_NS1_7vsmem_tEENKUlT_SK_SL_SM_E_clIPjSE_SF_SF_EESJ_SZ_SK_SL_SM_EUlSZ_E0_NS1_11comp_targetILNS1_3genE0ELNS1_11target_archE4294967295ELNS1_3gpuE0ELNS1_3repE0EEENS1_38merge_mergepath_config_static_selectorELNS0_4arch9wavefront6targetE1EEEvSL_, .Lfunc_end1034-_ZN7rocprim17ROCPRIM_400000_NS6detail17trampoline_kernelINS0_14default_configENS1_38merge_sort_block_merge_config_selectorIjNS0_10empty_typeEEEZZNS1_27merge_sort_block_merge_implIS3_N6thrust23THRUST_200600_302600_NS6detail15normal_iteratorINS9_10device_ptrIjEEEEPS5_jNS1_19radix_merge_compareILb0ELb1EjNS0_19identity_decomposerEEEEE10hipError_tT0_T1_T2_jT3_P12ihipStream_tbPNSt15iterator_traitsISK_E10value_typeEPNSQ_ISL_E10value_typeEPSM_NS1_7vsmem_tEENKUlT_SK_SL_SM_E_clIPjSE_SF_SF_EESJ_SZ_SK_SL_SM_EUlSZ_E0_NS1_11comp_targetILNS1_3genE0ELNS1_11target_archE4294967295ELNS1_3gpuE0ELNS1_3repE0EEENS1_38merge_mergepath_config_static_selectorELNS0_4arch9wavefront6targetE1EEEvSL_
                                        ; -- End function
	.section	.AMDGPU.csdata,"",@progbits
; Kernel info:
; codeLenInByte = 0
; NumSgprs: 6
; NumVgprs: 0
; NumAgprs: 0
; TotalNumVgprs: 0
; ScratchSize: 0
; MemoryBound: 0
; FloatMode: 240
; IeeeMode: 1
; LDSByteSize: 0 bytes/workgroup (compile time only)
; SGPRBlocks: 0
; VGPRBlocks: 0
; NumSGPRsForWavesPerEU: 6
; NumVGPRsForWavesPerEU: 1
; AccumOffset: 4
; Occupancy: 8
; WaveLimiterHint : 0
; COMPUTE_PGM_RSRC2:SCRATCH_EN: 0
; COMPUTE_PGM_RSRC2:USER_SGPR: 2
; COMPUTE_PGM_RSRC2:TRAP_HANDLER: 0
; COMPUTE_PGM_RSRC2:TGID_X_EN: 1
; COMPUTE_PGM_RSRC2:TGID_Y_EN: 0
; COMPUTE_PGM_RSRC2:TGID_Z_EN: 0
; COMPUTE_PGM_RSRC2:TIDIG_COMP_CNT: 0
; COMPUTE_PGM_RSRC3_GFX90A:ACCUM_OFFSET: 0
; COMPUTE_PGM_RSRC3_GFX90A:TG_SPLIT: 0
	.section	.text._ZN7rocprim17ROCPRIM_400000_NS6detail17trampoline_kernelINS0_14default_configENS1_38merge_sort_block_merge_config_selectorIjNS0_10empty_typeEEEZZNS1_27merge_sort_block_merge_implIS3_N6thrust23THRUST_200600_302600_NS6detail15normal_iteratorINS9_10device_ptrIjEEEEPS5_jNS1_19radix_merge_compareILb0ELb1EjNS0_19identity_decomposerEEEEE10hipError_tT0_T1_T2_jT3_P12ihipStream_tbPNSt15iterator_traitsISK_E10value_typeEPNSQ_ISL_E10value_typeEPSM_NS1_7vsmem_tEENKUlT_SK_SL_SM_E_clIPjSE_SF_SF_EESJ_SZ_SK_SL_SM_EUlSZ_E0_NS1_11comp_targetILNS1_3genE10ELNS1_11target_archE1201ELNS1_3gpuE5ELNS1_3repE0EEENS1_38merge_mergepath_config_static_selectorELNS0_4arch9wavefront6targetE1EEEvSL_,"axG",@progbits,_ZN7rocprim17ROCPRIM_400000_NS6detail17trampoline_kernelINS0_14default_configENS1_38merge_sort_block_merge_config_selectorIjNS0_10empty_typeEEEZZNS1_27merge_sort_block_merge_implIS3_N6thrust23THRUST_200600_302600_NS6detail15normal_iteratorINS9_10device_ptrIjEEEEPS5_jNS1_19radix_merge_compareILb0ELb1EjNS0_19identity_decomposerEEEEE10hipError_tT0_T1_T2_jT3_P12ihipStream_tbPNSt15iterator_traitsISK_E10value_typeEPNSQ_ISL_E10value_typeEPSM_NS1_7vsmem_tEENKUlT_SK_SL_SM_E_clIPjSE_SF_SF_EESJ_SZ_SK_SL_SM_EUlSZ_E0_NS1_11comp_targetILNS1_3genE10ELNS1_11target_archE1201ELNS1_3gpuE5ELNS1_3repE0EEENS1_38merge_mergepath_config_static_selectorELNS0_4arch9wavefront6targetE1EEEvSL_,comdat
	.protected	_ZN7rocprim17ROCPRIM_400000_NS6detail17trampoline_kernelINS0_14default_configENS1_38merge_sort_block_merge_config_selectorIjNS0_10empty_typeEEEZZNS1_27merge_sort_block_merge_implIS3_N6thrust23THRUST_200600_302600_NS6detail15normal_iteratorINS9_10device_ptrIjEEEEPS5_jNS1_19radix_merge_compareILb0ELb1EjNS0_19identity_decomposerEEEEE10hipError_tT0_T1_T2_jT3_P12ihipStream_tbPNSt15iterator_traitsISK_E10value_typeEPNSQ_ISL_E10value_typeEPSM_NS1_7vsmem_tEENKUlT_SK_SL_SM_E_clIPjSE_SF_SF_EESJ_SZ_SK_SL_SM_EUlSZ_E0_NS1_11comp_targetILNS1_3genE10ELNS1_11target_archE1201ELNS1_3gpuE5ELNS1_3repE0EEENS1_38merge_mergepath_config_static_selectorELNS0_4arch9wavefront6targetE1EEEvSL_ ; -- Begin function _ZN7rocprim17ROCPRIM_400000_NS6detail17trampoline_kernelINS0_14default_configENS1_38merge_sort_block_merge_config_selectorIjNS0_10empty_typeEEEZZNS1_27merge_sort_block_merge_implIS3_N6thrust23THRUST_200600_302600_NS6detail15normal_iteratorINS9_10device_ptrIjEEEEPS5_jNS1_19radix_merge_compareILb0ELb1EjNS0_19identity_decomposerEEEEE10hipError_tT0_T1_T2_jT3_P12ihipStream_tbPNSt15iterator_traitsISK_E10value_typeEPNSQ_ISL_E10value_typeEPSM_NS1_7vsmem_tEENKUlT_SK_SL_SM_E_clIPjSE_SF_SF_EESJ_SZ_SK_SL_SM_EUlSZ_E0_NS1_11comp_targetILNS1_3genE10ELNS1_11target_archE1201ELNS1_3gpuE5ELNS1_3repE0EEENS1_38merge_mergepath_config_static_selectorELNS0_4arch9wavefront6targetE1EEEvSL_
	.globl	_ZN7rocprim17ROCPRIM_400000_NS6detail17trampoline_kernelINS0_14default_configENS1_38merge_sort_block_merge_config_selectorIjNS0_10empty_typeEEEZZNS1_27merge_sort_block_merge_implIS3_N6thrust23THRUST_200600_302600_NS6detail15normal_iteratorINS9_10device_ptrIjEEEEPS5_jNS1_19radix_merge_compareILb0ELb1EjNS0_19identity_decomposerEEEEE10hipError_tT0_T1_T2_jT3_P12ihipStream_tbPNSt15iterator_traitsISK_E10value_typeEPNSQ_ISL_E10value_typeEPSM_NS1_7vsmem_tEENKUlT_SK_SL_SM_E_clIPjSE_SF_SF_EESJ_SZ_SK_SL_SM_EUlSZ_E0_NS1_11comp_targetILNS1_3genE10ELNS1_11target_archE1201ELNS1_3gpuE5ELNS1_3repE0EEENS1_38merge_mergepath_config_static_selectorELNS0_4arch9wavefront6targetE1EEEvSL_
	.p2align	8
	.type	_ZN7rocprim17ROCPRIM_400000_NS6detail17trampoline_kernelINS0_14default_configENS1_38merge_sort_block_merge_config_selectorIjNS0_10empty_typeEEEZZNS1_27merge_sort_block_merge_implIS3_N6thrust23THRUST_200600_302600_NS6detail15normal_iteratorINS9_10device_ptrIjEEEEPS5_jNS1_19radix_merge_compareILb0ELb1EjNS0_19identity_decomposerEEEEE10hipError_tT0_T1_T2_jT3_P12ihipStream_tbPNSt15iterator_traitsISK_E10value_typeEPNSQ_ISL_E10value_typeEPSM_NS1_7vsmem_tEENKUlT_SK_SL_SM_E_clIPjSE_SF_SF_EESJ_SZ_SK_SL_SM_EUlSZ_E0_NS1_11comp_targetILNS1_3genE10ELNS1_11target_archE1201ELNS1_3gpuE5ELNS1_3repE0EEENS1_38merge_mergepath_config_static_selectorELNS0_4arch9wavefront6targetE1EEEvSL_,@function
_ZN7rocprim17ROCPRIM_400000_NS6detail17trampoline_kernelINS0_14default_configENS1_38merge_sort_block_merge_config_selectorIjNS0_10empty_typeEEEZZNS1_27merge_sort_block_merge_implIS3_N6thrust23THRUST_200600_302600_NS6detail15normal_iteratorINS9_10device_ptrIjEEEEPS5_jNS1_19radix_merge_compareILb0ELb1EjNS0_19identity_decomposerEEEEE10hipError_tT0_T1_T2_jT3_P12ihipStream_tbPNSt15iterator_traitsISK_E10value_typeEPNSQ_ISL_E10value_typeEPSM_NS1_7vsmem_tEENKUlT_SK_SL_SM_E_clIPjSE_SF_SF_EESJ_SZ_SK_SL_SM_EUlSZ_E0_NS1_11comp_targetILNS1_3genE10ELNS1_11target_archE1201ELNS1_3gpuE5ELNS1_3repE0EEENS1_38merge_mergepath_config_static_selectorELNS0_4arch9wavefront6targetE1EEEvSL_: ; @_ZN7rocprim17ROCPRIM_400000_NS6detail17trampoline_kernelINS0_14default_configENS1_38merge_sort_block_merge_config_selectorIjNS0_10empty_typeEEEZZNS1_27merge_sort_block_merge_implIS3_N6thrust23THRUST_200600_302600_NS6detail15normal_iteratorINS9_10device_ptrIjEEEEPS5_jNS1_19radix_merge_compareILb0ELb1EjNS0_19identity_decomposerEEEEE10hipError_tT0_T1_T2_jT3_P12ihipStream_tbPNSt15iterator_traitsISK_E10value_typeEPNSQ_ISL_E10value_typeEPSM_NS1_7vsmem_tEENKUlT_SK_SL_SM_E_clIPjSE_SF_SF_EESJ_SZ_SK_SL_SM_EUlSZ_E0_NS1_11comp_targetILNS1_3genE10ELNS1_11target_archE1201ELNS1_3gpuE5ELNS1_3repE0EEENS1_38merge_mergepath_config_static_selectorELNS0_4arch9wavefront6targetE1EEEvSL_
; %bb.0:
	.section	.rodata,"a",@progbits
	.p2align	6, 0x0
	.amdhsa_kernel _ZN7rocprim17ROCPRIM_400000_NS6detail17trampoline_kernelINS0_14default_configENS1_38merge_sort_block_merge_config_selectorIjNS0_10empty_typeEEEZZNS1_27merge_sort_block_merge_implIS3_N6thrust23THRUST_200600_302600_NS6detail15normal_iteratorINS9_10device_ptrIjEEEEPS5_jNS1_19radix_merge_compareILb0ELb1EjNS0_19identity_decomposerEEEEE10hipError_tT0_T1_T2_jT3_P12ihipStream_tbPNSt15iterator_traitsISK_E10value_typeEPNSQ_ISL_E10value_typeEPSM_NS1_7vsmem_tEENKUlT_SK_SL_SM_E_clIPjSE_SF_SF_EESJ_SZ_SK_SL_SM_EUlSZ_E0_NS1_11comp_targetILNS1_3genE10ELNS1_11target_archE1201ELNS1_3gpuE5ELNS1_3repE0EEENS1_38merge_mergepath_config_static_selectorELNS0_4arch9wavefront6targetE1EEEvSL_
		.amdhsa_group_segment_fixed_size 0
		.amdhsa_private_segment_fixed_size 0
		.amdhsa_kernarg_size 64
		.amdhsa_user_sgpr_count 2
		.amdhsa_user_sgpr_dispatch_ptr 0
		.amdhsa_user_sgpr_queue_ptr 0
		.amdhsa_user_sgpr_kernarg_segment_ptr 1
		.amdhsa_user_sgpr_dispatch_id 0
		.amdhsa_user_sgpr_kernarg_preload_length 0
		.amdhsa_user_sgpr_kernarg_preload_offset 0
		.amdhsa_user_sgpr_private_segment_size 0
		.amdhsa_uses_dynamic_stack 0
		.amdhsa_enable_private_segment 0
		.amdhsa_system_sgpr_workgroup_id_x 1
		.amdhsa_system_sgpr_workgroup_id_y 0
		.amdhsa_system_sgpr_workgroup_id_z 0
		.amdhsa_system_sgpr_workgroup_info 0
		.amdhsa_system_vgpr_workitem_id 0
		.amdhsa_next_free_vgpr 1
		.amdhsa_next_free_sgpr 0
		.amdhsa_accum_offset 4
		.amdhsa_reserve_vcc 0
		.amdhsa_float_round_mode_32 0
		.amdhsa_float_round_mode_16_64 0
		.amdhsa_float_denorm_mode_32 3
		.amdhsa_float_denorm_mode_16_64 3
		.amdhsa_dx10_clamp 1
		.amdhsa_ieee_mode 1
		.amdhsa_fp16_overflow 0
		.amdhsa_tg_split 0
		.amdhsa_exception_fp_ieee_invalid_op 0
		.amdhsa_exception_fp_denorm_src 0
		.amdhsa_exception_fp_ieee_div_zero 0
		.amdhsa_exception_fp_ieee_overflow 0
		.amdhsa_exception_fp_ieee_underflow 0
		.amdhsa_exception_fp_ieee_inexact 0
		.amdhsa_exception_int_div_zero 0
	.end_amdhsa_kernel
	.section	.text._ZN7rocprim17ROCPRIM_400000_NS6detail17trampoline_kernelINS0_14default_configENS1_38merge_sort_block_merge_config_selectorIjNS0_10empty_typeEEEZZNS1_27merge_sort_block_merge_implIS3_N6thrust23THRUST_200600_302600_NS6detail15normal_iteratorINS9_10device_ptrIjEEEEPS5_jNS1_19radix_merge_compareILb0ELb1EjNS0_19identity_decomposerEEEEE10hipError_tT0_T1_T2_jT3_P12ihipStream_tbPNSt15iterator_traitsISK_E10value_typeEPNSQ_ISL_E10value_typeEPSM_NS1_7vsmem_tEENKUlT_SK_SL_SM_E_clIPjSE_SF_SF_EESJ_SZ_SK_SL_SM_EUlSZ_E0_NS1_11comp_targetILNS1_3genE10ELNS1_11target_archE1201ELNS1_3gpuE5ELNS1_3repE0EEENS1_38merge_mergepath_config_static_selectorELNS0_4arch9wavefront6targetE1EEEvSL_,"axG",@progbits,_ZN7rocprim17ROCPRIM_400000_NS6detail17trampoline_kernelINS0_14default_configENS1_38merge_sort_block_merge_config_selectorIjNS0_10empty_typeEEEZZNS1_27merge_sort_block_merge_implIS3_N6thrust23THRUST_200600_302600_NS6detail15normal_iteratorINS9_10device_ptrIjEEEEPS5_jNS1_19radix_merge_compareILb0ELb1EjNS0_19identity_decomposerEEEEE10hipError_tT0_T1_T2_jT3_P12ihipStream_tbPNSt15iterator_traitsISK_E10value_typeEPNSQ_ISL_E10value_typeEPSM_NS1_7vsmem_tEENKUlT_SK_SL_SM_E_clIPjSE_SF_SF_EESJ_SZ_SK_SL_SM_EUlSZ_E0_NS1_11comp_targetILNS1_3genE10ELNS1_11target_archE1201ELNS1_3gpuE5ELNS1_3repE0EEENS1_38merge_mergepath_config_static_selectorELNS0_4arch9wavefront6targetE1EEEvSL_,comdat
.Lfunc_end1035:
	.size	_ZN7rocprim17ROCPRIM_400000_NS6detail17trampoline_kernelINS0_14default_configENS1_38merge_sort_block_merge_config_selectorIjNS0_10empty_typeEEEZZNS1_27merge_sort_block_merge_implIS3_N6thrust23THRUST_200600_302600_NS6detail15normal_iteratorINS9_10device_ptrIjEEEEPS5_jNS1_19radix_merge_compareILb0ELb1EjNS0_19identity_decomposerEEEEE10hipError_tT0_T1_T2_jT3_P12ihipStream_tbPNSt15iterator_traitsISK_E10value_typeEPNSQ_ISL_E10value_typeEPSM_NS1_7vsmem_tEENKUlT_SK_SL_SM_E_clIPjSE_SF_SF_EESJ_SZ_SK_SL_SM_EUlSZ_E0_NS1_11comp_targetILNS1_3genE10ELNS1_11target_archE1201ELNS1_3gpuE5ELNS1_3repE0EEENS1_38merge_mergepath_config_static_selectorELNS0_4arch9wavefront6targetE1EEEvSL_, .Lfunc_end1035-_ZN7rocprim17ROCPRIM_400000_NS6detail17trampoline_kernelINS0_14default_configENS1_38merge_sort_block_merge_config_selectorIjNS0_10empty_typeEEEZZNS1_27merge_sort_block_merge_implIS3_N6thrust23THRUST_200600_302600_NS6detail15normal_iteratorINS9_10device_ptrIjEEEEPS5_jNS1_19radix_merge_compareILb0ELb1EjNS0_19identity_decomposerEEEEE10hipError_tT0_T1_T2_jT3_P12ihipStream_tbPNSt15iterator_traitsISK_E10value_typeEPNSQ_ISL_E10value_typeEPSM_NS1_7vsmem_tEENKUlT_SK_SL_SM_E_clIPjSE_SF_SF_EESJ_SZ_SK_SL_SM_EUlSZ_E0_NS1_11comp_targetILNS1_3genE10ELNS1_11target_archE1201ELNS1_3gpuE5ELNS1_3repE0EEENS1_38merge_mergepath_config_static_selectorELNS0_4arch9wavefront6targetE1EEEvSL_
                                        ; -- End function
	.section	.AMDGPU.csdata,"",@progbits
; Kernel info:
; codeLenInByte = 0
; NumSgprs: 6
; NumVgprs: 0
; NumAgprs: 0
; TotalNumVgprs: 0
; ScratchSize: 0
; MemoryBound: 0
; FloatMode: 240
; IeeeMode: 1
; LDSByteSize: 0 bytes/workgroup (compile time only)
; SGPRBlocks: 0
; VGPRBlocks: 0
; NumSGPRsForWavesPerEU: 6
; NumVGPRsForWavesPerEU: 1
; AccumOffset: 4
; Occupancy: 8
; WaveLimiterHint : 0
; COMPUTE_PGM_RSRC2:SCRATCH_EN: 0
; COMPUTE_PGM_RSRC2:USER_SGPR: 2
; COMPUTE_PGM_RSRC2:TRAP_HANDLER: 0
; COMPUTE_PGM_RSRC2:TGID_X_EN: 1
; COMPUTE_PGM_RSRC2:TGID_Y_EN: 0
; COMPUTE_PGM_RSRC2:TGID_Z_EN: 0
; COMPUTE_PGM_RSRC2:TIDIG_COMP_CNT: 0
; COMPUTE_PGM_RSRC3_GFX90A:ACCUM_OFFSET: 0
; COMPUTE_PGM_RSRC3_GFX90A:TG_SPLIT: 0
	.section	.text._ZN7rocprim17ROCPRIM_400000_NS6detail17trampoline_kernelINS0_14default_configENS1_38merge_sort_block_merge_config_selectorIjNS0_10empty_typeEEEZZNS1_27merge_sort_block_merge_implIS3_N6thrust23THRUST_200600_302600_NS6detail15normal_iteratorINS9_10device_ptrIjEEEEPS5_jNS1_19radix_merge_compareILb0ELb1EjNS0_19identity_decomposerEEEEE10hipError_tT0_T1_T2_jT3_P12ihipStream_tbPNSt15iterator_traitsISK_E10value_typeEPNSQ_ISL_E10value_typeEPSM_NS1_7vsmem_tEENKUlT_SK_SL_SM_E_clIPjSE_SF_SF_EESJ_SZ_SK_SL_SM_EUlSZ_E0_NS1_11comp_targetILNS1_3genE5ELNS1_11target_archE942ELNS1_3gpuE9ELNS1_3repE0EEENS1_38merge_mergepath_config_static_selectorELNS0_4arch9wavefront6targetE1EEEvSL_,"axG",@progbits,_ZN7rocprim17ROCPRIM_400000_NS6detail17trampoline_kernelINS0_14default_configENS1_38merge_sort_block_merge_config_selectorIjNS0_10empty_typeEEEZZNS1_27merge_sort_block_merge_implIS3_N6thrust23THRUST_200600_302600_NS6detail15normal_iteratorINS9_10device_ptrIjEEEEPS5_jNS1_19radix_merge_compareILb0ELb1EjNS0_19identity_decomposerEEEEE10hipError_tT0_T1_T2_jT3_P12ihipStream_tbPNSt15iterator_traitsISK_E10value_typeEPNSQ_ISL_E10value_typeEPSM_NS1_7vsmem_tEENKUlT_SK_SL_SM_E_clIPjSE_SF_SF_EESJ_SZ_SK_SL_SM_EUlSZ_E0_NS1_11comp_targetILNS1_3genE5ELNS1_11target_archE942ELNS1_3gpuE9ELNS1_3repE0EEENS1_38merge_mergepath_config_static_selectorELNS0_4arch9wavefront6targetE1EEEvSL_,comdat
	.protected	_ZN7rocprim17ROCPRIM_400000_NS6detail17trampoline_kernelINS0_14default_configENS1_38merge_sort_block_merge_config_selectorIjNS0_10empty_typeEEEZZNS1_27merge_sort_block_merge_implIS3_N6thrust23THRUST_200600_302600_NS6detail15normal_iteratorINS9_10device_ptrIjEEEEPS5_jNS1_19radix_merge_compareILb0ELb1EjNS0_19identity_decomposerEEEEE10hipError_tT0_T1_T2_jT3_P12ihipStream_tbPNSt15iterator_traitsISK_E10value_typeEPNSQ_ISL_E10value_typeEPSM_NS1_7vsmem_tEENKUlT_SK_SL_SM_E_clIPjSE_SF_SF_EESJ_SZ_SK_SL_SM_EUlSZ_E0_NS1_11comp_targetILNS1_3genE5ELNS1_11target_archE942ELNS1_3gpuE9ELNS1_3repE0EEENS1_38merge_mergepath_config_static_selectorELNS0_4arch9wavefront6targetE1EEEvSL_ ; -- Begin function _ZN7rocprim17ROCPRIM_400000_NS6detail17trampoline_kernelINS0_14default_configENS1_38merge_sort_block_merge_config_selectorIjNS0_10empty_typeEEEZZNS1_27merge_sort_block_merge_implIS3_N6thrust23THRUST_200600_302600_NS6detail15normal_iteratorINS9_10device_ptrIjEEEEPS5_jNS1_19radix_merge_compareILb0ELb1EjNS0_19identity_decomposerEEEEE10hipError_tT0_T1_T2_jT3_P12ihipStream_tbPNSt15iterator_traitsISK_E10value_typeEPNSQ_ISL_E10value_typeEPSM_NS1_7vsmem_tEENKUlT_SK_SL_SM_E_clIPjSE_SF_SF_EESJ_SZ_SK_SL_SM_EUlSZ_E0_NS1_11comp_targetILNS1_3genE5ELNS1_11target_archE942ELNS1_3gpuE9ELNS1_3repE0EEENS1_38merge_mergepath_config_static_selectorELNS0_4arch9wavefront6targetE1EEEvSL_
	.globl	_ZN7rocprim17ROCPRIM_400000_NS6detail17trampoline_kernelINS0_14default_configENS1_38merge_sort_block_merge_config_selectorIjNS0_10empty_typeEEEZZNS1_27merge_sort_block_merge_implIS3_N6thrust23THRUST_200600_302600_NS6detail15normal_iteratorINS9_10device_ptrIjEEEEPS5_jNS1_19radix_merge_compareILb0ELb1EjNS0_19identity_decomposerEEEEE10hipError_tT0_T1_T2_jT3_P12ihipStream_tbPNSt15iterator_traitsISK_E10value_typeEPNSQ_ISL_E10value_typeEPSM_NS1_7vsmem_tEENKUlT_SK_SL_SM_E_clIPjSE_SF_SF_EESJ_SZ_SK_SL_SM_EUlSZ_E0_NS1_11comp_targetILNS1_3genE5ELNS1_11target_archE942ELNS1_3gpuE9ELNS1_3repE0EEENS1_38merge_mergepath_config_static_selectorELNS0_4arch9wavefront6targetE1EEEvSL_
	.p2align	8
	.type	_ZN7rocprim17ROCPRIM_400000_NS6detail17trampoline_kernelINS0_14default_configENS1_38merge_sort_block_merge_config_selectorIjNS0_10empty_typeEEEZZNS1_27merge_sort_block_merge_implIS3_N6thrust23THRUST_200600_302600_NS6detail15normal_iteratorINS9_10device_ptrIjEEEEPS5_jNS1_19radix_merge_compareILb0ELb1EjNS0_19identity_decomposerEEEEE10hipError_tT0_T1_T2_jT3_P12ihipStream_tbPNSt15iterator_traitsISK_E10value_typeEPNSQ_ISL_E10value_typeEPSM_NS1_7vsmem_tEENKUlT_SK_SL_SM_E_clIPjSE_SF_SF_EESJ_SZ_SK_SL_SM_EUlSZ_E0_NS1_11comp_targetILNS1_3genE5ELNS1_11target_archE942ELNS1_3gpuE9ELNS1_3repE0EEENS1_38merge_mergepath_config_static_selectorELNS0_4arch9wavefront6targetE1EEEvSL_,@function
_ZN7rocprim17ROCPRIM_400000_NS6detail17trampoline_kernelINS0_14default_configENS1_38merge_sort_block_merge_config_selectorIjNS0_10empty_typeEEEZZNS1_27merge_sort_block_merge_implIS3_N6thrust23THRUST_200600_302600_NS6detail15normal_iteratorINS9_10device_ptrIjEEEEPS5_jNS1_19radix_merge_compareILb0ELb1EjNS0_19identity_decomposerEEEEE10hipError_tT0_T1_T2_jT3_P12ihipStream_tbPNSt15iterator_traitsISK_E10value_typeEPNSQ_ISL_E10value_typeEPSM_NS1_7vsmem_tEENKUlT_SK_SL_SM_E_clIPjSE_SF_SF_EESJ_SZ_SK_SL_SM_EUlSZ_E0_NS1_11comp_targetILNS1_3genE5ELNS1_11target_archE942ELNS1_3gpuE9ELNS1_3repE0EEENS1_38merge_mergepath_config_static_selectorELNS0_4arch9wavefront6targetE1EEEvSL_: ; @_ZN7rocprim17ROCPRIM_400000_NS6detail17trampoline_kernelINS0_14default_configENS1_38merge_sort_block_merge_config_selectorIjNS0_10empty_typeEEEZZNS1_27merge_sort_block_merge_implIS3_N6thrust23THRUST_200600_302600_NS6detail15normal_iteratorINS9_10device_ptrIjEEEEPS5_jNS1_19radix_merge_compareILb0ELb1EjNS0_19identity_decomposerEEEEE10hipError_tT0_T1_T2_jT3_P12ihipStream_tbPNSt15iterator_traitsISK_E10value_typeEPNSQ_ISL_E10value_typeEPSM_NS1_7vsmem_tEENKUlT_SK_SL_SM_E_clIPjSE_SF_SF_EESJ_SZ_SK_SL_SM_EUlSZ_E0_NS1_11comp_targetILNS1_3genE5ELNS1_11target_archE942ELNS1_3gpuE9ELNS1_3repE0EEENS1_38merge_mergepath_config_static_selectorELNS0_4arch9wavefront6targetE1EEEvSL_
; %bb.0:
	s_load_dwordx2 s[12:13], s[0:1], 0x40
	s_load_dwordx2 s[16:17], s[0:1], 0x30
	s_add_u32 s8, s0, 64
	s_addc_u32 s9, s1, 0
	s_waitcnt lgkmcnt(0)
	s_mul_i32 s4, s13, s4
	s_add_i32 s3, s4, s3
	s_mul_i32 s3, s3, s12
	s_add_i32 s10, s3, s2
	s_cmp_ge_u32 s10, s16
	s_cbranch_scc1 .LBB1036_43
; %bb.1:
	s_load_dwordx2 s[14:15], s[0:1], 0x28
	s_load_dwordx2 s[4:5], s[0:1], 0x38
	;; [unrolled: 1-line block ×3, first 2 shown]
	s_mov_b32 s11, 0
	v_mov_b32_e32 v11, 0
	s_waitcnt lgkmcnt(0)
	s_lshr_b32 s22, s14, 10
	s_cmp_lg_u32 s10, s22
	s_cselect_b64 s[18:19], -1, 0
	s_lshl_b64 s[20:21], s[10:11], 2
	s_add_u32 s4, s4, s20
	s_addc_u32 s5, s5, s21
	s_lshr_b32 s3, s15, 9
	s_and_b32 s3, s3, 0x7ffffe
	s_load_dwordx2 s[4:5], s[4:5], 0x0
	s_sub_i32 s3, 0, s3
	s_and_b32 s13, s10, s3
	s_lshl_b32 s21, s13, 10
	s_lshl_b32 s16, s10, 10
	;; [unrolled: 1-line block ×3, first 2 shown]
	s_sub_i32 s20, s16, s21
	s_add_i32 s13, s13, s15
	s_add_i32 s23, s13, s20
	s_waitcnt lgkmcnt(0)
	s_sub_i32 s20, s23, s4
	s_sub_i32 s23, s23, s5
	;; [unrolled: 1-line block ×3, first 2 shown]
	s_min_u32 s20, s14, s20
	s_addk_i32 s23, 0x400
	s_or_b32 s3, s10, s3
	s_min_u32 s21, s14, s13
	s_add_i32 s13, s13, s15
	s_cmp_eq_u32 s3, -1
	s_cselect_b32 s3, s13, s23
	s_cselect_b32 s5, s21, s5
	s_min_u32 s3, s3, s14
	s_sub_i32 s15, s5, s4
	s_mov_b32 s5, s11
	s_sub_i32 s13, s3, s20
	s_lshl_b64 s[4:5], s[4:5], 2
	s_add_u32 s4, s6, s4
	s_mov_b32 s21, s11
	s_addc_u32 s5, s7, s5
	s_lshl_b64 s[20:21], s[20:21], 2
	s_add_u32 s6, s6, s20
	s_addc_u32 s7, s7, s21
	s_cmp_lt_u32 s2, s12
	s_cselect_b32 s2, 12, 18
	global_load_dword v1, v11, s[8:9] offset:14
	s_add_u32 s2, s8, s2
	s_addc_u32 s3, s9, 0
	global_load_ushort v2, v11, s[2:3]
	s_cmp_eq_u32 s10, s22
	v_lshlrev_b32_e32 v10, 2, v0
	s_waitcnt vmcnt(1)
	v_lshrrev_b32_e32 v3, 16, v1
	v_and_b32_e32 v1, 0xffff, v1
	v_mul_lo_u32 v1, v1, v3
	s_waitcnt vmcnt(0)
	v_mul_lo_u32 v1, v1, v2
	v_add_u32_e32 v14, v1, v0
	v_add_u32_e32 v12, v14, v1
	s_cbranch_scc1 .LBB1036_3
; %bb.2:
	v_subrev_u32_e32 v4, s15, v0
	v_mov_b32_e32 v5, v11
	v_lshl_add_u64 v[2:3], s[4:5], 0, v[10:11]
	v_lshl_add_u64 v[4:5], v[4:5], 2, s[6:7]
	v_cmp_gt_u32_e32 vcc, s15, v0
	v_mov_b32_e32 v15, v11
	v_subrev_u32_e32 v6, s15, v14
	v_mov_b32_e32 v7, v11
	v_cndmask_b32_e32 v3, v5, v3, vcc
	v_cndmask_b32_e32 v2, v4, v2, vcc
	v_lshl_add_u64 v[4:5], v[14:15], 2, s[4:5]
	v_lshl_add_u64 v[6:7], v[6:7], 2, s[6:7]
	v_cmp_gt_u32_e32 vcc, s15, v14
	v_mov_b32_e32 v13, v11
	global_load_dword v2, v[2:3], off
	v_cndmask_b32_e32 v5, v7, v5, vcc
	v_cndmask_b32_e32 v4, v6, v4, vcc
	v_subrev_u32_e32 v6, s15, v12
	v_mov_b32_e32 v7, v11
	global_load_dword v3, v[4:5], off
	v_lshl_add_u64 v[4:5], v[12:13], 2, s[4:5]
	v_lshl_add_u64 v[6:7], v[6:7], 2, s[6:7]
	v_cmp_gt_u32_e32 vcc, s15, v12
	v_mov_b32_e32 v17, v11
	v_mov_b32_e32 v19, v11
	v_cndmask_b32_e32 v4, v6, v4, vcc
	v_add_u32_e32 v6, v12, v1
	v_cndmask_b32_e32 v5, v7, v5, vcc
	v_mov_b32_e32 v7, v11
	v_subrev_u32_e32 v16, s15, v6
	v_lshl_add_u64 v[8:9], v[6:7], 2, s[4:5]
	v_lshl_add_u64 v[16:17], v[16:17], 2, s[6:7]
	v_cmp_gt_u32_e32 vcc, s15, v6
	global_load_dword v4, v[4:5], off
	v_mov_b32_e32 v21, v11
	v_cndmask_b32_e32 v9, v17, v9, vcc
	v_cndmask_b32_e32 v8, v16, v8, vcc
	global_load_dword v5, v[8:9], off
	v_add_u32_e32 v8, v6, v1
	v_mov_b32_e32 v9, v11
	v_lshl_add_u64 v[6:7], v[8:9], 2, s[4:5]
	v_subrev_u32_e32 v16, s15, v8
	v_mov_b32_e32 v17, v11
	v_cmp_gt_u32_e32 vcc, s15, v8
	v_add_u32_e32 v8, v8, v1
	v_lshl_add_u64 v[16:17], v[16:17], 2, s[6:7]
	v_subrev_u32_e32 v18, s15, v8
	v_cndmask_b32_e32 v7, v17, v7, vcc
	v_cndmask_b32_e32 v6, v16, v6, vcc
	v_lshl_add_u64 v[16:17], v[8:9], 2, s[4:5]
	v_lshl_add_u64 v[18:19], v[18:19], 2, s[6:7]
	v_cmp_gt_u32_e32 vcc, s15, v8
	global_load_dword v6, v[6:7], off
	s_add_i32 s24, s13, s15
	v_cndmask_b32_e32 v17, v19, v17, vcc
	v_cndmask_b32_e32 v16, v18, v16, vcc
	global_load_dword v7, v[16:17], off
	v_add_u32_e32 v16, v8, v1
	v_mov_b32_e32 v17, v11
	v_lshl_add_u64 v[8:9], v[16:17], 2, s[4:5]
	v_subrev_u32_e32 v18, s15, v16
	v_mov_b32_e32 v19, v11
	v_cmp_gt_u32_e32 vcc, s15, v16
	v_add_u32_e32 v16, v16, v1
	v_lshl_add_u64 v[18:19], v[18:19], 2, s[6:7]
	v_subrev_u32_e32 v20, s15, v16
	v_cndmask_b32_e32 v9, v19, v9, vcc
	v_cndmask_b32_e32 v8, v18, v8, vcc
	v_lshl_add_u64 v[18:19], v[16:17], 2, s[4:5]
	v_lshl_add_u64 v[20:21], v[20:21], 2, s[6:7]
	v_cmp_gt_u32_e32 vcc, s15, v16
	global_load_dword v8, v[8:9], off
	s_nop 0
	v_cndmask_b32_e32 v17, v21, v19, vcc
	v_cndmask_b32_e32 v16, v20, v18, vcc
	global_load_dword v9, v[16:17], off
	s_load_dwordx2 s[20:21], s[0:1], 0x10
	s_cbranch_execz .LBB1036_4
	s_branch .LBB1036_19
.LBB1036_3:
                                        ; implicit-def: $vgpr2_vgpr3_vgpr4_vgpr5_vgpr6_vgpr7_vgpr8_vgpr9
                                        ; implicit-def: $sgpr24
	s_load_dwordx2 s[20:21], s[0:1], 0x10
.LBB1036_4:
	s_add_i32 s24, s13, s15
	v_cmp_gt_u32_e32 vcc, s24, v0
                                        ; implicit-def: $vgpr2_vgpr3_vgpr4_vgpr5_vgpr6_vgpr7_vgpr8_vgpr9
	s_and_saveexec_b64 s[0:1], vcc
	s_cbranch_execnz .LBB1036_44
; %bb.5:
	s_or_b64 exec, exec, s[0:1]
	v_cmp_gt_u32_e32 vcc, s24, v14
	s_and_saveexec_b64 s[0:1], vcc
	s_cbranch_execnz .LBB1036_45
.LBB1036_6:
	s_or_b64 exec, exec, s[0:1]
	v_cmp_gt_u32_e32 vcc, s24, v12
	s_and_saveexec_b64 s[0:1], vcc
	s_cbranch_execz .LBB1036_8
.LBB1036_7:
	v_mov_b32_e32 v13, 0
	v_subrev_u32_e32 v16, s15, v12
	v_mov_b32_e32 v17, v13
	v_lshl_add_u64 v[14:15], v[12:13], 2, s[4:5]
	v_lshl_add_u64 v[16:17], v[16:17], 2, s[6:7]
	v_cmp_gt_u32_e32 vcc, s15, v12
	s_nop 1
	v_cndmask_b32_e32 v15, v17, v15, vcc
	v_cndmask_b32_e32 v14, v16, v14, vcc
	global_load_dword v4, v[14:15], off
.LBB1036_8:
	s_or_b64 exec, exec, s[0:1]
	v_add_u32_e32 v12, v12, v1
	v_cmp_gt_u32_e32 vcc, s24, v12
	s_and_saveexec_b64 s[0:1], vcc
	s_cbranch_execz .LBB1036_10
; %bb.9:
	v_mov_b32_e32 v13, 0
	v_subrev_u32_e32 v16, s15, v12
	v_mov_b32_e32 v17, v13
	v_lshl_add_u64 v[14:15], v[12:13], 2, s[4:5]
	v_lshl_add_u64 v[16:17], v[16:17], 2, s[6:7]
	v_cmp_gt_u32_e32 vcc, s15, v12
	s_nop 1
	v_cndmask_b32_e32 v15, v17, v15, vcc
	v_cndmask_b32_e32 v14, v16, v14, vcc
	global_load_dword v5, v[14:15], off
.LBB1036_10:
	s_or_b64 exec, exec, s[0:1]
	v_add_u32_e32 v12, v12, v1
	v_cmp_gt_u32_e32 vcc, s24, v12
	s_and_saveexec_b64 s[0:1], vcc
	s_cbranch_execz .LBB1036_12
; %bb.11:
	v_mov_b32_e32 v13, 0
	v_subrev_u32_e32 v16, s15, v12
	v_mov_b32_e32 v17, v13
	v_lshl_add_u64 v[14:15], v[12:13], 2, s[4:5]
	v_lshl_add_u64 v[16:17], v[16:17], 2, s[6:7]
	v_cmp_gt_u32_e32 vcc, s15, v12
	s_nop 1
	v_cndmask_b32_e32 v15, v17, v15, vcc
	v_cndmask_b32_e32 v14, v16, v14, vcc
	global_load_dword v6, v[14:15], off
.LBB1036_12:
	;; [unrolled: 17-line block ×4, first 2 shown]
	s_or_b64 exec, exec, s[0:1]
	v_add_u32_e32 v12, v12, v1
	v_cmp_gt_u32_e32 vcc, s24, v12
	s_and_saveexec_b64 s[0:1], vcc
	s_cbranch_execz .LBB1036_18
; %bb.17:
	v_mov_b32_e32 v13, 0
	v_lshl_add_u64 v[14:15], v[12:13], 2, s[4:5]
	v_cmp_gt_u32_e32 vcc, s15, v12
	v_subrev_u32_e32 v12, s15, v12
	v_lshl_add_u64 v[12:13], v[12:13], 2, s[6:7]
	v_cndmask_b32_e32 v13, v13, v15, vcc
	v_cndmask_b32_e32 v12, v12, v14, vcc
	global_load_dword v9, v[12:13], off
.LBB1036_18:
	s_or_b64 exec, exec, s[0:1]
.LBB1036_19:
	v_lshlrev_b32_e32 v1, 3, v0
	v_min_u32_e32 v12, s24, v1
	v_sub_u32_e64 v11, v12, s13 clamp
	v_min_u32_e32 v13, s15, v12
	v_cmp_lt_u32_e32 vcc, v11, v13
	s_waitcnt vmcnt(0)
	ds_write2st64_b32 v10, v2, v3 offset1:2
	ds_write2st64_b32 v10, v4, v5 offset0:4 offset1:6
	ds_write2st64_b32 v10, v6, v7 offset0:8 offset1:10
	;; [unrolled: 1-line block ×3, first 2 shown]
	s_waitcnt lgkmcnt(0)
	s_barrier
	s_and_saveexec_b64 s[0:1], vcc
	s_cbranch_execz .LBB1036_23
; %bb.20:
	v_lshlrev_b32_e32 v14, 2, v12
	v_lshl_add_u32 v14, s15, 2, v14
	s_mov_b64 s[2:3], 0
.LBB1036_21:                            ; =>This Inner Loop Header: Depth=1
	v_add_u32_e32 v15, v13, v11
	v_lshrrev_b32_e32 v15, 1, v15
	v_not_b32_e32 v16, v15
	v_lshlrev_b32_e32 v17, 2, v15
	v_lshl_add_u32 v16, v16, 2, v14
	ds_read_b32 v17, v17
	ds_read_b32 v16, v16
	v_add_u32_e32 v18, 1, v15
	s_waitcnt lgkmcnt(1)
	v_and_b32_e32 v17, s17, v17
	s_waitcnt lgkmcnt(0)
	v_and_b32_e32 v16, s17, v16
	v_cmp_gt_u32_e32 vcc, v17, v16
	s_nop 1
	v_cndmask_b32_e32 v13, v13, v15, vcc
	v_cndmask_b32_e32 v11, v18, v11, vcc
	v_cmp_ge_u32_e32 vcc, v11, v13
	s_or_b64 s[2:3], vcc, s[2:3]
	s_andn2_b64 exec, exec, s[2:3]
	s_cbranch_execnz .LBB1036_21
; %bb.22:
	s_or_b64 exec, exec, s[2:3]
.LBB1036_23:
	s_or_b64 exec, exec, s[0:1]
	v_sub_u32_e32 v12, v12, v11
	v_add_u32_e32 v12, s15, v12
	v_cmp_ge_u32_e32 vcc, s15, v11
	v_cmp_ge_u32_e64 s[0:1], s24, v12
	s_or_b64 s[0:1], vcc, s[0:1]
	s_and_saveexec_b64 s[22:23], s[0:1]
	s_cbranch_execz .LBB1036_29
; %bb.24:
	v_cmp_gt_u32_e32 vcc, s15, v11
                                        ; implicit-def: $vgpr2
	s_and_saveexec_b64 s[0:1], vcc
	s_cbranch_execz .LBB1036_26
; %bb.25:
	v_lshlrev_b32_e32 v2, 2, v11
	ds_read_b32 v2, v2
.LBB1036_26:
	s_or_b64 exec, exec, s[0:1]
	v_cmp_le_u32_e64 s[0:1], s24, v12
	v_cmp_gt_u32_e64 s[2:3], s24, v12
                                        ; implicit-def: $vgpr3
	s_and_saveexec_b64 s[4:5], s[2:3]
	s_cbranch_execz .LBB1036_28
; %bb.27:
	v_lshlrev_b32_e32 v3, 2, v12
	ds_read_b32 v3, v3
.LBB1036_28:
	s_or_b64 exec, exec, s[4:5]
	s_waitcnt lgkmcnt(0)
	v_and_b32_e32 v4, s17, v3
	v_and_b32_e32 v5, s17, v2
	v_cmp_le_u32_e64 s[2:3], v5, v4
	s_and_b64 s[2:3], vcc, s[2:3]
	s_or_b64 vcc, s[0:1], s[2:3]
	v_mov_b32_e32 v5, s24
	v_mov_b32_e32 v6, s15
	v_cndmask_b32_e32 v4, v12, v11, vcc
	v_cndmask_b32_e32 v7, v5, v6, vcc
	v_add_u32_e32 v4, 1, v4
	v_add_u32_e32 v7, -1, v7
	v_min_u32_e32 v7, v4, v7
	v_lshlrev_b32_e32 v7, 2, v7
	ds_read_b32 v7, v7
	v_cndmask_b32_e32 v9, v4, v12, vcc
	v_cndmask_b32_e32 v4, v11, v4, vcc
	v_cmp_gt_u32_e64 s[2:3], s15, v4
	v_cmp_le_u32_e64 s[0:1], s24, v9
	s_waitcnt lgkmcnt(0)
	v_cndmask_b32_e32 v8, v7, v3, vcc
	v_cndmask_b32_e32 v7, v2, v7, vcc
	v_and_b32_e32 v11, s17, v8
	v_and_b32_e32 v12, s17, v7
	v_cmp_le_u32_e64 s[4:5], v12, v11
	s_and_b64 s[2:3], s[2:3], s[4:5]
	s_or_b64 s[0:1], s[0:1], s[2:3]
	v_cndmask_b32_e64 v11, v9, v4, s[0:1]
	v_cndmask_b32_e64 v12, v5, v6, s[0:1]
	v_add_u32_e32 v11, 1, v11
	v_add_u32_e32 v12, -1, v12
	v_min_u32_e32 v12, v11, v12
	v_lshlrev_b32_e32 v12, 2, v12
	ds_read_b32 v12, v12
	v_cndmask_b32_e64 v9, v11, v9, s[0:1]
	v_cndmask_b32_e64 v4, v4, v11, s[0:1]
	v_cmp_gt_u32_e64 s[4:5], s15, v4
	v_cmp_le_u32_e64 s[2:3], s24, v9
	s_waitcnt lgkmcnt(0)
	v_cndmask_b32_e64 v13, v12, v8, s[0:1]
	v_cndmask_b32_e64 v12, v7, v12, s[0:1]
	v_and_b32_e32 v11, s17, v13
	v_and_b32_e32 v14, s17, v12
	v_cmp_le_u32_e64 s[6:7], v14, v11
	s_and_b64 s[4:5], s[4:5], s[6:7]
	s_or_b64 s[2:3], s[2:3], s[4:5]
	v_cndmask_b32_e64 v11, v9, v4, s[2:3]
	v_cndmask_b32_e64 v14, v5, v6, s[2:3]
	v_add_u32_e32 v11, 1, v11
	v_add_u32_e32 v14, -1, v14
	v_min_u32_e32 v14, v11, v14
	v_lshlrev_b32_e32 v14, 2, v14
	ds_read_b32 v14, v14
	v_cndmask_b32_e64 v9, v11, v9, s[2:3]
	v_cndmask_b32_e64 v4, v4, v11, s[2:3]
	v_cmp_gt_u32_e64 s[6:7], s15, v4
	v_cmp_le_u32_e64 s[4:5], s24, v9
	s_waitcnt lgkmcnt(0)
	v_cndmask_b32_e64 v15, v14, v13, s[2:3]
	v_cndmask_b32_e64 v14, v12, v14, s[2:3]
	;; [unrolled: 19-line block ×4, first 2 shown]
	v_and_b32_e32 v4, s17, v19
	v_and_b32_e32 v20, s17, v18
	v_cmp_le_u32_e64 s[12:13], v20, v4
	s_and_b64 s[10:11], s[10:11], s[12:13]
	s_or_b64 s[8:9], s[8:9], s[10:11]
	v_cndmask_b32_e64 v4, v9, v11, s[8:9]
	v_cndmask_b32_e64 v20, v5, v6, s[8:9]
	v_add_u32_e32 v21, 1, v4
	v_add_u32_e32 v4, -1, v20
	v_min_u32_e32 v4, v21, v4
	v_lshlrev_b32_e32 v4, 2, v4
	ds_read_b32 v20, v4
	v_cndmask_b32_e64 v4, v13, v12, s[2:3]
	v_cndmask_b32_e32 v2, v3, v2, vcc
	v_cndmask_b32_e64 v3, v8, v7, s[0:1]
	v_cndmask_b32_e64 v11, v11, v21, s[8:9]
	s_waitcnt lgkmcnt(0)
	v_cndmask_b32_e64 v12, v20, v19, s[8:9]
	v_cndmask_b32_e64 v13, v18, v20, s[8:9]
	v_and_b32_e32 v7, s17, v12
	v_and_b32_e32 v8, s17, v13
	v_cndmask_b32_e64 v9, v21, v9, s[8:9]
	v_cmp_gt_u32_e64 s[0:1], s15, v11
	v_cmp_le_u32_e64 s[2:3], v8, v7
	v_cmp_le_u32_e32 vcc, s24, v9
	s_and_b64 s[0:1], s[0:1], s[2:3]
	s_or_b64 vcc, vcc, s[0:1]
	v_cndmask_b32_e32 v7, v9, v11, vcc
	v_cndmask_b32_e32 v5, v5, v6, vcc
	v_add_u32_e32 v20, 1, v7
	v_add_u32_e32 v5, -1, v5
	v_min_u32_e32 v5, v20, v5
	v_lshlrev_b32_e32 v5, 2, v5
	ds_read_b32 v21, v5
	v_cndmask_b32_e32 v8, v12, v13, vcc
	v_cndmask_b32_e32 v9, v20, v9, vcc
	;; [unrolled: 1-line block ×3, first 2 shown]
	v_cmp_gt_u32_e64 s[0:1], s15, v11
	s_waitcnt lgkmcnt(0)
	v_cndmask_b32_e32 v12, v21, v12, vcc
	v_cndmask_b32_e32 v13, v13, v21, vcc
	v_cmp_le_u32_e32 vcc, s24, v9
	v_and_b32_e32 v9, s17, v12
	v_and_b32_e32 v11, s17, v13
	v_cmp_le_u32_e64 s[2:3], v11, v9
	s_and_b64 s[0:1], s[0:1], s[2:3]
	s_or_b64 vcc, vcc, s[0:1]
	v_cndmask_b32_e64 v5, v15, v14, s[4:5]
	v_cndmask_b32_e64 v6, v17, v16, s[6:7]
	;; [unrolled: 1-line block ×3, first 2 shown]
	v_cndmask_b32_e32 v9, v12, v13, vcc
.LBB1036_29:
	s_or_b64 exec, exec, s[22:23]
	v_and_b32_e32 v11, 0x7c, v0
	v_lshl_add_u32 v1, v1, 2, v11
	s_barrier
	s_barrier
	ds_write2_b32 v1, v2, v3 offset1:1
	ds_write2_b32 v1, v4, v5 offset0:2 offset1:3
	ds_write2_b32 v1, v6, v7 offset0:4 offset1:5
	;; [unrolled: 1-line block ×3, first 2 shown]
	v_lshrrev_b32_e32 v1, 3, v0
	v_and_b32_e32 v1, 12, v1
	v_or_b32_e32 v12, 0x80, v0
	v_add_u32_e32 v13, v10, v1
	v_lshrrev_b32_e32 v1, 3, v12
	v_and_b32_e32 v1, 28, v1
	v_or_b32_e32 v9, 0x100, v0
	v_add_u32_e32 v14, v10, v1
	v_lshrrev_b32_e32 v1, 3, v9
	v_and_b32_e32 v1, 44, v1
	v_or_b32_e32 v8, 0x180, v0
	v_add_u32_e32 v15, v10, v1
	v_lshrrev_b32_e32 v1, 3, v8
	v_and_b32_e32 v1, 60, v1
	v_or_b32_e32 v6, 0x200, v0
	v_add_u32_e32 v16, v10, v1
	v_lshrrev_b32_e32 v1, 3, v6
	v_and_b32_e32 v1, 0x4c, v1
	v_or_b32_e32 v5, 0x280, v0
	v_add_u32_e32 v17, v10, v1
	v_lshrrev_b32_e32 v1, 3, v5
	v_and_b32_e32 v1, 0x5c, v1
	v_or_b32_e32 v4, 0x300, v0
	v_add_u32_e32 v18, v10, v1
	v_lshrrev_b32_e32 v1, 3, v4
	s_mov_b32 s17, 0
	v_and_b32_e32 v1, 0x6c, v1
	s_lshl_b64 s[0:1], s[16:17], 2
	v_add_u32_e32 v19, v10, v1
	v_or_b32_e32 v1, 0x380, v0
	s_add_u32 s0, s20, s0
	v_lshrrev_b32_e32 v2, 3, v1
	s_addc_u32 s1, s21, s1
	v_and_b32_e32 v2, 0x7c, v2
	v_mov_b32_e32 v11, 0
	v_add_u32_e32 v20, v10, v2
	v_lshl_add_u64 v[2:3], s[0:1], 0, v[10:11]
	s_and_b64 vcc, exec, s[18:19]
	s_waitcnt lgkmcnt(0)
	s_cbranch_vccz .LBB1036_31
; %bb.30:
	s_barrier
	ds_read_b32 v10, v13
	ds_read_b32 v11, v14 offset:512
	ds_read_b32 v21, v15 offset:1024
	;; [unrolled: 1-line block ×7, first 2 shown]
	s_waitcnt lgkmcnt(7)
	global_store_dword v[2:3], v10, off
	s_waitcnt lgkmcnt(6)
	global_store_dword v[2:3], v11, off offset:512
	s_waitcnt lgkmcnt(5)
	global_store_dword v[2:3], v21, off offset:1024
	;; [unrolled: 2-line block ×6, first 2 shown]
	s_mov_b64 s[0:1], -1
	s_cbranch_execz .LBB1036_32
	s_branch .LBB1036_41
.LBB1036_31:
	s_mov_b64 s[0:1], 0
                                        ; implicit-def: $vgpr7
.LBB1036_32:
	s_barrier
	s_waitcnt lgkmcnt(0)
	ds_read_b32 v22, v14 offset:512
	ds_read_b32 v21, v15 offset:1024
	;; [unrolled: 1-line block ×7, first 2 shown]
	s_sub_i32 s2, s14, s16
	v_cmp_gt_u32_e32 vcc, s2, v0
	s_and_saveexec_b64 s[0:1], vcc
	s_cbranch_execnz .LBB1036_46
; %bb.33:
	s_or_b64 exec, exec, s[0:1]
	v_cmp_gt_u32_e32 vcc, s2, v12
	s_and_saveexec_b64 s[0:1], vcc
	s_cbranch_execnz .LBB1036_47
.LBB1036_34:
	s_or_b64 exec, exec, s[0:1]
	v_cmp_gt_u32_e32 vcc, s2, v9
	s_and_saveexec_b64 s[0:1], vcc
	s_cbranch_execnz .LBB1036_48
.LBB1036_35:
	s_or_b64 exec, exec, s[0:1]
	v_cmp_gt_u32_e32 vcc, s2, v8
	s_and_saveexec_b64 s[0:1], vcc
	s_cbranch_execnz .LBB1036_49
.LBB1036_36:
	s_or_b64 exec, exec, s[0:1]
	v_cmp_gt_u32_e32 vcc, s2, v6
	s_and_saveexec_b64 s[0:1], vcc
	s_cbranch_execnz .LBB1036_50
.LBB1036_37:
	s_or_b64 exec, exec, s[0:1]
	v_cmp_gt_u32_e32 vcc, s2, v5
	s_and_saveexec_b64 s[0:1], vcc
	s_cbranch_execnz .LBB1036_51
.LBB1036_38:
	s_or_b64 exec, exec, s[0:1]
	v_cmp_gt_u32_e32 vcc, s2, v4
	s_and_saveexec_b64 s[0:1], vcc
	s_cbranch_execz .LBB1036_40
.LBB1036_39:
	s_waitcnt lgkmcnt(1)
	global_store_dword v[2:3], v10, off offset:3072
.LBB1036_40:
	s_or_b64 exec, exec, s[0:1]
	v_cmp_gt_u32_e64 s[0:1], s2, v1
.LBB1036_41:
	s_and_saveexec_b64 s[2:3], s[0:1]
	s_cbranch_execz .LBB1036_43
; %bb.42:
	s_waitcnt lgkmcnt(0)
	global_store_dword v[2:3], v7, off offset:3584
.LBB1036_43:
	s_endpgm
.LBB1036_44:
	v_mov_b32_e32 v11, 0
	s_waitcnt vmcnt(5)
	v_subrev_u32_e32 v4, s15, v0
	s_waitcnt vmcnt(4)
	v_mov_b32_e32 v5, v11
	v_lshl_add_u64 v[2:3], s[4:5], 0, v[10:11]
	v_lshl_add_u64 v[4:5], v[4:5], 2, s[6:7]
	v_cmp_gt_u32_e32 vcc, s15, v0
	s_nop 1
	v_cndmask_b32_e32 v3, v5, v3, vcc
	v_cndmask_b32_e32 v2, v4, v2, vcc
	global_load_dword v2, v[2:3], off
	s_or_b64 exec, exec, s[0:1]
	v_cmp_gt_u32_e32 vcc, s24, v14
	s_and_saveexec_b64 s[0:1], vcc
	s_cbranch_execz .LBB1036_6
.LBB1036_45:
	v_mov_b32_e32 v15, 0
	v_lshl_add_u64 v[16:17], v[14:15], 2, s[4:5]
	v_cmp_gt_u32_e32 vcc, s15, v14
	v_subrev_u32_e32 v14, s15, v14
	v_lshl_add_u64 v[14:15], v[14:15], 2, s[6:7]
	v_cndmask_b32_e32 v15, v15, v17, vcc
	v_cndmask_b32_e32 v14, v14, v16, vcc
	global_load_dword v3, v[14:15], off
	s_or_b64 exec, exec, s[0:1]
	v_cmp_gt_u32_e32 vcc, s24, v12
	s_and_saveexec_b64 s[0:1], vcc
	s_cbranch_execnz .LBB1036_7
	s_branch .LBB1036_8
.LBB1036_46:
	ds_read_b32 v0, v13
	s_waitcnt lgkmcnt(0)
	global_store_dword v[2:3], v0, off
	s_or_b64 exec, exec, s[0:1]
	v_cmp_gt_u32_e32 vcc, s2, v12
	s_and_saveexec_b64 s[0:1], vcc
	s_cbranch_execz .LBB1036_34
.LBB1036_47:
	s_waitcnt lgkmcnt(6)
	global_store_dword v[2:3], v22, off offset:512
	s_or_b64 exec, exec, s[0:1]
	v_cmp_gt_u32_e32 vcc, s2, v9
	s_and_saveexec_b64 s[0:1], vcc
	s_cbranch_execz .LBB1036_35
.LBB1036_48:
	s_waitcnt lgkmcnt(5)
	global_store_dword v[2:3], v21, off offset:1024
	s_or_b64 exec, exec, s[0:1]
	v_cmp_gt_u32_e32 vcc, s2, v8
	s_and_saveexec_b64 s[0:1], vcc
	s_cbranch_execz .LBB1036_36
.LBB1036_49:
	s_waitcnt lgkmcnt(4)
	global_store_dword v[2:3], v15, off offset:1536
	s_or_b64 exec, exec, s[0:1]
	v_cmp_gt_u32_e32 vcc, s2, v6
	s_and_saveexec_b64 s[0:1], vcc
	s_cbranch_execz .LBB1036_37
.LBB1036_50:
	s_waitcnt lgkmcnt(3)
	global_store_dword v[2:3], v14, off offset:2048
	s_or_b64 exec, exec, s[0:1]
	v_cmp_gt_u32_e32 vcc, s2, v5
	s_and_saveexec_b64 s[0:1], vcc
	s_cbranch_execz .LBB1036_38
.LBB1036_51:
	s_waitcnt lgkmcnt(2)
	global_store_dword v[2:3], v11, off offset:2560
	s_or_b64 exec, exec, s[0:1]
	v_cmp_gt_u32_e32 vcc, s2, v4
	s_and_saveexec_b64 s[0:1], vcc
	s_cbranch_execnz .LBB1036_39
	s_branch .LBB1036_40
	.section	.rodata,"a",@progbits
	.p2align	6, 0x0
	.amdhsa_kernel _ZN7rocprim17ROCPRIM_400000_NS6detail17trampoline_kernelINS0_14default_configENS1_38merge_sort_block_merge_config_selectorIjNS0_10empty_typeEEEZZNS1_27merge_sort_block_merge_implIS3_N6thrust23THRUST_200600_302600_NS6detail15normal_iteratorINS9_10device_ptrIjEEEEPS5_jNS1_19radix_merge_compareILb0ELb1EjNS0_19identity_decomposerEEEEE10hipError_tT0_T1_T2_jT3_P12ihipStream_tbPNSt15iterator_traitsISK_E10value_typeEPNSQ_ISL_E10value_typeEPSM_NS1_7vsmem_tEENKUlT_SK_SL_SM_E_clIPjSE_SF_SF_EESJ_SZ_SK_SL_SM_EUlSZ_E0_NS1_11comp_targetILNS1_3genE5ELNS1_11target_archE942ELNS1_3gpuE9ELNS1_3repE0EEENS1_38merge_mergepath_config_static_selectorELNS0_4arch9wavefront6targetE1EEEvSL_
		.amdhsa_group_segment_fixed_size 4224
		.amdhsa_private_segment_fixed_size 0
		.amdhsa_kernarg_size 320
		.amdhsa_user_sgpr_count 2
		.amdhsa_user_sgpr_dispatch_ptr 0
		.amdhsa_user_sgpr_queue_ptr 0
		.amdhsa_user_sgpr_kernarg_segment_ptr 1
		.amdhsa_user_sgpr_dispatch_id 0
		.amdhsa_user_sgpr_kernarg_preload_length 0
		.amdhsa_user_sgpr_kernarg_preload_offset 0
		.amdhsa_user_sgpr_private_segment_size 0
		.amdhsa_uses_dynamic_stack 0
		.amdhsa_enable_private_segment 0
		.amdhsa_system_sgpr_workgroup_id_x 1
		.amdhsa_system_sgpr_workgroup_id_y 1
		.amdhsa_system_sgpr_workgroup_id_z 1
		.amdhsa_system_sgpr_workgroup_info 0
		.amdhsa_system_vgpr_workitem_id 0
		.amdhsa_next_free_vgpr 26
		.amdhsa_next_free_sgpr 25
		.amdhsa_accum_offset 28
		.amdhsa_reserve_vcc 1
		.amdhsa_float_round_mode_32 0
		.amdhsa_float_round_mode_16_64 0
		.amdhsa_float_denorm_mode_32 3
		.amdhsa_float_denorm_mode_16_64 3
		.amdhsa_dx10_clamp 1
		.amdhsa_ieee_mode 1
		.amdhsa_fp16_overflow 0
		.amdhsa_tg_split 0
		.amdhsa_exception_fp_ieee_invalid_op 0
		.amdhsa_exception_fp_denorm_src 0
		.amdhsa_exception_fp_ieee_div_zero 0
		.amdhsa_exception_fp_ieee_overflow 0
		.amdhsa_exception_fp_ieee_underflow 0
		.amdhsa_exception_fp_ieee_inexact 0
		.amdhsa_exception_int_div_zero 0
	.end_amdhsa_kernel
	.section	.text._ZN7rocprim17ROCPRIM_400000_NS6detail17trampoline_kernelINS0_14default_configENS1_38merge_sort_block_merge_config_selectorIjNS0_10empty_typeEEEZZNS1_27merge_sort_block_merge_implIS3_N6thrust23THRUST_200600_302600_NS6detail15normal_iteratorINS9_10device_ptrIjEEEEPS5_jNS1_19radix_merge_compareILb0ELb1EjNS0_19identity_decomposerEEEEE10hipError_tT0_T1_T2_jT3_P12ihipStream_tbPNSt15iterator_traitsISK_E10value_typeEPNSQ_ISL_E10value_typeEPSM_NS1_7vsmem_tEENKUlT_SK_SL_SM_E_clIPjSE_SF_SF_EESJ_SZ_SK_SL_SM_EUlSZ_E0_NS1_11comp_targetILNS1_3genE5ELNS1_11target_archE942ELNS1_3gpuE9ELNS1_3repE0EEENS1_38merge_mergepath_config_static_selectorELNS0_4arch9wavefront6targetE1EEEvSL_,"axG",@progbits,_ZN7rocprim17ROCPRIM_400000_NS6detail17trampoline_kernelINS0_14default_configENS1_38merge_sort_block_merge_config_selectorIjNS0_10empty_typeEEEZZNS1_27merge_sort_block_merge_implIS3_N6thrust23THRUST_200600_302600_NS6detail15normal_iteratorINS9_10device_ptrIjEEEEPS5_jNS1_19radix_merge_compareILb0ELb1EjNS0_19identity_decomposerEEEEE10hipError_tT0_T1_T2_jT3_P12ihipStream_tbPNSt15iterator_traitsISK_E10value_typeEPNSQ_ISL_E10value_typeEPSM_NS1_7vsmem_tEENKUlT_SK_SL_SM_E_clIPjSE_SF_SF_EESJ_SZ_SK_SL_SM_EUlSZ_E0_NS1_11comp_targetILNS1_3genE5ELNS1_11target_archE942ELNS1_3gpuE9ELNS1_3repE0EEENS1_38merge_mergepath_config_static_selectorELNS0_4arch9wavefront6targetE1EEEvSL_,comdat
.Lfunc_end1036:
	.size	_ZN7rocprim17ROCPRIM_400000_NS6detail17trampoline_kernelINS0_14default_configENS1_38merge_sort_block_merge_config_selectorIjNS0_10empty_typeEEEZZNS1_27merge_sort_block_merge_implIS3_N6thrust23THRUST_200600_302600_NS6detail15normal_iteratorINS9_10device_ptrIjEEEEPS5_jNS1_19radix_merge_compareILb0ELb1EjNS0_19identity_decomposerEEEEE10hipError_tT0_T1_T2_jT3_P12ihipStream_tbPNSt15iterator_traitsISK_E10value_typeEPNSQ_ISL_E10value_typeEPSM_NS1_7vsmem_tEENKUlT_SK_SL_SM_E_clIPjSE_SF_SF_EESJ_SZ_SK_SL_SM_EUlSZ_E0_NS1_11comp_targetILNS1_3genE5ELNS1_11target_archE942ELNS1_3gpuE9ELNS1_3repE0EEENS1_38merge_mergepath_config_static_selectorELNS0_4arch9wavefront6targetE1EEEvSL_, .Lfunc_end1036-_ZN7rocprim17ROCPRIM_400000_NS6detail17trampoline_kernelINS0_14default_configENS1_38merge_sort_block_merge_config_selectorIjNS0_10empty_typeEEEZZNS1_27merge_sort_block_merge_implIS3_N6thrust23THRUST_200600_302600_NS6detail15normal_iteratorINS9_10device_ptrIjEEEEPS5_jNS1_19radix_merge_compareILb0ELb1EjNS0_19identity_decomposerEEEEE10hipError_tT0_T1_T2_jT3_P12ihipStream_tbPNSt15iterator_traitsISK_E10value_typeEPNSQ_ISL_E10value_typeEPSM_NS1_7vsmem_tEENKUlT_SK_SL_SM_E_clIPjSE_SF_SF_EESJ_SZ_SK_SL_SM_EUlSZ_E0_NS1_11comp_targetILNS1_3genE5ELNS1_11target_archE942ELNS1_3gpuE9ELNS1_3repE0EEENS1_38merge_mergepath_config_static_selectorELNS0_4arch9wavefront6targetE1EEEvSL_
                                        ; -- End function
	.section	.AMDGPU.csdata,"",@progbits
; Kernel info:
; codeLenInByte = 3340
; NumSgprs: 31
; NumVgprs: 26
; NumAgprs: 0
; TotalNumVgprs: 26
; ScratchSize: 0
; MemoryBound: 0
; FloatMode: 240
; IeeeMode: 1
; LDSByteSize: 4224 bytes/workgroup (compile time only)
; SGPRBlocks: 3
; VGPRBlocks: 3
; NumSGPRsForWavesPerEU: 31
; NumVGPRsForWavesPerEU: 26
; AccumOffset: 28
; Occupancy: 8
; WaveLimiterHint : 1
; COMPUTE_PGM_RSRC2:SCRATCH_EN: 0
; COMPUTE_PGM_RSRC2:USER_SGPR: 2
; COMPUTE_PGM_RSRC2:TRAP_HANDLER: 0
; COMPUTE_PGM_RSRC2:TGID_X_EN: 1
; COMPUTE_PGM_RSRC2:TGID_Y_EN: 1
; COMPUTE_PGM_RSRC2:TGID_Z_EN: 1
; COMPUTE_PGM_RSRC2:TIDIG_COMP_CNT: 0
; COMPUTE_PGM_RSRC3_GFX90A:ACCUM_OFFSET: 6
; COMPUTE_PGM_RSRC3_GFX90A:TG_SPLIT: 0
	.section	.text._ZN7rocprim17ROCPRIM_400000_NS6detail17trampoline_kernelINS0_14default_configENS1_38merge_sort_block_merge_config_selectorIjNS0_10empty_typeEEEZZNS1_27merge_sort_block_merge_implIS3_N6thrust23THRUST_200600_302600_NS6detail15normal_iteratorINS9_10device_ptrIjEEEEPS5_jNS1_19radix_merge_compareILb0ELb1EjNS0_19identity_decomposerEEEEE10hipError_tT0_T1_T2_jT3_P12ihipStream_tbPNSt15iterator_traitsISK_E10value_typeEPNSQ_ISL_E10value_typeEPSM_NS1_7vsmem_tEENKUlT_SK_SL_SM_E_clIPjSE_SF_SF_EESJ_SZ_SK_SL_SM_EUlSZ_E0_NS1_11comp_targetILNS1_3genE4ELNS1_11target_archE910ELNS1_3gpuE8ELNS1_3repE0EEENS1_38merge_mergepath_config_static_selectorELNS0_4arch9wavefront6targetE1EEEvSL_,"axG",@progbits,_ZN7rocprim17ROCPRIM_400000_NS6detail17trampoline_kernelINS0_14default_configENS1_38merge_sort_block_merge_config_selectorIjNS0_10empty_typeEEEZZNS1_27merge_sort_block_merge_implIS3_N6thrust23THRUST_200600_302600_NS6detail15normal_iteratorINS9_10device_ptrIjEEEEPS5_jNS1_19radix_merge_compareILb0ELb1EjNS0_19identity_decomposerEEEEE10hipError_tT0_T1_T2_jT3_P12ihipStream_tbPNSt15iterator_traitsISK_E10value_typeEPNSQ_ISL_E10value_typeEPSM_NS1_7vsmem_tEENKUlT_SK_SL_SM_E_clIPjSE_SF_SF_EESJ_SZ_SK_SL_SM_EUlSZ_E0_NS1_11comp_targetILNS1_3genE4ELNS1_11target_archE910ELNS1_3gpuE8ELNS1_3repE0EEENS1_38merge_mergepath_config_static_selectorELNS0_4arch9wavefront6targetE1EEEvSL_,comdat
	.protected	_ZN7rocprim17ROCPRIM_400000_NS6detail17trampoline_kernelINS0_14default_configENS1_38merge_sort_block_merge_config_selectorIjNS0_10empty_typeEEEZZNS1_27merge_sort_block_merge_implIS3_N6thrust23THRUST_200600_302600_NS6detail15normal_iteratorINS9_10device_ptrIjEEEEPS5_jNS1_19radix_merge_compareILb0ELb1EjNS0_19identity_decomposerEEEEE10hipError_tT0_T1_T2_jT3_P12ihipStream_tbPNSt15iterator_traitsISK_E10value_typeEPNSQ_ISL_E10value_typeEPSM_NS1_7vsmem_tEENKUlT_SK_SL_SM_E_clIPjSE_SF_SF_EESJ_SZ_SK_SL_SM_EUlSZ_E0_NS1_11comp_targetILNS1_3genE4ELNS1_11target_archE910ELNS1_3gpuE8ELNS1_3repE0EEENS1_38merge_mergepath_config_static_selectorELNS0_4arch9wavefront6targetE1EEEvSL_ ; -- Begin function _ZN7rocprim17ROCPRIM_400000_NS6detail17trampoline_kernelINS0_14default_configENS1_38merge_sort_block_merge_config_selectorIjNS0_10empty_typeEEEZZNS1_27merge_sort_block_merge_implIS3_N6thrust23THRUST_200600_302600_NS6detail15normal_iteratorINS9_10device_ptrIjEEEEPS5_jNS1_19radix_merge_compareILb0ELb1EjNS0_19identity_decomposerEEEEE10hipError_tT0_T1_T2_jT3_P12ihipStream_tbPNSt15iterator_traitsISK_E10value_typeEPNSQ_ISL_E10value_typeEPSM_NS1_7vsmem_tEENKUlT_SK_SL_SM_E_clIPjSE_SF_SF_EESJ_SZ_SK_SL_SM_EUlSZ_E0_NS1_11comp_targetILNS1_3genE4ELNS1_11target_archE910ELNS1_3gpuE8ELNS1_3repE0EEENS1_38merge_mergepath_config_static_selectorELNS0_4arch9wavefront6targetE1EEEvSL_
	.globl	_ZN7rocprim17ROCPRIM_400000_NS6detail17trampoline_kernelINS0_14default_configENS1_38merge_sort_block_merge_config_selectorIjNS0_10empty_typeEEEZZNS1_27merge_sort_block_merge_implIS3_N6thrust23THRUST_200600_302600_NS6detail15normal_iteratorINS9_10device_ptrIjEEEEPS5_jNS1_19radix_merge_compareILb0ELb1EjNS0_19identity_decomposerEEEEE10hipError_tT0_T1_T2_jT3_P12ihipStream_tbPNSt15iterator_traitsISK_E10value_typeEPNSQ_ISL_E10value_typeEPSM_NS1_7vsmem_tEENKUlT_SK_SL_SM_E_clIPjSE_SF_SF_EESJ_SZ_SK_SL_SM_EUlSZ_E0_NS1_11comp_targetILNS1_3genE4ELNS1_11target_archE910ELNS1_3gpuE8ELNS1_3repE0EEENS1_38merge_mergepath_config_static_selectorELNS0_4arch9wavefront6targetE1EEEvSL_
	.p2align	8
	.type	_ZN7rocprim17ROCPRIM_400000_NS6detail17trampoline_kernelINS0_14default_configENS1_38merge_sort_block_merge_config_selectorIjNS0_10empty_typeEEEZZNS1_27merge_sort_block_merge_implIS3_N6thrust23THRUST_200600_302600_NS6detail15normal_iteratorINS9_10device_ptrIjEEEEPS5_jNS1_19radix_merge_compareILb0ELb1EjNS0_19identity_decomposerEEEEE10hipError_tT0_T1_T2_jT3_P12ihipStream_tbPNSt15iterator_traitsISK_E10value_typeEPNSQ_ISL_E10value_typeEPSM_NS1_7vsmem_tEENKUlT_SK_SL_SM_E_clIPjSE_SF_SF_EESJ_SZ_SK_SL_SM_EUlSZ_E0_NS1_11comp_targetILNS1_3genE4ELNS1_11target_archE910ELNS1_3gpuE8ELNS1_3repE0EEENS1_38merge_mergepath_config_static_selectorELNS0_4arch9wavefront6targetE1EEEvSL_,@function
_ZN7rocprim17ROCPRIM_400000_NS6detail17trampoline_kernelINS0_14default_configENS1_38merge_sort_block_merge_config_selectorIjNS0_10empty_typeEEEZZNS1_27merge_sort_block_merge_implIS3_N6thrust23THRUST_200600_302600_NS6detail15normal_iteratorINS9_10device_ptrIjEEEEPS5_jNS1_19radix_merge_compareILb0ELb1EjNS0_19identity_decomposerEEEEE10hipError_tT0_T1_T2_jT3_P12ihipStream_tbPNSt15iterator_traitsISK_E10value_typeEPNSQ_ISL_E10value_typeEPSM_NS1_7vsmem_tEENKUlT_SK_SL_SM_E_clIPjSE_SF_SF_EESJ_SZ_SK_SL_SM_EUlSZ_E0_NS1_11comp_targetILNS1_3genE4ELNS1_11target_archE910ELNS1_3gpuE8ELNS1_3repE0EEENS1_38merge_mergepath_config_static_selectorELNS0_4arch9wavefront6targetE1EEEvSL_: ; @_ZN7rocprim17ROCPRIM_400000_NS6detail17trampoline_kernelINS0_14default_configENS1_38merge_sort_block_merge_config_selectorIjNS0_10empty_typeEEEZZNS1_27merge_sort_block_merge_implIS3_N6thrust23THRUST_200600_302600_NS6detail15normal_iteratorINS9_10device_ptrIjEEEEPS5_jNS1_19radix_merge_compareILb0ELb1EjNS0_19identity_decomposerEEEEE10hipError_tT0_T1_T2_jT3_P12ihipStream_tbPNSt15iterator_traitsISK_E10value_typeEPNSQ_ISL_E10value_typeEPSM_NS1_7vsmem_tEENKUlT_SK_SL_SM_E_clIPjSE_SF_SF_EESJ_SZ_SK_SL_SM_EUlSZ_E0_NS1_11comp_targetILNS1_3genE4ELNS1_11target_archE910ELNS1_3gpuE8ELNS1_3repE0EEENS1_38merge_mergepath_config_static_selectorELNS0_4arch9wavefront6targetE1EEEvSL_
; %bb.0:
	.section	.rodata,"a",@progbits
	.p2align	6, 0x0
	.amdhsa_kernel _ZN7rocprim17ROCPRIM_400000_NS6detail17trampoline_kernelINS0_14default_configENS1_38merge_sort_block_merge_config_selectorIjNS0_10empty_typeEEEZZNS1_27merge_sort_block_merge_implIS3_N6thrust23THRUST_200600_302600_NS6detail15normal_iteratorINS9_10device_ptrIjEEEEPS5_jNS1_19radix_merge_compareILb0ELb1EjNS0_19identity_decomposerEEEEE10hipError_tT0_T1_T2_jT3_P12ihipStream_tbPNSt15iterator_traitsISK_E10value_typeEPNSQ_ISL_E10value_typeEPSM_NS1_7vsmem_tEENKUlT_SK_SL_SM_E_clIPjSE_SF_SF_EESJ_SZ_SK_SL_SM_EUlSZ_E0_NS1_11comp_targetILNS1_3genE4ELNS1_11target_archE910ELNS1_3gpuE8ELNS1_3repE0EEENS1_38merge_mergepath_config_static_selectorELNS0_4arch9wavefront6targetE1EEEvSL_
		.amdhsa_group_segment_fixed_size 0
		.amdhsa_private_segment_fixed_size 0
		.amdhsa_kernarg_size 64
		.amdhsa_user_sgpr_count 2
		.amdhsa_user_sgpr_dispatch_ptr 0
		.amdhsa_user_sgpr_queue_ptr 0
		.amdhsa_user_sgpr_kernarg_segment_ptr 1
		.amdhsa_user_sgpr_dispatch_id 0
		.amdhsa_user_sgpr_kernarg_preload_length 0
		.amdhsa_user_sgpr_kernarg_preload_offset 0
		.amdhsa_user_sgpr_private_segment_size 0
		.amdhsa_uses_dynamic_stack 0
		.amdhsa_enable_private_segment 0
		.amdhsa_system_sgpr_workgroup_id_x 1
		.amdhsa_system_sgpr_workgroup_id_y 0
		.amdhsa_system_sgpr_workgroup_id_z 0
		.amdhsa_system_sgpr_workgroup_info 0
		.amdhsa_system_vgpr_workitem_id 0
		.amdhsa_next_free_vgpr 1
		.amdhsa_next_free_sgpr 0
		.amdhsa_accum_offset 4
		.amdhsa_reserve_vcc 0
		.amdhsa_float_round_mode_32 0
		.amdhsa_float_round_mode_16_64 0
		.amdhsa_float_denorm_mode_32 3
		.amdhsa_float_denorm_mode_16_64 3
		.amdhsa_dx10_clamp 1
		.amdhsa_ieee_mode 1
		.amdhsa_fp16_overflow 0
		.amdhsa_tg_split 0
		.amdhsa_exception_fp_ieee_invalid_op 0
		.amdhsa_exception_fp_denorm_src 0
		.amdhsa_exception_fp_ieee_div_zero 0
		.amdhsa_exception_fp_ieee_overflow 0
		.amdhsa_exception_fp_ieee_underflow 0
		.amdhsa_exception_fp_ieee_inexact 0
		.amdhsa_exception_int_div_zero 0
	.end_amdhsa_kernel
	.section	.text._ZN7rocprim17ROCPRIM_400000_NS6detail17trampoline_kernelINS0_14default_configENS1_38merge_sort_block_merge_config_selectorIjNS0_10empty_typeEEEZZNS1_27merge_sort_block_merge_implIS3_N6thrust23THRUST_200600_302600_NS6detail15normal_iteratorINS9_10device_ptrIjEEEEPS5_jNS1_19radix_merge_compareILb0ELb1EjNS0_19identity_decomposerEEEEE10hipError_tT0_T1_T2_jT3_P12ihipStream_tbPNSt15iterator_traitsISK_E10value_typeEPNSQ_ISL_E10value_typeEPSM_NS1_7vsmem_tEENKUlT_SK_SL_SM_E_clIPjSE_SF_SF_EESJ_SZ_SK_SL_SM_EUlSZ_E0_NS1_11comp_targetILNS1_3genE4ELNS1_11target_archE910ELNS1_3gpuE8ELNS1_3repE0EEENS1_38merge_mergepath_config_static_selectorELNS0_4arch9wavefront6targetE1EEEvSL_,"axG",@progbits,_ZN7rocprim17ROCPRIM_400000_NS6detail17trampoline_kernelINS0_14default_configENS1_38merge_sort_block_merge_config_selectorIjNS0_10empty_typeEEEZZNS1_27merge_sort_block_merge_implIS3_N6thrust23THRUST_200600_302600_NS6detail15normal_iteratorINS9_10device_ptrIjEEEEPS5_jNS1_19radix_merge_compareILb0ELb1EjNS0_19identity_decomposerEEEEE10hipError_tT0_T1_T2_jT3_P12ihipStream_tbPNSt15iterator_traitsISK_E10value_typeEPNSQ_ISL_E10value_typeEPSM_NS1_7vsmem_tEENKUlT_SK_SL_SM_E_clIPjSE_SF_SF_EESJ_SZ_SK_SL_SM_EUlSZ_E0_NS1_11comp_targetILNS1_3genE4ELNS1_11target_archE910ELNS1_3gpuE8ELNS1_3repE0EEENS1_38merge_mergepath_config_static_selectorELNS0_4arch9wavefront6targetE1EEEvSL_,comdat
.Lfunc_end1037:
	.size	_ZN7rocprim17ROCPRIM_400000_NS6detail17trampoline_kernelINS0_14default_configENS1_38merge_sort_block_merge_config_selectorIjNS0_10empty_typeEEEZZNS1_27merge_sort_block_merge_implIS3_N6thrust23THRUST_200600_302600_NS6detail15normal_iteratorINS9_10device_ptrIjEEEEPS5_jNS1_19radix_merge_compareILb0ELb1EjNS0_19identity_decomposerEEEEE10hipError_tT0_T1_T2_jT3_P12ihipStream_tbPNSt15iterator_traitsISK_E10value_typeEPNSQ_ISL_E10value_typeEPSM_NS1_7vsmem_tEENKUlT_SK_SL_SM_E_clIPjSE_SF_SF_EESJ_SZ_SK_SL_SM_EUlSZ_E0_NS1_11comp_targetILNS1_3genE4ELNS1_11target_archE910ELNS1_3gpuE8ELNS1_3repE0EEENS1_38merge_mergepath_config_static_selectorELNS0_4arch9wavefront6targetE1EEEvSL_, .Lfunc_end1037-_ZN7rocprim17ROCPRIM_400000_NS6detail17trampoline_kernelINS0_14default_configENS1_38merge_sort_block_merge_config_selectorIjNS0_10empty_typeEEEZZNS1_27merge_sort_block_merge_implIS3_N6thrust23THRUST_200600_302600_NS6detail15normal_iteratorINS9_10device_ptrIjEEEEPS5_jNS1_19radix_merge_compareILb0ELb1EjNS0_19identity_decomposerEEEEE10hipError_tT0_T1_T2_jT3_P12ihipStream_tbPNSt15iterator_traitsISK_E10value_typeEPNSQ_ISL_E10value_typeEPSM_NS1_7vsmem_tEENKUlT_SK_SL_SM_E_clIPjSE_SF_SF_EESJ_SZ_SK_SL_SM_EUlSZ_E0_NS1_11comp_targetILNS1_3genE4ELNS1_11target_archE910ELNS1_3gpuE8ELNS1_3repE0EEENS1_38merge_mergepath_config_static_selectorELNS0_4arch9wavefront6targetE1EEEvSL_
                                        ; -- End function
	.section	.AMDGPU.csdata,"",@progbits
; Kernel info:
; codeLenInByte = 0
; NumSgprs: 6
; NumVgprs: 0
; NumAgprs: 0
; TotalNumVgprs: 0
; ScratchSize: 0
; MemoryBound: 0
; FloatMode: 240
; IeeeMode: 1
; LDSByteSize: 0 bytes/workgroup (compile time only)
; SGPRBlocks: 0
; VGPRBlocks: 0
; NumSGPRsForWavesPerEU: 6
; NumVGPRsForWavesPerEU: 1
; AccumOffset: 4
; Occupancy: 8
; WaveLimiterHint : 0
; COMPUTE_PGM_RSRC2:SCRATCH_EN: 0
; COMPUTE_PGM_RSRC2:USER_SGPR: 2
; COMPUTE_PGM_RSRC2:TRAP_HANDLER: 0
; COMPUTE_PGM_RSRC2:TGID_X_EN: 1
; COMPUTE_PGM_RSRC2:TGID_Y_EN: 0
; COMPUTE_PGM_RSRC2:TGID_Z_EN: 0
; COMPUTE_PGM_RSRC2:TIDIG_COMP_CNT: 0
; COMPUTE_PGM_RSRC3_GFX90A:ACCUM_OFFSET: 0
; COMPUTE_PGM_RSRC3_GFX90A:TG_SPLIT: 0
	.section	.text._ZN7rocprim17ROCPRIM_400000_NS6detail17trampoline_kernelINS0_14default_configENS1_38merge_sort_block_merge_config_selectorIjNS0_10empty_typeEEEZZNS1_27merge_sort_block_merge_implIS3_N6thrust23THRUST_200600_302600_NS6detail15normal_iteratorINS9_10device_ptrIjEEEEPS5_jNS1_19radix_merge_compareILb0ELb1EjNS0_19identity_decomposerEEEEE10hipError_tT0_T1_T2_jT3_P12ihipStream_tbPNSt15iterator_traitsISK_E10value_typeEPNSQ_ISL_E10value_typeEPSM_NS1_7vsmem_tEENKUlT_SK_SL_SM_E_clIPjSE_SF_SF_EESJ_SZ_SK_SL_SM_EUlSZ_E0_NS1_11comp_targetILNS1_3genE3ELNS1_11target_archE908ELNS1_3gpuE7ELNS1_3repE0EEENS1_38merge_mergepath_config_static_selectorELNS0_4arch9wavefront6targetE1EEEvSL_,"axG",@progbits,_ZN7rocprim17ROCPRIM_400000_NS6detail17trampoline_kernelINS0_14default_configENS1_38merge_sort_block_merge_config_selectorIjNS0_10empty_typeEEEZZNS1_27merge_sort_block_merge_implIS3_N6thrust23THRUST_200600_302600_NS6detail15normal_iteratorINS9_10device_ptrIjEEEEPS5_jNS1_19radix_merge_compareILb0ELb1EjNS0_19identity_decomposerEEEEE10hipError_tT0_T1_T2_jT3_P12ihipStream_tbPNSt15iterator_traitsISK_E10value_typeEPNSQ_ISL_E10value_typeEPSM_NS1_7vsmem_tEENKUlT_SK_SL_SM_E_clIPjSE_SF_SF_EESJ_SZ_SK_SL_SM_EUlSZ_E0_NS1_11comp_targetILNS1_3genE3ELNS1_11target_archE908ELNS1_3gpuE7ELNS1_3repE0EEENS1_38merge_mergepath_config_static_selectorELNS0_4arch9wavefront6targetE1EEEvSL_,comdat
	.protected	_ZN7rocprim17ROCPRIM_400000_NS6detail17trampoline_kernelINS0_14default_configENS1_38merge_sort_block_merge_config_selectorIjNS0_10empty_typeEEEZZNS1_27merge_sort_block_merge_implIS3_N6thrust23THRUST_200600_302600_NS6detail15normal_iteratorINS9_10device_ptrIjEEEEPS5_jNS1_19radix_merge_compareILb0ELb1EjNS0_19identity_decomposerEEEEE10hipError_tT0_T1_T2_jT3_P12ihipStream_tbPNSt15iterator_traitsISK_E10value_typeEPNSQ_ISL_E10value_typeEPSM_NS1_7vsmem_tEENKUlT_SK_SL_SM_E_clIPjSE_SF_SF_EESJ_SZ_SK_SL_SM_EUlSZ_E0_NS1_11comp_targetILNS1_3genE3ELNS1_11target_archE908ELNS1_3gpuE7ELNS1_3repE0EEENS1_38merge_mergepath_config_static_selectorELNS0_4arch9wavefront6targetE1EEEvSL_ ; -- Begin function _ZN7rocprim17ROCPRIM_400000_NS6detail17trampoline_kernelINS0_14default_configENS1_38merge_sort_block_merge_config_selectorIjNS0_10empty_typeEEEZZNS1_27merge_sort_block_merge_implIS3_N6thrust23THRUST_200600_302600_NS6detail15normal_iteratorINS9_10device_ptrIjEEEEPS5_jNS1_19radix_merge_compareILb0ELb1EjNS0_19identity_decomposerEEEEE10hipError_tT0_T1_T2_jT3_P12ihipStream_tbPNSt15iterator_traitsISK_E10value_typeEPNSQ_ISL_E10value_typeEPSM_NS1_7vsmem_tEENKUlT_SK_SL_SM_E_clIPjSE_SF_SF_EESJ_SZ_SK_SL_SM_EUlSZ_E0_NS1_11comp_targetILNS1_3genE3ELNS1_11target_archE908ELNS1_3gpuE7ELNS1_3repE0EEENS1_38merge_mergepath_config_static_selectorELNS0_4arch9wavefront6targetE1EEEvSL_
	.globl	_ZN7rocprim17ROCPRIM_400000_NS6detail17trampoline_kernelINS0_14default_configENS1_38merge_sort_block_merge_config_selectorIjNS0_10empty_typeEEEZZNS1_27merge_sort_block_merge_implIS3_N6thrust23THRUST_200600_302600_NS6detail15normal_iteratorINS9_10device_ptrIjEEEEPS5_jNS1_19radix_merge_compareILb0ELb1EjNS0_19identity_decomposerEEEEE10hipError_tT0_T1_T2_jT3_P12ihipStream_tbPNSt15iterator_traitsISK_E10value_typeEPNSQ_ISL_E10value_typeEPSM_NS1_7vsmem_tEENKUlT_SK_SL_SM_E_clIPjSE_SF_SF_EESJ_SZ_SK_SL_SM_EUlSZ_E0_NS1_11comp_targetILNS1_3genE3ELNS1_11target_archE908ELNS1_3gpuE7ELNS1_3repE0EEENS1_38merge_mergepath_config_static_selectorELNS0_4arch9wavefront6targetE1EEEvSL_
	.p2align	8
	.type	_ZN7rocprim17ROCPRIM_400000_NS6detail17trampoline_kernelINS0_14default_configENS1_38merge_sort_block_merge_config_selectorIjNS0_10empty_typeEEEZZNS1_27merge_sort_block_merge_implIS3_N6thrust23THRUST_200600_302600_NS6detail15normal_iteratorINS9_10device_ptrIjEEEEPS5_jNS1_19radix_merge_compareILb0ELb1EjNS0_19identity_decomposerEEEEE10hipError_tT0_T1_T2_jT3_P12ihipStream_tbPNSt15iterator_traitsISK_E10value_typeEPNSQ_ISL_E10value_typeEPSM_NS1_7vsmem_tEENKUlT_SK_SL_SM_E_clIPjSE_SF_SF_EESJ_SZ_SK_SL_SM_EUlSZ_E0_NS1_11comp_targetILNS1_3genE3ELNS1_11target_archE908ELNS1_3gpuE7ELNS1_3repE0EEENS1_38merge_mergepath_config_static_selectorELNS0_4arch9wavefront6targetE1EEEvSL_,@function
_ZN7rocprim17ROCPRIM_400000_NS6detail17trampoline_kernelINS0_14default_configENS1_38merge_sort_block_merge_config_selectorIjNS0_10empty_typeEEEZZNS1_27merge_sort_block_merge_implIS3_N6thrust23THRUST_200600_302600_NS6detail15normal_iteratorINS9_10device_ptrIjEEEEPS5_jNS1_19radix_merge_compareILb0ELb1EjNS0_19identity_decomposerEEEEE10hipError_tT0_T1_T2_jT3_P12ihipStream_tbPNSt15iterator_traitsISK_E10value_typeEPNSQ_ISL_E10value_typeEPSM_NS1_7vsmem_tEENKUlT_SK_SL_SM_E_clIPjSE_SF_SF_EESJ_SZ_SK_SL_SM_EUlSZ_E0_NS1_11comp_targetILNS1_3genE3ELNS1_11target_archE908ELNS1_3gpuE7ELNS1_3repE0EEENS1_38merge_mergepath_config_static_selectorELNS0_4arch9wavefront6targetE1EEEvSL_: ; @_ZN7rocprim17ROCPRIM_400000_NS6detail17trampoline_kernelINS0_14default_configENS1_38merge_sort_block_merge_config_selectorIjNS0_10empty_typeEEEZZNS1_27merge_sort_block_merge_implIS3_N6thrust23THRUST_200600_302600_NS6detail15normal_iteratorINS9_10device_ptrIjEEEEPS5_jNS1_19radix_merge_compareILb0ELb1EjNS0_19identity_decomposerEEEEE10hipError_tT0_T1_T2_jT3_P12ihipStream_tbPNSt15iterator_traitsISK_E10value_typeEPNSQ_ISL_E10value_typeEPSM_NS1_7vsmem_tEENKUlT_SK_SL_SM_E_clIPjSE_SF_SF_EESJ_SZ_SK_SL_SM_EUlSZ_E0_NS1_11comp_targetILNS1_3genE3ELNS1_11target_archE908ELNS1_3gpuE7ELNS1_3repE0EEENS1_38merge_mergepath_config_static_selectorELNS0_4arch9wavefront6targetE1EEEvSL_
; %bb.0:
	.section	.rodata,"a",@progbits
	.p2align	6, 0x0
	.amdhsa_kernel _ZN7rocprim17ROCPRIM_400000_NS6detail17trampoline_kernelINS0_14default_configENS1_38merge_sort_block_merge_config_selectorIjNS0_10empty_typeEEEZZNS1_27merge_sort_block_merge_implIS3_N6thrust23THRUST_200600_302600_NS6detail15normal_iteratorINS9_10device_ptrIjEEEEPS5_jNS1_19radix_merge_compareILb0ELb1EjNS0_19identity_decomposerEEEEE10hipError_tT0_T1_T2_jT3_P12ihipStream_tbPNSt15iterator_traitsISK_E10value_typeEPNSQ_ISL_E10value_typeEPSM_NS1_7vsmem_tEENKUlT_SK_SL_SM_E_clIPjSE_SF_SF_EESJ_SZ_SK_SL_SM_EUlSZ_E0_NS1_11comp_targetILNS1_3genE3ELNS1_11target_archE908ELNS1_3gpuE7ELNS1_3repE0EEENS1_38merge_mergepath_config_static_selectorELNS0_4arch9wavefront6targetE1EEEvSL_
		.amdhsa_group_segment_fixed_size 0
		.amdhsa_private_segment_fixed_size 0
		.amdhsa_kernarg_size 64
		.amdhsa_user_sgpr_count 2
		.amdhsa_user_sgpr_dispatch_ptr 0
		.amdhsa_user_sgpr_queue_ptr 0
		.amdhsa_user_sgpr_kernarg_segment_ptr 1
		.amdhsa_user_sgpr_dispatch_id 0
		.amdhsa_user_sgpr_kernarg_preload_length 0
		.amdhsa_user_sgpr_kernarg_preload_offset 0
		.amdhsa_user_sgpr_private_segment_size 0
		.amdhsa_uses_dynamic_stack 0
		.amdhsa_enable_private_segment 0
		.amdhsa_system_sgpr_workgroup_id_x 1
		.amdhsa_system_sgpr_workgroup_id_y 0
		.amdhsa_system_sgpr_workgroup_id_z 0
		.amdhsa_system_sgpr_workgroup_info 0
		.amdhsa_system_vgpr_workitem_id 0
		.amdhsa_next_free_vgpr 1
		.amdhsa_next_free_sgpr 0
		.amdhsa_accum_offset 4
		.amdhsa_reserve_vcc 0
		.amdhsa_float_round_mode_32 0
		.amdhsa_float_round_mode_16_64 0
		.amdhsa_float_denorm_mode_32 3
		.amdhsa_float_denorm_mode_16_64 3
		.amdhsa_dx10_clamp 1
		.amdhsa_ieee_mode 1
		.amdhsa_fp16_overflow 0
		.amdhsa_tg_split 0
		.amdhsa_exception_fp_ieee_invalid_op 0
		.amdhsa_exception_fp_denorm_src 0
		.amdhsa_exception_fp_ieee_div_zero 0
		.amdhsa_exception_fp_ieee_overflow 0
		.amdhsa_exception_fp_ieee_underflow 0
		.amdhsa_exception_fp_ieee_inexact 0
		.amdhsa_exception_int_div_zero 0
	.end_amdhsa_kernel
	.section	.text._ZN7rocprim17ROCPRIM_400000_NS6detail17trampoline_kernelINS0_14default_configENS1_38merge_sort_block_merge_config_selectorIjNS0_10empty_typeEEEZZNS1_27merge_sort_block_merge_implIS3_N6thrust23THRUST_200600_302600_NS6detail15normal_iteratorINS9_10device_ptrIjEEEEPS5_jNS1_19radix_merge_compareILb0ELb1EjNS0_19identity_decomposerEEEEE10hipError_tT0_T1_T2_jT3_P12ihipStream_tbPNSt15iterator_traitsISK_E10value_typeEPNSQ_ISL_E10value_typeEPSM_NS1_7vsmem_tEENKUlT_SK_SL_SM_E_clIPjSE_SF_SF_EESJ_SZ_SK_SL_SM_EUlSZ_E0_NS1_11comp_targetILNS1_3genE3ELNS1_11target_archE908ELNS1_3gpuE7ELNS1_3repE0EEENS1_38merge_mergepath_config_static_selectorELNS0_4arch9wavefront6targetE1EEEvSL_,"axG",@progbits,_ZN7rocprim17ROCPRIM_400000_NS6detail17trampoline_kernelINS0_14default_configENS1_38merge_sort_block_merge_config_selectorIjNS0_10empty_typeEEEZZNS1_27merge_sort_block_merge_implIS3_N6thrust23THRUST_200600_302600_NS6detail15normal_iteratorINS9_10device_ptrIjEEEEPS5_jNS1_19radix_merge_compareILb0ELb1EjNS0_19identity_decomposerEEEEE10hipError_tT0_T1_T2_jT3_P12ihipStream_tbPNSt15iterator_traitsISK_E10value_typeEPNSQ_ISL_E10value_typeEPSM_NS1_7vsmem_tEENKUlT_SK_SL_SM_E_clIPjSE_SF_SF_EESJ_SZ_SK_SL_SM_EUlSZ_E0_NS1_11comp_targetILNS1_3genE3ELNS1_11target_archE908ELNS1_3gpuE7ELNS1_3repE0EEENS1_38merge_mergepath_config_static_selectorELNS0_4arch9wavefront6targetE1EEEvSL_,comdat
.Lfunc_end1038:
	.size	_ZN7rocprim17ROCPRIM_400000_NS6detail17trampoline_kernelINS0_14default_configENS1_38merge_sort_block_merge_config_selectorIjNS0_10empty_typeEEEZZNS1_27merge_sort_block_merge_implIS3_N6thrust23THRUST_200600_302600_NS6detail15normal_iteratorINS9_10device_ptrIjEEEEPS5_jNS1_19radix_merge_compareILb0ELb1EjNS0_19identity_decomposerEEEEE10hipError_tT0_T1_T2_jT3_P12ihipStream_tbPNSt15iterator_traitsISK_E10value_typeEPNSQ_ISL_E10value_typeEPSM_NS1_7vsmem_tEENKUlT_SK_SL_SM_E_clIPjSE_SF_SF_EESJ_SZ_SK_SL_SM_EUlSZ_E0_NS1_11comp_targetILNS1_3genE3ELNS1_11target_archE908ELNS1_3gpuE7ELNS1_3repE0EEENS1_38merge_mergepath_config_static_selectorELNS0_4arch9wavefront6targetE1EEEvSL_, .Lfunc_end1038-_ZN7rocprim17ROCPRIM_400000_NS6detail17trampoline_kernelINS0_14default_configENS1_38merge_sort_block_merge_config_selectorIjNS0_10empty_typeEEEZZNS1_27merge_sort_block_merge_implIS3_N6thrust23THRUST_200600_302600_NS6detail15normal_iteratorINS9_10device_ptrIjEEEEPS5_jNS1_19radix_merge_compareILb0ELb1EjNS0_19identity_decomposerEEEEE10hipError_tT0_T1_T2_jT3_P12ihipStream_tbPNSt15iterator_traitsISK_E10value_typeEPNSQ_ISL_E10value_typeEPSM_NS1_7vsmem_tEENKUlT_SK_SL_SM_E_clIPjSE_SF_SF_EESJ_SZ_SK_SL_SM_EUlSZ_E0_NS1_11comp_targetILNS1_3genE3ELNS1_11target_archE908ELNS1_3gpuE7ELNS1_3repE0EEENS1_38merge_mergepath_config_static_selectorELNS0_4arch9wavefront6targetE1EEEvSL_
                                        ; -- End function
	.section	.AMDGPU.csdata,"",@progbits
; Kernel info:
; codeLenInByte = 0
; NumSgprs: 6
; NumVgprs: 0
; NumAgprs: 0
; TotalNumVgprs: 0
; ScratchSize: 0
; MemoryBound: 0
; FloatMode: 240
; IeeeMode: 1
; LDSByteSize: 0 bytes/workgroup (compile time only)
; SGPRBlocks: 0
; VGPRBlocks: 0
; NumSGPRsForWavesPerEU: 6
; NumVGPRsForWavesPerEU: 1
; AccumOffset: 4
; Occupancy: 8
; WaveLimiterHint : 0
; COMPUTE_PGM_RSRC2:SCRATCH_EN: 0
; COMPUTE_PGM_RSRC2:USER_SGPR: 2
; COMPUTE_PGM_RSRC2:TRAP_HANDLER: 0
; COMPUTE_PGM_RSRC2:TGID_X_EN: 1
; COMPUTE_PGM_RSRC2:TGID_Y_EN: 0
; COMPUTE_PGM_RSRC2:TGID_Z_EN: 0
; COMPUTE_PGM_RSRC2:TIDIG_COMP_CNT: 0
; COMPUTE_PGM_RSRC3_GFX90A:ACCUM_OFFSET: 0
; COMPUTE_PGM_RSRC3_GFX90A:TG_SPLIT: 0
	.section	.text._ZN7rocprim17ROCPRIM_400000_NS6detail17trampoline_kernelINS0_14default_configENS1_38merge_sort_block_merge_config_selectorIjNS0_10empty_typeEEEZZNS1_27merge_sort_block_merge_implIS3_N6thrust23THRUST_200600_302600_NS6detail15normal_iteratorINS9_10device_ptrIjEEEEPS5_jNS1_19radix_merge_compareILb0ELb1EjNS0_19identity_decomposerEEEEE10hipError_tT0_T1_T2_jT3_P12ihipStream_tbPNSt15iterator_traitsISK_E10value_typeEPNSQ_ISL_E10value_typeEPSM_NS1_7vsmem_tEENKUlT_SK_SL_SM_E_clIPjSE_SF_SF_EESJ_SZ_SK_SL_SM_EUlSZ_E0_NS1_11comp_targetILNS1_3genE2ELNS1_11target_archE906ELNS1_3gpuE6ELNS1_3repE0EEENS1_38merge_mergepath_config_static_selectorELNS0_4arch9wavefront6targetE1EEEvSL_,"axG",@progbits,_ZN7rocprim17ROCPRIM_400000_NS6detail17trampoline_kernelINS0_14default_configENS1_38merge_sort_block_merge_config_selectorIjNS0_10empty_typeEEEZZNS1_27merge_sort_block_merge_implIS3_N6thrust23THRUST_200600_302600_NS6detail15normal_iteratorINS9_10device_ptrIjEEEEPS5_jNS1_19radix_merge_compareILb0ELb1EjNS0_19identity_decomposerEEEEE10hipError_tT0_T1_T2_jT3_P12ihipStream_tbPNSt15iterator_traitsISK_E10value_typeEPNSQ_ISL_E10value_typeEPSM_NS1_7vsmem_tEENKUlT_SK_SL_SM_E_clIPjSE_SF_SF_EESJ_SZ_SK_SL_SM_EUlSZ_E0_NS1_11comp_targetILNS1_3genE2ELNS1_11target_archE906ELNS1_3gpuE6ELNS1_3repE0EEENS1_38merge_mergepath_config_static_selectorELNS0_4arch9wavefront6targetE1EEEvSL_,comdat
	.protected	_ZN7rocprim17ROCPRIM_400000_NS6detail17trampoline_kernelINS0_14default_configENS1_38merge_sort_block_merge_config_selectorIjNS0_10empty_typeEEEZZNS1_27merge_sort_block_merge_implIS3_N6thrust23THRUST_200600_302600_NS6detail15normal_iteratorINS9_10device_ptrIjEEEEPS5_jNS1_19radix_merge_compareILb0ELb1EjNS0_19identity_decomposerEEEEE10hipError_tT0_T1_T2_jT3_P12ihipStream_tbPNSt15iterator_traitsISK_E10value_typeEPNSQ_ISL_E10value_typeEPSM_NS1_7vsmem_tEENKUlT_SK_SL_SM_E_clIPjSE_SF_SF_EESJ_SZ_SK_SL_SM_EUlSZ_E0_NS1_11comp_targetILNS1_3genE2ELNS1_11target_archE906ELNS1_3gpuE6ELNS1_3repE0EEENS1_38merge_mergepath_config_static_selectorELNS0_4arch9wavefront6targetE1EEEvSL_ ; -- Begin function _ZN7rocprim17ROCPRIM_400000_NS6detail17trampoline_kernelINS0_14default_configENS1_38merge_sort_block_merge_config_selectorIjNS0_10empty_typeEEEZZNS1_27merge_sort_block_merge_implIS3_N6thrust23THRUST_200600_302600_NS6detail15normal_iteratorINS9_10device_ptrIjEEEEPS5_jNS1_19radix_merge_compareILb0ELb1EjNS0_19identity_decomposerEEEEE10hipError_tT0_T1_T2_jT3_P12ihipStream_tbPNSt15iterator_traitsISK_E10value_typeEPNSQ_ISL_E10value_typeEPSM_NS1_7vsmem_tEENKUlT_SK_SL_SM_E_clIPjSE_SF_SF_EESJ_SZ_SK_SL_SM_EUlSZ_E0_NS1_11comp_targetILNS1_3genE2ELNS1_11target_archE906ELNS1_3gpuE6ELNS1_3repE0EEENS1_38merge_mergepath_config_static_selectorELNS0_4arch9wavefront6targetE1EEEvSL_
	.globl	_ZN7rocprim17ROCPRIM_400000_NS6detail17trampoline_kernelINS0_14default_configENS1_38merge_sort_block_merge_config_selectorIjNS0_10empty_typeEEEZZNS1_27merge_sort_block_merge_implIS3_N6thrust23THRUST_200600_302600_NS6detail15normal_iteratorINS9_10device_ptrIjEEEEPS5_jNS1_19radix_merge_compareILb0ELb1EjNS0_19identity_decomposerEEEEE10hipError_tT0_T1_T2_jT3_P12ihipStream_tbPNSt15iterator_traitsISK_E10value_typeEPNSQ_ISL_E10value_typeEPSM_NS1_7vsmem_tEENKUlT_SK_SL_SM_E_clIPjSE_SF_SF_EESJ_SZ_SK_SL_SM_EUlSZ_E0_NS1_11comp_targetILNS1_3genE2ELNS1_11target_archE906ELNS1_3gpuE6ELNS1_3repE0EEENS1_38merge_mergepath_config_static_selectorELNS0_4arch9wavefront6targetE1EEEvSL_
	.p2align	8
	.type	_ZN7rocprim17ROCPRIM_400000_NS6detail17trampoline_kernelINS0_14default_configENS1_38merge_sort_block_merge_config_selectorIjNS0_10empty_typeEEEZZNS1_27merge_sort_block_merge_implIS3_N6thrust23THRUST_200600_302600_NS6detail15normal_iteratorINS9_10device_ptrIjEEEEPS5_jNS1_19radix_merge_compareILb0ELb1EjNS0_19identity_decomposerEEEEE10hipError_tT0_T1_T2_jT3_P12ihipStream_tbPNSt15iterator_traitsISK_E10value_typeEPNSQ_ISL_E10value_typeEPSM_NS1_7vsmem_tEENKUlT_SK_SL_SM_E_clIPjSE_SF_SF_EESJ_SZ_SK_SL_SM_EUlSZ_E0_NS1_11comp_targetILNS1_3genE2ELNS1_11target_archE906ELNS1_3gpuE6ELNS1_3repE0EEENS1_38merge_mergepath_config_static_selectorELNS0_4arch9wavefront6targetE1EEEvSL_,@function
_ZN7rocprim17ROCPRIM_400000_NS6detail17trampoline_kernelINS0_14default_configENS1_38merge_sort_block_merge_config_selectorIjNS0_10empty_typeEEEZZNS1_27merge_sort_block_merge_implIS3_N6thrust23THRUST_200600_302600_NS6detail15normal_iteratorINS9_10device_ptrIjEEEEPS5_jNS1_19radix_merge_compareILb0ELb1EjNS0_19identity_decomposerEEEEE10hipError_tT0_T1_T2_jT3_P12ihipStream_tbPNSt15iterator_traitsISK_E10value_typeEPNSQ_ISL_E10value_typeEPSM_NS1_7vsmem_tEENKUlT_SK_SL_SM_E_clIPjSE_SF_SF_EESJ_SZ_SK_SL_SM_EUlSZ_E0_NS1_11comp_targetILNS1_3genE2ELNS1_11target_archE906ELNS1_3gpuE6ELNS1_3repE0EEENS1_38merge_mergepath_config_static_selectorELNS0_4arch9wavefront6targetE1EEEvSL_: ; @_ZN7rocprim17ROCPRIM_400000_NS6detail17trampoline_kernelINS0_14default_configENS1_38merge_sort_block_merge_config_selectorIjNS0_10empty_typeEEEZZNS1_27merge_sort_block_merge_implIS3_N6thrust23THRUST_200600_302600_NS6detail15normal_iteratorINS9_10device_ptrIjEEEEPS5_jNS1_19radix_merge_compareILb0ELb1EjNS0_19identity_decomposerEEEEE10hipError_tT0_T1_T2_jT3_P12ihipStream_tbPNSt15iterator_traitsISK_E10value_typeEPNSQ_ISL_E10value_typeEPSM_NS1_7vsmem_tEENKUlT_SK_SL_SM_E_clIPjSE_SF_SF_EESJ_SZ_SK_SL_SM_EUlSZ_E0_NS1_11comp_targetILNS1_3genE2ELNS1_11target_archE906ELNS1_3gpuE6ELNS1_3repE0EEENS1_38merge_mergepath_config_static_selectorELNS0_4arch9wavefront6targetE1EEEvSL_
; %bb.0:
	.section	.rodata,"a",@progbits
	.p2align	6, 0x0
	.amdhsa_kernel _ZN7rocprim17ROCPRIM_400000_NS6detail17trampoline_kernelINS0_14default_configENS1_38merge_sort_block_merge_config_selectorIjNS0_10empty_typeEEEZZNS1_27merge_sort_block_merge_implIS3_N6thrust23THRUST_200600_302600_NS6detail15normal_iteratorINS9_10device_ptrIjEEEEPS5_jNS1_19radix_merge_compareILb0ELb1EjNS0_19identity_decomposerEEEEE10hipError_tT0_T1_T2_jT3_P12ihipStream_tbPNSt15iterator_traitsISK_E10value_typeEPNSQ_ISL_E10value_typeEPSM_NS1_7vsmem_tEENKUlT_SK_SL_SM_E_clIPjSE_SF_SF_EESJ_SZ_SK_SL_SM_EUlSZ_E0_NS1_11comp_targetILNS1_3genE2ELNS1_11target_archE906ELNS1_3gpuE6ELNS1_3repE0EEENS1_38merge_mergepath_config_static_selectorELNS0_4arch9wavefront6targetE1EEEvSL_
		.amdhsa_group_segment_fixed_size 0
		.amdhsa_private_segment_fixed_size 0
		.amdhsa_kernarg_size 64
		.amdhsa_user_sgpr_count 2
		.amdhsa_user_sgpr_dispatch_ptr 0
		.amdhsa_user_sgpr_queue_ptr 0
		.amdhsa_user_sgpr_kernarg_segment_ptr 1
		.amdhsa_user_sgpr_dispatch_id 0
		.amdhsa_user_sgpr_kernarg_preload_length 0
		.amdhsa_user_sgpr_kernarg_preload_offset 0
		.amdhsa_user_sgpr_private_segment_size 0
		.amdhsa_uses_dynamic_stack 0
		.amdhsa_enable_private_segment 0
		.amdhsa_system_sgpr_workgroup_id_x 1
		.amdhsa_system_sgpr_workgroup_id_y 0
		.amdhsa_system_sgpr_workgroup_id_z 0
		.amdhsa_system_sgpr_workgroup_info 0
		.amdhsa_system_vgpr_workitem_id 0
		.amdhsa_next_free_vgpr 1
		.amdhsa_next_free_sgpr 0
		.amdhsa_accum_offset 4
		.amdhsa_reserve_vcc 0
		.amdhsa_float_round_mode_32 0
		.amdhsa_float_round_mode_16_64 0
		.amdhsa_float_denorm_mode_32 3
		.amdhsa_float_denorm_mode_16_64 3
		.amdhsa_dx10_clamp 1
		.amdhsa_ieee_mode 1
		.amdhsa_fp16_overflow 0
		.amdhsa_tg_split 0
		.amdhsa_exception_fp_ieee_invalid_op 0
		.amdhsa_exception_fp_denorm_src 0
		.amdhsa_exception_fp_ieee_div_zero 0
		.amdhsa_exception_fp_ieee_overflow 0
		.amdhsa_exception_fp_ieee_underflow 0
		.amdhsa_exception_fp_ieee_inexact 0
		.amdhsa_exception_int_div_zero 0
	.end_amdhsa_kernel
	.section	.text._ZN7rocprim17ROCPRIM_400000_NS6detail17trampoline_kernelINS0_14default_configENS1_38merge_sort_block_merge_config_selectorIjNS0_10empty_typeEEEZZNS1_27merge_sort_block_merge_implIS3_N6thrust23THRUST_200600_302600_NS6detail15normal_iteratorINS9_10device_ptrIjEEEEPS5_jNS1_19radix_merge_compareILb0ELb1EjNS0_19identity_decomposerEEEEE10hipError_tT0_T1_T2_jT3_P12ihipStream_tbPNSt15iterator_traitsISK_E10value_typeEPNSQ_ISL_E10value_typeEPSM_NS1_7vsmem_tEENKUlT_SK_SL_SM_E_clIPjSE_SF_SF_EESJ_SZ_SK_SL_SM_EUlSZ_E0_NS1_11comp_targetILNS1_3genE2ELNS1_11target_archE906ELNS1_3gpuE6ELNS1_3repE0EEENS1_38merge_mergepath_config_static_selectorELNS0_4arch9wavefront6targetE1EEEvSL_,"axG",@progbits,_ZN7rocprim17ROCPRIM_400000_NS6detail17trampoline_kernelINS0_14default_configENS1_38merge_sort_block_merge_config_selectorIjNS0_10empty_typeEEEZZNS1_27merge_sort_block_merge_implIS3_N6thrust23THRUST_200600_302600_NS6detail15normal_iteratorINS9_10device_ptrIjEEEEPS5_jNS1_19radix_merge_compareILb0ELb1EjNS0_19identity_decomposerEEEEE10hipError_tT0_T1_T2_jT3_P12ihipStream_tbPNSt15iterator_traitsISK_E10value_typeEPNSQ_ISL_E10value_typeEPSM_NS1_7vsmem_tEENKUlT_SK_SL_SM_E_clIPjSE_SF_SF_EESJ_SZ_SK_SL_SM_EUlSZ_E0_NS1_11comp_targetILNS1_3genE2ELNS1_11target_archE906ELNS1_3gpuE6ELNS1_3repE0EEENS1_38merge_mergepath_config_static_selectorELNS0_4arch9wavefront6targetE1EEEvSL_,comdat
.Lfunc_end1039:
	.size	_ZN7rocprim17ROCPRIM_400000_NS6detail17trampoline_kernelINS0_14default_configENS1_38merge_sort_block_merge_config_selectorIjNS0_10empty_typeEEEZZNS1_27merge_sort_block_merge_implIS3_N6thrust23THRUST_200600_302600_NS6detail15normal_iteratorINS9_10device_ptrIjEEEEPS5_jNS1_19radix_merge_compareILb0ELb1EjNS0_19identity_decomposerEEEEE10hipError_tT0_T1_T2_jT3_P12ihipStream_tbPNSt15iterator_traitsISK_E10value_typeEPNSQ_ISL_E10value_typeEPSM_NS1_7vsmem_tEENKUlT_SK_SL_SM_E_clIPjSE_SF_SF_EESJ_SZ_SK_SL_SM_EUlSZ_E0_NS1_11comp_targetILNS1_3genE2ELNS1_11target_archE906ELNS1_3gpuE6ELNS1_3repE0EEENS1_38merge_mergepath_config_static_selectorELNS0_4arch9wavefront6targetE1EEEvSL_, .Lfunc_end1039-_ZN7rocprim17ROCPRIM_400000_NS6detail17trampoline_kernelINS0_14default_configENS1_38merge_sort_block_merge_config_selectorIjNS0_10empty_typeEEEZZNS1_27merge_sort_block_merge_implIS3_N6thrust23THRUST_200600_302600_NS6detail15normal_iteratorINS9_10device_ptrIjEEEEPS5_jNS1_19radix_merge_compareILb0ELb1EjNS0_19identity_decomposerEEEEE10hipError_tT0_T1_T2_jT3_P12ihipStream_tbPNSt15iterator_traitsISK_E10value_typeEPNSQ_ISL_E10value_typeEPSM_NS1_7vsmem_tEENKUlT_SK_SL_SM_E_clIPjSE_SF_SF_EESJ_SZ_SK_SL_SM_EUlSZ_E0_NS1_11comp_targetILNS1_3genE2ELNS1_11target_archE906ELNS1_3gpuE6ELNS1_3repE0EEENS1_38merge_mergepath_config_static_selectorELNS0_4arch9wavefront6targetE1EEEvSL_
                                        ; -- End function
	.section	.AMDGPU.csdata,"",@progbits
; Kernel info:
; codeLenInByte = 0
; NumSgprs: 6
; NumVgprs: 0
; NumAgprs: 0
; TotalNumVgprs: 0
; ScratchSize: 0
; MemoryBound: 0
; FloatMode: 240
; IeeeMode: 1
; LDSByteSize: 0 bytes/workgroup (compile time only)
; SGPRBlocks: 0
; VGPRBlocks: 0
; NumSGPRsForWavesPerEU: 6
; NumVGPRsForWavesPerEU: 1
; AccumOffset: 4
; Occupancy: 8
; WaveLimiterHint : 0
; COMPUTE_PGM_RSRC2:SCRATCH_EN: 0
; COMPUTE_PGM_RSRC2:USER_SGPR: 2
; COMPUTE_PGM_RSRC2:TRAP_HANDLER: 0
; COMPUTE_PGM_RSRC2:TGID_X_EN: 1
; COMPUTE_PGM_RSRC2:TGID_Y_EN: 0
; COMPUTE_PGM_RSRC2:TGID_Z_EN: 0
; COMPUTE_PGM_RSRC2:TIDIG_COMP_CNT: 0
; COMPUTE_PGM_RSRC3_GFX90A:ACCUM_OFFSET: 0
; COMPUTE_PGM_RSRC3_GFX90A:TG_SPLIT: 0
	.section	.text._ZN7rocprim17ROCPRIM_400000_NS6detail17trampoline_kernelINS0_14default_configENS1_38merge_sort_block_merge_config_selectorIjNS0_10empty_typeEEEZZNS1_27merge_sort_block_merge_implIS3_N6thrust23THRUST_200600_302600_NS6detail15normal_iteratorINS9_10device_ptrIjEEEEPS5_jNS1_19radix_merge_compareILb0ELb1EjNS0_19identity_decomposerEEEEE10hipError_tT0_T1_T2_jT3_P12ihipStream_tbPNSt15iterator_traitsISK_E10value_typeEPNSQ_ISL_E10value_typeEPSM_NS1_7vsmem_tEENKUlT_SK_SL_SM_E_clIPjSE_SF_SF_EESJ_SZ_SK_SL_SM_EUlSZ_E0_NS1_11comp_targetILNS1_3genE9ELNS1_11target_archE1100ELNS1_3gpuE3ELNS1_3repE0EEENS1_38merge_mergepath_config_static_selectorELNS0_4arch9wavefront6targetE1EEEvSL_,"axG",@progbits,_ZN7rocprim17ROCPRIM_400000_NS6detail17trampoline_kernelINS0_14default_configENS1_38merge_sort_block_merge_config_selectorIjNS0_10empty_typeEEEZZNS1_27merge_sort_block_merge_implIS3_N6thrust23THRUST_200600_302600_NS6detail15normal_iteratorINS9_10device_ptrIjEEEEPS5_jNS1_19radix_merge_compareILb0ELb1EjNS0_19identity_decomposerEEEEE10hipError_tT0_T1_T2_jT3_P12ihipStream_tbPNSt15iterator_traitsISK_E10value_typeEPNSQ_ISL_E10value_typeEPSM_NS1_7vsmem_tEENKUlT_SK_SL_SM_E_clIPjSE_SF_SF_EESJ_SZ_SK_SL_SM_EUlSZ_E0_NS1_11comp_targetILNS1_3genE9ELNS1_11target_archE1100ELNS1_3gpuE3ELNS1_3repE0EEENS1_38merge_mergepath_config_static_selectorELNS0_4arch9wavefront6targetE1EEEvSL_,comdat
	.protected	_ZN7rocprim17ROCPRIM_400000_NS6detail17trampoline_kernelINS0_14default_configENS1_38merge_sort_block_merge_config_selectorIjNS0_10empty_typeEEEZZNS1_27merge_sort_block_merge_implIS3_N6thrust23THRUST_200600_302600_NS6detail15normal_iteratorINS9_10device_ptrIjEEEEPS5_jNS1_19radix_merge_compareILb0ELb1EjNS0_19identity_decomposerEEEEE10hipError_tT0_T1_T2_jT3_P12ihipStream_tbPNSt15iterator_traitsISK_E10value_typeEPNSQ_ISL_E10value_typeEPSM_NS1_7vsmem_tEENKUlT_SK_SL_SM_E_clIPjSE_SF_SF_EESJ_SZ_SK_SL_SM_EUlSZ_E0_NS1_11comp_targetILNS1_3genE9ELNS1_11target_archE1100ELNS1_3gpuE3ELNS1_3repE0EEENS1_38merge_mergepath_config_static_selectorELNS0_4arch9wavefront6targetE1EEEvSL_ ; -- Begin function _ZN7rocprim17ROCPRIM_400000_NS6detail17trampoline_kernelINS0_14default_configENS1_38merge_sort_block_merge_config_selectorIjNS0_10empty_typeEEEZZNS1_27merge_sort_block_merge_implIS3_N6thrust23THRUST_200600_302600_NS6detail15normal_iteratorINS9_10device_ptrIjEEEEPS5_jNS1_19radix_merge_compareILb0ELb1EjNS0_19identity_decomposerEEEEE10hipError_tT0_T1_T2_jT3_P12ihipStream_tbPNSt15iterator_traitsISK_E10value_typeEPNSQ_ISL_E10value_typeEPSM_NS1_7vsmem_tEENKUlT_SK_SL_SM_E_clIPjSE_SF_SF_EESJ_SZ_SK_SL_SM_EUlSZ_E0_NS1_11comp_targetILNS1_3genE9ELNS1_11target_archE1100ELNS1_3gpuE3ELNS1_3repE0EEENS1_38merge_mergepath_config_static_selectorELNS0_4arch9wavefront6targetE1EEEvSL_
	.globl	_ZN7rocprim17ROCPRIM_400000_NS6detail17trampoline_kernelINS0_14default_configENS1_38merge_sort_block_merge_config_selectorIjNS0_10empty_typeEEEZZNS1_27merge_sort_block_merge_implIS3_N6thrust23THRUST_200600_302600_NS6detail15normal_iteratorINS9_10device_ptrIjEEEEPS5_jNS1_19radix_merge_compareILb0ELb1EjNS0_19identity_decomposerEEEEE10hipError_tT0_T1_T2_jT3_P12ihipStream_tbPNSt15iterator_traitsISK_E10value_typeEPNSQ_ISL_E10value_typeEPSM_NS1_7vsmem_tEENKUlT_SK_SL_SM_E_clIPjSE_SF_SF_EESJ_SZ_SK_SL_SM_EUlSZ_E0_NS1_11comp_targetILNS1_3genE9ELNS1_11target_archE1100ELNS1_3gpuE3ELNS1_3repE0EEENS1_38merge_mergepath_config_static_selectorELNS0_4arch9wavefront6targetE1EEEvSL_
	.p2align	8
	.type	_ZN7rocprim17ROCPRIM_400000_NS6detail17trampoline_kernelINS0_14default_configENS1_38merge_sort_block_merge_config_selectorIjNS0_10empty_typeEEEZZNS1_27merge_sort_block_merge_implIS3_N6thrust23THRUST_200600_302600_NS6detail15normal_iteratorINS9_10device_ptrIjEEEEPS5_jNS1_19radix_merge_compareILb0ELb1EjNS0_19identity_decomposerEEEEE10hipError_tT0_T1_T2_jT3_P12ihipStream_tbPNSt15iterator_traitsISK_E10value_typeEPNSQ_ISL_E10value_typeEPSM_NS1_7vsmem_tEENKUlT_SK_SL_SM_E_clIPjSE_SF_SF_EESJ_SZ_SK_SL_SM_EUlSZ_E0_NS1_11comp_targetILNS1_3genE9ELNS1_11target_archE1100ELNS1_3gpuE3ELNS1_3repE0EEENS1_38merge_mergepath_config_static_selectorELNS0_4arch9wavefront6targetE1EEEvSL_,@function
_ZN7rocprim17ROCPRIM_400000_NS6detail17trampoline_kernelINS0_14default_configENS1_38merge_sort_block_merge_config_selectorIjNS0_10empty_typeEEEZZNS1_27merge_sort_block_merge_implIS3_N6thrust23THRUST_200600_302600_NS6detail15normal_iteratorINS9_10device_ptrIjEEEEPS5_jNS1_19radix_merge_compareILb0ELb1EjNS0_19identity_decomposerEEEEE10hipError_tT0_T1_T2_jT3_P12ihipStream_tbPNSt15iterator_traitsISK_E10value_typeEPNSQ_ISL_E10value_typeEPSM_NS1_7vsmem_tEENKUlT_SK_SL_SM_E_clIPjSE_SF_SF_EESJ_SZ_SK_SL_SM_EUlSZ_E0_NS1_11comp_targetILNS1_3genE9ELNS1_11target_archE1100ELNS1_3gpuE3ELNS1_3repE0EEENS1_38merge_mergepath_config_static_selectorELNS0_4arch9wavefront6targetE1EEEvSL_: ; @_ZN7rocprim17ROCPRIM_400000_NS6detail17trampoline_kernelINS0_14default_configENS1_38merge_sort_block_merge_config_selectorIjNS0_10empty_typeEEEZZNS1_27merge_sort_block_merge_implIS3_N6thrust23THRUST_200600_302600_NS6detail15normal_iteratorINS9_10device_ptrIjEEEEPS5_jNS1_19radix_merge_compareILb0ELb1EjNS0_19identity_decomposerEEEEE10hipError_tT0_T1_T2_jT3_P12ihipStream_tbPNSt15iterator_traitsISK_E10value_typeEPNSQ_ISL_E10value_typeEPSM_NS1_7vsmem_tEENKUlT_SK_SL_SM_E_clIPjSE_SF_SF_EESJ_SZ_SK_SL_SM_EUlSZ_E0_NS1_11comp_targetILNS1_3genE9ELNS1_11target_archE1100ELNS1_3gpuE3ELNS1_3repE0EEENS1_38merge_mergepath_config_static_selectorELNS0_4arch9wavefront6targetE1EEEvSL_
; %bb.0:
	.section	.rodata,"a",@progbits
	.p2align	6, 0x0
	.amdhsa_kernel _ZN7rocprim17ROCPRIM_400000_NS6detail17trampoline_kernelINS0_14default_configENS1_38merge_sort_block_merge_config_selectorIjNS0_10empty_typeEEEZZNS1_27merge_sort_block_merge_implIS3_N6thrust23THRUST_200600_302600_NS6detail15normal_iteratorINS9_10device_ptrIjEEEEPS5_jNS1_19radix_merge_compareILb0ELb1EjNS0_19identity_decomposerEEEEE10hipError_tT0_T1_T2_jT3_P12ihipStream_tbPNSt15iterator_traitsISK_E10value_typeEPNSQ_ISL_E10value_typeEPSM_NS1_7vsmem_tEENKUlT_SK_SL_SM_E_clIPjSE_SF_SF_EESJ_SZ_SK_SL_SM_EUlSZ_E0_NS1_11comp_targetILNS1_3genE9ELNS1_11target_archE1100ELNS1_3gpuE3ELNS1_3repE0EEENS1_38merge_mergepath_config_static_selectorELNS0_4arch9wavefront6targetE1EEEvSL_
		.amdhsa_group_segment_fixed_size 0
		.amdhsa_private_segment_fixed_size 0
		.amdhsa_kernarg_size 64
		.amdhsa_user_sgpr_count 2
		.amdhsa_user_sgpr_dispatch_ptr 0
		.amdhsa_user_sgpr_queue_ptr 0
		.amdhsa_user_sgpr_kernarg_segment_ptr 1
		.amdhsa_user_sgpr_dispatch_id 0
		.amdhsa_user_sgpr_kernarg_preload_length 0
		.amdhsa_user_sgpr_kernarg_preload_offset 0
		.amdhsa_user_sgpr_private_segment_size 0
		.amdhsa_uses_dynamic_stack 0
		.amdhsa_enable_private_segment 0
		.amdhsa_system_sgpr_workgroup_id_x 1
		.amdhsa_system_sgpr_workgroup_id_y 0
		.amdhsa_system_sgpr_workgroup_id_z 0
		.amdhsa_system_sgpr_workgroup_info 0
		.amdhsa_system_vgpr_workitem_id 0
		.amdhsa_next_free_vgpr 1
		.amdhsa_next_free_sgpr 0
		.amdhsa_accum_offset 4
		.amdhsa_reserve_vcc 0
		.amdhsa_float_round_mode_32 0
		.amdhsa_float_round_mode_16_64 0
		.amdhsa_float_denorm_mode_32 3
		.amdhsa_float_denorm_mode_16_64 3
		.amdhsa_dx10_clamp 1
		.amdhsa_ieee_mode 1
		.amdhsa_fp16_overflow 0
		.amdhsa_tg_split 0
		.amdhsa_exception_fp_ieee_invalid_op 0
		.amdhsa_exception_fp_denorm_src 0
		.amdhsa_exception_fp_ieee_div_zero 0
		.amdhsa_exception_fp_ieee_overflow 0
		.amdhsa_exception_fp_ieee_underflow 0
		.amdhsa_exception_fp_ieee_inexact 0
		.amdhsa_exception_int_div_zero 0
	.end_amdhsa_kernel
	.section	.text._ZN7rocprim17ROCPRIM_400000_NS6detail17trampoline_kernelINS0_14default_configENS1_38merge_sort_block_merge_config_selectorIjNS0_10empty_typeEEEZZNS1_27merge_sort_block_merge_implIS3_N6thrust23THRUST_200600_302600_NS6detail15normal_iteratorINS9_10device_ptrIjEEEEPS5_jNS1_19radix_merge_compareILb0ELb1EjNS0_19identity_decomposerEEEEE10hipError_tT0_T1_T2_jT3_P12ihipStream_tbPNSt15iterator_traitsISK_E10value_typeEPNSQ_ISL_E10value_typeEPSM_NS1_7vsmem_tEENKUlT_SK_SL_SM_E_clIPjSE_SF_SF_EESJ_SZ_SK_SL_SM_EUlSZ_E0_NS1_11comp_targetILNS1_3genE9ELNS1_11target_archE1100ELNS1_3gpuE3ELNS1_3repE0EEENS1_38merge_mergepath_config_static_selectorELNS0_4arch9wavefront6targetE1EEEvSL_,"axG",@progbits,_ZN7rocprim17ROCPRIM_400000_NS6detail17trampoline_kernelINS0_14default_configENS1_38merge_sort_block_merge_config_selectorIjNS0_10empty_typeEEEZZNS1_27merge_sort_block_merge_implIS3_N6thrust23THRUST_200600_302600_NS6detail15normal_iteratorINS9_10device_ptrIjEEEEPS5_jNS1_19radix_merge_compareILb0ELb1EjNS0_19identity_decomposerEEEEE10hipError_tT0_T1_T2_jT3_P12ihipStream_tbPNSt15iterator_traitsISK_E10value_typeEPNSQ_ISL_E10value_typeEPSM_NS1_7vsmem_tEENKUlT_SK_SL_SM_E_clIPjSE_SF_SF_EESJ_SZ_SK_SL_SM_EUlSZ_E0_NS1_11comp_targetILNS1_3genE9ELNS1_11target_archE1100ELNS1_3gpuE3ELNS1_3repE0EEENS1_38merge_mergepath_config_static_selectorELNS0_4arch9wavefront6targetE1EEEvSL_,comdat
.Lfunc_end1040:
	.size	_ZN7rocprim17ROCPRIM_400000_NS6detail17trampoline_kernelINS0_14default_configENS1_38merge_sort_block_merge_config_selectorIjNS0_10empty_typeEEEZZNS1_27merge_sort_block_merge_implIS3_N6thrust23THRUST_200600_302600_NS6detail15normal_iteratorINS9_10device_ptrIjEEEEPS5_jNS1_19radix_merge_compareILb0ELb1EjNS0_19identity_decomposerEEEEE10hipError_tT0_T1_T2_jT3_P12ihipStream_tbPNSt15iterator_traitsISK_E10value_typeEPNSQ_ISL_E10value_typeEPSM_NS1_7vsmem_tEENKUlT_SK_SL_SM_E_clIPjSE_SF_SF_EESJ_SZ_SK_SL_SM_EUlSZ_E0_NS1_11comp_targetILNS1_3genE9ELNS1_11target_archE1100ELNS1_3gpuE3ELNS1_3repE0EEENS1_38merge_mergepath_config_static_selectorELNS0_4arch9wavefront6targetE1EEEvSL_, .Lfunc_end1040-_ZN7rocprim17ROCPRIM_400000_NS6detail17trampoline_kernelINS0_14default_configENS1_38merge_sort_block_merge_config_selectorIjNS0_10empty_typeEEEZZNS1_27merge_sort_block_merge_implIS3_N6thrust23THRUST_200600_302600_NS6detail15normal_iteratorINS9_10device_ptrIjEEEEPS5_jNS1_19radix_merge_compareILb0ELb1EjNS0_19identity_decomposerEEEEE10hipError_tT0_T1_T2_jT3_P12ihipStream_tbPNSt15iterator_traitsISK_E10value_typeEPNSQ_ISL_E10value_typeEPSM_NS1_7vsmem_tEENKUlT_SK_SL_SM_E_clIPjSE_SF_SF_EESJ_SZ_SK_SL_SM_EUlSZ_E0_NS1_11comp_targetILNS1_3genE9ELNS1_11target_archE1100ELNS1_3gpuE3ELNS1_3repE0EEENS1_38merge_mergepath_config_static_selectorELNS0_4arch9wavefront6targetE1EEEvSL_
                                        ; -- End function
	.section	.AMDGPU.csdata,"",@progbits
; Kernel info:
; codeLenInByte = 0
; NumSgprs: 6
; NumVgprs: 0
; NumAgprs: 0
; TotalNumVgprs: 0
; ScratchSize: 0
; MemoryBound: 0
; FloatMode: 240
; IeeeMode: 1
; LDSByteSize: 0 bytes/workgroup (compile time only)
; SGPRBlocks: 0
; VGPRBlocks: 0
; NumSGPRsForWavesPerEU: 6
; NumVGPRsForWavesPerEU: 1
; AccumOffset: 4
; Occupancy: 8
; WaveLimiterHint : 0
; COMPUTE_PGM_RSRC2:SCRATCH_EN: 0
; COMPUTE_PGM_RSRC2:USER_SGPR: 2
; COMPUTE_PGM_RSRC2:TRAP_HANDLER: 0
; COMPUTE_PGM_RSRC2:TGID_X_EN: 1
; COMPUTE_PGM_RSRC2:TGID_Y_EN: 0
; COMPUTE_PGM_RSRC2:TGID_Z_EN: 0
; COMPUTE_PGM_RSRC2:TIDIG_COMP_CNT: 0
; COMPUTE_PGM_RSRC3_GFX90A:ACCUM_OFFSET: 0
; COMPUTE_PGM_RSRC3_GFX90A:TG_SPLIT: 0
	.section	.text._ZN7rocprim17ROCPRIM_400000_NS6detail17trampoline_kernelINS0_14default_configENS1_38merge_sort_block_merge_config_selectorIjNS0_10empty_typeEEEZZNS1_27merge_sort_block_merge_implIS3_N6thrust23THRUST_200600_302600_NS6detail15normal_iteratorINS9_10device_ptrIjEEEEPS5_jNS1_19radix_merge_compareILb0ELb1EjNS0_19identity_decomposerEEEEE10hipError_tT0_T1_T2_jT3_P12ihipStream_tbPNSt15iterator_traitsISK_E10value_typeEPNSQ_ISL_E10value_typeEPSM_NS1_7vsmem_tEENKUlT_SK_SL_SM_E_clIPjSE_SF_SF_EESJ_SZ_SK_SL_SM_EUlSZ_E0_NS1_11comp_targetILNS1_3genE8ELNS1_11target_archE1030ELNS1_3gpuE2ELNS1_3repE0EEENS1_38merge_mergepath_config_static_selectorELNS0_4arch9wavefront6targetE1EEEvSL_,"axG",@progbits,_ZN7rocprim17ROCPRIM_400000_NS6detail17trampoline_kernelINS0_14default_configENS1_38merge_sort_block_merge_config_selectorIjNS0_10empty_typeEEEZZNS1_27merge_sort_block_merge_implIS3_N6thrust23THRUST_200600_302600_NS6detail15normal_iteratorINS9_10device_ptrIjEEEEPS5_jNS1_19radix_merge_compareILb0ELb1EjNS0_19identity_decomposerEEEEE10hipError_tT0_T1_T2_jT3_P12ihipStream_tbPNSt15iterator_traitsISK_E10value_typeEPNSQ_ISL_E10value_typeEPSM_NS1_7vsmem_tEENKUlT_SK_SL_SM_E_clIPjSE_SF_SF_EESJ_SZ_SK_SL_SM_EUlSZ_E0_NS1_11comp_targetILNS1_3genE8ELNS1_11target_archE1030ELNS1_3gpuE2ELNS1_3repE0EEENS1_38merge_mergepath_config_static_selectorELNS0_4arch9wavefront6targetE1EEEvSL_,comdat
	.protected	_ZN7rocprim17ROCPRIM_400000_NS6detail17trampoline_kernelINS0_14default_configENS1_38merge_sort_block_merge_config_selectorIjNS0_10empty_typeEEEZZNS1_27merge_sort_block_merge_implIS3_N6thrust23THRUST_200600_302600_NS6detail15normal_iteratorINS9_10device_ptrIjEEEEPS5_jNS1_19radix_merge_compareILb0ELb1EjNS0_19identity_decomposerEEEEE10hipError_tT0_T1_T2_jT3_P12ihipStream_tbPNSt15iterator_traitsISK_E10value_typeEPNSQ_ISL_E10value_typeEPSM_NS1_7vsmem_tEENKUlT_SK_SL_SM_E_clIPjSE_SF_SF_EESJ_SZ_SK_SL_SM_EUlSZ_E0_NS1_11comp_targetILNS1_3genE8ELNS1_11target_archE1030ELNS1_3gpuE2ELNS1_3repE0EEENS1_38merge_mergepath_config_static_selectorELNS0_4arch9wavefront6targetE1EEEvSL_ ; -- Begin function _ZN7rocprim17ROCPRIM_400000_NS6detail17trampoline_kernelINS0_14default_configENS1_38merge_sort_block_merge_config_selectorIjNS0_10empty_typeEEEZZNS1_27merge_sort_block_merge_implIS3_N6thrust23THRUST_200600_302600_NS6detail15normal_iteratorINS9_10device_ptrIjEEEEPS5_jNS1_19radix_merge_compareILb0ELb1EjNS0_19identity_decomposerEEEEE10hipError_tT0_T1_T2_jT3_P12ihipStream_tbPNSt15iterator_traitsISK_E10value_typeEPNSQ_ISL_E10value_typeEPSM_NS1_7vsmem_tEENKUlT_SK_SL_SM_E_clIPjSE_SF_SF_EESJ_SZ_SK_SL_SM_EUlSZ_E0_NS1_11comp_targetILNS1_3genE8ELNS1_11target_archE1030ELNS1_3gpuE2ELNS1_3repE0EEENS1_38merge_mergepath_config_static_selectorELNS0_4arch9wavefront6targetE1EEEvSL_
	.globl	_ZN7rocprim17ROCPRIM_400000_NS6detail17trampoline_kernelINS0_14default_configENS1_38merge_sort_block_merge_config_selectorIjNS0_10empty_typeEEEZZNS1_27merge_sort_block_merge_implIS3_N6thrust23THRUST_200600_302600_NS6detail15normal_iteratorINS9_10device_ptrIjEEEEPS5_jNS1_19radix_merge_compareILb0ELb1EjNS0_19identity_decomposerEEEEE10hipError_tT0_T1_T2_jT3_P12ihipStream_tbPNSt15iterator_traitsISK_E10value_typeEPNSQ_ISL_E10value_typeEPSM_NS1_7vsmem_tEENKUlT_SK_SL_SM_E_clIPjSE_SF_SF_EESJ_SZ_SK_SL_SM_EUlSZ_E0_NS1_11comp_targetILNS1_3genE8ELNS1_11target_archE1030ELNS1_3gpuE2ELNS1_3repE0EEENS1_38merge_mergepath_config_static_selectorELNS0_4arch9wavefront6targetE1EEEvSL_
	.p2align	8
	.type	_ZN7rocprim17ROCPRIM_400000_NS6detail17trampoline_kernelINS0_14default_configENS1_38merge_sort_block_merge_config_selectorIjNS0_10empty_typeEEEZZNS1_27merge_sort_block_merge_implIS3_N6thrust23THRUST_200600_302600_NS6detail15normal_iteratorINS9_10device_ptrIjEEEEPS5_jNS1_19radix_merge_compareILb0ELb1EjNS0_19identity_decomposerEEEEE10hipError_tT0_T1_T2_jT3_P12ihipStream_tbPNSt15iterator_traitsISK_E10value_typeEPNSQ_ISL_E10value_typeEPSM_NS1_7vsmem_tEENKUlT_SK_SL_SM_E_clIPjSE_SF_SF_EESJ_SZ_SK_SL_SM_EUlSZ_E0_NS1_11comp_targetILNS1_3genE8ELNS1_11target_archE1030ELNS1_3gpuE2ELNS1_3repE0EEENS1_38merge_mergepath_config_static_selectorELNS0_4arch9wavefront6targetE1EEEvSL_,@function
_ZN7rocprim17ROCPRIM_400000_NS6detail17trampoline_kernelINS0_14default_configENS1_38merge_sort_block_merge_config_selectorIjNS0_10empty_typeEEEZZNS1_27merge_sort_block_merge_implIS3_N6thrust23THRUST_200600_302600_NS6detail15normal_iteratorINS9_10device_ptrIjEEEEPS5_jNS1_19radix_merge_compareILb0ELb1EjNS0_19identity_decomposerEEEEE10hipError_tT0_T1_T2_jT3_P12ihipStream_tbPNSt15iterator_traitsISK_E10value_typeEPNSQ_ISL_E10value_typeEPSM_NS1_7vsmem_tEENKUlT_SK_SL_SM_E_clIPjSE_SF_SF_EESJ_SZ_SK_SL_SM_EUlSZ_E0_NS1_11comp_targetILNS1_3genE8ELNS1_11target_archE1030ELNS1_3gpuE2ELNS1_3repE0EEENS1_38merge_mergepath_config_static_selectorELNS0_4arch9wavefront6targetE1EEEvSL_: ; @_ZN7rocprim17ROCPRIM_400000_NS6detail17trampoline_kernelINS0_14default_configENS1_38merge_sort_block_merge_config_selectorIjNS0_10empty_typeEEEZZNS1_27merge_sort_block_merge_implIS3_N6thrust23THRUST_200600_302600_NS6detail15normal_iteratorINS9_10device_ptrIjEEEEPS5_jNS1_19radix_merge_compareILb0ELb1EjNS0_19identity_decomposerEEEEE10hipError_tT0_T1_T2_jT3_P12ihipStream_tbPNSt15iterator_traitsISK_E10value_typeEPNSQ_ISL_E10value_typeEPSM_NS1_7vsmem_tEENKUlT_SK_SL_SM_E_clIPjSE_SF_SF_EESJ_SZ_SK_SL_SM_EUlSZ_E0_NS1_11comp_targetILNS1_3genE8ELNS1_11target_archE1030ELNS1_3gpuE2ELNS1_3repE0EEENS1_38merge_mergepath_config_static_selectorELNS0_4arch9wavefront6targetE1EEEvSL_
; %bb.0:
	.section	.rodata,"a",@progbits
	.p2align	6, 0x0
	.amdhsa_kernel _ZN7rocprim17ROCPRIM_400000_NS6detail17trampoline_kernelINS0_14default_configENS1_38merge_sort_block_merge_config_selectorIjNS0_10empty_typeEEEZZNS1_27merge_sort_block_merge_implIS3_N6thrust23THRUST_200600_302600_NS6detail15normal_iteratorINS9_10device_ptrIjEEEEPS5_jNS1_19radix_merge_compareILb0ELb1EjNS0_19identity_decomposerEEEEE10hipError_tT0_T1_T2_jT3_P12ihipStream_tbPNSt15iterator_traitsISK_E10value_typeEPNSQ_ISL_E10value_typeEPSM_NS1_7vsmem_tEENKUlT_SK_SL_SM_E_clIPjSE_SF_SF_EESJ_SZ_SK_SL_SM_EUlSZ_E0_NS1_11comp_targetILNS1_3genE8ELNS1_11target_archE1030ELNS1_3gpuE2ELNS1_3repE0EEENS1_38merge_mergepath_config_static_selectorELNS0_4arch9wavefront6targetE1EEEvSL_
		.amdhsa_group_segment_fixed_size 0
		.amdhsa_private_segment_fixed_size 0
		.amdhsa_kernarg_size 64
		.amdhsa_user_sgpr_count 2
		.amdhsa_user_sgpr_dispatch_ptr 0
		.amdhsa_user_sgpr_queue_ptr 0
		.amdhsa_user_sgpr_kernarg_segment_ptr 1
		.amdhsa_user_sgpr_dispatch_id 0
		.amdhsa_user_sgpr_kernarg_preload_length 0
		.amdhsa_user_sgpr_kernarg_preload_offset 0
		.amdhsa_user_sgpr_private_segment_size 0
		.amdhsa_uses_dynamic_stack 0
		.amdhsa_enable_private_segment 0
		.amdhsa_system_sgpr_workgroup_id_x 1
		.amdhsa_system_sgpr_workgroup_id_y 0
		.amdhsa_system_sgpr_workgroup_id_z 0
		.amdhsa_system_sgpr_workgroup_info 0
		.amdhsa_system_vgpr_workitem_id 0
		.amdhsa_next_free_vgpr 1
		.amdhsa_next_free_sgpr 0
		.amdhsa_accum_offset 4
		.amdhsa_reserve_vcc 0
		.amdhsa_float_round_mode_32 0
		.amdhsa_float_round_mode_16_64 0
		.amdhsa_float_denorm_mode_32 3
		.amdhsa_float_denorm_mode_16_64 3
		.amdhsa_dx10_clamp 1
		.amdhsa_ieee_mode 1
		.amdhsa_fp16_overflow 0
		.amdhsa_tg_split 0
		.amdhsa_exception_fp_ieee_invalid_op 0
		.amdhsa_exception_fp_denorm_src 0
		.amdhsa_exception_fp_ieee_div_zero 0
		.amdhsa_exception_fp_ieee_overflow 0
		.amdhsa_exception_fp_ieee_underflow 0
		.amdhsa_exception_fp_ieee_inexact 0
		.amdhsa_exception_int_div_zero 0
	.end_amdhsa_kernel
	.section	.text._ZN7rocprim17ROCPRIM_400000_NS6detail17trampoline_kernelINS0_14default_configENS1_38merge_sort_block_merge_config_selectorIjNS0_10empty_typeEEEZZNS1_27merge_sort_block_merge_implIS3_N6thrust23THRUST_200600_302600_NS6detail15normal_iteratorINS9_10device_ptrIjEEEEPS5_jNS1_19radix_merge_compareILb0ELb1EjNS0_19identity_decomposerEEEEE10hipError_tT0_T1_T2_jT3_P12ihipStream_tbPNSt15iterator_traitsISK_E10value_typeEPNSQ_ISL_E10value_typeEPSM_NS1_7vsmem_tEENKUlT_SK_SL_SM_E_clIPjSE_SF_SF_EESJ_SZ_SK_SL_SM_EUlSZ_E0_NS1_11comp_targetILNS1_3genE8ELNS1_11target_archE1030ELNS1_3gpuE2ELNS1_3repE0EEENS1_38merge_mergepath_config_static_selectorELNS0_4arch9wavefront6targetE1EEEvSL_,"axG",@progbits,_ZN7rocprim17ROCPRIM_400000_NS6detail17trampoline_kernelINS0_14default_configENS1_38merge_sort_block_merge_config_selectorIjNS0_10empty_typeEEEZZNS1_27merge_sort_block_merge_implIS3_N6thrust23THRUST_200600_302600_NS6detail15normal_iteratorINS9_10device_ptrIjEEEEPS5_jNS1_19radix_merge_compareILb0ELb1EjNS0_19identity_decomposerEEEEE10hipError_tT0_T1_T2_jT3_P12ihipStream_tbPNSt15iterator_traitsISK_E10value_typeEPNSQ_ISL_E10value_typeEPSM_NS1_7vsmem_tEENKUlT_SK_SL_SM_E_clIPjSE_SF_SF_EESJ_SZ_SK_SL_SM_EUlSZ_E0_NS1_11comp_targetILNS1_3genE8ELNS1_11target_archE1030ELNS1_3gpuE2ELNS1_3repE0EEENS1_38merge_mergepath_config_static_selectorELNS0_4arch9wavefront6targetE1EEEvSL_,comdat
.Lfunc_end1041:
	.size	_ZN7rocprim17ROCPRIM_400000_NS6detail17trampoline_kernelINS0_14default_configENS1_38merge_sort_block_merge_config_selectorIjNS0_10empty_typeEEEZZNS1_27merge_sort_block_merge_implIS3_N6thrust23THRUST_200600_302600_NS6detail15normal_iteratorINS9_10device_ptrIjEEEEPS5_jNS1_19radix_merge_compareILb0ELb1EjNS0_19identity_decomposerEEEEE10hipError_tT0_T1_T2_jT3_P12ihipStream_tbPNSt15iterator_traitsISK_E10value_typeEPNSQ_ISL_E10value_typeEPSM_NS1_7vsmem_tEENKUlT_SK_SL_SM_E_clIPjSE_SF_SF_EESJ_SZ_SK_SL_SM_EUlSZ_E0_NS1_11comp_targetILNS1_3genE8ELNS1_11target_archE1030ELNS1_3gpuE2ELNS1_3repE0EEENS1_38merge_mergepath_config_static_selectorELNS0_4arch9wavefront6targetE1EEEvSL_, .Lfunc_end1041-_ZN7rocprim17ROCPRIM_400000_NS6detail17trampoline_kernelINS0_14default_configENS1_38merge_sort_block_merge_config_selectorIjNS0_10empty_typeEEEZZNS1_27merge_sort_block_merge_implIS3_N6thrust23THRUST_200600_302600_NS6detail15normal_iteratorINS9_10device_ptrIjEEEEPS5_jNS1_19radix_merge_compareILb0ELb1EjNS0_19identity_decomposerEEEEE10hipError_tT0_T1_T2_jT3_P12ihipStream_tbPNSt15iterator_traitsISK_E10value_typeEPNSQ_ISL_E10value_typeEPSM_NS1_7vsmem_tEENKUlT_SK_SL_SM_E_clIPjSE_SF_SF_EESJ_SZ_SK_SL_SM_EUlSZ_E0_NS1_11comp_targetILNS1_3genE8ELNS1_11target_archE1030ELNS1_3gpuE2ELNS1_3repE0EEENS1_38merge_mergepath_config_static_selectorELNS0_4arch9wavefront6targetE1EEEvSL_
                                        ; -- End function
	.section	.AMDGPU.csdata,"",@progbits
; Kernel info:
; codeLenInByte = 0
; NumSgprs: 6
; NumVgprs: 0
; NumAgprs: 0
; TotalNumVgprs: 0
; ScratchSize: 0
; MemoryBound: 0
; FloatMode: 240
; IeeeMode: 1
; LDSByteSize: 0 bytes/workgroup (compile time only)
; SGPRBlocks: 0
; VGPRBlocks: 0
; NumSGPRsForWavesPerEU: 6
; NumVGPRsForWavesPerEU: 1
; AccumOffset: 4
; Occupancy: 8
; WaveLimiterHint : 0
; COMPUTE_PGM_RSRC2:SCRATCH_EN: 0
; COMPUTE_PGM_RSRC2:USER_SGPR: 2
; COMPUTE_PGM_RSRC2:TRAP_HANDLER: 0
; COMPUTE_PGM_RSRC2:TGID_X_EN: 1
; COMPUTE_PGM_RSRC2:TGID_Y_EN: 0
; COMPUTE_PGM_RSRC2:TGID_Z_EN: 0
; COMPUTE_PGM_RSRC2:TIDIG_COMP_CNT: 0
; COMPUTE_PGM_RSRC3_GFX90A:ACCUM_OFFSET: 0
; COMPUTE_PGM_RSRC3_GFX90A:TG_SPLIT: 0
	.section	.text._ZN7rocprim17ROCPRIM_400000_NS6detail17trampoline_kernelINS0_14default_configENS1_38merge_sort_block_merge_config_selectorIjNS0_10empty_typeEEEZZNS1_27merge_sort_block_merge_implIS3_N6thrust23THRUST_200600_302600_NS6detail15normal_iteratorINS9_10device_ptrIjEEEEPS5_jNS1_19radix_merge_compareILb0ELb1EjNS0_19identity_decomposerEEEEE10hipError_tT0_T1_T2_jT3_P12ihipStream_tbPNSt15iterator_traitsISK_E10value_typeEPNSQ_ISL_E10value_typeEPSM_NS1_7vsmem_tEENKUlT_SK_SL_SM_E_clIPjSE_SF_SF_EESJ_SZ_SK_SL_SM_EUlSZ_E1_NS1_11comp_targetILNS1_3genE0ELNS1_11target_archE4294967295ELNS1_3gpuE0ELNS1_3repE0EEENS1_36merge_oddeven_config_static_selectorELNS0_4arch9wavefront6targetE1EEEvSL_,"axG",@progbits,_ZN7rocprim17ROCPRIM_400000_NS6detail17trampoline_kernelINS0_14default_configENS1_38merge_sort_block_merge_config_selectorIjNS0_10empty_typeEEEZZNS1_27merge_sort_block_merge_implIS3_N6thrust23THRUST_200600_302600_NS6detail15normal_iteratorINS9_10device_ptrIjEEEEPS5_jNS1_19radix_merge_compareILb0ELb1EjNS0_19identity_decomposerEEEEE10hipError_tT0_T1_T2_jT3_P12ihipStream_tbPNSt15iterator_traitsISK_E10value_typeEPNSQ_ISL_E10value_typeEPSM_NS1_7vsmem_tEENKUlT_SK_SL_SM_E_clIPjSE_SF_SF_EESJ_SZ_SK_SL_SM_EUlSZ_E1_NS1_11comp_targetILNS1_3genE0ELNS1_11target_archE4294967295ELNS1_3gpuE0ELNS1_3repE0EEENS1_36merge_oddeven_config_static_selectorELNS0_4arch9wavefront6targetE1EEEvSL_,comdat
	.protected	_ZN7rocprim17ROCPRIM_400000_NS6detail17trampoline_kernelINS0_14default_configENS1_38merge_sort_block_merge_config_selectorIjNS0_10empty_typeEEEZZNS1_27merge_sort_block_merge_implIS3_N6thrust23THRUST_200600_302600_NS6detail15normal_iteratorINS9_10device_ptrIjEEEEPS5_jNS1_19radix_merge_compareILb0ELb1EjNS0_19identity_decomposerEEEEE10hipError_tT0_T1_T2_jT3_P12ihipStream_tbPNSt15iterator_traitsISK_E10value_typeEPNSQ_ISL_E10value_typeEPSM_NS1_7vsmem_tEENKUlT_SK_SL_SM_E_clIPjSE_SF_SF_EESJ_SZ_SK_SL_SM_EUlSZ_E1_NS1_11comp_targetILNS1_3genE0ELNS1_11target_archE4294967295ELNS1_3gpuE0ELNS1_3repE0EEENS1_36merge_oddeven_config_static_selectorELNS0_4arch9wavefront6targetE1EEEvSL_ ; -- Begin function _ZN7rocprim17ROCPRIM_400000_NS6detail17trampoline_kernelINS0_14default_configENS1_38merge_sort_block_merge_config_selectorIjNS0_10empty_typeEEEZZNS1_27merge_sort_block_merge_implIS3_N6thrust23THRUST_200600_302600_NS6detail15normal_iteratorINS9_10device_ptrIjEEEEPS5_jNS1_19radix_merge_compareILb0ELb1EjNS0_19identity_decomposerEEEEE10hipError_tT0_T1_T2_jT3_P12ihipStream_tbPNSt15iterator_traitsISK_E10value_typeEPNSQ_ISL_E10value_typeEPSM_NS1_7vsmem_tEENKUlT_SK_SL_SM_E_clIPjSE_SF_SF_EESJ_SZ_SK_SL_SM_EUlSZ_E1_NS1_11comp_targetILNS1_3genE0ELNS1_11target_archE4294967295ELNS1_3gpuE0ELNS1_3repE0EEENS1_36merge_oddeven_config_static_selectorELNS0_4arch9wavefront6targetE1EEEvSL_
	.globl	_ZN7rocprim17ROCPRIM_400000_NS6detail17trampoline_kernelINS0_14default_configENS1_38merge_sort_block_merge_config_selectorIjNS0_10empty_typeEEEZZNS1_27merge_sort_block_merge_implIS3_N6thrust23THRUST_200600_302600_NS6detail15normal_iteratorINS9_10device_ptrIjEEEEPS5_jNS1_19radix_merge_compareILb0ELb1EjNS0_19identity_decomposerEEEEE10hipError_tT0_T1_T2_jT3_P12ihipStream_tbPNSt15iterator_traitsISK_E10value_typeEPNSQ_ISL_E10value_typeEPSM_NS1_7vsmem_tEENKUlT_SK_SL_SM_E_clIPjSE_SF_SF_EESJ_SZ_SK_SL_SM_EUlSZ_E1_NS1_11comp_targetILNS1_3genE0ELNS1_11target_archE4294967295ELNS1_3gpuE0ELNS1_3repE0EEENS1_36merge_oddeven_config_static_selectorELNS0_4arch9wavefront6targetE1EEEvSL_
	.p2align	8
	.type	_ZN7rocprim17ROCPRIM_400000_NS6detail17trampoline_kernelINS0_14default_configENS1_38merge_sort_block_merge_config_selectorIjNS0_10empty_typeEEEZZNS1_27merge_sort_block_merge_implIS3_N6thrust23THRUST_200600_302600_NS6detail15normal_iteratorINS9_10device_ptrIjEEEEPS5_jNS1_19radix_merge_compareILb0ELb1EjNS0_19identity_decomposerEEEEE10hipError_tT0_T1_T2_jT3_P12ihipStream_tbPNSt15iterator_traitsISK_E10value_typeEPNSQ_ISL_E10value_typeEPSM_NS1_7vsmem_tEENKUlT_SK_SL_SM_E_clIPjSE_SF_SF_EESJ_SZ_SK_SL_SM_EUlSZ_E1_NS1_11comp_targetILNS1_3genE0ELNS1_11target_archE4294967295ELNS1_3gpuE0ELNS1_3repE0EEENS1_36merge_oddeven_config_static_selectorELNS0_4arch9wavefront6targetE1EEEvSL_,@function
_ZN7rocprim17ROCPRIM_400000_NS6detail17trampoline_kernelINS0_14default_configENS1_38merge_sort_block_merge_config_selectorIjNS0_10empty_typeEEEZZNS1_27merge_sort_block_merge_implIS3_N6thrust23THRUST_200600_302600_NS6detail15normal_iteratorINS9_10device_ptrIjEEEEPS5_jNS1_19radix_merge_compareILb0ELb1EjNS0_19identity_decomposerEEEEE10hipError_tT0_T1_T2_jT3_P12ihipStream_tbPNSt15iterator_traitsISK_E10value_typeEPNSQ_ISL_E10value_typeEPSM_NS1_7vsmem_tEENKUlT_SK_SL_SM_E_clIPjSE_SF_SF_EESJ_SZ_SK_SL_SM_EUlSZ_E1_NS1_11comp_targetILNS1_3genE0ELNS1_11target_archE4294967295ELNS1_3gpuE0ELNS1_3repE0EEENS1_36merge_oddeven_config_static_selectorELNS0_4arch9wavefront6targetE1EEEvSL_: ; @_ZN7rocprim17ROCPRIM_400000_NS6detail17trampoline_kernelINS0_14default_configENS1_38merge_sort_block_merge_config_selectorIjNS0_10empty_typeEEEZZNS1_27merge_sort_block_merge_implIS3_N6thrust23THRUST_200600_302600_NS6detail15normal_iteratorINS9_10device_ptrIjEEEEPS5_jNS1_19radix_merge_compareILb0ELb1EjNS0_19identity_decomposerEEEEE10hipError_tT0_T1_T2_jT3_P12ihipStream_tbPNSt15iterator_traitsISK_E10value_typeEPNSQ_ISL_E10value_typeEPSM_NS1_7vsmem_tEENKUlT_SK_SL_SM_E_clIPjSE_SF_SF_EESJ_SZ_SK_SL_SM_EUlSZ_E1_NS1_11comp_targetILNS1_3genE0ELNS1_11target_archE4294967295ELNS1_3gpuE0ELNS1_3repE0EEENS1_36merge_oddeven_config_static_selectorELNS0_4arch9wavefront6targetE1EEEvSL_
; %bb.0:
	.section	.rodata,"a",@progbits
	.p2align	6, 0x0
	.amdhsa_kernel _ZN7rocprim17ROCPRIM_400000_NS6detail17trampoline_kernelINS0_14default_configENS1_38merge_sort_block_merge_config_selectorIjNS0_10empty_typeEEEZZNS1_27merge_sort_block_merge_implIS3_N6thrust23THRUST_200600_302600_NS6detail15normal_iteratorINS9_10device_ptrIjEEEEPS5_jNS1_19radix_merge_compareILb0ELb1EjNS0_19identity_decomposerEEEEE10hipError_tT0_T1_T2_jT3_P12ihipStream_tbPNSt15iterator_traitsISK_E10value_typeEPNSQ_ISL_E10value_typeEPSM_NS1_7vsmem_tEENKUlT_SK_SL_SM_E_clIPjSE_SF_SF_EESJ_SZ_SK_SL_SM_EUlSZ_E1_NS1_11comp_targetILNS1_3genE0ELNS1_11target_archE4294967295ELNS1_3gpuE0ELNS1_3repE0EEENS1_36merge_oddeven_config_static_selectorELNS0_4arch9wavefront6targetE1EEEvSL_
		.amdhsa_group_segment_fixed_size 0
		.amdhsa_private_segment_fixed_size 0
		.amdhsa_kernarg_size 48
		.amdhsa_user_sgpr_count 2
		.amdhsa_user_sgpr_dispatch_ptr 0
		.amdhsa_user_sgpr_queue_ptr 0
		.amdhsa_user_sgpr_kernarg_segment_ptr 1
		.amdhsa_user_sgpr_dispatch_id 0
		.amdhsa_user_sgpr_kernarg_preload_length 0
		.amdhsa_user_sgpr_kernarg_preload_offset 0
		.amdhsa_user_sgpr_private_segment_size 0
		.amdhsa_uses_dynamic_stack 0
		.amdhsa_enable_private_segment 0
		.amdhsa_system_sgpr_workgroup_id_x 1
		.amdhsa_system_sgpr_workgroup_id_y 0
		.amdhsa_system_sgpr_workgroup_id_z 0
		.amdhsa_system_sgpr_workgroup_info 0
		.amdhsa_system_vgpr_workitem_id 0
		.amdhsa_next_free_vgpr 1
		.amdhsa_next_free_sgpr 0
		.amdhsa_accum_offset 4
		.amdhsa_reserve_vcc 0
		.amdhsa_float_round_mode_32 0
		.amdhsa_float_round_mode_16_64 0
		.amdhsa_float_denorm_mode_32 3
		.amdhsa_float_denorm_mode_16_64 3
		.amdhsa_dx10_clamp 1
		.amdhsa_ieee_mode 1
		.amdhsa_fp16_overflow 0
		.amdhsa_tg_split 0
		.amdhsa_exception_fp_ieee_invalid_op 0
		.amdhsa_exception_fp_denorm_src 0
		.amdhsa_exception_fp_ieee_div_zero 0
		.amdhsa_exception_fp_ieee_overflow 0
		.amdhsa_exception_fp_ieee_underflow 0
		.amdhsa_exception_fp_ieee_inexact 0
		.amdhsa_exception_int_div_zero 0
	.end_amdhsa_kernel
	.section	.text._ZN7rocprim17ROCPRIM_400000_NS6detail17trampoline_kernelINS0_14default_configENS1_38merge_sort_block_merge_config_selectorIjNS0_10empty_typeEEEZZNS1_27merge_sort_block_merge_implIS3_N6thrust23THRUST_200600_302600_NS6detail15normal_iteratorINS9_10device_ptrIjEEEEPS5_jNS1_19radix_merge_compareILb0ELb1EjNS0_19identity_decomposerEEEEE10hipError_tT0_T1_T2_jT3_P12ihipStream_tbPNSt15iterator_traitsISK_E10value_typeEPNSQ_ISL_E10value_typeEPSM_NS1_7vsmem_tEENKUlT_SK_SL_SM_E_clIPjSE_SF_SF_EESJ_SZ_SK_SL_SM_EUlSZ_E1_NS1_11comp_targetILNS1_3genE0ELNS1_11target_archE4294967295ELNS1_3gpuE0ELNS1_3repE0EEENS1_36merge_oddeven_config_static_selectorELNS0_4arch9wavefront6targetE1EEEvSL_,"axG",@progbits,_ZN7rocprim17ROCPRIM_400000_NS6detail17trampoline_kernelINS0_14default_configENS1_38merge_sort_block_merge_config_selectorIjNS0_10empty_typeEEEZZNS1_27merge_sort_block_merge_implIS3_N6thrust23THRUST_200600_302600_NS6detail15normal_iteratorINS9_10device_ptrIjEEEEPS5_jNS1_19radix_merge_compareILb0ELb1EjNS0_19identity_decomposerEEEEE10hipError_tT0_T1_T2_jT3_P12ihipStream_tbPNSt15iterator_traitsISK_E10value_typeEPNSQ_ISL_E10value_typeEPSM_NS1_7vsmem_tEENKUlT_SK_SL_SM_E_clIPjSE_SF_SF_EESJ_SZ_SK_SL_SM_EUlSZ_E1_NS1_11comp_targetILNS1_3genE0ELNS1_11target_archE4294967295ELNS1_3gpuE0ELNS1_3repE0EEENS1_36merge_oddeven_config_static_selectorELNS0_4arch9wavefront6targetE1EEEvSL_,comdat
.Lfunc_end1042:
	.size	_ZN7rocprim17ROCPRIM_400000_NS6detail17trampoline_kernelINS0_14default_configENS1_38merge_sort_block_merge_config_selectorIjNS0_10empty_typeEEEZZNS1_27merge_sort_block_merge_implIS3_N6thrust23THRUST_200600_302600_NS6detail15normal_iteratorINS9_10device_ptrIjEEEEPS5_jNS1_19radix_merge_compareILb0ELb1EjNS0_19identity_decomposerEEEEE10hipError_tT0_T1_T2_jT3_P12ihipStream_tbPNSt15iterator_traitsISK_E10value_typeEPNSQ_ISL_E10value_typeEPSM_NS1_7vsmem_tEENKUlT_SK_SL_SM_E_clIPjSE_SF_SF_EESJ_SZ_SK_SL_SM_EUlSZ_E1_NS1_11comp_targetILNS1_3genE0ELNS1_11target_archE4294967295ELNS1_3gpuE0ELNS1_3repE0EEENS1_36merge_oddeven_config_static_selectorELNS0_4arch9wavefront6targetE1EEEvSL_, .Lfunc_end1042-_ZN7rocprim17ROCPRIM_400000_NS6detail17trampoline_kernelINS0_14default_configENS1_38merge_sort_block_merge_config_selectorIjNS0_10empty_typeEEEZZNS1_27merge_sort_block_merge_implIS3_N6thrust23THRUST_200600_302600_NS6detail15normal_iteratorINS9_10device_ptrIjEEEEPS5_jNS1_19radix_merge_compareILb0ELb1EjNS0_19identity_decomposerEEEEE10hipError_tT0_T1_T2_jT3_P12ihipStream_tbPNSt15iterator_traitsISK_E10value_typeEPNSQ_ISL_E10value_typeEPSM_NS1_7vsmem_tEENKUlT_SK_SL_SM_E_clIPjSE_SF_SF_EESJ_SZ_SK_SL_SM_EUlSZ_E1_NS1_11comp_targetILNS1_3genE0ELNS1_11target_archE4294967295ELNS1_3gpuE0ELNS1_3repE0EEENS1_36merge_oddeven_config_static_selectorELNS0_4arch9wavefront6targetE1EEEvSL_
                                        ; -- End function
	.section	.AMDGPU.csdata,"",@progbits
; Kernel info:
; codeLenInByte = 0
; NumSgprs: 6
; NumVgprs: 0
; NumAgprs: 0
; TotalNumVgprs: 0
; ScratchSize: 0
; MemoryBound: 0
; FloatMode: 240
; IeeeMode: 1
; LDSByteSize: 0 bytes/workgroup (compile time only)
; SGPRBlocks: 0
; VGPRBlocks: 0
; NumSGPRsForWavesPerEU: 6
; NumVGPRsForWavesPerEU: 1
; AccumOffset: 4
; Occupancy: 8
; WaveLimiterHint : 0
; COMPUTE_PGM_RSRC2:SCRATCH_EN: 0
; COMPUTE_PGM_RSRC2:USER_SGPR: 2
; COMPUTE_PGM_RSRC2:TRAP_HANDLER: 0
; COMPUTE_PGM_RSRC2:TGID_X_EN: 1
; COMPUTE_PGM_RSRC2:TGID_Y_EN: 0
; COMPUTE_PGM_RSRC2:TGID_Z_EN: 0
; COMPUTE_PGM_RSRC2:TIDIG_COMP_CNT: 0
; COMPUTE_PGM_RSRC3_GFX90A:ACCUM_OFFSET: 0
; COMPUTE_PGM_RSRC3_GFX90A:TG_SPLIT: 0
	.section	.text._ZN7rocprim17ROCPRIM_400000_NS6detail17trampoline_kernelINS0_14default_configENS1_38merge_sort_block_merge_config_selectorIjNS0_10empty_typeEEEZZNS1_27merge_sort_block_merge_implIS3_N6thrust23THRUST_200600_302600_NS6detail15normal_iteratorINS9_10device_ptrIjEEEEPS5_jNS1_19radix_merge_compareILb0ELb1EjNS0_19identity_decomposerEEEEE10hipError_tT0_T1_T2_jT3_P12ihipStream_tbPNSt15iterator_traitsISK_E10value_typeEPNSQ_ISL_E10value_typeEPSM_NS1_7vsmem_tEENKUlT_SK_SL_SM_E_clIPjSE_SF_SF_EESJ_SZ_SK_SL_SM_EUlSZ_E1_NS1_11comp_targetILNS1_3genE10ELNS1_11target_archE1201ELNS1_3gpuE5ELNS1_3repE0EEENS1_36merge_oddeven_config_static_selectorELNS0_4arch9wavefront6targetE1EEEvSL_,"axG",@progbits,_ZN7rocprim17ROCPRIM_400000_NS6detail17trampoline_kernelINS0_14default_configENS1_38merge_sort_block_merge_config_selectorIjNS0_10empty_typeEEEZZNS1_27merge_sort_block_merge_implIS3_N6thrust23THRUST_200600_302600_NS6detail15normal_iteratorINS9_10device_ptrIjEEEEPS5_jNS1_19radix_merge_compareILb0ELb1EjNS0_19identity_decomposerEEEEE10hipError_tT0_T1_T2_jT3_P12ihipStream_tbPNSt15iterator_traitsISK_E10value_typeEPNSQ_ISL_E10value_typeEPSM_NS1_7vsmem_tEENKUlT_SK_SL_SM_E_clIPjSE_SF_SF_EESJ_SZ_SK_SL_SM_EUlSZ_E1_NS1_11comp_targetILNS1_3genE10ELNS1_11target_archE1201ELNS1_3gpuE5ELNS1_3repE0EEENS1_36merge_oddeven_config_static_selectorELNS0_4arch9wavefront6targetE1EEEvSL_,comdat
	.protected	_ZN7rocprim17ROCPRIM_400000_NS6detail17trampoline_kernelINS0_14default_configENS1_38merge_sort_block_merge_config_selectorIjNS0_10empty_typeEEEZZNS1_27merge_sort_block_merge_implIS3_N6thrust23THRUST_200600_302600_NS6detail15normal_iteratorINS9_10device_ptrIjEEEEPS5_jNS1_19radix_merge_compareILb0ELb1EjNS0_19identity_decomposerEEEEE10hipError_tT0_T1_T2_jT3_P12ihipStream_tbPNSt15iterator_traitsISK_E10value_typeEPNSQ_ISL_E10value_typeEPSM_NS1_7vsmem_tEENKUlT_SK_SL_SM_E_clIPjSE_SF_SF_EESJ_SZ_SK_SL_SM_EUlSZ_E1_NS1_11comp_targetILNS1_3genE10ELNS1_11target_archE1201ELNS1_3gpuE5ELNS1_3repE0EEENS1_36merge_oddeven_config_static_selectorELNS0_4arch9wavefront6targetE1EEEvSL_ ; -- Begin function _ZN7rocprim17ROCPRIM_400000_NS6detail17trampoline_kernelINS0_14default_configENS1_38merge_sort_block_merge_config_selectorIjNS0_10empty_typeEEEZZNS1_27merge_sort_block_merge_implIS3_N6thrust23THRUST_200600_302600_NS6detail15normal_iteratorINS9_10device_ptrIjEEEEPS5_jNS1_19radix_merge_compareILb0ELb1EjNS0_19identity_decomposerEEEEE10hipError_tT0_T1_T2_jT3_P12ihipStream_tbPNSt15iterator_traitsISK_E10value_typeEPNSQ_ISL_E10value_typeEPSM_NS1_7vsmem_tEENKUlT_SK_SL_SM_E_clIPjSE_SF_SF_EESJ_SZ_SK_SL_SM_EUlSZ_E1_NS1_11comp_targetILNS1_3genE10ELNS1_11target_archE1201ELNS1_3gpuE5ELNS1_3repE0EEENS1_36merge_oddeven_config_static_selectorELNS0_4arch9wavefront6targetE1EEEvSL_
	.globl	_ZN7rocprim17ROCPRIM_400000_NS6detail17trampoline_kernelINS0_14default_configENS1_38merge_sort_block_merge_config_selectorIjNS0_10empty_typeEEEZZNS1_27merge_sort_block_merge_implIS3_N6thrust23THRUST_200600_302600_NS6detail15normal_iteratorINS9_10device_ptrIjEEEEPS5_jNS1_19radix_merge_compareILb0ELb1EjNS0_19identity_decomposerEEEEE10hipError_tT0_T1_T2_jT3_P12ihipStream_tbPNSt15iterator_traitsISK_E10value_typeEPNSQ_ISL_E10value_typeEPSM_NS1_7vsmem_tEENKUlT_SK_SL_SM_E_clIPjSE_SF_SF_EESJ_SZ_SK_SL_SM_EUlSZ_E1_NS1_11comp_targetILNS1_3genE10ELNS1_11target_archE1201ELNS1_3gpuE5ELNS1_3repE0EEENS1_36merge_oddeven_config_static_selectorELNS0_4arch9wavefront6targetE1EEEvSL_
	.p2align	8
	.type	_ZN7rocprim17ROCPRIM_400000_NS6detail17trampoline_kernelINS0_14default_configENS1_38merge_sort_block_merge_config_selectorIjNS0_10empty_typeEEEZZNS1_27merge_sort_block_merge_implIS3_N6thrust23THRUST_200600_302600_NS6detail15normal_iteratorINS9_10device_ptrIjEEEEPS5_jNS1_19radix_merge_compareILb0ELb1EjNS0_19identity_decomposerEEEEE10hipError_tT0_T1_T2_jT3_P12ihipStream_tbPNSt15iterator_traitsISK_E10value_typeEPNSQ_ISL_E10value_typeEPSM_NS1_7vsmem_tEENKUlT_SK_SL_SM_E_clIPjSE_SF_SF_EESJ_SZ_SK_SL_SM_EUlSZ_E1_NS1_11comp_targetILNS1_3genE10ELNS1_11target_archE1201ELNS1_3gpuE5ELNS1_3repE0EEENS1_36merge_oddeven_config_static_selectorELNS0_4arch9wavefront6targetE1EEEvSL_,@function
_ZN7rocprim17ROCPRIM_400000_NS6detail17trampoline_kernelINS0_14default_configENS1_38merge_sort_block_merge_config_selectorIjNS0_10empty_typeEEEZZNS1_27merge_sort_block_merge_implIS3_N6thrust23THRUST_200600_302600_NS6detail15normal_iteratorINS9_10device_ptrIjEEEEPS5_jNS1_19radix_merge_compareILb0ELb1EjNS0_19identity_decomposerEEEEE10hipError_tT0_T1_T2_jT3_P12ihipStream_tbPNSt15iterator_traitsISK_E10value_typeEPNSQ_ISL_E10value_typeEPSM_NS1_7vsmem_tEENKUlT_SK_SL_SM_E_clIPjSE_SF_SF_EESJ_SZ_SK_SL_SM_EUlSZ_E1_NS1_11comp_targetILNS1_3genE10ELNS1_11target_archE1201ELNS1_3gpuE5ELNS1_3repE0EEENS1_36merge_oddeven_config_static_selectorELNS0_4arch9wavefront6targetE1EEEvSL_: ; @_ZN7rocprim17ROCPRIM_400000_NS6detail17trampoline_kernelINS0_14default_configENS1_38merge_sort_block_merge_config_selectorIjNS0_10empty_typeEEEZZNS1_27merge_sort_block_merge_implIS3_N6thrust23THRUST_200600_302600_NS6detail15normal_iteratorINS9_10device_ptrIjEEEEPS5_jNS1_19radix_merge_compareILb0ELb1EjNS0_19identity_decomposerEEEEE10hipError_tT0_T1_T2_jT3_P12ihipStream_tbPNSt15iterator_traitsISK_E10value_typeEPNSQ_ISL_E10value_typeEPSM_NS1_7vsmem_tEENKUlT_SK_SL_SM_E_clIPjSE_SF_SF_EESJ_SZ_SK_SL_SM_EUlSZ_E1_NS1_11comp_targetILNS1_3genE10ELNS1_11target_archE1201ELNS1_3gpuE5ELNS1_3repE0EEENS1_36merge_oddeven_config_static_selectorELNS0_4arch9wavefront6targetE1EEEvSL_
; %bb.0:
	.section	.rodata,"a",@progbits
	.p2align	6, 0x0
	.amdhsa_kernel _ZN7rocprim17ROCPRIM_400000_NS6detail17trampoline_kernelINS0_14default_configENS1_38merge_sort_block_merge_config_selectorIjNS0_10empty_typeEEEZZNS1_27merge_sort_block_merge_implIS3_N6thrust23THRUST_200600_302600_NS6detail15normal_iteratorINS9_10device_ptrIjEEEEPS5_jNS1_19radix_merge_compareILb0ELb1EjNS0_19identity_decomposerEEEEE10hipError_tT0_T1_T2_jT3_P12ihipStream_tbPNSt15iterator_traitsISK_E10value_typeEPNSQ_ISL_E10value_typeEPSM_NS1_7vsmem_tEENKUlT_SK_SL_SM_E_clIPjSE_SF_SF_EESJ_SZ_SK_SL_SM_EUlSZ_E1_NS1_11comp_targetILNS1_3genE10ELNS1_11target_archE1201ELNS1_3gpuE5ELNS1_3repE0EEENS1_36merge_oddeven_config_static_selectorELNS0_4arch9wavefront6targetE1EEEvSL_
		.amdhsa_group_segment_fixed_size 0
		.amdhsa_private_segment_fixed_size 0
		.amdhsa_kernarg_size 48
		.amdhsa_user_sgpr_count 2
		.amdhsa_user_sgpr_dispatch_ptr 0
		.amdhsa_user_sgpr_queue_ptr 0
		.amdhsa_user_sgpr_kernarg_segment_ptr 1
		.amdhsa_user_sgpr_dispatch_id 0
		.amdhsa_user_sgpr_kernarg_preload_length 0
		.amdhsa_user_sgpr_kernarg_preload_offset 0
		.amdhsa_user_sgpr_private_segment_size 0
		.amdhsa_uses_dynamic_stack 0
		.amdhsa_enable_private_segment 0
		.amdhsa_system_sgpr_workgroup_id_x 1
		.amdhsa_system_sgpr_workgroup_id_y 0
		.amdhsa_system_sgpr_workgroup_id_z 0
		.amdhsa_system_sgpr_workgroup_info 0
		.amdhsa_system_vgpr_workitem_id 0
		.amdhsa_next_free_vgpr 1
		.amdhsa_next_free_sgpr 0
		.amdhsa_accum_offset 4
		.amdhsa_reserve_vcc 0
		.amdhsa_float_round_mode_32 0
		.amdhsa_float_round_mode_16_64 0
		.amdhsa_float_denorm_mode_32 3
		.amdhsa_float_denorm_mode_16_64 3
		.amdhsa_dx10_clamp 1
		.amdhsa_ieee_mode 1
		.amdhsa_fp16_overflow 0
		.amdhsa_tg_split 0
		.amdhsa_exception_fp_ieee_invalid_op 0
		.amdhsa_exception_fp_denorm_src 0
		.amdhsa_exception_fp_ieee_div_zero 0
		.amdhsa_exception_fp_ieee_overflow 0
		.amdhsa_exception_fp_ieee_underflow 0
		.amdhsa_exception_fp_ieee_inexact 0
		.amdhsa_exception_int_div_zero 0
	.end_amdhsa_kernel
	.section	.text._ZN7rocprim17ROCPRIM_400000_NS6detail17trampoline_kernelINS0_14default_configENS1_38merge_sort_block_merge_config_selectorIjNS0_10empty_typeEEEZZNS1_27merge_sort_block_merge_implIS3_N6thrust23THRUST_200600_302600_NS6detail15normal_iteratorINS9_10device_ptrIjEEEEPS5_jNS1_19radix_merge_compareILb0ELb1EjNS0_19identity_decomposerEEEEE10hipError_tT0_T1_T2_jT3_P12ihipStream_tbPNSt15iterator_traitsISK_E10value_typeEPNSQ_ISL_E10value_typeEPSM_NS1_7vsmem_tEENKUlT_SK_SL_SM_E_clIPjSE_SF_SF_EESJ_SZ_SK_SL_SM_EUlSZ_E1_NS1_11comp_targetILNS1_3genE10ELNS1_11target_archE1201ELNS1_3gpuE5ELNS1_3repE0EEENS1_36merge_oddeven_config_static_selectorELNS0_4arch9wavefront6targetE1EEEvSL_,"axG",@progbits,_ZN7rocprim17ROCPRIM_400000_NS6detail17trampoline_kernelINS0_14default_configENS1_38merge_sort_block_merge_config_selectorIjNS0_10empty_typeEEEZZNS1_27merge_sort_block_merge_implIS3_N6thrust23THRUST_200600_302600_NS6detail15normal_iteratorINS9_10device_ptrIjEEEEPS5_jNS1_19radix_merge_compareILb0ELb1EjNS0_19identity_decomposerEEEEE10hipError_tT0_T1_T2_jT3_P12ihipStream_tbPNSt15iterator_traitsISK_E10value_typeEPNSQ_ISL_E10value_typeEPSM_NS1_7vsmem_tEENKUlT_SK_SL_SM_E_clIPjSE_SF_SF_EESJ_SZ_SK_SL_SM_EUlSZ_E1_NS1_11comp_targetILNS1_3genE10ELNS1_11target_archE1201ELNS1_3gpuE5ELNS1_3repE0EEENS1_36merge_oddeven_config_static_selectorELNS0_4arch9wavefront6targetE1EEEvSL_,comdat
.Lfunc_end1043:
	.size	_ZN7rocprim17ROCPRIM_400000_NS6detail17trampoline_kernelINS0_14default_configENS1_38merge_sort_block_merge_config_selectorIjNS0_10empty_typeEEEZZNS1_27merge_sort_block_merge_implIS3_N6thrust23THRUST_200600_302600_NS6detail15normal_iteratorINS9_10device_ptrIjEEEEPS5_jNS1_19radix_merge_compareILb0ELb1EjNS0_19identity_decomposerEEEEE10hipError_tT0_T1_T2_jT3_P12ihipStream_tbPNSt15iterator_traitsISK_E10value_typeEPNSQ_ISL_E10value_typeEPSM_NS1_7vsmem_tEENKUlT_SK_SL_SM_E_clIPjSE_SF_SF_EESJ_SZ_SK_SL_SM_EUlSZ_E1_NS1_11comp_targetILNS1_3genE10ELNS1_11target_archE1201ELNS1_3gpuE5ELNS1_3repE0EEENS1_36merge_oddeven_config_static_selectorELNS0_4arch9wavefront6targetE1EEEvSL_, .Lfunc_end1043-_ZN7rocprim17ROCPRIM_400000_NS6detail17trampoline_kernelINS0_14default_configENS1_38merge_sort_block_merge_config_selectorIjNS0_10empty_typeEEEZZNS1_27merge_sort_block_merge_implIS3_N6thrust23THRUST_200600_302600_NS6detail15normal_iteratorINS9_10device_ptrIjEEEEPS5_jNS1_19radix_merge_compareILb0ELb1EjNS0_19identity_decomposerEEEEE10hipError_tT0_T1_T2_jT3_P12ihipStream_tbPNSt15iterator_traitsISK_E10value_typeEPNSQ_ISL_E10value_typeEPSM_NS1_7vsmem_tEENKUlT_SK_SL_SM_E_clIPjSE_SF_SF_EESJ_SZ_SK_SL_SM_EUlSZ_E1_NS1_11comp_targetILNS1_3genE10ELNS1_11target_archE1201ELNS1_3gpuE5ELNS1_3repE0EEENS1_36merge_oddeven_config_static_selectorELNS0_4arch9wavefront6targetE1EEEvSL_
                                        ; -- End function
	.section	.AMDGPU.csdata,"",@progbits
; Kernel info:
; codeLenInByte = 0
; NumSgprs: 6
; NumVgprs: 0
; NumAgprs: 0
; TotalNumVgprs: 0
; ScratchSize: 0
; MemoryBound: 0
; FloatMode: 240
; IeeeMode: 1
; LDSByteSize: 0 bytes/workgroup (compile time only)
; SGPRBlocks: 0
; VGPRBlocks: 0
; NumSGPRsForWavesPerEU: 6
; NumVGPRsForWavesPerEU: 1
; AccumOffset: 4
; Occupancy: 8
; WaveLimiterHint : 0
; COMPUTE_PGM_RSRC2:SCRATCH_EN: 0
; COMPUTE_PGM_RSRC2:USER_SGPR: 2
; COMPUTE_PGM_RSRC2:TRAP_HANDLER: 0
; COMPUTE_PGM_RSRC2:TGID_X_EN: 1
; COMPUTE_PGM_RSRC2:TGID_Y_EN: 0
; COMPUTE_PGM_RSRC2:TGID_Z_EN: 0
; COMPUTE_PGM_RSRC2:TIDIG_COMP_CNT: 0
; COMPUTE_PGM_RSRC3_GFX90A:ACCUM_OFFSET: 0
; COMPUTE_PGM_RSRC3_GFX90A:TG_SPLIT: 0
	.section	.text._ZN7rocprim17ROCPRIM_400000_NS6detail17trampoline_kernelINS0_14default_configENS1_38merge_sort_block_merge_config_selectorIjNS0_10empty_typeEEEZZNS1_27merge_sort_block_merge_implIS3_N6thrust23THRUST_200600_302600_NS6detail15normal_iteratorINS9_10device_ptrIjEEEEPS5_jNS1_19radix_merge_compareILb0ELb1EjNS0_19identity_decomposerEEEEE10hipError_tT0_T1_T2_jT3_P12ihipStream_tbPNSt15iterator_traitsISK_E10value_typeEPNSQ_ISL_E10value_typeEPSM_NS1_7vsmem_tEENKUlT_SK_SL_SM_E_clIPjSE_SF_SF_EESJ_SZ_SK_SL_SM_EUlSZ_E1_NS1_11comp_targetILNS1_3genE5ELNS1_11target_archE942ELNS1_3gpuE9ELNS1_3repE0EEENS1_36merge_oddeven_config_static_selectorELNS0_4arch9wavefront6targetE1EEEvSL_,"axG",@progbits,_ZN7rocprim17ROCPRIM_400000_NS6detail17trampoline_kernelINS0_14default_configENS1_38merge_sort_block_merge_config_selectorIjNS0_10empty_typeEEEZZNS1_27merge_sort_block_merge_implIS3_N6thrust23THRUST_200600_302600_NS6detail15normal_iteratorINS9_10device_ptrIjEEEEPS5_jNS1_19radix_merge_compareILb0ELb1EjNS0_19identity_decomposerEEEEE10hipError_tT0_T1_T2_jT3_P12ihipStream_tbPNSt15iterator_traitsISK_E10value_typeEPNSQ_ISL_E10value_typeEPSM_NS1_7vsmem_tEENKUlT_SK_SL_SM_E_clIPjSE_SF_SF_EESJ_SZ_SK_SL_SM_EUlSZ_E1_NS1_11comp_targetILNS1_3genE5ELNS1_11target_archE942ELNS1_3gpuE9ELNS1_3repE0EEENS1_36merge_oddeven_config_static_selectorELNS0_4arch9wavefront6targetE1EEEvSL_,comdat
	.protected	_ZN7rocprim17ROCPRIM_400000_NS6detail17trampoline_kernelINS0_14default_configENS1_38merge_sort_block_merge_config_selectorIjNS0_10empty_typeEEEZZNS1_27merge_sort_block_merge_implIS3_N6thrust23THRUST_200600_302600_NS6detail15normal_iteratorINS9_10device_ptrIjEEEEPS5_jNS1_19radix_merge_compareILb0ELb1EjNS0_19identity_decomposerEEEEE10hipError_tT0_T1_T2_jT3_P12ihipStream_tbPNSt15iterator_traitsISK_E10value_typeEPNSQ_ISL_E10value_typeEPSM_NS1_7vsmem_tEENKUlT_SK_SL_SM_E_clIPjSE_SF_SF_EESJ_SZ_SK_SL_SM_EUlSZ_E1_NS1_11comp_targetILNS1_3genE5ELNS1_11target_archE942ELNS1_3gpuE9ELNS1_3repE0EEENS1_36merge_oddeven_config_static_selectorELNS0_4arch9wavefront6targetE1EEEvSL_ ; -- Begin function _ZN7rocprim17ROCPRIM_400000_NS6detail17trampoline_kernelINS0_14default_configENS1_38merge_sort_block_merge_config_selectorIjNS0_10empty_typeEEEZZNS1_27merge_sort_block_merge_implIS3_N6thrust23THRUST_200600_302600_NS6detail15normal_iteratorINS9_10device_ptrIjEEEEPS5_jNS1_19radix_merge_compareILb0ELb1EjNS0_19identity_decomposerEEEEE10hipError_tT0_T1_T2_jT3_P12ihipStream_tbPNSt15iterator_traitsISK_E10value_typeEPNSQ_ISL_E10value_typeEPSM_NS1_7vsmem_tEENKUlT_SK_SL_SM_E_clIPjSE_SF_SF_EESJ_SZ_SK_SL_SM_EUlSZ_E1_NS1_11comp_targetILNS1_3genE5ELNS1_11target_archE942ELNS1_3gpuE9ELNS1_3repE0EEENS1_36merge_oddeven_config_static_selectorELNS0_4arch9wavefront6targetE1EEEvSL_
	.globl	_ZN7rocprim17ROCPRIM_400000_NS6detail17trampoline_kernelINS0_14default_configENS1_38merge_sort_block_merge_config_selectorIjNS0_10empty_typeEEEZZNS1_27merge_sort_block_merge_implIS3_N6thrust23THRUST_200600_302600_NS6detail15normal_iteratorINS9_10device_ptrIjEEEEPS5_jNS1_19radix_merge_compareILb0ELb1EjNS0_19identity_decomposerEEEEE10hipError_tT0_T1_T2_jT3_P12ihipStream_tbPNSt15iterator_traitsISK_E10value_typeEPNSQ_ISL_E10value_typeEPSM_NS1_7vsmem_tEENKUlT_SK_SL_SM_E_clIPjSE_SF_SF_EESJ_SZ_SK_SL_SM_EUlSZ_E1_NS1_11comp_targetILNS1_3genE5ELNS1_11target_archE942ELNS1_3gpuE9ELNS1_3repE0EEENS1_36merge_oddeven_config_static_selectorELNS0_4arch9wavefront6targetE1EEEvSL_
	.p2align	8
	.type	_ZN7rocprim17ROCPRIM_400000_NS6detail17trampoline_kernelINS0_14default_configENS1_38merge_sort_block_merge_config_selectorIjNS0_10empty_typeEEEZZNS1_27merge_sort_block_merge_implIS3_N6thrust23THRUST_200600_302600_NS6detail15normal_iteratorINS9_10device_ptrIjEEEEPS5_jNS1_19radix_merge_compareILb0ELb1EjNS0_19identity_decomposerEEEEE10hipError_tT0_T1_T2_jT3_P12ihipStream_tbPNSt15iterator_traitsISK_E10value_typeEPNSQ_ISL_E10value_typeEPSM_NS1_7vsmem_tEENKUlT_SK_SL_SM_E_clIPjSE_SF_SF_EESJ_SZ_SK_SL_SM_EUlSZ_E1_NS1_11comp_targetILNS1_3genE5ELNS1_11target_archE942ELNS1_3gpuE9ELNS1_3repE0EEENS1_36merge_oddeven_config_static_selectorELNS0_4arch9wavefront6targetE1EEEvSL_,@function
_ZN7rocprim17ROCPRIM_400000_NS6detail17trampoline_kernelINS0_14default_configENS1_38merge_sort_block_merge_config_selectorIjNS0_10empty_typeEEEZZNS1_27merge_sort_block_merge_implIS3_N6thrust23THRUST_200600_302600_NS6detail15normal_iteratorINS9_10device_ptrIjEEEEPS5_jNS1_19radix_merge_compareILb0ELb1EjNS0_19identity_decomposerEEEEE10hipError_tT0_T1_T2_jT3_P12ihipStream_tbPNSt15iterator_traitsISK_E10value_typeEPNSQ_ISL_E10value_typeEPSM_NS1_7vsmem_tEENKUlT_SK_SL_SM_E_clIPjSE_SF_SF_EESJ_SZ_SK_SL_SM_EUlSZ_E1_NS1_11comp_targetILNS1_3genE5ELNS1_11target_archE942ELNS1_3gpuE9ELNS1_3repE0EEENS1_36merge_oddeven_config_static_selectorELNS0_4arch9wavefront6targetE1EEEvSL_: ; @_ZN7rocprim17ROCPRIM_400000_NS6detail17trampoline_kernelINS0_14default_configENS1_38merge_sort_block_merge_config_selectorIjNS0_10empty_typeEEEZZNS1_27merge_sort_block_merge_implIS3_N6thrust23THRUST_200600_302600_NS6detail15normal_iteratorINS9_10device_ptrIjEEEEPS5_jNS1_19radix_merge_compareILb0ELb1EjNS0_19identity_decomposerEEEEE10hipError_tT0_T1_T2_jT3_P12ihipStream_tbPNSt15iterator_traitsISK_E10value_typeEPNSQ_ISL_E10value_typeEPSM_NS1_7vsmem_tEENKUlT_SK_SL_SM_E_clIPjSE_SF_SF_EESJ_SZ_SK_SL_SM_EUlSZ_E1_NS1_11comp_targetILNS1_3genE5ELNS1_11target_archE942ELNS1_3gpuE9ELNS1_3repE0EEENS1_36merge_oddeven_config_static_selectorELNS0_4arch9wavefront6targetE1EEEvSL_
; %bb.0:
	s_load_dword s18, s[0:1], 0x20
	s_waitcnt lgkmcnt(0)
	s_lshr_b32 s3, s18, 8
	s_cmp_lg_u32 s2, s3
	s_cselect_b64 s[14:15], -1, 0
	s_cmp_eq_u32 s2, s3
	s_cselect_b64 s[12:13], -1, 0
	s_lshl_b32 s16, s2, 8
	s_sub_i32 s3, s18, s16
	v_cmp_gt_u32_e64 s[6:7], s3, v0
	s_or_b64 s[4:5], s[14:15], s[6:7]
	s_and_saveexec_b64 s[8:9], s[4:5]
	s_cbranch_execz .LBB1044_20
; %bb.1:
	s_load_dwordx4 s[8:11], s[0:1], 0x0
	s_load_dword s19, s[0:1], 0x24
	s_mov_b32 s17, 0
	s_lshl_b64 s[4:5], s[16:17], 2
	v_lshlrev_b32_e32 v1, 2, v0
	s_waitcnt lgkmcnt(0)
	s_add_u32 s4, s8, s4
	s_addc_u32 s5, s9, s5
	global_load_dword v2, v1, s[4:5]
	s_lshr_b32 s3, s19, 8
	s_sub_i32 s4, 0, s3
	s_and_b32 s2, s2, s4
	s_and_b32 s3, s2, s3
	s_lshl_b32 s20, s2, 8
	s_sub_i32 s17, 0, s19
	s_cmp_eq_u32 s3, 0
	s_cselect_b64 s[4:5], -1, 0
	s_and_b64 s[2:3], s[4:5], exec
	s_cselect_b32 s17, s19, s17
	s_add_i32 s17, s17, s20
	s_cmp_lt_u32 s17, s18
	v_add_u32_e32 v0, s16, v0
	s_cbranch_scc1 .LBB1044_3
; %bb.2:
	v_cmp_gt_u32_e32 vcc, s18, v0
	s_or_b64 s[2:3], vcc, s[14:15]
	s_and_b64 s[2:3], s[2:3], exec
	s_cbranch_execz .LBB1044_4
	s_branch .LBB1044_18
.LBB1044_3:
	s_mov_b64 s[2:3], 0
.LBB1044_4:
	s_load_dword s14, s[0:1], 0x28
	s_min_u32 s15, s17, s18
	s_add_i32 s0, s15, s19
	s_min_u32 s16, s0, s18
	s_min_u32 s0, s20, s15
	s_add_i32 s20, s20, s15
	v_subrev_u32_e32 v0, s20, v0
	v_add_u32_e32 v3, s0, v0
	s_and_b64 vcc, exec, s[12:13]
	s_cbranch_vccz .LBB1044_12
; %bb.5:
                                        ; implicit-def: $vgpr0
	s_and_saveexec_b64 s[0:1], s[6:7]
	s_cbranch_execz .LBB1044_11
; %bb.6:
	s_cmp_ge_u32 s17, s16
	v_mov_b32_e32 v4, s15
	s_cbranch_scc1 .LBB1044_10
; %bb.7:
	s_waitcnt vmcnt(0) lgkmcnt(0)
	v_and_b32_e32 v5, s14, v2
	s_mov_b64 s[6:7], 0
	v_mov_b32_e32 v6, s16
	v_mov_b32_e32 v4, s15
	;; [unrolled: 1-line block ×3, first 2 shown]
.LBB1044_8:                             ; =>This Inner Loop Header: Depth=1
	v_add_u32_e32 v0, v4, v6
	v_lshrrev_b32_e32 v0, 1, v0
	v_lshl_add_u64 v[8:9], v[0:1], 2, s[8:9]
	global_load_dword v7, v[8:9], off
	v_add_u32_e32 v8, 1, v0
	s_waitcnt vmcnt(0)
	v_and_b32_e32 v7, s14, v7
	v_cmp_gt_u32_e32 vcc, v5, v7
	s_nop 1
	v_cndmask_b32_e64 v9, 0, 1, vcc
	v_cmp_le_u32_e32 vcc, v7, v5
	s_nop 1
	v_cndmask_b32_e64 v7, 0, 1, vcc
	v_cndmask_b32_e64 v7, v7, v9, s[4:5]
	v_and_b32_e32 v7, 1, v7
	v_cmp_eq_u32_e32 vcc, 1, v7
	s_nop 1
	v_cndmask_b32_e32 v6, v0, v6, vcc
	v_cndmask_b32_e32 v4, v4, v8, vcc
	v_cmp_ge_u32_e32 vcc, v4, v6
	s_or_b64 s[6:7], vcc, s[6:7]
	s_andn2_b64 exec, exec, s[6:7]
	s_cbranch_execnz .LBB1044_8
; %bb.9:
	s_or_b64 exec, exec, s[6:7]
.LBB1044_10:
	v_add_u32_e32 v0, v4, v3
	s_or_b64 s[2:3], s[2:3], exec
.LBB1044_11:
	s_or_b64 exec, exec, s[0:1]
	s_branch .LBB1044_18
.LBB1044_12:
                                        ; implicit-def: $vgpr0
	s_cbranch_execz .LBB1044_18
; %bb.13:
	s_cmp_ge_u32 s17, s16
	v_mov_b32_e32 v4, s15
	s_cbranch_scc1 .LBB1044_17
; %bb.14:
	s_waitcnt vmcnt(0) lgkmcnt(0)
	v_and_b32_e32 v5, s14, v2
	s_mov_b64 s[0:1], 0
	v_mov_b32_e32 v6, s16
	v_mov_b32_e32 v4, s15
	;; [unrolled: 1-line block ×3, first 2 shown]
.LBB1044_15:                            ; =>This Inner Loop Header: Depth=1
	v_add_u32_e32 v0, v4, v6
	v_lshrrev_b32_e32 v0, 1, v0
	v_lshl_add_u64 v[8:9], v[0:1], 2, s[8:9]
	global_load_dword v7, v[8:9], off
	v_add_u32_e32 v8, 1, v0
	s_waitcnt vmcnt(0)
	v_and_b32_e32 v7, s14, v7
	v_cmp_gt_u32_e32 vcc, v5, v7
	s_nop 1
	v_cndmask_b32_e64 v9, 0, 1, vcc
	v_cmp_le_u32_e32 vcc, v7, v5
	s_nop 1
	v_cndmask_b32_e64 v7, 0, 1, vcc
	v_cndmask_b32_e64 v7, v7, v9, s[4:5]
	v_and_b32_e32 v7, 1, v7
	v_cmp_eq_u32_e32 vcc, 1, v7
	s_nop 1
	v_cndmask_b32_e32 v6, v0, v6, vcc
	v_cndmask_b32_e32 v4, v4, v8, vcc
	v_cmp_ge_u32_e32 vcc, v4, v6
	s_or_b64 s[0:1], vcc, s[0:1]
	s_andn2_b64 exec, exec, s[0:1]
	s_cbranch_execnz .LBB1044_15
; %bb.16:
	s_or_b64 exec, exec, s[0:1]
.LBB1044_17:
	v_add_u32_e32 v0, v4, v3
	s_mov_b64 s[2:3], -1
.LBB1044_18:
	s_and_b64 exec, exec, s[2:3]
	s_cbranch_execz .LBB1044_20
; %bb.19:
	v_mov_b32_e32 v4, s10
	v_mov_b32_e32 v5, s11
	;; [unrolled: 1-line block ×3, first 2 shown]
	v_lshl_add_u64 v[0:1], v[0:1], 2, v[4:5]
	s_waitcnt vmcnt(0)
	global_store_dword v[0:1], v2, off
.LBB1044_20:
	s_endpgm
	.section	.rodata,"a",@progbits
	.p2align	6, 0x0
	.amdhsa_kernel _ZN7rocprim17ROCPRIM_400000_NS6detail17trampoline_kernelINS0_14default_configENS1_38merge_sort_block_merge_config_selectorIjNS0_10empty_typeEEEZZNS1_27merge_sort_block_merge_implIS3_N6thrust23THRUST_200600_302600_NS6detail15normal_iteratorINS9_10device_ptrIjEEEEPS5_jNS1_19radix_merge_compareILb0ELb1EjNS0_19identity_decomposerEEEEE10hipError_tT0_T1_T2_jT3_P12ihipStream_tbPNSt15iterator_traitsISK_E10value_typeEPNSQ_ISL_E10value_typeEPSM_NS1_7vsmem_tEENKUlT_SK_SL_SM_E_clIPjSE_SF_SF_EESJ_SZ_SK_SL_SM_EUlSZ_E1_NS1_11comp_targetILNS1_3genE5ELNS1_11target_archE942ELNS1_3gpuE9ELNS1_3repE0EEENS1_36merge_oddeven_config_static_selectorELNS0_4arch9wavefront6targetE1EEEvSL_
		.amdhsa_group_segment_fixed_size 0
		.amdhsa_private_segment_fixed_size 0
		.amdhsa_kernarg_size 48
		.amdhsa_user_sgpr_count 2
		.amdhsa_user_sgpr_dispatch_ptr 0
		.amdhsa_user_sgpr_queue_ptr 0
		.amdhsa_user_sgpr_kernarg_segment_ptr 1
		.amdhsa_user_sgpr_dispatch_id 0
		.amdhsa_user_sgpr_kernarg_preload_length 0
		.amdhsa_user_sgpr_kernarg_preload_offset 0
		.amdhsa_user_sgpr_private_segment_size 0
		.amdhsa_uses_dynamic_stack 0
		.amdhsa_enable_private_segment 0
		.amdhsa_system_sgpr_workgroup_id_x 1
		.amdhsa_system_sgpr_workgroup_id_y 0
		.amdhsa_system_sgpr_workgroup_id_z 0
		.amdhsa_system_sgpr_workgroup_info 0
		.amdhsa_system_vgpr_workitem_id 0
		.amdhsa_next_free_vgpr 10
		.amdhsa_next_free_sgpr 21
		.amdhsa_accum_offset 12
		.amdhsa_reserve_vcc 1
		.amdhsa_float_round_mode_32 0
		.amdhsa_float_round_mode_16_64 0
		.amdhsa_float_denorm_mode_32 3
		.amdhsa_float_denorm_mode_16_64 3
		.amdhsa_dx10_clamp 1
		.amdhsa_ieee_mode 1
		.amdhsa_fp16_overflow 0
		.amdhsa_tg_split 0
		.amdhsa_exception_fp_ieee_invalid_op 0
		.amdhsa_exception_fp_denorm_src 0
		.amdhsa_exception_fp_ieee_div_zero 0
		.amdhsa_exception_fp_ieee_overflow 0
		.amdhsa_exception_fp_ieee_underflow 0
		.amdhsa_exception_fp_ieee_inexact 0
		.amdhsa_exception_int_div_zero 0
	.end_amdhsa_kernel
	.section	.text._ZN7rocprim17ROCPRIM_400000_NS6detail17trampoline_kernelINS0_14default_configENS1_38merge_sort_block_merge_config_selectorIjNS0_10empty_typeEEEZZNS1_27merge_sort_block_merge_implIS3_N6thrust23THRUST_200600_302600_NS6detail15normal_iteratorINS9_10device_ptrIjEEEEPS5_jNS1_19radix_merge_compareILb0ELb1EjNS0_19identity_decomposerEEEEE10hipError_tT0_T1_T2_jT3_P12ihipStream_tbPNSt15iterator_traitsISK_E10value_typeEPNSQ_ISL_E10value_typeEPSM_NS1_7vsmem_tEENKUlT_SK_SL_SM_E_clIPjSE_SF_SF_EESJ_SZ_SK_SL_SM_EUlSZ_E1_NS1_11comp_targetILNS1_3genE5ELNS1_11target_archE942ELNS1_3gpuE9ELNS1_3repE0EEENS1_36merge_oddeven_config_static_selectorELNS0_4arch9wavefront6targetE1EEEvSL_,"axG",@progbits,_ZN7rocprim17ROCPRIM_400000_NS6detail17trampoline_kernelINS0_14default_configENS1_38merge_sort_block_merge_config_selectorIjNS0_10empty_typeEEEZZNS1_27merge_sort_block_merge_implIS3_N6thrust23THRUST_200600_302600_NS6detail15normal_iteratorINS9_10device_ptrIjEEEEPS5_jNS1_19radix_merge_compareILb0ELb1EjNS0_19identity_decomposerEEEEE10hipError_tT0_T1_T2_jT3_P12ihipStream_tbPNSt15iterator_traitsISK_E10value_typeEPNSQ_ISL_E10value_typeEPSM_NS1_7vsmem_tEENKUlT_SK_SL_SM_E_clIPjSE_SF_SF_EESJ_SZ_SK_SL_SM_EUlSZ_E1_NS1_11comp_targetILNS1_3genE5ELNS1_11target_archE942ELNS1_3gpuE9ELNS1_3repE0EEENS1_36merge_oddeven_config_static_selectorELNS0_4arch9wavefront6targetE1EEEvSL_,comdat
.Lfunc_end1044:
	.size	_ZN7rocprim17ROCPRIM_400000_NS6detail17trampoline_kernelINS0_14default_configENS1_38merge_sort_block_merge_config_selectorIjNS0_10empty_typeEEEZZNS1_27merge_sort_block_merge_implIS3_N6thrust23THRUST_200600_302600_NS6detail15normal_iteratorINS9_10device_ptrIjEEEEPS5_jNS1_19radix_merge_compareILb0ELb1EjNS0_19identity_decomposerEEEEE10hipError_tT0_T1_T2_jT3_P12ihipStream_tbPNSt15iterator_traitsISK_E10value_typeEPNSQ_ISL_E10value_typeEPSM_NS1_7vsmem_tEENKUlT_SK_SL_SM_E_clIPjSE_SF_SF_EESJ_SZ_SK_SL_SM_EUlSZ_E1_NS1_11comp_targetILNS1_3genE5ELNS1_11target_archE942ELNS1_3gpuE9ELNS1_3repE0EEENS1_36merge_oddeven_config_static_selectorELNS0_4arch9wavefront6targetE1EEEvSL_, .Lfunc_end1044-_ZN7rocprim17ROCPRIM_400000_NS6detail17trampoline_kernelINS0_14default_configENS1_38merge_sort_block_merge_config_selectorIjNS0_10empty_typeEEEZZNS1_27merge_sort_block_merge_implIS3_N6thrust23THRUST_200600_302600_NS6detail15normal_iteratorINS9_10device_ptrIjEEEEPS5_jNS1_19radix_merge_compareILb0ELb1EjNS0_19identity_decomposerEEEEE10hipError_tT0_T1_T2_jT3_P12ihipStream_tbPNSt15iterator_traitsISK_E10value_typeEPNSQ_ISL_E10value_typeEPSM_NS1_7vsmem_tEENKUlT_SK_SL_SM_E_clIPjSE_SF_SF_EESJ_SZ_SK_SL_SM_EUlSZ_E1_NS1_11comp_targetILNS1_3genE5ELNS1_11target_archE942ELNS1_3gpuE9ELNS1_3repE0EEENS1_36merge_oddeven_config_static_selectorELNS0_4arch9wavefront6targetE1EEEvSL_
                                        ; -- End function
	.section	.AMDGPU.csdata,"",@progbits
; Kernel info:
; codeLenInByte = 616
; NumSgprs: 27
; NumVgprs: 10
; NumAgprs: 0
; TotalNumVgprs: 10
; ScratchSize: 0
; MemoryBound: 0
; FloatMode: 240
; IeeeMode: 1
; LDSByteSize: 0 bytes/workgroup (compile time only)
; SGPRBlocks: 3
; VGPRBlocks: 1
; NumSGPRsForWavesPerEU: 27
; NumVGPRsForWavesPerEU: 10
; AccumOffset: 12
; Occupancy: 8
; WaveLimiterHint : 0
; COMPUTE_PGM_RSRC2:SCRATCH_EN: 0
; COMPUTE_PGM_RSRC2:USER_SGPR: 2
; COMPUTE_PGM_RSRC2:TRAP_HANDLER: 0
; COMPUTE_PGM_RSRC2:TGID_X_EN: 1
; COMPUTE_PGM_RSRC2:TGID_Y_EN: 0
; COMPUTE_PGM_RSRC2:TGID_Z_EN: 0
; COMPUTE_PGM_RSRC2:TIDIG_COMP_CNT: 0
; COMPUTE_PGM_RSRC3_GFX90A:ACCUM_OFFSET: 2
; COMPUTE_PGM_RSRC3_GFX90A:TG_SPLIT: 0
	.section	.text._ZN7rocprim17ROCPRIM_400000_NS6detail17trampoline_kernelINS0_14default_configENS1_38merge_sort_block_merge_config_selectorIjNS0_10empty_typeEEEZZNS1_27merge_sort_block_merge_implIS3_N6thrust23THRUST_200600_302600_NS6detail15normal_iteratorINS9_10device_ptrIjEEEEPS5_jNS1_19radix_merge_compareILb0ELb1EjNS0_19identity_decomposerEEEEE10hipError_tT0_T1_T2_jT3_P12ihipStream_tbPNSt15iterator_traitsISK_E10value_typeEPNSQ_ISL_E10value_typeEPSM_NS1_7vsmem_tEENKUlT_SK_SL_SM_E_clIPjSE_SF_SF_EESJ_SZ_SK_SL_SM_EUlSZ_E1_NS1_11comp_targetILNS1_3genE4ELNS1_11target_archE910ELNS1_3gpuE8ELNS1_3repE0EEENS1_36merge_oddeven_config_static_selectorELNS0_4arch9wavefront6targetE1EEEvSL_,"axG",@progbits,_ZN7rocprim17ROCPRIM_400000_NS6detail17trampoline_kernelINS0_14default_configENS1_38merge_sort_block_merge_config_selectorIjNS0_10empty_typeEEEZZNS1_27merge_sort_block_merge_implIS3_N6thrust23THRUST_200600_302600_NS6detail15normal_iteratorINS9_10device_ptrIjEEEEPS5_jNS1_19radix_merge_compareILb0ELb1EjNS0_19identity_decomposerEEEEE10hipError_tT0_T1_T2_jT3_P12ihipStream_tbPNSt15iterator_traitsISK_E10value_typeEPNSQ_ISL_E10value_typeEPSM_NS1_7vsmem_tEENKUlT_SK_SL_SM_E_clIPjSE_SF_SF_EESJ_SZ_SK_SL_SM_EUlSZ_E1_NS1_11comp_targetILNS1_3genE4ELNS1_11target_archE910ELNS1_3gpuE8ELNS1_3repE0EEENS1_36merge_oddeven_config_static_selectorELNS0_4arch9wavefront6targetE1EEEvSL_,comdat
	.protected	_ZN7rocprim17ROCPRIM_400000_NS6detail17trampoline_kernelINS0_14default_configENS1_38merge_sort_block_merge_config_selectorIjNS0_10empty_typeEEEZZNS1_27merge_sort_block_merge_implIS3_N6thrust23THRUST_200600_302600_NS6detail15normal_iteratorINS9_10device_ptrIjEEEEPS5_jNS1_19radix_merge_compareILb0ELb1EjNS0_19identity_decomposerEEEEE10hipError_tT0_T1_T2_jT3_P12ihipStream_tbPNSt15iterator_traitsISK_E10value_typeEPNSQ_ISL_E10value_typeEPSM_NS1_7vsmem_tEENKUlT_SK_SL_SM_E_clIPjSE_SF_SF_EESJ_SZ_SK_SL_SM_EUlSZ_E1_NS1_11comp_targetILNS1_3genE4ELNS1_11target_archE910ELNS1_3gpuE8ELNS1_3repE0EEENS1_36merge_oddeven_config_static_selectorELNS0_4arch9wavefront6targetE1EEEvSL_ ; -- Begin function _ZN7rocprim17ROCPRIM_400000_NS6detail17trampoline_kernelINS0_14default_configENS1_38merge_sort_block_merge_config_selectorIjNS0_10empty_typeEEEZZNS1_27merge_sort_block_merge_implIS3_N6thrust23THRUST_200600_302600_NS6detail15normal_iteratorINS9_10device_ptrIjEEEEPS5_jNS1_19radix_merge_compareILb0ELb1EjNS0_19identity_decomposerEEEEE10hipError_tT0_T1_T2_jT3_P12ihipStream_tbPNSt15iterator_traitsISK_E10value_typeEPNSQ_ISL_E10value_typeEPSM_NS1_7vsmem_tEENKUlT_SK_SL_SM_E_clIPjSE_SF_SF_EESJ_SZ_SK_SL_SM_EUlSZ_E1_NS1_11comp_targetILNS1_3genE4ELNS1_11target_archE910ELNS1_3gpuE8ELNS1_3repE0EEENS1_36merge_oddeven_config_static_selectorELNS0_4arch9wavefront6targetE1EEEvSL_
	.globl	_ZN7rocprim17ROCPRIM_400000_NS6detail17trampoline_kernelINS0_14default_configENS1_38merge_sort_block_merge_config_selectorIjNS0_10empty_typeEEEZZNS1_27merge_sort_block_merge_implIS3_N6thrust23THRUST_200600_302600_NS6detail15normal_iteratorINS9_10device_ptrIjEEEEPS5_jNS1_19radix_merge_compareILb0ELb1EjNS0_19identity_decomposerEEEEE10hipError_tT0_T1_T2_jT3_P12ihipStream_tbPNSt15iterator_traitsISK_E10value_typeEPNSQ_ISL_E10value_typeEPSM_NS1_7vsmem_tEENKUlT_SK_SL_SM_E_clIPjSE_SF_SF_EESJ_SZ_SK_SL_SM_EUlSZ_E1_NS1_11comp_targetILNS1_3genE4ELNS1_11target_archE910ELNS1_3gpuE8ELNS1_3repE0EEENS1_36merge_oddeven_config_static_selectorELNS0_4arch9wavefront6targetE1EEEvSL_
	.p2align	8
	.type	_ZN7rocprim17ROCPRIM_400000_NS6detail17trampoline_kernelINS0_14default_configENS1_38merge_sort_block_merge_config_selectorIjNS0_10empty_typeEEEZZNS1_27merge_sort_block_merge_implIS3_N6thrust23THRUST_200600_302600_NS6detail15normal_iteratorINS9_10device_ptrIjEEEEPS5_jNS1_19radix_merge_compareILb0ELb1EjNS0_19identity_decomposerEEEEE10hipError_tT0_T1_T2_jT3_P12ihipStream_tbPNSt15iterator_traitsISK_E10value_typeEPNSQ_ISL_E10value_typeEPSM_NS1_7vsmem_tEENKUlT_SK_SL_SM_E_clIPjSE_SF_SF_EESJ_SZ_SK_SL_SM_EUlSZ_E1_NS1_11comp_targetILNS1_3genE4ELNS1_11target_archE910ELNS1_3gpuE8ELNS1_3repE0EEENS1_36merge_oddeven_config_static_selectorELNS0_4arch9wavefront6targetE1EEEvSL_,@function
_ZN7rocprim17ROCPRIM_400000_NS6detail17trampoline_kernelINS0_14default_configENS1_38merge_sort_block_merge_config_selectorIjNS0_10empty_typeEEEZZNS1_27merge_sort_block_merge_implIS3_N6thrust23THRUST_200600_302600_NS6detail15normal_iteratorINS9_10device_ptrIjEEEEPS5_jNS1_19radix_merge_compareILb0ELb1EjNS0_19identity_decomposerEEEEE10hipError_tT0_T1_T2_jT3_P12ihipStream_tbPNSt15iterator_traitsISK_E10value_typeEPNSQ_ISL_E10value_typeEPSM_NS1_7vsmem_tEENKUlT_SK_SL_SM_E_clIPjSE_SF_SF_EESJ_SZ_SK_SL_SM_EUlSZ_E1_NS1_11comp_targetILNS1_3genE4ELNS1_11target_archE910ELNS1_3gpuE8ELNS1_3repE0EEENS1_36merge_oddeven_config_static_selectorELNS0_4arch9wavefront6targetE1EEEvSL_: ; @_ZN7rocprim17ROCPRIM_400000_NS6detail17trampoline_kernelINS0_14default_configENS1_38merge_sort_block_merge_config_selectorIjNS0_10empty_typeEEEZZNS1_27merge_sort_block_merge_implIS3_N6thrust23THRUST_200600_302600_NS6detail15normal_iteratorINS9_10device_ptrIjEEEEPS5_jNS1_19radix_merge_compareILb0ELb1EjNS0_19identity_decomposerEEEEE10hipError_tT0_T1_T2_jT3_P12ihipStream_tbPNSt15iterator_traitsISK_E10value_typeEPNSQ_ISL_E10value_typeEPSM_NS1_7vsmem_tEENKUlT_SK_SL_SM_E_clIPjSE_SF_SF_EESJ_SZ_SK_SL_SM_EUlSZ_E1_NS1_11comp_targetILNS1_3genE4ELNS1_11target_archE910ELNS1_3gpuE8ELNS1_3repE0EEENS1_36merge_oddeven_config_static_selectorELNS0_4arch9wavefront6targetE1EEEvSL_
; %bb.0:
	.section	.rodata,"a",@progbits
	.p2align	6, 0x0
	.amdhsa_kernel _ZN7rocprim17ROCPRIM_400000_NS6detail17trampoline_kernelINS0_14default_configENS1_38merge_sort_block_merge_config_selectorIjNS0_10empty_typeEEEZZNS1_27merge_sort_block_merge_implIS3_N6thrust23THRUST_200600_302600_NS6detail15normal_iteratorINS9_10device_ptrIjEEEEPS5_jNS1_19radix_merge_compareILb0ELb1EjNS0_19identity_decomposerEEEEE10hipError_tT0_T1_T2_jT3_P12ihipStream_tbPNSt15iterator_traitsISK_E10value_typeEPNSQ_ISL_E10value_typeEPSM_NS1_7vsmem_tEENKUlT_SK_SL_SM_E_clIPjSE_SF_SF_EESJ_SZ_SK_SL_SM_EUlSZ_E1_NS1_11comp_targetILNS1_3genE4ELNS1_11target_archE910ELNS1_3gpuE8ELNS1_3repE0EEENS1_36merge_oddeven_config_static_selectorELNS0_4arch9wavefront6targetE1EEEvSL_
		.amdhsa_group_segment_fixed_size 0
		.amdhsa_private_segment_fixed_size 0
		.amdhsa_kernarg_size 48
		.amdhsa_user_sgpr_count 2
		.amdhsa_user_sgpr_dispatch_ptr 0
		.amdhsa_user_sgpr_queue_ptr 0
		.amdhsa_user_sgpr_kernarg_segment_ptr 1
		.amdhsa_user_sgpr_dispatch_id 0
		.amdhsa_user_sgpr_kernarg_preload_length 0
		.amdhsa_user_sgpr_kernarg_preload_offset 0
		.amdhsa_user_sgpr_private_segment_size 0
		.amdhsa_uses_dynamic_stack 0
		.amdhsa_enable_private_segment 0
		.amdhsa_system_sgpr_workgroup_id_x 1
		.amdhsa_system_sgpr_workgroup_id_y 0
		.amdhsa_system_sgpr_workgroup_id_z 0
		.amdhsa_system_sgpr_workgroup_info 0
		.amdhsa_system_vgpr_workitem_id 0
		.amdhsa_next_free_vgpr 1
		.amdhsa_next_free_sgpr 0
		.amdhsa_accum_offset 4
		.amdhsa_reserve_vcc 0
		.amdhsa_float_round_mode_32 0
		.amdhsa_float_round_mode_16_64 0
		.amdhsa_float_denorm_mode_32 3
		.amdhsa_float_denorm_mode_16_64 3
		.amdhsa_dx10_clamp 1
		.amdhsa_ieee_mode 1
		.amdhsa_fp16_overflow 0
		.amdhsa_tg_split 0
		.amdhsa_exception_fp_ieee_invalid_op 0
		.amdhsa_exception_fp_denorm_src 0
		.amdhsa_exception_fp_ieee_div_zero 0
		.amdhsa_exception_fp_ieee_overflow 0
		.amdhsa_exception_fp_ieee_underflow 0
		.amdhsa_exception_fp_ieee_inexact 0
		.amdhsa_exception_int_div_zero 0
	.end_amdhsa_kernel
	.section	.text._ZN7rocprim17ROCPRIM_400000_NS6detail17trampoline_kernelINS0_14default_configENS1_38merge_sort_block_merge_config_selectorIjNS0_10empty_typeEEEZZNS1_27merge_sort_block_merge_implIS3_N6thrust23THRUST_200600_302600_NS6detail15normal_iteratorINS9_10device_ptrIjEEEEPS5_jNS1_19radix_merge_compareILb0ELb1EjNS0_19identity_decomposerEEEEE10hipError_tT0_T1_T2_jT3_P12ihipStream_tbPNSt15iterator_traitsISK_E10value_typeEPNSQ_ISL_E10value_typeEPSM_NS1_7vsmem_tEENKUlT_SK_SL_SM_E_clIPjSE_SF_SF_EESJ_SZ_SK_SL_SM_EUlSZ_E1_NS1_11comp_targetILNS1_3genE4ELNS1_11target_archE910ELNS1_3gpuE8ELNS1_3repE0EEENS1_36merge_oddeven_config_static_selectorELNS0_4arch9wavefront6targetE1EEEvSL_,"axG",@progbits,_ZN7rocprim17ROCPRIM_400000_NS6detail17trampoline_kernelINS0_14default_configENS1_38merge_sort_block_merge_config_selectorIjNS0_10empty_typeEEEZZNS1_27merge_sort_block_merge_implIS3_N6thrust23THRUST_200600_302600_NS6detail15normal_iteratorINS9_10device_ptrIjEEEEPS5_jNS1_19radix_merge_compareILb0ELb1EjNS0_19identity_decomposerEEEEE10hipError_tT0_T1_T2_jT3_P12ihipStream_tbPNSt15iterator_traitsISK_E10value_typeEPNSQ_ISL_E10value_typeEPSM_NS1_7vsmem_tEENKUlT_SK_SL_SM_E_clIPjSE_SF_SF_EESJ_SZ_SK_SL_SM_EUlSZ_E1_NS1_11comp_targetILNS1_3genE4ELNS1_11target_archE910ELNS1_3gpuE8ELNS1_3repE0EEENS1_36merge_oddeven_config_static_selectorELNS0_4arch9wavefront6targetE1EEEvSL_,comdat
.Lfunc_end1045:
	.size	_ZN7rocprim17ROCPRIM_400000_NS6detail17trampoline_kernelINS0_14default_configENS1_38merge_sort_block_merge_config_selectorIjNS0_10empty_typeEEEZZNS1_27merge_sort_block_merge_implIS3_N6thrust23THRUST_200600_302600_NS6detail15normal_iteratorINS9_10device_ptrIjEEEEPS5_jNS1_19radix_merge_compareILb0ELb1EjNS0_19identity_decomposerEEEEE10hipError_tT0_T1_T2_jT3_P12ihipStream_tbPNSt15iterator_traitsISK_E10value_typeEPNSQ_ISL_E10value_typeEPSM_NS1_7vsmem_tEENKUlT_SK_SL_SM_E_clIPjSE_SF_SF_EESJ_SZ_SK_SL_SM_EUlSZ_E1_NS1_11comp_targetILNS1_3genE4ELNS1_11target_archE910ELNS1_3gpuE8ELNS1_3repE0EEENS1_36merge_oddeven_config_static_selectorELNS0_4arch9wavefront6targetE1EEEvSL_, .Lfunc_end1045-_ZN7rocprim17ROCPRIM_400000_NS6detail17trampoline_kernelINS0_14default_configENS1_38merge_sort_block_merge_config_selectorIjNS0_10empty_typeEEEZZNS1_27merge_sort_block_merge_implIS3_N6thrust23THRUST_200600_302600_NS6detail15normal_iteratorINS9_10device_ptrIjEEEEPS5_jNS1_19radix_merge_compareILb0ELb1EjNS0_19identity_decomposerEEEEE10hipError_tT0_T1_T2_jT3_P12ihipStream_tbPNSt15iterator_traitsISK_E10value_typeEPNSQ_ISL_E10value_typeEPSM_NS1_7vsmem_tEENKUlT_SK_SL_SM_E_clIPjSE_SF_SF_EESJ_SZ_SK_SL_SM_EUlSZ_E1_NS1_11comp_targetILNS1_3genE4ELNS1_11target_archE910ELNS1_3gpuE8ELNS1_3repE0EEENS1_36merge_oddeven_config_static_selectorELNS0_4arch9wavefront6targetE1EEEvSL_
                                        ; -- End function
	.section	.AMDGPU.csdata,"",@progbits
; Kernel info:
; codeLenInByte = 0
; NumSgprs: 6
; NumVgprs: 0
; NumAgprs: 0
; TotalNumVgprs: 0
; ScratchSize: 0
; MemoryBound: 0
; FloatMode: 240
; IeeeMode: 1
; LDSByteSize: 0 bytes/workgroup (compile time only)
; SGPRBlocks: 0
; VGPRBlocks: 0
; NumSGPRsForWavesPerEU: 6
; NumVGPRsForWavesPerEU: 1
; AccumOffset: 4
; Occupancy: 8
; WaveLimiterHint : 0
; COMPUTE_PGM_RSRC2:SCRATCH_EN: 0
; COMPUTE_PGM_RSRC2:USER_SGPR: 2
; COMPUTE_PGM_RSRC2:TRAP_HANDLER: 0
; COMPUTE_PGM_RSRC2:TGID_X_EN: 1
; COMPUTE_PGM_RSRC2:TGID_Y_EN: 0
; COMPUTE_PGM_RSRC2:TGID_Z_EN: 0
; COMPUTE_PGM_RSRC2:TIDIG_COMP_CNT: 0
; COMPUTE_PGM_RSRC3_GFX90A:ACCUM_OFFSET: 0
; COMPUTE_PGM_RSRC3_GFX90A:TG_SPLIT: 0
	.section	.text._ZN7rocprim17ROCPRIM_400000_NS6detail17trampoline_kernelINS0_14default_configENS1_38merge_sort_block_merge_config_selectorIjNS0_10empty_typeEEEZZNS1_27merge_sort_block_merge_implIS3_N6thrust23THRUST_200600_302600_NS6detail15normal_iteratorINS9_10device_ptrIjEEEEPS5_jNS1_19radix_merge_compareILb0ELb1EjNS0_19identity_decomposerEEEEE10hipError_tT0_T1_T2_jT3_P12ihipStream_tbPNSt15iterator_traitsISK_E10value_typeEPNSQ_ISL_E10value_typeEPSM_NS1_7vsmem_tEENKUlT_SK_SL_SM_E_clIPjSE_SF_SF_EESJ_SZ_SK_SL_SM_EUlSZ_E1_NS1_11comp_targetILNS1_3genE3ELNS1_11target_archE908ELNS1_3gpuE7ELNS1_3repE0EEENS1_36merge_oddeven_config_static_selectorELNS0_4arch9wavefront6targetE1EEEvSL_,"axG",@progbits,_ZN7rocprim17ROCPRIM_400000_NS6detail17trampoline_kernelINS0_14default_configENS1_38merge_sort_block_merge_config_selectorIjNS0_10empty_typeEEEZZNS1_27merge_sort_block_merge_implIS3_N6thrust23THRUST_200600_302600_NS6detail15normal_iteratorINS9_10device_ptrIjEEEEPS5_jNS1_19radix_merge_compareILb0ELb1EjNS0_19identity_decomposerEEEEE10hipError_tT0_T1_T2_jT3_P12ihipStream_tbPNSt15iterator_traitsISK_E10value_typeEPNSQ_ISL_E10value_typeEPSM_NS1_7vsmem_tEENKUlT_SK_SL_SM_E_clIPjSE_SF_SF_EESJ_SZ_SK_SL_SM_EUlSZ_E1_NS1_11comp_targetILNS1_3genE3ELNS1_11target_archE908ELNS1_3gpuE7ELNS1_3repE0EEENS1_36merge_oddeven_config_static_selectorELNS0_4arch9wavefront6targetE1EEEvSL_,comdat
	.protected	_ZN7rocprim17ROCPRIM_400000_NS6detail17trampoline_kernelINS0_14default_configENS1_38merge_sort_block_merge_config_selectorIjNS0_10empty_typeEEEZZNS1_27merge_sort_block_merge_implIS3_N6thrust23THRUST_200600_302600_NS6detail15normal_iteratorINS9_10device_ptrIjEEEEPS5_jNS1_19radix_merge_compareILb0ELb1EjNS0_19identity_decomposerEEEEE10hipError_tT0_T1_T2_jT3_P12ihipStream_tbPNSt15iterator_traitsISK_E10value_typeEPNSQ_ISL_E10value_typeEPSM_NS1_7vsmem_tEENKUlT_SK_SL_SM_E_clIPjSE_SF_SF_EESJ_SZ_SK_SL_SM_EUlSZ_E1_NS1_11comp_targetILNS1_3genE3ELNS1_11target_archE908ELNS1_3gpuE7ELNS1_3repE0EEENS1_36merge_oddeven_config_static_selectorELNS0_4arch9wavefront6targetE1EEEvSL_ ; -- Begin function _ZN7rocprim17ROCPRIM_400000_NS6detail17trampoline_kernelINS0_14default_configENS1_38merge_sort_block_merge_config_selectorIjNS0_10empty_typeEEEZZNS1_27merge_sort_block_merge_implIS3_N6thrust23THRUST_200600_302600_NS6detail15normal_iteratorINS9_10device_ptrIjEEEEPS5_jNS1_19radix_merge_compareILb0ELb1EjNS0_19identity_decomposerEEEEE10hipError_tT0_T1_T2_jT3_P12ihipStream_tbPNSt15iterator_traitsISK_E10value_typeEPNSQ_ISL_E10value_typeEPSM_NS1_7vsmem_tEENKUlT_SK_SL_SM_E_clIPjSE_SF_SF_EESJ_SZ_SK_SL_SM_EUlSZ_E1_NS1_11comp_targetILNS1_3genE3ELNS1_11target_archE908ELNS1_3gpuE7ELNS1_3repE0EEENS1_36merge_oddeven_config_static_selectorELNS0_4arch9wavefront6targetE1EEEvSL_
	.globl	_ZN7rocprim17ROCPRIM_400000_NS6detail17trampoline_kernelINS0_14default_configENS1_38merge_sort_block_merge_config_selectorIjNS0_10empty_typeEEEZZNS1_27merge_sort_block_merge_implIS3_N6thrust23THRUST_200600_302600_NS6detail15normal_iteratorINS9_10device_ptrIjEEEEPS5_jNS1_19radix_merge_compareILb0ELb1EjNS0_19identity_decomposerEEEEE10hipError_tT0_T1_T2_jT3_P12ihipStream_tbPNSt15iterator_traitsISK_E10value_typeEPNSQ_ISL_E10value_typeEPSM_NS1_7vsmem_tEENKUlT_SK_SL_SM_E_clIPjSE_SF_SF_EESJ_SZ_SK_SL_SM_EUlSZ_E1_NS1_11comp_targetILNS1_3genE3ELNS1_11target_archE908ELNS1_3gpuE7ELNS1_3repE0EEENS1_36merge_oddeven_config_static_selectorELNS0_4arch9wavefront6targetE1EEEvSL_
	.p2align	8
	.type	_ZN7rocprim17ROCPRIM_400000_NS6detail17trampoline_kernelINS0_14default_configENS1_38merge_sort_block_merge_config_selectorIjNS0_10empty_typeEEEZZNS1_27merge_sort_block_merge_implIS3_N6thrust23THRUST_200600_302600_NS6detail15normal_iteratorINS9_10device_ptrIjEEEEPS5_jNS1_19radix_merge_compareILb0ELb1EjNS0_19identity_decomposerEEEEE10hipError_tT0_T1_T2_jT3_P12ihipStream_tbPNSt15iterator_traitsISK_E10value_typeEPNSQ_ISL_E10value_typeEPSM_NS1_7vsmem_tEENKUlT_SK_SL_SM_E_clIPjSE_SF_SF_EESJ_SZ_SK_SL_SM_EUlSZ_E1_NS1_11comp_targetILNS1_3genE3ELNS1_11target_archE908ELNS1_3gpuE7ELNS1_3repE0EEENS1_36merge_oddeven_config_static_selectorELNS0_4arch9wavefront6targetE1EEEvSL_,@function
_ZN7rocprim17ROCPRIM_400000_NS6detail17trampoline_kernelINS0_14default_configENS1_38merge_sort_block_merge_config_selectorIjNS0_10empty_typeEEEZZNS1_27merge_sort_block_merge_implIS3_N6thrust23THRUST_200600_302600_NS6detail15normal_iteratorINS9_10device_ptrIjEEEEPS5_jNS1_19radix_merge_compareILb0ELb1EjNS0_19identity_decomposerEEEEE10hipError_tT0_T1_T2_jT3_P12ihipStream_tbPNSt15iterator_traitsISK_E10value_typeEPNSQ_ISL_E10value_typeEPSM_NS1_7vsmem_tEENKUlT_SK_SL_SM_E_clIPjSE_SF_SF_EESJ_SZ_SK_SL_SM_EUlSZ_E1_NS1_11comp_targetILNS1_3genE3ELNS1_11target_archE908ELNS1_3gpuE7ELNS1_3repE0EEENS1_36merge_oddeven_config_static_selectorELNS0_4arch9wavefront6targetE1EEEvSL_: ; @_ZN7rocprim17ROCPRIM_400000_NS6detail17trampoline_kernelINS0_14default_configENS1_38merge_sort_block_merge_config_selectorIjNS0_10empty_typeEEEZZNS1_27merge_sort_block_merge_implIS3_N6thrust23THRUST_200600_302600_NS6detail15normal_iteratorINS9_10device_ptrIjEEEEPS5_jNS1_19radix_merge_compareILb0ELb1EjNS0_19identity_decomposerEEEEE10hipError_tT0_T1_T2_jT3_P12ihipStream_tbPNSt15iterator_traitsISK_E10value_typeEPNSQ_ISL_E10value_typeEPSM_NS1_7vsmem_tEENKUlT_SK_SL_SM_E_clIPjSE_SF_SF_EESJ_SZ_SK_SL_SM_EUlSZ_E1_NS1_11comp_targetILNS1_3genE3ELNS1_11target_archE908ELNS1_3gpuE7ELNS1_3repE0EEENS1_36merge_oddeven_config_static_selectorELNS0_4arch9wavefront6targetE1EEEvSL_
; %bb.0:
	.section	.rodata,"a",@progbits
	.p2align	6, 0x0
	.amdhsa_kernel _ZN7rocprim17ROCPRIM_400000_NS6detail17trampoline_kernelINS0_14default_configENS1_38merge_sort_block_merge_config_selectorIjNS0_10empty_typeEEEZZNS1_27merge_sort_block_merge_implIS3_N6thrust23THRUST_200600_302600_NS6detail15normal_iteratorINS9_10device_ptrIjEEEEPS5_jNS1_19radix_merge_compareILb0ELb1EjNS0_19identity_decomposerEEEEE10hipError_tT0_T1_T2_jT3_P12ihipStream_tbPNSt15iterator_traitsISK_E10value_typeEPNSQ_ISL_E10value_typeEPSM_NS1_7vsmem_tEENKUlT_SK_SL_SM_E_clIPjSE_SF_SF_EESJ_SZ_SK_SL_SM_EUlSZ_E1_NS1_11comp_targetILNS1_3genE3ELNS1_11target_archE908ELNS1_3gpuE7ELNS1_3repE0EEENS1_36merge_oddeven_config_static_selectorELNS0_4arch9wavefront6targetE1EEEvSL_
		.amdhsa_group_segment_fixed_size 0
		.amdhsa_private_segment_fixed_size 0
		.amdhsa_kernarg_size 48
		.amdhsa_user_sgpr_count 2
		.amdhsa_user_sgpr_dispatch_ptr 0
		.amdhsa_user_sgpr_queue_ptr 0
		.amdhsa_user_sgpr_kernarg_segment_ptr 1
		.amdhsa_user_sgpr_dispatch_id 0
		.amdhsa_user_sgpr_kernarg_preload_length 0
		.amdhsa_user_sgpr_kernarg_preload_offset 0
		.amdhsa_user_sgpr_private_segment_size 0
		.amdhsa_uses_dynamic_stack 0
		.amdhsa_enable_private_segment 0
		.amdhsa_system_sgpr_workgroup_id_x 1
		.amdhsa_system_sgpr_workgroup_id_y 0
		.amdhsa_system_sgpr_workgroup_id_z 0
		.amdhsa_system_sgpr_workgroup_info 0
		.amdhsa_system_vgpr_workitem_id 0
		.amdhsa_next_free_vgpr 1
		.amdhsa_next_free_sgpr 0
		.amdhsa_accum_offset 4
		.amdhsa_reserve_vcc 0
		.amdhsa_float_round_mode_32 0
		.amdhsa_float_round_mode_16_64 0
		.amdhsa_float_denorm_mode_32 3
		.amdhsa_float_denorm_mode_16_64 3
		.amdhsa_dx10_clamp 1
		.amdhsa_ieee_mode 1
		.amdhsa_fp16_overflow 0
		.amdhsa_tg_split 0
		.amdhsa_exception_fp_ieee_invalid_op 0
		.amdhsa_exception_fp_denorm_src 0
		.amdhsa_exception_fp_ieee_div_zero 0
		.amdhsa_exception_fp_ieee_overflow 0
		.amdhsa_exception_fp_ieee_underflow 0
		.amdhsa_exception_fp_ieee_inexact 0
		.amdhsa_exception_int_div_zero 0
	.end_amdhsa_kernel
	.section	.text._ZN7rocprim17ROCPRIM_400000_NS6detail17trampoline_kernelINS0_14default_configENS1_38merge_sort_block_merge_config_selectorIjNS0_10empty_typeEEEZZNS1_27merge_sort_block_merge_implIS3_N6thrust23THRUST_200600_302600_NS6detail15normal_iteratorINS9_10device_ptrIjEEEEPS5_jNS1_19radix_merge_compareILb0ELb1EjNS0_19identity_decomposerEEEEE10hipError_tT0_T1_T2_jT3_P12ihipStream_tbPNSt15iterator_traitsISK_E10value_typeEPNSQ_ISL_E10value_typeEPSM_NS1_7vsmem_tEENKUlT_SK_SL_SM_E_clIPjSE_SF_SF_EESJ_SZ_SK_SL_SM_EUlSZ_E1_NS1_11comp_targetILNS1_3genE3ELNS1_11target_archE908ELNS1_3gpuE7ELNS1_3repE0EEENS1_36merge_oddeven_config_static_selectorELNS0_4arch9wavefront6targetE1EEEvSL_,"axG",@progbits,_ZN7rocprim17ROCPRIM_400000_NS6detail17trampoline_kernelINS0_14default_configENS1_38merge_sort_block_merge_config_selectorIjNS0_10empty_typeEEEZZNS1_27merge_sort_block_merge_implIS3_N6thrust23THRUST_200600_302600_NS6detail15normal_iteratorINS9_10device_ptrIjEEEEPS5_jNS1_19radix_merge_compareILb0ELb1EjNS0_19identity_decomposerEEEEE10hipError_tT0_T1_T2_jT3_P12ihipStream_tbPNSt15iterator_traitsISK_E10value_typeEPNSQ_ISL_E10value_typeEPSM_NS1_7vsmem_tEENKUlT_SK_SL_SM_E_clIPjSE_SF_SF_EESJ_SZ_SK_SL_SM_EUlSZ_E1_NS1_11comp_targetILNS1_3genE3ELNS1_11target_archE908ELNS1_3gpuE7ELNS1_3repE0EEENS1_36merge_oddeven_config_static_selectorELNS0_4arch9wavefront6targetE1EEEvSL_,comdat
.Lfunc_end1046:
	.size	_ZN7rocprim17ROCPRIM_400000_NS6detail17trampoline_kernelINS0_14default_configENS1_38merge_sort_block_merge_config_selectorIjNS0_10empty_typeEEEZZNS1_27merge_sort_block_merge_implIS3_N6thrust23THRUST_200600_302600_NS6detail15normal_iteratorINS9_10device_ptrIjEEEEPS5_jNS1_19radix_merge_compareILb0ELb1EjNS0_19identity_decomposerEEEEE10hipError_tT0_T1_T2_jT3_P12ihipStream_tbPNSt15iterator_traitsISK_E10value_typeEPNSQ_ISL_E10value_typeEPSM_NS1_7vsmem_tEENKUlT_SK_SL_SM_E_clIPjSE_SF_SF_EESJ_SZ_SK_SL_SM_EUlSZ_E1_NS1_11comp_targetILNS1_3genE3ELNS1_11target_archE908ELNS1_3gpuE7ELNS1_3repE0EEENS1_36merge_oddeven_config_static_selectorELNS0_4arch9wavefront6targetE1EEEvSL_, .Lfunc_end1046-_ZN7rocprim17ROCPRIM_400000_NS6detail17trampoline_kernelINS0_14default_configENS1_38merge_sort_block_merge_config_selectorIjNS0_10empty_typeEEEZZNS1_27merge_sort_block_merge_implIS3_N6thrust23THRUST_200600_302600_NS6detail15normal_iteratorINS9_10device_ptrIjEEEEPS5_jNS1_19radix_merge_compareILb0ELb1EjNS0_19identity_decomposerEEEEE10hipError_tT0_T1_T2_jT3_P12ihipStream_tbPNSt15iterator_traitsISK_E10value_typeEPNSQ_ISL_E10value_typeEPSM_NS1_7vsmem_tEENKUlT_SK_SL_SM_E_clIPjSE_SF_SF_EESJ_SZ_SK_SL_SM_EUlSZ_E1_NS1_11comp_targetILNS1_3genE3ELNS1_11target_archE908ELNS1_3gpuE7ELNS1_3repE0EEENS1_36merge_oddeven_config_static_selectorELNS0_4arch9wavefront6targetE1EEEvSL_
                                        ; -- End function
	.section	.AMDGPU.csdata,"",@progbits
; Kernel info:
; codeLenInByte = 0
; NumSgprs: 6
; NumVgprs: 0
; NumAgprs: 0
; TotalNumVgprs: 0
; ScratchSize: 0
; MemoryBound: 0
; FloatMode: 240
; IeeeMode: 1
; LDSByteSize: 0 bytes/workgroup (compile time only)
; SGPRBlocks: 0
; VGPRBlocks: 0
; NumSGPRsForWavesPerEU: 6
; NumVGPRsForWavesPerEU: 1
; AccumOffset: 4
; Occupancy: 8
; WaveLimiterHint : 0
; COMPUTE_PGM_RSRC2:SCRATCH_EN: 0
; COMPUTE_PGM_RSRC2:USER_SGPR: 2
; COMPUTE_PGM_RSRC2:TRAP_HANDLER: 0
; COMPUTE_PGM_RSRC2:TGID_X_EN: 1
; COMPUTE_PGM_RSRC2:TGID_Y_EN: 0
; COMPUTE_PGM_RSRC2:TGID_Z_EN: 0
; COMPUTE_PGM_RSRC2:TIDIG_COMP_CNT: 0
; COMPUTE_PGM_RSRC3_GFX90A:ACCUM_OFFSET: 0
; COMPUTE_PGM_RSRC3_GFX90A:TG_SPLIT: 0
	.section	.text._ZN7rocprim17ROCPRIM_400000_NS6detail17trampoline_kernelINS0_14default_configENS1_38merge_sort_block_merge_config_selectorIjNS0_10empty_typeEEEZZNS1_27merge_sort_block_merge_implIS3_N6thrust23THRUST_200600_302600_NS6detail15normal_iteratorINS9_10device_ptrIjEEEEPS5_jNS1_19radix_merge_compareILb0ELb1EjNS0_19identity_decomposerEEEEE10hipError_tT0_T1_T2_jT3_P12ihipStream_tbPNSt15iterator_traitsISK_E10value_typeEPNSQ_ISL_E10value_typeEPSM_NS1_7vsmem_tEENKUlT_SK_SL_SM_E_clIPjSE_SF_SF_EESJ_SZ_SK_SL_SM_EUlSZ_E1_NS1_11comp_targetILNS1_3genE2ELNS1_11target_archE906ELNS1_3gpuE6ELNS1_3repE0EEENS1_36merge_oddeven_config_static_selectorELNS0_4arch9wavefront6targetE1EEEvSL_,"axG",@progbits,_ZN7rocprim17ROCPRIM_400000_NS6detail17trampoline_kernelINS0_14default_configENS1_38merge_sort_block_merge_config_selectorIjNS0_10empty_typeEEEZZNS1_27merge_sort_block_merge_implIS3_N6thrust23THRUST_200600_302600_NS6detail15normal_iteratorINS9_10device_ptrIjEEEEPS5_jNS1_19radix_merge_compareILb0ELb1EjNS0_19identity_decomposerEEEEE10hipError_tT0_T1_T2_jT3_P12ihipStream_tbPNSt15iterator_traitsISK_E10value_typeEPNSQ_ISL_E10value_typeEPSM_NS1_7vsmem_tEENKUlT_SK_SL_SM_E_clIPjSE_SF_SF_EESJ_SZ_SK_SL_SM_EUlSZ_E1_NS1_11comp_targetILNS1_3genE2ELNS1_11target_archE906ELNS1_3gpuE6ELNS1_3repE0EEENS1_36merge_oddeven_config_static_selectorELNS0_4arch9wavefront6targetE1EEEvSL_,comdat
	.protected	_ZN7rocprim17ROCPRIM_400000_NS6detail17trampoline_kernelINS0_14default_configENS1_38merge_sort_block_merge_config_selectorIjNS0_10empty_typeEEEZZNS1_27merge_sort_block_merge_implIS3_N6thrust23THRUST_200600_302600_NS6detail15normal_iteratorINS9_10device_ptrIjEEEEPS5_jNS1_19radix_merge_compareILb0ELb1EjNS0_19identity_decomposerEEEEE10hipError_tT0_T1_T2_jT3_P12ihipStream_tbPNSt15iterator_traitsISK_E10value_typeEPNSQ_ISL_E10value_typeEPSM_NS1_7vsmem_tEENKUlT_SK_SL_SM_E_clIPjSE_SF_SF_EESJ_SZ_SK_SL_SM_EUlSZ_E1_NS1_11comp_targetILNS1_3genE2ELNS1_11target_archE906ELNS1_3gpuE6ELNS1_3repE0EEENS1_36merge_oddeven_config_static_selectorELNS0_4arch9wavefront6targetE1EEEvSL_ ; -- Begin function _ZN7rocprim17ROCPRIM_400000_NS6detail17trampoline_kernelINS0_14default_configENS1_38merge_sort_block_merge_config_selectorIjNS0_10empty_typeEEEZZNS1_27merge_sort_block_merge_implIS3_N6thrust23THRUST_200600_302600_NS6detail15normal_iteratorINS9_10device_ptrIjEEEEPS5_jNS1_19radix_merge_compareILb0ELb1EjNS0_19identity_decomposerEEEEE10hipError_tT0_T1_T2_jT3_P12ihipStream_tbPNSt15iterator_traitsISK_E10value_typeEPNSQ_ISL_E10value_typeEPSM_NS1_7vsmem_tEENKUlT_SK_SL_SM_E_clIPjSE_SF_SF_EESJ_SZ_SK_SL_SM_EUlSZ_E1_NS1_11comp_targetILNS1_3genE2ELNS1_11target_archE906ELNS1_3gpuE6ELNS1_3repE0EEENS1_36merge_oddeven_config_static_selectorELNS0_4arch9wavefront6targetE1EEEvSL_
	.globl	_ZN7rocprim17ROCPRIM_400000_NS6detail17trampoline_kernelINS0_14default_configENS1_38merge_sort_block_merge_config_selectorIjNS0_10empty_typeEEEZZNS1_27merge_sort_block_merge_implIS3_N6thrust23THRUST_200600_302600_NS6detail15normal_iteratorINS9_10device_ptrIjEEEEPS5_jNS1_19radix_merge_compareILb0ELb1EjNS0_19identity_decomposerEEEEE10hipError_tT0_T1_T2_jT3_P12ihipStream_tbPNSt15iterator_traitsISK_E10value_typeEPNSQ_ISL_E10value_typeEPSM_NS1_7vsmem_tEENKUlT_SK_SL_SM_E_clIPjSE_SF_SF_EESJ_SZ_SK_SL_SM_EUlSZ_E1_NS1_11comp_targetILNS1_3genE2ELNS1_11target_archE906ELNS1_3gpuE6ELNS1_3repE0EEENS1_36merge_oddeven_config_static_selectorELNS0_4arch9wavefront6targetE1EEEvSL_
	.p2align	8
	.type	_ZN7rocprim17ROCPRIM_400000_NS6detail17trampoline_kernelINS0_14default_configENS1_38merge_sort_block_merge_config_selectorIjNS0_10empty_typeEEEZZNS1_27merge_sort_block_merge_implIS3_N6thrust23THRUST_200600_302600_NS6detail15normal_iteratorINS9_10device_ptrIjEEEEPS5_jNS1_19radix_merge_compareILb0ELb1EjNS0_19identity_decomposerEEEEE10hipError_tT0_T1_T2_jT3_P12ihipStream_tbPNSt15iterator_traitsISK_E10value_typeEPNSQ_ISL_E10value_typeEPSM_NS1_7vsmem_tEENKUlT_SK_SL_SM_E_clIPjSE_SF_SF_EESJ_SZ_SK_SL_SM_EUlSZ_E1_NS1_11comp_targetILNS1_3genE2ELNS1_11target_archE906ELNS1_3gpuE6ELNS1_3repE0EEENS1_36merge_oddeven_config_static_selectorELNS0_4arch9wavefront6targetE1EEEvSL_,@function
_ZN7rocprim17ROCPRIM_400000_NS6detail17trampoline_kernelINS0_14default_configENS1_38merge_sort_block_merge_config_selectorIjNS0_10empty_typeEEEZZNS1_27merge_sort_block_merge_implIS3_N6thrust23THRUST_200600_302600_NS6detail15normal_iteratorINS9_10device_ptrIjEEEEPS5_jNS1_19radix_merge_compareILb0ELb1EjNS0_19identity_decomposerEEEEE10hipError_tT0_T1_T2_jT3_P12ihipStream_tbPNSt15iterator_traitsISK_E10value_typeEPNSQ_ISL_E10value_typeEPSM_NS1_7vsmem_tEENKUlT_SK_SL_SM_E_clIPjSE_SF_SF_EESJ_SZ_SK_SL_SM_EUlSZ_E1_NS1_11comp_targetILNS1_3genE2ELNS1_11target_archE906ELNS1_3gpuE6ELNS1_3repE0EEENS1_36merge_oddeven_config_static_selectorELNS0_4arch9wavefront6targetE1EEEvSL_: ; @_ZN7rocprim17ROCPRIM_400000_NS6detail17trampoline_kernelINS0_14default_configENS1_38merge_sort_block_merge_config_selectorIjNS0_10empty_typeEEEZZNS1_27merge_sort_block_merge_implIS3_N6thrust23THRUST_200600_302600_NS6detail15normal_iteratorINS9_10device_ptrIjEEEEPS5_jNS1_19radix_merge_compareILb0ELb1EjNS0_19identity_decomposerEEEEE10hipError_tT0_T1_T2_jT3_P12ihipStream_tbPNSt15iterator_traitsISK_E10value_typeEPNSQ_ISL_E10value_typeEPSM_NS1_7vsmem_tEENKUlT_SK_SL_SM_E_clIPjSE_SF_SF_EESJ_SZ_SK_SL_SM_EUlSZ_E1_NS1_11comp_targetILNS1_3genE2ELNS1_11target_archE906ELNS1_3gpuE6ELNS1_3repE0EEENS1_36merge_oddeven_config_static_selectorELNS0_4arch9wavefront6targetE1EEEvSL_
; %bb.0:
	.section	.rodata,"a",@progbits
	.p2align	6, 0x0
	.amdhsa_kernel _ZN7rocprim17ROCPRIM_400000_NS6detail17trampoline_kernelINS0_14default_configENS1_38merge_sort_block_merge_config_selectorIjNS0_10empty_typeEEEZZNS1_27merge_sort_block_merge_implIS3_N6thrust23THRUST_200600_302600_NS6detail15normal_iteratorINS9_10device_ptrIjEEEEPS5_jNS1_19radix_merge_compareILb0ELb1EjNS0_19identity_decomposerEEEEE10hipError_tT0_T1_T2_jT3_P12ihipStream_tbPNSt15iterator_traitsISK_E10value_typeEPNSQ_ISL_E10value_typeEPSM_NS1_7vsmem_tEENKUlT_SK_SL_SM_E_clIPjSE_SF_SF_EESJ_SZ_SK_SL_SM_EUlSZ_E1_NS1_11comp_targetILNS1_3genE2ELNS1_11target_archE906ELNS1_3gpuE6ELNS1_3repE0EEENS1_36merge_oddeven_config_static_selectorELNS0_4arch9wavefront6targetE1EEEvSL_
		.amdhsa_group_segment_fixed_size 0
		.amdhsa_private_segment_fixed_size 0
		.amdhsa_kernarg_size 48
		.amdhsa_user_sgpr_count 2
		.amdhsa_user_sgpr_dispatch_ptr 0
		.amdhsa_user_sgpr_queue_ptr 0
		.amdhsa_user_sgpr_kernarg_segment_ptr 1
		.amdhsa_user_sgpr_dispatch_id 0
		.amdhsa_user_sgpr_kernarg_preload_length 0
		.amdhsa_user_sgpr_kernarg_preload_offset 0
		.amdhsa_user_sgpr_private_segment_size 0
		.amdhsa_uses_dynamic_stack 0
		.amdhsa_enable_private_segment 0
		.amdhsa_system_sgpr_workgroup_id_x 1
		.amdhsa_system_sgpr_workgroup_id_y 0
		.amdhsa_system_sgpr_workgroup_id_z 0
		.amdhsa_system_sgpr_workgroup_info 0
		.amdhsa_system_vgpr_workitem_id 0
		.amdhsa_next_free_vgpr 1
		.amdhsa_next_free_sgpr 0
		.amdhsa_accum_offset 4
		.amdhsa_reserve_vcc 0
		.amdhsa_float_round_mode_32 0
		.amdhsa_float_round_mode_16_64 0
		.amdhsa_float_denorm_mode_32 3
		.amdhsa_float_denorm_mode_16_64 3
		.amdhsa_dx10_clamp 1
		.amdhsa_ieee_mode 1
		.amdhsa_fp16_overflow 0
		.amdhsa_tg_split 0
		.amdhsa_exception_fp_ieee_invalid_op 0
		.amdhsa_exception_fp_denorm_src 0
		.amdhsa_exception_fp_ieee_div_zero 0
		.amdhsa_exception_fp_ieee_overflow 0
		.amdhsa_exception_fp_ieee_underflow 0
		.amdhsa_exception_fp_ieee_inexact 0
		.amdhsa_exception_int_div_zero 0
	.end_amdhsa_kernel
	.section	.text._ZN7rocprim17ROCPRIM_400000_NS6detail17trampoline_kernelINS0_14default_configENS1_38merge_sort_block_merge_config_selectorIjNS0_10empty_typeEEEZZNS1_27merge_sort_block_merge_implIS3_N6thrust23THRUST_200600_302600_NS6detail15normal_iteratorINS9_10device_ptrIjEEEEPS5_jNS1_19radix_merge_compareILb0ELb1EjNS0_19identity_decomposerEEEEE10hipError_tT0_T1_T2_jT3_P12ihipStream_tbPNSt15iterator_traitsISK_E10value_typeEPNSQ_ISL_E10value_typeEPSM_NS1_7vsmem_tEENKUlT_SK_SL_SM_E_clIPjSE_SF_SF_EESJ_SZ_SK_SL_SM_EUlSZ_E1_NS1_11comp_targetILNS1_3genE2ELNS1_11target_archE906ELNS1_3gpuE6ELNS1_3repE0EEENS1_36merge_oddeven_config_static_selectorELNS0_4arch9wavefront6targetE1EEEvSL_,"axG",@progbits,_ZN7rocprim17ROCPRIM_400000_NS6detail17trampoline_kernelINS0_14default_configENS1_38merge_sort_block_merge_config_selectorIjNS0_10empty_typeEEEZZNS1_27merge_sort_block_merge_implIS3_N6thrust23THRUST_200600_302600_NS6detail15normal_iteratorINS9_10device_ptrIjEEEEPS5_jNS1_19radix_merge_compareILb0ELb1EjNS0_19identity_decomposerEEEEE10hipError_tT0_T1_T2_jT3_P12ihipStream_tbPNSt15iterator_traitsISK_E10value_typeEPNSQ_ISL_E10value_typeEPSM_NS1_7vsmem_tEENKUlT_SK_SL_SM_E_clIPjSE_SF_SF_EESJ_SZ_SK_SL_SM_EUlSZ_E1_NS1_11comp_targetILNS1_3genE2ELNS1_11target_archE906ELNS1_3gpuE6ELNS1_3repE0EEENS1_36merge_oddeven_config_static_selectorELNS0_4arch9wavefront6targetE1EEEvSL_,comdat
.Lfunc_end1047:
	.size	_ZN7rocprim17ROCPRIM_400000_NS6detail17trampoline_kernelINS0_14default_configENS1_38merge_sort_block_merge_config_selectorIjNS0_10empty_typeEEEZZNS1_27merge_sort_block_merge_implIS3_N6thrust23THRUST_200600_302600_NS6detail15normal_iteratorINS9_10device_ptrIjEEEEPS5_jNS1_19radix_merge_compareILb0ELb1EjNS0_19identity_decomposerEEEEE10hipError_tT0_T1_T2_jT3_P12ihipStream_tbPNSt15iterator_traitsISK_E10value_typeEPNSQ_ISL_E10value_typeEPSM_NS1_7vsmem_tEENKUlT_SK_SL_SM_E_clIPjSE_SF_SF_EESJ_SZ_SK_SL_SM_EUlSZ_E1_NS1_11comp_targetILNS1_3genE2ELNS1_11target_archE906ELNS1_3gpuE6ELNS1_3repE0EEENS1_36merge_oddeven_config_static_selectorELNS0_4arch9wavefront6targetE1EEEvSL_, .Lfunc_end1047-_ZN7rocprim17ROCPRIM_400000_NS6detail17trampoline_kernelINS0_14default_configENS1_38merge_sort_block_merge_config_selectorIjNS0_10empty_typeEEEZZNS1_27merge_sort_block_merge_implIS3_N6thrust23THRUST_200600_302600_NS6detail15normal_iteratorINS9_10device_ptrIjEEEEPS5_jNS1_19radix_merge_compareILb0ELb1EjNS0_19identity_decomposerEEEEE10hipError_tT0_T1_T2_jT3_P12ihipStream_tbPNSt15iterator_traitsISK_E10value_typeEPNSQ_ISL_E10value_typeEPSM_NS1_7vsmem_tEENKUlT_SK_SL_SM_E_clIPjSE_SF_SF_EESJ_SZ_SK_SL_SM_EUlSZ_E1_NS1_11comp_targetILNS1_3genE2ELNS1_11target_archE906ELNS1_3gpuE6ELNS1_3repE0EEENS1_36merge_oddeven_config_static_selectorELNS0_4arch9wavefront6targetE1EEEvSL_
                                        ; -- End function
	.section	.AMDGPU.csdata,"",@progbits
; Kernel info:
; codeLenInByte = 0
; NumSgprs: 6
; NumVgprs: 0
; NumAgprs: 0
; TotalNumVgprs: 0
; ScratchSize: 0
; MemoryBound: 0
; FloatMode: 240
; IeeeMode: 1
; LDSByteSize: 0 bytes/workgroup (compile time only)
; SGPRBlocks: 0
; VGPRBlocks: 0
; NumSGPRsForWavesPerEU: 6
; NumVGPRsForWavesPerEU: 1
; AccumOffset: 4
; Occupancy: 8
; WaveLimiterHint : 0
; COMPUTE_PGM_RSRC2:SCRATCH_EN: 0
; COMPUTE_PGM_RSRC2:USER_SGPR: 2
; COMPUTE_PGM_RSRC2:TRAP_HANDLER: 0
; COMPUTE_PGM_RSRC2:TGID_X_EN: 1
; COMPUTE_PGM_RSRC2:TGID_Y_EN: 0
; COMPUTE_PGM_RSRC2:TGID_Z_EN: 0
; COMPUTE_PGM_RSRC2:TIDIG_COMP_CNT: 0
; COMPUTE_PGM_RSRC3_GFX90A:ACCUM_OFFSET: 0
; COMPUTE_PGM_RSRC3_GFX90A:TG_SPLIT: 0
	.section	.text._ZN7rocprim17ROCPRIM_400000_NS6detail17trampoline_kernelINS0_14default_configENS1_38merge_sort_block_merge_config_selectorIjNS0_10empty_typeEEEZZNS1_27merge_sort_block_merge_implIS3_N6thrust23THRUST_200600_302600_NS6detail15normal_iteratorINS9_10device_ptrIjEEEEPS5_jNS1_19radix_merge_compareILb0ELb1EjNS0_19identity_decomposerEEEEE10hipError_tT0_T1_T2_jT3_P12ihipStream_tbPNSt15iterator_traitsISK_E10value_typeEPNSQ_ISL_E10value_typeEPSM_NS1_7vsmem_tEENKUlT_SK_SL_SM_E_clIPjSE_SF_SF_EESJ_SZ_SK_SL_SM_EUlSZ_E1_NS1_11comp_targetILNS1_3genE9ELNS1_11target_archE1100ELNS1_3gpuE3ELNS1_3repE0EEENS1_36merge_oddeven_config_static_selectorELNS0_4arch9wavefront6targetE1EEEvSL_,"axG",@progbits,_ZN7rocprim17ROCPRIM_400000_NS6detail17trampoline_kernelINS0_14default_configENS1_38merge_sort_block_merge_config_selectorIjNS0_10empty_typeEEEZZNS1_27merge_sort_block_merge_implIS3_N6thrust23THRUST_200600_302600_NS6detail15normal_iteratorINS9_10device_ptrIjEEEEPS5_jNS1_19radix_merge_compareILb0ELb1EjNS0_19identity_decomposerEEEEE10hipError_tT0_T1_T2_jT3_P12ihipStream_tbPNSt15iterator_traitsISK_E10value_typeEPNSQ_ISL_E10value_typeEPSM_NS1_7vsmem_tEENKUlT_SK_SL_SM_E_clIPjSE_SF_SF_EESJ_SZ_SK_SL_SM_EUlSZ_E1_NS1_11comp_targetILNS1_3genE9ELNS1_11target_archE1100ELNS1_3gpuE3ELNS1_3repE0EEENS1_36merge_oddeven_config_static_selectorELNS0_4arch9wavefront6targetE1EEEvSL_,comdat
	.protected	_ZN7rocprim17ROCPRIM_400000_NS6detail17trampoline_kernelINS0_14default_configENS1_38merge_sort_block_merge_config_selectorIjNS0_10empty_typeEEEZZNS1_27merge_sort_block_merge_implIS3_N6thrust23THRUST_200600_302600_NS6detail15normal_iteratorINS9_10device_ptrIjEEEEPS5_jNS1_19radix_merge_compareILb0ELb1EjNS0_19identity_decomposerEEEEE10hipError_tT0_T1_T2_jT3_P12ihipStream_tbPNSt15iterator_traitsISK_E10value_typeEPNSQ_ISL_E10value_typeEPSM_NS1_7vsmem_tEENKUlT_SK_SL_SM_E_clIPjSE_SF_SF_EESJ_SZ_SK_SL_SM_EUlSZ_E1_NS1_11comp_targetILNS1_3genE9ELNS1_11target_archE1100ELNS1_3gpuE3ELNS1_3repE0EEENS1_36merge_oddeven_config_static_selectorELNS0_4arch9wavefront6targetE1EEEvSL_ ; -- Begin function _ZN7rocprim17ROCPRIM_400000_NS6detail17trampoline_kernelINS0_14default_configENS1_38merge_sort_block_merge_config_selectorIjNS0_10empty_typeEEEZZNS1_27merge_sort_block_merge_implIS3_N6thrust23THRUST_200600_302600_NS6detail15normal_iteratorINS9_10device_ptrIjEEEEPS5_jNS1_19radix_merge_compareILb0ELb1EjNS0_19identity_decomposerEEEEE10hipError_tT0_T1_T2_jT3_P12ihipStream_tbPNSt15iterator_traitsISK_E10value_typeEPNSQ_ISL_E10value_typeEPSM_NS1_7vsmem_tEENKUlT_SK_SL_SM_E_clIPjSE_SF_SF_EESJ_SZ_SK_SL_SM_EUlSZ_E1_NS1_11comp_targetILNS1_3genE9ELNS1_11target_archE1100ELNS1_3gpuE3ELNS1_3repE0EEENS1_36merge_oddeven_config_static_selectorELNS0_4arch9wavefront6targetE1EEEvSL_
	.globl	_ZN7rocprim17ROCPRIM_400000_NS6detail17trampoline_kernelINS0_14default_configENS1_38merge_sort_block_merge_config_selectorIjNS0_10empty_typeEEEZZNS1_27merge_sort_block_merge_implIS3_N6thrust23THRUST_200600_302600_NS6detail15normal_iteratorINS9_10device_ptrIjEEEEPS5_jNS1_19radix_merge_compareILb0ELb1EjNS0_19identity_decomposerEEEEE10hipError_tT0_T1_T2_jT3_P12ihipStream_tbPNSt15iterator_traitsISK_E10value_typeEPNSQ_ISL_E10value_typeEPSM_NS1_7vsmem_tEENKUlT_SK_SL_SM_E_clIPjSE_SF_SF_EESJ_SZ_SK_SL_SM_EUlSZ_E1_NS1_11comp_targetILNS1_3genE9ELNS1_11target_archE1100ELNS1_3gpuE3ELNS1_3repE0EEENS1_36merge_oddeven_config_static_selectorELNS0_4arch9wavefront6targetE1EEEvSL_
	.p2align	8
	.type	_ZN7rocprim17ROCPRIM_400000_NS6detail17trampoline_kernelINS0_14default_configENS1_38merge_sort_block_merge_config_selectorIjNS0_10empty_typeEEEZZNS1_27merge_sort_block_merge_implIS3_N6thrust23THRUST_200600_302600_NS6detail15normal_iteratorINS9_10device_ptrIjEEEEPS5_jNS1_19radix_merge_compareILb0ELb1EjNS0_19identity_decomposerEEEEE10hipError_tT0_T1_T2_jT3_P12ihipStream_tbPNSt15iterator_traitsISK_E10value_typeEPNSQ_ISL_E10value_typeEPSM_NS1_7vsmem_tEENKUlT_SK_SL_SM_E_clIPjSE_SF_SF_EESJ_SZ_SK_SL_SM_EUlSZ_E1_NS1_11comp_targetILNS1_3genE9ELNS1_11target_archE1100ELNS1_3gpuE3ELNS1_3repE0EEENS1_36merge_oddeven_config_static_selectorELNS0_4arch9wavefront6targetE1EEEvSL_,@function
_ZN7rocprim17ROCPRIM_400000_NS6detail17trampoline_kernelINS0_14default_configENS1_38merge_sort_block_merge_config_selectorIjNS0_10empty_typeEEEZZNS1_27merge_sort_block_merge_implIS3_N6thrust23THRUST_200600_302600_NS6detail15normal_iteratorINS9_10device_ptrIjEEEEPS5_jNS1_19radix_merge_compareILb0ELb1EjNS0_19identity_decomposerEEEEE10hipError_tT0_T1_T2_jT3_P12ihipStream_tbPNSt15iterator_traitsISK_E10value_typeEPNSQ_ISL_E10value_typeEPSM_NS1_7vsmem_tEENKUlT_SK_SL_SM_E_clIPjSE_SF_SF_EESJ_SZ_SK_SL_SM_EUlSZ_E1_NS1_11comp_targetILNS1_3genE9ELNS1_11target_archE1100ELNS1_3gpuE3ELNS1_3repE0EEENS1_36merge_oddeven_config_static_selectorELNS0_4arch9wavefront6targetE1EEEvSL_: ; @_ZN7rocprim17ROCPRIM_400000_NS6detail17trampoline_kernelINS0_14default_configENS1_38merge_sort_block_merge_config_selectorIjNS0_10empty_typeEEEZZNS1_27merge_sort_block_merge_implIS3_N6thrust23THRUST_200600_302600_NS6detail15normal_iteratorINS9_10device_ptrIjEEEEPS5_jNS1_19radix_merge_compareILb0ELb1EjNS0_19identity_decomposerEEEEE10hipError_tT0_T1_T2_jT3_P12ihipStream_tbPNSt15iterator_traitsISK_E10value_typeEPNSQ_ISL_E10value_typeEPSM_NS1_7vsmem_tEENKUlT_SK_SL_SM_E_clIPjSE_SF_SF_EESJ_SZ_SK_SL_SM_EUlSZ_E1_NS1_11comp_targetILNS1_3genE9ELNS1_11target_archE1100ELNS1_3gpuE3ELNS1_3repE0EEENS1_36merge_oddeven_config_static_selectorELNS0_4arch9wavefront6targetE1EEEvSL_
; %bb.0:
	.section	.rodata,"a",@progbits
	.p2align	6, 0x0
	.amdhsa_kernel _ZN7rocprim17ROCPRIM_400000_NS6detail17trampoline_kernelINS0_14default_configENS1_38merge_sort_block_merge_config_selectorIjNS0_10empty_typeEEEZZNS1_27merge_sort_block_merge_implIS3_N6thrust23THRUST_200600_302600_NS6detail15normal_iteratorINS9_10device_ptrIjEEEEPS5_jNS1_19radix_merge_compareILb0ELb1EjNS0_19identity_decomposerEEEEE10hipError_tT0_T1_T2_jT3_P12ihipStream_tbPNSt15iterator_traitsISK_E10value_typeEPNSQ_ISL_E10value_typeEPSM_NS1_7vsmem_tEENKUlT_SK_SL_SM_E_clIPjSE_SF_SF_EESJ_SZ_SK_SL_SM_EUlSZ_E1_NS1_11comp_targetILNS1_3genE9ELNS1_11target_archE1100ELNS1_3gpuE3ELNS1_3repE0EEENS1_36merge_oddeven_config_static_selectorELNS0_4arch9wavefront6targetE1EEEvSL_
		.amdhsa_group_segment_fixed_size 0
		.amdhsa_private_segment_fixed_size 0
		.amdhsa_kernarg_size 48
		.amdhsa_user_sgpr_count 2
		.amdhsa_user_sgpr_dispatch_ptr 0
		.amdhsa_user_sgpr_queue_ptr 0
		.amdhsa_user_sgpr_kernarg_segment_ptr 1
		.amdhsa_user_sgpr_dispatch_id 0
		.amdhsa_user_sgpr_kernarg_preload_length 0
		.amdhsa_user_sgpr_kernarg_preload_offset 0
		.amdhsa_user_sgpr_private_segment_size 0
		.amdhsa_uses_dynamic_stack 0
		.amdhsa_enable_private_segment 0
		.amdhsa_system_sgpr_workgroup_id_x 1
		.amdhsa_system_sgpr_workgroup_id_y 0
		.amdhsa_system_sgpr_workgroup_id_z 0
		.amdhsa_system_sgpr_workgroup_info 0
		.amdhsa_system_vgpr_workitem_id 0
		.amdhsa_next_free_vgpr 1
		.amdhsa_next_free_sgpr 0
		.amdhsa_accum_offset 4
		.amdhsa_reserve_vcc 0
		.amdhsa_float_round_mode_32 0
		.amdhsa_float_round_mode_16_64 0
		.amdhsa_float_denorm_mode_32 3
		.amdhsa_float_denorm_mode_16_64 3
		.amdhsa_dx10_clamp 1
		.amdhsa_ieee_mode 1
		.amdhsa_fp16_overflow 0
		.amdhsa_tg_split 0
		.amdhsa_exception_fp_ieee_invalid_op 0
		.amdhsa_exception_fp_denorm_src 0
		.amdhsa_exception_fp_ieee_div_zero 0
		.amdhsa_exception_fp_ieee_overflow 0
		.amdhsa_exception_fp_ieee_underflow 0
		.amdhsa_exception_fp_ieee_inexact 0
		.amdhsa_exception_int_div_zero 0
	.end_amdhsa_kernel
	.section	.text._ZN7rocprim17ROCPRIM_400000_NS6detail17trampoline_kernelINS0_14default_configENS1_38merge_sort_block_merge_config_selectorIjNS0_10empty_typeEEEZZNS1_27merge_sort_block_merge_implIS3_N6thrust23THRUST_200600_302600_NS6detail15normal_iteratorINS9_10device_ptrIjEEEEPS5_jNS1_19radix_merge_compareILb0ELb1EjNS0_19identity_decomposerEEEEE10hipError_tT0_T1_T2_jT3_P12ihipStream_tbPNSt15iterator_traitsISK_E10value_typeEPNSQ_ISL_E10value_typeEPSM_NS1_7vsmem_tEENKUlT_SK_SL_SM_E_clIPjSE_SF_SF_EESJ_SZ_SK_SL_SM_EUlSZ_E1_NS1_11comp_targetILNS1_3genE9ELNS1_11target_archE1100ELNS1_3gpuE3ELNS1_3repE0EEENS1_36merge_oddeven_config_static_selectorELNS0_4arch9wavefront6targetE1EEEvSL_,"axG",@progbits,_ZN7rocprim17ROCPRIM_400000_NS6detail17trampoline_kernelINS0_14default_configENS1_38merge_sort_block_merge_config_selectorIjNS0_10empty_typeEEEZZNS1_27merge_sort_block_merge_implIS3_N6thrust23THRUST_200600_302600_NS6detail15normal_iteratorINS9_10device_ptrIjEEEEPS5_jNS1_19radix_merge_compareILb0ELb1EjNS0_19identity_decomposerEEEEE10hipError_tT0_T1_T2_jT3_P12ihipStream_tbPNSt15iterator_traitsISK_E10value_typeEPNSQ_ISL_E10value_typeEPSM_NS1_7vsmem_tEENKUlT_SK_SL_SM_E_clIPjSE_SF_SF_EESJ_SZ_SK_SL_SM_EUlSZ_E1_NS1_11comp_targetILNS1_3genE9ELNS1_11target_archE1100ELNS1_3gpuE3ELNS1_3repE0EEENS1_36merge_oddeven_config_static_selectorELNS0_4arch9wavefront6targetE1EEEvSL_,comdat
.Lfunc_end1048:
	.size	_ZN7rocprim17ROCPRIM_400000_NS6detail17trampoline_kernelINS0_14default_configENS1_38merge_sort_block_merge_config_selectorIjNS0_10empty_typeEEEZZNS1_27merge_sort_block_merge_implIS3_N6thrust23THRUST_200600_302600_NS6detail15normal_iteratorINS9_10device_ptrIjEEEEPS5_jNS1_19radix_merge_compareILb0ELb1EjNS0_19identity_decomposerEEEEE10hipError_tT0_T1_T2_jT3_P12ihipStream_tbPNSt15iterator_traitsISK_E10value_typeEPNSQ_ISL_E10value_typeEPSM_NS1_7vsmem_tEENKUlT_SK_SL_SM_E_clIPjSE_SF_SF_EESJ_SZ_SK_SL_SM_EUlSZ_E1_NS1_11comp_targetILNS1_3genE9ELNS1_11target_archE1100ELNS1_3gpuE3ELNS1_3repE0EEENS1_36merge_oddeven_config_static_selectorELNS0_4arch9wavefront6targetE1EEEvSL_, .Lfunc_end1048-_ZN7rocprim17ROCPRIM_400000_NS6detail17trampoline_kernelINS0_14default_configENS1_38merge_sort_block_merge_config_selectorIjNS0_10empty_typeEEEZZNS1_27merge_sort_block_merge_implIS3_N6thrust23THRUST_200600_302600_NS6detail15normal_iteratorINS9_10device_ptrIjEEEEPS5_jNS1_19radix_merge_compareILb0ELb1EjNS0_19identity_decomposerEEEEE10hipError_tT0_T1_T2_jT3_P12ihipStream_tbPNSt15iterator_traitsISK_E10value_typeEPNSQ_ISL_E10value_typeEPSM_NS1_7vsmem_tEENKUlT_SK_SL_SM_E_clIPjSE_SF_SF_EESJ_SZ_SK_SL_SM_EUlSZ_E1_NS1_11comp_targetILNS1_3genE9ELNS1_11target_archE1100ELNS1_3gpuE3ELNS1_3repE0EEENS1_36merge_oddeven_config_static_selectorELNS0_4arch9wavefront6targetE1EEEvSL_
                                        ; -- End function
	.section	.AMDGPU.csdata,"",@progbits
; Kernel info:
; codeLenInByte = 0
; NumSgprs: 6
; NumVgprs: 0
; NumAgprs: 0
; TotalNumVgprs: 0
; ScratchSize: 0
; MemoryBound: 0
; FloatMode: 240
; IeeeMode: 1
; LDSByteSize: 0 bytes/workgroup (compile time only)
; SGPRBlocks: 0
; VGPRBlocks: 0
; NumSGPRsForWavesPerEU: 6
; NumVGPRsForWavesPerEU: 1
; AccumOffset: 4
; Occupancy: 8
; WaveLimiterHint : 0
; COMPUTE_PGM_RSRC2:SCRATCH_EN: 0
; COMPUTE_PGM_RSRC2:USER_SGPR: 2
; COMPUTE_PGM_RSRC2:TRAP_HANDLER: 0
; COMPUTE_PGM_RSRC2:TGID_X_EN: 1
; COMPUTE_PGM_RSRC2:TGID_Y_EN: 0
; COMPUTE_PGM_RSRC2:TGID_Z_EN: 0
; COMPUTE_PGM_RSRC2:TIDIG_COMP_CNT: 0
; COMPUTE_PGM_RSRC3_GFX90A:ACCUM_OFFSET: 0
; COMPUTE_PGM_RSRC3_GFX90A:TG_SPLIT: 0
	.section	.text._ZN7rocprim17ROCPRIM_400000_NS6detail17trampoline_kernelINS0_14default_configENS1_38merge_sort_block_merge_config_selectorIjNS0_10empty_typeEEEZZNS1_27merge_sort_block_merge_implIS3_N6thrust23THRUST_200600_302600_NS6detail15normal_iteratorINS9_10device_ptrIjEEEEPS5_jNS1_19radix_merge_compareILb0ELb1EjNS0_19identity_decomposerEEEEE10hipError_tT0_T1_T2_jT3_P12ihipStream_tbPNSt15iterator_traitsISK_E10value_typeEPNSQ_ISL_E10value_typeEPSM_NS1_7vsmem_tEENKUlT_SK_SL_SM_E_clIPjSE_SF_SF_EESJ_SZ_SK_SL_SM_EUlSZ_E1_NS1_11comp_targetILNS1_3genE8ELNS1_11target_archE1030ELNS1_3gpuE2ELNS1_3repE0EEENS1_36merge_oddeven_config_static_selectorELNS0_4arch9wavefront6targetE1EEEvSL_,"axG",@progbits,_ZN7rocprim17ROCPRIM_400000_NS6detail17trampoline_kernelINS0_14default_configENS1_38merge_sort_block_merge_config_selectorIjNS0_10empty_typeEEEZZNS1_27merge_sort_block_merge_implIS3_N6thrust23THRUST_200600_302600_NS6detail15normal_iteratorINS9_10device_ptrIjEEEEPS5_jNS1_19radix_merge_compareILb0ELb1EjNS0_19identity_decomposerEEEEE10hipError_tT0_T1_T2_jT3_P12ihipStream_tbPNSt15iterator_traitsISK_E10value_typeEPNSQ_ISL_E10value_typeEPSM_NS1_7vsmem_tEENKUlT_SK_SL_SM_E_clIPjSE_SF_SF_EESJ_SZ_SK_SL_SM_EUlSZ_E1_NS1_11comp_targetILNS1_3genE8ELNS1_11target_archE1030ELNS1_3gpuE2ELNS1_3repE0EEENS1_36merge_oddeven_config_static_selectorELNS0_4arch9wavefront6targetE1EEEvSL_,comdat
	.protected	_ZN7rocprim17ROCPRIM_400000_NS6detail17trampoline_kernelINS0_14default_configENS1_38merge_sort_block_merge_config_selectorIjNS0_10empty_typeEEEZZNS1_27merge_sort_block_merge_implIS3_N6thrust23THRUST_200600_302600_NS6detail15normal_iteratorINS9_10device_ptrIjEEEEPS5_jNS1_19radix_merge_compareILb0ELb1EjNS0_19identity_decomposerEEEEE10hipError_tT0_T1_T2_jT3_P12ihipStream_tbPNSt15iterator_traitsISK_E10value_typeEPNSQ_ISL_E10value_typeEPSM_NS1_7vsmem_tEENKUlT_SK_SL_SM_E_clIPjSE_SF_SF_EESJ_SZ_SK_SL_SM_EUlSZ_E1_NS1_11comp_targetILNS1_3genE8ELNS1_11target_archE1030ELNS1_3gpuE2ELNS1_3repE0EEENS1_36merge_oddeven_config_static_selectorELNS0_4arch9wavefront6targetE1EEEvSL_ ; -- Begin function _ZN7rocprim17ROCPRIM_400000_NS6detail17trampoline_kernelINS0_14default_configENS1_38merge_sort_block_merge_config_selectorIjNS0_10empty_typeEEEZZNS1_27merge_sort_block_merge_implIS3_N6thrust23THRUST_200600_302600_NS6detail15normal_iteratorINS9_10device_ptrIjEEEEPS5_jNS1_19radix_merge_compareILb0ELb1EjNS0_19identity_decomposerEEEEE10hipError_tT0_T1_T2_jT3_P12ihipStream_tbPNSt15iterator_traitsISK_E10value_typeEPNSQ_ISL_E10value_typeEPSM_NS1_7vsmem_tEENKUlT_SK_SL_SM_E_clIPjSE_SF_SF_EESJ_SZ_SK_SL_SM_EUlSZ_E1_NS1_11comp_targetILNS1_3genE8ELNS1_11target_archE1030ELNS1_3gpuE2ELNS1_3repE0EEENS1_36merge_oddeven_config_static_selectorELNS0_4arch9wavefront6targetE1EEEvSL_
	.globl	_ZN7rocprim17ROCPRIM_400000_NS6detail17trampoline_kernelINS0_14default_configENS1_38merge_sort_block_merge_config_selectorIjNS0_10empty_typeEEEZZNS1_27merge_sort_block_merge_implIS3_N6thrust23THRUST_200600_302600_NS6detail15normal_iteratorINS9_10device_ptrIjEEEEPS5_jNS1_19radix_merge_compareILb0ELb1EjNS0_19identity_decomposerEEEEE10hipError_tT0_T1_T2_jT3_P12ihipStream_tbPNSt15iterator_traitsISK_E10value_typeEPNSQ_ISL_E10value_typeEPSM_NS1_7vsmem_tEENKUlT_SK_SL_SM_E_clIPjSE_SF_SF_EESJ_SZ_SK_SL_SM_EUlSZ_E1_NS1_11comp_targetILNS1_3genE8ELNS1_11target_archE1030ELNS1_3gpuE2ELNS1_3repE0EEENS1_36merge_oddeven_config_static_selectorELNS0_4arch9wavefront6targetE1EEEvSL_
	.p2align	8
	.type	_ZN7rocprim17ROCPRIM_400000_NS6detail17trampoline_kernelINS0_14default_configENS1_38merge_sort_block_merge_config_selectorIjNS0_10empty_typeEEEZZNS1_27merge_sort_block_merge_implIS3_N6thrust23THRUST_200600_302600_NS6detail15normal_iteratorINS9_10device_ptrIjEEEEPS5_jNS1_19radix_merge_compareILb0ELb1EjNS0_19identity_decomposerEEEEE10hipError_tT0_T1_T2_jT3_P12ihipStream_tbPNSt15iterator_traitsISK_E10value_typeEPNSQ_ISL_E10value_typeEPSM_NS1_7vsmem_tEENKUlT_SK_SL_SM_E_clIPjSE_SF_SF_EESJ_SZ_SK_SL_SM_EUlSZ_E1_NS1_11comp_targetILNS1_3genE8ELNS1_11target_archE1030ELNS1_3gpuE2ELNS1_3repE0EEENS1_36merge_oddeven_config_static_selectorELNS0_4arch9wavefront6targetE1EEEvSL_,@function
_ZN7rocprim17ROCPRIM_400000_NS6detail17trampoline_kernelINS0_14default_configENS1_38merge_sort_block_merge_config_selectorIjNS0_10empty_typeEEEZZNS1_27merge_sort_block_merge_implIS3_N6thrust23THRUST_200600_302600_NS6detail15normal_iteratorINS9_10device_ptrIjEEEEPS5_jNS1_19radix_merge_compareILb0ELb1EjNS0_19identity_decomposerEEEEE10hipError_tT0_T1_T2_jT3_P12ihipStream_tbPNSt15iterator_traitsISK_E10value_typeEPNSQ_ISL_E10value_typeEPSM_NS1_7vsmem_tEENKUlT_SK_SL_SM_E_clIPjSE_SF_SF_EESJ_SZ_SK_SL_SM_EUlSZ_E1_NS1_11comp_targetILNS1_3genE8ELNS1_11target_archE1030ELNS1_3gpuE2ELNS1_3repE0EEENS1_36merge_oddeven_config_static_selectorELNS0_4arch9wavefront6targetE1EEEvSL_: ; @_ZN7rocprim17ROCPRIM_400000_NS6detail17trampoline_kernelINS0_14default_configENS1_38merge_sort_block_merge_config_selectorIjNS0_10empty_typeEEEZZNS1_27merge_sort_block_merge_implIS3_N6thrust23THRUST_200600_302600_NS6detail15normal_iteratorINS9_10device_ptrIjEEEEPS5_jNS1_19radix_merge_compareILb0ELb1EjNS0_19identity_decomposerEEEEE10hipError_tT0_T1_T2_jT3_P12ihipStream_tbPNSt15iterator_traitsISK_E10value_typeEPNSQ_ISL_E10value_typeEPSM_NS1_7vsmem_tEENKUlT_SK_SL_SM_E_clIPjSE_SF_SF_EESJ_SZ_SK_SL_SM_EUlSZ_E1_NS1_11comp_targetILNS1_3genE8ELNS1_11target_archE1030ELNS1_3gpuE2ELNS1_3repE0EEENS1_36merge_oddeven_config_static_selectorELNS0_4arch9wavefront6targetE1EEEvSL_
; %bb.0:
	.section	.rodata,"a",@progbits
	.p2align	6, 0x0
	.amdhsa_kernel _ZN7rocprim17ROCPRIM_400000_NS6detail17trampoline_kernelINS0_14default_configENS1_38merge_sort_block_merge_config_selectorIjNS0_10empty_typeEEEZZNS1_27merge_sort_block_merge_implIS3_N6thrust23THRUST_200600_302600_NS6detail15normal_iteratorINS9_10device_ptrIjEEEEPS5_jNS1_19radix_merge_compareILb0ELb1EjNS0_19identity_decomposerEEEEE10hipError_tT0_T1_T2_jT3_P12ihipStream_tbPNSt15iterator_traitsISK_E10value_typeEPNSQ_ISL_E10value_typeEPSM_NS1_7vsmem_tEENKUlT_SK_SL_SM_E_clIPjSE_SF_SF_EESJ_SZ_SK_SL_SM_EUlSZ_E1_NS1_11comp_targetILNS1_3genE8ELNS1_11target_archE1030ELNS1_3gpuE2ELNS1_3repE0EEENS1_36merge_oddeven_config_static_selectorELNS0_4arch9wavefront6targetE1EEEvSL_
		.amdhsa_group_segment_fixed_size 0
		.amdhsa_private_segment_fixed_size 0
		.amdhsa_kernarg_size 48
		.amdhsa_user_sgpr_count 2
		.amdhsa_user_sgpr_dispatch_ptr 0
		.amdhsa_user_sgpr_queue_ptr 0
		.amdhsa_user_sgpr_kernarg_segment_ptr 1
		.amdhsa_user_sgpr_dispatch_id 0
		.amdhsa_user_sgpr_kernarg_preload_length 0
		.amdhsa_user_sgpr_kernarg_preload_offset 0
		.amdhsa_user_sgpr_private_segment_size 0
		.amdhsa_uses_dynamic_stack 0
		.amdhsa_enable_private_segment 0
		.amdhsa_system_sgpr_workgroup_id_x 1
		.amdhsa_system_sgpr_workgroup_id_y 0
		.amdhsa_system_sgpr_workgroup_id_z 0
		.amdhsa_system_sgpr_workgroup_info 0
		.amdhsa_system_vgpr_workitem_id 0
		.amdhsa_next_free_vgpr 1
		.amdhsa_next_free_sgpr 0
		.amdhsa_accum_offset 4
		.amdhsa_reserve_vcc 0
		.amdhsa_float_round_mode_32 0
		.amdhsa_float_round_mode_16_64 0
		.amdhsa_float_denorm_mode_32 3
		.amdhsa_float_denorm_mode_16_64 3
		.amdhsa_dx10_clamp 1
		.amdhsa_ieee_mode 1
		.amdhsa_fp16_overflow 0
		.amdhsa_tg_split 0
		.amdhsa_exception_fp_ieee_invalid_op 0
		.amdhsa_exception_fp_denorm_src 0
		.amdhsa_exception_fp_ieee_div_zero 0
		.amdhsa_exception_fp_ieee_overflow 0
		.amdhsa_exception_fp_ieee_underflow 0
		.amdhsa_exception_fp_ieee_inexact 0
		.amdhsa_exception_int_div_zero 0
	.end_amdhsa_kernel
	.section	.text._ZN7rocprim17ROCPRIM_400000_NS6detail17trampoline_kernelINS0_14default_configENS1_38merge_sort_block_merge_config_selectorIjNS0_10empty_typeEEEZZNS1_27merge_sort_block_merge_implIS3_N6thrust23THRUST_200600_302600_NS6detail15normal_iteratorINS9_10device_ptrIjEEEEPS5_jNS1_19radix_merge_compareILb0ELb1EjNS0_19identity_decomposerEEEEE10hipError_tT0_T1_T2_jT3_P12ihipStream_tbPNSt15iterator_traitsISK_E10value_typeEPNSQ_ISL_E10value_typeEPSM_NS1_7vsmem_tEENKUlT_SK_SL_SM_E_clIPjSE_SF_SF_EESJ_SZ_SK_SL_SM_EUlSZ_E1_NS1_11comp_targetILNS1_3genE8ELNS1_11target_archE1030ELNS1_3gpuE2ELNS1_3repE0EEENS1_36merge_oddeven_config_static_selectorELNS0_4arch9wavefront6targetE1EEEvSL_,"axG",@progbits,_ZN7rocprim17ROCPRIM_400000_NS6detail17trampoline_kernelINS0_14default_configENS1_38merge_sort_block_merge_config_selectorIjNS0_10empty_typeEEEZZNS1_27merge_sort_block_merge_implIS3_N6thrust23THRUST_200600_302600_NS6detail15normal_iteratorINS9_10device_ptrIjEEEEPS5_jNS1_19radix_merge_compareILb0ELb1EjNS0_19identity_decomposerEEEEE10hipError_tT0_T1_T2_jT3_P12ihipStream_tbPNSt15iterator_traitsISK_E10value_typeEPNSQ_ISL_E10value_typeEPSM_NS1_7vsmem_tEENKUlT_SK_SL_SM_E_clIPjSE_SF_SF_EESJ_SZ_SK_SL_SM_EUlSZ_E1_NS1_11comp_targetILNS1_3genE8ELNS1_11target_archE1030ELNS1_3gpuE2ELNS1_3repE0EEENS1_36merge_oddeven_config_static_selectorELNS0_4arch9wavefront6targetE1EEEvSL_,comdat
.Lfunc_end1049:
	.size	_ZN7rocprim17ROCPRIM_400000_NS6detail17trampoline_kernelINS0_14default_configENS1_38merge_sort_block_merge_config_selectorIjNS0_10empty_typeEEEZZNS1_27merge_sort_block_merge_implIS3_N6thrust23THRUST_200600_302600_NS6detail15normal_iteratorINS9_10device_ptrIjEEEEPS5_jNS1_19radix_merge_compareILb0ELb1EjNS0_19identity_decomposerEEEEE10hipError_tT0_T1_T2_jT3_P12ihipStream_tbPNSt15iterator_traitsISK_E10value_typeEPNSQ_ISL_E10value_typeEPSM_NS1_7vsmem_tEENKUlT_SK_SL_SM_E_clIPjSE_SF_SF_EESJ_SZ_SK_SL_SM_EUlSZ_E1_NS1_11comp_targetILNS1_3genE8ELNS1_11target_archE1030ELNS1_3gpuE2ELNS1_3repE0EEENS1_36merge_oddeven_config_static_selectorELNS0_4arch9wavefront6targetE1EEEvSL_, .Lfunc_end1049-_ZN7rocprim17ROCPRIM_400000_NS6detail17trampoline_kernelINS0_14default_configENS1_38merge_sort_block_merge_config_selectorIjNS0_10empty_typeEEEZZNS1_27merge_sort_block_merge_implIS3_N6thrust23THRUST_200600_302600_NS6detail15normal_iteratorINS9_10device_ptrIjEEEEPS5_jNS1_19radix_merge_compareILb0ELb1EjNS0_19identity_decomposerEEEEE10hipError_tT0_T1_T2_jT3_P12ihipStream_tbPNSt15iterator_traitsISK_E10value_typeEPNSQ_ISL_E10value_typeEPSM_NS1_7vsmem_tEENKUlT_SK_SL_SM_E_clIPjSE_SF_SF_EESJ_SZ_SK_SL_SM_EUlSZ_E1_NS1_11comp_targetILNS1_3genE8ELNS1_11target_archE1030ELNS1_3gpuE2ELNS1_3repE0EEENS1_36merge_oddeven_config_static_selectorELNS0_4arch9wavefront6targetE1EEEvSL_
                                        ; -- End function
	.section	.AMDGPU.csdata,"",@progbits
; Kernel info:
; codeLenInByte = 0
; NumSgprs: 6
; NumVgprs: 0
; NumAgprs: 0
; TotalNumVgprs: 0
; ScratchSize: 0
; MemoryBound: 0
; FloatMode: 240
; IeeeMode: 1
; LDSByteSize: 0 bytes/workgroup (compile time only)
; SGPRBlocks: 0
; VGPRBlocks: 0
; NumSGPRsForWavesPerEU: 6
; NumVGPRsForWavesPerEU: 1
; AccumOffset: 4
; Occupancy: 8
; WaveLimiterHint : 0
; COMPUTE_PGM_RSRC2:SCRATCH_EN: 0
; COMPUTE_PGM_RSRC2:USER_SGPR: 2
; COMPUTE_PGM_RSRC2:TRAP_HANDLER: 0
; COMPUTE_PGM_RSRC2:TGID_X_EN: 1
; COMPUTE_PGM_RSRC2:TGID_Y_EN: 0
; COMPUTE_PGM_RSRC2:TGID_Z_EN: 0
; COMPUTE_PGM_RSRC2:TIDIG_COMP_CNT: 0
; COMPUTE_PGM_RSRC3_GFX90A:ACCUM_OFFSET: 0
; COMPUTE_PGM_RSRC3_GFX90A:TG_SPLIT: 0
	.section	.text._ZN7rocprim17ROCPRIM_400000_NS6detail17trampoline_kernelINS0_14default_configENS1_38merge_sort_block_merge_config_selectorIjNS0_10empty_typeEEEZZNS1_27merge_sort_block_merge_implIS3_N6thrust23THRUST_200600_302600_NS6detail15normal_iteratorINS9_10device_ptrIjEEEEPS5_jNS1_19radix_merge_compareILb0ELb1EjNS0_19identity_decomposerEEEEE10hipError_tT0_T1_T2_jT3_P12ihipStream_tbPNSt15iterator_traitsISK_E10value_typeEPNSQ_ISL_E10value_typeEPSM_NS1_7vsmem_tEENKUlT_SK_SL_SM_E_clISE_PjSF_SF_EESJ_SZ_SK_SL_SM_EUlSZ_E_NS1_11comp_targetILNS1_3genE0ELNS1_11target_archE4294967295ELNS1_3gpuE0ELNS1_3repE0EEENS1_48merge_mergepath_partition_config_static_selectorELNS0_4arch9wavefront6targetE1EEEvSL_,"axG",@progbits,_ZN7rocprim17ROCPRIM_400000_NS6detail17trampoline_kernelINS0_14default_configENS1_38merge_sort_block_merge_config_selectorIjNS0_10empty_typeEEEZZNS1_27merge_sort_block_merge_implIS3_N6thrust23THRUST_200600_302600_NS6detail15normal_iteratorINS9_10device_ptrIjEEEEPS5_jNS1_19radix_merge_compareILb0ELb1EjNS0_19identity_decomposerEEEEE10hipError_tT0_T1_T2_jT3_P12ihipStream_tbPNSt15iterator_traitsISK_E10value_typeEPNSQ_ISL_E10value_typeEPSM_NS1_7vsmem_tEENKUlT_SK_SL_SM_E_clISE_PjSF_SF_EESJ_SZ_SK_SL_SM_EUlSZ_E_NS1_11comp_targetILNS1_3genE0ELNS1_11target_archE4294967295ELNS1_3gpuE0ELNS1_3repE0EEENS1_48merge_mergepath_partition_config_static_selectorELNS0_4arch9wavefront6targetE1EEEvSL_,comdat
	.protected	_ZN7rocprim17ROCPRIM_400000_NS6detail17trampoline_kernelINS0_14default_configENS1_38merge_sort_block_merge_config_selectorIjNS0_10empty_typeEEEZZNS1_27merge_sort_block_merge_implIS3_N6thrust23THRUST_200600_302600_NS6detail15normal_iteratorINS9_10device_ptrIjEEEEPS5_jNS1_19radix_merge_compareILb0ELb1EjNS0_19identity_decomposerEEEEE10hipError_tT0_T1_T2_jT3_P12ihipStream_tbPNSt15iterator_traitsISK_E10value_typeEPNSQ_ISL_E10value_typeEPSM_NS1_7vsmem_tEENKUlT_SK_SL_SM_E_clISE_PjSF_SF_EESJ_SZ_SK_SL_SM_EUlSZ_E_NS1_11comp_targetILNS1_3genE0ELNS1_11target_archE4294967295ELNS1_3gpuE0ELNS1_3repE0EEENS1_48merge_mergepath_partition_config_static_selectorELNS0_4arch9wavefront6targetE1EEEvSL_ ; -- Begin function _ZN7rocprim17ROCPRIM_400000_NS6detail17trampoline_kernelINS0_14default_configENS1_38merge_sort_block_merge_config_selectorIjNS0_10empty_typeEEEZZNS1_27merge_sort_block_merge_implIS3_N6thrust23THRUST_200600_302600_NS6detail15normal_iteratorINS9_10device_ptrIjEEEEPS5_jNS1_19radix_merge_compareILb0ELb1EjNS0_19identity_decomposerEEEEE10hipError_tT0_T1_T2_jT3_P12ihipStream_tbPNSt15iterator_traitsISK_E10value_typeEPNSQ_ISL_E10value_typeEPSM_NS1_7vsmem_tEENKUlT_SK_SL_SM_E_clISE_PjSF_SF_EESJ_SZ_SK_SL_SM_EUlSZ_E_NS1_11comp_targetILNS1_3genE0ELNS1_11target_archE4294967295ELNS1_3gpuE0ELNS1_3repE0EEENS1_48merge_mergepath_partition_config_static_selectorELNS0_4arch9wavefront6targetE1EEEvSL_
	.globl	_ZN7rocprim17ROCPRIM_400000_NS6detail17trampoline_kernelINS0_14default_configENS1_38merge_sort_block_merge_config_selectorIjNS0_10empty_typeEEEZZNS1_27merge_sort_block_merge_implIS3_N6thrust23THRUST_200600_302600_NS6detail15normal_iteratorINS9_10device_ptrIjEEEEPS5_jNS1_19radix_merge_compareILb0ELb1EjNS0_19identity_decomposerEEEEE10hipError_tT0_T1_T2_jT3_P12ihipStream_tbPNSt15iterator_traitsISK_E10value_typeEPNSQ_ISL_E10value_typeEPSM_NS1_7vsmem_tEENKUlT_SK_SL_SM_E_clISE_PjSF_SF_EESJ_SZ_SK_SL_SM_EUlSZ_E_NS1_11comp_targetILNS1_3genE0ELNS1_11target_archE4294967295ELNS1_3gpuE0ELNS1_3repE0EEENS1_48merge_mergepath_partition_config_static_selectorELNS0_4arch9wavefront6targetE1EEEvSL_
	.p2align	8
	.type	_ZN7rocprim17ROCPRIM_400000_NS6detail17trampoline_kernelINS0_14default_configENS1_38merge_sort_block_merge_config_selectorIjNS0_10empty_typeEEEZZNS1_27merge_sort_block_merge_implIS3_N6thrust23THRUST_200600_302600_NS6detail15normal_iteratorINS9_10device_ptrIjEEEEPS5_jNS1_19radix_merge_compareILb0ELb1EjNS0_19identity_decomposerEEEEE10hipError_tT0_T1_T2_jT3_P12ihipStream_tbPNSt15iterator_traitsISK_E10value_typeEPNSQ_ISL_E10value_typeEPSM_NS1_7vsmem_tEENKUlT_SK_SL_SM_E_clISE_PjSF_SF_EESJ_SZ_SK_SL_SM_EUlSZ_E_NS1_11comp_targetILNS1_3genE0ELNS1_11target_archE4294967295ELNS1_3gpuE0ELNS1_3repE0EEENS1_48merge_mergepath_partition_config_static_selectorELNS0_4arch9wavefront6targetE1EEEvSL_,@function
_ZN7rocprim17ROCPRIM_400000_NS6detail17trampoline_kernelINS0_14default_configENS1_38merge_sort_block_merge_config_selectorIjNS0_10empty_typeEEEZZNS1_27merge_sort_block_merge_implIS3_N6thrust23THRUST_200600_302600_NS6detail15normal_iteratorINS9_10device_ptrIjEEEEPS5_jNS1_19radix_merge_compareILb0ELb1EjNS0_19identity_decomposerEEEEE10hipError_tT0_T1_T2_jT3_P12ihipStream_tbPNSt15iterator_traitsISK_E10value_typeEPNSQ_ISL_E10value_typeEPSM_NS1_7vsmem_tEENKUlT_SK_SL_SM_E_clISE_PjSF_SF_EESJ_SZ_SK_SL_SM_EUlSZ_E_NS1_11comp_targetILNS1_3genE0ELNS1_11target_archE4294967295ELNS1_3gpuE0ELNS1_3repE0EEENS1_48merge_mergepath_partition_config_static_selectorELNS0_4arch9wavefront6targetE1EEEvSL_: ; @_ZN7rocprim17ROCPRIM_400000_NS6detail17trampoline_kernelINS0_14default_configENS1_38merge_sort_block_merge_config_selectorIjNS0_10empty_typeEEEZZNS1_27merge_sort_block_merge_implIS3_N6thrust23THRUST_200600_302600_NS6detail15normal_iteratorINS9_10device_ptrIjEEEEPS5_jNS1_19radix_merge_compareILb0ELb1EjNS0_19identity_decomposerEEEEE10hipError_tT0_T1_T2_jT3_P12ihipStream_tbPNSt15iterator_traitsISK_E10value_typeEPNSQ_ISL_E10value_typeEPSM_NS1_7vsmem_tEENKUlT_SK_SL_SM_E_clISE_PjSF_SF_EESJ_SZ_SK_SL_SM_EUlSZ_E_NS1_11comp_targetILNS1_3genE0ELNS1_11target_archE4294967295ELNS1_3gpuE0ELNS1_3repE0EEENS1_48merge_mergepath_partition_config_static_selectorELNS0_4arch9wavefront6targetE1EEEvSL_
; %bb.0:
	.section	.rodata,"a",@progbits
	.p2align	6, 0x0
	.amdhsa_kernel _ZN7rocprim17ROCPRIM_400000_NS6detail17trampoline_kernelINS0_14default_configENS1_38merge_sort_block_merge_config_selectorIjNS0_10empty_typeEEEZZNS1_27merge_sort_block_merge_implIS3_N6thrust23THRUST_200600_302600_NS6detail15normal_iteratorINS9_10device_ptrIjEEEEPS5_jNS1_19radix_merge_compareILb0ELb1EjNS0_19identity_decomposerEEEEE10hipError_tT0_T1_T2_jT3_P12ihipStream_tbPNSt15iterator_traitsISK_E10value_typeEPNSQ_ISL_E10value_typeEPSM_NS1_7vsmem_tEENKUlT_SK_SL_SM_E_clISE_PjSF_SF_EESJ_SZ_SK_SL_SM_EUlSZ_E_NS1_11comp_targetILNS1_3genE0ELNS1_11target_archE4294967295ELNS1_3gpuE0ELNS1_3repE0EEENS1_48merge_mergepath_partition_config_static_selectorELNS0_4arch9wavefront6targetE1EEEvSL_
		.amdhsa_group_segment_fixed_size 0
		.amdhsa_private_segment_fixed_size 0
		.amdhsa_kernarg_size 40
		.amdhsa_user_sgpr_count 2
		.amdhsa_user_sgpr_dispatch_ptr 0
		.amdhsa_user_sgpr_queue_ptr 0
		.amdhsa_user_sgpr_kernarg_segment_ptr 1
		.amdhsa_user_sgpr_dispatch_id 0
		.amdhsa_user_sgpr_kernarg_preload_length 0
		.amdhsa_user_sgpr_kernarg_preload_offset 0
		.amdhsa_user_sgpr_private_segment_size 0
		.amdhsa_uses_dynamic_stack 0
		.amdhsa_enable_private_segment 0
		.amdhsa_system_sgpr_workgroup_id_x 1
		.amdhsa_system_sgpr_workgroup_id_y 0
		.amdhsa_system_sgpr_workgroup_id_z 0
		.amdhsa_system_sgpr_workgroup_info 0
		.amdhsa_system_vgpr_workitem_id 0
		.amdhsa_next_free_vgpr 1
		.amdhsa_next_free_sgpr 0
		.amdhsa_accum_offset 4
		.amdhsa_reserve_vcc 0
		.amdhsa_float_round_mode_32 0
		.amdhsa_float_round_mode_16_64 0
		.amdhsa_float_denorm_mode_32 3
		.amdhsa_float_denorm_mode_16_64 3
		.amdhsa_dx10_clamp 1
		.amdhsa_ieee_mode 1
		.amdhsa_fp16_overflow 0
		.amdhsa_tg_split 0
		.amdhsa_exception_fp_ieee_invalid_op 0
		.amdhsa_exception_fp_denorm_src 0
		.amdhsa_exception_fp_ieee_div_zero 0
		.amdhsa_exception_fp_ieee_overflow 0
		.amdhsa_exception_fp_ieee_underflow 0
		.amdhsa_exception_fp_ieee_inexact 0
		.amdhsa_exception_int_div_zero 0
	.end_amdhsa_kernel
	.section	.text._ZN7rocprim17ROCPRIM_400000_NS6detail17trampoline_kernelINS0_14default_configENS1_38merge_sort_block_merge_config_selectorIjNS0_10empty_typeEEEZZNS1_27merge_sort_block_merge_implIS3_N6thrust23THRUST_200600_302600_NS6detail15normal_iteratorINS9_10device_ptrIjEEEEPS5_jNS1_19radix_merge_compareILb0ELb1EjNS0_19identity_decomposerEEEEE10hipError_tT0_T1_T2_jT3_P12ihipStream_tbPNSt15iterator_traitsISK_E10value_typeEPNSQ_ISL_E10value_typeEPSM_NS1_7vsmem_tEENKUlT_SK_SL_SM_E_clISE_PjSF_SF_EESJ_SZ_SK_SL_SM_EUlSZ_E_NS1_11comp_targetILNS1_3genE0ELNS1_11target_archE4294967295ELNS1_3gpuE0ELNS1_3repE0EEENS1_48merge_mergepath_partition_config_static_selectorELNS0_4arch9wavefront6targetE1EEEvSL_,"axG",@progbits,_ZN7rocprim17ROCPRIM_400000_NS6detail17trampoline_kernelINS0_14default_configENS1_38merge_sort_block_merge_config_selectorIjNS0_10empty_typeEEEZZNS1_27merge_sort_block_merge_implIS3_N6thrust23THRUST_200600_302600_NS6detail15normal_iteratorINS9_10device_ptrIjEEEEPS5_jNS1_19radix_merge_compareILb0ELb1EjNS0_19identity_decomposerEEEEE10hipError_tT0_T1_T2_jT3_P12ihipStream_tbPNSt15iterator_traitsISK_E10value_typeEPNSQ_ISL_E10value_typeEPSM_NS1_7vsmem_tEENKUlT_SK_SL_SM_E_clISE_PjSF_SF_EESJ_SZ_SK_SL_SM_EUlSZ_E_NS1_11comp_targetILNS1_3genE0ELNS1_11target_archE4294967295ELNS1_3gpuE0ELNS1_3repE0EEENS1_48merge_mergepath_partition_config_static_selectorELNS0_4arch9wavefront6targetE1EEEvSL_,comdat
.Lfunc_end1050:
	.size	_ZN7rocprim17ROCPRIM_400000_NS6detail17trampoline_kernelINS0_14default_configENS1_38merge_sort_block_merge_config_selectorIjNS0_10empty_typeEEEZZNS1_27merge_sort_block_merge_implIS3_N6thrust23THRUST_200600_302600_NS6detail15normal_iteratorINS9_10device_ptrIjEEEEPS5_jNS1_19radix_merge_compareILb0ELb1EjNS0_19identity_decomposerEEEEE10hipError_tT0_T1_T2_jT3_P12ihipStream_tbPNSt15iterator_traitsISK_E10value_typeEPNSQ_ISL_E10value_typeEPSM_NS1_7vsmem_tEENKUlT_SK_SL_SM_E_clISE_PjSF_SF_EESJ_SZ_SK_SL_SM_EUlSZ_E_NS1_11comp_targetILNS1_3genE0ELNS1_11target_archE4294967295ELNS1_3gpuE0ELNS1_3repE0EEENS1_48merge_mergepath_partition_config_static_selectorELNS0_4arch9wavefront6targetE1EEEvSL_, .Lfunc_end1050-_ZN7rocprim17ROCPRIM_400000_NS6detail17trampoline_kernelINS0_14default_configENS1_38merge_sort_block_merge_config_selectorIjNS0_10empty_typeEEEZZNS1_27merge_sort_block_merge_implIS3_N6thrust23THRUST_200600_302600_NS6detail15normal_iteratorINS9_10device_ptrIjEEEEPS5_jNS1_19radix_merge_compareILb0ELb1EjNS0_19identity_decomposerEEEEE10hipError_tT0_T1_T2_jT3_P12ihipStream_tbPNSt15iterator_traitsISK_E10value_typeEPNSQ_ISL_E10value_typeEPSM_NS1_7vsmem_tEENKUlT_SK_SL_SM_E_clISE_PjSF_SF_EESJ_SZ_SK_SL_SM_EUlSZ_E_NS1_11comp_targetILNS1_3genE0ELNS1_11target_archE4294967295ELNS1_3gpuE0ELNS1_3repE0EEENS1_48merge_mergepath_partition_config_static_selectorELNS0_4arch9wavefront6targetE1EEEvSL_
                                        ; -- End function
	.section	.AMDGPU.csdata,"",@progbits
; Kernel info:
; codeLenInByte = 0
; NumSgprs: 6
; NumVgprs: 0
; NumAgprs: 0
; TotalNumVgprs: 0
; ScratchSize: 0
; MemoryBound: 0
; FloatMode: 240
; IeeeMode: 1
; LDSByteSize: 0 bytes/workgroup (compile time only)
; SGPRBlocks: 0
; VGPRBlocks: 0
; NumSGPRsForWavesPerEU: 6
; NumVGPRsForWavesPerEU: 1
; AccumOffset: 4
; Occupancy: 8
; WaveLimiterHint : 0
; COMPUTE_PGM_RSRC2:SCRATCH_EN: 0
; COMPUTE_PGM_RSRC2:USER_SGPR: 2
; COMPUTE_PGM_RSRC2:TRAP_HANDLER: 0
; COMPUTE_PGM_RSRC2:TGID_X_EN: 1
; COMPUTE_PGM_RSRC2:TGID_Y_EN: 0
; COMPUTE_PGM_RSRC2:TGID_Z_EN: 0
; COMPUTE_PGM_RSRC2:TIDIG_COMP_CNT: 0
; COMPUTE_PGM_RSRC3_GFX90A:ACCUM_OFFSET: 0
; COMPUTE_PGM_RSRC3_GFX90A:TG_SPLIT: 0
	.section	.text._ZN7rocprim17ROCPRIM_400000_NS6detail17trampoline_kernelINS0_14default_configENS1_38merge_sort_block_merge_config_selectorIjNS0_10empty_typeEEEZZNS1_27merge_sort_block_merge_implIS3_N6thrust23THRUST_200600_302600_NS6detail15normal_iteratorINS9_10device_ptrIjEEEEPS5_jNS1_19radix_merge_compareILb0ELb1EjNS0_19identity_decomposerEEEEE10hipError_tT0_T1_T2_jT3_P12ihipStream_tbPNSt15iterator_traitsISK_E10value_typeEPNSQ_ISL_E10value_typeEPSM_NS1_7vsmem_tEENKUlT_SK_SL_SM_E_clISE_PjSF_SF_EESJ_SZ_SK_SL_SM_EUlSZ_E_NS1_11comp_targetILNS1_3genE10ELNS1_11target_archE1201ELNS1_3gpuE5ELNS1_3repE0EEENS1_48merge_mergepath_partition_config_static_selectorELNS0_4arch9wavefront6targetE1EEEvSL_,"axG",@progbits,_ZN7rocprim17ROCPRIM_400000_NS6detail17trampoline_kernelINS0_14default_configENS1_38merge_sort_block_merge_config_selectorIjNS0_10empty_typeEEEZZNS1_27merge_sort_block_merge_implIS3_N6thrust23THRUST_200600_302600_NS6detail15normal_iteratorINS9_10device_ptrIjEEEEPS5_jNS1_19radix_merge_compareILb0ELb1EjNS0_19identity_decomposerEEEEE10hipError_tT0_T1_T2_jT3_P12ihipStream_tbPNSt15iterator_traitsISK_E10value_typeEPNSQ_ISL_E10value_typeEPSM_NS1_7vsmem_tEENKUlT_SK_SL_SM_E_clISE_PjSF_SF_EESJ_SZ_SK_SL_SM_EUlSZ_E_NS1_11comp_targetILNS1_3genE10ELNS1_11target_archE1201ELNS1_3gpuE5ELNS1_3repE0EEENS1_48merge_mergepath_partition_config_static_selectorELNS0_4arch9wavefront6targetE1EEEvSL_,comdat
	.protected	_ZN7rocprim17ROCPRIM_400000_NS6detail17trampoline_kernelINS0_14default_configENS1_38merge_sort_block_merge_config_selectorIjNS0_10empty_typeEEEZZNS1_27merge_sort_block_merge_implIS3_N6thrust23THRUST_200600_302600_NS6detail15normal_iteratorINS9_10device_ptrIjEEEEPS5_jNS1_19radix_merge_compareILb0ELb1EjNS0_19identity_decomposerEEEEE10hipError_tT0_T1_T2_jT3_P12ihipStream_tbPNSt15iterator_traitsISK_E10value_typeEPNSQ_ISL_E10value_typeEPSM_NS1_7vsmem_tEENKUlT_SK_SL_SM_E_clISE_PjSF_SF_EESJ_SZ_SK_SL_SM_EUlSZ_E_NS1_11comp_targetILNS1_3genE10ELNS1_11target_archE1201ELNS1_3gpuE5ELNS1_3repE0EEENS1_48merge_mergepath_partition_config_static_selectorELNS0_4arch9wavefront6targetE1EEEvSL_ ; -- Begin function _ZN7rocprim17ROCPRIM_400000_NS6detail17trampoline_kernelINS0_14default_configENS1_38merge_sort_block_merge_config_selectorIjNS0_10empty_typeEEEZZNS1_27merge_sort_block_merge_implIS3_N6thrust23THRUST_200600_302600_NS6detail15normal_iteratorINS9_10device_ptrIjEEEEPS5_jNS1_19radix_merge_compareILb0ELb1EjNS0_19identity_decomposerEEEEE10hipError_tT0_T1_T2_jT3_P12ihipStream_tbPNSt15iterator_traitsISK_E10value_typeEPNSQ_ISL_E10value_typeEPSM_NS1_7vsmem_tEENKUlT_SK_SL_SM_E_clISE_PjSF_SF_EESJ_SZ_SK_SL_SM_EUlSZ_E_NS1_11comp_targetILNS1_3genE10ELNS1_11target_archE1201ELNS1_3gpuE5ELNS1_3repE0EEENS1_48merge_mergepath_partition_config_static_selectorELNS0_4arch9wavefront6targetE1EEEvSL_
	.globl	_ZN7rocprim17ROCPRIM_400000_NS6detail17trampoline_kernelINS0_14default_configENS1_38merge_sort_block_merge_config_selectorIjNS0_10empty_typeEEEZZNS1_27merge_sort_block_merge_implIS3_N6thrust23THRUST_200600_302600_NS6detail15normal_iteratorINS9_10device_ptrIjEEEEPS5_jNS1_19radix_merge_compareILb0ELb1EjNS0_19identity_decomposerEEEEE10hipError_tT0_T1_T2_jT3_P12ihipStream_tbPNSt15iterator_traitsISK_E10value_typeEPNSQ_ISL_E10value_typeEPSM_NS1_7vsmem_tEENKUlT_SK_SL_SM_E_clISE_PjSF_SF_EESJ_SZ_SK_SL_SM_EUlSZ_E_NS1_11comp_targetILNS1_3genE10ELNS1_11target_archE1201ELNS1_3gpuE5ELNS1_3repE0EEENS1_48merge_mergepath_partition_config_static_selectorELNS0_4arch9wavefront6targetE1EEEvSL_
	.p2align	8
	.type	_ZN7rocprim17ROCPRIM_400000_NS6detail17trampoline_kernelINS0_14default_configENS1_38merge_sort_block_merge_config_selectorIjNS0_10empty_typeEEEZZNS1_27merge_sort_block_merge_implIS3_N6thrust23THRUST_200600_302600_NS6detail15normal_iteratorINS9_10device_ptrIjEEEEPS5_jNS1_19radix_merge_compareILb0ELb1EjNS0_19identity_decomposerEEEEE10hipError_tT0_T1_T2_jT3_P12ihipStream_tbPNSt15iterator_traitsISK_E10value_typeEPNSQ_ISL_E10value_typeEPSM_NS1_7vsmem_tEENKUlT_SK_SL_SM_E_clISE_PjSF_SF_EESJ_SZ_SK_SL_SM_EUlSZ_E_NS1_11comp_targetILNS1_3genE10ELNS1_11target_archE1201ELNS1_3gpuE5ELNS1_3repE0EEENS1_48merge_mergepath_partition_config_static_selectorELNS0_4arch9wavefront6targetE1EEEvSL_,@function
_ZN7rocprim17ROCPRIM_400000_NS6detail17trampoline_kernelINS0_14default_configENS1_38merge_sort_block_merge_config_selectorIjNS0_10empty_typeEEEZZNS1_27merge_sort_block_merge_implIS3_N6thrust23THRUST_200600_302600_NS6detail15normal_iteratorINS9_10device_ptrIjEEEEPS5_jNS1_19radix_merge_compareILb0ELb1EjNS0_19identity_decomposerEEEEE10hipError_tT0_T1_T2_jT3_P12ihipStream_tbPNSt15iterator_traitsISK_E10value_typeEPNSQ_ISL_E10value_typeEPSM_NS1_7vsmem_tEENKUlT_SK_SL_SM_E_clISE_PjSF_SF_EESJ_SZ_SK_SL_SM_EUlSZ_E_NS1_11comp_targetILNS1_3genE10ELNS1_11target_archE1201ELNS1_3gpuE5ELNS1_3repE0EEENS1_48merge_mergepath_partition_config_static_selectorELNS0_4arch9wavefront6targetE1EEEvSL_: ; @_ZN7rocprim17ROCPRIM_400000_NS6detail17trampoline_kernelINS0_14default_configENS1_38merge_sort_block_merge_config_selectorIjNS0_10empty_typeEEEZZNS1_27merge_sort_block_merge_implIS3_N6thrust23THRUST_200600_302600_NS6detail15normal_iteratorINS9_10device_ptrIjEEEEPS5_jNS1_19radix_merge_compareILb0ELb1EjNS0_19identity_decomposerEEEEE10hipError_tT0_T1_T2_jT3_P12ihipStream_tbPNSt15iterator_traitsISK_E10value_typeEPNSQ_ISL_E10value_typeEPSM_NS1_7vsmem_tEENKUlT_SK_SL_SM_E_clISE_PjSF_SF_EESJ_SZ_SK_SL_SM_EUlSZ_E_NS1_11comp_targetILNS1_3genE10ELNS1_11target_archE1201ELNS1_3gpuE5ELNS1_3repE0EEENS1_48merge_mergepath_partition_config_static_selectorELNS0_4arch9wavefront6targetE1EEEvSL_
; %bb.0:
	.section	.rodata,"a",@progbits
	.p2align	6, 0x0
	.amdhsa_kernel _ZN7rocprim17ROCPRIM_400000_NS6detail17trampoline_kernelINS0_14default_configENS1_38merge_sort_block_merge_config_selectorIjNS0_10empty_typeEEEZZNS1_27merge_sort_block_merge_implIS3_N6thrust23THRUST_200600_302600_NS6detail15normal_iteratorINS9_10device_ptrIjEEEEPS5_jNS1_19radix_merge_compareILb0ELb1EjNS0_19identity_decomposerEEEEE10hipError_tT0_T1_T2_jT3_P12ihipStream_tbPNSt15iterator_traitsISK_E10value_typeEPNSQ_ISL_E10value_typeEPSM_NS1_7vsmem_tEENKUlT_SK_SL_SM_E_clISE_PjSF_SF_EESJ_SZ_SK_SL_SM_EUlSZ_E_NS1_11comp_targetILNS1_3genE10ELNS1_11target_archE1201ELNS1_3gpuE5ELNS1_3repE0EEENS1_48merge_mergepath_partition_config_static_selectorELNS0_4arch9wavefront6targetE1EEEvSL_
		.amdhsa_group_segment_fixed_size 0
		.amdhsa_private_segment_fixed_size 0
		.amdhsa_kernarg_size 40
		.amdhsa_user_sgpr_count 2
		.amdhsa_user_sgpr_dispatch_ptr 0
		.amdhsa_user_sgpr_queue_ptr 0
		.amdhsa_user_sgpr_kernarg_segment_ptr 1
		.amdhsa_user_sgpr_dispatch_id 0
		.amdhsa_user_sgpr_kernarg_preload_length 0
		.amdhsa_user_sgpr_kernarg_preload_offset 0
		.amdhsa_user_sgpr_private_segment_size 0
		.amdhsa_uses_dynamic_stack 0
		.amdhsa_enable_private_segment 0
		.amdhsa_system_sgpr_workgroup_id_x 1
		.amdhsa_system_sgpr_workgroup_id_y 0
		.amdhsa_system_sgpr_workgroup_id_z 0
		.amdhsa_system_sgpr_workgroup_info 0
		.amdhsa_system_vgpr_workitem_id 0
		.amdhsa_next_free_vgpr 1
		.amdhsa_next_free_sgpr 0
		.amdhsa_accum_offset 4
		.amdhsa_reserve_vcc 0
		.amdhsa_float_round_mode_32 0
		.amdhsa_float_round_mode_16_64 0
		.amdhsa_float_denorm_mode_32 3
		.amdhsa_float_denorm_mode_16_64 3
		.amdhsa_dx10_clamp 1
		.amdhsa_ieee_mode 1
		.amdhsa_fp16_overflow 0
		.amdhsa_tg_split 0
		.amdhsa_exception_fp_ieee_invalid_op 0
		.amdhsa_exception_fp_denorm_src 0
		.amdhsa_exception_fp_ieee_div_zero 0
		.amdhsa_exception_fp_ieee_overflow 0
		.amdhsa_exception_fp_ieee_underflow 0
		.amdhsa_exception_fp_ieee_inexact 0
		.amdhsa_exception_int_div_zero 0
	.end_amdhsa_kernel
	.section	.text._ZN7rocprim17ROCPRIM_400000_NS6detail17trampoline_kernelINS0_14default_configENS1_38merge_sort_block_merge_config_selectorIjNS0_10empty_typeEEEZZNS1_27merge_sort_block_merge_implIS3_N6thrust23THRUST_200600_302600_NS6detail15normal_iteratorINS9_10device_ptrIjEEEEPS5_jNS1_19radix_merge_compareILb0ELb1EjNS0_19identity_decomposerEEEEE10hipError_tT0_T1_T2_jT3_P12ihipStream_tbPNSt15iterator_traitsISK_E10value_typeEPNSQ_ISL_E10value_typeEPSM_NS1_7vsmem_tEENKUlT_SK_SL_SM_E_clISE_PjSF_SF_EESJ_SZ_SK_SL_SM_EUlSZ_E_NS1_11comp_targetILNS1_3genE10ELNS1_11target_archE1201ELNS1_3gpuE5ELNS1_3repE0EEENS1_48merge_mergepath_partition_config_static_selectorELNS0_4arch9wavefront6targetE1EEEvSL_,"axG",@progbits,_ZN7rocprim17ROCPRIM_400000_NS6detail17trampoline_kernelINS0_14default_configENS1_38merge_sort_block_merge_config_selectorIjNS0_10empty_typeEEEZZNS1_27merge_sort_block_merge_implIS3_N6thrust23THRUST_200600_302600_NS6detail15normal_iteratorINS9_10device_ptrIjEEEEPS5_jNS1_19radix_merge_compareILb0ELb1EjNS0_19identity_decomposerEEEEE10hipError_tT0_T1_T2_jT3_P12ihipStream_tbPNSt15iterator_traitsISK_E10value_typeEPNSQ_ISL_E10value_typeEPSM_NS1_7vsmem_tEENKUlT_SK_SL_SM_E_clISE_PjSF_SF_EESJ_SZ_SK_SL_SM_EUlSZ_E_NS1_11comp_targetILNS1_3genE10ELNS1_11target_archE1201ELNS1_3gpuE5ELNS1_3repE0EEENS1_48merge_mergepath_partition_config_static_selectorELNS0_4arch9wavefront6targetE1EEEvSL_,comdat
.Lfunc_end1051:
	.size	_ZN7rocprim17ROCPRIM_400000_NS6detail17trampoline_kernelINS0_14default_configENS1_38merge_sort_block_merge_config_selectorIjNS0_10empty_typeEEEZZNS1_27merge_sort_block_merge_implIS3_N6thrust23THRUST_200600_302600_NS6detail15normal_iteratorINS9_10device_ptrIjEEEEPS5_jNS1_19radix_merge_compareILb0ELb1EjNS0_19identity_decomposerEEEEE10hipError_tT0_T1_T2_jT3_P12ihipStream_tbPNSt15iterator_traitsISK_E10value_typeEPNSQ_ISL_E10value_typeEPSM_NS1_7vsmem_tEENKUlT_SK_SL_SM_E_clISE_PjSF_SF_EESJ_SZ_SK_SL_SM_EUlSZ_E_NS1_11comp_targetILNS1_3genE10ELNS1_11target_archE1201ELNS1_3gpuE5ELNS1_3repE0EEENS1_48merge_mergepath_partition_config_static_selectorELNS0_4arch9wavefront6targetE1EEEvSL_, .Lfunc_end1051-_ZN7rocprim17ROCPRIM_400000_NS6detail17trampoline_kernelINS0_14default_configENS1_38merge_sort_block_merge_config_selectorIjNS0_10empty_typeEEEZZNS1_27merge_sort_block_merge_implIS3_N6thrust23THRUST_200600_302600_NS6detail15normal_iteratorINS9_10device_ptrIjEEEEPS5_jNS1_19radix_merge_compareILb0ELb1EjNS0_19identity_decomposerEEEEE10hipError_tT0_T1_T2_jT3_P12ihipStream_tbPNSt15iterator_traitsISK_E10value_typeEPNSQ_ISL_E10value_typeEPSM_NS1_7vsmem_tEENKUlT_SK_SL_SM_E_clISE_PjSF_SF_EESJ_SZ_SK_SL_SM_EUlSZ_E_NS1_11comp_targetILNS1_3genE10ELNS1_11target_archE1201ELNS1_3gpuE5ELNS1_3repE0EEENS1_48merge_mergepath_partition_config_static_selectorELNS0_4arch9wavefront6targetE1EEEvSL_
                                        ; -- End function
	.section	.AMDGPU.csdata,"",@progbits
; Kernel info:
; codeLenInByte = 0
; NumSgprs: 6
; NumVgprs: 0
; NumAgprs: 0
; TotalNumVgprs: 0
; ScratchSize: 0
; MemoryBound: 0
; FloatMode: 240
; IeeeMode: 1
; LDSByteSize: 0 bytes/workgroup (compile time only)
; SGPRBlocks: 0
; VGPRBlocks: 0
; NumSGPRsForWavesPerEU: 6
; NumVGPRsForWavesPerEU: 1
; AccumOffset: 4
; Occupancy: 8
; WaveLimiterHint : 0
; COMPUTE_PGM_RSRC2:SCRATCH_EN: 0
; COMPUTE_PGM_RSRC2:USER_SGPR: 2
; COMPUTE_PGM_RSRC2:TRAP_HANDLER: 0
; COMPUTE_PGM_RSRC2:TGID_X_EN: 1
; COMPUTE_PGM_RSRC2:TGID_Y_EN: 0
; COMPUTE_PGM_RSRC2:TGID_Z_EN: 0
; COMPUTE_PGM_RSRC2:TIDIG_COMP_CNT: 0
; COMPUTE_PGM_RSRC3_GFX90A:ACCUM_OFFSET: 0
; COMPUTE_PGM_RSRC3_GFX90A:TG_SPLIT: 0
	.section	.text._ZN7rocprim17ROCPRIM_400000_NS6detail17trampoline_kernelINS0_14default_configENS1_38merge_sort_block_merge_config_selectorIjNS0_10empty_typeEEEZZNS1_27merge_sort_block_merge_implIS3_N6thrust23THRUST_200600_302600_NS6detail15normal_iteratorINS9_10device_ptrIjEEEEPS5_jNS1_19radix_merge_compareILb0ELb1EjNS0_19identity_decomposerEEEEE10hipError_tT0_T1_T2_jT3_P12ihipStream_tbPNSt15iterator_traitsISK_E10value_typeEPNSQ_ISL_E10value_typeEPSM_NS1_7vsmem_tEENKUlT_SK_SL_SM_E_clISE_PjSF_SF_EESJ_SZ_SK_SL_SM_EUlSZ_E_NS1_11comp_targetILNS1_3genE5ELNS1_11target_archE942ELNS1_3gpuE9ELNS1_3repE0EEENS1_48merge_mergepath_partition_config_static_selectorELNS0_4arch9wavefront6targetE1EEEvSL_,"axG",@progbits,_ZN7rocprim17ROCPRIM_400000_NS6detail17trampoline_kernelINS0_14default_configENS1_38merge_sort_block_merge_config_selectorIjNS0_10empty_typeEEEZZNS1_27merge_sort_block_merge_implIS3_N6thrust23THRUST_200600_302600_NS6detail15normal_iteratorINS9_10device_ptrIjEEEEPS5_jNS1_19radix_merge_compareILb0ELb1EjNS0_19identity_decomposerEEEEE10hipError_tT0_T1_T2_jT3_P12ihipStream_tbPNSt15iterator_traitsISK_E10value_typeEPNSQ_ISL_E10value_typeEPSM_NS1_7vsmem_tEENKUlT_SK_SL_SM_E_clISE_PjSF_SF_EESJ_SZ_SK_SL_SM_EUlSZ_E_NS1_11comp_targetILNS1_3genE5ELNS1_11target_archE942ELNS1_3gpuE9ELNS1_3repE0EEENS1_48merge_mergepath_partition_config_static_selectorELNS0_4arch9wavefront6targetE1EEEvSL_,comdat
	.protected	_ZN7rocprim17ROCPRIM_400000_NS6detail17trampoline_kernelINS0_14default_configENS1_38merge_sort_block_merge_config_selectorIjNS0_10empty_typeEEEZZNS1_27merge_sort_block_merge_implIS3_N6thrust23THRUST_200600_302600_NS6detail15normal_iteratorINS9_10device_ptrIjEEEEPS5_jNS1_19radix_merge_compareILb0ELb1EjNS0_19identity_decomposerEEEEE10hipError_tT0_T1_T2_jT3_P12ihipStream_tbPNSt15iterator_traitsISK_E10value_typeEPNSQ_ISL_E10value_typeEPSM_NS1_7vsmem_tEENKUlT_SK_SL_SM_E_clISE_PjSF_SF_EESJ_SZ_SK_SL_SM_EUlSZ_E_NS1_11comp_targetILNS1_3genE5ELNS1_11target_archE942ELNS1_3gpuE9ELNS1_3repE0EEENS1_48merge_mergepath_partition_config_static_selectorELNS0_4arch9wavefront6targetE1EEEvSL_ ; -- Begin function _ZN7rocprim17ROCPRIM_400000_NS6detail17trampoline_kernelINS0_14default_configENS1_38merge_sort_block_merge_config_selectorIjNS0_10empty_typeEEEZZNS1_27merge_sort_block_merge_implIS3_N6thrust23THRUST_200600_302600_NS6detail15normal_iteratorINS9_10device_ptrIjEEEEPS5_jNS1_19radix_merge_compareILb0ELb1EjNS0_19identity_decomposerEEEEE10hipError_tT0_T1_T2_jT3_P12ihipStream_tbPNSt15iterator_traitsISK_E10value_typeEPNSQ_ISL_E10value_typeEPSM_NS1_7vsmem_tEENKUlT_SK_SL_SM_E_clISE_PjSF_SF_EESJ_SZ_SK_SL_SM_EUlSZ_E_NS1_11comp_targetILNS1_3genE5ELNS1_11target_archE942ELNS1_3gpuE9ELNS1_3repE0EEENS1_48merge_mergepath_partition_config_static_selectorELNS0_4arch9wavefront6targetE1EEEvSL_
	.globl	_ZN7rocprim17ROCPRIM_400000_NS6detail17trampoline_kernelINS0_14default_configENS1_38merge_sort_block_merge_config_selectorIjNS0_10empty_typeEEEZZNS1_27merge_sort_block_merge_implIS3_N6thrust23THRUST_200600_302600_NS6detail15normal_iteratorINS9_10device_ptrIjEEEEPS5_jNS1_19radix_merge_compareILb0ELb1EjNS0_19identity_decomposerEEEEE10hipError_tT0_T1_T2_jT3_P12ihipStream_tbPNSt15iterator_traitsISK_E10value_typeEPNSQ_ISL_E10value_typeEPSM_NS1_7vsmem_tEENKUlT_SK_SL_SM_E_clISE_PjSF_SF_EESJ_SZ_SK_SL_SM_EUlSZ_E_NS1_11comp_targetILNS1_3genE5ELNS1_11target_archE942ELNS1_3gpuE9ELNS1_3repE0EEENS1_48merge_mergepath_partition_config_static_selectorELNS0_4arch9wavefront6targetE1EEEvSL_
	.p2align	8
	.type	_ZN7rocprim17ROCPRIM_400000_NS6detail17trampoline_kernelINS0_14default_configENS1_38merge_sort_block_merge_config_selectorIjNS0_10empty_typeEEEZZNS1_27merge_sort_block_merge_implIS3_N6thrust23THRUST_200600_302600_NS6detail15normal_iteratorINS9_10device_ptrIjEEEEPS5_jNS1_19radix_merge_compareILb0ELb1EjNS0_19identity_decomposerEEEEE10hipError_tT0_T1_T2_jT3_P12ihipStream_tbPNSt15iterator_traitsISK_E10value_typeEPNSQ_ISL_E10value_typeEPSM_NS1_7vsmem_tEENKUlT_SK_SL_SM_E_clISE_PjSF_SF_EESJ_SZ_SK_SL_SM_EUlSZ_E_NS1_11comp_targetILNS1_3genE5ELNS1_11target_archE942ELNS1_3gpuE9ELNS1_3repE0EEENS1_48merge_mergepath_partition_config_static_selectorELNS0_4arch9wavefront6targetE1EEEvSL_,@function
_ZN7rocprim17ROCPRIM_400000_NS6detail17trampoline_kernelINS0_14default_configENS1_38merge_sort_block_merge_config_selectorIjNS0_10empty_typeEEEZZNS1_27merge_sort_block_merge_implIS3_N6thrust23THRUST_200600_302600_NS6detail15normal_iteratorINS9_10device_ptrIjEEEEPS5_jNS1_19radix_merge_compareILb0ELb1EjNS0_19identity_decomposerEEEEE10hipError_tT0_T1_T2_jT3_P12ihipStream_tbPNSt15iterator_traitsISK_E10value_typeEPNSQ_ISL_E10value_typeEPSM_NS1_7vsmem_tEENKUlT_SK_SL_SM_E_clISE_PjSF_SF_EESJ_SZ_SK_SL_SM_EUlSZ_E_NS1_11comp_targetILNS1_3genE5ELNS1_11target_archE942ELNS1_3gpuE9ELNS1_3repE0EEENS1_48merge_mergepath_partition_config_static_selectorELNS0_4arch9wavefront6targetE1EEEvSL_: ; @_ZN7rocprim17ROCPRIM_400000_NS6detail17trampoline_kernelINS0_14default_configENS1_38merge_sort_block_merge_config_selectorIjNS0_10empty_typeEEEZZNS1_27merge_sort_block_merge_implIS3_N6thrust23THRUST_200600_302600_NS6detail15normal_iteratorINS9_10device_ptrIjEEEEPS5_jNS1_19radix_merge_compareILb0ELb1EjNS0_19identity_decomposerEEEEE10hipError_tT0_T1_T2_jT3_P12ihipStream_tbPNSt15iterator_traitsISK_E10value_typeEPNSQ_ISL_E10value_typeEPSM_NS1_7vsmem_tEENKUlT_SK_SL_SM_E_clISE_PjSF_SF_EESJ_SZ_SK_SL_SM_EUlSZ_E_NS1_11comp_targetILNS1_3genE5ELNS1_11target_archE942ELNS1_3gpuE9ELNS1_3repE0EEENS1_48merge_mergepath_partition_config_static_selectorELNS0_4arch9wavefront6targetE1EEEvSL_
; %bb.0:
	s_load_dword s3, s[0:1], 0x0
	v_lshl_or_b32 v0, s2, 7, v0
	s_waitcnt lgkmcnt(0)
	v_cmp_gt_u32_e32 vcc, s3, v0
	s_and_saveexec_b64 s[2:3], vcc
	s_cbranch_execz .LBB1052_6
; %bb.1:
	s_load_dwordx2 s[4:5], s[0:1], 0x4
	s_load_dwordx2 s[2:3], s[0:1], 0x20
	s_waitcnt lgkmcnt(0)
	s_lshr_b32 s6, s4, 9
	s_and_b32 s6, s6, 0x7ffffe
	s_add_i32 s7, s6, -1
	s_sub_i32 s6, 0, s6
	v_and_b32_e32 v1, s6, v0
	v_lshlrev_b32_e32 v1, 10, v1
	v_min_u32_e32 v2, s5, v1
	v_add_u32_e32 v1, s4, v1
	v_min_u32_e32 v4, s5, v1
	v_add_u32_e32 v1, s4, v4
	v_and_b32_e32 v3, s7, v0
	v_min_u32_e32 v1, s5, v1
	v_sub_u32_e32 v5, v1, v2
	v_lshlrev_b32_e32 v3, 10, v3
	v_min_u32_e32 v10, v5, v3
	v_sub_u32_e32 v3, v4, v2
	v_sub_u32_e32 v1, v1, v4
	v_sub_u32_e64 v1, v10, v1 clamp
	v_min_u32_e32 v11, v10, v3
	v_cmp_lt_u32_e32 vcc, v1, v11
	s_and_saveexec_b64 s[4:5], vcc
	s_cbranch_execz .LBB1052_5
; %bb.2:
	s_load_dwordx2 s[8:9], s[0:1], 0x10
	s_load_dword s6, s[0:1], 0x18
	v_mov_b32_e32 v5, 0
	v_mov_b32_e32 v3, v5
	s_mov_b64 s[0:1], 0
	s_waitcnt lgkmcnt(0)
	v_lshl_add_u64 v[6:7], v[2:3], 2, s[8:9]
	v_lshl_add_u64 v[8:9], v[4:5], 2, s[8:9]
.LBB1052_3:                             ; =>This Inner Loop Header: Depth=1
	v_add_u32_e32 v3, v11, v1
	v_lshrrev_b32_e32 v4, 1, v3
	v_mov_b32_e32 v13, v5
	v_xad_u32 v12, v4, -1, v10
	v_lshl_add_u64 v[14:15], v[4:5], 2, v[6:7]
	v_lshl_add_u64 v[12:13], v[12:13], 2, v[8:9]
	flat_load_dword v3, v[14:15]
	flat_load_dword v16, v[12:13]
	v_add_u32_e32 v12, 1, v4
	s_waitcnt vmcnt(0) lgkmcnt(0)
	v_and_b32_e32 v3, s6, v3
	v_and_b32_e32 v13, s6, v16
	v_cmp_gt_u32_e32 vcc, v3, v13
	s_nop 1
	v_cndmask_b32_e32 v11, v11, v4, vcc
	v_cndmask_b32_e32 v1, v12, v1, vcc
	v_cmp_ge_u32_e32 vcc, v1, v11
	s_or_b64 s[0:1], vcc, s[0:1]
	s_andn2_b64 exec, exec, s[0:1]
	s_cbranch_execnz .LBB1052_3
; %bb.4:
	s_or_b64 exec, exec, s[0:1]
.LBB1052_5:
	s_or_b64 exec, exec, s[4:5]
	v_add_u32_e32 v2, v1, v2
	v_mov_b32_e32 v1, 0
	v_lshl_add_u64 v[0:1], v[0:1], 2, s[2:3]
	global_store_dword v[0:1], v2, off
.LBB1052_6:
	s_endpgm
	.section	.rodata,"a",@progbits
	.p2align	6, 0x0
	.amdhsa_kernel _ZN7rocprim17ROCPRIM_400000_NS6detail17trampoline_kernelINS0_14default_configENS1_38merge_sort_block_merge_config_selectorIjNS0_10empty_typeEEEZZNS1_27merge_sort_block_merge_implIS3_N6thrust23THRUST_200600_302600_NS6detail15normal_iteratorINS9_10device_ptrIjEEEEPS5_jNS1_19radix_merge_compareILb0ELb1EjNS0_19identity_decomposerEEEEE10hipError_tT0_T1_T2_jT3_P12ihipStream_tbPNSt15iterator_traitsISK_E10value_typeEPNSQ_ISL_E10value_typeEPSM_NS1_7vsmem_tEENKUlT_SK_SL_SM_E_clISE_PjSF_SF_EESJ_SZ_SK_SL_SM_EUlSZ_E_NS1_11comp_targetILNS1_3genE5ELNS1_11target_archE942ELNS1_3gpuE9ELNS1_3repE0EEENS1_48merge_mergepath_partition_config_static_selectorELNS0_4arch9wavefront6targetE1EEEvSL_
		.amdhsa_group_segment_fixed_size 0
		.amdhsa_private_segment_fixed_size 0
		.amdhsa_kernarg_size 40
		.amdhsa_user_sgpr_count 2
		.amdhsa_user_sgpr_dispatch_ptr 0
		.amdhsa_user_sgpr_queue_ptr 0
		.amdhsa_user_sgpr_kernarg_segment_ptr 1
		.amdhsa_user_sgpr_dispatch_id 0
		.amdhsa_user_sgpr_kernarg_preload_length 0
		.amdhsa_user_sgpr_kernarg_preload_offset 0
		.amdhsa_user_sgpr_private_segment_size 0
		.amdhsa_uses_dynamic_stack 0
		.amdhsa_enable_private_segment 0
		.amdhsa_system_sgpr_workgroup_id_x 1
		.amdhsa_system_sgpr_workgroup_id_y 0
		.amdhsa_system_sgpr_workgroup_id_z 0
		.amdhsa_system_sgpr_workgroup_info 0
		.amdhsa_system_vgpr_workitem_id 0
		.amdhsa_next_free_vgpr 17
		.amdhsa_next_free_sgpr 10
		.amdhsa_accum_offset 20
		.amdhsa_reserve_vcc 1
		.amdhsa_float_round_mode_32 0
		.amdhsa_float_round_mode_16_64 0
		.amdhsa_float_denorm_mode_32 3
		.amdhsa_float_denorm_mode_16_64 3
		.amdhsa_dx10_clamp 1
		.amdhsa_ieee_mode 1
		.amdhsa_fp16_overflow 0
		.amdhsa_tg_split 0
		.amdhsa_exception_fp_ieee_invalid_op 0
		.amdhsa_exception_fp_denorm_src 0
		.amdhsa_exception_fp_ieee_div_zero 0
		.amdhsa_exception_fp_ieee_overflow 0
		.amdhsa_exception_fp_ieee_underflow 0
		.amdhsa_exception_fp_ieee_inexact 0
		.amdhsa_exception_int_div_zero 0
	.end_amdhsa_kernel
	.section	.text._ZN7rocprim17ROCPRIM_400000_NS6detail17trampoline_kernelINS0_14default_configENS1_38merge_sort_block_merge_config_selectorIjNS0_10empty_typeEEEZZNS1_27merge_sort_block_merge_implIS3_N6thrust23THRUST_200600_302600_NS6detail15normal_iteratorINS9_10device_ptrIjEEEEPS5_jNS1_19radix_merge_compareILb0ELb1EjNS0_19identity_decomposerEEEEE10hipError_tT0_T1_T2_jT3_P12ihipStream_tbPNSt15iterator_traitsISK_E10value_typeEPNSQ_ISL_E10value_typeEPSM_NS1_7vsmem_tEENKUlT_SK_SL_SM_E_clISE_PjSF_SF_EESJ_SZ_SK_SL_SM_EUlSZ_E_NS1_11comp_targetILNS1_3genE5ELNS1_11target_archE942ELNS1_3gpuE9ELNS1_3repE0EEENS1_48merge_mergepath_partition_config_static_selectorELNS0_4arch9wavefront6targetE1EEEvSL_,"axG",@progbits,_ZN7rocprim17ROCPRIM_400000_NS6detail17trampoline_kernelINS0_14default_configENS1_38merge_sort_block_merge_config_selectorIjNS0_10empty_typeEEEZZNS1_27merge_sort_block_merge_implIS3_N6thrust23THRUST_200600_302600_NS6detail15normal_iteratorINS9_10device_ptrIjEEEEPS5_jNS1_19radix_merge_compareILb0ELb1EjNS0_19identity_decomposerEEEEE10hipError_tT0_T1_T2_jT3_P12ihipStream_tbPNSt15iterator_traitsISK_E10value_typeEPNSQ_ISL_E10value_typeEPSM_NS1_7vsmem_tEENKUlT_SK_SL_SM_E_clISE_PjSF_SF_EESJ_SZ_SK_SL_SM_EUlSZ_E_NS1_11comp_targetILNS1_3genE5ELNS1_11target_archE942ELNS1_3gpuE9ELNS1_3repE0EEENS1_48merge_mergepath_partition_config_static_selectorELNS0_4arch9wavefront6targetE1EEEvSL_,comdat
.Lfunc_end1052:
	.size	_ZN7rocprim17ROCPRIM_400000_NS6detail17trampoline_kernelINS0_14default_configENS1_38merge_sort_block_merge_config_selectorIjNS0_10empty_typeEEEZZNS1_27merge_sort_block_merge_implIS3_N6thrust23THRUST_200600_302600_NS6detail15normal_iteratorINS9_10device_ptrIjEEEEPS5_jNS1_19radix_merge_compareILb0ELb1EjNS0_19identity_decomposerEEEEE10hipError_tT0_T1_T2_jT3_P12ihipStream_tbPNSt15iterator_traitsISK_E10value_typeEPNSQ_ISL_E10value_typeEPSM_NS1_7vsmem_tEENKUlT_SK_SL_SM_E_clISE_PjSF_SF_EESJ_SZ_SK_SL_SM_EUlSZ_E_NS1_11comp_targetILNS1_3genE5ELNS1_11target_archE942ELNS1_3gpuE9ELNS1_3repE0EEENS1_48merge_mergepath_partition_config_static_selectorELNS0_4arch9wavefront6targetE1EEEvSL_, .Lfunc_end1052-_ZN7rocprim17ROCPRIM_400000_NS6detail17trampoline_kernelINS0_14default_configENS1_38merge_sort_block_merge_config_selectorIjNS0_10empty_typeEEEZZNS1_27merge_sort_block_merge_implIS3_N6thrust23THRUST_200600_302600_NS6detail15normal_iteratorINS9_10device_ptrIjEEEEPS5_jNS1_19radix_merge_compareILb0ELb1EjNS0_19identity_decomposerEEEEE10hipError_tT0_T1_T2_jT3_P12ihipStream_tbPNSt15iterator_traitsISK_E10value_typeEPNSQ_ISL_E10value_typeEPSM_NS1_7vsmem_tEENKUlT_SK_SL_SM_E_clISE_PjSF_SF_EESJ_SZ_SK_SL_SM_EUlSZ_E_NS1_11comp_targetILNS1_3genE5ELNS1_11target_archE942ELNS1_3gpuE9ELNS1_3repE0EEENS1_48merge_mergepath_partition_config_static_selectorELNS0_4arch9wavefront6targetE1EEEvSL_
                                        ; -- End function
	.section	.AMDGPU.csdata,"",@progbits
; Kernel info:
; codeLenInByte = 332
; NumSgprs: 16
; NumVgprs: 17
; NumAgprs: 0
; TotalNumVgprs: 17
; ScratchSize: 0
; MemoryBound: 0
; FloatMode: 240
; IeeeMode: 1
; LDSByteSize: 0 bytes/workgroup (compile time only)
; SGPRBlocks: 1
; VGPRBlocks: 2
; NumSGPRsForWavesPerEU: 16
; NumVGPRsForWavesPerEU: 17
; AccumOffset: 20
; Occupancy: 8
; WaveLimiterHint : 0
; COMPUTE_PGM_RSRC2:SCRATCH_EN: 0
; COMPUTE_PGM_RSRC2:USER_SGPR: 2
; COMPUTE_PGM_RSRC2:TRAP_HANDLER: 0
; COMPUTE_PGM_RSRC2:TGID_X_EN: 1
; COMPUTE_PGM_RSRC2:TGID_Y_EN: 0
; COMPUTE_PGM_RSRC2:TGID_Z_EN: 0
; COMPUTE_PGM_RSRC2:TIDIG_COMP_CNT: 0
; COMPUTE_PGM_RSRC3_GFX90A:ACCUM_OFFSET: 4
; COMPUTE_PGM_RSRC3_GFX90A:TG_SPLIT: 0
	.section	.text._ZN7rocprim17ROCPRIM_400000_NS6detail17trampoline_kernelINS0_14default_configENS1_38merge_sort_block_merge_config_selectorIjNS0_10empty_typeEEEZZNS1_27merge_sort_block_merge_implIS3_N6thrust23THRUST_200600_302600_NS6detail15normal_iteratorINS9_10device_ptrIjEEEEPS5_jNS1_19radix_merge_compareILb0ELb1EjNS0_19identity_decomposerEEEEE10hipError_tT0_T1_T2_jT3_P12ihipStream_tbPNSt15iterator_traitsISK_E10value_typeEPNSQ_ISL_E10value_typeEPSM_NS1_7vsmem_tEENKUlT_SK_SL_SM_E_clISE_PjSF_SF_EESJ_SZ_SK_SL_SM_EUlSZ_E_NS1_11comp_targetILNS1_3genE4ELNS1_11target_archE910ELNS1_3gpuE8ELNS1_3repE0EEENS1_48merge_mergepath_partition_config_static_selectorELNS0_4arch9wavefront6targetE1EEEvSL_,"axG",@progbits,_ZN7rocprim17ROCPRIM_400000_NS6detail17trampoline_kernelINS0_14default_configENS1_38merge_sort_block_merge_config_selectorIjNS0_10empty_typeEEEZZNS1_27merge_sort_block_merge_implIS3_N6thrust23THRUST_200600_302600_NS6detail15normal_iteratorINS9_10device_ptrIjEEEEPS5_jNS1_19radix_merge_compareILb0ELb1EjNS0_19identity_decomposerEEEEE10hipError_tT0_T1_T2_jT3_P12ihipStream_tbPNSt15iterator_traitsISK_E10value_typeEPNSQ_ISL_E10value_typeEPSM_NS1_7vsmem_tEENKUlT_SK_SL_SM_E_clISE_PjSF_SF_EESJ_SZ_SK_SL_SM_EUlSZ_E_NS1_11comp_targetILNS1_3genE4ELNS1_11target_archE910ELNS1_3gpuE8ELNS1_3repE0EEENS1_48merge_mergepath_partition_config_static_selectorELNS0_4arch9wavefront6targetE1EEEvSL_,comdat
	.protected	_ZN7rocprim17ROCPRIM_400000_NS6detail17trampoline_kernelINS0_14default_configENS1_38merge_sort_block_merge_config_selectorIjNS0_10empty_typeEEEZZNS1_27merge_sort_block_merge_implIS3_N6thrust23THRUST_200600_302600_NS6detail15normal_iteratorINS9_10device_ptrIjEEEEPS5_jNS1_19radix_merge_compareILb0ELb1EjNS0_19identity_decomposerEEEEE10hipError_tT0_T1_T2_jT3_P12ihipStream_tbPNSt15iterator_traitsISK_E10value_typeEPNSQ_ISL_E10value_typeEPSM_NS1_7vsmem_tEENKUlT_SK_SL_SM_E_clISE_PjSF_SF_EESJ_SZ_SK_SL_SM_EUlSZ_E_NS1_11comp_targetILNS1_3genE4ELNS1_11target_archE910ELNS1_3gpuE8ELNS1_3repE0EEENS1_48merge_mergepath_partition_config_static_selectorELNS0_4arch9wavefront6targetE1EEEvSL_ ; -- Begin function _ZN7rocprim17ROCPRIM_400000_NS6detail17trampoline_kernelINS0_14default_configENS1_38merge_sort_block_merge_config_selectorIjNS0_10empty_typeEEEZZNS1_27merge_sort_block_merge_implIS3_N6thrust23THRUST_200600_302600_NS6detail15normal_iteratorINS9_10device_ptrIjEEEEPS5_jNS1_19radix_merge_compareILb0ELb1EjNS0_19identity_decomposerEEEEE10hipError_tT0_T1_T2_jT3_P12ihipStream_tbPNSt15iterator_traitsISK_E10value_typeEPNSQ_ISL_E10value_typeEPSM_NS1_7vsmem_tEENKUlT_SK_SL_SM_E_clISE_PjSF_SF_EESJ_SZ_SK_SL_SM_EUlSZ_E_NS1_11comp_targetILNS1_3genE4ELNS1_11target_archE910ELNS1_3gpuE8ELNS1_3repE0EEENS1_48merge_mergepath_partition_config_static_selectorELNS0_4arch9wavefront6targetE1EEEvSL_
	.globl	_ZN7rocprim17ROCPRIM_400000_NS6detail17trampoline_kernelINS0_14default_configENS1_38merge_sort_block_merge_config_selectorIjNS0_10empty_typeEEEZZNS1_27merge_sort_block_merge_implIS3_N6thrust23THRUST_200600_302600_NS6detail15normal_iteratorINS9_10device_ptrIjEEEEPS5_jNS1_19radix_merge_compareILb0ELb1EjNS0_19identity_decomposerEEEEE10hipError_tT0_T1_T2_jT3_P12ihipStream_tbPNSt15iterator_traitsISK_E10value_typeEPNSQ_ISL_E10value_typeEPSM_NS1_7vsmem_tEENKUlT_SK_SL_SM_E_clISE_PjSF_SF_EESJ_SZ_SK_SL_SM_EUlSZ_E_NS1_11comp_targetILNS1_3genE4ELNS1_11target_archE910ELNS1_3gpuE8ELNS1_3repE0EEENS1_48merge_mergepath_partition_config_static_selectorELNS0_4arch9wavefront6targetE1EEEvSL_
	.p2align	8
	.type	_ZN7rocprim17ROCPRIM_400000_NS6detail17trampoline_kernelINS0_14default_configENS1_38merge_sort_block_merge_config_selectorIjNS0_10empty_typeEEEZZNS1_27merge_sort_block_merge_implIS3_N6thrust23THRUST_200600_302600_NS6detail15normal_iteratorINS9_10device_ptrIjEEEEPS5_jNS1_19radix_merge_compareILb0ELb1EjNS0_19identity_decomposerEEEEE10hipError_tT0_T1_T2_jT3_P12ihipStream_tbPNSt15iterator_traitsISK_E10value_typeEPNSQ_ISL_E10value_typeEPSM_NS1_7vsmem_tEENKUlT_SK_SL_SM_E_clISE_PjSF_SF_EESJ_SZ_SK_SL_SM_EUlSZ_E_NS1_11comp_targetILNS1_3genE4ELNS1_11target_archE910ELNS1_3gpuE8ELNS1_3repE0EEENS1_48merge_mergepath_partition_config_static_selectorELNS0_4arch9wavefront6targetE1EEEvSL_,@function
_ZN7rocprim17ROCPRIM_400000_NS6detail17trampoline_kernelINS0_14default_configENS1_38merge_sort_block_merge_config_selectorIjNS0_10empty_typeEEEZZNS1_27merge_sort_block_merge_implIS3_N6thrust23THRUST_200600_302600_NS6detail15normal_iteratorINS9_10device_ptrIjEEEEPS5_jNS1_19radix_merge_compareILb0ELb1EjNS0_19identity_decomposerEEEEE10hipError_tT0_T1_T2_jT3_P12ihipStream_tbPNSt15iterator_traitsISK_E10value_typeEPNSQ_ISL_E10value_typeEPSM_NS1_7vsmem_tEENKUlT_SK_SL_SM_E_clISE_PjSF_SF_EESJ_SZ_SK_SL_SM_EUlSZ_E_NS1_11comp_targetILNS1_3genE4ELNS1_11target_archE910ELNS1_3gpuE8ELNS1_3repE0EEENS1_48merge_mergepath_partition_config_static_selectorELNS0_4arch9wavefront6targetE1EEEvSL_: ; @_ZN7rocprim17ROCPRIM_400000_NS6detail17trampoline_kernelINS0_14default_configENS1_38merge_sort_block_merge_config_selectorIjNS0_10empty_typeEEEZZNS1_27merge_sort_block_merge_implIS3_N6thrust23THRUST_200600_302600_NS6detail15normal_iteratorINS9_10device_ptrIjEEEEPS5_jNS1_19radix_merge_compareILb0ELb1EjNS0_19identity_decomposerEEEEE10hipError_tT0_T1_T2_jT3_P12ihipStream_tbPNSt15iterator_traitsISK_E10value_typeEPNSQ_ISL_E10value_typeEPSM_NS1_7vsmem_tEENKUlT_SK_SL_SM_E_clISE_PjSF_SF_EESJ_SZ_SK_SL_SM_EUlSZ_E_NS1_11comp_targetILNS1_3genE4ELNS1_11target_archE910ELNS1_3gpuE8ELNS1_3repE0EEENS1_48merge_mergepath_partition_config_static_selectorELNS0_4arch9wavefront6targetE1EEEvSL_
; %bb.0:
	.section	.rodata,"a",@progbits
	.p2align	6, 0x0
	.amdhsa_kernel _ZN7rocprim17ROCPRIM_400000_NS6detail17trampoline_kernelINS0_14default_configENS1_38merge_sort_block_merge_config_selectorIjNS0_10empty_typeEEEZZNS1_27merge_sort_block_merge_implIS3_N6thrust23THRUST_200600_302600_NS6detail15normal_iteratorINS9_10device_ptrIjEEEEPS5_jNS1_19radix_merge_compareILb0ELb1EjNS0_19identity_decomposerEEEEE10hipError_tT0_T1_T2_jT3_P12ihipStream_tbPNSt15iterator_traitsISK_E10value_typeEPNSQ_ISL_E10value_typeEPSM_NS1_7vsmem_tEENKUlT_SK_SL_SM_E_clISE_PjSF_SF_EESJ_SZ_SK_SL_SM_EUlSZ_E_NS1_11comp_targetILNS1_3genE4ELNS1_11target_archE910ELNS1_3gpuE8ELNS1_3repE0EEENS1_48merge_mergepath_partition_config_static_selectorELNS0_4arch9wavefront6targetE1EEEvSL_
		.amdhsa_group_segment_fixed_size 0
		.amdhsa_private_segment_fixed_size 0
		.amdhsa_kernarg_size 40
		.amdhsa_user_sgpr_count 2
		.amdhsa_user_sgpr_dispatch_ptr 0
		.amdhsa_user_sgpr_queue_ptr 0
		.amdhsa_user_sgpr_kernarg_segment_ptr 1
		.amdhsa_user_sgpr_dispatch_id 0
		.amdhsa_user_sgpr_kernarg_preload_length 0
		.amdhsa_user_sgpr_kernarg_preload_offset 0
		.amdhsa_user_sgpr_private_segment_size 0
		.amdhsa_uses_dynamic_stack 0
		.amdhsa_enable_private_segment 0
		.amdhsa_system_sgpr_workgroup_id_x 1
		.amdhsa_system_sgpr_workgroup_id_y 0
		.amdhsa_system_sgpr_workgroup_id_z 0
		.amdhsa_system_sgpr_workgroup_info 0
		.amdhsa_system_vgpr_workitem_id 0
		.amdhsa_next_free_vgpr 1
		.amdhsa_next_free_sgpr 0
		.amdhsa_accum_offset 4
		.amdhsa_reserve_vcc 0
		.amdhsa_float_round_mode_32 0
		.amdhsa_float_round_mode_16_64 0
		.amdhsa_float_denorm_mode_32 3
		.amdhsa_float_denorm_mode_16_64 3
		.amdhsa_dx10_clamp 1
		.amdhsa_ieee_mode 1
		.amdhsa_fp16_overflow 0
		.amdhsa_tg_split 0
		.amdhsa_exception_fp_ieee_invalid_op 0
		.amdhsa_exception_fp_denorm_src 0
		.amdhsa_exception_fp_ieee_div_zero 0
		.amdhsa_exception_fp_ieee_overflow 0
		.amdhsa_exception_fp_ieee_underflow 0
		.amdhsa_exception_fp_ieee_inexact 0
		.amdhsa_exception_int_div_zero 0
	.end_amdhsa_kernel
	.section	.text._ZN7rocprim17ROCPRIM_400000_NS6detail17trampoline_kernelINS0_14default_configENS1_38merge_sort_block_merge_config_selectorIjNS0_10empty_typeEEEZZNS1_27merge_sort_block_merge_implIS3_N6thrust23THRUST_200600_302600_NS6detail15normal_iteratorINS9_10device_ptrIjEEEEPS5_jNS1_19radix_merge_compareILb0ELb1EjNS0_19identity_decomposerEEEEE10hipError_tT0_T1_T2_jT3_P12ihipStream_tbPNSt15iterator_traitsISK_E10value_typeEPNSQ_ISL_E10value_typeEPSM_NS1_7vsmem_tEENKUlT_SK_SL_SM_E_clISE_PjSF_SF_EESJ_SZ_SK_SL_SM_EUlSZ_E_NS1_11comp_targetILNS1_3genE4ELNS1_11target_archE910ELNS1_3gpuE8ELNS1_3repE0EEENS1_48merge_mergepath_partition_config_static_selectorELNS0_4arch9wavefront6targetE1EEEvSL_,"axG",@progbits,_ZN7rocprim17ROCPRIM_400000_NS6detail17trampoline_kernelINS0_14default_configENS1_38merge_sort_block_merge_config_selectorIjNS0_10empty_typeEEEZZNS1_27merge_sort_block_merge_implIS3_N6thrust23THRUST_200600_302600_NS6detail15normal_iteratorINS9_10device_ptrIjEEEEPS5_jNS1_19radix_merge_compareILb0ELb1EjNS0_19identity_decomposerEEEEE10hipError_tT0_T1_T2_jT3_P12ihipStream_tbPNSt15iterator_traitsISK_E10value_typeEPNSQ_ISL_E10value_typeEPSM_NS1_7vsmem_tEENKUlT_SK_SL_SM_E_clISE_PjSF_SF_EESJ_SZ_SK_SL_SM_EUlSZ_E_NS1_11comp_targetILNS1_3genE4ELNS1_11target_archE910ELNS1_3gpuE8ELNS1_3repE0EEENS1_48merge_mergepath_partition_config_static_selectorELNS0_4arch9wavefront6targetE1EEEvSL_,comdat
.Lfunc_end1053:
	.size	_ZN7rocprim17ROCPRIM_400000_NS6detail17trampoline_kernelINS0_14default_configENS1_38merge_sort_block_merge_config_selectorIjNS0_10empty_typeEEEZZNS1_27merge_sort_block_merge_implIS3_N6thrust23THRUST_200600_302600_NS6detail15normal_iteratorINS9_10device_ptrIjEEEEPS5_jNS1_19radix_merge_compareILb0ELb1EjNS0_19identity_decomposerEEEEE10hipError_tT0_T1_T2_jT3_P12ihipStream_tbPNSt15iterator_traitsISK_E10value_typeEPNSQ_ISL_E10value_typeEPSM_NS1_7vsmem_tEENKUlT_SK_SL_SM_E_clISE_PjSF_SF_EESJ_SZ_SK_SL_SM_EUlSZ_E_NS1_11comp_targetILNS1_3genE4ELNS1_11target_archE910ELNS1_3gpuE8ELNS1_3repE0EEENS1_48merge_mergepath_partition_config_static_selectorELNS0_4arch9wavefront6targetE1EEEvSL_, .Lfunc_end1053-_ZN7rocprim17ROCPRIM_400000_NS6detail17trampoline_kernelINS0_14default_configENS1_38merge_sort_block_merge_config_selectorIjNS0_10empty_typeEEEZZNS1_27merge_sort_block_merge_implIS3_N6thrust23THRUST_200600_302600_NS6detail15normal_iteratorINS9_10device_ptrIjEEEEPS5_jNS1_19radix_merge_compareILb0ELb1EjNS0_19identity_decomposerEEEEE10hipError_tT0_T1_T2_jT3_P12ihipStream_tbPNSt15iterator_traitsISK_E10value_typeEPNSQ_ISL_E10value_typeEPSM_NS1_7vsmem_tEENKUlT_SK_SL_SM_E_clISE_PjSF_SF_EESJ_SZ_SK_SL_SM_EUlSZ_E_NS1_11comp_targetILNS1_3genE4ELNS1_11target_archE910ELNS1_3gpuE8ELNS1_3repE0EEENS1_48merge_mergepath_partition_config_static_selectorELNS0_4arch9wavefront6targetE1EEEvSL_
                                        ; -- End function
	.section	.AMDGPU.csdata,"",@progbits
; Kernel info:
; codeLenInByte = 0
; NumSgprs: 6
; NumVgprs: 0
; NumAgprs: 0
; TotalNumVgprs: 0
; ScratchSize: 0
; MemoryBound: 0
; FloatMode: 240
; IeeeMode: 1
; LDSByteSize: 0 bytes/workgroup (compile time only)
; SGPRBlocks: 0
; VGPRBlocks: 0
; NumSGPRsForWavesPerEU: 6
; NumVGPRsForWavesPerEU: 1
; AccumOffset: 4
; Occupancy: 8
; WaveLimiterHint : 0
; COMPUTE_PGM_RSRC2:SCRATCH_EN: 0
; COMPUTE_PGM_RSRC2:USER_SGPR: 2
; COMPUTE_PGM_RSRC2:TRAP_HANDLER: 0
; COMPUTE_PGM_RSRC2:TGID_X_EN: 1
; COMPUTE_PGM_RSRC2:TGID_Y_EN: 0
; COMPUTE_PGM_RSRC2:TGID_Z_EN: 0
; COMPUTE_PGM_RSRC2:TIDIG_COMP_CNT: 0
; COMPUTE_PGM_RSRC3_GFX90A:ACCUM_OFFSET: 0
; COMPUTE_PGM_RSRC3_GFX90A:TG_SPLIT: 0
	.section	.text._ZN7rocprim17ROCPRIM_400000_NS6detail17trampoline_kernelINS0_14default_configENS1_38merge_sort_block_merge_config_selectorIjNS0_10empty_typeEEEZZNS1_27merge_sort_block_merge_implIS3_N6thrust23THRUST_200600_302600_NS6detail15normal_iteratorINS9_10device_ptrIjEEEEPS5_jNS1_19radix_merge_compareILb0ELb1EjNS0_19identity_decomposerEEEEE10hipError_tT0_T1_T2_jT3_P12ihipStream_tbPNSt15iterator_traitsISK_E10value_typeEPNSQ_ISL_E10value_typeEPSM_NS1_7vsmem_tEENKUlT_SK_SL_SM_E_clISE_PjSF_SF_EESJ_SZ_SK_SL_SM_EUlSZ_E_NS1_11comp_targetILNS1_3genE3ELNS1_11target_archE908ELNS1_3gpuE7ELNS1_3repE0EEENS1_48merge_mergepath_partition_config_static_selectorELNS0_4arch9wavefront6targetE1EEEvSL_,"axG",@progbits,_ZN7rocprim17ROCPRIM_400000_NS6detail17trampoline_kernelINS0_14default_configENS1_38merge_sort_block_merge_config_selectorIjNS0_10empty_typeEEEZZNS1_27merge_sort_block_merge_implIS3_N6thrust23THRUST_200600_302600_NS6detail15normal_iteratorINS9_10device_ptrIjEEEEPS5_jNS1_19radix_merge_compareILb0ELb1EjNS0_19identity_decomposerEEEEE10hipError_tT0_T1_T2_jT3_P12ihipStream_tbPNSt15iterator_traitsISK_E10value_typeEPNSQ_ISL_E10value_typeEPSM_NS1_7vsmem_tEENKUlT_SK_SL_SM_E_clISE_PjSF_SF_EESJ_SZ_SK_SL_SM_EUlSZ_E_NS1_11comp_targetILNS1_3genE3ELNS1_11target_archE908ELNS1_3gpuE7ELNS1_3repE0EEENS1_48merge_mergepath_partition_config_static_selectorELNS0_4arch9wavefront6targetE1EEEvSL_,comdat
	.protected	_ZN7rocprim17ROCPRIM_400000_NS6detail17trampoline_kernelINS0_14default_configENS1_38merge_sort_block_merge_config_selectorIjNS0_10empty_typeEEEZZNS1_27merge_sort_block_merge_implIS3_N6thrust23THRUST_200600_302600_NS6detail15normal_iteratorINS9_10device_ptrIjEEEEPS5_jNS1_19radix_merge_compareILb0ELb1EjNS0_19identity_decomposerEEEEE10hipError_tT0_T1_T2_jT3_P12ihipStream_tbPNSt15iterator_traitsISK_E10value_typeEPNSQ_ISL_E10value_typeEPSM_NS1_7vsmem_tEENKUlT_SK_SL_SM_E_clISE_PjSF_SF_EESJ_SZ_SK_SL_SM_EUlSZ_E_NS1_11comp_targetILNS1_3genE3ELNS1_11target_archE908ELNS1_3gpuE7ELNS1_3repE0EEENS1_48merge_mergepath_partition_config_static_selectorELNS0_4arch9wavefront6targetE1EEEvSL_ ; -- Begin function _ZN7rocprim17ROCPRIM_400000_NS6detail17trampoline_kernelINS0_14default_configENS1_38merge_sort_block_merge_config_selectorIjNS0_10empty_typeEEEZZNS1_27merge_sort_block_merge_implIS3_N6thrust23THRUST_200600_302600_NS6detail15normal_iteratorINS9_10device_ptrIjEEEEPS5_jNS1_19radix_merge_compareILb0ELb1EjNS0_19identity_decomposerEEEEE10hipError_tT0_T1_T2_jT3_P12ihipStream_tbPNSt15iterator_traitsISK_E10value_typeEPNSQ_ISL_E10value_typeEPSM_NS1_7vsmem_tEENKUlT_SK_SL_SM_E_clISE_PjSF_SF_EESJ_SZ_SK_SL_SM_EUlSZ_E_NS1_11comp_targetILNS1_3genE3ELNS1_11target_archE908ELNS1_3gpuE7ELNS1_3repE0EEENS1_48merge_mergepath_partition_config_static_selectorELNS0_4arch9wavefront6targetE1EEEvSL_
	.globl	_ZN7rocprim17ROCPRIM_400000_NS6detail17trampoline_kernelINS0_14default_configENS1_38merge_sort_block_merge_config_selectorIjNS0_10empty_typeEEEZZNS1_27merge_sort_block_merge_implIS3_N6thrust23THRUST_200600_302600_NS6detail15normal_iteratorINS9_10device_ptrIjEEEEPS5_jNS1_19radix_merge_compareILb0ELb1EjNS0_19identity_decomposerEEEEE10hipError_tT0_T1_T2_jT3_P12ihipStream_tbPNSt15iterator_traitsISK_E10value_typeEPNSQ_ISL_E10value_typeEPSM_NS1_7vsmem_tEENKUlT_SK_SL_SM_E_clISE_PjSF_SF_EESJ_SZ_SK_SL_SM_EUlSZ_E_NS1_11comp_targetILNS1_3genE3ELNS1_11target_archE908ELNS1_3gpuE7ELNS1_3repE0EEENS1_48merge_mergepath_partition_config_static_selectorELNS0_4arch9wavefront6targetE1EEEvSL_
	.p2align	8
	.type	_ZN7rocprim17ROCPRIM_400000_NS6detail17trampoline_kernelINS0_14default_configENS1_38merge_sort_block_merge_config_selectorIjNS0_10empty_typeEEEZZNS1_27merge_sort_block_merge_implIS3_N6thrust23THRUST_200600_302600_NS6detail15normal_iteratorINS9_10device_ptrIjEEEEPS5_jNS1_19radix_merge_compareILb0ELb1EjNS0_19identity_decomposerEEEEE10hipError_tT0_T1_T2_jT3_P12ihipStream_tbPNSt15iterator_traitsISK_E10value_typeEPNSQ_ISL_E10value_typeEPSM_NS1_7vsmem_tEENKUlT_SK_SL_SM_E_clISE_PjSF_SF_EESJ_SZ_SK_SL_SM_EUlSZ_E_NS1_11comp_targetILNS1_3genE3ELNS1_11target_archE908ELNS1_3gpuE7ELNS1_3repE0EEENS1_48merge_mergepath_partition_config_static_selectorELNS0_4arch9wavefront6targetE1EEEvSL_,@function
_ZN7rocprim17ROCPRIM_400000_NS6detail17trampoline_kernelINS0_14default_configENS1_38merge_sort_block_merge_config_selectorIjNS0_10empty_typeEEEZZNS1_27merge_sort_block_merge_implIS3_N6thrust23THRUST_200600_302600_NS6detail15normal_iteratorINS9_10device_ptrIjEEEEPS5_jNS1_19radix_merge_compareILb0ELb1EjNS0_19identity_decomposerEEEEE10hipError_tT0_T1_T2_jT3_P12ihipStream_tbPNSt15iterator_traitsISK_E10value_typeEPNSQ_ISL_E10value_typeEPSM_NS1_7vsmem_tEENKUlT_SK_SL_SM_E_clISE_PjSF_SF_EESJ_SZ_SK_SL_SM_EUlSZ_E_NS1_11comp_targetILNS1_3genE3ELNS1_11target_archE908ELNS1_3gpuE7ELNS1_3repE0EEENS1_48merge_mergepath_partition_config_static_selectorELNS0_4arch9wavefront6targetE1EEEvSL_: ; @_ZN7rocprim17ROCPRIM_400000_NS6detail17trampoline_kernelINS0_14default_configENS1_38merge_sort_block_merge_config_selectorIjNS0_10empty_typeEEEZZNS1_27merge_sort_block_merge_implIS3_N6thrust23THRUST_200600_302600_NS6detail15normal_iteratorINS9_10device_ptrIjEEEEPS5_jNS1_19radix_merge_compareILb0ELb1EjNS0_19identity_decomposerEEEEE10hipError_tT0_T1_T2_jT3_P12ihipStream_tbPNSt15iterator_traitsISK_E10value_typeEPNSQ_ISL_E10value_typeEPSM_NS1_7vsmem_tEENKUlT_SK_SL_SM_E_clISE_PjSF_SF_EESJ_SZ_SK_SL_SM_EUlSZ_E_NS1_11comp_targetILNS1_3genE3ELNS1_11target_archE908ELNS1_3gpuE7ELNS1_3repE0EEENS1_48merge_mergepath_partition_config_static_selectorELNS0_4arch9wavefront6targetE1EEEvSL_
; %bb.0:
	.section	.rodata,"a",@progbits
	.p2align	6, 0x0
	.amdhsa_kernel _ZN7rocprim17ROCPRIM_400000_NS6detail17trampoline_kernelINS0_14default_configENS1_38merge_sort_block_merge_config_selectorIjNS0_10empty_typeEEEZZNS1_27merge_sort_block_merge_implIS3_N6thrust23THRUST_200600_302600_NS6detail15normal_iteratorINS9_10device_ptrIjEEEEPS5_jNS1_19radix_merge_compareILb0ELb1EjNS0_19identity_decomposerEEEEE10hipError_tT0_T1_T2_jT3_P12ihipStream_tbPNSt15iterator_traitsISK_E10value_typeEPNSQ_ISL_E10value_typeEPSM_NS1_7vsmem_tEENKUlT_SK_SL_SM_E_clISE_PjSF_SF_EESJ_SZ_SK_SL_SM_EUlSZ_E_NS1_11comp_targetILNS1_3genE3ELNS1_11target_archE908ELNS1_3gpuE7ELNS1_3repE0EEENS1_48merge_mergepath_partition_config_static_selectorELNS0_4arch9wavefront6targetE1EEEvSL_
		.amdhsa_group_segment_fixed_size 0
		.amdhsa_private_segment_fixed_size 0
		.amdhsa_kernarg_size 40
		.amdhsa_user_sgpr_count 2
		.amdhsa_user_sgpr_dispatch_ptr 0
		.amdhsa_user_sgpr_queue_ptr 0
		.amdhsa_user_sgpr_kernarg_segment_ptr 1
		.amdhsa_user_sgpr_dispatch_id 0
		.amdhsa_user_sgpr_kernarg_preload_length 0
		.amdhsa_user_sgpr_kernarg_preload_offset 0
		.amdhsa_user_sgpr_private_segment_size 0
		.amdhsa_uses_dynamic_stack 0
		.amdhsa_enable_private_segment 0
		.amdhsa_system_sgpr_workgroup_id_x 1
		.amdhsa_system_sgpr_workgroup_id_y 0
		.amdhsa_system_sgpr_workgroup_id_z 0
		.amdhsa_system_sgpr_workgroup_info 0
		.amdhsa_system_vgpr_workitem_id 0
		.amdhsa_next_free_vgpr 1
		.amdhsa_next_free_sgpr 0
		.amdhsa_accum_offset 4
		.amdhsa_reserve_vcc 0
		.amdhsa_float_round_mode_32 0
		.amdhsa_float_round_mode_16_64 0
		.amdhsa_float_denorm_mode_32 3
		.amdhsa_float_denorm_mode_16_64 3
		.amdhsa_dx10_clamp 1
		.amdhsa_ieee_mode 1
		.amdhsa_fp16_overflow 0
		.amdhsa_tg_split 0
		.amdhsa_exception_fp_ieee_invalid_op 0
		.amdhsa_exception_fp_denorm_src 0
		.amdhsa_exception_fp_ieee_div_zero 0
		.amdhsa_exception_fp_ieee_overflow 0
		.amdhsa_exception_fp_ieee_underflow 0
		.amdhsa_exception_fp_ieee_inexact 0
		.amdhsa_exception_int_div_zero 0
	.end_amdhsa_kernel
	.section	.text._ZN7rocprim17ROCPRIM_400000_NS6detail17trampoline_kernelINS0_14default_configENS1_38merge_sort_block_merge_config_selectorIjNS0_10empty_typeEEEZZNS1_27merge_sort_block_merge_implIS3_N6thrust23THRUST_200600_302600_NS6detail15normal_iteratorINS9_10device_ptrIjEEEEPS5_jNS1_19radix_merge_compareILb0ELb1EjNS0_19identity_decomposerEEEEE10hipError_tT0_T1_T2_jT3_P12ihipStream_tbPNSt15iterator_traitsISK_E10value_typeEPNSQ_ISL_E10value_typeEPSM_NS1_7vsmem_tEENKUlT_SK_SL_SM_E_clISE_PjSF_SF_EESJ_SZ_SK_SL_SM_EUlSZ_E_NS1_11comp_targetILNS1_3genE3ELNS1_11target_archE908ELNS1_3gpuE7ELNS1_3repE0EEENS1_48merge_mergepath_partition_config_static_selectorELNS0_4arch9wavefront6targetE1EEEvSL_,"axG",@progbits,_ZN7rocprim17ROCPRIM_400000_NS6detail17trampoline_kernelINS0_14default_configENS1_38merge_sort_block_merge_config_selectorIjNS0_10empty_typeEEEZZNS1_27merge_sort_block_merge_implIS3_N6thrust23THRUST_200600_302600_NS6detail15normal_iteratorINS9_10device_ptrIjEEEEPS5_jNS1_19radix_merge_compareILb0ELb1EjNS0_19identity_decomposerEEEEE10hipError_tT0_T1_T2_jT3_P12ihipStream_tbPNSt15iterator_traitsISK_E10value_typeEPNSQ_ISL_E10value_typeEPSM_NS1_7vsmem_tEENKUlT_SK_SL_SM_E_clISE_PjSF_SF_EESJ_SZ_SK_SL_SM_EUlSZ_E_NS1_11comp_targetILNS1_3genE3ELNS1_11target_archE908ELNS1_3gpuE7ELNS1_3repE0EEENS1_48merge_mergepath_partition_config_static_selectorELNS0_4arch9wavefront6targetE1EEEvSL_,comdat
.Lfunc_end1054:
	.size	_ZN7rocprim17ROCPRIM_400000_NS6detail17trampoline_kernelINS0_14default_configENS1_38merge_sort_block_merge_config_selectorIjNS0_10empty_typeEEEZZNS1_27merge_sort_block_merge_implIS3_N6thrust23THRUST_200600_302600_NS6detail15normal_iteratorINS9_10device_ptrIjEEEEPS5_jNS1_19radix_merge_compareILb0ELb1EjNS0_19identity_decomposerEEEEE10hipError_tT0_T1_T2_jT3_P12ihipStream_tbPNSt15iterator_traitsISK_E10value_typeEPNSQ_ISL_E10value_typeEPSM_NS1_7vsmem_tEENKUlT_SK_SL_SM_E_clISE_PjSF_SF_EESJ_SZ_SK_SL_SM_EUlSZ_E_NS1_11comp_targetILNS1_3genE3ELNS1_11target_archE908ELNS1_3gpuE7ELNS1_3repE0EEENS1_48merge_mergepath_partition_config_static_selectorELNS0_4arch9wavefront6targetE1EEEvSL_, .Lfunc_end1054-_ZN7rocprim17ROCPRIM_400000_NS6detail17trampoline_kernelINS0_14default_configENS1_38merge_sort_block_merge_config_selectorIjNS0_10empty_typeEEEZZNS1_27merge_sort_block_merge_implIS3_N6thrust23THRUST_200600_302600_NS6detail15normal_iteratorINS9_10device_ptrIjEEEEPS5_jNS1_19radix_merge_compareILb0ELb1EjNS0_19identity_decomposerEEEEE10hipError_tT0_T1_T2_jT3_P12ihipStream_tbPNSt15iterator_traitsISK_E10value_typeEPNSQ_ISL_E10value_typeEPSM_NS1_7vsmem_tEENKUlT_SK_SL_SM_E_clISE_PjSF_SF_EESJ_SZ_SK_SL_SM_EUlSZ_E_NS1_11comp_targetILNS1_3genE3ELNS1_11target_archE908ELNS1_3gpuE7ELNS1_3repE0EEENS1_48merge_mergepath_partition_config_static_selectorELNS0_4arch9wavefront6targetE1EEEvSL_
                                        ; -- End function
	.section	.AMDGPU.csdata,"",@progbits
; Kernel info:
; codeLenInByte = 0
; NumSgprs: 6
; NumVgprs: 0
; NumAgprs: 0
; TotalNumVgprs: 0
; ScratchSize: 0
; MemoryBound: 0
; FloatMode: 240
; IeeeMode: 1
; LDSByteSize: 0 bytes/workgroup (compile time only)
; SGPRBlocks: 0
; VGPRBlocks: 0
; NumSGPRsForWavesPerEU: 6
; NumVGPRsForWavesPerEU: 1
; AccumOffset: 4
; Occupancy: 8
; WaveLimiterHint : 0
; COMPUTE_PGM_RSRC2:SCRATCH_EN: 0
; COMPUTE_PGM_RSRC2:USER_SGPR: 2
; COMPUTE_PGM_RSRC2:TRAP_HANDLER: 0
; COMPUTE_PGM_RSRC2:TGID_X_EN: 1
; COMPUTE_PGM_RSRC2:TGID_Y_EN: 0
; COMPUTE_PGM_RSRC2:TGID_Z_EN: 0
; COMPUTE_PGM_RSRC2:TIDIG_COMP_CNT: 0
; COMPUTE_PGM_RSRC3_GFX90A:ACCUM_OFFSET: 0
; COMPUTE_PGM_RSRC3_GFX90A:TG_SPLIT: 0
	.section	.text._ZN7rocprim17ROCPRIM_400000_NS6detail17trampoline_kernelINS0_14default_configENS1_38merge_sort_block_merge_config_selectorIjNS0_10empty_typeEEEZZNS1_27merge_sort_block_merge_implIS3_N6thrust23THRUST_200600_302600_NS6detail15normal_iteratorINS9_10device_ptrIjEEEEPS5_jNS1_19radix_merge_compareILb0ELb1EjNS0_19identity_decomposerEEEEE10hipError_tT0_T1_T2_jT3_P12ihipStream_tbPNSt15iterator_traitsISK_E10value_typeEPNSQ_ISL_E10value_typeEPSM_NS1_7vsmem_tEENKUlT_SK_SL_SM_E_clISE_PjSF_SF_EESJ_SZ_SK_SL_SM_EUlSZ_E_NS1_11comp_targetILNS1_3genE2ELNS1_11target_archE906ELNS1_3gpuE6ELNS1_3repE0EEENS1_48merge_mergepath_partition_config_static_selectorELNS0_4arch9wavefront6targetE1EEEvSL_,"axG",@progbits,_ZN7rocprim17ROCPRIM_400000_NS6detail17trampoline_kernelINS0_14default_configENS1_38merge_sort_block_merge_config_selectorIjNS0_10empty_typeEEEZZNS1_27merge_sort_block_merge_implIS3_N6thrust23THRUST_200600_302600_NS6detail15normal_iteratorINS9_10device_ptrIjEEEEPS5_jNS1_19radix_merge_compareILb0ELb1EjNS0_19identity_decomposerEEEEE10hipError_tT0_T1_T2_jT3_P12ihipStream_tbPNSt15iterator_traitsISK_E10value_typeEPNSQ_ISL_E10value_typeEPSM_NS1_7vsmem_tEENKUlT_SK_SL_SM_E_clISE_PjSF_SF_EESJ_SZ_SK_SL_SM_EUlSZ_E_NS1_11comp_targetILNS1_3genE2ELNS1_11target_archE906ELNS1_3gpuE6ELNS1_3repE0EEENS1_48merge_mergepath_partition_config_static_selectorELNS0_4arch9wavefront6targetE1EEEvSL_,comdat
	.protected	_ZN7rocprim17ROCPRIM_400000_NS6detail17trampoline_kernelINS0_14default_configENS1_38merge_sort_block_merge_config_selectorIjNS0_10empty_typeEEEZZNS1_27merge_sort_block_merge_implIS3_N6thrust23THRUST_200600_302600_NS6detail15normal_iteratorINS9_10device_ptrIjEEEEPS5_jNS1_19radix_merge_compareILb0ELb1EjNS0_19identity_decomposerEEEEE10hipError_tT0_T1_T2_jT3_P12ihipStream_tbPNSt15iterator_traitsISK_E10value_typeEPNSQ_ISL_E10value_typeEPSM_NS1_7vsmem_tEENKUlT_SK_SL_SM_E_clISE_PjSF_SF_EESJ_SZ_SK_SL_SM_EUlSZ_E_NS1_11comp_targetILNS1_3genE2ELNS1_11target_archE906ELNS1_3gpuE6ELNS1_3repE0EEENS1_48merge_mergepath_partition_config_static_selectorELNS0_4arch9wavefront6targetE1EEEvSL_ ; -- Begin function _ZN7rocprim17ROCPRIM_400000_NS6detail17trampoline_kernelINS0_14default_configENS1_38merge_sort_block_merge_config_selectorIjNS0_10empty_typeEEEZZNS1_27merge_sort_block_merge_implIS3_N6thrust23THRUST_200600_302600_NS6detail15normal_iteratorINS9_10device_ptrIjEEEEPS5_jNS1_19radix_merge_compareILb0ELb1EjNS0_19identity_decomposerEEEEE10hipError_tT0_T1_T2_jT3_P12ihipStream_tbPNSt15iterator_traitsISK_E10value_typeEPNSQ_ISL_E10value_typeEPSM_NS1_7vsmem_tEENKUlT_SK_SL_SM_E_clISE_PjSF_SF_EESJ_SZ_SK_SL_SM_EUlSZ_E_NS1_11comp_targetILNS1_3genE2ELNS1_11target_archE906ELNS1_3gpuE6ELNS1_3repE0EEENS1_48merge_mergepath_partition_config_static_selectorELNS0_4arch9wavefront6targetE1EEEvSL_
	.globl	_ZN7rocprim17ROCPRIM_400000_NS6detail17trampoline_kernelINS0_14default_configENS1_38merge_sort_block_merge_config_selectorIjNS0_10empty_typeEEEZZNS1_27merge_sort_block_merge_implIS3_N6thrust23THRUST_200600_302600_NS6detail15normal_iteratorINS9_10device_ptrIjEEEEPS5_jNS1_19radix_merge_compareILb0ELb1EjNS0_19identity_decomposerEEEEE10hipError_tT0_T1_T2_jT3_P12ihipStream_tbPNSt15iterator_traitsISK_E10value_typeEPNSQ_ISL_E10value_typeEPSM_NS1_7vsmem_tEENKUlT_SK_SL_SM_E_clISE_PjSF_SF_EESJ_SZ_SK_SL_SM_EUlSZ_E_NS1_11comp_targetILNS1_3genE2ELNS1_11target_archE906ELNS1_3gpuE6ELNS1_3repE0EEENS1_48merge_mergepath_partition_config_static_selectorELNS0_4arch9wavefront6targetE1EEEvSL_
	.p2align	8
	.type	_ZN7rocprim17ROCPRIM_400000_NS6detail17trampoline_kernelINS0_14default_configENS1_38merge_sort_block_merge_config_selectorIjNS0_10empty_typeEEEZZNS1_27merge_sort_block_merge_implIS3_N6thrust23THRUST_200600_302600_NS6detail15normal_iteratorINS9_10device_ptrIjEEEEPS5_jNS1_19radix_merge_compareILb0ELb1EjNS0_19identity_decomposerEEEEE10hipError_tT0_T1_T2_jT3_P12ihipStream_tbPNSt15iterator_traitsISK_E10value_typeEPNSQ_ISL_E10value_typeEPSM_NS1_7vsmem_tEENKUlT_SK_SL_SM_E_clISE_PjSF_SF_EESJ_SZ_SK_SL_SM_EUlSZ_E_NS1_11comp_targetILNS1_3genE2ELNS1_11target_archE906ELNS1_3gpuE6ELNS1_3repE0EEENS1_48merge_mergepath_partition_config_static_selectorELNS0_4arch9wavefront6targetE1EEEvSL_,@function
_ZN7rocprim17ROCPRIM_400000_NS6detail17trampoline_kernelINS0_14default_configENS1_38merge_sort_block_merge_config_selectorIjNS0_10empty_typeEEEZZNS1_27merge_sort_block_merge_implIS3_N6thrust23THRUST_200600_302600_NS6detail15normal_iteratorINS9_10device_ptrIjEEEEPS5_jNS1_19radix_merge_compareILb0ELb1EjNS0_19identity_decomposerEEEEE10hipError_tT0_T1_T2_jT3_P12ihipStream_tbPNSt15iterator_traitsISK_E10value_typeEPNSQ_ISL_E10value_typeEPSM_NS1_7vsmem_tEENKUlT_SK_SL_SM_E_clISE_PjSF_SF_EESJ_SZ_SK_SL_SM_EUlSZ_E_NS1_11comp_targetILNS1_3genE2ELNS1_11target_archE906ELNS1_3gpuE6ELNS1_3repE0EEENS1_48merge_mergepath_partition_config_static_selectorELNS0_4arch9wavefront6targetE1EEEvSL_: ; @_ZN7rocprim17ROCPRIM_400000_NS6detail17trampoline_kernelINS0_14default_configENS1_38merge_sort_block_merge_config_selectorIjNS0_10empty_typeEEEZZNS1_27merge_sort_block_merge_implIS3_N6thrust23THRUST_200600_302600_NS6detail15normal_iteratorINS9_10device_ptrIjEEEEPS5_jNS1_19radix_merge_compareILb0ELb1EjNS0_19identity_decomposerEEEEE10hipError_tT0_T1_T2_jT3_P12ihipStream_tbPNSt15iterator_traitsISK_E10value_typeEPNSQ_ISL_E10value_typeEPSM_NS1_7vsmem_tEENKUlT_SK_SL_SM_E_clISE_PjSF_SF_EESJ_SZ_SK_SL_SM_EUlSZ_E_NS1_11comp_targetILNS1_3genE2ELNS1_11target_archE906ELNS1_3gpuE6ELNS1_3repE0EEENS1_48merge_mergepath_partition_config_static_selectorELNS0_4arch9wavefront6targetE1EEEvSL_
; %bb.0:
	.section	.rodata,"a",@progbits
	.p2align	6, 0x0
	.amdhsa_kernel _ZN7rocprim17ROCPRIM_400000_NS6detail17trampoline_kernelINS0_14default_configENS1_38merge_sort_block_merge_config_selectorIjNS0_10empty_typeEEEZZNS1_27merge_sort_block_merge_implIS3_N6thrust23THRUST_200600_302600_NS6detail15normal_iteratorINS9_10device_ptrIjEEEEPS5_jNS1_19radix_merge_compareILb0ELb1EjNS0_19identity_decomposerEEEEE10hipError_tT0_T1_T2_jT3_P12ihipStream_tbPNSt15iterator_traitsISK_E10value_typeEPNSQ_ISL_E10value_typeEPSM_NS1_7vsmem_tEENKUlT_SK_SL_SM_E_clISE_PjSF_SF_EESJ_SZ_SK_SL_SM_EUlSZ_E_NS1_11comp_targetILNS1_3genE2ELNS1_11target_archE906ELNS1_3gpuE6ELNS1_3repE0EEENS1_48merge_mergepath_partition_config_static_selectorELNS0_4arch9wavefront6targetE1EEEvSL_
		.amdhsa_group_segment_fixed_size 0
		.amdhsa_private_segment_fixed_size 0
		.amdhsa_kernarg_size 40
		.amdhsa_user_sgpr_count 2
		.amdhsa_user_sgpr_dispatch_ptr 0
		.amdhsa_user_sgpr_queue_ptr 0
		.amdhsa_user_sgpr_kernarg_segment_ptr 1
		.amdhsa_user_sgpr_dispatch_id 0
		.amdhsa_user_sgpr_kernarg_preload_length 0
		.amdhsa_user_sgpr_kernarg_preload_offset 0
		.amdhsa_user_sgpr_private_segment_size 0
		.amdhsa_uses_dynamic_stack 0
		.amdhsa_enable_private_segment 0
		.amdhsa_system_sgpr_workgroup_id_x 1
		.amdhsa_system_sgpr_workgroup_id_y 0
		.amdhsa_system_sgpr_workgroup_id_z 0
		.amdhsa_system_sgpr_workgroup_info 0
		.amdhsa_system_vgpr_workitem_id 0
		.amdhsa_next_free_vgpr 1
		.amdhsa_next_free_sgpr 0
		.amdhsa_accum_offset 4
		.amdhsa_reserve_vcc 0
		.amdhsa_float_round_mode_32 0
		.amdhsa_float_round_mode_16_64 0
		.amdhsa_float_denorm_mode_32 3
		.amdhsa_float_denorm_mode_16_64 3
		.amdhsa_dx10_clamp 1
		.amdhsa_ieee_mode 1
		.amdhsa_fp16_overflow 0
		.amdhsa_tg_split 0
		.amdhsa_exception_fp_ieee_invalid_op 0
		.amdhsa_exception_fp_denorm_src 0
		.amdhsa_exception_fp_ieee_div_zero 0
		.amdhsa_exception_fp_ieee_overflow 0
		.amdhsa_exception_fp_ieee_underflow 0
		.amdhsa_exception_fp_ieee_inexact 0
		.amdhsa_exception_int_div_zero 0
	.end_amdhsa_kernel
	.section	.text._ZN7rocprim17ROCPRIM_400000_NS6detail17trampoline_kernelINS0_14default_configENS1_38merge_sort_block_merge_config_selectorIjNS0_10empty_typeEEEZZNS1_27merge_sort_block_merge_implIS3_N6thrust23THRUST_200600_302600_NS6detail15normal_iteratorINS9_10device_ptrIjEEEEPS5_jNS1_19radix_merge_compareILb0ELb1EjNS0_19identity_decomposerEEEEE10hipError_tT0_T1_T2_jT3_P12ihipStream_tbPNSt15iterator_traitsISK_E10value_typeEPNSQ_ISL_E10value_typeEPSM_NS1_7vsmem_tEENKUlT_SK_SL_SM_E_clISE_PjSF_SF_EESJ_SZ_SK_SL_SM_EUlSZ_E_NS1_11comp_targetILNS1_3genE2ELNS1_11target_archE906ELNS1_3gpuE6ELNS1_3repE0EEENS1_48merge_mergepath_partition_config_static_selectorELNS0_4arch9wavefront6targetE1EEEvSL_,"axG",@progbits,_ZN7rocprim17ROCPRIM_400000_NS6detail17trampoline_kernelINS0_14default_configENS1_38merge_sort_block_merge_config_selectorIjNS0_10empty_typeEEEZZNS1_27merge_sort_block_merge_implIS3_N6thrust23THRUST_200600_302600_NS6detail15normal_iteratorINS9_10device_ptrIjEEEEPS5_jNS1_19radix_merge_compareILb0ELb1EjNS0_19identity_decomposerEEEEE10hipError_tT0_T1_T2_jT3_P12ihipStream_tbPNSt15iterator_traitsISK_E10value_typeEPNSQ_ISL_E10value_typeEPSM_NS1_7vsmem_tEENKUlT_SK_SL_SM_E_clISE_PjSF_SF_EESJ_SZ_SK_SL_SM_EUlSZ_E_NS1_11comp_targetILNS1_3genE2ELNS1_11target_archE906ELNS1_3gpuE6ELNS1_3repE0EEENS1_48merge_mergepath_partition_config_static_selectorELNS0_4arch9wavefront6targetE1EEEvSL_,comdat
.Lfunc_end1055:
	.size	_ZN7rocprim17ROCPRIM_400000_NS6detail17trampoline_kernelINS0_14default_configENS1_38merge_sort_block_merge_config_selectorIjNS0_10empty_typeEEEZZNS1_27merge_sort_block_merge_implIS3_N6thrust23THRUST_200600_302600_NS6detail15normal_iteratorINS9_10device_ptrIjEEEEPS5_jNS1_19radix_merge_compareILb0ELb1EjNS0_19identity_decomposerEEEEE10hipError_tT0_T1_T2_jT3_P12ihipStream_tbPNSt15iterator_traitsISK_E10value_typeEPNSQ_ISL_E10value_typeEPSM_NS1_7vsmem_tEENKUlT_SK_SL_SM_E_clISE_PjSF_SF_EESJ_SZ_SK_SL_SM_EUlSZ_E_NS1_11comp_targetILNS1_3genE2ELNS1_11target_archE906ELNS1_3gpuE6ELNS1_3repE0EEENS1_48merge_mergepath_partition_config_static_selectorELNS0_4arch9wavefront6targetE1EEEvSL_, .Lfunc_end1055-_ZN7rocprim17ROCPRIM_400000_NS6detail17trampoline_kernelINS0_14default_configENS1_38merge_sort_block_merge_config_selectorIjNS0_10empty_typeEEEZZNS1_27merge_sort_block_merge_implIS3_N6thrust23THRUST_200600_302600_NS6detail15normal_iteratorINS9_10device_ptrIjEEEEPS5_jNS1_19radix_merge_compareILb0ELb1EjNS0_19identity_decomposerEEEEE10hipError_tT0_T1_T2_jT3_P12ihipStream_tbPNSt15iterator_traitsISK_E10value_typeEPNSQ_ISL_E10value_typeEPSM_NS1_7vsmem_tEENKUlT_SK_SL_SM_E_clISE_PjSF_SF_EESJ_SZ_SK_SL_SM_EUlSZ_E_NS1_11comp_targetILNS1_3genE2ELNS1_11target_archE906ELNS1_3gpuE6ELNS1_3repE0EEENS1_48merge_mergepath_partition_config_static_selectorELNS0_4arch9wavefront6targetE1EEEvSL_
                                        ; -- End function
	.section	.AMDGPU.csdata,"",@progbits
; Kernel info:
; codeLenInByte = 0
; NumSgprs: 6
; NumVgprs: 0
; NumAgprs: 0
; TotalNumVgprs: 0
; ScratchSize: 0
; MemoryBound: 0
; FloatMode: 240
; IeeeMode: 1
; LDSByteSize: 0 bytes/workgroup (compile time only)
; SGPRBlocks: 0
; VGPRBlocks: 0
; NumSGPRsForWavesPerEU: 6
; NumVGPRsForWavesPerEU: 1
; AccumOffset: 4
; Occupancy: 8
; WaveLimiterHint : 0
; COMPUTE_PGM_RSRC2:SCRATCH_EN: 0
; COMPUTE_PGM_RSRC2:USER_SGPR: 2
; COMPUTE_PGM_RSRC2:TRAP_HANDLER: 0
; COMPUTE_PGM_RSRC2:TGID_X_EN: 1
; COMPUTE_PGM_RSRC2:TGID_Y_EN: 0
; COMPUTE_PGM_RSRC2:TGID_Z_EN: 0
; COMPUTE_PGM_RSRC2:TIDIG_COMP_CNT: 0
; COMPUTE_PGM_RSRC3_GFX90A:ACCUM_OFFSET: 0
; COMPUTE_PGM_RSRC3_GFX90A:TG_SPLIT: 0
	.section	.text._ZN7rocprim17ROCPRIM_400000_NS6detail17trampoline_kernelINS0_14default_configENS1_38merge_sort_block_merge_config_selectorIjNS0_10empty_typeEEEZZNS1_27merge_sort_block_merge_implIS3_N6thrust23THRUST_200600_302600_NS6detail15normal_iteratorINS9_10device_ptrIjEEEEPS5_jNS1_19radix_merge_compareILb0ELb1EjNS0_19identity_decomposerEEEEE10hipError_tT0_T1_T2_jT3_P12ihipStream_tbPNSt15iterator_traitsISK_E10value_typeEPNSQ_ISL_E10value_typeEPSM_NS1_7vsmem_tEENKUlT_SK_SL_SM_E_clISE_PjSF_SF_EESJ_SZ_SK_SL_SM_EUlSZ_E_NS1_11comp_targetILNS1_3genE9ELNS1_11target_archE1100ELNS1_3gpuE3ELNS1_3repE0EEENS1_48merge_mergepath_partition_config_static_selectorELNS0_4arch9wavefront6targetE1EEEvSL_,"axG",@progbits,_ZN7rocprim17ROCPRIM_400000_NS6detail17trampoline_kernelINS0_14default_configENS1_38merge_sort_block_merge_config_selectorIjNS0_10empty_typeEEEZZNS1_27merge_sort_block_merge_implIS3_N6thrust23THRUST_200600_302600_NS6detail15normal_iteratorINS9_10device_ptrIjEEEEPS5_jNS1_19radix_merge_compareILb0ELb1EjNS0_19identity_decomposerEEEEE10hipError_tT0_T1_T2_jT3_P12ihipStream_tbPNSt15iterator_traitsISK_E10value_typeEPNSQ_ISL_E10value_typeEPSM_NS1_7vsmem_tEENKUlT_SK_SL_SM_E_clISE_PjSF_SF_EESJ_SZ_SK_SL_SM_EUlSZ_E_NS1_11comp_targetILNS1_3genE9ELNS1_11target_archE1100ELNS1_3gpuE3ELNS1_3repE0EEENS1_48merge_mergepath_partition_config_static_selectorELNS0_4arch9wavefront6targetE1EEEvSL_,comdat
	.protected	_ZN7rocprim17ROCPRIM_400000_NS6detail17trampoline_kernelINS0_14default_configENS1_38merge_sort_block_merge_config_selectorIjNS0_10empty_typeEEEZZNS1_27merge_sort_block_merge_implIS3_N6thrust23THRUST_200600_302600_NS6detail15normal_iteratorINS9_10device_ptrIjEEEEPS5_jNS1_19radix_merge_compareILb0ELb1EjNS0_19identity_decomposerEEEEE10hipError_tT0_T1_T2_jT3_P12ihipStream_tbPNSt15iterator_traitsISK_E10value_typeEPNSQ_ISL_E10value_typeEPSM_NS1_7vsmem_tEENKUlT_SK_SL_SM_E_clISE_PjSF_SF_EESJ_SZ_SK_SL_SM_EUlSZ_E_NS1_11comp_targetILNS1_3genE9ELNS1_11target_archE1100ELNS1_3gpuE3ELNS1_3repE0EEENS1_48merge_mergepath_partition_config_static_selectorELNS0_4arch9wavefront6targetE1EEEvSL_ ; -- Begin function _ZN7rocprim17ROCPRIM_400000_NS6detail17trampoline_kernelINS0_14default_configENS1_38merge_sort_block_merge_config_selectorIjNS0_10empty_typeEEEZZNS1_27merge_sort_block_merge_implIS3_N6thrust23THRUST_200600_302600_NS6detail15normal_iteratorINS9_10device_ptrIjEEEEPS5_jNS1_19radix_merge_compareILb0ELb1EjNS0_19identity_decomposerEEEEE10hipError_tT0_T1_T2_jT3_P12ihipStream_tbPNSt15iterator_traitsISK_E10value_typeEPNSQ_ISL_E10value_typeEPSM_NS1_7vsmem_tEENKUlT_SK_SL_SM_E_clISE_PjSF_SF_EESJ_SZ_SK_SL_SM_EUlSZ_E_NS1_11comp_targetILNS1_3genE9ELNS1_11target_archE1100ELNS1_3gpuE3ELNS1_3repE0EEENS1_48merge_mergepath_partition_config_static_selectorELNS0_4arch9wavefront6targetE1EEEvSL_
	.globl	_ZN7rocprim17ROCPRIM_400000_NS6detail17trampoline_kernelINS0_14default_configENS1_38merge_sort_block_merge_config_selectorIjNS0_10empty_typeEEEZZNS1_27merge_sort_block_merge_implIS3_N6thrust23THRUST_200600_302600_NS6detail15normal_iteratorINS9_10device_ptrIjEEEEPS5_jNS1_19radix_merge_compareILb0ELb1EjNS0_19identity_decomposerEEEEE10hipError_tT0_T1_T2_jT3_P12ihipStream_tbPNSt15iterator_traitsISK_E10value_typeEPNSQ_ISL_E10value_typeEPSM_NS1_7vsmem_tEENKUlT_SK_SL_SM_E_clISE_PjSF_SF_EESJ_SZ_SK_SL_SM_EUlSZ_E_NS1_11comp_targetILNS1_3genE9ELNS1_11target_archE1100ELNS1_3gpuE3ELNS1_3repE0EEENS1_48merge_mergepath_partition_config_static_selectorELNS0_4arch9wavefront6targetE1EEEvSL_
	.p2align	8
	.type	_ZN7rocprim17ROCPRIM_400000_NS6detail17trampoline_kernelINS0_14default_configENS1_38merge_sort_block_merge_config_selectorIjNS0_10empty_typeEEEZZNS1_27merge_sort_block_merge_implIS3_N6thrust23THRUST_200600_302600_NS6detail15normal_iteratorINS9_10device_ptrIjEEEEPS5_jNS1_19radix_merge_compareILb0ELb1EjNS0_19identity_decomposerEEEEE10hipError_tT0_T1_T2_jT3_P12ihipStream_tbPNSt15iterator_traitsISK_E10value_typeEPNSQ_ISL_E10value_typeEPSM_NS1_7vsmem_tEENKUlT_SK_SL_SM_E_clISE_PjSF_SF_EESJ_SZ_SK_SL_SM_EUlSZ_E_NS1_11comp_targetILNS1_3genE9ELNS1_11target_archE1100ELNS1_3gpuE3ELNS1_3repE0EEENS1_48merge_mergepath_partition_config_static_selectorELNS0_4arch9wavefront6targetE1EEEvSL_,@function
_ZN7rocprim17ROCPRIM_400000_NS6detail17trampoline_kernelINS0_14default_configENS1_38merge_sort_block_merge_config_selectorIjNS0_10empty_typeEEEZZNS1_27merge_sort_block_merge_implIS3_N6thrust23THRUST_200600_302600_NS6detail15normal_iteratorINS9_10device_ptrIjEEEEPS5_jNS1_19radix_merge_compareILb0ELb1EjNS0_19identity_decomposerEEEEE10hipError_tT0_T1_T2_jT3_P12ihipStream_tbPNSt15iterator_traitsISK_E10value_typeEPNSQ_ISL_E10value_typeEPSM_NS1_7vsmem_tEENKUlT_SK_SL_SM_E_clISE_PjSF_SF_EESJ_SZ_SK_SL_SM_EUlSZ_E_NS1_11comp_targetILNS1_3genE9ELNS1_11target_archE1100ELNS1_3gpuE3ELNS1_3repE0EEENS1_48merge_mergepath_partition_config_static_selectorELNS0_4arch9wavefront6targetE1EEEvSL_: ; @_ZN7rocprim17ROCPRIM_400000_NS6detail17trampoline_kernelINS0_14default_configENS1_38merge_sort_block_merge_config_selectorIjNS0_10empty_typeEEEZZNS1_27merge_sort_block_merge_implIS3_N6thrust23THRUST_200600_302600_NS6detail15normal_iteratorINS9_10device_ptrIjEEEEPS5_jNS1_19radix_merge_compareILb0ELb1EjNS0_19identity_decomposerEEEEE10hipError_tT0_T1_T2_jT3_P12ihipStream_tbPNSt15iterator_traitsISK_E10value_typeEPNSQ_ISL_E10value_typeEPSM_NS1_7vsmem_tEENKUlT_SK_SL_SM_E_clISE_PjSF_SF_EESJ_SZ_SK_SL_SM_EUlSZ_E_NS1_11comp_targetILNS1_3genE9ELNS1_11target_archE1100ELNS1_3gpuE3ELNS1_3repE0EEENS1_48merge_mergepath_partition_config_static_selectorELNS0_4arch9wavefront6targetE1EEEvSL_
; %bb.0:
	.section	.rodata,"a",@progbits
	.p2align	6, 0x0
	.amdhsa_kernel _ZN7rocprim17ROCPRIM_400000_NS6detail17trampoline_kernelINS0_14default_configENS1_38merge_sort_block_merge_config_selectorIjNS0_10empty_typeEEEZZNS1_27merge_sort_block_merge_implIS3_N6thrust23THRUST_200600_302600_NS6detail15normal_iteratorINS9_10device_ptrIjEEEEPS5_jNS1_19radix_merge_compareILb0ELb1EjNS0_19identity_decomposerEEEEE10hipError_tT0_T1_T2_jT3_P12ihipStream_tbPNSt15iterator_traitsISK_E10value_typeEPNSQ_ISL_E10value_typeEPSM_NS1_7vsmem_tEENKUlT_SK_SL_SM_E_clISE_PjSF_SF_EESJ_SZ_SK_SL_SM_EUlSZ_E_NS1_11comp_targetILNS1_3genE9ELNS1_11target_archE1100ELNS1_3gpuE3ELNS1_3repE0EEENS1_48merge_mergepath_partition_config_static_selectorELNS0_4arch9wavefront6targetE1EEEvSL_
		.amdhsa_group_segment_fixed_size 0
		.amdhsa_private_segment_fixed_size 0
		.amdhsa_kernarg_size 40
		.amdhsa_user_sgpr_count 2
		.amdhsa_user_sgpr_dispatch_ptr 0
		.amdhsa_user_sgpr_queue_ptr 0
		.amdhsa_user_sgpr_kernarg_segment_ptr 1
		.amdhsa_user_sgpr_dispatch_id 0
		.amdhsa_user_sgpr_kernarg_preload_length 0
		.amdhsa_user_sgpr_kernarg_preload_offset 0
		.amdhsa_user_sgpr_private_segment_size 0
		.amdhsa_uses_dynamic_stack 0
		.amdhsa_enable_private_segment 0
		.amdhsa_system_sgpr_workgroup_id_x 1
		.amdhsa_system_sgpr_workgroup_id_y 0
		.amdhsa_system_sgpr_workgroup_id_z 0
		.amdhsa_system_sgpr_workgroup_info 0
		.amdhsa_system_vgpr_workitem_id 0
		.amdhsa_next_free_vgpr 1
		.amdhsa_next_free_sgpr 0
		.amdhsa_accum_offset 4
		.amdhsa_reserve_vcc 0
		.amdhsa_float_round_mode_32 0
		.amdhsa_float_round_mode_16_64 0
		.amdhsa_float_denorm_mode_32 3
		.amdhsa_float_denorm_mode_16_64 3
		.amdhsa_dx10_clamp 1
		.amdhsa_ieee_mode 1
		.amdhsa_fp16_overflow 0
		.amdhsa_tg_split 0
		.amdhsa_exception_fp_ieee_invalid_op 0
		.amdhsa_exception_fp_denorm_src 0
		.amdhsa_exception_fp_ieee_div_zero 0
		.amdhsa_exception_fp_ieee_overflow 0
		.amdhsa_exception_fp_ieee_underflow 0
		.amdhsa_exception_fp_ieee_inexact 0
		.amdhsa_exception_int_div_zero 0
	.end_amdhsa_kernel
	.section	.text._ZN7rocprim17ROCPRIM_400000_NS6detail17trampoline_kernelINS0_14default_configENS1_38merge_sort_block_merge_config_selectorIjNS0_10empty_typeEEEZZNS1_27merge_sort_block_merge_implIS3_N6thrust23THRUST_200600_302600_NS6detail15normal_iteratorINS9_10device_ptrIjEEEEPS5_jNS1_19radix_merge_compareILb0ELb1EjNS0_19identity_decomposerEEEEE10hipError_tT0_T1_T2_jT3_P12ihipStream_tbPNSt15iterator_traitsISK_E10value_typeEPNSQ_ISL_E10value_typeEPSM_NS1_7vsmem_tEENKUlT_SK_SL_SM_E_clISE_PjSF_SF_EESJ_SZ_SK_SL_SM_EUlSZ_E_NS1_11comp_targetILNS1_3genE9ELNS1_11target_archE1100ELNS1_3gpuE3ELNS1_3repE0EEENS1_48merge_mergepath_partition_config_static_selectorELNS0_4arch9wavefront6targetE1EEEvSL_,"axG",@progbits,_ZN7rocprim17ROCPRIM_400000_NS6detail17trampoline_kernelINS0_14default_configENS1_38merge_sort_block_merge_config_selectorIjNS0_10empty_typeEEEZZNS1_27merge_sort_block_merge_implIS3_N6thrust23THRUST_200600_302600_NS6detail15normal_iteratorINS9_10device_ptrIjEEEEPS5_jNS1_19radix_merge_compareILb0ELb1EjNS0_19identity_decomposerEEEEE10hipError_tT0_T1_T2_jT3_P12ihipStream_tbPNSt15iterator_traitsISK_E10value_typeEPNSQ_ISL_E10value_typeEPSM_NS1_7vsmem_tEENKUlT_SK_SL_SM_E_clISE_PjSF_SF_EESJ_SZ_SK_SL_SM_EUlSZ_E_NS1_11comp_targetILNS1_3genE9ELNS1_11target_archE1100ELNS1_3gpuE3ELNS1_3repE0EEENS1_48merge_mergepath_partition_config_static_selectorELNS0_4arch9wavefront6targetE1EEEvSL_,comdat
.Lfunc_end1056:
	.size	_ZN7rocprim17ROCPRIM_400000_NS6detail17trampoline_kernelINS0_14default_configENS1_38merge_sort_block_merge_config_selectorIjNS0_10empty_typeEEEZZNS1_27merge_sort_block_merge_implIS3_N6thrust23THRUST_200600_302600_NS6detail15normal_iteratorINS9_10device_ptrIjEEEEPS5_jNS1_19radix_merge_compareILb0ELb1EjNS0_19identity_decomposerEEEEE10hipError_tT0_T1_T2_jT3_P12ihipStream_tbPNSt15iterator_traitsISK_E10value_typeEPNSQ_ISL_E10value_typeEPSM_NS1_7vsmem_tEENKUlT_SK_SL_SM_E_clISE_PjSF_SF_EESJ_SZ_SK_SL_SM_EUlSZ_E_NS1_11comp_targetILNS1_3genE9ELNS1_11target_archE1100ELNS1_3gpuE3ELNS1_3repE0EEENS1_48merge_mergepath_partition_config_static_selectorELNS0_4arch9wavefront6targetE1EEEvSL_, .Lfunc_end1056-_ZN7rocprim17ROCPRIM_400000_NS6detail17trampoline_kernelINS0_14default_configENS1_38merge_sort_block_merge_config_selectorIjNS0_10empty_typeEEEZZNS1_27merge_sort_block_merge_implIS3_N6thrust23THRUST_200600_302600_NS6detail15normal_iteratorINS9_10device_ptrIjEEEEPS5_jNS1_19radix_merge_compareILb0ELb1EjNS0_19identity_decomposerEEEEE10hipError_tT0_T1_T2_jT3_P12ihipStream_tbPNSt15iterator_traitsISK_E10value_typeEPNSQ_ISL_E10value_typeEPSM_NS1_7vsmem_tEENKUlT_SK_SL_SM_E_clISE_PjSF_SF_EESJ_SZ_SK_SL_SM_EUlSZ_E_NS1_11comp_targetILNS1_3genE9ELNS1_11target_archE1100ELNS1_3gpuE3ELNS1_3repE0EEENS1_48merge_mergepath_partition_config_static_selectorELNS0_4arch9wavefront6targetE1EEEvSL_
                                        ; -- End function
	.section	.AMDGPU.csdata,"",@progbits
; Kernel info:
; codeLenInByte = 0
; NumSgprs: 6
; NumVgprs: 0
; NumAgprs: 0
; TotalNumVgprs: 0
; ScratchSize: 0
; MemoryBound: 0
; FloatMode: 240
; IeeeMode: 1
; LDSByteSize: 0 bytes/workgroup (compile time only)
; SGPRBlocks: 0
; VGPRBlocks: 0
; NumSGPRsForWavesPerEU: 6
; NumVGPRsForWavesPerEU: 1
; AccumOffset: 4
; Occupancy: 8
; WaveLimiterHint : 0
; COMPUTE_PGM_RSRC2:SCRATCH_EN: 0
; COMPUTE_PGM_RSRC2:USER_SGPR: 2
; COMPUTE_PGM_RSRC2:TRAP_HANDLER: 0
; COMPUTE_PGM_RSRC2:TGID_X_EN: 1
; COMPUTE_PGM_RSRC2:TGID_Y_EN: 0
; COMPUTE_PGM_RSRC2:TGID_Z_EN: 0
; COMPUTE_PGM_RSRC2:TIDIG_COMP_CNT: 0
; COMPUTE_PGM_RSRC3_GFX90A:ACCUM_OFFSET: 0
; COMPUTE_PGM_RSRC3_GFX90A:TG_SPLIT: 0
	.section	.text._ZN7rocprim17ROCPRIM_400000_NS6detail17trampoline_kernelINS0_14default_configENS1_38merge_sort_block_merge_config_selectorIjNS0_10empty_typeEEEZZNS1_27merge_sort_block_merge_implIS3_N6thrust23THRUST_200600_302600_NS6detail15normal_iteratorINS9_10device_ptrIjEEEEPS5_jNS1_19radix_merge_compareILb0ELb1EjNS0_19identity_decomposerEEEEE10hipError_tT0_T1_T2_jT3_P12ihipStream_tbPNSt15iterator_traitsISK_E10value_typeEPNSQ_ISL_E10value_typeEPSM_NS1_7vsmem_tEENKUlT_SK_SL_SM_E_clISE_PjSF_SF_EESJ_SZ_SK_SL_SM_EUlSZ_E_NS1_11comp_targetILNS1_3genE8ELNS1_11target_archE1030ELNS1_3gpuE2ELNS1_3repE0EEENS1_48merge_mergepath_partition_config_static_selectorELNS0_4arch9wavefront6targetE1EEEvSL_,"axG",@progbits,_ZN7rocprim17ROCPRIM_400000_NS6detail17trampoline_kernelINS0_14default_configENS1_38merge_sort_block_merge_config_selectorIjNS0_10empty_typeEEEZZNS1_27merge_sort_block_merge_implIS3_N6thrust23THRUST_200600_302600_NS6detail15normal_iteratorINS9_10device_ptrIjEEEEPS5_jNS1_19radix_merge_compareILb0ELb1EjNS0_19identity_decomposerEEEEE10hipError_tT0_T1_T2_jT3_P12ihipStream_tbPNSt15iterator_traitsISK_E10value_typeEPNSQ_ISL_E10value_typeEPSM_NS1_7vsmem_tEENKUlT_SK_SL_SM_E_clISE_PjSF_SF_EESJ_SZ_SK_SL_SM_EUlSZ_E_NS1_11comp_targetILNS1_3genE8ELNS1_11target_archE1030ELNS1_3gpuE2ELNS1_3repE0EEENS1_48merge_mergepath_partition_config_static_selectorELNS0_4arch9wavefront6targetE1EEEvSL_,comdat
	.protected	_ZN7rocprim17ROCPRIM_400000_NS6detail17trampoline_kernelINS0_14default_configENS1_38merge_sort_block_merge_config_selectorIjNS0_10empty_typeEEEZZNS1_27merge_sort_block_merge_implIS3_N6thrust23THRUST_200600_302600_NS6detail15normal_iteratorINS9_10device_ptrIjEEEEPS5_jNS1_19radix_merge_compareILb0ELb1EjNS0_19identity_decomposerEEEEE10hipError_tT0_T1_T2_jT3_P12ihipStream_tbPNSt15iterator_traitsISK_E10value_typeEPNSQ_ISL_E10value_typeEPSM_NS1_7vsmem_tEENKUlT_SK_SL_SM_E_clISE_PjSF_SF_EESJ_SZ_SK_SL_SM_EUlSZ_E_NS1_11comp_targetILNS1_3genE8ELNS1_11target_archE1030ELNS1_3gpuE2ELNS1_3repE0EEENS1_48merge_mergepath_partition_config_static_selectorELNS0_4arch9wavefront6targetE1EEEvSL_ ; -- Begin function _ZN7rocprim17ROCPRIM_400000_NS6detail17trampoline_kernelINS0_14default_configENS1_38merge_sort_block_merge_config_selectorIjNS0_10empty_typeEEEZZNS1_27merge_sort_block_merge_implIS3_N6thrust23THRUST_200600_302600_NS6detail15normal_iteratorINS9_10device_ptrIjEEEEPS5_jNS1_19radix_merge_compareILb0ELb1EjNS0_19identity_decomposerEEEEE10hipError_tT0_T1_T2_jT3_P12ihipStream_tbPNSt15iterator_traitsISK_E10value_typeEPNSQ_ISL_E10value_typeEPSM_NS1_7vsmem_tEENKUlT_SK_SL_SM_E_clISE_PjSF_SF_EESJ_SZ_SK_SL_SM_EUlSZ_E_NS1_11comp_targetILNS1_3genE8ELNS1_11target_archE1030ELNS1_3gpuE2ELNS1_3repE0EEENS1_48merge_mergepath_partition_config_static_selectorELNS0_4arch9wavefront6targetE1EEEvSL_
	.globl	_ZN7rocprim17ROCPRIM_400000_NS6detail17trampoline_kernelINS0_14default_configENS1_38merge_sort_block_merge_config_selectorIjNS0_10empty_typeEEEZZNS1_27merge_sort_block_merge_implIS3_N6thrust23THRUST_200600_302600_NS6detail15normal_iteratorINS9_10device_ptrIjEEEEPS5_jNS1_19radix_merge_compareILb0ELb1EjNS0_19identity_decomposerEEEEE10hipError_tT0_T1_T2_jT3_P12ihipStream_tbPNSt15iterator_traitsISK_E10value_typeEPNSQ_ISL_E10value_typeEPSM_NS1_7vsmem_tEENKUlT_SK_SL_SM_E_clISE_PjSF_SF_EESJ_SZ_SK_SL_SM_EUlSZ_E_NS1_11comp_targetILNS1_3genE8ELNS1_11target_archE1030ELNS1_3gpuE2ELNS1_3repE0EEENS1_48merge_mergepath_partition_config_static_selectorELNS0_4arch9wavefront6targetE1EEEvSL_
	.p2align	8
	.type	_ZN7rocprim17ROCPRIM_400000_NS6detail17trampoline_kernelINS0_14default_configENS1_38merge_sort_block_merge_config_selectorIjNS0_10empty_typeEEEZZNS1_27merge_sort_block_merge_implIS3_N6thrust23THRUST_200600_302600_NS6detail15normal_iteratorINS9_10device_ptrIjEEEEPS5_jNS1_19radix_merge_compareILb0ELb1EjNS0_19identity_decomposerEEEEE10hipError_tT0_T1_T2_jT3_P12ihipStream_tbPNSt15iterator_traitsISK_E10value_typeEPNSQ_ISL_E10value_typeEPSM_NS1_7vsmem_tEENKUlT_SK_SL_SM_E_clISE_PjSF_SF_EESJ_SZ_SK_SL_SM_EUlSZ_E_NS1_11comp_targetILNS1_3genE8ELNS1_11target_archE1030ELNS1_3gpuE2ELNS1_3repE0EEENS1_48merge_mergepath_partition_config_static_selectorELNS0_4arch9wavefront6targetE1EEEvSL_,@function
_ZN7rocprim17ROCPRIM_400000_NS6detail17trampoline_kernelINS0_14default_configENS1_38merge_sort_block_merge_config_selectorIjNS0_10empty_typeEEEZZNS1_27merge_sort_block_merge_implIS3_N6thrust23THRUST_200600_302600_NS6detail15normal_iteratorINS9_10device_ptrIjEEEEPS5_jNS1_19radix_merge_compareILb0ELb1EjNS0_19identity_decomposerEEEEE10hipError_tT0_T1_T2_jT3_P12ihipStream_tbPNSt15iterator_traitsISK_E10value_typeEPNSQ_ISL_E10value_typeEPSM_NS1_7vsmem_tEENKUlT_SK_SL_SM_E_clISE_PjSF_SF_EESJ_SZ_SK_SL_SM_EUlSZ_E_NS1_11comp_targetILNS1_3genE8ELNS1_11target_archE1030ELNS1_3gpuE2ELNS1_3repE0EEENS1_48merge_mergepath_partition_config_static_selectorELNS0_4arch9wavefront6targetE1EEEvSL_: ; @_ZN7rocprim17ROCPRIM_400000_NS6detail17trampoline_kernelINS0_14default_configENS1_38merge_sort_block_merge_config_selectorIjNS0_10empty_typeEEEZZNS1_27merge_sort_block_merge_implIS3_N6thrust23THRUST_200600_302600_NS6detail15normal_iteratorINS9_10device_ptrIjEEEEPS5_jNS1_19radix_merge_compareILb0ELb1EjNS0_19identity_decomposerEEEEE10hipError_tT0_T1_T2_jT3_P12ihipStream_tbPNSt15iterator_traitsISK_E10value_typeEPNSQ_ISL_E10value_typeEPSM_NS1_7vsmem_tEENKUlT_SK_SL_SM_E_clISE_PjSF_SF_EESJ_SZ_SK_SL_SM_EUlSZ_E_NS1_11comp_targetILNS1_3genE8ELNS1_11target_archE1030ELNS1_3gpuE2ELNS1_3repE0EEENS1_48merge_mergepath_partition_config_static_selectorELNS0_4arch9wavefront6targetE1EEEvSL_
; %bb.0:
	.section	.rodata,"a",@progbits
	.p2align	6, 0x0
	.amdhsa_kernel _ZN7rocprim17ROCPRIM_400000_NS6detail17trampoline_kernelINS0_14default_configENS1_38merge_sort_block_merge_config_selectorIjNS0_10empty_typeEEEZZNS1_27merge_sort_block_merge_implIS3_N6thrust23THRUST_200600_302600_NS6detail15normal_iteratorINS9_10device_ptrIjEEEEPS5_jNS1_19radix_merge_compareILb0ELb1EjNS0_19identity_decomposerEEEEE10hipError_tT0_T1_T2_jT3_P12ihipStream_tbPNSt15iterator_traitsISK_E10value_typeEPNSQ_ISL_E10value_typeEPSM_NS1_7vsmem_tEENKUlT_SK_SL_SM_E_clISE_PjSF_SF_EESJ_SZ_SK_SL_SM_EUlSZ_E_NS1_11comp_targetILNS1_3genE8ELNS1_11target_archE1030ELNS1_3gpuE2ELNS1_3repE0EEENS1_48merge_mergepath_partition_config_static_selectorELNS0_4arch9wavefront6targetE1EEEvSL_
		.amdhsa_group_segment_fixed_size 0
		.amdhsa_private_segment_fixed_size 0
		.amdhsa_kernarg_size 40
		.amdhsa_user_sgpr_count 2
		.amdhsa_user_sgpr_dispatch_ptr 0
		.amdhsa_user_sgpr_queue_ptr 0
		.amdhsa_user_sgpr_kernarg_segment_ptr 1
		.amdhsa_user_sgpr_dispatch_id 0
		.amdhsa_user_sgpr_kernarg_preload_length 0
		.amdhsa_user_sgpr_kernarg_preload_offset 0
		.amdhsa_user_sgpr_private_segment_size 0
		.amdhsa_uses_dynamic_stack 0
		.amdhsa_enable_private_segment 0
		.amdhsa_system_sgpr_workgroup_id_x 1
		.amdhsa_system_sgpr_workgroup_id_y 0
		.amdhsa_system_sgpr_workgroup_id_z 0
		.amdhsa_system_sgpr_workgroup_info 0
		.amdhsa_system_vgpr_workitem_id 0
		.amdhsa_next_free_vgpr 1
		.amdhsa_next_free_sgpr 0
		.amdhsa_accum_offset 4
		.amdhsa_reserve_vcc 0
		.amdhsa_float_round_mode_32 0
		.amdhsa_float_round_mode_16_64 0
		.amdhsa_float_denorm_mode_32 3
		.amdhsa_float_denorm_mode_16_64 3
		.amdhsa_dx10_clamp 1
		.amdhsa_ieee_mode 1
		.amdhsa_fp16_overflow 0
		.amdhsa_tg_split 0
		.amdhsa_exception_fp_ieee_invalid_op 0
		.amdhsa_exception_fp_denorm_src 0
		.amdhsa_exception_fp_ieee_div_zero 0
		.amdhsa_exception_fp_ieee_overflow 0
		.amdhsa_exception_fp_ieee_underflow 0
		.amdhsa_exception_fp_ieee_inexact 0
		.amdhsa_exception_int_div_zero 0
	.end_amdhsa_kernel
	.section	.text._ZN7rocprim17ROCPRIM_400000_NS6detail17trampoline_kernelINS0_14default_configENS1_38merge_sort_block_merge_config_selectorIjNS0_10empty_typeEEEZZNS1_27merge_sort_block_merge_implIS3_N6thrust23THRUST_200600_302600_NS6detail15normal_iteratorINS9_10device_ptrIjEEEEPS5_jNS1_19radix_merge_compareILb0ELb1EjNS0_19identity_decomposerEEEEE10hipError_tT0_T1_T2_jT3_P12ihipStream_tbPNSt15iterator_traitsISK_E10value_typeEPNSQ_ISL_E10value_typeEPSM_NS1_7vsmem_tEENKUlT_SK_SL_SM_E_clISE_PjSF_SF_EESJ_SZ_SK_SL_SM_EUlSZ_E_NS1_11comp_targetILNS1_3genE8ELNS1_11target_archE1030ELNS1_3gpuE2ELNS1_3repE0EEENS1_48merge_mergepath_partition_config_static_selectorELNS0_4arch9wavefront6targetE1EEEvSL_,"axG",@progbits,_ZN7rocprim17ROCPRIM_400000_NS6detail17trampoline_kernelINS0_14default_configENS1_38merge_sort_block_merge_config_selectorIjNS0_10empty_typeEEEZZNS1_27merge_sort_block_merge_implIS3_N6thrust23THRUST_200600_302600_NS6detail15normal_iteratorINS9_10device_ptrIjEEEEPS5_jNS1_19radix_merge_compareILb0ELb1EjNS0_19identity_decomposerEEEEE10hipError_tT0_T1_T2_jT3_P12ihipStream_tbPNSt15iterator_traitsISK_E10value_typeEPNSQ_ISL_E10value_typeEPSM_NS1_7vsmem_tEENKUlT_SK_SL_SM_E_clISE_PjSF_SF_EESJ_SZ_SK_SL_SM_EUlSZ_E_NS1_11comp_targetILNS1_3genE8ELNS1_11target_archE1030ELNS1_3gpuE2ELNS1_3repE0EEENS1_48merge_mergepath_partition_config_static_selectorELNS0_4arch9wavefront6targetE1EEEvSL_,comdat
.Lfunc_end1057:
	.size	_ZN7rocprim17ROCPRIM_400000_NS6detail17trampoline_kernelINS0_14default_configENS1_38merge_sort_block_merge_config_selectorIjNS0_10empty_typeEEEZZNS1_27merge_sort_block_merge_implIS3_N6thrust23THRUST_200600_302600_NS6detail15normal_iteratorINS9_10device_ptrIjEEEEPS5_jNS1_19radix_merge_compareILb0ELb1EjNS0_19identity_decomposerEEEEE10hipError_tT0_T1_T2_jT3_P12ihipStream_tbPNSt15iterator_traitsISK_E10value_typeEPNSQ_ISL_E10value_typeEPSM_NS1_7vsmem_tEENKUlT_SK_SL_SM_E_clISE_PjSF_SF_EESJ_SZ_SK_SL_SM_EUlSZ_E_NS1_11comp_targetILNS1_3genE8ELNS1_11target_archE1030ELNS1_3gpuE2ELNS1_3repE0EEENS1_48merge_mergepath_partition_config_static_selectorELNS0_4arch9wavefront6targetE1EEEvSL_, .Lfunc_end1057-_ZN7rocprim17ROCPRIM_400000_NS6detail17trampoline_kernelINS0_14default_configENS1_38merge_sort_block_merge_config_selectorIjNS0_10empty_typeEEEZZNS1_27merge_sort_block_merge_implIS3_N6thrust23THRUST_200600_302600_NS6detail15normal_iteratorINS9_10device_ptrIjEEEEPS5_jNS1_19radix_merge_compareILb0ELb1EjNS0_19identity_decomposerEEEEE10hipError_tT0_T1_T2_jT3_P12ihipStream_tbPNSt15iterator_traitsISK_E10value_typeEPNSQ_ISL_E10value_typeEPSM_NS1_7vsmem_tEENKUlT_SK_SL_SM_E_clISE_PjSF_SF_EESJ_SZ_SK_SL_SM_EUlSZ_E_NS1_11comp_targetILNS1_3genE8ELNS1_11target_archE1030ELNS1_3gpuE2ELNS1_3repE0EEENS1_48merge_mergepath_partition_config_static_selectorELNS0_4arch9wavefront6targetE1EEEvSL_
                                        ; -- End function
	.section	.AMDGPU.csdata,"",@progbits
; Kernel info:
; codeLenInByte = 0
; NumSgprs: 6
; NumVgprs: 0
; NumAgprs: 0
; TotalNumVgprs: 0
; ScratchSize: 0
; MemoryBound: 0
; FloatMode: 240
; IeeeMode: 1
; LDSByteSize: 0 bytes/workgroup (compile time only)
; SGPRBlocks: 0
; VGPRBlocks: 0
; NumSGPRsForWavesPerEU: 6
; NumVGPRsForWavesPerEU: 1
; AccumOffset: 4
; Occupancy: 8
; WaveLimiterHint : 0
; COMPUTE_PGM_RSRC2:SCRATCH_EN: 0
; COMPUTE_PGM_RSRC2:USER_SGPR: 2
; COMPUTE_PGM_RSRC2:TRAP_HANDLER: 0
; COMPUTE_PGM_RSRC2:TGID_X_EN: 1
; COMPUTE_PGM_RSRC2:TGID_Y_EN: 0
; COMPUTE_PGM_RSRC2:TGID_Z_EN: 0
; COMPUTE_PGM_RSRC2:TIDIG_COMP_CNT: 0
; COMPUTE_PGM_RSRC3_GFX90A:ACCUM_OFFSET: 0
; COMPUTE_PGM_RSRC3_GFX90A:TG_SPLIT: 0
	.section	.text._ZN7rocprim17ROCPRIM_400000_NS6detail17trampoline_kernelINS0_14default_configENS1_38merge_sort_block_merge_config_selectorIjNS0_10empty_typeEEEZZNS1_27merge_sort_block_merge_implIS3_N6thrust23THRUST_200600_302600_NS6detail15normal_iteratorINS9_10device_ptrIjEEEEPS5_jNS1_19radix_merge_compareILb0ELb1EjNS0_19identity_decomposerEEEEE10hipError_tT0_T1_T2_jT3_P12ihipStream_tbPNSt15iterator_traitsISK_E10value_typeEPNSQ_ISL_E10value_typeEPSM_NS1_7vsmem_tEENKUlT_SK_SL_SM_E_clISE_PjSF_SF_EESJ_SZ_SK_SL_SM_EUlSZ_E0_NS1_11comp_targetILNS1_3genE0ELNS1_11target_archE4294967295ELNS1_3gpuE0ELNS1_3repE0EEENS1_38merge_mergepath_config_static_selectorELNS0_4arch9wavefront6targetE1EEEvSL_,"axG",@progbits,_ZN7rocprim17ROCPRIM_400000_NS6detail17trampoline_kernelINS0_14default_configENS1_38merge_sort_block_merge_config_selectorIjNS0_10empty_typeEEEZZNS1_27merge_sort_block_merge_implIS3_N6thrust23THRUST_200600_302600_NS6detail15normal_iteratorINS9_10device_ptrIjEEEEPS5_jNS1_19radix_merge_compareILb0ELb1EjNS0_19identity_decomposerEEEEE10hipError_tT0_T1_T2_jT3_P12ihipStream_tbPNSt15iterator_traitsISK_E10value_typeEPNSQ_ISL_E10value_typeEPSM_NS1_7vsmem_tEENKUlT_SK_SL_SM_E_clISE_PjSF_SF_EESJ_SZ_SK_SL_SM_EUlSZ_E0_NS1_11comp_targetILNS1_3genE0ELNS1_11target_archE4294967295ELNS1_3gpuE0ELNS1_3repE0EEENS1_38merge_mergepath_config_static_selectorELNS0_4arch9wavefront6targetE1EEEvSL_,comdat
	.protected	_ZN7rocprim17ROCPRIM_400000_NS6detail17trampoline_kernelINS0_14default_configENS1_38merge_sort_block_merge_config_selectorIjNS0_10empty_typeEEEZZNS1_27merge_sort_block_merge_implIS3_N6thrust23THRUST_200600_302600_NS6detail15normal_iteratorINS9_10device_ptrIjEEEEPS5_jNS1_19radix_merge_compareILb0ELb1EjNS0_19identity_decomposerEEEEE10hipError_tT0_T1_T2_jT3_P12ihipStream_tbPNSt15iterator_traitsISK_E10value_typeEPNSQ_ISL_E10value_typeEPSM_NS1_7vsmem_tEENKUlT_SK_SL_SM_E_clISE_PjSF_SF_EESJ_SZ_SK_SL_SM_EUlSZ_E0_NS1_11comp_targetILNS1_3genE0ELNS1_11target_archE4294967295ELNS1_3gpuE0ELNS1_3repE0EEENS1_38merge_mergepath_config_static_selectorELNS0_4arch9wavefront6targetE1EEEvSL_ ; -- Begin function _ZN7rocprim17ROCPRIM_400000_NS6detail17trampoline_kernelINS0_14default_configENS1_38merge_sort_block_merge_config_selectorIjNS0_10empty_typeEEEZZNS1_27merge_sort_block_merge_implIS3_N6thrust23THRUST_200600_302600_NS6detail15normal_iteratorINS9_10device_ptrIjEEEEPS5_jNS1_19radix_merge_compareILb0ELb1EjNS0_19identity_decomposerEEEEE10hipError_tT0_T1_T2_jT3_P12ihipStream_tbPNSt15iterator_traitsISK_E10value_typeEPNSQ_ISL_E10value_typeEPSM_NS1_7vsmem_tEENKUlT_SK_SL_SM_E_clISE_PjSF_SF_EESJ_SZ_SK_SL_SM_EUlSZ_E0_NS1_11comp_targetILNS1_3genE0ELNS1_11target_archE4294967295ELNS1_3gpuE0ELNS1_3repE0EEENS1_38merge_mergepath_config_static_selectorELNS0_4arch9wavefront6targetE1EEEvSL_
	.globl	_ZN7rocprim17ROCPRIM_400000_NS6detail17trampoline_kernelINS0_14default_configENS1_38merge_sort_block_merge_config_selectorIjNS0_10empty_typeEEEZZNS1_27merge_sort_block_merge_implIS3_N6thrust23THRUST_200600_302600_NS6detail15normal_iteratorINS9_10device_ptrIjEEEEPS5_jNS1_19radix_merge_compareILb0ELb1EjNS0_19identity_decomposerEEEEE10hipError_tT0_T1_T2_jT3_P12ihipStream_tbPNSt15iterator_traitsISK_E10value_typeEPNSQ_ISL_E10value_typeEPSM_NS1_7vsmem_tEENKUlT_SK_SL_SM_E_clISE_PjSF_SF_EESJ_SZ_SK_SL_SM_EUlSZ_E0_NS1_11comp_targetILNS1_3genE0ELNS1_11target_archE4294967295ELNS1_3gpuE0ELNS1_3repE0EEENS1_38merge_mergepath_config_static_selectorELNS0_4arch9wavefront6targetE1EEEvSL_
	.p2align	8
	.type	_ZN7rocprim17ROCPRIM_400000_NS6detail17trampoline_kernelINS0_14default_configENS1_38merge_sort_block_merge_config_selectorIjNS0_10empty_typeEEEZZNS1_27merge_sort_block_merge_implIS3_N6thrust23THRUST_200600_302600_NS6detail15normal_iteratorINS9_10device_ptrIjEEEEPS5_jNS1_19radix_merge_compareILb0ELb1EjNS0_19identity_decomposerEEEEE10hipError_tT0_T1_T2_jT3_P12ihipStream_tbPNSt15iterator_traitsISK_E10value_typeEPNSQ_ISL_E10value_typeEPSM_NS1_7vsmem_tEENKUlT_SK_SL_SM_E_clISE_PjSF_SF_EESJ_SZ_SK_SL_SM_EUlSZ_E0_NS1_11comp_targetILNS1_3genE0ELNS1_11target_archE4294967295ELNS1_3gpuE0ELNS1_3repE0EEENS1_38merge_mergepath_config_static_selectorELNS0_4arch9wavefront6targetE1EEEvSL_,@function
_ZN7rocprim17ROCPRIM_400000_NS6detail17trampoline_kernelINS0_14default_configENS1_38merge_sort_block_merge_config_selectorIjNS0_10empty_typeEEEZZNS1_27merge_sort_block_merge_implIS3_N6thrust23THRUST_200600_302600_NS6detail15normal_iteratorINS9_10device_ptrIjEEEEPS5_jNS1_19radix_merge_compareILb0ELb1EjNS0_19identity_decomposerEEEEE10hipError_tT0_T1_T2_jT3_P12ihipStream_tbPNSt15iterator_traitsISK_E10value_typeEPNSQ_ISL_E10value_typeEPSM_NS1_7vsmem_tEENKUlT_SK_SL_SM_E_clISE_PjSF_SF_EESJ_SZ_SK_SL_SM_EUlSZ_E0_NS1_11comp_targetILNS1_3genE0ELNS1_11target_archE4294967295ELNS1_3gpuE0ELNS1_3repE0EEENS1_38merge_mergepath_config_static_selectorELNS0_4arch9wavefront6targetE1EEEvSL_: ; @_ZN7rocprim17ROCPRIM_400000_NS6detail17trampoline_kernelINS0_14default_configENS1_38merge_sort_block_merge_config_selectorIjNS0_10empty_typeEEEZZNS1_27merge_sort_block_merge_implIS3_N6thrust23THRUST_200600_302600_NS6detail15normal_iteratorINS9_10device_ptrIjEEEEPS5_jNS1_19radix_merge_compareILb0ELb1EjNS0_19identity_decomposerEEEEE10hipError_tT0_T1_T2_jT3_P12ihipStream_tbPNSt15iterator_traitsISK_E10value_typeEPNSQ_ISL_E10value_typeEPSM_NS1_7vsmem_tEENKUlT_SK_SL_SM_E_clISE_PjSF_SF_EESJ_SZ_SK_SL_SM_EUlSZ_E0_NS1_11comp_targetILNS1_3genE0ELNS1_11target_archE4294967295ELNS1_3gpuE0ELNS1_3repE0EEENS1_38merge_mergepath_config_static_selectorELNS0_4arch9wavefront6targetE1EEEvSL_
; %bb.0:
	.section	.rodata,"a",@progbits
	.p2align	6, 0x0
	.amdhsa_kernel _ZN7rocprim17ROCPRIM_400000_NS6detail17trampoline_kernelINS0_14default_configENS1_38merge_sort_block_merge_config_selectorIjNS0_10empty_typeEEEZZNS1_27merge_sort_block_merge_implIS3_N6thrust23THRUST_200600_302600_NS6detail15normal_iteratorINS9_10device_ptrIjEEEEPS5_jNS1_19radix_merge_compareILb0ELb1EjNS0_19identity_decomposerEEEEE10hipError_tT0_T1_T2_jT3_P12ihipStream_tbPNSt15iterator_traitsISK_E10value_typeEPNSQ_ISL_E10value_typeEPSM_NS1_7vsmem_tEENKUlT_SK_SL_SM_E_clISE_PjSF_SF_EESJ_SZ_SK_SL_SM_EUlSZ_E0_NS1_11comp_targetILNS1_3genE0ELNS1_11target_archE4294967295ELNS1_3gpuE0ELNS1_3repE0EEENS1_38merge_mergepath_config_static_selectorELNS0_4arch9wavefront6targetE1EEEvSL_
		.amdhsa_group_segment_fixed_size 0
		.amdhsa_private_segment_fixed_size 0
		.amdhsa_kernarg_size 64
		.amdhsa_user_sgpr_count 2
		.amdhsa_user_sgpr_dispatch_ptr 0
		.amdhsa_user_sgpr_queue_ptr 0
		.amdhsa_user_sgpr_kernarg_segment_ptr 1
		.amdhsa_user_sgpr_dispatch_id 0
		.amdhsa_user_sgpr_kernarg_preload_length 0
		.amdhsa_user_sgpr_kernarg_preload_offset 0
		.amdhsa_user_sgpr_private_segment_size 0
		.amdhsa_uses_dynamic_stack 0
		.amdhsa_enable_private_segment 0
		.amdhsa_system_sgpr_workgroup_id_x 1
		.amdhsa_system_sgpr_workgroup_id_y 0
		.amdhsa_system_sgpr_workgroup_id_z 0
		.amdhsa_system_sgpr_workgroup_info 0
		.amdhsa_system_vgpr_workitem_id 0
		.amdhsa_next_free_vgpr 1
		.amdhsa_next_free_sgpr 0
		.amdhsa_accum_offset 4
		.amdhsa_reserve_vcc 0
		.amdhsa_float_round_mode_32 0
		.amdhsa_float_round_mode_16_64 0
		.amdhsa_float_denorm_mode_32 3
		.amdhsa_float_denorm_mode_16_64 3
		.amdhsa_dx10_clamp 1
		.amdhsa_ieee_mode 1
		.amdhsa_fp16_overflow 0
		.amdhsa_tg_split 0
		.amdhsa_exception_fp_ieee_invalid_op 0
		.amdhsa_exception_fp_denorm_src 0
		.amdhsa_exception_fp_ieee_div_zero 0
		.amdhsa_exception_fp_ieee_overflow 0
		.amdhsa_exception_fp_ieee_underflow 0
		.amdhsa_exception_fp_ieee_inexact 0
		.amdhsa_exception_int_div_zero 0
	.end_amdhsa_kernel
	.section	.text._ZN7rocprim17ROCPRIM_400000_NS6detail17trampoline_kernelINS0_14default_configENS1_38merge_sort_block_merge_config_selectorIjNS0_10empty_typeEEEZZNS1_27merge_sort_block_merge_implIS3_N6thrust23THRUST_200600_302600_NS6detail15normal_iteratorINS9_10device_ptrIjEEEEPS5_jNS1_19radix_merge_compareILb0ELb1EjNS0_19identity_decomposerEEEEE10hipError_tT0_T1_T2_jT3_P12ihipStream_tbPNSt15iterator_traitsISK_E10value_typeEPNSQ_ISL_E10value_typeEPSM_NS1_7vsmem_tEENKUlT_SK_SL_SM_E_clISE_PjSF_SF_EESJ_SZ_SK_SL_SM_EUlSZ_E0_NS1_11comp_targetILNS1_3genE0ELNS1_11target_archE4294967295ELNS1_3gpuE0ELNS1_3repE0EEENS1_38merge_mergepath_config_static_selectorELNS0_4arch9wavefront6targetE1EEEvSL_,"axG",@progbits,_ZN7rocprim17ROCPRIM_400000_NS6detail17trampoline_kernelINS0_14default_configENS1_38merge_sort_block_merge_config_selectorIjNS0_10empty_typeEEEZZNS1_27merge_sort_block_merge_implIS3_N6thrust23THRUST_200600_302600_NS6detail15normal_iteratorINS9_10device_ptrIjEEEEPS5_jNS1_19radix_merge_compareILb0ELb1EjNS0_19identity_decomposerEEEEE10hipError_tT0_T1_T2_jT3_P12ihipStream_tbPNSt15iterator_traitsISK_E10value_typeEPNSQ_ISL_E10value_typeEPSM_NS1_7vsmem_tEENKUlT_SK_SL_SM_E_clISE_PjSF_SF_EESJ_SZ_SK_SL_SM_EUlSZ_E0_NS1_11comp_targetILNS1_3genE0ELNS1_11target_archE4294967295ELNS1_3gpuE0ELNS1_3repE0EEENS1_38merge_mergepath_config_static_selectorELNS0_4arch9wavefront6targetE1EEEvSL_,comdat
.Lfunc_end1058:
	.size	_ZN7rocprim17ROCPRIM_400000_NS6detail17trampoline_kernelINS0_14default_configENS1_38merge_sort_block_merge_config_selectorIjNS0_10empty_typeEEEZZNS1_27merge_sort_block_merge_implIS3_N6thrust23THRUST_200600_302600_NS6detail15normal_iteratorINS9_10device_ptrIjEEEEPS5_jNS1_19radix_merge_compareILb0ELb1EjNS0_19identity_decomposerEEEEE10hipError_tT0_T1_T2_jT3_P12ihipStream_tbPNSt15iterator_traitsISK_E10value_typeEPNSQ_ISL_E10value_typeEPSM_NS1_7vsmem_tEENKUlT_SK_SL_SM_E_clISE_PjSF_SF_EESJ_SZ_SK_SL_SM_EUlSZ_E0_NS1_11comp_targetILNS1_3genE0ELNS1_11target_archE4294967295ELNS1_3gpuE0ELNS1_3repE0EEENS1_38merge_mergepath_config_static_selectorELNS0_4arch9wavefront6targetE1EEEvSL_, .Lfunc_end1058-_ZN7rocprim17ROCPRIM_400000_NS6detail17trampoline_kernelINS0_14default_configENS1_38merge_sort_block_merge_config_selectorIjNS0_10empty_typeEEEZZNS1_27merge_sort_block_merge_implIS3_N6thrust23THRUST_200600_302600_NS6detail15normal_iteratorINS9_10device_ptrIjEEEEPS5_jNS1_19radix_merge_compareILb0ELb1EjNS0_19identity_decomposerEEEEE10hipError_tT0_T1_T2_jT3_P12ihipStream_tbPNSt15iterator_traitsISK_E10value_typeEPNSQ_ISL_E10value_typeEPSM_NS1_7vsmem_tEENKUlT_SK_SL_SM_E_clISE_PjSF_SF_EESJ_SZ_SK_SL_SM_EUlSZ_E0_NS1_11comp_targetILNS1_3genE0ELNS1_11target_archE4294967295ELNS1_3gpuE0ELNS1_3repE0EEENS1_38merge_mergepath_config_static_selectorELNS0_4arch9wavefront6targetE1EEEvSL_
                                        ; -- End function
	.section	.AMDGPU.csdata,"",@progbits
; Kernel info:
; codeLenInByte = 0
; NumSgprs: 6
; NumVgprs: 0
; NumAgprs: 0
; TotalNumVgprs: 0
; ScratchSize: 0
; MemoryBound: 0
; FloatMode: 240
; IeeeMode: 1
; LDSByteSize: 0 bytes/workgroup (compile time only)
; SGPRBlocks: 0
; VGPRBlocks: 0
; NumSGPRsForWavesPerEU: 6
; NumVGPRsForWavesPerEU: 1
; AccumOffset: 4
; Occupancy: 8
; WaveLimiterHint : 0
; COMPUTE_PGM_RSRC2:SCRATCH_EN: 0
; COMPUTE_PGM_RSRC2:USER_SGPR: 2
; COMPUTE_PGM_RSRC2:TRAP_HANDLER: 0
; COMPUTE_PGM_RSRC2:TGID_X_EN: 1
; COMPUTE_PGM_RSRC2:TGID_Y_EN: 0
; COMPUTE_PGM_RSRC2:TGID_Z_EN: 0
; COMPUTE_PGM_RSRC2:TIDIG_COMP_CNT: 0
; COMPUTE_PGM_RSRC3_GFX90A:ACCUM_OFFSET: 0
; COMPUTE_PGM_RSRC3_GFX90A:TG_SPLIT: 0
	.section	.text._ZN7rocprim17ROCPRIM_400000_NS6detail17trampoline_kernelINS0_14default_configENS1_38merge_sort_block_merge_config_selectorIjNS0_10empty_typeEEEZZNS1_27merge_sort_block_merge_implIS3_N6thrust23THRUST_200600_302600_NS6detail15normal_iteratorINS9_10device_ptrIjEEEEPS5_jNS1_19radix_merge_compareILb0ELb1EjNS0_19identity_decomposerEEEEE10hipError_tT0_T1_T2_jT3_P12ihipStream_tbPNSt15iterator_traitsISK_E10value_typeEPNSQ_ISL_E10value_typeEPSM_NS1_7vsmem_tEENKUlT_SK_SL_SM_E_clISE_PjSF_SF_EESJ_SZ_SK_SL_SM_EUlSZ_E0_NS1_11comp_targetILNS1_3genE10ELNS1_11target_archE1201ELNS1_3gpuE5ELNS1_3repE0EEENS1_38merge_mergepath_config_static_selectorELNS0_4arch9wavefront6targetE1EEEvSL_,"axG",@progbits,_ZN7rocprim17ROCPRIM_400000_NS6detail17trampoline_kernelINS0_14default_configENS1_38merge_sort_block_merge_config_selectorIjNS0_10empty_typeEEEZZNS1_27merge_sort_block_merge_implIS3_N6thrust23THRUST_200600_302600_NS6detail15normal_iteratorINS9_10device_ptrIjEEEEPS5_jNS1_19radix_merge_compareILb0ELb1EjNS0_19identity_decomposerEEEEE10hipError_tT0_T1_T2_jT3_P12ihipStream_tbPNSt15iterator_traitsISK_E10value_typeEPNSQ_ISL_E10value_typeEPSM_NS1_7vsmem_tEENKUlT_SK_SL_SM_E_clISE_PjSF_SF_EESJ_SZ_SK_SL_SM_EUlSZ_E0_NS1_11comp_targetILNS1_3genE10ELNS1_11target_archE1201ELNS1_3gpuE5ELNS1_3repE0EEENS1_38merge_mergepath_config_static_selectorELNS0_4arch9wavefront6targetE1EEEvSL_,comdat
	.protected	_ZN7rocprim17ROCPRIM_400000_NS6detail17trampoline_kernelINS0_14default_configENS1_38merge_sort_block_merge_config_selectorIjNS0_10empty_typeEEEZZNS1_27merge_sort_block_merge_implIS3_N6thrust23THRUST_200600_302600_NS6detail15normal_iteratorINS9_10device_ptrIjEEEEPS5_jNS1_19radix_merge_compareILb0ELb1EjNS0_19identity_decomposerEEEEE10hipError_tT0_T1_T2_jT3_P12ihipStream_tbPNSt15iterator_traitsISK_E10value_typeEPNSQ_ISL_E10value_typeEPSM_NS1_7vsmem_tEENKUlT_SK_SL_SM_E_clISE_PjSF_SF_EESJ_SZ_SK_SL_SM_EUlSZ_E0_NS1_11comp_targetILNS1_3genE10ELNS1_11target_archE1201ELNS1_3gpuE5ELNS1_3repE0EEENS1_38merge_mergepath_config_static_selectorELNS0_4arch9wavefront6targetE1EEEvSL_ ; -- Begin function _ZN7rocprim17ROCPRIM_400000_NS6detail17trampoline_kernelINS0_14default_configENS1_38merge_sort_block_merge_config_selectorIjNS0_10empty_typeEEEZZNS1_27merge_sort_block_merge_implIS3_N6thrust23THRUST_200600_302600_NS6detail15normal_iteratorINS9_10device_ptrIjEEEEPS5_jNS1_19radix_merge_compareILb0ELb1EjNS0_19identity_decomposerEEEEE10hipError_tT0_T1_T2_jT3_P12ihipStream_tbPNSt15iterator_traitsISK_E10value_typeEPNSQ_ISL_E10value_typeEPSM_NS1_7vsmem_tEENKUlT_SK_SL_SM_E_clISE_PjSF_SF_EESJ_SZ_SK_SL_SM_EUlSZ_E0_NS1_11comp_targetILNS1_3genE10ELNS1_11target_archE1201ELNS1_3gpuE5ELNS1_3repE0EEENS1_38merge_mergepath_config_static_selectorELNS0_4arch9wavefront6targetE1EEEvSL_
	.globl	_ZN7rocprim17ROCPRIM_400000_NS6detail17trampoline_kernelINS0_14default_configENS1_38merge_sort_block_merge_config_selectorIjNS0_10empty_typeEEEZZNS1_27merge_sort_block_merge_implIS3_N6thrust23THRUST_200600_302600_NS6detail15normal_iteratorINS9_10device_ptrIjEEEEPS5_jNS1_19radix_merge_compareILb0ELb1EjNS0_19identity_decomposerEEEEE10hipError_tT0_T1_T2_jT3_P12ihipStream_tbPNSt15iterator_traitsISK_E10value_typeEPNSQ_ISL_E10value_typeEPSM_NS1_7vsmem_tEENKUlT_SK_SL_SM_E_clISE_PjSF_SF_EESJ_SZ_SK_SL_SM_EUlSZ_E0_NS1_11comp_targetILNS1_3genE10ELNS1_11target_archE1201ELNS1_3gpuE5ELNS1_3repE0EEENS1_38merge_mergepath_config_static_selectorELNS0_4arch9wavefront6targetE1EEEvSL_
	.p2align	8
	.type	_ZN7rocprim17ROCPRIM_400000_NS6detail17trampoline_kernelINS0_14default_configENS1_38merge_sort_block_merge_config_selectorIjNS0_10empty_typeEEEZZNS1_27merge_sort_block_merge_implIS3_N6thrust23THRUST_200600_302600_NS6detail15normal_iteratorINS9_10device_ptrIjEEEEPS5_jNS1_19radix_merge_compareILb0ELb1EjNS0_19identity_decomposerEEEEE10hipError_tT0_T1_T2_jT3_P12ihipStream_tbPNSt15iterator_traitsISK_E10value_typeEPNSQ_ISL_E10value_typeEPSM_NS1_7vsmem_tEENKUlT_SK_SL_SM_E_clISE_PjSF_SF_EESJ_SZ_SK_SL_SM_EUlSZ_E0_NS1_11comp_targetILNS1_3genE10ELNS1_11target_archE1201ELNS1_3gpuE5ELNS1_3repE0EEENS1_38merge_mergepath_config_static_selectorELNS0_4arch9wavefront6targetE1EEEvSL_,@function
_ZN7rocprim17ROCPRIM_400000_NS6detail17trampoline_kernelINS0_14default_configENS1_38merge_sort_block_merge_config_selectorIjNS0_10empty_typeEEEZZNS1_27merge_sort_block_merge_implIS3_N6thrust23THRUST_200600_302600_NS6detail15normal_iteratorINS9_10device_ptrIjEEEEPS5_jNS1_19radix_merge_compareILb0ELb1EjNS0_19identity_decomposerEEEEE10hipError_tT0_T1_T2_jT3_P12ihipStream_tbPNSt15iterator_traitsISK_E10value_typeEPNSQ_ISL_E10value_typeEPSM_NS1_7vsmem_tEENKUlT_SK_SL_SM_E_clISE_PjSF_SF_EESJ_SZ_SK_SL_SM_EUlSZ_E0_NS1_11comp_targetILNS1_3genE10ELNS1_11target_archE1201ELNS1_3gpuE5ELNS1_3repE0EEENS1_38merge_mergepath_config_static_selectorELNS0_4arch9wavefront6targetE1EEEvSL_: ; @_ZN7rocprim17ROCPRIM_400000_NS6detail17trampoline_kernelINS0_14default_configENS1_38merge_sort_block_merge_config_selectorIjNS0_10empty_typeEEEZZNS1_27merge_sort_block_merge_implIS3_N6thrust23THRUST_200600_302600_NS6detail15normal_iteratorINS9_10device_ptrIjEEEEPS5_jNS1_19radix_merge_compareILb0ELb1EjNS0_19identity_decomposerEEEEE10hipError_tT0_T1_T2_jT3_P12ihipStream_tbPNSt15iterator_traitsISK_E10value_typeEPNSQ_ISL_E10value_typeEPSM_NS1_7vsmem_tEENKUlT_SK_SL_SM_E_clISE_PjSF_SF_EESJ_SZ_SK_SL_SM_EUlSZ_E0_NS1_11comp_targetILNS1_3genE10ELNS1_11target_archE1201ELNS1_3gpuE5ELNS1_3repE0EEENS1_38merge_mergepath_config_static_selectorELNS0_4arch9wavefront6targetE1EEEvSL_
; %bb.0:
	.section	.rodata,"a",@progbits
	.p2align	6, 0x0
	.amdhsa_kernel _ZN7rocprim17ROCPRIM_400000_NS6detail17trampoline_kernelINS0_14default_configENS1_38merge_sort_block_merge_config_selectorIjNS0_10empty_typeEEEZZNS1_27merge_sort_block_merge_implIS3_N6thrust23THRUST_200600_302600_NS6detail15normal_iteratorINS9_10device_ptrIjEEEEPS5_jNS1_19radix_merge_compareILb0ELb1EjNS0_19identity_decomposerEEEEE10hipError_tT0_T1_T2_jT3_P12ihipStream_tbPNSt15iterator_traitsISK_E10value_typeEPNSQ_ISL_E10value_typeEPSM_NS1_7vsmem_tEENKUlT_SK_SL_SM_E_clISE_PjSF_SF_EESJ_SZ_SK_SL_SM_EUlSZ_E0_NS1_11comp_targetILNS1_3genE10ELNS1_11target_archE1201ELNS1_3gpuE5ELNS1_3repE0EEENS1_38merge_mergepath_config_static_selectorELNS0_4arch9wavefront6targetE1EEEvSL_
		.amdhsa_group_segment_fixed_size 0
		.amdhsa_private_segment_fixed_size 0
		.amdhsa_kernarg_size 64
		.amdhsa_user_sgpr_count 2
		.amdhsa_user_sgpr_dispatch_ptr 0
		.amdhsa_user_sgpr_queue_ptr 0
		.amdhsa_user_sgpr_kernarg_segment_ptr 1
		.amdhsa_user_sgpr_dispatch_id 0
		.amdhsa_user_sgpr_kernarg_preload_length 0
		.amdhsa_user_sgpr_kernarg_preload_offset 0
		.amdhsa_user_sgpr_private_segment_size 0
		.amdhsa_uses_dynamic_stack 0
		.amdhsa_enable_private_segment 0
		.amdhsa_system_sgpr_workgroup_id_x 1
		.amdhsa_system_sgpr_workgroup_id_y 0
		.amdhsa_system_sgpr_workgroup_id_z 0
		.amdhsa_system_sgpr_workgroup_info 0
		.amdhsa_system_vgpr_workitem_id 0
		.amdhsa_next_free_vgpr 1
		.amdhsa_next_free_sgpr 0
		.amdhsa_accum_offset 4
		.amdhsa_reserve_vcc 0
		.amdhsa_float_round_mode_32 0
		.amdhsa_float_round_mode_16_64 0
		.amdhsa_float_denorm_mode_32 3
		.amdhsa_float_denorm_mode_16_64 3
		.amdhsa_dx10_clamp 1
		.amdhsa_ieee_mode 1
		.amdhsa_fp16_overflow 0
		.amdhsa_tg_split 0
		.amdhsa_exception_fp_ieee_invalid_op 0
		.amdhsa_exception_fp_denorm_src 0
		.amdhsa_exception_fp_ieee_div_zero 0
		.amdhsa_exception_fp_ieee_overflow 0
		.amdhsa_exception_fp_ieee_underflow 0
		.amdhsa_exception_fp_ieee_inexact 0
		.amdhsa_exception_int_div_zero 0
	.end_amdhsa_kernel
	.section	.text._ZN7rocprim17ROCPRIM_400000_NS6detail17trampoline_kernelINS0_14default_configENS1_38merge_sort_block_merge_config_selectorIjNS0_10empty_typeEEEZZNS1_27merge_sort_block_merge_implIS3_N6thrust23THRUST_200600_302600_NS6detail15normal_iteratorINS9_10device_ptrIjEEEEPS5_jNS1_19radix_merge_compareILb0ELb1EjNS0_19identity_decomposerEEEEE10hipError_tT0_T1_T2_jT3_P12ihipStream_tbPNSt15iterator_traitsISK_E10value_typeEPNSQ_ISL_E10value_typeEPSM_NS1_7vsmem_tEENKUlT_SK_SL_SM_E_clISE_PjSF_SF_EESJ_SZ_SK_SL_SM_EUlSZ_E0_NS1_11comp_targetILNS1_3genE10ELNS1_11target_archE1201ELNS1_3gpuE5ELNS1_3repE0EEENS1_38merge_mergepath_config_static_selectorELNS0_4arch9wavefront6targetE1EEEvSL_,"axG",@progbits,_ZN7rocprim17ROCPRIM_400000_NS6detail17trampoline_kernelINS0_14default_configENS1_38merge_sort_block_merge_config_selectorIjNS0_10empty_typeEEEZZNS1_27merge_sort_block_merge_implIS3_N6thrust23THRUST_200600_302600_NS6detail15normal_iteratorINS9_10device_ptrIjEEEEPS5_jNS1_19radix_merge_compareILb0ELb1EjNS0_19identity_decomposerEEEEE10hipError_tT0_T1_T2_jT3_P12ihipStream_tbPNSt15iterator_traitsISK_E10value_typeEPNSQ_ISL_E10value_typeEPSM_NS1_7vsmem_tEENKUlT_SK_SL_SM_E_clISE_PjSF_SF_EESJ_SZ_SK_SL_SM_EUlSZ_E0_NS1_11comp_targetILNS1_3genE10ELNS1_11target_archE1201ELNS1_3gpuE5ELNS1_3repE0EEENS1_38merge_mergepath_config_static_selectorELNS0_4arch9wavefront6targetE1EEEvSL_,comdat
.Lfunc_end1059:
	.size	_ZN7rocprim17ROCPRIM_400000_NS6detail17trampoline_kernelINS0_14default_configENS1_38merge_sort_block_merge_config_selectorIjNS0_10empty_typeEEEZZNS1_27merge_sort_block_merge_implIS3_N6thrust23THRUST_200600_302600_NS6detail15normal_iteratorINS9_10device_ptrIjEEEEPS5_jNS1_19radix_merge_compareILb0ELb1EjNS0_19identity_decomposerEEEEE10hipError_tT0_T1_T2_jT3_P12ihipStream_tbPNSt15iterator_traitsISK_E10value_typeEPNSQ_ISL_E10value_typeEPSM_NS1_7vsmem_tEENKUlT_SK_SL_SM_E_clISE_PjSF_SF_EESJ_SZ_SK_SL_SM_EUlSZ_E0_NS1_11comp_targetILNS1_3genE10ELNS1_11target_archE1201ELNS1_3gpuE5ELNS1_3repE0EEENS1_38merge_mergepath_config_static_selectorELNS0_4arch9wavefront6targetE1EEEvSL_, .Lfunc_end1059-_ZN7rocprim17ROCPRIM_400000_NS6detail17trampoline_kernelINS0_14default_configENS1_38merge_sort_block_merge_config_selectorIjNS0_10empty_typeEEEZZNS1_27merge_sort_block_merge_implIS3_N6thrust23THRUST_200600_302600_NS6detail15normal_iteratorINS9_10device_ptrIjEEEEPS5_jNS1_19radix_merge_compareILb0ELb1EjNS0_19identity_decomposerEEEEE10hipError_tT0_T1_T2_jT3_P12ihipStream_tbPNSt15iterator_traitsISK_E10value_typeEPNSQ_ISL_E10value_typeEPSM_NS1_7vsmem_tEENKUlT_SK_SL_SM_E_clISE_PjSF_SF_EESJ_SZ_SK_SL_SM_EUlSZ_E0_NS1_11comp_targetILNS1_3genE10ELNS1_11target_archE1201ELNS1_3gpuE5ELNS1_3repE0EEENS1_38merge_mergepath_config_static_selectorELNS0_4arch9wavefront6targetE1EEEvSL_
                                        ; -- End function
	.section	.AMDGPU.csdata,"",@progbits
; Kernel info:
; codeLenInByte = 0
; NumSgprs: 6
; NumVgprs: 0
; NumAgprs: 0
; TotalNumVgprs: 0
; ScratchSize: 0
; MemoryBound: 0
; FloatMode: 240
; IeeeMode: 1
; LDSByteSize: 0 bytes/workgroup (compile time only)
; SGPRBlocks: 0
; VGPRBlocks: 0
; NumSGPRsForWavesPerEU: 6
; NumVGPRsForWavesPerEU: 1
; AccumOffset: 4
; Occupancy: 8
; WaveLimiterHint : 0
; COMPUTE_PGM_RSRC2:SCRATCH_EN: 0
; COMPUTE_PGM_RSRC2:USER_SGPR: 2
; COMPUTE_PGM_RSRC2:TRAP_HANDLER: 0
; COMPUTE_PGM_RSRC2:TGID_X_EN: 1
; COMPUTE_PGM_RSRC2:TGID_Y_EN: 0
; COMPUTE_PGM_RSRC2:TGID_Z_EN: 0
; COMPUTE_PGM_RSRC2:TIDIG_COMP_CNT: 0
; COMPUTE_PGM_RSRC3_GFX90A:ACCUM_OFFSET: 0
; COMPUTE_PGM_RSRC3_GFX90A:TG_SPLIT: 0
	.section	.text._ZN7rocprim17ROCPRIM_400000_NS6detail17trampoline_kernelINS0_14default_configENS1_38merge_sort_block_merge_config_selectorIjNS0_10empty_typeEEEZZNS1_27merge_sort_block_merge_implIS3_N6thrust23THRUST_200600_302600_NS6detail15normal_iteratorINS9_10device_ptrIjEEEEPS5_jNS1_19radix_merge_compareILb0ELb1EjNS0_19identity_decomposerEEEEE10hipError_tT0_T1_T2_jT3_P12ihipStream_tbPNSt15iterator_traitsISK_E10value_typeEPNSQ_ISL_E10value_typeEPSM_NS1_7vsmem_tEENKUlT_SK_SL_SM_E_clISE_PjSF_SF_EESJ_SZ_SK_SL_SM_EUlSZ_E0_NS1_11comp_targetILNS1_3genE5ELNS1_11target_archE942ELNS1_3gpuE9ELNS1_3repE0EEENS1_38merge_mergepath_config_static_selectorELNS0_4arch9wavefront6targetE1EEEvSL_,"axG",@progbits,_ZN7rocprim17ROCPRIM_400000_NS6detail17trampoline_kernelINS0_14default_configENS1_38merge_sort_block_merge_config_selectorIjNS0_10empty_typeEEEZZNS1_27merge_sort_block_merge_implIS3_N6thrust23THRUST_200600_302600_NS6detail15normal_iteratorINS9_10device_ptrIjEEEEPS5_jNS1_19radix_merge_compareILb0ELb1EjNS0_19identity_decomposerEEEEE10hipError_tT0_T1_T2_jT3_P12ihipStream_tbPNSt15iterator_traitsISK_E10value_typeEPNSQ_ISL_E10value_typeEPSM_NS1_7vsmem_tEENKUlT_SK_SL_SM_E_clISE_PjSF_SF_EESJ_SZ_SK_SL_SM_EUlSZ_E0_NS1_11comp_targetILNS1_3genE5ELNS1_11target_archE942ELNS1_3gpuE9ELNS1_3repE0EEENS1_38merge_mergepath_config_static_selectorELNS0_4arch9wavefront6targetE1EEEvSL_,comdat
	.protected	_ZN7rocprim17ROCPRIM_400000_NS6detail17trampoline_kernelINS0_14default_configENS1_38merge_sort_block_merge_config_selectorIjNS0_10empty_typeEEEZZNS1_27merge_sort_block_merge_implIS3_N6thrust23THRUST_200600_302600_NS6detail15normal_iteratorINS9_10device_ptrIjEEEEPS5_jNS1_19radix_merge_compareILb0ELb1EjNS0_19identity_decomposerEEEEE10hipError_tT0_T1_T2_jT3_P12ihipStream_tbPNSt15iterator_traitsISK_E10value_typeEPNSQ_ISL_E10value_typeEPSM_NS1_7vsmem_tEENKUlT_SK_SL_SM_E_clISE_PjSF_SF_EESJ_SZ_SK_SL_SM_EUlSZ_E0_NS1_11comp_targetILNS1_3genE5ELNS1_11target_archE942ELNS1_3gpuE9ELNS1_3repE0EEENS1_38merge_mergepath_config_static_selectorELNS0_4arch9wavefront6targetE1EEEvSL_ ; -- Begin function _ZN7rocprim17ROCPRIM_400000_NS6detail17trampoline_kernelINS0_14default_configENS1_38merge_sort_block_merge_config_selectorIjNS0_10empty_typeEEEZZNS1_27merge_sort_block_merge_implIS3_N6thrust23THRUST_200600_302600_NS6detail15normal_iteratorINS9_10device_ptrIjEEEEPS5_jNS1_19radix_merge_compareILb0ELb1EjNS0_19identity_decomposerEEEEE10hipError_tT0_T1_T2_jT3_P12ihipStream_tbPNSt15iterator_traitsISK_E10value_typeEPNSQ_ISL_E10value_typeEPSM_NS1_7vsmem_tEENKUlT_SK_SL_SM_E_clISE_PjSF_SF_EESJ_SZ_SK_SL_SM_EUlSZ_E0_NS1_11comp_targetILNS1_3genE5ELNS1_11target_archE942ELNS1_3gpuE9ELNS1_3repE0EEENS1_38merge_mergepath_config_static_selectorELNS0_4arch9wavefront6targetE1EEEvSL_
	.globl	_ZN7rocprim17ROCPRIM_400000_NS6detail17trampoline_kernelINS0_14default_configENS1_38merge_sort_block_merge_config_selectorIjNS0_10empty_typeEEEZZNS1_27merge_sort_block_merge_implIS3_N6thrust23THRUST_200600_302600_NS6detail15normal_iteratorINS9_10device_ptrIjEEEEPS5_jNS1_19radix_merge_compareILb0ELb1EjNS0_19identity_decomposerEEEEE10hipError_tT0_T1_T2_jT3_P12ihipStream_tbPNSt15iterator_traitsISK_E10value_typeEPNSQ_ISL_E10value_typeEPSM_NS1_7vsmem_tEENKUlT_SK_SL_SM_E_clISE_PjSF_SF_EESJ_SZ_SK_SL_SM_EUlSZ_E0_NS1_11comp_targetILNS1_3genE5ELNS1_11target_archE942ELNS1_3gpuE9ELNS1_3repE0EEENS1_38merge_mergepath_config_static_selectorELNS0_4arch9wavefront6targetE1EEEvSL_
	.p2align	8
	.type	_ZN7rocprim17ROCPRIM_400000_NS6detail17trampoline_kernelINS0_14default_configENS1_38merge_sort_block_merge_config_selectorIjNS0_10empty_typeEEEZZNS1_27merge_sort_block_merge_implIS3_N6thrust23THRUST_200600_302600_NS6detail15normal_iteratorINS9_10device_ptrIjEEEEPS5_jNS1_19radix_merge_compareILb0ELb1EjNS0_19identity_decomposerEEEEE10hipError_tT0_T1_T2_jT3_P12ihipStream_tbPNSt15iterator_traitsISK_E10value_typeEPNSQ_ISL_E10value_typeEPSM_NS1_7vsmem_tEENKUlT_SK_SL_SM_E_clISE_PjSF_SF_EESJ_SZ_SK_SL_SM_EUlSZ_E0_NS1_11comp_targetILNS1_3genE5ELNS1_11target_archE942ELNS1_3gpuE9ELNS1_3repE0EEENS1_38merge_mergepath_config_static_selectorELNS0_4arch9wavefront6targetE1EEEvSL_,@function
_ZN7rocprim17ROCPRIM_400000_NS6detail17trampoline_kernelINS0_14default_configENS1_38merge_sort_block_merge_config_selectorIjNS0_10empty_typeEEEZZNS1_27merge_sort_block_merge_implIS3_N6thrust23THRUST_200600_302600_NS6detail15normal_iteratorINS9_10device_ptrIjEEEEPS5_jNS1_19radix_merge_compareILb0ELb1EjNS0_19identity_decomposerEEEEE10hipError_tT0_T1_T2_jT3_P12ihipStream_tbPNSt15iterator_traitsISK_E10value_typeEPNSQ_ISL_E10value_typeEPSM_NS1_7vsmem_tEENKUlT_SK_SL_SM_E_clISE_PjSF_SF_EESJ_SZ_SK_SL_SM_EUlSZ_E0_NS1_11comp_targetILNS1_3genE5ELNS1_11target_archE942ELNS1_3gpuE9ELNS1_3repE0EEENS1_38merge_mergepath_config_static_selectorELNS0_4arch9wavefront6targetE1EEEvSL_: ; @_ZN7rocprim17ROCPRIM_400000_NS6detail17trampoline_kernelINS0_14default_configENS1_38merge_sort_block_merge_config_selectorIjNS0_10empty_typeEEEZZNS1_27merge_sort_block_merge_implIS3_N6thrust23THRUST_200600_302600_NS6detail15normal_iteratorINS9_10device_ptrIjEEEEPS5_jNS1_19radix_merge_compareILb0ELb1EjNS0_19identity_decomposerEEEEE10hipError_tT0_T1_T2_jT3_P12ihipStream_tbPNSt15iterator_traitsISK_E10value_typeEPNSQ_ISL_E10value_typeEPSM_NS1_7vsmem_tEENKUlT_SK_SL_SM_E_clISE_PjSF_SF_EESJ_SZ_SK_SL_SM_EUlSZ_E0_NS1_11comp_targetILNS1_3genE5ELNS1_11target_archE942ELNS1_3gpuE9ELNS1_3repE0EEENS1_38merge_mergepath_config_static_selectorELNS0_4arch9wavefront6targetE1EEEvSL_
; %bb.0:
	s_load_dwordx2 s[12:13], s[0:1], 0x40
	s_load_dwordx2 s[16:17], s[0:1], 0x30
	s_add_u32 s8, s0, 64
	s_addc_u32 s9, s1, 0
	s_waitcnt lgkmcnt(0)
	s_mul_i32 s4, s13, s4
	s_add_i32 s3, s4, s3
	s_mul_i32 s3, s3, s12
	s_add_i32 s10, s3, s2
	s_cmp_ge_u32 s10, s16
	s_cbranch_scc1 .LBB1060_43
; %bb.1:
	s_load_dwordx2 s[14:15], s[0:1], 0x28
	s_load_dwordx2 s[4:5], s[0:1], 0x38
	;; [unrolled: 1-line block ×3, first 2 shown]
	s_mov_b32 s11, 0
	v_mov_b32_e32 v9, 0
	s_waitcnt lgkmcnt(0)
	s_lshr_b32 s22, s14, 10
	s_cmp_lg_u32 s10, s22
	s_cselect_b64 s[18:19], -1, 0
	s_lshl_b64 s[20:21], s[10:11], 2
	s_add_u32 s4, s4, s20
	s_addc_u32 s5, s5, s21
	s_lshr_b32 s3, s15, 9
	s_and_b32 s3, s3, 0x7ffffe
	s_load_dwordx2 s[4:5], s[4:5], 0x0
	s_sub_i32 s3, 0, s3
	s_and_b32 s13, s10, s3
	s_lshl_b32 s21, s13, 10
	s_lshl_b32 s16, s10, 10
	s_lshl_b32 s13, s13, 11
	s_sub_i32 s20, s16, s21
	s_add_i32 s13, s13, s15
	s_add_i32 s23, s13, s20
	s_waitcnt lgkmcnt(0)
	s_sub_i32 s20, s23, s4
	s_sub_i32 s23, s23, s5
	;; [unrolled: 1-line block ×3, first 2 shown]
	s_min_u32 s20, s14, s20
	s_addk_i32 s23, 0x400
	s_or_b32 s3, s10, s3
	s_min_u32 s21, s14, s13
	s_add_i32 s13, s13, s15
	s_cmp_eq_u32 s3, -1
	s_cselect_b32 s3, s13, s23
	s_cselect_b32 s5, s21, s5
	s_min_u32 s3, s3, s14
	s_sub_i32 s15, s5, s4
	s_mov_b32 s5, s11
	s_sub_i32 s13, s3, s20
	s_lshl_b64 s[4:5], s[4:5], 2
	s_add_u32 s4, s6, s4
	s_mov_b32 s21, s11
	s_addc_u32 s5, s7, s5
	s_lshl_b64 s[20:21], s[20:21], 2
	s_add_u32 s6, s6, s20
	s_addc_u32 s7, s7, s21
	s_cmp_lt_u32 s2, s12
	s_cselect_b32 s2, 12, 18
	global_load_dword v1, v9, s[8:9] offset:14
	s_add_u32 s2, s8, s2
	s_addc_u32 s3, s9, 0
	global_load_ushort v2, v9, s[2:3]
	s_cmp_eq_u32 s10, s22
	v_lshlrev_b32_e32 v10, 2, v0
	s_waitcnt vmcnt(1)
	v_lshrrev_b32_e32 v3, 16, v1
	v_and_b32_e32 v1, 0xffff, v1
	v_mul_lo_u32 v1, v1, v3
	s_waitcnt vmcnt(0)
	v_mul_lo_u32 v1, v1, v2
	v_add_u32_e32 v14, v1, v0
	v_add_u32_e32 v12, v14, v1
	s_cbranch_scc1 .LBB1060_3
; %bb.2:
	v_subrev_u32_e32 v8, s15, v0
	v_mov_b32_e32 v11, v9
	v_lshl_add_u64 v[2:3], v[8:9], 2, s[6:7]
	v_lshl_add_u64 v[4:5], s[4:5], 0, v[10:11]
	v_cmp_gt_u32_e32 vcc, s15, v0
	v_subrev_u32_e32 v8, s15, v14
	v_mov_b32_e32 v15, v9
	v_cndmask_b32_e32 v3, v3, v5, vcc
	v_cndmask_b32_e32 v2, v2, v4, vcc
	v_lshl_add_u64 v[4:5], v[8:9], 2, s[6:7]
	v_lshl_add_u64 v[6:7], v[14:15], 2, s[4:5]
	v_cmp_gt_u32_e32 vcc, s15, v14
	v_subrev_u32_e32 v8, s15, v12
	v_mov_b32_e32 v13, v9
	v_cndmask_b32_e32 v5, v5, v7, vcc
	v_cndmask_b32_e32 v4, v4, v6, vcc
	global_load_dword v2, v[2:3], off
	v_lshl_add_u64 v[6:7], v[12:13], 2, s[4:5]
	global_load_dword v3, v[4:5], off
	v_lshl_add_u64 v[4:5], v[8:9], 2, s[6:7]
	v_cmp_gt_u32_e32 vcc, s15, v12
	s_add_i32 s10, s13, s15
	s_nop 0
	v_cndmask_b32_e32 v4, v4, v6, vcc
	v_add_u32_e32 v6, v12, v1
	v_cndmask_b32_e32 v5, v5, v7, vcc
	v_subrev_u32_e32 v8, s15, v6
	v_mov_b32_e32 v7, v9
	v_lshl_add_u64 v[16:17], v[8:9], 2, s[6:7]
	v_lshl_add_u64 v[18:19], v[6:7], 2, s[4:5]
	v_cmp_gt_u32_e32 vcc, s15, v6
	global_load_dword v4, v[4:5], off
	s_mov_b64 s[2:3], -1
	v_cndmask_b32_e32 v17, v17, v19, vcc
	v_cndmask_b32_e32 v16, v16, v18, vcc
	global_load_dword v5, v[16:17], off
	v_add_u32_e32 v16, v6, v1
	v_mov_b32_e32 v17, v9
	v_subrev_u32_e32 v8, s15, v16
	v_lshl_add_u64 v[18:19], v[16:17], 2, s[4:5]
	v_cmp_gt_u32_e32 vcc, s15, v16
	v_add_u32_e32 v16, v16, v1
	v_lshl_add_u64 v[6:7], v[8:9], 2, s[6:7]
	v_subrev_u32_e32 v8, s15, v16
	v_cndmask_b32_e32 v7, v7, v19, vcc
	v_cndmask_b32_e32 v6, v6, v18, vcc
	v_lshl_add_u64 v[18:19], v[8:9], 2, s[6:7]
	v_lshl_add_u64 v[20:21], v[16:17], 2, s[4:5]
	v_cmp_gt_u32_e32 vcc, s15, v16
	v_add_u32_e32 v16, v16, v1
	v_subrev_u32_e32 v8, s15, v16
	v_cndmask_b32_e32 v19, v19, v21, vcc
	v_cndmask_b32_e32 v18, v18, v20, vcc
	global_load_dword v6, v[6:7], off
	v_cmp_gt_u32_e32 vcc, s15, v16
	global_load_dword v7, v[18:19], off
	v_lshl_add_u64 v[18:19], v[8:9], 2, s[6:7]
	v_lshl_add_u64 v[8:9], v[16:17], 2, s[4:5]
	v_cndmask_b32_e32 v9, v19, v9, vcc
	v_cndmask_b32_e32 v8, v18, v8, vcc
	global_load_dword v8, v[8:9], off
	v_add_u32_e32 v16, v16, v1
	s_cbranch_execz .LBB1060_4
	s_branch .LBB1060_17
.LBB1060_3:
	s_mov_b64 s[2:3], 0
                                        ; implicit-def: $vgpr16
                                        ; implicit-def: $vgpr2_vgpr3_vgpr4_vgpr5_vgpr6_vgpr7_vgpr8_vgpr9
                                        ; implicit-def: $sgpr10
.LBB1060_4:
	s_add_i32 s10, s13, s15
	v_cmp_gt_u32_e32 vcc, s10, v0
                                        ; implicit-def: $vgpr2_vgpr3_vgpr4_vgpr5_vgpr6_vgpr7_vgpr8_vgpr9
	s_and_saveexec_b64 s[2:3], vcc
	s_cbranch_execnz .LBB1060_44
; %bb.5:
	s_or_b64 exec, exec, s[2:3]
	v_cmp_gt_u32_e32 vcc, s10, v14
	s_and_saveexec_b64 s[2:3], vcc
	s_cbranch_execnz .LBB1060_45
.LBB1060_6:
	s_or_b64 exec, exec, s[2:3]
	v_cmp_gt_u32_e32 vcc, s10, v12
	s_and_saveexec_b64 s[2:3], vcc
	s_cbranch_execz .LBB1060_8
.LBB1060_7:
	v_mov_b32_e32 v13, 0
	v_subrev_u32_e32 v16, s15, v12
	v_mov_b32_e32 v17, v13
	v_lshl_add_u64 v[14:15], v[12:13], 2, s[4:5]
	v_lshl_add_u64 v[16:17], v[16:17], 2, s[6:7]
	v_cmp_gt_u32_e32 vcc, s15, v12
	s_nop 1
	v_cndmask_b32_e32 v15, v17, v15, vcc
	v_cndmask_b32_e32 v14, v16, v14, vcc
	global_load_dword v4, v[14:15], off
.LBB1060_8:
	s_or_b64 exec, exec, s[2:3]
	v_add_u32_e32 v12, v12, v1
	v_cmp_gt_u32_e32 vcc, s10, v12
	s_and_saveexec_b64 s[2:3], vcc
	s_cbranch_execz .LBB1060_10
; %bb.9:
	v_mov_b32_e32 v13, 0
	v_subrev_u32_e32 v16, s15, v12
	v_mov_b32_e32 v17, v13
	v_lshl_add_u64 v[14:15], v[12:13], 2, s[4:5]
	v_lshl_add_u64 v[16:17], v[16:17], 2, s[6:7]
	v_cmp_gt_u32_e32 vcc, s15, v12
	s_nop 1
	v_cndmask_b32_e32 v15, v17, v15, vcc
	v_cndmask_b32_e32 v14, v16, v14, vcc
	global_load_dword v5, v[14:15], off
.LBB1060_10:
	s_or_b64 exec, exec, s[2:3]
	v_add_u32_e32 v12, v12, v1
	v_cmp_gt_u32_e32 vcc, s10, v12
	s_and_saveexec_b64 s[2:3], vcc
	s_cbranch_execz .LBB1060_12
; %bb.11:
	v_mov_b32_e32 v13, 0
	v_subrev_u32_e32 v16, s15, v12
	v_mov_b32_e32 v17, v13
	v_lshl_add_u64 v[14:15], v[12:13], 2, s[4:5]
	v_lshl_add_u64 v[16:17], v[16:17], 2, s[6:7]
	v_cmp_gt_u32_e32 vcc, s15, v12
	s_nop 1
	v_cndmask_b32_e32 v15, v17, v15, vcc
	v_cndmask_b32_e32 v14, v16, v14, vcc
	global_load_dword v6, v[14:15], off
.LBB1060_12:
	;; [unrolled: 17-line block ×4, first 2 shown]
	s_or_b64 exec, exec, s[2:3]
	v_add_u32_e32 v16, v12, v1
	v_cmp_gt_u32_e64 s[2:3], s10, v16
.LBB1060_17:
	v_mov_b32_e32 v11, s10
	s_and_saveexec_b64 s[8:9], s[2:3]
	s_cbranch_execz .LBB1060_19
; %bb.18:
	v_mov_b32_e32 v13, 0
	v_subrev_u32_e32 v12, s15, v16
	v_mov_b32_e32 v17, v13
	v_lshl_add_u64 v[14:15], v[12:13], 2, s[6:7]
	v_lshl_add_u64 v[12:13], v[16:17], 2, s[4:5]
	v_cmp_gt_u32_e32 vcc, s15, v16
	v_mov_b32_e32 v11, s10
	s_nop 0
	v_cndmask_b32_e32 v13, v15, v13, vcc
	v_cndmask_b32_e32 v12, v14, v12, vcc
	global_load_dword v9, v[12:13], off
.LBB1060_19:
	s_or_b64 exec, exec, s[8:9]
	s_load_dwordx2 s[20:21], s[0:1], 0x10
	v_lshlrev_b32_e32 v1, 3, v0
	v_min_u32_e32 v13, v11, v1
	v_sub_u32_e64 v12, v13, s13 clamp
	v_min_u32_e32 v14, s15, v13
	v_cmp_lt_u32_e32 vcc, v12, v14
	s_waitcnt vmcnt(0)
	ds_write2st64_b32 v10, v2, v3 offset1:2
	ds_write2st64_b32 v10, v4, v5 offset0:4 offset1:6
	ds_write2st64_b32 v10, v6, v7 offset0:8 offset1:10
	;; [unrolled: 1-line block ×3, first 2 shown]
	s_waitcnt lgkmcnt(0)
	s_barrier
	s_and_saveexec_b64 s[0:1], vcc
	s_cbranch_execz .LBB1060_23
; %bb.20:
	v_lshlrev_b32_e32 v15, 2, v13
	v_lshl_add_u32 v15, s15, 2, v15
	s_mov_b64 s[2:3], 0
.LBB1060_21:                            ; =>This Inner Loop Header: Depth=1
	v_add_u32_e32 v16, v14, v12
	v_lshrrev_b32_e32 v16, 1, v16
	v_not_b32_e32 v17, v16
	v_lshlrev_b32_e32 v18, 2, v16
	v_lshl_add_u32 v17, v17, 2, v15
	ds_read_b32 v18, v18
	ds_read_b32 v17, v17
	v_add_u32_e32 v19, 1, v16
	s_waitcnt lgkmcnt(1)
	v_and_b32_e32 v18, s17, v18
	s_waitcnt lgkmcnt(0)
	v_and_b32_e32 v17, s17, v17
	v_cmp_gt_u32_e32 vcc, v18, v17
	s_nop 1
	v_cndmask_b32_e32 v14, v14, v16, vcc
	v_cndmask_b32_e32 v12, v19, v12, vcc
	v_cmp_ge_u32_e32 vcc, v12, v14
	s_or_b64 s[2:3], vcc, s[2:3]
	s_andn2_b64 exec, exec, s[2:3]
	s_cbranch_execnz .LBB1060_21
; %bb.22:
	s_or_b64 exec, exec, s[2:3]
.LBB1060_23:
	s_or_b64 exec, exec, s[0:1]
	v_sub_u32_e32 v13, v13, v12
	v_add_u32_e32 v13, s15, v13
	v_cmp_ge_u32_e32 vcc, s15, v12
	v_cmp_le_u32_e64 s[0:1], v13, v11
	s_or_b64 s[0:1], vcc, s[0:1]
	s_and_saveexec_b64 s[22:23], s[0:1]
	s_cbranch_execz .LBB1060_29
; %bb.24:
	v_cmp_gt_u32_e32 vcc, s15, v12
                                        ; implicit-def: $vgpr2
	s_and_saveexec_b64 s[0:1], vcc
	s_cbranch_execz .LBB1060_26
; %bb.25:
	v_lshlrev_b32_e32 v2, 2, v12
	ds_read_b32 v2, v2
.LBB1060_26:
	s_or_b64 exec, exec, s[0:1]
	v_cmp_ge_u32_e64 s[0:1], v13, v11
	v_cmp_lt_u32_e64 s[2:3], v13, v11
                                        ; implicit-def: $vgpr3
	s_and_saveexec_b64 s[4:5], s[2:3]
	s_cbranch_execz .LBB1060_28
; %bb.27:
	v_lshlrev_b32_e32 v3, 2, v13
	ds_read_b32 v3, v3
.LBB1060_28:
	s_or_b64 exec, exec, s[4:5]
	s_waitcnt lgkmcnt(0)
	v_and_b32_e32 v4, s17, v3
	v_and_b32_e32 v5, s17, v2
	v_cmp_le_u32_e64 s[2:3], v5, v4
	s_and_b64 s[2:3], vcc, s[2:3]
	s_or_b64 vcc, s[0:1], s[2:3]
	v_mov_b32_e32 v5, s15
	v_cndmask_b32_e32 v4, v13, v12, vcc
	v_cndmask_b32_e32 v6, v11, v5, vcc
	v_add_u32_e32 v4, 1, v4
	v_add_u32_e32 v6, -1, v6
	v_min_u32_e32 v6, v4, v6
	v_lshlrev_b32_e32 v6, 2, v6
	ds_read_b32 v6, v6
	v_cndmask_b32_e32 v8, v4, v13, vcc
	v_cndmask_b32_e32 v4, v12, v4, vcc
	v_cmp_gt_u32_e64 s[2:3], s15, v4
	v_cmp_ge_u32_e64 s[0:1], v8, v11
	s_waitcnt lgkmcnt(0)
	v_cndmask_b32_e32 v7, v6, v3, vcc
	v_cndmask_b32_e32 v6, v2, v6, vcc
	v_and_b32_e32 v9, s17, v7
	v_and_b32_e32 v12, s17, v6
	v_cmp_le_u32_e64 s[4:5], v12, v9
	s_and_b64 s[2:3], s[2:3], s[4:5]
	s_or_b64 s[0:1], s[0:1], s[2:3]
	v_cndmask_b32_e64 v9, v8, v4, s[0:1]
	v_cndmask_b32_e64 v12, v11, v5, s[0:1]
	v_add_u32_e32 v9, 1, v9
	v_add_u32_e32 v12, -1, v12
	v_min_u32_e32 v12, v9, v12
	v_lshlrev_b32_e32 v12, 2, v12
	ds_read_b32 v12, v12
	v_cndmask_b32_e64 v8, v9, v8, s[0:1]
	v_cndmask_b32_e64 v4, v4, v9, s[0:1]
	v_cmp_gt_u32_e64 s[4:5], s15, v4
	v_cmp_ge_u32_e64 s[2:3], v8, v11
	s_waitcnt lgkmcnt(0)
	v_cndmask_b32_e64 v13, v12, v7, s[0:1]
	v_cndmask_b32_e64 v12, v6, v12, s[0:1]
	v_and_b32_e32 v9, s17, v13
	v_and_b32_e32 v14, s17, v12
	v_cmp_le_u32_e64 s[6:7], v14, v9
	s_and_b64 s[4:5], s[4:5], s[6:7]
	s_or_b64 s[2:3], s[2:3], s[4:5]
	v_cndmask_b32_e64 v9, v8, v4, s[2:3]
	v_cndmask_b32_e64 v14, v11, v5, s[2:3]
	v_add_u32_e32 v9, 1, v9
	v_add_u32_e32 v14, -1, v14
	v_min_u32_e32 v14, v9, v14
	v_lshlrev_b32_e32 v14, 2, v14
	ds_read_b32 v14, v14
	v_cndmask_b32_e64 v8, v9, v8, s[2:3]
	v_cndmask_b32_e64 v4, v4, v9, s[2:3]
	v_cmp_gt_u32_e64 s[6:7], s15, v4
	v_cmp_ge_u32_e64 s[4:5], v8, v11
	s_waitcnt lgkmcnt(0)
	v_cndmask_b32_e64 v15, v14, v13, s[2:3]
	v_cndmask_b32_e64 v14, v12, v14, s[2:3]
	;; [unrolled: 19-line block ×4, first 2 shown]
	v_and_b32_e32 v4, s17, v19
	v_and_b32_e32 v20, s17, v18
	v_cmp_le_u32_e64 s[12:13], v20, v4
	s_and_b64 s[10:11], s[10:11], s[12:13]
	s_or_b64 s[8:9], s[8:9], s[10:11]
	v_cndmask_b32_e64 v4, v8, v9, s[8:9]
	v_cndmask_b32_e64 v20, v11, v5, s[8:9]
	v_add_u32_e32 v21, 1, v4
	v_add_u32_e32 v4, -1, v20
	v_min_u32_e32 v4, v21, v4
	v_lshlrev_b32_e32 v4, 2, v4
	ds_read_b32 v20, v4
	v_cndmask_b32_e64 v4, v13, v12, s[2:3]
	v_cndmask_b32_e32 v2, v3, v2, vcc
	v_cndmask_b32_e64 v3, v7, v6, s[0:1]
	v_cndmask_b32_e64 v9, v9, v21, s[8:9]
	s_waitcnt lgkmcnt(0)
	v_cndmask_b32_e64 v12, v20, v19, s[8:9]
	v_cndmask_b32_e64 v13, v18, v20, s[8:9]
	v_and_b32_e32 v6, s17, v12
	v_and_b32_e32 v7, s17, v13
	v_cndmask_b32_e64 v20, v21, v8, s[8:9]
	v_cmp_gt_u32_e64 s[0:1], s15, v9
	v_cmp_le_u32_e64 s[2:3], v7, v6
	v_cmp_ge_u32_e32 vcc, v20, v11
	s_and_b64 s[0:1], s[0:1], s[2:3]
	s_or_b64 vcc, vcc, s[0:1]
	v_cndmask_b32_e32 v6, v20, v9, vcc
	v_cndmask_b32_e32 v5, v11, v5, vcc
	v_add_u32_e32 v21, 1, v6
	v_add_u32_e32 v5, -1, v5
	v_min_u32_e32 v5, v21, v5
	v_lshlrev_b32_e32 v5, 2, v5
	ds_read_b32 v22, v5
	v_cndmask_b32_e64 v5, v15, v14, s[4:5]
	v_cndmask_b32_e32 v8, v12, v13, vcc
	v_cndmask_b32_e32 v14, v21, v20, vcc
	;; [unrolled: 1-line block ×3, first 2 shown]
	s_waitcnt lgkmcnt(0)
	v_cndmask_b32_e32 v12, v22, v12, vcc
	v_cndmask_b32_e32 v13, v13, v22, vcc
	v_cmp_ge_u32_e32 vcc, v14, v11
	v_cmp_gt_u32_e64 s[0:1], s15, v9
	v_and_b32_e32 v9, s17, v12
	v_and_b32_e32 v11, s17, v13
	v_cmp_le_u32_e64 s[2:3], v11, v9
	s_and_b64 s[0:1], s[0:1], s[2:3]
	s_or_b64 vcc, vcc, s[0:1]
	v_cndmask_b32_e64 v6, v17, v16, s[6:7]
	v_cndmask_b32_e64 v7, v19, v18, s[8:9]
	v_cndmask_b32_e32 v9, v12, v13, vcc
.LBB1060_29:
	s_or_b64 exec, exec, s[22:23]
	v_and_b32_e32 v11, 0x7c, v0
	v_lshl_add_u32 v1, v1, 2, v11
	s_barrier
	s_barrier
	ds_write2_b32 v1, v2, v3 offset1:1
	ds_write2_b32 v1, v4, v5 offset0:2 offset1:3
	ds_write2_b32 v1, v6, v7 offset0:4 offset1:5
	;; [unrolled: 1-line block ×3, first 2 shown]
	v_lshrrev_b32_e32 v1, 3, v0
	v_and_b32_e32 v1, 12, v1
	v_or_b32_e32 v12, 0x80, v0
	v_add_u32_e32 v13, v10, v1
	v_lshrrev_b32_e32 v1, 3, v12
	v_and_b32_e32 v1, 28, v1
	v_or_b32_e32 v9, 0x100, v0
	v_add_u32_e32 v14, v10, v1
	;; [unrolled: 4-line block ×6, first 2 shown]
	v_lshrrev_b32_e32 v1, 3, v4
	s_mov_b32 s17, 0
	v_and_b32_e32 v1, 0x6c, v1
	s_lshl_b64 s[0:1], s[16:17], 2
	v_add_u32_e32 v19, v10, v1
	v_or_b32_e32 v1, 0x380, v0
	s_add_u32 s0, s20, s0
	v_lshrrev_b32_e32 v2, 3, v1
	s_addc_u32 s1, s21, s1
	v_and_b32_e32 v2, 0x7c, v2
	v_mov_b32_e32 v11, 0
	v_add_u32_e32 v20, v10, v2
	v_lshl_add_u64 v[2:3], s[0:1], 0, v[10:11]
	s_and_b64 vcc, exec, s[18:19]
	s_waitcnt lgkmcnt(0)
	s_cbranch_vccz .LBB1060_31
; %bb.30:
	s_barrier
	ds_read_b32 v10, v13
	ds_read_b32 v11, v14 offset:512
	ds_read_b32 v21, v15 offset:1024
	;; [unrolled: 1-line block ×7, first 2 shown]
	s_waitcnt lgkmcnt(7)
	global_store_dword v[2:3], v10, off
	s_waitcnt lgkmcnt(6)
	global_store_dword v[2:3], v11, off offset:512
	s_waitcnt lgkmcnt(5)
	global_store_dword v[2:3], v21, off offset:1024
	;; [unrolled: 2-line block ×6, first 2 shown]
	s_mov_b64 s[0:1], -1
	s_cbranch_execz .LBB1060_32
	s_branch .LBB1060_41
.LBB1060_31:
	s_mov_b64 s[0:1], 0
                                        ; implicit-def: $vgpr7
.LBB1060_32:
	s_barrier
	s_waitcnt lgkmcnt(0)
	ds_read_b32 v22, v14 offset:512
	ds_read_b32 v21, v15 offset:1024
	;; [unrolled: 1-line block ×7, first 2 shown]
	s_sub_i32 s2, s14, s16
	v_cmp_gt_u32_e32 vcc, s2, v0
	s_and_saveexec_b64 s[0:1], vcc
	s_cbranch_execnz .LBB1060_46
; %bb.33:
	s_or_b64 exec, exec, s[0:1]
	v_cmp_gt_u32_e32 vcc, s2, v12
	s_and_saveexec_b64 s[0:1], vcc
	s_cbranch_execnz .LBB1060_47
.LBB1060_34:
	s_or_b64 exec, exec, s[0:1]
	v_cmp_gt_u32_e32 vcc, s2, v9
	s_and_saveexec_b64 s[0:1], vcc
	s_cbranch_execnz .LBB1060_48
.LBB1060_35:
	s_or_b64 exec, exec, s[0:1]
	v_cmp_gt_u32_e32 vcc, s2, v8
	s_and_saveexec_b64 s[0:1], vcc
	s_cbranch_execnz .LBB1060_49
.LBB1060_36:
	s_or_b64 exec, exec, s[0:1]
	v_cmp_gt_u32_e32 vcc, s2, v6
	s_and_saveexec_b64 s[0:1], vcc
	s_cbranch_execnz .LBB1060_50
.LBB1060_37:
	s_or_b64 exec, exec, s[0:1]
	v_cmp_gt_u32_e32 vcc, s2, v5
	s_and_saveexec_b64 s[0:1], vcc
	s_cbranch_execnz .LBB1060_51
.LBB1060_38:
	s_or_b64 exec, exec, s[0:1]
	v_cmp_gt_u32_e32 vcc, s2, v4
	s_and_saveexec_b64 s[0:1], vcc
	s_cbranch_execz .LBB1060_40
.LBB1060_39:
	s_waitcnt lgkmcnt(1)
	global_store_dword v[2:3], v10, off offset:3072
.LBB1060_40:
	s_or_b64 exec, exec, s[0:1]
	v_cmp_gt_u32_e64 s[0:1], s2, v1
.LBB1060_41:
	s_and_saveexec_b64 s[2:3], s[0:1]
	s_cbranch_execz .LBB1060_43
; %bb.42:
	s_waitcnt lgkmcnt(0)
	global_store_dword v[2:3], v7, off offset:3584
.LBB1060_43:
	s_endpgm
.LBB1060_44:
	v_mov_b32_e32 v11, 0
	s_waitcnt vmcnt(4)
	v_subrev_u32_e32 v4, s15, v0
	s_waitcnt vmcnt(3)
	v_mov_b32_e32 v5, v11
	v_lshl_add_u64 v[2:3], s[4:5], 0, v[10:11]
	v_lshl_add_u64 v[4:5], v[4:5], 2, s[6:7]
	v_cmp_gt_u32_e32 vcc, s15, v0
	s_nop 1
	v_cndmask_b32_e32 v3, v5, v3, vcc
	v_cndmask_b32_e32 v2, v4, v2, vcc
	global_load_dword v2, v[2:3], off
	s_or_b64 exec, exec, s[2:3]
	v_cmp_gt_u32_e32 vcc, s10, v14
	s_and_saveexec_b64 s[2:3], vcc
	s_cbranch_execz .LBB1060_6
.LBB1060_45:
	v_mov_b32_e32 v15, 0
	v_lshl_add_u64 v[16:17], v[14:15], 2, s[4:5]
	v_cmp_gt_u32_e32 vcc, s15, v14
	v_subrev_u32_e32 v14, s15, v14
	v_lshl_add_u64 v[14:15], v[14:15], 2, s[6:7]
	v_cndmask_b32_e32 v15, v15, v17, vcc
	v_cndmask_b32_e32 v14, v14, v16, vcc
	global_load_dword v3, v[14:15], off
	s_or_b64 exec, exec, s[2:3]
	v_cmp_gt_u32_e32 vcc, s10, v12
	s_and_saveexec_b64 s[2:3], vcc
	s_cbranch_execnz .LBB1060_7
	s_branch .LBB1060_8
.LBB1060_46:
	ds_read_b32 v0, v13
	s_waitcnt lgkmcnt(0)
	global_store_dword v[2:3], v0, off
	s_or_b64 exec, exec, s[0:1]
	v_cmp_gt_u32_e32 vcc, s2, v12
	s_and_saveexec_b64 s[0:1], vcc
	s_cbranch_execz .LBB1060_34
.LBB1060_47:
	s_waitcnt lgkmcnt(6)
	global_store_dword v[2:3], v22, off offset:512
	s_or_b64 exec, exec, s[0:1]
	v_cmp_gt_u32_e32 vcc, s2, v9
	s_and_saveexec_b64 s[0:1], vcc
	s_cbranch_execz .LBB1060_35
.LBB1060_48:
	s_waitcnt lgkmcnt(5)
	global_store_dword v[2:3], v21, off offset:1024
	s_or_b64 exec, exec, s[0:1]
	v_cmp_gt_u32_e32 vcc, s2, v8
	s_and_saveexec_b64 s[0:1], vcc
	s_cbranch_execz .LBB1060_36
.LBB1060_49:
	s_waitcnt lgkmcnt(4)
	global_store_dword v[2:3], v15, off offset:1536
	s_or_b64 exec, exec, s[0:1]
	v_cmp_gt_u32_e32 vcc, s2, v6
	s_and_saveexec_b64 s[0:1], vcc
	s_cbranch_execz .LBB1060_37
.LBB1060_50:
	s_waitcnt lgkmcnt(3)
	global_store_dword v[2:3], v14, off offset:2048
	s_or_b64 exec, exec, s[0:1]
	v_cmp_gt_u32_e32 vcc, s2, v5
	s_and_saveexec_b64 s[0:1], vcc
	s_cbranch_execz .LBB1060_38
.LBB1060_51:
	s_waitcnt lgkmcnt(2)
	global_store_dword v[2:3], v11, off offset:2560
	s_or_b64 exec, exec, s[0:1]
	v_cmp_gt_u32_e32 vcc, s2, v4
	s_and_saveexec_b64 s[0:1], vcc
	s_cbranch_execnz .LBB1060_39
	s_branch .LBB1060_40
	.section	.rodata,"a",@progbits
	.p2align	6, 0x0
	.amdhsa_kernel _ZN7rocprim17ROCPRIM_400000_NS6detail17trampoline_kernelINS0_14default_configENS1_38merge_sort_block_merge_config_selectorIjNS0_10empty_typeEEEZZNS1_27merge_sort_block_merge_implIS3_N6thrust23THRUST_200600_302600_NS6detail15normal_iteratorINS9_10device_ptrIjEEEEPS5_jNS1_19radix_merge_compareILb0ELb1EjNS0_19identity_decomposerEEEEE10hipError_tT0_T1_T2_jT3_P12ihipStream_tbPNSt15iterator_traitsISK_E10value_typeEPNSQ_ISL_E10value_typeEPSM_NS1_7vsmem_tEENKUlT_SK_SL_SM_E_clISE_PjSF_SF_EESJ_SZ_SK_SL_SM_EUlSZ_E0_NS1_11comp_targetILNS1_3genE5ELNS1_11target_archE942ELNS1_3gpuE9ELNS1_3repE0EEENS1_38merge_mergepath_config_static_selectorELNS0_4arch9wavefront6targetE1EEEvSL_
		.amdhsa_group_segment_fixed_size 4224
		.amdhsa_private_segment_fixed_size 0
		.amdhsa_kernarg_size 320
		.amdhsa_user_sgpr_count 2
		.amdhsa_user_sgpr_dispatch_ptr 0
		.amdhsa_user_sgpr_queue_ptr 0
		.amdhsa_user_sgpr_kernarg_segment_ptr 1
		.amdhsa_user_sgpr_dispatch_id 0
		.amdhsa_user_sgpr_kernarg_preload_length 0
		.amdhsa_user_sgpr_kernarg_preload_offset 0
		.amdhsa_user_sgpr_private_segment_size 0
		.amdhsa_uses_dynamic_stack 0
		.amdhsa_enable_private_segment 0
		.amdhsa_system_sgpr_workgroup_id_x 1
		.amdhsa_system_sgpr_workgroup_id_y 1
		.amdhsa_system_sgpr_workgroup_id_z 1
		.amdhsa_system_sgpr_workgroup_info 0
		.amdhsa_system_vgpr_workitem_id 0
		.amdhsa_next_free_vgpr 26
		.amdhsa_next_free_sgpr 24
		.amdhsa_accum_offset 28
		.amdhsa_reserve_vcc 1
		.amdhsa_float_round_mode_32 0
		.amdhsa_float_round_mode_16_64 0
		.amdhsa_float_denorm_mode_32 3
		.amdhsa_float_denorm_mode_16_64 3
		.amdhsa_dx10_clamp 1
		.amdhsa_ieee_mode 1
		.amdhsa_fp16_overflow 0
		.amdhsa_tg_split 0
		.amdhsa_exception_fp_ieee_invalid_op 0
		.amdhsa_exception_fp_denorm_src 0
		.amdhsa_exception_fp_ieee_div_zero 0
		.amdhsa_exception_fp_ieee_overflow 0
		.amdhsa_exception_fp_ieee_underflow 0
		.amdhsa_exception_fp_ieee_inexact 0
		.amdhsa_exception_int_div_zero 0
	.end_amdhsa_kernel
	.section	.text._ZN7rocprim17ROCPRIM_400000_NS6detail17trampoline_kernelINS0_14default_configENS1_38merge_sort_block_merge_config_selectorIjNS0_10empty_typeEEEZZNS1_27merge_sort_block_merge_implIS3_N6thrust23THRUST_200600_302600_NS6detail15normal_iteratorINS9_10device_ptrIjEEEEPS5_jNS1_19radix_merge_compareILb0ELb1EjNS0_19identity_decomposerEEEEE10hipError_tT0_T1_T2_jT3_P12ihipStream_tbPNSt15iterator_traitsISK_E10value_typeEPNSQ_ISL_E10value_typeEPSM_NS1_7vsmem_tEENKUlT_SK_SL_SM_E_clISE_PjSF_SF_EESJ_SZ_SK_SL_SM_EUlSZ_E0_NS1_11comp_targetILNS1_3genE5ELNS1_11target_archE942ELNS1_3gpuE9ELNS1_3repE0EEENS1_38merge_mergepath_config_static_selectorELNS0_4arch9wavefront6targetE1EEEvSL_,"axG",@progbits,_ZN7rocprim17ROCPRIM_400000_NS6detail17trampoline_kernelINS0_14default_configENS1_38merge_sort_block_merge_config_selectorIjNS0_10empty_typeEEEZZNS1_27merge_sort_block_merge_implIS3_N6thrust23THRUST_200600_302600_NS6detail15normal_iteratorINS9_10device_ptrIjEEEEPS5_jNS1_19radix_merge_compareILb0ELb1EjNS0_19identity_decomposerEEEEE10hipError_tT0_T1_T2_jT3_P12ihipStream_tbPNSt15iterator_traitsISK_E10value_typeEPNSQ_ISL_E10value_typeEPSM_NS1_7vsmem_tEENKUlT_SK_SL_SM_E_clISE_PjSF_SF_EESJ_SZ_SK_SL_SM_EUlSZ_E0_NS1_11comp_targetILNS1_3genE5ELNS1_11target_archE942ELNS1_3gpuE9ELNS1_3repE0EEENS1_38merge_mergepath_config_static_selectorELNS0_4arch9wavefront6targetE1EEEvSL_,comdat
.Lfunc_end1060:
	.size	_ZN7rocprim17ROCPRIM_400000_NS6detail17trampoline_kernelINS0_14default_configENS1_38merge_sort_block_merge_config_selectorIjNS0_10empty_typeEEEZZNS1_27merge_sort_block_merge_implIS3_N6thrust23THRUST_200600_302600_NS6detail15normal_iteratorINS9_10device_ptrIjEEEEPS5_jNS1_19radix_merge_compareILb0ELb1EjNS0_19identity_decomposerEEEEE10hipError_tT0_T1_T2_jT3_P12ihipStream_tbPNSt15iterator_traitsISK_E10value_typeEPNSQ_ISL_E10value_typeEPSM_NS1_7vsmem_tEENKUlT_SK_SL_SM_E_clISE_PjSF_SF_EESJ_SZ_SK_SL_SM_EUlSZ_E0_NS1_11comp_targetILNS1_3genE5ELNS1_11target_archE942ELNS1_3gpuE9ELNS1_3repE0EEENS1_38merge_mergepath_config_static_selectorELNS0_4arch9wavefront6targetE1EEEvSL_, .Lfunc_end1060-_ZN7rocprim17ROCPRIM_400000_NS6detail17trampoline_kernelINS0_14default_configENS1_38merge_sort_block_merge_config_selectorIjNS0_10empty_typeEEEZZNS1_27merge_sort_block_merge_implIS3_N6thrust23THRUST_200600_302600_NS6detail15normal_iteratorINS9_10device_ptrIjEEEEPS5_jNS1_19radix_merge_compareILb0ELb1EjNS0_19identity_decomposerEEEEE10hipError_tT0_T1_T2_jT3_P12ihipStream_tbPNSt15iterator_traitsISK_E10value_typeEPNSQ_ISL_E10value_typeEPSM_NS1_7vsmem_tEENKUlT_SK_SL_SM_E_clISE_PjSF_SF_EESJ_SZ_SK_SL_SM_EUlSZ_E0_NS1_11comp_targetILNS1_3genE5ELNS1_11target_archE942ELNS1_3gpuE9ELNS1_3repE0EEENS1_38merge_mergepath_config_static_selectorELNS0_4arch9wavefront6targetE1EEEvSL_
                                        ; -- End function
	.section	.AMDGPU.csdata,"",@progbits
; Kernel info:
; codeLenInByte = 3284
; NumSgprs: 30
; NumVgprs: 26
; NumAgprs: 0
; TotalNumVgprs: 26
; ScratchSize: 0
; MemoryBound: 0
; FloatMode: 240
; IeeeMode: 1
; LDSByteSize: 4224 bytes/workgroup (compile time only)
; SGPRBlocks: 3
; VGPRBlocks: 3
; NumSGPRsForWavesPerEU: 30
; NumVGPRsForWavesPerEU: 26
; AccumOffset: 28
; Occupancy: 8
; WaveLimiterHint : 1
; COMPUTE_PGM_RSRC2:SCRATCH_EN: 0
; COMPUTE_PGM_RSRC2:USER_SGPR: 2
; COMPUTE_PGM_RSRC2:TRAP_HANDLER: 0
; COMPUTE_PGM_RSRC2:TGID_X_EN: 1
; COMPUTE_PGM_RSRC2:TGID_Y_EN: 1
; COMPUTE_PGM_RSRC2:TGID_Z_EN: 1
; COMPUTE_PGM_RSRC2:TIDIG_COMP_CNT: 0
; COMPUTE_PGM_RSRC3_GFX90A:ACCUM_OFFSET: 6
; COMPUTE_PGM_RSRC3_GFX90A:TG_SPLIT: 0
	.section	.text._ZN7rocprim17ROCPRIM_400000_NS6detail17trampoline_kernelINS0_14default_configENS1_38merge_sort_block_merge_config_selectorIjNS0_10empty_typeEEEZZNS1_27merge_sort_block_merge_implIS3_N6thrust23THRUST_200600_302600_NS6detail15normal_iteratorINS9_10device_ptrIjEEEEPS5_jNS1_19radix_merge_compareILb0ELb1EjNS0_19identity_decomposerEEEEE10hipError_tT0_T1_T2_jT3_P12ihipStream_tbPNSt15iterator_traitsISK_E10value_typeEPNSQ_ISL_E10value_typeEPSM_NS1_7vsmem_tEENKUlT_SK_SL_SM_E_clISE_PjSF_SF_EESJ_SZ_SK_SL_SM_EUlSZ_E0_NS1_11comp_targetILNS1_3genE4ELNS1_11target_archE910ELNS1_3gpuE8ELNS1_3repE0EEENS1_38merge_mergepath_config_static_selectorELNS0_4arch9wavefront6targetE1EEEvSL_,"axG",@progbits,_ZN7rocprim17ROCPRIM_400000_NS6detail17trampoline_kernelINS0_14default_configENS1_38merge_sort_block_merge_config_selectorIjNS0_10empty_typeEEEZZNS1_27merge_sort_block_merge_implIS3_N6thrust23THRUST_200600_302600_NS6detail15normal_iteratorINS9_10device_ptrIjEEEEPS5_jNS1_19radix_merge_compareILb0ELb1EjNS0_19identity_decomposerEEEEE10hipError_tT0_T1_T2_jT3_P12ihipStream_tbPNSt15iterator_traitsISK_E10value_typeEPNSQ_ISL_E10value_typeEPSM_NS1_7vsmem_tEENKUlT_SK_SL_SM_E_clISE_PjSF_SF_EESJ_SZ_SK_SL_SM_EUlSZ_E0_NS1_11comp_targetILNS1_3genE4ELNS1_11target_archE910ELNS1_3gpuE8ELNS1_3repE0EEENS1_38merge_mergepath_config_static_selectorELNS0_4arch9wavefront6targetE1EEEvSL_,comdat
	.protected	_ZN7rocprim17ROCPRIM_400000_NS6detail17trampoline_kernelINS0_14default_configENS1_38merge_sort_block_merge_config_selectorIjNS0_10empty_typeEEEZZNS1_27merge_sort_block_merge_implIS3_N6thrust23THRUST_200600_302600_NS6detail15normal_iteratorINS9_10device_ptrIjEEEEPS5_jNS1_19radix_merge_compareILb0ELb1EjNS0_19identity_decomposerEEEEE10hipError_tT0_T1_T2_jT3_P12ihipStream_tbPNSt15iterator_traitsISK_E10value_typeEPNSQ_ISL_E10value_typeEPSM_NS1_7vsmem_tEENKUlT_SK_SL_SM_E_clISE_PjSF_SF_EESJ_SZ_SK_SL_SM_EUlSZ_E0_NS1_11comp_targetILNS1_3genE4ELNS1_11target_archE910ELNS1_3gpuE8ELNS1_3repE0EEENS1_38merge_mergepath_config_static_selectorELNS0_4arch9wavefront6targetE1EEEvSL_ ; -- Begin function _ZN7rocprim17ROCPRIM_400000_NS6detail17trampoline_kernelINS0_14default_configENS1_38merge_sort_block_merge_config_selectorIjNS0_10empty_typeEEEZZNS1_27merge_sort_block_merge_implIS3_N6thrust23THRUST_200600_302600_NS6detail15normal_iteratorINS9_10device_ptrIjEEEEPS5_jNS1_19radix_merge_compareILb0ELb1EjNS0_19identity_decomposerEEEEE10hipError_tT0_T1_T2_jT3_P12ihipStream_tbPNSt15iterator_traitsISK_E10value_typeEPNSQ_ISL_E10value_typeEPSM_NS1_7vsmem_tEENKUlT_SK_SL_SM_E_clISE_PjSF_SF_EESJ_SZ_SK_SL_SM_EUlSZ_E0_NS1_11comp_targetILNS1_3genE4ELNS1_11target_archE910ELNS1_3gpuE8ELNS1_3repE0EEENS1_38merge_mergepath_config_static_selectorELNS0_4arch9wavefront6targetE1EEEvSL_
	.globl	_ZN7rocprim17ROCPRIM_400000_NS6detail17trampoline_kernelINS0_14default_configENS1_38merge_sort_block_merge_config_selectorIjNS0_10empty_typeEEEZZNS1_27merge_sort_block_merge_implIS3_N6thrust23THRUST_200600_302600_NS6detail15normal_iteratorINS9_10device_ptrIjEEEEPS5_jNS1_19radix_merge_compareILb0ELb1EjNS0_19identity_decomposerEEEEE10hipError_tT0_T1_T2_jT3_P12ihipStream_tbPNSt15iterator_traitsISK_E10value_typeEPNSQ_ISL_E10value_typeEPSM_NS1_7vsmem_tEENKUlT_SK_SL_SM_E_clISE_PjSF_SF_EESJ_SZ_SK_SL_SM_EUlSZ_E0_NS1_11comp_targetILNS1_3genE4ELNS1_11target_archE910ELNS1_3gpuE8ELNS1_3repE0EEENS1_38merge_mergepath_config_static_selectorELNS0_4arch9wavefront6targetE1EEEvSL_
	.p2align	8
	.type	_ZN7rocprim17ROCPRIM_400000_NS6detail17trampoline_kernelINS0_14default_configENS1_38merge_sort_block_merge_config_selectorIjNS0_10empty_typeEEEZZNS1_27merge_sort_block_merge_implIS3_N6thrust23THRUST_200600_302600_NS6detail15normal_iteratorINS9_10device_ptrIjEEEEPS5_jNS1_19radix_merge_compareILb0ELb1EjNS0_19identity_decomposerEEEEE10hipError_tT0_T1_T2_jT3_P12ihipStream_tbPNSt15iterator_traitsISK_E10value_typeEPNSQ_ISL_E10value_typeEPSM_NS1_7vsmem_tEENKUlT_SK_SL_SM_E_clISE_PjSF_SF_EESJ_SZ_SK_SL_SM_EUlSZ_E0_NS1_11comp_targetILNS1_3genE4ELNS1_11target_archE910ELNS1_3gpuE8ELNS1_3repE0EEENS1_38merge_mergepath_config_static_selectorELNS0_4arch9wavefront6targetE1EEEvSL_,@function
_ZN7rocprim17ROCPRIM_400000_NS6detail17trampoline_kernelINS0_14default_configENS1_38merge_sort_block_merge_config_selectorIjNS0_10empty_typeEEEZZNS1_27merge_sort_block_merge_implIS3_N6thrust23THRUST_200600_302600_NS6detail15normal_iteratorINS9_10device_ptrIjEEEEPS5_jNS1_19radix_merge_compareILb0ELb1EjNS0_19identity_decomposerEEEEE10hipError_tT0_T1_T2_jT3_P12ihipStream_tbPNSt15iterator_traitsISK_E10value_typeEPNSQ_ISL_E10value_typeEPSM_NS1_7vsmem_tEENKUlT_SK_SL_SM_E_clISE_PjSF_SF_EESJ_SZ_SK_SL_SM_EUlSZ_E0_NS1_11comp_targetILNS1_3genE4ELNS1_11target_archE910ELNS1_3gpuE8ELNS1_3repE0EEENS1_38merge_mergepath_config_static_selectorELNS0_4arch9wavefront6targetE1EEEvSL_: ; @_ZN7rocprim17ROCPRIM_400000_NS6detail17trampoline_kernelINS0_14default_configENS1_38merge_sort_block_merge_config_selectorIjNS0_10empty_typeEEEZZNS1_27merge_sort_block_merge_implIS3_N6thrust23THRUST_200600_302600_NS6detail15normal_iteratorINS9_10device_ptrIjEEEEPS5_jNS1_19radix_merge_compareILb0ELb1EjNS0_19identity_decomposerEEEEE10hipError_tT0_T1_T2_jT3_P12ihipStream_tbPNSt15iterator_traitsISK_E10value_typeEPNSQ_ISL_E10value_typeEPSM_NS1_7vsmem_tEENKUlT_SK_SL_SM_E_clISE_PjSF_SF_EESJ_SZ_SK_SL_SM_EUlSZ_E0_NS1_11comp_targetILNS1_3genE4ELNS1_11target_archE910ELNS1_3gpuE8ELNS1_3repE0EEENS1_38merge_mergepath_config_static_selectorELNS0_4arch9wavefront6targetE1EEEvSL_
; %bb.0:
	.section	.rodata,"a",@progbits
	.p2align	6, 0x0
	.amdhsa_kernel _ZN7rocprim17ROCPRIM_400000_NS6detail17trampoline_kernelINS0_14default_configENS1_38merge_sort_block_merge_config_selectorIjNS0_10empty_typeEEEZZNS1_27merge_sort_block_merge_implIS3_N6thrust23THRUST_200600_302600_NS6detail15normal_iteratorINS9_10device_ptrIjEEEEPS5_jNS1_19radix_merge_compareILb0ELb1EjNS0_19identity_decomposerEEEEE10hipError_tT0_T1_T2_jT3_P12ihipStream_tbPNSt15iterator_traitsISK_E10value_typeEPNSQ_ISL_E10value_typeEPSM_NS1_7vsmem_tEENKUlT_SK_SL_SM_E_clISE_PjSF_SF_EESJ_SZ_SK_SL_SM_EUlSZ_E0_NS1_11comp_targetILNS1_3genE4ELNS1_11target_archE910ELNS1_3gpuE8ELNS1_3repE0EEENS1_38merge_mergepath_config_static_selectorELNS0_4arch9wavefront6targetE1EEEvSL_
		.amdhsa_group_segment_fixed_size 0
		.amdhsa_private_segment_fixed_size 0
		.amdhsa_kernarg_size 64
		.amdhsa_user_sgpr_count 2
		.amdhsa_user_sgpr_dispatch_ptr 0
		.amdhsa_user_sgpr_queue_ptr 0
		.amdhsa_user_sgpr_kernarg_segment_ptr 1
		.amdhsa_user_sgpr_dispatch_id 0
		.amdhsa_user_sgpr_kernarg_preload_length 0
		.amdhsa_user_sgpr_kernarg_preload_offset 0
		.amdhsa_user_sgpr_private_segment_size 0
		.amdhsa_uses_dynamic_stack 0
		.amdhsa_enable_private_segment 0
		.amdhsa_system_sgpr_workgroup_id_x 1
		.amdhsa_system_sgpr_workgroup_id_y 0
		.amdhsa_system_sgpr_workgroup_id_z 0
		.amdhsa_system_sgpr_workgroup_info 0
		.amdhsa_system_vgpr_workitem_id 0
		.amdhsa_next_free_vgpr 1
		.amdhsa_next_free_sgpr 0
		.amdhsa_accum_offset 4
		.amdhsa_reserve_vcc 0
		.amdhsa_float_round_mode_32 0
		.amdhsa_float_round_mode_16_64 0
		.amdhsa_float_denorm_mode_32 3
		.amdhsa_float_denorm_mode_16_64 3
		.amdhsa_dx10_clamp 1
		.amdhsa_ieee_mode 1
		.amdhsa_fp16_overflow 0
		.amdhsa_tg_split 0
		.amdhsa_exception_fp_ieee_invalid_op 0
		.amdhsa_exception_fp_denorm_src 0
		.amdhsa_exception_fp_ieee_div_zero 0
		.amdhsa_exception_fp_ieee_overflow 0
		.amdhsa_exception_fp_ieee_underflow 0
		.amdhsa_exception_fp_ieee_inexact 0
		.amdhsa_exception_int_div_zero 0
	.end_amdhsa_kernel
	.section	.text._ZN7rocprim17ROCPRIM_400000_NS6detail17trampoline_kernelINS0_14default_configENS1_38merge_sort_block_merge_config_selectorIjNS0_10empty_typeEEEZZNS1_27merge_sort_block_merge_implIS3_N6thrust23THRUST_200600_302600_NS6detail15normal_iteratorINS9_10device_ptrIjEEEEPS5_jNS1_19radix_merge_compareILb0ELb1EjNS0_19identity_decomposerEEEEE10hipError_tT0_T1_T2_jT3_P12ihipStream_tbPNSt15iterator_traitsISK_E10value_typeEPNSQ_ISL_E10value_typeEPSM_NS1_7vsmem_tEENKUlT_SK_SL_SM_E_clISE_PjSF_SF_EESJ_SZ_SK_SL_SM_EUlSZ_E0_NS1_11comp_targetILNS1_3genE4ELNS1_11target_archE910ELNS1_3gpuE8ELNS1_3repE0EEENS1_38merge_mergepath_config_static_selectorELNS0_4arch9wavefront6targetE1EEEvSL_,"axG",@progbits,_ZN7rocprim17ROCPRIM_400000_NS6detail17trampoline_kernelINS0_14default_configENS1_38merge_sort_block_merge_config_selectorIjNS0_10empty_typeEEEZZNS1_27merge_sort_block_merge_implIS3_N6thrust23THRUST_200600_302600_NS6detail15normal_iteratorINS9_10device_ptrIjEEEEPS5_jNS1_19radix_merge_compareILb0ELb1EjNS0_19identity_decomposerEEEEE10hipError_tT0_T1_T2_jT3_P12ihipStream_tbPNSt15iterator_traitsISK_E10value_typeEPNSQ_ISL_E10value_typeEPSM_NS1_7vsmem_tEENKUlT_SK_SL_SM_E_clISE_PjSF_SF_EESJ_SZ_SK_SL_SM_EUlSZ_E0_NS1_11comp_targetILNS1_3genE4ELNS1_11target_archE910ELNS1_3gpuE8ELNS1_3repE0EEENS1_38merge_mergepath_config_static_selectorELNS0_4arch9wavefront6targetE1EEEvSL_,comdat
.Lfunc_end1061:
	.size	_ZN7rocprim17ROCPRIM_400000_NS6detail17trampoline_kernelINS0_14default_configENS1_38merge_sort_block_merge_config_selectorIjNS0_10empty_typeEEEZZNS1_27merge_sort_block_merge_implIS3_N6thrust23THRUST_200600_302600_NS6detail15normal_iteratorINS9_10device_ptrIjEEEEPS5_jNS1_19radix_merge_compareILb0ELb1EjNS0_19identity_decomposerEEEEE10hipError_tT0_T1_T2_jT3_P12ihipStream_tbPNSt15iterator_traitsISK_E10value_typeEPNSQ_ISL_E10value_typeEPSM_NS1_7vsmem_tEENKUlT_SK_SL_SM_E_clISE_PjSF_SF_EESJ_SZ_SK_SL_SM_EUlSZ_E0_NS1_11comp_targetILNS1_3genE4ELNS1_11target_archE910ELNS1_3gpuE8ELNS1_3repE0EEENS1_38merge_mergepath_config_static_selectorELNS0_4arch9wavefront6targetE1EEEvSL_, .Lfunc_end1061-_ZN7rocprim17ROCPRIM_400000_NS6detail17trampoline_kernelINS0_14default_configENS1_38merge_sort_block_merge_config_selectorIjNS0_10empty_typeEEEZZNS1_27merge_sort_block_merge_implIS3_N6thrust23THRUST_200600_302600_NS6detail15normal_iteratorINS9_10device_ptrIjEEEEPS5_jNS1_19radix_merge_compareILb0ELb1EjNS0_19identity_decomposerEEEEE10hipError_tT0_T1_T2_jT3_P12ihipStream_tbPNSt15iterator_traitsISK_E10value_typeEPNSQ_ISL_E10value_typeEPSM_NS1_7vsmem_tEENKUlT_SK_SL_SM_E_clISE_PjSF_SF_EESJ_SZ_SK_SL_SM_EUlSZ_E0_NS1_11comp_targetILNS1_3genE4ELNS1_11target_archE910ELNS1_3gpuE8ELNS1_3repE0EEENS1_38merge_mergepath_config_static_selectorELNS0_4arch9wavefront6targetE1EEEvSL_
                                        ; -- End function
	.section	.AMDGPU.csdata,"",@progbits
; Kernel info:
; codeLenInByte = 0
; NumSgprs: 6
; NumVgprs: 0
; NumAgprs: 0
; TotalNumVgprs: 0
; ScratchSize: 0
; MemoryBound: 0
; FloatMode: 240
; IeeeMode: 1
; LDSByteSize: 0 bytes/workgroup (compile time only)
; SGPRBlocks: 0
; VGPRBlocks: 0
; NumSGPRsForWavesPerEU: 6
; NumVGPRsForWavesPerEU: 1
; AccumOffset: 4
; Occupancy: 8
; WaveLimiterHint : 0
; COMPUTE_PGM_RSRC2:SCRATCH_EN: 0
; COMPUTE_PGM_RSRC2:USER_SGPR: 2
; COMPUTE_PGM_RSRC2:TRAP_HANDLER: 0
; COMPUTE_PGM_RSRC2:TGID_X_EN: 1
; COMPUTE_PGM_RSRC2:TGID_Y_EN: 0
; COMPUTE_PGM_RSRC2:TGID_Z_EN: 0
; COMPUTE_PGM_RSRC2:TIDIG_COMP_CNT: 0
; COMPUTE_PGM_RSRC3_GFX90A:ACCUM_OFFSET: 0
; COMPUTE_PGM_RSRC3_GFX90A:TG_SPLIT: 0
	.section	.text._ZN7rocprim17ROCPRIM_400000_NS6detail17trampoline_kernelINS0_14default_configENS1_38merge_sort_block_merge_config_selectorIjNS0_10empty_typeEEEZZNS1_27merge_sort_block_merge_implIS3_N6thrust23THRUST_200600_302600_NS6detail15normal_iteratorINS9_10device_ptrIjEEEEPS5_jNS1_19radix_merge_compareILb0ELb1EjNS0_19identity_decomposerEEEEE10hipError_tT0_T1_T2_jT3_P12ihipStream_tbPNSt15iterator_traitsISK_E10value_typeEPNSQ_ISL_E10value_typeEPSM_NS1_7vsmem_tEENKUlT_SK_SL_SM_E_clISE_PjSF_SF_EESJ_SZ_SK_SL_SM_EUlSZ_E0_NS1_11comp_targetILNS1_3genE3ELNS1_11target_archE908ELNS1_3gpuE7ELNS1_3repE0EEENS1_38merge_mergepath_config_static_selectorELNS0_4arch9wavefront6targetE1EEEvSL_,"axG",@progbits,_ZN7rocprim17ROCPRIM_400000_NS6detail17trampoline_kernelINS0_14default_configENS1_38merge_sort_block_merge_config_selectorIjNS0_10empty_typeEEEZZNS1_27merge_sort_block_merge_implIS3_N6thrust23THRUST_200600_302600_NS6detail15normal_iteratorINS9_10device_ptrIjEEEEPS5_jNS1_19radix_merge_compareILb0ELb1EjNS0_19identity_decomposerEEEEE10hipError_tT0_T1_T2_jT3_P12ihipStream_tbPNSt15iterator_traitsISK_E10value_typeEPNSQ_ISL_E10value_typeEPSM_NS1_7vsmem_tEENKUlT_SK_SL_SM_E_clISE_PjSF_SF_EESJ_SZ_SK_SL_SM_EUlSZ_E0_NS1_11comp_targetILNS1_3genE3ELNS1_11target_archE908ELNS1_3gpuE7ELNS1_3repE0EEENS1_38merge_mergepath_config_static_selectorELNS0_4arch9wavefront6targetE1EEEvSL_,comdat
	.protected	_ZN7rocprim17ROCPRIM_400000_NS6detail17trampoline_kernelINS0_14default_configENS1_38merge_sort_block_merge_config_selectorIjNS0_10empty_typeEEEZZNS1_27merge_sort_block_merge_implIS3_N6thrust23THRUST_200600_302600_NS6detail15normal_iteratorINS9_10device_ptrIjEEEEPS5_jNS1_19radix_merge_compareILb0ELb1EjNS0_19identity_decomposerEEEEE10hipError_tT0_T1_T2_jT3_P12ihipStream_tbPNSt15iterator_traitsISK_E10value_typeEPNSQ_ISL_E10value_typeEPSM_NS1_7vsmem_tEENKUlT_SK_SL_SM_E_clISE_PjSF_SF_EESJ_SZ_SK_SL_SM_EUlSZ_E0_NS1_11comp_targetILNS1_3genE3ELNS1_11target_archE908ELNS1_3gpuE7ELNS1_3repE0EEENS1_38merge_mergepath_config_static_selectorELNS0_4arch9wavefront6targetE1EEEvSL_ ; -- Begin function _ZN7rocprim17ROCPRIM_400000_NS6detail17trampoline_kernelINS0_14default_configENS1_38merge_sort_block_merge_config_selectorIjNS0_10empty_typeEEEZZNS1_27merge_sort_block_merge_implIS3_N6thrust23THRUST_200600_302600_NS6detail15normal_iteratorINS9_10device_ptrIjEEEEPS5_jNS1_19radix_merge_compareILb0ELb1EjNS0_19identity_decomposerEEEEE10hipError_tT0_T1_T2_jT3_P12ihipStream_tbPNSt15iterator_traitsISK_E10value_typeEPNSQ_ISL_E10value_typeEPSM_NS1_7vsmem_tEENKUlT_SK_SL_SM_E_clISE_PjSF_SF_EESJ_SZ_SK_SL_SM_EUlSZ_E0_NS1_11comp_targetILNS1_3genE3ELNS1_11target_archE908ELNS1_3gpuE7ELNS1_3repE0EEENS1_38merge_mergepath_config_static_selectorELNS0_4arch9wavefront6targetE1EEEvSL_
	.globl	_ZN7rocprim17ROCPRIM_400000_NS6detail17trampoline_kernelINS0_14default_configENS1_38merge_sort_block_merge_config_selectorIjNS0_10empty_typeEEEZZNS1_27merge_sort_block_merge_implIS3_N6thrust23THRUST_200600_302600_NS6detail15normal_iteratorINS9_10device_ptrIjEEEEPS5_jNS1_19radix_merge_compareILb0ELb1EjNS0_19identity_decomposerEEEEE10hipError_tT0_T1_T2_jT3_P12ihipStream_tbPNSt15iterator_traitsISK_E10value_typeEPNSQ_ISL_E10value_typeEPSM_NS1_7vsmem_tEENKUlT_SK_SL_SM_E_clISE_PjSF_SF_EESJ_SZ_SK_SL_SM_EUlSZ_E0_NS1_11comp_targetILNS1_3genE3ELNS1_11target_archE908ELNS1_3gpuE7ELNS1_3repE0EEENS1_38merge_mergepath_config_static_selectorELNS0_4arch9wavefront6targetE1EEEvSL_
	.p2align	8
	.type	_ZN7rocprim17ROCPRIM_400000_NS6detail17trampoline_kernelINS0_14default_configENS1_38merge_sort_block_merge_config_selectorIjNS0_10empty_typeEEEZZNS1_27merge_sort_block_merge_implIS3_N6thrust23THRUST_200600_302600_NS6detail15normal_iteratorINS9_10device_ptrIjEEEEPS5_jNS1_19radix_merge_compareILb0ELb1EjNS0_19identity_decomposerEEEEE10hipError_tT0_T1_T2_jT3_P12ihipStream_tbPNSt15iterator_traitsISK_E10value_typeEPNSQ_ISL_E10value_typeEPSM_NS1_7vsmem_tEENKUlT_SK_SL_SM_E_clISE_PjSF_SF_EESJ_SZ_SK_SL_SM_EUlSZ_E0_NS1_11comp_targetILNS1_3genE3ELNS1_11target_archE908ELNS1_3gpuE7ELNS1_3repE0EEENS1_38merge_mergepath_config_static_selectorELNS0_4arch9wavefront6targetE1EEEvSL_,@function
_ZN7rocprim17ROCPRIM_400000_NS6detail17trampoline_kernelINS0_14default_configENS1_38merge_sort_block_merge_config_selectorIjNS0_10empty_typeEEEZZNS1_27merge_sort_block_merge_implIS3_N6thrust23THRUST_200600_302600_NS6detail15normal_iteratorINS9_10device_ptrIjEEEEPS5_jNS1_19radix_merge_compareILb0ELb1EjNS0_19identity_decomposerEEEEE10hipError_tT0_T1_T2_jT3_P12ihipStream_tbPNSt15iterator_traitsISK_E10value_typeEPNSQ_ISL_E10value_typeEPSM_NS1_7vsmem_tEENKUlT_SK_SL_SM_E_clISE_PjSF_SF_EESJ_SZ_SK_SL_SM_EUlSZ_E0_NS1_11comp_targetILNS1_3genE3ELNS1_11target_archE908ELNS1_3gpuE7ELNS1_3repE0EEENS1_38merge_mergepath_config_static_selectorELNS0_4arch9wavefront6targetE1EEEvSL_: ; @_ZN7rocprim17ROCPRIM_400000_NS6detail17trampoline_kernelINS0_14default_configENS1_38merge_sort_block_merge_config_selectorIjNS0_10empty_typeEEEZZNS1_27merge_sort_block_merge_implIS3_N6thrust23THRUST_200600_302600_NS6detail15normal_iteratorINS9_10device_ptrIjEEEEPS5_jNS1_19radix_merge_compareILb0ELb1EjNS0_19identity_decomposerEEEEE10hipError_tT0_T1_T2_jT3_P12ihipStream_tbPNSt15iterator_traitsISK_E10value_typeEPNSQ_ISL_E10value_typeEPSM_NS1_7vsmem_tEENKUlT_SK_SL_SM_E_clISE_PjSF_SF_EESJ_SZ_SK_SL_SM_EUlSZ_E0_NS1_11comp_targetILNS1_3genE3ELNS1_11target_archE908ELNS1_3gpuE7ELNS1_3repE0EEENS1_38merge_mergepath_config_static_selectorELNS0_4arch9wavefront6targetE1EEEvSL_
; %bb.0:
	.section	.rodata,"a",@progbits
	.p2align	6, 0x0
	.amdhsa_kernel _ZN7rocprim17ROCPRIM_400000_NS6detail17trampoline_kernelINS0_14default_configENS1_38merge_sort_block_merge_config_selectorIjNS0_10empty_typeEEEZZNS1_27merge_sort_block_merge_implIS3_N6thrust23THRUST_200600_302600_NS6detail15normal_iteratorINS9_10device_ptrIjEEEEPS5_jNS1_19radix_merge_compareILb0ELb1EjNS0_19identity_decomposerEEEEE10hipError_tT0_T1_T2_jT3_P12ihipStream_tbPNSt15iterator_traitsISK_E10value_typeEPNSQ_ISL_E10value_typeEPSM_NS1_7vsmem_tEENKUlT_SK_SL_SM_E_clISE_PjSF_SF_EESJ_SZ_SK_SL_SM_EUlSZ_E0_NS1_11comp_targetILNS1_3genE3ELNS1_11target_archE908ELNS1_3gpuE7ELNS1_3repE0EEENS1_38merge_mergepath_config_static_selectorELNS0_4arch9wavefront6targetE1EEEvSL_
		.amdhsa_group_segment_fixed_size 0
		.amdhsa_private_segment_fixed_size 0
		.amdhsa_kernarg_size 64
		.amdhsa_user_sgpr_count 2
		.amdhsa_user_sgpr_dispatch_ptr 0
		.amdhsa_user_sgpr_queue_ptr 0
		.amdhsa_user_sgpr_kernarg_segment_ptr 1
		.amdhsa_user_sgpr_dispatch_id 0
		.amdhsa_user_sgpr_kernarg_preload_length 0
		.amdhsa_user_sgpr_kernarg_preload_offset 0
		.amdhsa_user_sgpr_private_segment_size 0
		.amdhsa_uses_dynamic_stack 0
		.amdhsa_enable_private_segment 0
		.amdhsa_system_sgpr_workgroup_id_x 1
		.amdhsa_system_sgpr_workgroup_id_y 0
		.amdhsa_system_sgpr_workgroup_id_z 0
		.amdhsa_system_sgpr_workgroup_info 0
		.amdhsa_system_vgpr_workitem_id 0
		.amdhsa_next_free_vgpr 1
		.amdhsa_next_free_sgpr 0
		.amdhsa_accum_offset 4
		.amdhsa_reserve_vcc 0
		.amdhsa_float_round_mode_32 0
		.amdhsa_float_round_mode_16_64 0
		.amdhsa_float_denorm_mode_32 3
		.amdhsa_float_denorm_mode_16_64 3
		.amdhsa_dx10_clamp 1
		.amdhsa_ieee_mode 1
		.amdhsa_fp16_overflow 0
		.amdhsa_tg_split 0
		.amdhsa_exception_fp_ieee_invalid_op 0
		.amdhsa_exception_fp_denorm_src 0
		.amdhsa_exception_fp_ieee_div_zero 0
		.amdhsa_exception_fp_ieee_overflow 0
		.amdhsa_exception_fp_ieee_underflow 0
		.amdhsa_exception_fp_ieee_inexact 0
		.amdhsa_exception_int_div_zero 0
	.end_amdhsa_kernel
	.section	.text._ZN7rocprim17ROCPRIM_400000_NS6detail17trampoline_kernelINS0_14default_configENS1_38merge_sort_block_merge_config_selectorIjNS0_10empty_typeEEEZZNS1_27merge_sort_block_merge_implIS3_N6thrust23THRUST_200600_302600_NS6detail15normal_iteratorINS9_10device_ptrIjEEEEPS5_jNS1_19radix_merge_compareILb0ELb1EjNS0_19identity_decomposerEEEEE10hipError_tT0_T1_T2_jT3_P12ihipStream_tbPNSt15iterator_traitsISK_E10value_typeEPNSQ_ISL_E10value_typeEPSM_NS1_7vsmem_tEENKUlT_SK_SL_SM_E_clISE_PjSF_SF_EESJ_SZ_SK_SL_SM_EUlSZ_E0_NS1_11comp_targetILNS1_3genE3ELNS1_11target_archE908ELNS1_3gpuE7ELNS1_3repE0EEENS1_38merge_mergepath_config_static_selectorELNS0_4arch9wavefront6targetE1EEEvSL_,"axG",@progbits,_ZN7rocprim17ROCPRIM_400000_NS6detail17trampoline_kernelINS0_14default_configENS1_38merge_sort_block_merge_config_selectorIjNS0_10empty_typeEEEZZNS1_27merge_sort_block_merge_implIS3_N6thrust23THRUST_200600_302600_NS6detail15normal_iteratorINS9_10device_ptrIjEEEEPS5_jNS1_19radix_merge_compareILb0ELb1EjNS0_19identity_decomposerEEEEE10hipError_tT0_T1_T2_jT3_P12ihipStream_tbPNSt15iterator_traitsISK_E10value_typeEPNSQ_ISL_E10value_typeEPSM_NS1_7vsmem_tEENKUlT_SK_SL_SM_E_clISE_PjSF_SF_EESJ_SZ_SK_SL_SM_EUlSZ_E0_NS1_11comp_targetILNS1_3genE3ELNS1_11target_archE908ELNS1_3gpuE7ELNS1_3repE0EEENS1_38merge_mergepath_config_static_selectorELNS0_4arch9wavefront6targetE1EEEvSL_,comdat
.Lfunc_end1062:
	.size	_ZN7rocprim17ROCPRIM_400000_NS6detail17trampoline_kernelINS0_14default_configENS1_38merge_sort_block_merge_config_selectorIjNS0_10empty_typeEEEZZNS1_27merge_sort_block_merge_implIS3_N6thrust23THRUST_200600_302600_NS6detail15normal_iteratorINS9_10device_ptrIjEEEEPS5_jNS1_19radix_merge_compareILb0ELb1EjNS0_19identity_decomposerEEEEE10hipError_tT0_T1_T2_jT3_P12ihipStream_tbPNSt15iterator_traitsISK_E10value_typeEPNSQ_ISL_E10value_typeEPSM_NS1_7vsmem_tEENKUlT_SK_SL_SM_E_clISE_PjSF_SF_EESJ_SZ_SK_SL_SM_EUlSZ_E0_NS1_11comp_targetILNS1_3genE3ELNS1_11target_archE908ELNS1_3gpuE7ELNS1_3repE0EEENS1_38merge_mergepath_config_static_selectorELNS0_4arch9wavefront6targetE1EEEvSL_, .Lfunc_end1062-_ZN7rocprim17ROCPRIM_400000_NS6detail17trampoline_kernelINS0_14default_configENS1_38merge_sort_block_merge_config_selectorIjNS0_10empty_typeEEEZZNS1_27merge_sort_block_merge_implIS3_N6thrust23THRUST_200600_302600_NS6detail15normal_iteratorINS9_10device_ptrIjEEEEPS5_jNS1_19radix_merge_compareILb0ELb1EjNS0_19identity_decomposerEEEEE10hipError_tT0_T1_T2_jT3_P12ihipStream_tbPNSt15iterator_traitsISK_E10value_typeEPNSQ_ISL_E10value_typeEPSM_NS1_7vsmem_tEENKUlT_SK_SL_SM_E_clISE_PjSF_SF_EESJ_SZ_SK_SL_SM_EUlSZ_E0_NS1_11comp_targetILNS1_3genE3ELNS1_11target_archE908ELNS1_3gpuE7ELNS1_3repE0EEENS1_38merge_mergepath_config_static_selectorELNS0_4arch9wavefront6targetE1EEEvSL_
                                        ; -- End function
	.section	.AMDGPU.csdata,"",@progbits
; Kernel info:
; codeLenInByte = 0
; NumSgprs: 6
; NumVgprs: 0
; NumAgprs: 0
; TotalNumVgprs: 0
; ScratchSize: 0
; MemoryBound: 0
; FloatMode: 240
; IeeeMode: 1
; LDSByteSize: 0 bytes/workgroup (compile time only)
; SGPRBlocks: 0
; VGPRBlocks: 0
; NumSGPRsForWavesPerEU: 6
; NumVGPRsForWavesPerEU: 1
; AccumOffset: 4
; Occupancy: 8
; WaveLimiterHint : 0
; COMPUTE_PGM_RSRC2:SCRATCH_EN: 0
; COMPUTE_PGM_RSRC2:USER_SGPR: 2
; COMPUTE_PGM_RSRC2:TRAP_HANDLER: 0
; COMPUTE_PGM_RSRC2:TGID_X_EN: 1
; COMPUTE_PGM_RSRC2:TGID_Y_EN: 0
; COMPUTE_PGM_RSRC2:TGID_Z_EN: 0
; COMPUTE_PGM_RSRC2:TIDIG_COMP_CNT: 0
; COMPUTE_PGM_RSRC3_GFX90A:ACCUM_OFFSET: 0
; COMPUTE_PGM_RSRC3_GFX90A:TG_SPLIT: 0
	.section	.text._ZN7rocprim17ROCPRIM_400000_NS6detail17trampoline_kernelINS0_14default_configENS1_38merge_sort_block_merge_config_selectorIjNS0_10empty_typeEEEZZNS1_27merge_sort_block_merge_implIS3_N6thrust23THRUST_200600_302600_NS6detail15normal_iteratorINS9_10device_ptrIjEEEEPS5_jNS1_19radix_merge_compareILb0ELb1EjNS0_19identity_decomposerEEEEE10hipError_tT0_T1_T2_jT3_P12ihipStream_tbPNSt15iterator_traitsISK_E10value_typeEPNSQ_ISL_E10value_typeEPSM_NS1_7vsmem_tEENKUlT_SK_SL_SM_E_clISE_PjSF_SF_EESJ_SZ_SK_SL_SM_EUlSZ_E0_NS1_11comp_targetILNS1_3genE2ELNS1_11target_archE906ELNS1_3gpuE6ELNS1_3repE0EEENS1_38merge_mergepath_config_static_selectorELNS0_4arch9wavefront6targetE1EEEvSL_,"axG",@progbits,_ZN7rocprim17ROCPRIM_400000_NS6detail17trampoline_kernelINS0_14default_configENS1_38merge_sort_block_merge_config_selectorIjNS0_10empty_typeEEEZZNS1_27merge_sort_block_merge_implIS3_N6thrust23THRUST_200600_302600_NS6detail15normal_iteratorINS9_10device_ptrIjEEEEPS5_jNS1_19radix_merge_compareILb0ELb1EjNS0_19identity_decomposerEEEEE10hipError_tT0_T1_T2_jT3_P12ihipStream_tbPNSt15iterator_traitsISK_E10value_typeEPNSQ_ISL_E10value_typeEPSM_NS1_7vsmem_tEENKUlT_SK_SL_SM_E_clISE_PjSF_SF_EESJ_SZ_SK_SL_SM_EUlSZ_E0_NS1_11comp_targetILNS1_3genE2ELNS1_11target_archE906ELNS1_3gpuE6ELNS1_3repE0EEENS1_38merge_mergepath_config_static_selectorELNS0_4arch9wavefront6targetE1EEEvSL_,comdat
	.protected	_ZN7rocprim17ROCPRIM_400000_NS6detail17trampoline_kernelINS0_14default_configENS1_38merge_sort_block_merge_config_selectorIjNS0_10empty_typeEEEZZNS1_27merge_sort_block_merge_implIS3_N6thrust23THRUST_200600_302600_NS6detail15normal_iteratorINS9_10device_ptrIjEEEEPS5_jNS1_19radix_merge_compareILb0ELb1EjNS0_19identity_decomposerEEEEE10hipError_tT0_T1_T2_jT3_P12ihipStream_tbPNSt15iterator_traitsISK_E10value_typeEPNSQ_ISL_E10value_typeEPSM_NS1_7vsmem_tEENKUlT_SK_SL_SM_E_clISE_PjSF_SF_EESJ_SZ_SK_SL_SM_EUlSZ_E0_NS1_11comp_targetILNS1_3genE2ELNS1_11target_archE906ELNS1_3gpuE6ELNS1_3repE0EEENS1_38merge_mergepath_config_static_selectorELNS0_4arch9wavefront6targetE1EEEvSL_ ; -- Begin function _ZN7rocprim17ROCPRIM_400000_NS6detail17trampoline_kernelINS0_14default_configENS1_38merge_sort_block_merge_config_selectorIjNS0_10empty_typeEEEZZNS1_27merge_sort_block_merge_implIS3_N6thrust23THRUST_200600_302600_NS6detail15normal_iteratorINS9_10device_ptrIjEEEEPS5_jNS1_19radix_merge_compareILb0ELb1EjNS0_19identity_decomposerEEEEE10hipError_tT0_T1_T2_jT3_P12ihipStream_tbPNSt15iterator_traitsISK_E10value_typeEPNSQ_ISL_E10value_typeEPSM_NS1_7vsmem_tEENKUlT_SK_SL_SM_E_clISE_PjSF_SF_EESJ_SZ_SK_SL_SM_EUlSZ_E0_NS1_11comp_targetILNS1_3genE2ELNS1_11target_archE906ELNS1_3gpuE6ELNS1_3repE0EEENS1_38merge_mergepath_config_static_selectorELNS0_4arch9wavefront6targetE1EEEvSL_
	.globl	_ZN7rocprim17ROCPRIM_400000_NS6detail17trampoline_kernelINS0_14default_configENS1_38merge_sort_block_merge_config_selectorIjNS0_10empty_typeEEEZZNS1_27merge_sort_block_merge_implIS3_N6thrust23THRUST_200600_302600_NS6detail15normal_iteratorINS9_10device_ptrIjEEEEPS5_jNS1_19radix_merge_compareILb0ELb1EjNS0_19identity_decomposerEEEEE10hipError_tT0_T1_T2_jT3_P12ihipStream_tbPNSt15iterator_traitsISK_E10value_typeEPNSQ_ISL_E10value_typeEPSM_NS1_7vsmem_tEENKUlT_SK_SL_SM_E_clISE_PjSF_SF_EESJ_SZ_SK_SL_SM_EUlSZ_E0_NS1_11comp_targetILNS1_3genE2ELNS1_11target_archE906ELNS1_3gpuE6ELNS1_3repE0EEENS1_38merge_mergepath_config_static_selectorELNS0_4arch9wavefront6targetE1EEEvSL_
	.p2align	8
	.type	_ZN7rocprim17ROCPRIM_400000_NS6detail17trampoline_kernelINS0_14default_configENS1_38merge_sort_block_merge_config_selectorIjNS0_10empty_typeEEEZZNS1_27merge_sort_block_merge_implIS3_N6thrust23THRUST_200600_302600_NS6detail15normal_iteratorINS9_10device_ptrIjEEEEPS5_jNS1_19radix_merge_compareILb0ELb1EjNS0_19identity_decomposerEEEEE10hipError_tT0_T1_T2_jT3_P12ihipStream_tbPNSt15iterator_traitsISK_E10value_typeEPNSQ_ISL_E10value_typeEPSM_NS1_7vsmem_tEENKUlT_SK_SL_SM_E_clISE_PjSF_SF_EESJ_SZ_SK_SL_SM_EUlSZ_E0_NS1_11comp_targetILNS1_3genE2ELNS1_11target_archE906ELNS1_3gpuE6ELNS1_3repE0EEENS1_38merge_mergepath_config_static_selectorELNS0_4arch9wavefront6targetE1EEEvSL_,@function
_ZN7rocprim17ROCPRIM_400000_NS6detail17trampoline_kernelINS0_14default_configENS1_38merge_sort_block_merge_config_selectorIjNS0_10empty_typeEEEZZNS1_27merge_sort_block_merge_implIS3_N6thrust23THRUST_200600_302600_NS6detail15normal_iteratorINS9_10device_ptrIjEEEEPS5_jNS1_19radix_merge_compareILb0ELb1EjNS0_19identity_decomposerEEEEE10hipError_tT0_T1_T2_jT3_P12ihipStream_tbPNSt15iterator_traitsISK_E10value_typeEPNSQ_ISL_E10value_typeEPSM_NS1_7vsmem_tEENKUlT_SK_SL_SM_E_clISE_PjSF_SF_EESJ_SZ_SK_SL_SM_EUlSZ_E0_NS1_11comp_targetILNS1_3genE2ELNS1_11target_archE906ELNS1_3gpuE6ELNS1_3repE0EEENS1_38merge_mergepath_config_static_selectorELNS0_4arch9wavefront6targetE1EEEvSL_: ; @_ZN7rocprim17ROCPRIM_400000_NS6detail17trampoline_kernelINS0_14default_configENS1_38merge_sort_block_merge_config_selectorIjNS0_10empty_typeEEEZZNS1_27merge_sort_block_merge_implIS3_N6thrust23THRUST_200600_302600_NS6detail15normal_iteratorINS9_10device_ptrIjEEEEPS5_jNS1_19radix_merge_compareILb0ELb1EjNS0_19identity_decomposerEEEEE10hipError_tT0_T1_T2_jT3_P12ihipStream_tbPNSt15iterator_traitsISK_E10value_typeEPNSQ_ISL_E10value_typeEPSM_NS1_7vsmem_tEENKUlT_SK_SL_SM_E_clISE_PjSF_SF_EESJ_SZ_SK_SL_SM_EUlSZ_E0_NS1_11comp_targetILNS1_3genE2ELNS1_11target_archE906ELNS1_3gpuE6ELNS1_3repE0EEENS1_38merge_mergepath_config_static_selectorELNS0_4arch9wavefront6targetE1EEEvSL_
; %bb.0:
	.section	.rodata,"a",@progbits
	.p2align	6, 0x0
	.amdhsa_kernel _ZN7rocprim17ROCPRIM_400000_NS6detail17trampoline_kernelINS0_14default_configENS1_38merge_sort_block_merge_config_selectorIjNS0_10empty_typeEEEZZNS1_27merge_sort_block_merge_implIS3_N6thrust23THRUST_200600_302600_NS6detail15normal_iteratorINS9_10device_ptrIjEEEEPS5_jNS1_19radix_merge_compareILb0ELb1EjNS0_19identity_decomposerEEEEE10hipError_tT0_T1_T2_jT3_P12ihipStream_tbPNSt15iterator_traitsISK_E10value_typeEPNSQ_ISL_E10value_typeEPSM_NS1_7vsmem_tEENKUlT_SK_SL_SM_E_clISE_PjSF_SF_EESJ_SZ_SK_SL_SM_EUlSZ_E0_NS1_11comp_targetILNS1_3genE2ELNS1_11target_archE906ELNS1_3gpuE6ELNS1_3repE0EEENS1_38merge_mergepath_config_static_selectorELNS0_4arch9wavefront6targetE1EEEvSL_
		.amdhsa_group_segment_fixed_size 0
		.amdhsa_private_segment_fixed_size 0
		.amdhsa_kernarg_size 64
		.amdhsa_user_sgpr_count 2
		.amdhsa_user_sgpr_dispatch_ptr 0
		.amdhsa_user_sgpr_queue_ptr 0
		.amdhsa_user_sgpr_kernarg_segment_ptr 1
		.amdhsa_user_sgpr_dispatch_id 0
		.amdhsa_user_sgpr_kernarg_preload_length 0
		.amdhsa_user_sgpr_kernarg_preload_offset 0
		.amdhsa_user_sgpr_private_segment_size 0
		.amdhsa_uses_dynamic_stack 0
		.amdhsa_enable_private_segment 0
		.amdhsa_system_sgpr_workgroup_id_x 1
		.amdhsa_system_sgpr_workgroup_id_y 0
		.amdhsa_system_sgpr_workgroup_id_z 0
		.amdhsa_system_sgpr_workgroup_info 0
		.amdhsa_system_vgpr_workitem_id 0
		.amdhsa_next_free_vgpr 1
		.amdhsa_next_free_sgpr 0
		.amdhsa_accum_offset 4
		.amdhsa_reserve_vcc 0
		.amdhsa_float_round_mode_32 0
		.amdhsa_float_round_mode_16_64 0
		.amdhsa_float_denorm_mode_32 3
		.amdhsa_float_denorm_mode_16_64 3
		.amdhsa_dx10_clamp 1
		.amdhsa_ieee_mode 1
		.amdhsa_fp16_overflow 0
		.amdhsa_tg_split 0
		.amdhsa_exception_fp_ieee_invalid_op 0
		.amdhsa_exception_fp_denorm_src 0
		.amdhsa_exception_fp_ieee_div_zero 0
		.amdhsa_exception_fp_ieee_overflow 0
		.amdhsa_exception_fp_ieee_underflow 0
		.amdhsa_exception_fp_ieee_inexact 0
		.amdhsa_exception_int_div_zero 0
	.end_amdhsa_kernel
	.section	.text._ZN7rocprim17ROCPRIM_400000_NS6detail17trampoline_kernelINS0_14default_configENS1_38merge_sort_block_merge_config_selectorIjNS0_10empty_typeEEEZZNS1_27merge_sort_block_merge_implIS3_N6thrust23THRUST_200600_302600_NS6detail15normal_iteratorINS9_10device_ptrIjEEEEPS5_jNS1_19radix_merge_compareILb0ELb1EjNS0_19identity_decomposerEEEEE10hipError_tT0_T1_T2_jT3_P12ihipStream_tbPNSt15iterator_traitsISK_E10value_typeEPNSQ_ISL_E10value_typeEPSM_NS1_7vsmem_tEENKUlT_SK_SL_SM_E_clISE_PjSF_SF_EESJ_SZ_SK_SL_SM_EUlSZ_E0_NS1_11comp_targetILNS1_3genE2ELNS1_11target_archE906ELNS1_3gpuE6ELNS1_3repE0EEENS1_38merge_mergepath_config_static_selectorELNS0_4arch9wavefront6targetE1EEEvSL_,"axG",@progbits,_ZN7rocprim17ROCPRIM_400000_NS6detail17trampoline_kernelINS0_14default_configENS1_38merge_sort_block_merge_config_selectorIjNS0_10empty_typeEEEZZNS1_27merge_sort_block_merge_implIS3_N6thrust23THRUST_200600_302600_NS6detail15normal_iteratorINS9_10device_ptrIjEEEEPS5_jNS1_19radix_merge_compareILb0ELb1EjNS0_19identity_decomposerEEEEE10hipError_tT0_T1_T2_jT3_P12ihipStream_tbPNSt15iterator_traitsISK_E10value_typeEPNSQ_ISL_E10value_typeEPSM_NS1_7vsmem_tEENKUlT_SK_SL_SM_E_clISE_PjSF_SF_EESJ_SZ_SK_SL_SM_EUlSZ_E0_NS1_11comp_targetILNS1_3genE2ELNS1_11target_archE906ELNS1_3gpuE6ELNS1_3repE0EEENS1_38merge_mergepath_config_static_selectorELNS0_4arch9wavefront6targetE1EEEvSL_,comdat
.Lfunc_end1063:
	.size	_ZN7rocprim17ROCPRIM_400000_NS6detail17trampoline_kernelINS0_14default_configENS1_38merge_sort_block_merge_config_selectorIjNS0_10empty_typeEEEZZNS1_27merge_sort_block_merge_implIS3_N6thrust23THRUST_200600_302600_NS6detail15normal_iteratorINS9_10device_ptrIjEEEEPS5_jNS1_19radix_merge_compareILb0ELb1EjNS0_19identity_decomposerEEEEE10hipError_tT0_T1_T2_jT3_P12ihipStream_tbPNSt15iterator_traitsISK_E10value_typeEPNSQ_ISL_E10value_typeEPSM_NS1_7vsmem_tEENKUlT_SK_SL_SM_E_clISE_PjSF_SF_EESJ_SZ_SK_SL_SM_EUlSZ_E0_NS1_11comp_targetILNS1_3genE2ELNS1_11target_archE906ELNS1_3gpuE6ELNS1_3repE0EEENS1_38merge_mergepath_config_static_selectorELNS0_4arch9wavefront6targetE1EEEvSL_, .Lfunc_end1063-_ZN7rocprim17ROCPRIM_400000_NS6detail17trampoline_kernelINS0_14default_configENS1_38merge_sort_block_merge_config_selectorIjNS0_10empty_typeEEEZZNS1_27merge_sort_block_merge_implIS3_N6thrust23THRUST_200600_302600_NS6detail15normal_iteratorINS9_10device_ptrIjEEEEPS5_jNS1_19radix_merge_compareILb0ELb1EjNS0_19identity_decomposerEEEEE10hipError_tT0_T1_T2_jT3_P12ihipStream_tbPNSt15iterator_traitsISK_E10value_typeEPNSQ_ISL_E10value_typeEPSM_NS1_7vsmem_tEENKUlT_SK_SL_SM_E_clISE_PjSF_SF_EESJ_SZ_SK_SL_SM_EUlSZ_E0_NS1_11comp_targetILNS1_3genE2ELNS1_11target_archE906ELNS1_3gpuE6ELNS1_3repE0EEENS1_38merge_mergepath_config_static_selectorELNS0_4arch9wavefront6targetE1EEEvSL_
                                        ; -- End function
	.section	.AMDGPU.csdata,"",@progbits
; Kernel info:
; codeLenInByte = 0
; NumSgprs: 6
; NumVgprs: 0
; NumAgprs: 0
; TotalNumVgprs: 0
; ScratchSize: 0
; MemoryBound: 0
; FloatMode: 240
; IeeeMode: 1
; LDSByteSize: 0 bytes/workgroup (compile time only)
; SGPRBlocks: 0
; VGPRBlocks: 0
; NumSGPRsForWavesPerEU: 6
; NumVGPRsForWavesPerEU: 1
; AccumOffset: 4
; Occupancy: 8
; WaveLimiterHint : 0
; COMPUTE_PGM_RSRC2:SCRATCH_EN: 0
; COMPUTE_PGM_RSRC2:USER_SGPR: 2
; COMPUTE_PGM_RSRC2:TRAP_HANDLER: 0
; COMPUTE_PGM_RSRC2:TGID_X_EN: 1
; COMPUTE_PGM_RSRC2:TGID_Y_EN: 0
; COMPUTE_PGM_RSRC2:TGID_Z_EN: 0
; COMPUTE_PGM_RSRC2:TIDIG_COMP_CNT: 0
; COMPUTE_PGM_RSRC3_GFX90A:ACCUM_OFFSET: 0
; COMPUTE_PGM_RSRC3_GFX90A:TG_SPLIT: 0
	.section	.text._ZN7rocprim17ROCPRIM_400000_NS6detail17trampoline_kernelINS0_14default_configENS1_38merge_sort_block_merge_config_selectorIjNS0_10empty_typeEEEZZNS1_27merge_sort_block_merge_implIS3_N6thrust23THRUST_200600_302600_NS6detail15normal_iteratorINS9_10device_ptrIjEEEEPS5_jNS1_19radix_merge_compareILb0ELb1EjNS0_19identity_decomposerEEEEE10hipError_tT0_T1_T2_jT3_P12ihipStream_tbPNSt15iterator_traitsISK_E10value_typeEPNSQ_ISL_E10value_typeEPSM_NS1_7vsmem_tEENKUlT_SK_SL_SM_E_clISE_PjSF_SF_EESJ_SZ_SK_SL_SM_EUlSZ_E0_NS1_11comp_targetILNS1_3genE9ELNS1_11target_archE1100ELNS1_3gpuE3ELNS1_3repE0EEENS1_38merge_mergepath_config_static_selectorELNS0_4arch9wavefront6targetE1EEEvSL_,"axG",@progbits,_ZN7rocprim17ROCPRIM_400000_NS6detail17trampoline_kernelINS0_14default_configENS1_38merge_sort_block_merge_config_selectorIjNS0_10empty_typeEEEZZNS1_27merge_sort_block_merge_implIS3_N6thrust23THRUST_200600_302600_NS6detail15normal_iteratorINS9_10device_ptrIjEEEEPS5_jNS1_19radix_merge_compareILb0ELb1EjNS0_19identity_decomposerEEEEE10hipError_tT0_T1_T2_jT3_P12ihipStream_tbPNSt15iterator_traitsISK_E10value_typeEPNSQ_ISL_E10value_typeEPSM_NS1_7vsmem_tEENKUlT_SK_SL_SM_E_clISE_PjSF_SF_EESJ_SZ_SK_SL_SM_EUlSZ_E0_NS1_11comp_targetILNS1_3genE9ELNS1_11target_archE1100ELNS1_3gpuE3ELNS1_3repE0EEENS1_38merge_mergepath_config_static_selectorELNS0_4arch9wavefront6targetE1EEEvSL_,comdat
	.protected	_ZN7rocprim17ROCPRIM_400000_NS6detail17trampoline_kernelINS0_14default_configENS1_38merge_sort_block_merge_config_selectorIjNS0_10empty_typeEEEZZNS1_27merge_sort_block_merge_implIS3_N6thrust23THRUST_200600_302600_NS6detail15normal_iteratorINS9_10device_ptrIjEEEEPS5_jNS1_19radix_merge_compareILb0ELb1EjNS0_19identity_decomposerEEEEE10hipError_tT0_T1_T2_jT3_P12ihipStream_tbPNSt15iterator_traitsISK_E10value_typeEPNSQ_ISL_E10value_typeEPSM_NS1_7vsmem_tEENKUlT_SK_SL_SM_E_clISE_PjSF_SF_EESJ_SZ_SK_SL_SM_EUlSZ_E0_NS1_11comp_targetILNS1_3genE9ELNS1_11target_archE1100ELNS1_3gpuE3ELNS1_3repE0EEENS1_38merge_mergepath_config_static_selectorELNS0_4arch9wavefront6targetE1EEEvSL_ ; -- Begin function _ZN7rocprim17ROCPRIM_400000_NS6detail17trampoline_kernelINS0_14default_configENS1_38merge_sort_block_merge_config_selectorIjNS0_10empty_typeEEEZZNS1_27merge_sort_block_merge_implIS3_N6thrust23THRUST_200600_302600_NS6detail15normal_iteratorINS9_10device_ptrIjEEEEPS5_jNS1_19radix_merge_compareILb0ELb1EjNS0_19identity_decomposerEEEEE10hipError_tT0_T1_T2_jT3_P12ihipStream_tbPNSt15iterator_traitsISK_E10value_typeEPNSQ_ISL_E10value_typeEPSM_NS1_7vsmem_tEENKUlT_SK_SL_SM_E_clISE_PjSF_SF_EESJ_SZ_SK_SL_SM_EUlSZ_E0_NS1_11comp_targetILNS1_3genE9ELNS1_11target_archE1100ELNS1_3gpuE3ELNS1_3repE0EEENS1_38merge_mergepath_config_static_selectorELNS0_4arch9wavefront6targetE1EEEvSL_
	.globl	_ZN7rocprim17ROCPRIM_400000_NS6detail17trampoline_kernelINS0_14default_configENS1_38merge_sort_block_merge_config_selectorIjNS0_10empty_typeEEEZZNS1_27merge_sort_block_merge_implIS3_N6thrust23THRUST_200600_302600_NS6detail15normal_iteratorINS9_10device_ptrIjEEEEPS5_jNS1_19radix_merge_compareILb0ELb1EjNS0_19identity_decomposerEEEEE10hipError_tT0_T1_T2_jT3_P12ihipStream_tbPNSt15iterator_traitsISK_E10value_typeEPNSQ_ISL_E10value_typeEPSM_NS1_7vsmem_tEENKUlT_SK_SL_SM_E_clISE_PjSF_SF_EESJ_SZ_SK_SL_SM_EUlSZ_E0_NS1_11comp_targetILNS1_3genE9ELNS1_11target_archE1100ELNS1_3gpuE3ELNS1_3repE0EEENS1_38merge_mergepath_config_static_selectorELNS0_4arch9wavefront6targetE1EEEvSL_
	.p2align	8
	.type	_ZN7rocprim17ROCPRIM_400000_NS6detail17trampoline_kernelINS0_14default_configENS1_38merge_sort_block_merge_config_selectorIjNS0_10empty_typeEEEZZNS1_27merge_sort_block_merge_implIS3_N6thrust23THRUST_200600_302600_NS6detail15normal_iteratorINS9_10device_ptrIjEEEEPS5_jNS1_19radix_merge_compareILb0ELb1EjNS0_19identity_decomposerEEEEE10hipError_tT0_T1_T2_jT3_P12ihipStream_tbPNSt15iterator_traitsISK_E10value_typeEPNSQ_ISL_E10value_typeEPSM_NS1_7vsmem_tEENKUlT_SK_SL_SM_E_clISE_PjSF_SF_EESJ_SZ_SK_SL_SM_EUlSZ_E0_NS1_11comp_targetILNS1_3genE9ELNS1_11target_archE1100ELNS1_3gpuE3ELNS1_3repE0EEENS1_38merge_mergepath_config_static_selectorELNS0_4arch9wavefront6targetE1EEEvSL_,@function
_ZN7rocprim17ROCPRIM_400000_NS6detail17trampoline_kernelINS0_14default_configENS1_38merge_sort_block_merge_config_selectorIjNS0_10empty_typeEEEZZNS1_27merge_sort_block_merge_implIS3_N6thrust23THRUST_200600_302600_NS6detail15normal_iteratorINS9_10device_ptrIjEEEEPS5_jNS1_19radix_merge_compareILb0ELb1EjNS0_19identity_decomposerEEEEE10hipError_tT0_T1_T2_jT3_P12ihipStream_tbPNSt15iterator_traitsISK_E10value_typeEPNSQ_ISL_E10value_typeEPSM_NS1_7vsmem_tEENKUlT_SK_SL_SM_E_clISE_PjSF_SF_EESJ_SZ_SK_SL_SM_EUlSZ_E0_NS1_11comp_targetILNS1_3genE9ELNS1_11target_archE1100ELNS1_3gpuE3ELNS1_3repE0EEENS1_38merge_mergepath_config_static_selectorELNS0_4arch9wavefront6targetE1EEEvSL_: ; @_ZN7rocprim17ROCPRIM_400000_NS6detail17trampoline_kernelINS0_14default_configENS1_38merge_sort_block_merge_config_selectorIjNS0_10empty_typeEEEZZNS1_27merge_sort_block_merge_implIS3_N6thrust23THRUST_200600_302600_NS6detail15normal_iteratorINS9_10device_ptrIjEEEEPS5_jNS1_19radix_merge_compareILb0ELb1EjNS0_19identity_decomposerEEEEE10hipError_tT0_T1_T2_jT3_P12ihipStream_tbPNSt15iterator_traitsISK_E10value_typeEPNSQ_ISL_E10value_typeEPSM_NS1_7vsmem_tEENKUlT_SK_SL_SM_E_clISE_PjSF_SF_EESJ_SZ_SK_SL_SM_EUlSZ_E0_NS1_11comp_targetILNS1_3genE9ELNS1_11target_archE1100ELNS1_3gpuE3ELNS1_3repE0EEENS1_38merge_mergepath_config_static_selectorELNS0_4arch9wavefront6targetE1EEEvSL_
; %bb.0:
	.section	.rodata,"a",@progbits
	.p2align	6, 0x0
	.amdhsa_kernel _ZN7rocprim17ROCPRIM_400000_NS6detail17trampoline_kernelINS0_14default_configENS1_38merge_sort_block_merge_config_selectorIjNS0_10empty_typeEEEZZNS1_27merge_sort_block_merge_implIS3_N6thrust23THRUST_200600_302600_NS6detail15normal_iteratorINS9_10device_ptrIjEEEEPS5_jNS1_19radix_merge_compareILb0ELb1EjNS0_19identity_decomposerEEEEE10hipError_tT0_T1_T2_jT3_P12ihipStream_tbPNSt15iterator_traitsISK_E10value_typeEPNSQ_ISL_E10value_typeEPSM_NS1_7vsmem_tEENKUlT_SK_SL_SM_E_clISE_PjSF_SF_EESJ_SZ_SK_SL_SM_EUlSZ_E0_NS1_11comp_targetILNS1_3genE9ELNS1_11target_archE1100ELNS1_3gpuE3ELNS1_3repE0EEENS1_38merge_mergepath_config_static_selectorELNS0_4arch9wavefront6targetE1EEEvSL_
		.amdhsa_group_segment_fixed_size 0
		.amdhsa_private_segment_fixed_size 0
		.amdhsa_kernarg_size 64
		.amdhsa_user_sgpr_count 2
		.amdhsa_user_sgpr_dispatch_ptr 0
		.amdhsa_user_sgpr_queue_ptr 0
		.amdhsa_user_sgpr_kernarg_segment_ptr 1
		.amdhsa_user_sgpr_dispatch_id 0
		.amdhsa_user_sgpr_kernarg_preload_length 0
		.amdhsa_user_sgpr_kernarg_preload_offset 0
		.amdhsa_user_sgpr_private_segment_size 0
		.amdhsa_uses_dynamic_stack 0
		.amdhsa_enable_private_segment 0
		.amdhsa_system_sgpr_workgroup_id_x 1
		.amdhsa_system_sgpr_workgroup_id_y 0
		.amdhsa_system_sgpr_workgroup_id_z 0
		.amdhsa_system_sgpr_workgroup_info 0
		.amdhsa_system_vgpr_workitem_id 0
		.amdhsa_next_free_vgpr 1
		.amdhsa_next_free_sgpr 0
		.amdhsa_accum_offset 4
		.amdhsa_reserve_vcc 0
		.amdhsa_float_round_mode_32 0
		.amdhsa_float_round_mode_16_64 0
		.amdhsa_float_denorm_mode_32 3
		.amdhsa_float_denorm_mode_16_64 3
		.amdhsa_dx10_clamp 1
		.amdhsa_ieee_mode 1
		.amdhsa_fp16_overflow 0
		.amdhsa_tg_split 0
		.amdhsa_exception_fp_ieee_invalid_op 0
		.amdhsa_exception_fp_denorm_src 0
		.amdhsa_exception_fp_ieee_div_zero 0
		.amdhsa_exception_fp_ieee_overflow 0
		.amdhsa_exception_fp_ieee_underflow 0
		.amdhsa_exception_fp_ieee_inexact 0
		.amdhsa_exception_int_div_zero 0
	.end_amdhsa_kernel
	.section	.text._ZN7rocprim17ROCPRIM_400000_NS6detail17trampoline_kernelINS0_14default_configENS1_38merge_sort_block_merge_config_selectorIjNS0_10empty_typeEEEZZNS1_27merge_sort_block_merge_implIS3_N6thrust23THRUST_200600_302600_NS6detail15normal_iteratorINS9_10device_ptrIjEEEEPS5_jNS1_19radix_merge_compareILb0ELb1EjNS0_19identity_decomposerEEEEE10hipError_tT0_T1_T2_jT3_P12ihipStream_tbPNSt15iterator_traitsISK_E10value_typeEPNSQ_ISL_E10value_typeEPSM_NS1_7vsmem_tEENKUlT_SK_SL_SM_E_clISE_PjSF_SF_EESJ_SZ_SK_SL_SM_EUlSZ_E0_NS1_11comp_targetILNS1_3genE9ELNS1_11target_archE1100ELNS1_3gpuE3ELNS1_3repE0EEENS1_38merge_mergepath_config_static_selectorELNS0_4arch9wavefront6targetE1EEEvSL_,"axG",@progbits,_ZN7rocprim17ROCPRIM_400000_NS6detail17trampoline_kernelINS0_14default_configENS1_38merge_sort_block_merge_config_selectorIjNS0_10empty_typeEEEZZNS1_27merge_sort_block_merge_implIS3_N6thrust23THRUST_200600_302600_NS6detail15normal_iteratorINS9_10device_ptrIjEEEEPS5_jNS1_19radix_merge_compareILb0ELb1EjNS0_19identity_decomposerEEEEE10hipError_tT0_T1_T2_jT3_P12ihipStream_tbPNSt15iterator_traitsISK_E10value_typeEPNSQ_ISL_E10value_typeEPSM_NS1_7vsmem_tEENKUlT_SK_SL_SM_E_clISE_PjSF_SF_EESJ_SZ_SK_SL_SM_EUlSZ_E0_NS1_11comp_targetILNS1_3genE9ELNS1_11target_archE1100ELNS1_3gpuE3ELNS1_3repE0EEENS1_38merge_mergepath_config_static_selectorELNS0_4arch9wavefront6targetE1EEEvSL_,comdat
.Lfunc_end1064:
	.size	_ZN7rocprim17ROCPRIM_400000_NS6detail17trampoline_kernelINS0_14default_configENS1_38merge_sort_block_merge_config_selectorIjNS0_10empty_typeEEEZZNS1_27merge_sort_block_merge_implIS3_N6thrust23THRUST_200600_302600_NS6detail15normal_iteratorINS9_10device_ptrIjEEEEPS5_jNS1_19radix_merge_compareILb0ELb1EjNS0_19identity_decomposerEEEEE10hipError_tT0_T1_T2_jT3_P12ihipStream_tbPNSt15iterator_traitsISK_E10value_typeEPNSQ_ISL_E10value_typeEPSM_NS1_7vsmem_tEENKUlT_SK_SL_SM_E_clISE_PjSF_SF_EESJ_SZ_SK_SL_SM_EUlSZ_E0_NS1_11comp_targetILNS1_3genE9ELNS1_11target_archE1100ELNS1_3gpuE3ELNS1_3repE0EEENS1_38merge_mergepath_config_static_selectorELNS0_4arch9wavefront6targetE1EEEvSL_, .Lfunc_end1064-_ZN7rocprim17ROCPRIM_400000_NS6detail17trampoline_kernelINS0_14default_configENS1_38merge_sort_block_merge_config_selectorIjNS0_10empty_typeEEEZZNS1_27merge_sort_block_merge_implIS3_N6thrust23THRUST_200600_302600_NS6detail15normal_iteratorINS9_10device_ptrIjEEEEPS5_jNS1_19radix_merge_compareILb0ELb1EjNS0_19identity_decomposerEEEEE10hipError_tT0_T1_T2_jT3_P12ihipStream_tbPNSt15iterator_traitsISK_E10value_typeEPNSQ_ISL_E10value_typeEPSM_NS1_7vsmem_tEENKUlT_SK_SL_SM_E_clISE_PjSF_SF_EESJ_SZ_SK_SL_SM_EUlSZ_E0_NS1_11comp_targetILNS1_3genE9ELNS1_11target_archE1100ELNS1_3gpuE3ELNS1_3repE0EEENS1_38merge_mergepath_config_static_selectorELNS0_4arch9wavefront6targetE1EEEvSL_
                                        ; -- End function
	.section	.AMDGPU.csdata,"",@progbits
; Kernel info:
; codeLenInByte = 0
; NumSgprs: 6
; NumVgprs: 0
; NumAgprs: 0
; TotalNumVgprs: 0
; ScratchSize: 0
; MemoryBound: 0
; FloatMode: 240
; IeeeMode: 1
; LDSByteSize: 0 bytes/workgroup (compile time only)
; SGPRBlocks: 0
; VGPRBlocks: 0
; NumSGPRsForWavesPerEU: 6
; NumVGPRsForWavesPerEU: 1
; AccumOffset: 4
; Occupancy: 8
; WaveLimiterHint : 0
; COMPUTE_PGM_RSRC2:SCRATCH_EN: 0
; COMPUTE_PGM_RSRC2:USER_SGPR: 2
; COMPUTE_PGM_RSRC2:TRAP_HANDLER: 0
; COMPUTE_PGM_RSRC2:TGID_X_EN: 1
; COMPUTE_PGM_RSRC2:TGID_Y_EN: 0
; COMPUTE_PGM_RSRC2:TGID_Z_EN: 0
; COMPUTE_PGM_RSRC2:TIDIG_COMP_CNT: 0
; COMPUTE_PGM_RSRC3_GFX90A:ACCUM_OFFSET: 0
; COMPUTE_PGM_RSRC3_GFX90A:TG_SPLIT: 0
	.section	.text._ZN7rocprim17ROCPRIM_400000_NS6detail17trampoline_kernelINS0_14default_configENS1_38merge_sort_block_merge_config_selectorIjNS0_10empty_typeEEEZZNS1_27merge_sort_block_merge_implIS3_N6thrust23THRUST_200600_302600_NS6detail15normal_iteratorINS9_10device_ptrIjEEEEPS5_jNS1_19radix_merge_compareILb0ELb1EjNS0_19identity_decomposerEEEEE10hipError_tT0_T1_T2_jT3_P12ihipStream_tbPNSt15iterator_traitsISK_E10value_typeEPNSQ_ISL_E10value_typeEPSM_NS1_7vsmem_tEENKUlT_SK_SL_SM_E_clISE_PjSF_SF_EESJ_SZ_SK_SL_SM_EUlSZ_E0_NS1_11comp_targetILNS1_3genE8ELNS1_11target_archE1030ELNS1_3gpuE2ELNS1_3repE0EEENS1_38merge_mergepath_config_static_selectorELNS0_4arch9wavefront6targetE1EEEvSL_,"axG",@progbits,_ZN7rocprim17ROCPRIM_400000_NS6detail17trampoline_kernelINS0_14default_configENS1_38merge_sort_block_merge_config_selectorIjNS0_10empty_typeEEEZZNS1_27merge_sort_block_merge_implIS3_N6thrust23THRUST_200600_302600_NS6detail15normal_iteratorINS9_10device_ptrIjEEEEPS5_jNS1_19radix_merge_compareILb0ELb1EjNS0_19identity_decomposerEEEEE10hipError_tT0_T1_T2_jT3_P12ihipStream_tbPNSt15iterator_traitsISK_E10value_typeEPNSQ_ISL_E10value_typeEPSM_NS1_7vsmem_tEENKUlT_SK_SL_SM_E_clISE_PjSF_SF_EESJ_SZ_SK_SL_SM_EUlSZ_E0_NS1_11comp_targetILNS1_3genE8ELNS1_11target_archE1030ELNS1_3gpuE2ELNS1_3repE0EEENS1_38merge_mergepath_config_static_selectorELNS0_4arch9wavefront6targetE1EEEvSL_,comdat
	.protected	_ZN7rocprim17ROCPRIM_400000_NS6detail17trampoline_kernelINS0_14default_configENS1_38merge_sort_block_merge_config_selectorIjNS0_10empty_typeEEEZZNS1_27merge_sort_block_merge_implIS3_N6thrust23THRUST_200600_302600_NS6detail15normal_iteratorINS9_10device_ptrIjEEEEPS5_jNS1_19radix_merge_compareILb0ELb1EjNS0_19identity_decomposerEEEEE10hipError_tT0_T1_T2_jT3_P12ihipStream_tbPNSt15iterator_traitsISK_E10value_typeEPNSQ_ISL_E10value_typeEPSM_NS1_7vsmem_tEENKUlT_SK_SL_SM_E_clISE_PjSF_SF_EESJ_SZ_SK_SL_SM_EUlSZ_E0_NS1_11comp_targetILNS1_3genE8ELNS1_11target_archE1030ELNS1_3gpuE2ELNS1_3repE0EEENS1_38merge_mergepath_config_static_selectorELNS0_4arch9wavefront6targetE1EEEvSL_ ; -- Begin function _ZN7rocprim17ROCPRIM_400000_NS6detail17trampoline_kernelINS0_14default_configENS1_38merge_sort_block_merge_config_selectorIjNS0_10empty_typeEEEZZNS1_27merge_sort_block_merge_implIS3_N6thrust23THRUST_200600_302600_NS6detail15normal_iteratorINS9_10device_ptrIjEEEEPS5_jNS1_19radix_merge_compareILb0ELb1EjNS0_19identity_decomposerEEEEE10hipError_tT0_T1_T2_jT3_P12ihipStream_tbPNSt15iterator_traitsISK_E10value_typeEPNSQ_ISL_E10value_typeEPSM_NS1_7vsmem_tEENKUlT_SK_SL_SM_E_clISE_PjSF_SF_EESJ_SZ_SK_SL_SM_EUlSZ_E0_NS1_11comp_targetILNS1_3genE8ELNS1_11target_archE1030ELNS1_3gpuE2ELNS1_3repE0EEENS1_38merge_mergepath_config_static_selectorELNS0_4arch9wavefront6targetE1EEEvSL_
	.globl	_ZN7rocprim17ROCPRIM_400000_NS6detail17trampoline_kernelINS0_14default_configENS1_38merge_sort_block_merge_config_selectorIjNS0_10empty_typeEEEZZNS1_27merge_sort_block_merge_implIS3_N6thrust23THRUST_200600_302600_NS6detail15normal_iteratorINS9_10device_ptrIjEEEEPS5_jNS1_19radix_merge_compareILb0ELb1EjNS0_19identity_decomposerEEEEE10hipError_tT0_T1_T2_jT3_P12ihipStream_tbPNSt15iterator_traitsISK_E10value_typeEPNSQ_ISL_E10value_typeEPSM_NS1_7vsmem_tEENKUlT_SK_SL_SM_E_clISE_PjSF_SF_EESJ_SZ_SK_SL_SM_EUlSZ_E0_NS1_11comp_targetILNS1_3genE8ELNS1_11target_archE1030ELNS1_3gpuE2ELNS1_3repE0EEENS1_38merge_mergepath_config_static_selectorELNS0_4arch9wavefront6targetE1EEEvSL_
	.p2align	8
	.type	_ZN7rocprim17ROCPRIM_400000_NS6detail17trampoline_kernelINS0_14default_configENS1_38merge_sort_block_merge_config_selectorIjNS0_10empty_typeEEEZZNS1_27merge_sort_block_merge_implIS3_N6thrust23THRUST_200600_302600_NS6detail15normal_iteratorINS9_10device_ptrIjEEEEPS5_jNS1_19radix_merge_compareILb0ELb1EjNS0_19identity_decomposerEEEEE10hipError_tT0_T1_T2_jT3_P12ihipStream_tbPNSt15iterator_traitsISK_E10value_typeEPNSQ_ISL_E10value_typeEPSM_NS1_7vsmem_tEENKUlT_SK_SL_SM_E_clISE_PjSF_SF_EESJ_SZ_SK_SL_SM_EUlSZ_E0_NS1_11comp_targetILNS1_3genE8ELNS1_11target_archE1030ELNS1_3gpuE2ELNS1_3repE0EEENS1_38merge_mergepath_config_static_selectorELNS0_4arch9wavefront6targetE1EEEvSL_,@function
_ZN7rocprim17ROCPRIM_400000_NS6detail17trampoline_kernelINS0_14default_configENS1_38merge_sort_block_merge_config_selectorIjNS0_10empty_typeEEEZZNS1_27merge_sort_block_merge_implIS3_N6thrust23THRUST_200600_302600_NS6detail15normal_iteratorINS9_10device_ptrIjEEEEPS5_jNS1_19radix_merge_compareILb0ELb1EjNS0_19identity_decomposerEEEEE10hipError_tT0_T1_T2_jT3_P12ihipStream_tbPNSt15iterator_traitsISK_E10value_typeEPNSQ_ISL_E10value_typeEPSM_NS1_7vsmem_tEENKUlT_SK_SL_SM_E_clISE_PjSF_SF_EESJ_SZ_SK_SL_SM_EUlSZ_E0_NS1_11comp_targetILNS1_3genE8ELNS1_11target_archE1030ELNS1_3gpuE2ELNS1_3repE0EEENS1_38merge_mergepath_config_static_selectorELNS0_4arch9wavefront6targetE1EEEvSL_: ; @_ZN7rocprim17ROCPRIM_400000_NS6detail17trampoline_kernelINS0_14default_configENS1_38merge_sort_block_merge_config_selectorIjNS0_10empty_typeEEEZZNS1_27merge_sort_block_merge_implIS3_N6thrust23THRUST_200600_302600_NS6detail15normal_iteratorINS9_10device_ptrIjEEEEPS5_jNS1_19radix_merge_compareILb0ELb1EjNS0_19identity_decomposerEEEEE10hipError_tT0_T1_T2_jT3_P12ihipStream_tbPNSt15iterator_traitsISK_E10value_typeEPNSQ_ISL_E10value_typeEPSM_NS1_7vsmem_tEENKUlT_SK_SL_SM_E_clISE_PjSF_SF_EESJ_SZ_SK_SL_SM_EUlSZ_E0_NS1_11comp_targetILNS1_3genE8ELNS1_11target_archE1030ELNS1_3gpuE2ELNS1_3repE0EEENS1_38merge_mergepath_config_static_selectorELNS0_4arch9wavefront6targetE1EEEvSL_
; %bb.0:
	.section	.rodata,"a",@progbits
	.p2align	6, 0x0
	.amdhsa_kernel _ZN7rocprim17ROCPRIM_400000_NS6detail17trampoline_kernelINS0_14default_configENS1_38merge_sort_block_merge_config_selectorIjNS0_10empty_typeEEEZZNS1_27merge_sort_block_merge_implIS3_N6thrust23THRUST_200600_302600_NS6detail15normal_iteratorINS9_10device_ptrIjEEEEPS5_jNS1_19radix_merge_compareILb0ELb1EjNS0_19identity_decomposerEEEEE10hipError_tT0_T1_T2_jT3_P12ihipStream_tbPNSt15iterator_traitsISK_E10value_typeEPNSQ_ISL_E10value_typeEPSM_NS1_7vsmem_tEENKUlT_SK_SL_SM_E_clISE_PjSF_SF_EESJ_SZ_SK_SL_SM_EUlSZ_E0_NS1_11comp_targetILNS1_3genE8ELNS1_11target_archE1030ELNS1_3gpuE2ELNS1_3repE0EEENS1_38merge_mergepath_config_static_selectorELNS0_4arch9wavefront6targetE1EEEvSL_
		.amdhsa_group_segment_fixed_size 0
		.amdhsa_private_segment_fixed_size 0
		.amdhsa_kernarg_size 64
		.amdhsa_user_sgpr_count 2
		.amdhsa_user_sgpr_dispatch_ptr 0
		.amdhsa_user_sgpr_queue_ptr 0
		.amdhsa_user_sgpr_kernarg_segment_ptr 1
		.amdhsa_user_sgpr_dispatch_id 0
		.amdhsa_user_sgpr_kernarg_preload_length 0
		.amdhsa_user_sgpr_kernarg_preload_offset 0
		.amdhsa_user_sgpr_private_segment_size 0
		.amdhsa_uses_dynamic_stack 0
		.amdhsa_enable_private_segment 0
		.amdhsa_system_sgpr_workgroup_id_x 1
		.amdhsa_system_sgpr_workgroup_id_y 0
		.amdhsa_system_sgpr_workgroup_id_z 0
		.amdhsa_system_sgpr_workgroup_info 0
		.amdhsa_system_vgpr_workitem_id 0
		.amdhsa_next_free_vgpr 1
		.amdhsa_next_free_sgpr 0
		.amdhsa_accum_offset 4
		.amdhsa_reserve_vcc 0
		.amdhsa_float_round_mode_32 0
		.amdhsa_float_round_mode_16_64 0
		.amdhsa_float_denorm_mode_32 3
		.amdhsa_float_denorm_mode_16_64 3
		.amdhsa_dx10_clamp 1
		.amdhsa_ieee_mode 1
		.amdhsa_fp16_overflow 0
		.amdhsa_tg_split 0
		.amdhsa_exception_fp_ieee_invalid_op 0
		.amdhsa_exception_fp_denorm_src 0
		.amdhsa_exception_fp_ieee_div_zero 0
		.amdhsa_exception_fp_ieee_overflow 0
		.amdhsa_exception_fp_ieee_underflow 0
		.amdhsa_exception_fp_ieee_inexact 0
		.amdhsa_exception_int_div_zero 0
	.end_amdhsa_kernel
	.section	.text._ZN7rocprim17ROCPRIM_400000_NS6detail17trampoline_kernelINS0_14default_configENS1_38merge_sort_block_merge_config_selectorIjNS0_10empty_typeEEEZZNS1_27merge_sort_block_merge_implIS3_N6thrust23THRUST_200600_302600_NS6detail15normal_iteratorINS9_10device_ptrIjEEEEPS5_jNS1_19radix_merge_compareILb0ELb1EjNS0_19identity_decomposerEEEEE10hipError_tT0_T1_T2_jT3_P12ihipStream_tbPNSt15iterator_traitsISK_E10value_typeEPNSQ_ISL_E10value_typeEPSM_NS1_7vsmem_tEENKUlT_SK_SL_SM_E_clISE_PjSF_SF_EESJ_SZ_SK_SL_SM_EUlSZ_E0_NS1_11comp_targetILNS1_3genE8ELNS1_11target_archE1030ELNS1_3gpuE2ELNS1_3repE0EEENS1_38merge_mergepath_config_static_selectorELNS0_4arch9wavefront6targetE1EEEvSL_,"axG",@progbits,_ZN7rocprim17ROCPRIM_400000_NS6detail17trampoline_kernelINS0_14default_configENS1_38merge_sort_block_merge_config_selectorIjNS0_10empty_typeEEEZZNS1_27merge_sort_block_merge_implIS3_N6thrust23THRUST_200600_302600_NS6detail15normal_iteratorINS9_10device_ptrIjEEEEPS5_jNS1_19radix_merge_compareILb0ELb1EjNS0_19identity_decomposerEEEEE10hipError_tT0_T1_T2_jT3_P12ihipStream_tbPNSt15iterator_traitsISK_E10value_typeEPNSQ_ISL_E10value_typeEPSM_NS1_7vsmem_tEENKUlT_SK_SL_SM_E_clISE_PjSF_SF_EESJ_SZ_SK_SL_SM_EUlSZ_E0_NS1_11comp_targetILNS1_3genE8ELNS1_11target_archE1030ELNS1_3gpuE2ELNS1_3repE0EEENS1_38merge_mergepath_config_static_selectorELNS0_4arch9wavefront6targetE1EEEvSL_,comdat
.Lfunc_end1065:
	.size	_ZN7rocprim17ROCPRIM_400000_NS6detail17trampoline_kernelINS0_14default_configENS1_38merge_sort_block_merge_config_selectorIjNS0_10empty_typeEEEZZNS1_27merge_sort_block_merge_implIS3_N6thrust23THRUST_200600_302600_NS6detail15normal_iteratorINS9_10device_ptrIjEEEEPS5_jNS1_19radix_merge_compareILb0ELb1EjNS0_19identity_decomposerEEEEE10hipError_tT0_T1_T2_jT3_P12ihipStream_tbPNSt15iterator_traitsISK_E10value_typeEPNSQ_ISL_E10value_typeEPSM_NS1_7vsmem_tEENKUlT_SK_SL_SM_E_clISE_PjSF_SF_EESJ_SZ_SK_SL_SM_EUlSZ_E0_NS1_11comp_targetILNS1_3genE8ELNS1_11target_archE1030ELNS1_3gpuE2ELNS1_3repE0EEENS1_38merge_mergepath_config_static_selectorELNS0_4arch9wavefront6targetE1EEEvSL_, .Lfunc_end1065-_ZN7rocprim17ROCPRIM_400000_NS6detail17trampoline_kernelINS0_14default_configENS1_38merge_sort_block_merge_config_selectorIjNS0_10empty_typeEEEZZNS1_27merge_sort_block_merge_implIS3_N6thrust23THRUST_200600_302600_NS6detail15normal_iteratorINS9_10device_ptrIjEEEEPS5_jNS1_19radix_merge_compareILb0ELb1EjNS0_19identity_decomposerEEEEE10hipError_tT0_T1_T2_jT3_P12ihipStream_tbPNSt15iterator_traitsISK_E10value_typeEPNSQ_ISL_E10value_typeEPSM_NS1_7vsmem_tEENKUlT_SK_SL_SM_E_clISE_PjSF_SF_EESJ_SZ_SK_SL_SM_EUlSZ_E0_NS1_11comp_targetILNS1_3genE8ELNS1_11target_archE1030ELNS1_3gpuE2ELNS1_3repE0EEENS1_38merge_mergepath_config_static_selectorELNS0_4arch9wavefront6targetE1EEEvSL_
                                        ; -- End function
	.section	.AMDGPU.csdata,"",@progbits
; Kernel info:
; codeLenInByte = 0
; NumSgprs: 6
; NumVgprs: 0
; NumAgprs: 0
; TotalNumVgprs: 0
; ScratchSize: 0
; MemoryBound: 0
; FloatMode: 240
; IeeeMode: 1
; LDSByteSize: 0 bytes/workgroup (compile time only)
; SGPRBlocks: 0
; VGPRBlocks: 0
; NumSGPRsForWavesPerEU: 6
; NumVGPRsForWavesPerEU: 1
; AccumOffset: 4
; Occupancy: 8
; WaveLimiterHint : 0
; COMPUTE_PGM_RSRC2:SCRATCH_EN: 0
; COMPUTE_PGM_RSRC2:USER_SGPR: 2
; COMPUTE_PGM_RSRC2:TRAP_HANDLER: 0
; COMPUTE_PGM_RSRC2:TGID_X_EN: 1
; COMPUTE_PGM_RSRC2:TGID_Y_EN: 0
; COMPUTE_PGM_RSRC2:TGID_Z_EN: 0
; COMPUTE_PGM_RSRC2:TIDIG_COMP_CNT: 0
; COMPUTE_PGM_RSRC3_GFX90A:ACCUM_OFFSET: 0
; COMPUTE_PGM_RSRC3_GFX90A:TG_SPLIT: 0
	.section	.text._ZN7rocprim17ROCPRIM_400000_NS6detail17trampoline_kernelINS0_14default_configENS1_38merge_sort_block_merge_config_selectorIjNS0_10empty_typeEEEZZNS1_27merge_sort_block_merge_implIS3_N6thrust23THRUST_200600_302600_NS6detail15normal_iteratorINS9_10device_ptrIjEEEEPS5_jNS1_19radix_merge_compareILb0ELb1EjNS0_19identity_decomposerEEEEE10hipError_tT0_T1_T2_jT3_P12ihipStream_tbPNSt15iterator_traitsISK_E10value_typeEPNSQ_ISL_E10value_typeEPSM_NS1_7vsmem_tEENKUlT_SK_SL_SM_E_clISE_PjSF_SF_EESJ_SZ_SK_SL_SM_EUlSZ_E1_NS1_11comp_targetILNS1_3genE0ELNS1_11target_archE4294967295ELNS1_3gpuE0ELNS1_3repE0EEENS1_36merge_oddeven_config_static_selectorELNS0_4arch9wavefront6targetE1EEEvSL_,"axG",@progbits,_ZN7rocprim17ROCPRIM_400000_NS6detail17trampoline_kernelINS0_14default_configENS1_38merge_sort_block_merge_config_selectorIjNS0_10empty_typeEEEZZNS1_27merge_sort_block_merge_implIS3_N6thrust23THRUST_200600_302600_NS6detail15normal_iteratorINS9_10device_ptrIjEEEEPS5_jNS1_19radix_merge_compareILb0ELb1EjNS0_19identity_decomposerEEEEE10hipError_tT0_T1_T2_jT3_P12ihipStream_tbPNSt15iterator_traitsISK_E10value_typeEPNSQ_ISL_E10value_typeEPSM_NS1_7vsmem_tEENKUlT_SK_SL_SM_E_clISE_PjSF_SF_EESJ_SZ_SK_SL_SM_EUlSZ_E1_NS1_11comp_targetILNS1_3genE0ELNS1_11target_archE4294967295ELNS1_3gpuE0ELNS1_3repE0EEENS1_36merge_oddeven_config_static_selectorELNS0_4arch9wavefront6targetE1EEEvSL_,comdat
	.protected	_ZN7rocprim17ROCPRIM_400000_NS6detail17trampoline_kernelINS0_14default_configENS1_38merge_sort_block_merge_config_selectorIjNS0_10empty_typeEEEZZNS1_27merge_sort_block_merge_implIS3_N6thrust23THRUST_200600_302600_NS6detail15normal_iteratorINS9_10device_ptrIjEEEEPS5_jNS1_19radix_merge_compareILb0ELb1EjNS0_19identity_decomposerEEEEE10hipError_tT0_T1_T2_jT3_P12ihipStream_tbPNSt15iterator_traitsISK_E10value_typeEPNSQ_ISL_E10value_typeEPSM_NS1_7vsmem_tEENKUlT_SK_SL_SM_E_clISE_PjSF_SF_EESJ_SZ_SK_SL_SM_EUlSZ_E1_NS1_11comp_targetILNS1_3genE0ELNS1_11target_archE4294967295ELNS1_3gpuE0ELNS1_3repE0EEENS1_36merge_oddeven_config_static_selectorELNS0_4arch9wavefront6targetE1EEEvSL_ ; -- Begin function _ZN7rocprim17ROCPRIM_400000_NS6detail17trampoline_kernelINS0_14default_configENS1_38merge_sort_block_merge_config_selectorIjNS0_10empty_typeEEEZZNS1_27merge_sort_block_merge_implIS3_N6thrust23THRUST_200600_302600_NS6detail15normal_iteratorINS9_10device_ptrIjEEEEPS5_jNS1_19radix_merge_compareILb0ELb1EjNS0_19identity_decomposerEEEEE10hipError_tT0_T1_T2_jT3_P12ihipStream_tbPNSt15iterator_traitsISK_E10value_typeEPNSQ_ISL_E10value_typeEPSM_NS1_7vsmem_tEENKUlT_SK_SL_SM_E_clISE_PjSF_SF_EESJ_SZ_SK_SL_SM_EUlSZ_E1_NS1_11comp_targetILNS1_3genE0ELNS1_11target_archE4294967295ELNS1_3gpuE0ELNS1_3repE0EEENS1_36merge_oddeven_config_static_selectorELNS0_4arch9wavefront6targetE1EEEvSL_
	.globl	_ZN7rocprim17ROCPRIM_400000_NS6detail17trampoline_kernelINS0_14default_configENS1_38merge_sort_block_merge_config_selectorIjNS0_10empty_typeEEEZZNS1_27merge_sort_block_merge_implIS3_N6thrust23THRUST_200600_302600_NS6detail15normal_iteratorINS9_10device_ptrIjEEEEPS5_jNS1_19radix_merge_compareILb0ELb1EjNS0_19identity_decomposerEEEEE10hipError_tT0_T1_T2_jT3_P12ihipStream_tbPNSt15iterator_traitsISK_E10value_typeEPNSQ_ISL_E10value_typeEPSM_NS1_7vsmem_tEENKUlT_SK_SL_SM_E_clISE_PjSF_SF_EESJ_SZ_SK_SL_SM_EUlSZ_E1_NS1_11comp_targetILNS1_3genE0ELNS1_11target_archE4294967295ELNS1_3gpuE0ELNS1_3repE0EEENS1_36merge_oddeven_config_static_selectorELNS0_4arch9wavefront6targetE1EEEvSL_
	.p2align	8
	.type	_ZN7rocprim17ROCPRIM_400000_NS6detail17trampoline_kernelINS0_14default_configENS1_38merge_sort_block_merge_config_selectorIjNS0_10empty_typeEEEZZNS1_27merge_sort_block_merge_implIS3_N6thrust23THRUST_200600_302600_NS6detail15normal_iteratorINS9_10device_ptrIjEEEEPS5_jNS1_19radix_merge_compareILb0ELb1EjNS0_19identity_decomposerEEEEE10hipError_tT0_T1_T2_jT3_P12ihipStream_tbPNSt15iterator_traitsISK_E10value_typeEPNSQ_ISL_E10value_typeEPSM_NS1_7vsmem_tEENKUlT_SK_SL_SM_E_clISE_PjSF_SF_EESJ_SZ_SK_SL_SM_EUlSZ_E1_NS1_11comp_targetILNS1_3genE0ELNS1_11target_archE4294967295ELNS1_3gpuE0ELNS1_3repE0EEENS1_36merge_oddeven_config_static_selectorELNS0_4arch9wavefront6targetE1EEEvSL_,@function
_ZN7rocprim17ROCPRIM_400000_NS6detail17trampoline_kernelINS0_14default_configENS1_38merge_sort_block_merge_config_selectorIjNS0_10empty_typeEEEZZNS1_27merge_sort_block_merge_implIS3_N6thrust23THRUST_200600_302600_NS6detail15normal_iteratorINS9_10device_ptrIjEEEEPS5_jNS1_19radix_merge_compareILb0ELb1EjNS0_19identity_decomposerEEEEE10hipError_tT0_T1_T2_jT3_P12ihipStream_tbPNSt15iterator_traitsISK_E10value_typeEPNSQ_ISL_E10value_typeEPSM_NS1_7vsmem_tEENKUlT_SK_SL_SM_E_clISE_PjSF_SF_EESJ_SZ_SK_SL_SM_EUlSZ_E1_NS1_11comp_targetILNS1_3genE0ELNS1_11target_archE4294967295ELNS1_3gpuE0ELNS1_3repE0EEENS1_36merge_oddeven_config_static_selectorELNS0_4arch9wavefront6targetE1EEEvSL_: ; @_ZN7rocprim17ROCPRIM_400000_NS6detail17trampoline_kernelINS0_14default_configENS1_38merge_sort_block_merge_config_selectorIjNS0_10empty_typeEEEZZNS1_27merge_sort_block_merge_implIS3_N6thrust23THRUST_200600_302600_NS6detail15normal_iteratorINS9_10device_ptrIjEEEEPS5_jNS1_19radix_merge_compareILb0ELb1EjNS0_19identity_decomposerEEEEE10hipError_tT0_T1_T2_jT3_P12ihipStream_tbPNSt15iterator_traitsISK_E10value_typeEPNSQ_ISL_E10value_typeEPSM_NS1_7vsmem_tEENKUlT_SK_SL_SM_E_clISE_PjSF_SF_EESJ_SZ_SK_SL_SM_EUlSZ_E1_NS1_11comp_targetILNS1_3genE0ELNS1_11target_archE4294967295ELNS1_3gpuE0ELNS1_3repE0EEENS1_36merge_oddeven_config_static_selectorELNS0_4arch9wavefront6targetE1EEEvSL_
; %bb.0:
	.section	.rodata,"a",@progbits
	.p2align	6, 0x0
	.amdhsa_kernel _ZN7rocprim17ROCPRIM_400000_NS6detail17trampoline_kernelINS0_14default_configENS1_38merge_sort_block_merge_config_selectorIjNS0_10empty_typeEEEZZNS1_27merge_sort_block_merge_implIS3_N6thrust23THRUST_200600_302600_NS6detail15normal_iteratorINS9_10device_ptrIjEEEEPS5_jNS1_19radix_merge_compareILb0ELb1EjNS0_19identity_decomposerEEEEE10hipError_tT0_T1_T2_jT3_P12ihipStream_tbPNSt15iterator_traitsISK_E10value_typeEPNSQ_ISL_E10value_typeEPSM_NS1_7vsmem_tEENKUlT_SK_SL_SM_E_clISE_PjSF_SF_EESJ_SZ_SK_SL_SM_EUlSZ_E1_NS1_11comp_targetILNS1_3genE0ELNS1_11target_archE4294967295ELNS1_3gpuE0ELNS1_3repE0EEENS1_36merge_oddeven_config_static_selectorELNS0_4arch9wavefront6targetE1EEEvSL_
		.amdhsa_group_segment_fixed_size 0
		.amdhsa_private_segment_fixed_size 0
		.amdhsa_kernarg_size 48
		.amdhsa_user_sgpr_count 2
		.amdhsa_user_sgpr_dispatch_ptr 0
		.amdhsa_user_sgpr_queue_ptr 0
		.amdhsa_user_sgpr_kernarg_segment_ptr 1
		.amdhsa_user_sgpr_dispatch_id 0
		.amdhsa_user_sgpr_kernarg_preload_length 0
		.amdhsa_user_sgpr_kernarg_preload_offset 0
		.amdhsa_user_sgpr_private_segment_size 0
		.amdhsa_uses_dynamic_stack 0
		.amdhsa_enable_private_segment 0
		.amdhsa_system_sgpr_workgroup_id_x 1
		.amdhsa_system_sgpr_workgroup_id_y 0
		.amdhsa_system_sgpr_workgroup_id_z 0
		.amdhsa_system_sgpr_workgroup_info 0
		.amdhsa_system_vgpr_workitem_id 0
		.amdhsa_next_free_vgpr 1
		.amdhsa_next_free_sgpr 0
		.amdhsa_accum_offset 4
		.amdhsa_reserve_vcc 0
		.amdhsa_float_round_mode_32 0
		.amdhsa_float_round_mode_16_64 0
		.amdhsa_float_denorm_mode_32 3
		.amdhsa_float_denorm_mode_16_64 3
		.amdhsa_dx10_clamp 1
		.amdhsa_ieee_mode 1
		.amdhsa_fp16_overflow 0
		.amdhsa_tg_split 0
		.amdhsa_exception_fp_ieee_invalid_op 0
		.amdhsa_exception_fp_denorm_src 0
		.amdhsa_exception_fp_ieee_div_zero 0
		.amdhsa_exception_fp_ieee_overflow 0
		.amdhsa_exception_fp_ieee_underflow 0
		.amdhsa_exception_fp_ieee_inexact 0
		.amdhsa_exception_int_div_zero 0
	.end_amdhsa_kernel
	.section	.text._ZN7rocprim17ROCPRIM_400000_NS6detail17trampoline_kernelINS0_14default_configENS1_38merge_sort_block_merge_config_selectorIjNS0_10empty_typeEEEZZNS1_27merge_sort_block_merge_implIS3_N6thrust23THRUST_200600_302600_NS6detail15normal_iteratorINS9_10device_ptrIjEEEEPS5_jNS1_19radix_merge_compareILb0ELb1EjNS0_19identity_decomposerEEEEE10hipError_tT0_T1_T2_jT3_P12ihipStream_tbPNSt15iterator_traitsISK_E10value_typeEPNSQ_ISL_E10value_typeEPSM_NS1_7vsmem_tEENKUlT_SK_SL_SM_E_clISE_PjSF_SF_EESJ_SZ_SK_SL_SM_EUlSZ_E1_NS1_11comp_targetILNS1_3genE0ELNS1_11target_archE4294967295ELNS1_3gpuE0ELNS1_3repE0EEENS1_36merge_oddeven_config_static_selectorELNS0_4arch9wavefront6targetE1EEEvSL_,"axG",@progbits,_ZN7rocprim17ROCPRIM_400000_NS6detail17trampoline_kernelINS0_14default_configENS1_38merge_sort_block_merge_config_selectorIjNS0_10empty_typeEEEZZNS1_27merge_sort_block_merge_implIS3_N6thrust23THRUST_200600_302600_NS6detail15normal_iteratorINS9_10device_ptrIjEEEEPS5_jNS1_19radix_merge_compareILb0ELb1EjNS0_19identity_decomposerEEEEE10hipError_tT0_T1_T2_jT3_P12ihipStream_tbPNSt15iterator_traitsISK_E10value_typeEPNSQ_ISL_E10value_typeEPSM_NS1_7vsmem_tEENKUlT_SK_SL_SM_E_clISE_PjSF_SF_EESJ_SZ_SK_SL_SM_EUlSZ_E1_NS1_11comp_targetILNS1_3genE0ELNS1_11target_archE4294967295ELNS1_3gpuE0ELNS1_3repE0EEENS1_36merge_oddeven_config_static_selectorELNS0_4arch9wavefront6targetE1EEEvSL_,comdat
.Lfunc_end1066:
	.size	_ZN7rocprim17ROCPRIM_400000_NS6detail17trampoline_kernelINS0_14default_configENS1_38merge_sort_block_merge_config_selectorIjNS0_10empty_typeEEEZZNS1_27merge_sort_block_merge_implIS3_N6thrust23THRUST_200600_302600_NS6detail15normal_iteratorINS9_10device_ptrIjEEEEPS5_jNS1_19radix_merge_compareILb0ELb1EjNS0_19identity_decomposerEEEEE10hipError_tT0_T1_T2_jT3_P12ihipStream_tbPNSt15iterator_traitsISK_E10value_typeEPNSQ_ISL_E10value_typeEPSM_NS1_7vsmem_tEENKUlT_SK_SL_SM_E_clISE_PjSF_SF_EESJ_SZ_SK_SL_SM_EUlSZ_E1_NS1_11comp_targetILNS1_3genE0ELNS1_11target_archE4294967295ELNS1_3gpuE0ELNS1_3repE0EEENS1_36merge_oddeven_config_static_selectorELNS0_4arch9wavefront6targetE1EEEvSL_, .Lfunc_end1066-_ZN7rocprim17ROCPRIM_400000_NS6detail17trampoline_kernelINS0_14default_configENS1_38merge_sort_block_merge_config_selectorIjNS0_10empty_typeEEEZZNS1_27merge_sort_block_merge_implIS3_N6thrust23THRUST_200600_302600_NS6detail15normal_iteratorINS9_10device_ptrIjEEEEPS5_jNS1_19radix_merge_compareILb0ELb1EjNS0_19identity_decomposerEEEEE10hipError_tT0_T1_T2_jT3_P12ihipStream_tbPNSt15iterator_traitsISK_E10value_typeEPNSQ_ISL_E10value_typeEPSM_NS1_7vsmem_tEENKUlT_SK_SL_SM_E_clISE_PjSF_SF_EESJ_SZ_SK_SL_SM_EUlSZ_E1_NS1_11comp_targetILNS1_3genE0ELNS1_11target_archE4294967295ELNS1_3gpuE0ELNS1_3repE0EEENS1_36merge_oddeven_config_static_selectorELNS0_4arch9wavefront6targetE1EEEvSL_
                                        ; -- End function
	.section	.AMDGPU.csdata,"",@progbits
; Kernel info:
; codeLenInByte = 0
; NumSgprs: 6
; NumVgprs: 0
; NumAgprs: 0
; TotalNumVgprs: 0
; ScratchSize: 0
; MemoryBound: 0
; FloatMode: 240
; IeeeMode: 1
; LDSByteSize: 0 bytes/workgroup (compile time only)
; SGPRBlocks: 0
; VGPRBlocks: 0
; NumSGPRsForWavesPerEU: 6
; NumVGPRsForWavesPerEU: 1
; AccumOffset: 4
; Occupancy: 8
; WaveLimiterHint : 0
; COMPUTE_PGM_RSRC2:SCRATCH_EN: 0
; COMPUTE_PGM_RSRC2:USER_SGPR: 2
; COMPUTE_PGM_RSRC2:TRAP_HANDLER: 0
; COMPUTE_PGM_RSRC2:TGID_X_EN: 1
; COMPUTE_PGM_RSRC2:TGID_Y_EN: 0
; COMPUTE_PGM_RSRC2:TGID_Z_EN: 0
; COMPUTE_PGM_RSRC2:TIDIG_COMP_CNT: 0
; COMPUTE_PGM_RSRC3_GFX90A:ACCUM_OFFSET: 0
; COMPUTE_PGM_RSRC3_GFX90A:TG_SPLIT: 0
	.section	.text._ZN7rocprim17ROCPRIM_400000_NS6detail17trampoline_kernelINS0_14default_configENS1_38merge_sort_block_merge_config_selectorIjNS0_10empty_typeEEEZZNS1_27merge_sort_block_merge_implIS3_N6thrust23THRUST_200600_302600_NS6detail15normal_iteratorINS9_10device_ptrIjEEEEPS5_jNS1_19radix_merge_compareILb0ELb1EjNS0_19identity_decomposerEEEEE10hipError_tT0_T1_T2_jT3_P12ihipStream_tbPNSt15iterator_traitsISK_E10value_typeEPNSQ_ISL_E10value_typeEPSM_NS1_7vsmem_tEENKUlT_SK_SL_SM_E_clISE_PjSF_SF_EESJ_SZ_SK_SL_SM_EUlSZ_E1_NS1_11comp_targetILNS1_3genE10ELNS1_11target_archE1201ELNS1_3gpuE5ELNS1_3repE0EEENS1_36merge_oddeven_config_static_selectorELNS0_4arch9wavefront6targetE1EEEvSL_,"axG",@progbits,_ZN7rocprim17ROCPRIM_400000_NS6detail17trampoline_kernelINS0_14default_configENS1_38merge_sort_block_merge_config_selectorIjNS0_10empty_typeEEEZZNS1_27merge_sort_block_merge_implIS3_N6thrust23THRUST_200600_302600_NS6detail15normal_iteratorINS9_10device_ptrIjEEEEPS5_jNS1_19radix_merge_compareILb0ELb1EjNS0_19identity_decomposerEEEEE10hipError_tT0_T1_T2_jT3_P12ihipStream_tbPNSt15iterator_traitsISK_E10value_typeEPNSQ_ISL_E10value_typeEPSM_NS1_7vsmem_tEENKUlT_SK_SL_SM_E_clISE_PjSF_SF_EESJ_SZ_SK_SL_SM_EUlSZ_E1_NS1_11comp_targetILNS1_3genE10ELNS1_11target_archE1201ELNS1_3gpuE5ELNS1_3repE0EEENS1_36merge_oddeven_config_static_selectorELNS0_4arch9wavefront6targetE1EEEvSL_,comdat
	.protected	_ZN7rocprim17ROCPRIM_400000_NS6detail17trampoline_kernelINS0_14default_configENS1_38merge_sort_block_merge_config_selectorIjNS0_10empty_typeEEEZZNS1_27merge_sort_block_merge_implIS3_N6thrust23THRUST_200600_302600_NS6detail15normal_iteratorINS9_10device_ptrIjEEEEPS5_jNS1_19radix_merge_compareILb0ELb1EjNS0_19identity_decomposerEEEEE10hipError_tT0_T1_T2_jT3_P12ihipStream_tbPNSt15iterator_traitsISK_E10value_typeEPNSQ_ISL_E10value_typeEPSM_NS1_7vsmem_tEENKUlT_SK_SL_SM_E_clISE_PjSF_SF_EESJ_SZ_SK_SL_SM_EUlSZ_E1_NS1_11comp_targetILNS1_3genE10ELNS1_11target_archE1201ELNS1_3gpuE5ELNS1_3repE0EEENS1_36merge_oddeven_config_static_selectorELNS0_4arch9wavefront6targetE1EEEvSL_ ; -- Begin function _ZN7rocprim17ROCPRIM_400000_NS6detail17trampoline_kernelINS0_14default_configENS1_38merge_sort_block_merge_config_selectorIjNS0_10empty_typeEEEZZNS1_27merge_sort_block_merge_implIS3_N6thrust23THRUST_200600_302600_NS6detail15normal_iteratorINS9_10device_ptrIjEEEEPS5_jNS1_19radix_merge_compareILb0ELb1EjNS0_19identity_decomposerEEEEE10hipError_tT0_T1_T2_jT3_P12ihipStream_tbPNSt15iterator_traitsISK_E10value_typeEPNSQ_ISL_E10value_typeEPSM_NS1_7vsmem_tEENKUlT_SK_SL_SM_E_clISE_PjSF_SF_EESJ_SZ_SK_SL_SM_EUlSZ_E1_NS1_11comp_targetILNS1_3genE10ELNS1_11target_archE1201ELNS1_3gpuE5ELNS1_3repE0EEENS1_36merge_oddeven_config_static_selectorELNS0_4arch9wavefront6targetE1EEEvSL_
	.globl	_ZN7rocprim17ROCPRIM_400000_NS6detail17trampoline_kernelINS0_14default_configENS1_38merge_sort_block_merge_config_selectorIjNS0_10empty_typeEEEZZNS1_27merge_sort_block_merge_implIS3_N6thrust23THRUST_200600_302600_NS6detail15normal_iteratorINS9_10device_ptrIjEEEEPS5_jNS1_19radix_merge_compareILb0ELb1EjNS0_19identity_decomposerEEEEE10hipError_tT0_T1_T2_jT3_P12ihipStream_tbPNSt15iterator_traitsISK_E10value_typeEPNSQ_ISL_E10value_typeEPSM_NS1_7vsmem_tEENKUlT_SK_SL_SM_E_clISE_PjSF_SF_EESJ_SZ_SK_SL_SM_EUlSZ_E1_NS1_11comp_targetILNS1_3genE10ELNS1_11target_archE1201ELNS1_3gpuE5ELNS1_3repE0EEENS1_36merge_oddeven_config_static_selectorELNS0_4arch9wavefront6targetE1EEEvSL_
	.p2align	8
	.type	_ZN7rocprim17ROCPRIM_400000_NS6detail17trampoline_kernelINS0_14default_configENS1_38merge_sort_block_merge_config_selectorIjNS0_10empty_typeEEEZZNS1_27merge_sort_block_merge_implIS3_N6thrust23THRUST_200600_302600_NS6detail15normal_iteratorINS9_10device_ptrIjEEEEPS5_jNS1_19radix_merge_compareILb0ELb1EjNS0_19identity_decomposerEEEEE10hipError_tT0_T1_T2_jT3_P12ihipStream_tbPNSt15iterator_traitsISK_E10value_typeEPNSQ_ISL_E10value_typeEPSM_NS1_7vsmem_tEENKUlT_SK_SL_SM_E_clISE_PjSF_SF_EESJ_SZ_SK_SL_SM_EUlSZ_E1_NS1_11comp_targetILNS1_3genE10ELNS1_11target_archE1201ELNS1_3gpuE5ELNS1_3repE0EEENS1_36merge_oddeven_config_static_selectorELNS0_4arch9wavefront6targetE1EEEvSL_,@function
_ZN7rocprim17ROCPRIM_400000_NS6detail17trampoline_kernelINS0_14default_configENS1_38merge_sort_block_merge_config_selectorIjNS0_10empty_typeEEEZZNS1_27merge_sort_block_merge_implIS3_N6thrust23THRUST_200600_302600_NS6detail15normal_iteratorINS9_10device_ptrIjEEEEPS5_jNS1_19radix_merge_compareILb0ELb1EjNS0_19identity_decomposerEEEEE10hipError_tT0_T1_T2_jT3_P12ihipStream_tbPNSt15iterator_traitsISK_E10value_typeEPNSQ_ISL_E10value_typeEPSM_NS1_7vsmem_tEENKUlT_SK_SL_SM_E_clISE_PjSF_SF_EESJ_SZ_SK_SL_SM_EUlSZ_E1_NS1_11comp_targetILNS1_3genE10ELNS1_11target_archE1201ELNS1_3gpuE5ELNS1_3repE0EEENS1_36merge_oddeven_config_static_selectorELNS0_4arch9wavefront6targetE1EEEvSL_: ; @_ZN7rocprim17ROCPRIM_400000_NS6detail17trampoline_kernelINS0_14default_configENS1_38merge_sort_block_merge_config_selectorIjNS0_10empty_typeEEEZZNS1_27merge_sort_block_merge_implIS3_N6thrust23THRUST_200600_302600_NS6detail15normal_iteratorINS9_10device_ptrIjEEEEPS5_jNS1_19radix_merge_compareILb0ELb1EjNS0_19identity_decomposerEEEEE10hipError_tT0_T1_T2_jT3_P12ihipStream_tbPNSt15iterator_traitsISK_E10value_typeEPNSQ_ISL_E10value_typeEPSM_NS1_7vsmem_tEENKUlT_SK_SL_SM_E_clISE_PjSF_SF_EESJ_SZ_SK_SL_SM_EUlSZ_E1_NS1_11comp_targetILNS1_3genE10ELNS1_11target_archE1201ELNS1_3gpuE5ELNS1_3repE0EEENS1_36merge_oddeven_config_static_selectorELNS0_4arch9wavefront6targetE1EEEvSL_
; %bb.0:
	.section	.rodata,"a",@progbits
	.p2align	6, 0x0
	.amdhsa_kernel _ZN7rocprim17ROCPRIM_400000_NS6detail17trampoline_kernelINS0_14default_configENS1_38merge_sort_block_merge_config_selectorIjNS0_10empty_typeEEEZZNS1_27merge_sort_block_merge_implIS3_N6thrust23THRUST_200600_302600_NS6detail15normal_iteratorINS9_10device_ptrIjEEEEPS5_jNS1_19radix_merge_compareILb0ELb1EjNS0_19identity_decomposerEEEEE10hipError_tT0_T1_T2_jT3_P12ihipStream_tbPNSt15iterator_traitsISK_E10value_typeEPNSQ_ISL_E10value_typeEPSM_NS1_7vsmem_tEENKUlT_SK_SL_SM_E_clISE_PjSF_SF_EESJ_SZ_SK_SL_SM_EUlSZ_E1_NS1_11comp_targetILNS1_3genE10ELNS1_11target_archE1201ELNS1_3gpuE5ELNS1_3repE0EEENS1_36merge_oddeven_config_static_selectorELNS0_4arch9wavefront6targetE1EEEvSL_
		.amdhsa_group_segment_fixed_size 0
		.amdhsa_private_segment_fixed_size 0
		.amdhsa_kernarg_size 48
		.amdhsa_user_sgpr_count 2
		.amdhsa_user_sgpr_dispatch_ptr 0
		.amdhsa_user_sgpr_queue_ptr 0
		.amdhsa_user_sgpr_kernarg_segment_ptr 1
		.amdhsa_user_sgpr_dispatch_id 0
		.amdhsa_user_sgpr_kernarg_preload_length 0
		.amdhsa_user_sgpr_kernarg_preload_offset 0
		.amdhsa_user_sgpr_private_segment_size 0
		.amdhsa_uses_dynamic_stack 0
		.amdhsa_enable_private_segment 0
		.amdhsa_system_sgpr_workgroup_id_x 1
		.amdhsa_system_sgpr_workgroup_id_y 0
		.amdhsa_system_sgpr_workgroup_id_z 0
		.amdhsa_system_sgpr_workgroup_info 0
		.amdhsa_system_vgpr_workitem_id 0
		.amdhsa_next_free_vgpr 1
		.amdhsa_next_free_sgpr 0
		.amdhsa_accum_offset 4
		.amdhsa_reserve_vcc 0
		.amdhsa_float_round_mode_32 0
		.amdhsa_float_round_mode_16_64 0
		.amdhsa_float_denorm_mode_32 3
		.amdhsa_float_denorm_mode_16_64 3
		.amdhsa_dx10_clamp 1
		.amdhsa_ieee_mode 1
		.amdhsa_fp16_overflow 0
		.amdhsa_tg_split 0
		.amdhsa_exception_fp_ieee_invalid_op 0
		.amdhsa_exception_fp_denorm_src 0
		.amdhsa_exception_fp_ieee_div_zero 0
		.amdhsa_exception_fp_ieee_overflow 0
		.amdhsa_exception_fp_ieee_underflow 0
		.amdhsa_exception_fp_ieee_inexact 0
		.amdhsa_exception_int_div_zero 0
	.end_amdhsa_kernel
	.section	.text._ZN7rocprim17ROCPRIM_400000_NS6detail17trampoline_kernelINS0_14default_configENS1_38merge_sort_block_merge_config_selectorIjNS0_10empty_typeEEEZZNS1_27merge_sort_block_merge_implIS3_N6thrust23THRUST_200600_302600_NS6detail15normal_iteratorINS9_10device_ptrIjEEEEPS5_jNS1_19radix_merge_compareILb0ELb1EjNS0_19identity_decomposerEEEEE10hipError_tT0_T1_T2_jT3_P12ihipStream_tbPNSt15iterator_traitsISK_E10value_typeEPNSQ_ISL_E10value_typeEPSM_NS1_7vsmem_tEENKUlT_SK_SL_SM_E_clISE_PjSF_SF_EESJ_SZ_SK_SL_SM_EUlSZ_E1_NS1_11comp_targetILNS1_3genE10ELNS1_11target_archE1201ELNS1_3gpuE5ELNS1_3repE0EEENS1_36merge_oddeven_config_static_selectorELNS0_4arch9wavefront6targetE1EEEvSL_,"axG",@progbits,_ZN7rocprim17ROCPRIM_400000_NS6detail17trampoline_kernelINS0_14default_configENS1_38merge_sort_block_merge_config_selectorIjNS0_10empty_typeEEEZZNS1_27merge_sort_block_merge_implIS3_N6thrust23THRUST_200600_302600_NS6detail15normal_iteratorINS9_10device_ptrIjEEEEPS5_jNS1_19radix_merge_compareILb0ELb1EjNS0_19identity_decomposerEEEEE10hipError_tT0_T1_T2_jT3_P12ihipStream_tbPNSt15iterator_traitsISK_E10value_typeEPNSQ_ISL_E10value_typeEPSM_NS1_7vsmem_tEENKUlT_SK_SL_SM_E_clISE_PjSF_SF_EESJ_SZ_SK_SL_SM_EUlSZ_E1_NS1_11comp_targetILNS1_3genE10ELNS1_11target_archE1201ELNS1_3gpuE5ELNS1_3repE0EEENS1_36merge_oddeven_config_static_selectorELNS0_4arch9wavefront6targetE1EEEvSL_,comdat
.Lfunc_end1067:
	.size	_ZN7rocprim17ROCPRIM_400000_NS6detail17trampoline_kernelINS0_14default_configENS1_38merge_sort_block_merge_config_selectorIjNS0_10empty_typeEEEZZNS1_27merge_sort_block_merge_implIS3_N6thrust23THRUST_200600_302600_NS6detail15normal_iteratorINS9_10device_ptrIjEEEEPS5_jNS1_19radix_merge_compareILb0ELb1EjNS0_19identity_decomposerEEEEE10hipError_tT0_T1_T2_jT3_P12ihipStream_tbPNSt15iterator_traitsISK_E10value_typeEPNSQ_ISL_E10value_typeEPSM_NS1_7vsmem_tEENKUlT_SK_SL_SM_E_clISE_PjSF_SF_EESJ_SZ_SK_SL_SM_EUlSZ_E1_NS1_11comp_targetILNS1_3genE10ELNS1_11target_archE1201ELNS1_3gpuE5ELNS1_3repE0EEENS1_36merge_oddeven_config_static_selectorELNS0_4arch9wavefront6targetE1EEEvSL_, .Lfunc_end1067-_ZN7rocprim17ROCPRIM_400000_NS6detail17trampoline_kernelINS0_14default_configENS1_38merge_sort_block_merge_config_selectorIjNS0_10empty_typeEEEZZNS1_27merge_sort_block_merge_implIS3_N6thrust23THRUST_200600_302600_NS6detail15normal_iteratorINS9_10device_ptrIjEEEEPS5_jNS1_19radix_merge_compareILb0ELb1EjNS0_19identity_decomposerEEEEE10hipError_tT0_T1_T2_jT3_P12ihipStream_tbPNSt15iterator_traitsISK_E10value_typeEPNSQ_ISL_E10value_typeEPSM_NS1_7vsmem_tEENKUlT_SK_SL_SM_E_clISE_PjSF_SF_EESJ_SZ_SK_SL_SM_EUlSZ_E1_NS1_11comp_targetILNS1_3genE10ELNS1_11target_archE1201ELNS1_3gpuE5ELNS1_3repE0EEENS1_36merge_oddeven_config_static_selectorELNS0_4arch9wavefront6targetE1EEEvSL_
                                        ; -- End function
	.section	.AMDGPU.csdata,"",@progbits
; Kernel info:
; codeLenInByte = 0
; NumSgprs: 6
; NumVgprs: 0
; NumAgprs: 0
; TotalNumVgprs: 0
; ScratchSize: 0
; MemoryBound: 0
; FloatMode: 240
; IeeeMode: 1
; LDSByteSize: 0 bytes/workgroup (compile time only)
; SGPRBlocks: 0
; VGPRBlocks: 0
; NumSGPRsForWavesPerEU: 6
; NumVGPRsForWavesPerEU: 1
; AccumOffset: 4
; Occupancy: 8
; WaveLimiterHint : 0
; COMPUTE_PGM_RSRC2:SCRATCH_EN: 0
; COMPUTE_PGM_RSRC2:USER_SGPR: 2
; COMPUTE_PGM_RSRC2:TRAP_HANDLER: 0
; COMPUTE_PGM_RSRC2:TGID_X_EN: 1
; COMPUTE_PGM_RSRC2:TGID_Y_EN: 0
; COMPUTE_PGM_RSRC2:TGID_Z_EN: 0
; COMPUTE_PGM_RSRC2:TIDIG_COMP_CNT: 0
; COMPUTE_PGM_RSRC3_GFX90A:ACCUM_OFFSET: 0
; COMPUTE_PGM_RSRC3_GFX90A:TG_SPLIT: 0
	.section	.text._ZN7rocprim17ROCPRIM_400000_NS6detail17trampoline_kernelINS0_14default_configENS1_38merge_sort_block_merge_config_selectorIjNS0_10empty_typeEEEZZNS1_27merge_sort_block_merge_implIS3_N6thrust23THRUST_200600_302600_NS6detail15normal_iteratorINS9_10device_ptrIjEEEEPS5_jNS1_19radix_merge_compareILb0ELb1EjNS0_19identity_decomposerEEEEE10hipError_tT0_T1_T2_jT3_P12ihipStream_tbPNSt15iterator_traitsISK_E10value_typeEPNSQ_ISL_E10value_typeEPSM_NS1_7vsmem_tEENKUlT_SK_SL_SM_E_clISE_PjSF_SF_EESJ_SZ_SK_SL_SM_EUlSZ_E1_NS1_11comp_targetILNS1_3genE5ELNS1_11target_archE942ELNS1_3gpuE9ELNS1_3repE0EEENS1_36merge_oddeven_config_static_selectorELNS0_4arch9wavefront6targetE1EEEvSL_,"axG",@progbits,_ZN7rocprim17ROCPRIM_400000_NS6detail17trampoline_kernelINS0_14default_configENS1_38merge_sort_block_merge_config_selectorIjNS0_10empty_typeEEEZZNS1_27merge_sort_block_merge_implIS3_N6thrust23THRUST_200600_302600_NS6detail15normal_iteratorINS9_10device_ptrIjEEEEPS5_jNS1_19radix_merge_compareILb0ELb1EjNS0_19identity_decomposerEEEEE10hipError_tT0_T1_T2_jT3_P12ihipStream_tbPNSt15iterator_traitsISK_E10value_typeEPNSQ_ISL_E10value_typeEPSM_NS1_7vsmem_tEENKUlT_SK_SL_SM_E_clISE_PjSF_SF_EESJ_SZ_SK_SL_SM_EUlSZ_E1_NS1_11comp_targetILNS1_3genE5ELNS1_11target_archE942ELNS1_3gpuE9ELNS1_3repE0EEENS1_36merge_oddeven_config_static_selectorELNS0_4arch9wavefront6targetE1EEEvSL_,comdat
	.protected	_ZN7rocprim17ROCPRIM_400000_NS6detail17trampoline_kernelINS0_14default_configENS1_38merge_sort_block_merge_config_selectorIjNS0_10empty_typeEEEZZNS1_27merge_sort_block_merge_implIS3_N6thrust23THRUST_200600_302600_NS6detail15normal_iteratorINS9_10device_ptrIjEEEEPS5_jNS1_19radix_merge_compareILb0ELb1EjNS0_19identity_decomposerEEEEE10hipError_tT0_T1_T2_jT3_P12ihipStream_tbPNSt15iterator_traitsISK_E10value_typeEPNSQ_ISL_E10value_typeEPSM_NS1_7vsmem_tEENKUlT_SK_SL_SM_E_clISE_PjSF_SF_EESJ_SZ_SK_SL_SM_EUlSZ_E1_NS1_11comp_targetILNS1_3genE5ELNS1_11target_archE942ELNS1_3gpuE9ELNS1_3repE0EEENS1_36merge_oddeven_config_static_selectorELNS0_4arch9wavefront6targetE1EEEvSL_ ; -- Begin function _ZN7rocprim17ROCPRIM_400000_NS6detail17trampoline_kernelINS0_14default_configENS1_38merge_sort_block_merge_config_selectorIjNS0_10empty_typeEEEZZNS1_27merge_sort_block_merge_implIS3_N6thrust23THRUST_200600_302600_NS6detail15normal_iteratorINS9_10device_ptrIjEEEEPS5_jNS1_19radix_merge_compareILb0ELb1EjNS0_19identity_decomposerEEEEE10hipError_tT0_T1_T2_jT3_P12ihipStream_tbPNSt15iterator_traitsISK_E10value_typeEPNSQ_ISL_E10value_typeEPSM_NS1_7vsmem_tEENKUlT_SK_SL_SM_E_clISE_PjSF_SF_EESJ_SZ_SK_SL_SM_EUlSZ_E1_NS1_11comp_targetILNS1_3genE5ELNS1_11target_archE942ELNS1_3gpuE9ELNS1_3repE0EEENS1_36merge_oddeven_config_static_selectorELNS0_4arch9wavefront6targetE1EEEvSL_
	.globl	_ZN7rocprim17ROCPRIM_400000_NS6detail17trampoline_kernelINS0_14default_configENS1_38merge_sort_block_merge_config_selectorIjNS0_10empty_typeEEEZZNS1_27merge_sort_block_merge_implIS3_N6thrust23THRUST_200600_302600_NS6detail15normal_iteratorINS9_10device_ptrIjEEEEPS5_jNS1_19radix_merge_compareILb0ELb1EjNS0_19identity_decomposerEEEEE10hipError_tT0_T1_T2_jT3_P12ihipStream_tbPNSt15iterator_traitsISK_E10value_typeEPNSQ_ISL_E10value_typeEPSM_NS1_7vsmem_tEENKUlT_SK_SL_SM_E_clISE_PjSF_SF_EESJ_SZ_SK_SL_SM_EUlSZ_E1_NS1_11comp_targetILNS1_3genE5ELNS1_11target_archE942ELNS1_3gpuE9ELNS1_3repE0EEENS1_36merge_oddeven_config_static_selectorELNS0_4arch9wavefront6targetE1EEEvSL_
	.p2align	8
	.type	_ZN7rocprim17ROCPRIM_400000_NS6detail17trampoline_kernelINS0_14default_configENS1_38merge_sort_block_merge_config_selectorIjNS0_10empty_typeEEEZZNS1_27merge_sort_block_merge_implIS3_N6thrust23THRUST_200600_302600_NS6detail15normal_iteratorINS9_10device_ptrIjEEEEPS5_jNS1_19radix_merge_compareILb0ELb1EjNS0_19identity_decomposerEEEEE10hipError_tT0_T1_T2_jT3_P12ihipStream_tbPNSt15iterator_traitsISK_E10value_typeEPNSQ_ISL_E10value_typeEPSM_NS1_7vsmem_tEENKUlT_SK_SL_SM_E_clISE_PjSF_SF_EESJ_SZ_SK_SL_SM_EUlSZ_E1_NS1_11comp_targetILNS1_3genE5ELNS1_11target_archE942ELNS1_3gpuE9ELNS1_3repE0EEENS1_36merge_oddeven_config_static_selectorELNS0_4arch9wavefront6targetE1EEEvSL_,@function
_ZN7rocprim17ROCPRIM_400000_NS6detail17trampoline_kernelINS0_14default_configENS1_38merge_sort_block_merge_config_selectorIjNS0_10empty_typeEEEZZNS1_27merge_sort_block_merge_implIS3_N6thrust23THRUST_200600_302600_NS6detail15normal_iteratorINS9_10device_ptrIjEEEEPS5_jNS1_19radix_merge_compareILb0ELb1EjNS0_19identity_decomposerEEEEE10hipError_tT0_T1_T2_jT3_P12ihipStream_tbPNSt15iterator_traitsISK_E10value_typeEPNSQ_ISL_E10value_typeEPSM_NS1_7vsmem_tEENKUlT_SK_SL_SM_E_clISE_PjSF_SF_EESJ_SZ_SK_SL_SM_EUlSZ_E1_NS1_11comp_targetILNS1_3genE5ELNS1_11target_archE942ELNS1_3gpuE9ELNS1_3repE0EEENS1_36merge_oddeven_config_static_selectorELNS0_4arch9wavefront6targetE1EEEvSL_: ; @_ZN7rocprim17ROCPRIM_400000_NS6detail17trampoline_kernelINS0_14default_configENS1_38merge_sort_block_merge_config_selectorIjNS0_10empty_typeEEEZZNS1_27merge_sort_block_merge_implIS3_N6thrust23THRUST_200600_302600_NS6detail15normal_iteratorINS9_10device_ptrIjEEEEPS5_jNS1_19radix_merge_compareILb0ELb1EjNS0_19identity_decomposerEEEEE10hipError_tT0_T1_T2_jT3_P12ihipStream_tbPNSt15iterator_traitsISK_E10value_typeEPNSQ_ISL_E10value_typeEPSM_NS1_7vsmem_tEENKUlT_SK_SL_SM_E_clISE_PjSF_SF_EESJ_SZ_SK_SL_SM_EUlSZ_E1_NS1_11comp_targetILNS1_3genE5ELNS1_11target_archE942ELNS1_3gpuE9ELNS1_3repE0EEENS1_36merge_oddeven_config_static_selectorELNS0_4arch9wavefront6targetE1EEEvSL_
; %bb.0:
	s_load_dword s18, s[0:1], 0x20
	s_waitcnt lgkmcnt(0)
	s_lshr_b32 s3, s18, 8
	s_cmp_lg_u32 s2, s3
	s_cselect_b64 s[14:15], -1, 0
	s_cmp_eq_u32 s2, s3
	s_cselect_b64 s[12:13], -1, 0
	s_lshl_b32 s16, s2, 8
	s_sub_i32 s3, s18, s16
	v_cmp_gt_u32_e64 s[6:7], s3, v0
	s_or_b64 s[4:5], s[14:15], s[6:7]
	s_and_saveexec_b64 s[8:9], s[4:5]
	s_cbranch_execz .LBB1068_20
; %bb.1:
	s_load_dwordx4 s[8:11], s[0:1], 0x0
	s_load_dword s19, s[0:1], 0x24
	s_mov_b32 s17, 0
	s_lshl_b64 s[4:5], s[16:17], 2
	v_lshlrev_b32_e32 v1, 2, v0
	s_waitcnt lgkmcnt(0)
	s_add_u32 s4, s8, s4
	s_addc_u32 s5, s9, s5
	global_load_dword v2, v1, s[4:5]
	s_lshr_b32 s3, s19, 8
	s_sub_i32 s4, 0, s3
	s_and_b32 s2, s2, s4
	s_and_b32 s3, s2, s3
	s_lshl_b32 s20, s2, 8
	s_sub_i32 s17, 0, s19
	s_cmp_eq_u32 s3, 0
	s_cselect_b64 s[4:5], -1, 0
	s_and_b64 s[2:3], s[4:5], exec
	s_cselect_b32 s17, s19, s17
	s_add_i32 s17, s17, s20
	s_cmp_lt_u32 s17, s18
	v_add_u32_e32 v0, s16, v0
	s_cbranch_scc1 .LBB1068_3
; %bb.2:
	v_cmp_gt_u32_e32 vcc, s18, v0
	s_or_b64 s[2:3], vcc, s[14:15]
	s_and_b64 s[2:3], s[2:3], exec
	s_cbranch_execz .LBB1068_4
	s_branch .LBB1068_18
.LBB1068_3:
	s_mov_b64 s[2:3], 0
.LBB1068_4:
	s_load_dword s14, s[0:1], 0x28
	s_min_u32 s15, s17, s18
	s_add_i32 s0, s15, s19
	s_min_u32 s16, s0, s18
	s_min_u32 s0, s20, s15
	s_add_i32 s20, s20, s15
	v_subrev_u32_e32 v0, s20, v0
	v_add_u32_e32 v3, s0, v0
	s_and_b64 vcc, exec, s[12:13]
	s_cbranch_vccz .LBB1068_12
; %bb.5:
                                        ; implicit-def: $vgpr0
	s_and_saveexec_b64 s[0:1], s[6:7]
	s_cbranch_execz .LBB1068_11
; %bb.6:
	s_cmp_ge_u32 s17, s16
	v_mov_b32_e32 v4, s15
	s_cbranch_scc1 .LBB1068_10
; %bb.7:
	s_waitcnt vmcnt(0) lgkmcnt(0)
	v_and_b32_e32 v5, s14, v2
	s_mov_b64 s[6:7], 0
	v_mov_b32_e32 v6, s16
	v_mov_b32_e32 v4, s15
	;; [unrolled: 1-line block ×3, first 2 shown]
.LBB1068_8:                             ; =>This Inner Loop Header: Depth=1
	v_add_u32_e32 v0, v4, v6
	v_lshrrev_b32_e32 v0, 1, v0
	v_lshl_add_u64 v[8:9], v[0:1], 2, s[8:9]
	global_load_dword v7, v[8:9], off
	v_add_u32_e32 v8, 1, v0
	s_waitcnt vmcnt(0)
	v_and_b32_e32 v7, s14, v7
	v_cmp_gt_u32_e32 vcc, v5, v7
	s_nop 1
	v_cndmask_b32_e64 v9, 0, 1, vcc
	v_cmp_le_u32_e32 vcc, v7, v5
	s_nop 1
	v_cndmask_b32_e64 v7, 0, 1, vcc
	v_cndmask_b32_e64 v7, v7, v9, s[4:5]
	v_and_b32_e32 v7, 1, v7
	v_cmp_eq_u32_e32 vcc, 1, v7
	s_nop 1
	v_cndmask_b32_e32 v6, v0, v6, vcc
	v_cndmask_b32_e32 v4, v4, v8, vcc
	v_cmp_ge_u32_e32 vcc, v4, v6
	s_or_b64 s[6:7], vcc, s[6:7]
	s_andn2_b64 exec, exec, s[6:7]
	s_cbranch_execnz .LBB1068_8
; %bb.9:
	s_or_b64 exec, exec, s[6:7]
.LBB1068_10:
	v_add_u32_e32 v0, v4, v3
	s_or_b64 s[2:3], s[2:3], exec
.LBB1068_11:
	s_or_b64 exec, exec, s[0:1]
	s_branch .LBB1068_18
.LBB1068_12:
                                        ; implicit-def: $vgpr0
	s_cbranch_execz .LBB1068_18
; %bb.13:
	s_cmp_ge_u32 s17, s16
	v_mov_b32_e32 v4, s15
	s_cbranch_scc1 .LBB1068_17
; %bb.14:
	s_waitcnt vmcnt(0) lgkmcnt(0)
	v_and_b32_e32 v5, s14, v2
	s_mov_b64 s[0:1], 0
	v_mov_b32_e32 v6, s16
	v_mov_b32_e32 v4, s15
	;; [unrolled: 1-line block ×3, first 2 shown]
.LBB1068_15:                            ; =>This Inner Loop Header: Depth=1
	v_add_u32_e32 v0, v4, v6
	v_lshrrev_b32_e32 v0, 1, v0
	v_lshl_add_u64 v[8:9], v[0:1], 2, s[8:9]
	global_load_dword v7, v[8:9], off
	v_add_u32_e32 v8, 1, v0
	s_waitcnt vmcnt(0)
	v_and_b32_e32 v7, s14, v7
	v_cmp_gt_u32_e32 vcc, v5, v7
	s_nop 1
	v_cndmask_b32_e64 v9, 0, 1, vcc
	v_cmp_le_u32_e32 vcc, v7, v5
	s_nop 1
	v_cndmask_b32_e64 v7, 0, 1, vcc
	v_cndmask_b32_e64 v7, v7, v9, s[4:5]
	v_and_b32_e32 v7, 1, v7
	v_cmp_eq_u32_e32 vcc, 1, v7
	s_nop 1
	v_cndmask_b32_e32 v6, v0, v6, vcc
	v_cndmask_b32_e32 v4, v4, v8, vcc
	v_cmp_ge_u32_e32 vcc, v4, v6
	s_or_b64 s[0:1], vcc, s[0:1]
	s_andn2_b64 exec, exec, s[0:1]
	s_cbranch_execnz .LBB1068_15
; %bb.16:
	s_or_b64 exec, exec, s[0:1]
.LBB1068_17:
	v_add_u32_e32 v0, v4, v3
	s_mov_b64 s[2:3], -1
.LBB1068_18:
	s_and_b64 exec, exec, s[2:3]
	s_cbranch_execz .LBB1068_20
; %bb.19:
	v_mov_b32_e32 v4, s10
	v_mov_b32_e32 v5, s11
	;; [unrolled: 1-line block ×3, first 2 shown]
	v_lshl_add_u64 v[0:1], v[0:1], 2, v[4:5]
	s_waitcnt vmcnt(0)
	global_store_dword v[0:1], v2, off
.LBB1068_20:
	s_endpgm
	.section	.rodata,"a",@progbits
	.p2align	6, 0x0
	.amdhsa_kernel _ZN7rocprim17ROCPRIM_400000_NS6detail17trampoline_kernelINS0_14default_configENS1_38merge_sort_block_merge_config_selectorIjNS0_10empty_typeEEEZZNS1_27merge_sort_block_merge_implIS3_N6thrust23THRUST_200600_302600_NS6detail15normal_iteratorINS9_10device_ptrIjEEEEPS5_jNS1_19radix_merge_compareILb0ELb1EjNS0_19identity_decomposerEEEEE10hipError_tT0_T1_T2_jT3_P12ihipStream_tbPNSt15iterator_traitsISK_E10value_typeEPNSQ_ISL_E10value_typeEPSM_NS1_7vsmem_tEENKUlT_SK_SL_SM_E_clISE_PjSF_SF_EESJ_SZ_SK_SL_SM_EUlSZ_E1_NS1_11comp_targetILNS1_3genE5ELNS1_11target_archE942ELNS1_3gpuE9ELNS1_3repE0EEENS1_36merge_oddeven_config_static_selectorELNS0_4arch9wavefront6targetE1EEEvSL_
		.amdhsa_group_segment_fixed_size 0
		.amdhsa_private_segment_fixed_size 0
		.amdhsa_kernarg_size 48
		.amdhsa_user_sgpr_count 2
		.amdhsa_user_sgpr_dispatch_ptr 0
		.amdhsa_user_sgpr_queue_ptr 0
		.amdhsa_user_sgpr_kernarg_segment_ptr 1
		.amdhsa_user_sgpr_dispatch_id 0
		.amdhsa_user_sgpr_kernarg_preload_length 0
		.amdhsa_user_sgpr_kernarg_preload_offset 0
		.amdhsa_user_sgpr_private_segment_size 0
		.amdhsa_uses_dynamic_stack 0
		.amdhsa_enable_private_segment 0
		.amdhsa_system_sgpr_workgroup_id_x 1
		.amdhsa_system_sgpr_workgroup_id_y 0
		.amdhsa_system_sgpr_workgroup_id_z 0
		.amdhsa_system_sgpr_workgroup_info 0
		.amdhsa_system_vgpr_workitem_id 0
		.amdhsa_next_free_vgpr 10
		.amdhsa_next_free_sgpr 21
		.amdhsa_accum_offset 12
		.amdhsa_reserve_vcc 1
		.amdhsa_float_round_mode_32 0
		.amdhsa_float_round_mode_16_64 0
		.amdhsa_float_denorm_mode_32 3
		.amdhsa_float_denorm_mode_16_64 3
		.amdhsa_dx10_clamp 1
		.amdhsa_ieee_mode 1
		.amdhsa_fp16_overflow 0
		.amdhsa_tg_split 0
		.amdhsa_exception_fp_ieee_invalid_op 0
		.amdhsa_exception_fp_denorm_src 0
		.amdhsa_exception_fp_ieee_div_zero 0
		.amdhsa_exception_fp_ieee_overflow 0
		.amdhsa_exception_fp_ieee_underflow 0
		.amdhsa_exception_fp_ieee_inexact 0
		.amdhsa_exception_int_div_zero 0
	.end_amdhsa_kernel
	.section	.text._ZN7rocprim17ROCPRIM_400000_NS6detail17trampoline_kernelINS0_14default_configENS1_38merge_sort_block_merge_config_selectorIjNS0_10empty_typeEEEZZNS1_27merge_sort_block_merge_implIS3_N6thrust23THRUST_200600_302600_NS6detail15normal_iteratorINS9_10device_ptrIjEEEEPS5_jNS1_19radix_merge_compareILb0ELb1EjNS0_19identity_decomposerEEEEE10hipError_tT0_T1_T2_jT3_P12ihipStream_tbPNSt15iterator_traitsISK_E10value_typeEPNSQ_ISL_E10value_typeEPSM_NS1_7vsmem_tEENKUlT_SK_SL_SM_E_clISE_PjSF_SF_EESJ_SZ_SK_SL_SM_EUlSZ_E1_NS1_11comp_targetILNS1_3genE5ELNS1_11target_archE942ELNS1_3gpuE9ELNS1_3repE0EEENS1_36merge_oddeven_config_static_selectorELNS0_4arch9wavefront6targetE1EEEvSL_,"axG",@progbits,_ZN7rocprim17ROCPRIM_400000_NS6detail17trampoline_kernelINS0_14default_configENS1_38merge_sort_block_merge_config_selectorIjNS0_10empty_typeEEEZZNS1_27merge_sort_block_merge_implIS3_N6thrust23THRUST_200600_302600_NS6detail15normal_iteratorINS9_10device_ptrIjEEEEPS5_jNS1_19radix_merge_compareILb0ELb1EjNS0_19identity_decomposerEEEEE10hipError_tT0_T1_T2_jT3_P12ihipStream_tbPNSt15iterator_traitsISK_E10value_typeEPNSQ_ISL_E10value_typeEPSM_NS1_7vsmem_tEENKUlT_SK_SL_SM_E_clISE_PjSF_SF_EESJ_SZ_SK_SL_SM_EUlSZ_E1_NS1_11comp_targetILNS1_3genE5ELNS1_11target_archE942ELNS1_3gpuE9ELNS1_3repE0EEENS1_36merge_oddeven_config_static_selectorELNS0_4arch9wavefront6targetE1EEEvSL_,comdat
.Lfunc_end1068:
	.size	_ZN7rocprim17ROCPRIM_400000_NS6detail17trampoline_kernelINS0_14default_configENS1_38merge_sort_block_merge_config_selectorIjNS0_10empty_typeEEEZZNS1_27merge_sort_block_merge_implIS3_N6thrust23THRUST_200600_302600_NS6detail15normal_iteratorINS9_10device_ptrIjEEEEPS5_jNS1_19radix_merge_compareILb0ELb1EjNS0_19identity_decomposerEEEEE10hipError_tT0_T1_T2_jT3_P12ihipStream_tbPNSt15iterator_traitsISK_E10value_typeEPNSQ_ISL_E10value_typeEPSM_NS1_7vsmem_tEENKUlT_SK_SL_SM_E_clISE_PjSF_SF_EESJ_SZ_SK_SL_SM_EUlSZ_E1_NS1_11comp_targetILNS1_3genE5ELNS1_11target_archE942ELNS1_3gpuE9ELNS1_3repE0EEENS1_36merge_oddeven_config_static_selectorELNS0_4arch9wavefront6targetE1EEEvSL_, .Lfunc_end1068-_ZN7rocprim17ROCPRIM_400000_NS6detail17trampoline_kernelINS0_14default_configENS1_38merge_sort_block_merge_config_selectorIjNS0_10empty_typeEEEZZNS1_27merge_sort_block_merge_implIS3_N6thrust23THRUST_200600_302600_NS6detail15normal_iteratorINS9_10device_ptrIjEEEEPS5_jNS1_19radix_merge_compareILb0ELb1EjNS0_19identity_decomposerEEEEE10hipError_tT0_T1_T2_jT3_P12ihipStream_tbPNSt15iterator_traitsISK_E10value_typeEPNSQ_ISL_E10value_typeEPSM_NS1_7vsmem_tEENKUlT_SK_SL_SM_E_clISE_PjSF_SF_EESJ_SZ_SK_SL_SM_EUlSZ_E1_NS1_11comp_targetILNS1_3genE5ELNS1_11target_archE942ELNS1_3gpuE9ELNS1_3repE0EEENS1_36merge_oddeven_config_static_selectorELNS0_4arch9wavefront6targetE1EEEvSL_
                                        ; -- End function
	.section	.AMDGPU.csdata,"",@progbits
; Kernel info:
; codeLenInByte = 616
; NumSgprs: 27
; NumVgprs: 10
; NumAgprs: 0
; TotalNumVgprs: 10
; ScratchSize: 0
; MemoryBound: 0
; FloatMode: 240
; IeeeMode: 1
; LDSByteSize: 0 bytes/workgroup (compile time only)
; SGPRBlocks: 3
; VGPRBlocks: 1
; NumSGPRsForWavesPerEU: 27
; NumVGPRsForWavesPerEU: 10
; AccumOffset: 12
; Occupancy: 8
; WaveLimiterHint : 0
; COMPUTE_PGM_RSRC2:SCRATCH_EN: 0
; COMPUTE_PGM_RSRC2:USER_SGPR: 2
; COMPUTE_PGM_RSRC2:TRAP_HANDLER: 0
; COMPUTE_PGM_RSRC2:TGID_X_EN: 1
; COMPUTE_PGM_RSRC2:TGID_Y_EN: 0
; COMPUTE_PGM_RSRC2:TGID_Z_EN: 0
; COMPUTE_PGM_RSRC2:TIDIG_COMP_CNT: 0
; COMPUTE_PGM_RSRC3_GFX90A:ACCUM_OFFSET: 2
; COMPUTE_PGM_RSRC3_GFX90A:TG_SPLIT: 0
	.section	.text._ZN7rocprim17ROCPRIM_400000_NS6detail17trampoline_kernelINS0_14default_configENS1_38merge_sort_block_merge_config_selectorIjNS0_10empty_typeEEEZZNS1_27merge_sort_block_merge_implIS3_N6thrust23THRUST_200600_302600_NS6detail15normal_iteratorINS9_10device_ptrIjEEEEPS5_jNS1_19radix_merge_compareILb0ELb1EjNS0_19identity_decomposerEEEEE10hipError_tT0_T1_T2_jT3_P12ihipStream_tbPNSt15iterator_traitsISK_E10value_typeEPNSQ_ISL_E10value_typeEPSM_NS1_7vsmem_tEENKUlT_SK_SL_SM_E_clISE_PjSF_SF_EESJ_SZ_SK_SL_SM_EUlSZ_E1_NS1_11comp_targetILNS1_3genE4ELNS1_11target_archE910ELNS1_3gpuE8ELNS1_3repE0EEENS1_36merge_oddeven_config_static_selectorELNS0_4arch9wavefront6targetE1EEEvSL_,"axG",@progbits,_ZN7rocprim17ROCPRIM_400000_NS6detail17trampoline_kernelINS0_14default_configENS1_38merge_sort_block_merge_config_selectorIjNS0_10empty_typeEEEZZNS1_27merge_sort_block_merge_implIS3_N6thrust23THRUST_200600_302600_NS6detail15normal_iteratorINS9_10device_ptrIjEEEEPS5_jNS1_19radix_merge_compareILb0ELb1EjNS0_19identity_decomposerEEEEE10hipError_tT0_T1_T2_jT3_P12ihipStream_tbPNSt15iterator_traitsISK_E10value_typeEPNSQ_ISL_E10value_typeEPSM_NS1_7vsmem_tEENKUlT_SK_SL_SM_E_clISE_PjSF_SF_EESJ_SZ_SK_SL_SM_EUlSZ_E1_NS1_11comp_targetILNS1_3genE4ELNS1_11target_archE910ELNS1_3gpuE8ELNS1_3repE0EEENS1_36merge_oddeven_config_static_selectorELNS0_4arch9wavefront6targetE1EEEvSL_,comdat
	.protected	_ZN7rocprim17ROCPRIM_400000_NS6detail17trampoline_kernelINS0_14default_configENS1_38merge_sort_block_merge_config_selectorIjNS0_10empty_typeEEEZZNS1_27merge_sort_block_merge_implIS3_N6thrust23THRUST_200600_302600_NS6detail15normal_iteratorINS9_10device_ptrIjEEEEPS5_jNS1_19radix_merge_compareILb0ELb1EjNS0_19identity_decomposerEEEEE10hipError_tT0_T1_T2_jT3_P12ihipStream_tbPNSt15iterator_traitsISK_E10value_typeEPNSQ_ISL_E10value_typeEPSM_NS1_7vsmem_tEENKUlT_SK_SL_SM_E_clISE_PjSF_SF_EESJ_SZ_SK_SL_SM_EUlSZ_E1_NS1_11comp_targetILNS1_3genE4ELNS1_11target_archE910ELNS1_3gpuE8ELNS1_3repE0EEENS1_36merge_oddeven_config_static_selectorELNS0_4arch9wavefront6targetE1EEEvSL_ ; -- Begin function _ZN7rocprim17ROCPRIM_400000_NS6detail17trampoline_kernelINS0_14default_configENS1_38merge_sort_block_merge_config_selectorIjNS0_10empty_typeEEEZZNS1_27merge_sort_block_merge_implIS3_N6thrust23THRUST_200600_302600_NS6detail15normal_iteratorINS9_10device_ptrIjEEEEPS5_jNS1_19radix_merge_compareILb0ELb1EjNS0_19identity_decomposerEEEEE10hipError_tT0_T1_T2_jT3_P12ihipStream_tbPNSt15iterator_traitsISK_E10value_typeEPNSQ_ISL_E10value_typeEPSM_NS1_7vsmem_tEENKUlT_SK_SL_SM_E_clISE_PjSF_SF_EESJ_SZ_SK_SL_SM_EUlSZ_E1_NS1_11comp_targetILNS1_3genE4ELNS1_11target_archE910ELNS1_3gpuE8ELNS1_3repE0EEENS1_36merge_oddeven_config_static_selectorELNS0_4arch9wavefront6targetE1EEEvSL_
	.globl	_ZN7rocprim17ROCPRIM_400000_NS6detail17trampoline_kernelINS0_14default_configENS1_38merge_sort_block_merge_config_selectorIjNS0_10empty_typeEEEZZNS1_27merge_sort_block_merge_implIS3_N6thrust23THRUST_200600_302600_NS6detail15normal_iteratorINS9_10device_ptrIjEEEEPS5_jNS1_19radix_merge_compareILb0ELb1EjNS0_19identity_decomposerEEEEE10hipError_tT0_T1_T2_jT3_P12ihipStream_tbPNSt15iterator_traitsISK_E10value_typeEPNSQ_ISL_E10value_typeEPSM_NS1_7vsmem_tEENKUlT_SK_SL_SM_E_clISE_PjSF_SF_EESJ_SZ_SK_SL_SM_EUlSZ_E1_NS1_11comp_targetILNS1_3genE4ELNS1_11target_archE910ELNS1_3gpuE8ELNS1_3repE0EEENS1_36merge_oddeven_config_static_selectorELNS0_4arch9wavefront6targetE1EEEvSL_
	.p2align	8
	.type	_ZN7rocprim17ROCPRIM_400000_NS6detail17trampoline_kernelINS0_14default_configENS1_38merge_sort_block_merge_config_selectorIjNS0_10empty_typeEEEZZNS1_27merge_sort_block_merge_implIS3_N6thrust23THRUST_200600_302600_NS6detail15normal_iteratorINS9_10device_ptrIjEEEEPS5_jNS1_19radix_merge_compareILb0ELb1EjNS0_19identity_decomposerEEEEE10hipError_tT0_T1_T2_jT3_P12ihipStream_tbPNSt15iterator_traitsISK_E10value_typeEPNSQ_ISL_E10value_typeEPSM_NS1_7vsmem_tEENKUlT_SK_SL_SM_E_clISE_PjSF_SF_EESJ_SZ_SK_SL_SM_EUlSZ_E1_NS1_11comp_targetILNS1_3genE4ELNS1_11target_archE910ELNS1_3gpuE8ELNS1_3repE0EEENS1_36merge_oddeven_config_static_selectorELNS0_4arch9wavefront6targetE1EEEvSL_,@function
_ZN7rocprim17ROCPRIM_400000_NS6detail17trampoline_kernelINS0_14default_configENS1_38merge_sort_block_merge_config_selectorIjNS0_10empty_typeEEEZZNS1_27merge_sort_block_merge_implIS3_N6thrust23THRUST_200600_302600_NS6detail15normal_iteratorINS9_10device_ptrIjEEEEPS5_jNS1_19radix_merge_compareILb0ELb1EjNS0_19identity_decomposerEEEEE10hipError_tT0_T1_T2_jT3_P12ihipStream_tbPNSt15iterator_traitsISK_E10value_typeEPNSQ_ISL_E10value_typeEPSM_NS1_7vsmem_tEENKUlT_SK_SL_SM_E_clISE_PjSF_SF_EESJ_SZ_SK_SL_SM_EUlSZ_E1_NS1_11comp_targetILNS1_3genE4ELNS1_11target_archE910ELNS1_3gpuE8ELNS1_3repE0EEENS1_36merge_oddeven_config_static_selectorELNS0_4arch9wavefront6targetE1EEEvSL_: ; @_ZN7rocprim17ROCPRIM_400000_NS6detail17trampoline_kernelINS0_14default_configENS1_38merge_sort_block_merge_config_selectorIjNS0_10empty_typeEEEZZNS1_27merge_sort_block_merge_implIS3_N6thrust23THRUST_200600_302600_NS6detail15normal_iteratorINS9_10device_ptrIjEEEEPS5_jNS1_19radix_merge_compareILb0ELb1EjNS0_19identity_decomposerEEEEE10hipError_tT0_T1_T2_jT3_P12ihipStream_tbPNSt15iterator_traitsISK_E10value_typeEPNSQ_ISL_E10value_typeEPSM_NS1_7vsmem_tEENKUlT_SK_SL_SM_E_clISE_PjSF_SF_EESJ_SZ_SK_SL_SM_EUlSZ_E1_NS1_11comp_targetILNS1_3genE4ELNS1_11target_archE910ELNS1_3gpuE8ELNS1_3repE0EEENS1_36merge_oddeven_config_static_selectorELNS0_4arch9wavefront6targetE1EEEvSL_
; %bb.0:
	.section	.rodata,"a",@progbits
	.p2align	6, 0x0
	.amdhsa_kernel _ZN7rocprim17ROCPRIM_400000_NS6detail17trampoline_kernelINS0_14default_configENS1_38merge_sort_block_merge_config_selectorIjNS0_10empty_typeEEEZZNS1_27merge_sort_block_merge_implIS3_N6thrust23THRUST_200600_302600_NS6detail15normal_iteratorINS9_10device_ptrIjEEEEPS5_jNS1_19radix_merge_compareILb0ELb1EjNS0_19identity_decomposerEEEEE10hipError_tT0_T1_T2_jT3_P12ihipStream_tbPNSt15iterator_traitsISK_E10value_typeEPNSQ_ISL_E10value_typeEPSM_NS1_7vsmem_tEENKUlT_SK_SL_SM_E_clISE_PjSF_SF_EESJ_SZ_SK_SL_SM_EUlSZ_E1_NS1_11comp_targetILNS1_3genE4ELNS1_11target_archE910ELNS1_3gpuE8ELNS1_3repE0EEENS1_36merge_oddeven_config_static_selectorELNS0_4arch9wavefront6targetE1EEEvSL_
		.amdhsa_group_segment_fixed_size 0
		.amdhsa_private_segment_fixed_size 0
		.amdhsa_kernarg_size 48
		.amdhsa_user_sgpr_count 2
		.amdhsa_user_sgpr_dispatch_ptr 0
		.amdhsa_user_sgpr_queue_ptr 0
		.amdhsa_user_sgpr_kernarg_segment_ptr 1
		.amdhsa_user_sgpr_dispatch_id 0
		.amdhsa_user_sgpr_kernarg_preload_length 0
		.amdhsa_user_sgpr_kernarg_preload_offset 0
		.amdhsa_user_sgpr_private_segment_size 0
		.amdhsa_uses_dynamic_stack 0
		.amdhsa_enable_private_segment 0
		.amdhsa_system_sgpr_workgroup_id_x 1
		.amdhsa_system_sgpr_workgroup_id_y 0
		.amdhsa_system_sgpr_workgroup_id_z 0
		.amdhsa_system_sgpr_workgroup_info 0
		.amdhsa_system_vgpr_workitem_id 0
		.amdhsa_next_free_vgpr 1
		.amdhsa_next_free_sgpr 0
		.amdhsa_accum_offset 4
		.amdhsa_reserve_vcc 0
		.amdhsa_float_round_mode_32 0
		.amdhsa_float_round_mode_16_64 0
		.amdhsa_float_denorm_mode_32 3
		.amdhsa_float_denorm_mode_16_64 3
		.amdhsa_dx10_clamp 1
		.amdhsa_ieee_mode 1
		.amdhsa_fp16_overflow 0
		.amdhsa_tg_split 0
		.amdhsa_exception_fp_ieee_invalid_op 0
		.amdhsa_exception_fp_denorm_src 0
		.amdhsa_exception_fp_ieee_div_zero 0
		.amdhsa_exception_fp_ieee_overflow 0
		.amdhsa_exception_fp_ieee_underflow 0
		.amdhsa_exception_fp_ieee_inexact 0
		.amdhsa_exception_int_div_zero 0
	.end_amdhsa_kernel
	.section	.text._ZN7rocprim17ROCPRIM_400000_NS6detail17trampoline_kernelINS0_14default_configENS1_38merge_sort_block_merge_config_selectorIjNS0_10empty_typeEEEZZNS1_27merge_sort_block_merge_implIS3_N6thrust23THRUST_200600_302600_NS6detail15normal_iteratorINS9_10device_ptrIjEEEEPS5_jNS1_19radix_merge_compareILb0ELb1EjNS0_19identity_decomposerEEEEE10hipError_tT0_T1_T2_jT3_P12ihipStream_tbPNSt15iterator_traitsISK_E10value_typeEPNSQ_ISL_E10value_typeEPSM_NS1_7vsmem_tEENKUlT_SK_SL_SM_E_clISE_PjSF_SF_EESJ_SZ_SK_SL_SM_EUlSZ_E1_NS1_11comp_targetILNS1_3genE4ELNS1_11target_archE910ELNS1_3gpuE8ELNS1_3repE0EEENS1_36merge_oddeven_config_static_selectorELNS0_4arch9wavefront6targetE1EEEvSL_,"axG",@progbits,_ZN7rocprim17ROCPRIM_400000_NS6detail17trampoline_kernelINS0_14default_configENS1_38merge_sort_block_merge_config_selectorIjNS0_10empty_typeEEEZZNS1_27merge_sort_block_merge_implIS3_N6thrust23THRUST_200600_302600_NS6detail15normal_iteratorINS9_10device_ptrIjEEEEPS5_jNS1_19radix_merge_compareILb0ELb1EjNS0_19identity_decomposerEEEEE10hipError_tT0_T1_T2_jT3_P12ihipStream_tbPNSt15iterator_traitsISK_E10value_typeEPNSQ_ISL_E10value_typeEPSM_NS1_7vsmem_tEENKUlT_SK_SL_SM_E_clISE_PjSF_SF_EESJ_SZ_SK_SL_SM_EUlSZ_E1_NS1_11comp_targetILNS1_3genE4ELNS1_11target_archE910ELNS1_3gpuE8ELNS1_3repE0EEENS1_36merge_oddeven_config_static_selectorELNS0_4arch9wavefront6targetE1EEEvSL_,comdat
.Lfunc_end1069:
	.size	_ZN7rocprim17ROCPRIM_400000_NS6detail17trampoline_kernelINS0_14default_configENS1_38merge_sort_block_merge_config_selectorIjNS0_10empty_typeEEEZZNS1_27merge_sort_block_merge_implIS3_N6thrust23THRUST_200600_302600_NS6detail15normal_iteratorINS9_10device_ptrIjEEEEPS5_jNS1_19radix_merge_compareILb0ELb1EjNS0_19identity_decomposerEEEEE10hipError_tT0_T1_T2_jT3_P12ihipStream_tbPNSt15iterator_traitsISK_E10value_typeEPNSQ_ISL_E10value_typeEPSM_NS1_7vsmem_tEENKUlT_SK_SL_SM_E_clISE_PjSF_SF_EESJ_SZ_SK_SL_SM_EUlSZ_E1_NS1_11comp_targetILNS1_3genE4ELNS1_11target_archE910ELNS1_3gpuE8ELNS1_3repE0EEENS1_36merge_oddeven_config_static_selectorELNS0_4arch9wavefront6targetE1EEEvSL_, .Lfunc_end1069-_ZN7rocprim17ROCPRIM_400000_NS6detail17trampoline_kernelINS0_14default_configENS1_38merge_sort_block_merge_config_selectorIjNS0_10empty_typeEEEZZNS1_27merge_sort_block_merge_implIS3_N6thrust23THRUST_200600_302600_NS6detail15normal_iteratorINS9_10device_ptrIjEEEEPS5_jNS1_19radix_merge_compareILb0ELb1EjNS0_19identity_decomposerEEEEE10hipError_tT0_T1_T2_jT3_P12ihipStream_tbPNSt15iterator_traitsISK_E10value_typeEPNSQ_ISL_E10value_typeEPSM_NS1_7vsmem_tEENKUlT_SK_SL_SM_E_clISE_PjSF_SF_EESJ_SZ_SK_SL_SM_EUlSZ_E1_NS1_11comp_targetILNS1_3genE4ELNS1_11target_archE910ELNS1_3gpuE8ELNS1_3repE0EEENS1_36merge_oddeven_config_static_selectorELNS0_4arch9wavefront6targetE1EEEvSL_
                                        ; -- End function
	.section	.AMDGPU.csdata,"",@progbits
; Kernel info:
; codeLenInByte = 0
; NumSgprs: 6
; NumVgprs: 0
; NumAgprs: 0
; TotalNumVgprs: 0
; ScratchSize: 0
; MemoryBound: 0
; FloatMode: 240
; IeeeMode: 1
; LDSByteSize: 0 bytes/workgroup (compile time only)
; SGPRBlocks: 0
; VGPRBlocks: 0
; NumSGPRsForWavesPerEU: 6
; NumVGPRsForWavesPerEU: 1
; AccumOffset: 4
; Occupancy: 8
; WaveLimiterHint : 0
; COMPUTE_PGM_RSRC2:SCRATCH_EN: 0
; COMPUTE_PGM_RSRC2:USER_SGPR: 2
; COMPUTE_PGM_RSRC2:TRAP_HANDLER: 0
; COMPUTE_PGM_RSRC2:TGID_X_EN: 1
; COMPUTE_PGM_RSRC2:TGID_Y_EN: 0
; COMPUTE_PGM_RSRC2:TGID_Z_EN: 0
; COMPUTE_PGM_RSRC2:TIDIG_COMP_CNT: 0
; COMPUTE_PGM_RSRC3_GFX90A:ACCUM_OFFSET: 0
; COMPUTE_PGM_RSRC3_GFX90A:TG_SPLIT: 0
	.section	.text._ZN7rocprim17ROCPRIM_400000_NS6detail17trampoline_kernelINS0_14default_configENS1_38merge_sort_block_merge_config_selectorIjNS0_10empty_typeEEEZZNS1_27merge_sort_block_merge_implIS3_N6thrust23THRUST_200600_302600_NS6detail15normal_iteratorINS9_10device_ptrIjEEEEPS5_jNS1_19radix_merge_compareILb0ELb1EjNS0_19identity_decomposerEEEEE10hipError_tT0_T1_T2_jT3_P12ihipStream_tbPNSt15iterator_traitsISK_E10value_typeEPNSQ_ISL_E10value_typeEPSM_NS1_7vsmem_tEENKUlT_SK_SL_SM_E_clISE_PjSF_SF_EESJ_SZ_SK_SL_SM_EUlSZ_E1_NS1_11comp_targetILNS1_3genE3ELNS1_11target_archE908ELNS1_3gpuE7ELNS1_3repE0EEENS1_36merge_oddeven_config_static_selectorELNS0_4arch9wavefront6targetE1EEEvSL_,"axG",@progbits,_ZN7rocprim17ROCPRIM_400000_NS6detail17trampoline_kernelINS0_14default_configENS1_38merge_sort_block_merge_config_selectorIjNS0_10empty_typeEEEZZNS1_27merge_sort_block_merge_implIS3_N6thrust23THRUST_200600_302600_NS6detail15normal_iteratorINS9_10device_ptrIjEEEEPS5_jNS1_19radix_merge_compareILb0ELb1EjNS0_19identity_decomposerEEEEE10hipError_tT0_T1_T2_jT3_P12ihipStream_tbPNSt15iterator_traitsISK_E10value_typeEPNSQ_ISL_E10value_typeEPSM_NS1_7vsmem_tEENKUlT_SK_SL_SM_E_clISE_PjSF_SF_EESJ_SZ_SK_SL_SM_EUlSZ_E1_NS1_11comp_targetILNS1_3genE3ELNS1_11target_archE908ELNS1_3gpuE7ELNS1_3repE0EEENS1_36merge_oddeven_config_static_selectorELNS0_4arch9wavefront6targetE1EEEvSL_,comdat
	.protected	_ZN7rocprim17ROCPRIM_400000_NS6detail17trampoline_kernelINS0_14default_configENS1_38merge_sort_block_merge_config_selectorIjNS0_10empty_typeEEEZZNS1_27merge_sort_block_merge_implIS3_N6thrust23THRUST_200600_302600_NS6detail15normal_iteratorINS9_10device_ptrIjEEEEPS5_jNS1_19radix_merge_compareILb0ELb1EjNS0_19identity_decomposerEEEEE10hipError_tT0_T1_T2_jT3_P12ihipStream_tbPNSt15iterator_traitsISK_E10value_typeEPNSQ_ISL_E10value_typeEPSM_NS1_7vsmem_tEENKUlT_SK_SL_SM_E_clISE_PjSF_SF_EESJ_SZ_SK_SL_SM_EUlSZ_E1_NS1_11comp_targetILNS1_3genE3ELNS1_11target_archE908ELNS1_3gpuE7ELNS1_3repE0EEENS1_36merge_oddeven_config_static_selectorELNS0_4arch9wavefront6targetE1EEEvSL_ ; -- Begin function _ZN7rocprim17ROCPRIM_400000_NS6detail17trampoline_kernelINS0_14default_configENS1_38merge_sort_block_merge_config_selectorIjNS0_10empty_typeEEEZZNS1_27merge_sort_block_merge_implIS3_N6thrust23THRUST_200600_302600_NS6detail15normal_iteratorINS9_10device_ptrIjEEEEPS5_jNS1_19radix_merge_compareILb0ELb1EjNS0_19identity_decomposerEEEEE10hipError_tT0_T1_T2_jT3_P12ihipStream_tbPNSt15iterator_traitsISK_E10value_typeEPNSQ_ISL_E10value_typeEPSM_NS1_7vsmem_tEENKUlT_SK_SL_SM_E_clISE_PjSF_SF_EESJ_SZ_SK_SL_SM_EUlSZ_E1_NS1_11comp_targetILNS1_3genE3ELNS1_11target_archE908ELNS1_3gpuE7ELNS1_3repE0EEENS1_36merge_oddeven_config_static_selectorELNS0_4arch9wavefront6targetE1EEEvSL_
	.globl	_ZN7rocprim17ROCPRIM_400000_NS6detail17trampoline_kernelINS0_14default_configENS1_38merge_sort_block_merge_config_selectorIjNS0_10empty_typeEEEZZNS1_27merge_sort_block_merge_implIS3_N6thrust23THRUST_200600_302600_NS6detail15normal_iteratorINS9_10device_ptrIjEEEEPS5_jNS1_19radix_merge_compareILb0ELb1EjNS0_19identity_decomposerEEEEE10hipError_tT0_T1_T2_jT3_P12ihipStream_tbPNSt15iterator_traitsISK_E10value_typeEPNSQ_ISL_E10value_typeEPSM_NS1_7vsmem_tEENKUlT_SK_SL_SM_E_clISE_PjSF_SF_EESJ_SZ_SK_SL_SM_EUlSZ_E1_NS1_11comp_targetILNS1_3genE3ELNS1_11target_archE908ELNS1_3gpuE7ELNS1_3repE0EEENS1_36merge_oddeven_config_static_selectorELNS0_4arch9wavefront6targetE1EEEvSL_
	.p2align	8
	.type	_ZN7rocprim17ROCPRIM_400000_NS6detail17trampoline_kernelINS0_14default_configENS1_38merge_sort_block_merge_config_selectorIjNS0_10empty_typeEEEZZNS1_27merge_sort_block_merge_implIS3_N6thrust23THRUST_200600_302600_NS6detail15normal_iteratorINS9_10device_ptrIjEEEEPS5_jNS1_19radix_merge_compareILb0ELb1EjNS0_19identity_decomposerEEEEE10hipError_tT0_T1_T2_jT3_P12ihipStream_tbPNSt15iterator_traitsISK_E10value_typeEPNSQ_ISL_E10value_typeEPSM_NS1_7vsmem_tEENKUlT_SK_SL_SM_E_clISE_PjSF_SF_EESJ_SZ_SK_SL_SM_EUlSZ_E1_NS1_11comp_targetILNS1_3genE3ELNS1_11target_archE908ELNS1_3gpuE7ELNS1_3repE0EEENS1_36merge_oddeven_config_static_selectorELNS0_4arch9wavefront6targetE1EEEvSL_,@function
_ZN7rocprim17ROCPRIM_400000_NS6detail17trampoline_kernelINS0_14default_configENS1_38merge_sort_block_merge_config_selectorIjNS0_10empty_typeEEEZZNS1_27merge_sort_block_merge_implIS3_N6thrust23THRUST_200600_302600_NS6detail15normal_iteratorINS9_10device_ptrIjEEEEPS5_jNS1_19radix_merge_compareILb0ELb1EjNS0_19identity_decomposerEEEEE10hipError_tT0_T1_T2_jT3_P12ihipStream_tbPNSt15iterator_traitsISK_E10value_typeEPNSQ_ISL_E10value_typeEPSM_NS1_7vsmem_tEENKUlT_SK_SL_SM_E_clISE_PjSF_SF_EESJ_SZ_SK_SL_SM_EUlSZ_E1_NS1_11comp_targetILNS1_3genE3ELNS1_11target_archE908ELNS1_3gpuE7ELNS1_3repE0EEENS1_36merge_oddeven_config_static_selectorELNS0_4arch9wavefront6targetE1EEEvSL_: ; @_ZN7rocprim17ROCPRIM_400000_NS6detail17trampoline_kernelINS0_14default_configENS1_38merge_sort_block_merge_config_selectorIjNS0_10empty_typeEEEZZNS1_27merge_sort_block_merge_implIS3_N6thrust23THRUST_200600_302600_NS6detail15normal_iteratorINS9_10device_ptrIjEEEEPS5_jNS1_19radix_merge_compareILb0ELb1EjNS0_19identity_decomposerEEEEE10hipError_tT0_T1_T2_jT3_P12ihipStream_tbPNSt15iterator_traitsISK_E10value_typeEPNSQ_ISL_E10value_typeEPSM_NS1_7vsmem_tEENKUlT_SK_SL_SM_E_clISE_PjSF_SF_EESJ_SZ_SK_SL_SM_EUlSZ_E1_NS1_11comp_targetILNS1_3genE3ELNS1_11target_archE908ELNS1_3gpuE7ELNS1_3repE0EEENS1_36merge_oddeven_config_static_selectorELNS0_4arch9wavefront6targetE1EEEvSL_
; %bb.0:
	.section	.rodata,"a",@progbits
	.p2align	6, 0x0
	.amdhsa_kernel _ZN7rocprim17ROCPRIM_400000_NS6detail17trampoline_kernelINS0_14default_configENS1_38merge_sort_block_merge_config_selectorIjNS0_10empty_typeEEEZZNS1_27merge_sort_block_merge_implIS3_N6thrust23THRUST_200600_302600_NS6detail15normal_iteratorINS9_10device_ptrIjEEEEPS5_jNS1_19radix_merge_compareILb0ELb1EjNS0_19identity_decomposerEEEEE10hipError_tT0_T1_T2_jT3_P12ihipStream_tbPNSt15iterator_traitsISK_E10value_typeEPNSQ_ISL_E10value_typeEPSM_NS1_7vsmem_tEENKUlT_SK_SL_SM_E_clISE_PjSF_SF_EESJ_SZ_SK_SL_SM_EUlSZ_E1_NS1_11comp_targetILNS1_3genE3ELNS1_11target_archE908ELNS1_3gpuE7ELNS1_3repE0EEENS1_36merge_oddeven_config_static_selectorELNS0_4arch9wavefront6targetE1EEEvSL_
		.amdhsa_group_segment_fixed_size 0
		.amdhsa_private_segment_fixed_size 0
		.amdhsa_kernarg_size 48
		.amdhsa_user_sgpr_count 2
		.amdhsa_user_sgpr_dispatch_ptr 0
		.amdhsa_user_sgpr_queue_ptr 0
		.amdhsa_user_sgpr_kernarg_segment_ptr 1
		.amdhsa_user_sgpr_dispatch_id 0
		.amdhsa_user_sgpr_kernarg_preload_length 0
		.amdhsa_user_sgpr_kernarg_preload_offset 0
		.amdhsa_user_sgpr_private_segment_size 0
		.amdhsa_uses_dynamic_stack 0
		.amdhsa_enable_private_segment 0
		.amdhsa_system_sgpr_workgroup_id_x 1
		.amdhsa_system_sgpr_workgroup_id_y 0
		.amdhsa_system_sgpr_workgroup_id_z 0
		.amdhsa_system_sgpr_workgroup_info 0
		.amdhsa_system_vgpr_workitem_id 0
		.amdhsa_next_free_vgpr 1
		.amdhsa_next_free_sgpr 0
		.amdhsa_accum_offset 4
		.amdhsa_reserve_vcc 0
		.amdhsa_float_round_mode_32 0
		.amdhsa_float_round_mode_16_64 0
		.amdhsa_float_denorm_mode_32 3
		.amdhsa_float_denorm_mode_16_64 3
		.amdhsa_dx10_clamp 1
		.amdhsa_ieee_mode 1
		.amdhsa_fp16_overflow 0
		.amdhsa_tg_split 0
		.amdhsa_exception_fp_ieee_invalid_op 0
		.amdhsa_exception_fp_denorm_src 0
		.amdhsa_exception_fp_ieee_div_zero 0
		.amdhsa_exception_fp_ieee_overflow 0
		.amdhsa_exception_fp_ieee_underflow 0
		.amdhsa_exception_fp_ieee_inexact 0
		.amdhsa_exception_int_div_zero 0
	.end_amdhsa_kernel
	.section	.text._ZN7rocprim17ROCPRIM_400000_NS6detail17trampoline_kernelINS0_14default_configENS1_38merge_sort_block_merge_config_selectorIjNS0_10empty_typeEEEZZNS1_27merge_sort_block_merge_implIS3_N6thrust23THRUST_200600_302600_NS6detail15normal_iteratorINS9_10device_ptrIjEEEEPS5_jNS1_19radix_merge_compareILb0ELb1EjNS0_19identity_decomposerEEEEE10hipError_tT0_T1_T2_jT3_P12ihipStream_tbPNSt15iterator_traitsISK_E10value_typeEPNSQ_ISL_E10value_typeEPSM_NS1_7vsmem_tEENKUlT_SK_SL_SM_E_clISE_PjSF_SF_EESJ_SZ_SK_SL_SM_EUlSZ_E1_NS1_11comp_targetILNS1_3genE3ELNS1_11target_archE908ELNS1_3gpuE7ELNS1_3repE0EEENS1_36merge_oddeven_config_static_selectorELNS0_4arch9wavefront6targetE1EEEvSL_,"axG",@progbits,_ZN7rocprim17ROCPRIM_400000_NS6detail17trampoline_kernelINS0_14default_configENS1_38merge_sort_block_merge_config_selectorIjNS0_10empty_typeEEEZZNS1_27merge_sort_block_merge_implIS3_N6thrust23THRUST_200600_302600_NS6detail15normal_iteratorINS9_10device_ptrIjEEEEPS5_jNS1_19radix_merge_compareILb0ELb1EjNS0_19identity_decomposerEEEEE10hipError_tT0_T1_T2_jT3_P12ihipStream_tbPNSt15iterator_traitsISK_E10value_typeEPNSQ_ISL_E10value_typeEPSM_NS1_7vsmem_tEENKUlT_SK_SL_SM_E_clISE_PjSF_SF_EESJ_SZ_SK_SL_SM_EUlSZ_E1_NS1_11comp_targetILNS1_3genE3ELNS1_11target_archE908ELNS1_3gpuE7ELNS1_3repE0EEENS1_36merge_oddeven_config_static_selectorELNS0_4arch9wavefront6targetE1EEEvSL_,comdat
.Lfunc_end1070:
	.size	_ZN7rocprim17ROCPRIM_400000_NS6detail17trampoline_kernelINS0_14default_configENS1_38merge_sort_block_merge_config_selectorIjNS0_10empty_typeEEEZZNS1_27merge_sort_block_merge_implIS3_N6thrust23THRUST_200600_302600_NS6detail15normal_iteratorINS9_10device_ptrIjEEEEPS5_jNS1_19radix_merge_compareILb0ELb1EjNS0_19identity_decomposerEEEEE10hipError_tT0_T1_T2_jT3_P12ihipStream_tbPNSt15iterator_traitsISK_E10value_typeEPNSQ_ISL_E10value_typeEPSM_NS1_7vsmem_tEENKUlT_SK_SL_SM_E_clISE_PjSF_SF_EESJ_SZ_SK_SL_SM_EUlSZ_E1_NS1_11comp_targetILNS1_3genE3ELNS1_11target_archE908ELNS1_3gpuE7ELNS1_3repE0EEENS1_36merge_oddeven_config_static_selectorELNS0_4arch9wavefront6targetE1EEEvSL_, .Lfunc_end1070-_ZN7rocprim17ROCPRIM_400000_NS6detail17trampoline_kernelINS0_14default_configENS1_38merge_sort_block_merge_config_selectorIjNS0_10empty_typeEEEZZNS1_27merge_sort_block_merge_implIS3_N6thrust23THRUST_200600_302600_NS6detail15normal_iteratorINS9_10device_ptrIjEEEEPS5_jNS1_19radix_merge_compareILb0ELb1EjNS0_19identity_decomposerEEEEE10hipError_tT0_T1_T2_jT3_P12ihipStream_tbPNSt15iterator_traitsISK_E10value_typeEPNSQ_ISL_E10value_typeEPSM_NS1_7vsmem_tEENKUlT_SK_SL_SM_E_clISE_PjSF_SF_EESJ_SZ_SK_SL_SM_EUlSZ_E1_NS1_11comp_targetILNS1_3genE3ELNS1_11target_archE908ELNS1_3gpuE7ELNS1_3repE0EEENS1_36merge_oddeven_config_static_selectorELNS0_4arch9wavefront6targetE1EEEvSL_
                                        ; -- End function
	.section	.AMDGPU.csdata,"",@progbits
; Kernel info:
; codeLenInByte = 0
; NumSgprs: 6
; NumVgprs: 0
; NumAgprs: 0
; TotalNumVgprs: 0
; ScratchSize: 0
; MemoryBound: 0
; FloatMode: 240
; IeeeMode: 1
; LDSByteSize: 0 bytes/workgroup (compile time only)
; SGPRBlocks: 0
; VGPRBlocks: 0
; NumSGPRsForWavesPerEU: 6
; NumVGPRsForWavesPerEU: 1
; AccumOffset: 4
; Occupancy: 8
; WaveLimiterHint : 0
; COMPUTE_PGM_RSRC2:SCRATCH_EN: 0
; COMPUTE_PGM_RSRC2:USER_SGPR: 2
; COMPUTE_PGM_RSRC2:TRAP_HANDLER: 0
; COMPUTE_PGM_RSRC2:TGID_X_EN: 1
; COMPUTE_PGM_RSRC2:TGID_Y_EN: 0
; COMPUTE_PGM_RSRC2:TGID_Z_EN: 0
; COMPUTE_PGM_RSRC2:TIDIG_COMP_CNT: 0
; COMPUTE_PGM_RSRC3_GFX90A:ACCUM_OFFSET: 0
; COMPUTE_PGM_RSRC3_GFX90A:TG_SPLIT: 0
	.section	.text._ZN7rocprim17ROCPRIM_400000_NS6detail17trampoline_kernelINS0_14default_configENS1_38merge_sort_block_merge_config_selectorIjNS0_10empty_typeEEEZZNS1_27merge_sort_block_merge_implIS3_N6thrust23THRUST_200600_302600_NS6detail15normal_iteratorINS9_10device_ptrIjEEEEPS5_jNS1_19radix_merge_compareILb0ELb1EjNS0_19identity_decomposerEEEEE10hipError_tT0_T1_T2_jT3_P12ihipStream_tbPNSt15iterator_traitsISK_E10value_typeEPNSQ_ISL_E10value_typeEPSM_NS1_7vsmem_tEENKUlT_SK_SL_SM_E_clISE_PjSF_SF_EESJ_SZ_SK_SL_SM_EUlSZ_E1_NS1_11comp_targetILNS1_3genE2ELNS1_11target_archE906ELNS1_3gpuE6ELNS1_3repE0EEENS1_36merge_oddeven_config_static_selectorELNS0_4arch9wavefront6targetE1EEEvSL_,"axG",@progbits,_ZN7rocprim17ROCPRIM_400000_NS6detail17trampoline_kernelINS0_14default_configENS1_38merge_sort_block_merge_config_selectorIjNS0_10empty_typeEEEZZNS1_27merge_sort_block_merge_implIS3_N6thrust23THRUST_200600_302600_NS6detail15normal_iteratorINS9_10device_ptrIjEEEEPS5_jNS1_19radix_merge_compareILb0ELb1EjNS0_19identity_decomposerEEEEE10hipError_tT0_T1_T2_jT3_P12ihipStream_tbPNSt15iterator_traitsISK_E10value_typeEPNSQ_ISL_E10value_typeEPSM_NS1_7vsmem_tEENKUlT_SK_SL_SM_E_clISE_PjSF_SF_EESJ_SZ_SK_SL_SM_EUlSZ_E1_NS1_11comp_targetILNS1_3genE2ELNS1_11target_archE906ELNS1_3gpuE6ELNS1_3repE0EEENS1_36merge_oddeven_config_static_selectorELNS0_4arch9wavefront6targetE1EEEvSL_,comdat
	.protected	_ZN7rocprim17ROCPRIM_400000_NS6detail17trampoline_kernelINS0_14default_configENS1_38merge_sort_block_merge_config_selectorIjNS0_10empty_typeEEEZZNS1_27merge_sort_block_merge_implIS3_N6thrust23THRUST_200600_302600_NS6detail15normal_iteratorINS9_10device_ptrIjEEEEPS5_jNS1_19radix_merge_compareILb0ELb1EjNS0_19identity_decomposerEEEEE10hipError_tT0_T1_T2_jT3_P12ihipStream_tbPNSt15iterator_traitsISK_E10value_typeEPNSQ_ISL_E10value_typeEPSM_NS1_7vsmem_tEENKUlT_SK_SL_SM_E_clISE_PjSF_SF_EESJ_SZ_SK_SL_SM_EUlSZ_E1_NS1_11comp_targetILNS1_3genE2ELNS1_11target_archE906ELNS1_3gpuE6ELNS1_3repE0EEENS1_36merge_oddeven_config_static_selectorELNS0_4arch9wavefront6targetE1EEEvSL_ ; -- Begin function _ZN7rocprim17ROCPRIM_400000_NS6detail17trampoline_kernelINS0_14default_configENS1_38merge_sort_block_merge_config_selectorIjNS0_10empty_typeEEEZZNS1_27merge_sort_block_merge_implIS3_N6thrust23THRUST_200600_302600_NS6detail15normal_iteratorINS9_10device_ptrIjEEEEPS5_jNS1_19radix_merge_compareILb0ELb1EjNS0_19identity_decomposerEEEEE10hipError_tT0_T1_T2_jT3_P12ihipStream_tbPNSt15iterator_traitsISK_E10value_typeEPNSQ_ISL_E10value_typeEPSM_NS1_7vsmem_tEENKUlT_SK_SL_SM_E_clISE_PjSF_SF_EESJ_SZ_SK_SL_SM_EUlSZ_E1_NS1_11comp_targetILNS1_3genE2ELNS1_11target_archE906ELNS1_3gpuE6ELNS1_3repE0EEENS1_36merge_oddeven_config_static_selectorELNS0_4arch9wavefront6targetE1EEEvSL_
	.globl	_ZN7rocprim17ROCPRIM_400000_NS6detail17trampoline_kernelINS0_14default_configENS1_38merge_sort_block_merge_config_selectorIjNS0_10empty_typeEEEZZNS1_27merge_sort_block_merge_implIS3_N6thrust23THRUST_200600_302600_NS6detail15normal_iteratorINS9_10device_ptrIjEEEEPS5_jNS1_19radix_merge_compareILb0ELb1EjNS0_19identity_decomposerEEEEE10hipError_tT0_T1_T2_jT3_P12ihipStream_tbPNSt15iterator_traitsISK_E10value_typeEPNSQ_ISL_E10value_typeEPSM_NS1_7vsmem_tEENKUlT_SK_SL_SM_E_clISE_PjSF_SF_EESJ_SZ_SK_SL_SM_EUlSZ_E1_NS1_11comp_targetILNS1_3genE2ELNS1_11target_archE906ELNS1_3gpuE6ELNS1_3repE0EEENS1_36merge_oddeven_config_static_selectorELNS0_4arch9wavefront6targetE1EEEvSL_
	.p2align	8
	.type	_ZN7rocprim17ROCPRIM_400000_NS6detail17trampoline_kernelINS0_14default_configENS1_38merge_sort_block_merge_config_selectorIjNS0_10empty_typeEEEZZNS1_27merge_sort_block_merge_implIS3_N6thrust23THRUST_200600_302600_NS6detail15normal_iteratorINS9_10device_ptrIjEEEEPS5_jNS1_19radix_merge_compareILb0ELb1EjNS0_19identity_decomposerEEEEE10hipError_tT0_T1_T2_jT3_P12ihipStream_tbPNSt15iterator_traitsISK_E10value_typeEPNSQ_ISL_E10value_typeEPSM_NS1_7vsmem_tEENKUlT_SK_SL_SM_E_clISE_PjSF_SF_EESJ_SZ_SK_SL_SM_EUlSZ_E1_NS1_11comp_targetILNS1_3genE2ELNS1_11target_archE906ELNS1_3gpuE6ELNS1_3repE0EEENS1_36merge_oddeven_config_static_selectorELNS0_4arch9wavefront6targetE1EEEvSL_,@function
_ZN7rocprim17ROCPRIM_400000_NS6detail17trampoline_kernelINS0_14default_configENS1_38merge_sort_block_merge_config_selectorIjNS0_10empty_typeEEEZZNS1_27merge_sort_block_merge_implIS3_N6thrust23THRUST_200600_302600_NS6detail15normal_iteratorINS9_10device_ptrIjEEEEPS5_jNS1_19radix_merge_compareILb0ELb1EjNS0_19identity_decomposerEEEEE10hipError_tT0_T1_T2_jT3_P12ihipStream_tbPNSt15iterator_traitsISK_E10value_typeEPNSQ_ISL_E10value_typeEPSM_NS1_7vsmem_tEENKUlT_SK_SL_SM_E_clISE_PjSF_SF_EESJ_SZ_SK_SL_SM_EUlSZ_E1_NS1_11comp_targetILNS1_3genE2ELNS1_11target_archE906ELNS1_3gpuE6ELNS1_3repE0EEENS1_36merge_oddeven_config_static_selectorELNS0_4arch9wavefront6targetE1EEEvSL_: ; @_ZN7rocprim17ROCPRIM_400000_NS6detail17trampoline_kernelINS0_14default_configENS1_38merge_sort_block_merge_config_selectorIjNS0_10empty_typeEEEZZNS1_27merge_sort_block_merge_implIS3_N6thrust23THRUST_200600_302600_NS6detail15normal_iteratorINS9_10device_ptrIjEEEEPS5_jNS1_19radix_merge_compareILb0ELb1EjNS0_19identity_decomposerEEEEE10hipError_tT0_T1_T2_jT3_P12ihipStream_tbPNSt15iterator_traitsISK_E10value_typeEPNSQ_ISL_E10value_typeEPSM_NS1_7vsmem_tEENKUlT_SK_SL_SM_E_clISE_PjSF_SF_EESJ_SZ_SK_SL_SM_EUlSZ_E1_NS1_11comp_targetILNS1_3genE2ELNS1_11target_archE906ELNS1_3gpuE6ELNS1_3repE0EEENS1_36merge_oddeven_config_static_selectorELNS0_4arch9wavefront6targetE1EEEvSL_
; %bb.0:
	.section	.rodata,"a",@progbits
	.p2align	6, 0x0
	.amdhsa_kernel _ZN7rocprim17ROCPRIM_400000_NS6detail17trampoline_kernelINS0_14default_configENS1_38merge_sort_block_merge_config_selectorIjNS0_10empty_typeEEEZZNS1_27merge_sort_block_merge_implIS3_N6thrust23THRUST_200600_302600_NS6detail15normal_iteratorINS9_10device_ptrIjEEEEPS5_jNS1_19radix_merge_compareILb0ELb1EjNS0_19identity_decomposerEEEEE10hipError_tT0_T1_T2_jT3_P12ihipStream_tbPNSt15iterator_traitsISK_E10value_typeEPNSQ_ISL_E10value_typeEPSM_NS1_7vsmem_tEENKUlT_SK_SL_SM_E_clISE_PjSF_SF_EESJ_SZ_SK_SL_SM_EUlSZ_E1_NS1_11comp_targetILNS1_3genE2ELNS1_11target_archE906ELNS1_3gpuE6ELNS1_3repE0EEENS1_36merge_oddeven_config_static_selectorELNS0_4arch9wavefront6targetE1EEEvSL_
		.amdhsa_group_segment_fixed_size 0
		.amdhsa_private_segment_fixed_size 0
		.amdhsa_kernarg_size 48
		.amdhsa_user_sgpr_count 2
		.amdhsa_user_sgpr_dispatch_ptr 0
		.amdhsa_user_sgpr_queue_ptr 0
		.amdhsa_user_sgpr_kernarg_segment_ptr 1
		.amdhsa_user_sgpr_dispatch_id 0
		.amdhsa_user_sgpr_kernarg_preload_length 0
		.amdhsa_user_sgpr_kernarg_preload_offset 0
		.amdhsa_user_sgpr_private_segment_size 0
		.amdhsa_uses_dynamic_stack 0
		.amdhsa_enable_private_segment 0
		.amdhsa_system_sgpr_workgroup_id_x 1
		.amdhsa_system_sgpr_workgroup_id_y 0
		.amdhsa_system_sgpr_workgroup_id_z 0
		.amdhsa_system_sgpr_workgroup_info 0
		.amdhsa_system_vgpr_workitem_id 0
		.amdhsa_next_free_vgpr 1
		.amdhsa_next_free_sgpr 0
		.amdhsa_accum_offset 4
		.amdhsa_reserve_vcc 0
		.amdhsa_float_round_mode_32 0
		.amdhsa_float_round_mode_16_64 0
		.amdhsa_float_denorm_mode_32 3
		.amdhsa_float_denorm_mode_16_64 3
		.amdhsa_dx10_clamp 1
		.amdhsa_ieee_mode 1
		.amdhsa_fp16_overflow 0
		.amdhsa_tg_split 0
		.amdhsa_exception_fp_ieee_invalid_op 0
		.amdhsa_exception_fp_denorm_src 0
		.amdhsa_exception_fp_ieee_div_zero 0
		.amdhsa_exception_fp_ieee_overflow 0
		.amdhsa_exception_fp_ieee_underflow 0
		.amdhsa_exception_fp_ieee_inexact 0
		.amdhsa_exception_int_div_zero 0
	.end_amdhsa_kernel
	.section	.text._ZN7rocprim17ROCPRIM_400000_NS6detail17trampoline_kernelINS0_14default_configENS1_38merge_sort_block_merge_config_selectorIjNS0_10empty_typeEEEZZNS1_27merge_sort_block_merge_implIS3_N6thrust23THRUST_200600_302600_NS6detail15normal_iteratorINS9_10device_ptrIjEEEEPS5_jNS1_19radix_merge_compareILb0ELb1EjNS0_19identity_decomposerEEEEE10hipError_tT0_T1_T2_jT3_P12ihipStream_tbPNSt15iterator_traitsISK_E10value_typeEPNSQ_ISL_E10value_typeEPSM_NS1_7vsmem_tEENKUlT_SK_SL_SM_E_clISE_PjSF_SF_EESJ_SZ_SK_SL_SM_EUlSZ_E1_NS1_11comp_targetILNS1_3genE2ELNS1_11target_archE906ELNS1_3gpuE6ELNS1_3repE0EEENS1_36merge_oddeven_config_static_selectorELNS0_4arch9wavefront6targetE1EEEvSL_,"axG",@progbits,_ZN7rocprim17ROCPRIM_400000_NS6detail17trampoline_kernelINS0_14default_configENS1_38merge_sort_block_merge_config_selectorIjNS0_10empty_typeEEEZZNS1_27merge_sort_block_merge_implIS3_N6thrust23THRUST_200600_302600_NS6detail15normal_iteratorINS9_10device_ptrIjEEEEPS5_jNS1_19radix_merge_compareILb0ELb1EjNS0_19identity_decomposerEEEEE10hipError_tT0_T1_T2_jT3_P12ihipStream_tbPNSt15iterator_traitsISK_E10value_typeEPNSQ_ISL_E10value_typeEPSM_NS1_7vsmem_tEENKUlT_SK_SL_SM_E_clISE_PjSF_SF_EESJ_SZ_SK_SL_SM_EUlSZ_E1_NS1_11comp_targetILNS1_3genE2ELNS1_11target_archE906ELNS1_3gpuE6ELNS1_3repE0EEENS1_36merge_oddeven_config_static_selectorELNS0_4arch9wavefront6targetE1EEEvSL_,comdat
.Lfunc_end1071:
	.size	_ZN7rocprim17ROCPRIM_400000_NS6detail17trampoline_kernelINS0_14default_configENS1_38merge_sort_block_merge_config_selectorIjNS0_10empty_typeEEEZZNS1_27merge_sort_block_merge_implIS3_N6thrust23THRUST_200600_302600_NS6detail15normal_iteratorINS9_10device_ptrIjEEEEPS5_jNS1_19radix_merge_compareILb0ELb1EjNS0_19identity_decomposerEEEEE10hipError_tT0_T1_T2_jT3_P12ihipStream_tbPNSt15iterator_traitsISK_E10value_typeEPNSQ_ISL_E10value_typeEPSM_NS1_7vsmem_tEENKUlT_SK_SL_SM_E_clISE_PjSF_SF_EESJ_SZ_SK_SL_SM_EUlSZ_E1_NS1_11comp_targetILNS1_3genE2ELNS1_11target_archE906ELNS1_3gpuE6ELNS1_3repE0EEENS1_36merge_oddeven_config_static_selectorELNS0_4arch9wavefront6targetE1EEEvSL_, .Lfunc_end1071-_ZN7rocprim17ROCPRIM_400000_NS6detail17trampoline_kernelINS0_14default_configENS1_38merge_sort_block_merge_config_selectorIjNS0_10empty_typeEEEZZNS1_27merge_sort_block_merge_implIS3_N6thrust23THRUST_200600_302600_NS6detail15normal_iteratorINS9_10device_ptrIjEEEEPS5_jNS1_19radix_merge_compareILb0ELb1EjNS0_19identity_decomposerEEEEE10hipError_tT0_T1_T2_jT3_P12ihipStream_tbPNSt15iterator_traitsISK_E10value_typeEPNSQ_ISL_E10value_typeEPSM_NS1_7vsmem_tEENKUlT_SK_SL_SM_E_clISE_PjSF_SF_EESJ_SZ_SK_SL_SM_EUlSZ_E1_NS1_11comp_targetILNS1_3genE2ELNS1_11target_archE906ELNS1_3gpuE6ELNS1_3repE0EEENS1_36merge_oddeven_config_static_selectorELNS0_4arch9wavefront6targetE1EEEvSL_
                                        ; -- End function
	.section	.AMDGPU.csdata,"",@progbits
; Kernel info:
; codeLenInByte = 0
; NumSgprs: 6
; NumVgprs: 0
; NumAgprs: 0
; TotalNumVgprs: 0
; ScratchSize: 0
; MemoryBound: 0
; FloatMode: 240
; IeeeMode: 1
; LDSByteSize: 0 bytes/workgroup (compile time only)
; SGPRBlocks: 0
; VGPRBlocks: 0
; NumSGPRsForWavesPerEU: 6
; NumVGPRsForWavesPerEU: 1
; AccumOffset: 4
; Occupancy: 8
; WaveLimiterHint : 0
; COMPUTE_PGM_RSRC2:SCRATCH_EN: 0
; COMPUTE_PGM_RSRC2:USER_SGPR: 2
; COMPUTE_PGM_RSRC2:TRAP_HANDLER: 0
; COMPUTE_PGM_RSRC2:TGID_X_EN: 1
; COMPUTE_PGM_RSRC2:TGID_Y_EN: 0
; COMPUTE_PGM_RSRC2:TGID_Z_EN: 0
; COMPUTE_PGM_RSRC2:TIDIG_COMP_CNT: 0
; COMPUTE_PGM_RSRC3_GFX90A:ACCUM_OFFSET: 0
; COMPUTE_PGM_RSRC3_GFX90A:TG_SPLIT: 0
	.section	.text._ZN7rocprim17ROCPRIM_400000_NS6detail17trampoline_kernelINS0_14default_configENS1_38merge_sort_block_merge_config_selectorIjNS0_10empty_typeEEEZZNS1_27merge_sort_block_merge_implIS3_N6thrust23THRUST_200600_302600_NS6detail15normal_iteratorINS9_10device_ptrIjEEEEPS5_jNS1_19radix_merge_compareILb0ELb1EjNS0_19identity_decomposerEEEEE10hipError_tT0_T1_T2_jT3_P12ihipStream_tbPNSt15iterator_traitsISK_E10value_typeEPNSQ_ISL_E10value_typeEPSM_NS1_7vsmem_tEENKUlT_SK_SL_SM_E_clISE_PjSF_SF_EESJ_SZ_SK_SL_SM_EUlSZ_E1_NS1_11comp_targetILNS1_3genE9ELNS1_11target_archE1100ELNS1_3gpuE3ELNS1_3repE0EEENS1_36merge_oddeven_config_static_selectorELNS0_4arch9wavefront6targetE1EEEvSL_,"axG",@progbits,_ZN7rocprim17ROCPRIM_400000_NS6detail17trampoline_kernelINS0_14default_configENS1_38merge_sort_block_merge_config_selectorIjNS0_10empty_typeEEEZZNS1_27merge_sort_block_merge_implIS3_N6thrust23THRUST_200600_302600_NS6detail15normal_iteratorINS9_10device_ptrIjEEEEPS5_jNS1_19radix_merge_compareILb0ELb1EjNS0_19identity_decomposerEEEEE10hipError_tT0_T1_T2_jT3_P12ihipStream_tbPNSt15iterator_traitsISK_E10value_typeEPNSQ_ISL_E10value_typeEPSM_NS1_7vsmem_tEENKUlT_SK_SL_SM_E_clISE_PjSF_SF_EESJ_SZ_SK_SL_SM_EUlSZ_E1_NS1_11comp_targetILNS1_3genE9ELNS1_11target_archE1100ELNS1_3gpuE3ELNS1_3repE0EEENS1_36merge_oddeven_config_static_selectorELNS0_4arch9wavefront6targetE1EEEvSL_,comdat
	.protected	_ZN7rocprim17ROCPRIM_400000_NS6detail17trampoline_kernelINS0_14default_configENS1_38merge_sort_block_merge_config_selectorIjNS0_10empty_typeEEEZZNS1_27merge_sort_block_merge_implIS3_N6thrust23THRUST_200600_302600_NS6detail15normal_iteratorINS9_10device_ptrIjEEEEPS5_jNS1_19radix_merge_compareILb0ELb1EjNS0_19identity_decomposerEEEEE10hipError_tT0_T1_T2_jT3_P12ihipStream_tbPNSt15iterator_traitsISK_E10value_typeEPNSQ_ISL_E10value_typeEPSM_NS1_7vsmem_tEENKUlT_SK_SL_SM_E_clISE_PjSF_SF_EESJ_SZ_SK_SL_SM_EUlSZ_E1_NS1_11comp_targetILNS1_3genE9ELNS1_11target_archE1100ELNS1_3gpuE3ELNS1_3repE0EEENS1_36merge_oddeven_config_static_selectorELNS0_4arch9wavefront6targetE1EEEvSL_ ; -- Begin function _ZN7rocprim17ROCPRIM_400000_NS6detail17trampoline_kernelINS0_14default_configENS1_38merge_sort_block_merge_config_selectorIjNS0_10empty_typeEEEZZNS1_27merge_sort_block_merge_implIS3_N6thrust23THRUST_200600_302600_NS6detail15normal_iteratorINS9_10device_ptrIjEEEEPS5_jNS1_19radix_merge_compareILb0ELb1EjNS0_19identity_decomposerEEEEE10hipError_tT0_T1_T2_jT3_P12ihipStream_tbPNSt15iterator_traitsISK_E10value_typeEPNSQ_ISL_E10value_typeEPSM_NS1_7vsmem_tEENKUlT_SK_SL_SM_E_clISE_PjSF_SF_EESJ_SZ_SK_SL_SM_EUlSZ_E1_NS1_11comp_targetILNS1_3genE9ELNS1_11target_archE1100ELNS1_3gpuE3ELNS1_3repE0EEENS1_36merge_oddeven_config_static_selectorELNS0_4arch9wavefront6targetE1EEEvSL_
	.globl	_ZN7rocprim17ROCPRIM_400000_NS6detail17trampoline_kernelINS0_14default_configENS1_38merge_sort_block_merge_config_selectorIjNS0_10empty_typeEEEZZNS1_27merge_sort_block_merge_implIS3_N6thrust23THRUST_200600_302600_NS6detail15normal_iteratorINS9_10device_ptrIjEEEEPS5_jNS1_19radix_merge_compareILb0ELb1EjNS0_19identity_decomposerEEEEE10hipError_tT0_T1_T2_jT3_P12ihipStream_tbPNSt15iterator_traitsISK_E10value_typeEPNSQ_ISL_E10value_typeEPSM_NS1_7vsmem_tEENKUlT_SK_SL_SM_E_clISE_PjSF_SF_EESJ_SZ_SK_SL_SM_EUlSZ_E1_NS1_11comp_targetILNS1_3genE9ELNS1_11target_archE1100ELNS1_3gpuE3ELNS1_3repE0EEENS1_36merge_oddeven_config_static_selectorELNS0_4arch9wavefront6targetE1EEEvSL_
	.p2align	8
	.type	_ZN7rocprim17ROCPRIM_400000_NS6detail17trampoline_kernelINS0_14default_configENS1_38merge_sort_block_merge_config_selectorIjNS0_10empty_typeEEEZZNS1_27merge_sort_block_merge_implIS3_N6thrust23THRUST_200600_302600_NS6detail15normal_iteratorINS9_10device_ptrIjEEEEPS5_jNS1_19radix_merge_compareILb0ELb1EjNS0_19identity_decomposerEEEEE10hipError_tT0_T1_T2_jT3_P12ihipStream_tbPNSt15iterator_traitsISK_E10value_typeEPNSQ_ISL_E10value_typeEPSM_NS1_7vsmem_tEENKUlT_SK_SL_SM_E_clISE_PjSF_SF_EESJ_SZ_SK_SL_SM_EUlSZ_E1_NS1_11comp_targetILNS1_3genE9ELNS1_11target_archE1100ELNS1_3gpuE3ELNS1_3repE0EEENS1_36merge_oddeven_config_static_selectorELNS0_4arch9wavefront6targetE1EEEvSL_,@function
_ZN7rocprim17ROCPRIM_400000_NS6detail17trampoline_kernelINS0_14default_configENS1_38merge_sort_block_merge_config_selectorIjNS0_10empty_typeEEEZZNS1_27merge_sort_block_merge_implIS3_N6thrust23THRUST_200600_302600_NS6detail15normal_iteratorINS9_10device_ptrIjEEEEPS5_jNS1_19radix_merge_compareILb0ELb1EjNS0_19identity_decomposerEEEEE10hipError_tT0_T1_T2_jT3_P12ihipStream_tbPNSt15iterator_traitsISK_E10value_typeEPNSQ_ISL_E10value_typeEPSM_NS1_7vsmem_tEENKUlT_SK_SL_SM_E_clISE_PjSF_SF_EESJ_SZ_SK_SL_SM_EUlSZ_E1_NS1_11comp_targetILNS1_3genE9ELNS1_11target_archE1100ELNS1_3gpuE3ELNS1_3repE0EEENS1_36merge_oddeven_config_static_selectorELNS0_4arch9wavefront6targetE1EEEvSL_: ; @_ZN7rocprim17ROCPRIM_400000_NS6detail17trampoline_kernelINS0_14default_configENS1_38merge_sort_block_merge_config_selectorIjNS0_10empty_typeEEEZZNS1_27merge_sort_block_merge_implIS3_N6thrust23THRUST_200600_302600_NS6detail15normal_iteratorINS9_10device_ptrIjEEEEPS5_jNS1_19radix_merge_compareILb0ELb1EjNS0_19identity_decomposerEEEEE10hipError_tT0_T1_T2_jT3_P12ihipStream_tbPNSt15iterator_traitsISK_E10value_typeEPNSQ_ISL_E10value_typeEPSM_NS1_7vsmem_tEENKUlT_SK_SL_SM_E_clISE_PjSF_SF_EESJ_SZ_SK_SL_SM_EUlSZ_E1_NS1_11comp_targetILNS1_3genE9ELNS1_11target_archE1100ELNS1_3gpuE3ELNS1_3repE0EEENS1_36merge_oddeven_config_static_selectorELNS0_4arch9wavefront6targetE1EEEvSL_
; %bb.0:
	.section	.rodata,"a",@progbits
	.p2align	6, 0x0
	.amdhsa_kernel _ZN7rocprim17ROCPRIM_400000_NS6detail17trampoline_kernelINS0_14default_configENS1_38merge_sort_block_merge_config_selectorIjNS0_10empty_typeEEEZZNS1_27merge_sort_block_merge_implIS3_N6thrust23THRUST_200600_302600_NS6detail15normal_iteratorINS9_10device_ptrIjEEEEPS5_jNS1_19radix_merge_compareILb0ELb1EjNS0_19identity_decomposerEEEEE10hipError_tT0_T1_T2_jT3_P12ihipStream_tbPNSt15iterator_traitsISK_E10value_typeEPNSQ_ISL_E10value_typeEPSM_NS1_7vsmem_tEENKUlT_SK_SL_SM_E_clISE_PjSF_SF_EESJ_SZ_SK_SL_SM_EUlSZ_E1_NS1_11comp_targetILNS1_3genE9ELNS1_11target_archE1100ELNS1_3gpuE3ELNS1_3repE0EEENS1_36merge_oddeven_config_static_selectorELNS0_4arch9wavefront6targetE1EEEvSL_
		.amdhsa_group_segment_fixed_size 0
		.amdhsa_private_segment_fixed_size 0
		.amdhsa_kernarg_size 48
		.amdhsa_user_sgpr_count 2
		.amdhsa_user_sgpr_dispatch_ptr 0
		.amdhsa_user_sgpr_queue_ptr 0
		.amdhsa_user_sgpr_kernarg_segment_ptr 1
		.amdhsa_user_sgpr_dispatch_id 0
		.amdhsa_user_sgpr_kernarg_preload_length 0
		.amdhsa_user_sgpr_kernarg_preload_offset 0
		.amdhsa_user_sgpr_private_segment_size 0
		.amdhsa_uses_dynamic_stack 0
		.amdhsa_enable_private_segment 0
		.amdhsa_system_sgpr_workgroup_id_x 1
		.amdhsa_system_sgpr_workgroup_id_y 0
		.amdhsa_system_sgpr_workgroup_id_z 0
		.amdhsa_system_sgpr_workgroup_info 0
		.amdhsa_system_vgpr_workitem_id 0
		.amdhsa_next_free_vgpr 1
		.amdhsa_next_free_sgpr 0
		.amdhsa_accum_offset 4
		.amdhsa_reserve_vcc 0
		.amdhsa_float_round_mode_32 0
		.amdhsa_float_round_mode_16_64 0
		.amdhsa_float_denorm_mode_32 3
		.amdhsa_float_denorm_mode_16_64 3
		.amdhsa_dx10_clamp 1
		.amdhsa_ieee_mode 1
		.amdhsa_fp16_overflow 0
		.amdhsa_tg_split 0
		.amdhsa_exception_fp_ieee_invalid_op 0
		.amdhsa_exception_fp_denorm_src 0
		.amdhsa_exception_fp_ieee_div_zero 0
		.amdhsa_exception_fp_ieee_overflow 0
		.amdhsa_exception_fp_ieee_underflow 0
		.amdhsa_exception_fp_ieee_inexact 0
		.amdhsa_exception_int_div_zero 0
	.end_amdhsa_kernel
	.section	.text._ZN7rocprim17ROCPRIM_400000_NS6detail17trampoline_kernelINS0_14default_configENS1_38merge_sort_block_merge_config_selectorIjNS0_10empty_typeEEEZZNS1_27merge_sort_block_merge_implIS3_N6thrust23THRUST_200600_302600_NS6detail15normal_iteratorINS9_10device_ptrIjEEEEPS5_jNS1_19radix_merge_compareILb0ELb1EjNS0_19identity_decomposerEEEEE10hipError_tT0_T1_T2_jT3_P12ihipStream_tbPNSt15iterator_traitsISK_E10value_typeEPNSQ_ISL_E10value_typeEPSM_NS1_7vsmem_tEENKUlT_SK_SL_SM_E_clISE_PjSF_SF_EESJ_SZ_SK_SL_SM_EUlSZ_E1_NS1_11comp_targetILNS1_3genE9ELNS1_11target_archE1100ELNS1_3gpuE3ELNS1_3repE0EEENS1_36merge_oddeven_config_static_selectorELNS0_4arch9wavefront6targetE1EEEvSL_,"axG",@progbits,_ZN7rocprim17ROCPRIM_400000_NS6detail17trampoline_kernelINS0_14default_configENS1_38merge_sort_block_merge_config_selectorIjNS0_10empty_typeEEEZZNS1_27merge_sort_block_merge_implIS3_N6thrust23THRUST_200600_302600_NS6detail15normal_iteratorINS9_10device_ptrIjEEEEPS5_jNS1_19radix_merge_compareILb0ELb1EjNS0_19identity_decomposerEEEEE10hipError_tT0_T1_T2_jT3_P12ihipStream_tbPNSt15iterator_traitsISK_E10value_typeEPNSQ_ISL_E10value_typeEPSM_NS1_7vsmem_tEENKUlT_SK_SL_SM_E_clISE_PjSF_SF_EESJ_SZ_SK_SL_SM_EUlSZ_E1_NS1_11comp_targetILNS1_3genE9ELNS1_11target_archE1100ELNS1_3gpuE3ELNS1_3repE0EEENS1_36merge_oddeven_config_static_selectorELNS0_4arch9wavefront6targetE1EEEvSL_,comdat
.Lfunc_end1072:
	.size	_ZN7rocprim17ROCPRIM_400000_NS6detail17trampoline_kernelINS0_14default_configENS1_38merge_sort_block_merge_config_selectorIjNS0_10empty_typeEEEZZNS1_27merge_sort_block_merge_implIS3_N6thrust23THRUST_200600_302600_NS6detail15normal_iteratorINS9_10device_ptrIjEEEEPS5_jNS1_19radix_merge_compareILb0ELb1EjNS0_19identity_decomposerEEEEE10hipError_tT0_T1_T2_jT3_P12ihipStream_tbPNSt15iterator_traitsISK_E10value_typeEPNSQ_ISL_E10value_typeEPSM_NS1_7vsmem_tEENKUlT_SK_SL_SM_E_clISE_PjSF_SF_EESJ_SZ_SK_SL_SM_EUlSZ_E1_NS1_11comp_targetILNS1_3genE9ELNS1_11target_archE1100ELNS1_3gpuE3ELNS1_3repE0EEENS1_36merge_oddeven_config_static_selectorELNS0_4arch9wavefront6targetE1EEEvSL_, .Lfunc_end1072-_ZN7rocprim17ROCPRIM_400000_NS6detail17trampoline_kernelINS0_14default_configENS1_38merge_sort_block_merge_config_selectorIjNS0_10empty_typeEEEZZNS1_27merge_sort_block_merge_implIS3_N6thrust23THRUST_200600_302600_NS6detail15normal_iteratorINS9_10device_ptrIjEEEEPS5_jNS1_19radix_merge_compareILb0ELb1EjNS0_19identity_decomposerEEEEE10hipError_tT0_T1_T2_jT3_P12ihipStream_tbPNSt15iterator_traitsISK_E10value_typeEPNSQ_ISL_E10value_typeEPSM_NS1_7vsmem_tEENKUlT_SK_SL_SM_E_clISE_PjSF_SF_EESJ_SZ_SK_SL_SM_EUlSZ_E1_NS1_11comp_targetILNS1_3genE9ELNS1_11target_archE1100ELNS1_3gpuE3ELNS1_3repE0EEENS1_36merge_oddeven_config_static_selectorELNS0_4arch9wavefront6targetE1EEEvSL_
                                        ; -- End function
	.section	.AMDGPU.csdata,"",@progbits
; Kernel info:
; codeLenInByte = 0
; NumSgprs: 6
; NumVgprs: 0
; NumAgprs: 0
; TotalNumVgprs: 0
; ScratchSize: 0
; MemoryBound: 0
; FloatMode: 240
; IeeeMode: 1
; LDSByteSize: 0 bytes/workgroup (compile time only)
; SGPRBlocks: 0
; VGPRBlocks: 0
; NumSGPRsForWavesPerEU: 6
; NumVGPRsForWavesPerEU: 1
; AccumOffset: 4
; Occupancy: 8
; WaveLimiterHint : 0
; COMPUTE_PGM_RSRC2:SCRATCH_EN: 0
; COMPUTE_PGM_RSRC2:USER_SGPR: 2
; COMPUTE_PGM_RSRC2:TRAP_HANDLER: 0
; COMPUTE_PGM_RSRC2:TGID_X_EN: 1
; COMPUTE_PGM_RSRC2:TGID_Y_EN: 0
; COMPUTE_PGM_RSRC2:TGID_Z_EN: 0
; COMPUTE_PGM_RSRC2:TIDIG_COMP_CNT: 0
; COMPUTE_PGM_RSRC3_GFX90A:ACCUM_OFFSET: 0
; COMPUTE_PGM_RSRC3_GFX90A:TG_SPLIT: 0
	.section	.text._ZN7rocprim17ROCPRIM_400000_NS6detail17trampoline_kernelINS0_14default_configENS1_38merge_sort_block_merge_config_selectorIjNS0_10empty_typeEEEZZNS1_27merge_sort_block_merge_implIS3_N6thrust23THRUST_200600_302600_NS6detail15normal_iteratorINS9_10device_ptrIjEEEEPS5_jNS1_19radix_merge_compareILb0ELb1EjNS0_19identity_decomposerEEEEE10hipError_tT0_T1_T2_jT3_P12ihipStream_tbPNSt15iterator_traitsISK_E10value_typeEPNSQ_ISL_E10value_typeEPSM_NS1_7vsmem_tEENKUlT_SK_SL_SM_E_clISE_PjSF_SF_EESJ_SZ_SK_SL_SM_EUlSZ_E1_NS1_11comp_targetILNS1_3genE8ELNS1_11target_archE1030ELNS1_3gpuE2ELNS1_3repE0EEENS1_36merge_oddeven_config_static_selectorELNS0_4arch9wavefront6targetE1EEEvSL_,"axG",@progbits,_ZN7rocprim17ROCPRIM_400000_NS6detail17trampoline_kernelINS0_14default_configENS1_38merge_sort_block_merge_config_selectorIjNS0_10empty_typeEEEZZNS1_27merge_sort_block_merge_implIS3_N6thrust23THRUST_200600_302600_NS6detail15normal_iteratorINS9_10device_ptrIjEEEEPS5_jNS1_19radix_merge_compareILb0ELb1EjNS0_19identity_decomposerEEEEE10hipError_tT0_T1_T2_jT3_P12ihipStream_tbPNSt15iterator_traitsISK_E10value_typeEPNSQ_ISL_E10value_typeEPSM_NS1_7vsmem_tEENKUlT_SK_SL_SM_E_clISE_PjSF_SF_EESJ_SZ_SK_SL_SM_EUlSZ_E1_NS1_11comp_targetILNS1_3genE8ELNS1_11target_archE1030ELNS1_3gpuE2ELNS1_3repE0EEENS1_36merge_oddeven_config_static_selectorELNS0_4arch9wavefront6targetE1EEEvSL_,comdat
	.protected	_ZN7rocprim17ROCPRIM_400000_NS6detail17trampoline_kernelINS0_14default_configENS1_38merge_sort_block_merge_config_selectorIjNS0_10empty_typeEEEZZNS1_27merge_sort_block_merge_implIS3_N6thrust23THRUST_200600_302600_NS6detail15normal_iteratorINS9_10device_ptrIjEEEEPS5_jNS1_19radix_merge_compareILb0ELb1EjNS0_19identity_decomposerEEEEE10hipError_tT0_T1_T2_jT3_P12ihipStream_tbPNSt15iterator_traitsISK_E10value_typeEPNSQ_ISL_E10value_typeEPSM_NS1_7vsmem_tEENKUlT_SK_SL_SM_E_clISE_PjSF_SF_EESJ_SZ_SK_SL_SM_EUlSZ_E1_NS1_11comp_targetILNS1_3genE8ELNS1_11target_archE1030ELNS1_3gpuE2ELNS1_3repE0EEENS1_36merge_oddeven_config_static_selectorELNS0_4arch9wavefront6targetE1EEEvSL_ ; -- Begin function _ZN7rocprim17ROCPRIM_400000_NS6detail17trampoline_kernelINS0_14default_configENS1_38merge_sort_block_merge_config_selectorIjNS0_10empty_typeEEEZZNS1_27merge_sort_block_merge_implIS3_N6thrust23THRUST_200600_302600_NS6detail15normal_iteratorINS9_10device_ptrIjEEEEPS5_jNS1_19radix_merge_compareILb0ELb1EjNS0_19identity_decomposerEEEEE10hipError_tT0_T1_T2_jT3_P12ihipStream_tbPNSt15iterator_traitsISK_E10value_typeEPNSQ_ISL_E10value_typeEPSM_NS1_7vsmem_tEENKUlT_SK_SL_SM_E_clISE_PjSF_SF_EESJ_SZ_SK_SL_SM_EUlSZ_E1_NS1_11comp_targetILNS1_3genE8ELNS1_11target_archE1030ELNS1_3gpuE2ELNS1_3repE0EEENS1_36merge_oddeven_config_static_selectorELNS0_4arch9wavefront6targetE1EEEvSL_
	.globl	_ZN7rocprim17ROCPRIM_400000_NS6detail17trampoline_kernelINS0_14default_configENS1_38merge_sort_block_merge_config_selectorIjNS0_10empty_typeEEEZZNS1_27merge_sort_block_merge_implIS3_N6thrust23THRUST_200600_302600_NS6detail15normal_iteratorINS9_10device_ptrIjEEEEPS5_jNS1_19radix_merge_compareILb0ELb1EjNS0_19identity_decomposerEEEEE10hipError_tT0_T1_T2_jT3_P12ihipStream_tbPNSt15iterator_traitsISK_E10value_typeEPNSQ_ISL_E10value_typeEPSM_NS1_7vsmem_tEENKUlT_SK_SL_SM_E_clISE_PjSF_SF_EESJ_SZ_SK_SL_SM_EUlSZ_E1_NS1_11comp_targetILNS1_3genE8ELNS1_11target_archE1030ELNS1_3gpuE2ELNS1_3repE0EEENS1_36merge_oddeven_config_static_selectorELNS0_4arch9wavefront6targetE1EEEvSL_
	.p2align	8
	.type	_ZN7rocprim17ROCPRIM_400000_NS6detail17trampoline_kernelINS0_14default_configENS1_38merge_sort_block_merge_config_selectorIjNS0_10empty_typeEEEZZNS1_27merge_sort_block_merge_implIS3_N6thrust23THRUST_200600_302600_NS6detail15normal_iteratorINS9_10device_ptrIjEEEEPS5_jNS1_19radix_merge_compareILb0ELb1EjNS0_19identity_decomposerEEEEE10hipError_tT0_T1_T2_jT3_P12ihipStream_tbPNSt15iterator_traitsISK_E10value_typeEPNSQ_ISL_E10value_typeEPSM_NS1_7vsmem_tEENKUlT_SK_SL_SM_E_clISE_PjSF_SF_EESJ_SZ_SK_SL_SM_EUlSZ_E1_NS1_11comp_targetILNS1_3genE8ELNS1_11target_archE1030ELNS1_3gpuE2ELNS1_3repE0EEENS1_36merge_oddeven_config_static_selectorELNS0_4arch9wavefront6targetE1EEEvSL_,@function
_ZN7rocprim17ROCPRIM_400000_NS6detail17trampoline_kernelINS0_14default_configENS1_38merge_sort_block_merge_config_selectorIjNS0_10empty_typeEEEZZNS1_27merge_sort_block_merge_implIS3_N6thrust23THRUST_200600_302600_NS6detail15normal_iteratorINS9_10device_ptrIjEEEEPS5_jNS1_19radix_merge_compareILb0ELb1EjNS0_19identity_decomposerEEEEE10hipError_tT0_T1_T2_jT3_P12ihipStream_tbPNSt15iterator_traitsISK_E10value_typeEPNSQ_ISL_E10value_typeEPSM_NS1_7vsmem_tEENKUlT_SK_SL_SM_E_clISE_PjSF_SF_EESJ_SZ_SK_SL_SM_EUlSZ_E1_NS1_11comp_targetILNS1_3genE8ELNS1_11target_archE1030ELNS1_3gpuE2ELNS1_3repE0EEENS1_36merge_oddeven_config_static_selectorELNS0_4arch9wavefront6targetE1EEEvSL_: ; @_ZN7rocprim17ROCPRIM_400000_NS6detail17trampoline_kernelINS0_14default_configENS1_38merge_sort_block_merge_config_selectorIjNS0_10empty_typeEEEZZNS1_27merge_sort_block_merge_implIS3_N6thrust23THRUST_200600_302600_NS6detail15normal_iteratorINS9_10device_ptrIjEEEEPS5_jNS1_19radix_merge_compareILb0ELb1EjNS0_19identity_decomposerEEEEE10hipError_tT0_T1_T2_jT3_P12ihipStream_tbPNSt15iterator_traitsISK_E10value_typeEPNSQ_ISL_E10value_typeEPSM_NS1_7vsmem_tEENKUlT_SK_SL_SM_E_clISE_PjSF_SF_EESJ_SZ_SK_SL_SM_EUlSZ_E1_NS1_11comp_targetILNS1_3genE8ELNS1_11target_archE1030ELNS1_3gpuE2ELNS1_3repE0EEENS1_36merge_oddeven_config_static_selectorELNS0_4arch9wavefront6targetE1EEEvSL_
; %bb.0:
	.section	.rodata,"a",@progbits
	.p2align	6, 0x0
	.amdhsa_kernel _ZN7rocprim17ROCPRIM_400000_NS6detail17trampoline_kernelINS0_14default_configENS1_38merge_sort_block_merge_config_selectorIjNS0_10empty_typeEEEZZNS1_27merge_sort_block_merge_implIS3_N6thrust23THRUST_200600_302600_NS6detail15normal_iteratorINS9_10device_ptrIjEEEEPS5_jNS1_19radix_merge_compareILb0ELb1EjNS0_19identity_decomposerEEEEE10hipError_tT0_T1_T2_jT3_P12ihipStream_tbPNSt15iterator_traitsISK_E10value_typeEPNSQ_ISL_E10value_typeEPSM_NS1_7vsmem_tEENKUlT_SK_SL_SM_E_clISE_PjSF_SF_EESJ_SZ_SK_SL_SM_EUlSZ_E1_NS1_11comp_targetILNS1_3genE8ELNS1_11target_archE1030ELNS1_3gpuE2ELNS1_3repE0EEENS1_36merge_oddeven_config_static_selectorELNS0_4arch9wavefront6targetE1EEEvSL_
		.amdhsa_group_segment_fixed_size 0
		.amdhsa_private_segment_fixed_size 0
		.amdhsa_kernarg_size 48
		.amdhsa_user_sgpr_count 2
		.amdhsa_user_sgpr_dispatch_ptr 0
		.amdhsa_user_sgpr_queue_ptr 0
		.amdhsa_user_sgpr_kernarg_segment_ptr 1
		.amdhsa_user_sgpr_dispatch_id 0
		.amdhsa_user_sgpr_kernarg_preload_length 0
		.amdhsa_user_sgpr_kernarg_preload_offset 0
		.amdhsa_user_sgpr_private_segment_size 0
		.amdhsa_uses_dynamic_stack 0
		.amdhsa_enable_private_segment 0
		.amdhsa_system_sgpr_workgroup_id_x 1
		.amdhsa_system_sgpr_workgroup_id_y 0
		.amdhsa_system_sgpr_workgroup_id_z 0
		.amdhsa_system_sgpr_workgroup_info 0
		.amdhsa_system_vgpr_workitem_id 0
		.amdhsa_next_free_vgpr 1
		.amdhsa_next_free_sgpr 0
		.amdhsa_accum_offset 4
		.amdhsa_reserve_vcc 0
		.amdhsa_float_round_mode_32 0
		.amdhsa_float_round_mode_16_64 0
		.amdhsa_float_denorm_mode_32 3
		.amdhsa_float_denorm_mode_16_64 3
		.amdhsa_dx10_clamp 1
		.amdhsa_ieee_mode 1
		.amdhsa_fp16_overflow 0
		.amdhsa_tg_split 0
		.amdhsa_exception_fp_ieee_invalid_op 0
		.amdhsa_exception_fp_denorm_src 0
		.amdhsa_exception_fp_ieee_div_zero 0
		.amdhsa_exception_fp_ieee_overflow 0
		.amdhsa_exception_fp_ieee_underflow 0
		.amdhsa_exception_fp_ieee_inexact 0
		.amdhsa_exception_int_div_zero 0
	.end_amdhsa_kernel
	.section	.text._ZN7rocprim17ROCPRIM_400000_NS6detail17trampoline_kernelINS0_14default_configENS1_38merge_sort_block_merge_config_selectorIjNS0_10empty_typeEEEZZNS1_27merge_sort_block_merge_implIS3_N6thrust23THRUST_200600_302600_NS6detail15normal_iteratorINS9_10device_ptrIjEEEEPS5_jNS1_19radix_merge_compareILb0ELb1EjNS0_19identity_decomposerEEEEE10hipError_tT0_T1_T2_jT3_P12ihipStream_tbPNSt15iterator_traitsISK_E10value_typeEPNSQ_ISL_E10value_typeEPSM_NS1_7vsmem_tEENKUlT_SK_SL_SM_E_clISE_PjSF_SF_EESJ_SZ_SK_SL_SM_EUlSZ_E1_NS1_11comp_targetILNS1_3genE8ELNS1_11target_archE1030ELNS1_3gpuE2ELNS1_3repE0EEENS1_36merge_oddeven_config_static_selectorELNS0_4arch9wavefront6targetE1EEEvSL_,"axG",@progbits,_ZN7rocprim17ROCPRIM_400000_NS6detail17trampoline_kernelINS0_14default_configENS1_38merge_sort_block_merge_config_selectorIjNS0_10empty_typeEEEZZNS1_27merge_sort_block_merge_implIS3_N6thrust23THRUST_200600_302600_NS6detail15normal_iteratorINS9_10device_ptrIjEEEEPS5_jNS1_19radix_merge_compareILb0ELb1EjNS0_19identity_decomposerEEEEE10hipError_tT0_T1_T2_jT3_P12ihipStream_tbPNSt15iterator_traitsISK_E10value_typeEPNSQ_ISL_E10value_typeEPSM_NS1_7vsmem_tEENKUlT_SK_SL_SM_E_clISE_PjSF_SF_EESJ_SZ_SK_SL_SM_EUlSZ_E1_NS1_11comp_targetILNS1_3genE8ELNS1_11target_archE1030ELNS1_3gpuE2ELNS1_3repE0EEENS1_36merge_oddeven_config_static_selectorELNS0_4arch9wavefront6targetE1EEEvSL_,comdat
.Lfunc_end1073:
	.size	_ZN7rocprim17ROCPRIM_400000_NS6detail17trampoline_kernelINS0_14default_configENS1_38merge_sort_block_merge_config_selectorIjNS0_10empty_typeEEEZZNS1_27merge_sort_block_merge_implIS3_N6thrust23THRUST_200600_302600_NS6detail15normal_iteratorINS9_10device_ptrIjEEEEPS5_jNS1_19radix_merge_compareILb0ELb1EjNS0_19identity_decomposerEEEEE10hipError_tT0_T1_T2_jT3_P12ihipStream_tbPNSt15iterator_traitsISK_E10value_typeEPNSQ_ISL_E10value_typeEPSM_NS1_7vsmem_tEENKUlT_SK_SL_SM_E_clISE_PjSF_SF_EESJ_SZ_SK_SL_SM_EUlSZ_E1_NS1_11comp_targetILNS1_3genE8ELNS1_11target_archE1030ELNS1_3gpuE2ELNS1_3repE0EEENS1_36merge_oddeven_config_static_selectorELNS0_4arch9wavefront6targetE1EEEvSL_, .Lfunc_end1073-_ZN7rocprim17ROCPRIM_400000_NS6detail17trampoline_kernelINS0_14default_configENS1_38merge_sort_block_merge_config_selectorIjNS0_10empty_typeEEEZZNS1_27merge_sort_block_merge_implIS3_N6thrust23THRUST_200600_302600_NS6detail15normal_iteratorINS9_10device_ptrIjEEEEPS5_jNS1_19radix_merge_compareILb0ELb1EjNS0_19identity_decomposerEEEEE10hipError_tT0_T1_T2_jT3_P12ihipStream_tbPNSt15iterator_traitsISK_E10value_typeEPNSQ_ISL_E10value_typeEPSM_NS1_7vsmem_tEENKUlT_SK_SL_SM_E_clISE_PjSF_SF_EESJ_SZ_SK_SL_SM_EUlSZ_E1_NS1_11comp_targetILNS1_3genE8ELNS1_11target_archE1030ELNS1_3gpuE2ELNS1_3repE0EEENS1_36merge_oddeven_config_static_selectorELNS0_4arch9wavefront6targetE1EEEvSL_
                                        ; -- End function
	.section	.AMDGPU.csdata,"",@progbits
; Kernel info:
; codeLenInByte = 0
; NumSgprs: 6
; NumVgprs: 0
; NumAgprs: 0
; TotalNumVgprs: 0
; ScratchSize: 0
; MemoryBound: 0
; FloatMode: 240
; IeeeMode: 1
; LDSByteSize: 0 bytes/workgroup (compile time only)
; SGPRBlocks: 0
; VGPRBlocks: 0
; NumSGPRsForWavesPerEU: 6
; NumVGPRsForWavesPerEU: 1
; AccumOffset: 4
; Occupancy: 8
; WaveLimiterHint : 0
; COMPUTE_PGM_RSRC2:SCRATCH_EN: 0
; COMPUTE_PGM_RSRC2:USER_SGPR: 2
; COMPUTE_PGM_RSRC2:TRAP_HANDLER: 0
; COMPUTE_PGM_RSRC2:TGID_X_EN: 1
; COMPUTE_PGM_RSRC2:TGID_Y_EN: 0
; COMPUTE_PGM_RSRC2:TGID_Z_EN: 0
; COMPUTE_PGM_RSRC2:TIDIG_COMP_CNT: 0
; COMPUTE_PGM_RSRC3_GFX90A:ACCUM_OFFSET: 0
; COMPUTE_PGM_RSRC3_GFX90A:TG_SPLIT: 0
	.section	.text._ZN7rocprim17ROCPRIM_400000_NS6detail17trampoline_kernelINS0_14default_configENS1_35radix_sort_onesweep_config_selectorIjNS0_10empty_typeEEEZNS1_34radix_sort_onesweep_global_offsetsIS3_Lb0EN6thrust23THRUST_200600_302600_NS6detail15normal_iteratorINS9_10device_ptrIjEEEEPS5_jNS0_19identity_decomposerEEE10hipError_tT1_T2_PT3_SK_jT4_jjP12ihipStream_tbEUlT_E_NS1_11comp_targetILNS1_3genE0ELNS1_11target_archE4294967295ELNS1_3gpuE0ELNS1_3repE0EEENS1_52radix_sort_onesweep_histogram_config_static_selectorELNS0_4arch9wavefront6targetE1EEEvSI_,"axG",@progbits,_ZN7rocprim17ROCPRIM_400000_NS6detail17trampoline_kernelINS0_14default_configENS1_35radix_sort_onesweep_config_selectorIjNS0_10empty_typeEEEZNS1_34radix_sort_onesweep_global_offsetsIS3_Lb0EN6thrust23THRUST_200600_302600_NS6detail15normal_iteratorINS9_10device_ptrIjEEEEPS5_jNS0_19identity_decomposerEEE10hipError_tT1_T2_PT3_SK_jT4_jjP12ihipStream_tbEUlT_E_NS1_11comp_targetILNS1_3genE0ELNS1_11target_archE4294967295ELNS1_3gpuE0ELNS1_3repE0EEENS1_52radix_sort_onesweep_histogram_config_static_selectorELNS0_4arch9wavefront6targetE1EEEvSI_,comdat
	.protected	_ZN7rocprim17ROCPRIM_400000_NS6detail17trampoline_kernelINS0_14default_configENS1_35radix_sort_onesweep_config_selectorIjNS0_10empty_typeEEEZNS1_34radix_sort_onesweep_global_offsetsIS3_Lb0EN6thrust23THRUST_200600_302600_NS6detail15normal_iteratorINS9_10device_ptrIjEEEEPS5_jNS0_19identity_decomposerEEE10hipError_tT1_T2_PT3_SK_jT4_jjP12ihipStream_tbEUlT_E_NS1_11comp_targetILNS1_3genE0ELNS1_11target_archE4294967295ELNS1_3gpuE0ELNS1_3repE0EEENS1_52radix_sort_onesweep_histogram_config_static_selectorELNS0_4arch9wavefront6targetE1EEEvSI_ ; -- Begin function _ZN7rocprim17ROCPRIM_400000_NS6detail17trampoline_kernelINS0_14default_configENS1_35radix_sort_onesweep_config_selectorIjNS0_10empty_typeEEEZNS1_34radix_sort_onesweep_global_offsetsIS3_Lb0EN6thrust23THRUST_200600_302600_NS6detail15normal_iteratorINS9_10device_ptrIjEEEEPS5_jNS0_19identity_decomposerEEE10hipError_tT1_T2_PT3_SK_jT4_jjP12ihipStream_tbEUlT_E_NS1_11comp_targetILNS1_3genE0ELNS1_11target_archE4294967295ELNS1_3gpuE0ELNS1_3repE0EEENS1_52radix_sort_onesweep_histogram_config_static_selectorELNS0_4arch9wavefront6targetE1EEEvSI_
	.globl	_ZN7rocprim17ROCPRIM_400000_NS6detail17trampoline_kernelINS0_14default_configENS1_35radix_sort_onesweep_config_selectorIjNS0_10empty_typeEEEZNS1_34radix_sort_onesweep_global_offsetsIS3_Lb0EN6thrust23THRUST_200600_302600_NS6detail15normal_iteratorINS9_10device_ptrIjEEEEPS5_jNS0_19identity_decomposerEEE10hipError_tT1_T2_PT3_SK_jT4_jjP12ihipStream_tbEUlT_E_NS1_11comp_targetILNS1_3genE0ELNS1_11target_archE4294967295ELNS1_3gpuE0ELNS1_3repE0EEENS1_52radix_sort_onesweep_histogram_config_static_selectorELNS0_4arch9wavefront6targetE1EEEvSI_
	.p2align	8
	.type	_ZN7rocprim17ROCPRIM_400000_NS6detail17trampoline_kernelINS0_14default_configENS1_35radix_sort_onesweep_config_selectorIjNS0_10empty_typeEEEZNS1_34radix_sort_onesweep_global_offsetsIS3_Lb0EN6thrust23THRUST_200600_302600_NS6detail15normal_iteratorINS9_10device_ptrIjEEEEPS5_jNS0_19identity_decomposerEEE10hipError_tT1_T2_PT3_SK_jT4_jjP12ihipStream_tbEUlT_E_NS1_11comp_targetILNS1_3genE0ELNS1_11target_archE4294967295ELNS1_3gpuE0ELNS1_3repE0EEENS1_52radix_sort_onesweep_histogram_config_static_selectorELNS0_4arch9wavefront6targetE1EEEvSI_,@function
_ZN7rocprim17ROCPRIM_400000_NS6detail17trampoline_kernelINS0_14default_configENS1_35radix_sort_onesweep_config_selectorIjNS0_10empty_typeEEEZNS1_34radix_sort_onesweep_global_offsetsIS3_Lb0EN6thrust23THRUST_200600_302600_NS6detail15normal_iteratorINS9_10device_ptrIjEEEEPS5_jNS0_19identity_decomposerEEE10hipError_tT1_T2_PT3_SK_jT4_jjP12ihipStream_tbEUlT_E_NS1_11comp_targetILNS1_3genE0ELNS1_11target_archE4294967295ELNS1_3gpuE0ELNS1_3repE0EEENS1_52radix_sort_onesweep_histogram_config_static_selectorELNS0_4arch9wavefront6targetE1EEEvSI_: ; @_ZN7rocprim17ROCPRIM_400000_NS6detail17trampoline_kernelINS0_14default_configENS1_35radix_sort_onesweep_config_selectorIjNS0_10empty_typeEEEZNS1_34radix_sort_onesweep_global_offsetsIS3_Lb0EN6thrust23THRUST_200600_302600_NS6detail15normal_iteratorINS9_10device_ptrIjEEEEPS5_jNS0_19identity_decomposerEEE10hipError_tT1_T2_PT3_SK_jT4_jjP12ihipStream_tbEUlT_E_NS1_11comp_targetILNS1_3genE0ELNS1_11target_archE4294967295ELNS1_3gpuE0ELNS1_3repE0EEENS1_52radix_sort_onesweep_histogram_config_static_selectorELNS0_4arch9wavefront6targetE1EEEvSI_
; %bb.0:
	.section	.rodata,"a",@progbits
	.p2align	6, 0x0
	.amdhsa_kernel _ZN7rocprim17ROCPRIM_400000_NS6detail17trampoline_kernelINS0_14default_configENS1_35radix_sort_onesweep_config_selectorIjNS0_10empty_typeEEEZNS1_34radix_sort_onesweep_global_offsetsIS3_Lb0EN6thrust23THRUST_200600_302600_NS6detail15normal_iteratorINS9_10device_ptrIjEEEEPS5_jNS0_19identity_decomposerEEE10hipError_tT1_T2_PT3_SK_jT4_jjP12ihipStream_tbEUlT_E_NS1_11comp_targetILNS1_3genE0ELNS1_11target_archE4294967295ELNS1_3gpuE0ELNS1_3repE0EEENS1_52radix_sort_onesweep_histogram_config_static_selectorELNS0_4arch9wavefront6targetE1EEEvSI_
		.amdhsa_group_segment_fixed_size 0
		.amdhsa_private_segment_fixed_size 0
		.amdhsa_kernarg_size 40
		.amdhsa_user_sgpr_count 2
		.amdhsa_user_sgpr_dispatch_ptr 0
		.amdhsa_user_sgpr_queue_ptr 0
		.amdhsa_user_sgpr_kernarg_segment_ptr 1
		.amdhsa_user_sgpr_dispatch_id 0
		.amdhsa_user_sgpr_kernarg_preload_length 0
		.amdhsa_user_sgpr_kernarg_preload_offset 0
		.amdhsa_user_sgpr_private_segment_size 0
		.amdhsa_uses_dynamic_stack 0
		.amdhsa_enable_private_segment 0
		.amdhsa_system_sgpr_workgroup_id_x 1
		.amdhsa_system_sgpr_workgroup_id_y 0
		.amdhsa_system_sgpr_workgroup_id_z 0
		.amdhsa_system_sgpr_workgroup_info 0
		.amdhsa_system_vgpr_workitem_id 0
		.amdhsa_next_free_vgpr 1
		.amdhsa_next_free_sgpr 0
		.amdhsa_accum_offset 4
		.amdhsa_reserve_vcc 0
		.amdhsa_float_round_mode_32 0
		.amdhsa_float_round_mode_16_64 0
		.amdhsa_float_denorm_mode_32 3
		.amdhsa_float_denorm_mode_16_64 3
		.amdhsa_dx10_clamp 1
		.amdhsa_ieee_mode 1
		.amdhsa_fp16_overflow 0
		.amdhsa_tg_split 0
		.amdhsa_exception_fp_ieee_invalid_op 0
		.amdhsa_exception_fp_denorm_src 0
		.amdhsa_exception_fp_ieee_div_zero 0
		.amdhsa_exception_fp_ieee_overflow 0
		.amdhsa_exception_fp_ieee_underflow 0
		.amdhsa_exception_fp_ieee_inexact 0
		.amdhsa_exception_int_div_zero 0
	.end_amdhsa_kernel
	.section	.text._ZN7rocprim17ROCPRIM_400000_NS6detail17trampoline_kernelINS0_14default_configENS1_35radix_sort_onesweep_config_selectorIjNS0_10empty_typeEEEZNS1_34radix_sort_onesweep_global_offsetsIS3_Lb0EN6thrust23THRUST_200600_302600_NS6detail15normal_iteratorINS9_10device_ptrIjEEEEPS5_jNS0_19identity_decomposerEEE10hipError_tT1_T2_PT3_SK_jT4_jjP12ihipStream_tbEUlT_E_NS1_11comp_targetILNS1_3genE0ELNS1_11target_archE4294967295ELNS1_3gpuE0ELNS1_3repE0EEENS1_52radix_sort_onesweep_histogram_config_static_selectorELNS0_4arch9wavefront6targetE1EEEvSI_,"axG",@progbits,_ZN7rocprim17ROCPRIM_400000_NS6detail17trampoline_kernelINS0_14default_configENS1_35radix_sort_onesweep_config_selectorIjNS0_10empty_typeEEEZNS1_34radix_sort_onesweep_global_offsetsIS3_Lb0EN6thrust23THRUST_200600_302600_NS6detail15normal_iteratorINS9_10device_ptrIjEEEEPS5_jNS0_19identity_decomposerEEE10hipError_tT1_T2_PT3_SK_jT4_jjP12ihipStream_tbEUlT_E_NS1_11comp_targetILNS1_3genE0ELNS1_11target_archE4294967295ELNS1_3gpuE0ELNS1_3repE0EEENS1_52radix_sort_onesweep_histogram_config_static_selectorELNS0_4arch9wavefront6targetE1EEEvSI_,comdat
.Lfunc_end1074:
	.size	_ZN7rocprim17ROCPRIM_400000_NS6detail17trampoline_kernelINS0_14default_configENS1_35radix_sort_onesweep_config_selectorIjNS0_10empty_typeEEEZNS1_34radix_sort_onesweep_global_offsetsIS3_Lb0EN6thrust23THRUST_200600_302600_NS6detail15normal_iteratorINS9_10device_ptrIjEEEEPS5_jNS0_19identity_decomposerEEE10hipError_tT1_T2_PT3_SK_jT4_jjP12ihipStream_tbEUlT_E_NS1_11comp_targetILNS1_3genE0ELNS1_11target_archE4294967295ELNS1_3gpuE0ELNS1_3repE0EEENS1_52radix_sort_onesweep_histogram_config_static_selectorELNS0_4arch9wavefront6targetE1EEEvSI_, .Lfunc_end1074-_ZN7rocprim17ROCPRIM_400000_NS6detail17trampoline_kernelINS0_14default_configENS1_35radix_sort_onesweep_config_selectorIjNS0_10empty_typeEEEZNS1_34radix_sort_onesweep_global_offsetsIS3_Lb0EN6thrust23THRUST_200600_302600_NS6detail15normal_iteratorINS9_10device_ptrIjEEEEPS5_jNS0_19identity_decomposerEEE10hipError_tT1_T2_PT3_SK_jT4_jjP12ihipStream_tbEUlT_E_NS1_11comp_targetILNS1_3genE0ELNS1_11target_archE4294967295ELNS1_3gpuE0ELNS1_3repE0EEENS1_52radix_sort_onesweep_histogram_config_static_selectorELNS0_4arch9wavefront6targetE1EEEvSI_
                                        ; -- End function
	.section	.AMDGPU.csdata,"",@progbits
; Kernel info:
; codeLenInByte = 0
; NumSgprs: 6
; NumVgprs: 0
; NumAgprs: 0
; TotalNumVgprs: 0
; ScratchSize: 0
; MemoryBound: 0
; FloatMode: 240
; IeeeMode: 1
; LDSByteSize: 0 bytes/workgroup (compile time only)
; SGPRBlocks: 0
; VGPRBlocks: 0
; NumSGPRsForWavesPerEU: 6
; NumVGPRsForWavesPerEU: 1
; AccumOffset: 4
; Occupancy: 8
; WaveLimiterHint : 0
; COMPUTE_PGM_RSRC2:SCRATCH_EN: 0
; COMPUTE_PGM_RSRC2:USER_SGPR: 2
; COMPUTE_PGM_RSRC2:TRAP_HANDLER: 0
; COMPUTE_PGM_RSRC2:TGID_X_EN: 1
; COMPUTE_PGM_RSRC2:TGID_Y_EN: 0
; COMPUTE_PGM_RSRC2:TGID_Z_EN: 0
; COMPUTE_PGM_RSRC2:TIDIG_COMP_CNT: 0
; COMPUTE_PGM_RSRC3_GFX90A:ACCUM_OFFSET: 0
; COMPUTE_PGM_RSRC3_GFX90A:TG_SPLIT: 0
	.section	.text._ZN7rocprim17ROCPRIM_400000_NS6detail17trampoline_kernelINS0_14default_configENS1_35radix_sort_onesweep_config_selectorIjNS0_10empty_typeEEEZNS1_34radix_sort_onesweep_global_offsetsIS3_Lb0EN6thrust23THRUST_200600_302600_NS6detail15normal_iteratorINS9_10device_ptrIjEEEEPS5_jNS0_19identity_decomposerEEE10hipError_tT1_T2_PT3_SK_jT4_jjP12ihipStream_tbEUlT_E_NS1_11comp_targetILNS1_3genE6ELNS1_11target_archE950ELNS1_3gpuE13ELNS1_3repE0EEENS1_52radix_sort_onesweep_histogram_config_static_selectorELNS0_4arch9wavefront6targetE1EEEvSI_,"axG",@progbits,_ZN7rocprim17ROCPRIM_400000_NS6detail17trampoline_kernelINS0_14default_configENS1_35radix_sort_onesweep_config_selectorIjNS0_10empty_typeEEEZNS1_34radix_sort_onesweep_global_offsetsIS3_Lb0EN6thrust23THRUST_200600_302600_NS6detail15normal_iteratorINS9_10device_ptrIjEEEEPS5_jNS0_19identity_decomposerEEE10hipError_tT1_T2_PT3_SK_jT4_jjP12ihipStream_tbEUlT_E_NS1_11comp_targetILNS1_3genE6ELNS1_11target_archE950ELNS1_3gpuE13ELNS1_3repE0EEENS1_52radix_sort_onesweep_histogram_config_static_selectorELNS0_4arch9wavefront6targetE1EEEvSI_,comdat
	.protected	_ZN7rocprim17ROCPRIM_400000_NS6detail17trampoline_kernelINS0_14default_configENS1_35radix_sort_onesweep_config_selectorIjNS0_10empty_typeEEEZNS1_34radix_sort_onesweep_global_offsetsIS3_Lb0EN6thrust23THRUST_200600_302600_NS6detail15normal_iteratorINS9_10device_ptrIjEEEEPS5_jNS0_19identity_decomposerEEE10hipError_tT1_T2_PT3_SK_jT4_jjP12ihipStream_tbEUlT_E_NS1_11comp_targetILNS1_3genE6ELNS1_11target_archE950ELNS1_3gpuE13ELNS1_3repE0EEENS1_52radix_sort_onesweep_histogram_config_static_selectorELNS0_4arch9wavefront6targetE1EEEvSI_ ; -- Begin function _ZN7rocprim17ROCPRIM_400000_NS6detail17trampoline_kernelINS0_14default_configENS1_35radix_sort_onesweep_config_selectorIjNS0_10empty_typeEEEZNS1_34radix_sort_onesweep_global_offsetsIS3_Lb0EN6thrust23THRUST_200600_302600_NS6detail15normal_iteratorINS9_10device_ptrIjEEEEPS5_jNS0_19identity_decomposerEEE10hipError_tT1_T2_PT3_SK_jT4_jjP12ihipStream_tbEUlT_E_NS1_11comp_targetILNS1_3genE6ELNS1_11target_archE950ELNS1_3gpuE13ELNS1_3repE0EEENS1_52radix_sort_onesweep_histogram_config_static_selectorELNS0_4arch9wavefront6targetE1EEEvSI_
	.globl	_ZN7rocprim17ROCPRIM_400000_NS6detail17trampoline_kernelINS0_14default_configENS1_35radix_sort_onesweep_config_selectorIjNS0_10empty_typeEEEZNS1_34radix_sort_onesweep_global_offsetsIS3_Lb0EN6thrust23THRUST_200600_302600_NS6detail15normal_iteratorINS9_10device_ptrIjEEEEPS5_jNS0_19identity_decomposerEEE10hipError_tT1_T2_PT3_SK_jT4_jjP12ihipStream_tbEUlT_E_NS1_11comp_targetILNS1_3genE6ELNS1_11target_archE950ELNS1_3gpuE13ELNS1_3repE0EEENS1_52radix_sort_onesweep_histogram_config_static_selectorELNS0_4arch9wavefront6targetE1EEEvSI_
	.p2align	8
	.type	_ZN7rocprim17ROCPRIM_400000_NS6detail17trampoline_kernelINS0_14default_configENS1_35radix_sort_onesweep_config_selectorIjNS0_10empty_typeEEEZNS1_34radix_sort_onesweep_global_offsetsIS3_Lb0EN6thrust23THRUST_200600_302600_NS6detail15normal_iteratorINS9_10device_ptrIjEEEEPS5_jNS0_19identity_decomposerEEE10hipError_tT1_T2_PT3_SK_jT4_jjP12ihipStream_tbEUlT_E_NS1_11comp_targetILNS1_3genE6ELNS1_11target_archE950ELNS1_3gpuE13ELNS1_3repE0EEENS1_52radix_sort_onesweep_histogram_config_static_selectorELNS0_4arch9wavefront6targetE1EEEvSI_,@function
_ZN7rocprim17ROCPRIM_400000_NS6detail17trampoline_kernelINS0_14default_configENS1_35radix_sort_onesweep_config_selectorIjNS0_10empty_typeEEEZNS1_34radix_sort_onesweep_global_offsetsIS3_Lb0EN6thrust23THRUST_200600_302600_NS6detail15normal_iteratorINS9_10device_ptrIjEEEEPS5_jNS0_19identity_decomposerEEE10hipError_tT1_T2_PT3_SK_jT4_jjP12ihipStream_tbEUlT_E_NS1_11comp_targetILNS1_3genE6ELNS1_11target_archE950ELNS1_3gpuE13ELNS1_3repE0EEENS1_52radix_sort_onesweep_histogram_config_static_selectorELNS0_4arch9wavefront6targetE1EEEvSI_: ; @_ZN7rocprim17ROCPRIM_400000_NS6detail17trampoline_kernelINS0_14default_configENS1_35radix_sort_onesweep_config_selectorIjNS0_10empty_typeEEEZNS1_34radix_sort_onesweep_global_offsetsIS3_Lb0EN6thrust23THRUST_200600_302600_NS6detail15normal_iteratorINS9_10device_ptrIjEEEEPS5_jNS0_19identity_decomposerEEE10hipError_tT1_T2_PT3_SK_jT4_jjP12ihipStream_tbEUlT_E_NS1_11comp_targetILNS1_3genE6ELNS1_11target_archE950ELNS1_3gpuE13ELNS1_3repE0EEENS1_52radix_sort_onesweep_histogram_config_static_selectorELNS0_4arch9wavefront6targetE1EEEvSI_
; %bb.0:
	.section	.rodata,"a",@progbits
	.p2align	6, 0x0
	.amdhsa_kernel _ZN7rocprim17ROCPRIM_400000_NS6detail17trampoline_kernelINS0_14default_configENS1_35radix_sort_onesweep_config_selectorIjNS0_10empty_typeEEEZNS1_34radix_sort_onesweep_global_offsetsIS3_Lb0EN6thrust23THRUST_200600_302600_NS6detail15normal_iteratorINS9_10device_ptrIjEEEEPS5_jNS0_19identity_decomposerEEE10hipError_tT1_T2_PT3_SK_jT4_jjP12ihipStream_tbEUlT_E_NS1_11comp_targetILNS1_3genE6ELNS1_11target_archE950ELNS1_3gpuE13ELNS1_3repE0EEENS1_52radix_sort_onesweep_histogram_config_static_selectorELNS0_4arch9wavefront6targetE1EEEvSI_
		.amdhsa_group_segment_fixed_size 0
		.amdhsa_private_segment_fixed_size 0
		.amdhsa_kernarg_size 40
		.amdhsa_user_sgpr_count 2
		.amdhsa_user_sgpr_dispatch_ptr 0
		.amdhsa_user_sgpr_queue_ptr 0
		.amdhsa_user_sgpr_kernarg_segment_ptr 1
		.amdhsa_user_sgpr_dispatch_id 0
		.amdhsa_user_sgpr_kernarg_preload_length 0
		.amdhsa_user_sgpr_kernarg_preload_offset 0
		.amdhsa_user_sgpr_private_segment_size 0
		.amdhsa_uses_dynamic_stack 0
		.amdhsa_enable_private_segment 0
		.amdhsa_system_sgpr_workgroup_id_x 1
		.amdhsa_system_sgpr_workgroup_id_y 0
		.amdhsa_system_sgpr_workgroup_id_z 0
		.amdhsa_system_sgpr_workgroup_info 0
		.amdhsa_system_vgpr_workitem_id 0
		.amdhsa_next_free_vgpr 1
		.amdhsa_next_free_sgpr 0
		.amdhsa_accum_offset 4
		.amdhsa_reserve_vcc 0
		.amdhsa_float_round_mode_32 0
		.amdhsa_float_round_mode_16_64 0
		.amdhsa_float_denorm_mode_32 3
		.amdhsa_float_denorm_mode_16_64 3
		.amdhsa_dx10_clamp 1
		.amdhsa_ieee_mode 1
		.amdhsa_fp16_overflow 0
		.amdhsa_tg_split 0
		.amdhsa_exception_fp_ieee_invalid_op 0
		.amdhsa_exception_fp_denorm_src 0
		.amdhsa_exception_fp_ieee_div_zero 0
		.amdhsa_exception_fp_ieee_overflow 0
		.amdhsa_exception_fp_ieee_underflow 0
		.amdhsa_exception_fp_ieee_inexact 0
		.amdhsa_exception_int_div_zero 0
	.end_amdhsa_kernel
	.section	.text._ZN7rocprim17ROCPRIM_400000_NS6detail17trampoline_kernelINS0_14default_configENS1_35radix_sort_onesweep_config_selectorIjNS0_10empty_typeEEEZNS1_34radix_sort_onesweep_global_offsetsIS3_Lb0EN6thrust23THRUST_200600_302600_NS6detail15normal_iteratorINS9_10device_ptrIjEEEEPS5_jNS0_19identity_decomposerEEE10hipError_tT1_T2_PT3_SK_jT4_jjP12ihipStream_tbEUlT_E_NS1_11comp_targetILNS1_3genE6ELNS1_11target_archE950ELNS1_3gpuE13ELNS1_3repE0EEENS1_52radix_sort_onesweep_histogram_config_static_selectorELNS0_4arch9wavefront6targetE1EEEvSI_,"axG",@progbits,_ZN7rocprim17ROCPRIM_400000_NS6detail17trampoline_kernelINS0_14default_configENS1_35radix_sort_onesweep_config_selectorIjNS0_10empty_typeEEEZNS1_34radix_sort_onesweep_global_offsetsIS3_Lb0EN6thrust23THRUST_200600_302600_NS6detail15normal_iteratorINS9_10device_ptrIjEEEEPS5_jNS0_19identity_decomposerEEE10hipError_tT1_T2_PT3_SK_jT4_jjP12ihipStream_tbEUlT_E_NS1_11comp_targetILNS1_3genE6ELNS1_11target_archE950ELNS1_3gpuE13ELNS1_3repE0EEENS1_52radix_sort_onesweep_histogram_config_static_selectorELNS0_4arch9wavefront6targetE1EEEvSI_,comdat
.Lfunc_end1075:
	.size	_ZN7rocprim17ROCPRIM_400000_NS6detail17trampoline_kernelINS0_14default_configENS1_35radix_sort_onesweep_config_selectorIjNS0_10empty_typeEEEZNS1_34radix_sort_onesweep_global_offsetsIS3_Lb0EN6thrust23THRUST_200600_302600_NS6detail15normal_iteratorINS9_10device_ptrIjEEEEPS5_jNS0_19identity_decomposerEEE10hipError_tT1_T2_PT3_SK_jT4_jjP12ihipStream_tbEUlT_E_NS1_11comp_targetILNS1_3genE6ELNS1_11target_archE950ELNS1_3gpuE13ELNS1_3repE0EEENS1_52radix_sort_onesweep_histogram_config_static_selectorELNS0_4arch9wavefront6targetE1EEEvSI_, .Lfunc_end1075-_ZN7rocprim17ROCPRIM_400000_NS6detail17trampoline_kernelINS0_14default_configENS1_35radix_sort_onesweep_config_selectorIjNS0_10empty_typeEEEZNS1_34radix_sort_onesweep_global_offsetsIS3_Lb0EN6thrust23THRUST_200600_302600_NS6detail15normal_iteratorINS9_10device_ptrIjEEEEPS5_jNS0_19identity_decomposerEEE10hipError_tT1_T2_PT3_SK_jT4_jjP12ihipStream_tbEUlT_E_NS1_11comp_targetILNS1_3genE6ELNS1_11target_archE950ELNS1_3gpuE13ELNS1_3repE0EEENS1_52radix_sort_onesweep_histogram_config_static_selectorELNS0_4arch9wavefront6targetE1EEEvSI_
                                        ; -- End function
	.section	.AMDGPU.csdata,"",@progbits
; Kernel info:
; codeLenInByte = 0
; NumSgprs: 6
; NumVgprs: 0
; NumAgprs: 0
; TotalNumVgprs: 0
; ScratchSize: 0
; MemoryBound: 0
; FloatMode: 240
; IeeeMode: 1
; LDSByteSize: 0 bytes/workgroup (compile time only)
; SGPRBlocks: 0
; VGPRBlocks: 0
; NumSGPRsForWavesPerEU: 6
; NumVGPRsForWavesPerEU: 1
; AccumOffset: 4
; Occupancy: 8
; WaveLimiterHint : 0
; COMPUTE_PGM_RSRC2:SCRATCH_EN: 0
; COMPUTE_PGM_RSRC2:USER_SGPR: 2
; COMPUTE_PGM_RSRC2:TRAP_HANDLER: 0
; COMPUTE_PGM_RSRC2:TGID_X_EN: 1
; COMPUTE_PGM_RSRC2:TGID_Y_EN: 0
; COMPUTE_PGM_RSRC2:TGID_Z_EN: 0
; COMPUTE_PGM_RSRC2:TIDIG_COMP_CNT: 0
; COMPUTE_PGM_RSRC3_GFX90A:ACCUM_OFFSET: 0
; COMPUTE_PGM_RSRC3_GFX90A:TG_SPLIT: 0
	.section	.text._ZN7rocprim17ROCPRIM_400000_NS6detail17trampoline_kernelINS0_14default_configENS1_35radix_sort_onesweep_config_selectorIjNS0_10empty_typeEEEZNS1_34radix_sort_onesweep_global_offsetsIS3_Lb0EN6thrust23THRUST_200600_302600_NS6detail15normal_iteratorINS9_10device_ptrIjEEEEPS5_jNS0_19identity_decomposerEEE10hipError_tT1_T2_PT3_SK_jT4_jjP12ihipStream_tbEUlT_E_NS1_11comp_targetILNS1_3genE5ELNS1_11target_archE942ELNS1_3gpuE9ELNS1_3repE0EEENS1_52radix_sort_onesweep_histogram_config_static_selectorELNS0_4arch9wavefront6targetE1EEEvSI_,"axG",@progbits,_ZN7rocprim17ROCPRIM_400000_NS6detail17trampoline_kernelINS0_14default_configENS1_35radix_sort_onesweep_config_selectorIjNS0_10empty_typeEEEZNS1_34radix_sort_onesweep_global_offsetsIS3_Lb0EN6thrust23THRUST_200600_302600_NS6detail15normal_iteratorINS9_10device_ptrIjEEEEPS5_jNS0_19identity_decomposerEEE10hipError_tT1_T2_PT3_SK_jT4_jjP12ihipStream_tbEUlT_E_NS1_11comp_targetILNS1_3genE5ELNS1_11target_archE942ELNS1_3gpuE9ELNS1_3repE0EEENS1_52radix_sort_onesweep_histogram_config_static_selectorELNS0_4arch9wavefront6targetE1EEEvSI_,comdat
	.protected	_ZN7rocprim17ROCPRIM_400000_NS6detail17trampoline_kernelINS0_14default_configENS1_35radix_sort_onesweep_config_selectorIjNS0_10empty_typeEEEZNS1_34radix_sort_onesweep_global_offsetsIS3_Lb0EN6thrust23THRUST_200600_302600_NS6detail15normal_iteratorINS9_10device_ptrIjEEEEPS5_jNS0_19identity_decomposerEEE10hipError_tT1_T2_PT3_SK_jT4_jjP12ihipStream_tbEUlT_E_NS1_11comp_targetILNS1_3genE5ELNS1_11target_archE942ELNS1_3gpuE9ELNS1_3repE0EEENS1_52radix_sort_onesweep_histogram_config_static_selectorELNS0_4arch9wavefront6targetE1EEEvSI_ ; -- Begin function _ZN7rocprim17ROCPRIM_400000_NS6detail17trampoline_kernelINS0_14default_configENS1_35radix_sort_onesweep_config_selectorIjNS0_10empty_typeEEEZNS1_34radix_sort_onesweep_global_offsetsIS3_Lb0EN6thrust23THRUST_200600_302600_NS6detail15normal_iteratorINS9_10device_ptrIjEEEEPS5_jNS0_19identity_decomposerEEE10hipError_tT1_T2_PT3_SK_jT4_jjP12ihipStream_tbEUlT_E_NS1_11comp_targetILNS1_3genE5ELNS1_11target_archE942ELNS1_3gpuE9ELNS1_3repE0EEENS1_52radix_sort_onesweep_histogram_config_static_selectorELNS0_4arch9wavefront6targetE1EEEvSI_
	.globl	_ZN7rocprim17ROCPRIM_400000_NS6detail17trampoline_kernelINS0_14default_configENS1_35radix_sort_onesweep_config_selectorIjNS0_10empty_typeEEEZNS1_34radix_sort_onesweep_global_offsetsIS3_Lb0EN6thrust23THRUST_200600_302600_NS6detail15normal_iteratorINS9_10device_ptrIjEEEEPS5_jNS0_19identity_decomposerEEE10hipError_tT1_T2_PT3_SK_jT4_jjP12ihipStream_tbEUlT_E_NS1_11comp_targetILNS1_3genE5ELNS1_11target_archE942ELNS1_3gpuE9ELNS1_3repE0EEENS1_52radix_sort_onesweep_histogram_config_static_selectorELNS0_4arch9wavefront6targetE1EEEvSI_
	.p2align	8
	.type	_ZN7rocprim17ROCPRIM_400000_NS6detail17trampoline_kernelINS0_14default_configENS1_35radix_sort_onesweep_config_selectorIjNS0_10empty_typeEEEZNS1_34radix_sort_onesweep_global_offsetsIS3_Lb0EN6thrust23THRUST_200600_302600_NS6detail15normal_iteratorINS9_10device_ptrIjEEEEPS5_jNS0_19identity_decomposerEEE10hipError_tT1_T2_PT3_SK_jT4_jjP12ihipStream_tbEUlT_E_NS1_11comp_targetILNS1_3genE5ELNS1_11target_archE942ELNS1_3gpuE9ELNS1_3repE0EEENS1_52radix_sort_onesweep_histogram_config_static_selectorELNS0_4arch9wavefront6targetE1EEEvSI_,@function
_ZN7rocprim17ROCPRIM_400000_NS6detail17trampoline_kernelINS0_14default_configENS1_35radix_sort_onesweep_config_selectorIjNS0_10empty_typeEEEZNS1_34radix_sort_onesweep_global_offsetsIS3_Lb0EN6thrust23THRUST_200600_302600_NS6detail15normal_iteratorINS9_10device_ptrIjEEEEPS5_jNS0_19identity_decomposerEEE10hipError_tT1_T2_PT3_SK_jT4_jjP12ihipStream_tbEUlT_E_NS1_11comp_targetILNS1_3genE5ELNS1_11target_archE942ELNS1_3gpuE9ELNS1_3repE0EEENS1_52radix_sort_onesweep_histogram_config_static_selectorELNS0_4arch9wavefront6targetE1EEEvSI_: ; @_ZN7rocprim17ROCPRIM_400000_NS6detail17trampoline_kernelINS0_14default_configENS1_35radix_sort_onesweep_config_selectorIjNS0_10empty_typeEEEZNS1_34radix_sort_onesweep_global_offsetsIS3_Lb0EN6thrust23THRUST_200600_302600_NS6detail15normal_iteratorINS9_10device_ptrIjEEEEPS5_jNS0_19identity_decomposerEEE10hipError_tT1_T2_PT3_SK_jT4_jjP12ihipStream_tbEUlT_E_NS1_11comp_targetILNS1_3genE5ELNS1_11target_archE942ELNS1_3gpuE9ELNS1_3repE0EEENS1_52radix_sort_onesweep_histogram_config_static_selectorELNS0_4arch9wavefront6targetE1EEEvSI_
; %bb.0:
	s_load_dword s11, s[0:1], 0x14
	s_load_dwordx4 s[4:7], s[0:1], 0x0
	s_load_dwordx2 s[8:9], s[0:1], 0x1c
	s_lshl_b32 s10, s2, 13
	s_waitcnt lgkmcnt(0)
	s_cmp_ge_u32 s2, s11
	s_mov_b64 s[2:3], -1
	s_cbranch_scc0 .LBB1076_159
; %bb.1:
	s_load_dword s2, s[0:1], 0x10
	s_lshl_b32 s3, s11, 13
	s_mov_b32 s11, 0
	s_lshl_b64 s[0:1], s[10:11], 2
                                        ; implicit-def: $vgpr15
	s_waitcnt lgkmcnt(0)
	s_sub_i32 s11, s2, s3
	s_add_u32 s0, s4, s0
	s_addc_u32 s1, s5, s1
	v_cmp_gt_u32_e32 vcc, s11, v0
	s_and_saveexec_b64 s[2:3], vcc
	s_cbranch_execz .LBB1076_3
; %bb.2:
	v_lshlrev_b32_e32 v1, 2, v0
	global_load_dword v15, v1, s[0:1]
.LBB1076_3:
	s_or_b64 exec, exec, s[2:3]
	v_or_b32_e32 v16, 0x400, v0
	v_cmp_gt_u32_e32 vcc, s11, v16
                                        ; implicit-def: $vgpr14
	s_and_saveexec_b64 s[2:3], vcc
	s_cbranch_execz .LBB1076_5
; %bb.4:
	v_lshlrev_b32_e32 v1, 2, v16
	global_load_dword v14, v1, s[0:1]
.LBB1076_5:
	s_or_b64 exec, exec, s[2:3]
	v_or_b32_e32 v13, 0x800, v0
	v_cmp_gt_u32_e32 vcc, s11, v13
                                        ; implicit-def: $vgpr12
	s_and_saveexec_b64 s[2:3], vcc
	s_cbranch_execz .LBB1076_7
; %bb.6:
	v_lshlrev_b32_e32 v1, 2, v13
	global_load_dword v12, v1, s[0:1]
.LBB1076_7:
	s_or_b64 exec, exec, s[2:3]
	v_or_b32_e32 v11, 0xc00, v0
	v_cmp_gt_u32_e32 vcc, s11, v11
                                        ; implicit-def: $vgpr10
	s_and_saveexec_b64 s[2:3], vcc
	s_cbranch_execz .LBB1076_9
; %bb.8:
	v_lshlrev_b32_e32 v1, 2, v11
	global_load_dword v10, v1, s[0:1]
.LBB1076_9:
	s_or_b64 exec, exec, s[2:3]
	v_or_b32_e32 v9, 0x1000, v0
	v_cmp_gt_u32_e32 vcc, s11, v9
                                        ; implicit-def: $vgpr8
	s_and_saveexec_b64 s[2:3], vcc
	s_cbranch_execz .LBB1076_11
; %bb.10:
	v_lshlrev_b32_e32 v1, 2, v9
	global_load_dword v8, v1, s[0:1]
.LBB1076_11:
	s_or_b64 exec, exec, s[2:3]
	v_or_b32_e32 v7, 0x1400, v0
	v_cmp_gt_u32_e32 vcc, s11, v7
                                        ; implicit-def: $vgpr6
	s_and_saveexec_b64 s[2:3], vcc
	s_cbranch_execz .LBB1076_13
; %bb.12:
	v_lshlrev_b32_e32 v1, 2, v7
	global_load_dword v6, v1, s[0:1]
.LBB1076_13:
	s_or_b64 exec, exec, s[2:3]
	v_or_b32_e32 v5, 0x1800, v0
	v_cmp_gt_u32_e32 vcc, s11, v5
                                        ; implicit-def: $vgpr4
	s_and_saveexec_b64 s[2:3], vcc
	s_cbranch_execz .LBB1076_15
; %bb.14:
	v_lshlrev_b32_e32 v1, 2, v5
	global_load_dword v4, v1, s[0:1]
.LBB1076_15:
	s_or_b64 exec, exec, s[2:3]
	v_or_b32_e32 v3, 0x1c00, v0
	v_cmp_gt_u32_e32 vcc, s11, v3
                                        ; implicit-def: $vgpr1
	s_and_saveexec_b64 s[2:3], vcc
	s_cbranch_execz .LBB1076_17
; %bb.16:
	v_lshlrev_b32_e32 v1, 2, v3
	global_load_dword v1, v1, s[0:1]
.LBB1076_17:
	s_or_b64 exec, exec, s[2:3]
	s_cmp_le_u32 s9, s8
	s_cselect_b64 s[2:3], -1, 0
	v_cmp_le_u32_e32 vcc, s11, v0
	s_and_b64 s[0:1], s[2:3], exec
	v_lshlrev_b32_e32 v17, 2, v0
	v_mov_b32_e32 v18, 0
	s_cselect_b32 s18, 8, 10
	s_or_b64 s[0:1], s[2:3], vcc
	v_and_b32_e32 v2, 3, v0
	ds_write2st64_b32 v17, v18, v18 offset1:16
	ds_write2st64_b32 v17, v18, v18 offset0:32 offset1:48
	s_xor_b64 s[12:13], s[0:1], -1
	v_mov_b32_e32 v17, s18
	s_waitcnt lgkmcnt(0)
	s_barrier
	s_and_saveexec_b64 s[0:1], s[12:13]
	s_cbranch_execz .LBB1076_19
; %bb.18:
	s_sub_i32 s12, s9, s8
	s_min_u32 s12, s12, 8
	s_waitcnt vmcnt(0)
	v_lshrrev_b32_e32 v17, s8, v15
	v_bfe_u32 v17, v17, 0, s12
	v_lshlrev_b32_e32 v18, 2, v2
	v_lshl_or_b32 v17, v17, 4, v18
	v_mov_b32_e32 v18, 1
	ds_add_u32 v17, v18
	v_mov_b32_e32 v17, 0
.LBB1076_19:
	s_or_b64 exec, exec, s[0:1]
	v_cmp_gt_i32_e64 s[0:1], 10, v17
	s_mov_b64 s[14:15], -1
	s_and_saveexec_b64 s[12:13], s[0:1]
; %bb.20:
	v_cmp_eq_u32_e64 s[0:1], 0, v17
	s_orn2_b64 s[14:15], s[0:1], exec
; %bb.21:
	s_or_b64 exec, exec, s[12:13]
	s_and_saveexec_b64 s[12:13], s[14:15]
	s_cbranch_execz .LBB1076_34
; %bb.22:
	s_add_i32 s14, s8, 8
	s_cmp_le_u32 s9, s14
	s_cselect_b64 s[0:1], -1, 0
	s_and_b64 s[16:17], s[0:1], exec
	s_cselect_b32 s15, 8, 10
	s_or_b64 s[0:1], s[0:1], vcc
	s_xor_b64 s[16:17], s[0:1], -1
	v_mov_b32_e32 v17, s15
	s_and_saveexec_b64 s[0:1], s[16:17]
	s_cbranch_execz .LBB1076_24
; %bb.23:
	s_sub_i32 s15, s9, s14
	s_min_u32 s15, s15, 8
	s_waitcnt vmcnt(0)
	v_lshrrev_b32_e32 v17, s14, v15
	v_bfe_u32 v17, v17, 0, s15
	v_lshlrev_b32_e32 v18, 2, v2
	v_lshl_or_b32 v17, v17, 4, v18
	v_mov_b32_e32 v18, 1
	ds_add_u32 v17, v18 offset:4096
	v_mov_b32_e32 v17, 0
.LBB1076_24:
	s_or_b64 exec, exec, s[0:1]
	v_cmp_gt_i32_e64 s[0:1], 10, v17
	s_mov_b64 s[14:15], -1
	s_and_saveexec_b64 s[16:17], s[0:1]
; %bb.25:
	v_cmp_eq_u32_e64 s[0:1], 0, v17
	s_orn2_b64 s[14:15], s[0:1], exec
; %bb.26:
	s_or_b64 exec, exec, s[16:17]
	s_and_b64 exec, exec, s[14:15]
	s_cbranch_execz .LBB1076_34
; %bb.27:
	s_add_i32 s14, s8, 16
	s_cmp_le_u32 s9, s14
	s_cselect_b64 s[0:1], -1, 0
	s_and_b64 s[16:17], s[0:1], exec
	s_cselect_b32 s15, 8, 10
	s_or_b64 s[0:1], s[0:1], vcc
	s_xor_b64 s[16:17], s[0:1], -1
	v_mov_b32_e32 v17, s15
	s_and_saveexec_b64 s[0:1], s[16:17]
	s_cbranch_execz .LBB1076_29
; %bb.28:
	s_sub_i32 s15, s9, s14
	s_min_u32 s15, s15, 8
	s_waitcnt vmcnt(0)
	v_lshrrev_b32_e32 v17, s14, v15
	v_bfe_u32 v17, v17, 0, s15
	v_lshlrev_b32_e32 v18, 2, v2
	v_lshl_or_b32 v17, v17, 4, v18
	v_mov_b32_e32 v18, 1
	ds_add_u32 v17, v18 offset:8192
	v_mov_b32_e32 v17, 0
.LBB1076_29:
	s_or_b64 exec, exec, s[0:1]
	v_cmp_gt_i32_e64 s[0:1], 10, v17
	s_mov_b64 s[14:15], -1
	s_and_saveexec_b64 s[16:17], s[0:1]
; %bb.30:
	v_cmp_eq_u32_e64 s[0:1], 0, v17
	s_orn2_b64 s[14:15], s[0:1], exec
; %bb.31:
	s_or_b64 exec, exec, s[16:17]
	s_and_b64 exec, exec, s[14:15]
	s_cbranch_execz .LBB1076_34
; %bb.32:
	s_add_i32 s0, s8, 24
	s_cmp_gt_u32 s9, s0
	s_cselect_b64 s[14:15], -1, 0
	s_xor_b64 s[16:17], vcc, -1
	s_and_b64 s[14:15], s[14:15], s[16:17]
	s_and_b64 exec, exec, s[14:15]
	s_cbranch_execz .LBB1076_34
; %bb.33:
	s_sub_i32 s1, s9, s0
	s_min_u32 s1, s1, 8
	s_waitcnt vmcnt(0)
	v_lshrrev_b32_e32 v15, s0, v15
	v_bfe_u32 v15, v15, 0, s1
	v_lshlrev_b32_e32 v17, 2, v2
	v_lshl_or_b32 v15, v15, 4, v17
	v_mov_b32_e32 v17, 1
	ds_add_u32 v15, v17 offset:12288
.LBB1076_34:
	s_or_b64 exec, exec, s[12:13]
	v_cmp_le_u32_e32 vcc, s11, v16
	s_or_b64 s[0:1], s[2:3], vcc
	s_xor_b64 s[12:13], s[0:1], -1
	s_waitcnt vmcnt(0)
	v_mov_b32_e32 v15, s18
	s_and_saveexec_b64 s[0:1], s[12:13]
	s_cbranch_execz .LBB1076_36
; %bb.35:
	s_sub_i32 s12, s9, s8
	s_min_u32 s12, s12, 8
	v_lshrrev_b32_e32 v15, s8, v14
	v_bfe_u32 v15, v15, 0, s12
	v_lshlrev_b32_e32 v16, 2, v2
	v_lshl_or_b32 v15, v15, 4, v16
	v_mov_b32_e32 v16, 1
	ds_add_u32 v15, v16
	v_mov_b32_e32 v15, 0
.LBB1076_36:
	s_or_b64 exec, exec, s[0:1]
	v_cmp_gt_i32_e64 s[0:1], 10, v15
	s_mov_b64 s[14:15], -1
	s_and_saveexec_b64 s[12:13], s[0:1]
; %bb.37:
	v_cmp_eq_u32_e64 s[0:1], 0, v15
	s_orn2_b64 s[14:15], s[0:1], exec
; %bb.38:
	s_or_b64 exec, exec, s[12:13]
	s_and_saveexec_b64 s[12:13], s[14:15]
	s_cbranch_execz .LBB1076_51
; %bb.39:
	s_add_i32 s14, s8, 8
	s_cmp_le_u32 s9, s14
	s_cselect_b64 s[0:1], -1, 0
	s_and_b64 s[16:17], s[0:1], exec
	s_cselect_b32 s15, 8, 10
	s_or_b64 s[0:1], s[0:1], vcc
	s_xor_b64 s[16:17], s[0:1], -1
	v_mov_b32_e32 v15, s15
	s_and_saveexec_b64 s[0:1], s[16:17]
	s_cbranch_execz .LBB1076_41
; %bb.40:
	s_sub_i32 s15, s9, s14
	s_min_u32 s15, s15, 8
	v_lshrrev_b32_e32 v15, s14, v14
	v_bfe_u32 v15, v15, 0, s15
	v_lshlrev_b32_e32 v16, 2, v2
	v_lshl_or_b32 v15, v15, 4, v16
	v_mov_b32_e32 v16, 1
	ds_add_u32 v15, v16 offset:4096
	v_mov_b32_e32 v15, 0
.LBB1076_41:
	s_or_b64 exec, exec, s[0:1]
	v_cmp_gt_i32_e64 s[0:1], 10, v15
	s_mov_b64 s[14:15], -1
	s_and_saveexec_b64 s[16:17], s[0:1]
; %bb.42:
	v_cmp_eq_u32_e64 s[0:1], 0, v15
	s_orn2_b64 s[14:15], s[0:1], exec
; %bb.43:
	s_or_b64 exec, exec, s[16:17]
	s_and_b64 exec, exec, s[14:15]
	s_cbranch_execz .LBB1076_51
; %bb.44:
	s_add_i32 s14, s8, 16
	s_cmp_le_u32 s9, s14
	s_cselect_b64 s[0:1], -1, 0
	s_and_b64 s[16:17], s[0:1], exec
	s_cselect_b32 s15, 8, 10
	s_or_b64 s[0:1], s[0:1], vcc
	s_xor_b64 s[16:17], s[0:1], -1
	v_mov_b32_e32 v15, s15
	s_and_saveexec_b64 s[0:1], s[16:17]
	s_cbranch_execz .LBB1076_46
; %bb.45:
	s_sub_i32 s15, s9, s14
	s_min_u32 s15, s15, 8
	v_lshrrev_b32_e32 v15, s14, v14
	v_bfe_u32 v15, v15, 0, s15
	v_lshlrev_b32_e32 v16, 2, v2
	v_lshl_or_b32 v15, v15, 4, v16
	v_mov_b32_e32 v16, 1
	ds_add_u32 v15, v16 offset:8192
	v_mov_b32_e32 v15, 0
.LBB1076_46:
	s_or_b64 exec, exec, s[0:1]
	v_cmp_gt_i32_e64 s[0:1], 10, v15
	s_mov_b64 s[14:15], -1
	s_and_saveexec_b64 s[16:17], s[0:1]
; %bb.47:
	v_cmp_eq_u32_e64 s[0:1], 0, v15
	s_orn2_b64 s[14:15], s[0:1], exec
; %bb.48:
	s_or_b64 exec, exec, s[16:17]
	s_and_b64 exec, exec, s[14:15]
	s_cbranch_execz .LBB1076_51
; %bb.49:
	s_add_i32 s0, s8, 24
	s_cmp_gt_u32 s9, s0
	s_cselect_b64 s[14:15], -1, 0
	s_xor_b64 s[16:17], vcc, -1
	s_and_b64 s[14:15], s[14:15], s[16:17]
	s_and_b64 exec, exec, s[14:15]
	s_cbranch_execz .LBB1076_51
; %bb.50:
	s_sub_i32 s1, s9, s0
	s_min_u32 s1, s1, 8
	v_lshrrev_b32_e32 v14, s0, v14
	v_bfe_u32 v14, v14, 0, s1
	v_lshlrev_b32_e32 v15, 2, v2
	v_lshl_or_b32 v14, v14, 4, v15
	v_mov_b32_e32 v15, 1
	ds_add_u32 v14, v15 offset:12288
.LBB1076_51:
	s_or_b64 exec, exec, s[12:13]
	v_cmp_le_u32_e32 vcc, s11, v13
	s_or_b64 s[0:1], s[2:3], vcc
	s_xor_b64 s[12:13], s[0:1], -1
	v_mov_b32_e32 v13, s18
	s_and_saveexec_b64 s[0:1], s[12:13]
	s_cbranch_execz .LBB1076_53
; %bb.52:
	s_sub_i32 s12, s9, s8
	s_min_u32 s12, s12, 8
	v_lshrrev_b32_e32 v13, s8, v12
	v_bfe_u32 v13, v13, 0, s12
	v_lshlrev_b32_e32 v14, 2, v2
	v_lshl_or_b32 v13, v13, 4, v14
	v_mov_b32_e32 v14, 1
	ds_add_u32 v13, v14
	v_mov_b32_e32 v13, 0
.LBB1076_53:
	s_or_b64 exec, exec, s[0:1]
	v_cmp_gt_i32_e64 s[0:1], 10, v13
	s_mov_b64 s[14:15], -1
	s_and_saveexec_b64 s[12:13], s[0:1]
; %bb.54:
	v_cmp_eq_u32_e64 s[0:1], 0, v13
	s_orn2_b64 s[14:15], s[0:1], exec
; %bb.55:
	s_or_b64 exec, exec, s[12:13]
	s_and_saveexec_b64 s[12:13], s[14:15]
	s_cbranch_execz .LBB1076_68
; %bb.56:
	s_add_i32 s14, s8, 8
	s_cmp_le_u32 s9, s14
	s_cselect_b64 s[0:1], -1, 0
	s_and_b64 s[16:17], s[0:1], exec
	s_cselect_b32 s15, 8, 10
	s_or_b64 s[0:1], s[0:1], vcc
	s_xor_b64 s[16:17], s[0:1], -1
	v_mov_b32_e32 v13, s15
	s_and_saveexec_b64 s[0:1], s[16:17]
	s_cbranch_execz .LBB1076_58
; %bb.57:
	s_sub_i32 s15, s9, s14
	s_min_u32 s15, s15, 8
	v_lshrrev_b32_e32 v13, s14, v12
	v_bfe_u32 v13, v13, 0, s15
	v_lshlrev_b32_e32 v14, 2, v2
	v_lshl_or_b32 v13, v13, 4, v14
	v_mov_b32_e32 v14, 1
	ds_add_u32 v13, v14 offset:4096
	v_mov_b32_e32 v13, 0
.LBB1076_58:
	s_or_b64 exec, exec, s[0:1]
	v_cmp_gt_i32_e64 s[0:1], 10, v13
	s_mov_b64 s[14:15], -1
	s_and_saveexec_b64 s[16:17], s[0:1]
; %bb.59:
	v_cmp_eq_u32_e64 s[0:1], 0, v13
	s_orn2_b64 s[14:15], s[0:1], exec
; %bb.60:
	s_or_b64 exec, exec, s[16:17]
	s_and_b64 exec, exec, s[14:15]
	s_cbranch_execz .LBB1076_68
; %bb.61:
	s_add_i32 s14, s8, 16
	s_cmp_le_u32 s9, s14
	s_cselect_b64 s[0:1], -1, 0
	s_and_b64 s[16:17], s[0:1], exec
	s_cselect_b32 s15, 8, 10
	s_or_b64 s[0:1], s[0:1], vcc
	s_xor_b64 s[16:17], s[0:1], -1
	v_mov_b32_e32 v13, s15
	s_and_saveexec_b64 s[0:1], s[16:17]
	s_cbranch_execz .LBB1076_63
; %bb.62:
	s_sub_i32 s15, s9, s14
	s_min_u32 s15, s15, 8
	v_lshrrev_b32_e32 v13, s14, v12
	v_bfe_u32 v13, v13, 0, s15
	v_lshlrev_b32_e32 v14, 2, v2
	v_lshl_or_b32 v13, v13, 4, v14
	v_mov_b32_e32 v14, 1
	ds_add_u32 v13, v14 offset:8192
	v_mov_b32_e32 v13, 0
.LBB1076_63:
	s_or_b64 exec, exec, s[0:1]
	v_cmp_gt_i32_e64 s[0:1], 10, v13
	s_mov_b64 s[14:15], -1
	s_and_saveexec_b64 s[16:17], s[0:1]
; %bb.64:
	v_cmp_eq_u32_e64 s[0:1], 0, v13
	s_orn2_b64 s[14:15], s[0:1], exec
; %bb.65:
	s_or_b64 exec, exec, s[16:17]
	s_and_b64 exec, exec, s[14:15]
	s_cbranch_execz .LBB1076_68
; %bb.66:
	s_add_i32 s0, s8, 24
	s_cmp_gt_u32 s9, s0
	s_cselect_b64 s[14:15], -1, 0
	s_xor_b64 s[16:17], vcc, -1
	s_and_b64 s[14:15], s[14:15], s[16:17]
	s_and_b64 exec, exec, s[14:15]
	s_cbranch_execz .LBB1076_68
; %bb.67:
	s_sub_i32 s1, s9, s0
	s_min_u32 s1, s1, 8
	v_lshrrev_b32_e32 v12, s0, v12
	v_bfe_u32 v12, v12, 0, s1
	v_lshlrev_b32_e32 v13, 2, v2
	v_lshl_or_b32 v12, v12, 4, v13
	v_mov_b32_e32 v13, 1
	ds_add_u32 v12, v13 offset:12288
.LBB1076_68:
	s_or_b64 exec, exec, s[12:13]
	v_cmp_le_u32_e32 vcc, s11, v11
	s_or_b64 s[0:1], s[2:3], vcc
	s_xor_b64 s[12:13], s[0:1], -1
	v_mov_b32_e32 v11, s18
	s_and_saveexec_b64 s[0:1], s[12:13]
	s_cbranch_execz .LBB1076_70
; %bb.69:
	s_sub_i32 s12, s9, s8
	s_min_u32 s12, s12, 8
	v_lshrrev_b32_e32 v11, s8, v10
	v_bfe_u32 v11, v11, 0, s12
	v_lshlrev_b32_e32 v12, 2, v2
	v_lshl_or_b32 v11, v11, 4, v12
	v_mov_b32_e32 v12, 1
	ds_add_u32 v11, v12
	v_mov_b32_e32 v11, 0
.LBB1076_70:
	s_or_b64 exec, exec, s[0:1]
	v_cmp_gt_i32_e64 s[0:1], 10, v11
	s_mov_b64 s[14:15], -1
	s_and_saveexec_b64 s[12:13], s[0:1]
; %bb.71:
	v_cmp_eq_u32_e64 s[0:1], 0, v11
	s_orn2_b64 s[14:15], s[0:1], exec
; %bb.72:
	s_or_b64 exec, exec, s[12:13]
	s_and_saveexec_b64 s[12:13], s[14:15]
	s_cbranch_execz .LBB1076_85
; %bb.73:
	s_add_i32 s14, s8, 8
	s_cmp_le_u32 s9, s14
	s_cselect_b64 s[0:1], -1, 0
	s_and_b64 s[16:17], s[0:1], exec
	s_cselect_b32 s15, 8, 10
	s_or_b64 s[0:1], s[0:1], vcc
	s_xor_b64 s[16:17], s[0:1], -1
	v_mov_b32_e32 v11, s15
	s_and_saveexec_b64 s[0:1], s[16:17]
	s_cbranch_execz .LBB1076_75
; %bb.74:
	s_sub_i32 s15, s9, s14
	s_min_u32 s15, s15, 8
	v_lshrrev_b32_e32 v11, s14, v10
	v_bfe_u32 v11, v11, 0, s15
	v_lshlrev_b32_e32 v12, 2, v2
	v_lshl_or_b32 v11, v11, 4, v12
	v_mov_b32_e32 v12, 1
	ds_add_u32 v11, v12 offset:4096
	v_mov_b32_e32 v11, 0
.LBB1076_75:
	s_or_b64 exec, exec, s[0:1]
	v_cmp_gt_i32_e64 s[0:1], 10, v11
	s_mov_b64 s[14:15], -1
	s_and_saveexec_b64 s[16:17], s[0:1]
; %bb.76:
	v_cmp_eq_u32_e64 s[0:1], 0, v11
	s_orn2_b64 s[14:15], s[0:1], exec
; %bb.77:
	s_or_b64 exec, exec, s[16:17]
	s_and_b64 exec, exec, s[14:15]
	s_cbranch_execz .LBB1076_85
; %bb.78:
	s_add_i32 s14, s8, 16
	s_cmp_le_u32 s9, s14
	s_cselect_b64 s[0:1], -1, 0
	s_and_b64 s[16:17], s[0:1], exec
	s_cselect_b32 s15, 8, 10
	s_or_b64 s[0:1], s[0:1], vcc
	s_xor_b64 s[16:17], s[0:1], -1
	v_mov_b32_e32 v11, s15
	s_and_saveexec_b64 s[0:1], s[16:17]
	s_cbranch_execz .LBB1076_80
; %bb.79:
	s_sub_i32 s15, s9, s14
	s_min_u32 s15, s15, 8
	v_lshrrev_b32_e32 v11, s14, v10
	v_bfe_u32 v11, v11, 0, s15
	v_lshlrev_b32_e32 v12, 2, v2
	v_lshl_or_b32 v11, v11, 4, v12
	v_mov_b32_e32 v12, 1
	ds_add_u32 v11, v12 offset:8192
	v_mov_b32_e32 v11, 0
.LBB1076_80:
	s_or_b64 exec, exec, s[0:1]
	v_cmp_gt_i32_e64 s[0:1], 10, v11
	s_mov_b64 s[14:15], -1
	s_and_saveexec_b64 s[16:17], s[0:1]
; %bb.81:
	v_cmp_eq_u32_e64 s[0:1], 0, v11
	s_orn2_b64 s[14:15], s[0:1], exec
; %bb.82:
	s_or_b64 exec, exec, s[16:17]
	s_and_b64 exec, exec, s[14:15]
	s_cbranch_execz .LBB1076_85
; %bb.83:
	s_add_i32 s0, s8, 24
	s_cmp_gt_u32 s9, s0
	s_cselect_b64 s[14:15], -1, 0
	s_xor_b64 s[16:17], vcc, -1
	s_and_b64 s[14:15], s[14:15], s[16:17]
	s_and_b64 exec, exec, s[14:15]
	s_cbranch_execz .LBB1076_85
; %bb.84:
	s_sub_i32 s1, s9, s0
	s_min_u32 s1, s1, 8
	v_lshrrev_b32_e32 v10, s0, v10
	v_bfe_u32 v10, v10, 0, s1
	v_lshlrev_b32_e32 v11, 2, v2
	v_lshl_or_b32 v10, v10, 4, v11
	v_mov_b32_e32 v11, 1
	ds_add_u32 v10, v11 offset:12288
.LBB1076_85:
	s_or_b64 exec, exec, s[12:13]
	v_cmp_le_u32_e32 vcc, s11, v9
	s_or_b64 s[0:1], s[2:3], vcc
	s_xor_b64 s[12:13], s[0:1], -1
	v_mov_b32_e32 v9, s18
	s_and_saveexec_b64 s[0:1], s[12:13]
	s_cbranch_execz .LBB1076_87
; %bb.86:
	s_sub_i32 s12, s9, s8
	s_min_u32 s12, s12, 8
	v_lshrrev_b32_e32 v9, s8, v8
	v_bfe_u32 v9, v9, 0, s12
	v_lshlrev_b32_e32 v10, 2, v2
	v_lshl_or_b32 v9, v9, 4, v10
	v_mov_b32_e32 v10, 1
	ds_add_u32 v9, v10
	v_mov_b32_e32 v9, 0
.LBB1076_87:
	s_or_b64 exec, exec, s[0:1]
	v_cmp_gt_i32_e64 s[0:1], 10, v9
	s_mov_b64 s[14:15], -1
	s_and_saveexec_b64 s[12:13], s[0:1]
; %bb.88:
	v_cmp_eq_u32_e64 s[0:1], 0, v9
	s_orn2_b64 s[14:15], s[0:1], exec
; %bb.89:
	s_or_b64 exec, exec, s[12:13]
	s_and_saveexec_b64 s[12:13], s[14:15]
	s_cbranch_execz .LBB1076_102
; %bb.90:
	s_add_i32 s14, s8, 8
	s_cmp_le_u32 s9, s14
	s_cselect_b64 s[0:1], -1, 0
	s_and_b64 s[16:17], s[0:1], exec
	s_cselect_b32 s15, 8, 10
	s_or_b64 s[0:1], s[0:1], vcc
	s_xor_b64 s[16:17], s[0:1], -1
	v_mov_b32_e32 v9, s15
	s_and_saveexec_b64 s[0:1], s[16:17]
	s_cbranch_execz .LBB1076_92
; %bb.91:
	s_sub_i32 s15, s9, s14
	s_min_u32 s15, s15, 8
	v_lshrrev_b32_e32 v9, s14, v8
	v_bfe_u32 v9, v9, 0, s15
	v_lshlrev_b32_e32 v10, 2, v2
	v_lshl_or_b32 v9, v9, 4, v10
	v_mov_b32_e32 v10, 1
	ds_add_u32 v9, v10 offset:4096
	v_mov_b32_e32 v9, 0
.LBB1076_92:
	s_or_b64 exec, exec, s[0:1]
	v_cmp_gt_i32_e64 s[0:1], 10, v9
	s_mov_b64 s[14:15], -1
	s_and_saveexec_b64 s[16:17], s[0:1]
; %bb.93:
	v_cmp_eq_u32_e64 s[0:1], 0, v9
	s_orn2_b64 s[14:15], s[0:1], exec
; %bb.94:
	s_or_b64 exec, exec, s[16:17]
	s_and_b64 exec, exec, s[14:15]
	s_cbranch_execz .LBB1076_102
; %bb.95:
	s_add_i32 s14, s8, 16
	s_cmp_le_u32 s9, s14
	s_cselect_b64 s[0:1], -1, 0
	s_and_b64 s[16:17], s[0:1], exec
	s_cselect_b32 s15, 8, 10
	s_or_b64 s[0:1], s[0:1], vcc
	s_xor_b64 s[16:17], s[0:1], -1
	v_mov_b32_e32 v9, s15
	s_and_saveexec_b64 s[0:1], s[16:17]
	s_cbranch_execz .LBB1076_97
; %bb.96:
	s_sub_i32 s15, s9, s14
	s_min_u32 s15, s15, 8
	v_lshrrev_b32_e32 v9, s14, v8
	v_bfe_u32 v9, v9, 0, s15
	v_lshlrev_b32_e32 v10, 2, v2
	v_lshl_or_b32 v9, v9, 4, v10
	v_mov_b32_e32 v10, 1
	ds_add_u32 v9, v10 offset:8192
	v_mov_b32_e32 v9, 0
.LBB1076_97:
	s_or_b64 exec, exec, s[0:1]
	v_cmp_gt_i32_e64 s[0:1], 10, v9
	s_mov_b64 s[14:15], -1
	s_and_saveexec_b64 s[16:17], s[0:1]
; %bb.98:
	v_cmp_eq_u32_e64 s[0:1], 0, v9
	s_orn2_b64 s[14:15], s[0:1], exec
; %bb.99:
	s_or_b64 exec, exec, s[16:17]
	s_and_b64 exec, exec, s[14:15]
	s_cbranch_execz .LBB1076_102
; %bb.100:
	s_add_i32 s0, s8, 24
	s_cmp_gt_u32 s9, s0
	s_cselect_b64 s[14:15], -1, 0
	s_xor_b64 s[16:17], vcc, -1
	s_and_b64 s[14:15], s[14:15], s[16:17]
	s_and_b64 exec, exec, s[14:15]
	s_cbranch_execz .LBB1076_102
; %bb.101:
	s_sub_i32 s1, s9, s0
	s_min_u32 s1, s1, 8
	v_lshrrev_b32_e32 v8, s0, v8
	v_bfe_u32 v8, v8, 0, s1
	v_lshlrev_b32_e32 v9, 2, v2
	v_lshl_or_b32 v8, v8, 4, v9
	v_mov_b32_e32 v9, 1
	ds_add_u32 v8, v9 offset:12288
.LBB1076_102:
	s_or_b64 exec, exec, s[12:13]
	v_cmp_le_u32_e32 vcc, s11, v7
	s_or_b64 s[0:1], s[2:3], vcc
	s_xor_b64 s[12:13], s[0:1], -1
	v_mov_b32_e32 v7, s18
	s_and_saveexec_b64 s[0:1], s[12:13]
	s_cbranch_execz .LBB1076_104
; %bb.103:
	s_sub_i32 s12, s9, s8
	s_min_u32 s12, s12, 8
	v_lshrrev_b32_e32 v7, s8, v6
	v_bfe_u32 v7, v7, 0, s12
	v_lshlrev_b32_e32 v8, 2, v2
	v_lshl_or_b32 v7, v7, 4, v8
	v_mov_b32_e32 v8, 1
	ds_add_u32 v7, v8
	v_mov_b32_e32 v7, 0
.LBB1076_104:
	s_or_b64 exec, exec, s[0:1]
	v_cmp_gt_i32_e64 s[0:1], 10, v7
	s_mov_b64 s[14:15], -1
	s_and_saveexec_b64 s[12:13], s[0:1]
; %bb.105:
	v_cmp_eq_u32_e64 s[0:1], 0, v7
	s_orn2_b64 s[14:15], s[0:1], exec
; %bb.106:
	s_or_b64 exec, exec, s[12:13]
	s_and_saveexec_b64 s[12:13], s[14:15]
	s_cbranch_execz .LBB1076_119
; %bb.107:
	s_add_i32 s14, s8, 8
	s_cmp_le_u32 s9, s14
	s_cselect_b64 s[0:1], -1, 0
	s_and_b64 s[16:17], s[0:1], exec
	s_cselect_b32 s15, 8, 10
	s_or_b64 s[0:1], s[0:1], vcc
	s_xor_b64 s[16:17], s[0:1], -1
	v_mov_b32_e32 v7, s15
	s_and_saveexec_b64 s[0:1], s[16:17]
	s_cbranch_execz .LBB1076_109
; %bb.108:
	s_sub_i32 s15, s9, s14
	s_min_u32 s15, s15, 8
	v_lshrrev_b32_e32 v7, s14, v6
	v_bfe_u32 v7, v7, 0, s15
	v_lshlrev_b32_e32 v8, 2, v2
	v_lshl_or_b32 v7, v7, 4, v8
	v_mov_b32_e32 v8, 1
	ds_add_u32 v7, v8 offset:4096
	v_mov_b32_e32 v7, 0
.LBB1076_109:
	s_or_b64 exec, exec, s[0:1]
	v_cmp_gt_i32_e64 s[0:1], 10, v7
	s_mov_b64 s[14:15], -1
	s_and_saveexec_b64 s[16:17], s[0:1]
; %bb.110:
	v_cmp_eq_u32_e64 s[0:1], 0, v7
	s_orn2_b64 s[14:15], s[0:1], exec
; %bb.111:
	s_or_b64 exec, exec, s[16:17]
	s_and_b64 exec, exec, s[14:15]
	s_cbranch_execz .LBB1076_119
; %bb.112:
	s_add_i32 s14, s8, 16
	s_cmp_le_u32 s9, s14
	s_cselect_b64 s[0:1], -1, 0
	s_and_b64 s[16:17], s[0:1], exec
	s_cselect_b32 s15, 8, 10
	s_or_b64 s[0:1], s[0:1], vcc
	s_xor_b64 s[16:17], s[0:1], -1
	v_mov_b32_e32 v7, s15
	s_and_saveexec_b64 s[0:1], s[16:17]
	s_cbranch_execz .LBB1076_114
; %bb.113:
	s_sub_i32 s15, s9, s14
	s_min_u32 s15, s15, 8
	v_lshrrev_b32_e32 v7, s14, v6
	v_bfe_u32 v7, v7, 0, s15
	v_lshlrev_b32_e32 v8, 2, v2
	v_lshl_or_b32 v7, v7, 4, v8
	v_mov_b32_e32 v8, 1
	ds_add_u32 v7, v8 offset:8192
	v_mov_b32_e32 v7, 0
.LBB1076_114:
	s_or_b64 exec, exec, s[0:1]
	v_cmp_gt_i32_e64 s[0:1], 10, v7
	s_mov_b64 s[14:15], -1
	s_and_saveexec_b64 s[16:17], s[0:1]
; %bb.115:
	v_cmp_eq_u32_e64 s[0:1], 0, v7
	s_orn2_b64 s[14:15], s[0:1], exec
; %bb.116:
	s_or_b64 exec, exec, s[16:17]
	s_and_b64 exec, exec, s[14:15]
	s_cbranch_execz .LBB1076_119
; %bb.117:
	s_add_i32 s0, s8, 24
	s_cmp_gt_u32 s9, s0
	s_cselect_b64 s[14:15], -1, 0
	s_xor_b64 s[16:17], vcc, -1
	s_and_b64 s[14:15], s[14:15], s[16:17]
	s_and_b64 exec, exec, s[14:15]
	s_cbranch_execz .LBB1076_119
; %bb.118:
	s_sub_i32 s1, s9, s0
	s_min_u32 s1, s1, 8
	v_lshrrev_b32_e32 v6, s0, v6
	v_bfe_u32 v6, v6, 0, s1
	v_lshlrev_b32_e32 v7, 2, v2
	v_lshl_or_b32 v6, v6, 4, v7
	v_mov_b32_e32 v7, 1
	ds_add_u32 v6, v7 offset:12288
.LBB1076_119:
	s_or_b64 exec, exec, s[12:13]
	v_cmp_le_u32_e32 vcc, s11, v5
	s_or_b64 s[0:1], s[2:3], vcc
	s_xor_b64 s[12:13], s[0:1], -1
	v_mov_b32_e32 v5, s18
	s_and_saveexec_b64 s[0:1], s[12:13]
	s_cbranch_execz .LBB1076_121
; %bb.120:
	s_sub_i32 s12, s9, s8
	s_min_u32 s12, s12, 8
	v_lshrrev_b32_e32 v5, s8, v4
	v_bfe_u32 v5, v5, 0, s12
	v_lshlrev_b32_e32 v6, 2, v2
	v_lshl_or_b32 v5, v5, 4, v6
	v_mov_b32_e32 v6, 1
	ds_add_u32 v5, v6
	v_mov_b32_e32 v5, 0
.LBB1076_121:
	s_or_b64 exec, exec, s[0:1]
	v_cmp_gt_i32_e64 s[0:1], 10, v5
	s_mov_b64 s[14:15], -1
	s_and_saveexec_b64 s[12:13], s[0:1]
; %bb.122:
	v_cmp_eq_u32_e64 s[0:1], 0, v5
	s_orn2_b64 s[14:15], s[0:1], exec
; %bb.123:
	s_or_b64 exec, exec, s[12:13]
	s_and_saveexec_b64 s[12:13], s[14:15]
	s_cbranch_execz .LBB1076_136
; %bb.124:
	s_add_i32 s14, s8, 8
	s_cmp_le_u32 s9, s14
	s_cselect_b64 s[0:1], -1, 0
	s_and_b64 s[16:17], s[0:1], exec
	s_cselect_b32 s15, 8, 10
	s_or_b64 s[0:1], s[0:1], vcc
	s_xor_b64 s[16:17], s[0:1], -1
	v_mov_b32_e32 v5, s15
	s_and_saveexec_b64 s[0:1], s[16:17]
	s_cbranch_execz .LBB1076_126
; %bb.125:
	s_sub_i32 s15, s9, s14
	s_min_u32 s15, s15, 8
	v_lshrrev_b32_e32 v5, s14, v4
	v_bfe_u32 v5, v5, 0, s15
	v_lshlrev_b32_e32 v6, 2, v2
	v_lshl_or_b32 v5, v5, 4, v6
	v_mov_b32_e32 v6, 1
	ds_add_u32 v5, v6 offset:4096
	v_mov_b32_e32 v5, 0
.LBB1076_126:
	s_or_b64 exec, exec, s[0:1]
	v_cmp_gt_i32_e64 s[0:1], 10, v5
	s_mov_b64 s[14:15], -1
	s_and_saveexec_b64 s[16:17], s[0:1]
; %bb.127:
	v_cmp_eq_u32_e64 s[0:1], 0, v5
	s_orn2_b64 s[14:15], s[0:1], exec
; %bb.128:
	s_or_b64 exec, exec, s[16:17]
	s_and_b64 exec, exec, s[14:15]
	s_cbranch_execz .LBB1076_136
; %bb.129:
	s_add_i32 s14, s8, 16
	s_cmp_le_u32 s9, s14
	s_cselect_b64 s[0:1], -1, 0
	s_and_b64 s[16:17], s[0:1], exec
	s_cselect_b32 s15, 8, 10
	s_or_b64 s[0:1], s[0:1], vcc
	s_xor_b64 s[16:17], s[0:1], -1
	v_mov_b32_e32 v5, s15
	s_and_saveexec_b64 s[0:1], s[16:17]
	s_cbranch_execz .LBB1076_131
; %bb.130:
	s_sub_i32 s15, s9, s14
	s_min_u32 s15, s15, 8
	v_lshrrev_b32_e32 v5, s14, v4
	v_bfe_u32 v5, v5, 0, s15
	v_lshlrev_b32_e32 v6, 2, v2
	v_lshl_or_b32 v5, v5, 4, v6
	v_mov_b32_e32 v6, 1
	ds_add_u32 v5, v6 offset:8192
	v_mov_b32_e32 v5, 0
.LBB1076_131:
	s_or_b64 exec, exec, s[0:1]
	v_cmp_gt_i32_e64 s[0:1], 10, v5
	s_mov_b64 s[14:15], -1
	s_and_saveexec_b64 s[16:17], s[0:1]
; %bb.132:
	v_cmp_eq_u32_e64 s[0:1], 0, v5
	s_orn2_b64 s[14:15], s[0:1], exec
; %bb.133:
	s_or_b64 exec, exec, s[16:17]
	s_and_b64 exec, exec, s[14:15]
	s_cbranch_execz .LBB1076_136
; %bb.134:
	s_add_i32 s0, s8, 24
	s_cmp_gt_u32 s9, s0
	s_cselect_b64 s[14:15], -1, 0
	s_xor_b64 s[16:17], vcc, -1
	s_and_b64 s[14:15], s[14:15], s[16:17]
	s_and_b64 exec, exec, s[14:15]
	s_cbranch_execz .LBB1076_136
; %bb.135:
	s_sub_i32 s1, s9, s0
	s_min_u32 s1, s1, 8
	v_lshrrev_b32_e32 v4, s0, v4
	v_bfe_u32 v4, v4, 0, s1
	v_lshlrev_b32_e32 v5, 2, v2
	v_lshl_or_b32 v4, v4, 4, v5
	v_mov_b32_e32 v5, 1
	ds_add_u32 v4, v5 offset:12288
.LBB1076_136:
	s_or_b64 exec, exec, s[12:13]
	v_cmp_le_u32_e32 vcc, s11, v3
	s_or_b64 s[0:1], s[2:3], vcc
	s_xor_b64 s[2:3], s[0:1], -1
	v_mov_b32_e32 v3, s18
	s_and_saveexec_b64 s[0:1], s[2:3]
	s_cbranch_execz .LBB1076_138
; %bb.137:
	s_sub_i32 s2, s9, s8
	s_min_u32 s2, s2, 8
	v_lshrrev_b32_e32 v3, s8, v1
	v_bfe_u32 v3, v3, 0, s2
	v_lshlrev_b32_e32 v4, 2, v2
	v_lshl_or_b32 v3, v3, 4, v4
	v_mov_b32_e32 v4, 1
	ds_add_u32 v3, v4
	v_mov_b32_e32 v3, 0
.LBB1076_138:
	s_or_b64 exec, exec, s[0:1]
	v_cmp_gt_i32_e64 s[0:1], 10, v3
	s_mov_b64 s[12:13], -1
	s_and_saveexec_b64 s[2:3], s[0:1]
; %bb.139:
	v_cmp_eq_u32_e64 s[0:1], 0, v3
	s_orn2_b64 s[12:13], s[0:1], exec
; %bb.140:
	s_or_b64 exec, exec, s[2:3]
	s_and_saveexec_b64 s[2:3], s[12:13]
	s_cbranch_execz .LBB1076_153
; %bb.141:
	s_add_i32 s11, s8, 8
	s_cmp_le_u32 s9, s11
	s_cselect_b64 s[0:1], -1, 0
	s_and_b64 s[12:13], s[0:1], exec
	s_cselect_b32 s14, 8, 10
	s_or_b64 s[0:1], s[0:1], vcc
	s_xor_b64 s[12:13], s[0:1], -1
	v_mov_b32_e32 v3, s14
	s_and_saveexec_b64 s[0:1], s[12:13]
	s_cbranch_execz .LBB1076_143
; %bb.142:
	s_sub_i32 s12, s9, s11
	s_min_u32 s12, s12, 8
	v_lshrrev_b32_e32 v3, s11, v1
	v_bfe_u32 v3, v3, 0, s12
	v_lshlrev_b32_e32 v4, 2, v2
	v_lshl_or_b32 v3, v3, 4, v4
	v_mov_b32_e32 v4, 1
	ds_add_u32 v3, v4 offset:4096
	v_mov_b32_e32 v3, 0
.LBB1076_143:
	s_or_b64 exec, exec, s[0:1]
	v_cmp_gt_i32_e64 s[0:1], 10, v3
	s_mov_b64 s[12:13], -1
	s_and_saveexec_b64 s[14:15], s[0:1]
; %bb.144:
	v_cmp_eq_u32_e64 s[0:1], 0, v3
	s_orn2_b64 s[12:13], s[0:1], exec
; %bb.145:
	s_or_b64 exec, exec, s[14:15]
	s_and_b64 exec, exec, s[12:13]
	s_cbranch_execz .LBB1076_153
; %bb.146:
	s_add_i32 s11, s8, 16
	s_cmp_le_u32 s9, s11
	s_cselect_b64 s[0:1], -1, 0
	s_and_b64 s[12:13], s[0:1], exec
	s_cselect_b32 s14, 8, 10
	s_or_b64 s[0:1], s[0:1], vcc
	s_xor_b64 s[12:13], s[0:1], -1
	v_mov_b32_e32 v3, s14
	s_and_saveexec_b64 s[0:1], s[12:13]
	s_cbranch_execz .LBB1076_148
; %bb.147:
	s_sub_i32 s12, s9, s11
	s_min_u32 s12, s12, 8
	v_lshrrev_b32_e32 v3, s11, v1
	v_bfe_u32 v3, v3, 0, s12
	v_lshlrev_b32_e32 v4, 2, v2
	v_lshl_or_b32 v3, v3, 4, v4
	v_mov_b32_e32 v4, 1
	ds_add_u32 v3, v4 offset:8192
	v_mov_b32_e32 v3, 0
.LBB1076_148:
	s_or_b64 exec, exec, s[0:1]
	v_cmp_gt_i32_e64 s[0:1], 10, v3
	s_mov_b64 s[12:13], -1
	s_and_saveexec_b64 s[14:15], s[0:1]
; %bb.149:
	v_cmp_eq_u32_e64 s[0:1], 0, v3
	s_orn2_b64 s[12:13], s[0:1], exec
; %bb.150:
	s_or_b64 exec, exec, s[14:15]
	s_and_b64 exec, exec, s[12:13]
	s_cbranch_execz .LBB1076_153
; %bb.151:
	s_add_i32 s0, s8, 24
	s_cmp_gt_u32 s9, s0
	s_cselect_b64 s[12:13], -1, 0
	s_xor_b64 s[14:15], vcc, -1
	s_and_b64 s[12:13], s[12:13], s[14:15]
	s_and_b64 exec, exec, s[12:13]
	s_cbranch_execz .LBB1076_153
; %bb.152:
	s_sub_i32 s1, s9, s0
	s_min_u32 s1, s1, 8
	v_lshrrev_b32_e32 v1, s0, v1
	v_bfe_u32 v1, v1, 0, s1
	v_lshlrev_b32_e32 v2, 2, v2
	v_lshl_or_b32 v1, v1, 4, v2
	v_mov_b32_e32 v2, 1
	ds_add_u32 v1, v2 offset:12288
.LBB1076_153:
	s_or_b64 exec, exec, s[2:3]
	s_cmp_gt_u32 s9, s8
	s_waitcnt lgkmcnt(0)
	s_barrier
	s_cbranch_scc0 .LBB1076_158
; %bb.154:
	s_movk_i32 s0, 0x100
	v_cmp_gt_u32_e32 vcc, s0, v0
	v_lshlrev_b32_e32 v1, 4, v0
	v_mov_b32_e32 v3, 0
	v_mov_b32_e32 v2, v0
	s_mov_b32 s2, s8
	s_branch .LBB1076_156
.LBB1076_155:                           ;   in Loop: Header=BB1076_156 Depth=1
	s_or_b64 exec, exec, s[0:1]
	s_add_i32 s2, s2, 8
	v_add_u32_e32 v2, 0x100, v2
	s_cmp_lt_u32 s2, s9
	v_add_u32_e32 v1, 0x1000, v1
	s_cbranch_scc0 .LBB1076_158
.LBB1076_156:                           ; =>This Inner Loop Header: Depth=1
	s_and_saveexec_b64 s[0:1], vcc
	s_cbranch_execz .LBB1076_155
; %bb.157:                              ;   in Loop: Header=BB1076_156 Depth=1
	ds_read2_b32 v[4:5], v1 offset1:1
	ds_read2_b32 v[6:7], v1 offset0:2 offset1:3
	s_waitcnt lgkmcnt(1)
	v_add_u32_e32 v4, v5, v4
	s_waitcnt lgkmcnt(0)
	v_add3_u32 v6, v4, v6, v7
	v_lshl_add_u64 v[4:5], v[2:3], 2, s[6:7]
	global_atomic_add v[4:5], v6, off
	s_branch .LBB1076_155
.LBB1076_158:
	s_mov_b64 s[2:3], 0
.LBB1076_159:
	s_and_b64 vcc, exec, s[2:3]
	s_cbranch_vccz .LBB1076_219
; %bb.160:
	s_cmp_eq_u32 s8, 0
	s_cselect_b64 s[0:1], -1, 0
	s_cmp_eq_u32 s9, 32
	s_mov_b32 s11, 0
	s_cselect_b64 s[2:3], -1, 0
	s_and_b64 s[2:3], s[0:1], s[2:3]
	s_lshl_b64 s[0:1], s[10:11], 2
	s_add_u32 s0, s4, s0
	s_addc_u32 s1, s5, s1
	v_mov_b32_e32 v3, 0
	v_lshlrev_b32_e32 v2, 2, v0
	v_lshl_add_u64 v[4:5], s[0:1], 0, v[2:3]
	s_movk_i32 s4, 0x2000
	v_add_co_u32_e32 v6, vcc, s4, v4
	s_movk_i32 s4, 0x4000
	s_nop 0
	v_addc_co_u32_e32 v7, vcc, 0, v5, vcc
	v_add_co_u32_e32 v12, vcc, s4, v4
	s_movk_i32 s4, 0x5000
	s_nop 0
	v_addc_co_u32_e32 v13, vcc, 0, v5, vcc
	global_load_dword v11, v[6:7], off offset:-4096
	global_load_dword v10, v[6:7], off
	global_load_dword v9, v[12:13], off offset:-4096
	global_load_dword v8, v[12:13], off
	v_add_co_u32_e32 v12, vcc, s4, v4
	s_nop 1
	v_addc_co_u32_e32 v13, vcc, 0, v5, vcc
	v_add_co_u32_e32 v14, vcc, 0x6000, v4
	s_nop 1
	v_addc_co_u32_e32 v15, vcc, 0, v5, vcc
	v_add_co_u32_e32 v4, vcc, 0x7000, v4
	global_load_dword v7, v[12:13], off
	global_load_dword v6, v[14:15], off
	v_addc_co_u32_e32 v5, vcc, 0, v5, vcc
	global_load_dword v12, v2, s[0:1]
	global_load_dword v1, v[4:5], off
	s_mov_b64 s[0:1], -1
	s_and_b64 vcc, exec, s[2:3]
	s_cbranch_vccnz .LBB1076_216
; %bb.161:
	s_cmp_gt_u32 s9, s8
	s_cselect_b64 s[0:1], -1, 0
	s_and_b64 vcc, exec, s[0:1]
	ds_write2st64_b32 v2, v3, v3 offset1:16
	ds_write2st64_b32 v2, v3, v3 offset0:32 offset1:48
	s_waitcnt lgkmcnt(0)
	s_barrier
	s_cbranch_vccz .LBB1076_210
; %bb.162:
	s_sub_i32 s2, s9, s8
	s_min_u32 s2, s2, 8
	s_lshl_b32 s2, -1, s2
	v_and_b32_e32 v3, 3, v0
	s_not_b32 s13, s2
	s_waitcnt vmcnt(1)
	v_lshrrev_b32_e32 v4, s8, v12
	v_and_b32_e32 v5, s13, v4
	v_lshlrev_b32_e32 v4, 2, v3
	v_lshl_or_b32 v5, v5, 4, v4
	v_mov_b32_e32 v13, 1
	ds_add_u32 v5, v13
	s_add_i32 s12, s8, 8
	s_cmp_le_u32 s9, s12
	s_cselect_b64 s[2:3], -1, 0
	v_lshrrev_b32_e32 v5, s8, v11
	s_and_b64 vcc, exec, s[2:3]
	v_and_b32_e32 v5, s13, v5
	s_cbranch_vccz .LBB1076_164
; %bb.163:
	v_lshl_or_b32 v13, v5, 2, v3
	s_mov_b64 s[4:5], -1
	s_cbranch_execz .LBB1076_165
	s_branch .LBB1076_172
.LBB1076_164:
	s_mov_b64 s[4:5], 0
                                        ; implicit-def: $vgpr13
.LBB1076_165:
	s_sub_i32 s10, s9, s12
	s_min_u32 s10, s10, 8
	s_lshl_b32 s10, -1, s10
	s_not_b32 s15, s10
	v_lshrrev_b32_e32 v13, s12, v12
	v_and_b32_e32 v13, s15, v13
	v_lshl_or_b32 v14, v13, 4, v4
	v_mov_b32_e32 v13, 1
	ds_add_u32 v14, v13 offset:4096
	s_add_i32 s14, s8, 16
	s_cmp_gt_u32 s9, s14
	s_cselect_b64 s[10:11], -1, 0
	s_cmp_le_u32 s9, s14
	s_cbranch_scc1 .LBB1076_168
; %bb.166:
	s_sub_i32 s16, s9, s14
	s_min_u32 s16, s16, 8
	v_lshrrev_b32_e32 v14, s14, v12
	v_bfe_u32 v14, v14, 0, s16
	v_lshl_or_b32 v14, v14, 4, v4
	ds_add_u32 v14, v13 offset:8192
	s_add_i32 s16, s8, 24
	s_cmp_le_u32 s9, s16
	s_cbranch_scc1 .LBB1076_168
; %bb.167:
	s_sub_i32 s17, s9, s16
	s_min_u32 s17, s17, 8
	v_lshrrev_b32_e32 v14, s16, v12
	v_bfe_u32 v14, v14, 0, s17
	v_lshl_or_b32 v14, v14, 4, v4
	v_mov_b32_e32 v15, 1
	ds_add_u32 v14, v15 offset:12288
.LBB1076_168:
	v_lshl_or_b32 v5, v5, 4, v4
	ds_add_u32 v5, v13
	v_lshrrev_b32_e32 v5, s12, v11
	v_and_b32_e32 v5, s15, v5
	v_lshl_or_b32 v5, v5, 4, v4
	ds_add_u32 v5, v13 offset:4096
	s_andn2_b64 vcc, exec, s[10:11]
	s_cbranch_vccnz .LBB1076_171
; %bb.169:
	s_sub_i32 s10, s9, s14
	s_min_u32 s10, s10, 8
	v_lshrrev_b32_e32 v5, s14, v11
	v_bfe_u32 v5, v5, 0, s10
	v_lshl_or_b32 v5, v5, 4, v4
	v_mov_b32_e32 v13, 1
	ds_add_u32 v5, v13 offset:8192
	s_add_i32 s10, s8, 24
	s_cmp_gt_u32 s9, s10
	s_cbranch_scc0 .LBB1076_171
; %bb.170:
	s_sub_i32 s4, s9, s10
	s_min_u32 s4, s4, 8
	v_lshrrev_b32_e32 v5, s10, v11
	v_bfe_u32 v5, v5, 0, s4
	v_lshl_or_b32 v5, v5, 2, v3
	v_add_u32_e32 v13, 0xc00, v5
	s_mov_b64 s[4:5], -1
	s_branch .LBB1076_172
.LBB1076_171:
                                        ; implicit-def: $vgpr13
.LBB1076_172:
	s_and_b64 vcc, exec, s[4:5]
	s_cbranch_vccz .LBB1076_174
; %bb.173:
	v_lshlrev_b32_e32 v5, 2, v13
	v_mov_b32_e32 v13, 1
	ds_add_u32 v5, v13
.LBB1076_174:
	v_lshrrev_b32_e32 v5, s8, v10
	v_and_b32_e32 v5, s13, v5
	v_lshl_or_b32 v5, v5, 4, v4
	v_mov_b32_e32 v13, 1
	ds_add_u32 v5, v13
	v_lshrrev_b32_e32 v5, s8, v9
	s_and_b64 vcc, exec, s[2:3]
	v_and_b32_e32 v5, s13, v5
	s_cbranch_vccz .LBB1076_176
; %bb.175:
	v_lshl_or_b32 v13, v5, 2, v3
	s_mov_b64 s[4:5], -1
	s_cbranch_execz .LBB1076_177
	s_branch .LBB1076_184
.LBB1076_176:
	s_mov_b64 s[4:5], 0
                                        ; implicit-def: $vgpr13
.LBB1076_177:
	s_sub_i32 s10, s9, s12
	s_min_u32 s10, s10, 8
	s_lshl_b32 s10, -1, s10
	s_not_b32 s15, s10
	v_lshrrev_b32_e32 v13, s12, v10
	v_and_b32_e32 v13, s15, v13
	v_lshl_or_b32 v14, v13, 4, v4
	v_mov_b32_e32 v13, 1
	ds_add_u32 v14, v13 offset:4096
	s_add_i32 s14, s8, 16
	s_cmp_gt_u32 s9, s14
	s_cselect_b64 s[10:11], -1, 0
	s_cmp_le_u32 s9, s14
	s_cbranch_scc1 .LBB1076_180
; %bb.178:
	s_sub_i32 s16, s9, s14
	s_min_u32 s16, s16, 8
	v_lshrrev_b32_e32 v14, s14, v10
	v_bfe_u32 v14, v14, 0, s16
	v_lshl_or_b32 v14, v14, 4, v4
	ds_add_u32 v14, v13 offset:8192
	s_add_i32 s16, s8, 24
	s_cmp_le_u32 s9, s16
	s_cbranch_scc1 .LBB1076_180
; %bb.179:
	s_sub_i32 s17, s9, s16
	s_min_u32 s17, s17, 8
	v_lshrrev_b32_e32 v14, s16, v10
	v_bfe_u32 v14, v14, 0, s17
	v_lshl_or_b32 v14, v14, 4, v4
	v_mov_b32_e32 v15, 1
	ds_add_u32 v14, v15 offset:12288
.LBB1076_180:
	v_lshl_or_b32 v5, v5, 4, v4
	ds_add_u32 v5, v13
	v_lshrrev_b32_e32 v5, s12, v9
	v_and_b32_e32 v5, s15, v5
	v_lshl_or_b32 v5, v5, 4, v4
	ds_add_u32 v5, v13 offset:4096
	s_andn2_b64 vcc, exec, s[10:11]
	s_cbranch_vccnz .LBB1076_183
; %bb.181:
	s_sub_i32 s10, s9, s14
	s_min_u32 s10, s10, 8
	v_lshrrev_b32_e32 v5, s14, v9
	v_bfe_u32 v5, v5, 0, s10
	v_lshl_or_b32 v5, v5, 4, v4
	v_mov_b32_e32 v13, 1
	ds_add_u32 v5, v13 offset:8192
	s_add_i32 s10, s8, 24
	s_cmp_gt_u32 s9, s10
	s_cbranch_scc0 .LBB1076_183
; %bb.182:
	s_sub_i32 s4, s9, s10
	s_min_u32 s4, s4, 8
	v_lshrrev_b32_e32 v5, s10, v9
	v_bfe_u32 v5, v5, 0, s4
	v_lshl_or_b32 v5, v5, 2, v3
	v_add_u32_e32 v13, 0xc00, v5
	s_mov_b64 s[4:5], -1
	s_branch .LBB1076_184
.LBB1076_183:
                                        ; implicit-def: $vgpr13
.LBB1076_184:
	s_and_b64 vcc, exec, s[4:5]
	s_cbranch_vccz .LBB1076_186
; %bb.185:
	v_lshlrev_b32_e32 v5, 2, v13
	v_mov_b32_e32 v13, 1
	ds_add_u32 v5, v13
.LBB1076_186:
	v_lshrrev_b32_e32 v5, s8, v8
	v_and_b32_e32 v5, s13, v5
	v_lshl_or_b32 v5, v5, 4, v4
	v_mov_b32_e32 v13, 1
	ds_add_u32 v5, v13
	v_lshrrev_b32_e32 v5, s8, v7
	s_and_b64 vcc, exec, s[2:3]
	v_and_b32_e32 v5, s13, v5
	s_cbranch_vccz .LBB1076_188
; %bb.187:
	v_lshl_or_b32 v13, v5, 2, v3
	s_mov_b64 s[4:5], -1
	s_cbranch_execz .LBB1076_189
	s_branch .LBB1076_196
.LBB1076_188:
	s_mov_b64 s[4:5], 0
                                        ; implicit-def: $vgpr13
.LBB1076_189:
	s_sub_i32 s10, s9, s12
	s_min_u32 s10, s10, 8
	s_lshl_b32 s10, -1, s10
	s_not_b32 s15, s10
	v_lshrrev_b32_e32 v13, s12, v8
	v_and_b32_e32 v13, s15, v13
	v_lshl_or_b32 v14, v13, 4, v4
	v_mov_b32_e32 v13, 1
	ds_add_u32 v14, v13 offset:4096
	s_add_i32 s14, s8, 16
	s_cmp_gt_u32 s9, s14
	s_cselect_b64 s[10:11], -1, 0
	s_cmp_le_u32 s9, s14
	s_cbranch_scc1 .LBB1076_192
; %bb.190:
	s_sub_i32 s16, s9, s14
	s_min_u32 s16, s16, 8
	v_lshrrev_b32_e32 v14, s14, v8
	v_bfe_u32 v14, v14, 0, s16
	v_lshl_or_b32 v14, v14, 4, v4
	ds_add_u32 v14, v13 offset:8192
	s_add_i32 s16, s8, 24
	s_cmp_le_u32 s9, s16
	s_cbranch_scc1 .LBB1076_192
; %bb.191:
	s_sub_i32 s17, s9, s16
	s_min_u32 s17, s17, 8
	v_lshrrev_b32_e32 v14, s16, v8
	v_bfe_u32 v14, v14, 0, s17
	v_lshl_or_b32 v14, v14, 4, v4
	v_mov_b32_e32 v15, 1
	ds_add_u32 v14, v15 offset:12288
.LBB1076_192:
	v_lshl_or_b32 v5, v5, 4, v4
	ds_add_u32 v5, v13
	v_lshrrev_b32_e32 v5, s12, v7
	v_and_b32_e32 v5, s15, v5
	v_lshl_or_b32 v5, v5, 4, v4
	ds_add_u32 v5, v13 offset:4096
	s_andn2_b64 vcc, exec, s[10:11]
	s_cbranch_vccnz .LBB1076_195
; %bb.193:
	s_sub_i32 s10, s9, s14
	s_min_u32 s10, s10, 8
	v_lshrrev_b32_e32 v5, s14, v7
	v_bfe_u32 v5, v5, 0, s10
	v_lshl_or_b32 v5, v5, 4, v4
	v_mov_b32_e32 v13, 1
	ds_add_u32 v5, v13 offset:8192
	s_add_i32 s10, s8, 24
	s_cmp_gt_u32 s9, s10
	s_cbranch_scc0 .LBB1076_195
; %bb.194:
	s_sub_i32 s4, s9, s10
	s_min_u32 s4, s4, 8
	v_lshrrev_b32_e32 v5, s10, v7
	v_bfe_u32 v5, v5, 0, s4
	v_lshl_or_b32 v5, v5, 2, v3
	v_add_u32_e32 v13, 0xc00, v5
	s_mov_b64 s[4:5], -1
	s_branch .LBB1076_196
.LBB1076_195:
                                        ; implicit-def: $vgpr13
.LBB1076_196:
	s_and_b64 vcc, exec, s[4:5]
	s_cbranch_vccz .LBB1076_198
; %bb.197:
	v_lshlrev_b32_e32 v5, 2, v13
	v_mov_b32_e32 v13, 1
	ds_add_u32 v5, v13
.LBB1076_198:
	v_lshrrev_b32_e32 v5, s8, v6
	v_and_b32_e32 v5, s13, v5
	v_lshl_or_b32 v5, v5, 4, v4
	v_mov_b32_e32 v13, 1
	ds_add_u32 v5, v13
	s_waitcnt vmcnt(0)
	v_lshrrev_b32_e32 v5, s8, v1
	s_and_b64 vcc, exec, s[2:3]
	v_and_b32_e32 v5, s13, v5
	s_cbranch_vccz .LBB1076_200
; %bb.199:
	v_lshl_or_b32 v13, v5, 2, v3
	s_mov_b64 s[2:3], -1
	s_cbranch_execz .LBB1076_201
	s_branch .LBB1076_208
.LBB1076_200:
	s_mov_b64 s[2:3], 0
                                        ; implicit-def: $vgpr13
.LBB1076_201:
	s_sub_i32 s4, s9, s12
	s_min_u32 s4, s4, 8
	s_lshl_b32 s4, -1, s4
	s_not_b32 s11, s4
	v_lshrrev_b32_e32 v13, s12, v6
	v_and_b32_e32 v13, s11, v13
	v_lshl_or_b32 v14, v13, 4, v4
	v_mov_b32_e32 v13, 1
	ds_add_u32 v14, v13 offset:4096
	s_add_i32 s10, s8, 16
	s_cmp_gt_u32 s9, s10
	s_cselect_b64 s[4:5], -1, 0
	s_cmp_le_u32 s9, s10
	s_cbranch_scc1 .LBB1076_204
; %bb.202:
	s_sub_i32 s13, s9, s10
	s_min_u32 s13, s13, 8
	v_lshrrev_b32_e32 v14, s10, v6
	v_bfe_u32 v14, v14, 0, s13
	v_lshl_or_b32 v14, v14, 4, v4
	ds_add_u32 v14, v13 offset:8192
	s_add_i32 s13, s8, 24
	s_cmp_le_u32 s9, s13
	s_cbranch_scc1 .LBB1076_204
; %bb.203:
	s_sub_i32 s14, s9, s13
	s_min_u32 s14, s14, 8
	v_lshrrev_b32_e32 v14, s13, v6
	v_bfe_u32 v14, v14, 0, s14
	v_lshl_or_b32 v14, v14, 4, v4
	v_mov_b32_e32 v15, 1
	ds_add_u32 v14, v15 offset:12288
.LBB1076_204:
	v_lshl_or_b32 v5, v5, 4, v4
	ds_add_u32 v5, v13
	v_lshrrev_b32_e32 v5, s12, v1
	v_and_b32_e32 v5, s11, v5
	v_lshl_or_b32 v5, v5, 4, v4
	ds_add_u32 v5, v13 offset:4096
	s_andn2_b64 vcc, exec, s[4:5]
	s_cbranch_vccnz .LBB1076_207
; %bb.205:
	s_sub_i32 s4, s9, s10
	s_min_u32 s4, s4, 8
	v_lshrrev_b32_e32 v5, s10, v1
	v_bfe_u32 v5, v5, 0, s4
	v_lshl_or_b32 v4, v5, 4, v4
	v_mov_b32_e32 v5, 1
	ds_add_u32 v4, v5 offset:8192
	s_add_i32 s4, s8, 24
	s_cmp_gt_u32 s9, s4
	s_cbranch_scc0 .LBB1076_207
; %bb.206:
	s_sub_i32 s2, s9, s4
	s_min_u32 s2, s2, 8
	v_lshrrev_b32_e32 v4, s4, v1
	v_bfe_u32 v4, v4, 0, s2
	v_lshl_or_b32 v3, v4, 2, v3
	v_add_u32_e32 v13, 0xc00, v3
	s_mov_b64 s[2:3], -1
	s_branch .LBB1076_208
.LBB1076_207:
                                        ; implicit-def: $vgpr13
.LBB1076_208:
	s_and_b64 vcc, exec, s[2:3]
	s_cbranch_vccz .LBB1076_210
; %bb.209:
	v_lshlrev_b32_e32 v3, 2, v13
	v_mov_b32_e32 v4, 1
	ds_add_u32 v3, v4
.LBB1076_210:
	s_and_b64 vcc, exec, s[0:1]
	s_waitcnt lgkmcnt(0)
	s_barrier
	s_cbranch_vccz .LBB1076_215
; %bb.211:
	s_movk_i32 s0, 0x100
	v_cmp_gt_u32_e32 vcc, s0, v0
	v_lshlrev_b32_e32 v3, 4, v0
	v_mov_b32_e32 v5, 0
	v_mov_b32_e32 v4, v0
	s_branch .LBB1076_213
.LBB1076_212:                           ;   in Loop: Header=BB1076_213 Depth=1
	s_or_b64 exec, exec, s[0:1]
	s_add_i32 s8, s8, 8
	v_add_u32_e32 v4, 0x100, v4
	s_cmp_ge_u32 s8, s9
	v_add_u32_e32 v3, 0x1000, v3
	s_cbranch_scc1 .LBB1076_215
.LBB1076_213:                           ; =>This Inner Loop Header: Depth=1
	s_and_saveexec_b64 s[0:1], vcc
	s_cbranch_execz .LBB1076_212
; %bb.214:                              ;   in Loop: Header=BB1076_213 Depth=1
	ds_read2_b32 v[14:15], v3 offset1:1
	ds_read2_b32 v[16:17], v3 offset0:2 offset1:3
	s_waitcnt lgkmcnt(1)
	v_add_u32_e32 v13, v15, v14
	s_waitcnt lgkmcnt(0)
	v_add3_u32 v13, v13, v16, v17
	v_lshl_add_u64 v[14:15], v[4:5], 2, s[6:7]
	global_atomic_add v[14:15], v13, off
	s_branch .LBB1076_212
.LBB1076_215:
	s_mov_b64 s[0:1], 0
.LBB1076_216:
	s_and_b64 vcc, exec, s[0:1]
	s_cbranch_vccz .LBB1076_219
; %bb.217:
	v_mov_b32_e32 v3, 0
	ds_write2st64_b32 v2, v3, v3 offset1:16
	ds_write2st64_b32 v2, v3, v3 offset0:32 offset1:48
	v_and_b32_e32 v3, 3, v0
	s_waitcnt vmcnt(1)
	v_lshlrev_b32_e32 v4, 2, v12
	s_movk_i32 s0, 0x3fc
	v_and_or_b32 v4, v4, s0, v3
	v_lshlrev_b32_e32 v4, 2, v4
	v_mov_b32_e32 v5, 1
	s_waitcnt lgkmcnt(0)
	s_barrier
	ds_add_u32 v4, v5
	v_bfe_u32 v4, v12, 8, 8
	v_lshl_or_b32 v4, v4, 2, v3
	v_lshlrev_b32_e32 v4, 2, v4
	ds_add_u32 v4, v5 offset:4096
	v_bfe_u32 v4, v12, 16, 8
	v_lshl_or_b32 v4, v4, 2, v3
	v_lshlrev_b32_e32 v4, 2, v4
	ds_add_u32 v4, v5 offset:8192
	v_lshrrev_b32_e32 v4, 24, v12
	v_lshl_or_b32 v4, v4, 2, v3
	v_lshlrev_b32_e32 v4, 2, v4
	ds_add_u32 v4, v5 offset:12288
	v_lshlrev_b32_e32 v4, 2, v11
	v_and_or_b32 v4, v4, s0, v3
	v_lshlrev_b32_e32 v4, 2, v4
	ds_add_u32 v4, v5
	v_bfe_u32 v4, v11, 8, 8
	v_lshl_or_b32 v4, v4, 2, v3
	v_lshlrev_b32_e32 v4, 2, v4
	ds_add_u32 v4, v5 offset:4096
	v_bfe_u32 v4, v11, 16, 8
	v_lshl_or_b32 v4, v4, 2, v3
	v_lshlrev_b32_e32 v4, 2, v4
	ds_add_u32 v4, v5 offset:8192
	v_lshrrev_b32_e32 v4, 24, v11
	v_lshl_or_b32 v4, v4, 2, v3
	v_lshlrev_b32_e32 v4, 2, v4
	ds_add_u32 v4, v5 offset:12288
	v_lshlrev_b32_e32 v4, 2, v10
	v_and_or_b32 v4, v4, s0, v3
	v_lshlrev_b32_e32 v4, 2, v4
	;; [unrolled: 16-line block ×6, first 2 shown]
	ds_add_u32 v4, v5
	v_bfe_u32 v4, v6, 8, 8
	v_lshl_or_b32 v4, v4, 2, v3
	v_lshlrev_b32_e32 v4, 2, v4
	ds_add_u32 v4, v5 offset:4096
	v_bfe_u32 v4, v6, 16, 8
	v_lshl_or_b32 v4, v4, 2, v3
	v_lshlrev_b32_e32 v4, 2, v4
	ds_add_u32 v4, v5 offset:8192
	v_lshrrev_b32_e32 v4, 24, v6
	v_lshl_or_b32 v4, v4, 2, v3
	v_lshlrev_b32_e32 v4, 2, v4
	ds_add_u32 v4, v5 offset:12288
	s_waitcnt vmcnt(0)
	v_lshlrev_b32_e32 v4, 2, v1
	v_and_or_b32 v4, v4, s0, v3
	v_lshlrev_b32_e32 v4, 2, v4
	ds_add_u32 v4, v5
	v_bfe_u32 v4, v1, 8, 8
	v_lshl_or_b32 v4, v4, 2, v3
	v_lshlrev_b32_e32 v4, 2, v4
	ds_add_u32 v4, v5 offset:4096
	v_bfe_u32 v4, v1, 16, 8
	v_lshl_or_b32 v4, v4, 2, v3
	v_lshrrev_b32_e32 v1, 24, v1
	v_lshlrev_b32_e32 v4, 2, v4
	v_lshl_or_b32 v1, v1, 2, v3
	ds_add_u32 v4, v5 offset:8192
	v_lshlrev_b32_e32 v1, 2, v1
	ds_add_u32 v1, v5 offset:12288
	s_movk_i32 s0, 0x100
	v_cmp_gt_u32_e32 vcc, s0, v0
	s_waitcnt lgkmcnt(0)
	s_barrier
	s_and_saveexec_b64 s[0:1], vcc
	s_cbranch_execz .LBB1076_219
; %bb.218:
	v_lshlrev_b32_e32 v3, 4, v0
	ds_read2_b32 v[0:1], v3 offset1:1
	ds_read2_b32 v[4:5], v3 offset0:2 offset1:3
	v_add_u32_e32 v6, 0x1000, v3
	v_add_u32_e32 v7, 0x1008, v3
	s_waitcnt lgkmcnt(1)
	v_add_u32_e32 v0, v1, v0
	s_waitcnt lgkmcnt(0)
	v_add3_u32 v0, v0, v4, v5
	global_atomic_add v2, v0, s[6:7]
	ds_read2_b32 v[0:1], v6 offset1:1
	ds_read2_b32 v[4:5], v7 offset1:1
	v_add_u32_e32 v6, 0x2000, v3
	v_add_u32_e32 v7, 0x2008, v3
	s_waitcnt lgkmcnt(1)
	v_add_u32_e32 v0, v1, v0
	s_waitcnt lgkmcnt(0)
	v_add3_u32 v0, v0, v4, v5
	global_atomic_add v2, v0, s[6:7] offset:1024
	ds_read2_b32 v[0:1], v6 offset1:1
	ds_read2_b32 v[4:5], v7 offset1:1
	v_add_u32_e32 v6, 0x3000, v3
	v_add_u32_e32 v3, 0x3008, v3
	s_waitcnt lgkmcnt(1)
	v_add_u32_e32 v0, v1, v0
	s_waitcnt lgkmcnt(0)
	v_add3_u32 v0, v0, v4, v5
	global_atomic_add v2, v0, s[6:7] offset:2048
	ds_read2_b32 v[0:1], v6 offset1:1
	ds_read2_b32 v[4:5], v3 offset1:1
	s_waitcnt lgkmcnt(1)
	v_add_u32_e32 v0, v1, v0
	s_waitcnt lgkmcnt(0)
	v_add3_u32 v0, v0, v4, v5
	global_atomic_add v2, v0, s[6:7] offset:3072
.LBB1076_219:
	s_endpgm
	.section	.rodata,"a",@progbits
	.p2align	6, 0x0
	.amdhsa_kernel _ZN7rocprim17ROCPRIM_400000_NS6detail17trampoline_kernelINS0_14default_configENS1_35radix_sort_onesweep_config_selectorIjNS0_10empty_typeEEEZNS1_34radix_sort_onesweep_global_offsetsIS3_Lb0EN6thrust23THRUST_200600_302600_NS6detail15normal_iteratorINS9_10device_ptrIjEEEEPS5_jNS0_19identity_decomposerEEE10hipError_tT1_T2_PT3_SK_jT4_jjP12ihipStream_tbEUlT_E_NS1_11comp_targetILNS1_3genE5ELNS1_11target_archE942ELNS1_3gpuE9ELNS1_3repE0EEENS1_52radix_sort_onesweep_histogram_config_static_selectorELNS0_4arch9wavefront6targetE1EEEvSI_
		.amdhsa_group_segment_fixed_size 16384
		.amdhsa_private_segment_fixed_size 0
		.amdhsa_kernarg_size 40
		.amdhsa_user_sgpr_count 2
		.amdhsa_user_sgpr_dispatch_ptr 0
		.amdhsa_user_sgpr_queue_ptr 0
		.amdhsa_user_sgpr_kernarg_segment_ptr 1
		.amdhsa_user_sgpr_dispatch_id 0
		.amdhsa_user_sgpr_kernarg_preload_length 0
		.amdhsa_user_sgpr_kernarg_preload_offset 0
		.amdhsa_user_sgpr_private_segment_size 0
		.amdhsa_uses_dynamic_stack 0
		.amdhsa_enable_private_segment 0
		.amdhsa_system_sgpr_workgroup_id_x 1
		.amdhsa_system_sgpr_workgroup_id_y 0
		.amdhsa_system_sgpr_workgroup_id_z 0
		.amdhsa_system_sgpr_workgroup_info 0
		.amdhsa_system_vgpr_workitem_id 0
		.amdhsa_next_free_vgpr 19
		.amdhsa_next_free_sgpr 19
		.amdhsa_accum_offset 20
		.amdhsa_reserve_vcc 1
		.amdhsa_float_round_mode_32 0
		.amdhsa_float_round_mode_16_64 0
		.amdhsa_float_denorm_mode_32 3
		.amdhsa_float_denorm_mode_16_64 3
		.amdhsa_dx10_clamp 1
		.amdhsa_ieee_mode 1
		.amdhsa_fp16_overflow 0
		.amdhsa_tg_split 0
		.amdhsa_exception_fp_ieee_invalid_op 0
		.amdhsa_exception_fp_denorm_src 0
		.amdhsa_exception_fp_ieee_div_zero 0
		.amdhsa_exception_fp_ieee_overflow 0
		.amdhsa_exception_fp_ieee_underflow 0
		.amdhsa_exception_fp_ieee_inexact 0
		.amdhsa_exception_int_div_zero 0
	.end_amdhsa_kernel
	.section	.text._ZN7rocprim17ROCPRIM_400000_NS6detail17trampoline_kernelINS0_14default_configENS1_35radix_sort_onesweep_config_selectorIjNS0_10empty_typeEEEZNS1_34radix_sort_onesweep_global_offsetsIS3_Lb0EN6thrust23THRUST_200600_302600_NS6detail15normal_iteratorINS9_10device_ptrIjEEEEPS5_jNS0_19identity_decomposerEEE10hipError_tT1_T2_PT3_SK_jT4_jjP12ihipStream_tbEUlT_E_NS1_11comp_targetILNS1_3genE5ELNS1_11target_archE942ELNS1_3gpuE9ELNS1_3repE0EEENS1_52radix_sort_onesweep_histogram_config_static_selectorELNS0_4arch9wavefront6targetE1EEEvSI_,"axG",@progbits,_ZN7rocprim17ROCPRIM_400000_NS6detail17trampoline_kernelINS0_14default_configENS1_35radix_sort_onesweep_config_selectorIjNS0_10empty_typeEEEZNS1_34radix_sort_onesweep_global_offsetsIS3_Lb0EN6thrust23THRUST_200600_302600_NS6detail15normal_iteratorINS9_10device_ptrIjEEEEPS5_jNS0_19identity_decomposerEEE10hipError_tT1_T2_PT3_SK_jT4_jjP12ihipStream_tbEUlT_E_NS1_11comp_targetILNS1_3genE5ELNS1_11target_archE942ELNS1_3gpuE9ELNS1_3repE0EEENS1_52radix_sort_onesweep_histogram_config_static_selectorELNS0_4arch9wavefront6targetE1EEEvSI_,comdat
.Lfunc_end1076:
	.size	_ZN7rocprim17ROCPRIM_400000_NS6detail17trampoline_kernelINS0_14default_configENS1_35radix_sort_onesweep_config_selectorIjNS0_10empty_typeEEEZNS1_34radix_sort_onesweep_global_offsetsIS3_Lb0EN6thrust23THRUST_200600_302600_NS6detail15normal_iteratorINS9_10device_ptrIjEEEEPS5_jNS0_19identity_decomposerEEE10hipError_tT1_T2_PT3_SK_jT4_jjP12ihipStream_tbEUlT_E_NS1_11comp_targetILNS1_3genE5ELNS1_11target_archE942ELNS1_3gpuE9ELNS1_3repE0EEENS1_52radix_sort_onesweep_histogram_config_static_selectorELNS0_4arch9wavefront6targetE1EEEvSI_, .Lfunc_end1076-_ZN7rocprim17ROCPRIM_400000_NS6detail17trampoline_kernelINS0_14default_configENS1_35radix_sort_onesweep_config_selectorIjNS0_10empty_typeEEEZNS1_34radix_sort_onesweep_global_offsetsIS3_Lb0EN6thrust23THRUST_200600_302600_NS6detail15normal_iteratorINS9_10device_ptrIjEEEEPS5_jNS0_19identity_decomposerEEE10hipError_tT1_T2_PT3_SK_jT4_jjP12ihipStream_tbEUlT_E_NS1_11comp_targetILNS1_3genE5ELNS1_11target_archE942ELNS1_3gpuE9ELNS1_3repE0EEENS1_52radix_sort_onesweep_histogram_config_static_selectorELNS0_4arch9wavefront6targetE1EEEvSI_
                                        ; -- End function
	.section	.AMDGPU.csdata,"",@progbits
; Kernel info:
; codeLenInByte = 7356
; NumSgprs: 25
; NumVgprs: 19
; NumAgprs: 0
; TotalNumVgprs: 19
; ScratchSize: 0
; MemoryBound: 0
; FloatMode: 240
; IeeeMode: 1
; LDSByteSize: 16384 bytes/workgroup (compile time only)
; SGPRBlocks: 3
; VGPRBlocks: 2
; NumSGPRsForWavesPerEU: 25
; NumVGPRsForWavesPerEU: 19
; AccumOffset: 20
; Occupancy: 8
; WaveLimiterHint : 1
; COMPUTE_PGM_RSRC2:SCRATCH_EN: 0
; COMPUTE_PGM_RSRC2:USER_SGPR: 2
; COMPUTE_PGM_RSRC2:TRAP_HANDLER: 0
; COMPUTE_PGM_RSRC2:TGID_X_EN: 1
; COMPUTE_PGM_RSRC2:TGID_Y_EN: 0
; COMPUTE_PGM_RSRC2:TGID_Z_EN: 0
; COMPUTE_PGM_RSRC2:TIDIG_COMP_CNT: 0
; COMPUTE_PGM_RSRC3_GFX90A:ACCUM_OFFSET: 4
; COMPUTE_PGM_RSRC3_GFX90A:TG_SPLIT: 0
	.section	.text._ZN7rocprim17ROCPRIM_400000_NS6detail17trampoline_kernelINS0_14default_configENS1_35radix_sort_onesweep_config_selectorIjNS0_10empty_typeEEEZNS1_34radix_sort_onesweep_global_offsetsIS3_Lb0EN6thrust23THRUST_200600_302600_NS6detail15normal_iteratorINS9_10device_ptrIjEEEEPS5_jNS0_19identity_decomposerEEE10hipError_tT1_T2_PT3_SK_jT4_jjP12ihipStream_tbEUlT_E_NS1_11comp_targetILNS1_3genE2ELNS1_11target_archE906ELNS1_3gpuE6ELNS1_3repE0EEENS1_52radix_sort_onesweep_histogram_config_static_selectorELNS0_4arch9wavefront6targetE1EEEvSI_,"axG",@progbits,_ZN7rocprim17ROCPRIM_400000_NS6detail17trampoline_kernelINS0_14default_configENS1_35radix_sort_onesweep_config_selectorIjNS0_10empty_typeEEEZNS1_34radix_sort_onesweep_global_offsetsIS3_Lb0EN6thrust23THRUST_200600_302600_NS6detail15normal_iteratorINS9_10device_ptrIjEEEEPS5_jNS0_19identity_decomposerEEE10hipError_tT1_T2_PT3_SK_jT4_jjP12ihipStream_tbEUlT_E_NS1_11comp_targetILNS1_3genE2ELNS1_11target_archE906ELNS1_3gpuE6ELNS1_3repE0EEENS1_52radix_sort_onesweep_histogram_config_static_selectorELNS0_4arch9wavefront6targetE1EEEvSI_,comdat
	.protected	_ZN7rocprim17ROCPRIM_400000_NS6detail17trampoline_kernelINS0_14default_configENS1_35radix_sort_onesweep_config_selectorIjNS0_10empty_typeEEEZNS1_34radix_sort_onesweep_global_offsetsIS3_Lb0EN6thrust23THRUST_200600_302600_NS6detail15normal_iteratorINS9_10device_ptrIjEEEEPS5_jNS0_19identity_decomposerEEE10hipError_tT1_T2_PT3_SK_jT4_jjP12ihipStream_tbEUlT_E_NS1_11comp_targetILNS1_3genE2ELNS1_11target_archE906ELNS1_3gpuE6ELNS1_3repE0EEENS1_52radix_sort_onesweep_histogram_config_static_selectorELNS0_4arch9wavefront6targetE1EEEvSI_ ; -- Begin function _ZN7rocprim17ROCPRIM_400000_NS6detail17trampoline_kernelINS0_14default_configENS1_35radix_sort_onesweep_config_selectorIjNS0_10empty_typeEEEZNS1_34radix_sort_onesweep_global_offsetsIS3_Lb0EN6thrust23THRUST_200600_302600_NS6detail15normal_iteratorINS9_10device_ptrIjEEEEPS5_jNS0_19identity_decomposerEEE10hipError_tT1_T2_PT3_SK_jT4_jjP12ihipStream_tbEUlT_E_NS1_11comp_targetILNS1_3genE2ELNS1_11target_archE906ELNS1_3gpuE6ELNS1_3repE0EEENS1_52radix_sort_onesweep_histogram_config_static_selectorELNS0_4arch9wavefront6targetE1EEEvSI_
	.globl	_ZN7rocprim17ROCPRIM_400000_NS6detail17trampoline_kernelINS0_14default_configENS1_35radix_sort_onesweep_config_selectorIjNS0_10empty_typeEEEZNS1_34radix_sort_onesweep_global_offsetsIS3_Lb0EN6thrust23THRUST_200600_302600_NS6detail15normal_iteratorINS9_10device_ptrIjEEEEPS5_jNS0_19identity_decomposerEEE10hipError_tT1_T2_PT3_SK_jT4_jjP12ihipStream_tbEUlT_E_NS1_11comp_targetILNS1_3genE2ELNS1_11target_archE906ELNS1_3gpuE6ELNS1_3repE0EEENS1_52radix_sort_onesweep_histogram_config_static_selectorELNS0_4arch9wavefront6targetE1EEEvSI_
	.p2align	8
	.type	_ZN7rocprim17ROCPRIM_400000_NS6detail17trampoline_kernelINS0_14default_configENS1_35radix_sort_onesweep_config_selectorIjNS0_10empty_typeEEEZNS1_34radix_sort_onesweep_global_offsetsIS3_Lb0EN6thrust23THRUST_200600_302600_NS6detail15normal_iteratorINS9_10device_ptrIjEEEEPS5_jNS0_19identity_decomposerEEE10hipError_tT1_T2_PT3_SK_jT4_jjP12ihipStream_tbEUlT_E_NS1_11comp_targetILNS1_3genE2ELNS1_11target_archE906ELNS1_3gpuE6ELNS1_3repE0EEENS1_52radix_sort_onesweep_histogram_config_static_selectorELNS0_4arch9wavefront6targetE1EEEvSI_,@function
_ZN7rocprim17ROCPRIM_400000_NS6detail17trampoline_kernelINS0_14default_configENS1_35radix_sort_onesweep_config_selectorIjNS0_10empty_typeEEEZNS1_34radix_sort_onesweep_global_offsetsIS3_Lb0EN6thrust23THRUST_200600_302600_NS6detail15normal_iteratorINS9_10device_ptrIjEEEEPS5_jNS0_19identity_decomposerEEE10hipError_tT1_T2_PT3_SK_jT4_jjP12ihipStream_tbEUlT_E_NS1_11comp_targetILNS1_3genE2ELNS1_11target_archE906ELNS1_3gpuE6ELNS1_3repE0EEENS1_52radix_sort_onesweep_histogram_config_static_selectorELNS0_4arch9wavefront6targetE1EEEvSI_: ; @_ZN7rocprim17ROCPRIM_400000_NS6detail17trampoline_kernelINS0_14default_configENS1_35radix_sort_onesweep_config_selectorIjNS0_10empty_typeEEEZNS1_34radix_sort_onesweep_global_offsetsIS3_Lb0EN6thrust23THRUST_200600_302600_NS6detail15normal_iteratorINS9_10device_ptrIjEEEEPS5_jNS0_19identity_decomposerEEE10hipError_tT1_T2_PT3_SK_jT4_jjP12ihipStream_tbEUlT_E_NS1_11comp_targetILNS1_3genE2ELNS1_11target_archE906ELNS1_3gpuE6ELNS1_3repE0EEENS1_52radix_sort_onesweep_histogram_config_static_selectorELNS0_4arch9wavefront6targetE1EEEvSI_
; %bb.0:
	.section	.rodata,"a",@progbits
	.p2align	6, 0x0
	.amdhsa_kernel _ZN7rocprim17ROCPRIM_400000_NS6detail17trampoline_kernelINS0_14default_configENS1_35radix_sort_onesweep_config_selectorIjNS0_10empty_typeEEEZNS1_34radix_sort_onesweep_global_offsetsIS3_Lb0EN6thrust23THRUST_200600_302600_NS6detail15normal_iteratorINS9_10device_ptrIjEEEEPS5_jNS0_19identity_decomposerEEE10hipError_tT1_T2_PT3_SK_jT4_jjP12ihipStream_tbEUlT_E_NS1_11comp_targetILNS1_3genE2ELNS1_11target_archE906ELNS1_3gpuE6ELNS1_3repE0EEENS1_52radix_sort_onesweep_histogram_config_static_selectorELNS0_4arch9wavefront6targetE1EEEvSI_
		.amdhsa_group_segment_fixed_size 0
		.amdhsa_private_segment_fixed_size 0
		.amdhsa_kernarg_size 40
		.amdhsa_user_sgpr_count 2
		.amdhsa_user_sgpr_dispatch_ptr 0
		.amdhsa_user_sgpr_queue_ptr 0
		.amdhsa_user_sgpr_kernarg_segment_ptr 1
		.amdhsa_user_sgpr_dispatch_id 0
		.amdhsa_user_sgpr_kernarg_preload_length 0
		.amdhsa_user_sgpr_kernarg_preload_offset 0
		.amdhsa_user_sgpr_private_segment_size 0
		.amdhsa_uses_dynamic_stack 0
		.amdhsa_enable_private_segment 0
		.amdhsa_system_sgpr_workgroup_id_x 1
		.amdhsa_system_sgpr_workgroup_id_y 0
		.amdhsa_system_sgpr_workgroup_id_z 0
		.amdhsa_system_sgpr_workgroup_info 0
		.amdhsa_system_vgpr_workitem_id 0
		.amdhsa_next_free_vgpr 1
		.amdhsa_next_free_sgpr 0
		.amdhsa_accum_offset 4
		.amdhsa_reserve_vcc 0
		.amdhsa_float_round_mode_32 0
		.amdhsa_float_round_mode_16_64 0
		.amdhsa_float_denorm_mode_32 3
		.amdhsa_float_denorm_mode_16_64 3
		.amdhsa_dx10_clamp 1
		.amdhsa_ieee_mode 1
		.amdhsa_fp16_overflow 0
		.amdhsa_tg_split 0
		.amdhsa_exception_fp_ieee_invalid_op 0
		.amdhsa_exception_fp_denorm_src 0
		.amdhsa_exception_fp_ieee_div_zero 0
		.amdhsa_exception_fp_ieee_overflow 0
		.amdhsa_exception_fp_ieee_underflow 0
		.amdhsa_exception_fp_ieee_inexact 0
		.amdhsa_exception_int_div_zero 0
	.end_amdhsa_kernel
	.section	.text._ZN7rocprim17ROCPRIM_400000_NS6detail17trampoline_kernelINS0_14default_configENS1_35radix_sort_onesweep_config_selectorIjNS0_10empty_typeEEEZNS1_34radix_sort_onesweep_global_offsetsIS3_Lb0EN6thrust23THRUST_200600_302600_NS6detail15normal_iteratorINS9_10device_ptrIjEEEEPS5_jNS0_19identity_decomposerEEE10hipError_tT1_T2_PT3_SK_jT4_jjP12ihipStream_tbEUlT_E_NS1_11comp_targetILNS1_3genE2ELNS1_11target_archE906ELNS1_3gpuE6ELNS1_3repE0EEENS1_52radix_sort_onesweep_histogram_config_static_selectorELNS0_4arch9wavefront6targetE1EEEvSI_,"axG",@progbits,_ZN7rocprim17ROCPRIM_400000_NS6detail17trampoline_kernelINS0_14default_configENS1_35radix_sort_onesweep_config_selectorIjNS0_10empty_typeEEEZNS1_34radix_sort_onesweep_global_offsetsIS3_Lb0EN6thrust23THRUST_200600_302600_NS6detail15normal_iteratorINS9_10device_ptrIjEEEEPS5_jNS0_19identity_decomposerEEE10hipError_tT1_T2_PT3_SK_jT4_jjP12ihipStream_tbEUlT_E_NS1_11comp_targetILNS1_3genE2ELNS1_11target_archE906ELNS1_3gpuE6ELNS1_3repE0EEENS1_52radix_sort_onesweep_histogram_config_static_selectorELNS0_4arch9wavefront6targetE1EEEvSI_,comdat
.Lfunc_end1077:
	.size	_ZN7rocprim17ROCPRIM_400000_NS6detail17trampoline_kernelINS0_14default_configENS1_35radix_sort_onesweep_config_selectorIjNS0_10empty_typeEEEZNS1_34radix_sort_onesweep_global_offsetsIS3_Lb0EN6thrust23THRUST_200600_302600_NS6detail15normal_iteratorINS9_10device_ptrIjEEEEPS5_jNS0_19identity_decomposerEEE10hipError_tT1_T2_PT3_SK_jT4_jjP12ihipStream_tbEUlT_E_NS1_11comp_targetILNS1_3genE2ELNS1_11target_archE906ELNS1_3gpuE6ELNS1_3repE0EEENS1_52radix_sort_onesweep_histogram_config_static_selectorELNS0_4arch9wavefront6targetE1EEEvSI_, .Lfunc_end1077-_ZN7rocprim17ROCPRIM_400000_NS6detail17trampoline_kernelINS0_14default_configENS1_35radix_sort_onesweep_config_selectorIjNS0_10empty_typeEEEZNS1_34radix_sort_onesweep_global_offsetsIS3_Lb0EN6thrust23THRUST_200600_302600_NS6detail15normal_iteratorINS9_10device_ptrIjEEEEPS5_jNS0_19identity_decomposerEEE10hipError_tT1_T2_PT3_SK_jT4_jjP12ihipStream_tbEUlT_E_NS1_11comp_targetILNS1_3genE2ELNS1_11target_archE906ELNS1_3gpuE6ELNS1_3repE0EEENS1_52radix_sort_onesweep_histogram_config_static_selectorELNS0_4arch9wavefront6targetE1EEEvSI_
                                        ; -- End function
	.section	.AMDGPU.csdata,"",@progbits
; Kernel info:
; codeLenInByte = 0
; NumSgprs: 6
; NumVgprs: 0
; NumAgprs: 0
; TotalNumVgprs: 0
; ScratchSize: 0
; MemoryBound: 0
; FloatMode: 240
; IeeeMode: 1
; LDSByteSize: 0 bytes/workgroup (compile time only)
; SGPRBlocks: 0
; VGPRBlocks: 0
; NumSGPRsForWavesPerEU: 6
; NumVGPRsForWavesPerEU: 1
; AccumOffset: 4
; Occupancy: 8
; WaveLimiterHint : 0
; COMPUTE_PGM_RSRC2:SCRATCH_EN: 0
; COMPUTE_PGM_RSRC2:USER_SGPR: 2
; COMPUTE_PGM_RSRC2:TRAP_HANDLER: 0
; COMPUTE_PGM_RSRC2:TGID_X_EN: 1
; COMPUTE_PGM_RSRC2:TGID_Y_EN: 0
; COMPUTE_PGM_RSRC2:TGID_Z_EN: 0
; COMPUTE_PGM_RSRC2:TIDIG_COMP_CNT: 0
; COMPUTE_PGM_RSRC3_GFX90A:ACCUM_OFFSET: 0
; COMPUTE_PGM_RSRC3_GFX90A:TG_SPLIT: 0
	.section	.text._ZN7rocprim17ROCPRIM_400000_NS6detail17trampoline_kernelINS0_14default_configENS1_35radix_sort_onesweep_config_selectorIjNS0_10empty_typeEEEZNS1_34radix_sort_onesweep_global_offsetsIS3_Lb0EN6thrust23THRUST_200600_302600_NS6detail15normal_iteratorINS9_10device_ptrIjEEEEPS5_jNS0_19identity_decomposerEEE10hipError_tT1_T2_PT3_SK_jT4_jjP12ihipStream_tbEUlT_E_NS1_11comp_targetILNS1_3genE4ELNS1_11target_archE910ELNS1_3gpuE8ELNS1_3repE0EEENS1_52radix_sort_onesweep_histogram_config_static_selectorELNS0_4arch9wavefront6targetE1EEEvSI_,"axG",@progbits,_ZN7rocprim17ROCPRIM_400000_NS6detail17trampoline_kernelINS0_14default_configENS1_35radix_sort_onesweep_config_selectorIjNS0_10empty_typeEEEZNS1_34radix_sort_onesweep_global_offsetsIS3_Lb0EN6thrust23THRUST_200600_302600_NS6detail15normal_iteratorINS9_10device_ptrIjEEEEPS5_jNS0_19identity_decomposerEEE10hipError_tT1_T2_PT3_SK_jT4_jjP12ihipStream_tbEUlT_E_NS1_11comp_targetILNS1_3genE4ELNS1_11target_archE910ELNS1_3gpuE8ELNS1_3repE0EEENS1_52radix_sort_onesweep_histogram_config_static_selectorELNS0_4arch9wavefront6targetE1EEEvSI_,comdat
	.protected	_ZN7rocprim17ROCPRIM_400000_NS6detail17trampoline_kernelINS0_14default_configENS1_35radix_sort_onesweep_config_selectorIjNS0_10empty_typeEEEZNS1_34radix_sort_onesweep_global_offsetsIS3_Lb0EN6thrust23THRUST_200600_302600_NS6detail15normal_iteratorINS9_10device_ptrIjEEEEPS5_jNS0_19identity_decomposerEEE10hipError_tT1_T2_PT3_SK_jT4_jjP12ihipStream_tbEUlT_E_NS1_11comp_targetILNS1_3genE4ELNS1_11target_archE910ELNS1_3gpuE8ELNS1_3repE0EEENS1_52radix_sort_onesweep_histogram_config_static_selectorELNS0_4arch9wavefront6targetE1EEEvSI_ ; -- Begin function _ZN7rocprim17ROCPRIM_400000_NS6detail17trampoline_kernelINS0_14default_configENS1_35radix_sort_onesweep_config_selectorIjNS0_10empty_typeEEEZNS1_34radix_sort_onesweep_global_offsetsIS3_Lb0EN6thrust23THRUST_200600_302600_NS6detail15normal_iteratorINS9_10device_ptrIjEEEEPS5_jNS0_19identity_decomposerEEE10hipError_tT1_T2_PT3_SK_jT4_jjP12ihipStream_tbEUlT_E_NS1_11comp_targetILNS1_3genE4ELNS1_11target_archE910ELNS1_3gpuE8ELNS1_3repE0EEENS1_52radix_sort_onesweep_histogram_config_static_selectorELNS0_4arch9wavefront6targetE1EEEvSI_
	.globl	_ZN7rocprim17ROCPRIM_400000_NS6detail17trampoline_kernelINS0_14default_configENS1_35radix_sort_onesweep_config_selectorIjNS0_10empty_typeEEEZNS1_34radix_sort_onesweep_global_offsetsIS3_Lb0EN6thrust23THRUST_200600_302600_NS6detail15normal_iteratorINS9_10device_ptrIjEEEEPS5_jNS0_19identity_decomposerEEE10hipError_tT1_T2_PT3_SK_jT4_jjP12ihipStream_tbEUlT_E_NS1_11comp_targetILNS1_3genE4ELNS1_11target_archE910ELNS1_3gpuE8ELNS1_3repE0EEENS1_52radix_sort_onesweep_histogram_config_static_selectorELNS0_4arch9wavefront6targetE1EEEvSI_
	.p2align	8
	.type	_ZN7rocprim17ROCPRIM_400000_NS6detail17trampoline_kernelINS0_14default_configENS1_35radix_sort_onesweep_config_selectorIjNS0_10empty_typeEEEZNS1_34radix_sort_onesweep_global_offsetsIS3_Lb0EN6thrust23THRUST_200600_302600_NS6detail15normal_iteratorINS9_10device_ptrIjEEEEPS5_jNS0_19identity_decomposerEEE10hipError_tT1_T2_PT3_SK_jT4_jjP12ihipStream_tbEUlT_E_NS1_11comp_targetILNS1_3genE4ELNS1_11target_archE910ELNS1_3gpuE8ELNS1_3repE0EEENS1_52radix_sort_onesweep_histogram_config_static_selectorELNS0_4arch9wavefront6targetE1EEEvSI_,@function
_ZN7rocprim17ROCPRIM_400000_NS6detail17trampoline_kernelINS0_14default_configENS1_35radix_sort_onesweep_config_selectorIjNS0_10empty_typeEEEZNS1_34radix_sort_onesweep_global_offsetsIS3_Lb0EN6thrust23THRUST_200600_302600_NS6detail15normal_iteratorINS9_10device_ptrIjEEEEPS5_jNS0_19identity_decomposerEEE10hipError_tT1_T2_PT3_SK_jT4_jjP12ihipStream_tbEUlT_E_NS1_11comp_targetILNS1_3genE4ELNS1_11target_archE910ELNS1_3gpuE8ELNS1_3repE0EEENS1_52radix_sort_onesweep_histogram_config_static_selectorELNS0_4arch9wavefront6targetE1EEEvSI_: ; @_ZN7rocprim17ROCPRIM_400000_NS6detail17trampoline_kernelINS0_14default_configENS1_35radix_sort_onesweep_config_selectorIjNS0_10empty_typeEEEZNS1_34radix_sort_onesweep_global_offsetsIS3_Lb0EN6thrust23THRUST_200600_302600_NS6detail15normal_iteratorINS9_10device_ptrIjEEEEPS5_jNS0_19identity_decomposerEEE10hipError_tT1_T2_PT3_SK_jT4_jjP12ihipStream_tbEUlT_E_NS1_11comp_targetILNS1_3genE4ELNS1_11target_archE910ELNS1_3gpuE8ELNS1_3repE0EEENS1_52radix_sort_onesweep_histogram_config_static_selectorELNS0_4arch9wavefront6targetE1EEEvSI_
; %bb.0:
	.section	.rodata,"a",@progbits
	.p2align	6, 0x0
	.amdhsa_kernel _ZN7rocprim17ROCPRIM_400000_NS6detail17trampoline_kernelINS0_14default_configENS1_35radix_sort_onesweep_config_selectorIjNS0_10empty_typeEEEZNS1_34radix_sort_onesweep_global_offsetsIS3_Lb0EN6thrust23THRUST_200600_302600_NS6detail15normal_iteratorINS9_10device_ptrIjEEEEPS5_jNS0_19identity_decomposerEEE10hipError_tT1_T2_PT3_SK_jT4_jjP12ihipStream_tbEUlT_E_NS1_11comp_targetILNS1_3genE4ELNS1_11target_archE910ELNS1_3gpuE8ELNS1_3repE0EEENS1_52radix_sort_onesweep_histogram_config_static_selectorELNS0_4arch9wavefront6targetE1EEEvSI_
		.amdhsa_group_segment_fixed_size 0
		.amdhsa_private_segment_fixed_size 0
		.amdhsa_kernarg_size 40
		.amdhsa_user_sgpr_count 2
		.amdhsa_user_sgpr_dispatch_ptr 0
		.amdhsa_user_sgpr_queue_ptr 0
		.amdhsa_user_sgpr_kernarg_segment_ptr 1
		.amdhsa_user_sgpr_dispatch_id 0
		.amdhsa_user_sgpr_kernarg_preload_length 0
		.amdhsa_user_sgpr_kernarg_preload_offset 0
		.amdhsa_user_sgpr_private_segment_size 0
		.amdhsa_uses_dynamic_stack 0
		.amdhsa_enable_private_segment 0
		.amdhsa_system_sgpr_workgroup_id_x 1
		.amdhsa_system_sgpr_workgroup_id_y 0
		.amdhsa_system_sgpr_workgroup_id_z 0
		.amdhsa_system_sgpr_workgroup_info 0
		.amdhsa_system_vgpr_workitem_id 0
		.amdhsa_next_free_vgpr 1
		.amdhsa_next_free_sgpr 0
		.amdhsa_accum_offset 4
		.amdhsa_reserve_vcc 0
		.amdhsa_float_round_mode_32 0
		.amdhsa_float_round_mode_16_64 0
		.amdhsa_float_denorm_mode_32 3
		.amdhsa_float_denorm_mode_16_64 3
		.amdhsa_dx10_clamp 1
		.amdhsa_ieee_mode 1
		.amdhsa_fp16_overflow 0
		.amdhsa_tg_split 0
		.amdhsa_exception_fp_ieee_invalid_op 0
		.amdhsa_exception_fp_denorm_src 0
		.amdhsa_exception_fp_ieee_div_zero 0
		.amdhsa_exception_fp_ieee_overflow 0
		.amdhsa_exception_fp_ieee_underflow 0
		.amdhsa_exception_fp_ieee_inexact 0
		.amdhsa_exception_int_div_zero 0
	.end_amdhsa_kernel
	.section	.text._ZN7rocprim17ROCPRIM_400000_NS6detail17trampoline_kernelINS0_14default_configENS1_35radix_sort_onesweep_config_selectorIjNS0_10empty_typeEEEZNS1_34radix_sort_onesweep_global_offsetsIS3_Lb0EN6thrust23THRUST_200600_302600_NS6detail15normal_iteratorINS9_10device_ptrIjEEEEPS5_jNS0_19identity_decomposerEEE10hipError_tT1_T2_PT3_SK_jT4_jjP12ihipStream_tbEUlT_E_NS1_11comp_targetILNS1_3genE4ELNS1_11target_archE910ELNS1_3gpuE8ELNS1_3repE0EEENS1_52radix_sort_onesweep_histogram_config_static_selectorELNS0_4arch9wavefront6targetE1EEEvSI_,"axG",@progbits,_ZN7rocprim17ROCPRIM_400000_NS6detail17trampoline_kernelINS0_14default_configENS1_35radix_sort_onesweep_config_selectorIjNS0_10empty_typeEEEZNS1_34radix_sort_onesweep_global_offsetsIS3_Lb0EN6thrust23THRUST_200600_302600_NS6detail15normal_iteratorINS9_10device_ptrIjEEEEPS5_jNS0_19identity_decomposerEEE10hipError_tT1_T2_PT3_SK_jT4_jjP12ihipStream_tbEUlT_E_NS1_11comp_targetILNS1_3genE4ELNS1_11target_archE910ELNS1_3gpuE8ELNS1_3repE0EEENS1_52radix_sort_onesweep_histogram_config_static_selectorELNS0_4arch9wavefront6targetE1EEEvSI_,comdat
.Lfunc_end1078:
	.size	_ZN7rocprim17ROCPRIM_400000_NS6detail17trampoline_kernelINS0_14default_configENS1_35radix_sort_onesweep_config_selectorIjNS0_10empty_typeEEEZNS1_34radix_sort_onesweep_global_offsetsIS3_Lb0EN6thrust23THRUST_200600_302600_NS6detail15normal_iteratorINS9_10device_ptrIjEEEEPS5_jNS0_19identity_decomposerEEE10hipError_tT1_T2_PT3_SK_jT4_jjP12ihipStream_tbEUlT_E_NS1_11comp_targetILNS1_3genE4ELNS1_11target_archE910ELNS1_3gpuE8ELNS1_3repE0EEENS1_52radix_sort_onesweep_histogram_config_static_selectorELNS0_4arch9wavefront6targetE1EEEvSI_, .Lfunc_end1078-_ZN7rocprim17ROCPRIM_400000_NS6detail17trampoline_kernelINS0_14default_configENS1_35radix_sort_onesweep_config_selectorIjNS0_10empty_typeEEEZNS1_34radix_sort_onesweep_global_offsetsIS3_Lb0EN6thrust23THRUST_200600_302600_NS6detail15normal_iteratorINS9_10device_ptrIjEEEEPS5_jNS0_19identity_decomposerEEE10hipError_tT1_T2_PT3_SK_jT4_jjP12ihipStream_tbEUlT_E_NS1_11comp_targetILNS1_3genE4ELNS1_11target_archE910ELNS1_3gpuE8ELNS1_3repE0EEENS1_52radix_sort_onesweep_histogram_config_static_selectorELNS0_4arch9wavefront6targetE1EEEvSI_
                                        ; -- End function
	.section	.AMDGPU.csdata,"",@progbits
; Kernel info:
; codeLenInByte = 0
; NumSgprs: 6
; NumVgprs: 0
; NumAgprs: 0
; TotalNumVgprs: 0
; ScratchSize: 0
; MemoryBound: 0
; FloatMode: 240
; IeeeMode: 1
; LDSByteSize: 0 bytes/workgroup (compile time only)
; SGPRBlocks: 0
; VGPRBlocks: 0
; NumSGPRsForWavesPerEU: 6
; NumVGPRsForWavesPerEU: 1
; AccumOffset: 4
; Occupancy: 8
; WaveLimiterHint : 0
; COMPUTE_PGM_RSRC2:SCRATCH_EN: 0
; COMPUTE_PGM_RSRC2:USER_SGPR: 2
; COMPUTE_PGM_RSRC2:TRAP_HANDLER: 0
; COMPUTE_PGM_RSRC2:TGID_X_EN: 1
; COMPUTE_PGM_RSRC2:TGID_Y_EN: 0
; COMPUTE_PGM_RSRC2:TGID_Z_EN: 0
; COMPUTE_PGM_RSRC2:TIDIG_COMP_CNT: 0
; COMPUTE_PGM_RSRC3_GFX90A:ACCUM_OFFSET: 0
; COMPUTE_PGM_RSRC3_GFX90A:TG_SPLIT: 0
	.section	.text._ZN7rocprim17ROCPRIM_400000_NS6detail17trampoline_kernelINS0_14default_configENS1_35radix_sort_onesweep_config_selectorIjNS0_10empty_typeEEEZNS1_34radix_sort_onesweep_global_offsetsIS3_Lb0EN6thrust23THRUST_200600_302600_NS6detail15normal_iteratorINS9_10device_ptrIjEEEEPS5_jNS0_19identity_decomposerEEE10hipError_tT1_T2_PT3_SK_jT4_jjP12ihipStream_tbEUlT_E_NS1_11comp_targetILNS1_3genE3ELNS1_11target_archE908ELNS1_3gpuE7ELNS1_3repE0EEENS1_52radix_sort_onesweep_histogram_config_static_selectorELNS0_4arch9wavefront6targetE1EEEvSI_,"axG",@progbits,_ZN7rocprim17ROCPRIM_400000_NS6detail17trampoline_kernelINS0_14default_configENS1_35radix_sort_onesweep_config_selectorIjNS0_10empty_typeEEEZNS1_34radix_sort_onesweep_global_offsetsIS3_Lb0EN6thrust23THRUST_200600_302600_NS6detail15normal_iteratorINS9_10device_ptrIjEEEEPS5_jNS0_19identity_decomposerEEE10hipError_tT1_T2_PT3_SK_jT4_jjP12ihipStream_tbEUlT_E_NS1_11comp_targetILNS1_3genE3ELNS1_11target_archE908ELNS1_3gpuE7ELNS1_3repE0EEENS1_52radix_sort_onesweep_histogram_config_static_selectorELNS0_4arch9wavefront6targetE1EEEvSI_,comdat
	.protected	_ZN7rocprim17ROCPRIM_400000_NS6detail17trampoline_kernelINS0_14default_configENS1_35radix_sort_onesweep_config_selectorIjNS0_10empty_typeEEEZNS1_34radix_sort_onesweep_global_offsetsIS3_Lb0EN6thrust23THRUST_200600_302600_NS6detail15normal_iteratorINS9_10device_ptrIjEEEEPS5_jNS0_19identity_decomposerEEE10hipError_tT1_T2_PT3_SK_jT4_jjP12ihipStream_tbEUlT_E_NS1_11comp_targetILNS1_3genE3ELNS1_11target_archE908ELNS1_3gpuE7ELNS1_3repE0EEENS1_52radix_sort_onesweep_histogram_config_static_selectorELNS0_4arch9wavefront6targetE1EEEvSI_ ; -- Begin function _ZN7rocprim17ROCPRIM_400000_NS6detail17trampoline_kernelINS0_14default_configENS1_35radix_sort_onesweep_config_selectorIjNS0_10empty_typeEEEZNS1_34radix_sort_onesweep_global_offsetsIS3_Lb0EN6thrust23THRUST_200600_302600_NS6detail15normal_iteratorINS9_10device_ptrIjEEEEPS5_jNS0_19identity_decomposerEEE10hipError_tT1_T2_PT3_SK_jT4_jjP12ihipStream_tbEUlT_E_NS1_11comp_targetILNS1_3genE3ELNS1_11target_archE908ELNS1_3gpuE7ELNS1_3repE0EEENS1_52radix_sort_onesweep_histogram_config_static_selectorELNS0_4arch9wavefront6targetE1EEEvSI_
	.globl	_ZN7rocprim17ROCPRIM_400000_NS6detail17trampoline_kernelINS0_14default_configENS1_35radix_sort_onesweep_config_selectorIjNS0_10empty_typeEEEZNS1_34radix_sort_onesweep_global_offsetsIS3_Lb0EN6thrust23THRUST_200600_302600_NS6detail15normal_iteratorINS9_10device_ptrIjEEEEPS5_jNS0_19identity_decomposerEEE10hipError_tT1_T2_PT3_SK_jT4_jjP12ihipStream_tbEUlT_E_NS1_11comp_targetILNS1_3genE3ELNS1_11target_archE908ELNS1_3gpuE7ELNS1_3repE0EEENS1_52radix_sort_onesweep_histogram_config_static_selectorELNS0_4arch9wavefront6targetE1EEEvSI_
	.p2align	8
	.type	_ZN7rocprim17ROCPRIM_400000_NS6detail17trampoline_kernelINS0_14default_configENS1_35radix_sort_onesweep_config_selectorIjNS0_10empty_typeEEEZNS1_34radix_sort_onesweep_global_offsetsIS3_Lb0EN6thrust23THRUST_200600_302600_NS6detail15normal_iteratorINS9_10device_ptrIjEEEEPS5_jNS0_19identity_decomposerEEE10hipError_tT1_T2_PT3_SK_jT4_jjP12ihipStream_tbEUlT_E_NS1_11comp_targetILNS1_3genE3ELNS1_11target_archE908ELNS1_3gpuE7ELNS1_3repE0EEENS1_52radix_sort_onesweep_histogram_config_static_selectorELNS0_4arch9wavefront6targetE1EEEvSI_,@function
_ZN7rocprim17ROCPRIM_400000_NS6detail17trampoline_kernelINS0_14default_configENS1_35radix_sort_onesweep_config_selectorIjNS0_10empty_typeEEEZNS1_34radix_sort_onesweep_global_offsetsIS3_Lb0EN6thrust23THRUST_200600_302600_NS6detail15normal_iteratorINS9_10device_ptrIjEEEEPS5_jNS0_19identity_decomposerEEE10hipError_tT1_T2_PT3_SK_jT4_jjP12ihipStream_tbEUlT_E_NS1_11comp_targetILNS1_3genE3ELNS1_11target_archE908ELNS1_3gpuE7ELNS1_3repE0EEENS1_52radix_sort_onesweep_histogram_config_static_selectorELNS0_4arch9wavefront6targetE1EEEvSI_: ; @_ZN7rocprim17ROCPRIM_400000_NS6detail17trampoline_kernelINS0_14default_configENS1_35radix_sort_onesweep_config_selectorIjNS0_10empty_typeEEEZNS1_34radix_sort_onesweep_global_offsetsIS3_Lb0EN6thrust23THRUST_200600_302600_NS6detail15normal_iteratorINS9_10device_ptrIjEEEEPS5_jNS0_19identity_decomposerEEE10hipError_tT1_T2_PT3_SK_jT4_jjP12ihipStream_tbEUlT_E_NS1_11comp_targetILNS1_3genE3ELNS1_11target_archE908ELNS1_3gpuE7ELNS1_3repE0EEENS1_52radix_sort_onesweep_histogram_config_static_selectorELNS0_4arch9wavefront6targetE1EEEvSI_
; %bb.0:
	.section	.rodata,"a",@progbits
	.p2align	6, 0x0
	.amdhsa_kernel _ZN7rocprim17ROCPRIM_400000_NS6detail17trampoline_kernelINS0_14default_configENS1_35radix_sort_onesweep_config_selectorIjNS0_10empty_typeEEEZNS1_34radix_sort_onesweep_global_offsetsIS3_Lb0EN6thrust23THRUST_200600_302600_NS6detail15normal_iteratorINS9_10device_ptrIjEEEEPS5_jNS0_19identity_decomposerEEE10hipError_tT1_T2_PT3_SK_jT4_jjP12ihipStream_tbEUlT_E_NS1_11comp_targetILNS1_3genE3ELNS1_11target_archE908ELNS1_3gpuE7ELNS1_3repE0EEENS1_52radix_sort_onesweep_histogram_config_static_selectorELNS0_4arch9wavefront6targetE1EEEvSI_
		.amdhsa_group_segment_fixed_size 0
		.amdhsa_private_segment_fixed_size 0
		.amdhsa_kernarg_size 40
		.amdhsa_user_sgpr_count 2
		.amdhsa_user_sgpr_dispatch_ptr 0
		.amdhsa_user_sgpr_queue_ptr 0
		.amdhsa_user_sgpr_kernarg_segment_ptr 1
		.amdhsa_user_sgpr_dispatch_id 0
		.amdhsa_user_sgpr_kernarg_preload_length 0
		.amdhsa_user_sgpr_kernarg_preload_offset 0
		.amdhsa_user_sgpr_private_segment_size 0
		.amdhsa_uses_dynamic_stack 0
		.amdhsa_enable_private_segment 0
		.amdhsa_system_sgpr_workgroup_id_x 1
		.amdhsa_system_sgpr_workgroup_id_y 0
		.amdhsa_system_sgpr_workgroup_id_z 0
		.amdhsa_system_sgpr_workgroup_info 0
		.amdhsa_system_vgpr_workitem_id 0
		.amdhsa_next_free_vgpr 1
		.amdhsa_next_free_sgpr 0
		.amdhsa_accum_offset 4
		.amdhsa_reserve_vcc 0
		.amdhsa_float_round_mode_32 0
		.amdhsa_float_round_mode_16_64 0
		.amdhsa_float_denorm_mode_32 3
		.amdhsa_float_denorm_mode_16_64 3
		.amdhsa_dx10_clamp 1
		.amdhsa_ieee_mode 1
		.amdhsa_fp16_overflow 0
		.amdhsa_tg_split 0
		.amdhsa_exception_fp_ieee_invalid_op 0
		.amdhsa_exception_fp_denorm_src 0
		.amdhsa_exception_fp_ieee_div_zero 0
		.amdhsa_exception_fp_ieee_overflow 0
		.amdhsa_exception_fp_ieee_underflow 0
		.amdhsa_exception_fp_ieee_inexact 0
		.amdhsa_exception_int_div_zero 0
	.end_amdhsa_kernel
	.section	.text._ZN7rocprim17ROCPRIM_400000_NS6detail17trampoline_kernelINS0_14default_configENS1_35radix_sort_onesweep_config_selectorIjNS0_10empty_typeEEEZNS1_34radix_sort_onesweep_global_offsetsIS3_Lb0EN6thrust23THRUST_200600_302600_NS6detail15normal_iteratorINS9_10device_ptrIjEEEEPS5_jNS0_19identity_decomposerEEE10hipError_tT1_T2_PT3_SK_jT4_jjP12ihipStream_tbEUlT_E_NS1_11comp_targetILNS1_3genE3ELNS1_11target_archE908ELNS1_3gpuE7ELNS1_3repE0EEENS1_52radix_sort_onesweep_histogram_config_static_selectorELNS0_4arch9wavefront6targetE1EEEvSI_,"axG",@progbits,_ZN7rocprim17ROCPRIM_400000_NS6detail17trampoline_kernelINS0_14default_configENS1_35radix_sort_onesweep_config_selectorIjNS0_10empty_typeEEEZNS1_34radix_sort_onesweep_global_offsetsIS3_Lb0EN6thrust23THRUST_200600_302600_NS6detail15normal_iteratorINS9_10device_ptrIjEEEEPS5_jNS0_19identity_decomposerEEE10hipError_tT1_T2_PT3_SK_jT4_jjP12ihipStream_tbEUlT_E_NS1_11comp_targetILNS1_3genE3ELNS1_11target_archE908ELNS1_3gpuE7ELNS1_3repE0EEENS1_52radix_sort_onesweep_histogram_config_static_selectorELNS0_4arch9wavefront6targetE1EEEvSI_,comdat
.Lfunc_end1079:
	.size	_ZN7rocprim17ROCPRIM_400000_NS6detail17trampoline_kernelINS0_14default_configENS1_35radix_sort_onesweep_config_selectorIjNS0_10empty_typeEEEZNS1_34radix_sort_onesweep_global_offsetsIS3_Lb0EN6thrust23THRUST_200600_302600_NS6detail15normal_iteratorINS9_10device_ptrIjEEEEPS5_jNS0_19identity_decomposerEEE10hipError_tT1_T2_PT3_SK_jT4_jjP12ihipStream_tbEUlT_E_NS1_11comp_targetILNS1_3genE3ELNS1_11target_archE908ELNS1_3gpuE7ELNS1_3repE0EEENS1_52radix_sort_onesweep_histogram_config_static_selectorELNS0_4arch9wavefront6targetE1EEEvSI_, .Lfunc_end1079-_ZN7rocprim17ROCPRIM_400000_NS6detail17trampoline_kernelINS0_14default_configENS1_35radix_sort_onesweep_config_selectorIjNS0_10empty_typeEEEZNS1_34radix_sort_onesweep_global_offsetsIS3_Lb0EN6thrust23THRUST_200600_302600_NS6detail15normal_iteratorINS9_10device_ptrIjEEEEPS5_jNS0_19identity_decomposerEEE10hipError_tT1_T2_PT3_SK_jT4_jjP12ihipStream_tbEUlT_E_NS1_11comp_targetILNS1_3genE3ELNS1_11target_archE908ELNS1_3gpuE7ELNS1_3repE0EEENS1_52radix_sort_onesweep_histogram_config_static_selectorELNS0_4arch9wavefront6targetE1EEEvSI_
                                        ; -- End function
	.section	.AMDGPU.csdata,"",@progbits
; Kernel info:
; codeLenInByte = 0
; NumSgprs: 6
; NumVgprs: 0
; NumAgprs: 0
; TotalNumVgprs: 0
; ScratchSize: 0
; MemoryBound: 0
; FloatMode: 240
; IeeeMode: 1
; LDSByteSize: 0 bytes/workgroup (compile time only)
; SGPRBlocks: 0
; VGPRBlocks: 0
; NumSGPRsForWavesPerEU: 6
; NumVGPRsForWavesPerEU: 1
; AccumOffset: 4
; Occupancy: 8
; WaveLimiterHint : 0
; COMPUTE_PGM_RSRC2:SCRATCH_EN: 0
; COMPUTE_PGM_RSRC2:USER_SGPR: 2
; COMPUTE_PGM_RSRC2:TRAP_HANDLER: 0
; COMPUTE_PGM_RSRC2:TGID_X_EN: 1
; COMPUTE_PGM_RSRC2:TGID_Y_EN: 0
; COMPUTE_PGM_RSRC2:TGID_Z_EN: 0
; COMPUTE_PGM_RSRC2:TIDIG_COMP_CNT: 0
; COMPUTE_PGM_RSRC3_GFX90A:ACCUM_OFFSET: 0
; COMPUTE_PGM_RSRC3_GFX90A:TG_SPLIT: 0
	.section	.text._ZN7rocprim17ROCPRIM_400000_NS6detail17trampoline_kernelINS0_14default_configENS1_35radix_sort_onesweep_config_selectorIjNS0_10empty_typeEEEZNS1_34radix_sort_onesweep_global_offsetsIS3_Lb0EN6thrust23THRUST_200600_302600_NS6detail15normal_iteratorINS9_10device_ptrIjEEEEPS5_jNS0_19identity_decomposerEEE10hipError_tT1_T2_PT3_SK_jT4_jjP12ihipStream_tbEUlT_E_NS1_11comp_targetILNS1_3genE10ELNS1_11target_archE1201ELNS1_3gpuE5ELNS1_3repE0EEENS1_52radix_sort_onesweep_histogram_config_static_selectorELNS0_4arch9wavefront6targetE1EEEvSI_,"axG",@progbits,_ZN7rocprim17ROCPRIM_400000_NS6detail17trampoline_kernelINS0_14default_configENS1_35radix_sort_onesweep_config_selectorIjNS0_10empty_typeEEEZNS1_34radix_sort_onesweep_global_offsetsIS3_Lb0EN6thrust23THRUST_200600_302600_NS6detail15normal_iteratorINS9_10device_ptrIjEEEEPS5_jNS0_19identity_decomposerEEE10hipError_tT1_T2_PT3_SK_jT4_jjP12ihipStream_tbEUlT_E_NS1_11comp_targetILNS1_3genE10ELNS1_11target_archE1201ELNS1_3gpuE5ELNS1_3repE0EEENS1_52radix_sort_onesweep_histogram_config_static_selectorELNS0_4arch9wavefront6targetE1EEEvSI_,comdat
	.protected	_ZN7rocprim17ROCPRIM_400000_NS6detail17trampoline_kernelINS0_14default_configENS1_35radix_sort_onesweep_config_selectorIjNS0_10empty_typeEEEZNS1_34radix_sort_onesweep_global_offsetsIS3_Lb0EN6thrust23THRUST_200600_302600_NS6detail15normal_iteratorINS9_10device_ptrIjEEEEPS5_jNS0_19identity_decomposerEEE10hipError_tT1_T2_PT3_SK_jT4_jjP12ihipStream_tbEUlT_E_NS1_11comp_targetILNS1_3genE10ELNS1_11target_archE1201ELNS1_3gpuE5ELNS1_3repE0EEENS1_52radix_sort_onesweep_histogram_config_static_selectorELNS0_4arch9wavefront6targetE1EEEvSI_ ; -- Begin function _ZN7rocprim17ROCPRIM_400000_NS6detail17trampoline_kernelINS0_14default_configENS1_35radix_sort_onesweep_config_selectorIjNS0_10empty_typeEEEZNS1_34radix_sort_onesweep_global_offsetsIS3_Lb0EN6thrust23THRUST_200600_302600_NS6detail15normal_iteratorINS9_10device_ptrIjEEEEPS5_jNS0_19identity_decomposerEEE10hipError_tT1_T2_PT3_SK_jT4_jjP12ihipStream_tbEUlT_E_NS1_11comp_targetILNS1_3genE10ELNS1_11target_archE1201ELNS1_3gpuE5ELNS1_3repE0EEENS1_52radix_sort_onesweep_histogram_config_static_selectorELNS0_4arch9wavefront6targetE1EEEvSI_
	.globl	_ZN7rocprim17ROCPRIM_400000_NS6detail17trampoline_kernelINS0_14default_configENS1_35radix_sort_onesweep_config_selectorIjNS0_10empty_typeEEEZNS1_34radix_sort_onesweep_global_offsetsIS3_Lb0EN6thrust23THRUST_200600_302600_NS6detail15normal_iteratorINS9_10device_ptrIjEEEEPS5_jNS0_19identity_decomposerEEE10hipError_tT1_T2_PT3_SK_jT4_jjP12ihipStream_tbEUlT_E_NS1_11comp_targetILNS1_3genE10ELNS1_11target_archE1201ELNS1_3gpuE5ELNS1_3repE0EEENS1_52radix_sort_onesweep_histogram_config_static_selectorELNS0_4arch9wavefront6targetE1EEEvSI_
	.p2align	8
	.type	_ZN7rocprim17ROCPRIM_400000_NS6detail17trampoline_kernelINS0_14default_configENS1_35radix_sort_onesweep_config_selectorIjNS0_10empty_typeEEEZNS1_34radix_sort_onesweep_global_offsetsIS3_Lb0EN6thrust23THRUST_200600_302600_NS6detail15normal_iteratorINS9_10device_ptrIjEEEEPS5_jNS0_19identity_decomposerEEE10hipError_tT1_T2_PT3_SK_jT4_jjP12ihipStream_tbEUlT_E_NS1_11comp_targetILNS1_3genE10ELNS1_11target_archE1201ELNS1_3gpuE5ELNS1_3repE0EEENS1_52radix_sort_onesweep_histogram_config_static_selectorELNS0_4arch9wavefront6targetE1EEEvSI_,@function
_ZN7rocprim17ROCPRIM_400000_NS6detail17trampoline_kernelINS0_14default_configENS1_35radix_sort_onesweep_config_selectorIjNS0_10empty_typeEEEZNS1_34radix_sort_onesweep_global_offsetsIS3_Lb0EN6thrust23THRUST_200600_302600_NS6detail15normal_iteratorINS9_10device_ptrIjEEEEPS5_jNS0_19identity_decomposerEEE10hipError_tT1_T2_PT3_SK_jT4_jjP12ihipStream_tbEUlT_E_NS1_11comp_targetILNS1_3genE10ELNS1_11target_archE1201ELNS1_3gpuE5ELNS1_3repE0EEENS1_52radix_sort_onesweep_histogram_config_static_selectorELNS0_4arch9wavefront6targetE1EEEvSI_: ; @_ZN7rocprim17ROCPRIM_400000_NS6detail17trampoline_kernelINS0_14default_configENS1_35radix_sort_onesweep_config_selectorIjNS0_10empty_typeEEEZNS1_34radix_sort_onesweep_global_offsetsIS3_Lb0EN6thrust23THRUST_200600_302600_NS6detail15normal_iteratorINS9_10device_ptrIjEEEEPS5_jNS0_19identity_decomposerEEE10hipError_tT1_T2_PT3_SK_jT4_jjP12ihipStream_tbEUlT_E_NS1_11comp_targetILNS1_3genE10ELNS1_11target_archE1201ELNS1_3gpuE5ELNS1_3repE0EEENS1_52radix_sort_onesweep_histogram_config_static_selectorELNS0_4arch9wavefront6targetE1EEEvSI_
; %bb.0:
	.section	.rodata,"a",@progbits
	.p2align	6, 0x0
	.amdhsa_kernel _ZN7rocprim17ROCPRIM_400000_NS6detail17trampoline_kernelINS0_14default_configENS1_35radix_sort_onesweep_config_selectorIjNS0_10empty_typeEEEZNS1_34radix_sort_onesweep_global_offsetsIS3_Lb0EN6thrust23THRUST_200600_302600_NS6detail15normal_iteratorINS9_10device_ptrIjEEEEPS5_jNS0_19identity_decomposerEEE10hipError_tT1_T2_PT3_SK_jT4_jjP12ihipStream_tbEUlT_E_NS1_11comp_targetILNS1_3genE10ELNS1_11target_archE1201ELNS1_3gpuE5ELNS1_3repE0EEENS1_52radix_sort_onesweep_histogram_config_static_selectorELNS0_4arch9wavefront6targetE1EEEvSI_
		.amdhsa_group_segment_fixed_size 0
		.amdhsa_private_segment_fixed_size 0
		.amdhsa_kernarg_size 40
		.amdhsa_user_sgpr_count 2
		.amdhsa_user_sgpr_dispatch_ptr 0
		.amdhsa_user_sgpr_queue_ptr 0
		.amdhsa_user_sgpr_kernarg_segment_ptr 1
		.amdhsa_user_sgpr_dispatch_id 0
		.amdhsa_user_sgpr_kernarg_preload_length 0
		.amdhsa_user_sgpr_kernarg_preload_offset 0
		.amdhsa_user_sgpr_private_segment_size 0
		.amdhsa_uses_dynamic_stack 0
		.amdhsa_enable_private_segment 0
		.amdhsa_system_sgpr_workgroup_id_x 1
		.amdhsa_system_sgpr_workgroup_id_y 0
		.amdhsa_system_sgpr_workgroup_id_z 0
		.amdhsa_system_sgpr_workgroup_info 0
		.amdhsa_system_vgpr_workitem_id 0
		.amdhsa_next_free_vgpr 1
		.amdhsa_next_free_sgpr 0
		.amdhsa_accum_offset 4
		.amdhsa_reserve_vcc 0
		.amdhsa_float_round_mode_32 0
		.amdhsa_float_round_mode_16_64 0
		.amdhsa_float_denorm_mode_32 3
		.amdhsa_float_denorm_mode_16_64 3
		.amdhsa_dx10_clamp 1
		.amdhsa_ieee_mode 1
		.amdhsa_fp16_overflow 0
		.amdhsa_tg_split 0
		.amdhsa_exception_fp_ieee_invalid_op 0
		.amdhsa_exception_fp_denorm_src 0
		.amdhsa_exception_fp_ieee_div_zero 0
		.amdhsa_exception_fp_ieee_overflow 0
		.amdhsa_exception_fp_ieee_underflow 0
		.amdhsa_exception_fp_ieee_inexact 0
		.amdhsa_exception_int_div_zero 0
	.end_amdhsa_kernel
	.section	.text._ZN7rocprim17ROCPRIM_400000_NS6detail17trampoline_kernelINS0_14default_configENS1_35radix_sort_onesweep_config_selectorIjNS0_10empty_typeEEEZNS1_34radix_sort_onesweep_global_offsetsIS3_Lb0EN6thrust23THRUST_200600_302600_NS6detail15normal_iteratorINS9_10device_ptrIjEEEEPS5_jNS0_19identity_decomposerEEE10hipError_tT1_T2_PT3_SK_jT4_jjP12ihipStream_tbEUlT_E_NS1_11comp_targetILNS1_3genE10ELNS1_11target_archE1201ELNS1_3gpuE5ELNS1_3repE0EEENS1_52radix_sort_onesweep_histogram_config_static_selectorELNS0_4arch9wavefront6targetE1EEEvSI_,"axG",@progbits,_ZN7rocprim17ROCPRIM_400000_NS6detail17trampoline_kernelINS0_14default_configENS1_35radix_sort_onesweep_config_selectorIjNS0_10empty_typeEEEZNS1_34radix_sort_onesweep_global_offsetsIS3_Lb0EN6thrust23THRUST_200600_302600_NS6detail15normal_iteratorINS9_10device_ptrIjEEEEPS5_jNS0_19identity_decomposerEEE10hipError_tT1_T2_PT3_SK_jT4_jjP12ihipStream_tbEUlT_E_NS1_11comp_targetILNS1_3genE10ELNS1_11target_archE1201ELNS1_3gpuE5ELNS1_3repE0EEENS1_52radix_sort_onesweep_histogram_config_static_selectorELNS0_4arch9wavefront6targetE1EEEvSI_,comdat
.Lfunc_end1080:
	.size	_ZN7rocprim17ROCPRIM_400000_NS6detail17trampoline_kernelINS0_14default_configENS1_35radix_sort_onesweep_config_selectorIjNS0_10empty_typeEEEZNS1_34radix_sort_onesweep_global_offsetsIS3_Lb0EN6thrust23THRUST_200600_302600_NS6detail15normal_iteratorINS9_10device_ptrIjEEEEPS5_jNS0_19identity_decomposerEEE10hipError_tT1_T2_PT3_SK_jT4_jjP12ihipStream_tbEUlT_E_NS1_11comp_targetILNS1_3genE10ELNS1_11target_archE1201ELNS1_3gpuE5ELNS1_3repE0EEENS1_52radix_sort_onesweep_histogram_config_static_selectorELNS0_4arch9wavefront6targetE1EEEvSI_, .Lfunc_end1080-_ZN7rocprim17ROCPRIM_400000_NS6detail17trampoline_kernelINS0_14default_configENS1_35radix_sort_onesweep_config_selectorIjNS0_10empty_typeEEEZNS1_34radix_sort_onesweep_global_offsetsIS3_Lb0EN6thrust23THRUST_200600_302600_NS6detail15normal_iteratorINS9_10device_ptrIjEEEEPS5_jNS0_19identity_decomposerEEE10hipError_tT1_T2_PT3_SK_jT4_jjP12ihipStream_tbEUlT_E_NS1_11comp_targetILNS1_3genE10ELNS1_11target_archE1201ELNS1_3gpuE5ELNS1_3repE0EEENS1_52radix_sort_onesweep_histogram_config_static_selectorELNS0_4arch9wavefront6targetE1EEEvSI_
                                        ; -- End function
	.section	.AMDGPU.csdata,"",@progbits
; Kernel info:
; codeLenInByte = 0
; NumSgprs: 6
; NumVgprs: 0
; NumAgprs: 0
; TotalNumVgprs: 0
; ScratchSize: 0
; MemoryBound: 0
; FloatMode: 240
; IeeeMode: 1
; LDSByteSize: 0 bytes/workgroup (compile time only)
; SGPRBlocks: 0
; VGPRBlocks: 0
; NumSGPRsForWavesPerEU: 6
; NumVGPRsForWavesPerEU: 1
; AccumOffset: 4
; Occupancy: 8
; WaveLimiterHint : 0
; COMPUTE_PGM_RSRC2:SCRATCH_EN: 0
; COMPUTE_PGM_RSRC2:USER_SGPR: 2
; COMPUTE_PGM_RSRC2:TRAP_HANDLER: 0
; COMPUTE_PGM_RSRC2:TGID_X_EN: 1
; COMPUTE_PGM_RSRC2:TGID_Y_EN: 0
; COMPUTE_PGM_RSRC2:TGID_Z_EN: 0
; COMPUTE_PGM_RSRC2:TIDIG_COMP_CNT: 0
; COMPUTE_PGM_RSRC3_GFX90A:ACCUM_OFFSET: 0
; COMPUTE_PGM_RSRC3_GFX90A:TG_SPLIT: 0
	.section	.text._ZN7rocprim17ROCPRIM_400000_NS6detail17trampoline_kernelINS0_14default_configENS1_35radix_sort_onesweep_config_selectorIjNS0_10empty_typeEEEZNS1_34radix_sort_onesweep_global_offsetsIS3_Lb0EN6thrust23THRUST_200600_302600_NS6detail15normal_iteratorINS9_10device_ptrIjEEEEPS5_jNS0_19identity_decomposerEEE10hipError_tT1_T2_PT3_SK_jT4_jjP12ihipStream_tbEUlT_E_NS1_11comp_targetILNS1_3genE9ELNS1_11target_archE1100ELNS1_3gpuE3ELNS1_3repE0EEENS1_52radix_sort_onesweep_histogram_config_static_selectorELNS0_4arch9wavefront6targetE1EEEvSI_,"axG",@progbits,_ZN7rocprim17ROCPRIM_400000_NS6detail17trampoline_kernelINS0_14default_configENS1_35radix_sort_onesweep_config_selectorIjNS0_10empty_typeEEEZNS1_34radix_sort_onesweep_global_offsetsIS3_Lb0EN6thrust23THRUST_200600_302600_NS6detail15normal_iteratorINS9_10device_ptrIjEEEEPS5_jNS0_19identity_decomposerEEE10hipError_tT1_T2_PT3_SK_jT4_jjP12ihipStream_tbEUlT_E_NS1_11comp_targetILNS1_3genE9ELNS1_11target_archE1100ELNS1_3gpuE3ELNS1_3repE0EEENS1_52radix_sort_onesweep_histogram_config_static_selectorELNS0_4arch9wavefront6targetE1EEEvSI_,comdat
	.protected	_ZN7rocprim17ROCPRIM_400000_NS6detail17trampoline_kernelINS0_14default_configENS1_35radix_sort_onesweep_config_selectorIjNS0_10empty_typeEEEZNS1_34radix_sort_onesweep_global_offsetsIS3_Lb0EN6thrust23THRUST_200600_302600_NS6detail15normal_iteratorINS9_10device_ptrIjEEEEPS5_jNS0_19identity_decomposerEEE10hipError_tT1_T2_PT3_SK_jT4_jjP12ihipStream_tbEUlT_E_NS1_11comp_targetILNS1_3genE9ELNS1_11target_archE1100ELNS1_3gpuE3ELNS1_3repE0EEENS1_52radix_sort_onesweep_histogram_config_static_selectorELNS0_4arch9wavefront6targetE1EEEvSI_ ; -- Begin function _ZN7rocprim17ROCPRIM_400000_NS6detail17trampoline_kernelINS0_14default_configENS1_35radix_sort_onesweep_config_selectorIjNS0_10empty_typeEEEZNS1_34radix_sort_onesweep_global_offsetsIS3_Lb0EN6thrust23THRUST_200600_302600_NS6detail15normal_iteratorINS9_10device_ptrIjEEEEPS5_jNS0_19identity_decomposerEEE10hipError_tT1_T2_PT3_SK_jT4_jjP12ihipStream_tbEUlT_E_NS1_11comp_targetILNS1_3genE9ELNS1_11target_archE1100ELNS1_3gpuE3ELNS1_3repE0EEENS1_52radix_sort_onesweep_histogram_config_static_selectorELNS0_4arch9wavefront6targetE1EEEvSI_
	.globl	_ZN7rocprim17ROCPRIM_400000_NS6detail17trampoline_kernelINS0_14default_configENS1_35radix_sort_onesweep_config_selectorIjNS0_10empty_typeEEEZNS1_34radix_sort_onesweep_global_offsetsIS3_Lb0EN6thrust23THRUST_200600_302600_NS6detail15normal_iteratorINS9_10device_ptrIjEEEEPS5_jNS0_19identity_decomposerEEE10hipError_tT1_T2_PT3_SK_jT4_jjP12ihipStream_tbEUlT_E_NS1_11comp_targetILNS1_3genE9ELNS1_11target_archE1100ELNS1_3gpuE3ELNS1_3repE0EEENS1_52radix_sort_onesweep_histogram_config_static_selectorELNS0_4arch9wavefront6targetE1EEEvSI_
	.p2align	8
	.type	_ZN7rocprim17ROCPRIM_400000_NS6detail17trampoline_kernelINS0_14default_configENS1_35radix_sort_onesweep_config_selectorIjNS0_10empty_typeEEEZNS1_34radix_sort_onesweep_global_offsetsIS3_Lb0EN6thrust23THRUST_200600_302600_NS6detail15normal_iteratorINS9_10device_ptrIjEEEEPS5_jNS0_19identity_decomposerEEE10hipError_tT1_T2_PT3_SK_jT4_jjP12ihipStream_tbEUlT_E_NS1_11comp_targetILNS1_3genE9ELNS1_11target_archE1100ELNS1_3gpuE3ELNS1_3repE0EEENS1_52radix_sort_onesweep_histogram_config_static_selectorELNS0_4arch9wavefront6targetE1EEEvSI_,@function
_ZN7rocprim17ROCPRIM_400000_NS6detail17trampoline_kernelINS0_14default_configENS1_35radix_sort_onesweep_config_selectorIjNS0_10empty_typeEEEZNS1_34radix_sort_onesweep_global_offsetsIS3_Lb0EN6thrust23THRUST_200600_302600_NS6detail15normal_iteratorINS9_10device_ptrIjEEEEPS5_jNS0_19identity_decomposerEEE10hipError_tT1_T2_PT3_SK_jT4_jjP12ihipStream_tbEUlT_E_NS1_11comp_targetILNS1_3genE9ELNS1_11target_archE1100ELNS1_3gpuE3ELNS1_3repE0EEENS1_52radix_sort_onesweep_histogram_config_static_selectorELNS0_4arch9wavefront6targetE1EEEvSI_: ; @_ZN7rocprim17ROCPRIM_400000_NS6detail17trampoline_kernelINS0_14default_configENS1_35radix_sort_onesweep_config_selectorIjNS0_10empty_typeEEEZNS1_34radix_sort_onesweep_global_offsetsIS3_Lb0EN6thrust23THRUST_200600_302600_NS6detail15normal_iteratorINS9_10device_ptrIjEEEEPS5_jNS0_19identity_decomposerEEE10hipError_tT1_T2_PT3_SK_jT4_jjP12ihipStream_tbEUlT_E_NS1_11comp_targetILNS1_3genE9ELNS1_11target_archE1100ELNS1_3gpuE3ELNS1_3repE0EEENS1_52radix_sort_onesweep_histogram_config_static_selectorELNS0_4arch9wavefront6targetE1EEEvSI_
; %bb.0:
	.section	.rodata,"a",@progbits
	.p2align	6, 0x0
	.amdhsa_kernel _ZN7rocprim17ROCPRIM_400000_NS6detail17trampoline_kernelINS0_14default_configENS1_35radix_sort_onesweep_config_selectorIjNS0_10empty_typeEEEZNS1_34radix_sort_onesweep_global_offsetsIS3_Lb0EN6thrust23THRUST_200600_302600_NS6detail15normal_iteratorINS9_10device_ptrIjEEEEPS5_jNS0_19identity_decomposerEEE10hipError_tT1_T2_PT3_SK_jT4_jjP12ihipStream_tbEUlT_E_NS1_11comp_targetILNS1_3genE9ELNS1_11target_archE1100ELNS1_3gpuE3ELNS1_3repE0EEENS1_52radix_sort_onesweep_histogram_config_static_selectorELNS0_4arch9wavefront6targetE1EEEvSI_
		.amdhsa_group_segment_fixed_size 0
		.amdhsa_private_segment_fixed_size 0
		.amdhsa_kernarg_size 40
		.amdhsa_user_sgpr_count 2
		.amdhsa_user_sgpr_dispatch_ptr 0
		.amdhsa_user_sgpr_queue_ptr 0
		.amdhsa_user_sgpr_kernarg_segment_ptr 1
		.amdhsa_user_sgpr_dispatch_id 0
		.amdhsa_user_sgpr_kernarg_preload_length 0
		.amdhsa_user_sgpr_kernarg_preload_offset 0
		.amdhsa_user_sgpr_private_segment_size 0
		.amdhsa_uses_dynamic_stack 0
		.amdhsa_enable_private_segment 0
		.amdhsa_system_sgpr_workgroup_id_x 1
		.amdhsa_system_sgpr_workgroup_id_y 0
		.amdhsa_system_sgpr_workgroup_id_z 0
		.amdhsa_system_sgpr_workgroup_info 0
		.amdhsa_system_vgpr_workitem_id 0
		.amdhsa_next_free_vgpr 1
		.amdhsa_next_free_sgpr 0
		.amdhsa_accum_offset 4
		.amdhsa_reserve_vcc 0
		.amdhsa_float_round_mode_32 0
		.amdhsa_float_round_mode_16_64 0
		.amdhsa_float_denorm_mode_32 3
		.amdhsa_float_denorm_mode_16_64 3
		.amdhsa_dx10_clamp 1
		.amdhsa_ieee_mode 1
		.amdhsa_fp16_overflow 0
		.amdhsa_tg_split 0
		.amdhsa_exception_fp_ieee_invalid_op 0
		.amdhsa_exception_fp_denorm_src 0
		.amdhsa_exception_fp_ieee_div_zero 0
		.amdhsa_exception_fp_ieee_overflow 0
		.amdhsa_exception_fp_ieee_underflow 0
		.amdhsa_exception_fp_ieee_inexact 0
		.amdhsa_exception_int_div_zero 0
	.end_amdhsa_kernel
	.section	.text._ZN7rocprim17ROCPRIM_400000_NS6detail17trampoline_kernelINS0_14default_configENS1_35radix_sort_onesweep_config_selectorIjNS0_10empty_typeEEEZNS1_34radix_sort_onesweep_global_offsetsIS3_Lb0EN6thrust23THRUST_200600_302600_NS6detail15normal_iteratorINS9_10device_ptrIjEEEEPS5_jNS0_19identity_decomposerEEE10hipError_tT1_T2_PT3_SK_jT4_jjP12ihipStream_tbEUlT_E_NS1_11comp_targetILNS1_3genE9ELNS1_11target_archE1100ELNS1_3gpuE3ELNS1_3repE0EEENS1_52radix_sort_onesweep_histogram_config_static_selectorELNS0_4arch9wavefront6targetE1EEEvSI_,"axG",@progbits,_ZN7rocprim17ROCPRIM_400000_NS6detail17trampoline_kernelINS0_14default_configENS1_35radix_sort_onesweep_config_selectorIjNS0_10empty_typeEEEZNS1_34radix_sort_onesweep_global_offsetsIS3_Lb0EN6thrust23THRUST_200600_302600_NS6detail15normal_iteratorINS9_10device_ptrIjEEEEPS5_jNS0_19identity_decomposerEEE10hipError_tT1_T2_PT3_SK_jT4_jjP12ihipStream_tbEUlT_E_NS1_11comp_targetILNS1_3genE9ELNS1_11target_archE1100ELNS1_3gpuE3ELNS1_3repE0EEENS1_52radix_sort_onesweep_histogram_config_static_selectorELNS0_4arch9wavefront6targetE1EEEvSI_,comdat
.Lfunc_end1081:
	.size	_ZN7rocprim17ROCPRIM_400000_NS6detail17trampoline_kernelINS0_14default_configENS1_35radix_sort_onesweep_config_selectorIjNS0_10empty_typeEEEZNS1_34radix_sort_onesweep_global_offsetsIS3_Lb0EN6thrust23THRUST_200600_302600_NS6detail15normal_iteratorINS9_10device_ptrIjEEEEPS5_jNS0_19identity_decomposerEEE10hipError_tT1_T2_PT3_SK_jT4_jjP12ihipStream_tbEUlT_E_NS1_11comp_targetILNS1_3genE9ELNS1_11target_archE1100ELNS1_3gpuE3ELNS1_3repE0EEENS1_52radix_sort_onesweep_histogram_config_static_selectorELNS0_4arch9wavefront6targetE1EEEvSI_, .Lfunc_end1081-_ZN7rocprim17ROCPRIM_400000_NS6detail17trampoline_kernelINS0_14default_configENS1_35radix_sort_onesweep_config_selectorIjNS0_10empty_typeEEEZNS1_34radix_sort_onesweep_global_offsetsIS3_Lb0EN6thrust23THRUST_200600_302600_NS6detail15normal_iteratorINS9_10device_ptrIjEEEEPS5_jNS0_19identity_decomposerEEE10hipError_tT1_T2_PT3_SK_jT4_jjP12ihipStream_tbEUlT_E_NS1_11comp_targetILNS1_3genE9ELNS1_11target_archE1100ELNS1_3gpuE3ELNS1_3repE0EEENS1_52radix_sort_onesweep_histogram_config_static_selectorELNS0_4arch9wavefront6targetE1EEEvSI_
                                        ; -- End function
	.section	.AMDGPU.csdata,"",@progbits
; Kernel info:
; codeLenInByte = 0
; NumSgprs: 6
; NumVgprs: 0
; NumAgprs: 0
; TotalNumVgprs: 0
; ScratchSize: 0
; MemoryBound: 0
; FloatMode: 240
; IeeeMode: 1
; LDSByteSize: 0 bytes/workgroup (compile time only)
; SGPRBlocks: 0
; VGPRBlocks: 0
; NumSGPRsForWavesPerEU: 6
; NumVGPRsForWavesPerEU: 1
; AccumOffset: 4
; Occupancy: 8
; WaveLimiterHint : 0
; COMPUTE_PGM_RSRC2:SCRATCH_EN: 0
; COMPUTE_PGM_RSRC2:USER_SGPR: 2
; COMPUTE_PGM_RSRC2:TRAP_HANDLER: 0
; COMPUTE_PGM_RSRC2:TGID_X_EN: 1
; COMPUTE_PGM_RSRC2:TGID_Y_EN: 0
; COMPUTE_PGM_RSRC2:TGID_Z_EN: 0
; COMPUTE_PGM_RSRC2:TIDIG_COMP_CNT: 0
; COMPUTE_PGM_RSRC3_GFX90A:ACCUM_OFFSET: 0
; COMPUTE_PGM_RSRC3_GFX90A:TG_SPLIT: 0
	.section	.text._ZN7rocprim17ROCPRIM_400000_NS6detail17trampoline_kernelINS0_14default_configENS1_35radix_sort_onesweep_config_selectorIjNS0_10empty_typeEEEZNS1_34radix_sort_onesweep_global_offsetsIS3_Lb0EN6thrust23THRUST_200600_302600_NS6detail15normal_iteratorINS9_10device_ptrIjEEEEPS5_jNS0_19identity_decomposerEEE10hipError_tT1_T2_PT3_SK_jT4_jjP12ihipStream_tbEUlT_E_NS1_11comp_targetILNS1_3genE8ELNS1_11target_archE1030ELNS1_3gpuE2ELNS1_3repE0EEENS1_52radix_sort_onesweep_histogram_config_static_selectorELNS0_4arch9wavefront6targetE1EEEvSI_,"axG",@progbits,_ZN7rocprim17ROCPRIM_400000_NS6detail17trampoline_kernelINS0_14default_configENS1_35radix_sort_onesweep_config_selectorIjNS0_10empty_typeEEEZNS1_34radix_sort_onesweep_global_offsetsIS3_Lb0EN6thrust23THRUST_200600_302600_NS6detail15normal_iteratorINS9_10device_ptrIjEEEEPS5_jNS0_19identity_decomposerEEE10hipError_tT1_T2_PT3_SK_jT4_jjP12ihipStream_tbEUlT_E_NS1_11comp_targetILNS1_3genE8ELNS1_11target_archE1030ELNS1_3gpuE2ELNS1_3repE0EEENS1_52radix_sort_onesweep_histogram_config_static_selectorELNS0_4arch9wavefront6targetE1EEEvSI_,comdat
	.protected	_ZN7rocprim17ROCPRIM_400000_NS6detail17trampoline_kernelINS0_14default_configENS1_35radix_sort_onesweep_config_selectorIjNS0_10empty_typeEEEZNS1_34radix_sort_onesweep_global_offsetsIS3_Lb0EN6thrust23THRUST_200600_302600_NS6detail15normal_iteratorINS9_10device_ptrIjEEEEPS5_jNS0_19identity_decomposerEEE10hipError_tT1_T2_PT3_SK_jT4_jjP12ihipStream_tbEUlT_E_NS1_11comp_targetILNS1_3genE8ELNS1_11target_archE1030ELNS1_3gpuE2ELNS1_3repE0EEENS1_52radix_sort_onesweep_histogram_config_static_selectorELNS0_4arch9wavefront6targetE1EEEvSI_ ; -- Begin function _ZN7rocprim17ROCPRIM_400000_NS6detail17trampoline_kernelINS0_14default_configENS1_35radix_sort_onesweep_config_selectorIjNS0_10empty_typeEEEZNS1_34radix_sort_onesweep_global_offsetsIS3_Lb0EN6thrust23THRUST_200600_302600_NS6detail15normal_iteratorINS9_10device_ptrIjEEEEPS5_jNS0_19identity_decomposerEEE10hipError_tT1_T2_PT3_SK_jT4_jjP12ihipStream_tbEUlT_E_NS1_11comp_targetILNS1_3genE8ELNS1_11target_archE1030ELNS1_3gpuE2ELNS1_3repE0EEENS1_52radix_sort_onesweep_histogram_config_static_selectorELNS0_4arch9wavefront6targetE1EEEvSI_
	.globl	_ZN7rocprim17ROCPRIM_400000_NS6detail17trampoline_kernelINS0_14default_configENS1_35radix_sort_onesweep_config_selectorIjNS0_10empty_typeEEEZNS1_34radix_sort_onesweep_global_offsetsIS3_Lb0EN6thrust23THRUST_200600_302600_NS6detail15normal_iteratorINS9_10device_ptrIjEEEEPS5_jNS0_19identity_decomposerEEE10hipError_tT1_T2_PT3_SK_jT4_jjP12ihipStream_tbEUlT_E_NS1_11comp_targetILNS1_3genE8ELNS1_11target_archE1030ELNS1_3gpuE2ELNS1_3repE0EEENS1_52radix_sort_onesweep_histogram_config_static_selectorELNS0_4arch9wavefront6targetE1EEEvSI_
	.p2align	8
	.type	_ZN7rocprim17ROCPRIM_400000_NS6detail17trampoline_kernelINS0_14default_configENS1_35radix_sort_onesweep_config_selectorIjNS0_10empty_typeEEEZNS1_34radix_sort_onesweep_global_offsetsIS3_Lb0EN6thrust23THRUST_200600_302600_NS6detail15normal_iteratorINS9_10device_ptrIjEEEEPS5_jNS0_19identity_decomposerEEE10hipError_tT1_T2_PT3_SK_jT4_jjP12ihipStream_tbEUlT_E_NS1_11comp_targetILNS1_3genE8ELNS1_11target_archE1030ELNS1_3gpuE2ELNS1_3repE0EEENS1_52radix_sort_onesweep_histogram_config_static_selectorELNS0_4arch9wavefront6targetE1EEEvSI_,@function
_ZN7rocprim17ROCPRIM_400000_NS6detail17trampoline_kernelINS0_14default_configENS1_35radix_sort_onesweep_config_selectorIjNS0_10empty_typeEEEZNS1_34radix_sort_onesweep_global_offsetsIS3_Lb0EN6thrust23THRUST_200600_302600_NS6detail15normal_iteratorINS9_10device_ptrIjEEEEPS5_jNS0_19identity_decomposerEEE10hipError_tT1_T2_PT3_SK_jT4_jjP12ihipStream_tbEUlT_E_NS1_11comp_targetILNS1_3genE8ELNS1_11target_archE1030ELNS1_3gpuE2ELNS1_3repE0EEENS1_52radix_sort_onesweep_histogram_config_static_selectorELNS0_4arch9wavefront6targetE1EEEvSI_: ; @_ZN7rocprim17ROCPRIM_400000_NS6detail17trampoline_kernelINS0_14default_configENS1_35radix_sort_onesweep_config_selectorIjNS0_10empty_typeEEEZNS1_34radix_sort_onesweep_global_offsetsIS3_Lb0EN6thrust23THRUST_200600_302600_NS6detail15normal_iteratorINS9_10device_ptrIjEEEEPS5_jNS0_19identity_decomposerEEE10hipError_tT1_T2_PT3_SK_jT4_jjP12ihipStream_tbEUlT_E_NS1_11comp_targetILNS1_3genE8ELNS1_11target_archE1030ELNS1_3gpuE2ELNS1_3repE0EEENS1_52radix_sort_onesweep_histogram_config_static_selectorELNS0_4arch9wavefront6targetE1EEEvSI_
; %bb.0:
	.section	.rodata,"a",@progbits
	.p2align	6, 0x0
	.amdhsa_kernel _ZN7rocprim17ROCPRIM_400000_NS6detail17trampoline_kernelINS0_14default_configENS1_35radix_sort_onesweep_config_selectorIjNS0_10empty_typeEEEZNS1_34radix_sort_onesweep_global_offsetsIS3_Lb0EN6thrust23THRUST_200600_302600_NS6detail15normal_iteratorINS9_10device_ptrIjEEEEPS5_jNS0_19identity_decomposerEEE10hipError_tT1_T2_PT3_SK_jT4_jjP12ihipStream_tbEUlT_E_NS1_11comp_targetILNS1_3genE8ELNS1_11target_archE1030ELNS1_3gpuE2ELNS1_3repE0EEENS1_52radix_sort_onesweep_histogram_config_static_selectorELNS0_4arch9wavefront6targetE1EEEvSI_
		.amdhsa_group_segment_fixed_size 0
		.amdhsa_private_segment_fixed_size 0
		.amdhsa_kernarg_size 40
		.amdhsa_user_sgpr_count 2
		.amdhsa_user_sgpr_dispatch_ptr 0
		.amdhsa_user_sgpr_queue_ptr 0
		.amdhsa_user_sgpr_kernarg_segment_ptr 1
		.amdhsa_user_sgpr_dispatch_id 0
		.amdhsa_user_sgpr_kernarg_preload_length 0
		.amdhsa_user_sgpr_kernarg_preload_offset 0
		.amdhsa_user_sgpr_private_segment_size 0
		.amdhsa_uses_dynamic_stack 0
		.amdhsa_enable_private_segment 0
		.amdhsa_system_sgpr_workgroup_id_x 1
		.amdhsa_system_sgpr_workgroup_id_y 0
		.amdhsa_system_sgpr_workgroup_id_z 0
		.amdhsa_system_sgpr_workgroup_info 0
		.amdhsa_system_vgpr_workitem_id 0
		.amdhsa_next_free_vgpr 1
		.amdhsa_next_free_sgpr 0
		.amdhsa_accum_offset 4
		.amdhsa_reserve_vcc 0
		.amdhsa_float_round_mode_32 0
		.amdhsa_float_round_mode_16_64 0
		.amdhsa_float_denorm_mode_32 3
		.amdhsa_float_denorm_mode_16_64 3
		.amdhsa_dx10_clamp 1
		.amdhsa_ieee_mode 1
		.amdhsa_fp16_overflow 0
		.amdhsa_tg_split 0
		.amdhsa_exception_fp_ieee_invalid_op 0
		.amdhsa_exception_fp_denorm_src 0
		.amdhsa_exception_fp_ieee_div_zero 0
		.amdhsa_exception_fp_ieee_overflow 0
		.amdhsa_exception_fp_ieee_underflow 0
		.amdhsa_exception_fp_ieee_inexact 0
		.amdhsa_exception_int_div_zero 0
	.end_amdhsa_kernel
	.section	.text._ZN7rocprim17ROCPRIM_400000_NS6detail17trampoline_kernelINS0_14default_configENS1_35radix_sort_onesweep_config_selectorIjNS0_10empty_typeEEEZNS1_34radix_sort_onesweep_global_offsetsIS3_Lb0EN6thrust23THRUST_200600_302600_NS6detail15normal_iteratorINS9_10device_ptrIjEEEEPS5_jNS0_19identity_decomposerEEE10hipError_tT1_T2_PT3_SK_jT4_jjP12ihipStream_tbEUlT_E_NS1_11comp_targetILNS1_3genE8ELNS1_11target_archE1030ELNS1_3gpuE2ELNS1_3repE0EEENS1_52radix_sort_onesweep_histogram_config_static_selectorELNS0_4arch9wavefront6targetE1EEEvSI_,"axG",@progbits,_ZN7rocprim17ROCPRIM_400000_NS6detail17trampoline_kernelINS0_14default_configENS1_35radix_sort_onesweep_config_selectorIjNS0_10empty_typeEEEZNS1_34radix_sort_onesweep_global_offsetsIS3_Lb0EN6thrust23THRUST_200600_302600_NS6detail15normal_iteratorINS9_10device_ptrIjEEEEPS5_jNS0_19identity_decomposerEEE10hipError_tT1_T2_PT3_SK_jT4_jjP12ihipStream_tbEUlT_E_NS1_11comp_targetILNS1_3genE8ELNS1_11target_archE1030ELNS1_3gpuE2ELNS1_3repE0EEENS1_52radix_sort_onesweep_histogram_config_static_selectorELNS0_4arch9wavefront6targetE1EEEvSI_,comdat
.Lfunc_end1082:
	.size	_ZN7rocprim17ROCPRIM_400000_NS6detail17trampoline_kernelINS0_14default_configENS1_35radix_sort_onesweep_config_selectorIjNS0_10empty_typeEEEZNS1_34radix_sort_onesweep_global_offsetsIS3_Lb0EN6thrust23THRUST_200600_302600_NS6detail15normal_iteratorINS9_10device_ptrIjEEEEPS5_jNS0_19identity_decomposerEEE10hipError_tT1_T2_PT3_SK_jT4_jjP12ihipStream_tbEUlT_E_NS1_11comp_targetILNS1_3genE8ELNS1_11target_archE1030ELNS1_3gpuE2ELNS1_3repE0EEENS1_52radix_sort_onesweep_histogram_config_static_selectorELNS0_4arch9wavefront6targetE1EEEvSI_, .Lfunc_end1082-_ZN7rocprim17ROCPRIM_400000_NS6detail17trampoline_kernelINS0_14default_configENS1_35radix_sort_onesweep_config_selectorIjNS0_10empty_typeEEEZNS1_34radix_sort_onesweep_global_offsetsIS3_Lb0EN6thrust23THRUST_200600_302600_NS6detail15normal_iteratorINS9_10device_ptrIjEEEEPS5_jNS0_19identity_decomposerEEE10hipError_tT1_T2_PT3_SK_jT4_jjP12ihipStream_tbEUlT_E_NS1_11comp_targetILNS1_3genE8ELNS1_11target_archE1030ELNS1_3gpuE2ELNS1_3repE0EEENS1_52radix_sort_onesweep_histogram_config_static_selectorELNS0_4arch9wavefront6targetE1EEEvSI_
                                        ; -- End function
	.section	.AMDGPU.csdata,"",@progbits
; Kernel info:
; codeLenInByte = 0
; NumSgprs: 6
; NumVgprs: 0
; NumAgprs: 0
; TotalNumVgprs: 0
; ScratchSize: 0
; MemoryBound: 0
; FloatMode: 240
; IeeeMode: 1
; LDSByteSize: 0 bytes/workgroup (compile time only)
; SGPRBlocks: 0
; VGPRBlocks: 0
; NumSGPRsForWavesPerEU: 6
; NumVGPRsForWavesPerEU: 1
; AccumOffset: 4
; Occupancy: 8
; WaveLimiterHint : 0
; COMPUTE_PGM_RSRC2:SCRATCH_EN: 0
; COMPUTE_PGM_RSRC2:USER_SGPR: 2
; COMPUTE_PGM_RSRC2:TRAP_HANDLER: 0
; COMPUTE_PGM_RSRC2:TGID_X_EN: 1
; COMPUTE_PGM_RSRC2:TGID_Y_EN: 0
; COMPUTE_PGM_RSRC2:TGID_Z_EN: 0
; COMPUTE_PGM_RSRC2:TIDIG_COMP_CNT: 0
; COMPUTE_PGM_RSRC3_GFX90A:ACCUM_OFFSET: 0
; COMPUTE_PGM_RSRC3_GFX90A:TG_SPLIT: 0
	.section	.text._ZN7rocprim17ROCPRIM_400000_NS6detail17trampoline_kernelINS0_14default_configENS1_35radix_sort_onesweep_config_selectorIjNS0_10empty_typeEEEZNS1_34radix_sort_onesweep_global_offsetsIS3_Lb0EN6thrust23THRUST_200600_302600_NS6detail15normal_iteratorINS9_10device_ptrIjEEEEPS5_jNS0_19identity_decomposerEEE10hipError_tT1_T2_PT3_SK_jT4_jjP12ihipStream_tbEUlT_E0_NS1_11comp_targetILNS1_3genE0ELNS1_11target_archE4294967295ELNS1_3gpuE0ELNS1_3repE0EEENS1_52radix_sort_onesweep_histogram_config_static_selectorELNS0_4arch9wavefront6targetE1EEEvSI_,"axG",@progbits,_ZN7rocprim17ROCPRIM_400000_NS6detail17trampoline_kernelINS0_14default_configENS1_35radix_sort_onesweep_config_selectorIjNS0_10empty_typeEEEZNS1_34radix_sort_onesweep_global_offsetsIS3_Lb0EN6thrust23THRUST_200600_302600_NS6detail15normal_iteratorINS9_10device_ptrIjEEEEPS5_jNS0_19identity_decomposerEEE10hipError_tT1_T2_PT3_SK_jT4_jjP12ihipStream_tbEUlT_E0_NS1_11comp_targetILNS1_3genE0ELNS1_11target_archE4294967295ELNS1_3gpuE0ELNS1_3repE0EEENS1_52radix_sort_onesweep_histogram_config_static_selectorELNS0_4arch9wavefront6targetE1EEEvSI_,comdat
	.protected	_ZN7rocprim17ROCPRIM_400000_NS6detail17trampoline_kernelINS0_14default_configENS1_35radix_sort_onesweep_config_selectorIjNS0_10empty_typeEEEZNS1_34radix_sort_onesweep_global_offsetsIS3_Lb0EN6thrust23THRUST_200600_302600_NS6detail15normal_iteratorINS9_10device_ptrIjEEEEPS5_jNS0_19identity_decomposerEEE10hipError_tT1_T2_PT3_SK_jT4_jjP12ihipStream_tbEUlT_E0_NS1_11comp_targetILNS1_3genE0ELNS1_11target_archE4294967295ELNS1_3gpuE0ELNS1_3repE0EEENS1_52radix_sort_onesweep_histogram_config_static_selectorELNS0_4arch9wavefront6targetE1EEEvSI_ ; -- Begin function _ZN7rocprim17ROCPRIM_400000_NS6detail17trampoline_kernelINS0_14default_configENS1_35radix_sort_onesweep_config_selectorIjNS0_10empty_typeEEEZNS1_34radix_sort_onesweep_global_offsetsIS3_Lb0EN6thrust23THRUST_200600_302600_NS6detail15normal_iteratorINS9_10device_ptrIjEEEEPS5_jNS0_19identity_decomposerEEE10hipError_tT1_T2_PT3_SK_jT4_jjP12ihipStream_tbEUlT_E0_NS1_11comp_targetILNS1_3genE0ELNS1_11target_archE4294967295ELNS1_3gpuE0ELNS1_3repE0EEENS1_52radix_sort_onesweep_histogram_config_static_selectorELNS0_4arch9wavefront6targetE1EEEvSI_
	.globl	_ZN7rocprim17ROCPRIM_400000_NS6detail17trampoline_kernelINS0_14default_configENS1_35radix_sort_onesweep_config_selectorIjNS0_10empty_typeEEEZNS1_34radix_sort_onesweep_global_offsetsIS3_Lb0EN6thrust23THRUST_200600_302600_NS6detail15normal_iteratorINS9_10device_ptrIjEEEEPS5_jNS0_19identity_decomposerEEE10hipError_tT1_T2_PT3_SK_jT4_jjP12ihipStream_tbEUlT_E0_NS1_11comp_targetILNS1_3genE0ELNS1_11target_archE4294967295ELNS1_3gpuE0ELNS1_3repE0EEENS1_52radix_sort_onesweep_histogram_config_static_selectorELNS0_4arch9wavefront6targetE1EEEvSI_
	.p2align	8
	.type	_ZN7rocprim17ROCPRIM_400000_NS6detail17trampoline_kernelINS0_14default_configENS1_35radix_sort_onesweep_config_selectorIjNS0_10empty_typeEEEZNS1_34radix_sort_onesweep_global_offsetsIS3_Lb0EN6thrust23THRUST_200600_302600_NS6detail15normal_iteratorINS9_10device_ptrIjEEEEPS5_jNS0_19identity_decomposerEEE10hipError_tT1_T2_PT3_SK_jT4_jjP12ihipStream_tbEUlT_E0_NS1_11comp_targetILNS1_3genE0ELNS1_11target_archE4294967295ELNS1_3gpuE0ELNS1_3repE0EEENS1_52radix_sort_onesweep_histogram_config_static_selectorELNS0_4arch9wavefront6targetE1EEEvSI_,@function
_ZN7rocprim17ROCPRIM_400000_NS6detail17trampoline_kernelINS0_14default_configENS1_35radix_sort_onesweep_config_selectorIjNS0_10empty_typeEEEZNS1_34radix_sort_onesweep_global_offsetsIS3_Lb0EN6thrust23THRUST_200600_302600_NS6detail15normal_iteratorINS9_10device_ptrIjEEEEPS5_jNS0_19identity_decomposerEEE10hipError_tT1_T2_PT3_SK_jT4_jjP12ihipStream_tbEUlT_E0_NS1_11comp_targetILNS1_3genE0ELNS1_11target_archE4294967295ELNS1_3gpuE0ELNS1_3repE0EEENS1_52radix_sort_onesweep_histogram_config_static_selectorELNS0_4arch9wavefront6targetE1EEEvSI_: ; @_ZN7rocprim17ROCPRIM_400000_NS6detail17trampoline_kernelINS0_14default_configENS1_35radix_sort_onesweep_config_selectorIjNS0_10empty_typeEEEZNS1_34radix_sort_onesweep_global_offsetsIS3_Lb0EN6thrust23THRUST_200600_302600_NS6detail15normal_iteratorINS9_10device_ptrIjEEEEPS5_jNS0_19identity_decomposerEEE10hipError_tT1_T2_PT3_SK_jT4_jjP12ihipStream_tbEUlT_E0_NS1_11comp_targetILNS1_3genE0ELNS1_11target_archE4294967295ELNS1_3gpuE0ELNS1_3repE0EEENS1_52radix_sort_onesweep_histogram_config_static_selectorELNS0_4arch9wavefront6targetE1EEEvSI_
; %bb.0:
	.section	.rodata,"a",@progbits
	.p2align	6, 0x0
	.amdhsa_kernel _ZN7rocprim17ROCPRIM_400000_NS6detail17trampoline_kernelINS0_14default_configENS1_35radix_sort_onesweep_config_selectorIjNS0_10empty_typeEEEZNS1_34radix_sort_onesweep_global_offsetsIS3_Lb0EN6thrust23THRUST_200600_302600_NS6detail15normal_iteratorINS9_10device_ptrIjEEEEPS5_jNS0_19identity_decomposerEEE10hipError_tT1_T2_PT3_SK_jT4_jjP12ihipStream_tbEUlT_E0_NS1_11comp_targetILNS1_3genE0ELNS1_11target_archE4294967295ELNS1_3gpuE0ELNS1_3repE0EEENS1_52radix_sort_onesweep_histogram_config_static_selectorELNS0_4arch9wavefront6targetE1EEEvSI_
		.amdhsa_group_segment_fixed_size 0
		.amdhsa_private_segment_fixed_size 0
		.amdhsa_kernarg_size 8
		.amdhsa_user_sgpr_count 2
		.amdhsa_user_sgpr_dispatch_ptr 0
		.amdhsa_user_sgpr_queue_ptr 0
		.amdhsa_user_sgpr_kernarg_segment_ptr 1
		.amdhsa_user_sgpr_dispatch_id 0
		.amdhsa_user_sgpr_kernarg_preload_length 0
		.amdhsa_user_sgpr_kernarg_preload_offset 0
		.amdhsa_user_sgpr_private_segment_size 0
		.amdhsa_uses_dynamic_stack 0
		.amdhsa_enable_private_segment 0
		.amdhsa_system_sgpr_workgroup_id_x 1
		.amdhsa_system_sgpr_workgroup_id_y 0
		.amdhsa_system_sgpr_workgroup_id_z 0
		.amdhsa_system_sgpr_workgroup_info 0
		.amdhsa_system_vgpr_workitem_id 0
		.amdhsa_next_free_vgpr 1
		.amdhsa_next_free_sgpr 0
		.amdhsa_accum_offset 4
		.amdhsa_reserve_vcc 0
		.amdhsa_float_round_mode_32 0
		.amdhsa_float_round_mode_16_64 0
		.amdhsa_float_denorm_mode_32 3
		.amdhsa_float_denorm_mode_16_64 3
		.amdhsa_dx10_clamp 1
		.amdhsa_ieee_mode 1
		.amdhsa_fp16_overflow 0
		.amdhsa_tg_split 0
		.amdhsa_exception_fp_ieee_invalid_op 0
		.amdhsa_exception_fp_denorm_src 0
		.amdhsa_exception_fp_ieee_div_zero 0
		.amdhsa_exception_fp_ieee_overflow 0
		.amdhsa_exception_fp_ieee_underflow 0
		.amdhsa_exception_fp_ieee_inexact 0
		.amdhsa_exception_int_div_zero 0
	.end_amdhsa_kernel
	.section	.text._ZN7rocprim17ROCPRIM_400000_NS6detail17trampoline_kernelINS0_14default_configENS1_35radix_sort_onesweep_config_selectorIjNS0_10empty_typeEEEZNS1_34radix_sort_onesweep_global_offsetsIS3_Lb0EN6thrust23THRUST_200600_302600_NS6detail15normal_iteratorINS9_10device_ptrIjEEEEPS5_jNS0_19identity_decomposerEEE10hipError_tT1_T2_PT3_SK_jT4_jjP12ihipStream_tbEUlT_E0_NS1_11comp_targetILNS1_3genE0ELNS1_11target_archE4294967295ELNS1_3gpuE0ELNS1_3repE0EEENS1_52radix_sort_onesweep_histogram_config_static_selectorELNS0_4arch9wavefront6targetE1EEEvSI_,"axG",@progbits,_ZN7rocprim17ROCPRIM_400000_NS6detail17trampoline_kernelINS0_14default_configENS1_35radix_sort_onesweep_config_selectorIjNS0_10empty_typeEEEZNS1_34radix_sort_onesweep_global_offsetsIS3_Lb0EN6thrust23THRUST_200600_302600_NS6detail15normal_iteratorINS9_10device_ptrIjEEEEPS5_jNS0_19identity_decomposerEEE10hipError_tT1_T2_PT3_SK_jT4_jjP12ihipStream_tbEUlT_E0_NS1_11comp_targetILNS1_3genE0ELNS1_11target_archE4294967295ELNS1_3gpuE0ELNS1_3repE0EEENS1_52radix_sort_onesweep_histogram_config_static_selectorELNS0_4arch9wavefront6targetE1EEEvSI_,comdat
.Lfunc_end1083:
	.size	_ZN7rocprim17ROCPRIM_400000_NS6detail17trampoline_kernelINS0_14default_configENS1_35radix_sort_onesweep_config_selectorIjNS0_10empty_typeEEEZNS1_34radix_sort_onesweep_global_offsetsIS3_Lb0EN6thrust23THRUST_200600_302600_NS6detail15normal_iteratorINS9_10device_ptrIjEEEEPS5_jNS0_19identity_decomposerEEE10hipError_tT1_T2_PT3_SK_jT4_jjP12ihipStream_tbEUlT_E0_NS1_11comp_targetILNS1_3genE0ELNS1_11target_archE4294967295ELNS1_3gpuE0ELNS1_3repE0EEENS1_52radix_sort_onesweep_histogram_config_static_selectorELNS0_4arch9wavefront6targetE1EEEvSI_, .Lfunc_end1083-_ZN7rocprim17ROCPRIM_400000_NS6detail17trampoline_kernelINS0_14default_configENS1_35radix_sort_onesweep_config_selectorIjNS0_10empty_typeEEEZNS1_34radix_sort_onesweep_global_offsetsIS3_Lb0EN6thrust23THRUST_200600_302600_NS6detail15normal_iteratorINS9_10device_ptrIjEEEEPS5_jNS0_19identity_decomposerEEE10hipError_tT1_T2_PT3_SK_jT4_jjP12ihipStream_tbEUlT_E0_NS1_11comp_targetILNS1_3genE0ELNS1_11target_archE4294967295ELNS1_3gpuE0ELNS1_3repE0EEENS1_52radix_sort_onesweep_histogram_config_static_selectorELNS0_4arch9wavefront6targetE1EEEvSI_
                                        ; -- End function
	.section	.AMDGPU.csdata,"",@progbits
; Kernel info:
; codeLenInByte = 0
; NumSgprs: 6
; NumVgprs: 0
; NumAgprs: 0
; TotalNumVgprs: 0
; ScratchSize: 0
; MemoryBound: 0
; FloatMode: 240
; IeeeMode: 1
; LDSByteSize: 0 bytes/workgroup (compile time only)
; SGPRBlocks: 0
; VGPRBlocks: 0
; NumSGPRsForWavesPerEU: 6
; NumVGPRsForWavesPerEU: 1
; AccumOffset: 4
; Occupancy: 8
; WaveLimiterHint : 0
; COMPUTE_PGM_RSRC2:SCRATCH_EN: 0
; COMPUTE_PGM_RSRC2:USER_SGPR: 2
; COMPUTE_PGM_RSRC2:TRAP_HANDLER: 0
; COMPUTE_PGM_RSRC2:TGID_X_EN: 1
; COMPUTE_PGM_RSRC2:TGID_Y_EN: 0
; COMPUTE_PGM_RSRC2:TGID_Z_EN: 0
; COMPUTE_PGM_RSRC2:TIDIG_COMP_CNT: 0
; COMPUTE_PGM_RSRC3_GFX90A:ACCUM_OFFSET: 0
; COMPUTE_PGM_RSRC3_GFX90A:TG_SPLIT: 0
	.section	.text._ZN7rocprim17ROCPRIM_400000_NS6detail17trampoline_kernelINS0_14default_configENS1_35radix_sort_onesweep_config_selectorIjNS0_10empty_typeEEEZNS1_34radix_sort_onesweep_global_offsetsIS3_Lb0EN6thrust23THRUST_200600_302600_NS6detail15normal_iteratorINS9_10device_ptrIjEEEEPS5_jNS0_19identity_decomposerEEE10hipError_tT1_T2_PT3_SK_jT4_jjP12ihipStream_tbEUlT_E0_NS1_11comp_targetILNS1_3genE6ELNS1_11target_archE950ELNS1_3gpuE13ELNS1_3repE0EEENS1_52radix_sort_onesweep_histogram_config_static_selectorELNS0_4arch9wavefront6targetE1EEEvSI_,"axG",@progbits,_ZN7rocprim17ROCPRIM_400000_NS6detail17trampoline_kernelINS0_14default_configENS1_35radix_sort_onesweep_config_selectorIjNS0_10empty_typeEEEZNS1_34radix_sort_onesweep_global_offsetsIS3_Lb0EN6thrust23THRUST_200600_302600_NS6detail15normal_iteratorINS9_10device_ptrIjEEEEPS5_jNS0_19identity_decomposerEEE10hipError_tT1_T2_PT3_SK_jT4_jjP12ihipStream_tbEUlT_E0_NS1_11comp_targetILNS1_3genE6ELNS1_11target_archE950ELNS1_3gpuE13ELNS1_3repE0EEENS1_52radix_sort_onesweep_histogram_config_static_selectorELNS0_4arch9wavefront6targetE1EEEvSI_,comdat
	.protected	_ZN7rocprim17ROCPRIM_400000_NS6detail17trampoline_kernelINS0_14default_configENS1_35radix_sort_onesweep_config_selectorIjNS0_10empty_typeEEEZNS1_34radix_sort_onesweep_global_offsetsIS3_Lb0EN6thrust23THRUST_200600_302600_NS6detail15normal_iteratorINS9_10device_ptrIjEEEEPS5_jNS0_19identity_decomposerEEE10hipError_tT1_T2_PT3_SK_jT4_jjP12ihipStream_tbEUlT_E0_NS1_11comp_targetILNS1_3genE6ELNS1_11target_archE950ELNS1_3gpuE13ELNS1_3repE0EEENS1_52radix_sort_onesweep_histogram_config_static_selectorELNS0_4arch9wavefront6targetE1EEEvSI_ ; -- Begin function _ZN7rocprim17ROCPRIM_400000_NS6detail17trampoline_kernelINS0_14default_configENS1_35radix_sort_onesweep_config_selectorIjNS0_10empty_typeEEEZNS1_34radix_sort_onesweep_global_offsetsIS3_Lb0EN6thrust23THRUST_200600_302600_NS6detail15normal_iteratorINS9_10device_ptrIjEEEEPS5_jNS0_19identity_decomposerEEE10hipError_tT1_T2_PT3_SK_jT4_jjP12ihipStream_tbEUlT_E0_NS1_11comp_targetILNS1_3genE6ELNS1_11target_archE950ELNS1_3gpuE13ELNS1_3repE0EEENS1_52radix_sort_onesweep_histogram_config_static_selectorELNS0_4arch9wavefront6targetE1EEEvSI_
	.globl	_ZN7rocprim17ROCPRIM_400000_NS6detail17trampoline_kernelINS0_14default_configENS1_35radix_sort_onesweep_config_selectorIjNS0_10empty_typeEEEZNS1_34radix_sort_onesweep_global_offsetsIS3_Lb0EN6thrust23THRUST_200600_302600_NS6detail15normal_iteratorINS9_10device_ptrIjEEEEPS5_jNS0_19identity_decomposerEEE10hipError_tT1_T2_PT3_SK_jT4_jjP12ihipStream_tbEUlT_E0_NS1_11comp_targetILNS1_3genE6ELNS1_11target_archE950ELNS1_3gpuE13ELNS1_3repE0EEENS1_52radix_sort_onesweep_histogram_config_static_selectorELNS0_4arch9wavefront6targetE1EEEvSI_
	.p2align	8
	.type	_ZN7rocprim17ROCPRIM_400000_NS6detail17trampoline_kernelINS0_14default_configENS1_35radix_sort_onesweep_config_selectorIjNS0_10empty_typeEEEZNS1_34radix_sort_onesweep_global_offsetsIS3_Lb0EN6thrust23THRUST_200600_302600_NS6detail15normal_iteratorINS9_10device_ptrIjEEEEPS5_jNS0_19identity_decomposerEEE10hipError_tT1_T2_PT3_SK_jT4_jjP12ihipStream_tbEUlT_E0_NS1_11comp_targetILNS1_3genE6ELNS1_11target_archE950ELNS1_3gpuE13ELNS1_3repE0EEENS1_52radix_sort_onesweep_histogram_config_static_selectorELNS0_4arch9wavefront6targetE1EEEvSI_,@function
_ZN7rocprim17ROCPRIM_400000_NS6detail17trampoline_kernelINS0_14default_configENS1_35radix_sort_onesweep_config_selectorIjNS0_10empty_typeEEEZNS1_34radix_sort_onesweep_global_offsetsIS3_Lb0EN6thrust23THRUST_200600_302600_NS6detail15normal_iteratorINS9_10device_ptrIjEEEEPS5_jNS0_19identity_decomposerEEE10hipError_tT1_T2_PT3_SK_jT4_jjP12ihipStream_tbEUlT_E0_NS1_11comp_targetILNS1_3genE6ELNS1_11target_archE950ELNS1_3gpuE13ELNS1_3repE0EEENS1_52radix_sort_onesweep_histogram_config_static_selectorELNS0_4arch9wavefront6targetE1EEEvSI_: ; @_ZN7rocprim17ROCPRIM_400000_NS6detail17trampoline_kernelINS0_14default_configENS1_35radix_sort_onesweep_config_selectorIjNS0_10empty_typeEEEZNS1_34radix_sort_onesweep_global_offsetsIS3_Lb0EN6thrust23THRUST_200600_302600_NS6detail15normal_iteratorINS9_10device_ptrIjEEEEPS5_jNS0_19identity_decomposerEEE10hipError_tT1_T2_PT3_SK_jT4_jjP12ihipStream_tbEUlT_E0_NS1_11comp_targetILNS1_3genE6ELNS1_11target_archE950ELNS1_3gpuE13ELNS1_3repE0EEENS1_52radix_sort_onesweep_histogram_config_static_selectorELNS0_4arch9wavefront6targetE1EEEvSI_
; %bb.0:
	.section	.rodata,"a",@progbits
	.p2align	6, 0x0
	.amdhsa_kernel _ZN7rocprim17ROCPRIM_400000_NS6detail17trampoline_kernelINS0_14default_configENS1_35radix_sort_onesweep_config_selectorIjNS0_10empty_typeEEEZNS1_34radix_sort_onesweep_global_offsetsIS3_Lb0EN6thrust23THRUST_200600_302600_NS6detail15normal_iteratorINS9_10device_ptrIjEEEEPS5_jNS0_19identity_decomposerEEE10hipError_tT1_T2_PT3_SK_jT4_jjP12ihipStream_tbEUlT_E0_NS1_11comp_targetILNS1_3genE6ELNS1_11target_archE950ELNS1_3gpuE13ELNS1_3repE0EEENS1_52radix_sort_onesweep_histogram_config_static_selectorELNS0_4arch9wavefront6targetE1EEEvSI_
		.amdhsa_group_segment_fixed_size 0
		.amdhsa_private_segment_fixed_size 0
		.amdhsa_kernarg_size 8
		.amdhsa_user_sgpr_count 2
		.amdhsa_user_sgpr_dispatch_ptr 0
		.amdhsa_user_sgpr_queue_ptr 0
		.amdhsa_user_sgpr_kernarg_segment_ptr 1
		.amdhsa_user_sgpr_dispatch_id 0
		.amdhsa_user_sgpr_kernarg_preload_length 0
		.amdhsa_user_sgpr_kernarg_preload_offset 0
		.amdhsa_user_sgpr_private_segment_size 0
		.amdhsa_uses_dynamic_stack 0
		.amdhsa_enable_private_segment 0
		.amdhsa_system_sgpr_workgroup_id_x 1
		.amdhsa_system_sgpr_workgroup_id_y 0
		.amdhsa_system_sgpr_workgroup_id_z 0
		.amdhsa_system_sgpr_workgroup_info 0
		.amdhsa_system_vgpr_workitem_id 0
		.amdhsa_next_free_vgpr 1
		.amdhsa_next_free_sgpr 0
		.amdhsa_accum_offset 4
		.amdhsa_reserve_vcc 0
		.amdhsa_float_round_mode_32 0
		.amdhsa_float_round_mode_16_64 0
		.amdhsa_float_denorm_mode_32 3
		.amdhsa_float_denorm_mode_16_64 3
		.amdhsa_dx10_clamp 1
		.amdhsa_ieee_mode 1
		.amdhsa_fp16_overflow 0
		.amdhsa_tg_split 0
		.amdhsa_exception_fp_ieee_invalid_op 0
		.amdhsa_exception_fp_denorm_src 0
		.amdhsa_exception_fp_ieee_div_zero 0
		.amdhsa_exception_fp_ieee_overflow 0
		.amdhsa_exception_fp_ieee_underflow 0
		.amdhsa_exception_fp_ieee_inexact 0
		.amdhsa_exception_int_div_zero 0
	.end_amdhsa_kernel
	.section	.text._ZN7rocprim17ROCPRIM_400000_NS6detail17trampoline_kernelINS0_14default_configENS1_35radix_sort_onesweep_config_selectorIjNS0_10empty_typeEEEZNS1_34radix_sort_onesweep_global_offsetsIS3_Lb0EN6thrust23THRUST_200600_302600_NS6detail15normal_iteratorINS9_10device_ptrIjEEEEPS5_jNS0_19identity_decomposerEEE10hipError_tT1_T2_PT3_SK_jT4_jjP12ihipStream_tbEUlT_E0_NS1_11comp_targetILNS1_3genE6ELNS1_11target_archE950ELNS1_3gpuE13ELNS1_3repE0EEENS1_52radix_sort_onesweep_histogram_config_static_selectorELNS0_4arch9wavefront6targetE1EEEvSI_,"axG",@progbits,_ZN7rocprim17ROCPRIM_400000_NS6detail17trampoline_kernelINS0_14default_configENS1_35radix_sort_onesweep_config_selectorIjNS0_10empty_typeEEEZNS1_34radix_sort_onesweep_global_offsetsIS3_Lb0EN6thrust23THRUST_200600_302600_NS6detail15normal_iteratorINS9_10device_ptrIjEEEEPS5_jNS0_19identity_decomposerEEE10hipError_tT1_T2_PT3_SK_jT4_jjP12ihipStream_tbEUlT_E0_NS1_11comp_targetILNS1_3genE6ELNS1_11target_archE950ELNS1_3gpuE13ELNS1_3repE0EEENS1_52radix_sort_onesweep_histogram_config_static_selectorELNS0_4arch9wavefront6targetE1EEEvSI_,comdat
.Lfunc_end1084:
	.size	_ZN7rocprim17ROCPRIM_400000_NS6detail17trampoline_kernelINS0_14default_configENS1_35radix_sort_onesweep_config_selectorIjNS0_10empty_typeEEEZNS1_34radix_sort_onesweep_global_offsetsIS3_Lb0EN6thrust23THRUST_200600_302600_NS6detail15normal_iteratorINS9_10device_ptrIjEEEEPS5_jNS0_19identity_decomposerEEE10hipError_tT1_T2_PT3_SK_jT4_jjP12ihipStream_tbEUlT_E0_NS1_11comp_targetILNS1_3genE6ELNS1_11target_archE950ELNS1_3gpuE13ELNS1_3repE0EEENS1_52radix_sort_onesweep_histogram_config_static_selectorELNS0_4arch9wavefront6targetE1EEEvSI_, .Lfunc_end1084-_ZN7rocprim17ROCPRIM_400000_NS6detail17trampoline_kernelINS0_14default_configENS1_35radix_sort_onesweep_config_selectorIjNS0_10empty_typeEEEZNS1_34radix_sort_onesweep_global_offsetsIS3_Lb0EN6thrust23THRUST_200600_302600_NS6detail15normal_iteratorINS9_10device_ptrIjEEEEPS5_jNS0_19identity_decomposerEEE10hipError_tT1_T2_PT3_SK_jT4_jjP12ihipStream_tbEUlT_E0_NS1_11comp_targetILNS1_3genE6ELNS1_11target_archE950ELNS1_3gpuE13ELNS1_3repE0EEENS1_52radix_sort_onesweep_histogram_config_static_selectorELNS0_4arch9wavefront6targetE1EEEvSI_
                                        ; -- End function
	.section	.AMDGPU.csdata,"",@progbits
; Kernel info:
; codeLenInByte = 0
; NumSgprs: 6
; NumVgprs: 0
; NumAgprs: 0
; TotalNumVgprs: 0
; ScratchSize: 0
; MemoryBound: 0
; FloatMode: 240
; IeeeMode: 1
; LDSByteSize: 0 bytes/workgroup (compile time only)
; SGPRBlocks: 0
; VGPRBlocks: 0
; NumSGPRsForWavesPerEU: 6
; NumVGPRsForWavesPerEU: 1
; AccumOffset: 4
; Occupancy: 8
; WaveLimiterHint : 0
; COMPUTE_PGM_RSRC2:SCRATCH_EN: 0
; COMPUTE_PGM_RSRC2:USER_SGPR: 2
; COMPUTE_PGM_RSRC2:TRAP_HANDLER: 0
; COMPUTE_PGM_RSRC2:TGID_X_EN: 1
; COMPUTE_PGM_RSRC2:TGID_Y_EN: 0
; COMPUTE_PGM_RSRC2:TGID_Z_EN: 0
; COMPUTE_PGM_RSRC2:TIDIG_COMP_CNT: 0
; COMPUTE_PGM_RSRC3_GFX90A:ACCUM_OFFSET: 0
; COMPUTE_PGM_RSRC3_GFX90A:TG_SPLIT: 0
	.section	.text._ZN7rocprim17ROCPRIM_400000_NS6detail17trampoline_kernelINS0_14default_configENS1_35radix_sort_onesweep_config_selectorIjNS0_10empty_typeEEEZNS1_34radix_sort_onesweep_global_offsetsIS3_Lb0EN6thrust23THRUST_200600_302600_NS6detail15normal_iteratorINS9_10device_ptrIjEEEEPS5_jNS0_19identity_decomposerEEE10hipError_tT1_T2_PT3_SK_jT4_jjP12ihipStream_tbEUlT_E0_NS1_11comp_targetILNS1_3genE5ELNS1_11target_archE942ELNS1_3gpuE9ELNS1_3repE0EEENS1_52radix_sort_onesweep_histogram_config_static_selectorELNS0_4arch9wavefront6targetE1EEEvSI_,"axG",@progbits,_ZN7rocprim17ROCPRIM_400000_NS6detail17trampoline_kernelINS0_14default_configENS1_35radix_sort_onesweep_config_selectorIjNS0_10empty_typeEEEZNS1_34radix_sort_onesweep_global_offsetsIS3_Lb0EN6thrust23THRUST_200600_302600_NS6detail15normal_iteratorINS9_10device_ptrIjEEEEPS5_jNS0_19identity_decomposerEEE10hipError_tT1_T2_PT3_SK_jT4_jjP12ihipStream_tbEUlT_E0_NS1_11comp_targetILNS1_3genE5ELNS1_11target_archE942ELNS1_3gpuE9ELNS1_3repE0EEENS1_52radix_sort_onesweep_histogram_config_static_selectorELNS0_4arch9wavefront6targetE1EEEvSI_,comdat
	.protected	_ZN7rocprim17ROCPRIM_400000_NS6detail17trampoline_kernelINS0_14default_configENS1_35radix_sort_onesweep_config_selectorIjNS0_10empty_typeEEEZNS1_34radix_sort_onesweep_global_offsetsIS3_Lb0EN6thrust23THRUST_200600_302600_NS6detail15normal_iteratorINS9_10device_ptrIjEEEEPS5_jNS0_19identity_decomposerEEE10hipError_tT1_T2_PT3_SK_jT4_jjP12ihipStream_tbEUlT_E0_NS1_11comp_targetILNS1_3genE5ELNS1_11target_archE942ELNS1_3gpuE9ELNS1_3repE0EEENS1_52radix_sort_onesweep_histogram_config_static_selectorELNS0_4arch9wavefront6targetE1EEEvSI_ ; -- Begin function _ZN7rocprim17ROCPRIM_400000_NS6detail17trampoline_kernelINS0_14default_configENS1_35radix_sort_onesweep_config_selectorIjNS0_10empty_typeEEEZNS1_34radix_sort_onesweep_global_offsetsIS3_Lb0EN6thrust23THRUST_200600_302600_NS6detail15normal_iteratorINS9_10device_ptrIjEEEEPS5_jNS0_19identity_decomposerEEE10hipError_tT1_T2_PT3_SK_jT4_jjP12ihipStream_tbEUlT_E0_NS1_11comp_targetILNS1_3genE5ELNS1_11target_archE942ELNS1_3gpuE9ELNS1_3repE0EEENS1_52radix_sort_onesweep_histogram_config_static_selectorELNS0_4arch9wavefront6targetE1EEEvSI_
	.globl	_ZN7rocprim17ROCPRIM_400000_NS6detail17trampoline_kernelINS0_14default_configENS1_35radix_sort_onesweep_config_selectorIjNS0_10empty_typeEEEZNS1_34radix_sort_onesweep_global_offsetsIS3_Lb0EN6thrust23THRUST_200600_302600_NS6detail15normal_iteratorINS9_10device_ptrIjEEEEPS5_jNS0_19identity_decomposerEEE10hipError_tT1_T2_PT3_SK_jT4_jjP12ihipStream_tbEUlT_E0_NS1_11comp_targetILNS1_3genE5ELNS1_11target_archE942ELNS1_3gpuE9ELNS1_3repE0EEENS1_52radix_sort_onesweep_histogram_config_static_selectorELNS0_4arch9wavefront6targetE1EEEvSI_
	.p2align	8
	.type	_ZN7rocprim17ROCPRIM_400000_NS6detail17trampoline_kernelINS0_14default_configENS1_35radix_sort_onesweep_config_selectorIjNS0_10empty_typeEEEZNS1_34radix_sort_onesweep_global_offsetsIS3_Lb0EN6thrust23THRUST_200600_302600_NS6detail15normal_iteratorINS9_10device_ptrIjEEEEPS5_jNS0_19identity_decomposerEEE10hipError_tT1_T2_PT3_SK_jT4_jjP12ihipStream_tbEUlT_E0_NS1_11comp_targetILNS1_3genE5ELNS1_11target_archE942ELNS1_3gpuE9ELNS1_3repE0EEENS1_52radix_sort_onesweep_histogram_config_static_selectorELNS0_4arch9wavefront6targetE1EEEvSI_,@function
_ZN7rocprim17ROCPRIM_400000_NS6detail17trampoline_kernelINS0_14default_configENS1_35radix_sort_onesweep_config_selectorIjNS0_10empty_typeEEEZNS1_34radix_sort_onesweep_global_offsetsIS3_Lb0EN6thrust23THRUST_200600_302600_NS6detail15normal_iteratorINS9_10device_ptrIjEEEEPS5_jNS0_19identity_decomposerEEE10hipError_tT1_T2_PT3_SK_jT4_jjP12ihipStream_tbEUlT_E0_NS1_11comp_targetILNS1_3genE5ELNS1_11target_archE942ELNS1_3gpuE9ELNS1_3repE0EEENS1_52radix_sort_onesweep_histogram_config_static_selectorELNS0_4arch9wavefront6targetE1EEEvSI_: ; @_ZN7rocprim17ROCPRIM_400000_NS6detail17trampoline_kernelINS0_14default_configENS1_35radix_sort_onesweep_config_selectorIjNS0_10empty_typeEEEZNS1_34radix_sort_onesweep_global_offsetsIS3_Lb0EN6thrust23THRUST_200600_302600_NS6detail15normal_iteratorINS9_10device_ptrIjEEEEPS5_jNS0_19identity_decomposerEEE10hipError_tT1_T2_PT3_SK_jT4_jjP12ihipStream_tbEUlT_E0_NS1_11comp_targetILNS1_3genE5ELNS1_11target_archE942ELNS1_3gpuE9ELNS1_3repE0EEENS1_52radix_sort_onesweep_histogram_config_static_selectorELNS0_4arch9wavefront6targetE1EEEvSI_
; %bb.0:
	s_load_dwordx2 s[0:1], s[0:1], 0x0
	s_lshl_b32 s2, s2, 8
	s_mov_b32 s3, 0
	s_lshl_b64 s[2:3], s[2:3], 2
	v_lshlrev_b32_e32 v1, 2, v0
	s_waitcnt lgkmcnt(0)
	s_add_u32 s10, s0, s2
	s_movk_i32 s0, 0x100
	s_addc_u32 s11, s1, s3
	v_cmp_gt_u32_e32 vcc, s0, v0
                                        ; implicit-def: $vgpr3
	s_and_saveexec_b64 s[0:1], vcc
	s_cbranch_execz .LBB1085_2
; %bb.1:
	global_load_dword v3, v1, s[10:11]
.LBB1085_2:
	s_or_b64 exec, exec, s[0:1]
	v_mbcnt_lo_u32_b32 v2, -1, 0
	v_mbcnt_hi_u32_b32 v2, -1, v2
	v_and_b32_e32 v4, 15, v2
	s_waitcnt vmcnt(0)
	v_mov_b32_dpp v5, v3 row_shr:1 row_mask:0xf bank_mask:0xf
	v_cmp_eq_u32_e64 s[0:1], 0, v4
	v_cmp_lt_u32_e64 s[2:3], 1, v4
	v_cmp_lt_u32_e64 s[4:5], 3, v4
	v_cndmask_b32_e64 v5, v5, 0, s[0:1]
	v_add_u32_e32 v3, v5, v3
	v_cmp_lt_u32_e64 s[6:7], 7, v4
	v_cmp_lt_u32_e64 s[8:9], 31, v2
	v_mov_b32_dpp v5, v3 row_shr:2 row_mask:0xf bank_mask:0xf
	v_cndmask_b32_e64 v5, 0, v5, s[2:3]
	v_add_u32_e32 v3, v3, v5
	s_nop 1
	v_mov_b32_dpp v5, v3 row_shr:4 row_mask:0xf bank_mask:0xf
	v_cndmask_b32_e64 v5, 0, v5, s[4:5]
	v_add_u32_e32 v3, v3, v5
	s_nop 1
	v_mov_b32_dpp v5, v3 row_shr:8 row_mask:0xf bank_mask:0xf
	v_cndmask_b32_e64 v4, 0, v5, s[6:7]
	v_add_u32_e32 v3, v3, v4
	v_bfe_i32 v5, v2, 4, 1
	s_nop 0
	v_mov_b32_dpp v4, v3 row_bcast:15 row_mask:0xf bank_mask:0xf
	v_and_b32_e32 v4, v5, v4
	v_add_u32_e32 v3, v3, v4
	v_and_b32_e32 v5, 63, v0
	s_nop 0
	v_mov_b32_dpp v4, v3 row_bcast:31 row_mask:0xf bank_mask:0xf
	v_cndmask_b32_e64 v4, 0, v4, s[8:9]
	v_add_u32_e32 v3, v3, v4
	v_lshrrev_b32_e32 v4, 6, v0
	v_cmp_eq_u32_e64 s[8:9], 63, v5
	s_and_saveexec_b64 s[12:13], s[8:9]
	s_cbranch_execz .LBB1085_4
; %bb.3:
	v_lshlrev_b32_e32 v5, 2, v4
	ds_write_b32 v5, v3
.LBB1085_4:
	s_or_b64 exec, exec, s[12:13]
	v_cmp_gt_u32_e64 s[8:9], 16, v0
	s_waitcnt lgkmcnt(0)
	s_barrier
	s_and_saveexec_b64 s[12:13], s[8:9]
	s_cbranch_execz .LBB1085_6
; %bb.5:
	ds_read_b32 v5, v1
	s_waitcnt lgkmcnt(0)
	s_nop 0
	v_mov_b32_dpp v6, v5 row_shr:1 row_mask:0xf bank_mask:0xf
	v_cndmask_b32_e64 v6, v6, 0, s[0:1]
	v_add_u32_e32 v5, v6, v5
	s_nop 1
	v_mov_b32_dpp v6, v5 row_shr:2 row_mask:0xf bank_mask:0xf
	v_cndmask_b32_e64 v6, 0, v6, s[2:3]
	v_add_u32_e32 v5, v5, v6
	;; [unrolled: 4-line block ×4, first 2 shown]
	ds_write_b32 v1, v5
.LBB1085_6:
	s_or_b64 exec, exec, s[12:13]
	v_cmp_lt_u32_e64 s[0:1], 63, v0
	v_mov_b32_e32 v0, 0
	s_waitcnt lgkmcnt(0)
	s_barrier
	s_and_saveexec_b64 s[2:3], s[0:1]
	s_cbranch_execz .LBB1085_8
; %bb.7:
	v_lshl_add_u32 v0, v4, 2, -4
	ds_read_b32 v0, v0
.LBB1085_8:
	s_or_b64 exec, exec, s[2:3]
	v_add_u32_e32 v4, -1, v2
	v_and_b32_e32 v5, 64, v2
	v_cmp_lt_i32_e64 s[0:1], v4, v5
	s_waitcnt lgkmcnt(0)
	v_add_u32_e32 v3, v0, v3
	v_cndmask_b32_e64 v4, v4, v2, s[0:1]
	v_lshlrev_b32_e32 v4, 2, v4
	ds_bpermute_b32 v3, v4, v3
	s_and_saveexec_b64 s[0:1], vcc
	s_cbranch_execz .LBB1085_10
; %bb.9:
	v_cmp_eq_u32_e32 vcc, 0, v2
	s_waitcnt lgkmcnt(0)
	s_nop 0
	v_cndmask_b32_e32 v0, v3, v0, vcc
	global_store_dword v1, v0, s[10:11]
.LBB1085_10:
	s_endpgm
	.section	.rodata,"a",@progbits
	.p2align	6, 0x0
	.amdhsa_kernel _ZN7rocprim17ROCPRIM_400000_NS6detail17trampoline_kernelINS0_14default_configENS1_35radix_sort_onesweep_config_selectorIjNS0_10empty_typeEEEZNS1_34radix_sort_onesweep_global_offsetsIS3_Lb0EN6thrust23THRUST_200600_302600_NS6detail15normal_iteratorINS9_10device_ptrIjEEEEPS5_jNS0_19identity_decomposerEEE10hipError_tT1_T2_PT3_SK_jT4_jjP12ihipStream_tbEUlT_E0_NS1_11comp_targetILNS1_3genE5ELNS1_11target_archE942ELNS1_3gpuE9ELNS1_3repE0EEENS1_52radix_sort_onesweep_histogram_config_static_selectorELNS0_4arch9wavefront6targetE1EEEvSI_
		.amdhsa_group_segment_fixed_size 64
		.amdhsa_private_segment_fixed_size 0
		.amdhsa_kernarg_size 8
		.amdhsa_user_sgpr_count 2
		.amdhsa_user_sgpr_dispatch_ptr 0
		.amdhsa_user_sgpr_queue_ptr 0
		.amdhsa_user_sgpr_kernarg_segment_ptr 1
		.amdhsa_user_sgpr_dispatch_id 0
		.amdhsa_user_sgpr_kernarg_preload_length 0
		.amdhsa_user_sgpr_kernarg_preload_offset 0
		.amdhsa_user_sgpr_private_segment_size 0
		.amdhsa_uses_dynamic_stack 0
		.amdhsa_enable_private_segment 0
		.amdhsa_system_sgpr_workgroup_id_x 1
		.amdhsa_system_sgpr_workgroup_id_y 0
		.amdhsa_system_sgpr_workgroup_id_z 0
		.amdhsa_system_sgpr_workgroup_info 0
		.amdhsa_system_vgpr_workitem_id 0
		.amdhsa_next_free_vgpr 7
		.amdhsa_next_free_sgpr 14
		.amdhsa_accum_offset 8
		.amdhsa_reserve_vcc 1
		.amdhsa_float_round_mode_32 0
		.amdhsa_float_round_mode_16_64 0
		.amdhsa_float_denorm_mode_32 3
		.amdhsa_float_denorm_mode_16_64 3
		.amdhsa_dx10_clamp 1
		.amdhsa_ieee_mode 1
		.amdhsa_fp16_overflow 0
		.amdhsa_tg_split 0
		.amdhsa_exception_fp_ieee_invalid_op 0
		.amdhsa_exception_fp_denorm_src 0
		.amdhsa_exception_fp_ieee_div_zero 0
		.amdhsa_exception_fp_ieee_overflow 0
		.amdhsa_exception_fp_ieee_underflow 0
		.amdhsa_exception_fp_ieee_inexact 0
		.amdhsa_exception_int_div_zero 0
	.end_amdhsa_kernel
	.section	.text._ZN7rocprim17ROCPRIM_400000_NS6detail17trampoline_kernelINS0_14default_configENS1_35radix_sort_onesweep_config_selectorIjNS0_10empty_typeEEEZNS1_34radix_sort_onesweep_global_offsetsIS3_Lb0EN6thrust23THRUST_200600_302600_NS6detail15normal_iteratorINS9_10device_ptrIjEEEEPS5_jNS0_19identity_decomposerEEE10hipError_tT1_T2_PT3_SK_jT4_jjP12ihipStream_tbEUlT_E0_NS1_11comp_targetILNS1_3genE5ELNS1_11target_archE942ELNS1_3gpuE9ELNS1_3repE0EEENS1_52radix_sort_onesweep_histogram_config_static_selectorELNS0_4arch9wavefront6targetE1EEEvSI_,"axG",@progbits,_ZN7rocprim17ROCPRIM_400000_NS6detail17trampoline_kernelINS0_14default_configENS1_35radix_sort_onesweep_config_selectorIjNS0_10empty_typeEEEZNS1_34radix_sort_onesweep_global_offsetsIS3_Lb0EN6thrust23THRUST_200600_302600_NS6detail15normal_iteratorINS9_10device_ptrIjEEEEPS5_jNS0_19identity_decomposerEEE10hipError_tT1_T2_PT3_SK_jT4_jjP12ihipStream_tbEUlT_E0_NS1_11comp_targetILNS1_3genE5ELNS1_11target_archE942ELNS1_3gpuE9ELNS1_3repE0EEENS1_52radix_sort_onesweep_histogram_config_static_selectorELNS0_4arch9wavefront6targetE1EEEvSI_,comdat
.Lfunc_end1085:
	.size	_ZN7rocprim17ROCPRIM_400000_NS6detail17trampoline_kernelINS0_14default_configENS1_35radix_sort_onesweep_config_selectorIjNS0_10empty_typeEEEZNS1_34radix_sort_onesweep_global_offsetsIS3_Lb0EN6thrust23THRUST_200600_302600_NS6detail15normal_iteratorINS9_10device_ptrIjEEEEPS5_jNS0_19identity_decomposerEEE10hipError_tT1_T2_PT3_SK_jT4_jjP12ihipStream_tbEUlT_E0_NS1_11comp_targetILNS1_3genE5ELNS1_11target_archE942ELNS1_3gpuE9ELNS1_3repE0EEENS1_52radix_sort_onesweep_histogram_config_static_selectorELNS0_4arch9wavefront6targetE1EEEvSI_, .Lfunc_end1085-_ZN7rocprim17ROCPRIM_400000_NS6detail17trampoline_kernelINS0_14default_configENS1_35radix_sort_onesweep_config_selectorIjNS0_10empty_typeEEEZNS1_34radix_sort_onesweep_global_offsetsIS3_Lb0EN6thrust23THRUST_200600_302600_NS6detail15normal_iteratorINS9_10device_ptrIjEEEEPS5_jNS0_19identity_decomposerEEE10hipError_tT1_T2_PT3_SK_jT4_jjP12ihipStream_tbEUlT_E0_NS1_11comp_targetILNS1_3genE5ELNS1_11target_archE942ELNS1_3gpuE9ELNS1_3repE0EEENS1_52radix_sort_onesweep_histogram_config_static_selectorELNS0_4arch9wavefront6targetE1EEEvSI_
                                        ; -- End function
	.section	.AMDGPU.csdata,"",@progbits
; Kernel info:
; codeLenInByte = 580
; NumSgprs: 20
; NumVgprs: 7
; NumAgprs: 0
; TotalNumVgprs: 7
; ScratchSize: 0
; MemoryBound: 0
; FloatMode: 240
; IeeeMode: 1
; LDSByteSize: 64 bytes/workgroup (compile time only)
; SGPRBlocks: 2
; VGPRBlocks: 0
; NumSGPRsForWavesPerEU: 20
; NumVGPRsForWavesPerEU: 7
; AccumOffset: 8
; Occupancy: 8
; WaveLimiterHint : 0
; COMPUTE_PGM_RSRC2:SCRATCH_EN: 0
; COMPUTE_PGM_RSRC2:USER_SGPR: 2
; COMPUTE_PGM_RSRC2:TRAP_HANDLER: 0
; COMPUTE_PGM_RSRC2:TGID_X_EN: 1
; COMPUTE_PGM_RSRC2:TGID_Y_EN: 0
; COMPUTE_PGM_RSRC2:TGID_Z_EN: 0
; COMPUTE_PGM_RSRC2:TIDIG_COMP_CNT: 0
; COMPUTE_PGM_RSRC3_GFX90A:ACCUM_OFFSET: 1
; COMPUTE_PGM_RSRC3_GFX90A:TG_SPLIT: 0
	.section	.text._ZN7rocprim17ROCPRIM_400000_NS6detail17trampoline_kernelINS0_14default_configENS1_35radix_sort_onesweep_config_selectorIjNS0_10empty_typeEEEZNS1_34radix_sort_onesweep_global_offsetsIS3_Lb0EN6thrust23THRUST_200600_302600_NS6detail15normal_iteratorINS9_10device_ptrIjEEEEPS5_jNS0_19identity_decomposerEEE10hipError_tT1_T2_PT3_SK_jT4_jjP12ihipStream_tbEUlT_E0_NS1_11comp_targetILNS1_3genE2ELNS1_11target_archE906ELNS1_3gpuE6ELNS1_3repE0EEENS1_52radix_sort_onesweep_histogram_config_static_selectorELNS0_4arch9wavefront6targetE1EEEvSI_,"axG",@progbits,_ZN7rocprim17ROCPRIM_400000_NS6detail17trampoline_kernelINS0_14default_configENS1_35radix_sort_onesweep_config_selectorIjNS0_10empty_typeEEEZNS1_34radix_sort_onesweep_global_offsetsIS3_Lb0EN6thrust23THRUST_200600_302600_NS6detail15normal_iteratorINS9_10device_ptrIjEEEEPS5_jNS0_19identity_decomposerEEE10hipError_tT1_T2_PT3_SK_jT4_jjP12ihipStream_tbEUlT_E0_NS1_11comp_targetILNS1_3genE2ELNS1_11target_archE906ELNS1_3gpuE6ELNS1_3repE0EEENS1_52radix_sort_onesweep_histogram_config_static_selectorELNS0_4arch9wavefront6targetE1EEEvSI_,comdat
	.protected	_ZN7rocprim17ROCPRIM_400000_NS6detail17trampoline_kernelINS0_14default_configENS1_35radix_sort_onesweep_config_selectorIjNS0_10empty_typeEEEZNS1_34radix_sort_onesweep_global_offsetsIS3_Lb0EN6thrust23THRUST_200600_302600_NS6detail15normal_iteratorINS9_10device_ptrIjEEEEPS5_jNS0_19identity_decomposerEEE10hipError_tT1_T2_PT3_SK_jT4_jjP12ihipStream_tbEUlT_E0_NS1_11comp_targetILNS1_3genE2ELNS1_11target_archE906ELNS1_3gpuE6ELNS1_3repE0EEENS1_52radix_sort_onesweep_histogram_config_static_selectorELNS0_4arch9wavefront6targetE1EEEvSI_ ; -- Begin function _ZN7rocprim17ROCPRIM_400000_NS6detail17trampoline_kernelINS0_14default_configENS1_35radix_sort_onesweep_config_selectorIjNS0_10empty_typeEEEZNS1_34radix_sort_onesweep_global_offsetsIS3_Lb0EN6thrust23THRUST_200600_302600_NS6detail15normal_iteratorINS9_10device_ptrIjEEEEPS5_jNS0_19identity_decomposerEEE10hipError_tT1_T2_PT3_SK_jT4_jjP12ihipStream_tbEUlT_E0_NS1_11comp_targetILNS1_3genE2ELNS1_11target_archE906ELNS1_3gpuE6ELNS1_3repE0EEENS1_52radix_sort_onesweep_histogram_config_static_selectorELNS0_4arch9wavefront6targetE1EEEvSI_
	.globl	_ZN7rocprim17ROCPRIM_400000_NS6detail17trampoline_kernelINS0_14default_configENS1_35radix_sort_onesweep_config_selectorIjNS0_10empty_typeEEEZNS1_34radix_sort_onesweep_global_offsetsIS3_Lb0EN6thrust23THRUST_200600_302600_NS6detail15normal_iteratorINS9_10device_ptrIjEEEEPS5_jNS0_19identity_decomposerEEE10hipError_tT1_T2_PT3_SK_jT4_jjP12ihipStream_tbEUlT_E0_NS1_11comp_targetILNS1_3genE2ELNS1_11target_archE906ELNS1_3gpuE6ELNS1_3repE0EEENS1_52radix_sort_onesweep_histogram_config_static_selectorELNS0_4arch9wavefront6targetE1EEEvSI_
	.p2align	8
	.type	_ZN7rocprim17ROCPRIM_400000_NS6detail17trampoline_kernelINS0_14default_configENS1_35radix_sort_onesweep_config_selectorIjNS0_10empty_typeEEEZNS1_34radix_sort_onesweep_global_offsetsIS3_Lb0EN6thrust23THRUST_200600_302600_NS6detail15normal_iteratorINS9_10device_ptrIjEEEEPS5_jNS0_19identity_decomposerEEE10hipError_tT1_T2_PT3_SK_jT4_jjP12ihipStream_tbEUlT_E0_NS1_11comp_targetILNS1_3genE2ELNS1_11target_archE906ELNS1_3gpuE6ELNS1_3repE0EEENS1_52radix_sort_onesweep_histogram_config_static_selectorELNS0_4arch9wavefront6targetE1EEEvSI_,@function
_ZN7rocprim17ROCPRIM_400000_NS6detail17trampoline_kernelINS0_14default_configENS1_35radix_sort_onesweep_config_selectorIjNS0_10empty_typeEEEZNS1_34radix_sort_onesweep_global_offsetsIS3_Lb0EN6thrust23THRUST_200600_302600_NS6detail15normal_iteratorINS9_10device_ptrIjEEEEPS5_jNS0_19identity_decomposerEEE10hipError_tT1_T2_PT3_SK_jT4_jjP12ihipStream_tbEUlT_E0_NS1_11comp_targetILNS1_3genE2ELNS1_11target_archE906ELNS1_3gpuE6ELNS1_3repE0EEENS1_52radix_sort_onesweep_histogram_config_static_selectorELNS0_4arch9wavefront6targetE1EEEvSI_: ; @_ZN7rocprim17ROCPRIM_400000_NS6detail17trampoline_kernelINS0_14default_configENS1_35radix_sort_onesweep_config_selectorIjNS0_10empty_typeEEEZNS1_34radix_sort_onesweep_global_offsetsIS3_Lb0EN6thrust23THRUST_200600_302600_NS6detail15normal_iteratorINS9_10device_ptrIjEEEEPS5_jNS0_19identity_decomposerEEE10hipError_tT1_T2_PT3_SK_jT4_jjP12ihipStream_tbEUlT_E0_NS1_11comp_targetILNS1_3genE2ELNS1_11target_archE906ELNS1_3gpuE6ELNS1_3repE0EEENS1_52radix_sort_onesweep_histogram_config_static_selectorELNS0_4arch9wavefront6targetE1EEEvSI_
; %bb.0:
	.section	.rodata,"a",@progbits
	.p2align	6, 0x0
	.amdhsa_kernel _ZN7rocprim17ROCPRIM_400000_NS6detail17trampoline_kernelINS0_14default_configENS1_35radix_sort_onesweep_config_selectorIjNS0_10empty_typeEEEZNS1_34radix_sort_onesweep_global_offsetsIS3_Lb0EN6thrust23THRUST_200600_302600_NS6detail15normal_iteratorINS9_10device_ptrIjEEEEPS5_jNS0_19identity_decomposerEEE10hipError_tT1_T2_PT3_SK_jT4_jjP12ihipStream_tbEUlT_E0_NS1_11comp_targetILNS1_3genE2ELNS1_11target_archE906ELNS1_3gpuE6ELNS1_3repE0EEENS1_52radix_sort_onesweep_histogram_config_static_selectorELNS0_4arch9wavefront6targetE1EEEvSI_
		.amdhsa_group_segment_fixed_size 0
		.amdhsa_private_segment_fixed_size 0
		.amdhsa_kernarg_size 8
		.amdhsa_user_sgpr_count 2
		.amdhsa_user_sgpr_dispatch_ptr 0
		.amdhsa_user_sgpr_queue_ptr 0
		.amdhsa_user_sgpr_kernarg_segment_ptr 1
		.amdhsa_user_sgpr_dispatch_id 0
		.amdhsa_user_sgpr_kernarg_preload_length 0
		.amdhsa_user_sgpr_kernarg_preload_offset 0
		.amdhsa_user_sgpr_private_segment_size 0
		.amdhsa_uses_dynamic_stack 0
		.amdhsa_enable_private_segment 0
		.amdhsa_system_sgpr_workgroup_id_x 1
		.amdhsa_system_sgpr_workgroup_id_y 0
		.amdhsa_system_sgpr_workgroup_id_z 0
		.amdhsa_system_sgpr_workgroup_info 0
		.amdhsa_system_vgpr_workitem_id 0
		.amdhsa_next_free_vgpr 1
		.amdhsa_next_free_sgpr 0
		.amdhsa_accum_offset 4
		.amdhsa_reserve_vcc 0
		.amdhsa_float_round_mode_32 0
		.amdhsa_float_round_mode_16_64 0
		.amdhsa_float_denorm_mode_32 3
		.amdhsa_float_denorm_mode_16_64 3
		.amdhsa_dx10_clamp 1
		.amdhsa_ieee_mode 1
		.amdhsa_fp16_overflow 0
		.amdhsa_tg_split 0
		.amdhsa_exception_fp_ieee_invalid_op 0
		.amdhsa_exception_fp_denorm_src 0
		.amdhsa_exception_fp_ieee_div_zero 0
		.amdhsa_exception_fp_ieee_overflow 0
		.amdhsa_exception_fp_ieee_underflow 0
		.amdhsa_exception_fp_ieee_inexact 0
		.amdhsa_exception_int_div_zero 0
	.end_amdhsa_kernel
	.section	.text._ZN7rocprim17ROCPRIM_400000_NS6detail17trampoline_kernelINS0_14default_configENS1_35radix_sort_onesweep_config_selectorIjNS0_10empty_typeEEEZNS1_34radix_sort_onesweep_global_offsetsIS3_Lb0EN6thrust23THRUST_200600_302600_NS6detail15normal_iteratorINS9_10device_ptrIjEEEEPS5_jNS0_19identity_decomposerEEE10hipError_tT1_T2_PT3_SK_jT4_jjP12ihipStream_tbEUlT_E0_NS1_11comp_targetILNS1_3genE2ELNS1_11target_archE906ELNS1_3gpuE6ELNS1_3repE0EEENS1_52radix_sort_onesweep_histogram_config_static_selectorELNS0_4arch9wavefront6targetE1EEEvSI_,"axG",@progbits,_ZN7rocprim17ROCPRIM_400000_NS6detail17trampoline_kernelINS0_14default_configENS1_35radix_sort_onesweep_config_selectorIjNS0_10empty_typeEEEZNS1_34radix_sort_onesweep_global_offsetsIS3_Lb0EN6thrust23THRUST_200600_302600_NS6detail15normal_iteratorINS9_10device_ptrIjEEEEPS5_jNS0_19identity_decomposerEEE10hipError_tT1_T2_PT3_SK_jT4_jjP12ihipStream_tbEUlT_E0_NS1_11comp_targetILNS1_3genE2ELNS1_11target_archE906ELNS1_3gpuE6ELNS1_3repE0EEENS1_52radix_sort_onesweep_histogram_config_static_selectorELNS0_4arch9wavefront6targetE1EEEvSI_,comdat
.Lfunc_end1086:
	.size	_ZN7rocprim17ROCPRIM_400000_NS6detail17trampoline_kernelINS0_14default_configENS1_35radix_sort_onesweep_config_selectorIjNS0_10empty_typeEEEZNS1_34radix_sort_onesweep_global_offsetsIS3_Lb0EN6thrust23THRUST_200600_302600_NS6detail15normal_iteratorINS9_10device_ptrIjEEEEPS5_jNS0_19identity_decomposerEEE10hipError_tT1_T2_PT3_SK_jT4_jjP12ihipStream_tbEUlT_E0_NS1_11comp_targetILNS1_3genE2ELNS1_11target_archE906ELNS1_3gpuE6ELNS1_3repE0EEENS1_52radix_sort_onesweep_histogram_config_static_selectorELNS0_4arch9wavefront6targetE1EEEvSI_, .Lfunc_end1086-_ZN7rocprim17ROCPRIM_400000_NS6detail17trampoline_kernelINS0_14default_configENS1_35radix_sort_onesweep_config_selectorIjNS0_10empty_typeEEEZNS1_34radix_sort_onesweep_global_offsetsIS3_Lb0EN6thrust23THRUST_200600_302600_NS6detail15normal_iteratorINS9_10device_ptrIjEEEEPS5_jNS0_19identity_decomposerEEE10hipError_tT1_T2_PT3_SK_jT4_jjP12ihipStream_tbEUlT_E0_NS1_11comp_targetILNS1_3genE2ELNS1_11target_archE906ELNS1_3gpuE6ELNS1_3repE0EEENS1_52radix_sort_onesweep_histogram_config_static_selectorELNS0_4arch9wavefront6targetE1EEEvSI_
                                        ; -- End function
	.section	.AMDGPU.csdata,"",@progbits
; Kernel info:
; codeLenInByte = 0
; NumSgprs: 6
; NumVgprs: 0
; NumAgprs: 0
; TotalNumVgprs: 0
; ScratchSize: 0
; MemoryBound: 0
; FloatMode: 240
; IeeeMode: 1
; LDSByteSize: 0 bytes/workgroup (compile time only)
; SGPRBlocks: 0
; VGPRBlocks: 0
; NumSGPRsForWavesPerEU: 6
; NumVGPRsForWavesPerEU: 1
; AccumOffset: 4
; Occupancy: 8
; WaveLimiterHint : 0
; COMPUTE_PGM_RSRC2:SCRATCH_EN: 0
; COMPUTE_PGM_RSRC2:USER_SGPR: 2
; COMPUTE_PGM_RSRC2:TRAP_HANDLER: 0
; COMPUTE_PGM_RSRC2:TGID_X_EN: 1
; COMPUTE_PGM_RSRC2:TGID_Y_EN: 0
; COMPUTE_PGM_RSRC2:TGID_Z_EN: 0
; COMPUTE_PGM_RSRC2:TIDIG_COMP_CNT: 0
; COMPUTE_PGM_RSRC3_GFX90A:ACCUM_OFFSET: 0
; COMPUTE_PGM_RSRC3_GFX90A:TG_SPLIT: 0
	.section	.text._ZN7rocprim17ROCPRIM_400000_NS6detail17trampoline_kernelINS0_14default_configENS1_35radix_sort_onesweep_config_selectorIjNS0_10empty_typeEEEZNS1_34radix_sort_onesweep_global_offsetsIS3_Lb0EN6thrust23THRUST_200600_302600_NS6detail15normal_iteratorINS9_10device_ptrIjEEEEPS5_jNS0_19identity_decomposerEEE10hipError_tT1_T2_PT3_SK_jT4_jjP12ihipStream_tbEUlT_E0_NS1_11comp_targetILNS1_3genE4ELNS1_11target_archE910ELNS1_3gpuE8ELNS1_3repE0EEENS1_52radix_sort_onesweep_histogram_config_static_selectorELNS0_4arch9wavefront6targetE1EEEvSI_,"axG",@progbits,_ZN7rocprim17ROCPRIM_400000_NS6detail17trampoline_kernelINS0_14default_configENS1_35radix_sort_onesweep_config_selectorIjNS0_10empty_typeEEEZNS1_34radix_sort_onesweep_global_offsetsIS3_Lb0EN6thrust23THRUST_200600_302600_NS6detail15normal_iteratorINS9_10device_ptrIjEEEEPS5_jNS0_19identity_decomposerEEE10hipError_tT1_T2_PT3_SK_jT4_jjP12ihipStream_tbEUlT_E0_NS1_11comp_targetILNS1_3genE4ELNS1_11target_archE910ELNS1_3gpuE8ELNS1_3repE0EEENS1_52radix_sort_onesweep_histogram_config_static_selectorELNS0_4arch9wavefront6targetE1EEEvSI_,comdat
	.protected	_ZN7rocprim17ROCPRIM_400000_NS6detail17trampoline_kernelINS0_14default_configENS1_35radix_sort_onesweep_config_selectorIjNS0_10empty_typeEEEZNS1_34radix_sort_onesweep_global_offsetsIS3_Lb0EN6thrust23THRUST_200600_302600_NS6detail15normal_iteratorINS9_10device_ptrIjEEEEPS5_jNS0_19identity_decomposerEEE10hipError_tT1_T2_PT3_SK_jT4_jjP12ihipStream_tbEUlT_E0_NS1_11comp_targetILNS1_3genE4ELNS1_11target_archE910ELNS1_3gpuE8ELNS1_3repE0EEENS1_52radix_sort_onesweep_histogram_config_static_selectorELNS0_4arch9wavefront6targetE1EEEvSI_ ; -- Begin function _ZN7rocprim17ROCPRIM_400000_NS6detail17trampoline_kernelINS0_14default_configENS1_35radix_sort_onesweep_config_selectorIjNS0_10empty_typeEEEZNS1_34radix_sort_onesweep_global_offsetsIS3_Lb0EN6thrust23THRUST_200600_302600_NS6detail15normal_iteratorINS9_10device_ptrIjEEEEPS5_jNS0_19identity_decomposerEEE10hipError_tT1_T2_PT3_SK_jT4_jjP12ihipStream_tbEUlT_E0_NS1_11comp_targetILNS1_3genE4ELNS1_11target_archE910ELNS1_3gpuE8ELNS1_3repE0EEENS1_52radix_sort_onesweep_histogram_config_static_selectorELNS0_4arch9wavefront6targetE1EEEvSI_
	.globl	_ZN7rocprim17ROCPRIM_400000_NS6detail17trampoline_kernelINS0_14default_configENS1_35radix_sort_onesweep_config_selectorIjNS0_10empty_typeEEEZNS1_34radix_sort_onesweep_global_offsetsIS3_Lb0EN6thrust23THRUST_200600_302600_NS6detail15normal_iteratorINS9_10device_ptrIjEEEEPS5_jNS0_19identity_decomposerEEE10hipError_tT1_T2_PT3_SK_jT4_jjP12ihipStream_tbEUlT_E0_NS1_11comp_targetILNS1_3genE4ELNS1_11target_archE910ELNS1_3gpuE8ELNS1_3repE0EEENS1_52radix_sort_onesweep_histogram_config_static_selectorELNS0_4arch9wavefront6targetE1EEEvSI_
	.p2align	8
	.type	_ZN7rocprim17ROCPRIM_400000_NS6detail17trampoline_kernelINS0_14default_configENS1_35radix_sort_onesweep_config_selectorIjNS0_10empty_typeEEEZNS1_34radix_sort_onesweep_global_offsetsIS3_Lb0EN6thrust23THRUST_200600_302600_NS6detail15normal_iteratorINS9_10device_ptrIjEEEEPS5_jNS0_19identity_decomposerEEE10hipError_tT1_T2_PT3_SK_jT4_jjP12ihipStream_tbEUlT_E0_NS1_11comp_targetILNS1_3genE4ELNS1_11target_archE910ELNS1_3gpuE8ELNS1_3repE0EEENS1_52radix_sort_onesweep_histogram_config_static_selectorELNS0_4arch9wavefront6targetE1EEEvSI_,@function
_ZN7rocprim17ROCPRIM_400000_NS6detail17trampoline_kernelINS0_14default_configENS1_35radix_sort_onesweep_config_selectorIjNS0_10empty_typeEEEZNS1_34radix_sort_onesweep_global_offsetsIS3_Lb0EN6thrust23THRUST_200600_302600_NS6detail15normal_iteratorINS9_10device_ptrIjEEEEPS5_jNS0_19identity_decomposerEEE10hipError_tT1_T2_PT3_SK_jT4_jjP12ihipStream_tbEUlT_E0_NS1_11comp_targetILNS1_3genE4ELNS1_11target_archE910ELNS1_3gpuE8ELNS1_3repE0EEENS1_52radix_sort_onesweep_histogram_config_static_selectorELNS0_4arch9wavefront6targetE1EEEvSI_: ; @_ZN7rocprim17ROCPRIM_400000_NS6detail17trampoline_kernelINS0_14default_configENS1_35radix_sort_onesweep_config_selectorIjNS0_10empty_typeEEEZNS1_34radix_sort_onesweep_global_offsetsIS3_Lb0EN6thrust23THRUST_200600_302600_NS6detail15normal_iteratorINS9_10device_ptrIjEEEEPS5_jNS0_19identity_decomposerEEE10hipError_tT1_T2_PT3_SK_jT4_jjP12ihipStream_tbEUlT_E0_NS1_11comp_targetILNS1_3genE4ELNS1_11target_archE910ELNS1_3gpuE8ELNS1_3repE0EEENS1_52radix_sort_onesweep_histogram_config_static_selectorELNS0_4arch9wavefront6targetE1EEEvSI_
; %bb.0:
	.section	.rodata,"a",@progbits
	.p2align	6, 0x0
	.amdhsa_kernel _ZN7rocprim17ROCPRIM_400000_NS6detail17trampoline_kernelINS0_14default_configENS1_35radix_sort_onesweep_config_selectorIjNS0_10empty_typeEEEZNS1_34radix_sort_onesweep_global_offsetsIS3_Lb0EN6thrust23THRUST_200600_302600_NS6detail15normal_iteratorINS9_10device_ptrIjEEEEPS5_jNS0_19identity_decomposerEEE10hipError_tT1_T2_PT3_SK_jT4_jjP12ihipStream_tbEUlT_E0_NS1_11comp_targetILNS1_3genE4ELNS1_11target_archE910ELNS1_3gpuE8ELNS1_3repE0EEENS1_52radix_sort_onesweep_histogram_config_static_selectorELNS0_4arch9wavefront6targetE1EEEvSI_
		.amdhsa_group_segment_fixed_size 0
		.amdhsa_private_segment_fixed_size 0
		.amdhsa_kernarg_size 8
		.amdhsa_user_sgpr_count 2
		.amdhsa_user_sgpr_dispatch_ptr 0
		.amdhsa_user_sgpr_queue_ptr 0
		.amdhsa_user_sgpr_kernarg_segment_ptr 1
		.amdhsa_user_sgpr_dispatch_id 0
		.amdhsa_user_sgpr_kernarg_preload_length 0
		.amdhsa_user_sgpr_kernarg_preload_offset 0
		.amdhsa_user_sgpr_private_segment_size 0
		.amdhsa_uses_dynamic_stack 0
		.amdhsa_enable_private_segment 0
		.amdhsa_system_sgpr_workgroup_id_x 1
		.amdhsa_system_sgpr_workgroup_id_y 0
		.amdhsa_system_sgpr_workgroup_id_z 0
		.amdhsa_system_sgpr_workgroup_info 0
		.amdhsa_system_vgpr_workitem_id 0
		.amdhsa_next_free_vgpr 1
		.amdhsa_next_free_sgpr 0
		.amdhsa_accum_offset 4
		.amdhsa_reserve_vcc 0
		.amdhsa_float_round_mode_32 0
		.amdhsa_float_round_mode_16_64 0
		.amdhsa_float_denorm_mode_32 3
		.amdhsa_float_denorm_mode_16_64 3
		.amdhsa_dx10_clamp 1
		.amdhsa_ieee_mode 1
		.amdhsa_fp16_overflow 0
		.amdhsa_tg_split 0
		.amdhsa_exception_fp_ieee_invalid_op 0
		.amdhsa_exception_fp_denorm_src 0
		.amdhsa_exception_fp_ieee_div_zero 0
		.amdhsa_exception_fp_ieee_overflow 0
		.amdhsa_exception_fp_ieee_underflow 0
		.amdhsa_exception_fp_ieee_inexact 0
		.amdhsa_exception_int_div_zero 0
	.end_amdhsa_kernel
	.section	.text._ZN7rocprim17ROCPRIM_400000_NS6detail17trampoline_kernelINS0_14default_configENS1_35radix_sort_onesweep_config_selectorIjNS0_10empty_typeEEEZNS1_34radix_sort_onesweep_global_offsetsIS3_Lb0EN6thrust23THRUST_200600_302600_NS6detail15normal_iteratorINS9_10device_ptrIjEEEEPS5_jNS0_19identity_decomposerEEE10hipError_tT1_T2_PT3_SK_jT4_jjP12ihipStream_tbEUlT_E0_NS1_11comp_targetILNS1_3genE4ELNS1_11target_archE910ELNS1_3gpuE8ELNS1_3repE0EEENS1_52radix_sort_onesweep_histogram_config_static_selectorELNS0_4arch9wavefront6targetE1EEEvSI_,"axG",@progbits,_ZN7rocprim17ROCPRIM_400000_NS6detail17trampoline_kernelINS0_14default_configENS1_35radix_sort_onesweep_config_selectorIjNS0_10empty_typeEEEZNS1_34radix_sort_onesweep_global_offsetsIS3_Lb0EN6thrust23THRUST_200600_302600_NS6detail15normal_iteratorINS9_10device_ptrIjEEEEPS5_jNS0_19identity_decomposerEEE10hipError_tT1_T2_PT3_SK_jT4_jjP12ihipStream_tbEUlT_E0_NS1_11comp_targetILNS1_3genE4ELNS1_11target_archE910ELNS1_3gpuE8ELNS1_3repE0EEENS1_52radix_sort_onesweep_histogram_config_static_selectorELNS0_4arch9wavefront6targetE1EEEvSI_,comdat
.Lfunc_end1087:
	.size	_ZN7rocprim17ROCPRIM_400000_NS6detail17trampoline_kernelINS0_14default_configENS1_35radix_sort_onesweep_config_selectorIjNS0_10empty_typeEEEZNS1_34radix_sort_onesweep_global_offsetsIS3_Lb0EN6thrust23THRUST_200600_302600_NS6detail15normal_iteratorINS9_10device_ptrIjEEEEPS5_jNS0_19identity_decomposerEEE10hipError_tT1_T2_PT3_SK_jT4_jjP12ihipStream_tbEUlT_E0_NS1_11comp_targetILNS1_3genE4ELNS1_11target_archE910ELNS1_3gpuE8ELNS1_3repE0EEENS1_52radix_sort_onesweep_histogram_config_static_selectorELNS0_4arch9wavefront6targetE1EEEvSI_, .Lfunc_end1087-_ZN7rocprim17ROCPRIM_400000_NS6detail17trampoline_kernelINS0_14default_configENS1_35radix_sort_onesweep_config_selectorIjNS0_10empty_typeEEEZNS1_34radix_sort_onesweep_global_offsetsIS3_Lb0EN6thrust23THRUST_200600_302600_NS6detail15normal_iteratorINS9_10device_ptrIjEEEEPS5_jNS0_19identity_decomposerEEE10hipError_tT1_T2_PT3_SK_jT4_jjP12ihipStream_tbEUlT_E0_NS1_11comp_targetILNS1_3genE4ELNS1_11target_archE910ELNS1_3gpuE8ELNS1_3repE0EEENS1_52radix_sort_onesweep_histogram_config_static_selectorELNS0_4arch9wavefront6targetE1EEEvSI_
                                        ; -- End function
	.section	.AMDGPU.csdata,"",@progbits
; Kernel info:
; codeLenInByte = 0
; NumSgprs: 6
; NumVgprs: 0
; NumAgprs: 0
; TotalNumVgprs: 0
; ScratchSize: 0
; MemoryBound: 0
; FloatMode: 240
; IeeeMode: 1
; LDSByteSize: 0 bytes/workgroup (compile time only)
; SGPRBlocks: 0
; VGPRBlocks: 0
; NumSGPRsForWavesPerEU: 6
; NumVGPRsForWavesPerEU: 1
; AccumOffset: 4
; Occupancy: 8
; WaveLimiterHint : 0
; COMPUTE_PGM_RSRC2:SCRATCH_EN: 0
; COMPUTE_PGM_RSRC2:USER_SGPR: 2
; COMPUTE_PGM_RSRC2:TRAP_HANDLER: 0
; COMPUTE_PGM_RSRC2:TGID_X_EN: 1
; COMPUTE_PGM_RSRC2:TGID_Y_EN: 0
; COMPUTE_PGM_RSRC2:TGID_Z_EN: 0
; COMPUTE_PGM_RSRC2:TIDIG_COMP_CNT: 0
; COMPUTE_PGM_RSRC3_GFX90A:ACCUM_OFFSET: 0
; COMPUTE_PGM_RSRC3_GFX90A:TG_SPLIT: 0
	.section	.text._ZN7rocprim17ROCPRIM_400000_NS6detail17trampoline_kernelINS0_14default_configENS1_35radix_sort_onesweep_config_selectorIjNS0_10empty_typeEEEZNS1_34radix_sort_onesweep_global_offsetsIS3_Lb0EN6thrust23THRUST_200600_302600_NS6detail15normal_iteratorINS9_10device_ptrIjEEEEPS5_jNS0_19identity_decomposerEEE10hipError_tT1_T2_PT3_SK_jT4_jjP12ihipStream_tbEUlT_E0_NS1_11comp_targetILNS1_3genE3ELNS1_11target_archE908ELNS1_3gpuE7ELNS1_3repE0EEENS1_52radix_sort_onesweep_histogram_config_static_selectorELNS0_4arch9wavefront6targetE1EEEvSI_,"axG",@progbits,_ZN7rocprim17ROCPRIM_400000_NS6detail17trampoline_kernelINS0_14default_configENS1_35radix_sort_onesweep_config_selectorIjNS0_10empty_typeEEEZNS1_34radix_sort_onesweep_global_offsetsIS3_Lb0EN6thrust23THRUST_200600_302600_NS6detail15normal_iteratorINS9_10device_ptrIjEEEEPS5_jNS0_19identity_decomposerEEE10hipError_tT1_T2_PT3_SK_jT4_jjP12ihipStream_tbEUlT_E0_NS1_11comp_targetILNS1_3genE3ELNS1_11target_archE908ELNS1_3gpuE7ELNS1_3repE0EEENS1_52radix_sort_onesweep_histogram_config_static_selectorELNS0_4arch9wavefront6targetE1EEEvSI_,comdat
	.protected	_ZN7rocprim17ROCPRIM_400000_NS6detail17trampoline_kernelINS0_14default_configENS1_35radix_sort_onesweep_config_selectorIjNS0_10empty_typeEEEZNS1_34radix_sort_onesweep_global_offsetsIS3_Lb0EN6thrust23THRUST_200600_302600_NS6detail15normal_iteratorINS9_10device_ptrIjEEEEPS5_jNS0_19identity_decomposerEEE10hipError_tT1_T2_PT3_SK_jT4_jjP12ihipStream_tbEUlT_E0_NS1_11comp_targetILNS1_3genE3ELNS1_11target_archE908ELNS1_3gpuE7ELNS1_3repE0EEENS1_52radix_sort_onesweep_histogram_config_static_selectorELNS0_4arch9wavefront6targetE1EEEvSI_ ; -- Begin function _ZN7rocprim17ROCPRIM_400000_NS6detail17trampoline_kernelINS0_14default_configENS1_35radix_sort_onesweep_config_selectorIjNS0_10empty_typeEEEZNS1_34radix_sort_onesweep_global_offsetsIS3_Lb0EN6thrust23THRUST_200600_302600_NS6detail15normal_iteratorINS9_10device_ptrIjEEEEPS5_jNS0_19identity_decomposerEEE10hipError_tT1_T2_PT3_SK_jT4_jjP12ihipStream_tbEUlT_E0_NS1_11comp_targetILNS1_3genE3ELNS1_11target_archE908ELNS1_3gpuE7ELNS1_3repE0EEENS1_52radix_sort_onesweep_histogram_config_static_selectorELNS0_4arch9wavefront6targetE1EEEvSI_
	.globl	_ZN7rocprim17ROCPRIM_400000_NS6detail17trampoline_kernelINS0_14default_configENS1_35radix_sort_onesweep_config_selectorIjNS0_10empty_typeEEEZNS1_34radix_sort_onesweep_global_offsetsIS3_Lb0EN6thrust23THRUST_200600_302600_NS6detail15normal_iteratorINS9_10device_ptrIjEEEEPS5_jNS0_19identity_decomposerEEE10hipError_tT1_T2_PT3_SK_jT4_jjP12ihipStream_tbEUlT_E0_NS1_11comp_targetILNS1_3genE3ELNS1_11target_archE908ELNS1_3gpuE7ELNS1_3repE0EEENS1_52radix_sort_onesweep_histogram_config_static_selectorELNS0_4arch9wavefront6targetE1EEEvSI_
	.p2align	8
	.type	_ZN7rocprim17ROCPRIM_400000_NS6detail17trampoline_kernelINS0_14default_configENS1_35radix_sort_onesweep_config_selectorIjNS0_10empty_typeEEEZNS1_34radix_sort_onesweep_global_offsetsIS3_Lb0EN6thrust23THRUST_200600_302600_NS6detail15normal_iteratorINS9_10device_ptrIjEEEEPS5_jNS0_19identity_decomposerEEE10hipError_tT1_T2_PT3_SK_jT4_jjP12ihipStream_tbEUlT_E0_NS1_11comp_targetILNS1_3genE3ELNS1_11target_archE908ELNS1_3gpuE7ELNS1_3repE0EEENS1_52radix_sort_onesweep_histogram_config_static_selectorELNS0_4arch9wavefront6targetE1EEEvSI_,@function
_ZN7rocprim17ROCPRIM_400000_NS6detail17trampoline_kernelINS0_14default_configENS1_35radix_sort_onesweep_config_selectorIjNS0_10empty_typeEEEZNS1_34radix_sort_onesweep_global_offsetsIS3_Lb0EN6thrust23THRUST_200600_302600_NS6detail15normal_iteratorINS9_10device_ptrIjEEEEPS5_jNS0_19identity_decomposerEEE10hipError_tT1_T2_PT3_SK_jT4_jjP12ihipStream_tbEUlT_E0_NS1_11comp_targetILNS1_3genE3ELNS1_11target_archE908ELNS1_3gpuE7ELNS1_3repE0EEENS1_52radix_sort_onesweep_histogram_config_static_selectorELNS0_4arch9wavefront6targetE1EEEvSI_: ; @_ZN7rocprim17ROCPRIM_400000_NS6detail17trampoline_kernelINS0_14default_configENS1_35radix_sort_onesweep_config_selectorIjNS0_10empty_typeEEEZNS1_34radix_sort_onesweep_global_offsetsIS3_Lb0EN6thrust23THRUST_200600_302600_NS6detail15normal_iteratorINS9_10device_ptrIjEEEEPS5_jNS0_19identity_decomposerEEE10hipError_tT1_T2_PT3_SK_jT4_jjP12ihipStream_tbEUlT_E0_NS1_11comp_targetILNS1_3genE3ELNS1_11target_archE908ELNS1_3gpuE7ELNS1_3repE0EEENS1_52radix_sort_onesweep_histogram_config_static_selectorELNS0_4arch9wavefront6targetE1EEEvSI_
; %bb.0:
	.section	.rodata,"a",@progbits
	.p2align	6, 0x0
	.amdhsa_kernel _ZN7rocprim17ROCPRIM_400000_NS6detail17trampoline_kernelINS0_14default_configENS1_35radix_sort_onesweep_config_selectorIjNS0_10empty_typeEEEZNS1_34radix_sort_onesweep_global_offsetsIS3_Lb0EN6thrust23THRUST_200600_302600_NS6detail15normal_iteratorINS9_10device_ptrIjEEEEPS5_jNS0_19identity_decomposerEEE10hipError_tT1_T2_PT3_SK_jT4_jjP12ihipStream_tbEUlT_E0_NS1_11comp_targetILNS1_3genE3ELNS1_11target_archE908ELNS1_3gpuE7ELNS1_3repE0EEENS1_52radix_sort_onesweep_histogram_config_static_selectorELNS0_4arch9wavefront6targetE1EEEvSI_
		.amdhsa_group_segment_fixed_size 0
		.amdhsa_private_segment_fixed_size 0
		.amdhsa_kernarg_size 8
		.amdhsa_user_sgpr_count 2
		.amdhsa_user_sgpr_dispatch_ptr 0
		.amdhsa_user_sgpr_queue_ptr 0
		.amdhsa_user_sgpr_kernarg_segment_ptr 1
		.amdhsa_user_sgpr_dispatch_id 0
		.amdhsa_user_sgpr_kernarg_preload_length 0
		.amdhsa_user_sgpr_kernarg_preload_offset 0
		.amdhsa_user_sgpr_private_segment_size 0
		.amdhsa_uses_dynamic_stack 0
		.amdhsa_enable_private_segment 0
		.amdhsa_system_sgpr_workgroup_id_x 1
		.amdhsa_system_sgpr_workgroup_id_y 0
		.amdhsa_system_sgpr_workgroup_id_z 0
		.amdhsa_system_sgpr_workgroup_info 0
		.amdhsa_system_vgpr_workitem_id 0
		.amdhsa_next_free_vgpr 1
		.amdhsa_next_free_sgpr 0
		.amdhsa_accum_offset 4
		.amdhsa_reserve_vcc 0
		.amdhsa_float_round_mode_32 0
		.amdhsa_float_round_mode_16_64 0
		.amdhsa_float_denorm_mode_32 3
		.amdhsa_float_denorm_mode_16_64 3
		.amdhsa_dx10_clamp 1
		.amdhsa_ieee_mode 1
		.amdhsa_fp16_overflow 0
		.amdhsa_tg_split 0
		.amdhsa_exception_fp_ieee_invalid_op 0
		.amdhsa_exception_fp_denorm_src 0
		.amdhsa_exception_fp_ieee_div_zero 0
		.amdhsa_exception_fp_ieee_overflow 0
		.amdhsa_exception_fp_ieee_underflow 0
		.amdhsa_exception_fp_ieee_inexact 0
		.amdhsa_exception_int_div_zero 0
	.end_amdhsa_kernel
	.section	.text._ZN7rocprim17ROCPRIM_400000_NS6detail17trampoline_kernelINS0_14default_configENS1_35radix_sort_onesweep_config_selectorIjNS0_10empty_typeEEEZNS1_34radix_sort_onesweep_global_offsetsIS3_Lb0EN6thrust23THRUST_200600_302600_NS6detail15normal_iteratorINS9_10device_ptrIjEEEEPS5_jNS0_19identity_decomposerEEE10hipError_tT1_T2_PT3_SK_jT4_jjP12ihipStream_tbEUlT_E0_NS1_11comp_targetILNS1_3genE3ELNS1_11target_archE908ELNS1_3gpuE7ELNS1_3repE0EEENS1_52radix_sort_onesweep_histogram_config_static_selectorELNS0_4arch9wavefront6targetE1EEEvSI_,"axG",@progbits,_ZN7rocprim17ROCPRIM_400000_NS6detail17trampoline_kernelINS0_14default_configENS1_35radix_sort_onesweep_config_selectorIjNS0_10empty_typeEEEZNS1_34radix_sort_onesweep_global_offsetsIS3_Lb0EN6thrust23THRUST_200600_302600_NS6detail15normal_iteratorINS9_10device_ptrIjEEEEPS5_jNS0_19identity_decomposerEEE10hipError_tT1_T2_PT3_SK_jT4_jjP12ihipStream_tbEUlT_E0_NS1_11comp_targetILNS1_3genE3ELNS1_11target_archE908ELNS1_3gpuE7ELNS1_3repE0EEENS1_52radix_sort_onesweep_histogram_config_static_selectorELNS0_4arch9wavefront6targetE1EEEvSI_,comdat
.Lfunc_end1088:
	.size	_ZN7rocprim17ROCPRIM_400000_NS6detail17trampoline_kernelINS0_14default_configENS1_35radix_sort_onesweep_config_selectorIjNS0_10empty_typeEEEZNS1_34radix_sort_onesweep_global_offsetsIS3_Lb0EN6thrust23THRUST_200600_302600_NS6detail15normal_iteratorINS9_10device_ptrIjEEEEPS5_jNS0_19identity_decomposerEEE10hipError_tT1_T2_PT3_SK_jT4_jjP12ihipStream_tbEUlT_E0_NS1_11comp_targetILNS1_3genE3ELNS1_11target_archE908ELNS1_3gpuE7ELNS1_3repE0EEENS1_52radix_sort_onesweep_histogram_config_static_selectorELNS0_4arch9wavefront6targetE1EEEvSI_, .Lfunc_end1088-_ZN7rocprim17ROCPRIM_400000_NS6detail17trampoline_kernelINS0_14default_configENS1_35radix_sort_onesweep_config_selectorIjNS0_10empty_typeEEEZNS1_34radix_sort_onesweep_global_offsetsIS3_Lb0EN6thrust23THRUST_200600_302600_NS6detail15normal_iteratorINS9_10device_ptrIjEEEEPS5_jNS0_19identity_decomposerEEE10hipError_tT1_T2_PT3_SK_jT4_jjP12ihipStream_tbEUlT_E0_NS1_11comp_targetILNS1_3genE3ELNS1_11target_archE908ELNS1_3gpuE7ELNS1_3repE0EEENS1_52radix_sort_onesweep_histogram_config_static_selectorELNS0_4arch9wavefront6targetE1EEEvSI_
                                        ; -- End function
	.section	.AMDGPU.csdata,"",@progbits
; Kernel info:
; codeLenInByte = 0
; NumSgprs: 6
; NumVgprs: 0
; NumAgprs: 0
; TotalNumVgprs: 0
; ScratchSize: 0
; MemoryBound: 0
; FloatMode: 240
; IeeeMode: 1
; LDSByteSize: 0 bytes/workgroup (compile time only)
; SGPRBlocks: 0
; VGPRBlocks: 0
; NumSGPRsForWavesPerEU: 6
; NumVGPRsForWavesPerEU: 1
; AccumOffset: 4
; Occupancy: 8
; WaveLimiterHint : 0
; COMPUTE_PGM_RSRC2:SCRATCH_EN: 0
; COMPUTE_PGM_RSRC2:USER_SGPR: 2
; COMPUTE_PGM_RSRC2:TRAP_HANDLER: 0
; COMPUTE_PGM_RSRC2:TGID_X_EN: 1
; COMPUTE_PGM_RSRC2:TGID_Y_EN: 0
; COMPUTE_PGM_RSRC2:TGID_Z_EN: 0
; COMPUTE_PGM_RSRC2:TIDIG_COMP_CNT: 0
; COMPUTE_PGM_RSRC3_GFX90A:ACCUM_OFFSET: 0
; COMPUTE_PGM_RSRC3_GFX90A:TG_SPLIT: 0
	.section	.text._ZN7rocprim17ROCPRIM_400000_NS6detail17trampoline_kernelINS0_14default_configENS1_35radix_sort_onesweep_config_selectorIjNS0_10empty_typeEEEZNS1_34radix_sort_onesweep_global_offsetsIS3_Lb0EN6thrust23THRUST_200600_302600_NS6detail15normal_iteratorINS9_10device_ptrIjEEEEPS5_jNS0_19identity_decomposerEEE10hipError_tT1_T2_PT3_SK_jT4_jjP12ihipStream_tbEUlT_E0_NS1_11comp_targetILNS1_3genE10ELNS1_11target_archE1201ELNS1_3gpuE5ELNS1_3repE0EEENS1_52radix_sort_onesweep_histogram_config_static_selectorELNS0_4arch9wavefront6targetE1EEEvSI_,"axG",@progbits,_ZN7rocprim17ROCPRIM_400000_NS6detail17trampoline_kernelINS0_14default_configENS1_35radix_sort_onesweep_config_selectorIjNS0_10empty_typeEEEZNS1_34radix_sort_onesweep_global_offsetsIS3_Lb0EN6thrust23THRUST_200600_302600_NS6detail15normal_iteratorINS9_10device_ptrIjEEEEPS5_jNS0_19identity_decomposerEEE10hipError_tT1_T2_PT3_SK_jT4_jjP12ihipStream_tbEUlT_E0_NS1_11comp_targetILNS1_3genE10ELNS1_11target_archE1201ELNS1_3gpuE5ELNS1_3repE0EEENS1_52radix_sort_onesweep_histogram_config_static_selectorELNS0_4arch9wavefront6targetE1EEEvSI_,comdat
	.protected	_ZN7rocprim17ROCPRIM_400000_NS6detail17trampoline_kernelINS0_14default_configENS1_35radix_sort_onesweep_config_selectorIjNS0_10empty_typeEEEZNS1_34radix_sort_onesweep_global_offsetsIS3_Lb0EN6thrust23THRUST_200600_302600_NS6detail15normal_iteratorINS9_10device_ptrIjEEEEPS5_jNS0_19identity_decomposerEEE10hipError_tT1_T2_PT3_SK_jT4_jjP12ihipStream_tbEUlT_E0_NS1_11comp_targetILNS1_3genE10ELNS1_11target_archE1201ELNS1_3gpuE5ELNS1_3repE0EEENS1_52radix_sort_onesweep_histogram_config_static_selectorELNS0_4arch9wavefront6targetE1EEEvSI_ ; -- Begin function _ZN7rocprim17ROCPRIM_400000_NS6detail17trampoline_kernelINS0_14default_configENS1_35radix_sort_onesweep_config_selectorIjNS0_10empty_typeEEEZNS1_34radix_sort_onesweep_global_offsetsIS3_Lb0EN6thrust23THRUST_200600_302600_NS6detail15normal_iteratorINS9_10device_ptrIjEEEEPS5_jNS0_19identity_decomposerEEE10hipError_tT1_T2_PT3_SK_jT4_jjP12ihipStream_tbEUlT_E0_NS1_11comp_targetILNS1_3genE10ELNS1_11target_archE1201ELNS1_3gpuE5ELNS1_3repE0EEENS1_52radix_sort_onesweep_histogram_config_static_selectorELNS0_4arch9wavefront6targetE1EEEvSI_
	.globl	_ZN7rocprim17ROCPRIM_400000_NS6detail17trampoline_kernelINS0_14default_configENS1_35radix_sort_onesweep_config_selectorIjNS0_10empty_typeEEEZNS1_34radix_sort_onesweep_global_offsetsIS3_Lb0EN6thrust23THRUST_200600_302600_NS6detail15normal_iteratorINS9_10device_ptrIjEEEEPS5_jNS0_19identity_decomposerEEE10hipError_tT1_T2_PT3_SK_jT4_jjP12ihipStream_tbEUlT_E0_NS1_11comp_targetILNS1_3genE10ELNS1_11target_archE1201ELNS1_3gpuE5ELNS1_3repE0EEENS1_52radix_sort_onesweep_histogram_config_static_selectorELNS0_4arch9wavefront6targetE1EEEvSI_
	.p2align	8
	.type	_ZN7rocprim17ROCPRIM_400000_NS6detail17trampoline_kernelINS0_14default_configENS1_35radix_sort_onesweep_config_selectorIjNS0_10empty_typeEEEZNS1_34radix_sort_onesweep_global_offsetsIS3_Lb0EN6thrust23THRUST_200600_302600_NS6detail15normal_iteratorINS9_10device_ptrIjEEEEPS5_jNS0_19identity_decomposerEEE10hipError_tT1_T2_PT3_SK_jT4_jjP12ihipStream_tbEUlT_E0_NS1_11comp_targetILNS1_3genE10ELNS1_11target_archE1201ELNS1_3gpuE5ELNS1_3repE0EEENS1_52radix_sort_onesweep_histogram_config_static_selectorELNS0_4arch9wavefront6targetE1EEEvSI_,@function
_ZN7rocprim17ROCPRIM_400000_NS6detail17trampoline_kernelINS0_14default_configENS1_35radix_sort_onesweep_config_selectorIjNS0_10empty_typeEEEZNS1_34radix_sort_onesweep_global_offsetsIS3_Lb0EN6thrust23THRUST_200600_302600_NS6detail15normal_iteratorINS9_10device_ptrIjEEEEPS5_jNS0_19identity_decomposerEEE10hipError_tT1_T2_PT3_SK_jT4_jjP12ihipStream_tbEUlT_E0_NS1_11comp_targetILNS1_3genE10ELNS1_11target_archE1201ELNS1_3gpuE5ELNS1_3repE0EEENS1_52radix_sort_onesweep_histogram_config_static_selectorELNS0_4arch9wavefront6targetE1EEEvSI_: ; @_ZN7rocprim17ROCPRIM_400000_NS6detail17trampoline_kernelINS0_14default_configENS1_35radix_sort_onesweep_config_selectorIjNS0_10empty_typeEEEZNS1_34radix_sort_onesweep_global_offsetsIS3_Lb0EN6thrust23THRUST_200600_302600_NS6detail15normal_iteratorINS9_10device_ptrIjEEEEPS5_jNS0_19identity_decomposerEEE10hipError_tT1_T2_PT3_SK_jT4_jjP12ihipStream_tbEUlT_E0_NS1_11comp_targetILNS1_3genE10ELNS1_11target_archE1201ELNS1_3gpuE5ELNS1_3repE0EEENS1_52radix_sort_onesweep_histogram_config_static_selectorELNS0_4arch9wavefront6targetE1EEEvSI_
; %bb.0:
	.section	.rodata,"a",@progbits
	.p2align	6, 0x0
	.amdhsa_kernel _ZN7rocprim17ROCPRIM_400000_NS6detail17trampoline_kernelINS0_14default_configENS1_35radix_sort_onesweep_config_selectorIjNS0_10empty_typeEEEZNS1_34radix_sort_onesweep_global_offsetsIS3_Lb0EN6thrust23THRUST_200600_302600_NS6detail15normal_iteratorINS9_10device_ptrIjEEEEPS5_jNS0_19identity_decomposerEEE10hipError_tT1_T2_PT3_SK_jT4_jjP12ihipStream_tbEUlT_E0_NS1_11comp_targetILNS1_3genE10ELNS1_11target_archE1201ELNS1_3gpuE5ELNS1_3repE0EEENS1_52radix_sort_onesweep_histogram_config_static_selectorELNS0_4arch9wavefront6targetE1EEEvSI_
		.amdhsa_group_segment_fixed_size 0
		.amdhsa_private_segment_fixed_size 0
		.amdhsa_kernarg_size 8
		.amdhsa_user_sgpr_count 2
		.amdhsa_user_sgpr_dispatch_ptr 0
		.amdhsa_user_sgpr_queue_ptr 0
		.amdhsa_user_sgpr_kernarg_segment_ptr 1
		.amdhsa_user_sgpr_dispatch_id 0
		.amdhsa_user_sgpr_kernarg_preload_length 0
		.amdhsa_user_sgpr_kernarg_preload_offset 0
		.amdhsa_user_sgpr_private_segment_size 0
		.amdhsa_uses_dynamic_stack 0
		.amdhsa_enable_private_segment 0
		.amdhsa_system_sgpr_workgroup_id_x 1
		.amdhsa_system_sgpr_workgroup_id_y 0
		.amdhsa_system_sgpr_workgroup_id_z 0
		.amdhsa_system_sgpr_workgroup_info 0
		.amdhsa_system_vgpr_workitem_id 0
		.amdhsa_next_free_vgpr 1
		.amdhsa_next_free_sgpr 0
		.amdhsa_accum_offset 4
		.amdhsa_reserve_vcc 0
		.amdhsa_float_round_mode_32 0
		.amdhsa_float_round_mode_16_64 0
		.amdhsa_float_denorm_mode_32 3
		.amdhsa_float_denorm_mode_16_64 3
		.amdhsa_dx10_clamp 1
		.amdhsa_ieee_mode 1
		.amdhsa_fp16_overflow 0
		.amdhsa_tg_split 0
		.amdhsa_exception_fp_ieee_invalid_op 0
		.amdhsa_exception_fp_denorm_src 0
		.amdhsa_exception_fp_ieee_div_zero 0
		.amdhsa_exception_fp_ieee_overflow 0
		.amdhsa_exception_fp_ieee_underflow 0
		.amdhsa_exception_fp_ieee_inexact 0
		.amdhsa_exception_int_div_zero 0
	.end_amdhsa_kernel
	.section	.text._ZN7rocprim17ROCPRIM_400000_NS6detail17trampoline_kernelINS0_14default_configENS1_35radix_sort_onesweep_config_selectorIjNS0_10empty_typeEEEZNS1_34radix_sort_onesweep_global_offsetsIS3_Lb0EN6thrust23THRUST_200600_302600_NS6detail15normal_iteratorINS9_10device_ptrIjEEEEPS5_jNS0_19identity_decomposerEEE10hipError_tT1_T2_PT3_SK_jT4_jjP12ihipStream_tbEUlT_E0_NS1_11comp_targetILNS1_3genE10ELNS1_11target_archE1201ELNS1_3gpuE5ELNS1_3repE0EEENS1_52radix_sort_onesweep_histogram_config_static_selectorELNS0_4arch9wavefront6targetE1EEEvSI_,"axG",@progbits,_ZN7rocprim17ROCPRIM_400000_NS6detail17trampoline_kernelINS0_14default_configENS1_35radix_sort_onesweep_config_selectorIjNS0_10empty_typeEEEZNS1_34radix_sort_onesweep_global_offsetsIS3_Lb0EN6thrust23THRUST_200600_302600_NS6detail15normal_iteratorINS9_10device_ptrIjEEEEPS5_jNS0_19identity_decomposerEEE10hipError_tT1_T2_PT3_SK_jT4_jjP12ihipStream_tbEUlT_E0_NS1_11comp_targetILNS1_3genE10ELNS1_11target_archE1201ELNS1_3gpuE5ELNS1_3repE0EEENS1_52radix_sort_onesweep_histogram_config_static_selectorELNS0_4arch9wavefront6targetE1EEEvSI_,comdat
.Lfunc_end1089:
	.size	_ZN7rocprim17ROCPRIM_400000_NS6detail17trampoline_kernelINS0_14default_configENS1_35radix_sort_onesweep_config_selectorIjNS0_10empty_typeEEEZNS1_34radix_sort_onesweep_global_offsetsIS3_Lb0EN6thrust23THRUST_200600_302600_NS6detail15normal_iteratorINS9_10device_ptrIjEEEEPS5_jNS0_19identity_decomposerEEE10hipError_tT1_T2_PT3_SK_jT4_jjP12ihipStream_tbEUlT_E0_NS1_11comp_targetILNS1_3genE10ELNS1_11target_archE1201ELNS1_3gpuE5ELNS1_3repE0EEENS1_52radix_sort_onesweep_histogram_config_static_selectorELNS0_4arch9wavefront6targetE1EEEvSI_, .Lfunc_end1089-_ZN7rocprim17ROCPRIM_400000_NS6detail17trampoline_kernelINS0_14default_configENS1_35radix_sort_onesweep_config_selectorIjNS0_10empty_typeEEEZNS1_34radix_sort_onesweep_global_offsetsIS3_Lb0EN6thrust23THRUST_200600_302600_NS6detail15normal_iteratorINS9_10device_ptrIjEEEEPS5_jNS0_19identity_decomposerEEE10hipError_tT1_T2_PT3_SK_jT4_jjP12ihipStream_tbEUlT_E0_NS1_11comp_targetILNS1_3genE10ELNS1_11target_archE1201ELNS1_3gpuE5ELNS1_3repE0EEENS1_52radix_sort_onesweep_histogram_config_static_selectorELNS0_4arch9wavefront6targetE1EEEvSI_
                                        ; -- End function
	.section	.AMDGPU.csdata,"",@progbits
; Kernel info:
; codeLenInByte = 0
; NumSgprs: 6
; NumVgprs: 0
; NumAgprs: 0
; TotalNumVgprs: 0
; ScratchSize: 0
; MemoryBound: 0
; FloatMode: 240
; IeeeMode: 1
; LDSByteSize: 0 bytes/workgroup (compile time only)
; SGPRBlocks: 0
; VGPRBlocks: 0
; NumSGPRsForWavesPerEU: 6
; NumVGPRsForWavesPerEU: 1
; AccumOffset: 4
; Occupancy: 8
; WaveLimiterHint : 0
; COMPUTE_PGM_RSRC2:SCRATCH_EN: 0
; COMPUTE_PGM_RSRC2:USER_SGPR: 2
; COMPUTE_PGM_RSRC2:TRAP_HANDLER: 0
; COMPUTE_PGM_RSRC2:TGID_X_EN: 1
; COMPUTE_PGM_RSRC2:TGID_Y_EN: 0
; COMPUTE_PGM_RSRC2:TGID_Z_EN: 0
; COMPUTE_PGM_RSRC2:TIDIG_COMP_CNT: 0
; COMPUTE_PGM_RSRC3_GFX90A:ACCUM_OFFSET: 0
; COMPUTE_PGM_RSRC3_GFX90A:TG_SPLIT: 0
	.section	.text._ZN7rocprim17ROCPRIM_400000_NS6detail17trampoline_kernelINS0_14default_configENS1_35radix_sort_onesweep_config_selectorIjNS0_10empty_typeEEEZNS1_34radix_sort_onesweep_global_offsetsIS3_Lb0EN6thrust23THRUST_200600_302600_NS6detail15normal_iteratorINS9_10device_ptrIjEEEEPS5_jNS0_19identity_decomposerEEE10hipError_tT1_T2_PT3_SK_jT4_jjP12ihipStream_tbEUlT_E0_NS1_11comp_targetILNS1_3genE9ELNS1_11target_archE1100ELNS1_3gpuE3ELNS1_3repE0EEENS1_52radix_sort_onesweep_histogram_config_static_selectorELNS0_4arch9wavefront6targetE1EEEvSI_,"axG",@progbits,_ZN7rocprim17ROCPRIM_400000_NS6detail17trampoline_kernelINS0_14default_configENS1_35radix_sort_onesweep_config_selectorIjNS0_10empty_typeEEEZNS1_34radix_sort_onesweep_global_offsetsIS3_Lb0EN6thrust23THRUST_200600_302600_NS6detail15normal_iteratorINS9_10device_ptrIjEEEEPS5_jNS0_19identity_decomposerEEE10hipError_tT1_T2_PT3_SK_jT4_jjP12ihipStream_tbEUlT_E0_NS1_11comp_targetILNS1_3genE9ELNS1_11target_archE1100ELNS1_3gpuE3ELNS1_3repE0EEENS1_52radix_sort_onesweep_histogram_config_static_selectorELNS0_4arch9wavefront6targetE1EEEvSI_,comdat
	.protected	_ZN7rocprim17ROCPRIM_400000_NS6detail17trampoline_kernelINS0_14default_configENS1_35radix_sort_onesweep_config_selectorIjNS0_10empty_typeEEEZNS1_34radix_sort_onesweep_global_offsetsIS3_Lb0EN6thrust23THRUST_200600_302600_NS6detail15normal_iteratorINS9_10device_ptrIjEEEEPS5_jNS0_19identity_decomposerEEE10hipError_tT1_T2_PT3_SK_jT4_jjP12ihipStream_tbEUlT_E0_NS1_11comp_targetILNS1_3genE9ELNS1_11target_archE1100ELNS1_3gpuE3ELNS1_3repE0EEENS1_52radix_sort_onesweep_histogram_config_static_selectorELNS0_4arch9wavefront6targetE1EEEvSI_ ; -- Begin function _ZN7rocprim17ROCPRIM_400000_NS6detail17trampoline_kernelINS0_14default_configENS1_35radix_sort_onesweep_config_selectorIjNS0_10empty_typeEEEZNS1_34radix_sort_onesweep_global_offsetsIS3_Lb0EN6thrust23THRUST_200600_302600_NS6detail15normal_iteratorINS9_10device_ptrIjEEEEPS5_jNS0_19identity_decomposerEEE10hipError_tT1_T2_PT3_SK_jT4_jjP12ihipStream_tbEUlT_E0_NS1_11comp_targetILNS1_3genE9ELNS1_11target_archE1100ELNS1_3gpuE3ELNS1_3repE0EEENS1_52radix_sort_onesweep_histogram_config_static_selectorELNS0_4arch9wavefront6targetE1EEEvSI_
	.globl	_ZN7rocprim17ROCPRIM_400000_NS6detail17trampoline_kernelINS0_14default_configENS1_35radix_sort_onesweep_config_selectorIjNS0_10empty_typeEEEZNS1_34radix_sort_onesweep_global_offsetsIS3_Lb0EN6thrust23THRUST_200600_302600_NS6detail15normal_iteratorINS9_10device_ptrIjEEEEPS5_jNS0_19identity_decomposerEEE10hipError_tT1_T2_PT3_SK_jT4_jjP12ihipStream_tbEUlT_E0_NS1_11comp_targetILNS1_3genE9ELNS1_11target_archE1100ELNS1_3gpuE3ELNS1_3repE0EEENS1_52radix_sort_onesweep_histogram_config_static_selectorELNS0_4arch9wavefront6targetE1EEEvSI_
	.p2align	8
	.type	_ZN7rocprim17ROCPRIM_400000_NS6detail17trampoline_kernelINS0_14default_configENS1_35radix_sort_onesweep_config_selectorIjNS0_10empty_typeEEEZNS1_34radix_sort_onesweep_global_offsetsIS3_Lb0EN6thrust23THRUST_200600_302600_NS6detail15normal_iteratorINS9_10device_ptrIjEEEEPS5_jNS0_19identity_decomposerEEE10hipError_tT1_T2_PT3_SK_jT4_jjP12ihipStream_tbEUlT_E0_NS1_11comp_targetILNS1_3genE9ELNS1_11target_archE1100ELNS1_3gpuE3ELNS1_3repE0EEENS1_52radix_sort_onesweep_histogram_config_static_selectorELNS0_4arch9wavefront6targetE1EEEvSI_,@function
_ZN7rocprim17ROCPRIM_400000_NS6detail17trampoline_kernelINS0_14default_configENS1_35radix_sort_onesweep_config_selectorIjNS0_10empty_typeEEEZNS1_34radix_sort_onesweep_global_offsetsIS3_Lb0EN6thrust23THRUST_200600_302600_NS6detail15normal_iteratorINS9_10device_ptrIjEEEEPS5_jNS0_19identity_decomposerEEE10hipError_tT1_T2_PT3_SK_jT4_jjP12ihipStream_tbEUlT_E0_NS1_11comp_targetILNS1_3genE9ELNS1_11target_archE1100ELNS1_3gpuE3ELNS1_3repE0EEENS1_52radix_sort_onesweep_histogram_config_static_selectorELNS0_4arch9wavefront6targetE1EEEvSI_: ; @_ZN7rocprim17ROCPRIM_400000_NS6detail17trampoline_kernelINS0_14default_configENS1_35radix_sort_onesweep_config_selectorIjNS0_10empty_typeEEEZNS1_34radix_sort_onesweep_global_offsetsIS3_Lb0EN6thrust23THRUST_200600_302600_NS6detail15normal_iteratorINS9_10device_ptrIjEEEEPS5_jNS0_19identity_decomposerEEE10hipError_tT1_T2_PT3_SK_jT4_jjP12ihipStream_tbEUlT_E0_NS1_11comp_targetILNS1_3genE9ELNS1_11target_archE1100ELNS1_3gpuE3ELNS1_3repE0EEENS1_52radix_sort_onesweep_histogram_config_static_selectorELNS0_4arch9wavefront6targetE1EEEvSI_
; %bb.0:
	.section	.rodata,"a",@progbits
	.p2align	6, 0x0
	.amdhsa_kernel _ZN7rocprim17ROCPRIM_400000_NS6detail17trampoline_kernelINS0_14default_configENS1_35radix_sort_onesweep_config_selectorIjNS0_10empty_typeEEEZNS1_34radix_sort_onesweep_global_offsetsIS3_Lb0EN6thrust23THRUST_200600_302600_NS6detail15normal_iteratorINS9_10device_ptrIjEEEEPS5_jNS0_19identity_decomposerEEE10hipError_tT1_T2_PT3_SK_jT4_jjP12ihipStream_tbEUlT_E0_NS1_11comp_targetILNS1_3genE9ELNS1_11target_archE1100ELNS1_3gpuE3ELNS1_3repE0EEENS1_52radix_sort_onesweep_histogram_config_static_selectorELNS0_4arch9wavefront6targetE1EEEvSI_
		.amdhsa_group_segment_fixed_size 0
		.amdhsa_private_segment_fixed_size 0
		.amdhsa_kernarg_size 8
		.amdhsa_user_sgpr_count 2
		.amdhsa_user_sgpr_dispatch_ptr 0
		.amdhsa_user_sgpr_queue_ptr 0
		.amdhsa_user_sgpr_kernarg_segment_ptr 1
		.amdhsa_user_sgpr_dispatch_id 0
		.amdhsa_user_sgpr_kernarg_preload_length 0
		.amdhsa_user_sgpr_kernarg_preload_offset 0
		.amdhsa_user_sgpr_private_segment_size 0
		.amdhsa_uses_dynamic_stack 0
		.amdhsa_enable_private_segment 0
		.amdhsa_system_sgpr_workgroup_id_x 1
		.amdhsa_system_sgpr_workgroup_id_y 0
		.amdhsa_system_sgpr_workgroup_id_z 0
		.amdhsa_system_sgpr_workgroup_info 0
		.amdhsa_system_vgpr_workitem_id 0
		.amdhsa_next_free_vgpr 1
		.amdhsa_next_free_sgpr 0
		.amdhsa_accum_offset 4
		.amdhsa_reserve_vcc 0
		.amdhsa_float_round_mode_32 0
		.amdhsa_float_round_mode_16_64 0
		.amdhsa_float_denorm_mode_32 3
		.amdhsa_float_denorm_mode_16_64 3
		.amdhsa_dx10_clamp 1
		.amdhsa_ieee_mode 1
		.amdhsa_fp16_overflow 0
		.amdhsa_tg_split 0
		.amdhsa_exception_fp_ieee_invalid_op 0
		.amdhsa_exception_fp_denorm_src 0
		.amdhsa_exception_fp_ieee_div_zero 0
		.amdhsa_exception_fp_ieee_overflow 0
		.amdhsa_exception_fp_ieee_underflow 0
		.amdhsa_exception_fp_ieee_inexact 0
		.amdhsa_exception_int_div_zero 0
	.end_amdhsa_kernel
	.section	.text._ZN7rocprim17ROCPRIM_400000_NS6detail17trampoline_kernelINS0_14default_configENS1_35radix_sort_onesweep_config_selectorIjNS0_10empty_typeEEEZNS1_34radix_sort_onesweep_global_offsetsIS3_Lb0EN6thrust23THRUST_200600_302600_NS6detail15normal_iteratorINS9_10device_ptrIjEEEEPS5_jNS0_19identity_decomposerEEE10hipError_tT1_T2_PT3_SK_jT4_jjP12ihipStream_tbEUlT_E0_NS1_11comp_targetILNS1_3genE9ELNS1_11target_archE1100ELNS1_3gpuE3ELNS1_3repE0EEENS1_52radix_sort_onesweep_histogram_config_static_selectorELNS0_4arch9wavefront6targetE1EEEvSI_,"axG",@progbits,_ZN7rocprim17ROCPRIM_400000_NS6detail17trampoline_kernelINS0_14default_configENS1_35radix_sort_onesweep_config_selectorIjNS0_10empty_typeEEEZNS1_34radix_sort_onesweep_global_offsetsIS3_Lb0EN6thrust23THRUST_200600_302600_NS6detail15normal_iteratorINS9_10device_ptrIjEEEEPS5_jNS0_19identity_decomposerEEE10hipError_tT1_T2_PT3_SK_jT4_jjP12ihipStream_tbEUlT_E0_NS1_11comp_targetILNS1_3genE9ELNS1_11target_archE1100ELNS1_3gpuE3ELNS1_3repE0EEENS1_52radix_sort_onesweep_histogram_config_static_selectorELNS0_4arch9wavefront6targetE1EEEvSI_,comdat
.Lfunc_end1090:
	.size	_ZN7rocprim17ROCPRIM_400000_NS6detail17trampoline_kernelINS0_14default_configENS1_35radix_sort_onesweep_config_selectorIjNS0_10empty_typeEEEZNS1_34radix_sort_onesweep_global_offsetsIS3_Lb0EN6thrust23THRUST_200600_302600_NS6detail15normal_iteratorINS9_10device_ptrIjEEEEPS5_jNS0_19identity_decomposerEEE10hipError_tT1_T2_PT3_SK_jT4_jjP12ihipStream_tbEUlT_E0_NS1_11comp_targetILNS1_3genE9ELNS1_11target_archE1100ELNS1_3gpuE3ELNS1_3repE0EEENS1_52radix_sort_onesweep_histogram_config_static_selectorELNS0_4arch9wavefront6targetE1EEEvSI_, .Lfunc_end1090-_ZN7rocprim17ROCPRIM_400000_NS6detail17trampoline_kernelINS0_14default_configENS1_35radix_sort_onesweep_config_selectorIjNS0_10empty_typeEEEZNS1_34radix_sort_onesweep_global_offsetsIS3_Lb0EN6thrust23THRUST_200600_302600_NS6detail15normal_iteratorINS9_10device_ptrIjEEEEPS5_jNS0_19identity_decomposerEEE10hipError_tT1_T2_PT3_SK_jT4_jjP12ihipStream_tbEUlT_E0_NS1_11comp_targetILNS1_3genE9ELNS1_11target_archE1100ELNS1_3gpuE3ELNS1_3repE0EEENS1_52radix_sort_onesweep_histogram_config_static_selectorELNS0_4arch9wavefront6targetE1EEEvSI_
                                        ; -- End function
	.section	.AMDGPU.csdata,"",@progbits
; Kernel info:
; codeLenInByte = 0
; NumSgprs: 6
; NumVgprs: 0
; NumAgprs: 0
; TotalNumVgprs: 0
; ScratchSize: 0
; MemoryBound: 0
; FloatMode: 240
; IeeeMode: 1
; LDSByteSize: 0 bytes/workgroup (compile time only)
; SGPRBlocks: 0
; VGPRBlocks: 0
; NumSGPRsForWavesPerEU: 6
; NumVGPRsForWavesPerEU: 1
; AccumOffset: 4
; Occupancy: 8
; WaveLimiterHint : 0
; COMPUTE_PGM_RSRC2:SCRATCH_EN: 0
; COMPUTE_PGM_RSRC2:USER_SGPR: 2
; COMPUTE_PGM_RSRC2:TRAP_HANDLER: 0
; COMPUTE_PGM_RSRC2:TGID_X_EN: 1
; COMPUTE_PGM_RSRC2:TGID_Y_EN: 0
; COMPUTE_PGM_RSRC2:TGID_Z_EN: 0
; COMPUTE_PGM_RSRC2:TIDIG_COMP_CNT: 0
; COMPUTE_PGM_RSRC3_GFX90A:ACCUM_OFFSET: 0
; COMPUTE_PGM_RSRC3_GFX90A:TG_SPLIT: 0
	.section	.text._ZN7rocprim17ROCPRIM_400000_NS6detail17trampoline_kernelINS0_14default_configENS1_35radix_sort_onesweep_config_selectorIjNS0_10empty_typeEEEZNS1_34radix_sort_onesweep_global_offsetsIS3_Lb0EN6thrust23THRUST_200600_302600_NS6detail15normal_iteratorINS9_10device_ptrIjEEEEPS5_jNS0_19identity_decomposerEEE10hipError_tT1_T2_PT3_SK_jT4_jjP12ihipStream_tbEUlT_E0_NS1_11comp_targetILNS1_3genE8ELNS1_11target_archE1030ELNS1_3gpuE2ELNS1_3repE0EEENS1_52radix_sort_onesweep_histogram_config_static_selectorELNS0_4arch9wavefront6targetE1EEEvSI_,"axG",@progbits,_ZN7rocprim17ROCPRIM_400000_NS6detail17trampoline_kernelINS0_14default_configENS1_35radix_sort_onesweep_config_selectorIjNS0_10empty_typeEEEZNS1_34radix_sort_onesweep_global_offsetsIS3_Lb0EN6thrust23THRUST_200600_302600_NS6detail15normal_iteratorINS9_10device_ptrIjEEEEPS5_jNS0_19identity_decomposerEEE10hipError_tT1_T2_PT3_SK_jT4_jjP12ihipStream_tbEUlT_E0_NS1_11comp_targetILNS1_3genE8ELNS1_11target_archE1030ELNS1_3gpuE2ELNS1_3repE0EEENS1_52radix_sort_onesweep_histogram_config_static_selectorELNS0_4arch9wavefront6targetE1EEEvSI_,comdat
	.protected	_ZN7rocprim17ROCPRIM_400000_NS6detail17trampoline_kernelINS0_14default_configENS1_35radix_sort_onesweep_config_selectorIjNS0_10empty_typeEEEZNS1_34radix_sort_onesweep_global_offsetsIS3_Lb0EN6thrust23THRUST_200600_302600_NS6detail15normal_iteratorINS9_10device_ptrIjEEEEPS5_jNS0_19identity_decomposerEEE10hipError_tT1_T2_PT3_SK_jT4_jjP12ihipStream_tbEUlT_E0_NS1_11comp_targetILNS1_3genE8ELNS1_11target_archE1030ELNS1_3gpuE2ELNS1_3repE0EEENS1_52radix_sort_onesweep_histogram_config_static_selectorELNS0_4arch9wavefront6targetE1EEEvSI_ ; -- Begin function _ZN7rocprim17ROCPRIM_400000_NS6detail17trampoline_kernelINS0_14default_configENS1_35radix_sort_onesweep_config_selectorIjNS0_10empty_typeEEEZNS1_34radix_sort_onesweep_global_offsetsIS3_Lb0EN6thrust23THRUST_200600_302600_NS6detail15normal_iteratorINS9_10device_ptrIjEEEEPS5_jNS0_19identity_decomposerEEE10hipError_tT1_T2_PT3_SK_jT4_jjP12ihipStream_tbEUlT_E0_NS1_11comp_targetILNS1_3genE8ELNS1_11target_archE1030ELNS1_3gpuE2ELNS1_3repE0EEENS1_52radix_sort_onesweep_histogram_config_static_selectorELNS0_4arch9wavefront6targetE1EEEvSI_
	.globl	_ZN7rocprim17ROCPRIM_400000_NS6detail17trampoline_kernelINS0_14default_configENS1_35radix_sort_onesweep_config_selectorIjNS0_10empty_typeEEEZNS1_34radix_sort_onesweep_global_offsetsIS3_Lb0EN6thrust23THRUST_200600_302600_NS6detail15normal_iteratorINS9_10device_ptrIjEEEEPS5_jNS0_19identity_decomposerEEE10hipError_tT1_T2_PT3_SK_jT4_jjP12ihipStream_tbEUlT_E0_NS1_11comp_targetILNS1_3genE8ELNS1_11target_archE1030ELNS1_3gpuE2ELNS1_3repE0EEENS1_52radix_sort_onesweep_histogram_config_static_selectorELNS0_4arch9wavefront6targetE1EEEvSI_
	.p2align	8
	.type	_ZN7rocprim17ROCPRIM_400000_NS6detail17trampoline_kernelINS0_14default_configENS1_35radix_sort_onesweep_config_selectorIjNS0_10empty_typeEEEZNS1_34radix_sort_onesweep_global_offsetsIS3_Lb0EN6thrust23THRUST_200600_302600_NS6detail15normal_iteratorINS9_10device_ptrIjEEEEPS5_jNS0_19identity_decomposerEEE10hipError_tT1_T2_PT3_SK_jT4_jjP12ihipStream_tbEUlT_E0_NS1_11comp_targetILNS1_3genE8ELNS1_11target_archE1030ELNS1_3gpuE2ELNS1_3repE0EEENS1_52radix_sort_onesweep_histogram_config_static_selectorELNS0_4arch9wavefront6targetE1EEEvSI_,@function
_ZN7rocprim17ROCPRIM_400000_NS6detail17trampoline_kernelINS0_14default_configENS1_35radix_sort_onesweep_config_selectorIjNS0_10empty_typeEEEZNS1_34radix_sort_onesweep_global_offsetsIS3_Lb0EN6thrust23THRUST_200600_302600_NS6detail15normal_iteratorINS9_10device_ptrIjEEEEPS5_jNS0_19identity_decomposerEEE10hipError_tT1_T2_PT3_SK_jT4_jjP12ihipStream_tbEUlT_E0_NS1_11comp_targetILNS1_3genE8ELNS1_11target_archE1030ELNS1_3gpuE2ELNS1_3repE0EEENS1_52radix_sort_onesweep_histogram_config_static_selectorELNS0_4arch9wavefront6targetE1EEEvSI_: ; @_ZN7rocprim17ROCPRIM_400000_NS6detail17trampoline_kernelINS0_14default_configENS1_35radix_sort_onesweep_config_selectorIjNS0_10empty_typeEEEZNS1_34radix_sort_onesweep_global_offsetsIS3_Lb0EN6thrust23THRUST_200600_302600_NS6detail15normal_iteratorINS9_10device_ptrIjEEEEPS5_jNS0_19identity_decomposerEEE10hipError_tT1_T2_PT3_SK_jT4_jjP12ihipStream_tbEUlT_E0_NS1_11comp_targetILNS1_3genE8ELNS1_11target_archE1030ELNS1_3gpuE2ELNS1_3repE0EEENS1_52radix_sort_onesweep_histogram_config_static_selectorELNS0_4arch9wavefront6targetE1EEEvSI_
; %bb.0:
	.section	.rodata,"a",@progbits
	.p2align	6, 0x0
	.amdhsa_kernel _ZN7rocprim17ROCPRIM_400000_NS6detail17trampoline_kernelINS0_14default_configENS1_35radix_sort_onesweep_config_selectorIjNS0_10empty_typeEEEZNS1_34radix_sort_onesweep_global_offsetsIS3_Lb0EN6thrust23THRUST_200600_302600_NS6detail15normal_iteratorINS9_10device_ptrIjEEEEPS5_jNS0_19identity_decomposerEEE10hipError_tT1_T2_PT3_SK_jT4_jjP12ihipStream_tbEUlT_E0_NS1_11comp_targetILNS1_3genE8ELNS1_11target_archE1030ELNS1_3gpuE2ELNS1_3repE0EEENS1_52radix_sort_onesweep_histogram_config_static_selectorELNS0_4arch9wavefront6targetE1EEEvSI_
		.amdhsa_group_segment_fixed_size 0
		.amdhsa_private_segment_fixed_size 0
		.amdhsa_kernarg_size 8
		.amdhsa_user_sgpr_count 2
		.amdhsa_user_sgpr_dispatch_ptr 0
		.amdhsa_user_sgpr_queue_ptr 0
		.amdhsa_user_sgpr_kernarg_segment_ptr 1
		.amdhsa_user_sgpr_dispatch_id 0
		.amdhsa_user_sgpr_kernarg_preload_length 0
		.amdhsa_user_sgpr_kernarg_preload_offset 0
		.amdhsa_user_sgpr_private_segment_size 0
		.amdhsa_uses_dynamic_stack 0
		.amdhsa_enable_private_segment 0
		.amdhsa_system_sgpr_workgroup_id_x 1
		.amdhsa_system_sgpr_workgroup_id_y 0
		.amdhsa_system_sgpr_workgroup_id_z 0
		.amdhsa_system_sgpr_workgroup_info 0
		.amdhsa_system_vgpr_workitem_id 0
		.amdhsa_next_free_vgpr 1
		.amdhsa_next_free_sgpr 0
		.amdhsa_accum_offset 4
		.amdhsa_reserve_vcc 0
		.amdhsa_float_round_mode_32 0
		.amdhsa_float_round_mode_16_64 0
		.amdhsa_float_denorm_mode_32 3
		.amdhsa_float_denorm_mode_16_64 3
		.amdhsa_dx10_clamp 1
		.amdhsa_ieee_mode 1
		.amdhsa_fp16_overflow 0
		.amdhsa_tg_split 0
		.amdhsa_exception_fp_ieee_invalid_op 0
		.amdhsa_exception_fp_denorm_src 0
		.amdhsa_exception_fp_ieee_div_zero 0
		.amdhsa_exception_fp_ieee_overflow 0
		.amdhsa_exception_fp_ieee_underflow 0
		.amdhsa_exception_fp_ieee_inexact 0
		.amdhsa_exception_int_div_zero 0
	.end_amdhsa_kernel
	.section	.text._ZN7rocprim17ROCPRIM_400000_NS6detail17trampoline_kernelINS0_14default_configENS1_35radix_sort_onesweep_config_selectorIjNS0_10empty_typeEEEZNS1_34radix_sort_onesweep_global_offsetsIS3_Lb0EN6thrust23THRUST_200600_302600_NS6detail15normal_iteratorINS9_10device_ptrIjEEEEPS5_jNS0_19identity_decomposerEEE10hipError_tT1_T2_PT3_SK_jT4_jjP12ihipStream_tbEUlT_E0_NS1_11comp_targetILNS1_3genE8ELNS1_11target_archE1030ELNS1_3gpuE2ELNS1_3repE0EEENS1_52radix_sort_onesweep_histogram_config_static_selectorELNS0_4arch9wavefront6targetE1EEEvSI_,"axG",@progbits,_ZN7rocprim17ROCPRIM_400000_NS6detail17trampoline_kernelINS0_14default_configENS1_35radix_sort_onesweep_config_selectorIjNS0_10empty_typeEEEZNS1_34radix_sort_onesweep_global_offsetsIS3_Lb0EN6thrust23THRUST_200600_302600_NS6detail15normal_iteratorINS9_10device_ptrIjEEEEPS5_jNS0_19identity_decomposerEEE10hipError_tT1_T2_PT3_SK_jT4_jjP12ihipStream_tbEUlT_E0_NS1_11comp_targetILNS1_3genE8ELNS1_11target_archE1030ELNS1_3gpuE2ELNS1_3repE0EEENS1_52radix_sort_onesweep_histogram_config_static_selectorELNS0_4arch9wavefront6targetE1EEEvSI_,comdat
.Lfunc_end1091:
	.size	_ZN7rocprim17ROCPRIM_400000_NS6detail17trampoline_kernelINS0_14default_configENS1_35radix_sort_onesweep_config_selectorIjNS0_10empty_typeEEEZNS1_34radix_sort_onesweep_global_offsetsIS3_Lb0EN6thrust23THRUST_200600_302600_NS6detail15normal_iteratorINS9_10device_ptrIjEEEEPS5_jNS0_19identity_decomposerEEE10hipError_tT1_T2_PT3_SK_jT4_jjP12ihipStream_tbEUlT_E0_NS1_11comp_targetILNS1_3genE8ELNS1_11target_archE1030ELNS1_3gpuE2ELNS1_3repE0EEENS1_52radix_sort_onesweep_histogram_config_static_selectorELNS0_4arch9wavefront6targetE1EEEvSI_, .Lfunc_end1091-_ZN7rocprim17ROCPRIM_400000_NS6detail17trampoline_kernelINS0_14default_configENS1_35radix_sort_onesweep_config_selectorIjNS0_10empty_typeEEEZNS1_34radix_sort_onesweep_global_offsetsIS3_Lb0EN6thrust23THRUST_200600_302600_NS6detail15normal_iteratorINS9_10device_ptrIjEEEEPS5_jNS0_19identity_decomposerEEE10hipError_tT1_T2_PT3_SK_jT4_jjP12ihipStream_tbEUlT_E0_NS1_11comp_targetILNS1_3genE8ELNS1_11target_archE1030ELNS1_3gpuE2ELNS1_3repE0EEENS1_52radix_sort_onesweep_histogram_config_static_selectorELNS0_4arch9wavefront6targetE1EEEvSI_
                                        ; -- End function
	.section	.AMDGPU.csdata,"",@progbits
; Kernel info:
; codeLenInByte = 0
; NumSgprs: 6
; NumVgprs: 0
; NumAgprs: 0
; TotalNumVgprs: 0
; ScratchSize: 0
; MemoryBound: 0
; FloatMode: 240
; IeeeMode: 1
; LDSByteSize: 0 bytes/workgroup (compile time only)
; SGPRBlocks: 0
; VGPRBlocks: 0
; NumSGPRsForWavesPerEU: 6
; NumVGPRsForWavesPerEU: 1
; AccumOffset: 4
; Occupancy: 8
; WaveLimiterHint : 0
; COMPUTE_PGM_RSRC2:SCRATCH_EN: 0
; COMPUTE_PGM_RSRC2:USER_SGPR: 2
; COMPUTE_PGM_RSRC2:TRAP_HANDLER: 0
; COMPUTE_PGM_RSRC2:TGID_X_EN: 1
; COMPUTE_PGM_RSRC2:TGID_Y_EN: 0
; COMPUTE_PGM_RSRC2:TGID_Z_EN: 0
; COMPUTE_PGM_RSRC2:TIDIG_COMP_CNT: 0
; COMPUTE_PGM_RSRC3_GFX90A:ACCUM_OFFSET: 0
; COMPUTE_PGM_RSRC3_GFX90A:TG_SPLIT: 0
	.section	.text._ZN7rocprim17ROCPRIM_400000_NS6detail17trampoline_kernelINS0_14default_configENS1_25transform_config_selectorIjLb0EEEZNS1_14transform_implILb0ES3_S5_N6thrust23THRUST_200600_302600_NS6detail15normal_iteratorINS8_10device_ptrIjEEEEPjNS0_8identityIjEEEE10hipError_tT2_T3_mT4_P12ihipStream_tbEUlT_E_NS1_11comp_targetILNS1_3genE0ELNS1_11target_archE4294967295ELNS1_3gpuE0ELNS1_3repE0EEENS1_30default_config_static_selectorELNS0_4arch9wavefront6targetE1EEEvT1_,"axG",@progbits,_ZN7rocprim17ROCPRIM_400000_NS6detail17trampoline_kernelINS0_14default_configENS1_25transform_config_selectorIjLb0EEEZNS1_14transform_implILb0ES3_S5_N6thrust23THRUST_200600_302600_NS6detail15normal_iteratorINS8_10device_ptrIjEEEEPjNS0_8identityIjEEEE10hipError_tT2_T3_mT4_P12ihipStream_tbEUlT_E_NS1_11comp_targetILNS1_3genE0ELNS1_11target_archE4294967295ELNS1_3gpuE0ELNS1_3repE0EEENS1_30default_config_static_selectorELNS0_4arch9wavefront6targetE1EEEvT1_,comdat
	.protected	_ZN7rocprim17ROCPRIM_400000_NS6detail17trampoline_kernelINS0_14default_configENS1_25transform_config_selectorIjLb0EEEZNS1_14transform_implILb0ES3_S5_N6thrust23THRUST_200600_302600_NS6detail15normal_iteratorINS8_10device_ptrIjEEEEPjNS0_8identityIjEEEE10hipError_tT2_T3_mT4_P12ihipStream_tbEUlT_E_NS1_11comp_targetILNS1_3genE0ELNS1_11target_archE4294967295ELNS1_3gpuE0ELNS1_3repE0EEENS1_30default_config_static_selectorELNS0_4arch9wavefront6targetE1EEEvT1_ ; -- Begin function _ZN7rocprim17ROCPRIM_400000_NS6detail17trampoline_kernelINS0_14default_configENS1_25transform_config_selectorIjLb0EEEZNS1_14transform_implILb0ES3_S5_N6thrust23THRUST_200600_302600_NS6detail15normal_iteratorINS8_10device_ptrIjEEEEPjNS0_8identityIjEEEE10hipError_tT2_T3_mT4_P12ihipStream_tbEUlT_E_NS1_11comp_targetILNS1_3genE0ELNS1_11target_archE4294967295ELNS1_3gpuE0ELNS1_3repE0EEENS1_30default_config_static_selectorELNS0_4arch9wavefront6targetE1EEEvT1_
	.globl	_ZN7rocprim17ROCPRIM_400000_NS6detail17trampoline_kernelINS0_14default_configENS1_25transform_config_selectorIjLb0EEEZNS1_14transform_implILb0ES3_S5_N6thrust23THRUST_200600_302600_NS6detail15normal_iteratorINS8_10device_ptrIjEEEEPjNS0_8identityIjEEEE10hipError_tT2_T3_mT4_P12ihipStream_tbEUlT_E_NS1_11comp_targetILNS1_3genE0ELNS1_11target_archE4294967295ELNS1_3gpuE0ELNS1_3repE0EEENS1_30default_config_static_selectorELNS0_4arch9wavefront6targetE1EEEvT1_
	.p2align	8
	.type	_ZN7rocprim17ROCPRIM_400000_NS6detail17trampoline_kernelINS0_14default_configENS1_25transform_config_selectorIjLb0EEEZNS1_14transform_implILb0ES3_S5_N6thrust23THRUST_200600_302600_NS6detail15normal_iteratorINS8_10device_ptrIjEEEEPjNS0_8identityIjEEEE10hipError_tT2_T3_mT4_P12ihipStream_tbEUlT_E_NS1_11comp_targetILNS1_3genE0ELNS1_11target_archE4294967295ELNS1_3gpuE0ELNS1_3repE0EEENS1_30default_config_static_selectorELNS0_4arch9wavefront6targetE1EEEvT1_,@function
_ZN7rocprim17ROCPRIM_400000_NS6detail17trampoline_kernelINS0_14default_configENS1_25transform_config_selectorIjLb0EEEZNS1_14transform_implILb0ES3_S5_N6thrust23THRUST_200600_302600_NS6detail15normal_iteratorINS8_10device_ptrIjEEEEPjNS0_8identityIjEEEE10hipError_tT2_T3_mT4_P12ihipStream_tbEUlT_E_NS1_11comp_targetILNS1_3genE0ELNS1_11target_archE4294967295ELNS1_3gpuE0ELNS1_3repE0EEENS1_30default_config_static_selectorELNS0_4arch9wavefront6targetE1EEEvT1_: ; @_ZN7rocprim17ROCPRIM_400000_NS6detail17trampoline_kernelINS0_14default_configENS1_25transform_config_selectorIjLb0EEEZNS1_14transform_implILb0ES3_S5_N6thrust23THRUST_200600_302600_NS6detail15normal_iteratorINS8_10device_ptrIjEEEEPjNS0_8identityIjEEEE10hipError_tT2_T3_mT4_P12ihipStream_tbEUlT_E_NS1_11comp_targetILNS1_3genE0ELNS1_11target_archE4294967295ELNS1_3gpuE0ELNS1_3repE0EEENS1_30default_config_static_selectorELNS0_4arch9wavefront6targetE1EEEvT1_
; %bb.0:
	.section	.rodata,"a",@progbits
	.p2align	6, 0x0
	.amdhsa_kernel _ZN7rocprim17ROCPRIM_400000_NS6detail17trampoline_kernelINS0_14default_configENS1_25transform_config_selectorIjLb0EEEZNS1_14transform_implILb0ES3_S5_N6thrust23THRUST_200600_302600_NS6detail15normal_iteratorINS8_10device_ptrIjEEEEPjNS0_8identityIjEEEE10hipError_tT2_T3_mT4_P12ihipStream_tbEUlT_E_NS1_11comp_targetILNS1_3genE0ELNS1_11target_archE4294967295ELNS1_3gpuE0ELNS1_3repE0EEENS1_30default_config_static_selectorELNS0_4arch9wavefront6targetE1EEEvT1_
		.amdhsa_group_segment_fixed_size 0
		.amdhsa_private_segment_fixed_size 0
		.amdhsa_kernarg_size 40
		.amdhsa_user_sgpr_count 2
		.amdhsa_user_sgpr_dispatch_ptr 0
		.amdhsa_user_sgpr_queue_ptr 0
		.amdhsa_user_sgpr_kernarg_segment_ptr 1
		.amdhsa_user_sgpr_dispatch_id 0
		.amdhsa_user_sgpr_kernarg_preload_length 0
		.amdhsa_user_sgpr_kernarg_preload_offset 0
		.amdhsa_user_sgpr_private_segment_size 0
		.amdhsa_uses_dynamic_stack 0
		.amdhsa_enable_private_segment 0
		.amdhsa_system_sgpr_workgroup_id_x 1
		.amdhsa_system_sgpr_workgroup_id_y 0
		.amdhsa_system_sgpr_workgroup_id_z 0
		.amdhsa_system_sgpr_workgroup_info 0
		.amdhsa_system_vgpr_workitem_id 0
		.amdhsa_next_free_vgpr 1
		.amdhsa_next_free_sgpr 0
		.amdhsa_accum_offset 4
		.amdhsa_reserve_vcc 0
		.amdhsa_float_round_mode_32 0
		.amdhsa_float_round_mode_16_64 0
		.amdhsa_float_denorm_mode_32 3
		.amdhsa_float_denorm_mode_16_64 3
		.amdhsa_dx10_clamp 1
		.amdhsa_ieee_mode 1
		.amdhsa_fp16_overflow 0
		.amdhsa_tg_split 0
		.amdhsa_exception_fp_ieee_invalid_op 0
		.amdhsa_exception_fp_denorm_src 0
		.amdhsa_exception_fp_ieee_div_zero 0
		.amdhsa_exception_fp_ieee_overflow 0
		.amdhsa_exception_fp_ieee_underflow 0
		.amdhsa_exception_fp_ieee_inexact 0
		.amdhsa_exception_int_div_zero 0
	.end_amdhsa_kernel
	.section	.text._ZN7rocprim17ROCPRIM_400000_NS6detail17trampoline_kernelINS0_14default_configENS1_25transform_config_selectorIjLb0EEEZNS1_14transform_implILb0ES3_S5_N6thrust23THRUST_200600_302600_NS6detail15normal_iteratorINS8_10device_ptrIjEEEEPjNS0_8identityIjEEEE10hipError_tT2_T3_mT4_P12ihipStream_tbEUlT_E_NS1_11comp_targetILNS1_3genE0ELNS1_11target_archE4294967295ELNS1_3gpuE0ELNS1_3repE0EEENS1_30default_config_static_selectorELNS0_4arch9wavefront6targetE1EEEvT1_,"axG",@progbits,_ZN7rocprim17ROCPRIM_400000_NS6detail17trampoline_kernelINS0_14default_configENS1_25transform_config_selectorIjLb0EEEZNS1_14transform_implILb0ES3_S5_N6thrust23THRUST_200600_302600_NS6detail15normal_iteratorINS8_10device_ptrIjEEEEPjNS0_8identityIjEEEE10hipError_tT2_T3_mT4_P12ihipStream_tbEUlT_E_NS1_11comp_targetILNS1_3genE0ELNS1_11target_archE4294967295ELNS1_3gpuE0ELNS1_3repE0EEENS1_30default_config_static_selectorELNS0_4arch9wavefront6targetE1EEEvT1_,comdat
.Lfunc_end1092:
	.size	_ZN7rocprim17ROCPRIM_400000_NS6detail17trampoline_kernelINS0_14default_configENS1_25transform_config_selectorIjLb0EEEZNS1_14transform_implILb0ES3_S5_N6thrust23THRUST_200600_302600_NS6detail15normal_iteratorINS8_10device_ptrIjEEEEPjNS0_8identityIjEEEE10hipError_tT2_T3_mT4_P12ihipStream_tbEUlT_E_NS1_11comp_targetILNS1_3genE0ELNS1_11target_archE4294967295ELNS1_3gpuE0ELNS1_3repE0EEENS1_30default_config_static_selectorELNS0_4arch9wavefront6targetE1EEEvT1_, .Lfunc_end1092-_ZN7rocprim17ROCPRIM_400000_NS6detail17trampoline_kernelINS0_14default_configENS1_25transform_config_selectorIjLb0EEEZNS1_14transform_implILb0ES3_S5_N6thrust23THRUST_200600_302600_NS6detail15normal_iteratorINS8_10device_ptrIjEEEEPjNS0_8identityIjEEEE10hipError_tT2_T3_mT4_P12ihipStream_tbEUlT_E_NS1_11comp_targetILNS1_3genE0ELNS1_11target_archE4294967295ELNS1_3gpuE0ELNS1_3repE0EEENS1_30default_config_static_selectorELNS0_4arch9wavefront6targetE1EEEvT1_
                                        ; -- End function
	.section	.AMDGPU.csdata,"",@progbits
; Kernel info:
; codeLenInByte = 0
; NumSgprs: 6
; NumVgprs: 0
; NumAgprs: 0
; TotalNumVgprs: 0
; ScratchSize: 0
; MemoryBound: 0
; FloatMode: 240
; IeeeMode: 1
; LDSByteSize: 0 bytes/workgroup (compile time only)
; SGPRBlocks: 0
; VGPRBlocks: 0
; NumSGPRsForWavesPerEU: 6
; NumVGPRsForWavesPerEU: 1
; AccumOffset: 4
; Occupancy: 8
; WaveLimiterHint : 0
; COMPUTE_PGM_RSRC2:SCRATCH_EN: 0
; COMPUTE_PGM_RSRC2:USER_SGPR: 2
; COMPUTE_PGM_RSRC2:TRAP_HANDLER: 0
; COMPUTE_PGM_RSRC2:TGID_X_EN: 1
; COMPUTE_PGM_RSRC2:TGID_Y_EN: 0
; COMPUTE_PGM_RSRC2:TGID_Z_EN: 0
; COMPUTE_PGM_RSRC2:TIDIG_COMP_CNT: 0
; COMPUTE_PGM_RSRC3_GFX90A:ACCUM_OFFSET: 0
; COMPUTE_PGM_RSRC3_GFX90A:TG_SPLIT: 0
	.section	.text._ZN7rocprim17ROCPRIM_400000_NS6detail17trampoline_kernelINS0_14default_configENS1_25transform_config_selectorIjLb0EEEZNS1_14transform_implILb0ES3_S5_N6thrust23THRUST_200600_302600_NS6detail15normal_iteratorINS8_10device_ptrIjEEEEPjNS0_8identityIjEEEE10hipError_tT2_T3_mT4_P12ihipStream_tbEUlT_E_NS1_11comp_targetILNS1_3genE5ELNS1_11target_archE942ELNS1_3gpuE9ELNS1_3repE0EEENS1_30default_config_static_selectorELNS0_4arch9wavefront6targetE1EEEvT1_,"axG",@progbits,_ZN7rocprim17ROCPRIM_400000_NS6detail17trampoline_kernelINS0_14default_configENS1_25transform_config_selectorIjLb0EEEZNS1_14transform_implILb0ES3_S5_N6thrust23THRUST_200600_302600_NS6detail15normal_iteratorINS8_10device_ptrIjEEEEPjNS0_8identityIjEEEE10hipError_tT2_T3_mT4_P12ihipStream_tbEUlT_E_NS1_11comp_targetILNS1_3genE5ELNS1_11target_archE942ELNS1_3gpuE9ELNS1_3repE0EEENS1_30default_config_static_selectorELNS0_4arch9wavefront6targetE1EEEvT1_,comdat
	.protected	_ZN7rocprim17ROCPRIM_400000_NS6detail17trampoline_kernelINS0_14default_configENS1_25transform_config_selectorIjLb0EEEZNS1_14transform_implILb0ES3_S5_N6thrust23THRUST_200600_302600_NS6detail15normal_iteratorINS8_10device_ptrIjEEEEPjNS0_8identityIjEEEE10hipError_tT2_T3_mT4_P12ihipStream_tbEUlT_E_NS1_11comp_targetILNS1_3genE5ELNS1_11target_archE942ELNS1_3gpuE9ELNS1_3repE0EEENS1_30default_config_static_selectorELNS0_4arch9wavefront6targetE1EEEvT1_ ; -- Begin function _ZN7rocprim17ROCPRIM_400000_NS6detail17trampoline_kernelINS0_14default_configENS1_25transform_config_selectorIjLb0EEEZNS1_14transform_implILb0ES3_S5_N6thrust23THRUST_200600_302600_NS6detail15normal_iteratorINS8_10device_ptrIjEEEEPjNS0_8identityIjEEEE10hipError_tT2_T3_mT4_P12ihipStream_tbEUlT_E_NS1_11comp_targetILNS1_3genE5ELNS1_11target_archE942ELNS1_3gpuE9ELNS1_3repE0EEENS1_30default_config_static_selectorELNS0_4arch9wavefront6targetE1EEEvT1_
	.globl	_ZN7rocprim17ROCPRIM_400000_NS6detail17trampoline_kernelINS0_14default_configENS1_25transform_config_selectorIjLb0EEEZNS1_14transform_implILb0ES3_S5_N6thrust23THRUST_200600_302600_NS6detail15normal_iteratorINS8_10device_ptrIjEEEEPjNS0_8identityIjEEEE10hipError_tT2_T3_mT4_P12ihipStream_tbEUlT_E_NS1_11comp_targetILNS1_3genE5ELNS1_11target_archE942ELNS1_3gpuE9ELNS1_3repE0EEENS1_30default_config_static_selectorELNS0_4arch9wavefront6targetE1EEEvT1_
	.p2align	8
	.type	_ZN7rocprim17ROCPRIM_400000_NS6detail17trampoline_kernelINS0_14default_configENS1_25transform_config_selectorIjLb0EEEZNS1_14transform_implILb0ES3_S5_N6thrust23THRUST_200600_302600_NS6detail15normal_iteratorINS8_10device_ptrIjEEEEPjNS0_8identityIjEEEE10hipError_tT2_T3_mT4_P12ihipStream_tbEUlT_E_NS1_11comp_targetILNS1_3genE5ELNS1_11target_archE942ELNS1_3gpuE9ELNS1_3repE0EEENS1_30default_config_static_selectorELNS0_4arch9wavefront6targetE1EEEvT1_,@function
_ZN7rocprim17ROCPRIM_400000_NS6detail17trampoline_kernelINS0_14default_configENS1_25transform_config_selectorIjLb0EEEZNS1_14transform_implILb0ES3_S5_N6thrust23THRUST_200600_302600_NS6detail15normal_iteratorINS8_10device_ptrIjEEEEPjNS0_8identityIjEEEE10hipError_tT2_T3_mT4_P12ihipStream_tbEUlT_E_NS1_11comp_targetILNS1_3genE5ELNS1_11target_archE942ELNS1_3gpuE9ELNS1_3repE0EEENS1_30default_config_static_selectorELNS0_4arch9wavefront6targetE1EEEvT1_: ; @_ZN7rocprim17ROCPRIM_400000_NS6detail17trampoline_kernelINS0_14default_configENS1_25transform_config_selectorIjLb0EEEZNS1_14transform_implILb0ES3_S5_N6thrust23THRUST_200600_302600_NS6detail15normal_iteratorINS8_10device_ptrIjEEEEPjNS0_8identityIjEEEE10hipError_tT2_T3_mT4_P12ihipStream_tbEUlT_E_NS1_11comp_targetILNS1_3genE5ELNS1_11target_archE942ELNS1_3gpuE9ELNS1_3repE0EEENS1_30default_config_static_selectorELNS0_4arch9wavefront6targetE1EEEvT1_
; %bb.0:
	s_load_dwordx8 s[4:11], s[0:1], 0x0
	s_load_dword s3, s[0:1], 0x28
	v_lshlrev_b32_e32 v6, 2, v0
	s_waitcnt lgkmcnt(0)
	s_lshl_b64 s[0:1], s[6:7], 2
	s_add_u32 s4, s4, s0
	s_addc_u32 s5, s5, s1
	s_add_u32 s14, s10, s0
	s_addc_u32 s15, s11, s1
	s_lshl_b32 s0, s2, 11
	s_mov_b32 s1, 0
	s_add_i32 s3, s3, -1
	s_lshl_b64 s[10:11], s[0:1], 2
	s_add_u32 s12, s4, s10
	s_addc_u32 s13, s5, s11
	s_cmp_lg_u32 s2, s3
	s_cbranch_scc0 .LBB1093_2
; %bb.1:
	v_mov_b32_e32 v7, 0
	v_lshl_add_u64 v[2:3], s[12:13], 0, v[6:7]
	v_add_co_u32_e32 v4, vcc, 0x1000, v2
	s_add_u32 s4, s14, s10
	s_nop 0
	v_addc_co_u32_e32 v5, vcc, 0, v3, vcc
	flat_load_dword v10, v[2:3]
	flat_load_dword v11, v[2:3] offset:2048
	flat_load_dword v12, v[4:5]
	flat_load_dword v1, v[4:5] offset:2048
	s_addc_u32 s5, s15, s11
	v_lshl_add_u64 v[8:9], s[4:5], 0, v[6:7]
	v_add_co_u32_e32 v2, vcc, 0x1000, v8
	s_nop 1
	v_addc_co_u32_e32 v3, vcc, 0, v9, vcc
	s_mov_b64 s[6:7], -1
	s_waitcnt vmcnt(0) lgkmcnt(0)
	global_store_dword v6, v10, s[4:5]
	global_store_dword v6, v11, s[4:5] offset:2048
	global_store_dword v[2:3], v12, off
	s_cbranch_execz .LBB1093_3
	s_branch .LBB1093_17
.LBB1093_2:
	s_mov_b64 s[6:7], 0
                                        ; implicit-def: $vgpr1
                                        ; implicit-def: $vgpr8_vgpr9
.LBB1093_3:
	s_sub_i32 s8, s8, s0
	v_cmp_gt_u32_e32 vcc, s8, v0
                                        ; implicit-def: $vgpr2_vgpr3_vgpr4_vgpr5
	s_and_saveexec_b64 s[0:1], vcc
	s_cbranch_execz .LBB1093_5
; %bb.4:
	v_mov_b32_e32 v7, 0
	v_lshl_add_u64 v[2:3], s[12:13], 0, v[6:7]
	flat_load_dword v2, v[2:3]
.LBB1093_5:
	s_or_b64 exec, exec, s[0:1]
	v_or_b32_e32 v1, 0x200, v0
	v_cmp_gt_u32_e64 s[0:1], s8, v1
	s_and_saveexec_b64 s[2:3], s[0:1]
	s_cbranch_execz .LBB1093_7
; %bb.6:
	v_mov_b32_e32 v7, 0
	v_lshl_add_u64 v[8:9], s[12:13], 0, v[6:7]
	flat_load_dword v3, v[8:9] offset:2048
.LBB1093_7:
	s_or_b64 exec, exec, s[2:3]
	v_or_b32_e32 v1, 0x400, v0
	v_cmp_gt_u32_e64 s[2:3], s8, v1
	s_and_saveexec_b64 s[4:5], s[2:3]
	s_cbranch_execz .LBB1093_9
; %bb.8:
	v_lshlrev_b32_e32 v8, 2, v1
	v_mov_b32_e32 v9, 0
	v_lshl_add_u64 v[8:9], s[12:13], 0, v[8:9]
	flat_load_dword v4, v[8:9]
.LBB1093_9:
	s_or_b64 exec, exec, s[4:5]
	v_or_b32_e32 v0, 0x600, v0
	v_cmp_gt_u32_e64 s[4:5], s8, v0
	s_and_saveexec_b64 s[8:9], s[4:5]
	s_cbranch_execz .LBB1093_11
; %bb.10:
	v_lshlrev_b32_e32 v0, 2, v0
	v_mov_b32_e32 v1, 0
	v_lshl_add_u64 v[0:1], s[12:13], 0, v[0:1]
	flat_load_dword v5, v[0:1]
.LBB1093_11:
	s_or_b64 exec, exec, s[8:9]
	s_add_u32 s8, s14, s10
	s_addc_u32 s9, s15, s11
	v_mov_b32_e32 v7, 0
	v_lshl_add_u64 v[8:9], s[8:9], 0, v[6:7]
	s_and_saveexec_b64 s[8:9], vcc
	s_cbranch_execnz .LBB1093_20
; %bb.12:
	s_or_b64 exec, exec, s[8:9]
	s_and_saveexec_b64 s[8:9], s[0:1]
	s_cbranch_execnz .LBB1093_21
.LBB1093_13:
	s_or_b64 exec, exec, s[8:9]
	s_and_saveexec_b64 s[0:1], s[2:3]
	s_cbranch_execnz .LBB1093_22
.LBB1093_14:
	s_or_b64 exec, exec, s[0:1]
                                        ; implicit-def: $vgpr1
	s_and_saveexec_b64 s[0:1], s[4:5]
	s_cbranch_execz .LBB1093_16
.LBB1093_15:
	s_waitcnt vmcnt(0) lgkmcnt(0)
	v_cndmask_b32_e64 v1, v5, v5, s[4:5]
	s_or_b64 s[6:7], s[6:7], exec
.LBB1093_16:
	s_or_b64 exec, exec, s[0:1]
.LBB1093_17:
	s_and_saveexec_b64 s[0:1], s[6:7]
	s_cbranch_execnz .LBB1093_19
; %bb.18:
	s_endpgm
.LBB1093_19:
	s_waitcnt vmcnt(0) lgkmcnt(0)
	v_add_co_u32_e32 v2, vcc, 0x1000, v8
	s_nop 1
	v_addc_co_u32_e32 v3, vcc, 0, v9, vcc
	global_store_dword v[2:3], v1, off offset:2048
	s_endpgm
.LBB1093_20:
	s_waitcnt vmcnt(0) lgkmcnt(0)
	global_store_dword v[8:9], v2, off
	s_or_b64 exec, exec, s[8:9]
	s_and_saveexec_b64 s[8:9], s[0:1]
	s_cbranch_execz .LBB1093_13
.LBB1093_21:
	s_waitcnt vmcnt(0) lgkmcnt(0)
	global_store_dword v[8:9], v3, off offset:2048
	s_or_b64 exec, exec, s[8:9]
	s_and_saveexec_b64 s[0:1], s[2:3]
	s_cbranch_execz .LBB1093_14
.LBB1093_22:
	v_add_co_u32_e32 v0, vcc, 0x1000, v8
	s_waitcnt vmcnt(0) lgkmcnt(0)
	v_cndmask_b32_e64 v2, v4, v4, s[2:3]
	v_addc_co_u32_e32 v1, vcc, 0, v9, vcc
	global_store_dword v[0:1], v2, off
	s_or_b64 exec, exec, s[0:1]
                                        ; implicit-def: $vgpr1
	s_and_saveexec_b64 s[0:1], s[4:5]
	s_cbranch_execnz .LBB1093_15
	s_branch .LBB1093_16
	.section	.rodata,"a",@progbits
	.p2align	6, 0x0
	.amdhsa_kernel _ZN7rocprim17ROCPRIM_400000_NS6detail17trampoline_kernelINS0_14default_configENS1_25transform_config_selectorIjLb0EEEZNS1_14transform_implILb0ES3_S5_N6thrust23THRUST_200600_302600_NS6detail15normal_iteratorINS8_10device_ptrIjEEEEPjNS0_8identityIjEEEE10hipError_tT2_T3_mT4_P12ihipStream_tbEUlT_E_NS1_11comp_targetILNS1_3genE5ELNS1_11target_archE942ELNS1_3gpuE9ELNS1_3repE0EEENS1_30default_config_static_selectorELNS0_4arch9wavefront6targetE1EEEvT1_
		.amdhsa_group_segment_fixed_size 0
		.amdhsa_private_segment_fixed_size 0
		.amdhsa_kernarg_size 296
		.amdhsa_user_sgpr_count 2
		.amdhsa_user_sgpr_dispatch_ptr 0
		.amdhsa_user_sgpr_queue_ptr 0
		.amdhsa_user_sgpr_kernarg_segment_ptr 1
		.amdhsa_user_sgpr_dispatch_id 0
		.amdhsa_user_sgpr_kernarg_preload_length 0
		.amdhsa_user_sgpr_kernarg_preload_offset 0
		.amdhsa_user_sgpr_private_segment_size 0
		.amdhsa_uses_dynamic_stack 0
		.amdhsa_enable_private_segment 0
		.amdhsa_system_sgpr_workgroup_id_x 1
		.amdhsa_system_sgpr_workgroup_id_y 0
		.amdhsa_system_sgpr_workgroup_id_z 0
		.amdhsa_system_sgpr_workgroup_info 0
		.amdhsa_system_vgpr_workitem_id 0
		.amdhsa_next_free_vgpr 13
		.amdhsa_next_free_sgpr 16
		.amdhsa_accum_offset 16
		.amdhsa_reserve_vcc 1
		.amdhsa_float_round_mode_32 0
		.amdhsa_float_round_mode_16_64 0
		.amdhsa_float_denorm_mode_32 3
		.amdhsa_float_denorm_mode_16_64 3
		.amdhsa_dx10_clamp 1
		.amdhsa_ieee_mode 1
		.amdhsa_fp16_overflow 0
		.amdhsa_tg_split 0
		.amdhsa_exception_fp_ieee_invalid_op 0
		.amdhsa_exception_fp_denorm_src 0
		.amdhsa_exception_fp_ieee_div_zero 0
		.amdhsa_exception_fp_ieee_overflow 0
		.amdhsa_exception_fp_ieee_underflow 0
		.amdhsa_exception_fp_ieee_inexact 0
		.amdhsa_exception_int_div_zero 0
	.end_amdhsa_kernel
	.section	.text._ZN7rocprim17ROCPRIM_400000_NS6detail17trampoline_kernelINS0_14default_configENS1_25transform_config_selectorIjLb0EEEZNS1_14transform_implILb0ES3_S5_N6thrust23THRUST_200600_302600_NS6detail15normal_iteratorINS8_10device_ptrIjEEEEPjNS0_8identityIjEEEE10hipError_tT2_T3_mT4_P12ihipStream_tbEUlT_E_NS1_11comp_targetILNS1_3genE5ELNS1_11target_archE942ELNS1_3gpuE9ELNS1_3repE0EEENS1_30default_config_static_selectorELNS0_4arch9wavefront6targetE1EEEvT1_,"axG",@progbits,_ZN7rocprim17ROCPRIM_400000_NS6detail17trampoline_kernelINS0_14default_configENS1_25transform_config_selectorIjLb0EEEZNS1_14transform_implILb0ES3_S5_N6thrust23THRUST_200600_302600_NS6detail15normal_iteratorINS8_10device_ptrIjEEEEPjNS0_8identityIjEEEE10hipError_tT2_T3_mT4_P12ihipStream_tbEUlT_E_NS1_11comp_targetILNS1_3genE5ELNS1_11target_archE942ELNS1_3gpuE9ELNS1_3repE0EEENS1_30default_config_static_selectorELNS0_4arch9wavefront6targetE1EEEvT1_,comdat
.Lfunc_end1093:
	.size	_ZN7rocprim17ROCPRIM_400000_NS6detail17trampoline_kernelINS0_14default_configENS1_25transform_config_selectorIjLb0EEEZNS1_14transform_implILb0ES3_S5_N6thrust23THRUST_200600_302600_NS6detail15normal_iteratorINS8_10device_ptrIjEEEEPjNS0_8identityIjEEEE10hipError_tT2_T3_mT4_P12ihipStream_tbEUlT_E_NS1_11comp_targetILNS1_3genE5ELNS1_11target_archE942ELNS1_3gpuE9ELNS1_3repE0EEENS1_30default_config_static_selectorELNS0_4arch9wavefront6targetE1EEEvT1_, .Lfunc_end1093-_ZN7rocprim17ROCPRIM_400000_NS6detail17trampoline_kernelINS0_14default_configENS1_25transform_config_selectorIjLb0EEEZNS1_14transform_implILb0ES3_S5_N6thrust23THRUST_200600_302600_NS6detail15normal_iteratorINS8_10device_ptrIjEEEEPjNS0_8identityIjEEEE10hipError_tT2_T3_mT4_P12ihipStream_tbEUlT_E_NS1_11comp_targetILNS1_3genE5ELNS1_11target_archE942ELNS1_3gpuE9ELNS1_3repE0EEENS1_30default_config_static_selectorELNS0_4arch9wavefront6targetE1EEEvT1_
                                        ; -- End function
	.section	.AMDGPU.csdata,"",@progbits
; Kernel info:
; codeLenInByte = 628
; NumSgprs: 22
; NumVgprs: 13
; NumAgprs: 0
; TotalNumVgprs: 13
; ScratchSize: 0
; MemoryBound: 0
; FloatMode: 240
; IeeeMode: 1
; LDSByteSize: 0 bytes/workgroup (compile time only)
; SGPRBlocks: 2
; VGPRBlocks: 1
; NumSGPRsForWavesPerEU: 22
; NumVGPRsForWavesPerEU: 13
; AccumOffset: 16
; Occupancy: 8
; WaveLimiterHint : 1
; COMPUTE_PGM_RSRC2:SCRATCH_EN: 0
; COMPUTE_PGM_RSRC2:USER_SGPR: 2
; COMPUTE_PGM_RSRC2:TRAP_HANDLER: 0
; COMPUTE_PGM_RSRC2:TGID_X_EN: 1
; COMPUTE_PGM_RSRC2:TGID_Y_EN: 0
; COMPUTE_PGM_RSRC2:TGID_Z_EN: 0
; COMPUTE_PGM_RSRC2:TIDIG_COMP_CNT: 0
; COMPUTE_PGM_RSRC3_GFX90A:ACCUM_OFFSET: 3
; COMPUTE_PGM_RSRC3_GFX90A:TG_SPLIT: 0
	.section	.text._ZN7rocprim17ROCPRIM_400000_NS6detail17trampoline_kernelINS0_14default_configENS1_25transform_config_selectorIjLb0EEEZNS1_14transform_implILb0ES3_S5_N6thrust23THRUST_200600_302600_NS6detail15normal_iteratorINS8_10device_ptrIjEEEEPjNS0_8identityIjEEEE10hipError_tT2_T3_mT4_P12ihipStream_tbEUlT_E_NS1_11comp_targetILNS1_3genE4ELNS1_11target_archE910ELNS1_3gpuE8ELNS1_3repE0EEENS1_30default_config_static_selectorELNS0_4arch9wavefront6targetE1EEEvT1_,"axG",@progbits,_ZN7rocprim17ROCPRIM_400000_NS6detail17trampoline_kernelINS0_14default_configENS1_25transform_config_selectorIjLb0EEEZNS1_14transform_implILb0ES3_S5_N6thrust23THRUST_200600_302600_NS6detail15normal_iteratorINS8_10device_ptrIjEEEEPjNS0_8identityIjEEEE10hipError_tT2_T3_mT4_P12ihipStream_tbEUlT_E_NS1_11comp_targetILNS1_3genE4ELNS1_11target_archE910ELNS1_3gpuE8ELNS1_3repE0EEENS1_30default_config_static_selectorELNS0_4arch9wavefront6targetE1EEEvT1_,comdat
	.protected	_ZN7rocprim17ROCPRIM_400000_NS6detail17trampoline_kernelINS0_14default_configENS1_25transform_config_selectorIjLb0EEEZNS1_14transform_implILb0ES3_S5_N6thrust23THRUST_200600_302600_NS6detail15normal_iteratorINS8_10device_ptrIjEEEEPjNS0_8identityIjEEEE10hipError_tT2_T3_mT4_P12ihipStream_tbEUlT_E_NS1_11comp_targetILNS1_3genE4ELNS1_11target_archE910ELNS1_3gpuE8ELNS1_3repE0EEENS1_30default_config_static_selectorELNS0_4arch9wavefront6targetE1EEEvT1_ ; -- Begin function _ZN7rocprim17ROCPRIM_400000_NS6detail17trampoline_kernelINS0_14default_configENS1_25transform_config_selectorIjLb0EEEZNS1_14transform_implILb0ES3_S5_N6thrust23THRUST_200600_302600_NS6detail15normal_iteratorINS8_10device_ptrIjEEEEPjNS0_8identityIjEEEE10hipError_tT2_T3_mT4_P12ihipStream_tbEUlT_E_NS1_11comp_targetILNS1_3genE4ELNS1_11target_archE910ELNS1_3gpuE8ELNS1_3repE0EEENS1_30default_config_static_selectorELNS0_4arch9wavefront6targetE1EEEvT1_
	.globl	_ZN7rocprim17ROCPRIM_400000_NS6detail17trampoline_kernelINS0_14default_configENS1_25transform_config_selectorIjLb0EEEZNS1_14transform_implILb0ES3_S5_N6thrust23THRUST_200600_302600_NS6detail15normal_iteratorINS8_10device_ptrIjEEEEPjNS0_8identityIjEEEE10hipError_tT2_T3_mT4_P12ihipStream_tbEUlT_E_NS1_11comp_targetILNS1_3genE4ELNS1_11target_archE910ELNS1_3gpuE8ELNS1_3repE0EEENS1_30default_config_static_selectorELNS0_4arch9wavefront6targetE1EEEvT1_
	.p2align	8
	.type	_ZN7rocprim17ROCPRIM_400000_NS6detail17trampoline_kernelINS0_14default_configENS1_25transform_config_selectorIjLb0EEEZNS1_14transform_implILb0ES3_S5_N6thrust23THRUST_200600_302600_NS6detail15normal_iteratorINS8_10device_ptrIjEEEEPjNS0_8identityIjEEEE10hipError_tT2_T3_mT4_P12ihipStream_tbEUlT_E_NS1_11comp_targetILNS1_3genE4ELNS1_11target_archE910ELNS1_3gpuE8ELNS1_3repE0EEENS1_30default_config_static_selectorELNS0_4arch9wavefront6targetE1EEEvT1_,@function
_ZN7rocprim17ROCPRIM_400000_NS6detail17trampoline_kernelINS0_14default_configENS1_25transform_config_selectorIjLb0EEEZNS1_14transform_implILb0ES3_S5_N6thrust23THRUST_200600_302600_NS6detail15normal_iteratorINS8_10device_ptrIjEEEEPjNS0_8identityIjEEEE10hipError_tT2_T3_mT4_P12ihipStream_tbEUlT_E_NS1_11comp_targetILNS1_3genE4ELNS1_11target_archE910ELNS1_3gpuE8ELNS1_3repE0EEENS1_30default_config_static_selectorELNS0_4arch9wavefront6targetE1EEEvT1_: ; @_ZN7rocprim17ROCPRIM_400000_NS6detail17trampoline_kernelINS0_14default_configENS1_25transform_config_selectorIjLb0EEEZNS1_14transform_implILb0ES3_S5_N6thrust23THRUST_200600_302600_NS6detail15normal_iteratorINS8_10device_ptrIjEEEEPjNS0_8identityIjEEEE10hipError_tT2_T3_mT4_P12ihipStream_tbEUlT_E_NS1_11comp_targetILNS1_3genE4ELNS1_11target_archE910ELNS1_3gpuE8ELNS1_3repE0EEENS1_30default_config_static_selectorELNS0_4arch9wavefront6targetE1EEEvT1_
; %bb.0:
	.section	.rodata,"a",@progbits
	.p2align	6, 0x0
	.amdhsa_kernel _ZN7rocprim17ROCPRIM_400000_NS6detail17trampoline_kernelINS0_14default_configENS1_25transform_config_selectorIjLb0EEEZNS1_14transform_implILb0ES3_S5_N6thrust23THRUST_200600_302600_NS6detail15normal_iteratorINS8_10device_ptrIjEEEEPjNS0_8identityIjEEEE10hipError_tT2_T3_mT4_P12ihipStream_tbEUlT_E_NS1_11comp_targetILNS1_3genE4ELNS1_11target_archE910ELNS1_3gpuE8ELNS1_3repE0EEENS1_30default_config_static_selectorELNS0_4arch9wavefront6targetE1EEEvT1_
		.amdhsa_group_segment_fixed_size 0
		.amdhsa_private_segment_fixed_size 0
		.amdhsa_kernarg_size 40
		.amdhsa_user_sgpr_count 2
		.amdhsa_user_sgpr_dispatch_ptr 0
		.amdhsa_user_sgpr_queue_ptr 0
		.amdhsa_user_sgpr_kernarg_segment_ptr 1
		.amdhsa_user_sgpr_dispatch_id 0
		.amdhsa_user_sgpr_kernarg_preload_length 0
		.amdhsa_user_sgpr_kernarg_preload_offset 0
		.amdhsa_user_sgpr_private_segment_size 0
		.amdhsa_uses_dynamic_stack 0
		.amdhsa_enable_private_segment 0
		.amdhsa_system_sgpr_workgroup_id_x 1
		.amdhsa_system_sgpr_workgroup_id_y 0
		.amdhsa_system_sgpr_workgroup_id_z 0
		.amdhsa_system_sgpr_workgroup_info 0
		.amdhsa_system_vgpr_workitem_id 0
		.amdhsa_next_free_vgpr 1
		.amdhsa_next_free_sgpr 0
		.amdhsa_accum_offset 4
		.amdhsa_reserve_vcc 0
		.amdhsa_float_round_mode_32 0
		.amdhsa_float_round_mode_16_64 0
		.amdhsa_float_denorm_mode_32 3
		.amdhsa_float_denorm_mode_16_64 3
		.amdhsa_dx10_clamp 1
		.amdhsa_ieee_mode 1
		.amdhsa_fp16_overflow 0
		.amdhsa_tg_split 0
		.amdhsa_exception_fp_ieee_invalid_op 0
		.amdhsa_exception_fp_denorm_src 0
		.amdhsa_exception_fp_ieee_div_zero 0
		.amdhsa_exception_fp_ieee_overflow 0
		.amdhsa_exception_fp_ieee_underflow 0
		.amdhsa_exception_fp_ieee_inexact 0
		.amdhsa_exception_int_div_zero 0
	.end_amdhsa_kernel
	.section	.text._ZN7rocprim17ROCPRIM_400000_NS6detail17trampoline_kernelINS0_14default_configENS1_25transform_config_selectorIjLb0EEEZNS1_14transform_implILb0ES3_S5_N6thrust23THRUST_200600_302600_NS6detail15normal_iteratorINS8_10device_ptrIjEEEEPjNS0_8identityIjEEEE10hipError_tT2_T3_mT4_P12ihipStream_tbEUlT_E_NS1_11comp_targetILNS1_3genE4ELNS1_11target_archE910ELNS1_3gpuE8ELNS1_3repE0EEENS1_30default_config_static_selectorELNS0_4arch9wavefront6targetE1EEEvT1_,"axG",@progbits,_ZN7rocprim17ROCPRIM_400000_NS6detail17trampoline_kernelINS0_14default_configENS1_25transform_config_selectorIjLb0EEEZNS1_14transform_implILb0ES3_S5_N6thrust23THRUST_200600_302600_NS6detail15normal_iteratorINS8_10device_ptrIjEEEEPjNS0_8identityIjEEEE10hipError_tT2_T3_mT4_P12ihipStream_tbEUlT_E_NS1_11comp_targetILNS1_3genE4ELNS1_11target_archE910ELNS1_3gpuE8ELNS1_3repE0EEENS1_30default_config_static_selectorELNS0_4arch9wavefront6targetE1EEEvT1_,comdat
.Lfunc_end1094:
	.size	_ZN7rocprim17ROCPRIM_400000_NS6detail17trampoline_kernelINS0_14default_configENS1_25transform_config_selectorIjLb0EEEZNS1_14transform_implILb0ES3_S5_N6thrust23THRUST_200600_302600_NS6detail15normal_iteratorINS8_10device_ptrIjEEEEPjNS0_8identityIjEEEE10hipError_tT2_T3_mT4_P12ihipStream_tbEUlT_E_NS1_11comp_targetILNS1_3genE4ELNS1_11target_archE910ELNS1_3gpuE8ELNS1_3repE0EEENS1_30default_config_static_selectorELNS0_4arch9wavefront6targetE1EEEvT1_, .Lfunc_end1094-_ZN7rocprim17ROCPRIM_400000_NS6detail17trampoline_kernelINS0_14default_configENS1_25transform_config_selectorIjLb0EEEZNS1_14transform_implILb0ES3_S5_N6thrust23THRUST_200600_302600_NS6detail15normal_iteratorINS8_10device_ptrIjEEEEPjNS0_8identityIjEEEE10hipError_tT2_T3_mT4_P12ihipStream_tbEUlT_E_NS1_11comp_targetILNS1_3genE4ELNS1_11target_archE910ELNS1_3gpuE8ELNS1_3repE0EEENS1_30default_config_static_selectorELNS0_4arch9wavefront6targetE1EEEvT1_
                                        ; -- End function
	.section	.AMDGPU.csdata,"",@progbits
; Kernel info:
; codeLenInByte = 0
; NumSgprs: 6
; NumVgprs: 0
; NumAgprs: 0
; TotalNumVgprs: 0
; ScratchSize: 0
; MemoryBound: 0
; FloatMode: 240
; IeeeMode: 1
; LDSByteSize: 0 bytes/workgroup (compile time only)
; SGPRBlocks: 0
; VGPRBlocks: 0
; NumSGPRsForWavesPerEU: 6
; NumVGPRsForWavesPerEU: 1
; AccumOffset: 4
; Occupancy: 8
; WaveLimiterHint : 0
; COMPUTE_PGM_RSRC2:SCRATCH_EN: 0
; COMPUTE_PGM_RSRC2:USER_SGPR: 2
; COMPUTE_PGM_RSRC2:TRAP_HANDLER: 0
; COMPUTE_PGM_RSRC2:TGID_X_EN: 1
; COMPUTE_PGM_RSRC2:TGID_Y_EN: 0
; COMPUTE_PGM_RSRC2:TGID_Z_EN: 0
; COMPUTE_PGM_RSRC2:TIDIG_COMP_CNT: 0
; COMPUTE_PGM_RSRC3_GFX90A:ACCUM_OFFSET: 0
; COMPUTE_PGM_RSRC3_GFX90A:TG_SPLIT: 0
	.section	.text._ZN7rocprim17ROCPRIM_400000_NS6detail17trampoline_kernelINS0_14default_configENS1_25transform_config_selectorIjLb0EEEZNS1_14transform_implILb0ES3_S5_N6thrust23THRUST_200600_302600_NS6detail15normal_iteratorINS8_10device_ptrIjEEEEPjNS0_8identityIjEEEE10hipError_tT2_T3_mT4_P12ihipStream_tbEUlT_E_NS1_11comp_targetILNS1_3genE3ELNS1_11target_archE908ELNS1_3gpuE7ELNS1_3repE0EEENS1_30default_config_static_selectorELNS0_4arch9wavefront6targetE1EEEvT1_,"axG",@progbits,_ZN7rocprim17ROCPRIM_400000_NS6detail17trampoline_kernelINS0_14default_configENS1_25transform_config_selectorIjLb0EEEZNS1_14transform_implILb0ES3_S5_N6thrust23THRUST_200600_302600_NS6detail15normal_iteratorINS8_10device_ptrIjEEEEPjNS0_8identityIjEEEE10hipError_tT2_T3_mT4_P12ihipStream_tbEUlT_E_NS1_11comp_targetILNS1_3genE3ELNS1_11target_archE908ELNS1_3gpuE7ELNS1_3repE0EEENS1_30default_config_static_selectorELNS0_4arch9wavefront6targetE1EEEvT1_,comdat
	.protected	_ZN7rocprim17ROCPRIM_400000_NS6detail17trampoline_kernelINS0_14default_configENS1_25transform_config_selectorIjLb0EEEZNS1_14transform_implILb0ES3_S5_N6thrust23THRUST_200600_302600_NS6detail15normal_iteratorINS8_10device_ptrIjEEEEPjNS0_8identityIjEEEE10hipError_tT2_T3_mT4_P12ihipStream_tbEUlT_E_NS1_11comp_targetILNS1_3genE3ELNS1_11target_archE908ELNS1_3gpuE7ELNS1_3repE0EEENS1_30default_config_static_selectorELNS0_4arch9wavefront6targetE1EEEvT1_ ; -- Begin function _ZN7rocprim17ROCPRIM_400000_NS6detail17trampoline_kernelINS0_14default_configENS1_25transform_config_selectorIjLb0EEEZNS1_14transform_implILb0ES3_S5_N6thrust23THRUST_200600_302600_NS6detail15normal_iteratorINS8_10device_ptrIjEEEEPjNS0_8identityIjEEEE10hipError_tT2_T3_mT4_P12ihipStream_tbEUlT_E_NS1_11comp_targetILNS1_3genE3ELNS1_11target_archE908ELNS1_3gpuE7ELNS1_3repE0EEENS1_30default_config_static_selectorELNS0_4arch9wavefront6targetE1EEEvT1_
	.globl	_ZN7rocprim17ROCPRIM_400000_NS6detail17trampoline_kernelINS0_14default_configENS1_25transform_config_selectorIjLb0EEEZNS1_14transform_implILb0ES3_S5_N6thrust23THRUST_200600_302600_NS6detail15normal_iteratorINS8_10device_ptrIjEEEEPjNS0_8identityIjEEEE10hipError_tT2_T3_mT4_P12ihipStream_tbEUlT_E_NS1_11comp_targetILNS1_3genE3ELNS1_11target_archE908ELNS1_3gpuE7ELNS1_3repE0EEENS1_30default_config_static_selectorELNS0_4arch9wavefront6targetE1EEEvT1_
	.p2align	8
	.type	_ZN7rocprim17ROCPRIM_400000_NS6detail17trampoline_kernelINS0_14default_configENS1_25transform_config_selectorIjLb0EEEZNS1_14transform_implILb0ES3_S5_N6thrust23THRUST_200600_302600_NS6detail15normal_iteratorINS8_10device_ptrIjEEEEPjNS0_8identityIjEEEE10hipError_tT2_T3_mT4_P12ihipStream_tbEUlT_E_NS1_11comp_targetILNS1_3genE3ELNS1_11target_archE908ELNS1_3gpuE7ELNS1_3repE0EEENS1_30default_config_static_selectorELNS0_4arch9wavefront6targetE1EEEvT1_,@function
_ZN7rocprim17ROCPRIM_400000_NS6detail17trampoline_kernelINS0_14default_configENS1_25transform_config_selectorIjLb0EEEZNS1_14transform_implILb0ES3_S5_N6thrust23THRUST_200600_302600_NS6detail15normal_iteratorINS8_10device_ptrIjEEEEPjNS0_8identityIjEEEE10hipError_tT2_T3_mT4_P12ihipStream_tbEUlT_E_NS1_11comp_targetILNS1_3genE3ELNS1_11target_archE908ELNS1_3gpuE7ELNS1_3repE0EEENS1_30default_config_static_selectorELNS0_4arch9wavefront6targetE1EEEvT1_: ; @_ZN7rocprim17ROCPRIM_400000_NS6detail17trampoline_kernelINS0_14default_configENS1_25transform_config_selectorIjLb0EEEZNS1_14transform_implILb0ES3_S5_N6thrust23THRUST_200600_302600_NS6detail15normal_iteratorINS8_10device_ptrIjEEEEPjNS0_8identityIjEEEE10hipError_tT2_T3_mT4_P12ihipStream_tbEUlT_E_NS1_11comp_targetILNS1_3genE3ELNS1_11target_archE908ELNS1_3gpuE7ELNS1_3repE0EEENS1_30default_config_static_selectorELNS0_4arch9wavefront6targetE1EEEvT1_
; %bb.0:
	.section	.rodata,"a",@progbits
	.p2align	6, 0x0
	.amdhsa_kernel _ZN7rocprim17ROCPRIM_400000_NS6detail17trampoline_kernelINS0_14default_configENS1_25transform_config_selectorIjLb0EEEZNS1_14transform_implILb0ES3_S5_N6thrust23THRUST_200600_302600_NS6detail15normal_iteratorINS8_10device_ptrIjEEEEPjNS0_8identityIjEEEE10hipError_tT2_T3_mT4_P12ihipStream_tbEUlT_E_NS1_11comp_targetILNS1_3genE3ELNS1_11target_archE908ELNS1_3gpuE7ELNS1_3repE0EEENS1_30default_config_static_selectorELNS0_4arch9wavefront6targetE1EEEvT1_
		.amdhsa_group_segment_fixed_size 0
		.amdhsa_private_segment_fixed_size 0
		.amdhsa_kernarg_size 40
		.amdhsa_user_sgpr_count 2
		.amdhsa_user_sgpr_dispatch_ptr 0
		.amdhsa_user_sgpr_queue_ptr 0
		.amdhsa_user_sgpr_kernarg_segment_ptr 1
		.amdhsa_user_sgpr_dispatch_id 0
		.amdhsa_user_sgpr_kernarg_preload_length 0
		.amdhsa_user_sgpr_kernarg_preload_offset 0
		.amdhsa_user_sgpr_private_segment_size 0
		.amdhsa_uses_dynamic_stack 0
		.amdhsa_enable_private_segment 0
		.amdhsa_system_sgpr_workgroup_id_x 1
		.amdhsa_system_sgpr_workgroup_id_y 0
		.amdhsa_system_sgpr_workgroup_id_z 0
		.amdhsa_system_sgpr_workgroup_info 0
		.amdhsa_system_vgpr_workitem_id 0
		.amdhsa_next_free_vgpr 1
		.amdhsa_next_free_sgpr 0
		.amdhsa_accum_offset 4
		.amdhsa_reserve_vcc 0
		.amdhsa_float_round_mode_32 0
		.amdhsa_float_round_mode_16_64 0
		.amdhsa_float_denorm_mode_32 3
		.amdhsa_float_denorm_mode_16_64 3
		.amdhsa_dx10_clamp 1
		.amdhsa_ieee_mode 1
		.amdhsa_fp16_overflow 0
		.amdhsa_tg_split 0
		.amdhsa_exception_fp_ieee_invalid_op 0
		.amdhsa_exception_fp_denorm_src 0
		.amdhsa_exception_fp_ieee_div_zero 0
		.amdhsa_exception_fp_ieee_overflow 0
		.amdhsa_exception_fp_ieee_underflow 0
		.amdhsa_exception_fp_ieee_inexact 0
		.amdhsa_exception_int_div_zero 0
	.end_amdhsa_kernel
	.section	.text._ZN7rocprim17ROCPRIM_400000_NS6detail17trampoline_kernelINS0_14default_configENS1_25transform_config_selectorIjLb0EEEZNS1_14transform_implILb0ES3_S5_N6thrust23THRUST_200600_302600_NS6detail15normal_iteratorINS8_10device_ptrIjEEEEPjNS0_8identityIjEEEE10hipError_tT2_T3_mT4_P12ihipStream_tbEUlT_E_NS1_11comp_targetILNS1_3genE3ELNS1_11target_archE908ELNS1_3gpuE7ELNS1_3repE0EEENS1_30default_config_static_selectorELNS0_4arch9wavefront6targetE1EEEvT1_,"axG",@progbits,_ZN7rocprim17ROCPRIM_400000_NS6detail17trampoline_kernelINS0_14default_configENS1_25transform_config_selectorIjLb0EEEZNS1_14transform_implILb0ES3_S5_N6thrust23THRUST_200600_302600_NS6detail15normal_iteratorINS8_10device_ptrIjEEEEPjNS0_8identityIjEEEE10hipError_tT2_T3_mT4_P12ihipStream_tbEUlT_E_NS1_11comp_targetILNS1_3genE3ELNS1_11target_archE908ELNS1_3gpuE7ELNS1_3repE0EEENS1_30default_config_static_selectorELNS0_4arch9wavefront6targetE1EEEvT1_,comdat
.Lfunc_end1095:
	.size	_ZN7rocprim17ROCPRIM_400000_NS6detail17trampoline_kernelINS0_14default_configENS1_25transform_config_selectorIjLb0EEEZNS1_14transform_implILb0ES3_S5_N6thrust23THRUST_200600_302600_NS6detail15normal_iteratorINS8_10device_ptrIjEEEEPjNS0_8identityIjEEEE10hipError_tT2_T3_mT4_P12ihipStream_tbEUlT_E_NS1_11comp_targetILNS1_3genE3ELNS1_11target_archE908ELNS1_3gpuE7ELNS1_3repE0EEENS1_30default_config_static_selectorELNS0_4arch9wavefront6targetE1EEEvT1_, .Lfunc_end1095-_ZN7rocprim17ROCPRIM_400000_NS6detail17trampoline_kernelINS0_14default_configENS1_25transform_config_selectorIjLb0EEEZNS1_14transform_implILb0ES3_S5_N6thrust23THRUST_200600_302600_NS6detail15normal_iteratorINS8_10device_ptrIjEEEEPjNS0_8identityIjEEEE10hipError_tT2_T3_mT4_P12ihipStream_tbEUlT_E_NS1_11comp_targetILNS1_3genE3ELNS1_11target_archE908ELNS1_3gpuE7ELNS1_3repE0EEENS1_30default_config_static_selectorELNS0_4arch9wavefront6targetE1EEEvT1_
                                        ; -- End function
	.section	.AMDGPU.csdata,"",@progbits
; Kernel info:
; codeLenInByte = 0
; NumSgprs: 6
; NumVgprs: 0
; NumAgprs: 0
; TotalNumVgprs: 0
; ScratchSize: 0
; MemoryBound: 0
; FloatMode: 240
; IeeeMode: 1
; LDSByteSize: 0 bytes/workgroup (compile time only)
; SGPRBlocks: 0
; VGPRBlocks: 0
; NumSGPRsForWavesPerEU: 6
; NumVGPRsForWavesPerEU: 1
; AccumOffset: 4
; Occupancy: 8
; WaveLimiterHint : 0
; COMPUTE_PGM_RSRC2:SCRATCH_EN: 0
; COMPUTE_PGM_RSRC2:USER_SGPR: 2
; COMPUTE_PGM_RSRC2:TRAP_HANDLER: 0
; COMPUTE_PGM_RSRC2:TGID_X_EN: 1
; COMPUTE_PGM_RSRC2:TGID_Y_EN: 0
; COMPUTE_PGM_RSRC2:TGID_Z_EN: 0
; COMPUTE_PGM_RSRC2:TIDIG_COMP_CNT: 0
; COMPUTE_PGM_RSRC3_GFX90A:ACCUM_OFFSET: 0
; COMPUTE_PGM_RSRC3_GFX90A:TG_SPLIT: 0
	.section	.text._ZN7rocprim17ROCPRIM_400000_NS6detail17trampoline_kernelINS0_14default_configENS1_25transform_config_selectorIjLb0EEEZNS1_14transform_implILb0ES3_S5_N6thrust23THRUST_200600_302600_NS6detail15normal_iteratorINS8_10device_ptrIjEEEEPjNS0_8identityIjEEEE10hipError_tT2_T3_mT4_P12ihipStream_tbEUlT_E_NS1_11comp_targetILNS1_3genE2ELNS1_11target_archE906ELNS1_3gpuE6ELNS1_3repE0EEENS1_30default_config_static_selectorELNS0_4arch9wavefront6targetE1EEEvT1_,"axG",@progbits,_ZN7rocprim17ROCPRIM_400000_NS6detail17trampoline_kernelINS0_14default_configENS1_25transform_config_selectorIjLb0EEEZNS1_14transform_implILb0ES3_S5_N6thrust23THRUST_200600_302600_NS6detail15normal_iteratorINS8_10device_ptrIjEEEEPjNS0_8identityIjEEEE10hipError_tT2_T3_mT4_P12ihipStream_tbEUlT_E_NS1_11comp_targetILNS1_3genE2ELNS1_11target_archE906ELNS1_3gpuE6ELNS1_3repE0EEENS1_30default_config_static_selectorELNS0_4arch9wavefront6targetE1EEEvT1_,comdat
	.protected	_ZN7rocprim17ROCPRIM_400000_NS6detail17trampoline_kernelINS0_14default_configENS1_25transform_config_selectorIjLb0EEEZNS1_14transform_implILb0ES3_S5_N6thrust23THRUST_200600_302600_NS6detail15normal_iteratorINS8_10device_ptrIjEEEEPjNS0_8identityIjEEEE10hipError_tT2_T3_mT4_P12ihipStream_tbEUlT_E_NS1_11comp_targetILNS1_3genE2ELNS1_11target_archE906ELNS1_3gpuE6ELNS1_3repE0EEENS1_30default_config_static_selectorELNS0_4arch9wavefront6targetE1EEEvT1_ ; -- Begin function _ZN7rocprim17ROCPRIM_400000_NS6detail17trampoline_kernelINS0_14default_configENS1_25transform_config_selectorIjLb0EEEZNS1_14transform_implILb0ES3_S5_N6thrust23THRUST_200600_302600_NS6detail15normal_iteratorINS8_10device_ptrIjEEEEPjNS0_8identityIjEEEE10hipError_tT2_T3_mT4_P12ihipStream_tbEUlT_E_NS1_11comp_targetILNS1_3genE2ELNS1_11target_archE906ELNS1_3gpuE6ELNS1_3repE0EEENS1_30default_config_static_selectorELNS0_4arch9wavefront6targetE1EEEvT1_
	.globl	_ZN7rocprim17ROCPRIM_400000_NS6detail17trampoline_kernelINS0_14default_configENS1_25transform_config_selectorIjLb0EEEZNS1_14transform_implILb0ES3_S5_N6thrust23THRUST_200600_302600_NS6detail15normal_iteratorINS8_10device_ptrIjEEEEPjNS0_8identityIjEEEE10hipError_tT2_T3_mT4_P12ihipStream_tbEUlT_E_NS1_11comp_targetILNS1_3genE2ELNS1_11target_archE906ELNS1_3gpuE6ELNS1_3repE0EEENS1_30default_config_static_selectorELNS0_4arch9wavefront6targetE1EEEvT1_
	.p2align	8
	.type	_ZN7rocprim17ROCPRIM_400000_NS6detail17trampoline_kernelINS0_14default_configENS1_25transform_config_selectorIjLb0EEEZNS1_14transform_implILb0ES3_S5_N6thrust23THRUST_200600_302600_NS6detail15normal_iteratorINS8_10device_ptrIjEEEEPjNS0_8identityIjEEEE10hipError_tT2_T3_mT4_P12ihipStream_tbEUlT_E_NS1_11comp_targetILNS1_3genE2ELNS1_11target_archE906ELNS1_3gpuE6ELNS1_3repE0EEENS1_30default_config_static_selectorELNS0_4arch9wavefront6targetE1EEEvT1_,@function
_ZN7rocprim17ROCPRIM_400000_NS6detail17trampoline_kernelINS0_14default_configENS1_25transform_config_selectorIjLb0EEEZNS1_14transform_implILb0ES3_S5_N6thrust23THRUST_200600_302600_NS6detail15normal_iteratorINS8_10device_ptrIjEEEEPjNS0_8identityIjEEEE10hipError_tT2_T3_mT4_P12ihipStream_tbEUlT_E_NS1_11comp_targetILNS1_3genE2ELNS1_11target_archE906ELNS1_3gpuE6ELNS1_3repE0EEENS1_30default_config_static_selectorELNS0_4arch9wavefront6targetE1EEEvT1_: ; @_ZN7rocprim17ROCPRIM_400000_NS6detail17trampoline_kernelINS0_14default_configENS1_25transform_config_selectorIjLb0EEEZNS1_14transform_implILb0ES3_S5_N6thrust23THRUST_200600_302600_NS6detail15normal_iteratorINS8_10device_ptrIjEEEEPjNS0_8identityIjEEEE10hipError_tT2_T3_mT4_P12ihipStream_tbEUlT_E_NS1_11comp_targetILNS1_3genE2ELNS1_11target_archE906ELNS1_3gpuE6ELNS1_3repE0EEENS1_30default_config_static_selectorELNS0_4arch9wavefront6targetE1EEEvT1_
; %bb.0:
	.section	.rodata,"a",@progbits
	.p2align	6, 0x0
	.amdhsa_kernel _ZN7rocprim17ROCPRIM_400000_NS6detail17trampoline_kernelINS0_14default_configENS1_25transform_config_selectorIjLb0EEEZNS1_14transform_implILb0ES3_S5_N6thrust23THRUST_200600_302600_NS6detail15normal_iteratorINS8_10device_ptrIjEEEEPjNS0_8identityIjEEEE10hipError_tT2_T3_mT4_P12ihipStream_tbEUlT_E_NS1_11comp_targetILNS1_3genE2ELNS1_11target_archE906ELNS1_3gpuE6ELNS1_3repE0EEENS1_30default_config_static_selectorELNS0_4arch9wavefront6targetE1EEEvT1_
		.amdhsa_group_segment_fixed_size 0
		.amdhsa_private_segment_fixed_size 0
		.amdhsa_kernarg_size 40
		.amdhsa_user_sgpr_count 2
		.amdhsa_user_sgpr_dispatch_ptr 0
		.amdhsa_user_sgpr_queue_ptr 0
		.amdhsa_user_sgpr_kernarg_segment_ptr 1
		.amdhsa_user_sgpr_dispatch_id 0
		.amdhsa_user_sgpr_kernarg_preload_length 0
		.amdhsa_user_sgpr_kernarg_preload_offset 0
		.amdhsa_user_sgpr_private_segment_size 0
		.amdhsa_uses_dynamic_stack 0
		.amdhsa_enable_private_segment 0
		.amdhsa_system_sgpr_workgroup_id_x 1
		.amdhsa_system_sgpr_workgroup_id_y 0
		.amdhsa_system_sgpr_workgroup_id_z 0
		.amdhsa_system_sgpr_workgroup_info 0
		.amdhsa_system_vgpr_workitem_id 0
		.amdhsa_next_free_vgpr 1
		.amdhsa_next_free_sgpr 0
		.amdhsa_accum_offset 4
		.amdhsa_reserve_vcc 0
		.amdhsa_float_round_mode_32 0
		.amdhsa_float_round_mode_16_64 0
		.amdhsa_float_denorm_mode_32 3
		.amdhsa_float_denorm_mode_16_64 3
		.amdhsa_dx10_clamp 1
		.amdhsa_ieee_mode 1
		.amdhsa_fp16_overflow 0
		.amdhsa_tg_split 0
		.amdhsa_exception_fp_ieee_invalid_op 0
		.amdhsa_exception_fp_denorm_src 0
		.amdhsa_exception_fp_ieee_div_zero 0
		.amdhsa_exception_fp_ieee_overflow 0
		.amdhsa_exception_fp_ieee_underflow 0
		.amdhsa_exception_fp_ieee_inexact 0
		.amdhsa_exception_int_div_zero 0
	.end_amdhsa_kernel
	.section	.text._ZN7rocprim17ROCPRIM_400000_NS6detail17trampoline_kernelINS0_14default_configENS1_25transform_config_selectorIjLb0EEEZNS1_14transform_implILb0ES3_S5_N6thrust23THRUST_200600_302600_NS6detail15normal_iteratorINS8_10device_ptrIjEEEEPjNS0_8identityIjEEEE10hipError_tT2_T3_mT4_P12ihipStream_tbEUlT_E_NS1_11comp_targetILNS1_3genE2ELNS1_11target_archE906ELNS1_3gpuE6ELNS1_3repE0EEENS1_30default_config_static_selectorELNS0_4arch9wavefront6targetE1EEEvT1_,"axG",@progbits,_ZN7rocprim17ROCPRIM_400000_NS6detail17trampoline_kernelINS0_14default_configENS1_25transform_config_selectorIjLb0EEEZNS1_14transform_implILb0ES3_S5_N6thrust23THRUST_200600_302600_NS6detail15normal_iteratorINS8_10device_ptrIjEEEEPjNS0_8identityIjEEEE10hipError_tT2_T3_mT4_P12ihipStream_tbEUlT_E_NS1_11comp_targetILNS1_3genE2ELNS1_11target_archE906ELNS1_3gpuE6ELNS1_3repE0EEENS1_30default_config_static_selectorELNS0_4arch9wavefront6targetE1EEEvT1_,comdat
.Lfunc_end1096:
	.size	_ZN7rocprim17ROCPRIM_400000_NS6detail17trampoline_kernelINS0_14default_configENS1_25transform_config_selectorIjLb0EEEZNS1_14transform_implILb0ES3_S5_N6thrust23THRUST_200600_302600_NS6detail15normal_iteratorINS8_10device_ptrIjEEEEPjNS0_8identityIjEEEE10hipError_tT2_T3_mT4_P12ihipStream_tbEUlT_E_NS1_11comp_targetILNS1_3genE2ELNS1_11target_archE906ELNS1_3gpuE6ELNS1_3repE0EEENS1_30default_config_static_selectorELNS0_4arch9wavefront6targetE1EEEvT1_, .Lfunc_end1096-_ZN7rocprim17ROCPRIM_400000_NS6detail17trampoline_kernelINS0_14default_configENS1_25transform_config_selectorIjLb0EEEZNS1_14transform_implILb0ES3_S5_N6thrust23THRUST_200600_302600_NS6detail15normal_iteratorINS8_10device_ptrIjEEEEPjNS0_8identityIjEEEE10hipError_tT2_T3_mT4_P12ihipStream_tbEUlT_E_NS1_11comp_targetILNS1_3genE2ELNS1_11target_archE906ELNS1_3gpuE6ELNS1_3repE0EEENS1_30default_config_static_selectorELNS0_4arch9wavefront6targetE1EEEvT1_
                                        ; -- End function
	.section	.AMDGPU.csdata,"",@progbits
; Kernel info:
; codeLenInByte = 0
; NumSgprs: 6
; NumVgprs: 0
; NumAgprs: 0
; TotalNumVgprs: 0
; ScratchSize: 0
; MemoryBound: 0
; FloatMode: 240
; IeeeMode: 1
; LDSByteSize: 0 bytes/workgroup (compile time only)
; SGPRBlocks: 0
; VGPRBlocks: 0
; NumSGPRsForWavesPerEU: 6
; NumVGPRsForWavesPerEU: 1
; AccumOffset: 4
; Occupancy: 8
; WaveLimiterHint : 0
; COMPUTE_PGM_RSRC2:SCRATCH_EN: 0
; COMPUTE_PGM_RSRC2:USER_SGPR: 2
; COMPUTE_PGM_RSRC2:TRAP_HANDLER: 0
; COMPUTE_PGM_RSRC2:TGID_X_EN: 1
; COMPUTE_PGM_RSRC2:TGID_Y_EN: 0
; COMPUTE_PGM_RSRC2:TGID_Z_EN: 0
; COMPUTE_PGM_RSRC2:TIDIG_COMP_CNT: 0
; COMPUTE_PGM_RSRC3_GFX90A:ACCUM_OFFSET: 0
; COMPUTE_PGM_RSRC3_GFX90A:TG_SPLIT: 0
	.section	.text._ZN7rocprim17ROCPRIM_400000_NS6detail17trampoline_kernelINS0_14default_configENS1_25transform_config_selectorIjLb0EEEZNS1_14transform_implILb0ES3_S5_N6thrust23THRUST_200600_302600_NS6detail15normal_iteratorINS8_10device_ptrIjEEEEPjNS0_8identityIjEEEE10hipError_tT2_T3_mT4_P12ihipStream_tbEUlT_E_NS1_11comp_targetILNS1_3genE10ELNS1_11target_archE1201ELNS1_3gpuE5ELNS1_3repE0EEENS1_30default_config_static_selectorELNS0_4arch9wavefront6targetE1EEEvT1_,"axG",@progbits,_ZN7rocprim17ROCPRIM_400000_NS6detail17trampoline_kernelINS0_14default_configENS1_25transform_config_selectorIjLb0EEEZNS1_14transform_implILb0ES3_S5_N6thrust23THRUST_200600_302600_NS6detail15normal_iteratorINS8_10device_ptrIjEEEEPjNS0_8identityIjEEEE10hipError_tT2_T3_mT4_P12ihipStream_tbEUlT_E_NS1_11comp_targetILNS1_3genE10ELNS1_11target_archE1201ELNS1_3gpuE5ELNS1_3repE0EEENS1_30default_config_static_selectorELNS0_4arch9wavefront6targetE1EEEvT1_,comdat
	.protected	_ZN7rocprim17ROCPRIM_400000_NS6detail17trampoline_kernelINS0_14default_configENS1_25transform_config_selectorIjLb0EEEZNS1_14transform_implILb0ES3_S5_N6thrust23THRUST_200600_302600_NS6detail15normal_iteratorINS8_10device_ptrIjEEEEPjNS0_8identityIjEEEE10hipError_tT2_T3_mT4_P12ihipStream_tbEUlT_E_NS1_11comp_targetILNS1_3genE10ELNS1_11target_archE1201ELNS1_3gpuE5ELNS1_3repE0EEENS1_30default_config_static_selectorELNS0_4arch9wavefront6targetE1EEEvT1_ ; -- Begin function _ZN7rocprim17ROCPRIM_400000_NS6detail17trampoline_kernelINS0_14default_configENS1_25transform_config_selectorIjLb0EEEZNS1_14transform_implILb0ES3_S5_N6thrust23THRUST_200600_302600_NS6detail15normal_iteratorINS8_10device_ptrIjEEEEPjNS0_8identityIjEEEE10hipError_tT2_T3_mT4_P12ihipStream_tbEUlT_E_NS1_11comp_targetILNS1_3genE10ELNS1_11target_archE1201ELNS1_3gpuE5ELNS1_3repE0EEENS1_30default_config_static_selectorELNS0_4arch9wavefront6targetE1EEEvT1_
	.globl	_ZN7rocprim17ROCPRIM_400000_NS6detail17trampoline_kernelINS0_14default_configENS1_25transform_config_selectorIjLb0EEEZNS1_14transform_implILb0ES3_S5_N6thrust23THRUST_200600_302600_NS6detail15normal_iteratorINS8_10device_ptrIjEEEEPjNS0_8identityIjEEEE10hipError_tT2_T3_mT4_P12ihipStream_tbEUlT_E_NS1_11comp_targetILNS1_3genE10ELNS1_11target_archE1201ELNS1_3gpuE5ELNS1_3repE0EEENS1_30default_config_static_selectorELNS0_4arch9wavefront6targetE1EEEvT1_
	.p2align	8
	.type	_ZN7rocprim17ROCPRIM_400000_NS6detail17trampoline_kernelINS0_14default_configENS1_25transform_config_selectorIjLb0EEEZNS1_14transform_implILb0ES3_S5_N6thrust23THRUST_200600_302600_NS6detail15normal_iteratorINS8_10device_ptrIjEEEEPjNS0_8identityIjEEEE10hipError_tT2_T3_mT4_P12ihipStream_tbEUlT_E_NS1_11comp_targetILNS1_3genE10ELNS1_11target_archE1201ELNS1_3gpuE5ELNS1_3repE0EEENS1_30default_config_static_selectorELNS0_4arch9wavefront6targetE1EEEvT1_,@function
_ZN7rocprim17ROCPRIM_400000_NS6detail17trampoline_kernelINS0_14default_configENS1_25transform_config_selectorIjLb0EEEZNS1_14transform_implILb0ES3_S5_N6thrust23THRUST_200600_302600_NS6detail15normal_iteratorINS8_10device_ptrIjEEEEPjNS0_8identityIjEEEE10hipError_tT2_T3_mT4_P12ihipStream_tbEUlT_E_NS1_11comp_targetILNS1_3genE10ELNS1_11target_archE1201ELNS1_3gpuE5ELNS1_3repE0EEENS1_30default_config_static_selectorELNS0_4arch9wavefront6targetE1EEEvT1_: ; @_ZN7rocprim17ROCPRIM_400000_NS6detail17trampoline_kernelINS0_14default_configENS1_25transform_config_selectorIjLb0EEEZNS1_14transform_implILb0ES3_S5_N6thrust23THRUST_200600_302600_NS6detail15normal_iteratorINS8_10device_ptrIjEEEEPjNS0_8identityIjEEEE10hipError_tT2_T3_mT4_P12ihipStream_tbEUlT_E_NS1_11comp_targetILNS1_3genE10ELNS1_11target_archE1201ELNS1_3gpuE5ELNS1_3repE0EEENS1_30default_config_static_selectorELNS0_4arch9wavefront6targetE1EEEvT1_
; %bb.0:
	.section	.rodata,"a",@progbits
	.p2align	6, 0x0
	.amdhsa_kernel _ZN7rocprim17ROCPRIM_400000_NS6detail17trampoline_kernelINS0_14default_configENS1_25transform_config_selectorIjLb0EEEZNS1_14transform_implILb0ES3_S5_N6thrust23THRUST_200600_302600_NS6detail15normal_iteratorINS8_10device_ptrIjEEEEPjNS0_8identityIjEEEE10hipError_tT2_T3_mT4_P12ihipStream_tbEUlT_E_NS1_11comp_targetILNS1_3genE10ELNS1_11target_archE1201ELNS1_3gpuE5ELNS1_3repE0EEENS1_30default_config_static_selectorELNS0_4arch9wavefront6targetE1EEEvT1_
		.amdhsa_group_segment_fixed_size 0
		.amdhsa_private_segment_fixed_size 0
		.amdhsa_kernarg_size 40
		.amdhsa_user_sgpr_count 2
		.amdhsa_user_sgpr_dispatch_ptr 0
		.amdhsa_user_sgpr_queue_ptr 0
		.amdhsa_user_sgpr_kernarg_segment_ptr 1
		.amdhsa_user_sgpr_dispatch_id 0
		.amdhsa_user_sgpr_kernarg_preload_length 0
		.amdhsa_user_sgpr_kernarg_preload_offset 0
		.amdhsa_user_sgpr_private_segment_size 0
		.amdhsa_uses_dynamic_stack 0
		.amdhsa_enable_private_segment 0
		.amdhsa_system_sgpr_workgroup_id_x 1
		.amdhsa_system_sgpr_workgroup_id_y 0
		.amdhsa_system_sgpr_workgroup_id_z 0
		.amdhsa_system_sgpr_workgroup_info 0
		.amdhsa_system_vgpr_workitem_id 0
		.amdhsa_next_free_vgpr 1
		.amdhsa_next_free_sgpr 0
		.amdhsa_accum_offset 4
		.amdhsa_reserve_vcc 0
		.amdhsa_float_round_mode_32 0
		.amdhsa_float_round_mode_16_64 0
		.amdhsa_float_denorm_mode_32 3
		.amdhsa_float_denorm_mode_16_64 3
		.amdhsa_dx10_clamp 1
		.amdhsa_ieee_mode 1
		.amdhsa_fp16_overflow 0
		.amdhsa_tg_split 0
		.amdhsa_exception_fp_ieee_invalid_op 0
		.amdhsa_exception_fp_denorm_src 0
		.amdhsa_exception_fp_ieee_div_zero 0
		.amdhsa_exception_fp_ieee_overflow 0
		.amdhsa_exception_fp_ieee_underflow 0
		.amdhsa_exception_fp_ieee_inexact 0
		.amdhsa_exception_int_div_zero 0
	.end_amdhsa_kernel
	.section	.text._ZN7rocprim17ROCPRIM_400000_NS6detail17trampoline_kernelINS0_14default_configENS1_25transform_config_selectorIjLb0EEEZNS1_14transform_implILb0ES3_S5_N6thrust23THRUST_200600_302600_NS6detail15normal_iteratorINS8_10device_ptrIjEEEEPjNS0_8identityIjEEEE10hipError_tT2_T3_mT4_P12ihipStream_tbEUlT_E_NS1_11comp_targetILNS1_3genE10ELNS1_11target_archE1201ELNS1_3gpuE5ELNS1_3repE0EEENS1_30default_config_static_selectorELNS0_4arch9wavefront6targetE1EEEvT1_,"axG",@progbits,_ZN7rocprim17ROCPRIM_400000_NS6detail17trampoline_kernelINS0_14default_configENS1_25transform_config_selectorIjLb0EEEZNS1_14transform_implILb0ES3_S5_N6thrust23THRUST_200600_302600_NS6detail15normal_iteratorINS8_10device_ptrIjEEEEPjNS0_8identityIjEEEE10hipError_tT2_T3_mT4_P12ihipStream_tbEUlT_E_NS1_11comp_targetILNS1_3genE10ELNS1_11target_archE1201ELNS1_3gpuE5ELNS1_3repE0EEENS1_30default_config_static_selectorELNS0_4arch9wavefront6targetE1EEEvT1_,comdat
.Lfunc_end1097:
	.size	_ZN7rocprim17ROCPRIM_400000_NS6detail17trampoline_kernelINS0_14default_configENS1_25transform_config_selectorIjLb0EEEZNS1_14transform_implILb0ES3_S5_N6thrust23THRUST_200600_302600_NS6detail15normal_iteratorINS8_10device_ptrIjEEEEPjNS0_8identityIjEEEE10hipError_tT2_T3_mT4_P12ihipStream_tbEUlT_E_NS1_11comp_targetILNS1_3genE10ELNS1_11target_archE1201ELNS1_3gpuE5ELNS1_3repE0EEENS1_30default_config_static_selectorELNS0_4arch9wavefront6targetE1EEEvT1_, .Lfunc_end1097-_ZN7rocprim17ROCPRIM_400000_NS6detail17trampoline_kernelINS0_14default_configENS1_25transform_config_selectorIjLb0EEEZNS1_14transform_implILb0ES3_S5_N6thrust23THRUST_200600_302600_NS6detail15normal_iteratorINS8_10device_ptrIjEEEEPjNS0_8identityIjEEEE10hipError_tT2_T3_mT4_P12ihipStream_tbEUlT_E_NS1_11comp_targetILNS1_3genE10ELNS1_11target_archE1201ELNS1_3gpuE5ELNS1_3repE0EEENS1_30default_config_static_selectorELNS0_4arch9wavefront6targetE1EEEvT1_
                                        ; -- End function
	.section	.AMDGPU.csdata,"",@progbits
; Kernel info:
; codeLenInByte = 0
; NumSgprs: 6
; NumVgprs: 0
; NumAgprs: 0
; TotalNumVgprs: 0
; ScratchSize: 0
; MemoryBound: 0
; FloatMode: 240
; IeeeMode: 1
; LDSByteSize: 0 bytes/workgroup (compile time only)
; SGPRBlocks: 0
; VGPRBlocks: 0
; NumSGPRsForWavesPerEU: 6
; NumVGPRsForWavesPerEU: 1
; AccumOffset: 4
; Occupancy: 8
; WaveLimiterHint : 0
; COMPUTE_PGM_RSRC2:SCRATCH_EN: 0
; COMPUTE_PGM_RSRC2:USER_SGPR: 2
; COMPUTE_PGM_RSRC2:TRAP_HANDLER: 0
; COMPUTE_PGM_RSRC2:TGID_X_EN: 1
; COMPUTE_PGM_RSRC2:TGID_Y_EN: 0
; COMPUTE_PGM_RSRC2:TGID_Z_EN: 0
; COMPUTE_PGM_RSRC2:TIDIG_COMP_CNT: 0
; COMPUTE_PGM_RSRC3_GFX90A:ACCUM_OFFSET: 0
; COMPUTE_PGM_RSRC3_GFX90A:TG_SPLIT: 0
	.section	.text._ZN7rocprim17ROCPRIM_400000_NS6detail17trampoline_kernelINS0_14default_configENS1_25transform_config_selectorIjLb0EEEZNS1_14transform_implILb0ES3_S5_N6thrust23THRUST_200600_302600_NS6detail15normal_iteratorINS8_10device_ptrIjEEEEPjNS0_8identityIjEEEE10hipError_tT2_T3_mT4_P12ihipStream_tbEUlT_E_NS1_11comp_targetILNS1_3genE10ELNS1_11target_archE1200ELNS1_3gpuE4ELNS1_3repE0EEENS1_30default_config_static_selectorELNS0_4arch9wavefront6targetE1EEEvT1_,"axG",@progbits,_ZN7rocprim17ROCPRIM_400000_NS6detail17trampoline_kernelINS0_14default_configENS1_25transform_config_selectorIjLb0EEEZNS1_14transform_implILb0ES3_S5_N6thrust23THRUST_200600_302600_NS6detail15normal_iteratorINS8_10device_ptrIjEEEEPjNS0_8identityIjEEEE10hipError_tT2_T3_mT4_P12ihipStream_tbEUlT_E_NS1_11comp_targetILNS1_3genE10ELNS1_11target_archE1200ELNS1_3gpuE4ELNS1_3repE0EEENS1_30default_config_static_selectorELNS0_4arch9wavefront6targetE1EEEvT1_,comdat
	.protected	_ZN7rocprim17ROCPRIM_400000_NS6detail17trampoline_kernelINS0_14default_configENS1_25transform_config_selectorIjLb0EEEZNS1_14transform_implILb0ES3_S5_N6thrust23THRUST_200600_302600_NS6detail15normal_iteratorINS8_10device_ptrIjEEEEPjNS0_8identityIjEEEE10hipError_tT2_T3_mT4_P12ihipStream_tbEUlT_E_NS1_11comp_targetILNS1_3genE10ELNS1_11target_archE1200ELNS1_3gpuE4ELNS1_3repE0EEENS1_30default_config_static_selectorELNS0_4arch9wavefront6targetE1EEEvT1_ ; -- Begin function _ZN7rocprim17ROCPRIM_400000_NS6detail17trampoline_kernelINS0_14default_configENS1_25transform_config_selectorIjLb0EEEZNS1_14transform_implILb0ES3_S5_N6thrust23THRUST_200600_302600_NS6detail15normal_iteratorINS8_10device_ptrIjEEEEPjNS0_8identityIjEEEE10hipError_tT2_T3_mT4_P12ihipStream_tbEUlT_E_NS1_11comp_targetILNS1_3genE10ELNS1_11target_archE1200ELNS1_3gpuE4ELNS1_3repE0EEENS1_30default_config_static_selectorELNS0_4arch9wavefront6targetE1EEEvT1_
	.globl	_ZN7rocprim17ROCPRIM_400000_NS6detail17trampoline_kernelINS0_14default_configENS1_25transform_config_selectorIjLb0EEEZNS1_14transform_implILb0ES3_S5_N6thrust23THRUST_200600_302600_NS6detail15normal_iteratorINS8_10device_ptrIjEEEEPjNS0_8identityIjEEEE10hipError_tT2_T3_mT4_P12ihipStream_tbEUlT_E_NS1_11comp_targetILNS1_3genE10ELNS1_11target_archE1200ELNS1_3gpuE4ELNS1_3repE0EEENS1_30default_config_static_selectorELNS0_4arch9wavefront6targetE1EEEvT1_
	.p2align	8
	.type	_ZN7rocprim17ROCPRIM_400000_NS6detail17trampoline_kernelINS0_14default_configENS1_25transform_config_selectorIjLb0EEEZNS1_14transform_implILb0ES3_S5_N6thrust23THRUST_200600_302600_NS6detail15normal_iteratorINS8_10device_ptrIjEEEEPjNS0_8identityIjEEEE10hipError_tT2_T3_mT4_P12ihipStream_tbEUlT_E_NS1_11comp_targetILNS1_3genE10ELNS1_11target_archE1200ELNS1_3gpuE4ELNS1_3repE0EEENS1_30default_config_static_selectorELNS0_4arch9wavefront6targetE1EEEvT1_,@function
_ZN7rocprim17ROCPRIM_400000_NS6detail17trampoline_kernelINS0_14default_configENS1_25transform_config_selectorIjLb0EEEZNS1_14transform_implILb0ES3_S5_N6thrust23THRUST_200600_302600_NS6detail15normal_iteratorINS8_10device_ptrIjEEEEPjNS0_8identityIjEEEE10hipError_tT2_T3_mT4_P12ihipStream_tbEUlT_E_NS1_11comp_targetILNS1_3genE10ELNS1_11target_archE1200ELNS1_3gpuE4ELNS1_3repE0EEENS1_30default_config_static_selectorELNS0_4arch9wavefront6targetE1EEEvT1_: ; @_ZN7rocprim17ROCPRIM_400000_NS6detail17trampoline_kernelINS0_14default_configENS1_25transform_config_selectorIjLb0EEEZNS1_14transform_implILb0ES3_S5_N6thrust23THRUST_200600_302600_NS6detail15normal_iteratorINS8_10device_ptrIjEEEEPjNS0_8identityIjEEEE10hipError_tT2_T3_mT4_P12ihipStream_tbEUlT_E_NS1_11comp_targetILNS1_3genE10ELNS1_11target_archE1200ELNS1_3gpuE4ELNS1_3repE0EEENS1_30default_config_static_selectorELNS0_4arch9wavefront6targetE1EEEvT1_
; %bb.0:
	.section	.rodata,"a",@progbits
	.p2align	6, 0x0
	.amdhsa_kernel _ZN7rocprim17ROCPRIM_400000_NS6detail17trampoline_kernelINS0_14default_configENS1_25transform_config_selectorIjLb0EEEZNS1_14transform_implILb0ES3_S5_N6thrust23THRUST_200600_302600_NS6detail15normal_iteratorINS8_10device_ptrIjEEEEPjNS0_8identityIjEEEE10hipError_tT2_T3_mT4_P12ihipStream_tbEUlT_E_NS1_11comp_targetILNS1_3genE10ELNS1_11target_archE1200ELNS1_3gpuE4ELNS1_3repE0EEENS1_30default_config_static_selectorELNS0_4arch9wavefront6targetE1EEEvT1_
		.amdhsa_group_segment_fixed_size 0
		.amdhsa_private_segment_fixed_size 0
		.amdhsa_kernarg_size 40
		.amdhsa_user_sgpr_count 2
		.amdhsa_user_sgpr_dispatch_ptr 0
		.amdhsa_user_sgpr_queue_ptr 0
		.amdhsa_user_sgpr_kernarg_segment_ptr 1
		.amdhsa_user_sgpr_dispatch_id 0
		.amdhsa_user_sgpr_kernarg_preload_length 0
		.amdhsa_user_sgpr_kernarg_preload_offset 0
		.amdhsa_user_sgpr_private_segment_size 0
		.amdhsa_uses_dynamic_stack 0
		.amdhsa_enable_private_segment 0
		.amdhsa_system_sgpr_workgroup_id_x 1
		.amdhsa_system_sgpr_workgroup_id_y 0
		.amdhsa_system_sgpr_workgroup_id_z 0
		.amdhsa_system_sgpr_workgroup_info 0
		.amdhsa_system_vgpr_workitem_id 0
		.amdhsa_next_free_vgpr 1
		.amdhsa_next_free_sgpr 0
		.amdhsa_accum_offset 4
		.amdhsa_reserve_vcc 0
		.amdhsa_float_round_mode_32 0
		.amdhsa_float_round_mode_16_64 0
		.amdhsa_float_denorm_mode_32 3
		.amdhsa_float_denorm_mode_16_64 3
		.amdhsa_dx10_clamp 1
		.amdhsa_ieee_mode 1
		.amdhsa_fp16_overflow 0
		.amdhsa_tg_split 0
		.amdhsa_exception_fp_ieee_invalid_op 0
		.amdhsa_exception_fp_denorm_src 0
		.amdhsa_exception_fp_ieee_div_zero 0
		.amdhsa_exception_fp_ieee_overflow 0
		.amdhsa_exception_fp_ieee_underflow 0
		.amdhsa_exception_fp_ieee_inexact 0
		.amdhsa_exception_int_div_zero 0
	.end_amdhsa_kernel
	.section	.text._ZN7rocprim17ROCPRIM_400000_NS6detail17trampoline_kernelINS0_14default_configENS1_25transform_config_selectorIjLb0EEEZNS1_14transform_implILb0ES3_S5_N6thrust23THRUST_200600_302600_NS6detail15normal_iteratorINS8_10device_ptrIjEEEEPjNS0_8identityIjEEEE10hipError_tT2_T3_mT4_P12ihipStream_tbEUlT_E_NS1_11comp_targetILNS1_3genE10ELNS1_11target_archE1200ELNS1_3gpuE4ELNS1_3repE0EEENS1_30default_config_static_selectorELNS0_4arch9wavefront6targetE1EEEvT1_,"axG",@progbits,_ZN7rocprim17ROCPRIM_400000_NS6detail17trampoline_kernelINS0_14default_configENS1_25transform_config_selectorIjLb0EEEZNS1_14transform_implILb0ES3_S5_N6thrust23THRUST_200600_302600_NS6detail15normal_iteratorINS8_10device_ptrIjEEEEPjNS0_8identityIjEEEE10hipError_tT2_T3_mT4_P12ihipStream_tbEUlT_E_NS1_11comp_targetILNS1_3genE10ELNS1_11target_archE1200ELNS1_3gpuE4ELNS1_3repE0EEENS1_30default_config_static_selectorELNS0_4arch9wavefront6targetE1EEEvT1_,comdat
.Lfunc_end1098:
	.size	_ZN7rocprim17ROCPRIM_400000_NS6detail17trampoline_kernelINS0_14default_configENS1_25transform_config_selectorIjLb0EEEZNS1_14transform_implILb0ES3_S5_N6thrust23THRUST_200600_302600_NS6detail15normal_iteratorINS8_10device_ptrIjEEEEPjNS0_8identityIjEEEE10hipError_tT2_T3_mT4_P12ihipStream_tbEUlT_E_NS1_11comp_targetILNS1_3genE10ELNS1_11target_archE1200ELNS1_3gpuE4ELNS1_3repE0EEENS1_30default_config_static_selectorELNS0_4arch9wavefront6targetE1EEEvT1_, .Lfunc_end1098-_ZN7rocprim17ROCPRIM_400000_NS6detail17trampoline_kernelINS0_14default_configENS1_25transform_config_selectorIjLb0EEEZNS1_14transform_implILb0ES3_S5_N6thrust23THRUST_200600_302600_NS6detail15normal_iteratorINS8_10device_ptrIjEEEEPjNS0_8identityIjEEEE10hipError_tT2_T3_mT4_P12ihipStream_tbEUlT_E_NS1_11comp_targetILNS1_3genE10ELNS1_11target_archE1200ELNS1_3gpuE4ELNS1_3repE0EEENS1_30default_config_static_selectorELNS0_4arch9wavefront6targetE1EEEvT1_
                                        ; -- End function
	.section	.AMDGPU.csdata,"",@progbits
; Kernel info:
; codeLenInByte = 0
; NumSgprs: 6
; NumVgprs: 0
; NumAgprs: 0
; TotalNumVgprs: 0
; ScratchSize: 0
; MemoryBound: 0
; FloatMode: 240
; IeeeMode: 1
; LDSByteSize: 0 bytes/workgroup (compile time only)
; SGPRBlocks: 0
; VGPRBlocks: 0
; NumSGPRsForWavesPerEU: 6
; NumVGPRsForWavesPerEU: 1
; AccumOffset: 4
; Occupancy: 8
; WaveLimiterHint : 0
; COMPUTE_PGM_RSRC2:SCRATCH_EN: 0
; COMPUTE_PGM_RSRC2:USER_SGPR: 2
; COMPUTE_PGM_RSRC2:TRAP_HANDLER: 0
; COMPUTE_PGM_RSRC2:TGID_X_EN: 1
; COMPUTE_PGM_RSRC2:TGID_Y_EN: 0
; COMPUTE_PGM_RSRC2:TGID_Z_EN: 0
; COMPUTE_PGM_RSRC2:TIDIG_COMP_CNT: 0
; COMPUTE_PGM_RSRC3_GFX90A:ACCUM_OFFSET: 0
; COMPUTE_PGM_RSRC3_GFX90A:TG_SPLIT: 0
	.section	.text._ZN7rocprim17ROCPRIM_400000_NS6detail17trampoline_kernelINS0_14default_configENS1_25transform_config_selectorIjLb0EEEZNS1_14transform_implILb0ES3_S5_N6thrust23THRUST_200600_302600_NS6detail15normal_iteratorINS8_10device_ptrIjEEEEPjNS0_8identityIjEEEE10hipError_tT2_T3_mT4_P12ihipStream_tbEUlT_E_NS1_11comp_targetILNS1_3genE9ELNS1_11target_archE1100ELNS1_3gpuE3ELNS1_3repE0EEENS1_30default_config_static_selectorELNS0_4arch9wavefront6targetE1EEEvT1_,"axG",@progbits,_ZN7rocprim17ROCPRIM_400000_NS6detail17trampoline_kernelINS0_14default_configENS1_25transform_config_selectorIjLb0EEEZNS1_14transform_implILb0ES3_S5_N6thrust23THRUST_200600_302600_NS6detail15normal_iteratorINS8_10device_ptrIjEEEEPjNS0_8identityIjEEEE10hipError_tT2_T3_mT4_P12ihipStream_tbEUlT_E_NS1_11comp_targetILNS1_3genE9ELNS1_11target_archE1100ELNS1_3gpuE3ELNS1_3repE0EEENS1_30default_config_static_selectorELNS0_4arch9wavefront6targetE1EEEvT1_,comdat
	.protected	_ZN7rocprim17ROCPRIM_400000_NS6detail17trampoline_kernelINS0_14default_configENS1_25transform_config_selectorIjLb0EEEZNS1_14transform_implILb0ES3_S5_N6thrust23THRUST_200600_302600_NS6detail15normal_iteratorINS8_10device_ptrIjEEEEPjNS0_8identityIjEEEE10hipError_tT2_T3_mT4_P12ihipStream_tbEUlT_E_NS1_11comp_targetILNS1_3genE9ELNS1_11target_archE1100ELNS1_3gpuE3ELNS1_3repE0EEENS1_30default_config_static_selectorELNS0_4arch9wavefront6targetE1EEEvT1_ ; -- Begin function _ZN7rocprim17ROCPRIM_400000_NS6detail17trampoline_kernelINS0_14default_configENS1_25transform_config_selectorIjLb0EEEZNS1_14transform_implILb0ES3_S5_N6thrust23THRUST_200600_302600_NS6detail15normal_iteratorINS8_10device_ptrIjEEEEPjNS0_8identityIjEEEE10hipError_tT2_T3_mT4_P12ihipStream_tbEUlT_E_NS1_11comp_targetILNS1_3genE9ELNS1_11target_archE1100ELNS1_3gpuE3ELNS1_3repE0EEENS1_30default_config_static_selectorELNS0_4arch9wavefront6targetE1EEEvT1_
	.globl	_ZN7rocprim17ROCPRIM_400000_NS6detail17trampoline_kernelINS0_14default_configENS1_25transform_config_selectorIjLb0EEEZNS1_14transform_implILb0ES3_S5_N6thrust23THRUST_200600_302600_NS6detail15normal_iteratorINS8_10device_ptrIjEEEEPjNS0_8identityIjEEEE10hipError_tT2_T3_mT4_P12ihipStream_tbEUlT_E_NS1_11comp_targetILNS1_3genE9ELNS1_11target_archE1100ELNS1_3gpuE3ELNS1_3repE0EEENS1_30default_config_static_selectorELNS0_4arch9wavefront6targetE1EEEvT1_
	.p2align	8
	.type	_ZN7rocprim17ROCPRIM_400000_NS6detail17trampoline_kernelINS0_14default_configENS1_25transform_config_selectorIjLb0EEEZNS1_14transform_implILb0ES3_S5_N6thrust23THRUST_200600_302600_NS6detail15normal_iteratorINS8_10device_ptrIjEEEEPjNS0_8identityIjEEEE10hipError_tT2_T3_mT4_P12ihipStream_tbEUlT_E_NS1_11comp_targetILNS1_3genE9ELNS1_11target_archE1100ELNS1_3gpuE3ELNS1_3repE0EEENS1_30default_config_static_selectorELNS0_4arch9wavefront6targetE1EEEvT1_,@function
_ZN7rocprim17ROCPRIM_400000_NS6detail17trampoline_kernelINS0_14default_configENS1_25transform_config_selectorIjLb0EEEZNS1_14transform_implILb0ES3_S5_N6thrust23THRUST_200600_302600_NS6detail15normal_iteratorINS8_10device_ptrIjEEEEPjNS0_8identityIjEEEE10hipError_tT2_T3_mT4_P12ihipStream_tbEUlT_E_NS1_11comp_targetILNS1_3genE9ELNS1_11target_archE1100ELNS1_3gpuE3ELNS1_3repE0EEENS1_30default_config_static_selectorELNS0_4arch9wavefront6targetE1EEEvT1_: ; @_ZN7rocprim17ROCPRIM_400000_NS6detail17trampoline_kernelINS0_14default_configENS1_25transform_config_selectorIjLb0EEEZNS1_14transform_implILb0ES3_S5_N6thrust23THRUST_200600_302600_NS6detail15normal_iteratorINS8_10device_ptrIjEEEEPjNS0_8identityIjEEEE10hipError_tT2_T3_mT4_P12ihipStream_tbEUlT_E_NS1_11comp_targetILNS1_3genE9ELNS1_11target_archE1100ELNS1_3gpuE3ELNS1_3repE0EEENS1_30default_config_static_selectorELNS0_4arch9wavefront6targetE1EEEvT1_
; %bb.0:
	.section	.rodata,"a",@progbits
	.p2align	6, 0x0
	.amdhsa_kernel _ZN7rocprim17ROCPRIM_400000_NS6detail17trampoline_kernelINS0_14default_configENS1_25transform_config_selectorIjLb0EEEZNS1_14transform_implILb0ES3_S5_N6thrust23THRUST_200600_302600_NS6detail15normal_iteratorINS8_10device_ptrIjEEEEPjNS0_8identityIjEEEE10hipError_tT2_T3_mT4_P12ihipStream_tbEUlT_E_NS1_11comp_targetILNS1_3genE9ELNS1_11target_archE1100ELNS1_3gpuE3ELNS1_3repE0EEENS1_30default_config_static_selectorELNS0_4arch9wavefront6targetE1EEEvT1_
		.amdhsa_group_segment_fixed_size 0
		.amdhsa_private_segment_fixed_size 0
		.amdhsa_kernarg_size 40
		.amdhsa_user_sgpr_count 2
		.amdhsa_user_sgpr_dispatch_ptr 0
		.amdhsa_user_sgpr_queue_ptr 0
		.amdhsa_user_sgpr_kernarg_segment_ptr 1
		.amdhsa_user_sgpr_dispatch_id 0
		.amdhsa_user_sgpr_kernarg_preload_length 0
		.amdhsa_user_sgpr_kernarg_preload_offset 0
		.amdhsa_user_sgpr_private_segment_size 0
		.amdhsa_uses_dynamic_stack 0
		.amdhsa_enable_private_segment 0
		.amdhsa_system_sgpr_workgroup_id_x 1
		.amdhsa_system_sgpr_workgroup_id_y 0
		.amdhsa_system_sgpr_workgroup_id_z 0
		.amdhsa_system_sgpr_workgroup_info 0
		.amdhsa_system_vgpr_workitem_id 0
		.amdhsa_next_free_vgpr 1
		.amdhsa_next_free_sgpr 0
		.amdhsa_accum_offset 4
		.amdhsa_reserve_vcc 0
		.amdhsa_float_round_mode_32 0
		.amdhsa_float_round_mode_16_64 0
		.amdhsa_float_denorm_mode_32 3
		.amdhsa_float_denorm_mode_16_64 3
		.amdhsa_dx10_clamp 1
		.amdhsa_ieee_mode 1
		.amdhsa_fp16_overflow 0
		.amdhsa_tg_split 0
		.amdhsa_exception_fp_ieee_invalid_op 0
		.amdhsa_exception_fp_denorm_src 0
		.amdhsa_exception_fp_ieee_div_zero 0
		.amdhsa_exception_fp_ieee_overflow 0
		.amdhsa_exception_fp_ieee_underflow 0
		.amdhsa_exception_fp_ieee_inexact 0
		.amdhsa_exception_int_div_zero 0
	.end_amdhsa_kernel
	.section	.text._ZN7rocprim17ROCPRIM_400000_NS6detail17trampoline_kernelINS0_14default_configENS1_25transform_config_selectorIjLb0EEEZNS1_14transform_implILb0ES3_S5_N6thrust23THRUST_200600_302600_NS6detail15normal_iteratorINS8_10device_ptrIjEEEEPjNS0_8identityIjEEEE10hipError_tT2_T3_mT4_P12ihipStream_tbEUlT_E_NS1_11comp_targetILNS1_3genE9ELNS1_11target_archE1100ELNS1_3gpuE3ELNS1_3repE0EEENS1_30default_config_static_selectorELNS0_4arch9wavefront6targetE1EEEvT1_,"axG",@progbits,_ZN7rocprim17ROCPRIM_400000_NS6detail17trampoline_kernelINS0_14default_configENS1_25transform_config_selectorIjLb0EEEZNS1_14transform_implILb0ES3_S5_N6thrust23THRUST_200600_302600_NS6detail15normal_iteratorINS8_10device_ptrIjEEEEPjNS0_8identityIjEEEE10hipError_tT2_T3_mT4_P12ihipStream_tbEUlT_E_NS1_11comp_targetILNS1_3genE9ELNS1_11target_archE1100ELNS1_3gpuE3ELNS1_3repE0EEENS1_30default_config_static_selectorELNS0_4arch9wavefront6targetE1EEEvT1_,comdat
.Lfunc_end1099:
	.size	_ZN7rocprim17ROCPRIM_400000_NS6detail17trampoline_kernelINS0_14default_configENS1_25transform_config_selectorIjLb0EEEZNS1_14transform_implILb0ES3_S5_N6thrust23THRUST_200600_302600_NS6detail15normal_iteratorINS8_10device_ptrIjEEEEPjNS0_8identityIjEEEE10hipError_tT2_T3_mT4_P12ihipStream_tbEUlT_E_NS1_11comp_targetILNS1_3genE9ELNS1_11target_archE1100ELNS1_3gpuE3ELNS1_3repE0EEENS1_30default_config_static_selectorELNS0_4arch9wavefront6targetE1EEEvT1_, .Lfunc_end1099-_ZN7rocprim17ROCPRIM_400000_NS6detail17trampoline_kernelINS0_14default_configENS1_25transform_config_selectorIjLb0EEEZNS1_14transform_implILb0ES3_S5_N6thrust23THRUST_200600_302600_NS6detail15normal_iteratorINS8_10device_ptrIjEEEEPjNS0_8identityIjEEEE10hipError_tT2_T3_mT4_P12ihipStream_tbEUlT_E_NS1_11comp_targetILNS1_3genE9ELNS1_11target_archE1100ELNS1_3gpuE3ELNS1_3repE0EEENS1_30default_config_static_selectorELNS0_4arch9wavefront6targetE1EEEvT1_
                                        ; -- End function
	.section	.AMDGPU.csdata,"",@progbits
; Kernel info:
; codeLenInByte = 0
; NumSgprs: 6
; NumVgprs: 0
; NumAgprs: 0
; TotalNumVgprs: 0
; ScratchSize: 0
; MemoryBound: 0
; FloatMode: 240
; IeeeMode: 1
; LDSByteSize: 0 bytes/workgroup (compile time only)
; SGPRBlocks: 0
; VGPRBlocks: 0
; NumSGPRsForWavesPerEU: 6
; NumVGPRsForWavesPerEU: 1
; AccumOffset: 4
; Occupancy: 8
; WaveLimiterHint : 0
; COMPUTE_PGM_RSRC2:SCRATCH_EN: 0
; COMPUTE_PGM_RSRC2:USER_SGPR: 2
; COMPUTE_PGM_RSRC2:TRAP_HANDLER: 0
; COMPUTE_PGM_RSRC2:TGID_X_EN: 1
; COMPUTE_PGM_RSRC2:TGID_Y_EN: 0
; COMPUTE_PGM_RSRC2:TGID_Z_EN: 0
; COMPUTE_PGM_RSRC2:TIDIG_COMP_CNT: 0
; COMPUTE_PGM_RSRC3_GFX90A:ACCUM_OFFSET: 0
; COMPUTE_PGM_RSRC3_GFX90A:TG_SPLIT: 0
	.section	.text._ZN7rocprim17ROCPRIM_400000_NS6detail17trampoline_kernelINS0_14default_configENS1_25transform_config_selectorIjLb0EEEZNS1_14transform_implILb0ES3_S5_N6thrust23THRUST_200600_302600_NS6detail15normal_iteratorINS8_10device_ptrIjEEEEPjNS0_8identityIjEEEE10hipError_tT2_T3_mT4_P12ihipStream_tbEUlT_E_NS1_11comp_targetILNS1_3genE8ELNS1_11target_archE1030ELNS1_3gpuE2ELNS1_3repE0EEENS1_30default_config_static_selectorELNS0_4arch9wavefront6targetE1EEEvT1_,"axG",@progbits,_ZN7rocprim17ROCPRIM_400000_NS6detail17trampoline_kernelINS0_14default_configENS1_25transform_config_selectorIjLb0EEEZNS1_14transform_implILb0ES3_S5_N6thrust23THRUST_200600_302600_NS6detail15normal_iteratorINS8_10device_ptrIjEEEEPjNS0_8identityIjEEEE10hipError_tT2_T3_mT4_P12ihipStream_tbEUlT_E_NS1_11comp_targetILNS1_3genE8ELNS1_11target_archE1030ELNS1_3gpuE2ELNS1_3repE0EEENS1_30default_config_static_selectorELNS0_4arch9wavefront6targetE1EEEvT1_,comdat
	.protected	_ZN7rocprim17ROCPRIM_400000_NS6detail17trampoline_kernelINS0_14default_configENS1_25transform_config_selectorIjLb0EEEZNS1_14transform_implILb0ES3_S5_N6thrust23THRUST_200600_302600_NS6detail15normal_iteratorINS8_10device_ptrIjEEEEPjNS0_8identityIjEEEE10hipError_tT2_T3_mT4_P12ihipStream_tbEUlT_E_NS1_11comp_targetILNS1_3genE8ELNS1_11target_archE1030ELNS1_3gpuE2ELNS1_3repE0EEENS1_30default_config_static_selectorELNS0_4arch9wavefront6targetE1EEEvT1_ ; -- Begin function _ZN7rocprim17ROCPRIM_400000_NS6detail17trampoline_kernelINS0_14default_configENS1_25transform_config_selectorIjLb0EEEZNS1_14transform_implILb0ES3_S5_N6thrust23THRUST_200600_302600_NS6detail15normal_iteratorINS8_10device_ptrIjEEEEPjNS0_8identityIjEEEE10hipError_tT2_T3_mT4_P12ihipStream_tbEUlT_E_NS1_11comp_targetILNS1_3genE8ELNS1_11target_archE1030ELNS1_3gpuE2ELNS1_3repE0EEENS1_30default_config_static_selectorELNS0_4arch9wavefront6targetE1EEEvT1_
	.globl	_ZN7rocprim17ROCPRIM_400000_NS6detail17trampoline_kernelINS0_14default_configENS1_25transform_config_selectorIjLb0EEEZNS1_14transform_implILb0ES3_S5_N6thrust23THRUST_200600_302600_NS6detail15normal_iteratorINS8_10device_ptrIjEEEEPjNS0_8identityIjEEEE10hipError_tT2_T3_mT4_P12ihipStream_tbEUlT_E_NS1_11comp_targetILNS1_3genE8ELNS1_11target_archE1030ELNS1_3gpuE2ELNS1_3repE0EEENS1_30default_config_static_selectorELNS0_4arch9wavefront6targetE1EEEvT1_
	.p2align	8
	.type	_ZN7rocprim17ROCPRIM_400000_NS6detail17trampoline_kernelINS0_14default_configENS1_25transform_config_selectorIjLb0EEEZNS1_14transform_implILb0ES3_S5_N6thrust23THRUST_200600_302600_NS6detail15normal_iteratorINS8_10device_ptrIjEEEEPjNS0_8identityIjEEEE10hipError_tT2_T3_mT4_P12ihipStream_tbEUlT_E_NS1_11comp_targetILNS1_3genE8ELNS1_11target_archE1030ELNS1_3gpuE2ELNS1_3repE0EEENS1_30default_config_static_selectorELNS0_4arch9wavefront6targetE1EEEvT1_,@function
_ZN7rocprim17ROCPRIM_400000_NS6detail17trampoline_kernelINS0_14default_configENS1_25transform_config_selectorIjLb0EEEZNS1_14transform_implILb0ES3_S5_N6thrust23THRUST_200600_302600_NS6detail15normal_iteratorINS8_10device_ptrIjEEEEPjNS0_8identityIjEEEE10hipError_tT2_T3_mT4_P12ihipStream_tbEUlT_E_NS1_11comp_targetILNS1_3genE8ELNS1_11target_archE1030ELNS1_3gpuE2ELNS1_3repE0EEENS1_30default_config_static_selectorELNS0_4arch9wavefront6targetE1EEEvT1_: ; @_ZN7rocprim17ROCPRIM_400000_NS6detail17trampoline_kernelINS0_14default_configENS1_25transform_config_selectorIjLb0EEEZNS1_14transform_implILb0ES3_S5_N6thrust23THRUST_200600_302600_NS6detail15normal_iteratorINS8_10device_ptrIjEEEEPjNS0_8identityIjEEEE10hipError_tT2_T3_mT4_P12ihipStream_tbEUlT_E_NS1_11comp_targetILNS1_3genE8ELNS1_11target_archE1030ELNS1_3gpuE2ELNS1_3repE0EEENS1_30default_config_static_selectorELNS0_4arch9wavefront6targetE1EEEvT1_
; %bb.0:
	.section	.rodata,"a",@progbits
	.p2align	6, 0x0
	.amdhsa_kernel _ZN7rocprim17ROCPRIM_400000_NS6detail17trampoline_kernelINS0_14default_configENS1_25transform_config_selectorIjLb0EEEZNS1_14transform_implILb0ES3_S5_N6thrust23THRUST_200600_302600_NS6detail15normal_iteratorINS8_10device_ptrIjEEEEPjNS0_8identityIjEEEE10hipError_tT2_T3_mT4_P12ihipStream_tbEUlT_E_NS1_11comp_targetILNS1_3genE8ELNS1_11target_archE1030ELNS1_3gpuE2ELNS1_3repE0EEENS1_30default_config_static_selectorELNS0_4arch9wavefront6targetE1EEEvT1_
		.amdhsa_group_segment_fixed_size 0
		.amdhsa_private_segment_fixed_size 0
		.amdhsa_kernarg_size 40
		.amdhsa_user_sgpr_count 2
		.amdhsa_user_sgpr_dispatch_ptr 0
		.amdhsa_user_sgpr_queue_ptr 0
		.amdhsa_user_sgpr_kernarg_segment_ptr 1
		.amdhsa_user_sgpr_dispatch_id 0
		.amdhsa_user_sgpr_kernarg_preload_length 0
		.amdhsa_user_sgpr_kernarg_preload_offset 0
		.amdhsa_user_sgpr_private_segment_size 0
		.amdhsa_uses_dynamic_stack 0
		.amdhsa_enable_private_segment 0
		.amdhsa_system_sgpr_workgroup_id_x 1
		.amdhsa_system_sgpr_workgroup_id_y 0
		.amdhsa_system_sgpr_workgroup_id_z 0
		.amdhsa_system_sgpr_workgroup_info 0
		.amdhsa_system_vgpr_workitem_id 0
		.amdhsa_next_free_vgpr 1
		.amdhsa_next_free_sgpr 0
		.amdhsa_accum_offset 4
		.amdhsa_reserve_vcc 0
		.amdhsa_float_round_mode_32 0
		.amdhsa_float_round_mode_16_64 0
		.amdhsa_float_denorm_mode_32 3
		.amdhsa_float_denorm_mode_16_64 3
		.amdhsa_dx10_clamp 1
		.amdhsa_ieee_mode 1
		.amdhsa_fp16_overflow 0
		.amdhsa_tg_split 0
		.amdhsa_exception_fp_ieee_invalid_op 0
		.amdhsa_exception_fp_denorm_src 0
		.amdhsa_exception_fp_ieee_div_zero 0
		.amdhsa_exception_fp_ieee_overflow 0
		.amdhsa_exception_fp_ieee_underflow 0
		.amdhsa_exception_fp_ieee_inexact 0
		.amdhsa_exception_int_div_zero 0
	.end_amdhsa_kernel
	.section	.text._ZN7rocprim17ROCPRIM_400000_NS6detail17trampoline_kernelINS0_14default_configENS1_25transform_config_selectorIjLb0EEEZNS1_14transform_implILb0ES3_S5_N6thrust23THRUST_200600_302600_NS6detail15normal_iteratorINS8_10device_ptrIjEEEEPjNS0_8identityIjEEEE10hipError_tT2_T3_mT4_P12ihipStream_tbEUlT_E_NS1_11comp_targetILNS1_3genE8ELNS1_11target_archE1030ELNS1_3gpuE2ELNS1_3repE0EEENS1_30default_config_static_selectorELNS0_4arch9wavefront6targetE1EEEvT1_,"axG",@progbits,_ZN7rocprim17ROCPRIM_400000_NS6detail17trampoline_kernelINS0_14default_configENS1_25transform_config_selectorIjLb0EEEZNS1_14transform_implILb0ES3_S5_N6thrust23THRUST_200600_302600_NS6detail15normal_iteratorINS8_10device_ptrIjEEEEPjNS0_8identityIjEEEE10hipError_tT2_T3_mT4_P12ihipStream_tbEUlT_E_NS1_11comp_targetILNS1_3genE8ELNS1_11target_archE1030ELNS1_3gpuE2ELNS1_3repE0EEENS1_30default_config_static_selectorELNS0_4arch9wavefront6targetE1EEEvT1_,comdat
.Lfunc_end1100:
	.size	_ZN7rocprim17ROCPRIM_400000_NS6detail17trampoline_kernelINS0_14default_configENS1_25transform_config_selectorIjLb0EEEZNS1_14transform_implILb0ES3_S5_N6thrust23THRUST_200600_302600_NS6detail15normal_iteratorINS8_10device_ptrIjEEEEPjNS0_8identityIjEEEE10hipError_tT2_T3_mT4_P12ihipStream_tbEUlT_E_NS1_11comp_targetILNS1_3genE8ELNS1_11target_archE1030ELNS1_3gpuE2ELNS1_3repE0EEENS1_30default_config_static_selectorELNS0_4arch9wavefront6targetE1EEEvT1_, .Lfunc_end1100-_ZN7rocprim17ROCPRIM_400000_NS6detail17trampoline_kernelINS0_14default_configENS1_25transform_config_selectorIjLb0EEEZNS1_14transform_implILb0ES3_S5_N6thrust23THRUST_200600_302600_NS6detail15normal_iteratorINS8_10device_ptrIjEEEEPjNS0_8identityIjEEEE10hipError_tT2_T3_mT4_P12ihipStream_tbEUlT_E_NS1_11comp_targetILNS1_3genE8ELNS1_11target_archE1030ELNS1_3gpuE2ELNS1_3repE0EEENS1_30default_config_static_selectorELNS0_4arch9wavefront6targetE1EEEvT1_
                                        ; -- End function
	.section	.AMDGPU.csdata,"",@progbits
; Kernel info:
; codeLenInByte = 0
; NumSgprs: 6
; NumVgprs: 0
; NumAgprs: 0
; TotalNumVgprs: 0
; ScratchSize: 0
; MemoryBound: 0
; FloatMode: 240
; IeeeMode: 1
; LDSByteSize: 0 bytes/workgroup (compile time only)
; SGPRBlocks: 0
; VGPRBlocks: 0
; NumSGPRsForWavesPerEU: 6
; NumVGPRsForWavesPerEU: 1
; AccumOffset: 4
; Occupancy: 8
; WaveLimiterHint : 0
; COMPUTE_PGM_RSRC2:SCRATCH_EN: 0
; COMPUTE_PGM_RSRC2:USER_SGPR: 2
; COMPUTE_PGM_RSRC2:TRAP_HANDLER: 0
; COMPUTE_PGM_RSRC2:TGID_X_EN: 1
; COMPUTE_PGM_RSRC2:TGID_Y_EN: 0
; COMPUTE_PGM_RSRC2:TGID_Z_EN: 0
; COMPUTE_PGM_RSRC2:TIDIG_COMP_CNT: 0
; COMPUTE_PGM_RSRC3_GFX90A:ACCUM_OFFSET: 0
; COMPUTE_PGM_RSRC3_GFX90A:TG_SPLIT: 0
	.section	.text._ZN7rocprim17ROCPRIM_400000_NS6detail17trampoline_kernelINS0_14default_configENS1_35radix_sort_onesweep_config_selectorIjNS0_10empty_typeEEEZZNS1_29radix_sort_onesweep_iterationIS3_Lb0EN6thrust23THRUST_200600_302600_NS6detail15normal_iteratorINS9_10device_ptrIjEEEESE_PS5_SF_jNS0_19identity_decomposerENS1_16block_id_wrapperIjLb1EEEEE10hipError_tT1_PNSt15iterator_traitsISK_E10value_typeET2_T3_PNSL_ISQ_E10value_typeET4_T5_PSV_SW_PNS1_23onesweep_lookback_stateEbbT6_jjT7_P12ihipStream_tbENKUlT_T0_SK_SP_E_clISE_SE_SF_SF_EEDaS13_S14_SK_SP_EUlS13_E_NS1_11comp_targetILNS1_3genE0ELNS1_11target_archE4294967295ELNS1_3gpuE0ELNS1_3repE0EEENS1_47radix_sort_onesweep_sort_config_static_selectorELNS0_4arch9wavefront6targetE1EEEvSK_,"axG",@progbits,_ZN7rocprim17ROCPRIM_400000_NS6detail17trampoline_kernelINS0_14default_configENS1_35radix_sort_onesweep_config_selectorIjNS0_10empty_typeEEEZZNS1_29radix_sort_onesweep_iterationIS3_Lb0EN6thrust23THRUST_200600_302600_NS6detail15normal_iteratorINS9_10device_ptrIjEEEESE_PS5_SF_jNS0_19identity_decomposerENS1_16block_id_wrapperIjLb1EEEEE10hipError_tT1_PNSt15iterator_traitsISK_E10value_typeET2_T3_PNSL_ISQ_E10value_typeET4_T5_PSV_SW_PNS1_23onesweep_lookback_stateEbbT6_jjT7_P12ihipStream_tbENKUlT_T0_SK_SP_E_clISE_SE_SF_SF_EEDaS13_S14_SK_SP_EUlS13_E_NS1_11comp_targetILNS1_3genE0ELNS1_11target_archE4294967295ELNS1_3gpuE0ELNS1_3repE0EEENS1_47radix_sort_onesweep_sort_config_static_selectorELNS0_4arch9wavefront6targetE1EEEvSK_,comdat
	.protected	_ZN7rocprim17ROCPRIM_400000_NS6detail17trampoline_kernelINS0_14default_configENS1_35radix_sort_onesweep_config_selectorIjNS0_10empty_typeEEEZZNS1_29radix_sort_onesweep_iterationIS3_Lb0EN6thrust23THRUST_200600_302600_NS6detail15normal_iteratorINS9_10device_ptrIjEEEESE_PS5_SF_jNS0_19identity_decomposerENS1_16block_id_wrapperIjLb1EEEEE10hipError_tT1_PNSt15iterator_traitsISK_E10value_typeET2_T3_PNSL_ISQ_E10value_typeET4_T5_PSV_SW_PNS1_23onesweep_lookback_stateEbbT6_jjT7_P12ihipStream_tbENKUlT_T0_SK_SP_E_clISE_SE_SF_SF_EEDaS13_S14_SK_SP_EUlS13_E_NS1_11comp_targetILNS1_3genE0ELNS1_11target_archE4294967295ELNS1_3gpuE0ELNS1_3repE0EEENS1_47radix_sort_onesweep_sort_config_static_selectorELNS0_4arch9wavefront6targetE1EEEvSK_ ; -- Begin function _ZN7rocprim17ROCPRIM_400000_NS6detail17trampoline_kernelINS0_14default_configENS1_35radix_sort_onesweep_config_selectorIjNS0_10empty_typeEEEZZNS1_29radix_sort_onesweep_iterationIS3_Lb0EN6thrust23THRUST_200600_302600_NS6detail15normal_iteratorINS9_10device_ptrIjEEEESE_PS5_SF_jNS0_19identity_decomposerENS1_16block_id_wrapperIjLb1EEEEE10hipError_tT1_PNSt15iterator_traitsISK_E10value_typeET2_T3_PNSL_ISQ_E10value_typeET4_T5_PSV_SW_PNS1_23onesweep_lookback_stateEbbT6_jjT7_P12ihipStream_tbENKUlT_T0_SK_SP_E_clISE_SE_SF_SF_EEDaS13_S14_SK_SP_EUlS13_E_NS1_11comp_targetILNS1_3genE0ELNS1_11target_archE4294967295ELNS1_3gpuE0ELNS1_3repE0EEENS1_47radix_sort_onesweep_sort_config_static_selectorELNS0_4arch9wavefront6targetE1EEEvSK_
	.globl	_ZN7rocprim17ROCPRIM_400000_NS6detail17trampoline_kernelINS0_14default_configENS1_35radix_sort_onesweep_config_selectorIjNS0_10empty_typeEEEZZNS1_29radix_sort_onesweep_iterationIS3_Lb0EN6thrust23THRUST_200600_302600_NS6detail15normal_iteratorINS9_10device_ptrIjEEEESE_PS5_SF_jNS0_19identity_decomposerENS1_16block_id_wrapperIjLb1EEEEE10hipError_tT1_PNSt15iterator_traitsISK_E10value_typeET2_T3_PNSL_ISQ_E10value_typeET4_T5_PSV_SW_PNS1_23onesweep_lookback_stateEbbT6_jjT7_P12ihipStream_tbENKUlT_T0_SK_SP_E_clISE_SE_SF_SF_EEDaS13_S14_SK_SP_EUlS13_E_NS1_11comp_targetILNS1_3genE0ELNS1_11target_archE4294967295ELNS1_3gpuE0ELNS1_3repE0EEENS1_47radix_sort_onesweep_sort_config_static_selectorELNS0_4arch9wavefront6targetE1EEEvSK_
	.p2align	8
	.type	_ZN7rocprim17ROCPRIM_400000_NS6detail17trampoline_kernelINS0_14default_configENS1_35radix_sort_onesweep_config_selectorIjNS0_10empty_typeEEEZZNS1_29radix_sort_onesweep_iterationIS3_Lb0EN6thrust23THRUST_200600_302600_NS6detail15normal_iteratorINS9_10device_ptrIjEEEESE_PS5_SF_jNS0_19identity_decomposerENS1_16block_id_wrapperIjLb1EEEEE10hipError_tT1_PNSt15iterator_traitsISK_E10value_typeET2_T3_PNSL_ISQ_E10value_typeET4_T5_PSV_SW_PNS1_23onesweep_lookback_stateEbbT6_jjT7_P12ihipStream_tbENKUlT_T0_SK_SP_E_clISE_SE_SF_SF_EEDaS13_S14_SK_SP_EUlS13_E_NS1_11comp_targetILNS1_3genE0ELNS1_11target_archE4294967295ELNS1_3gpuE0ELNS1_3repE0EEENS1_47radix_sort_onesweep_sort_config_static_selectorELNS0_4arch9wavefront6targetE1EEEvSK_,@function
_ZN7rocprim17ROCPRIM_400000_NS6detail17trampoline_kernelINS0_14default_configENS1_35radix_sort_onesweep_config_selectorIjNS0_10empty_typeEEEZZNS1_29radix_sort_onesweep_iterationIS3_Lb0EN6thrust23THRUST_200600_302600_NS6detail15normal_iteratorINS9_10device_ptrIjEEEESE_PS5_SF_jNS0_19identity_decomposerENS1_16block_id_wrapperIjLb1EEEEE10hipError_tT1_PNSt15iterator_traitsISK_E10value_typeET2_T3_PNSL_ISQ_E10value_typeET4_T5_PSV_SW_PNS1_23onesweep_lookback_stateEbbT6_jjT7_P12ihipStream_tbENKUlT_T0_SK_SP_E_clISE_SE_SF_SF_EEDaS13_S14_SK_SP_EUlS13_E_NS1_11comp_targetILNS1_3genE0ELNS1_11target_archE4294967295ELNS1_3gpuE0ELNS1_3repE0EEENS1_47radix_sort_onesweep_sort_config_static_selectorELNS0_4arch9wavefront6targetE1EEEvSK_: ; @_ZN7rocprim17ROCPRIM_400000_NS6detail17trampoline_kernelINS0_14default_configENS1_35radix_sort_onesweep_config_selectorIjNS0_10empty_typeEEEZZNS1_29radix_sort_onesweep_iterationIS3_Lb0EN6thrust23THRUST_200600_302600_NS6detail15normal_iteratorINS9_10device_ptrIjEEEESE_PS5_SF_jNS0_19identity_decomposerENS1_16block_id_wrapperIjLb1EEEEE10hipError_tT1_PNSt15iterator_traitsISK_E10value_typeET2_T3_PNSL_ISQ_E10value_typeET4_T5_PSV_SW_PNS1_23onesweep_lookback_stateEbbT6_jjT7_P12ihipStream_tbENKUlT_T0_SK_SP_E_clISE_SE_SF_SF_EEDaS13_S14_SK_SP_EUlS13_E_NS1_11comp_targetILNS1_3genE0ELNS1_11target_archE4294967295ELNS1_3gpuE0ELNS1_3repE0EEENS1_47radix_sort_onesweep_sort_config_static_selectorELNS0_4arch9wavefront6targetE1EEEvSK_
; %bb.0:
	.section	.rodata,"a",@progbits
	.p2align	6, 0x0
	.amdhsa_kernel _ZN7rocprim17ROCPRIM_400000_NS6detail17trampoline_kernelINS0_14default_configENS1_35radix_sort_onesweep_config_selectorIjNS0_10empty_typeEEEZZNS1_29radix_sort_onesweep_iterationIS3_Lb0EN6thrust23THRUST_200600_302600_NS6detail15normal_iteratorINS9_10device_ptrIjEEEESE_PS5_SF_jNS0_19identity_decomposerENS1_16block_id_wrapperIjLb1EEEEE10hipError_tT1_PNSt15iterator_traitsISK_E10value_typeET2_T3_PNSL_ISQ_E10value_typeET4_T5_PSV_SW_PNS1_23onesweep_lookback_stateEbbT6_jjT7_P12ihipStream_tbENKUlT_T0_SK_SP_E_clISE_SE_SF_SF_EEDaS13_S14_SK_SP_EUlS13_E_NS1_11comp_targetILNS1_3genE0ELNS1_11target_archE4294967295ELNS1_3gpuE0ELNS1_3repE0EEENS1_47radix_sort_onesweep_sort_config_static_selectorELNS0_4arch9wavefront6targetE1EEEvSK_
		.amdhsa_group_segment_fixed_size 0
		.amdhsa_private_segment_fixed_size 0
		.amdhsa_kernarg_size 88
		.amdhsa_user_sgpr_count 2
		.amdhsa_user_sgpr_dispatch_ptr 0
		.amdhsa_user_sgpr_queue_ptr 0
		.amdhsa_user_sgpr_kernarg_segment_ptr 1
		.amdhsa_user_sgpr_dispatch_id 0
		.amdhsa_user_sgpr_kernarg_preload_length 0
		.amdhsa_user_sgpr_kernarg_preload_offset 0
		.amdhsa_user_sgpr_private_segment_size 0
		.amdhsa_uses_dynamic_stack 0
		.amdhsa_enable_private_segment 0
		.amdhsa_system_sgpr_workgroup_id_x 1
		.amdhsa_system_sgpr_workgroup_id_y 0
		.amdhsa_system_sgpr_workgroup_id_z 0
		.amdhsa_system_sgpr_workgroup_info 0
		.amdhsa_system_vgpr_workitem_id 0
		.amdhsa_next_free_vgpr 1
		.amdhsa_next_free_sgpr 0
		.amdhsa_accum_offset 4
		.amdhsa_reserve_vcc 0
		.amdhsa_float_round_mode_32 0
		.amdhsa_float_round_mode_16_64 0
		.amdhsa_float_denorm_mode_32 3
		.amdhsa_float_denorm_mode_16_64 3
		.amdhsa_dx10_clamp 1
		.amdhsa_ieee_mode 1
		.amdhsa_fp16_overflow 0
		.amdhsa_tg_split 0
		.amdhsa_exception_fp_ieee_invalid_op 0
		.amdhsa_exception_fp_denorm_src 0
		.amdhsa_exception_fp_ieee_div_zero 0
		.amdhsa_exception_fp_ieee_overflow 0
		.amdhsa_exception_fp_ieee_underflow 0
		.amdhsa_exception_fp_ieee_inexact 0
		.amdhsa_exception_int_div_zero 0
	.end_amdhsa_kernel
	.section	.text._ZN7rocprim17ROCPRIM_400000_NS6detail17trampoline_kernelINS0_14default_configENS1_35radix_sort_onesweep_config_selectorIjNS0_10empty_typeEEEZZNS1_29radix_sort_onesweep_iterationIS3_Lb0EN6thrust23THRUST_200600_302600_NS6detail15normal_iteratorINS9_10device_ptrIjEEEESE_PS5_SF_jNS0_19identity_decomposerENS1_16block_id_wrapperIjLb1EEEEE10hipError_tT1_PNSt15iterator_traitsISK_E10value_typeET2_T3_PNSL_ISQ_E10value_typeET4_T5_PSV_SW_PNS1_23onesweep_lookback_stateEbbT6_jjT7_P12ihipStream_tbENKUlT_T0_SK_SP_E_clISE_SE_SF_SF_EEDaS13_S14_SK_SP_EUlS13_E_NS1_11comp_targetILNS1_3genE0ELNS1_11target_archE4294967295ELNS1_3gpuE0ELNS1_3repE0EEENS1_47radix_sort_onesweep_sort_config_static_selectorELNS0_4arch9wavefront6targetE1EEEvSK_,"axG",@progbits,_ZN7rocprim17ROCPRIM_400000_NS6detail17trampoline_kernelINS0_14default_configENS1_35radix_sort_onesweep_config_selectorIjNS0_10empty_typeEEEZZNS1_29radix_sort_onesweep_iterationIS3_Lb0EN6thrust23THRUST_200600_302600_NS6detail15normal_iteratorINS9_10device_ptrIjEEEESE_PS5_SF_jNS0_19identity_decomposerENS1_16block_id_wrapperIjLb1EEEEE10hipError_tT1_PNSt15iterator_traitsISK_E10value_typeET2_T3_PNSL_ISQ_E10value_typeET4_T5_PSV_SW_PNS1_23onesweep_lookback_stateEbbT6_jjT7_P12ihipStream_tbENKUlT_T0_SK_SP_E_clISE_SE_SF_SF_EEDaS13_S14_SK_SP_EUlS13_E_NS1_11comp_targetILNS1_3genE0ELNS1_11target_archE4294967295ELNS1_3gpuE0ELNS1_3repE0EEENS1_47radix_sort_onesweep_sort_config_static_selectorELNS0_4arch9wavefront6targetE1EEEvSK_,comdat
.Lfunc_end1101:
	.size	_ZN7rocprim17ROCPRIM_400000_NS6detail17trampoline_kernelINS0_14default_configENS1_35radix_sort_onesweep_config_selectorIjNS0_10empty_typeEEEZZNS1_29radix_sort_onesweep_iterationIS3_Lb0EN6thrust23THRUST_200600_302600_NS6detail15normal_iteratorINS9_10device_ptrIjEEEESE_PS5_SF_jNS0_19identity_decomposerENS1_16block_id_wrapperIjLb1EEEEE10hipError_tT1_PNSt15iterator_traitsISK_E10value_typeET2_T3_PNSL_ISQ_E10value_typeET4_T5_PSV_SW_PNS1_23onesweep_lookback_stateEbbT6_jjT7_P12ihipStream_tbENKUlT_T0_SK_SP_E_clISE_SE_SF_SF_EEDaS13_S14_SK_SP_EUlS13_E_NS1_11comp_targetILNS1_3genE0ELNS1_11target_archE4294967295ELNS1_3gpuE0ELNS1_3repE0EEENS1_47radix_sort_onesweep_sort_config_static_selectorELNS0_4arch9wavefront6targetE1EEEvSK_, .Lfunc_end1101-_ZN7rocprim17ROCPRIM_400000_NS6detail17trampoline_kernelINS0_14default_configENS1_35radix_sort_onesweep_config_selectorIjNS0_10empty_typeEEEZZNS1_29radix_sort_onesweep_iterationIS3_Lb0EN6thrust23THRUST_200600_302600_NS6detail15normal_iteratorINS9_10device_ptrIjEEEESE_PS5_SF_jNS0_19identity_decomposerENS1_16block_id_wrapperIjLb1EEEEE10hipError_tT1_PNSt15iterator_traitsISK_E10value_typeET2_T3_PNSL_ISQ_E10value_typeET4_T5_PSV_SW_PNS1_23onesweep_lookback_stateEbbT6_jjT7_P12ihipStream_tbENKUlT_T0_SK_SP_E_clISE_SE_SF_SF_EEDaS13_S14_SK_SP_EUlS13_E_NS1_11comp_targetILNS1_3genE0ELNS1_11target_archE4294967295ELNS1_3gpuE0ELNS1_3repE0EEENS1_47radix_sort_onesweep_sort_config_static_selectorELNS0_4arch9wavefront6targetE1EEEvSK_
                                        ; -- End function
	.section	.AMDGPU.csdata,"",@progbits
; Kernel info:
; codeLenInByte = 0
; NumSgprs: 6
; NumVgprs: 0
; NumAgprs: 0
; TotalNumVgprs: 0
; ScratchSize: 0
; MemoryBound: 0
; FloatMode: 240
; IeeeMode: 1
; LDSByteSize: 0 bytes/workgroup (compile time only)
; SGPRBlocks: 0
; VGPRBlocks: 0
; NumSGPRsForWavesPerEU: 6
; NumVGPRsForWavesPerEU: 1
; AccumOffset: 4
; Occupancy: 8
; WaveLimiterHint : 0
; COMPUTE_PGM_RSRC2:SCRATCH_EN: 0
; COMPUTE_PGM_RSRC2:USER_SGPR: 2
; COMPUTE_PGM_RSRC2:TRAP_HANDLER: 0
; COMPUTE_PGM_RSRC2:TGID_X_EN: 1
; COMPUTE_PGM_RSRC2:TGID_Y_EN: 0
; COMPUTE_PGM_RSRC2:TGID_Z_EN: 0
; COMPUTE_PGM_RSRC2:TIDIG_COMP_CNT: 0
; COMPUTE_PGM_RSRC3_GFX90A:ACCUM_OFFSET: 0
; COMPUTE_PGM_RSRC3_GFX90A:TG_SPLIT: 0
	.section	.text._ZN7rocprim17ROCPRIM_400000_NS6detail17trampoline_kernelINS0_14default_configENS1_35radix_sort_onesweep_config_selectorIjNS0_10empty_typeEEEZZNS1_29radix_sort_onesweep_iterationIS3_Lb0EN6thrust23THRUST_200600_302600_NS6detail15normal_iteratorINS9_10device_ptrIjEEEESE_PS5_SF_jNS0_19identity_decomposerENS1_16block_id_wrapperIjLb1EEEEE10hipError_tT1_PNSt15iterator_traitsISK_E10value_typeET2_T3_PNSL_ISQ_E10value_typeET4_T5_PSV_SW_PNS1_23onesweep_lookback_stateEbbT6_jjT7_P12ihipStream_tbENKUlT_T0_SK_SP_E_clISE_SE_SF_SF_EEDaS13_S14_SK_SP_EUlS13_E_NS1_11comp_targetILNS1_3genE6ELNS1_11target_archE950ELNS1_3gpuE13ELNS1_3repE0EEENS1_47radix_sort_onesweep_sort_config_static_selectorELNS0_4arch9wavefront6targetE1EEEvSK_,"axG",@progbits,_ZN7rocprim17ROCPRIM_400000_NS6detail17trampoline_kernelINS0_14default_configENS1_35radix_sort_onesweep_config_selectorIjNS0_10empty_typeEEEZZNS1_29radix_sort_onesweep_iterationIS3_Lb0EN6thrust23THRUST_200600_302600_NS6detail15normal_iteratorINS9_10device_ptrIjEEEESE_PS5_SF_jNS0_19identity_decomposerENS1_16block_id_wrapperIjLb1EEEEE10hipError_tT1_PNSt15iterator_traitsISK_E10value_typeET2_T3_PNSL_ISQ_E10value_typeET4_T5_PSV_SW_PNS1_23onesweep_lookback_stateEbbT6_jjT7_P12ihipStream_tbENKUlT_T0_SK_SP_E_clISE_SE_SF_SF_EEDaS13_S14_SK_SP_EUlS13_E_NS1_11comp_targetILNS1_3genE6ELNS1_11target_archE950ELNS1_3gpuE13ELNS1_3repE0EEENS1_47radix_sort_onesweep_sort_config_static_selectorELNS0_4arch9wavefront6targetE1EEEvSK_,comdat
	.protected	_ZN7rocprim17ROCPRIM_400000_NS6detail17trampoline_kernelINS0_14default_configENS1_35radix_sort_onesweep_config_selectorIjNS0_10empty_typeEEEZZNS1_29radix_sort_onesweep_iterationIS3_Lb0EN6thrust23THRUST_200600_302600_NS6detail15normal_iteratorINS9_10device_ptrIjEEEESE_PS5_SF_jNS0_19identity_decomposerENS1_16block_id_wrapperIjLb1EEEEE10hipError_tT1_PNSt15iterator_traitsISK_E10value_typeET2_T3_PNSL_ISQ_E10value_typeET4_T5_PSV_SW_PNS1_23onesweep_lookback_stateEbbT6_jjT7_P12ihipStream_tbENKUlT_T0_SK_SP_E_clISE_SE_SF_SF_EEDaS13_S14_SK_SP_EUlS13_E_NS1_11comp_targetILNS1_3genE6ELNS1_11target_archE950ELNS1_3gpuE13ELNS1_3repE0EEENS1_47radix_sort_onesweep_sort_config_static_selectorELNS0_4arch9wavefront6targetE1EEEvSK_ ; -- Begin function _ZN7rocprim17ROCPRIM_400000_NS6detail17trampoline_kernelINS0_14default_configENS1_35radix_sort_onesweep_config_selectorIjNS0_10empty_typeEEEZZNS1_29radix_sort_onesweep_iterationIS3_Lb0EN6thrust23THRUST_200600_302600_NS6detail15normal_iteratorINS9_10device_ptrIjEEEESE_PS5_SF_jNS0_19identity_decomposerENS1_16block_id_wrapperIjLb1EEEEE10hipError_tT1_PNSt15iterator_traitsISK_E10value_typeET2_T3_PNSL_ISQ_E10value_typeET4_T5_PSV_SW_PNS1_23onesweep_lookback_stateEbbT6_jjT7_P12ihipStream_tbENKUlT_T0_SK_SP_E_clISE_SE_SF_SF_EEDaS13_S14_SK_SP_EUlS13_E_NS1_11comp_targetILNS1_3genE6ELNS1_11target_archE950ELNS1_3gpuE13ELNS1_3repE0EEENS1_47radix_sort_onesweep_sort_config_static_selectorELNS0_4arch9wavefront6targetE1EEEvSK_
	.globl	_ZN7rocprim17ROCPRIM_400000_NS6detail17trampoline_kernelINS0_14default_configENS1_35radix_sort_onesweep_config_selectorIjNS0_10empty_typeEEEZZNS1_29radix_sort_onesweep_iterationIS3_Lb0EN6thrust23THRUST_200600_302600_NS6detail15normal_iteratorINS9_10device_ptrIjEEEESE_PS5_SF_jNS0_19identity_decomposerENS1_16block_id_wrapperIjLb1EEEEE10hipError_tT1_PNSt15iterator_traitsISK_E10value_typeET2_T3_PNSL_ISQ_E10value_typeET4_T5_PSV_SW_PNS1_23onesweep_lookback_stateEbbT6_jjT7_P12ihipStream_tbENKUlT_T0_SK_SP_E_clISE_SE_SF_SF_EEDaS13_S14_SK_SP_EUlS13_E_NS1_11comp_targetILNS1_3genE6ELNS1_11target_archE950ELNS1_3gpuE13ELNS1_3repE0EEENS1_47radix_sort_onesweep_sort_config_static_selectorELNS0_4arch9wavefront6targetE1EEEvSK_
	.p2align	8
	.type	_ZN7rocprim17ROCPRIM_400000_NS6detail17trampoline_kernelINS0_14default_configENS1_35radix_sort_onesweep_config_selectorIjNS0_10empty_typeEEEZZNS1_29radix_sort_onesweep_iterationIS3_Lb0EN6thrust23THRUST_200600_302600_NS6detail15normal_iteratorINS9_10device_ptrIjEEEESE_PS5_SF_jNS0_19identity_decomposerENS1_16block_id_wrapperIjLb1EEEEE10hipError_tT1_PNSt15iterator_traitsISK_E10value_typeET2_T3_PNSL_ISQ_E10value_typeET4_T5_PSV_SW_PNS1_23onesweep_lookback_stateEbbT6_jjT7_P12ihipStream_tbENKUlT_T0_SK_SP_E_clISE_SE_SF_SF_EEDaS13_S14_SK_SP_EUlS13_E_NS1_11comp_targetILNS1_3genE6ELNS1_11target_archE950ELNS1_3gpuE13ELNS1_3repE0EEENS1_47radix_sort_onesweep_sort_config_static_selectorELNS0_4arch9wavefront6targetE1EEEvSK_,@function
_ZN7rocprim17ROCPRIM_400000_NS6detail17trampoline_kernelINS0_14default_configENS1_35radix_sort_onesweep_config_selectorIjNS0_10empty_typeEEEZZNS1_29radix_sort_onesweep_iterationIS3_Lb0EN6thrust23THRUST_200600_302600_NS6detail15normal_iteratorINS9_10device_ptrIjEEEESE_PS5_SF_jNS0_19identity_decomposerENS1_16block_id_wrapperIjLb1EEEEE10hipError_tT1_PNSt15iterator_traitsISK_E10value_typeET2_T3_PNSL_ISQ_E10value_typeET4_T5_PSV_SW_PNS1_23onesweep_lookback_stateEbbT6_jjT7_P12ihipStream_tbENKUlT_T0_SK_SP_E_clISE_SE_SF_SF_EEDaS13_S14_SK_SP_EUlS13_E_NS1_11comp_targetILNS1_3genE6ELNS1_11target_archE950ELNS1_3gpuE13ELNS1_3repE0EEENS1_47radix_sort_onesweep_sort_config_static_selectorELNS0_4arch9wavefront6targetE1EEEvSK_: ; @_ZN7rocprim17ROCPRIM_400000_NS6detail17trampoline_kernelINS0_14default_configENS1_35radix_sort_onesweep_config_selectorIjNS0_10empty_typeEEEZZNS1_29radix_sort_onesweep_iterationIS3_Lb0EN6thrust23THRUST_200600_302600_NS6detail15normal_iteratorINS9_10device_ptrIjEEEESE_PS5_SF_jNS0_19identity_decomposerENS1_16block_id_wrapperIjLb1EEEEE10hipError_tT1_PNSt15iterator_traitsISK_E10value_typeET2_T3_PNSL_ISQ_E10value_typeET4_T5_PSV_SW_PNS1_23onesweep_lookback_stateEbbT6_jjT7_P12ihipStream_tbENKUlT_T0_SK_SP_E_clISE_SE_SF_SF_EEDaS13_S14_SK_SP_EUlS13_E_NS1_11comp_targetILNS1_3genE6ELNS1_11target_archE950ELNS1_3gpuE13ELNS1_3repE0EEENS1_47radix_sort_onesweep_sort_config_static_selectorELNS0_4arch9wavefront6targetE1EEEvSK_
; %bb.0:
	.section	.rodata,"a",@progbits
	.p2align	6, 0x0
	.amdhsa_kernel _ZN7rocprim17ROCPRIM_400000_NS6detail17trampoline_kernelINS0_14default_configENS1_35radix_sort_onesweep_config_selectorIjNS0_10empty_typeEEEZZNS1_29radix_sort_onesweep_iterationIS3_Lb0EN6thrust23THRUST_200600_302600_NS6detail15normal_iteratorINS9_10device_ptrIjEEEESE_PS5_SF_jNS0_19identity_decomposerENS1_16block_id_wrapperIjLb1EEEEE10hipError_tT1_PNSt15iterator_traitsISK_E10value_typeET2_T3_PNSL_ISQ_E10value_typeET4_T5_PSV_SW_PNS1_23onesweep_lookback_stateEbbT6_jjT7_P12ihipStream_tbENKUlT_T0_SK_SP_E_clISE_SE_SF_SF_EEDaS13_S14_SK_SP_EUlS13_E_NS1_11comp_targetILNS1_3genE6ELNS1_11target_archE950ELNS1_3gpuE13ELNS1_3repE0EEENS1_47radix_sort_onesweep_sort_config_static_selectorELNS0_4arch9wavefront6targetE1EEEvSK_
		.amdhsa_group_segment_fixed_size 0
		.amdhsa_private_segment_fixed_size 0
		.amdhsa_kernarg_size 88
		.amdhsa_user_sgpr_count 2
		.amdhsa_user_sgpr_dispatch_ptr 0
		.amdhsa_user_sgpr_queue_ptr 0
		.amdhsa_user_sgpr_kernarg_segment_ptr 1
		.amdhsa_user_sgpr_dispatch_id 0
		.amdhsa_user_sgpr_kernarg_preload_length 0
		.amdhsa_user_sgpr_kernarg_preload_offset 0
		.amdhsa_user_sgpr_private_segment_size 0
		.amdhsa_uses_dynamic_stack 0
		.amdhsa_enable_private_segment 0
		.amdhsa_system_sgpr_workgroup_id_x 1
		.amdhsa_system_sgpr_workgroup_id_y 0
		.amdhsa_system_sgpr_workgroup_id_z 0
		.amdhsa_system_sgpr_workgroup_info 0
		.amdhsa_system_vgpr_workitem_id 0
		.amdhsa_next_free_vgpr 1
		.amdhsa_next_free_sgpr 0
		.amdhsa_accum_offset 4
		.amdhsa_reserve_vcc 0
		.amdhsa_float_round_mode_32 0
		.amdhsa_float_round_mode_16_64 0
		.amdhsa_float_denorm_mode_32 3
		.amdhsa_float_denorm_mode_16_64 3
		.amdhsa_dx10_clamp 1
		.amdhsa_ieee_mode 1
		.amdhsa_fp16_overflow 0
		.amdhsa_tg_split 0
		.amdhsa_exception_fp_ieee_invalid_op 0
		.amdhsa_exception_fp_denorm_src 0
		.amdhsa_exception_fp_ieee_div_zero 0
		.amdhsa_exception_fp_ieee_overflow 0
		.amdhsa_exception_fp_ieee_underflow 0
		.amdhsa_exception_fp_ieee_inexact 0
		.amdhsa_exception_int_div_zero 0
	.end_amdhsa_kernel
	.section	.text._ZN7rocprim17ROCPRIM_400000_NS6detail17trampoline_kernelINS0_14default_configENS1_35radix_sort_onesweep_config_selectorIjNS0_10empty_typeEEEZZNS1_29radix_sort_onesweep_iterationIS3_Lb0EN6thrust23THRUST_200600_302600_NS6detail15normal_iteratorINS9_10device_ptrIjEEEESE_PS5_SF_jNS0_19identity_decomposerENS1_16block_id_wrapperIjLb1EEEEE10hipError_tT1_PNSt15iterator_traitsISK_E10value_typeET2_T3_PNSL_ISQ_E10value_typeET4_T5_PSV_SW_PNS1_23onesweep_lookback_stateEbbT6_jjT7_P12ihipStream_tbENKUlT_T0_SK_SP_E_clISE_SE_SF_SF_EEDaS13_S14_SK_SP_EUlS13_E_NS1_11comp_targetILNS1_3genE6ELNS1_11target_archE950ELNS1_3gpuE13ELNS1_3repE0EEENS1_47radix_sort_onesweep_sort_config_static_selectorELNS0_4arch9wavefront6targetE1EEEvSK_,"axG",@progbits,_ZN7rocprim17ROCPRIM_400000_NS6detail17trampoline_kernelINS0_14default_configENS1_35radix_sort_onesweep_config_selectorIjNS0_10empty_typeEEEZZNS1_29radix_sort_onesweep_iterationIS3_Lb0EN6thrust23THRUST_200600_302600_NS6detail15normal_iteratorINS9_10device_ptrIjEEEESE_PS5_SF_jNS0_19identity_decomposerENS1_16block_id_wrapperIjLb1EEEEE10hipError_tT1_PNSt15iterator_traitsISK_E10value_typeET2_T3_PNSL_ISQ_E10value_typeET4_T5_PSV_SW_PNS1_23onesweep_lookback_stateEbbT6_jjT7_P12ihipStream_tbENKUlT_T0_SK_SP_E_clISE_SE_SF_SF_EEDaS13_S14_SK_SP_EUlS13_E_NS1_11comp_targetILNS1_3genE6ELNS1_11target_archE950ELNS1_3gpuE13ELNS1_3repE0EEENS1_47radix_sort_onesweep_sort_config_static_selectorELNS0_4arch9wavefront6targetE1EEEvSK_,comdat
.Lfunc_end1102:
	.size	_ZN7rocprim17ROCPRIM_400000_NS6detail17trampoline_kernelINS0_14default_configENS1_35radix_sort_onesweep_config_selectorIjNS0_10empty_typeEEEZZNS1_29radix_sort_onesweep_iterationIS3_Lb0EN6thrust23THRUST_200600_302600_NS6detail15normal_iteratorINS9_10device_ptrIjEEEESE_PS5_SF_jNS0_19identity_decomposerENS1_16block_id_wrapperIjLb1EEEEE10hipError_tT1_PNSt15iterator_traitsISK_E10value_typeET2_T3_PNSL_ISQ_E10value_typeET4_T5_PSV_SW_PNS1_23onesweep_lookback_stateEbbT6_jjT7_P12ihipStream_tbENKUlT_T0_SK_SP_E_clISE_SE_SF_SF_EEDaS13_S14_SK_SP_EUlS13_E_NS1_11comp_targetILNS1_3genE6ELNS1_11target_archE950ELNS1_3gpuE13ELNS1_3repE0EEENS1_47radix_sort_onesweep_sort_config_static_selectorELNS0_4arch9wavefront6targetE1EEEvSK_, .Lfunc_end1102-_ZN7rocprim17ROCPRIM_400000_NS6detail17trampoline_kernelINS0_14default_configENS1_35radix_sort_onesweep_config_selectorIjNS0_10empty_typeEEEZZNS1_29radix_sort_onesweep_iterationIS3_Lb0EN6thrust23THRUST_200600_302600_NS6detail15normal_iteratorINS9_10device_ptrIjEEEESE_PS5_SF_jNS0_19identity_decomposerENS1_16block_id_wrapperIjLb1EEEEE10hipError_tT1_PNSt15iterator_traitsISK_E10value_typeET2_T3_PNSL_ISQ_E10value_typeET4_T5_PSV_SW_PNS1_23onesweep_lookback_stateEbbT6_jjT7_P12ihipStream_tbENKUlT_T0_SK_SP_E_clISE_SE_SF_SF_EEDaS13_S14_SK_SP_EUlS13_E_NS1_11comp_targetILNS1_3genE6ELNS1_11target_archE950ELNS1_3gpuE13ELNS1_3repE0EEENS1_47radix_sort_onesweep_sort_config_static_selectorELNS0_4arch9wavefront6targetE1EEEvSK_
                                        ; -- End function
	.section	.AMDGPU.csdata,"",@progbits
; Kernel info:
; codeLenInByte = 0
; NumSgprs: 6
; NumVgprs: 0
; NumAgprs: 0
; TotalNumVgprs: 0
; ScratchSize: 0
; MemoryBound: 0
; FloatMode: 240
; IeeeMode: 1
; LDSByteSize: 0 bytes/workgroup (compile time only)
; SGPRBlocks: 0
; VGPRBlocks: 0
; NumSGPRsForWavesPerEU: 6
; NumVGPRsForWavesPerEU: 1
; AccumOffset: 4
; Occupancy: 8
; WaveLimiterHint : 0
; COMPUTE_PGM_RSRC2:SCRATCH_EN: 0
; COMPUTE_PGM_RSRC2:USER_SGPR: 2
; COMPUTE_PGM_RSRC2:TRAP_HANDLER: 0
; COMPUTE_PGM_RSRC2:TGID_X_EN: 1
; COMPUTE_PGM_RSRC2:TGID_Y_EN: 0
; COMPUTE_PGM_RSRC2:TGID_Z_EN: 0
; COMPUTE_PGM_RSRC2:TIDIG_COMP_CNT: 0
; COMPUTE_PGM_RSRC3_GFX90A:ACCUM_OFFSET: 0
; COMPUTE_PGM_RSRC3_GFX90A:TG_SPLIT: 0
	.section	.text._ZN7rocprim17ROCPRIM_400000_NS6detail17trampoline_kernelINS0_14default_configENS1_35radix_sort_onesweep_config_selectorIjNS0_10empty_typeEEEZZNS1_29radix_sort_onesweep_iterationIS3_Lb0EN6thrust23THRUST_200600_302600_NS6detail15normal_iteratorINS9_10device_ptrIjEEEESE_PS5_SF_jNS0_19identity_decomposerENS1_16block_id_wrapperIjLb1EEEEE10hipError_tT1_PNSt15iterator_traitsISK_E10value_typeET2_T3_PNSL_ISQ_E10value_typeET4_T5_PSV_SW_PNS1_23onesweep_lookback_stateEbbT6_jjT7_P12ihipStream_tbENKUlT_T0_SK_SP_E_clISE_SE_SF_SF_EEDaS13_S14_SK_SP_EUlS13_E_NS1_11comp_targetILNS1_3genE5ELNS1_11target_archE942ELNS1_3gpuE9ELNS1_3repE0EEENS1_47radix_sort_onesweep_sort_config_static_selectorELNS0_4arch9wavefront6targetE1EEEvSK_,"axG",@progbits,_ZN7rocprim17ROCPRIM_400000_NS6detail17trampoline_kernelINS0_14default_configENS1_35radix_sort_onesweep_config_selectorIjNS0_10empty_typeEEEZZNS1_29radix_sort_onesweep_iterationIS3_Lb0EN6thrust23THRUST_200600_302600_NS6detail15normal_iteratorINS9_10device_ptrIjEEEESE_PS5_SF_jNS0_19identity_decomposerENS1_16block_id_wrapperIjLb1EEEEE10hipError_tT1_PNSt15iterator_traitsISK_E10value_typeET2_T3_PNSL_ISQ_E10value_typeET4_T5_PSV_SW_PNS1_23onesweep_lookback_stateEbbT6_jjT7_P12ihipStream_tbENKUlT_T0_SK_SP_E_clISE_SE_SF_SF_EEDaS13_S14_SK_SP_EUlS13_E_NS1_11comp_targetILNS1_3genE5ELNS1_11target_archE942ELNS1_3gpuE9ELNS1_3repE0EEENS1_47radix_sort_onesweep_sort_config_static_selectorELNS0_4arch9wavefront6targetE1EEEvSK_,comdat
	.protected	_ZN7rocprim17ROCPRIM_400000_NS6detail17trampoline_kernelINS0_14default_configENS1_35radix_sort_onesweep_config_selectorIjNS0_10empty_typeEEEZZNS1_29radix_sort_onesweep_iterationIS3_Lb0EN6thrust23THRUST_200600_302600_NS6detail15normal_iteratorINS9_10device_ptrIjEEEESE_PS5_SF_jNS0_19identity_decomposerENS1_16block_id_wrapperIjLb1EEEEE10hipError_tT1_PNSt15iterator_traitsISK_E10value_typeET2_T3_PNSL_ISQ_E10value_typeET4_T5_PSV_SW_PNS1_23onesweep_lookback_stateEbbT6_jjT7_P12ihipStream_tbENKUlT_T0_SK_SP_E_clISE_SE_SF_SF_EEDaS13_S14_SK_SP_EUlS13_E_NS1_11comp_targetILNS1_3genE5ELNS1_11target_archE942ELNS1_3gpuE9ELNS1_3repE0EEENS1_47radix_sort_onesweep_sort_config_static_selectorELNS0_4arch9wavefront6targetE1EEEvSK_ ; -- Begin function _ZN7rocprim17ROCPRIM_400000_NS6detail17trampoline_kernelINS0_14default_configENS1_35radix_sort_onesweep_config_selectorIjNS0_10empty_typeEEEZZNS1_29radix_sort_onesweep_iterationIS3_Lb0EN6thrust23THRUST_200600_302600_NS6detail15normal_iteratorINS9_10device_ptrIjEEEESE_PS5_SF_jNS0_19identity_decomposerENS1_16block_id_wrapperIjLb1EEEEE10hipError_tT1_PNSt15iterator_traitsISK_E10value_typeET2_T3_PNSL_ISQ_E10value_typeET4_T5_PSV_SW_PNS1_23onesweep_lookback_stateEbbT6_jjT7_P12ihipStream_tbENKUlT_T0_SK_SP_E_clISE_SE_SF_SF_EEDaS13_S14_SK_SP_EUlS13_E_NS1_11comp_targetILNS1_3genE5ELNS1_11target_archE942ELNS1_3gpuE9ELNS1_3repE0EEENS1_47radix_sort_onesweep_sort_config_static_selectorELNS0_4arch9wavefront6targetE1EEEvSK_
	.globl	_ZN7rocprim17ROCPRIM_400000_NS6detail17trampoline_kernelINS0_14default_configENS1_35radix_sort_onesweep_config_selectorIjNS0_10empty_typeEEEZZNS1_29radix_sort_onesweep_iterationIS3_Lb0EN6thrust23THRUST_200600_302600_NS6detail15normal_iteratorINS9_10device_ptrIjEEEESE_PS5_SF_jNS0_19identity_decomposerENS1_16block_id_wrapperIjLb1EEEEE10hipError_tT1_PNSt15iterator_traitsISK_E10value_typeET2_T3_PNSL_ISQ_E10value_typeET4_T5_PSV_SW_PNS1_23onesweep_lookback_stateEbbT6_jjT7_P12ihipStream_tbENKUlT_T0_SK_SP_E_clISE_SE_SF_SF_EEDaS13_S14_SK_SP_EUlS13_E_NS1_11comp_targetILNS1_3genE5ELNS1_11target_archE942ELNS1_3gpuE9ELNS1_3repE0EEENS1_47radix_sort_onesweep_sort_config_static_selectorELNS0_4arch9wavefront6targetE1EEEvSK_
	.p2align	8
	.type	_ZN7rocprim17ROCPRIM_400000_NS6detail17trampoline_kernelINS0_14default_configENS1_35radix_sort_onesweep_config_selectorIjNS0_10empty_typeEEEZZNS1_29radix_sort_onesweep_iterationIS3_Lb0EN6thrust23THRUST_200600_302600_NS6detail15normal_iteratorINS9_10device_ptrIjEEEESE_PS5_SF_jNS0_19identity_decomposerENS1_16block_id_wrapperIjLb1EEEEE10hipError_tT1_PNSt15iterator_traitsISK_E10value_typeET2_T3_PNSL_ISQ_E10value_typeET4_T5_PSV_SW_PNS1_23onesweep_lookback_stateEbbT6_jjT7_P12ihipStream_tbENKUlT_T0_SK_SP_E_clISE_SE_SF_SF_EEDaS13_S14_SK_SP_EUlS13_E_NS1_11comp_targetILNS1_3genE5ELNS1_11target_archE942ELNS1_3gpuE9ELNS1_3repE0EEENS1_47radix_sort_onesweep_sort_config_static_selectorELNS0_4arch9wavefront6targetE1EEEvSK_,@function
_ZN7rocprim17ROCPRIM_400000_NS6detail17trampoline_kernelINS0_14default_configENS1_35radix_sort_onesweep_config_selectorIjNS0_10empty_typeEEEZZNS1_29radix_sort_onesweep_iterationIS3_Lb0EN6thrust23THRUST_200600_302600_NS6detail15normal_iteratorINS9_10device_ptrIjEEEESE_PS5_SF_jNS0_19identity_decomposerENS1_16block_id_wrapperIjLb1EEEEE10hipError_tT1_PNSt15iterator_traitsISK_E10value_typeET2_T3_PNSL_ISQ_E10value_typeET4_T5_PSV_SW_PNS1_23onesweep_lookback_stateEbbT6_jjT7_P12ihipStream_tbENKUlT_T0_SK_SP_E_clISE_SE_SF_SF_EEDaS13_S14_SK_SP_EUlS13_E_NS1_11comp_targetILNS1_3genE5ELNS1_11target_archE942ELNS1_3gpuE9ELNS1_3repE0EEENS1_47radix_sort_onesweep_sort_config_static_selectorELNS0_4arch9wavefront6targetE1EEEvSK_: ; @_ZN7rocprim17ROCPRIM_400000_NS6detail17trampoline_kernelINS0_14default_configENS1_35radix_sort_onesweep_config_selectorIjNS0_10empty_typeEEEZZNS1_29radix_sort_onesweep_iterationIS3_Lb0EN6thrust23THRUST_200600_302600_NS6detail15normal_iteratorINS9_10device_ptrIjEEEESE_PS5_SF_jNS0_19identity_decomposerENS1_16block_id_wrapperIjLb1EEEEE10hipError_tT1_PNSt15iterator_traitsISK_E10value_typeET2_T3_PNSL_ISQ_E10value_typeET4_T5_PSV_SW_PNS1_23onesweep_lookback_stateEbbT6_jjT7_P12ihipStream_tbENKUlT_T0_SK_SP_E_clISE_SE_SF_SF_EEDaS13_S14_SK_SP_EUlS13_E_NS1_11comp_targetILNS1_3genE5ELNS1_11target_archE942ELNS1_3gpuE9ELNS1_3repE0EEENS1_47radix_sort_onesweep_sort_config_static_selectorELNS0_4arch9wavefront6targetE1EEEvSK_
; %bb.0:
	s_load_dwordx4 s[20:23], s[0:1], 0x28
	s_load_dwordx2 s[18:19], s[0:1], 0x38
	s_load_dwordx4 s[24:27], s[0:1], 0x44
	v_and_b32_e32 v2, 0x3ff, v0
	v_cmp_eq_u32_e64 s[10:11], 0, v2
	s_and_saveexec_b64 s[4:5], s[10:11]
	s_cbranch_execz .LBB1103_4
; %bb.1:
	s_mov_b64 s[8:9], exec
	v_mbcnt_lo_u32_b32 v1, s8, 0
	v_mbcnt_hi_u32_b32 v1, s9, v1
	v_cmp_eq_u32_e32 vcc, 0, v1
                                        ; implicit-def: $vgpr3
	s_and_saveexec_b64 s[6:7], vcc
	s_cbranch_execz .LBB1103_3
; %bb.2:
	s_load_dwordx2 s[12:13], s[0:1], 0x50
	s_bcnt1_i32_b64 s3, s[8:9]
	v_mov_b32_e32 v3, 0
	v_mov_b32_e32 v4, s3
	s_waitcnt lgkmcnt(0)
	global_atomic_add v3, v3, v4, s[12:13] sc0
.LBB1103_3:
	s_or_b64 exec, exec, s[6:7]
	s_waitcnt vmcnt(0)
	v_readfirstlane_b32 s3, v3
	v_mov_b32_e32 v3, 0
	s_nop 0
	v_add_u32_e32 v1, s3, v1
	ds_write_b32 v3, v1 offset:20544
.LBB1103_4:
	s_or_b64 exec, exec, s[4:5]
	v_mov_b32_e32 v5, 0
	s_load_dwordx4 s[28:31], s[0:1], 0x0
	s_load_dword s3, s[0:1], 0x20
	s_waitcnt lgkmcnt(0)
	s_barrier
	ds_read_b32 v1, v5 offset:20544
	s_waitcnt lgkmcnt(0)
	s_barrier
	v_cmp_le_u32_e32 vcc, s26, v1
	v_readfirstlane_b32 s27, v1
	v_mbcnt_lo_u32_b32 v1, -1, 0
	s_cbranch_vccz .LBB1103_83
; %bb.5:
	s_lshl_b32 s4, s26, 13
	s_sub_i32 s3, s3, s4
	s_lshl_b32 s4, s27, 13
	s_mov_b32 s5, 0
	s_lshl_b64 s[4:5], s[4:5], 2
	v_mbcnt_hi_u32_b32 v8, -1, v1
	s_add_u32 s4, s28, s4
	v_and_b32_e32 v3, 63, v8
	v_lshlrev_b32_e32 v4, 3, v2
	s_addc_u32 s5, s29, s5
	v_and_b32_e32 v9, 0x1e00, v4
	v_lshlrev_b32_e32 v4, 2, v3
	v_lshl_add_u64 v[6:7], s[4:5], 0, v[4:5]
	v_lshlrev_b32_e32 v4, 2, v9
	v_lshl_add_u64 v[4:5], v[6:7], 0, v[4:5]
	v_or_b32_e32 v6, v3, v9
	v_cmp_gt_u32_e32 vcc, s3, v6
	v_mov_b32_e32 v3, -1
	v_mov_b32_e32 v10, -1
	s_and_saveexec_b64 s[4:5], vcc
	s_cbranch_execz .LBB1103_7
; %bb.6:
	global_load_dword v10, v[4:5], off
.LBB1103_7:
	s_or_b64 exec, exec, s[4:5]
	v_or_b32_e32 v7, 64, v6
	v_cmp_gt_u32_e32 vcc, s3, v7
	v_mov_b32_e32 v11, -1
	s_and_saveexec_b64 s[4:5], vcc
	s_cbranch_execz .LBB1103_9
; %bb.8:
	global_load_dword v11, v[4:5], off offset:256
.LBB1103_9:
	s_or_b64 exec, exec, s[4:5]
	v_or_b32_e32 v7, 0x80, v6
	v_cmp_gt_u32_e32 vcc, s3, v7
	s_and_saveexec_b64 s[4:5], vcc
	s_cbranch_execz .LBB1103_11
; %bb.10:
	global_load_dword v3, v[4:5], off offset:512
.LBB1103_11:
	s_or_b64 exec, exec, s[4:5]
	v_or_b32_e32 v7, 0xc0, v6
	v_cmp_gt_u32_e32 vcc, s3, v7
	v_mov_b32_e32 v12, -1
	v_mov_b32_e32 v13, -1
	s_and_saveexec_b64 s[4:5], vcc
	s_cbranch_execz .LBB1103_13
; %bb.12:
	global_load_dword v13, v[4:5], off offset:768
.LBB1103_13:
	s_or_b64 exec, exec, s[4:5]
	v_or_b32_e32 v7, 0x100, v6
	v_cmp_gt_u32_e32 vcc, s3, v7
	s_and_saveexec_b64 s[4:5], vcc
	s_cbranch_execz .LBB1103_15
; %bb.14:
	global_load_dword v12, v[4:5], off offset:1024
.LBB1103_15:
	s_or_b64 exec, exec, s[4:5]
	v_or_b32_e32 v7, 0x140, v6
	v_cmp_gt_u32_e32 vcc, s3, v7
	v_mov_b32_e32 v14, -1
	;; [unrolled: 18-line block ×3, first 2 shown]
	s_and_saveexec_b64 s[4:5], vcc
	s_cbranch_execz .LBB1103_21
; %bb.20:
	global_load_dword v16, v[4:5], off offset:1792
.LBB1103_21:
	s_or_b64 exec, exec, s[4:5]
	s_load_dword s4, s[0:1], 0x64
	s_load_dword s26, s[0:1], 0x58
	s_add_u32 s5, s0, 0x58
	s_addc_u32 s6, s1, 0
	v_mov_b32_e32 v5, 0
	s_waitcnt lgkmcnt(0)
	s_lshr_b32 s7, s4, 16
	s_cmp_lt_u32 s2, s26
	s_cselect_b32 s4, 12, 18
	s_add_u32 s4, s5, s4
	s_addc_u32 s5, s6, 0
	global_load_ushort v17, v5, s[4:5]
	s_lshl_b32 s4, -1, s25
	s_waitcnt vmcnt(1)
	v_lshrrev_b32_e32 v19, s24, v10
	s_not_b32 s33, s4
	v_bfe_u32 v4, v0, 10, 10
	v_bfe_u32 v7, v0, 20, 10
	v_and_b32_e32 v28, s33, v19
	v_mul_u32_u24_e32 v6, 5, v2
	v_mad_u32_u24 v30, v7, s7, v4
	v_and_b32_e32 v4, 1, v28
	v_lshlrev_b32_e32 v7, 30, v28
	v_lshlrev_b32_e32 v9, 2, v6
	v_mov_b32_e32 v6, v5
	v_mov_b32_e32 v20, v5
	v_lshl_add_u32 v32, v28, 4, v28
	v_lshlrev_b32_e32 v19, 29, v28
	v_lshlrev_b32_e32 v21, 28, v28
	;; [unrolled: 1-line block ×6, first 2 shown]
	v_lshl_add_u64 v[28:29], v[4:5], 0, -1
	v_cmp_ne_u32_e32 vcc, 0, v4
	v_not_b32_e32 v4, v7
	v_mov_b32_e32 v18, v5
	v_mov_b32_e32 v22, v5
	v_cmp_gt_i64_e64 s[4:5], 0, v[6:7]
	v_not_b32_e32 v6, v19
	v_cmp_gt_i64_e64 s[8:9], 0, v[20:21]
	v_not_b32_e32 v7, v21
	v_xor_b32_e32 v21, vcc_hi, v29
	v_ashrrev_i32_e32 v4, 31, v4
	v_mov_b32_e32 v24, v5
	v_cmp_gt_i64_e64 s[6:7], 0, v[18:19]
	v_cmp_gt_i64_e64 s[12:13], 0, v[22:23]
	v_not_b32_e32 v18, v23
	v_xor_b32_e32 v22, vcc_lo, v28
	v_ashrrev_i32_e32 v6, 31, v6
	v_and_b32_e32 v21, exec_hi, v21
	v_xor_b32_e32 v23, s5, v4
	v_cmp_gt_i64_e64 s[14:15], 0, v[24:25]
	v_ashrrev_i32_e32 v7, 31, v7
	v_and_b32_e32 v22, exec_lo, v22
	v_xor_b32_e32 v4, s4, v4
	v_xor_b32_e32 v24, s7, v6
	v_and_b32_e32 v21, v21, v23
	v_mov_b32_e32 v26, v5
	v_not_b32_e32 v19, v25
	v_ashrrev_i32_e32 v18, 31, v18
	v_xor_b32_e32 v6, s6, v6
	v_xor_b32_e32 v25, s9, v7
	v_and_b32_e32 v4, v22, v4
	v_and_b32_e32 v21, v21, v24
	v_cmp_gt_i64_e64 s[16:17], 0, v[26:27]
	v_not_b32_e32 v20, v27
	v_ashrrev_i32_e32 v19, 31, v19
	v_xor_b32_e32 v26, s13, v18
	v_and_b32_e32 v4, v4, v6
	v_and_b32_e32 v6, v21, v25
	v_ashrrev_i32_e32 v20, 31, v20
	v_xor_b32_e32 v7, s8, v7
	v_xor_b32_e32 v27, s15, v19
	v_and_b32_e32 v6, v6, v26
	v_xor_b32_e32 v18, s12, v18
	v_xor_b32_e32 v28, s17, v20
	v_and_b32_e32 v4, v4, v7
	v_and_b32_e32 v6, v6, v27
	;; [unrolled: 1-line block ×4, first 2 shown]
	v_xor_b32_e32 v19, s14, v19
	v_xor_b32_e32 v20, s16, v20
	v_and_b32_e32 v4, v4, v19
	v_and_b32_e32 v4, v4, v20
	ds_write2_b32 v9, v5, v5 offset0:16 offset1:17
	ds_write2_b32 v9, v5, v5 offset0:18 offset1:19
	ds_write_b32 v9, v5 offset:80
	s_waitcnt lgkmcnt(0)
	s_barrier
	s_waitcnt lgkmcnt(0)
	; wave barrier
	s_waitcnt vmcnt(0)
	v_mad_u64_u32 v[6:7], s[4:5], v30, v17, v[2:3]
	v_lshrrev_b32_e32 v28, 6, v6
	v_mov_b32_e32 v30, v5
	v_not_b32_e32 v6, v31
	v_cmp_gt_i64_e32 vcc, 0, v[30:31]
	v_ashrrev_i32_e32 v6, 31, v6
	v_add_lshl_u32 v21, v28, v32, 2
	v_xor_b32_e32 v7, vcc_hi, v6
	v_xor_b32_e32 v6, vcc_lo, v6
	v_and_b32_e32 v6, v4, v6
	v_and_b32_e32 v7, v18, v7
	v_mbcnt_lo_u32_b32 v4, v6, 0
	v_mbcnt_hi_u32_b32 v17, v7, v4
	v_cmp_eq_u32_e32 vcc, 0, v17
	v_cmp_ne_u64_e64 s[4:5], 0, v[6:7]
	s_and_b64 s[6:7], s[4:5], vcc
	s_and_saveexec_b64 s[4:5], s[6:7]
	s_cbranch_execz .LBB1103_23
; %bb.22:
	v_bcnt_u32_b32 v4, v6, 0
	v_bcnt_u32_b32 v4, v7, v4
	ds_write_b32 v21, v4 offset:64
.LBB1103_23:
	s_or_b64 exec, exec, s[4:5]
	v_lshrrev_b32_e32 v4, s24, v11
	v_and_b32_e32 v19, s33, v4
	v_lshl_add_u32 v4, v19, 4, v19
	v_add_lshl_u32 v22, v28, v4, 2
	v_and_b32_e32 v4, 1, v19
	v_lshl_add_u64 v[6:7], v[4:5], 0, -1
	v_cmp_ne_u32_e32 vcc, 0, v4
	; wave barrier
	s_nop 1
	v_xor_b32_e32 v6, vcc_lo, v6
	v_xor_b32_e32 v4, vcc_hi, v7
	v_and_b32_e32 v20, exec_lo, v6
	v_lshlrev_b32_e32 v7, 30, v19
	v_mov_b32_e32 v6, v5
	v_cmp_gt_i64_e32 vcc, 0, v[6:7]
	v_not_b32_e32 v6, v7
	v_ashrrev_i32_e32 v6, 31, v6
	v_and_b32_e32 v4, exec_hi, v4
	v_xor_b32_e32 v7, vcc_hi, v6
	v_xor_b32_e32 v6, vcc_lo, v6
	v_and_b32_e32 v4, v4, v7
	v_and_b32_e32 v20, v20, v6
	v_lshlrev_b32_e32 v7, 29, v19
	v_mov_b32_e32 v6, v5
	v_cmp_gt_i64_e32 vcc, 0, v[6:7]
	v_not_b32_e32 v6, v7
	v_ashrrev_i32_e32 v6, 31, v6
	v_xor_b32_e32 v7, vcc_hi, v6
	v_xor_b32_e32 v6, vcc_lo, v6
	v_and_b32_e32 v4, v4, v7
	v_and_b32_e32 v20, v20, v6
	v_lshlrev_b32_e32 v7, 28, v19
	v_mov_b32_e32 v6, v5
	v_cmp_gt_i64_e32 vcc, 0, v[6:7]
	v_not_b32_e32 v6, v7
	v_ashrrev_i32_e32 v6, 31, v6
	;; [unrolled: 9-line block ×5, first 2 shown]
	v_xor_b32_e32 v7, vcc_hi, v6
	v_xor_b32_e32 v6, vcc_lo, v6
	v_and_b32_e32 v4, v4, v7
	v_lshlrev_b32_e32 v7, 24, v19
	v_and_b32_e32 v20, v20, v6
	v_mov_b32_e32 v6, v5
	v_not_b32_e32 v5, v7
	v_cmp_gt_i64_e32 vcc, 0, v[6:7]
	v_ashrrev_i32_e32 v5, 31, v5
	ds_read_b32 v18, v22 offset:64
	v_xor_b32_e32 v6, vcc_hi, v5
	v_xor_b32_e32 v7, vcc_lo, v5
	v_and_b32_e32 v5, v4, v6
	v_and_b32_e32 v4, v20, v7
	v_mbcnt_lo_u32_b32 v6, v4, 0
	v_mbcnt_hi_u32_b32 v19, v5, v6
	v_cmp_eq_u32_e32 vcc, 0, v19
	v_cmp_ne_u64_e64 s[4:5], 0, v[4:5]
	s_and_b64 s[6:7], s[4:5], vcc
	; wave barrier
	s_and_saveexec_b64 s[4:5], s[6:7]
	s_cbranch_execz .LBB1103_25
; %bb.24:
	v_bcnt_u32_b32 v4, v4, 0
	v_bcnt_u32_b32 v4, v5, v4
	s_waitcnt lgkmcnt(0)
	v_add_u32_e32 v4, v18, v4
	ds_write_b32 v22, v4 offset:64
.LBB1103_25:
	s_or_b64 exec, exec, s[4:5]
	v_lshrrev_b32_e32 v4, s24, v3
	v_and_b32_e32 v23, s33, v4
	v_lshl_add_u32 v4, v23, 4, v23
	v_add_lshl_u32 v25, v28, v4, 2
	v_and_b32_e32 v4, 1, v23
	v_mov_b32_e32 v5, 0
	v_lshl_add_u64 v[6:7], v[4:5], 0, -1
	v_cmp_ne_u32_e32 vcc, 0, v4
	; wave barrier
	s_nop 1
	v_xor_b32_e32 v6, vcc_lo, v6
	v_xor_b32_e32 v4, vcc_hi, v7
	v_and_b32_e32 v24, exec_lo, v6
	v_lshlrev_b32_e32 v7, 30, v23
	v_mov_b32_e32 v6, v5
	v_cmp_gt_i64_e32 vcc, 0, v[6:7]
	v_not_b32_e32 v6, v7
	v_ashrrev_i32_e32 v6, 31, v6
	v_and_b32_e32 v4, exec_hi, v4
	v_xor_b32_e32 v7, vcc_hi, v6
	v_xor_b32_e32 v6, vcc_lo, v6
	v_and_b32_e32 v4, v4, v7
	v_and_b32_e32 v24, v24, v6
	v_lshlrev_b32_e32 v7, 29, v23
	v_mov_b32_e32 v6, v5
	v_cmp_gt_i64_e32 vcc, 0, v[6:7]
	v_not_b32_e32 v6, v7
	v_ashrrev_i32_e32 v6, 31, v6
	v_xor_b32_e32 v7, vcc_hi, v6
	v_xor_b32_e32 v6, vcc_lo, v6
	v_and_b32_e32 v4, v4, v7
	v_and_b32_e32 v24, v24, v6
	v_lshlrev_b32_e32 v7, 28, v23
	v_mov_b32_e32 v6, v5
	v_cmp_gt_i64_e32 vcc, 0, v[6:7]
	v_not_b32_e32 v6, v7
	v_ashrrev_i32_e32 v6, 31, v6
	;; [unrolled: 9-line block ×6, first 2 shown]
	v_xor_b32_e32 v7, vcc_hi, v6
	v_xor_b32_e32 v6, vcc_lo, v6
	ds_read_b32 v20, v25 offset:64
	v_and_b32_e32 v6, v24, v6
	v_and_b32_e32 v7, v4, v7
	v_mbcnt_lo_u32_b32 v4, v6, 0
	v_mbcnt_hi_u32_b32 v23, v7, v4
	v_cmp_eq_u32_e32 vcc, 0, v23
	v_cmp_ne_u64_e64 s[4:5], 0, v[6:7]
	s_and_b64 s[6:7], s[4:5], vcc
	; wave barrier
	s_and_saveexec_b64 s[4:5], s[6:7]
	s_cbranch_execz .LBB1103_27
; %bb.26:
	v_bcnt_u32_b32 v4, v6, 0
	v_bcnt_u32_b32 v4, v7, v4
	s_waitcnt lgkmcnt(0)
	v_add_u32_e32 v4, v20, v4
	ds_write_b32 v25, v4 offset:64
.LBB1103_27:
	s_or_b64 exec, exec, s[4:5]
	v_lshrrev_b32_e32 v4, s24, v13
	v_and_b32_e32 v26, s33, v4
	v_lshl_add_u32 v4, v26, 4, v26
	v_add_lshl_u32 v29, v28, v4, 2
	v_and_b32_e32 v4, 1, v26
	v_lshl_add_u64 v[6:7], v[4:5], 0, -1
	v_cmp_ne_u32_e32 vcc, 0, v4
	; wave barrier
	s_nop 1
	v_xor_b32_e32 v6, vcc_lo, v6
	v_xor_b32_e32 v4, vcc_hi, v7
	v_and_b32_e32 v27, exec_lo, v6
	v_lshlrev_b32_e32 v7, 30, v26
	v_mov_b32_e32 v6, v5
	v_cmp_gt_i64_e32 vcc, 0, v[6:7]
	v_not_b32_e32 v6, v7
	v_ashrrev_i32_e32 v6, 31, v6
	v_and_b32_e32 v4, exec_hi, v4
	v_xor_b32_e32 v7, vcc_hi, v6
	v_xor_b32_e32 v6, vcc_lo, v6
	v_and_b32_e32 v4, v4, v7
	v_and_b32_e32 v27, v27, v6
	v_lshlrev_b32_e32 v7, 29, v26
	v_mov_b32_e32 v6, v5
	v_cmp_gt_i64_e32 vcc, 0, v[6:7]
	v_not_b32_e32 v6, v7
	v_ashrrev_i32_e32 v6, 31, v6
	v_xor_b32_e32 v7, vcc_hi, v6
	v_xor_b32_e32 v6, vcc_lo, v6
	v_and_b32_e32 v4, v4, v7
	v_and_b32_e32 v27, v27, v6
	v_lshlrev_b32_e32 v7, 28, v26
	v_mov_b32_e32 v6, v5
	v_cmp_gt_i64_e32 vcc, 0, v[6:7]
	v_not_b32_e32 v6, v7
	v_ashrrev_i32_e32 v6, 31, v6
	;; [unrolled: 9-line block ×5, first 2 shown]
	v_xor_b32_e32 v7, vcc_hi, v6
	v_xor_b32_e32 v6, vcc_lo, v6
	v_and_b32_e32 v4, v4, v7
	v_lshlrev_b32_e32 v7, 24, v26
	v_and_b32_e32 v27, v27, v6
	v_mov_b32_e32 v6, v5
	v_not_b32_e32 v5, v7
	v_cmp_gt_i64_e32 vcc, 0, v[6:7]
	v_ashrrev_i32_e32 v5, 31, v5
	ds_read_b32 v24, v29 offset:64
	v_xor_b32_e32 v6, vcc_hi, v5
	v_xor_b32_e32 v7, vcc_lo, v5
	v_and_b32_e32 v5, v4, v6
	v_and_b32_e32 v4, v27, v7
	v_mbcnt_lo_u32_b32 v6, v4, 0
	v_mbcnt_hi_u32_b32 v26, v5, v6
	v_cmp_eq_u32_e32 vcc, 0, v26
	v_cmp_ne_u64_e64 s[4:5], 0, v[4:5]
	s_and_b64 s[6:7], s[4:5], vcc
	; wave barrier
	s_and_saveexec_b64 s[4:5], s[6:7]
	s_cbranch_execz .LBB1103_29
; %bb.28:
	v_bcnt_u32_b32 v4, v4, 0
	v_bcnt_u32_b32 v4, v5, v4
	s_waitcnt lgkmcnt(0)
	v_add_u32_e32 v4, v24, v4
	ds_write_b32 v29, v4 offset:64
.LBB1103_29:
	s_or_b64 exec, exec, s[4:5]
	v_lshrrev_b32_e32 v4, s24, v12
	v_and_b32_e32 v30, s33, v4
	v_lshl_add_u32 v4, v30, 4, v30
	v_add_lshl_u32 v32, v28, v4, 2
	v_and_b32_e32 v4, 1, v30
	v_mov_b32_e32 v5, 0
	v_lshl_add_u64 v[6:7], v[4:5], 0, -1
	v_cmp_ne_u32_e32 vcc, 0, v4
	; wave barrier
	s_nop 1
	v_xor_b32_e32 v6, vcc_lo, v6
	v_xor_b32_e32 v4, vcc_hi, v7
	v_and_b32_e32 v31, exec_lo, v6
	v_lshlrev_b32_e32 v7, 30, v30
	v_mov_b32_e32 v6, v5
	v_cmp_gt_i64_e32 vcc, 0, v[6:7]
	v_not_b32_e32 v6, v7
	v_ashrrev_i32_e32 v6, 31, v6
	v_and_b32_e32 v4, exec_hi, v4
	v_xor_b32_e32 v7, vcc_hi, v6
	v_xor_b32_e32 v6, vcc_lo, v6
	v_and_b32_e32 v4, v4, v7
	v_and_b32_e32 v31, v31, v6
	v_lshlrev_b32_e32 v7, 29, v30
	v_mov_b32_e32 v6, v5
	v_cmp_gt_i64_e32 vcc, 0, v[6:7]
	v_not_b32_e32 v6, v7
	v_ashrrev_i32_e32 v6, 31, v6
	v_xor_b32_e32 v7, vcc_hi, v6
	v_xor_b32_e32 v6, vcc_lo, v6
	v_and_b32_e32 v4, v4, v7
	v_and_b32_e32 v31, v31, v6
	v_lshlrev_b32_e32 v7, 28, v30
	v_mov_b32_e32 v6, v5
	v_cmp_gt_i64_e32 vcc, 0, v[6:7]
	v_not_b32_e32 v6, v7
	v_ashrrev_i32_e32 v6, 31, v6
	;; [unrolled: 9-line block ×6, first 2 shown]
	v_xor_b32_e32 v7, vcc_hi, v6
	v_xor_b32_e32 v6, vcc_lo, v6
	ds_read_b32 v27, v32 offset:64
	v_and_b32_e32 v6, v31, v6
	v_and_b32_e32 v7, v4, v7
	v_mbcnt_lo_u32_b32 v4, v6, 0
	v_mbcnt_hi_u32_b32 v30, v7, v4
	v_cmp_eq_u32_e32 vcc, 0, v30
	v_cmp_ne_u64_e64 s[4:5], 0, v[6:7]
	s_and_b64 s[6:7], s[4:5], vcc
	; wave barrier
	s_and_saveexec_b64 s[4:5], s[6:7]
	s_cbranch_execz .LBB1103_31
; %bb.30:
	v_bcnt_u32_b32 v4, v6, 0
	v_bcnt_u32_b32 v4, v7, v4
	s_waitcnt lgkmcnt(0)
	v_add_u32_e32 v4, v27, v4
	ds_write_b32 v32, v4 offset:64
.LBB1103_31:
	s_or_b64 exec, exec, s[4:5]
	v_lshrrev_b32_e32 v4, s24, v15
	v_and_b32_e32 v33, s33, v4
	v_lshl_add_u32 v4, v33, 4, v33
	v_add_lshl_u32 v35, v28, v4, 2
	v_and_b32_e32 v4, 1, v33
	v_lshl_add_u64 v[6:7], v[4:5], 0, -1
	v_cmp_ne_u32_e32 vcc, 0, v4
	; wave barrier
	s_nop 1
	v_xor_b32_e32 v6, vcc_lo, v6
	v_xor_b32_e32 v4, vcc_hi, v7
	v_and_b32_e32 v34, exec_lo, v6
	v_lshlrev_b32_e32 v7, 30, v33
	v_mov_b32_e32 v6, v5
	v_cmp_gt_i64_e32 vcc, 0, v[6:7]
	v_not_b32_e32 v6, v7
	v_ashrrev_i32_e32 v6, 31, v6
	v_and_b32_e32 v4, exec_hi, v4
	v_xor_b32_e32 v7, vcc_hi, v6
	v_xor_b32_e32 v6, vcc_lo, v6
	v_and_b32_e32 v4, v4, v7
	v_and_b32_e32 v34, v34, v6
	v_lshlrev_b32_e32 v7, 29, v33
	v_mov_b32_e32 v6, v5
	v_cmp_gt_i64_e32 vcc, 0, v[6:7]
	v_not_b32_e32 v6, v7
	v_ashrrev_i32_e32 v6, 31, v6
	v_xor_b32_e32 v7, vcc_hi, v6
	v_xor_b32_e32 v6, vcc_lo, v6
	v_and_b32_e32 v4, v4, v7
	v_and_b32_e32 v34, v34, v6
	v_lshlrev_b32_e32 v7, 28, v33
	v_mov_b32_e32 v6, v5
	v_cmp_gt_i64_e32 vcc, 0, v[6:7]
	v_not_b32_e32 v6, v7
	v_ashrrev_i32_e32 v6, 31, v6
	;; [unrolled: 9-line block ×5, first 2 shown]
	v_xor_b32_e32 v7, vcc_hi, v6
	v_xor_b32_e32 v6, vcc_lo, v6
	v_and_b32_e32 v4, v4, v7
	v_lshlrev_b32_e32 v7, 24, v33
	v_and_b32_e32 v34, v34, v6
	v_mov_b32_e32 v6, v5
	v_not_b32_e32 v5, v7
	v_cmp_gt_i64_e32 vcc, 0, v[6:7]
	v_ashrrev_i32_e32 v5, 31, v5
	ds_read_b32 v31, v35 offset:64
	v_xor_b32_e32 v6, vcc_hi, v5
	v_xor_b32_e32 v7, vcc_lo, v5
	v_and_b32_e32 v5, v4, v6
	v_and_b32_e32 v4, v34, v7
	v_mbcnt_lo_u32_b32 v6, v4, 0
	v_mbcnt_hi_u32_b32 v33, v5, v6
	v_cmp_eq_u32_e32 vcc, 0, v33
	v_cmp_ne_u64_e64 s[4:5], 0, v[4:5]
	s_and_b64 s[6:7], s[4:5], vcc
	; wave barrier
	s_and_saveexec_b64 s[4:5], s[6:7]
	s_cbranch_execz .LBB1103_33
; %bb.32:
	v_bcnt_u32_b32 v4, v4, 0
	v_bcnt_u32_b32 v4, v5, v4
	s_waitcnt lgkmcnt(0)
	v_add_u32_e32 v4, v31, v4
	ds_write_b32 v35, v4 offset:64
.LBB1103_33:
	s_or_b64 exec, exec, s[4:5]
	v_lshrrev_b32_e32 v4, s24, v14
	v_and_b32_e32 v36, s33, v4
	v_lshl_add_u32 v4, v36, 4, v36
	v_add_lshl_u32 v37, v28, v4, 2
	v_and_b32_e32 v4, 1, v36
	v_mov_b32_e32 v5, 0
	v_lshl_add_u64 v[6:7], v[4:5], 0, -1
	v_cmp_ne_u32_e32 vcc, 0, v4
	; wave barrier
	s_nop 1
	v_xor_b32_e32 v6, vcc_lo, v6
	v_xor_b32_e32 v4, vcc_hi, v7
	v_and_b32_e32 v38, exec_lo, v6
	v_lshlrev_b32_e32 v7, 30, v36
	v_mov_b32_e32 v6, v5
	v_cmp_gt_i64_e32 vcc, 0, v[6:7]
	v_not_b32_e32 v6, v7
	v_ashrrev_i32_e32 v6, 31, v6
	v_and_b32_e32 v4, exec_hi, v4
	v_xor_b32_e32 v7, vcc_hi, v6
	v_xor_b32_e32 v6, vcc_lo, v6
	v_and_b32_e32 v4, v4, v7
	v_and_b32_e32 v38, v38, v6
	v_lshlrev_b32_e32 v7, 29, v36
	v_mov_b32_e32 v6, v5
	v_cmp_gt_i64_e32 vcc, 0, v[6:7]
	v_not_b32_e32 v6, v7
	v_ashrrev_i32_e32 v6, 31, v6
	v_xor_b32_e32 v7, vcc_hi, v6
	v_xor_b32_e32 v6, vcc_lo, v6
	v_and_b32_e32 v4, v4, v7
	v_and_b32_e32 v38, v38, v6
	v_lshlrev_b32_e32 v7, 28, v36
	v_mov_b32_e32 v6, v5
	v_cmp_gt_i64_e32 vcc, 0, v[6:7]
	v_not_b32_e32 v6, v7
	v_ashrrev_i32_e32 v6, 31, v6
	;; [unrolled: 9-line block ×6, first 2 shown]
	v_xor_b32_e32 v7, vcc_hi, v6
	v_xor_b32_e32 v6, vcc_lo, v6
	ds_read_b32 v34, v37 offset:64
	v_and_b32_e32 v6, v38, v6
	v_and_b32_e32 v7, v4, v7
	v_mbcnt_lo_u32_b32 v4, v6, 0
	v_mbcnt_hi_u32_b32 v36, v7, v4
	v_cmp_eq_u32_e32 vcc, 0, v36
	v_cmp_ne_u64_e64 s[4:5], 0, v[6:7]
	s_and_b64 s[6:7], s[4:5], vcc
	; wave barrier
	s_and_saveexec_b64 s[4:5], s[6:7]
	s_cbranch_execz .LBB1103_35
; %bb.34:
	v_bcnt_u32_b32 v4, v6, 0
	v_bcnt_u32_b32 v4, v7, v4
	s_waitcnt lgkmcnt(0)
	v_add_u32_e32 v4, v34, v4
	ds_write_b32 v37, v4 offset:64
.LBB1103_35:
	s_or_b64 exec, exec, s[4:5]
	v_lshrrev_b32_e32 v4, s24, v16
	v_and_b32_e32 v38, s33, v4
	v_lshl_add_u32 v4, v38, 4, v38
	v_add_lshl_u32 v39, v28, v4, 2
	v_and_b32_e32 v4, 1, v38
	v_lshl_add_u64 v[6:7], v[4:5], 0, -1
	v_cmp_ne_u32_e32 vcc, 0, v4
	; wave barrier
	s_nop 1
	v_xor_b32_e32 v6, vcc_lo, v6
	v_xor_b32_e32 v4, vcc_hi, v7
	v_and_b32_e32 v41, exec_lo, v6
	v_lshlrev_b32_e32 v7, 30, v38
	v_mov_b32_e32 v6, v5
	v_cmp_gt_i64_e32 vcc, 0, v[6:7]
	v_not_b32_e32 v6, v7
	v_ashrrev_i32_e32 v6, 31, v6
	v_and_b32_e32 v4, exec_hi, v4
	v_xor_b32_e32 v7, vcc_hi, v6
	v_xor_b32_e32 v6, vcc_lo, v6
	v_and_b32_e32 v4, v4, v7
	v_and_b32_e32 v41, v41, v6
	v_lshlrev_b32_e32 v7, 29, v38
	v_mov_b32_e32 v6, v5
	v_cmp_gt_i64_e32 vcc, 0, v[6:7]
	v_not_b32_e32 v6, v7
	v_ashrrev_i32_e32 v6, 31, v6
	v_xor_b32_e32 v7, vcc_hi, v6
	v_xor_b32_e32 v6, vcc_lo, v6
	v_and_b32_e32 v4, v4, v7
	v_and_b32_e32 v41, v41, v6
	v_lshlrev_b32_e32 v7, 28, v38
	v_mov_b32_e32 v6, v5
	v_cmp_gt_i64_e32 vcc, 0, v[6:7]
	v_not_b32_e32 v6, v7
	v_ashrrev_i32_e32 v6, 31, v6
	;; [unrolled: 9-line block ×5, first 2 shown]
	v_xor_b32_e32 v7, vcc_hi, v6
	v_xor_b32_e32 v6, vcc_lo, v6
	v_and_b32_e32 v4, v4, v7
	v_lshlrev_b32_e32 v7, 24, v38
	v_and_b32_e32 v41, v41, v6
	v_mov_b32_e32 v6, v5
	v_not_b32_e32 v5, v7
	v_cmp_gt_i64_e32 vcc, 0, v[6:7]
	v_ashrrev_i32_e32 v5, 31, v5
	ds_read_b32 v28, v39 offset:64
	v_xor_b32_e32 v6, vcc_hi, v5
	v_xor_b32_e32 v7, vcc_lo, v5
	v_and_b32_e32 v5, v4, v6
	v_and_b32_e32 v4, v41, v7
	v_mbcnt_lo_u32_b32 v6, v4, 0
	v_mbcnt_hi_u32_b32 v38, v5, v6
	v_cmp_eq_u32_e32 vcc, 0, v38
	v_cmp_ne_u64_e64 s[4:5], 0, v[4:5]
	v_add_u32_e32 v40, 64, v9
	s_and_b64 s[6:7], s[4:5], vcc
	; wave barrier
	s_and_saveexec_b64 s[4:5], s[6:7]
	s_cbranch_execz .LBB1103_37
; %bb.36:
	v_bcnt_u32_b32 v4, v4, 0
	v_bcnt_u32_b32 v4, v5, v4
	s_waitcnt lgkmcnt(0)
	v_add_u32_e32 v4, v28, v4
	ds_write_b32 v39, v4 offset:64
.LBB1103_37:
	s_or_b64 exec, exec, s[4:5]
	; wave barrier
	s_waitcnt lgkmcnt(0)
	s_barrier
	ds_read2_b32 v[6:7], v9 offset0:16 offset1:17
	ds_read2_b32 v[4:5], v40 offset0:2 offset1:3
	ds_read_b32 v41, v40 offset:16
	v_cmp_lt_u32_e64 s[12:13], 31, v8
	s_waitcnt lgkmcnt(1)
	v_add3_u32 v42, v7, v6, v4
	s_waitcnt lgkmcnt(0)
	v_add3_u32 v41, v42, v5, v41
	v_and_b32_e32 v42, 15, v8
	v_cmp_eq_u32_e32 vcc, 0, v42
	v_mov_b32_dpp v43, v41 row_shr:1 row_mask:0xf bank_mask:0xf
	v_cmp_lt_u32_e64 s[4:5], 1, v42
	v_cndmask_b32_e64 v43, v43, 0, vcc
	v_add_u32_e32 v41, v43, v41
	v_cmp_lt_u32_e64 s[6:7], 3, v42
	v_cmp_lt_u32_e64 s[8:9], 7, v42
	v_mov_b32_dpp v43, v41 row_shr:2 row_mask:0xf bank_mask:0xf
	v_cndmask_b32_e64 v43, 0, v43, s[4:5]
	v_add_u32_e32 v41, v41, v43
	s_nop 1
	v_mov_b32_dpp v43, v41 row_shr:4 row_mask:0xf bank_mask:0xf
	v_cndmask_b32_e64 v43, 0, v43, s[6:7]
	v_add_u32_e32 v41, v41, v43
	s_nop 1
	v_mov_b32_dpp v43, v41 row_shr:8 row_mask:0xf bank_mask:0xf
	v_cndmask_b32_e64 v42, 0, v43, s[8:9]
	v_add_u32_e32 v41, v41, v42
	v_bfe_i32 v43, v8, 4, 1
	s_nop 0
	v_mov_b32_dpp v42, v41 row_bcast:15 row_mask:0xf bank_mask:0xf
	v_and_b32_e32 v42, v43, v42
	v_add_u32_e32 v41, v41, v42
	v_and_b32_e32 v43, 63, v2
	s_nop 0
	v_mov_b32_dpp v42, v41 row_bcast:31 row_mask:0xf bank_mask:0xf
	v_cndmask_b32_e64 v42, 0, v42, s[12:13]
	v_add_u32_e32 v41, v41, v42
	v_lshrrev_b32_e32 v42, 6, v2
	v_cmp_eq_u32_e64 s[12:13], 63, v43
	s_and_saveexec_b64 s[14:15], s[12:13]
	s_cbranch_execz .LBB1103_39
; %bb.38:
	v_lshlrev_b32_e32 v43, 2, v42
	ds_write_b32 v43, v41
.LBB1103_39:
	s_or_b64 exec, exec, s[14:15]
	v_cmp_gt_u32_e64 s[12:13], 16, v2
	s_waitcnt lgkmcnt(0)
	s_barrier
	s_and_saveexec_b64 s[14:15], s[12:13]
	s_cbranch_execz .LBB1103_41
; %bb.40:
	v_lshlrev_b32_e32 v43, 2, v2
	ds_read_b32 v44, v43
	s_waitcnt lgkmcnt(0)
	s_nop 0
	v_mov_b32_dpp v45, v44 row_shr:1 row_mask:0xf bank_mask:0xf
	v_cndmask_b32_e64 v45, v45, 0, vcc
	v_add_u32_e32 v44, v45, v44
	s_nop 1
	v_mov_b32_dpp v45, v44 row_shr:2 row_mask:0xf bank_mask:0xf
	v_cndmask_b32_e64 v45, 0, v45, s[4:5]
	v_add_u32_e32 v44, v44, v45
	s_nop 1
	v_mov_b32_dpp v45, v44 row_shr:4 row_mask:0xf bank_mask:0xf
	v_cndmask_b32_e64 v45, 0, v45, s[6:7]
	;; [unrolled: 4-line block ×3, first 2 shown]
	v_add_u32_e32 v44, v44, v45
	ds_write_b32 v43, v44
.LBB1103_41:
	s_or_b64 exec, exec, s[14:15]
	v_cmp_lt_u32_e32 vcc, 63, v2
	v_mov_b32_e32 v43, 0
	s_waitcnt lgkmcnt(0)
	s_barrier
	s_and_saveexec_b64 s[4:5], vcc
	s_cbranch_execz .LBB1103_43
; %bb.42:
	v_lshl_add_u32 v42, v42, 2, -4
	ds_read_b32 v43, v42
.LBB1103_43:
	s_or_b64 exec, exec, s[4:5]
	v_add_u32_e32 v42, -1, v8
	v_and_b32_e32 v44, 64, v8
	v_cmp_lt_i32_e32 vcc, v42, v44
	s_waitcnt lgkmcnt(0)
	v_add_u32_e32 v41, v43, v41
	s_movk_i32 s4, 0x100
	v_cndmask_b32_e32 v42, v42, v8, vcc
	v_lshlrev_b32_e32 v42, 2, v42
	ds_bpermute_b32 v41, v42, v41
	v_cmp_eq_u32_e32 vcc, 0, v8
	v_cmp_gt_u32_e64 s[4:5], s4, v2
	s_waitcnt lgkmcnt(0)
	v_cndmask_b32_e32 v8, v41, v43, vcc
	v_cndmask_b32_e64 v8, v8, 0, s[10:11]
	v_add_u32_e32 v6, v8, v6
	v_add_u32_e32 v7, v6, v7
	;; [unrolled: 1-line block ×4, first 2 shown]
	ds_write2_b32 v9, v8, v6 offset0:16 offset1:17
	ds_write2_b32 v40, v7, v4 offset0:2 offset1:3
	ds_write_b32 v40, v5 offset:16
	s_waitcnt lgkmcnt(0)
	s_barrier
	ds_read_b32 v40, v21 offset:64
	ds_read_b32 v41, v22 offset:64
	;; [unrolled: 1-line block ×8, first 2 shown]
                                        ; implicit-def: $vgpr21
                                        ; implicit-def: $vgpr22
	s_and_saveexec_b64 s[6:7], s[4:5]
	s_cbranch_execz .LBB1103_47
; %bb.44:
	v_mul_u32_u24_e32 v4, 17, v2
	v_lshlrev_b32_e32 v5, 2, v4
	ds_read_b32 v21, v5 offset:64
	s_movk_i32 s8, 0xff
	v_cmp_ne_u32_e32 vcc, s8, v2
	v_mov_b32_e32 v4, 0x2000
	s_and_saveexec_b64 s[8:9], vcc
	s_cbranch_execz .LBB1103_46
; %bb.45:
	ds_read_b32 v4, v5 offset:132
.LBB1103_46:
	s_or_b64 exec, exec, s[8:9]
	s_waitcnt lgkmcnt(0)
	v_sub_u32_e32 v22, v4, v21
.LBB1103_47:
	s_or_b64 exec, exec, s[6:7]
	s_waitcnt lgkmcnt(0)
	s_barrier
	s_and_saveexec_b64 s[6:7], s[4:5]
	s_cbranch_execz .LBB1103_57
; %bb.48:
	v_lshl_or_b32 v6, s27, 8, v2
	v_mov_b32_e32 v7, 0
	v_lshl_add_u64 v[4:5], v[6:7], 2, s[18:19]
	v_or_b32_e32 v6, 2.0, v22
	s_mov_b64 s[8:9], 0
	s_brev_b32 s16, 1
	s_mov_b32 s17, s27
	v_mov_b32_e32 v42, 0
	global_store_dword v[4:5], v6, off sc1
                                        ; implicit-def: $sgpr12_sgpr13
	s_branch .LBB1103_50
.LBB1103_49:                            ;   in Loop: Header=BB1103_50 Depth=1
	s_or_b64 exec, exec, s[12:13]
	v_and_b32_e32 v8, 0x3fffffff, v43
	v_add_u32_e32 v42, v8, v42
	v_cmp_eq_u32_e64 s[12:13], s16, v6
	s_and_b64 s[14:15], exec, s[12:13]
	s_or_b64 s[8:9], s[14:15], s[8:9]
	s_andn2_b64 exec, exec, s[8:9]
	s_cbranch_execz .LBB1103_56
.LBB1103_50:                            ; =>This Loop Header: Depth=1
                                        ;     Child Loop BB1103_53 Depth 2
	s_or_b64 s[12:13], s[12:13], exec
	s_cmp_eq_u32 s17, 0
	s_cbranch_scc1 .LBB1103_55
; %bb.51:                               ;   in Loop: Header=BB1103_50 Depth=1
	s_add_i32 s17, s17, -1
	v_lshl_or_b32 v6, s17, 8, v2
	v_lshl_add_u64 v[8:9], v[6:7], 2, s[18:19]
	global_load_dword v43, v[8:9], off sc1
	s_waitcnt vmcnt(0)
	v_and_b32_e32 v6, -2.0, v43
	v_cmp_eq_u32_e32 vcc, 0, v6
	s_and_saveexec_b64 s[12:13], vcc
	s_cbranch_execz .LBB1103_49
; %bb.52:                               ;   in Loop: Header=BB1103_50 Depth=1
	s_mov_b64 s[14:15], 0
.LBB1103_53:                            ;   Parent Loop BB1103_50 Depth=1
                                        ; =>  This Inner Loop Header: Depth=2
	global_load_dword v43, v[8:9], off sc1
	s_waitcnt vmcnt(0)
	v_and_b32_e32 v6, -2.0, v43
	v_cmp_ne_u32_e32 vcc, 0, v6
	s_or_b64 s[14:15], vcc, s[14:15]
	s_andn2_b64 exec, exec, s[14:15]
	s_cbranch_execnz .LBB1103_53
; %bb.54:                               ;   in Loop: Header=BB1103_50 Depth=1
	s_or_b64 exec, exec, s[14:15]
	s_branch .LBB1103_49
.LBB1103_55:                            ;   in Loop: Header=BB1103_50 Depth=1
                                        ; implicit-def: $sgpr17
	s_and_b64 s[14:15], exec, s[12:13]
	s_or_b64 s[8:9], s[14:15], s[8:9]
	s_andn2_b64 exec, exec, s[8:9]
	s_cbranch_execnz .LBB1103_50
.LBB1103_56:
	s_or_b64 exec, exec, s[8:9]
	v_add_u32_e32 v6, v42, v22
	v_or_b32_e32 v6, 0x80000000, v6
	global_store_dword v[4:5], v6, off sc1
	v_lshlrev_b32_e32 v4, 2, v2
	global_load_dword v5, v4, s[20:21]
	v_sub_u32_e32 v6, v42, v21
	s_waitcnt vmcnt(0)
	v_add_u32_e32 v5, v6, v5
	ds_write_b32 v4, v5
.LBB1103_57:
	s_or_b64 exec, exec, s[6:7]
	v_add_u32_e32 v6, v40, v17
	v_add3_u32 v7, v19, v18, v41
	v_add3_u32 v8, v23, v20, v25
	;; [unrolled: 1-line block ×7, first 2 shown]
	v_lshlrev_b32_e32 v23, 2, v2
	s_movk_i32 s12, 0x400
	v_add_u32_e32 v24, 0x400, v23
	v_lshlrev_b32_e32 v25, 2, v20
	v_lshlrev_b32_e32 v26, 2, v19
	;; [unrolled: 1-line block ×8, first 2 shown]
	s_mov_b64 s[6:7], -1
	s_mov_b32 s13, 0
	s_movk_i32 s14, 0x1000
	v_mov_b32_e32 v5, 0
	s_movk_i32 s15, 0x800
	s_movk_i32 s16, 0xc00
	v_mov_b32_e32 v33, v2
	s_branch .LBB1103_59
.LBB1103_58:                            ;   in Loop: Header=BB1103_59 Depth=1
	s_or_b64 exec, exec, s[8:9]
	s_xor_b64 s[8:9], s[6:7], -1
	s_addk_i32 s13, 0xc000
	v_add_u32_e32 v20, 0xfffff000, v20
	v_add_u32_e32 v19, 0xfffff000, v19
	;; [unrolled: 1-line block ×9, first 2 shown]
	s_mov_b64 s[6:7], 0
	s_and_b64 vcc, exec, s[8:9]
	s_barrier
	s_cbranch_vccnz .LBB1103_84
.LBB1103_59:                            ; =>This Inner Loop Header: Depth=1
	v_cmp_gt_u32_e32 vcc, s14, v6
	s_and_saveexec_b64 s[8:9], vcc
	s_cbranch_execnz .LBB1103_76
; %bb.60:                               ;   in Loop: Header=BB1103_59 Depth=1
	s_or_b64 exec, exec, s[8:9]
	v_cmp_gt_u32_e32 vcc, s14, v7
	s_and_saveexec_b64 s[8:9], vcc
	s_cbranch_execnz .LBB1103_77
.LBB1103_61:                            ;   in Loop: Header=BB1103_59 Depth=1
	s_or_b64 exec, exec, s[8:9]
	v_cmp_gt_u32_e32 vcc, s14, v8
	s_and_saveexec_b64 s[8:9], vcc
	s_cbranch_execnz .LBB1103_78
.LBB1103_62:                            ;   in Loop: Header=BB1103_59 Depth=1
	s_or_b64 exec, exec, s[8:9]
	v_cmp_gt_u32_e32 vcc, s14, v9
	s_and_saveexec_b64 s[8:9], vcc
	s_cbranch_execnz .LBB1103_79
.LBB1103_63:                            ;   in Loop: Header=BB1103_59 Depth=1
	s_or_b64 exec, exec, s[8:9]
	v_cmp_gt_u32_e32 vcc, s14, v17
	s_and_saveexec_b64 s[8:9], vcc
	s_cbranch_execnz .LBB1103_80
.LBB1103_64:                            ;   in Loop: Header=BB1103_59 Depth=1
	s_or_b64 exec, exec, s[8:9]
	v_cmp_gt_u32_e32 vcc, s14, v18
	s_and_saveexec_b64 s[8:9], vcc
	s_cbranch_execnz .LBB1103_81
.LBB1103_65:                            ;   in Loop: Header=BB1103_59 Depth=1
	s_or_b64 exec, exec, s[8:9]
	v_cmp_gt_u32_e32 vcc, s14, v19
	s_and_saveexec_b64 s[8:9], vcc
	s_cbranch_execnz .LBB1103_82
.LBB1103_66:                            ;   in Loop: Header=BB1103_59 Depth=1
	s_or_b64 exec, exec, s[8:9]
	v_cmp_gt_u32_e32 vcc, s14, v20
	s_and_saveexec_b64 s[8:9], vcc
	s_cbranch_execz .LBB1103_68
.LBB1103_67:                            ;   in Loop: Header=BB1103_59 Depth=1
	v_add_u32_e32 v4, s13, v25
	ds_write_b32 v4, v16 offset:1024
.LBB1103_68:                            ;   in Loop: Header=BB1103_59 Depth=1
	s_or_b64 exec, exec, s[8:9]
	v_cmp_gt_u32_e32 vcc, s3, v33
	s_waitcnt lgkmcnt(0)
	s_barrier
	s_and_saveexec_b64 s[8:9], vcc
	s_cbranch_execz .LBB1103_70
; %bb.69:                               ;   in Loop: Header=BB1103_59 Depth=1
	ds_read_b32 v36, v23 offset:1024
	s_waitcnt lgkmcnt(0)
	v_lshrrev_b32_e32 v4, s24, v36
	v_and_b32_e32 v4, s33, v4
	v_lshlrev_b32_e32 v4, 2, v4
	ds_read_b32 v4, v4
	s_waitcnt lgkmcnt(0)
	v_add_u32_e32 v4, v33, v4
	v_lshl_add_u64 v[34:35], v[4:5], 2, s[30:31]
	global_store_dword v[34:35], v36, off
.LBB1103_70:                            ;   in Loop: Header=BB1103_59 Depth=1
	s_or_b64 exec, exec, s[8:9]
	v_add_u32_e32 v4, 0x400, v33
	v_cmp_gt_u32_e32 vcc, s3, v4
	s_and_saveexec_b64 s[8:9], vcc
	s_cbranch_execz .LBB1103_72
; %bb.71:                               ;   in Loop: Header=BB1103_59 Depth=1
	ds_read_b32 v36, v24 offset:4096
	s_waitcnt lgkmcnt(0)
	v_lshrrev_b32_e32 v4, s24, v36
	v_and_b32_e32 v4, s33, v4
	v_lshlrev_b32_e32 v4, 2, v4
	ds_read_b32 v4, v4
	s_waitcnt lgkmcnt(0)
	v_add3_u32 v4, v33, v4, s12
	v_lshl_add_u64 v[34:35], v[4:5], 2, s[30:31]
	global_store_dword v[34:35], v36, off
.LBB1103_72:                            ;   in Loop: Header=BB1103_59 Depth=1
	s_or_b64 exec, exec, s[8:9]
	v_add_u32_e32 v4, 0x800, v33
	v_cmp_gt_u32_e32 vcc, s3, v4
	s_and_saveexec_b64 s[8:9], vcc
	s_cbranch_execz .LBB1103_74
; %bb.73:                               ;   in Loop: Header=BB1103_59 Depth=1
	ds_read_b32 v36, v24 offset:8192
	s_waitcnt lgkmcnt(0)
	v_lshrrev_b32_e32 v4, s24, v36
	v_and_b32_e32 v4, s33, v4
	v_lshlrev_b32_e32 v4, 2, v4
	ds_read_b32 v4, v4
	s_waitcnt lgkmcnt(0)
	v_add3_u32 v4, v33, v4, s15
	v_lshl_add_u64 v[34:35], v[4:5], 2, s[30:31]
	global_store_dword v[34:35], v36, off
.LBB1103_74:                            ;   in Loop: Header=BB1103_59 Depth=1
	s_or_b64 exec, exec, s[8:9]
	v_add_u32_e32 v4, 0xc00, v33
	v_cmp_gt_u32_e32 vcc, s3, v4
	s_and_saveexec_b64 s[8:9], vcc
	s_cbranch_execz .LBB1103_58
; %bb.75:                               ;   in Loop: Header=BB1103_59 Depth=1
	ds_read_b32 v36, v24 offset:12288
	s_waitcnt lgkmcnt(0)
	v_lshrrev_b32_e32 v4, s24, v36
	v_and_b32_e32 v4, s33, v4
	v_lshlrev_b32_e32 v4, 2, v4
	ds_read_b32 v4, v4
	s_waitcnt lgkmcnt(0)
	v_add3_u32 v4, v33, v4, s16
	v_lshl_add_u64 v[34:35], v[4:5], 2, s[30:31]
	global_store_dword v[34:35], v36, off
	s_branch .LBB1103_58
.LBB1103_76:                            ;   in Loop: Header=BB1103_59 Depth=1
	v_add_u32_e32 v4, s13, v32
	ds_write_b32 v4, v10 offset:1024
	s_or_b64 exec, exec, s[8:9]
	v_cmp_gt_u32_e32 vcc, s14, v7
	s_and_saveexec_b64 s[8:9], vcc
	s_cbranch_execz .LBB1103_61
.LBB1103_77:                            ;   in Loop: Header=BB1103_59 Depth=1
	v_add_u32_e32 v4, s13, v31
	ds_write_b32 v4, v11 offset:1024
	s_or_b64 exec, exec, s[8:9]
	v_cmp_gt_u32_e32 vcc, s14, v8
	s_and_saveexec_b64 s[8:9], vcc
	s_cbranch_execz .LBB1103_62
.LBB1103_78:                            ;   in Loop: Header=BB1103_59 Depth=1
	v_add_u32_e32 v4, s13, v30
	ds_write_b32 v4, v3 offset:1024
	s_or_b64 exec, exec, s[8:9]
	v_cmp_gt_u32_e32 vcc, s14, v9
	s_and_saveexec_b64 s[8:9], vcc
	s_cbranch_execz .LBB1103_63
.LBB1103_79:                            ;   in Loop: Header=BB1103_59 Depth=1
	v_add_u32_e32 v4, s13, v29
	ds_write_b32 v4, v13 offset:1024
	s_or_b64 exec, exec, s[8:9]
	v_cmp_gt_u32_e32 vcc, s14, v17
	s_and_saveexec_b64 s[8:9], vcc
	s_cbranch_execz .LBB1103_64
.LBB1103_80:                            ;   in Loop: Header=BB1103_59 Depth=1
	v_add_u32_e32 v4, s13, v28
	ds_write_b32 v4, v12 offset:1024
	s_or_b64 exec, exec, s[8:9]
	v_cmp_gt_u32_e32 vcc, s14, v18
	s_and_saveexec_b64 s[8:9], vcc
	s_cbranch_execz .LBB1103_65
.LBB1103_81:                            ;   in Loop: Header=BB1103_59 Depth=1
	v_add_u32_e32 v4, s13, v27
	ds_write_b32 v4, v15 offset:1024
	s_or_b64 exec, exec, s[8:9]
	v_cmp_gt_u32_e32 vcc, s14, v19
	s_and_saveexec_b64 s[8:9], vcc
	s_cbranch_execz .LBB1103_66
.LBB1103_82:                            ;   in Loop: Header=BB1103_59 Depth=1
	v_add_u32_e32 v4, s13, v26
	ds_write_b32 v4, v14 offset:1024
	s_or_b64 exec, exec, s[8:9]
	v_cmp_gt_u32_e32 vcc, s14, v20
	s_and_saveexec_b64 s[8:9], vcc
	s_cbranch_execnz .LBB1103_67
	s_branch .LBB1103_68
.LBB1103_83:
	s_mov_b64 s[8:9], 0
                                        ; implicit-def: $vgpr3
	s_cbranch_execnz .LBB1103_87
	s_branch .LBB1103_144
.LBB1103_84:
	s_add_i32 s26, s26, -1
	s_cmp_eq_u32 s26, s27
	s_cselect_b64 s[6:7], -1, 0
	s_and_b64 s[6:7], s[4:5], s[6:7]
	s_mov_b64 s[4:5], 0
	s_mov_b64 s[8:9], 0
                                        ; implicit-def: $vgpr3
	s_and_saveexec_b64 s[12:13], s[6:7]
	s_xor_b64 s[6:7], exec, s[12:13]
; %bb.85:
	s_mov_b64 s[8:9], exec
	v_add_u32_e32 v3, v21, v22
; %bb.86:
	s_or_b64 exec, exec, s[6:7]
	s_and_b64 vcc, exec, s[4:5]
	s_cbranch_vccz .LBB1103_144
.LBB1103_87:
	s_lshl_b32 s4, s27, 13
	s_mov_b32 s5, 0
	s_lshl_b64 s[4:5], s[4:5], 2
	v_mbcnt_hi_u32_b32 v6, -1, v1
	s_add_u32 s4, s28, s4
	v_and_b32_e32 v1, 63, v6
	s_addc_u32 s5, s29, s5
	v_mov_b32_e32 v5, 0
	v_lshlrev_b32_e32 v4, 2, v1
	v_lshlrev_b32_e32 v1, 5, v2
	v_lshl_add_u64 v[8:9], s[4:5], 0, v[4:5]
	v_and_b32_e32 v4, 0x7800, v1
	v_lshl_add_u64 v[16:17], v[8:9], 0, v[4:5]
	global_load_dword v3, v[16:17], off
	s_load_dword s3, s[0:1], 0x64
	s_load_dword s14, s[0:1], 0x58
	s_add_u32 s0, s0, 0x58
	s_addc_u32 s1, s1, 0
	v_bfe_u32 v1, v0, 10, 10
	s_waitcnt lgkmcnt(0)
	s_lshr_b32 s3, s3, 16
	s_cmp_lt_u32 s2, s14
	s_cselect_b32 s2, 12, 18
	s_add_u32 s0, s0, s2
	s_addc_u32 s1, s1, 0
	global_load_ushort v15, v5, s[0:1]
	v_bfe_u32 v4, v0, 20, 10
	v_mul_u32_u24_e32 v0, 5, v2
	v_lshlrev_b32_e32 v7, 2, v0
	ds_write2_b32 v7, v5, v5 offset0:16 offset1:17
	ds_write2_b32 v7, v5, v5 offset0:18 offset1:19
	ds_write_b32 v7, v5 offset:80
	global_load_dword v8, v[16:17], off offset:256
	global_load_dword v9, v[16:17], off offset:512
	;; [unrolled: 1-line block ×7, first 2 shown]
	s_lshl_b32 s0, -1, s25
	v_mad_u32_u24 v24, v4, s3, v1
	s_not_b32 s15, s0
	v_mov_b32_e32 v0, v5
	v_mov_b32_e32 v18, v5
	;; [unrolled: 1-line block ×5, first 2 shown]
	s_waitcnt lgkmcnt(0)
	s_barrier
	s_waitcnt lgkmcnt(0)
	; wave barrier
	s_waitcnt vmcnt(8)
	v_lshrrev_b32_e32 v1, s24, v3
	v_and_b32_e32 v28, s15, v1
	v_and_b32_e32 v4, 1, v28
	v_lshlrev_b32_e32 v1, 30, v28
	v_lshlrev_b32_e32 v19, 29, v28
	v_lshl_add_u64 v[16:17], v[4:5], 0, -1
	v_cmp_ne_u32_e32 vcc, 0, v4
	v_cmp_gt_i64_e64 s[0:1], 0, v[0:1]
	v_not_b32_e32 v4, v1
	v_lshlrev_b32_e32 v21, 28, v28
	s_waitcnt vmcnt(7)
	v_mad_u64_u32 v[0:1], s[12:13], v24, v15, v[2:3]
	v_lshlrev_b32_e32 v23, 27, v28
	v_cmp_gt_i64_e64 s[2:3], 0, v[18:19]
	v_not_b32_e32 v18, v19
	v_xor_b32_e32 v1, vcc_hi, v17
	v_xor_b32_e32 v15, vcc_lo, v16
	v_ashrrev_i32_e32 v4, 31, v4
	v_cmp_gt_i64_e64 s[4:5], 0, v[20:21]
	v_not_b32_e32 v19, v21
	v_not_b32_e32 v20, v23
	v_ashrrev_i32_e32 v16, 31, v18
	v_lshrrev_b32_e32 v25, 6, v0
	v_and_b32_e32 v0, exec_hi, v1
	v_and_b32_e32 v1, exec_lo, v15
	v_xor_b32_e32 v15, s1, v4
	v_xor_b32_e32 v4, s0, v4
	v_lshlrev_b32_e32 v27, 26, v28
	v_ashrrev_i32_e32 v17, 31, v19
	v_ashrrev_i32_e32 v18, 31, v20
	v_xor_b32_e32 v20, s3, v16
	v_xor_b32_e32 v16, s2, v16
	v_and_b32_e32 v0, v0, v15
	v_and_b32_e32 v1, v1, v4
	v_cmp_gt_i64_e64 s[6:7], 0, v[22:23]
	v_xor_b32_e32 v21, s5, v17
	v_xor_b32_e32 v17, s4, v17
	v_and_b32_e32 v0, v0, v20
	v_and_b32_e32 v1, v1, v16
	v_not_b32_e32 v4, v27
	v_xor_b32_e32 v22, s7, v18
	v_xor_b32_e32 v18, s6, v18
	v_and_b32_e32 v0, v0, v21
	v_and_b32_e32 v1, v1, v17
	v_cmp_gt_i64_e32 vcc, 0, v[26:27]
	v_ashrrev_i32_e32 v4, 31, v4
	v_and_b32_e32 v0, v0, v22
	v_and_b32_e32 v1, v1, v18
	v_xor_b32_e32 v15, vcc_hi, v4
	v_xor_b32_e32 v4, vcc_lo, v4
	v_and_b32_e32 v15, v0, v15
	v_and_b32_e32 v4, v1, v4
	v_lshlrev_b32_e32 v1, 25, v28
	v_mov_b32_e32 v0, v5
	v_cmp_gt_i64_e32 vcc, 0, v[0:1]
	v_not_b32_e32 v0, v1
	v_ashrrev_i32_e32 v0, 31, v0
	v_xor_b32_e32 v1, vcc_hi, v0
	v_xor_b32_e32 v0, vcc_lo, v0
	v_and_b32_e32 v15, v15, v1
	v_and_b32_e32 v4, v4, v0
	v_lshlrev_b32_e32 v1, 24, v28
	v_mov_b32_e32 v0, v5
	v_cmp_gt_i64_e32 vcc, 0, v[0:1]
	v_not_b32_e32 v0, v1
	v_ashrrev_i32_e32 v0, 31, v0
	v_xor_b32_e32 v1, vcc_hi, v0
	v_xor_b32_e32 v0, vcc_lo, v0
	v_and_b32_e32 v0, v4, v0
	v_and_b32_e32 v1, v15, v1
	v_mbcnt_lo_u32_b32 v4, v0, 0
	v_mbcnt_hi_u32_b32 v15, v1, v4
	v_lshl_add_u32 v29, v28, 4, v28
	v_cmp_eq_u32_e32 vcc, 0, v15
	v_cmp_ne_u64_e64 s[0:1], 0, v[0:1]
	v_add_lshl_u32 v19, v25, v29, 2
	s_and_b64 s[2:3], s[0:1], vcc
	s_and_saveexec_b64 s[0:1], s[2:3]
	s_cbranch_execz .LBB1103_89
; %bb.88:
	v_bcnt_u32_b32 v0, v0, 0
	v_bcnt_u32_b32 v0, v1, v0
	ds_write_b32 v19, v0 offset:64
.LBB1103_89:
	s_or_b64 exec, exec, s[0:1]
	s_waitcnt vmcnt(6)
	v_lshrrev_b32_e32 v0, s24, v8
	v_and_b32_e32 v17, s15, v0
	v_lshl_add_u32 v0, v17, 4, v17
	v_and_b32_e32 v4, 1, v17
	v_add_lshl_u32 v20, v25, v0, 2
	v_lshl_add_u64 v[0:1], v[4:5], 0, -1
	v_cmp_ne_u32_e32 vcc, 0, v4
	; wave barrier
	s_nop 1
	v_xor_b32_e32 v1, vcc_hi, v1
	v_xor_b32_e32 v0, vcc_lo, v0
	v_and_b32_e32 v4, exec_hi, v1
	v_and_b32_e32 v18, exec_lo, v0
	v_lshlrev_b32_e32 v1, 30, v17
	v_mov_b32_e32 v0, v5
	v_cmp_gt_i64_e32 vcc, 0, v[0:1]
	v_not_b32_e32 v0, v1
	v_ashrrev_i32_e32 v0, 31, v0
	v_xor_b32_e32 v1, vcc_hi, v0
	v_xor_b32_e32 v0, vcc_lo, v0
	v_and_b32_e32 v4, v4, v1
	v_and_b32_e32 v18, v18, v0
	v_lshlrev_b32_e32 v1, 29, v17
	v_mov_b32_e32 v0, v5
	v_cmp_gt_i64_e32 vcc, 0, v[0:1]
	v_not_b32_e32 v0, v1
	v_ashrrev_i32_e32 v0, 31, v0
	v_xor_b32_e32 v1, vcc_hi, v0
	v_xor_b32_e32 v0, vcc_lo, v0
	v_and_b32_e32 v4, v4, v1
	v_and_b32_e32 v18, v18, v0
	;; [unrolled: 9-line block ×6, first 2 shown]
	v_lshlrev_b32_e32 v1, 24, v17
	v_mov_b32_e32 v0, v5
	v_cmp_gt_i64_e32 vcc, 0, v[0:1]
	v_not_b32_e32 v0, v1
	v_ashrrev_i32_e32 v0, 31, v0
	v_xor_b32_e32 v1, vcc_hi, v0
	v_xor_b32_e32 v0, vcc_lo, v0
	ds_read_b32 v16, v20 offset:64
	v_and_b32_e32 v0, v18, v0
	v_and_b32_e32 v1, v4, v1
	v_mbcnt_lo_u32_b32 v4, v0, 0
	v_mbcnt_hi_u32_b32 v17, v1, v4
	v_cmp_eq_u32_e32 vcc, 0, v17
	v_cmp_ne_u64_e64 s[0:1], 0, v[0:1]
	s_and_b64 s[2:3], s[0:1], vcc
	; wave barrier
	s_and_saveexec_b64 s[0:1], s[2:3]
	s_cbranch_execz .LBB1103_91
; %bb.90:
	v_bcnt_u32_b32 v0, v0, 0
	v_bcnt_u32_b32 v0, v1, v0
	s_waitcnt lgkmcnt(0)
	v_add_u32_e32 v0, v16, v0
	ds_write_b32 v20, v0 offset:64
.LBB1103_91:
	s_or_b64 exec, exec, s[0:1]
	s_waitcnt vmcnt(5)
	v_lshrrev_b32_e32 v0, s24, v9
	v_and_b32_e32 v21, s15, v0
	v_lshl_add_u32 v0, v21, 4, v21
	v_add_lshl_u32 v23, v25, v0, 2
	v_and_b32_e32 v0, 1, v21
	v_mov_b32_e32 v1, 0
	v_lshl_add_u64 v[4:5], v[0:1], 0, -1
	v_cmp_ne_u32_e32 vcc, 0, v0
	; wave barrier
	s_nop 1
	v_xor_b32_e32 v4, vcc_lo, v4
	v_xor_b32_e32 v0, vcc_hi, v5
	v_and_b32_e32 v22, exec_lo, v4
	v_lshlrev_b32_e32 v5, 30, v21
	v_mov_b32_e32 v4, v1
	v_cmp_gt_i64_e32 vcc, 0, v[4:5]
	v_not_b32_e32 v4, v5
	v_ashrrev_i32_e32 v4, 31, v4
	v_and_b32_e32 v0, exec_hi, v0
	v_xor_b32_e32 v5, vcc_hi, v4
	v_xor_b32_e32 v4, vcc_lo, v4
	v_and_b32_e32 v0, v0, v5
	v_and_b32_e32 v22, v22, v4
	v_lshlrev_b32_e32 v5, 29, v21
	v_mov_b32_e32 v4, v1
	v_cmp_gt_i64_e32 vcc, 0, v[4:5]
	v_not_b32_e32 v4, v5
	v_ashrrev_i32_e32 v4, 31, v4
	v_xor_b32_e32 v5, vcc_hi, v4
	v_xor_b32_e32 v4, vcc_lo, v4
	v_and_b32_e32 v0, v0, v5
	v_and_b32_e32 v22, v22, v4
	v_lshlrev_b32_e32 v5, 28, v21
	v_mov_b32_e32 v4, v1
	v_cmp_gt_i64_e32 vcc, 0, v[4:5]
	v_not_b32_e32 v4, v5
	v_ashrrev_i32_e32 v4, 31, v4
	;; [unrolled: 9-line block ×6, first 2 shown]
	v_xor_b32_e32 v5, vcc_hi, v4
	v_xor_b32_e32 v4, vcc_lo, v4
	ds_read_b32 v18, v23 offset:64
	v_and_b32_e32 v4, v22, v4
	v_and_b32_e32 v5, v0, v5
	v_mbcnt_lo_u32_b32 v0, v4, 0
	v_mbcnt_hi_u32_b32 v21, v5, v0
	v_cmp_eq_u32_e32 vcc, 0, v21
	v_cmp_ne_u64_e64 s[0:1], 0, v[4:5]
	s_and_b64 s[2:3], s[0:1], vcc
	; wave barrier
	s_and_saveexec_b64 s[0:1], s[2:3]
	s_cbranch_execz .LBB1103_93
; %bb.92:
	v_bcnt_u32_b32 v0, v4, 0
	v_bcnt_u32_b32 v0, v5, v0
	s_waitcnt lgkmcnt(0)
	v_add_u32_e32 v0, v18, v0
	ds_write_b32 v23, v0 offset:64
.LBB1103_93:
	s_or_b64 exec, exec, s[0:1]
	s_waitcnt vmcnt(4)
	v_lshrrev_b32_e32 v0, s24, v10
	v_and_b32_e32 v24, s15, v0
	v_lshl_add_u32 v0, v24, 4, v24
	v_add_lshl_u32 v27, v25, v0, 2
	v_and_b32_e32 v0, 1, v24
	v_lshl_add_u64 v[4:5], v[0:1], 0, -1
	v_cmp_ne_u32_e32 vcc, 0, v0
	; wave barrier
	s_nop 1
	v_xor_b32_e32 v4, vcc_lo, v4
	v_xor_b32_e32 v0, vcc_hi, v5
	v_and_b32_e32 v26, exec_lo, v4
	v_lshlrev_b32_e32 v5, 30, v24
	v_mov_b32_e32 v4, v1
	v_cmp_gt_i64_e32 vcc, 0, v[4:5]
	v_not_b32_e32 v4, v5
	v_ashrrev_i32_e32 v4, 31, v4
	v_and_b32_e32 v0, exec_hi, v0
	v_xor_b32_e32 v5, vcc_hi, v4
	v_xor_b32_e32 v4, vcc_lo, v4
	v_and_b32_e32 v0, v0, v5
	v_and_b32_e32 v26, v26, v4
	v_lshlrev_b32_e32 v5, 29, v24
	v_mov_b32_e32 v4, v1
	v_cmp_gt_i64_e32 vcc, 0, v[4:5]
	v_not_b32_e32 v4, v5
	v_ashrrev_i32_e32 v4, 31, v4
	v_xor_b32_e32 v5, vcc_hi, v4
	v_xor_b32_e32 v4, vcc_lo, v4
	v_and_b32_e32 v0, v0, v5
	v_and_b32_e32 v26, v26, v4
	v_lshlrev_b32_e32 v5, 28, v24
	v_mov_b32_e32 v4, v1
	v_cmp_gt_i64_e32 vcc, 0, v[4:5]
	v_not_b32_e32 v4, v5
	v_ashrrev_i32_e32 v4, 31, v4
	;; [unrolled: 9-line block ×5, first 2 shown]
	v_xor_b32_e32 v5, vcc_hi, v4
	v_xor_b32_e32 v4, vcc_lo, v4
	v_and_b32_e32 v0, v0, v5
	v_lshlrev_b32_e32 v5, 24, v24
	v_and_b32_e32 v26, v26, v4
	v_mov_b32_e32 v4, v1
	v_not_b32_e32 v1, v5
	v_cmp_gt_i64_e32 vcc, 0, v[4:5]
	v_ashrrev_i32_e32 v1, 31, v1
	ds_read_b32 v22, v27 offset:64
	v_xor_b32_e32 v4, vcc_hi, v1
	v_xor_b32_e32 v5, vcc_lo, v1
	v_and_b32_e32 v1, v0, v4
	v_and_b32_e32 v0, v26, v5
	v_mbcnt_lo_u32_b32 v4, v0, 0
	v_mbcnt_hi_u32_b32 v24, v1, v4
	v_cmp_eq_u32_e32 vcc, 0, v24
	v_cmp_ne_u64_e64 s[0:1], 0, v[0:1]
	s_and_b64 s[2:3], s[0:1], vcc
	; wave barrier
	s_and_saveexec_b64 s[0:1], s[2:3]
	s_cbranch_execz .LBB1103_95
; %bb.94:
	v_bcnt_u32_b32 v0, v0, 0
	v_bcnt_u32_b32 v0, v1, v0
	s_waitcnt lgkmcnt(0)
	v_add_u32_e32 v0, v22, v0
	ds_write_b32 v27, v0 offset:64
.LBB1103_95:
	s_or_b64 exec, exec, s[0:1]
	s_waitcnt vmcnt(3)
	v_lshrrev_b32_e32 v0, s24, v11
	v_and_b32_e32 v28, s15, v0
	v_lshl_add_u32 v0, v28, 4, v28
	v_add_lshl_u32 v30, v25, v0, 2
	v_and_b32_e32 v0, 1, v28
	v_mov_b32_e32 v1, 0
	v_lshl_add_u64 v[4:5], v[0:1], 0, -1
	v_cmp_ne_u32_e32 vcc, 0, v0
	; wave barrier
	s_nop 1
	v_xor_b32_e32 v4, vcc_lo, v4
	v_xor_b32_e32 v0, vcc_hi, v5
	v_and_b32_e32 v29, exec_lo, v4
	v_lshlrev_b32_e32 v5, 30, v28
	v_mov_b32_e32 v4, v1
	v_cmp_gt_i64_e32 vcc, 0, v[4:5]
	v_not_b32_e32 v4, v5
	v_ashrrev_i32_e32 v4, 31, v4
	v_and_b32_e32 v0, exec_hi, v0
	v_xor_b32_e32 v5, vcc_hi, v4
	v_xor_b32_e32 v4, vcc_lo, v4
	v_and_b32_e32 v0, v0, v5
	v_and_b32_e32 v29, v29, v4
	v_lshlrev_b32_e32 v5, 29, v28
	v_mov_b32_e32 v4, v1
	v_cmp_gt_i64_e32 vcc, 0, v[4:5]
	v_not_b32_e32 v4, v5
	v_ashrrev_i32_e32 v4, 31, v4
	v_xor_b32_e32 v5, vcc_hi, v4
	v_xor_b32_e32 v4, vcc_lo, v4
	v_and_b32_e32 v0, v0, v5
	v_and_b32_e32 v29, v29, v4
	v_lshlrev_b32_e32 v5, 28, v28
	v_mov_b32_e32 v4, v1
	v_cmp_gt_i64_e32 vcc, 0, v[4:5]
	v_not_b32_e32 v4, v5
	v_ashrrev_i32_e32 v4, 31, v4
	;; [unrolled: 9-line block ×6, first 2 shown]
	v_xor_b32_e32 v5, vcc_hi, v4
	v_xor_b32_e32 v4, vcc_lo, v4
	ds_read_b32 v26, v30 offset:64
	v_and_b32_e32 v4, v29, v4
	v_and_b32_e32 v5, v0, v5
	v_mbcnt_lo_u32_b32 v0, v4, 0
	v_mbcnt_hi_u32_b32 v28, v5, v0
	v_cmp_eq_u32_e32 vcc, 0, v28
	v_cmp_ne_u64_e64 s[0:1], 0, v[4:5]
	s_and_b64 s[2:3], s[0:1], vcc
	; wave barrier
	s_and_saveexec_b64 s[0:1], s[2:3]
	s_cbranch_execz .LBB1103_97
; %bb.96:
	v_bcnt_u32_b32 v0, v4, 0
	v_bcnt_u32_b32 v0, v5, v0
	s_waitcnt lgkmcnt(0)
	v_add_u32_e32 v0, v26, v0
	ds_write_b32 v30, v0 offset:64
.LBB1103_97:
	s_or_b64 exec, exec, s[0:1]
	s_waitcnt vmcnt(2)
	v_lshrrev_b32_e32 v0, s24, v12
	v_and_b32_e32 v31, s15, v0
	v_lshl_add_u32 v0, v31, 4, v31
	v_add_lshl_u32 v33, v25, v0, 2
	v_and_b32_e32 v0, 1, v31
	v_lshl_add_u64 v[4:5], v[0:1], 0, -1
	v_cmp_ne_u32_e32 vcc, 0, v0
	; wave barrier
	s_nop 1
	v_xor_b32_e32 v4, vcc_lo, v4
	v_xor_b32_e32 v0, vcc_hi, v5
	v_and_b32_e32 v32, exec_lo, v4
	v_lshlrev_b32_e32 v5, 30, v31
	v_mov_b32_e32 v4, v1
	v_cmp_gt_i64_e32 vcc, 0, v[4:5]
	v_not_b32_e32 v4, v5
	v_ashrrev_i32_e32 v4, 31, v4
	v_and_b32_e32 v0, exec_hi, v0
	v_xor_b32_e32 v5, vcc_hi, v4
	v_xor_b32_e32 v4, vcc_lo, v4
	v_and_b32_e32 v0, v0, v5
	v_and_b32_e32 v32, v32, v4
	v_lshlrev_b32_e32 v5, 29, v31
	v_mov_b32_e32 v4, v1
	v_cmp_gt_i64_e32 vcc, 0, v[4:5]
	v_not_b32_e32 v4, v5
	v_ashrrev_i32_e32 v4, 31, v4
	v_xor_b32_e32 v5, vcc_hi, v4
	v_xor_b32_e32 v4, vcc_lo, v4
	v_and_b32_e32 v0, v0, v5
	v_and_b32_e32 v32, v32, v4
	v_lshlrev_b32_e32 v5, 28, v31
	v_mov_b32_e32 v4, v1
	v_cmp_gt_i64_e32 vcc, 0, v[4:5]
	v_not_b32_e32 v4, v5
	v_ashrrev_i32_e32 v4, 31, v4
	;; [unrolled: 9-line block ×5, first 2 shown]
	v_xor_b32_e32 v5, vcc_hi, v4
	v_xor_b32_e32 v4, vcc_lo, v4
	v_and_b32_e32 v0, v0, v5
	v_lshlrev_b32_e32 v5, 24, v31
	v_and_b32_e32 v32, v32, v4
	v_mov_b32_e32 v4, v1
	v_not_b32_e32 v1, v5
	v_cmp_gt_i64_e32 vcc, 0, v[4:5]
	v_ashrrev_i32_e32 v1, 31, v1
	ds_read_b32 v29, v33 offset:64
	v_xor_b32_e32 v4, vcc_hi, v1
	v_xor_b32_e32 v5, vcc_lo, v1
	v_and_b32_e32 v1, v0, v4
	v_and_b32_e32 v0, v32, v5
	v_mbcnt_lo_u32_b32 v4, v0, 0
	v_mbcnt_hi_u32_b32 v31, v1, v4
	v_cmp_eq_u32_e32 vcc, 0, v31
	v_cmp_ne_u64_e64 s[0:1], 0, v[0:1]
	s_and_b64 s[2:3], s[0:1], vcc
	; wave barrier
	s_and_saveexec_b64 s[0:1], s[2:3]
	s_cbranch_execz .LBB1103_99
; %bb.98:
	v_bcnt_u32_b32 v0, v0, 0
	v_bcnt_u32_b32 v0, v1, v0
	s_waitcnt lgkmcnt(0)
	v_add_u32_e32 v0, v29, v0
	ds_write_b32 v33, v0 offset:64
.LBB1103_99:
	s_or_b64 exec, exec, s[0:1]
	s_waitcnt vmcnt(1)
	v_lshrrev_b32_e32 v0, s24, v13
	v_and_b32_e32 v34, s15, v0
	v_lshl_add_u32 v0, v34, 4, v34
	v_add_lshl_u32 v35, v25, v0, 2
	v_and_b32_e32 v0, 1, v34
	v_mov_b32_e32 v1, 0
	v_lshl_add_u64 v[4:5], v[0:1], 0, -1
	v_cmp_ne_u32_e32 vcc, 0, v0
	; wave barrier
	s_nop 1
	v_xor_b32_e32 v4, vcc_lo, v4
	v_xor_b32_e32 v0, vcc_hi, v5
	v_and_b32_e32 v36, exec_lo, v4
	v_lshlrev_b32_e32 v5, 30, v34
	v_mov_b32_e32 v4, v1
	v_cmp_gt_i64_e32 vcc, 0, v[4:5]
	v_not_b32_e32 v4, v5
	v_ashrrev_i32_e32 v4, 31, v4
	v_and_b32_e32 v0, exec_hi, v0
	v_xor_b32_e32 v5, vcc_hi, v4
	v_xor_b32_e32 v4, vcc_lo, v4
	v_and_b32_e32 v0, v0, v5
	v_and_b32_e32 v36, v36, v4
	v_lshlrev_b32_e32 v5, 29, v34
	v_mov_b32_e32 v4, v1
	v_cmp_gt_i64_e32 vcc, 0, v[4:5]
	v_not_b32_e32 v4, v5
	v_ashrrev_i32_e32 v4, 31, v4
	v_xor_b32_e32 v5, vcc_hi, v4
	v_xor_b32_e32 v4, vcc_lo, v4
	v_and_b32_e32 v0, v0, v5
	v_and_b32_e32 v36, v36, v4
	v_lshlrev_b32_e32 v5, 28, v34
	v_mov_b32_e32 v4, v1
	v_cmp_gt_i64_e32 vcc, 0, v[4:5]
	v_not_b32_e32 v4, v5
	v_ashrrev_i32_e32 v4, 31, v4
	v_xor_b32_e32 v5, vcc_hi, v4
	v_xor_b32_e32 v4, vcc_lo, v4
	v_and_b32_e32 v0, v0, v5
	v_and_b32_e32 v36, v36, v4
	v_lshlrev_b32_e32 v5, 27, v34
	v_mov_b32_e32 v4, v1
	v_cmp_gt_i64_e32 vcc, 0, v[4:5]
	v_not_b32_e32 v4, v5
	v_ashrrev_i32_e32 v4, 31, v4
	v_xor_b32_e32 v5, vcc_hi, v4
	v_xor_b32_e32 v4, vcc_lo, v4
	v_and_b32_e32 v0, v0, v5
	v_and_b32_e32 v36, v36, v4
	v_lshlrev_b32_e32 v5, 26, v34
	v_mov_b32_e32 v4, v1
	v_cmp_gt_i64_e32 vcc, 0, v[4:5]
	v_not_b32_e32 v4, v5
	v_ashrrev_i32_e32 v4, 31, v4
	v_xor_b32_e32 v5, vcc_hi, v4
	v_xor_b32_e32 v4, vcc_lo, v4
	v_and_b32_e32 v0, v0, v5
	v_and_b32_e32 v36, v36, v4
	v_lshlrev_b32_e32 v5, 25, v34
	v_mov_b32_e32 v4, v1
	v_cmp_gt_i64_e32 vcc, 0, v[4:5]
	v_not_b32_e32 v4, v5
	v_ashrrev_i32_e32 v4, 31, v4
	v_xor_b32_e32 v5, vcc_hi, v4
	v_xor_b32_e32 v4, vcc_lo, v4
	v_and_b32_e32 v0, v0, v5
	v_and_b32_e32 v36, v36, v4
	v_lshlrev_b32_e32 v5, 24, v34
	v_mov_b32_e32 v4, v1
	v_cmp_gt_i64_e32 vcc, 0, v[4:5]
	v_not_b32_e32 v4, v5
	v_ashrrev_i32_e32 v4, 31, v4
	v_xor_b32_e32 v5, vcc_hi, v4
	v_xor_b32_e32 v4, vcc_lo, v4
	ds_read_b32 v32, v35 offset:64
	v_and_b32_e32 v4, v36, v4
	v_and_b32_e32 v5, v0, v5
	v_mbcnt_lo_u32_b32 v0, v4, 0
	v_mbcnt_hi_u32_b32 v34, v5, v0
	v_cmp_eq_u32_e32 vcc, 0, v34
	v_cmp_ne_u64_e64 s[0:1], 0, v[4:5]
	s_and_b64 s[2:3], s[0:1], vcc
	; wave barrier
	s_and_saveexec_b64 s[0:1], s[2:3]
	s_cbranch_execz .LBB1103_101
; %bb.100:
	v_bcnt_u32_b32 v0, v4, 0
	v_bcnt_u32_b32 v0, v5, v0
	s_waitcnt lgkmcnt(0)
	v_add_u32_e32 v0, v32, v0
	ds_write_b32 v35, v0 offset:64
.LBB1103_101:
	s_or_b64 exec, exec, s[0:1]
	s_waitcnt vmcnt(0)
	v_lshrrev_b32_e32 v0, s24, v14
	v_and_b32_e32 v36, s15, v0
	v_lshl_add_u32 v0, v36, 4, v36
	v_add_lshl_u32 v37, v25, v0, 2
	v_and_b32_e32 v0, 1, v36
	v_lshl_add_u64 v[4:5], v[0:1], 0, -1
	v_cmp_ne_u32_e32 vcc, 0, v0
	; wave barrier
	s_nop 1
	v_xor_b32_e32 v4, vcc_lo, v4
	v_xor_b32_e32 v0, vcc_hi, v5
	v_and_b32_e32 v39, exec_lo, v4
	v_lshlrev_b32_e32 v5, 30, v36
	v_mov_b32_e32 v4, v1
	v_cmp_gt_i64_e32 vcc, 0, v[4:5]
	v_not_b32_e32 v4, v5
	v_ashrrev_i32_e32 v4, 31, v4
	v_and_b32_e32 v0, exec_hi, v0
	v_xor_b32_e32 v5, vcc_hi, v4
	v_xor_b32_e32 v4, vcc_lo, v4
	v_and_b32_e32 v0, v0, v5
	v_and_b32_e32 v39, v39, v4
	v_lshlrev_b32_e32 v5, 29, v36
	v_mov_b32_e32 v4, v1
	v_cmp_gt_i64_e32 vcc, 0, v[4:5]
	v_not_b32_e32 v4, v5
	v_ashrrev_i32_e32 v4, 31, v4
	v_xor_b32_e32 v5, vcc_hi, v4
	v_xor_b32_e32 v4, vcc_lo, v4
	v_and_b32_e32 v0, v0, v5
	v_and_b32_e32 v39, v39, v4
	v_lshlrev_b32_e32 v5, 28, v36
	v_mov_b32_e32 v4, v1
	v_cmp_gt_i64_e32 vcc, 0, v[4:5]
	v_not_b32_e32 v4, v5
	v_ashrrev_i32_e32 v4, 31, v4
	;; [unrolled: 9-line block ×5, first 2 shown]
	v_xor_b32_e32 v5, vcc_hi, v4
	v_xor_b32_e32 v4, vcc_lo, v4
	v_and_b32_e32 v0, v0, v5
	v_lshlrev_b32_e32 v5, 24, v36
	v_and_b32_e32 v39, v39, v4
	v_mov_b32_e32 v4, v1
	v_not_b32_e32 v1, v5
	v_cmp_gt_i64_e32 vcc, 0, v[4:5]
	v_ashrrev_i32_e32 v1, 31, v1
	ds_read_b32 v25, v37 offset:64
	v_xor_b32_e32 v4, vcc_hi, v1
	v_xor_b32_e32 v5, vcc_lo, v1
	v_and_b32_e32 v1, v0, v4
	v_and_b32_e32 v0, v39, v5
	v_mbcnt_lo_u32_b32 v4, v0, 0
	v_mbcnt_hi_u32_b32 v36, v1, v4
	v_cmp_eq_u32_e32 vcc, 0, v36
	v_cmp_ne_u64_e64 s[0:1], 0, v[0:1]
	v_add_u32_e32 v38, 64, v7
	s_and_b64 s[2:3], s[0:1], vcc
	; wave barrier
	s_and_saveexec_b64 s[0:1], s[2:3]
	s_cbranch_execz .LBB1103_103
; %bb.102:
	v_bcnt_u32_b32 v0, v0, 0
	v_bcnt_u32_b32 v0, v1, v0
	s_waitcnt lgkmcnt(0)
	v_add_u32_e32 v0, v25, v0
	ds_write_b32 v37, v0 offset:64
.LBB1103_103:
	s_or_b64 exec, exec, s[0:1]
	; wave barrier
	s_waitcnt lgkmcnt(0)
	s_barrier
	ds_read2_b32 v[4:5], v7 offset0:16 offset1:17
	ds_read2_b32 v[0:1], v38 offset0:2 offset1:3
	ds_read_b32 v39, v38 offset:16
	v_cmp_lt_u32_e64 s[2:3], 31, v6
	s_waitcnt lgkmcnt(1)
	v_add3_u32 v40, v5, v4, v0
	s_waitcnt lgkmcnt(0)
	v_add3_u32 v39, v40, v1, v39
	v_and_b32_e32 v40, 15, v6
	v_cmp_eq_u32_e32 vcc, 0, v40
	v_mov_b32_dpp v41, v39 row_shr:1 row_mask:0xf bank_mask:0xf
	v_cmp_lt_u32_e64 s[0:1], 1, v40
	v_cndmask_b32_e64 v41, v41, 0, vcc
	v_add_u32_e32 v39, v41, v39
	v_cmp_lt_u32_e64 s[4:5], 3, v40
	v_cmp_lt_u32_e64 s[6:7], 7, v40
	v_mov_b32_dpp v41, v39 row_shr:2 row_mask:0xf bank_mask:0xf
	v_cndmask_b32_e64 v41, 0, v41, s[0:1]
	v_add_u32_e32 v39, v39, v41
	s_nop 1
	v_mov_b32_dpp v41, v39 row_shr:4 row_mask:0xf bank_mask:0xf
	v_cndmask_b32_e64 v41, 0, v41, s[4:5]
	v_add_u32_e32 v39, v39, v41
	s_nop 1
	v_mov_b32_dpp v41, v39 row_shr:8 row_mask:0xf bank_mask:0xf
	v_cndmask_b32_e64 v40, 0, v41, s[6:7]
	v_add_u32_e32 v39, v39, v40
	v_bfe_i32 v41, v6, 4, 1
	s_nop 0
	v_mov_b32_dpp v40, v39 row_bcast:15 row_mask:0xf bank_mask:0xf
	v_and_b32_e32 v40, v41, v40
	v_add_u32_e32 v39, v39, v40
	v_and_b32_e32 v41, 63, v2
	s_nop 0
	v_mov_b32_dpp v40, v39 row_bcast:31 row_mask:0xf bank_mask:0xf
	v_cndmask_b32_e64 v40, 0, v40, s[2:3]
	v_add_u32_e32 v39, v39, v40
	v_lshrrev_b32_e32 v40, 6, v2
	v_cmp_eq_u32_e64 s[2:3], 63, v41
	s_and_saveexec_b64 s[12:13], s[2:3]
	s_cbranch_execz .LBB1103_105
; %bb.104:
	v_lshlrev_b32_e32 v41, 2, v40
	ds_write_b32 v41, v39
.LBB1103_105:
	s_or_b64 exec, exec, s[12:13]
	v_cmp_gt_u32_e64 s[2:3], 16, v2
	s_waitcnt lgkmcnt(0)
	s_barrier
	s_and_saveexec_b64 s[12:13], s[2:3]
	s_cbranch_execz .LBB1103_107
; %bb.106:
	v_lshlrev_b32_e32 v41, 2, v2
	ds_read_b32 v42, v41
	s_waitcnt lgkmcnt(0)
	s_nop 0
	v_mov_b32_dpp v43, v42 row_shr:1 row_mask:0xf bank_mask:0xf
	v_cndmask_b32_e64 v43, v43, 0, vcc
	v_add_u32_e32 v42, v43, v42
	s_nop 1
	v_mov_b32_dpp v43, v42 row_shr:2 row_mask:0xf bank_mask:0xf
	v_cndmask_b32_e64 v43, 0, v43, s[0:1]
	v_add_u32_e32 v42, v42, v43
	s_nop 1
	v_mov_b32_dpp v43, v42 row_shr:4 row_mask:0xf bank_mask:0xf
	v_cndmask_b32_e64 v43, 0, v43, s[4:5]
	;; [unrolled: 4-line block ×3, first 2 shown]
	v_add_u32_e32 v42, v42, v43
	ds_write_b32 v41, v42
.LBB1103_107:
	s_or_b64 exec, exec, s[12:13]
	v_cmp_lt_u32_e32 vcc, 63, v2
	v_mov_b32_e32 v41, 0
	s_waitcnt lgkmcnt(0)
	s_barrier
	s_and_saveexec_b64 s[0:1], vcc
	s_cbranch_execz .LBB1103_109
; %bb.108:
	v_lshl_add_u32 v40, v40, 2, -4
	ds_read_b32 v41, v40
.LBB1103_109:
	s_or_b64 exec, exec, s[0:1]
	v_add_u32_e32 v40, -1, v6
	v_and_b32_e32 v42, 64, v6
	v_cmp_lt_i32_e32 vcc, v40, v42
	s_waitcnt lgkmcnt(0)
	v_add_u32_e32 v39, v41, v39
	s_movk_i32 s0, 0x100
	v_cndmask_b32_e32 v40, v40, v6, vcc
	v_lshlrev_b32_e32 v40, 2, v40
	ds_bpermute_b32 v39, v40, v39
	v_cmp_eq_u32_e32 vcc, 0, v6
	v_cmp_gt_u32_e64 s[0:1], s0, v2
	s_waitcnt lgkmcnt(0)
	v_cndmask_b32_e32 v6, v39, v41, vcc
	v_cndmask_b32_e64 v6, v6, 0, s[10:11]
	v_add_u32_e32 v4, v6, v4
	v_add_u32_e32 v5, v4, v5
	;; [unrolled: 1-line block ×4, first 2 shown]
	ds_write2_b32 v7, v6, v4 offset0:16 offset1:17
	ds_write2_b32 v38, v5, v0 offset0:2 offset1:3
	ds_write_b32 v38, v1 offset:16
	s_waitcnt lgkmcnt(0)
	s_barrier
	ds_read_b32 v42, v19 offset:64
	ds_read_b32 v38, v20 offset:64
	ds_read_b32 v39, v23 offset:64
	ds_read_b32 v40, v27 offset:64
	ds_read_b32 v41, v30 offset:64
	ds_read_b32 v30, v33 offset:64
	ds_read_b32 v27, v35 offset:64
	ds_read_b32 v23, v37 offset:64
                                        ; implicit-def: $vgpr19
                                        ; implicit-def: $vgpr20
	s_and_saveexec_b64 s[2:3], s[0:1]
	s_cbranch_execz .LBB1103_113
; %bb.110:
	v_mul_u32_u24_e32 v0, 17, v2
	v_lshlrev_b32_e32 v1, 2, v0
	ds_read_b32 v19, v1 offset:64
	s_movk_i32 s4, 0xff
	v_cmp_ne_u32_e32 vcc, s4, v2
	v_mov_b32_e32 v0, 0x2000
	s_and_saveexec_b64 s[4:5], vcc
	s_cbranch_execz .LBB1103_112
; %bb.111:
	ds_read_b32 v0, v1 offset:132
.LBB1103_112:
	s_or_b64 exec, exec, s[4:5]
	s_waitcnt lgkmcnt(0)
	v_sub_u32_e32 v20, v0, v19
.LBB1103_113:
	s_or_b64 exec, exec, s[2:3]
	s_waitcnt lgkmcnt(0)
	s_barrier
	s_and_saveexec_b64 s[2:3], s[0:1]
	s_cbranch_execz .LBB1103_123
; %bb.114:
	v_lshl_or_b32 v4, s27, 8, v2
	v_mov_b32_e32 v5, 0
	v_lshl_add_u64 v[0:1], v[4:5], 2, s[18:19]
	v_or_b32_e32 v4, 2.0, v20
	s_mov_b64 s[4:5], 0
	s_brev_b32 s12, 1
	s_mov_b32 s13, s27
	v_mov_b32_e32 v33, 0
	global_store_dword v[0:1], v4, off sc1
                                        ; implicit-def: $sgpr6_sgpr7
	s_branch .LBB1103_117
.LBB1103_115:                           ;   in Loop: Header=BB1103_117 Depth=1
	s_or_b64 exec, exec, s[10:11]
.LBB1103_116:                           ;   in Loop: Header=BB1103_117 Depth=1
	s_or_b64 exec, exec, s[6:7]
	v_and_b32_e32 v6, 0x3fffffff, v35
	v_add_u32_e32 v33, v6, v33
	v_cmp_eq_u32_e64 s[6:7], s12, v4
	s_and_b64 s[10:11], exec, s[6:7]
	s_or_b64 s[4:5], s[10:11], s[4:5]
	s_andn2_b64 exec, exec, s[4:5]
	s_cbranch_execz .LBB1103_122
.LBB1103_117:                           ; =>This Loop Header: Depth=1
                                        ;     Child Loop BB1103_120 Depth 2
	s_or_b64 s[6:7], s[6:7], exec
	s_cmp_eq_u32 s13, 0
	s_cbranch_scc1 .LBB1103_121
; %bb.118:                              ;   in Loop: Header=BB1103_117 Depth=1
	s_add_i32 s13, s13, -1
	v_lshl_or_b32 v4, s13, 8, v2
	v_lshl_add_u64 v[6:7], v[4:5], 2, s[18:19]
	global_load_dword v35, v[6:7], off sc1
	s_waitcnt vmcnt(0)
	v_and_b32_e32 v4, -2.0, v35
	v_cmp_eq_u32_e32 vcc, 0, v4
	s_and_saveexec_b64 s[6:7], vcc
	s_cbranch_execz .LBB1103_116
; %bb.119:                              ;   in Loop: Header=BB1103_117 Depth=1
	s_mov_b64 s[10:11], 0
.LBB1103_120:                           ;   Parent Loop BB1103_117 Depth=1
                                        ; =>  This Inner Loop Header: Depth=2
	global_load_dword v35, v[6:7], off sc1
	s_waitcnt vmcnt(0)
	v_and_b32_e32 v4, -2.0, v35
	v_cmp_ne_u32_e32 vcc, 0, v4
	s_or_b64 s[10:11], vcc, s[10:11]
	s_andn2_b64 exec, exec, s[10:11]
	s_cbranch_execnz .LBB1103_120
	s_branch .LBB1103_115
.LBB1103_121:                           ;   in Loop: Header=BB1103_117 Depth=1
                                        ; implicit-def: $sgpr13
	s_and_b64 s[10:11], exec, s[6:7]
	s_or_b64 s[4:5], s[10:11], s[4:5]
	s_andn2_b64 exec, exec, s[4:5]
	s_cbranch_execnz .LBB1103_117
.LBB1103_122:
	s_or_b64 exec, exec, s[4:5]
	v_add_u32_e32 v4, v33, v20
	v_or_b32_e32 v4, 0x80000000, v4
	global_store_dword v[0:1], v4, off sc1
	v_lshlrev_b32_e32 v0, 2, v2
	global_load_dword v1, v0, s[20:21]
	v_sub_u32_e32 v4, v33, v19
	s_waitcnt vmcnt(0)
	v_add_u32_e32 v1, v4, v1
	ds_write_b32 v0, v1
.LBB1103_123:
	s_or_b64 exec, exec, s[2:3]
	v_add_u32_e32 v0, v36, v25
	v_add_u32_e32 v1, v34, v32
	;; [unrolled: 1-line block ×8, first 2 shown]
	v_lshlrev_b32_e32 v5, 2, v2
	s_movk_i32 s6, 0x400
	v_add_u32_e32 v6, 0x400, v5
	v_add_lshl_u32 v7, v0, v23, 2
	v_add3_u32 v15, v36, v23, v25
	v_add_lshl_u32 v23, v1, v27, 2
	v_add3_u32 v25, v34, v27, v32
	;; [unrolled: 2-line block ×7, first 2 shown]
	v_lshlrev_b32_e32 v17, 2, v4
	s_mov_b64 s[2:3], -1
	s_mov_b32 s7, 0
	s_mov_b32 s10, 0
	s_movk_i32 s11, 0x1000
	s_movk_i32 s12, 0x800
	;; [unrolled: 1-line block ×3, first 2 shown]
	v_mov_b32_e32 v1, 0
	v_mov_b32_e32 v31, v2
	s_branch .LBB1103_125
.LBB1103_124:                           ;   in Loop: Header=BB1103_125 Depth=1
	s_or_b64 exec, exec, s[4:5]
	s_waitcnt lgkmcnt(0)
	s_barrier
	ds_read2st64_b32 v[32:33], v6 offset0:16 offset1:32
	ds_read_b32 v36, v5 offset:1024
	s_xor_b64 s[4:5], s[2:3], -1
	s_addk_i32 s7, 0xc000
	s_addk_i32 s10, 0xf000
	s_waitcnt lgkmcnt(1)
	v_lshrrev_b32_e32 v0, s24, v32
	v_and_b32_e32 v0, s15, v0
	v_lshlrev_b32_e32 v0, 2, v0
	ds_read_b32 v37, v0
	ds_read_b32 v38, v6 offset:12288
	s_waitcnt lgkmcnt(2)
	v_lshrrev_b32_e32 v0, s24, v36
	v_and_b32_e32 v0, s15, v0
	v_lshlrev_b32_e32 v0, 2, v0
	v_lshrrev_b32_e32 v34, s24, v33
	ds_read_b32 v0, v0
	v_and_b32_e32 v34, s15, v34
	s_waitcnt lgkmcnt(1)
	v_lshrrev_b32_e32 v35, s24, v38
	v_lshlrev_b32_e32 v34, 2, v34
	v_and_b32_e32 v35, s15, v35
	v_lshlrev_b32_e32 v35, 2, v35
	ds_read_b32 v39, v34
	ds_read_b32 v40, v35
	s_waitcnt lgkmcnt(2)
	v_add_u32_e32 v0, v31, v0
	v_lshl_add_u64 v[34:35], v[0:1], 2, s[30:31]
	v_add3_u32 v0, v31, v37, s6
	global_store_dword v[34:35], v36, off
	v_lshl_add_u64 v[34:35], v[0:1], 2, s[30:31]
	s_waitcnt lgkmcnt(1)
	v_add3_u32 v0, v31, v39, s12
	global_store_dword v[34:35], v32, off
	v_lshl_add_u64 v[34:35], v[0:1], 2, s[30:31]
	s_waitcnt lgkmcnt(0)
	v_add3_u32 v0, v31, v40, s13
	global_store_dword v[34:35], v33, off
	v_lshl_add_u64 v[32:33], v[0:1], 2, s[30:31]
	v_add_u32_e32 v31, 0x1000, v31
	s_mov_b64 s[2:3], 0
	s_and_b64 vcc, exec, s[4:5]
	global_store_dword v[32:33], v38, off
	s_barrier
	s_cbranch_vccnz .LBB1103_141
.LBB1103_125:                           ; =>This Inner Loop Header: Depth=1
	v_add_u32_e32 v0, s10, v4
	v_cmp_gt_u32_e32 vcc, s11, v0
	s_and_saveexec_b64 s[4:5], vcc
	s_cbranch_execz .LBB1103_127
; %bb.126:                              ;   in Loop: Header=BB1103_125 Depth=1
	v_add_u32_e32 v0, s7, v17
	ds_write_b32 v0, v3 offset:1024
.LBB1103_127:                           ;   in Loop: Header=BB1103_125 Depth=1
	s_or_b64 exec, exec, s[4:5]
	v_add_u32_e32 v0, s10, v16
	v_cmp_gt_u32_e32 vcc, s11, v0
	s_and_saveexec_b64 s[4:5], vcc
	s_cbranch_execz .LBB1103_129
; %bb.128:                              ;   in Loop: Header=BB1103_125 Depth=1
	v_add_u32_e32 v0, s7, v21
	ds_write_b32 v0, v8 offset:1024
.LBB1103_129:                           ;   in Loop: Header=BB1103_125 Depth=1
	s_or_b64 exec, exec, s[4:5]
	;; [unrolled: 9-line block ×7, first 2 shown]
	v_add_u32_e32 v0, s10, v15
	v_cmp_gt_u32_e32 vcc, s11, v0
	s_and_saveexec_b64 s[4:5], vcc
	s_cbranch_execz .LBB1103_124
; %bb.140:                              ;   in Loop: Header=BB1103_125 Depth=1
	v_add_u32_e32 v0, s7, v7
	ds_write_b32 v0, v14 offset:1024
	s_branch .LBB1103_124
.LBB1103_141:
	s_add_i32 s14, s14, -1
	s_cmp_eq_u32 s14, s27
	s_cselect_b64 s[2:3], -1, 0
	s_and_b64 s[2:3], s[0:1], s[2:3]
                                        ; implicit-def: $vgpr3
	s_and_saveexec_b64 s[0:1], s[2:3]
; %bb.142:
	v_add_u32_e32 v3, v19, v20
	s_or_b64 s[8:9], s[8:9], exec
; %bb.143:
	s_or_b64 exec, exec, s[0:1]
.LBB1103_144:
	s_and_saveexec_b64 s[0:1], s[8:9]
	s_cbranch_execnz .LBB1103_146
; %bb.145:
	s_endpgm
.LBB1103_146:
	v_lshlrev_b32_e32 v0, 2, v2
	ds_read_b32 v1, v0
	s_waitcnt lgkmcnt(0)
	v_add_u32_e32 v1, v1, v3
	global_store_dword v0, v1, s[22:23]
	s_endpgm
	.section	.rodata,"a",@progbits
	.p2align	6, 0x0
	.amdhsa_kernel _ZN7rocprim17ROCPRIM_400000_NS6detail17trampoline_kernelINS0_14default_configENS1_35radix_sort_onesweep_config_selectorIjNS0_10empty_typeEEEZZNS1_29radix_sort_onesweep_iterationIS3_Lb0EN6thrust23THRUST_200600_302600_NS6detail15normal_iteratorINS9_10device_ptrIjEEEESE_PS5_SF_jNS0_19identity_decomposerENS1_16block_id_wrapperIjLb1EEEEE10hipError_tT1_PNSt15iterator_traitsISK_E10value_typeET2_T3_PNSL_ISQ_E10value_typeET4_T5_PSV_SW_PNS1_23onesweep_lookback_stateEbbT6_jjT7_P12ihipStream_tbENKUlT_T0_SK_SP_E_clISE_SE_SF_SF_EEDaS13_S14_SK_SP_EUlS13_E_NS1_11comp_targetILNS1_3genE5ELNS1_11target_archE942ELNS1_3gpuE9ELNS1_3repE0EEENS1_47radix_sort_onesweep_sort_config_static_selectorELNS0_4arch9wavefront6targetE1EEEvSK_
		.amdhsa_group_segment_fixed_size 20552
		.amdhsa_private_segment_fixed_size 0
		.amdhsa_kernarg_size 344
		.amdhsa_user_sgpr_count 2
		.amdhsa_user_sgpr_dispatch_ptr 0
		.amdhsa_user_sgpr_queue_ptr 0
		.amdhsa_user_sgpr_kernarg_segment_ptr 1
		.amdhsa_user_sgpr_dispatch_id 0
		.amdhsa_user_sgpr_kernarg_preload_length 0
		.amdhsa_user_sgpr_kernarg_preload_offset 0
		.amdhsa_user_sgpr_private_segment_size 0
		.amdhsa_uses_dynamic_stack 0
		.amdhsa_enable_private_segment 0
		.amdhsa_system_sgpr_workgroup_id_x 1
		.amdhsa_system_sgpr_workgroup_id_y 0
		.amdhsa_system_sgpr_workgroup_id_z 0
		.amdhsa_system_sgpr_workgroup_info 0
		.amdhsa_system_vgpr_workitem_id 2
		.amdhsa_next_free_vgpr 46
		.amdhsa_next_free_sgpr 34
		.amdhsa_accum_offset 48
		.amdhsa_reserve_vcc 1
		.amdhsa_float_round_mode_32 0
		.amdhsa_float_round_mode_16_64 0
		.amdhsa_float_denorm_mode_32 3
		.amdhsa_float_denorm_mode_16_64 3
		.amdhsa_dx10_clamp 1
		.amdhsa_ieee_mode 1
		.amdhsa_fp16_overflow 0
		.amdhsa_tg_split 0
		.amdhsa_exception_fp_ieee_invalid_op 0
		.amdhsa_exception_fp_denorm_src 0
		.amdhsa_exception_fp_ieee_div_zero 0
		.amdhsa_exception_fp_ieee_overflow 0
		.amdhsa_exception_fp_ieee_underflow 0
		.amdhsa_exception_fp_ieee_inexact 0
		.amdhsa_exception_int_div_zero 0
	.end_amdhsa_kernel
	.section	.text._ZN7rocprim17ROCPRIM_400000_NS6detail17trampoline_kernelINS0_14default_configENS1_35radix_sort_onesweep_config_selectorIjNS0_10empty_typeEEEZZNS1_29radix_sort_onesweep_iterationIS3_Lb0EN6thrust23THRUST_200600_302600_NS6detail15normal_iteratorINS9_10device_ptrIjEEEESE_PS5_SF_jNS0_19identity_decomposerENS1_16block_id_wrapperIjLb1EEEEE10hipError_tT1_PNSt15iterator_traitsISK_E10value_typeET2_T3_PNSL_ISQ_E10value_typeET4_T5_PSV_SW_PNS1_23onesweep_lookback_stateEbbT6_jjT7_P12ihipStream_tbENKUlT_T0_SK_SP_E_clISE_SE_SF_SF_EEDaS13_S14_SK_SP_EUlS13_E_NS1_11comp_targetILNS1_3genE5ELNS1_11target_archE942ELNS1_3gpuE9ELNS1_3repE0EEENS1_47radix_sort_onesweep_sort_config_static_selectorELNS0_4arch9wavefront6targetE1EEEvSK_,"axG",@progbits,_ZN7rocprim17ROCPRIM_400000_NS6detail17trampoline_kernelINS0_14default_configENS1_35radix_sort_onesweep_config_selectorIjNS0_10empty_typeEEEZZNS1_29radix_sort_onesweep_iterationIS3_Lb0EN6thrust23THRUST_200600_302600_NS6detail15normal_iteratorINS9_10device_ptrIjEEEESE_PS5_SF_jNS0_19identity_decomposerENS1_16block_id_wrapperIjLb1EEEEE10hipError_tT1_PNSt15iterator_traitsISK_E10value_typeET2_T3_PNSL_ISQ_E10value_typeET4_T5_PSV_SW_PNS1_23onesweep_lookback_stateEbbT6_jjT7_P12ihipStream_tbENKUlT_T0_SK_SP_E_clISE_SE_SF_SF_EEDaS13_S14_SK_SP_EUlS13_E_NS1_11comp_targetILNS1_3genE5ELNS1_11target_archE942ELNS1_3gpuE9ELNS1_3repE0EEENS1_47radix_sort_onesweep_sort_config_static_selectorELNS0_4arch9wavefront6targetE1EEEvSK_,comdat
.Lfunc_end1103:
	.size	_ZN7rocprim17ROCPRIM_400000_NS6detail17trampoline_kernelINS0_14default_configENS1_35radix_sort_onesweep_config_selectorIjNS0_10empty_typeEEEZZNS1_29radix_sort_onesweep_iterationIS3_Lb0EN6thrust23THRUST_200600_302600_NS6detail15normal_iteratorINS9_10device_ptrIjEEEESE_PS5_SF_jNS0_19identity_decomposerENS1_16block_id_wrapperIjLb1EEEEE10hipError_tT1_PNSt15iterator_traitsISK_E10value_typeET2_T3_PNSL_ISQ_E10value_typeET4_T5_PSV_SW_PNS1_23onesweep_lookback_stateEbbT6_jjT7_P12ihipStream_tbENKUlT_T0_SK_SP_E_clISE_SE_SF_SF_EEDaS13_S14_SK_SP_EUlS13_E_NS1_11comp_targetILNS1_3genE5ELNS1_11target_archE942ELNS1_3gpuE9ELNS1_3repE0EEENS1_47radix_sort_onesweep_sort_config_static_selectorELNS0_4arch9wavefront6targetE1EEEvSK_, .Lfunc_end1103-_ZN7rocprim17ROCPRIM_400000_NS6detail17trampoline_kernelINS0_14default_configENS1_35radix_sort_onesweep_config_selectorIjNS0_10empty_typeEEEZZNS1_29radix_sort_onesweep_iterationIS3_Lb0EN6thrust23THRUST_200600_302600_NS6detail15normal_iteratorINS9_10device_ptrIjEEEESE_PS5_SF_jNS0_19identity_decomposerENS1_16block_id_wrapperIjLb1EEEEE10hipError_tT1_PNSt15iterator_traitsISK_E10value_typeET2_T3_PNSL_ISQ_E10value_typeET4_T5_PSV_SW_PNS1_23onesweep_lookback_stateEbbT6_jjT7_P12ihipStream_tbENKUlT_T0_SK_SP_E_clISE_SE_SF_SF_EEDaS13_S14_SK_SP_EUlS13_E_NS1_11comp_targetILNS1_3genE5ELNS1_11target_archE942ELNS1_3gpuE9ELNS1_3repE0EEENS1_47radix_sort_onesweep_sort_config_static_selectorELNS0_4arch9wavefront6targetE1EEEvSK_
                                        ; -- End function
	.section	.AMDGPU.csdata,"",@progbits
; Kernel info:
; codeLenInByte = 11204
; NumSgprs: 40
; NumVgprs: 46
; NumAgprs: 0
; TotalNumVgprs: 46
; ScratchSize: 0
; MemoryBound: 0
; FloatMode: 240
; IeeeMode: 1
; LDSByteSize: 20552 bytes/workgroup (compile time only)
; SGPRBlocks: 4
; VGPRBlocks: 5
; NumSGPRsForWavesPerEU: 40
; NumVGPRsForWavesPerEU: 46
; AccumOffset: 48
; Occupancy: 8
; WaveLimiterHint : 1
; COMPUTE_PGM_RSRC2:SCRATCH_EN: 0
; COMPUTE_PGM_RSRC2:USER_SGPR: 2
; COMPUTE_PGM_RSRC2:TRAP_HANDLER: 0
; COMPUTE_PGM_RSRC2:TGID_X_EN: 1
; COMPUTE_PGM_RSRC2:TGID_Y_EN: 0
; COMPUTE_PGM_RSRC2:TGID_Z_EN: 0
; COMPUTE_PGM_RSRC2:TIDIG_COMP_CNT: 2
; COMPUTE_PGM_RSRC3_GFX90A:ACCUM_OFFSET: 11
; COMPUTE_PGM_RSRC3_GFX90A:TG_SPLIT: 0
	.section	.text._ZN7rocprim17ROCPRIM_400000_NS6detail17trampoline_kernelINS0_14default_configENS1_35radix_sort_onesweep_config_selectorIjNS0_10empty_typeEEEZZNS1_29radix_sort_onesweep_iterationIS3_Lb0EN6thrust23THRUST_200600_302600_NS6detail15normal_iteratorINS9_10device_ptrIjEEEESE_PS5_SF_jNS0_19identity_decomposerENS1_16block_id_wrapperIjLb1EEEEE10hipError_tT1_PNSt15iterator_traitsISK_E10value_typeET2_T3_PNSL_ISQ_E10value_typeET4_T5_PSV_SW_PNS1_23onesweep_lookback_stateEbbT6_jjT7_P12ihipStream_tbENKUlT_T0_SK_SP_E_clISE_SE_SF_SF_EEDaS13_S14_SK_SP_EUlS13_E_NS1_11comp_targetILNS1_3genE2ELNS1_11target_archE906ELNS1_3gpuE6ELNS1_3repE0EEENS1_47radix_sort_onesweep_sort_config_static_selectorELNS0_4arch9wavefront6targetE1EEEvSK_,"axG",@progbits,_ZN7rocprim17ROCPRIM_400000_NS6detail17trampoline_kernelINS0_14default_configENS1_35radix_sort_onesweep_config_selectorIjNS0_10empty_typeEEEZZNS1_29radix_sort_onesweep_iterationIS3_Lb0EN6thrust23THRUST_200600_302600_NS6detail15normal_iteratorINS9_10device_ptrIjEEEESE_PS5_SF_jNS0_19identity_decomposerENS1_16block_id_wrapperIjLb1EEEEE10hipError_tT1_PNSt15iterator_traitsISK_E10value_typeET2_T3_PNSL_ISQ_E10value_typeET4_T5_PSV_SW_PNS1_23onesweep_lookback_stateEbbT6_jjT7_P12ihipStream_tbENKUlT_T0_SK_SP_E_clISE_SE_SF_SF_EEDaS13_S14_SK_SP_EUlS13_E_NS1_11comp_targetILNS1_3genE2ELNS1_11target_archE906ELNS1_3gpuE6ELNS1_3repE0EEENS1_47radix_sort_onesweep_sort_config_static_selectorELNS0_4arch9wavefront6targetE1EEEvSK_,comdat
	.protected	_ZN7rocprim17ROCPRIM_400000_NS6detail17trampoline_kernelINS0_14default_configENS1_35radix_sort_onesweep_config_selectorIjNS0_10empty_typeEEEZZNS1_29radix_sort_onesweep_iterationIS3_Lb0EN6thrust23THRUST_200600_302600_NS6detail15normal_iteratorINS9_10device_ptrIjEEEESE_PS5_SF_jNS0_19identity_decomposerENS1_16block_id_wrapperIjLb1EEEEE10hipError_tT1_PNSt15iterator_traitsISK_E10value_typeET2_T3_PNSL_ISQ_E10value_typeET4_T5_PSV_SW_PNS1_23onesweep_lookback_stateEbbT6_jjT7_P12ihipStream_tbENKUlT_T0_SK_SP_E_clISE_SE_SF_SF_EEDaS13_S14_SK_SP_EUlS13_E_NS1_11comp_targetILNS1_3genE2ELNS1_11target_archE906ELNS1_3gpuE6ELNS1_3repE0EEENS1_47radix_sort_onesweep_sort_config_static_selectorELNS0_4arch9wavefront6targetE1EEEvSK_ ; -- Begin function _ZN7rocprim17ROCPRIM_400000_NS6detail17trampoline_kernelINS0_14default_configENS1_35radix_sort_onesweep_config_selectorIjNS0_10empty_typeEEEZZNS1_29radix_sort_onesweep_iterationIS3_Lb0EN6thrust23THRUST_200600_302600_NS6detail15normal_iteratorINS9_10device_ptrIjEEEESE_PS5_SF_jNS0_19identity_decomposerENS1_16block_id_wrapperIjLb1EEEEE10hipError_tT1_PNSt15iterator_traitsISK_E10value_typeET2_T3_PNSL_ISQ_E10value_typeET4_T5_PSV_SW_PNS1_23onesweep_lookback_stateEbbT6_jjT7_P12ihipStream_tbENKUlT_T0_SK_SP_E_clISE_SE_SF_SF_EEDaS13_S14_SK_SP_EUlS13_E_NS1_11comp_targetILNS1_3genE2ELNS1_11target_archE906ELNS1_3gpuE6ELNS1_3repE0EEENS1_47radix_sort_onesweep_sort_config_static_selectorELNS0_4arch9wavefront6targetE1EEEvSK_
	.globl	_ZN7rocprim17ROCPRIM_400000_NS6detail17trampoline_kernelINS0_14default_configENS1_35radix_sort_onesweep_config_selectorIjNS0_10empty_typeEEEZZNS1_29radix_sort_onesweep_iterationIS3_Lb0EN6thrust23THRUST_200600_302600_NS6detail15normal_iteratorINS9_10device_ptrIjEEEESE_PS5_SF_jNS0_19identity_decomposerENS1_16block_id_wrapperIjLb1EEEEE10hipError_tT1_PNSt15iterator_traitsISK_E10value_typeET2_T3_PNSL_ISQ_E10value_typeET4_T5_PSV_SW_PNS1_23onesweep_lookback_stateEbbT6_jjT7_P12ihipStream_tbENKUlT_T0_SK_SP_E_clISE_SE_SF_SF_EEDaS13_S14_SK_SP_EUlS13_E_NS1_11comp_targetILNS1_3genE2ELNS1_11target_archE906ELNS1_3gpuE6ELNS1_3repE0EEENS1_47radix_sort_onesweep_sort_config_static_selectorELNS0_4arch9wavefront6targetE1EEEvSK_
	.p2align	8
	.type	_ZN7rocprim17ROCPRIM_400000_NS6detail17trampoline_kernelINS0_14default_configENS1_35radix_sort_onesweep_config_selectorIjNS0_10empty_typeEEEZZNS1_29radix_sort_onesweep_iterationIS3_Lb0EN6thrust23THRUST_200600_302600_NS6detail15normal_iteratorINS9_10device_ptrIjEEEESE_PS5_SF_jNS0_19identity_decomposerENS1_16block_id_wrapperIjLb1EEEEE10hipError_tT1_PNSt15iterator_traitsISK_E10value_typeET2_T3_PNSL_ISQ_E10value_typeET4_T5_PSV_SW_PNS1_23onesweep_lookback_stateEbbT6_jjT7_P12ihipStream_tbENKUlT_T0_SK_SP_E_clISE_SE_SF_SF_EEDaS13_S14_SK_SP_EUlS13_E_NS1_11comp_targetILNS1_3genE2ELNS1_11target_archE906ELNS1_3gpuE6ELNS1_3repE0EEENS1_47radix_sort_onesweep_sort_config_static_selectorELNS0_4arch9wavefront6targetE1EEEvSK_,@function
_ZN7rocprim17ROCPRIM_400000_NS6detail17trampoline_kernelINS0_14default_configENS1_35radix_sort_onesweep_config_selectorIjNS0_10empty_typeEEEZZNS1_29radix_sort_onesweep_iterationIS3_Lb0EN6thrust23THRUST_200600_302600_NS6detail15normal_iteratorINS9_10device_ptrIjEEEESE_PS5_SF_jNS0_19identity_decomposerENS1_16block_id_wrapperIjLb1EEEEE10hipError_tT1_PNSt15iterator_traitsISK_E10value_typeET2_T3_PNSL_ISQ_E10value_typeET4_T5_PSV_SW_PNS1_23onesweep_lookback_stateEbbT6_jjT7_P12ihipStream_tbENKUlT_T0_SK_SP_E_clISE_SE_SF_SF_EEDaS13_S14_SK_SP_EUlS13_E_NS1_11comp_targetILNS1_3genE2ELNS1_11target_archE906ELNS1_3gpuE6ELNS1_3repE0EEENS1_47radix_sort_onesweep_sort_config_static_selectorELNS0_4arch9wavefront6targetE1EEEvSK_: ; @_ZN7rocprim17ROCPRIM_400000_NS6detail17trampoline_kernelINS0_14default_configENS1_35radix_sort_onesweep_config_selectorIjNS0_10empty_typeEEEZZNS1_29radix_sort_onesweep_iterationIS3_Lb0EN6thrust23THRUST_200600_302600_NS6detail15normal_iteratorINS9_10device_ptrIjEEEESE_PS5_SF_jNS0_19identity_decomposerENS1_16block_id_wrapperIjLb1EEEEE10hipError_tT1_PNSt15iterator_traitsISK_E10value_typeET2_T3_PNSL_ISQ_E10value_typeET4_T5_PSV_SW_PNS1_23onesweep_lookback_stateEbbT6_jjT7_P12ihipStream_tbENKUlT_T0_SK_SP_E_clISE_SE_SF_SF_EEDaS13_S14_SK_SP_EUlS13_E_NS1_11comp_targetILNS1_3genE2ELNS1_11target_archE906ELNS1_3gpuE6ELNS1_3repE0EEENS1_47radix_sort_onesweep_sort_config_static_selectorELNS0_4arch9wavefront6targetE1EEEvSK_
; %bb.0:
	.section	.rodata,"a",@progbits
	.p2align	6, 0x0
	.amdhsa_kernel _ZN7rocprim17ROCPRIM_400000_NS6detail17trampoline_kernelINS0_14default_configENS1_35radix_sort_onesweep_config_selectorIjNS0_10empty_typeEEEZZNS1_29radix_sort_onesweep_iterationIS3_Lb0EN6thrust23THRUST_200600_302600_NS6detail15normal_iteratorINS9_10device_ptrIjEEEESE_PS5_SF_jNS0_19identity_decomposerENS1_16block_id_wrapperIjLb1EEEEE10hipError_tT1_PNSt15iterator_traitsISK_E10value_typeET2_T3_PNSL_ISQ_E10value_typeET4_T5_PSV_SW_PNS1_23onesweep_lookback_stateEbbT6_jjT7_P12ihipStream_tbENKUlT_T0_SK_SP_E_clISE_SE_SF_SF_EEDaS13_S14_SK_SP_EUlS13_E_NS1_11comp_targetILNS1_3genE2ELNS1_11target_archE906ELNS1_3gpuE6ELNS1_3repE0EEENS1_47radix_sort_onesweep_sort_config_static_selectorELNS0_4arch9wavefront6targetE1EEEvSK_
		.amdhsa_group_segment_fixed_size 0
		.amdhsa_private_segment_fixed_size 0
		.amdhsa_kernarg_size 88
		.amdhsa_user_sgpr_count 2
		.amdhsa_user_sgpr_dispatch_ptr 0
		.amdhsa_user_sgpr_queue_ptr 0
		.amdhsa_user_sgpr_kernarg_segment_ptr 1
		.amdhsa_user_sgpr_dispatch_id 0
		.amdhsa_user_sgpr_kernarg_preload_length 0
		.amdhsa_user_sgpr_kernarg_preload_offset 0
		.amdhsa_user_sgpr_private_segment_size 0
		.amdhsa_uses_dynamic_stack 0
		.amdhsa_enable_private_segment 0
		.amdhsa_system_sgpr_workgroup_id_x 1
		.amdhsa_system_sgpr_workgroup_id_y 0
		.amdhsa_system_sgpr_workgroup_id_z 0
		.amdhsa_system_sgpr_workgroup_info 0
		.amdhsa_system_vgpr_workitem_id 0
		.amdhsa_next_free_vgpr 1
		.amdhsa_next_free_sgpr 0
		.amdhsa_accum_offset 4
		.amdhsa_reserve_vcc 0
		.amdhsa_float_round_mode_32 0
		.amdhsa_float_round_mode_16_64 0
		.amdhsa_float_denorm_mode_32 3
		.amdhsa_float_denorm_mode_16_64 3
		.amdhsa_dx10_clamp 1
		.amdhsa_ieee_mode 1
		.amdhsa_fp16_overflow 0
		.amdhsa_tg_split 0
		.amdhsa_exception_fp_ieee_invalid_op 0
		.amdhsa_exception_fp_denorm_src 0
		.amdhsa_exception_fp_ieee_div_zero 0
		.amdhsa_exception_fp_ieee_overflow 0
		.amdhsa_exception_fp_ieee_underflow 0
		.amdhsa_exception_fp_ieee_inexact 0
		.amdhsa_exception_int_div_zero 0
	.end_amdhsa_kernel
	.section	.text._ZN7rocprim17ROCPRIM_400000_NS6detail17trampoline_kernelINS0_14default_configENS1_35radix_sort_onesweep_config_selectorIjNS0_10empty_typeEEEZZNS1_29radix_sort_onesweep_iterationIS3_Lb0EN6thrust23THRUST_200600_302600_NS6detail15normal_iteratorINS9_10device_ptrIjEEEESE_PS5_SF_jNS0_19identity_decomposerENS1_16block_id_wrapperIjLb1EEEEE10hipError_tT1_PNSt15iterator_traitsISK_E10value_typeET2_T3_PNSL_ISQ_E10value_typeET4_T5_PSV_SW_PNS1_23onesweep_lookback_stateEbbT6_jjT7_P12ihipStream_tbENKUlT_T0_SK_SP_E_clISE_SE_SF_SF_EEDaS13_S14_SK_SP_EUlS13_E_NS1_11comp_targetILNS1_3genE2ELNS1_11target_archE906ELNS1_3gpuE6ELNS1_3repE0EEENS1_47radix_sort_onesweep_sort_config_static_selectorELNS0_4arch9wavefront6targetE1EEEvSK_,"axG",@progbits,_ZN7rocprim17ROCPRIM_400000_NS6detail17trampoline_kernelINS0_14default_configENS1_35radix_sort_onesweep_config_selectorIjNS0_10empty_typeEEEZZNS1_29radix_sort_onesweep_iterationIS3_Lb0EN6thrust23THRUST_200600_302600_NS6detail15normal_iteratorINS9_10device_ptrIjEEEESE_PS5_SF_jNS0_19identity_decomposerENS1_16block_id_wrapperIjLb1EEEEE10hipError_tT1_PNSt15iterator_traitsISK_E10value_typeET2_T3_PNSL_ISQ_E10value_typeET4_T5_PSV_SW_PNS1_23onesweep_lookback_stateEbbT6_jjT7_P12ihipStream_tbENKUlT_T0_SK_SP_E_clISE_SE_SF_SF_EEDaS13_S14_SK_SP_EUlS13_E_NS1_11comp_targetILNS1_3genE2ELNS1_11target_archE906ELNS1_3gpuE6ELNS1_3repE0EEENS1_47radix_sort_onesweep_sort_config_static_selectorELNS0_4arch9wavefront6targetE1EEEvSK_,comdat
.Lfunc_end1104:
	.size	_ZN7rocprim17ROCPRIM_400000_NS6detail17trampoline_kernelINS0_14default_configENS1_35radix_sort_onesweep_config_selectorIjNS0_10empty_typeEEEZZNS1_29radix_sort_onesweep_iterationIS3_Lb0EN6thrust23THRUST_200600_302600_NS6detail15normal_iteratorINS9_10device_ptrIjEEEESE_PS5_SF_jNS0_19identity_decomposerENS1_16block_id_wrapperIjLb1EEEEE10hipError_tT1_PNSt15iterator_traitsISK_E10value_typeET2_T3_PNSL_ISQ_E10value_typeET4_T5_PSV_SW_PNS1_23onesweep_lookback_stateEbbT6_jjT7_P12ihipStream_tbENKUlT_T0_SK_SP_E_clISE_SE_SF_SF_EEDaS13_S14_SK_SP_EUlS13_E_NS1_11comp_targetILNS1_3genE2ELNS1_11target_archE906ELNS1_3gpuE6ELNS1_3repE0EEENS1_47radix_sort_onesweep_sort_config_static_selectorELNS0_4arch9wavefront6targetE1EEEvSK_, .Lfunc_end1104-_ZN7rocprim17ROCPRIM_400000_NS6detail17trampoline_kernelINS0_14default_configENS1_35radix_sort_onesweep_config_selectorIjNS0_10empty_typeEEEZZNS1_29radix_sort_onesweep_iterationIS3_Lb0EN6thrust23THRUST_200600_302600_NS6detail15normal_iteratorINS9_10device_ptrIjEEEESE_PS5_SF_jNS0_19identity_decomposerENS1_16block_id_wrapperIjLb1EEEEE10hipError_tT1_PNSt15iterator_traitsISK_E10value_typeET2_T3_PNSL_ISQ_E10value_typeET4_T5_PSV_SW_PNS1_23onesweep_lookback_stateEbbT6_jjT7_P12ihipStream_tbENKUlT_T0_SK_SP_E_clISE_SE_SF_SF_EEDaS13_S14_SK_SP_EUlS13_E_NS1_11comp_targetILNS1_3genE2ELNS1_11target_archE906ELNS1_3gpuE6ELNS1_3repE0EEENS1_47radix_sort_onesweep_sort_config_static_selectorELNS0_4arch9wavefront6targetE1EEEvSK_
                                        ; -- End function
	.section	.AMDGPU.csdata,"",@progbits
; Kernel info:
; codeLenInByte = 0
; NumSgprs: 6
; NumVgprs: 0
; NumAgprs: 0
; TotalNumVgprs: 0
; ScratchSize: 0
; MemoryBound: 0
; FloatMode: 240
; IeeeMode: 1
; LDSByteSize: 0 bytes/workgroup (compile time only)
; SGPRBlocks: 0
; VGPRBlocks: 0
; NumSGPRsForWavesPerEU: 6
; NumVGPRsForWavesPerEU: 1
; AccumOffset: 4
; Occupancy: 8
; WaveLimiterHint : 0
; COMPUTE_PGM_RSRC2:SCRATCH_EN: 0
; COMPUTE_PGM_RSRC2:USER_SGPR: 2
; COMPUTE_PGM_RSRC2:TRAP_HANDLER: 0
; COMPUTE_PGM_RSRC2:TGID_X_EN: 1
; COMPUTE_PGM_RSRC2:TGID_Y_EN: 0
; COMPUTE_PGM_RSRC2:TGID_Z_EN: 0
; COMPUTE_PGM_RSRC2:TIDIG_COMP_CNT: 0
; COMPUTE_PGM_RSRC3_GFX90A:ACCUM_OFFSET: 0
; COMPUTE_PGM_RSRC3_GFX90A:TG_SPLIT: 0
	.section	.text._ZN7rocprim17ROCPRIM_400000_NS6detail17trampoline_kernelINS0_14default_configENS1_35radix_sort_onesweep_config_selectorIjNS0_10empty_typeEEEZZNS1_29radix_sort_onesweep_iterationIS3_Lb0EN6thrust23THRUST_200600_302600_NS6detail15normal_iteratorINS9_10device_ptrIjEEEESE_PS5_SF_jNS0_19identity_decomposerENS1_16block_id_wrapperIjLb1EEEEE10hipError_tT1_PNSt15iterator_traitsISK_E10value_typeET2_T3_PNSL_ISQ_E10value_typeET4_T5_PSV_SW_PNS1_23onesweep_lookback_stateEbbT6_jjT7_P12ihipStream_tbENKUlT_T0_SK_SP_E_clISE_SE_SF_SF_EEDaS13_S14_SK_SP_EUlS13_E_NS1_11comp_targetILNS1_3genE4ELNS1_11target_archE910ELNS1_3gpuE8ELNS1_3repE0EEENS1_47radix_sort_onesweep_sort_config_static_selectorELNS0_4arch9wavefront6targetE1EEEvSK_,"axG",@progbits,_ZN7rocprim17ROCPRIM_400000_NS6detail17trampoline_kernelINS0_14default_configENS1_35radix_sort_onesweep_config_selectorIjNS0_10empty_typeEEEZZNS1_29radix_sort_onesweep_iterationIS3_Lb0EN6thrust23THRUST_200600_302600_NS6detail15normal_iteratorINS9_10device_ptrIjEEEESE_PS5_SF_jNS0_19identity_decomposerENS1_16block_id_wrapperIjLb1EEEEE10hipError_tT1_PNSt15iterator_traitsISK_E10value_typeET2_T3_PNSL_ISQ_E10value_typeET4_T5_PSV_SW_PNS1_23onesweep_lookback_stateEbbT6_jjT7_P12ihipStream_tbENKUlT_T0_SK_SP_E_clISE_SE_SF_SF_EEDaS13_S14_SK_SP_EUlS13_E_NS1_11comp_targetILNS1_3genE4ELNS1_11target_archE910ELNS1_3gpuE8ELNS1_3repE0EEENS1_47radix_sort_onesweep_sort_config_static_selectorELNS0_4arch9wavefront6targetE1EEEvSK_,comdat
	.protected	_ZN7rocprim17ROCPRIM_400000_NS6detail17trampoline_kernelINS0_14default_configENS1_35radix_sort_onesweep_config_selectorIjNS0_10empty_typeEEEZZNS1_29radix_sort_onesweep_iterationIS3_Lb0EN6thrust23THRUST_200600_302600_NS6detail15normal_iteratorINS9_10device_ptrIjEEEESE_PS5_SF_jNS0_19identity_decomposerENS1_16block_id_wrapperIjLb1EEEEE10hipError_tT1_PNSt15iterator_traitsISK_E10value_typeET2_T3_PNSL_ISQ_E10value_typeET4_T5_PSV_SW_PNS1_23onesweep_lookback_stateEbbT6_jjT7_P12ihipStream_tbENKUlT_T0_SK_SP_E_clISE_SE_SF_SF_EEDaS13_S14_SK_SP_EUlS13_E_NS1_11comp_targetILNS1_3genE4ELNS1_11target_archE910ELNS1_3gpuE8ELNS1_3repE0EEENS1_47radix_sort_onesweep_sort_config_static_selectorELNS0_4arch9wavefront6targetE1EEEvSK_ ; -- Begin function _ZN7rocprim17ROCPRIM_400000_NS6detail17trampoline_kernelINS0_14default_configENS1_35radix_sort_onesweep_config_selectorIjNS0_10empty_typeEEEZZNS1_29radix_sort_onesweep_iterationIS3_Lb0EN6thrust23THRUST_200600_302600_NS6detail15normal_iteratorINS9_10device_ptrIjEEEESE_PS5_SF_jNS0_19identity_decomposerENS1_16block_id_wrapperIjLb1EEEEE10hipError_tT1_PNSt15iterator_traitsISK_E10value_typeET2_T3_PNSL_ISQ_E10value_typeET4_T5_PSV_SW_PNS1_23onesweep_lookback_stateEbbT6_jjT7_P12ihipStream_tbENKUlT_T0_SK_SP_E_clISE_SE_SF_SF_EEDaS13_S14_SK_SP_EUlS13_E_NS1_11comp_targetILNS1_3genE4ELNS1_11target_archE910ELNS1_3gpuE8ELNS1_3repE0EEENS1_47radix_sort_onesweep_sort_config_static_selectorELNS0_4arch9wavefront6targetE1EEEvSK_
	.globl	_ZN7rocprim17ROCPRIM_400000_NS6detail17trampoline_kernelINS0_14default_configENS1_35radix_sort_onesweep_config_selectorIjNS0_10empty_typeEEEZZNS1_29radix_sort_onesweep_iterationIS3_Lb0EN6thrust23THRUST_200600_302600_NS6detail15normal_iteratorINS9_10device_ptrIjEEEESE_PS5_SF_jNS0_19identity_decomposerENS1_16block_id_wrapperIjLb1EEEEE10hipError_tT1_PNSt15iterator_traitsISK_E10value_typeET2_T3_PNSL_ISQ_E10value_typeET4_T5_PSV_SW_PNS1_23onesweep_lookback_stateEbbT6_jjT7_P12ihipStream_tbENKUlT_T0_SK_SP_E_clISE_SE_SF_SF_EEDaS13_S14_SK_SP_EUlS13_E_NS1_11comp_targetILNS1_3genE4ELNS1_11target_archE910ELNS1_3gpuE8ELNS1_3repE0EEENS1_47radix_sort_onesweep_sort_config_static_selectorELNS0_4arch9wavefront6targetE1EEEvSK_
	.p2align	8
	.type	_ZN7rocprim17ROCPRIM_400000_NS6detail17trampoline_kernelINS0_14default_configENS1_35radix_sort_onesweep_config_selectorIjNS0_10empty_typeEEEZZNS1_29radix_sort_onesweep_iterationIS3_Lb0EN6thrust23THRUST_200600_302600_NS6detail15normal_iteratorINS9_10device_ptrIjEEEESE_PS5_SF_jNS0_19identity_decomposerENS1_16block_id_wrapperIjLb1EEEEE10hipError_tT1_PNSt15iterator_traitsISK_E10value_typeET2_T3_PNSL_ISQ_E10value_typeET4_T5_PSV_SW_PNS1_23onesweep_lookback_stateEbbT6_jjT7_P12ihipStream_tbENKUlT_T0_SK_SP_E_clISE_SE_SF_SF_EEDaS13_S14_SK_SP_EUlS13_E_NS1_11comp_targetILNS1_3genE4ELNS1_11target_archE910ELNS1_3gpuE8ELNS1_3repE0EEENS1_47radix_sort_onesweep_sort_config_static_selectorELNS0_4arch9wavefront6targetE1EEEvSK_,@function
_ZN7rocprim17ROCPRIM_400000_NS6detail17trampoline_kernelINS0_14default_configENS1_35radix_sort_onesweep_config_selectorIjNS0_10empty_typeEEEZZNS1_29radix_sort_onesweep_iterationIS3_Lb0EN6thrust23THRUST_200600_302600_NS6detail15normal_iteratorINS9_10device_ptrIjEEEESE_PS5_SF_jNS0_19identity_decomposerENS1_16block_id_wrapperIjLb1EEEEE10hipError_tT1_PNSt15iterator_traitsISK_E10value_typeET2_T3_PNSL_ISQ_E10value_typeET4_T5_PSV_SW_PNS1_23onesweep_lookback_stateEbbT6_jjT7_P12ihipStream_tbENKUlT_T0_SK_SP_E_clISE_SE_SF_SF_EEDaS13_S14_SK_SP_EUlS13_E_NS1_11comp_targetILNS1_3genE4ELNS1_11target_archE910ELNS1_3gpuE8ELNS1_3repE0EEENS1_47radix_sort_onesweep_sort_config_static_selectorELNS0_4arch9wavefront6targetE1EEEvSK_: ; @_ZN7rocprim17ROCPRIM_400000_NS6detail17trampoline_kernelINS0_14default_configENS1_35radix_sort_onesweep_config_selectorIjNS0_10empty_typeEEEZZNS1_29radix_sort_onesweep_iterationIS3_Lb0EN6thrust23THRUST_200600_302600_NS6detail15normal_iteratorINS9_10device_ptrIjEEEESE_PS5_SF_jNS0_19identity_decomposerENS1_16block_id_wrapperIjLb1EEEEE10hipError_tT1_PNSt15iterator_traitsISK_E10value_typeET2_T3_PNSL_ISQ_E10value_typeET4_T5_PSV_SW_PNS1_23onesweep_lookback_stateEbbT6_jjT7_P12ihipStream_tbENKUlT_T0_SK_SP_E_clISE_SE_SF_SF_EEDaS13_S14_SK_SP_EUlS13_E_NS1_11comp_targetILNS1_3genE4ELNS1_11target_archE910ELNS1_3gpuE8ELNS1_3repE0EEENS1_47radix_sort_onesweep_sort_config_static_selectorELNS0_4arch9wavefront6targetE1EEEvSK_
; %bb.0:
	.section	.rodata,"a",@progbits
	.p2align	6, 0x0
	.amdhsa_kernel _ZN7rocprim17ROCPRIM_400000_NS6detail17trampoline_kernelINS0_14default_configENS1_35radix_sort_onesweep_config_selectorIjNS0_10empty_typeEEEZZNS1_29radix_sort_onesweep_iterationIS3_Lb0EN6thrust23THRUST_200600_302600_NS6detail15normal_iteratorINS9_10device_ptrIjEEEESE_PS5_SF_jNS0_19identity_decomposerENS1_16block_id_wrapperIjLb1EEEEE10hipError_tT1_PNSt15iterator_traitsISK_E10value_typeET2_T3_PNSL_ISQ_E10value_typeET4_T5_PSV_SW_PNS1_23onesweep_lookback_stateEbbT6_jjT7_P12ihipStream_tbENKUlT_T0_SK_SP_E_clISE_SE_SF_SF_EEDaS13_S14_SK_SP_EUlS13_E_NS1_11comp_targetILNS1_3genE4ELNS1_11target_archE910ELNS1_3gpuE8ELNS1_3repE0EEENS1_47radix_sort_onesweep_sort_config_static_selectorELNS0_4arch9wavefront6targetE1EEEvSK_
		.amdhsa_group_segment_fixed_size 0
		.amdhsa_private_segment_fixed_size 0
		.amdhsa_kernarg_size 88
		.amdhsa_user_sgpr_count 2
		.amdhsa_user_sgpr_dispatch_ptr 0
		.amdhsa_user_sgpr_queue_ptr 0
		.amdhsa_user_sgpr_kernarg_segment_ptr 1
		.amdhsa_user_sgpr_dispatch_id 0
		.amdhsa_user_sgpr_kernarg_preload_length 0
		.amdhsa_user_sgpr_kernarg_preload_offset 0
		.amdhsa_user_sgpr_private_segment_size 0
		.amdhsa_uses_dynamic_stack 0
		.amdhsa_enable_private_segment 0
		.amdhsa_system_sgpr_workgroup_id_x 1
		.amdhsa_system_sgpr_workgroup_id_y 0
		.amdhsa_system_sgpr_workgroup_id_z 0
		.amdhsa_system_sgpr_workgroup_info 0
		.amdhsa_system_vgpr_workitem_id 0
		.amdhsa_next_free_vgpr 1
		.amdhsa_next_free_sgpr 0
		.amdhsa_accum_offset 4
		.amdhsa_reserve_vcc 0
		.amdhsa_float_round_mode_32 0
		.amdhsa_float_round_mode_16_64 0
		.amdhsa_float_denorm_mode_32 3
		.amdhsa_float_denorm_mode_16_64 3
		.amdhsa_dx10_clamp 1
		.amdhsa_ieee_mode 1
		.amdhsa_fp16_overflow 0
		.amdhsa_tg_split 0
		.amdhsa_exception_fp_ieee_invalid_op 0
		.amdhsa_exception_fp_denorm_src 0
		.amdhsa_exception_fp_ieee_div_zero 0
		.amdhsa_exception_fp_ieee_overflow 0
		.amdhsa_exception_fp_ieee_underflow 0
		.amdhsa_exception_fp_ieee_inexact 0
		.amdhsa_exception_int_div_zero 0
	.end_amdhsa_kernel
	.section	.text._ZN7rocprim17ROCPRIM_400000_NS6detail17trampoline_kernelINS0_14default_configENS1_35radix_sort_onesweep_config_selectorIjNS0_10empty_typeEEEZZNS1_29radix_sort_onesweep_iterationIS3_Lb0EN6thrust23THRUST_200600_302600_NS6detail15normal_iteratorINS9_10device_ptrIjEEEESE_PS5_SF_jNS0_19identity_decomposerENS1_16block_id_wrapperIjLb1EEEEE10hipError_tT1_PNSt15iterator_traitsISK_E10value_typeET2_T3_PNSL_ISQ_E10value_typeET4_T5_PSV_SW_PNS1_23onesweep_lookback_stateEbbT6_jjT7_P12ihipStream_tbENKUlT_T0_SK_SP_E_clISE_SE_SF_SF_EEDaS13_S14_SK_SP_EUlS13_E_NS1_11comp_targetILNS1_3genE4ELNS1_11target_archE910ELNS1_3gpuE8ELNS1_3repE0EEENS1_47radix_sort_onesweep_sort_config_static_selectorELNS0_4arch9wavefront6targetE1EEEvSK_,"axG",@progbits,_ZN7rocprim17ROCPRIM_400000_NS6detail17trampoline_kernelINS0_14default_configENS1_35radix_sort_onesweep_config_selectorIjNS0_10empty_typeEEEZZNS1_29radix_sort_onesweep_iterationIS3_Lb0EN6thrust23THRUST_200600_302600_NS6detail15normal_iteratorINS9_10device_ptrIjEEEESE_PS5_SF_jNS0_19identity_decomposerENS1_16block_id_wrapperIjLb1EEEEE10hipError_tT1_PNSt15iterator_traitsISK_E10value_typeET2_T3_PNSL_ISQ_E10value_typeET4_T5_PSV_SW_PNS1_23onesweep_lookback_stateEbbT6_jjT7_P12ihipStream_tbENKUlT_T0_SK_SP_E_clISE_SE_SF_SF_EEDaS13_S14_SK_SP_EUlS13_E_NS1_11comp_targetILNS1_3genE4ELNS1_11target_archE910ELNS1_3gpuE8ELNS1_3repE0EEENS1_47radix_sort_onesweep_sort_config_static_selectorELNS0_4arch9wavefront6targetE1EEEvSK_,comdat
.Lfunc_end1105:
	.size	_ZN7rocprim17ROCPRIM_400000_NS6detail17trampoline_kernelINS0_14default_configENS1_35radix_sort_onesweep_config_selectorIjNS0_10empty_typeEEEZZNS1_29radix_sort_onesweep_iterationIS3_Lb0EN6thrust23THRUST_200600_302600_NS6detail15normal_iteratorINS9_10device_ptrIjEEEESE_PS5_SF_jNS0_19identity_decomposerENS1_16block_id_wrapperIjLb1EEEEE10hipError_tT1_PNSt15iterator_traitsISK_E10value_typeET2_T3_PNSL_ISQ_E10value_typeET4_T5_PSV_SW_PNS1_23onesweep_lookback_stateEbbT6_jjT7_P12ihipStream_tbENKUlT_T0_SK_SP_E_clISE_SE_SF_SF_EEDaS13_S14_SK_SP_EUlS13_E_NS1_11comp_targetILNS1_3genE4ELNS1_11target_archE910ELNS1_3gpuE8ELNS1_3repE0EEENS1_47radix_sort_onesweep_sort_config_static_selectorELNS0_4arch9wavefront6targetE1EEEvSK_, .Lfunc_end1105-_ZN7rocprim17ROCPRIM_400000_NS6detail17trampoline_kernelINS0_14default_configENS1_35radix_sort_onesweep_config_selectorIjNS0_10empty_typeEEEZZNS1_29radix_sort_onesweep_iterationIS3_Lb0EN6thrust23THRUST_200600_302600_NS6detail15normal_iteratorINS9_10device_ptrIjEEEESE_PS5_SF_jNS0_19identity_decomposerENS1_16block_id_wrapperIjLb1EEEEE10hipError_tT1_PNSt15iterator_traitsISK_E10value_typeET2_T3_PNSL_ISQ_E10value_typeET4_T5_PSV_SW_PNS1_23onesweep_lookback_stateEbbT6_jjT7_P12ihipStream_tbENKUlT_T0_SK_SP_E_clISE_SE_SF_SF_EEDaS13_S14_SK_SP_EUlS13_E_NS1_11comp_targetILNS1_3genE4ELNS1_11target_archE910ELNS1_3gpuE8ELNS1_3repE0EEENS1_47radix_sort_onesweep_sort_config_static_selectorELNS0_4arch9wavefront6targetE1EEEvSK_
                                        ; -- End function
	.section	.AMDGPU.csdata,"",@progbits
; Kernel info:
; codeLenInByte = 0
; NumSgprs: 6
; NumVgprs: 0
; NumAgprs: 0
; TotalNumVgprs: 0
; ScratchSize: 0
; MemoryBound: 0
; FloatMode: 240
; IeeeMode: 1
; LDSByteSize: 0 bytes/workgroup (compile time only)
; SGPRBlocks: 0
; VGPRBlocks: 0
; NumSGPRsForWavesPerEU: 6
; NumVGPRsForWavesPerEU: 1
; AccumOffset: 4
; Occupancy: 8
; WaveLimiterHint : 0
; COMPUTE_PGM_RSRC2:SCRATCH_EN: 0
; COMPUTE_PGM_RSRC2:USER_SGPR: 2
; COMPUTE_PGM_RSRC2:TRAP_HANDLER: 0
; COMPUTE_PGM_RSRC2:TGID_X_EN: 1
; COMPUTE_PGM_RSRC2:TGID_Y_EN: 0
; COMPUTE_PGM_RSRC2:TGID_Z_EN: 0
; COMPUTE_PGM_RSRC2:TIDIG_COMP_CNT: 0
; COMPUTE_PGM_RSRC3_GFX90A:ACCUM_OFFSET: 0
; COMPUTE_PGM_RSRC3_GFX90A:TG_SPLIT: 0
	.section	.text._ZN7rocprim17ROCPRIM_400000_NS6detail17trampoline_kernelINS0_14default_configENS1_35radix_sort_onesweep_config_selectorIjNS0_10empty_typeEEEZZNS1_29radix_sort_onesweep_iterationIS3_Lb0EN6thrust23THRUST_200600_302600_NS6detail15normal_iteratorINS9_10device_ptrIjEEEESE_PS5_SF_jNS0_19identity_decomposerENS1_16block_id_wrapperIjLb1EEEEE10hipError_tT1_PNSt15iterator_traitsISK_E10value_typeET2_T3_PNSL_ISQ_E10value_typeET4_T5_PSV_SW_PNS1_23onesweep_lookback_stateEbbT6_jjT7_P12ihipStream_tbENKUlT_T0_SK_SP_E_clISE_SE_SF_SF_EEDaS13_S14_SK_SP_EUlS13_E_NS1_11comp_targetILNS1_3genE3ELNS1_11target_archE908ELNS1_3gpuE7ELNS1_3repE0EEENS1_47radix_sort_onesweep_sort_config_static_selectorELNS0_4arch9wavefront6targetE1EEEvSK_,"axG",@progbits,_ZN7rocprim17ROCPRIM_400000_NS6detail17trampoline_kernelINS0_14default_configENS1_35radix_sort_onesweep_config_selectorIjNS0_10empty_typeEEEZZNS1_29radix_sort_onesweep_iterationIS3_Lb0EN6thrust23THRUST_200600_302600_NS6detail15normal_iteratorINS9_10device_ptrIjEEEESE_PS5_SF_jNS0_19identity_decomposerENS1_16block_id_wrapperIjLb1EEEEE10hipError_tT1_PNSt15iterator_traitsISK_E10value_typeET2_T3_PNSL_ISQ_E10value_typeET4_T5_PSV_SW_PNS1_23onesweep_lookback_stateEbbT6_jjT7_P12ihipStream_tbENKUlT_T0_SK_SP_E_clISE_SE_SF_SF_EEDaS13_S14_SK_SP_EUlS13_E_NS1_11comp_targetILNS1_3genE3ELNS1_11target_archE908ELNS1_3gpuE7ELNS1_3repE0EEENS1_47radix_sort_onesweep_sort_config_static_selectorELNS0_4arch9wavefront6targetE1EEEvSK_,comdat
	.protected	_ZN7rocprim17ROCPRIM_400000_NS6detail17trampoline_kernelINS0_14default_configENS1_35radix_sort_onesweep_config_selectorIjNS0_10empty_typeEEEZZNS1_29radix_sort_onesweep_iterationIS3_Lb0EN6thrust23THRUST_200600_302600_NS6detail15normal_iteratorINS9_10device_ptrIjEEEESE_PS5_SF_jNS0_19identity_decomposerENS1_16block_id_wrapperIjLb1EEEEE10hipError_tT1_PNSt15iterator_traitsISK_E10value_typeET2_T3_PNSL_ISQ_E10value_typeET4_T5_PSV_SW_PNS1_23onesweep_lookback_stateEbbT6_jjT7_P12ihipStream_tbENKUlT_T0_SK_SP_E_clISE_SE_SF_SF_EEDaS13_S14_SK_SP_EUlS13_E_NS1_11comp_targetILNS1_3genE3ELNS1_11target_archE908ELNS1_3gpuE7ELNS1_3repE0EEENS1_47radix_sort_onesweep_sort_config_static_selectorELNS0_4arch9wavefront6targetE1EEEvSK_ ; -- Begin function _ZN7rocprim17ROCPRIM_400000_NS6detail17trampoline_kernelINS0_14default_configENS1_35radix_sort_onesweep_config_selectorIjNS0_10empty_typeEEEZZNS1_29radix_sort_onesweep_iterationIS3_Lb0EN6thrust23THRUST_200600_302600_NS6detail15normal_iteratorINS9_10device_ptrIjEEEESE_PS5_SF_jNS0_19identity_decomposerENS1_16block_id_wrapperIjLb1EEEEE10hipError_tT1_PNSt15iterator_traitsISK_E10value_typeET2_T3_PNSL_ISQ_E10value_typeET4_T5_PSV_SW_PNS1_23onesweep_lookback_stateEbbT6_jjT7_P12ihipStream_tbENKUlT_T0_SK_SP_E_clISE_SE_SF_SF_EEDaS13_S14_SK_SP_EUlS13_E_NS1_11comp_targetILNS1_3genE3ELNS1_11target_archE908ELNS1_3gpuE7ELNS1_3repE0EEENS1_47radix_sort_onesweep_sort_config_static_selectorELNS0_4arch9wavefront6targetE1EEEvSK_
	.globl	_ZN7rocprim17ROCPRIM_400000_NS6detail17trampoline_kernelINS0_14default_configENS1_35radix_sort_onesweep_config_selectorIjNS0_10empty_typeEEEZZNS1_29radix_sort_onesweep_iterationIS3_Lb0EN6thrust23THRUST_200600_302600_NS6detail15normal_iteratorINS9_10device_ptrIjEEEESE_PS5_SF_jNS0_19identity_decomposerENS1_16block_id_wrapperIjLb1EEEEE10hipError_tT1_PNSt15iterator_traitsISK_E10value_typeET2_T3_PNSL_ISQ_E10value_typeET4_T5_PSV_SW_PNS1_23onesweep_lookback_stateEbbT6_jjT7_P12ihipStream_tbENKUlT_T0_SK_SP_E_clISE_SE_SF_SF_EEDaS13_S14_SK_SP_EUlS13_E_NS1_11comp_targetILNS1_3genE3ELNS1_11target_archE908ELNS1_3gpuE7ELNS1_3repE0EEENS1_47radix_sort_onesweep_sort_config_static_selectorELNS0_4arch9wavefront6targetE1EEEvSK_
	.p2align	8
	.type	_ZN7rocprim17ROCPRIM_400000_NS6detail17trampoline_kernelINS0_14default_configENS1_35radix_sort_onesweep_config_selectorIjNS0_10empty_typeEEEZZNS1_29radix_sort_onesweep_iterationIS3_Lb0EN6thrust23THRUST_200600_302600_NS6detail15normal_iteratorINS9_10device_ptrIjEEEESE_PS5_SF_jNS0_19identity_decomposerENS1_16block_id_wrapperIjLb1EEEEE10hipError_tT1_PNSt15iterator_traitsISK_E10value_typeET2_T3_PNSL_ISQ_E10value_typeET4_T5_PSV_SW_PNS1_23onesweep_lookback_stateEbbT6_jjT7_P12ihipStream_tbENKUlT_T0_SK_SP_E_clISE_SE_SF_SF_EEDaS13_S14_SK_SP_EUlS13_E_NS1_11comp_targetILNS1_3genE3ELNS1_11target_archE908ELNS1_3gpuE7ELNS1_3repE0EEENS1_47radix_sort_onesweep_sort_config_static_selectorELNS0_4arch9wavefront6targetE1EEEvSK_,@function
_ZN7rocprim17ROCPRIM_400000_NS6detail17trampoline_kernelINS0_14default_configENS1_35radix_sort_onesweep_config_selectorIjNS0_10empty_typeEEEZZNS1_29radix_sort_onesweep_iterationIS3_Lb0EN6thrust23THRUST_200600_302600_NS6detail15normal_iteratorINS9_10device_ptrIjEEEESE_PS5_SF_jNS0_19identity_decomposerENS1_16block_id_wrapperIjLb1EEEEE10hipError_tT1_PNSt15iterator_traitsISK_E10value_typeET2_T3_PNSL_ISQ_E10value_typeET4_T5_PSV_SW_PNS1_23onesweep_lookback_stateEbbT6_jjT7_P12ihipStream_tbENKUlT_T0_SK_SP_E_clISE_SE_SF_SF_EEDaS13_S14_SK_SP_EUlS13_E_NS1_11comp_targetILNS1_3genE3ELNS1_11target_archE908ELNS1_3gpuE7ELNS1_3repE0EEENS1_47radix_sort_onesweep_sort_config_static_selectorELNS0_4arch9wavefront6targetE1EEEvSK_: ; @_ZN7rocprim17ROCPRIM_400000_NS6detail17trampoline_kernelINS0_14default_configENS1_35radix_sort_onesweep_config_selectorIjNS0_10empty_typeEEEZZNS1_29radix_sort_onesweep_iterationIS3_Lb0EN6thrust23THRUST_200600_302600_NS6detail15normal_iteratorINS9_10device_ptrIjEEEESE_PS5_SF_jNS0_19identity_decomposerENS1_16block_id_wrapperIjLb1EEEEE10hipError_tT1_PNSt15iterator_traitsISK_E10value_typeET2_T3_PNSL_ISQ_E10value_typeET4_T5_PSV_SW_PNS1_23onesweep_lookback_stateEbbT6_jjT7_P12ihipStream_tbENKUlT_T0_SK_SP_E_clISE_SE_SF_SF_EEDaS13_S14_SK_SP_EUlS13_E_NS1_11comp_targetILNS1_3genE3ELNS1_11target_archE908ELNS1_3gpuE7ELNS1_3repE0EEENS1_47radix_sort_onesweep_sort_config_static_selectorELNS0_4arch9wavefront6targetE1EEEvSK_
; %bb.0:
	.section	.rodata,"a",@progbits
	.p2align	6, 0x0
	.amdhsa_kernel _ZN7rocprim17ROCPRIM_400000_NS6detail17trampoline_kernelINS0_14default_configENS1_35radix_sort_onesweep_config_selectorIjNS0_10empty_typeEEEZZNS1_29radix_sort_onesweep_iterationIS3_Lb0EN6thrust23THRUST_200600_302600_NS6detail15normal_iteratorINS9_10device_ptrIjEEEESE_PS5_SF_jNS0_19identity_decomposerENS1_16block_id_wrapperIjLb1EEEEE10hipError_tT1_PNSt15iterator_traitsISK_E10value_typeET2_T3_PNSL_ISQ_E10value_typeET4_T5_PSV_SW_PNS1_23onesweep_lookback_stateEbbT6_jjT7_P12ihipStream_tbENKUlT_T0_SK_SP_E_clISE_SE_SF_SF_EEDaS13_S14_SK_SP_EUlS13_E_NS1_11comp_targetILNS1_3genE3ELNS1_11target_archE908ELNS1_3gpuE7ELNS1_3repE0EEENS1_47radix_sort_onesweep_sort_config_static_selectorELNS0_4arch9wavefront6targetE1EEEvSK_
		.amdhsa_group_segment_fixed_size 0
		.amdhsa_private_segment_fixed_size 0
		.amdhsa_kernarg_size 88
		.amdhsa_user_sgpr_count 2
		.amdhsa_user_sgpr_dispatch_ptr 0
		.amdhsa_user_sgpr_queue_ptr 0
		.amdhsa_user_sgpr_kernarg_segment_ptr 1
		.amdhsa_user_sgpr_dispatch_id 0
		.amdhsa_user_sgpr_kernarg_preload_length 0
		.amdhsa_user_sgpr_kernarg_preload_offset 0
		.amdhsa_user_sgpr_private_segment_size 0
		.amdhsa_uses_dynamic_stack 0
		.amdhsa_enable_private_segment 0
		.amdhsa_system_sgpr_workgroup_id_x 1
		.amdhsa_system_sgpr_workgroup_id_y 0
		.amdhsa_system_sgpr_workgroup_id_z 0
		.amdhsa_system_sgpr_workgroup_info 0
		.amdhsa_system_vgpr_workitem_id 0
		.amdhsa_next_free_vgpr 1
		.amdhsa_next_free_sgpr 0
		.amdhsa_accum_offset 4
		.amdhsa_reserve_vcc 0
		.amdhsa_float_round_mode_32 0
		.amdhsa_float_round_mode_16_64 0
		.amdhsa_float_denorm_mode_32 3
		.amdhsa_float_denorm_mode_16_64 3
		.amdhsa_dx10_clamp 1
		.amdhsa_ieee_mode 1
		.amdhsa_fp16_overflow 0
		.amdhsa_tg_split 0
		.amdhsa_exception_fp_ieee_invalid_op 0
		.amdhsa_exception_fp_denorm_src 0
		.amdhsa_exception_fp_ieee_div_zero 0
		.amdhsa_exception_fp_ieee_overflow 0
		.amdhsa_exception_fp_ieee_underflow 0
		.amdhsa_exception_fp_ieee_inexact 0
		.amdhsa_exception_int_div_zero 0
	.end_amdhsa_kernel
	.section	.text._ZN7rocprim17ROCPRIM_400000_NS6detail17trampoline_kernelINS0_14default_configENS1_35radix_sort_onesweep_config_selectorIjNS0_10empty_typeEEEZZNS1_29radix_sort_onesweep_iterationIS3_Lb0EN6thrust23THRUST_200600_302600_NS6detail15normal_iteratorINS9_10device_ptrIjEEEESE_PS5_SF_jNS0_19identity_decomposerENS1_16block_id_wrapperIjLb1EEEEE10hipError_tT1_PNSt15iterator_traitsISK_E10value_typeET2_T3_PNSL_ISQ_E10value_typeET4_T5_PSV_SW_PNS1_23onesweep_lookback_stateEbbT6_jjT7_P12ihipStream_tbENKUlT_T0_SK_SP_E_clISE_SE_SF_SF_EEDaS13_S14_SK_SP_EUlS13_E_NS1_11comp_targetILNS1_3genE3ELNS1_11target_archE908ELNS1_3gpuE7ELNS1_3repE0EEENS1_47radix_sort_onesweep_sort_config_static_selectorELNS0_4arch9wavefront6targetE1EEEvSK_,"axG",@progbits,_ZN7rocprim17ROCPRIM_400000_NS6detail17trampoline_kernelINS0_14default_configENS1_35radix_sort_onesweep_config_selectorIjNS0_10empty_typeEEEZZNS1_29radix_sort_onesweep_iterationIS3_Lb0EN6thrust23THRUST_200600_302600_NS6detail15normal_iteratorINS9_10device_ptrIjEEEESE_PS5_SF_jNS0_19identity_decomposerENS1_16block_id_wrapperIjLb1EEEEE10hipError_tT1_PNSt15iterator_traitsISK_E10value_typeET2_T3_PNSL_ISQ_E10value_typeET4_T5_PSV_SW_PNS1_23onesweep_lookback_stateEbbT6_jjT7_P12ihipStream_tbENKUlT_T0_SK_SP_E_clISE_SE_SF_SF_EEDaS13_S14_SK_SP_EUlS13_E_NS1_11comp_targetILNS1_3genE3ELNS1_11target_archE908ELNS1_3gpuE7ELNS1_3repE0EEENS1_47radix_sort_onesweep_sort_config_static_selectorELNS0_4arch9wavefront6targetE1EEEvSK_,comdat
.Lfunc_end1106:
	.size	_ZN7rocprim17ROCPRIM_400000_NS6detail17trampoline_kernelINS0_14default_configENS1_35radix_sort_onesweep_config_selectorIjNS0_10empty_typeEEEZZNS1_29radix_sort_onesweep_iterationIS3_Lb0EN6thrust23THRUST_200600_302600_NS6detail15normal_iteratorINS9_10device_ptrIjEEEESE_PS5_SF_jNS0_19identity_decomposerENS1_16block_id_wrapperIjLb1EEEEE10hipError_tT1_PNSt15iterator_traitsISK_E10value_typeET2_T3_PNSL_ISQ_E10value_typeET4_T5_PSV_SW_PNS1_23onesweep_lookback_stateEbbT6_jjT7_P12ihipStream_tbENKUlT_T0_SK_SP_E_clISE_SE_SF_SF_EEDaS13_S14_SK_SP_EUlS13_E_NS1_11comp_targetILNS1_3genE3ELNS1_11target_archE908ELNS1_3gpuE7ELNS1_3repE0EEENS1_47radix_sort_onesweep_sort_config_static_selectorELNS0_4arch9wavefront6targetE1EEEvSK_, .Lfunc_end1106-_ZN7rocprim17ROCPRIM_400000_NS6detail17trampoline_kernelINS0_14default_configENS1_35radix_sort_onesweep_config_selectorIjNS0_10empty_typeEEEZZNS1_29radix_sort_onesweep_iterationIS3_Lb0EN6thrust23THRUST_200600_302600_NS6detail15normal_iteratorINS9_10device_ptrIjEEEESE_PS5_SF_jNS0_19identity_decomposerENS1_16block_id_wrapperIjLb1EEEEE10hipError_tT1_PNSt15iterator_traitsISK_E10value_typeET2_T3_PNSL_ISQ_E10value_typeET4_T5_PSV_SW_PNS1_23onesweep_lookback_stateEbbT6_jjT7_P12ihipStream_tbENKUlT_T0_SK_SP_E_clISE_SE_SF_SF_EEDaS13_S14_SK_SP_EUlS13_E_NS1_11comp_targetILNS1_3genE3ELNS1_11target_archE908ELNS1_3gpuE7ELNS1_3repE0EEENS1_47radix_sort_onesweep_sort_config_static_selectorELNS0_4arch9wavefront6targetE1EEEvSK_
                                        ; -- End function
	.section	.AMDGPU.csdata,"",@progbits
; Kernel info:
; codeLenInByte = 0
; NumSgprs: 6
; NumVgprs: 0
; NumAgprs: 0
; TotalNumVgprs: 0
; ScratchSize: 0
; MemoryBound: 0
; FloatMode: 240
; IeeeMode: 1
; LDSByteSize: 0 bytes/workgroup (compile time only)
; SGPRBlocks: 0
; VGPRBlocks: 0
; NumSGPRsForWavesPerEU: 6
; NumVGPRsForWavesPerEU: 1
; AccumOffset: 4
; Occupancy: 8
; WaveLimiterHint : 0
; COMPUTE_PGM_RSRC2:SCRATCH_EN: 0
; COMPUTE_PGM_RSRC2:USER_SGPR: 2
; COMPUTE_PGM_RSRC2:TRAP_HANDLER: 0
; COMPUTE_PGM_RSRC2:TGID_X_EN: 1
; COMPUTE_PGM_RSRC2:TGID_Y_EN: 0
; COMPUTE_PGM_RSRC2:TGID_Z_EN: 0
; COMPUTE_PGM_RSRC2:TIDIG_COMP_CNT: 0
; COMPUTE_PGM_RSRC3_GFX90A:ACCUM_OFFSET: 0
; COMPUTE_PGM_RSRC3_GFX90A:TG_SPLIT: 0
	.section	.text._ZN7rocprim17ROCPRIM_400000_NS6detail17trampoline_kernelINS0_14default_configENS1_35radix_sort_onesweep_config_selectorIjNS0_10empty_typeEEEZZNS1_29radix_sort_onesweep_iterationIS3_Lb0EN6thrust23THRUST_200600_302600_NS6detail15normal_iteratorINS9_10device_ptrIjEEEESE_PS5_SF_jNS0_19identity_decomposerENS1_16block_id_wrapperIjLb1EEEEE10hipError_tT1_PNSt15iterator_traitsISK_E10value_typeET2_T3_PNSL_ISQ_E10value_typeET4_T5_PSV_SW_PNS1_23onesweep_lookback_stateEbbT6_jjT7_P12ihipStream_tbENKUlT_T0_SK_SP_E_clISE_SE_SF_SF_EEDaS13_S14_SK_SP_EUlS13_E_NS1_11comp_targetILNS1_3genE10ELNS1_11target_archE1201ELNS1_3gpuE5ELNS1_3repE0EEENS1_47radix_sort_onesweep_sort_config_static_selectorELNS0_4arch9wavefront6targetE1EEEvSK_,"axG",@progbits,_ZN7rocprim17ROCPRIM_400000_NS6detail17trampoline_kernelINS0_14default_configENS1_35radix_sort_onesweep_config_selectorIjNS0_10empty_typeEEEZZNS1_29radix_sort_onesweep_iterationIS3_Lb0EN6thrust23THRUST_200600_302600_NS6detail15normal_iteratorINS9_10device_ptrIjEEEESE_PS5_SF_jNS0_19identity_decomposerENS1_16block_id_wrapperIjLb1EEEEE10hipError_tT1_PNSt15iterator_traitsISK_E10value_typeET2_T3_PNSL_ISQ_E10value_typeET4_T5_PSV_SW_PNS1_23onesweep_lookback_stateEbbT6_jjT7_P12ihipStream_tbENKUlT_T0_SK_SP_E_clISE_SE_SF_SF_EEDaS13_S14_SK_SP_EUlS13_E_NS1_11comp_targetILNS1_3genE10ELNS1_11target_archE1201ELNS1_3gpuE5ELNS1_3repE0EEENS1_47radix_sort_onesweep_sort_config_static_selectorELNS0_4arch9wavefront6targetE1EEEvSK_,comdat
	.protected	_ZN7rocprim17ROCPRIM_400000_NS6detail17trampoline_kernelINS0_14default_configENS1_35radix_sort_onesweep_config_selectorIjNS0_10empty_typeEEEZZNS1_29radix_sort_onesweep_iterationIS3_Lb0EN6thrust23THRUST_200600_302600_NS6detail15normal_iteratorINS9_10device_ptrIjEEEESE_PS5_SF_jNS0_19identity_decomposerENS1_16block_id_wrapperIjLb1EEEEE10hipError_tT1_PNSt15iterator_traitsISK_E10value_typeET2_T3_PNSL_ISQ_E10value_typeET4_T5_PSV_SW_PNS1_23onesweep_lookback_stateEbbT6_jjT7_P12ihipStream_tbENKUlT_T0_SK_SP_E_clISE_SE_SF_SF_EEDaS13_S14_SK_SP_EUlS13_E_NS1_11comp_targetILNS1_3genE10ELNS1_11target_archE1201ELNS1_3gpuE5ELNS1_3repE0EEENS1_47radix_sort_onesweep_sort_config_static_selectorELNS0_4arch9wavefront6targetE1EEEvSK_ ; -- Begin function _ZN7rocprim17ROCPRIM_400000_NS6detail17trampoline_kernelINS0_14default_configENS1_35radix_sort_onesweep_config_selectorIjNS0_10empty_typeEEEZZNS1_29radix_sort_onesweep_iterationIS3_Lb0EN6thrust23THRUST_200600_302600_NS6detail15normal_iteratorINS9_10device_ptrIjEEEESE_PS5_SF_jNS0_19identity_decomposerENS1_16block_id_wrapperIjLb1EEEEE10hipError_tT1_PNSt15iterator_traitsISK_E10value_typeET2_T3_PNSL_ISQ_E10value_typeET4_T5_PSV_SW_PNS1_23onesweep_lookback_stateEbbT6_jjT7_P12ihipStream_tbENKUlT_T0_SK_SP_E_clISE_SE_SF_SF_EEDaS13_S14_SK_SP_EUlS13_E_NS1_11comp_targetILNS1_3genE10ELNS1_11target_archE1201ELNS1_3gpuE5ELNS1_3repE0EEENS1_47radix_sort_onesweep_sort_config_static_selectorELNS0_4arch9wavefront6targetE1EEEvSK_
	.globl	_ZN7rocprim17ROCPRIM_400000_NS6detail17trampoline_kernelINS0_14default_configENS1_35radix_sort_onesweep_config_selectorIjNS0_10empty_typeEEEZZNS1_29radix_sort_onesweep_iterationIS3_Lb0EN6thrust23THRUST_200600_302600_NS6detail15normal_iteratorINS9_10device_ptrIjEEEESE_PS5_SF_jNS0_19identity_decomposerENS1_16block_id_wrapperIjLb1EEEEE10hipError_tT1_PNSt15iterator_traitsISK_E10value_typeET2_T3_PNSL_ISQ_E10value_typeET4_T5_PSV_SW_PNS1_23onesweep_lookback_stateEbbT6_jjT7_P12ihipStream_tbENKUlT_T0_SK_SP_E_clISE_SE_SF_SF_EEDaS13_S14_SK_SP_EUlS13_E_NS1_11comp_targetILNS1_3genE10ELNS1_11target_archE1201ELNS1_3gpuE5ELNS1_3repE0EEENS1_47radix_sort_onesweep_sort_config_static_selectorELNS0_4arch9wavefront6targetE1EEEvSK_
	.p2align	8
	.type	_ZN7rocprim17ROCPRIM_400000_NS6detail17trampoline_kernelINS0_14default_configENS1_35radix_sort_onesweep_config_selectorIjNS0_10empty_typeEEEZZNS1_29radix_sort_onesweep_iterationIS3_Lb0EN6thrust23THRUST_200600_302600_NS6detail15normal_iteratorINS9_10device_ptrIjEEEESE_PS5_SF_jNS0_19identity_decomposerENS1_16block_id_wrapperIjLb1EEEEE10hipError_tT1_PNSt15iterator_traitsISK_E10value_typeET2_T3_PNSL_ISQ_E10value_typeET4_T5_PSV_SW_PNS1_23onesweep_lookback_stateEbbT6_jjT7_P12ihipStream_tbENKUlT_T0_SK_SP_E_clISE_SE_SF_SF_EEDaS13_S14_SK_SP_EUlS13_E_NS1_11comp_targetILNS1_3genE10ELNS1_11target_archE1201ELNS1_3gpuE5ELNS1_3repE0EEENS1_47radix_sort_onesweep_sort_config_static_selectorELNS0_4arch9wavefront6targetE1EEEvSK_,@function
_ZN7rocprim17ROCPRIM_400000_NS6detail17trampoline_kernelINS0_14default_configENS1_35radix_sort_onesweep_config_selectorIjNS0_10empty_typeEEEZZNS1_29radix_sort_onesweep_iterationIS3_Lb0EN6thrust23THRUST_200600_302600_NS6detail15normal_iteratorINS9_10device_ptrIjEEEESE_PS5_SF_jNS0_19identity_decomposerENS1_16block_id_wrapperIjLb1EEEEE10hipError_tT1_PNSt15iterator_traitsISK_E10value_typeET2_T3_PNSL_ISQ_E10value_typeET4_T5_PSV_SW_PNS1_23onesweep_lookback_stateEbbT6_jjT7_P12ihipStream_tbENKUlT_T0_SK_SP_E_clISE_SE_SF_SF_EEDaS13_S14_SK_SP_EUlS13_E_NS1_11comp_targetILNS1_3genE10ELNS1_11target_archE1201ELNS1_3gpuE5ELNS1_3repE0EEENS1_47radix_sort_onesweep_sort_config_static_selectorELNS0_4arch9wavefront6targetE1EEEvSK_: ; @_ZN7rocprim17ROCPRIM_400000_NS6detail17trampoline_kernelINS0_14default_configENS1_35radix_sort_onesweep_config_selectorIjNS0_10empty_typeEEEZZNS1_29radix_sort_onesweep_iterationIS3_Lb0EN6thrust23THRUST_200600_302600_NS6detail15normal_iteratorINS9_10device_ptrIjEEEESE_PS5_SF_jNS0_19identity_decomposerENS1_16block_id_wrapperIjLb1EEEEE10hipError_tT1_PNSt15iterator_traitsISK_E10value_typeET2_T3_PNSL_ISQ_E10value_typeET4_T5_PSV_SW_PNS1_23onesweep_lookback_stateEbbT6_jjT7_P12ihipStream_tbENKUlT_T0_SK_SP_E_clISE_SE_SF_SF_EEDaS13_S14_SK_SP_EUlS13_E_NS1_11comp_targetILNS1_3genE10ELNS1_11target_archE1201ELNS1_3gpuE5ELNS1_3repE0EEENS1_47radix_sort_onesweep_sort_config_static_selectorELNS0_4arch9wavefront6targetE1EEEvSK_
; %bb.0:
	.section	.rodata,"a",@progbits
	.p2align	6, 0x0
	.amdhsa_kernel _ZN7rocprim17ROCPRIM_400000_NS6detail17trampoline_kernelINS0_14default_configENS1_35radix_sort_onesweep_config_selectorIjNS0_10empty_typeEEEZZNS1_29radix_sort_onesweep_iterationIS3_Lb0EN6thrust23THRUST_200600_302600_NS6detail15normal_iteratorINS9_10device_ptrIjEEEESE_PS5_SF_jNS0_19identity_decomposerENS1_16block_id_wrapperIjLb1EEEEE10hipError_tT1_PNSt15iterator_traitsISK_E10value_typeET2_T3_PNSL_ISQ_E10value_typeET4_T5_PSV_SW_PNS1_23onesweep_lookback_stateEbbT6_jjT7_P12ihipStream_tbENKUlT_T0_SK_SP_E_clISE_SE_SF_SF_EEDaS13_S14_SK_SP_EUlS13_E_NS1_11comp_targetILNS1_3genE10ELNS1_11target_archE1201ELNS1_3gpuE5ELNS1_3repE0EEENS1_47radix_sort_onesweep_sort_config_static_selectorELNS0_4arch9wavefront6targetE1EEEvSK_
		.amdhsa_group_segment_fixed_size 0
		.amdhsa_private_segment_fixed_size 0
		.amdhsa_kernarg_size 88
		.amdhsa_user_sgpr_count 2
		.amdhsa_user_sgpr_dispatch_ptr 0
		.amdhsa_user_sgpr_queue_ptr 0
		.amdhsa_user_sgpr_kernarg_segment_ptr 1
		.amdhsa_user_sgpr_dispatch_id 0
		.amdhsa_user_sgpr_kernarg_preload_length 0
		.amdhsa_user_sgpr_kernarg_preload_offset 0
		.amdhsa_user_sgpr_private_segment_size 0
		.amdhsa_uses_dynamic_stack 0
		.amdhsa_enable_private_segment 0
		.amdhsa_system_sgpr_workgroup_id_x 1
		.amdhsa_system_sgpr_workgroup_id_y 0
		.amdhsa_system_sgpr_workgroup_id_z 0
		.amdhsa_system_sgpr_workgroup_info 0
		.amdhsa_system_vgpr_workitem_id 0
		.amdhsa_next_free_vgpr 1
		.amdhsa_next_free_sgpr 0
		.amdhsa_accum_offset 4
		.amdhsa_reserve_vcc 0
		.amdhsa_float_round_mode_32 0
		.amdhsa_float_round_mode_16_64 0
		.amdhsa_float_denorm_mode_32 3
		.amdhsa_float_denorm_mode_16_64 3
		.amdhsa_dx10_clamp 1
		.amdhsa_ieee_mode 1
		.amdhsa_fp16_overflow 0
		.amdhsa_tg_split 0
		.amdhsa_exception_fp_ieee_invalid_op 0
		.amdhsa_exception_fp_denorm_src 0
		.amdhsa_exception_fp_ieee_div_zero 0
		.amdhsa_exception_fp_ieee_overflow 0
		.amdhsa_exception_fp_ieee_underflow 0
		.amdhsa_exception_fp_ieee_inexact 0
		.amdhsa_exception_int_div_zero 0
	.end_amdhsa_kernel
	.section	.text._ZN7rocprim17ROCPRIM_400000_NS6detail17trampoline_kernelINS0_14default_configENS1_35radix_sort_onesweep_config_selectorIjNS0_10empty_typeEEEZZNS1_29radix_sort_onesweep_iterationIS3_Lb0EN6thrust23THRUST_200600_302600_NS6detail15normal_iteratorINS9_10device_ptrIjEEEESE_PS5_SF_jNS0_19identity_decomposerENS1_16block_id_wrapperIjLb1EEEEE10hipError_tT1_PNSt15iterator_traitsISK_E10value_typeET2_T3_PNSL_ISQ_E10value_typeET4_T5_PSV_SW_PNS1_23onesweep_lookback_stateEbbT6_jjT7_P12ihipStream_tbENKUlT_T0_SK_SP_E_clISE_SE_SF_SF_EEDaS13_S14_SK_SP_EUlS13_E_NS1_11comp_targetILNS1_3genE10ELNS1_11target_archE1201ELNS1_3gpuE5ELNS1_3repE0EEENS1_47radix_sort_onesweep_sort_config_static_selectorELNS0_4arch9wavefront6targetE1EEEvSK_,"axG",@progbits,_ZN7rocprim17ROCPRIM_400000_NS6detail17trampoline_kernelINS0_14default_configENS1_35radix_sort_onesweep_config_selectorIjNS0_10empty_typeEEEZZNS1_29radix_sort_onesweep_iterationIS3_Lb0EN6thrust23THRUST_200600_302600_NS6detail15normal_iteratorINS9_10device_ptrIjEEEESE_PS5_SF_jNS0_19identity_decomposerENS1_16block_id_wrapperIjLb1EEEEE10hipError_tT1_PNSt15iterator_traitsISK_E10value_typeET2_T3_PNSL_ISQ_E10value_typeET4_T5_PSV_SW_PNS1_23onesweep_lookback_stateEbbT6_jjT7_P12ihipStream_tbENKUlT_T0_SK_SP_E_clISE_SE_SF_SF_EEDaS13_S14_SK_SP_EUlS13_E_NS1_11comp_targetILNS1_3genE10ELNS1_11target_archE1201ELNS1_3gpuE5ELNS1_3repE0EEENS1_47radix_sort_onesweep_sort_config_static_selectorELNS0_4arch9wavefront6targetE1EEEvSK_,comdat
.Lfunc_end1107:
	.size	_ZN7rocprim17ROCPRIM_400000_NS6detail17trampoline_kernelINS0_14default_configENS1_35radix_sort_onesweep_config_selectorIjNS0_10empty_typeEEEZZNS1_29radix_sort_onesweep_iterationIS3_Lb0EN6thrust23THRUST_200600_302600_NS6detail15normal_iteratorINS9_10device_ptrIjEEEESE_PS5_SF_jNS0_19identity_decomposerENS1_16block_id_wrapperIjLb1EEEEE10hipError_tT1_PNSt15iterator_traitsISK_E10value_typeET2_T3_PNSL_ISQ_E10value_typeET4_T5_PSV_SW_PNS1_23onesweep_lookback_stateEbbT6_jjT7_P12ihipStream_tbENKUlT_T0_SK_SP_E_clISE_SE_SF_SF_EEDaS13_S14_SK_SP_EUlS13_E_NS1_11comp_targetILNS1_3genE10ELNS1_11target_archE1201ELNS1_3gpuE5ELNS1_3repE0EEENS1_47radix_sort_onesweep_sort_config_static_selectorELNS0_4arch9wavefront6targetE1EEEvSK_, .Lfunc_end1107-_ZN7rocprim17ROCPRIM_400000_NS6detail17trampoline_kernelINS0_14default_configENS1_35radix_sort_onesweep_config_selectorIjNS0_10empty_typeEEEZZNS1_29radix_sort_onesweep_iterationIS3_Lb0EN6thrust23THRUST_200600_302600_NS6detail15normal_iteratorINS9_10device_ptrIjEEEESE_PS5_SF_jNS0_19identity_decomposerENS1_16block_id_wrapperIjLb1EEEEE10hipError_tT1_PNSt15iterator_traitsISK_E10value_typeET2_T3_PNSL_ISQ_E10value_typeET4_T5_PSV_SW_PNS1_23onesweep_lookback_stateEbbT6_jjT7_P12ihipStream_tbENKUlT_T0_SK_SP_E_clISE_SE_SF_SF_EEDaS13_S14_SK_SP_EUlS13_E_NS1_11comp_targetILNS1_3genE10ELNS1_11target_archE1201ELNS1_3gpuE5ELNS1_3repE0EEENS1_47radix_sort_onesweep_sort_config_static_selectorELNS0_4arch9wavefront6targetE1EEEvSK_
                                        ; -- End function
	.section	.AMDGPU.csdata,"",@progbits
; Kernel info:
; codeLenInByte = 0
; NumSgprs: 6
; NumVgprs: 0
; NumAgprs: 0
; TotalNumVgprs: 0
; ScratchSize: 0
; MemoryBound: 0
; FloatMode: 240
; IeeeMode: 1
; LDSByteSize: 0 bytes/workgroup (compile time only)
; SGPRBlocks: 0
; VGPRBlocks: 0
; NumSGPRsForWavesPerEU: 6
; NumVGPRsForWavesPerEU: 1
; AccumOffset: 4
; Occupancy: 8
; WaveLimiterHint : 0
; COMPUTE_PGM_RSRC2:SCRATCH_EN: 0
; COMPUTE_PGM_RSRC2:USER_SGPR: 2
; COMPUTE_PGM_RSRC2:TRAP_HANDLER: 0
; COMPUTE_PGM_RSRC2:TGID_X_EN: 1
; COMPUTE_PGM_RSRC2:TGID_Y_EN: 0
; COMPUTE_PGM_RSRC2:TGID_Z_EN: 0
; COMPUTE_PGM_RSRC2:TIDIG_COMP_CNT: 0
; COMPUTE_PGM_RSRC3_GFX90A:ACCUM_OFFSET: 0
; COMPUTE_PGM_RSRC3_GFX90A:TG_SPLIT: 0
	.section	.text._ZN7rocprim17ROCPRIM_400000_NS6detail17trampoline_kernelINS0_14default_configENS1_35radix_sort_onesweep_config_selectorIjNS0_10empty_typeEEEZZNS1_29radix_sort_onesweep_iterationIS3_Lb0EN6thrust23THRUST_200600_302600_NS6detail15normal_iteratorINS9_10device_ptrIjEEEESE_PS5_SF_jNS0_19identity_decomposerENS1_16block_id_wrapperIjLb1EEEEE10hipError_tT1_PNSt15iterator_traitsISK_E10value_typeET2_T3_PNSL_ISQ_E10value_typeET4_T5_PSV_SW_PNS1_23onesweep_lookback_stateEbbT6_jjT7_P12ihipStream_tbENKUlT_T0_SK_SP_E_clISE_SE_SF_SF_EEDaS13_S14_SK_SP_EUlS13_E_NS1_11comp_targetILNS1_3genE9ELNS1_11target_archE1100ELNS1_3gpuE3ELNS1_3repE0EEENS1_47radix_sort_onesweep_sort_config_static_selectorELNS0_4arch9wavefront6targetE1EEEvSK_,"axG",@progbits,_ZN7rocprim17ROCPRIM_400000_NS6detail17trampoline_kernelINS0_14default_configENS1_35radix_sort_onesweep_config_selectorIjNS0_10empty_typeEEEZZNS1_29radix_sort_onesweep_iterationIS3_Lb0EN6thrust23THRUST_200600_302600_NS6detail15normal_iteratorINS9_10device_ptrIjEEEESE_PS5_SF_jNS0_19identity_decomposerENS1_16block_id_wrapperIjLb1EEEEE10hipError_tT1_PNSt15iterator_traitsISK_E10value_typeET2_T3_PNSL_ISQ_E10value_typeET4_T5_PSV_SW_PNS1_23onesweep_lookback_stateEbbT6_jjT7_P12ihipStream_tbENKUlT_T0_SK_SP_E_clISE_SE_SF_SF_EEDaS13_S14_SK_SP_EUlS13_E_NS1_11comp_targetILNS1_3genE9ELNS1_11target_archE1100ELNS1_3gpuE3ELNS1_3repE0EEENS1_47radix_sort_onesweep_sort_config_static_selectorELNS0_4arch9wavefront6targetE1EEEvSK_,comdat
	.protected	_ZN7rocprim17ROCPRIM_400000_NS6detail17trampoline_kernelINS0_14default_configENS1_35radix_sort_onesweep_config_selectorIjNS0_10empty_typeEEEZZNS1_29radix_sort_onesweep_iterationIS3_Lb0EN6thrust23THRUST_200600_302600_NS6detail15normal_iteratorINS9_10device_ptrIjEEEESE_PS5_SF_jNS0_19identity_decomposerENS1_16block_id_wrapperIjLb1EEEEE10hipError_tT1_PNSt15iterator_traitsISK_E10value_typeET2_T3_PNSL_ISQ_E10value_typeET4_T5_PSV_SW_PNS1_23onesweep_lookback_stateEbbT6_jjT7_P12ihipStream_tbENKUlT_T0_SK_SP_E_clISE_SE_SF_SF_EEDaS13_S14_SK_SP_EUlS13_E_NS1_11comp_targetILNS1_3genE9ELNS1_11target_archE1100ELNS1_3gpuE3ELNS1_3repE0EEENS1_47radix_sort_onesweep_sort_config_static_selectorELNS0_4arch9wavefront6targetE1EEEvSK_ ; -- Begin function _ZN7rocprim17ROCPRIM_400000_NS6detail17trampoline_kernelINS0_14default_configENS1_35radix_sort_onesweep_config_selectorIjNS0_10empty_typeEEEZZNS1_29radix_sort_onesweep_iterationIS3_Lb0EN6thrust23THRUST_200600_302600_NS6detail15normal_iteratorINS9_10device_ptrIjEEEESE_PS5_SF_jNS0_19identity_decomposerENS1_16block_id_wrapperIjLb1EEEEE10hipError_tT1_PNSt15iterator_traitsISK_E10value_typeET2_T3_PNSL_ISQ_E10value_typeET4_T5_PSV_SW_PNS1_23onesweep_lookback_stateEbbT6_jjT7_P12ihipStream_tbENKUlT_T0_SK_SP_E_clISE_SE_SF_SF_EEDaS13_S14_SK_SP_EUlS13_E_NS1_11comp_targetILNS1_3genE9ELNS1_11target_archE1100ELNS1_3gpuE3ELNS1_3repE0EEENS1_47radix_sort_onesweep_sort_config_static_selectorELNS0_4arch9wavefront6targetE1EEEvSK_
	.globl	_ZN7rocprim17ROCPRIM_400000_NS6detail17trampoline_kernelINS0_14default_configENS1_35radix_sort_onesweep_config_selectorIjNS0_10empty_typeEEEZZNS1_29radix_sort_onesweep_iterationIS3_Lb0EN6thrust23THRUST_200600_302600_NS6detail15normal_iteratorINS9_10device_ptrIjEEEESE_PS5_SF_jNS0_19identity_decomposerENS1_16block_id_wrapperIjLb1EEEEE10hipError_tT1_PNSt15iterator_traitsISK_E10value_typeET2_T3_PNSL_ISQ_E10value_typeET4_T5_PSV_SW_PNS1_23onesweep_lookback_stateEbbT6_jjT7_P12ihipStream_tbENKUlT_T0_SK_SP_E_clISE_SE_SF_SF_EEDaS13_S14_SK_SP_EUlS13_E_NS1_11comp_targetILNS1_3genE9ELNS1_11target_archE1100ELNS1_3gpuE3ELNS1_3repE0EEENS1_47radix_sort_onesweep_sort_config_static_selectorELNS0_4arch9wavefront6targetE1EEEvSK_
	.p2align	8
	.type	_ZN7rocprim17ROCPRIM_400000_NS6detail17trampoline_kernelINS0_14default_configENS1_35radix_sort_onesweep_config_selectorIjNS0_10empty_typeEEEZZNS1_29radix_sort_onesweep_iterationIS3_Lb0EN6thrust23THRUST_200600_302600_NS6detail15normal_iteratorINS9_10device_ptrIjEEEESE_PS5_SF_jNS0_19identity_decomposerENS1_16block_id_wrapperIjLb1EEEEE10hipError_tT1_PNSt15iterator_traitsISK_E10value_typeET2_T3_PNSL_ISQ_E10value_typeET4_T5_PSV_SW_PNS1_23onesweep_lookback_stateEbbT6_jjT7_P12ihipStream_tbENKUlT_T0_SK_SP_E_clISE_SE_SF_SF_EEDaS13_S14_SK_SP_EUlS13_E_NS1_11comp_targetILNS1_3genE9ELNS1_11target_archE1100ELNS1_3gpuE3ELNS1_3repE0EEENS1_47radix_sort_onesweep_sort_config_static_selectorELNS0_4arch9wavefront6targetE1EEEvSK_,@function
_ZN7rocprim17ROCPRIM_400000_NS6detail17trampoline_kernelINS0_14default_configENS1_35radix_sort_onesweep_config_selectorIjNS0_10empty_typeEEEZZNS1_29radix_sort_onesweep_iterationIS3_Lb0EN6thrust23THRUST_200600_302600_NS6detail15normal_iteratorINS9_10device_ptrIjEEEESE_PS5_SF_jNS0_19identity_decomposerENS1_16block_id_wrapperIjLb1EEEEE10hipError_tT1_PNSt15iterator_traitsISK_E10value_typeET2_T3_PNSL_ISQ_E10value_typeET4_T5_PSV_SW_PNS1_23onesweep_lookback_stateEbbT6_jjT7_P12ihipStream_tbENKUlT_T0_SK_SP_E_clISE_SE_SF_SF_EEDaS13_S14_SK_SP_EUlS13_E_NS1_11comp_targetILNS1_3genE9ELNS1_11target_archE1100ELNS1_3gpuE3ELNS1_3repE0EEENS1_47radix_sort_onesweep_sort_config_static_selectorELNS0_4arch9wavefront6targetE1EEEvSK_: ; @_ZN7rocprim17ROCPRIM_400000_NS6detail17trampoline_kernelINS0_14default_configENS1_35radix_sort_onesweep_config_selectorIjNS0_10empty_typeEEEZZNS1_29radix_sort_onesweep_iterationIS3_Lb0EN6thrust23THRUST_200600_302600_NS6detail15normal_iteratorINS9_10device_ptrIjEEEESE_PS5_SF_jNS0_19identity_decomposerENS1_16block_id_wrapperIjLb1EEEEE10hipError_tT1_PNSt15iterator_traitsISK_E10value_typeET2_T3_PNSL_ISQ_E10value_typeET4_T5_PSV_SW_PNS1_23onesweep_lookback_stateEbbT6_jjT7_P12ihipStream_tbENKUlT_T0_SK_SP_E_clISE_SE_SF_SF_EEDaS13_S14_SK_SP_EUlS13_E_NS1_11comp_targetILNS1_3genE9ELNS1_11target_archE1100ELNS1_3gpuE3ELNS1_3repE0EEENS1_47radix_sort_onesweep_sort_config_static_selectorELNS0_4arch9wavefront6targetE1EEEvSK_
; %bb.0:
	.section	.rodata,"a",@progbits
	.p2align	6, 0x0
	.amdhsa_kernel _ZN7rocprim17ROCPRIM_400000_NS6detail17trampoline_kernelINS0_14default_configENS1_35radix_sort_onesweep_config_selectorIjNS0_10empty_typeEEEZZNS1_29radix_sort_onesweep_iterationIS3_Lb0EN6thrust23THRUST_200600_302600_NS6detail15normal_iteratorINS9_10device_ptrIjEEEESE_PS5_SF_jNS0_19identity_decomposerENS1_16block_id_wrapperIjLb1EEEEE10hipError_tT1_PNSt15iterator_traitsISK_E10value_typeET2_T3_PNSL_ISQ_E10value_typeET4_T5_PSV_SW_PNS1_23onesweep_lookback_stateEbbT6_jjT7_P12ihipStream_tbENKUlT_T0_SK_SP_E_clISE_SE_SF_SF_EEDaS13_S14_SK_SP_EUlS13_E_NS1_11comp_targetILNS1_3genE9ELNS1_11target_archE1100ELNS1_3gpuE3ELNS1_3repE0EEENS1_47radix_sort_onesweep_sort_config_static_selectorELNS0_4arch9wavefront6targetE1EEEvSK_
		.amdhsa_group_segment_fixed_size 0
		.amdhsa_private_segment_fixed_size 0
		.amdhsa_kernarg_size 88
		.amdhsa_user_sgpr_count 2
		.amdhsa_user_sgpr_dispatch_ptr 0
		.amdhsa_user_sgpr_queue_ptr 0
		.amdhsa_user_sgpr_kernarg_segment_ptr 1
		.amdhsa_user_sgpr_dispatch_id 0
		.amdhsa_user_sgpr_kernarg_preload_length 0
		.amdhsa_user_sgpr_kernarg_preload_offset 0
		.amdhsa_user_sgpr_private_segment_size 0
		.amdhsa_uses_dynamic_stack 0
		.amdhsa_enable_private_segment 0
		.amdhsa_system_sgpr_workgroup_id_x 1
		.amdhsa_system_sgpr_workgroup_id_y 0
		.amdhsa_system_sgpr_workgroup_id_z 0
		.amdhsa_system_sgpr_workgroup_info 0
		.amdhsa_system_vgpr_workitem_id 0
		.amdhsa_next_free_vgpr 1
		.amdhsa_next_free_sgpr 0
		.amdhsa_accum_offset 4
		.amdhsa_reserve_vcc 0
		.amdhsa_float_round_mode_32 0
		.amdhsa_float_round_mode_16_64 0
		.amdhsa_float_denorm_mode_32 3
		.amdhsa_float_denorm_mode_16_64 3
		.amdhsa_dx10_clamp 1
		.amdhsa_ieee_mode 1
		.amdhsa_fp16_overflow 0
		.amdhsa_tg_split 0
		.amdhsa_exception_fp_ieee_invalid_op 0
		.amdhsa_exception_fp_denorm_src 0
		.amdhsa_exception_fp_ieee_div_zero 0
		.amdhsa_exception_fp_ieee_overflow 0
		.amdhsa_exception_fp_ieee_underflow 0
		.amdhsa_exception_fp_ieee_inexact 0
		.amdhsa_exception_int_div_zero 0
	.end_amdhsa_kernel
	.section	.text._ZN7rocprim17ROCPRIM_400000_NS6detail17trampoline_kernelINS0_14default_configENS1_35radix_sort_onesweep_config_selectorIjNS0_10empty_typeEEEZZNS1_29radix_sort_onesweep_iterationIS3_Lb0EN6thrust23THRUST_200600_302600_NS6detail15normal_iteratorINS9_10device_ptrIjEEEESE_PS5_SF_jNS0_19identity_decomposerENS1_16block_id_wrapperIjLb1EEEEE10hipError_tT1_PNSt15iterator_traitsISK_E10value_typeET2_T3_PNSL_ISQ_E10value_typeET4_T5_PSV_SW_PNS1_23onesweep_lookback_stateEbbT6_jjT7_P12ihipStream_tbENKUlT_T0_SK_SP_E_clISE_SE_SF_SF_EEDaS13_S14_SK_SP_EUlS13_E_NS1_11comp_targetILNS1_3genE9ELNS1_11target_archE1100ELNS1_3gpuE3ELNS1_3repE0EEENS1_47radix_sort_onesweep_sort_config_static_selectorELNS0_4arch9wavefront6targetE1EEEvSK_,"axG",@progbits,_ZN7rocprim17ROCPRIM_400000_NS6detail17trampoline_kernelINS0_14default_configENS1_35radix_sort_onesweep_config_selectorIjNS0_10empty_typeEEEZZNS1_29radix_sort_onesweep_iterationIS3_Lb0EN6thrust23THRUST_200600_302600_NS6detail15normal_iteratorINS9_10device_ptrIjEEEESE_PS5_SF_jNS0_19identity_decomposerENS1_16block_id_wrapperIjLb1EEEEE10hipError_tT1_PNSt15iterator_traitsISK_E10value_typeET2_T3_PNSL_ISQ_E10value_typeET4_T5_PSV_SW_PNS1_23onesweep_lookback_stateEbbT6_jjT7_P12ihipStream_tbENKUlT_T0_SK_SP_E_clISE_SE_SF_SF_EEDaS13_S14_SK_SP_EUlS13_E_NS1_11comp_targetILNS1_3genE9ELNS1_11target_archE1100ELNS1_3gpuE3ELNS1_3repE0EEENS1_47radix_sort_onesweep_sort_config_static_selectorELNS0_4arch9wavefront6targetE1EEEvSK_,comdat
.Lfunc_end1108:
	.size	_ZN7rocprim17ROCPRIM_400000_NS6detail17trampoline_kernelINS0_14default_configENS1_35radix_sort_onesweep_config_selectorIjNS0_10empty_typeEEEZZNS1_29radix_sort_onesweep_iterationIS3_Lb0EN6thrust23THRUST_200600_302600_NS6detail15normal_iteratorINS9_10device_ptrIjEEEESE_PS5_SF_jNS0_19identity_decomposerENS1_16block_id_wrapperIjLb1EEEEE10hipError_tT1_PNSt15iterator_traitsISK_E10value_typeET2_T3_PNSL_ISQ_E10value_typeET4_T5_PSV_SW_PNS1_23onesweep_lookback_stateEbbT6_jjT7_P12ihipStream_tbENKUlT_T0_SK_SP_E_clISE_SE_SF_SF_EEDaS13_S14_SK_SP_EUlS13_E_NS1_11comp_targetILNS1_3genE9ELNS1_11target_archE1100ELNS1_3gpuE3ELNS1_3repE0EEENS1_47radix_sort_onesweep_sort_config_static_selectorELNS0_4arch9wavefront6targetE1EEEvSK_, .Lfunc_end1108-_ZN7rocprim17ROCPRIM_400000_NS6detail17trampoline_kernelINS0_14default_configENS1_35radix_sort_onesweep_config_selectorIjNS0_10empty_typeEEEZZNS1_29radix_sort_onesweep_iterationIS3_Lb0EN6thrust23THRUST_200600_302600_NS6detail15normal_iteratorINS9_10device_ptrIjEEEESE_PS5_SF_jNS0_19identity_decomposerENS1_16block_id_wrapperIjLb1EEEEE10hipError_tT1_PNSt15iterator_traitsISK_E10value_typeET2_T3_PNSL_ISQ_E10value_typeET4_T5_PSV_SW_PNS1_23onesweep_lookback_stateEbbT6_jjT7_P12ihipStream_tbENKUlT_T0_SK_SP_E_clISE_SE_SF_SF_EEDaS13_S14_SK_SP_EUlS13_E_NS1_11comp_targetILNS1_3genE9ELNS1_11target_archE1100ELNS1_3gpuE3ELNS1_3repE0EEENS1_47radix_sort_onesweep_sort_config_static_selectorELNS0_4arch9wavefront6targetE1EEEvSK_
                                        ; -- End function
	.section	.AMDGPU.csdata,"",@progbits
; Kernel info:
; codeLenInByte = 0
; NumSgprs: 6
; NumVgprs: 0
; NumAgprs: 0
; TotalNumVgprs: 0
; ScratchSize: 0
; MemoryBound: 0
; FloatMode: 240
; IeeeMode: 1
; LDSByteSize: 0 bytes/workgroup (compile time only)
; SGPRBlocks: 0
; VGPRBlocks: 0
; NumSGPRsForWavesPerEU: 6
; NumVGPRsForWavesPerEU: 1
; AccumOffset: 4
; Occupancy: 8
; WaveLimiterHint : 0
; COMPUTE_PGM_RSRC2:SCRATCH_EN: 0
; COMPUTE_PGM_RSRC2:USER_SGPR: 2
; COMPUTE_PGM_RSRC2:TRAP_HANDLER: 0
; COMPUTE_PGM_RSRC2:TGID_X_EN: 1
; COMPUTE_PGM_RSRC2:TGID_Y_EN: 0
; COMPUTE_PGM_RSRC2:TGID_Z_EN: 0
; COMPUTE_PGM_RSRC2:TIDIG_COMP_CNT: 0
; COMPUTE_PGM_RSRC3_GFX90A:ACCUM_OFFSET: 0
; COMPUTE_PGM_RSRC3_GFX90A:TG_SPLIT: 0
	.section	.text._ZN7rocprim17ROCPRIM_400000_NS6detail17trampoline_kernelINS0_14default_configENS1_35radix_sort_onesweep_config_selectorIjNS0_10empty_typeEEEZZNS1_29radix_sort_onesweep_iterationIS3_Lb0EN6thrust23THRUST_200600_302600_NS6detail15normal_iteratorINS9_10device_ptrIjEEEESE_PS5_SF_jNS0_19identity_decomposerENS1_16block_id_wrapperIjLb1EEEEE10hipError_tT1_PNSt15iterator_traitsISK_E10value_typeET2_T3_PNSL_ISQ_E10value_typeET4_T5_PSV_SW_PNS1_23onesweep_lookback_stateEbbT6_jjT7_P12ihipStream_tbENKUlT_T0_SK_SP_E_clISE_SE_SF_SF_EEDaS13_S14_SK_SP_EUlS13_E_NS1_11comp_targetILNS1_3genE8ELNS1_11target_archE1030ELNS1_3gpuE2ELNS1_3repE0EEENS1_47radix_sort_onesweep_sort_config_static_selectorELNS0_4arch9wavefront6targetE1EEEvSK_,"axG",@progbits,_ZN7rocprim17ROCPRIM_400000_NS6detail17trampoline_kernelINS0_14default_configENS1_35radix_sort_onesweep_config_selectorIjNS0_10empty_typeEEEZZNS1_29radix_sort_onesweep_iterationIS3_Lb0EN6thrust23THRUST_200600_302600_NS6detail15normal_iteratorINS9_10device_ptrIjEEEESE_PS5_SF_jNS0_19identity_decomposerENS1_16block_id_wrapperIjLb1EEEEE10hipError_tT1_PNSt15iterator_traitsISK_E10value_typeET2_T3_PNSL_ISQ_E10value_typeET4_T5_PSV_SW_PNS1_23onesweep_lookback_stateEbbT6_jjT7_P12ihipStream_tbENKUlT_T0_SK_SP_E_clISE_SE_SF_SF_EEDaS13_S14_SK_SP_EUlS13_E_NS1_11comp_targetILNS1_3genE8ELNS1_11target_archE1030ELNS1_3gpuE2ELNS1_3repE0EEENS1_47radix_sort_onesweep_sort_config_static_selectorELNS0_4arch9wavefront6targetE1EEEvSK_,comdat
	.protected	_ZN7rocprim17ROCPRIM_400000_NS6detail17trampoline_kernelINS0_14default_configENS1_35radix_sort_onesweep_config_selectorIjNS0_10empty_typeEEEZZNS1_29radix_sort_onesweep_iterationIS3_Lb0EN6thrust23THRUST_200600_302600_NS6detail15normal_iteratorINS9_10device_ptrIjEEEESE_PS5_SF_jNS0_19identity_decomposerENS1_16block_id_wrapperIjLb1EEEEE10hipError_tT1_PNSt15iterator_traitsISK_E10value_typeET2_T3_PNSL_ISQ_E10value_typeET4_T5_PSV_SW_PNS1_23onesweep_lookback_stateEbbT6_jjT7_P12ihipStream_tbENKUlT_T0_SK_SP_E_clISE_SE_SF_SF_EEDaS13_S14_SK_SP_EUlS13_E_NS1_11comp_targetILNS1_3genE8ELNS1_11target_archE1030ELNS1_3gpuE2ELNS1_3repE0EEENS1_47radix_sort_onesweep_sort_config_static_selectorELNS0_4arch9wavefront6targetE1EEEvSK_ ; -- Begin function _ZN7rocprim17ROCPRIM_400000_NS6detail17trampoline_kernelINS0_14default_configENS1_35radix_sort_onesweep_config_selectorIjNS0_10empty_typeEEEZZNS1_29radix_sort_onesweep_iterationIS3_Lb0EN6thrust23THRUST_200600_302600_NS6detail15normal_iteratorINS9_10device_ptrIjEEEESE_PS5_SF_jNS0_19identity_decomposerENS1_16block_id_wrapperIjLb1EEEEE10hipError_tT1_PNSt15iterator_traitsISK_E10value_typeET2_T3_PNSL_ISQ_E10value_typeET4_T5_PSV_SW_PNS1_23onesweep_lookback_stateEbbT6_jjT7_P12ihipStream_tbENKUlT_T0_SK_SP_E_clISE_SE_SF_SF_EEDaS13_S14_SK_SP_EUlS13_E_NS1_11comp_targetILNS1_3genE8ELNS1_11target_archE1030ELNS1_3gpuE2ELNS1_3repE0EEENS1_47radix_sort_onesweep_sort_config_static_selectorELNS0_4arch9wavefront6targetE1EEEvSK_
	.globl	_ZN7rocprim17ROCPRIM_400000_NS6detail17trampoline_kernelINS0_14default_configENS1_35radix_sort_onesweep_config_selectorIjNS0_10empty_typeEEEZZNS1_29radix_sort_onesweep_iterationIS3_Lb0EN6thrust23THRUST_200600_302600_NS6detail15normal_iteratorINS9_10device_ptrIjEEEESE_PS5_SF_jNS0_19identity_decomposerENS1_16block_id_wrapperIjLb1EEEEE10hipError_tT1_PNSt15iterator_traitsISK_E10value_typeET2_T3_PNSL_ISQ_E10value_typeET4_T5_PSV_SW_PNS1_23onesweep_lookback_stateEbbT6_jjT7_P12ihipStream_tbENKUlT_T0_SK_SP_E_clISE_SE_SF_SF_EEDaS13_S14_SK_SP_EUlS13_E_NS1_11comp_targetILNS1_3genE8ELNS1_11target_archE1030ELNS1_3gpuE2ELNS1_3repE0EEENS1_47radix_sort_onesweep_sort_config_static_selectorELNS0_4arch9wavefront6targetE1EEEvSK_
	.p2align	8
	.type	_ZN7rocprim17ROCPRIM_400000_NS6detail17trampoline_kernelINS0_14default_configENS1_35radix_sort_onesweep_config_selectorIjNS0_10empty_typeEEEZZNS1_29radix_sort_onesweep_iterationIS3_Lb0EN6thrust23THRUST_200600_302600_NS6detail15normal_iteratorINS9_10device_ptrIjEEEESE_PS5_SF_jNS0_19identity_decomposerENS1_16block_id_wrapperIjLb1EEEEE10hipError_tT1_PNSt15iterator_traitsISK_E10value_typeET2_T3_PNSL_ISQ_E10value_typeET4_T5_PSV_SW_PNS1_23onesweep_lookback_stateEbbT6_jjT7_P12ihipStream_tbENKUlT_T0_SK_SP_E_clISE_SE_SF_SF_EEDaS13_S14_SK_SP_EUlS13_E_NS1_11comp_targetILNS1_3genE8ELNS1_11target_archE1030ELNS1_3gpuE2ELNS1_3repE0EEENS1_47radix_sort_onesweep_sort_config_static_selectorELNS0_4arch9wavefront6targetE1EEEvSK_,@function
_ZN7rocprim17ROCPRIM_400000_NS6detail17trampoline_kernelINS0_14default_configENS1_35radix_sort_onesweep_config_selectorIjNS0_10empty_typeEEEZZNS1_29radix_sort_onesweep_iterationIS3_Lb0EN6thrust23THRUST_200600_302600_NS6detail15normal_iteratorINS9_10device_ptrIjEEEESE_PS5_SF_jNS0_19identity_decomposerENS1_16block_id_wrapperIjLb1EEEEE10hipError_tT1_PNSt15iterator_traitsISK_E10value_typeET2_T3_PNSL_ISQ_E10value_typeET4_T5_PSV_SW_PNS1_23onesweep_lookback_stateEbbT6_jjT7_P12ihipStream_tbENKUlT_T0_SK_SP_E_clISE_SE_SF_SF_EEDaS13_S14_SK_SP_EUlS13_E_NS1_11comp_targetILNS1_3genE8ELNS1_11target_archE1030ELNS1_3gpuE2ELNS1_3repE0EEENS1_47radix_sort_onesweep_sort_config_static_selectorELNS0_4arch9wavefront6targetE1EEEvSK_: ; @_ZN7rocprim17ROCPRIM_400000_NS6detail17trampoline_kernelINS0_14default_configENS1_35radix_sort_onesweep_config_selectorIjNS0_10empty_typeEEEZZNS1_29radix_sort_onesweep_iterationIS3_Lb0EN6thrust23THRUST_200600_302600_NS6detail15normal_iteratorINS9_10device_ptrIjEEEESE_PS5_SF_jNS0_19identity_decomposerENS1_16block_id_wrapperIjLb1EEEEE10hipError_tT1_PNSt15iterator_traitsISK_E10value_typeET2_T3_PNSL_ISQ_E10value_typeET4_T5_PSV_SW_PNS1_23onesweep_lookback_stateEbbT6_jjT7_P12ihipStream_tbENKUlT_T0_SK_SP_E_clISE_SE_SF_SF_EEDaS13_S14_SK_SP_EUlS13_E_NS1_11comp_targetILNS1_3genE8ELNS1_11target_archE1030ELNS1_3gpuE2ELNS1_3repE0EEENS1_47radix_sort_onesweep_sort_config_static_selectorELNS0_4arch9wavefront6targetE1EEEvSK_
; %bb.0:
	.section	.rodata,"a",@progbits
	.p2align	6, 0x0
	.amdhsa_kernel _ZN7rocprim17ROCPRIM_400000_NS6detail17trampoline_kernelINS0_14default_configENS1_35radix_sort_onesweep_config_selectorIjNS0_10empty_typeEEEZZNS1_29radix_sort_onesweep_iterationIS3_Lb0EN6thrust23THRUST_200600_302600_NS6detail15normal_iteratorINS9_10device_ptrIjEEEESE_PS5_SF_jNS0_19identity_decomposerENS1_16block_id_wrapperIjLb1EEEEE10hipError_tT1_PNSt15iterator_traitsISK_E10value_typeET2_T3_PNSL_ISQ_E10value_typeET4_T5_PSV_SW_PNS1_23onesweep_lookback_stateEbbT6_jjT7_P12ihipStream_tbENKUlT_T0_SK_SP_E_clISE_SE_SF_SF_EEDaS13_S14_SK_SP_EUlS13_E_NS1_11comp_targetILNS1_3genE8ELNS1_11target_archE1030ELNS1_3gpuE2ELNS1_3repE0EEENS1_47radix_sort_onesweep_sort_config_static_selectorELNS0_4arch9wavefront6targetE1EEEvSK_
		.amdhsa_group_segment_fixed_size 0
		.amdhsa_private_segment_fixed_size 0
		.amdhsa_kernarg_size 88
		.amdhsa_user_sgpr_count 2
		.amdhsa_user_sgpr_dispatch_ptr 0
		.amdhsa_user_sgpr_queue_ptr 0
		.amdhsa_user_sgpr_kernarg_segment_ptr 1
		.amdhsa_user_sgpr_dispatch_id 0
		.amdhsa_user_sgpr_kernarg_preload_length 0
		.amdhsa_user_sgpr_kernarg_preload_offset 0
		.amdhsa_user_sgpr_private_segment_size 0
		.amdhsa_uses_dynamic_stack 0
		.amdhsa_enable_private_segment 0
		.amdhsa_system_sgpr_workgroup_id_x 1
		.amdhsa_system_sgpr_workgroup_id_y 0
		.amdhsa_system_sgpr_workgroup_id_z 0
		.amdhsa_system_sgpr_workgroup_info 0
		.amdhsa_system_vgpr_workitem_id 0
		.amdhsa_next_free_vgpr 1
		.amdhsa_next_free_sgpr 0
		.amdhsa_accum_offset 4
		.amdhsa_reserve_vcc 0
		.amdhsa_float_round_mode_32 0
		.amdhsa_float_round_mode_16_64 0
		.amdhsa_float_denorm_mode_32 3
		.amdhsa_float_denorm_mode_16_64 3
		.amdhsa_dx10_clamp 1
		.amdhsa_ieee_mode 1
		.amdhsa_fp16_overflow 0
		.amdhsa_tg_split 0
		.amdhsa_exception_fp_ieee_invalid_op 0
		.amdhsa_exception_fp_denorm_src 0
		.amdhsa_exception_fp_ieee_div_zero 0
		.amdhsa_exception_fp_ieee_overflow 0
		.amdhsa_exception_fp_ieee_underflow 0
		.amdhsa_exception_fp_ieee_inexact 0
		.amdhsa_exception_int_div_zero 0
	.end_amdhsa_kernel
	.section	.text._ZN7rocprim17ROCPRIM_400000_NS6detail17trampoline_kernelINS0_14default_configENS1_35radix_sort_onesweep_config_selectorIjNS0_10empty_typeEEEZZNS1_29radix_sort_onesweep_iterationIS3_Lb0EN6thrust23THRUST_200600_302600_NS6detail15normal_iteratorINS9_10device_ptrIjEEEESE_PS5_SF_jNS0_19identity_decomposerENS1_16block_id_wrapperIjLb1EEEEE10hipError_tT1_PNSt15iterator_traitsISK_E10value_typeET2_T3_PNSL_ISQ_E10value_typeET4_T5_PSV_SW_PNS1_23onesweep_lookback_stateEbbT6_jjT7_P12ihipStream_tbENKUlT_T0_SK_SP_E_clISE_SE_SF_SF_EEDaS13_S14_SK_SP_EUlS13_E_NS1_11comp_targetILNS1_3genE8ELNS1_11target_archE1030ELNS1_3gpuE2ELNS1_3repE0EEENS1_47radix_sort_onesweep_sort_config_static_selectorELNS0_4arch9wavefront6targetE1EEEvSK_,"axG",@progbits,_ZN7rocprim17ROCPRIM_400000_NS6detail17trampoline_kernelINS0_14default_configENS1_35radix_sort_onesweep_config_selectorIjNS0_10empty_typeEEEZZNS1_29radix_sort_onesweep_iterationIS3_Lb0EN6thrust23THRUST_200600_302600_NS6detail15normal_iteratorINS9_10device_ptrIjEEEESE_PS5_SF_jNS0_19identity_decomposerENS1_16block_id_wrapperIjLb1EEEEE10hipError_tT1_PNSt15iterator_traitsISK_E10value_typeET2_T3_PNSL_ISQ_E10value_typeET4_T5_PSV_SW_PNS1_23onesweep_lookback_stateEbbT6_jjT7_P12ihipStream_tbENKUlT_T0_SK_SP_E_clISE_SE_SF_SF_EEDaS13_S14_SK_SP_EUlS13_E_NS1_11comp_targetILNS1_3genE8ELNS1_11target_archE1030ELNS1_3gpuE2ELNS1_3repE0EEENS1_47radix_sort_onesweep_sort_config_static_selectorELNS0_4arch9wavefront6targetE1EEEvSK_,comdat
.Lfunc_end1109:
	.size	_ZN7rocprim17ROCPRIM_400000_NS6detail17trampoline_kernelINS0_14default_configENS1_35radix_sort_onesweep_config_selectorIjNS0_10empty_typeEEEZZNS1_29radix_sort_onesweep_iterationIS3_Lb0EN6thrust23THRUST_200600_302600_NS6detail15normal_iteratorINS9_10device_ptrIjEEEESE_PS5_SF_jNS0_19identity_decomposerENS1_16block_id_wrapperIjLb1EEEEE10hipError_tT1_PNSt15iterator_traitsISK_E10value_typeET2_T3_PNSL_ISQ_E10value_typeET4_T5_PSV_SW_PNS1_23onesweep_lookback_stateEbbT6_jjT7_P12ihipStream_tbENKUlT_T0_SK_SP_E_clISE_SE_SF_SF_EEDaS13_S14_SK_SP_EUlS13_E_NS1_11comp_targetILNS1_3genE8ELNS1_11target_archE1030ELNS1_3gpuE2ELNS1_3repE0EEENS1_47radix_sort_onesweep_sort_config_static_selectorELNS0_4arch9wavefront6targetE1EEEvSK_, .Lfunc_end1109-_ZN7rocprim17ROCPRIM_400000_NS6detail17trampoline_kernelINS0_14default_configENS1_35radix_sort_onesweep_config_selectorIjNS0_10empty_typeEEEZZNS1_29radix_sort_onesweep_iterationIS3_Lb0EN6thrust23THRUST_200600_302600_NS6detail15normal_iteratorINS9_10device_ptrIjEEEESE_PS5_SF_jNS0_19identity_decomposerENS1_16block_id_wrapperIjLb1EEEEE10hipError_tT1_PNSt15iterator_traitsISK_E10value_typeET2_T3_PNSL_ISQ_E10value_typeET4_T5_PSV_SW_PNS1_23onesweep_lookback_stateEbbT6_jjT7_P12ihipStream_tbENKUlT_T0_SK_SP_E_clISE_SE_SF_SF_EEDaS13_S14_SK_SP_EUlS13_E_NS1_11comp_targetILNS1_3genE8ELNS1_11target_archE1030ELNS1_3gpuE2ELNS1_3repE0EEENS1_47radix_sort_onesweep_sort_config_static_selectorELNS0_4arch9wavefront6targetE1EEEvSK_
                                        ; -- End function
	.section	.AMDGPU.csdata,"",@progbits
; Kernel info:
; codeLenInByte = 0
; NumSgprs: 6
; NumVgprs: 0
; NumAgprs: 0
; TotalNumVgprs: 0
; ScratchSize: 0
; MemoryBound: 0
; FloatMode: 240
; IeeeMode: 1
; LDSByteSize: 0 bytes/workgroup (compile time only)
; SGPRBlocks: 0
; VGPRBlocks: 0
; NumSGPRsForWavesPerEU: 6
; NumVGPRsForWavesPerEU: 1
; AccumOffset: 4
; Occupancy: 8
; WaveLimiterHint : 0
; COMPUTE_PGM_RSRC2:SCRATCH_EN: 0
; COMPUTE_PGM_RSRC2:USER_SGPR: 2
; COMPUTE_PGM_RSRC2:TRAP_HANDLER: 0
; COMPUTE_PGM_RSRC2:TGID_X_EN: 1
; COMPUTE_PGM_RSRC2:TGID_Y_EN: 0
; COMPUTE_PGM_RSRC2:TGID_Z_EN: 0
; COMPUTE_PGM_RSRC2:TIDIG_COMP_CNT: 0
; COMPUTE_PGM_RSRC3_GFX90A:ACCUM_OFFSET: 0
; COMPUTE_PGM_RSRC3_GFX90A:TG_SPLIT: 0
	.section	.text._ZN7rocprim17ROCPRIM_400000_NS6detail17trampoline_kernelINS0_14default_configENS1_35radix_sort_onesweep_config_selectorIjNS0_10empty_typeEEEZZNS1_29radix_sort_onesweep_iterationIS3_Lb0EN6thrust23THRUST_200600_302600_NS6detail15normal_iteratorINS9_10device_ptrIjEEEESE_PS5_SF_jNS0_19identity_decomposerENS1_16block_id_wrapperIjLb1EEEEE10hipError_tT1_PNSt15iterator_traitsISK_E10value_typeET2_T3_PNSL_ISQ_E10value_typeET4_T5_PSV_SW_PNS1_23onesweep_lookback_stateEbbT6_jjT7_P12ihipStream_tbENKUlT_T0_SK_SP_E_clISE_PjSF_SF_EEDaS13_S14_SK_SP_EUlS13_E_NS1_11comp_targetILNS1_3genE0ELNS1_11target_archE4294967295ELNS1_3gpuE0ELNS1_3repE0EEENS1_47radix_sort_onesweep_sort_config_static_selectorELNS0_4arch9wavefront6targetE1EEEvSK_,"axG",@progbits,_ZN7rocprim17ROCPRIM_400000_NS6detail17trampoline_kernelINS0_14default_configENS1_35radix_sort_onesweep_config_selectorIjNS0_10empty_typeEEEZZNS1_29radix_sort_onesweep_iterationIS3_Lb0EN6thrust23THRUST_200600_302600_NS6detail15normal_iteratorINS9_10device_ptrIjEEEESE_PS5_SF_jNS0_19identity_decomposerENS1_16block_id_wrapperIjLb1EEEEE10hipError_tT1_PNSt15iterator_traitsISK_E10value_typeET2_T3_PNSL_ISQ_E10value_typeET4_T5_PSV_SW_PNS1_23onesweep_lookback_stateEbbT6_jjT7_P12ihipStream_tbENKUlT_T0_SK_SP_E_clISE_PjSF_SF_EEDaS13_S14_SK_SP_EUlS13_E_NS1_11comp_targetILNS1_3genE0ELNS1_11target_archE4294967295ELNS1_3gpuE0ELNS1_3repE0EEENS1_47radix_sort_onesweep_sort_config_static_selectorELNS0_4arch9wavefront6targetE1EEEvSK_,comdat
	.protected	_ZN7rocprim17ROCPRIM_400000_NS6detail17trampoline_kernelINS0_14default_configENS1_35radix_sort_onesweep_config_selectorIjNS0_10empty_typeEEEZZNS1_29radix_sort_onesweep_iterationIS3_Lb0EN6thrust23THRUST_200600_302600_NS6detail15normal_iteratorINS9_10device_ptrIjEEEESE_PS5_SF_jNS0_19identity_decomposerENS1_16block_id_wrapperIjLb1EEEEE10hipError_tT1_PNSt15iterator_traitsISK_E10value_typeET2_T3_PNSL_ISQ_E10value_typeET4_T5_PSV_SW_PNS1_23onesweep_lookback_stateEbbT6_jjT7_P12ihipStream_tbENKUlT_T0_SK_SP_E_clISE_PjSF_SF_EEDaS13_S14_SK_SP_EUlS13_E_NS1_11comp_targetILNS1_3genE0ELNS1_11target_archE4294967295ELNS1_3gpuE0ELNS1_3repE0EEENS1_47radix_sort_onesweep_sort_config_static_selectorELNS0_4arch9wavefront6targetE1EEEvSK_ ; -- Begin function _ZN7rocprim17ROCPRIM_400000_NS6detail17trampoline_kernelINS0_14default_configENS1_35radix_sort_onesweep_config_selectorIjNS0_10empty_typeEEEZZNS1_29radix_sort_onesweep_iterationIS3_Lb0EN6thrust23THRUST_200600_302600_NS6detail15normal_iteratorINS9_10device_ptrIjEEEESE_PS5_SF_jNS0_19identity_decomposerENS1_16block_id_wrapperIjLb1EEEEE10hipError_tT1_PNSt15iterator_traitsISK_E10value_typeET2_T3_PNSL_ISQ_E10value_typeET4_T5_PSV_SW_PNS1_23onesweep_lookback_stateEbbT6_jjT7_P12ihipStream_tbENKUlT_T0_SK_SP_E_clISE_PjSF_SF_EEDaS13_S14_SK_SP_EUlS13_E_NS1_11comp_targetILNS1_3genE0ELNS1_11target_archE4294967295ELNS1_3gpuE0ELNS1_3repE0EEENS1_47radix_sort_onesweep_sort_config_static_selectorELNS0_4arch9wavefront6targetE1EEEvSK_
	.globl	_ZN7rocprim17ROCPRIM_400000_NS6detail17trampoline_kernelINS0_14default_configENS1_35radix_sort_onesweep_config_selectorIjNS0_10empty_typeEEEZZNS1_29radix_sort_onesweep_iterationIS3_Lb0EN6thrust23THRUST_200600_302600_NS6detail15normal_iteratorINS9_10device_ptrIjEEEESE_PS5_SF_jNS0_19identity_decomposerENS1_16block_id_wrapperIjLb1EEEEE10hipError_tT1_PNSt15iterator_traitsISK_E10value_typeET2_T3_PNSL_ISQ_E10value_typeET4_T5_PSV_SW_PNS1_23onesweep_lookback_stateEbbT6_jjT7_P12ihipStream_tbENKUlT_T0_SK_SP_E_clISE_PjSF_SF_EEDaS13_S14_SK_SP_EUlS13_E_NS1_11comp_targetILNS1_3genE0ELNS1_11target_archE4294967295ELNS1_3gpuE0ELNS1_3repE0EEENS1_47radix_sort_onesweep_sort_config_static_selectorELNS0_4arch9wavefront6targetE1EEEvSK_
	.p2align	8
	.type	_ZN7rocprim17ROCPRIM_400000_NS6detail17trampoline_kernelINS0_14default_configENS1_35radix_sort_onesweep_config_selectorIjNS0_10empty_typeEEEZZNS1_29radix_sort_onesweep_iterationIS3_Lb0EN6thrust23THRUST_200600_302600_NS6detail15normal_iteratorINS9_10device_ptrIjEEEESE_PS5_SF_jNS0_19identity_decomposerENS1_16block_id_wrapperIjLb1EEEEE10hipError_tT1_PNSt15iterator_traitsISK_E10value_typeET2_T3_PNSL_ISQ_E10value_typeET4_T5_PSV_SW_PNS1_23onesweep_lookback_stateEbbT6_jjT7_P12ihipStream_tbENKUlT_T0_SK_SP_E_clISE_PjSF_SF_EEDaS13_S14_SK_SP_EUlS13_E_NS1_11comp_targetILNS1_3genE0ELNS1_11target_archE4294967295ELNS1_3gpuE0ELNS1_3repE0EEENS1_47radix_sort_onesweep_sort_config_static_selectorELNS0_4arch9wavefront6targetE1EEEvSK_,@function
_ZN7rocprim17ROCPRIM_400000_NS6detail17trampoline_kernelINS0_14default_configENS1_35radix_sort_onesweep_config_selectorIjNS0_10empty_typeEEEZZNS1_29radix_sort_onesweep_iterationIS3_Lb0EN6thrust23THRUST_200600_302600_NS6detail15normal_iteratorINS9_10device_ptrIjEEEESE_PS5_SF_jNS0_19identity_decomposerENS1_16block_id_wrapperIjLb1EEEEE10hipError_tT1_PNSt15iterator_traitsISK_E10value_typeET2_T3_PNSL_ISQ_E10value_typeET4_T5_PSV_SW_PNS1_23onesweep_lookback_stateEbbT6_jjT7_P12ihipStream_tbENKUlT_T0_SK_SP_E_clISE_PjSF_SF_EEDaS13_S14_SK_SP_EUlS13_E_NS1_11comp_targetILNS1_3genE0ELNS1_11target_archE4294967295ELNS1_3gpuE0ELNS1_3repE0EEENS1_47radix_sort_onesweep_sort_config_static_selectorELNS0_4arch9wavefront6targetE1EEEvSK_: ; @_ZN7rocprim17ROCPRIM_400000_NS6detail17trampoline_kernelINS0_14default_configENS1_35radix_sort_onesweep_config_selectorIjNS0_10empty_typeEEEZZNS1_29radix_sort_onesweep_iterationIS3_Lb0EN6thrust23THRUST_200600_302600_NS6detail15normal_iteratorINS9_10device_ptrIjEEEESE_PS5_SF_jNS0_19identity_decomposerENS1_16block_id_wrapperIjLb1EEEEE10hipError_tT1_PNSt15iterator_traitsISK_E10value_typeET2_T3_PNSL_ISQ_E10value_typeET4_T5_PSV_SW_PNS1_23onesweep_lookback_stateEbbT6_jjT7_P12ihipStream_tbENKUlT_T0_SK_SP_E_clISE_PjSF_SF_EEDaS13_S14_SK_SP_EUlS13_E_NS1_11comp_targetILNS1_3genE0ELNS1_11target_archE4294967295ELNS1_3gpuE0ELNS1_3repE0EEENS1_47radix_sort_onesweep_sort_config_static_selectorELNS0_4arch9wavefront6targetE1EEEvSK_
; %bb.0:
	.section	.rodata,"a",@progbits
	.p2align	6, 0x0
	.amdhsa_kernel _ZN7rocprim17ROCPRIM_400000_NS6detail17trampoline_kernelINS0_14default_configENS1_35radix_sort_onesweep_config_selectorIjNS0_10empty_typeEEEZZNS1_29radix_sort_onesweep_iterationIS3_Lb0EN6thrust23THRUST_200600_302600_NS6detail15normal_iteratorINS9_10device_ptrIjEEEESE_PS5_SF_jNS0_19identity_decomposerENS1_16block_id_wrapperIjLb1EEEEE10hipError_tT1_PNSt15iterator_traitsISK_E10value_typeET2_T3_PNSL_ISQ_E10value_typeET4_T5_PSV_SW_PNS1_23onesweep_lookback_stateEbbT6_jjT7_P12ihipStream_tbENKUlT_T0_SK_SP_E_clISE_PjSF_SF_EEDaS13_S14_SK_SP_EUlS13_E_NS1_11comp_targetILNS1_3genE0ELNS1_11target_archE4294967295ELNS1_3gpuE0ELNS1_3repE0EEENS1_47radix_sort_onesweep_sort_config_static_selectorELNS0_4arch9wavefront6targetE1EEEvSK_
		.amdhsa_group_segment_fixed_size 0
		.amdhsa_private_segment_fixed_size 0
		.amdhsa_kernarg_size 88
		.amdhsa_user_sgpr_count 2
		.amdhsa_user_sgpr_dispatch_ptr 0
		.amdhsa_user_sgpr_queue_ptr 0
		.amdhsa_user_sgpr_kernarg_segment_ptr 1
		.amdhsa_user_sgpr_dispatch_id 0
		.amdhsa_user_sgpr_kernarg_preload_length 0
		.amdhsa_user_sgpr_kernarg_preload_offset 0
		.amdhsa_user_sgpr_private_segment_size 0
		.amdhsa_uses_dynamic_stack 0
		.amdhsa_enable_private_segment 0
		.amdhsa_system_sgpr_workgroup_id_x 1
		.amdhsa_system_sgpr_workgroup_id_y 0
		.amdhsa_system_sgpr_workgroup_id_z 0
		.amdhsa_system_sgpr_workgroup_info 0
		.amdhsa_system_vgpr_workitem_id 0
		.amdhsa_next_free_vgpr 1
		.amdhsa_next_free_sgpr 0
		.amdhsa_accum_offset 4
		.amdhsa_reserve_vcc 0
		.amdhsa_float_round_mode_32 0
		.amdhsa_float_round_mode_16_64 0
		.amdhsa_float_denorm_mode_32 3
		.amdhsa_float_denorm_mode_16_64 3
		.amdhsa_dx10_clamp 1
		.amdhsa_ieee_mode 1
		.amdhsa_fp16_overflow 0
		.amdhsa_tg_split 0
		.amdhsa_exception_fp_ieee_invalid_op 0
		.amdhsa_exception_fp_denorm_src 0
		.amdhsa_exception_fp_ieee_div_zero 0
		.amdhsa_exception_fp_ieee_overflow 0
		.amdhsa_exception_fp_ieee_underflow 0
		.amdhsa_exception_fp_ieee_inexact 0
		.amdhsa_exception_int_div_zero 0
	.end_amdhsa_kernel
	.section	.text._ZN7rocprim17ROCPRIM_400000_NS6detail17trampoline_kernelINS0_14default_configENS1_35radix_sort_onesweep_config_selectorIjNS0_10empty_typeEEEZZNS1_29radix_sort_onesweep_iterationIS3_Lb0EN6thrust23THRUST_200600_302600_NS6detail15normal_iteratorINS9_10device_ptrIjEEEESE_PS5_SF_jNS0_19identity_decomposerENS1_16block_id_wrapperIjLb1EEEEE10hipError_tT1_PNSt15iterator_traitsISK_E10value_typeET2_T3_PNSL_ISQ_E10value_typeET4_T5_PSV_SW_PNS1_23onesweep_lookback_stateEbbT6_jjT7_P12ihipStream_tbENKUlT_T0_SK_SP_E_clISE_PjSF_SF_EEDaS13_S14_SK_SP_EUlS13_E_NS1_11comp_targetILNS1_3genE0ELNS1_11target_archE4294967295ELNS1_3gpuE0ELNS1_3repE0EEENS1_47radix_sort_onesweep_sort_config_static_selectorELNS0_4arch9wavefront6targetE1EEEvSK_,"axG",@progbits,_ZN7rocprim17ROCPRIM_400000_NS6detail17trampoline_kernelINS0_14default_configENS1_35radix_sort_onesweep_config_selectorIjNS0_10empty_typeEEEZZNS1_29radix_sort_onesweep_iterationIS3_Lb0EN6thrust23THRUST_200600_302600_NS6detail15normal_iteratorINS9_10device_ptrIjEEEESE_PS5_SF_jNS0_19identity_decomposerENS1_16block_id_wrapperIjLb1EEEEE10hipError_tT1_PNSt15iterator_traitsISK_E10value_typeET2_T3_PNSL_ISQ_E10value_typeET4_T5_PSV_SW_PNS1_23onesweep_lookback_stateEbbT6_jjT7_P12ihipStream_tbENKUlT_T0_SK_SP_E_clISE_PjSF_SF_EEDaS13_S14_SK_SP_EUlS13_E_NS1_11comp_targetILNS1_3genE0ELNS1_11target_archE4294967295ELNS1_3gpuE0ELNS1_3repE0EEENS1_47radix_sort_onesweep_sort_config_static_selectorELNS0_4arch9wavefront6targetE1EEEvSK_,comdat
.Lfunc_end1110:
	.size	_ZN7rocprim17ROCPRIM_400000_NS6detail17trampoline_kernelINS0_14default_configENS1_35radix_sort_onesweep_config_selectorIjNS0_10empty_typeEEEZZNS1_29radix_sort_onesweep_iterationIS3_Lb0EN6thrust23THRUST_200600_302600_NS6detail15normal_iteratorINS9_10device_ptrIjEEEESE_PS5_SF_jNS0_19identity_decomposerENS1_16block_id_wrapperIjLb1EEEEE10hipError_tT1_PNSt15iterator_traitsISK_E10value_typeET2_T3_PNSL_ISQ_E10value_typeET4_T5_PSV_SW_PNS1_23onesweep_lookback_stateEbbT6_jjT7_P12ihipStream_tbENKUlT_T0_SK_SP_E_clISE_PjSF_SF_EEDaS13_S14_SK_SP_EUlS13_E_NS1_11comp_targetILNS1_3genE0ELNS1_11target_archE4294967295ELNS1_3gpuE0ELNS1_3repE0EEENS1_47radix_sort_onesweep_sort_config_static_selectorELNS0_4arch9wavefront6targetE1EEEvSK_, .Lfunc_end1110-_ZN7rocprim17ROCPRIM_400000_NS6detail17trampoline_kernelINS0_14default_configENS1_35radix_sort_onesweep_config_selectorIjNS0_10empty_typeEEEZZNS1_29radix_sort_onesweep_iterationIS3_Lb0EN6thrust23THRUST_200600_302600_NS6detail15normal_iteratorINS9_10device_ptrIjEEEESE_PS5_SF_jNS0_19identity_decomposerENS1_16block_id_wrapperIjLb1EEEEE10hipError_tT1_PNSt15iterator_traitsISK_E10value_typeET2_T3_PNSL_ISQ_E10value_typeET4_T5_PSV_SW_PNS1_23onesweep_lookback_stateEbbT6_jjT7_P12ihipStream_tbENKUlT_T0_SK_SP_E_clISE_PjSF_SF_EEDaS13_S14_SK_SP_EUlS13_E_NS1_11comp_targetILNS1_3genE0ELNS1_11target_archE4294967295ELNS1_3gpuE0ELNS1_3repE0EEENS1_47radix_sort_onesweep_sort_config_static_selectorELNS0_4arch9wavefront6targetE1EEEvSK_
                                        ; -- End function
	.section	.AMDGPU.csdata,"",@progbits
; Kernel info:
; codeLenInByte = 0
; NumSgprs: 6
; NumVgprs: 0
; NumAgprs: 0
; TotalNumVgprs: 0
; ScratchSize: 0
; MemoryBound: 0
; FloatMode: 240
; IeeeMode: 1
; LDSByteSize: 0 bytes/workgroup (compile time only)
; SGPRBlocks: 0
; VGPRBlocks: 0
; NumSGPRsForWavesPerEU: 6
; NumVGPRsForWavesPerEU: 1
; AccumOffset: 4
; Occupancy: 8
; WaveLimiterHint : 0
; COMPUTE_PGM_RSRC2:SCRATCH_EN: 0
; COMPUTE_PGM_RSRC2:USER_SGPR: 2
; COMPUTE_PGM_RSRC2:TRAP_HANDLER: 0
; COMPUTE_PGM_RSRC2:TGID_X_EN: 1
; COMPUTE_PGM_RSRC2:TGID_Y_EN: 0
; COMPUTE_PGM_RSRC2:TGID_Z_EN: 0
; COMPUTE_PGM_RSRC2:TIDIG_COMP_CNT: 0
; COMPUTE_PGM_RSRC3_GFX90A:ACCUM_OFFSET: 0
; COMPUTE_PGM_RSRC3_GFX90A:TG_SPLIT: 0
	.section	.text._ZN7rocprim17ROCPRIM_400000_NS6detail17trampoline_kernelINS0_14default_configENS1_35radix_sort_onesweep_config_selectorIjNS0_10empty_typeEEEZZNS1_29radix_sort_onesweep_iterationIS3_Lb0EN6thrust23THRUST_200600_302600_NS6detail15normal_iteratorINS9_10device_ptrIjEEEESE_PS5_SF_jNS0_19identity_decomposerENS1_16block_id_wrapperIjLb1EEEEE10hipError_tT1_PNSt15iterator_traitsISK_E10value_typeET2_T3_PNSL_ISQ_E10value_typeET4_T5_PSV_SW_PNS1_23onesweep_lookback_stateEbbT6_jjT7_P12ihipStream_tbENKUlT_T0_SK_SP_E_clISE_PjSF_SF_EEDaS13_S14_SK_SP_EUlS13_E_NS1_11comp_targetILNS1_3genE6ELNS1_11target_archE950ELNS1_3gpuE13ELNS1_3repE0EEENS1_47radix_sort_onesweep_sort_config_static_selectorELNS0_4arch9wavefront6targetE1EEEvSK_,"axG",@progbits,_ZN7rocprim17ROCPRIM_400000_NS6detail17trampoline_kernelINS0_14default_configENS1_35radix_sort_onesweep_config_selectorIjNS0_10empty_typeEEEZZNS1_29radix_sort_onesweep_iterationIS3_Lb0EN6thrust23THRUST_200600_302600_NS6detail15normal_iteratorINS9_10device_ptrIjEEEESE_PS5_SF_jNS0_19identity_decomposerENS1_16block_id_wrapperIjLb1EEEEE10hipError_tT1_PNSt15iterator_traitsISK_E10value_typeET2_T3_PNSL_ISQ_E10value_typeET4_T5_PSV_SW_PNS1_23onesweep_lookback_stateEbbT6_jjT7_P12ihipStream_tbENKUlT_T0_SK_SP_E_clISE_PjSF_SF_EEDaS13_S14_SK_SP_EUlS13_E_NS1_11comp_targetILNS1_3genE6ELNS1_11target_archE950ELNS1_3gpuE13ELNS1_3repE0EEENS1_47radix_sort_onesweep_sort_config_static_selectorELNS0_4arch9wavefront6targetE1EEEvSK_,comdat
	.protected	_ZN7rocprim17ROCPRIM_400000_NS6detail17trampoline_kernelINS0_14default_configENS1_35radix_sort_onesweep_config_selectorIjNS0_10empty_typeEEEZZNS1_29radix_sort_onesweep_iterationIS3_Lb0EN6thrust23THRUST_200600_302600_NS6detail15normal_iteratorINS9_10device_ptrIjEEEESE_PS5_SF_jNS0_19identity_decomposerENS1_16block_id_wrapperIjLb1EEEEE10hipError_tT1_PNSt15iterator_traitsISK_E10value_typeET2_T3_PNSL_ISQ_E10value_typeET4_T5_PSV_SW_PNS1_23onesweep_lookback_stateEbbT6_jjT7_P12ihipStream_tbENKUlT_T0_SK_SP_E_clISE_PjSF_SF_EEDaS13_S14_SK_SP_EUlS13_E_NS1_11comp_targetILNS1_3genE6ELNS1_11target_archE950ELNS1_3gpuE13ELNS1_3repE0EEENS1_47radix_sort_onesweep_sort_config_static_selectorELNS0_4arch9wavefront6targetE1EEEvSK_ ; -- Begin function _ZN7rocprim17ROCPRIM_400000_NS6detail17trampoline_kernelINS0_14default_configENS1_35radix_sort_onesweep_config_selectorIjNS0_10empty_typeEEEZZNS1_29radix_sort_onesweep_iterationIS3_Lb0EN6thrust23THRUST_200600_302600_NS6detail15normal_iteratorINS9_10device_ptrIjEEEESE_PS5_SF_jNS0_19identity_decomposerENS1_16block_id_wrapperIjLb1EEEEE10hipError_tT1_PNSt15iterator_traitsISK_E10value_typeET2_T3_PNSL_ISQ_E10value_typeET4_T5_PSV_SW_PNS1_23onesweep_lookback_stateEbbT6_jjT7_P12ihipStream_tbENKUlT_T0_SK_SP_E_clISE_PjSF_SF_EEDaS13_S14_SK_SP_EUlS13_E_NS1_11comp_targetILNS1_3genE6ELNS1_11target_archE950ELNS1_3gpuE13ELNS1_3repE0EEENS1_47radix_sort_onesweep_sort_config_static_selectorELNS0_4arch9wavefront6targetE1EEEvSK_
	.globl	_ZN7rocprim17ROCPRIM_400000_NS6detail17trampoline_kernelINS0_14default_configENS1_35radix_sort_onesweep_config_selectorIjNS0_10empty_typeEEEZZNS1_29radix_sort_onesweep_iterationIS3_Lb0EN6thrust23THRUST_200600_302600_NS6detail15normal_iteratorINS9_10device_ptrIjEEEESE_PS5_SF_jNS0_19identity_decomposerENS1_16block_id_wrapperIjLb1EEEEE10hipError_tT1_PNSt15iterator_traitsISK_E10value_typeET2_T3_PNSL_ISQ_E10value_typeET4_T5_PSV_SW_PNS1_23onesweep_lookback_stateEbbT6_jjT7_P12ihipStream_tbENKUlT_T0_SK_SP_E_clISE_PjSF_SF_EEDaS13_S14_SK_SP_EUlS13_E_NS1_11comp_targetILNS1_3genE6ELNS1_11target_archE950ELNS1_3gpuE13ELNS1_3repE0EEENS1_47radix_sort_onesweep_sort_config_static_selectorELNS0_4arch9wavefront6targetE1EEEvSK_
	.p2align	8
	.type	_ZN7rocprim17ROCPRIM_400000_NS6detail17trampoline_kernelINS0_14default_configENS1_35radix_sort_onesweep_config_selectorIjNS0_10empty_typeEEEZZNS1_29radix_sort_onesweep_iterationIS3_Lb0EN6thrust23THRUST_200600_302600_NS6detail15normal_iteratorINS9_10device_ptrIjEEEESE_PS5_SF_jNS0_19identity_decomposerENS1_16block_id_wrapperIjLb1EEEEE10hipError_tT1_PNSt15iterator_traitsISK_E10value_typeET2_T3_PNSL_ISQ_E10value_typeET4_T5_PSV_SW_PNS1_23onesweep_lookback_stateEbbT6_jjT7_P12ihipStream_tbENKUlT_T0_SK_SP_E_clISE_PjSF_SF_EEDaS13_S14_SK_SP_EUlS13_E_NS1_11comp_targetILNS1_3genE6ELNS1_11target_archE950ELNS1_3gpuE13ELNS1_3repE0EEENS1_47radix_sort_onesweep_sort_config_static_selectorELNS0_4arch9wavefront6targetE1EEEvSK_,@function
_ZN7rocprim17ROCPRIM_400000_NS6detail17trampoline_kernelINS0_14default_configENS1_35radix_sort_onesweep_config_selectorIjNS0_10empty_typeEEEZZNS1_29radix_sort_onesweep_iterationIS3_Lb0EN6thrust23THRUST_200600_302600_NS6detail15normal_iteratorINS9_10device_ptrIjEEEESE_PS5_SF_jNS0_19identity_decomposerENS1_16block_id_wrapperIjLb1EEEEE10hipError_tT1_PNSt15iterator_traitsISK_E10value_typeET2_T3_PNSL_ISQ_E10value_typeET4_T5_PSV_SW_PNS1_23onesweep_lookback_stateEbbT6_jjT7_P12ihipStream_tbENKUlT_T0_SK_SP_E_clISE_PjSF_SF_EEDaS13_S14_SK_SP_EUlS13_E_NS1_11comp_targetILNS1_3genE6ELNS1_11target_archE950ELNS1_3gpuE13ELNS1_3repE0EEENS1_47radix_sort_onesweep_sort_config_static_selectorELNS0_4arch9wavefront6targetE1EEEvSK_: ; @_ZN7rocprim17ROCPRIM_400000_NS6detail17trampoline_kernelINS0_14default_configENS1_35radix_sort_onesweep_config_selectorIjNS0_10empty_typeEEEZZNS1_29radix_sort_onesweep_iterationIS3_Lb0EN6thrust23THRUST_200600_302600_NS6detail15normal_iteratorINS9_10device_ptrIjEEEESE_PS5_SF_jNS0_19identity_decomposerENS1_16block_id_wrapperIjLb1EEEEE10hipError_tT1_PNSt15iterator_traitsISK_E10value_typeET2_T3_PNSL_ISQ_E10value_typeET4_T5_PSV_SW_PNS1_23onesweep_lookback_stateEbbT6_jjT7_P12ihipStream_tbENKUlT_T0_SK_SP_E_clISE_PjSF_SF_EEDaS13_S14_SK_SP_EUlS13_E_NS1_11comp_targetILNS1_3genE6ELNS1_11target_archE950ELNS1_3gpuE13ELNS1_3repE0EEENS1_47radix_sort_onesweep_sort_config_static_selectorELNS0_4arch9wavefront6targetE1EEEvSK_
; %bb.0:
	.section	.rodata,"a",@progbits
	.p2align	6, 0x0
	.amdhsa_kernel _ZN7rocprim17ROCPRIM_400000_NS6detail17trampoline_kernelINS0_14default_configENS1_35radix_sort_onesweep_config_selectorIjNS0_10empty_typeEEEZZNS1_29radix_sort_onesweep_iterationIS3_Lb0EN6thrust23THRUST_200600_302600_NS6detail15normal_iteratorINS9_10device_ptrIjEEEESE_PS5_SF_jNS0_19identity_decomposerENS1_16block_id_wrapperIjLb1EEEEE10hipError_tT1_PNSt15iterator_traitsISK_E10value_typeET2_T3_PNSL_ISQ_E10value_typeET4_T5_PSV_SW_PNS1_23onesweep_lookback_stateEbbT6_jjT7_P12ihipStream_tbENKUlT_T0_SK_SP_E_clISE_PjSF_SF_EEDaS13_S14_SK_SP_EUlS13_E_NS1_11comp_targetILNS1_3genE6ELNS1_11target_archE950ELNS1_3gpuE13ELNS1_3repE0EEENS1_47radix_sort_onesweep_sort_config_static_selectorELNS0_4arch9wavefront6targetE1EEEvSK_
		.amdhsa_group_segment_fixed_size 0
		.amdhsa_private_segment_fixed_size 0
		.amdhsa_kernarg_size 88
		.amdhsa_user_sgpr_count 2
		.amdhsa_user_sgpr_dispatch_ptr 0
		.amdhsa_user_sgpr_queue_ptr 0
		.amdhsa_user_sgpr_kernarg_segment_ptr 1
		.amdhsa_user_sgpr_dispatch_id 0
		.amdhsa_user_sgpr_kernarg_preload_length 0
		.amdhsa_user_sgpr_kernarg_preload_offset 0
		.amdhsa_user_sgpr_private_segment_size 0
		.amdhsa_uses_dynamic_stack 0
		.amdhsa_enable_private_segment 0
		.amdhsa_system_sgpr_workgroup_id_x 1
		.amdhsa_system_sgpr_workgroup_id_y 0
		.amdhsa_system_sgpr_workgroup_id_z 0
		.amdhsa_system_sgpr_workgroup_info 0
		.amdhsa_system_vgpr_workitem_id 0
		.amdhsa_next_free_vgpr 1
		.amdhsa_next_free_sgpr 0
		.amdhsa_accum_offset 4
		.amdhsa_reserve_vcc 0
		.amdhsa_float_round_mode_32 0
		.amdhsa_float_round_mode_16_64 0
		.amdhsa_float_denorm_mode_32 3
		.amdhsa_float_denorm_mode_16_64 3
		.amdhsa_dx10_clamp 1
		.amdhsa_ieee_mode 1
		.amdhsa_fp16_overflow 0
		.amdhsa_tg_split 0
		.amdhsa_exception_fp_ieee_invalid_op 0
		.amdhsa_exception_fp_denorm_src 0
		.amdhsa_exception_fp_ieee_div_zero 0
		.amdhsa_exception_fp_ieee_overflow 0
		.amdhsa_exception_fp_ieee_underflow 0
		.amdhsa_exception_fp_ieee_inexact 0
		.amdhsa_exception_int_div_zero 0
	.end_amdhsa_kernel
	.section	.text._ZN7rocprim17ROCPRIM_400000_NS6detail17trampoline_kernelINS0_14default_configENS1_35radix_sort_onesweep_config_selectorIjNS0_10empty_typeEEEZZNS1_29radix_sort_onesweep_iterationIS3_Lb0EN6thrust23THRUST_200600_302600_NS6detail15normal_iteratorINS9_10device_ptrIjEEEESE_PS5_SF_jNS0_19identity_decomposerENS1_16block_id_wrapperIjLb1EEEEE10hipError_tT1_PNSt15iterator_traitsISK_E10value_typeET2_T3_PNSL_ISQ_E10value_typeET4_T5_PSV_SW_PNS1_23onesweep_lookback_stateEbbT6_jjT7_P12ihipStream_tbENKUlT_T0_SK_SP_E_clISE_PjSF_SF_EEDaS13_S14_SK_SP_EUlS13_E_NS1_11comp_targetILNS1_3genE6ELNS1_11target_archE950ELNS1_3gpuE13ELNS1_3repE0EEENS1_47radix_sort_onesweep_sort_config_static_selectorELNS0_4arch9wavefront6targetE1EEEvSK_,"axG",@progbits,_ZN7rocprim17ROCPRIM_400000_NS6detail17trampoline_kernelINS0_14default_configENS1_35radix_sort_onesweep_config_selectorIjNS0_10empty_typeEEEZZNS1_29radix_sort_onesweep_iterationIS3_Lb0EN6thrust23THRUST_200600_302600_NS6detail15normal_iteratorINS9_10device_ptrIjEEEESE_PS5_SF_jNS0_19identity_decomposerENS1_16block_id_wrapperIjLb1EEEEE10hipError_tT1_PNSt15iterator_traitsISK_E10value_typeET2_T3_PNSL_ISQ_E10value_typeET4_T5_PSV_SW_PNS1_23onesweep_lookback_stateEbbT6_jjT7_P12ihipStream_tbENKUlT_T0_SK_SP_E_clISE_PjSF_SF_EEDaS13_S14_SK_SP_EUlS13_E_NS1_11comp_targetILNS1_3genE6ELNS1_11target_archE950ELNS1_3gpuE13ELNS1_3repE0EEENS1_47radix_sort_onesweep_sort_config_static_selectorELNS0_4arch9wavefront6targetE1EEEvSK_,comdat
.Lfunc_end1111:
	.size	_ZN7rocprim17ROCPRIM_400000_NS6detail17trampoline_kernelINS0_14default_configENS1_35radix_sort_onesweep_config_selectorIjNS0_10empty_typeEEEZZNS1_29radix_sort_onesweep_iterationIS3_Lb0EN6thrust23THRUST_200600_302600_NS6detail15normal_iteratorINS9_10device_ptrIjEEEESE_PS5_SF_jNS0_19identity_decomposerENS1_16block_id_wrapperIjLb1EEEEE10hipError_tT1_PNSt15iterator_traitsISK_E10value_typeET2_T3_PNSL_ISQ_E10value_typeET4_T5_PSV_SW_PNS1_23onesweep_lookback_stateEbbT6_jjT7_P12ihipStream_tbENKUlT_T0_SK_SP_E_clISE_PjSF_SF_EEDaS13_S14_SK_SP_EUlS13_E_NS1_11comp_targetILNS1_3genE6ELNS1_11target_archE950ELNS1_3gpuE13ELNS1_3repE0EEENS1_47radix_sort_onesweep_sort_config_static_selectorELNS0_4arch9wavefront6targetE1EEEvSK_, .Lfunc_end1111-_ZN7rocprim17ROCPRIM_400000_NS6detail17trampoline_kernelINS0_14default_configENS1_35radix_sort_onesweep_config_selectorIjNS0_10empty_typeEEEZZNS1_29radix_sort_onesweep_iterationIS3_Lb0EN6thrust23THRUST_200600_302600_NS6detail15normal_iteratorINS9_10device_ptrIjEEEESE_PS5_SF_jNS0_19identity_decomposerENS1_16block_id_wrapperIjLb1EEEEE10hipError_tT1_PNSt15iterator_traitsISK_E10value_typeET2_T3_PNSL_ISQ_E10value_typeET4_T5_PSV_SW_PNS1_23onesweep_lookback_stateEbbT6_jjT7_P12ihipStream_tbENKUlT_T0_SK_SP_E_clISE_PjSF_SF_EEDaS13_S14_SK_SP_EUlS13_E_NS1_11comp_targetILNS1_3genE6ELNS1_11target_archE950ELNS1_3gpuE13ELNS1_3repE0EEENS1_47radix_sort_onesweep_sort_config_static_selectorELNS0_4arch9wavefront6targetE1EEEvSK_
                                        ; -- End function
	.section	.AMDGPU.csdata,"",@progbits
; Kernel info:
; codeLenInByte = 0
; NumSgprs: 6
; NumVgprs: 0
; NumAgprs: 0
; TotalNumVgprs: 0
; ScratchSize: 0
; MemoryBound: 0
; FloatMode: 240
; IeeeMode: 1
; LDSByteSize: 0 bytes/workgroup (compile time only)
; SGPRBlocks: 0
; VGPRBlocks: 0
; NumSGPRsForWavesPerEU: 6
; NumVGPRsForWavesPerEU: 1
; AccumOffset: 4
; Occupancy: 8
; WaveLimiterHint : 0
; COMPUTE_PGM_RSRC2:SCRATCH_EN: 0
; COMPUTE_PGM_RSRC2:USER_SGPR: 2
; COMPUTE_PGM_RSRC2:TRAP_HANDLER: 0
; COMPUTE_PGM_RSRC2:TGID_X_EN: 1
; COMPUTE_PGM_RSRC2:TGID_Y_EN: 0
; COMPUTE_PGM_RSRC2:TGID_Z_EN: 0
; COMPUTE_PGM_RSRC2:TIDIG_COMP_CNT: 0
; COMPUTE_PGM_RSRC3_GFX90A:ACCUM_OFFSET: 0
; COMPUTE_PGM_RSRC3_GFX90A:TG_SPLIT: 0
	.section	.text._ZN7rocprim17ROCPRIM_400000_NS6detail17trampoline_kernelINS0_14default_configENS1_35radix_sort_onesweep_config_selectorIjNS0_10empty_typeEEEZZNS1_29radix_sort_onesweep_iterationIS3_Lb0EN6thrust23THRUST_200600_302600_NS6detail15normal_iteratorINS9_10device_ptrIjEEEESE_PS5_SF_jNS0_19identity_decomposerENS1_16block_id_wrapperIjLb1EEEEE10hipError_tT1_PNSt15iterator_traitsISK_E10value_typeET2_T3_PNSL_ISQ_E10value_typeET4_T5_PSV_SW_PNS1_23onesweep_lookback_stateEbbT6_jjT7_P12ihipStream_tbENKUlT_T0_SK_SP_E_clISE_PjSF_SF_EEDaS13_S14_SK_SP_EUlS13_E_NS1_11comp_targetILNS1_3genE5ELNS1_11target_archE942ELNS1_3gpuE9ELNS1_3repE0EEENS1_47radix_sort_onesweep_sort_config_static_selectorELNS0_4arch9wavefront6targetE1EEEvSK_,"axG",@progbits,_ZN7rocprim17ROCPRIM_400000_NS6detail17trampoline_kernelINS0_14default_configENS1_35radix_sort_onesweep_config_selectorIjNS0_10empty_typeEEEZZNS1_29radix_sort_onesweep_iterationIS3_Lb0EN6thrust23THRUST_200600_302600_NS6detail15normal_iteratorINS9_10device_ptrIjEEEESE_PS5_SF_jNS0_19identity_decomposerENS1_16block_id_wrapperIjLb1EEEEE10hipError_tT1_PNSt15iterator_traitsISK_E10value_typeET2_T3_PNSL_ISQ_E10value_typeET4_T5_PSV_SW_PNS1_23onesweep_lookback_stateEbbT6_jjT7_P12ihipStream_tbENKUlT_T0_SK_SP_E_clISE_PjSF_SF_EEDaS13_S14_SK_SP_EUlS13_E_NS1_11comp_targetILNS1_3genE5ELNS1_11target_archE942ELNS1_3gpuE9ELNS1_3repE0EEENS1_47radix_sort_onesweep_sort_config_static_selectorELNS0_4arch9wavefront6targetE1EEEvSK_,comdat
	.protected	_ZN7rocprim17ROCPRIM_400000_NS6detail17trampoline_kernelINS0_14default_configENS1_35radix_sort_onesweep_config_selectorIjNS0_10empty_typeEEEZZNS1_29radix_sort_onesweep_iterationIS3_Lb0EN6thrust23THRUST_200600_302600_NS6detail15normal_iteratorINS9_10device_ptrIjEEEESE_PS5_SF_jNS0_19identity_decomposerENS1_16block_id_wrapperIjLb1EEEEE10hipError_tT1_PNSt15iterator_traitsISK_E10value_typeET2_T3_PNSL_ISQ_E10value_typeET4_T5_PSV_SW_PNS1_23onesweep_lookback_stateEbbT6_jjT7_P12ihipStream_tbENKUlT_T0_SK_SP_E_clISE_PjSF_SF_EEDaS13_S14_SK_SP_EUlS13_E_NS1_11comp_targetILNS1_3genE5ELNS1_11target_archE942ELNS1_3gpuE9ELNS1_3repE0EEENS1_47radix_sort_onesweep_sort_config_static_selectorELNS0_4arch9wavefront6targetE1EEEvSK_ ; -- Begin function _ZN7rocprim17ROCPRIM_400000_NS6detail17trampoline_kernelINS0_14default_configENS1_35radix_sort_onesweep_config_selectorIjNS0_10empty_typeEEEZZNS1_29radix_sort_onesweep_iterationIS3_Lb0EN6thrust23THRUST_200600_302600_NS6detail15normal_iteratorINS9_10device_ptrIjEEEESE_PS5_SF_jNS0_19identity_decomposerENS1_16block_id_wrapperIjLb1EEEEE10hipError_tT1_PNSt15iterator_traitsISK_E10value_typeET2_T3_PNSL_ISQ_E10value_typeET4_T5_PSV_SW_PNS1_23onesweep_lookback_stateEbbT6_jjT7_P12ihipStream_tbENKUlT_T0_SK_SP_E_clISE_PjSF_SF_EEDaS13_S14_SK_SP_EUlS13_E_NS1_11comp_targetILNS1_3genE5ELNS1_11target_archE942ELNS1_3gpuE9ELNS1_3repE0EEENS1_47radix_sort_onesweep_sort_config_static_selectorELNS0_4arch9wavefront6targetE1EEEvSK_
	.globl	_ZN7rocprim17ROCPRIM_400000_NS6detail17trampoline_kernelINS0_14default_configENS1_35radix_sort_onesweep_config_selectorIjNS0_10empty_typeEEEZZNS1_29radix_sort_onesweep_iterationIS3_Lb0EN6thrust23THRUST_200600_302600_NS6detail15normal_iteratorINS9_10device_ptrIjEEEESE_PS5_SF_jNS0_19identity_decomposerENS1_16block_id_wrapperIjLb1EEEEE10hipError_tT1_PNSt15iterator_traitsISK_E10value_typeET2_T3_PNSL_ISQ_E10value_typeET4_T5_PSV_SW_PNS1_23onesweep_lookback_stateEbbT6_jjT7_P12ihipStream_tbENKUlT_T0_SK_SP_E_clISE_PjSF_SF_EEDaS13_S14_SK_SP_EUlS13_E_NS1_11comp_targetILNS1_3genE5ELNS1_11target_archE942ELNS1_3gpuE9ELNS1_3repE0EEENS1_47radix_sort_onesweep_sort_config_static_selectorELNS0_4arch9wavefront6targetE1EEEvSK_
	.p2align	8
	.type	_ZN7rocprim17ROCPRIM_400000_NS6detail17trampoline_kernelINS0_14default_configENS1_35radix_sort_onesweep_config_selectorIjNS0_10empty_typeEEEZZNS1_29radix_sort_onesweep_iterationIS3_Lb0EN6thrust23THRUST_200600_302600_NS6detail15normal_iteratorINS9_10device_ptrIjEEEESE_PS5_SF_jNS0_19identity_decomposerENS1_16block_id_wrapperIjLb1EEEEE10hipError_tT1_PNSt15iterator_traitsISK_E10value_typeET2_T3_PNSL_ISQ_E10value_typeET4_T5_PSV_SW_PNS1_23onesweep_lookback_stateEbbT6_jjT7_P12ihipStream_tbENKUlT_T0_SK_SP_E_clISE_PjSF_SF_EEDaS13_S14_SK_SP_EUlS13_E_NS1_11comp_targetILNS1_3genE5ELNS1_11target_archE942ELNS1_3gpuE9ELNS1_3repE0EEENS1_47radix_sort_onesweep_sort_config_static_selectorELNS0_4arch9wavefront6targetE1EEEvSK_,@function
_ZN7rocprim17ROCPRIM_400000_NS6detail17trampoline_kernelINS0_14default_configENS1_35radix_sort_onesweep_config_selectorIjNS0_10empty_typeEEEZZNS1_29radix_sort_onesweep_iterationIS3_Lb0EN6thrust23THRUST_200600_302600_NS6detail15normal_iteratorINS9_10device_ptrIjEEEESE_PS5_SF_jNS0_19identity_decomposerENS1_16block_id_wrapperIjLb1EEEEE10hipError_tT1_PNSt15iterator_traitsISK_E10value_typeET2_T3_PNSL_ISQ_E10value_typeET4_T5_PSV_SW_PNS1_23onesweep_lookback_stateEbbT6_jjT7_P12ihipStream_tbENKUlT_T0_SK_SP_E_clISE_PjSF_SF_EEDaS13_S14_SK_SP_EUlS13_E_NS1_11comp_targetILNS1_3genE5ELNS1_11target_archE942ELNS1_3gpuE9ELNS1_3repE0EEENS1_47radix_sort_onesweep_sort_config_static_selectorELNS0_4arch9wavefront6targetE1EEEvSK_: ; @_ZN7rocprim17ROCPRIM_400000_NS6detail17trampoline_kernelINS0_14default_configENS1_35radix_sort_onesweep_config_selectorIjNS0_10empty_typeEEEZZNS1_29radix_sort_onesweep_iterationIS3_Lb0EN6thrust23THRUST_200600_302600_NS6detail15normal_iteratorINS9_10device_ptrIjEEEESE_PS5_SF_jNS0_19identity_decomposerENS1_16block_id_wrapperIjLb1EEEEE10hipError_tT1_PNSt15iterator_traitsISK_E10value_typeET2_T3_PNSL_ISQ_E10value_typeET4_T5_PSV_SW_PNS1_23onesweep_lookback_stateEbbT6_jjT7_P12ihipStream_tbENKUlT_T0_SK_SP_E_clISE_PjSF_SF_EEDaS13_S14_SK_SP_EUlS13_E_NS1_11comp_targetILNS1_3genE5ELNS1_11target_archE942ELNS1_3gpuE9ELNS1_3repE0EEENS1_47radix_sort_onesweep_sort_config_static_selectorELNS0_4arch9wavefront6targetE1EEEvSK_
; %bb.0:
	s_load_dwordx4 s[20:23], s[0:1], 0x28
	s_load_dwordx2 s[18:19], s[0:1], 0x38
	s_load_dwordx4 s[24:27], s[0:1], 0x44
	v_and_b32_e32 v2, 0x3ff, v0
	v_cmp_eq_u32_e64 s[10:11], 0, v2
	s_and_saveexec_b64 s[4:5], s[10:11]
	s_cbranch_execz .LBB1112_4
; %bb.1:
	s_mov_b64 s[8:9], exec
	v_mbcnt_lo_u32_b32 v1, s8, 0
	v_mbcnt_hi_u32_b32 v1, s9, v1
	v_cmp_eq_u32_e32 vcc, 0, v1
                                        ; implicit-def: $vgpr3
	s_and_saveexec_b64 s[6:7], vcc
	s_cbranch_execz .LBB1112_3
; %bb.2:
	s_load_dwordx2 s[12:13], s[0:1], 0x50
	s_bcnt1_i32_b64 s3, s[8:9]
	v_mov_b32_e32 v3, 0
	v_mov_b32_e32 v4, s3
	s_waitcnt lgkmcnt(0)
	global_atomic_add v3, v3, v4, s[12:13] sc0
.LBB1112_3:
	s_or_b64 exec, exec, s[6:7]
	s_waitcnt vmcnt(0)
	v_readfirstlane_b32 s3, v3
	v_mov_b32_e32 v3, 0
	s_nop 0
	v_add_u32_e32 v1, s3, v1
	ds_write_b32 v3, v1 offset:20544
.LBB1112_4:
	s_or_b64 exec, exec, s[4:5]
	v_mov_b32_e32 v5, 0
	s_load_dwordx4 s[28:31], s[0:1], 0x0
	s_load_dword s3, s[0:1], 0x20
	s_waitcnt lgkmcnt(0)
	s_barrier
	ds_read_b32 v1, v5 offset:20544
	s_waitcnt lgkmcnt(0)
	s_barrier
	v_cmp_le_u32_e32 vcc, s26, v1
	v_readfirstlane_b32 s27, v1
	v_mbcnt_lo_u32_b32 v1, -1, 0
	s_cbranch_vccz .LBB1112_83
; %bb.5:
	s_lshl_b32 s4, s26, 13
	s_sub_i32 s3, s3, s4
	s_lshl_b32 s4, s27, 13
	s_mov_b32 s5, 0
	s_lshl_b64 s[4:5], s[4:5], 2
	v_mbcnt_hi_u32_b32 v8, -1, v1
	s_add_u32 s4, s28, s4
	v_and_b32_e32 v3, 63, v8
	v_lshlrev_b32_e32 v4, 3, v2
	s_addc_u32 s5, s29, s5
	v_and_b32_e32 v9, 0x1e00, v4
	v_lshlrev_b32_e32 v4, 2, v3
	v_lshl_add_u64 v[6:7], s[4:5], 0, v[4:5]
	v_lshlrev_b32_e32 v4, 2, v9
	v_lshl_add_u64 v[4:5], v[6:7], 0, v[4:5]
	v_or_b32_e32 v6, v3, v9
	v_cmp_gt_u32_e32 vcc, s3, v6
	v_mov_b32_e32 v3, -1
	v_mov_b32_e32 v10, -1
	s_and_saveexec_b64 s[4:5], vcc
	s_cbranch_execz .LBB1112_7
; %bb.6:
	global_load_dword v10, v[4:5], off
.LBB1112_7:
	s_or_b64 exec, exec, s[4:5]
	v_or_b32_e32 v7, 64, v6
	v_cmp_gt_u32_e32 vcc, s3, v7
	v_mov_b32_e32 v11, -1
	s_and_saveexec_b64 s[4:5], vcc
	s_cbranch_execz .LBB1112_9
; %bb.8:
	global_load_dword v11, v[4:5], off offset:256
.LBB1112_9:
	s_or_b64 exec, exec, s[4:5]
	v_or_b32_e32 v7, 0x80, v6
	v_cmp_gt_u32_e32 vcc, s3, v7
	s_and_saveexec_b64 s[4:5], vcc
	s_cbranch_execz .LBB1112_11
; %bb.10:
	global_load_dword v3, v[4:5], off offset:512
.LBB1112_11:
	s_or_b64 exec, exec, s[4:5]
	v_or_b32_e32 v7, 0xc0, v6
	v_cmp_gt_u32_e32 vcc, s3, v7
	v_mov_b32_e32 v12, -1
	v_mov_b32_e32 v13, -1
	s_and_saveexec_b64 s[4:5], vcc
	s_cbranch_execz .LBB1112_13
; %bb.12:
	global_load_dword v13, v[4:5], off offset:768
.LBB1112_13:
	s_or_b64 exec, exec, s[4:5]
	v_or_b32_e32 v7, 0x100, v6
	v_cmp_gt_u32_e32 vcc, s3, v7
	s_and_saveexec_b64 s[4:5], vcc
	s_cbranch_execz .LBB1112_15
; %bb.14:
	global_load_dword v12, v[4:5], off offset:1024
.LBB1112_15:
	s_or_b64 exec, exec, s[4:5]
	v_or_b32_e32 v7, 0x140, v6
	v_cmp_gt_u32_e32 vcc, s3, v7
	v_mov_b32_e32 v14, -1
	;; [unrolled: 18-line block ×3, first 2 shown]
	s_and_saveexec_b64 s[4:5], vcc
	s_cbranch_execz .LBB1112_21
; %bb.20:
	global_load_dword v16, v[4:5], off offset:1792
.LBB1112_21:
	s_or_b64 exec, exec, s[4:5]
	s_load_dword s4, s[0:1], 0x64
	s_load_dword s26, s[0:1], 0x58
	s_add_u32 s5, s0, 0x58
	s_addc_u32 s6, s1, 0
	v_mov_b32_e32 v5, 0
	s_waitcnt lgkmcnt(0)
	s_lshr_b32 s7, s4, 16
	s_cmp_lt_u32 s2, s26
	s_cselect_b32 s4, 12, 18
	s_add_u32 s4, s5, s4
	s_addc_u32 s5, s6, 0
	global_load_ushort v17, v5, s[4:5]
	s_lshl_b32 s4, -1, s25
	s_waitcnt vmcnt(1)
	v_lshrrev_b32_e32 v19, s24, v10
	s_not_b32 s33, s4
	v_bfe_u32 v4, v0, 10, 10
	v_bfe_u32 v7, v0, 20, 10
	v_and_b32_e32 v28, s33, v19
	v_mul_u32_u24_e32 v6, 5, v2
	v_mad_u32_u24 v30, v7, s7, v4
	v_and_b32_e32 v4, 1, v28
	v_lshlrev_b32_e32 v7, 30, v28
	v_lshlrev_b32_e32 v9, 2, v6
	v_mov_b32_e32 v6, v5
	v_mov_b32_e32 v20, v5
	v_lshl_add_u32 v32, v28, 4, v28
	v_lshlrev_b32_e32 v19, 29, v28
	v_lshlrev_b32_e32 v21, 28, v28
	;; [unrolled: 1-line block ×6, first 2 shown]
	v_lshl_add_u64 v[28:29], v[4:5], 0, -1
	v_cmp_ne_u32_e32 vcc, 0, v4
	v_not_b32_e32 v4, v7
	v_mov_b32_e32 v18, v5
	v_mov_b32_e32 v22, v5
	v_cmp_gt_i64_e64 s[4:5], 0, v[6:7]
	v_not_b32_e32 v6, v19
	v_cmp_gt_i64_e64 s[8:9], 0, v[20:21]
	v_not_b32_e32 v7, v21
	v_xor_b32_e32 v21, vcc_hi, v29
	v_ashrrev_i32_e32 v4, 31, v4
	v_mov_b32_e32 v24, v5
	v_cmp_gt_i64_e64 s[6:7], 0, v[18:19]
	v_cmp_gt_i64_e64 s[12:13], 0, v[22:23]
	v_not_b32_e32 v18, v23
	v_xor_b32_e32 v22, vcc_lo, v28
	v_ashrrev_i32_e32 v6, 31, v6
	v_and_b32_e32 v21, exec_hi, v21
	v_xor_b32_e32 v23, s5, v4
	v_cmp_gt_i64_e64 s[14:15], 0, v[24:25]
	v_ashrrev_i32_e32 v7, 31, v7
	v_and_b32_e32 v22, exec_lo, v22
	v_xor_b32_e32 v4, s4, v4
	v_xor_b32_e32 v24, s7, v6
	v_and_b32_e32 v21, v21, v23
	v_mov_b32_e32 v26, v5
	v_not_b32_e32 v19, v25
	v_ashrrev_i32_e32 v18, 31, v18
	v_xor_b32_e32 v6, s6, v6
	v_xor_b32_e32 v25, s9, v7
	v_and_b32_e32 v4, v22, v4
	v_and_b32_e32 v21, v21, v24
	v_cmp_gt_i64_e64 s[16:17], 0, v[26:27]
	v_not_b32_e32 v20, v27
	v_ashrrev_i32_e32 v19, 31, v19
	v_xor_b32_e32 v26, s13, v18
	v_and_b32_e32 v4, v4, v6
	v_and_b32_e32 v6, v21, v25
	v_ashrrev_i32_e32 v20, 31, v20
	v_xor_b32_e32 v7, s8, v7
	v_xor_b32_e32 v27, s15, v19
	v_and_b32_e32 v6, v6, v26
	v_xor_b32_e32 v18, s12, v18
	v_xor_b32_e32 v28, s17, v20
	v_and_b32_e32 v4, v4, v7
	v_and_b32_e32 v6, v6, v27
	;; [unrolled: 1-line block ×4, first 2 shown]
	v_xor_b32_e32 v19, s14, v19
	v_xor_b32_e32 v20, s16, v20
	v_and_b32_e32 v4, v4, v19
	v_and_b32_e32 v4, v4, v20
	ds_write2_b32 v9, v5, v5 offset0:16 offset1:17
	ds_write2_b32 v9, v5, v5 offset0:18 offset1:19
	ds_write_b32 v9, v5 offset:80
	s_waitcnt lgkmcnt(0)
	s_barrier
	s_waitcnt lgkmcnt(0)
	; wave barrier
	s_waitcnt vmcnt(0)
	v_mad_u64_u32 v[6:7], s[4:5], v30, v17, v[2:3]
	v_lshrrev_b32_e32 v28, 6, v6
	v_mov_b32_e32 v30, v5
	v_not_b32_e32 v6, v31
	v_cmp_gt_i64_e32 vcc, 0, v[30:31]
	v_ashrrev_i32_e32 v6, 31, v6
	v_add_lshl_u32 v21, v28, v32, 2
	v_xor_b32_e32 v7, vcc_hi, v6
	v_xor_b32_e32 v6, vcc_lo, v6
	v_and_b32_e32 v6, v4, v6
	v_and_b32_e32 v7, v18, v7
	v_mbcnt_lo_u32_b32 v4, v6, 0
	v_mbcnt_hi_u32_b32 v17, v7, v4
	v_cmp_eq_u32_e32 vcc, 0, v17
	v_cmp_ne_u64_e64 s[4:5], 0, v[6:7]
	s_and_b64 s[6:7], s[4:5], vcc
	s_and_saveexec_b64 s[4:5], s[6:7]
	s_cbranch_execz .LBB1112_23
; %bb.22:
	v_bcnt_u32_b32 v4, v6, 0
	v_bcnt_u32_b32 v4, v7, v4
	ds_write_b32 v21, v4 offset:64
.LBB1112_23:
	s_or_b64 exec, exec, s[4:5]
	v_lshrrev_b32_e32 v4, s24, v11
	v_and_b32_e32 v19, s33, v4
	v_lshl_add_u32 v4, v19, 4, v19
	v_add_lshl_u32 v22, v28, v4, 2
	v_and_b32_e32 v4, 1, v19
	v_lshl_add_u64 v[6:7], v[4:5], 0, -1
	v_cmp_ne_u32_e32 vcc, 0, v4
	; wave barrier
	s_nop 1
	v_xor_b32_e32 v6, vcc_lo, v6
	v_xor_b32_e32 v4, vcc_hi, v7
	v_and_b32_e32 v20, exec_lo, v6
	v_lshlrev_b32_e32 v7, 30, v19
	v_mov_b32_e32 v6, v5
	v_cmp_gt_i64_e32 vcc, 0, v[6:7]
	v_not_b32_e32 v6, v7
	v_ashrrev_i32_e32 v6, 31, v6
	v_and_b32_e32 v4, exec_hi, v4
	v_xor_b32_e32 v7, vcc_hi, v6
	v_xor_b32_e32 v6, vcc_lo, v6
	v_and_b32_e32 v4, v4, v7
	v_and_b32_e32 v20, v20, v6
	v_lshlrev_b32_e32 v7, 29, v19
	v_mov_b32_e32 v6, v5
	v_cmp_gt_i64_e32 vcc, 0, v[6:7]
	v_not_b32_e32 v6, v7
	v_ashrrev_i32_e32 v6, 31, v6
	v_xor_b32_e32 v7, vcc_hi, v6
	v_xor_b32_e32 v6, vcc_lo, v6
	v_and_b32_e32 v4, v4, v7
	v_and_b32_e32 v20, v20, v6
	v_lshlrev_b32_e32 v7, 28, v19
	v_mov_b32_e32 v6, v5
	v_cmp_gt_i64_e32 vcc, 0, v[6:7]
	v_not_b32_e32 v6, v7
	v_ashrrev_i32_e32 v6, 31, v6
	;; [unrolled: 9-line block ×5, first 2 shown]
	v_xor_b32_e32 v7, vcc_hi, v6
	v_xor_b32_e32 v6, vcc_lo, v6
	v_and_b32_e32 v4, v4, v7
	v_lshlrev_b32_e32 v7, 24, v19
	v_and_b32_e32 v20, v20, v6
	v_mov_b32_e32 v6, v5
	v_not_b32_e32 v5, v7
	v_cmp_gt_i64_e32 vcc, 0, v[6:7]
	v_ashrrev_i32_e32 v5, 31, v5
	ds_read_b32 v18, v22 offset:64
	v_xor_b32_e32 v6, vcc_hi, v5
	v_xor_b32_e32 v7, vcc_lo, v5
	v_and_b32_e32 v5, v4, v6
	v_and_b32_e32 v4, v20, v7
	v_mbcnt_lo_u32_b32 v6, v4, 0
	v_mbcnt_hi_u32_b32 v19, v5, v6
	v_cmp_eq_u32_e32 vcc, 0, v19
	v_cmp_ne_u64_e64 s[4:5], 0, v[4:5]
	s_and_b64 s[6:7], s[4:5], vcc
	; wave barrier
	s_and_saveexec_b64 s[4:5], s[6:7]
	s_cbranch_execz .LBB1112_25
; %bb.24:
	v_bcnt_u32_b32 v4, v4, 0
	v_bcnt_u32_b32 v4, v5, v4
	s_waitcnt lgkmcnt(0)
	v_add_u32_e32 v4, v18, v4
	ds_write_b32 v22, v4 offset:64
.LBB1112_25:
	s_or_b64 exec, exec, s[4:5]
	v_lshrrev_b32_e32 v4, s24, v3
	v_and_b32_e32 v23, s33, v4
	v_lshl_add_u32 v4, v23, 4, v23
	v_add_lshl_u32 v25, v28, v4, 2
	v_and_b32_e32 v4, 1, v23
	v_mov_b32_e32 v5, 0
	v_lshl_add_u64 v[6:7], v[4:5], 0, -1
	v_cmp_ne_u32_e32 vcc, 0, v4
	; wave barrier
	s_nop 1
	v_xor_b32_e32 v6, vcc_lo, v6
	v_xor_b32_e32 v4, vcc_hi, v7
	v_and_b32_e32 v24, exec_lo, v6
	v_lshlrev_b32_e32 v7, 30, v23
	v_mov_b32_e32 v6, v5
	v_cmp_gt_i64_e32 vcc, 0, v[6:7]
	v_not_b32_e32 v6, v7
	v_ashrrev_i32_e32 v6, 31, v6
	v_and_b32_e32 v4, exec_hi, v4
	v_xor_b32_e32 v7, vcc_hi, v6
	v_xor_b32_e32 v6, vcc_lo, v6
	v_and_b32_e32 v4, v4, v7
	v_and_b32_e32 v24, v24, v6
	v_lshlrev_b32_e32 v7, 29, v23
	v_mov_b32_e32 v6, v5
	v_cmp_gt_i64_e32 vcc, 0, v[6:7]
	v_not_b32_e32 v6, v7
	v_ashrrev_i32_e32 v6, 31, v6
	v_xor_b32_e32 v7, vcc_hi, v6
	v_xor_b32_e32 v6, vcc_lo, v6
	v_and_b32_e32 v4, v4, v7
	v_and_b32_e32 v24, v24, v6
	v_lshlrev_b32_e32 v7, 28, v23
	v_mov_b32_e32 v6, v5
	v_cmp_gt_i64_e32 vcc, 0, v[6:7]
	v_not_b32_e32 v6, v7
	v_ashrrev_i32_e32 v6, 31, v6
	;; [unrolled: 9-line block ×6, first 2 shown]
	v_xor_b32_e32 v7, vcc_hi, v6
	v_xor_b32_e32 v6, vcc_lo, v6
	ds_read_b32 v20, v25 offset:64
	v_and_b32_e32 v6, v24, v6
	v_and_b32_e32 v7, v4, v7
	v_mbcnt_lo_u32_b32 v4, v6, 0
	v_mbcnt_hi_u32_b32 v23, v7, v4
	v_cmp_eq_u32_e32 vcc, 0, v23
	v_cmp_ne_u64_e64 s[4:5], 0, v[6:7]
	s_and_b64 s[6:7], s[4:5], vcc
	; wave barrier
	s_and_saveexec_b64 s[4:5], s[6:7]
	s_cbranch_execz .LBB1112_27
; %bb.26:
	v_bcnt_u32_b32 v4, v6, 0
	v_bcnt_u32_b32 v4, v7, v4
	s_waitcnt lgkmcnt(0)
	v_add_u32_e32 v4, v20, v4
	ds_write_b32 v25, v4 offset:64
.LBB1112_27:
	s_or_b64 exec, exec, s[4:5]
	v_lshrrev_b32_e32 v4, s24, v13
	v_and_b32_e32 v26, s33, v4
	v_lshl_add_u32 v4, v26, 4, v26
	v_add_lshl_u32 v29, v28, v4, 2
	v_and_b32_e32 v4, 1, v26
	v_lshl_add_u64 v[6:7], v[4:5], 0, -1
	v_cmp_ne_u32_e32 vcc, 0, v4
	; wave barrier
	s_nop 1
	v_xor_b32_e32 v6, vcc_lo, v6
	v_xor_b32_e32 v4, vcc_hi, v7
	v_and_b32_e32 v27, exec_lo, v6
	v_lshlrev_b32_e32 v7, 30, v26
	v_mov_b32_e32 v6, v5
	v_cmp_gt_i64_e32 vcc, 0, v[6:7]
	v_not_b32_e32 v6, v7
	v_ashrrev_i32_e32 v6, 31, v6
	v_and_b32_e32 v4, exec_hi, v4
	v_xor_b32_e32 v7, vcc_hi, v6
	v_xor_b32_e32 v6, vcc_lo, v6
	v_and_b32_e32 v4, v4, v7
	v_and_b32_e32 v27, v27, v6
	v_lshlrev_b32_e32 v7, 29, v26
	v_mov_b32_e32 v6, v5
	v_cmp_gt_i64_e32 vcc, 0, v[6:7]
	v_not_b32_e32 v6, v7
	v_ashrrev_i32_e32 v6, 31, v6
	v_xor_b32_e32 v7, vcc_hi, v6
	v_xor_b32_e32 v6, vcc_lo, v6
	v_and_b32_e32 v4, v4, v7
	v_and_b32_e32 v27, v27, v6
	v_lshlrev_b32_e32 v7, 28, v26
	v_mov_b32_e32 v6, v5
	v_cmp_gt_i64_e32 vcc, 0, v[6:7]
	v_not_b32_e32 v6, v7
	v_ashrrev_i32_e32 v6, 31, v6
	;; [unrolled: 9-line block ×5, first 2 shown]
	v_xor_b32_e32 v7, vcc_hi, v6
	v_xor_b32_e32 v6, vcc_lo, v6
	v_and_b32_e32 v4, v4, v7
	v_lshlrev_b32_e32 v7, 24, v26
	v_and_b32_e32 v27, v27, v6
	v_mov_b32_e32 v6, v5
	v_not_b32_e32 v5, v7
	v_cmp_gt_i64_e32 vcc, 0, v[6:7]
	v_ashrrev_i32_e32 v5, 31, v5
	ds_read_b32 v24, v29 offset:64
	v_xor_b32_e32 v6, vcc_hi, v5
	v_xor_b32_e32 v7, vcc_lo, v5
	v_and_b32_e32 v5, v4, v6
	v_and_b32_e32 v4, v27, v7
	v_mbcnt_lo_u32_b32 v6, v4, 0
	v_mbcnt_hi_u32_b32 v26, v5, v6
	v_cmp_eq_u32_e32 vcc, 0, v26
	v_cmp_ne_u64_e64 s[4:5], 0, v[4:5]
	s_and_b64 s[6:7], s[4:5], vcc
	; wave barrier
	s_and_saveexec_b64 s[4:5], s[6:7]
	s_cbranch_execz .LBB1112_29
; %bb.28:
	v_bcnt_u32_b32 v4, v4, 0
	v_bcnt_u32_b32 v4, v5, v4
	s_waitcnt lgkmcnt(0)
	v_add_u32_e32 v4, v24, v4
	ds_write_b32 v29, v4 offset:64
.LBB1112_29:
	s_or_b64 exec, exec, s[4:5]
	v_lshrrev_b32_e32 v4, s24, v12
	v_and_b32_e32 v30, s33, v4
	v_lshl_add_u32 v4, v30, 4, v30
	v_add_lshl_u32 v32, v28, v4, 2
	v_and_b32_e32 v4, 1, v30
	v_mov_b32_e32 v5, 0
	v_lshl_add_u64 v[6:7], v[4:5], 0, -1
	v_cmp_ne_u32_e32 vcc, 0, v4
	; wave barrier
	s_nop 1
	v_xor_b32_e32 v6, vcc_lo, v6
	v_xor_b32_e32 v4, vcc_hi, v7
	v_and_b32_e32 v31, exec_lo, v6
	v_lshlrev_b32_e32 v7, 30, v30
	v_mov_b32_e32 v6, v5
	v_cmp_gt_i64_e32 vcc, 0, v[6:7]
	v_not_b32_e32 v6, v7
	v_ashrrev_i32_e32 v6, 31, v6
	v_and_b32_e32 v4, exec_hi, v4
	v_xor_b32_e32 v7, vcc_hi, v6
	v_xor_b32_e32 v6, vcc_lo, v6
	v_and_b32_e32 v4, v4, v7
	v_and_b32_e32 v31, v31, v6
	v_lshlrev_b32_e32 v7, 29, v30
	v_mov_b32_e32 v6, v5
	v_cmp_gt_i64_e32 vcc, 0, v[6:7]
	v_not_b32_e32 v6, v7
	v_ashrrev_i32_e32 v6, 31, v6
	v_xor_b32_e32 v7, vcc_hi, v6
	v_xor_b32_e32 v6, vcc_lo, v6
	v_and_b32_e32 v4, v4, v7
	v_and_b32_e32 v31, v31, v6
	v_lshlrev_b32_e32 v7, 28, v30
	v_mov_b32_e32 v6, v5
	v_cmp_gt_i64_e32 vcc, 0, v[6:7]
	v_not_b32_e32 v6, v7
	v_ashrrev_i32_e32 v6, 31, v6
	;; [unrolled: 9-line block ×6, first 2 shown]
	v_xor_b32_e32 v7, vcc_hi, v6
	v_xor_b32_e32 v6, vcc_lo, v6
	ds_read_b32 v27, v32 offset:64
	v_and_b32_e32 v6, v31, v6
	v_and_b32_e32 v7, v4, v7
	v_mbcnt_lo_u32_b32 v4, v6, 0
	v_mbcnt_hi_u32_b32 v30, v7, v4
	v_cmp_eq_u32_e32 vcc, 0, v30
	v_cmp_ne_u64_e64 s[4:5], 0, v[6:7]
	s_and_b64 s[6:7], s[4:5], vcc
	; wave barrier
	s_and_saveexec_b64 s[4:5], s[6:7]
	s_cbranch_execz .LBB1112_31
; %bb.30:
	v_bcnt_u32_b32 v4, v6, 0
	v_bcnt_u32_b32 v4, v7, v4
	s_waitcnt lgkmcnt(0)
	v_add_u32_e32 v4, v27, v4
	ds_write_b32 v32, v4 offset:64
.LBB1112_31:
	s_or_b64 exec, exec, s[4:5]
	v_lshrrev_b32_e32 v4, s24, v15
	v_and_b32_e32 v33, s33, v4
	v_lshl_add_u32 v4, v33, 4, v33
	v_add_lshl_u32 v35, v28, v4, 2
	v_and_b32_e32 v4, 1, v33
	v_lshl_add_u64 v[6:7], v[4:5], 0, -1
	v_cmp_ne_u32_e32 vcc, 0, v4
	; wave barrier
	s_nop 1
	v_xor_b32_e32 v6, vcc_lo, v6
	v_xor_b32_e32 v4, vcc_hi, v7
	v_and_b32_e32 v34, exec_lo, v6
	v_lshlrev_b32_e32 v7, 30, v33
	v_mov_b32_e32 v6, v5
	v_cmp_gt_i64_e32 vcc, 0, v[6:7]
	v_not_b32_e32 v6, v7
	v_ashrrev_i32_e32 v6, 31, v6
	v_and_b32_e32 v4, exec_hi, v4
	v_xor_b32_e32 v7, vcc_hi, v6
	v_xor_b32_e32 v6, vcc_lo, v6
	v_and_b32_e32 v4, v4, v7
	v_and_b32_e32 v34, v34, v6
	v_lshlrev_b32_e32 v7, 29, v33
	v_mov_b32_e32 v6, v5
	v_cmp_gt_i64_e32 vcc, 0, v[6:7]
	v_not_b32_e32 v6, v7
	v_ashrrev_i32_e32 v6, 31, v6
	v_xor_b32_e32 v7, vcc_hi, v6
	v_xor_b32_e32 v6, vcc_lo, v6
	v_and_b32_e32 v4, v4, v7
	v_and_b32_e32 v34, v34, v6
	v_lshlrev_b32_e32 v7, 28, v33
	v_mov_b32_e32 v6, v5
	v_cmp_gt_i64_e32 vcc, 0, v[6:7]
	v_not_b32_e32 v6, v7
	v_ashrrev_i32_e32 v6, 31, v6
	;; [unrolled: 9-line block ×5, first 2 shown]
	v_xor_b32_e32 v7, vcc_hi, v6
	v_xor_b32_e32 v6, vcc_lo, v6
	v_and_b32_e32 v4, v4, v7
	v_lshlrev_b32_e32 v7, 24, v33
	v_and_b32_e32 v34, v34, v6
	v_mov_b32_e32 v6, v5
	v_not_b32_e32 v5, v7
	v_cmp_gt_i64_e32 vcc, 0, v[6:7]
	v_ashrrev_i32_e32 v5, 31, v5
	ds_read_b32 v31, v35 offset:64
	v_xor_b32_e32 v6, vcc_hi, v5
	v_xor_b32_e32 v7, vcc_lo, v5
	v_and_b32_e32 v5, v4, v6
	v_and_b32_e32 v4, v34, v7
	v_mbcnt_lo_u32_b32 v6, v4, 0
	v_mbcnt_hi_u32_b32 v33, v5, v6
	v_cmp_eq_u32_e32 vcc, 0, v33
	v_cmp_ne_u64_e64 s[4:5], 0, v[4:5]
	s_and_b64 s[6:7], s[4:5], vcc
	; wave barrier
	s_and_saveexec_b64 s[4:5], s[6:7]
	s_cbranch_execz .LBB1112_33
; %bb.32:
	v_bcnt_u32_b32 v4, v4, 0
	v_bcnt_u32_b32 v4, v5, v4
	s_waitcnt lgkmcnt(0)
	v_add_u32_e32 v4, v31, v4
	ds_write_b32 v35, v4 offset:64
.LBB1112_33:
	s_or_b64 exec, exec, s[4:5]
	v_lshrrev_b32_e32 v4, s24, v14
	v_and_b32_e32 v36, s33, v4
	v_lshl_add_u32 v4, v36, 4, v36
	v_add_lshl_u32 v37, v28, v4, 2
	v_and_b32_e32 v4, 1, v36
	v_mov_b32_e32 v5, 0
	v_lshl_add_u64 v[6:7], v[4:5], 0, -1
	v_cmp_ne_u32_e32 vcc, 0, v4
	; wave barrier
	s_nop 1
	v_xor_b32_e32 v6, vcc_lo, v6
	v_xor_b32_e32 v4, vcc_hi, v7
	v_and_b32_e32 v38, exec_lo, v6
	v_lshlrev_b32_e32 v7, 30, v36
	v_mov_b32_e32 v6, v5
	v_cmp_gt_i64_e32 vcc, 0, v[6:7]
	v_not_b32_e32 v6, v7
	v_ashrrev_i32_e32 v6, 31, v6
	v_and_b32_e32 v4, exec_hi, v4
	v_xor_b32_e32 v7, vcc_hi, v6
	v_xor_b32_e32 v6, vcc_lo, v6
	v_and_b32_e32 v4, v4, v7
	v_and_b32_e32 v38, v38, v6
	v_lshlrev_b32_e32 v7, 29, v36
	v_mov_b32_e32 v6, v5
	v_cmp_gt_i64_e32 vcc, 0, v[6:7]
	v_not_b32_e32 v6, v7
	v_ashrrev_i32_e32 v6, 31, v6
	v_xor_b32_e32 v7, vcc_hi, v6
	v_xor_b32_e32 v6, vcc_lo, v6
	v_and_b32_e32 v4, v4, v7
	v_and_b32_e32 v38, v38, v6
	v_lshlrev_b32_e32 v7, 28, v36
	v_mov_b32_e32 v6, v5
	v_cmp_gt_i64_e32 vcc, 0, v[6:7]
	v_not_b32_e32 v6, v7
	v_ashrrev_i32_e32 v6, 31, v6
	v_xor_b32_e32 v7, vcc_hi, v6
	v_xor_b32_e32 v6, vcc_lo, v6
	v_and_b32_e32 v4, v4, v7
	v_and_b32_e32 v38, v38, v6
	v_lshlrev_b32_e32 v7, 27, v36
	v_mov_b32_e32 v6, v5
	v_cmp_gt_i64_e32 vcc, 0, v[6:7]
	v_not_b32_e32 v6, v7
	v_ashrrev_i32_e32 v6, 31, v6
	v_xor_b32_e32 v7, vcc_hi, v6
	v_xor_b32_e32 v6, vcc_lo, v6
	v_and_b32_e32 v4, v4, v7
	v_and_b32_e32 v38, v38, v6
	v_lshlrev_b32_e32 v7, 26, v36
	v_mov_b32_e32 v6, v5
	v_cmp_gt_i64_e32 vcc, 0, v[6:7]
	v_not_b32_e32 v6, v7
	v_ashrrev_i32_e32 v6, 31, v6
	v_xor_b32_e32 v7, vcc_hi, v6
	v_xor_b32_e32 v6, vcc_lo, v6
	v_and_b32_e32 v4, v4, v7
	v_and_b32_e32 v38, v38, v6
	v_lshlrev_b32_e32 v7, 25, v36
	v_mov_b32_e32 v6, v5
	v_cmp_gt_i64_e32 vcc, 0, v[6:7]
	v_not_b32_e32 v6, v7
	v_ashrrev_i32_e32 v6, 31, v6
	v_xor_b32_e32 v7, vcc_hi, v6
	v_xor_b32_e32 v6, vcc_lo, v6
	v_and_b32_e32 v4, v4, v7
	v_and_b32_e32 v38, v38, v6
	v_lshlrev_b32_e32 v7, 24, v36
	v_mov_b32_e32 v6, v5
	v_cmp_gt_i64_e32 vcc, 0, v[6:7]
	v_not_b32_e32 v6, v7
	v_ashrrev_i32_e32 v6, 31, v6
	v_xor_b32_e32 v7, vcc_hi, v6
	v_xor_b32_e32 v6, vcc_lo, v6
	ds_read_b32 v34, v37 offset:64
	v_and_b32_e32 v6, v38, v6
	v_and_b32_e32 v7, v4, v7
	v_mbcnt_lo_u32_b32 v4, v6, 0
	v_mbcnt_hi_u32_b32 v36, v7, v4
	v_cmp_eq_u32_e32 vcc, 0, v36
	v_cmp_ne_u64_e64 s[4:5], 0, v[6:7]
	s_and_b64 s[6:7], s[4:5], vcc
	; wave barrier
	s_and_saveexec_b64 s[4:5], s[6:7]
	s_cbranch_execz .LBB1112_35
; %bb.34:
	v_bcnt_u32_b32 v4, v6, 0
	v_bcnt_u32_b32 v4, v7, v4
	s_waitcnt lgkmcnt(0)
	v_add_u32_e32 v4, v34, v4
	ds_write_b32 v37, v4 offset:64
.LBB1112_35:
	s_or_b64 exec, exec, s[4:5]
	v_lshrrev_b32_e32 v4, s24, v16
	v_and_b32_e32 v38, s33, v4
	v_lshl_add_u32 v4, v38, 4, v38
	v_add_lshl_u32 v39, v28, v4, 2
	v_and_b32_e32 v4, 1, v38
	v_lshl_add_u64 v[6:7], v[4:5], 0, -1
	v_cmp_ne_u32_e32 vcc, 0, v4
	; wave barrier
	s_nop 1
	v_xor_b32_e32 v6, vcc_lo, v6
	v_xor_b32_e32 v4, vcc_hi, v7
	v_and_b32_e32 v41, exec_lo, v6
	v_lshlrev_b32_e32 v7, 30, v38
	v_mov_b32_e32 v6, v5
	v_cmp_gt_i64_e32 vcc, 0, v[6:7]
	v_not_b32_e32 v6, v7
	v_ashrrev_i32_e32 v6, 31, v6
	v_and_b32_e32 v4, exec_hi, v4
	v_xor_b32_e32 v7, vcc_hi, v6
	v_xor_b32_e32 v6, vcc_lo, v6
	v_and_b32_e32 v4, v4, v7
	v_and_b32_e32 v41, v41, v6
	v_lshlrev_b32_e32 v7, 29, v38
	v_mov_b32_e32 v6, v5
	v_cmp_gt_i64_e32 vcc, 0, v[6:7]
	v_not_b32_e32 v6, v7
	v_ashrrev_i32_e32 v6, 31, v6
	v_xor_b32_e32 v7, vcc_hi, v6
	v_xor_b32_e32 v6, vcc_lo, v6
	v_and_b32_e32 v4, v4, v7
	v_and_b32_e32 v41, v41, v6
	v_lshlrev_b32_e32 v7, 28, v38
	v_mov_b32_e32 v6, v5
	v_cmp_gt_i64_e32 vcc, 0, v[6:7]
	v_not_b32_e32 v6, v7
	v_ashrrev_i32_e32 v6, 31, v6
	;; [unrolled: 9-line block ×5, first 2 shown]
	v_xor_b32_e32 v7, vcc_hi, v6
	v_xor_b32_e32 v6, vcc_lo, v6
	v_and_b32_e32 v4, v4, v7
	v_lshlrev_b32_e32 v7, 24, v38
	v_and_b32_e32 v41, v41, v6
	v_mov_b32_e32 v6, v5
	v_not_b32_e32 v5, v7
	v_cmp_gt_i64_e32 vcc, 0, v[6:7]
	v_ashrrev_i32_e32 v5, 31, v5
	ds_read_b32 v28, v39 offset:64
	v_xor_b32_e32 v6, vcc_hi, v5
	v_xor_b32_e32 v7, vcc_lo, v5
	v_and_b32_e32 v5, v4, v6
	v_and_b32_e32 v4, v41, v7
	v_mbcnt_lo_u32_b32 v6, v4, 0
	v_mbcnt_hi_u32_b32 v38, v5, v6
	v_cmp_eq_u32_e32 vcc, 0, v38
	v_cmp_ne_u64_e64 s[4:5], 0, v[4:5]
	v_add_u32_e32 v40, 64, v9
	s_and_b64 s[6:7], s[4:5], vcc
	; wave barrier
	s_and_saveexec_b64 s[4:5], s[6:7]
	s_cbranch_execz .LBB1112_37
; %bb.36:
	v_bcnt_u32_b32 v4, v4, 0
	v_bcnt_u32_b32 v4, v5, v4
	s_waitcnt lgkmcnt(0)
	v_add_u32_e32 v4, v28, v4
	ds_write_b32 v39, v4 offset:64
.LBB1112_37:
	s_or_b64 exec, exec, s[4:5]
	; wave barrier
	s_waitcnt lgkmcnt(0)
	s_barrier
	ds_read2_b32 v[6:7], v9 offset0:16 offset1:17
	ds_read2_b32 v[4:5], v40 offset0:2 offset1:3
	ds_read_b32 v41, v40 offset:16
	v_cmp_lt_u32_e64 s[12:13], 31, v8
	s_waitcnt lgkmcnt(1)
	v_add3_u32 v42, v7, v6, v4
	s_waitcnt lgkmcnt(0)
	v_add3_u32 v41, v42, v5, v41
	v_and_b32_e32 v42, 15, v8
	v_cmp_eq_u32_e32 vcc, 0, v42
	v_mov_b32_dpp v43, v41 row_shr:1 row_mask:0xf bank_mask:0xf
	v_cmp_lt_u32_e64 s[4:5], 1, v42
	v_cndmask_b32_e64 v43, v43, 0, vcc
	v_add_u32_e32 v41, v43, v41
	v_cmp_lt_u32_e64 s[6:7], 3, v42
	v_cmp_lt_u32_e64 s[8:9], 7, v42
	v_mov_b32_dpp v43, v41 row_shr:2 row_mask:0xf bank_mask:0xf
	v_cndmask_b32_e64 v43, 0, v43, s[4:5]
	v_add_u32_e32 v41, v41, v43
	s_nop 1
	v_mov_b32_dpp v43, v41 row_shr:4 row_mask:0xf bank_mask:0xf
	v_cndmask_b32_e64 v43, 0, v43, s[6:7]
	v_add_u32_e32 v41, v41, v43
	s_nop 1
	v_mov_b32_dpp v43, v41 row_shr:8 row_mask:0xf bank_mask:0xf
	v_cndmask_b32_e64 v42, 0, v43, s[8:9]
	v_add_u32_e32 v41, v41, v42
	v_bfe_i32 v43, v8, 4, 1
	s_nop 0
	v_mov_b32_dpp v42, v41 row_bcast:15 row_mask:0xf bank_mask:0xf
	v_and_b32_e32 v42, v43, v42
	v_add_u32_e32 v41, v41, v42
	v_and_b32_e32 v43, 63, v2
	s_nop 0
	v_mov_b32_dpp v42, v41 row_bcast:31 row_mask:0xf bank_mask:0xf
	v_cndmask_b32_e64 v42, 0, v42, s[12:13]
	v_add_u32_e32 v41, v41, v42
	v_lshrrev_b32_e32 v42, 6, v2
	v_cmp_eq_u32_e64 s[12:13], 63, v43
	s_and_saveexec_b64 s[14:15], s[12:13]
	s_cbranch_execz .LBB1112_39
; %bb.38:
	v_lshlrev_b32_e32 v43, 2, v42
	ds_write_b32 v43, v41
.LBB1112_39:
	s_or_b64 exec, exec, s[14:15]
	v_cmp_gt_u32_e64 s[12:13], 16, v2
	s_waitcnt lgkmcnt(0)
	s_barrier
	s_and_saveexec_b64 s[14:15], s[12:13]
	s_cbranch_execz .LBB1112_41
; %bb.40:
	v_lshlrev_b32_e32 v43, 2, v2
	ds_read_b32 v44, v43
	s_waitcnt lgkmcnt(0)
	s_nop 0
	v_mov_b32_dpp v45, v44 row_shr:1 row_mask:0xf bank_mask:0xf
	v_cndmask_b32_e64 v45, v45, 0, vcc
	v_add_u32_e32 v44, v45, v44
	s_nop 1
	v_mov_b32_dpp v45, v44 row_shr:2 row_mask:0xf bank_mask:0xf
	v_cndmask_b32_e64 v45, 0, v45, s[4:5]
	v_add_u32_e32 v44, v44, v45
	s_nop 1
	v_mov_b32_dpp v45, v44 row_shr:4 row_mask:0xf bank_mask:0xf
	v_cndmask_b32_e64 v45, 0, v45, s[6:7]
	;; [unrolled: 4-line block ×3, first 2 shown]
	v_add_u32_e32 v44, v44, v45
	ds_write_b32 v43, v44
.LBB1112_41:
	s_or_b64 exec, exec, s[14:15]
	v_cmp_lt_u32_e32 vcc, 63, v2
	v_mov_b32_e32 v43, 0
	s_waitcnt lgkmcnt(0)
	s_barrier
	s_and_saveexec_b64 s[4:5], vcc
	s_cbranch_execz .LBB1112_43
; %bb.42:
	v_lshl_add_u32 v42, v42, 2, -4
	ds_read_b32 v43, v42
.LBB1112_43:
	s_or_b64 exec, exec, s[4:5]
	v_add_u32_e32 v42, -1, v8
	v_and_b32_e32 v44, 64, v8
	v_cmp_lt_i32_e32 vcc, v42, v44
	s_waitcnt lgkmcnt(0)
	v_add_u32_e32 v41, v43, v41
	s_movk_i32 s4, 0x100
	v_cndmask_b32_e32 v42, v42, v8, vcc
	v_lshlrev_b32_e32 v42, 2, v42
	ds_bpermute_b32 v41, v42, v41
	v_cmp_eq_u32_e32 vcc, 0, v8
	v_cmp_gt_u32_e64 s[4:5], s4, v2
	s_waitcnt lgkmcnt(0)
	v_cndmask_b32_e32 v8, v41, v43, vcc
	v_cndmask_b32_e64 v8, v8, 0, s[10:11]
	v_add_u32_e32 v6, v8, v6
	v_add_u32_e32 v7, v6, v7
	;; [unrolled: 1-line block ×4, first 2 shown]
	ds_write2_b32 v9, v8, v6 offset0:16 offset1:17
	ds_write2_b32 v40, v7, v4 offset0:2 offset1:3
	ds_write_b32 v40, v5 offset:16
	s_waitcnt lgkmcnt(0)
	s_barrier
	ds_read_b32 v40, v21 offset:64
	ds_read_b32 v41, v22 offset:64
	;; [unrolled: 1-line block ×8, first 2 shown]
                                        ; implicit-def: $vgpr21
                                        ; implicit-def: $vgpr22
	s_and_saveexec_b64 s[6:7], s[4:5]
	s_cbranch_execz .LBB1112_47
; %bb.44:
	v_mul_u32_u24_e32 v4, 17, v2
	v_lshlrev_b32_e32 v5, 2, v4
	ds_read_b32 v21, v5 offset:64
	s_movk_i32 s8, 0xff
	v_cmp_ne_u32_e32 vcc, s8, v2
	v_mov_b32_e32 v4, 0x2000
	s_and_saveexec_b64 s[8:9], vcc
	s_cbranch_execz .LBB1112_46
; %bb.45:
	ds_read_b32 v4, v5 offset:132
.LBB1112_46:
	s_or_b64 exec, exec, s[8:9]
	s_waitcnt lgkmcnt(0)
	v_sub_u32_e32 v22, v4, v21
.LBB1112_47:
	s_or_b64 exec, exec, s[6:7]
	s_waitcnt lgkmcnt(0)
	s_barrier
	s_and_saveexec_b64 s[6:7], s[4:5]
	s_cbranch_execz .LBB1112_57
; %bb.48:
	v_lshl_or_b32 v6, s27, 8, v2
	v_mov_b32_e32 v7, 0
	v_lshl_add_u64 v[4:5], v[6:7], 2, s[18:19]
	v_or_b32_e32 v6, 2.0, v22
	s_mov_b64 s[8:9], 0
	s_brev_b32 s16, 1
	s_mov_b32 s17, s27
	v_mov_b32_e32 v42, 0
	global_store_dword v[4:5], v6, off sc1
                                        ; implicit-def: $sgpr12_sgpr13
	s_branch .LBB1112_50
.LBB1112_49:                            ;   in Loop: Header=BB1112_50 Depth=1
	s_or_b64 exec, exec, s[12:13]
	v_and_b32_e32 v8, 0x3fffffff, v43
	v_add_u32_e32 v42, v8, v42
	v_cmp_eq_u32_e64 s[12:13], s16, v6
	s_and_b64 s[14:15], exec, s[12:13]
	s_or_b64 s[8:9], s[14:15], s[8:9]
	s_andn2_b64 exec, exec, s[8:9]
	s_cbranch_execz .LBB1112_56
.LBB1112_50:                            ; =>This Loop Header: Depth=1
                                        ;     Child Loop BB1112_53 Depth 2
	s_or_b64 s[12:13], s[12:13], exec
	s_cmp_eq_u32 s17, 0
	s_cbranch_scc1 .LBB1112_55
; %bb.51:                               ;   in Loop: Header=BB1112_50 Depth=1
	s_add_i32 s17, s17, -1
	v_lshl_or_b32 v6, s17, 8, v2
	v_lshl_add_u64 v[8:9], v[6:7], 2, s[18:19]
	global_load_dword v43, v[8:9], off sc1
	s_waitcnt vmcnt(0)
	v_and_b32_e32 v6, -2.0, v43
	v_cmp_eq_u32_e32 vcc, 0, v6
	s_and_saveexec_b64 s[12:13], vcc
	s_cbranch_execz .LBB1112_49
; %bb.52:                               ;   in Loop: Header=BB1112_50 Depth=1
	s_mov_b64 s[14:15], 0
.LBB1112_53:                            ;   Parent Loop BB1112_50 Depth=1
                                        ; =>  This Inner Loop Header: Depth=2
	global_load_dword v43, v[8:9], off sc1
	s_waitcnt vmcnt(0)
	v_and_b32_e32 v6, -2.0, v43
	v_cmp_ne_u32_e32 vcc, 0, v6
	s_or_b64 s[14:15], vcc, s[14:15]
	s_andn2_b64 exec, exec, s[14:15]
	s_cbranch_execnz .LBB1112_53
; %bb.54:                               ;   in Loop: Header=BB1112_50 Depth=1
	s_or_b64 exec, exec, s[14:15]
	s_branch .LBB1112_49
.LBB1112_55:                            ;   in Loop: Header=BB1112_50 Depth=1
                                        ; implicit-def: $sgpr17
	s_and_b64 s[14:15], exec, s[12:13]
	s_or_b64 s[8:9], s[14:15], s[8:9]
	s_andn2_b64 exec, exec, s[8:9]
	s_cbranch_execnz .LBB1112_50
.LBB1112_56:
	s_or_b64 exec, exec, s[8:9]
	v_add_u32_e32 v6, v42, v22
	v_or_b32_e32 v6, 0x80000000, v6
	global_store_dword v[4:5], v6, off sc1
	v_lshlrev_b32_e32 v4, 2, v2
	global_load_dword v5, v4, s[20:21]
	v_sub_u32_e32 v6, v42, v21
	s_waitcnt vmcnt(0)
	v_add_u32_e32 v5, v6, v5
	ds_write_b32 v4, v5
.LBB1112_57:
	s_or_b64 exec, exec, s[6:7]
	v_add_u32_e32 v6, v40, v17
	v_add3_u32 v7, v19, v18, v41
	v_add3_u32 v8, v23, v20, v25
	;; [unrolled: 1-line block ×7, first 2 shown]
	v_lshlrev_b32_e32 v23, 2, v2
	s_movk_i32 s12, 0x400
	v_add_u32_e32 v24, 0x400, v23
	v_lshlrev_b32_e32 v25, 2, v20
	v_lshlrev_b32_e32 v26, 2, v19
	;; [unrolled: 1-line block ×8, first 2 shown]
	s_mov_b64 s[6:7], -1
	s_mov_b32 s13, 0
	s_movk_i32 s14, 0x1000
	v_mov_b32_e32 v5, 0
	s_movk_i32 s15, 0x800
	s_movk_i32 s16, 0xc00
	v_mov_b32_e32 v33, v2
	s_branch .LBB1112_59
.LBB1112_58:                            ;   in Loop: Header=BB1112_59 Depth=1
	s_or_b64 exec, exec, s[8:9]
	s_xor_b64 s[8:9], s[6:7], -1
	s_addk_i32 s13, 0xc000
	v_add_u32_e32 v20, 0xfffff000, v20
	v_add_u32_e32 v19, 0xfffff000, v19
	;; [unrolled: 1-line block ×9, first 2 shown]
	s_mov_b64 s[6:7], 0
	s_and_b64 vcc, exec, s[8:9]
	s_barrier
	s_cbranch_vccnz .LBB1112_84
.LBB1112_59:                            ; =>This Inner Loop Header: Depth=1
	v_cmp_gt_u32_e32 vcc, s14, v6
	s_and_saveexec_b64 s[8:9], vcc
	s_cbranch_execnz .LBB1112_76
; %bb.60:                               ;   in Loop: Header=BB1112_59 Depth=1
	s_or_b64 exec, exec, s[8:9]
	v_cmp_gt_u32_e32 vcc, s14, v7
	s_and_saveexec_b64 s[8:9], vcc
	s_cbranch_execnz .LBB1112_77
.LBB1112_61:                            ;   in Loop: Header=BB1112_59 Depth=1
	s_or_b64 exec, exec, s[8:9]
	v_cmp_gt_u32_e32 vcc, s14, v8
	s_and_saveexec_b64 s[8:9], vcc
	s_cbranch_execnz .LBB1112_78
.LBB1112_62:                            ;   in Loop: Header=BB1112_59 Depth=1
	s_or_b64 exec, exec, s[8:9]
	v_cmp_gt_u32_e32 vcc, s14, v9
	s_and_saveexec_b64 s[8:9], vcc
	s_cbranch_execnz .LBB1112_79
.LBB1112_63:                            ;   in Loop: Header=BB1112_59 Depth=1
	s_or_b64 exec, exec, s[8:9]
	v_cmp_gt_u32_e32 vcc, s14, v17
	s_and_saveexec_b64 s[8:9], vcc
	s_cbranch_execnz .LBB1112_80
.LBB1112_64:                            ;   in Loop: Header=BB1112_59 Depth=1
	s_or_b64 exec, exec, s[8:9]
	v_cmp_gt_u32_e32 vcc, s14, v18
	s_and_saveexec_b64 s[8:9], vcc
	s_cbranch_execnz .LBB1112_81
.LBB1112_65:                            ;   in Loop: Header=BB1112_59 Depth=1
	s_or_b64 exec, exec, s[8:9]
	v_cmp_gt_u32_e32 vcc, s14, v19
	s_and_saveexec_b64 s[8:9], vcc
	s_cbranch_execnz .LBB1112_82
.LBB1112_66:                            ;   in Loop: Header=BB1112_59 Depth=1
	s_or_b64 exec, exec, s[8:9]
	v_cmp_gt_u32_e32 vcc, s14, v20
	s_and_saveexec_b64 s[8:9], vcc
	s_cbranch_execz .LBB1112_68
.LBB1112_67:                            ;   in Loop: Header=BB1112_59 Depth=1
	v_add_u32_e32 v4, s13, v25
	ds_write_b32 v4, v16 offset:1024
.LBB1112_68:                            ;   in Loop: Header=BB1112_59 Depth=1
	s_or_b64 exec, exec, s[8:9]
	v_cmp_gt_u32_e32 vcc, s3, v33
	s_waitcnt lgkmcnt(0)
	s_barrier
	s_and_saveexec_b64 s[8:9], vcc
	s_cbranch_execz .LBB1112_70
; %bb.69:                               ;   in Loop: Header=BB1112_59 Depth=1
	ds_read_b32 v36, v23 offset:1024
	s_waitcnt lgkmcnt(0)
	v_lshrrev_b32_e32 v4, s24, v36
	v_and_b32_e32 v4, s33, v4
	v_lshlrev_b32_e32 v4, 2, v4
	ds_read_b32 v4, v4
	s_waitcnt lgkmcnt(0)
	v_add_u32_e32 v4, v33, v4
	v_lshl_add_u64 v[34:35], v[4:5], 2, s[30:31]
	global_store_dword v[34:35], v36, off
.LBB1112_70:                            ;   in Loop: Header=BB1112_59 Depth=1
	s_or_b64 exec, exec, s[8:9]
	v_add_u32_e32 v4, 0x400, v33
	v_cmp_gt_u32_e32 vcc, s3, v4
	s_and_saveexec_b64 s[8:9], vcc
	s_cbranch_execz .LBB1112_72
; %bb.71:                               ;   in Loop: Header=BB1112_59 Depth=1
	ds_read_b32 v36, v24 offset:4096
	s_waitcnt lgkmcnt(0)
	v_lshrrev_b32_e32 v4, s24, v36
	v_and_b32_e32 v4, s33, v4
	v_lshlrev_b32_e32 v4, 2, v4
	ds_read_b32 v4, v4
	s_waitcnt lgkmcnt(0)
	v_add3_u32 v4, v33, v4, s12
	v_lshl_add_u64 v[34:35], v[4:5], 2, s[30:31]
	global_store_dword v[34:35], v36, off
.LBB1112_72:                            ;   in Loop: Header=BB1112_59 Depth=1
	s_or_b64 exec, exec, s[8:9]
	v_add_u32_e32 v4, 0x800, v33
	v_cmp_gt_u32_e32 vcc, s3, v4
	s_and_saveexec_b64 s[8:9], vcc
	s_cbranch_execz .LBB1112_74
; %bb.73:                               ;   in Loop: Header=BB1112_59 Depth=1
	ds_read_b32 v36, v24 offset:8192
	s_waitcnt lgkmcnt(0)
	v_lshrrev_b32_e32 v4, s24, v36
	v_and_b32_e32 v4, s33, v4
	v_lshlrev_b32_e32 v4, 2, v4
	ds_read_b32 v4, v4
	s_waitcnt lgkmcnt(0)
	v_add3_u32 v4, v33, v4, s15
	v_lshl_add_u64 v[34:35], v[4:5], 2, s[30:31]
	global_store_dword v[34:35], v36, off
.LBB1112_74:                            ;   in Loop: Header=BB1112_59 Depth=1
	s_or_b64 exec, exec, s[8:9]
	v_add_u32_e32 v4, 0xc00, v33
	v_cmp_gt_u32_e32 vcc, s3, v4
	s_and_saveexec_b64 s[8:9], vcc
	s_cbranch_execz .LBB1112_58
; %bb.75:                               ;   in Loop: Header=BB1112_59 Depth=1
	ds_read_b32 v36, v24 offset:12288
	s_waitcnt lgkmcnt(0)
	v_lshrrev_b32_e32 v4, s24, v36
	v_and_b32_e32 v4, s33, v4
	v_lshlrev_b32_e32 v4, 2, v4
	ds_read_b32 v4, v4
	s_waitcnt lgkmcnt(0)
	v_add3_u32 v4, v33, v4, s16
	v_lshl_add_u64 v[34:35], v[4:5], 2, s[30:31]
	global_store_dword v[34:35], v36, off
	s_branch .LBB1112_58
.LBB1112_76:                            ;   in Loop: Header=BB1112_59 Depth=1
	v_add_u32_e32 v4, s13, v32
	ds_write_b32 v4, v10 offset:1024
	s_or_b64 exec, exec, s[8:9]
	v_cmp_gt_u32_e32 vcc, s14, v7
	s_and_saveexec_b64 s[8:9], vcc
	s_cbranch_execz .LBB1112_61
.LBB1112_77:                            ;   in Loop: Header=BB1112_59 Depth=1
	v_add_u32_e32 v4, s13, v31
	ds_write_b32 v4, v11 offset:1024
	s_or_b64 exec, exec, s[8:9]
	v_cmp_gt_u32_e32 vcc, s14, v8
	s_and_saveexec_b64 s[8:9], vcc
	s_cbranch_execz .LBB1112_62
.LBB1112_78:                            ;   in Loop: Header=BB1112_59 Depth=1
	v_add_u32_e32 v4, s13, v30
	ds_write_b32 v4, v3 offset:1024
	s_or_b64 exec, exec, s[8:9]
	v_cmp_gt_u32_e32 vcc, s14, v9
	s_and_saveexec_b64 s[8:9], vcc
	s_cbranch_execz .LBB1112_63
.LBB1112_79:                            ;   in Loop: Header=BB1112_59 Depth=1
	v_add_u32_e32 v4, s13, v29
	ds_write_b32 v4, v13 offset:1024
	s_or_b64 exec, exec, s[8:9]
	v_cmp_gt_u32_e32 vcc, s14, v17
	s_and_saveexec_b64 s[8:9], vcc
	s_cbranch_execz .LBB1112_64
.LBB1112_80:                            ;   in Loop: Header=BB1112_59 Depth=1
	v_add_u32_e32 v4, s13, v28
	ds_write_b32 v4, v12 offset:1024
	s_or_b64 exec, exec, s[8:9]
	v_cmp_gt_u32_e32 vcc, s14, v18
	s_and_saveexec_b64 s[8:9], vcc
	s_cbranch_execz .LBB1112_65
.LBB1112_81:                            ;   in Loop: Header=BB1112_59 Depth=1
	v_add_u32_e32 v4, s13, v27
	ds_write_b32 v4, v15 offset:1024
	s_or_b64 exec, exec, s[8:9]
	v_cmp_gt_u32_e32 vcc, s14, v19
	s_and_saveexec_b64 s[8:9], vcc
	s_cbranch_execz .LBB1112_66
.LBB1112_82:                            ;   in Loop: Header=BB1112_59 Depth=1
	v_add_u32_e32 v4, s13, v26
	ds_write_b32 v4, v14 offset:1024
	s_or_b64 exec, exec, s[8:9]
	v_cmp_gt_u32_e32 vcc, s14, v20
	s_and_saveexec_b64 s[8:9], vcc
	s_cbranch_execnz .LBB1112_67
	s_branch .LBB1112_68
.LBB1112_83:
	s_mov_b64 s[8:9], 0
                                        ; implicit-def: $vgpr3
	s_cbranch_execnz .LBB1112_87
	s_branch .LBB1112_144
.LBB1112_84:
	s_add_i32 s26, s26, -1
	s_cmp_eq_u32 s26, s27
	s_cselect_b64 s[6:7], -1, 0
	s_and_b64 s[6:7], s[4:5], s[6:7]
	s_mov_b64 s[4:5], 0
	s_mov_b64 s[8:9], 0
                                        ; implicit-def: $vgpr3
	s_and_saveexec_b64 s[12:13], s[6:7]
	s_xor_b64 s[6:7], exec, s[12:13]
; %bb.85:
	s_mov_b64 s[8:9], exec
	v_add_u32_e32 v3, v21, v22
; %bb.86:
	s_or_b64 exec, exec, s[6:7]
	s_and_b64 vcc, exec, s[4:5]
	s_cbranch_vccz .LBB1112_144
.LBB1112_87:
	s_lshl_b32 s4, s27, 13
	s_mov_b32 s5, 0
	s_lshl_b64 s[4:5], s[4:5], 2
	v_mbcnt_hi_u32_b32 v6, -1, v1
	s_add_u32 s4, s28, s4
	v_and_b32_e32 v1, 63, v6
	s_addc_u32 s5, s29, s5
	v_mov_b32_e32 v5, 0
	v_lshlrev_b32_e32 v4, 2, v1
	v_lshlrev_b32_e32 v1, 5, v2
	v_lshl_add_u64 v[8:9], s[4:5], 0, v[4:5]
	v_and_b32_e32 v4, 0x7800, v1
	v_lshl_add_u64 v[16:17], v[8:9], 0, v[4:5]
	global_load_dword v3, v[16:17], off
	s_load_dword s3, s[0:1], 0x64
	s_load_dword s14, s[0:1], 0x58
	s_add_u32 s0, s0, 0x58
	s_addc_u32 s1, s1, 0
	v_bfe_u32 v1, v0, 10, 10
	s_waitcnt lgkmcnt(0)
	s_lshr_b32 s3, s3, 16
	s_cmp_lt_u32 s2, s14
	s_cselect_b32 s2, 12, 18
	s_add_u32 s0, s0, s2
	s_addc_u32 s1, s1, 0
	global_load_ushort v15, v5, s[0:1]
	v_bfe_u32 v4, v0, 20, 10
	v_mul_u32_u24_e32 v0, 5, v2
	v_lshlrev_b32_e32 v7, 2, v0
	ds_write2_b32 v7, v5, v5 offset0:16 offset1:17
	ds_write2_b32 v7, v5, v5 offset0:18 offset1:19
	ds_write_b32 v7, v5 offset:80
	global_load_dword v8, v[16:17], off offset:256
	global_load_dword v9, v[16:17], off offset:512
	;; [unrolled: 1-line block ×7, first 2 shown]
	s_lshl_b32 s0, -1, s25
	v_mad_u32_u24 v24, v4, s3, v1
	s_not_b32 s15, s0
	v_mov_b32_e32 v0, v5
	v_mov_b32_e32 v18, v5
	;; [unrolled: 1-line block ×5, first 2 shown]
	s_waitcnt lgkmcnt(0)
	s_barrier
	s_waitcnt lgkmcnt(0)
	; wave barrier
	s_waitcnt vmcnt(8)
	v_lshrrev_b32_e32 v1, s24, v3
	v_and_b32_e32 v28, s15, v1
	v_and_b32_e32 v4, 1, v28
	v_lshlrev_b32_e32 v1, 30, v28
	v_lshlrev_b32_e32 v19, 29, v28
	v_lshl_add_u64 v[16:17], v[4:5], 0, -1
	v_cmp_ne_u32_e32 vcc, 0, v4
	v_cmp_gt_i64_e64 s[0:1], 0, v[0:1]
	v_not_b32_e32 v4, v1
	v_lshlrev_b32_e32 v21, 28, v28
	s_waitcnt vmcnt(7)
	v_mad_u64_u32 v[0:1], s[12:13], v24, v15, v[2:3]
	v_lshlrev_b32_e32 v23, 27, v28
	v_cmp_gt_i64_e64 s[2:3], 0, v[18:19]
	v_not_b32_e32 v18, v19
	v_xor_b32_e32 v1, vcc_hi, v17
	v_xor_b32_e32 v15, vcc_lo, v16
	v_ashrrev_i32_e32 v4, 31, v4
	v_cmp_gt_i64_e64 s[4:5], 0, v[20:21]
	v_not_b32_e32 v19, v21
	v_not_b32_e32 v20, v23
	v_ashrrev_i32_e32 v16, 31, v18
	v_lshrrev_b32_e32 v25, 6, v0
	v_and_b32_e32 v0, exec_hi, v1
	v_and_b32_e32 v1, exec_lo, v15
	v_xor_b32_e32 v15, s1, v4
	v_xor_b32_e32 v4, s0, v4
	v_lshlrev_b32_e32 v27, 26, v28
	v_ashrrev_i32_e32 v17, 31, v19
	v_ashrrev_i32_e32 v18, 31, v20
	v_xor_b32_e32 v20, s3, v16
	v_xor_b32_e32 v16, s2, v16
	v_and_b32_e32 v0, v0, v15
	v_and_b32_e32 v1, v1, v4
	v_cmp_gt_i64_e64 s[6:7], 0, v[22:23]
	v_xor_b32_e32 v21, s5, v17
	v_xor_b32_e32 v17, s4, v17
	v_and_b32_e32 v0, v0, v20
	v_and_b32_e32 v1, v1, v16
	v_not_b32_e32 v4, v27
	v_xor_b32_e32 v22, s7, v18
	v_xor_b32_e32 v18, s6, v18
	v_and_b32_e32 v0, v0, v21
	v_and_b32_e32 v1, v1, v17
	v_cmp_gt_i64_e32 vcc, 0, v[26:27]
	v_ashrrev_i32_e32 v4, 31, v4
	v_and_b32_e32 v0, v0, v22
	v_and_b32_e32 v1, v1, v18
	v_xor_b32_e32 v15, vcc_hi, v4
	v_xor_b32_e32 v4, vcc_lo, v4
	v_and_b32_e32 v15, v0, v15
	v_and_b32_e32 v4, v1, v4
	v_lshlrev_b32_e32 v1, 25, v28
	v_mov_b32_e32 v0, v5
	v_cmp_gt_i64_e32 vcc, 0, v[0:1]
	v_not_b32_e32 v0, v1
	v_ashrrev_i32_e32 v0, 31, v0
	v_xor_b32_e32 v1, vcc_hi, v0
	v_xor_b32_e32 v0, vcc_lo, v0
	v_and_b32_e32 v15, v15, v1
	v_and_b32_e32 v4, v4, v0
	v_lshlrev_b32_e32 v1, 24, v28
	v_mov_b32_e32 v0, v5
	v_cmp_gt_i64_e32 vcc, 0, v[0:1]
	v_not_b32_e32 v0, v1
	v_ashrrev_i32_e32 v0, 31, v0
	v_xor_b32_e32 v1, vcc_hi, v0
	v_xor_b32_e32 v0, vcc_lo, v0
	v_and_b32_e32 v0, v4, v0
	v_and_b32_e32 v1, v15, v1
	v_mbcnt_lo_u32_b32 v4, v0, 0
	v_mbcnt_hi_u32_b32 v15, v1, v4
	v_lshl_add_u32 v29, v28, 4, v28
	v_cmp_eq_u32_e32 vcc, 0, v15
	v_cmp_ne_u64_e64 s[0:1], 0, v[0:1]
	v_add_lshl_u32 v19, v25, v29, 2
	s_and_b64 s[2:3], s[0:1], vcc
	s_and_saveexec_b64 s[0:1], s[2:3]
	s_cbranch_execz .LBB1112_89
; %bb.88:
	v_bcnt_u32_b32 v0, v0, 0
	v_bcnt_u32_b32 v0, v1, v0
	ds_write_b32 v19, v0 offset:64
.LBB1112_89:
	s_or_b64 exec, exec, s[0:1]
	s_waitcnt vmcnt(6)
	v_lshrrev_b32_e32 v0, s24, v8
	v_and_b32_e32 v17, s15, v0
	v_lshl_add_u32 v0, v17, 4, v17
	v_and_b32_e32 v4, 1, v17
	v_add_lshl_u32 v20, v25, v0, 2
	v_lshl_add_u64 v[0:1], v[4:5], 0, -1
	v_cmp_ne_u32_e32 vcc, 0, v4
	; wave barrier
	s_nop 1
	v_xor_b32_e32 v1, vcc_hi, v1
	v_xor_b32_e32 v0, vcc_lo, v0
	v_and_b32_e32 v4, exec_hi, v1
	v_and_b32_e32 v18, exec_lo, v0
	v_lshlrev_b32_e32 v1, 30, v17
	v_mov_b32_e32 v0, v5
	v_cmp_gt_i64_e32 vcc, 0, v[0:1]
	v_not_b32_e32 v0, v1
	v_ashrrev_i32_e32 v0, 31, v0
	v_xor_b32_e32 v1, vcc_hi, v0
	v_xor_b32_e32 v0, vcc_lo, v0
	v_and_b32_e32 v4, v4, v1
	v_and_b32_e32 v18, v18, v0
	v_lshlrev_b32_e32 v1, 29, v17
	v_mov_b32_e32 v0, v5
	v_cmp_gt_i64_e32 vcc, 0, v[0:1]
	v_not_b32_e32 v0, v1
	v_ashrrev_i32_e32 v0, 31, v0
	v_xor_b32_e32 v1, vcc_hi, v0
	v_xor_b32_e32 v0, vcc_lo, v0
	v_and_b32_e32 v4, v4, v1
	v_and_b32_e32 v18, v18, v0
	;; [unrolled: 9-line block ×6, first 2 shown]
	v_lshlrev_b32_e32 v1, 24, v17
	v_mov_b32_e32 v0, v5
	v_cmp_gt_i64_e32 vcc, 0, v[0:1]
	v_not_b32_e32 v0, v1
	v_ashrrev_i32_e32 v0, 31, v0
	v_xor_b32_e32 v1, vcc_hi, v0
	v_xor_b32_e32 v0, vcc_lo, v0
	ds_read_b32 v16, v20 offset:64
	v_and_b32_e32 v0, v18, v0
	v_and_b32_e32 v1, v4, v1
	v_mbcnt_lo_u32_b32 v4, v0, 0
	v_mbcnt_hi_u32_b32 v17, v1, v4
	v_cmp_eq_u32_e32 vcc, 0, v17
	v_cmp_ne_u64_e64 s[0:1], 0, v[0:1]
	s_and_b64 s[2:3], s[0:1], vcc
	; wave barrier
	s_and_saveexec_b64 s[0:1], s[2:3]
	s_cbranch_execz .LBB1112_91
; %bb.90:
	v_bcnt_u32_b32 v0, v0, 0
	v_bcnt_u32_b32 v0, v1, v0
	s_waitcnt lgkmcnt(0)
	v_add_u32_e32 v0, v16, v0
	ds_write_b32 v20, v0 offset:64
.LBB1112_91:
	s_or_b64 exec, exec, s[0:1]
	s_waitcnt vmcnt(5)
	v_lshrrev_b32_e32 v0, s24, v9
	v_and_b32_e32 v21, s15, v0
	v_lshl_add_u32 v0, v21, 4, v21
	v_add_lshl_u32 v23, v25, v0, 2
	v_and_b32_e32 v0, 1, v21
	v_mov_b32_e32 v1, 0
	v_lshl_add_u64 v[4:5], v[0:1], 0, -1
	v_cmp_ne_u32_e32 vcc, 0, v0
	; wave barrier
	s_nop 1
	v_xor_b32_e32 v4, vcc_lo, v4
	v_xor_b32_e32 v0, vcc_hi, v5
	v_and_b32_e32 v22, exec_lo, v4
	v_lshlrev_b32_e32 v5, 30, v21
	v_mov_b32_e32 v4, v1
	v_cmp_gt_i64_e32 vcc, 0, v[4:5]
	v_not_b32_e32 v4, v5
	v_ashrrev_i32_e32 v4, 31, v4
	v_and_b32_e32 v0, exec_hi, v0
	v_xor_b32_e32 v5, vcc_hi, v4
	v_xor_b32_e32 v4, vcc_lo, v4
	v_and_b32_e32 v0, v0, v5
	v_and_b32_e32 v22, v22, v4
	v_lshlrev_b32_e32 v5, 29, v21
	v_mov_b32_e32 v4, v1
	v_cmp_gt_i64_e32 vcc, 0, v[4:5]
	v_not_b32_e32 v4, v5
	v_ashrrev_i32_e32 v4, 31, v4
	v_xor_b32_e32 v5, vcc_hi, v4
	v_xor_b32_e32 v4, vcc_lo, v4
	v_and_b32_e32 v0, v0, v5
	v_and_b32_e32 v22, v22, v4
	v_lshlrev_b32_e32 v5, 28, v21
	v_mov_b32_e32 v4, v1
	v_cmp_gt_i64_e32 vcc, 0, v[4:5]
	v_not_b32_e32 v4, v5
	v_ashrrev_i32_e32 v4, 31, v4
	;; [unrolled: 9-line block ×6, first 2 shown]
	v_xor_b32_e32 v5, vcc_hi, v4
	v_xor_b32_e32 v4, vcc_lo, v4
	ds_read_b32 v18, v23 offset:64
	v_and_b32_e32 v4, v22, v4
	v_and_b32_e32 v5, v0, v5
	v_mbcnt_lo_u32_b32 v0, v4, 0
	v_mbcnt_hi_u32_b32 v21, v5, v0
	v_cmp_eq_u32_e32 vcc, 0, v21
	v_cmp_ne_u64_e64 s[0:1], 0, v[4:5]
	s_and_b64 s[2:3], s[0:1], vcc
	; wave barrier
	s_and_saveexec_b64 s[0:1], s[2:3]
	s_cbranch_execz .LBB1112_93
; %bb.92:
	v_bcnt_u32_b32 v0, v4, 0
	v_bcnt_u32_b32 v0, v5, v0
	s_waitcnt lgkmcnt(0)
	v_add_u32_e32 v0, v18, v0
	ds_write_b32 v23, v0 offset:64
.LBB1112_93:
	s_or_b64 exec, exec, s[0:1]
	s_waitcnt vmcnt(4)
	v_lshrrev_b32_e32 v0, s24, v10
	v_and_b32_e32 v24, s15, v0
	v_lshl_add_u32 v0, v24, 4, v24
	v_add_lshl_u32 v27, v25, v0, 2
	v_and_b32_e32 v0, 1, v24
	v_lshl_add_u64 v[4:5], v[0:1], 0, -1
	v_cmp_ne_u32_e32 vcc, 0, v0
	; wave barrier
	s_nop 1
	v_xor_b32_e32 v4, vcc_lo, v4
	v_xor_b32_e32 v0, vcc_hi, v5
	v_and_b32_e32 v26, exec_lo, v4
	v_lshlrev_b32_e32 v5, 30, v24
	v_mov_b32_e32 v4, v1
	v_cmp_gt_i64_e32 vcc, 0, v[4:5]
	v_not_b32_e32 v4, v5
	v_ashrrev_i32_e32 v4, 31, v4
	v_and_b32_e32 v0, exec_hi, v0
	v_xor_b32_e32 v5, vcc_hi, v4
	v_xor_b32_e32 v4, vcc_lo, v4
	v_and_b32_e32 v0, v0, v5
	v_and_b32_e32 v26, v26, v4
	v_lshlrev_b32_e32 v5, 29, v24
	v_mov_b32_e32 v4, v1
	v_cmp_gt_i64_e32 vcc, 0, v[4:5]
	v_not_b32_e32 v4, v5
	v_ashrrev_i32_e32 v4, 31, v4
	v_xor_b32_e32 v5, vcc_hi, v4
	v_xor_b32_e32 v4, vcc_lo, v4
	v_and_b32_e32 v0, v0, v5
	v_and_b32_e32 v26, v26, v4
	v_lshlrev_b32_e32 v5, 28, v24
	v_mov_b32_e32 v4, v1
	v_cmp_gt_i64_e32 vcc, 0, v[4:5]
	v_not_b32_e32 v4, v5
	v_ashrrev_i32_e32 v4, 31, v4
	;; [unrolled: 9-line block ×5, first 2 shown]
	v_xor_b32_e32 v5, vcc_hi, v4
	v_xor_b32_e32 v4, vcc_lo, v4
	v_and_b32_e32 v0, v0, v5
	v_lshlrev_b32_e32 v5, 24, v24
	v_and_b32_e32 v26, v26, v4
	v_mov_b32_e32 v4, v1
	v_not_b32_e32 v1, v5
	v_cmp_gt_i64_e32 vcc, 0, v[4:5]
	v_ashrrev_i32_e32 v1, 31, v1
	ds_read_b32 v22, v27 offset:64
	v_xor_b32_e32 v4, vcc_hi, v1
	v_xor_b32_e32 v5, vcc_lo, v1
	v_and_b32_e32 v1, v0, v4
	v_and_b32_e32 v0, v26, v5
	v_mbcnt_lo_u32_b32 v4, v0, 0
	v_mbcnt_hi_u32_b32 v24, v1, v4
	v_cmp_eq_u32_e32 vcc, 0, v24
	v_cmp_ne_u64_e64 s[0:1], 0, v[0:1]
	s_and_b64 s[2:3], s[0:1], vcc
	; wave barrier
	s_and_saveexec_b64 s[0:1], s[2:3]
	s_cbranch_execz .LBB1112_95
; %bb.94:
	v_bcnt_u32_b32 v0, v0, 0
	v_bcnt_u32_b32 v0, v1, v0
	s_waitcnt lgkmcnt(0)
	v_add_u32_e32 v0, v22, v0
	ds_write_b32 v27, v0 offset:64
.LBB1112_95:
	s_or_b64 exec, exec, s[0:1]
	s_waitcnt vmcnt(3)
	v_lshrrev_b32_e32 v0, s24, v11
	v_and_b32_e32 v28, s15, v0
	v_lshl_add_u32 v0, v28, 4, v28
	v_add_lshl_u32 v30, v25, v0, 2
	v_and_b32_e32 v0, 1, v28
	v_mov_b32_e32 v1, 0
	v_lshl_add_u64 v[4:5], v[0:1], 0, -1
	v_cmp_ne_u32_e32 vcc, 0, v0
	; wave barrier
	s_nop 1
	v_xor_b32_e32 v4, vcc_lo, v4
	v_xor_b32_e32 v0, vcc_hi, v5
	v_and_b32_e32 v29, exec_lo, v4
	v_lshlrev_b32_e32 v5, 30, v28
	v_mov_b32_e32 v4, v1
	v_cmp_gt_i64_e32 vcc, 0, v[4:5]
	v_not_b32_e32 v4, v5
	v_ashrrev_i32_e32 v4, 31, v4
	v_and_b32_e32 v0, exec_hi, v0
	v_xor_b32_e32 v5, vcc_hi, v4
	v_xor_b32_e32 v4, vcc_lo, v4
	v_and_b32_e32 v0, v0, v5
	v_and_b32_e32 v29, v29, v4
	v_lshlrev_b32_e32 v5, 29, v28
	v_mov_b32_e32 v4, v1
	v_cmp_gt_i64_e32 vcc, 0, v[4:5]
	v_not_b32_e32 v4, v5
	v_ashrrev_i32_e32 v4, 31, v4
	v_xor_b32_e32 v5, vcc_hi, v4
	v_xor_b32_e32 v4, vcc_lo, v4
	v_and_b32_e32 v0, v0, v5
	v_and_b32_e32 v29, v29, v4
	v_lshlrev_b32_e32 v5, 28, v28
	v_mov_b32_e32 v4, v1
	v_cmp_gt_i64_e32 vcc, 0, v[4:5]
	v_not_b32_e32 v4, v5
	v_ashrrev_i32_e32 v4, 31, v4
	;; [unrolled: 9-line block ×6, first 2 shown]
	v_xor_b32_e32 v5, vcc_hi, v4
	v_xor_b32_e32 v4, vcc_lo, v4
	ds_read_b32 v26, v30 offset:64
	v_and_b32_e32 v4, v29, v4
	v_and_b32_e32 v5, v0, v5
	v_mbcnt_lo_u32_b32 v0, v4, 0
	v_mbcnt_hi_u32_b32 v28, v5, v0
	v_cmp_eq_u32_e32 vcc, 0, v28
	v_cmp_ne_u64_e64 s[0:1], 0, v[4:5]
	s_and_b64 s[2:3], s[0:1], vcc
	; wave barrier
	s_and_saveexec_b64 s[0:1], s[2:3]
	s_cbranch_execz .LBB1112_97
; %bb.96:
	v_bcnt_u32_b32 v0, v4, 0
	v_bcnt_u32_b32 v0, v5, v0
	s_waitcnt lgkmcnt(0)
	v_add_u32_e32 v0, v26, v0
	ds_write_b32 v30, v0 offset:64
.LBB1112_97:
	s_or_b64 exec, exec, s[0:1]
	s_waitcnt vmcnt(2)
	v_lshrrev_b32_e32 v0, s24, v12
	v_and_b32_e32 v31, s15, v0
	v_lshl_add_u32 v0, v31, 4, v31
	v_add_lshl_u32 v33, v25, v0, 2
	v_and_b32_e32 v0, 1, v31
	v_lshl_add_u64 v[4:5], v[0:1], 0, -1
	v_cmp_ne_u32_e32 vcc, 0, v0
	; wave barrier
	s_nop 1
	v_xor_b32_e32 v4, vcc_lo, v4
	v_xor_b32_e32 v0, vcc_hi, v5
	v_and_b32_e32 v32, exec_lo, v4
	v_lshlrev_b32_e32 v5, 30, v31
	v_mov_b32_e32 v4, v1
	v_cmp_gt_i64_e32 vcc, 0, v[4:5]
	v_not_b32_e32 v4, v5
	v_ashrrev_i32_e32 v4, 31, v4
	v_and_b32_e32 v0, exec_hi, v0
	v_xor_b32_e32 v5, vcc_hi, v4
	v_xor_b32_e32 v4, vcc_lo, v4
	v_and_b32_e32 v0, v0, v5
	v_and_b32_e32 v32, v32, v4
	v_lshlrev_b32_e32 v5, 29, v31
	v_mov_b32_e32 v4, v1
	v_cmp_gt_i64_e32 vcc, 0, v[4:5]
	v_not_b32_e32 v4, v5
	v_ashrrev_i32_e32 v4, 31, v4
	v_xor_b32_e32 v5, vcc_hi, v4
	v_xor_b32_e32 v4, vcc_lo, v4
	v_and_b32_e32 v0, v0, v5
	v_and_b32_e32 v32, v32, v4
	v_lshlrev_b32_e32 v5, 28, v31
	v_mov_b32_e32 v4, v1
	v_cmp_gt_i64_e32 vcc, 0, v[4:5]
	v_not_b32_e32 v4, v5
	v_ashrrev_i32_e32 v4, 31, v4
	;; [unrolled: 9-line block ×5, first 2 shown]
	v_xor_b32_e32 v5, vcc_hi, v4
	v_xor_b32_e32 v4, vcc_lo, v4
	v_and_b32_e32 v0, v0, v5
	v_lshlrev_b32_e32 v5, 24, v31
	v_and_b32_e32 v32, v32, v4
	v_mov_b32_e32 v4, v1
	v_not_b32_e32 v1, v5
	v_cmp_gt_i64_e32 vcc, 0, v[4:5]
	v_ashrrev_i32_e32 v1, 31, v1
	ds_read_b32 v29, v33 offset:64
	v_xor_b32_e32 v4, vcc_hi, v1
	v_xor_b32_e32 v5, vcc_lo, v1
	v_and_b32_e32 v1, v0, v4
	v_and_b32_e32 v0, v32, v5
	v_mbcnt_lo_u32_b32 v4, v0, 0
	v_mbcnt_hi_u32_b32 v31, v1, v4
	v_cmp_eq_u32_e32 vcc, 0, v31
	v_cmp_ne_u64_e64 s[0:1], 0, v[0:1]
	s_and_b64 s[2:3], s[0:1], vcc
	; wave barrier
	s_and_saveexec_b64 s[0:1], s[2:3]
	s_cbranch_execz .LBB1112_99
; %bb.98:
	v_bcnt_u32_b32 v0, v0, 0
	v_bcnt_u32_b32 v0, v1, v0
	s_waitcnt lgkmcnt(0)
	v_add_u32_e32 v0, v29, v0
	ds_write_b32 v33, v0 offset:64
.LBB1112_99:
	s_or_b64 exec, exec, s[0:1]
	s_waitcnt vmcnt(1)
	v_lshrrev_b32_e32 v0, s24, v13
	v_and_b32_e32 v34, s15, v0
	v_lshl_add_u32 v0, v34, 4, v34
	v_add_lshl_u32 v35, v25, v0, 2
	v_and_b32_e32 v0, 1, v34
	v_mov_b32_e32 v1, 0
	v_lshl_add_u64 v[4:5], v[0:1], 0, -1
	v_cmp_ne_u32_e32 vcc, 0, v0
	; wave barrier
	s_nop 1
	v_xor_b32_e32 v4, vcc_lo, v4
	v_xor_b32_e32 v0, vcc_hi, v5
	v_and_b32_e32 v36, exec_lo, v4
	v_lshlrev_b32_e32 v5, 30, v34
	v_mov_b32_e32 v4, v1
	v_cmp_gt_i64_e32 vcc, 0, v[4:5]
	v_not_b32_e32 v4, v5
	v_ashrrev_i32_e32 v4, 31, v4
	v_and_b32_e32 v0, exec_hi, v0
	v_xor_b32_e32 v5, vcc_hi, v4
	v_xor_b32_e32 v4, vcc_lo, v4
	v_and_b32_e32 v0, v0, v5
	v_and_b32_e32 v36, v36, v4
	v_lshlrev_b32_e32 v5, 29, v34
	v_mov_b32_e32 v4, v1
	v_cmp_gt_i64_e32 vcc, 0, v[4:5]
	v_not_b32_e32 v4, v5
	v_ashrrev_i32_e32 v4, 31, v4
	v_xor_b32_e32 v5, vcc_hi, v4
	v_xor_b32_e32 v4, vcc_lo, v4
	v_and_b32_e32 v0, v0, v5
	v_and_b32_e32 v36, v36, v4
	v_lshlrev_b32_e32 v5, 28, v34
	v_mov_b32_e32 v4, v1
	v_cmp_gt_i64_e32 vcc, 0, v[4:5]
	v_not_b32_e32 v4, v5
	v_ashrrev_i32_e32 v4, 31, v4
	v_xor_b32_e32 v5, vcc_hi, v4
	v_xor_b32_e32 v4, vcc_lo, v4
	v_and_b32_e32 v0, v0, v5
	v_and_b32_e32 v36, v36, v4
	v_lshlrev_b32_e32 v5, 27, v34
	v_mov_b32_e32 v4, v1
	v_cmp_gt_i64_e32 vcc, 0, v[4:5]
	v_not_b32_e32 v4, v5
	v_ashrrev_i32_e32 v4, 31, v4
	v_xor_b32_e32 v5, vcc_hi, v4
	v_xor_b32_e32 v4, vcc_lo, v4
	v_and_b32_e32 v0, v0, v5
	v_and_b32_e32 v36, v36, v4
	v_lshlrev_b32_e32 v5, 26, v34
	v_mov_b32_e32 v4, v1
	v_cmp_gt_i64_e32 vcc, 0, v[4:5]
	v_not_b32_e32 v4, v5
	v_ashrrev_i32_e32 v4, 31, v4
	v_xor_b32_e32 v5, vcc_hi, v4
	v_xor_b32_e32 v4, vcc_lo, v4
	v_and_b32_e32 v0, v0, v5
	v_and_b32_e32 v36, v36, v4
	v_lshlrev_b32_e32 v5, 25, v34
	v_mov_b32_e32 v4, v1
	v_cmp_gt_i64_e32 vcc, 0, v[4:5]
	v_not_b32_e32 v4, v5
	v_ashrrev_i32_e32 v4, 31, v4
	v_xor_b32_e32 v5, vcc_hi, v4
	v_xor_b32_e32 v4, vcc_lo, v4
	v_and_b32_e32 v0, v0, v5
	v_and_b32_e32 v36, v36, v4
	v_lshlrev_b32_e32 v5, 24, v34
	v_mov_b32_e32 v4, v1
	v_cmp_gt_i64_e32 vcc, 0, v[4:5]
	v_not_b32_e32 v4, v5
	v_ashrrev_i32_e32 v4, 31, v4
	v_xor_b32_e32 v5, vcc_hi, v4
	v_xor_b32_e32 v4, vcc_lo, v4
	ds_read_b32 v32, v35 offset:64
	v_and_b32_e32 v4, v36, v4
	v_and_b32_e32 v5, v0, v5
	v_mbcnt_lo_u32_b32 v0, v4, 0
	v_mbcnt_hi_u32_b32 v34, v5, v0
	v_cmp_eq_u32_e32 vcc, 0, v34
	v_cmp_ne_u64_e64 s[0:1], 0, v[4:5]
	s_and_b64 s[2:3], s[0:1], vcc
	; wave barrier
	s_and_saveexec_b64 s[0:1], s[2:3]
	s_cbranch_execz .LBB1112_101
; %bb.100:
	v_bcnt_u32_b32 v0, v4, 0
	v_bcnt_u32_b32 v0, v5, v0
	s_waitcnt lgkmcnt(0)
	v_add_u32_e32 v0, v32, v0
	ds_write_b32 v35, v0 offset:64
.LBB1112_101:
	s_or_b64 exec, exec, s[0:1]
	s_waitcnt vmcnt(0)
	v_lshrrev_b32_e32 v0, s24, v14
	v_and_b32_e32 v36, s15, v0
	v_lshl_add_u32 v0, v36, 4, v36
	v_add_lshl_u32 v37, v25, v0, 2
	v_and_b32_e32 v0, 1, v36
	v_lshl_add_u64 v[4:5], v[0:1], 0, -1
	v_cmp_ne_u32_e32 vcc, 0, v0
	; wave barrier
	s_nop 1
	v_xor_b32_e32 v4, vcc_lo, v4
	v_xor_b32_e32 v0, vcc_hi, v5
	v_and_b32_e32 v39, exec_lo, v4
	v_lshlrev_b32_e32 v5, 30, v36
	v_mov_b32_e32 v4, v1
	v_cmp_gt_i64_e32 vcc, 0, v[4:5]
	v_not_b32_e32 v4, v5
	v_ashrrev_i32_e32 v4, 31, v4
	v_and_b32_e32 v0, exec_hi, v0
	v_xor_b32_e32 v5, vcc_hi, v4
	v_xor_b32_e32 v4, vcc_lo, v4
	v_and_b32_e32 v0, v0, v5
	v_and_b32_e32 v39, v39, v4
	v_lshlrev_b32_e32 v5, 29, v36
	v_mov_b32_e32 v4, v1
	v_cmp_gt_i64_e32 vcc, 0, v[4:5]
	v_not_b32_e32 v4, v5
	v_ashrrev_i32_e32 v4, 31, v4
	v_xor_b32_e32 v5, vcc_hi, v4
	v_xor_b32_e32 v4, vcc_lo, v4
	v_and_b32_e32 v0, v0, v5
	v_and_b32_e32 v39, v39, v4
	v_lshlrev_b32_e32 v5, 28, v36
	v_mov_b32_e32 v4, v1
	v_cmp_gt_i64_e32 vcc, 0, v[4:5]
	v_not_b32_e32 v4, v5
	v_ashrrev_i32_e32 v4, 31, v4
	;; [unrolled: 9-line block ×5, first 2 shown]
	v_xor_b32_e32 v5, vcc_hi, v4
	v_xor_b32_e32 v4, vcc_lo, v4
	v_and_b32_e32 v0, v0, v5
	v_lshlrev_b32_e32 v5, 24, v36
	v_and_b32_e32 v39, v39, v4
	v_mov_b32_e32 v4, v1
	v_not_b32_e32 v1, v5
	v_cmp_gt_i64_e32 vcc, 0, v[4:5]
	v_ashrrev_i32_e32 v1, 31, v1
	ds_read_b32 v25, v37 offset:64
	v_xor_b32_e32 v4, vcc_hi, v1
	v_xor_b32_e32 v5, vcc_lo, v1
	v_and_b32_e32 v1, v0, v4
	v_and_b32_e32 v0, v39, v5
	v_mbcnt_lo_u32_b32 v4, v0, 0
	v_mbcnt_hi_u32_b32 v36, v1, v4
	v_cmp_eq_u32_e32 vcc, 0, v36
	v_cmp_ne_u64_e64 s[0:1], 0, v[0:1]
	v_add_u32_e32 v38, 64, v7
	s_and_b64 s[2:3], s[0:1], vcc
	; wave barrier
	s_and_saveexec_b64 s[0:1], s[2:3]
	s_cbranch_execz .LBB1112_103
; %bb.102:
	v_bcnt_u32_b32 v0, v0, 0
	v_bcnt_u32_b32 v0, v1, v0
	s_waitcnt lgkmcnt(0)
	v_add_u32_e32 v0, v25, v0
	ds_write_b32 v37, v0 offset:64
.LBB1112_103:
	s_or_b64 exec, exec, s[0:1]
	; wave barrier
	s_waitcnt lgkmcnt(0)
	s_barrier
	ds_read2_b32 v[4:5], v7 offset0:16 offset1:17
	ds_read2_b32 v[0:1], v38 offset0:2 offset1:3
	ds_read_b32 v39, v38 offset:16
	v_cmp_lt_u32_e64 s[2:3], 31, v6
	s_waitcnt lgkmcnt(1)
	v_add3_u32 v40, v5, v4, v0
	s_waitcnt lgkmcnt(0)
	v_add3_u32 v39, v40, v1, v39
	v_and_b32_e32 v40, 15, v6
	v_cmp_eq_u32_e32 vcc, 0, v40
	v_mov_b32_dpp v41, v39 row_shr:1 row_mask:0xf bank_mask:0xf
	v_cmp_lt_u32_e64 s[0:1], 1, v40
	v_cndmask_b32_e64 v41, v41, 0, vcc
	v_add_u32_e32 v39, v41, v39
	v_cmp_lt_u32_e64 s[4:5], 3, v40
	v_cmp_lt_u32_e64 s[6:7], 7, v40
	v_mov_b32_dpp v41, v39 row_shr:2 row_mask:0xf bank_mask:0xf
	v_cndmask_b32_e64 v41, 0, v41, s[0:1]
	v_add_u32_e32 v39, v39, v41
	s_nop 1
	v_mov_b32_dpp v41, v39 row_shr:4 row_mask:0xf bank_mask:0xf
	v_cndmask_b32_e64 v41, 0, v41, s[4:5]
	v_add_u32_e32 v39, v39, v41
	s_nop 1
	v_mov_b32_dpp v41, v39 row_shr:8 row_mask:0xf bank_mask:0xf
	v_cndmask_b32_e64 v40, 0, v41, s[6:7]
	v_add_u32_e32 v39, v39, v40
	v_bfe_i32 v41, v6, 4, 1
	s_nop 0
	v_mov_b32_dpp v40, v39 row_bcast:15 row_mask:0xf bank_mask:0xf
	v_and_b32_e32 v40, v41, v40
	v_add_u32_e32 v39, v39, v40
	v_and_b32_e32 v41, 63, v2
	s_nop 0
	v_mov_b32_dpp v40, v39 row_bcast:31 row_mask:0xf bank_mask:0xf
	v_cndmask_b32_e64 v40, 0, v40, s[2:3]
	v_add_u32_e32 v39, v39, v40
	v_lshrrev_b32_e32 v40, 6, v2
	v_cmp_eq_u32_e64 s[2:3], 63, v41
	s_and_saveexec_b64 s[12:13], s[2:3]
	s_cbranch_execz .LBB1112_105
; %bb.104:
	v_lshlrev_b32_e32 v41, 2, v40
	ds_write_b32 v41, v39
.LBB1112_105:
	s_or_b64 exec, exec, s[12:13]
	v_cmp_gt_u32_e64 s[2:3], 16, v2
	s_waitcnt lgkmcnt(0)
	s_barrier
	s_and_saveexec_b64 s[12:13], s[2:3]
	s_cbranch_execz .LBB1112_107
; %bb.106:
	v_lshlrev_b32_e32 v41, 2, v2
	ds_read_b32 v42, v41
	s_waitcnt lgkmcnt(0)
	s_nop 0
	v_mov_b32_dpp v43, v42 row_shr:1 row_mask:0xf bank_mask:0xf
	v_cndmask_b32_e64 v43, v43, 0, vcc
	v_add_u32_e32 v42, v43, v42
	s_nop 1
	v_mov_b32_dpp v43, v42 row_shr:2 row_mask:0xf bank_mask:0xf
	v_cndmask_b32_e64 v43, 0, v43, s[0:1]
	v_add_u32_e32 v42, v42, v43
	s_nop 1
	v_mov_b32_dpp v43, v42 row_shr:4 row_mask:0xf bank_mask:0xf
	v_cndmask_b32_e64 v43, 0, v43, s[4:5]
	;; [unrolled: 4-line block ×3, first 2 shown]
	v_add_u32_e32 v42, v42, v43
	ds_write_b32 v41, v42
.LBB1112_107:
	s_or_b64 exec, exec, s[12:13]
	v_cmp_lt_u32_e32 vcc, 63, v2
	v_mov_b32_e32 v41, 0
	s_waitcnt lgkmcnt(0)
	s_barrier
	s_and_saveexec_b64 s[0:1], vcc
	s_cbranch_execz .LBB1112_109
; %bb.108:
	v_lshl_add_u32 v40, v40, 2, -4
	ds_read_b32 v41, v40
.LBB1112_109:
	s_or_b64 exec, exec, s[0:1]
	v_add_u32_e32 v40, -1, v6
	v_and_b32_e32 v42, 64, v6
	v_cmp_lt_i32_e32 vcc, v40, v42
	s_waitcnt lgkmcnt(0)
	v_add_u32_e32 v39, v41, v39
	s_movk_i32 s0, 0x100
	v_cndmask_b32_e32 v40, v40, v6, vcc
	v_lshlrev_b32_e32 v40, 2, v40
	ds_bpermute_b32 v39, v40, v39
	v_cmp_eq_u32_e32 vcc, 0, v6
	v_cmp_gt_u32_e64 s[0:1], s0, v2
	s_waitcnt lgkmcnt(0)
	v_cndmask_b32_e32 v6, v39, v41, vcc
	v_cndmask_b32_e64 v6, v6, 0, s[10:11]
	v_add_u32_e32 v4, v6, v4
	v_add_u32_e32 v5, v4, v5
	;; [unrolled: 1-line block ×4, first 2 shown]
	ds_write2_b32 v7, v6, v4 offset0:16 offset1:17
	ds_write2_b32 v38, v5, v0 offset0:2 offset1:3
	ds_write_b32 v38, v1 offset:16
	s_waitcnt lgkmcnt(0)
	s_barrier
	ds_read_b32 v42, v19 offset:64
	ds_read_b32 v38, v20 offset:64
	;; [unrolled: 1-line block ×8, first 2 shown]
                                        ; implicit-def: $vgpr19
                                        ; implicit-def: $vgpr20
	s_and_saveexec_b64 s[2:3], s[0:1]
	s_cbranch_execz .LBB1112_113
; %bb.110:
	v_mul_u32_u24_e32 v0, 17, v2
	v_lshlrev_b32_e32 v1, 2, v0
	ds_read_b32 v19, v1 offset:64
	s_movk_i32 s4, 0xff
	v_cmp_ne_u32_e32 vcc, s4, v2
	v_mov_b32_e32 v0, 0x2000
	s_and_saveexec_b64 s[4:5], vcc
	s_cbranch_execz .LBB1112_112
; %bb.111:
	ds_read_b32 v0, v1 offset:132
.LBB1112_112:
	s_or_b64 exec, exec, s[4:5]
	s_waitcnt lgkmcnt(0)
	v_sub_u32_e32 v20, v0, v19
.LBB1112_113:
	s_or_b64 exec, exec, s[2:3]
	s_waitcnt lgkmcnt(0)
	s_barrier
	s_and_saveexec_b64 s[2:3], s[0:1]
	s_cbranch_execz .LBB1112_123
; %bb.114:
	v_lshl_or_b32 v4, s27, 8, v2
	v_mov_b32_e32 v5, 0
	v_lshl_add_u64 v[0:1], v[4:5], 2, s[18:19]
	v_or_b32_e32 v4, 2.0, v20
	s_mov_b64 s[4:5], 0
	s_brev_b32 s12, 1
	s_mov_b32 s13, s27
	v_mov_b32_e32 v33, 0
	global_store_dword v[0:1], v4, off sc1
                                        ; implicit-def: $sgpr6_sgpr7
	s_branch .LBB1112_117
.LBB1112_115:                           ;   in Loop: Header=BB1112_117 Depth=1
	s_or_b64 exec, exec, s[10:11]
.LBB1112_116:                           ;   in Loop: Header=BB1112_117 Depth=1
	s_or_b64 exec, exec, s[6:7]
	v_and_b32_e32 v6, 0x3fffffff, v35
	v_add_u32_e32 v33, v6, v33
	v_cmp_eq_u32_e64 s[6:7], s12, v4
	s_and_b64 s[10:11], exec, s[6:7]
	s_or_b64 s[4:5], s[10:11], s[4:5]
	s_andn2_b64 exec, exec, s[4:5]
	s_cbranch_execz .LBB1112_122
.LBB1112_117:                           ; =>This Loop Header: Depth=1
                                        ;     Child Loop BB1112_120 Depth 2
	s_or_b64 s[6:7], s[6:7], exec
	s_cmp_eq_u32 s13, 0
	s_cbranch_scc1 .LBB1112_121
; %bb.118:                              ;   in Loop: Header=BB1112_117 Depth=1
	s_add_i32 s13, s13, -1
	v_lshl_or_b32 v4, s13, 8, v2
	v_lshl_add_u64 v[6:7], v[4:5], 2, s[18:19]
	global_load_dword v35, v[6:7], off sc1
	s_waitcnt vmcnt(0)
	v_and_b32_e32 v4, -2.0, v35
	v_cmp_eq_u32_e32 vcc, 0, v4
	s_and_saveexec_b64 s[6:7], vcc
	s_cbranch_execz .LBB1112_116
; %bb.119:                              ;   in Loop: Header=BB1112_117 Depth=1
	s_mov_b64 s[10:11], 0
.LBB1112_120:                           ;   Parent Loop BB1112_117 Depth=1
                                        ; =>  This Inner Loop Header: Depth=2
	global_load_dword v35, v[6:7], off sc1
	s_waitcnt vmcnt(0)
	v_and_b32_e32 v4, -2.0, v35
	v_cmp_ne_u32_e32 vcc, 0, v4
	s_or_b64 s[10:11], vcc, s[10:11]
	s_andn2_b64 exec, exec, s[10:11]
	s_cbranch_execnz .LBB1112_120
	s_branch .LBB1112_115
.LBB1112_121:                           ;   in Loop: Header=BB1112_117 Depth=1
                                        ; implicit-def: $sgpr13
	s_and_b64 s[10:11], exec, s[6:7]
	s_or_b64 s[4:5], s[10:11], s[4:5]
	s_andn2_b64 exec, exec, s[4:5]
	s_cbranch_execnz .LBB1112_117
.LBB1112_122:
	s_or_b64 exec, exec, s[4:5]
	v_add_u32_e32 v4, v33, v20
	v_or_b32_e32 v4, 0x80000000, v4
	global_store_dword v[0:1], v4, off sc1
	v_lshlrev_b32_e32 v0, 2, v2
	global_load_dword v1, v0, s[20:21]
	v_sub_u32_e32 v4, v33, v19
	s_waitcnt vmcnt(0)
	v_add_u32_e32 v1, v4, v1
	ds_write_b32 v0, v1
.LBB1112_123:
	s_or_b64 exec, exec, s[2:3]
	v_add_u32_e32 v0, v36, v25
	v_add_u32_e32 v1, v34, v32
	;; [unrolled: 1-line block ×8, first 2 shown]
	v_lshlrev_b32_e32 v5, 2, v2
	s_movk_i32 s6, 0x400
	v_add_u32_e32 v6, 0x400, v5
	v_add_lshl_u32 v7, v0, v23, 2
	v_add3_u32 v15, v36, v23, v25
	v_add_lshl_u32 v23, v1, v27, 2
	v_add3_u32 v25, v34, v27, v32
	;; [unrolled: 2-line block ×7, first 2 shown]
	v_lshlrev_b32_e32 v17, 2, v4
	s_mov_b64 s[2:3], -1
	s_mov_b32 s7, 0
	s_mov_b32 s10, 0
	s_movk_i32 s11, 0x1000
	s_movk_i32 s12, 0x800
	;; [unrolled: 1-line block ×3, first 2 shown]
	v_mov_b32_e32 v1, 0
	v_mov_b32_e32 v31, v2
	s_branch .LBB1112_125
.LBB1112_124:                           ;   in Loop: Header=BB1112_125 Depth=1
	s_or_b64 exec, exec, s[4:5]
	s_waitcnt lgkmcnt(0)
	s_barrier
	ds_read2st64_b32 v[32:33], v6 offset0:16 offset1:32
	ds_read_b32 v36, v5 offset:1024
	s_xor_b64 s[4:5], s[2:3], -1
	s_addk_i32 s7, 0xc000
	s_addk_i32 s10, 0xf000
	s_waitcnt lgkmcnt(1)
	v_lshrrev_b32_e32 v0, s24, v32
	v_and_b32_e32 v0, s15, v0
	v_lshlrev_b32_e32 v0, 2, v0
	ds_read_b32 v37, v0
	ds_read_b32 v38, v6 offset:12288
	s_waitcnt lgkmcnt(2)
	v_lshrrev_b32_e32 v0, s24, v36
	v_and_b32_e32 v0, s15, v0
	v_lshlrev_b32_e32 v0, 2, v0
	v_lshrrev_b32_e32 v34, s24, v33
	ds_read_b32 v0, v0
	v_and_b32_e32 v34, s15, v34
	s_waitcnt lgkmcnt(1)
	v_lshrrev_b32_e32 v35, s24, v38
	v_lshlrev_b32_e32 v34, 2, v34
	v_and_b32_e32 v35, s15, v35
	v_lshlrev_b32_e32 v35, 2, v35
	ds_read_b32 v39, v34
	ds_read_b32 v40, v35
	s_waitcnt lgkmcnt(2)
	v_add_u32_e32 v0, v31, v0
	v_lshl_add_u64 v[34:35], v[0:1], 2, s[30:31]
	v_add3_u32 v0, v31, v37, s6
	global_store_dword v[34:35], v36, off
	v_lshl_add_u64 v[34:35], v[0:1], 2, s[30:31]
	s_waitcnt lgkmcnt(1)
	v_add3_u32 v0, v31, v39, s12
	global_store_dword v[34:35], v32, off
	v_lshl_add_u64 v[34:35], v[0:1], 2, s[30:31]
	s_waitcnt lgkmcnt(0)
	v_add3_u32 v0, v31, v40, s13
	global_store_dword v[34:35], v33, off
	v_lshl_add_u64 v[32:33], v[0:1], 2, s[30:31]
	v_add_u32_e32 v31, 0x1000, v31
	s_mov_b64 s[2:3], 0
	s_and_b64 vcc, exec, s[4:5]
	global_store_dword v[32:33], v38, off
	s_barrier
	s_cbranch_vccnz .LBB1112_141
.LBB1112_125:                           ; =>This Inner Loop Header: Depth=1
	v_add_u32_e32 v0, s10, v4
	v_cmp_gt_u32_e32 vcc, s11, v0
	s_and_saveexec_b64 s[4:5], vcc
	s_cbranch_execz .LBB1112_127
; %bb.126:                              ;   in Loop: Header=BB1112_125 Depth=1
	v_add_u32_e32 v0, s7, v17
	ds_write_b32 v0, v3 offset:1024
.LBB1112_127:                           ;   in Loop: Header=BB1112_125 Depth=1
	s_or_b64 exec, exec, s[4:5]
	v_add_u32_e32 v0, s10, v16
	v_cmp_gt_u32_e32 vcc, s11, v0
	s_and_saveexec_b64 s[4:5], vcc
	s_cbranch_execz .LBB1112_129
; %bb.128:                              ;   in Loop: Header=BB1112_125 Depth=1
	v_add_u32_e32 v0, s7, v21
	ds_write_b32 v0, v8 offset:1024
.LBB1112_129:                           ;   in Loop: Header=BB1112_125 Depth=1
	s_or_b64 exec, exec, s[4:5]
	;; [unrolled: 9-line block ×7, first 2 shown]
	v_add_u32_e32 v0, s10, v15
	v_cmp_gt_u32_e32 vcc, s11, v0
	s_and_saveexec_b64 s[4:5], vcc
	s_cbranch_execz .LBB1112_124
; %bb.140:                              ;   in Loop: Header=BB1112_125 Depth=1
	v_add_u32_e32 v0, s7, v7
	ds_write_b32 v0, v14 offset:1024
	s_branch .LBB1112_124
.LBB1112_141:
	s_add_i32 s14, s14, -1
	s_cmp_eq_u32 s14, s27
	s_cselect_b64 s[2:3], -1, 0
	s_and_b64 s[2:3], s[0:1], s[2:3]
                                        ; implicit-def: $vgpr3
	s_and_saveexec_b64 s[0:1], s[2:3]
; %bb.142:
	v_add_u32_e32 v3, v19, v20
	s_or_b64 s[8:9], s[8:9], exec
; %bb.143:
	s_or_b64 exec, exec, s[0:1]
.LBB1112_144:
	s_and_saveexec_b64 s[0:1], s[8:9]
	s_cbranch_execnz .LBB1112_146
; %bb.145:
	s_endpgm
.LBB1112_146:
	v_lshlrev_b32_e32 v0, 2, v2
	ds_read_b32 v1, v0
	s_waitcnt lgkmcnt(0)
	v_add_u32_e32 v1, v1, v3
	global_store_dword v0, v1, s[22:23]
	s_endpgm
	.section	.rodata,"a",@progbits
	.p2align	6, 0x0
	.amdhsa_kernel _ZN7rocprim17ROCPRIM_400000_NS6detail17trampoline_kernelINS0_14default_configENS1_35radix_sort_onesweep_config_selectorIjNS0_10empty_typeEEEZZNS1_29radix_sort_onesweep_iterationIS3_Lb0EN6thrust23THRUST_200600_302600_NS6detail15normal_iteratorINS9_10device_ptrIjEEEESE_PS5_SF_jNS0_19identity_decomposerENS1_16block_id_wrapperIjLb1EEEEE10hipError_tT1_PNSt15iterator_traitsISK_E10value_typeET2_T3_PNSL_ISQ_E10value_typeET4_T5_PSV_SW_PNS1_23onesweep_lookback_stateEbbT6_jjT7_P12ihipStream_tbENKUlT_T0_SK_SP_E_clISE_PjSF_SF_EEDaS13_S14_SK_SP_EUlS13_E_NS1_11comp_targetILNS1_3genE5ELNS1_11target_archE942ELNS1_3gpuE9ELNS1_3repE0EEENS1_47radix_sort_onesweep_sort_config_static_selectorELNS0_4arch9wavefront6targetE1EEEvSK_
		.amdhsa_group_segment_fixed_size 20552
		.amdhsa_private_segment_fixed_size 0
		.amdhsa_kernarg_size 344
		.amdhsa_user_sgpr_count 2
		.amdhsa_user_sgpr_dispatch_ptr 0
		.amdhsa_user_sgpr_queue_ptr 0
		.amdhsa_user_sgpr_kernarg_segment_ptr 1
		.amdhsa_user_sgpr_dispatch_id 0
		.amdhsa_user_sgpr_kernarg_preload_length 0
		.amdhsa_user_sgpr_kernarg_preload_offset 0
		.amdhsa_user_sgpr_private_segment_size 0
		.amdhsa_uses_dynamic_stack 0
		.amdhsa_enable_private_segment 0
		.amdhsa_system_sgpr_workgroup_id_x 1
		.amdhsa_system_sgpr_workgroup_id_y 0
		.amdhsa_system_sgpr_workgroup_id_z 0
		.amdhsa_system_sgpr_workgroup_info 0
		.amdhsa_system_vgpr_workitem_id 2
		.amdhsa_next_free_vgpr 46
		.amdhsa_next_free_sgpr 34
		.amdhsa_accum_offset 48
		.amdhsa_reserve_vcc 1
		.amdhsa_float_round_mode_32 0
		.amdhsa_float_round_mode_16_64 0
		.amdhsa_float_denorm_mode_32 3
		.amdhsa_float_denorm_mode_16_64 3
		.amdhsa_dx10_clamp 1
		.amdhsa_ieee_mode 1
		.amdhsa_fp16_overflow 0
		.amdhsa_tg_split 0
		.amdhsa_exception_fp_ieee_invalid_op 0
		.amdhsa_exception_fp_denorm_src 0
		.amdhsa_exception_fp_ieee_div_zero 0
		.amdhsa_exception_fp_ieee_overflow 0
		.amdhsa_exception_fp_ieee_underflow 0
		.amdhsa_exception_fp_ieee_inexact 0
		.amdhsa_exception_int_div_zero 0
	.end_amdhsa_kernel
	.section	.text._ZN7rocprim17ROCPRIM_400000_NS6detail17trampoline_kernelINS0_14default_configENS1_35radix_sort_onesweep_config_selectorIjNS0_10empty_typeEEEZZNS1_29radix_sort_onesweep_iterationIS3_Lb0EN6thrust23THRUST_200600_302600_NS6detail15normal_iteratorINS9_10device_ptrIjEEEESE_PS5_SF_jNS0_19identity_decomposerENS1_16block_id_wrapperIjLb1EEEEE10hipError_tT1_PNSt15iterator_traitsISK_E10value_typeET2_T3_PNSL_ISQ_E10value_typeET4_T5_PSV_SW_PNS1_23onesweep_lookback_stateEbbT6_jjT7_P12ihipStream_tbENKUlT_T0_SK_SP_E_clISE_PjSF_SF_EEDaS13_S14_SK_SP_EUlS13_E_NS1_11comp_targetILNS1_3genE5ELNS1_11target_archE942ELNS1_3gpuE9ELNS1_3repE0EEENS1_47radix_sort_onesweep_sort_config_static_selectorELNS0_4arch9wavefront6targetE1EEEvSK_,"axG",@progbits,_ZN7rocprim17ROCPRIM_400000_NS6detail17trampoline_kernelINS0_14default_configENS1_35radix_sort_onesweep_config_selectorIjNS0_10empty_typeEEEZZNS1_29radix_sort_onesweep_iterationIS3_Lb0EN6thrust23THRUST_200600_302600_NS6detail15normal_iteratorINS9_10device_ptrIjEEEESE_PS5_SF_jNS0_19identity_decomposerENS1_16block_id_wrapperIjLb1EEEEE10hipError_tT1_PNSt15iterator_traitsISK_E10value_typeET2_T3_PNSL_ISQ_E10value_typeET4_T5_PSV_SW_PNS1_23onesweep_lookback_stateEbbT6_jjT7_P12ihipStream_tbENKUlT_T0_SK_SP_E_clISE_PjSF_SF_EEDaS13_S14_SK_SP_EUlS13_E_NS1_11comp_targetILNS1_3genE5ELNS1_11target_archE942ELNS1_3gpuE9ELNS1_3repE0EEENS1_47radix_sort_onesweep_sort_config_static_selectorELNS0_4arch9wavefront6targetE1EEEvSK_,comdat
.Lfunc_end1112:
	.size	_ZN7rocprim17ROCPRIM_400000_NS6detail17trampoline_kernelINS0_14default_configENS1_35radix_sort_onesweep_config_selectorIjNS0_10empty_typeEEEZZNS1_29radix_sort_onesweep_iterationIS3_Lb0EN6thrust23THRUST_200600_302600_NS6detail15normal_iteratorINS9_10device_ptrIjEEEESE_PS5_SF_jNS0_19identity_decomposerENS1_16block_id_wrapperIjLb1EEEEE10hipError_tT1_PNSt15iterator_traitsISK_E10value_typeET2_T3_PNSL_ISQ_E10value_typeET4_T5_PSV_SW_PNS1_23onesweep_lookback_stateEbbT6_jjT7_P12ihipStream_tbENKUlT_T0_SK_SP_E_clISE_PjSF_SF_EEDaS13_S14_SK_SP_EUlS13_E_NS1_11comp_targetILNS1_3genE5ELNS1_11target_archE942ELNS1_3gpuE9ELNS1_3repE0EEENS1_47radix_sort_onesweep_sort_config_static_selectorELNS0_4arch9wavefront6targetE1EEEvSK_, .Lfunc_end1112-_ZN7rocprim17ROCPRIM_400000_NS6detail17trampoline_kernelINS0_14default_configENS1_35radix_sort_onesweep_config_selectorIjNS0_10empty_typeEEEZZNS1_29radix_sort_onesweep_iterationIS3_Lb0EN6thrust23THRUST_200600_302600_NS6detail15normal_iteratorINS9_10device_ptrIjEEEESE_PS5_SF_jNS0_19identity_decomposerENS1_16block_id_wrapperIjLb1EEEEE10hipError_tT1_PNSt15iterator_traitsISK_E10value_typeET2_T3_PNSL_ISQ_E10value_typeET4_T5_PSV_SW_PNS1_23onesweep_lookback_stateEbbT6_jjT7_P12ihipStream_tbENKUlT_T0_SK_SP_E_clISE_PjSF_SF_EEDaS13_S14_SK_SP_EUlS13_E_NS1_11comp_targetILNS1_3genE5ELNS1_11target_archE942ELNS1_3gpuE9ELNS1_3repE0EEENS1_47radix_sort_onesweep_sort_config_static_selectorELNS0_4arch9wavefront6targetE1EEEvSK_
                                        ; -- End function
	.section	.AMDGPU.csdata,"",@progbits
; Kernel info:
; codeLenInByte = 11204
; NumSgprs: 40
; NumVgprs: 46
; NumAgprs: 0
; TotalNumVgprs: 46
; ScratchSize: 0
; MemoryBound: 0
; FloatMode: 240
; IeeeMode: 1
; LDSByteSize: 20552 bytes/workgroup (compile time only)
; SGPRBlocks: 4
; VGPRBlocks: 5
; NumSGPRsForWavesPerEU: 40
; NumVGPRsForWavesPerEU: 46
; AccumOffset: 48
; Occupancy: 8
; WaveLimiterHint : 1
; COMPUTE_PGM_RSRC2:SCRATCH_EN: 0
; COMPUTE_PGM_RSRC2:USER_SGPR: 2
; COMPUTE_PGM_RSRC2:TRAP_HANDLER: 0
; COMPUTE_PGM_RSRC2:TGID_X_EN: 1
; COMPUTE_PGM_RSRC2:TGID_Y_EN: 0
; COMPUTE_PGM_RSRC2:TGID_Z_EN: 0
; COMPUTE_PGM_RSRC2:TIDIG_COMP_CNT: 2
; COMPUTE_PGM_RSRC3_GFX90A:ACCUM_OFFSET: 11
; COMPUTE_PGM_RSRC3_GFX90A:TG_SPLIT: 0
	.section	.text._ZN7rocprim17ROCPRIM_400000_NS6detail17trampoline_kernelINS0_14default_configENS1_35radix_sort_onesweep_config_selectorIjNS0_10empty_typeEEEZZNS1_29radix_sort_onesweep_iterationIS3_Lb0EN6thrust23THRUST_200600_302600_NS6detail15normal_iteratorINS9_10device_ptrIjEEEESE_PS5_SF_jNS0_19identity_decomposerENS1_16block_id_wrapperIjLb1EEEEE10hipError_tT1_PNSt15iterator_traitsISK_E10value_typeET2_T3_PNSL_ISQ_E10value_typeET4_T5_PSV_SW_PNS1_23onesweep_lookback_stateEbbT6_jjT7_P12ihipStream_tbENKUlT_T0_SK_SP_E_clISE_PjSF_SF_EEDaS13_S14_SK_SP_EUlS13_E_NS1_11comp_targetILNS1_3genE2ELNS1_11target_archE906ELNS1_3gpuE6ELNS1_3repE0EEENS1_47radix_sort_onesweep_sort_config_static_selectorELNS0_4arch9wavefront6targetE1EEEvSK_,"axG",@progbits,_ZN7rocprim17ROCPRIM_400000_NS6detail17trampoline_kernelINS0_14default_configENS1_35radix_sort_onesweep_config_selectorIjNS0_10empty_typeEEEZZNS1_29radix_sort_onesweep_iterationIS3_Lb0EN6thrust23THRUST_200600_302600_NS6detail15normal_iteratorINS9_10device_ptrIjEEEESE_PS5_SF_jNS0_19identity_decomposerENS1_16block_id_wrapperIjLb1EEEEE10hipError_tT1_PNSt15iterator_traitsISK_E10value_typeET2_T3_PNSL_ISQ_E10value_typeET4_T5_PSV_SW_PNS1_23onesweep_lookback_stateEbbT6_jjT7_P12ihipStream_tbENKUlT_T0_SK_SP_E_clISE_PjSF_SF_EEDaS13_S14_SK_SP_EUlS13_E_NS1_11comp_targetILNS1_3genE2ELNS1_11target_archE906ELNS1_3gpuE6ELNS1_3repE0EEENS1_47radix_sort_onesweep_sort_config_static_selectorELNS0_4arch9wavefront6targetE1EEEvSK_,comdat
	.protected	_ZN7rocprim17ROCPRIM_400000_NS6detail17trampoline_kernelINS0_14default_configENS1_35radix_sort_onesweep_config_selectorIjNS0_10empty_typeEEEZZNS1_29radix_sort_onesweep_iterationIS3_Lb0EN6thrust23THRUST_200600_302600_NS6detail15normal_iteratorINS9_10device_ptrIjEEEESE_PS5_SF_jNS0_19identity_decomposerENS1_16block_id_wrapperIjLb1EEEEE10hipError_tT1_PNSt15iterator_traitsISK_E10value_typeET2_T3_PNSL_ISQ_E10value_typeET4_T5_PSV_SW_PNS1_23onesweep_lookback_stateEbbT6_jjT7_P12ihipStream_tbENKUlT_T0_SK_SP_E_clISE_PjSF_SF_EEDaS13_S14_SK_SP_EUlS13_E_NS1_11comp_targetILNS1_3genE2ELNS1_11target_archE906ELNS1_3gpuE6ELNS1_3repE0EEENS1_47radix_sort_onesweep_sort_config_static_selectorELNS0_4arch9wavefront6targetE1EEEvSK_ ; -- Begin function _ZN7rocprim17ROCPRIM_400000_NS6detail17trampoline_kernelINS0_14default_configENS1_35radix_sort_onesweep_config_selectorIjNS0_10empty_typeEEEZZNS1_29radix_sort_onesweep_iterationIS3_Lb0EN6thrust23THRUST_200600_302600_NS6detail15normal_iteratorINS9_10device_ptrIjEEEESE_PS5_SF_jNS0_19identity_decomposerENS1_16block_id_wrapperIjLb1EEEEE10hipError_tT1_PNSt15iterator_traitsISK_E10value_typeET2_T3_PNSL_ISQ_E10value_typeET4_T5_PSV_SW_PNS1_23onesweep_lookback_stateEbbT6_jjT7_P12ihipStream_tbENKUlT_T0_SK_SP_E_clISE_PjSF_SF_EEDaS13_S14_SK_SP_EUlS13_E_NS1_11comp_targetILNS1_3genE2ELNS1_11target_archE906ELNS1_3gpuE6ELNS1_3repE0EEENS1_47radix_sort_onesweep_sort_config_static_selectorELNS0_4arch9wavefront6targetE1EEEvSK_
	.globl	_ZN7rocprim17ROCPRIM_400000_NS6detail17trampoline_kernelINS0_14default_configENS1_35radix_sort_onesweep_config_selectorIjNS0_10empty_typeEEEZZNS1_29radix_sort_onesweep_iterationIS3_Lb0EN6thrust23THRUST_200600_302600_NS6detail15normal_iteratorINS9_10device_ptrIjEEEESE_PS5_SF_jNS0_19identity_decomposerENS1_16block_id_wrapperIjLb1EEEEE10hipError_tT1_PNSt15iterator_traitsISK_E10value_typeET2_T3_PNSL_ISQ_E10value_typeET4_T5_PSV_SW_PNS1_23onesweep_lookback_stateEbbT6_jjT7_P12ihipStream_tbENKUlT_T0_SK_SP_E_clISE_PjSF_SF_EEDaS13_S14_SK_SP_EUlS13_E_NS1_11comp_targetILNS1_3genE2ELNS1_11target_archE906ELNS1_3gpuE6ELNS1_3repE0EEENS1_47radix_sort_onesweep_sort_config_static_selectorELNS0_4arch9wavefront6targetE1EEEvSK_
	.p2align	8
	.type	_ZN7rocprim17ROCPRIM_400000_NS6detail17trampoline_kernelINS0_14default_configENS1_35radix_sort_onesweep_config_selectorIjNS0_10empty_typeEEEZZNS1_29radix_sort_onesweep_iterationIS3_Lb0EN6thrust23THRUST_200600_302600_NS6detail15normal_iteratorINS9_10device_ptrIjEEEESE_PS5_SF_jNS0_19identity_decomposerENS1_16block_id_wrapperIjLb1EEEEE10hipError_tT1_PNSt15iterator_traitsISK_E10value_typeET2_T3_PNSL_ISQ_E10value_typeET4_T5_PSV_SW_PNS1_23onesweep_lookback_stateEbbT6_jjT7_P12ihipStream_tbENKUlT_T0_SK_SP_E_clISE_PjSF_SF_EEDaS13_S14_SK_SP_EUlS13_E_NS1_11comp_targetILNS1_3genE2ELNS1_11target_archE906ELNS1_3gpuE6ELNS1_3repE0EEENS1_47radix_sort_onesweep_sort_config_static_selectorELNS0_4arch9wavefront6targetE1EEEvSK_,@function
_ZN7rocprim17ROCPRIM_400000_NS6detail17trampoline_kernelINS0_14default_configENS1_35radix_sort_onesweep_config_selectorIjNS0_10empty_typeEEEZZNS1_29radix_sort_onesweep_iterationIS3_Lb0EN6thrust23THRUST_200600_302600_NS6detail15normal_iteratorINS9_10device_ptrIjEEEESE_PS5_SF_jNS0_19identity_decomposerENS1_16block_id_wrapperIjLb1EEEEE10hipError_tT1_PNSt15iterator_traitsISK_E10value_typeET2_T3_PNSL_ISQ_E10value_typeET4_T5_PSV_SW_PNS1_23onesweep_lookback_stateEbbT6_jjT7_P12ihipStream_tbENKUlT_T0_SK_SP_E_clISE_PjSF_SF_EEDaS13_S14_SK_SP_EUlS13_E_NS1_11comp_targetILNS1_3genE2ELNS1_11target_archE906ELNS1_3gpuE6ELNS1_3repE0EEENS1_47radix_sort_onesweep_sort_config_static_selectorELNS0_4arch9wavefront6targetE1EEEvSK_: ; @_ZN7rocprim17ROCPRIM_400000_NS6detail17trampoline_kernelINS0_14default_configENS1_35radix_sort_onesweep_config_selectorIjNS0_10empty_typeEEEZZNS1_29radix_sort_onesweep_iterationIS3_Lb0EN6thrust23THRUST_200600_302600_NS6detail15normal_iteratorINS9_10device_ptrIjEEEESE_PS5_SF_jNS0_19identity_decomposerENS1_16block_id_wrapperIjLb1EEEEE10hipError_tT1_PNSt15iterator_traitsISK_E10value_typeET2_T3_PNSL_ISQ_E10value_typeET4_T5_PSV_SW_PNS1_23onesweep_lookback_stateEbbT6_jjT7_P12ihipStream_tbENKUlT_T0_SK_SP_E_clISE_PjSF_SF_EEDaS13_S14_SK_SP_EUlS13_E_NS1_11comp_targetILNS1_3genE2ELNS1_11target_archE906ELNS1_3gpuE6ELNS1_3repE0EEENS1_47radix_sort_onesweep_sort_config_static_selectorELNS0_4arch9wavefront6targetE1EEEvSK_
; %bb.0:
	.section	.rodata,"a",@progbits
	.p2align	6, 0x0
	.amdhsa_kernel _ZN7rocprim17ROCPRIM_400000_NS6detail17trampoline_kernelINS0_14default_configENS1_35radix_sort_onesweep_config_selectorIjNS0_10empty_typeEEEZZNS1_29radix_sort_onesweep_iterationIS3_Lb0EN6thrust23THRUST_200600_302600_NS6detail15normal_iteratorINS9_10device_ptrIjEEEESE_PS5_SF_jNS0_19identity_decomposerENS1_16block_id_wrapperIjLb1EEEEE10hipError_tT1_PNSt15iterator_traitsISK_E10value_typeET2_T3_PNSL_ISQ_E10value_typeET4_T5_PSV_SW_PNS1_23onesweep_lookback_stateEbbT6_jjT7_P12ihipStream_tbENKUlT_T0_SK_SP_E_clISE_PjSF_SF_EEDaS13_S14_SK_SP_EUlS13_E_NS1_11comp_targetILNS1_3genE2ELNS1_11target_archE906ELNS1_3gpuE6ELNS1_3repE0EEENS1_47radix_sort_onesweep_sort_config_static_selectorELNS0_4arch9wavefront6targetE1EEEvSK_
		.amdhsa_group_segment_fixed_size 0
		.amdhsa_private_segment_fixed_size 0
		.amdhsa_kernarg_size 88
		.amdhsa_user_sgpr_count 2
		.amdhsa_user_sgpr_dispatch_ptr 0
		.amdhsa_user_sgpr_queue_ptr 0
		.amdhsa_user_sgpr_kernarg_segment_ptr 1
		.amdhsa_user_sgpr_dispatch_id 0
		.amdhsa_user_sgpr_kernarg_preload_length 0
		.amdhsa_user_sgpr_kernarg_preload_offset 0
		.amdhsa_user_sgpr_private_segment_size 0
		.amdhsa_uses_dynamic_stack 0
		.amdhsa_enable_private_segment 0
		.amdhsa_system_sgpr_workgroup_id_x 1
		.amdhsa_system_sgpr_workgroup_id_y 0
		.amdhsa_system_sgpr_workgroup_id_z 0
		.amdhsa_system_sgpr_workgroup_info 0
		.amdhsa_system_vgpr_workitem_id 0
		.amdhsa_next_free_vgpr 1
		.amdhsa_next_free_sgpr 0
		.amdhsa_accum_offset 4
		.amdhsa_reserve_vcc 0
		.amdhsa_float_round_mode_32 0
		.amdhsa_float_round_mode_16_64 0
		.amdhsa_float_denorm_mode_32 3
		.amdhsa_float_denorm_mode_16_64 3
		.amdhsa_dx10_clamp 1
		.amdhsa_ieee_mode 1
		.amdhsa_fp16_overflow 0
		.amdhsa_tg_split 0
		.amdhsa_exception_fp_ieee_invalid_op 0
		.amdhsa_exception_fp_denorm_src 0
		.amdhsa_exception_fp_ieee_div_zero 0
		.amdhsa_exception_fp_ieee_overflow 0
		.amdhsa_exception_fp_ieee_underflow 0
		.amdhsa_exception_fp_ieee_inexact 0
		.amdhsa_exception_int_div_zero 0
	.end_amdhsa_kernel
	.section	.text._ZN7rocprim17ROCPRIM_400000_NS6detail17trampoline_kernelINS0_14default_configENS1_35radix_sort_onesweep_config_selectorIjNS0_10empty_typeEEEZZNS1_29radix_sort_onesweep_iterationIS3_Lb0EN6thrust23THRUST_200600_302600_NS6detail15normal_iteratorINS9_10device_ptrIjEEEESE_PS5_SF_jNS0_19identity_decomposerENS1_16block_id_wrapperIjLb1EEEEE10hipError_tT1_PNSt15iterator_traitsISK_E10value_typeET2_T3_PNSL_ISQ_E10value_typeET4_T5_PSV_SW_PNS1_23onesweep_lookback_stateEbbT6_jjT7_P12ihipStream_tbENKUlT_T0_SK_SP_E_clISE_PjSF_SF_EEDaS13_S14_SK_SP_EUlS13_E_NS1_11comp_targetILNS1_3genE2ELNS1_11target_archE906ELNS1_3gpuE6ELNS1_3repE0EEENS1_47radix_sort_onesweep_sort_config_static_selectorELNS0_4arch9wavefront6targetE1EEEvSK_,"axG",@progbits,_ZN7rocprim17ROCPRIM_400000_NS6detail17trampoline_kernelINS0_14default_configENS1_35radix_sort_onesweep_config_selectorIjNS0_10empty_typeEEEZZNS1_29radix_sort_onesweep_iterationIS3_Lb0EN6thrust23THRUST_200600_302600_NS6detail15normal_iteratorINS9_10device_ptrIjEEEESE_PS5_SF_jNS0_19identity_decomposerENS1_16block_id_wrapperIjLb1EEEEE10hipError_tT1_PNSt15iterator_traitsISK_E10value_typeET2_T3_PNSL_ISQ_E10value_typeET4_T5_PSV_SW_PNS1_23onesweep_lookback_stateEbbT6_jjT7_P12ihipStream_tbENKUlT_T0_SK_SP_E_clISE_PjSF_SF_EEDaS13_S14_SK_SP_EUlS13_E_NS1_11comp_targetILNS1_3genE2ELNS1_11target_archE906ELNS1_3gpuE6ELNS1_3repE0EEENS1_47radix_sort_onesweep_sort_config_static_selectorELNS0_4arch9wavefront6targetE1EEEvSK_,comdat
.Lfunc_end1113:
	.size	_ZN7rocprim17ROCPRIM_400000_NS6detail17trampoline_kernelINS0_14default_configENS1_35radix_sort_onesweep_config_selectorIjNS0_10empty_typeEEEZZNS1_29radix_sort_onesweep_iterationIS3_Lb0EN6thrust23THRUST_200600_302600_NS6detail15normal_iteratorINS9_10device_ptrIjEEEESE_PS5_SF_jNS0_19identity_decomposerENS1_16block_id_wrapperIjLb1EEEEE10hipError_tT1_PNSt15iterator_traitsISK_E10value_typeET2_T3_PNSL_ISQ_E10value_typeET4_T5_PSV_SW_PNS1_23onesweep_lookback_stateEbbT6_jjT7_P12ihipStream_tbENKUlT_T0_SK_SP_E_clISE_PjSF_SF_EEDaS13_S14_SK_SP_EUlS13_E_NS1_11comp_targetILNS1_3genE2ELNS1_11target_archE906ELNS1_3gpuE6ELNS1_3repE0EEENS1_47radix_sort_onesweep_sort_config_static_selectorELNS0_4arch9wavefront6targetE1EEEvSK_, .Lfunc_end1113-_ZN7rocprim17ROCPRIM_400000_NS6detail17trampoline_kernelINS0_14default_configENS1_35radix_sort_onesweep_config_selectorIjNS0_10empty_typeEEEZZNS1_29radix_sort_onesweep_iterationIS3_Lb0EN6thrust23THRUST_200600_302600_NS6detail15normal_iteratorINS9_10device_ptrIjEEEESE_PS5_SF_jNS0_19identity_decomposerENS1_16block_id_wrapperIjLb1EEEEE10hipError_tT1_PNSt15iterator_traitsISK_E10value_typeET2_T3_PNSL_ISQ_E10value_typeET4_T5_PSV_SW_PNS1_23onesweep_lookback_stateEbbT6_jjT7_P12ihipStream_tbENKUlT_T0_SK_SP_E_clISE_PjSF_SF_EEDaS13_S14_SK_SP_EUlS13_E_NS1_11comp_targetILNS1_3genE2ELNS1_11target_archE906ELNS1_3gpuE6ELNS1_3repE0EEENS1_47radix_sort_onesweep_sort_config_static_selectorELNS0_4arch9wavefront6targetE1EEEvSK_
                                        ; -- End function
	.section	.AMDGPU.csdata,"",@progbits
; Kernel info:
; codeLenInByte = 0
; NumSgprs: 6
; NumVgprs: 0
; NumAgprs: 0
; TotalNumVgprs: 0
; ScratchSize: 0
; MemoryBound: 0
; FloatMode: 240
; IeeeMode: 1
; LDSByteSize: 0 bytes/workgroup (compile time only)
; SGPRBlocks: 0
; VGPRBlocks: 0
; NumSGPRsForWavesPerEU: 6
; NumVGPRsForWavesPerEU: 1
; AccumOffset: 4
; Occupancy: 8
; WaveLimiterHint : 0
; COMPUTE_PGM_RSRC2:SCRATCH_EN: 0
; COMPUTE_PGM_RSRC2:USER_SGPR: 2
; COMPUTE_PGM_RSRC2:TRAP_HANDLER: 0
; COMPUTE_PGM_RSRC2:TGID_X_EN: 1
; COMPUTE_PGM_RSRC2:TGID_Y_EN: 0
; COMPUTE_PGM_RSRC2:TGID_Z_EN: 0
; COMPUTE_PGM_RSRC2:TIDIG_COMP_CNT: 0
; COMPUTE_PGM_RSRC3_GFX90A:ACCUM_OFFSET: 0
; COMPUTE_PGM_RSRC3_GFX90A:TG_SPLIT: 0
	.section	.text._ZN7rocprim17ROCPRIM_400000_NS6detail17trampoline_kernelINS0_14default_configENS1_35radix_sort_onesweep_config_selectorIjNS0_10empty_typeEEEZZNS1_29radix_sort_onesweep_iterationIS3_Lb0EN6thrust23THRUST_200600_302600_NS6detail15normal_iteratorINS9_10device_ptrIjEEEESE_PS5_SF_jNS0_19identity_decomposerENS1_16block_id_wrapperIjLb1EEEEE10hipError_tT1_PNSt15iterator_traitsISK_E10value_typeET2_T3_PNSL_ISQ_E10value_typeET4_T5_PSV_SW_PNS1_23onesweep_lookback_stateEbbT6_jjT7_P12ihipStream_tbENKUlT_T0_SK_SP_E_clISE_PjSF_SF_EEDaS13_S14_SK_SP_EUlS13_E_NS1_11comp_targetILNS1_3genE4ELNS1_11target_archE910ELNS1_3gpuE8ELNS1_3repE0EEENS1_47radix_sort_onesweep_sort_config_static_selectorELNS0_4arch9wavefront6targetE1EEEvSK_,"axG",@progbits,_ZN7rocprim17ROCPRIM_400000_NS6detail17trampoline_kernelINS0_14default_configENS1_35radix_sort_onesweep_config_selectorIjNS0_10empty_typeEEEZZNS1_29radix_sort_onesweep_iterationIS3_Lb0EN6thrust23THRUST_200600_302600_NS6detail15normal_iteratorINS9_10device_ptrIjEEEESE_PS5_SF_jNS0_19identity_decomposerENS1_16block_id_wrapperIjLb1EEEEE10hipError_tT1_PNSt15iterator_traitsISK_E10value_typeET2_T3_PNSL_ISQ_E10value_typeET4_T5_PSV_SW_PNS1_23onesweep_lookback_stateEbbT6_jjT7_P12ihipStream_tbENKUlT_T0_SK_SP_E_clISE_PjSF_SF_EEDaS13_S14_SK_SP_EUlS13_E_NS1_11comp_targetILNS1_3genE4ELNS1_11target_archE910ELNS1_3gpuE8ELNS1_3repE0EEENS1_47radix_sort_onesweep_sort_config_static_selectorELNS0_4arch9wavefront6targetE1EEEvSK_,comdat
	.protected	_ZN7rocprim17ROCPRIM_400000_NS6detail17trampoline_kernelINS0_14default_configENS1_35radix_sort_onesweep_config_selectorIjNS0_10empty_typeEEEZZNS1_29radix_sort_onesweep_iterationIS3_Lb0EN6thrust23THRUST_200600_302600_NS6detail15normal_iteratorINS9_10device_ptrIjEEEESE_PS5_SF_jNS0_19identity_decomposerENS1_16block_id_wrapperIjLb1EEEEE10hipError_tT1_PNSt15iterator_traitsISK_E10value_typeET2_T3_PNSL_ISQ_E10value_typeET4_T5_PSV_SW_PNS1_23onesweep_lookback_stateEbbT6_jjT7_P12ihipStream_tbENKUlT_T0_SK_SP_E_clISE_PjSF_SF_EEDaS13_S14_SK_SP_EUlS13_E_NS1_11comp_targetILNS1_3genE4ELNS1_11target_archE910ELNS1_3gpuE8ELNS1_3repE0EEENS1_47radix_sort_onesweep_sort_config_static_selectorELNS0_4arch9wavefront6targetE1EEEvSK_ ; -- Begin function _ZN7rocprim17ROCPRIM_400000_NS6detail17trampoline_kernelINS0_14default_configENS1_35radix_sort_onesweep_config_selectorIjNS0_10empty_typeEEEZZNS1_29radix_sort_onesweep_iterationIS3_Lb0EN6thrust23THRUST_200600_302600_NS6detail15normal_iteratorINS9_10device_ptrIjEEEESE_PS5_SF_jNS0_19identity_decomposerENS1_16block_id_wrapperIjLb1EEEEE10hipError_tT1_PNSt15iterator_traitsISK_E10value_typeET2_T3_PNSL_ISQ_E10value_typeET4_T5_PSV_SW_PNS1_23onesweep_lookback_stateEbbT6_jjT7_P12ihipStream_tbENKUlT_T0_SK_SP_E_clISE_PjSF_SF_EEDaS13_S14_SK_SP_EUlS13_E_NS1_11comp_targetILNS1_3genE4ELNS1_11target_archE910ELNS1_3gpuE8ELNS1_3repE0EEENS1_47radix_sort_onesweep_sort_config_static_selectorELNS0_4arch9wavefront6targetE1EEEvSK_
	.globl	_ZN7rocprim17ROCPRIM_400000_NS6detail17trampoline_kernelINS0_14default_configENS1_35radix_sort_onesweep_config_selectorIjNS0_10empty_typeEEEZZNS1_29radix_sort_onesweep_iterationIS3_Lb0EN6thrust23THRUST_200600_302600_NS6detail15normal_iteratorINS9_10device_ptrIjEEEESE_PS5_SF_jNS0_19identity_decomposerENS1_16block_id_wrapperIjLb1EEEEE10hipError_tT1_PNSt15iterator_traitsISK_E10value_typeET2_T3_PNSL_ISQ_E10value_typeET4_T5_PSV_SW_PNS1_23onesweep_lookback_stateEbbT6_jjT7_P12ihipStream_tbENKUlT_T0_SK_SP_E_clISE_PjSF_SF_EEDaS13_S14_SK_SP_EUlS13_E_NS1_11comp_targetILNS1_3genE4ELNS1_11target_archE910ELNS1_3gpuE8ELNS1_3repE0EEENS1_47radix_sort_onesweep_sort_config_static_selectorELNS0_4arch9wavefront6targetE1EEEvSK_
	.p2align	8
	.type	_ZN7rocprim17ROCPRIM_400000_NS6detail17trampoline_kernelINS0_14default_configENS1_35radix_sort_onesweep_config_selectorIjNS0_10empty_typeEEEZZNS1_29radix_sort_onesweep_iterationIS3_Lb0EN6thrust23THRUST_200600_302600_NS6detail15normal_iteratorINS9_10device_ptrIjEEEESE_PS5_SF_jNS0_19identity_decomposerENS1_16block_id_wrapperIjLb1EEEEE10hipError_tT1_PNSt15iterator_traitsISK_E10value_typeET2_T3_PNSL_ISQ_E10value_typeET4_T5_PSV_SW_PNS1_23onesweep_lookback_stateEbbT6_jjT7_P12ihipStream_tbENKUlT_T0_SK_SP_E_clISE_PjSF_SF_EEDaS13_S14_SK_SP_EUlS13_E_NS1_11comp_targetILNS1_3genE4ELNS1_11target_archE910ELNS1_3gpuE8ELNS1_3repE0EEENS1_47radix_sort_onesweep_sort_config_static_selectorELNS0_4arch9wavefront6targetE1EEEvSK_,@function
_ZN7rocprim17ROCPRIM_400000_NS6detail17trampoline_kernelINS0_14default_configENS1_35radix_sort_onesweep_config_selectorIjNS0_10empty_typeEEEZZNS1_29radix_sort_onesweep_iterationIS3_Lb0EN6thrust23THRUST_200600_302600_NS6detail15normal_iteratorINS9_10device_ptrIjEEEESE_PS5_SF_jNS0_19identity_decomposerENS1_16block_id_wrapperIjLb1EEEEE10hipError_tT1_PNSt15iterator_traitsISK_E10value_typeET2_T3_PNSL_ISQ_E10value_typeET4_T5_PSV_SW_PNS1_23onesweep_lookback_stateEbbT6_jjT7_P12ihipStream_tbENKUlT_T0_SK_SP_E_clISE_PjSF_SF_EEDaS13_S14_SK_SP_EUlS13_E_NS1_11comp_targetILNS1_3genE4ELNS1_11target_archE910ELNS1_3gpuE8ELNS1_3repE0EEENS1_47radix_sort_onesweep_sort_config_static_selectorELNS0_4arch9wavefront6targetE1EEEvSK_: ; @_ZN7rocprim17ROCPRIM_400000_NS6detail17trampoline_kernelINS0_14default_configENS1_35radix_sort_onesweep_config_selectorIjNS0_10empty_typeEEEZZNS1_29radix_sort_onesweep_iterationIS3_Lb0EN6thrust23THRUST_200600_302600_NS6detail15normal_iteratorINS9_10device_ptrIjEEEESE_PS5_SF_jNS0_19identity_decomposerENS1_16block_id_wrapperIjLb1EEEEE10hipError_tT1_PNSt15iterator_traitsISK_E10value_typeET2_T3_PNSL_ISQ_E10value_typeET4_T5_PSV_SW_PNS1_23onesweep_lookback_stateEbbT6_jjT7_P12ihipStream_tbENKUlT_T0_SK_SP_E_clISE_PjSF_SF_EEDaS13_S14_SK_SP_EUlS13_E_NS1_11comp_targetILNS1_3genE4ELNS1_11target_archE910ELNS1_3gpuE8ELNS1_3repE0EEENS1_47radix_sort_onesweep_sort_config_static_selectorELNS0_4arch9wavefront6targetE1EEEvSK_
; %bb.0:
	.section	.rodata,"a",@progbits
	.p2align	6, 0x0
	.amdhsa_kernel _ZN7rocprim17ROCPRIM_400000_NS6detail17trampoline_kernelINS0_14default_configENS1_35radix_sort_onesweep_config_selectorIjNS0_10empty_typeEEEZZNS1_29radix_sort_onesweep_iterationIS3_Lb0EN6thrust23THRUST_200600_302600_NS6detail15normal_iteratorINS9_10device_ptrIjEEEESE_PS5_SF_jNS0_19identity_decomposerENS1_16block_id_wrapperIjLb1EEEEE10hipError_tT1_PNSt15iterator_traitsISK_E10value_typeET2_T3_PNSL_ISQ_E10value_typeET4_T5_PSV_SW_PNS1_23onesweep_lookback_stateEbbT6_jjT7_P12ihipStream_tbENKUlT_T0_SK_SP_E_clISE_PjSF_SF_EEDaS13_S14_SK_SP_EUlS13_E_NS1_11comp_targetILNS1_3genE4ELNS1_11target_archE910ELNS1_3gpuE8ELNS1_3repE0EEENS1_47radix_sort_onesweep_sort_config_static_selectorELNS0_4arch9wavefront6targetE1EEEvSK_
		.amdhsa_group_segment_fixed_size 0
		.amdhsa_private_segment_fixed_size 0
		.amdhsa_kernarg_size 88
		.amdhsa_user_sgpr_count 2
		.amdhsa_user_sgpr_dispatch_ptr 0
		.amdhsa_user_sgpr_queue_ptr 0
		.amdhsa_user_sgpr_kernarg_segment_ptr 1
		.amdhsa_user_sgpr_dispatch_id 0
		.amdhsa_user_sgpr_kernarg_preload_length 0
		.amdhsa_user_sgpr_kernarg_preload_offset 0
		.amdhsa_user_sgpr_private_segment_size 0
		.amdhsa_uses_dynamic_stack 0
		.amdhsa_enable_private_segment 0
		.amdhsa_system_sgpr_workgroup_id_x 1
		.amdhsa_system_sgpr_workgroup_id_y 0
		.amdhsa_system_sgpr_workgroup_id_z 0
		.amdhsa_system_sgpr_workgroup_info 0
		.amdhsa_system_vgpr_workitem_id 0
		.amdhsa_next_free_vgpr 1
		.amdhsa_next_free_sgpr 0
		.amdhsa_accum_offset 4
		.amdhsa_reserve_vcc 0
		.amdhsa_float_round_mode_32 0
		.amdhsa_float_round_mode_16_64 0
		.amdhsa_float_denorm_mode_32 3
		.amdhsa_float_denorm_mode_16_64 3
		.amdhsa_dx10_clamp 1
		.amdhsa_ieee_mode 1
		.amdhsa_fp16_overflow 0
		.amdhsa_tg_split 0
		.amdhsa_exception_fp_ieee_invalid_op 0
		.amdhsa_exception_fp_denorm_src 0
		.amdhsa_exception_fp_ieee_div_zero 0
		.amdhsa_exception_fp_ieee_overflow 0
		.amdhsa_exception_fp_ieee_underflow 0
		.amdhsa_exception_fp_ieee_inexact 0
		.amdhsa_exception_int_div_zero 0
	.end_amdhsa_kernel
	.section	.text._ZN7rocprim17ROCPRIM_400000_NS6detail17trampoline_kernelINS0_14default_configENS1_35radix_sort_onesweep_config_selectorIjNS0_10empty_typeEEEZZNS1_29radix_sort_onesweep_iterationIS3_Lb0EN6thrust23THRUST_200600_302600_NS6detail15normal_iteratorINS9_10device_ptrIjEEEESE_PS5_SF_jNS0_19identity_decomposerENS1_16block_id_wrapperIjLb1EEEEE10hipError_tT1_PNSt15iterator_traitsISK_E10value_typeET2_T3_PNSL_ISQ_E10value_typeET4_T5_PSV_SW_PNS1_23onesweep_lookback_stateEbbT6_jjT7_P12ihipStream_tbENKUlT_T0_SK_SP_E_clISE_PjSF_SF_EEDaS13_S14_SK_SP_EUlS13_E_NS1_11comp_targetILNS1_3genE4ELNS1_11target_archE910ELNS1_3gpuE8ELNS1_3repE0EEENS1_47radix_sort_onesweep_sort_config_static_selectorELNS0_4arch9wavefront6targetE1EEEvSK_,"axG",@progbits,_ZN7rocprim17ROCPRIM_400000_NS6detail17trampoline_kernelINS0_14default_configENS1_35radix_sort_onesweep_config_selectorIjNS0_10empty_typeEEEZZNS1_29radix_sort_onesweep_iterationIS3_Lb0EN6thrust23THRUST_200600_302600_NS6detail15normal_iteratorINS9_10device_ptrIjEEEESE_PS5_SF_jNS0_19identity_decomposerENS1_16block_id_wrapperIjLb1EEEEE10hipError_tT1_PNSt15iterator_traitsISK_E10value_typeET2_T3_PNSL_ISQ_E10value_typeET4_T5_PSV_SW_PNS1_23onesweep_lookback_stateEbbT6_jjT7_P12ihipStream_tbENKUlT_T0_SK_SP_E_clISE_PjSF_SF_EEDaS13_S14_SK_SP_EUlS13_E_NS1_11comp_targetILNS1_3genE4ELNS1_11target_archE910ELNS1_3gpuE8ELNS1_3repE0EEENS1_47radix_sort_onesweep_sort_config_static_selectorELNS0_4arch9wavefront6targetE1EEEvSK_,comdat
.Lfunc_end1114:
	.size	_ZN7rocprim17ROCPRIM_400000_NS6detail17trampoline_kernelINS0_14default_configENS1_35radix_sort_onesweep_config_selectorIjNS0_10empty_typeEEEZZNS1_29radix_sort_onesweep_iterationIS3_Lb0EN6thrust23THRUST_200600_302600_NS6detail15normal_iteratorINS9_10device_ptrIjEEEESE_PS5_SF_jNS0_19identity_decomposerENS1_16block_id_wrapperIjLb1EEEEE10hipError_tT1_PNSt15iterator_traitsISK_E10value_typeET2_T3_PNSL_ISQ_E10value_typeET4_T5_PSV_SW_PNS1_23onesweep_lookback_stateEbbT6_jjT7_P12ihipStream_tbENKUlT_T0_SK_SP_E_clISE_PjSF_SF_EEDaS13_S14_SK_SP_EUlS13_E_NS1_11comp_targetILNS1_3genE4ELNS1_11target_archE910ELNS1_3gpuE8ELNS1_3repE0EEENS1_47radix_sort_onesweep_sort_config_static_selectorELNS0_4arch9wavefront6targetE1EEEvSK_, .Lfunc_end1114-_ZN7rocprim17ROCPRIM_400000_NS6detail17trampoline_kernelINS0_14default_configENS1_35radix_sort_onesweep_config_selectorIjNS0_10empty_typeEEEZZNS1_29radix_sort_onesweep_iterationIS3_Lb0EN6thrust23THRUST_200600_302600_NS6detail15normal_iteratorINS9_10device_ptrIjEEEESE_PS5_SF_jNS0_19identity_decomposerENS1_16block_id_wrapperIjLb1EEEEE10hipError_tT1_PNSt15iterator_traitsISK_E10value_typeET2_T3_PNSL_ISQ_E10value_typeET4_T5_PSV_SW_PNS1_23onesweep_lookback_stateEbbT6_jjT7_P12ihipStream_tbENKUlT_T0_SK_SP_E_clISE_PjSF_SF_EEDaS13_S14_SK_SP_EUlS13_E_NS1_11comp_targetILNS1_3genE4ELNS1_11target_archE910ELNS1_3gpuE8ELNS1_3repE0EEENS1_47radix_sort_onesweep_sort_config_static_selectorELNS0_4arch9wavefront6targetE1EEEvSK_
                                        ; -- End function
	.section	.AMDGPU.csdata,"",@progbits
; Kernel info:
; codeLenInByte = 0
; NumSgprs: 6
; NumVgprs: 0
; NumAgprs: 0
; TotalNumVgprs: 0
; ScratchSize: 0
; MemoryBound: 0
; FloatMode: 240
; IeeeMode: 1
; LDSByteSize: 0 bytes/workgroup (compile time only)
; SGPRBlocks: 0
; VGPRBlocks: 0
; NumSGPRsForWavesPerEU: 6
; NumVGPRsForWavesPerEU: 1
; AccumOffset: 4
; Occupancy: 8
; WaveLimiterHint : 0
; COMPUTE_PGM_RSRC2:SCRATCH_EN: 0
; COMPUTE_PGM_RSRC2:USER_SGPR: 2
; COMPUTE_PGM_RSRC2:TRAP_HANDLER: 0
; COMPUTE_PGM_RSRC2:TGID_X_EN: 1
; COMPUTE_PGM_RSRC2:TGID_Y_EN: 0
; COMPUTE_PGM_RSRC2:TGID_Z_EN: 0
; COMPUTE_PGM_RSRC2:TIDIG_COMP_CNT: 0
; COMPUTE_PGM_RSRC3_GFX90A:ACCUM_OFFSET: 0
; COMPUTE_PGM_RSRC3_GFX90A:TG_SPLIT: 0
	.section	.text._ZN7rocprim17ROCPRIM_400000_NS6detail17trampoline_kernelINS0_14default_configENS1_35radix_sort_onesweep_config_selectorIjNS0_10empty_typeEEEZZNS1_29radix_sort_onesweep_iterationIS3_Lb0EN6thrust23THRUST_200600_302600_NS6detail15normal_iteratorINS9_10device_ptrIjEEEESE_PS5_SF_jNS0_19identity_decomposerENS1_16block_id_wrapperIjLb1EEEEE10hipError_tT1_PNSt15iterator_traitsISK_E10value_typeET2_T3_PNSL_ISQ_E10value_typeET4_T5_PSV_SW_PNS1_23onesweep_lookback_stateEbbT6_jjT7_P12ihipStream_tbENKUlT_T0_SK_SP_E_clISE_PjSF_SF_EEDaS13_S14_SK_SP_EUlS13_E_NS1_11comp_targetILNS1_3genE3ELNS1_11target_archE908ELNS1_3gpuE7ELNS1_3repE0EEENS1_47radix_sort_onesweep_sort_config_static_selectorELNS0_4arch9wavefront6targetE1EEEvSK_,"axG",@progbits,_ZN7rocprim17ROCPRIM_400000_NS6detail17trampoline_kernelINS0_14default_configENS1_35radix_sort_onesweep_config_selectorIjNS0_10empty_typeEEEZZNS1_29radix_sort_onesweep_iterationIS3_Lb0EN6thrust23THRUST_200600_302600_NS6detail15normal_iteratorINS9_10device_ptrIjEEEESE_PS5_SF_jNS0_19identity_decomposerENS1_16block_id_wrapperIjLb1EEEEE10hipError_tT1_PNSt15iterator_traitsISK_E10value_typeET2_T3_PNSL_ISQ_E10value_typeET4_T5_PSV_SW_PNS1_23onesweep_lookback_stateEbbT6_jjT7_P12ihipStream_tbENKUlT_T0_SK_SP_E_clISE_PjSF_SF_EEDaS13_S14_SK_SP_EUlS13_E_NS1_11comp_targetILNS1_3genE3ELNS1_11target_archE908ELNS1_3gpuE7ELNS1_3repE0EEENS1_47radix_sort_onesweep_sort_config_static_selectorELNS0_4arch9wavefront6targetE1EEEvSK_,comdat
	.protected	_ZN7rocprim17ROCPRIM_400000_NS6detail17trampoline_kernelINS0_14default_configENS1_35radix_sort_onesweep_config_selectorIjNS0_10empty_typeEEEZZNS1_29radix_sort_onesweep_iterationIS3_Lb0EN6thrust23THRUST_200600_302600_NS6detail15normal_iteratorINS9_10device_ptrIjEEEESE_PS5_SF_jNS0_19identity_decomposerENS1_16block_id_wrapperIjLb1EEEEE10hipError_tT1_PNSt15iterator_traitsISK_E10value_typeET2_T3_PNSL_ISQ_E10value_typeET4_T5_PSV_SW_PNS1_23onesweep_lookback_stateEbbT6_jjT7_P12ihipStream_tbENKUlT_T0_SK_SP_E_clISE_PjSF_SF_EEDaS13_S14_SK_SP_EUlS13_E_NS1_11comp_targetILNS1_3genE3ELNS1_11target_archE908ELNS1_3gpuE7ELNS1_3repE0EEENS1_47radix_sort_onesweep_sort_config_static_selectorELNS0_4arch9wavefront6targetE1EEEvSK_ ; -- Begin function _ZN7rocprim17ROCPRIM_400000_NS6detail17trampoline_kernelINS0_14default_configENS1_35radix_sort_onesweep_config_selectorIjNS0_10empty_typeEEEZZNS1_29radix_sort_onesweep_iterationIS3_Lb0EN6thrust23THRUST_200600_302600_NS6detail15normal_iteratorINS9_10device_ptrIjEEEESE_PS5_SF_jNS0_19identity_decomposerENS1_16block_id_wrapperIjLb1EEEEE10hipError_tT1_PNSt15iterator_traitsISK_E10value_typeET2_T3_PNSL_ISQ_E10value_typeET4_T5_PSV_SW_PNS1_23onesweep_lookback_stateEbbT6_jjT7_P12ihipStream_tbENKUlT_T0_SK_SP_E_clISE_PjSF_SF_EEDaS13_S14_SK_SP_EUlS13_E_NS1_11comp_targetILNS1_3genE3ELNS1_11target_archE908ELNS1_3gpuE7ELNS1_3repE0EEENS1_47radix_sort_onesweep_sort_config_static_selectorELNS0_4arch9wavefront6targetE1EEEvSK_
	.globl	_ZN7rocprim17ROCPRIM_400000_NS6detail17trampoline_kernelINS0_14default_configENS1_35radix_sort_onesweep_config_selectorIjNS0_10empty_typeEEEZZNS1_29radix_sort_onesweep_iterationIS3_Lb0EN6thrust23THRUST_200600_302600_NS6detail15normal_iteratorINS9_10device_ptrIjEEEESE_PS5_SF_jNS0_19identity_decomposerENS1_16block_id_wrapperIjLb1EEEEE10hipError_tT1_PNSt15iterator_traitsISK_E10value_typeET2_T3_PNSL_ISQ_E10value_typeET4_T5_PSV_SW_PNS1_23onesweep_lookback_stateEbbT6_jjT7_P12ihipStream_tbENKUlT_T0_SK_SP_E_clISE_PjSF_SF_EEDaS13_S14_SK_SP_EUlS13_E_NS1_11comp_targetILNS1_3genE3ELNS1_11target_archE908ELNS1_3gpuE7ELNS1_3repE0EEENS1_47radix_sort_onesweep_sort_config_static_selectorELNS0_4arch9wavefront6targetE1EEEvSK_
	.p2align	8
	.type	_ZN7rocprim17ROCPRIM_400000_NS6detail17trampoline_kernelINS0_14default_configENS1_35radix_sort_onesweep_config_selectorIjNS0_10empty_typeEEEZZNS1_29radix_sort_onesweep_iterationIS3_Lb0EN6thrust23THRUST_200600_302600_NS6detail15normal_iteratorINS9_10device_ptrIjEEEESE_PS5_SF_jNS0_19identity_decomposerENS1_16block_id_wrapperIjLb1EEEEE10hipError_tT1_PNSt15iterator_traitsISK_E10value_typeET2_T3_PNSL_ISQ_E10value_typeET4_T5_PSV_SW_PNS1_23onesweep_lookback_stateEbbT6_jjT7_P12ihipStream_tbENKUlT_T0_SK_SP_E_clISE_PjSF_SF_EEDaS13_S14_SK_SP_EUlS13_E_NS1_11comp_targetILNS1_3genE3ELNS1_11target_archE908ELNS1_3gpuE7ELNS1_3repE0EEENS1_47radix_sort_onesweep_sort_config_static_selectorELNS0_4arch9wavefront6targetE1EEEvSK_,@function
_ZN7rocprim17ROCPRIM_400000_NS6detail17trampoline_kernelINS0_14default_configENS1_35radix_sort_onesweep_config_selectorIjNS0_10empty_typeEEEZZNS1_29radix_sort_onesweep_iterationIS3_Lb0EN6thrust23THRUST_200600_302600_NS6detail15normal_iteratorINS9_10device_ptrIjEEEESE_PS5_SF_jNS0_19identity_decomposerENS1_16block_id_wrapperIjLb1EEEEE10hipError_tT1_PNSt15iterator_traitsISK_E10value_typeET2_T3_PNSL_ISQ_E10value_typeET4_T5_PSV_SW_PNS1_23onesweep_lookback_stateEbbT6_jjT7_P12ihipStream_tbENKUlT_T0_SK_SP_E_clISE_PjSF_SF_EEDaS13_S14_SK_SP_EUlS13_E_NS1_11comp_targetILNS1_3genE3ELNS1_11target_archE908ELNS1_3gpuE7ELNS1_3repE0EEENS1_47radix_sort_onesweep_sort_config_static_selectorELNS0_4arch9wavefront6targetE1EEEvSK_: ; @_ZN7rocprim17ROCPRIM_400000_NS6detail17trampoline_kernelINS0_14default_configENS1_35radix_sort_onesweep_config_selectorIjNS0_10empty_typeEEEZZNS1_29radix_sort_onesweep_iterationIS3_Lb0EN6thrust23THRUST_200600_302600_NS6detail15normal_iteratorINS9_10device_ptrIjEEEESE_PS5_SF_jNS0_19identity_decomposerENS1_16block_id_wrapperIjLb1EEEEE10hipError_tT1_PNSt15iterator_traitsISK_E10value_typeET2_T3_PNSL_ISQ_E10value_typeET4_T5_PSV_SW_PNS1_23onesweep_lookback_stateEbbT6_jjT7_P12ihipStream_tbENKUlT_T0_SK_SP_E_clISE_PjSF_SF_EEDaS13_S14_SK_SP_EUlS13_E_NS1_11comp_targetILNS1_3genE3ELNS1_11target_archE908ELNS1_3gpuE7ELNS1_3repE0EEENS1_47radix_sort_onesweep_sort_config_static_selectorELNS0_4arch9wavefront6targetE1EEEvSK_
; %bb.0:
	.section	.rodata,"a",@progbits
	.p2align	6, 0x0
	.amdhsa_kernel _ZN7rocprim17ROCPRIM_400000_NS6detail17trampoline_kernelINS0_14default_configENS1_35radix_sort_onesweep_config_selectorIjNS0_10empty_typeEEEZZNS1_29radix_sort_onesweep_iterationIS3_Lb0EN6thrust23THRUST_200600_302600_NS6detail15normal_iteratorINS9_10device_ptrIjEEEESE_PS5_SF_jNS0_19identity_decomposerENS1_16block_id_wrapperIjLb1EEEEE10hipError_tT1_PNSt15iterator_traitsISK_E10value_typeET2_T3_PNSL_ISQ_E10value_typeET4_T5_PSV_SW_PNS1_23onesweep_lookback_stateEbbT6_jjT7_P12ihipStream_tbENKUlT_T0_SK_SP_E_clISE_PjSF_SF_EEDaS13_S14_SK_SP_EUlS13_E_NS1_11comp_targetILNS1_3genE3ELNS1_11target_archE908ELNS1_3gpuE7ELNS1_3repE0EEENS1_47radix_sort_onesweep_sort_config_static_selectorELNS0_4arch9wavefront6targetE1EEEvSK_
		.amdhsa_group_segment_fixed_size 0
		.amdhsa_private_segment_fixed_size 0
		.amdhsa_kernarg_size 88
		.amdhsa_user_sgpr_count 2
		.amdhsa_user_sgpr_dispatch_ptr 0
		.amdhsa_user_sgpr_queue_ptr 0
		.amdhsa_user_sgpr_kernarg_segment_ptr 1
		.amdhsa_user_sgpr_dispatch_id 0
		.amdhsa_user_sgpr_kernarg_preload_length 0
		.amdhsa_user_sgpr_kernarg_preload_offset 0
		.amdhsa_user_sgpr_private_segment_size 0
		.amdhsa_uses_dynamic_stack 0
		.amdhsa_enable_private_segment 0
		.amdhsa_system_sgpr_workgroup_id_x 1
		.amdhsa_system_sgpr_workgroup_id_y 0
		.amdhsa_system_sgpr_workgroup_id_z 0
		.amdhsa_system_sgpr_workgroup_info 0
		.amdhsa_system_vgpr_workitem_id 0
		.amdhsa_next_free_vgpr 1
		.amdhsa_next_free_sgpr 0
		.amdhsa_accum_offset 4
		.amdhsa_reserve_vcc 0
		.amdhsa_float_round_mode_32 0
		.amdhsa_float_round_mode_16_64 0
		.amdhsa_float_denorm_mode_32 3
		.amdhsa_float_denorm_mode_16_64 3
		.amdhsa_dx10_clamp 1
		.amdhsa_ieee_mode 1
		.amdhsa_fp16_overflow 0
		.amdhsa_tg_split 0
		.amdhsa_exception_fp_ieee_invalid_op 0
		.amdhsa_exception_fp_denorm_src 0
		.amdhsa_exception_fp_ieee_div_zero 0
		.amdhsa_exception_fp_ieee_overflow 0
		.amdhsa_exception_fp_ieee_underflow 0
		.amdhsa_exception_fp_ieee_inexact 0
		.amdhsa_exception_int_div_zero 0
	.end_amdhsa_kernel
	.section	.text._ZN7rocprim17ROCPRIM_400000_NS6detail17trampoline_kernelINS0_14default_configENS1_35radix_sort_onesweep_config_selectorIjNS0_10empty_typeEEEZZNS1_29radix_sort_onesweep_iterationIS3_Lb0EN6thrust23THRUST_200600_302600_NS6detail15normal_iteratorINS9_10device_ptrIjEEEESE_PS5_SF_jNS0_19identity_decomposerENS1_16block_id_wrapperIjLb1EEEEE10hipError_tT1_PNSt15iterator_traitsISK_E10value_typeET2_T3_PNSL_ISQ_E10value_typeET4_T5_PSV_SW_PNS1_23onesweep_lookback_stateEbbT6_jjT7_P12ihipStream_tbENKUlT_T0_SK_SP_E_clISE_PjSF_SF_EEDaS13_S14_SK_SP_EUlS13_E_NS1_11comp_targetILNS1_3genE3ELNS1_11target_archE908ELNS1_3gpuE7ELNS1_3repE0EEENS1_47radix_sort_onesweep_sort_config_static_selectorELNS0_4arch9wavefront6targetE1EEEvSK_,"axG",@progbits,_ZN7rocprim17ROCPRIM_400000_NS6detail17trampoline_kernelINS0_14default_configENS1_35radix_sort_onesweep_config_selectorIjNS0_10empty_typeEEEZZNS1_29radix_sort_onesweep_iterationIS3_Lb0EN6thrust23THRUST_200600_302600_NS6detail15normal_iteratorINS9_10device_ptrIjEEEESE_PS5_SF_jNS0_19identity_decomposerENS1_16block_id_wrapperIjLb1EEEEE10hipError_tT1_PNSt15iterator_traitsISK_E10value_typeET2_T3_PNSL_ISQ_E10value_typeET4_T5_PSV_SW_PNS1_23onesweep_lookback_stateEbbT6_jjT7_P12ihipStream_tbENKUlT_T0_SK_SP_E_clISE_PjSF_SF_EEDaS13_S14_SK_SP_EUlS13_E_NS1_11comp_targetILNS1_3genE3ELNS1_11target_archE908ELNS1_3gpuE7ELNS1_3repE0EEENS1_47radix_sort_onesweep_sort_config_static_selectorELNS0_4arch9wavefront6targetE1EEEvSK_,comdat
.Lfunc_end1115:
	.size	_ZN7rocprim17ROCPRIM_400000_NS6detail17trampoline_kernelINS0_14default_configENS1_35radix_sort_onesweep_config_selectorIjNS0_10empty_typeEEEZZNS1_29radix_sort_onesweep_iterationIS3_Lb0EN6thrust23THRUST_200600_302600_NS6detail15normal_iteratorINS9_10device_ptrIjEEEESE_PS5_SF_jNS0_19identity_decomposerENS1_16block_id_wrapperIjLb1EEEEE10hipError_tT1_PNSt15iterator_traitsISK_E10value_typeET2_T3_PNSL_ISQ_E10value_typeET4_T5_PSV_SW_PNS1_23onesweep_lookback_stateEbbT6_jjT7_P12ihipStream_tbENKUlT_T0_SK_SP_E_clISE_PjSF_SF_EEDaS13_S14_SK_SP_EUlS13_E_NS1_11comp_targetILNS1_3genE3ELNS1_11target_archE908ELNS1_3gpuE7ELNS1_3repE0EEENS1_47radix_sort_onesweep_sort_config_static_selectorELNS0_4arch9wavefront6targetE1EEEvSK_, .Lfunc_end1115-_ZN7rocprim17ROCPRIM_400000_NS6detail17trampoline_kernelINS0_14default_configENS1_35radix_sort_onesweep_config_selectorIjNS0_10empty_typeEEEZZNS1_29radix_sort_onesweep_iterationIS3_Lb0EN6thrust23THRUST_200600_302600_NS6detail15normal_iteratorINS9_10device_ptrIjEEEESE_PS5_SF_jNS0_19identity_decomposerENS1_16block_id_wrapperIjLb1EEEEE10hipError_tT1_PNSt15iterator_traitsISK_E10value_typeET2_T3_PNSL_ISQ_E10value_typeET4_T5_PSV_SW_PNS1_23onesweep_lookback_stateEbbT6_jjT7_P12ihipStream_tbENKUlT_T0_SK_SP_E_clISE_PjSF_SF_EEDaS13_S14_SK_SP_EUlS13_E_NS1_11comp_targetILNS1_3genE3ELNS1_11target_archE908ELNS1_3gpuE7ELNS1_3repE0EEENS1_47radix_sort_onesweep_sort_config_static_selectorELNS0_4arch9wavefront6targetE1EEEvSK_
                                        ; -- End function
	.section	.AMDGPU.csdata,"",@progbits
; Kernel info:
; codeLenInByte = 0
; NumSgprs: 6
; NumVgprs: 0
; NumAgprs: 0
; TotalNumVgprs: 0
; ScratchSize: 0
; MemoryBound: 0
; FloatMode: 240
; IeeeMode: 1
; LDSByteSize: 0 bytes/workgroup (compile time only)
; SGPRBlocks: 0
; VGPRBlocks: 0
; NumSGPRsForWavesPerEU: 6
; NumVGPRsForWavesPerEU: 1
; AccumOffset: 4
; Occupancy: 8
; WaveLimiterHint : 0
; COMPUTE_PGM_RSRC2:SCRATCH_EN: 0
; COMPUTE_PGM_RSRC2:USER_SGPR: 2
; COMPUTE_PGM_RSRC2:TRAP_HANDLER: 0
; COMPUTE_PGM_RSRC2:TGID_X_EN: 1
; COMPUTE_PGM_RSRC2:TGID_Y_EN: 0
; COMPUTE_PGM_RSRC2:TGID_Z_EN: 0
; COMPUTE_PGM_RSRC2:TIDIG_COMP_CNT: 0
; COMPUTE_PGM_RSRC3_GFX90A:ACCUM_OFFSET: 0
; COMPUTE_PGM_RSRC3_GFX90A:TG_SPLIT: 0
	.section	.text._ZN7rocprim17ROCPRIM_400000_NS6detail17trampoline_kernelINS0_14default_configENS1_35radix_sort_onesweep_config_selectorIjNS0_10empty_typeEEEZZNS1_29radix_sort_onesweep_iterationIS3_Lb0EN6thrust23THRUST_200600_302600_NS6detail15normal_iteratorINS9_10device_ptrIjEEEESE_PS5_SF_jNS0_19identity_decomposerENS1_16block_id_wrapperIjLb1EEEEE10hipError_tT1_PNSt15iterator_traitsISK_E10value_typeET2_T3_PNSL_ISQ_E10value_typeET4_T5_PSV_SW_PNS1_23onesweep_lookback_stateEbbT6_jjT7_P12ihipStream_tbENKUlT_T0_SK_SP_E_clISE_PjSF_SF_EEDaS13_S14_SK_SP_EUlS13_E_NS1_11comp_targetILNS1_3genE10ELNS1_11target_archE1201ELNS1_3gpuE5ELNS1_3repE0EEENS1_47radix_sort_onesweep_sort_config_static_selectorELNS0_4arch9wavefront6targetE1EEEvSK_,"axG",@progbits,_ZN7rocprim17ROCPRIM_400000_NS6detail17trampoline_kernelINS0_14default_configENS1_35radix_sort_onesweep_config_selectorIjNS0_10empty_typeEEEZZNS1_29radix_sort_onesweep_iterationIS3_Lb0EN6thrust23THRUST_200600_302600_NS6detail15normal_iteratorINS9_10device_ptrIjEEEESE_PS5_SF_jNS0_19identity_decomposerENS1_16block_id_wrapperIjLb1EEEEE10hipError_tT1_PNSt15iterator_traitsISK_E10value_typeET2_T3_PNSL_ISQ_E10value_typeET4_T5_PSV_SW_PNS1_23onesweep_lookback_stateEbbT6_jjT7_P12ihipStream_tbENKUlT_T0_SK_SP_E_clISE_PjSF_SF_EEDaS13_S14_SK_SP_EUlS13_E_NS1_11comp_targetILNS1_3genE10ELNS1_11target_archE1201ELNS1_3gpuE5ELNS1_3repE0EEENS1_47radix_sort_onesweep_sort_config_static_selectorELNS0_4arch9wavefront6targetE1EEEvSK_,comdat
	.protected	_ZN7rocprim17ROCPRIM_400000_NS6detail17trampoline_kernelINS0_14default_configENS1_35radix_sort_onesweep_config_selectorIjNS0_10empty_typeEEEZZNS1_29radix_sort_onesweep_iterationIS3_Lb0EN6thrust23THRUST_200600_302600_NS6detail15normal_iteratorINS9_10device_ptrIjEEEESE_PS5_SF_jNS0_19identity_decomposerENS1_16block_id_wrapperIjLb1EEEEE10hipError_tT1_PNSt15iterator_traitsISK_E10value_typeET2_T3_PNSL_ISQ_E10value_typeET4_T5_PSV_SW_PNS1_23onesweep_lookback_stateEbbT6_jjT7_P12ihipStream_tbENKUlT_T0_SK_SP_E_clISE_PjSF_SF_EEDaS13_S14_SK_SP_EUlS13_E_NS1_11comp_targetILNS1_3genE10ELNS1_11target_archE1201ELNS1_3gpuE5ELNS1_3repE0EEENS1_47radix_sort_onesweep_sort_config_static_selectorELNS0_4arch9wavefront6targetE1EEEvSK_ ; -- Begin function _ZN7rocprim17ROCPRIM_400000_NS6detail17trampoline_kernelINS0_14default_configENS1_35radix_sort_onesweep_config_selectorIjNS0_10empty_typeEEEZZNS1_29radix_sort_onesweep_iterationIS3_Lb0EN6thrust23THRUST_200600_302600_NS6detail15normal_iteratorINS9_10device_ptrIjEEEESE_PS5_SF_jNS0_19identity_decomposerENS1_16block_id_wrapperIjLb1EEEEE10hipError_tT1_PNSt15iterator_traitsISK_E10value_typeET2_T3_PNSL_ISQ_E10value_typeET4_T5_PSV_SW_PNS1_23onesweep_lookback_stateEbbT6_jjT7_P12ihipStream_tbENKUlT_T0_SK_SP_E_clISE_PjSF_SF_EEDaS13_S14_SK_SP_EUlS13_E_NS1_11comp_targetILNS1_3genE10ELNS1_11target_archE1201ELNS1_3gpuE5ELNS1_3repE0EEENS1_47radix_sort_onesweep_sort_config_static_selectorELNS0_4arch9wavefront6targetE1EEEvSK_
	.globl	_ZN7rocprim17ROCPRIM_400000_NS6detail17trampoline_kernelINS0_14default_configENS1_35radix_sort_onesweep_config_selectorIjNS0_10empty_typeEEEZZNS1_29radix_sort_onesweep_iterationIS3_Lb0EN6thrust23THRUST_200600_302600_NS6detail15normal_iteratorINS9_10device_ptrIjEEEESE_PS5_SF_jNS0_19identity_decomposerENS1_16block_id_wrapperIjLb1EEEEE10hipError_tT1_PNSt15iterator_traitsISK_E10value_typeET2_T3_PNSL_ISQ_E10value_typeET4_T5_PSV_SW_PNS1_23onesweep_lookback_stateEbbT6_jjT7_P12ihipStream_tbENKUlT_T0_SK_SP_E_clISE_PjSF_SF_EEDaS13_S14_SK_SP_EUlS13_E_NS1_11comp_targetILNS1_3genE10ELNS1_11target_archE1201ELNS1_3gpuE5ELNS1_3repE0EEENS1_47radix_sort_onesweep_sort_config_static_selectorELNS0_4arch9wavefront6targetE1EEEvSK_
	.p2align	8
	.type	_ZN7rocprim17ROCPRIM_400000_NS6detail17trampoline_kernelINS0_14default_configENS1_35radix_sort_onesweep_config_selectorIjNS0_10empty_typeEEEZZNS1_29radix_sort_onesweep_iterationIS3_Lb0EN6thrust23THRUST_200600_302600_NS6detail15normal_iteratorINS9_10device_ptrIjEEEESE_PS5_SF_jNS0_19identity_decomposerENS1_16block_id_wrapperIjLb1EEEEE10hipError_tT1_PNSt15iterator_traitsISK_E10value_typeET2_T3_PNSL_ISQ_E10value_typeET4_T5_PSV_SW_PNS1_23onesweep_lookback_stateEbbT6_jjT7_P12ihipStream_tbENKUlT_T0_SK_SP_E_clISE_PjSF_SF_EEDaS13_S14_SK_SP_EUlS13_E_NS1_11comp_targetILNS1_3genE10ELNS1_11target_archE1201ELNS1_3gpuE5ELNS1_3repE0EEENS1_47radix_sort_onesweep_sort_config_static_selectorELNS0_4arch9wavefront6targetE1EEEvSK_,@function
_ZN7rocprim17ROCPRIM_400000_NS6detail17trampoline_kernelINS0_14default_configENS1_35radix_sort_onesweep_config_selectorIjNS0_10empty_typeEEEZZNS1_29radix_sort_onesweep_iterationIS3_Lb0EN6thrust23THRUST_200600_302600_NS6detail15normal_iteratorINS9_10device_ptrIjEEEESE_PS5_SF_jNS0_19identity_decomposerENS1_16block_id_wrapperIjLb1EEEEE10hipError_tT1_PNSt15iterator_traitsISK_E10value_typeET2_T3_PNSL_ISQ_E10value_typeET4_T5_PSV_SW_PNS1_23onesweep_lookback_stateEbbT6_jjT7_P12ihipStream_tbENKUlT_T0_SK_SP_E_clISE_PjSF_SF_EEDaS13_S14_SK_SP_EUlS13_E_NS1_11comp_targetILNS1_3genE10ELNS1_11target_archE1201ELNS1_3gpuE5ELNS1_3repE0EEENS1_47radix_sort_onesweep_sort_config_static_selectorELNS0_4arch9wavefront6targetE1EEEvSK_: ; @_ZN7rocprim17ROCPRIM_400000_NS6detail17trampoline_kernelINS0_14default_configENS1_35radix_sort_onesweep_config_selectorIjNS0_10empty_typeEEEZZNS1_29radix_sort_onesweep_iterationIS3_Lb0EN6thrust23THRUST_200600_302600_NS6detail15normal_iteratorINS9_10device_ptrIjEEEESE_PS5_SF_jNS0_19identity_decomposerENS1_16block_id_wrapperIjLb1EEEEE10hipError_tT1_PNSt15iterator_traitsISK_E10value_typeET2_T3_PNSL_ISQ_E10value_typeET4_T5_PSV_SW_PNS1_23onesweep_lookback_stateEbbT6_jjT7_P12ihipStream_tbENKUlT_T0_SK_SP_E_clISE_PjSF_SF_EEDaS13_S14_SK_SP_EUlS13_E_NS1_11comp_targetILNS1_3genE10ELNS1_11target_archE1201ELNS1_3gpuE5ELNS1_3repE0EEENS1_47radix_sort_onesweep_sort_config_static_selectorELNS0_4arch9wavefront6targetE1EEEvSK_
; %bb.0:
	.section	.rodata,"a",@progbits
	.p2align	6, 0x0
	.amdhsa_kernel _ZN7rocprim17ROCPRIM_400000_NS6detail17trampoline_kernelINS0_14default_configENS1_35radix_sort_onesweep_config_selectorIjNS0_10empty_typeEEEZZNS1_29radix_sort_onesweep_iterationIS3_Lb0EN6thrust23THRUST_200600_302600_NS6detail15normal_iteratorINS9_10device_ptrIjEEEESE_PS5_SF_jNS0_19identity_decomposerENS1_16block_id_wrapperIjLb1EEEEE10hipError_tT1_PNSt15iterator_traitsISK_E10value_typeET2_T3_PNSL_ISQ_E10value_typeET4_T5_PSV_SW_PNS1_23onesweep_lookback_stateEbbT6_jjT7_P12ihipStream_tbENKUlT_T0_SK_SP_E_clISE_PjSF_SF_EEDaS13_S14_SK_SP_EUlS13_E_NS1_11comp_targetILNS1_3genE10ELNS1_11target_archE1201ELNS1_3gpuE5ELNS1_3repE0EEENS1_47radix_sort_onesweep_sort_config_static_selectorELNS0_4arch9wavefront6targetE1EEEvSK_
		.amdhsa_group_segment_fixed_size 0
		.amdhsa_private_segment_fixed_size 0
		.amdhsa_kernarg_size 88
		.amdhsa_user_sgpr_count 2
		.amdhsa_user_sgpr_dispatch_ptr 0
		.amdhsa_user_sgpr_queue_ptr 0
		.amdhsa_user_sgpr_kernarg_segment_ptr 1
		.amdhsa_user_sgpr_dispatch_id 0
		.amdhsa_user_sgpr_kernarg_preload_length 0
		.amdhsa_user_sgpr_kernarg_preload_offset 0
		.amdhsa_user_sgpr_private_segment_size 0
		.amdhsa_uses_dynamic_stack 0
		.amdhsa_enable_private_segment 0
		.amdhsa_system_sgpr_workgroup_id_x 1
		.amdhsa_system_sgpr_workgroup_id_y 0
		.amdhsa_system_sgpr_workgroup_id_z 0
		.amdhsa_system_sgpr_workgroup_info 0
		.amdhsa_system_vgpr_workitem_id 0
		.amdhsa_next_free_vgpr 1
		.amdhsa_next_free_sgpr 0
		.amdhsa_accum_offset 4
		.amdhsa_reserve_vcc 0
		.amdhsa_float_round_mode_32 0
		.amdhsa_float_round_mode_16_64 0
		.amdhsa_float_denorm_mode_32 3
		.amdhsa_float_denorm_mode_16_64 3
		.amdhsa_dx10_clamp 1
		.amdhsa_ieee_mode 1
		.amdhsa_fp16_overflow 0
		.amdhsa_tg_split 0
		.amdhsa_exception_fp_ieee_invalid_op 0
		.amdhsa_exception_fp_denorm_src 0
		.amdhsa_exception_fp_ieee_div_zero 0
		.amdhsa_exception_fp_ieee_overflow 0
		.amdhsa_exception_fp_ieee_underflow 0
		.amdhsa_exception_fp_ieee_inexact 0
		.amdhsa_exception_int_div_zero 0
	.end_amdhsa_kernel
	.section	.text._ZN7rocprim17ROCPRIM_400000_NS6detail17trampoline_kernelINS0_14default_configENS1_35radix_sort_onesweep_config_selectorIjNS0_10empty_typeEEEZZNS1_29radix_sort_onesweep_iterationIS3_Lb0EN6thrust23THRUST_200600_302600_NS6detail15normal_iteratorINS9_10device_ptrIjEEEESE_PS5_SF_jNS0_19identity_decomposerENS1_16block_id_wrapperIjLb1EEEEE10hipError_tT1_PNSt15iterator_traitsISK_E10value_typeET2_T3_PNSL_ISQ_E10value_typeET4_T5_PSV_SW_PNS1_23onesweep_lookback_stateEbbT6_jjT7_P12ihipStream_tbENKUlT_T0_SK_SP_E_clISE_PjSF_SF_EEDaS13_S14_SK_SP_EUlS13_E_NS1_11comp_targetILNS1_3genE10ELNS1_11target_archE1201ELNS1_3gpuE5ELNS1_3repE0EEENS1_47radix_sort_onesweep_sort_config_static_selectorELNS0_4arch9wavefront6targetE1EEEvSK_,"axG",@progbits,_ZN7rocprim17ROCPRIM_400000_NS6detail17trampoline_kernelINS0_14default_configENS1_35radix_sort_onesweep_config_selectorIjNS0_10empty_typeEEEZZNS1_29radix_sort_onesweep_iterationIS3_Lb0EN6thrust23THRUST_200600_302600_NS6detail15normal_iteratorINS9_10device_ptrIjEEEESE_PS5_SF_jNS0_19identity_decomposerENS1_16block_id_wrapperIjLb1EEEEE10hipError_tT1_PNSt15iterator_traitsISK_E10value_typeET2_T3_PNSL_ISQ_E10value_typeET4_T5_PSV_SW_PNS1_23onesweep_lookback_stateEbbT6_jjT7_P12ihipStream_tbENKUlT_T0_SK_SP_E_clISE_PjSF_SF_EEDaS13_S14_SK_SP_EUlS13_E_NS1_11comp_targetILNS1_3genE10ELNS1_11target_archE1201ELNS1_3gpuE5ELNS1_3repE0EEENS1_47radix_sort_onesweep_sort_config_static_selectorELNS0_4arch9wavefront6targetE1EEEvSK_,comdat
.Lfunc_end1116:
	.size	_ZN7rocprim17ROCPRIM_400000_NS6detail17trampoline_kernelINS0_14default_configENS1_35radix_sort_onesweep_config_selectorIjNS0_10empty_typeEEEZZNS1_29radix_sort_onesweep_iterationIS3_Lb0EN6thrust23THRUST_200600_302600_NS6detail15normal_iteratorINS9_10device_ptrIjEEEESE_PS5_SF_jNS0_19identity_decomposerENS1_16block_id_wrapperIjLb1EEEEE10hipError_tT1_PNSt15iterator_traitsISK_E10value_typeET2_T3_PNSL_ISQ_E10value_typeET4_T5_PSV_SW_PNS1_23onesweep_lookback_stateEbbT6_jjT7_P12ihipStream_tbENKUlT_T0_SK_SP_E_clISE_PjSF_SF_EEDaS13_S14_SK_SP_EUlS13_E_NS1_11comp_targetILNS1_3genE10ELNS1_11target_archE1201ELNS1_3gpuE5ELNS1_3repE0EEENS1_47radix_sort_onesweep_sort_config_static_selectorELNS0_4arch9wavefront6targetE1EEEvSK_, .Lfunc_end1116-_ZN7rocprim17ROCPRIM_400000_NS6detail17trampoline_kernelINS0_14default_configENS1_35radix_sort_onesweep_config_selectorIjNS0_10empty_typeEEEZZNS1_29radix_sort_onesweep_iterationIS3_Lb0EN6thrust23THRUST_200600_302600_NS6detail15normal_iteratorINS9_10device_ptrIjEEEESE_PS5_SF_jNS0_19identity_decomposerENS1_16block_id_wrapperIjLb1EEEEE10hipError_tT1_PNSt15iterator_traitsISK_E10value_typeET2_T3_PNSL_ISQ_E10value_typeET4_T5_PSV_SW_PNS1_23onesweep_lookback_stateEbbT6_jjT7_P12ihipStream_tbENKUlT_T0_SK_SP_E_clISE_PjSF_SF_EEDaS13_S14_SK_SP_EUlS13_E_NS1_11comp_targetILNS1_3genE10ELNS1_11target_archE1201ELNS1_3gpuE5ELNS1_3repE0EEENS1_47radix_sort_onesweep_sort_config_static_selectorELNS0_4arch9wavefront6targetE1EEEvSK_
                                        ; -- End function
	.section	.AMDGPU.csdata,"",@progbits
; Kernel info:
; codeLenInByte = 0
; NumSgprs: 6
; NumVgprs: 0
; NumAgprs: 0
; TotalNumVgprs: 0
; ScratchSize: 0
; MemoryBound: 0
; FloatMode: 240
; IeeeMode: 1
; LDSByteSize: 0 bytes/workgroup (compile time only)
; SGPRBlocks: 0
; VGPRBlocks: 0
; NumSGPRsForWavesPerEU: 6
; NumVGPRsForWavesPerEU: 1
; AccumOffset: 4
; Occupancy: 8
; WaveLimiterHint : 0
; COMPUTE_PGM_RSRC2:SCRATCH_EN: 0
; COMPUTE_PGM_RSRC2:USER_SGPR: 2
; COMPUTE_PGM_RSRC2:TRAP_HANDLER: 0
; COMPUTE_PGM_RSRC2:TGID_X_EN: 1
; COMPUTE_PGM_RSRC2:TGID_Y_EN: 0
; COMPUTE_PGM_RSRC2:TGID_Z_EN: 0
; COMPUTE_PGM_RSRC2:TIDIG_COMP_CNT: 0
; COMPUTE_PGM_RSRC3_GFX90A:ACCUM_OFFSET: 0
; COMPUTE_PGM_RSRC3_GFX90A:TG_SPLIT: 0
	.section	.text._ZN7rocprim17ROCPRIM_400000_NS6detail17trampoline_kernelINS0_14default_configENS1_35radix_sort_onesweep_config_selectorIjNS0_10empty_typeEEEZZNS1_29radix_sort_onesweep_iterationIS3_Lb0EN6thrust23THRUST_200600_302600_NS6detail15normal_iteratorINS9_10device_ptrIjEEEESE_PS5_SF_jNS0_19identity_decomposerENS1_16block_id_wrapperIjLb1EEEEE10hipError_tT1_PNSt15iterator_traitsISK_E10value_typeET2_T3_PNSL_ISQ_E10value_typeET4_T5_PSV_SW_PNS1_23onesweep_lookback_stateEbbT6_jjT7_P12ihipStream_tbENKUlT_T0_SK_SP_E_clISE_PjSF_SF_EEDaS13_S14_SK_SP_EUlS13_E_NS1_11comp_targetILNS1_3genE9ELNS1_11target_archE1100ELNS1_3gpuE3ELNS1_3repE0EEENS1_47radix_sort_onesweep_sort_config_static_selectorELNS0_4arch9wavefront6targetE1EEEvSK_,"axG",@progbits,_ZN7rocprim17ROCPRIM_400000_NS6detail17trampoline_kernelINS0_14default_configENS1_35radix_sort_onesweep_config_selectorIjNS0_10empty_typeEEEZZNS1_29radix_sort_onesweep_iterationIS3_Lb0EN6thrust23THRUST_200600_302600_NS6detail15normal_iteratorINS9_10device_ptrIjEEEESE_PS5_SF_jNS0_19identity_decomposerENS1_16block_id_wrapperIjLb1EEEEE10hipError_tT1_PNSt15iterator_traitsISK_E10value_typeET2_T3_PNSL_ISQ_E10value_typeET4_T5_PSV_SW_PNS1_23onesweep_lookback_stateEbbT6_jjT7_P12ihipStream_tbENKUlT_T0_SK_SP_E_clISE_PjSF_SF_EEDaS13_S14_SK_SP_EUlS13_E_NS1_11comp_targetILNS1_3genE9ELNS1_11target_archE1100ELNS1_3gpuE3ELNS1_3repE0EEENS1_47radix_sort_onesweep_sort_config_static_selectorELNS0_4arch9wavefront6targetE1EEEvSK_,comdat
	.protected	_ZN7rocprim17ROCPRIM_400000_NS6detail17trampoline_kernelINS0_14default_configENS1_35radix_sort_onesweep_config_selectorIjNS0_10empty_typeEEEZZNS1_29radix_sort_onesweep_iterationIS3_Lb0EN6thrust23THRUST_200600_302600_NS6detail15normal_iteratorINS9_10device_ptrIjEEEESE_PS5_SF_jNS0_19identity_decomposerENS1_16block_id_wrapperIjLb1EEEEE10hipError_tT1_PNSt15iterator_traitsISK_E10value_typeET2_T3_PNSL_ISQ_E10value_typeET4_T5_PSV_SW_PNS1_23onesweep_lookback_stateEbbT6_jjT7_P12ihipStream_tbENKUlT_T0_SK_SP_E_clISE_PjSF_SF_EEDaS13_S14_SK_SP_EUlS13_E_NS1_11comp_targetILNS1_3genE9ELNS1_11target_archE1100ELNS1_3gpuE3ELNS1_3repE0EEENS1_47radix_sort_onesweep_sort_config_static_selectorELNS0_4arch9wavefront6targetE1EEEvSK_ ; -- Begin function _ZN7rocprim17ROCPRIM_400000_NS6detail17trampoline_kernelINS0_14default_configENS1_35radix_sort_onesweep_config_selectorIjNS0_10empty_typeEEEZZNS1_29radix_sort_onesweep_iterationIS3_Lb0EN6thrust23THRUST_200600_302600_NS6detail15normal_iteratorINS9_10device_ptrIjEEEESE_PS5_SF_jNS0_19identity_decomposerENS1_16block_id_wrapperIjLb1EEEEE10hipError_tT1_PNSt15iterator_traitsISK_E10value_typeET2_T3_PNSL_ISQ_E10value_typeET4_T5_PSV_SW_PNS1_23onesweep_lookback_stateEbbT6_jjT7_P12ihipStream_tbENKUlT_T0_SK_SP_E_clISE_PjSF_SF_EEDaS13_S14_SK_SP_EUlS13_E_NS1_11comp_targetILNS1_3genE9ELNS1_11target_archE1100ELNS1_3gpuE3ELNS1_3repE0EEENS1_47radix_sort_onesweep_sort_config_static_selectorELNS0_4arch9wavefront6targetE1EEEvSK_
	.globl	_ZN7rocprim17ROCPRIM_400000_NS6detail17trampoline_kernelINS0_14default_configENS1_35radix_sort_onesweep_config_selectorIjNS0_10empty_typeEEEZZNS1_29radix_sort_onesweep_iterationIS3_Lb0EN6thrust23THRUST_200600_302600_NS6detail15normal_iteratorINS9_10device_ptrIjEEEESE_PS5_SF_jNS0_19identity_decomposerENS1_16block_id_wrapperIjLb1EEEEE10hipError_tT1_PNSt15iterator_traitsISK_E10value_typeET2_T3_PNSL_ISQ_E10value_typeET4_T5_PSV_SW_PNS1_23onesweep_lookback_stateEbbT6_jjT7_P12ihipStream_tbENKUlT_T0_SK_SP_E_clISE_PjSF_SF_EEDaS13_S14_SK_SP_EUlS13_E_NS1_11comp_targetILNS1_3genE9ELNS1_11target_archE1100ELNS1_3gpuE3ELNS1_3repE0EEENS1_47radix_sort_onesweep_sort_config_static_selectorELNS0_4arch9wavefront6targetE1EEEvSK_
	.p2align	8
	.type	_ZN7rocprim17ROCPRIM_400000_NS6detail17trampoline_kernelINS0_14default_configENS1_35radix_sort_onesweep_config_selectorIjNS0_10empty_typeEEEZZNS1_29radix_sort_onesweep_iterationIS3_Lb0EN6thrust23THRUST_200600_302600_NS6detail15normal_iteratorINS9_10device_ptrIjEEEESE_PS5_SF_jNS0_19identity_decomposerENS1_16block_id_wrapperIjLb1EEEEE10hipError_tT1_PNSt15iterator_traitsISK_E10value_typeET2_T3_PNSL_ISQ_E10value_typeET4_T5_PSV_SW_PNS1_23onesweep_lookback_stateEbbT6_jjT7_P12ihipStream_tbENKUlT_T0_SK_SP_E_clISE_PjSF_SF_EEDaS13_S14_SK_SP_EUlS13_E_NS1_11comp_targetILNS1_3genE9ELNS1_11target_archE1100ELNS1_3gpuE3ELNS1_3repE0EEENS1_47radix_sort_onesweep_sort_config_static_selectorELNS0_4arch9wavefront6targetE1EEEvSK_,@function
_ZN7rocprim17ROCPRIM_400000_NS6detail17trampoline_kernelINS0_14default_configENS1_35radix_sort_onesweep_config_selectorIjNS0_10empty_typeEEEZZNS1_29radix_sort_onesweep_iterationIS3_Lb0EN6thrust23THRUST_200600_302600_NS6detail15normal_iteratorINS9_10device_ptrIjEEEESE_PS5_SF_jNS0_19identity_decomposerENS1_16block_id_wrapperIjLb1EEEEE10hipError_tT1_PNSt15iterator_traitsISK_E10value_typeET2_T3_PNSL_ISQ_E10value_typeET4_T5_PSV_SW_PNS1_23onesweep_lookback_stateEbbT6_jjT7_P12ihipStream_tbENKUlT_T0_SK_SP_E_clISE_PjSF_SF_EEDaS13_S14_SK_SP_EUlS13_E_NS1_11comp_targetILNS1_3genE9ELNS1_11target_archE1100ELNS1_3gpuE3ELNS1_3repE0EEENS1_47radix_sort_onesweep_sort_config_static_selectorELNS0_4arch9wavefront6targetE1EEEvSK_: ; @_ZN7rocprim17ROCPRIM_400000_NS6detail17trampoline_kernelINS0_14default_configENS1_35radix_sort_onesweep_config_selectorIjNS0_10empty_typeEEEZZNS1_29radix_sort_onesweep_iterationIS3_Lb0EN6thrust23THRUST_200600_302600_NS6detail15normal_iteratorINS9_10device_ptrIjEEEESE_PS5_SF_jNS0_19identity_decomposerENS1_16block_id_wrapperIjLb1EEEEE10hipError_tT1_PNSt15iterator_traitsISK_E10value_typeET2_T3_PNSL_ISQ_E10value_typeET4_T5_PSV_SW_PNS1_23onesweep_lookback_stateEbbT6_jjT7_P12ihipStream_tbENKUlT_T0_SK_SP_E_clISE_PjSF_SF_EEDaS13_S14_SK_SP_EUlS13_E_NS1_11comp_targetILNS1_3genE9ELNS1_11target_archE1100ELNS1_3gpuE3ELNS1_3repE0EEENS1_47radix_sort_onesweep_sort_config_static_selectorELNS0_4arch9wavefront6targetE1EEEvSK_
; %bb.0:
	.section	.rodata,"a",@progbits
	.p2align	6, 0x0
	.amdhsa_kernel _ZN7rocprim17ROCPRIM_400000_NS6detail17trampoline_kernelINS0_14default_configENS1_35radix_sort_onesweep_config_selectorIjNS0_10empty_typeEEEZZNS1_29radix_sort_onesweep_iterationIS3_Lb0EN6thrust23THRUST_200600_302600_NS6detail15normal_iteratorINS9_10device_ptrIjEEEESE_PS5_SF_jNS0_19identity_decomposerENS1_16block_id_wrapperIjLb1EEEEE10hipError_tT1_PNSt15iterator_traitsISK_E10value_typeET2_T3_PNSL_ISQ_E10value_typeET4_T5_PSV_SW_PNS1_23onesweep_lookback_stateEbbT6_jjT7_P12ihipStream_tbENKUlT_T0_SK_SP_E_clISE_PjSF_SF_EEDaS13_S14_SK_SP_EUlS13_E_NS1_11comp_targetILNS1_3genE9ELNS1_11target_archE1100ELNS1_3gpuE3ELNS1_3repE0EEENS1_47radix_sort_onesweep_sort_config_static_selectorELNS0_4arch9wavefront6targetE1EEEvSK_
		.amdhsa_group_segment_fixed_size 0
		.amdhsa_private_segment_fixed_size 0
		.amdhsa_kernarg_size 88
		.amdhsa_user_sgpr_count 2
		.amdhsa_user_sgpr_dispatch_ptr 0
		.amdhsa_user_sgpr_queue_ptr 0
		.amdhsa_user_sgpr_kernarg_segment_ptr 1
		.amdhsa_user_sgpr_dispatch_id 0
		.amdhsa_user_sgpr_kernarg_preload_length 0
		.amdhsa_user_sgpr_kernarg_preload_offset 0
		.amdhsa_user_sgpr_private_segment_size 0
		.amdhsa_uses_dynamic_stack 0
		.amdhsa_enable_private_segment 0
		.amdhsa_system_sgpr_workgroup_id_x 1
		.amdhsa_system_sgpr_workgroup_id_y 0
		.amdhsa_system_sgpr_workgroup_id_z 0
		.amdhsa_system_sgpr_workgroup_info 0
		.amdhsa_system_vgpr_workitem_id 0
		.amdhsa_next_free_vgpr 1
		.amdhsa_next_free_sgpr 0
		.amdhsa_accum_offset 4
		.amdhsa_reserve_vcc 0
		.amdhsa_float_round_mode_32 0
		.amdhsa_float_round_mode_16_64 0
		.amdhsa_float_denorm_mode_32 3
		.amdhsa_float_denorm_mode_16_64 3
		.amdhsa_dx10_clamp 1
		.amdhsa_ieee_mode 1
		.amdhsa_fp16_overflow 0
		.amdhsa_tg_split 0
		.amdhsa_exception_fp_ieee_invalid_op 0
		.amdhsa_exception_fp_denorm_src 0
		.amdhsa_exception_fp_ieee_div_zero 0
		.amdhsa_exception_fp_ieee_overflow 0
		.amdhsa_exception_fp_ieee_underflow 0
		.amdhsa_exception_fp_ieee_inexact 0
		.amdhsa_exception_int_div_zero 0
	.end_amdhsa_kernel
	.section	.text._ZN7rocprim17ROCPRIM_400000_NS6detail17trampoline_kernelINS0_14default_configENS1_35radix_sort_onesweep_config_selectorIjNS0_10empty_typeEEEZZNS1_29radix_sort_onesweep_iterationIS3_Lb0EN6thrust23THRUST_200600_302600_NS6detail15normal_iteratorINS9_10device_ptrIjEEEESE_PS5_SF_jNS0_19identity_decomposerENS1_16block_id_wrapperIjLb1EEEEE10hipError_tT1_PNSt15iterator_traitsISK_E10value_typeET2_T3_PNSL_ISQ_E10value_typeET4_T5_PSV_SW_PNS1_23onesweep_lookback_stateEbbT6_jjT7_P12ihipStream_tbENKUlT_T0_SK_SP_E_clISE_PjSF_SF_EEDaS13_S14_SK_SP_EUlS13_E_NS1_11comp_targetILNS1_3genE9ELNS1_11target_archE1100ELNS1_3gpuE3ELNS1_3repE0EEENS1_47radix_sort_onesweep_sort_config_static_selectorELNS0_4arch9wavefront6targetE1EEEvSK_,"axG",@progbits,_ZN7rocprim17ROCPRIM_400000_NS6detail17trampoline_kernelINS0_14default_configENS1_35radix_sort_onesweep_config_selectorIjNS0_10empty_typeEEEZZNS1_29radix_sort_onesweep_iterationIS3_Lb0EN6thrust23THRUST_200600_302600_NS6detail15normal_iteratorINS9_10device_ptrIjEEEESE_PS5_SF_jNS0_19identity_decomposerENS1_16block_id_wrapperIjLb1EEEEE10hipError_tT1_PNSt15iterator_traitsISK_E10value_typeET2_T3_PNSL_ISQ_E10value_typeET4_T5_PSV_SW_PNS1_23onesweep_lookback_stateEbbT6_jjT7_P12ihipStream_tbENKUlT_T0_SK_SP_E_clISE_PjSF_SF_EEDaS13_S14_SK_SP_EUlS13_E_NS1_11comp_targetILNS1_3genE9ELNS1_11target_archE1100ELNS1_3gpuE3ELNS1_3repE0EEENS1_47radix_sort_onesweep_sort_config_static_selectorELNS0_4arch9wavefront6targetE1EEEvSK_,comdat
.Lfunc_end1117:
	.size	_ZN7rocprim17ROCPRIM_400000_NS6detail17trampoline_kernelINS0_14default_configENS1_35radix_sort_onesweep_config_selectorIjNS0_10empty_typeEEEZZNS1_29radix_sort_onesweep_iterationIS3_Lb0EN6thrust23THRUST_200600_302600_NS6detail15normal_iteratorINS9_10device_ptrIjEEEESE_PS5_SF_jNS0_19identity_decomposerENS1_16block_id_wrapperIjLb1EEEEE10hipError_tT1_PNSt15iterator_traitsISK_E10value_typeET2_T3_PNSL_ISQ_E10value_typeET4_T5_PSV_SW_PNS1_23onesweep_lookback_stateEbbT6_jjT7_P12ihipStream_tbENKUlT_T0_SK_SP_E_clISE_PjSF_SF_EEDaS13_S14_SK_SP_EUlS13_E_NS1_11comp_targetILNS1_3genE9ELNS1_11target_archE1100ELNS1_3gpuE3ELNS1_3repE0EEENS1_47radix_sort_onesweep_sort_config_static_selectorELNS0_4arch9wavefront6targetE1EEEvSK_, .Lfunc_end1117-_ZN7rocprim17ROCPRIM_400000_NS6detail17trampoline_kernelINS0_14default_configENS1_35radix_sort_onesweep_config_selectorIjNS0_10empty_typeEEEZZNS1_29radix_sort_onesweep_iterationIS3_Lb0EN6thrust23THRUST_200600_302600_NS6detail15normal_iteratorINS9_10device_ptrIjEEEESE_PS5_SF_jNS0_19identity_decomposerENS1_16block_id_wrapperIjLb1EEEEE10hipError_tT1_PNSt15iterator_traitsISK_E10value_typeET2_T3_PNSL_ISQ_E10value_typeET4_T5_PSV_SW_PNS1_23onesweep_lookback_stateEbbT6_jjT7_P12ihipStream_tbENKUlT_T0_SK_SP_E_clISE_PjSF_SF_EEDaS13_S14_SK_SP_EUlS13_E_NS1_11comp_targetILNS1_3genE9ELNS1_11target_archE1100ELNS1_3gpuE3ELNS1_3repE0EEENS1_47radix_sort_onesweep_sort_config_static_selectorELNS0_4arch9wavefront6targetE1EEEvSK_
                                        ; -- End function
	.section	.AMDGPU.csdata,"",@progbits
; Kernel info:
; codeLenInByte = 0
; NumSgprs: 6
; NumVgprs: 0
; NumAgprs: 0
; TotalNumVgprs: 0
; ScratchSize: 0
; MemoryBound: 0
; FloatMode: 240
; IeeeMode: 1
; LDSByteSize: 0 bytes/workgroup (compile time only)
; SGPRBlocks: 0
; VGPRBlocks: 0
; NumSGPRsForWavesPerEU: 6
; NumVGPRsForWavesPerEU: 1
; AccumOffset: 4
; Occupancy: 8
; WaveLimiterHint : 0
; COMPUTE_PGM_RSRC2:SCRATCH_EN: 0
; COMPUTE_PGM_RSRC2:USER_SGPR: 2
; COMPUTE_PGM_RSRC2:TRAP_HANDLER: 0
; COMPUTE_PGM_RSRC2:TGID_X_EN: 1
; COMPUTE_PGM_RSRC2:TGID_Y_EN: 0
; COMPUTE_PGM_RSRC2:TGID_Z_EN: 0
; COMPUTE_PGM_RSRC2:TIDIG_COMP_CNT: 0
; COMPUTE_PGM_RSRC3_GFX90A:ACCUM_OFFSET: 0
; COMPUTE_PGM_RSRC3_GFX90A:TG_SPLIT: 0
	.section	.text._ZN7rocprim17ROCPRIM_400000_NS6detail17trampoline_kernelINS0_14default_configENS1_35radix_sort_onesweep_config_selectorIjNS0_10empty_typeEEEZZNS1_29radix_sort_onesweep_iterationIS3_Lb0EN6thrust23THRUST_200600_302600_NS6detail15normal_iteratorINS9_10device_ptrIjEEEESE_PS5_SF_jNS0_19identity_decomposerENS1_16block_id_wrapperIjLb1EEEEE10hipError_tT1_PNSt15iterator_traitsISK_E10value_typeET2_T3_PNSL_ISQ_E10value_typeET4_T5_PSV_SW_PNS1_23onesweep_lookback_stateEbbT6_jjT7_P12ihipStream_tbENKUlT_T0_SK_SP_E_clISE_PjSF_SF_EEDaS13_S14_SK_SP_EUlS13_E_NS1_11comp_targetILNS1_3genE8ELNS1_11target_archE1030ELNS1_3gpuE2ELNS1_3repE0EEENS1_47radix_sort_onesweep_sort_config_static_selectorELNS0_4arch9wavefront6targetE1EEEvSK_,"axG",@progbits,_ZN7rocprim17ROCPRIM_400000_NS6detail17trampoline_kernelINS0_14default_configENS1_35radix_sort_onesweep_config_selectorIjNS0_10empty_typeEEEZZNS1_29radix_sort_onesweep_iterationIS3_Lb0EN6thrust23THRUST_200600_302600_NS6detail15normal_iteratorINS9_10device_ptrIjEEEESE_PS5_SF_jNS0_19identity_decomposerENS1_16block_id_wrapperIjLb1EEEEE10hipError_tT1_PNSt15iterator_traitsISK_E10value_typeET2_T3_PNSL_ISQ_E10value_typeET4_T5_PSV_SW_PNS1_23onesweep_lookback_stateEbbT6_jjT7_P12ihipStream_tbENKUlT_T0_SK_SP_E_clISE_PjSF_SF_EEDaS13_S14_SK_SP_EUlS13_E_NS1_11comp_targetILNS1_3genE8ELNS1_11target_archE1030ELNS1_3gpuE2ELNS1_3repE0EEENS1_47radix_sort_onesweep_sort_config_static_selectorELNS0_4arch9wavefront6targetE1EEEvSK_,comdat
	.protected	_ZN7rocprim17ROCPRIM_400000_NS6detail17trampoline_kernelINS0_14default_configENS1_35radix_sort_onesweep_config_selectorIjNS0_10empty_typeEEEZZNS1_29radix_sort_onesweep_iterationIS3_Lb0EN6thrust23THRUST_200600_302600_NS6detail15normal_iteratorINS9_10device_ptrIjEEEESE_PS5_SF_jNS0_19identity_decomposerENS1_16block_id_wrapperIjLb1EEEEE10hipError_tT1_PNSt15iterator_traitsISK_E10value_typeET2_T3_PNSL_ISQ_E10value_typeET4_T5_PSV_SW_PNS1_23onesweep_lookback_stateEbbT6_jjT7_P12ihipStream_tbENKUlT_T0_SK_SP_E_clISE_PjSF_SF_EEDaS13_S14_SK_SP_EUlS13_E_NS1_11comp_targetILNS1_3genE8ELNS1_11target_archE1030ELNS1_3gpuE2ELNS1_3repE0EEENS1_47radix_sort_onesweep_sort_config_static_selectorELNS0_4arch9wavefront6targetE1EEEvSK_ ; -- Begin function _ZN7rocprim17ROCPRIM_400000_NS6detail17trampoline_kernelINS0_14default_configENS1_35radix_sort_onesweep_config_selectorIjNS0_10empty_typeEEEZZNS1_29radix_sort_onesweep_iterationIS3_Lb0EN6thrust23THRUST_200600_302600_NS6detail15normal_iteratorINS9_10device_ptrIjEEEESE_PS5_SF_jNS0_19identity_decomposerENS1_16block_id_wrapperIjLb1EEEEE10hipError_tT1_PNSt15iterator_traitsISK_E10value_typeET2_T3_PNSL_ISQ_E10value_typeET4_T5_PSV_SW_PNS1_23onesweep_lookback_stateEbbT6_jjT7_P12ihipStream_tbENKUlT_T0_SK_SP_E_clISE_PjSF_SF_EEDaS13_S14_SK_SP_EUlS13_E_NS1_11comp_targetILNS1_3genE8ELNS1_11target_archE1030ELNS1_3gpuE2ELNS1_3repE0EEENS1_47radix_sort_onesweep_sort_config_static_selectorELNS0_4arch9wavefront6targetE1EEEvSK_
	.globl	_ZN7rocprim17ROCPRIM_400000_NS6detail17trampoline_kernelINS0_14default_configENS1_35radix_sort_onesweep_config_selectorIjNS0_10empty_typeEEEZZNS1_29radix_sort_onesweep_iterationIS3_Lb0EN6thrust23THRUST_200600_302600_NS6detail15normal_iteratorINS9_10device_ptrIjEEEESE_PS5_SF_jNS0_19identity_decomposerENS1_16block_id_wrapperIjLb1EEEEE10hipError_tT1_PNSt15iterator_traitsISK_E10value_typeET2_T3_PNSL_ISQ_E10value_typeET4_T5_PSV_SW_PNS1_23onesweep_lookback_stateEbbT6_jjT7_P12ihipStream_tbENKUlT_T0_SK_SP_E_clISE_PjSF_SF_EEDaS13_S14_SK_SP_EUlS13_E_NS1_11comp_targetILNS1_3genE8ELNS1_11target_archE1030ELNS1_3gpuE2ELNS1_3repE0EEENS1_47radix_sort_onesweep_sort_config_static_selectorELNS0_4arch9wavefront6targetE1EEEvSK_
	.p2align	8
	.type	_ZN7rocprim17ROCPRIM_400000_NS6detail17trampoline_kernelINS0_14default_configENS1_35radix_sort_onesweep_config_selectorIjNS0_10empty_typeEEEZZNS1_29radix_sort_onesweep_iterationIS3_Lb0EN6thrust23THRUST_200600_302600_NS6detail15normal_iteratorINS9_10device_ptrIjEEEESE_PS5_SF_jNS0_19identity_decomposerENS1_16block_id_wrapperIjLb1EEEEE10hipError_tT1_PNSt15iterator_traitsISK_E10value_typeET2_T3_PNSL_ISQ_E10value_typeET4_T5_PSV_SW_PNS1_23onesweep_lookback_stateEbbT6_jjT7_P12ihipStream_tbENKUlT_T0_SK_SP_E_clISE_PjSF_SF_EEDaS13_S14_SK_SP_EUlS13_E_NS1_11comp_targetILNS1_3genE8ELNS1_11target_archE1030ELNS1_3gpuE2ELNS1_3repE0EEENS1_47radix_sort_onesweep_sort_config_static_selectorELNS0_4arch9wavefront6targetE1EEEvSK_,@function
_ZN7rocprim17ROCPRIM_400000_NS6detail17trampoline_kernelINS0_14default_configENS1_35radix_sort_onesweep_config_selectorIjNS0_10empty_typeEEEZZNS1_29radix_sort_onesweep_iterationIS3_Lb0EN6thrust23THRUST_200600_302600_NS6detail15normal_iteratorINS9_10device_ptrIjEEEESE_PS5_SF_jNS0_19identity_decomposerENS1_16block_id_wrapperIjLb1EEEEE10hipError_tT1_PNSt15iterator_traitsISK_E10value_typeET2_T3_PNSL_ISQ_E10value_typeET4_T5_PSV_SW_PNS1_23onesweep_lookback_stateEbbT6_jjT7_P12ihipStream_tbENKUlT_T0_SK_SP_E_clISE_PjSF_SF_EEDaS13_S14_SK_SP_EUlS13_E_NS1_11comp_targetILNS1_3genE8ELNS1_11target_archE1030ELNS1_3gpuE2ELNS1_3repE0EEENS1_47radix_sort_onesweep_sort_config_static_selectorELNS0_4arch9wavefront6targetE1EEEvSK_: ; @_ZN7rocprim17ROCPRIM_400000_NS6detail17trampoline_kernelINS0_14default_configENS1_35radix_sort_onesweep_config_selectorIjNS0_10empty_typeEEEZZNS1_29radix_sort_onesweep_iterationIS3_Lb0EN6thrust23THRUST_200600_302600_NS6detail15normal_iteratorINS9_10device_ptrIjEEEESE_PS5_SF_jNS0_19identity_decomposerENS1_16block_id_wrapperIjLb1EEEEE10hipError_tT1_PNSt15iterator_traitsISK_E10value_typeET2_T3_PNSL_ISQ_E10value_typeET4_T5_PSV_SW_PNS1_23onesweep_lookback_stateEbbT6_jjT7_P12ihipStream_tbENKUlT_T0_SK_SP_E_clISE_PjSF_SF_EEDaS13_S14_SK_SP_EUlS13_E_NS1_11comp_targetILNS1_3genE8ELNS1_11target_archE1030ELNS1_3gpuE2ELNS1_3repE0EEENS1_47radix_sort_onesweep_sort_config_static_selectorELNS0_4arch9wavefront6targetE1EEEvSK_
; %bb.0:
	.section	.rodata,"a",@progbits
	.p2align	6, 0x0
	.amdhsa_kernel _ZN7rocprim17ROCPRIM_400000_NS6detail17trampoline_kernelINS0_14default_configENS1_35radix_sort_onesweep_config_selectorIjNS0_10empty_typeEEEZZNS1_29radix_sort_onesweep_iterationIS3_Lb0EN6thrust23THRUST_200600_302600_NS6detail15normal_iteratorINS9_10device_ptrIjEEEESE_PS5_SF_jNS0_19identity_decomposerENS1_16block_id_wrapperIjLb1EEEEE10hipError_tT1_PNSt15iterator_traitsISK_E10value_typeET2_T3_PNSL_ISQ_E10value_typeET4_T5_PSV_SW_PNS1_23onesweep_lookback_stateEbbT6_jjT7_P12ihipStream_tbENKUlT_T0_SK_SP_E_clISE_PjSF_SF_EEDaS13_S14_SK_SP_EUlS13_E_NS1_11comp_targetILNS1_3genE8ELNS1_11target_archE1030ELNS1_3gpuE2ELNS1_3repE0EEENS1_47radix_sort_onesweep_sort_config_static_selectorELNS0_4arch9wavefront6targetE1EEEvSK_
		.amdhsa_group_segment_fixed_size 0
		.amdhsa_private_segment_fixed_size 0
		.amdhsa_kernarg_size 88
		.amdhsa_user_sgpr_count 2
		.amdhsa_user_sgpr_dispatch_ptr 0
		.amdhsa_user_sgpr_queue_ptr 0
		.amdhsa_user_sgpr_kernarg_segment_ptr 1
		.amdhsa_user_sgpr_dispatch_id 0
		.amdhsa_user_sgpr_kernarg_preload_length 0
		.amdhsa_user_sgpr_kernarg_preload_offset 0
		.amdhsa_user_sgpr_private_segment_size 0
		.amdhsa_uses_dynamic_stack 0
		.amdhsa_enable_private_segment 0
		.amdhsa_system_sgpr_workgroup_id_x 1
		.amdhsa_system_sgpr_workgroup_id_y 0
		.amdhsa_system_sgpr_workgroup_id_z 0
		.amdhsa_system_sgpr_workgroup_info 0
		.amdhsa_system_vgpr_workitem_id 0
		.amdhsa_next_free_vgpr 1
		.amdhsa_next_free_sgpr 0
		.amdhsa_accum_offset 4
		.amdhsa_reserve_vcc 0
		.amdhsa_float_round_mode_32 0
		.amdhsa_float_round_mode_16_64 0
		.amdhsa_float_denorm_mode_32 3
		.amdhsa_float_denorm_mode_16_64 3
		.amdhsa_dx10_clamp 1
		.amdhsa_ieee_mode 1
		.amdhsa_fp16_overflow 0
		.amdhsa_tg_split 0
		.amdhsa_exception_fp_ieee_invalid_op 0
		.amdhsa_exception_fp_denorm_src 0
		.amdhsa_exception_fp_ieee_div_zero 0
		.amdhsa_exception_fp_ieee_overflow 0
		.amdhsa_exception_fp_ieee_underflow 0
		.amdhsa_exception_fp_ieee_inexact 0
		.amdhsa_exception_int_div_zero 0
	.end_amdhsa_kernel
	.section	.text._ZN7rocprim17ROCPRIM_400000_NS6detail17trampoline_kernelINS0_14default_configENS1_35radix_sort_onesweep_config_selectorIjNS0_10empty_typeEEEZZNS1_29radix_sort_onesweep_iterationIS3_Lb0EN6thrust23THRUST_200600_302600_NS6detail15normal_iteratorINS9_10device_ptrIjEEEESE_PS5_SF_jNS0_19identity_decomposerENS1_16block_id_wrapperIjLb1EEEEE10hipError_tT1_PNSt15iterator_traitsISK_E10value_typeET2_T3_PNSL_ISQ_E10value_typeET4_T5_PSV_SW_PNS1_23onesweep_lookback_stateEbbT6_jjT7_P12ihipStream_tbENKUlT_T0_SK_SP_E_clISE_PjSF_SF_EEDaS13_S14_SK_SP_EUlS13_E_NS1_11comp_targetILNS1_3genE8ELNS1_11target_archE1030ELNS1_3gpuE2ELNS1_3repE0EEENS1_47radix_sort_onesweep_sort_config_static_selectorELNS0_4arch9wavefront6targetE1EEEvSK_,"axG",@progbits,_ZN7rocprim17ROCPRIM_400000_NS6detail17trampoline_kernelINS0_14default_configENS1_35radix_sort_onesweep_config_selectorIjNS0_10empty_typeEEEZZNS1_29radix_sort_onesweep_iterationIS3_Lb0EN6thrust23THRUST_200600_302600_NS6detail15normal_iteratorINS9_10device_ptrIjEEEESE_PS5_SF_jNS0_19identity_decomposerENS1_16block_id_wrapperIjLb1EEEEE10hipError_tT1_PNSt15iterator_traitsISK_E10value_typeET2_T3_PNSL_ISQ_E10value_typeET4_T5_PSV_SW_PNS1_23onesweep_lookback_stateEbbT6_jjT7_P12ihipStream_tbENKUlT_T0_SK_SP_E_clISE_PjSF_SF_EEDaS13_S14_SK_SP_EUlS13_E_NS1_11comp_targetILNS1_3genE8ELNS1_11target_archE1030ELNS1_3gpuE2ELNS1_3repE0EEENS1_47radix_sort_onesweep_sort_config_static_selectorELNS0_4arch9wavefront6targetE1EEEvSK_,comdat
.Lfunc_end1118:
	.size	_ZN7rocprim17ROCPRIM_400000_NS6detail17trampoline_kernelINS0_14default_configENS1_35radix_sort_onesweep_config_selectorIjNS0_10empty_typeEEEZZNS1_29radix_sort_onesweep_iterationIS3_Lb0EN6thrust23THRUST_200600_302600_NS6detail15normal_iteratorINS9_10device_ptrIjEEEESE_PS5_SF_jNS0_19identity_decomposerENS1_16block_id_wrapperIjLb1EEEEE10hipError_tT1_PNSt15iterator_traitsISK_E10value_typeET2_T3_PNSL_ISQ_E10value_typeET4_T5_PSV_SW_PNS1_23onesweep_lookback_stateEbbT6_jjT7_P12ihipStream_tbENKUlT_T0_SK_SP_E_clISE_PjSF_SF_EEDaS13_S14_SK_SP_EUlS13_E_NS1_11comp_targetILNS1_3genE8ELNS1_11target_archE1030ELNS1_3gpuE2ELNS1_3repE0EEENS1_47radix_sort_onesweep_sort_config_static_selectorELNS0_4arch9wavefront6targetE1EEEvSK_, .Lfunc_end1118-_ZN7rocprim17ROCPRIM_400000_NS6detail17trampoline_kernelINS0_14default_configENS1_35radix_sort_onesweep_config_selectorIjNS0_10empty_typeEEEZZNS1_29radix_sort_onesweep_iterationIS3_Lb0EN6thrust23THRUST_200600_302600_NS6detail15normal_iteratorINS9_10device_ptrIjEEEESE_PS5_SF_jNS0_19identity_decomposerENS1_16block_id_wrapperIjLb1EEEEE10hipError_tT1_PNSt15iterator_traitsISK_E10value_typeET2_T3_PNSL_ISQ_E10value_typeET4_T5_PSV_SW_PNS1_23onesweep_lookback_stateEbbT6_jjT7_P12ihipStream_tbENKUlT_T0_SK_SP_E_clISE_PjSF_SF_EEDaS13_S14_SK_SP_EUlS13_E_NS1_11comp_targetILNS1_3genE8ELNS1_11target_archE1030ELNS1_3gpuE2ELNS1_3repE0EEENS1_47radix_sort_onesweep_sort_config_static_selectorELNS0_4arch9wavefront6targetE1EEEvSK_
                                        ; -- End function
	.section	.AMDGPU.csdata,"",@progbits
; Kernel info:
; codeLenInByte = 0
; NumSgprs: 6
; NumVgprs: 0
; NumAgprs: 0
; TotalNumVgprs: 0
; ScratchSize: 0
; MemoryBound: 0
; FloatMode: 240
; IeeeMode: 1
; LDSByteSize: 0 bytes/workgroup (compile time only)
; SGPRBlocks: 0
; VGPRBlocks: 0
; NumSGPRsForWavesPerEU: 6
; NumVGPRsForWavesPerEU: 1
; AccumOffset: 4
; Occupancy: 8
; WaveLimiterHint : 0
; COMPUTE_PGM_RSRC2:SCRATCH_EN: 0
; COMPUTE_PGM_RSRC2:USER_SGPR: 2
; COMPUTE_PGM_RSRC2:TRAP_HANDLER: 0
; COMPUTE_PGM_RSRC2:TGID_X_EN: 1
; COMPUTE_PGM_RSRC2:TGID_Y_EN: 0
; COMPUTE_PGM_RSRC2:TGID_Z_EN: 0
; COMPUTE_PGM_RSRC2:TIDIG_COMP_CNT: 0
; COMPUTE_PGM_RSRC3_GFX90A:ACCUM_OFFSET: 0
; COMPUTE_PGM_RSRC3_GFX90A:TG_SPLIT: 0
	.section	.text._ZN7rocprim17ROCPRIM_400000_NS6detail17trampoline_kernelINS0_14default_configENS1_35radix_sort_onesweep_config_selectorIjNS0_10empty_typeEEEZZNS1_29radix_sort_onesweep_iterationIS3_Lb0EN6thrust23THRUST_200600_302600_NS6detail15normal_iteratorINS9_10device_ptrIjEEEESE_PS5_SF_jNS0_19identity_decomposerENS1_16block_id_wrapperIjLb1EEEEE10hipError_tT1_PNSt15iterator_traitsISK_E10value_typeET2_T3_PNSL_ISQ_E10value_typeET4_T5_PSV_SW_PNS1_23onesweep_lookback_stateEbbT6_jjT7_P12ihipStream_tbENKUlT_T0_SK_SP_E_clIPjSE_SF_SF_EEDaS13_S14_SK_SP_EUlS13_E_NS1_11comp_targetILNS1_3genE0ELNS1_11target_archE4294967295ELNS1_3gpuE0ELNS1_3repE0EEENS1_47radix_sort_onesweep_sort_config_static_selectorELNS0_4arch9wavefront6targetE1EEEvSK_,"axG",@progbits,_ZN7rocprim17ROCPRIM_400000_NS6detail17trampoline_kernelINS0_14default_configENS1_35radix_sort_onesweep_config_selectorIjNS0_10empty_typeEEEZZNS1_29radix_sort_onesweep_iterationIS3_Lb0EN6thrust23THRUST_200600_302600_NS6detail15normal_iteratorINS9_10device_ptrIjEEEESE_PS5_SF_jNS0_19identity_decomposerENS1_16block_id_wrapperIjLb1EEEEE10hipError_tT1_PNSt15iterator_traitsISK_E10value_typeET2_T3_PNSL_ISQ_E10value_typeET4_T5_PSV_SW_PNS1_23onesweep_lookback_stateEbbT6_jjT7_P12ihipStream_tbENKUlT_T0_SK_SP_E_clIPjSE_SF_SF_EEDaS13_S14_SK_SP_EUlS13_E_NS1_11comp_targetILNS1_3genE0ELNS1_11target_archE4294967295ELNS1_3gpuE0ELNS1_3repE0EEENS1_47radix_sort_onesweep_sort_config_static_selectorELNS0_4arch9wavefront6targetE1EEEvSK_,comdat
	.protected	_ZN7rocprim17ROCPRIM_400000_NS6detail17trampoline_kernelINS0_14default_configENS1_35radix_sort_onesweep_config_selectorIjNS0_10empty_typeEEEZZNS1_29radix_sort_onesweep_iterationIS3_Lb0EN6thrust23THRUST_200600_302600_NS6detail15normal_iteratorINS9_10device_ptrIjEEEESE_PS5_SF_jNS0_19identity_decomposerENS1_16block_id_wrapperIjLb1EEEEE10hipError_tT1_PNSt15iterator_traitsISK_E10value_typeET2_T3_PNSL_ISQ_E10value_typeET4_T5_PSV_SW_PNS1_23onesweep_lookback_stateEbbT6_jjT7_P12ihipStream_tbENKUlT_T0_SK_SP_E_clIPjSE_SF_SF_EEDaS13_S14_SK_SP_EUlS13_E_NS1_11comp_targetILNS1_3genE0ELNS1_11target_archE4294967295ELNS1_3gpuE0ELNS1_3repE0EEENS1_47radix_sort_onesweep_sort_config_static_selectorELNS0_4arch9wavefront6targetE1EEEvSK_ ; -- Begin function _ZN7rocprim17ROCPRIM_400000_NS6detail17trampoline_kernelINS0_14default_configENS1_35radix_sort_onesweep_config_selectorIjNS0_10empty_typeEEEZZNS1_29radix_sort_onesweep_iterationIS3_Lb0EN6thrust23THRUST_200600_302600_NS6detail15normal_iteratorINS9_10device_ptrIjEEEESE_PS5_SF_jNS0_19identity_decomposerENS1_16block_id_wrapperIjLb1EEEEE10hipError_tT1_PNSt15iterator_traitsISK_E10value_typeET2_T3_PNSL_ISQ_E10value_typeET4_T5_PSV_SW_PNS1_23onesweep_lookback_stateEbbT6_jjT7_P12ihipStream_tbENKUlT_T0_SK_SP_E_clIPjSE_SF_SF_EEDaS13_S14_SK_SP_EUlS13_E_NS1_11comp_targetILNS1_3genE0ELNS1_11target_archE4294967295ELNS1_3gpuE0ELNS1_3repE0EEENS1_47radix_sort_onesweep_sort_config_static_selectorELNS0_4arch9wavefront6targetE1EEEvSK_
	.globl	_ZN7rocprim17ROCPRIM_400000_NS6detail17trampoline_kernelINS0_14default_configENS1_35radix_sort_onesweep_config_selectorIjNS0_10empty_typeEEEZZNS1_29radix_sort_onesweep_iterationIS3_Lb0EN6thrust23THRUST_200600_302600_NS6detail15normal_iteratorINS9_10device_ptrIjEEEESE_PS5_SF_jNS0_19identity_decomposerENS1_16block_id_wrapperIjLb1EEEEE10hipError_tT1_PNSt15iterator_traitsISK_E10value_typeET2_T3_PNSL_ISQ_E10value_typeET4_T5_PSV_SW_PNS1_23onesweep_lookback_stateEbbT6_jjT7_P12ihipStream_tbENKUlT_T0_SK_SP_E_clIPjSE_SF_SF_EEDaS13_S14_SK_SP_EUlS13_E_NS1_11comp_targetILNS1_3genE0ELNS1_11target_archE4294967295ELNS1_3gpuE0ELNS1_3repE0EEENS1_47radix_sort_onesweep_sort_config_static_selectorELNS0_4arch9wavefront6targetE1EEEvSK_
	.p2align	8
	.type	_ZN7rocprim17ROCPRIM_400000_NS6detail17trampoline_kernelINS0_14default_configENS1_35radix_sort_onesweep_config_selectorIjNS0_10empty_typeEEEZZNS1_29radix_sort_onesweep_iterationIS3_Lb0EN6thrust23THRUST_200600_302600_NS6detail15normal_iteratorINS9_10device_ptrIjEEEESE_PS5_SF_jNS0_19identity_decomposerENS1_16block_id_wrapperIjLb1EEEEE10hipError_tT1_PNSt15iterator_traitsISK_E10value_typeET2_T3_PNSL_ISQ_E10value_typeET4_T5_PSV_SW_PNS1_23onesweep_lookback_stateEbbT6_jjT7_P12ihipStream_tbENKUlT_T0_SK_SP_E_clIPjSE_SF_SF_EEDaS13_S14_SK_SP_EUlS13_E_NS1_11comp_targetILNS1_3genE0ELNS1_11target_archE4294967295ELNS1_3gpuE0ELNS1_3repE0EEENS1_47radix_sort_onesweep_sort_config_static_selectorELNS0_4arch9wavefront6targetE1EEEvSK_,@function
_ZN7rocprim17ROCPRIM_400000_NS6detail17trampoline_kernelINS0_14default_configENS1_35radix_sort_onesweep_config_selectorIjNS0_10empty_typeEEEZZNS1_29radix_sort_onesweep_iterationIS3_Lb0EN6thrust23THRUST_200600_302600_NS6detail15normal_iteratorINS9_10device_ptrIjEEEESE_PS5_SF_jNS0_19identity_decomposerENS1_16block_id_wrapperIjLb1EEEEE10hipError_tT1_PNSt15iterator_traitsISK_E10value_typeET2_T3_PNSL_ISQ_E10value_typeET4_T5_PSV_SW_PNS1_23onesweep_lookback_stateEbbT6_jjT7_P12ihipStream_tbENKUlT_T0_SK_SP_E_clIPjSE_SF_SF_EEDaS13_S14_SK_SP_EUlS13_E_NS1_11comp_targetILNS1_3genE0ELNS1_11target_archE4294967295ELNS1_3gpuE0ELNS1_3repE0EEENS1_47radix_sort_onesweep_sort_config_static_selectorELNS0_4arch9wavefront6targetE1EEEvSK_: ; @_ZN7rocprim17ROCPRIM_400000_NS6detail17trampoline_kernelINS0_14default_configENS1_35radix_sort_onesweep_config_selectorIjNS0_10empty_typeEEEZZNS1_29radix_sort_onesweep_iterationIS3_Lb0EN6thrust23THRUST_200600_302600_NS6detail15normal_iteratorINS9_10device_ptrIjEEEESE_PS5_SF_jNS0_19identity_decomposerENS1_16block_id_wrapperIjLb1EEEEE10hipError_tT1_PNSt15iterator_traitsISK_E10value_typeET2_T3_PNSL_ISQ_E10value_typeET4_T5_PSV_SW_PNS1_23onesweep_lookback_stateEbbT6_jjT7_P12ihipStream_tbENKUlT_T0_SK_SP_E_clIPjSE_SF_SF_EEDaS13_S14_SK_SP_EUlS13_E_NS1_11comp_targetILNS1_3genE0ELNS1_11target_archE4294967295ELNS1_3gpuE0ELNS1_3repE0EEENS1_47radix_sort_onesweep_sort_config_static_selectorELNS0_4arch9wavefront6targetE1EEEvSK_
; %bb.0:
	.section	.rodata,"a",@progbits
	.p2align	6, 0x0
	.amdhsa_kernel _ZN7rocprim17ROCPRIM_400000_NS6detail17trampoline_kernelINS0_14default_configENS1_35radix_sort_onesweep_config_selectorIjNS0_10empty_typeEEEZZNS1_29radix_sort_onesweep_iterationIS3_Lb0EN6thrust23THRUST_200600_302600_NS6detail15normal_iteratorINS9_10device_ptrIjEEEESE_PS5_SF_jNS0_19identity_decomposerENS1_16block_id_wrapperIjLb1EEEEE10hipError_tT1_PNSt15iterator_traitsISK_E10value_typeET2_T3_PNSL_ISQ_E10value_typeET4_T5_PSV_SW_PNS1_23onesweep_lookback_stateEbbT6_jjT7_P12ihipStream_tbENKUlT_T0_SK_SP_E_clIPjSE_SF_SF_EEDaS13_S14_SK_SP_EUlS13_E_NS1_11comp_targetILNS1_3genE0ELNS1_11target_archE4294967295ELNS1_3gpuE0ELNS1_3repE0EEENS1_47radix_sort_onesweep_sort_config_static_selectorELNS0_4arch9wavefront6targetE1EEEvSK_
		.amdhsa_group_segment_fixed_size 0
		.amdhsa_private_segment_fixed_size 0
		.amdhsa_kernarg_size 88
		.amdhsa_user_sgpr_count 2
		.amdhsa_user_sgpr_dispatch_ptr 0
		.amdhsa_user_sgpr_queue_ptr 0
		.amdhsa_user_sgpr_kernarg_segment_ptr 1
		.amdhsa_user_sgpr_dispatch_id 0
		.amdhsa_user_sgpr_kernarg_preload_length 0
		.amdhsa_user_sgpr_kernarg_preload_offset 0
		.amdhsa_user_sgpr_private_segment_size 0
		.amdhsa_uses_dynamic_stack 0
		.amdhsa_enable_private_segment 0
		.amdhsa_system_sgpr_workgroup_id_x 1
		.amdhsa_system_sgpr_workgroup_id_y 0
		.amdhsa_system_sgpr_workgroup_id_z 0
		.amdhsa_system_sgpr_workgroup_info 0
		.amdhsa_system_vgpr_workitem_id 0
		.amdhsa_next_free_vgpr 1
		.amdhsa_next_free_sgpr 0
		.amdhsa_accum_offset 4
		.amdhsa_reserve_vcc 0
		.amdhsa_float_round_mode_32 0
		.amdhsa_float_round_mode_16_64 0
		.amdhsa_float_denorm_mode_32 3
		.amdhsa_float_denorm_mode_16_64 3
		.amdhsa_dx10_clamp 1
		.amdhsa_ieee_mode 1
		.amdhsa_fp16_overflow 0
		.amdhsa_tg_split 0
		.amdhsa_exception_fp_ieee_invalid_op 0
		.amdhsa_exception_fp_denorm_src 0
		.amdhsa_exception_fp_ieee_div_zero 0
		.amdhsa_exception_fp_ieee_overflow 0
		.amdhsa_exception_fp_ieee_underflow 0
		.amdhsa_exception_fp_ieee_inexact 0
		.amdhsa_exception_int_div_zero 0
	.end_amdhsa_kernel
	.section	.text._ZN7rocprim17ROCPRIM_400000_NS6detail17trampoline_kernelINS0_14default_configENS1_35radix_sort_onesweep_config_selectorIjNS0_10empty_typeEEEZZNS1_29radix_sort_onesweep_iterationIS3_Lb0EN6thrust23THRUST_200600_302600_NS6detail15normal_iteratorINS9_10device_ptrIjEEEESE_PS5_SF_jNS0_19identity_decomposerENS1_16block_id_wrapperIjLb1EEEEE10hipError_tT1_PNSt15iterator_traitsISK_E10value_typeET2_T3_PNSL_ISQ_E10value_typeET4_T5_PSV_SW_PNS1_23onesweep_lookback_stateEbbT6_jjT7_P12ihipStream_tbENKUlT_T0_SK_SP_E_clIPjSE_SF_SF_EEDaS13_S14_SK_SP_EUlS13_E_NS1_11comp_targetILNS1_3genE0ELNS1_11target_archE4294967295ELNS1_3gpuE0ELNS1_3repE0EEENS1_47radix_sort_onesweep_sort_config_static_selectorELNS0_4arch9wavefront6targetE1EEEvSK_,"axG",@progbits,_ZN7rocprim17ROCPRIM_400000_NS6detail17trampoline_kernelINS0_14default_configENS1_35radix_sort_onesweep_config_selectorIjNS0_10empty_typeEEEZZNS1_29radix_sort_onesweep_iterationIS3_Lb0EN6thrust23THRUST_200600_302600_NS6detail15normal_iteratorINS9_10device_ptrIjEEEESE_PS5_SF_jNS0_19identity_decomposerENS1_16block_id_wrapperIjLb1EEEEE10hipError_tT1_PNSt15iterator_traitsISK_E10value_typeET2_T3_PNSL_ISQ_E10value_typeET4_T5_PSV_SW_PNS1_23onesweep_lookback_stateEbbT6_jjT7_P12ihipStream_tbENKUlT_T0_SK_SP_E_clIPjSE_SF_SF_EEDaS13_S14_SK_SP_EUlS13_E_NS1_11comp_targetILNS1_3genE0ELNS1_11target_archE4294967295ELNS1_3gpuE0ELNS1_3repE0EEENS1_47radix_sort_onesweep_sort_config_static_selectorELNS0_4arch9wavefront6targetE1EEEvSK_,comdat
.Lfunc_end1119:
	.size	_ZN7rocprim17ROCPRIM_400000_NS6detail17trampoline_kernelINS0_14default_configENS1_35radix_sort_onesweep_config_selectorIjNS0_10empty_typeEEEZZNS1_29radix_sort_onesweep_iterationIS3_Lb0EN6thrust23THRUST_200600_302600_NS6detail15normal_iteratorINS9_10device_ptrIjEEEESE_PS5_SF_jNS0_19identity_decomposerENS1_16block_id_wrapperIjLb1EEEEE10hipError_tT1_PNSt15iterator_traitsISK_E10value_typeET2_T3_PNSL_ISQ_E10value_typeET4_T5_PSV_SW_PNS1_23onesweep_lookback_stateEbbT6_jjT7_P12ihipStream_tbENKUlT_T0_SK_SP_E_clIPjSE_SF_SF_EEDaS13_S14_SK_SP_EUlS13_E_NS1_11comp_targetILNS1_3genE0ELNS1_11target_archE4294967295ELNS1_3gpuE0ELNS1_3repE0EEENS1_47radix_sort_onesweep_sort_config_static_selectorELNS0_4arch9wavefront6targetE1EEEvSK_, .Lfunc_end1119-_ZN7rocprim17ROCPRIM_400000_NS6detail17trampoline_kernelINS0_14default_configENS1_35radix_sort_onesweep_config_selectorIjNS0_10empty_typeEEEZZNS1_29radix_sort_onesweep_iterationIS3_Lb0EN6thrust23THRUST_200600_302600_NS6detail15normal_iteratorINS9_10device_ptrIjEEEESE_PS5_SF_jNS0_19identity_decomposerENS1_16block_id_wrapperIjLb1EEEEE10hipError_tT1_PNSt15iterator_traitsISK_E10value_typeET2_T3_PNSL_ISQ_E10value_typeET4_T5_PSV_SW_PNS1_23onesweep_lookback_stateEbbT6_jjT7_P12ihipStream_tbENKUlT_T0_SK_SP_E_clIPjSE_SF_SF_EEDaS13_S14_SK_SP_EUlS13_E_NS1_11comp_targetILNS1_3genE0ELNS1_11target_archE4294967295ELNS1_3gpuE0ELNS1_3repE0EEENS1_47radix_sort_onesweep_sort_config_static_selectorELNS0_4arch9wavefront6targetE1EEEvSK_
                                        ; -- End function
	.section	.AMDGPU.csdata,"",@progbits
; Kernel info:
; codeLenInByte = 0
; NumSgprs: 6
; NumVgprs: 0
; NumAgprs: 0
; TotalNumVgprs: 0
; ScratchSize: 0
; MemoryBound: 0
; FloatMode: 240
; IeeeMode: 1
; LDSByteSize: 0 bytes/workgroup (compile time only)
; SGPRBlocks: 0
; VGPRBlocks: 0
; NumSGPRsForWavesPerEU: 6
; NumVGPRsForWavesPerEU: 1
; AccumOffset: 4
; Occupancy: 8
; WaveLimiterHint : 0
; COMPUTE_PGM_RSRC2:SCRATCH_EN: 0
; COMPUTE_PGM_RSRC2:USER_SGPR: 2
; COMPUTE_PGM_RSRC2:TRAP_HANDLER: 0
; COMPUTE_PGM_RSRC2:TGID_X_EN: 1
; COMPUTE_PGM_RSRC2:TGID_Y_EN: 0
; COMPUTE_PGM_RSRC2:TGID_Z_EN: 0
; COMPUTE_PGM_RSRC2:TIDIG_COMP_CNT: 0
; COMPUTE_PGM_RSRC3_GFX90A:ACCUM_OFFSET: 0
; COMPUTE_PGM_RSRC3_GFX90A:TG_SPLIT: 0
	.section	.text._ZN7rocprim17ROCPRIM_400000_NS6detail17trampoline_kernelINS0_14default_configENS1_35radix_sort_onesweep_config_selectorIjNS0_10empty_typeEEEZZNS1_29radix_sort_onesweep_iterationIS3_Lb0EN6thrust23THRUST_200600_302600_NS6detail15normal_iteratorINS9_10device_ptrIjEEEESE_PS5_SF_jNS0_19identity_decomposerENS1_16block_id_wrapperIjLb1EEEEE10hipError_tT1_PNSt15iterator_traitsISK_E10value_typeET2_T3_PNSL_ISQ_E10value_typeET4_T5_PSV_SW_PNS1_23onesweep_lookback_stateEbbT6_jjT7_P12ihipStream_tbENKUlT_T0_SK_SP_E_clIPjSE_SF_SF_EEDaS13_S14_SK_SP_EUlS13_E_NS1_11comp_targetILNS1_3genE6ELNS1_11target_archE950ELNS1_3gpuE13ELNS1_3repE0EEENS1_47radix_sort_onesweep_sort_config_static_selectorELNS0_4arch9wavefront6targetE1EEEvSK_,"axG",@progbits,_ZN7rocprim17ROCPRIM_400000_NS6detail17trampoline_kernelINS0_14default_configENS1_35radix_sort_onesweep_config_selectorIjNS0_10empty_typeEEEZZNS1_29radix_sort_onesweep_iterationIS3_Lb0EN6thrust23THRUST_200600_302600_NS6detail15normal_iteratorINS9_10device_ptrIjEEEESE_PS5_SF_jNS0_19identity_decomposerENS1_16block_id_wrapperIjLb1EEEEE10hipError_tT1_PNSt15iterator_traitsISK_E10value_typeET2_T3_PNSL_ISQ_E10value_typeET4_T5_PSV_SW_PNS1_23onesweep_lookback_stateEbbT6_jjT7_P12ihipStream_tbENKUlT_T0_SK_SP_E_clIPjSE_SF_SF_EEDaS13_S14_SK_SP_EUlS13_E_NS1_11comp_targetILNS1_3genE6ELNS1_11target_archE950ELNS1_3gpuE13ELNS1_3repE0EEENS1_47radix_sort_onesweep_sort_config_static_selectorELNS0_4arch9wavefront6targetE1EEEvSK_,comdat
	.protected	_ZN7rocprim17ROCPRIM_400000_NS6detail17trampoline_kernelINS0_14default_configENS1_35radix_sort_onesweep_config_selectorIjNS0_10empty_typeEEEZZNS1_29radix_sort_onesweep_iterationIS3_Lb0EN6thrust23THRUST_200600_302600_NS6detail15normal_iteratorINS9_10device_ptrIjEEEESE_PS5_SF_jNS0_19identity_decomposerENS1_16block_id_wrapperIjLb1EEEEE10hipError_tT1_PNSt15iterator_traitsISK_E10value_typeET2_T3_PNSL_ISQ_E10value_typeET4_T5_PSV_SW_PNS1_23onesweep_lookback_stateEbbT6_jjT7_P12ihipStream_tbENKUlT_T0_SK_SP_E_clIPjSE_SF_SF_EEDaS13_S14_SK_SP_EUlS13_E_NS1_11comp_targetILNS1_3genE6ELNS1_11target_archE950ELNS1_3gpuE13ELNS1_3repE0EEENS1_47radix_sort_onesweep_sort_config_static_selectorELNS0_4arch9wavefront6targetE1EEEvSK_ ; -- Begin function _ZN7rocprim17ROCPRIM_400000_NS6detail17trampoline_kernelINS0_14default_configENS1_35radix_sort_onesweep_config_selectorIjNS0_10empty_typeEEEZZNS1_29radix_sort_onesweep_iterationIS3_Lb0EN6thrust23THRUST_200600_302600_NS6detail15normal_iteratorINS9_10device_ptrIjEEEESE_PS5_SF_jNS0_19identity_decomposerENS1_16block_id_wrapperIjLb1EEEEE10hipError_tT1_PNSt15iterator_traitsISK_E10value_typeET2_T3_PNSL_ISQ_E10value_typeET4_T5_PSV_SW_PNS1_23onesweep_lookback_stateEbbT6_jjT7_P12ihipStream_tbENKUlT_T0_SK_SP_E_clIPjSE_SF_SF_EEDaS13_S14_SK_SP_EUlS13_E_NS1_11comp_targetILNS1_3genE6ELNS1_11target_archE950ELNS1_3gpuE13ELNS1_3repE0EEENS1_47radix_sort_onesweep_sort_config_static_selectorELNS0_4arch9wavefront6targetE1EEEvSK_
	.globl	_ZN7rocprim17ROCPRIM_400000_NS6detail17trampoline_kernelINS0_14default_configENS1_35radix_sort_onesweep_config_selectorIjNS0_10empty_typeEEEZZNS1_29radix_sort_onesweep_iterationIS3_Lb0EN6thrust23THRUST_200600_302600_NS6detail15normal_iteratorINS9_10device_ptrIjEEEESE_PS5_SF_jNS0_19identity_decomposerENS1_16block_id_wrapperIjLb1EEEEE10hipError_tT1_PNSt15iterator_traitsISK_E10value_typeET2_T3_PNSL_ISQ_E10value_typeET4_T5_PSV_SW_PNS1_23onesweep_lookback_stateEbbT6_jjT7_P12ihipStream_tbENKUlT_T0_SK_SP_E_clIPjSE_SF_SF_EEDaS13_S14_SK_SP_EUlS13_E_NS1_11comp_targetILNS1_3genE6ELNS1_11target_archE950ELNS1_3gpuE13ELNS1_3repE0EEENS1_47radix_sort_onesweep_sort_config_static_selectorELNS0_4arch9wavefront6targetE1EEEvSK_
	.p2align	8
	.type	_ZN7rocprim17ROCPRIM_400000_NS6detail17trampoline_kernelINS0_14default_configENS1_35radix_sort_onesweep_config_selectorIjNS0_10empty_typeEEEZZNS1_29radix_sort_onesweep_iterationIS3_Lb0EN6thrust23THRUST_200600_302600_NS6detail15normal_iteratorINS9_10device_ptrIjEEEESE_PS5_SF_jNS0_19identity_decomposerENS1_16block_id_wrapperIjLb1EEEEE10hipError_tT1_PNSt15iterator_traitsISK_E10value_typeET2_T3_PNSL_ISQ_E10value_typeET4_T5_PSV_SW_PNS1_23onesweep_lookback_stateEbbT6_jjT7_P12ihipStream_tbENKUlT_T0_SK_SP_E_clIPjSE_SF_SF_EEDaS13_S14_SK_SP_EUlS13_E_NS1_11comp_targetILNS1_3genE6ELNS1_11target_archE950ELNS1_3gpuE13ELNS1_3repE0EEENS1_47radix_sort_onesweep_sort_config_static_selectorELNS0_4arch9wavefront6targetE1EEEvSK_,@function
_ZN7rocprim17ROCPRIM_400000_NS6detail17trampoline_kernelINS0_14default_configENS1_35radix_sort_onesweep_config_selectorIjNS0_10empty_typeEEEZZNS1_29radix_sort_onesweep_iterationIS3_Lb0EN6thrust23THRUST_200600_302600_NS6detail15normal_iteratorINS9_10device_ptrIjEEEESE_PS5_SF_jNS0_19identity_decomposerENS1_16block_id_wrapperIjLb1EEEEE10hipError_tT1_PNSt15iterator_traitsISK_E10value_typeET2_T3_PNSL_ISQ_E10value_typeET4_T5_PSV_SW_PNS1_23onesweep_lookback_stateEbbT6_jjT7_P12ihipStream_tbENKUlT_T0_SK_SP_E_clIPjSE_SF_SF_EEDaS13_S14_SK_SP_EUlS13_E_NS1_11comp_targetILNS1_3genE6ELNS1_11target_archE950ELNS1_3gpuE13ELNS1_3repE0EEENS1_47radix_sort_onesweep_sort_config_static_selectorELNS0_4arch9wavefront6targetE1EEEvSK_: ; @_ZN7rocprim17ROCPRIM_400000_NS6detail17trampoline_kernelINS0_14default_configENS1_35radix_sort_onesweep_config_selectorIjNS0_10empty_typeEEEZZNS1_29radix_sort_onesweep_iterationIS3_Lb0EN6thrust23THRUST_200600_302600_NS6detail15normal_iteratorINS9_10device_ptrIjEEEESE_PS5_SF_jNS0_19identity_decomposerENS1_16block_id_wrapperIjLb1EEEEE10hipError_tT1_PNSt15iterator_traitsISK_E10value_typeET2_T3_PNSL_ISQ_E10value_typeET4_T5_PSV_SW_PNS1_23onesweep_lookback_stateEbbT6_jjT7_P12ihipStream_tbENKUlT_T0_SK_SP_E_clIPjSE_SF_SF_EEDaS13_S14_SK_SP_EUlS13_E_NS1_11comp_targetILNS1_3genE6ELNS1_11target_archE950ELNS1_3gpuE13ELNS1_3repE0EEENS1_47radix_sort_onesweep_sort_config_static_selectorELNS0_4arch9wavefront6targetE1EEEvSK_
; %bb.0:
	.section	.rodata,"a",@progbits
	.p2align	6, 0x0
	.amdhsa_kernel _ZN7rocprim17ROCPRIM_400000_NS6detail17trampoline_kernelINS0_14default_configENS1_35radix_sort_onesweep_config_selectorIjNS0_10empty_typeEEEZZNS1_29radix_sort_onesweep_iterationIS3_Lb0EN6thrust23THRUST_200600_302600_NS6detail15normal_iteratorINS9_10device_ptrIjEEEESE_PS5_SF_jNS0_19identity_decomposerENS1_16block_id_wrapperIjLb1EEEEE10hipError_tT1_PNSt15iterator_traitsISK_E10value_typeET2_T3_PNSL_ISQ_E10value_typeET4_T5_PSV_SW_PNS1_23onesweep_lookback_stateEbbT6_jjT7_P12ihipStream_tbENKUlT_T0_SK_SP_E_clIPjSE_SF_SF_EEDaS13_S14_SK_SP_EUlS13_E_NS1_11comp_targetILNS1_3genE6ELNS1_11target_archE950ELNS1_3gpuE13ELNS1_3repE0EEENS1_47radix_sort_onesweep_sort_config_static_selectorELNS0_4arch9wavefront6targetE1EEEvSK_
		.amdhsa_group_segment_fixed_size 0
		.amdhsa_private_segment_fixed_size 0
		.amdhsa_kernarg_size 88
		.amdhsa_user_sgpr_count 2
		.amdhsa_user_sgpr_dispatch_ptr 0
		.amdhsa_user_sgpr_queue_ptr 0
		.amdhsa_user_sgpr_kernarg_segment_ptr 1
		.amdhsa_user_sgpr_dispatch_id 0
		.amdhsa_user_sgpr_kernarg_preload_length 0
		.amdhsa_user_sgpr_kernarg_preload_offset 0
		.amdhsa_user_sgpr_private_segment_size 0
		.amdhsa_uses_dynamic_stack 0
		.amdhsa_enable_private_segment 0
		.amdhsa_system_sgpr_workgroup_id_x 1
		.amdhsa_system_sgpr_workgroup_id_y 0
		.amdhsa_system_sgpr_workgroup_id_z 0
		.amdhsa_system_sgpr_workgroup_info 0
		.amdhsa_system_vgpr_workitem_id 0
		.amdhsa_next_free_vgpr 1
		.amdhsa_next_free_sgpr 0
		.amdhsa_accum_offset 4
		.amdhsa_reserve_vcc 0
		.amdhsa_float_round_mode_32 0
		.amdhsa_float_round_mode_16_64 0
		.amdhsa_float_denorm_mode_32 3
		.amdhsa_float_denorm_mode_16_64 3
		.amdhsa_dx10_clamp 1
		.amdhsa_ieee_mode 1
		.amdhsa_fp16_overflow 0
		.amdhsa_tg_split 0
		.amdhsa_exception_fp_ieee_invalid_op 0
		.amdhsa_exception_fp_denorm_src 0
		.amdhsa_exception_fp_ieee_div_zero 0
		.amdhsa_exception_fp_ieee_overflow 0
		.amdhsa_exception_fp_ieee_underflow 0
		.amdhsa_exception_fp_ieee_inexact 0
		.amdhsa_exception_int_div_zero 0
	.end_amdhsa_kernel
	.section	.text._ZN7rocprim17ROCPRIM_400000_NS6detail17trampoline_kernelINS0_14default_configENS1_35radix_sort_onesweep_config_selectorIjNS0_10empty_typeEEEZZNS1_29radix_sort_onesweep_iterationIS3_Lb0EN6thrust23THRUST_200600_302600_NS6detail15normal_iteratorINS9_10device_ptrIjEEEESE_PS5_SF_jNS0_19identity_decomposerENS1_16block_id_wrapperIjLb1EEEEE10hipError_tT1_PNSt15iterator_traitsISK_E10value_typeET2_T3_PNSL_ISQ_E10value_typeET4_T5_PSV_SW_PNS1_23onesweep_lookback_stateEbbT6_jjT7_P12ihipStream_tbENKUlT_T0_SK_SP_E_clIPjSE_SF_SF_EEDaS13_S14_SK_SP_EUlS13_E_NS1_11comp_targetILNS1_3genE6ELNS1_11target_archE950ELNS1_3gpuE13ELNS1_3repE0EEENS1_47radix_sort_onesweep_sort_config_static_selectorELNS0_4arch9wavefront6targetE1EEEvSK_,"axG",@progbits,_ZN7rocprim17ROCPRIM_400000_NS6detail17trampoline_kernelINS0_14default_configENS1_35radix_sort_onesweep_config_selectorIjNS0_10empty_typeEEEZZNS1_29radix_sort_onesweep_iterationIS3_Lb0EN6thrust23THRUST_200600_302600_NS6detail15normal_iteratorINS9_10device_ptrIjEEEESE_PS5_SF_jNS0_19identity_decomposerENS1_16block_id_wrapperIjLb1EEEEE10hipError_tT1_PNSt15iterator_traitsISK_E10value_typeET2_T3_PNSL_ISQ_E10value_typeET4_T5_PSV_SW_PNS1_23onesweep_lookback_stateEbbT6_jjT7_P12ihipStream_tbENKUlT_T0_SK_SP_E_clIPjSE_SF_SF_EEDaS13_S14_SK_SP_EUlS13_E_NS1_11comp_targetILNS1_3genE6ELNS1_11target_archE950ELNS1_3gpuE13ELNS1_3repE0EEENS1_47radix_sort_onesweep_sort_config_static_selectorELNS0_4arch9wavefront6targetE1EEEvSK_,comdat
.Lfunc_end1120:
	.size	_ZN7rocprim17ROCPRIM_400000_NS6detail17trampoline_kernelINS0_14default_configENS1_35radix_sort_onesweep_config_selectorIjNS0_10empty_typeEEEZZNS1_29radix_sort_onesweep_iterationIS3_Lb0EN6thrust23THRUST_200600_302600_NS6detail15normal_iteratorINS9_10device_ptrIjEEEESE_PS5_SF_jNS0_19identity_decomposerENS1_16block_id_wrapperIjLb1EEEEE10hipError_tT1_PNSt15iterator_traitsISK_E10value_typeET2_T3_PNSL_ISQ_E10value_typeET4_T5_PSV_SW_PNS1_23onesweep_lookback_stateEbbT6_jjT7_P12ihipStream_tbENKUlT_T0_SK_SP_E_clIPjSE_SF_SF_EEDaS13_S14_SK_SP_EUlS13_E_NS1_11comp_targetILNS1_3genE6ELNS1_11target_archE950ELNS1_3gpuE13ELNS1_3repE0EEENS1_47radix_sort_onesweep_sort_config_static_selectorELNS0_4arch9wavefront6targetE1EEEvSK_, .Lfunc_end1120-_ZN7rocprim17ROCPRIM_400000_NS6detail17trampoline_kernelINS0_14default_configENS1_35radix_sort_onesweep_config_selectorIjNS0_10empty_typeEEEZZNS1_29radix_sort_onesweep_iterationIS3_Lb0EN6thrust23THRUST_200600_302600_NS6detail15normal_iteratorINS9_10device_ptrIjEEEESE_PS5_SF_jNS0_19identity_decomposerENS1_16block_id_wrapperIjLb1EEEEE10hipError_tT1_PNSt15iterator_traitsISK_E10value_typeET2_T3_PNSL_ISQ_E10value_typeET4_T5_PSV_SW_PNS1_23onesweep_lookback_stateEbbT6_jjT7_P12ihipStream_tbENKUlT_T0_SK_SP_E_clIPjSE_SF_SF_EEDaS13_S14_SK_SP_EUlS13_E_NS1_11comp_targetILNS1_3genE6ELNS1_11target_archE950ELNS1_3gpuE13ELNS1_3repE0EEENS1_47radix_sort_onesweep_sort_config_static_selectorELNS0_4arch9wavefront6targetE1EEEvSK_
                                        ; -- End function
	.section	.AMDGPU.csdata,"",@progbits
; Kernel info:
; codeLenInByte = 0
; NumSgprs: 6
; NumVgprs: 0
; NumAgprs: 0
; TotalNumVgprs: 0
; ScratchSize: 0
; MemoryBound: 0
; FloatMode: 240
; IeeeMode: 1
; LDSByteSize: 0 bytes/workgroup (compile time only)
; SGPRBlocks: 0
; VGPRBlocks: 0
; NumSGPRsForWavesPerEU: 6
; NumVGPRsForWavesPerEU: 1
; AccumOffset: 4
; Occupancy: 8
; WaveLimiterHint : 0
; COMPUTE_PGM_RSRC2:SCRATCH_EN: 0
; COMPUTE_PGM_RSRC2:USER_SGPR: 2
; COMPUTE_PGM_RSRC2:TRAP_HANDLER: 0
; COMPUTE_PGM_RSRC2:TGID_X_EN: 1
; COMPUTE_PGM_RSRC2:TGID_Y_EN: 0
; COMPUTE_PGM_RSRC2:TGID_Z_EN: 0
; COMPUTE_PGM_RSRC2:TIDIG_COMP_CNT: 0
; COMPUTE_PGM_RSRC3_GFX90A:ACCUM_OFFSET: 0
; COMPUTE_PGM_RSRC3_GFX90A:TG_SPLIT: 0
	.section	.text._ZN7rocprim17ROCPRIM_400000_NS6detail17trampoline_kernelINS0_14default_configENS1_35radix_sort_onesweep_config_selectorIjNS0_10empty_typeEEEZZNS1_29radix_sort_onesweep_iterationIS3_Lb0EN6thrust23THRUST_200600_302600_NS6detail15normal_iteratorINS9_10device_ptrIjEEEESE_PS5_SF_jNS0_19identity_decomposerENS1_16block_id_wrapperIjLb1EEEEE10hipError_tT1_PNSt15iterator_traitsISK_E10value_typeET2_T3_PNSL_ISQ_E10value_typeET4_T5_PSV_SW_PNS1_23onesweep_lookback_stateEbbT6_jjT7_P12ihipStream_tbENKUlT_T0_SK_SP_E_clIPjSE_SF_SF_EEDaS13_S14_SK_SP_EUlS13_E_NS1_11comp_targetILNS1_3genE5ELNS1_11target_archE942ELNS1_3gpuE9ELNS1_3repE0EEENS1_47radix_sort_onesweep_sort_config_static_selectorELNS0_4arch9wavefront6targetE1EEEvSK_,"axG",@progbits,_ZN7rocprim17ROCPRIM_400000_NS6detail17trampoline_kernelINS0_14default_configENS1_35radix_sort_onesweep_config_selectorIjNS0_10empty_typeEEEZZNS1_29radix_sort_onesweep_iterationIS3_Lb0EN6thrust23THRUST_200600_302600_NS6detail15normal_iteratorINS9_10device_ptrIjEEEESE_PS5_SF_jNS0_19identity_decomposerENS1_16block_id_wrapperIjLb1EEEEE10hipError_tT1_PNSt15iterator_traitsISK_E10value_typeET2_T3_PNSL_ISQ_E10value_typeET4_T5_PSV_SW_PNS1_23onesweep_lookback_stateEbbT6_jjT7_P12ihipStream_tbENKUlT_T0_SK_SP_E_clIPjSE_SF_SF_EEDaS13_S14_SK_SP_EUlS13_E_NS1_11comp_targetILNS1_3genE5ELNS1_11target_archE942ELNS1_3gpuE9ELNS1_3repE0EEENS1_47radix_sort_onesweep_sort_config_static_selectorELNS0_4arch9wavefront6targetE1EEEvSK_,comdat
	.protected	_ZN7rocprim17ROCPRIM_400000_NS6detail17trampoline_kernelINS0_14default_configENS1_35radix_sort_onesweep_config_selectorIjNS0_10empty_typeEEEZZNS1_29radix_sort_onesweep_iterationIS3_Lb0EN6thrust23THRUST_200600_302600_NS6detail15normal_iteratorINS9_10device_ptrIjEEEESE_PS5_SF_jNS0_19identity_decomposerENS1_16block_id_wrapperIjLb1EEEEE10hipError_tT1_PNSt15iterator_traitsISK_E10value_typeET2_T3_PNSL_ISQ_E10value_typeET4_T5_PSV_SW_PNS1_23onesweep_lookback_stateEbbT6_jjT7_P12ihipStream_tbENKUlT_T0_SK_SP_E_clIPjSE_SF_SF_EEDaS13_S14_SK_SP_EUlS13_E_NS1_11comp_targetILNS1_3genE5ELNS1_11target_archE942ELNS1_3gpuE9ELNS1_3repE0EEENS1_47radix_sort_onesweep_sort_config_static_selectorELNS0_4arch9wavefront6targetE1EEEvSK_ ; -- Begin function _ZN7rocprim17ROCPRIM_400000_NS6detail17trampoline_kernelINS0_14default_configENS1_35radix_sort_onesweep_config_selectorIjNS0_10empty_typeEEEZZNS1_29radix_sort_onesweep_iterationIS3_Lb0EN6thrust23THRUST_200600_302600_NS6detail15normal_iteratorINS9_10device_ptrIjEEEESE_PS5_SF_jNS0_19identity_decomposerENS1_16block_id_wrapperIjLb1EEEEE10hipError_tT1_PNSt15iterator_traitsISK_E10value_typeET2_T3_PNSL_ISQ_E10value_typeET4_T5_PSV_SW_PNS1_23onesweep_lookback_stateEbbT6_jjT7_P12ihipStream_tbENKUlT_T0_SK_SP_E_clIPjSE_SF_SF_EEDaS13_S14_SK_SP_EUlS13_E_NS1_11comp_targetILNS1_3genE5ELNS1_11target_archE942ELNS1_3gpuE9ELNS1_3repE0EEENS1_47radix_sort_onesweep_sort_config_static_selectorELNS0_4arch9wavefront6targetE1EEEvSK_
	.globl	_ZN7rocprim17ROCPRIM_400000_NS6detail17trampoline_kernelINS0_14default_configENS1_35radix_sort_onesweep_config_selectorIjNS0_10empty_typeEEEZZNS1_29radix_sort_onesweep_iterationIS3_Lb0EN6thrust23THRUST_200600_302600_NS6detail15normal_iteratorINS9_10device_ptrIjEEEESE_PS5_SF_jNS0_19identity_decomposerENS1_16block_id_wrapperIjLb1EEEEE10hipError_tT1_PNSt15iterator_traitsISK_E10value_typeET2_T3_PNSL_ISQ_E10value_typeET4_T5_PSV_SW_PNS1_23onesweep_lookback_stateEbbT6_jjT7_P12ihipStream_tbENKUlT_T0_SK_SP_E_clIPjSE_SF_SF_EEDaS13_S14_SK_SP_EUlS13_E_NS1_11comp_targetILNS1_3genE5ELNS1_11target_archE942ELNS1_3gpuE9ELNS1_3repE0EEENS1_47radix_sort_onesweep_sort_config_static_selectorELNS0_4arch9wavefront6targetE1EEEvSK_
	.p2align	8
	.type	_ZN7rocprim17ROCPRIM_400000_NS6detail17trampoline_kernelINS0_14default_configENS1_35radix_sort_onesweep_config_selectorIjNS0_10empty_typeEEEZZNS1_29radix_sort_onesweep_iterationIS3_Lb0EN6thrust23THRUST_200600_302600_NS6detail15normal_iteratorINS9_10device_ptrIjEEEESE_PS5_SF_jNS0_19identity_decomposerENS1_16block_id_wrapperIjLb1EEEEE10hipError_tT1_PNSt15iterator_traitsISK_E10value_typeET2_T3_PNSL_ISQ_E10value_typeET4_T5_PSV_SW_PNS1_23onesweep_lookback_stateEbbT6_jjT7_P12ihipStream_tbENKUlT_T0_SK_SP_E_clIPjSE_SF_SF_EEDaS13_S14_SK_SP_EUlS13_E_NS1_11comp_targetILNS1_3genE5ELNS1_11target_archE942ELNS1_3gpuE9ELNS1_3repE0EEENS1_47radix_sort_onesweep_sort_config_static_selectorELNS0_4arch9wavefront6targetE1EEEvSK_,@function
_ZN7rocprim17ROCPRIM_400000_NS6detail17trampoline_kernelINS0_14default_configENS1_35radix_sort_onesweep_config_selectorIjNS0_10empty_typeEEEZZNS1_29radix_sort_onesweep_iterationIS3_Lb0EN6thrust23THRUST_200600_302600_NS6detail15normal_iteratorINS9_10device_ptrIjEEEESE_PS5_SF_jNS0_19identity_decomposerENS1_16block_id_wrapperIjLb1EEEEE10hipError_tT1_PNSt15iterator_traitsISK_E10value_typeET2_T3_PNSL_ISQ_E10value_typeET4_T5_PSV_SW_PNS1_23onesweep_lookback_stateEbbT6_jjT7_P12ihipStream_tbENKUlT_T0_SK_SP_E_clIPjSE_SF_SF_EEDaS13_S14_SK_SP_EUlS13_E_NS1_11comp_targetILNS1_3genE5ELNS1_11target_archE942ELNS1_3gpuE9ELNS1_3repE0EEENS1_47radix_sort_onesweep_sort_config_static_selectorELNS0_4arch9wavefront6targetE1EEEvSK_: ; @_ZN7rocprim17ROCPRIM_400000_NS6detail17trampoline_kernelINS0_14default_configENS1_35radix_sort_onesweep_config_selectorIjNS0_10empty_typeEEEZZNS1_29radix_sort_onesweep_iterationIS3_Lb0EN6thrust23THRUST_200600_302600_NS6detail15normal_iteratorINS9_10device_ptrIjEEEESE_PS5_SF_jNS0_19identity_decomposerENS1_16block_id_wrapperIjLb1EEEEE10hipError_tT1_PNSt15iterator_traitsISK_E10value_typeET2_T3_PNSL_ISQ_E10value_typeET4_T5_PSV_SW_PNS1_23onesweep_lookback_stateEbbT6_jjT7_P12ihipStream_tbENKUlT_T0_SK_SP_E_clIPjSE_SF_SF_EEDaS13_S14_SK_SP_EUlS13_E_NS1_11comp_targetILNS1_3genE5ELNS1_11target_archE942ELNS1_3gpuE9ELNS1_3repE0EEENS1_47radix_sort_onesweep_sort_config_static_selectorELNS0_4arch9wavefront6targetE1EEEvSK_
; %bb.0:
	s_load_dwordx4 s[20:23], s[0:1], 0x28
	s_load_dwordx2 s[18:19], s[0:1], 0x38
	s_load_dwordx4 s[24:27], s[0:1], 0x44
	v_and_b32_e32 v2, 0x3ff, v0
	v_cmp_eq_u32_e64 s[10:11], 0, v2
	s_and_saveexec_b64 s[4:5], s[10:11]
	s_cbranch_execz .LBB1121_4
; %bb.1:
	s_mov_b64 s[8:9], exec
	v_mbcnt_lo_u32_b32 v1, s8, 0
	v_mbcnt_hi_u32_b32 v1, s9, v1
	v_cmp_eq_u32_e32 vcc, 0, v1
                                        ; implicit-def: $vgpr3
	s_and_saveexec_b64 s[6:7], vcc
	s_cbranch_execz .LBB1121_3
; %bb.2:
	s_load_dwordx2 s[12:13], s[0:1], 0x50
	s_bcnt1_i32_b64 s3, s[8:9]
	v_mov_b32_e32 v3, 0
	v_mov_b32_e32 v4, s3
	s_waitcnt lgkmcnt(0)
	global_atomic_add v3, v3, v4, s[12:13] sc0
.LBB1121_3:
	s_or_b64 exec, exec, s[6:7]
	s_waitcnt vmcnt(0)
	v_readfirstlane_b32 s3, v3
	v_mov_b32_e32 v3, 0
	s_nop 0
	v_add_u32_e32 v1, s3, v1
	ds_write_b32 v3, v1 offset:20544
.LBB1121_4:
	s_or_b64 exec, exec, s[4:5]
	v_mov_b32_e32 v5, 0
	s_load_dwordx4 s[28:31], s[0:1], 0x0
	s_load_dword s3, s[0:1], 0x20
	s_waitcnt lgkmcnt(0)
	s_barrier
	ds_read_b32 v1, v5 offset:20544
	s_waitcnt lgkmcnt(0)
	s_barrier
	v_cmp_le_u32_e32 vcc, s26, v1
	v_readfirstlane_b32 s27, v1
	v_mbcnt_lo_u32_b32 v1, -1, 0
	s_cbranch_vccz .LBB1121_83
; %bb.5:
	s_lshl_b32 s4, s26, 13
	s_sub_i32 s3, s3, s4
	s_lshl_b32 s4, s27, 13
	s_mov_b32 s5, 0
	s_lshl_b64 s[4:5], s[4:5], 2
	v_mbcnt_hi_u32_b32 v8, -1, v1
	s_add_u32 s4, s28, s4
	v_and_b32_e32 v3, 63, v8
	v_lshlrev_b32_e32 v4, 3, v2
	s_addc_u32 s5, s29, s5
	v_and_b32_e32 v9, 0x1e00, v4
	v_lshlrev_b32_e32 v4, 2, v3
	v_lshl_add_u64 v[6:7], s[4:5], 0, v[4:5]
	v_lshlrev_b32_e32 v4, 2, v9
	v_lshl_add_u64 v[4:5], v[6:7], 0, v[4:5]
	v_or_b32_e32 v6, v3, v9
	v_cmp_gt_u32_e32 vcc, s3, v6
	v_mov_b32_e32 v3, -1
	v_mov_b32_e32 v10, -1
	s_and_saveexec_b64 s[4:5], vcc
	s_cbranch_execz .LBB1121_7
; %bb.6:
	global_load_dword v10, v[4:5], off
.LBB1121_7:
	s_or_b64 exec, exec, s[4:5]
	v_or_b32_e32 v7, 64, v6
	v_cmp_gt_u32_e32 vcc, s3, v7
	v_mov_b32_e32 v11, -1
	s_and_saveexec_b64 s[4:5], vcc
	s_cbranch_execz .LBB1121_9
; %bb.8:
	global_load_dword v11, v[4:5], off offset:256
.LBB1121_9:
	s_or_b64 exec, exec, s[4:5]
	v_or_b32_e32 v7, 0x80, v6
	v_cmp_gt_u32_e32 vcc, s3, v7
	s_and_saveexec_b64 s[4:5], vcc
	s_cbranch_execz .LBB1121_11
; %bb.10:
	global_load_dword v3, v[4:5], off offset:512
.LBB1121_11:
	s_or_b64 exec, exec, s[4:5]
	v_or_b32_e32 v7, 0xc0, v6
	v_cmp_gt_u32_e32 vcc, s3, v7
	v_mov_b32_e32 v12, -1
	v_mov_b32_e32 v13, -1
	s_and_saveexec_b64 s[4:5], vcc
	s_cbranch_execz .LBB1121_13
; %bb.12:
	global_load_dword v13, v[4:5], off offset:768
.LBB1121_13:
	s_or_b64 exec, exec, s[4:5]
	v_or_b32_e32 v7, 0x100, v6
	v_cmp_gt_u32_e32 vcc, s3, v7
	s_and_saveexec_b64 s[4:5], vcc
	s_cbranch_execz .LBB1121_15
; %bb.14:
	global_load_dword v12, v[4:5], off offset:1024
.LBB1121_15:
	s_or_b64 exec, exec, s[4:5]
	v_or_b32_e32 v7, 0x140, v6
	v_cmp_gt_u32_e32 vcc, s3, v7
	v_mov_b32_e32 v14, -1
	;; [unrolled: 18-line block ×3, first 2 shown]
	s_and_saveexec_b64 s[4:5], vcc
	s_cbranch_execz .LBB1121_21
; %bb.20:
	global_load_dword v16, v[4:5], off offset:1792
.LBB1121_21:
	s_or_b64 exec, exec, s[4:5]
	s_load_dword s4, s[0:1], 0x64
	s_load_dword s26, s[0:1], 0x58
	s_add_u32 s5, s0, 0x58
	s_addc_u32 s6, s1, 0
	v_mov_b32_e32 v5, 0
	s_waitcnt lgkmcnt(0)
	s_lshr_b32 s7, s4, 16
	s_cmp_lt_u32 s2, s26
	s_cselect_b32 s4, 12, 18
	s_add_u32 s4, s5, s4
	s_addc_u32 s5, s6, 0
	global_load_ushort v17, v5, s[4:5]
	s_lshl_b32 s4, -1, s25
	s_waitcnt vmcnt(1)
	v_lshrrev_b32_e32 v19, s24, v10
	s_not_b32 s33, s4
	v_bfe_u32 v4, v0, 10, 10
	v_bfe_u32 v7, v0, 20, 10
	v_and_b32_e32 v28, s33, v19
	v_mul_u32_u24_e32 v6, 5, v2
	v_mad_u32_u24 v30, v7, s7, v4
	v_and_b32_e32 v4, 1, v28
	v_lshlrev_b32_e32 v7, 30, v28
	v_lshlrev_b32_e32 v9, 2, v6
	v_mov_b32_e32 v6, v5
	v_mov_b32_e32 v20, v5
	v_lshl_add_u32 v32, v28, 4, v28
	v_lshlrev_b32_e32 v19, 29, v28
	v_lshlrev_b32_e32 v21, 28, v28
	;; [unrolled: 1-line block ×6, first 2 shown]
	v_lshl_add_u64 v[28:29], v[4:5], 0, -1
	v_cmp_ne_u32_e32 vcc, 0, v4
	v_not_b32_e32 v4, v7
	v_mov_b32_e32 v18, v5
	v_mov_b32_e32 v22, v5
	v_cmp_gt_i64_e64 s[4:5], 0, v[6:7]
	v_not_b32_e32 v6, v19
	v_cmp_gt_i64_e64 s[8:9], 0, v[20:21]
	v_not_b32_e32 v7, v21
	v_xor_b32_e32 v21, vcc_hi, v29
	v_ashrrev_i32_e32 v4, 31, v4
	v_mov_b32_e32 v24, v5
	v_cmp_gt_i64_e64 s[6:7], 0, v[18:19]
	v_cmp_gt_i64_e64 s[12:13], 0, v[22:23]
	v_not_b32_e32 v18, v23
	v_xor_b32_e32 v22, vcc_lo, v28
	v_ashrrev_i32_e32 v6, 31, v6
	v_and_b32_e32 v21, exec_hi, v21
	v_xor_b32_e32 v23, s5, v4
	v_cmp_gt_i64_e64 s[14:15], 0, v[24:25]
	v_ashrrev_i32_e32 v7, 31, v7
	v_and_b32_e32 v22, exec_lo, v22
	v_xor_b32_e32 v4, s4, v4
	v_xor_b32_e32 v24, s7, v6
	v_and_b32_e32 v21, v21, v23
	v_mov_b32_e32 v26, v5
	v_not_b32_e32 v19, v25
	v_ashrrev_i32_e32 v18, 31, v18
	v_xor_b32_e32 v6, s6, v6
	v_xor_b32_e32 v25, s9, v7
	v_and_b32_e32 v4, v22, v4
	v_and_b32_e32 v21, v21, v24
	v_cmp_gt_i64_e64 s[16:17], 0, v[26:27]
	v_not_b32_e32 v20, v27
	v_ashrrev_i32_e32 v19, 31, v19
	v_xor_b32_e32 v26, s13, v18
	v_and_b32_e32 v4, v4, v6
	v_and_b32_e32 v6, v21, v25
	v_ashrrev_i32_e32 v20, 31, v20
	v_xor_b32_e32 v7, s8, v7
	v_xor_b32_e32 v27, s15, v19
	v_and_b32_e32 v6, v6, v26
	v_xor_b32_e32 v18, s12, v18
	v_xor_b32_e32 v28, s17, v20
	v_and_b32_e32 v4, v4, v7
	v_and_b32_e32 v6, v6, v27
	;; [unrolled: 1-line block ×4, first 2 shown]
	v_xor_b32_e32 v19, s14, v19
	v_xor_b32_e32 v20, s16, v20
	v_and_b32_e32 v4, v4, v19
	v_and_b32_e32 v4, v4, v20
	ds_write2_b32 v9, v5, v5 offset0:16 offset1:17
	ds_write2_b32 v9, v5, v5 offset0:18 offset1:19
	ds_write_b32 v9, v5 offset:80
	s_waitcnt lgkmcnt(0)
	s_barrier
	s_waitcnt lgkmcnt(0)
	; wave barrier
	s_waitcnt vmcnt(0)
	v_mad_u64_u32 v[6:7], s[4:5], v30, v17, v[2:3]
	v_lshrrev_b32_e32 v28, 6, v6
	v_mov_b32_e32 v30, v5
	v_not_b32_e32 v6, v31
	v_cmp_gt_i64_e32 vcc, 0, v[30:31]
	v_ashrrev_i32_e32 v6, 31, v6
	v_add_lshl_u32 v21, v28, v32, 2
	v_xor_b32_e32 v7, vcc_hi, v6
	v_xor_b32_e32 v6, vcc_lo, v6
	v_and_b32_e32 v6, v4, v6
	v_and_b32_e32 v7, v18, v7
	v_mbcnt_lo_u32_b32 v4, v6, 0
	v_mbcnt_hi_u32_b32 v17, v7, v4
	v_cmp_eq_u32_e32 vcc, 0, v17
	v_cmp_ne_u64_e64 s[4:5], 0, v[6:7]
	s_and_b64 s[6:7], s[4:5], vcc
	s_and_saveexec_b64 s[4:5], s[6:7]
	s_cbranch_execz .LBB1121_23
; %bb.22:
	v_bcnt_u32_b32 v4, v6, 0
	v_bcnt_u32_b32 v4, v7, v4
	ds_write_b32 v21, v4 offset:64
.LBB1121_23:
	s_or_b64 exec, exec, s[4:5]
	v_lshrrev_b32_e32 v4, s24, v11
	v_and_b32_e32 v19, s33, v4
	v_lshl_add_u32 v4, v19, 4, v19
	v_add_lshl_u32 v22, v28, v4, 2
	v_and_b32_e32 v4, 1, v19
	v_lshl_add_u64 v[6:7], v[4:5], 0, -1
	v_cmp_ne_u32_e32 vcc, 0, v4
	; wave barrier
	s_nop 1
	v_xor_b32_e32 v6, vcc_lo, v6
	v_xor_b32_e32 v4, vcc_hi, v7
	v_and_b32_e32 v20, exec_lo, v6
	v_lshlrev_b32_e32 v7, 30, v19
	v_mov_b32_e32 v6, v5
	v_cmp_gt_i64_e32 vcc, 0, v[6:7]
	v_not_b32_e32 v6, v7
	v_ashrrev_i32_e32 v6, 31, v6
	v_and_b32_e32 v4, exec_hi, v4
	v_xor_b32_e32 v7, vcc_hi, v6
	v_xor_b32_e32 v6, vcc_lo, v6
	v_and_b32_e32 v4, v4, v7
	v_and_b32_e32 v20, v20, v6
	v_lshlrev_b32_e32 v7, 29, v19
	v_mov_b32_e32 v6, v5
	v_cmp_gt_i64_e32 vcc, 0, v[6:7]
	v_not_b32_e32 v6, v7
	v_ashrrev_i32_e32 v6, 31, v6
	v_xor_b32_e32 v7, vcc_hi, v6
	v_xor_b32_e32 v6, vcc_lo, v6
	v_and_b32_e32 v4, v4, v7
	v_and_b32_e32 v20, v20, v6
	v_lshlrev_b32_e32 v7, 28, v19
	v_mov_b32_e32 v6, v5
	v_cmp_gt_i64_e32 vcc, 0, v[6:7]
	v_not_b32_e32 v6, v7
	v_ashrrev_i32_e32 v6, 31, v6
	;; [unrolled: 9-line block ×5, first 2 shown]
	v_xor_b32_e32 v7, vcc_hi, v6
	v_xor_b32_e32 v6, vcc_lo, v6
	v_and_b32_e32 v4, v4, v7
	v_lshlrev_b32_e32 v7, 24, v19
	v_and_b32_e32 v20, v20, v6
	v_mov_b32_e32 v6, v5
	v_not_b32_e32 v5, v7
	v_cmp_gt_i64_e32 vcc, 0, v[6:7]
	v_ashrrev_i32_e32 v5, 31, v5
	ds_read_b32 v18, v22 offset:64
	v_xor_b32_e32 v6, vcc_hi, v5
	v_xor_b32_e32 v7, vcc_lo, v5
	v_and_b32_e32 v5, v4, v6
	v_and_b32_e32 v4, v20, v7
	v_mbcnt_lo_u32_b32 v6, v4, 0
	v_mbcnt_hi_u32_b32 v19, v5, v6
	v_cmp_eq_u32_e32 vcc, 0, v19
	v_cmp_ne_u64_e64 s[4:5], 0, v[4:5]
	s_and_b64 s[6:7], s[4:5], vcc
	; wave barrier
	s_and_saveexec_b64 s[4:5], s[6:7]
	s_cbranch_execz .LBB1121_25
; %bb.24:
	v_bcnt_u32_b32 v4, v4, 0
	v_bcnt_u32_b32 v4, v5, v4
	s_waitcnt lgkmcnt(0)
	v_add_u32_e32 v4, v18, v4
	ds_write_b32 v22, v4 offset:64
.LBB1121_25:
	s_or_b64 exec, exec, s[4:5]
	v_lshrrev_b32_e32 v4, s24, v3
	v_and_b32_e32 v23, s33, v4
	v_lshl_add_u32 v4, v23, 4, v23
	v_add_lshl_u32 v25, v28, v4, 2
	v_and_b32_e32 v4, 1, v23
	v_mov_b32_e32 v5, 0
	v_lshl_add_u64 v[6:7], v[4:5], 0, -1
	v_cmp_ne_u32_e32 vcc, 0, v4
	; wave barrier
	s_nop 1
	v_xor_b32_e32 v6, vcc_lo, v6
	v_xor_b32_e32 v4, vcc_hi, v7
	v_and_b32_e32 v24, exec_lo, v6
	v_lshlrev_b32_e32 v7, 30, v23
	v_mov_b32_e32 v6, v5
	v_cmp_gt_i64_e32 vcc, 0, v[6:7]
	v_not_b32_e32 v6, v7
	v_ashrrev_i32_e32 v6, 31, v6
	v_and_b32_e32 v4, exec_hi, v4
	v_xor_b32_e32 v7, vcc_hi, v6
	v_xor_b32_e32 v6, vcc_lo, v6
	v_and_b32_e32 v4, v4, v7
	v_and_b32_e32 v24, v24, v6
	v_lshlrev_b32_e32 v7, 29, v23
	v_mov_b32_e32 v6, v5
	v_cmp_gt_i64_e32 vcc, 0, v[6:7]
	v_not_b32_e32 v6, v7
	v_ashrrev_i32_e32 v6, 31, v6
	v_xor_b32_e32 v7, vcc_hi, v6
	v_xor_b32_e32 v6, vcc_lo, v6
	v_and_b32_e32 v4, v4, v7
	v_and_b32_e32 v24, v24, v6
	v_lshlrev_b32_e32 v7, 28, v23
	v_mov_b32_e32 v6, v5
	v_cmp_gt_i64_e32 vcc, 0, v[6:7]
	v_not_b32_e32 v6, v7
	v_ashrrev_i32_e32 v6, 31, v6
	;; [unrolled: 9-line block ×6, first 2 shown]
	v_xor_b32_e32 v7, vcc_hi, v6
	v_xor_b32_e32 v6, vcc_lo, v6
	ds_read_b32 v20, v25 offset:64
	v_and_b32_e32 v6, v24, v6
	v_and_b32_e32 v7, v4, v7
	v_mbcnt_lo_u32_b32 v4, v6, 0
	v_mbcnt_hi_u32_b32 v23, v7, v4
	v_cmp_eq_u32_e32 vcc, 0, v23
	v_cmp_ne_u64_e64 s[4:5], 0, v[6:7]
	s_and_b64 s[6:7], s[4:5], vcc
	; wave barrier
	s_and_saveexec_b64 s[4:5], s[6:7]
	s_cbranch_execz .LBB1121_27
; %bb.26:
	v_bcnt_u32_b32 v4, v6, 0
	v_bcnt_u32_b32 v4, v7, v4
	s_waitcnt lgkmcnt(0)
	v_add_u32_e32 v4, v20, v4
	ds_write_b32 v25, v4 offset:64
.LBB1121_27:
	s_or_b64 exec, exec, s[4:5]
	v_lshrrev_b32_e32 v4, s24, v13
	v_and_b32_e32 v26, s33, v4
	v_lshl_add_u32 v4, v26, 4, v26
	v_add_lshl_u32 v29, v28, v4, 2
	v_and_b32_e32 v4, 1, v26
	v_lshl_add_u64 v[6:7], v[4:5], 0, -1
	v_cmp_ne_u32_e32 vcc, 0, v4
	; wave barrier
	s_nop 1
	v_xor_b32_e32 v6, vcc_lo, v6
	v_xor_b32_e32 v4, vcc_hi, v7
	v_and_b32_e32 v27, exec_lo, v6
	v_lshlrev_b32_e32 v7, 30, v26
	v_mov_b32_e32 v6, v5
	v_cmp_gt_i64_e32 vcc, 0, v[6:7]
	v_not_b32_e32 v6, v7
	v_ashrrev_i32_e32 v6, 31, v6
	v_and_b32_e32 v4, exec_hi, v4
	v_xor_b32_e32 v7, vcc_hi, v6
	v_xor_b32_e32 v6, vcc_lo, v6
	v_and_b32_e32 v4, v4, v7
	v_and_b32_e32 v27, v27, v6
	v_lshlrev_b32_e32 v7, 29, v26
	v_mov_b32_e32 v6, v5
	v_cmp_gt_i64_e32 vcc, 0, v[6:7]
	v_not_b32_e32 v6, v7
	v_ashrrev_i32_e32 v6, 31, v6
	v_xor_b32_e32 v7, vcc_hi, v6
	v_xor_b32_e32 v6, vcc_lo, v6
	v_and_b32_e32 v4, v4, v7
	v_and_b32_e32 v27, v27, v6
	v_lshlrev_b32_e32 v7, 28, v26
	v_mov_b32_e32 v6, v5
	v_cmp_gt_i64_e32 vcc, 0, v[6:7]
	v_not_b32_e32 v6, v7
	v_ashrrev_i32_e32 v6, 31, v6
	;; [unrolled: 9-line block ×5, first 2 shown]
	v_xor_b32_e32 v7, vcc_hi, v6
	v_xor_b32_e32 v6, vcc_lo, v6
	v_and_b32_e32 v4, v4, v7
	v_lshlrev_b32_e32 v7, 24, v26
	v_and_b32_e32 v27, v27, v6
	v_mov_b32_e32 v6, v5
	v_not_b32_e32 v5, v7
	v_cmp_gt_i64_e32 vcc, 0, v[6:7]
	v_ashrrev_i32_e32 v5, 31, v5
	ds_read_b32 v24, v29 offset:64
	v_xor_b32_e32 v6, vcc_hi, v5
	v_xor_b32_e32 v7, vcc_lo, v5
	v_and_b32_e32 v5, v4, v6
	v_and_b32_e32 v4, v27, v7
	v_mbcnt_lo_u32_b32 v6, v4, 0
	v_mbcnt_hi_u32_b32 v26, v5, v6
	v_cmp_eq_u32_e32 vcc, 0, v26
	v_cmp_ne_u64_e64 s[4:5], 0, v[4:5]
	s_and_b64 s[6:7], s[4:5], vcc
	; wave barrier
	s_and_saveexec_b64 s[4:5], s[6:7]
	s_cbranch_execz .LBB1121_29
; %bb.28:
	v_bcnt_u32_b32 v4, v4, 0
	v_bcnt_u32_b32 v4, v5, v4
	s_waitcnt lgkmcnt(0)
	v_add_u32_e32 v4, v24, v4
	ds_write_b32 v29, v4 offset:64
.LBB1121_29:
	s_or_b64 exec, exec, s[4:5]
	v_lshrrev_b32_e32 v4, s24, v12
	v_and_b32_e32 v30, s33, v4
	v_lshl_add_u32 v4, v30, 4, v30
	v_add_lshl_u32 v32, v28, v4, 2
	v_and_b32_e32 v4, 1, v30
	v_mov_b32_e32 v5, 0
	v_lshl_add_u64 v[6:7], v[4:5], 0, -1
	v_cmp_ne_u32_e32 vcc, 0, v4
	; wave barrier
	s_nop 1
	v_xor_b32_e32 v6, vcc_lo, v6
	v_xor_b32_e32 v4, vcc_hi, v7
	v_and_b32_e32 v31, exec_lo, v6
	v_lshlrev_b32_e32 v7, 30, v30
	v_mov_b32_e32 v6, v5
	v_cmp_gt_i64_e32 vcc, 0, v[6:7]
	v_not_b32_e32 v6, v7
	v_ashrrev_i32_e32 v6, 31, v6
	v_and_b32_e32 v4, exec_hi, v4
	v_xor_b32_e32 v7, vcc_hi, v6
	v_xor_b32_e32 v6, vcc_lo, v6
	v_and_b32_e32 v4, v4, v7
	v_and_b32_e32 v31, v31, v6
	v_lshlrev_b32_e32 v7, 29, v30
	v_mov_b32_e32 v6, v5
	v_cmp_gt_i64_e32 vcc, 0, v[6:7]
	v_not_b32_e32 v6, v7
	v_ashrrev_i32_e32 v6, 31, v6
	v_xor_b32_e32 v7, vcc_hi, v6
	v_xor_b32_e32 v6, vcc_lo, v6
	v_and_b32_e32 v4, v4, v7
	v_and_b32_e32 v31, v31, v6
	v_lshlrev_b32_e32 v7, 28, v30
	v_mov_b32_e32 v6, v5
	v_cmp_gt_i64_e32 vcc, 0, v[6:7]
	v_not_b32_e32 v6, v7
	v_ashrrev_i32_e32 v6, 31, v6
	;; [unrolled: 9-line block ×6, first 2 shown]
	v_xor_b32_e32 v7, vcc_hi, v6
	v_xor_b32_e32 v6, vcc_lo, v6
	ds_read_b32 v27, v32 offset:64
	v_and_b32_e32 v6, v31, v6
	v_and_b32_e32 v7, v4, v7
	v_mbcnt_lo_u32_b32 v4, v6, 0
	v_mbcnt_hi_u32_b32 v30, v7, v4
	v_cmp_eq_u32_e32 vcc, 0, v30
	v_cmp_ne_u64_e64 s[4:5], 0, v[6:7]
	s_and_b64 s[6:7], s[4:5], vcc
	; wave barrier
	s_and_saveexec_b64 s[4:5], s[6:7]
	s_cbranch_execz .LBB1121_31
; %bb.30:
	v_bcnt_u32_b32 v4, v6, 0
	v_bcnt_u32_b32 v4, v7, v4
	s_waitcnt lgkmcnt(0)
	v_add_u32_e32 v4, v27, v4
	ds_write_b32 v32, v4 offset:64
.LBB1121_31:
	s_or_b64 exec, exec, s[4:5]
	v_lshrrev_b32_e32 v4, s24, v15
	v_and_b32_e32 v33, s33, v4
	v_lshl_add_u32 v4, v33, 4, v33
	v_add_lshl_u32 v35, v28, v4, 2
	v_and_b32_e32 v4, 1, v33
	v_lshl_add_u64 v[6:7], v[4:5], 0, -1
	v_cmp_ne_u32_e32 vcc, 0, v4
	; wave barrier
	s_nop 1
	v_xor_b32_e32 v6, vcc_lo, v6
	v_xor_b32_e32 v4, vcc_hi, v7
	v_and_b32_e32 v34, exec_lo, v6
	v_lshlrev_b32_e32 v7, 30, v33
	v_mov_b32_e32 v6, v5
	v_cmp_gt_i64_e32 vcc, 0, v[6:7]
	v_not_b32_e32 v6, v7
	v_ashrrev_i32_e32 v6, 31, v6
	v_and_b32_e32 v4, exec_hi, v4
	v_xor_b32_e32 v7, vcc_hi, v6
	v_xor_b32_e32 v6, vcc_lo, v6
	v_and_b32_e32 v4, v4, v7
	v_and_b32_e32 v34, v34, v6
	v_lshlrev_b32_e32 v7, 29, v33
	v_mov_b32_e32 v6, v5
	v_cmp_gt_i64_e32 vcc, 0, v[6:7]
	v_not_b32_e32 v6, v7
	v_ashrrev_i32_e32 v6, 31, v6
	v_xor_b32_e32 v7, vcc_hi, v6
	v_xor_b32_e32 v6, vcc_lo, v6
	v_and_b32_e32 v4, v4, v7
	v_and_b32_e32 v34, v34, v6
	v_lshlrev_b32_e32 v7, 28, v33
	v_mov_b32_e32 v6, v5
	v_cmp_gt_i64_e32 vcc, 0, v[6:7]
	v_not_b32_e32 v6, v7
	v_ashrrev_i32_e32 v6, 31, v6
	;; [unrolled: 9-line block ×5, first 2 shown]
	v_xor_b32_e32 v7, vcc_hi, v6
	v_xor_b32_e32 v6, vcc_lo, v6
	v_and_b32_e32 v4, v4, v7
	v_lshlrev_b32_e32 v7, 24, v33
	v_and_b32_e32 v34, v34, v6
	v_mov_b32_e32 v6, v5
	v_not_b32_e32 v5, v7
	v_cmp_gt_i64_e32 vcc, 0, v[6:7]
	v_ashrrev_i32_e32 v5, 31, v5
	ds_read_b32 v31, v35 offset:64
	v_xor_b32_e32 v6, vcc_hi, v5
	v_xor_b32_e32 v7, vcc_lo, v5
	v_and_b32_e32 v5, v4, v6
	v_and_b32_e32 v4, v34, v7
	v_mbcnt_lo_u32_b32 v6, v4, 0
	v_mbcnt_hi_u32_b32 v33, v5, v6
	v_cmp_eq_u32_e32 vcc, 0, v33
	v_cmp_ne_u64_e64 s[4:5], 0, v[4:5]
	s_and_b64 s[6:7], s[4:5], vcc
	; wave barrier
	s_and_saveexec_b64 s[4:5], s[6:7]
	s_cbranch_execz .LBB1121_33
; %bb.32:
	v_bcnt_u32_b32 v4, v4, 0
	v_bcnt_u32_b32 v4, v5, v4
	s_waitcnt lgkmcnt(0)
	v_add_u32_e32 v4, v31, v4
	ds_write_b32 v35, v4 offset:64
.LBB1121_33:
	s_or_b64 exec, exec, s[4:5]
	v_lshrrev_b32_e32 v4, s24, v14
	v_and_b32_e32 v36, s33, v4
	v_lshl_add_u32 v4, v36, 4, v36
	v_add_lshl_u32 v37, v28, v4, 2
	v_and_b32_e32 v4, 1, v36
	v_mov_b32_e32 v5, 0
	v_lshl_add_u64 v[6:7], v[4:5], 0, -1
	v_cmp_ne_u32_e32 vcc, 0, v4
	; wave barrier
	s_nop 1
	v_xor_b32_e32 v6, vcc_lo, v6
	v_xor_b32_e32 v4, vcc_hi, v7
	v_and_b32_e32 v38, exec_lo, v6
	v_lshlrev_b32_e32 v7, 30, v36
	v_mov_b32_e32 v6, v5
	v_cmp_gt_i64_e32 vcc, 0, v[6:7]
	v_not_b32_e32 v6, v7
	v_ashrrev_i32_e32 v6, 31, v6
	v_and_b32_e32 v4, exec_hi, v4
	v_xor_b32_e32 v7, vcc_hi, v6
	v_xor_b32_e32 v6, vcc_lo, v6
	v_and_b32_e32 v4, v4, v7
	v_and_b32_e32 v38, v38, v6
	v_lshlrev_b32_e32 v7, 29, v36
	v_mov_b32_e32 v6, v5
	v_cmp_gt_i64_e32 vcc, 0, v[6:7]
	v_not_b32_e32 v6, v7
	v_ashrrev_i32_e32 v6, 31, v6
	v_xor_b32_e32 v7, vcc_hi, v6
	v_xor_b32_e32 v6, vcc_lo, v6
	v_and_b32_e32 v4, v4, v7
	v_and_b32_e32 v38, v38, v6
	v_lshlrev_b32_e32 v7, 28, v36
	v_mov_b32_e32 v6, v5
	v_cmp_gt_i64_e32 vcc, 0, v[6:7]
	v_not_b32_e32 v6, v7
	v_ashrrev_i32_e32 v6, 31, v6
	;; [unrolled: 9-line block ×6, first 2 shown]
	v_xor_b32_e32 v7, vcc_hi, v6
	v_xor_b32_e32 v6, vcc_lo, v6
	ds_read_b32 v34, v37 offset:64
	v_and_b32_e32 v6, v38, v6
	v_and_b32_e32 v7, v4, v7
	v_mbcnt_lo_u32_b32 v4, v6, 0
	v_mbcnt_hi_u32_b32 v36, v7, v4
	v_cmp_eq_u32_e32 vcc, 0, v36
	v_cmp_ne_u64_e64 s[4:5], 0, v[6:7]
	s_and_b64 s[6:7], s[4:5], vcc
	; wave barrier
	s_and_saveexec_b64 s[4:5], s[6:7]
	s_cbranch_execz .LBB1121_35
; %bb.34:
	v_bcnt_u32_b32 v4, v6, 0
	v_bcnt_u32_b32 v4, v7, v4
	s_waitcnt lgkmcnt(0)
	v_add_u32_e32 v4, v34, v4
	ds_write_b32 v37, v4 offset:64
.LBB1121_35:
	s_or_b64 exec, exec, s[4:5]
	v_lshrrev_b32_e32 v4, s24, v16
	v_and_b32_e32 v38, s33, v4
	v_lshl_add_u32 v4, v38, 4, v38
	v_add_lshl_u32 v39, v28, v4, 2
	v_and_b32_e32 v4, 1, v38
	v_lshl_add_u64 v[6:7], v[4:5], 0, -1
	v_cmp_ne_u32_e32 vcc, 0, v4
	; wave barrier
	s_nop 1
	v_xor_b32_e32 v6, vcc_lo, v6
	v_xor_b32_e32 v4, vcc_hi, v7
	v_and_b32_e32 v41, exec_lo, v6
	v_lshlrev_b32_e32 v7, 30, v38
	v_mov_b32_e32 v6, v5
	v_cmp_gt_i64_e32 vcc, 0, v[6:7]
	v_not_b32_e32 v6, v7
	v_ashrrev_i32_e32 v6, 31, v6
	v_and_b32_e32 v4, exec_hi, v4
	v_xor_b32_e32 v7, vcc_hi, v6
	v_xor_b32_e32 v6, vcc_lo, v6
	v_and_b32_e32 v4, v4, v7
	v_and_b32_e32 v41, v41, v6
	v_lshlrev_b32_e32 v7, 29, v38
	v_mov_b32_e32 v6, v5
	v_cmp_gt_i64_e32 vcc, 0, v[6:7]
	v_not_b32_e32 v6, v7
	v_ashrrev_i32_e32 v6, 31, v6
	v_xor_b32_e32 v7, vcc_hi, v6
	v_xor_b32_e32 v6, vcc_lo, v6
	v_and_b32_e32 v4, v4, v7
	v_and_b32_e32 v41, v41, v6
	v_lshlrev_b32_e32 v7, 28, v38
	v_mov_b32_e32 v6, v5
	v_cmp_gt_i64_e32 vcc, 0, v[6:7]
	v_not_b32_e32 v6, v7
	v_ashrrev_i32_e32 v6, 31, v6
	;; [unrolled: 9-line block ×5, first 2 shown]
	v_xor_b32_e32 v7, vcc_hi, v6
	v_xor_b32_e32 v6, vcc_lo, v6
	v_and_b32_e32 v4, v4, v7
	v_lshlrev_b32_e32 v7, 24, v38
	v_and_b32_e32 v41, v41, v6
	v_mov_b32_e32 v6, v5
	v_not_b32_e32 v5, v7
	v_cmp_gt_i64_e32 vcc, 0, v[6:7]
	v_ashrrev_i32_e32 v5, 31, v5
	ds_read_b32 v28, v39 offset:64
	v_xor_b32_e32 v6, vcc_hi, v5
	v_xor_b32_e32 v7, vcc_lo, v5
	v_and_b32_e32 v5, v4, v6
	v_and_b32_e32 v4, v41, v7
	v_mbcnt_lo_u32_b32 v6, v4, 0
	v_mbcnt_hi_u32_b32 v38, v5, v6
	v_cmp_eq_u32_e32 vcc, 0, v38
	v_cmp_ne_u64_e64 s[4:5], 0, v[4:5]
	v_add_u32_e32 v40, 64, v9
	s_and_b64 s[6:7], s[4:5], vcc
	; wave barrier
	s_and_saveexec_b64 s[4:5], s[6:7]
	s_cbranch_execz .LBB1121_37
; %bb.36:
	v_bcnt_u32_b32 v4, v4, 0
	v_bcnt_u32_b32 v4, v5, v4
	s_waitcnt lgkmcnt(0)
	v_add_u32_e32 v4, v28, v4
	ds_write_b32 v39, v4 offset:64
.LBB1121_37:
	s_or_b64 exec, exec, s[4:5]
	; wave barrier
	s_waitcnt lgkmcnt(0)
	s_barrier
	ds_read2_b32 v[6:7], v9 offset0:16 offset1:17
	ds_read2_b32 v[4:5], v40 offset0:2 offset1:3
	ds_read_b32 v41, v40 offset:16
	v_cmp_lt_u32_e64 s[12:13], 31, v8
	s_waitcnt lgkmcnt(1)
	v_add3_u32 v42, v7, v6, v4
	s_waitcnt lgkmcnt(0)
	v_add3_u32 v41, v42, v5, v41
	v_and_b32_e32 v42, 15, v8
	v_cmp_eq_u32_e32 vcc, 0, v42
	v_mov_b32_dpp v43, v41 row_shr:1 row_mask:0xf bank_mask:0xf
	v_cmp_lt_u32_e64 s[4:5], 1, v42
	v_cndmask_b32_e64 v43, v43, 0, vcc
	v_add_u32_e32 v41, v43, v41
	v_cmp_lt_u32_e64 s[6:7], 3, v42
	v_cmp_lt_u32_e64 s[8:9], 7, v42
	v_mov_b32_dpp v43, v41 row_shr:2 row_mask:0xf bank_mask:0xf
	v_cndmask_b32_e64 v43, 0, v43, s[4:5]
	v_add_u32_e32 v41, v41, v43
	s_nop 1
	v_mov_b32_dpp v43, v41 row_shr:4 row_mask:0xf bank_mask:0xf
	v_cndmask_b32_e64 v43, 0, v43, s[6:7]
	v_add_u32_e32 v41, v41, v43
	s_nop 1
	v_mov_b32_dpp v43, v41 row_shr:8 row_mask:0xf bank_mask:0xf
	v_cndmask_b32_e64 v42, 0, v43, s[8:9]
	v_add_u32_e32 v41, v41, v42
	v_bfe_i32 v43, v8, 4, 1
	s_nop 0
	v_mov_b32_dpp v42, v41 row_bcast:15 row_mask:0xf bank_mask:0xf
	v_and_b32_e32 v42, v43, v42
	v_add_u32_e32 v41, v41, v42
	v_and_b32_e32 v43, 63, v2
	s_nop 0
	v_mov_b32_dpp v42, v41 row_bcast:31 row_mask:0xf bank_mask:0xf
	v_cndmask_b32_e64 v42, 0, v42, s[12:13]
	v_add_u32_e32 v41, v41, v42
	v_lshrrev_b32_e32 v42, 6, v2
	v_cmp_eq_u32_e64 s[12:13], 63, v43
	s_and_saveexec_b64 s[14:15], s[12:13]
	s_cbranch_execz .LBB1121_39
; %bb.38:
	v_lshlrev_b32_e32 v43, 2, v42
	ds_write_b32 v43, v41
.LBB1121_39:
	s_or_b64 exec, exec, s[14:15]
	v_cmp_gt_u32_e64 s[12:13], 16, v2
	s_waitcnt lgkmcnt(0)
	s_barrier
	s_and_saveexec_b64 s[14:15], s[12:13]
	s_cbranch_execz .LBB1121_41
; %bb.40:
	v_lshlrev_b32_e32 v43, 2, v2
	ds_read_b32 v44, v43
	s_waitcnt lgkmcnt(0)
	s_nop 0
	v_mov_b32_dpp v45, v44 row_shr:1 row_mask:0xf bank_mask:0xf
	v_cndmask_b32_e64 v45, v45, 0, vcc
	v_add_u32_e32 v44, v45, v44
	s_nop 1
	v_mov_b32_dpp v45, v44 row_shr:2 row_mask:0xf bank_mask:0xf
	v_cndmask_b32_e64 v45, 0, v45, s[4:5]
	v_add_u32_e32 v44, v44, v45
	s_nop 1
	v_mov_b32_dpp v45, v44 row_shr:4 row_mask:0xf bank_mask:0xf
	v_cndmask_b32_e64 v45, 0, v45, s[6:7]
	;; [unrolled: 4-line block ×3, first 2 shown]
	v_add_u32_e32 v44, v44, v45
	ds_write_b32 v43, v44
.LBB1121_41:
	s_or_b64 exec, exec, s[14:15]
	v_cmp_lt_u32_e32 vcc, 63, v2
	v_mov_b32_e32 v43, 0
	s_waitcnt lgkmcnt(0)
	s_barrier
	s_and_saveexec_b64 s[4:5], vcc
	s_cbranch_execz .LBB1121_43
; %bb.42:
	v_lshl_add_u32 v42, v42, 2, -4
	ds_read_b32 v43, v42
.LBB1121_43:
	s_or_b64 exec, exec, s[4:5]
	v_add_u32_e32 v42, -1, v8
	v_and_b32_e32 v44, 64, v8
	v_cmp_lt_i32_e32 vcc, v42, v44
	s_waitcnt lgkmcnt(0)
	v_add_u32_e32 v41, v43, v41
	s_movk_i32 s4, 0x100
	v_cndmask_b32_e32 v42, v42, v8, vcc
	v_lshlrev_b32_e32 v42, 2, v42
	ds_bpermute_b32 v41, v42, v41
	v_cmp_eq_u32_e32 vcc, 0, v8
	v_cmp_gt_u32_e64 s[4:5], s4, v2
	s_waitcnt lgkmcnt(0)
	v_cndmask_b32_e32 v8, v41, v43, vcc
	v_cndmask_b32_e64 v8, v8, 0, s[10:11]
	v_add_u32_e32 v6, v8, v6
	v_add_u32_e32 v7, v6, v7
	;; [unrolled: 1-line block ×4, first 2 shown]
	ds_write2_b32 v9, v8, v6 offset0:16 offset1:17
	ds_write2_b32 v40, v7, v4 offset0:2 offset1:3
	ds_write_b32 v40, v5 offset:16
	s_waitcnt lgkmcnt(0)
	s_barrier
	ds_read_b32 v40, v21 offset:64
	ds_read_b32 v41, v22 offset:64
	;; [unrolled: 1-line block ×8, first 2 shown]
                                        ; implicit-def: $vgpr21
                                        ; implicit-def: $vgpr22
	s_and_saveexec_b64 s[6:7], s[4:5]
	s_cbranch_execz .LBB1121_47
; %bb.44:
	v_mul_u32_u24_e32 v4, 17, v2
	v_lshlrev_b32_e32 v5, 2, v4
	ds_read_b32 v21, v5 offset:64
	s_movk_i32 s8, 0xff
	v_cmp_ne_u32_e32 vcc, s8, v2
	v_mov_b32_e32 v4, 0x2000
	s_and_saveexec_b64 s[8:9], vcc
	s_cbranch_execz .LBB1121_46
; %bb.45:
	ds_read_b32 v4, v5 offset:132
.LBB1121_46:
	s_or_b64 exec, exec, s[8:9]
	s_waitcnt lgkmcnt(0)
	v_sub_u32_e32 v22, v4, v21
.LBB1121_47:
	s_or_b64 exec, exec, s[6:7]
	s_waitcnt lgkmcnt(0)
	s_barrier
	s_and_saveexec_b64 s[6:7], s[4:5]
	s_cbranch_execz .LBB1121_57
; %bb.48:
	v_lshl_or_b32 v6, s27, 8, v2
	v_mov_b32_e32 v7, 0
	v_lshl_add_u64 v[4:5], v[6:7], 2, s[18:19]
	v_or_b32_e32 v6, 2.0, v22
	s_mov_b64 s[8:9], 0
	s_brev_b32 s16, 1
	s_mov_b32 s17, s27
	v_mov_b32_e32 v42, 0
	global_store_dword v[4:5], v6, off sc1
                                        ; implicit-def: $sgpr12_sgpr13
	s_branch .LBB1121_50
.LBB1121_49:                            ;   in Loop: Header=BB1121_50 Depth=1
	s_or_b64 exec, exec, s[12:13]
	v_and_b32_e32 v8, 0x3fffffff, v43
	v_add_u32_e32 v42, v8, v42
	v_cmp_eq_u32_e64 s[12:13], s16, v6
	s_and_b64 s[14:15], exec, s[12:13]
	s_or_b64 s[8:9], s[14:15], s[8:9]
	s_andn2_b64 exec, exec, s[8:9]
	s_cbranch_execz .LBB1121_56
.LBB1121_50:                            ; =>This Loop Header: Depth=1
                                        ;     Child Loop BB1121_53 Depth 2
	s_or_b64 s[12:13], s[12:13], exec
	s_cmp_eq_u32 s17, 0
	s_cbranch_scc1 .LBB1121_55
; %bb.51:                               ;   in Loop: Header=BB1121_50 Depth=1
	s_add_i32 s17, s17, -1
	v_lshl_or_b32 v6, s17, 8, v2
	v_lshl_add_u64 v[8:9], v[6:7], 2, s[18:19]
	global_load_dword v43, v[8:9], off sc1
	s_waitcnt vmcnt(0)
	v_and_b32_e32 v6, -2.0, v43
	v_cmp_eq_u32_e32 vcc, 0, v6
	s_and_saveexec_b64 s[12:13], vcc
	s_cbranch_execz .LBB1121_49
; %bb.52:                               ;   in Loop: Header=BB1121_50 Depth=1
	s_mov_b64 s[14:15], 0
.LBB1121_53:                            ;   Parent Loop BB1121_50 Depth=1
                                        ; =>  This Inner Loop Header: Depth=2
	global_load_dword v43, v[8:9], off sc1
	s_waitcnt vmcnt(0)
	v_and_b32_e32 v6, -2.0, v43
	v_cmp_ne_u32_e32 vcc, 0, v6
	s_or_b64 s[14:15], vcc, s[14:15]
	s_andn2_b64 exec, exec, s[14:15]
	s_cbranch_execnz .LBB1121_53
; %bb.54:                               ;   in Loop: Header=BB1121_50 Depth=1
	s_or_b64 exec, exec, s[14:15]
	s_branch .LBB1121_49
.LBB1121_55:                            ;   in Loop: Header=BB1121_50 Depth=1
                                        ; implicit-def: $sgpr17
	s_and_b64 s[14:15], exec, s[12:13]
	s_or_b64 s[8:9], s[14:15], s[8:9]
	s_andn2_b64 exec, exec, s[8:9]
	s_cbranch_execnz .LBB1121_50
.LBB1121_56:
	s_or_b64 exec, exec, s[8:9]
	v_add_u32_e32 v6, v42, v22
	v_or_b32_e32 v6, 0x80000000, v6
	global_store_dword v[4:5], v6, off sc1
	v_lshlrev_b32_e32 v4, 2, v2
	global_load_dword v5, v4, s[20:21]
	v_sub_u32_e32 v6, v42, v21
	s_waitcnt vmcnt(0)
	v_add_u32_e32 v5, v6, v5
	ds_write_b32 v4, v5
.LBB1121_57:
	s_or_b64 exec, exec, s[6:7]
	v_add_u32_e32 v6, v40, v17
	v_add3_u32 v7, v19, v18, v41
	v_add3_u32 v8, v23, v20, v25
	;; [unrolled: 1-line block ×7, first 2 shown]
	v_lshlrev_b32_e32 v23, 2, v2
	s_movk_i32 s12, 0x400
	v_add_u32_e32 v24, 0x400, v23
	v_lshlrev_b32_e32 v25, 2, v20
	v_lshlrev_b32_e32 v26, 2, v19
	v_lshlrev_b32_e32 v27, 2, v18
	v_lshlrev_b32_e32 v28, 2, v17
	v_lshlrev_b32_e32 v29, 2, v9
	v_lshlrev_b32_e32 v30, 2, v8
	v_lshlrev_b32_e32 v31, 2, v7
	v_lshlrev_b32_e32 v32, 2, v6
	s_mov_b64 s[6:7], -1
	s_mov_b32 s13, 0
	s_movk_i32 s14, 0x1000
	v_mov_b32_e32 v5, 0
	s_movk_i32 s15, 0x800
	s_movk_i32 s16, 0xc00
	v_mov_b32_e32 v33, v2
	s_branch .LBB1121_59
.LBB1121_58:                            ;   in Loop: Header=BB1121_59 Depth=1
	s_or_b64 exec, exec, s[8:9]
	s_xor_b64 s[8:9], s[6:7], -1
	s_addk_i32 s13, 0xc000
	v_add_u32_e32 v20, 0xfffff000, v20
	v_add_u32_e32 v19, 0xfffff000, v19
	;; [unrolled: 1-line block ×9, first 2 shown]
	s_mov_b64 s[6:7], 0
	s_and_b64 vcc, exec, s[8:9]
	s_barrier
	s_cbranch_vccnz .LBB1121_84
.LBB1121_59:                            ; =>This Inner Loop Header: Depth=1
	v_cmp_gt_u32_e32 vcc, s14, v6
	s_and_saveexec_b64 s[8:9], vcc
	s_cbranch_execnz .LBB1121_76
; %bb.60:                               ;   in Loop: Header=BB1121_59 Depth=1
	s_or_b64 exec, exec, s[8:9]
	v_cmp_gt_u32_e32 vcc, s14, v7
	s_and_saveexec_b64 s[8:9], vcc
	s_cbranch_execnz .LBB1121_77
.LBB1121_61:                            ;   in Loop: Header=BB1121_59 Depth=1
	s_or_b64 exec, exec, s[8:9]
	v_cmp_gt_u32_e32 vcc, s14, v8
	s_and_saveexec_b64 s[8:9], vcc
	s_cbranch_execnz .LBB1121_78
.LBB1121_62:                            ;   in Loop: Header=BB1121_59 Depth=1
	s_or_b64 exec, exec, s[8:9]
	v_cmp_gt_u32_e32 vcc, s14, v9
	s_and_saveexec_b64 s[8:9], vcc
	s_cbranch_execnz .LBB1121_79
.LBB1121_63:                            ;   in Loop: Header=BB1121_59 Depth=1
	s_or_b64 exec, exec, s[8:9]
	v_cmp_gt_u32_e32 vcc, s14, v17
	s_and_saveexec_b64 s[8:9], vcc
	s_cbranch_execnz .LBB1121_80
.LBB1121_64:                            ;   in Loop: Header=BB1121_59 Depth=1
	s_or_b64 exec, exec, s[8:9]
	v_cmp_gt_u32_e32 vcc, s14, v18
	s_and_saveexec_b64 s[8:9], vcc
	s_cbranch_execnz .LBB1121_81
.LBB1121_65:                            ;   in Loop: Header=BB1121_59 Depth=1
	s_or_b64 exec, exec, s[8:9]
	v_cmp_gt_u32_e32 vcc, s14, v19
	s_and_saveexec_b64 s[8:9], vcc
	s_cbranch_execnz .LBB1121_82
.LBB1121_66:                            ;   in Loop: Header=BB1121_59 Depth=1
	s_or_b64 exec, exec, s[8:9]
	v_cmp_gt_u32_e32 vcc, s14, v20
	s_and_saveexec_b64 s[8:9], vcc
	s_cbranch_execz .LBB1121_68
.LBB1121_67:                            ;   in Loop: Header=BB1121_59 Depth=1
	v_add_u32_e32 v4, s13, v25
	ds_write_b32 v4, v16 offset:1024
.LBB1121_68:                            ;   in Loop: Header=BB1121_59 Depth=1
	s_or_b64 exec, exec, s[8:9]
	v_cmp_gt_u32_e32 vcc, s3, v33
	s_waitcnt lgkmcnt(0)
	s_barrier
	s_and_saveexec_b64 s[8:9], vcc
	s_cbranch_execz .LBB1121_70
; %bb.69:                               ;   in Loop: Header=BB1121_59 Depth=1
	ds_read_b32 v36, v23 offset:1024
	s_waitcnt lgkmcnt(0)
	v_lshrrev_b32_e32 v4, s24, v36
	v_and_b32_e32 v4, s33, v4
	v_lshlrev_b32_e32 v4, 2, v4
	ds_read_b32 v4, v4
	s_waitcnt lgkmcnt(0)
	v_add_u32_e32 v4, v33, v4
	v_lshl_add_u64 v[34:35], v[4:5], 2, s[30:31]
	global_store_dword v[34:35], v36, off
.LBB1121_70:                            ;   in Loop: Header=BB1121_59 Depth=1
	s_or_b64 exec, exec, s[8:9]
	v_add_u32_e32 v4, 0x400, v33
	v_cmp_gt_u32_e32 vcc, s3, v4
	s_and_saveexec_b64 s[8:9], vcc
	s_cbranch_execz .LBB1121_72
; %bb.71:                               ;   in Loop: Header=BB1121_59 Depth=1
	ds_read_b32 v36, v24 offset:4096
	s_waitcnt lgkmcnt(0)
	v_lshrrev_b32_e32 v4, s24, v36
	v_and_b32_e32 v4, s33, v4
	v_lshlrev_b32_e32 v4, 2, v4
	ds_read_b32 v4, v4
	s_waitcnt lgkmcnt(0)
	v_add3_u32 v4, v33, v4, s12
	v_lshl_add_u64 v[34:35], v[4:5], 2, s[30:31]
	global_store_dword v[34:35], v36, off
.LBB1121_72:                            ;   in Loop: Header=BB1121_59 Depth=1
	s_or_b64 exec, exec, s[8:9]
	v_add_u32_e32 v4, 0x800, v33
	v_cmp_gt_u32_e32 vcc, s3, v4
	s_and_saveexec_b64 s[8:9], vcc
	s_cbranch_execz .LBB1121_74
; %bb.73:                               ;   in Loop: Header=BB1121_59 Depth=1
	ds_read_b32 v36, v24 offset:8192
	s_waitcnt lgkmcnt(0)
	v_lshrrev_b32_e32 v4, s24, v36
	v_and_b32_e32 v4, s33, v4
	v_lshlrev_b32_e32 v4, 2, v4
	ds_read_b32 v4, v4
	s_waitcnt lgkmcnt(0)
	v_add3_u32 v4, v33, v4, s15
	v_lshl_add_u64 v[34:35], v[4:5], 2, s[30:31]
	global_store_dword v[34:35], v36, off
.LBB1121_74:                            ;   in Loop: Header=BB1121_59 Depth=1
	s_or_b64 exec, exec, s[8:9]
	v_add_u32_e32 v4, 0xc00, v33
	v_cmp_gt_u32_e32 vcc, s3, v4
	s_and_saveexec_b64 s[8:9], vcc
	s_cbranch_execz .LBB1121_58
; %bb.75:                               ;   in Loop: Header=BB1121_59 Depth=1
	ds_read_b32 v36, v24 offset:12288
	s_waitcnt lgkmcnt(0)
	v_lshrrev_b32_e32 v4, s24, v36
	v_and_b32_e32 v4, s33, v4
	v_lshlrev_b32_e32 v4, 2, v4
	ds_read_b32 v4, v4
	s_waitcnt lgkmcnt(0)
	v_add3_u32 v4, v33, v4, s16
	v_lshl_add_u64 v[34:35], v[4:5], 2, s[30:31]
	global_store_dword v[34:35], v36, off
	s_branch .LBB1121_58
.LBB1121_76:                            ;   in Loop: Header=BB1121_59 Depth=1
	v_add_u32_e32 v4, s13, v32
	ds_write_b32 v4, v10 offset:1024
	s_or_b64 exec, exec, s[8:9]
	v_cmp_gt_u32_e32 vcc, s14, v7
	s_and_saveexec_b64 s[8:9], vcc
	s_cbranch_execz .LBB1121_61
.LBB1121_77:                            ;   in Loop: Header=BB1121_59 Depth=1
	v_add_u32_e32 v4, s13, v31
	ds_write_b32 v4, v11 offset:1024
	s_or_b64 exec, exec, s[8:9]
	v_cmp_gt_u32_e32 vcc, s14, v8
	s_and_saveexec_b64 s[8:9], vcc
	s_cbranch_execz .LBB1121_62
.LBB1121_78:                            ;   in Loop: Header=BB1121_59 Depth=1
	v_add_u32_e32 v4, s13, v30
	ds_write_b32 v4, v3 offset:1024
	s_or_b64 exec, exec, s[8:9]
	v_cmp_gt_u32_e32 vcc, s14, v9
	s_and_saveexec_b64 s[8:9], vcc
	s_cbranch_execz .LBB1121_63
.LBB1121_79:                            ;   in Loop: Header=BB1121_59 Depth=1
	v_add_u32_e32 v4, s13, v29
	ds_write_b32 v4, v13 offset:1024
	s_or_b64 exec, exec, s[8:9]
	v_cmp_gt_u32_e32 vcc, s14, v17
	s_and_saveexec_b64 s[8:9], vcc
	s_cbranch_execz .LBB1121_64
.LBB1121_80:                            ;   in Loop: Header=BB1121_59 Depth=1
	v_add_u32_e32 v4, s13, v28
	ds_write_b32 v4, v12 offset:1024
	s_or_b64 exec, exec, s[8:9]
	v_cmp_gt_u32_e32 vcc, s14, v18
	s_and_saveexec_b64 s[8:9], vcc
	s_cbranch_execz .LBB1121_65
.LBB1121_81:                            ;   in Loop: Header=BB1121_59 Depth=1
	v_add_u32_e32 v4, s13, v27
	ds_write_b32 v4, v15 offset:1024
	s_or_b64 exec, exec, s[8:9]
	v_cmp_gt_u32_e32 vcc, s14, v19
	s_and_saveexec_b64 s[8:9], vcc
	s_cbranch_execz .LBB1121_66
.LBB1121_82:                            ;   in Loop: Header=BB1121_59 Depth=1
	v_add_u32_e32 v4, s13, v26
	ds_write_b32 v4, v14 offset:1024
	s_or_b64 exec, exec, s[8:9]
	v_cmp_gt_u32_e32 vcc, s14, v20
	s_and_saveexec_b64 s[8:9], vcc
	s_cbranch_execnz .LBB1121_67
	s_branch .LBB1121_68
.LBB1121_83:
	s_mov_b64 s[8:9], 0
                                        ; implicit-def: $vgpr3
	s_cbranch_execnz .LBB1121_87
	s_branch .LBB1121_144
.LBB1121_84:
	s_add_i32 s26, s26, -1
	s_cmp_eq_u32 s26, s27
	s_cselect_b64 s[6:7], -1, 0
	s_and_b64 s[6:7], s[4:5], s[6:7]
	s_mov_b64 s[4:5], 0
	s_mov_b64 s[8:9], 0
                                        ; implicit-def: $vgpr3
	s_and_saveexec_b64 s[12:13], s[6:7]
	s_xor_b64 s[6:7], exec, s[12:13]
; %bb.85:
	s_mov_b64 s[8:9], exec
	v_add_u32_e32 v3, v21, v22
; %bb.86:
	s_or_b64 exec, exec, s[6:7]
	s_and_b64 vcc, exec, s[4:5]
	s_cbranch_vccz .LBB1121_144
.LBB1121_87:
	s_lshl_b32 s4, s27, 13
	s_mov_b32 s5, 0
	s_lshl_b64 s[4:5], s[4:5], 2
	v_mbcnt_hi_u32_b32 v6, -1, v1
	s_add_u32 s4, s28, s4
	v_and_b32_e32 v1, 63, v6
	s_addc_u32 s5, s29, s5
	v_mov_b32_e32 v5, 0
	v_lshlrev_b32_e32 v4, 2, v1
	v_lshlrev_b32_e32 v1, 5, v2
	v_lshl_add_u64 v[8:9], s[4:5], 0, v[4:5]
	v_and_b32_e32 v4, 0x7800, v1
	v_lshl_add_u64 v[16:17], v[8:9], 0, v[4:5]
	global_load_dword v3, v[16:17], off
	s_load_dword s3, s[0:1], 0x64
	s_load_dword s14, s[0:1], 0x58
	s_add_u32 s0, s0, 0x58
	s_addc_u32 s1, s1, 0
	v_bfe_u32 v1, v0, 10, 10
	s_waitcnt lgkmcnt(0)
	s_lshr_b32 s3, s3, 16
	s_cmp_lt_u32 s2, s14
	s_cselect_b32 s2, 12, 18
	s_add_u32 s0, s0, s2
	s_addc_u32 s1, s1, 0
	global_load_ushort v15, v5, s[0:1]
	v_bfe_u32 v4, v0, 20, 10
	v_mul_u32_u24_e32 v0, 5, v2
	v_lshlrev_b32_e32 v7, 2, v0
	ds_write2_b32 v7, v5, v5 offset0:16 offset1:17
	ds_write2_b32 v7, v5, v5 offset0:18 offset1:19
	ds_write_b32 v7, v5 offset:80
	global_load_dword v8, v[16:17], off offset:256
	global_load_dword v9, v[16:17], off offset:512
	;; [unrolled: 1-line block ×7, first 2 shown]
	s_lshl_b32 s0, -1, s25
	v_mad_u32_u24 v24, v4, s3, v1
	s_not_b32 s15, s0
	v_mov_b32_e32 v0, v5
	v_mov_b32_e32 v18, v5
	;; [unrolled: 1-line block ×5, first 2 shown]
	s_waitcnt lgkmcnt(0)
	s_barrier
	s_waitcnt lgkmcnt(0)
	; wave barrier
	s_waitcnt vmcnt(8)
	v_lshrrev_b32_e32 v1, s24, v3
	v_and_b32_e32 v28, s15, v1
	v_and_b32_e32 v4, 1, v28
	v_lshlrev_b32_e32 v1, 30, v28
	v_lshlrev_b32_e32 v19, 29, v28
	v_lshl_add_u64 v[16:17], v[4:5], 0, -1
	v_cmp_ne_u32_e32 vcc, 0, v4
	v_cmp_gt_i64_e64 s[0:1], 0, v[0:1]
	v_not_b32_e32 v4, v1
	v_lshlrev_b32_e32 v21, 28, v28
	s_waitcnt vmcnt(7)
	v_mad_u64_u32 v[0:1], s[12:13], v24, v15, v[2:3]
	v_lshlrev_b32_e32 v23, 27, v28
	v_cmp_gt_i64_e64 s[2:3], 0, v[18:19]
	v_not_b32_e32 v18, v19
	v_xor_b32_e32 v1, vcc_hi, v17
	v_xor_b32_e32 v15, vcc_lo, v16
	v_ashrrev_i32_e32 v4, 31, v4
	v_cmp_gt_i64_e64 s[4:5], 0, v[20:21]
	v_not_b32_e32 v19, v21
	v_not_b32_e32 v20, v23
	v_ashrrev_i32_e32 v16, 31, v18
	v_lshrrev_b32_e32 v25, 6, v0
	v_and_b32_e32 v0, exec_hi, v1
	v_and_b32_e32 v1, exec_lo, v15
	v_xor_b32_e32 v15, s1, v4
	v_xor_b32_e32 v4, s0, v4
	v_lshlrev_b32_e32 v27, 26, v28
	v_ashrrev_i32_e32 v17, 31, v19
	v_ashrrev_i32_e32 v18, 31, v20
	v_xor_b32_e32 v20, s3, v16
	v_xor_b32_e32 v16, s2, v16
	v_and_b32_e32 v0, v0, v15
	v_and_b32_e32 v1, v1, v4
	v_cmp_gt_i64_e64 s[6:7], 0, v[22:23]
	v_xor_b32_e32 v21, s5, v17
	v_xor_b32_e32 v17, s4, v17
	v_and_b32_e32 v0, v0, v20
	v_and_b32_e32 v1, v1, v16
	v_not_b32_e32 v4, v27
	v_xor_b32_e32 v22, s7, v18
	v_xor_b32_e32 v18, s6, v18
	v_and_b32_e32 v0, v0, v21
	v_and_b32_e32 v1, v1, v17
	v_cmp_gt_i64_e32 vcc, 0, v[26:27]
	v_ashrrev_i32_e32 v4, 31, v4
	v_and_b32_e32 v0, v0, v22
	v_and_b32_e32 v1, v1, v18
	v_xor_b32_e32 v15, vcc_hi, v4
	v_xor_b32_e32 v4, vcc_lo, v4
	v_and_b32_e32 v15, v0, v15
	v_and_b32_e32 v4, v1, v4
	v_lshlrev_b32_e32 v1, 25, v28
	v_mov_b32_e32 v0, v5
	v_cmp_gt_i64_e32 vcc, 0, v[0:1]
	v_not_b32_e32 v0, v1
	v_ashrrev_i32_e32 v0, 31, v0
	v_xor_b32_e32 v1, vcc_hi, v0
	v_xor_b32_e32 v0, vcc_lo, v0
	v_and_b32_e32 v15, v15, v1
	v_and_b32_e32 v4, v4, v0
	v_lshlrev_b32_e32 v1, 24, v28
	v_mov_b32_e32 v0, v5
	v_cmp_gt_i64_e32 vcc, 0, v[0:1]
	v_not_b32_e32 v0, v1
	v_ashrrev_i32_e32 v0, 31, v0
	v_xor_b32_e32 v1, vcc_hi, v0
	v_xor_b32_e32 v0, vcc_lo, v0
	v_and_b32_e32 v0, v4, v0
	v_and_b32_e32 v1, v15, v1
	v_mbcnt_lo_u32_b32 v4, v0, 0
	v_mbcnt_hi_u32_b32 v15, v1, v4
	v_lshl_add_u32 v29, v28, 4, v28
	v_cmp_eq_u32_e32 vcc, 0, v15
	v_cmp_ne_u64_e64 s[0:1], 0, v[0:1]
	v_add_lshl_u32 v19, v25, v29, 2
	s_and_b64 s[2:3], s[0:1], vcc
	s_and_saveexec_b64 s[0:1], s[2:3]
	s_cbranch_execz .LBB1121_89
; %bb.88:
	v_bcnt_u32_b32 v0, v0, 0
	v_bcnt_u32_b32 v0, v1, v0
	ds_write_b32 v19, v0 offset:64
.LBB1121_89:
	s_or_b64 exec, exec, s[0:1]
	s_waitcnt vmcnt(6)
	v_lshrrev_b32_e32 v0, s24, v8
	v_and_b32_e32 v17, s15, v0
	v_lshl_add_u32 v0, v17, 4, v17
	v_and_b32_e32 v4, 1, v17
	v_add_lshl_u32 v20, v25, v0, 2
	v_lshl_add_u64 v[0:1], v[4:5], 0, -1
	v_cmp_ne_u32_e32 vcc, 0, v4
	; wave barrier
	s_nop 1
	v_xor_b32_e32 v1, vcc_hi, v1
	v_xor_b32_e32 v0, vcc_lo, v0
	v_and_b32_e32 v4, exec_hi, v1
	v_and_b32_e32 v18, exec_lo, v0
	v_lshlrev_b32_e32 v1, 30, v17
	v_mov_b32_e32 v0, v5
	v_cmp_gt_i64_e32 vcc, 0, v[0:1]
	v_not_b32_e32 v0, v1
	v_ashrrev_i32_e32 v0, 31, v0
	v_xor_b32_e32 v1, vcc_hi, v0
	v_xor_b32_e32 v0, vcc_lo, v0
	v_and_b32_e32 v4, v4, v1
	v_and_b32_e32 v18, v18, v0
	v_lshlrev_b32_e32 v1, 29, v17
	v_mov_b32_e32 v0, v5
	v_cmp_gt_i64_e32 vcc, 0, v[0:1]
	v_not_b32_e32 v0, v1
	v_ashrrev_i32_e32 v0, 31, v0
	v_xor_b32_e32 v1, vcc_hi, v0
	v_xor_b32_e32 v0, vcc_lo, v0
	v_and_b32_e32 v4, v4, v1
	v_and_b32_e32 v18, v18, v0
	;; [unrolled: 9-line block ×6, first 2 shown]
	v_lshlrev_b32_e32 v1, 24, v17
	v_mov_b32_e32 v0, v5
	v_cmp_gt_i64_e32 vcc, 0, v[0:1]
	v_not_b32_e32 v0, v1
	v_ashrrev_i32_e32 v0, 31, v0
	v_xor_b32_e32 v1, vcc_hi, v0
	v_xor_b32_e32 v0, vcc_lo, v0
	ds_read_b32 v16, v20 offset:64
	v_and_b32_e32 v0, v18, v0
	v_and_b32_e32 v1, v4, v1
	v_mbcnt_lo_u32_b32 v4, v0, 0
	v_mbcnt_hi_u32_b32 v17, v1, v4
	v_cmp_eq_u32_e32 vcc, 0, v17
	v_cmp_ne_u64_e64 s[0:1], 0, v[0:1]
	s_and_b64 s[2:3], s[0:1], vcc
	; wave barrier
	s_and_saveexec_b64 s[0:1], s[2:3]
	s_cbranch_execz .LBB1121_91
; %bb.90:
	v_bcnt_u32_b32 v0, v0, 0
	v_bcnt_u32_b32 v0, v1, v0
	s_waitcnt lgkmcnt(0)
	v_add_u32_e32 v0, v16, v0
	ds_write_b32 v20, v0 offset:64
.LBB1121_91:
	s_or_b64 exec, exec, s[0:1]
	s_waitcnt vmcnt(5)
	v_lshrrev_b32_e32 v0, s24, v9
	v_and_b32_e32 v21, s15, v0
	v_lshl_add_u32 v0, v21, 4, v21
	v_add_lshl_u32 v23, v25, v0, 2
	v_and_b32_e32 v0, 1, v21
	v_mov_b32_e32 v1, 0
	v_lshl_add_u64 v[4:5], v[0:1], 0, -1
	v_cmp_ne_u32_e32 vcc, 0, v0
	; wave barrier
	s_nop 1
	v_xor_b32_e32 v4, vcc_lo, v4
	v_xor_b32_e32 v0, vcc_hi, v5
	v_and_b32_e32 v22, exec_lo, v4
	v_lshlrev_b32_e32 v5, 30, v21
	v_mov_b32_e32 v4, v1
	v_cmp_gt_i64_e32 vcc, 0, v[4:5]
	v_not_b32_e32 v4, v5
	v_ashrrev_i32_e32 v4, 31, v4
	v_and_b32_e32 v0, exec_hi, v0
	v_xor_b32_e32 v5, vcc_hi, v4
	v_xor_b32_e32 v4, vcc_lo, v4
	v_and_b32_e32 v0, v0, v5
	v_and_b32_e32 v22, v22, v4
	v_lshlrev_b32_e32 v5, 29, v21
	v_mov_b32_e32 v4, v1
	v_cmp_gt_i64_e32 vcc, 0, v[4:5]
	v_not_b32_e32 v4, v5
	v_ashrrev_i32_e32 v4, 31, v4
	v_xor_b32_e32 v5, vcc_hi, v4
	v_xor_b32_e32 v4, vcc_lo, v4
	v_and_b32_e32 v0, v0, v5
	v_and_b32_e32 v22, v22, v4
	v_lshlrev_b32_e32 v5, 28, v21
	v_mov_b32_e32 v4, v1
	v_cmp_gt_i64_e32 vcc, 0, v[4:5]
	v_not_b32_e32 v4, v5
	v_ashrrev_i32_e32 v4, 31, v4
	v_xor_b32_e32 v5, vcc_hi, v4
	v_xor_b32_e32 v4, vcc_lo, v4
	v_and_b32_e32 v0, v0, v5
	v_and_b32_e32 v22, v22, v4
	v_lshlrev_b32_e32 v5, 27, v21
	v_mov_b32_e32 v4, v1
	v_cmp_gt_i64_e32 vcc, 0, v[4:5]
	v_not_b32_e32 v4, v5
	v_ashrrev_i32_e32 v4, 31, v4
	v_xor_b32_e32 v5, vcc_hi, v4
	v_xor_b32_e32 v4, vcc_lo, v4
	v_and_b32_e32 v0, v0, v5
	v_and_b32_e32 v22, v22, v4
	v_lshlrev_b32_e32 v5, 26, v21
	v_mov_b32_e32 v4, v1
	v_cmp_gt_i64_e32 vcc, 0, v[4:5]
	v_not_b32_e32 v4, v5
	v_ashrrev_i32_e32 v4, 31, v4
	v_xor_b32_e32 v5, vcc_hi, v4
	v_xor_b32_e32 v4, vcc_lo, v4
	v_and_b32_e32 v0, v0, v5
	v_and_b32_e32 v22, v22, v4
	v_lshlrev_b32_e32 v5, 25, v21
	v_mov_b32_e32 v4, v1
	v_cmp_gt_i64_e32 vcc, 0, v[4:5]
	v_not_b32_e32 v4, v5
	v_ashrrev_i32_e32 v4, 31, v4
	v_xor_b32_e32 v5, vcc_hi, v4
	v_xor_b32_e32 v4, vcc_lo, v4
	v_and_b32_e32 v0, v0, v5
	v_and_b32_e32 v22, v22, v4
	v_lshlrev_b32_e32 v5, 24, v21
	v_mov_b32_e32 v4, v1
	v_cmp_gt_i64_e32 vcc, 0, v[4:5]
	v_not_b32_e32 v4, v5
	v_ashrrev_i32_e32 v4, 31, v4
	v_xor_b32_e32 v5, vcc_hi, v4
	v_xor_b32_e32 v4, vcc_lo, v4
	ds_read_b32 v18, v23 offset:64
	v_and_b32_e32 v4, v22, v4
	v_and_b32_e32 v5, v0, v5
	v_mbcnt_lo_u32_b32 v0, v4, 0
	v_mbcnt_hi_u32_b32 v21, v5, v0
	v_cmp_eq_u32_e32 vcc, 0, v21
	v_cmp_ne_u64_e64 s[0:1], 0, v[4:5]
	s_and_b64 s[2:3], s[0:1], vcc
	; wave barrier
	s_and_saveexec_b64 s[0:1], s[2:3]
	s_cbranch_execz .LBB1121_93
; %bb.92:
	v_bcnt_u32_b32 v0, v4, 0
	v_bcnt_u32_b32 v0, v5, v0
	s_waitcnt lgkmcnt(0)
	v_add_u32_e32 v0, v18, v0
	ds_write_b32 v23, v0 offset:64
.LBB1121_93:
	s_or_b64 exec, exec, s[0:1]
	s_waitcnt vmcnt(4)
	v_lshrrev_b32_e32 v0, s24, v10
	v_and_b32_e32 v24, s15, v0
	v_lshl_add_u32 v0, v24, 4, v24
	v_add_lshl_u32 v27, v25, v0, 2
	v_and_b32_e32 v0, 1, v24
	v_lshl_add_u64 v[4:5], v[0:1], 0, -1
	v_cmp_ne_u32_e32 vcc, 0, v0
	; wave barrier
	s_nop 1
	v_xor_b32_e32 v4, vcc_lo, v4
	v_xor_b32_e32 v0, vcc_hi, v5
	v_and_b32_e32 v26, exec_lo, v4
	v_lshlrev_b32_e32 v5, 30, v24
	v_mov_b32_e32 v4, v1
	v_cmp_gt_i64_e32 vcc, 0, v[4:5]
	v_not_b32_e32 v4, v5
	v_ashrrev_i32_e32 v4, 31, v4
	v_and_b32_e32 v0, exec_hi, v0
	v_xor_b32_e32 v5, vcc_hi, v4
	v_xor_b32_e32 v4, vcc_lo, v4
	v_and_b32_e32 v0, v0, v5
	v_and_b32_e32 v26, v26, v4
	v_lshlrev_b32_e32 v5, 29, v24
	v_mov_b32_e32 v4, v1
	v_cmp_gt_i64_e32 vcc, 0, v[4:5]
	v_not_b32_e32 v4, v5
	v_ashrrev_i32_e32 v4, 31, v4
	v_xor_b32_e32 v5, vcc_hi, v4
	v_xor_b32_e32 v4, vcc_lo, v4
	v_and_b32_e32 v0, v0, v5
	v_and_b32_e32 v26, v26, v4
	v_lshlrev_b32_e32 v5, 28, v24
	v_mov_b32_e32 v4, v1
	v_cmp_gt_i64_e32 vcc, 0, v[4:5]
	v_not_b32_e32 v4, v5
	v_ashrrev_i32_e32 v4, 31, v4
	;; [unrolled: 9-line block ×5, first 2 shown]
	v_xor_b32_e32 v5, vcc_hi, v4
	v_xor_b32_e32 v4, vcc_lo, v4
	v_and_b32_e32 v0, v0, v5
	v_lshlrev_b32_e32 v5, 24, v24
	v_and_b32_e32 v26, v26, v4
	v_mov_b32_e32 v4, v1
	v_not_b32_e32 v1, v5
	v_cmp_gt_i64_e32 vcc, 0, v[4:5]
	v_ashrrev_i32_e32 v1, 31, v1
	ds_read_b32 v22, v27 offset:64
	v_xor_b32_e32 v4, vcc_hi, v1
	v_xor_b32_e32 v5, vcc_lo, v1
	v_and_b32_e32 v1, v0, v4
	v_and_b32_e32 v0, v26, v5
	v_mbcnt_lo_u32_b32 v4, v0, 0
	v_mbcnt_hi_u32_b32 v24, v1, v4
	v_cmp_eq_u32_e32 vcc, 0, v24
	v_cmp_ne_u64_e64 s[0:1], 0, v[0:1]
	s_and_b64 s[2:3], s[0:1], vcc
	; wave barrier
	s_and_saveexec_b64 s[0:1], s[2:3]
	s_cbranch_execz .LBB1121_95
; %bb.94:
	v_bcnt_u32_b32 v0, v0, 0
	v_bcnt_u32_b32 v0, v1, v0
	s_waitcnt lgkmcnt(0)
	v_add_u32_e32 v0, v22, v0
	ds_write_b32 v27, v0 offset:64
.LBB1121_95:
	s_or_b64 exec, exec, s[0:1]
	s_waitcnt vmcnt(3)
	v_lshrrev_b32_e32 v0, s24, v11
	v_and_b32_e32 v28, s15, v0
	v_lshl_add_u32 v0, v28, 4, v28
	v_add_lshl_u32 v30, v25, v0, 2
	v_and_b32_e32 v0, 1, v28
	v_mov_b32_e32 v1, 0
	v_lshl_add_u64 v[4:5], v[0:1], 0, -1
	v_cmp_ne_u32_e32 vcc, 0, v0
	; wave barrier
	s_nop 1
	v_xor_b32_e32 v4, vcc_lo, v4
	v_xor_b32_e32 v0, vcc_hi, v5
	v_and_b32_e32 v29, exec_lo, v4
	v_lshlrev_b32_e32 v5, 30, v28
	v_mov_b32_e32 v4, v1
	v_cmp_gt_i64_e32 vcc, 0, v[4:5]
	v_not_b32_e32 v4, v5
	v_ashrrev_i32_e32 v4, 31, v4
	v_and_b32_e32 v0, exec_hi, v0
	v_xor_b32_e32 v5, vcc_hi, v4
	v_xor_b32_e32 v4, vcc_lo, v4
	v_and_b32_e32 v0, v0, v5
	v_and_b32_e32 v29, v29, v4
	v_lshlrev_b32_e32 v5, 29, v28
	v_mov_b32_e32 v4, v1
	v_cmp_gt_i64_e32 vcc, 0, v[4:5]
	v_not_b32_e32 v4, v5
	v_ashrrev_i32_e32 v4, 31, v4
	v_xor_b32_e32 v5, vcc_hi, v4
	v_xor_b32_e32 v4, vcc_lo, v4
	v_and_b32_e32 v0, v0, v5
	v_and_b32_e32 v29, v29, v4
	v_lshlrev_b32_e32 v5, 28, v28
	v_mov_b32_e32 v4, v1
	v_cmp_gt_i64_e32 vcc, 0, v[4:5]
	v_not_b32_e32 v4, v5
	v_ashrrev_i32_e32 v4, 31, v4
	;; [unrolled: 9-line block ×6, first 2 shown]
	v_xor_b32_e32 v5, vcc_hi, v4
	v_xor_b32_e32 v4, vcc_lo, v4
	ds_read_b32 v26, v30 offset:64
	v_and_b32_e32 v4, v29, v4
	v_and_b32_e32 v5, v0, v5
	v_mbcnt_lo_u32_b32 v0, v4, 0
	v_mbcnt_hi_u32_b32 v28, v5, v0
	v_cmp_eq_u32_e32 vcc, 0, v28
	v_cmp_ne_u64_e64 s[0:1], 0, v[4:5]
	s_and_b64 s[2:3], s[0:1], vcc
	; wave barrier
	s_and_saveexec_b64 s[0:1], s[2:3]
	s_cbranch_execz .LBB1121_97
; %bb.96:
	v_bcnt_u32_b32 v0, v4, 0
	v_bcnt_u32_b32 v0, v5, v0
	s_waitcnt lgkmcnt(0)
	v_add_u32_e32 v0, v26, v0
	ds_write_b32 v30, v0 offset:64
.LBB1121_97:
	s_or_b64 exec, exec, s[0:1]
	s_waitcnt vmcnt(2)
	v_lshrrev_b32_e32 v0, s24, v12
	v_and_b32_e32 v31, s15, v0
	v_lshl_add_u32 v0, v31, 4, v31
	v_add_lshl_u32 v33, v25, v0, 2
	v_and_b32_e32 v0, 1, v31
	v_lshl_add_u64 v[4:5], v[0:1], 0, -1
	v_cmp_ne_u32_e32 vcc, 0, v0
	; wave barrier
	s_nop 1
	v_xor_b32_e32 v4, vcc_lo, v4
	v_xor_b32_e32 v0, vcc_hi, v5
	v_and_b32_e32 v32, exec_lo, v4
	v_lshlrev_b32_e32 v5, 30, v31
	v_mov_b32_e32 v4, v1
	v_cmp_gt_i64_e32 vcc, 0, v[4:5]
	v_not_b32_e32 v4, v5
	v_ashrrev_i32_e32 v4, 31, v4
	v_and_b32_e32 v0, exec_hi, v0
	v_xor_b32_e32 v5, vcc_hi, v4
	v_xor_b32_e32 v4, vcc_lo, v4
	v_and_b32_e32 v0, v0, v5
	v_and_b32_e32 v32, v32, v4
	v_lshlrev_b32_e32 v5, 29, v31
	v_mov_b32_e32 v4, v1
	v_cmp_gt_i64_e32 vcc, 0, v[4:5]
	v_not_b32_e32 v4, v5
	v_ashrrev_i32_e32 v4, 31, v4
	v_xor_b32_e32 v5, vcc_hi, v4
	v_xor_b32_e32 v4, vcc_lo, v4
	v_and_b32_e32 v0, v0, v5
	v_and_b32_e32 v32, v32, v4
	v_lshlrev_b32_e32 v5, 28, v31
	v_mov_b32_e32 v4, v1
	v_cmp_gt_i64_e32 vcc, 0, v[4:5]
	v_not_b32_e32 v4, v5
	v_ashrrev_i32_e32 v4, 31, v4
	;; [unrolled: 9-line block ×5, first 2 shown]
	v_xor_b32_e32 v5, vcc_hi, v4
	v_xor_b32_e32 v4, vcc_lo, v4
	v_and_b32_e32 v0, v0, v5
	v_lshlrev_b32_e32 v5, 24, v31
	v_and_b32_e32 v32, v32, v4
	v_mov_b32_e32 v4, v1
	v_not_b32_e32 v1, v5
	v_cmp_gt_i64_e32 vcc, 0, v[4:5]
	v_ashrrev_i32_e32 v1, 31, v1
	ds_read_b32 v29, v33 offset:64
	v_xor_b32_e32 v4, vcc_hi, v1
	v_xor_b32_e32 v5, vcc_lo, v1
	v_and_b32_e32 v1, v0, v4
	v_and_b32_e32 v0, v32, v5
	v_mbcnt_lo_u32_b32 v4, v0, 0
	v_mbcnt_hi_u32_b32 v31, v1, v4
	v_cmp_eq_u32_e32 vcc, 0, v31
	v_cmp_ne_u64_e64 s[0:1], 0, v[0:1]
	s_and_b64 s[2:3], s[0:1], vcc
	; wave barrier
	s_and_saveexec_b64 s[0:1], s[2:3]
	s_cbranch_execz .LBB1121_99
; %bb.98:
	v_bcnt_u32_b32 v0, v0, 0
	v_bcnt_u32_b32 v0, v1, v0
	s_waitcnt lgkmcnt(0)
	v_add_u32_e32 v0, v29, v0
	ds_write_b32 v33, v0 offset:64
.LBB1121_99:
	s_or_b64 exec, exec, s[0:1]
	s_waitcnt vmcnt(1)
	v_lshrrev_b32_e32 v0, s24, v13
	v_and_b32_e32 v34, s15, v0
	v_lshl_add_u32 v0, v34, 4, v34
	v_add_lshl_u32 v35, v25, v0, 2
	v_and_b32_e32 v0, 1, v34
	v_mov_b32_e32 v1, 0
	v_lshl_add_u64 v[4:5], v[0:1], 0, -1
	v_cmp_ne_u32_e32 vcc, 0, v0
	; wave barrier
	s_nop 1
	v_xor_b32_e32 v4, vcc_lo, v4
	v_xor_b32_e32 v0, vcc_hi, v5
	v_and_b32_e32 v36, exec_lo, v4
	v_lshlrev_b32_e32 v5, 30, v34
	v_mov_b32_e32 v4, v1
	v_cmp_gt_i64_e32 vcc, 0, v[4:5]
	v_not_b32_e32 v4, v5
	v_ashrrev_i32_e32 v4, 31, v4
	v_and_b32_e32 v0, exec_hi, v0
	v_xor_b32_e32 v5, vcc_hi, v4
	v_xor_b32_e32 v4, vcc_lo, v4
	v_and_b32_e32 v0, v0, v5
	v_and_b32_e32 v36, v36, v4
	v_lshlrev_b32_e32 v5, 29, v34
	v_mov_b32_e32 v4, v1
	v_cmp_gt_i64_e32 vcc, 0, v[4:5]
	v_not_b32_e32 v4, v5
	v_ashrrev_i32_e32 v4, 31, v4
	v_xor_b32_e32 v5, vcc_hi, v4
	v_xor_b32_e32 v4, vcc_lo, v4
	v_and_b32_e32 v0, v0, v5
	v_and_b32_e32 v36, v36, v4
	v_lshlrev_b32_e32 v5, 28, v34
	v_mov_b32_e32 v4, v1
	v_cmp_gt_i64_e32 vcc, 0, v[4:5]
	v_not_b32_e32 v4, v5
	v_ashrrev_i32_e32 v4, 31, v4
	;; [unrolled: 9-line block ×6, first 2 shown]
	v_xor_b32_e32 v5, vcc_hi, v4
	v_xor_b32_e32 v4, vcc_lo, v4
	ds_read_b32 v32, v35 offset:64
	v_and_b32_e32 v4, v36, v4
	v_and_b32_e32 v5, v0, v5
	v_mbcnt_lo_u32_b32 v0, v4, 0
	v_mbcnt_hi_u32_b32 v34, v5, v0
	v_cmp_eq_u32_e32 vcc, 0, v34
	v_cmp_ne_u64_e64 s[0:1], 0, v[4:5]
	s_and_b64 s[2:3], s[0:1], vcc
	; wave barrier
	s_and_saveexec_b64 s[0:1], s[2:3]
	s_cbranch_execz .LBB1121_101
; %bb.100:
	v_bcnt_u32_b32 v0, v4, 0
	v_bcnt_u32_b32 v0, v5, v0
	s_waitcnt lgkmcnt(0)
	v_add_u32_e32 v0, v32, v0
	ds_write_b32 v35, v0 offset:64
.LBB1121_101:
	s_or_b64 exec, exec, s[0:1]
	s_waitcnt vmcnt(0)
	v_lshrrev_b32_e32 v0, s24, v14
	v_and_b32_e32 v36, s15, v0
	v_lshl_add_u32 v0, v36, 4, v36
	v_add_lshl_u32 v37, v25, v0, 2
	v_and_b32_e32 v0, 1, v36
	v_lshl_add_u64 v[4:5], v[0:1], 0, -1
	v_cmp_ne_u32_e32 vcc, 0, v0
	; wave barrier
	s_nop 1
	v_xor_b32_e32 v4, vcc_lo, v4
	v_xor_b32_e32 v0, vcc_hi, v5
	v_and_b32_e32 v39, exec_lo, v4
	v_lshlrev_b32_e32 v5, 30, v36
	v_mov_b32_e32 v4, v1
	v_cmp_gt_i64_e32 vcc, 0, v[4:5]
	v_not_b32_e32 v4, v5
	v_ashrrev_i32_e32 v4, 31, v4
	v_and_b32_e32 v0, exec_hi, v0
	v_xor_b32_e32 v5, vcc_hi, v4
	v_xor_b32_e32 v4, vcc_lo, v4
	v_and_b32_e32 v0, v0, v5
	v_and_b32_e32 v39, v39, v4
	v_lshlrev_b32_e32 v5, 29, v36
	v_mov_b32_e32 v4, v1
	v_cmp_gt_i64_e32 vcc, 0, v[4:5]
	v_not_b32_e32 v4, v5
	v_ashrrev_i32_e32 v4, 31, v4
	v_xor_b32_e32 v5, vcc_hi, v4
	v_xor_b32_e32 v4, vcc_lo, v4
	v_and_b32_e32 v0, v0, v5
	v_and_b32_e32 v39, v39, v4
	v_lshlrev_b32_e32 v5, 28, v36
	v_mov_b32_e32 v4, v1
	v_cmp_gt_i64_e32 vcc, 0, v[4:5]
	v_not_b32_e32 v4, v5
	v_ashrrev_i32_e32 v4, 31, v4
	;; [unrolled: 9-line block ×5, first 2 shown]
	v_xor_b32_e32 v5, vcc_hi, v4
	v_xor_b32_e32 v4, vcc_lo, v4
	v_and_b32_e32 v0, v0, v5
	v_lshlrev_b32_e32 v5, 24, v36
	v_and_b32_e32 v39, v39, v4
	v_mov_b32_e32 v4, v1
	v_not_b32_e32 v1, v5
	v_cmp_gt_i64_e32 vcc, 0, v[4:5]
	v_ashrrev_i32_e32 v1, 31, v1
	ds_read_b32 v25, v37 offset:64
	v_xor_b32_e32 v4, vcc_hi, v1
	v_xor_b32_e32 v5, vcc_lo, v1
	v_and_b32_e32 v1, v0, v4
	v_and_b32_e32 v0, v39, v5
	v_mbcnt_lo_u32_b32 v4, v0, 0
	v_mbcnt_hi_u32_b32 v36, v1, v4
	v_cmp_eq_u32_e32 vcc, 0, v36
	v_cmp_ne_u64_e64 s[0:1], 0, v[0:1]
	v_add_u32_e32 v38, 64, v7
	s_and_b64 s[2:3], s[0:1], vcc
	; wave barrier
	s_and_saveexec_b64 s[0:1], s[2:3]
	s_cbranch_execz .LBB1121_103
; %bb.102:
	v_bcnt_u32_b32 v0, v0, 0
	v_bcnt_u32_b32 v0, v1, v0
	s_waitcnt lgkmcnt(0)
	v_add_u32_e32 v0, v25, v0
	ds_write_b32 v37, v0 offset:64
.LBB1121_103:
	s_or_b64 exec, exec, s[0:1]
	; wave barrier
	s_waitcnt lgkmcnt(0)
	s_barrier
	ds_read2_b32 v[4:5], v7 offset0:16 offset1:17
	ds_read2_b32 v[0:1], v38 offset0:2 offset1:3
	ds_read_b32 v39, v38 offset:16
	v_cmp_lt_u32_e64 s[2:3], 31, v6
	s_waitcnt lgkmcnt(1)
	v_add3_u32 v40, v5, v4, v0
	s_waitcnt lgkmcnt(0)
	v_add3_u32 v39, v40, v1, v39
	v_and_b32_e32 v40, 15, v6
	v_cmp_eq_u32_e32 vcc, 0, v40
	v_mov_b32_dpp v41, v39 row_shr:1 row_mask:0xf bank_mask:0xf
	v_cmp_lt_u32_e64 s[0:1], 1, v40
	v_cndmask_b32_e64 v41, v41, 0, vcc
	v_add_u32_e32 v39, v41, v39
	v_cmp_lt_u32_e64 s[4:5], 3, v40
	v_cmp_lt_u32_e64 s[6:7], 7, v40
	v_mov_b32_dpp v41, v39 row_shr:2 row_mask:0xf bank_mask:0xf
	v_cndmask_b32_e64 v41, 0, v41, s[0:1]
	v_add_u32_e32 v39, v39, v41
	s_nop 1
	v_mov_b32_dpp v41, v39 row_shr:4 row_mask:0xf bank_mask:0xf
	v_cndmask_b32_e64 v41, 0, v41, s[4:5]
	v_add_u32_e32 v39, v39, v41
	s_nop 1
	v_mov_b32_dpp v41, v39 row_shr:8 row_mask:0xf bank_mask:0xf
	v_cndmask_b32_e64 v40, 0, v41, s[6:7]
	v_add_u32_e32 v39, v39, v40
	v_bfe_i32 v41, v6, 4, 1
	s_nop 0
	v_mov_b32_dpp v40, v39 row_bcast:15 row_mask:0xf bank_mask:0xf
	v_and_b32_e32 v40, v41, v40
	v_add_u32_e32 v39, v39, v40
	v_and_b32_e32 v41, 63, v2
	s_nop 0
	v_mov_b32_dpp v40, v39 row_bcast:31 row_mask:0xf bank_mask:0xf
	v_cndmask_b32_e64 v40, 0, v40, s[2:3]
	v_add_u32_e32 v39, v39, v40
	v_lshrrev_b32_e32 v40, 6, v2
	v_cmp_eq_u32_e64 s[2:3], 63, v41
	s_and_saveexec_b64 s[12:13], s[2:3]
	s_cbranch_execz .LBB1121_105
; %bb.104:
	v_lshlrev_b32_e32 v41, 2, v40
	ds_write_b32 v41, v39
.LBB1121_105:
	s_or_b64 exec, exec, s[12:13]
	v_cmp_gt_u32_e64 s[2:3], 16, v2
	s_waitcnt lgkmcnt(0)
	s_barrier
	s_and_saveexec_b64 s[12:13], s[2:3]
	s_cbranch_execz .LBB1121_107
; %bb.106:
	v_lshlrev_b32_e32 v41, 2, v2
	ds_read_b32 v42, v41
	s_waitcnt lgkmcnt(0)
	s_nop 0
	v_mov_b32_dpp v43, v42 row_shr:1 row_mask:0xf bank_mask:0xf
	v_cndmask_b32_e64 v43, v43, 0, vcc
	v_add_u32_e32 v42, v43, v42
	s_nop 1
	v_mov_b32_dpp v43, v42 row_shr:2 row_mask:0xf bank_mask:0xf
	v_cndmask_b32_e64 v43, 0, v43, s[0:1]
	v_add_u32_e32 v42, v42, v43
	s_nop 1
	v_mov_b32_dpp v43, v42 row_shr:4 row_mask:0xf bank_mask:0xf
	v_cndmask_b32_e64 v43, 0, v43, s[4:5]
	;; [unrolled: 4-line block ×3, first 2 shown]
	v_add_u32_e32 v42, v42, v43
	ds_write_b32 v41, v42
.LBB1121_107:
	s_or_b64 exec, exec, s[12:13]
	v_cmp_lt_u32_e32 vcc, 63, v2
	v_mov_b32_e32 v41, 0
	s_waitcnt lgkmcnt(0)
	s_barrier
	s_and_saveexec_b64 s[0:1], vcc
	s_cbranch_execz .LBB1121_109
; %bb.108:
	v_lshl_add_u32 v40, v40, 2, -4
	ds_read_b32 v41, v40
.LBB1121_109:
	s_or_b64 exec, exec, s[0:1]
	v_add_u32_e32 v40, -1, v6
	v_and_b32_e32 v42, 64, v6
	v_cmp_lt_i32_e32 vcc, v40, v42
	s_waitcnt lgkmcnt(0)
	v_add_u32_e32 v39, v41, v39
	s_movk_i32 s0, 0x100
	v_cndmask_b32_e32 v40, v40, v6, vcc
	v_lshlrev_b32_e32 v40, 2, v40
	ds_bpermute_b32 v39, v40, v39
	v_cmp_eq_u32_e32 vcc, 0, v6
	v_cmp_gt_u32_e64 s[0:1], s0, v2
	s_waitcnt lgkmcnt(0)
	v_cndmask_b32_e32 v6, v39, v41, vcc
	v_cndmask_b32_e64 v6, v6, 0, s[10:11]
	v_add_u32_e32 v4, v6, v4
	v_add_u32_e32 v5, v4, v5
	;; [unrolled: 1-line block ×4, first 2 shown]
	ds_write2_b32 v7, v6, v4 offset0:16 offset1:17
	ds_write2_b32 v38, v5, v0 offset0:2 offset1:3
	ds_write_b32 v38, v1 offset:16
	s_waitcnt lgkmcnt(0)
	s_barrier
	ds_read_b32 v42, v19 offset:64
	ds_read_b32 v38, v20 offset:64
	;; [unrolled: 1-line block ×8, first 2 shown]
                                        ; implicit-def: $vgpr19
                                        ; implicit-def: $vgpr20
	s_and_saveexec_b64 s[2:3], s[0:1]
	s_cbranch_execz .LBB1121_113
; %bb.110:
	v_mul_u32_u24_e32 v0, 17, v2
	v_lshlrev_b32_e32 v1, 2, v0
	ds_read_b32 v19, v1 offset:64
	s_movk_i32 s4, 0xff
	v_cmp_ne_u32_e32 vcc, s4, v2
	v_mov_b32_e32 v0, 0x2000
	s_and_saveexec_b64 s[4:5], vcc
	s_cbranch_execz .LBB1121_112
; %bb.111:
	ds_read_b32 v0, v1 offset:132
.LBB1121_112:
	s_or_b64 exec, exec, s[4:5]
	s_waitcnt lgkmcnt(0)
	v_sub_u32_e32 v20, v0, v19
.LBB1121_113:
	s_or_b64 exec, exec, s[2:3]
	s_waitcnt lgkmcnt(0)
	s_barrier
	s_and_saveexec_b64 s[2:3], s[0:1]
	s_cbranch_execz .LBB1121_123
; %bb.114:
	v_lshl_or_b32 v4, s27, 8, v2
	v_mov_b32_e32 v5, 0
	v_lshl_add_u64 v[0:1], v[4:5], 2, s[18:19]
	v_or_b32_e32 v4, 2.0, v20
	s_mov_b64 s[4:5], 0
	s_brev_b32 s12, 1
	s_mov_b32 s13, s27
	v_mov_b32_e32 v33, 0
	global_store_dword v[0:1], v4, off sc1
                                        ; implicit-def: $sgpr6_sgpr7
	s_branch .LBB1121_117
.LBB1121_115:                           ;   in Loop: Header=BB1121_117 Depth=1
	s_or_b64 exec, exec, s[10:11]
.LBB1121_116:                           ;   in Loop: Header=BB1121_117 Depth=1
	s_or_b64 exec, exec, s[6:7]
	v_and_b32_e32 v6, 0x3fffffff, v35
	v_add_u32_e32 v33, v6, v33
	v_cmp_eq_u32_e64 s[6:7], s12, v4
	s_and_b64 s[10:11], exec, s[6:7]
	s_or_b64 s[4:5], s[10:11], s[4:5]
	s_andn2_b64 exec, exec, s[4:5]
	s_cbranch_execz .LBB1121_122
.LBB1121_117:                           ; =>This Loop Header: Depth=1
                                        ;     Child Loop BB1121_120 Depth 2
	s_or_b64 s[6:7], s[6:7], exec
	s_cmp_eq_u32 s13, 0
	s_cbranch_scc1 .LBB1121_121
; %bb.118:                              ;   in Loop: Header=BB1121_117 Depth=1
	s_add_i32 s13, s13, -1
	v_lshl_or_b32 v4, s13, 8, v2
	v_lshl_add_u64 v[6:7], v[4:5], 2, s[18:19]
	global_load_dword v35, v[6:7], off sc1
	s_waitcnt vmcnt(0)
	v_and_b32_e32 v4, -2.0, v35
	v_cmp_eq_u32_e32 vcc, 0, v4
	s_and_saveexec_b64 s[6:7], vcc
	s_cbranch_execz .LBB1121_116
; %bb.119:                              ;   in Loop: Header=BB1121_117 Depth=1
	s_mov_b64 s[10:11], 0
.LBB1121_120:                           ;   Parent Loop BB1121_117 Depth=1
                                        ; =>  This Inner Loop Header: Depth=2
	global_load_dword v35, v[6:7], off sc1
	s_waitcnt vmcnt(0)
	v_and_b32_e32 v4, -2.0, v35
	v_cmp_ne_u32_e32 vcc, 0, v4
	s_or_b64 s[10:11], vcc, s[10:11]
	s_andn2_b64 exec, exec, s[10:11]
	s_cbranch_execnz .LBB1121_120
	s_branch .LBB1121_115
.LBB1121_121:                           ;   in Loop: Header=BB1121_117 Depth=1
                                        ; implicit-def: $sgpr13
	s_and_b64 s[10:11], exec, s[6:7]
	s_or_b64 s[4:5], s[10:11], s[4:5]
	s_andn2_b64 exec, exec, s[4:5]
	s_cbranch_execnz .LBB1121_117
.LBB1121_122:
	s_or_b64 exec, exec, s[4:5]
	v_add_u32_e32 v4, v33, v20
	v_or_b32_e32 v4, 0x80000000, v4
	global_store_dword v[0:1], v4, off sc1
	v_lshlrev_b32_e32 v0, 2, v2
	global_load_dword v1, v0, s[20:21]
	v_sub_u32_e32 v4, v33, v19
	s_waitcnt vmcnt(0)
	v_add_u32_e32 v1, v4, v1
	ds_write_b32 v0, v1
.LBB1121_123:
	s_or_b64 exec, exec, s[2:3]
	v_add_u32_e32 v0, v36, v25
	v_add_u32_e32 v1, v34, v32
	;; [unrolled: 1-line block ×8, first 2 shown]
	v_lshlrev_b32_e32 v5, 2, v2
	s_movk_i32 s6, 0x400
	v_add_u32_e32 v6, 0x400, v5
	v_add_lshl_u32 v7, v0, v23, 2
	v_add3_u32 v15, v36, v23, v25
	v_add_lshl_u32 v23, v1, v27, 2
	v_add3_u32 v25, v34, v27, v32
	;; [unrolled: 2-line block ×7, first 2 shown]
	v_lshlrev_b32_e32 v17, 2, v4
	s_mov_b64 s[2:3], -1
	s_mov_b32 s7, 0
	s_mov_b32 s10, 0
	s_movk_i32 s11, 0x1000
	s_movk_i32 s12, 0x800
	;; [unrolled: 1-line block ×3, first 2 shown]
	v_mov_b32_e32 v1, 0
	v_mov_b32_e32 v31, v2
	s_branch .LBB1121_125
.LBB1121_124:                           ;   in Loop: Header=BB1121_125 Depth=1
	s_or_b64 exec, exec, s[4:5]
	s_waitcnt lgkmcnt(0)
	s_barrier
	ds_read2st64_b32 v[32:33], v6 offset0:16 offset1:32
	ds_read_b32 v36, v5 offset:1024
	s_xor_b64 s[4:5], s[2:3], -1
	s_addk_i32 s7, 0xc000
	s_addk_i32 s10, 0xf000
	s_waitcnt lgkmcnt(1)
	v_lshrrev_b32_e32 v0, s24, v32
	v_and_b32_e32 v0, s15, v0
	v_lshlrev_b32_e32 v0, 2, v0
	ds_read_b32 v37, v0
	ds_read_b32 v38, v6 offset:12288
	s_waitcnt lgkmcnt(2)
	v_lshrrev_b32_e32 v0, s24, v36
	v_and_b32_e32 v0, s15, v0
	v_lshlrev_b32_e32 v0, 2, v0
	v_lshrrev_b32_e32 v34, s24, v33
	ds_read_b32 v0, v0
	v_and_b32_e32 v34, s15, v34
	s_waitcnt lgkmcnt(1)
	v_lshrrev_b32_e32 v35, s24, v38
	v_lshlrev_b32_e32 v34, 2, v34
	v_and_b32_e32 v35, s15, v35
	v_lshlrev_b32_e32 v35, 2, v35
	ds_read_b32 v39, v34
	ds_read_b32 v40, v35
	s_waitcnt lgkmcnt(2)
	v_add_u32_e32 v0, v31, v0
	v_lshl_add_u64 v[34:35], v[0:1], 2, s[30:31]
	v_add3_u32 v0, v31, v37, s6
	global_store_dword v[34:35], v36, off
	v_lshl_add_u64 v[34:35], v[0:1], 2, s[30:31]
	s_waitcnt lgkmcnt(1)
	v_add3_u32 v0, v31, v39, s12
	global_store_dword v[34:35], v32, off
	v_lshl_add_u64 v[34:35], v[0:1], 2, s[30:31]
	s_waitcnt lgkmcnt(0)
	v_add3_u32 v0, v31, v40, s13
	global_store_dword v[34:35], v33, off
	v_lshl_add_u64 v[32:33], v[0:1], 2, s[30:31]
	v_add_u32_e32 v31, 0x1000, v31
	s_mov_b64 s[2:3], 0
	s_and_b64 vcc, exec, s[4:5]
	global_store_dword v[32:33], v38, off
	s_barrier
	s_cbranch_vccnz .LBB1121_141
.LBB1121_125:                           ; =>This Inner Loop Header: Depth=1
	v_add_u32_e32 v0, s10, v4
	v_cmp_gt_u32_e32 vcc, s11, v0
	s_and_saveexec_b64 s[4:5], vcc
	s_cbranch_execz .LBB1121_127
; %bb.126:                              ;   in Loop: Header=BB1121_125 Depth=1
	v_add_u32_e32 v0, s7, v17
	ds_write_b32 v0, v3 offset:1024
.LBB1121_127:                           ;   in Loop: Header=BB1121_125 Depth=1
	s_or_b64 exec, exec, s[4:5]
	v_add_u32_e32 v0, s10, v16
	v_cmp_gt_u32_e32 vcc, s11, v0
	s_and_saveexec_b64 s[4:5], vcc
	s_cbranch_execz .LBB1121_129
; %bb.128:                              ;   in Loop: Header=BB1121_125 Depth=1
	v_add_u32_e32 v0, s7, v21
	ds_write_b32 v0, v8 offset:1024
.LBB1121_129:                           ;   in Loop: Header=BB1121_125 Depth=1
	s_or_b64 exec, exec, s[4:5]
	;; [unrolled: 9-line block ×7, first 2 shown]
	v_add_u32_e32 v0, s10, v15
	v_cmp_gt_u32_e32 vcc, s11, v0
	s_and_saveexec_b64 s[4:5], vcc
	s_cbranch_execz .LBB1121_124
; %bb.140:                              ;   in Loop: Header=BB1121_125 Depth=1
	v_add_u32_e32 v0, s7, v7
	ds_write_b32 v0, v14 offset:1024
	s_branch .LBB1121_124
.LBB1121_141:
	s_add_i32 s14, s14, -1
	s_cmp_eq_u32 s14, s27
	s_cselect_b64 s[2:3], -1, 0
	s_and_b64 s[2:3], s[0:1], s[2:3]
                                        ; implicit-def: $vgpr3
	s_and_saveexec_b64 s[0:1], s[2:3]
; %bb.142:
	v_add_u32_e32 v3, v19, v20
	s_or_b64 s[8:9], s[8:9], exec
; %bb.143:
	s_or_b64 exec, exec, s[0:1]
.LBB1121_144:
	s_and_saveexec_b64 s[0:1], s[8:9]
	s_cbranch_execnz .LBB1121_146
; %bb.145:
	s_endpgm
.LBB1121_146:
	v_lshlrev_b32_e32 v0, 2, v2
	ds_read_b32 v1, v0
	s_waitcnt lgkmcnt(0)
	v_add_u32_e32 v1, v1, v3
	global_store_dword v0, v1, s[22:23]
	s_endpgm
	.section	.rodata,"a",@progbits
	.p2align	6, 0x0
	.amdhsa_kernel _ZN7rocprim17ROCPRIM_400000_NS6detail17trampoline_kernelINS0_14default_configENS1_35radix_sort_onesweep_config_selectorIjNS0_10empty_typeEEEZZNS1_29radix_sort_onesweep_iterationIS3_Lb0EN6thrust23THRUST_200600_302600_NS6detail15normal_iteratorINS9_10device_ptrIjEEEESE_PS5_SF_jNS0_19identity_decomposerENS1_16block_id_wrapperIjLb1EEEEE10hipError_tT1_PNSt15iterator_traitsISK_E10value_typeET2_T3_PNSL_ISQ_E10value_typeET4_T5_PSV_SW_PNS1_23onesweep_lookback_stateEbbT6_jjT7_P12ihipStream_tbENKUlT_T0_SK_SP_E_clIPjSE_SF_SF_EEDaS13_S14_SK_SP_EUlS13_E_NS1_11comp_targetILNS1_3genE5ELNS1_11target_archE942ELNS1_3gpuE9ELNS1_3repE0EEENS1_47radix_sort_onesweep_sort_config_static_selectorELNS0_4arch9wavefront6targetE1EEEvSK_
		.amdhsa_group_segment_fixed_size 20552
		.amdhsa_private_segment_fixed_size 0
		.amdhsa_kernarg_size 344
		.amdhsa_user_sgpr_count 2
		.amdhsa_user_sgpr_dispatch_ptr 0
		.amdhsa_user_sgpr_queue_ptr 0
		.amdhsa_user_sgpr_kernarg_segment_ptr 1
		.amdhsa_user_sgpr_dispatch_id 0
		.amdhsa_user_sgpr_kernarg_preload_length 0
		.amdhsa_user_sgpr_kernarg_preload_offset 0
		.amdhsa_user_sgpr_private_segment_size 0
		.amdhsa_uses_dynamic_stack 0
		.amdhsa_enable_private_segment 0
		.amdhsa_system_sgpr_workgroup_id_x 1
		.amdhsa_system_sgpr_workgroup_id_y 0
		.amdhsa_system_sgpr_workgroup_id_z 0
		.amdhsa_system_sgpr_workgroup_info 0
		.amdhsa_system_vgpr_workitem_id 2
		.amdhsa_next_free_vgpr 46
		.amdhsa_next_free_sgpr 34
		.amdhsa_accum_offset 48
		.amdhsa_reserve_vcc 1
		.amdhsa_float_round_mode_32 0
		.amdhsa_float_round_mode_16_64 0
		.amdhsa_float_denorm_mode_32 3
		.amdhsa_float_denorm_mode_16_64 3
		.amdhsa_dx10_clamp 1
		.amdhsa_ieee_mode 1
		.amdhsa_fp16_overflow 0
		.amdhsa_tg_split 0
		.amdhsa_exception_fp_ieee_invalid_op 0
		.amdhsa_exception_fp_denorm_src 0
		.amdhsa_exception_fp_ieee_div_zero 0
		.amdhsa_exception_fp_ieee_overflow 0
		.amdhsa_exception_fp_ieee_underflow 0
		.amdhsa_exception_fp_ieee_inexact 0
		.amdhsa_exception_int_div_zero 0
	.end_amdhsa_kernel
	.section	.text._ZN7rocprim17ROCPRIM_400000_NS6detail17trampoline_kernelINS0_14default_configENS1_35radix_sort_onesweep_config_selectorIjNS0_10empty_typeEEEZZNS1_29radix_sort_onesweep_iterationIS3_Lb0EN6thrust23THRUST_200600_302600_NS6detail15normal_iteratorINS9_10device_ptrIjEEEESE_PS5_SF_jNS0_19identity_decomposerENS1_16block_id_wrapperIjLb1EEEEE10hipError_tT1_PNSt15iterator_traitsISK_E10value_typeET2_T3_PNSL_ISQ_E10value_typeET4_T5_PSV_SW_PNS1_23onesweep_lookback_stateEbbT6_jjT7_P12ihipStream_tbENKUlT_T0_SK_SP_E_clIPjSE_SF_SF_EEDaS13_S14_SK_SP_EUlS13_E_NS1_11comp_targetILNS1_3genE5ELNS1_11target_archE942ELNS1_3gpuE9ELNS1_3repE0EEENS1_47radix_sort_onesweep_sort_config_static_selectorELNS0_4arch9wavefront6targetE1EEEvSK_,"axG",@progbits,_ZN7rocprim17ROCPRIM_400000_NS6detail17trampoline_kernelINS0_14default_configENS1_35radix_sort_onesweep_config_selectorIjNS0_10empty_typeEEEZZNS1_29radix_sort_onesweep_iterationIS3_Lb0EN6thrust23THRUST_200600_302600_NS6detail15normal_iteratorINS9_10device_ptrIjEEEESE_PS5_SF_jNS0_19identity_decomposerENS1_16block_id_wrapperIjLb1EEEEE10hipError_tT1_PNSt15iterator_traitsISK_E10value_typeET2_T3_PNSL_ISQ_E10value_typeET4_T5_PSV_SW_PNS1_23onesweep_lookback_stateEbbT6_jjT7_P12ihipStream_tbENKUlT_T0_SK_SP_E_clIPjSE_SF_SF_EEDaS13_S14_SK_SP_EUlS13_E_NS1_11comp_targetILNS1_3genE5ELNS1_11target_archE942ELNS1_3gpuE9ELNS1_3repE0EEENS1_47radix_sort_onesweep_sort_config_static_selectorELNS0_4arch9wavefront6targetE1EEEvSK_,comdat
.Lfunc_end1121:
	.size	_ZN7rocprim17ROCPRIM_400000_NS6detail17trampoline_kernelINS0_14default_configENS1_35radix_sort_onesweep_config_selectorIjNS0_10empty_typeEEEZZNS1_29radix_sort_onesweep_iterationIS3_Lb0EN6thrust23THRUST_200600_302600_NS6detail15normal_iteratorINS9_10device_ptrIjEEEESE_PS5_SF_jNS0_19identity_decomposerENS1_16block_id_wrapperIjLb1EEEEE10hipError_tT1_PNSt15iterator_traitsISK_E10value_typeET2_T3_PNSL_ISQ_E10value_typeET4_T5_PSV_SW_PNS1_23onesweep_lookback_stateEbbT6_jjT7_P12ihipStream_tbENKUlT_T0_SK_SP_E_clIPjSE_SF_SF_EEDaS13_S14_SK_SP_EUlS13_E_NS1_11comp_targetILNS1_3genE5ELNS1_11target_archE942ELNS1_3gpuE9ELNS1_3repE0EEENS1_47radix_sort_onesweep_sort_config_static_selectorELNS0_4arch9wavefront6targetE1EEEvSK_, .Lfunc_end1121-_ZN7rocprim17ROCPRIM_400000_NS6detail17trampoline_kernelINS0_14default_configENS1_35radix_sort_onesweep_config_selectorIjNS0_10empty_typeEEEZZNS1_29radix_sort_onesweep_iterationIS3_Lb0EN6thrust23THRUST_200600_302600_NS6detail15normal_iteratorINS9_10device_ptrIjEEEESE_PS5_SF_jNS0_19identity_decomposerENS1_16block_id_wrapperIjLb1EEEEE10hipError_tT1_PNSt15iterator_traitsISK_E10value_typeET2_T3_PNSL_ISQ_E10value_typeET4_T5_PSV_SW_PNS1_23onesweep_lookback_stateEbbT6_jjT7_P12ihipStream_tbENKUlT_T0_SK_SP_E_clIPjSE_SF_SF_EEDaS13_S14_SK_SP_EUlS13_E_NS1_11comp_targetILNS1_3genE5ELNS1_11target_archE942ELNS1_3gpuE9ELNS1_3repE0EEENS1_47radix_sort_onesweep_sort_config_static_selectorELNS0_4arch9wavefront6targetE1EEEvSK_
                                        ; -- End function
	.section	.AMDGPU.csdata,"",@progbits
; Kernel info:
; codeLenInByte = 11204
; NumSgprs: 40
; NumVgprs: 46
; NumAgprs: 0
; TotalNumVgprs: 46
; ScratchSize: 0
; MemoryBound: 0
; FloatMode: 240
; IeeeMode: 1
; LDSByteSize: 20552 bytes/workgroup (compile time only)
; SGPRBlocks: 4
; VGPRBlocks: 5
; NumSGPRsForWavesPerEU: 40
; NumVGPRsForWavesPerEU: 46
; AccumOffset: 48
; Occupancy: 8
; WaveLimiterHint : 1
; COMPUTE_PGM_RSRC2:SCRATCH_EN: 0
; COMPUTE_PGM_RSRC2:USER_SGPR: 2
; COMPUTE_PGM_RSRC2:TRAP_HANDLER: 0
; COMPUTE_PGM_RSRC2:TGID_X_EN: 1
; COMPUTE_PGM_RSRC2:TGID_Y_EN: 0
; COMPUTE_PGM_RSRC2:TGID_Z_EN: 0
; COMPUTE_PGM_RSRC2:TIDIG_COMP_CNT: 2
; COMPUTE_PGM_RSRC3_GFX90A:ACCUM_OFFSET: 11
; COMPUTE_PGM_RSRC3_GFX90A:TG_SPLIT: 0
	.section	.text._ZN7rocprim17ROCPRIM_400000_NS6detail17trampoline_kernelINS0_14default_configENS1_35radix_sort_onesweep_config_selectorIjNS0_10empty_typeEEEZZNS1_29radix_sort_onesweep_iterationIS3_Lb0EN6thrust23THRUST_200600_302600_NS6detail15normal_iteratorINS9_10device_ptrIjEEEESE_PS5_SF_jNS0_19identity_decomposerENS1_16block_id_wrapperIjLb1EEEEE10hipError_tT1_PNSt15iterator_traitsISK_E10value_typeET2_T3_PNSL_ISQ_E10value_typeET4_T5_PSV_SW_PNS1_23onesweep_lookback_stateEbbT6_jjT7_P12ihipStream_tbENKUlT_T0_SK_SP_E_clIPjSE_SF_SF_EEDaS13_S14_SK_SP_EUlS13_E_NS1_11comp_targetILNS1_3genE2ELNS1_11target_archE906ELNS1_3gpuE6ELNS1_3repE0EEENS1_47radix_sort_onesweep_sort_config_static_selectorELNS0_4arch9wavefront6targetE1EEEvSK_,"axG",@progbits,_ZN7rocprim17ROCPRIM_400000_NS6detail17trampoline_kernelINS0_14default_configENS1_35radix_sort_onesweep_config_selectorIjNS0_10empty_typeEEEZZNS1_29radix_sort_onesweep_iterationIS3_Lb0EN6thrust23THRUST_200600_302600_NS6detail15normal_iteratorINS9_10device_ptrIjEEEESE_PS5_SF_jNS0_19identity_decomposerENS1_16block_id_wrapperIjLb1EEEEE10hipError_tT1_PNSt15iterator_traitsISK_E10value_typeET2_T3_PNSL_ISQ_E10value_typeET4_T5_PSV_SW_PNS1_23onesweep_lookback_stateEbbT6_jjT7_P12ihipStream_tbENKUlT_T0_SK_SP_E_clIPjSE_SF_SF_EEDaS13_S14_SK_SP_EUlS13_E_NS1_11comp_targetILNS1_3genE2ELNS1_11target_archE906ELNS1_3gpuE6ELNS1_3repE0EEENS1_47radix_sort_onesweep_sort_config_static_selectorELNS0_4arch9wavefront6targetE1EEEvSK_,comdat
	.protected	_ZN7rocprim17ROCPRIM_400000_NS6detail17trampoline_kernelINS0_14default_configENS1_35radix_sort_onesweep_config_selectorIjNS0_10empty_typeEEEZZNS1_29radix_sort_onesweep_iterationIS3_Lb0EN6thrust23THRUST_200600_302600_NS6detail15normal_iteratorINS9_10device_ptrIjEEEESE_PS5_SF_jNS0_19identity_decomposerENS1_16block_id_wrapperIjLb1EEEEE10hipError_tT1_PNSt15iterator_traitsISK_E10value_typeET2_T3_PNSL_ISQ_E10value_typeET4_T5_PSV_SW_PNS1_23onesweep_lookback_stateEbbT6_jjT7_P12ihipStream_tbENKUlT_T0_SK_SP_E_clIPjSE_SF_SF_EEDaS13_S14_SK_SP_EUlS13_E_NS1_11comp_targetILNS1_3genE2ELNS1_11target_archE906ELNS1_3gpuE6ELNS1_3repE0EEENS1_47radix_sort_onesweep_sort_config_static_selectorELNS0_4arch9wavefront6targetE1EEEvSK_ ; -- Begin function _ZN7rocprim17ROCPRIM_400000_NS6detail17trampoline_kernelINS0_14default_configENS1_35radix_sort_onesweep_config_selectorIjNS0_10empty_typeEEEZZNS1_29radix_sort_onesweep_iterationIS3_Lb0EN6thrust23THRUST_200600_302600_NS6detail15normal_iteratorINS9_10device_ptrIjEEEESE_PS5_SF_jNS0_19identity_decomposerENS1_16block_id_wrapperIjLb1EEEEE10hipError_tT1_PNSt15iterator_traitsISK_E10value_typeET2_T3_PNSL_ISQ_E10value_typeET4_T5_PSV_SW_PNS1_23onesweep_lookback_stateEbbT6_jjT7_P12ihipStream_tbENKUlT_T0_SK_SP_E_clIPjSE_SF_SF_EEDaS13_S14_SK_SP_EUlS13_E_NS1_11comp_targetILNS1_3genE2ELNS1_11target_archE906ELNS1_3gpuE6ELNS1_3repE0EEENS1_47radix_sort_onesweep_sort_config_static_selectorELNS0_4arch9wavefront6targetE1EEEvSK_
	.globl	_ZN7rocprim17ROCPRIM_400000_NS6detail17trampoline_kernelINS0_14default_configENS1_35radix_sort_onesweep_config_selectorIjNS0_10empty_typeEEEZZNS1_29radix_sort_onesweep_iterationIS3_Lb0EN6thrust23THRUST_200600_302600_NS6detail15normal_iteratorINS9_10device_ptrIjEEEESE_PS5_SF_jNS0_19identity_decomposerENS1_16block_id_wrapperIjLb1EEEEE10hipError_tT1_PNSt15iterator_traitsISK_E10value_typeET2_T3_PNSL_ISQ_E10value_typeET4_T5_PSV_SW_PNS1_23onesweep_lookback_stateEbbT6_jjT7_P12ihipStream_tbENKUlT_T0_SK_SP_E_clIPjSE_SF_SF_EEDaS13_S14_SK_SP_EUlS13_E_NS1_11comp_targetILNS1_3genE2ELNS1_11target_archE906ELNS1_3gpuE6ELNS1_3repE0EEENS1_47radix_sort_onesweep_sort_config_static_selectorELNS0_4arch9wavefront6targetE1EEEvSK_
	.p2align	8
	.type	_ZN7rocprim17ROCPRIM_400000_NS6detail17trampoline_kernelINS0_14default_configENS1_35radix_sort_onesweep_config_selectorIjNS0_10empty_typeEEEZZNS1_29radix_sort_onesweep_iterationIS3_Lb0EN6thrust23THRUST_200600_302600_NS6detail15normal_iteratorINS9_10device_ptrIjEEEESE_PS5_SF_jNS0_19identity_decomposerENS1_16block_id_wrapperIjLb1EEEEE10hipError_tT1_PNSt15iterator_traitsISK_E10value_typeET2_T3_PNSL_ISQ_E10value_typeET4_T5_PSV_SW_PNS1_23onesweep_lookback_stateEbbT6_jjT7_P12ihipStream_tbENKUlT_T0_SK_SP_E_clIPjSE_SF_SF_EEDaS13_S14_SK_SP_EUlS13_E_NS1_11comp_targetILNS1_3genE2ELNS1_11target_archE906ELNS1_3gpuE6ELNS1_3repE0EEENS1_47radix_sort_onesweep_sort_config_static_selectorELNS0_4arch9wavefront6targetE1EEEvSK_,@function
_ZN7rocprim17ROCPRIM_400000_NS6detail17trampoline_kernelINS0_14default_configENS1_35radix_sort_onesweep_config_selectorIjNS0_10empty_typeEEEZZNS1_29radix_sort_onesweep_iterationIS3_Lb0EN6thrust23THRUST_200600_302600_NS6detail15normal_iteratorINS9_10device_ptrIjEEEESE_PS5_SF_jNS0_19identity_decomposerENS1_16block_id_wrapperIjLb1EEEEE10hipError_tT1_PNSt15iterator_traitsISK_E10value_typeET2_T3_PNSL_ISQ_E10value_typeET4_T5_PSV_SW_PNS1_23onesweep_lookback_stateEbbT6_jjT7_P12ihipStream_tbENKUlT_T0_SK_SP_E_clIPjSE_SF_SF_EEDaS13_S14_SK_SP_EUlS13_E_NS1_11comp_targetILNS1_3genE2ELNS1_11target_archE906ELNS1_3gpuE6ELNS1_3repE0EEENS1_47radix_sort_onesweep_sort_config_static_selectorELNS0_4arch9wavefront6targetE1EEEvSK_: ; @_ZN7rocprim17ROCPRIM_400000_NS6detail17trampoline_kernelINS0_14default_configENS1_35radix_sort_onesweep_config_selectorIjNS0_10empty_typeEEEZZNS1_29radix_sort_onesweep_iterationIS3_Lb0EN6thrust23THRUST_200600_302600_NS6detail15normal_iteratorINS9_10device_ptrIjEEEESE_PS5_SF_jNS0_19identity_decomposerENS1_16block_id_wrapperIjLb1EEEEE10hipError_tT1_PNSt15iterator_traitsISK_E10value_typeET2_T3_PNSL_ISQ_E10value_typeET4_T5_PSV_SW_PNS1_23onesweep_lookback_stateEbbT6_jjT7_P12ihipStream_tbENKUlT_T0_SK_SP_E_clIPjSE_SF_SF_EEDaS13_S14_SK_SP_EUlS13_E_NS1_11comp_targetILNS1_3genE2ELNS1_11target_archE906ELNS1_3gpuE6ELNS1_3repE0EEENS1_47radix_sort_onesweep_sort_config_static_selectorELNS0_4arch9wavefront6targetE1EEEvSK_
; %bb.0:
	.section	.rodata,"a",@progbits
	.p2align	6, 0x0
	.amdhsa_kernel _ZN7rocprim17ROCPRIM_400000_NS6detail17trampoline_kernelINS0_14default_configENS1_35radix_sort_onesweep_config_selectorIjNS0_10empty_typeEEEZZNS1_29radix_sort_onesweep_iterationIS3_Lb0EN6thrust23THRUST_200600_302600_NS6detail15normal_iteratorINS9_10device_ptrIjEEEESE_PS5_SF_jNS0_19identity_decomposerENS1_16block_id_wrapperIjLb1EEEEE10hipError_tT1_PNSt15iterator_traitsISK_E10value_typeET2_T3_PNSL_ISQ_E10value_typeET4_T5_PSV_SW_PNS1_23onesweep_lookback_stateEbbT6_jjT7_P12ihipStream_tbENKUlT_T0_SK_SP_E_clIPjSE_SF_SF_EEDaS13_S14_SK_SP_EUlS13_E_NS1_11comp_targetILNS1_3genE2ELNS1_11target_archE906ELNS1_3gpuE6ELNS1_3repE0EEENS1_47radix_sort_onesweep_sort_config_static_selectorELNS0_4arch9wavefront6targetE1EEEvSK_
		.amdhsa_group_segment_fixed_size 0
		.amdhsa_private_segment_fixed_size 0
		.amdhsa_kernarg_size 88
		.amdhsa_user_sgpr_count 2
		.amdhsa_user_sgpr_dispatch_ptr 0
		.amdhsa_user_sgpr_queue_ptr 0
		.amdhsa_user_sgpr_kernarg_segment_ptr 1
		.amdhsa_user_sgpr_dispatch_id 0
		.amdhsa_user_sgpr_kernarg_preload_length 0
		.amdhsa_user_sgpr_kernarg_preload_offset 0
		.amdhsa_user_sgpr_private_segment_size 0
		.amdhsa_uses_dynamic_stack 0
		.amdhsa_enable_private_segment 0
		.amdhsa_system_sgpr_workgroup_id_x 1
		.amdhsa_system_sgpr_workgroup_id_y 0
		.amdhsa_system_sgpr_workgroup_id_z 0
		.amdhsa_system_sgpr_workgroup_info 0
		.amdhsa_system_vgpr_workitem_id 0
		.amdhsa_next_free_vgpr 1
		.amdhsa_next_free_sgpr 0
		.amdhsa_accum_offset 4
		.amdhsa_reserve_vcc 0
		.amdhsa_float_round_mode_32 0
		.amdhsa_float_round_mode_16_64 0
		.amdhsa_float_denorm_mode_32 3
		.amdhsa_float_denorm_mode_16_64 3
		.amdhsa_dx10_clamp 1
		.amdhsa_ieee_mode 1
		.amdhsa_fp16_overflow 0
		.amdhsa_tg_split 0
		.amdhsa_exception_fp_ieee_invalid_op 0
		.amdhsa_exception_fp_denorm_src 0
		.amdhsa_exception_fp_ieee_div_zero 0
		.amdhsa_exception_fp_ieee_overflow 0
		.amdhsa_exception_fp_ieee_underflow 0
		.amdhsa_exception_fp_ieee_inexact 0
		.amdhsa_exception_int_div_zero 0
	.end_amdhsa_kernel
	.section	.text._ZN7rocprim17ROCPRIM_400000_NS6detail17trampoline_kernelINS0_14default_configENS1_35radix_sort_onesweep_config_selectorIjNS0_10empty_typeEEEZZNS1_29radix_sort_onesweep_iterationIS3_Lb0EN6thrust23THRUST_200600_302600_NS6detail15normal_iteratorINS9_10device_ptrIjEEEESE_PS5_SF_jNS0_19identity_decomposerENS1_16block_id_wrapperIjLb1EEEEE10hipError_tT1_PNSt15iterator_traitsISK_E10value_typeET2_T3_PNSL_ISQ_E10value_typeET4_T5_PSV_SW_PNS1_23onesweep_lookback_stateEbbT6_jjT7_P12ihipStream_tbENKUlT_T0_SK_SP_E_clIPjSE_SF_SF_EEDaS13_S14_SK_SP_EUlS13_E_NS1_11comp_targetILNS1_3genE2ELNS1_11target_archE906ELNS1_3gpuE6ELNS1_3repE0EEENS1_47radix_sort_onesweep_sort_config_static_selectorELNS0_4arch9wavefront6targetE1EEEvSK_,"axG",@progbits,_ZN7rocprim17ROCPRIM_400000_NS6detail17trampoline_kernelINS0_14default_configENS1_35radix_sort_onesweep_config_selectorIjNS0_10empty_typeEEEZZNS1_29radix_sort_onesweep_iterationIS3_Lb0EN6thrust23THRUST_200600_302600_NS6detail15normal_iteratorINS9_10device_ptrIjEEEESE_PS5_SF_jNS0_19identity_decomposerENS1_16block_id_wrapperIjLb1EEEEE10hipError_tT1_PNSt15iterator_traitsISK_E10value_typeET2_T3_PNSL_ISQ_E10value_typeET4_T5_PSV_SW_PNS1_23onesweep_lookback_stateEbbT6_jjT7_P12ihipStream_tbENKUlT_T0_SK_SP_E_clIPjSE_SF_SF_EEDaS13_S14_SK_SP_EUlS13_E_NS1_11comp_targetILNS1_3genE2ELNS1_11target_archE906ELNS1_3gpuE6ELNS1_3repE0EEENS1_47radix_sort_onesweep_sort_config_static_selectorELNS0_4arch9wavefront6targetE1EEEvSK_,comdat
.Lfunc_end1122:
	.size	_ZN7rocprim17ROCPRIM_400000_NS6detail17trampoline_kernelINS0_14default_configENS1_35radix_sort_onesweep_config_selectorIjNS0_10empty_typeEEEZZNS1_29radix_sort_onesweep_iterationIS3_Lb0EN6thrust23THRUST_200600_302600_NS6detail15normal_iteratorINS9_10device_ptrIjEEEESE_PS5_SF_jNS0_19identity_decomposerENS1_16block_id_wrapperIjLb1EEEEE10hipError_tT1_PNSt15iterator_traitsISK_E10value_typeET2_T3_PNSL_ISQ_E10value_typeET4_T5_PSV_SW_PNS1_23onesweep_lookback_stateEbbT6_jjT7_P12ihipStream_tbENKUlT_T0_SK_SP_E_clIPjSE_SF_SF_EEDaS13_S14_SK_SP_EUlS13_E_NS1_11comp_targetILNS1_3genE2ELNS1_11target_archE906ELNS1_3gpuE6ELNS1_3repE0EEENS1_47radix_sort_onesweep_sort_config_static_selectorELNS0_4arch9wavefront6targetE1EEEvSK_, .Lfunc_end1122-_ZN7rocprim17ROCPRIM_400000_NS6detail17trampoline_kernelINS0_14default_configENS1_35radix_sort_onesweep_config_selectorIjNS0_10empty_typeEEEZZNS1_29radix_sort_onesweep_iterationIS3_Lb0EN6thrust23THRUST_200600_302600_NS6detail15normal_iteratorINS9_10device_ptrIjEEEESE_PS5_SF_jNS0_19identity_decomposerENS1_16block_id_wrapperIjLb1EEEEE10hipError_tT1_PNSt15iterator_traitsISK_E10value_typeET2_T3_PNSL_ISQ_E10value_typeET4_T5_PSV_SW_PNS1_23onesweep_lookback_stateEbbT6_jjT7_P12ihipStream_tbENKUlT_T0_SK_SP_E_clIPjSE_SF_SF_EEDaS13_S14_SK_SP_EUlS13_E_NS1_11comp_targetILNS1_3genE2ELNS1_11target_archE906ELNS1_3gpuE6ELNS1_3repE0EEENS1_47radix_sort_onesweep_sort_config_static_selectorELNS0_4arch9wavefront6targetE1EEEvSK_
                                        ; -- End function
	.section	.AMDGPU.csdata,"",@progbits
; Kernel info:
; codeLenInByte = 0
; NumSgprs: 6
; NumVgprs: 0
; NumAgprs: 0
; TotalNumVgprs: 0
; ScratchSize: 0
; MemoryBound: 0
; FloatMode: 240
; IeeeMode: 1
; LDSByteSize: 0 bytes/workgroup (compile time only)
; SGPRBlocks: 0
; VGPRBlocks: 0
; NumSGPRsForWavesPerEU: 6
; NumVGPRsForWavesPerEU: 1
; AccumOffset: 4
; Occupancy: 8
; WaveLimiterHint : 0
; COMPUTE_PGM_RSRC2:SCRATCH_EN: 0
; COMPUTE_PGM_RSRC2:USER_SGPR: 2
; COMPUTE_PGM_RSRC2:TRAP_HANDLER: 0
; COMPUTE_PGM_RSRC2:TGID_X_EN: 1
; COMPUTE_PGM_RSRC2:TGID_Y_EN: 0
; COMPUTE_PGM_RSRC2:TGID_Z_EN: 0
; COMPUTE_PGM_RSRC2:TIDIG_COMP_CNT: 0
; COMPUTE_PGM_RSRC3_GFX90A:ACCUM_OFFSET: 0
; COMPUTE_PGM_RSRC3_GFX90A:TG_SPLIT: 0
	.section	.text._ZN7rocprim17ROCPRIM_400000_NS6detail17trampoline_kernelINS0_14default_configENS1_35radix_sort_onesweep_config_selectorIjNS0_10empty_typeEEEZZNS1_29radix_sort_onesweep_iterationIS3_Lb0EN6thrust23THRUST_200600_302600_NS6detail15normal_iteratorINS9_10device_ptrIjEEEESE_PS5_SF_jNS0_19identity_decomposerENS1_16block_id_wrapperIjLb1EEEEE10hipError_tT1_PNSt15iterator_traitsISK_E10value_typeET2_T3_PNSL_ISQ_E10value_typeET4_T5_PSV_SW_PNS1_23onesweep_lookback_stateEbbT6_jjT7_P12ihipStream_tbENKUlT_T0_SK_SP_E_clIPjSE_SF_SF_EEDaS13_S14_SK_SP_EUlS13_E_NS1_11comp_targetILNS1_3genE4ELNS1_11target_archE910ELNS1_3gpuE8ELNS1_3repE0EEENS1_47radix_sort_onesweep_sort_config_static_selectorELNS0_4arch9wavefront6targetE1EEEvSK_,"axG",@progbits,_ZN7rocprim17ROCPRIM_400000_NS6detail17trampoline_kernelINS0_14default_configENS1_35radix_sort_onesweep_config_selectorIjNS0_10empty_typeEEEZZNS1_29radix_sort_onesweep_iterationIS3_Lb0EN6thrust23THRUST_200600_302600_NS6detail15normal_iteratorINS9_10device_ptrIjEEEESE_PS5_SF_jNS0_19identity_decomposerENS1_16block_id_wrapperIjLb1EEEEE10hipError_tT1_PNSt15iterator_traitsISK_E10value_typeET2_T3_PNSL_ISQ_E10value_typeET4_T5_PSV_SW_PNS1_23onesweep_lookback_stateEbbT6_jjT7_P12ihipStream_tbENKUlT_T0_SK_SP_E_clIPjSE_SF_SF_EEDaS13_S14_SK_SP_EUlS13_E_NS1_11comp_targetILNS1_3genE4ELNS1_11target_archE910ELNS1_3gpuE8ELNS1_3repE0EEENS1_47radix_sort_onesweep_sort_config_static_selectorELNS0_4arch9wavefront6targetE1EEEvSK_,comdat
	.protected	_ZN7rocprim17ROCPRIM_400000_NS6detail17trampoline_kernelINS0_14default_configENS1_35radix_sort_onesweep_config_selectorIjNS0_10empty_typeEEEZZNS1_29radix_sort_onesweep_iterationIS3_Lb0EN6thrust23THRUST_200600_302600_NS6detail15normal_iteratorINS9_10device_ptrIjEEEESE_PS5_SF_jNS0_19identity_decomposerENS1_16block_id_wrapperIjLb1EEEEE10hipError_tT1_PNSt15iterator_traitsISK_E10value_typeET2_T3_PNSL_ISQ_E10value_typeET4_T5_PSV_SW_PNS1_23onesweep_lookback_stateEbbT6_jjT7_P12ihipStream_tbENKUlT_T0_SK_SP_E_clIPjSE_SF_SF_EEDaS13_S14_SK_SP_EUlS13_E_NS1_11comp_targetILNS1_3genE4ELNS1_11target_archE910ELNS1_3gpuE8ELNS1_3repE0EEENS1_47radix_sort_onesweep_sort_config_static_selectorELNS0_4arch9wavefront6targetE1EEEvSK_ ; -- Begin function _ZN7rocprim17ROCPRIM_400000_NS6detail17trampoline_kernelINS0_14default_configENS1_35radix_sort_onesweep_config_selectorIjNS0_10empty_typeEEEZZNS1_29radix_sort_onesweep_iterationIS3_Lb0EN6thrust23THRUST_200600_302600_NS6detail15normal_iteratorINS9_10device_ptrIjEEEESE_PS5_SF_jNS0_19identity_decomposerENS1_16block_id_wrapperIjLb1EEEEE10hipError_tT1_PNSt15iterator_traitsISK_E10value_typeET2_T3_PNSL_ISQ_E10value_typeET4_T5_PSV_SW_PNS1_23onesweep_lookback_stateEbbT6_jjT7_P12ihipStream_tbENKUlT_T0_SK_SP_E_clIPjSE_SF_SF_EEDaS13_S14_SK_SP_EUlS13_E_NS1_11comp_targetILNS1_3genE4ELNS1_11target_archE910ELNS1_3gpuE8ELNS1_3repE0EEENS1_47radix_sort_onesweep_sort_config_static_selectorELNS0_4arch9wavefront6targetE1EEEvSK_
	.globl	_ZN7rocprim17ROCPRIM_400000_NS6detail17trampoline_kernelINS0_14default_configENS1_35radix_sort_onesweep_config_selectorIjNS0_10empty_typeEEEZZNS1_29radix_sort_onesweep_iterationIS3_Lb0EN6thrust23THRUST_200600_302600_NS6detail15normal_iteratorINS9_10device_ptrIjEEEESE_PS5_SF_jNS0_19identity_decomposerENS1_16block_id_wrapperIjLb1EEEEE10hipError_tT1_PNSt15iterator_traitsISK_E10value_typeET2_T3_PNSL_ISQ_E10value_typeET4_T5_PSV_SW_PNS1_23onesweep_lookback_stateEbbT6_jjT7_P12ihipStream_tbENKUlT_T0_SK_SP_E_clIPjSE_SF_SF_EEDaS13_S14_SK_SP_EUlS13_E_NS1_11comp_targetILNS1_3genE4ELNS1_11target_archE910ELNS1_3gpuE8ELNS1_3repE0EEENS1_47radix_sort_onesweep_sort_config_static_selectorELNS0_4arch9wavefront6targetE1EEEvSK_
	.p2align	8
	.type	_ZN7rocprim17ROCPRIM_400000_NS6detail17trampoline_kernelINS0_14default_configENS1_35radix_sort_onesweep_config_selectorIjNS0_10empty_typeEEEZZNS1_29radix_sort_onesweep_iterationIS3_Lb0EN6thrust23THRUST_200600_302600_NS6detail15normal_iteratorINS9_10device_ptrIjEEEESE_PS5_SF_jNS0_19identity_decomposerENS1_16block_id_wrapperIjLb1EEEEE10hipError_tT1_PNSt15iterator_traitsISK_E10value_typeET2_T3_PNSL_ISQ_E10value_typeET4_T5_PSV_SW_PNS1_23onesweep_lookback_stateEbbT6_jjT7_P12ihipStream_tbENKUlT_T0_SK_SP_E_clIPjSE_SF_SF_EEDaS13_S14_SK_SP_EUlS13_E_NS1_11comp_targetILNS1_3genE4ELNS1_11target_archE910ELNS1_3gpuE8ELNS1_3repE0EEENS1_47radix_sort_onesweep_sort_config_static_selectorELNS0_4arch9wavefront6targetE1EEEvSK_,@function
_ZN7rocprim17ROCPRIM_400000_NS6detail17trampoline_kernelINS0_14default_configENS1_35radix_sort_onesweep_config_selectorIjNS0_10empty_typeEEEZZNS1_29radix_sort_onesweep_iterationIS3_Lb0EN6thrust23THRUST_200600_302600_NS6detail15normal_iteratorINS9_10device_ptrIjEEEESE_PS5_SF_jNS0_19identity_decomposerENS1_16block_id_wrapperIjLb1EEEEE10hipError_tT1_PNSt15iterator_traitsISK_E10value_typeET2_T3_PNSL_ISQ_E10value_typeET4_T5_PSV_SW_PNS1_23onesweep_lookback_stateEbbT6_jjT7_P12ihipStream_tbENKUlT_T0_SK_SP_E_clIPjSE_SF_SF_EEDaS13_S14_SK_SP_EUlS13_E_NS1_11comp_targetILNS1_3genE4ELNS1_11target_archE910ELNS1_3gpuE8ELNS1_3repE0EEENS1_47radix_sort_onesweep_sort_config_static_selectorELNS0_4arch9wavefront6targetE1EEEvSK_: ; @_ZN7rocprim17ROCPRIM_400000_NS6detail17trampoline_kernelINS0_14default_configENS1_35radix_sort_onesweep_config_selectorIjNS0_10empty_typeEEEZZNS1_29radix_sort_onesweep_iterationIS3_Lb0EN6thrust23THRUST_200600_302600_NS6detail15normal_iteratorINS9_10device_ptrIjEEEESE_PS5_SF_jNS0_19identity_decomposerENS1_16block_id_wrapperIjLb1EEEEE10hipError_tT1_PNSt15iterator_traitsISK_E10value_typeET2_T3_PNSL_ISQ_E10value_typeET4_T5_PSV_SW_PNS1_23onesweep_lookback_stateEbbT6_jjT7_P12ihipStream_tbENKUlT_T0_SK_SP_E_clIPjSE_SF_SF_EEDaS13_S14_SK_SP_EUlS13_E_NS1_11comp_targetILNS1_3genE4ELNS1_11target_archE910ELNS1_3gpuE8ELNS1_3repE0EEENS1_47radix_sort_onesweep_sort_config_static_selectorELNS0_4arch9wavefront6targetE1EEEvSK_
; %bb.0:
	.section	.rodata,"a",@progbits
	.p2align	6, 0x0
	.amdhsa_kernel _ZN7rocprim17ROCPRIM_400000_NS6detail17trampoline_kernelINS0_14default_configENS1_35radix_sort_onesweep_config_selectorIjNS0_10empty_typeEEEZZNS1_29radix_sort_onesweep_iterationIS3_Lb0EN6thrust23THRUST_200600_302600_NS6detail15normal_iteratorINS9_10device_ptrIjEEEESE_PS5_SF_jNS0_19identity_decomposerENS1_16block_id_wrapperIjLb1EEEEE10hipError_tT1_PNSt15iterator_traitsISK_E10value_typeET2_T3_PNSL_ISQ_E10value_typeET4_T5_PSV_SW_PNS1_23onesweep_lookback_stateEbbT6_jjT7_P12ihipStream_tbENKUlT_T0_SK_SP_E_clIPjSE_SF_SF_EEDaS13_S14_SK_SP_EUlS13_E_NS1_11comp_targetILNS1_3genE4ELNS1_11target_archE910ELNS1_3gpuE8ELNS1_3repE0EEENS1_47radix_sort_onesweep_sort_config_static_selectorELNS0_4arch9wavefront6targetE1EEEvSK_
		.amdhsa_group_segment_fixed_size 0
		.amdhsa_private_segment_fixed_size 0
		.amdhsa_kernarg_size 88
		.amdhsa_user_sgpr_count 2
		.amdhsa_user_sgpr_dispatch_ptr 0
		.amdhsa_user_sgpr_queue_ptr 0
		.amdhsa_user_sgpr_kernarg_segment_ptr 1
		.amdhsa_user_sgpr_dispatch_id 0
		.amdhsa_user_sgpr_kernarg_preload_length 0
		.amdhsa_user_sgpr_kernarg_preload_offset 0
		.amdhsa_user_sgpr_private_segment_size 0
		.amdhsa_uses_dynamic_stack 0
		.amdhsa_enable_private_segment 0
		.amdhsa_system_sgpr_workgroup_id_x 1
		.amdhsa_system_sgpr_workgroup_id_y 0
		.amdhsa_system_sgpr_workgroup_id_z 0
		.amdhsa_system_sgpr_workgroup_info 0
		.amdhsa_system_vgpr_workitem_id 0
		.amdhsa_next_free_vgpr 1
		.amdhsa_next_free_sgpr 0
		.amdhsa_accum_offset 4
		.amdhsa_reserve_vcc 0
		.amdhsa_float_round_mode_32 0
		.amdhsa_float_round_mode_16_64 0
		.amdhsa_float_denorm_mode_32 3
		.amdhsa_float_denorm_mode_16_64 3
		.amdhsa_dx10_clamp 1
		.amdhsa_ieee_mode 1
		.amdhsa_fp16_overflow 0
		.amdhsa_tg_split 0
		.amdhsa_exception_fp_ieee_invalid_op 0
		.amdhsa_exception_fp_denorm_src 0
		.amdhsa_exception_fp_ieee_div_zero 0
		.amdhsa_exception_fp_ieee_overflow 0
		.amdhsa_exception_fp_ieee_underflow 0
		.amdhsa_exception_fp_ieee_inexact 0
		.amdhsa_exception_int_div_zero 0
	.end_amdhsa_kernel
	.section	.text._ZN7rocprim17ROCPRIM_400000_NS6detail17trampoline_kernelINS0_14default_configENS1_35radix_sort_onesweep_config_selectorIjNS0_10empty_typeEEEZZNS1_29radix_sort_onesweep_iterationIS3_Lb0EN6thrust23THRUST_200600_302600_NS6detail15normal_iteratorINS9_10device_ptrIjEEEESE_PS5_SF_jNS0_19identity_decomposerENS1_16block_id_wrapperIjLb1EEEEE10hipError_tT1_PNSt15iterator_traitsISK_E10value_typeET2_T3_PNSL_ISQ_E10value_typeET4_T5_PSV_SW_PNS1_23onesweep_lookback_stateEbbT6_jjT7_P12ihipStream_tbENKUlT_T0_SK_SP_E_clIPjSE_SF_SF_EEDaS13_S14_SK_SP_EUlS13_E_NS1_11comp_targetILNS1_3genE4ELNS1_11target_archE910ELNS1_3gpuE8ELNS1_3repE0EEENS1_47radix_sort_onesweep_sort_config_static_selectorELNS0_4arch9wavefront6targetE1EEEvSK_,"axG",@progbits,_ZN7rocprim17ROCPRIM_400000_NS6detail17trampoline_kernelINS0_14default_configENS1_35radix_sort_onesweep_config_selectorIjNS0_10empty_typeEEEZZNS1_29radix_sort_onesweep_iterationIS3_Lb0EN6thrust23THRUST_200600_302600_NS6detail15normal_iteratorINS9_10device_ptrIjEEEESE_PS5_SF_jNS0_19identity_decomposerENS1_16block_id_wrapperIjLb1EEEEE10hipError_tT1_PNSt15iterator_traitsISK_E10value_typeET2_T3_PNSL_ISQ_E10value_typeET4_T5_PSV_SW_PNS1_23onesweep_lookback_stateEbbT6_jjT7_P12ihipStream_tbENKUlT_T0_SK_SP_E_clIPjSE_SF_SF_EEDaS13_S14_SK_SP_EUlS13_E_NS1_11comp_targetILNS1_3genE4ELNS1_11target_archE910ELNS1_3gpuE8ELNS1_3repE0EEENS1_47radix_sort_onesweep_sort_config_static_selectorELNS0_4arch9wavefront6targetE1EEEvSK_,comdat
.Lfunc_end1123:
	.size	_ZN7rocprim17ROCPRIM_400000_NS6detail17trampoline_kernelINS0_14default_configENS1_35radix_sort_onesweep_config_selectorIjNS0_10empty_typeEEEZZNS1_29radix_sort_onesweep_iterationIS3_Lb0EN6thrust23THRUST_200600_302600_NS6detail15normal_iteratorINS9_10device_ptrIjEEEESE_PS5_SF_jNS0_19identity_decomposerENS1_16block_id_wrapperIjLb1EEEEE10hipError_tT1_PNSt15iterator_traitsISK_E10value_typeET2_T3_PNSL_ISQ_E10value_typeET4_T5_PSV_SW_PNS1_23onesweep_lookback_stateEbbT6_jjT7_P12ihipStream_tbENKUlT_T0_SK_SP_E_clIPjSE_SF_SF_EEDaS13_S14_SK_SP_EUlS13_E_NS1_11comp_targetILNS1_3genE4ELNS1_11target_archE910ELNS1_3gpuE8ELNS1_3repE0EEENS1_47radix_sort_onesweep_sort_config_static_selectorELNS0_4arch9wavefront6targetE1EEEvSK_, .Lfunc_end1123-_ZN7rocprim17ROCPRIM_400000_NS6detail17trampoline_kernelINS0_14default_configENS1_35radix_sort_onesweep_config_selectorIjNS0_10empty_typeEEEZZNS1_29radix_sort_onesweep_iterationIS3_Lb0EN6thrust23THRUST_200600_302600_NS6detail15normal_iteratorINS9_10device_ptrIjEEEESE_PS5_SF_jNS0_19identity_decomposerENS1_16block_id_wrapperIjLb1EEEEE10hipError_tT1_PNSt15iterator_traitsISK_E10value_typeET2_T3_PNSL_ISQ_E10value_typeET4_T5_PSV_SW_PNS1_23onesweep_lookback_stateEbbT6_jjT7_P12ihipStream_tbENKUlT_T0_SK_SP_E_clIPjSE_SF_SF_EEDaS13_S14_SK_SP_EUlS13_E_NS1_11comp_targetILNS1_3genE4ELNS1_11target_archE910ELNS1_3gpuE8ELNS1_3repE0EEENS1_47radix_sort_onesweep_sort_config_static_selectorELNS0_4arch9wavefront6targetE1EEEvSK_
                                        ; -- End function
	.section	.AMDGPU.csdata,"",@progbits
; Kernel info:
; codeLenInByte = 0
; NumSgprs: 6
; NumVgprs: 0
; NumAgprs: 0
; TotalNumVgprs: 0
; ScratchSize: 0
; MemoryBound: 0
; FloatMode: 240
; IeeeMode: 1
; LDSByteSize: 0 bytes/workgroup (compile time only)
; SGPRBlocks: 0
; VGPRBlocks: 0
; NumSGPRsForWavesPerEU: 6
; NumVGPRsForWavesPerEU: 1
; AccumOffset: 4
; Occupancy: 8
; WaveLimiterHint : 0
; COMPUTE_PGM_RSRC2:SCRATCH_EN: 0
; COMPUTE_PGM_RSRC2:USER_SGPR: 2
; COMPUTE_PGM_RSRC2:TRAP_HANDLER: 0
; COMPUTE_PGM_RSRC2:TGID_X_EN: 1
; COMPUTE_PGM_RSRC2:TGID_Y_EN: 0
; COMPUTE_PGM_RSRC2:TGID_Z_EN: 0
; COMPUTE_PGM_RSRC2:TIDIG_COMP_CNT: 0
; COMPUTE_PGM_RSRC3_GFX90A:ACCUM_OFFSET: 0
; COMPUTE_PGM_RSRC3_GFX90A:TG_SPLIT: 0
	.section	.text._ZN7rocprim17ROCPRIM_400000_NS6detail17trampoline_kernelINS0_14default_configENS1_35radix_sort_onesweep_config_selectorIjNS0_10empty_typeEEEZZNS1_29radix_sort_onesweep_iterationIS3_Lb0EN6thrust23THRUST_200600_302600_NS6detail15normal_iteratorINS9_10device_ptrIjEEEESE_PS5_SF_jNS0_19identity_decomposerENS1_16block_id_wrapperIjLb1EEEEE10hipError_tT1_PNSt15iterator_traitsISK_E10value_typeET2_T3_PNSL_ISQ_E10value_typeET4_T5_PSV_SW_PNS1_23onesweep_lookback_stateEbbT6_jjT7_P12ihipStream_tbENKUlT_T0_SK_SP_E_clIPjSE_SF_SF_EEDaS13_S14_SK_SP_EUlS13_E_NS1_11comp_targetILNS1_3genE3ELNS1_11target_archE908ELNS1_3gpuE7ELNS1_3repE0EEENS1_47radix_sort_onesweep_sort_config_static_selectorELNS0_4arch9wavefront6targetE1EEEvSK_,"axG",@progbits,_ZN7rocprim17ROCPRIM_400000_NS6detail17trampoline_kernelINS0_14default_configENS1_35radix_sort_onesweep_config_selectorIjNS0_10empty_typeEEEZZNS1_29radix_sort_onesweep_iterationIS3_Lb0EN6thrust23THRUST_200600_302600_NS6detail15normal_iteratorINS9_10device_ptrIjEEEESE_PS5_SF_jNS0_19identity_decomposerENS1_16block_id_wrapperIjLb1EEEEE10hipError_tT1_PNSt15iterator_traitsISK_E10value_typeET2_T3_PNSL_ISQ_E10value_typeET4_T5_PSV_SW_PNS1_23onesweep_lookback_stateEbbT6_jjT7_P12ihipStream_tbENKUlT_T0_SK_SP_E_clIPjSE_SF_SF_EEDaS13_S14_SK_SP_EUlS13_E_NS1_11comp_targetILNS1_3genE3ELNS1_11target_archE908ELNS1_3gpuE7ELNS1_3repE0EEENS1_47radix_sort_onesweep_sort_config_static_selectorELNS0_4arch9wavefront6targetE1EEEvSK_,comdat
	.protected	_ZN7rocprim17ROCPRIM_400000_NS6detail17trampoline_kernelINS0_14default_configENS1_35radix_sort_onesweep_config_selectorIjNS0_10empty_typeEEEZZNS1_29radix_sort_onesweep_iterationIS3_Lb0EN6thrust23THRUST_200600_302600_NS6detail15normal_iteratorINS9_10device_ptrIjEEEESE_PS5_SF_jNS0_19identity_decomposerENS1_16block_id_wrapperIjLb1EEEEE10hipError_tT1_PNSt15iterator_traitsISK_E10value_typeET2_T3_PNSL_ISQ_E10value_typeET4_T5_PSV_SW_PNS1_23onesweep_lookback_stateEbbT6_jjT7_P12ihipStream_tbENKUlT_T0_SK_SP_E_clIPjSE_SF_SF_EEDaS13_S14_SK_SP_EUlS13_E_NS1_11comp_targetILNS1_3genE3ELNS1_11target_archE908ELNS1_3gpuE7ELNS1_3repE0EEENS1_47radix_sort_onesweep_sort_config_static_selectorELNS0_4arch9wavefront6targetE1EEEvSK_ ; -- Begin function _ZN7rocprim17ROCPRIM_400000_NS6detail17trampoline_kernelINS0_14default_configENS1_35radix_sort_onesweep_config_selectorIjNS0_10empty_typeEEEZZNS1_29radix_sort_onesweep_iterationIS3_Lb0EN6thrust23THRUST_200600_302600_NS6detail15normal_iteratorINS9_10device_ptrIjEEEESE_PS5_SF_jNS0_19identity_decomposerENS1_16block_id_wrapperIjLb1EEEEE10hipError_tT1_PNSt15iterator_traitsISK_E10value_typeET2_T3_PNSL_ISQ_E10value_typeET4_T5_PSV_SW_PNS1_23onesweep_lookback_stateEbbT6_jjT7_P12ihipStream_tbENKUlT_T0_SK_SP_E_clIPjSE_SF_SF_EEDaS13_S14_SK_SP_EUlS13_E_NS1_11comp_targetILNS1_3genE3ELNS1_11target_archE908ELNS1_3gpuE7ELNS1_3repE0EEENS1_47radix_sort_onesweep_sort_config_static_selectorELNS0_4arch9wavefront6targetE1EEEvSK_
	.globl	_ZN7rocprim17ROCPRIM_400000_NS6detail17trampoline_kernelINS0_14default_configENS1_35radix_sort_onesweep_config_selectorIjNS0_10empty_typeEEEZZNS1_29radix_sort_onesweep_iterationIS3_Lb0EN6thrust23THRUST_200600_302600_NS6detail15normal_iteratorINS9_10device_ptrIjEEEESE_PS5_SF_jNS0_19identity_decomposerENS1_16block_id_wrapperIjLb1EEEEE10hipError_tT1_PNSt15iterator_traitsISK_E10value_typeET2_T3_PNSL_ISQ_E10value_typeET4_T5_PSV_SW_PNS1_23onesweep_lookback_stateEbbT6_jjT7_P12ihipStream_tbENKUlT_T0_SK_SP_E_clIPjSE_SF_SF_EEDaS13_S14_SK_SP_EUlS13_E_NS1_11comp_targetILNS1_3genE3ELNS1_11target_archE908ELNS1_3gpuE7ELNS1_3repE0EEENS1_47radix_sort_onesweep_sort_config_static_selectorELNS0_4arch9wavefront6targetE1EEEvSK_
	.p2align	8
	.type	_ZN7rocprim17ROCPRIM_400000_NS6detail17trampoline_kernelINS0_14default_configENS1_35radix_sort_onesweep_config_selectorIjNS0_10empty_typeEEEZZNS1_29radix_sort_onesweep_iterationIS3_Lb0EN6thrust23THRUST_200600_302600_NS6detail15normal_iteratorINS9_10device_ptrIjEEEESE_PS5_SF_jNS0_19identity_decomposerENS1_16block_id_wrapperIjLb1EEEEE10hipError_tT1_PNSt15iterator_traitsISK_E10value_typeET2_T3_PNSL_ISQ_E10value_typeET4_T5_PSV_SW_PNS1_23onesweep_lookback_stateEbbT6_jjT7_P12ihipStream_tbENKUlT_T0_SK_SP_E_clIPjSE_SF_SF_EEDaS13_S14_SK_SP_EUlS13_E_NS1_11comp_targetILNS1_3genE3ELNS1_11target_archE908ELNS1_3gpuE7ELNS1_3repE0EEENS1_47radix_sort_onesweep_sort_config_static_selectorELNS0_4arch9wavefront6targetE1EEEvSK_,@function
_ZN7rocprim17ROCPRIM_400000_NS6detail17trampoline_kernelINS0_14default_configENS1_35radix_sort_onesweep_config_selectorIjNS0_10empty_typeEEEZZNS1_29radix_sort_onesweep_iterationIS3_Lb0EN6thrust23THRUST_200600_302600_NS6detail15normal_iteratorINS9_10device_ptrIjEEEESE_PS5_SF_jNS0_19identity_decomposerENS1_16block_id_wrapperIjLb1EEEEE10hipError_tT1_PNSt15iterator_traitsISK_E10value_typeET2_T3_PNSL_ISQ_E10value_typeET4_T5_PSV_SW_PNS1_23onesweep_lookback_stateEbbT6_jjT7_P12ihipStream_tbENKUlT_T0_SK_SP_E_clIPjSE_SF_SF_EEDaS13_S14_SK_SP_EUlS13_E_NS1_11comp_targetILNS1_3genE3ELNS1_11target_archE908ELNS1_3gpuE7ELNS1_3repE0EEENS1_47radix_sort_onesweep_sort_config_static_selectorELNS0_4arch9wavefront6targetE1EEEvSK_: ; @_ZN7rocprim17ROCPRIM_400000_NS6detail17trampoline_kernelINS0_14default_configENS1_35radix_sort_onesweep_config_selectorIjNS0_10empty_typeEEEZZNS1_29radix_sort_onesweep_iterationIS3_Lb0EN6thrust23THRUST_200600_302600_NS6detail15normal_iteratorINS9_10device_ptrIjEEEESE_PS5_SF_jNS0_19identity_decomposerENS1_16block_id_wrapperIjLb1EEEEE10hipError_tT1_PNSt15iterator_traitsISK_E10value_typeET2_T3_PNSL_ISQ_E10value_typeET4_T5_PSV_SW_PNS1_23onesweep_lookback_stateEbbT6_jjT7_P12ihipStream_tbENKUlT_T0_SK_SP_E_clIPjSE_SF_SF_EEDaS13_S14_SK_SP_EUlS13_E_NS1_11comp_targetILNS1_3genE3ELNS1_11target_archE908ELNS1_3gpuE7ELNS1_3repE0EEENS1_47radix_sort_onesweep_sort_config_static_selectorELNS0_4arch9wavefront6targetE1EEEvSK_
; %bb.0:
	.section	.rodata,"a",@progbits
	.p2align	6, 0x0
	.amdhsa_kernel _ZN7rocprim17ROCPRIM_400000_NS6detail17trampoline_kernelINS0_14default_configENS1_35radix_sort_onesweep_config_selectorIjNS0_10empty_typeEEEZZNS1_29radix_sort_onesweep_iterationIS3_Lb0EN6thrust23THRUST_200600_302600_NS6detail15normal_iteratorINS9_10device_ptrIjEEEESE_PS5_SF_jNS0_19identity_decomposerENS1_16block_id_wrapperIjLb1EEEEE10hipError_tT1_PNSt15iterator_traitsISK_E10value_typeET2_T3_PNSL_ISQ_E10value_typeET4_T5_PSV_SW_PNS1_23onesweep_lookback_stateEbbT6_jjT7_P12ihipStream_tbENKUlT_T0_SK_SP_E_clIPjSE_SF_SF_EEDaS13_S14_SK_SP_EUlS13_E_NS1_11comp_targetILNS1_3genE3ELNS1_11target_archE908ELNS1_3gpuE7ELNS1_3repE0EEENS1_47radix_sort_onesweep_sort_config_static_selectorELNS0_4arch9wavefront6targetE1EEEvSK_
		.amdhsa_group_segment_fixed_size 0
		.amdhsa_private_segment_fixed_size 0
		.amdhsa_kernarg_size 88
		.amdhsa_user_sgpr_count 2
		.amdhsa_user_sgpr_dispatch_ptr 0
		.amdhsa_user_sgpr_queue_ptr 0
		.amdhsa_user_sgpr_kernarg_segment_ptr 1
		.amdhsa_user_sgpr_dispatch_id 0
		.amdhsa_user_sgpr_kernarg_preload_length 0
		.amdhsa_user_sgpr_kernarg_preload_offset 0
		.amdhsa_user_sgpr_private_segment_size 0
		.amdhsa_uses_dynamic_stack 0
		.amdhsa_enable_private_segment 0
		.amdhsa_system_sgpr_workgroup_id_x 1
		.amdhsa_system_sgpr_workgroup_id_y 0
		.amdhsa_system_sgpr_workgroup_id_z 0
		.amdhsa_system_sgpr_workgroup_info 0
		.amdhsa_system_vgpr_workitem_id 0
		.amdhsa_next_free_vgpr 1
		.amdhsa_next_free_sgpr 0
		.amdhsa_accum_offset 4
		.amdhsa_reserve_vcc 0
		.amdhsa_float_round_mode_32 0
		.amdhsa_float_round_mode_16_64 0
		.amdhsa_float_denorm_mode_32 3
		.amdhsa_float_denorm_mode_16_64 3
		.amdhsa_dx10_clamp 1
		.amdhsa_ieee_mode 1
		.amdhsa_fp16_overflow 0
		.amdhsa_tg_split 0
		.amdhsa_exception_fp_ieee_invalid_op 0
		.amdhsa_exception_fp_denorm_src 0
		.amdhsa_exception_fp_ieee_div_zero 0
		.amdhsa_exception_fp_ieee_overflow 0
		.amdhsa_exception_fp_ieee_underflow 0
		.amdhsa_exception_fp_ieee_inexact 0
		.amdhsa_exception_int_div_zero 0
	.end_amdhsa_kernel
	.section	.text._ZN7rocprim17ROCPRIM_400000_NS6detail17trampoline_kernelINS0_14default_configENS1_35radix_sort_onesweep_config_selectorIjNS0_10empty_typeEEEZZNS1_29radix_sort_onesweep_iterationIS3_Lb0EN6thrust23THRUST_200600_302600_NS6detail15normal_iteratorINS9_10device_ptrIjEEEESE_PS5_SF_jNS0_19identity_decomposerENS1_16block_id_wrapperIjLb1EEEEE10hipError_tT1_PNSt15iterator_traitsISK_E10value_typeET2_T3_PNSL_ISQ_E10value_typeET4_T5_PSV_SW_PNS1_23onesweep_lookback_stateEbbT6_jjT7_P12ihipStream_tbENKUlT_T0_SK_SP_E_clIPjSE_SF_SF_EEDaS13_S14_SK_SP_EUlS13_E_NS1_11comp_targetILNS1_3genE3ELNS1_11target_archE908ELNS1_3gpuE7ELNS1_3repE0EEENS1_47radix_sort_onesweep_sort_config_static_selectorELNS0_4arch9wavefront6targetE1EEEvSK_,"axG",@progbits,_ZN7rocprim17ROCPRIM_400000_NS6detail17trampoline_kernelINS0_14default_configENS1_35radix_sort_onesweep_config_selectorIjNS0_10empty_typeEEEZZNS1_29radix_sort_onesweep_iterationIS3_Lb0EN6thrust23THRUST_200600_302600_NS6detail15normal_iteratorINS9_10device_ptrIjEEEESE_PS5_SF_jNS0_19identity_decomposerENS1_16block_id_wrapperIjLb1EEEEE10hipError_tT1_PNSt15iterator_traitsISK_E10value_typeET2_T3_PNSL_ISQ_E10value_typeET4_T5_PSV_SW_PNS1_23onesweep_lookback_stateEbbT6_jjT7_P12ihipStream_tbENKUlT_T0_SK_SP_E_clIPjSE_SF_SF_EEDaS13_S14_SK_SP_EUlS13_E_NS1_11comp_targetILNS1_3genE3ELNS1_11target_archE908ELNS1_3gpuE7ELNS1_3repE0EEENS1_47radix_sort_onesweep_sort_config_static_selectorELNS0_4arch9wavefront6targetE1EEEvSK_,comdat
.Lfunc_end1124:
	.size	_ZN7rocprim17ROCPRIM_400000_NS6detail17trampoline_kernelINS0_14default_configENS1_35radix_sort_onesweep_config_selectorIjNS0_10empty_typeEEEZZNS1_29radix_sort_onesweep_iterationIS3_Lb0EN6thrust23THRUST_200600_302600_NS6detail15normal_iteratorINS9_10device_ptrIjEEEESE_PS5_SF_jNS0_19identity_decomposerENS1_16block_id_wrapperIjLb1EEEEE10hipError_tT1_PNSt15iterator_traitsISK_E10value_typeET2_T3_PNSL_ISQ_E10value_typeET4_T5_PSV_SW_PNS1_23onesweep_lookback_stateEbbT6_jjT7_P12ihipStream_tbENKUlT_T0_SK_SP_E_clIPjSE_SF_SF_EEDaS13_S14_SK_SP_EUlS13_E_NS1_11comp_targetILNS1_3genE3ELNS1_11target_archE908ELNS1_3gpuE7ELNS1_3repE0EEENS1_47radix_sort_onesweep_sort_config_static_selectorELNS0_4arch9wavefront6targetE1EEEvSK_, .Lfunc_end1124-_ZN7rocprim17ROCPRIM_400000_NS6detail17trampoline_kernelINS0_14default_configENS1_35radix_sort_onesweep_config_selectorIjNS0_10empty_typeEEEZZNS1_29radix_sort_onesweep_iterationIS3_Lb0EN6thrust23THRUST_200600_302600_NS6detail15normal_iteratorINS9_10device_ptrIjEEEESE_PS5_SF_jNS0_19identity_decomposerENS1_16block_id_wrapperIjLb1EEEEE10hipError_tT1_PNSt15iterator_traitsISK_E10value_typeET2_T3_PNSL_ISQ_E10value_typeET4_T5_PSV_SW_PNS1_23onesweep_lookback_stateEbbT6_jjT7_P12ihipStream_tbENKUlT_T0_SK_SP_E_clIPjSE_SF_SF_EEDaS13_S14_SK_SP_EUlS13_E_NS1_11comp_targetILNS1_3genE3ELNS1_11target_archE908ELNS1_3gpuE7ELNS1_3repE0EEENS1_47radix_sort_onesweep_sort_config_static_selectorELNS0_4arch9wavefront6targetE1EEEvSK_
                                        ; -- End function
	.section	.AMDGPU.csdata,"",@progbits
; Kernel info:
; codeLenInByte = 0
; NumSgprs: 6
; NumVgprs: 0
; NumAgprs: 0
; TotalNumVgprs: 0
; ScratchSize: 0
; MemoryBound: 0
; FloatMode: 240
; IeeeMode: 1
; LDSByteSize: 0 bytes/workgroup (compile time only)
; SGPRBlocks: 0
; VGPRBlocks: 0
; NumSGPRsForWavesPerEU: 6
; NumVGPRsForWavesPerEU: 1
; AccumOffset: 4
; Occupancy: 8
; WaveLimiterHint : 0
; COMPUTE_PGM_RSRC2:SCRATCH_EN: 0
; COMPUTE_PGM_RSRC2:USER_SGPR: 2
; COMPUTE_PGM_RSRC2:TRAP_HANDLER: 0
; COMPUTE_PGM_RSRC2:TGID_X_EN: 1
; COMPUTE_PGM_RSRC2:TGID_Y_EN: 0
; COMPUTE_PGM_RSRC2:TGID_Z_EN: 0
; COMPUTE_PGM_RSRC2:TIDIG_COMP_CNT: 0
; COMPUTE_PGM_RSRC3_GFX90A:ACCUM_OFFSET: 0
; COMPUTE_PGM_RSRC3_GFX90A:TG_SPLIT: 0
	.section	.text._ZN7rocprim17ROCPRIM_400000_NS6detail17trampoline_kernelINS0_14default_configENS1_35radix_sort_onesweep_config_selectorIjNS0_10empty_typeEEEZZNS1_29radix_sort_onesweep_iterationIS3_Lb0EN6thrust23THRUST_200600_302600_NS6detail15normal_iteratorINS9_10device_ptrIjEEEESE_PS5_SF_jNS0_19identity_decomposerENS1_16block_id_wrapperIjLb1EEEEE10hipError_tT1_PNSt15iterator_traitsISK_E10value_typeET2_T3_PNSL_ISQ_E10value_typeET4_T5_PSV_SW_PNS1_23onesweep_lookback_stateEbbT6_jjT7_P12ihipStream_tbENKUlT_T0_SK_SP_E_clIPjSE_SF_SF_EEDaS13_S14_SK_SP_EUlS13_E_NS1_11comp_targetILNS1_3genE10ELNS1_11target_archE1201ELNS1_3gpuE5ELNS1_3repE0EEENS1_47radix_sort_onesweep_sort_config_static_selectorELNS0_4arch9wavefront6targetE1EEEvSK_,"axG",@progbits,_ZN7rocprim17ROCPRIM_400000_NS6detail17trampoline_kernelINS0_14default_configENS1_35radix_sort_onesweep_config_selectorIjNS0_10empty_typeEEEZZNS1_29radix_sort_onesweep_iterationIS3_Lb0EN6thrust23THRUST_200600_302600_NS6detail15normal_iteratorINS9_10device_ptrIjEEEESE_PS5_SF_jNS0_19identity_decomposerENS1_16block_id_wrapperIjLb1EEEEE10hipError_tT1_PNSt15iterator_traitsISK_E10value_typeET2_T3_PNSL_ISQ_E10value_typeET4_T5_PSV_SW_PNS1_23onesweep_lookback_stateEbbT6_jjT7_P12ihipStream_tbENKUlT_T0_SK_SP_E_clIPjSE_SF_SF_EEDaS13_S14_SK_SP_EUlS13_E_NS1_11comp_targetILNS1_3genE10ELNS1_11target_archE1201ELNS1_3gpuE5ELNS1_3repE0EEENS1_47radix_sort_onesweep_sort_config_static_selectorELNS0_4arch9wavefront6targetE1EEEvSK_,comdat
	.protected	_ZN7rocprim17ROCPRIM_400000_NS6detail17trampoline_kernelINS0_14default_configENS1_35radix_sort_onesweep_config_selectorIjNS0_10empty_typeEEEZZNS1_29radix_sort_onesweep_iterationIS3_Lb0EN6thrust23THRUST_200600_302600_NS6detail15normal_iteratorINS9_10device_ptrIjEEEESE_PS5_SF_jNS0_19identity_decomposerENS1_16block_id_wrapperIjLb1EEEEE10hipError_tT1_PNSt15iterator_traitsISK_E10value_typeET2_T3_PNSL_ISQ_E10value_typeET4_T5_PSV_SW_PNS1_23onesweep_lookback_stateEbbT6_jjT7_P12ihipStream_tbENKUlT_T0_SK_SP_E_clIPjSE_SF_SF_EEDaS13_S14_SK_SP_EUlS13_E_NS1_11comp_targetILNS1_3genE10ELNS1_11target_archE1201ELNS1_3gpuE5ELNS1_3repE0EEENS1_47radix_sort_onesweep_sort_config_static_selectorELNS0_4arch9wavefront6targetE1EEEvSK_ ; -- Begin function _ZN7rocprim17ROCPRIM_400000_NS6detail17trampoline_kernelINS0_14default_configENS1_35radix_sort_onesweep_config_selectorIjNS0_10empty_typeEEEZZNS1_29radix_sort_onesweep_iterationIS3_Lb0EN6thrust23THRUST_200600_302600_NS6detail15normal_iteratorINS9_10device_ptrIjEEEESE_PS5_SF_jNS0_19identity_decomposerENS1_16block_id_wrapperIjLb1EEEEE10hipError_tT1_PNSt15iterator_traitsISK_E10value_typeET2_T3_PNSL_ISQ_E10value_typeET4_T5_PSV_SW_PNS1_23onesweep_lookback_stateEbbT6_jjT7_P12ihipStream_tbENKUlT_T0_SK_SP_E_clIPjSE_SF_SF_EEDaS13_S14_SK_SP_EUlS13_E_NS1_11comp_targetILNS1_3genE10ELNS1_11target_archE1201ELNS1_3gpuE5ELNS1_3repE0EEENS1_47radix_sort_onesweep_sort_config_static_selectorELNS0_4arch9wavefront6targetE1EEEvSK_
	.globl	_ZN7rocprim17ROCPRIM_400000_NS6detail17trampoline_kernelINS0_14default_configENS1_35radix_sort_onesweep_config_selectorIjNS0_10empty_typeEEEZZNS1_29radix_sort_onesweep_iterationIS3_Lb0EN6thrust23THRUST_200600_302600_NS6detail15normal_iteratorINS9_10device_ptrIjEEEESE_PS5_SF_jNS0_19identity_decomposerENS1_16block_id_wrapperIjLb1EEEEE10hipError_tT1_PNSt15iterator_traitsISK_E10value_typeET2_T3_PNSL_ISQ_E10value_typeET4_T5_PSV_SW_PNS1_23onesweep_lookback_stateEbbT6_jjT7_P12ihipStream_tbENKUlT_T0_SK_SP_E_clIPjSE_SF_SF_EEDaS13_S14_SK_SP_EUlS13_E_NS1_11comp_targetILNS1_3genE10ELNS1_11target_archE1201ELNS1_3gpuE5ELNS1_3repE0EEENS1_47radix_sort_onesweep_sort_config_static_selectorELNS0_4arch9wavefront6targetE1EEEvSK_
	.p2align	8
	.type	_ZN7rocprim17ROCPRIM_400000_NS6detail17trampoline_kernelINS0_14default_configENS1_35radix_sort_onesweep_config_selectorIjNS0_10empty_typeEEEZZNS1_29radix_sort_onesweep_iterationIS3_Lb0EN6thrust23THRUST_200600_302600_NS6detail15normal_iteratorINS9_10device_ptrIjEEEESE_PS5_SF_jNS0_19identity_decomposerENS1_16block_id_wrapperIjLb1EEEEE10hipError_tT1_PNSt15iterator_traitsISK_E10value_typeET2_T3_PNSL_ISQ_E10value_typeET4_T5_PSV_SW_PNS1_23onesweep_lookback_stateEbbT6_jjT7_P12ihipStream_tbENKUlT_T0_SK_SP_E_clIPjSE_SF_SF_EEDaS13_S14_SK_SP_EUlS13_E_NS1_11comp_targetILNS1_3genE10ELNS1_11target_archE1201ELNS1_3gpuE5ELNS1_3repE0EEENS1_47radix_sort_onesweep_sort_config_static_selectorELNS0_4arch9wavefront6targetE1EEEvSK_,@function
_ZN7rocprim17ROCPRIM_400000_NS6detail17trampoline_kernelINS0_14default_configENS1_35radix_sort_onesweep_config_selectorIjNS0_10empty_typeEEEZZNS1_29radix_sort_onesweep_iterationIS3_Lb0EN6thrust23THRUST_200600_302600_NS6detail15normal_iteratorINS9_10device_ptrIjEEEESE_PS5_SF_jNS0_19identity_decomposerENS1_16block_id_wrapperIjLb1EEEEE10hipError_tT1_PNSt15iterator_traitsISK_E10value_typeET2_T3_PNSL_ISQ_E10value_typeET4_T5_PSV_SW_PNS1_23onesweep_lookback_stateEbbT6_jjT7_P12ihipStream_tbENKUlT_T0_SK_SP_E_clIPjSE_SF_SF_EEDaS13_S14_SK_SP_EUlS13_E_NS1_11comp_targetILNS1_3genE10ELNS1_11target_archE1201ELNS1_3gpuE5ELNS1_3repE0EEENS1_47radix_sort_onesweep_sort_config_static_selectorELNS0_4arch9wavefront6targetE1EEEvSK_: ; @_ZN7rocprim17ROCPRIM_400000_NS6detail17trampoline_kernelINS0_14default_configENS1_35radix_sort_onesweep_config_selectorIjNS0_10empty_typeEEEZZNS1_29radix_sort_onesweep_iterationIS3_Lb0EN6thrust23THRUST_200600_302600_NS6detail15normal_iteratorINS9_10device_ptrIjEEEESE_PS5_SF_jNS0_19identity_decomposerENS1_16block_id_wrapperIjLb1EEEEE10hipError_tT1_PNSt15iterator_traitsISK_E10value_typeET2_T3_PNSL_ISQ_E10value_typeET4_T5_PSV_SW_PNS1_23onesweep_lookback_stateEbbT6_jjT7_P12ihipStream_tbENKUlT_T0_SK_SP_E_clIPjSE_SF_SF_EEDaS13_S14_SK_SP_EUlS13_E_NS1_11comp_targetILNS1_3genE10ELNS1_11target_archE1201ELNS1_3gpuE5ELNS1_3repE0EEENS1_47radix_sort_onesweep_sort_config_static_selectorELNS0_4arch9wavefront6targetE1EEEvSK_
; %bb.0:
	.section	.rodata,"a",@progbits
	.p2align	6, 0x0
	.amdhsa_kernel _ZN7rocprim17ROCPRIM_400000_NS6detail17trampoline_kernelINS0_14default_configENS1_35radix_sort_onesweep_config_selectorIjNS0_10empty_typeEEEZZNS1_29radix_sort_onesweep_iterationIS3_Lb0EN6thrust23THRUST_200600_302600_NS6detail15normal_iteratorINS9_10device_ptrIjEEEESE_PS5_SF_jNS0_19identity_decomposerENS1_16block_id_wrapperIjLb1EEEEE10hipError_tT1_PNSt15iterator_traitsISK_E10value_typeET2_T3_PNSL_ISQ_E10value_typeET4_T5_PSV_SW_PNS1_23onesweep_lookback_stateEbbT6_jjT7_P12ihipStream_tbENKUlT_T0_SK_SP_E_clIPjSE_SF_SF_EEDaS13_S14_SK_SP_EUlS13_E_NS1_11comp_targetILNS1_3genE10ELNS1_11target_archE1201ELNS1_3gpuE5ELNS1_3repE0EEENS1_47radix_sort_onesweep_sort_config_static_selectorELNS0_4arch9wavefront6targetE1EEEvSK_
		.amdhsa_group_segment_fixed_size 0
		.amdhsa_private_segment_fixed_size 0
		.amdhsa_kernarg_size 88
		.amdhsa_user_sgpr_count 2
		.amdhsa_user_sgpr_dispatch_ptr 0
		.amdhsa_user_sgpr_queue_ptr 0
		.amdhsa_user_sgpr_kernarg_segment_ptr 1
		.amdhsa_user_sgpr_dispatch_id 0
		.amdhsa_user_sgpr_kernarg_preload_length 0
		.amdhsa_user_sgpr_kernarg_preload_offset 0
		.amdhsa_user_sgpr_private_segment_size 0
		.amdhsa_uses_dynamic_stack 0
		.amdhsa_enable_private_segment 0
		.amdhsa_system_sgpr_workgroup_id_x 1
		.amdhsa_system_sgpr_workgroup_id_y 0
		.amdhsa_system_sgpr_workgroup_id_z 0
		.amdhsa_system_sgpr_workgroup_info 0
		.amdhsa_system_vgpr_workitem_id 0
		.amdhsa_next_free_vgpr 1
		.amdhsa_next_free_sgpr 0
		.amdhsa_accum_offset 4
		.amdhsa_reserve_vcc 0
		.amdhsa_float_round_mode_32 0
		.amdhsa_float_round_mode_16_64 0
		.amdhsa_float_denorm_mode_32 3
		.amdhsa_float_denorm_mode_16_64 3
		.amdhsa_dx10_clamp 1
		.amdhsa_ieee_mode 1
		.amdhsa_fp16_overflow 0
		.amdhsa_tg_split 0
		.amdhsa_exception_fp_ieee_invalid_op 0
		.amdhsa_exception_fp_denorm_src 0
		.amdhsa_exception_fp_ieee_div_zero 0
		.amdhsa_exception_fp_ieee_overflow 0
		.amdhsa_exception_fp_ieee_underflow 0
		.amdhsa_exception_fp_ieee_inexact 0
		.amdhsa_exception_int_div_zero 0
	.end_amdhsa_kernel
	.section	.text._ZN7rocprim17ROCPRIM_400000_NS6detail17trampoline_kernelINS0_14default_configENS1_35radix_sort_onesweep_config_selectorIjNS0_10empty_typeEEEZZNS1_29radix_sort_onesweep_iterationIS3_Lb0EN6thrust23THRUST_200600_302600_NS6detail15normal_iteratorINS9_10device_ptrIjEEEESE_PS5_SF_jNS0_19identity_decomposerENS1_16block_id_wrapperIjLb1EEEEE10hipError_tT1_PNSt15iterator_traitsISK_E10value_typeET2_T3_PNSL_ISQ_E10value_typeET4_T5_PSV_SW_PNS1_23onesweep_lookback_stateEbbT6_jjT7_P12ihipStream_tbENKUlT_T0_SK_SP_E_clIPjSE_SF_SF_EEDaS13_S14_SK_SP_EUlS13_E_NS1_11comp_targetILNS1_3genE10ELNS1_11target_archE1201ELNS1_3gpuE5ELNS1_3repE0EEENS1_47radix_sort_onesweep_sort_config_static_selectorELNS0_4arch9wavefront6targetE1EEEvSK_,"axG",@progbits,_ZN7rocprim17ROCPRIM_400000_NS6detail17trampoline_kernelINS0_14default_configENS1_35radix_sort_onesweep_config_selectorIjNS0_10empty_typeEEEZZNS1_29radix_sort_onesweep_iterationIS3_Lb0EN6thrust23THRUST_200600_302600_NS6detail15normal_iteratorINS9_10device_ptrIjEEEESE_PS5_SF_jNS0_19identity_decomposerENS1_16block_id_wrapperIjLb1EEEEE10hipError_tT1_PNSt15iterator_traitsISK_E10value_typeET2_T3_PNSL_ISQ_E10value_typeET4_T5_PSV_SW_PNS1_23onesweep_lookback_stateEbbT6_jjT7_P12ihipStream_tbENKUlT_T0_SK_SP_E_clIPjSE_SF_SF_EEDaS13_S14_SK_SP_EUlS13_E_NS1_11comp_targetILNS1_3genE10ELNS1_11target_archE1201ELNS1_3gpuE5ELNS1_3repE0EEENS1_47radix_sort_onesweep_sort_config_static_selectorELNS0_4arch9wavefront6targetE1EEEvSK_,comdat
.Lfunc_end1125:
	.size	_ZN7rocprim17ROCPRIM_400000_NS6detail17trampoline_kernelINS0_14default_configENS1_35radix_sort_onesweep_config_selectorIjNS0_10empty_typeEEEZZNS1_29radix_sort_onesweep_iterationIS3_Lb0EN6thrust23THRUST_200600_302600_NS6detail15normal_iteratorINS9_10device_ptrIjEEEESE_PS5_SF_jNS0_19identity_decomposerENS1_16block_id_wrapperIjLb1EEEEE10hipError_tT1_PNSt15iterator_traitsISK_E10value_typeET2_T3_PNSL_ISQ_E10value_typeET4_T5_PSV_SW_PNS1_23onesweep_lookback_stateEbbT6_jjT7_P12ihipStream_tbENKUlT_T0_SK_SP_E_clIPjSE_SF_SF_EEDaS13_S14_SK_SP_EUlS13_E_NS1_11comp_targetILNS1_3genE10ELNS1_11target_archE1201ELNS1_3gpuE5ELNS1_3repE0EEENS1_47radix_sort_onesweep_sort_config_static_selectorELNS0_4arch9wavefront6targetE1EEEvSK_, .Lfunc_end1125-_ZN7rocprim17ROCPRIM_400000_NS6detail17trampoline_kernelINS0_14default_configENS1_35radix_sort_onesweep_config_selectorIjNS0_10empty_typeEEEZZNS1_29radix_sort_onesweep_iterationIS3_Lb0EN6thrust23THRUST_200600_302600_NS6detail15normal_iteratorINS9_10device_ptrIjEEEESE_PS5_SF_jNS0_19identity_decomposerENS1_16block_id_wrapperIjLb1EEEEE10hipError_tT1_PNSt15iterator_traitsISK_E10value_typeET2_T3_PNSL_ISQ_E10value_typeET4_T5_PSV_SW_PNS1_23onesweep_lookback_stateEbbT6_jjT7_P12ihipStream_tbENKUlT_T0_SK_SP_E_clIPjSE_SF_SF_EEDaS13_S14_SK_SP_EUlS13_E_NS1_11comp_targetILNS1_3genE10ELNS1_11target_archE1201ELNS1_3gpuE5ELNS1_3repE0EEENS1_47radix_sort_onesweep_sort_config_static_selectorELNS0_4arch9wavefront6targetE1EEEvSK_
                                        ; -- End function
	.section	.AMDGPU.csdata,"",@progbits
; Kernel info:
; codeLenInByte = 0
; NumSgprs: 6
; NumVgprs: 0
; NumAgprs: 0
; TotalNumVgprs: 0
; ScratchSize: 0
; MemoryBound: 0
; FloatMode: 240
; IeeeMode: 1
; LDSByteSize: 0 bytes/workgroup (compile time only)
; SGPRBlocks: 0
; VGPRBlocks: 0
; NumSGPRsForWavesPerEU: 6
; NumVGPRsForWavesPerEU: 1
; AccumOffset: 4
; Occupancy: 8
; WaveLimiterHint : 0
; COMPUTE_PGM_RSRC2:SCRATCH_EN: 0
; COMPUTE_PGM_RSRC2:USER_SGPR: 2
; COMPUTE_PGM_RSRC2:TRAP_HANDLER: 0
; COMPUTE_PGM_RSRC2:TGID_X_EN: 1
; COMPUTE_PGM_RSRC2:TGID_Y_EN: 0
; COMPUTE_PGM_RSRC2:TGID_Z_EN: 0
; COMPUTE_PGM_RSRC2:TIDIG_COMP_CNT: 0
; COMPUTE_PGM_RSRC3_GFX90A:ACCUM_OFFSET: 0
; COMPUTE_PGM_RSRC3_GFX90A:TG_SPLIT: 0
	.section	.text._ZN7rocprim17ROCPRIM_400000_NS6detail17trampoline_kernelINS0_14default_configENS1_35radix_sort_onesweep_config_selectorIjNS0_10empty_typeEEEZZNS1_29radix_sort_onesweep_iterationIS3_Lb0EN6thrust23THRUST_200600_302600_NS6detail15normal_iteratorINS9_10device_ptrIjEEEESE_PS5_SF_jNS0_19identity_decomposerENS1_16block_id_wrapperIjLb1EEEEE10hipError_tT1_PNSt15iterator_traitsISK_E10value_typeET2_T3_PNSL_ISQ_E10value_typeET4_T5_PSV_SW_PNS1_23onesweep_lookback_stateEbbT6_jjT7_P12ihipStream_tbENKUlT_T0_SK_SP_E_clIPjSE_SF_SF_EEDaS13_S14_SK_SP_EUlS13_E_NS1_11comp_targetILNS1_3genE9ELNS1_11target_archE1100ELNS1_3gpuE3ELNS1_3repE0EEENS1_47radix_sort_onesweep_sort_config_static_selectorELNS0_4arch9wavefront6targetE1EEEvSK_,"axG",@progbits,_ZN7rocprim17ROCPRIM_400000_NS6detail17trampoline_kernelINS0_14default_configENS1_35radix_sort_onesweep_config_selectorIjNS0_10empty_typeEEEZZNS1_29radix_sort_onesweep_iterationIS3_Lb0EN6thrust23THRUST_200600_302600_NS6detail15normal_iteratorINS9_10device_ptrIjEEEESE_PS5_SF_jNS0_19identity_decomposerENS1_16block_id_wrapperIjLb1EEEEE10hipError_tT1_PNSt15iterator_traitsISK_E10value_typeET2_T3_PNSL_ISQ_E10value_typeET4_T5_PSV_SW_PNS1_23onesweep_lookback_stateEbbT6_jjT7_P12ihipStream_tbENKUlT_T0_SK_SP_E_clIPjSE_SF_SF_EEDaS13_S14_SK_SP_EUlS13_E_NS1_11comp_targetILNS1_3genE9ELNS1_11target_archE1100ELNS1_3gpuE3ELNS1_3repE0EEENS1_47radix_sort_onesweep_sort_config_static_selectorELNS0_4arch9wavefront6targetE1EEEvSK_,comdat
	.protected	_ZN7rocprim17ROCPRIM_400000_NS6detail17trampoline_kernelINS0_14default_configENS1_35radix_sort_onesweep_config_selectorIjNS0_10empty_typeEEEZZNS1_29radix_sort_onesweep_iterationIS3_Lb0EN6thrust23THRUST_200600_302600_NS6detail15normal_iteratorINS9_10device_ptrIjEEEESE_PS5_SF_jNS0_19identity_decomposerENS1_16block_id_wrapperIjLb1EEEEE10hipError_tT1_PNSt15iterator_traitsISK_E10value_typeET2_T3_PNSL_ISQ_E10value_typeET4_T5_PSV_SW_PNS1_23onesweep_lookback_stateEbbT6_jjT7_P12ihipStream_tbENKUlT_T0_SK_SP_E_clIPjSE_SF_SF_EEDaS13_S14_SK_SP_EUlS13_E_NS1_11comp_targetILNS1_3genE9ELNS1_11target_archE1100ELNS1_3gpuE3ELNS1_3repE0EEENS1_47radix_sort_onesweep_sort_config_static_selectorELNS0_4arch9wavefront6targetE1EEEvSK_ ; -- Begin function _ZN7rocprim17ROCPRIM_400000_NS6detail17trampoline_kernelINS0_14default_configENS1_35radix_sort_onesweep_config_selectorIjNS0_10empty_typeEEEZZNS1_29radix_sort_onesweep_iterationIS3_Lb0EN6thrust23THRUST_200600_302600_NS6detail15normal_iteratorINS9_10device_ptrIjEEEESE_PS5_SF_jNS0_19identity_decomposerENS1_16block_id_wrapperIjLb1EEEEE10hipError_tT1_PNSt15iterator_traitsISK_E10value_typeET2_T3_PNSL_ISQ_E10value_typeET4_T5_PSV_SW_PNS1_23onesweep_lookback_stateEbbT6_jjT7_P12ihipStream_tbENKUlT_T0_SK_SP_E_clIPjSE_SF_SF_EEDaS13_S14_SK_SP_EUlS13_E_NS1_11comp_targetILNS1_3genE9ELNS1_11target_archE1100ELNS1_3gpuE3ELNS1_3repE0EEENS1_47radix_sort_onesweep_sort_config_static_selectorELNS0_4arch9wavefront6targetE1EEEvSK_
	.globl	_ZN7rocprim17ROCPRIM_400000_NS6detail17trampoline_kernelINS0_14default_configENS1_35radix_sort_onesweep_config_selectorIjNS0_10empty_typeEEEZZNS1_29radix_sort_onesweep_iterationIS3_Lb0EN6thrust23THRUST_200600_302600_NS6detail15normal_iteratorINS9_10device_ptrIjEEEESE_PS5_SF_jNS0_19identity_decomposerENS1_16block_id_wrapperIjLb1EEEEE10hipError_tT1_PNSt15iterator_traitsISK_E10value_typeET2_T3_PNSL_ISQ_E10value_typeET4_T5_PSV_SW_PNS1_23onesweep_lookback_stateEbbT6_jjT7_P12ihipStream_tbENKUlT_T0_SK_SP_E_clIPjSE_SF_SF_EEDaS13_S14_SK_SP_EUlS13_E_NS1_11comp_targetILNS1_3genE9ELNS1_11target_archE1100ELNS1_3gpuE3ELNS1_3repE0EEENS1_47radix_sort_onesweep_sort_config_static_selectorELNS0_4arch9wavefront6targetE1EEEvSK_
	.p2align	8
	.type	_ZN7rocprim17ROCPRIM_400000_NS6detail17trampoline_kernelINS0_14default_configENS1_35radix_sort_onesweep_config_selectorIjNS0_10empty_typeEEEZZNS1_29radix_sort_onesweep_iterationIS3_Lb0EN6thrust23THRUST_200600_302600_NS6detail15normal_iteratorINS9_10device_ptrIjEEEESE_PS5_SF_jNS0_19identity_decomposerENS1_16block_id_wrapperIjLb1EEEEE10hipError_tT1_PNSt15iterator_traitsISK_E10value_typeET2_T3_PNSL_ISQ_E10value_typeET4_T5_PSV_SW_PNS1_23onesweep_lookback_stateEbbT6_jjT7_P12ihipStream_tbENKUlT_T0_SK_SP_E_clIPjSE_SF_SF_EEDaS13_S14_SK_SP_EUlS13_E_NS1_11comp_targetILNS1_3genE9ELNS1_11target_archE1100ELNS1_3gpuE3ELNS1_3repE0EEENS1_47radix_sort_onesweep_sort_config_static_selectorELNS0_4arch9wavefront6targetE1EEEvSK_,@function
_ZN7rocprim17ROCPRIM_400000_NS6detail17trampoline_kernelINS0_14default_configENS1_35radix_sort_onesweep_config_selectorIjNS0_10empty_typeEEEZZNS1_29radix_sort_onesweep_iterationIS3_Lb0EN6thrust23THRUST_200600_302600_NS6detail15normal_iteratorINS9_10device_ptrIjEEEESE_PS5_SF_jNS0_19identity_decomposerENS1_16block_id_wrapperIjLb1EEEEE10hipError_tT1_PNSt15iterator_traitsISK_E10value_typeET2_T3_PNSL_ISQ_E10value_typeET4_T5_PSV_SW_PNS1_23onesweep_lookback_stateEbbT6_jjT7_P12ihipStream_tbENKUlT_T0_SK_SP_E_clIPjSE_SF_SF_EEDaS13_S14_SK_SP_EUlS13_E_NS1_11comp_targetILNS1_3genE9ELNS1_11target_archE1100ELNS1_3gpuE3ELNS1_3repE0EEENS1_47radix_sort_onesweep_sort_config_static_selectorELNS0_4arch9wavefront6targetE1EEEvSK_: ; @_ZN7rocprim17ROCPRIM_400000_NS6detail17trampoline_kernelINS0_14default_configENS1_35radix_sort_onesweep_config_selectorIjNS0_10empty_typeEEEZZNS1_29radix_sort_onesweep_iterationIS3_Lb0EN6thrust23THRUST_200600_302600_NS6detail15normal_iteratorINS9_10device_ptrIjEEEESE_PS5_SF_jNS0_19identity_decomposerENS1_16block_id_wrapperIjLb1EEEEE10hipError_tT1_PNSt15iterator_traitsISK_E10value_typeET2_T3_PNSL_ISQ_E10value_typeET4_T5_PSV_SW_PNS1_23onesweep_lookback_stateEbbT6_jjT7_P12ihipStream_tbENKUlT_T0_SK_SP_E_clIPjSE_SF_SF_EEDaS13_S14_SK_SP_EUlS13_E_NS1_11comp_targetILNS1_3genE9ELNS1_11target_archE1100ELNS1_3gpuE3ELNS1_3repE0EEENS1_47radix_sort_onesweep_sort_config_static_selectorELNS0_4arch9wavefront6targetE1EEEvSK_
; %bb.0:
	.section	.rodata,"a",@progbits
	.p2align	6, 0x0
	.amdhsa_kernel _ZN7rocprim17ROCPRIM_400000_NS6detail17trampoline_kernelINS0_14default_configENS1_35radix_sort_onesweep_config_selectorIjNS0_10empty_typeEEEZZNS1_29radix_sort_onesweep_iterationIS3_Lb0EN6thrust23THRUST_200600_302600_NS6detail15normal_iteratorINS9_10device_ptrIjEEEESE_PS5_SF_jNS0_19identity_decomposerENS1_16block_id_wrapperIjLb1EEEEE10hipError_tT1_PNSt15iterator_traitsISK_E10value_typeET2_T3_PNSL_ISQ_E10value_typeET4_T5_PSV_SW_PNS1_23onesweep_lookback_stateEbbT6_jjT7_P12ihipStream_tbENKUlT_T0_SK_SP_E_clIPjSE_SF_SF_EEDaS13_S14_SK_SP_EUlS13_E_NS1_11comp_targetILNS1_3genE9ELNS1_11target_archE1100ELNS1_3gpuE3ELNS1_3repE0EEENS1_47radix_sort_onesweep_sort_config_static_selectorELNS0_4arch9wavefront6targetE1EEEvSK_
		.amdhsa_group_segment_fixed_size 0
		.amdhsa_private_segment_fixed_size 0
		.amdhsa_kernarg_size 88
		.amdhsa_user_sgpr_count 2
		.amdhsa_user_sgpr_dispatch_ptr 0
		.amdhsa_user_sgpr_queue_ptr 0
		.amdhsa_user_sgpr_kernarg_segment_ptr 1
		.amdhsa_user_sgpr_dispatch_id 0
		.amdhsa_user_sgpr_kernarg_preload_length 0
		.amdhsa_user_sgpr_kernarg_preload_offset 0
		.amdhsa_user_sgpr_private_segment_size 0
		.amdhsa_uses_dynamic_stack 0
		.amdhsa_enable_private_segment 0
		.amdhsa_system_sgpr_workgroup_id_x 1
		.amdhsa_system_sgpr_workgroup_id_y 0
		.amdhsa_system_sgpr_workgroup_id_z 0
		.amdhsa_system_sgpr_workgroup_info 0
		.amdhsa_system_vgpr_workitem_id 0
		.amdhsa_next_free_vgpr 1
		.amdhsa_next_free_sgpr 0
		.amdhsa_accum_offset 4
		.amdhsa_reserve_vcc 0
		.amdhsa_float_round_mode_32 0
		.amdhsa_float_round_mode_16_64 0
		.amdhsa_float_denorm_mode_32 3
		.amdhsa_float_denorm_mode_16_64 3
		.amdhsa_dx10_clamp 1
		.amdhsa_ieee_mode 1
		.amdhsa_fp16_overflow 0
		.amdhsa_tg_split 0
		.amdhsa_exception_fp_ieee_invalid_op 0
		.amdhsa_exception_fp_denorm_src 0
		.amdhsa_exception_fp_ieee_div_zero 0
		.amdhsa_exception_fp_ieee_overflow 0
		.amdhsa_exception_fp_ieee_underflow 0
		.amdhsa_exception_fp_ieee_inexact 0
		.amdhsa_exception_int_div_zero 0
	.end_amdhsa_kernel
	.section	.text._ZN7rocprim17ROCPRIM_400000_NS6detail17trampoline_kernelINS0_14default_configENS1_35radix_sort_onesweep_config_selectorIjNS0_10empty_typeEEEZZNS1_29radix_sort_onesweep_iterationIS3_Lb0EN6thrust23THRUST_200600_302600_NS6detail15normal_iteratorINS9_10device_ptrIjEEEESE_PS5_SF_jNS0_19identity_decomposerENS1_16block_id_wrapperIjLb1EEEEE10hipError_tT1_PNSt15iterator_traitsISK_E10value_typeET2_T3_PNSL_ISQ_E10value_typeET4_T5_PSV_SW_PNS1_23onesweep_lookback_stateEbbT6_jjT7_P12ihipStream_tbENKUlT_T0_SK_SP_E_clIPjSE_SF_SF_EEDaS13_S14_SK_SP_EUlS13_E_NS1_11comp_targetILNS1_3genE9ELNS1_11target_archE1100ELNS1_3gpuE3ELNS1_3repE0EEENS1_47radix_sort_onesweep_sort_config_static_selectorELNS0_4arch9wavefront6targetE1EEEvSK_,"axG",@progbits,_ZN7rocprim17ROCPRIM_400000_NS6detail17trampoline_kernelINS0_14default_configENS1_35radix_sort_onesweep_config_selectorIjNS0_10empty_typeEEEZZNS1_29radix_sort_onesweep_iterationIS3_Lb0EN6thrust23THRUST_200600_302600_NS6detail15normal_iteratorINS9_10device_ptrIjEEEESE_PS5_SF_jNS0_19identity_decomposerENS1_16block_id_wrapperIjLb1EEEEE10hipError_tT1_PNSt15iterator_traitsISK_E10value_typeET2_T3_PNSL_ISQ_E10value_typeET4_T5_PSV_SW_PNS1_23onesweep_lookback_stateEbbT6_jjT7_P12ihipStream_tbENKUlT_T0_SK_SP_E_clIPjSE_SF_SF_EEDaS13_S14_SK_SP_EUlS13_E_NS1_11comp_targetILNS1_3genE9ELNS1_11target_archE1100ELNS1_3gpuE3ELNS1_3repE0EEENS1_47radix_sort_onesweep_sort_config_static_selectorELNS0_4arch9wavefront6targetE1EEEvSK_,comdat
.Lfunc_end1126:
	.size	_ZN7rocprim17ROCPRIM_400000_NS6detail17trampoline_kernelINS0_14default_configENS1_35radix_sort_onesweep_config_selectorIjNS0_10empty_typeEEEZZNS1_29radix_sort_onesweep_iterationIS3_Lb0EN6thrust23THRUST_200600_302600_NS6detail15normal_iteratorINS9_10device_ptrIjEEEESE_PS5_SF_jNS0_19identity_decomposerENS1_16block_id_wrapperIjLb1EEEEE10hipError_tT1_PNSt15iterator_traitsISK_E10value_typeET2_T3_PNSL_ISQ_E10value_typeET4_T5_PSV_SW_PNS1_23onesweep_lookback_stateEbbT6_jjT7_P12ihipStream_tbENKUlT_T0_SK_SP_E_clIPjSE_SF_SF_EEDaS13_S14_SK_SP_EUlS13_E_NS1_11comp_targetILNS1_3genE9ELNS1_11target_archE1100ELNS1_3gpuE3ELNS1_3repE0EEENS1_47radix_sort_onesweep_sort_config_static_selectorELNS0_4arch9wavefront6targetE1EEEvSK_, .Lfunc_end1126-_ZN7rocprim17ROCPRIM_400000_NS6detail17trampoline_kernelINS0_14default_configENS1_35radix_sort_onesweep_config_selectorIjNS0_10empty_typeEEEZZNS1_29radix_sort_onesweep_iterationIS3_Lb0EN6thrust23THRUST_200600_302600_NS6detail15normal_iteratorINS9_10device_ptrIjEEEESE_PS5_SF_jNS0_19identity_decomposerENS1_16block_id_wrapperIjLb1EEEEE10hipError_tT1_PNSt15iterator_traitsISK_E10value_typeET2_T3_PNSL_ISQ_E10value_typeET4_T5_PSV_SW_PNS1_23onesweep_lookback_stateEbbT6_jjT7_P12ihipStream_tbENKUlT_T0_SK_SP_E_clIPjSE_SF_SF_EEDaS13_S14_SK_SP_EUlS13_E_NS1_11comp_targetILNS1_3genE9ELNS1_11target_archE1100ELNS1_3gpuE3ELNS1_3repE0EEENS1_47radix_sort_onesweep_sort_config_static_selectorELNS0_4arch9wavefront6targetE1EEEvSK_
                                        ; -- End function
	.section	.AMDGPU.csdata,"",@progbits
; Kernel info:
; codeLenInByte = 0
; NumSgprs: 6
; NumVgprs: 0
; NumAgprs: 0
; TotalNumVgprs: 0
; ScratchSize: 0
; MemoryBound: 0
; FloatMode: 240
; IeeeMode: 1
; LDSByteSize: 0 bytes/workgroup (compile time only)
; SGPRBlocks: 0
; VGPRBlocks: 0
; NumSGPRsForWavesPerEU: 6
; NumVGPRsForWavesPerEU: 1
; AccumOffset: 4
; Occupancy: 8
; WaveLimiterHint : 0
; COMPUTE_PGM_RSRC2:SCRATCH_EN: 0
; COMPUTE_PGM_RSRC2:USER_SGPR: 2
; COMPUTE_PGM_RSRC2:TRAP_HANDLER: 0
; COMPUTE_PGM_RSRC2:TGID_X_EN: 1
; COMPUTE_PGM_RSRC2:TGID_Y_EN: 0
; COMPUTE_PGM_RSRC2:TGID_Z_EN: 0
; COMPUTE_PGM_RSRC2:TIDIG_COMP_CNT: 0
; COMPUTE_PGM_RSRC3_GFX90A:ACCUM_OFFSET: 0
; COMPUTE_PGM_RSRC3_GFX90A:TG_SPLIT: 0
	.section	.text._ZN7rocprim17ROCPRIM_400000_NS6detail17trampoline_kernelINS0_14default_configENS1_35radix_sort_onesweep_config_selectorIjNS0_10empty_typeEEEZZNS1_29radix_sort_onesweep_iterationIS3_Lb0EN6thrust23THRUST_200600_302600_NS6detail15normal_iteratorINS9_10device_ptrIjEEEESE_PS5_SF_jNS0_19identity_decomposerENS1_16block_id_wrapperIjLb1EEEEE10hipError_tT1_PNSt15iterator_traitsISK_E10value_typeET2_T3_PNSL_ISQ_E10value_typeET4_T5_PSV_SW_PNS1_23onesweep_lookback_stateEbbT6_jjT7_P12ihipStream_tbENKUlT_T0_SK_SP_E_clIPjSE_SF_SF_EEDaS13_S14_SK_SP_EUlS13_E_NS1_11comp_targetILNS1_3genE8ELNS1_11target_archE1030ELNS1_3gpuE2ELNS1_3repE0EEENS1_47radix_sort_onesweep_sort_config_static_selectorELNS0_4arch9wavefront6targetE1EEEvSK_,"axG",@progbits,_ZN7rocprim17ROCPRIM_400000_NS6detail17trampoline_kernelINS0_14default_configENS1_35radix_sort_onesweep_config_selectorIjNS0_10empty_typeEEEZZNS1_29radix_sort_onesweep_iterationIS3_Lb0EN6thrust23THRUST_200600_302600_NS6detail15normal_iteratorINS9_10device_ptrIjEEEESE_PS5_SF_jNS0_19identity_decomposerENS1_16block_id_wrapperIjLb1EEEEE10hipError_tT1_PNSt15iterator_traitsISK_E10value_typeET2_T3_PNSL_ISQ_E10value_typeET4_T5_PSV_SW_PNS1_23onesweep_lookback_stateEbbT6_jjT7_P12ihipStream_tbENKUlT_T0_SK_SP_E_clIPjSE_SF_SF_EEDaS13_S14_SK_SP_EUlS13_E_NS1_11comp_targetILNS1_3genE8ELNS1_11target_archE1030ELNS1_3gpuE2ELNS1_3repE0EEENS1_47radix_sort_onesweep_sort_config_static_selectorELNS0_4arch9wavefront6targetE1EEEvSK_,comdat
	.protected	_ZN7rocprim17ROCPRIM_400000_NS6detail17trampoline_kernelINS0_14default_configENS1_35radix_sort_onesweep_config_selectorIjNS0_10empty_typeEEEZZNS1_29radix_sort_onesweep_iterationIS3_Lb0EN6thrust23THRUST_200600_302600_NS6detail15normal_iteratorINS9_10device_ptrIjEEEESE_PS5_SF_jNS0_19identity_decomposerENS1_16block_id_wrapperIjLb1EEEEE10hipError_tT1_PNSt15iterator_traitsISK_E10value_typeET2_T3_PNSL_ISQ_E10value_typeET4_T5_PSV_SW_PNS1_23onesweep_lookback_stateEbbT6_jjT7_P12ihipStream_tbENKUlT_T0_SK_SP_E_clIPjSE_SF_SF_EEDaS13_S14_SK_SP_EUlS13_E_NS1_11comp_targetILNS1_3genE8ELNS1_11target_archE1030ELNS1_3gpuE2ELNS1_3repE0EEENS1_47radix_sort_onesweep_sort_config_static_selectorELNS0_4arch9wavefront6targetE1EEEvSK_ ; -- Begin function _ZN7rocprim17ROCPRIM_400000_NS6detail17trampoline_kernelINS0_14default_configENS1_35radix_sort_onesweep_config_selectorIjNS0_10empty_typeEEEZZNS1_29radix_sort_onesweep_iterationIS3_Lb0EN6thrust23THRUST_200600_302600_NS6detail15normal_iteratorINS9_10device_ptrIjEEEESE_PS5_SF_jNS0_19identity_decomposerENS1_16block_id_wrapperIjLb1EEEEE10hipError_tT1_PNSt15iterator_traitsISK_E10value_typeET2_T3_PNSL_ISQ_E10value_typeET4_T5_PSV_SW_PNS1_23onesweep_lookback_stateEbbT6_jjT7_P12ihipStream_tbENKUlT_T0_SK_SP_E_clIPjSE_SF_SF_EEDaS13_S14_SK_SP_EUlS13_E_NS1_11comp_targetILNS1_3genE8ELNS1_11target_archE1030ELNS1_3gpuE2ELNS1_3repE0EEENS1_47radix_sort_onesweep_sort_config_static_selectorELNS0_4arch9wavefront6targetE1EEEvSK_
	.globl	_ZN7rocprim17ROCPRIM_400000_NS6detail17trampoline_kernelINS0_14default_configENS1_35radix_sort_onesweep_config_selectorIjNS0_10empty_typeEEEZZNS1_29radix_sort_onesweep_iterationIS3_Lb0EN6thrust23THRUST_200600_302600_NS6detail15normal_iteratorINS9_10device_ptrIjEEEESE_PS5_SF_jNS0_19identity_decomposerENS1_16block_id_wrapperIjLb1EEEEE10hipError_tT1_PNSt15iterator_traitsISK_E10value_typeET2_T3_PNSL_ISQ_E10value_typeET4_T5_PSV_SW_PNS1_23onesweep_lookback_stateEbbT6_jjT7_P12ihipStream_tbENKUlT_T0_SK_SP_E_clIPjSE_SF_SF_EEDaS13_S14_SK_SP_EUlS13_E_NS1_11comp_targetILNS1_3genE8ELNS1_11target_archE1030ELNS1_3gpuE2ELNS1_3repE0EEENS1_47radix_sort_onesweep_sort_config_static_selectorELNS0_4arch9wavefront6targetE1EEEvSK_
	.p2align	8
	.type	_ZN7rocprim17ROCPRIM_400000_NS6detail17trampoline_kernelINS0_14default_configENS1_35radix_sort_onesweep_config_selectorIjNS0_10empty_typeEEEZZNS1_29radix_sort_onesweep_iterationIS3_Lb0EN6thrust23THRUST_200600_302600_NS6detail15normal_iteratorINS9_10device_ptrIjEEEESE_PS5_SF_jNS0_19identity_decomposerENS1_16block_id_wrapperIjLb1EEEEE10hipError_tT1_PNSt15iterator_traitsISK_E10value_typeET2_T3_PNSL_ISQ_E10value_typeET4_T5_PSV_SW_PNS1_23onesweep_lookback_stateEbbT6_jjT7_P12ihipStream_tbENKUlT_T0_SK_SP_E_clIPjSE_SF_SF_EEDaS13_S14_SK_SP_EUlS13_E_NS1_11comp_targetILNS1_3genE8ELNS1_11target_archE1030ELNS1_3gpuE2ELNS1_3repE0EEENS1_47radix_sort_onesweep_sort_config_static_selectorELNS0_4arch9wavefront6targetE1EEEvSK_,@function
_ZN7rocprim17ROCPRIM_400000_NS6detail17trampoline_kernelINS0_14default_configENS1_35radix_sort_onesweep_config_selectorIjNS0_10empty_typeEEEZZNS1_29radix_sort_onesweep_iterationIS3_Lb0EN6thrust23THRUST_200600_302600_NS6detail15normal_iteratorINS9_10device_ptrIjEEEESE_PS5_SF_jNS0_19identity_decomposerENS1_16block_id_wrapperIjLb1EEEEE10hipError_tT1_PNSt15iterator_traitsISK_E10value_typeET2_T3_PNSL_ISQ_E10value_typeET4_T5_PSV_SW_PNS1_23onesweep_lookback_stateEbbT6_jjT7_P12ihipStream_tbENKUlT_T0_SK_SP_E_clIPjSE_SF_SF_EEDaS13_S14_SK_SP_EUlS13_E_NS1_11comp_targetILNS1_3genE8ELNS1_11target_archE1030ELNS1_3gpuE2ELNS1_3repE0EEENS1_47radix_sort_onesweep_sort_config_static_selectorELNS0_4arch9wavefront6targetE1EEEvSK_: ; @_ZN7rocprim17ROCPRIM_400000_NS6detail17trampoline_kernelINS0_14default_configENS1_35radix_sort_onesweep_config_selectorIjNS0_10empty_typeEEEZZNS1_29radix_sort_onesweep_iterationIS3_Lb0EN6thrust23THRUST_200600_302600_NS6detail15normal_iteratorINS9_10device_ptrIjEEEESE_PS5_SF_jNS0_19identity_decomposerENS1_16block_id_wrapperIjLb1EEEEE10hipError_tT1_PNSt15iterator_traitsISK_E10value_typeET2_T3_PNSL_ISQ_E10value_typeET4_T5_PSV_SW_PNS1_23onesweep_lookback_stateEbbT6_jjT7_P12ihipStream_tbENKUlT_T0_SK_SP_E_clIPjSE_SF_SF_EEDaS13_S14_SK_SP_EUlS13_E_NS1_11comp_targetILNS1_3genE8ELNS1_11target_archE1030ELNS1_3gpuE2ELNS1_3repE0EEENS1_47radix_sort_onesweep_sort_config_static_selectorELNS0_4arch9wavefront6targetE1EEEvSK_
; %bb.0:
	.section	.rodata,"a",@progbits
	.p2align	6, 0x0
	.amdhsa_kernel _ZN7rocprim17ROCPRIM_400000_NS6detail17trampoline_kernelINS0_14default_configENS1_35radix_sort_onesweep_config_selectorIjNS0_10empty_typeEEEZZNS1_29radix_sort_onesweep_iterationIS3_Lb0EN6thrust23THRUST_200600_302600_NS6detail15normal_iteratorINS9_10device_ptrIjEEEESE_PS5_SF_jNS0_19identity_decomposerENS1_16block_id_wrapperIjLb1EEEEE10hipError_tT1_PNSt15iterator_traitsISK_E10value_typeET2_T3_PNSL_ISQ_E10value_typeET4_T5_PSV_SW_PNS1_23onesweep_lookback_stateEbbT6_jjT7_P12ihipStream_tbENKUlT_T0_SK_SP_E_clIPjSE_SF_SF_EEDaS13_S14_SK_SP_EUlS13_E_NS1_11comp_targetILNS1_3genE8ELNS1_11target_archE1030ELNS1_3gpuE2ELNS1_3repE0EEENS1_47radix_sort_onesweep_sort_config_static_selectorELNS0_4arch9wavefront6targetE1EEEvSK_
		.amdhsa_group_segment_fixed_size 0
		.amdhsa_private_segment_fixed_size 0
		.amdhsa_kernarg_size 88
		.amdhsa_user_sgpr_count 2
		.amdhsa_user_sgpr_dispatch_ptr 0
		.amdhsa_user_sgpr_queue_ptr 0
		.amdhsa_user_sgpr_kernarg_segment_ptr 1
		.amdhsa_user_sgpr_dispatch_id 0
		.amdhsa_user_sgpr_kernarg_preload_length 0
		.amdhsa_user_sgpr_kernarg_preload_offset 0
		.amdhsa_user_sgpr_private_segment_size 0
		.amdhsa_uses_dynamic_stack 0
		.amdhsa_enable_private_segment 0
		.amdhsa_system_sgpr_workgroup_id_x 1
		.amdhsa_system_sgpr_workgroup_id_y 0
		.amdhsa_system_sgpr_workgroup_id_z 0
		.amdhsa_system_sgpr_workgroup_info 0
		.amdhsa_system_vgpr_workitem_id 0
		.amdhsa_next_free_vgpr 1
		.amdhsa_next_free_sgpr 0
		.amdhsa_accum_offset 4
		.amdhsa_reserve_vcc 0
		.amdhsa_float_round_mode_32 0
		.amdhsa_float_round_mode_16_64 0
		.amdhsa_float_denorm_mode_32 3
		.amdhsa_float_denorm_mode_16_64 3
		.amdhsa_dx10_clamp 1
		.amdhsa_ieee_mode 1
		.amdhsa_fp16_overflow 0
		.amdhsa_tg_split 0
		.amdhsa_exception_fp_ieee_invalid_op 0
		.amdhsa_exception_fp_denorm_src 0
		.amdhsa_exception_fp_ieee_div_zero 0
		.amdhsa_exception_fp_ieee_overflow 0
		.amdhsa_exception_fp_ieee_underflow 0
		.amdhsa_exception_fp_ieee_inexact 0
		.amdhsa_exception_int_div_zero 0
	.end_amdhsa_kernel
	.section	.text._ZN7rocprim17ROCPRIM_400000_NS6detail17trampoline_kernelINS0_14default_configENS1_35radix_sort_onesweep_config_selectorIjNS0_10empty_typeEEEZZNS1_29radix_sort_onesweep_iterationIS3_Lb0EN6thrust23THRUST_200600_302600_NS6detail15normal_iteratorINS9_10device_ptrIjEEEESE_PS5_SF_jNS0_19identity_decomposerENS1_16block_id_wrapperIjLb1EEEEE10hipError_tT1_PNSt15iterator_traitsISK_E10value_typeET2_T3_PNSL_ISQ_E10value_typeET4_T5_PSV_SW_PNS1_23onesweep_lookback_stateEbbT6_jjT7_P12ihipStream_tbENKUlT_T0_SK_SP_E_clIPjSE_SF_SF_EEDaS13_S14_SK_SP_EUlS13_E_NS1_11comp_targetILNS1_3genE8ELNS1_11target_archE1030ELNS1_3gpuE2ELNS1_3repE0EEENS1_47radix_sort_onesweep_sort_config_static_selectorELNS0_4arch9wavefront6targetE1EEEvSK_,"axG",@progbits,_ZN7rocprim17ROCPRIM_400000_NS6detail17trampoline_kernelINS0_14default_configENS1_35radix_sort_onesweep_config_selectorIjNS0_10empty_typeEEEZZNS1_29radix_sort_onesweep_iterationIS3_Lb0EN6thrust23THRUST_200600_302600_NS6detail15normal_iteratorINS9_10device_ptrIjEEEESE_PS5_SF_jNS0_19identity_decomposerENS1_16block_id_wrapperIjLb1EEEEE10hipError_tT1_PNSt15iterator_traitsISK_E10value_typeET2_T3_PNSL_ISQ_E10value_typeET4_T5_PSV_SW_PNS1_23onesweep_lookback_stateEbbT6_jjT7_P12ihipStream_tbENKUlT_T0_SK_SP_E_clIPjSE_SF_SF_EEDaS13_S14_SK_SP_EUlS13_E_NS1_11comp_targetILNS1_3genE8ELNS1_11target_archE1030ELNS1_3gpuE2ELNS1_3repE0EEENS1_47radix_sort_onesweep_sort_config_static_selectorELNS0_4arch9wavefront6targetE1EEEvSK_,comdat
.Lfunc_end1127:
	.size	_ZN7rocprim17ROCPRIM_400000_NS6detail17trampoline_kernelINS0_14default_configENS1_35radix_sort_onesweep_config_selectorIjNS0_10empty_typeEEEZZNS1_29radix_sort_onesweep_iterationIS3_Lb0EN6thrust23THRUST_200600_302600_NS6detail15normal_iteratorINS9_10device_ptrIjEEEESE_PS5_SF_jNS0_19identity_decomposerENS1_16block_id_wrapperIjLb1EEEEE10hipError_tT1_PNSt15iterator_traitsISK_E10value_typeET2_T3_PNSL_ISQ_E10value_typeET4_T5_PSV_SW_PNS1_23onesweep_lookback_stateEbbT6_jjT7_P12ihipStream_tbENKUlT_T0_SK_SP_E_clIPjSE_SF_SF_EEDaS13_S14_SK_SP_EUlS13_E_NS1_11comp_targetILNS1_3genE8ELNS1_11target_archE1030ELNS1_3gpuE2ELNS1_3repE0EEENS1_47radix_sort_onesweep_sort_config_static_selectorELNS0_4arch9wavefront6targetE1EEEvSK_, .Lfunc_end1127-_ZN7rocprim17ROCPRIM_400000_NS6detail17trampoline_kernelINS0_14default_configENS1_35radix_sort_onesweep_config_selectorIjNS0_10empty_typeEEEZZNS1_29radix_sort_onesweep_iterationIS3_Lb0EN6thrust23THRUST_200600_302600_NS6detail15normal_iteratorINS9_10device_ptrIjEEEESE_PS5_SF_jNS0_19identity_decomposerENS1_16block_id_wrapperIjLb1EEEEE10hipError_tT1_PNSt15iterator_traitsISK_E10value_typeET2_T3_PNSL_ISQ_E10value_typeET4_T5_PSV_SW_PNS1_23onesweep_lookback_stateEbbT6_jjT7_P12ihipStream_tbENKUlT_T0_SK_SP_E_clIPjSE_SF_SF_EEDaS13_S14_SK_SP_EUlS13_E_NS1_11comp_targetILNS1_3genE8ELNS1_11target_archE1030ELNS1_3gpuE2ELNS1_3repE0EEENS1_47radix_sort_onesweep_sort_config_static_selectorELNS0_4arch9wavefront6targetE1EEEvSK_
                                        ; -- End function
	.section	.AMDGPU.csdata,"",@progbits
; Kernel info:
; codeLenInByte = 0
; NumSgprs: 6
; NumVgprs: 0
; NumAgprs: 0
; TotalNumVgprs: 0
; ScratchSize: 0
; MemoryBound: 0
; FloatMode: 240
; IeeeMode: 1
; LDSByteSize: 0 bytes/workgroup (compile time only)
; SGPRBlocks: 0
; VGPRBlocks: 0
; NumSGPRsForWavesPerEU: 6
; NumVGPRsForWavesPerEU: 1
; AccumOffset: 4
; Occupancy: 8
; WaveLimiterHint : 0
; COMPUTE_PGM_RSRC2:SCRATCH_EN: 0
; COMPUTE_PGM_RSRC2:USER_SGPR: 2
; COMPUTE_PGM_RSRC2:TRAP_HANDLER: 0
; COMPUTE_PGM_RSRC2:TGID_X_EN: 1
; COMPUTE_PGM_RSRC2:TGID_Y_EN: 0
; COMPUTE_PGM_RSRC2:TGID_Z_EN: 0
; COMPUTE_PGM_RSRC2:TIDIG_COMP_CNT: 0
; COMPUTE_PGM_RSRC3_GFX90A:ACCUM_OFFSET: 0
; COMPUTE_PGM_RSRC3_GFX90A:TG_SPLIT: 0
	.section	.text._ZN7rocprim17ROCPRIM_400000_NS6detail17trampoline_kernelINS0_14default_configENS1_35radix_sort_onesweep_config_selectorIjNS0_10empty_typeEEEZZNS1_29radix_sort_onesweep_iterationIS3_Lb0EN6thrust23THRUST_200600_302600_NS6detail15normal_iteratorINS9_10device_ptrIjEEEESE_PS5_SF_jNS0_19identity_decomposerENS1_16block_id_wrapperIjLb0EEEEE10hipError_tT1_PNSt15iterator_traitsISK_E10value_typeET2_T3_PNSL_ISQ_E10value_typeET4_T5_PSV_SW_PNS1_23onesweep_lookback_stateEbbT6_jjT7_P12ihipStream_tbENKUlT_T0_SK_SP_E_clISE_SE_SF_SF_EEDaS13_S14_SK_SP_EUlS13_E_NS1_11comp_targetILNS1_3genE0ELNS1_11target_archE4294967295ELNS1_3gpuE0ELNS1_3repE0EEENS1_47radix_sort_onesweep_sort_config_static_selectorELNS0_4arch9wavefront6targetE1EEEvSK_,"axG",@progbits,_ZN7rocprim17ROCPRIM_400000_NS6detail17trampoline_kernelINS0_14default_configENS1_35radix_sort_onesweep_config_selectorIjNS0_10empty_typeEEEZZNS1_29radix_sort_onesweep_iterationIS3_Lb0EN6thrust23THRUST_200600_302600_NS6detail15normal_iteratorINS9_10device_ptrIjEEEESE_PS5_SF_jNS0_19identity_decomposerENS1_16block_id_wrapperIjLb0EEEEE10hipError_tT1_PNSt15iterator_traitsISK_E10value_typeET2_T3_PNSL_ISQ_E10value_typeET4_T5_PSV_SW_PNS1_23onesweep_lookback_stateEbbT6_jjT7_P12ihipStream_tbENKUlT_T0_SK_SP_E_clISE_SE_SF_SF_EEDaS13_S14_SK_SP_EUlS13_E_NS1_11comp_targetILNS1_3genE0ELNS1_11target_archE4294967295ELNS1_3gpuE0ELNS1_3repE0EEENS1_47radix_sort_onesweep_sort_config_static_selectorELNS0_4arch9wavefront6targetE1EEEvSK_,comdat
	.protected	_ZN7rocprim17ROCPRIM_400000_NS6detail17trampoline_kernelINS0_14default_configENS1_35radix_sort_onesweep_config_selectorIjNS0_10empty_typeEEEZZNS1_29radix_sort_onesweep_iterationIS3_Lb0EN6thrust23THRUST_200600_302600_NS6detail15normal_iteratorINS9_10device_ptrIjEEEESE_PS5_SF_jNS0_19identity_decomposerENS1_16block_id_wrapperIjLb0EEEEE10hipError_tT1_PNSt15iterator_traitsISK_E10value_typeET2_T3_PNSL_ISQ_E10value_typeET4_T5_PSV_SW_PNS1_23onesweep_lookback_stateEbbT6_jjT7_P12ihipStream_tbENKUlT_T0_SK_SP_E_clISE_SE_SF_SF_EEDaS13_S14_SK_SP_EUlS13_E_NS1_11comp_targetILNS1_3genE0ELNS1_11target_archE4294967295ELNS1_3gpuE0ELNS1_3repE0EEENS1_47radix_sort_onesweep_sort_config_static_selectorELNS0_4arch9wavefront6targetE1EEEvSK_ ; -- Begin function _ZN7rocprim17ROCPRIM_400000_NS6detail17trampoline_kernelINS0_14default_configENS1_35radix_sort_onesweep_config_selectorIjNS0_10empty_typeEEEZZNS1_29radix_sort_onesweep_iterationIS3_Lb0EN6thrust23THRUST_200600_302600_NS6detail15normal_iteratorINS9_10device_ptrIjEEEESE_PS5_SF_jNS0_19identity_decomposerENS1_16block_id_wrapperIjLb0EEEEE10hipError_tT1_PNSt15iterator_traitsISK_E10value_typeET2_T3_PNSL_ISQ_E10value_typeET4_T5_PSV_SW_PNS1_23onesweep_lookback_stateEbbT6_jjT7_P12ihipStream_tbENKUlT_T0_SK_SP_E_clISE_SE_SF_SF_EEDaS13_S14_SK_SP_EUlS13_E_NS1_11comp_targetILNS1_3genE0ELNS1_11target_archE4294967295ELNS1_3gpuE0ELNS1_3repE0EEENS1_47radix_sort_onesweep_sort_config_static_selectorELNS0_4arch9wavefront6targetE1EEEvSK_
	.globl	_ZN7rocprim17ROCPRIM_400000_NS6detail17trampoline_kernelINS0_14default_configENS1_35radix_sort_onesweep_config_selectorIjNS0_10empty_typeEEEZZNS1_29radix_sort_onesweep_iterationIS3_Lb0EN6thrust23THRUST_200600_302600_NS6detail15normal_iteratorINS9_10device_ptrIjEEEESE_PS5_SF_jNS0_19identity_decomposerENS1_16block_id_wrapperIjLb0EEEEE10hipError_tT1_PNSt15iterator_traitsISK_E10value_typeET2_T3_PNSL_ISQ_E10value_typeET4_T5_PSV_SW_PNS1_23onesweep_lookback_stateEbbT6_jjT7_P12ihipStream_tbENKUlT_T0_SK_SP_E_clISE_SE_SF_SF_EEDaS13_S14_SK_SP_EUlS13_E_NS1_11comp_targetILNS1_3genE0ELNS1_11target_archE4294967295ELNS1_3gpuE0ELNS1_3repE0EEENS1_47radix_sort_onesweep_sort_config_static_selectorELNS0_4arch9wavefront6targetE1EEEvSK_
	.p2align	8
	.type	_ZN7rocprim17ROCPRIM_400000_NS6detail17trampoline_kernelINS0_14default_configENS1_35radix_sort_onesweep_config_selectorIjNS0_10empty_typeEEEZZNS1_29radix_sort_onesweep_iterationIS3_Lb0EN6thrust23THRUST_200600_302600_NS6detail15normal_iteratorINS9_10device_ptrIjEEEESE_PS5_SF_jNS0_19identity_decomposerENS1_16block_id_wrapperIjLb0EEEEE10hipError_tT1_PNSt15iterator_traitsISK_E10value_typeET2_T3_PNSL_ISQ_E10value_typeET4_T5_PSV_SW_PNS1_23onesweep_lookback_stateEbbT6_jjT7_P12ihipStream_tbENKUlT_T0_SK_SP_E_clISE_SE_SF_SF_EEDaS13_S14_SK_SP_EUlS13_E_NS1_11comp_targetILNS1_3genE0ELNS1_11target_archE4294967295ELNS1_3gpuE0ELNS1_3repE0EEENS1_47radix_sort_onesweep_sort_config_static_selectorELNS0_4arch9wavefront6targetE1EEEvSK_,@function
_ZN7rocprim17ROCPRIM_400000_NS6detail17trampoline_kernelINS0_14default_configENS1_35radix_sort_onesweep_config_selectorIjNS0_10empty_typeEEEZZNS1_29radix_sort_onesweep_iterationIS3_Lb0EN6thrust23THRUST_200600_302600_NS6detail15normal_iteratorINS9_10device_ptrIjEEEESE_PS5_SF_jNS0_19identity_decomposerENS1_16block_id_wrapperIjLb0EEEEE10hipError_tT1_PNSt15iterator_traitsISK_E10value_typeET2_T3_PNSL_ISQ_E10value_typeET4_T5_PSV_SW_PNS1_23onesweep_lookback_stateEbbT6_jjT7_P12ihipStream_tbENKUlT_T0_SK_SP_E_clISE_SE_SF_SF_EEDaS13_S14_SK_SP_EUlS13_E_NS1_11comp_targetILNS1_3genE0ELNS1_11target_archE4294967295ELNS1_3gpuE0ELNS1_3repE0EEENS1_47radix_sort_onesweep_sort_config_static_selectorELNS0_4arch9wavefront6targetE1EEEvSK_: ; @_ZN7rocprim17ROCPRIM_400000_NS6detail17trampoline_kernelINS0_14default_configENS1_35radix_sort_onesweep_config_selectorIjNS0_10empty_typeEEEZZNS1_29radix_sort_onesweep_iterationIS3_Lb0EN6thrust23THRUST_200600_302600_NS6detail15normal_iteratorINS9_10device_ptrIjEEEESE_PS5_SF_jNS0_19identity_decomposerENS1_16block_id_wrapperIjLb0EEEEE10hipError_tT1_PNSt15iterator_traitsISK_E10value_typeET2_T3_PNSL_ISQ_E10value_typeET4_T5_PSV_SW_PNS1_23onesweep_lookback_stateEbbT6_jjT7_P12ihipStream_tbENKUlT_T0_SK_SP_E_clISE_SE_SF_SF_EEDaS13_S14_SK_SP_EUlS13_E_NS1_11comp_targetILNS1_3genE0ELNS1_11target_archE4294967295ELNS1_3gpuE0ELNS1_3repE0EEENS1_47radix_sort_onesweep_sort_config_static_selectorELNS0_4arch9wavefront6targetE1EEEvSK_
; %bb.0:
	.section	.rodata,"a",@progbits
	.p2align	6, 0x0
	.amdhsa_kernel _ZN7rocprim17ROCPRIM_400000_NS6detail17trampoline_kernelINS0_14default_configENS1_35radix_sort_onesweep_config_selectorIjNS0_10empty_typeEEEZZNS1_29radix_sort_onesweep_iterationIS3_Lb0EN6thrust23THRUST_200600_302600_NS6detail15normal_iteratorINS9_10device_ptrIjEEEESE_PS5_SF_jNS0_19identity_decomposerENS1_16block_id_wrapperIjLb0EEEEE10hipError_tT1_PNSt15iterator_traitsISK_E10value_typeET2_T3_PNSL_ISQ_E10value_typeET4_T5_PSV_SW_PNS1_23onesweep_lookback_stateEbbT6_jjT7_P12ihipStream_tbENKUlT_T0_SK_SP_E_clISE_SE_SF_SF_EEDaS13_S14_SK_SP_EUlS13_E_NS1_11comp_targetILNS1_3genE0ELNS1_11target_archE4294967295ELNS1_3gpuE0ELNS1_3repE0EEENS1_47radix_sort_onesweep_sort_config_static_selectorELNS0_4arch9wavefront6targetE1EEEvSK_
		.amdhsa_group_segment_fixed_size 0
		.amdhsa_private_segment_fixed_size 0
		.amdhsa_kernarg_size 88
		.amdhsa_user_sgpr_count 2
		.amdhsa_user_sgpr_dispatch_ptr 0
		.amdhsa_user_sgpr_queue_ptr 0
		.amdhsa_user_sgpr_kernarg_segment_ptr 1
		.amdhsa_user_sgpr_dispatch_id 0
		.amdhsa_user_sgpr_kernarg_preload_length 0
		.amdhsa_user_sgpr_kernarg_preload_offset 0
		.amdhsa_user_sgpr_private_segment_size 0
		.amdhsa_uses_dynamic_stack 0
		.amdhsa_enable_private_segment 0
		.amdhsa_system_sgpr_workgroup_id_x 1
		.amdhsa_system_sgpr_workgroup_id_y 0
		.amdhsa_system_sgpr_workgroup_id_z 0
		.amdhsa_system_sgpr_workgroup_info 0
		.amdhsa_system_vgpr_workitem_id 0
		.amdhsa_next_free_vgpr 1
		.amdhsa_next_free_sgpr 0
		.amdhsa_accum_offset 4
		.amdhsa_reserve_vcc 0
		.amdhsa_float_round_mode_32 0
		.amdhsa_float_round_mode_16_64 0
		.amdhsa_float_denorm_mode_32 3
		.amdhsa_float_denorm_mode_16_64 3
		.amdhsa_dx10_clamp 1
		.amdhsa_ieee_mode 1
		.amdhsa_fp16_overflow 0
		.amdhsa_tg_split 0
		.amdhsa_exception_fp_ieee_invalid_op 0
		.amdhsa_exception_fp_denorm_src 0
		.amdhsa_exception_fp_ieee_div_zero 0
		.amdhsa_exception_fp_ieee_overflow 0
		.amdhsa_exception_fp_ieee_underflow 0
		.amdhsa_exception_fp_ieee_inexact 0
		.amdhsa_exception_int_div_zero 0
	.end_amdhsa_kernel
	.section	.text._ZN7rocprim17ROCPRIM_400000_NS6detail17trampoline_kernelINS0_14default_configENS1_35radix_sort_onesweep_config_selectorIjNS0_10empty_typeEEEZZNS1_29radix_sort_onesweep_iterationIS3_Lb0EN6thrust23THRUST_200600_302600_NS6detail15normal_iteratorINS9_10device_ptrIjEEEESE_PS5_SF_jNS0_19identity_decomposerENS1_16block_id_wrapperIjLb0EEEEE10hipError_tT1_PNSt15iterator_traitsISK_E10value_typeET2_T3_PNSL_ISQ_E10value_typeET4_T5_PSV_SW_PNS1_23onesweep_lookback_stateEbbT6_jjT7_P12ihipStream_tbENKUlT_T0_SK_SP_E_clISE_SE_SF_SF_EEDaS13_S14_SK_SP_EUlS13_E_NS1_11comp_targetILNS1_3genE0ELNS1_11target_archE4294967295ELNS1_3gpuE0ELNS1_3repE0EEENS1_47radix_sort_onesweep_sort_config_static_selectorELNS0_4arch9wavefront6targetE1EEEvSK_,"axG",@progbits,_ZN7rocprim17ROCPRIM_400000_NS6detail17trampoline_kernelINS0_14default_configENS1_35radix_sort_onesweep_config_selectorIjNS0_10empty_typeEEEZZNS1_29radix_sort_onesweep_iterationIS3_Lb0EN6thrust23THRUST_200600_302600_NS6detail15normal_iteratorINS9_10device_ptrIjEEEESE_PS5_SF_jNS0_19identity_decomposerENS1_16block_id_wrapperIjLb0EEEEE10hipError_tT1_PNSt15iterator_traitsISK_E10value_typeET2_T3_PNSL_ISQ_E10value_typeET4_T5_PSV_SW_PNS1_23onesweep_lookback_stateEbbT6_jjT7_P12ihipStream_tbENKUlT_T0_SK_SP_E_clISE_SE_SF_SF_EEDaS13_S14_SK_SP_EUlS13_E_NS1_11comp_targetILNS1_3genE0ELNS1_11target_archE4294967295ELNS1_3gpuE0ELNS1_3repE0EEENS1_47radix_sort_onesweep_sort_config_static_selectorELNS0_4arch9wavefront6targetE1EEEvSK_,comdat
.Lfunc_end1128:
	.size	_ZN7rocprim17ROCPRIM_400000_NS6detail17trampoline_kernelINS0_14default_configENS1_35radix_sort_onesweep_config_selectorIjNS0_10empty_typeEEEZZNS1_29radix_sort_onesweep_iterationIS3_Lb0EN6thrust23THRUST_200600_302600_NS6detail15normal_iteratorINS9_10device_ptrIjEEEESE_PS5_SF_jNS0_19identity_decomposerENS1_16block_id_wrapperIjLb0EEEEE10hipError_tT1_PNSt15iterator_traitsISK_E10value_typeET2_T3_PNSL_ISQ_E10value_typeET4_T5_PSV_SW_PNS1_23onesweep_lookback_stateEbbT6_jjT7_P12ihipStream_tbENKUlT_T0_SK_SP_E_clISE_SE_SF_SF_EEDaS13_S14_SK_SP_EUlS13_E_NS1_11comp_targetILNS1_3genE0ELNS1_11target_archE4294967295ELNS1_3gpuE0ELNS1_3repE0EEENS1_47radix_sort_onesweep_sort_config_static_selectorELNS0_4arch9wavefront6targetE1EEEvSK_, .Lfunc_end1128-_ZN7rocprim17ROCPRIM_400000_NS6detail17trampoline_kernelINS0_14default_configENS1_35radix_sort_onesweep_config_selectorIjNS0_10empty_typeEEEZZNS1_29radix_sort_onesweep_iterationIS3_Lb0EN6thrust23THRUST_200600_302600_NS6detail15normal_iteratorINS9_10device_ptrIjEEEESE_PS5_SF_jNS0_19identity_decomposerENS1_16block_id_wrapperIjLb0EEEEE10hipError_tT1_PNSt15iterator_traitsISK_E10value_typeET2_T3_PNSL_ISQ_E10value_typeET4_T5_PSV_SW_PNS1_23onesweep_lookback_stateEbbT6_jjT7_P12ihipStream_tbENKUlT_T0_SK_SP_E_clISE_SE_SF_SF_EEDaS13_S14_SK_SP_EUlS13_E_NS1_11comp_targetILNS1_3genE0ELNS1_11target_archE4294967295ELNS1_3gpuE0ELNS1_3repE0EEENS1_47radix_sort_onesweep_sort_config_static_selectorELNS0_4arch9wavefront6targetE1EEEvSK_
                                        ; -- End function
	.section	.AMDGPU.csdata,"",@progbits
; Kernel info:
; codeLenInByte = 0
; NumSgprs: 6
; NumVgprs: 0
; NumAgprs: 0
; TotalNumVgprs: 0
; ScratchSize: 0
; MemoryBound: 0
; FloatMode: 240
; IeeeMode: 1
; LDSByteSize: 0 bytes/workgroup (compile time only)
; SGPRBlocks: 0
; VGPRBlocks: 0
; NumSGPRsForWavesPerEU: 6
; NumVGPRsForWavesPerEU: 1
; AccumOffset: 4
; Occupancy: 8
; WaveLimiterHint : 0
; COMPUTE_PGM_RSRC2:SCRATCH_EN: 0
; COMPUTE_PGM_RSRC2:USER_SGPR: 2
; COMPUTE_PGM_RSRC2:TRAP_HANDLER: 0
; COMPUTE_PGM_RSRC2:TGID_X_EN: 1
; COMPUTE_PGM_RSRC2:TGID_Y_EN: 0
; COMPUTE_PGM_RSRC2:TGID_Z_EN: 0
; COMPUTE_PGM_RSRC2:TIDIG_COMP_CNT: 0
; COMPUTE_PGM_RSRC3_GFX90A:ACCUM_OFFSET: 0
; COMPUTE_PGM_RSRC3_GFX90A:TG_SPLIT: 0
	.section	.text._ZN7rocprim17ROCPRIM_400000_NS6detail17trampoline_kernelINS0_14default_configENS1_35radix_sort_onesweep_config_selectorIjNS0_10empty_typeEEEZZNS1_29radix_sort_onesweep_iterationIS3_Lb0EN6thrust23THRUST_200600_302600_NS6detail15normal_iteratorINS9_10device_ptrIjEEEESE_PS5_SF_jNS0_19identity_decomposerENS1_16block_id_wrapperIjLb0EEEEE10hipError_tT1_PNSt15iterator_traitsISK_E10value_typeET2_T3_PNSL_ISQ_E10value_typeET4_T5_PSV_SW_PNS1_23onesweep_lookback_stateEbbT6_jjT7_P12ihipStream_tbENKUlT_T0_SK_SP_E_clISE_SE_SF_SF_EEDaS13_S14_SK_SP_EUlS13_E_NS1_11comp_targetILNS1_3genE6ELNS1_11target_archE950ELNS1_3gpuE13ELNS1_3repE0EEENS1_47radix_sort_onesweep_sort_config_static_selectorELNS0_4arch9wavefront6targetE1EEEvSK_,"axG",@progbits,_ZN7rocprim17ROCPRIM_400000_NS6detail17trampoline_kernelINS0_14default_configENS1_35radix_sort_onesweep_config_selectorIjNS0_10empty_typeEEEZZNS1_29radix_sort_onesweep_iterationIS3_Lb0EN6thrust23THRUST_200600_302600_NS6detail15normal_iteratorINS9_10device_ptrIjEEEESE_PS5_SF_jNS0_19identity_decomposerENS1_16block_id_wrapperIjLb0EEEEE10hipError_tT1_PNSt15iterator_traitsISK_E10value_typeET2_T3_PNSL_ISQ_E10value_typeET4_T5_PSV_SW_PNS1_23onesweep_lookback_stateEbbT6_jjT7_P12ihipStream_tbENKUlT_T0_SK_SP_E_clISE_SE_SF_SF_EEDaS13_S14_SK_SP_EUlS13_E_NS1_11comp_targetILNS1_3genE6ELNS1_11target_archE950ELNS1_3gpuE13ELNS1_3repE0EEENS1_47radix_sort_onesweep_sort_config_static_selectorELNS0_4arch9wavefront6targetE1EEEvSK_,comdat
	.protected	_ZN7rocprim17ROCPRIM_400000_NS6detail17trampoline_kernelINS0_14default_configENS1_35radix_sort_onesweep_config_selectorIjNS0_10empty_typeEEEZZNS1_29radix_sort_onesweep_iterationIS3_Lb0EN6thrust23THRUST_200600_302600_NS6detail15normal_iteratorINS9_10device_ptrIjEEEESE_PS5_SF_jNS0_19identity_decomposerENS1_16block_id_wrapperIjLb0EEEEE10hipError_tT1_PNSt15iterator_traitsISK_E10value_typeET2_T3_PNSL_ISQ_E10value_typeET4_T5_PSV_SW_PNS1_23onesweep_lookback_stateEbbT6_jjT7_P12ihipStream_tbENKUlT_T0_SK_SP_E_clISE_SE_SF_SF_EEDaS13_S14_SK_SP_EUlS13_E_NS1_11comp_targetILNS1_3genE6ELNS1_11target_archE950ELNS1_3gpuE13ELNS1_3repE0EEENS1_47radix_sort_onesweep_sort_config_static_selectorELNS0_4arch9wavefront6targetE1EEEvSK_ ; -- Begin function _ZN7rocprim17ROCPRIM_400000_NS6detail17trampoline_kernelINS0_14default_configENS1_35radix_sort_onesweep_config_selectorIjNS0_10empty_typeEEEZZNS1_29radix_sort_onesweep_iterationIS3_Lb0EN6thrust23THRUST_200600_302600_NS6detail15normal_iteratorINS9_10device_ptrIjEEEESE_PS5_SF_jNS0_19identity_decomposerENS1_16block_id_wrapperIjLb0EEEEE10hipError_tT1_PNSt15iterator_traitsISK_E10value_typeET2_T3_PNSL_ISQ_E10value_typeET4_T5_PSV_SW_PNS1_23onesweep_lookback_stateEbbT6_jjT7_P12ihipStream_tbENKUlT_T0_SK_SP_E_clISE_SE_SF_SF_EEDaS13_S14_SK_SP_EUlS13_E_NS1_11comp_targetILNS1_3genE6ELNS1_11target_archE950ELNS1_3gpuE13ELNS1_3repE0EEENS1_47radix_sort_onesweep_sort_config_static_selectorELNS0_4arch9wavefront6targetE1EEEvSK_
	.globl	_ZN7rocprim17ROCPRIM_400000_NS6detail17trampoline_kernelINS0_14default_configENS1_35radix_sort_onesweep_config_selectorIjNS0_10empty_typeEEEZZNS1_29radix_sort_onesweep_iterationIS3_Lb0EN6thrust23THRUST_200600_302600_NS6detail15normal_iteratorINS9_10device_ptrIjEEEESE_PS5_SF_jNS0_19identity_decomposerENS1_16block_id_wrapperIjLb0EEEEE10hipError_tT1_PNSt15iterator_traitsISK_E10value_typeET2_T3_PNSL_ISQ_E10value_typeET4_T5_PSV_SW_PNS1_23onesweep_lookback_stateEbbT6_jjT7_P12ihipStream_tbENKUlT_T0_SK_SP_E_clISE_SE_SF_SF_EEDaS13_S14_SK_SP_EUlS13_E_NS1_11comp_targetILNS1_3genE6ELNS1_11target_archE950ELNS1_3gpuE13ELNS1_3repE0EEENS1_47radix_sort_onesweep_sort_config_static_selectorELNS0_4arch9wavefront6targetE1EEEvSK_
	.p2align	8
	.type	_ZN7rocprim17ROCPRIM_400000_NS6detail17trampoline_kernelINS0_14default_configENS1_35radix_sort_onesweep_config_selectorIjNS0_10empty_typeEEEZZNS1_29radix_sort_onesweep_iterationIS3_Lb0EN6thrust23THRUST_200600_302600_NS6detail15normal_iteratorINS9_10device_ptrIjEEEESE_PS5_SF_jNS0_19identity_decomposerENS1_16block_id_wrapperIjLb0EEEEE10hipError_tT1_PNSt15iterator_traitsISK_E10value_typeET2_T3_PNSL_ISQ_E10value_typeET4_T5_PSV_SW_PNS1_23onesweep_lookback_stateEbbT6_jjT7_P12ihipStream_tbENKUlT_T0_SK_SP_E_clISE_SE_SF_SF_EEDaS13_S14_SK_SP_EUlS13_E_NS1_11comp_targetILNS1_3genE6ELNS1_11target_archE950ELNS1_3gpuE13ELNS1_3repE0EEENS1_47radix_sort_onesweep_sort_config_static_selectorELNS0_4arch9wavefront6targetE1EEEvSK_,@function
_ZN7rocprim17ROCPRIM_400000_NS6detail17trampoline_kernelINS0_14default_configENS1_35radix_sort_onesweep_config_selectorIjNS0_10empty_typeEEEZZNS1_29radix_sort_onesweep_iterationIS3_Lb0EN6thrust23THRUST_200600_302600_NS6detail15normal_iteratorINS9_10device_ptrIjEEEESE_PS5_SF_jNS0_19identity_decomposerENS1_16block_id_wrapperIjLb0EEEEE10hipError_tT1_PNSt15iterator_traitsISK_E10value_typeET2_T3_PNSL_ISQ_E10value_typeET4_T5_PSV_SW_PNS1_23onesweep_lookback_stateEbbT6_jjT7_P12ihipStream_tbENKUlT_T0_SK_SP_E_clISE_SE_SF_SF_EEDaS13_S14_SK_SP_EUlS13_E_NS1_11comp_targetILNS1_3genE6ELNS1_11target_archE950ELNS1_3gpuE13ELNS1_3repE0EEENS1_47radix_sort_onesweep_sort_config_static_selectorELNS0_4arch9wavefront6targetE1EEEvSK_: ; @_ZN7rocprim17ROCPRIM_400000_NS6detail17trampoline_kernelINS0_14default_configENS1_35radix_sort_onesweep_config_selectorIjNS0_10empty_typeEEEZZNS1_29radix_sort_onesweep_iterationIS3_Lb0EN6thrust23THRUST_200600_302600_NS6detail15normal_iteratorINS9_10device_ptrIjEEEESE_PS5_SF_jNS0_19identity_decomposerENS1_16block_id_wrapperIjLb0EEEEE10hipError_tT1_PNSt15iterator_traitsISK_E10value_typeET2_T3_PNSL_ISQ_E10value_typeET4_T5_PSV_SW_PNS1_23onesweep_lookback_stateEbbT6_jjT7_P12ihipStream_tbENKUlT_T0_SK_SP_E_clISE_SE_SF_SF_EEDaS13_S14_SK_SP_EUlS13_E_NS1_11comp_targetILNS1_3genE6ELNS1_11target_archE950ELNS1_3gpuE13ELNS1_3repE0EEENS1_47radix_sort_onesweep_sort_config_static_selectorELNS0_4arch9wavefront6targetE1EEEvSK_
; %bb.0:
	.section	.rodata,"a",@progbits
	.p2align	6, 0x0
	.amdhsa_kernel _ZN7rocprim17ROCPRIM_400000_NS6detail17trampoline_kernelINS0_14default_configENS1_35radix_sort_onesweep_config_selectorIjNS0_10empty_typeEEEZZNS1_29radix_sort_onesweep_iterationIS3_Lb0EN6thrust23THRUST_200600_302600_NS6detail15normal_iteratorINS9_10device_ptrIjEEEESE_PS5_SF_jNS0_19identity_decomposerENS1_16block_id_wrapperIjLb0EEEEE10hipError_tT1_PNSt15iterator_traitsISK_E10value_typeET2_T3_PNSL_ISQ_E10value_typeET4_T5_PSV_SW_PNS1_23onesweep_lookback_stateEbbT6_jjT7_P12ihipStream_tbENKUlT_T0_SK_SP_E_clISE_SE_SF_SF_EEDaS13_S14_SK_SP_EUlS13_E_NS1_11comp_targetILNS1_3genE6ELNS1_11target_archE950ELNS1_3gpuE13ELNS1_3repE0EEENS1_47radix_sort_onesweep_sort_config_static_selectorELNS0_4arch9wavefront6targetE1EEEvSK_
		.amdhsa_group_segment_fixed_size 0
		.amdhsa_private_segment_fixed_size 0
		.amdhsa_kernarg_size 88
		.amdhsa_user_sgpr_count 2
		.amdhsa_user_sgpr_dispatch_ptr 0
		.amdhsa_user_sgpr_queue_ptr 0
		.amdhsa_user_sgpr_kernarg_segment_ptr 1
		.amdhsa_user_sgpr_dispatch_id 0
		.amdhsa_user_sgpr_kernarg_preload_length 0
		.amdhsa_user_sgpr_kernarg_preload_offset 0
		.amdhsa_user_sgpr_private_segment_size 0
		.amdhsa_uses_dynamic_stack 0
		.amdhsa_enable_private_segment 0
		.amdhsa_system_sgpr_workgroup_id_x 1
		.amdhsa_system_sgpr_workgroup_id_y 0
		.amdhsa_system_sgpr_workgroup_id_z 0
		.amdhsa_system_sgpr_workgroup_info 0
		.amdhsa_system_vgpr_workitem_id 0
		.amdhsa_next_free_vgpr 1
		.amdhsa_next_free_sgpr 0
		.amdhsa_accum_offset 4
		.amdhsa_reserve_vcc 0
		.amdhsa_float_round_mode_32 0
		.amdhsa_float_round_mode_16_64 0
		.amdhsa_float_denorm_mode_32 3
		.amdhsa_float_denorm_mode_16_64 3
		.amdhsa_dx10_clamp 1
		.amdhsa_ieee_mode 1
		.amdhsa_fp16_overflow 0
		.amdhsa_tg_split 0
		.amdhsa_exception_fp_ieee_invalid_op 0
		.amdhsa_exception_fp_denorm_src 0
		.amdhsa_exception_fp_ieee_div_zero 0
		.amdhsa_exception_fp_ieee_overflow 0
		.amdhsa_exception_fp_ieee_underflow 0
		.amdhsa_exception_fp_ieee_inexact 0
		.amdhsa_exception_int_div_zero 0
	.end_amdhsa_kernel
	.section	.text._ZN7rocprim17ROCPRIM_400000_NS6detail17trampoline_kernelINS0_14default_configENS1_35radix_sort_onesweep_config_selectorIjNS0_10empty_typeEEEZZNS1_29radix_sort_onesweep_iterationIS3_Lb0EN6thrust23THRUST_200600_302600_NS6detail15normal_iteratorINS9_10device_ptrIjEEEESE_PS5_SF_jNS0_19identity_decomposerENS1_16block_id_wrapperIjLb0EEEEE10hipError_tT1_PNSt15iterator_traitsISK_E10value_typeET2_T3_PNSL_ISQ_E10value_typeET4_T5_PSV_SW_PNS1_23onesweep_lookback_stateEbbT6_jjT7_P12ihipStream_tbENKUlT_T0_SK_SP_E_clISE_SE_SF_SF_EEDaS13_S14_SK_SP_EUlS13_E_NS1_11comp_targetILNS1_3genE6ELNS1_11target_archE950ELNS1_3gpuE13ELNS1_3repE0EEENS1_47radix_sort_onesweep_sort_config_static_selectorELNS0_4arch9wavefront6targetE1EEEvSK_,"axG",@progbits,_ZN7rocprim17ROCPRIM_400000_NS6detail17trampoline_kernelINS0_14default_configENS1_35radix_sort_onesweep_config_selectorIjNS0_10empty_typeEEEZZNS1_29radix_sort_onesweep_iterationIS3_Lb0EN6thrust23THRUST_200600_302600_NS6detail15normal_iteratorINS9_10device_ptrIjEEEESE_PS5_SF_jNS0_19identity_decomposerENS1_16block_id_wrapperIjLb0EEEEE10hipError_tT1_PNSt15iterator_traitsISK_E10value_typeET2_T3_PNSL_ISQ_E10value_typeET4_T5_PSV_SW_PNS1_23onesweep_lookback_stateEbbT6_jjT7_P12ihipStream_tbENKUlT_T0_SK_SP_E_clISE_SE_SF_SF_EEDaS13_S14_SK_SP_EUlS13_E_NS1_11comp_targetILNS1_3genE6ELNS1_11target_archE950ELNS1_3gpuE13ELNS1_3repE0EEENS1_47radix_sort_onesweep_sort_config_static_selectorELNS0_4arch9wavefront6targetE1EEEvSK_,comdat
.Lfunc_end1129:
	.size	_ZN7rocprim17ROCPRIM_400000_NS6detail17trampoline_kernelINS0_14default_configENS1_35radix_sort_onesweep_config_selectorIjNS0_10empty_typeEEEZZNS1_29radix_sort_onesweep_iterationIS3_Lb0EN6thrust23THRUST_200600_302600_NS6detail15normal_iteratorINS9_10device_ptrIjEEEESE_PS5_SF_jNS0_19identity_decomposerENS1_16block_id_wrapperIjLb0EEEEE10hipError_tT1_PNSt15iterator_traitsISK_E10value_typeET2_T3_PNSL_ISQ_E10value_typeET4_T5_PSV_SW_PNS1_23onesweep_lookback_stateEbbT6_jjT7_P12ihipStream_tbENKUlT_T0_SK_SP_E_clISE_SE_SF_SF_EEDaS13_S14_SK_SP_EUlS13_E_NS1_11comp_targetILNS1_3genE6ELNS1_11target_archE950ELNS1_3gpuE13ELNS1_3repE0EEENS1_47radix_sort_onesweep_sort_config_static_selectorELNS0_4arch9wavefront6targetE1EEEvSK_, .Lfunc_end1129-_ZN7rocprim17ROCPRIM_400000_NS6detail17trampoline_kernelINS0_14default_configENS1_35radix_sort_onesweep_config_selectorIjNS0_10empty_typeEEEZZNS1_29radix_sort_onesweep_iterationIS3_Lb0EN6thrust23THRUST_200600_302600_NS6detail15normal_iteratorINS9_10device_ptrIjEEEESE_PS5_SF_jNS0_19identity_decomposerENS1_16block_id_wrapperIjLb0EEEEE10hipError_tT1_PNSt15iterator_traitsISK_E10value_typeET2_T3_PNSL_ISQ_E10value_typeET4_T5_PSV_SW_PNS1_23onesweep_lookback_stateEbbT6_jjT7_P12ihipStream_tbENKUlT_T0_SK_SP_E_clISE_SE_SF_SF_EEDaS13_S14_SK_SP_EUlS13_E_NS1_11comp_targetILNS1_3genE6ELNS1_11target_archE950ELNS1_3gpuE13ELNS1_3repE0EEENS1_47radix_sort_onesweep_sort_config_static_selectorELNS0_4arch9wavefront6targetE1EEEvSK_
                                        ; -- End function
	.section	.AMDGPU.csdata,"",@progbits
; Kernel info:
; codeLenInByte = 0
; NumSgprs: 6
; NumVgprs: 0
; NumAgprs: 0
; TotalNumVgprs: 0
; ScratchSize: 0
; MemoryBound: 0
; FloatMode: 240
; IeeeMode: 1
; LDSByteSize: 0 bytes/workgroup (compile time only)
; SGPRBlocks: 0
; VGPRBlocks: 0
; NumSGPRsForWavesPerEU: 6
; NumVGPRsForWavesPerEU: 1
; AccumOffset: 4
; Occupancy: 8
; WaveLimiterHint : 0
; COMPUTE_PGM_RSRC2:SCRATCH_EN: 0
; COMPUTE_PGM_RSRC2:USER_SGPR: 2
; COMPUTE_PGM_RSRC2:TRAP_HANDLER: 0
; COMPUTE_PGM_RSRC2:TGID_X_EN: 1
; COMPUTE_PGM_RSRC2:TGID_Y_EN: 0
; COMPUTE_PGM_RSRC2:TGID_Z_EN: 0
; COMPUTE_PGM_RSRC2:TIDIG_COMP_CNT: 0
; COMPUTE_PGM_RSRC3_GFX90A:ACCUM_OFFSET: 0
; COMPUTE_PGM_RSRC3_GFX90A:TG_SPLIT: 0
	.section	.text._ZN7rocprim17ROCPRIM_400000_NS6detail17trampoline_kernelINS0_14default_configENS1_35radix_sort_onesweep_config_selectorIjNS0_10empty_typeEEEZZNS1_29radix_sort_onesweep_iterationIS3_Lb0EN6thrust23THRUST_200600_302600_NS6detail15normal_iteratorINS9_10device_ptrIjEEEESE_PS5_SF_jNS0_19identity_decomposerENS1_16block_id_wrapperIjLb0EEEEE10hipError_tT1_PNSt15iterator_traitsISK_E10value_typeET2_T3_PNSL_ISQ_E10value_typeET4_T5_PSV_SW_PNS1_23onesweep_lookback_stateEbbT6_jjT7_P12ihipStream_tbENKUlT_T0_SK_SP_E_clISE_SE_SF_SF_EEDaS13_S14_SK_SP_EUlS13_E_NS1_11comp_targetILNS1_3genE5ELNS1_11target_archE942ELNS1_3gpuE9ELNS1_3repE0EEENS1_47radix_sort_onesweep_sort_config_static_selectorELNS0_4arch9wavefront6targetE1EEEvSK_,"axG",@progbits,_ZN7rocprim17ROCPRIM_400000_NS6detail17trampoline_kernelINS0_14default_configENS1_35radix_sort_onesweep_config_selectorIjNS0_10empty_typeEEEZZNS1_29radix_sort_onesweep_iterationIS3_Lb0EN6thrust23THRUST_200600_302600_NS6detail15normal_iteratorINS9_10device_ptrIjEEEESE_PS5_SF_jNS0_19identity_decomposerENS1_16block_id_wrapperIjLb0EEEEE10hipError_tT1_PNSt15iterator_traitsISK_E10value_typeET2_T3_PNSL_ISQ_E10value_typeET4_T5_PSV_SW_PNS1_23onesweep_lookback_stateEbbT6_jjT7_P12ihipStream_tbENKUlT_T0_SK_SP_E_clISE_SE_SF_SF_EEDaS13_S14_SK_SP_EUlS13_E_NS1_11comp_targetILNS1_3genE5ELNS1_11target_archE942ELNS1_3gpuE9ELNS1_3repE0EEENS1_47radix_sort_onesweep_sort_config_static_selectorELNS0_4arch9wavefront6targetE1EEEvSK_,comdat
	.protected	_ZN7rocprim17ROCPRIM_400000_NS6detail17trampoline_kernelINS0_14default_configENS1_35radix_sort_onesweep_config_selectorIjNS0_10empty_typeEEEZZNS1_29radix_sort_onesweep_iterationIS3_Lb0EN6thrust23THRUST_200600_302600_NS6detail15normal_iteratorINS9_10device_ptrIjEEEESE_PS5_SF_jNS0_19identity_decomposerENS1_16block_id_wrapperIjLb0EEEEE10hipError_tT1_PNSt15iterator_traitsISK_E10value_typeET2_T3_PNSL_ISQ_E10value_typeET4_T5_PSV_SW_PNS1_23onesweep_lookback_stateEbbT6_jjT7_P12ihipStream_tbENKUlT_T0_SK_SP_E_clISE_SE_SF_SF_EEDaS13_S14_SK_SP_EUlS13_E_NS1_11comp_targetILNS1_3genE5ELNS1_11target_archE942ELNS1_3gpuE9ELNS1_3repE0EEENS1_47radix_sort_onesweep_sort_config_static_selectorELNS0_4arch9wavefront6targetE1EEEvSK_ ; -- Begin function _ZN7rocprim17ROCPRIM_400000_NS6detail17trampoline_kernelINS0_14default_configENS1_35radix_sort_onesweep_config_selectorIjNS0_10empty_typeEEEZZNS1_29radix_sort_onesweep_iterationIS3_Lb0EN6thrust23THRUST_200600_302600_NS6detail15normal_iteratorINS9_10device_ptrIjEEEESE_PS5_SF_jNS0_19identity_decomposerENS1_16block_id_wrapperIjLb0EEEEE10hipError_tT1_PNSt15iterator_traitsISK_E10value_typeET2_T3_PNSL_ISQ_E10value_typeET4_T5_PSV_SW_PNS1_23onesweep_lookback_stateEbbT6_jjT7_P12ihipStream_tbENKUlT_T0_SK_SP_E_clISE_SE_SF_SF_EEDaS13_S14_SK_SP_EUlS13_E_NS1_11comp_targetILNS1_3genE5ELNS1_11target_archE942ELNS1_3gpuE9ELNS1_3repE0EEENS1_47radix_sort_onesweep_sort_config_static_selectorELNS0_4arch9wavefront6targetE1EEEvSK_
	.globl	_ZN7rocprim17ROCPRIM_400000_NS6detail17trampoline_kernelINS0_14default_configENS1_35radix_sort_onesweep_config_selectorIjNS0_10empty_typeEEEZZNS1_29radix_sort_onesweep_iterationIS3_Lb0EN6thrust23THRUST_200600_302600_NS6detail15normal_iteratorINS9_10device_ptrIjEEEESE_PS5_SF_jNS0_19identity_decomposerENS1_16block_id_wrapperIjLb0EEEEE10hipError_tT1_PNSt15iterator_traitsISK_E10value_typeET2_T3_PNSL_ISQ_E10value_typeET4_T5_PSV_SW_PNS1_23onesweep_lookback_stateEbbT6_jjT7_P12ihipStream_tbENKUlT_T0_SK_SP_E_clISE_SE_SF_SF_EEDaS13_S14_SK_SP_EUlS13_E_NS1_11comp_targetILNS1_3genE5ELNS1_11target_archE942ELNS1_3gpuE9ELNS1_3repE0EEENS1_47radix_sort_onesweep_sort_config_static_selectorELNS0_4arch9wavefront6targetE1EEEvSK_
	.p2align	8
	.type	_ZN7rocprim17ROCPRIM_400000_NS6detail17trampoline_kernelINS0_14default_configENS1_35radix_sort_onesweep_config_selectorIjNS0_10empty_typeEEEZZNS1_29radix_sort_onesweep_iterationIS3_Lb0EN6thrust23THRUST_200600_302600_NS6detail15normal_iteratorINS9_10device_ptrIjEEEESE_PS5_SF_jNS0_19identity_decomposerENS1_16block_id_wrapperIjLb0EEEEE10hipError_tT1_PNSt15iterator_traitsISK_E10value_typeET2_T3_PNSL_ISQ_E10value_typeET4_T5_PSV_SW_PNS1_23onesweep_lookback_stateEbbT6_jjT7_P12ihipStream_tbENKUlT_T0_SK_SP_E_clISE_SE_SF_SF_EEDaS13_S14_SK_SP_EUlS13_E_NS1_11comp_targetILNS1_3genE5ELNS1_11target_archE942ELNS1_3gpuE9ELNS1_3repE0EEENS1_47radix_sort_onesweep_sort_config_static_selectorELNS0_4arch9wavefront6targetE1EEEvSK_,@function
_ZN7rocprim17ROCPRIM_400000_NS6detail17trampoline_kernelINS0_14default_configENS1_35radix_sort_onesweep_config_selectorIjNS0_10empty_typeEEEZZNS1_29radix_sort_onesweep_iterationIS3_Lb0EN6thrust23THRUST_200600_302600_NS6detail15normal_iteratorINS9_10device_ptrIjEEEESE_PS5_SF_jNS0_19identity_decomposerENS1_16block_id_wrapperIjLb0EEEEE10hipError_tT1_PNSt15iterator_traitsISK_E10value_typeET2_T3_PNSL_ISQ_E10value_typeET4_T5_PSV_SW_PNS1_23onesweep_lookback_stateEbbT6_jjT7_P12ihipStream_tbENKUlT_T0_SK_SP_E_clISE_SE_SF_SF_EEDaS13_S14_SK_SP_EUlS13_E_NS1_11comp_targetILNS1_3genE5ELNS1_11target_archE942ELNS1_3gpuE9ELNS1_3repE0EEENS1_47radix_sort_onesweep_sort_config_static_selectorELNS0_4arch9wavefront6targetE1EEEvSK_: ; @_ZN7rocprim17ROCPRIM_400000_NS6detail17trampoline_kernelINS0_14default_configENS1_35radix_sort_onesweep_config_selectorIjNS0_10empty_typeEEEZZNS1_29radix_sort_onesweep_iterationIS3_Lb0EN6thrust23THRUST_200600_302600_NS6detail15normal_iteratorINS9_10device_ptrIjEEEESE_PS5_SF_jNS0_19identity_decomposerENS1_16block_id_wrapperIjLb0EEEEE10hipError_tT1_PNSt15iterator_traitsISK_E10value_typeET2_T3_PNSL_ISQ_E10value_typeET4_T5_PSV_SW_PNS1_23onesweep_lookback_stateEbbT6_jjT7_P12ihipStream_tbENKUlT_T0_SK_SP_E_clISE_SE_SF_SF_EEDaS13_S14_SK_SP_EUlS13_E_NS1_11comp_targetILNS1_3genE5ELNS1_11target_archE942ELNS1_3gpuE9ELNS1_3repE0EEENS1_47radix_sort_onesweep_sort_config_static_selectorELNS0_4arch9wavefront6targetE1EEEvSK_
; %bb.0:
	s_load_dwordx2 s[28:29], s[0:1], 0x38
	s_load_dwordx4 s[20:23], s[0:1], 0x44
	s_load_dwordx4 s[24:27], s[0:1], 0x0
	;; [unrolled: 1-line block ×3, first 2 shown]
	v_mbcnt_lo_u32_b32 v1, -1, 0
	s_waitcnt lgkmcnt(0)
	s_cmp_ge_u32 s2, s22
	s_cbranch_scc0 .LBB1130_79
; %bb.1:
	s_load_dword s3, s[0:1], 0x20
	s_lshl_b32 s6, s22, 13
	s_lshl_b32 s4, s2, 13
	s_mov_b32 s5, 0
	v_and_b32_e32 v2, 0x3ff, v0
	s_waitcnt lgkmcnt(0)
	s_sub_i32 s3, s3, s6
	s_lshl_b64 s[4:5], s[4:5], 2
	v_mbcnt_hi_u32_b32 v8, -1, v1
	s_add_u32 s4, s24, s4
	v_and_b32_e32 v3, 63, v8
	v_lshlrev_b32_e32 v4, 3, v2
	s_addc_u32 s5, s25, s5
	v_and_b32_e32 v9, 0x1e00, v4
	v_lshlrev_b32_e32 v4, 2, v3
	v_mov_b32_e32 v5, 0
	v_lshl_add_u64 v[6:7], s[4:5], 0, v[4:5]
	v_lshlrev_b32_e32 v4, 2, v9
	v_lshl_add_u64 v[4:5], v[6:7], 0, v[4:5]
	v_or_b32_e32 v6, v3, v9
	v_cmp_gt_u32_e32 vcc, s3, v6
	v_mov_b32_e32 v3, -1
	v_mov_b32_e32 v10, -1
	s_and_saveexec_b64 s[4:5], vcc
	s_cbranch_execz .LBB1130_3
; %bb.2:
	global_load_dword v10, v[4:5], off
.LBB1130_3:
	s_or_b64 exec, exec, s[4:5]
	v_or_b32_e32 v7, 64, v6
	v_cmp_gt_u32_e32 vcc, s3, v7
	v_mov_b32_e32 v11, -1
	s_and_saveexec_b64 s[4:5], vcc
	s_cbranch_execz .LBB1130_5
; %bb.4:
	global_load_dword v11, v[4:5], off offset:256
.LBB1130_5:
	s_or_b64 exec, exec, s[4:5]
	v_or_b32_e32 v7, 0x80, v6
	v_cmp_gt_u32_e32 vcc, s3, v7
	s_and_saveexec_b64 s[4:5], vcc
	s_cbranch_execz .LBB1130_7
; %bb.6:
	global_load_dword v3, v[4:5], off offset:512
.LBB1130_7:
	s_or_b64 exec, exec, s[4:5]
	v_or_b32_e32 v7, 0xc0, v6
	v_cmp_gt_u32_e32 vcc, s3, v7
	v_mov_b32_e32 v12, -1
	v_mov_b32_e32 v13, -1
	s_and_saveexec_b64 s[4:5], vcc
	s_cbranch_execz .LBB1130_9
; %bb.8:
	global_load_dword v13, v[4:5], off offset:768
.LBB1130_9:
	s_or_b64 exec, exec, s[4:5]
	v_or_b32_e32 v7, 0x100, v6
	v_cmp_gt_u32_e32 vcc, s3, v7
	s_and_saveexec_b64 s[4:5], vcc
	s_cbranch_execz .LBB1130_11
; %bb.10:
	global_load_dword v12, v[4:5], off offset:1024
.LBB1130_11:
	s_or_b64 exec, exec, s[4:5]
	v_or_b32_e32 v7, 0x140, v6
	v_cmp_gt_u32_e32 vcc, s3, v7
	v_mov_b32_e32 v14, -1
	;; [unrolled: 18-line block ×3, first 2 shown]
	s_and_saveexec_b64 s[4:5], vcc
	s_cbranch_execz .LBB1130_17
; %bb.16:
	global_load_dword v16, v[4:5], off offset:1792
.LBB1130_17:
	s_or_b64 exec, exec, s[4:5]
	s_load_dword s4, s[0:1], 0x64
	s_load_dword s22, s[0:1], 0x58
	s_add_u32 s5, s0, 0x58
	s_addc_u32 s6, s1, 0
	v_mov_b32_e32 v5, 0
	s_waitcnt lgkmcnt(0)
	s_lshr_b32 s7, s4, 16
	s_cmp_lt_u32 s2, s22
	s_cselect_b32 s4, 12, 18
	s_add_u32 s4, s5, s4
	s_addc_u32 s5, s6, 0
	global_load_ushort v17, v5, s[4:5]
	s_lshl_b32 s4, -1, s21
	s_waitcnt vmcnt(1)
	v_lshrrev_b32_e32 v19, s20, v10
	s_not_b32 s23, s4
	v_bfe_u32 v4, v0, 10, 10
	v_bfe_u32 v7, v0, 20, 10
	v_and_b32_e32 v28, s23, v19
	v_mul_u32_u24_e32 v6, 5, v2
	v_mad_u32_u24 v30, v7, s7, v4
	v_and_b32_e32 v4, 1, v28
	v_lshlrev_b32_e32 v7, 30, v28
	v_lshlrev_b32_e32 v9, 2, v6
	v_mov_b32_e32 v6, v5
	v_mov_b32_e32 v20, v5
	v_lshl_add_u32 v32, v28, 4, v28
	v_lshlrev_b32_e32 v19, 29, v28
	v_lshlrev_b32_e32 v21, 28, v28
	;; [unrolled: 1-line block ×6, first 2 shown]
	v_lshl_add_u64 v[28:29], v[4:5], 0, -1
	v_cmp_ne_u32_e32 vcc, 0, v4
	v_not_b32_e32 v4, v7
	v_mov_b32_e32 v18, v5
	v_mov_b32_e32 v22, v5
	v_cmp_gt_i64_e64 s[4:5], 0, v[6:7]
	v_not_b32_e32 v6, v19
	v_cmp_gt_i64_e64 s[8:9], 0, v[20:21]
	v_not_b32_e32 v7, v21
	v_xor_b32_e32 v21, vcc_hi, v29
	v_ashrrev_i32_e32 v4, 31, v4
	v_mov_b32_e32 v24, v5
	v_cmp_gt_i64_e64 s[6:7], 0, v[18:19]
	v_cmp_gt_i64_e64 s[10:11], 0, v[22:23]
	v_not_b32_e32 v18, v23
	v_xor_b32_e32 v22, vcc_lo, v28
	v_ashrrev_i32_e32 v6, 31, v6
	v_and_b32_e32 v21, exec_hi, v21
	v_xor_b32_e32 v23, s5, v4
	v_cmp_gt_i64_e64 s[12:13], 0, v[24:25]
	v_ashrrev_i32_e32 v7, 31, v7
	v_and_b32_e32 v22, exec_lo, v22
	v_xor_b32_e32 v4, s4, v4
	v_xor_b32_e32 v24, s7, v6
	v_and_b32_e32 v21, v21, v23
	v_mov_b32_e32 v26, v5
	v_not_b32_e32 v19, v25
	v_ashrrev_i32_e32 v18, 31, v18
	v_xor_b32_e32 v6, s6, v6
	v_xor_b32_e32 v25, s9, v7
	v_and_b32_e32 v4, v22, v4
	v_and_b32_e32 v21, v21, v24
	v_cmp_gt_i64_e64 s[14:15], 0, v[26:27]
	v_not_b32_e32 v20, v27
	v_ashrrev_i32_e32 v19, 31, v19
	v_xor_b32_e32 v26, s11, v18
	v_and_b32_e32 v4, v4, v6
	v_and_b32_e32 v6, v21, v25
	v_ashrrev_i32_e32 v20, 31, v20
	v_xor_b32_e32 v7, s8, v7
	v_xor_b32_e32 v27, s13, v19
	v_and_b32_e32 v6, v6, v26
	v_xor_b32_e32 v18, s10, v18
	v_xor_b32_e32 v28, s15, v20
	v_and_b32_e32 v4, v4, v7
	v_and_b32_e32 v6, v6, v27
	;; [unrolled: 1-line block ×4, first 2 shown]
	v_xor_b32_e32 v19, s12, v19
	v_xor_b32_e32 v20, s14, v20
	v_and_b32_e32 v4, v4, v19
	v_and_b32_e32 v4, v4, v20
	ds_write2_b32 v9, v5, v5 offset0:16 offset1:17
	ds_write2_b32 v9, v5, v5 offset0:18 offset1:19
	ds_write_b32 v9, v5 offset:80
	s_waitcnt lgkmcnt(0)
	s_barrier
	s_waitcnt lgkmcnt(0)
	; wave barrier
	s_waitcnt vmcnt(0)
	v_mad_u64_u32 v[6:7], s[4:5], v30, v17, v[2:3]
	v_lshrrev_b32_e32 v28, 6, v6
	v_mov_b32_e32 v30, v5
	v_not_b32_e32 v6, v31
	v_cmp_gt_i64_e32 vcc, 0, v[30:31]
	v_ashrrev_i32_e32 v6, 31, v6
	v_add_lshl_u32 v21, v28, v32, 2
	v_xor_b32_e32 v7, vcc_hi, v6
	v_xor_b32_e32 v6, vcc_lo, v6
	v_and_b32_e32 v6, v4, v6
	v_and_b32_e32 v7, v18, v7
	v_mbcnt_lo_u32_b32 v4, v6, 0
	v_mbcnt_hi_u32_b32 v17, v7, v4
	v_cmp_eq_u32_e32 vcc, 0, v17
	v_cmp_ne_u64_e64 s[4:5], 0, v[6:7]
	s_and_b64 s[6:7], s[4:5], vcc
	s_and_saveexec_b64 s[4:5], s[6:7]
	s_cbranch_execz .LBB1130_19
; %bb.18:
	v_bcnt_u32_b32 v4, v6, 0
	v_bcnt_u32_b32 v4, v7, v4
	ds_write_b32 v21, v4 offset:64
.LBB1130_19:
	s_or_b64 exec, exec, s[4:5]
	v_lshrrev_b32_e32 v4, s20, v11
	v_and_b32_e32 v19, s23, v4
	v_lshl_add_u32 v4, v19, 4, v19
	v_add_lshl_u32 v22, v28, v4, 2
	v_and_b32_e32 v4, 1, v19
	v_lshl_add_u64 v[6:7], v[4:5], 0, -1
	v_cmp_ne_u32_e32 vcc, 0, v4
	; wave barrier
	s_nop 1
	v_xor_b32_e32 v6, vcc_lo, v6
	v_xor_b32_e32 v4, vcc_hi, v7
	v_and_b32_e32 v20, exec_lo, v6
	v_lshlrev_b32_e32 v7, 30, v19
	v_mov_b32_e32 v6, v5
	v_cmp_gt_i64_e32 vcc, 0, v[6:7]
	v_not_b32_e32 v6, v7
	v_ashrrev_i32_e32 v6, 31, v6
	v_and_b32_e32 v4, exec_hi, v4
	v_xor_b32_e32 v7, vcc_hi, v6
	v_xor_b32_e32 v6, vcc_lo, v6
	v_and_b32_e32 v4, v4, v7
	v_and_b32_e32 v20, v20, v6
	v_lshlrev_b32_e32 v7, 29, v19
	v_mov_b32_e32 v6, v5
	v_cmp_gt_i64_e32 vcc, 0, v[6:7]
	v_not_b32_e32 v6, v7
	v_ashrrev_i32_e32 v6, 31, v6
	v_xor_b32_e32 v7, vcc_hi, v6
	v_xor_b32_e32 v6, vcc_lo, v6
	v_and_b32_e32 v4, v4, v7
	v_and_b32_e32 v20, v20, v6
	v_lshlrev_b32_e32 v7, 28, v19
	v_mov_b32_e32 v6, v5
	v_cmp_gt_i64_e32 vcc, 0, v[6:7]
	v_not_b32_e32 v6, v7
	v_ashrrev_i32_e32 v6, 31, v6
	;; [unrolled: 9-line block ×5, first 2 shown]
	v_xor_b32_e32 v7, vcc_hi, v6
	v_xor_b32_e32 v6, vcc_lo, v6
	v_and_b32_e32 v4, v4, v7
	v_lshlrev_b32_e32 v7, 24, v19
	v_and_b32_e32 v20, v20, v6
	v_mov_b32_e32 v6, v5
	v_not_b32_e32 v5, v7
	v_cmp_gt_i64_e32 vcc, 0, v[6:7]
	v_ashrrev_i32_e32 v5, 31, v5
	ds_read_b32 v18, v22 offset:64
	v_xor_b32_e32 v6, vcc_hi, v5
	v_xor_b32_e32 v7, vcc_lo, v5
	v_and_b32_e32 v5, v4, v6
	v_and_b32_e32 v4, v20, v7
	v_mbcnt_lo_u32_b32 v6, v4, 0
	v_mbcnt_hi_u32_b32 v19, v5, v6
	v_cmp_eq_u32_e32 vcc, 0, v19
	v_cmp_ne_u64_e64 s[4:5], 0, v[4:5]
	s_and_b64 s[6:7], s[4:5], vcc
	; wave barrier
	s_and_saveexec_b64 s[4:5], s[6:7]
	s_cbranch_execz .LBB1130_21
; %bb.20:
	v_bcnt_u32_b32 v4, v4, 0
	v_bcnt_u32_b32 v4, v5, v4
	s_waitcnt lgkmcnt(0)
	v_add_u32_e32 v4, v18, v4
	ds_write_b32 v22, v4 offset:64
.LBB1130_21:
	s_or_b64 exec, exec, s[4:5]
	v_lshrrev_b32_e32 v4, s20, v3
	v_and_b32_e32 v23, s23, v4
	v_lshl_add_u32 v4, v23, 4, v23
	v_add_lshl_u32 v25, v28, v4, 2
	v_and_b32_e32 v4, 1, v23
	v_mov_b32_e32 v5, 0
	v_lshl_add_u64 v[6:7], v[4:5], 0, -1
	v_cmp_ne_u32_e32 vcc, 0, v4
	; wave barrier
	s_nop 1
	v_xor_b32_e32 v6, vcc_lo, v6
	v_xor_b32_e32 v4, vcc_hi, v7
	v_and_b32_e32 v24, exec_lo, v6
	v_lshlrev_b32_e32 v7, 30, v23
	v_mov_b32_e32 v6, v5
	v_cmp_gt_i64_e32 vcc, 0, v[6:7]
	v_not_b32_e32 v6, v7
	v_ashrrev_i32_e32 v6, 31, v6
	v_and_b32_e32 v4, exec_hi, v4
	v_xor_b32_e32 v7, vcc_hi, v6
	v_xor_b32_e32 v6, vcc_lo, v6
	v_and_b32_e32 v4, v4, v7
	v_and_b32_e32 v24, v24, v6
	v_lshlrev_b32_e32 v7, 29, v23
	v_mov_b32_e32 v6, v5
	v_cmp_gt_i64_e32 vcc, 0, v[6:7]
	v_not_b32_e32 v6, v7
	v_ashrrev_i32_e32 v6, 31, v6
	v_xor_b32_e32 v7, vcc_hi, v6
	v_xor_b32_e32 v6, vcc_lo, v6
	v_and_b32_e32 v4, v4, v7
	v_and_b32_e32 v24, v24, v6
	v_lshlrev_b32_e32 v7, 28, v23
	v_mov_b32_e32 v6, v5
	v_cmp_gt_i64_e32 vcc, 0, v[6:7]
	v_not_b32_e32 v6, v7
	v_ashrrev_i32_e32 v6, 31, v6
	;; [unrolled: 9-line block ×6, first 2 shown]
	v_xor_b32_e32 v7, vcc_hi, v6
	v_xor_b32_e32 v6, vcc_lo, v6
	ds_read_b32 v20, v25 offset:64
	v_and_b32_e32 v6, v24, v6
	v_and_b32_e32 v7, v4, v7
	v_mbcnt_lo_u32_b32 v4, v6, 0
	v_mbcnt_hi_u32_b32 v23, v7, v4
	v_cmp_eq_u32_e32 vcc, 0, v23
	v_cmp_ne_u64_e64 s[4:5], 0, v[6:7]
	s_and_b64 s[6:7], s[4:5], vcc
	; wave barrier
	s_and_saveexec_b64 s[4:5], s[6:7]
	s_cbranch_execz .LBB1130_23
; %bb.22:
	v_bcnt_u32_b32 v4, v6, 0
	v_bcnt_u32_b32 v4, v7, v4
	s_waitcnt lgkmcnt(0)
	v_add_u32_e32 v4, v20, v4
	ds_write_b32 v25, v4 offset:64
.LBB1130_23:
	s_or_b64 exec, exec, s[4:5]
	v_lshrrev_b32_e32 v4, s20, v13
	v_and_b32_e32 v26, s23, v4
	v_lshl_add_u32 v4, v26, 4, v26
	v_add_lshl_u32 v29, v28, v4, 2
	v_and_b32_e32 v4, 1, v26
	v_lshl_add_u64 v[6:7], v[4:5], 0, -1
	v_cmp_ne_u32_e32 vcc, 0, v4
	; wave barrier
	s_nop 1
	v_xor_b32_e32 v6, vcc_lo, v6
	v_xor_b32_e32 v4, vcc_hi, v7
	v_and_b32_e32 v27, exec_lo, v6
	v_lshlrev_b32_e32 v7, 30, v26
	v_mov_b32_e32 v6, v5
	v_cmp_gt_i64_e32 vcc, 0, v[6:7]
	v_not_b32_e32 v6, v7
	v_ashrrev_i32_e32 v6, 31, v6
	v_and_b32_e32 v4, exec_hi, v4
	v_xor_b32_e32 v7, vcc_hi, v6
	v_xor_b32_e32 v6, vcc_lo, v6
	v_and_b32_e32 v4, v4, v7
	v_and_b32_e32 v27, v27, v6
	v_lshlrev_b32_e32 v7, 29, v26
	v_mov_b32_e32 v6, v5
	v_cmp_gt_i64_e32 vcc, 0, v[6:7]
	v_not_b32_e32 v6, v7
	v_ashrrev_i32_e32 v6, 31, v6
	v_xor_b32_e32 v7, vcc_hi, v6
	v_xor_b32_e32 v6, vcc_lo, v6
	v_and_b32_e32 v4, v4, v7
	v_and_b32_e32 v27, v27, v6
	v_lshlrev_b32_e32 v7, 28, v26
	v_mov_b32_e32 v6, v5
	v_cmp_gt_i64_e32 vcc, 0, v[6:7]
	v_not_b32_e32 v6, v7
	v_ashrrev_i32_e32 v6, 31, v6
	;; [unrolled: 9-line block ×5, first 2 shown]
	v_xor_b32_e32 v7, vcc_hi, v6
	v_xor_b32_e32 v6, vcc_lo, v6
	v_and_b32_e32 v4, v4, v7
	v_lshlrev_b32_e32 v7, 24, v26
	v_and_b32_e32 v27, v27, v6
	v_mov_b32_e32 v6, v5
	v_not_b32_e32 v5, v7
	v_cmp_gt_i64_e32 vcc, 0, v[6:7]
	v_ashrrev_i32_e32 v5, 31, v5
	ds_read_b32 v24, v29 offset:64
	v_xor_b32_e32 v6, vcc_hi, v5
	v_xor_b32_e32 v7, vcc_lo, v5
	v_and_b32_e32 v5, v4, v6
	v_and_b32_e32 v4, v27, v7
	v_mbcnt_lo_u32_b32 v6, v4, 0
	v_mbcnt_hi_u32_b32 v26, v5, v6
	v_cmp_eq_u32_e32 vcc, 0, v26
	v_cmp_ne_u64_e64 s[4:5], 0, v[4:5]
	s_and_b64 s[6:7], s[4:5], vcc
	; wave barrier
	s_and_saveexec_b64 s[4:5], s[6:7]
	s_cbranch_execz .LBB1130_25
; %bb.24:
	v_bcnt_u32_b32 v4, v4, 0
	v_bcnt_u32_b32 v4, v5, v4
	s_waitcnt lgkmcnt(0)
	v_add_u32_e32 v4, v24, v4
	ds_write_b32 v29, v4 offset:64
.LBB1130_25:
	s_or_b64 exec, exec, s[4:5]
	v_lshrrev_b32_e32 v4, s20, v12
	v_and_b32_e32 v30, s23, v4
	v_lshl_add_u32 v4, v30, 4, v30
	v_add_lshl_u32 v32, v28, v4, 2
	v_and_b32_e32 v4, 1, v30
	v_mov_b32_e32 v5, 0
	v_lshl_add_u64 v[6:7], v[4:5], 0, -1
	v_cmp_ne_u32_e32 vcc, 0, v4
	; wave barrier
	s_nop 1
	v_xor_b32_e32 v6, vcc_lo, v6
	v_xor_b32_e32 v4, vcc_hi, v7
	v_and_b32_e32 v31, exec_lo, v6
	v_lshlrev_b32_e32 v7, 30, v30
	v_mov_b32_e32 v6, v5
	v_cmp_gt_i64_e32 vcc, 0, v[6:7]
	v_not_b32_e32 v6, v7
	v_ashrrev_i32_e32 v6, 31, v6
	v_and_b32_e32 v4, exec_hi, v4
	v_xor_b32_e32 v7, vcc_hi, v6
	v_xor_b32_e32 v6, vcc_lo, v6
	v_and_b32_e32 v4, v4, v7
	v_and_b32_e32 v31, v31, v6
	v_lshlrev_b32_e32 v7, 29, v30
	v_mov_b32_e32 v6, v5
	v_cmp_gt_i64_e32 vcc, 0, v[6:7]
	v_not_b32_e32 v6, v7
	v_ashrrev_i32_e32 v6, 31, v6
	v_xor_b32_e32 v7, vcc_hi, v6
	v_xor_b32_e32 v6, vcc_lo, v6
	v_and_b32_e32 v4, v4, v7
	v_and_b32_e32 v31, v31, v6
	v_lshlrev_b32_e32 v7, 28, v30
	v_mov_b32_e32 v6, v5
	v_cmp_gt_i64_e32 vcc, 0, v[6:7]
	v_not_b32_e32 v6, v7
	v_ashrrev_i32_e32 v6, 31, v6
	;; [unrolled: 9-line block ×6, first 2 shown]
	v_xor_b32_e32 v7, vcc_hi, v6
	v_xor_b32_e32 v6, vcc_lo, v6
	ds_read_b32 v27, v32 offset:64
	v_and_b32_e32 v6, v31, v6
	v_and_b32_e32 v7, v4, v7
	v_mbcnt_lo_u32_b32 v4, v6, 0
	v_mbcnt_hi_u32_b32 v30, v7, v4
	v_cmp_eq_u32_e32 vcc, 0, v30
	v_cmp_ne_u64_e64 s[4:5], 0, v[6:7]
	s_and_b64 s[6:7], s[4:5], vcc
	; wave barrier
	s_and_saveexec_b64 s[4:5], s[6:7]
	s_cbranch_execz .LBB1130_27
; %bb.26:
	v_bcnt_u32_b32 v4, v6, 0
	v_bcnt_u32_b32 v4, v7, v4
	s_waitcnt lgkmcnt(0)
	v_add_u32_e32 v4, v27, v4
	ds_write_b32 v32, v4 offset:64
.LBB1130_27:
	s_or_b64 exec, exec, s[4:5]
	v_lshrrev_b32_e32 v4, s20, v15
	v_and_b32_e32 v33, s23, v4
	v_lshl_add_u32 v4, v33, 4, v33
	v_add_lshl_u32 v35, v28, v4, 2
	v_and_b32_e32 v4, 1, v33
	v_lshl_add_u64 v[6:7], v[4:5], 0, -1
	v_cmp_ne_u32_e32 vcc, 0, v4
	; wave barrier
	s_nop 1
	v_xor_b32_e32 v6, vcc_lo, v6
	v_xor_b32_e32 v4, vcc_hi, v7
	v_and_b32_e32 v34, exec_lo, v6
	v_lshlrev_b32_e32 v7, 30, v33
	v_mov_b32_e32 v6, v5
	v_cmp_gt_i64_e32 vcc, 0, v[6:7]
	v_not_b32_e32 v6, v7
	v_ashrrev_i32_e32 v6, 31, v6
	v_and_b32_e32 v4, exec_hi, v4
	v_xor_b32_e32 v7, vcc_hi, v6
	v_xor_b32_e32 v6, vcc_lo, v6
	v_and_b32_e32 v4, v4, v7
	v_and_b32_e32 v34, v34, v6
	v_lshlrev_b32_e32 v7, 29, v33
	v_mov_b32_e32 v6, v5
	v_cmp_gt_i64_e32 vcc, 0, v[6:7]
	v_not_b32_e32 v6, v7
	v_ashrrev_i32_e32 v6, 31, v6
	v_xor_b32_e32 v7, vcc_hi, v6
	v_xor_b32_e32 v6, vcc_lo, v6
	v_and_b32_e32 v4, v4, v7
	v_and_b32_e32 v34, v34, v6
	v_lshlrev_b32_e32 v7, 28, v33
	v_mov_b32_e32 v6, v5
	v_cmp_gt_i64_e32 vcc, 0, v[6:7]
	v_not_b32_e32 v6, v7
	v_ashrrev_i32_e32 v6, 31, v6
	;; [unrolled: 9-line block ×5, first 2 shown]
	v_xor_b32_e32 v7, vcc_hi, v6
	v_xor_b32_e32 v6, vcc_lo, v6
	v_and_b32_e32 v4, v4, v7
	v_lshlrev_b32_e32 v7, 24, v33
	v_and_b32_e32 v34, v34, v6
	v_mov_b32_e32 v6, v5
	v_not_b32_e32 v5, v7
	v_cmp_gt_i64_e32 vcc, 0, v[6:7]
	v_ashrrev_i32_e32 v5, 31, v5
	ds_read_b32 v31, v35 offset:64
	v_xor_b32_e32 v6, vcc_hi, v5
	v_xor_b32_e32 v7, vcc_lo, v5
	v_and_b32_e32 v5, v4, v6
	v_and_b32_e32 v4, v34, v7
	v_mbcnt_lo_u32_b32 v6, v4, 0
	v_mbcnt_hi_u32_b32 v33, v5, v6
	v_cmp_eq_u32_e32 vcc, 0, v33
	v_cmp_ne_u64_e64 s[4:5], 0, v[4:5]
	s_and_b64 s[6:7], s[4:5], vcc
	; wave barrier
	s_and_saveexec_b64 s[4:5], s[6:7]
	s_cbranch_execz .LBB1130_29
; %bb.28:
	v_bcnt_u32_b32 v4, v4, 0
	v_bcnt_u32_b32 v4, v5, v4
	s_waitcnt lgkmcnt(0)
	v_add_u32_e32 v4, v31, v4
	ds_write_b32 v35, v4 offset:64
.LBB1130_29:
	s_or_b64 exec, exec, s[4:5]
	v_lshrrev_b32_e32 v4, s20, v14
	v_and_b32_e32 v36, s23, v4
	v_lshl_add_u32 v4, v36, 4, v36
	v_add_lshl_u32 v38, v28, v4, 2
	v_and_b32_e32 v4, 1, v36
	v_mov_b32_e32 v5, 0
	v_lshl_add_u64 v[6:7], v[4:5], 0, -1
	v_cmp_ne_u32_e32 vcc, 0, v4
	; wave barrier
	s_nop 1
	v_xor_b32_e32 v6, vcc_lo, v6
	v_xor_b32_e32 v4, vcc_hi, v7
	v_and_b32_e32 v37, exec_lo, v6
	v_lshlrev_b32_e32 v7, 30, v36
	v_mov_b32_e32 v6, v5
	v_cmp_gt_i64_e32 vcc, 0, v[6:7]
	v_not_b32_e32 v6, v7
	v_ashrrev_i32_e32 v6, 31, v6
	v_and_b32_e32 v4, exec_hi, v4
	v_xor_b32_e32 v7, vcc_hi, v6
	v_xor_b32_e32 v6, vcc_lo, v6
	v_and_b32_e32 v4, v4, v7
	v_and_b32_e32 v37, v37, v6
	v_lshlrev_b32_e32 v7, 29, v36
	v_mov_b32_e32 v6, v5
	v_cmp_gt_i64_e32 vcc, 0, v[6:7]
	v_not_b32_e32 v6, v7
	v_ashrrev_i32_e32 v6, 31, v6
	v_xor_b32_e32 v7, vcc_hi, v6
	v_xor_b32_e32 v6, vcc_lo, v6
	v_and_b32_e32 v4, v4, v7
	v_and_b32_e32 v37, v37, v6
	v_lshlrev_b32_e32 v7, 28, v36
	v_mov_b32_e32 v6, v5
	v_cmp_gt_i64_e32 vcc, 0, v[6:7]
	v_not_b32_e32 v6, v7
	v_ashrrev_i32_e32 v6, 31, v6
	;; [unrolled: 9-line block ×6, first 2 shown]
	v_xor_b32_e32 v7, vcc_hi, v6
	v_xor_b32_e32 v6, vcc_lo, v6
	ds_read_b32 v34, v38 offset:64
	v_and_b32_e32 v6, v37, v6
	v_and_b32_e32 v7, v4, v7
	v_mbcnt_lo_u32_b32 v4, v6, 0
	v_mbcnt_hi_u32_b32 v36, v7, v4
	v_cmp_eq_u32_e32 vcc, 0, v36
	v_cmp_ne_u64_e64 s[4:5], 0, v[6:7]
	s_and_b64 s[6:7], s[4:5], vcc
	; wave barrier
	s_and_saveexec_b64 s[4:5], s[6:7]
	s_cbranch_execz .LBB1130_31
; %bb.30:
	v_bcnt_u32_b32 v4, v6, 0
	v_bcnt_u32_b32 v4, v7, v4
	s_waitcnt lgkmcnt(0)
	v_add_u32_e32 v4, v34, v4
	ds_write_b32 v38, v4 offset:64
.LBB1130_31:
	s_or_b64 exec, exec, s[4:5]
	v_lshrrev_b32_e32 v4, s20, v16
	v_and_b32_e32 v39, s23, v4
	v_lshl_add_u32 v4, v39, 4, v39
	v_add_lshl_u32 v40, v28, v4, 2
	v_and_b32_e32 v4, 1, v39
	v_lshl_add_u64 v[6:7], v[4:5], 0, -1
	v_cmp_ne_u32_e32 vcc, 0, v4
	; wave barrier
	s_nop 1
	v_xor_b32_e32 v6, vcc_lo, v6
	v_xor_b32_e32 v4, vcc_hi, v7
	v_and_b32_e32 v28, exec_lo, v6
	v_lshlrev_b32_e32 v7, 30, v39
	v_mov_b32_e32 v6, v5
	v_cmp_gt_i64_e32 vcc, 0, v[6:7]
	v_not_b32_e32 v6, v7
	v_ashrrev_i32_e32 v6, 31, v6
	v_and_b32_e32 v4, exec_hi, v4
	v_xor_b32_e32 v7, vcc_hi, v6
	v_xor_b32_e32 v6, vcc_lo, v6
	v_and_b32_e32 v4, v4, v7
	v_and_b32_e32 v28, v28, v6
	v_lshlrev_b32_e32 v7, 29, v39
	v_mov_b32_e32 v6, v5
	v_cmp_gt_i64_e32 vcc, 0, v[6:7]
	v_not_b32_e32 v6, v7
	v_ashrrev_i32_e32 v6, 31, v6
	v_xor_b32_e32 v7, vcc_hi, v6
	v_xor_b32_e32 v6, vcc_lo, v6
	v_and_b32_e32 v4, v4, v7
	v_and_b32_e32 v28, v28, v6
	v_lshlrev_b32_e32 v7, 28, v39
	v_mov_b32_e32 v6, v5
	v_cmp_gt_i64_e32 vcc, 0, v[6:7]
	v_not_b32_e32 v6, v7
	v_ashrrev_i32_e32 v6, 31, v6
	;; [unrolled: 9-line block ×5, first 2 shown]
	v_xor_b32_e32 v7, vcc_hi, v6
	v_xor_b32_e32 v6, vcc_lo, v6
	v_and_b32_e32 v4, v4, v7
	v_lshlrev_b32_e32 v7, 24, v39
	v_and_b32_e32 v28, v28, v6
	v_mov_b32_e32 v6, v5
	v_not_b32_e32 v5, v7
	v_cmp_gt_i64_e32 vcc, 0, v[6:7]
	v_ashrrev_i32_e32 v5, 31, v5
	ds_read_b32 v37, v40 offset:64
	v_xor_b32_e32 v6, vcc_hi, v5
	v_xor_b32_e32 v7, vcc_lo, v5
	v_and_b32_e32 v5, v4, v6
	v_and_b32_e32 v4, v28, v7
	v_mbcnt_lo_u32_b32 v6, v4, 0
	v_mbcnt_hi_u32_b32 v39, v5, v6
	v_cmp_eq_u32_e32 vcc, 0, v39
	v_cmp_ne_u64_e64 s[4:5], 0, v[4:5]
	v_add_u32_e32 v41, 64, v9
	s_and_b64 s[6:7], s[4:5], vcc
	; wave barrier
	s_and_saveexec_b64 s[4:5], s[6:7]
	s_cbranch_execz .LBB1130_33
; %bb.32:
	v_bcnt_u32_b32 v4, v4, 0
	v_bcnt_u32_b32 v4, v5, v4
	s_waitcnt lgkmcnt(0)
	v_add_u32_e32 v4, v37, v4
	ds_write_b32 v40, v4 offset:64
.LBB1130_33:
	s_or_b64 exec, exec, s[4:5]
	; wave barrier
	s_waitcnt lgkmcnt(0)
	s_barrier
	ds_read2_b32 v[6:7], v9 offset0:16 offset1:17
	ds_read2_b32 v[4:5], v41 offset0:2 offset1:3
	ds_read_b32 v28, v41 offset:16
	v_cmp_lt_u32_e64 s[10:11], 31, v8
	s_waitcnt lgkmcnt(1)
	v_add3_u32 v42, v7, v6, v4
	s_waitcnt lgkmcnt(0)
	v_add3_u32 v28, v42, v5, v28
	v_and_b32_e32 v42, 15, v8
	v_cmp_eq_u32_e32 vcc, 0, v42
	v_mov_b32_dpp v43, v28 row_shr:1 row_mask:0xf bank_mask:0xf
	v_cmp_lt_u32_e64 s[8:9], 1, v42
	v_cndmask_b32_e64 v43, v43, 0, vcc
	v_add_u32_e32 v28, v43, v28
	v_cmp_lt_u32_e64 s[4:5], 3, v42
	v_cmp_lt_u32_e64 s[6:7], 7, v42
	v_mov_b32_dpp v43, v28 row_shr:2 row_mask:0xf bank_mask:0xf
	v_cndmask_b32_e64 v43, 0, v43, s[8:9]
	v_add_u32_e32 v28, v28, v43
	s_nop 1
	v_mov_b32_dpp v43, v28 row_shr:4 row_mask:0xf bank_mask:0xf
	v_cndmask_b32_e64 v43, 0, v43, s[4:5]
	v_add_u32_e32 v28, v28, v43
	s_nop 1
	v_mov_b32_dpp v43, v28 row_shr:8 row_mask:0xf bank_mask:0xf
	v_cndmask_b32_e64 v42, 0, v43, s[6:7]
	v_add_u32_e32 v28, v28, v42
	v_bfe_i32 v43, v8, 4, 1
	s_nop 0
	v_mov_b32_dpp v42, v28 row_bcast:15 row_mask:0xf bank_mask:0xf
	v_and_b32_e32 v42, v43, v42
	v_add_u32_e32 v28, v28, v42
	v_lshrrev_b32_e32 v43, 6, v2
	s_nop 0
	v_mov_b32_dpp v42, v28 row_bcast:31 row_mask:0xf bank_mask:0xf
	v_cndmask_b32_e64 v42, 0, v42, s[10:11]
	v_add_u32_e32 v42, v28, v42
	v_and_b32_e32 v28, 63, v2
	v_cmp_eq_u32_e64 s[10:11], 63, v28
	s_and_saveexec_b64 s[12:13], s[10:11]
	s_cbranch_execz .LBB1130_35
; %bb.34:
	v_lshlrev_b32_e32 v28, 2, v43
	ds_write_b32 v28, v42
.LBB1130_35:
	s_or_b64 exec, exec, s[12:13]
	v_cmp_gt_u32_e64 s[10:11], 16, v2
	v_lshlrev_b32_e32 v28, 2, v2
	s_waitcnt lgkmcnt(0)
	s_barrier
	s_and_saveexec_b64 s[12:13], s[10:11]
	s_cbranch_execz .LBB1130_37
; %bb.36:
	ds_read_b32 v44, v28
	s_waitcnt lgkmcnt(0)
	s_nop 0
	v_mov_b32_dpp v45, v44 row_shr:1 row_mask:0xf bank_mask:0xf
	v_cndmask_b32_e64 v45, v45, 0, vcc
	v_add_u32_e32 v44, v45, v44
	s_nop 1
	v_mov_b32_dpp v45, v44 row_shr:2 row_mask:0xf bank_mask:0xf
	v_cndmask_b32_e64 v45, 0, v45, s[8:9]
	v_add_u32_e32 v44, v44, v45
	s_nop 1
	v_mov_b32_dpp v45, v44 row_shr:4 row_mask:0xf bank_mask:0xf
	v_cndmask_b32_e64 v45, 0, v45, s[4:5]
	;; [unrolled: 4-line block ×3, first 2 shown]
	v_add_u32_e32 v44, v44, v45
	ds_write_b32 v28, v44
.LBB1130_37:
	s_or_b64 exec, exec, s[12:13]
	v_cmp_lt_u32_e32 vcc, 63, v2
	v_mov_b32_e32 v44, 0
	s_waitcnt lgkmcnt(0)
	s_barrier
	s_and_saveexec_b64 s[4:5], vcc
	s_cbranch_execz .LBB1130_39
; %bb.38:
	v_lshl_add_u32 v43, v43, 2, -4
	ds_read_b32 v44, v43
.LBB1130_39:
	s_or_b64 exec, exec, s[4:5]
	v_add_u32_e32 v43, -1, v8
	v_and_b32_e32 v45, 64, v8
	v_cmp_lt_i32_e32 vcc, v43, v45
	s_waitcnt lgkmcnt(0)
	v_add_u32_e32 v42, v44, v42
	s_movk_i32 s4, 0x100
	v_cndmask_b32_e32 v43, v43, v8, vcc
	v_lshlrev_b32_e32 v43, 2, v43
	ds_bpermute_b32 v42, v43, v42
	v_cmp_eq_u32_e32 vcc, 0, v8
	v_cmp_gt_u32_e64 s[4:5], s4, v2
	s_waitcnt lgkmcnt(0)
	v_cndmask_b32_e32 v8, v42, v44, vcc
	v_cmp_ne_u32_e32 vcc, 0, v2
	s_nop 1
	v_cndmask_b32_e32 v8, 0, v8, vcc
	v_add_u32_e32 v6, v8, v6
	v_add_u32_e32 v7, v6, v7
	;; [unrolled: 1-line block ×4, first 2 shown]
	ds_write2_b32 v9, v8, v6 offset0:16 offset1:17
	ds_write2_b32 v41, v7, v4 offset0:2 offset1:3
	ds_write_b32 v41, v5 offset:16
	s_waitcnt lgkmcnt(0)
	s_barrier
	ds_read_b32 v41, v21 offset:64
	ds_read_b32 v42, v22 offset:64
	ds_read_b32 v25, v25 offset:64
	ds_read_b32 v29, v29 offset:64
	ds_read_b32 v32, v32 offset:64
	ds_read_b32 v35, v35 offset:64
	ds_read_b32 v38, v38 offset:64
	ds_read_b32 v40, v40 offset:64
                                        ; implicit-def: $vgpr21
                                        ; implicit-def: $vgpr22
	s_and_saveexec_b64 s[6:7], s[4:5]
	s_cbranch_execz .LBB1130_43
; %bb.40:
	v_mul_u32_u24_e32 v4, 17, v2
	v_lshlrev_b32_e32 v5, 2, v4
	ds_read_b32 v21, v5 offset:64
	s_movk_i32 s8, 0xff
	v_cmp_ne_u32_e32 vcc, s8, v2
	v_mov_b32_e32 v4, 0x2000
	s_and_saveexec_b64 s[8:9], vcc
	s_cbranch_execz .LBB1130_42
; %bb.41:
	ds_read_b32 v4, v5 offset:132
.LBB1130_42:
	s_or_b64 exec, exec, s[8:9]
	s_waitcnt lgkmcnt(0)
	v_sub_u32_e32 v22, v4, v21
.LBB1130_43:
	s_or_b64 exec, exec, s[6:7]
	s_waitcnt lgkmcnt(0)
	s_barrier
	s_and_saveexec_b64 s[6:7], s[4:5]
	s_cbranch_execz .LBB1130_53
; %bb.44:
	v_lshl_or_b32 v6, s2, 8, v2
	v_mov_b32_e32 v7, 0
	v_lshl_add_u64 v[4:5], v[6:7], 2, s[28:29]
	v_or_b32_e32 v6, 2.0, v22
	s_mov_b64 s[8:9], 0
	s_brev_b32 s14, 1
	s_mov_b32 s15, s2
	v_mov_b32_e32 v43, 0
	global_store_dword v[4:5], v6, off sc1
                                        ; implicit-def: $sgpr10_sgpr11
	s_branch .LBB1130_46
.LBB1130_45:                            ;   in Loop: Header=BB1130_46 Depth=1
	s_or_b64 exec, exec, s[10:11]
	v_and_b32_e32 v8, 0x3fffffff, v44
	v_add_u32_e32 v43, v8, v43
	v_cmp_eq_u32_e64 s[10:11], s14, v6
	s_and_b64 s[12:13], exec, s[10:11]
	s_or_b64 s[8:9], s[12:13], s[8:9]
	s_andn2_b64 exec, exec, s[8:9]
	s_cbranch_execz .LBB1130_52
.LBB1130_46:                            ; =>This Loop Header: Depth=1
                                        ;     Child Loop BB1130_49 Depth 2
	s_or_b64 s[10:11], s[10:11], exec
	s_cmp_eq_u32 s15, 0
	s_cbranch_scc1 .LBB1130_51
; %bb.47:                               ;   in Loop: Header=BB1130_46 Depth=1
	s_add_i32 s15, s15, -1
	v_lshl_or_b32 v6, s15, 8, v2
	v_lshl_add_u64 v[8:9], v[6:7], 2, s[28:29]
	global_load_dword v44, v[8:9], off sc1
	s_waitcnt vmcnt(0)
	v_and_b32_e32 v6, -2.0, v44
	v_cmp_eq_u32_e32 vcc, 0, v6
	s_and_saveexec_b64 s[10:11], vcc
	s_cbranch_execz .LBB1130_45
; %bb.48:                               ;   in Loop: Header=BB1130_46 Depth=1
	s_mov_b64 s[12:13], 0
.LBB1130_49:                            ;   Parent Loop BB1130_46 Depth=1
                                        ; =>  This Inner Loop Header: Depth=2
	global_load_dword v44, v[8:9], off sc1
	s_waitcnt vmcnt(0)
	v_and_b32_e32 v6, -2.0, v44
	v_cmp_ne_u32_e32 vcc, 0, v6
	s_or_b64 s[12:13], vcc, s[12:13]
	s_andn2_b64 exec, exec, s[12:13]
	s_cbranch_execnz .LBB1130_49
; %bb.50:                               ;   in Loop: Header=BB1130_46 Depth=1
	s_or_b64 exec, exec, s[12:13]
	s_branch .LBB1130_45
.LBB1130_51:                            ;   in Loop: Header=BB1130_46 Depth=1
                                        ; implicit-def: $sgpr15
	s_and_b64 s[12:13], exec, s[10:11]
	s_or_b64 s[8:9], s[12:13], s[8:9]
	s_andn2_b64 exec, exec, s[8:9]
	s_cbranch_execnz .LBB1130_46
.LBB1130_52:
	s_or_b64 exec, exec, s[8:9]
	v_add_u32_e32 v6, v43, v22
	v_or_b32_e32 v6, 0x80000000, v6
	global_store_dword v[4:5], v6, off sc1
	global_load_dword v4, v28, s[16:17]
	v_sub_u32_e32 v5, v43, v21
	s_waitcnt vmcnt(0)
	v_add_u32_e32 v4, v5, v4
	ds_write_b32 v28, v4
.LBB1130_53:
	s_or_b64 exec, exec, s[6:7]
	v_add_u32_e32 v6, v41, v17
	v_add3_u32 v7, v19, v18, v42
	v_add3_u32 v8, v23, v20, v25
	;; [unrolled: 1-line block ×7, first 2 shown]
	s_movk_i32 s10, 0x400
	v_add_u32_e32 v23, 0x400, v28
	v_lshlrev_b32_e32 v24, 2, v20
	v_lshlrev_b32_e32 v25, 2, v19
	;; [unrolled: 1-line block ×8, first 2 shown]
	s_mov_b32 s11, 0
	s_mov_b32 s12, 0
	s_mov_b64 s[6:7], -1
	s_movk_i32 s13, 0x1000
	v_mov_b32_e32 v5, 0
	s_movk_i32 s14, 0x800
	s_movk_i32 s15, 0xc00
	s_branch .LBB1130_55
.LBB1130_54:                            ;   in Loop: Header=BB1130_55 Depth=1
	s_or_b64 exec, exec, s[8:9]
	s_xor_b64 s[8:9], s[6:7], -1
	s_addk_i32 s12, 0x1000
	s_addk_i32 s11, 0xc000
	v_add_u32_e32 v20, 0xfffff000, v20
	v_add_u32_e32 v19, 0xfffff000, v19
	;; [unrolled: 1-line block ×8, first 2 shown]
	s_mov_b64 s[6:7], 0
	s_and_b64 vcc, exec, s[8:9]
	s_barrier
	s_cbranch_vccnz .LBB1130_80
.LBB1130_55:                            ; =>This Inner Loop Header: Depth=1
	v_cmp_gt_u32_e32 vcc, s13, v6
	s_and_saveexec_b64 s[8:9], vcc
	s_cbranch_execnz .LBB1130_72
; %bb.56:                               ;   in Loop: Header=BB1130_55 Depth=1
	s_or_b64 exec, exec, s[8:9]
	v_cmp_gt_u32_e32 vcc, s13, v7
	s_and_saveexec_b64 s[8:9], vcc
	s_cbranch_execnz .LBB1130_73
.LBB1130_57:                            ;   in Loop: Header=BB1130_55 Depth=1
	s_or_b64 exec, exec, s[8:9]
	v_cmp_gt_u32_e32 vcc, s13, v8
	s_and_saveexec_b64 s[8:9], vcc
	s_cbranch_execnz .LBB1130_74
.LBB1130_58:                            ;   in Loop: Header=BB1130_55 Depth=1
	s_or_b64 exec, exec, s[8:9]
	v_cmp_gt_u32_e32 vcc, s13, v9
	s_and_saveexec_b64 s[8:9], vcc
	s_cbranch_execnz .LBB1130_75
.LBB1130_59:                            ;   in Loop: Header=BB1130_55 Depth=1
	s_or_b64 exec, exec, s[8:9]
	v_cmp_gt_u32_e32 vcc, s13, v17
	s_and_saveexec_b64 s[8:9], vcc
	s_cbranch_execnz .LBB1130_76
.LBB1130_60:                            ;   in Loop: Header=BB1130_55 Depth=1
	s_or_b64 exec, exec, s[8:9]
	v_cmp_gt_u32_e32 vcc, s13, v18
	s_and_saveexec_b64 s[8:9], vcc
	s_cbranch_execnz .LBB1130_77
.LBB1130_61:                            ;   in Loop: Header=BB1130_55 Depth=1
	s_or_b64 exec, exec, s[8:9]
	v_cmp_gt_u32_e32 vcc, s13, v19
	s_and_saveexec_b64 s[8:9], vcc
	s_cbranch_execnz .LBB1130_78
.LBB1130_62:                            ;   in Loop: Header=BB1130_55 Depth=1
	s_or_b64 exec, exec, s[8:9]
	v_cmp_gt_u32_e32 vcc, s13, v20
	s_and_saveexec_b64 s[8:9], vcc
	s_cbranch_execz .LBB1130_64
.LBB1130_63:                            ;   in Loop: Header=BB1130_55 Depth=1
	v_add_u32_e32 v4, s11, v24
	ds_write_b32 v4, v16 offset:1024
.LBB1130_64:                            ;   in Loop: Header=BB1130_55 Depth=1
	s_or_b64 exec, exec, s[8:9]
	v_add_u32_e32 v33, s12, v2
	v_cmp_gt_u32_e32 vcc, s3, v33
	s_waitcnt lgkmcnt(0)
	s_barrier
	s_and_saveexec_b64 s[8:9], vcc
	s_cbranch_execz .LBB1130_66
; %bb.65:                               ;   in Loop: Header=BB1130_55 Depth=1
	ds_read_b32 v36, v28 offset:1024
	s_waitcnt lgkmcnt(0)
	v_lshrrev_b32_e32 v4, s20, v36
	v_and_b32_e32 v4, s23, v4
	v_lshlrev_b32_e32 v4, 2, v4
	ds_read_b32 v4, v4
	s_waitcnt lgkmcnt(0)
	v_add_u32_e32 v4, v33, v4
	v_lshl_add_u64 v[34:35], v[4:5], 2, s[26:27]
	global_store_dword v[34:35], v36, off
.LBB1130_66:                            ;   in Loop: Header=BB1130_55 Depth=1
	s_or_b64 exec, exec, s[8:9]
	v_add_u32_e32 v4, 0x400, v33
	v_cmp_gt_u32_e32 vcc, s3, v4
	s_and_saveexec_b64 s[8:9], vcc
	s_cbranch_execz .LBB1130_68
; %bb.67:                               ;   in Loop: Header=BB1130_55 Depth=1
	ds_read_b32 v36, v23 offset:4096
	s_waitcnt lgkmcnt(0)
	v_lshrrev_b32_e32 v4, s20, v36
	v_and_b32_e32 v4, s23, v4
	v_lshlrev_b32_e32 v4, 2, v4
	ds_read_b32 v4, v4
	s_waitcnt lgkmcnt(0)
	v_add3_u32 v4, v33, v4, s10
	v_lshl_add_u64 v[34:35], v[4:5], 2, s[26:27]
	global_store_dword v[34:35], v36, off
.LBB1130_68:                            ;   in Loop: Header=BB1130_55 Depth=1
	s_or_b64 exec, exec, s[8:9]
	v_add_u32_e32 v4, 0x800, v33
	v_cmp_gt_u32_e32 vcc, s3, v4
	s_and_saveexec_b64 s[8:9], vcc
	s_cbranch_execz .LBB1130_70
; %bb.69:                               ;   in Loop: Header=BB1130_55 Depth=1
	ds_read_b32 v36, v23 offset:8192
	s_waitcnt lgkmcnt(0)
	v_lshrrev_b32_e32 v4, s20, v36
	v_and_b32_e32 v4, s23, v4
	v_lshlrev_b32_e32 v4, 2, v4
	ds_read_b32 v4, v4
	s_waitcnt lgkmcnt(0)
	v_add3_u32 v4, v33, v4, s14
	v_lshl_add_u64 v[34:35], v[4:5], 2, s[26:27]
	global_store_dword v[34:35], v36, off
.LBB1130_70:                            ;   in Loop: Header=BB1130_55 Depth=1
	s_or_b64 exec, exec, s[8:9]
	v_add_u32_e32 v4, 0xc00, v33
	v_cmp_gt_u32_e32 vcc, s3, v4
	s_and_saveexec_b64 s[8:9], vcc
	s_cbranch_execz .LBB1130_54
; %bb.71:                               ;   in Loop: Header=BB1130_55 Depth=1
	ds_read_b32 v36, v23 offset:12288
	s_waitcnt lgkmcnt(0)
	v_lshrrev_b32_e32 v4, s20, v36
	v_and_b32_e32 v4, s23, v4
	v_lshlrev_b32_e32 v4, 2, v4
	ds_read_b32 v4, v4
	s_waitcnt lgkmcnt(0)
	v_add3_u32 v4, v33, v4, s15
	v_lshl_add_u64 v[34:35], v[4:5], 2, s[26:27]
	global_store_dword v[34:35], v36, off
	s_branch .LBB1130_54
.LBB1130_72:                            ;   in Loop: Header=BB1130_55 Depth=1
	v_add_u32_e32 v4, s11, v32
	ds_write_b32 v4, v10 offset:1024
	s_or_b64 exec, exec, s[8:9]
	v_cmp_gt_u32_e32 vcc, s13, v7
	s_and_saveexec_b64 s[8:9], vcc
	s_cbranch_execz .LBB1130_57
.LBB1130_73:                            ;   in Loop: Header=BB1130_55 Depth=1
	v_add_u32_e32 v4, s11, v31
	ds_write_b32 v4, v11 offset:1024
	s_or_b64 exec, exec, s[8:9]
	v_cmp_gt_u32_e32 vcc, s13, v8
	s_and_saveexec_b64 s[8:9], vcc
	s_cbranch_execz .LBB1130_58
.LBB1130_74:                            ;   in Loop: Header=BB1130_55 Depth=1
	v_add_u32_e32 v4, s11, v30
	ds_write_b32 v4, v3 offset:1024
	s_or_b64 exec, exec, s[8:9]
	v_cmp_gt_u32_e32 vcc, s13, v9
	s_and_saveexec_b64 s[8:9], vcc
	s_cbranch_execz .LBB1130_59
.LBB1130_75:                            ;   in Loop: Header=BB1130_55 Depth=1
	v_add_u32_e32 v4, s11, v29
	ds_write_b32 v4, v13 offset:1024
	s_or_b64 exec, exec, s[8:9]
	v_cmp_gt_u32_e32 vcc, s13, v17
	s_and_saveexec_b64 s[8:9], vcc
	s_cbranch_execz .LBB1130_60
.LBB1130_76:                            ;   in Loop: Header=BB1130_55 Depth=1
	v_add_u32_e32 v4, s11, v27
	ds_write_b32 v4, v12 offset:1024
	s_or_b64 exec, exec, s[8:9]
	v_cmp_gt_u32_e32 vcc, s13, v18
	s_and_saveexec_b64 s[8:9], vcc
	s_cbranch_execz .LBB1130_61
.LBB1130_77:                            ;   in Loop: Header=BB1130_55 Depth=1
	v_add_u32_e32 v4, s11, v26
	ds_write_b32 v4, v15 offset:1024
	s_or_b64 exec, exec, s[8:9]
	v_cmp_gt_u32_e32 vcc, s13, v19
	s_and_saveexec_b64 s[8:9], vcc
	s_cbranch_execz .LBB1130_62
.LBB1130_78:                            ;   in Loop: Header=BB1130_55 Depth=1
	v_add_u32_e32 v4, s11, v25
	ds_write_b32 v4, v14 offset:1024
	s_or_b64 exec, exec, s[8:9]
	v_cmp_gt_u32_e32 vcc, s13, v20
	s_and_saveexec_b64 s[8:9], vcc
	s_cbranch_execnz .LBB1130_63
	s_branch .LBB1130_64
.LBB1130_79:
	s_mov_b64 s[10:11], 0
                                        ; implicit-def: $vgpr4
                                        ; implicit-def: $vgpr2
	s_cbranch_execnz .LBB1130_83
	s_branch .LBB1130_140
.LBB1130_80:
	s_add_i32 s22, s22, -1
	s_cmp_eq_u32 s22, s2
	s_cselect_b64 s[6:7], -1, 0
	s_and_b64 s[6:7], s[4:5], s[6:7]
	s_mov_b64 s[4:5], 0
	s_mov_b64 s[10:11], 0
                                        ; implicit-def: $vgpr4
	s_and_saveexec_b64 s[8:9], s[6:7]
	s_xor_b64 s[6:7], exec, s[8:9]
; %bb.81:
	s_mov_b64 s[10:11], exec
	v_add_u32_e32 v4, v21, v22
; %bb.82:
	s_or_b64 exec, exec, s[6:7]
	s_and_b64 vcc, exec, s[4:5]
	s_cbranch_vccz .LBB1130_140
.LBB1130_83:
	s_lshl_b32 s4, s2, 13
	s_mov_b32 s5, 0
	s_lshl_b64 s[4:5], s[4:5], 2
	v_mbcnt_hi_u32_b32 v6, -1, v1
	v_and_b32_e32 v2, 0x3ff, v0
	s_add_u32 s4, s24, s4
	v_and_b32_e32 v1, 63, v6
	s_addc_u32 s5, s25, s5
	v_mov_b32_e32 v5, 0
	v_lshlrev_b32_e32 v4, 2, v1
	v_lshlrev_b32_e32 v1, 5, v2
	v_lshl_add_u64 v[8:9], s[4:5], 0, v[4:5]
	v_and_b32_e32 v4, 0x7800, v1
	v_lshl_add_u64 v[16:17], v[8:9], 0, v[4:5]
	global_load_dword v3, v[16:17], off
	s_load_dword s4, s[0:1], 0x64
	s_load_dword s3, s[0:1], 0x58
	s_add_u32 s0, s0, 0x58
	s_addc_u32 s1, s1, 0
	v_mul_u32_u24_e32 v7, 5, v2
	s_waitcnt lgkmcnt(0)
	s_lshr_b32 s4, s4, 16
	s_cmp_lt_u32 s2, s3
	s_cselect_b32 s5, 12, 18
	s_add_u32 s0, s0, s5
	s_addc_u32 s1, s1, 0
	global_load_ushort v15, v5, s[0:1]
	v_lshlrev_b32_e32 v7, 2, v7
	ds_write2_b32 v7, v5, v5 offset0:16 offset1:17
	ds_write2_b32 v7, v5, v5 offset0:18 offset1:19
	ds_write_b32 v7, v5 offset:80
	global_load_dword v8, v[16:17], off offset:256
	global_load_dword v9, v[16:17], off offset:512
	;; [unrolled: 1-line block ×7, first 2 shown]
	v_bfe_u32 v1, v0, 10, 10
	v_bfe_u32 v4, v0, 20, 10
	s_lshl_b32 s0, -1, s21
	v_mad_u32_u24 v16, v4, s4, v1
	s_not_b32 s14, s0
	v_mov_b32_e32 v0, v5
	v_mov_b32_e32 v18, v5
	;; [unrolled: 1-line block ×4, first 2 shown]
	s_waitcnt lgkmcnt(0)
	s_barrier
	s_waitcnt lgkmcnt(0)
	; wave barrier
	s_waitcnt vmcnt(8)
	v_lshrrev_b32_e32 v1, s20, v3
	v_and_b32_e32 v26, s14, v1
	v_and_b32_e32 v4, 1, v26
	v_lshlrev_b32_e32 v1, 30, v26
	v_lshlrev_b32_e32 v19, 29, v26
	v_lshl_add_u64 v[24:25], v[4:5], 0, -1
	v_cmp_ne_u32_e32 vcc, 0, v4
	v_cmp_gt_i64_e64 s[0:1], 0, v[0:1]
	v_not_b32_e32 v4, v1
	v_lshlrev_b32_e32 v21, 28, v26
	s_waitcnt vmcnt(7)
	v_mad_u64_u32 v[0:1], s[12:13], v16, v15, v[2:3]
	v_lshlrev_b32_e32 v23, 27, v26
	v_cmp_gt_i64_e64 s[4:5], 0, v[18:19]
	v_not_b32_e32 v18, v19
	v_xor_b32_e32 v1, vcc_hi, v25
	v_xor_b32_e32 v15, vcc_lo, v24
	v_ashrrev_i32_e32 v4, 31, v4
	v_cmp_gt_i64_e64 s[6:7], 0, v[20:21]
	v_not_b32_e32 v19, v21
	v_not_b32_e32 v20, v23
	v_ashrrev_i32_e32 v16, 31, v18
	v_lshrrev_b32_e32 v25, 6, v0
	v_and_b32_e32 v0, exec_hi, v1
	v_and_b32_e32 v1, exec_lo, v15
	v_xor_b32_e32 v15, s1, v4
	v_xor_b32_e32 v4, s0, v4
	v_lshlrev_b32_e32 v17, 26, v26
	v_ashrrev_i32_e32 v18, 31, v19
	v_ashrrev_i32_e32 v19, 31, v20
	v_xor_b32_e32 v20, s5, v16
	v_xor_b32_e32 v16, s4, v16
	v_and_b32_e32 v0, v0, v15
	v_and_b32_e32 v1, v1, v4
	v_cmp_gt_i64_e64 s[8:9], 0, v[22:23]
	v_xor_b32_e32 v21, s7, v18
	v_xor_b32_e32 v18, s6, v18
	v_and_b32_e32 v0, v0, v20
	v_and_b32_e32 v1, v1, v16
	v_mov_b32_e32 v16, v5
	v_not_b32_e32 v4, v17
	v_xor_b32_e32 v22, s9, v19
	v_xor_b32_e32 v23, s8, v19
	v_and_b32_e32 v0, v0, v21
	v_and_b32_e32 v1, v1, v18
	v_cmp_gt_i64_e32 vcc, 0, v[16:17]
	v_ashrrev_i32_e32 v4, 31, v4
	v_and_b32_e32 v0, v0, v22
	v_and_b32_e32 v1, v1, v23
	v_xor_b32_e32 v15, vcc_hi, v4
	v_xor_b32_e32 v4, vcc_lo, v4
	v_and_b32_e32 v15, v0, v15
	v_and_b32_e32 v4, v1, v4
	v_lshlrev_b32_e32 v1, 25, v26
	v_mov_b32_e32 v0, v5
	v_cmp_gt_i64_e32 vcc, 0, v[0:1]
	v_not_b32_e32 v0, v1
	v_ashrrev_i32_e32 v0, 31, v0
	v_xor_b32_e32 v1, vcc_hi, v0
	v_xor_b32_e32 v0, vcc_lo, v0
	v_and_b32_e32 v15, v15, v1
	v_and_b32_e32 v4, v4, v0
	v_lshlrev_b32_e32 v1, 24, v26
	v_mov_b32_e32 v0, v5
	v_cmp_gt_i64_e32 vcc, 0, v[0:1]
	v_not_b32_e32 v0, v1
	v_ashrrev_i32_e32 v0, 31, v0
	v_xor_b32_e32 v1, vcc_hi, v0
	v_xor_b32_e32 v0, vcc_lo, v0
	v_and_b32_e32 v0, v4, v0
	v_and_b32_e32 v1, v15, v1
	v_mbcnt_lo_u32_b32 v4, v0, 0
	v_mbcnt_hi_u32_b32 v15, v1, v4
	v_lshl_add_u32 v27, v26, 4, v26
	v_cmp_eq_u32_e32 vcc, 0, v15
	v_cmp_ne_u64_e64 s[0:1], 0, v[0:1]
	v_add_lshl_u32 v19, v25, v27, 2
	s_and_b64 s[4:5], s[0:1], vcc
	s_and_saveexec_b64 s[0:1], s[4:5]
	s_cbranch_execz .LBB1130_85
; %bb.84:
	v_bcnt_u32_b32 v0, v0, 0
	v_bcnt_u32_b32 v0, v1, v0
	ds_write_b32 v19, v0 offset:64
.LBB1130_85:
	s_or_b64 exec, exec, s[0:1]
	s_waitcnt vmcnt(6)
	v_lshrrev_b32_e32 v0, s20, v8
	v_and_b32_e32 v17, s14, v0
	v_lshl_add_u32 v0, v17, 4, v17
	v_and_b32_e32 v4, 1, v17
	v_add_lshl_u32 v20, v25, v0, 2
	v_lshl_add_u64 v[0:1], v[4:5], 0, -1
	v_cmp_ne_u32_e32 vcc, 0, v4
	; wave barrier
	s_nop 1
	v_xor_b32_e32 v1, vcc_hi, v1
	v_xor_b32_e32 v0, vcc_lo, v0
	v_and_b32_e32 v4, exec_hi, v1
	v_and_b32_e32 v18, exec_lo, v0
	v_lshlrev_b32_e32 v1, 30, v17
	v_mov_b32_e32 v0, v5
	v_cmp_gt_i64_e32 vcc, 0, v[0:1]
	v_not_b32_e32 v0, v1
	v_ashrrev_i32_e32 v0, 31, v0
	v_xor_b32_e32 v1, vcc_hi, v0
	v_xor_b32_e32 v0, vcc_lo, v0
	v_and_b32_e32 v4, v4, v1
	v_and_b32_e32 v18, v18, v0
	v_lshlrev_b32_e32 v1, 29, v17
	v_mov_b32_e32 v0, v5
	v_cmp_gt_i64_e32 vcc, 0, v[0:1]
	v_not_b32_e32 v0, v1
	v_ashrrev_i32_e32 v0, 31, v0
	v_xor_b32_e32 v1, vcc_hi, v0
	v_xor_b32_e32 v0, vcc_lo, v0
	v_and_b32_e32 v4, v4, v1
	v_and_b32_e32 v18, v18, v0
	v_lshlrev_b32_e32 v1, 28, v17
	v_mov_b32_e32 v0, v5
	v_cmp_gt_i64_e32 vcc, 0, v[0:1]
	v_not_b32_e32 v0, v1
	v_ashrrev_i32_e32 v0, 31, v0
	v_xor_b32_e32 v1, vcc_hi, v0
	v_xor_b32_e32 v0, vcc_lo, v0
	v_and_b32_e32 v4, v4, v1
	v_and_b32_e32 v18, v18, v0
	v_lshlrev_b32_e32 v1, 27, v17
	v_mov_b32_e32 v0, v5
	v_cmp_gt_i64_e32 vcc, 0, v[0:1]
	v_not_b32_e32 v0, v1
	v_ashrrev_i32_e32 v0, 31, v0
	v_xor_b32_e32 v1, vcc_hi, v0
	v_xor_b32_e32 v0, vcc_lo, v0
	v_and_b32_e32 v4, v4, v1
	v_and_b32_e32 v18, v18, v0
	v_lshlrev_b32_e32 v1, 26, v17
	v_mov_b32_e32 v0, v5
	v_cmp_gt_i64_e32 vcc, 0, v[0:1]
	v_not_b32_e32 v0, v1
	v_ashrrev_i32_e32 v0, 31, v0
	v_xor_b32_e32 v1, vcc_hi, v0
	v_xor_b32_e32 v0, vcc_lo, v0
	v_and_b32_e32 v4, v4, v1
	v_and_b32_e32 v18, v18, v0
	v_lshlrev_b32_e32 v1, 25, v17
	v_mov_b32_e32 v0, v5
	v_cmp_gt_i64_e32 vcc, 0, v[0:1]
	v_not_b32_e32 v0, v1
	v_ashrrev_i32_e32 v0, 31, v0
	v_xor_b32_e32 v1, vcc_hi, v0
	v_xor_b32_e32 v0, vcc_lo, v0
	v_and_b32_e32 v4, v4, v1
	v_and_b32_e32 v18, v18, v0
	v_lshlrev_b32_e32 v1, 24, v17
	v_mov_b32_e32 v0, v5
	v_cmp_gt_i64_e32 vcc, 0, v[0:1]
	v_not_b32_e32 v0, v1
	v_ashrrev_i32_e32 v0, 31, v0
	v_xor_b32_e32 v1, vcc_hi, v0
	v_xor_b32_e32 v0, vcc_lo, v0
	ds_read_b32 v16, v20 offset:64
	v_and_b32_e32 v0, v18, v0
	v_and_b32_e32 v1, v4, v1
	v_mbcnt_lo_u32_b32 v4, v0, 0
	v_mbcnt_hi_u32_b32 v17, v1, v4
	v_cmp_eq_u32_e32 vcc, 0, v17
	v_cmp_ne_u64_e64 s[0:1], 0, v[0:1]
	s_and_b64 s[4:5], s[0:1], vcc
	; wave barrier
	s_and_saveexec_b64 s[0:1], s[4:5]
	s_cbranch_execz .LBB1130_87
; %bb.86:
	v_bcnt_u32_b32 v0, v0, 0
	v_bcnt_u32_b32 v0, v1, v0
	s_waitcnt lgkmcnt(0)
	v_add_u32_e32 v0, v16, v0
	ds_write_b32 v20, v0 offset:64
.LBB1130_87:
	s_or_b64 exec, exec, s[0:1]
	s_waitcnt vmcnt(5)
	v_lshrrev_b32_e32 v0, s20, v9
	v_and_b32_e32 v21, s14, v0
	v_lshl_add_u32 v0, v21, 4, v21
	v_add_lshl_u32 v23, v25, v0, 2
	v_and_b32_e32 v0, 1, v21
	v_mov_b32_e32 v1, 0
	v_lshl_add_u64 v[4:5], v[0:1], 0, -1
	v_cmp_ne_u32_e32 vcc, 0, v0
	; wave barrier
	s_nop 1
	v_xor_b32_e32 v4, vcc_lo, v4
	v_xor_b32_e32 v0, vcc_hi, v5
	v_and_b32_e32 v22, exec_lo, v4
	v_lshlrev_b32_e32 v5, 30, v21
	v_mov_b32_e32 v4, v1
	v_cmp_gt_i64_e32 vcc, 0, v[4:5]
	v_not_b32_e32 v4, v5
	v_ashrrev_i32_e32 v4, 31, v4
	v_and_b32_e32 v0, exec_hi, v0
	v_xor_b32_e32 v5, vcc_hi, v4
	v_xor_b32_e32 v4, vcc_lo, v4
	v_and_b32_e32 v0, v0, v5
	v_and_b32_e32 v22, v22, v4
	v_lshlrev_b32_e32 v5, 29, v21
	v_mov_b32_e32 v4, v1
	v_cmp_gt_i64_e32 vcc, 0, v[4:5]
	v_not_b32_e32 v4, v5
	v_ashrrev_i32_e32 v4, 31, v4
	v_xor_b32_e32 v5, vcc_hi, v4
	v_xor_b32_e32 v4, vcc_lo, v4
	v_and_b32_e32 v0, v0, v5
	v_and_b32_e32 v22, v22, v4
	v_lshlrev_b32_e32 v5, 28, v21
	v_mov_b32_e32 v4, v1
	v_cmp_gt_i64_e32 vcc, 0, v[4:5]
	v_not_b32_e32 v4, v5
	v_ashrrev_i32_e32 v4, 31, v4
	;; [unrolled: 9-line block ×6, first 2 shown]
	v_xor_b32_e32 v5, vcc_hi, v4
	v_xor_b32_e32 v4, vcc_lo, v4
	ds_read_b32 v18, v23 offset:64
	v_and_b32_e32 v4, v22, v4
	v_and_b32_e32 v5, v0, v5
	v_mbcnt_lo_u32_b32 v0, v4, 0
	v_mbcnt_hi_u32_b32 v21, v5, v0
	v_cmp_eq_u32_e32 vcc, 0, v21
	v_cmp_ne_u64_e64 s[0:1], 0, v[4:5]
	s_and_b64 s[4:5], s[0:1], vcc
	; wave barrier
	s_and_saveexec_b64 s[0:1], s[4:5]
	s_cbranch_execz .LBB1130_89
; %bb.88:
	v_bcnt_u32_b32 v0, v4, 0
	v_bcnt_u32_b32 v0, v5, v0
	s_waitcnt lgkmcnt(0)
	v_add_u32_e32 v0, v18, v0
	ds_write_b32 v23, v0 offset:64
.LBB1130_89:
	s_or_b64 exec, exec, s[0:1]
	s_waitcnt vmcnt(4)
	v_lshrrev_b32_e32 v0, s20, v10
	v_and_b32_e32 v24, s14, v0
	v_lshl_add_u32 v0, v24, 4, v24
	v_add_lshl_u32 v27, v25, v0, 2
	v_and_b32_e32 v0, 1, v24
	v_lshl_add_u64 v[4:5], v[0:1], 0, -1
	v_cmp_ne_u32_e32 vcc, 0, v0
	; wave barrier
	s_nop 1
	v_xor_b32_e32 v4, vcc_lo, v4
	v_xor_b32_e32 v0, vcc_hi, v5
	v_and_b32_e32 v26, exec_lo, v4
	v_lshlrev_b32_e32 v5, 30, v24
	v_mov_b32_e32 v4, v1
	v_cmp_gt_i64_e32 vcc, 0, v[4:5]
	v_not_b32_e32 v4, v5
	v_ashrrev_i32_e32 v4, 31, v4
	v_and_b32_e32 v0, exec_hi, v0
	v_xor_b32_e32 v5, vcc_hi, v4
	v_xor_b32_e32 v4, vcc_lo, v4
	v_and_b32_e32 v0, v0, v5
	v_and_b32_e32 v26, v26, v4
	v_lshlrev_b32_e32 v5, 29, v24
	v_mov_b32_e32 v4, v1
	v_cmp_gt_i64_e32 vcc, 0, v[4:5]
	v_not_b32_e32 v4, v5
	v_ashrrev_i32_e32 v4, 31, v4
	v_xor_b32_e32 v5, vcc_hi, v4
	v_xor_b32_e32 v4, vcc_lo, v4
	v_and_b32_e32 v0, v0, v5
	v_and_b32_e32 v26, v26, v4
	v_lshlrev_b32_e32 v5, 28, v24
	v_mov_b32_e32 v4, v1
	v_cmp_gt_i64_e32 vcc, 0, v[4:5]
	v_not_b32_e32 v4, v5
	v_ashrrev_i32_e32 v4, 31, v4
	;; [unrolled: 9-line block ×5, first 2 shown]
	v_xor_b32_e32 v5, vcc_hi, v4
	v_xor_b32_e32 v4, vcc_lo, v4
	v_and_b32_e32 v0, v0, v5
	v_lshlrev_b32_e32 v5, 24, v24
	v_and_b32_e32 v26, v26, v4
	v_mov_b32_e32 v4, v1
	v_not_b32_e32 v1, v5
	v_cmp_gt_i64_e32 vcc, 0, v[4:5]
	v_ashrrev_i32_e32 v1, 31, v1
	ds_read_b32 v22, v27 offset:64
	v_xor_b32_e32 v4, vcc_hi, v1
	v_xor_b32_e32 v5, vcc_lo, v1
	v_and_b32_e32 v1, v0, v4
	v_and_b32_e32 v0, v26, v5
	v_mbcnt_lo_u32_b32 v4, v0, 0
	v_mbcnt_hi_u32_b32 v24, v1, v4
	v_cmp_eq_u32_e32 vcc, 0, v24
	v_cmp_ne_u64_e64 s[0:1], 0, v[0:1]
	s_and_b64 s[4:5], s[0:1], vcc
	; wave barrier
	s_and_saveexec_b64 s[0:1], s[4:5]
	s_cbranch_execz .LBB1130_91
; %bb.90:
	v_bcnt_u32_b32 v0, v0, 0
	v_bcnt_u32_b32 v0, v1, v0
	s_waitcnt lgkmcnt(0)
	v_add_u32_e32 v0, v22, v0
	ds_write_b32 v27, v0 offset:64
.LBB1130_91:
	s_or_b64 exec, exec, s[0:1]
	s_waitcnt vmcnt(3)
	v_lshrrev_b32_e32 v0, s20, v11
	v_and_b32_e32 v28, s14, v0
	v_lshl_add_u32 v0, v28, 4, v28
	v_add_lshl_u32 v30, v25, v0, 2
	v_and_b32_e32 v0, 1, v28
	v_mov_b32_e32 v1, 0
	v_lshl_add_u64 v[4:5], v[0:1], 0, -1
	v_cmp_ne_u32_e32 vcc, 0, v0
	; wave barrier
	s_nop 1
	v_xor_b32_e32 v4, vcc_lo, v4
	v_xor_b32_e32 v0, vcc_hi, v5
	v_and_b32_e32 v29, exec_lo, v4
	v_lshlrev_b32_e32 v5, 30, v28
	v_mov_b32_e32 v4, v1
	v_cmp_gt_i64_e32 vcc, 0, v[4:5]
	v_not_b32_e32 v4, v5
	v_ashrrev_i32_e32 v4, 31, v4
	v_and_b32_e32 v0, exec_hi, v0
	v_xor_b32_e32 v5, vcc_hi, v4
	v_xor_b32_e32 v4, vcc_lo, v4
	v_and_b32_e32 v0, v0, v5
	v_and_b32_e32 v29, v29, v4
	v_lshlrev_b32_e32 v5, 29, v28
	v_mov_b32_e32 v4, v1
	v_cmp_gt_i64_e32 vcc, 0, v[4:5]
	v_not_b32_e32 v4, v5
	v_ashrrev_i32_e32 v4, 31, v4
	v_xor_b32_e32 v5, vcc_hi, v4
	v_xor_b32_e32 v4, vcc_lo, v4
	v_and_b32_e32 v0, v0, v5
	v_and_b32_e32 v29, v29, v4
	v_lshlrev_b32_e32 v5, 28, v28
	v_mov_b32_e32 v4, v1
	v_cmp_gt_i64_e32 vcc, 0, v[4:5]
	v_not_b32_e32 v4, v5
	v_ashrrev_i32_e32 v4, 31, v4
	v_xor_b32_e32 v5, vcc_hi, v4
	v_xor_b32_e32 v4, vcc_lo, v4
	v_and_b32_e32 v0, v0, v5
	v_and_b32_e32 v29, v29, v4
	v_lshlrev_b32_e32 v5, 27, v28
	v_mov_b32_e32 v4, v1
	v_cmp_gt_i64_e32 vcc, 0, v[4:5]
	v_not_b32_e32 v4, v5
	v_ashrrev_i32_e32 v4, 31, v4
	v_xor_b32_e32 v5, vcc_hi, v4
	v_xor_b32_e32 v4, vcc_lo, v4
	v_and_b32_e32 v0, v0, v5
	v_and_b32_e32 v29, v29, v4
	v_lshlrev_b32_e32 v5, 26, v28
	v_mov_b32_e32 v4, v1
	v_cmp_gt_i64_e32 vcc, 0, v[4:5]
	v_not_b32_e32 v4, v5
	v_ashrrev_i32_e32 v4, 31, v4
	v_xor_b32_e32 v5, vcc_hi, v4
	v_xor_b32_e32 v4, vcc_lo, v4
	v_and_b32_e32 v0, v0, v5
	v_and_b32_e32 v29, v29, v4
	v_lshlrev_b32_e32 v5, 25, v28
	v_mov_b32_e32 v4, v1
	v_cmp_gt_i64_e32 vcc, 0, v[4:5]
	v_not_b32_e32 v4, v5
	v_ashrrev_i32_e32 v4, 31, v4
	v_xor_b32_e32 v5, vcc_hi, v4
	v_xor_b32_e32 v4, vcc_lo, v4
	v_and_b32_e32 v0, v0, v5
	v_and_b32_e32 v29, v29, v4
	v_lshlrev_b32_e32 v5, 24, v28
	v_mov_b32_e32 v4, v1
	v_cmp_gt_i64_e32 vcc, 0, v[4:5]
	v_not_b32_e32 v4, v5
	v_ashrrev_i32_e32 v4, 31, v4
	v_xor_b32_e32 v5, vcc_hi, v4
	v_xor_b32_e32 v4, vcc_lo, v4
	ds_read_b32 v26, v30 offset:64
	v_and_b32_e32 v4, v29, v4
	v_and_b32_e32 v5, v0, v5
	v_mbcnt_lo_u32_b32 v0, v4, 0
	v_mbcnt_hi_u32_b32 v28, v5, v0
	v_cmp_eq_u32_e32 vcc, 0, v28
	v_cmp_ne_u64_e64 s[0:1], 0, v[4:5]
	s_and_b64 s[4:5], s[0:1], vcc
	; wave barrier
	s_and_saveexec_b64 s[0:1], s[4:5]
	s_cbranch_execz .LBB1130_93
; %bb.92:
	v_bcnt_u32_b32 v0, v4, 0
	v_bcnt_u32_b32 v0, v5, v0
	s_waitcnt lgkmcnt(0)
	v_add_u32_e32 v0, v26, v0
	ds_write_b32 v30, v0 offset:64
.LBB1130_93:
	s_or_b64 exec, exec, s[0:1]
	s_waitcnt vmcnt(2)
	v_lshrrev_b32_e32 v0, s20, v12
	v_and_b32_e32 v31, s14, v0
	v_lshl_add_u32 v0, v31, 4, v31
	v_add_lshl_u32 v33, v25, v0, 2
	v_and_b32_e32 v0, 1, v31
	v_lshl_add_u64 v[4:5], v[0:1], 0, -1
	v_cmp_ne_u32_e32 vcc, 0, v0
	; wave barrier
	s_nop 1
	v_xor_b32_e32 v4, vcc_lo, v4
	v_xor_b32_e32 v0, vcc_hi, v5
	v_and_b32_e32 v32, exec_lo, v4
	v_lshlrev_b32_e32 v5, 30, v31
	v_mov_b32_e32 v4, v1
	v_cmp_gt_i64_e32 vcc, 0, v[4:5]
	v_not_b32_e32 v4, v5
	v_ashrrev_i32_e32 v4, 31, v4
	v_and_b32_e32 v0, exec_hi, v0
	v_xor_b32_e32 v5, vcc_hi, v4
	v_xor_b32_e32 v4, vcc_lo, v4
	v_and_b32_e32 v0, v0, v5
	v_and_b32_e32 v32, v32, v4
	v_lshlrev_b32_e32 v5, 29, v31
	v_mov_b32_e32 v4, v1
	v_cmp_gt_i64_e32 vcc, 0, v[4:5]
	v_not_b32_e32 v4, v5
	v_ashrrev_i32_e32 v4, 31, v4
	v_xor_b32_e32 v5, vcc_hi, v4
	v_xor_b32_e32 v4, vcc_lo, v4
	v_and_b32_e32 v0, v0, v5
	v_and_b32_e32 v32, v32, v4
	v_lshlrev_b32_e32 v5, 28, v31
	v_mov_b32_e32 v4, v1
	v_cmp_gt_i64_e32 vcc, 0, v[4:5]
	v_not_b32_e32 v4, v5
	v_ashrrev_i32_e32 v4, 31, v4
	;; [unrolled: 9-line block ×5, first 2 shown]
	v_xor_b32_e32 v5, vcc_hi, v4
	v_xor_b32_e32 v4, vcc_lo, v4
	v_and_b32_e32 v0, v0, v5
	v_lshlrev_b32_e32 v5, 24, v31
	v_and_b32_e32 v32, v32, v4
	v_mov_b32_e32 v4, v1
	v_not_b32_e32 v1, v5
	v_cmp_gt_i64_e32 vcc, 0, v[4:5]
	v_ashrrev_i32_e32 v1, 31, v1
	ds_read_b32 v29, v33 offset:64
	v_xor_b32_e32 v4, vcc_hi, v1
	v_xor_b32_e32 v5, vcc_lo, v1
	v_and_b32_e32 v1, v0, v4
	v_and_b32_e32 v0, v32, v5
	v_mbcnt_lo_u32_b32 v4, v0, 0
	v_mbcnt_hi_u32_b32 v31, v1, v4
	v_cmp_eq_u32_e32 vcc, 0, v31
	v_cmp_ne_u64_e64 s[0:1], 0, v[0:1]
	s_and_b64 s[4:5], s[0:1], vcc
	; wave barrier
	s_and_saveexec_b64 s[0:1], s[4:5]
	s_cbranch_execz .LBB1130_95
; %bb.94:
	v_bcnt_u32_b32 v0, v0, 0
	v_bcnt_u32_b32 v0, v1, v0
	s_waitcnt lgkmcnt(0)
	v_add_u32_e32 v0, v29, v0
	ds_write_b32 v33, v0 offset:64
.LBB1130_95:
	s_or_b64 exec, exec, s[0:1]
	s_waitcnt vmcnt(1)
	v_lshrrev_b32_e32 v0, s20, v13
	v_and_b32_e32 v34, s14, v0
	v_lshl_add_u32 v0, v34, 4, v34
	v_add_lshl_u32 v36, v25, v0, 2
	v_and_b32_e32 v0, 1, v34
	v_mov_b32_e32 v1, 0
	v_lshl_add_u64 v[4:5], v[0:1], 0, -1
	v_cmp_ne_u32_e32 vcc, 0, v0
	; wave barrier
	s_nop 1
	v_xor_b32_e32 v4, vcc_lo, v4
	v_xor_b32_e32 v0, vcc_hi, v5
	v_and_b32_e32 v35, exec_lo, v4
	v_lshlrev_b32_e32 v5, 30, v34
	v_mov_b32_e32 v4, v1
	v_cmp_gt_i64_e32 vcc, 0, v[4:5]
	v_not_b32_e32 v4, v5
	v_ashrrev_i32_e32 v4, 31, v4
	v_and_b32_e32 v0, exec_hi, v0
	v_xor_b32_e32 v5, vcc_hi, v4
	v_xor_b32_e32 v4, vcc_lo, v4
	v_and_b32_e32 v0, v0, v5
	v_and_b32_e32 v35, v35, v4
	v_lshlrev_b32_e32 v5, 29, v34
	v_mov_b32_e32 v4, v1
	v_cmp_gt_i64_e32 vcc, 0, v[4:5]
	v_not_b32_e32 v4, v5
	v_ashrrev_i32_e32 v4, 31, v4
	v_xor_b32_e32 v5, vcc_hi, v4
	v_xor_b32_e32 v4, vcc_lo, v4
	v_and_b32_e32 v0, v0, v5
	v_and_b32_e32 v35, v35, v4
	v_lshlrev_b32_e32 v5, 28, v34
	v_mov_b32_e32 v4, v1
	v_cmp_gt_i64_e32 vcc, 0, v[4:5]
	v_not_b32_e32 v4, v5
	v_ashrrev_i32_e32 v4, 31, v4
	;; [unrolled: 9-line block ×6, first 2 shown]
	v_xor_b32_e32 v5, vcc_hi, v4
	v_xor_b32_e32 v4, vcc_lo, v4
	ds_read_b32 v32, v36 offset:64
	v_and_b32_e32 v4, v35, v4
	v_and_b32_e32 v5, v0, v5
	v_mbcnt_lo_u32_b32 v0, v4, 0
	v_mbcnt_hi_u32_b32 v34, v5, v0
	v_cmp_eq_u32_e32 vcc, 0, v34
	v_cmp_ne_u64_e64 s[0:1], 0, v[4:5]
	s_and_b64 s[4:5], s[0:1], vcc
	; wave barrier
	s_and_saveexec_b64 s[0:1], s[4:5]
	s_cbranch_execz .LBB1130_97
; %bb.96:
	v_bcnt_u32_b32 v0, v4, 0
	v_bcnt_u32_b32 v0, v5, v0
	s_waitcnt lgkmcnt(0)
	v_add_u32_e32 v0, v32, v0
	ds_write_b32 v36, v0 offset:64
.LBB1130_97:
	s_or_b64 exec, exec, s[0:1]
	s_waitcnt vmcnt(0)
	v_lshrrev_b32_e32 v0, s20, v14
	v_and_b32_e32 v37, s14, v0
	v_lshl_add_u32 v0, v37, 4, v37
	v_add_lshl_u32 v38, v25, v0, 2
	v_and_b32_e32 v0, 1, v37
	v_lshl_add_u64 v[4:5], v[0:1], 0, -1
	v_cmp_ne_u32_e32 vcc, 0, v0
	; wave barrier
	s_nop 1
	v_xor_b32_e32 v4, vcc_lo, v4
	v_xor_b32_e32 v0, vcc_hi, v5
	v_and_b32_e32 v25, exec_lo, v4
	v_lshlrev_b32_e32 v5, 30, v37
	v_mov_b32_e32 v4, v1
	v_cmp_gt_i64_e32 vcc, 0, v[4:5]
	v_not_b32_e32 v4, v5
	v_ashrrev_i32_e32 v4, 31, v4
	v_and_b32_e32 v0, exec_hi, v0
	v_xor_b32_e32 v5, vcc_hi, v4
	v_xor_b32_e32 v4, vcc_lo, v4
	v_and_b32_e32 v0, v0, v5
	v_and_b32_e32 v25, v25, v4
	v_lshlrev_b32_e32 v5, 29, v37
	v_mov_b32_e32 v4, v1
	v_cmp_gt_i64_e32 vcc, 0, v[4:5]
	v_not_b32_e32 v4, v5
	v_ashrrev_i32_e32 v4, 31, v4
	v_xor_b32_e32 v5, vcc_hi, v4
	v_xor_b32_e32 v4, vcc_lo, v4
	v_and_b32_e32 v0, v0, v5
	v_and_b32_e32 v25, v25, v4
	v_lshlrev_b32_e32 v5, 28, v37
	v_mov_b32_e32 v4, v1
	v_cmp_gt_i64_e32 vcc, 0, v[4:5]
	v_not_b32_e32 v4, v5
	v_ashrrev_i32_e32 v4, 31, v4
	;; [unrolled: 9-line block ×5, first 2 shown]
	v_xor_b32_e32 v5, vcc_hi, v4
	v_xor_b32_e32 v4, vcc_lo, v4
	v_and_b32_e32 v0, v0, v5
	v_lshlrev_b32_e32 v5, 24, v37
	v_and_b32_e32 v25, v25, v4
	v_mov_b32_e32 v4, v1
	v_not_b32_e32 v1, v5
	v_cmp_gt_i64_e32 vcc, 0, v[4:5]
	v_ashrrev_i32_e32 v1, 31, v1
	ds_read_b32 v35, v38 offset:64
	v_xor_b32_e32 v4, vcc_hi, v1
	v_xor_b32_e32 v5, vcc_lo, v1
	v_and_b32_e32 v1, v0, v4
	v_and_b32_e32 v0, v25, v5
	v_mbcnt_lo_u32_b32 v4, v0, 0
	v_mbcnt_hi_u32_b32 v37, v1, v4
	v_cmp_eq_u32_e32 vcc, 0, v37
	v_cmp_ne_u64_e64 s[0:1], 0, v[0:1]
	v_add_u32_e32 v39, 64, v7
	s_and_b64 s[4:5], s[0:1], vcc
	; wave barrier
	s_and_saveexec_b64 s[0:1], s[4:5]
	s_cbranch_execz .LBB1130_99
; %bb.98:
	v_bcnt_u32_b32 v0, v0, 0
	v_bcnt_u32_b32 v0, v1, v0
	s_waitcnt lgkmcnt(0)
	v_add_u32_e32 v0, v35, v0
	ds_write_b32 v38, v0 offset:64
.LBB1130_99:
	s_or_b64 exec, exec, s[0:1]
	; wave barrier
	s_waitcnt lgkmcnt(0)
	s_barrier
	ds_read2_b32 v[4:5], v7 offset0:16 offset1:17
	ds_read2_b32 v[0:1], v39 offset0:2 offset1:3
	ds_read_b32 v25, v39 offset:16
	v_cmp_lt_u32_e64 s[8:9], 31, v6
	s_waitcnt lgkmcnt(1)
	v_add3_u32 v40, v5, v4, v0
	s_waitcnt lgkmcnt(0)
	v_add3_u32 v25, v40, v1, v25
	v_and_b32_e32 v40, 15, v6
	v_cmp_eq_u32_e32 vcc, 0, v40
	v_mov_b32_dpp v41, v25 row_shr:1 row_mask:0xf bank_mask:0xf
	v_cmp_lt_u32_e64 s[0:1], 1, v40
	v_cndmask_b32_e64 v41, v41, 0, vcc
	v_add_u32_e32 v25, v41, v25
	v_cmp_lt_u32_e64 s[6:7], 3, v40
	v_cmp_lt_u32_e64 s[4:5], 7, v40
	v_mov_b32_dpp v41, v25 row_shr:2 row_mask:0xf bank_mask:0xf
	v_cndmask_b32_e64 v41, 0, v41, s[0:1]
	v_add_u32_e32 v25, v25, v41
	s_nop 1
	v_mov_b32_dpp v41, v25 row_shr:4 row_mask:0xf bank_mask:0xf
	v_cndmask_b32_e64 v41, 0, v41, s[6:7]
	v_add_u32_e32 v25, v25, v41
	s_nop 1
	v_mov_b32_dpp v41, v25 row_shr:8 row_mask:0xf bank_mask:0xf
	v_cndmask_b32_e64 v40, 0, v41, s[4:5]
	v_add_u32_e32 v25, v25, v40
	v_bfe_i32 v41, v6, 4, 1
	s_nop 0
	v_mov_b32_dpp v40, v25 row_bcast:15 row_mask:0xf bank_mask:0xf
	v_and_b32_e32 v40, v41, v40
	v_add_u32_e32 v25, v25, v40
	v_lshrrev_b32_e32 v41, 6, v2
	s_nop 0
	v_mov_b32_dpp v40, v25 row_bcast:31 row_mask:0xf bank_mask:0xf
	v_cndmask_b32_e64 v40, 0, v40, s[8:9]
	v_add_u32_e32 v40, v25, v40
	v_and_b32_e32 v25, 63, v2
	v_cmp_eq_u32_e64 s[8:9], 63, v25
	s_and_saveexec_b64 s[12:13], s[8:9]
	s_cbranch_execz .LBB1130_101
; %bb.100:
	v_lshlrev_b32_e32 v25, 2, v41
	ds_write_b32 v25, v40
.LBB1130_101:
	s_or_b64 exec, exec, s[12:13]
	v_cmp_gt_u32_e64 s[8:9], 16, v2
	v_lshlrev_b32_e32 v25, 2, v2
	s_waitcnt lgkmcnt(0)
	s_barrier
	s_and_saveexec_b64 s[12:13], s[8:9]
	s_cbranch_execz .LBB1130_103
; %bb.102:
	ds_read_b32 v42, v25
	s_waitcnt lgkmcnt(0)
	s_nop 0
	v_mov_b32_dpp v43, v42 row_shr:1 row_mask:0xf bank_mask:0xf
	v_cndmask_b32_e64 v43, v43, 0, vcc
	v_add_u32_e32 v42, v43, v42
	s_nop 1
	v_mov_b32_dpp v43, v42 row_shr:2 row_mask:0xf bank_mask:0xf
	v_cndmask_b32_e64 v43, 0, v43, s[0:1]
	v_add_u32_e32 v42, v42, v43
	s_nop 1
	v_mov_b32_dpp v43, v42 row_shr:4 row_mask:0xf bank_mask:0xf
	v_cndmask_b32_e64 v43, 0, v43, s[6:7]
	;; [unrolled: 4-line block ×3, first 2 shown]
	v_add_u32_e32 v42, v42, v43
	ds_write_b32 v25, v42
.LBB1130_103:
	s_or_b64 exec, exec, s[12:13]
	v_cmp_lt_u32_e32 vcc, 63, v2
	v_mov_b32_e32 v42, 0
	s_waitcnt lgkmcnt(0)
	s_barrier
	s_and_saveexec_b64 s[0:1], vcc
	s_cbranch_execz .LBB1130_105
; %bb.104:
	v_lshl_add_u32 v41, v41, 2, -4
	ds_read_b32 v42, v41
.LBB1130_105:
	s_or_b64 exec, exec, s[0:1]
	v_add_u32_e32 v41, -1, v6
	v_and_b32_e32 v43, 64, v6
	v_cmp_lt_i32_e32 vcc, v41, v43
	s_waitcnt lgkmcnt(0)
	v_add_u32_e32 v40, v42, v40
	s_movk_i32 s0, 0x100
	v_cndmask_b32_e32 v41, v41, v6, vcc
	v_lshlrev_b32_e32 v41, 2, v41
	ds_bpermute_b32 v40, v41, v40
	v_cmp_eq_u32_e32 vcc, 0, v6
	v_cmp_gt_u32_e64 s[0:1], s0, v2
	s_waitcnt lgkmcnt(0)
	v_cndmask_b32_e32 v6, v40, v42, vcc
	v_cmp_ne_u32_e32 vcc, 0, v2
	s_nop 1
	v_cndmask_b32_e32 v6, 0, v6, vcc
	v_add_u32_e32 v4, v6, v4
	v_add_u32_e32 v5, v4, v5
	;; [unrolled: 1-line block ×4, first 2 shown]
	ds_write2_b32 v7, v6, v4 offset0:16 offset1:17
	ds_write2_b32 v39, v5, v0 offset0:2 offset1:3
	ds_write_b32 v39, v1 offset:16
	s_waitcnt lgkmcnt(0)
	s_barrier
	ds_read_b32 v43, v19 offset:64
	ds_read_b32 v39, v20 offset:64
	ds_read_b32 v40, v23 offset:64
	ds_read_b32 v41, v27 offset:64
	ds_read_b32 v42, v30 offset:64
	ds_read_b32 v30, v33 offset:64
	ds_read_b32 v23, v36 offset:64
	ds_read_b32 v27, v38 offset:64
                                        ; implicit-def: $vgpr19
                                        ; implicit-def: $vgpr20
	s_and_saveexec_b64 s[4:5], s[0:1]
	s_cbranch_execz .LBB1130_109
; %bb.106:
	v_mul_u32_u24_e32 v0, 17, v2
	v_lshlrev_b32_e32 v1, 2, v0
	ds_read_b32 v19, v1 offset:64
	s_movk_i32 s6, 0xff
	v_cmp_ne_u32_e32 vcc, s6, v2
	v_mov_b32_e32 v0, 0x2000
	s_and_saveexec_b64 s[6:7], vcc
	s_cbranch_execz .LBB1130_108
; %bb.107:
	ds_read_b32 v0, v1 offset:132
.LBB1130_108:
	s_or_b64 exec, exec, s[6:7]
	s_waitcnt lgkmcnt(0)
	v_sub_u32_e32 v20, v0, v19
.LBB1130_109:
	s_or_b64 exec, exec, s[4:5]
	s_waitcnt lgkmcnt(0)
	s_barrier
	s_and_saveexec_b64 s[4:5], s[0:1]
	s_cbranch_execz .LBB1130_119
; %bb.110:
	v_lshl_or_b32 v4, s2, 8, v2
	v_mov_b32_e32 v5, 0
	v_lshl_add_u64 v[0:1], v[4:5], 2, s[28:29]
	v_or_b32_e32 v4, 2.0, v20
	s_mov_b64 s[6:7], 0
	s_brev_b32 s15, 1
	s_mov_b32 s21, s2
	v_mov_b32_e32 v33, 0
	global_store_dword v[0:1], v4, off sc1
                                        ; implicit-def: $sgpr8_sgpr9
	s_branch .LBB1130_113
.LBB1130_111:                           ;   in Loop: Header=BB1130_113 Depth=1
	s_or_b64 exec, exec, s[12:13]
.LBB1130_112:                           ;   in Loop: Header=BB1130_113 Depth=1
	s_or_b64 exec, exec, s[8:9]
	v_and_b32_e32 v6, 0x3fffffff, v36
	v_add_u32_e32 v33, v6, v33
	v_cmp_eq_u32_e64 s[8:9], s15, v4
	s_and_b64 s[12:13], exec, s[8:9]
	s_or_b64 s[6:7], s[12:13], s[6:7]
	s_andn2_b64 exec, exec, s[6:7]
	s_cbranch_execz .LBB1130_118
.LBB1130_113:                           ; =>This Loop Header: Depth=1
                                        ;     Child Loop BB1130_116 Depth 2
	s_or_b64 s[8:9], s[8:9], exec
	s_cmp_eq_u32 s21, 0
	s_cbranch_scc1 .LBB1130_117
; %bb.114:                              ;   in Loop: Header=BB1130_113 Depth=1
	s_add_i32 s21, s21, -1
	v_lshl_or_b32 v4, s21, 8, v2
	v_lshl_add_u64 v[6:7], v[4:5], 2, s[28:29]
	global_load_dword v36, v[6:7], off sc1
	s_waitcnt vmcnt(0)
	v_and_b32_e32 v4, -2.0, v36
	v_cmp_eq_u32_e32 vcc, 0, v4
	s_and_saveexec_b64 s[8:9], vcc
	s_cbranch_execz .LBB1130_112
; %bb.115:                              ;   in Loop: Header=BB1130_113 Depth=1
	s_mov_b64 s[12:13], 0
.LBB1130_116:                           ;   Parent Loop BB1130_113 Depth=1
                                        ; =>  This Inner Loop Header: Depth=2
	global_load_dword v36, v[6:7], off sc1
	s_waitcnt vmcnt(0)
	v_and_b32_e32 v4, -2.0, v36
	v_cmp_ne_u32_e32 vcc, 0, v4
	s_or_b64 s[12:13], vcc, s[12:13]
	s_andn2_b64 exec, exec, s[12:13]
	s_cbranch_execnz .LBB1130_116
	s_branch .LBB1130_111
.LBB1130_117:                           ;   in Loop: Header=BB1130_113 Depth=1
                                        ; implicit-def: $sgpr21
	s_and_b64 s[12:13], exec, s[8:9]
	s_or_b64 s[6:7], s[12:13], s[6:7]
	s_andn2_b64 exec, exec, s[6:7]
	s_cbranch_execnz .LBB1130_113
.LBB1130_118:
	s_or_b64 exec, exec, s[6:7]
	v_add_u32_e32 v4, v33, v20
	v_or_b32_e32 v4, 0x80000000, v4
	global_store_dword v[0:1], v4, off sc1
	global_load_dword v0, v25, s[16:17]
	v_sub_u32_e32 v1, v33, v19
	s_waitcnt vmcnt(0)
	v_add_u32_e32 v0, v1, v0
	ds_write_b32 v25, v0
.LBB1130_119:
	s_or_b64 exec, exec, s[4:5]
	v_add_u32_e32 v0, v37, v35
	v_add_u32_e32 v1, v34, v32
	;; [unrolled: 1-line block ×8, first 2 shown]
	s_movk_i32 s8, 0x400
	v_add_u32_e32 v5, 0x400, v25
	v_add_lshl_u32 v6, v0, v27, 2
	v_add3_u32 v7, v37, v27, v35
	v_add_lshl_u32 v15, v1, v23, 2
	v_add3_u32 v23, v34, v23, v32
	;; [unrolled: 2-line block ×7, first 2 shown]
	v_lshlrev_b32_e32 v17, 2, v4
	s_mov_b64 s[4:5], -1
	s_mov_b32 s9, 0
	s_mov_b32 s12, 0
	s_movk_i32 s13, 0x1000
	s_movk_i32 s15, 0x800
	;; [unrolled: 1-line block ×3, first 2 shown]
	v_mov_b32_e32 v1, 0
	v_mov_b32_e32 v31, v2
	s_branch .LBB1130_121
.LBB1130_120:                           ;   in Loop: Header=BB1130_121 Depth=1
	s_or_b64 exec, exec, s[6:7]
	s_waitcnt lgkmcnt(0)
	s_barrier
	ds_read_b32 v36, v25 offset:1024
	ds_read2st64_b32 v[32:33], v5 offset0:16 offset1:32
	s_xor_b64 s[6:7], s[4:5], -1
	s_addk_i32 s9, 0xc000
	s_addk_i32 s12, 0xf000
	s_waitcnt lgkmcnt(1)
	v_lshrrev_b32_e32 v0, s20, v36
	v_and_b32_e32 v0, s14, v0
	v_lshlrev_b32_e32 v0, 2, v0
	s_waitcnt lgkmcnt(0)
	v_lshrrev_b32_e32 v34, s20, v32
	v_and_b32_e32 v34, s14, v34
	v_lshrrev_b32_e32 v35, s20, v33
	ds_read_b32 v0, v0
	v_lshlrev_b32_e32 v34, 2, v34
	v_and_b32_e32 v35, s14, v35
	v_lshlrev_b32_e32 v35, 2, v35
	ds_read_b32 v37, v34
	ds_read_b32 v38, v35
	ds_read_b32 v39, v5 offset:12288
	s_waitcnt lgkmcnt(3)
	v_add_u32_e32 v0, v31, v0
	v_lshl_add_u64 v[34:35], v[0:1], 2, s[26:27]
	s_waitcnt lgkmcnt(2)
	v_add3_u32 v0, v31, v37, s8
	global_store_dword v[34:35], v36, off
	v_lshl_add_u64 v[34:35], v[0:1], 2, s[26:27]
	s_waitcnt lgkmcnt(0)
	v_lshrrev_b32_e32 v0, s20, v39
	v_and_b32_e32 v0, s14, v0
	v_lshlrev_b32_e32 v0, 2, v0
	ds_read_b32 v36, v0
	v_add3_u32 v0, v31, v38, s15
	global_store_dword v[34:35], v32, off
	v_lshl_add_u64 v[34:35], v[0:1], 2, s[26:27]
	global_store_dword v[34:35], v33, off
	s_waitcnt lgkmcnt(0)
	v_add3_u32 v0, v31, v36, s16
	v_lshl_add_u64 v[32:33], v[0:1], 2, s[26:27]
	v_add_u32_e32 v31, 0x1000, v31
	s_mov_b64 s[4:5], 0
	s_and_b64 vcc, exec, s[6:7]
	global_store_dword v[32:33], v39, off
	s_barrier
	s_cbranch_vccnz .LBB1130_137
.LBB1130_121:                           ; =>This Inner Loop Header: Depth=1
	v_add_u32_e32 v0, s12, v4
	v_cmp_gt_u32_e32 vcc, s13, v0
	s_and_saveexec_b64 s[6:7], vcc
	s_cbranch_execz .LBB1130_123
; %bb.122:                              ;   in Loop: Header=BB1130_121 Depth=1
	v_add_u32_e32 v0, s9, v17
	ds_write_b32 v0, v3 offset:1024
.LBB1130_123:                           ;   in Loop: Header=BB1130_121 Depth=1
	s_or_b64 exec, exec, s[6:7]
	v_add_u32_e32 v0, s12, v16
	v_cmp_gt_u32_e32 vcc, s13, v0
	s_and_saveexec_b64 s[6:7], vcc
	s_cbranch_execz .LBB1130_125
; %bb.124:                              ;   in Loop: Header=BB1130_121 Depth=1
	v_add_u32_e32 v0, s9, v21
	ds_write_b32 v0, v8 offset:1024
.LBB1130_125:                           ;   in Loop: Header=BB1130_121 Depth=1
	s_or_b64 exec, exec, s[6:7]
	;; [unrolled: 9-line block ×7, first 2 shown]
	v_add_u32_e32 v0, s12, v7
	v_cmp_gt_u32_e32 vcc, s13, v0
	s_and_saveexec_b64 s[6:7], vcc
	s_cbranch_execz .LBB1130_120
; %bb.136:                              ;   in Loop: Header=BB1130_121 Depth=1
	v_add_u32_e32 v0, s9, v6
	ds_write_b32 v0, v14 offset:1024
	s_branch .LBB1130_120
.LBB1130_137:
	s_add_i32 s3, s3, -1
	s_cmp_eq_u32 s3, s2
	s_cselect_b64 s[2:3], -1, 0
	s_and_b64 s[2:3], s[0:1], s[2:3]
                                        ; implicit-def: $vgpr4
	s_and_saveexec_b64 s[0:1], s[2:3]
; %bb.138:
	v_add_u32_e32 v4, v19, v20
	s_or_b64 s[10:11], s[10:11], exec
; %bb.139:
	s_or_b64 exec, exec, s[0:1]
.LBB1130_140:
	s_and_saveexec_b64 s[0:1], s[10:11]
	s_cbranch_execnz .LBB1130_142
; %bb.141:
	s_endpgm
.LBB1130_142:
	v_lshlrev_b32_e32 v0, 2, v2
	ds_read_b32 v5, v0
	v_mov_b32_e32 v0, s18
	v_mov_b32_e32 v1, s19
	;; [unrolled: 1-line block ×3, first 2 shown]
	v_lshl_add_u64 v[0:1], v[2:3], 2, v[0:1]
	s_waitcnt lgkmcnt(0)
	v_add_u32_e32 v2, v5, v4
	global_store_dword v[0:1], v2, off
	s_endpgm
	.section	.rodata,"a",@progbits
	.p2align	6, 0x0
	.amdhsa_kernel _ZN7rocprim17ROCPRIM_400000_NS6detail17trampoline_kernelINS0_14default_configENS1_35radix_sort_onesweep_config_selectorIjNS0_10empty_typeEEEZZNS1_29radix_sort_onesweep_iterationIS3_Lb0EN6thrust23THRUST_200600_302600_NS6detail15normal_iteratorINS9_10device_ptrIjEEEESE_PS5_SF_jNS0_19identity_decomposerENS1_16block_id_wrapperIjLb0EEEEE10hipError_tT1_PNSt15iterator_traitsISK_E10value_typeET2_T3_PNSL_ISQ_E10value_typeET4_T5_PSV_SW_PNS1_23onesweep_lookback_stateEbbT6_jjT7_P12ihipStream_tbENKUlT_T0_SK_SP_E_clISE_SE_SF_SF_EEDaS13_S14_SK_SP_EUlS13_E_NS1_11comp_targetILNS1_3genE5ELNS1_11target_archE942ELNS1_3gpuE9ELNS1_3repE0EEENS1_47radix_sort_onesweep_sort_config_static_selectorELNS0_4arch9wavefront6targetE1EEEvSK_
		.amdhsa_group_segment_fixed_size 20552
		.amdhsa_private_segment_fixed_size 0
		.amdhsa_kernarg_size 344
		.amdhsa_user_sgpr_count 2
		.amdhsa_user_sgpr_dispatch_ptr 0
		.amdhsa_user_sgpr_queue_ptr 0
		.amdhsa_user_sgpr_kernarg_segment_ptr 1
		.amdhsa_user_sgpr_dispatch_id 0
		.amdhsa_user_sgpr_kernarg_preload_length 0
		.amdhsa_user_sgpr_kernarg_preload_offset 0
		.amdhsa_user_sgpr_private_segment_size 0
		.amdhsa_uses_dynamic_stack 0
		.amdhsa_enable_private_segment 0
		.amdhsa_system_sgpr_workgroup_id_x 1
		.amdhsa_system_sgpr_workgroup_id_y 0
		.amdhsa_system_sgpr_workgroup_id_z 0
		.amdhsa_system_sgpr_workgroup_info 0
		.amdhsa_system_vgpr_workitem_id 2
		.amdhsa_next_free_vgpr 46
		.amdhsa_next_free_sgpr 30
		.amdhsa_accum_offset 48
		.amdhsa_reserve_vcc 1
		.amdhsa_float_round_mode_32 0
		.amdhsa_float_round_mode_16_64 0
		.amdhsa_float_denorm_mode_32 3
		.amdhsa_float_denorm_mode_16_64 3
		.amdhsa_dx10_clamp 1
		.amdhsa_ieee_mode 1
		.amdhsa_fp16_overflow 0
		.amdhsa_tg_split 0
		.amdhsa_exception_fp_ieee_invalid_op 0
		.amdhsa_exception_fp_denorm_src 0
		.amdhsa_exception_fp_ieee_div_zero 0
		.amdhsa_exception_fp_ieee_overflow 0
		.amdhsa_exception_fp_ieee_underflow 0
		.amdhsa_exception_fp_ieee_inexact 0
		.amdhsa_exception_int_div_zero 0
	.end_amdhsa_kernel
	.section	.text._ZN7rocprim17ROCPRIM_400000_NS6detail17trampoline_kernelINS0_14default_configENS1_35radix_sort_onesweep_config_selectorIjNS0_10empty_typeEEEZZNS1_29radix_sort_onesweep_iterationIS3_Lb0EN6thrust23THRUST_200600_302600_NS6detail15normal_iteratorINS9_10device_ptrIjEEEESE_PS5_SF_jNS0_19identity_decomposerENS1_16block_id_wrapperIjLb0EEEEE10hipError_tT1_PNSt15iterator_traitsISK_E10value_typeET2_T3_PNSL_ISQ_E10value_typeET4_T5_PSV_SW_PNS1_23onesweep_lookback_stateEbbT6_jjT7_P12ihipStream_tbENKUlT_T0_SK_SP_E_clISE_SE_SF_SF_EEDaS13_S14_SK_SP_EUlS13_E_NS1_11comp_targetILNS1_3genE5ELNS1_11target_archE942ELNS1_3gpuE9ELNS1_3repE0EEENS1_47radix_sort_onesweep_sort_config_static_selectorELNS0_4arch9wavefront6targetE1EEEvSK_,"axG",@progbits,_ZN7rocprim17ROCPRIM_400000_NS6detail17trampoline_kernelINS0_14default_configENS1_35radix_sort_onesweep_config_selectorIjNS0_10empty_typeEEEZZNS1_29radix_sort_onesweep_iterationIS3_Lb0EN6thrust23THRUST_200600_302600_NS6detail15normal_iteratorINS9_10device_ptrIjEEEESE_PS5_SF_jNS0_19identity_decomposerENS1_16block_id_wrapperIjLb0EEEEE10hipError_tT1_PNSt15iterator_traitsISK_E10value_typeET2_T3_PNSL_ISQ_E10value_typeET4_T5_PSV_SW_PNS1_23onesweep_lookback_stateEbbT6_jjT7_P12ihipStream_tbENKUlT_T0_SK_SP_E_clISE_SE_SF_SF_EEDaS13_S14_SK_SP_EUlS13_E_NS1_11comp_targetILNS1_3genE5ELNS1_11target_archE942ELNS1_3gpuE9ELNS1_3repE0EEENS1_47radix_sort_onesweep_sort_config_static_selectorELNS0_4arch9wavefront6targetE1EEEvSK_,comdat
.Lfunc_end1130:
	.size	_ZN7rocprim17ROCPRIM_400000_NS6detail17trampoline_kernelINS0_14default_configENS1_35radix_sort_onesweep_config_selectorIjNS0_10empty_typeEEEZZNS1_29radix_sort_onesweep_iterationIS3_Lb0EN6thrust23THRUST_200600_302600_NS6detail15normal_iteratorINS9_10device_ptrIjEEEESE_PS5_SF_jNS0_19identity_decomposerENS1_16block_id_wrapperIjLb0EEEEE10hipError_tT1_PNSt15iterator_traitsISK_E10value_typeET2_T3_PNSL_ISQ_E10value_typeET4_T5_PSV_SW_PNS1_23onesweep_lookback_stateEbbT6_jjT7_P12ihipStream_tbENKUlT_T0_SK_SP_E_clISE_SE_SF_SF_EEDaS13_S14_SK_SP_EUlS13_E_NS1_11comp_targetILNS1_3genE5ELNS1_11target_archE942ELNS1_3gpuE9ELNS1_3repE0EEENS1_47radix_sort_onesweep_sort_config_static_selectorELNS0_4arch9wavefront6targetE1EEEvSK_, .Lfunc_end1130-_ZN7rocprim17ROCPRIM_400000_NS6detail17trampoline_kernelINS0_14default_configENS1_35radix_sort_onesweep_config_selectorIjNS0_10empty_typeEEEZZNS1_29radix_sort_onesweep_iterationIS3_Lb0EN6thrust23THRUST_200600_302600_NS6detail15normal_iteratorINS9_10device_ptrIjEEEESE_PS5_SF_jNS0_19identity_decomposerENS1_16block_id_wrapperIjLb0EEEEE10hipError_tT1_PNSt15iterator_traitsISK_E10value_typeET2_T3_PNSL_ISQ_E10value_typeET4_T5_PSV_SW_PNS1_23onesweep_lookback_stateEbbT6_jjT7_P12ihipStream_tbENKUlT_T0_SK_SP_E_clISE_SE_SF_SF_EEDaS13_S14_SK_SP_EUlS13_E_NS1_11comp_targetILNS1_3genE5ELNS1_11target_archE942ELNS1_3gpuE9ELNS1_3repE0EEENS1_47radix_sort_onesweep_sort_config_static_selectorELNS0_4arch9wavefront6targetE1EEEvSK_
                                        ; -- End function
	.section	.AMDGPU.csdata,"",@progbits
; Kernel info:
; codeLenInByte = 11088
; NumSgprs: 36
; NumVgprs: 46
; NumAgprs: 0
; TotalNumVgprs: 46
; ScratchSize: 0
; MemoryBound: 0
; FloatMode: 240
; IeeeMode: 1
; LDSByteSize: 20552 bytes/workgroup (compile time only)
; SGPRBlocks: 4
; VGPRBlocks: 5
; NumSGPRsForWavesPerEU: 36
; NumVGPRsForWavesPerEU: 46
; AccumOffset: 48
; Occupancy: 8
; WaveLimiterHint : 1
; COMPUTE_PGM_RSRC2:SCRATCH_EN: 0
; COMPUTE_PGM_RSRC2:USER_SGPR: 2
; COMPUTE_PGM_RSRC2:TRAP_HANDLER: 0
; COMPUTE_PGM_RSRC2:TGID_X_EN: 1
; COMPUTE_PGM_RSRC2:TGID_Y_EN: 0
; COMPUTE_PGM_RSRC2:TGID_Z_EN: 0
; COMPUTE_PGM_RSRC2:TIDIG_COMP_CNT: 2
; COMPUTE_PGM_RSRC3_GFX90A:ACCUM_OFFSET: 11
; COMPUTE_PGM_RSRC3_GFX90A:TG_SPLIT: 0
	.section	.text._ZN7rocprim17ROCPRIM_400000_NS6detail17trampoline_kernelINS0_14default_configENS1_35radix_sort_onesweep_config_selectorIjNS0_10empty_typeEEEZZNS1_29radix_sort_onesweep_iterationIS3_Lb0EN6thrust23THRUST_200600_302600_NS6detail15normal_iteratorINS9_10device_ptrIjEEEESE_PS5_SF_jNS0_19identity_decomposerENS1_16block_id_wrapperIjLb0EEEEE10hipError_tT1_PNSt15iterator_traitsISK_E10value_typeET2_T3_PNSL_ISQ_E10value_typeET4_T5_PSV_SW_PNS1_23onesweep_lookback_stateEbbT6_jjT7_P12ihipStream_tbENKUlT_T0_SK_SP_E_clISE_SE_SF_SF_EEDaS13_S14_SK_SP_EUlS13_E_NS1_11comp_targetILNS1_3genE2ELNS1_11target_archE906ELNS1_3gpuE6ELNS1_3repE0EEENS1_47radix_sort_onesweep_sort_config_static_selectorELNS0_4arch9wavefront6targetE1EEEvSK_,"axG",@progbits,_ZN7rocprim17ROCPRIM_400000_NS6detail17trampoline_kernelINS0_14default_configENS1_35radix_sort_onesweep_config_selectorIjNS0_10empty_typeEEEZZNS1_29radix_sort_onesweep_iterationIS3_Lb0EN6thrust23THRUST_200600_302600_NS6detail15normal_iteratorINS9_10device_ptrIjEEEESE_PS5_SF_jNS0_19identity_decomposerENS1_16block_id_wrapperIjLb0EEEEE10hipError_tT1_PNSt15iterator_traitsISK_E10value_typeET2_T3_PNSL_ISQ_E10value_typeET4_T5_PSV_SW_PNS1_23onesweep_lookback_stateEbbT6_jjT7_P12ihipStream_tbENKUlT_T0_SK_SP_E_clISE_SE_SF_SF_EEDaS13_S14_SK_SP_EUlS13_E_NS1_11comp_targetILNS1_3genE2ELNS1_11target_archE906ELNS1_3gpuE6ELNS1_3repE0EEENS1_47radix_sort_onesweep_sort_config_static_selectorELNS0_4arch9wavefront6targetE1EEEvSK_,comdat
	.protected	_ZN7rocprim17ROCPRIM_400000_NS6detail17trampoline_kernelINS0_14default_configENS1_35radix_sort_onesweep_config_selectorIjNS0_10empty_typeEEEZZNS1_29radix_sort_onesweep_iterationIS3_Lb0EN6thrust23THRUST_200600_302600_NS6detail15normal_iteratorINS9_10device_ptrIjEEEESE_PS5_SF_jNS0_19identity_decomposerENS1_16block_id_wrapperIjLb0EEEEE10hipError_tT1_PNSt15iterator_traitsISK_E10value_typeET2_T3_PNSL_ISQ_E10value_typeET4_T5_PSV_SW_PNS1_23onesweep_lookback_stateEbbT6_jjT7_P12ihipStream_tbENKUlT_T0_SK_SP_E_clISE_SE_SF_SF_EEDaS13_S14_SK_SP_EUlS13_E_NS1_11comp_targetILNS1_3genE2ELNS1_11target_archE906ELNS1_3gpuE6ELNS1_3repE0EEENS1_47radix_sort_onesweep_sort_config_static_selectorELNS0_4arch9wavefront6targetE1EEEvSK_ ; -- Begin function _ZN7rocprim17ROCPRIM_400000_NS6detail17trampoline_kernelINS0_14default_configENS1_35radix_sort_onesweep_config_selectorIjNS0_10empty_typeEEEZZNS1_29radix_sort_onesweep_iterationIS3_Lb0EN6thrust23THRUST_200600_302600_NS6detail15normal_iteratorINS9_10device_ptrIjEEEESE_PS5_SF_jNS0_19identity_decomposerENS1_16block_id_wrapperIjLb0EEEEE10hipError_tT1_PNSt15iterator_traitsISK_E10value_typeET2_T3_PNSL_ISQ_E10value_typeET4_T5_PSV_SW_PNS1_23onesweep_lookback_stateEbbT6_jjT7_P12ihipStream_tbENKUlT_T0_SK_SP_E_clISE_SE_SF_SF_EEDaS13_S14_SK_SP_EUlS13_E_NS1_11comp_targetILNS1_3genE2ELNS1_11target_archE906ELNS1_3gpuE6ELNS1_3repE0EEENS1_47radix_sort_onesweep_sort_config_static_selectorELNS0_4arch9wavefront6targetE1EEEvSK_
	.globl	_ZN7rocprim17ROCPRIM_400000_NS6detail17trampoline_kernelINS0_14default_configENS1_35radix_sort_onesweep_config_selectorIjNS0_10empty_typeEEEZZNS1_29radix_sort_onesweep_iterationIS3_Lb0EN6thrust23THRUST_200600_302600_NS6detail15normal_iteratorINS9_10device_ptrIjEEEESE_PS5_SF_jNS0_19identity_decomposerENS1_16block_id_wrapperIjLb0EEEEE10hipError_tT1_PNSt15iterator_traitsISK_E10value_typeET2_T3_PNSL_ISQ_E10value_typeET4_T5_PSV_SW_PNS1_23onesweep_lookback_stateEbbT6_jjT7_P12ihipStream_tbENKUlT_T0_SK_SP_E_clISE_SE_SF_SF_EEDaS13_S14_SK_SP_EUlS13_E_NS1_11comp_targetILNS1_3genE2ELNS1_11target_archE906ELNS1_3gpuE6ELNS1_3repE0EEENS1_47radix_sort_onesweep_sort_config_static_selectorELNS0_4arch9wavefront6targetE1EEEvSK_
	.p2align	8
	.type	_ZN7rocprim17ROCPRIM_400000_NS6detail17trampoline_kernelINS0_14default_configENS1_35radix_sort_onesweep_config_selectorIjNS0_10empty_typeEEEZZNS1_29radix_sort_onesweep_iterationIS3_Lb0EN6thrust23THRUST_200600_302600_NS6detail15normal_iteratorINS9_10device_ptrIjEEEESE_PS5_SF_jNS0_19identity_decomposerENS1_16block_id_wrapperIjLb0EEEEE10hipError_tT1_PNSt15iterator_traitsISK_E10value_typeET2_T3_PNSL_ISQ_E10value_typeET4_T5_PSV_SW_PNS1_23onesweep_lookback_stateEbbT6_jjT7_P12ihipStream_tbENKUlT_T0_SK_SP_E_clISE_SE_SF_SF_EEDaS13_S14_SK_SP_EUlS13_E_NS1_11comp_targetILNS1_3genE2ELNS1_11target_archE906ELNS1_3gpuE6ELNS1_3repE0EEENS1_47radix_sort_onesweep_sort_config_static_selectorELNS0_4arch9wavefront6targetE1EEEvSK_,@function
_ZN7rocprim17ROCPRIM_400000_NS6detail17trampoline_kernelINS0_14default_configENS1_35radix_sort_onesweep_config_selectorIjNS0_10empty_typeEEEZZNS1_29radix_sort_onesweep_iterationIS3_Lb0EN6thrust23THRUST_200600_302600_NS6detail15normal_iteratorINS9_10device_ptrIjEEEESE_PS5_SF_jNS0_19identity_decomposerENS1_16block_id_wrapperIjLb0EEEEE10hipError_tT1_PNSt15iterator_traitsISK_E10value_typeET2_T3_PNSL_ISQ_E10value_typeET4_T5_PSV_SW_PNS1_23onesweep_lookback_stateEbbT6_jjT7_P12ihipStream_tbENKUlT_T0_SK_SP_E_clISE_SE_SF_SF_EEDaS13_S14_SK_SP_EUlS13_E_NS1_11comp_targetILNS1_3genE2ELNS1_11target_archE906ELNS1_3gpuE6ELNS1_3repE0EEENS1_47radix_sort_onesweep_sort_config_static_selectorELNS0_4arch9wavefront6targetE1EEEvSK_: ; @_ZN7rocprim17ROCPRIM_400000_NS6detail17trampoline_kernelINS0_14default_configENS1_35radix_sort_onesweep_config_selectorIjNS0_10empty_typeEEEZZNS1_29radix_sort_onesweep_iterationIS3_Lb0EN6thrust23THRUST_200600_302600_NS6detail15normal_iteratorINS9_10device_ptrIjEEEESE_PS5_SF_jNS0_19identity_decomposerENS1_16block_id_wrapperIjLb0EEEEE10hipError_tT1_PNSt15iterator_traitsISK_E10value_typeET2_T3_PNSL_ISQ_E10value_typeET4_T5_PSV_SW_PNS1_23onesweep_lookback_stateEbbT6_jjT7_P12ihipStream_tbENKUlT_T0_SK_SP_E_clISE_SE_SF_SF_EEDaS13_S14_SK_SP_EUlS13_E_NS1_11comp_targetILNS1_3genE2ELNS1_11target_archE906ELNS1_3gpuE6ELNS1_3repE0EEENS1_47radix_sort_onesweep_sort_config_static_selectorELNS0_4arch9wavefront6targetE1EEEvSK_
; %bb.0:
	.section	.rodata,"a",@progbits
	.p2align	6, 0x0
	.amdhsa_kernel _ZN7rocprim17ROCPRIM_400000_NS6detail17trampoline_kernelINS0_14default_configENS1_35radix_sort_onesweep_config_selectorIjNS0_10empty_typeEEEZZNS1_29radix_sort_onesweep_iterationIS3_Lb0EN6thrust23THRUST_200600_302600_NS6detail15normal_iteratorINS9_10device_ptrIjEEEESE_PS5_SF_jNS0_19identity_decomposerENS1_16block_id_wrapperIjLb0EEEEE10hipError_tT1_PNSt15iterator_traitsISK_E10value_typeET2_T3_PNSL_ISQ_E10value_typeET4_T5_PSV_SW_PNS1_23onesweep_lookback_stateEbbT6_jjT7_P12ihipStream_tbENKUlT_T0_SK_SP_E_clISE_SE_SF_SF_EEDaS13_S14_SK_SP_EUlS13_E_NS1_11comp_targetILNS1_3genE2ELNS1_11target_archE906ELNS1_3gpuE6ELNS1_3repE0EEENS1_47radix_sort_onesweep_sort_config_static_selectorELNS0_4arch9wavefront6targetE1EEEvSK_
		.amdhsa_group_segment_fixed_size 0
		.amdhsa_private_segment_fixed_size 0
		.amdhsa_kernarg_size 88
		.amdhsa_user_sgpr_count 2
		.amdhsa_user_sgpr_dispatch_ptr 0
		.amdhsa_user_sgpr_queue_ptr 0
		.amdhsa_user_sgpr_kernarg_segment_ptr 1
		.amdhsa_user_sgpr_dispatch_id 0
		.amdhsa_user_sgpr_kernarg_preload_length 0
		.amdhsa_user_sgpr_kernarg_preload_offset 0
		.amdhsa_user_sgpr_private_segment_size 0
		.amdhsa_uses_dynamic_stack 0
		.amdhsa_enable_private_segment 0
		.amdhsa_system_sgpr_workgroup_id_x 1
		.amdhsa_system_sgpr_workgroup_id_y 0
		.amdhsa_system_sgpr_workgroup_id_z 0
		.amdhsa_system_sgpr_workgroup_info 0
		.amdhsa_system_vgpr_workitem_id 0
		.amdhsa_next_free_vgpr 1
		.amdhsa_next_free_sgpr 0
		.amdhsa_accum_offset 4
		.amdhsa_reserve_vcc 0
		.amdhsa_float_round_mode_32 0
		.amdhsa_float_round_mode_16_64 0
		.amdhsa_float_denorm_mode_32 3
		.amdhsa_float_denorm_mode_16_64 3
		.amdhsa_dx10_clamp 1
		.amdhsa_ieee_mode 1
		.amdhsa_fp16_overflow 0
		.amdhsa_tg_split 0
		.amdhsa_exception_fp_ieee_invalid_op 0
		.amdhsa_exception_fp_denorm_src 0
		.amdhsa_exception_fp_ieee_div_zero 0
		.amdhsa_exception_fp_ieee_overflow 0
		.amdhsa_exception_fp_ieee_underflow 0
		.amdhsa_exception_fp_ieee_inexact 0
		.amdhsa_exception_int_div_zero 0
	.end_amdhsa_kernel
	.section	.text._ZN7rocprim17ROCPRIM_400000_NS6detail17trampoline_kernelINS0_14default_configENS1_35radix_sort_onesweep_config_selectorIjNS0_10empty_typeEEEZZNS1_29radix_sort_onesweep_iterationIS3_Lb0EN6thrust23THRUST_200600_302600_NS6detail15normal_iteratorINS9_10device_ptrIjEEEESE_PS5_SF_jNS0_19identity_decomposerENS1_16block_id_wrapperIjLb0EEEEE10hipError_tT1_PNSt15iterator_traitsISK_E10value_typeET2_T3_PNSL_ISQ_E10value_typeET4_T5_PSV_SW_PNS1_23onesweep_lookback_stateEbbT6_jjT7_P12ihipStream_tbENKUlT_T0_SK_SP_E_clISE_SE_SF_SF_EEDaS13_S14_SK_SP_EUlS13_E_NS1_11comp_targetILNS1_3genE2ELNS1_11target_archE906ELNS1_3gpuE6ELNS1_3repE0EEENS1_47radix_sort_onesweep_sort_config_static_selectorELNS0_4arch9wavefront6targetE1EEEvSK_,"axG",@progbits,_ZN7rocprim17ROCPRIM_400000_NS6detail17trampoline_kernelINS0_14default_configENS1_35radix_sort_onesweep_config_selectorIjNS0_10empty_typeEEEZZNS1_29radix_sort_onesweep_iterationIS3_Lb0EN6thrust23THRUST_200600_302600_NS6detail15normal_iteratorINS9_10device_ptrIjEEEESE_PS5_SF_jNS0_19identity_decomposerENS1_16block_id_wrapperIjLb0EEEEE10hipError_tT1_PNSt15iterator_traitsISK_E10value_typeET2_T3_PNSL_ISQ_E10value_typeET4_T5_PSV_SW_PNS1_23onesweep_lookback_stateEbbT6_jjT7_P12ihipStream_tbENKUlT_T0_SK_SP_E_clISE_SE_SF_SF_EEDaS13_S14_SK_SP_EUlS13_E_NS1_11comp_targetILNS1_3genE2ELNS1_11target_archE906ELNS1_3gpuE6ELNS1_3repE0EEENS1_47radix_sort_onesweep_sort_config_static_selectorELNS0_4arch9wavefront6targetE1EEEvSK_,comdat
.Lfunc_end1131:
	.size	_ZN7rocprim17ROCPRIM_400000_NS6detail17trampoline_kernelINS0_14default_configENS1_35radix_sort_onesweep_config_selectorIjNS0_10empty_typeEEEZZNS1_29radix_sort_onesweep_iterationIS3_Lb0EN6thrust23THRUST_200600_302600_NS6detail15normal_iteratorINS9_10device_ptrIjEEEESE_PS5_SF_jNS0_19identity_decomposerENS1_16block_id_wrapperIjLb0EEEEE10hipError_tT1_PNSt15iterator_traitsISK_E10value_typeET2_T3_PNSL_ISQ_E10value_typeET4_T5_PSV_SW_PNS1_23onesweep_lookback_stateEbbT6_jjT7_P12ihipStream_tbENKUlT_T0_SK_SP_E_clISE_SE_SF_SF_EEDaS13_S14_SK_SP_EUlS13_E_NS1_11comp_targetILNS1_3genE2ELNS1_11target_archE906ELNS1_3gpuE6ELNS1_3repE0EEENS1_47radix_sort_onesweep_sort_config_static_selectorELNS0_4arch9wavefront6targetE1EEEvSK_, .Lfunc_end1131-_ZN7rocprim17ROCPRIM_400000_NS6detail17trampoline_kernelINS0_14default_configENS1_35radix_sort_onesweep_config_selectorIjNS0_10empty_typeEEEZZNS1_29radix_sort_onesweep_iterationIS3_Lb0EN6thrust23THRUST_200600_302600_NS6detail15normal_iteratorINS9_10device_ptrIjEEEESE_PS5_SF_jNS0_19identity_decomposerENS1_16block_id_wrapperIjLb0EEEEE10hipError_tT1_PNSt15iterator_traitsISK_E10value_typeET2_T3_PNSL_ISQ_E10value_typeET4_T5_PSV_SW_PNS1_23onesweep_lookback_stateEbbT6_jjT7_P12ihipStream_tbENKUlT_T0_SK_SP_E_clISE_SE_SF_SF_EEDaS13_S14_SK_SP_EUlS13_E_NS1_11comp_targetILNS1_3genE2ELNS1_11target_archE906ELNS1_3gpuE6ELNS1_3repE0EEENS1_47radix_sort_onesweep_sort_config_static_selectorELNS0_4arch9wavefront6targetE1EEEvSK_
                                        ; -- End function
	.section	.AMDGPU.csdata,"",@progbits
; Kernel info:
; codeLenInByte = 0
; NumSgprs: 6
; NumVgprs: 0
; NumAgprs: 0
; TotalNumVgprs: 0
; ScratchSize: 0
; MemoryBound: 0
; FloatMode: 240
; IeeeMode: 1
; LDSByteSize: 0 bytes/workgroup (compile time only)
; SGPRBlocks: 0
; VGPRBlocks: 0
; NumSGPRsForWavesPerEU: 6
; NumVGPRsForWavesPerEU: 1
; AccumOffset: 4
; Occupancy: 8
; WaveLimiterHint : 0
; COMPUTE_PGM_RSRC2:SCRATCH_EN: 0
; COMPUTE_PGM_RSRC2:USER_SGPR: 2
; COMPUTE_PGM_RSRC2:TRAP_HANDLER: 0
; COMPUTE_PGM_RSRC2:TGID_X_EN: 1
; COMPUTE_PGM_RSRC2:TGID_Y_EN: 0
; COMPUTE_PGM_RSRC2:TGID_Z_EN: 0
; COMPUTE_PGM_RSRC2:TIDIG_COMP_CNT: 0
; COMPUTE_PGM_RSRC3_GFX90A:ACCUM_OFFSET: 0
; COMPUTE_PGM_RSRC3_GFX90A:TG_SPLIT: 0
	.section	.text._ZN7rocprim17ROCPRIM_400000_NS6detail17trampoline_kernelINS0_14default_configENS1_35radix_sort_onesweep_config_selectorIjNS0_10empty_typeEEEZZNS1_29radix_sort_onesweep_iterationIS3_Lb0EN6thrust23THRUST_200600_302600_NS6detail15normal_iteratorINS9_10device_ptrIjEEEESE_PS5_SF_jNS0_19identity_decomposerENS1_16block_id_wrapperIjLb0EEEEE10hipError_tT1_PNSt15iterator_traitsISK_E10value_typeET2_T3_PNSL_ISQ_E10value_typeET4_T5_PSV_SW_PNS1_23onesweep_lookback_stateEbbT6_jjT7_P12ihipStream_tbENKUlT_T0_SK_SP_E_clISE_SE_SF_SF_EEDaS13_S14_SK_SP_EUlS13_E_NS1_11comp_targetILNS1_3genE4ELNS1_11target_archE910ELNS1_3gpuE8ELNS1_3repE0EEENS1_47radix_sort_onesweep_sort_config_static_selectorELNS0_4arch9wavefront6targetE1EEEvSK_,"axG",@progbits,_ZN7rocprim17ROCPRIM_400000_NS6detail17trampoline_kernelINS0_14default_configENS1_35radix_sort_onesweep_config_selectorIjNS0_10empty_typeEEEZZNS1_29radix_sort_onesweep_iterationIS3_Lb0EN6thrust23THRUST_200600_302600_NS6detail15normal_iteratorINS9_10device_ptrIjEEEESE_PS5_SF_jNS0_19identity_decomposerENS1_16block_id_wrapperIjLb0EEEEE10hipError_tT1_PNSt15iterator_traitsISK_E10value_typeET2_T3_PNSL_ISQ_E10value_typeET4_T5_PSV_SW_PNS1_23onesweep_lookback_stateEbbT6_jjT7_P12ihipStream_tbENKUlT_T0_SK_SP_E_clISE_SE_SF_SF_EEDaS13_S14_SK_SP_EUlS13_E_NS1_11comp_targetILNS1_3genE4ELNS1_11target_archE910ELNS1_3gpuE8ELNS1_3repE0EEENS1_47radix_sort_onesweep_sort_config_static_selectorELNS0_4arch9wavefront6targetE1EEEvSK_,comdat
	.protected	_ZN7rocprim17ROCPRIM_400000_NS6detail17trampoline_kernelINS0_14default_configENS1_35radix_sort_onesweep_config_selectorIjNS0_10empty_typeEEEZZNS1_29radix_sort_onesweep_iterationIS3_Lb0EN6thrust23THRUST_200600_302600_NS6detail15normal_iteratorINS9_10device_ptrIjEEEESE_PS5_SF_jNS0_19identity_decomposerENS1_16block_id_wrapperIjLb0EEEEE10hipError_tT1_PNSt15iterator_traitsISK_E10value_typeET2_T3_PNSL_ISQ_E10value_typeET4_T5_PSV_SW_PNS1_23onesweep_lookback_stateEbbT6_jjT7_P12ihipStream_tbENKUlT_T0_SK_SP_E_clISE_SE_SF_SF_EEDaS13_S14_SK_SP_EUlS13_E_NS1_11comp_targetILNS1_3genE4ELNS1_11target_archE910ELNS1_3gpuE8ELNS1_3repE0EEENS1_47radix_sort_onesweep_sort_config_static_selectorELNS0_4arch9wavefront6targetE1EEEvSK_ ; -- Begin function _ZN7rocprim17ROCPRIM_400000_NS6detail17trampoline_kernelINS0_14default_configENS1_35radix_sort_onesweep_config_selectorIjNS0_10empty_typeEEEZZNS1_29radix_sort_onesweep_iterationIS3_Lb0EN6thrust23THRUST_200600_302600_NS6detail15normal_iteratorINS9_10device_ptrIjEEEESE_PS5_SF_jNS0_19identity_decomposerENS1_16block_id_wrapperIjLb0EEEEE10hipError_tT1_PNSt15iterator_traitsISK_E10value_typeET2_T3_PNSL_ISQ_E10value_typeET4_T5_PSV_SW_PNS1_23onesweep_lookback_stateEbbT6_jjT7_P12ihipStream_tbENKUlT_T0_SK_SP_E_clISE_SE_SF_SF_EEDaS13_S14_SK_SP_EUlS13_E_NS1_11comp_targetILNS1_3genE4ELNS1_11target_archE910ELNS1_3gpuE8ELNS1_3repE0EEENS1_47radix_sort_onesweep_sort_config_static_selectorELNS0_4arch9wavefront6targetE1EEEvSK_
	.globl	_ZN7rocprim17ROCPRIM_400000_NS6detail17trampoline_kernelINS0_14default_configENS1_35radix_sort_onesweep_config_selectorIjNS0_10empty_typeEEEZZNS1_29radix_sort_onesweep_iterationIS3_Lb0EN6thrust23THRUST_200600_302600_NS6detail15normal_iteratorINS9_10device_ptrIjEEEESE_PS5_SF_jNS0_19identity_decomposerENS1_16block_id_wrapperIjLb0EEEEE10hipError_tT1_PNSt15iterator_traitsISK_E10value_typeET2_T3_PNSL_ISQ_E10value_typeET4_T5_PSV_SW_PNS1_23onesweep_lookback_stateEbbT6_jjT7_P12ihipStream_tbENKUlT_T0_SK_SP_E_clISE_SE_SF_SF_EEDaS13_S14_SK_SP_EUlS13_E_NS1_11comp_targetILNS1_3genE4ELNS1_11target_archE910ELNS1_3gpuE8ELNS1_3repE0EEENS1_47radix_sort_onesweep_sort_config_static_selectorELNS0_4arch9wavefront6targetE1EEEvSK_
	.p2align	8
	.type	_ZN7rocprim17ROCPRIM_400000_NS6detail17trampoline_kernelINS0_14default_configENS1_35radix_sort_onesweep_config_selectorIjNS0_10empty_typeEEEZZNS1_29radix_sort_onesweep_iterationIS3_Lb0EN6thrust23THRUST_200600_302600_NS6detail15normal_iteratorINS9_10device_ptrIjEEEESE_PS5_SF_jNS0_19identity_decomposerENS1_16block_id_wrapperIjLb0EEEEE10hipError_tT1_PNSt15iterator_traitsISK_E10value_typeET2_T3_PNSL_ISQ_E10value_typeET4_T5_PSV_SW_PNS1_23onesweep_lookback_stateEbbT6_jjT7_P12ihipStream_tbENKUlT_T0_SK_SP_E_clISE_SE_SF_SF_EEDaS13_S14_SK_SP_EUlS13_E_NS1_11comp_targetILNS1_3genE4ELNS1_11target_archE910ELNS1_3gpuE8ELNS1_3repE0EEENS1_47radix_sort_onesweep_sort_config_static_selectorELNS0_4arch9wavefront6targetE1EEEvSK_,@function
_ZN7rocprim17ROCPRIM_400000_NS6detail17trampoline_kernelINS0_14default_configENS1_35radix_sort_onesweep_config_selectorIjNS0_10empty_typeEEEZZNS1_29radix_sort_onesweep_iterationIS3_Lb0EN6thrust23THRUST_200600_302600_NS6detail15normal_iteratorINS9_10device_ptrIjEEEESE_PS5_SF_jNS0_19identity_decomposerENS1_16block_id_wrapperIjLb0EEEEE10hipError_tT1_PNSt15iterator_traitsISK_E10value_typeET2_T3_PNSL_ISQ_E10value_typeET4_T5_PSV_SW_PNS1_23onesweep_lookback_stateEbbT6_jjT7_P12ihipStream_tbENKUlT_T0_SK_SP_E_clISE_SE_SF_SF_EEDaS13_S14_SK_SP_EUlS13_E_NS1_11comp_targetILNS1_3genE4ELNS1_11target_archE910ELNS1_3gpuE8ELNS1_3repE0EEENS1_47radix_sort_onesweep_sort_config_static_selectorELNS0_4arch9wavefront6targetE1EEEvSK_: ; @_ZN7rocprim17ROCPRIM_400000_NS6detail17trampoline_kernelINS0_14default_configENS1_35radix_sort_onesweep_config_selectorIjNS0_10empty_typeEEEZZNS1_29radix_sort_onesweep_iterationIS3_Lb0EN6thrust23THRUST_200600_302600_NS6detail15normal_iteratorINS9_10device_ptrIjEEEESE_PS5_SF_jNS0_19identity_decomposerENS1_16block_id_wrapperIjLb0EEEEE10hipError_tT1_PNSt15iterator_traitsISK_E10value_typeET2_T3_PNSL_ISQ_E10value_typeET4_T5_PSV_SW_PNS1_23onesweep_lookback_stateEbbT6_jjT7_P12ihipStream_tbENKUlT_T0_SK_SP_E_clISE_SE_SF_SF_EEDaS13_S14_SK_SP_EUlS13_E_NS1_11comp_targetILNS1_3genE4ELNS1_11target_archE910ELNS1_3gpuE8ELNS1_3repE0EEENS1_47radix_sort_onesweep_sort_config_static_selectorELNS0_4arch9wavefront6targetE1EEEvSK_
; %bb.0:
	.section	.rodata,"a",@progbits
	.p2align	6, 0x0
	.amdhsa_kernel _ZN7rocprim17ROCPRIM_400000_NS6detail17trampoline_kernelINS0_14default_configENS1_35radix_sort_onesweep_config_selectorIjNS0_10empty_typeEEEZZNS1_29radix_sort_onesweep_iterationIS3_Lb0EN6thrust23THRUST_200600_302600_NS6detail15normal_iteratorINS9_10device_ptrIjEEEESE_PS5_SF_jNS0_19identity_decomposerENS1_16block_id_wrapperIjLb0EEEEE10hipError_tT1_PNSt15iterator_traitsISK_E10value_typeET2_T3_PNSL_ISQ_E10value_typeET4_T5_PSV_SW_PNS1_23onesweep_lookback_stateEbbT6_jjT7_P12ihipStream_tbENKUlT_T0_SK_SP_E_clISE_SE_SF_SF_EEDaS13_S14_SK_SP_EUlS13_E_NS1_11comp_targetILNS1_3genE4ELNS1_11target_archE910ELNS1_3gpuE8ELNS1_3repE0EEENS1_47radix_sort_onesweep_sort_config_static_selectorELNS0_4arch9wavefront6targetE1EEEvSK_
		.amdhsa_group_segment_fixed_size 0
		.amdhsa_private_segment_fixed_size 0
		.amdhsa_kernarg_size 88
		.amdhsa_user_sgpr_count 2
		.amdhsa_user_sgpr_dispatch_ptr 0
		.amdhsa_user_sgpr_queue_ptr 0
		.amdhsa_user_sgpr_kernarg_segment_ptr 1
		.amdhsa_user_sgpr_dispatch_id 0
		.amdhsa_user_sgpr_kernarg_preload_length 0
		.amdhsa_user_sgpr_kernarg_preload_offset 0
		.amdhsa_user_sgpr_private_segment_size 0
		.amdhsa_uses_dynamic_stack 0
		.amdhsa_enable_private_segment 0
		.amdhsa_system_sgpr_workgroup_id_x 1
		.amdhsa_system_sgpr_workgroup_id_y 0
		.amdhsa_system_sgpr_workgroup_id_z 0
		.amdhsa_system_sgpr_workgroup_info 0
		.amdhsa_system_vgpr_workitem_id 0
		.amdhsa_next_free_vgpr 1
		.amdhsa_next_free_sgpr 0
		.amdhsa_accum_offset 4
		.amdhsa_reserve_vcc 0
		.amdhsa_float_round_mode_32 0
		.amdhsa_float_round_mode_16_64 0
		.amdhsa_float_denorm_mode_32 3
		.amdhsa_float_denorm_mode_16_64 3
		.amdhsa_dx10_clamp 1
		.amdhsa_ieee_mode 1
		.amdhsa_fp16_overflow 0
		.amdhsa_tg_split 0
		.amdhsa_exception_fp_ieee_invalid_op 0
		.amdhsa_exception_fp_denorm_src 0
		.amdhsa_exception_fp_ieee_div_zero 0
		.amdhsa_exception_fp_ieee_overflow 0
		.amdhsa_exception_fp_ieee_underflow 0
		.amdhsa_exception_fp_ieee_inexact 0
		.amdhsa_exception_int_div_zero 0
	.end_amdhsa_kernel
	.section	.text._ZN7rocprim17ROCPRIM_400000_NS6detail17trampoline_kernelINS0_14default_configENS1_35radix_sort_onesweep_config_selectorIjNS0_10empty_typeEEEZZNS1_29radix_sort_onesweep_iterationIS3_Lb0EN6thrust23THRUST_200600_302600_NS6detail15normal_iteratorINS9_10device_ptrIjEEEESE_PS5_SF_jNS0_19identity_decomposerENS1_16block_id_wrapperIjLb0EEEEE10hipError_tT1_PNSt15iterator_traitsISK_E10value_typeET2_T3_PNSL_ISQ_E10value_typeET4_T5_PSV_SW_PNS1_23onesweep_lookback_stateEbbT6_jjT7_P12ihipStream_tbENKUlT_T0_SK_SP_E_clISE_SE_SF_SF_EEDaS13_S14_SK_SP_EUlS13_E_NS1_11comp_targetILNS1_3genE4ELNS1_11target_archE910ELNS1_3gpuE8ELNS1_3repE0EEENS1_47radix_sort_onesweep_sort_config_static_selectorELNS0_4arch9wavefront6targetE1EEEvSK_,"axG",@progbits,_ZN7rocprim17ROCPRIM_400000_NS6detail17trampoline_kernelINS0_14default_configENS1_35radix_sort_onesweep_config_selectorIjNS0_10empty_typeEEEZZNS1_29radix_sort_onesweep_iterationIS3_Lb0EN6thrust23THRUST_200600_302600_NS6detail15normal_iteratorINS9_10device_ptrIjEEEESE_PS5_SF_jNS0_19identity_decomposerENS1_16block_id_wrapperIjLb0EEEEE10hipError_tT1_PNSt15iterator_traitsISK_E10value_typeET2_T3_PNSL_ISQ_E10value_typeET4_T5_PSV_SW_PNS1_23onesweep_lookback_stateEbbT6_jjT7_P12ihipStream_tbENKUlT_T0_SK_SP_E_clISE_SE_SF_SF_EEDaS13_S14_SK_SP_EUlS13_E_NS1_11comp_targetILNS1_3genE4ELNS1_11target_archE910ELNS1_3gpuE8ELNS1_3repE0EEENS1_47radix_sort_onesweep_sort_config_static_selectorELNS0_4arch9wavefront6targetE1EEEvSK_,comdat
.Lfunc_end1132:
	.size	_ZN7rocprim17ROCPRIM_400000_NS6detail17trampoline_kernelINS0_14default_configENS1_35radix_sort_onesweep_config_selectorIjNS0_10empty_typeEEEZZNS1_29radix_sort_onesweep_iterationIS3_Lb0EN6thrust23THRUST_200600_302600_NS6detail15normal_iteratorINS9_10device_ptrIjEEEESE_PS5_SF_jNS0_19identity_decomposerENS1_16block_id_wrapperIjLb0EEEEE10hipError_tT1_PNSt15iterator_traitsISK_E10value_typeET2_T3_PNSL_ISQ_E10value_typeET4_T5_PSV_SW_PNS1_23onesweep_lookback_stateEbbT6_jjT7_P12ihipStream_tbENKUlT_T0_SK_SP_E_clISE_SE_SF_SF_EEDaS13_S14_SK_SP_EUlS13_E_NS1_11comp_targetILNS1_3genE4ELNS1_11target_archE910ELNS1_3gpuE8ELNS1_3repE0EEENS1_47radix_sort_onesweep_sort_config_static_selectorELNS0_4arch9wavefront6targetE1EEEvSK_, .Lfunc_end1132-_ZN7rocprim17ROCPRIM_400000_NS6detail17trampoline_kernelINS0_14default_configENS1_35radix_sort_onesweep_config_selectorIjNS0_10empty_typeEEEZZNS1_29radix_sort_onesweep_iterationIS3_Lb0EN6thrust23THRUST_200600_302600_NS6detail15normal_iteratorINS9_10device_ptrIjEEEESE_PS5_SF_jNS0_19identity_decomposerENS1_16block_id_wrapperIjLb0EEEEE10hipError_tT1_PNSt15iterator_traitsISK_E10value_typeET2_T3_PNSL_ISQ_E10value_typeET4_T5_PSV_SW_PNS1_23onesweep_lookback_stateEbbT6_jjT7_P12ihipStream_tbENKUlT_T0_SK_SP_E_clISE_SE_SF_SF_EEDaS13_S14_SK_SP_EUlS13_E_NS1_11comp_targetILNS1_3genE4ELNS1_11target_archE910ELNS1_3gpuE8ELNS1_3repE0EEENS1_47radix_sort_onesweep_sort_config_static_selectorELNS0_4arch9wavefront6targetE1EEEvSK_
                                        ; -- End function
	.section	.AMDGPU.csdata,"",@progbits
; Kernel info:
; codeLenInByte = 0
; NumSgprs: 6
; NumVgprs: 0
; NumAgprs: 0
; TotalNumVgprs: 0
; ScratchSize: 0
; MemoryBound: 0
; FloatMode: 240
; IeeeMode: 1
; LDSByteSize: 0 bytes/workgroup (compile time only)
; SGPRBlocks: 0
; VGPRBlocks: 0
; NumSGPRsForWavesPerEU: 6
; NumVGPRsForWavesPerEU: 1
; AccumOffset: 4
; Occupancy: 8
; WaveLimiterHint : 0
; COMPUTE_PGM_RSRC2:SCRATCH_EN: 0
; COMPUTE_PGM_RSRC2:USER_SGPR: 2
; COMPUTE_PGM_RSRC2:TRAP_HANDLER: 0
; COMPUTE_PGM_RSRC2:TGID_X_EN: 1
; COMPUTE_PGM_RSRC2:TGID_Y_EN: 0
; COMPUTE_PGM_RSRC2:TGID_Z_EN: 0
; COMPUTE_PGM_RSRC2:TIDIG_COMP_CNT: 0
; COMPUTE_PGM_RSRC3_GFX90A:ACCUM_OFFSET: 0
; COMPUTE_PGM_RSRC3_GFX90A:TG_SPLIT: 0
	.section	.text._ZN7rocprim17ROCPRIM_400000_NS6detail17trampoline_kernelINS0_14default_configENS1_35radix_sort_onesweep_config_selectorIjNS0_10empty_typeEEEZZNS1_29radix_sort_onesweep_iterationIS3_Lb0EN6thrust23THRUST_200600_302600_NS6detail15normal_iteratorINS9_10device_ptrIjEEEESE_PS5_SF_jNS0_19identity_decomposerENS1_16block_id_wrapperIjLb0EEEEE10hipError_tT1_PNSt15iterator_traitsISK_E10value_typeET2_T3_PNSL_ISQ_E10value_typeET4_T5_PSV_SW_PNS1_23onesweep_lookback_stateEbbT6_jjT7_P12ihipStream_tbENKUlT_T0_SK_SP_E_clISE_SE_SF_SF_EEDaS13_S14_SK_SP_EUlS13_E_NS1_11comp_targetILNS1_3genE3ELNS1_11target_archE908ELNS1_3gpuE7ELNS1_3repE0EEENS1_47radix_sort_onesweep_sort_config_static_selectorELNS0_4arch9wavefront6targetE1EEEvSK_,"axG",@progbits,_ZN7rocprim17ROCPRIM_400000_NS6detail17trampoline_kernelINS0_14default_configENS1_35radix_sort_onesweep_config_selectorIjNS0_10empty_typeEEEZZNS1_29radix_sort_onesweep_iterationIS3_Lb0EN6thrust23THRUST_200600_302600_NS6detail15normal_iteratorINS9_10device_ptrIjEEEESE_PS5_SF_jNS0_19identity_decomposerENS1_16block_id_wrapperIjLb0EEEEE10hipError_tT1_PNSt15iterator_traitsISK_E10value_typeET2_T3_PNSL_ISQ_E10value_typeET4_T5_PSV_SW_PNS1_23onesweep_lookback_stateEbbT6_jjT7_P12ihipStream_tbENKUlT_T0_SK_SP_E_clISE_SE_SF_SF_EEDaS13_S14_SK_SP_EUlS13_E_NS1_11comp_targetILNS1_3genE3ELNS1_11target_archE908ELNS1_3gpuE7ELNS1_3repE0EEENS1_47radix_sort_onesweep_sort_config_static_selectorELNS0_4arch9wavefront6targetE1EEEvSK_,comdat
	.protected	_ZN7rocprim17ROCPRIM_400000_NS6detail17trampoline_kernelINS0_14default_configENS1_35radix_sort_onesweep_config_selectorIjNS0_10empty_typeEEEZZNS1_29radix_sort_onesweep_iterationIS3_Lb0EN6thrust23THRUST_200600_302600_NS6detail15normal_iteratorINS9_10device_ptrIjEEEESE_PS5_SF_jNS0_19identity_decomposerENS1_16block_id_wrapperIjLb0EEEEE10hipError_tT1_PNSt15iterator_traitsISK_E10value_typeET2_T3_PNSL_ISQ_E10value_typeET4_T5_PSV_SW_PNS1_23onesweep_lookback_stateEbbT6_jjT7_P12ihipStream_tbENKUlT_T0_SK_SP_E_clISE_SE_SF_SF_EEDaS13_S14_SK_SP_EUlS13_E_NS1_11comp_targetILNS1_3genE3ELNS1_11target_archE908ELNS1_3gpuE7ELNS1_3repE0EEENS1_47radix_sort_onesweep_sort_config_static_selectorELNS0_4arch9wavefront6targetE1EEEvSK_ ; -- Begin function _ZN7rocprim17ROCPRIM_400000_NS6detail17trampoline_kernelINS0_14default_configENS1_35radix_sort_onesweep_config_selectorIjNS0_10empty_typeEEEZZNS1_29radix_sort_onesweep_iterationIS3_Lb0EN6thrust23THRUST_200600_302600_NS6detail15normal_iteratorINS9_10device_ptrIjEEEESE_PS5_SF_jNS0_19identity_decomposerENS1_16block_id_wrapperIjLb0EEEEE10hipError_tT1_PNSt15iterator_traitsISK_E10value_typeET2_T3_PNSL_ISQ_E10value_typeET4_T5_PSV_SW_PNS1_23onesweep_lookback_stateEbbT6_jjT7_P12ihipStream_tbENKUlT_T0_SK_SP_E_clISE_SE_SF_SF_EEDaS13_S14_SK_SP_EUlS13_E_NS1_11comp_targetILNS1_3genE3ELNS1_11target_archE908ELNS1_3gpuE7ELNS1_3repE0EEENS1_47radix_sort_onesweep_sort_config_static_selectorELNS0_4arch9wavefront6targetE1EEEvSK_
	.globl	_ZN7rocprim17ROCPRIM_400000_NS6detail17trampoline_kernelINS0_14default_configENS1_35radix_sort_onesweep_config_selectorIjNS0_10empty_typeEEEZZNS1_29radix_sort_onesweep_iterationIS3_Lb0EN6thrust23THRUST_200600_302600_NS6detail15normal_iteratorINS9_10device_ptrIjEEEESE_PS5_SF_jNS0_19identity_decomposerENS1_16block_id_wrapperIjLb0EEEEE10hipError_tT1_PNSt15iterator_traitsISK_E10value_typeET2_T3_PNSL_ISQ_E10value_typeET4_T5_PSV_SW_PNS1_23onesweep_lookback_stateEbbT6_jjT7_P12ihipStream_tbENKUlT_T0_SK_SP_E_clISE_SE_SF_SF_EEDaS13_S14_SK_SP_EUlS13_E_NS1_11comp_targetILNS1_3genE3ELNS1_11target_archE908ELNS1_3gpuE7ELNS1_3repE0EEENS1_47radix_sort_onesweep_sort_config_static_selectorELNS0_4arch9wavefront6targetE1EEEvSK_
	.p2align	8
	.type	_ZN7rocprim17ROCPRIM_400000_NS6detail17trampoline_kernelINS0_14default_configENS1_35radix_sort_onesweep_config_selectorIjNS0_10empty_typeEEEZZNS1_29radix_sort_onesweep_iterationIS3_Lb0EN6thrust23THRUST_200600_302600_NS6detail15normal_iteratorINS9_10device_ptrIjEEEESE_PS5_SF_jNS0_19identity_decomposerENS1_16block_id_wrapperIjLb0EEEEE10hipError_tT1_PNSt15iterator_traitsISK_E10value_typeET2_T3_PNSL_ISQ_E10value_typeET4_T5_PSV_SW_PNS1_23onesweep_lookback_stateEbbT6_jjT7_P12ihipStream_tbENKUlT_T0_SK_SP_E_clISE_SE_SF_SF_EEDaS13_S14_SK_SP_EUlS13_E_NS1_11comp_targetILNS1_3genE3ELNS1_11target_archE908ELNS1_3gpuE7ELNS1_3repE0EEENS1_47radix_sort_onesweep_sort_config_static_selectorELNS0_4arch9wavefront6targetE1EEEvSK_,@function
_ZN7rocprim17ROCPRIM_400000_NS6detail17trampoline_kernelINS0_14default_configENS1_35radix_sort_onesweep_config_selectorIjNS0_10empty_typeEEEZZNS1_29radix_sort_onesweep_iterationIS3_Lb0EN6thrust23THRUST_200600_302600_NS6detail15normal_iteratorINS9_10device_ptrIjEEEESE_PS5_SF_jNS0_19identity_decomposerENS1_16block_id_wrapperIjLb0EEEEE10hipError_tT1_PNSt15iterator_traitsISK_E10value_typeET2_T3_PNSL_ISQ_E10value_typeET4_T5_PSV_SW_PNS1_23onesweep_lookback_stateEbbT6_jjT7_P12ihipStream_tbENKUlT_T0_SK_SP_E_clISE_SE_SF_SF_EEDaS13_S14_SK_SP_EUlS13_E_NS1_11comp_targetILNS1_3genE3ELNS1_11target_archE908ELNS1_3gpuE7ELNS1_3repE0EEENS1_47radix_sort_onesweep_sort_config_static_selectorELNS0_4arch9wavefront6targetE1EEEvSK_: ; @_ZN7rocprim17ROCPRIM_400000_NS6detail17trampoline_kernelINS0_14default_configENS1_35radix_sort_onesweep_config_selectorIjNS0_10empty_typeEEEZZNS1_29radix_sort_onesweep_iterationIS3_Lb0EN6thrust23THRUST_200600_302600_NS6detail15normal_iteratorINS9_10device_ptrIjEEEESE_PS5_SF_jNS0_19identity_decomposerENS1_16block_id_wrapperIjLb0EEEEE10hipError_tT1_PNSt15iterator_traitsISK_E10value_typeET2_T3_PNSL_ISQ_E10value_typeET4_T5_PSV_SW_PNS1_23onesweep_lookback_stateEbbT6_jjT7_P12ihipStream_tbENKUlT_T0_SK_SP_E_clISE_SE_SF_SF_EEDaS13_S14_SK_SP_EUlS13_E_NS1_11comp_targetILNS1_3genE3ELNS1_11target_archE908ELNS1_3gpuE7ELNS1_3repE0EEENS1_47radix_sort_onesweep_sort_config_static_selectorELNS0_4arch9wavefront6targetE1EEEvSK_
; %bb.0:
	.section	.rodata,"a",@progbits
	.p2align	6, 0x0
	.amdhsa_kernel _ZN7rocprim17ROCPRIM_400000_NS6detail17trampoline_kernelINS0_14default_configENS1_35radix_sort_onesweep_config_selectorIjNS0_10empty_typeEEEZZNS1_29radix_sort_onesweep_iterationIS3_Lb0EN6thrust23THRUST_200600_302600_NS6detail15normal_iteratorINS9_10device_ptrIjEEEESE_PS5_SF_jNS0_19identity_decomposerENS1_16block_id_wrapperIjLb0EEEEE10hipError_tT1_PNSt15iterator_traitsISK_E10value_typeET2_T3_PNSL_ISQ_E10value_typeET4_T5_PSV_SW_PNS1_23onesweep_lookback_stateEbbT6_jjT7_P12ihipStream_tbENKUlT_T0_SK_SP_E_clISE_SE_SF_SF_EEDaS13_S14_SK_SP_EUlS13_E_NS1_11comp_targetILNS1_3genE3ELNS1_11target_archE908ELNS1_3gpuE7ELNS1_3repE0EEENS1_47radix_sort_onesweep_sort_config_static_selectorELNS0_4arch9wavefront6targetE1EEEvSK_
		.amdhsa_group_segment_fixed_size 0
		.amdhsa_private_segment_fixed_size 0
		.amdhsa_kernarg_size 88
		.amdhsa_user_sgpr_count 2
		.amdhsa_user_sgpr_dispatch_ptr 0
		.amdhsa_user_sgpr_queue_ptr 0
		.amdhsa_user_sgpr_kernarg_segment_ptr 1
		.amdhsa_user_sgpr_dispatch_id 0
		.amdhsa_user_sgpr_kernarg_preload_length 0
		.amdhsa_user_sgpr_kernarg_preload_offset 0
		.amdhsa_user_sgpr_private_segment_size 0
		.amdhsa_uses_dynamic_stack 0
		.amdhsa_enable_private_segment 0
		.amdhsa_system_sgpr_workgroup_id_x 1
		.amdhsa_system_sgpr_workgroup_id_y 0
		.amdhsa_system_sgpr_workgroup_id_z 0
		.amdhsa_system_sgpr_workgroup_info 0
		.amdhsa_system_vgpr_workitem_id 0
		.amdhsa_next_free_vgpr 1
		.amdhsa_next_free_sgpr 0
		.amdhsa_accum_offset 4
		.amdhsa_reserve_vcc 0
		.amdhsa_float_round_mode_32 0
		.amdhsa_float_round_mode_16_64 0
		.amdhsa_float_denorm_mode_32 3
		.amdhsa_float_denorm_mode_16_64 3
		.amdhsa_dx10_clamp 1
		.amdhsa_ieee_mode 1
		.amdhsa_fp16_overflow 0
		.amdhsa_tg_split 0
		.amdhsa_exception_fp_ieee_invalid_op 0
		.amdhsa_exception_fp_denorm_src 0
		.amdhsa_exception_fp_ieee_div_zero 0
		.amdhsa_exception_fp_ieee_overflow 0
		.amdhsa_exception_fp_ieee_underflow 0
		.amdhsa_exception_fp_ieee_inexact 0
		.amdhsa_exception_int_div_zero 0
	.end_amdhsa_kernel
	.section	.text._ZN7rocprim17ROCPRIM_400000_NS6detail17trampoline_kernelINS0_14default_configENS1_35radix_sort_onesweep_config_selectorIjNS0_10empty_typeEEEZZNS1_29radix_sort_onesweep_iterationIS3_Lb0EN6thrust23THRUST_200600_302600_NS6detail15normal_iteratorINS9_10device_ptrIjEEEESE_PS5_SF_jNS0_19identity_decomposerENS1_16block_id_wrapperIjLb0EEEEE10hipError_tT1_PNSt15iterator_traitsISK_E10value_typeET2_T3_PNSL_ISQ_E10value_typeET4_T5_PSV_SW_PNS1_23onesweep_lookback_stateEbbT6_jjT7_P12ihipStream_tbENKUlT_T0_SK_SP_E_clISE_SE_SF_SF_EEDaS13_S14_SK_SP_EUlS13_E_NS1_11comp_targetILNS1_3genE3ELNS1_11target_archE908ELNS1_3gpuE7ELNS1_3repE0EEENS1_47radix_sort_onesweep_sort_config_static_selectorELNS0_4arch9wavefront6targetE1EEEvSK_,"axG",@progbits,_ZN7rocprim17ROCPRIM_400000_NS6detail17trampoline_kernelINS0_14default_configENS1_35radix_sort_onesweep_config_selectorIjNS0_10empty_typeEEEZZNS1_29radix_sort_onesweep_iterationIS3_Lb0EN6thrust23THRUST_200600_302600_NS6detail15normal_iteratorINS9_10device_ptrIjEEEESE_PS5_SF_jNS0_19identity_decomposerENS1_16block_id_wrapperIjLb0EEEEE10hipError_tT1_PNSt15iterator_traitsISK_E10value_typeET2_T3_PNSL_ISQ_E10value_typeET4_T5_PSV_SW_PNS1_23onesweep_lookback_stateEbbT6_jjT7_P12ihipStream_tbENKUlT_T0_SK_SP_E_clISE_SE_SF_SF_EEDaS13_S14_SK_SP_EUlS13_E_NS1_11comp_targetILNS1_3genE3ELNS1_11target_archE908ELNS1_3gpuE7ELNS1_3repE0EEENS1_47radix_sort_onesweep_sort_config_static_selectorELNS0_4arch9wavefront6targetE1EEEvSK_,comdat
.Lfunc_end1133:
	.size	_ZN7rocprim17ROCPRIM_400000_NS6detail17trampoline_kernelINS0_14default_configENS1_35radix_sort_onesweep_config_selectorIjNS0_10empty_typeEEEZZNS1_29radix_sort_onesweep_iterationIS3_Lb0EN6thrust23THRUST_200600_302600_NS6detail15normal_iteratorINS9_10device_ptrIjEEEESE_PS5_SF_jNS0_19identity_decomposerENS1_16block_id_wrapperIjLb0EEEEE10hipError_tT1_PNSt15iterator_traitsISK_E10value_typeET2_T3_PNSL_ISQ_E10value_typeET4_T5_PSV_SW_PNS1_23onesweep_lookback_stateEbbT6_jjT7_P12ihipStream_tbENKUlT_T0_SK_SP_E_clISE_SE_SF_SF_EEDaS13_S14_SK_SP_EUlS13_E_NS1_11comp_targetILNS1_3genE3ELNS1_11target_archE908ELNS1_3gpuE7ELNS1_3repE0EEENS1_47radix_sort_onesweep_sort_config_static_selectorELNS0_4arch9wavefront6targetE1EEEvSK_, .Lfunc_end1133-_ZN7rocprim17ROCPRIM_400000_NS6detail17trampoline_kernelINS0_14default_configENS1_35radix_sort_onesweep_config_selectorIjNS0_10empty_typeEEEZZNS1_29radix_sort_onesweep_iterationIS3_Lb0EN6thrust23THRUST_200600_302600_NS6detail15normal_iteratorINS9_10device_ptrIjEEEESE_PS5_SF_jNS0_19identity_decomposerENS1_16block_id_wrapperIjLb0EEEEE10hipError_tT1_PNSt15iterator_traitsISK_E10value_typeET2_T3_PNSL_ISQ_E10value_typeET4_T5_PSV_SW_PNS1_23onesweep_lookback_stateEbbT6_jjT7_P12ihipStream_tbENKUlT_T0_SK_SP_E_clISE_SE_SF_SF_EEDaS13_S14_SK_SP_EUlS13_E_NS1_11comp_targetILNS1_3genE3ELNS1_11target_archE908ELNS1_3gpuE7ELNS1_3repE0EEENS1_47radix_sort_onesweep_sort_config_static_selectorELNS0_4arch9wavefront6targetE1EEEvSK_
                                        ; -- End function
	.section	.AMDGPU.csdata,"",@progbits
; Kernel info:
; codeLenInByte = 0
; NumSgprs: 6
; NumVgprs: 0
; NumAgprs: 0
; TotalNumVgprs: 0
; ScratchSize: 0
; MemoryBound: 0
; FloatMode: 240
; IeeeMode: 1
; LDSByteSize: 0 bytes/workgroup (compile time only)
; SGPRBlocks: 0
; VGPRBlocks: 0
; NumSGPRsForWavesPerEU: 6
; NumVGPRsForWavesPerEU: 1
; AccumOffset: 4
; Occupancy: 8
; WaveLimiterHint : 0
; COMPUTE_PGM_RSRC2:SCRATCH_EN: 0
; COMPUTE_PGM_RSRC2:USER_SGPR: 2
; COMPUTE_PGM_RSRC2:TRAP_HANDLER: 0
; COMPUTE_PGM_RSRC2:TGID_X_EN: 1
; COMPUTE_PGM_RSRC2:TGID_Y_EN: 0
; COMPUTE_PGM_RSRC2:TGID_Z_EN: 0
; COMPUTE_PGM_RSRC2:TIDIG_COMP_CNT: 0
; COMPUTE_PGM_RSRC3_GFX90A:ACCUM_OFFSET: 0
; COMPUTE_PGM_RSRC3_GFX90A:TG_SPLIT: 0
	.section	.text._ZN7rocprim17ROCPRIM_400000_NS6detail17trampoline_kernelINS0_14default_configENS1_35radix_sort_onesweep_config_selectorIjNS0_10empty_typeEEEZZNS1_29radix_sort_onesweep_iterationIS3_Lb0EN6thrust23THRUST_200600_302600_NS6detail15normal_iteratorINS9_10device_ptrIjEEEESE_PS5_SF_jNS0_19identity_decomposerENS1_16block_id_wrapperIjLb0EEEEE10hipError_tT1_PNSt15iterator_traitsISK_E10value_typeET2_T3_PNSL_ISQ_E10value_typeET4_T5_PSV_SW_PNS1_23onesweep_lookback_stateEbbT6_jjT7_P12ihipStream_tbENKUlT_T0_SK_SP_E_clISE_SE_SF_SF_EEDaS13_S14_SK_SP_EUlS13_E_NS1_11comp_targetILNS1_3genE10ELNS1_11target_archE1201ELNS1_3gpuE5ELNS1_3repE0EEENS1_47radix_sort_onesweep_sort_config_static_selectorELNS0_4arch9wavefront6targetE1EEEvSK_,"axG",@progbits,_ZN7rocprim17ROCPRIM_400000_NS6detail17trampoline_kernelINS0_14default_configENS1_35radix_sort_onesweep_config_selectorIjNS0_10empty_typeEEEZZNS1_29radix_sort_onesweep_iterationIS3_Lb0EN6thrust23THRUST_200600_302600_NS6detail15normal_iteratorINS9_10device_ptrIjEEEESE_PS5_SF_jNS0_19identity_decomposerENS1_16block_id_wrapperIjLb0EEEEE10hipError_tT1_PNSt15iterator_traitsISK_E10value_typeET2_T3_PNSL_ISQ_E10value_typeET4_T5_PSV_SW_PNS1_23onesweep_lookback_stateEbbT6_jjT7_P12ihipStream_tbENKUlT_T0_SK_SP_E_clISE_SE_SF_SF_EEDaS13_S14_SK_SP_EUlS13_E_NS1_11comp_targetILNS1_3genE10ELNS1_11target_archE1201ELNS1_3gpuE5ELNS1_3repE0EEENS1_47radix_sort_onesweep_sort_config_static_selectorELNS0_4arch9wavefront6targetE1EEEvSK_,comdat
	.protected	_ZN7rocprim17ROCPRIM_400000_NS6detail17trampoline_kernelINS0_14default_configENS1_35radix_sort_onesweep_config_selectorIjNS0_10empty_typeEEEZZNS1_29radix_sort_onesweep_iterationIS3_Lb0EN6thrust23THRUST_200600_302600_NS6detail15normal_iteratorINS9_10device_ptrIjEEEESE_PS5_SF_jNS0_19identity_decomposerENS1_16block_id_wrapperIjLb0EEEEE10hipError_tT1_PNSt15iterator_traitsISK_E10value_typeET2_T3_PNSL_ISQ_E10value_typeET4_T5_PSV_SW_PNS1_23onesweep_lookback_stateEbbT6_jjT7_P12ihipStream_tbENKUlT_T0_SK_SP_E_clISE_SE_SF_SF_EEDaS13_S14_SK_SP_EUlS13_E_NS1_11comp_targetILNS1_3genE10ELNS1_11target_archE1201ELNS1_3gpuE5ELNS1_3repE0EEENS1_47radix_sort_onesweep_sort_config_static_selectorELNS0_4arch9wavefront6targetE1EEEvSK_ ; -- Begin function _ZN7rocprim17ROCPRIM_400000_NS6detail17trampoline_kernelINS0_14default_configENS1_35radix_sort_onesweep_config_selectorIjNS0_10empty_typeEEEZZNS1_29radix_sort_onesweep_iterationIS3_Lb0EN6thrust23THRUST_200600_302600_NS6detail15normal_iteratorINS9_10device_ptrIjEEEESE_PS5_SF_jNS0_19identity_decomposerENS1_16block_id_wrapperIjLb0EEEEE10hipError_tT1_PNSt15iterator_traitsISK_E10value_typeET2_T3_PNSL_ISQ_E10value_typeET4_T5_PSV_SW_PNS1_23onesweep_lookback_stateEbbT6_jjT7_P12ihipStream_tbENKUlT_T0_SK_SP_E_clISE_SE_SF_SF_EEDaS13_S14_SK_SP_EUlS13_E_NS1_11comp_targetILNS1_3genE10ELNS1_11target_archE1201ELNS1_3gpuE5ELNS1_3repE0EEENS1_47radix_sort_onesweep_sort_config_static_selectorELNS0_4arch9wavefront6targetE1EEEvSK_
	.globl	_ZN7rocprim17ROCPRIM_400000_NS6detail17trampoline_kernelINS0_14default_configENS1_35radix_sort_onesweep_config_selectorIjNS0_10empty_typeEEEZZNS1_29radix_sort_onesweep_iterationIS3_Lb0EN6thrust23THRUST_200600_302600_NS6detail15normal_iteratorINS9_10device_ptrIjEEEESE_PS5_SF_jNS0_19identity_decomposerENS1_16block_id_wrapperIjLb0EEEEE10hipError_tT1_PNSt15iterator_traitsISK_E10value_typeET2_T3_PNSL_ISQ_E10value_typeET4_T5_PSV_SW_PNS1_23onesweep_lookback_stateEbbT6_jjT7_P12ihipStream_tbENKUlT_T0_SK_SP_E_clISE_SE_SF_SF_EEDaS13_S14_SK_SP_EUlS13_E_NS1_11comp_targetILNS1_3genE10ELNS1_11target_archE1201ELNS1_3gpuE5ELNS1_3repE0EEENS1_47radix_sort_onesweep_sort_config_static_selectorELNS0_4arch9wavefront6targetE1EEEvSK_
	.p2align	8
	.type	_ZN7rocprim17ROCPRIM_400000_NS6detail17trampoline_kernelINS0_14default_configENS1_35radix_sort_onesweep_config_selectorIjNS0_10empty_typeEEEZZNS1_29radix_sort_onesweep_iterationIS3_Lb0EN6thrust23THRUST_200600_302600_NS6detail15normal_iteratorINS9_10device_ptrIjEEEESE_PS5_SF_jNS0_19identity_decomposerENS1_16block_id_wrapperIjLb0EEEEE10hipError_tT1_PNSt15iterator_traitsISK_E10value_typeET2_T3_PNSL_ISQ_E10value_typeET4_T5_PSV_SW_PNS1_23onesweep_lookback_stateEbbT6_jjT7_P12ihipStream_tbENKUlT_T0_SK_SP_E_clISE_SE_SF_SF_EEDaS13_S14_SK_SP_EUlS13_E_NS1_11comp_targetILNS1_3genE10ELNS1_11target_archE1201ELNS1_3gpuE5ELNS1_3repE0EEENS1_47radix_sort_onesweep_sort_config_static_selectorELNS0_4arch9wavefront6targetE1EEEvSK_,@function
_ZN7rocprim17ROCPRIM_400000_NS6detail17trampoline_kernelINS0_14default_configENS1_35radix_sort_onesweep_config_selectorIjNS0_10empty_typeEEEZZNS1_29radix_sort_onesweep_iterationIS3_Lb0EN6thrust23THRUST_200600_302600_NS6detail15normal_iteratorINS9_10device_ptrIjEEEESE_PS5_SF_jNS0_19identity_decomposerENS1_16block_id_wrapperIjLb0EEEEE10hipError_tT1_PNSt15iterator_traitsISK_E10value_typeET2_T3_PNSL_ISQ_E10value_typeET4_T5_PSV_SW_PNS1_23onesweep_lookback_stateEbbT6_jjT7_P12ihipStream_tbENKUlT_T0_SK_SP_E_clISE_SE_SF_SF_EEDaS13_S14_SK_SP_EUlS13_E_NS1_11comp_targetILNS1_3genE10ELNS1_11target_archE1201ELNS1_3gpuE5ELNS1_3repE0EEENS1_47radix_sort_onesweep_sort_config_static_selectorELNS0_4arch9wavefront6targetE1EEEvSK_: ; @_ZN7rocprim17ROCPRIM_400000_NS6detail17trampoline_kernelINS0_14default_configENS1_35radix_sort_onesweep_config_selectorIjNS0_10empty_typeEEEZZNS1_29radix_sort_onesweep_iterationIS3_Lb0EN6thrust23THRUST_200600_302600_NS6detail15normal_iteratorINS9_10device_ptrIjEEEESE_PS5_SF_jNS0_19identity_decomposerENS1_16block_id_wrapperIjLb0EEEEE10hipError_tT1_PNSt15iterator_traitsISK_E10value_typeET2_T3_PNSL_ISQ_E10value_typeET4_T5_PSV_SW_PNS1_23onesweep_lookback_stateEbbT6_jjT7_P12ihipStream_tbENKUlT_T0_SK_SP_E_clISE_SE_SF_SF_EEDaS13_S14_SK_SP_EUlS13_E_NS1_11comp_targetILNS1_3genE10ELNS1_11target_archE1201ELNS1_3gpuE5ELNS1_3repE0EEENS1_47radix_sort_onesweep_sort_config_static_selectorELNS0_4arch9wavefront6targetE1EEEvSK_
; %bb.0:
	.section	.rodata,"a",@progbits
	.p2align	6, 0x0
	.amdhsa_kernel _ZN7rocprim17ROCPRIM_400000_NS6detail17trampoline_kernelINS0_14default_configENS1_35radix_sort_onesweep_config_selectorIjNS0_10empty_typeEEEZZNS1_29radix_sort_onesweep_iterationIS3_Lb0EN6thrust23THRUST_200600_302600_NS6detail15normal_iteratorINS9_10device_ptrIjEEEESE_PS5_SF_jNS0_19identity_decomposerENS1_16block_id_wrapperIjLb0EEEEE10hipError_tT1_PNSt15iterator_traitsISK_E10value_typeET2_T3_PNSL_ISQ_E10value_typeET4_T5_PSV_SW_PNS1_23onesweep_lookback_stateEbbT6_jjT7_P12ihipStream_tbENKUlT_T0_SK_SP_E_clISE_SE_SF_SF_EEDaS13_S14_SK_SP_EUlS13_E_NS1_11comp_targetILNS1_3genE10ELNS1_11target_archE1201ELNS1_3gpuE5ELNS1_3repE0EEENS1_47radix_sort_onesweep_sort_config_static_selectorELNS0_4arch9wavefront6targetE1EEEvSK_
		.amdhsa_group_segment_fixed_size 0
		.amdhsa_private_segment_fixed_size 0
		.amdhsa_kernarg_size 88
		.amdhsa_user_sgpr_count 2
		.amdhsa_user_sgpr_dispatch_ptr 0
		.amdhsa_user_sgpr_queue_ptr 0
		.amdhsa_user_sgpr_kernarg_segment_ptr 1
		.amdhsa_user_sgpr_dispatch_id 0
		.amdhsa_user_sgpr_kernarg_preload_length 0
		.amdhsa_user_sgpr_kernarg_preload_offset 0
		.amdhsa_user_sgpr_private_segment_size 0
		.amdhsa_uses_dynamic_stack 0
		.amdhsa_enable_private_segment 0
		.amdhsa_system_sgpr_workgroup_id_x 1
		.amdhsa_system_sgpr_workgroup_id_y 0
		.amdhsa_system_sgpr_workgroup_id_z 0
		.amdhsa_system_sgpr_workgroup_info 0
		.amdhsa_system_vgpr_workitem_id 0
		.amdhsa_next_free_vgpr 1
		.amdhsa_next_free_sgpr 0
		.amdhsa_accum_offset 4
		.amdhsa_reserve_vcc 0
		.amdhsa_float_round_mode_32 0
		.amdhsa_float_round_mode_16_64 0
		.amdhsa_float_denorm_mode_32 3
		.amdhsa_float_denorm_mode_16_64 3
		.amdhsa_dx10_clamp 1
		.amdhsa_ieee_mode 1
		.amdhsa_fp16_overflow 0
		.amdhsa_tg_split 0
		.amdhsa_exception_fp_ieee_invalid_op 0
		.amdhsa_exception_fp_denorm_src 0
		.amdhsa_exception_fp_ieee_div_zero 0
		.amdhsa_exception_fp_ieee_overflow 0
		.amdhsa_exception_fp_ieee_underflow 0
		.amdhsa_exception_fp_ieee_inexact 0
		.amdhsa_exception_int_div_zero 0
	.end_amdhsa_kernel
	.section	.text._ZN7rocprim17ROCPRIM_400000_NS6detail17trampoline_kernelINS0_14default_configENS1_35radix_sort_onesweep_config_selectorIjNS0_10empty_typeEEEZZNS1_29radix_sort_onesweep_iterationIS3_Lb0EN6thrust23THRUST_200600_302600_NS6detail15normal_iteratorINS9_10device_ptrIjEEEESE_PS5_SF_jNS0_19identity_decomposerENS1_16block_id_wrapperIjLb0EEEEE10hipError_tT1_PNSt15iterator_traitsISK_E10value_typeET2_T3_PNSL_ISQ_E10value_typeET4_T5_PSV_SW_PNS1_23onesweep_lookback_stateEbbT6_jjT7_P12ihipStream_tbENKUlT_T0_SK_SP_E_clISE_SE_SF_SF_EEDaS13_S14_SK_SP_EUlS13_E_NS1_11comp_targetILNS1_3genE10ELNS1_11target_archE1201ELNS1_3gpuE5ELNS1_3repE0EEENS1_47radix_sort_onesweep_sort_config_static_selectorELNS0_4arch9wavefront6targetE1EEEvSK_,"axG",@progbits,_ZN7rocprim17ROCPRIM_400000_NS6detail17trampoline_kernelINS0_14default_configENS1_35radix_sort_onesweep_config_selectorIjNS0_10empty_typeEEEZZNS1_29radix_sort_onesweep_iterationIS3_Lb0EN6thrust23THRUST_200600_302600_NS6detail15normal_iteratorINS9_10device_ptrIjEEEESE_PS5_SF_jNS0_19identity_decomposerENS1_16block_id_wrapperIjLb0EEEEE10hipError_tT1_PNSt15iterator_traitsISK_E10value_typeET2_T3_PNSL_ISQ_E10value_typeET4_T5_PSV_SW_PNS1_23onesweep_lookback_stateEbbT6_jjT7_P12ihipStream_tbENKUlT_T0_SK_SP_E_clISE_SE_SF_SF_EEDaS13_S14_SK_SP_EUlS13_E_NS1_11comp_targetILNS1_3genE10ELNS1_11target_archE1201ELNS1_3gpuE5ELNS1_3repE0EEENS1_47radix_sort_onesweep_sort_config_static_selectorELNS0_4arch9wavefront6targetE1EEEvSK_,comdat
.Lfunc_end1134:
	.size	_ZN7rocprim17ROCPRIM_400000_NS6detail17trampoline_kernelINS0_14default_configENS1_35radix_sort_onesweep_config_selectorIjNS0_10empty_typeEEEZZNS1_29radix_sort_onesweep_iterationIS3_Lb0EN6thrust23THRUST_200600_302600_NS6detail15normal_iteratorINS9_10device_ptrIjEEEESE_PS5_SF_jNS0_19identity_decomposerENS1_16block_id_wrapperIjLb0EEEEE10hipError_tT1_PNSt15iterator_traitsISK_E10value_typeET2_T3_PNSL_ISQ_E10value_typeET4_T5_PSV_SW_PNS1_23onesweep_lookback_stateEbbT6_jjT7_P12ihipStream_tbENKUlT_T0_SK_SP_E_clISE_SE_SF_SF_EEDaS13_S14_SK_SP_EUlS13_E_NS1_11comp_targetILNS1_3genE10ELNS1_11target_archE1201ELNS1_3gpuE5ELNS1_3repE0EEENS1_47radix_sort_onesweep_sort_config_static_selectorELNS0_4arch9wavefront6targetE1EEEvSK_, .Lfunc_end1134-_ZN7rocprim17ROCPRIM_400000_NS6detail17trampoline_kernelINS0_14default_configENS1_35radix_sort_onesweep_config_selectorIjNS0_10empty_typeEEEZZNS1_29radix_sort_onesweep_iterationIS3_Lb0EN6thrust23THRUST_200600_302600_NS6detail15normal_iteratorINS9_10device_ptrIjEEEESE_PS5_SF_jNS0_19identity_decomposerENS1_16block_id_wrapperIjLb0EEEEE10hipError_tT1_PNSt15iterator_traitsISK_E10value_typeET2_T3_PNSL_ISQ_E10value_typeET4_T5_PSV_SW_PNS1_23onesweep_lookback_stateEbbT6_jjT7_P12ihipStream_tbENKUlT_T0_SK_SP_E_clISE_SE_SF_SF_EEDaS13_S14_SK_SP_EUlS13_E_NS1_11comp_targetILNS1_3genE10ELNS1_11target_archE1201ELNS1_3gpuE5ELNS1_3repE0EEENS1_47radix_sort_onesweep_sort_config_static_selectorELNS0_4arch9wavefront6targetE1EEEvSK_
                                        ; -- End function
	.section	.AMDGPU.csdata,"",@progbits
; Kernel info:
; codeLenInByte = 0
; NumSgprs: 6
; NumVgprs: 0
; NumAgprs: 0
; TotalNumVgprs: 0
; ScratchSize: 0
; MemoryBound: 0
; FloatMode: 240
; IeeeMode: 1
; LDSByteSize: 0 bytes/workgroup (compile time only)
; SGPRBlocks: 0
; VGPRBlocks: 0
; NumSGPRsForWavesPerEU: 6
; NumVGPRsForWavesPerEU: 1
; AccumOffset: 4
; Occupancy: 8
; WaveLimiterHint : 0
; COMPUTE_PGM_RSRC2:SCRATCH_EN: 0
; COMPUTE_PGM_RSRC2:USER_SGPR: 2
; COMPUTE_PGM_RSRC2:TRAP_HANDLER: 0
; COMPUTE_PGM_RSRC2:TGID_X_EN: 1
; COMPUTE_PGM_RSRC2:TGID_Y_EN: 0
; COMPUTE_PGM_RSRC2:TGID_Z_EN: 0
; COMPUTE_PGM_RSRC2:TIDIG_COMP_CNT: 0
; COMPUTE_PGM_RSRC3_GFX90A:ACCUM_OFFSET: 0
; COMPUTE_PGM_RSRC3_GFX90A:TG_SPLIT: 0
	.section	.text._ZN7rocprim17ROCPRIM_400000_NS6detail17trampoline_kernelINS0_14default_configENS1_35radix_sort_onesweep_config_selectorIjNS0_10empty_typeEEEZZNS1_29radix_sort_onesweep_iterationIS3_Lb0EN6thrust23THRUST_200600_302600_NS6detail15normal_iteratorINS9_10device_ptrIjEEEESE_PS5_SF_jNS0_19identity_decomposerENS1_16block_id_wrapperIjLb0EEEEE10hipError_tT1_PNSt15iterator_traitsISK_E10value_typeET2_T3_PNSL_ISQ_E10value_typeET4_T5_PSV_SW_PNS1_23onesweep_lookback_stateEbbT6_jjT7_P12ihipStream_tbENKUlT_T0_SK_SP_E_clISE_SE_SF_SF_EEDaS13_S14_SK_SP_EUlS13_E_NS1_11comp_targetILNS1_3genE9ELNS1_11target_archE1100ELNS1_3gpuE3ELNS1_3repE0EEENS1_47radix_sort_onesweep_sort_config_static_selectorELNS0_4arch9wavefront6targetE1EEEvSK_,"axG",@progbits,_ZN7rocprim17ROCPRIM_400000_NS6detail17trampoline_kernelINS0_14default_configENS1_35radix_sort_onesweep_config_selectorIjNS0_10empty_typeEEEZZNS1_29radix_sort_onesweep_iterationIS3_Lb0EN6thrust23THRUST_200600_302600_NS6detail15normal_iteratorINS9_10device_ptrIjEEEESE_PS5_SF_jNS0_19identity_decomposerENS1_16block_id_wrapperIjLb0EEEEE10hipError_tT1_PNSt15iterator_traitsISK_E10value_typeET2_T3_PNSL_ISQ_E10value_typeET4_T5_PSV_SW_PNS1_23onesweep_lookback_stateEbbT6_jjT7_P12ihipStream_tbENKUlT_T0_SK_SP_E_clISE_SE_SF_SF_EEDaS13_S14_SK_SP_EUlS13_E_NS1_11comp_targetILNS1_3genE9ELNS1_11target_archE1100ELNS1_3gpuE3ELNS1_3repE0EEENS1_47radix_sort_onesweep_sort_config_static_selectorELNS0_4arch9wavefront6targetE1EEEvSK_,comdat
	.protected	_ZN7rocprim17ROCPRIM_400000_NS6detail17trampoline_kernelINS0_14default_configENS1_35radix_sort_onesweep_config_selectorIjNS0_10empty_typeEEEZZNS1_29radix_sort_onesweep_iterationIS3_Lb0EN6thrust23THRUST_200600_302600_NS6detail15normal_iteratorINS9_10device_ptrIjEEEESE_PS5_SF_jNS0_19identity_decomposerENS1_16block_id_wrapperIjLb0EEEEE10hipError_tT1_PNSt15iterator_traitsISK_E10value_typeET2_T3_PNSL_ISQ_E10value_typeET4_T5_PSV_SW_PNS1_23onesweep_lookback_stateEbbT6_jjT7_P12ihipStream_tbENKUlT_T0_SK_SP_E_clISE_SE_SF_SF_EEDaS13_S14_SK_SP_EUlS13_E_NS1_11comp_targetILNS1_3genE9ELNS1_11target_archE1100ELNS1_3gpuE3ELNS1_3repE0EEENS1_47radix_sort_onesweep_sort_config_static_selectorELNS0_4arch9wavefront6targetE1EEEvSK_ ; -- Begin function _ZN7rocprim17ROCPRIM_400000_NS6detail17trampoline_kernelINS0_14default_configENS1_35radix_sort_onesweep_config_selectorIjNS0_10empty_typeEEEZZNS1_29radix_sort_onesweep_iterationIS3_Lb0EN6thrust23THRUST_200600_302600_NS6detail15normal_iteratorINS9_10device_ptrIjEEEESE_PS5_SF_jNS0_19identity_decomposerENS1_16block_id_wrapperIjLb0EEEEE10hipError_tT1_PNSt15iterator_traitsISK_E10value_typeET2_T3_PNSL_ISQ_E10value_typeET4_T5_PSV_SW_PNS1_23onesweep_lookback_stateEbbT6_jjT7_P12ihipStream_tbENKUlT_T0_SK_SP_E_clISE_SE_SF_SF_EEDaS13_S14_SK_SP_EUlS13_E_NS1_11comp_targetILNS1_3genE9ELNS1_11target_archE1100ELNS1_3gpuE3ELNS1_3repE0EEENS1_47radix_sort_onesweep_sort_config_static_selectorELNS0_4arch9wavefront6targetE1EEEvSK_
	.globl	_ZN7rocprim17ROCPRIM_400000_NS6detail17trampoline_kernelINS0_14default_configENS1_35radix_sort_onesweep_config_selectorIjNS0_10empty_typeEEEZZNS1_29radix_sort_onesweep_iterationIS3_Lb0EN6thrust23THRUST_200600_302600_NS6detail15normal_iteratorINS9_10device_ptrIjEEEESE_PS5_SF_jNS0_19identity_decomposerENS1_16block_id_wrapperIjLb0EEEEE10hipError_tT1_PNSt15iterator_traitsISK_E10value_typeET2_T3_PNSL_ISQ_E10value_typeET4_T5_PSV_SW_PNS1_23onesweep_lookback_stateEbbT6_jjT7_P12ihipStream_tbENKUlT_T0_SK_SP_E_clISE_SE_SF_SF_EEDaS13_S14_SK_SP_EUlS13_E_NS1_11comp_targetILNS1_3genE9ELNS1_11target_archE1100ELNS1_3gpuE3ELNS1_3repE0EEENS1_47radix_sort_onesweep_sort_config_static_selectorELNS0_4arch9wavefront6targetE1EEEvSK_
	.p2align	8
	.type	_ZN7rocprim17ROCPRIM_400000_NS6detail17trampoline_kernelINS0_14default_configENS1_35radix_sort_onesweep_config_selectorIjNS0_10empty_typeEEEZZNS1_29radix_sort_onesweep_iterationIS3_Lb0EN6thrust23THRUST_200600_302600_NS6detail15normal_iteratorINS9_10device_ptrIjEEEESE_PS5_SF_jNS0_19identity_decomposerENS1_16block_id_wrapperIjLb0EEEEE10hipError_tT1_PNSt15iterator_traitsISK_E10value_typeET2_T3_PNSL_ISQ_E10value_typeET4_T5_PSV_SW_PNS1_23onesweep_lookback_stateEbbT6_jjT7_P12ihipStream_tbENKUlT_T0_SK_SP_E_clISE_SE_SF_SF_EEDaS13_S14_SK_SP_EUlS13_E_NS1_11comp_targetILNS1_3genE9ELNS1_11target_archE1100ELNS1_3gpuE3ELNS1_3repE0EEENS1_47radix_sort_onesweep_sort_config_static_selectorELNS0_4arch9wavefront6targetE1EEEvSK_,@function
_ZN7rocprim17ROCPRIM_400000_NS6detail17trampoline_kernelINS0_14default_configENS1_35radix_sort_onesweep_config_selectorIjNS0_10empty_typeEEEZZNS1_29radix_sort_onesweep_iterationIS3_Lb0EN6thrust23THRUST_200600_302600_NS6detail15normal_iteratorINS9_10device_ptrIjEEEESE_PS5_SF_jNS0_19identity_decomposerENS1_16block_id_wrapperIjLb0EEEEE10hipError_tT1_PNSt15iterator_traitsISK_E10value_typeET2_T3_PNSL_ISQ_E10value_typeET4_T5_PSV_SW_PNS1_23onesweep_lookback_stateEbbT6_jjT7_P12ihipStream_tbENKUlT_T0_SK_SP_E_clISE_SE_SF_SF_EEDaS13_S14_SK_SP_EUlS13_E_NS1_11comp_targetILNS1_3genE9ELNS1_11target_archE1100ELNS1_3gpuE3ELNS1_3repE0EEENS1_47radix_sort_onesweep_sort_config_static_selectorELNS0_4arch9wavefront6targetE1EEEvSK_: ; @_ZN7rocprim17ROCPRIM_400000_NS6detail17trampoline_kernelINS0_14default_configENS1_35radix_sort_onesweep_config_selectorIjNS0_10empty_typeEEEZZNS1_29radix_sort_onesweep_iterationIS3_Lb0EN6thrust23THRUST_200600_302600_NS6detail15normal_iteratorINS9_10device_ptrIjEEEESE_PS5_SF_jNS0_19identity_decomposerENS1_16block_id_wrapperIjLb0EEEEE10hipError_tT1_PNSt15iterator_traitsISK_E10value_typeET2_T3_PNSL_ISQ_E10value_typeET4_T5_PSV_SW_PNS1_23onesweep_lookback_stateEbbT6_jjT7_P12ihipStream_tbENKUlT_T0_SK_SP_E_clISE_SE_SF_SF_EEDaS13_S14_SK_SP_EUlS13_E_NS1_11comp_targetILNS1_3genE9ELNS1_11target_archE1100ELNS1_3gpuE3ELNS1_3repE0EEENS1_47radix_sort_onesweep_sort_config_static_selectorELNS0_4arch9wavefront6targetE1EEEvSK_
; %bb.0:
	.section	.rodata,"a",@progbits
	.p2align	6, 0x0
	.amdhsa_kernel _ZN7rocprim17ROCPRIM_400000_NS6detail17trampoline_kernelINS0_14default_configENS1_35radix_sort_onesweep_config_selectorIjNS0_10empty_typeEEEZZNS1_29radix_sort_onesweep_iterationIS3_Lb0EN6thrust23THRUST_200600_302600_NS6detail15normal_iteratorINS9_10device_ptrIjEEEESE_PS5_SF_jNS0_19identity_decomposerENS1_16block_id_wrapperIjLb0EEEEE10hipError_tT1_PNSt15iterator_traitsISK_E10value_typeET2_T3_PNSL_ISQ_E10value_typeET4_T5_PSV_SW_PNS1_23onesweep_lookback_stateEbbT6_jjT7_P12ihipStream_tbENKUlT_T0_SK_SP_E_clISE_SE_SF_SF_EEDaS13_S14_SK_SP_EUlS13_E_NS1_11comp_targetILNS1_3genE9ELNS1_11target_archE1100ELNS1_3gpuE3ELNS1_3repE0EEENS1_47radix_sort_onesweep_sort_config_static_selectorELNS0_4arch9wavefront6targetE1EEEvSK_
		.amdhsa_group_segment_fixed_size 0
		.amdhsa_private_segment_fixed_size 0
		.amdhsa_kernarg_size 88
		.amdhsa_user_sgpr_count 2
		.amdhsa_user_sgpr_dispatch_ptr 0
		.amdhsa_user_sgpr_queue_ptr 0
		.amdhsa_user_sgpr_kernarg_segment_ptr 1
		.amdhsa_user_sgpr_dispatch_id 0
		.amdhsa_user_sgpr_kernarg_preload_length 0
		.amdhsa_user_sgpr_kernarg_preload_offset 0
		.amdhsa_user_sgpr_private_segment_size 0
		.amdhsa_uses_dynamic_stack 0
		.amdhsa_enable_private_segment 0
		.amdhsa_system_sgpr_workgroup_id_x 1
		.amdhsa_system_sgpr_workgroup_id_y 0
		.amdhsa_system_sgpr_workgroup_id_z 0
		.amdhsa_system_sgpr_workgroup_info 0
		.amdhsa_system_vgpr_workitem_id 0
		.amdhsa_next_free_vgpr 1
		.amdhsa_next_free_sgpr 0
		.amdhsa_accum_offset 4
		.amdhsa_reserve_vcc 0
		.amdhsa_float_round_mode_32 0
		.amdhsa_float_round_mode_16_64 0
		.amdhsa_float_denorm_mode_32 3
		.amdhsa_float_denorm_mode_16_64 3
		.amdhsa_dx10_clamp 1
		.amdhsa_ieee_mode 1
		.amdhsa_fp16_overflow 0
		.amdhsa_tg_split 0
		.amdhsa_exception_fp_ieee_invalid_op 0
		.amdhsa_exception_fp_denorm_src 0
		.amdhsa_exception_fp_ieee_div_zero 0
		.amdhsa_exception_fp_ieee_overflow 0
		.amdhsa_exception_fp_ieee_underflow 0
		.amdhsa_exception_fp_ieee_inexact 0
		.amdhsa_exception_int_div_zero 0
	.end_amdhsa_kernel
	.section	.text._ZN7rocprim17ROCPRIM_400000_NS6detail17trampoline_kernelINS0_14default_configENS1_35radix_sort_onesweep_config_selectorIjNS0_10empty_typeEEEZZNS1_29radix_sort_onesweep_iterationIS3_Lb0EN6thrust23THRUST_200600_302600_NS6detail15normal_iteratorINS9_10device_ptrIjEEEESE_PS5_SF_jNS0_19identity_decomposerENS1_16block_id_wrapperIjLb0EEEEE10hipError_tT1_PNSt15iterator_traitsISK_E10value_typeET2_T3_PNSL_ISQ_E10value_typeET4_T5_PSV_SW_PNS1_23onesweep_lookback_stateEbbT6_jjT7_P12ihipStream_tbENKUlT_T0_SK_SP_E_clISE_SE_SF_SF_EEDaS13_S14_SK_SP_EUlS13_E_NS1_11comp_targetILNS1_3genE9ELNS1_11target_archE1100ELNS1_3gpuE3ELNS1_3repE0EEENS1_47radix_sort_onesweep_sort_config_static_selectorELNS0_4arch9wavefront6targetE1EEEvSK_,"axG",@progbits,_ZN7rocprim17ROCPRIM_400000_NS6detail17trampoline_kernelINS0_14default_configENS1_35radix_sort_onesweep_config_selectorIjNS0_10empty_typeEEEZZNS1_29radix_sort_onesweep_iterationIS3_Lb0EN6thrust23THRUST_200600_302600_NS6detail15normal_iteratorINS9_10device_ptrIjEEEESE_PS5_SF_jNS0_19identity_decomposerENS1_16block_id_wrapperIjLb0EEEEE10hipError_tT1_PNSt15iterator_traitsISK_E10value_typeET2_T3_PNSL_ISQ_E10value_typeET4_T5_PSV_SW_PNS1_23onesweep_lookback_stateEbbT6_jjT7_P12ihipStream_tbENKUlT_T0_SK_SP_E_clISE_SE_SF_SF_EEDaS13_S14_SK_SP_EUlS13_E_NS1_11comp_targetILNS1_3genE9ELNS1_11target_archE1100ELNS1_3gpuE3ELNS1_3repE0EEENS1_47radix_sort_onesweep_sort_config_static_selectorELNS0_4arch9wavefront6targetE1EEEvSK_,comdat
.Lfunc_end1135:
	.size	_ZN7rocprim17ROCPRIM_400000_NS6detail17trampoline_kernelINS0_14default_configENS1_35radix_sort_onesweep_config_selectorIjNS0_10empty_typeEEEZZNS1_29radix_sort_onesweep_iterationIS3_Lb0EN6thrust23THRUST_200600_302600_NS6detail15normal_iteratorINS9_10device_ptrIjEEEESE_PS5_SF_jNS0_19identity_decomposerENS1_16block_id_wrapperIjLb0EEEEE10hipError_tT1_PNSt15iterator_traitsISK_E10value_typeET2_T3_PNSL_ISQ_E10value_typeET4_T5_PSV_SW_PNS1_23onesweep_lookback_stateEbbT6_jjT7_P12ihipStream_tbENKUlT_T0_SK_SP_E_clISE_SE_SF_SF_EEDaS13_S14_SK_SP_EUlS13_E_NS1_11comp_targetILNS1_3genE9ELNS1_11target_archE1100ELNS1_3gpuE3ELNS1_3repE0EEENS1_47radix_sort_onesweep_sort_config_static_selectorELNS0_4arch9wavefront6targetE1EEEvSK_, .Lfunc_end1135-_ZN7rocprim17ROCPRIM_400000_NS6detail17trampoline_kernelINS0_14default_configENS1_35radix_sort_onesweep_config_selectorIjNS0_10empty_typeEEEZZNS1_29radix_sort_onesweep_iterationIS3_Lb0EN6thrust23THRUST_200600_302600_NS6detail15normal_iteratorINS9_10device_ptrIjEEEESE_PS5_SF_jNS0_19identity_decomposerENS1_16block_id_wrapperIjLb0EEEEE10hipError_tT1_PNSt15iterator_traitsISK_E10value_typeET2_T3_PNSL_ISQ_E10value_typeET4_T5_PSV_SW_PNS1_23onesweep_lookback_stateEbbT6_jjT7_P12ihipStream_tbENKUlT_T0_SK_SP_E_clISE_SE_SF_SF_EEDaS13_S14_SK_SP_EUlS13_E_NS1_11comp_targetILNS1_3genE9ELNS1_11target_archE1100ELNS1_3gpuE3ELNS1_3repE0EEENS1_47radix_sort_onesweep_sort_config_static_selectorELNS0_4arch9wavefront6targetE1EEEvSK_
                                        ; -- End function
	.section	.AMDGPU.csdata,"",@progbits
; Kernel info:
; codeLenInByte = 0
; NumSgprs: 6
; NumVgprs: 0
; NumAgprs: 0
; TotalNumVgprs: 0
; ScratchSize: 0
; MemoryBound: 0
; FloatMode: 240
; IeeeMode: 1
; LDSByteSize: 0 bytes/workgroup (compile time only)
; SGPRBlocks: 0
; VGPRBlocks: 0
; NumSGPRsForWavesPerEU: 6
; NumVGPRsForWavesPerEU: 1
; AccumOffset: 4
; Occupancy: 8
; WaveLimiterHint : 0
; COMPUTE_PGM_RSRC2:SCRATCH_EN: 0
; COMPUTE_PGM_RSRC2:USER_SGPR: 2
; COMPUTE_PGM_RSRC2:TRAP_HANDLER: 0
; COMPUTE_PGM_RSRC2:TGID_X_EN: 1
; COMPUTE_PGM_RSRC2:TGID_Y_EN: 0
; COMPUTE_PGM_RSRC2:TGID_Z_EN: 0
; COMPUTE_PGM_RSRC2:TIDIG_COMP_CNT: 0
; COMPUTE_PGM_RSRC3_GFX90A:ACCUM_OFFSET: 0
; COMPUTE_PGM_RSRC3_GFX90A:TG_SPLIT: 0
	.section	.text._ZN7rocprim17ROCPRIM_400000_NS6detail17trampoline_kernelINS0_14default_configENS1_35radix_sort_onesweep_config_selectorIjNS0_10empty_typeEEEZZNS1_29radix_sort_onesweep_iterationIS3_Lb0EN6thrust23THRUST_200600_302600_NS6detail15normal_iteratorINS9_10device_ptrIjEEEESE_PS5_SF_jNS0_19identity_decomposerENS1_16block_id_wrapperIjLb0EEEEE10hipError_tT1_PNSt15iterator_traitsISK_E10value_typeET2_T3_PNSL_ISQ_E10value_typeET4_T5_PSV_SW_PNS1_23onesweep_lookback_stateEbbT6_jjT7_P12ihipStream_tbENKUlT_T0_SK_SP_E_clISE_SE_SF_SF_EEDaS13_S14_SK_SP_EUlS13_E_NS1_11comp_targetILNS1_3genE8ELNS1_11target_archE1030ELNS1_3gpuE2ELNS1_3repE0EEENS1_47radix_sort_onesweep_sort_config_static_selectorELNS0_4arch9wavefront6targetE1EEEvSK_,"axG",@progbits,_ZN7rocprim17ROCPRIM_400000_NS6detail17trampoline_kernelINS0_14default_configENS1_35radix_sort_onesweep_config_selectorIjNS0_10empty_typeEEEZZNS1_29radix_sort_onesweep_iterationIS3_Lb0EN6thrust23THRUST_200600_302600_NS6detail15normal_iteratorINS9_10device_ptrIjEEEESE_PS5_SF_jNS0_19identity_decomposerENS1_16block_id_wrapperIjLb0EEEEE10hipError_tT1_PNSt15iterator_traitsISK_E10value_typeET2_T3_PNSL_ISQ_E10value_typeET4_T5_PSV_SW_PNS1_23onesweep_lookback_stateEbbT6_jjT7_P12ihipStream_tbENKUlT_T0_SK_SP_E_clISE_SE_SF_SF_EEDaS13_S14_SK_SP_EUlS13_E_NS1_11comp_targetILNS1_3genE8ELNS1_11target_archE1030ELNS1_3gpuE2ELNS1_3repE0EEENS1_47radix_sort_onesweep_sort_config_static_selectorELNS0_4arch9wavefront6targetE1EEEvSK_,comdat
	.protected	_ZN7rocprim17ROCPRIM_400000_NS6detail17trampoline_kernelINS0_14default_configENS1_35radix_sort_onesweep_config_selectorIjNS0_10empty_typeEEEZZNS1_29radix_sort_onesweep_iterationIS3_Lb0EN6thrust23THRUST_200600_302600_NS6detail15normal_iteratorINS9_10device_ptrIjEEEESE_PS5_SF_jNS0_19identity_decomposerENS1_16block_id_wrapperIjLb0EEEEE10hipError_tT1_PNSt15iterator_traitsISK_E10value_typeET2_T3_PNSL_ISQ_E10value_typeET4_T5_PSV_SW_PNS1_23onesweep_lookback_stateEbbT6_jjT7_P12ihipStream_tbENKUlT_T0_SK_SP_E_clISE_SE_SF_SF_EEDaS13_S14_SK_SP_EUlS13_E_NS1_11comp_targetILNS1_3genE8ELNS1_11target_archE1030ELNS1_3gpuE2ELNS1_3repE0EEENS1_47radix_sort_onesweep_sort_config_static_selectorELNS0_4arch9wavefront6targetE1EEEvSK_ ; -- Begin function _ZN7rocprim17ROCPRIM_400000_NS6detail17trampoline_kernelINS0_14default_configENS1_35radix_sort_onesweep_config_selectorIjNS0_10empty_typeEEEZZNS1_29radix_sort_onesweep_iterationIS3_Lb0EN6thrust23THRUST_200600_302600_NS6detail15normal_iteratorINS9_10device_ptrIjEEEESE_PS5_SF_jNS0_19identity_decomposerENS1_16block_id_wrapperIjLb0EEEEE10hipError_tT1_PNSt15iterator_traitsISK_E10value_typeET2_T3_PNSL_ISQ_E10value_typeET4_T5_PSV_SW_PNS1_23onesweep_lookback_stateEbbT6_jjT7_P12ihipStream_tbENKUlT_T0_SK_SP_E_clISE_SE_SF_SF_EEDaS13_S14_SK_SP_EUlS13_E_NS1_11comp_targetILNS1_3genE8ELNS1_11target_archE1030ELNS1_3gpuE2ELNS1_3repE0EEENS1_47radix_sort_onesweep_sort_config_static_selectorELNS0_4arch9wavefront6targetE1EEEvSK_
	.globl	_ZN7rocprim17ROCPRIM_400000_NS6detail17trampoline_kernelINS0_14default_configENS1_35radix_sort_onesweep_config_selectorIjNS0_10empty_typeEEEZZNS1_29radix_sort_onesweep_iterationIS3_Lb0EN6thrust23THRUST_200600_302600_NS6detail15normal_iteratorINS9_10device_ptrIjEEEESE_PS5_SF_jNS0_19identity_decomposerENS1_16block_id_wrapperIjLb0EEEEE10hipError_tT1_PNSt15iterator_traitsISK_E10value_typeET2_T3_PNSL_ISQ_E10value_typeET4_T5_PSV_SW_PNS1_23onesweep_lookback_stateEbbT6_jjT7_P12ihipStream_tbENKUlT_T0_SK_SP_E_clISE_SE_SF_SF_EEDaS13_S14_SK_SP_EUlS13_E_NS1_11comp_targetILNS1_3genE8ELNS1_11target_archE1030ELNS1_3gpuE2ELNS1_3repE0EEENS1_47radix_sort_onesweep_sort_config_static_selectorELNS0_4arch9wavefront6targetE1EEEvSK_
	.p2align	8
	.type	_ZN7rocprim17ROCPRIM_400000_NS6detail17trampoline_kernelINS0_14default_configENS1_35radix_sort_onesweep_config_selectorIjNS0_10empty_typeEEEZZNS1_29radix_sort_onesweep_iterationIS3_Lb0EN6thrust23THRUST_200600_302600_NS6detail15normal_iteratorINS9_10device_ptrIjEEEESE_PS5_SF_jNS0_19identity_decomposerENS1_16block_id_wrapperIjLb0EEEEE10hipError_tT1_PNSt15iterator_traitsISK_E10value_typeET2_T3_PNSL_ISQ_E10value_typeET4_T5_PSV_SW_PNS1_23onesweep_lookback_stateEbbT6_jjT7_P12ihipStream_tbENKUlT_T0_SK_SP_E_clISE_SE_SF_SF_EEDaS13_S14_SK_SP_EUlS13_E_NS1_11comp_targetILNS1_3genE8ELNS1_11target_archE1030ELNS1_3gpuE2ELNS1_3repE0EEENS1_47radix_sort_onesweep_sort_config_static_selectorELNS0_4arch9wavefront6targetE1EEEvSK_,@function
_ZN7rocprim17ROCPRIM_400000_NS6detail17trampoline_kernelINS0_14default_configENS1_35radix_sort_onesweep_config_selectorIjNS0_10empty_typeEEEZZNS1_29radix_sort_onesweep_iterationIS3_Lb0EN6thrust23THRUST_200600_302600_NS6detail15normal_iteratorINS9_10device_ptrIjEEEESE_PS5_SF_jNS0_19identity_decomposerENS1_16block_id_wrapperIjLb0EEEEE10hipError_tT1_PNSt15iterator_traitsISK_E10value_typeET2_T3_PNSL_ISQ_E10value_typeET4_T5_PSV_SW_PNS1_23onesweep_lookback_stateEbbT6_jjT7_P12ihipStream_tbENKUlT_T0_SK_SP_E_clISE_SE_SF_SF_EEDaS13_S14_SK_SP_EUlS13_E_NS1_11comp_targetILNS1_3genE8ELNS1_11target_archE1030ELNS1_3gpuE2ELNS1_3repE0EEENS1_47radix_sort_onesweep_sort_config_static_selectorELNS0_4arch9wavefront6targetE1EEEvSK_: ; @_ZN7rocprim17ROCPRIM_400000_NS6detail17trampoline_kernelINS0_14default_configENS1_35radix_sort_onesweep_config_selectorIjNS0_10empty_typeEEEZZNS1_29radix_sort_onesweep_iterationIS3_Lb0EN6thrust23THRUST_200600_302600_NS6detail15normal_iteratorINS9_10device_ptrIjEEEESE_PS5_SF_jNS0_19identity_decomposerENS1_16block_id_wrapperIjLb0EEEEE10hipError_tT1_PNSt15iterator_traitsISK_E10value_typeET2_T3_PNSL_ISQ_E10value_typeET4_T5_PSV_SW_PNS1_23onesweep_lookback_stateEbbT6_jjT7_P12ihipStream_tbENKUlT_T0_SK_SP_E_clISE_SE_SF_SF_EEDaS13_S14_SK_SP_EUlS13_E_NS1_11comp_targetILNS1_3genE8ELNS1_11target_archE1030ELNS1_3gpuE2ELNS1_3repE0EEENS1_47radix_sort_onesweep_sort_config_static_selectorELNS0_4arch9wavefront6targetE1EEEvSK_
; %bb.0:
	.section	.rodata,"a",@progbits
	.p2align	6, 0x0
	.amdhsa_kernel _ZN7rocprim17ROCPRIM_400000_NS6detail17trampoline_kernelINS0_14default_configENS1_35radix_sort_onesweep_config_selectorIjNS0_10empty_typeEEEZZNS1_29radix_sort_onesweep_iterationIS3_Lb0EN6thrust23THRUST_200600_302600_NS6detail15normal_iteratorINS9_10device_ptrIjEEEESE_PS5_SF_jNS0_19identity_decomposerENS1_16block_id_wrapperIjLb0EEEEE10hipError_tT1_PNSt15iterator_traitsISK_E10value_typeET2_T3_PNSL_ISQ_E10value_typeET4_T5_PSV_SW_PNS1_23onesweep_lookback_stateEbbT6_jjT7_P12ihipStream_tbENKUlT_T0_SK_SP_E_clISE_SE_SF_SF_EEDaS13_S14_SK_SP_EUlS13_E_NS1_11comp_targetILNS1_3genE8ELNS1_11target_archE1030ELNS1_3gpuE2ELNS1_3repE0EEENS1_47radix_sort_onesweep_sort_config_static_selectorELNS0_4arch9wavefront6targetE1EEEvSK_
		.amdhsa_group_segment_fixed_size 0
		.amdhsa_private_segment_fixed_size 0
		.amdhsa_kernarg_size 88
		.amdhsa_user_sgpr_count 2
		.amdhsa_user_sgpr_dispatch_ptr 0
		.amdhsa_user_sgpr_queue_ptr 0
		.amdhsa_user_sgpr_kernarg_segment_ptr 1
		.amdhsa_user_sgpr_dispatch_id 0
		.amdhsa_user_sgpr_kernarg_preload_length 0
		.amdhsa_user_sgpr_kernarg_preload_offset 0
		.amdhsa_user_sgpr_private_segment_size 0
		.amdhsa_uses_dynamic_stack 0
		.amdhsa_enable_private_segment 0
		.amdhsa_system_sgpr_workgroup_id_x 1
		.amdhsa_system_sgpr_workgroup_id_y 0
		.amdhsa_system_sgpr_workgroup_id_z 0
		.amdhsa_system_sgpr_workgroup_info 0
		.amdhsa_system_vgpr_workitem_id 0
		.amdhsa_next_free_vgpr 1
		.amdhsa_next_free_sgpr 0
		.amdhsa_accum_offset 4
		.amdhsa_reserve_vcc 0
		.amdhsa_float_round_mode_32 0
		.amdhsa_float_round_mode_16_64 0
		.amdhsa_float_denorm_mode_32 3
		.amdhsa_float_denorm_mode_16_64 3
		.amdhsa_dx10_clamp 1
		.amdhsa_ieee_mode 1
		.amdhsa_fp16_overflow 0
		.amdhsa_tg_split 0
		.amdhsa_exception_fp_ieee_invalid_op 0
		.amdhsa_exception_fp_denorm_src 0
		.amdhsa_exception_fp_ieee_div_zero 0
		.amdhsa_exception_fp_ieee_overflow 0
		.amdhsa_exception_fp_ieee_underflow 0
		.amdhsa_exception_fp_ieee_inexact 0
		.amdhsa_exception_int_div_zero 0
	.end_amdhsa_kernel
	.section	.text._ZN7rocprim17ROCPRIM_400000_NS6detail17trampoline_kernelINS0_14default_configENS1_35radix_sort_onesweep_config_selectorIjNS0_10empty_typeEEEZZNS1_29radix_sort_onesweep_iterationIS3_Lb0EN6thrust23THRUST_200600_302600_NS6detail15normal_iteratorINS9_10device_ptrIjEEEESE_PS5_SF_jNS0_19identity_decomposerENS1_16block_id_wrapperIjLb0EEEEE10hipError_tT1_PNSt15iterator_traitsISK_E10value_typeET2_T3_PNSL_ISQ_E10value_typeET4_T5_PSV_SW_PNS1_23onesweep_lookback_stateEbbT6_jjT7_P12ihipStream_tbENKUlT_T0_SK_SP_E_clISE_SE_SF_SF_EEDaS13_S14_SK_SP_EUlS13_E_NS1_11comp_targetILNS1_3genE8ELNS1_11target_archE1030ELNS1_3gpuE2ELNS1_3repE0EEENS1_47radix_sort_onesweep_sort_config_static_selectorELNS0_4arch9wavefront6targetE1EEEvSK_,"axG",@progbits,_ZN7rocprim17ROCPRIM_400000_NS6detail17trampoline_kernelINS0_14default_configENS1_35radix_sort_onesweep_config_selectorIjNS0_10empty_typeEEEZZNS1_29radix_sort_onesweep_iterationIS3_Lb0EN6thrust23THRUST_200600_302600_NS6detail15normal_iteratorINS9_10device_ptrIjEEEESE_PS5_SF_jNS0_19identity_decomposerENS1_16block_id_wrapperIjLb0EEEEE10hipError_tT1_PNSt15iterator_traitsISK_E10value_typeET2_T3_PNSL_ISQ_E10value_typeET4_T5_PSV_SW_PNS1_23onesweep_lookback_stateEbbT6_jjT7_P12ihipStream_tbENKUlT_T0_SK_SP_E_clISE_SE_SF_SF_EEDaS13_S14_SK_SP_EUlS13_E_NS1_11comp_targetILNS1_3genE8ELNS1_11target_archE1030ELNS1_3gpuE2ELNS1_3repE0EEENS1_47radix_sort_onesweep_sort_config_static_selectorELNS0_4arch9wavefront6targetE1EEEvSK_,comdat
.Lfunc_end1136:
	.size	_ZN7rocprim17ROCPRIM_400000_NS6detail17trampoline_kernelINS0_14default_configENS1_35radix_sort_onesweep_config_selectorIjNS0_10empty_typeEEEZZNS1_29radix_sort_onesweep_iterationIS3_Lb0EN6thrust23THRUST_200600_302600_NS6detail15normal_iteratorINS9_10device_ptrIjEEEESE_PS5_SF_jNS0_19identity_decomposerENS1_16block_id_wrapperIjLb0EEEEE10hipError_tT1_PNSt15iterator_traitsISK_E10value_typeET2_T3_PNSL_ISQ_E10value_typeET4_T5_PSV_SW_PNS1_23onesweep_lookback_stateEbbT6_jjT7_P12ihipStream_tbENKUlT_T0_SK_SP_E_clISE_SE_SF_SF_EEDaS13_S14_SK_SP_EUlS13_E_NS1_11comp_targetILNS1_3genE8ELNS1_11target_archE1030ELNS1_3gpuE2ELNS1_3repE0EEENS1_47radix_sort_onesweep_sort_config_static_selectorELNS0_4arch9wavefront6targetE1EEEvSK_, .Lfunc_end1136-_ZN7rocprim17ROCPRIM_400000_NS6detail17trampoline_kernelINS0_14default_configENS1_35radix_sort_onesweep_config_selectorIjNS0_10empty_typeEEEZZNS1_29radix_sort_onesweep_iterationIS3_Lb0EN6thrust23THRUST_200600_302600_NS6detail15normal_iteratorINS9_10device_ptrIjEEEESE_PS5_SF_jNS0_19identity_decomposerENS1_16block_id_wrapperIjLb0EEEEE10hipError_tT1_PNSt15iterator_traitsISK_E10value_typeET2_T3_PNSL_ISQ_E10value_typeET4_T5_PSV_SW_PNS1_23onesweep_lookback_stateEbbT6_jjT7_P12ihipStream_tbENKUlT_T0_SK_SP_E_clISE_SE_SF_SF_EEDaS13_S14_SK_SP_EUlS13_E_NS1_11comp_targetILNS1_3genE8ELNS1_11target_archE1030ELNS1_3gpuE2ELNS1_3repE0EEENS1_47radix_sort_onesweep_sort_config_static_selectorELNS0_4arch9wavefront6targetE1EEEvSK_
                                        ; -- End function
	.section	.AMDGPU.csdata,"",@progbits
; Kernel info:
; codeLenInByte = 0
; NumSgprs: 6
; NumVgprs: 0
; NumAgprs: 0
; TotalNumVgprs: 0
; ScratchSize: 0
; MemoryBound: 0
; FloatMode: 240
; IeeeMode: 1
; LDSByteSize: 0 bytes/workgroup (compile time only)
; SGPRBlocks: 0
; VGPRBlocks: 0
; NumSGPRsForWavesPerEU: 6
; NumVGPRsForWavesPerEU: 1
; AccumOffset: 4
; Occupancy: 8
; WaveLimiterHint : 0
; COMPUTE_PGM_RSRC2:SCRATCH_EN: 0
; COMPUTE_PGM_RSRC2:USER_SGPR: 2
; COMPUTE_PGM_RSRC2:TRAP_HANDLER: 0
; COMPUTE_PGM_RSRC2:TGID_X_EN: 1
; COMPUTE_PGM_RSRC2:TGID_Y_EN: 0
; COMPUTE_PGM_RSRC2:TGID_Z_EN: 0
; COMPUTE_PGM_RSRC2:TIDIG_COMP_CNT: 0
; COMPUTE_PGM_RSRC3_GFX90A:ACCUM_OFFSET: 0
; COMPUTE_PGM_RSRC3_GFX90A:TG_SPLIT: 0
	.section	.text._ZN7rocprim17ROCPRIM_400000_NS6detail17trampoline_kernelINS0_14default_configENS1_35radix_sort_onesweep_config_selectorIjNS0_10empty_typeEEEZZNS1_29radix_sort_onesweep_iterationIS3_Lb0EN6thrust23THRUST_200600_302600_NS6detail15normal_iteratorINS9_10device_ptrIjEEEESE_PS5_SF_jNS0_19identity_decomposerENS1_16block_id_wrapperIjLb0EEEEE10hipError_tT1_PNSt15iterator_traitsISK_E10value_typeET2_T3_PNSL_ISQ_E10value_typeET4_T5_PSV_SW_PNS1_23onesweep_lookback_stateEbbT6_jjT7_P12ihipStream_tbENKUlT_T0_SK_SP_E_clISE_PjSF_SF_EEDaS13_S14_SK_SP_EUlS13_E_NS1_11comp_targetILNS1_3genE0ELNS1_11target_archE4294967295ELNS1_3gpuE0ELNS1_3repE0EEENS1_47radix_sort_onesweep_sort_config_static_selectorELNS0_4arch9wavefront6targetE1EEEvSK_,"axG",@progbits,_ZN7rocprim17ROCPRIM_400000_NS6detail17trampoline_kernelINS0_14default_configENS1_35radix_sort_onesweep_config_selectorIjNS0_10empty_typeEEEZZNS1_29radix_sort_onesweep_iterationIS3_Lb0EN6thrust23THRUST_200600_302600_NS6detail15normal_iteratorINS9_10device_ptrIjEEEESE_PS5_SF_jNS0_19identity_decomposerENS1_16block_id_wrapperIjLb0EEEEE10hipError_tT1_PNSt15iterator_traitsISK_E10value_typeET2_T3_PNSL_ISQ_E10value_typeET4_T5_PSV_SW_PNS1_23onesweep_lookback_stateEbbT6_jjT7_P12ihipStream_tbENKUlT_T0_SK_SP_E_clISE_PjSF_SF_EEDaS13_S14_SK_SP_EUlS13_E_NS1_11comp_targetILNS1_3genE0ELNS1_11target_archE4294967295ELNS1_3gpuE0ELNS1_3repE0EEENS1_47radix_sort_onesweep_sort_config_static_selectorELNS0_4arch9wavefront6targetE1EEEvSK_,comdat
	.protected	_ZN7rocprim17ROCPRIM_400000_NS6detail17trampoline_kernelINS0_14default_configENS1_35radix_sort_onesweep_config_selectorIjNS0_10empty_typeEEEZZNS1_29radix_sort_onesweep_iterationIS3_Lb0EN6thrust23THRUST_200600_302600_NS6detail15normal_iteratorINS9_10device_ptrIjEEEESE_PS5_SF_jNS0_19identity_decomposerENS1_16block_id_wrapperIjLb0EEEEE10hipError_tT1_PNSt15iterator_traitsISK_E10value_typeET2_T3_PNSL_ISQ_E10value_typeET4_T5_PSV_SW_PNS1_23onesweep_lookback_stateEbbT6_jjT7_P12ihipStream_tbENKUlT_T0_SK_SP_E_clISE_PjSF_SF_EEDaS13_S14_SK_SP_EUlS13_E_NS1_11comp_targetILNS1_3genE0ELNS1_11target_archE4294967295ELNS1_3gpuE0ELNS1_3repE0EEENS1_47radix_sort_onesweep_sort_config_static_selectorELNS0_4arch9wavefront6targetE1EEEvSK_ ; -- Begin function _ZN7rocprim17ROCPRIM_400000_NS6detail17trampoline_kernelINS0_14default_configENS1_35radix_sort_onesweep_config_selectorIjNS0_10empty_typeEEEZZNS1_29radix_sort_onesweep_iterationIS3_Lb0EN6thrust23THRUST_200600_302600_NS6detail15normal_iteratorINS9_10device_ptrIjEEEESE_PS5_SF_jNS0_19identity_decomposerENS1_16block_id_wrapperIjLb0EEEEE10hipError_tT1_PNSt15iterator_traitsISK_E10value_typeET2_T3_PNSL_ISQ_E10value_typeET4_T5_PSV_SW_PNS1_23onesweep_lookback_stateEbbT6_jjT7_P12ihipStream_tbENKUlT_T0_SK_SP_E_clISE_PjSF_SF_EEDaS13_S14_SK_SP_EUlS13_E_NS1_11comp_targetILNS1_3genE0ELNS1_11target_archE4294967295ELNS1_3gpuE0ELNS1_3repE0EEENS1_47radix_sort_onesweep_sort_config_static_selectorELNS0_4arch9wavefront6targetE1EEEvSK_
	.globl	_ZN7rocprim17ROCPRIM_400000_NS6detail17trampoline_kernelINS0_14default_configENS1_35radix_sort_onesweep_config_selectorIjNS0_10empty_typeEEEZZNS1_29radix_sort_onesweep_iterationIS3_Lb0EN6thrust23THRUST_200600_302600_NS6detail15normal_iteratorINS9_10device_ptrIjEEEESE_PS5_SF_jNS0_19identity_decomposerENS1_16block_id_wrapperIjLb0EEEEE10hipError_tT1_PNSt15iterator_traitsISK_E10value_typeET2_T3_PNSL_ISQ_E10value_typeET4_T5_PSV_SW_PNS1_23onesweep_lookback_stateEbbT6_jjT7_P12ihipStream_tbENKUlT_T0_SK_SP_E_clISE_PjSF_SF_EEDaS13_S14_SK_SP_EUlS13_E_NS1_11comp_targetILNS1_3genE0ELNS1_11target_archE4294967295ELNS1_3gpuE0ELNS1_3repE0EEENS1_47radix_sort_onesweep_sort_config_static_selectorELNS0_4arch9wavefront6targetE1EEEvSK_
	.p2align	8
	.type	_ZN7rocprim17ROCPRIM_400000_NS6detail17trampoline_kernelINS0_14default_configENS1_35radix_sort_onesweep_config_selectorIjNS0_10empty_typeEEEZZNS1_29radix_sort_onesweep_iterationIS3_Lb0EN6thrust23THRUST_200600_302600_NS6detail15normal_iteratorINS9_10device_ptrIjEEEESE_PS5_SF_jNS0_19identity_decomposerENS1_16block_id_wrapperIjLb0EEEEE10hipError_tT1_PNSt15iterator_traitsISK_E10value_typeET2_T3_PNSL_ISQ_E10value_typeET4_T5_PSV_SW_PNS1_23onesweep_lookback_stateEbbT6_jjT7_P12ihipStream_tbENKUlT_T0_SK_SP_E_clISE_PjSF_SF_EEDaS13_S14_SK_SP_EUlS13_E_NS1_11comp_targetILNS1_3genE0ELNS1_11target_archE4294967295ELNS1_3gpuE0ELNS1_3repE0EEENS1_47radix_sort_onesweep_sort_config_static_selectorELNS0_4arch9wavefront6targetE1EEEvSK_,@function
_ZN7rocprim17ROCPRIM_400000_NS6detail17trampoline_kernelINS0_14default_configENS1_35radix_sort_onesweep_config_selectorIjNS0_10empty_typeEEEZZNS1_29radix_sort_onesweep_iterationIS3_Lb0EN6thrust23THRUST_200600_302600_NS6detail15normal_iteratorINS9_10device_ptrIjEEEESE_PS5_SF_jNS0_19identity_decomposerENS1_16block_id_wrapperIjLb0EEEEE10hipError_tT1_PNSt15iterator_traitsISK_E10value_typeET2_T3_PNSL_ISQ_E10value_typeET4_T5_PSV_SW_PNS1_23onesweep_lookback_stateEbbT6_jjT7_P12ihipStream_tbENKUlT_T0_SK_SP_E_clISE_PjSF_SF_EEDaS13_S14_SK_SP_EUlS13_E_NS1_11comp_targetILNS1_3genE0ELNS1_11target_archE4294967295ELNS1_3gpuE0ELNS1_3repE0EEENS1_47radix_sort_onesweep_sort_config_static_selectorELNS0_4arch9wavefront6targetE1EEEvSK_: ; @_ZN7rocprim17ROCPRIM_400000_NS6detail17trampoline_kernelINS0_14default_configENS1_35radix_sort_onesweep_config_selectorIjNS0_10empty_typeEEEZZNS1_29radix_sort_onesweep_iterationIS3_Lb0EN6thrust23THRUST_200600_302600_NS6detail15normal_iteratorINS9_10device_ptrIjEEEESE_PS5_SF_jNS0_19identity_decomposerENS1_16block_id_wrapperIjLb0EEEEE10hipError_tT1_PNSt15iterator_traitsISK_E10value_typeET2_T3_PNSL_ISQ_E10value_typeET4_T5_PSV_SW_PNS1_23onesweep_lookback_stateEbbT6_jjT7_P12ihipStream_tbENKUlT_T0_SK_SP_E_clISE_PjSF_SF_EEDaS13_S14_SK_SP_EUlS13_E_NS1_11comp_targetILNS1_3genE0ELNS1_11target_archE4294967295ELNS1_3gpuE0ELNS1_3repE0EEENS1_47radix_sort_onesweep_sort_config_static_selectorELNS0_4arch9wavefront6targetE1EEEvSK_
; %bb.0:
	.section	.rodata,"a",@progbits
	.p2align	6, 0x0
	.amdhsa_kernel _ZN7rocprim17ROCPRIM_400000_NS6detail17trampoline_kernelINS0_14default_configENS1_35radix_sort_onesweep_config_selectorIjNS0_10empty_typeEEEZZNS1_29radix_sort_onesweep_iterationIS3_Lb0EN6thrust23THRUST_200600_302600_NS6detail15normal_iteratorINS9_10device_ptrIjEEEESE_PS5_SF_jNS0_19identity_decomposerENS1_16block_id_wrapperIjLb0EEEEE10hipError_tT1_PNSt15iterator_traitsISK_E10value_typeET2_T3_PNSL_ISQ_E10value_typeET4_T5_PSV_SW_PNS1_23onesweep_lookback_stateEbbT6_jjT7_P12ihipStream_tbENKUlT_T0_SK_SP_E_clISE_PjSF_SF_EEDaS13_S14_SK_SP_EUlS13_E_NS1_11comp_targetILNS1_3genE0ELNS1_11target_archE4294967295ELNS1_3gpuE0ELNS1_3repE0EEENS1_47radix_sort_onesweep_sort_config_static_selectorELNS0_4arch9wavefront6targetE1EEEvSK_
		.amdhsa_group_segment_fixed_size 0
		.amdhsa_private_segment_fixed_size 0
		.amdhsa_kernarg_size 88
		.amdhsa_user_sgpr_count 2
		.amdhsa_user_sgpr_dispatch_ptr 0
		.amdhsa_user_sgpr_queue_ptr 0
		.amdhsa_user_sgpr_kernarg_segment_ptr 1
		.amdhsa_user_sgpr_dispatch_id 0
		.amdhsa_user_sgpr_kernarg_preload_length 0
		.amdhsa_user_sgpr_kernarg_preload_offset 0
		.amdhsa_user_sgpr_private_segment_size 0
		.amdhsa_uses_dynamic_stack 0
		.amdhsa_enable_private_segment 0
		.amdhsa_system_sgpr_workgroup_id_x 1
		.amdhsa_system_sgpr_workgroup_id_y 0
		.amdhsa_system_sgpr_workgroup_id_z 0
		.amdhsa_system_sgpr_workgroup_info 0
		.amdhsa_system_vgpr_workitem_id 0
		.amdhsa_next_free_vgpr 1
		.amdhsa_next_free_sgpr 0
		.amdhsa_accum_offset 4
		.amdhsa_reserve_vcc 0
		.amdhsa_float_round_mode_32 0
		.amdhsa_float_round_mode_16_64 0
		.amdhsa_float_denorm_mode_32 3
		.amdhsa_float_denorm_mode_16_64 3
		.amdhsa_dx10_clamp 1
		.amdhsa_ieee_mode 1
		.amdhsa_fp16_overflow 0
		.amdhsa_tg_split 0
		.amdhsa_exception_fp_ieee_invalid_op 0
		.amdhsa_exception_fp_denorm_src 0
		.amdhsa_exception_fp_ieee_div_zero 0
		.amdhsa_exception_fp_ieee_overflow 0
		.amdhsa_exception_fp_ieee_underflow 0
		.amdhsa_exception_fp_ieee_inexact 0
		.amdhsa_exception_int_div_zero 0
	.end_amdhsa_kernel
	.section	.text._ZN7rocprim17ROCPRIM_400000_NS6detail17trampoline_kernelINS0_14default_configENS1_35radix_sort_onesweep_config_selectorIjNS0_10empty_typeEEEZZNS1_29radix_sort_onesweep_iterationIS3_Lb0EN6thrust23THRUST_200600_302600_NS6detail15normal_iteratorINS9_10device_ptrIjEEEESE_PS5_SF_jNS0_19identity_decomposerENS1_16block_id_wrapperIjLb0EEEEE10hipError_tT1_PNSt15iterator_traitsISK_E10value_typeET2_T3_PNSL_ISQ_E10value_typeET4_T5_PSV_SW_PNS1_23onesweep_lookback_stateEbbT6_jjT7_P12ihipStream_tbENKUlT_T0_SK_SP_E_clISE_PjSF_SF_EEDaS13_S14_SK_SP_EUlS13_E_NS1_11comp_targetILNS1_3genE0ELNS1_11target_archE4294967295ELNS1_3gpuE0ELNS1_3repE0EEENS1_47radix_sort_onesweep_sort_config_static_selectorELNS0_4arch9wavefront6targetE1EEEvSK_,"axG",@progbits,_ZN7rocprim17ROCPRIM_400000_NS6detail17trampoline_kernelINS0_14default_configENS1_35radix_sort_onesweep_config_selectorIjNS0_10empty_typeEEEZZNS1_29radix_sort_onesweep_iterationIS3_Lb0EN6thrust23THRUST_200600_302600_NS6detail15normal_iteratorINS9_10device_ptrIjEEEESE_PS5_SF_jNS0_19identity_decomposerENS1_16block_id_wrapperIjLb0EEEEE10hipError_tT1_PNSt15iterator_traitsISK_E10value_typeET2_T3_PNSL_ISQ_E10value_typeET4_T5_PSV_SW_PNS1_23onesweep_lookback_stateEbbT6_jjT7_P12ihipStream_tbENKUlT_T0_SK_SP_E_clISE_PjSF_SF_EEDaS13_S14_SK_SP_EUlS13_E_NS1_11comp_targetILNS1_3genE0ELNS1_11target_archE4294967295ELNS1_3gpuE0ELNS1_3repE0EEENS1_47radix_sort_onesweep_sort_config_static_selectorELNS0_4arch9wavefront6targetE1EEEvSK_,comdat
.Lfunc_end1137:
	.size	_ZN7rocprim17ROCPRIM_400000_NS6detail17trampoline_kernelINS0_14default_configENS1_35radix_sort_onesweep_config_selectorIjNS0_10empty_typeEEEZZNS1_29radix_sort_onesweep_iterationIS3_Lb0EN6thrust23THRUST_200600_302600_NS6detail15normal_iteratorINS9_10device_ptrIjEEEESE_PS5_SF_jNS0_19identity_decomposerENS1_16block_id_wrapperIjLb0EEEEE10hipError_tT1_PNSt15iterator_traitsISK_E10value_typeET2_T3_PNSL_ISQ_E10value_typeET4_T5_PSV_SW_PNS1_23onesweep_lookback_stateEbbT6_jjT7_P12ihipStream_tbENKUlT_T0_SK_SP_E_clISE_PjSF_SF_EEDaS13_S14_SK_SP_EUlS13_E_NS1_11comp_targetILNS1_3genE0ELNS1_11target_archE4294967295ELNS1_3gpuE0ELNS1_3repE0EEENS1_47radix_sort_onesweep_sort_config_static_selectorELNS0_4arch9wavefront6targetE1EEEvSK_, .Lfunc_end1137-_ZN7rocprim17ROCPRIM_400000_NS6detail17trampoline_kernelINS0_14default_configENS1_35radix_sort_onesweep_config_selectorIjNS0_10empty_typeEEEZZNS1_29radix_sort_onesweep_iterationIS3_Lb0EN6thrust23THRUST_200600_302600_NS6detail15normal_iteratorINS9_10device_ptrIjEEEESE_PS5_SF_jNS0_19identity_decomposerENS1_16block_id_wrapperIjLb0EEEEE10hipError_tT1_PNSt15iterator_traitsISK_E10value_typeET2_T3_PNSL_ISQ_E10value_typeET4_T5_PSV_SW_PNS1_23onesweep_lookback_stateEbbT6_jjT7_P12ihipStream_tbENKUlT_T0_SK_SP_E_clISE_PjSF_SF_EEDaS13_S14_SK_SP_EUlS13_E_NS1_11comp_targetILNS1_3genE0ELNS1_11target_archE4294967295ELNS1_3gpuE0ELNS1_3repE0EEENS1_47radix_sort_onesweep_sort_config_static_selectorELNS0_4arch9wavefront6targetE1EEEvSK_
                                        ; -- End function
	.section	.AMDGPU.csdata,"",@progbits
; Kernel info:
; codeLenInByte = 0
; NumSgprs: 6
; NumVgprs: 0
; NumAgprs: 0
; TotalNumVgprs: 0
; ScratchSize: 0
; MemoryBound: 0
; FloatMode: 240
; IeeeMode: 1
; LDSByteSize: 0 bytes/workgroup (compile time only)
; SGPRBlocks: 0
; VGPRBlocks: 0
; NumSGPRsForWavesPerEU: 6
; NumVGPRsForWavesPerEU: 1
; AccumOffset: 4
; Occupancy: 8
; WaveLimiterHint : 0
; COMPUTE_PGM_RSRC2:SCRATCH_EN: 0
; COMPUTE_PGM_RSRC2:USER_SGPR: 2
; COMPUTE_PGM_RSRC2:TRAP_HANDLER: 0
; COMPUTE_PGM_RSRC2:TGID_X_EN: 1
; COMPUTE_PGM_RSRC2:TGID_Y_EN: 0
; COMPUTE_PGM_RSRC2:TGID_Z_EN: 0
; COMPUTE_PGM_RSRC2:TIDIG_COMP_CNT: 0
; COMPUTE_PGM_RSRC3_GFX90A:ACCUM_OFFSET: 0
; COMPUTE_PGM_RSRC3_GFX90A:TG_SPLIT: 0
	.section	.text._ZN7rocprim17ROCPRIM_400000_NS6detail17trampoline_kernelINS0_14default_configENS1_35radix_sort_onesweep_config_selectorIjNS0_10empty_typeEEEZZNS1_29radix_sort_onesweep_iterationIS3_Lb0EN6thrust23THRUST_200600_302600_NS6detail15normal_iteratorINS9_10device_ptrIjEEEESE_PS5_SF_jNS0_19identity_decomposerENS1_16block_id_wrapperIjLb0EEEEE10hipError_tT1_PNSt15iterator_traitsISK_E10value_typeET2_T3_PNSL_ISQ_E10value_typeET4_T5_PSV_SW_PNS1_23onesweep_lookback_stateEbbT6_jjT7_P12ihipStream_tbENKUlT_T0_SK_SP_E_clISE_PjSF_SF_EEDaS13_S14_SK_SP_EUlS13_E_NS1_11comp_targetILNS1_3genE6ELNS1_11target_archE950ELNS1_3gpuE13ELNS1_3repE0EEENS1_47radix_sort_onesweep_sort_config_static_selectorELNS0_4arch9wavefront6targetE1EEEvSK_,"axG",@progbits,_ZN7rocprim17ROCPRIM_400000_NS6detail17trampoline_kernelINS0_14default_configENS1_35radix_sort_onesweep_config_selectorIjNS0_10empty_typeEEEZZNS1_29radix_sort_onesweep_iterationIS3_Lb0EN6thrust23THRUST_200600_302600_NS6detail15normal_iteratorINS9_10device_ptrIjEEEESE_PS5_SF_jNS0_19identity_decomposerENS1_16block_id_wrapperIjLb0EEEEE10hipError_tT1_PNSt15iterator_traitsISK_E10value_typeET2_T3_PNSL_ISQ_E10value_typeET4_T5_PSV_SW_PNS1_23onesweep_lookback_stateEbbT6_jjT7_P12ihipStream_tbENKUlT_T0_SK_SP_E_clISE_PjSF_SF_EEDaS13_S14_SK_SP_EUlS13_E_NS1_11comp_targetILNS1_3genE6ELNS1_11target_archE950ELNS1_3gpuE13ELNS1_3repE0EEENS1_47radix_sort_onesweep_sort_config_static_selectorELNS0_4arch9wavefront6targetE1EEEvSK_,comdat
	.protected	_ZN7rocprim17ROCPRIM_400000_NS6detail17trampoline_kernelINS0_14default_configENS1_35radix_sort_onesweep_config_selectorIjNS0_10empty_typeEEEZZNS1_29radix_sort_onesweep_iterationIS3_Lb0EN6thrust23THRUST_200600_302600_NS6detail15normal_iteratorINS9_10device_ptrIjEEEESE_PS5_SF_jNS0_19identity_decomposerENS1_16block_id_wrapperIjLb0EEEEE10hipError_tT1_PNSt15iterator_traitsISK_E10value_typeET2_T3_PNSL_ISQ_E10value_typeET4_T5_PSV_SW_PNS1_23onesweep_lookback_stateEbbT6_jjT7_P12ihipStream_tbENKUlT_T0_SK_SP_E_clISE_PjSF_SF_EEDaS13_S14_SK_SP_EUlS13_E_NS1_11comp_targetILNS1_3genE6ELNS1_11target_archE950ELNS1_3gpuE13ELNS1_3repE0EEENS1_47radix_sort_onesweep_sort_config_static_selectorELNS0_4arch9wavefront6targetE1EEEvSK_ ; -- Begin function _ZN7rocprim17ROCPRIM_400000_NS6detail17trampoline_kernelINS0_14default_configENS1_35radix_sort_onesweep_config_selectorIjNS0_10empty_typeEEEZZNS1_29radix_sort_onesweep_iterationIS3_Lb0EN6thrust23THRUST_200600_302600_NS6detail15normal_iteratorINS9_10device_ptrIjEEEESE_PS5_SF_jNS0_19identity_decomposerENS1_16block_id_wrapperIjLb0EEEEE10hipError_tT1_PNSt15iterator_traitsISK_E10value_typeET2_T3_PNSL_ISQ_E10value_typeET4_T5_PSV_SW_PNS1_23onesweep_lookback_stateEbbT6_jjT7_P12ihipStream_tbENKUlT_T0_SK_SP_E_clISE_PjSF_SF_EEDaS13_S14_SK_SP_EUlS13_E_NS1_11comp_targetILNS1_3genE6ELNS1_11target_archE950ELNS1_3gpuE13ELNS1_3repE0EEENS1_47radix_sort_onesweep_sort_config_static_selectorELNS0_4arch9wavefront6targetE1EEEvSK_
	.globl	_ZN7rocprim17ROCPRIM_400000_NS6detail17trampoline_kernelINS0_14default_configENS1_35radix_sort_onesweep_config_selectorIjNS0_10empty_typeEEEZZNS1_29radix_sort_onesweep_iterationIS3_Lb0EN6thrust23THRUST_200600_302600_NS6detail15normal_iteratorINS9_10device_ptrIjEEEESE_PS5_SF_jNS0_19identity_decomposerENS1_16block_id_wrapperIjLb0EEEEE10hipError_tT1_PNSt15iterator_traitsISK_E10value_typeET2_T3_PNSL_ISQ_E10value_typeET4_T5_PSV_SW_PNS1_23onesweep_lookback_stateEbbT6_jjT7_P12ihipStream_tbENKUlT_T0_SK_SP_E_clISE_PjSF_SF_EEDaS13_S14_SK_SP_EUlS13_E_NS1_11comp_targetILNS1_3genE6ELNS1_11target_archE950ELNS1_3gpuE13ELNS1_3repE0EEENS1_47radix_sort_onesweep_sort_config_static_selectorELNS0_4arch9wavefront6targetE1EEEvSK_
	.p2align	8
	.type	_ZN7rocprim17ROCPRIM_400000_NS6detail17trampoline_kernelINS0_14default_configENS1_35radix_sort_onesweep_config_selectorIjNS0_10empty_typeEEEZZNS1_29radix_sort_onesweep_iterationIS3_Lb0EN6thrust23THRUST_200600_302600_NS6detail15normal_iteratorINS9_10device_ptrIjEEEESE_PS5_SF_jNS0_19identity_decomposerENS1_16block_id_wrapperIjLb0EEEEE10hipError_tT1_PNSt15iterator_traitsISK_E10value_typeET2_T3_PNSL_ISQ_E10value_typeET4_T5_PSV_SW_PNS1_23onesweep_lookback_stateEbbT6_jjT7_P12ihipStream_tbENKUlT_T0_SK_SP_E_clISE_PjSF_SF_EEDaS13_S14_SK_SP_EUlS13_E_NS1_11comp_targetILNS1_3genE6ELNS1_11target_archE950ELNS1_3gpuE13ELNS1_3repE0EEENS1_47radix_sort_onesweep_sort_config_static_selectorELNS0_4arch9wavefront6targetE1EEEvSK_,@function
_ZN7rocprim17ROCPRIM_400000_NS6detail17trampoline_kernelINS0_14default_configENS1_35radix_sort_onesweep_config_selectorIjNS0_10empty_typeEEEZZNS1_29radix_sort_onesweep_iterationIS3_Lb0EN6thrust23THRUST_200600_302600_NS6detail15normal_iteratorINS9_10device_ptrIjEEEESE_PS5_SF_jNS0_19identity_decomposerENS1_16block_id_wrapperIjLb0EEEEE10hipError_tT1_PNSt15iterator_traitsISK_E10value_typeET2_T3_PNSL_ISQ_E10value_typeET4_T5_PSV_SW_PNS1_23onesweep_lookback_stateEbbT6_jjT7_P12ihipStream_tbENKUlT_T0_SK_SP_E_clISE_PjSF_SF_EEDaS13_S14_SK_SP_EUlS13_E_NS1_11comp_targetILNS1_3genE6ELNS1_11target_archE950ELNS1_3gpuE13ELNS1_3repE0EEENS1_47radix_sort_onesweep_sort_config_static_selectorELNS0_4arch9wavefront6targetE1EEEvSK_: ; @_ZN7rocprim17ROCPRIM_400000_NS6detail17trampoline_kernelINS0_14default_configENS1_35radix_sort_onesweep_config_selectorIjNS0_10empty_typeEEEZZNS1_29radix_sort_onesweep_iterationIS3_Lb0EN6thrust23THRUST_200600_302600_NS6detail15normal_iteratorINS9_10device_ptrIjEEEESE_PS5_SF_jNS0_19identity_decomposerENS1_16block_id_wrapperIjLb0EEEEE10hipError_tT1_PNSt15iterator_traitsISK_E10value_typeET2_T3_PNSL_ISQ_E10value_typeET4_T5_PSV_SW_PNS1_23onesweep_lookback_stateEbbT6_jjT7_P12ihipStream_tbENKUlT_T0_SK_SP_E_clISE_PjSF_SF_EEDaS13_S14_SK_SP_EUlS13_E_NS1_11comp_targetILNS1_3genE6ELNS1_11target_archE950ELNS1_3gpuE13ELNS1_3repE0EEENS1_47radix_sort_onesweep_sort_config_static_selectorELNS0_4arch9wavefront6targetE1EEEvSK_
; %bb.0:
	.section	.rodata,"a",@progbits
	.p2align	6, 0x0
	.amdhsa_kernel _ZN7rocprim17ROCPRIM_400000_NS6detail17trampoline_kernelINS0_14default_configENS1_35radix_sort_onesweep_config_selectorIjNS0_10empty_typeEEEZZNS1_29radix_sort_onesweep_iterationIS3_Lb0EN6thrust23THRUST_200600_302600_NS6detail15normal_iteratorINS9_10device_ptrIjEEEESE_PS5_SF_jNS0_19identity_decomposerENS1_16block_id_wrapperIjLb0EEEEE10hipError_tT1_PNSt15iterator_traitsISK_E10value_typeET2_T3_PNSL_ISQ_E10value_typeET4_T5_PSV_SW_PNS1_23onesweep_lookback_stateEbbT6_jjT7_P12ihipStream_tbENKUlT_T0_SK_SP_E_clISE_PjSF_SF_EEDaS13_S14_SK_SP_EUlS13_E_NS1_11comp_targetILNS1_3genE6ELNS1_11target_archE950ELNS1_3gpuE13ELNS1_3repE0EEENS1_47radix_sort_onesweep_sort_config_static_selectorELNS0_4arch9wavefront6targetE1EEEvSK_
		.amdhsa_group_segment_fixed_size 0
		.amdhsa_private_segment_fixed_size 0
		.amdhsa_kernarg_size 88
		.amdhsa_user_sgpr_count 2
		.amdhsa_user_sgpr_dispatch_ptr 0
		.amdhsa_user_sgpr_queue_ptr 0
		.amdhsa_user_sgpr_kernarg_segment_ptr 1
		.amdhsa_user_sgpr_dispatch_id 0
		.amdhsa_user_sgpr_kernarg_preload_length 0
		.amdhsa_user_sgpr_kernarg_preload_offset 0
		.amdhsa_user_sgpr_private_segment_size 0
		.amdhsa_uses_dynamic_stack 0
		.amdhsa_enable_private_segment 0
		.amdhsa_system_sgpr_workgroup_id_x 1
		.amdhsa_system_sgpr_workgroup_id_y 0
		.amdhsa_system_sgpr_workgroup_id_z 0
		.amdhsa_system_sgpr_workgroup_info 0
		.amdhsa_system_vgpr_workitem_id 0
		.amdhsa_next_free_vgpr 1
		.amdhsa_next_free_sgpr 0
		.amdhsa_accum_offset 4
		.amdhsa_reserve_vcc 0
		.amdhsa_float_round_mode_32 0
		.amdhsa_float_round_mode_16_64 0
		.amdhsa_float_denorm_mode_32 3
		.amdhsa_float_denorm_mode_16_64 3
		.amdhsa_dx10_clamp 1
		.amdhsa_ieee_mode 1
		.amdhsa_fp16_overflow 0
		.amdhsa_tg_split 0
		.amdhsa_exception_fp_ieee_invalid_op 0
		.amdhsa_exception_fp_denorm_src 0
		.amdhsa_exception_fp_ieee_div_zero 0
		.amdhsa_exception_fp_ieee_overflow 0
		.amdhsa_exception_fp_ieee_underflow 0
		.amdhsa_exception_fp_ieee_inexact 0
		.amdhsa_exception_int_div_zero 0
	.end_amdhsa_kernel
	.section	.text._ZN7rocprim17ROCPRIM_400000_NS6detail17trampoline_kernelINS0_14default_configENS1_35radix_sort_onesweep_config_selectorIjNS0_10empty_typeEEEZZNS1_29radix_sort_onesweep_iterationIS3_Lb0EN6thrust23THRUST_200600_302600_NS6detail15normal_iteratorINS9_10device_ptrIjEEEESE_PS5_SF_jNS0_19identity_decomposerENS1_16block_id_wrapperIjLb0EEEEE10hipError_tT1_PNSt15iterator_traitsISK_E10value_typeET2_T3_PNSL_ISQ_E10value_typeET4_T5_PSV_SW_PNS1_23onesweep_lookback_stateEbbT6_jjT7_P12ihipStream_tbENKUlT_T0_SK_SP_E_clISE_PjSF_SF_EEDaS13_S14_SK_SP_EUlS13_E_NS1_11comp_targetILNS1_3genE6ELNS1_11target_archE950ELNS1_3gpuE13ELNS1_3repE0EEENS1_47radix_sort_onesweep_sort_config_static_selectorELNS0_4arch9wavefront6targetE1EEEvSK_,"axG",@progbits,_ZN7rocprim17ROCPRIM_400000_NS6detail17trampoline_kernelINS0_14default_configENS1_35radix_sort_onesweep_config_selectorIjNS0_10empty_typeEEEZZNS1_29radix_sort_onesweep_iterationIS3_Lb0EN6thrust23THRUST_200600_302600_NS6detail15normal_iteratorINS9_10device_ptrIjEEEESE_PS5_SF_jNS0_19identity_decomposerENS1_16block_id_wrapperIjLb0EEEEE10hipError_tT1_PNSt15iterator_traitsISK_E10value_typeET2_T3_PNSL_ISQ_E10value_typeET4_T5_PSV_SW_PNS1_23onesweep_lookback_stateEbbT6_jjT7_P12ihipStream_tbENKUlT_T0_SK_SP_E_clISE_PjSF_SF_EEDaS13_S14_SK_SP_EUlS13_E_NS1_11comp_targetILNS1_3genE6ELNS1_11target_archE950ELNS1_3gpuE13ELNS1_3repE0EEENS1_47radix_sort_onesweep_sort_config_static_selectorELNS0_4arch9wavefront6targetE1EEEvSK_,comdat
.Lfunc_end1138:
	.size	_ZN7rocprim17ROCPRIM_400000_NS6detail17trampoline_kernelINS0_14default_configENS1_35radix_sort_onesweep_config_selectorIjNS0_10empty_typeEEEZZNS1_29radix_sort_onesweep_iterationIS3_Lb0EN6thrust23THRUST_200600_302600_NS6detail15normal_iteratorINS9_10device_ptrIjEEEESE_PS5_SF_jNS0_19identity_decomposerENS1_16block_id_wrapperIjLb0EEEEE10hipError_tT1_PNSt15iterator_traitsISK_E10value_typeET2_T3_PNSL_ISQ_E10value_typeET4_T5_PSV_SW_PNS1_23onesweep_lookback_stateEbbT6_jjT7_P12ihipStream_tbENKUlT_T0_SK_SP_E_clISE_PjSF_SF_EEDaS13_S14_SK_SP_EUlS13_E_NS1_11comp_targetILNS1_3genE6ELNS1_11target_archE950ELNS1_3gpuE13ELNS1_3repE0EEENS1_47radix_sort_onesweep_sort_config_static_selectorELNS0_4arch9wavefront6targetE1EEEvSK_, .Lfunc_end1138-_ZN7rocprim17ROCPRIM_400000_NS6detail17trampoline_kernelINS0_14default_configENS1_35radix_sort_onesweep_config_selectorIjNS0_10empty_typeEEEZZNS1_29radix_sort_onesweep_iterationIS3_Lb0EN6thrust23THRUST_200600_302600_NS6detail15normal_iteratorINS9_10device_ptrIjEEEESE_PS5_SF_jNS0_19identity_decomposerENS1_16block_id_wrapperIjLb0EEEEE10hipError_tT1_PNSt15iterator_traitsISK_E10value_typeET2_T3_PNSL_ISQ_E10value_typeET4_T5_PSV_SW_PNS1_23onesweep_lookback_stateEbbT6_jjT7_P12ihipStream_tbENKUlT_T0_SK_SP_E_clISE_PjSF_SF_EEDaS13_S14_SK_SP_EUlS13_E_NS1_11comp_targetILNS1_3genE6ELNS1_11target_archE950ELNS1_3gpuE13ELNS1_3repE0EEENS1_47radix_sort_onesweep_sort_config_static_selectorELNS0_4arch9wavefront6targetE1EEEvSK_
                                        ; -- End function
	.section	.AMDGPU.csdata,"",@progbits
; Kernel info:
; codeLenInByte = 0
; NumSgprs: 6
; NumVgprs: 0
; NumAgprs: 0
; TotalNumVgprs: 0
; ScratchSize: 0
; MemoryBound: 0
; FloatMode: 240
; IeeeMode: 1
; LDSByteSize: 0 bytes/workgroup (compile time only)
; SGPRBlocks: 0
; VGPRBlocks: 0
; NumSGPRsForWavesPerEU: 6
; NumVGPRsForWavesPerEU: 1
; AccumOffset: 4
; Occupancy: 8
; WaveLimiterHint : 0
; COMPUTE_PGM_RSRC2:SCRATCH_EN: 0
; COMPUTE_PGM_RSRC2:USER_SGPR: 2
; COMPUTE_PGM_RSRC2:TRAP_HANDLER: 0
; COMPUTE_PGM_RSRC2:TGID_X_EN: 1
; COMPUTE_PGM_RSRC2:TGID_Y_EN: 0
; COMPUTE_PGM_RSRC2:TGID_Z_EN: 0
; COMPUTE_PGM_RSRC2:TIDIG_COMP_CNT: 0
; COMPUTE_PGM_RSRC3_GFX90A:ACCUM_OFFSET: 0
; COMPUTE_PGM_RSRC3_GFX90A:TG_SPLIT: 0
	.section	.text._ZN7rocprim17ROCPRIM_400000_NS6detail17trampoline_kernelINS0_14default_configENS1_35radix_sort_onesweep_config_selectorIjNS0_10empty_typeEEEZZNS1_29radix_sort_onesweep_iterationIS3_Lb0EN6thrust23THRUST_200600_302600_NS6detail15normal_iteratorINS9_10device_ptrIjEEEESE_PS5_SF_jNS0_19identity_decomposerENS1_16block_id_wrapperIjLb0EEEEE10hipError_tT1_PNSt15iterator_traitsISK_E10value_typeET2_T3_PNSL_ISQ_E10value_typeET4_T5_PSV_SW_PNS1_23onesweep_lookback_stateEbbT6_jjT7_P12ihipStream_tbENKUlT_T0_SK_SP_E_clISE_PjSF_SF_EEDaS13_S14_SK_SP_EUlS13_E_NS1_11comp_targetILNS1_3genE5ELNS1_11target_archE942ELNS1_3gpuE9ELNS1_3repE0EEENS1_47radix_sort_onesweep_sort_config_static_selectorELNS0_4arch9wavefront6targetE1EEEvSK_,"axG",@progbits,_ZN7rocprim17ROCPRIM_400000_NS6detail17trampoline_kernelINS0_14default_configENS1_35radix_sort_onesweep_config_selectorIjNS0_10empty_typeEEEZZNS1_29radix_sort_onesweep_iterationIS3_Lb0EN6thrust23THRUST_200600_302600_NS6detail15normal_iteratorINS9_10device_ptrIjEEEESE_PS5_SF_jNS0_19identity_decomposerENS1_16block_id_wrapperIjLb0EEEEE10hipError_tT1_PNSt15iterator_traitsISK_E10value_typeET2_T3_PNSL_ISQ_E10value_typeET4_T5_PSV_SW_PNS1_23onesweep_lookback_stateEbbT6_jjT7_P12ihipStream_tbENKUlT_T0_SK_SP_E_clISE_PjSF_SF_EEDaS13_S14_SK_SP_EUlS13_E_NS1_11comp_targetILNS1_3genE5ELNS1_11target_archE942ELNS1_3gpuE9ELNS1_3repE0EEENS1_47radix_sort_onesweep_sort_config_static_selectorELNS0_4arch9wavefront6targetE1EEEvSK_,comdat
	.protected	_ZN7rocprim17ROCPRIM_400000_NS6detail17trampoline_kernelINS0_14default_configENS1_35radix_sort_onesweep_config_selectorIjNS0_10empty_typeEEEZZNS1_29radix_sort_onesweep_iterationIS3_Lb0EN6thrust23THRUST_200600_302600_NS6detail15normal_iteratorINS9_10device_ptrIjEEEESE_PS5_SF_jNS0_19identity_decomposerENS1_16block_id_wrapperIjLb0EEEEE10hipError_tT1_PNSt15iterator_traitsISK_E10value_typeET2_T3_PNSL_ISQ_E10value_typeET4_T5_PSV_SW_PNS1_23onesweep_lookback_stateEbbT6_jjT7_P12ihipStream_tbENKUlT_T0_SK_SP_E_clISE_PjSF_SF_EEDaS13_S14_SK_SP_EUlS13_E_NS1_11comp_targetILNS1_3genE5ELNS1_11target_archE942ELNS1_3gpuE9ELNS1_3repE0EEENS1_47radix_sort_onesweep_sort_config_static_selectorELNS0_4arch9wavefront6targetE1EEEvSK_ ; -- Begin function _ZN7rocprim17ROCPRIM_400000_NS6detail17trampoline_kernelINS0_14default_configENS1_35radix_sort_onesweep_config_selectorIjNS0_10empty_typeEEEZZNS1_29radix_sort_onesweep_iterationIS3_Lb0EN6thrust23THRUST_200600_302600_NS6detail15normal_iteratorINS9_10device_ptrIjEEEESE_PS5_SF_jNS0_19identity_decomposerENS1_16block_id_wrapperIjLb0EEEEE10hipError_tT1_PNSt15iterator_traitsISK_E10value_typeET2_T3_PNSL_ISQ_E10value_typeET4_T5_PSV_SW_PNS1_23onesweep_lookback_stateEbbT6_jjT7_P12ihipStream_tbENKUlT_T0_SK_SP_E_clISE_PjSF_SF_EEDaS13_S14_SK_SP_EUlS13_E_NS1_11comp_targetILNS1_3genE5ELNS1_11target_archE942ELNS1_3gpuE9ELNS1_3repE0EEENS1_47radix_sort_onesweep_sort_config_static_selectorELNS0_4arch9wavefront6targetE1EEEvSK_
	.globl	_ZN7rocprim17ROCPRIM_400000_NS6detail17trampoline_kernelINS0_14default_configENS1_35radix_sort_onesweep_config_selectorIjNS0_10empty_typeEEEZZNS1_29radix_sort_onesweep_iterationIS3_Lb0EN6thrust23THRUST_200600_302600_NS6detail15normal_iteratorINS9_10device_ptrIjEEEESE_PS5_SF_jNS0_19identity_decomposerENS1_16block_id_wrapperIjLb0EEEEE10hipError_tT1_PNSt15iterator_traitsISK_E10value_typeET2_T3_PNSL_ISQ_E10value_typeET4_T5_PSV_SW_PNS1_23onesweep_lookback_stateEbbT6_jjT7_P12ihipStream_tbENKUlT_T0_SK_SP_E_clISE_PjSF_SF_EEDaS13_S14_SK_SP_EUlS13_E_NS1_11comp_targetILNS1_3genE5ELNS1_11target_archE942ELNS1_3gpuE9ELNS1_3repE0EEENS1_47radix_sort_onesweep_sort_config_static_selectorELNS0_4arch9wavefront6targetE1EEEvSK_
	.p2align	8
	.type	_ZN7rocprim17ROCPRIM_400000_NS6detail17trampoline_kernelINS0_14default_configENS1_35radix_sort_onesweep_config_selectorIjNS0_10empty_typeEEEZZNS1_29radix_sort_onesweep_iterationIS3_Lb0EN6thrust23THRUST_200600_302600_NS6detail15normal_iteratorINS9_10device_ptrIjEEEESE_PS5_SF_jNS0_19identity_decomposerENS1_16block_id_wrapperIjLb0EEEEE10hipError_tT1_PNSt15iterator_traitsISK_E10value_typeET2_T3_PNSL_ISQ_E10value_typeET4_T5_PSV_SW_PNS1_23onesweep_lookback_stateEbbT6_jjT7_P12ihipStream_tbENKUlT_T0_SK_SP_E_clISE_PjSF_SF_EEDaS13_S14_SK_SP_EUlS13_E_NS1_11comp_targetILNS1_3genE5ELNS1_11target_archE942ELNS1_3gpuE9ELNS1_3repE0EEENS1_47radix_sort_onesweep_sort_config_static_selectorELNS0_4arch9wavefront6targetE1EEEvSK_,@function
_ZN7rocprim17ROCPRIM_400000_NS6detail17trampoline_kernelINS0_14default_configENS1_35radix_sort_onesweep_config_selectorIjNS0_10empty_typeEEEZZNS1_29radix_sort_onesweep_iterationIS3_Lb0EN6thrust23THRUST_200600_302600_NS6detail15normal_iteratorINS9_10device_ptrIjEEEESE_PS5_SF_jNS0_19identity_decomposerENS1_16block_id_wrapperIjLb0EEEEE10hipError_tT1_PNSt15iterator_traitsISK_E10value_typeET2_T3_PNSL_ISQ_E10value_typeET4_T5_PSV_SW_PNS1_23onesweep_lookback_stateEbbT6_jjT7_P12ihipStream_tbENKUlT_T0_SK_SP_E_clISE_PjSF_SF_EEDaS13_S14_SK_SP_EUlS13_E_NS1_11comp_targetILNS1_3genE5ELNS1_11target_archE942ELNS1_3gpuE9ELNS1_3repE0EEENS1_47radix_sort_onesweep_sort_config_static_selectorELNS0_4arch9wavefront6targetE1EEEvSK_: ; @_ZN7rocprim17ROCPRIM_400000_NS6detail17trampoline_kernelINS0_14default_configENS1_35radix_sort_onesweep_config_selectorIjNS0_10empty_typeEEEZZNS1_29radix_sort_onesweep_iterationIS3_Lb0EN6thrust23THRUST_200600_302600_NS6detail15normal_iteratorINS9_10device_ptrIjEEEESE_PS5_SF_jNS0_19identity_decomposerENS1_16block_id_wrapperIjLb0EEEEE10hipError_tT1_PNSt15iterator_traitsISK_E10value_typeET2_T3_PNSL_ISQ_E10value_typeET4_T5_PSV_SW_PNS1_23onesweep_lookback_stateEbbT6_jjT7_P12ihipStream_tbENKUlT_T0_SK_SP_E_clISE_PjSF_SF_EEDaS13_S14_SK_SP_EUlS13_E_NS1_11comp_targetILNS1_3genE5ELNS1_11target_archE942ELNS1_3gpuE9ELNS1_3repE0EEENS1_47radix_sort_onesweep_sort_config_static_selectorELNS0_4arch9wavefront6targetE1EEEvSK_
; %bb.0:
	s_load_dwordx2 s[28:29], s[0:1], 0x38
	s_load_dwordx4 s[20:23], s[0:1], 0x44
	s_load_dwordx4 s[24:27], s[0:1], 0x0
	;; [unrolled: 1-line block ×3, first 2 shown]
	v_mbcnt_lo_u32_b32 v1, -1, 0
	s_waitcnt lgkmcnt(0)
	s_cmp_ge_u32 s2, s22
	s_cbranch_scc0 .LBB1139_79
; %bb.1:
	s_load_dword s3, s[0:1], 0x20
	s_lshl_b32 s6, s22, 13
	s_lshl_b32 s4, s2, 13
	s_mov_b32 s5, 0
	v_and_b32_e32 v2, 0x3ff, v0
	s_waitcnt lgkmcnt(0)
	s_sub_i32 s3, s3, s6
	s_lshl_b64 s[4:5], s[4:5], 2
	v_mbcnt_hi_u32_b32 v8, -1, v1
	s_add_u32 s4, s24, s4
	v_and_b32_e32 v3, 63, v8
	v_lshlrev_b32_e32 v4, 3, v2
	s_addc_u32 s5, s25, s5
	v_and_b32_e32 v9, 0x1e00, v4
	v_lshlrev_b32_e32 v4, 2, v3
	v_mov_b32_e32 v5, 0
	v_lshl_add_u64 v[6:7], s[4:5], 0, v[4:5]
	v_lshlrev_b32_e32 v4, 2, v9
	v_lshl_add_u64 v[4:5], v[6:7], 0, v[4:5]
	v_or_b32_e32 v6, v3, v9
	v_cmp_gt_u32_e32 vcc, s3, v6
	v_mov_b32_e32 v3, -1
	v_mov_b32_e32 v10, -1
	s_and_saveexec_b64 s[4:5], vcc
	s_cbranch_execz .LBB1139_3
; %bb.2:
	global_load_dword v10, v[4:5], off
.LBB1139_3:
	s_or_b64 exec, exec, s[4:5]
	v_or_b32_e32 v7, 64, v6
	v_cmp_gt_u32_e32 vcc, s3, v7
	v_mov_b32_e32 v11, -1
	s_and_saveexec_b64 s[4:5], vcc
	s_cbranch_execz .LBB1139_5
; %bb.4:
	global_load_dword v11, v[4:5], off offset:256
.LBB1139_5:
	s_or_b64 exec, exec, s[4:5]
	v_or_b32_e32 v7, 0x80, v6
	v_cmp_gt_u32_e32 vcc, s3, v7
	s_and_saveexec_b64 s[4:5], vcc
	s_cbranch_execz .LBB1139_7
; %bb.6:
	global_load_dword v3, v[4:5], off offset:512
.LBB1139_7:
	s_or_b64 exec, exec, s[4:5]
	v_or_b32_e32 v7, 0xc0, v6
	v_cmp_gt_u32_e32 vcc, s3, v7
	v_mov_b32_e32 v12, -1
	v_mov_b32_e32 v13, -1
	s_and_saveexec_b64 s[4:5], vcc
	s_cbranch_execz .LBB1139_9
; %bb.8:
	global_load_dword v13, v[4:5], off offset:768
.LBB1139_9:
	s_or_b64 exec, exec, s[4:5]
	v_or_b32_e32 v7, 0x100, v6
	v_cmp_gt_u32_e32 vcc, s3, v7
	s_and_saveexec_b64 s[4:5], vcc
	s_cbranch_execz .LBB1139_11
; %bb.10:
	global_load_dword v12, v[4:5], off offset:1024
.LBB1139_11:
	s_or_b64 exec, exec, s[4:5]
	v_or_b32_e32 v7, 0x140, v6
	v_cmp_gt_u32_e32 vcc, s3, v7
	v_mov_b32_e32 v14, -1
	;; [unrolled: 18-line block ×3, first 2 shown]
	s_and_saveexec_b64 s[4:5], vcc
	s_cbranch_execz .LBB1139_17
; %bb.16:
	global_load_dword v16, v[4:5], off offset:1792
.LBB1139_17:
	s_or_b64 exec, exec, s[4:5]
	s_load_dword s4, s[0:1], 0x64
	s_load_dword s22, s[0:1], 0x58
	s_add_u32 s5, s0, 0x58
	s_addc_u32 s6, s1, 0
	v_mov_b32_e32 v5, 0
	s_waitcnt lgkmcnt(0)
	s_lshr_b32 s7, s4, 16
	s_cmp_lt_u32 s2, s22
	s_cselect_b32 s4, 12, 18
	s_add_u32 s4, s5, s4
	s_addc_u32 s5, s6, 0
	global_load_ushort v17, v5, s[4:5]
	s_lshl_b32 s4, -1, s21
	s_waitcnt vmcnt(1)
	v_lshrrev_b32_e32 v19, s20, v10
	s_not_b32 s23, s4
	v_bfe_u32 v4, v0, 10, 10
	v_bfe_u32 v7, v0, 20, 10
	v_and_b32_e32 v28, s23, v19
	v_mul_u32_u24_e32 v6, 5, v2
	v_mad_u32_u24 v30, v7, s7, v4
	v_and_b32_e32 v4, 1, v28
	v_lshlrev_b32_e32 v7, 30, v28
	v_lshlrev_b32_e32 v9, 2, v6
	v_mov_b32_e32 v6, v5
	v_mov_b32_e32 v20, v5
	v_lshl_add_u32 v32, v28, 4, v28
	v_lshlrev_b32_e32 v19, 29, v28
	v_lshlrev_b32_e32 v21, 28, v28
	;; [unrolled: 1-line block ×6, first 2 shown]
	v_lshl_add_u64 v[28:29], v[4:5], 0, -1
	v_cmp_ne_u32_e32 vcc, 0, v4
	v_not_b32_e32 v4, v7
	v_mov_b32_e32 v18, v5
	v_mov_b32_e32 v22, v5
	v_cmp_gt_i64_e64 s[4:5], 0, v[6:7]
	v_not_b32_e32 v6, v19
	v_cmp_gt_i64_e64 s[8:9], 0, v[20:21]
	v_not_b32_e32 v7, v21
	v_xor_b32_e32 v21, vcc_hi, v29
	v_ashrrev_i32_e32 v4, 31, v4
	v_mov_b32_e32 v24, v5
	v_cmp_gt_i64_e64 s[6:7], 0, v[18:19]
	v_cmp_gt_i64_e64 s[10:11], 0, v[22:23]
	v_not_b32_e32 v18, v23
	v_xor_b32_e32 v22, vcc_lo, v28
	v_ashrrev_i32_e32 v6, 31, v6
	v_and_b32_e32 v21, exec_hi, v21
	v_xor_b32_e32 v23, s5, v4
	v_cmp_gt_i64_e64 s[12:13], 0, v[24:25]
	v_ashrrev_i32_e32 v7, 31, v7
	v_and_b32_e32 v22, exec_lo, v22
	v_xor_b32_e32 v4, s4, v4
	v_xor_b32_e32 v24, s7, v6
	v_and_b32_e32 v21, v21, v23
	v_mov_b32_e32 v26, v5
	v_not_b32_e32 v19, v25
	v_ashrrev_i32_e32 v18, 31, v18
	v_xor_b32_e32 v6, s6, v6
	v_xor_b32_e32 v25, s9, v7
	v_and_b32_e32 v4, v22, v4
	v_and_b32_e32 v21, v21, v24
	v_cmp_gt_i64_e64 s[14:15], 0, v[26:27]
	v_not_b32_e32 v20, v27
	v_ashrrev_i32_e32 v19, 31, v19
	v_xor_b32_e32 v26, s11, v18
	v_and_b32_e32 v4, v4, v6
	v_and_b32_e32 v6, v21, v25
	v_ashrrev_i32_e32 v20, 31, v20
	v_xor_b32_e32 v7, s8, v7
	v_xor_b32_e32 v27, s13, v19
	v_and_b32_e32 v6, v6, v26
	v_xor_b32_e32 v18, s10, v18
	v_xor_b32_e32 v28, s15, v20
	v_and_b32_e32 v4, v4, v7
	v_and_b32_e32 v6, v6, v27
	;; [unrolled: 1-line block ×4, first 2 shown]
	v_xor_b32_e32 v19, s12, v19
	v_xor_b32_e32 v20, s14, v20
	v_and_b32_e32 v4, v4, v19
	v_and_b32_e32 v4, v4, v20
	ds_write2_b32 v9, v5, v5 offset0:16 offset1:17
	ds_write2_b32 v9, v5, v5 offset0:18 offset1:19
	ds_write_b32 v9, v5 offset:80
	s_waitcnt lgkmcnt(0)
	s_barrier
	s_waitcnt lgkmcnt(0)
	; wave barrier
	s_waitcnt vmcnt(0)
	v_mad_u64_u32 v[6:7], s[4:5], v30, v17, v[2:3]
	v_lshrrev_b32_e32 v28, 6, v6
	v_mov_b32_e32 v30, v5
	v_not_b32_e32 v6, v31
	v_cmp_gt_i64_e32 vcc, 0, v[30:31]
	v_ashrrev_i32_e32 v6, 31, v6
	v_add_lshl_u32 v21, v28, v32, 2
	v_xor_b32_e32 v7, vcc_hi, v6
	v_xor_b32_e32 v6, vcc_lo, v6
	v_and_b32_e32 v6, v4, v6
	v_and_b32_e32 v7, v18, v7
	v_mbcnt_lo_u32_b32 v4, v6, 0
	v_mbcnt_hi_u32_b32 v17, v7, v4
	v_cmp_eq_u32_e32 vcc, 0, v17
	v_cmp_ne_u64_e64 s[4:5], 0, v[6:7]
	s_and_b64 s[6:7], s[4:5], vcc
	s_and_saveexec_b64 s[4:5], s[6:7]
	s_cbranch_execz .LBB1139_19
; %bb.18:
	v_bcnt_u32_b32 v4, v6, 0
	v_bcnt_u32_b32 v4, v7, v4
	ds_write_b32 v21, v4 offset:64
.LBB1139_19:
	s_or_b64 exec, exec, s[4:5]
	v_lshrrev_b32_e32 v4, s20, v11
	v_and_b32_e32 v19, s23, v4
	v_lshl_add_u32 v4, v19, 4, v19
	v_add_lshl_u32 v22, v28, v4, 2
	v_and_b32_e32 v4, 1, v19
	v_lshl_add_u64 v[6:7], v[4:5], 0, -1
	v_cmp_ne_u32_e32 vcc, 0, v4
	; wave barrier
	s_nop 1
	v_xor_b32_e32 v6, vcc_lo, v6
	v_xor_b32_e32 v4, vcc_hi, v7
	v_and_b32_e32 v20, exec_lo, v6
	v_lshlrev_b32_e32 v7, 30, v19
	v_mov_b32_e32 v6, v5
	v_cmp_gt_i64_e32 vcc, 0, v[6:7]
	v_not_b32_e32 v6, v7
	v_ashrrev_i32_e32 v6, 31, v6
	v_and_b32_e32 v4, exec_hi, v4
	v_xor_b32_e32 v7, vcc_hi, v6
	v_xor_b32_e32 v6, vcc_lo, v6
	v_and_b32_e32 v4, v4, v7
	v_and_b32_e32 v20, v20, v6
	v_lshlrev_b32_e32 v7, 29, v19
	v_mov_b32_e32 v6, v5
	v_cmp_gt_i64_e32 vcc, 0, v[6:7]
	v_not_b32_e32 v6, v7
	v_ashrrev_i32_e32 v6, 31, v6
	v_xor_b32_e32 v7, vcc_hi, v6
	v_xor_b32_e32 v6, vcc_lo, v6
	v_and_b32_e32 v4, v4, v7
	v_and_b32_e32 v20, v20, v6
	v_lshlrev_b32_e32 v7, 28, v19
	v_mov_b32_e32 v6, v5
	v_cmp_gt_i64_e32 vcc, 0, v[6:7]
	v_not_b32_e32 v6, v7
	v_ashrrev_i32_e32 v6, 31, v6
	;; [unrolled: 9-line block ×5, first 2 shown]
	v_xor_b32_e32 v7, vcc_hi, v6
	v_xor_b32_e32 v6, vcc_lo, v6
	v_and_b32_e32 v4, v4, v7
	v_lshlrev_b32_e32 v7, 24, v19
	v_and_b32_e32 v20, v20, v6
	v_mov_b32_e32 v6, v5
	v_not_b32_e32 v5, v7
	v_cmp_gt_i64_e32 vcc, 0, v[6:7]
	v_ashrrev_i32_e32 v5, 31, v5
	ds_read_b32 v18, v22 offset:64
	v_xor_b32_e32 v6, vcc_hi, v5
	v_xor_b32_e32 v7, vcc_lo, v5
	v_and_b32_e32 v5, v4, v6
	v_and_b32_e32 v4, v20, v7
	v_mbcnt_lo_u32_b32 v6, v4, 0
	v_mbcnt_hi_u32_b32 v19, v5, v6
	v_cmp_eq_u32_e32 vcc, 0, v19
	v_cmp_ne_u64_e64 s[4:5], 0, v[4:5]
	s_and_b64 s[6:7], s[4:5], vcc
	; wave barrier
	s_and_saveexec_b64 s[4:5], s[6:7]
	s_cbranch_execz .LBB1139_21
; %bb.20:
	v_bcnt_u32_b32 v4, v4, 0
	v_bcnt_u32_b32 v4, v5, v4
	s_waitcnt lgkmcnt(0)
	v_add_u32_e32 v4, v18, v4
	ds_write_b32 v22, v4 offset:64
.LBB1139_21:
	s_or_b64 exec, exec, s[4:5]
	v_lshrrev_b32_e32 v4, s20, v3
	v_and_b32_e32 v23, s23, v4
	v_lshl_add_u32 v4, v23, 4, v23
	v_add_lshl_u32 v25, v28, v4, 2
	v_and_b32_e32 v4, 1, v23
	v_mov_b32_e32 v5, 0
	v_lshl_add_u64 v[6:7], v[4:5], 0, -1
	v_cmp_ne_u32_e32 vcc, 0, v4
	; wave barrier
	s_nop 1
	v_xor_b32_e32 v6, vcc_lo, v6
	v_xor_b32_e32 v4, vcc_hi, v7
	v_and_b32_e32 v24, exec_lo, v6
	v_lshlrev_b32_e32 v7, 30, v23
	v_mov_b32_e32 v6, v5
	v_cmp_gt_i64_e32 vcc, 0, v[6:7]
	v_not_b32_e32 v6, v7
	v_ashrrev_i32_e32 v6, 31, v6
	v_and_b32_e32 v4, exec_hi, v4
	v_xor_b32_e32 v7, vcc_hi, v6
	v_xor_b32_e32 v6, vcc_lo, v6
	v_and_b32_e32 v4, v4, v7
	v_and_b32_e32 v24, v24, v6
	v_lshlrev_b32_e32 v7, 29, v23
	v_mov_b32_e32 v6, v5
	v_cmp_gt_i64_e32 vcc, 0, v[6:7]
	v_not_b32_e32 v6, v7
	v_ashrrev_i32_e32 v6, 31, v6
	v_xor_b32_e32 v7, vcc_hi, v6
	v_xor_b32_e32 v6, vcc_lo, v6
	v_and_b32_e32 v4, v4, v7
	v_and_b32_e32 v24, v24, v6
	v_lshlrev_b32_e32 v7, 28, v23
	v_mov_b32_e32 v6, v5
	v_cmp_gt_i64_e32 vcc, 0, v[6:7]
	v_not_b32_e32 v6, v7
	v_ashrrev_i32_e32 v6, 31, v6
	;; [unrolled: 9-line block ×6, first 2 shown]
	v_xor_b32_e32 v7, vcc_hi, v6
	v_xor_b32_e32 v6, vcc_lo, v6
	ds_read_b32 v20, v25 offset:64
	v_and_b32_e32 v6, v24, v6
	v_and_b32_e32 v7, v4, v7
	v_mbcnt_lo_u32_b32 v4, v6, 0
	v_mbcnt_hi_u32_b32 v23, v7, v4
	v_cmp_eq_u32_e32 vcc, 0, v23
	v_cmp_ne_u64_e64 s[4:5], 0, v[6:7]
	s_and_b64 s[6:7], s[4:5], vcc
	; wave barrier
	s_and_saveexec_b64 s[4:5], s[6:7]
	s_cbranch_execz .LBB1139_23
; %bb.22:
	v_bcnt_u32_b32 v4, v6, 0
	v_bcnt_u32_b32 v4, v7, v4
	s_waitcnt lgkmcnt(0)
	v_add_u32_e32 v4, v20, v4
	ds_write_b32 v25, v4 offset:64
.LBB1139_23:
	s_or_b64 exec, exec, s[4:5]
	v_lshrrev_b32_e32 v4, s20, v13
	v_and_b32_e32 v26, s23, v4
	v_lshl_add_u32 v4, v26, 4, v26
	v_add_lshl_u32 v29, v28, v4, 2
	v_and_b32_e32 v4, 1, v26
	v_lshl_add_u64 v[6:7], v[4:5], 0, -1
	v_cmp_ne_u32_e32 vcc, 0, v4
	; wave barrier
	s_nop 1
	v_xor_b32_e32 v6, vcc_lo, v6
	v_xor_b32_e32 v4, vcc_hi, v7
	v_and_b32_e32 v27, exec_lo, v6
	v_lshlrev_b32_e32 v7, 30, v26
	v_mov_b32_e32 v6, v5
	v_cmp_gt_i64_e32 vcc, 0, v[6:7]
	v_not_b32_e32 v6, v7
	v_ashrrev_i32_e32 v6, 31, v6
	v_and_b32_e32 v4, exec_hi, v4
	v_xor_b32_e32 v7, vcc_hi, v6
	v_xor_b32_e32 v6, vcc_lo, v6
	v_and_b32_e32 v4, v4, v7
	v_and_b32_e32 v27, v27, v6
	v_lshlrev_b32_e32 v7, 29, v26
	v_mov_b32_e32 v6, v5
	v_cmp_gt_i64_e32 vcc, 0, v[6:7]
	v_not_b32_e32 v6, v7
	v_ashrrev_i32_e32 v6, 31, v6
	v_xor_b32_e32 v7, vcc_hi, v6
	v_xor_b32_e32 v6, vcc_lo, v6
	v_and_b32_e32 v4, v4, v7
	v_and_b32_e32 v27, v27, v6
	v_lshlrev_b32_e32 v7, 28, v26
	v_mov_b32_e32 v6, v5
	v_cmp_gt_i64_e32 vcc, 0, v[6:7]
	v_not_b32_e32 v6, v7
	v_ashrrev_i32_e32 v6, 31, v6
	;; [unrolled: 9-line block ×5, first 2 shown]
	v_xor_b32_e32 v7, vcc_hi, v6
	v_xor_b32_e32 v6, vcc_lo, v6
	v_and_b32_e32 v4, v4, v7
	v_lshlrev_b32_e32 v7, 24, v26
	v_and_b32_e32 v27, v27, v6
	v_mov_b32_e32 v6, v5
	v_not_b32_e32 v5, v7
	v_cmp_gt_i64_e32 vcc, 0, v[6:7]
	v_ashrrev_i32_e32 v5, 31, v5
	ds_read_b32 v24, v29 offset:64
	v_xor_b32_e32 v6, vcc_hi, v5
	v_xor_b32_e32 v7, vcc_lo, v5
	v_and_b32_e32 v5, v4, v6
	v_and_b32_e32 v4, v27, v7
	v_mbcnt_lo_u32_b32 v6, v4, 0
	v_mbcnt_hi_u32_b32 v26, v5, v6
	v_cmp_eq_u32_e32 vcc, 0, v26
	v_cmp_ne_u64_e64 s[4:5], 0, v[4:5]
	s_and_b64 s[6:7], s[4:5], vcc
	; wave barrier
	s_and_saveexec_b64 s[4:5], s[6:7]
	s_cbranch_execz .LBB1139_25
; %bb.24:
	v_bcnt_u32_b32 v4, v4, 0
	v_bcnt_u32_b32 v4, v5, v4
	s_waitcnt lgkmcnt(0)
	v_add_u32_e32 v4, v24, v4
	ds_write_b32 v29, v4 offset:64
.LBB1139_25:
	s_or_b64 exec, exec, s[4:5]
	v_lshrrev_b32_e32 v4, s20, v12
	v_and_b32_e32 v30, s23, v4
	v_lshl_add_u32 v4, v30, 4, v30
	v_add_lshl_u32 v32, v28, v4, 2
	v_and_b32_e32 v4, 1, v30
	v_mov_b32_e32 v5, 0
	v_lshl_add_u64 v[6:7], v[4:5], 0, -1
	v_cmp_ne_u32_e32 vcc, 0, v4
	; wave barrier
	s_nop 1
	v_xor_b32_e32 v6, vcc_lo, v6
	v_xor_b32_e32 v4, vcc_hi, v7
	v_and_b32_e32 v31, exec_lo, v6
	v_lshlrev_b32_e32 v7, 30, v30
	v_mov_b32_e32 v6, v5
	v_cmp_gt_i64_e32 vcc, 0, v[6:7]
	v_not_b32_e32 v6, v7
	v_ashrrev_i32_e32 v6, 31, v6
	v_and_b32_e32 v4, exec_hi, v4
	v_xor_b32_e32 v7, vcc_hi, v6
	v_xor_b32_e32 v6, vcc_lo, v6
	v_and_b32_e32 v4, v4, v7
	v_and_b32_e32 v31, v31, v6
	v_lshlrev_b32_e32 v7, 29, v30
	v_mov_b32_e32 v6, v5
	v_cmp_gt_i64_e32 vcc, 0, v[6:7]
	v_not_b32_e32 v6, v7
	v_ashrrev_i32_e32 v6, 31, v6
	v_xor_b32_e32 v7, vcc_hi, v6
	v_xor_b32_e32 v6, vcc_lo, v6
	v_and_b32_e32 v4, v4, v7
	v_and_b32_e32 v31, v31, v6
	v_lshlrev_b32_e32 v7, 28, v30
	v_mov_b32_e32 v6, v5
	v_cmp_gt_i64_e32 vcc, 0, v[6:7]
	v_not_b32_e32 v6, v7
	v_ashrrev_i32_e32 v6, 31, v6
	;; [unrolled: 9-line block ×6, first 2 shown]
	v_xor_b32_e32 v7, vcc_hi, v6
	v_xor_b32_e32 v6, vcc_lo, v6
	ds_read_b32 v27, v32 offset:64
	v_and_b32_e32 v6, v31, v6
	v_and_b32_e32 v7, v4, v7
	v_mbcnt_lo_u32_b32 v4, v6, 0
	v_mbcnt_hi_u32_b32 v30, v7, v4
	v_cmp_eq_u32_e32 vcc, 0, v30
	v_cmp_ne_u64_e64 s[4:5], 0, v[6:7]
	s_and_b64 s[6:7], s[4:5], vcc
	; wave barrier
	s_and_saveexec_b64 s[4:5], s[6:7]
	s_cbranch_execz .LBB1139_27
; %bb.26:
	v_bcnt_u32_b32 v4, v6, 0
	v_bcnt_u32_b32 v4, v7, v4
	s_waitcnt lgkmcnt(0)
	v_add_u32_e32 v4, v27, v4
	ds_write_b32 v32, v4 offset:64
.LBB1139_27:
	s_or_b64 exec, exec, s[4:5]
	v_lshrrev_b32_e32 v4, s20, v15
	v_and_b32_e32 v33, s23, v4
	v_lshl_add_u32 v4, v33, 4, v33
	v_add_lshl_u32 v35, v28, v4, 2
	v_and_b32_e32 v4, 1, v33
	v_lshl_add_u64 v[6:7], v[4:5], 0, -1
	v_cmp_ne_u32_e32 vcc, 0, v4
	; wave barrier
	s_nop 1
	v_xor_b32_e32 v6, vcc_lo, v6
	v_xor_b32_e32 v4, vcc_hi, v7
	v_and_b32_e32 v34, exec_lo, v6
	v_lshlrev_b32_e32 v7, 30, v33
	v_mov_b32_e32 v6, v5
	v_cmp_gt_i64_e32 vcc, 0, v[6:7]
	v_not_b32_e32 v6, v7
	v_ashrrev_i32_e32 v6, 31, v6
	v_and_b32_e32 v4, exec_hi, v4
	v_xor_b32_e32 v7, vcc_hi, v6
	v_xor_b32_e32 v6, vcc_lo, v6
	v_and_b32_e32 v4, v4, v7
	v_and_b32_e32 v34, v34, v6
	v_lshlrev_b32_e32 v7, 29, v33
	v_mov_b32_e32 v6, v5
	v_cmp_gt_i64_e32 vcc, 0, v[6:7]
	v_not_b32_e32 v6, v7
	v_ashrrev_i32_e32 v6, 31, v6
	v_xor_b32_e32 v7, vcc_hi, v6
	v_xor_b32_e32 v6, vcc_lo, v6
	v_and_b32_e32 v4, v4, v7
	v_and_b32_e32 v34, v34, v6
	v_lshlrev_b32_e32 v7, 28, v33
	v_mov_b32_e32 v6, v5
	v_cmp_gt_i64_e32 vcc, 0, v[6:7]
	v_not_b32_e32 v6, v7
	v_ashrrev_i32_e32 v6, 31, v6
	;; [unrolled: 9-line block ×5, first 2 shown]
	v_xor_b32_e32 v7, vcc_hi, v6
	v_xor_b32_e32 v6, vcc_lo, v6
	v_and_b32_e32 v4, v4, v7
	v_lshlrev_b32_e32 v7, 24, v33
	v_and_b32_e32 v34, v34, v6
	v_mov_b32_e32 v6, v5
	v_not_b32_e32 v5, v7
	v_cmp_gt_i64_e32 vcc, 0, v[6:7]
	v_ashrrev_i32_e32 v5, 31, v5
	ds_read_b32 v31, v35 offset:64
	v_xor_b32_e32 v6, vcc_hi, v5
	v_xor_b32_e32 v7, vcc_lo, v5
	v_and_b32_e32 v5, v4, v6
	v_and_b32_e32 v4, v34, v7
	v_mbcnt_lo_u32_b32 v6, v4, 0
	v_mbcnt_hi_u32_b32 v33, v5, v6
	v_cmp_eq_u32_e32 vcc, 0, v33
	v_cmp_ne_u64_e64 s[4:5], 0, v[4:5]
	s_and_b64 s[6:7], s[4:5], vcc
	; wave barrier
	s_and_saveexec_b64 s[4:5], s[6:7]
	s_cbranch_execz .LBB1139_29
; %bb.28:
	v_bcnt_u32_b32 v4, v4, 0
	v_bcnt_u32_b32 v4, v5, v4
	s_waitcnt lgkmcnt(0)
	v_add_u32_e32 v4, v31, v4
	ds_write_b32 v35, v4 offset:64
.LBB1139_29:
	s_or_b64 exec, exec, s[4:5]
	v_lshrrev_b32_e32 v4, s20, v14
	v_and_b32_e32 v36, s23, v4
	v_lshl_add_u32 v4, v36, 4, v36
	v_add_lshl_u32 v38, v28, v4, 2
	v_and_b32_e32 v4, 1, v36
	v_mov_b32_e32 v5, 0
	v_lshl_add_u64 v[6:7], v[4:5], 0, -1
	v_cmp_ne_u32_e32 vcc, 0, v4
	; wave barrier
	s_nop 1
	v_xor_b32_e32 v6, vcc_lo, v6
	v_xor_b32_e32 v4, vcc_hi, v7
	v_and_b32_e32 v37, exec_lo, v6
	v_lshlrev_b32_e32 v7, 30, v36
	v_mov_b32_e32 v6, v5
	v_cmp_gt_i64_e32 vcc, 0, v[6:7]
	v_not_b32_e32 v6, v7
	v_ashrrev_i32_e32 v6, 31, v6
	v_and_b32_e32 v4, exec_hi, v4
	v_xor_b32_e32 v7, vcc_hi, v6
	v_xor_b32_e32 v6, vcc_lo, v6
	v_and_b32_e32 v4, v4, v7
	v_and_b32_e32 v37, v37, v6
	v_lshlrev_b32_e32 v7, 29, v36
	v_mov_b32_e32 v6, v5
	v_cmp_gt_i64_e32 vcc, 0, v[6:7]
	v_not_b32_e32 v6, v7
	v_ashrrev_i32_e32 v6, 31, v6
	v_xor_b32_e32 v7, vcc_hi, v6
	v_xor_b32_e32 v6, vcc_lo, v6
	v_and_b32_e32 v4, v4, v7
	v_and_b32_e32 v37, v37, v6
	v_lshlrev_b32_e32 v7, 28, v36
	v_mov_b32_e32 v6, v5
	v_cmp_gt_i64_e32 vcc, 0, v[6:7]
	v_not_b32_e32 v6, v7
	v_ashrrev_i32_e32 v6, 31, v6
	;; [unrolled: 9-line block ×6, first 2 shown]
	v_xor_b32_e32 v7, vcc_hi, v6
	v_xor_b32_e32 v6, vcc_lo, v6
	ds_read_b32 v34, v38 offset:64
	v_and_b32_e32 v6, v37, v6
	v_and_b32_e32 v7, v4, v7
	v_mbcnt_lo_u32_b32 v4, v6, 0
	v_mbcnt_hi_u32_b32 v36, v7, v4
	v_cmp_eq_u32_e32 vcc, 0, v36
	v_cmp_ne_u64_e64 s[4:5], 0, v[6:7]
	s_and_b64 s[6:7], s[4:5], vcc
	; wave barrier
	s_and_saveexec_b64 s[4:5], s[6:7]
	s_cbranch_execz .LBB1139_31
; %bb.30:
	v_bcnt_u32_b32 v4, v6, 0
	v_bcnt_u32_b32 v4, v7, v4
	s_waitcnt lgkmcnt(0)
	v_add_u32_e32 v4, v34, v4
	ds_write_b32 v38, v4 offset:64
.LBB1139_31:
	s_or_b64 exec, exec, s[4:5]
	v_lshrrev_b32_e32 v4, s20, v16
	v_and_b32_e32 v39, s23, v4
	v_lshl_add_u32 v4, v39, 4, v39
	v_add_lshl_u32 v40, v28, v4, 2
	v_and_b32_e32 v4, 1, v39
	v_lshl_add_u64 v[6:7], v[4:5], 0, -1
	v_cmp_ne_u32_e32 vcc, 0, v4
	; wave barrier
	s_nop 1
	v_xor_b32_e32 v6, vcc_lo, v6
	v_xor_b32_e32 v4, vcc_hi, v7
	v_and_b32_e32 v28, exec_lo, v6
	v_lshlrev_b32_e32 v7, 30, v39
	v_mov_b32_e32 v6, v5
	v_cmp_gt_i64_e32 vcc, 0, v[6:7]
	v_not_b32_e32 v6, v7
	v_ashrrev_i32_e32 v6, 31, v6
	v_and_b32_e32 v4, exec_hi, v4
	v_xor_b32_e32 v7, vcc_hi, v6
	v_xor_b32_e32 v6, vcc_lo, v6
	v_and_b32_e32 v4, v4, v7
	v_and_b32_e32 v28, v28, v6
	v_lshlrev_b32_e32 v7, 29, v39
	v_mov_b32_e32 v6, v5
	v_cmp_gt_i64_e32 vcc, 0, v[6:7]
	v_not_b32_e32 v6, v7
	v_ashrrev_i32_e32 v6, 31, v6
	v_xor_b32_e32 v7, vcc_hi, v6
	v_xor_b32_e32 v6, vcc_lo, v6
	v_and_b32_e32 v4, v4, v7
	v_and_b32_e32 v28, v28, v6
	v_lshlrev_b32_e32 v7, 28, v39
	v_mov_b32_e32 v6, v5
	v_cmp_gt_i64_e32 vcc, 0, v[6:7]
	v_not_b32_e32 v6, v7
	v_ashrrev_i32_e32 v6, 31, v6
	;; [unrolled: 9-line block ×5, first 2 shown]
	v_xor_b32_e32 v7, vcc_hi, v6
	v_xor_b32_e32 v6, vcc_lo, v6
	v_and_b32_e32 v4, v4, v7
	v_lshlrev_b32_e32 v7, 24, v39
	v_and_b32_e32 v28, v28, v6
	v_mov_b32_e32 v6, v5
	v_not_b32_e32 v5, v7
	v_cmp_gt_i64_e32 vcc, 0, v[6:7]
	v_ashrrev_i32_e32 v5, 31, v5
	ds_read_b32 v37, v40 offset:64
	v_xor_b32_e32 v6, vcc_hi, v5
	v_xor_b32_e32 v7, vcc_lo, v5
	v_and_b32_e32 v5, v4, v6
	v_and_b32_e32 v4, v28, v7
	v_mbcnt_lo_u32_b32 v6, v4, 0
	v_mbcnt_hi_u32_b32 v39, v5, v6
	v_cmp_eq_u32_e32 vcc, 0, v39
	v_cmp_ne_u64_e64 s[4:5], 0, v[4:5]
	v_add_u32_e32 v41, 64, v9
	s_and_b64 s[6:7], s[4:5], vcc
	; wave barrier
	s_and_saveexec_b64 s[4:5], s[6:7]
	s_cbranch_execz .LBB1139_33
; %bb.32:
	v_bcnt_u32_b32 v4, v4, 0
	v_bcnt_u32_b32 v4, v5, v4
	s_waitcnt lgkmcnt(0)
	v_add_u32_e32 v4, v37, v4
	ds_write_b32 v40, v4 offset:64
.LBB1139_33:
	s_or_b64 exec, exec, s[4:5]
	; wave barrier
	s_waitcnt lgkmcnt(0)
	s_barrier
	ds_read2_b32 v[6:7], v9 offset0:16 offset1:17
	ds_read2_b32 v[4:5], v41 offset0:2 offset1:3
	ds_read_b32 v28, v41 offset:16
	v_cmp_lt_u32_e64 s[10:11], 31, v8
	s_waitcnt lgkmcnt(1)
	v_add3_u32 v42, v7, v6, v4
	s_waitcnt lgkmcnt(0)
	v_add3_u32 v28, v42, v5, v28
	v_and_b32_e32 v42, 15, v8
	v_cmp_eq_u32_e32 vcc, 0, v42
	v_mov_b32_dpp v43, v28 row_shr:1 row_mask:0xf bank_mask:0xf
	v_cmp_lt_u32_e64 s[8:9], 1, v42
	v_cndmask_b32_e64 v43, v43, 0, vcc
	v_add_u32_e32 v28, v43, v28
	v_cmp_lt_u32_e64 s[4:5], 3, v42
	v_cmp_lt_u32_e64 s[6:7], 7, v42
	v_mov_b32_dpp v43, v28 row_shr:2 row_mask:0xf bank_mask:0xf
	v_cndmask_b32_e64 v43, 0, v43, s[8:9]
	v_add_u32_e32 v28, v28, v43
	s_nop 1
	v_mov_b32_dpp v43, v28 row_shr:4 row_mask:0xf bank_mask:0xf
	v_cndmask_b32_e64 v43, 0, v43, s[4:5]
	v_add_u32_e32 v28, v28, v43
	s_nop 1
	v_mov_b32_dpp v43, v28 row_shr:8 row_mask:0xf bank_mask:0xf
	v_cndmask_b32_e64 v42, 0, v43, s[6:7]
	v_add_u32_e32 v28, v28, v42
	v_bfe_i32 v43, v8, 4, 1
	s_nop 0
	v_mov_b32_dpp v42, v28 row_bcast:15 row_mask:0xf bank_mask:0xf
	v_and_b32_e32 v42, v43, v42
	v_add_u32_e32 v28, v28, v42
	v_lshrrev_b32_e32 v43, 6, v2
	s_nop 0
	v_mov_b32_dpp v42, v28 row_bcast:31 row_mask:0xf bank_mask:0xf
	v_cndmask_b32_e64 v42, 0, v42, s[10:11]
	v_add_u32_e32 v42, v28, v42
	v_and_b32_e32 v28, 63, v2
	v_cmp_eq_u32_e64 s[10:11], 63, v28
	s_and_saveexec_b64 s[12:13], s[10:11]
	s_cbranch_execz .LBB1139_35
; %bb.34:
	v_lshlrev_b32_e32 v28, 2, v43
	ds_write_b32 v28, v42
.LBB1139_35:
	s_or_b64 exec, exec, s[12:13]
	v_cmp_gt_u32_e64 s[10:11], 16, v2
	v_lshlrev_b32_e32 v28, 2, v2
	s_waitcnt lgkmcnt(0)
	s_barrier
	s_and_saveexec_b64 s[12:13], s[10:11]
	s_cbranch_execz .LBB1139_37
; %bb.36:
	ds_read_b32 v44, v28
	s_waitcnt lgkmcnt(0)
	s_nop 0
	v_mov_b32_dpp v45, v44 row_shr:1 row_mask:0xf bank_mask:0xf
	v_cndmask_b32_e64 v45, v45, 0, vcc
	v_add_u32_e32 v44, v45, v44
	s_nop 1
	v_mov_b32_dpp v45, v44 row_shr:2 row_mask:0xf bank_mask:0xf
	v_cndmask_b32_e64 v45, 0, v45, s[8:9]
	v_add_u32_e32 v44, v44, v45
	s_nop 1
	v_mov_b32_dpp v45, v44 row_shr:4 row_mask:0xf bank_mask:0xf
	v_cndmask_b32_e64 v45, 0, v45, s[4:5]
	;; [unrolled: 4-line block ×3, first 2 shown]
	v_add_u32_e32 v44, v44, v45
	ds_write_b32 v28, v44
.LBB1139_37:
	s_or_b64 exec, exec, s[12:13]
	v_cmp_lt_u32_e32 vcc, 63, v2
	v_mov_b32_e32 v44, 0
	s_waitcnt lgkmcnt(0)
	s_barrier
	s_and_saveexec_b64 s[4:5], vcc
	s_cbranch_execz .LBB1139_39
; %bb.38:
	v_lshl_add_u32 v43, v43, 2, -4
	ds_read_b32 v44, v43
.LBB1139_39:
	s_or_b64 exec, exec, s[4:5]
	v_add_u32_e32 v43, -1, v8
	v_and_b32_e32 v45, 64, v8
	v_cmp_lt_i32_e32 vcc, v43, v45
	s_waitcnt lgkmcnt(0)
	v_add_u32_e32 v42, v44, v42
	s_movk_i32 s4, 0x100
	v_cndmask_b32_e32 v43, v43, v8, vcc
	v_lshlrev_b32_e32 v43, 2, v43
	ds_bpermute_b32 v42, v43, v42
	v_cmp_eq_u32_e32 vcc, 0, v8
	v_cmp_gt_u32_e64 s[4:5], s4, v2
	s_waitcnt lgkmcnt(0)
	v_cndmask_b32_e32 v8, v42, v44, vcc
	v_cmp_ne_u32_e32 vcc, 0, v2
	s_nop 1
	v_cndmask_b32_e32 v8, 0, v8, vcc
	v_add_u32_e32 v6, v8, v6
	v_add_u32_e32 v7, v6, v7
	;; [unrolled: 1-line block ×4, first 2 shown]
	ds_write2_b32 v9, v8, v6 offset0:16 offset1:17
	ds_write2_b32 v41, v7, v4 offset0:2 offset1:3
	ds_write_b32 v41, v5 offset:16
	s_waitcnt lgkmcnt(0)
	s_barrier
	ds_read_b32 v41, v21 offset:64
	ds_read_b32 v42, v22 offset:64
	;; [unrolled: 1-line block ×8, first 2 shown]
                                        ; implicit-def: $vgpr21
                                        ; implicit-def: $vgpr22
	s_and_saveexec_b64 s[6:7], s[4:5]
	s_cbranch_execz .LBB1139_43
; %bb.40:
	v_mul_u32_u24_e32 v4, 17, v2
	v_lshlrev_b32_e32 v5, 2, v4
	ds_read_b32 v21, v5 offset:64
	s_movk_i32 s8, 0xff
	v_cmp_ne_u32_e32 vcc, s8, v2
	v_mov_b32_e32 v4, 0x2000
	s_and_saveexec_b64 s[8:9], vcc
	s_cbranch_execz .LBB1139_42
; %bb.41:
	ds_read_b32 v4, v5 offset:132
.LBB1139_42:
	s_or_b64 exec, exec, s[8:9]
	s_waitcnt lgkmcnt(0)
	v_sub_u32_e32 v22, v4, v21
.LBB1139_43:
	s_or_b64 exec, exec, s[6:7]
	s_waitcnt lgkmcnt(0)
	s_barrier
	s_and_saveexec_b64 s[6:7], s[4:5]
	s_cbranch_execz .LBB1139_53
; %bb.44:
	v_lshl_or_b32 v6, s2, 8, v2
	v_mov_b32_e32 v7, 0
	v_lshl_add_u64 v[4:5], v[6:7], 2, s[28:29]
	v_or_b32_e32 v6, 2.0, v22
	s_mov_b64 s[8:9], 0
	s_brev_b32 s14, 1
	s_mov_b32 s15, s2
	v_mov_b32_e32 v43, 0
	global_store_dword v[4:5], v6, off sc1
                                        ; implicit-def: $sgpr10_sgpr11
	s_branch .LBB1139_46
.LBB1139_45:                            ;   in Loop: Header=BB1139_46 Depth=1
	s_or_b64 exec, exec, s[10:11]
	v_and_b32_e32 v8, 0x3fffffff, v44
	v_add_u32_e32 v43, v8, v43
	v_cmp_eq_u32_e64 s[10:11], s14, v6
	s_and_b64 s[12:13], exec, s[10:11]
	s_or_b64 s[8:9], s[12:13], s[8:9]
	s_andn2_b64 exec, exec, s[8:9]
	s_cbranch_execz .LBB1139_52
.LBB1139_46:                            ; =>This Loop Header: Depth=1
                                        ;     Child Loop BB1139_49 Depth 2
	s_or_b64 s[10:11], s[10:11], exec
	s_cmp_eq_u32 s15, 0
	s_cbranch_scc1 .LBB1139_51
; %bb.47:                               ;   in Loop: Header=BB1139_46 Depth=1
	s_add_i32 s15, s15, -1
	v_lshl_or_b32 v6, s15, 8, v2
	v_lshl_add_u64 v[8:9], v[6:7], 2, s[28:29]
	global_load_dword v44, v[8:9], off sc1
	s_waitcnt vmcnt(0)
	v_and_b32_e32 v6, -2.0, v44
	v_cmp_eq_u32_e32 vcc, 0, v6
	s_and_saveexec_b64 s[10:11], vcc
	s_cbranch_execz .LBB1139_45
; %bb.48:                               ;   in Loop: Header=BB1139_46 Depth=1
	s_mov_b64 s[12:13], 0
.LBB1139_49:                            ;   Parent Loop BB1139_46 Depth=1
                                        ; =>  This Inner Loop Header: Depth=2
	global_load_dword v44, v[8:9], off sc1
	s_waitcnt vmcnt(0)
	v_and_b32_e32 v6, -2.0, v44
	v_cmp_ne_u32_e32 vcc, 0, v6
	s_or_b64 s[12:13], vcc, s[12:13]
	s_andn2_b64 exec, exec, s[12:13]
	s_cbranch_execnz .LBB1139_49
; %bb.50:                               ;   in Loop: Header=BB1139_46 Depth=1
	s_or_b64 exec, exec, s[12:13]
	s_branch .LBB1139_45
.LBB1139_51:                            ;   in Loop: Header=BB1139_46 Depth=1
                                        ; implicit-def: $sgpr15
	s_and_b64 s[12:13], exec, s[10:11]
	s_or_b64 s[8:9], s[12:13], s[8:9]
	s_andn2_b64 exec, exec, s[8:9]
	s_cbranch_execnz .LBB1139_46
.LBB1139_52:
	s_or_b64 exec, exec, s[8:9]
	v_add_u32_e32 v6, v43, v22
	v_or_b32_e32 v6, 0x80000000, v6
	global_store_dword v[4:5], v6, off sc1
	global_load_dword v4, v28, s[16:17]
	v_sub_u32_e32 v5, v43, v21
	s_waitcnt vmcnt(0)
	v_add_u32_e32 v4, v5, v4
	ds_write_b32 v28, v4
.LBB1139_53:
	s_or_b64 exec, exec, s[6:7]
	v_add_u32_e32 v6, v41, v17
	v_add3_u32 v7, v19, v18, v42
	v_add3_u32 v8, v23, v20, v25
	v_add3_u32 v9, v26, v24, v29
	v_add3_u32 v17, v30, v27, v32
	v_add3_u32 v18, v33, v31, v35
	v_add3_u32 v19, v36, v34, v38
	v_add3_u32 v20, v39, v37, v40
	s_movk_i32 s10, 0x400
	v_add_u32_e32 v23, 0x400, v28
	v_lshlrev_b32_e32 v24, 2, v20
	v_lshlrev_b32_e32 v25, 2, v19
	;; [unrolled: 1-line block ×8, first 2 shown]
	s_mov_b32 s11, 0
	s_mov_b32 s12, 0
	s_mov_b64 s[6:7], -1
	s_movk_i32 s13, 0x1000
	v_mov_b32_e32 v5, 0
	s_movk_i32 s14, 0x800
	s_movk_i32 s15, 0xc00
	s_branch .LBB1139_55
.LBB1139_54:                            ;   in Loop: Header=BB1139_55 Depth=1
	s_or_b64 exec, exec, s[8:9]
	s_xor_b64 s[8:9], s[6:7], -1
	s_addk_i32 s12, 0x1000
	s_addk_i32 s11, 0xc000
	v_add_u32_e32 v20, 0xfffff000, v20
	v_add_u32_e32 v19, 0xfffff000, v19
	v_add_u32_e32 v18, 0xfffff000, v18
	v_add_u32_e32 v17, 0xfffff000, v17
	v_add_u32_e32 v9, 0xfffff000, v9
	v_add_u32_e32 v8, 0xfffff000, v8
	v_add_u32_e32 v7, 0xfffff000, v7
	v_add_u32_e32 v6, 0xfffff000, v6
	s_mov_b64 s[6:7], 0
	s_and_b64 vcc, exec, s[8:9]
	s_barrier
	s_cbranch_vccnz .LBB1139_80
.LBB1139_55:                            ; =>This Inner Loop Header: Depth=1
	v_cmp_gt_u32_e32 vcc, s13, v6
	s_and_saveexec_b64 s[8:9], vcc
	s_cbranch_execnz .LBB1139_72
; %bb.56:                               ;   in Loop: Header=BB1139_55 Depth=1
	s_or_b64 exec, exec, s[8:9]
	v_cmp_gt_u32_e32 vcc, s13, v7
	s_and_saveexec_b64 s[8:9], vcc
	s_cbranch_execnz .LBB1139_73
.LBB1139_57:                            ;   in Loop: Header=BB1139_55 Depth=1
	s_or_b64 exec, exec, s[8:9]
	v_cmp_gt_u32_e32 vcc, s13, v8
	s_and_saveexec_b64 s[8:9], vcc
	s_cbranch_execnz .LBB1139_74
.LBB1139_58:                            ;   in Loop: Header=BB1139_55 Depth=1
	s_or_b64 exec, exec, s[8:9]
	v_cmp_gt_u32_e32 vcc, s13, v9
	s_and_saveexec_b64 s[8:9], vcc
	s_cbranch_execnz .LBB1139_75
.LBB1139_59:                            ;   in Loop: Header=BB1139_55 Depth=1
	s_or_b64 exec, exec, s[8:9]
	v_cmp_gt_u32_e32 vcc, s13, v17
	s_and_saveexec_b64 s[8:9], vcc
	s_cbranch_execnz .LBB1139_76
.LBB1139_60:                            ;   in Loop: Header=BB1139_55 Depth=1
	s_or_b64 exec, exec, s[8:9]
	v_cmp_gt_u32_e32 vcc, s13, v18
	s_and_saveexec_b64 s[8:9], vcc
	s_cbranch_execnz .LBB1139_77
.LBB1139_61:                            ;   in Loop: Header=BB1139_55 Depth=1
	s_or_b64 exec, exec, s[8:9]
	v_cmp_gt_u32_e32 vcc, s13, v19
	s_and_saveexec_b64 s[8:9], vcc
	s_cbranch_execnz .LBB1139_78
.LBB1139_62:                            ;   in Loop: Header=BB1139_55 Depth=1
	s_or_b64 exec, exec, s[8:9]
	v_cmp_gt_u32_e32 vcc, s13, v20
	s_and_saveexec_b64 s[8:9], vcc
	s_cbranch_execz .LBB1139_64
.LBB1139_63:                            ;   in Loop: Header=BB1139_55 Depth=1
	v_add_u32_e32 v4, s11, v24
	ds_write_b32 v4, v16 offset:1024
.LBB1139_64:                            ;   in Loop: Header=BB1139_55 Depth=1
	s_or_b64 exec, exec, s[8:9]
	v_add_u32_e32 v33, s12, v2
	v_cmp_gt_u32_e32 vcc, s3, v33
	s_waitcnt lgkmcnt(0)
	s_barrier
	s_and_saveexec_b64 s[8:9], vcc
	s_cbranch_execz .LBB1139_66
; %bb.65:                               ;   in Loop: Header=BB1139_55 Depth=1
	ds_read_b32 v36, v28 offset:1024
	s_waitcnt lgkmcnt(0)
	v_lshrrev_b32_e32 v4, s20, v36
	v_and_b32_e32 v4, s23, v4
	v_lshlrev_b32_e32 v4, 2, v4
	ds_read_b32 v4, v4
	s_waitcnt lgkmcnt(0)
	v_add_u32_e32 v4, v33, v4
	v_lshl_add_u64 v[34:35], v[4:5], 2, s[26:27]
	global_store_dword v[34:35], v36, off
.LBB1139_66:                            ;   in Loop: Header=BB1139_55 Depth=1
	s_or_b64 exec, exec, s[8:9]
	v_add_u32_e32 v4, 0x400, v33
	v_cmp_gt_u32_e32 vcc, s3, v4
	s_and_saveexec_b64 s[8:9], vcc
	s_cbranch_execz .LBB1139_68
; %bb.67:                               ;   in Loop: Header=BB1139_55 Depth=1
	ds_read_b32 v36, v23 offset:4096
	s_waitcnt lgkmcnt(0)
	v_lshrrev_b32_e32 v4, s20, v36
	v_and_b32_e32 v4, s23, v4
	v_lshlrev_b32_e32 v4, 2, v4
	ds_read_b32 v4, v4
	s_waitcnt lgkmcnt(0)
	v_add3_u32 v4, v33, v4, s10
	v_lshl_add_u64 v[34:35], v[4:5], 2, s[26:27]
	global_store_dword v[34:35], v36, off
.LBB1139_68:                            ;   in Loop: Header=BB1139_55 Depth=1
	s_or_b64 exec, exec, s[8:9]
	v_add_u32_e32 v4, 0x800, v33
	v_cmp_gt_u32_e32 vcc, s3, v4
	s_and_saveexec_b64 s[8:9], vcc
	s_cbranch_execz .LBB1139_70
; %bb.69:                               ;   in Loop: Header=BB1139_55 Depth=1
	ds_read_b32 v36, v23 offset:8192
	s_waitcnt lgkmcnt(0)
	v_lshrrev_b32_e32 v4, s20, v36
	v_and_b32_e32 v4, s23, v4
	v_lshlrev_b32_e32 v4, 2, v4
	ds_read_b32 v4, v4
	s_waitcnt lgkmcnt(0)
	v_add3_u32 v4, v33, v4, s14
	v_lshl_add_u64 v[34:35], v[4:5], 2, s[26:27]
	global_store_dword v[34:35], v36, off
.LBB1139_70:                            ;   in Loop: Header=BB1139_55 Depth=1
	s_or_b64 exec, exec, s[8:9]
	v_add_u32_e32 v4, 0xc00, v33
	v_cmp_gt_u32_e32 vcc, s3, v4
	s_and_saveexec_b64 s[8:9], vcc
	s_cbranch_execz .LBB1139_54
; %bb.71:                               ;   in Loop: Header=BB1139_55 Depth=1
	ds_read_b32 v36, v23 offset:12288
	s_waitcnt lgkmcnt(0)
	v_lshrrev_b32_e32 v4, s20, v36
	v_and_b32_e32 v4, s23, v4
	v_lshlrev_b32_e32 v4, 2, v4
	ds_read_b32 v4, v4
	s_waitcnt lgkmcnt(0)
	v_add3_u32 v4, v33, v4, s15
	v_lshl_add_u64 v[34:35], v[4:5], 2, s[26:27]
	global_store_dword v[34:35], v36, off
	s_branch .LBB1139_54
.LBB1139_72:                            ;   in Loop: Header=BB1139_55 Depth=1
	v_add_u32_e32 v4, s11, v32
	ds_write_b32 v4, v10 offset:1024
	s_or_b64 exec, exec, s[8:9]
	v_cmp_gt_u32_e32 vcc, s13, v7
	s_and_saveexec_b64 s[8:9], vcc
	s_cbranch_execz .LBB1139_57
.LBB1139_73:                            ;   in Loop: Header=BB1139_55 Depth=1
	v_add_u32_e32 v4, s11, v31
	ds_write_b32 v4, v11 offset:1024
	s_or_b64 exec, exec, s[8:9]
	v_cmp_gt_u32_e32 vcc, s13, v8
	s_and_saveexec_b64 s[8:9], vcc
	s_cbranch_execz .LBB1139_58
.LBB1139_74:                            ;   in Loop: Header=BB1139_55 Depth=1
	v_add_u32_e32 v4, s11, v30
	ds_write_b32 v4, v3 offset:1024
	s_or_b64 exec, exec, s[8:9]
	v_cmp_gt_u32_e32 vcc, s13, v9
	s_and_saveexec_b64 s[8:9], vcc
	s_cbranch_execz .LBB1139_59
.LBB1139_75:                            ;   in Loop: Header=BB1139_55 Depth=1
	v_add_u32_e32 v4, s11, v29
	ds_write_b32 v4, v13 offset:1024
	s_or_b64 exec, exec, s[8:9]
	v_cmp_gt_u32_e32 vcc, s13, v17
	s_and_saveexec_b64 s[8:9], vcc
	s_cbranch_execz .LBB1139_60
.LBB1139_76:                            ;   in Loop: Header=BB1139_55 Depth=1
	v_add_u32_e32 v4, s11, v27
	ds_write_b32 v4, v12 offset:1024
	s_or_b64 exec, exec, s[8:9]
	v_cmp_gt_u32_e32 vcc, s13, v18
	s_and_saveexec_b64 s[8:9], vcc
	s_cbranch_execz .LBB1139_61
.LBB1139_77:                            ;   in Loop: Header=BB1139_55 Depth=1
	v_add_u32_e32 v4, s11, v26
	ds_write_b32 v4, v15 offset:1024
	s_or_b64 exec, exec, s[8:9]
	v_cmp_gt_u32_e32 vcc, s13, v19
	s_and_saveexec_b64 s[8:9], vcc
	s_cbranch_execz .LBB1139_62
.LBB1139_78:                            ;   in Loop: Header=BB1139_55 Depth=1
	v_add_u32_e32 v4, s11, v25
	ds_write_b32 v4, v14 offset:1024
	s_or_b64 exec, exec, s[8:9]
	v_cmp_gt_u32_e32 vcc, s13, v20
	s_and_saveexec_b64 s[8:9], vcc
	s_cbranch_execnz .LBB1139_63
	s_branch .LBB1139_64
.LBB1139_79:
	s_mov_b64 s[10:11], 0
                                        ; implicit-def: $vgpr4
                                        ; implicit-def: $vgpr2
	s_cbranch_execnz .LBB1139_83
	s_branch .LBB1139_140
.LBB1139_80:
	s_add_i32 s22, s22, -1
	s_cmp_eq_u32 s22, s2
	s_cselect_b64 s[6:7], -1, 0
	s_and_b64 s[6:7], s[4:5], s[6:7]
	s_mov_b64 s[4:5], 0
	s_mov_b64 s[10:11], 0
                                        ; implicit-def: $vgpr4
	s_and_saveexec_b64 s[8:9], s[6:7]
	s_xor_b64 s[6:7], exec, s[8:9]
; %bb.81:
	s_mov_b64 s[10:11], exec
	v_add_u32_e32 v4, v21, v22
; %bb.82:
	s_or_b64 exec, exec, s[6:7]
	s_and_b64 vcc, exec, s[4:5]
	s_cbranch_vccz .LBB1139_140
.LBB1139_83:
	s_lshl_b32 s4, s2, 13
	s_mov_b32 s5, 0
	s_lshl_b64 s[4:5], s[4:5], 2
	v_mbcnt_hi_u32_b32 v6, -1, v1
	v_and_b32_e32 v2, 0x3ff, v0
	s_add_u32 s4, s24, s4
	v_and_b32_e32 v1, 63, v6
	s_addc_u32 s5, s25, s5
	v_mov_b32_e32 v5, 0
	v_lshlrev_b32_e32 v4, 2, v1
	v_lshlrev_b32_e32 v1, 5, v2
	v_lshl_add_u64 v[8:9], s[4:5], 0, v[4:5]
	v_and_b32_e32 v4, 0x7800, v1
	v_lshl_add_u64 v[16:17], v[8:9], 0, v[4:5]
	global_load_dword v3, v[16:17], off
	s_load_dword s4, s[0:1], 0x64
	s_load_dword s3, s[0:1], 0x58
	s_add_u32 s0, s0, 0x58
	s_addc_u32 s1, s1, 0
	v_mul_u32_u24_e32 v7, 5, v2
	s_waitcnt lgkmcnt(0)
	s_lshr_b32 s4, s4, 16
	s_cmp_lt_u32 s2, s3
	s_cselect_b32 s5, 12, 18
	s_add_u32 s0, s0, s5
	s_addc_u32 s1, s1, 0
	global_load_ushort v15, v5, s[0:1]
	v_lshlrev_b32_e32 v7, 2, v7
	ds_write2_b32 v7, v5, v5 offset0:16 offset1:17
	ds_write2_b32 v7, v5, v5 offset0:18 offset1:19
	ds_write_b32 v7, v5 offset:80
	global_load_dword v8, v[16:17], off offset:256
	global_load_dword v9, v[16:17], off offset:512
	;; [unrolled: 1-line block ×7, first 2 shown]
	v_bfe_u32 v1, v0, 10, 10
	v_bfe_u32 v4, v0, 20, 10
	s_lshl_b32 s0, -1, s21
	v_mad_u32_u24 v16, v4, s4, v1
	s_not_b32 s14, s0
	v_mov_b32_e32 v0, v5
	v_mov_b32_e32 v18, v5
	;; [unrolled: 1-line block ×4, first 2 shown]
	s_waitcnt lgkmcnt(0)
	s_barrier
	s_waitcnt lgkmcnt(0)
	; wave barrier
	s_waitcnt vmcnt(8)
	v_lshrrev_b32_e32 v1, s20, v3
	v_and_b32_e32 v26, s14, v1
	v_and_b32_e32 v4, 1, v26
	v_lshlrev_b32_e32 v1, 30, v26
	v_lshlrev_b32_e32 v19, 29, v26
	v_lshl_add_u64 v[24:25], v[4:5], 0, -1
	v_cmp_ne_u32_e32 vcc, 0, v4
	v_cmp_gt_i64_e64 s[0:1], 0, v[0:1]
	v_not_b32_e32 v4, v1
	v_lshlrev_b32_e32 v21, 28, v26
	s_waitcnt vmcnt(7)
	v_mad_u64_u32 v[0:1], s[12:13], v16, v15, v[2:3]
	v_lshlrev_b32_e32 v23, 27, v26
	v_cmp_gt_i64_e64 s[4:5], 0, v[18:19]
	v_not_b32_e32 v18, v19
	v_xor_b32_e32 v1, vcc_hi, v25
	v_xor_b32_e32 v15, vcc_lo, v24
	v_ashrrev_i32_e32 v4, 31, v4
	v_cmp_gt_i64_e64 s[6:7], 0, v[20:21]
	v_not_b32_e32 v19, v21
	v_not_b32_e32 v20, v23
	v_ashrrev_i32_e32 v16, 31, v18
	v_lshrrev_b32_e32 v25, 6, v0
	v_and_b32_e32 v0, exec_hi, v1
	v_and_b32_e32 v1, exec_lo, v15
	v_xor_b32_e32 v15, s1, v4
	v_xor_b32_e32 v4, s0, v4
	v_lshlrev_b32_e32 v17, 26, v26
	v_ashrrev_i32_e32 v18, 31, v19
	v_ashrrev_i32_e32 v19, 31, v20
	v_xor_b32_e32 v20, s5, v16
	v_xor_b32_e32 v16, s4, v16
	v_and_b32_e32 v0, v0, v15
	v_and_b32_e32 v1, v1, v4
	v_cmp_gt_i64_e64 s[8:9], 0, v[22:23]
	v_xor_b32_e32 v21, s7, v18
	v_xor_b32_e32 v18, s6, v18
	v_and_b32_e32 v0, v0, v20
	v_and_b32_e32 v1, v1, v16
	v_mov_b32_e32 v16, v5
	v_not_b32_e32 v4, v17
	v_xor_b32_e32 v22, s9, v19
	v_xor_b32_e32 v23, s8, v19
	v_and_b32_e32 v0, v0, v21
	v_and_b32_e32 v1, v1, v18
	v_cmp_gt_i64_e32 vcc, 0, v[16:17]
	v_ashrrev_i32_e32 v4, 31, v4
	v_and_b32_e32 v0, v0, v22
	v_and_b32_e32 v1, v1, v23
	v_xor_b32_e32 v15, vcc_hi, v4
	v_xor_b32_e32 v4, vcc_lo, v4
	v_and_b32_e32 v15, v0, v15
	v_and_b32_e32 v4, v1, v4
	v_lshlrev_b32_e32 v1, 25, v26
	v_mov_b32_e32 v0, v5
	v_cmp_gt_i64_e32 vcc, 0, v[0:1]
	v_not_b32_e32 v0, v1
	v_ashrrev_i32_e32 v0, 31, v0
	v_xor_b32_e32 v1, vcc_hi, v0
	v_xor_b32_e32 v0, vcc_lo, v0
	v_and_b32_e32 v15, v15, v1
	v_and_b32_e32 v4, v4, v0
	v_lshlrev_b32_e32 v1, 24, v26
	v_mov_b32_e32 v0, v5
	v_cmp_gt_i64_e32 vcc, 0, v[0:1]
	v_not_b32_e32 v0, v1
	v_ashrrev_i32_e32 v0, 31, v0
	v_xor_b32_e32 v1, vcc_hi, v0
	v_xor_b32_e32 v0, vcc_lo, v0
	v_and_b32_e32 v0, v4, v0
	v_and_b32_e32 v1, v15, v1
	v_mbcnt_lo_u32_b32 v4, v0, 0
	v_mbcnt_hi_u32_b32 v15, v1, v4
	v_lshl_add_u32 v27, v26, 4, v26
	v_cmp_eq_u32_e32 vcc, 0, v15
	v_cmp_ne_u64_e64 s[0:1], 0, v[0:1]
	v_add_lshl_u32 v19, v25, v27, 2
	s_and_b64 s[4:5], s[0:1], vcc
	s_and_saveexec_b64 s[0:1], s[4:5]
	s_cbranch_execz .LBB1139_85
; %bb.84:
	v_bcnt_u32_b32 v0, v0, 0
	v_bcnt_u32_b32 v0, v1, v0
	ds_write_b32 v19, v0 offset:64
.LBB1139_85:
	s_or_b64 exec, exec, s[0:1]
	s_waitcnt vmcnt(6)
	v_lshrrev_b32_e32 v0, s20, v8
	v_and_b32_e32 v17, s14, v0
	v_lshl_add_u32 v0, v17, 4, v17
	v_and_b32_e32 v4, 1, v17
	v_add_lshl_u32 v20, v25, v0, 2
	v_lshl_add_u64 v[0:1], v[4:5], 0, -1
	v_cmp_ne_u32_e32 vcc, 0, v4
	; wave barrier
	s_nop 1
	v_xor_b32_e32 v1, vcc_hi, v1
	v_xor_b32_e32 v0, vcc_lo, v0
	v_and_b32_e32 v4, exec_hi, v1
	v_and_b32_e32 v18, exec_lo, v0
	v_lshlrev_b32_e32 v1, 30, v17
	v_mov_b32_e32 v0, v5
	v_cmp_gt_i64_e32 vcc, 0, v[0:1]
	v_not_b32_e32 v0, v1
	v_ashrrev_i32_e32 v0, 31, v0
	v_xor_b32_e32 v1, vcc_hi, v0
	v_xor_b32_e32 v0, vcc_lo, v0
	v_and_b32_e32 v4, v4, v1
	v_and_b32_e32 v18, v18, v0
	v_lshlrev_b32_e32 v1, 29, v17
	v_mov_b32_e32 v0, v5
	v_cmp_gt_i64_e32 vcc, 0, v[0:1]
	v_not_b32_e32 v0, v1
	v_ashrrev_i32_e32 v0, 31, v0
	v_xor_b32_e32 v1, vcc_hi, v0
	v_xor_b32_e32 v0, vcc_lo, v0
	v_and_b32_e32 v4, v4, v1
	v_and_b32_e32 v18, v18, v0
	;; [unrolled: 9-line block ×6, first 2 shown]
	v_lshlrev_b32_e32 v1, 24, v17
	v_mov_b32_e32 v0, v5
	v_cmp_gt_i64_e32 vcc, 0, v[0:1]
	v_not_b32_e32 v0, v1
	v_ashrrev_i32_e32 v0, 31, v0
	v_xor_b32_e32 v1, vcc_hi, v0
	v_xor_b32_e32 v0, vcc_lo, v0
	ds_read_b32 v16, v20 offset:64
	v_and_b32_e32 v0, v18, v0
	v_and_b32_e32 v1, v4, v1
	v_mbcnt_lo_u32_b32 v4, v0, 0
	v_mbcnt_hi_u32_b32 v17, v1, v4
	v_cmp_eq_u32_e32 vcc, 0, v17
	v_cmp_ne_u64_e64 s[0:1], 0, v[0:1]
	s_and_b64 s[4:5], s[0:1], vcc
	; wave barrier
	s_and_saveexec_b64 s[0:1], s[4:5]
	s_cbranch_execz .LBB1139_87
; %bb.86:
	v_bcnt_u32_b32 v0, v0, 0
	v_bcnt_u32_b32 v0, v1, v0
	s_waitcnt lgkmcnt(0)
	v_add_u32_e32 v0, v16, v0
	ds_write_b32 v20, v0 offset:64
.LBB1139_87:
	s_or_b64 exec, exec, s[0:1]
	s_waitcnt vmcnt(5)
	v_lshrrev_b32_e32 v0, s20, v9
	v_and_b32_e32 v21, s14, v0
	v_lshl_add_u32 v0, v21, 4, v21
	v_add_lshl_u32 v23, v25, v0, 2
	v_and_b32_e32 v0, 1, v21
	v_mov_b32_e32 v1, 0
	v_lshl_add_u64 v[4:5], v[0:1], 0, -1
	v_cmp_ne_u32_e32 vcc, 0, v0
	; wave barrier
	s_nop 1
	v_xor_b32_e32 v4, vcc_lo, v4
	v_xor_b32_e32 v0, vcc_hi, v5
	v_and_b32_e32 v22, exec_lo, v4
	v_lshlrev_b32_e32 v5, 30, v21
	v_mov_b32_e32 v4, v1
	v_cmp_gt_i64_e32 vcc, 0, v[4:5]
	v_not_b32_e32 v4, v5
	v_ashrrev_i32_e32 v4, 31, v4
	v_and_b32_e32 v0, exec_hi, v0
	v_xor_b32_e32 v5, vcc_hi, v4
	v_xor_b32_e32 v4, vcc_lo, v4
	v_and_b32_e32 v0, v0, v5
	v_and_b32_e32 v22, v22, v4
	v_lshlrev_b32_e32 v5, 29, v21
	v_mov_b32_e32 v4, v1
	v_cmp_gt_i64_e32 vcc, 0, v[4:5]
	v_not_b32_e32 v4, v5
	v_ashrrev_i32_e32 v4, 31, v4
	v_xor_b32_e32 v5, vcc_hi, v4
	v_xor_b32_e32 v4, vcc_lo, v4
	v_and_b32_e32 v0, v0, v5
	v_and_b32_e32 v22, v22, v4
	v_lshlrev_b32_e32 v5, 28, v21
	v_mov_b32_e32 v4, v1
	v_cmp_gt_i64_e32 vcc, 0, v[4:5]
	v_not_b32_e32 v4, v5
	v_ashrrev_i32_e32 v4, 31, v4
	;; [unrolled: 9-line block ×6, first 2 shown]
	v_xor_b32_e32 v5, vcc_hi, v4
	v_xor_b32_e32 v4, vcc_lo, v4
	ds_read_b32 v18, v23 offset:64
	v_and_b32_e32 v4, v22, v4
	v_and_b32_e32 v5, v0, v5
	v_mbcnt_lo_u32_b32 v0, v4, 0
	v_mbcnt_hi_u32_b32 v21, v5, v0
	v_cmp_eq_u32_e32 vcc, 0, v21
	v_cmp_ne_u64_e64 s[0:1], 0, v[4:5]
	s_and_b64 s[4:5], s[0:1], vcc
	; wave barrier
	s_and_saveexec_b64 s[0:1], s[4:5]
	s_cbranch_execz .LBB1139_89
; %bb.88:
	v_bcnt_u32_b32 v0, v4, 0
	v_bcnt_u32_b32 v0, v5, v0
	s_waitcnt lgkmcnt(0)
	v_add_u32_e32 v0, v18, v0
	ds_write_b32 v23, v0 offset:64
.LBB1139_89:
	s_or_b64 exec, exec, s[0:1]
	s_waitcnt vmcnt(4)
	v_lshrrev_b32_e32 v0, s20, v10
	v_and_b32_e32 v24, s14, v0
	v_lshl_add_u32 v0, v24, 4, v24
	v_add_lshl_u32 v27, v25, v0, 2
	v_and_b32_e32 v0, 1, v24
	v_lshl_add_u64 v[4:5], v[0:1], 0, -1
	v_cmp_ne_u32_e32 vcc, 0, v0
	; wave barrier
	s_nop 1
	v_xor_b32_e32 v4, vcc_lo, v4
	v_xor_b32_e32 v0, vcc_hi, v5
	v_and_b32_e32 v26, exec_lo, v4
	v_lshlrev_b32_e32 v5, 30, v24
	v_mov_b32_e32 v4, v1
	v_cmp_gt_i64_e32 vcc, 0, v[4:5]
	v_not_b32_e32 v4, v5
	v_ashrrev_i32_e32 v4, 31, v4
	v_and_b32_e32 v0, exec_hi, v0
	v_xor_b32_e32 v5, vcc_hi, v4
	v_xor_b32_e32 v4, vcc_lo, v4
	v_and_b32_e32 v0, v0, v5
	v_and_b32_e32 v26, v26, v4
	v_lshlrev_b32_e32 v5, 29, v24
	v_mov_b32_e32 v4, v1
	v_cmp_gt_i64_e32 vcc, 0, v[4:5]
	v_not_b32_e32 v4, v5
	v_ashrrev_i32_e32 v4, 31, v4
	v_xor_b32_e32 v5, vcc_hi, v4
	v_xor_b32_e32 v4, vcc_lo, v4
	v_and_b32_e32 v0, v0, v5
	v_and_b32_e32 v26, v26, v4
	v_lshlrev_b32_e32 v5, 28, v24
	v_mov_b32_e32 v4, v1
	v_cmp_gt_i64_e32 vcc, 0, v[4:5]
	v_not_b32_e32 v4, v5
	v_ashrrev_i32_e32 v4, 31, v4
	;; [unrolled: 9-line block ×5, first 2 shown]
	v_xor_b32_e32 v5, vcc_hi, v4
	v_xor_b32_e32 v4, vcc_lo, v4
	v_and_b32_e32 v0, v0, v5
	v_lshlrev_b32_e32 v5, 24, v24
	v_and_b32_e32 v26, v26, v4
	v_mov_b32_e32 v4, v1
	v_not_b32_e32 v1, v5
	v_cmp_gt_i64_e32 vcc, 0, v[4:5]
	v_ashrrev_i32_e32 v1, 31, v1
	ds_read_b32 v22, v27 offset:64
	v_xor_b32_e32 v4, vcc_hi, v1
	v_xor_b32_e32 v5, vcc_lo, v1
	v_and_b32_e32 v1, v0, v4
	v_and_b32_e32 v0, v26, v5
	v_mbcnt_lo_u32_b32 v4, v0, 0
	v_mbcnt_hi_u32_b32 v24, v1, v4
	v_cmp_eq_u32_e32 vcc, 0, v24
	v_cmp_ne_u64_e64 s[0:1], 0, v[0:1]
	s_and_b64 s[4:5], s[0:1], vcc
	; wave barrier
	s_and_saveexec_b64 s[0:1], s[4:5]
	s_cbranch_execz .LBB1139_91
; %bb.90:
	v_bcnt_u32_b32 v0, v0, 0
	v_bcnt_u32_b32 v0, v1, v0
	s_waitcnt lgkmcnt(0)
	v_add_u32_e32 v0, v22, v0
	ds_write_b32 v27, v0 offset:64
.LBB1139_91:
	s_or_b64 exec, exec, s[0:1]
	s_waitcnt vmcnt(3)
	v_lshrrev_b32_e32 v0, s20, v11
	v_and_b32_e32 v28, s14, v0
	v_lshl_add_u32 v0, v28, 4, v28
	v_add_lshl_u32 v30, v25, v0, 2
	v_and_b32_e32 v0, 1, v28
	v_mov_b32_e32 v1, 0
	v_lshl_add_u64 v[4:5], v[0:1], 0, -1
	v_cmp_ne_u32_e32 vcc, 0, v0
	; wave barrier
	s_nop 1
	v_xor_b32_e32 v4, vcc_lo, v4
	v_xor_b32_e32 v0, vcc_hi, v5
	v_and_b32_e32 v29, exec_lo, v4
	v_lshlrev_b32_e32 v5, 30, v28
	v_mov_b32_e32 v4, v1
	v_cmp_gt_i64_e32 vcc, 0, v[4:5]
	v_not_b32_e32 v4, v5
	v_ashrrev_i32_e32 v4, 31, v4
	v_and_b32_e32 v0, exec_hi, v0
	v_xor_b32_e32 v5, vcc_hi, v4
	v_xor_b32_e32 v4, vcc_lo, v4
	v_and_b32_e32 v0, v0, v5
	v_and_b32_e32 v29, v29, v4
	v_lshlrev_b32_e32 v5, 29, v28
	v_mov_b32_e32 v4, v1
	v_cmp_gt_i64_e32 vcc, 0, v[4:5]
	v_not_b32_e32 v4, v5
	v_ashrrev_i32_e32 v4, 31, v4
	v_xor_b32_e32 v5, vcc_hi, v4
	v_xor_b32_e32 v4, vcc_lo, v4
	v_and_b32_e32 v0, v0, v5
	v_and_b32_e32 v29, v29, v4
	v_lshlrev_b32_e32 v5, 28, v28
	v_mov_b32_e32 v4, v1
	v_cmp_gt_i64_e32 vcc, 0, v[4:5]
	v_not_b32_e32 v4, v5
	v_ashrrev_i32_e32 v4, 31, v4
	v_xor_b32_e32 v5, vcc_hi, v4
	v_xor_b32_e32 v4, vcc_lo, v4
	v_and_b32_e32 v0, v0, v5
	v_and_b32_e32 v29, v29, v4
	v_lshlrev_b32_e32 v5, 27, v28
	v_mov_b32_e32 v4, v1
	v_cmp_gt_i64_e32 vcc, 0, v[4:5]
	v_not_b32_e32 v4, v5
	v_ashrrev_i32_e32 v4, 31, v4
	v_xor_b32_e32 v5, vcc_hi, v4
	v_xor_b32_e32 v4, vcc_lo, v4
	v_and_b32_e32 v0, v0, v5
	v_and_b32_e32 v29, v29, v4
	v_lshlrev_b32_e32 v5, 26, v28
	v_mov_b32_e32 v4, v1
	v_cmp_gt_i64_e32 vcc, 0, v[4:5]
	v_not_b32_e32 v4, v5
	v_ashrrev_i32_e32 v4, 31, v4
	v_xor_b32_e32 v5, vcc_hi, v4
	v_xor_b32_e32 v4, vcc_lo, v4
	v_and_b32_e32 v0, v0, v5
	v_and_b32_e32 v29, v29, v4
	v_lshlrev_b32_e32 v5, 25, v28
	v_mov_b32_e32 v4, v1
	v_cmp_gt_i64_e32 vcc, 0, v[4:5]
	v_not_b32_e32 v4, v5
	v_ashrrev_i32_e32 v4, 31, v4
	v_xor_b32_e32 v5, vcc_hi, v4
	v_xor_b32_e32 v4, vcc_lo, v4
	v_and_b32_e32 v0, v0, v5
	v_and_b32_e32 v29, v29, v4
	v_lshlrev_b32_e32 v5, 24, v28
	v_mov_b32_e32 v4, v1
	v_cmp_gt_i64_e32 vcc, 0, v[4:5]
	v_not_b32_e32 v4, v5
	v_ashrrev_i32_e32 v4, 31, v4
	v_xor_b32_e32 v5, vcc_hi, v4
	v_xor_b32_e32 v4, vcc_lo, v4
	ds_read_b32 v26, v30 offset:64
	v_and_b32_e32 v4, v29, v4
	v_and_b32_e32 v5, v0, v5
	v_mbcnt_lo_u32_b32 v0, v4, 0
	v_mbcnt_hi_u32_b32 v28, v5, v0
	v_cmp_eq_u32_e32 vcc, 0, v28
	v_cmp_ne_u64_e64 s[0:1], 0, v[4:5]
	s_and_b64 s[4:5], s[0:1], vcc
	; wave barrier
	s_and_saveexec_b64 s[0:1], s[4:5]
	s_cbranch_execz .LBB1139_93
; %bb.92:
	v_bcnt_u32_b32 v0, v4, 0
	v_bcnt_u32_b32 v0, v5, v0
	s_waitcnt lgkmcnt(0)
	v_add_u32_e32 v0, v26, v0
	ds_write_b32 v30, v0 offset:64
.LBB1139_93:
	s_or_b64 exec, exec, s[0:1]
	s_waitcnt vmcnt(2)
	v_lshrrev_b32_e32 v0, s20, v12
	v_and_b32_e32 v31, s14, v0
	v_lshl_add_u32 v0, v31, 4, v31
	v_add_lshl_u32 v33, v25, v0, 2
	v_and_b32_e32 v0, 1, v31
	v_lshl_add_u64 v[4:5], v[0:1], 0, -1
	v_cmp_ne_u32_e32 vcc, 0, v0
	; wave barrier
	s_nop 1
	v_xor_b32_e32 v4, vcc_lo, v4
	v_xor_b32_e32 v0, vcc_hi, v5
	v_and_b32_e32 v32, exec_lo, v4
	v_lshlrev_b32_e32 v5, 30, v31
	v_mov_b32_e32 v4, v1
	v_cmp_gt_i64_e32 vcc, 0, v[4:5]
	v_not_b32_e32 v4, v5
	v_ashrrev_i32_e32 v4, 31, v4
	v_and_b32_e32 v0, exec_hi, v0
	v_xor_b32_e32 v5, vcc_hi, v4
	v_xor_b32_e32 v4, vcc_lo, v4
	v_and_b32_e32 v0, v0, v5
	v_and_b32_e32 v32, v32, v4
	v_lshlrev_b32_e32 v5, 29, v31
	v_mov_b32_e32 v4, v1
	v_cmp_gt_i64_e32 vcc, 0, v[4:5]
	v_not_b32_e32 v4, v5
	v_ashrrev_i32_e32 v4, 31, v4
	v_xor_b32_e32 v5, vcc_hi, v4
	v_xor_b32_e32 v4, vcc_lo, v4
	v_and_b32_e32 v0, v0, v5
	v_and_b32_e32 v32, v32, v4
	v_lshlrev_b32_e32 v5, 28, v31
	v_mov_b32_e32 v4, v1
	v_cmp_gt_i64_e32 vcc, 0, v[4:5]
	v_not_b32_e32 v4, v5
	v_ashrrev_i32_e32 v4, 31, v4
	;; [unrolled: 9-line block ×5, first 2 shown]
	v_xor_b32_e32 v5, vcc_hi, v4
	v_xor_b32_e32 v4, vcc_lo, v4
	v_and_b32_e32 v0, v0, v5
	v_lshlrev_b32_e32 v5, 24, v31
	v_and_b32_e32 v32, v32, v4
	v_mov_b32_e32 v4, v1
	v_not_b32_e32 v1, v5
	v_cmp_gt_i64_e32 vcc, 0, v[4:5]
	v_ashrrev_i32_e32 v1, 31, v1
	ds_read_b32 v29, v33 offset:64
	v_xor_b32_e32 v4, vcc_hi, v1
	v_xor_b32_e32 v5, vcc_lo, v1
	v_and_b32_e32 v1, v0, v4
	v_and_b32_e32 v0, v32, v5
	v_mbcnt_lo_u32_b32 v4, v0, 0
	v_mbcnt_hi_u32_b32 v31, v1, v4
	v_cmp_eq_u32_e32 vcc, 0, v31
	v_cmp_ne_u64_e64 s[0:1], 0, v[0:1]
	s_and_b64 s[4:5], s[0:1], vcc
	; wave barrier
	s_and_saveexec_b64 s[0:1], s[4:5]
	s_cbranch_execz .LBB1139_95
; %bb.94:
	v_bcnt_u32_b32 v0, v0, 0
	v_bcnt_u32_b32 v0, v1, v0
	s_waitcnt lgkmcnt(0)
	v_add_u32_e32 v0, v29, v0
	ds_write_b32 v33, v0 offset:64
.LBB1139_95:
	s_or_b64 exec, exec, s[0:1]
	s_waitcnt vmcnt(1)
	v_lshrrev_b32_e32 v0, s20, v13
	v_and_b32_e32 v34, s14, v0
	v_lshl_add_u32 v0, v34, 4, v34
	v_add_lshl_u32 v36, v25, v0, 2
	v_and_b32_e32 v0, 1, v34
	v_mov_b32_e32 v1, 0
	v_lshl_add_u64 v[4:5], v[0:1], 0, -1
	v_cmp_ne_u32_e32 vcc, 0, v0
	; wave barrier
	s_nop 1
	v_xor_b32_e32 v4, vcc_lo, v4
	v_xor_b32_e32 v0, vcc_hi, v5
	v_and_b32_e32 v35, exec_lo, v4
	v_lshlrev_b32_e32 v5, 30, v34
	v_mov_b32_e32 v4, v1
	v_cmp_gt_i64_e32 vcc, 0, v[4:5]
	v_not_b32_e32 v4, v5
	v_ashrrev_i32_e32 v4, 31, v4
	v_and_b32_e32 v0, exec_hi, v0
	v_xor_b32_e32 v5, vcc_hi, v4
	v_xor_b32_e32 v4, vcc_lo, v4
	v_and_b32_e32 v0, v0, v5
	v_and_b32_e32 v35, v35, v4
	v_lshlrev_b32_e32 v5, 29, v34
	v_mov_b32_e32 v4, v1
	v_cmp_gt_i64_e32 vcc, 0, v[4:5]
	v_not_b32_e32 v4, v5
	v_ashrrev_i32_e32 v4, 31, v4
	v_xor_b32_e32 v5, vcc_hi, v4
	v_xor_b32_e32 v4, vcc_lo, v4
	v_and_b32_e32 v0, v0, v5
	v_and_b32_e32 v35, v35, v4
	v_lshlrev_b32_e32 v5, 28, v34
	v_mov_b32_e32 v4, v1
	v_cmp_gt_i64_e32 vcc, 0, v[4:5]
	v_not_b32_e32 v4, v5
	v_ashrrev_i32_e32 v4, 31, v4
	;; [unrolled: 9-line block ×6, first 2 shown]
	v_xor_b32_e32 v5, vcc_hi, v4
	v_xor_b32_e32 v4, vcc_lo, v4
	ds_read_b32 v32, v36 offset:64
	v_and_b32_e32 v4, v35, v4
	v_and_b32_e32 v5, v0, v5
	v_mbcnt_lo_u32_b32 v0, v4, 0
	v_mbcnt_hi_u32_b32 v34, v5, v0
	v_cmp_eq_u32_e32 vcc, 0, v34
	v_cmp_ne_u64_e64 s[0:1], 0, v[4:5]
	s_and_b64 s[4:5], s[0:1], vcc
	; wave barrier
	s_and_saveexec_b64 s[0:1], s[4:5]
	s_cbranch_execz .LBB1139_97
; %bb.96:
	v_bcnt_u32_b32 v0, v4, 0
	v_bcnt_u32_b32 v0, v5, v0
	s_waitcnt lgkmcnt(0)
	v_add_u32_e32 v0, v32, v0
	ds_write_b32 v36, v0 offset:64
.LBB1139_97:
	s_or_b64 exec, exec, s[0:1]
	s_waitcnt vmcnt(0)
	v_lshrrev_b32_e32 v0, s20, v14
	v_and_b32_e32 v37, s14, v0
	v_lshl_add_u32 v0, v37, 4, v37
	v_add_lshl_u32 v38, v25, v0, 2
	v_and_b32_e32 v0, 1, v37
	v_lshl_add_u64 v[4:5], v[0:1], 0, -1
	v_cmp_ne_u32_e32 vcc, 0, v0
	; wave barrier
	s_nop 1
	v_xor_b32_e32 v4, vcc_lo, v4
	v_xor_b32_e32 v0, vcc_hi, v5
	v_and_b32_e32 v25, exec_lo, v4
	v_lshlrev_b32_e32 v5, 30, v37
	v_mov_b32_e32 v4, v1
	v_cmp_gt_i64_e32 vcc, 0, v[4:5]
	v_not_b32_e32 v4, v5
	v_ashrrev_i32_e32 v4, 31, v4
	v_and_b32_e32 v0, exec_hi, v0
	v_xor_b32_e32 v5, vcc_hi, v4
	v_xor_b32_e32 v4, vcc_lo, v4
	v_and_b32_e32 v0, v0, v5
	v_and_b32_e32 v25, v25, v4
	v_lshlrev_b32_e32 v5, 29, v37
	v_mov_b32_e32 v4, v1
	v_cmp_gt_i64_e32 vcc, 0, v[4:5]
	v_not_b32_e32 v4, v5
	v_ashrrev_i32_e32 v4, 31, v4
	v_xor_b32_e32 v5, vcc_hi, v4
	v_xor_b32_e32 v4, vcc_lo, v4
	v_and_b32_e32 v0, v0, v5
	v_and_b32_e32 v25, v25, v4
	v_lshlrev_b32_e32 v5, 28, v37
	v_mov_b32_e32 v4, v1
	v_cmp_gt_i64_e32 vcc, 0, v[4:5]
	v_not_b32_e32 v4, v5
	v_ashrrev_i32_e32 v4, 31, v4
	;; [unrolled: 9-line block ×5, first 2 shown]
	v_xor_b32_e32 v5, vcc_hi, v4
	v_xor_b32_e32 v4, vcc_lo, v4
	v_and_b32_e32 v0, v0, v5
	v_lshlrev_b32_e32 v5, 24, v37
	v_and_b32_e32 v25, v25, v4
	v_mov_b32_e32 v4, v1
	v_not_b32_e32 v1, v5
	v_cmp_gt_i64_e32 vcc, 0, v[4:5]
	v_ashrrev_i32_e32 v1, 31, v1
	ds_read_b32 v35, v38 offset:64
	v_xor_b32_e32 v4, vcc_hi, v1
	v_xor_b32_e32 v5, vcc_lo, v1
	v_and_b32_e32 v1, v0, v4
	v_and_b32_e32 v0, v25, v5
	v_mbcnt_lo_u32_b32 v4, v0, 0
	v_mbcnt_hi_u32_b32 v37, v1, v4
	v_cmp_eq_u32_e32 vcc, 0, v37
	v_cmp_ne_u64_e64 s[0:1], 0, v[0:1]
	v_add_u32_e32 v39, 64, v7
	s_and_b64 s[4:5], s[0:1], vcc
	; wave barrier
	s_and_saveexec_b64 s[0:1], s[4:5]
	s_cbranch_execz .LBB1139_99
; %bb.98:
	v_bcnt_u32_b32 v0, v0, 0
	v_bcnt_u32_b32 v0, v1, v0
	s_waitcnt lgkmcnt(0)
	v_add_u32_e32 v0, v35, v0
	ds_write_b32 v38, v0 offset:64
.LBB1139_99:
	s_or_b64 exec, exec, s[0:1]
	; wave barrier
	s_waitcnt lgkmcnt(0)
	s_barrier
	ds_read2_b32 v[4:5], v7 offset0:16 offset1:17
	ds_read2_b32 v[0:1], v39 offset0:2 offset1:3
	ds_read_b32 v25, v39 offset:16
	v_cmp_lt_u32_e64 s[8:9], 31, v6
	s_waitcnt lgkmcnt(1)
	v_add3_u32 v40, v5, v4, v0
	s_waitcnt lgkmcnt(0)
	v_add3_u32 v25, v40, v1, v25
	v_and_b32_e32 v40, 15, v6
	v_cmp_eq_u32_e32 vcc, 0, v40
	v_mov_b32_dpp v41, v25 row_shr:1 row_mask:0xf bank_mask:0xf
	v_cmp_lt_u32_e64 s[0:1], 1, v40
	v_cndmask_b32_e64 v41, v41, 0, vcc
	v_add_u32_e32 v25, v41, v25
	v_cmp_lt_u32_e64 s[6:7], 3, v40
	v_cmp_lt_u32_e64 s[4:5], 7, v40
	v_mov_b32_dpp v41, v25 row_shr:2 row_mask:0xf bank_mask:0xf
	v_cndmask_b32_e64 v41, 0, v41, s[0:1]
	v_add_u32_e32 v25, v25, v41
	s_nop 1
	v_mov_b32_dpp v41, v25 row_shr:4 row_mask:0xf bank_mask:0xf
	v_cndmask_b32_e64 v41, 0, v41, s[6:7]
	v_add_u32_e32 v25, v25, v41
	s_nop 1
	v_mov_b32_dpp v41, v25 row_shr:8 row_mask:0xf bank_mask:0xf
	v_cndmask_b32_e64 v40, 0, v41, s[4:5]
	v_add_u32_e32 v25, v25, v40
	v_bfe_i32 v41, v6, 4, 1
	s_nop 0
	v_mov_b32_dpp v40, v25 row_bcast:15 row_mask:0xf bank_mask:0xf
	v_and_b32_e32 v40, v41, v40
	v_add_u32_e32 v25, v25, v40
	v_lshrrev_b32_e32 v41, 6, v2
	s_nop 0
	v_mov_b32_dpp v40, v25 row_bcast:31 row_mask:0xf bank_mask:0xf
	v_cndmask_b32_e64 v40, 0, v40, s[8:9]
	v_add_u32_e32 v40, v25, v40
	v_and_b32_e32 v25, 63, v2
	v_cmp_eq_u32_e64 s[8:9], 63, v25
	s_and_saveexec_b64 s[12:13], s[8:9]
	s_cbranch_execz .LBB1139_101
; %bb.100:
	v_lshlrev_b32_e32 v25, 2, v41
	ds_write_b32 v25, v40
.LBB1139_101:
	s_or_b64 exec, exec, s[12:13]
	v_cmp_gt_u32_e64 s[8:9], 16, v2
	v_lshlrev_b32_e32 v25, 2, v2
	s_waitcnt lgkmcnt(0)
	s_barrier
	s_and_saveexec_b64 s[12:13], s[8:9]
	s_cbranch_execz .LBB1139_103
; %bb.102:
	ds_read_b32 v42, v25
	s_waitcnt lgkmcnt(0)
	s_nop 0
	v_mov_b32_dpp v43, v42 row_shr:1 row_mask:0xf bank_mask:0xf
	v_cndmask_b32_e64 v43, v43, 0, vcc
	v_add_u32_e32 v42, v43, v42
	s_nop 1
	v_mov_b32_dpp v43, v42 row_shr:2 row_mask:0xf bank_mask:0xf
	v_cndmask_b32_e64 v43, 0, v43, s[0:1]
	v_add_u32_e32 v42, v42, v43
	s_nop 1
	v_mov_b32_dpp v43, v42 row_shr:4 row_mask:0xf bank_mask:0xf
	v_cndmask_b32_e64 v43, 0, v43, s[6:7]
	;; [unrolled: 4-line block ×3, first 2 shown]
	v_add_u32_e32 v42, v42, v43
	ds_write_b32 v25, v42
.LBB1139_103:
	s_or_b64 exec, exec, s[12:13]
	v_cmp_lt_u32_e32 vcc, 63, v2
	v_mov_b32_e32 v42, 0
	s_waitcnt lgkmcnt(0)
	s_barrier
	s_and_saveexec_b64 s[0:1], vcc
	s_cbranch_execz .LBB1139_105
; %bb.104:
	v_lshl_add_u32 v41, v41, 2, -4
	ds_read_b32 v42, v41
.LBB1139_105:
	s_or_b64 exec, exec, s[0:1]
	v_add_u32_e32 v41, -1, v6
	v_and_b32_e32 v43, 64, v6
	v_cmp_lt_i32_e32 vcc, v41, v43
	s_waitcnt lgkmcnt(0)
	v_add_u32_e32 v40, v42, v40
	s_movk_i32 s0, 0x100
	v_cndmask_b32_e32 v41, v41, v6, vcc
	v_lshlrev_b32_e32 v41, 2, v41
	ds_bpermute_b32 v40, v41, v40
	v_cmp_eq_u32_e32 vcc, 0, v6
	v_cmp_gt_u32_e64 s[0:1], s0, v2
	s_waitcnt lgkmcnt(0)
	v_cndmask_b32_e32 v6, v40, v42, vcc
	v_cmp_ne_u32_e32 vcc, 0, v2
	s_nop 1
	v_cndmask_b32_e32 v6, 0, v6, vcc
	v_add_u32_e32 v4, v6, v4
	v_add_u32_e32 v5, v4, v5
	;; [unrolled: 1-line block ×4, first 2 shown]
	ds_write2_b32 v7, v6, v4 offset0:16 offset1:17
	ds_write2_b32 v39, v5, v0 offset0:2 offset1:3
	ds_write_b32 v39, v1 offset:16
	s_waitcnt lgkmcnt(0)
	s_barrier
	ds_read_b32 v43, v19 offset:64
	ds_read_b32 v39, v20 offset:64
	ds_read_b32 v40, v23 offset:64
	ds_read_b32 v41, v27 offset:64
	ds_read_b32 v42, v30 offset:64
	ds_read_b32 v30, v33 offset:64
	ds_read_b32 v23, v36 offset:64
	ds_read_b32 v27, v38 offset:64
                                        ; implicit-def: $vgpr19
                                        ; implicit-def: $vgpr20
	s_and_saveexec_b64 s[4:5], s[0:1]
	s_cbranch_execz .LBB1139_109
; %bb.106:
	v_mul_u32_u24_e32 v0, 17, v2
	v_lshlrev_b32_e32 v1, 2, v0
	ds_read_b32 v19, v1 offset:64
	s_movk_i32 s6, 0xff
	v_cmp_ne_u32_e32 vcc, s6, v2
	v_mov_b32_e32 v0, 0x2000
	s_and_saveexec_b64 s[6:7], vcc
	s_cbranch_execz .LBB1139_108
; %bb.107:
	ds_read_b32 v0, v1 offset:132
.LBB1139_108:
	s_or_b64 exec, exec, s[6:7]
	s_waitcnt lgkmcnt(0)
	v_sub_u32_e32 v20, v0, v19
.LBB1139_109:
	s_or_b64 exec, exec, s[4:5]
	s_waitcnt lgkmcnt(0)
	s_barrier
	s_and_saveexec_b64 s[4:5], s[0:1]
	s_cbranch_execz .LBB1139_119
; %bb.110:
	v_lshl_or_b32 v4, s2, 8, v2
	v_mov_b32_e32 v5, 0
	v_lshl_add_u64 v[0:1], v[4:5], 2, s[28:29]
	v_or_b32_e32 v4, 2.0, v20
	s_mov_b64 s[6:7], 0
	s_brev_b32 s15, 1
	s_mov_b32 s21, s2
	v_mov_b32_e32 v33, 0
	global_store_dword v[0:1], v4, off sc1
                                        ; implicit-def: $sgpr8_sgpr9
	s_branch .LBB1139_113
.LBB1139_111:                           ;   in Loop: Header=BB1139_113 Depth=1
	s_or_b64 exec, exec, s[12:13]
.LBB1139_112:                           ;   in Loop: Header=BB1139_113 Depth=1
	s_or_b64 exec, exec, s[8:9]
	v_and_b32_e32 v6, 0x3fffffff, v36
	v_add_u32_e32 v33, v6, v33
	v_cmp_eq_u32_e64 s[8:9], s15, v4
	s_and_b64 s[12:13], exec, s[8:9]
	s_or_b64 s[6:7], s[12:13], s[6:7]
	s_andn2_b64 exec, exec, s[6:7]
	s_cbranch_execz .LBB1139_118
.LBB1139_113:                           ; =>This Loop Header: Depth=1
                                        ;     Child Loop BB1139_116 Depth 2
	s_or_b64 s[8:9], s[8:9], exec
	s_cmp_eq_u32 s21, 0
	s_cbranch_scc1 .LBB1139_117
; %bb.114:                              ;   in Loop: Header=BB1139_113 Depth=1
	s_add_i32 s21, s21, -1
	v_lshl_or_b32 v4, s21, 8, v2
	v_lshl_add_u64 v[6:7], v[4:5], 2, s[28:29]
	global_load_dword v36, v[6:7], off sc1
	s_waitcnt vmcnt(0)
	v_and_b32_e32 v4, -2.0, v36
	v_cmp_eq_u32_e32 vcc, 0, v4
	s_and_saveexec_b64 s[8:9], vcc
	s_cbranch_execz .LBB1139_112
; %bb.115:                              ;   in Loop: Header=BB1139_113 Depth=1
	s_mov_b64 s[12:13], 0
.LBB1139_116:                           ;   Parent Loop BB1139_113 Depth=1
                                        ; =>  This Inner Loop Header: Depth=2
	global_load_dword v36, v[6:7], off sc1
	s_waitcnt vmcnt(0)
	v_and_b32_e32 v4, -2.0, v36
	v_cmp_ne_u32_e32 vcc, 0, v4
	s_or_b64 s[12:13], vcc, s[12:13]
	s_andn2_b64 exec, exec, s[12:13]
	s_cbranch_execnz .LBB1139_116
	s_branch .LBB1139_111
.LBB1139_117:                           ;   in Loop: Header=BB1139_113 Depth=1
                                        ; implicit-def: $sgpr21
	s_and_b64 s[12:13], exec, s[8:9]
	s_or_b64 s[6:7], s[12:13], s[6:7]
	s_andn2_b64 exec, exec, s[6:7]
	s_cbranch_execnz .LBB1139_113
.LBB1139_118:
	s_or_b64 exec, exec, s[6:7]
	v_add_u32_e32 v4, v33, v20
	v_or_b32_e32 v4, 0x80000000, v4
	global_store_dword v[0:1], v4, off sc1
	global_load_dword v0, v25, s[16:17]
	v_sub_u32_e32 v1, v33, v19
	s_waitcnt vmcnt(0)
	v_add_u32_e32 v0, v1, v0
	ds_write_b32 v25, v0
.LBB1139_119:
	s_or_b64 exec, exec, s[4:5]
	v_add_u32_e32 v0, v37, v35
	v_add_u32_e32 v1, v34, v32
	;; [unrolled: 1-line block ×8, first 2 shown]
	s_movk_i32 s8, 0x400
	v_add_u32_e32 v5, 0x400, v25
	v_add_lshl_u32 v6, v0, v27, 2
	v_add3_u32 v7, v37, v27, v35
	v_add_lshl_u32 v15, v1, v23, 2
	v_add3_u32 v23, v34, v23, v32
	v_add_lshl_u32 v27, v33, v30, 2
	v_add3_u32 v29, v31, v30, v29
	v_add_lshl_u32 v30, v36, v42, 2
	v_add3_u32 v26, v28, v42, v26
	v_add_lshl_u32 v28, v38, v41, 2
	v_add3_u32 v22, v24, v41, v22
	v_add_lshl_u32 v24, v44, v40, 2
	v_add3_u32 v18, v21, v40, v18
	v_add_lshl_u32 v21, v45, v39, 2
	v_add3_u32 v16, v17, v39, v16
	v_lshlrev_b32_e32 v17, 2, v4
	s_mov_b64 s[4:5], -1
	s_mov_b32 s9, 0
	s_mov_b32 s12, 0
	s_movk_i32 s13, 0x1000
	s_movk_i32 s15, 0x800
	;; [unrolled: 1-line block ×3, first 2 shown]
	v_mov_b32_e32 v1, 0
	v_mov_b32_e32 v31, v2
	s_branch .LBB1139_121
.LBB1139_120:                           ;   in Loop: Header=BB1139_121 Depth=1
	s_or_b64 exec, exec, s[6:7]
	s_waitcnt lgkmcnt(0)
	s_barrier
	ds_read_b32 v36, v25 offset:1024
	ds_read2st64_b32 v[32:33], v5 offset0:16 offset1:32
	s_xor_b64 s[6:7], s[4:5], -1
	s_addk_i32 s9, 0xc000
	s_addk_i32 s12, 0xf000
	s_waitcnt lgkmcnt(1)
	v_lshrrev_b32_e32 v0, s20, v36
	v_and_b32_e32 v0, s14, v0
	v_lshlrev_b32_e32 v0, 2, v0
	s_waitcnt lgkmcnt(0)
	v_lshrrev_b32_e32 v34, s20, v32
	v_and_b32_e32 v34, s14, v34
	v_lshrrev_b32_e32 v35, s20, v33
	ds_read_b32 v0, v0
	v_lshlrev_b32_e32 v34, 2, v34
	v_and_b32_e32 v35, s14, v35
	v_lshlrev_b32_e32 v35, 2, v35
	ds_read_b32 v37, v34
	ds_read_b32 v38, v35
	ds_read_b32 v39, v5 offset:12288
	s_waitcnt lgkmcnt(3)
	v_add_u32_e32 v0, v31, v0
	v_lshl_add_u64 v[34:35], v[0:1], 2, s[26:27]
	s_waitcnt lgkmcnt(2)
	v_add3_u32 v0, v31, v37, s8
	global_store_dword v[34:35], v36, off
	v_lshl_add_u64 v[34:35], v[0:1], 2, s[26:27]
	s_waitcnt lgkmcnt(0)
	v_lshrrev_b32_e32 v0, s20, v39
	v_and_b32_e32 v0, s14, v0
	v_lshlrev_b32_e32 v0, 2, v0
	ds_read_b32 v36, v0
	v_add3_u32 v0, v31, v38, s15
	global_store_dword v[34:35], v32, off
	v_lshl_add_u64 v[34:35], v[0:1], 2, s[26:27]
	global_store_dword v[34:35], v33, off
	s_waitcnt lgkmcnt(0)
	v_add3_u32 v0, v31, v36, s16
	v_lshl_add_u64 v[32:33], v[0:1], 2, s[26:27]
	v_add_u32_e32 v31, 0x1000, v31
	s_mov_b64 s[4:5], 0
	s_and_b64 vcc, exec, s[6:7]
	global_store_dword v[32:33], v39, off
	s_barrier
	s_cbranch_vccnz .LBB1139_137
.LBB1139_121:                           ; =>This Inner Loop Header: Depth=1
	v_add_u32_e32 v0, s12, v4
	v_cmp_gt_u32_e32 vcc, s13, v0
	s_and_saveexec_b64 s[6:7], vcc
	s_cbranch_execz .LBB1139_123
; %bb.122:                              ;   in Loop: Header=BB1139_121 Depth=1
	v_add_u32_e32 v0, s9, v17
	ds_write_b32 v0, v3 offset:1024
.LBB1139_123:                           ;   in Loop: Header=BB1139_121 Depth=1
	s_or_b64 exec, exec, s[6:7]
	v_add_u32_e32 v0, s12, v16
	v_cmp_gt_u32_e32 vcc, s13, v0
	s_and_saveexec_b64 s[6:7], vcc
	s_cbranch_execz .LBB1139_125
; %bb.124:                              ;   in Loop: Header=BB1139_121 Depth=1
	v_add_u32_e32 v0, s9, v21
	ds_write_b32 v0, v8 offset:1024
.LBB1139_125:                           ;   in Loop: Header=BB1139_121 Depth=1
	s_or_b64 exec, exec, s[6:7]
	;; [unrolled: 9-line block ×7, first 2 shown]
	v_add_u32_e32 v0, s12, v7
	v_cmp_gt_u32_e32 vcc, s13, v0
	s_and_saveexec_b64 s[6:7], vcc
	s_cbranch_execz .LBB1139_120
; %bb.136:                              ;   in Loop: Header=BB1139_121 Depth=1
	v_add_u32_e32 v0, s9, v6
	ds_write_b32 v0, v14 offset:1024
	s_branch .LBB1139_120
.LBB1139_137:
	s_add_i32 s3, s3, -1
	s_cmp_eq_u32 s3, s2
	s_cselect_b64 s[2:3], -1, 0
	s_and_b64 s[2:3], s[0:1], s[2:3]
                                        ; implicit-def: $vgpr4
	s_and_saveexec_b64 s[0:1], s[2:3]
; %bb.138:
	v_add_u32_e32 v4, v19, v20
	s_or_b64 s[10:11], s[10:11], exec
; %bb.139:
	s_or_b64 exec, exec, s[0:1]
.LBB1139_140:
	s_and_saveexec_b64 s[0:1], s[10:11]
	s_cbranch_execnz .LBB1139_142
; %bb.141:
	s_endpgm
.LBB1139_142:
	v_lshlrev_b32_e32 v0, 2, v2
	ds_read_b32 v5, v0
	v_mov_b32_e32 v0, s18
	v_mov_b32_e32 v1, s19
	;; [unrolled: 1-line block ×3, first 2 shown]
	v_lshl_add_u64 v[0:1], v[2:3], 2, v[0:1]
	s_waitcnt lgkmcnt(0)
	v_add_u32_e32 v2, v5, v4
	global_store_dword v[0:1], v2, off
	s_endpgm
	.section	.rodata,"a",@progbits
	.p2align	6, 0x0
	.amdhsa_kernel _ZN7rocprim17ROCPRIM_400000_NS6detail17trampoline_kernelINS0_14default_configENS1_35radix_sort_onesweep_config_selectorIjNS0_10empty_typeEEEZZNS1_29radix_sort_onesweep_iterationIS3_Lb0EN6thrust23THRUST_200600_302600_NS6detail15normal_iteratorINS9_10device_ptrIjEEEESE_PS5_SF_jNS0_19identity_decomposerENS1_16block_id_wrapperIjLb0EEEEE10hipError_tT1_PNSt15iterator_traitsISK_E10value_typeET2_T3_PNSL_ISQ_E10value_typeET4_T5_PSV_SW_PNS1_23onesweep_lookback_stateEbbT6_jjT7_P12ihipStream_tbENKUlT_T0_SK_SP_E_clISE_PjSF_SF_EEDaS13_S14_SK_SP_EUlS13_E_NS1_11comp_targetILNS1_3genE5ELNS1_11target_archE942ELNS1_3gpuE9ELNS1_3repE0EEENS1_47radix_sort_onesweep_sort_config_static_selectorELNS0_4arch9wavefront6targetE1EEEvSK_
		.amdhsa_group_segment_fixed_size 20552
		.amdhsa_private_segment_fixed_size 0
		.amdhsa_kernarg_size 344
		.amdhsa_user_sgpr_count 2
		.amdhsa_user_sgpr_dispatch_ptr 0
		.amdhsa_user_sgpr_queue_ptr 0
		.amdhsa_user_sgpr_kernarg_segment_ptr 1
		.amdhsa_user_sgpr_dispatch_id 0
		.amdhsa_user_sgpr_kernarg_preload_length 0
		.amdhsa_user_sgpr_kernarg_preload_offset 0
		.amdhsa_user_sgpr_private_segment_size 0
		.amdhsa_uses_dynamic_stack 0
		.amdhsa_enable_private_segment 0
		.amdhsa_system_sgpr_workgroup_id_x 1
		.amdhsa_system_sgpr_workgroup_id_y 0
		.amdhsa_system_sgpr_workgroup_id_z 0
		.amdhsa_system_sgpr_workgroup_info 0
		.amdhsa_system_vgpr_workitem_id 2
		.amdhsa_next_free_vgpr 46
		.amdhsa_next_free_sgpr 30
		.amdhsa_accum_offset 48
		.amdhsa_reserve_vcc 1
		.amdhsa_float_round_mode_32 0
		.amdhsa_float_round_mode_16_64 0
		.amdhsa_float_denorm_mode_32 3
		.amdhsa_float_denorm_mode_16_64 3
		.amdhsa_dx10_clamp 1
		.amdhsa_ieee_mode 1
		.amdhsa_fp16_overflow 0
		.amdhsa_tg_split 0
		.amdhsa_exception_fp_ieee_invalid_op 0
		.amdhsa_exception_fp_denorm_src 0
		.amdhsa_exception_fp_ieee_div_zero 0
		.amdhsa_exception_fp_ieee_overflow 0
		.amdhsa_exception_fp_ieee_underflow 0
		.amdhsa_exception_fp_ieee_inexact 0
		.amdhsa_exception_int_div_zero 0
	.end_amdhsa_kernel
	.section	.text._ZN7rocprim17ROCPRIM_400000_NS6detail17trampoline_kernelINS0_14default_configENS1_35radix_sort_onesweep_config_selectorIjNS0_10empty_typeEEEZZNS1_29radix_sort_onesweep_iterationIS3_Lb0EN6thrust23THRUST_200600_302600_NS6detail15normal_iteratorINS9_10device_ptrIjEEEESE_PS5_SF_jNS0_19identity_decomposerENS1_16block_id_wrapperIjLb0EEEEE10hipError_tT1_PNSt15iterator_traitsISK_E10value_typeET2_T3_PNSL_ISQ_E10value_typeET4_T5_PSV_SW_PNS1_23onesweep_lookback_stateEbbT6_jjT7_P12ihipStream_tbENKUlT_T0_SK_SP_E_clISE_PjSF_SF_EEDaS13_S14_SK_SP_EUlS13_E_NS1_11comp_targetILNS1_3genE5ELNS1_11target_archE942ELNS1_3gpuE9ELNS1_3repE0EEENS1_47radix_sort_onesweep_sort_config_static_selectorELNS0_4arch9wavefront6targetE1EEEvSK_,"axG",@progbits,_ZN7rocprim17ROCPRIM_400000_NS6detail17trampoline_kernelINS0_14default_configENS1_35radix_sort_onesweep_config_selectorIjNS0_10empty_typeEEEZZNS1_29radix_sort_onesweep_iterationIS3_Lb0EN6thrust23THRUST_200600_302600_NS6detail15normal_iteratorINS9_10device_ptrIjEEEESE_PS5_SF_jNS0_19identity_decomposerENS1_16block_id_wrapperIjLb0EEEEE10hipError_tT1_PNSt15iterator_traitsISK_E10value_typeET2_T3_PNSL_ISQ_E10value_typeET4_T5_PSV_SW_PNS1_23onesweep_lookback_stateEbbT6_jjT7_P12ihipStream_tbENKUlT_T0_SK_SP_E_clISE_PjSF_SF_EEDaS13_S14_SK_SP_EUlS13_E_NS1_11comp_targetILNS1_3genE5ELNS1_11target_archE942ELNS1_3gpuE9ELNS1_3repE0EEENS1_47radix_sort_onesweep_sort_config_static_selectorELNS0_4arch9wavefront6targetE1EEEvSK_,comdat
.Lfunc_end1139:
	.size	_ZN7rocprim17ROCPRIM_400000_NS6detail17trampoline_kernelINS0_14default_configENS1_35radix_sort_onesweep_config_selectorIjNS0_10empty_typeEEEZZNS1_29radix_sort_onesweep_iterationIS3_Lb0EN6thrust23THRUST_200600_302600_NS6detail15normal_iteratorINS9_10device_ptrIjEEEESE_PS5_SF_jNS0_19identity_decomposerENS1_16block_id_wrapperIjLb0EEEEE10hipError_tT1_PNSt15iterator_traitsISK_E10value_typeET2_T3_PNSL_ISQ_E10value_typeET4_T5_PSV_SW_PNS1_23onesweep_lookback_stateEbbT6_jjT7_P12ihipStream_tbENKUlT_T0_SK_SP_E_clISE_PjSF_SF_EEDaS13_S14_SK_SP_EUlS13_E_NS1_11comp_targetILNS1_3genE5ELNS1_11target_archE942ELNS1_3gpuE9ELNS1_3repE0EEENS1_47radix_sort_onesweep_sort_config_static_selectorELNS0_4arch9wavefront6targetE1EEEvSK_, .Lfunc_end1139-_ZN7rocprim17ROCPRIM_400000_NS6detail17trampoline_kernelINS0_14default_configENS1_35radix_sort_onesweep_config_selectorIjNS0_10empty_typeEEEZZNS1_29radix_sort_onesweep_iterationIS3_Lb0EN6thrust23THRUST_200600_302600_NS6detail15normal_iteratorINS9_10device_ptrIjEEEESE_PS5_SF_jNS0_19identity_decomposerENS1_16block_id_wrapperIjLb0EEEEE10hipError_tT1_PNSt15iterator_traitsISK_E10value_typeET2_T3_PNSL_ISQ_E10value_typeET4_T5_PSV_SW_PNS1_23onesweep_lookback_stateEbbT6_jjT7_P12ihipStream_tbENKUlT_T0_SK_SP_E_clISE_PjSF_SF_EEDaS13_S14_SK_SP_EUlS13_E_NS1_11comp_targetILNS1_3genE5ELNS1_11target_archE942ELNS1_3gpuE9ELNS1_3repE0EEENS1_47radix_sort_onesweep_sort_config_static_selectorELNS0_4arch9wavefront6targetE1EEEvSK_
                                        ; -- End function
	.section	.AMDGPU.csdata,"",@progbits
; Kernel info:
; codeLenInByte = 11088
; NumSgprs: 36
; NumVgprs: 46
; NumAgprs: 0
; TotalNumVgprs: 46
; ScratchSize: 0
; MemoryBound: 0
; FloatMode: 240
; IeeeMode: 1
; LDSByteSize: 20552 bytes/workgroup (compile time only)
; SGPRBlocks: 4
; VGPRBlocks: 5
; NumSGPRsForWavesPerEU: 36
; NumVGPRsForWavesPerEU: 46
; AccumOffset: 48
; Occupancy: 8
; WaveLimiterHint : 1
; COMPUTE_PGM_RSRC2:SCRATCH_EN: 0
; COMPUTE_PGM_RSRC2:USER_SGPR: 2
; COMPUTE_PGM_RSRC2:TRAP_HANDLER: 0
; COMPUTE_PGM_RSRC2:TGID_X_EN: 1
; COMPUTE_PGM_RSRC2:TGID_Y_EN: 0
; COMPUTE_PGM_RSRC2:TGID_Z_EN: 0
; COMPUTE_PGM_RSRC2:TIDIG_COMP_CNT: 2
; COMPUTE_PGM_RSRC3_GFX90A:ACCUM_OFFSET: 11
; COMPUTE_PGM_RSRC3_GFX90A:TG_SPLIT: 0
	.section	.text._ZN7rocprim17ROCPRIM_400000_NS6detail17trampoline_kernelINS0_14default_configENS1_35radix_sort_onesweep_config_selectorIjNS0_10empty_typeEEEZZNS1_29radix_sort_onesweep_iterationIS3_Lb0EN6thrust23THRUST_200600_302600_NS6detail15normal_iteratorINS9_10device_ptrIjEEEESE_PS5_SF_jNS0_19identity_decomposerENS1_16block_id_wrapperIjLb0EEEEE10hipError_tT1_PNSt15iterator_traitsISK_E10value_typeET2_T3_PNSL_ISQ_E10value_typeET4_T5_PSV_SW_PNS1_23onesweep_lookback_stateEbbT6_jjT7_P12ihipStream_tbENKUlT_T0_SK_SP_E_clISE_PjSF_SF_EEDaS13_S14_SK_SP_EUlS13_E_NS1_11comp_targetILNS1_3genE2ELNS1_11target_archE906ELNS1_3gpuE6ELNS1_3repE0EEENS1_47radix_sort_onesweep_sort_config_static_selectorELNS0_4arch9wavefront6targetE1EEEvSK_,"axG",@progbits,_ZN7rocprim17ROCPRIM_400000_NS6detail17trampoline_kernelINS0_14default_configENS1_35radix_sort_onesweep_config_selectorIjNS0_10empty_typeEEEZZNS1_29radix_sort_onesweep_iterationIS3_Lb0EN6thrust23THRUST_200600_302600_NS6detail15normal_iteratorINS9_10device_ptrIjEEEESE_PS5_SF_jNS0_19identity_decomposerENS1_16block_id_wrapperIjLb0EEEEE10hipError_tT1_PNSt15iterator_traitsISK_E10value_typeET2_T3_PNSL_ISQ_E10value_typeET4_T5_PSV_SW_PNS1_23onesweep_lookback_stateEbbT6_jjT7_P12ihipStream_tbENKUlT_T0_SK_SP_E_clISE_PjSF_SF_EEDaS13_S14_SK_SP_EUlS13_E_NS1_11comp_targetILNS1_3genE2ELNS1_11target_archE906ELNS1_3gpuE6ELNS1_3repE0EEENS1_47radix_sort_onesweep_sort_config_static_selectorELNS0_4arch9wavefront6targetE1EEEvSK_,comdat
	.protected	_ZN7rocprim17ROCPRIM_400000_NS6detail17trampoline_kernelINS0_14default_configENS1_35radix_sort_onesweep_config_selectorIjNS0_10empty_typeEEEZZNS1_29radix_sort_onesweep_iterationIS3_Lb0EN6thrust23THRUST_200600_302600_NS6detail15normal_iteratorINS9_10device_ptrIjEEEESE_PS5_SF_jNS0_19identity_decomposerENS1_16block_id_wrapperIjLb0EEEEE10hipError_tT1_PNSt15iterator_traitsISK_E10value_typeET2_T3_PNSL_ISQ_E10value_typeET4_T5_PSV_SW_PNS1_23onesweep_lookback_stateEbbT6_jjT7_P12ihipStream_tbENKUlT_T0_SK_SP_E_clISE_PjSF_SF_EEDaS13_S14_SK_SP_EUlS13_E_NS1_11comp_targetILNS1_3genE2ELNS1_11target_archE906ELNS1_3gpuE6ELNS1_3repE0EEENS1_47radix_sort_onesweep_sort_config_static_selectorELNS0_4arch9wavefront6targetE1EEEvSK_ ; -- Begin function _ZN7rocprim17ROCPRIM_400000_NS6detail17trampoline_kernelINS0_14default_configENS1_35radix_sort_onesweep_config_selectorIjNS0_10empty_typeEEEZZNS1_29radix_sort_onesweep_iterationIS3_Lb0EN6thrust23THRUST_200600_302600_NS6detail15normal_iteratorINS9_10device_ptrIjEEEESE_PS5_SF_jNS0_19identity_decomposerENS1_16block_id_wrapperIjLb0EEEEE10hipError_tT1_PNSt15iterator_traitsISK_E10value_typeET2_T3_PNSL_ISQ_E10value_typeET4_T5_PSV_SW_PNS1_23onesweep_lookback_stateEbbT6_jjT7_P12ihipStream_tbENKUlT_T0_SK_SP_E_clISE_PjSF_SF_EEDaS13_S14_SK_SP_EUlS13_E_NS1_11comp_targetILNS1_3genE2ELNS1_11target_archE906ELNS1_3gpuE6ELNS1_3repE0EEENS1_47radix_sort_onesweep_sort_config_static_selectorELNS0_4arch9wavefront6targetE1EEEvSK_
	.globl	_ZN7rocprim17ROCPRIM_400000_NS6detail17trampoline_kernelINS0_14default_configENS1_35radix_sort_onesweep_config_selectorIjNS0_10empty_typeEEEZZNS1_29radix_sort_onesweep_iterationIS3_Lb0EN6thrust23THRUST_200600_302600_NS6detail15normal_iteratorINS9_10device_ptrIjEEEESE_PS5_SF_jNS0_19identity_decomposerENS1_16block_id_wrapperIjLb0EEEEE10hipError_tT1_PNSt15iterator_traitsISK_E10value_typeET2_T3_PNSL_ISQ_E10value_typeET4_T5_PSV_SW_PNS1_23onesweep_lookback_stateEbbT6_jjT7_P12ihipStream_tbENKUlT_T0_SK_SP_E_clISE_PjSF_SF_EEDaS13_S14_SK_SP_EUlS13_E_NS1_11comp_targetILNS1_3genE2ELNS1_11target_archE906ELNS1_3gpuE6ELNS1_3repE0EEENS1_47radix_sort_onesweep_sort_config_static_selectorELNS0_4arch9wavefront6targetE1EEEvSK_
	.p2align	8
	.type	_ZN7rocprim17ROCPRIM_400000_NS6detail17trampoline_kernelINS0_14default_configENS1_35radix_sort_onesweep_config_selectorIjNS0_10empty_typeEEEZZNS1_29radix_sort_onesweep_iterationIS3_Lb0EN6thrust23THRUST_200600_302600_NS6detail15normal_iteratorINS9_10device_ptrIjEEEESE_PS5_SF_jNS0_19identity_decomposerENS1_16block_id_wrapperIjLb0EEEEE10hipError_tT1_PNSt15iterator_traitsISK_E10value_typeET2_T3_PNSL_ISQ_E10value_typeET4_T5_PSV_SW_PNS1_23onesweep_lookback_stateEbbT6_jjT7_P12ihipStream_tbENKUlT_T0_SK_SP_E_clISE_PjSF_SF_EEDaS13_S14_SK_SP_EUlS13_E_NS1_11comp_targetILNS1_3genE2ELNS1_11target_archE906ELNS1_3gpuE6ELNS1_3repE0EEENS1_47radix_sort_onesweep_sort_config_static_selectorELNS0_4arch9wavefront6targetE1EEEvSK_,@function
_ZN7rocprim17ROCPRIM_400000_NS6detail17trampoline_kernelINS0_14default_configENS1_35radix_sort_onesweep_config_selectorIjNS0_10empty_typeEEEZZNS1_29radix_sort_onesweep_iterationIS3_Lb0EN6thrust23THRUST_200600_302600_NS6detail15normal_iteratorINS9_10device_ptrIjEEEESE_PS5_SF_jNS0_19identity_decomposerENS1_16block_id_wrapperIjLb0EEEEE10hipError_tT1_PNSt15iterator_traitsISK_E10value_typeET2_T3_PNSL_ISQ_E10value_typeET4_T5_PSV_SW_PNS1_23onesweep_lookback_stateEbbT6_jjT7_P12ihipStream_tbENKUlT_T0_SK_SP_E_clISE_PjSF_SF_EEDaS13_S14_SK_SP_EUlS13_E_NS1_11comp_targetILNS1_3genE2ELNS1_11target_archE906ELNS1_3gpuE6ELNS1_3repE0EEENS1_47radix_sort_onesweep_sort_config_static_selectorELNS0_4arch9wavefront6targetE1EEEvSK_: ; @_ZN7rocprim17ROCPRIM_400000_NS6detail17trampoline_kernelINS0_14default_configENS1_35radix_sort_onesweep_config_selectorIjNS0_10empty_typeEEEZZNS1_29radix_sort_onesweep_iterationIS3_Lb0EN6thrust23THRUST_200600_302600_NS6detail15normal_iteratorINS9_10device_ptrIjEEEESE_PS5_SF_jNS0_19identity_decomposerENS1_16block_id_wrapperIjLb0EEEEE10hipError_tT1_PNSt15iterator_traitsISK_E10value_typeET2_T3_PNSL_ISQ_E10value_typeET4_T5_PSV_SW_PNS1_23onesweep_lookback_stateEbbT6_jjT7_P12ihipStream_tbENKUlT_T0_SK_SP_E_clISE_PjSF_SF_EEDaS13_S14_SK_SP_EUlS13_E_NS1_11comp_targetILNS1_3genE2ELNS1_11target_archE906ELNS1_3gpuE6ELNS1_3repE0EEENS1_47radix_sort_onesweep_sort_config_static_selectorELNS0_4arch9wavefront6targetE1EEEvSK_
; %bb.0:
	.section	.rodata,"a",@progbits
	.p2align	6, 0x0
	.amdhsa_kernel _ZN7rocprim17ROCPRIM_400000_NS6detail17trampoline_kernelINS0_14default_configENS1_35radix_sort_onesweep_config_selectorIjNS0_10empty_typeEEEZZNS1_29radix_sort_onesweep_iterationIS3_Lb0EN6thrust23THRUST_200600_302600_NS6detail15normal_iteratorINS9_10device_ptrIjEEEESE_PS5_SF_jNS0_19identity_decomposerENS1_16block_id_wrapperIjLb0EEEEE10hipError_tT1_PNSt15iterator_traitsISK_E10value_typeET2_T3_PNSL_ISQ_E10value_typeET4_T5_PSV_SW_PNS1_23onesweep_lookback_stateEbbT6_jjT7_P12ihipStream_tbENKUlT_T0_SK_SP_E_clISE_PjSF_SF_EEDaS13_S14_SK_SP_EUlS13_E_NS1_11comp_targetILNS1_3genE2ELNS1_11target_archE906ELNS1_3gpuE6ELNS1_3repE0EEENS1_47radix_sort_onesweep_sort_config_static_selectorELNS0_4arch9wavefront6targetE1EEEvSK_
		.amdhsa_group_segment_fixed_size 0
		.amdhsa_private_segment_fixed_size 0
		.amdhsa_kernarg_size 88
		.amdhsa_user_sgpr_count 2
		.amdhsa_user_sgpr_dispatch_ptr 0
		.amdhsa_user_sgpr_queue_ptr 0
		.amdhsa_user_sgpr_kernarg_segment_ptr 1
		.amdhsa_user_sgpr_dispatch_id 0
		.amdhsa_user_sgpr_kernarg_preload_length 0
		.amdhsa_user_sgpr_kernarg_preload_offset 0
		.amdhsa_user_sgpr_private_segment_size 0
		.amdhsa_uses_dynamic_stack 0
		.amdhsa_enable_private_segment 0
		.amdhsa_system_sgpr_workgroup_id_x 1
		.amdhsa_system_sgpr_workgroup_id_y 0
		.amdhsa_system_sgpr_workgroup_id_z 0
		.amdhsa_system_sgpr_workgroup_info 0
		.amdhsa_system_vgpr_workitem_id 0
		.amdhsa_next_free_vgpr 1
		.amdhsa_next_free_sgpr 0
		.amdhsa_accum_offset 4
		.amdhsa_reserve_vcc 0
		.amdhsa_float_round_mode_32 0
		.amdhsa_float_round_mode_16_64 0
		.amdhsa_float_denorm_mode_32 3
		.amdhsa_float_denorm_mode_16_64 3
		.amdhsa_dx10_clamp 1
		.amdhsa_ieee_mode 1
		.amdhsa_fp16_overflow 0
		.amdhsa_tg_split 0
		.amdhsa_exception_fp_ieee_invalid_op 0
		.amdhsa_exception_fp_denorm_src 0
		.amdhsa_exception_fp_ieee_div_zero 0
		.amdhsa_exception_fp_ieee_overflow 0
		.amdhsa_exception_fp_ieee_underflow 0
		.amdhsa_exception_fp_ieee_inexact 0
		.amdhsa_exception_int_div_zero 0
	.end_amdhsa_kernel
	.section	.text._ZN7rocprim17ROCPRIM_400000_NS6detail17trampoline_kernelINS0_14default_configENS1_35radix_sort_onesweep_config_selectorIjNS0_10empty_typeEEEZZNS1_29radix_sort_onesweep_iterationIS3_Lb0EN6thrust23THRUST_200600_302600_NS6detail15normal_iteratorINS9_10device_ptrIjEEEESE_PS5_SF_jNS0_19identity_decomposerENS1_16block_id_wrapperIjLb0EEEEE10hipError_tT1_PNSt15iterator_traitsISK_E10value_typeET2_T3_PNSL_ISQ_E10value_typeET4_T5_PSV_SW_PNS1_23onesweep_lookback_stateEbbT6_jjT7_P12ihipStream_tbENKUlT_T0_SK_SP_E_clISE_PjSF_SF_EEDaS13_S14_SK_SP_EUlS13_E_NS1_11comp_targetILNS1_3genE2ELNS1_11target_archE906ELNS1_3gpuE6ELNS1_3repE0EEENS1_47radix_sort_onesweep_sort_config_static_selectorELNS0_4arch9wavefront6targetE1EEEvSK_,"axG",@progbits,_ZN7rocprim17ROCPRIM_400000_NS6detail17trampoline_kernelINS0_14default_configENS1_35radix_sort_onesweep_config_selectorIjNS0_10empty_typeEEEZZNS1_29radix_sort_onesweep_iterationIS3_Lb0EN6thrust23THRUST_200600_302600_NS6detail15normal_iteratorINS9_10device_ptrIjEEEESE_PS5_SF_jNS0_19identity_decomposerENS1_16block_id_wrapperIjLb0EEEEE10hipError_tT1_PNSt15iterator_traitsISK_E10value_typeET2_T3_PNSL_ISQ_E10value_typeET4_T5_PSV_SW_PNS1_23onesweep_lookback_stateEbbT6_jjT7_P12ihipStream_tbENKUlT_T0_SK_SP_E_clISE_PjSF_SF_EEDaS13_S14_SK_SP_EUlS13_E_NS1_11comp_targetILNS1_3genE2ELNS1_11target_archE906ELNS1_3gpuE6ELNS1_3repE0EEENS1_47radix_sort_onesweep_sort_config_static_selectorELNS0_4arch9wavefront6targetE1EEEvSK_,comdat
.Lfunc_end1140:
	.size	_ZN7rocprim17ROCPRIM_400000_NS6detail17trampoline_kernelINS0_14default_configENS1_35radix_sort_onesweep_config_selectorIjNS0_10empty_typeEEEZZNS1_29radix_sort_onesweep_iterationIS3_Lb0EN6thrust23THRUST_200600_302600_NS6detail15normal_iteratorINS9_10device_ptrIjEEEESE_PS5_SF_jNS0_19identity_decomposerENS1_16block_id_wrapperIjLb0EEEEE10hipError_tT1_PNSt15iterator_traitsISK_E10value_typeET2_T3_PNSL_ISQ_E10value_typeET4_T5_PSV_SW_PNS1_23onesweep_lookback_stateEbbT6_jjT7_P12ihipStream_tbENKUlT_T0_SK_SP_E_clISE_PjSF_SF_EEDaS13_S14_SK_SP_EUlS13_E_NS1_11comp_targetILNS1_3genE2ELNS1_11target_archE906ELNS1_3gpuE6ELNS1_3repE0EEENS1_47radix_sort_onesweep_sort_config_static_selectorELNS0_4arch9wavefront6targetE1EEEvSK_, .Lfunc_end1140-_ZN7rocprim17ROCPRIM_400000_NS6detail17trampoline_kernelINS0_14default_configENS1_35radix_sort_onesweep_config_selectorIjNS0_10empty_typeEEEZZNS1_29radix_sort_onesweep_iterationIS3_Lb0EN6thrust23THRUST_200600_302600_NS6detail15normal_iteratorINS9_10device_ptrIjEEEESE_PS5_SF_jNS0_19identity_decomposerENS1_16block_id_wrapperIjLb0EEEEE10hipError_tT1_PNSt15iterator_traitsISK_E10value_typeET2_T3_PNSL_ISQ_E10value_typeET4_T5_PSV_SW_PNS1_23onesweep_lookback_stateEbbT6_jjT7_P12ihipStream_tbENKUlT_T0_SK_SP_E_clISE_PjSF_SF_EEDaS13_S14_SK_SP_EUlS13_E_NS1_11comp_targetILNS1_3genE2ELNS1_11target_archE906ELNS1_3gpuE6ELNS1_3repE0EEENS1_47radix_sort_onesweep_sort_config_static_selectorELNS0_4arch9wavefront6targetE1EEEvSK_
                                        ; -- End function
	.section	.AMDGPU.csdata,"",@progbits
; Kernel info:
; codeLenInByte = 0
; NumSgprs: 6
; NumVgprs: 0
; NumAgprs: 0
; TotalNumVgprs: 0
; ScratchSize: 0
; MemoryBound: 0
; FloatMode: 240
; IeeeMode: 1
; LDSByteSize: 0 bytes/workgroup (compile time only)
; SGPRBlocks: 0
; VGPRBlocks: 0
; NumSGPRsForWavesPerEU: 6
; NumVGPRsForWavesPerEU: 1
; AccumOffset: 4
; Occupancy: 8
; WaveLimiterHint : 0
; COMPUTE_PGM_RSRC2:SCRATCH_EN: 0
; COMPUTE_PGM_RSRC2:USER_SGPR: 2
; COMPUTE_PGM_RSRC2:TRAP_HANDLER: 0
; COMPUTE_PGM_RSRC2:TGID_X_EN: 1
; COMPUTE_PGM_RSRC2:TGID_Y_EN: 0
; COMPUTE_PGM_RSRC2:TGID_Z_EN: 0
; COMPUTE_PGM_RSRC2:TIDIG_COMP_CNT: 0
; COMPUTE_PGM_RSRC3_GFX90A:ACCUM_OFFSET: 0
; COMPUTE_PGM_RSRC3_GFX90A:TG_SPLIT: 0
	.section	.text._ZN7rocprim17ROCPRIM_400000_NS6detail17trampoline_kernelINS0_14default_configENS1_35radix_sort_onesweep_config_selectorIjNS0_10empty_typeEEEZZNS1_29radix_sort_onesweep_iterationIS3_Lb0EN6thrust23THRUST_200600_302600_NS6detail15normal_iteratorINS9_10device_ptrIjEEEESE_PS5_SF_jNS0_19identity_decomposerENS1_16block_id_wrapperIjLb0EEEEE10hipError_tT1_PNSt15iterator_traitsISK_E10value_typeET2_T3_PNSL_ISQ_E10value_typeET4_T5_PSV_SW_PNS1_23onesweep_lookback_stateEbbT6_jjT7_P12ihipStream_tbENKUlT_T0_SK_SP_E_clISE_PjSF_SF_EEDaS13_S14_SK_SP_EUlS13_E_NS1_11comp_targetILNS1_3genE4ELNS1_11target_archE910ELNS1_3gpuE8ELNS1_3repE0EEENS1_47radix_sort_onesweep_sort_config_static_selectorELNS0_4arch9wavefront6targetE1EEEvSK_,"axG",@progbits,_ZN7rocprim17ROCPRIM_400000_NS6detail17trampoline_kernelINS0_14default_configENS1_35radix_sort_onesweep_config_selectorIjNS0_10empty_typeEEEZZNS1_29radix_sort_onesweep_iterationIS3_Lb0EN6thrust23THRUST_200600_302600_NS6detail15normal_iteratorINS9_10device_ptrIjEEEESE_PS5_SF_jNS0_19identity_decomposerENS1_16block_id_wrapperIjLb0EEEEE10hipError_tT1_PNSt15iterator_traitsISK_E10value_typeET2_T3_PNSL_ISQ_E10value_typeET4_T5_PSV_SW_PNS1_23onesweep_lookback_stateEbbT6_jjT7_P12ihipStream_tbENKUlT_T0_SK_SP_E_clISE_PjSF_SF_EEDaS13_S14_SK_SP_EUlS13_E_NS1_11comp_targetILNS1_3genE4ELNS1_11target_archE910ELNS1_3gpuE8ELNS1_3repE0EEENS1_47radix_sort_onesweep_sort_config_static_selectorELNS0_4arch9wavefront6targetE1EEEvSK_,comdat
	.protected	_ZN7rocprim17ROCPRIM_400000_NS6detail17trampoline_kernelINS0_14default_configENS1_35radix_sort_onesweep_config_selectorIjNS0_10empty_typeEEEZZNS1_29radix_sort_onesweep_iterationIS3_Lb0EN6thrust23THRUST_200600_302600_NS6detail15normal_iteratorINS9_10device_ptrIjEEEESE_PS5_SF_jNS0_19identity_decomposerENS1_16block_id_wrapperIjLb0EEEEE10hipError_tT1_PNSt15iterator_traitsISK_E10value_typeET2_T3_PNSL_ISQ_E10value_typeET4_T5_PSV_SW_PNS1_23onesweep_lookback_stateEbbT6_jjT7_P12ihipStream_tbENKUlT_T0_SK_SP_E_clISE_PjSF_SF_EEDaS13_S14_SK_SP_EUlS13_E_NS1_11comp_targetILNS1_3genE4ELNS1_11target_archE910ELNS1_3gpuE8ELNS1_3repE0EEENS1_47radix_sort_onesweep_sort_config_static_selectorELNS0_4arch9wavefront6targetE1EEEvSK_ ; -- Begin function _ZN7rocprim17ROCPRIM_400000_NS6detail17trampoline_kernelINS0_14default_configENS1_35radix_sort_onesweep_config_selectorIjNS0_10empty_typeEEEZZNS1_29radix_sort_onesweep_iterationIS3_Lb0EN6thrust23THRUST_200600_302600_NS6detail15normal_iteratorINS9_10device_ptrIjEEEESE_PS5_SF_jNS0_19identity_decomposerENS1_16block_id_wrapperIjLb0EEEEE10hipError_tT1_PNSt15iterator_traitsISK_E10value_typeET2_T3_PNSL_ISQ_E10value_typeET4_T5_PSV_SW_PNS1_23onesweep_lookback_stateEbbT6_jjT7_P12ihipStream_tbENKUlT_T0_SK_SP_E_clISE_PjSF_SF_EEDaS13_S14_SK_SP_EUlS13_E_NS1_11comp_targetILNS1_3genE4ELNS1_11target_archE910ELNS1_3gpuE8ELNS1_3repE0EEENS1_47radix_sort_onesweep_sort_config_static_selectorELNS0_4arch9wavefront6targetE1EEEvSK_
	.globl	_ZN7rocprim17ROCPRIM_400000_NS6detail17trampoline_kernelINS0_14default_configENS1_35radix_sort_onesweep_config_selectorIjNS0_10empty_typeEEEZZNS1_29radix_sort_onesweep_iterationIS3_Lb0EN6thrust23THRUST_200600_302600_NS6detail15normal_iteratorINS9_10device_ptrIjEEEESE_PS5_SF_jNS0_19identity_decomposerENS1_16block_id_wrapperIjLb0EEEEE10hipError_tT1_PNSt15iterator_traitsISK_E10value_typeET2_T3_PNSL_ISQ_E10value_typeET4_T5_PSV_SW_PNS1_23onesweep_lookback_stateEbbT6_jjT7_P12ihipStream_tbENKUlT_T0_SK_SP_E_clISE_PjSF_SF_EEDaS13_S14_SK_SP_EUlS13_E_NS1_11comp_targetILNS1_3genE4ELNS1_11target_archE910ELNS1_3gpuE8ELNS1_3repE0EEENS1_47radix_sort_onesweep_sort_config_static_selectorELNS0_4arch9wavefront6targetE1EEEvSK_
	.p2align	8
	.type	_ZN7rocprim17ROCPRIM_400000_NS6detail17trampoline_kernelINS0_14default_configENS1_35radix_sort_onesweep_config_selectorIjNS0_10empty_typeEEEZZNS1_29radix_sort_onesweep_iterationIS3_Lb0EN6thrust23THRUST_200600_302600_NS6detail15normal_iteratorINS9_10device_ptrIjEEEESE_PS5_SF_jNS0_19identity_decomposerENS1_16block_id_wrapperIjLb0EEEEE10hipError_tT1_PNSt15iterator_traitsISK_E10value_typeET2_T3_PNSL_ISQ_E10value_typeET4_T5_PSV_SW_PNS1_23onesweep_lookback_stateEbbT6_jjT7_P12ihipStream_tbENKUlT_T0_SK_SP_E_clISE_PjSF_SF_EEDaS13_S14_SK_SP_EUlS13_E_NS1_11comp_targetILNS1_3genE4ELNS1_11target_archE910ELNS1_3gpuE8ELNS1_3repE0EEENS1_47radix_sort_onesweep_sort_config_static_selectorELNS0_4arch9wavefront6targetE1EEEvSK_,@function
_ZN7rocprim17ROCPRIM_400000_NS6detail17trampoline_kernelINS0_14default_configENS1_35radix_sort_onesweep_config_selectorIjNS0_10empty_typeEEEZZNS1_29radix_sort_onesweep_iterationIS3_Lb0EN6thrust23THRUST_200600_302600_NS6detail15normal_iteratorINS9_10device_ptrIjEEEESE_PS5_SF_jNS0_19identity_decomposerENS1_16block_id_wrapperIjLb0EEEEE10hipError_tT1_PNSt15iterator_traitsISK_E10value_typeET2_T3_PNSL_ISQ_E10value_typeET4_T5_PSV_SW_PNS1_23onesweep_lookback_stateEbbT6_jjT7_P12ihipStream_tbENKUlT_T0_SK_SP_E_clISE_PjSF_SF_EEDaS13_S14_SK_SP_EUlS13_E_NS1_11comp_targetILNS1_3genE4ELNS1_11target_archE910ELNS1_3gpuE8ELNS1_3repE0EEENS1_47radix_sort_onesweep_sort_config_static_selectorELNS0_4arch9wavefront6targetE1EEEvSK_: ; @_ZN7rocprim17ROCPRIM_400000_NS6detail17trampoline_kernelINS0_14default_configENS1_35radix_sort_onesweep_config_selectorIjNS0_10empty_typeEEEZZNS1_29radix_sort_onesweep_iterationIS3_Lb0EN6thrust23THRUST_200600_302600_NS6detail15normal_iteratorINS9_10device_ptrIjEEEESE_PS5_SF_jNS0_19identity_decomposerENS1_16block_id_wrapperIjLb0EEEEE10hipError_tT1_PNSt15iterator_traitsISK_E10value_typeET2_T3_PNSL_ISQ_E10value_typeET4_T5_PSV_SW_PNS1_23onesweep_lookback_stateEbbT6_jjT7_P12ihipStream_tbENKUlT_T0_SK_SP_E_clISE_PjSF_SF_EEDaS13_S14_SK_SP_EUlS13_E_NS1_11comp_targetILNS1_3genE4ELNS1_11target_archE910ELNS1_3gpuE8ELNS1_3repE0EEENS1_47radix_sort_onesweep_sort_config_static_selectorELNS0_4arch9wavefront6targetE1EEEvSK_
; %bb.0:
	.section	.rodata,"a",@progbits
	.p2align	6, 0x0
	.amdhsa_kernel _ZN7rocprim17ROCPRIM_400000_NS6detail17trampoline_kernelINS0_14default_configENS1_35radix_sort_onesweep_config_selectorIjNS0_10empty_typeEEEZZNS1_29radix_sort_onesweep_iterationIS3_Lb0EN6thrust23THRUST_200600_302600_NS6detail15normal_iteratorINS9_10device_ptrIjEEEESE_PS5_SF_jNS0_19identity_decomposerENS1_16block_id_wrapperIjLb0EEEEE10hipError_tT1_PNSt15iterator_traitsISK_E10value_typeET2_T3_PNSL_ISQ_E10value_typeET4_T5_PSV_SW_PNS1_23onesweep_lookback_stateEbbT6_jjT7_P12ihipStream_tbENKUlT_T0_SK_SP_E_clISE_PjSF_SF_EEDaS13_S14_SK_SP_EUlS13_E_NS1_11comp_targetILNS1_3genE4ELNS1_11target_archE910ELNS1_3gpuE8ELNS1_3repE0EEENS1_47radix_sort_onesweep_sort_config_static_selectorELNS0_4arch9wavefront6targetE1EEEvSK_
		.amdhsa_group_segment_fixed_size 0
		.amdhsa_private_segment_fixed_size 0
		.amdhsa_kernarg_size 88
		.amdhsa_user_sgpr_count 2
		.amdhsa_user_sgpr_dispatch_ptr 0
		.amdhsa_user_sgpr_queue_ptr 0
		.amdhsa_user_sgpr_kernarg_segment_ptr 1
		.amdhsa_user_sgpr_dispatch_id 0
		.amdhsa_user_sgpr_kernarg_preload_length 0
		.amdhsa_user_sgpr_kernarg_preload_offset 0
		.amdhsa_user_sgpr_private_segment_size 0
		.amdhsa_uses_dynamic_stack 0
		.amdhsa_enable_private_segment 0
		.amdhsa_system_sgpr_workgroup_id_x 1
		.amdhsa_system_sgpr_workgroup_id_y 0
		.amdhsa_system_sgpr_workgroup_id_z 0
		.amdhsa_system_sgpr_workgroup_info 0
		.amdhsa_system_vgpr_workitem_id 0
		.amdhsa_next_free_vgpr 1
		.amdhsa_next_free_sgpr 0
		.amdhsa_accum_offset 4
		.amdhsa_reserve_vcc 0
		.amdhsa_float_round_mode_32 0
		.amdhsa_float_round_mode_16_64 0
		.amdhsa_float_denorm_mode_32 3
		.amdhsa_float_denorm_mode_16_64 3
		.amdhsa_dx10_clamp 1
		.amdhsa_ieee_mode 1
		.amdhsa_fp16_overflow 0
		.amdhsa_tg_split 0
		.amdhsa_exception_fp_ieee_invalid_op 0
		.amdhsa_exception_fp_denorm_src 0
		.amdhsa_exception_fp_ieee_div_zero 0
		.amdhsa_exception_fp_ieee_overflow 0
		.amdhsa_exception_fp_ieee_underflow 0
		.amdhsa_exception_fp_ieee_inexact 0
		.amdhsa_exception_int_div_zero 0
	.end_amdhsa_kernel
	.section	.text._ZN7rocprim17ROCPRIM_400000_NS6detail17trampoline_kernelINS0_14default_configENS1_35radix_sort_onesweep_config_selectorIjNS0_10empty_typeEEEZZNS1_29radix_sort_onesweep_iterationIS3_Lb0EN6thrust23THRUST_200600_302600_NS6detail15normal_iteratorINS9_10device_ptrIjEEEESE_PS5_SF_jNS0_19identity_decomposerENS1_16block_id_wrapperIjLb0EEEEE10hipError_tT1_PNSt15iterator_traitsISK_E10value_typeET2_T3_PNSL_ISQ_E10value_typeET4_T5_PSV_SW_PNS1_23onesweep_lookback_stateEbbT6_jjT7_P12ihipStream_tbENKUlT_T0_SK_SP_E_clISE_PjSF_SF_EEDaS13_S14_SK_SP_EUlS13_E_NS1_11comp_targetILNS1_3genE4ELNS1_11target_archE910ELNS1_3gpuE8ELNS1_3repE0EEENS1_47radix_sort_onesweep_sort_config_static_selectorELNS0_4arch9wavefront6targetE1EEEvSK_,"axG",@progbits,_ZN7rocprim17ROCPRIM_400000_NS6detail17trampoline_kernelINS0_14default_configENS1_35radix_sort_onesweep_config_selectorIjNS0_10empty_typeEEEZZNS1_29radix_sort_onesweep_iterationIS3_Lb0EN6thrust23THRUST_200600_302600_NS6detail15normal_iteratorINS9_10device_ptrIjEEEESE_PS5_SF_jNS0_19identity_decomposerENS1_16block_id_wrapperIjLb0EEEEE10hipError_tT1_PNSt15iterator_traitsISK_E10value_typeET2_T3_PNSL_ISQ_E10value_typeET4_T5_PSV_SW_PNS1_23onesweep_lookback_stateEbbT6_jjT7_P12ihipStream_tbENKUlT_T0_SK_SP_E_clISE_PjSF_SF_EEDaS13_S14_SK_SP_EUlS13_E_NS1_11comp_targetILNS1_3genE4ELNS1_11target_archE910ELNS1_3gpuE8ELNS1_3repE0EEENS1_47radix_sort_onesweep_sort_config_static_selectorELNS0_4arch9wavefront6targetE1EEEvSK_,comdat
.Lfunc_end1141:
	.size	_ZN7rocprim17ROCPRIM_400000_NS6detail17trampoline_kernelINS0_14default_configENS1_35radix_sort_onesweep_config_selectorIjNS0_10empty_typeEEEZZNS1_29radix_sort_onesweep_iterationIS3_Lb0EN6thrust23THRUST_200600_302600_NS6detail15normal_iteratorINS9_10device_ptrIjEEEESE_PS5_SF_jNS0_19identity_decomposerENS1_16block_id_wrapperIjLb0EEEEE10hipError_tT1_PNSt15iterator_traitsISK_E10value_typeET2_T3_PNSL_ISQ_E10value_typeET4_T5_PSV_SW_PNS1_23onesweep_lookback_stateEbbT6_jjT7_P12ihipStream_tbENKUlT_T0_SK_SP_E_clISE_PjSF_SF_EEDaS13_S14_SK_SP_EUlS13_E_NS1_11comp_targetILNS1_3genE4ELNS1_11target_archE910ELNS1_3gpuE8ELNS1_3repE0EEENS1_47radix_sort_onesweep_sort_config_static_selectorELNS0_4arch9wavefront6targetE1EEEvSK_, .Lfunc_end1141-_ZN7rocprim17ROCPRIM_400000_NS6detail17trampoline_kernelINS0_14default_configENS1_35radix_sort_onesweep_config_selectorIjNS0_10empty_typeEEEZZNS1_29radix_sort_onesweep_iterationIS3_Lb0EN6thrust23THRUST_200600_302600_NS6detail15normal_iteratorINS9_10device_ptrIjEEEESE_PS5_SF_jNS0_19identity_decomposerENS1_16block_id_wrapperIjLb0EEEEE10hipError_tT1_PNSt15iterator_traitsISK_E10value_typeET2_T3_PNSL_ISQ_E10value_typeET4_T5_PSV_SW_PNS1_23onesweep_lookback_stateEbbT6_jjT7_P12ihipStream_tbENKUlT_T0_SK_SP_E_clISE_PjSF_SF_EEDaS13_S14_SK_SP_EUlS13_E_NS1_11comp_targetILNS1_3genE4ELNS1_11target_archE910ELNS1_3gpuE8ELNS1_3repE0EEENS1_47radix_sort_onesweep_sort_config_static_selectorELNS0_4arch9wavefront6targetE1EEEvSK_
                                        ; -- End function
	.section	.AMDGPU.csdata,"",@progbits
; Kernel info:
; codeLenInByte = 0
; NumSgprs: 6
; NumVgprs: 0
; NumAgprs: 0
; TotalNumVgprs: 0
; ScratchSize: 0
; MemoryBound: 0
; FloatMode: 240
; IeeeMode: 1
; LDSByteSize: 0 bytes/workgroup (compile time only)
; SGPRBlocks: 0
; VGPRBlocks: 0
; NumSGPRsForWavesPerEU: 6
; NumVGPRsForWavesPerEU: 1
; AccumOffset: 4
; Occupancy: 8
; WaveLimiterHint : 0
; COMPUTE_PGM_RSRC2:SCRATCH_EN: 0
; COMPUTE_PGM_RSRC2:USER_SGPR: 2
; COMPUTE_PGM_RSRC2:TRAP_HANDLER: 0
; COMPUTE_PGM_RSRC2:TGID_X_EN: 1
; COMPUTE_PGM_RSRC2:TGID_Y_EN: 0
; COMPUTE_PGM_RSRC2:TGID_Z_EN: 0
; COMPUTE_PGM_RSRC2:TIDIG_COMP_CNT: 0
; COMPUTE_PGM_RSRC3_GFX90A:ACCUM_OFFSET: 0
; COMPUTE_PGM_RSRC3_GFX90A:TG_SPLIT: 0
	.section	.text._ZN7rocprim17ROCPRIM_400000_NS6detail17trampoline_kernelINS0_14default_configENS1_35radix_sort_onesweep_config_selectorIjNS0_10empty_typeEEEZZNS1_29radix_sort_onesweep_iterationIS3_Lb0EN6thrust23THRUST_200600_302600_NS6detail15normal_iteratorINS9_10device_ptrIjEEEESE_PS5_SF_jNS0_19identity_decomposerENS1_16block_id_wrapperIjLb0EEEEE10hipError_tT1_PNSt15iterator_traitsISK_E10value_typeET2_T3_PNSL_ISQ_E10value_typeET4_T5_PSV_SW_PNS1_23onesweep_lookback_stateEbbT6_jjT7_P12ihipStream_tbENKUlT_T0_SK_SP_E_clISE_PjSF_SF_EEDaS13_S14_SK_SP_EUlS13_E_NS1_11comp_targetILNS1_3genE3ELNS1_11target_archE908ELNS1_3gpuE7ELNS1_3repE0EEENS1_47radix_sort_onesweep_sort_config_static_selectorELNS0_4arch9wavefront6targetE1EEEvSK_,"axG",@progbits,_ZN7rocprim17ROCPRIM_400000_NS6detail17trampoline_kernelINS0_14default_configENS1_35radix_sort_onesweep_config_selectorIjNS0_10empty_typeEEEZZNS1_29radix_sort_onesweep_iterationIS3_Lb0EN6thrust23THRUST_200600_302600_NS6detail15normal_iteratorINS9_10device_ptrIjEEEESE_PS5_SF_jNS0_19identity_decomposerENS1_16block_id_wrapperIjLb0EEEEE10hipError_tT1_PNSt15iterator_traitsISK_E10value_typeET2_T3_PNSL_ISQ_E10value_typeET4_T5_PSV_SW_PNS1_23onesweep_lookback_stateEbbT6_jjT7_P12ihipStream_tbENKUlT_T0_SK_SP_E_clISE_PjSF_SF_EEDaS13_S14_SK_SP_EUlS13_E_NS1_11comp_targetILNS1_3genE3ELNS1_11target_archE908ELNS1_3gpuE7ELNS1_3repE0EEENS1_47radix_sort_onesweep_sort_config_static_selectorELNS0_4arch9wavefront6targetE1EEEvSK_,comdat
	.protected	_ZN7rocprim17ROCPRIM_400000_NS6detail17trampoline_kernelINS0_14default_configENS1_35radix_sort_onesweep_config_selectorIjNS0_10empty_typeEEEZZNS1_29radix_sort_onesweep_iterationIS3_Lb0EN6thrust23THRUST_200600_302600_NS6detail15normal_iteratorINS9_10device_ptrIjEEEESE_PS5_SF_jNS0_19identity_decomposerENS1_16block_id_wrapperIjLb0EEEEE10hipError_tT1_PNSt15iterator_traitsISK_E10value_typeET2_T3_PNSL_ISQ_E10value_typeET4_T5_PSV_SW_PNS1_23onesweep_lookback_stateEbbT6_jjT7_P12ihipStream_tbENKUlT_T0_SK_SP_E_clISE_PjSF_SF_EEDaS13_S14_SK_SP_EUlS13_E_NS1_11comp_targetILNS1_3genE3ELNS1_11target_archE908ELNS1_3gpuE7ELNS1_3repE0EEENS1_47radix_sort_onesweep_sort_config_static_selectorELNS0_4arch9wavefront6targetE1EEEvSK_ ; -- Begin function _ZN7rocprim17ROCPRIM_400000_NS6detail17trampoline_kernelINS0_14default_configENS1_35radix_sort_onesweep_config_selectorIjNS0_10empty_typeEEEZZNS1_29radix_sort_onesweep_iterationIS3_Lb0EN6thrust23THRUST_200600_302600_NS6detail15normal_iteratorINS9_10device_ptrIjEEEESE_PS5_SF_jNS0_19identity_decomposerENS1_16block_id_wrapperIjLb0EEEEE10hipError_tT1_PNSt15iterator_traitsISK_E10value_typeET2_T3_PNSL_ISQ_E10value_typeET4_T5_PSV_SW_PNS1_23onesweep_lookback_stateEbbT6_jjT7_P12ihipStream_tbENKUlT_T0_SK_SP_E_clISE_PjSF_SF_EEDaS13_S14_SK_SP_EUlS13_E_NS1_11comp_targetILNS1_3genE3ELNS1_11target_archE908ELNS1_3gpuE7ELNS1_3repE0EEENS1_47radix_sort_onesweep_sort_config_static_selectorELNS0_4arch9wavefront6targetE1EEEvSK_
	.globl	_ZN7rocprim17ROCPRIM_400000_NS6detail17trampoline_kernelINS0_14default_configENS1_35radix_sort_onesweep_config_selectorIjNS0_10empty_typeEEEZZNS1_29radix_sort_onesweep_iterationIS3_Lb0EN6thrust23THRUST_200600_302600_NS6detail15normal_iteratorINS9_10device_ptrIjEEEESE_PS5_SF_jNS0_19identity_decomposerENS1_16block_id_wrapperIjLb0EEEEE10hipError_tT1_PNSt15iterator_traitsISK_E10value_typeET2_T3_PNSL_ISQ_E10value_typeET4_T5_PSV_SW_PNS1_23onesweep_lookback_stateEbbT6_jjT7_P12ihipStream_tbENKUlT_T0_SK_SP_E_clISE_PjSF_SF_EEDaS13_S14_SK_SP_EUlS13_E_NS1_11comp_targetILNS1_3genE3ELNS1_11target_archE908ELNS1_3gpuE7ELNS1_3repE0EEENS1_47radix_sort_onesweep_sort_config_static_selectorELNS0_4arch9wavefront6targetE1EEEvSK_
	.p2align	8
	.type	_ZN7rocprim17ROCPRIM_400000_NS6detail17trampoline_kernelINS0_14default_configENS1_35radix_sort_onesweep_config_selectorIjNS0_10empty_typeEEEZZNS1_29radix_sort_onesweep_iterationIS3_Lb0EN6thrust23THRUST_200600_302600_NS6detail15normal_iteratorINS9_10device_ptrIjEEEESE_PS5_SF_jNS0_19identity_decomposerENS1_16block_id_wrapperIjLb0EEEEE10hipError_tT1_PNSt15iterator_traitsISK_E10value_typeET2_T3_PNSL_ISQ_E10value_typeET4_T5_PSV_SW_PNS1_23onesweep_lookback_stateEbbT6_jjT7_P12ihipStream_tbENKUlT_T0_SK_SP_E_clISE_PjSF_SF_EEDaS13_S14_SK_SP_EUlS13_E_NS1_11comp_targetILNS1_3genE3ELNS1_11target_archE908ELNS1_3gpuE7ELNS1_3repE0EEENS1_47radix_sort_onesweep_sort_config_static_selectorELNS0_4arch9wavefront6targetE1EEEvSK_,@function
_ZN7rocprim17ROCPRIM_400000_NS6detail17trampoline_kernelINS0_14default_configENS1_35radix_sort_onesweep_config_selectorIjNS0_10empty_typeEEEZZNS1_29radix_sort_onesweep_iterationIS3_Lb0EN6thrust23THRUST_200600_302600_NS6detail15normal_iteratorINS9_10device_ptrIjEEEESE_PS5_SF_jNS0_19identity_decomposerENS1_16block_id_wrapperIjLb0EEEEE10hipError_tT1_PNSt15iterator_traitsISK_E10value_typeET2_T3_PNSL_ISQ_E10value_typeET4_T5_PSV_SW_PNS1_23onesweep_lookback_stateEbbT6_jjT7_P12ihipStream_tbENKUlT_T0_SK_SP_E_clISE_PjSF_SF_EEDaS13_S14_SK_SP_EUlS13_E_NS1_11comp_targetILNS1_3genE3ELNS1_11target_archE908ELNS1_3gpuE7ELNS1_3repE0EEENS1_47radix_sort_onesweep_sort_config_static_selectorELNS0_4arch9wavefront6targetE1EEEvSK_: ; @_ZN7rocprim17ROCPRIM_400000_NS6detail17trampoline_kernelINS0_14default_configENS1_35radix_sort_onesweep_config_selectorIjNS0_10empty_typeEEEZZNS1_29radix_sort_onesweep_iterationIS3_Lb0EN6thrust23THRUST_200600_302600_NS6detail15normal_iteratorINS9_10device_ptrIjEEEESE_PS5_SF_jNS0_19identity_decomposerENS1_16block_id_wrapperIjLb0EEEEE10hipError_tT1_PNSt15iterator_traitsISK_E10value_typeET2_T3_PNSL_ISQ_E10value_typeET4_T5_PSV_SW_PNS1_23onesweep_lookback_stateEbbT6_jjT7_P12ihipStream_tbENKUlT_T0_SK_SP_E_clISE_PjSF_SF_EEDaS13_S14_SK_SP_EUlS13_E_NS1_11comp_targetILNS1_3genE3ELNS1_11target_archE908ELNS1_3gpuE7ELNS1_3repE0EEENS1_47radix_sort_onesweep_sort_config_static_selectorELNS0_4arch9wavefront6targetE1EEEvSK_
; %bb.0:
	.section	.rodata,"a",@progbits
	.p2align	6, 0x0
	.amdhsa_kernel _ZN7rocprim17ROCPRIM_400000_NS6detail17trampoline_kernelINS0_14default_configENS1_35radix_sort_onesweep_config_selectorIjNS0_10empty_typeEEEZZNS1_29radix_sort_onesweep_iterationIS3_Lb0EN6thrust23THRUST_200600_302600_NS6detail15normal_iteratorINS9_10device_ptrIjEEEESE_PS5_SF_jNS0_19identity_decomposerENS1_16block_id_wrapperIjLb0EEEEE10hipError_tT1_PNSt15iterator_traitsISK_E10value_typeET2_T3_PNSL_ISQ_E10value_typeET4_T5_PSV_SW_PNS1_23onesweep_lookback_stateEbbT6_jjT7_P12ihipStream_tbENKUlT_T0_SK_SP_E_clISE_PjSF_SF_EEDaS13_S14_SK_SP_EUlS13_E_NS1_11comp_targetILNS1_3genE3ELNS1_11target_archE908ELNS1_3gpuE7ELNS1_3repE0EEENS1_47radix_sort_onesweep_sort_config_static_selectorELNS0_4arch9wavefront6targetE1EEEvSK_
		.amdhsa_group_segment_fixed_size 0
		.amdhsa_private_segment_fixed_size 0
		.amdhsa_kernarg_size 88
		.amdhsa_user_sgpr_count 2
		.amdhsa_user_sgpr_dispatch_ptr 0
		.amdhsa_user_sgpr_queue_ptr 0
		.amdhsa_user_sgpr_kernarg_segment_ptr 1
		.amdhsa_user_sgpr_dispatch_id 0
		.amdhsa_user_sgpr_kernarg_preload_length 0
		.amdhsa_user_sgpr_kernarg_preload_offset 0
		.amdhsa_user_sgpr_private_segment_size 0
		.amdhsa_uses_dynamic_stack 0
		.amdhsa_enable_private_segment 0
		.amdhsa_system_sgpr_workgroup_id_x 1
		.amdhsa_system_sgpr_workgroup_id_y 0
		.amdhsa_system_sgpr_workgroup_id_z 0
		.amdhsa_system_sgpr_workgroup_info 0
		.amdhsa_system_vgpr_workitem_id 0
		.amdhsa_next_free_vgpr 1
		.amdhsa_next_free_sgpr 0
		.amdhsa_accum_offset 4
		.amdhsa_reserve_vcc 0
		.amdhsa_float_round_mode_32 0
		.amdhsa_float_round_mode_16_64 0
		.amdhsa_float_denorm_mode_32 3
		.amdhsa_float_denorm_mode_16_64 3
		.amdhsa_dx10_clamp 1
		.amdhsa_ieee_mode 1
		.amdhsa_fp16_overflow 0
		.amdhsa_tg_split 0
		.amdhsa_exception_fp_ieee_invalid_op 0
		.amdhsa_exception_fp_denorm_src 0
		.amdhsa_exception_fp_ieee_div_zero 0
		.amdhsa_exception_fp_ieee_overflow 0
		.amdhsa_exception_fp_ieee_underflow 0
		.amdhsa_exception_fp_ieee_inexact 0
		.amdhsa_exception_int_div_zero 0
	.end_amdhsa_kernel
	.section	.text._ZN7rocprim17ROCPRIM_400000_NS6detail17trampoline_kernelINS0_14default_configENS1_35radix_sort_onesweep_config_selectorIjNS0_10empty_typeEEEZZNS1_29radix_sort_onesweep_iterationIS3_Lb0EN6thrust23THRUST_200600_302600_NS6detail15normal_iteratorINS9_10device_ptrIjEEEESE_PS5_SF_jNS0_19identity_decomposerENS1_16block_id_wrapperIjLb0EEEEE10hipError_tT1_PNSt15iterator_traitsISK_E10value_typeET2_T3_PNSL_ISQ_E10value_typeET4_T5_PSV_SW_PNS1_23onesweep_lookback_stateEbbT6_jjT7_P12ihipStream_tbENKUlT_T0_SK_SP_E_clISE_PjSF_SF_EEDaS13_S14_SK_SP_EUlS13_E_NS1_11comp_targetILNS1_3genE3ELNS1_11target_archE908ELNS1_3gpuE7ELNS1_3repE0EEENS1_47radix_sort_onesweep_sort_config_static_selectorELNS0_4arch9wavefront6targetE1EEEvSK_,"axG",@progbits,_ZN7rocprim17ROCPRIM_400000_NS6detail17trampoline_kernelINS0_14default_configENS1_35radix_sort_onesweep_config_selectorIjNS0_10empty_typeEEEZZNS1_29radix_sort_onesweep_iterationIS3_Lb0EN6thrust23THRUST_200600_302600_NS6detail15normal_iteratorINS9_10device_ptrIjEEEESE_PS5_SF_jNS0_19identity_decomposerENS1_16block_id_wrapperIjLb0EEEEE10hipError_tT1_PNSt15iterator_traitsISK_E10value_typeET2_T3_PNSL_ISQ_E10value_typeET4_T5_PSV_SW_PNS1_23onesweep_lookback_stateEbbT6_jjT7_P12ihipStream_tbENKUlT_T0_SK_SP_E_clISE_PjSF_SF_EEDaS13_S14_SK_SP_EUlS13_E_NS1_11comp_targetILNS1_3genE3ELNS1_11target_archE908ELNS1_3gpuE7ELNS1_3repE0EEENS1_47radix_sort_onesweep_sort_config_static_selectorELNS0_4arch9wavefront6targetE1EEEvSK_,comdat
.Lfunc_end1142:
	.size	_ZN7rocprim17ROCPRIM_400000_NS6detail17trampoline_kernelINS0_14default_configENS1_35radix_sort_onesweep_config_selectorIjNS0_10empty_typeEEEZZNS1_29radix_sort_onesweep_iterationIS3_Lb0EN6thrust23THRUST_200600_302600_NS6detail15normal_iteratorINS9_10device_ptrIjEEEESE_PS5_SF_jNS0_19identity_decomposerENS1_16block_id_wrapperIjLb0EEEEE10hipError_tT1_PNSt15iterator_traitsISK_E10value_typeET2_T3_PNSL_ISQ_E10value_typeET4_T5_PSV_SW_PNS1_23onesweep_lookback_stateEbbT6_jjT7_P12ihipStream_tbENKUlT_T0_SK_SP_E_clISE_PjSF_SF_EEDaS13_S14_SK_SP_EUlS13_E_NS1_11comp_targetILNS1_3genE3ELNS1_11target_archE908ELNS1_3gpuE7ELNS1_3repE0EEENS1_47radix_sort_onesweep_sort_config_static_selectorELNS0_4arch9wavefront6targetE1EEEvSK_, .Lfunc_end1142-_ZN7rocprim17ROCPRIM_400000_NS6detail17trampoline_kernelINS0_14default_configENS1_35radix_sort_onesweep_config_selectorIjNS0_10empty_typeEEEZZNS1_29radix_sort_onesweep_iterationIS3_Lb0EN6thrust23THRUST_200600_302600_NS6detail15normal_iteratorINS9_10device_ptrIjEEEESE_PS5_SF_jNS0_19identity_decomposerENS1_16block_id_wrapperIjLb0EEEEE10hipError_tT1_PNSt15iterator_traitsISK_E10value_typeET2_T3_PNSL_ISQ_E10value_typeET4_T5_PSV_SW_PNS1_23onesweep_lookback_stateEbbT6_jjT7_P12ihipStream_tbENKUlT_T0_SK_SP_E_clISE_PjSF_SF_EEDaS13_S14_SK_SP_EUlS13_E_NS1_11comp_targetILNS1_3genE3ELNS1_11target_archE908ELNS1_3gpuE7ELNS1_3repE0EEENS1_47radix_sort_onesweep_sort_config_static_selectorELNS0_4arch9wavefront6targetE1EEEvSK_
                                        ; -- End function
	.section	.AMDGPU.csdata,"",@progbits
; Kernel info:
; codeLenInByte = 0
; NumSgprs: 6
; NumVgprs: 0
; NumAgprs: 0
; TotalNumVgprs: 0
; ScratchSize: 0
; MemoryBound: 0
; FloatMode: 240
; IeeeMode: 1
; LDSByteSize: 0 bytes/workgroup (compile time only)
; SGPRBlocks: 0
; VGPRBlocks: 0
; NumSGPRsForWavesPerEU: 6
; NumVGPRsForWavesPerEU: 1
; AccumOffset: 4
; Occupancy: 8
; WaveLimiterHint : 0
; COMPUTE_PGM_RSRC2:SCRATCH_EN: 0
; COMPUTE_PGM_RSRC2:USER_SGPR: 2
; COMPUTE_PGM_RSRC2:TRAP_HANDLER: 0
; COMPUTE_PGM_RSRC2:TGID_X_EN: 1
; COMPUTE_PGM_RSRC2:TGID_Y_EN: 0
; COMPUTE_PGM_RSRC2:TGID_Z_EN: 0
; COMPUTE_PGM_RSRC2:TIDIG_COMP_CNT: 0
; COMPUTE_PGM_RSRC3_GFX90A:ACCUM_OFFSET: 0
; COMPUTE_PGM_RSRC3_GFX90A:TG_SPLIT: 0
	.section	.text._ZN7rocprim17ROCPRIM_400000_NS6detail17trampoline_kernelINS0_14default_configENS1_35radix_sort_onesweep_config_selectorIjNS0_10empty_typeEEEZZNS1_29radix_sort_onesweep_iterationIS3_Lb0EN6thrust23THRUST_200600_302600_NS6detail15normal_iteratorINS9_10device_ptrIjEEEESE_PS5_SF_jNS0_19identity_decomposerENS1_16block_id_wrapperIjLb0EEEEE10hipError_tT1_PNSt15iterator_traitsISK_E10value_typeET2_T3_PNSL_ISQ_E10value_typeET4_T5_PSV_SW_PNS1_23onesweep_lookback_stateEbbT6_jjT7_P12ihipStream_tbENKUlT_T0_SK_SP_E_clISE_PjSF_SF_EEDaS13_S14_SK_SP_EUlS13_E_NS1_11comp_targetILNS1_3genE10ELNS1_11target_archE1201ELNS1_3gpuE5ELNS1_3repE0EEENS1_47radix_sort_onesweep_sort_config_static_selectorELNS0_4arch9wavefront6targetE1EEEvSK_,"axG",@progbits,_ZN7rocprim17ROCPRIM_400000_NS6detail17trampoline_kernelINS0_14default_configENS1_35radix_sort_onesweep_config_selectorIjNS0_10empty_typeEEEZZNS1_29radix_sort_onesweep_iterationIS3_Lb0EN6thrust23THRUST_200600_302600_NS6detail15normal_iteratorINS9_10device_ptrIjEEEESE_PS5_SF_jNS0_19identity_decomposerENS1_16block_id_wrapperIjLb0EEEEE10hipError_tT1_PNSt15iterator_traitsISK_E10value_typeET2_T3_PNSL_ISQ_E10value_typeET4_T5_PSV_SW_PNS1_23onesweep_lookback_stateEbbT6_jjT7_P12ihipStream_tbENKUlT_T0_SK_SP_E_clISE_PjSF_SF_EEDaS13_S14_SK_SP_EUlS13_E_NS1_11comp_targetILNS1_3genE10ELNS1_11target_archE1201ELNS1_3gpuE5ELNS1_3repE0EEENS1_47radix_sort_onesweep_sort_config_static_selectorELNS0_4arch9wavefront6targetE1EEEvSK_,comdat
	.protected	_ZN7rocprim17ROCPRIM_400000_NS6detail17trampoline_kernelINS0_14default_configENS1_35radix_sort_onesweep_config_selectorIjNS0_10empty_typeEEEZZNS1_29radix_sort_onesweep_iterationIS3_Lb0EN6thrust23THRUST_200600_302600_NS6detail15normal_iteratorINS9_10device_ptrIjEEEESE_PS5_SF_jNS0_19identity_decomposerENS1_16block_id_wrapperIjLb0EEEEE10hipError_tT1_PNSt15iterator_traitsISK_E10value_typeET2_T3_PNSL_ISQ_E10value_typeET4_T5_PSV_SW_PNS1_23onesweep_lookback_stateEbbT6_jjT7_P12ihipStream_tbENKUlT_T0_SK_SP_E_clISE_PjSF_SF_EEDaS13_S14_SK_SP_EUlS13_E_NS1_11comp_targetILNS1_3genE10ELNS1_11target_archE1201ELNS1_3gpuE5ELNS1_3repE0EEENS1_47radix_sort_onesweep_sort_config_static_selectorELNS0_4arch9wavefront6targetE1EEEvSK_ ; -- Begin function _ZN7rocprim17ROCPRIM_400000_NS6detail17trampoline_kernelINS0_14default_configENS1_35radix_sort_onesweep_config_selectorIjNS0_10empty_typeEEEZZNS1_29radix_sort_onesweep_iterationIS3_Lb0EN6thrust23THRUST_200600_302600_NS6detail15normal_iteratorINS9_10device_ptrIjEEEESE_PS5_SF_jNS0_19identity_decomposerENS1_16block_id_wrapperIjLb0EEEEE10hipError_tT1_PNSt15iterator_traitsISK_E10value_typeET2_T3_PNSL_ISQ_E10value_typeET4_T5_PSV_SW_PNS1_23onesweep_lookback_stateEbbT6_jjT7_P12ihipStream_tbENKUlT_T0_SK_SP_E_clISE_PjSF_SF_EEDaS13_S14_SK_SP_EUlS13_E_NS1_11comp_targetILNS1_3genE10ELNS1_11target_archE1201ELNS1_3gpuE5ELNS1_3repE0EEENS1_47radix_sort_onesweep_sort_config_static_selectorELNS0_4arch9wavefront6targetE1EEEvSK_
	.globl	_ZN7rocprim17ROCPRIM_400000_NS6detail17trampoline_kernelINS0_14default_configENS1_35radix_sort_onesweep_config_selectorIjNS0_10empty_typeEEEZZNS1_29radix_sort_onesweep_iterationIS3_Lb0EN6thrust23THRUST_200600_302600_NS6detail15normal_iteratorINS9_10device_ptrIjEEEESE_PS5_SF_jNS0_19identity_decomposerENS1_16block_id_wrapperIjLb0EEEEE10hipError_tT1_PNSt15iterator_traitsISK_E10value_typeET2_T3_PNSL_ISQ_E10value_typeET4_T5_PSV_SW_PNS1_23onesweep_lookback_stateEbbT6_jjT7_P12ihipStream_tbENKUlT_T0_SK_SP_E_clISE_PjSF_SF_EEDaS13_S14_SK_SP_EUlS13_E_NS1_11comp_targetILNS1_3genE10ELNS1_11target_archE1201ELNS1_3gpuE5ELNS1_3repE0EEENS1_47radix_sort_onesweep_sort_config_static_selectorELNS0_4arch9wavefront6targetE1EEEvSK_
	.p2align	8
	.type	_ZN7rocprim17ROCPRIM_400000_NS6detail17trampoline_kernelINS0_14default_configENS1_35radix_sort_onesweep_config_selectorIjNS0_10empty_typeEEEZZNS1_29radix_sort_onesweep_iterationIS3_Lb0EN6thrust23THRUST_200600_302600_NS6detail15normal_iteratorINS9_10device_ptrIjEEEESE_PS5_SF_jNS0_19identity_decomposerENS1_16block_id_wrapperIjLb0EEEEE10hipError_tT1_PNSt15iterator_traitsISK_E10value_typeET2_T3_PNSL_ISQ_E10value_typeET4_T5_PSV_SW_PNS1_23onesweep_lookback_stateEbbT6_jjT7_P12ihipStream_tbENKUlT_T0_SK_SP_E_clISE_PjSF_SF_EEDaS13_S14_SK_SP_EUlS13_E_NS1_11comp_targetILNS1_3genE10ELNS1_11target_archE1201ELNS1_3gpuE5ELNS1_3repE0EEENS1_47radix_sort_onesweep_sort_config_static_selectorELNS0_4arch9wavefront6targetE1EEEvSK_,@function
_ZN7rocprim17ROCPRIM_400000_NS6detail17trampoline_kernelINS0_14default_configENS1_35radix_sort_onesweep_config_selectorIjNS0_10empty_typeEEEZZNS1_29radix_sort_onesweep_iterationIS3_Lb0EN6thrust23THRUST_200600_302600_NS6detail15normal_iteratorINS9_10device_ptrIjEEEESE_PS5_SF_jNS0_19identity_decomposerENS1_16block_id_wrapperIjLb0EEEEE10hipError_tT1_PNSt15iterator_traitsISK_E10value_typeET2_T3_PNSL_ISQ_E10value_typeET4_T5_PSV_SW_PNS1_23onesweep_lookback_stateEbbT6_jjT7_P12ihipStream_tbENKUlT_T0_SK_SP_E_clISE_PjSF_SF_EEDaS13_S14_SK_SP_EUlS13_E_NS1_11comp_targetILNS1_3genE10ELNS1_11target_archE1201ELNS1_3gpuE5ELNS1_3repE0EEENS1_47radix_sort_onesweep_sort_config_static_selectorELNS0_4arch9wavefront6targetE1EEEvSK_: ; @_ZN7rocprim17ROCPRIM_400000_NS6detail17trampoline_kernelINS0_14default_configENS1_35radix_sort_onesweep_config_selectorIjNS0_10empty_typeEEEZZNS1_29radix_sort_onesweep_iterationIS3_Lb0EN6thrust23THRUST_200600_302600_NS6detail15normal_iteratorINS9_10device_ptrIjEEEESE_PS5_SF_jNS0_19identity_decomposerENS1_16block_id_wrapperIjLb0EEEEE10hipError_tT1_PNSt15iterator_traitsISK_E10value_typeET2_T3_PNSL_ISQ_E10value_typeET4_T5_PSV_SW_PNS1_23onesweep_lookback_stateEbbT6_jjT7_P12ihipStream_tbENKUlT_T0_SK_SP_E_clISE_PjSF_SF_EEDaS13_S14_SK_SP_EUlS13_E_NS1_11comp_targetILNS1_3genE10ELNS1_11target_archE1201ELNS1_3gpuE5ELNS1_3repE0EEENS1_47radix_sort_onesweep_sort_config_static_selectorELNS0_4arch9wavefront6targetE1EEEvSK_
; %bb.0:
	.section	.rodata,"a",@progbits
	.p2align	6, 0x0
	.amdhsa_kernel _ZN7rocprim17ROCPRIM_400000_NS6detail17trampoline_kernelINS0_14default_configENS1_35radix_sort_onesweep_config_selectorIjNS0_10empty_typeEEEZZNS1_29radix_sort_onesweep_iterationIS3_Lb0EN6thrust23THRUST_200600_302600_NS6detail15normal_iteratorINS9_10device_ptrIjEEEESE_PS5_SF_jNS0_19identity_decomposerENS1_16block_id_wrapperIjLb0EEEEE10hipError_tT1_PNSt15iterator_traitsISK_E10value_typeET2_T3_PNSL_ISQ_E10value_typeET4_T5_PSV_SW_PNS1_23onesweep_lookback_stateEbbT6_jjT7_P12ihipStream_tbENKUlT_T0_SK_SP_E_clISE_PjSF_SF_EEDaS13_S14_SK_SP_EUlS13_E_NS1_11comp_targetILNS1_3genE10ELNS1_11target_archE1201ELNS1_3gpuE5ELNS1_3repE0EEENS1_47radix_sort_onesweep_sort_config_static_selectorELNS0_4arch9wavefront6targetE1EEEvSK_
		.amdhsa_group_segment_fixed_size 0
		.amdhsa_private_segment_fixed_size 0
		.amdhsa_kernarg_size 88
		.amdhsa_user_sgpr_count 2
		.amdhsa_user_sgpr_dispatch_ptr 0
		.amdhsa_user_sgpr_queue_ptr 0
		.amdhsa_user_sgpr_kernarg_segment_ptr 1
		.amdhsa_user_sgpr_dispatch_id 0
		.amdhsa_user_sgpr_kernarg_preload_length 0
		.amdhsa_user_sgpr_kernarg_preload_offset 0
		.amdhsa_user_sgpr_private_segment_size 0
		.amdhsa_uses_dynamic_stack 0
		.amdhsa_enable_private_segment 0
		.amdhsa_system_sgpr_workgroup_id_x 1
		.amdhsa_system_sgpr_workgroup_id_y 0
		.amdhsa_system_sgpr_workgroup_id_z 0
		.amdhsa_system_sgpr_workgroup_info 0
		.amdhsa_system_vgpr_workitem_id 0
		.amdhsa_next_free_vgpr 1
		.amdhsa_next_free_sgpr 0
		.amdhsa_accum_offset 4
		.amdhsa_reserve_vcc 0
		.amdhsa_float_round_mode_32 0
		.amdhsa_float_round_mode_16_64 0
		.amdhsa_float_denorm_mode_32 3
		.amdhsa_float_denorm_mode_16_64 3
		.amdhsa_dx10_clamp 1
		.amdhsa_ieee_mode 1
		.amdhsa_fp16_overflow 0
		.amdhsa_tg_split 0
		.amdhsa_exception_fp_ieee_invalid_op 0
		.amdhsa_exception_fp_denorm_src 0
		.amdhsa_exception_fp_ieee_div_zero 0
		.amdhsa_exception_fp_ieee_overflow 0
		.amdhsa_exception_fp_ieee_underflow 0
		.amdhsa_exception_fp_ieee_inexact 0
		.amdhsa_exception_int_div_zero 0
	.end_amdhsa_kernel
	.section	.text._ZN7rocprim17ROCPRIM_400000_NS6detail17trampoline_kernelINS0_14default_configENS1_35radix_sort_onesweep_config_selectorIjNS0_10empty_typeEEEZZNS1_29radix_sort_onesweep_iterationIS3_Lb0EN6thrust23THRUST_200600_302600_NS6detail15normal_iteratorINS9_10device_ptrIjEEEESE_PS5_SF_jNS0_19identity_decomposerENS1_16block_id_wrapperIjLb0EEEEE10hipError_tT1_PNSt15iterator_traitsISK_E10value_typeET2_T3_PNSL_ISQ_E10value_typeET4_T5_PSV_SW_PNS1_23onesweep_lookback_stateEbbT6_jjT7_P12ihipStream_tbENKUlT_T0_SK_SP_E_clISE_PjSF_SF_EEDaS13_S14_SK_SP_EUlS13_E_NS1_11comp_targetILNS1_3genE10ELNS1_11target_archE1201ELNS1_3gpuE5ELNS1_3repE0EEENS1_47radix_sort_onesweep_sort_config_static_selectorELNS0_4arch9wavefront6targetE1EEEvSK_,"axG",@progbits,_ZN7rocprim17ROCPRIM_400000_NS6detail17trampoline_kernelINS0_14default_configENS1_35radix_sort_onesweep_config_selectorIjNS0_10empty_typeEEEZZNS1_29radix_sort_onesweep_iterationIS3_Lb0EN6thrust23THRUST_200600_302600_NS6detail15normal_iteratorINS9_10device_ptrIjEEEESE_PS5_SF_jNS0_19identity_decomposerENS1_16block_id_wrapperIjLb0EEEEE10hipError_tT1_PNSt15iterator_traitsISK_E10value_typeET2_T3_PNSL_ISQ_E10value_typeET4_T5_PSV_SW_PNS1_23onesweep_lookback_stateEbbT6_jjT7_P12ihipStream_tbENKUlT_T0_SK_SP_E_clISE_PjSF_SF_EEDaS13_S14_SK_SP_EUlS13_E_NS1_11comp_targetILNS1_3genE10ELNS1_11target_archE1201ELNS1_3gpuE5ELNS1_3repE0EEENS1_47radix_sort_onesweep_sort_config_static_selectorELNS0_4arch9wavefront6targetE1EEEvSK_,comdat
.Lfunc_end1143:
	.size	_ZN7rocprim17ROCPRIM_400000_NS6detail17trampoline_kernelINS0_14default_configENS1_35radix_sort_onesweep_config_selectorIjNS0_10empty_typeEEEZZNS1_29radix_sort_onesweep_iterationIS3_Lb0EN6thrust23THRUST_200600_302600_NS6detail15normal_iteratorINS9_10device_ptrIjEEEESE_PS5_SF_jNS0_19identity_decomposerENS1_16block_id_wrapperIjLb0EEEEE10hipError_tT1_PNSt15iterator_traitsISK_E10value_typeET2_T3_PNSL_ISQ_E10value_typeET4_T5_PSV_SW_PNS1_23onesweep_lookback_stateEbbT6_jjT7_P12ihipStream_tbENKUlT_T0_SK_SP_E_clISE_PjSF_SF_EEDaS13_S14_SK_SP_EUlS13_E_NS1_11comp_targetILNS1_3genE10ELNS1_11target_archE1201ELNS1_3gpuE5ELNS1_3repE0EEENS1_47radix_sort_onesweep_sort_config_static_selectorELNS0_4arch9wavefront6targetE1EEEvSK_, .Lfunc_end1143-_ZN7rocprim17ROCPRIM_400000_NS6detail17trampoline_kernelINS0_14default_configENS1_35radix_sort_onesweep_config_selectorIjNS0_10empty_typeEEEZZNS1_29radix_sort_onesweep_iterationIS3_Lb0EN6thrust23THRUST_200600_302600_NS6detail15normal_iteratorINS9_10device_ptrIjEEEESE_PS5_SF_jNS0_19identity_decomposerENS1_16block_id_wrapperIjLb0EEEEE10hipError_tT1_PNSt15iterator_traitsISK_E10value_typeET2_T3_PNSL_ISQ_E10value_typeET4_T5_PSV_SW_PNS1_23onesweep_lookback_stateEbbT6_jjT7_P12ihipStream_tbENKUlT_T0_SK_SP_E_clISE_PjSF_SF_EEDaS13_S14_SK_SP_EUlS13_E_NS1_11comp_targetILNS1_3genE10ELNS1_11target_archE1201ELNS1_3gpuE5ELNS1_3repE0EEENS1_47radix_sort_onesweep_sort_config_static_selectorELNS0_4arch9wavefront6targetE1EEEvSK_
                                        ; -- End function
	.section	.AMDGPU.csdata,"",@progbits
; Kernel info:
; codeLenInByte = 0
; NumSgprs: 6
; NumVgprs: 0
; NumAgprs: 0
; TotalNumVgprs: 0
; ScratchSize: 0
; MemoryBound: 0
; FloatMode: 240
; IeeeMode: 1
; LDSByteSize: 0 bytes/workgroup (compile time only)
; SGPRBlocks: 0
; VGPRBlocks: 0
; NumSGPRsForWavesPerEU: 6
; NumVGPRsForWavesPerEU: 1
; AccumOffset: 4
; Occupancy: 8
; WaveLimiterHint : 0
; COMPUTE_PGM_RSRC2:SCRATCH_EN: 0
; COMPUTE_PGM_RSRC2:USER_SGPR: 2
; COMPUTE_PGM_RSRC2:TRAP_HANDLER: 0
; COMPUTE_PGM_RSRC2:TGID_X_EN: 1
; COMPUTE_PGM_RSRC2:TGID_Y_EN: 0
; COMPUTE_PGM_RSRC2:TGID_Z_EN: 0
; COMPUTE_PGM_RSRC2:TIDIG_COMP_CNT: 0
; COMPUTE_PGM_RSRC3_GFX90A:ACCUM_OFFSET: 0
; COMPUTE_PGM_RSRC3_GFX90A:TG_SPLIT: 0
	.section	.text._ZN7rocprim17ROCPRIM_400000_NS6detail17trampoline_kernelINS0_14default_configENS1_35radix_sort_onesweep_config_selectorIjNS0_10empty_typeEEEZZNS1_29radix_sort_onesweep_iterationIS3_Lb0EN6thrust23THRUST_200600_302600_NS6detail15normal_iteratorINS9_10device_ptrIjEEEESE_PS5_SF_jNS0_19identity_decomposerENS1_16block_id_wrapperIjLb0EEEEE10hipError_tT1_PNSt15iterator_traitsISK_E10value_typeET2_T3_PNSL_ISQ_E10value_typeET4_T5_PSV_SW_PNS1_23onesweep_lookback_stateEbbT6_jjT7_P12ihipStream_tbENKUlT_T0_SK_SP_E_clISE_PjSF_SF_EEDaS13_S14_SK_SP_EUlS13_E_NS1_11comp_targetILNS1_3genE9ELNS1_11target_archE1100ELNS1_3gpuE3ELNS1_3repE0EEENS1_47radix_sort_onesweep_sort_config_static_selectorELNS0_4arch9wavefront6targetE1EEEvSK_,"axG",@progbits,_ZN7rocprim17ROCPRIM_400000_NS6detail17trampoline_kernelINS0_14default_configENS1_35radix_sort_onesweep_config_selectorIjNS0_10empty_typeEEEZZNS1_29radix_sort_onesweep_iterationIS3_Lb0EN6thrust23THRUST_200600_302600_NS6detail15normal_iteratorINS9_10device_ptrIjEEEESE_PS5_SF_jNS0_19identity_decomposerENS1_16block_id_wrapperIjLb0EEEEE10hipError_tT1_PNSt15iterator_traitsISK_E10value_typeET2_T3_PNSL_ISQ_E10value_typeET4_T5_PSV_SW_PNS1_23onesweep_lookback_stateEbbT6_jjT7_P12ihipStream_tbENKUlT_T0_SK_SP_E_clISE_PjSF_SF_EEDaS13_S14_SK_SP_EUlS13_E_NS1_11comp_targetILNS1_3genE9ELNS1_11target_archE1100ELNS1_3gpuE3ELNS1_3repE0EEENS1_47radix_sort_onesweep_sort_config_static_selectorELNS0_4arch9wavefront6targetE1EEEvSK_,comdat
	.protected	_ZN7rocprim17ROCPRIM_400000_NS6detail17trampoline_kernelINS0_14default_configENS1_35radix_sort_onesweep_config_selectorIjNS0_10empty_typeEEEZZNS1_29radix_sort_onesweep_iterationIS3_Lb0EN6thrust23THRUST_200600_302600_NS6detail15normal_iteratorINS9_10device_ptrIjEEEESE_PS5_SF_jNS0_19identity_decomposerENS1_16block_id_wrapperIjLb0EEEEE10hipError_tT1_PNSt15iterator_traitsISK_E10value_typeET2_T3_PNSL_ISQ_E10value_typeET4_T5_PSV_SW_PNS1_23onesweep_lookback_stateEbbT6_jjT7_P12ihipStream_tbENKUlT_T0_SK_SP_E_clISE_PjSF_SF_EEDaS13_S14_SK_SP_EUlS13_E_NS1_11comp_targetILNS1_3genE9ELNS1_11target_archE1100ELNS1_3gpuE3ELNS1_3repE0EEENS1_47radix_sort_onesweep_sort_config_static_selectorELNS0_4arch9wavefront6targetE1EEEvSK_ ; -- Begin function _ZN7rocprim17ROCPRIM_400000_NS6detail17trampoline_kernelINS0_14default_configENS1_35radix_sort_onesweep_config_selectorIjNS0_10empty_typeEEEZZNS1_29radix_sort_onesweep_iterationIS3_Lb0EN6thrust23THRUST_200600_302600_NS6detail15normal_iteratorINS9_10device_ptrIjEEEESE_PS5_SF_jNS0_19identity_decomposerENS1_16block_id_wrapperIjLb0EEEEE10hipError_tT1_PNSt15iterator_traitsISK_E10value_typeET2_T3_PNSL_ISQ_E10value_typeET4_T5_PSV_SW_PNS1_23onesweep_lookback_stateEbbT6_jjT7_P12ihipStream_tbENKUlT_T0_SK_SP_E_clISE_PjSF_SF_EEDaS13_S14_SK_SP_EUlS13_E_NS1_11comp_targetILNS1_3genE9ELNS1_11target_archE1100ELNS1_3gpuE3ELNS1_3repE0EEENS1_47radix_sort_onesweep_sort_config_static_selectorELNS0_4arch9wavefront6targetE1EEEvSK_
	.globl	_ZN7rocprim17ROCPRIM_400000_NS6detail17trampoline_kernelINS0_14default_configENS1_35radix_sort_onesweep_config_selectorIjNS0_10empty_typeEEEZZNS1_29radix_sort_onesweep_iterationIS3_Lb0EN6thrust23THRUST_200600_302600_NS6detail15normal_iteratorINS9_10device_ptrIjEEEESE_PS5_SF_jNS0_19identity_decomposerENS1_16block_id_wrapperIjLb0EEEEE10hipError_tT1_PNSt15iterator_traitsISK_E10value_typeET2_T3_PNSL_ISQ_E10value_typeET4_T5_PSV_SW_PNS1_23onesweep_lookback_stateEbbT6_jjT7_P12ihipStream_tbENKUlT_T0_SK_SP_E_clISE_PjSF_SF_EEDaS13_S14_SK_SP_EUlS13_E_NS1_11comp_targetILNS1_3genE9ELNS1_11target_archE1100ELNS1_3gpuE3ELNS1_3repE0EEENS1_47radix_sort_onesweep_sort_config_static_selectorELNS0_4arch9wavefront6targetE1EEEvSK_
	.p2align	8
	.type	_ZN7rocprim17ROCPRIM_400000_NS6detail17trampoline_kernelINS0_14default_configENS1_35radix_sort_onesweep_config_selectorIjNS0_10empty_typeEEEZZNS1_29radix_sort_onesweep_iterationIS3_Lb0EN6thrust23THRUST_200600_302600_NS6detail15normal_iteratorINS9_10device_ptrIjEEEESE_PS5_SF_jNS0_19identity_decomposerENS1_16block_id_wrapperIjLb0EEEEE10hipError_tT1_PNSt15iterator_traitsISK_E10value_typeET2_T3_PNSL_ISQ_E10value_typeET4_T5_PSV_SW_PNS1_23onesweep_lookback_stateEbbT6_jjT7_P12ihipStream_tbENKUlT_T0_SK_SP_E_clISE_PjSF_SF_EEDaS13_S14_SK_SP_EUlS13_E_NS1_11comp_targetILNS1_3genE9ELNS1_11target_archE1100ELNS1_3gpuE3ELNS1_3repE0EEENS1_47radix_sort_onesweep_sort_config_static_selectorELNS0_4arch9wavefront6targetE1EEEvSK_,@function
_ZN7rocprim17ROCPRIM_400000_NS6detail17trampoline_kernelINS0_14default_configENS1_35radix_sort_onesweep_config_selectorIjNS0_10empty_typeEEEZZNS1_29radix_sort_onesweep_iterationIS3_Lb0EN6thrust23THRUST_200600_302600_NS6detail15normal_iteratorINS9_10device_ptrIjEEEESE_PS5_SF_jNS0_19identity_decomposerENS1_16block_id_wrapperIjLb0EEEEE10hipError_tT1_PNSt15iterator_traitsISK_E10value_typeET2_T3_PNSL_ISQ_E10value_typeET4_T5_PSV_SW_PNS1_23onesweep_lookback_stateEbbT6_jjT7_P12ihipStream_tbENKUlT_T0_SK_SP_E_clISE_PjSF_SF_EEDaS13_S14_SK_SP_EUlS13_E_NS1_11comp_targetILNS1_3genE9ELNS1_11target_archE1100ELNS1_3gpuE3ELNS1_3repE0EEENS1_47radix_sort_onesweep_sort_config_static_selectorELNS0_4arch9wavefront6targetE1EEEvSK_: ; @_ZN7rocprim17ROCPRIM_400000_NS6detail17trampoline_kernelINS0_14default_configENS1_35radix_sort_onesweep_config_selectorIjNS0_10empty_typeEEEZZNS1_29radix_sort_onesweep_iterationIS3_Lb0EN6thrust23THRUST_200600_302600_NS6detail15normal_iteratorINS9_10device_ptrIjEEEESE_PS5_SF_jNS0_19identity_decomposerENS1_16block_id_wrapperIjLb0EEEEE10hipError_tT1_PNSt15iterator_traitsISK_E10value_typeET2_T3_PNSL_ISQ_E10value_typeET4_T5_PSV_SW_PNS1_23onesweep_lookback_stateEbbT6_jjT7_P12ihipStream_tbENKUlT_T0_SK_SP_E_clISE_PjSF_SF_EEDaS13_S14_SK_SP_EUlS13_E_NS1_11comp_targetILNS1_3genE9ELNS1_11target_archE1100ELNS1_3gpuE3ELNS1_3repE0EEENS1_47radix_sort_onesweep_sort_config_static_selectorELNS0_4arch9wavefront6targetE1EEEvSK_
; %bb.0:
	.section	.rodata,"a",@progbits
	.p2align	6, 0x0
	.amdhsa_kernel _ZN7rocprim17ROCPRIM_400000_NS6detail17trampoline_kernelINS0_14default_configENS1_35radix_sort_onesweep_config_selectorIjNS0_10empty_typeEEEZZNS1_29radix_sort_onesweep_iterationIS3_Lb0EN6thrust23THRUST_200600_302600_NS6detail15normal_iteratorINS9_10device_ptrIjEEEESE_PS5_SF_jNS0_19identity_decomposerENS1_16block_id_wrapperIjLb0EEEEE10hipError_tT1_PNSt15iterator_traitsISK_E10value_typeET2_T3_PNSL_ISQ_E10value_typeET4_T5_PSV_SW_PNS1_23onesweep_lookback_stateEbbT6_jjT7_P12ihipStream_tbENKUlT_T0_SK_SP_E_clISE_PjSF_SF_EEDaS13_S14_SK_SP_EUlS13_E_NS1_11comp_targetILNS1_3genE9ELNS1_11target_archE1100ELNS1_3gpuE3ELNS1_3repE0EEENS1_47radix_sort_onesweep_sort_config_static_selectorELNS0_4arch9wavefront6targetE1EEEvSK_
		.amdhsa_group_segment_fixed_size 0
		.amdhsa_private_segment_fixed_size 0
		.amdhsa_kernarg_size 88
		.amdhsa_user_sgpr_count 2
		.amdhsa_user_sgpr_dispatch_ptr 0
		.amdhsa_user_sgpr_queue_ptr 0
		.amdhsa_user_sgpr_kernarg_segment_ptr 1
		.amdhsa_user_sgpr_dispatch_id 0
		.amdhsa_user_sgpr_kernarg_preload_length 0
		.amdhsa_user_sgpr_kernarg_preload_offset 0
		.amdhsa_user_sgpr_private_segment_size 0
		.amdhsa_uses_dynamic_stack 0
		.amdhsa_enable_private_segment 0
		.amdhsa_system_sgpr_workgroup_id_x 1
		.amdhsa_system_sgpr_workgroup_id_y 0
		.amdhsa_system_sgpr_workgroup_id_z 0
		.amdhsa_system_sgpr_workgroup_info 0
		.amdhsa_system_vgpr_workitem_id 0
		.amdhsa_next_free_vgpr 1
		.amdhsa_next_free_sgpr 0
		.amdhsa_accum_offset 4
		.amdhsa_reserve_vcc 0
		.amdhsa_float_round_mode_32 0
		.amdhsa_float_round_mode_16_64 0
		.amdhsa_float_denorm_mode_32 3
		.amdhsa_float_denorm_mode_16_64 3
		.amdhsa_dx10_clamp 1
		.amdhsa_ieee_mode 1
		.amdhsa_fp16_overflow 0
		.amdhsa_tg_split 0
		.amdhsa_exception_fp_ieee_invalid_op 0
		.amdhsa_exception_fp_denorm_src 0
		.amdhsa_exception_fp_ieee_div_zero 0
		.amdhsa_exception_fp_ieee_overflow 0
		.amdhsa_exception_fp_ieee_underflow 0
		.amdhsa_exception_fp_ieee_inexact 0
		.amdhsa_exception_int_div_zero 0
	.end_amdhsa_kernel
	.section	.text._ZN7rocprim17ROCPRIM_400000_NS6detail17trampoline_kernelINS0_14default_configENS1_35radix_sort_onesweep_config_selectorIjNS0_10empty_typeEEEZZNS1_29radix_sort_onesweep_iterationIS3_Lb0EN6thrust23THRUST_200600_302600_NS6detail15normal_iteratorINS9_10device_ptrIjEEEESE_PS5_SF_jNS0_19identity_decomposerENS1_16block_id_wrapperIjLb0EEEEE10hipError_tT1_PNSt15iterator_traitsISK_E10value_typeET2_T3_PNSL_ISQ_E10value_typeET4_T5_PSV_SW_PNS1_23onesweep_lookback_stateEbbT6_jjT7_P12ihipStream_tbENKUlT_T0_SK_SP_E_clISE_PjSF_SF_EEDaS13_S14_SK_SP_EUlS13_E_NS1_11comp_targetILNS1_3genE9ELNS1_11target_archE1100ELNS1_3gpuE3ELNS1_3repE0EEENS1_47radix_sort_onesweep_sort_config_static_selectorELNS0_4arch9wavefront6targetE1EEEvSK_,"axG",@progbits,_ZN7rocprim17ROCPRIM_400000_NS6detail17trampoline_kernelINS0_14default_configENS1_35radix_sort_onesweep_config_selectorIjNS0_10empty_typeEEEZZNS1_29radix_sort_onesweep_iterationIS3_Lb0EN6thrust23THRUST_200600_302600_NS6detail15normal_iteratorINS9_10device_ptrIjEEEESE_PS5_SF_jNS0_19identity_decomposerENS1_16block_id_wrapperIjLb0EEEEE10hipError_tT1_PNSt15iterator_traitsISK_E10value_typeET2_T3_PNSL_ISQ_E10value_typeET4_T5_PSV_SW_PNS1_23onesweep_lookback_stateEbbT6_jjT7_P12ihipStream_tbENKUlT_T0_SK_SP_E_clISE_PjSF_SF_EEDaS13_S14_SK_SP_EUlS13_E_NS1_11comp_targetILNS1_3genE9ELNS1_11target_archE1100ELNS1_3gpuE3ELNS1_3repE0EEENS1_47radix_sort_onesweep_sort_config_static_selectorELNS0_4arch9wavefront6targetE1EEEvSK_,comdat
.Lfunc_end1144:
	.size	_ZN7rocprim17ROCPRIM_400000_NS6detail17trampoline_kernelINS0_14default_configENS1_35radix_sort_onesweep_config_selectorIjNS0_10empty_typeEEEZZNS1_29radix_sort_onesweep_iterationIS3_Lb0EN6thrust23THRUST_200600_302600_NS6detail15normal_iteratorINS9_10device_ptrIjEEEESE_PS5_SF_jNS0_19identity_decomposerENS1_16block_id_wrapperIjLb0EEEEE10hipError_tT1_PNSt15iterator_traitsISK_E10value_typeET2_T3_PNSL_ISQ_E10value_typeET4_T5_PSV_SW_PNS1_23onesweep_lookback_stateEbbT6_jjT7_P12ihipStream_tbENKUlT_T0_SK_SP_E_clISE_PjSF_SF_EEDaS13_S14_SK_SP_EUlS13_E_NS1_11comp_targetILNS1_3genE9ELNS1_11target_archE1100ELNS1_3gpuE3ELNS1_3repE0EEENS1_47radix_sort_onesweep_sort_config_static_selectorELNS0_4arch9wavefront6targetE1EEEvSK_, .Lfunc_end1144-_ZN7rocprim17ROCPRIM_400000_NS6detail17trampoline_kernelINS0_14default_configENS1_35radix_sort_onesweep_config_selectorIjNS0_10empty_typeEEEZZNS1_29radix_sort_onesweep_iterationIS3_Lb0EN6thrust23THRUST_200600_302600_NS6detail15normal_iteratorINS9_10device_ptrIjEEEESE_PS5_SF_jNS0_19identity_decomposerENS1_16block_id_wrapperIjLb0EEEEE10hipError_tT1_PNSt15iterator_traitsISK_E10value_typeET2_T3_PNSL_ISQ_E10value_typeET4_T5_PSV_SW_PNS1_23onesweep_lookback_stateEbbT6_jjT7_P12ihipStream_tbENKUlT_T0_SK_SP_E_clISE_PjSF_SF_EEDaS13_S14_SK_SP_EUlS13_E_NS1_11comp_targetILNS1_3genE9ELNS1_11target_archE1100ELNS1_3gpuE3ELNS1_3repE0EEENS1_47radix_sort_onesweep_sort_config_static_selectorELNS0_4arch9wavefront6targetE1EEEvSK_
                                        ; -- End function
	.section	.AMDGPU.csdata,"",@progbits
; Kernel info:
; codeLenInByte = 0
; NumSgprs: 6
; NumVgprs: 0
; NumAgprs: 0
; TotalNumVgprs: 0
; ScratchSize: 0
; MemoryBound: 0
; FloatMode: 240
; IeeeMode: 1
; LDSByteSize: 0 bytes/workgroup (compile time only)
; SGPRBlocks: 0
; VGPRBlocks: 0
; NumSGPRsForWavesPerEU: 6
; NumVGPRsForWavesPerEU: 1
; AccumOffset: 4
; Occupancy: 8
; WaveLimiterHint : 0
; COMPUTE_PGM_RSRC2:SCRATCH_EN: 0
; COMPUTE_PGM_RSRC2:USER_SGPR: 2
; COMPUTE_PGM_RSRC2:TRAP_HANDLER: 0
; COMPUTE_PGM_RSRC2:TGID_X_EN: 1
; COMPUTE_PGM_RSRC2:TGID_Y_EN: 0
; COMPUTE_PGM_RSRC2:TGID_Z_EN: 0
; COMPUTE_PGM_RSRC2:TIDIG_COMP_CNT: 0
; COMPUTE_PGM_RSRC3_GFX90A:ACCUM_OFFSET: 0
; COMPUTE_PGM_RSRC3_GFX90A:TG_SPLIT: 0
	.section	.text._ZN7rocprim17ROCPRIM_400000_NS6detail17trampoline_kernelINS0_14default_configENS1_35radix_sort_onesweep_config_selectorIjNS0_10empty_typeEEEZZNS1_29radix_sort_onesweep_iterationIS3_Lb0EN6thrust23THRUST_200600_302600_NS6detail15normal_iteratorINS9_10device_ptrIjEEEESE_PS5_SF_jNS0_19identity_decomposerENS1_16block_id_wrapperIjLb0EEEEE10hipError_tT1_PNSt15iterator_traitsISK_E10value_typeET2_T3_PNSL_ISQ_E10value_typeET4_T5_PSV_SW_PNS1_23onesweep_lookback_stateEbbT6_jjT7_P12ihipStream_tbENKUlT_T0_SK_SP_E_clISE_PjSF_SF_EEDaS13_S14_SK_SP_EUlS13_E_NS1_11comp_targetILNS1_3genE8ELNS1_11target_archE1030ELNS1_3gpuE2ELNS1_3repE0EEENS1_47radix_sort_onesweep_sort_config_static_selectorELNS0_4arch9wavefront6targetE1EEEvSK_,"axG",@progbits,_ZN7rocprim17ROCPRIM_400000_NS6detail17trampoline_kernelINS0_14default_configENS1_35radix_sort_onesweep_config_selectorIjNS0_10empty_typeEEEZZNS1_29radix_sort_onesweep_iterationIS3_Lb0EN6thrust23THRUST_200600_302600_NS6detail15normal_iteratorINS9_10device_ptrIjEEEESE_PS5_SF_jNS0_19identity_decomposerENS1_16block_id_wrapperIjLb0EEEEE10hipError_tT1_PNSt15iterator_traitsISK_E10value_typeET2_T3_PNSL_ISQ_E10value_typeET4_T5_PSV_SW_PNS1_23onesweep_lookback_stateEbbT6_jjT7_P12ihipStream_tbENKUlT_T0_SK_SP_E_clISE_PjSF_SF_EEDaS13_S14_SK_SP_EUlS13_E_NS1_11comp_targetILNS1_3genE8ELNS1_11target_archE1030ELNS1_3gpuE2ELNS1_3repE0EEENS1_47radix_sort_onesweep_sort_config_static_selectorELNS0_4arch9wavefront6targetE1EEEvSK_,comdat
	.protected	_ZN7rocprim17ROCPRIM_400000_NS6detail17trampoline_kernelINS0_14default_configENS1_35radix_sort_onesweep_config_selectorIjNS0_10empty_typeEEEZZNS1_29radix_sort_onesweep_iterationIS3_Lb0EN6thrust23THRUST_200600_302600_NS6detail15normal_iteratorINS9_10device_ptrIjEEEESE_PS5_SF_jNS0_19identity_decomposerENS1_16block_id_wrapperIjLb0EEEEE10hipError_tT1_PNSt15iterator_traitsISK_E10value_typeET2_T3_PNSL_ISQ_E10value_typeET4_T5_PSV_SW_PNS1_23onesweep_lookback_stateEbbT6_jjT7_P12ihipStream_tbENKUlT_T0_SK_SP_E_clISE_PjSF_SF_EEDaS13_S14_SK_SP_EUlS13_E_NS1_11comp_targetILNS1_3genE8ELNS1_11target_archE1030ELNS1_3gpuE2ELNS1_3repE0EEENS1_47radix_sort_onesweep_sort_config_static_selectorELNS0_4arch9wavefront6targetE1EEEvSK_ ; -- Begin function _ZN7rocprim17ROCPRIM_400000_NS6detail17trampoline_kernelINS0_14default_configENS1_35radix_sort_onesweep_config_selectorIjNS0_10empty_typeEEEZZNS1_29radix_sort_onesweep_iterationIS3_Lb0EN6thrust23THRUST_200600_302600_NS6detail15normal_iteratorINS9_10device_ptrIjEEEESE_PS5_SF_jNS0_19identity_decomposerENS1_16block_id_wrapperIjLb0EEEEE10hipError_tT1_PNSt15iterator_traitsISK_E10value_typeET2_T3_PNSL_ISQ_E10value_typeET4_T5_PSV_SW_PNS1_23onesweep_lookback_stateEbbT6_jjT7_P12ihipStream_tbENKUlT_T0_SK_SP_E_clISE_PjSF_SF_EEDaS13_S14_SK_SP_EUlS13_E_NS1_11comp_targetILNS1_3genE8ELNS1_11target_archE1030ELNS1_3gpuE2ELNS1_3repE0EEENS1_47radix_sort_onesweep_sort_config_static_selectorELNS0_4arch9wavefront6targetE1EEEvSK_
	.globl	_ZN7rocprim17ROCPRIM_400000_NS6detail17trampoline_kernelINS0_14default_configENS1_35radix_sort_onesweep_config_selectorIjNS0_10empty_typeEEEZZNS1_29radix_sort_onesweep_iterationIS3_Lb0EN6thrust23THRUST_200600_302600_NS6detail15normal_iteratorINS9_10device_ptrIjEEEESE_PS5_SF_jNS0_19identity_decomposerENS1_16block_id_wrapperIjLb0EEEEE10hipError_tT1_PNSt15iterator_traitsISK_E10value_typeET2_T3_PNSL_ISQ_E10value_typeET4_T5_PSV_SW_PNS1_23onesweep_lookback_stateEbbT6_jjT7_P12ihipStream_tbENKUlT_T0_SK_SP_E_clISE_PjSF_SF_EEDaS13_S14_SK_SP_EUlS13_E_NS1_11comp_targetILNS1_3genE8ELNS1_11target_archE1030ELNS1_3gpuE2ELNS1_3repE0EEENS1_47radix_sort_onesweep_sort_config_static_selectorELNS0_4arch9wavefront6targetE1EEEvSK_
	.p2align	8
	.type	_ZN7rocprim17ROCPRIM_400000_NS6detail17trampoline_kernelINS0_14default_configENS1_35radix_sort_onesweep_config_selectorIjNS0_10empty_typeEEEZZNS1_29radix_sort_onesweep_iterationIS3_Lb0EN6thrust23THRUST_200600_302600_NS6detail15normal_iteratorINS9_10device_ptrIjEEEESE_PS5_SF_jNS0_19identity_decomposerENS1_16block_id_wrapperIjLb0EEEEE10hipError_tT1_PNSt15iterator_traitsISK_E10value_typeET2_T3_PNSL_ISQ_E10value_typeET4_T5_PSV_SW_PNS1_23onesweep_lookback_stateEbbT6_jjT7_P12ihipStream_tbENKUlT_T0_SK_SP_E_clISE_PjSF_SF_EEDaS13_S14_SK_SP_EUlS13_E_NS1_11comp_targetILNS1_3genE8ELNS1_11target_archE1030ELNS1_3gpuE2ELNS1_3repE0EEENS1_47radix_sort_onesweep_sort_config_static_selectorELNS0_4arch9wavefront6targetE1EEEvSK_,@function
_ZN7rocprim17ROCPRIM_400000_NS6detail17trampoline_kernelINS0_14default_configENS1_35radix_sort_onesweep_config_selectorIjNS0_10empty_typeEEEZZNS1_29radix_sort_onesweep_iterationIS3_Lb0EN6thrust23THRUST_200600_302600_NS6detail15normal_iteratorINS9_10device_ptrIjEEEESE_PS5_SF_jNS0_19identity_decomposerENS1_16block_id_wrapperIjLb0EEEEE10hipError_tT1_PNSt15iterator_traitsISK_E10value_typeET2_T3_PNSL_ISQ_E10value_typeET4_T5_PSV_SW_PNS1_23onesweep_lookback_stateEbbT6_jjT7_P12ihipStream_tbENKUlT_T0_SK_SP_E_clISE_PjSF_SF_EEDaS13_S14_SK_SP_EUlS13_E_NS1_11comp_targetILNS1_3genE8ELNS1_11target_archE1030ELNS1_3gpuE2ELNS1_3repE0EEENS1_47radix_sort_onesweep_sort_config_static_selectorELNS0_4arch9wavefront6targetE1EEEvSK_: ; @_ZN7rocprim17ROCPRIM_400000_NS6detail17trampoline_kernelINS0_14default_configENS1_35radix_sort_onesweep_config_selectorIjNS0_10empty_typeEEEZZNS1_29radix_sort_onesweep_iterationIS3_Lb0EN6thrust23THRUST_200600_302600_NS6detail15normal_iteratorINS9_10device_ptrIjEEEESE_PS5_SF_jNS0_19identity_decomposerENS1_16block_id_wrapperIjLb0EEEEE10hipError_tT1_PNSt15iterator_traitsISK_E10value_typeET2_T3_PNSL_ISQ_E10value_typeET4_T5_PSV_SW_PNS1_23onesweep_lookback_stateEbbT6_jjT7_P12ihipStream_tbENKUlT_T0_SK_SP_E_clISE_PjSF_SF_EEDaS13_S14_SK_SP_EUlS13_E_NS1_11comp_targetILNS1_3genE8ELNS1_11target_archE1030ELNS1_3gpuE2ELNS1_3repE0EEENS1_47radix_sort_onesweep_sort_config_static_selectorELNS0_4arch9wavefront6targetE1EEEvSK_
; %bb.0:
	.section	.rodata,"a",@progbits
	.p2align	6, 0x0
	.amdhsa_kernel _ZN7rocprim17ROCPRIM_400000_NS6detail17trampoline_kernelINS0_14default_configENS1_35radix_sort_onesweep_config_selectorIjNS0_10empty_typeEEEZZNS1_29radix_sort_onesweep_iterationIS3_Lb0EN6thrust23THRUST_200600_302600_NS6detail15normal_iteratorINS9_10device_ptrIjEEEESE_PS5_SF_jNS0_19identity_decomposerENS1_16block_id_wrapperIjLb0EEEEE10hipError_tT1_PNSt15iterator_traitsISK_E10value_typeET2_T3_PNSL_ISQ_E10value_typeET4_T5_PSV_SW_PNS1_23onesweep_lookback_stateEbbT6_jjT7_P12ihipStream_tbENKUlT_T0_SK_SP_E_clISE_PjSF_SF_EEDaS13_S14_SK_SP_EUlS13_E_NS1_11comp_targetILNS1_3genE8ELNS1_11target_archE1030ELNS1_3gpuE2ELNS1_3repE0EEENS1_47radix_sort_onesweep_sort_config_static_selectorELNS0_4arch9wavefront6targetE1EEEvSK_
		.amdhsa_group_segment_fixed_size 0
		.amdhsa_private_segment_fixed_size 0
		.amdhsa_kernarg_size 88
		.amdhsa_user_sgpr_count 2
		.amdhsa_user_sgpr_dispatch_ptr 0
		.amdhsa_user_sgpr_queue_ptr 0
		.amdhsa_user_sgpr_kernarg_segment_ptr 1
		.amdhsa_user_sgpr_dispatch_id 0
		.amdhsa_user_sgpr_kernarg_preload_length 0
		.amdhsa_user_sgpr_kernarg_preload_offset 0
		.amdhsa_user_sgpr_private_segment_size 0
		.amdhsa_uses_dynamic_stack 0
		.amdhsa_enable_private_segment 0
		.amdhsa_system_sgpr_workgroup_id_x 1
		.amdhsa_system_sgpr_workgroup_id_y 0
		.amdhsa_system_sgpr_workgroup_id_z 0
		.amdhsa_system_sgpr_workgroup_info 0
		.amdhsa_system_vgpr_workitem_id 0
		.amdhsa_next_free_vgpr 1
		.amdhsa_next_free_sgpr 0
		.amdhsa_accum_offset 4
		.amdhsa_reserve_vcc 0
		.amdhsa_float_round_mode_32 0
		.amdhsa_float_round_mode_16_64 0
		.amdhsa_float_denorm_mode_32 3
		.amdhsa_float_denorm_mode_16_64 3
		.amdhsa_dx10_clamp 1
		.amdhsa_ieee_mode 1
		.amdhsa_fp16_overflow 0
		.amdhsa_tg_split 0
		.amdhsa_exception_fp_ieee_invalid_op 0
		.amdhsa_exception_fp_denorm_src 0
		.amdhsa_exception_fp_ieee_div_zero 0
		.amdhsa_exception_fp_ieee_overflow 0
		.amdhsa_exception_fp_ieee_underflow 0
		.amdhsa_exception_fp_ieee_inexact 0
		.amdhsa_exception_int_div_zero 0
	.end_amdhsa_kernel
	.section	.text._ZN7rocprim17ROCPRIM_400000_NS6detail17trampoline_kernelINS0_14default_configENS1_35radix_sort_onesweep_config_selectorIjNS0_10empty_typeEEEZZNS1_29radix_sort_onesweep_iterationIS3_Lb0EN6thrust23THRUST_200600_302600_NS6detail15normal_iteratorINS9_10device_ptrIjEEEESE_PS5_SF_jNS0_19identity_decomposerENS1_16block_id_wrapperIjLb0EEEEE10hipError_tT1_PNSt15iterator_traitsISK_E10value_typeET2_T3_PNSL_ISQ_E10value_typeET4_T5_PSV_SW_PNS1_23onesweep_lookback_stateEbbT6_jjT7_P12ihipStream_tbENKUlT_T0_SK_SP_E_clISE_PjSF_SF_EEDaS13_S14_SK_SP_EUlS13_E_NS1_11comp_targetILNS1_3genE8ELNS1_11target_archE1030ELNS1_3gpuE2ELNS1_3repE0EEENS1_47radix_sort_onesweep_sort_config_static_selectorELNS0_4arch9wavefront6targetE1EEEvSK_,"axG",@progbits,_ZN7rocprim17ROCPRIM_400000_NS6detail17trampoline_kernelINS0_14default_configENS1_35radix_sort_onesweep_config_selectorIjNS0_10empty_typeEEEZZNS1_29radix_sort_onesweep_iterationIS3_Lb0EN6thrust23THRUST_200600_302600_NS6detail15normal_iteratorINS9_10device_ptrIjEEEESE_PS5_SF_jNS0_19identity_decomposerENS1_16block_id_wrapperIjLb0EEEEE10hipError_tT1_PNSt15iterator_traitsISK_E10value_typeET2_T3_PNSL_ISQ_E10value_typeET4_T5_PSV_SW_PNS1_23onesweep_lookback_stateEbbT6_jjT7_P12ihipStream_tbENKUlT_T0_SK_SP_E_clISE_PjSF_SF_EEDaS13_S14_SK_SP_EUlS13_E_NS1_11comp_targetILNS1_3genE8ELNS1_11target_archE1030ELNS1_3gpuE2ELNS1_3repE0EEENS1_47radix_sort_onesweep_sort_config_static_selectorELNS0_4arch9wavefront6targetE1EEEvSK_,comdat
.Lfunc_end1145:
	.size	_ZN7rocprim17ROCPRIM_400000_NS6detail17trampoline_kernelINS0_14default_configENS1_35radix_sort_onesweep_config_selectorIjNS0_10empty_typeEEEZZNS1_29radix_sort_onesweep_iterationIS3_Lb0EN6thrust23THRUST_200600_302600_NS6detail15normal_iteratorINS9_10device_ptrIjEEEESE_PS5_SF_jNS0_19identity_decomposerENS1_16block_id_wrapperIjLb0EEEEE10hipError_tT1_PNSt15iterator_traitsISK_E10value_typeET2_T3_PNSL_ISQ_E10value_typeET4_T5_PSV_SW_PNS1_23onesweep_lookback_stateEbbT6_jjT7_P12ihipStream_tbENKUlT_T0_SK_SP_E_clISE_PjSF_SF_EEDaS13_S14_SK_SP_EUlS13_E_NS1_11comp_targetILNS1_3genE8ELNS1_11target_archE1030ELNS1_3gpuE2ELNS1_3repE0EEENS1_47radix_sort_onesweep_sort_config_static_selectorELNS0_4arch9wavefront6targetE1EEEvSK_, .Lfunc_end1145-_ZN7rocprim17ROCPRIM_400000_NS6detail17trampoline_kernelINS0_14default_configENS1_35radix_sort_onesweep_config_selectorIjNS0_10empty_typeEEEZZNS1_29radix_sort_onesweep_iterationIS3_Lb0EN6thrust23THRUST_200600_302600_NS6detail15normal_iteratorINS9_10device_ptrIjEEEESE_PS5_SF_jNS0_19identity_decomposerENS1_16block_id_wrapperIjLb0EEEEE10hipError_tT1_PNSt15iterator_traitsISK_E10value_typeET2_T3_PNSL_ISQ_E10value_typeET4_T5_PSV_SW_PNS1_23onesweep_lookback_stateEbbT6_jjT7_P12ihipStream_tbENKUlT_T0_SK_SP_E_clISE_PjSF_SF_EEDaS13_S14_SK_SP_EUlS13_E_NS1_11comp_targetILNS1_3genE8ELNS1_11target_archE1030ELNS1_3gpuE2ELNS1_3repE0EEENS1_47radix_sort_onesweep_sort_config_static_selectorELNS0_4arch9wavefront6targetE1EEEvSK_
                                        ; -- End function
	.section	.AMDGPU.csdata,"",@progbits
; Kernel info:
; codeLenInByte = 0
; NumSgprs: 6
; NumVgprs: 0
; NumAgprs: 0
; TotalNumVgprs: 0
; ScratchSize: 0
; MemoryBound: 0
; FloatMode: 240
; IeeeMode: 1
; LDSByteSize: 0 bytes/workgroup (compile time only)
; SGPRBlocks: 0
; VGPRBlocks: 0
; NumSGPRsForWavesPerEU: 6
; NumVGPRsForWavesPerEU: 1
; AccumOffset: 4
; Occupancy: 8
; WaveLimiterHint : 0
; COMPUTE_PGM_RSRC2:SCRATCH_EN: 0
; COMPUTE_PGM_RSRC2:USER_SGPR: 2
; COMPUTE_PGM_RSRC2:TRAP_HANDLER: 0
; COMPUTE_PGM_RSRC2:TGID_X_EN: 1
; COMPUTE_PGM_RSRC2:TGID_Y_EN: 0
; COMPUTE_PGM_RSRC2:TGID_Z_EN: 0
; COMPUTE_PGM_RSRC2:TIDIG_COMP_CNT: 0
; COMPUTE_PGM_RSRC3_GFX90A:ACCUM_OFFSET: 0
; COMPUTE_PGM_RSRC3_GFX90A:TG_SPLIT: 0
	.section	.text._ZN7rocprim17ROCPRIM_400000_NS6detail17trampoline_kernelINS0_14default_configENS1_35radix_sort_onesweep_config_selectorIjNS0_10empty_typeEEEZZNS1_29radix_sort_onesweep_iterationIS3_Lb0EN6thrust23THRUST_200600_302600_NS6detail15normal_iteratorINS9_10device_ptrIjEEEESE_PS5_SF_jNS0_19identity_decomposerENS1_16block_id_wrapperIjLb0EEEEE10hipError_tT1_PNSt15iterator_traitsISK_E10value_typeET2_T3_PNSL_ISQ_E10value_typeET4_T5_PSV_SW_PNS1_23onesweep_lookback_stateEbbT6_jjT7_P12ihipStream_tbENKUlT_T0_SK_SP_E_clIPjSE_SF_SF_EEDaS13_S14_SK_SP_EUlS13_E_NS1_11comp_targetILNS1_3genE0ELNS1_11target_archE4294967295ELNS1_3gpuE0ELNS1_3repE0EEENS1_47radix_sort_onesweep_sort_config_static_selectorELNS0_4arch9wavefront6targetE1EEEvSK_,"axG",@progbits,_ZN7rocprim17ROCPRIM_400000_NS6detail17trampoline_kernelINS0_14default_configENS1_35radix_sort_onesweep_config_selectorIjNS0_10empty_typeEEEZZNS1_29radix_sort_onesweep_iterationIS3_Lb0EN6thrust23THRUST_200600_302600_NS6detail15normal_iteratorINS9_10device_ptrIjEEEESE_PS5_SF_jNS0_19identity_decomposerENS1_16block_id_wrapperIjLb0EEEEE10hipError_tT1_PNSt15iterator_traitsISK_E10value_typeET2_T3_PNSL_ISQ_E10value_typeET4_T5_PSV_SW_PNS1_23onesweep_lookback_stateEbbT6_jjT7_P12ihipStream_tbENKUlT_T0_SK_SP_E_clIPjSE_SF_SF_EEDaS13_S14_SK_SP_EUlS13_E_NS1_11comp_targetILNS1_3genE0ELNS1_11target_archE4294967295ELNS1_3gpuE0ELNS1_3repE0EEENS1_47radix_sort_onesweep_sort_config_static_selectorELNS0_4arch9wavefront6targetE1EEEvSK_,comdat
	.protected	_ZN7rocprim17ROCPRIM_400000_NS6detail17trampoline_kernelINS0_14default_configENS1_35radix_sort_onesweep_config_selectorIjNS0_10empty_typeEEEZZNS1_29radix_sort_onesweep_iterationIS3_Lb0EN6thrust23THRUST_200600_302600_NS6detail15normal_iteratorINS9_10device_ptrIjEEEESE_PS5_SF_jNS0_19identity_decomposerENS1_16block_id_wrapperIjLb0EEEEE10hipError_tT1_PNSt15iterator_traitsISK_E10value_typeET2_T3_PNSL_ISQ_E10value_typeET4_T5_PSV_SW_PNS1_23onesweep_lookback_stateEbbT6_jjT7_P12ihipStream_tbENKUlT_T0_SK_SP_E_clIPjSE_SF_SF_EEDaS13_S14_SK_SP_EUlS13_E_NS1_11comp_targetILNS1_3genE0ELNS1_11target_archE4294967295ELNS1_3gpuE0ELNS1_3repE0EEENS1_47radix_sort_onesweep_sort_config_static_selectorELNS0_4arch9wavefront6targetE1EEEvSK_ ; -- Begin function _ZN7rocprim17ROCPRIM_400000_NS6detail17trampoline_kernelINS0_14default_configENS1_35radix_sort_onesweep_config_selectorIjNS0_10empty_typeEEEZZNS1_29radix_sort_onesweep_iterationIS3_Lb0EN6thrust23THRUST_200600_302600_NS6detail15normal_iteratorINS9_10device_ptrIjEEEESE_PS5_SF_jNS0_19identity_decomposerENS1_16block_id_wrapperIjLb0EEEEE10hipError_tT1_PNSt15iterator_traitsISK_E10value_typeET2_T3_PNSL_ISQ_E10value_typeET4_T5_PSV_SW_PNS1_23onesweep_lookback_stateEbbT6_jjT7_P12ihipStream_tbENKUlT_T0_SK_SP_E_clIPjSE_SF_SF_EEDaS13_S14_SK_SP_EUlS13_E_NS1_11comp_targetILNS1_3genE0ELNS1_11target_archE4294967295ELNS1_3gpuE0ELNS1_3repE0EEENS1_47radix_sort_onesweep_sort_config_static_selectorELNS0_4arch9wavefront6targetE1EEEvSK_
	.globl	_ZN7rocprim17ROCPRIM_400000_NS6detail17trampoline_kernelINS0_14default_configENS1_35radix_sort_onesweep_config_selectorIjNS0_10empty_typeEEEZZNS1_29radix_sort_onesweep_iterationIS3_Lb0EN6thrust23THRUST_200600_302600_NS6detail15normal_iteratorINS9_10device_ptrIjEEEESE_PS5_SF_jNS0_19identity_decomposerENS1_16block_id_wrapperIjLb0EEEEE10hipError_tT1_PNSt15iterator_traitsISK_E10value_typeET2_T3_PNSL_ISQ_E10value_typeET4_T5_PSV_SW_PNS1_23onesweep_lookback_stateEbbT6_jjT7_P12ihipStream_tbENKUlT_T0_SK_SP_E_clIPjSE_SF_SF_EEDaS13_S14_SK_SP_EUlS13_E_NS1_11comp_targetILNS1_3genE0ELNS1_11target_archE4294967295ELNS1_3gpuE0ELNS1_3repE0EEENS1_47radix_sort_onesweep_sort_config_static_selectorELNS0_4arch9wavefront6targetE1EEEvSK_
	.p2align	8
	.type	_ZN7rocprim17ROCPRIM_400000_NS6detail17trampoline_kernelINS0_14default_configENS1_35radix_sort_onesweep_config_selectorIjNS0_10empty_typeEEEZZNS1_29radix_sort_onesweep_iterationIS3_Lb0EN6thrust23THRUST_200600_302600_NS6detail15normal_iteratorINS9_10device_ptrIjEEEESE_PS5_SF_jNS0_19identity_decomposerENS1_16block_id_wrapperIjLb0EEEEE10hipError_tT1_PNSt15iterator_traitsISK_E10value_typeET2_T3_PNSL_ISQ_E10value_typeET4_T5_PSV_SW_PNS1_23onesweep_lookback_stateEbbT6_jjT7_P12ihipStream_tbENKUlT_T0_SK_SP_E_clIPjSE_SF_SF_EEDaS13_S14_SK_SP_EUlS13_E_NS1_11comp_targetILNS1_3genE0ELNS1_11target_archE4294967295ELNS1_3gpuE0ELNS1_3repE0EEENS1_47radix_sort_onesweep_sort_config_static_selectorELNS0_4arch9wavefront6targetE1EEEvSK_,@function
_ZN7rocprim17ROCPRIM_400000_NS6detail17trampoline_kernelINS0_14default_configENS1_35radix_sort_onesweep_config_selectorIjNS0_10empty_typeEEEZZNS1_29radix_sort_onesweep_iterationIS3_Lb0EN6thrust23THRUST_200600_302600_NS6detail15normal_iteratorINS9_10device_ptrIjEEEESE_PS5_SF_jNS0_19identity_decomposerENS1_16block_id_wrapperIjLb0EEEEE10hipError_tT1_PNSt15iterator_traitsISK_E10value_typeET2_T3_PNSL_ISQ_E10value_typeET4_T5_PSV_SW_PNS1_23onesweep_lookback_stateEbbT6_jjT7_P12ihipStream_tbENKUlT_T0_SK_SP_E_clIPjSE_SF_SF_EEDaS13_S14_SK_SP_EUlS13_E_NS1_11comp_targetILNS1_3genE0ELNS1_11target_archE4294967295ELNS1_3gpuE0ELNS1_3repE0EEENS1_47radix_sort_onesweep_sort_config_static_selectorELNS0_4arch9wavefront6targetE1EEEvSK_: ; @_ZN7rocprim17ROCPRIM_400000_NS6detail17trampoline_kernelINS0_14default_configENS1_35radix_sort_onesweep_config_selectorIjNS0_10empty_typeEEEZZNS1_29radix_sort_onesweep_iterationIS3_Lb0EN6thrust23THRUST_200600_302600_NS6detail15normal_iteratorINS9_10device_ptrIjEEEESE_PS5_SF_jNS0_19identity_decomposerENS1_16block_id_wrapperIjLb0EEEEE10hipError_tT1_PNSt15iterator_traitsISK_E10value_typeET2_T3_PNSL_ISQ_E10value_typeET4_T5_PSV_SW_PNS1_23onesweep_lookback_stateEbbT6_jjT7_P12ihipStream_tbENKUlT_T0_SK_SP_E_clIPjSE_SF_SF_EEDaS13_S14_SK_SP_EUlS13_E_NS1_11comp_targetILNS1_3genE0ELNS1_11target_archE4294967295ELNS1_3gpuE0ELNS1_3repE0EEENS1_47radix_sort_onesweep_sort_config_static_selectorELNS0_4arch9wavefront6targetE1EEEvSK_
; %bb.0:
	.section	.rodata,"a",@progbits
	.p2align	6, 0x0
	.amdhsa_kernel _ZN7rocprim17ROCPRIM_400000_NS6detail17trampoline_kernelINS0_14default_configENS1_35radix_sort_onesweep_config_selectorIjNS0_10empty_typeEEEZZNS1_29radix_sort_onesweep_iterationIS3_Lb0EN6thrust23THRUST_200600_302600_NS6detail15normal_iteratorINS9_10device_ptrIjEEEESE_PS5_SF_jNS0_19identity_decomposerENS1_16block_id_wrapperIjLb0EEEEE10hipError_tT1_PNSt15iterator_traitsISK_E10value_typeET2_T3_PNSL_ISQ_E10value_typeET4_T5_PSV_SW_PNS1_23onesweep_lookback_stateEbbT6_jjT7_P12ihipStream_tbENKUlT_T0_SK_SP_E_clIPjSE_SF_SF_EEDaS13_S14_SK_SP_EUlS13_E_NS1_11comp_targetILNS1_3genE0ELNS1_11target_archE4294967295ELNS1_3gpuE0ELNS1_3repE0EEENS1_47radix_sort_onesweep_sort_config_static_selectorELNS0_4arch9wavefront6targetE1EEEvSK_
		.amdhsa_group_segment_fixed_size 0
		.amdhsa_private_segment_fixed_size 0
		.amdhsa_kernarg_size 88
		.amdhsa_user_sgpr_count 2
		.amdhsa_user_sgpr_dispatch_ptr 0
		.amdhsa_user_sgpr_queue_ptr 0
		.amdhsa_user_sgpr_kernarg_segment_ptr 1
		.amdhsa_user_sgpr_dispatch_id 0
		.amdhsa_user_sgpr_kernarg_preload_length 0
		.amdhsa_user_sgpr_kernarg_preload_offset 0
		.amdhsa_user_sgpr_private_segment_size 0
		.amdhsa_uses_dynamic_stack 0
		.amdhsa_enable_private_segment 0
		.amdhsa_system_sgpr_workgroup_id_x 1
		.amdhsa_system_sgpr_workgroup_id_y 0
		.amdhsa_system_sgpr_workgroup_id_z 0
		.amdhsa_system_sgpr_workgroup_info 0
		.amdhsa_system_vgpr_workitem_id 0
		.amdhsa_next_free_vgpr 1
		.amdhsa_next_free_sgpr 0
		.amdhsa_accum_offset 4
		.amdhsa_reserve_vcc 0
		.amdhsa_float_round_mode_32 0
		.amdhsa_float_round_mode_16_64 0
		.amdhsa_float_denorm_mode_32 3
		.amdhsa_float_denorm_mode_16_64 3
		.amdhsa_dx10_clamp 1
		.amdhsa_ieee_mode 1
		.amdhsa_fp16_overflow 0
		.amdhsa_tg_split 0
		.amdhsa_exception_fp_ieee_invalid_op 0
		.amdhsa_exception_fp_denorm_src 0
		.amdhsa_exception_fp_ieee_div_zero 0
		.amdhsa_exception_fp_ieee_overflow 0
		.amdhsa_exception_fp_ieee_underflow 0
		.amdhsa_exception_fp_ieee_inexact 0
		.amdhsa_exception_int_div_zero 0
	.end_amdhsa_kernel
	.section	.text._ZN7rocprim17ROCPRIM_400000_NS6detail17trampoline_kernelINS0_14default_configENS1_35radix_sort_onesweep_config_selectorIjNS0_10empty_typeEEEZZNS1_29radix_sort_onesweep_iterationIS3_Lb0EN6thrust23THRUST_200600_302600_NS6detail15normal_iteratorINS9_10device_ptrIjEEEESE_PS5_SF_jNS0_19identity_decomposerENS1_16block_id_wrapperIjLb0EEEEE10hipError_tT1_PNSt15iterator_traitsISK_E10value_typeET2_T3_PNSL_ISQ_E10value_typeET4_T5_PSV_SW_PNS1_23onesweep_lookback_stateEbbT6_jjT7_P12ihipStream_tbENKUlT_T0_SK_SP_E_clIPjSE_SF_SF_EEDaS13_S14_SK_SP_EUlS13_E_NS1_11comp_targetILNS1_3genE0ELNS1_11target_archE4294967295ELNS1_3gpuE0ELNS1_3repE0EEENS1_47radix_sort_onesweep_sort_config_static_selectorELNS0_4arch9wavefront6targetE1EEEvSK_,"axG",@progbits,_ZN7rocprim17ROCPRIM_400000_NS6detail17trampoline_kernelINS0_14default_configENS1_35radix_sort_onesweep_config_selectorIjNS0_10empty_typeEEEZZNS1_29radix_sort_onesweep_iterationIS3_Lb0EN6thrust23THRUST_200600_302600_NS6detail15normal_iteratorINS9_10device_ptrIjEEEESE_PS5_SF_jNS0_19identity_decomposerENS1_16block_id_wrapperIjLb0EEEEE10hipError_tT1_PNSt15iterator_traitsISK_E10value_typeET2_T3_PNSL_ISQ_E10value_typeET4_T5_PSV_SW_PNS1_23onesweep_lookback_stateEbbT6_jjT7_P12ihipStream_tbENKUlT_T0_SK_SP_E_clIPjSE_SF_SF_EEDaS13_S14_SK_SP_EUlS13_E_NS1_11comp_targetILNS1_3genE0ELNS1_11target_archE4294967295ELNS1_3gpuE0ELNS1_3repE0EEENS1_47radix_sort_onesweep_sort_config_static_selectorELNS0_4arch9wavefront6targetE1EEEvSK_,comdat
.Lfunc_end1146:
	.size	_ZN7rocprim17ROCPRIM_400000_NS6detail17trampoline_kernelINS0_14default_configENS1_35radix_sort_onesweep_config_selectorIjNS0_10empty_typeEEEZZNS1_29radix_sort_onesweep_iterationIS3_Lb0EN6thrust23THRUST_200600_302600_NS6detail15normal_iteratorINS9_10device_ptrIjEEEESE_PS5_SF_jNS0_19identity_decomposerENS1_16block_id_wrapperIjLb0EEEEE10hipError_tT1_PNSt15iterator_traitsISK_E10value_typeET2_T3_PNSL_ISQ_E10value_typeET4_T5_PSV_SW_PNS1_23onesweep_lookback_stateEbbT6_jjT7_P12ihipStream_tbENKUlT_T0_SK_SP_E_clIPjSE_SF_SF_EEDaS13_S14_SK_SP_EUlS13_E_NS1_11comp_targetILNS1_3genE0ELNS1_11target_archE4294967295ELNS1_3gpuE0ELNS1_3repE0EEENS1_47radix_sort_onesweep_sort_config_static_selectorELNS0_4arch9wavefront6targetE1EEEvSK_, .Lfunc_end1146-_ZN7rocprim17ROCPRIM_400000_NS6detail17trampoline_kernelINS0_14default_configENS1_35radix_sort_onesweep_config_selectorIjNS0_10empty_typeEEEZZNS1_29radix_sort_onesweep_iterationIS3_Lb0EN6thrust23THRUST_200600_302600_NS6detail15normal_iteratorINS9_10device_ptrIjEEEESE_PS5_SF_jNS0_19identity_decomposerENS1_16block_id_wrapperIjLb0EEEEE10hipError_tT1_PNSt15iterator_traitsISK_E10value_typeET2_T3_PNSL_ISQ_E10value_typeET4_T5_PSV_SW_PNS1_23onesweep_lookback_stateEbbT6_jjT7_P12ihipStream_tbENKUlT_T0_SK_SP_E_clIPjSE_SF_SF_EEDaS13_S14_SK_SP_EUlS13_E_NS1_11comp_targetILNS1_3genE0ELNS1_11target_archE4294967295ELNS1_3gpuE0ELNS1_3repE0EEENS1_47radix_sort_onesweep_sort_config_static_selectorELNS0_4arch9wavefront6targetE1EEEvSK_
                                        ; -- End function
	.section	.AMDGPU.csdata,"",@progbits
; Kernel info:
; codeLenInByte = 0
; NumSgprs: 6
; NumVgprs: 0
; NumAgprs: 0
; TotalNumVgprs: 0
; ScratchSize: 0
; MemoryBound: 0
; FloatMode: 240
; IeeeMode: 1
; LDSByteSize: 0 bytes/workgroup (compile time only)
; SGPRBlocks: 0
; VGPRBlocks: 0
; NumSGPRsForWavesPerEU: 6
; NumVGPRsForWavesPerEU: 1
; AccumOffset: 4
; Occupancy: 8
; WaveLimiterHint : 0
; COMPUTE_PGM_RSRC2:SCRATCH_EN: 0
; COMPUTE_PGM_RSRC2:USER_SGPR: 2
; COMPUTE_PGM_RSRC2:TRAP_HANDLER: 0
; COMPUTE_PGM_RSRC2:TGID_X_EN: 1
; COMPUTE_PGM_RSRC2:TGID_Y_EN: 0
; COMPUTE_PGM_RSRC2:TGID_Z_EN: 0
; COMPUTE_PGM_RSRC2:TIDIG_COMP_CNT: 0
; COMPUTE_PGM_RSRC3_GFX90A:ACCUM_OFFSET: 0
; COMPUTE_PGM_RSRC3_GFX90A:TG_SPLIT: 0
	.section	.text._ZN7rocprim17ROCPRIM_400000_NS6detail17trampoline_kernelINS0_14default_configENS1_35radix_sort_onesweep_config_selectorIjNS0_10empty_typeEEEZZNS1_29radix_sort_onesweep_iterationIS3_Lb0EN6thrust23THRUST_200600_302600_NS6detail15normal_iteratorINS9_10device_ptrIjEEEESE_PS5_SF_jNS0_19identity_decomposerENS1_16block_id_wrapperIjLb0EEEEE10hipError_tT1_PNSt15iterator_traitsISK_E10value_typeET2_T3_PNSL_ISQ_E10value_typeET4_T5_PSV_SW_PNS1_23onesweep_lookback_stateEbbT6_jjT7_P12ihipStream_tbENKUlT_T0_SK_SP_E_clIPjSE_SF_SF_EEDaS13_S14_SK_SP_EUlS13_E_NS1_11comp_targetILNS1_3genE6ELNS1_11target_archE950ELNS1_3gpuE13ELNS1_3repE0EEENS1_47radix_sort_onesweep_sort_config_static_selectorELNS0_4arch9wavefront6targetE1EEEvSK_,"axG",@progbits,_ZN7rocprim17ROCPRIM_400000_NS6detail17trampoline_kernelINS0_14default_configENS1_35radix_sort_onesweep_config_selectorIjNS0_10empty_typeEEEZZNS1_29radix_sort_onesweep_iterationIS3_Lb0EN6thrust23THRUST_200600_302600_NS6detail15normal_iteratorINS9_10device_ptrIjEEEESE_PS5_SF_jNS0_19identity_decomposerENS1_16block_id_wrapperIjLb0EEEEE10hipError_tT1_PNSt15iterator_traitsISK_E10value_typeET2_T3_PNSL_ISQ_E10value_typeET4_T5_PSV_SW_PNS1_23onesweep_lookback_stateEbbT6_jjT7_P12ihipStream_tbENKUlT_T0_SK_SP_E_clIPjSE_SF_SF_EEDaS13_S14_SK_SP_EUlS13_E_NS1_11comp_targetILNS1_3genE6ELNS1_11target_archE950ELNS1_3gpuE13ELNS1_3repE0EEENS1_47radix_sort_onesweep_sort_config_static_selectorELNS0_4arch9wavefront6targetE1EEEvSK_,comdat
	.protected	_ZN7rocprim17ROCPRIM_400000_NS6detail17trampoline_kernelINS0_14default_configENS1_35radix_sort_onesweep_config_selectorIjNS0_10empty_typeEEEZZNS1_29radix_sort_onesweep_iterationIS3_Lb0EN6thrust23THRUST_200600_302600_NS6detail15normal_iteratorINS9_10device_ptrIjEEEESE_PS5_SF_jNS0_19identity_decomposerENS1_16block_id_wrapperIjLb0EEEEE10hipError_tT1_PNSt15iterator_traitsISK_E10value_typeET2_T3_PNSL_ISQ_E10value_typeET4_T5_PSV_SW_PNS1_23onesweep_lookback_stateEbbT6_jjT7_P12ihipStream_tbENKUlT_T0_SK_SP_E_clIPjSE_SF_SF_EEDaS13_S14_SK_SP_EUlS13_E_NS1_11comp_targetILNS1_3genE6ELNS1_11target_archE950ELNS1_3gpuE13ELNS1_3repE0EEENS1_47radix_sort_onesweep_sort_config_static_selectorELNS0_4arch9wavefront6targetE1EEEvSK_ ; -- Begin function _ZN7rocprim17ROCPRIM_400000_NS6detail17trampoline_kernelINS0_14default_configENS1_35radix_sort_onesweep_config_selectorIjNS0_10empty_typeEEEZZNS1_29radix_sort_onesweep_iterationIS3_Lb0EN6thrust23THRUST_200600_302600_NS6detail15normal_iteratorINS9_10device_ptrIjEEEESE_PS5_SF_jNS0_19identity_decomposerENS1_16block_id_wrapperIjLb0EEEEE10hipError_tT1_PNSt15iterator_traitsISK_E10value_typeET2_T3_PNSL_ISQ_E10value_typeET4_T5_PSV_SW_PNS1_23onesweep_lookback_stateEbbT6_jjT7_P12ihipStream_tbENKUlT_T0_SK_SP_E_clIPjSE_SF_SF_EEDaS13_S14_SK_SP_EUlS13_E_NS1_11comp_targetILNS1_3genE6ELNS1_11target_archE950ELNS1_3gpuE13ELNS1_3repE0EEENS1_47radix_sort_onesweep_sort_config_static_selectorELNS0_4arch9wavefront6targetE1EEEvSK_
	.globl	_ZN7rocprim17ROCPRIM_400000_NS6detail17trampoline_kernelINS0_14default_configENS1_35radix_sort_onesweep_config_selectorIjNS0_10empty_typeEEEZZNS1_29radix_sort_onesweep_iterationIS3_Lb0EN6thrust23THRUST_200600_302600_NS6detail15normal_iteratorINS9_10device_ptrIjEEEESE_PS5_SF_jNS0_19identity_decomposerENS1_16block_id_wrapperIjLb0EEEEE10hipError_tT1_PNSt15iterator_traitsISK_E10value_typeET2_T3_PNSL_ISQ_E10value_typeET4_T5_PSV_SW_PNS1_23onesweep_lookback_stateEbbT6_jjT7_P12ihipStream_tbENKUlT_T0_SK_SP_E_clIPjSE_SF_SF_EEDaS13_S14_SK_SP_EUlS13_E_NS1_11comp_targetILNS1_3genE6ELNS1_11target_archE950ELNS1_3gpuE13ELNS1_3repE0EEENS1_47radix_sort_onesweep_sort_config_static_selectorELNS0_4arch9wavefront6targetE1EEEvSK_
	.p2align	8
	.type	_ZN7rocprim17ROCPRIM_400000_NS6detail17trampoline_kernelINS0_14default_configENS1_35radix_sort_onesweep_config_selectorIjNS0_10empty_typeEEEZZNS1_29radix_sort_onesweep_iterationIS3_Lb0EN6thrust23THRUST_200600_302600_NS6detail15normal_iteratorINS9_10device_ptrIjEEEESE_PS5_SF_jNS0_19identity_decomposerENS1_16block_id_wrapperIjLb0EEEEE10hipError_tT1_PNSt15iterator_traitsISK_E10value_typeET2_T3_PNSL_ISQ_E10value_typeET4_T5_PSV_SW_PNS1_23onesweep_lookback_stateEbbT6_jjT7_P12ihipStream_tbENKUlT_T0_SK_SP_E_clIPjSE_SF_SF_EEDaS13_S14_SK_SP_EUlS13_E_NS1_11comp_targetILNS1_3genE6ELNS1_11target_archE950ELNS1_3gpuE13ELNS1_3repE0EEENS1_47radix_sort_onesweep_sort_config_static_selectorELNS0_4arch9wavefront6targetE1EEEvSK_,@function
_ZN7rocprim17ROCPRIM_400000_NS6detail17trampoline_kernelINS0_14default_configENS1_35radix_sort_onesweep_config_selectorIjNS0_10empty_typeEEEZZNS1_29radix_sort_onesweep_iterationIS3_Lb0EN6thrust23THRUST_200600_302600_NS6detail15normal_iteratorINS9_10device_ptrIjEEEESE_PS5_SF_jNS0_19identity_decomposerENS1_16block_id_wrapperIjLb0EEEEE10hipError_tT1_PNSt15iterator_traitsISK_E10value_typeET2_T3_PNSL_ISQ_E10value_typeET4_T5_PSV_SW_PNS1_23onesweep_lookback_stateEbbT6_jjT7_P12ihipStream_tbENKUlT_T0_SK_SP_E_clIPjSE_SF_SF_EEDaS13_S14_SK_SP_EUlS13_E_NS1_11comp_targetILNS1_3genE6ELNS1_11target_archE950ELNS1_3gpuE13ELNS1_3repE0EEENS1_47radix_sort_onesweep_sort_config_static_selectorELNS0_4arch9wavefront6targetE1EEEvSK_: ; @_ZN7rocprim17ROCPRIM_400000_NS6detail17trampoline_kernelINS0_14default_configENS1_35radix_sort_onesweep_config_selectorIjNS0_10empty_typeEEEZZNS1_29radix_sort_onesweep_iterationIS3_Lb0EN6thrust23THRUST_200600_302600_NS6detail15normal_iteratorINS9_10device_ptrIjEEEESE_PS5_SF_jNS0_19identity_decomposerENS1_16block_id_wrapperIjLb0EEEEE10hipError_tT1_PNSt15iterator_traitsISK_E10value_typeET2_T3_PNSL_ISQ_E10value_typeET4_T5_PSV_SW_PNS1_23onesweep_lookback_stateEbbT6_jjT7_P12ihipStream_tbENKUlT_T0_SK_SP_E_clIPjSE_SF_SF_EEDaS13_S14_SK_SP_EUlS13_E_NS1_11comp_targetILNS1_3genE6ELNS1_11target_archE950ELNS1_3gpuE13ELNS1_3repE0EEENS1_47radix_sort_onesweep_sort_config_static_selectorELNS0_4arch9wavefront6targetE1EEEvSK_
; %bb.0:
	.section	.rodata,"a",@progbits
	.p2align	6, 0x0
	.amdhsa_kernel _ZN7rocprim17ROCPRIM_400000_NS6detail17trampoline_kernelINS0_14default_configENS1_35radix_sort_onesweep_config_selectorIjNS0_10empty_typeEEEZZNS1_29radix_sort_onesweep_iterationIS3_Lb0EN6thrust23THRUST_200600_302600_NS6detail15normal_iteratorINS9_10device_ptrIjEEEESE_PS5_SF_jNS0_19identity_decomposerENS1_16block_id_wrapperIjLb0EEEEE10hipError_tT1_PNSt15iterator_traitsISK_E10value_typeET2_T3_PNSL_ISQ_E10value_typeET4_T5_PSV_SW_PNS1_23onesweep_lookback_stateEbbT6_jjT7_P12ihipStream_tbENKUlT_T0_SK_SP_E_clIPjSE_SF_SF_EEDaS13_S14_SK_SP_EUlS13_E_NS1_11comp_targetILNS1_3genE6ELNS1_11target_archE950ELNS1_3gpuE13ELNS1_3repE0EEENS1_47radix_sort_onesweep_sort_config_static_selectorELNS0_4arch9wavefront6targetE1EEEvSK_
		.amdhsa_group_segment_fixed_size 0
		.amdhsa_private_segment_fixed_size 0
		.amdhsa_kernarg_size 88
		.amdhsa_user_sgpr_count 2
		.amdhsa_user_sgpr_dispatch_ptr 0
		.amdhsa_user_sgpr_queue_ptr 0
		.amdhsa_user_sgpr_kernarg_segment_ptr 1
		.amdhsa_user_sgpr_dispatch_id 0
		.amdhsa_user_sgpr_kernarg_preload_length 0
		.amdhsa_user_sgpr_kernarg_preload_offset 0
		.amdhsa_user_sgpr_private_segment_size 0
		.amdhsa_uses_dynamic_stack 0
		.amdhsa_enable_private_segment 0
		.amdhsa_system_sgpr_workgroup_id_x 1
		.amdhsa_system_sgpr_workgroup_id_y 0
		.amdhsa_system_sgpr_workgroup_id_z 0
		.amdhsa_system_sgpr_workgroup_info 0
		.amdhsa_system_vgpr_workitem_id 0
		.amdhsa_next_free_vgpr 1
		.amdhsa_next_free_sgpr 0
		.amdhsa_accum_offset 4
		.amdhsa_reserve_vcc 0
		.amdhsa_float_round_mode_32 0
		.amdhsa_float_round_mode_16_64 0
		.amdhsa_float_denorm_mode_32 3
		.amdhsa_float_denorm_mode_16_64 3
		.amdhsa_dx10_clamp 1
		.amdhsa_ieee_mode 1
		.amdhsa_fp16_overflow 0
		.amdhsa_tg_split 0
		.amdhsa_exception_fp_ieee_invalid_op 0
		.amdhsa_exception_fp_denorm_src 0
		.amdhsa_exception_fp_ieee_div_zero 0
		.amdhsa_exception_fp_ieee_overflow 0
		.amdhsa_exception_fp_ieee_underflow 0
		.amdhsa_exception_fp_ieee_inexact 0
		.amdhsa_exception_int_div_zero 0
	.end_amdhsa_kernel
	.section	.text._ZN7rocprim17ROCPRIM_400000_NS6detail17trampoline_kernelINS0_14default_configENS1_35radix_sort_onesweep_config_selectorIjNS0_10empty_typeEEEZZNS1_29radix_sort_onesweep_iterationIS3_Lb0EN6thrust23THRUST_200600_302600_NS6detail15normal_iteratorINS9_10device_ptrIjEEEESE_PS5_SF_jNS0_19identity_decomposerENS1_16block_id_wrapperIjLb0EEEEE10hipError_tT1_PNSt15iterator_traitsISK_E10value_typeET2_T3_PNSL_ISQ_E10value_typeET4_T5_PSV_SW_PNS1_23onesweep_lookback_stateEbbT6_jjT7_P12ihipStream_tbENKUlT_T0_SK_SP_E_clIPjSE_SF_SF_EEDaS13_S14_SK_SP_EUlS13_E_NS1_11comp_targetILNS1_3genE6ELNS1_11target_archE950ELNS1_3gpuE13ELNS1_3repE0EEENS1_47radix_sort_onesweep_sort_config_static_selectorELNS0_4arch9wavefront6targetE1EEEvSK_,"axG",@progbits,_ZN7rocprim17ROCPRIM_400000_NS6detail17trampoline_kernelINS0_14default_configENS1_35radix_sort_onesweep_config_selectorIjNS0_10empty_typeEEEZZNS1_29radix_sort_onesweep_iterationIS3_Lb0EN6thrust23THRUST_200600_302600_NS6detail15normal_iteratorINS9_10device_ptrIjEEEESE_PS5_SF_jNS0_19identity_decomposerENS1_16block_id_wrapperIjLb0EEEEE10hipError_tT1_PNSt15iterator_traitsISK_E10value_typeET2_T3_PNSL_ISQ_E10value_typeET4_T5_PSV_SW_PNS1_23onesweep_lookback_stateEbbT6_jjT7_P12ihipStream_tbENKUlT_T0_SK_SP_E_clIPjSE_SF_SF_EEDaS13_S14_SK_SP_EUlS13_E_NS1_11comp_targetILNS1_3genE6ELNS1_11target_archE950ELNS1_3gpuE13ELNS1_3repE0EEENS1_47radix_sort_onesweep_sort_config_static_selectorELNS0_4arch9wavefront6targetE1EEEvSK_,comdat
.Lfunc_end1147:
	.size	_ZN7rocprim17ROCPRIM_400000_NS6detail17trampoline_kernelINS0_14default_configENS1_35radix_sort_onesweep_config_selectorIjNS0_10empty_typeEEEZZNS1_29radix_sort_onesweep_iterationIS3_Lb0EN6thrust23THRUST_200600_302600_NS6detail15normal_iteratorINS9_10device_ptrIjEEEESE_PS5_SF_jNS0_19identity_decomposerENS1_16block_id_wrapperIjLb0EEEEE10hipError_tT1_PNSt15iterator_traitsISK_E10value_typeET2_T3_PNSL_ISQ_E10value_typeET4_T5_PSV_SW_PNS1_23onesweep_lookback_stateEbbT6_jjT7_P12ihipStream_tbENKUlT_T0_SK_SP_E_clIPjSE_SF_SF_EEDaS13_S14_SK_SP_EUlS13_E_NS1_11comp_targetILNS1_3genE6ELNS1_11target_archE950ELNS1_3gpuE13ELNS1_3repE0EEENS1_47radix_sort_onesweep_sort_config_static_selectorELNS0_4arch9wavefront6targetE1EEEvSK_, .Lfunc_end1147-_ZN7rocprim17ROCPRIM_400000_NS6detail17trampoline_kernelINS0_14default_configENS1_35radix_sort_onesweep_config_selectorIjNS0_10empty_typeEEEZZNS1_29radix_sort_onesweep_iterationIS3_Lb0EN6thrust23THRUST_200600_302600_NS6detail15normal_iteratorINS9_10device_ptrIjEEEESE_PS5_SF_jNS0_19identity_decomposerENS1_16block_id_wrapperIjLb0EEEEE10hipError_tT1_PNSt15iterator_traitsISK_E10value_typeET2_T3_PNSL_ISQ_E10value_typeET4_T5_PSV_SW_PNS1_23onesweep_lookback_stateEbbT6_jjT7_P12ihipStream_tbENKUlT_T0_SK_SP_E_clIPjSE_SF_SF_EEDaS13_S14_SK_SP_EUlS13_E_NS1_11comp_targetILNS1_3genE6ELNS1_11target_archE950ELNS1_3gpuE13ELNS1_3repE0EEENS1_47radix_sort_onesweep_sort_config_static_selectorELNS0_4arch9wavefront6targetE1EEEvSK_
                                        ; -- End function
	.section	.AMDGPU.csdata,"",@progbits
; Kernel info:
; codeLenInByte = 0
; NumSgprs: 6
; NumVgprs: 0
; NumAgprs: 0
; TotalNumVgprs: 0
; ScratchSize: 0
; MemoryBound: 0
; FloatMode: 240
; IeeeMode: 1
; LDSByteSize: 0 bytes/workgroup (compile time only)
; SGPRBlocks: 0
; VGPRBlocks: 0
; NumSGPRsForWavesPerEU: 6
; NumVGPRsForWavesPerEU: 1
; AccumOffset: 4
; Occupancy: 8
; WaveLimiterHint : 0
; COMPUTE_PGM_RSRC2:SCRATCH_EN: 0
; COMPUTE_PGM_RSRC2:USER_SGPR: 2
; COMPUTE_PGM_RSRC2:TRAP_HANDLER: 0
; COMPUTE_PGM_RSRC2:TGID_X_EN: 1
; COMPUTE_PGM_RSRC2:TGID_Y_EN: 0
; COMPUTE_PGM_RSRC2:TGID_Z_EN: 0
; COMPUTE_PGM_RSRC2:TIDIG_COMP_CNT: 0
; COMPUTE_PGM_RSRC3_GFX90A:ACCUM_OFFSET: 0
; COMPUTE_PGM_RSRC3_GFX90A:TG_SPLIT: 0
	.section	.text._ZN7rocprim17ROCPRIM_400000_NS6detail17trampoline_kernelINS0_14default_configENS1_35radix_sort_onesweep_config_selectorIjNS0_10empty_typeEEEZZNS1_29radix_sort_onesweep_iterationIS3_Lb0EN6thrust23THRUST_200600_302600_NS6detail15normal_iteratorINS9_10device_ptrIjEEEESE_PS5_SF_jNS0_19identity_decomposerENS1_16block_id_wrapperIjLb0EEEEE10hipError_tT1_PNSt15iterator_traitsISK_E10value_typeET2_T3_PNSL_ISQ_E10value_typeET4_T5_PSV_SW_PNS1_23onesweep_lookback_stateEbbT6_jjT7_P12ihipStream_tbENKUlT_T0_SK_SP_E_clIPjSE_SF_SF_EEDaS13_S14_SK_SP_EUlS13_E_NS1_11comp_targetILNS1_3genE5ELNS1_11target_archE942ELNS1_3gpuE9ELNS1_3repE0EEENS1_47radix_sort_onesweep_sort_config_static_selectorELNS0_4arch9wavefront6targetE1EEEvSK_,"axG",@progbits,_ZN7rocprim17ROCPRIM_400000_NS6detail17trampoline_kernelINS0_14default_configENS1_35radix_sort_onesweep_config_selectorIjNS0_10empty_typeEEEZZNS1_29radix_sort_onesweep_iterationIS3_Lb0EN6thrust23THRUST_200600_302600_NS6detail15normal_iteratorINS9_10device_ptrIjEEEESE_PS5_SF_jNS0_19identity_decomposerENS1_16block_id_wrapperIjLb0EEEEE10hipError_tT1_PNSt15iterator_traitsISK_E10value_typeET2_T3_PNSL_ISQ_E10value_typeET4_T5_PSV_SW_PNS1_23onesweep_lookback_stateEbbT6_jjT7_P12ihipStream_tbENKUlT_T0_SK_SP_E_clIPjSE_SF_SF_EEDaS13_S14_SK_SP_EUlS13_E_NS1_11comp_targetILNS1_3genE5ELNS1_11target_archE942ELNS1_3gpuE9ELNS1_3repE0EEENS1_47radix_sort_onesweep_sort_config_static_selectorELNS0_4arch9wavefront6targetE1EEEvSK_,comdat
	.protected	_ZN7rocprim17ROCPRIM_400000_NS6detail17trampoline_kernelINS0_14default_configENS1_35radix_sort_onesweep_config_selectorIjNS0_10empty_typeEEEZZNS1_29radix_sort_onesweep_iterationIS3_Lb0EN6thrust23THRUST_200600_302600_NS6detail15normal_iteratorINS9_10device_ptrIjEEEESE_PS5_SF_jNS0_19identity_decomposerENS1_16block_id_wrapperIjLb0EEEEE10hipError_tT1_PNSt15iterator_traitsISK_E10value_typeET2_T3_PNSL_ISQ_E10value_typeET4_T5_PSV_SW_PNS1_23onesweep_lookback_stateEbbT6_jjT7_P12ihipStream_tbENKUlT_T0_SK_SP_E_clIPjSE_SF_SF_EEDaS13_S14_SK_SP_EUlS13_E_NS1_11comp_targetILNS1_3genE5ELNS1_11target_archE942ELNS1_3gpuE9ELNS1_3repE0EEENS1_47radix_sort_onesweep_sort_config_static_selectorELNS0_4arch9wavefront6targetE1EEEvSK_ ; -- Begin function _ZN7rocprim17ROCPRIM_400000_NS6detail17trampoline_kernelINS0_14default_configENS1_35radix_sort_onesweep_config_selectorIjNS0_10empty_typeEEEZZNS1_29radix_sort_onesweep_iterationIS3_Lb0EN6thrust23THRUST_200600_302600_NS6detail15normal_iteratorINS9_10device_ptrIjEEEESE_PS5_SF_jNS0_19identity_decomposerENS1_16block_id_wrapperIjLb0EEEEE10hipError_tT1_PNSt15iterator_traitsISK_E10value_typeET2_T3_PNSL_ISQ_E10value_typeET4_T5_PSV_SW_PNS1_23onesweep_lookback_stateEbbT6_jjT7_P12ihipStream_tbENKUlT_T0_SK_SP_E_clIPjSE_SF_SF_EEDaS13_S14_SK_SP_EUlS13_E_NS1_11comp_targetILNS1_3genE5ELNS1_11target_archE942ELNS1_3gpuE9ELNS1_3repE0EEENS1_47radix_sort_onesweep_sort_config_static_selectorELNS0_4arch9wavefront6targetE1EEEvSK_
	.globl	_ZN7rocprim17ROCPRIM_400000_NS6detail17trampoline_kernelINS0_14default_configENS1_35radix_sort_onesweep_config_selectorIjNS0_10empty_typeEEEZZNS1_29radix_sort_onesweep_iterationIS3_Lb0EN6thrust23THRUST_200600_302600_NS6detail15normal_iteratorINS9_10device_ptrIjEEEESE_PS5_SF_jNS0_19identity_decomposerENS1_16block_id_wrapperIjLb0EEEEE10hipError_tT1_PNSt15iterator_traitsISK_E10value_typeET2_T3_PNSL_ISQ_E10value_typeET4_T5_PSV_SW_PNS1_23onesweep_lookback_stateEbbT6_jjT7_P12ihipStream_tbENKUlT_T0_SK_SP_E_clIPjSE_SF_SF_EEDaS13_S14_SK_SP_EUlS13_E_NS1_11comp_targetILNS1_3genE5ELNS1_11target_archE942ELNS1_3gpuE9ELNS1_3repE0EEENS1_47radix_sort_onesweep_sort_config_static_selectorELNS0_4arch9wavefront6targetE1EEEvSK_
	.p2align	8
	.type	_ZN7rocprim17ROCPRIM_400000_NS6detail17trampoline_kernelINS0_14default_configENS1_35radix_sort_onesweep_config_selectorIjNS0_10empty_typeEEEZZNS1_29radix_sort_onesweep_iterationIS3_Lb0EN6thrust23THRUST_200600_302600_NS6detail15normal_iteratorINS9_10device_ptrIjEEEESE_PS5_SF_jNS0_19identity_decomposerENS1_16block_id_wrapperIjLb0EEEEE10hipError_tT1_PNSt15iterator_traitsISK_E10value_typeET2_T3_PNSL_ISQ_E10value_typeET4_T5_PSV_SW_PNS1_23onesweep_lookback_stateEbbT6_jjT7_P12ihipStream_tbENKUlT_T0_SK_SP_E_clIPjSE_SF_SF_EEDaS13_S14_SK_SP_EUlS13_E_NS1_11comp_targetILNS1_3genE5ELNS1_11target_archE942ELNS1_3gpuE9ELNS1_3repE0EEENS1_47radix_sort_onesweep_sort_config_static_selectorELNS0_4arch9wavefront6targetE1EEEvSK_,@function
_ZN7rocprim17ROCPRIM_400000_NS6detail17trampoline_kernelINS0_14default_configENS1_35radix_sort_onesweep_config_selectorIjNS0_10empty_typeEEEZZNS1_29radix_sort_onesweep_iterationIS3_Lb0EN6thrust23THRUST_200600_302600_NS6detail15normal_iteratorINS9_10device_ptrIjEEEESE_PS5_SF_jNS0_19identity_decomposerENS1_16block_id_wrapperIjLb0EEEEE10hipError_tT1_PNSt15iterator_traitsISK_E10value_typeET2_T3_PNSL_ISQ_E10value_typeET4_T5_PSV_SW_PNS1_23onesweep_lookback_stateEbbT6_jjT7_P12ihipStream_tbENKUlT_T0_SK_SP_E_clIPjSE_SF_SF_EEDaS13_S14_SK_SP_EUlS13_E_NS1_11comp_targetILNS1_3genE5ELNS1_11target_archE942ELNS1_3gpuE9ELNS1_3repE0EEENS1_47radix_sort_onesweep_sort_config_static_selectorELNS0_4arch9wavefront6targetE1EEEvSK_: ; @_ZN7rocprim17ROCPRIM_400000_NS6detail17trampoline_kernelINS0_14default_configENS1_35radix_sort_onesweep_config_selectorIjNS0_10empty_typeEEEZZNS1_29radix_sort_onesweep_iterationIS3_Lb0EN6thrust23THRUST_200600_302600_NS6detail15normal_iteratorINS9_10device_ptrIjEEEESE_PS5_SF_jNS0_19identity_decomposerENS1_16block_id_wrapperIjLb0EEEEE10hipError_tT1_PNSt15iterator_traitsISK_E10value_typeET2_T3_PNSL_ISQ_E10value_typeET4_T5_PSV_SW_PNS1_23onesweep_lookback_stateEbbT6_jjT7_P12ihipStream_tbENKUlT_T0_SK_SP_E_clIPjSE_SF_SF_EEDaS13_S14_SK_SP_EUlS13_E_NS1_11comp_targetILNS1_3genE5ELNS1_11target_archE942ELNS1_3gpuE9ELNS1_3repE0EEENS1_47radix_sort_onesweep_sort_config_static_selectorELNS0_4arch9wavefront6targetE1EEEvSK_
; %bb.0:
	s_load_dwordx2 s[28:29], s[0:1], 0x38
	s_load_dwordx4 s[20:23], s[0:1], 0x44
	s_load_dwordx4 s[24:27], s[0:1], 0x0
	;; [unrolled: 1-line block ×3, first 2 shown]
	v_mbcnt_lo_u32_b32 v1, -1, 0
	s_waitcnt lgkmcnt(0)
	s_cmp_ge_u32 s2, s22
	s_cbranch_scc0 .LBB1148_79
; %bb.1:
	s_load_dword s3, s[0:1], 0x20
	s_lshl_b32 s6, s22, 13
	s_lshl_b32 s4, s2, 13
	s_mov_b32 s5, 0
	v_and_b32_e32 v2, 0x3ff, v0
	s_waitcnt lgkmcnt(0)
	s_sub_i32 s3, s3, s6
	s_lshl_b64 s[4:5], s[4:5], 2
	v_mbcnt_hi_u32_b32 v8, -1, v1
	s_add_u32 s4, s24, s4
	v_and_b32_e32 v3, 63, v8
	v_lshlrev_b32_e32 v4, 3, v2
	s_addc_u32 s5, s25, s5
	v_and_b32_e32 v9, 0x1e00, v4
	v_lshlrev_b32_e32 v4, 2, v3
	v_mov_b32_e32 v5, 0
	v_lshl_add_u64 v[6:7], s[4:5], 0, v[4:5]
	v_lshlrev_b32_e32 v4, 2, v9
	v_lshl_add_u64 v[4:5], v[6:7], 0, v[4:5]
	v_or_b32_e32 v6, v3, v9
	v_cmp_gt_u32_e32 vcc, s3, v6
	v_mov_b32_e32 v3, -1
	v_mov_b32_e32 v10, -1
	s_and_saveexec_b64 s[4:5], vcc
	s_cbranch_execz .LBB1148_3
; %bb.2:
	global_load_dword v10, v[4:5], off
.LBB1148_3:
	s_or_b64 exec, exec, s[4:5]
	v_or_b32_e32 v7, 64, v6
	v_cmp_gt_u32_e32 vcc, s3, v7
	v_mov_b32_e32 v11, -1
	s_and_saveexec_b64 s[4:5], vcc
	s_cbranch_execz .LBB1148_5
; %bb.4:
	global_load_dword v11, v[4:5], off offset:256
.LBB1148_5:
	s_or_b64 exec, exec, s[4:5]
	v_or_b32_e32 v7, 0x80, v6
	v_cmp_gt_u32_e32 vcc, s3, v7
	s_and_saveexec_b64 s[4:5], vcc
	s_cbranch_execz .LBB1148_7
; %bb.6:
	global_load_dword v3, v[4:5], off offset:512
.LBB1148_7:
	s_or_b64 exec, exec, s[4:5]
	v_or_b32_e32 v7, 0xc0, v6
	v_cmp_gt_u32_e32 vcc, s3, v7
	v_mov_b32_e32 v12, -1
	v_mov_b32_e32 v13, -1
	s_and_saveexec_b64 s[4:5], vcc
	s_cbranch_execz .LBB1148_9
; %bb.8:
	global_load_dword v13, v[4:5], off offset:768
.LBB1148_9:
	s_or_b64 exec, exec, s[4:5]
	v_or_b32_e32 v7, 0x100, v6
	v_cmp_gt_u32_e32 vcc, s3, v7
	s_and_saveexec_b64 s[4:5], vcc
	s_cbranch_execz .LBB1148_11
; %bb.10:
	global_load_dword v12, v[4:5], off offset:1024
.LBB1148_11:
	s_or_b64 exec, exec, s[4:5]
	v_or_b32_e32 v7, 0x140, v6
	v_cmp_gt_u32_e32 vcc, s3, v7
	v_mov_b32_e32 v14, -1
	;; [unrolled: 18-line block ×3, first 2 shown]
	s_and_saveexec_b64 s[4:5], vcc
	s_cbranch_execz .LBB1148_17
; %bb.16:
	global_load_dword v16, v[4:5], off offset:1792
.LBB1148_17:
	s_or_b64 exec, exec, s[4:5]
	s_load_dword s4, s[0:1], 0x64
	s_load_dword s22, s[0:1], 0x58
	s_add_u32 s5, s0, 0x58
	s_addc_u32 s6, s1, 0
	v_mov_b32_e32 v5, 0
	s_waitcnt lgkmcnt(0)
	s_lshr_b32 s7, s4, 16
	s_cmp_lt_u32 s2, s22
	s_cselect_b32 s4, 12, 18
	s_add_u32 s4, s5, s4
	s_addc_u32 s5, s6, 0
	global_load_ushort v17, v5, s[4:5]
	s_lshl_b32 s4, -1, s21
	s_waitcnt vmcnt(1)
	v_lshrrev_b32_e32 v19, s20, v10
	s_not_b32 s23, s4
	v_bfe_u32 v4, v0, 10, 10
	v_bfe_u32 v7, v0, 20, 10
	v_and_b32_e32 v28, s23, v19
	v_mul_u32_u24_e32 v6, 5, v2
	v_mad_u32_u24 v30, v7, s7, v4
	v_and_b32_e32 v4, 1, v28
	v_lshlrev_b32_e32 v7, 30, v28
	v_lshlrev_b32_e32 v9, 2, v6
	v_mov_b32_e32 v6, v5
	v_mov_b32_e32 v20, v5
	v_lshl_add_u32 v32, v28, 4, v28
	v_lshlrev_b32_e32 v19, 29, v28
	v_lshlrev_b32_e32 v21, 28, v28
	;; [unrolled: 1-line block ×6, first 2 shown]
	v_lshl_add_u64 v[28:29], v[4:5], 0, -1
	v_cmp_ne_u32_e32 vcc, 0, v4
	v_not_b32_e32 v4, v7
	v_mov_b32_e32 v18, v5
	v_mov_b32_e32 v22, v5
	v_cmp_gt_i64_e64 s[4:5], 0, v[6:7]
	v_not_b32_e32 v6, v19
	v_cmp_gt_i64_e64 s[8:9], 0, v[20:21]
	v_not_b32_e32 v7, v21
	v_xor_b32_e32 v21, vcc_hi, v29
	v_ashrrev_i32_e32 v4, 31, v4
	v_mov_b32_e32 v24, v5
	v_cmp_gt_i64_e64 s[6:7], 0, v[18:19]
	v_cmp_gt_i64_e64 s[10:11], 0, v[22:23]
	v_not_b32_e32 v18, v23
	v_xor_b32_e32 v22, vcc_lo, v28
	v_ashrrev_i32_e32 v6, 31, v6
	v_and_b32_e32 v21, exec_hi, v21
	v_xor_b32_e32 v23, s5, v4
	v_cmp_gt_i64_e64 s[12:13], 0, v[24:25]
	v_ashrrev_i32_e32 v7, 31, v7
	v_and_b32_e32 v22, exec_lo, v22
	v_xor_b32_e32 v4, s4, v4
	v_xor_b32_e32 v24, s7, v6
	v_and_b32_e32 v21, v21, v23
	v_mov_b32_e32 v26, v5
	v_not_b32_e32 v19, v25
	v_ashrrev_i32_e32 v18, 31, v18
	v_xor_b32_e32 v6, s6, v6
	v_xor_b32_e32 v25, s9, v7
	v_and_b32_e32 v4, v22, v4
	v_and_b32_e32 v21, v21, v24
	v_cmp_gt_i64_e64 s[14:15], 0, v[26:27]
	v_not_b32_e32 v20, v27
	v_ashrrev_i32_e32 v19, 31, v19
	v_xor_b32_e32 v26, s11, v18
	v_and_b32_e32 v4, v4, v6
	v_and_b32_e32 v6, v21, v25
	v_ashrrev_i32_e32 v20, 31, v20
	v_xor_b32_e32 v7, s8, v7
	v_xor_b32_e32 v27, s13, v19
	v_and_b32_e32 v6, v6, v26
	v_xor_b32_e32 v18, s10, v18
	v_xor_b32_e32 v28, s15, v20
	v_and_b32_e32 v4, v4, v7
	v_and_b32_e32 v6, v6, v27
	;; [unrolled: 1-line block ×4, first 2 shown]
	v_xor_b32_e32 v19, s12, v19
	v_xor_b32_e32 v20, s14, v20
	v_and_b32_e32 v4, v4, v19
	v_and_b32_e32 v4, v4, v20
	ds_write2_b32 v9, v5, v5 offset0:16 offset1:17
	ds_write2_b32 v9, v5, v5 offset0:18 offset1:19
	ds_write_b32 v9, v5 offset:80
	s_waitcnt lgkmcnt(0)
	s_barrier
	s_waitcnt lgkmcnt(0)
	; wave barrier
	s_waitcnt vmcnt(0)
	v_mad_u64_u32 v[6:7], s[4:5], v30, v17, v[2:3]
	v_lshrrev_b32_e32 v28, 6, v6
	v_mov_b32_e32 v30, v5
	v_not_b32_e32 v6, v31
	v_cmp_gt_i64_e32 vcc, 0, v[30:31]
	v_ashrrev_i32_e32 v6, 31, v6
	v_add_lshl_u32 v21, v28, v32, 2
	v_xor_b32_e32 v7, vcc_hi, v6
	v_xor_b32_e32 v6, vcc_lo, v6
	v_and_b32_e32 v6, v4, v6
	v_and_b32_e32 v7, v18, v7
	v_mbcnt_lo_u32_b32 v4, v6, 0
	v_mbcnt_hi_u32_b32 v17, v7, v4
	v_cmp_eq_u32_e32 vcc, 0, v17
	v_cmp_ne_u64_e64 s[4:5], 0, v[6:7]
	s_and_b64 s[6:7], s[4:5], vcc
	s_and_saveexec_b64 s[4:5], s[6:7]
	s_cbranch_execz .LBB1148_19
; %bb.18:
	v_bcnt_u32_b32 v4, v6, 0
	v_bcnt_u32_b32 v4, v7, v4
	ds_write_b32 v21, v4 offset:64
.LBB1148_19:
	s_or_b64 exec, exec, s[4:5]
	v_lshrrev_b32_e32 v4, s20, v11
	v_and_b32_e32 v19, s23, v4
	v_lshl_add_u32 v4, v19, 4, v19
	v_add_lshl_u32 v22, v28, v4, 2
	v_and_b32_e32 v4, 1, v19
	v_lshl_add_u64 v[6:7], v[4:5], 0, -1
	v_cmp_ne_u32_e32 vcc, 0, v4
	; wave barrier
	s_nop 1
	v_xor_b32_e32 v6, vcc_lo, v6
	v_xor_b32_e32 v4, vcc_hi, v7
	v_and_b32_e32 v20, exec_lo, v6
	v_lshlrev_b32_e32 v7, 30, v19
	v_mov_b32_e32 v6, v5
	v_cmp_gt_i64_e32 vcc, 0, v[6:7]
	v_not_b32_e32 v6, v7
	v_ashrrev_i32_e32 v6, 31, v6
	v_and_b32_e32 v4, exec_hi, v4
	v_xor_b32_e32 v7, vcc_hi, v6
	v_xor_b32_e32 v6, vcc_lo, v6
	v_and_b32_e32 v4, v4, v7
	v_and_b32_e32 v20, v20, v6
	v_lshlrev_b32_e32 v7, 29, v19
	v_mov_b32_e32 v6, v5
	v_cmp_gt_i64_e32 vcc, 0, v[6:7]
	v_not_b32_e32 v6, v7
	v_ashrrev_i32_e32 v6, 31, v6
	v_xor_b32_e32 v7, vcc_hi, v6
	v_xor_b32_e32 v6, vcc_lo, v6
	v_and_b32_e32 v4, v4, v7
	v_and_b32_e32 v20, v20, v6
	v_lshlrev_b32_e32 v7, 28, v19
	v_mov_b32_e32 v6, v5
	v_cmp_gt_i64_e32 vcc, 0, v[6:7]
	v_not_b32_e32 v6, v7
	v_ashrrev_i32_e32 v6, 31, v6
	;; [unrolled: 9-line block ×5, first 2 shown]
	v_xor_b32_e32 v7, vcc_hi, v6
	v_xor_b32_e32 v6, vcc_lo, v6
	v_and_b32_e32 v4, v4, v7
	v_lshlrev_b32_e32 v7, 24, v19
	v_and_b32_e32 v20, v20, v6
	v_mov_b32_e32 v6, v5
	v_not_b32_e32 v5, v7
	v_cmp_gt_i64_e32 vcc, 0, v[6:7]
	v_ashrrev_i32_e32 v5, 31, v5
	ds_read_b32 v18, v22 offset:64
	v_xor_b32_e32 v6, vcc_hi, v5
	v_xor_b32_e32 v7, vcc_lo, v5
	v_and_b32_e32 v5, v4, v6
	v_and_b32_e32 v4, v20, v7
	v_mbcnt_lo_u32_b32 v6, v4, 0
	v_mbcnt_hi_u32_b32 v19, v5, v6
	v_cmp_eq_u32_e32 vcc, 0, v19
	v_cmp_ne_u64_e64 s[4:5], 0, v[4:5]
	s_and_b64 s[6:7], s[4:5], vcc
	; wave barrier
	s_and_saveexec_b64 s[4:5], s[6:7]
	s_cbranch_execz .LBB1148_21
; %bb.20:
	v_bcnt_u32_b32 v4, v4, 0
	v_bcnt_u32_b32 v4, v5, v4
	s_waitcnt lgkmcnt(0)
	v_add_u32_e32 v4, v18, v4
	ds_write_b32 v22, v4 offset:64
.LBB1148_21:
	s_or_b64 exec, exec, s[4:5]
	v_lshrrev_b32_e32 v4, s20, v3
	v_and_b32_e32 v23, s23, v4
	v_lshl_add_u32 v4, v23, 4, v23
	v_add_lshl_u32 v25, v28, v4, 2
	v_and_b32_e32 v4, 1, v23
	v_mov_b32_e32 v5, 0
	v_lshl_add_u64 v[6:7], v[4:5], 0, -1
	v_cmp_ne_u32_e32 vcc, 0, v4
	; wave barrier
	s_nop 1
	v_xor_b32_e32 v6, vcc_lo, v6
	v_xor_b32_e32 v4, vcc_hi, v7
	v_and_b32_e32 v24, exec_lo, v6
	v_lshlrev_b32_e32 v7, 30, v23
	v_mov_b32_e32 v6, v5
	v_cmp_gt_i64_e32 vcc, 0, v[6:7]
	v_not_b32_e32 v6, v7
	v_ashrrev_i32_e32 v6, 31, v6
	v_and_b32_e32 v4, exec_hi, v4
	v_xor_b32_e32 v7, vcc_hi, v6
	v_xor_b32_e32 v6, vcc_lo, v6
	v_and_b32_e32 v4, v4, v7
	v_and_b32_e32 v24, v24, v6
	v_lshlrev_b32_e32 v7, 29, v23
	v_mov_b32_e32 v6, v5
	v_cmp_gt_i64_e32 vcc, 0, v[6:7]
	v_not_b32_e32 v6, v7
	v_ashrrev_i32_e32 v6, 31, v6
	v_xor_b32_e32 v7, vcc_hi, v6
	v_xor_b32_e32 v6, vcc_lo, v6
	v_and_b32_e32 v4, v4, v7
	v_and_b32_e32 v24, v24, v6
	v_lshlrev_b32_e32 v7, 28, v23
	v_mov_b32_e32 v6, v5
	v_cmp_gt_i64_e32 vcc, 0, v[6:7]
	v_not_b32_e32 v6, v7
	v_ashrrev_i32_e32 v6, 31, v6
	v_xor_b32_e32 v7, vcc_hi, v6
	v_xor_b32_e32 v6, vcc_lo, v6
	v_and_b32_e32 v4, v4, v7
	v_and_b32_e32 v24, v24, v6
	v_lshlrev_b32_e32 v7, 27, v23
	v_mov_b32_e32 v6, v5
	v_cmp_gt_i64_e32 vcc, 0, v[6:7]
	v_not_b32_e32 v6, v7
	v_ashrrev_i32_e32 v6, 31, v6
	v_xor_b32_e32 v7, vcc_hi, v6
	v_xor_b32_e32 v6, vcc_lo, v6
	v_and_b32_e32 v4, v4, v7
	v_and_b32_e32 v24, v24, v6
	v_lshlrev_b32_e32 v7, 26, v23
	v_mov_b32_e32 v6, v5
	v_cmp_gt_i64_e32 vcc, 0, v[6:7]
	v_not_b32_e32 v6, v7
	v_ashrrev_i32_e32 v6, 31, v6
	v_xor_b32_e32 v7, vcc_hi, v6
	v_xor_b32_e32 v6, vcc_lo, v6
	v_and_b32_e32 v4, v4, v7
	v_and_b32_e32 v24, v24, v6
	v_lshlrev_b32_e32 v7, 25, v23
	v_mov_b32_e32 v6, v5
	v_cmp_gt_i64_e32 vcc, 0, v[6:7]
	v_not_b32_e32 v6, v7
	v_ashrrev_i32_e32 v6, 31, v6
	v_xor_b32_e32 v7, vcc_hi, v6
	v_xor_b32_e32 v6, vcc_lo, v6
	v_and_b32_e32 v4, v4, v7
	v_and_b32_e32 v24, v24, v6
	v_lshlrev_b32_e32 v7, 24, v23
	v_mov_b32_e32 v6, v5
	v_cmp_gt_i64_e32 vcc, 0, v[6:7]
	v_not_b32_e32 v6, v7
	v_ashrrev_i32_e32 v6, 31, v6
	v_xor_b32_e32 v7, vcc_hi, v6
	v_xor_b32_e32 v6, vcc_lo, v6
	ds_read_b32 v20, v25 offset:64
	v_and_b32_e32 v6, v24, v6
	v_and_b32_e32 v7, v4, v7
	v_mbcnt_lo_u32_b32 v4, v6, 0
	v_mbcnt_hi_u32_b32 v23, v7, v4
	v_cmp_eq_u32_e32 vcc, 0, v23
	v_cmp_ne_u64_e64 s[4:5], 0, v[6:7]
	s_and_b64 s[6:7], s[4:5], vcc
	; wave barrier
	s_and_saveexec_b64 s[4:5], s[6:7]
	s_cbranch_execz .LBB1148_23
; %bb.22:
	v_bcnt_u32_b32 v4, v6, 0
	v_bcnt_u32_b32 v4, v7, v4
	s_waitcnt lgkmcnt(0)
	v_add_u32_e32 v4, v20, v4
	ds_write_b32 v25, v4 offset:64
.LBB1148_23:
	s_or_b64 exec, exec, s[4:5]
	v_lshrrev_b32_e32 v4, s20, v13
	v_and_b32_e32 v26, s23, v4
	v_lshl_add_u32 v4, v26, 4, v26
	v_add_lshl_u32 v29, v28, v4, 2
	v_and_b32_e32 v4, 1, v26
	v_lshl_add_u64 v[6:7], v[4:5], 0, -1
	v_cmp_ne_u32_e32 vcc, 0, v4
	; wave barrier
	s_nop 1
	v_xor_b32_e32 v6, vcc_lo, v6
	v_xor_b32_e32 v4, vcc_hi, v7
	v_and_b32_e32 v27, exec_lo, v6
	v_lshlrev_b32_e32 v7, 30, v26
	v_mov_b32_e32 v6, v5
	v_cmp_gt_i64_e32 vcc, 0, v[6:7]
	v_not_b32_e32 v6, v7
	v_ashrrev_i32_e32 v6, 31, v6
	v_and_b32_e32 v4, exec_hi, v4
	v_xor_b32_e32 v7, vcc_hi, v6
	v_xor_b32_e32 v6, vcc_lo, v6
	v_and_b32_e32 v4, v4, v7
	v_and_b32_e32 v27, v27, v6
	v_lshlrev_b32_e32 v7, 29, v26
	v_mov_b32_e32 v6, v5
	v_cmp_gt_i64_e32 vcc, 0, v[6:7]
	v_not_b32_e32 v6, v7
	v_ashrrev_i32_e32 v6, 31, v6
	v_xor_b32_e32 v7, vcc_hi, v6
	v_xor_b32_e32 v6, vcc_lo, v6
	v_and_b32_e32 v4, v4, v7
	v_and_b32_e32 v27, v27, v6
	v_lshlrev_b32_e32 v7, 28, v26
	v_mov_b32_e32 v6, v5
	v_cmp_gt_i64_e32 vcc, 0, v[6:7]
	v_not_b32_e32 v6, v7
	v_ashrrev_i32_e32 v6, 31, v6
	;; [unrolled: 9-line block ×5, first 2 shown]
	v_xor_b32_e32 v7, vcc_hi, v6
	v_xor_b32_e32 v6, vcc_lo, v6
	v_and_b32_e32 v4, v4, v7
	v_lshlrev_b32_e32 v7, 24, v26
	v_and_b32_e32 v27, v27, v6
	v_mov_b32_e32 v6, v5
	v_not_b32_e32 v5, v7
	v_cmp_gt_i64_e32 vcc, 0, v[6:7]
	v_ashrrev_i32_e32 v5, 31, v5
	ds_read_b32 v24, v29 offset:64
	v_xor_b32_e32 v6, vcc_hi, v5
	v_xor_b32_e32 v7, vcc_lo, v5
	v_and_b32_e32 v5, v4, v6
	v_and_b32_e32 v4, v27, v7
	v_mbcnt_lo_u32_b32 v6, v4, 0
	v_mbcnt_hi_u32_b32 v26, v5, v6
	v_cmp_eq_u32_e32 vcc, 0, v26
	v_cmp_ne_u64_e64 s[4:5], 0, v[4:5]
	s_and_b64 s[6:7], s[4:5], vcc
	; wave barrier
	s_and_saveexec_b64 s[4:5], s[6:7]
	s_cbranch_execz .LBB1148_25
; %bb.24:
	v_bcnt_u32_b32 v4, v4, 0
	v_bcnt_u32_b32 v4, v5, v4
	s_waitcnt lgkmcnt(0)
	v_add_u32_e32 v4, v24, v4
	ds_write_b32 v29, v4 offset:64
.LBB1148_25:
	s_or_b64 exec, exec, s[4:5]
	v_lshrrev_b32_e32 v4, s20, v12
	v_and_b32_e32 v30, s23, v4
	v_lshl_add_u32 v4, v30, 4, v30
	v_add_lshl_u32 v32, v28, v4, 2
	v_and_b32_e32 v4, 1, v30
	v_mov_b32_e32 v5, 0
	v_lshl_add_u64 v[6:7], v[4:5], 0, -1
	v_cmp_ne_u32_e32 vcc, 0, v4
	; wave barrier
	s_nop 1
	v_xor_b32_e32 v6, vcc_lo, v6
	v_xor_b32_e32 v4, vcc_hi, v7
	v_and_b32_e32 v31, exec_lo, v6
	v_lshlrev_b32_e32 v7, 30, v30
	v_mov_b32_e32 v6, v5
	v_cmp_gt_i64_e32 vcc, 0, v[6:7]
	v_not_b32_e32 v6, v7
	v_ashrrev_i32_e32 v6, 31, v6
	v_and_b32_e32 v4, exec_hi, v4
	v_xor_b32_e32 v7, vcc_hi, v6
	v_xor_b32_e32 v6, vcc_lo, v6
	v_and_b32_e32 v4, v4, v7
	v_and_b32_e32 v31, v31, v6
	v_lshlrev_b32_e32 v7, 29, v30
	v_mov_b32_e32 v6, v5
	v_cmp_gt_i64_e32 vcc, 0, v[6:7]
	v_not_b32_e32 v6, v7
	v_ashrrev_i32_e32 v6, 31, v6
	v_xor_b32_e32 v7, vcc_hi, v6
	v_xor_b32_e32 v6, vcc_lo, v6
	v_and_b32_e32 v4, v4, v7
	v_and_b32_e32 v31, v31, v6
	v_lshlrev_b32_e32 v7, 28, v30
	v_mov_b32_e32 v6, v5
	v_cmp_gt_i64_e32 vcc, 0, v[6:7]
	v_not_b32_e32 v6, v7
	v_ashrrev_i32_e32 v6, 31, v6
	;; [unrolled: 9-line block ×6, first 2 shown]
	v_xor_b32_e32 v7, vcc_hi, v6
	v_xor_b32_e32 v6, vcc_lo, v6
	ds_read_b32 v27, v32 offset:64
	v_and_b32_e32 v6, v31, v6
	v_and_b32_e32 v7, v4, v7
	v_mbcnt_lo_u32_b32 v4, v6, 0
	v_mbcnt_hi_u32_b32 v30, v7, v4
	v_cmp_eq_u32_e32 vcc, 0, v30
	v_cmp_ne_u64_e64 s[4:5], 0, v[6:7]
	s_and_b64 s[6:7], s[4:5], vcc
	; wave barrier
	s_and_saveexec_b64 s[4:5], s[6:7]
	s_cbranch_execz .LBB1148_27
; %bb.26:
	v_bcnt_u32_b32 v4, v6, 0
	v_bcnt_u32_b32 v4, v7, v4
	s_waitcnt lgkmcnt(0)
	v_add_u32_e32 v4, v27, v4
	ds_write_b32 v32, v4 offset:64
.LBB1148_27:
	s_or_b64 exec, exec, s[4:5]
	v_lshrrev_b32_e32 v4, s20, v15
	v_and_b32_e32 v33, s23, v4
	v_lshl_add_u32 v4, v33, 4, v33
	v_add_lshl_u32 v35, v28, v4, 2
	v_and_b32_e32 v4, 1, v33
	v_lshl_add_u64 v[6:7], v[4:5], 0, -1
	v_cmp_ne_u32_e32 vcc, 0, v4
	; wave barrier
	s_nop 1
	v_xor_b32_e32 v6, vcc_lo, v6
	v_xor_b32_e32 v4, vcc_hi, v7
	v_and_b32_e32 v34, exec_lo, v6
	v_lshlrev_b32_e32 v7, 30, v33
	v_mov_b32_e32 v6, v5
	v_cmp_gt_i64_e32 vcc, 0, v[6:7]
	v_not_b32_e32 v6, v7
	v_ashrrev_i32_e32 v6, 31, v6
	v_and_b32_e32 v4, exec_hi, v4
	v_xor_b32_e32 v7, vcc_hi, v6
	v_xor_b32_e32 v6, vcc_lo, v6
	v_and_b32_e32 v4, v4, v7
	v_and_b32_e32 v34, v34, v6
	v_lshlrev_b32_e32 v7, 29, v33
	v_mov_b32_e32 v6, v5
	v_cmp_gt_i64_e32 vcc, 0, v[6:7]
	v_not_b32_e32 v6, v7
	v_ashrrev_i32_e32 v6, 31, v6
	v_xor_b32_e32 v7, vcc_hi, v6
	v_xor_b32_e32 v6, vcc_lo, v6
	v_and_b32_e32 v4, v4, v7
	v_and_b32_e32 v34, v34, v6
	v_lshlrev_b32_e32 v7, 28, v33
	v_mov_b32_e32 v6, v5
	v_cmp_gt_i64_e32 vcc, 0, v[6:7]
	v_not_b32_e32 v6, v7
	v_ashrrev_i32_e32 v6, 31, v6
	;; [unrolled: 9-line block ×5, first 2 shown]
	v_xor_b32_e32 v7, vcc_hi, v6
	v_xor_b32_e32 v6, vcc_lo, v6
	v_and_b32_e32 v4, v4, v7
	v_lshlrev_b32_e32 v7, 24, v33
	v_and_b32_e32 v34, v34, v6
	v_mov_b32_e32 v6, v5
	v_not_b32_e32 v5, v7
	v_cmp_gt_i64_e32 vcc, 0, v[6:7]
	v_ashrrev_i32_e32 v5, 31, v5
	ds_read_b32 v31, v35 offset:64
	v_xor_b32_e32 v6, vcc_hi, v5
	v_xor_b32_e32 v7, vcc_lo, v5
	v_and_b32_e32 v5, v4, v6
	v_and_b32_e32 v4, v34, v7
	v_mbcnt_lo_u32_b32 v6, v4, 0
	v_mbcnt_hi_u32_b32 v33, v5, v6
	v_cmp_eq_u32_e32 vcc, 0, v33
	v_cmp_ne_u64_e64 s[4:5], 0, v[4:5]
	s_and_b64 s[6:7], s[4:5], vcc
	; wave barrier
	s_and_saveexec_b64 s[4:5], s[6:7]
	s_cbranch_execz .LBB1148_29
; %bb.28:
	v_bcnt_u32_b32 v4, v4, 0
	v_bcnt_u32_b32 v4, v5, v4
	s_waitcnt lgkmcnt(0)
	v_add_u32_e32 v4, v31, v4
	ds_write_b32 v35, v4 offset:64
.LBB1148_29:
	s_or_b64 exec, exec, s[4:5]
	v_lshrrev_b32_e32 v4, s20, v14
	v_and_b32_e32 v36, s23, v4
	v_lshl_add_u32 v4, v36, 4, v36
	v_add_lshl_u32 v38, v28, v4, 2
	v_and_b32_e32 v4, 1, v36
	v_mov_b32_e32 v5, 0
	v_lshl_add_u64 v[6:7], v[4:5], 0, -1
	v_cmp_ne_u32_e32 vcc, 0, v4
	; wave barrier
	s_nop 1
	v_xor_b32_e32 v6, vcc_lo, v6
	v_xor_b32_e32 v4, vcc_hi, v7
	v_and_b32_e32 v37, exec_lo, v6
	v_lshlrev_b32_e32 v7, 30, v36
	v_mov_b32_e32 v6, v5
	v_cmp_gt_i64_e32 vcc, 0, v[6:7]
	v_not_b32_e32 v6, v7
	v_ashrrev_i32_e32 v6, 31, v6
	v_and_b32_e32 v4, exec_hi, v4
	v_xor_b32_e32 v7, vcc_hi, v6
	v_xor_b32_e32 v6, vcc_lo, v6
	v_and_b32_e32 v4, v4, v7
	v_and_b32_e32 v37, v37, v6
	v_lshlrev_b32_e32 v7, 29, v36
	v_mov_b32_e32 v6, v5
	v_cmp_gt_i64_e32 vcc, 0, v[6:7]
	v_not_b32_e32 v6, v7
	v_ashrrev_i32_e32 v6, 31, v6
	v_xor_b32_e32 v7, vcc_hi, v6
	v_xor_b32_e32 v6, vcc_lo, v6
	v_and_b32_e32 v4, v4, v7
	v_and_b32_e32 v37, v37, v6
	v_lshlrev_b32_e32 v7, 28, v36
	v_mov_b32_e32 v6, v5
	v_cmp_gt_i64_e32 vcc, 0, v[6:7]
	v_not_b32_e32 v6, v7
	v_ashrrev_i32_e32 v6, 31, v6
	;; [unrolled: 9-line block ×6, first 2 shown]
	v_xor_b32_e32 v7, vcc_hi, v6
	v_xor_b32_e32 v6, vcc_lo, v6
	ds_read_b32 v34, v38 offset:64
	v_and_b32_e32 v6, v37, v6
	v_and_b32_e32 v7, v4, v7
	v_mbcnt_lo_u32_b32 v4, v6, 0
	v_mbcnt_hi_u32_b32 v36, v7, v4
	v_cmp_eq_u32_e32 vcc, 0, v36
	v_cmp_ne_u64_e64 s[4:5], 0, v[6:7]
	s_and_b64 s[6:7], s[4:5], vcc
	; wave barrier
	s_and_saveexec_b64 s[4:5], s[6:7]
	s_cbranch_execz .LBB1148_31
; %bb.30:
	v_bcnt_u32_b32 v4, v6, 0
	v_bcnt_u32_b32 v4, v7, v4
	s_waitcnt lgkmcnt(0)
	v_add_u32_e32 v4, v34, v4
	ds_write_b32 v38, v4 offset:64
.LBB1148_31:
	s_or_b64 exec, exec, s[4:5]
	v_lshrrev_b32_e32 v4, s20, v16
	v_and_b32_e32 v39, s23, v4
	v_lshl_add_u32 v4, v39, 4, v39
	v_add_lshl_u32 v40, v28, v4, 2
	v_and_b32_e32 v4, 1, v39
	v_lshl_add_u64 v[6:7], v[4:5], 0, -1
	v_cmp_ne_u32_e32 vcc, 0, v4
	; wave barrier
	s_nop 1
	v_xor_b32_e32 v6, vcc_lo, v6
	v_xor_b32_e32 v4, vcc_hi, v7
	v_and_b32_e32 v28, exec_lo, v6
	v_lshlrev_b32_e32 v7, 30, v39
	v_mov_b32_e32 v6, v5
	v_cmp_gt_i64_e32 vcc, 0, v[6:7]
	v_not_b32_e32 v6, v7
	v_ashrrev_i32_e32 v6, 31, v6
	v_and_b32_e32 v4, exec_hi, v4
	v_xor_b32_e32 v7, vcc_hi, v6
	v_xor_b32_e32 v6, vcc_lo, v6
	v_and_b32_e32 v4, v4, v7
	v_and_b32_e32 v28, v28, v6
	v_lshlrev_b32_e32 v7, 29, v39
	v_mov_b32_e32 v6, v5
	v_cmp_gt_i64_e32 vcc, 0, v[6:7]
	v_not_b32_e32 v6, v7
	v_ashrrev_i32_e32 v6, 31, v6
	v_xor_b32_e32 v7, vcc_hi, v6
	v_xor_b32_e32 v6, vcc_lo, v6
	v_and_b32_e32 v4, v4, v7
	v_and_b32_e32 v28, v28, v6
	v_lshlrev_b32_e32 v7, 28, v39
	v_mov_b32_e32 v6, v5
	v_cmp_gt_i64_e32 vcc, 0, v[6:7]
	v_not_b32_e32 v6, v7
	v_ashrrev_i32_e32 v6, 31, v6
	;; [unrolled: 9-line block ×5, first 2 shown]
	v_xor_b32_e32 v7, vcc_hi, v6
	v_xor_b32_e32 v6, vcc_lo, v6
	v_and_b32_e32 v4, v4, v7
	v_lshlrev_b32_e32 v7, 24, v39
	v_and_b32_e32 v28, v28, v6
	v_mov_b32_e32 v6, v5
	v_not_b32_e32 v5, v7
	v_cmp_gt_i64_e32 vcc, 0, v[6:7]
	v_ashrrev_i32_e32 v5, 31, v5
	ds_read_b32 v37, v40 offset:64
	v_xor_b32_e32 v6, vcc_hi, v5
	v_xor_b32_e32 v7, vcc_lo, v5
	v_and_b32_e32 v5, v4, v6
	v_and_b32_e32 v4, v28, v7
	v_mbcnt_lo_u32_b32 v6, v4, 0
	v_mbcnt_hi_u32_b32 v39, v5, v6
	v_cmp_eq_u32_e32 vcc, 0, v39
	v_cmp_ne_u64_e64 s[4:5], 0, v[4:5]
	v_add_u32_e32 v41, 64, v9
	s_and_b64 s[6:7], s[4:5], vcc
	; wave barrier
	s_and_saveexec_b64 s[4:5], s[6:7]
	s_cbranch_execz .LBB1148_33
; %bb.32:
	v_bcnt_u32_b32 v4, v4, 0
	v_bcnt_u32_b32 v4, v5, v4
	s_waitcnt lgkmcnt(0)
	v_add_u32_e32 v4, v37, v4
	ds_write_b32 v40, v4 offset:64
.LBB1148_33:
	s_or_b64 exec, exec, s[4:5]
	; wave barrier
	s_waitcnt lgkmcnt(0)
	s_barrier
	ds_read2_b32 v[6:7], v9 offset0:16 offset1:17
	ds_read2_b32 v[4:5], v41 offset0:2 offset1:3
	ds_read_b32 v28, v41 offset:16
	v_cmp_lt_u32_e64 s[10:11], 31, v8
	s_waitcnt lgkmcnt(1)
	v_add3_u32 v42, v7, v6, v4
	s_waitcnt lgkmcnt(0)
	v_add3_u32 v28, v42, v5, v28
	v_and_b32_e32 v42, 15, v8
	v_cmp_eq_u32_e32 vcc, 0, v42
	v_mov_b32_dpp v43, v28 row_shr:1 row_mask:0xf bank_mask:0xf
	v_cmp_lt_u32_e64 s[8:9], 1, v42
	v_cndmask_b32_e64 v43, v43, 0, vcc
	v_add_u32_e32 v28, v43, v28
	v_cmp_lt_u32_e64 s[4:5], 3, v42
	v_cmp_lt_u32_e64 s[6:7], 7, v42
	v_mov_b32_dpp v43, v28 row_shr:2 row_mask:0xf bank_mask:0xf
	v_cndmask_b32_e64 v43, 0, v43, s[8:9]
	v_add_u32_e32 v28, v28, v43
	s_nop 1
	v_mov_b32_dpp v43, v28 row_shr:4 row_mask:0xf bank_mask:0xf
	v_cndmask_b32_e64 v43, 0, v43, s[4:5]
	v_add_u32_e32 v28, v28, v43
	s_nop 1
	v_mov_b32_dpp v43, v28 row_shr:8 row_mask:0xf bank_mask:0xf
	v_cndmask_b32_e64 v42, 0, v43, s[6:7]
	v_add_u32_e32 v28, v28, v42
	v_bfe_i32 v43, v8, 4, 1
	s_nop 0
	v_mov_b32_dpp v42, v28 row_bcast:15 row_mask:0xf bank_mask:0xf
	v_and_b32_e32 v42, v43, v42
	v_add_u32_e32 v28, v28, v42
	v_lshrrev_b32_e32 v43, 6, v2
	s_nop 0
	v_mov_b32_dpp v42, v28 row_bcast:31 row_mask:0xf bank_mask:0xf
	v_cndmask_b32_e64 v42, 0, v42, s[10:11]
	v_add_u32_e32 v42, v28, v42
	v_and_b32_e32 v28, 63, v2
	v_cmp_eq_u32_e64 s[10:11], 63, v28
	s_and_saveexec_b64 s[12:13], s[10:11]
	s_cbranch_execz .LBB1148_35
; %bb.34:
	v_lshlrev_b32_e32 v28, 2, v43
	ds_write_b32 v28, v42
.LBB1148_35:
	s_or_b64 exec, exec, s[12:13]
	v_cmp_gt_u32_e64 s[10:11], 16, v2
	v_lshlrev_b32_e32 v28, 2, v2
	s_waitcnt lgkmcnt(0)
	s_barrier
	s_and_saveexec_b64 s[12:13], s[10:11]
	s_cbranch_execz .LBB1148_37
; %bb.36:
	ds_read_b32 v44, v28
	s_waitcnt lgkmcnt(0)
	s_nop 0
	v_mov_b32_dpp v45, v44 row_shr:1 row_mask:0xf bank_mask:0xf
	v_cndmask_b32_e64 v45, v45, 0, vcc
	v_add_u32_e32 v44, v45, v44
	s_nop 1
	v_mov_b32_dpp v45, v44 row_shr:2 row_mask:0xf bank_mask:0xf
	v_cndmask_b32_e64 v45, 0, v45, s[8:9]
	v_add_u32_e32 v44, v44, v45
	s_nop 1
	v_mov_b32_dpp v45, v44 row_shr:4 row_mask:0xf bank_mask:0xf
	v_cndmask_b32_e64 v45, 0, v45, s[4:5]
	v_add_u32_e32 v44, v44, v45
	s_nop 1
	v_mov_b32_dpp v45, v44 row_shr:8 row_mask:0xf bank_mask:0xf
	v_cndmask_b32_e64 v45, 0, v45, s[6:7]
	v_add_u32_e32 v44, v44, v45
	ds_write_b32 v28, v44
.LBB1148_37:
	s_or_b64 exec, exec, s[12:13]
	v_cmp_lt_u32_e32 vcc, 63, v2
	v_mov_b32_e32 v44, 0
	s_waitcnt lgkmcnt(0)
	s_barrier
	s_and_saveexec_b64 s[4:5], vcc
	s_cbranch_execz .LBB1148_39
; %bb.38:
	v_lshl_add_u32 v43, v43, 2, -4
	ds_read_b32 v44, v43
.LBB1148_39:
	s_or_b64 exec, exec, s[4:5]
	v_add_u32_e32 v43, -1, v8
	v_and_b32_e32 v45, 64, v8
	v_cmp_lt_i32_e32 vcc, v43, v45
	s_waitcnt lgkmcnt(0)
	v_add_u32_e32 v42, v44, v42
	s_movk_i32 s4, 0x100
	v_cndmask_b32_e32 v43, v43, v8, vcc
	v_lshlrev_b32_e32 v43, 2, v43
	ds_bpermute_b32 v42, v43, v42
	v_cmp_eq_u32_e32 vcc, 0, v8
	v_cmp_gt_u32_e64 s[4:5], s4, v2
	s_waitcnt lgkmcnt(0)
	v_cndmask_b32_e32 v8, v42, v44, vcc
	v_cmp_ne_u32_e32 vcc, 0, v2
	s_nop 1
	v_cndmask_b32_e32 v8, 0, v8, vcc
	v_add_u32_e32 v6, v8, v6
	v_add_u32_e32 v7, v6, v7
	v_add_u32_e32 v4, v7, v4
	v_add_u32_e32 v5, v4, v5
	ds_write2_b32 v9, v8, v6 offset0:16 offset1:17
	ds_write2_b32 v41, v7, v4 offset0:2 offset1:3
	ds_write_b32 v41, v5 offset:16
	s_waitcnt lgkmcnt(0)
	s_barrier
	ds_read_b32 v41, v21 offset:64
	ds_read_b32 v42, v22 offset:64
	;; [unrolled: 1-line block ×8, first 2 shown]
                                        ; implicit-def: $vgpr21
                                        ; implicit-def: $vgpr22
	s_and_saveexec_b64 s[6:7], s[4:5]
	s_cbranch_execz .LBB1148_43
; %bb.40:
	v_mul_u32_u24_e32 v4, 17, v2
	v_lshlrev_b32_e32 v5, 2, v4
	ds_read_b32 v21, v5 offset:64
	s_movk_i32 s8, 0xff
	v_cmp_ne_u32_e32 vcc, s8, v2
	v_mov_b32_e32 v4, 0x2000
	s_and_saveexec_b64 s[8:9], vcc
	s_cbranch_execz .LBB1148_42
; %bb.41:
	ds_read_b32 v4, v5 offset:132
.LBB1148_42:
	s_or_b64 exec, exec, s[8:9]
	s_waitcnt lgkmcnt(0)
	v_sub_u32_e32 v22, v4, v21
.LBB1148_43:
	s_or_b64 exec, exec, s[6:7]
	s_waitcnt lgkmcnt(0)
	s_barrier
	s_and_saveexec_b64 s[6:7], s[4:5]
	s_cbranch_execz .LBB1148_53
; %bb.44:
	v_lshl_or_b32 v6, s2, 8, v2
	v_mov_b32_e32 v7, 0
	v_lshl_add_u64 v[4:5], v[6:7], 2, s[28:29]
	v_or_b32_e32 v6, 2.0, v22
	s_mov_b64 s[8:9], 0
	s_brev_b32 s14, 1
	s_mov_b32 s15, s2
	v_mov_b32_e32 v43, 0
	global_store_dword v[4:5], v6, off sc1
                                        ; implicit-def: $sgpr10_sgpr11
	s_branch .LBB1148_46
.LBB1148_45:                            ;   in Loop: Header=BB1148_46 Depth=1
	s_or_b64 exec, exec, s[10:11]
	v_and_b32_e32 v8, 0x3fffffff, v44
	v_add_u32_e32 v43, v8, v43
	v_cmp_eq_u32_e64 s[10:11], s14, v6
	s_and_b64 s[12:13], exec, s[10:11]
	s_or_b64 s[8:9], s[12:13], s[8:9]
	s_andn2_b64 exec, exec, s[8:9]
	s_cbranch_execz .LBB1148_52
.LBB1148_46:                            ; =>This Loop Header: Depth=1
                                        ;     Child Loop BB1148_49 Depth 2
	s_or_b64 s[10:11], s[10:11], exec
	s_cmp_eq_u32 s15, 0
	s_cbranch_scc1 .LBB1148_51
; %bb.47:                               ;   in Loop: Header=BB1148_46 Depth=1
	s_add_i32 s15, s15, -1
	v_lshl_or_b32 v6, s15, 8, v2
	v_lshl_add_u64 v[8:9], v[6:7], 2, s[28:29]
	global_load_dword v44, v[8:9], off sc1
	s_waitcnt vmcnt(0)
	v_and_b32_e32 v6, -2.0, v44
	v_cmp_eq_u32_e32 vcc, 0, v6
	s_and_saveexec_b64 s[10:11], vcc
	s_cbranch_execz .LBB1148_45
; %bb.48:                               ;   in Loop: Header=BB1148_46 Depth=1
	s_mov_b64 s[12:13], 0
.LBB1148_49:                            ;   Parent Loop BB1148_46 Depth=1
                                        ; =>  This Inner Loop Header: Depth=2
	global_load_dword v44, v[8:9], off sc1
	s_waitcnt vmcnt(0)
	v_and_b32_e32 v6, -2.0, v44
	v_cmp_ne_u32_e32 vcc, 0, v6
	s_or_b64 s[12:13], vcc, s[12:13]
	s_andn2_b64 exec, exec, s[12:13]
	s_cbranch_execnz .LBB1148_49
; %bb.50:                               ;   in Loop: Header=BB1148_46 Depth=1
	s_or_b64 exec, exec, s[12:13]
	s_branch .LBB1148_45
.LBB1148_51:                            ;   in Loop: Header=BB1148_46 Depth=1
                                        ; implicit-def: $sgpr15
	s_and_b64 s[12:13], exec, s[10:11]
	s_or_b64 s[8:9], s[12:13], s[8:9]
	s_andn2_b64 exec, exec, s[8:9]
	s_cbranch_execnz .LBB1148_46
.LBB1148_52:
	s_or_b64 exec, exec, s[8:9]
	v_add_u32_e32 v6, v43, v22
	v_or_b32_e32 v6, 0x80000000, v6
	global_store_dword v[4:5], v6, off sc1
	global_load_dword v4, v28, s[16:17]
	v_sub_u32_e32 v5, v43, v21
	s_waitcnt vmcnt(0)
	v_add_u32_e32 v4, v5, v4
	ds_write_b32 v28, v4
.LBB1148_53:
	s_or_b64 exec, exec, s[6:7]
	v_add_u32_e32 v6, v41, v17
	v_add3_u32 v7, v19, v18, v42
	v_add3_u32 v8, v23, v20, v25
	;; [unrolled: 1-line block ×7, first 2 shown]
	s_movk_i32 s10, 0x400
	v_add_u32_e32 v23, 0x400, v28
	v_lshlrev_b32_e32 v24, 2, v20
	v_lshlrev_b32_e32 v25, 2, v19
	;; [unrolled: 1-line block ×8, first 2 shown]
	s_mov_b32 s11, 0
	s_mov_b32 s12, 0
	s_mov_b64 s[6:7], -1
	s_movk_i32 s13, 0x1000
	v_mov_b32_e32 v5, 0
	s_movk_i32 s14, 0x800
	s_movk_i32 s15, 0xc00
	s_branch .LBB1148_55
.LBB1148_54:                            ;   in Loop: Header=BB1148_55 Depth=1
	s_or_b64 exec, exec, s[8:9]
	s_xor_b64 s[8:9], s[6:7], -1
	s_addk_i32 s12, 0x1000
	s_addk_i32 s11, 0xc000
	v_add_u32_e32 v20, 0xfffff000, v20
	v_add_u32_e32 v19, 0xfffff000, v19
	;; [unrolled: 1-line block ×8, first 2 shown]
	s_mov_b64 s[6:7], 0
	s_and_b64 vcc, exec, s[8:9]
	s_barrier
	s_cbranch_vccnz .LBB1148_80
.LBB1148_55:                            ; =>This Inner Loop Header: Depth=1
	v_cmp_gt_u32_e32 vcc, s13, v6
	s_and_saveexec_b64 s[8:9], vcc
	s_cbranch_execnz .LBB1148_72
; %bb.56:                               ;   in Loop: Header=BB1148_55 Depth=1
	s_or_b64 exec, exec, s[8:9]
	v_cmp_gt_u32_e32 vcc, s13, v7
	s_and_saveexec_b64 s[8:9], vcc
	s_cbranch_execnz .LBB1148_73
.LBB1148_57:                            ;   in Loop: Header=BB1148_55 Depth=1
	s_or_b64 exec, exec, s[8:9]
	v_cmp_gt_u32_e32 vcc, s13, v8
	s_and_saveexec_b64 s[8:9], vcc
	s_cbranch_execnz .LBB1148_74
.LBB1148_58:                            ;   in Loop: Header=BB1148_55 Depth=1
	s_or_b64 exec, exec, s[8:9]
	v_cmp_gt_u32_e32 vcc, s13, v9
	s_and_saveexec_b64 s[8:9], vcc
	s_cbranch_execnz .LBB1148_75
.LBB1148_59:                            ;   in Loop: Header=BB1148_55 Depth=1
	s_or_b64 exec, exec, s[8:9]
	v_cmp_gt_u32_e32 vcc, s13, v17
	s_and_saveexec_b64 s[8:9], vcc
	s_cbranch_execnz .LBB1148_76
.LBB1148_60:                            ;   in Loop: Header=BB1148_55 Depth=1
	s_or_b64 exec, exec, s[8:9]
	v_cmp_gt_u32_e32 vcc, s13, v18
	s_and_saveexec_b64 s[8:9], vcc
	s_cbranch_execnz .LBB1148_77
.LBB1148_61:                            ;   in Loop: Header=BB1148_55 Depth=1
	s_or_b64 exec, exec, s[8:9]
	v_cmp_gt_u32_e32 vcc, s13, v19
	s_and_saveexec_b64 s[8:9], vcc
	s_cbranch_execnz .LBB1148_78
.LBB1148_62:                            ;   in Loop: Header=BB1148_55 Depth=1
	s_or_b64 exec, exec, s[8:9]
	v_cmp_gt_u32_e32 vcc, s13, v20
	s_and_saveexec_b64 s[8:9], vcc
	s_cbranch_execz .LBB1148_64
.LBB1148_63:                            ;   in Loop: Header=BB1148_55 Depth=1
	v_add_u32_e32 v4, s11, v24
	ds_write_b32 v4, v16 offset:1024
.LBB1148_64:                            ;   in Loop: Header=BB1148_55 Depth=1
	s_or_b64 exec, exec, s[8:9]
	v_add_u32_e32 v33, s12, v2
	v_cmp_gt_u32_e32 vcc, s3, v33
	s_waitcnt lgkmcnt(0)
	s_barrier
	s_and_saveexec_b64 s[8:9], vcc
	s_cbranch_execz .LBB1148_66
; %bb.65:                               ;   in Loop: Header=BB1148_55 Depth=1
	ds_read_b32 v36, v28 offset:1024
	s_waitcnt lgkmcnt(0)
	v_lshrrev_b32_e32 v4, s20, v36
	v_and_b32_e32 v4, s23, v4
	v_lshlrev_b32_e32 v4, 2, v4
	ds_read_b32 v4, v4
	s_waitcnt lgkmcnt(0)
	v_add_u32_e32 v4, v33, v4
	v_lshl_add_u64 v[34:35], v[4:5], 2, s[26:27]
	global_store_dword v[34:35], v36, off
.LBB1148_66:                            ;   in Loop: Header=BB1148_55 Depth=1
	s_or_b64 exec, exec, s[8:9]
	v_add_u32_e32 v4, 0x400, v33
	v_cmp_gt_u32_e32 vcc, s3, v4
	s_and_saveexec_b64 s[8:9], vcc
	s_cbranch_execz .LBB1148_68
; %bb.67:                               ;   in Loop: Header=BB1148_55 Depth=1
	ds_read_b32 v36, v23 offset:4096
	s_waitcnt lgkmcnt(0)
	v_lshrrev_b32_e32 v4, s20, v36
	v_and_b32_e32 v4, s23, v4
	v_lshlrev_b32_e32 v4, 2, v4
	ds_read_b32 v4, v4
	s_waitcnt lgkmcnt(0)
	v_add3_u32 v4, v33, v4, s10
	v_lshl_add_u64 v[34:35], v[4:5], 2, s[26:27]
	global_store_dword v[34:35], v36, off
.LBB1148_68:                            ;   in Loop: Header=BB1148_55 Depth=1
	s_or_b64 exec, exec, s[8:9]
	v_add_u32_e32 v4, 0x800, v33
	v_cmp_gt_u32_e32 vcc, s3, v4
	s_and_saveexec_b64 s[8:9], vcc
	s_cbranch_execz .LBB1148_70
; %bb.69:                               ;   in Loop: Header=BB1148_55 Depth=1
	ds_read_b32 v36, v23 offset:8192
	s_waitcnt lgkmcnt(0)
	v_lshrrev_b32_e32 v4, s20, v36
	v_and_b32_e32 v4, s23, v4
	v_lshlrev_b32_e32 v4, 2, v4
	ds_read_b32 v4, v4
	s_waitcnt lgkmcnt(0)
	v_add3_u32 v4, v33, v4, s14
	v_lshl_add_u64 v[34:35], v[4:5], 2, s[26:27]
	global_store_dword v[34:35], v36, off
.LBB1148_70:                            ;   in Loop: Header=BB1148_55 Depth=1
	s_or_b64 exec, exec, s[8:9]
	v_add_u32_e32 v4, 0xc00, v33
	v_cmp_gt_u32_e32 vcc, s3, v4
	s_and_saveexec_b64 s[8:9], vcc
	s_cbranch_execz .LBB1148_54
; %bb.71:                               ;   in Loop: Header=BB1148_55 Depth=1
	ds_read_b32 v36, v23 offset:12288
	s_waitcnt lgkmcnt(0)
	v_lshrrev_b32_e32 v4, s20, v36
	v_and_b32_e32 v4, s23, v4
	v_lshlrev_b32_e32 v4, 2, v4
	ds_read_b32 v4, v4
	s_waitcnt lgkmcnt(0)
	v_add3_u32 v4, v33, v4, s15
	v_lshl_add_u64 v[34:35], v[4:5], 2, s[26:27]
	global_store_dword v[34:35], v36, off
	s_branch .LBB1148_54
.LBB1148_72:                            ;   in Loop: Header=BB1148_55 Depth=1
	v_add_u32_e32 v4, s11, v32
	ds_write_b32 v4, v10 offset:1024
	s_or_b64 exec, exec, s[8:9]
	v_cmp_gt_u32_e32 vcc, s13, v7
	s_and_saveexec_b64 s[8:9], vcc
	s_cbranch_execz .LBB1148_57
.LBB1148_73:                            ;   in Loop: Header=BB1148_55 Depth=1
	v_add_u32_e32 v4, s11, v31
	ds_write_b32 v4, v11 offset:1024
	s_or_b64 exec, exec, s[8:9]
	v_cmp_gt_u32_e32 vcc, s13, v8
	s_and_saveexec_b64 s[8:9], vcc
	s_cbranch_execz .LBB1148_58
.LBB1148_74:                            ;   in Loop: Header=BB1148_55 Depth=1
	v_add_u32_e32 v4, s11, v30
	ds_write_b32 v4, v3 offset:1024
	s_or_b64 exec, exec, s[8:9]
	v_cmp_gt_u32_e32 vcc, s13, v9
	s_and_saveexec_b64 s[8:9], vcc
	s_cbranch_execz .LBB1148_59
.LBB1148_75:                            ;   in Loop: Header=BB1148_55 Depth=1
	v_add_u32_e32 v4, s11, v29
	ds_write_b32 v4, v13 offset:1024
	s_or_b64 exec, exec, s[8:9]
	v_cmp_gt_u32_e32 vcc, s13, v17
	s_and_saveexec_b64 s[8:9], vcc
	s_cbranch_execz .LBB1148_60
.LBB1148_76:                            ;   in Loop: Header=BB1148_55 Depth=1
	v_add_u32_e32 v4, s11, v27
	ds_write_b32 v4, v12 offset:1024
	s_or_b64 exec, exec, s[8:9]
	v_cmp_gt_u32_e32 vcc, s13, v18
	s_and_saveexec_b64 s[8:9], vcc
	s_cbranch_execz .LBB1148_61
.LBB1148_77:                            ;   in Loop: Header=BB1148_55 Depth=1
	v_add_u32_e32 v4, s11, v26
	ds_write_b32 v4, v15 offset:1024
	s_or_b64 exec, exec, s[8:9]
	v_cmp_gt_u32_e32 vcc, s13, v19
	s_and_saveexec_b64 s[8:9], vcc
	s_cbranch_execz .LBB1148_62
.LBB1148_78:                            ;   in Loop: Header=BB1148_55 Depth=1
	v_add_u32_e32 v4, s11, v25
	ds_write_b32 v4, v14 offset:1024
	s_or_b64 exec, exec, s[8:9]
	v_cmp_gt_u32_e32 vcc, s13, v20
	s_and_saveexec_b64 s[8:9], vcc
	s_cbranch_execnz .LBB1148_63
	s_branch .LBB1148_64
.LBB1148_79:
	s_mov_b64 s[10:11], 0
                                        ; implicit-def: $vgpr4
                                        ; implicit-def: $vgpr2
	s_cbranch_execnz .LBB1148_83
	s_branch .LBB1148_140
.LBB1148_80:
	s_add_i32 s22, s22, -1
	s_cmp_eq_u32 s22, s2
	s_cselect_b64 s[6:7], -1, 0
	s_and_b64 s[6:7], s[4:5], s[6:7]
	s_mov_b64 s[4:5], 0
	s_mov_b64 s[10:11], 0
                                        ; implicit-def: $vgpr4
	s_and_saveexec_b64 s[8:9], s[6:7]
	s_xor_b64 s[6:7], exec, s[8:9]
; %bb.81:
	s_mov_b64 s[10:11], exec
	v_add_u32_e32 v4, v21, v22
; %bb.82:
	s_or_b64 exec, exec, s[6:7]
	s_and_b64 vcc, exec, s[4:5]
	s_cbranch_vccz .LBB1148_140
.LBB1148_83:
	s_lshl_b32 s4, s2, 13
	s_mov_b32 s5, 0
	s_lshl_b64 s[4:5], s[4:5], 2
	v_mbcnt_hi_u32_b32 v6, -1, v1
	v_and_b32_e32 v2, 0x3ff, v0
	s_add_u32 s4, s24, s4
	v_and_b32_e32 v1, 63, v6
	s_addc_u32 s5, s25, s5
	v_mov_b32_e32 v5, 0
	v_lshlrev_b32_e32 v4, 2, v1
	v_lshlrev_b32_e32 v1, 5, v2
	v_lshl_add_u64 v[8:9], s[4:5], 0, v[4:5]
	v_and_b32_e32 v4, 0x7800, v1
	v_lshl_add_u64 v[16:17], v[8:9], 0, v[4:5]
	global_load_dword v3, v[16:17], off
	s_load_dword s4, s[0:1], 0x64
	s_load_dword s3, s[0:1], 0x58
	s_add_u32 s0, s0, 0x58
	s_addc_u32 s1, s1, 0
	v_mul_u32_u24_e32 v7, 5, v2
	s_waitcnt lgkmcnt(0)
	s_lshr_b32 s4, s4, 16
	s_cmp_lt_u32 s2, s3
	s_cselect_b32 s5, 12, 18
	s_add_u32 s0, s0, s5
	s_addc_u32 s1, s1, 0
	global_load_ushort v15, v5, s[0:1]
	v_lshlrev_b32_e32 v7, 2, v7
	ds_write2_b32 v7, v5, v5 offset0:16 offset1:17
	ds_write2_b32 v7, v5, v5 offset0:18 offset1:19
	ds_write_b32 v7, v5 offset:80
	global_load_dword v8, v[16:17], off offset:256
	global_load_dword v9, v[16:17], off offset:512
	;; [unrolled: 1-line block ×7, first 2 shown]
	v_bfe_u32 v1, v0, 10, 10
	v_bfe_u32 v4, v0, 20, 10
	s_lshl_b32 s0, -1, s21
	v_mad_u32_u24 v16, v4, s4, v1
	s_not_b32 s14, s0
	v_mov_b32_e32 v0, v5
	v_mov_b32_e32 v18, v5
	;; [unrolled: 1-line block ×4, first 2 shown]
	s_waitcnt lgkmcnt(0)
	s_barrier
	s_waitcnt lgkmcnt(0)
	; wave barrier
	s_waitcnt vmcnt(8)
	v_lshrrev_b32_e32 v1, s20, v3
	v_and_b32_e32 v26, s14, v1
	v_and_b32_e32 v4, 1, v26
	v_lshlrev_b32_e32 v1, 30, v26
	v_lshlrev_b32_e32 v19, 29, v26
	v_lshl_add_u64 v[24:25], v[4:5], 0, -1
	v_cmp_ne_u32_e32 vcc, 0, v4
	v_cmp_gt_i64_e64 s[0:1], 0, v[0:1]
	v_not_b32_e32 v4, v1
	v_lshlrev_b32_e32 v21, 28, v26
	s_waitcnt vmcnt(7)
	v_mad_u64_u32 v[0:1], s[12:13], v16, v15, v[2:3]
	v_lshlrev_b32_e32 v23, 27, v26
	v_cmp_gt_i64_e64 s[4:5], 0, v[18:19]
	v_not_b32_e32 v18, v19
	v_xor_b32_e32 v1, vcc_hi, v25
	v_xor_b32_e32 v15, vcc_lo, v24
	v_ashrrev_i32_e32 v4, 31, v4
	v_cmp_gt_i64_e64 s[6:7], 0, v[20:21]
	v_not_b32_e32 v19, v21
	v_not_b32_e32 v20, v23
	v_ashrrev_i32_e32 v16, 31, v18
	v_lshrrev_b32_e32 v25, 6, v0
	v_and_b32_e32 v0, exec_hi, v1
	v_and_b32_e32 v1, exec_lo, v15
	v_xor_b32_e32 v15, s1, v4
	v_xor_b32_e32 v4, s0, v4
	v_lshlrev_b32_e32 v17, 26, v26
	v_ashrrev_i32_e32 v18, 31, v19
	v_ashrrev_i32_e32 v19, 31, v20
	v_xor_b32_e32 v20, s5, v16
	v_xor_b32_e32 v16, s4, v16
	v_and_b32_e32 v0, v0, v15
	v_and_b32_e32 v1, v1, v4
	v_cmp_gt_i64_e64 s[8:9], 0, v[22:23]
	v_xor_b32_e32 v21, s7, v18
	v_xor_b32_e32 v18, s6, v18
	v_and_b32_e32 v0, v0, v20
	v_and_b32_e32 v1, v1, v16
	v_mov_b32_e32 v16, v5
	v_not_b32_e32 v4, v17
	v_xor_b32_e32 v22, s9, v19
	v_xor_b32_e32 v23, s8, v19
	v_and_b32_e32 v0, v0, v21
	v_and_b32_e32 v1, v1, v18
	v_cmp_gt_i64_e32 vcc, 0, v[16:17]
	v_ashrrev_i32_e32 v4, 31, v4
	v_and_b32_e32 v0, v0, v22
	v_and_b32_e32 v1, v1, v23
	v_xor_b32_e32 v15, vcc_hi, v4
	v_xor_b32_e32 v4, vcc_lo, v4
	v_and_b32_e32 v15, v0, v15
	v_and_b32_e32 v4, v1, v4
	v_lshlrev_b32_e32 v1, 25, v26
	v_mov_b32_e32 v0, v5
	v_cmp_gt_i64_e32 vcc, 0, v[0:1]
	v_not_b32_e32 v0, v1
	v_ashrrev_i32_e32 v0, 31, v0
	v_xor_b32_e32 v1, vcc_hi, v0
	v_xor_b32_e32 v0, vcc_lo, v0
	v_and_b32_e32 v15, v15, v1
	v_and_b32_e32 v4, v4, v0
	v_lshlrev_b32_e32 v1, 24, v26
	v_mov_b32_e32 v0, v5
	v_cmp_gt_i64_e32 vcc, 0, v[0:1]
	v_not_b32_e32 v0, v1
	v_ashrrev_i32_e32 v0, 31, v0
	v_xor_b32_e32 v1, vcc_hi, v0
	v_xor_b32_e32 v0, vcc_lo, v0
	v_and_b32_e32 v0, v4, v0
	v_and_b32_e32 v1, v15, v1
	v_mbcnt_lo_u32_b32 v4, v0, 0
	v_mbcnt_hi_u32_b32 v15, v1, v4
	v_lshl_add_u32 v27, v26, 4, v26
	v_cmp_eq_u32_e32 vcc, 0, v15
	v_cmp_ne_u64_e64 s[0:1], 0, v[0:1]
	v_add_lshl_u32 v19, v25, v27, 2
	s_and_b64 s[4:5], s[0:1], vcc
	s_and_saveexec_b64 s[0:1], s[4:5]
	s_cbranch_execz .LBB1148_85
; %bb.84:
	v_bcnt_u32_b32 v0, v0, 0
	v_bcnt_u32_b32 v0, v1, v0
	ds_write_b32 v19, v0 offset:64
.LBB1148_85:
	s_or_b64 exec, exec, s[0:1]
	s_waitcnt vmcnt(6)
	v_lshrrev_b32_e32 v0, s20, v8
	v_and_b32_e32 v17, s14, v0
	v_lshl_add_u32 v0, v17, 4, v17
	v_and_b32_e32 v4, 1, v17
	v_add_lshl_u32 v20, v25, v0, 2
	v_lshl_add_u64 v[0:1], v[4:5], 0, -1
	v_cmp_ne_u32_e32 vcc, 0, v4
	; wave barrier
	s_nop 1
	v_xor_b32_e32 v1, vcc_hi, v1
	v_xor_b32_e32 v0, vcc_lo, v0
	v_and_b32_e32 v4, exec_hi, v1
	v_and_b32_e32 v18, exec_lo, v0
	v_lshlrev_b32_e32 v1, 30, v17
	v_mov_b32_e32 v0, v5
	v_cmp_gt_i64_e32 vcc, 0, v[0:1]
	v_not_b32_e32 v0, v1
	v_ashrrev_i32_e32 v0, 31, v0
	v_xor_b32_e32 v1, vcc_hi, v0
	v_xor_b32_e32 v0, vcc_lo, v0
	v_and_b32_e32 v4, v4, v1
	v_and_b32_e32 v18, v18, v0
	v_lshlrev_b32_e32 v1, 29, v17
	v_mov_b32_e32 v0, v5
	v_cmp_gt_i64_e32 vcc, 0, v[0:1]
	v_not_b32_e32 v0, v1
	v_ashrrev_i32_e32 v0, 31, v0
	v_xor_b32_e32 v1, vcc_hi, v0
	v_xor_b32_e32 v0, vcc_lo, v0
	v_and_b32_e32 v4, v4, v1
	v_and_b32_e32 v18, v18, v0
	;; [unrolled: 9-line block ×6, first 2 shown]
	v_lshlrev_b32_e32 v1, 24, v17
	v_mov_b32_e32 v0, v5
	v_cmp_gt_i64_e32 vcc, 0, v[0:1]
	v_not_b32_e32 v0, v1
	v_ashrrev_i32_e32 v0, 31, v0
	v_xor_b32_e32 v1, vcc_hi, v0
	v_xor_b32_e32 v0, vcc_lo, v0
	ds_read_b32 v16, v20 offset:64
	v_and_b32_e32 v0, v18, v0
	v_and_b32_e32 v1, v4, v1
	v_mbcnt_lo_u32_b32 v4, v0, 0
	v_mbcnt_hi_u32_b32 v17, v1, v4
	v_cmp_eq_u32_e32 vcc, 0, v17
	v_cmp_ne_u64_e64 s[0:1], 0, v[0:1]
	s_and_b64 s[4:5], s[0:1], vcc
	; wave barrier
	s_and_saveexec_b64 s[0:1], s[4:5]
	s_cbranch_execz .LBB1148_87
; %bb.86:
	v_bcnt_u32_b32 v0, v0, 0
	v_bcnt_u32_b32 v0, v1, v0
	s_waitcnt lgkmcnt(0)
	v_add_u32_e32 v0, v16, v0
	ds_write_b32 v20, v0 offset:64
.LBB1148_87:
	s_or_b64 exec, exec, s[0:1]
	s_waitcnt vmcnt(5)
	v_lshrrev_b32_e32 v0, s20, v9
	v_and_b32_e32 v21, s14, v0
	v_lshl_add_u32 v0, v21, 4, v21
	v_add_lshl_u32 v23, v25, v0, 2
	v_and_b32_e32 v0, 1, v21
	v_mov_b32_e32 v1, 0
	v_lshl_add_u64 v[4:5], v[0:1], 0, -1
	v_cmp_ne_u32_e32 vcc, 0, v0
	; wave barrier
	s_nop 1
	v_xor_b32_e32 v4, vcc_lo, v4
	v_xor_b32_e32 v0, vcc_hi, v5
	v_and_b32_e32 v22, exec_lo, v4
	v_lshlrev_b32_e32 v5, 30, v21
	v_mov_b32_e32 v4, v1
	v_cmp_gt_i64_e32 vcc, 0, v[4:5]
	v_not_b32_e32 v4, v5
	v_ashrrev_i32_e32 v4, 31, v4
	v_and_b32_e32 v0, exec_hi, v0
	v_xor_b32_e32 v5, vcc_hi, v4
	v_xor_b32_e32 v4, vcc_lo, v4
	v_and_b32_e32 v0, v0, v5
	v_and_b32_e32 v22, v22, v4
	v_lshlrev_b32_e32 v5, 29, v21
	v_mov_b32_e32 v4, v1
	v_cmp_gt_i64_e32 vcc, 0, v[4:5]
	v_not_b32_e32 v4, v5
	v_ashrrev_i32_e32 v4, 31, v4
	v_xor_b32_e32 v5, vcc_hi, v4
	v_xor_b32_e32 v4, vcc_lo, v4
	v_and_b32_e32 v0, v0, v5
	v_and_b32_e32 v22, v22, v4
	v_lshlrev_b32_e32 v5, 28, v21
	v_mov_b32_e32 v4, v1
	v_cmp_gt_i64_e32 vcc, 0, v[4:5]
	v_not_b32_e32 v4, v5
	v_ashrrev_i32_e32 v4, 31, v4
	v_xor_b32_e32 v5, vcc_hi, v4
	v_xor_b32_e32 v4, vcc_lo, v4
	v_and_b32_e32 v0, v0, v5
	v_and_b32_e32 v22, v22, v4
	v_lshlrev_b32_e32 v5, 27, v21
	v_mov_b32_e32 v4, v1
	v_cmp_gt_i64_e32 vcc, 0, v[4:5]
	v_not_b32_e32 v4, v5
	v_ashrrev_i32_e32 v4, 31, v4
	v_xor_b32_e32 v5, vcc_hi, v4
	v_xor_b32_e32 v4, vcc_lo, v4
	v_and_b32_e32 v0, v0, v5
	v_and_b32_e32 v22, v22, v4
	v_lshlrev_b32_e32 v5, 26, v21
	v_mov_b32_e32 v4, v1
	v_cmp_gt_i64_e32 vcc, 0, v[4:5]
	v_not_b32_e32 v4, v5
	v_ashrrev_i32_e32 v4, 31, v4
	v_xor_b32_e32 v5, vcc_hi, v4
	v_xor_b32_e32 v4, vcc_lo, v4
	v_and_b32_e32 v0, v0, v5
	v_and_b32_e32 v22, v22, v4
	v_lshlrev_b32_e32 v5, 25, v21
	v_mov_b32_e32 v4, v1
	v_cmp_gt_i64_e32 vcc, 0, v[4:5]
	v_not_b32_e32 v4, v5
	v_ashrrev_i32_e32 v4, 31, v4
	v_xor_b32_e32 v5, vcc_hi, v4
	v_xor_b32_e32 v4, vcc_lo, v4
	v_and_b32_e32 v0, v0, v5
	v_and_b32_e32 v22, v22, v4
	v_lshlrev_b32_e32 v5, 24, v21
	v_mov_b32_e32 v4, v1
	v_cmp_gt_i64_e32 vcc, 0, v[4:5]
	v_not_b32_e32 v4, v5
	v_ashrrev_i32_e32 v4, 31, v4
	v_xor_b32_e32 v5, vcc_hi, v4
	v_xor_b32_e32 v4, vcc_lo, v4
	ds_read_b32 v18, v23 offset:64
	v_and_b32_e32 v4, v22, v4
	v_and_b32_e32 v5, v0, v5
	v_mbcnt_lo_u32_b32 v0, v4, 0
	v_mbcnt_hi_u32_b32 v21, v5, v0
	v_cmp_eq_u32_e32 vcc, 0, v21
	v_cmp_ne_u64_e64 s[0:1], 0, v[4:5]
	s_and_b64 s[4:5], s[0:1], vcc
	; wave barrier
	s_and_saveexec_b64 s[0:1], s[4:5]
	s_cbranch_execz .LBB1148_89
; %bb.88:
	v_bcnt_u32_b32 v0, v4, 0
	v_bcnt_u32_b32 v0, v5, v0
	s_waitcnt lgkmcnt(0)
	v_add_u32_e32 v0, v18, v0
	ds_write_b32 v23, v0 offset:64
.LBB1148_89:
	s_or_b64 exec, exec, s[0:1]
	s_waitcnt vmcnt(4)
	v_lshrrev_b32_e32 v0, s20, v10
	v_and_b32_e32 v24, s14, v0
	v_lshl_add_u32 v0, v24, 4, v24
	v_add_lshl_u32 v27, v25, v0, 2
	v_and_b32_e32 v0, 1, v24
	v_lshl_add_u64 v[4:5], v[0:1], 0, -1
	v_cmp_ne_u32_e32 vcc, 0, v0
	; wave barrier
	s_nop 1
	v_xor_b32_e32 v4, vcc_lo, v4
	v_xor_b32_e32 v0, vcc_hi, v5
	v_and_b32_e32 v26, exec_lo, v4
	v_lshlrev_b32_e32 v5, 30, v24
	v_mov_b32_e32 v4, v1
	v_cmp_gt_i64_e32 vcc, 0, v[4:5]
	v_not_b32_e32 v4, v5
	v_ashrrev_i32_e32 v4, 31, v4
	v_and_b32_e32 v0, exec_hi, v0
	v_xor_b32_e32 v5, vcc_hi, v4
	v_xor_b32_e32 v4, vcc_lo, v4
	v_and_b32_e32 v0, v0, v5
	v_and_b32_e32 v26, v26, v4
	v_lshlrev_b32_e32 v5, 29, v24
	v_mov_b32_e32 v4, v1
	v_cmp_gt_i64_e32 vcc, 0, v[4:5]
	v_not_b32_e32 v4, v5
	v_ashrrev_i32_e32 v4, 31, v4
	v_xor_b32_e32 v5, vcc_hi, v4
	v_xor_b32_e32 v4, vcc_lo, v4
	v_and_b32_e32 v0, v0, v5
	v_and_b32_e32 v26, v26, v4
	v_lshlrev_b32_e32 v5, 28, v24
	v_mov_b32_e32 v4, v1
	v_cmp_gt_i64_e32 vcc, 0, v[4:5]
	v_not_b32_e32 v4, v5
	v_ashrrev_i32_e32 v4, 31, v4
	;; [unrolled: 9-line block ×5, first 2 shown]
	v_xor_b32_e32 v5, vcc_hi, v4
	v_xor_b32_e32 v4, vcc_lo, v4
	v_and_b32_e32 v0, v0, v5
	v_lshlrev_b32_e32 v5, 24, v24
	v_and_b32_e32 v26, v26, v4
	v_mov_b32_e32 v4, v1
	v_not_b32_e32 v1, v5
	v_cmp_gt_i64_e32 vcc, 0, v[4:5]
	v_ashrrev_i32_e32 v1, 31, v1
	ds_read_b32 v22, v27 offset:64
	v_xor_b32_e32 v4, vcc_hi, v1
	v_xor_b32_e32 v5, vcc_lo, v1
	v_and_b32_e32 v1, v0, v4
	v_and_b32_e32 v0, v26, v5
	v_mbcnt_lo_u32_b32 v4, v0, 0
	v_mbcnt_hi_u32_b32 v24, v1, v4
	v_cmp_eq_u32_e32 vcc, 0, v24
	v_cmp_ne_u64_e64 s[0:1], 0, v[0:1]
	s_and_b64 s[4:5], s[0:1], vcc
	; wave barrier
	s_and_saveexec_b64 s[0:1], s[4:5]
	s_cbranch_execz .LBB1148_91
; %bb.90:
	v_bcnt_u32_b32 v0, v0, 0
	v_bcnt_u32_b32 v0, v1, v0
	s_waitcnt lgkmcnt(0)
	v_add_u32_e32 v0, v22, v0
	ds_write_b32 v27, v0 offset:64
.LBB1148_91:
	s_or_b64 exec, exec, s[0:1]
	s_waitcnt vmcnt(3)
	v_lshrrev_b32_e32 v0, s20, v11
	v_and_b32_e32 v28, s14, v0
	v_lshl_add_u32 v0, v28, 4, v28
	v_add_lshl_u32 v30, v25, v0, 2
	v_and_b32_e32 v0, 1, v28
	v_mov_b32_e32 v1, 0
	v_lshl_add_u64 v[4:5], v[0:1], 0, -1
	v_cmp_ne_u32_e32 vcc, 0, v0
	; wave barrier
	s_nop 1
	v_xor_b32_e32 v4, vcc_lo, v4
	v_xor_b32_e32 v0, vcc_hi, v5
	v_and_b32_e32 v29, exec_lo, v4
	v_lshlrev_b32_e32 v5, 30, v28
	v_mov_b32_e32 v4, v1
	v_cmp_gt_i64_e32 vcc, 0, v[4:5]
	v_not_b32_e32 v4, v5
	v_ashrrev_i32_e32 v4, 31, v4
	v_and_b32_e32 v0, exec_hi, v0
	v_xor_b32_e32 v5, vcc_hi, v4
	v_xor_b32_e32 v4, vcc_lo, v4
	v_and_b32_e32 v0, v0, v5
	v_and_b32_e32 v29, v29, v4
	v_lshlrev_b32_e32 v5, 29, v28
	v_mov_b32_e32 v4, v1
	v_cmp_gt_i64_e32 vcc, 0, v[4:5]
	v_not_b32_e32 v4, v5
	v_ashrrev_i32_e32 v4, 31, v4
	v_xor_b32_e32 v5, vcc_hi, v4
	v_xor_b32_e32 v4, vcc_lo, v4
	v_and_b32_e32 v0, v0, v5
	v_and_b32_e32 v29, v29, v4
	v_lshlrev_b32_e32 v5, 28, v28
	v_mov_b32_e32 v4, v1
	v_cmp_gt_i64_e32 vcc, 0, v[4:5]
	v_not_b32_e32 v4, v5
	v_ashrrev_i32_e32 v4, 31, v4
	;; [unrolled: 9-line block ×6, first 2 shown]
	v_xor_b32_e32 v5, vcc_hi, v4
	v_xor_b32_e32 v4, vcc_lo, v4
	ds_read_b32 v26, v30 offset:64
	v_and_b32_e32 v4, v29, v4
	v_and_b32_e32 v5, v0, v5
	v_mbcnt_lo_u32_b32 v0, v4, 0
	v_mbcnt_hi_u32_b32 v28, v5, v0
	v_cmp_eq_u32_e32 vcc, 0, v28
	v_cmp_ne_u64_e64 s[0:1], 0, v[4:5]
	s_and_b64 s[4:5], s[0:1], vcc
	; wave barrier
	s_and_saveexec_b64 s[0:1], s[4:5]
	s_cbranch_execz .LBB1148_93
; %bb.92:
	v_bcnt_u32_b32 v0, v4, 0
	v_bcnt_u32_b32 v0, v5, v0
	s_waitcnt lgkmcnt(0)
	v_add_u32_e32 v0, v26, v0
	ds_write_b32 v30, v0 offset:64
.LBB1148_93:
	s_or_b64 exec, exec, s[0:1]
	s_waitcnt vmcnt(2)
	v_lshrrev_b32_e32 v0, s20, v12
	v_and_b32_e32 v31, s14, v0
	v_lshl_add_u32 v0, v31, 4, v31
	v_add_lshl_u32 v33, v25, v0, 2
	v_and_b32_e32 v0, 1, v31
	v_lshl_add_u64 v[4:5], v[0:1], 0, -1
	v_cmp_ne_u32_e32 vcc, 0, v0
	; wave barrier
	s_nop 1
	v_xor_b32_e32 v4, vcc_lo, v4
	v_xor_b32_e32 v0, vcc_hi, v5
	v_and_b32_e32 v32, exec_lo, v4
	v_lshlrev_b32_e32 v5, 30, v31
	v_mov_b32_e32 v4, v1
	v_cmp_gt_i64_e32 vcc, 0, v[4:5]
	v_not_b32_e32 v4, v5
	v_ashrrev_i32_e32 v4, 31, v4
	v_and_b32_e32 v0, exec_hi, v0
	v_xor_b32_e32 v5, vcc_hi, v4
	v_xor_b32_e32 v4, vcc_lo, v4
	v_and_b32_e32 v0, v0, v5
	v_and_b32_e32 v32, v32, v4
	v_lshlrev_b32_e32 v5, 29, v31
	v_mov_b32_e32 v4, v1
	v_cmp_gt_i64_e32 vcc, 0, v[4:5]
	v_not_b32_e32 v4, v5
	v_ashrrev_i32_e32 v4, 31, v4
	v_xor_b32_e32 v5, vcc_hi, v4
	v_xor_b32_e32 v4, vcc_lo, v4
	v_and_b32_e32 v0, v0, v5
	v_and_b32_e32 v32, v32, v4
	v_lshlrev_b32_e32 v5, 28, v31
	v_mov_b32_e32 v4, v1
	v_cmp_gt_i64_e32 vcc, 0, v[4:5]
	v_not_b32_e32 v4, v5
	v_ashrrev_i32_e32 v4, 31, v4
	;; [unrolled: 9-line block ×5, first 2 shown]
	v_xor_b32_e32 v5, vcc_hi, v4
	v_xor_b32_e32 v4, vcc_lo, v4
	v_and_b32_e32 v0, v0, v5
	v_lshlrev_b32_e32 v5, 24, v31
	v_and_b32_e32 v32, v32, v4
	v_mov_b32_e32 v4, v1
	v_not_b32_e32 v1, v5
	v_cmp_gt_i64_e32 vcc, 0, v[4:5]
	v_ashrrev_i32_e32 v1, 31, v1
	ds_read_b32 v29, v33 offset:64
	v_xor_b32_e32 v4, vcc_hi, v1
	v_xor_b32_e32 v5, vcc_lo, v1
	v_and_b32_e32 v1, v0, v4
	v_and_b32_e32 v0, v32, v5
	v_mbcnt_lo_u32_b32 v4, v0, 0
	v_mbcnt_hi_u32_b32 v31, v1, v4
	v_cmp_eq_u32_e32 vcc, 0, v31
	v_cmp_ne_u64_e64 s[0:1], 0, v[0:1]
	s_and_b64 s[4:5], s[0:1], vcc
	; wave barrier
	s_and_saveexec_b64 s[0:1], s[4:5]
	s_cbranch_execz .LBB1148_95
; %bb.94:
	v_bcnt_u32_b32 v0, v0, 0
	v_bcnt_u32_b32 v0, v1, v0
	s_waitcnt lgkmcnt(0)
	v_add_u32_e32 v0, v29, v0
	ds_write_b32 v33, v0 offset:64
.LBB1148_95:
	s_or_b64 exec, exec, s[0:1]
	s_waitcnt vmcnt(1)
	v_lshrrev_b32_e32 v0, s20, v13
	v_and_b32_e32 v34, s14, v0
	v_lshl_add_u32 v0, v34, 4, v34
	v_add_lshl_u32 v36, v25, v0, 2
	v_and_b32_e32 v0, 1, v34
	v_mov_b32_e32 v1, 0
	v_lshl_add_u64 v[4:5], v[0:1], 0, -1
	v_cmp_ne_u32_e32 vcc, 0, v0
	; wave barrier
	s_nop 1
	v_xor_b32_e32 v4, vcc_lo, v4
	v_xor_b32_e32 v0, vcc_hi, v5
	v_and_b32_e32 v35, exec_lo, v4
	v_lshlrev_b32_e32 v5, 30, v34
	v_mov_b32_e32 v4, v1
	v_cmp_gt_i64_e32 vcc, 0, v[4:5]
	v_not_b32_e32 v4, v5
	v_ashrrev_i32_e32 v4, 31, v4
	v_and_b32_e32 v0, exec_hi, v0
	v_xor_b32_e32 v5, vcc_hi, v4
	v_xor_b32_e32 v4, vcc_lo, v4
	v_and_b32_e32 v0, v0, v5
	v_and_b32_e32 v35, v35, v4
	v_lshlrev_b32_e32 v5, 29, v34
	v_mov_b32_e32 v4, v1
	v_cmp_gt_i64_e32 vcc, 0, v[4:5]
	v_not_b32_e32 v4, v5
	v_ashrrev_i32_e32 v4, 31, v4
	v_xor_b32_e32 v5, vcc_hi, v4
	v_xor_b32_e32 v4, vcc_lo, v4
	v_and_b32_e32 v0, v0, v5
	v_and_b32_e32 v35, v35, v4
	v_lshlrev_b32_e32 v5, 28, v34
	v_mov_b32_e32 v4, v1
	v_cmp_gt_i64_e32 vcc, 0, v[4:5]
	v_not_b32_e32 v4, v5
	v_ashrrev_i32_e32 v4, 31, v4
	;; [unrolled: 9-line block ×6, first 2 shown]
	v_xor_b32_e32 v5, vcc_hi, v4
	v_xor_b32_e32 v4, vcc_lo, v4
	ds_read_b32 v32, v36 offset:64
	v_and_b32_e32 v4, v35, v4
	v_and_b32_e32 v5, v0, v5
	v_mbcnt_lo_u32_b32 v0, v4, 0
	v_mbcnt_hi_u32_b32 v34, v5, v0
	v_cmp_eq_u32_e32 vcc, 0, v34
	v_cmp_ne_u64_e64 s[0:1], 0, v[4:5]
	s_and_b64 s[4:5], s[0:1], vcc
	; wave barrier
	s_and_saveexec_b64 s[0:1], s[4:5]
	s_cbranch_execz .LBB1148_97
; %bb.96:
	v_bcnt_u32_b32 v0, v4, 0
	v_bcnt_u32_b32 v0, v5, v0
	s_waitcnt lgkmcnt(0)
	v_add_u32_e32 v0, v32, v0
	ds_write_b32 v36, v0 offset:64
.LBB1148_97:
	s_or_b64 exec, exec, s[0:1]
	s_waitcnt vmcnt(0)
	v_lshrrev_b32_e32 v0, s20, v14
	v_and_b32_e32 v37, s14, v0
	v_lshl_add_u32 v0, v37, 4, v37
	v_add_lshl_u32 v38, v25, v0, 2
	v_and_b32_e32 v0, 1, v37
	v_lshl_add_u64 v[4:5], v[0:1], 0, -1
	v_cmp_ne_u32_e32 vcc, 0, v0
	; wave barrier
	s_nop 1
	v_xor_b32_e32 v4, vcc_lo, v4
	v_xor_b32_e32 v0, vcc_hi, v5
	v_and_b32_e32 v25, exec_lo, v4
	v_lshlrev_b32_e32 v5, 30, v37
	v_mov_b32_e32 v4, v1
	v_cmp_gt_i64_e32 vcc, 0, v[4:5]
	v_not_b32_e32 v4, v5
	v_ashrrev_i32_e32 v4, 31, v4
	v_and_b32_e32 v0, exec_hi, v0
	v_xor_b32_e32 v5, vcc_hi, v4
	v_xor_b32_e32 v4, vcc_lo, v4
	v_and_b32_e32 v0, v0, v5
	v_and_b32_e32 v25, v25, v4
	v_lshlrev_b32_e32 v5, 29, v37
	v_mov_b32_e32 v4, v1
	v_cmp_gt_i64_e32 vcc, 0, v[4:5]
	v_not_b32_e32 v4, v5
	v_ashrrev_i32_e32 v4, 31, v4
	v_xor_b32_e32 v5, vcc_hi, v4
	v_xor_b32_e32 v4, vcc_lo, v4
	v_and_b32_e32 v0, v0, v5
	v_and_b32_e32 v25, v25, v4
	v_lshlrev_b32_e32 v5, 28, v37
	v_mov_b32_e32 v4, v1
	v_cmp_gt_i64_e32 vcc, 0, v[4:5]
	v_not_b32_e32 v4, v5
	v_ashrrev_i32_e32 v4, 31, v4
	;; [unrolled: 9-line block ×5, first 2 shown]
	v_xor_b32_e32 v5, vcc_hi, v4
	v_xor_b32_e32 v4, vcc_lo, v4
	v_and_b32_e32 v0, v0, v5
	v_lshlrev_b32_e32 v5, 24, v37
	v_and_b32_e32 v25, v25, v4
	v_mov_b32_e32 v4, v1
	v_not_b32_e32 v1, v5
	v_cmp_gt_i64_e32 vcc, 0, v[4:5]
	v_ashrrev_i32_e32 v1, 31, v1
	ds_read_b32 v35, v38 offset:64
	v_xor_b32_e32 v4, vcc_hi, v1
	v_xor_b32_e32 v5, vcc_lo, v1
	v_and_b32_e32 v1, v0, v4
	v_and_b32_e32 v0, v25, v5
	v_mbcnt_lo_u32_b32 v4, v0, 0
	v_mbcnt_hi_u32_b32 v37, v1, v4
	v_cmp_eq_u32_e32 vcc, 0, v37
	v_cmp_ne_u64_e64 s[0:1], 0, v[0:1]
	v_add_u32_e32 v39, 64, v7
	s_and_b64 s[4:5], s[0:1], vcc
	; wave barrier
	s_and_saveexec_b64 s[0:1], s[4:5]
	s_cbranch_execz .LBB1148_99
; %bb.98:
	v_bcnt_u32_b32 v0, v0, 0
	v_bcnt_u32_b32 v0, v1, v0
	s_waitcnt lgkmcnt(0)
	v_add_u32_e32 v0, v35, v0
	ds_write_b32 v38, v0 offset:64
.LBB1148_99:
	s_or_b64 exec, exec, s[0:1]
	; wave barrier
	s_waitcnt lgkmcnt(0)
	s_barrier
	ds_read2_b32 v[4:5], v7 offset0:16 offset1:17
	ds_read2_b32 v[0:1], v39 offset0:2 offset1:3
	ds_read_b32 v25, v39 offset:16
	v_cmp_lt_u32_e64 s[8:9], 31, v6
	s_waitcnt lgkmcnt(1)
	v_add3_u32 v40, v5, v4, v0
	s_waitcnt lgkmcnt(0)
	v_add3_u32 v25, v40, v1, v25
	v_and_b32_e32 v40, 15, v6
	v_cmp_eq_u32_e32 vcc, 0, v40
	v_mov_b32_dpp v41, v25 row_shr:1 row_mask:0xf bank_mask:0xf
	v_cmp_lt_u32_e64 s[0:1], 1, v40
	v_cndmask_b32_e64 v41, v41, 0, vcc
	v_add_u32_e32 v25, v41, v25
	v_cmp_lt_u32_e64 s[6:7], 3, v40
	v_cmp_lt_u32_e64 s[4:5], 7, v40
	v_mov_b32_dpp v41, v25 row_shr:2 row_mask:0xf bank_mask:0xf
	v_cndmask_b32_e64 v41, 0, v41, s[0:1]
	v_add_u32_e32 v25, v25, v41
	s_nop 1
	v_mov_b32_dpp v41, v25 row_shr:4 row_mask:0xf bank_mask:0xf
	v_cndmask_b32_e64 v41, 0, v41, s[6:7]
	v_add_u32_e32 v25, v25, v41
	s_nop 1
	v_mov_b32_dpp v41, v25 row_shr:8 row_mask:0xf bank_mask:0xf
	v_cndmask_b32_e64 v40, 0, v41, s[4:5]
	v_add_u32_e32 v25, v25, v40
	v_bfe_i32 v41, v6, 4, 1
	s_nop 0
	v_mov_b32_dpp v40, v25 row_bcast:15 row_mask:0xf bank_mask:0xf
	v_and_b32_e32 v40, v41, v40
	v_add_u32_e32 v25, v25, v40
	v_lshrrev_b32_e32 v41, 6, v2
	s_nop 0
	v_mov_b32_dpp v40, v25 row_bcast:31 row_mask:0xf bank_mask:0xf
	v_cndmask_b32_e64 v40, 0, v40, s[8:9]
	v_add_u32_e32 v40, v25, v40
	v_and_b32_e32 v25, 63, v2
	v_cmp_eq_u32_e64 s[8:9], 63, v25
	s_and_saveexec_b64 s[12:13], s[8:9]
	s_cbranch_execz .LBB1148_101
; %bb.100:
	v_lshlrev_b32_e32 v25, 2, v41
	ds_write_b32 v25, v40
.LBB1148_101:
	s_or_b64 exec, exec, s[12:13]
	v_cmp_gt_u32_e64 s[8:9], 16, v2
	v_lshlrev_b32_e32 v25, 2, v2
	s_waitcnt lgkmcnt(0)
	s_barrier
	s_and_saveexec_b64 s[12:13], s[8:9]
	s_cbranch_execz .LBB1148_103
; %bb.102:
	ds_read_b32 v42, v25
	s_waitcnt lgkmcnt(0)
	s_nop 0
	v_mov_b32_dpp v43, v42 row_shr:1 row_mask:0xf bank_mask:0xf
	v_cndmask_b32_e64 v43, v43, 0, vcc
	v_add_u32_e32 v42, v43, v42
	s_nop 1
	v_mov_b32_dpp v43, v42 row_shr:2 row_mask:0xf bank_mask:0xf
	v_cndmask_b32_e64 v43, 0, v43, s[0:1]
	v_add_u32_e32 v42, v42, v43
	s_nop 1
	v_mov_b32_dpp v43, v42 row_shr:4 row_mask:0xf bank_mask:0xf
	v_cndmask_b32_e64 v43, 0, v43, s[6:7]
	;; [unrolled: 4-line block ×3, first 2 shown]
	v_add_u32_e32 v42, v42, v43
	ds_write_b32 v25, v42
.LBB1148_103:
	s_or_b64 exec, exec, s[12:13]
	v_cmp_lt_u32_e32 vcc, 63, v2
	v_mov_b32_e32 v42, 0
	s_waitcnt lgkmcnt(0)
	s_barrier
	s_and_saveexec_b64 s[0:1], vcc
	s_cbranch_execz .LBB1148_105
; %bb.104:
	v_lshl_add_u32 v41, v41, 2, -4
	ds_read_b32 v42, v41
.LBB1148_105:
	s_or_b64 exec, exec, s[0:1]
	v_add_u32_e32 v41, -1, v6
	v_and_b32_e32 v43, 64, v6
	v_cmp_lt_i32_e32 vcc, v41, v43
	s_waitcnt lgkmcnt(0)
	v_add_u32_e32 v40, v42, v40
	s_movk_i32 s0, 0x100
	v_cndmask_b32_e32 v41, v41, v6, vcc
	v_lshlrev_b32_e32 v41, 2, v41
	ds_bpermute_b32 v40, v41, v40
	v_cmp_eq_u32_e32 vcc, 0, v6
	v_cmp_gt_u32_e64 s[0:1], s0, v2
	s_waitcnt lgkmcnt(0)
	v_cndmask_b32_e32 v6, v40, v42, vcc
	v_cmp_ne_u32_e32 vcc, 0, v2
	s_nop 1
	v_cndmask_b32_e32 v6, 0, v6, vcc
	v_add_u32_e32 v4, v6, v4
	v_add_u32_e32 v5, v4, v5
	;; [unrolled: 1-line block ×4, first 2 shown]
	ds_write2_b32 v7, v6, v4 offset0:16 offset1:17
	ds_write2_b32 v39, v5, v0 offset0:2 offset1:3
	ds_write_b32 v39, v1 offset:16
	s_waitcnt lgkmcnt(0)
	s_barrier
	ds_read_b32 v43, v19 offset:64
	ds_read_b32 v39, v20 offset:64
	;; [unrolled: 1-line block ×8, first 2 shown]
                                        ; implicit-def: $vgpr19
                                        ; implicit-def: $vgpr20
	s_and_saveexec_b64 s[4:5], s[0:1]
	s_cbranch_execz .LBB1148_109
; %bb.106:
	v_mul_u32_u24_e32 v0, 17, v2
	v_lshlrev_b32_e32 v1, 2, v0
	ds_read_b32 v19, v1 offset:64
	s_movk_i32 s6, 0xff
	v_cmp_ne_u32_e32 vcc, s6, v2
	v_mov_b32_e32 v0, 0x2000
	s_and_saveexec_b64 s[6:7], vcc
	s_cbranch_execz .LBB1148_108
; %bb.107:
	ds_read_b32 v0, v1 offset:132
.LBB1148_108:
	s_or_b64 exec, exec, s[6:7]
	s_waitcnt lgkmcnt(0)
	v_sub_u32_e32 v20, v0, v19
.LBB1148_109:
	s_or_b64 exec, exec, s[4:5]
	s_waitcnt lgkmcnt(0)
	s_barrier
	s_and_saveexec_b64 s[4:5], s[0:1]
	s_cbranch_execz .LBB1148_119
; %bb.110:
	v_lshl_or_b32 v4, s2, 8, v2
	v_mov_b32_e32 v5, 0
	v_lshl_add_u64 v[0:1], v[4:5], 2, s[28:29]
	v_or_b32_e32 v4, 2.0, v20
	s_mov_b64 s[6:7], 0
	s_brev_b32 s15, 1
	s_mov_b32 s21, s2
	v_mov_b32_e32 v33, 0
	global_store_dword v[0:1], v4, off sc1
                                        ; implicit-def: $sgpr8_sgpr9
	s_branch .LBB1148_113
.LBB1148_111:                           ;   in Loop: Header=BB1148_113 Depth=1
	s_or_b64 exec, exec, s[12:13]
.LBB1148_112:                           ;   in Loop: Header=BB1148_113 Depth=1
	s_or_b64 exec, exec, s[8:9]
	v_and_b32_e32 v6, 0x3fffffff, v36
	v_add_u32_e32 v33, v6, v33
	v_cmp_eq_u32_e64 s[8:9], s15, v4
	s_and_b64 s[12:13], exec, s[8:9]
	s_or_b64 s[6:7], s[12:13], s[6:7]
	s_andn2_b64 exec, exec, s[6:7]
	s_cbranch_execz .LBB1148_118
.LBB1148_113:                           ; =>This Loop Header: Depth=1
                                        ;     Child Loop BB1148_116 Depth 2
	s_or_b64 s[8:9], s[8:9], exec
	s_cmp_eq_u32 s21, 0
	s_cbranch_scc1 .LBB1148_117
; %bb.114:                              ;   in Loop: Header=BB1148_113 Depth=1
	s_add_i32 s21, s21, -1
	v_lshl_or_b32 v4, s21, 8, v2
	v_lshl_add_u64 v[6:7], v[4:5], 2, s[28:29]
	global_load_dword v36, v[6:7], off sc1
	s_waitcnt vmcnt(0)
	v_and_b32_e32 v4, -2.0, v36
	v_cmp_eq_u32_e32 vcc, 0, v4
	s_and_saveexec_b64 s[8:9], vcc
	s_cbranch_execz .LBB1148_112
; %bb.115:                              ;   in Loop: Header=BB1148_113 Depth=1
	s_mov_b64 s[12:13], 0
.LBB1148_116:                           ;   Parent Loop BB1148_113 Depth=1
                                        ; =>  This Inner Loop Header: Depth=2
	global_load_dword v36, v[6:7], off sc1
	s_waitcnt vmcnt(0)
	v_and_b32_e32 v4, -2.0, v36
	v_cmp_ne_u32_e32 vcc, 0, v4
	s_or_b64 s[12:13], vcc, s[12:13]
	s_andn2_b64 exec, exec, s[12:13]
	s_cbranch_execnz .LBB1148_116
	s_branch .LBB1148_111
.LBB1148_117:                           ;   in Loop: Header=BB1148_113 Depth=1
                                        ; implicit-def: $sgpr21
	s_and_b64 s[12:13], exec, s[8:9]
	s_or_b64 s[6:7], s[12:13], s[6:7]
	s_andn2_b64 exec, exec, s[6:7]
	s_cbranch_execnz .LBB1148_113
.LBB1148_118:
	s_or_b64 exec, exec, s[6:7]
	v_add_u32_e32 v4, v33, v20
	v_or_b32_e32 v4, 0x80000000, v4
	global_store_dword v[0:1], v4, off sc1
	global_load_dword v0, v25, s[16:17]
	v_sub_u32_e32 v1, v33, v19
	s_waitcnt vmcnt(0)
	v_add_u32_e32 v0, v1, v0
	ds_write_b32 v25, v0
.LBB1148_119:
	s_or_b64 exec, exec, s[4:5]
	v_add_u32_e32 v0, v37, v35
	v_add_u32_e32 v1, v34, v32
	;; [unrolled: 1-line block ×8, first 2 shown]
	s_movk_i32 s8, 0x400
	v_add_u32_e32 v5, 0x400, v25
	v_add_lshl_u32 v6, v0, v27, 2
	v_add3_u32 v7, v37, v27, v35
	v_add_lshl_u32 v15, v1, v23, 2
	v_add3_u32 v23, v34, v23, v32
	;; [unrolled: 2-line block ×7, first 2 shown]
	v_lshlrev_b32_e32 v17, 2, v4
	s_mov_b64 s[4:5], -1
	s_mov_b32 s9, 0
	s_mov_b32 s12, 0
	s_movk_i32 s13, 0x1000
	s_movk_i32 s15, 0x800
	;; [unrolled: 1-line block ×3, first 2 shown]
	v_mov_b32_e32 v1, 0
	v_mov_b32_e32 v31, v2
	s_branch .LBB1148_121
.LBB1148_120:                           ;   in Loop: Header=BB1148_121 Depth=1
	s_or_b64 exec, exec, s[6:7]
	s_waitcnt lgkmcnt(0)
	s_barrier
	ds_read_b32 v36, v25 offset:1024
	ds_read2st64_b32 v[32:33], v5 offset0:16 offset1:32
	s_xor_b64 s[6:7], s[4:5], -1
	s_addk_i32 s9, 0xc000
	s_addk_i32 s12, 0xf000
	s_waitcnt lgkmcnt(1)
	v_lshrrev_b32_e32 v0, s20, v36
	v_and_b32_e32 v0, s14, v0
	v_lshlrev_b32_e32 v0, 2, v0
	s_waitcnt lgkmcnt(0)
	v_lshrrev_b32_e32 v34, s20, v32
	v_and_b32_e32 v34, s14, v34
	v_lshrrev_b32_e32 v35, s20, v33
	ds_read_b32 v0, v0
	v_lshlrev_b32_e32 v34, 2, v34
	v_and_b32_e32 v35, s14, v35
	v_lshlrev_b32_e32 v35, 2, v35
	ds_read_b32 v37, v34
	ds_read_b32 v38, v35
	ds_read_b32 v39, v5 offset:12288
	s_waitcnt lgkmcnt(3)
	v_add_u32_e32 v0, v31, v0
	v_lshl_add_u64 v[34:35], v[0:1], 2, s[26:27]
	s_waitcnt lgkmcnt(2)
	v_add3_u32 v0, v31, v37, s8
	global_store_dword v[34:35], v36, off
	v_lshl_add_u64 v[34:35], v[0:1], 2, s[26:27]
	s_waitcnt lgkmcnt(0)
	v_lshrrev_b32_e32 v0, s20, v39
	v_and_b32_e32 v0, s14, v0
	v_lshlrev_b32_e32 v0, 2, v0
	ds_read_b32 v36, v0
	v_add3_u32 v0, v31, v38, s15
	global_store_dword v[34:35], v32, off
	v_lshl_add_u64 v[34:35], v[0:1], 2, s[26:27]
	global_store_dword v[34:35], v33, off
	s_waitcnt lgkmcnt(0)
	v_add3_u32 v0, v31, v36, s16
	v_lshl_add_u64 v[32:33], v[0:1], 2, s[26:27]
	v_add_u32_e32 v31, 0x1000, v31
	s_mov_b64 s[4:5], 0
	s_and_b64 vcc, exec, s[6:7]
	global_store_dword v[32:33], v39, off
	s_barrier
	s_cbranch_vccnz .LBB1148_137
.LBB1148_121:                           ; =>This Inner Loop Header: Depth=1
	v_add_u32_e32 v0, s12, v4
	v_cmp_gt_u32_e32 vcc, s13, v0
	s_and_saveexec_b64 s[6:7], vcc
	s_cbranch_execz .LBB1148_123
; %bb.122:                              ;   in Loop: Header=BB1148_121 Depth=1
	v_add_u32_e32 v0, s9, v17
	ds_write_b32 v0, v3 offset:1024
.LBB1148_123:                           ;   in Loop: Header=BB1148_121 Depth=1
	s_or_b64 exec, exec, s[6:7]
	v_add_u32_e32 v0, s12, v16
	v_cmp_gt_u32_e32 vcc, s13, v0
	s_and_saveexec_b64 s[6:7], vcc
	s_cbranch_execz .LBB1148_125
; %bb.124:                              ;   in Loop: Header=BB1148_121 Depth=1
	v_add_u32_e32 v0, s9, v21
	ds_write_b32 v0, v8 offset:1024
.LBB1148_125:                           ;   in Loop: Header=BB1148_121 Depth=1
	s_or_b64 exec, exec, s[6:7]
	;; [unrolled: 9-line block ×7, first 2 shown]
	v_add_u32_e32 v0, s12, v7
	v_cmp_gt_u32_e32 vcc, s13, v0
	s_and_saveexec_b64 s[6:7], vcc
	s_cbranch_execz .LBB1148_120
; %bb.136:                              ;   in Loop: Header=BB1148_121 Depth=1
	v_add_u32_e32 v0, s9, v6
	ds_write_b32 v0, v14 offset:1024
	s_branch .LBB1148_120
.LBB1148_137:
	s_add_i32 s3, s3, -1
	s_cmp_eq_u32 s3, s2
	s_cselect_b64 s[2:3], -1, 0
	s_and_b64 s[2:3], s[0:1], s[2:3]
                                        ; implicit-def: $vgpr4
	s_and_saveexec_b64 s[0:1], s[2:3]
; %bb.138:
	v_add_u32_e32 v4, v19, v20
	s_or_b64 s[10:11], s[10:11], exec
; %bb.139:
	s_or_b64 exec, exec, s[0:1]
.LBB1148_140:
	s_and_saveexec_b64 s[0:1], s[10:11]
	s_cbranch_execnz .LBB1148_142
; %bb.141:
	s_endpgm
.LBB1148_142:
	v_lshlrev_b32_e32 v0, 2, v2
	ds_read_b32 v5, v0
	v_mov_b32_e32 v0, s18
	v_mov_b32_e32 v1, s19
	;; [unrolled: 1-line block ×3, first 2 shown]
	v_lshl_add_u64 v[0:1], v[2:3], 2, v[0:1]
	s_waitcnt lgkmcnt(0)
	v_add_u32_e32 v2, v5, v4
	global_store_dword v[0:1], v2, off
	s_endpgm
	.section	.rodata,"a",@progbits
	.p2align	6, 0x0
	.amdhsa_kernel _ZN7rocprim17ROCPRIM_400000_NS6detail17trampoline_kernelINS0_14default_configENS1_35radix_sort_onesweep_config_selectorIjNS0_10empty_typeEEEZZNS1_29radix_sort_onesweep_iterationIS3_Lb0EN6thrust23THRUST_200600_302600_NS6detail15normal_iteratorINS9_10device_ptrIjEEEESE_PS5_SF_jNS0_19identity_decomposerENS1_16block_id_wrapperIjLb0EEEEE10hipError_tT1_PNSt15iterator_traitsISK_E10value_typeET2_T3_PNSL_ISQ_E10value_typeET4_T5_PSV_SW_PNS1_23onesweep_lookback_stateEbbT6_jjT7_P12ihipStream_tbENKUlT_T0_SK_SP_E_clIPjSE_SF_SF_EEDaS13_S14_SK_SP_EUlS13_E_NS1_11comp_targetILNS1_3genE5ELNS1_11target_archE942ELNS1_3gpuE9ELNS1_3repE0EEENS1_47radix_sort_onesweep_sort_config_static_selectorELNS0_4arch9wavefront6targetE1EEEvSK_
		.amdhsa_group_segment_fixed_size 20552
		.amdhsa_private_segment_fixed_size 0
		.amdhsa_kernarg_size 344
		.amdhsa_user_sgpr_count 2
		.amdhsa_user_sgpr_dispatch_ptr 0
		.amdhsa_user_sgpr_queue_ptr 0
		.amdhsa_user_sgpr_kernarg_segment_ptr 1
		.amdhsa_user_sgpr_dispatch_id 0
		.amdhsa_user_sgpr_kernarg_preload_length 0
		.amdhsa_user_sgpr_kernarg_preload_offset 0
		.amdhsa_user_sgpr_private_segment_size 0
		.amdhsa_uses_dynamic_stack 0
		.amdhsa_enable_private_segment 0
		.amdhsa_system_sgpr_workgroup_id_x 1
		.amdhsa_system_sgpr_workgroup_id_y 0
		.amdhsa_system_sgpr_workgroup_id_z 0
		.amdhsa_system_sgpr_workgroup_info 0
		.amdhsa_system_vgpr_workitem_id 2
		.amdhsa_next_free_vgpr 46
		.amdhsa_next_free_sgpr 30
		.amdhsa_accum_offset 48
		.amdhsa_reserve_vcc 1
		.amdhsa_float_round_mode_32 0
		.amdhsa_float_round_mode_16_64 0
		.amdhsa_float_denorm_mode_32 3
		.amdhsa_float_denorm_mode_16_64 3
		.amdhsa_dx10_clamp 1
		.amdhsa_ieee_mode 1
		.amdhsa_fp16_overflow 0
		.amdhsa_tg_split 0
		.amdhsa_exception_fp_ieee_invalid_op 0
		.amdhsa_exception_fp_denorm_src 0
		.amdhsa_exception_fp_ieee_div_zero 0
		.amdhsa_exception_fp_ieee_overflow 0
		.amdhsa_exception_fp_ieee_underflow 0
		.amdhsa_exception_fp_ieee_inexact 0
		.amdhsa_exception_int_div_zero 0
	.end_amdhsa_kernel
	.section	.text._ZN7rocprim17ROCPRIM_400000_NS6detail17trampoline_kernelINS0_14default_configENS1_35radix_sort_onesweep_config_selectorIjNS0_10empty_typeEEEZZNS1_29radix_sort_onesweep_iterationIS3_Lb0EN6thrust23THRUST_200600_302600_NS6detail15normal_iteratorINS9_10device_ptrIjEEEESE_PS5_SF_jNS0_19identity_decomposerENS1_16block_id_wrapperIjLb0EEEEE10hipError_tT1_PNSt15iterator_traitsISK_E10value_typeET2_T3_PNSL_ISQ_E10value_typeET4_T5_PSV_SW_PNS1_23onesweep_lookback_stateEbbT6_jjT7_P12ihipStream_tbENKUlT_T0_SK_SP_E_clIPjSE_SF_SF_EEDaS13_S14_SK_SP_EUlS13_E_NS1_11comp_targetILNS1_3genE5ELNS1_11target_archE942ELNS1_3gpuE9ELNS1_3repE0EEENS1_47radix_sort_onesweep_sort_config_static_selectorELNS0_4arch9wavefront6targetE1EEEvSK_,"axG",@progbits,_ZN7rocprim17ROCPRIM_400000_NS6detail17trampoline_kernelINS0_14default_configENS1_35radix_sort_onesweep_config_selectorIjNS0_10empty_typeEEEZZNS1_29radix_sort_onesweep_iterationIS3_Lb0EN6thrust23THRUST_200600_302600_NS6detail15normal_iteratorINS9_10device_ptrIjEEEESE_PS5_SF_jNS0_19identity_decomposerENS1_16block_id_wrapperIjLb0EEEEE10hipError_tT1_PNSt15iterator_traitsISK_E10value_typeET2_T3_PNSL_ISQ_E10value_typeET4_T5_PSV_SW_PNS1_23onesweep_lookback_stateEbbT6_jjT7_P12ihipStream_tbENKUlT_T0_SK_SP_E_clIPjSE_SF_SF_EEDaS13_S14_SK_SP_EUlS13_E_NS1_11comp_targetILNS1_3genE5ELNS1_11target_archE942ELNS1_3gpuE9ELNS1_3repE0EEENS1_47radix_sort_onesweep_sort_config_static_selectorELNS0_4arch9wavefront6targetE1EEEvSK_,comdat
.Lfunc_end1148:
	.size	_ZN7rocprim17ROCPRIM_400000_NS6detail17trampoline_kernelINS0_14default_configENS1_35radix_sort_onesweep_config_selectorIjNS0_10empty_typeEEEZZNS1_29radix_sort_onesweep_iterationIS3_Lb0EN6thrust23THRUST_200600_302600_NS6detail15normal_iteratorINS9_10device_ptrIjEEEESE_PS5_SF_jNS0_19identity_decomposerENS1_16block_id_wrapperIjLb0EEEEE10hipError_tT1_PNSt15iterator_traitsISK_E10value_typeET2_T3_PNSL_ISQ_E10value_typeET4_T5_PSV_SW_PNS1_23onesweep_lookback_stateEbbT6_jjT7_P12ihipStream_tbENKUlT_T0_SK_SP_E_clIPjSE_SF_SF_EEDaS13_S14_SK_SP_EUlS13_E_NS1_11comp_targetILNS1_3genE5ELNS1_11target_archE942ELNS1_3gpuE9ELNS1_3repE0EEENS1_47radix_sort_onesweep_sort_config_static_selectorELNS0_4arch9wavefront6targetE1EEEvSK_, .Lfunc_end1148-_ZN7rocprim17ROCPRIM_400000_NS6detail17trampoline_kernelINS0_14default_configENS1_35radix_sort_onesweep_config_selectorIjNS0_10empty_typeEEEZZNS1_29radix_sort_onesweep_iterationIS3_Lb0EN6thrust23THRUST_200600_302600_NS6detail15normal_iteratorINS9_10device_ptrIjEEEESE_PS5_SF_jNS0_19identity_decomposerENS1_16block_id_wrapperIjLb0EEEEE10hipError_tT1_PNSt15iterator_traitsISK_E10value_typeET2_T3_PNSL_ISQ_E10value_typeET4_T5_PSV_SW_PNS1_23onesweep_lookback_stateEbbT6_jjT7_P12ihipStream_tbENKUlT_T0_SK_SP_E_clIPjSE_SF_SF_EEDaS13_S14_SK_SP_EUlS13_E_NS1_11comp_targetILNS1_3genE5ELNS1_11target_archE942ELNS1_3gpuE9ELNS1_3repE0EEENS1_47radix_sort_onesweep_sort_config_static_selectorELNS0_4arch9wavefront6targetE1EEEvSK_
                                        ; -- End function
	.section	.AMDGPU.csdata,"",@progbits
; Kernel info:
; codeLenInByte = 11088
; NumSgprs: 36
; NumVgprs: 46
; NumAgprs: 0
; TotalNumVgprs: 46
; ScratchSize: 0
; MemoryBound: 0
; FloatMode: 240
; IeeeMode: 1
; LDSByteSize: 20552 bytes/workgroup (compile time only)
; SGPRBlocks: 4
; VGPRBlocks: 5
; NumSGPRsForWavesPerEU: 36
; NumVGPRsForWavesPerEU: 46
; AccumOffset: 48
; Occupancy: 8
; WaveLimiterHint : 1
; COMPUTE_PGM_RSRC2:SCRATCH_EN: 0
; COMPUTE_PGM_RSRC2:USER_SGPR: 2
; COMPUTE_PGM_RSRC2:TRAP_HANDLER: 0
; COMPUTE_PGM_RSRC2:TGID_X_EN: 1
; COMPUTE_PGM_RSRC2:TGID_Y_EN: 0
; COMPUTE_PGM_RSRC2:TGID_Z_EN: 0
; COMPUTE_PGM_RSRC2:TIDIG_COMP_CNT: 2
; COMPUTE_PGM_RSRC3_GFX90A:ACCUM_OFFSET: 11
; COMPUTE_PGM_RSRC3_GFX90A:TG_SPLIT: 0
	.section	.text._ZN7rocprim17ROCPRIM_400000_NS6detail17trampoline_kernelINS0_14default_configENS1_35radix_sort_onesweep_config_selectorIjNS0_10empty_typeEEEZZNS1_29radix_sort_onesweep_iterationIS3_Lb0EN6thrust23THRUST_200600_302600_NS6detail15normal_iteratorINS9_10device_ptrIjEEEESE_PS5_SF_jNS0_19identity_decomposerENS1_16block_id_wrapperIjLb0EEEEE10hipError_tT1_PNSt15iterator_traitsISK_E10value_typeET2_T3_PNSL_ISQ_E10value_typeET4_T5_PSV_SW_PNS1_23onesweep_lookback_stateEbbT6_jjT7_P12ihipStream_tbENKUlT_T0_SK_SP_E_clIPjSE_SF_SF_EEDaS13_S14_SK_SP_EUlS13_E_NS1_11comp_targetILNS1_3genE2ELNS1_11target_archE906ELNS1_3gpuE6ELNS1_3repE0EEENS1_47radix_sort_onesweep_sort_config_static_selectorELNS0_4arch9wavefront6targetE1EEEvSK_,"axG",@progbits,_ZN7rocprim17ROCPRIM_400000_NS6detail17trampoline_kernelINS0_14default_configENS1_35radix_sort_onesweep_config_selectorIjNS0_10empty_typeEEEZZNS1_29radix_sort_onesweep_iterationIS3_Lb0EN6thrust23THRUST_200600_302600_NS6detail15normal_iteratorINS9_10device_ptrIjEEEESE_PS5_SF_jNS0_19identity_decomposerENS1_16block_id_wrapperIjLb0EEEEE10hipError_tT1_PNSt15iterator_traitsISK_E10value_typeET2_T3_PNSL_ISQ_E10value_typeET4_T5_PSV_SW_PNS1_23onesweep_lookback_stateEbbT6_jjT7_P12ihipStream_tbENKUlT_T0_SK_SP_E_clIPjSE_SF_SF_EEDaS13_S14_SK_SP_EUlS13_E_NS1_11comp_targetILNS1_3genE2ELNS1_11target_archE906ELNS1_3gpuE6ELNS1_3repE0EEENS1_47radix_sort_onesweep_sort_config_static_selectorELNS0_4arch9wavefront6targetE1EEEvSK_,comdat
	.protected	_ZN7rocprim17ROCPRIM_400000_NS6detail17trampoline_kernelINS0_14default_configENS1_35radix_sort_onesweep_config_selectorIjNS0_10empty_typeEEEZZNS1_29radix_sort_onesweep_iterationIS3_Lb0EN6thrust23THRUST_200600_302600_NS6detail15normal_iteratorINS9_10device_ptrIjEEEESE_PS5_SF_jNS0_19identity_decomposerENS1_16block_id_wrapperIjLb0EEEEE10hipError_tT1_PNSt15iterator_traitsISK_E10value_typeET2_T3_PNSL_ISQ_E10value_typeET4_T5_PSV_SW_PNS1_23onesweep_lookback_stateEbbT6_jjT7_P12ihipStream_tbENKUlT_T0_SK_SP_E_clIPjSE_SF_SF_EEDaS13_S14_SK_SP_EUlS13_E_NS1_11comp_targetILNS1_3genE2ELNS1_11target_archE906ELNS1_3gpuE6ELNS1_3repE0EEENS1_47radix_sort_onesweep_sort_config_static_selectorELNS0_4arch9wavefront6targetE1EEEvSK_ ; -- Begin function _ZN7rocprim17ROCPRIM_400000_NS6detail17trampoline_kernelINS0_14default_configENS1_35radix_sort_onesweep_config_selectorIjNS0_10empty_typeEEEZZNS1_29radix_sort_onesweep_iterationIS3_Lb0EN6thrust23THRUST_200600_302600_NS6detail15normal_iteratorINS9_10device_ptrIjEEEESE_PS5_SF_jNS0_19identity_decomposerENS1_16block_id_wrapperIjLb0EEEEE10hipError_tT1_PNSt15iterator_traitsISK_E10value_typeET2_T3_PNSL_ISQ_E10value_typeET4_T5_PSV_SW_PNS1_23onesweep_lookback_stateEbbT6_jjT7_P12ihipStream_tbENKUlT_T0_SK_SP_E_clIPjSE_SF_SF_EEDaS13_S14_SK_SP_EUlS13_E_NS1_11comp_targetILNS1_3genE2ELNS1_11target_archE906ELNS1_3gpuE6ELNS1_3repE0EEENS1_47radix_sort_onesweep_sort_config_static_selectorELNS0_4arch9wavefront6targetE1EEEvSK_
	.globl	_ZN7rocprim17ROCPRIM_400000_NS6detail17trampoline_kernelINS0_14default_configENS1_35radix_sort_onesweep_config_selectorIjNS0_10empty_typeEEEZZNS1_29radix_sort_onesweep_iterationIS3_Lb0EN6thrust23THRUST_200600_302600_NS6detail15normal_iteratorINS9_10device_ptrIjEEEESE_PS5_SF_jNS0_19identity_decomposerENS1_16block_id_wrapperIjLb0EEEEE10hipError_tT1_PNSt15iterator_traitsISK_E10value_typeET2_T3_PNSL_ISQ_E10value_typeET4_T5_PSV_SW_PNS1_23onesweep_lookback_stateEbbT6_jjT7_P12ihipStream_tbENKUlT_T0_SK_SP_E_clIPjSE_SF_SF_EEDaS13_S14_SK_SP_EUlS13_E_NS1_11comp_targetILNS1_3genE2ELNS1_11target_archE906ELNS1_3gpuE6ELNS1_3repE0EEENS1_47radix_sort_onesweep_sort_config_static_selectorELNS0_4arch9wavefront6targetE1EEEvSK_
	.p2align	8
	.type	_ZN7rocprim17ROCPRIM_400000_NS6detail17trampoline_kernelINS0_14default_configENS1_35radix_sort_onesweep_config_selectorIjNS0_10empty_typeEEEZZNS1_29radix_sort_onesweep_iterationIS3_Lb0EN6thrust23THRUST_200600_302600_NS6detail15normal_iteratorINS9_10device_ptrIjEEEESE_PS5_SF_jNS0_19identity_decomposerENS1_16block_id_wrapperIjLb0EEEEE10hipError_tT1_PNSt15iterator_traitsISK_E10value_typeET2_T3_PNSL_ISQ_E10value_typeET4_T5_PSV_SW_PNS1_23onesweep_lookback_stateEbbT6_jjT7_P12ihipStream_tbENKUlT_T0_SK_SP_E_clIPjSE_SF_SF_EEDaS13_S14_SK_SP_EUlS13_E_NS1_11comp_targetILNS1_3genE2ELNS1_11target_archE906ELNS1_3gpuE6ELNS1_3repE0EEENS1_47radix_sort_onesweep_sort_config_static_selectorELNS0_4arch9wavefront6targetE1EEEvSK_,@function
_ZN7rocprim17ROCPRIM_400000_NS6detail17trampoline_kernelINS0_14default_configENS1_35radix_sort_onesweep_config_selectorIjNS0_10empty_typeEEEZZNS1_29radix_sort_onesweep_iterationIS3_Lb0EN6thrust23THRUST_200600_302600_NS6detail15normal_iteratorINS9_10device_ptrIjEEEESE_PS5_SF_jNS0_19identity_decomposerENS1_16block_id_wrapperIjLb0EEEEE10hipError_tT1_PNSt15iterator_traitsISK_E10value_typeET2_T3_PNSL_ISQ_E10value_typeET4_T5_PSV_SW_PNS1_23onesweep_lookback_stateEbbT6_jjT7_P12ihipStream_tbENKUlT_T0_SK_SP_E_clIPjSE_SF_SF_EEDaS13_S14_SK_SP_EUlS13_E_NS1_11comp_targetILNS1_3genE2ELNS1_11target_archE906ELNS1_3gpuE6ELNS1_3repE0EEENS1_47radix_sort_onesweep_sort_config_static_selectorELNS0_4arch9wavefront6targetE1EEEvSK_: ; @_ZN7rocprim17ROCPRIM_400000_NS6detail17trampoline_kernelINS0_14default_configENS1_35radix_sort_onesweep_config_selectorIjNS0_10empty_typeEEEZZNS1_29radix_sort_onesweep_iterationIS3_Lb0EN6thrust23THRUST_200600_302600_NS6detail15normal_iteratorINS9_10device_ptrIjEEEESE_PS5_SF_jNS0_19identity_decomposerENS1_16block_id_wrapperIjLb0EEEEE10hipError_tT1_PNSt15iterator_traitsISK_E10value_typeET2_T3_PNSL_ISQ_E10value_typeET4_T5_PSV_SW_PNS1_23onesweep_lookback_stateEbbT6_jjT7_P12ihipStream_tbENKUlT_T0_SK_SP_E_clIPjSE_SF_SF_EEDaS13_S14_SK_SP_EUlS13_E_NS1_11comp_targetILNS1_3genE2ELNS1_11target_archE906ELNS1_3gpuE6ELNS1_3repE0EEENS1_47radix_sort_onesweep_sort_config_static_selectorELNS0_4arch9wavefront6targetE1EEEvSK_
; %bb.0:
	.section	.rodata,"a",@progbits
	.p2align	6, 0x0
	.amdhsa_kernel _ZN7rocprim17ROCPRIM_400000_NS6detail17trampoline_kernelINS0_14default_configENS1_35radix_sort_onesweep_config_selectorIjNS0_10empty_typeEEEZZNS1_29radix_sort_onesweep_iterationIS3_Lb0EN6thrust23THRUST_200600_302600_NS6detail15normal_iteratorINS9_10device_ptrIjEEEESE_PS5_SF_jNS0_19identity_decomposerENS1_16block_id_wrapperIjLb0EEEEE10hipError_tT1_PNSt15iterator_traitsISK_E10value_typeET2_T3_PNSL_ISQ_E10value_typeET4_T5_PSV_SW_PNS1_23onesweep_lookback_stateEbbT6_jjT7_P12ihipStream_tbENKUlT_T0_SK_SP_E_clIPjSE_SF_SF_EEDaS13_S14_SK_SP_EUlS13_E_NS1_11comp_targetILNS1_3genE2ELNS1_11target_archE906ELNS1_3gpuE6ELNS1_3repE0EEENS1_47radix_sort_onesweep_sort_config_static_selectorELNS0_4arch9wavefront6targetE1EEEvSK_
		.amdhsa_group_segment_fixed_size 0
		.amdhsa_private_segment_fixed_size 0
		.amdhsa_kernarg_size 88
		.amdhsa_user_sgpr_count 2
		.amdhsa_user_sgpr_dispatch_ptr 0
		.amdhsa_user_sgpr_queue_ptr 0
		.amdhsa_user_sgpr_kernarg_segment_ptr 1
		.amdhsa_user_sgpr_dispatch_id 0
		.amdhsa_user_sgpr_kernarg_preload_length 0
		.amdhsa_user_sgpr_kernarg_preload_offset 0
		.amdhsa_user_sgpr_private_segment_size 0
		.amdhsa_uses_dynamic_stack 0
		.amdhsa_enable_private_segment 0
		.amdhsa_system_sgpr_workgroup_id_x 1
		.amdhsa_system_sgpr_workgroup_id_y 0
		.amdhsa_system_sgpr_workgroup_id_z 0
		.amdhsa_system_sgpr_workgroup_info 0
		.amdhsa_system_vgpr_workitem_id 0
		.amdhsa_next_free_vgpr 1
		.amdhsa_next_free_sgpr 0
		.amdhsa_accum_offset 4
		.amdhsa_reserve_vcc 0
		.amdhsa_float_round_mode_32 0
		.amdhsa_float_round_mode_16_64 0
		.amdhsa_float_denorm_mode_32 3
		.amdhsa_float_denorm_mode_16_64 3
		.amdhsa_dx10_clamp 1
		.amdhsa_ieee_mode 1
		.amdhsa_fp16_overflow 0
		.amdhsa_tg_split 0
		.amdhsa_exception_fp_ieee_invalid_op 0
		.amdhsa_exception_fp_denorm_src 0
		.amdhsa_exception_fp_ieee_div_zero 0
		.amdhsa_exception_fp_ieee_overflow 0
		.amdhsa_exception_fp_ieee_underflow 0
		.amdhsa_exception_fp_ieee_inexact 0
		.amdhsa_exception_int_div_zero 0
	.end_amdhsa_kernel
	.section	.text._ZN7rocprim17ROCPRIM_400000_NS6detail17trampoline_kernelINS0_14default_configENS1_35radix_sort_onesweep_config_selectorIjNS0_10empty_typeEEEZZNS1_29radix_sort_onesweep_iterationIS3_Lb0EN6thrust23THRUST_200600_302600_NS6detail15normal_iteratorINS9_10device_ptrIjEEEESE_PS5_SF_jNS0_19identity_decomposerENS1_16block_id_wrapperIjLb0EEEEE10hipError_tT1_PNSt15iterator_traitsISK_E10value_typeET2_T3_PNSL_ISQ_E10value_typeET4_T5_PSV_SW_PNS1_23onesweep_lookback_stateEbbT6_jjT7_P12ihipStream_tbENKUlT_T0_SK_SP_E_clIPjSE_SF_SF_EEDaS13_S14_SK_SP_EUlS13_E_NS1_11comp_targetILNS1_3genE2ELNS1_11target_archE906ELNS1_3gpuE6ELNS1_3repE0EEENS1_47radix_sort_onesweep_sort_config_static_selectorELNS0_4arch9wavefront6targetE1EEEvSK_,"axG",@progbits,_ZN7rocprim17ROCPRIM_400000_NS6detail17trampoline_kernelINS0_14default_configENS1_35radix_sort_onesweep_config_selectorIjNS0_10empty_typeEEEZZNS1_29radix_sort_onesweep_iterationIS3_Lb0EN6thrust23THRUST_200600_302600_NS6detail15normal_iteratorINS9_10device_ptrIjEEEESE_PS5_SF_jNS0_19identity_decomposerENS1_16block_id_wrapperIjLb0EEEEE10hipError_tT1_PNSt15iterator_traitsISK_E10value_typeET2_T3_PNSL_ISQ_E10value_typeET4_T5_PSV_SW_PNS1_23onesweep_lookback_stateEbbT6_jjT7_P12ihipStream_tbENKUlT_T0_SK_SP_E_clIPjSE_SF_SF_EEDaS13_S14_SK_SP_EUlS13_E_NS1_11comp_targetILNS1_3genE2ELNS1_11target_archE906ELNS1_3gpuE6ELNS1_3repE0EEENS1_47radix_sort_onesweep_sort_config_static_selectorELNS0_4arch9wavefront6targetE1EEEvSK_,comdat
.Lfunc_end1149:
	.size	_ZN7rocprim17ROCPRIM_400000_NS6detail17trampoline_kernelINS0_14default_configENS1_35radix_sort_onesweep_config_selectorIjNS0_10empty_typeEEEZZNS1_29radix_sort_onesweep_iterationIS3_Lb0EN6thrust23THRUST_200600_302600_NS6detail15normal_iteratorINS9_10device_ptrIjEEEESE_PS5_SF_jNS0_19identity_decomposerENS1_16block_id_wrapperIjLb0EEEEE10hipError_tT1_PNSt15iterator_traitsISK_E10value_typeET2_T3_PNSL_ISQ_E10value_typeET4_T5_PSV_SW_PNS1_23onesweep_lookback_stateEbbT6_jjT7_P12ihipStream_tbENKUlT_T0_SK_SP_E_clIPjSE_SF_SF_EEDaS13_S14_SK_SP_EUlS13_E_NS1_11comp_targetILNS1_3genE2ELNS1_11target_archE906ELNS1_3gpuE6ELNS1_3repE0EEENS1_47radix_sort_onesweep_sort_config_static_selectorELNS0_4arch9wavefront6targetE1EEEvSK_, .Lfunc_end1149-_ZN7rocprim17ROCPRIM_400000_NS6detail17trampoline_kernelINS0_14default_configENS1_35radix_sort_onesweep_config_selectorIjNS0_10empty_typeEEEZZNS1_29radix_sort_onesweep_iterationIS3_Lb0EN6thrust23THRUST_200600_302600_NS6detail15normal_iteratorINS9_10device_ptrIjEEEESE_PS5_SF_jNS0_19identity_decomposerENS1_16block_id_wrapperIjLb0EEEEE10hipError_tT1_PNSt15iterator_traitsISK_E10value_typeET2_T3_PNSL_ISQ_E10value_typeET4_T5_PSV_SW_PNS1_23onesweep_lookback_stateEbbT6_jjT7_P12ihipStream_tbENKUlT_T0_SK_SP_E_clIPjSE_SF_SF_EEDaS13_S14_SK_SP_EUlS13_E_NS1_11comp_targetILNS1_3genE2ELNS1_11target_archE906ELNS1_3gpuE6ELNS1_3repE0EEENS1_47radix_sort_onesweep_sort_config_static_selectorELNS0_4arch9wavefront6targetE1EEEvSK_
                                        ; -- End function
	.section	.AMDGPU.csdata,"",@progbits
; Kernel info:
; codeLenInByte = 0
; NumSgprs: 6
; NumVgprs: 0
; NumAgprs: 0
; TotalNumVgprs: 0
; ScratchSize: 0
; MemoryBound: 0
; FloatMode: 240
; IeeeMode: 1
; LDSByteSize: 0 bytes/workgroup (compile time only)
; SGPRBlocks: 0
; VGPRBlocks: 0
; NumSGPRsForWavesPerEU: 6
; NumVGPRsForWavesPerEU: 1
; AccumOffset: 4
; Occupancy: 8
; WaveLimiterHint : 0
; COMPUTE_PGM_RSRC2:SCRATCH_EN: 0
; COMPUTE_PGM_RSRC2:USER_SGPR: 2
; COMPUTE_PGM_RSRC2:TRAP_HANDLER: 0
; COMPUTE_PGM_RSRC2:TGID_X_EN: 1
; COMPUTE_PGM_RSRC2:TGID_Y_EN: 0
; COMPUTE_PGM_RSRC2:TGID_Z_EN: 0
; COMPUTE_PGM_RSRC2:TIDIG_COMP_CNT: 0
; COMPUTE_PGM_RSRC3_GFX90A:ACCUM_OFFSET: 0
; COMPUTE_PGM_RSRC3_GFX90A:TG_SPLIT: 0
	.section	.text._ZN7rocprim17ROCPRIM_400000_NS6detail17trampoline_kernelINS0_14default_configENS1_35radix_sort_onesweep_config_selectorIjNS0_10empty_typeEEEZZNS1_29radix_sort_onesweep_iterationIS3_Lb0EN6thrust23THRUST_200600_302600_NS6detail15normal_iteratorINS9_10device_ptrIjEEEESE_PS5_SF_jNS0_19identity_decomposerENS1_16block_id_wrapperIjLb0EEEEE10hipError_tT1_PNSt15iterator_traitsISK_E10value_typeET2_T3_PNSL_ISQ_E10value_typeET4_T5_PSV_SW_PNS1_23onesweep_lookback_stateEbbT6_jjT7_P12ihipStream_tbENKUlT_T0_SK_SP_E_clIPjSE_SF_SF_EEDaS13_S14_SK_SP_EUlS13_E_NS1_11comp_targetILNS1_3genE4ELNS1_11target_archE910ELNS1_3gpuE8ELNS1_3repE0EEENS1_47radix_sort_onesweep_sort_config_static_selectorELNS0_4arch9wavefront6targetE1EEEvSK_,"axG",@progbits,_ZN7rocprim17ROCPRIM_400000_NS6detail17trampoline_kernelINS0_14default_configENS1_35radix_sort_onesweep_config_selectorIjNS0_10empty_typeEEEZZNS1_29radix_sort_onesweep_iterationIS3_Lb0EN6thrust23THRUST_200600_302600_NS6detail15normal_iteratorINS9_10device_ptrIjEEEESE_PS5_SF_jNS0_19identity_decomposerENS1_16block_id_wrapperIjLb0EEEEE10hipError_tT1_PNSt15iterator_traitsISK_E10value_typeET2_T3_PNSL_ISQ_E10value_typeET4_T5_PSV_SW_PNS1_23onesweep_lookback_stateEbbT6_jjT7_P12ihipStream_tbENKUlT_T0_SK_SP_E_clIPjSE_SF_SF_EEDaS13_S14_SK_SP_EUlS13_E_NS1_11comp_targetILNS1_3genE4ELNS1_11target_archE910ELNS1_3gpuE8ELNS1_3repE0EEENS1_47radix_sort_onesweep_sort_config_static_selectorELNS0_4arch9wavefront6targetE1EEEvSK_,comdat
	.protected	_ZN7rocprim17ROCPRIM_400000_NS6detail17trampoline_kernelINS0_14default_configENS1_35radix_sort_onesweep_config_selectorIjNS0_10empty_typeEEEZZNS1_29radix_sort_onesweep_iterationIS3_Lb0EN6thrust23THRUST_200600_302600_NS6detail15normal_iteratorINS9_10device_ptrIjEEEESE_PS5_SF_jNS0_19identity_decomposerENS1_16block_id_wrapperIjLb0EEEEE10hipError_tT1_PNSt15iterator_traitsISK_E10value_typeET2_T3_PNSL_ISQ_E10value_typeET4_T5_PSV_SW_PNS1_23onesweep_lookback_stateEbbT6_jjT7_P12ihipStream_tbENKUlT_T0_SK_SP_E_clIPjSE_SF_SF_EEDaS13_S14_SK_SP_EUlS13_E_NS1_11comp_targetILNS1_3genE4ELNS1_11target_archE910ELNS1_3gpuE8ELNS1_3repE0EEENS1_47radix_sort_onesweep_sort_config_static_selectorELNS0_4arch9wavefront6targetE1EEEvSK_ ; -- Begin function _ZN7rocprim17ROCPRIM_400000_NS6detail17trampoline_kernelINS0_14default_configENS1_35radix_sort_onesweep_config_selectorIjNS0_10empty_typeEEEZZNS1_29radix_sort_onesweep_iterationIS3_Lb0EN6thrust23THRUST_200600_302600_NS6detail15normal_iteratorINS9_10device_ptrIjEEEESE_PS5_SF_jNS0_19identity_decomposerENS1_16block_id_wrapperIjLb0EEEEE10hipError_tT1_PNSt15iterator_traitsISK_E10value_typeET2_T3_PNSL_ISQ_E10value_typeET4_T5_PSV_SW_PNS1_23onesweep_lookback_stateEbbT6_jjT7_P12ihipStream_tbENKUlT_T0_SK_SP_E_clIPjSE_SF_SF_EEDaS13_S14_SK_SP_EUlS13_E_NS1_11comp_targetILNS1_3genE4ELNS1_11target_archE910ELNS1_3gpuE8ELNS1_3repE0EEENS1_47radix_sort_onesweep_sort_config_static_selectorELNS0_4arch9wavefront6targetE1EEEvSK_
	.globl	_ZN7rocprim17ROCPRIM_400000_NS6detail17trampoline_kernelINS0_14default_configENS1_35radix_sort_onesweep_config_selectorIjNS0_10empty_typeEEEZZNS1_29radix_sort_onesweep_iterationIS3_Lb0EN6thrust23THRUST_200600_302600_NS6detail15normal_iteratorINS9_10device_ptrIjEEEESE_PS5_SF_jNS0_19identity_decomposerENS1_16block_id_wrapperIjLb0EEEEE10hipError_tT1_PNSt15iterator_traitsISK_E10value_typeET2_T3_PNSL_ISQ_E10value_typeET4_T5_PSV_SW_PNS1_23onesweep_lookback_stateEbbT6_jjT7_P12ihipStream_tbENKUlT_T0_SK_SP_E_clIPjSE_SF_SF_EEDaS13_S14_SK_SP_EUlS13_E_NS1_11comp_targetILNS1_3genE4ELNS1_11target_archE910ELNS1_3gpuE8ELNS1_3repE0EEENS1_47radix_sort_onesweep_sort_config_static_selectorELNS0_4arch9wavefront6targetE1EEEvSK_
	.p2align	8
	.type	_ZN7rocprim17ROCPRIM_400000_NS6detail17trampoline_kernelINS0_14default_configENS1_35radix_sort_onesweep_config_selectorIjNS0_10empty_typeEEEZZNS1_29radix_sort_onesweep_iterationIS3_Lb0EN6thrust23THRUST_200600_302600_NS6detail15normal_iteratorINS9_10device_ptrIjEEEESE_PS5_SF_jNS0_19identity_decomposerENS1_16block_id_wrapperIjLb0EEEEE10hipError_tT1_PNSt15iterator_traitsISK_E10value_typeET2_T3_PNSL_ISQ_E10value_typeET4_T5_PSV_SW_PNS1_23onesweep_lookback_stateEbbT6_jjT7_P12ihipStream_tbENKUlT_T0_SK_SP_E_clIPjSE_SF_SF_EEDaS13_S14_SK_SP_EUlS13_E_NS1_11comp_targetILNS1_3genE4ELNS1_11target_archE910ELNS1_3gpuE8ELNS1_3repE0EEENS1_47radix_sort_onesweep_sort_config_static_selectorELNS0_4arch9wavefront6targetE1EEEvSK_,@function
_ZN7rocprim17ROCPRIM_400000_NS6detail17trampoline_kernelINS0_14default_configENS1_35radix_sort_onesweep_config_selectorIjNS0_10empty_typeEEEZZNS1_29radix_sort_onesweep_iterationIS3_Lb0EN6thrust23THRUST_200600_302600_NS6detail15normal_iteratorINS9_10device_ptrIjEEEESE_PS5_SF_jNS0_19identity_decomposerENS1_16block_id_wrapperIjLb0EEEEE10hipError_tT1_PNSt15iterator_traitsISK_E10value_typeET2_T3_PNSL_ISQ_E10value_typeET4_T5_PSV_SW_PNS1_23onesweep_lookback_stateEbbT6_jjT7_P12ihipStream_tbENKUlT_T0_SK_SP_E_clIPjSE_SF_SF_EEDaS13_S14_SK_SP_EUlS13_E_NS1_11comp_targetILNS1_3genE4ELNS1_11target_archE910ELNS1_3gpuE8ELNS1_3repE0EEENS1_47radix_sort_onesweep_sort_config_static_selectorELNS0_4arch9wavefront6targetE1EEEvSK_: ; @_ZN7rocprim17ROCPRIM_400000_NS6detail17trampoline_kernelINS0_14default_configENS1_35radix_sort_onesweep_config_selectorIjNS0_10empty_typeEEEZZNS1_29radix_sort_onesweep_iterationIS3_Lb0EN6thrust23THRUST_200600_302600_NS6detail15normal_iteratorINS9_10device_ptrIjEEEESE_PS5_SF_jNS0_19identity_decomposerENS1_16block_id_wrapperIjLb0EEEEE10hipError_tT1_PNSt15iterator_traitsISK_E10value_typeET2_T3_PNSL_ISQ_E10value_typeET4_T5_PSV_SW_PNS1_23onesweep_lookback_stateEbbT6_jjT7_P12ihipStream_tbENKUlT_T0_SK_SP_E_clIPjSE_SF_SF_EEDaS13_S14_SK_SP_EUlS13_E_NS1_11comp_targetILNS1_3genE4ELNS1_11target_archE910ELNS1_3gpuE8ELNS1_3repE0EEENS1_47radix_sort_onesweep_sort_config_static_selectorELNS0_4arch9wavefront6targetE1EEEvSK_
; %bb.0:
	.section	.rodata,"a",@progbits
	.p2align	6, 0x0
	.amdhsa_kernel _ZN7rocprim17ROCPRIM_400000_NS6detail17trampoline_kernelINS0_14default_configENS1_35radix_sort_onesweep_config_selectorIjNS0_10empty_typeEEEZZNS1_29radix_sort_onesweep_iterationIS3_Lb0EN6thrust23THRUST_200600_302600_NS6detail15normal_iteratorINS9_10device_ptrIjEEEESE_PS5_SF_jNS0_19identity_decomposerENS1_16block_id_wrapperIjLb0EEEEE10hipError_tT1_PNSt15iterator_traitsISK_E10value_typeET2_T3_PNSL_ISQ_E10value_typeET4_T5_PSV_SW_PNS1_23onesweep_lookback_stateEbbT6_jjT7_P12ihipStream_tbENKUlT_T0_SK_SP_E_clIPjSE_SF_SF_EEDaS13_S14_SK_SP_EUlS13_E_NS1_11comp_targetILNS1_3genE4ELNS1_11target_archE910ELNS1_3gpuE8ELNS1_3repE0EEENS1_47radix_sort_onesweep_sort_config_static_selectorELNS0_4arch9wavefront6targetE1EEEvSK_
		.amdhsa_group_segment_fixed_size 0
		.amdhsa_private_segment_fixed_size 0
		.amdhsa_kernarg_size 88
		.amdhsa_user_sgpr_count 2
		.amdhsa_user_sgpr_dispatch_ptr 0
		.amdhsa_user_sgpr_queue_ptr 0
		.amdhsa_user_sgpr_kernarg_segment_ptr 1
		.amdhsa_user_sgpr_dispatch_id 0
		.amdhsa_user_sgpr_kernarg_preload_length 0
		.amdhsa_user_sgpr_kernarg_preload_offset 0
		.amdhsa_user_sgpr_private_segment_size 0
		.amdhsa_uses_dynamic_stack 0
		.amdhsa_enable_private_segment 0
		.amdhsa_system_sgpr_workgroup_id_x 1
		.amdhsa_system_sgpr_workgroup_id_y 0
		.amdhsa_system_sgpr_workgroup_id_z 0
		.amdhsa_system_sgpr_workgroup_info 0
		.amdhsa_system_vgpr_workitem_id 0
		.amdhsa_next_free_vgpr 1
		.amdhsa_next_free_sgpr 0
		.amdhsa_accum_offset 4
		.amdhsa_reserve_vcc 0
		.amdhsa_float_round_mode_32 0
		.amdhsa_float_round_mode_16_64 0
		.amdhsa_float_denorm_mode_32 3
		.amdhsa_float_denorm_mode_16_64 3
		.amdhsa_dx10_clamp 1
		.amdhsa_ieee_mode 1
		.amdhsa_fp16_overflow 0
		.amdhsa_tg_split 0
		.amdhsa_exception_fp_ieee_invalid_op 0
		.amdhsa_exception_fp_denorm_src 0
		.amdhsa_exception_fp_ieee_div_zero 0
		.amdhsa_exception_fp_ieee_overflow 0
		.amdhsa_exception_fp_ieee_underflow 0
		.amdhsa_exception_fp_ieee_inexact 0
		.amdhsa_exception_int_div_zero 0
	.end_amdhsa_kernel
	.section	.text._ZN7rocprim17ROCPRIM_400000_NS6detail17trampoline_kernelINS0_14default_configENS1_35radix_sort_onesweep_config_selectorIjNS0_10empty_typeEEEZZNS1_29radix_sort_onesweep_iterationIS3_Lb0EN6thrust23THRUST_200600_302600_NS6detail15normal_iteratorINS9_10device_ptrIjEEEESE_PS5_SF_jNS0_19identity_decomposerENS1_16block_id_wrapperIjLb0EEEEE10hipError_tT1_PNSt15iterator_traitsISK_E10value_typeET2_T3_PNSL_ISQ_E10value_typeET4_T5_PSV_SW_PNS1_23onesweep_lookback_stateEbbT6_jjT7_P12ihipStream_tbENKUlT_T0_SK_SP_E_clIPjSE_SF_SF_EEDaS13_S14_SK_SP_EUlS13_E_NS1_11comp_targetILNS1_3genE4ELNS1_11target_archE910ELNS1_3gpuE8ELNS1_3repE0EEENS1_47radix_sort_onesweep_sort_config_static_selectorELNS0_4arch9wavefront6targetE1EEEvSK_,"axG",@progbits,_ZN7rocprim17ROCPRIM_400000_NS6detail17trampoline_kernelINS0_14default_configENS1_35radix_sort_onesweep_config_selectorIjNS0_10empty_typeEEEZZNS1_29radix_sort_onesweep_iterationIS3_Lb0EN6thrust23THRUST_200600_302600_NS6detail15normal_iteratorINS9_10device_ptrIjEEEESE_PS5_SF_jNS0_19identity_decomposerENS1_16block_id_wrapperIjLb0EEEEE10hipError_tT1_PNSt15iterator_traitsISK_E10value_typeET2_T3_PNSL_ISQ_E10value_typeET4_T5_PSV_SW_PNS1_23onesweep_lookback_stateEbbT6_jjT7_P12ihipStream_tbENKUlT_T0_SK_SP_E_clIPjSE_SF_SF_EEDaS13_S14_SK_SP_EUlS13_E_NS1_11comp_targetILNS1_3genE4ELNS1_11target_archE910ELNS1_3gpuE8ELNS1_3repE0EEENS1_47radix_sort_onesweep_sort_config_static_selectorELNS0_4arch9wavefront6targetE1EEEvSK_,comdat
.Lfunc_end1150:
	.size	_ZN7rocprim17ROCPRIM_400000_NS6detail17trampoline_kernelINS0_14default_configENS1_35radix_sort_onesweep_config_selectorIjNS0_10empty_typeEEEZZNS1_29radix_sort_onesweep_iterationIS3_Lb0EN6thrust23THRUST_200600_302600_NS6detail15normal_iteratorINS9_10device_ptrIjEEEESE_PS5_SF_jNS0_19identity_decomposerENS1_16block_id_wrapperIjLb0EEEEE10hipError_tT1_PNSt15iterator_traitsISK_E10value_typeET2_T3_PNSL_ISQ_E10value_typeET4_T5_PSV_SW_PNS1_23onesweep_lookback_stateEbbT6_jjT7_P12ihipStream_tbENKUlT_T0_SK_SP_E_clIPjSE_SF_SF_EEDaS13_S14_SK_SP_EUlS13_E_NS1_11comp_targetILNS1_3genE4ELNS1_11target_archE910ELNS1_3gpuE8ELNS1_3repE0EEENS1_47radix_sort_onesweep_sort_config_static_selectorELNS0_4arch9wavefront6targetE1EEEvSK_, .Lfunc_end1150-_ZN7rocprim17ROCPRIM_400000_NS6detail17trampoline_kernelINS0_14default_configENS1_35radix_sort_onesweep_config_selectorIjNS0_10empty_typeEEEZZNS1_29radix_sort_onesweep_iterationIS3_Lb0EN6thrust23THRUST_200600_302600_NS6detail15normal_iteratorINS9_10device_ptrIjEEEESE_PS5_SF_jNS0_19identity_decomposerENS1_16block_id_wrapperIjLb0EEEEE10hipError_tT1_PNSt15iterator_traitsISK_E10value_typeET2_T3_PNSL_ISQ_E10value_typeET4_T5_PSV_SW_PNS1_23onesweep_lookback_stateEbbT6_jjT7_P12ihipStream_tbENKUlT_T0_SK_SP_E_clIPjSE_SF_SF_EEDaS13_S14_SK_SP_EUlS13_E_NS1_11comp_targetILNS1_3genE4ELNS1_11target_archE910ELNS1_3gpuE8ELNS1_3repE0EEENS1_47radix_sort_onesweep_sort_config_static_selectorELNS0_4arch9wavefront6targetE1EEEvSK_
                                        ; -- End function
	.section	.AMDGPU.csdata,"",@progbits
; Kernel info:
; codeLenInByte = 0
; NumSgprs: 6
; NumVgprs: 0
; NumAgprs: 0
; TotalNumVgprs: 0
; ScratchSize: 0
; MemoryBound: 0
; FloatMode: 240
; IeeeMode: 1
; LDSByteSize: 0 bytes/workgroup (compile time only)
; SGPRBlocks: 0
; VGPRBlocks: 0
; NumSGPRsForWavesPerEU: 6
; NumVGPRsForWavesPerEU: 1
; AccumOffset: 4
; Occupancy: 8
; WaveLimiterHint : 0
; COMPUTE_PGM_RSRC2:SCRATCH_EN: 0
; COMPUTE_PGM_RSRC2:USER_SGPR: 2
; COMPUTE_PGM_RSRC2:TRAP_HANDLER: 0
; COMPUTE_PGM_RSRC2:TGID_X_EN: 1
; COMPUTE_PGM_RSRC2:TGID_Y_EN: 0
; COMPUTE_PGM_RSRC2:TGID_Z_EN: 0
; COMPUTE_PGM_RSRC2:TIDIG_COMP_CNT: 0
; COMPUTE_PGM_RSRC3_GFX90A:ACCUM_OFFSET: 0
; COMPUTE_PGM_RSRC3_GFX90A:TG_SPLIT: 0
	.section	.text._ZN7rocprim17ROCPRIM_400000_NS6detail17trampoline_kernelINS0_14default_configENS1_35radix_sort_onesweep_config_selectorIjNS0_10empty_typeEEEZZNS1_29radix_sort_onesweep_iterationIS3_Lb0EN6thrust23THRUST_200600_302600_NS6detail15normal_iteratorINS9_10device_ptrIjEEEESE_PS5_SF_jNS0_19identity_decomposerENS1_16block_id_wrapperIjLb0EEEEE10hipError_tT1_PNSt15iterator_traitsISK_E10value_typeET2_T3_PNSL_ISQ_E10value_typeET4_T5_PSV_SW_PNS1_23onesweep_lookback_stateEbbT6_jjT7_P12ihipStream_tbENKUlT_T0_SK_SP_E_clIPjSE_SF_SF_EEDaS13_S14_SK_SP_EUlS13_E_NS1_11comp_targetILNS1_3genE3ELNS1_11target_archE908ELNS1_3gpuE7ELNS1_3repE0EEENS1_47radix_sort_onesweep_sort_config_static_selectorELNS0_4arch9wavefront6targetE1EEEvSK_,"axG",@progbits,_ZN7rocprim17ROCPRIM_400000_NS6detail17trampoline_kernelINS0_14default_configENS1_35radix_sort_onesweep_config_selectorIjNS0_10empty_typeEEEZZNS1_29radix_sort_onesweep_iterationIS3_Lb0EN6thrust23THRUST_200600_302600_NS6detail15normal_iteratorINS9_10device_ptrIjEEEESE_PS5_SF_jNS0_19identity_decomposerENS1_16block_id_wrapperIjLb0EEEEE10hipError_tT1_PNSt15iterator_traitsISK_E10value_typeET2_T3_PNSL_ISQ_E10value_typeET4_T5_PSV_SW_PNS1_23onesweep_lookback_stateEbbT6_jjT7_P12ihipStream_tbENKUlT_T0_SK_SP_E_clIPjSE_SF_SF_EEDaS13_S14_SK_SP_EUlS13_E_NS1_11comp_targetILNS1_3genE3ELNS1_11target_archE908ELNS1_3gpuE7ELNS1_3repE0EEENS1_47radix_sort_onesweep_sort_config_static_selectorELNS0_4arch9wavefront6targetE1EEEvSK_,comdat
	.protected	_ZN7rocprim17ROCPRIM_400000_NS6detail17trampoline_kernelINS0_14default_configENS1_35radix_sort_onesweep_config_selectorIjNS0_10empty_typeEEEZZNS1_29radix_sort_onesweep_iterationIS3_Lb0EN6thrust23THRUST_200600_302600_NS6detail15normal_iteratorINS9_10device_ptrIjEEEESE_PS5_SF_jNS0_19identity_decomposerENS1_16block_id_wrapperIjLb0EEEEE10hipError_tT1_PNSt15iterator_traitsISK_E10value_typeET2_T3_PNSL_ISQ_E10value_typeET4_T5_PSV_SW_PNS1_23onesweep_lookback_stateEbbT6_jjT7_P12ihipStream_tbENKUlT_T0_SK_SP_E_clIPjSE_SF_SF_EEDaS13_S14_SK_SP_EUlS13_E_NS1_11comp_targetILNS1_3genE3ELNS1_11target_archE908ELNS1_3gpuE7ELNS1_3repE0EEENS1_47radix_sort_onesweep_sort_config_static_selectorELNS0_4arch9wavefront6targetE1EEEvSK_ ; -- Begin function _ZN7rocprim17ROCPRIM_400000_NS6detail17trampoline_kernelINS0_14default_configENS1_35radix_sort_onesweep_config_selectorIjNS0_10empty_typeEEEZZNS1_29radix_sort_onesweep_iterationIS3_Lb0EN6thrust23THRUST_200600_302600_NS6detail15normal_iteratorINS9_10device_ptrIjEEEESE_PS5_SF_jNS0_19identity_decomposerENS1_16block_id_wrapperIjLb0EEEEE10hipError_tT1_PNSt15iterator_traitsISK_E10value_typeET2_T3_PNSL_ISQ_E10value_typeET4_T5_PSV_SW_PNS1_23onesweep_lookback_stateEbbT6_jjT7_P12ihipStream_tbENKUlT_T0_SK_SP_E_clIPjSE_SF_SF_EEDaS13_S14_SK_SP_EUlS13_E_NS1_11comp_targetILNS1_3genE3ELNS1_11target_archE908ELNS1_3gpuE7ELNS1_3repE0EEENS1_47radix_sort_onesweep_sort_config_static_selectorELNS0_4arch9wavefront6targetE1EEEvSK_
	.globl	_ZN7rocprim17ROCPRIM_400000_NS6detail17trampoline_kernelINS0_14default_configENS1_35radix_sort_onesweep_config_selectorIjNS0_10empty_typeEEEZZNS1_29radix_sort_onesweep_iterationIS3_Lb0EN6thrust23THRUST_200600_302600_NS6detail15normal_iteratorINS9_10device_ptrIjEEEESE_PS5_SF_jNS0_19identity_decomposerENS1_16block_id_wrapperIjLb0EEEEE10hipError_tT1_PNSt15iterator_traitsISK_E10value_typeET2_T3_PNSL_ISQ_E10value_typeET4_T5_PSV_SW_PNS1_23onesweep_lookback_stateEbbT6_jjT7_P12ihipStream_tbENKUlT_T0_SK_SP_E_clIPjSE_SF_SF_EEDaS13_S14_SK_SP_EUlS13_E_NS1_11comp_targetILNS1_3genE3ELNS1_11target_archE908ELNS1_3gpuE7ELNS1_3repE0EEENS1_47radix_sort_onesweep_sort_config_static_selectorELNS0_4arch9wavefront6targetE1EEEvSK_
	.p2align	8
	.type	_ZN7rocprim17ROCPRIM_400000_NS6detail17trampoline_kernelINS0_14default_configENS1_35radix_sort_onesweep_config_selectorIjNS0_10empty_typeEEEZZNS1_29radix_sort_onesweep_iterationIS3_Lb0EN6thrust23THRUST_200600_302600_NS6detail15normal_iteratorINS9_10device_ptrIjEEEESE_PS5_SF_jNS0_19identity_decomposerENS1_16block_id_wrapperIjLb0EEEEE10hipError_tT1_PNSt15iterator_traitsISK_E10value_typeET2_T3_PNSL_ISQ_E10value_typeET4_T5_PSV_SW_PNS1_23onesweep_lookback_stateEbbT6_jjT7_P12ihipStream_tbENKUlT_T0_SK_SP_E_clIPjSE_SF_SF_EEDaS13_S14_SK_SP_EUlS13_E_NS1_11comp_targetILNS1_3genE3ELNS1_11target_archE908ELNS1_3gpuE7ELNS1_3repE0EEENS1_47radix_sort_onesweep_sort_config_static_selectorELNS0_4arch9wavefront6targetE1EEEvSK_,@function
_ZN7rocprim17ROCPRIM_400000_NS6detail17trampoline_kernelINS0_14default_configENS1_35radix_sort_onesweep_config_selectorIjNS0_10empty_typeEEEZZNS1_29radix_sort_onesweep_iterationIS3_Lb0EN6thrust23THRUST_200600_302600_NS6detail15normal_iteratorINS9_10device_ptrIjEEEESE_PS5_SF_jNS0_19identity_decomposerENS1_16block_id_wrapperIjLb0EEEEE10hipError_tT1_PNSt15iterator_traitsISK_E10value_typeET2_T3_PNSL_ISQ_E10value_typeET4_T5_PSV_SW_PNS1_23onesweep_lookback_stateEbbT6_jjT7_P12ihipStream_tbENKUlT_T0_SK_SP_E_clIPjSE_SF_SF_EEDaS13_S14_SK_SP_EUlS13_E_NS1_11comp_targetILNS1_3genE3ELNS1_11target_archE908ELNS1_3gpuE7ELNS1_3repE0EEENS1_47radix_sort_onesweep_sort_config_static_selectorELNS0_4arch9wavefront6targetE1EEEvSK_: ; @_ZN7rocprim17ROCPRIM_400000_NS6detail17trampoline_kernelINS0_14default_configENS1_35radix_sort_onesweep_config_selectorIjNS0_10empty_typeEEEZZNS1_29radix_sort_onesweep_iterationIS3_Lb0EN6thrust23THRUST_200600_302600_NS6detail15normal_iteratorINS9_10device_ptrIjEEEESE_PS5_SF_jNS0_19identity_decomposerENS1_16block_id_wrapperIjLb0EEEEE10hipError_tT1_PNSt15iterator_traitsISK_E10value_typeET2_T3_PNSL_ISQ_E10value_typeET4_T5_PSV_SW_PNS1_23onesweep_lookback_stateEbbT6_jjT7_P12ihipStream_tbENKUlT_T0_SK_SP_E_clIPjSE_SF_SF_EEDaS13_S14_SK_SP_EUlS13_E_NS1_11comp_targetILNS1_3genE3ELNS1_11target_archE908ELNS1_3gpuE7ELNS1_3repE0EEENS1_47radix_sort_onesweep_sort_config_static_selectorELNS0_4arch9wavefront6targetE1EEEvSK_
; %bb.0:
	.section	.rodata,"a",@progbits
	.p2align	6, 0x0
	.amdhsa_kernel _ZN7rocprim17ROCPRIM_400000_NS6detail17trampoline_kernelINS0_14default_configENS1_35radix_sort_onesweep_config_selectorIjNS0_10empty_typeEEEZZNS1_29radix_sort_onesweep_iterationIS3_Lb0EN6thrust23THRUST_200600_302600_NS6detail15normal_iteratorINS9_10device_ptrIjEEEESE_PS5_SF_jNS0_19identity_decomposerENS1_16block_id_wrapperIjLb0EEEEE10hipError_tT1_PNSt15iterator_traitsISK_E10value_typeET2_T3_PNSL_ISQ_E10value_typeET4_T5_PSV_SW_PNS1_23onesweep_lookback_stateEbbT6_jjT7_P12ihipStream_tbENKUlT_T0_SK_SP_E_clIPjSE_SF_SF_EEDaS13_S14_SK_SP_EUlS13_E_NS1_11comp_targetILNS1_3genE3ELNS1_11target_archE908ELNS1_3gpuE7ELNS1_3repE0EEENS1_47radix_sort_onesweep_sort_config_static_selectorELNS0_4arch9wavefront6targetE1EEEvSK_
		.amdhsa_group_segment_fixed_size 0
		.amdhsa_private_segment_fixed_size 0
		.amdhsa_kernarg_size 88
		.amdhsa_user_sgpr_count 2
		.amdhsa_user_sgpr_dispatch_ptr 0
		.amdhsa_user_sgpr_queue_ptr 0
		.amdhsa_user_sgpr_kernarg_segment_ptr 1
		.amdhsa_user_sgpr_dispatch_id 0
		.amdhsa_user_sgpr_kernarg_preload_length 0
		.amdhsa_user_sgpr_kernarg_preload_offset 0
		.amdhsa_user_sgpr_private_segment_size 0
		.amdhsa_uses_dynamic_stack 0
		.amdhsa_enable_private_segment 0
		.amdhsa_system_sgpr_workgroup_id_x 1
		.amdhsa_system_sgpr_workgroup_id_y 0
		.amdhsa_system_sgpr_workgroup_id_z 0
		.amdhsa_system_sgpr_workgroup_info 0
		.amdhsa_system_vgpr_workitem_id 0
		.amdhsa_next_free_vgpr 1
		.amdhsa_next_free_sgpr 0
		.amdhsa_accum_offset 4
		.amdhsa_reserve_vcc 0
		.amdhsa_float_round_mode_32 0
		.amdhsa_float_round_mode_16_64 0
		.amdhsa_float_denorm_mode_32 3
		.amdhsa_float_denorm_mode_16_64 3
		.amdhsa_dx10_clamp 1
		.amdhsa_ieee_mode 1
		.amdhsa_fp16_overflow 0
		.amdhsa_tg_split 0
		.amdhsa_exception_fp_ieee_invalid_op 0
		.amdhsa_exception_fp_denorm_src 0
		.amdhsa_exception_fp_ieee_div_zero 0
		.amdhsa_exception_fp_ieee_overflow 0
		.amdhsa_exception_fp_ieee_underflow 0
		.amdhsa_exception_fp_ieee_inexact 0
		.amdhsa_exception_int_div_zero 0
	.end_amdhsa_kernel
	.section	.text._ZN7rocprim17ROCPRIM_400000_NS6detail17trampoline_kernelINS0_14default_configENS1_35radix_sort_onesweep_config_selectorIjNS0_10empty_typeEEEZZNS1_29radix_sort_onesweep_iterationIS3_Lb0EN6thrust23THRUST_200600_302600_NS6detail15normal_iteratorINS9_10device_ptrIjEEEESE_PS5_SF_jNS0_19identity_decomposerENS1_16block_id_wrapperIjLb0EEEEE10hipError_tT1_PNSt15iterator_traitsISK_E10value_typeET2_T3_PNSL_ISQ_E10value_typeET4_T5_PSV_SW_PNS1_23onesweep_lookback_stateEbbT6_jjT7_P12ihipStream_tbENKUlT_T0_SK_SP_E_clIPjSE_SF_SF_EEDaS13_S14_SK_SP_EUlS13_E_NS1_11comp_targetILNS1_3genE3ELNS1_11target_archE908ELNS1_3gpuE7ELNS1_3repE0EEENS1_47radix_sort_onesweep_sort_config_static_selectorELNS0_4arch9wavefront6targetE1EEEvSK_,"axG",@progbits,_ZN7rocprim17ROCPRIM_400000_NS6detail17trampoline_kernelINS0_14default_configENS1_35radix_sort_onesweep_config_selectorIjNS0_10empty_typeEEEZZNS1_29radix_sort_onesweep_iterationIS3_Lb0EN6thrust23THRUST_200600_302600_NS6detail15normal_iteratorINS9_10device_ptrIjEEEESE_PS5_SF_jNS0_19identity_decomposerENS1_16block_id_wrapperIjLb0EEEEE10hipError_tT1_PNSt15iterator_traitsISK_E10value_typeET2_T3_PNSL_ISQ_E10value_typeET4_T5_PSV_SW_PNS1_23onesweep_lookback_stateEbbT6_jjT7_P12ihipStream_tbENKUlT_T0_SK_SP_E_clIPjSE_SF_SF_EEDaS13_S14_SK_SP_EUlS13_E_NS1_11comp_targetILNS1_3genE3ELNS1_11target_archE908ELNS1_3gpuE7ELNS1_3repE0EEENS1_47radix_sort_onesweep_sort_config_static_selectorELNS0_4arch9wavefront6targetE1EEEvSK_,comdat
.Lfunc_end1151:
	.size	_ZN7rocprim17ROCPRIM_400000_NS6detail17trampoline_kernelINS0_14default_configENS1_35radix_sort_onesweep_config_selectorIjNS0_10empty_typeEEEZZNS1_29radix_sort_onesweep_iterationIS3_Lb0EN6thrust23THRUST_200600_302600_NS6detail15normal_iteratorINS9_10device_ptrIjEEEESE_PS5_SF_jNS0_19identity_decomposerENS1_16block_id_wrapperIjLb0EEEEE10hipError_tT1_PNSt15iterator_traitsISK_E10value_typeET2_T3_PNSL_ISQ_E10value_typeET4_T5_PSV_SW_PNS1_23onesweep_lookback_stateEbbT6_jjT7_P12ihipStream_tbENKUlT_T0_SK_SP_E_clIPjSE_SF_SF_EEDaS13_S14_SK_SP_EUlS13_E_NS1_11comp_targetILNS1_3genE3ELNS1_11target_archE908ELNS1_3gpuE7ELNS1_3repE0EEENS1_47radix_sort_onesweep_sort_config_static_selectorELNS0_4arch9wavefront6targetE1EEEvSK_, .Lfunc_end1151-_ZN7rocprim17ROCPRIM_400000_NS6detail17trampoline_kernelINS0_14default_configENS1_35radix_sort_onesweep_config_selectorIjNS0_10empty_typeEEEZZNS1_29radix_sort_onesweep_iterationIS3_Lb0EN6thrust23THRUST_200600_302600_NS6detail15normal_iteratorINS9_10device_ptrIjEEEESE_PS5_SF_jNS0_19identity_decomposerENS1_16block_id_wrapperIjLb0EEEEE10hipError_tT1_PNSt15iterator_traitsISK_E10value_typeET2_T3_PNSL_ISQ_E10value_typeET4_T5_PSV_SW_PNS1_23onesweep_lookback_stateEbbT6_jjT7_P12ihipStream_tbENKUlT_T0_SK_SP_E_clIPjSE_SF_SF_EEDaS13_S14_SK_SP_EUlS13_E_NS1_11comp_targetILNS1_3genE3ELNS1_11target_archE908ELNS1_3gpuE7ELNS1_3repE0EEENS1_47radix_sort_onesweep_sort_config_static_selectorELNS0_4arch9wavefront6targetE1EEEvSK_
                                        ; -- End function
	.section	.AMDGPU.csdata,"",@progbits
; Kernel info:
; codeLenInByte = 0
; NumSgprs: 6
; NumVgprs: 0
; NumAgprs: 0
; TotalNumVgprs: 0
; ScratchSize: 0
; MemoryBound: 0
; FloatMode: 240
; IeeeMode: 1
; LDSByteSize: 0 bytes/workgroup (compile time only)
; SGPRBlocks: 0
; VGPRBlocks: 0
; NumSGPRsForWavesPerEU: 6
; NumVGPRsForWavesPerEU: 1
; AccumOffset: 4
; Occupancy: 8
; WaveLimiterHint : 0
; COMPUTE_PGM_RSRC2:SCRATCH_EN: 0
; COMPUTE_PGM_RSRC2:USER_SGPR: 2
; COMPUTE_PGM_RSRC2:TRAP_HANDLER: 0
; COMPUTE_PGM_RSRC2:TGID_X_EN: 1
; COMPUTE_PGM_RSRC2:TGID_Y_EN: 0
; COMPUTE_PGM_RSRC2:TGID_Z_EN: 0
; COMPUTE_PGM_RSRC2:TIDIG_COMP_CNT: 0
; COMPUTE_PGM_RSRC3_GFX90A:ACCUM_OFFSET: 0
; COMPUTE_PGM_RSRC3_GFX90A:TG_SPLIT: 0
	.section	.text._ZN7rocprim17ROCPRIM_400000_NS6detail17trampoline_kernelINS0_14default_configENS1_35radix_sort_onesweep_config_selectorIjNS0_10empty_typeEEEZZNS1_29radix_sort_onesweep_iterationIS3_Lb0EN6thrust23THRUST_200600_302600_NS6detail15normal_iteratorINS9_10device_ptrIjEEEESE_PS5_SF_jNS0_19identity_decomposerENS1_16block_id_wrapperIjLb0EEEEE10hipError_tT1_PNSt15iterator_traitsISK_E10value_typeET2_T3_PNSL_ISQ_E10value_typeET4_T5_PSV_SW_PNS1_23onesweep_lookback_stateEbbT6_jjT7_P12ihipStream_tbENKUlT_T0_SK_SP_E_clIPjSE_SF_SF_EEDaS13_S14_SK_SP_EUlS13_E_NS1_11comp_targetILNS1_3genE10ELNS1_11target_archE1201ELNS1_3gpuE5ELNS1_3repE0EEENS1_47radix_sort_onesweep_sort_config_static_selectorELNS0_4arch9wavefront6targetE1EEEvSK_,"axG",@progbits,_ZN7rocprim17ROCPRIM_400000_NS6detail17trampoline_kernelINS0_14default_configENS1_35radix_sort_onesweep_config_selectorIjNS0_10empty_typeEEEZZNS1_29radix_sort_onesweep_iterationIS3_Lb0EN6thrust23THRUST_200600_302600_NS6detail15normal_iteratorINS9_10device_ptrIjEEEESE_PS5_SF_jNS0_19identity_decomposerENS1_16block_id_wrapperIjLb0EEEEE10hipError_tT1_PNSt15iterator_traitsISK_E10value_typeET2_T3_PNSL_ISQ_E10value_typeET4_T5_PSV_SW_PNS1_23onesweep_lookback_stateEbbT6_jjT7_P12ihipStream_tbENKUlT_T0_SK_SP_E_clIPjSE_SF_SF_EEDaS13_S14_SK_SP_EUlS13_E_NS1_11comp_targetILNS1_3genE10ELNS1_11target_archE1201ELNS1_3gpuE5ELNS1_3repE0EEENS1_47radix_sort_onesweep_sort_config_static_selectorELNS0_4arch9wavefront6targetE1EEEvSK_,comdat
	.protected	_ZN7rocprim17ROCPRIM_400000_NS6detail17trampoline_kernelINS0_14default_configENS1_35radix_sort_onesweep_config_selectorIjNS0_10empty_typeEEEZZNS1_29radix_sort_onesweep_iterationIS3_Lb0EN6thrust23THRUST_200600_302600_NS6detail15normal_iteratorINS9_10device_ptrIjEEEESE_PS5_SF_jNS0_19identity_decomposerENS1_16block_id_wrapperIjLb0EEEEE10hipError_tT1_PNSt15iterator_traitsISK_E10value_typeET2_T3_PNSL_ISQ_E10value_typeET4_T5_PSV_SW_PNS1_23onesweep_lookback_stateEbbT6_jjT7_P12ihipStream_tbENKUlT_T0_SK_SP_E_clIPjSE_SF_SF_EEDaS13_S14_SK_SP_EUlS13_E_NS1_11comp_targetILNS1_3genE10ELNS1_11target_archE1201ELNS1_3gpuE5ELNS1_3repE0EEENS1_47radix_sort_onesweep_sort_config_static_selectorELNS0_4arch9wavefront6targetE1EEEvSK_ ; -- Begin function _ZN7rocprim17ROCPRIM_400000_NS6detail17trampoline_kernelINS0_14default_configENS1_35radix_sort_onesweep_config_selectorIjNS0_10empty_typeEEEZZNS1_29radix_sort_onesweep_iterationIS3_Lb0EN6thrust23THRUST_200600_302600_NS6detail15normal_iteratorINS9_10device_ptrIjEEEESE_PS5_SF_jNS0_19identity_decomposerENS1_16block_id_wrapperIjLb0EEEEE10hipError_tT1_PNSt15iterator_traitsISK_E10value_typeET2_T3_PNSL_ISQ_E10value_typeET4_T5_PSV_SW_PNS1_23onesweep_lookback_stateEbbT6_jjT7_P12ihipStream_tbENKUlT_T0_SK_SP_E_clIPjSE_SF_SF_EEDaS13_S14_SK_SP_EUlS13_E_NS1_11comp_targetILNS1_3genE10ELNS1_11target_archE1201ELNS1_3gpuE5ELNS1_3repE0EEENS1_47radix_sort_onesweep_sort_config_static_selectorELNS0_4arch9wavefront6targetE1EEEvSK_
	.globl	_ZN7rocprim17ROCPRIM_400000_NS6detail17trampoline_kernelINS0_14default_configENS1_35radix_sort_onesweep_config_selectorIjNS0_10empty_typeEEEZZNS1_29radix_sort_onesweep_iterationIS3_Lb0EN6thrust23THRUST_200600_302600_NS6detail15normal_iteratorINS9_10device_ptrIjEEEESE_PS5_SF_jNS0_19identity_decomposerENS1_16block_id_wrapperIjLb0EEEEE10hipError_tT1_PNSt15iterator_traitsISK_E10value_typeET2_T3_PNSL_ISQ_E10value_typeET4_T5_PSV_SW_PNS1_23onesweep_lookback_stateEbbT6_jjT7_P12ihipStream_tbENKUlT_T0_SK_SP_E_clIPjSE_SF_SF_EEDaS13_S14_SK_SP_EUlS13_E_NS1_11comp_targetILNS1_3genE10ELNS1_11target_archE1201ELNS1_3gpuE5ELNS1_3repE0EEENS1_47radix_sort_onesweep_sort_config_static_selectorELNS0_4arch9wavefront6targetE1EEEvSK_
	.p2align	8
	.type	_ZN7rocprim17ROCPRIM_400000_NS6detail17trampoline_kernelINS0_14default_configENS1_35radix_sort_onesweep_config_selectorIjNS0_10empty_typeEEEZZNS1_29radix_sort_onesweep_iterationIS3_Lb0EN6thrust23THRUST_200600_302600_NS6detail15normal_iteratorINS9_10device_ptrIjEEEESE_PS5_SF_jNS0_19identity_decomposerENS1_16block_id_wrapperIjLb0EEEEE10hipError_tT1_PNSt15iterator_traitsISK_E10value_typeET2_T3_PNSL_ISQ_E10value_typeET4_T5_PSV_SW_PNS1_23onesweep_lookback_stateEbbT6_jjT7_P12ihipStream_tbENKUlT_T0_SK_SP_E_clIPjSE_SF_SF_EEDaS13_S14_SK_SP_EUlS13_E_NS1_11comp_targetILNS1_3genE10ELNS1_11target_archE1201ELNS1_3gpuE5ELNS1_3repE0EEENS1_47radix_sort_onesweep_sort_config_static_selectorELNS0_4arch9wavefront6targetE1EEEvSK_,@function
_ZN7rocprim17ROCPRIM_400000_NS6detail17trampoline_kernelINS0_14default_configENS1_35radix_sort_onesweep_config_selectorIjNS0_10empty_typeEEEZZNS1_29radix_sort_onesweep_iterationIS3_Lb0EN6thrust23THRUST_200600_302600_NS6detail15normal_iteratorINS9_10device_ptrIjEEEESE_PS5_SF_jNS0_19identity_decomposerENS1_16block_id_wrapperIjLb0EEEEE10hipError_tT1_PNSt15iterator_traitsISK_E10value_typeET2_T3_PNSL_ISQ_E10value_typeET4_T5_PSV_SW_PNS1_23onesweep_lookback_stateEbbT6_jjT7_P12ihipStream_tbENKUlT_T0_SK_SP_E_clIPjSE_SF_SF_EEDaS13_S14_SK_SP_EUlS13_E_NS1_11comp_targetILNS1_3genE10ELNS1_11target_archE1201ELNS1_3gpuE5ELNS1_3repE0EEENS1_47radix_sort_onesweep_sort_config_static_selectorELNS0_4arch9wavefront6targetE1EEEvSK_: ; @_ZN7rocprim17ROCPRIM_400000_NS6detail17trampoline_kernelINS0_14default_configENS1_35radix_sort_onesweep_config_selectorIjNS0_10empty_typeEEEZZNS1_29radix_sort_onesweep_iterationIS3_Lb0EN6thrust23THRUST_200600_302600_NS6detail15normal_iteratorINS9_10device_ptrIjEEEESE_PS5_SF_jNS0_19identity_decomposerENS1_16block_id_wrapperIjLb0EEEEE10hipError_tT1_PNSt15iterator_traitsISK_E10value_typeET2_T3_PNSL_ISQ_E10value_typeET4_T5_PSV_SW_PNS1_23onesweep_lookback_stateEbbT6_jjT7_P12ihipStream_tbENKUlT_T0_SK_SP_E_clIPjSE_SF_SF_EEDaS13_S14_SK_SP_EUlS13_E_NS1_11comp_targetILNS1_3genE10ELNS1_11target_archE1201ELNS1_3gpuE5ELNS1_3repE0EEENS1_47radix_sort_onesweep_sort_config_static_selectorELNS0_4arch9wavefront6targetE1EEEvSK_
; %bb.0:
	.section	.rodata,"a",@progbits
	.p2align	6, 0x0
	.amdhsa_kernel _ZN7rocprim17ROCPRIM_400000_NS6detail17trampoline_kernelINS0_14default_configENS1_35radix_sort_onesweep_config_selectorIjNS0_10empty_typeEEEZZNS1_29radix_sort_onesweep_iterationIS3_Lb0EN6thrust23THRUST_200600_302600_NS6detail15normal_iteratorINS9_10device_ptrIjEEEESE_PS5_SF_jNS0_19identity_decomposerENS1_16block_id_wrapperIjLb0EEEEE10hipError_tT1_PNSt15iterator_traitsISK_E10value_typeET2_T3_PNSL_ISQ_E10value_typeET4_T5_PSV_SW_PNS1_23onesweep_lookback_stateEbbT6_jjT7_P12ihipStream_tbENKUlT_T0_SK_SP_E_clIPjSE_SF_SF_EEDaS13_S14_SK_SP_EUlS13_E_NS1_11comp_targetILNS1_3genE10ELNS1_11target_archE1201ELNS1_3gpuE5ELNS1_3repE0EEENS1_47radix_sort_onesweep_sort_config_static_selectorELNS0_4arch9wavefront6targetE1EEEvSK_
		.amdhsa_group_segment_fixed_size 0
		.amdhsa_private_segment_fixed_size 0
		.amdhsa_kernarg_size 88
		.amdhsa_user_sgpr_count 2
		.amdhsa_user_sgpr_dispatch_ptr 0
		.amdhsa_user_sgpr_queue_ptr 0
		.amdhsa_user_sgpr_kernarg_segment_ptr 1
		.amdhsa_user_sgpr_dispatch_id 0
		.amdhsa_user_sgpr_kernarg_preload_length 0
		.amdhsa_user_sgpr_kernarg_preload_offset 0
		.amdhsa_user_sgpr_private_segment_size 0
		.amdhsa_uses_dynamic_stack 0
		.amdhsa_enable_private_segment 0
		.amdhsa_system_sgpr_workgroup_id_x 1
		.amdhsa_system_sgpr_workgroup_id_y 0
		.amdhsa_system_sgpr_workgroup_id_z 0
		.amdhsa_system_sgpr_workgroup_info 0
		.amdhsa_system_vgpr_workitem_id 0
		.amdhsa_next_free_vgpr 1
		.amdhsa_next_free_sgpr 0
		.amdhsa_accum_offset 4
		.amdhsa_reserve_vcc 0
		.amdhsa_float_round_mode_32 0
		.amdhsa_float_round_mode_16_64 0
		.amdhsa_float_denorm_mode_32 3
		.amdhsa_float_denorm_mode_16_64 3
		.amdhsa_dx10_clamp 1
		.amdhsa_ieee_mode 1
		.amdhsa_fp16_overflow 0
		.amdhsa_tg_split 0
		.amdhsa_exception_fp_ieee_invalid_op 0
		.amdhsa_exception_fp_denorm_src 0
		.amdhsa_exception_fp_ieee_div_zero 0
		.amdhsa_exception_fp_ieee_overflow 0
		.amdhsa_exception_fp_ieee_underflow 0
		.amdhsa_exception_fp_ieee_inexact 0
		.amdhsa_exception_int_div_zero 0
	.end_amdhsa_kernel
	.section	.text._ZN7rocprim17ROCPRIM_400000_NS6detail17trampoline_kernelINS0_14default_configENS1_35radix_sort_onesweep_config_selectorIjNS0_10empty_typeEEEZZNS1_29radix_sort_onesweep_iterationIS3_Lb0EN6thrust23THRUST_200600_302600_NS6detail15normal_iteratorINS9_10device_ptrIjEEEESE_PS5_SF_jNS0_19identity_decomposerENS1_16block_id_wrapperIjLb0EEEEE10hipError_tT1_PNSt15iterator_traitsISK_E10value_typeET2_T3_PNSL_ISQ_E10value_typeET4_T5_PSV_SW_PNS1_23onesweep_lookback_stateEbbT6_jjT7_P12ihipStream_tbENKUlT_T0_SK_SP_E_clIPjSE_SF_SF_EEDaS13_S14_SK_SP_EUlS13_E_NS1_11comp_targetILNS1_3genE10ELNS1_11target_archE1201ELNS1_3gpuE5ELNS1_3repE0EEENS1_47radix_sort_onesweep_sort_config_static_selectorELNS0_4arch9wavefront6targetE1EEEvSK_,"axG",@progbits,_ZN7rocprim17ROCPRIM_400000_NS6detail17trampoline_kernelINS0_14default_configENS1_35radix_sort_onesweep_config_selectorIjNS0_10empty_typeEEEZZNS1_29radix_sort_onesweep_iterationIS3_Lb0EN6thrust23THRUST_200600_302600_NS6detail15normal_iteratorINS9_10device_ptrIjEEEESE_PS5_SF_jNS0_19identity_decomposerENS1_16block_id_wrapperIjLb0EEEEE10hipError_tT1_PNSt15iterator_traitsISK_E10value_typeET2_T3_PNSL_ISQ_E10value_typeET4_T5_PSV_SW_PNS1_23onesweep_lookback_stateEbbT6_jjT7_P12ihipStream_tbENKUlT_T0_SK_SP_E_clIPjSE_SF_SF_EEDaS13_S14_SK_SP_EUlS13_E_NS1_11comp_targetILNS1_3genE10ELNS1_11target_archE1201ELNS1_3gpuE5ELNS1_3repE0EEENS1_47radix_sort_onesweep_sort_config_static_selectorELNS0_4arch9wavefront6targetE1EEEvSK_,comdat
.Lfunc_end1152:
	.size	_ZN7rocprim17ROCPRIM_400000_NS6detail17trampoline_kernelINS0_14default_configENS1_35radix_sort_onesweep_config_selectorIjNS0_10empty_typeEEEZZNS1_29radix_sort_onesweep_iterationIS3_Lb0EN6thrust23THRUST_200600_302600_NS6detail15normal_iteratorINS9_10device_ptrIjEEEESE_PS5_SF_jNS0_19identity_decomposerENS1_16block_id_wrapperIjLb0EEEEE10hipError_tT1_PNSt15iterator_traitsISK_E10value_typeET2_T3_PNSL_ISQ_E10value_typeET4_T5_PSV_SW_PNS1_23onesweep_lookback_stateEbbT6_jjT7_P12ihipStream_tbENKUlT_T0_SK_SP_E_clIPjSE_SF_SF_EEDaS13_S14_SK_SP_EUlS13_E_NS1_11comp_targetILNS1_3genE10ELNS1_11target_archE1201ELNS1_3gpuE5ELNS1_3repE0EEENS1_47radix_sort_onesweep_sort_config_static_selectorELNS0_4arch9wavefront6targetE1EEEvSK_, .Lfunc_end1152-_ZN7rocprim17ROCPRIM_400000_NS6detail17trampoline_kernelINS0_14default_configENS1_35radix_sort_onesweep_config_selectorIjNS0_10empty_typeEEEZZNS1_29radix_sort_onesweep_iterationIS3_Lb0EN6thrust23THRUST_200600_302600_NS6detail15normal_iteratorINS9_10device_ptrIjEEEESE_PS5_SF_jNS0_19identity_decomposerENS1_16block_id_wrapperIjLb0EEEEE10hipError_tT1_PNSt15iterator_traitsISK_E10value_typeET2_T3_PNSL_ISQ_E10value_typeET4_T5_PSV_SW_PNS1_23onesweep_lookback_stateEbbT6_jjT7_P12ihipStream_tbENKUlT_T0_SK_SP_E_clIPjSE_SF_SF_EEDaS13_S14_SK_SP_EUlS13_E_NS1_11comp_targetILNS1_3genE10ELNS1_11target_archE1201ELNS1_3gpuE5ELNS1_3repE0EEENS1_47radix_sort_onesweep_sort_config_static_selectorELNS0_4arch9wavefront6targetE1EEEvSK_
                                        ; -- End function
	.section	.AMDGPU.csdata,"",@progbits
; Kernel info:
; codeLenInByte = 0
; NumSgprs: 6
; NumVgprs: 0
; NumAgprs: 0
; TotalNumVgprs: 0
; ScratchSize: 0
; MemoryBound: 0
; FloatMode: 240
; IeeeMode: 1
; LDSByteSize: 0 bytes/workgroup (compile time only)
; SGPRBlocks: 0
; VGPRBlocks: 0
; NumSGPRsForWavesPerEU: 6
; NumVGPRsForWavesPerEU: 1
; AccumOffset: 4
; Occupancy: 8
; WaveLimiterHint : 0
; COMPUTE_PGM_RSRC2:SCRATCH_EN: 0
; COMPUTE_PGM_RSRC2:USER_SGPR: 2
; COMPUTE_PGM_RSRC2:TRAP_HANDLER: 0
; COMPUTE_PGM_RSRC2:TGID_X_EN: 1
; COMPUTE_PGM_RSRC2:TGID_Y_EN: 0
; COMPUTE_PGM_RSRC2:TGID_Z_EN: 0
; COMPUTE_PGM_RSRC2:TIDIG_COMP_CNT: 0
; COMPUTE_PGM_RSRC3_GFX90A:ACCUM_OFFSET: 0
; COMPUTE_PGM_RSRC3_GFX90A:TG_SPLIT: 0
	.section	.text._ZN7rocprim17ROCPRIM_400000_NS6detail17trampoline_kernelINS0_14default_configENS1_35radix_sort_onesweep_config_selectorIjNS0_10empty_typeEEEZZNS1_29radix_sort_onesweep_iterationIS3_Lb0EN6thrust23THRUST_200600_302600_NS6detail15normal_iteratorINS9_10device_ptrIjEEEESE_PS5_SF_jNS0_19identity_decomposerENS1_16block_id_wrapperIjLb0EEEEE10hipError_tT1_PNSt15iterator_traitsISK_E10value_typeET2_T3_PNSL_ISQ_E10value_typeET4_T5_PSV_SW_PNS1_23onesweep_lookback_stateEbbT6_jjT7_P12ihipStream_tbENKUlT_T0_SK_SP_E_clIPjSE_SF_SF_EEDaS13_S14_SK_SP_EUlS13_E_NS1_11comp_targetILNS1_3genE9ELNS1_11target_archE1100ELNS1_3gpuE3ELNS1_3repE0EEENS1_47radix_sort_onesweep_sort_config_static_selectorELNS0_4arch9wavefront6targetE1EEEvSK_,"axG",@progbits,_ZN7rocprim17ROCPRIM_400000_NS6detail17trampoline_kernelINS0_14default_configENS1_35radix_sort_onesweep_config_selectorIjNS0_10empty_typeEEEZZNS1_29radix_sort_onesweep_iterationIS3_Lb0EN6thrust23THRUST_200600_302600_NS6detail15normal_iteratorINS9_10device_ptrIjEEEESE_PS5_SF_jNS0_19identity_decomposerENS1_16block_id_wrapperIjLb0EEEEE10hipError_tT1_PNSt15iterator_traitsISK_E10value_typeET2_T3_PNSL_ISQ_E10value_typeET4_T5_PSV_SW_PNS1_23onesweep_lookback_stateEbbT6_jjT7_P12ihipStream_tbENKUlT_T0_SK_SP_E_clIPjSE_SF_SF_EEDaS13_S14_SK_SP_EUlS13_E_NS1_11comp_targetILNS1_3genE9ELNS1_11target_archE1100ELNS1_3gpuE3ELNS1_3repE0EEENS1_47radix_sort_onesweep_sort_config_static_selectorELNS0_4arch9wavefront6targetE1EEEvSK_,comdat
	.protected	_ZN7rocprim17ROCPRIM_400000_NS6detail17trampoline_kernelINS0_14default_configENS1_35radix_sort_onesweep_config_selectorIjNS0_10empty_typeEEEZZNS1_29radix_sort_onesweep_iterationIS3_Lb0EN6thrust23THRUST_200600_302600_NS6detail15normal_iteratorINS9_10device_ptrIjEEEESE_PS5_SF_jNS0_19identity_decomposerENS1_16block_id_wrapperIjLb0EEEEE10hipError_tT1_PNSt15iterator_traitsISK_E10value_typeET2_T3_PNSL_ISQ_E10value_typeET4_T5_PSV_SW_PNS1_23onesweep_lookback_stateEbbT6_jjT7_P12ihipStream_tbENKUlT_T0_SK_SP_E_clIPjSE_SF_SF_EEDaS13_S14_SK_SP_EUlS13_E_NS1_11comp_targetILNS1_3genE9ELNS1_11target_archE1100ELNS1_3gpuE3ELNS1_3repE0EEENS1_47radix_sort_onesweep_sort_config_static_selectorELNS0_4arch9wavefront6targetE1EEEvSK_ ; -- Begin function _ZN7rocprim17ROCPRIM_400000_NS6detail17trampoline_kernelINS0_14default_configENS1_35radix_sort_onesweep_config_selectorIjNS0_10empty_typeEEEZZNS1_29radix_sort_onesweep_iterationIS3_Lb0EN6thrust23THRUST_200600_302600_NS6detail15normal_iteratorINS9_10device_ptrIjEEEESE_PS5_SF_jNS0_19identity_decomposerENS1_16block_id_wrapperIjLb0EEEEE10hipError_tT1_PNSt15iterator_traitsISK_E10value_typeET2_T3_PNSL_ISQ_E10value_typeET4_T5_PSV_SW_PNS1_23onesweep_lookback_stateEbbT6_jjT7_P12ihipStream_tbENKUlT_T0_SK_SP_E_clIPjSE_SF_SF_EEDaS13_S14_SK_SP_EUlS13_E_NS1_11comp_targetILNS1_3genE9ELNS1_11target_archE1100ELNS1_3gpuE3ELNS1_3repE0EEENS1_47radix_sort_onesweep_sort_config_static_selectorELNS0_4arch9wavefront6targetE1EEEvSK_
	.globl	_ZN7rocprim17ROCPRIM_400000_NS6detail17trampoline_kernelINS0_14default_configENS1_35radix_sort_onesweep_config_selectorIjNS0_10empty_typeEEEZZNS1_29radix_sort_onesweep_iterationIS3_Lb0EN6thrust23THRUST_200600_302600_NS6detail15normal_iteratorINS9_10device_ptrIjEEEESE_PS5_SF_jNS0_19identity_decomposerENS1_16block_id_wrapperIjLb0EEEEE10hipError_tT1_PNSt15iterator_traitsISK_E10value_typeET2_T3_PNSL_ISQ_E10value_typeET4_T5_PSV_SW_PNS1_23onesweep_lookback_stateEbbT6_jjT7_P12ihipStream_tbENKUlT_T0_SK_SP_E_clIPjSE_SF_SF_EEDaS13_S14_SK_SP_EUlS13_E_NS1_11comp_targetILNS1_3genE9ELNS1_11target_archE1100ELNS1_3gpuE3ELNS1_3repE0EEENS1_47radix_sort_onesweep_sort_config_static_selectorELNS0_4arch9wavefront6targetE1EEEvSK_
	.p2align	8
	.type	_ZN7rocprim17ROCPRIM_400000_NS6detail17trampoline_kernelINS0_14default_configENS1_35radix_sort_onesweep_config_selectorIjNS0_10empty_typeEEEZZNS1_29radix_sort_onesweep_iterationIS3_Lb0EN6thrust23THRUST_200600_302600_NS6detail15normal_iteratorINS9_10device_ptrIjEEEESE_PS5_SF_jNS0_19identity_decomposerENS1_16block_id_wrapperIjLb0EEEEE10hipError_tT1_PNSt15iterator_traitsISK_E10value_typeET2_T3_PNSL_ISQ_E10value_typeET4_T5_PSV_SW_PNS1_23onesweep_lookback_stateEbbT6_jjT7_P12ihipStream_tbENKUlT_T0_SK_SP_E_clIPjSE_SF_SF_EEDaS13_S14_SK_SP_EUlS13_E_NS1_11comp_targetILNS1_3genE9ELNS1_11target_archE1100ELNS1_3gpuE3ELNS1_3repE0EEENS1_47radix_sort_onesweep_sort_config_static_selectorELNS0_4arch9wavefront6targetE1EEEvSK_,@function
_ZN7rocprim17ROCPRIM_400000_NS6detail17trampoline_kernelINS0_14default_configENS1_35radix_sort_onesweep_config_selectorIjNS0_10empty_typeEEEZZNS1_29radix_sort_onesweep_iterationIS3_Lb0EN6thrust23THRUST_200600_302600_NS6detail15normal_iteratorINS9_10device_ptrIjEEEESE_PS5_SF_jNS0_19identity_decomposerENS1_16block_id_wrapperIjLb0EEEEE10hipError_tT1_PNSt15iterator_traitsISK_E10value_typeET2_T3_PNSL_ISQ_E10value_typeET4_T5_PSV_SW_PNS1_23onesweep_lookback_stateEbbT6_jjT7_P12ihipStream_tbENKUlT_T0_SK_SP_E_clIPjSE_SF_SF_EEDaS13_S14_SK_SP_EUlS13_E_NS1_11comp_targetILNS1_3genE9ELNS1_11target_archE1100ELNS1_3gpuE3ELNS1_3repE0EEENS1_47radix_sort_onesweep_sort_config_static_selectorELNS0_4arch9wavefront6targetE1EEEvSK_: ; @_ZN7rocprim17ROCPRIM_400000_NS6detail17trampoline_kernelINS0_14default_configENS1_35radix_sort_onesweep_config_selectorIjNS0_10empty_typeEEEZZNS1_29radix_sort_onesweep_iterationIS3_Lb0EN6thrust23THRUST_200600_302600_NS6detail15normal_iteratorINS9_10device_ptrIjEEEESE_PS5_SF_jNS0_19identity_decomposerENS1_16block_id_wrapperIjLb0EEEEE10hipError_tT1_PNSt15iterator_traitsISK_E10value_typeET2_T3_PNSL_ISQ_E10value_typeET4_T5_PSV_SW_PNS1_23onesweep_lookback_stateEbbT6_jjT7_P12ihipStream_tbENKUlT_T0_SK_SP_E_clIPjSE_SF_SF_EEDaS13_S14_SK_SP_EUlS13_E_NS1_11comp_targetILNS1_3genE9ELNS1_11target_archE1100ELNS1_3gpuE3ELNS1_3repE0EEENS1_47radix_sort_onesweep_sort_config_static_selectorELNS0_4arch9wavefront6targetE1EEEvSK_
; %bb.0:
	.section	.rodata,"a",@progbits
	.p2align	6, 0x0
	.amdhsa_kernel _ZN7rocprim17ROCPRIM_400000_NS6detail17trampoline_kernelINS0_14default_configENS1_35radix_sort_onesweep_config_selectorIjNS0_10empty_typeEEEZZNS1_29radix_sort_onesweep_iterationIS3_Lb0EN6thrust23THRUST_200600_302600_NS6detail15normal_iteratorINS9_10device_ptrIjEEEESE_PS5_SF_jNS0_19identity_decomposerENS1_16block_id_wrapperIjLb0EEEEE10hipError_tT1_PNSt15iterator_traitsISK_E10value_typeET2_T3_PNSL_ISQ_E10value_typeET4_T5_PSV_SW_PNS1_23onesweep_lookback_stateEbbT6_jjT7_P12ihipStream_tbENKUlT_T0_SK_SP_E_clIPjSE_SF_SF_EEDaS13_S14_SK_SP_EUlS13_E_NS1_11comp_targetILNS1_3genE9ELNS1_11target_archE1100ELNS1_3gpuE3ELNS1_3repE0EEENS1_47radix_sort_onesweep_sort_config_static_selectorELNS0_4arch9wavefront6targetE1EEEvSK_
		.amdhsa_group_segment_fixed_size 0
		.amdhsa_private_segment_fixed_size 0
		.amdhsa_kernarg_size 88
		.amdhsa_user_sgpr_count 2
		.amdhsa_user_sgpr_dispatch_ptr 0
		.amdhsa_user_sgpr_queue_ptr 0
		.amdhsa_user_sgpr_kernarg_segment_ptr 1
		.amdhsa_user_sgpr_dispatch_id 0
		.amdhsa_user_sgpr_kernarg_preload_length 0
		.amdhsa_user_sgpr_kernarg_preload_offset 0
		.amdhsa_user_sgpr_private_segment_size 0
		.amdhsa_uses_dynamic_stack 0
		.amdhsa_enable_private_segment 0
		.amdhsa_system_sgpr_workgroup_id_x 1
		.amdhsa_system_sgpr_workgroup_id_y 0
		.amdhsa_system_sgpr_workgroup_id_z 0
		.amdhsa_system_sgpr_workgroup_info 0
		.amdhsa_system_vgpr_workitem_id 0
		.amdhsa_next_free_vgpr 1
		.amdhsa_next_free_sgpr 0
		.amdhsa_accum_offset 4
		.amdhsa_reserve_vcc 0
		.amdhsa_float_round_mode_32 0
		.amdhsa_float_round_mode_16_64 0
		.amdhsa_float_denorm_mode_32 3
		.amdhsa_float_denorm_mode_16_64 3
		.amdhsa_dx10_clamp 1
		.amdhsa_ieee_mode 1
		.amdhsa_fp16_overflow 0
		.amdhsa_tg_split 0
		.amdhsa_exception_fp_ieee_invalid_op 0
		.amdhsa_exception_fp_denorm_src 0
		.amdhsa_exception_fp_ieee_div_zero 0
		.amdhsa_exception_fp_ieee_overflow 0
		.amdhsa_exception_fp_ieee_underflow 0
		.amdhsa_exception_fp_ieee_inexact 0
		.amdhsa_exception_int_div_zero 0
	.end_amdhsa_kernel
	.section	.text._ZN7rocprim17ROCPRIM_400000_NS6detail17trampoline_kernelINS0_14default_configENS1_35radix_sort_onesweep_config_selectorIjNS0_10empty_typeEEEZZNS1_29radix_sort_onesweep_iterationIS3_Lb0EN6thrust23THRUST_200600_302600_NS6detail15normal_iteratorINS9_10device_ptrIjEEEESE_PS5_SF_jNS0_19identity_decomposerENS1_16block_id_wrapperIjLb0EEEEE10hipError_tT1_PNSt15iterator_traitsISK_E10value_typeET2_T3_PNSL_ISQ_E10value_typeET4_T5_PSV_SW_PNS1_23onesweep_lookback_stateEbbT6_jjT7_P12ihipStream_tbENKUlT_T0_SK_SP_E_clIPjSE_SF_SF_EEDaS13_S14_SK_SP_EUlS13_E_NS1_11comp_targetILNS1_3genE9ELNS1_11target_archE1100ELNS1_3gpuE3ELNS1_3repE0EEENS1_47radix_sort_onesweep_sort_config_static_selectorELNS0_4arch9wavefront6targetE1EEEvSK_,"axG",@progbits,_ZN7rocprim17ROCPRIM_400000_NS6detail17trampoline_kernelINS0_14default_configENS1_35radix_sort_onesweep_config_selectorIjNS0_10empty_typeEEEZZNS1_29radix_sort_onesweep_iterationIS3_Lb0EN6thrust23THRUST_200600_302600_NS6detail15normal_iteratorINS9_10device_ptrIjEEEESE_PS5_SF_jNS0_19identity_decomposerENS1_16block_id_wrapperIjLb0EEEEE10hipError_tT1_PNSt15iterator_traitsISK_E10value_typeET2_T3_PNSL_ISQ_E10value_typeET4_T5_PSV_SW_PNS1_23onesweep_lookback_stateEbbT6_jjT7_P12ihipStream_tbENKUlT_T0_SK_SP_E_clIPjSE_SF_SF_EEDaS13_S14_SK_SP_EUlS13_E_NS1_11comp_targetILNS1_3genE9ELNS1_11target_archE1100ELNS1_3gpuE3ELNS1_3repE0EEENS1_47radix_sort_onesweep_sort_config_static_selectorELNS0_4arch9wavefront6targetE1EEEvSK_,comdat
.Lfunc_end1153:
	.size	_ZN7rocprim17ROCPRIM_400000_NS6detail17trampoline_kernelINS0_14default_configENS1_35radix_sort_onesweep_config_selectorIjNS0_10empty_typeEEEZZNS1_29radix_sort_onesweep_iterationIS3_Lb0EN6thrust23THRUST_200600_302600_NS6detail15normal_iteratorINS9_10device_ptrIjEEEESE_PS5_SF_jNS0_19identity_decomposerENS1_16block_id_wrapperIjLb0EEEEE10hipError_tT1_PNSt15iterator_traitsISK_E10value_typeET2_T3_PNSL_ISQ_E10value_typeET4_T5_PSV_SW_PNS1_23onesweep_lookback_stateEbbT6_jjT7_P12ihipStream_tbENKUlT_T0_SK_SP_E_clIPjSE_SF_SF_EEDaS13_S14_SK_SP_EUlS13_E_NS1_11comp_targetILNS1_3genE9ELNS1_11target_archE1100ELNS1_3gpuE3ELNS1_3repE0EEENS1_47radix_sort_onesweep_sort_config_static_selectorELNS0_4arch9wavefront6targetE1EEEvSK_, .Lfunc_end1153-_ZN7rocprim17ROCPRIM_400000_NS6detail17trampoline_kernelINS0_14default_configENS1_35radix_sort_onesweep_config_selectorIjNS0_10empty_typeEEEZZNS1_29radix_sort_onesweep_iterationIS3_Lb0EN6thrust23THRUST_200600_302600_NS6detail15normal_iteratorINS9_10device_ptrIjEEEESE_PS5_SF_jNS0_19identity_decomposerENS1_16block_id_wrapperIjLb0EEEEE10hipError_tT1_PNSt15iterator_traitsISK_E10value_typeET2_T3_PNSL_ISQ_E10value_typeET4_T5_PSV_SW_PNS1_23onesweep_lookback_stateEbbT6_jjT7_P12ihipStream_tbENKUlT_T0_SK_SP_E_clIPjSE_SF_SF_EEDaS13_S14_SK_SP_EUlS13_E_NS1_11comp_targetILNS1_3genE9ELNS1_11target_archE1100ELNS1_3gpuE3ELNS1_3repE0EEENS1_47radix_sort_onesweep_sort_config_static_selectorELNS0_4arch9wavefront6targetE1EEEvSK_
                                        ; -- End function
	.section	.AMDGPU.csdata,"",@progbits
; Kernel info:
; codeLenInByte = 0
; NumSgprs: 6
; NumVgprs: 0
; NumAgprs: 0
; TotalNumVgprs: 0
; ScratchSize: 0
; MemoryBound: 0
; FloatMode: 240
; IeeeMode: 1
; LDSByteSize: 0 bytes/workgroup (compile time only)
; SGPRBlocks: 0
; VGPRBlocks: 0
; NumSGPRsForWavesPerEU: 6
; NumVGPRsForWavesPerEU: 1
; AccumOffset: 4
; Occupancy: 8
; WaveLimiterHint : 0
; COMPUTE_PGM_RSRC2:SCRATCH_EN: 0
; COMPUTE_PGM_RSRC2:USER_SGPR: 2
; COMPUTE_PGM_RSRC2:TRAP_HANDLER: 0
; COMPUTE_PGM_RSRC2:TGID_X_EN: 1
; COMPUTE_PGM_RSRC2:TGID_Y_EN: 0
; COMPUTE_PGM_RSRC2:TGID_Z_EN: 0
; COMPUTE_PGM_RSRC2:TIDIG_COMP_CNT: 0
; COMPUTE_PGM_RSRC3_GFX90A:ACCUM_OFFSET: 0
; COMPUTE_PGM_RSRC3_GFX90A:TG_SPLIT: 0
	.section	.text._ZN7rocprim17ROCPRIM_400000_NS6detail17trampoline_kernelINS0_14default_configENS1_35radix_sort_onesweep_config_selectorIjNS0_10empty_typeEEEZZNS1_29radix_sort_onesweep_iterationIS3_Lb0EN6thrust23THRUST_200600_302600_NS6detail15normal_iteratorINS9_10device_ptrIjEEEESE_PS5_SF_jNS0_19identity_decomposerENS1_16block_id_wrapperIjLb0EEEEE10hipError_tT1_PNSt15iterator_traitsISK_E10value_typeET2_T3_PNSL_ISQ_E10value_typeET4_T5_PSV_SW_PNS1_23onesweep_lookback_stateEbbT6_jjT7_P12ihipStream_tbENKUlT_T0_SK_SP_E_clIPjSE_SF_SF_EEDaS13_S14_SK_SP_EUlS13_E_NS1_11comp_targetILNS1_3genE8ELNS1_11target_archE1030ELNS1_3gpuE2ELNS1_3repE0EEENS1_47radix_sort_onesweep_sort_config_static_selectorELNS0_4arch9wavefront6targetE1EEEvSK_,"axG",@progbits,_ZN7rocprim17ROCPRIM_400000_NS6detail17trampoline_kernelINS0_14default_configENS1_35radix_sort_onesweep_config_selectorIjNS0_10empty_typeEEEZZNS1_29radix_sort_onesweep_iterationIS3_Lb0EN6thrust23THRUST_200600_302600_NS6detail15normal_iteratorINS9_10device_ptrIjEEEESE_PS5_SF_jNS0_19identity_decomposerENS1_16block_id_wrapperIjLb0EEEEE10hipError_tT1_PNSt15iterator_traitsISK_E10value_typeET2_T3_PNSL_ISQ_E10value_typeET4_T5_PSV_SW_PNS1_23onesweep_lookback_stateEbbT6_jjT7_P12ihipStream_tbENKUlT_T0_SK_SP_E_clIPjSE_SF_SF_EEDaS13_S14_SK_SP_EUlS13_E_NS1_11comp_targetILNS1_3genE8ELNS1_11target_archE1030ELNS1_3gpuE2ELNS1_3repE0EEENS1_47radix_sort_onesweep_sort_config_static_selectorELNS0_4arch9wavefront6targetE1EEEvSK_,comdat
	.protected	_ZN7rocprim17ROCPRIM_400000_NS6detail17trampoline_kernelINS0_14default_configENS1_35radix_sort_onesweep_config_selectorIjNS0_10empty_typeEEEZZNS1_29radix_sort_onesweep_iterationIS3_Lb0EN6thrust23THRUST_200600_302600_NS6detail15normal_iteratorINS9_10device_ptrIjEEEESE_PS5_SF_jNS0_19identity_decomposerENS1_16block_id_wrapperIjLb0EEEEE10hipError_tT1_PNSt15iterator_traitsISK_E10value_typeET2_T3_PNSL_ISQ_E10value_typeET4_T5_PSV_SW_PNS1_23onesweep_lookback_stateEbbT6_jjT7_P12ihipStream_tbENKUlT_T0_SK_SP_E_clIPjSE_SF_SF_EEDaS13_S14_SK_SP_EUlS13_E_NS1_11comp_targetILNS1_3genE8ELNS1_11target_archE1030ELNS1_3gpuE2ELNS1_3repE0EEENS1_47radix_sort_onesweep_sort_config_static_selectorELNS0_4arch9wavefront6targetE1EEEvSK_ ; -- Begin function _ZN7rocprim17ROCPRIM_400000_NS6detail17trampoline_kernelINS0_14default_configENS1_35radix_sort_onesweep_config_selectorIjNS0_10empty_typeEEEZZNS1_29radix_sort_onesweep_iterationIS3_Lb0EN6thrust23THRUST_200600_302600_NS6detail15normal_iteratorINS9_10device_ptrIjEEEESE_PS5_SF_jNS0_19identity_decomposerENS1_16block_id_wrapperIjLb0EEEEE10hipError_tT1_PNSt15iterator_traitsISK_E10value_typeET2_T3_PNSL_ISQ_E10value_typeET4_T5_PSV_SW_PNS1_23onesweep_lookback_stateEbbT6_jjT7_P12ihipStream_tbENKUlT_T0_SK_SP_E_clIPjSE_SF_SF_EEDaS13_S14_SK_SP_EUlS13_E_NS1_11comp_targetILNS1_3genE8ELNS1_11target_archE1030ELNS1_3gpuE2ELNS1_3repE0EEENS1_47radix_sort_onesweep_sort_config_static_selectorELNS0_4arch9wavefront6targetE1EEEvSK_
	.globl	_ZN7rocprim17ROCPRIM_400000_NS6detail17trampoline_kernelINS0_14default_configENS1_35radix_sort_onesweep_config_selectorIjNS0_10empty_typeEEEZZNS1_29radix_sort_onesweep_iterationIS3_Lb0EN6thrust23THRUST_200600_302600_NS6detail15normal_iteratorINS9_10device_ptrIjEEEESE_PS5_SF_jNS0_19identity_decomposerENS1_16block_id_wrapperIjLb0EEEEE10hipError_tT1_PNSt15iterator_traitsISK_E10value_typeET2_T3_PNSL_ISQ_E10value_typeET4_T5_PSV_SW_PNS1_23onesweep_lookback_stateEbbT6_jjT7_P12ihipStream_tbENKUlT_T0_SK_SP_E_clIPjSE_SF_SF_EEDaS13_S14_SK_SP_EUlS13_E_NS1_11comp_targetILNS1_3genE8ELNS1_11target_archE1030ELNS1_3gpuE2ELNS1_3repE0EEENS1_47radix_sort_onesweep_sort_config_static_selectorELNS0_4arch9wavefront6targetE1EEEvSK_
	.p2align	8
	.type	_ZN7rocprim17ROCPRIM_400000_NS6detail17trampoline_kernelINS0_14default_configENS1_35radix_sort_onesweep_config_selectorIjNS0_10empty_typeEEEZZNS1_29radix_sort_onesweep_iterationIS3_Lb0EN6thrust23THRUST_200600_302600_NS6detail15normal_iteratorINS9_10device_ptrIjEEEESE_PS5_SF_jNS0_19identity_decomposerENS1_16block_id_wrapperIjLb0EEEEE10hipError_tT1_PNSt15iterator_traitsISK_E10value_typeET2_T3_PNSL_ISQ_E10value_typeET4_T5_PSV_SW_PNS1_23onesweep_lookback_stateEbbT6_jjT7_P12ihipStream_tbENKUlT_T0_SK_SP_E_clIPjSE_SF_SF_EEDaS13_S14_SK_SP_EUlS13_E_NS1_11comp_targetILNS1_3genE8ELNS1_11target_archE1030ELNS1_3gpuE2ELNS1_3repE0EEENS1_47radix_sort_onesweep_sort_config_static_selectorELNS0_4arch9wavefront6targetE1EEEvSK_,@function
_ZN7rocprim17ROCPRIM_400000_NS6detail17trampoline_kernelINS0_14default_configENS1_35radix_sort_onesweep_config_selectorIjNS0_10empty_typeEEEZZNS1_29radix_sort_onesweep_iterationIS3_Lb0EN6thrust23THRUST_200600_302600_NS6detail15normal_iteratorINS9_10device_ptrIjEEEESE_PS5_SF_jNS0_19identity_decomposerENS1_16block_id_wrapperIjLb0EEEEE10hipError_tT1_PNSt15iterator_traitsISK_E10value_typeET2_T3_PNSL_ISQ_E10value_typeET4_T5_PSV_SW_PNS1_23onesweep_lookback_stateEbbT6_jjT7_P12ihipStream_tbENKUlT_T0_SK_SP_E_clIPjSE_SF_SF_EEDaS13_S14_SK_SP_EUlS13_E_NS1_11comp_targetILNS1_3genE8ELNS1_11target_archE1030ELNS1_3gpuE2ELNS1_3repE0EEENS1_47radix_sort_onesweep_sort_config_static_selectorELNS0_4arch9wavefront6targetE1EEEvSK_: ; @_ZN7rocprim17ROCPRIM_400000_NS6detail17trampoline_kernelINS0_14default_configENS1_35radix_sort_onesweep_config_selectorIjNS0_10empty_typeEEEZZNS1_29radix_sort_onesweep_iterationIS3_Lb0EN6thrust23THRUST_200600_302600_NS6detail15normal_iteratorINS9_10device_ptrIjEEEESE_PS5_SF_jNS0_19identity_decomposerENS1_16block_id_wrapperIjLb0EEEEE10hipError_tT1_PNSt15iterator_traitsISK_E10value_typeET2_T3_PNSL_ISQ_E10value_typeET4_T5_PSV_SW_PNS1_23onesweep_lookback_stateEbbT6_jjT7_P12ihipStream_tbENKUlT_T0_SK_SP_E_clIPjSE_SF_SF_EEDaS13_S14_SK_SP_EUlS13_E_NS1_11comp_targetILNS1_3genE8ELNS1_11target_archE1030ELNS1_3gpuE2ELNS1_3repE0EEENS1_47radix_sort_onesweep_sort_config_static_selectorELNS0_4arch9wavefront6targetE1EEEvSK_
; %bb.0:
	.section	.rodata,"a",@progbits
	.p2align	6, 0x0
	.amdhsa_kernel _ZN7rocprim17ROCPRIM_400000_NS6detail17trampoline_kernelINS0_14default_configENS1_35radix_sort_onesweep_config_selectorIjNS0_10empty_typeEEEZZNS1_29radix_sort_onesweep_iterationIS3_Lb0EN6thrust23THRUST_200600_302600_NS6detail15normal_iteratorINS9_10device_ptrIjEEEESE_PS5_SF_jNS0_19identity_decomposerENS1_16block_id_wrapperIjLb0EEEEE10hipError_tT1_PNSt15iterator_traitsISK_E10value_typeET2_T3_PNSL_ISQ_E10value_typeET4_T5_PSV_SW_PNS1_23onesweep_lookback_stateEbbT6_jjT7_P12ihipStream_tbENKUlT_T0_SK_SP_E_clIPjSE_SF_SF_EEDaS13_S14_SK_SP_EUlS13_E_NS1_11comp_targetILNS1_3genE8ELNS1_11target_archE1030ELNS1_3gpuE2ELNS1_3repE0EEENS1_47radix_sort_onesweep_sort_config_static_selectorELNS0_4arch9wavefront6targetE1EEEvSK_
		.amdhsa_group_segment_fixed_size 0
		.amdhsa_private_segment_fixed_size 0
		.amdhsa_kernarg_size 88
		.amdhsa_user_sgpr_count 2
		.amdhsa_user_sgpr_dispatch_ptr 0
		.amdhsa_user_sgpr_queue_ptr 0
		.amdhsa_user_sgpr_kernarg_segment_ptr 1
		.amdhsa_user_sgpr_dispatch_id 0
		.amdhsa_user_sgpr_kernarg_preload_length 0
		.amdhsa_user_sgpr_kernarg_preload_offset 0
		.amdhsa_user_sgpr_private_segment_size 0
		.amdhsa_uses_dynamic_stack 0
		.amdhsa_enable_private_segment 0
		.amdhsa_system_sgpr_workgroup_id_x 1
		.amdhsa_system_sgpr_workgroup_id_y 0
		.amdhsa_system_sgpr_workgroup_id_z 0
		.amdhsa_system_sgpr_workgroup_info 0
		.amdhsa_system_vgpr_workitem_id 0
		.amdhsa_next_free_vgpr 1
		.amdhsa_next_free_sgpr 0
		.amdhsa_accum_offset 4
		.amdhsa_reserve_vcc 0
		.amdhsa_float_round_mode_32 0
		.amdhsa_float_round_mode_16_64 0
		.amdhsa_float_denorm_mode_32 3
		.amdhsa_float_denorm_mode_16_64 3
		.amdhsa_dx10_clamp 1
		.amdhsa_ieee_mode 1
		.amdhsa_fp16_overflow 0
		.amdhsa_tg_split 0
		.amdhsa_exception_fp_ieee_invalid_op 0
		.amdhsa_exception_fp_denorm_src 0
		.amdhsa_exception_fp_ieee_div_zero 0
		.amdhsa_exception_fp_ieee_overflow 0
		.amdhsa_exception_fp_ieee_underflow 0
		.amdhsa_exception_fp_ieee_inexact 0
		.amdhsa_exception_int_div_zero 0
	.end_amdhsa_kernel
	.section	.text._ZN7rocprim17ROCPRIM_400000_NS6detail17trampoline_kernelINS0_14default_configENS1_35radix_sort_onesweep_config_selectorIjNS0_10empty_typeEEEZZNS1_29radix_sort_onesweep_iterationIS3_Lb0EN6thrust23THRUST_200600_302600_NS6detail15normal_iteratorINS9_10device_ptrIjEEEESE_PS5_SF_jNS0_19identity_decomposerENS1_16block_id_wrapperIjLb0EEEEE10hipError_tT1_PNSt15iterator_traitsISK_E10value_typeET2_T3_PNSL_ISQ_E10value_typeET4_T5_PSV_SW_PNS1_23onesweep_lookback_stateEbbT6_jjT7_P12ihipStream_tbENKUlT_T0_SK_SP_E_clIPjSE_SF_SF_EEDaS13_S14_SK_SP_EUlS13_E_NS1_11comp_targetILNS1_3genE8ELNS1_11target_archE1030ELNS1_3gpuE2ELNS1_3repE0EEENS1_47radix_sort_onesweep_sort_config_static_selectorELNS0_4arch9wavefront6targetE1EEEvSK_,"axG",@progbits,_ZN7rocprim17ROCPRIM_400000_NS6detail17trampoline_kernelINS0_14default_configENS1_35radix_sort_onesweep_config_selectorIjNS0_10empty_typeEEEZZNS1_29radix_sort_onesweep_iterationIS3_Lb0EN6thrust23THRUST_200600_302600_NS6detail15normal_iteratorINS9_10device_ptrIjEEEESE_PS5_SF_jNS0_19identity_decomposerENS1_16block_id_wrapperIjLb0EEEEE10hipError_tT1_PNSt15iterator_traitsISK_E10value_typeET2_T3_PNSL_ISQ_E10value_typeET4_T5_PSV_SW_PNS1_23onesweep_lookback_stateEbbT6_jjT7_P12ihipStream_tbENKUlT_T0_SK_SP_E_clIPjSE_SF_SF_EEDaS13_S14_SK_SP_EUlS13_E_NS1_11comp_targetILNS1_3genE8ELNS1_11target_archE1030ELNS1_3gpuE2ELNS1_3repE0EEENS1_47radix_sort_onesweep_sort_config_static_selectorELNS0_4arch9wavefront6targetE1EEEvSK_,comdat
.Lfunc_end1154:
	.size	_ZN7rocprim17ROCPRIM_400000_NS6detail17trampoline_kernelINS0_14default_configENS1_35radix_sort_onesweep_config_selectorIjNS0_10empty_typeEEEZZNS1_29radix_sort_onesweep_iterationIS3_Lb0EN6thrust23THRUST_200600_302600_NS6detail15normal_iteratorINS9_10device_ptrIjEEEESE_PS5_SF_jNS0_19identity_decomposerENS1_16block_id_wrapperIjLb0EEEEE10hipError_tT1_PNSt15iterator_traitsISK_E10value_typeET2_T3_PNSL_ISQ_E10value_typeET4_T5_PSV_SW_PNS1_23onesweep_lookback_stateEbbT6_jjT7_P12ihipStream_tbENKUlT_T0_SK_SP_E_clIPjSE_SF_SF_EEDaS13_S14_SK_SP_EUlS13_E_NS1_11comp_targetILNS1_3genE8ELNS1_11target_archE1030ELNS1_3gpuE2ELNS1_3repE0EEENS1_47radix_sort_onesweep_sort_config_static_selectorELNS0_4arch9wavefront6targetE1EEEvSK_, .Lfunc_end1154-_ZN7rocprim17ROCPRIM_400000_NS6detail17trampoline_kernelINS0_14default_configENS1_35radix_sort_onesweep_config_selectorIjNS0_10empty_typeEEEZZNS1_29radix_sort_onesweep_iterationIS3_Lb0EN6thrust23THRUST_200600_302600_NS6detail15normal_iteratorINS9_10device_ptrIjEEEESE_PS5_SF_jNS0_19identity_decomposerENS1_16block_id_wrapperIjLb0EEEEE10hipError_tT1_PNSt15iterator_traitsISK_E10value_typeET2_T3_PNSL_ISQ_E10value_typeET4_T5_PSV_SW_PNS1_23onesweep_lookback_stateEbbT6_jjT7_P12ihipStream_tbENKUlT_T0_SK_SP_E_clIPjSE_SF_SF_EEDaS13_S14_SK_SP_EUlS13_E_NS1_11comp_targetILNS1_3genE8ELNS1_11target_archE1030ELNS1_3gpuE2ELNS1_3repE0EEENS1_47radix_sort_onesweep_sort_config_static_selectorELNS0_4arch9wavefront6targetE1EEEvSK_
                                        ; -- End function
	.section	.AMDGPU.csdata,"",@progbits
; Kernel info:
; codeLenInByte = 0
; NumSgprs: 6
; NumVgprs: 0
; NumAgprs: 0
; TotalNumVgprs: 0
; ScratchSize: 0
; MemoryBound: 0
; FloatMode: 240
; IeeeMode: 1
; LDSByteSize: 0 bytes/workgroup (compile time only)
; SGPRBlocks: 0
; VGPRBlocks: 0
; NumSGPRsForWavesPerEU: 6
; NumVGPRsForWavesPerEU: 1
; AccumOffset: 4
; Occupancy: 8
; WaveLimiterHint : 0
; COMPUTE_PGM_RSRC2:SCRATCH_EN: 0
; COMPUTE_PGM_RSRC2:USER_SGPR: 2
; COMPUTE_PGM_RSRC2:TRAP_HANDLER: 0
; COMPUTE_PGM_RSRC2:TGID_X_EN: 1
; COMPUTE_PGM_RSRC2:TGID_Y_EN: 0
; COMPUTE_PGM_RSRC2:TGID_Z_EN: 0
; COMPUTE_PGM_RSRC2:TIDIG_COMP_CNT: 0
; COMPUTE_PGM_RSRC3_GFX90A:ACCUM_OFFSET: 0
; COMPUTE_PGM_RSRC3_GFX90A:TG_SPLIT: 0
	.section	.text._ZN6thrust23THRUST_200600_302600_NS11hip_rocprim14__parallel_for6kernelILj256ENS1_20__uninitialized_copy7functorINS0_6detail15normal_iteratorINS0_10device_ptrItEEEENS7_INS0_7pointerItNS1_3tagENS0_11use_defaultESD_EEEEEElLj1EEEvT0_T1_SI_,"axG",@progbits,_ZN6thrust23THRUST_200600_302600_NS11hip_rocprim14__parallel_for6kernelILj256ENS1_20__uninitialized_copy7functorINS0_6detail15normal_iteratorINS0_10device_ptrItEEEENS7_INS0_7pointerItNS1_3tagENS0_11use_defaultESD_EEEEEElLj1EEEvT0_T1_SI_,comdat
	.protected	_ZN6thrust23THRUST_200600_302600_NS11hip_rocprim14__parallel_for6kernelILj256ENS1_20__uninitialized_copy7functorINS0_6detail15normal_iteratorINS0_10device_ptrItEEEENS7_INS0_7pointerItNS1_3tagENS0_11use_defaultESD_EEEEEElLj1EEEvT0_T1_SI_ ; -- Begin function _ZN6thrust23THRUST_200600_302600_NS11hip_rocprim14__parallel_for6kernelILj256ENS1_20__uninitialized_copy7functorINS0_6detail15normal_iteratorINS0_10device_ptrItEEEENS7_INS0_7pointerItNS1_3tagENS0_11use_defaultESD_EEEEEElLj1EEEvT0_T1_SI_
	.globl	_ZN6thrust23THRUST_200600_302600_NS11hip_rocprim14__parallel_for6kernelILj256ENS1_20__uninitialized_copy7functorINS0_6detail15normal_iteratorINS0_10device_ptrItEEEENS7_INS0_7pointerItNS1_3tagENS0_11use_defaultESD_EEEEEElLj1EEEvT0_T1_SI_
	.p2align	8
	.type	_ZN6thrust23THRUST_200600_302600_NS11hip_rocprim14__parallel_for6kernelILj256ENS1_20__uninitialized_copy7functorINS0_6detail15normal_iteratorINS0_10device_ptrItEEEENS7_INS0_7pointerItNS1_3tagENS0_11use_defaultESD_EEEEEElLj1EEEvT0_T1_SI_,@function
_ZN6thrust23THRUST_200600_302600_NS11hip_rocprim14__parallel_for6kernelILj256ENS1_20__uninitialized_copy7functorINS0_6detail15normal_iteratorINS0_10device_ptrItEEEENS7_INS0_7pointerItNS1_3tagENS0_11use_defaultESD_EEEEEElLj1EEEvT0_T1_SI_: ; @_ZN6thrust23THRUST_200600_302600_NS11hip_rocprim14__parallel_for6kernelILj256ENS1_20__uninitialized_copy7functorINS0_6detail15normal_iteratorINS0_10device_ptrItEEEENS7_INS0_7pointerItNS1_3tagENS0_11use_defaultESD_EEEEEElLj1EEEvT0_T1_SI_
; %bb.0:
	s_load_dwordx8 s[4:11], s[0:1], 0x0
	s_lshl_b32 s0, s2, 8
	v_mov_b64_e32 v[2:3], 0x100
	s_waitcnt lgkmcnt(0)
	s_add_u32 s0, s0, s10
	s_addc_u32 s1, 0, s11
	s_sub_u32 s2, s8, s0
	s_subb_u32 s3, s9, s1
	v_cmp_lt_i64_e32 vcc, s[2:3], v[2:3]
	s_and_b64 s[8:9], vcc, exec
	s_cselect_b32 s2, s2, 0x100
	s_cmpk_lg_i32 s2, 0x100
	s_cbranch_scc0 .LBB1155_4
; %bb.1:
	v_cmp_gt_u32_e32 vcc, s2, v0
	s_mov_b64 s[8:9], 0
	s_mov_b64 s[2:3], 0
                                        ; implicit-def: $vgpr2_vgpr3
                                        ; implicit-def: $vgpr4_vgpr5
	s_and_saveexec_b64 s[10:11], vcc
	s_xor_b64 s[10:11], exec, s[10:11]
; %bb.2:
	v_mov_b32_e32 v1, 0
	v_lshl_add_u64 v[2:3], s[0:1], 0, v[0:1]
	v_lshlrev_b64 v[4:5], 1, v[2:3]
	s_mov_b64 s[2:3], exec
	v_lshl_add_u64 v[2:3], s[6:7], 0, v[4:5]
	v_lshl_add_u64 v[4:5], s[4:5], 0, v[4:5]
; %bb.3:
	s_or_b64 exec, exec, s[10:11]
	s_and_b64 vcc, exec, s[8:9]
	s_cbranch_vccnz .LBB1155_5
	s_branch .LBB1155_6
.LBB1155_4:
	s_mov_b64 s[2:3], 0
                                        ; implicit-def: $vgpr2_vgpr3
                                        ; implicit-def: $vgpr4_vgpr5
	s_cbranch_execz .LBB1155_6
.LBB1155_5:
	v_mov_b32_e32 v1, 0
	v_lshl_add_u64 v[0:1], s[0:1], 0, v[0:1]
	v_lshlrev_b64 v[0:1], 1, v[0:1]
	v_lshl_add_u64 v[4:5], s[4:5], 0, v[0:1]
	v_lshl_add_u64 v[2:3], s[6:7], 0, v[0:1]
	s_or_b64 s[2:3], s[2:3], exec
.LBB1155_6:
	s_and_saveexec_b64 s[0:1], s[2:3]
	s_cbranch_execnz .LBB1155_8
; %bb.7:
	s_endpgm
.LBB1155_8:
	flat_load_ushort v0, v[4:5]
	s_waitcnt vmcnt(0) lgkmcnt(0)
	flat_store_short v[2:3], v0
	s_endpgm
	.section	.rodata,"a",@progbits
	.p2align	6, 0x0
	.amdhsa_kernel _ZN6thrust23THRUST_200600_302600_NS11hip_rocprim14__parallel_for6kernelILj256ENS1_20__uninitialized_copy7functorINS0_6detail15normal_iteratorINS0_10device_ptrItEEEENS7_INS0_7pointerItNS1_3tagENS0_11use_defaultESD_EEEEEElLj1EEEvT0_T1_SI_
		.amdhsa_group_segment_fixed_size 0
		.amdhsa_private_segment_fixed_size 0
		.amdhsa_kernarg_size 32
		.amdhsa_user_sgpr_count 2
		.amdhsa_user_sgpr_dispatch_ptr 0
		.amdhsa_user_sgpr_queue_ptr 0
		.amdhsa_user_sgpr_kernarg_segment_ptr 1
		.amdhsa_user_sgpr_dispatch_id 0
		.amdhsa_user_sgpr_kernarg_preload_length 0
		.amdhsa_user_sgpr_kernarg_preload_offset 0
		.amdhsa_user_sgpr_private_segment_size 0
		.amdhsa_uses_dynamic_stack 0
		.amdhsa_enable_private_segment 0
		.amdhsa_system_sgpr_workgroup_id_x 1
		.amdhsa_system_sgpr_workgroup_id_y 0
		.amdhsa_system_sgpr_workgroup_id_z 0
		.amdhsa_system_sgpr_workgroup_info 0
		.amdhsa_system_vgpr_workitem_id 0
		.amdhsa_next_free_vgpr 6
		.amdhsa_next_free_sgpr 12
		.amdhsa_accum_offset 8
		.amdhsa_reserve_vcc 1
		.amdhsa_float_round_mode_32 0
		.amdhsa_float_round_mode_16_64 0
		.amdhsa_float_denorm_mode_32 3
		.amdhsa_float_denorm_mode_16_64 3
		.amdhsa_dx10_clamp 1
		.amdhsa_ieee_mode 1
		.amdhsa_fp16_overflow 0
		.amdhsa_tg_split 0
		.amdhsa_exception_fp_ieee_invalid_op 0
		.amdhsa_exception_fp_denorm_src 0
		.amdhsa_exception_fp_ieee_div_zero 0
		.amdhsa_exception_fp_ieee_overflow 0
		.amdhsa_exception_fp_ieee_underflow 0
		.amdhsa_exception_fp_ieee_inexact 0
		.amdhsa_exception_int_div_zero 0
	.end_amdhsa_kernel
	.section	.text._ZN6thrust23THRUST_200600_302600_NS11hip_rocprim14__parallel_for6kernelILj256ENS1_20__uninitialized_copy7functorINS0_6detail15normal_iteratorINS0_10device_ptrItEEEENS7_INS0_7pointerItNS1_3tagENS0_11use_defaultESD_EEEEEElLj1EEEvT0_T1_SI_,"axG",@progbits,_ZN6thrust23THRUST_200600_302600_NS11hip_rocprim14__parallel_for6kernelILj256ENS1_20__uninitialized_copy7functorINS0_6detail15normal_iteratorINS0_10device_ptrItEEEENS7_INS0_7pointerItNS1_3tagENS0_11use_defaultESD_EEEEEElLj1EEEvT0_T1_SI_,comdat
.Lfunc_end1155:
	.size	_ZN6thrust23THRUST_200600_302600_NS11hip_rocprim14__parallel_for6kernelILj256ENS1_20__uninitialized_copy7functorINS0_6detail15normal_iteratorINS0_10device_ptrItEEEENS7_INS0_7pointerItNS1_3tagENS0_11use_defaultESD_EEEEEElLj1EEEvT0_T1_SI_, .Lfunc_end1155-_ZN6thrust23THRUST_200600_302600_NS11hip_rocprim14__parallel_for6kernelILj256ENS1_20__uninitialized_copy7functorINS0_6detail15normal_iteratorINS0_10device_ptrItEEEENS7_INS0_7pointerItNS1_3tagENS0_11use_defaultESD_EEEEEElLj1EEEvT0_T1_SI_
                                        ; -- End function
	.section	.AMDGPU.csdata,"",@progbits
; Kernel info:
; codeLenInByte = 224
; NumSgprs: 18
; NumVgprs: 6
; NumAgprs: 0
; TotalNumVgprs: 6
; ScratchSize: 0
; MemoryBound: 0
; FloatMode: 240
; IeeeMode: 1
; LDSByteSize: 0 bytes/workgroup (compile time only)
; SGPRBlocks: 2
; VGPRBlocks: 0
; NumSGPRsForWavesPerEU: 18
; NumVGPRsForWavesPerEU: 6
; AccumOffset: 8
; Occupancy: 8
; WaveLimiterHint : 0
; COMPUTE_PGM_RSRC2:SCRATCH_EN: 0
; COMPUTE_PGM_RSRC2:USER_SGPR: 2
; COMPUTE_PGM_RSRC2:TRAP_HANDLER: 0
; COMPUTE_PGM_RSRC2:TGID_X_EN: 1
; COMPUTE_PGM_RSRC2:TGID_Y_EN: 0
; COMPUTE_PGM_RSRC2:TGID_Z_EN: 0
; COMPUTE_PGM_RSRC2:TIDIG_COMP_CNT: 0
; COMPUTE_PGM_RSRC3_GFX90A:ACCUM_OFFSET: 1
; COMPUTE_PGM_RSRC3_GFX90A:TG_SPLIT: 0
	.section	.text._ZN7rocprim17ROCPRIM_400000_NS6detail17trampoline_kernelINS0_14default_configENS1_25partition_config_selectorILNS1_17partition_subalgoE3EtNS0_10empty_typeEbEEZZNS1_14partition_implILS5_3ELb0ES3_jN6thrust23THRUST_200600_302600_NS6detail15normal_iteratorINSA_7pointerItNSA_11hip_rocprim3tagENSA_11use_defaultESG_EEEEPS6_SJ_NS0_5tupleIJPtSJ_EEENSK_IJSJ_SJ_EEES6_PlJ7is_evenItEEEE10hipError_tPvRmT3_T4_T5_T6_T7_T9_mT8_P12ihipStream_tbDpT10_ENKUlT_T0_E_clISt17integral_constantIbLb0EES1A_EEDaS15_S16_EUlS15_E_NS1_11comp_targetILNS1_3genE0ELNS1_11target_archE4294967295ELNS1_3gpuE0ELNS1_3repE0EEENS1_30default_config_static_selectorELNS0_4arch9wavefront6targetE1EEEvT1_,"axG",@progbits,_ZN7rocprim17ROCPRIM_400000_NS6detail17trampoline_kernelINS0_14default_configENS1_25partition_config_selectorILNS1_17partition_subalgoE3EtNS0_10empty_typeEbEEZZNS1_14partition_implILS5_3ELb0ES3_jN6thrust23THRUST_200600_302600_NS6detail15normal_iteratorINSA_7pointerItNSA_11hip_rocprim3tagENSA_11use_defaultESG_EEEEPS6_SJ_NS0_5tupleIJPtSJ_EEENSK_IJSJ_SJ_EEES6_PlJ7is_evenItEEEE10hipError_tPvRmT3_T4_T5_T6_T7_T9_mT8_P12ihipStream_tbDpT10_ENKUlT_T0_E_clISt17integral_constantIbLb0EES1A_EEDaS15_S16_EUlS15_E_NS1_11comp_targetILNS1_3genE0ELNS1_11target_archE4294967295ELNS1_3gpuE0ELNS1_3repE0EEENS1_30default_config_static_selectorELNS0_4arch9wavefront6targetE1EEEvT1_,comdat
	.protected	_ZN7rocprim17ROCPRIM_400000_NS6detail17trampoline_kernelINS0_14default_configENS1_25partition_config_selectorILNS1_17partition_subalgoE3EtNS0_10empty_typeEbEEZZNS1_14partition_implILS5_3ELb0ES3_jN6thrust23THRUST_200600_302600_NS6detail15normal_iteratorINSA_7pointerItNSA_11hip_rocprim3tagENSA_11use_defaultESG_EEEEPS6_SJ_NS0_5tupleIJPtSJ_EEENSK_IJSJ_SJ_EEES6_PlJ7is_evenItEEEE10hipError_tPvRmT3_T4_T5_T6_T7_T9_mT8_P12ihipStream_tbDpT10_ENKUlT_T0_E_clISt17integral_constantIbLb0EES1A_EEDaS15_S16_EUlS15_E_NS1_11comp_targetILNS1_3genE0ELNS1_11target_archE4294967295ELNS1_3gpuE0ELNS1_3repE0EEENS1_30default_config_static_selectorELNS0_4arch9wavefront6targetE1EEEvT1_ ; -- Begin function _ZN7rocprim17ROCPRIM_400000_NS6detail17trampoline_kernelINS0_14default_configENS1_25partition_config_selectorILNS1_17partition_subalgoE3EtNS0_10empty_typeEbEEZZNS1_14partition_implILS5_3ELb0ES3_jN6thrust23THRUST_200600_302600_NS6detail15normal_iteratorINSA_7pointerItNSA_11hip_rocprim3tagENSA_11use_defaultESG_EEEEPS6_SJ_NS0_5tupleIJPtSJ_EEENSK_IJSJ_SJ_EEES6_PlJ7is_evenItEEEE10hipError_tPvRmT3_T4_T5_T6_T7_T9_mT8_P12ihipStream_tbDpT10_ENKUlT_T0_E_clISt17integral_constantIbLb0EES1A_EEDaS15_S16_EUlS15_E_NS1_11comp_targetILNS1_3genE0ELNS1_11target_archE4294967295ELNS1_3gpuE0ELNS1_3repE0EEENS1_30default_config_static_selectorELNS0_4arch9wavefront6targetE1EEEvT1_
	.globl	_ZN7rocprim17ROCPRIM_400000_NS6detail17trampoline_kernelINS0_14default_configENS1_25partition_config_selectorILNS1_17partition_subalgoE3EtNS0_10empty_typeEbEEZZNS1_14partition_implILS5_3ELb0ES3_jN6thrust23THRUST_200600_302600_NS6detail15normal_iteratorINSA_7pointerItNSA_11hip_rocprim3tagENSA_11use_defaultESG_EEEEPS6_SJ_NS0_5tupleIJPtSJ_EEENSK_IJSJ_SJ_EEES6_PlJ7is_evenItEEEE10hipError_tPvRmT3_T4_T5_T6_T7_T9_mT8_P12ihipStream_tbDpT10_ENKUlT_T0_E_clISt17integral_constantIbLb0EES1A_EEDaS15_S16_EUlS15_E_NS1_11comp_targetILNS1_3genE0ELNS1_11target_archE4294967295ELNS1_3gpuE0ELNS1_3repE0EEENS1_30default_config_static_selectorELNS0_4arch9wavefront6targetE1EEEvT1_
	.p2align	8
	.type	_ZN7rocprim17ROCPRIM_400000_NS6detail17trampoline_kernelINS0_14default_configENS1_25partition_config_selectorILNS1_17partition_subalgoE3EtNS0_10empty_typeEbEEZZNS1_14partition_implILS5_3ELb0ES3_jN6thrust23THRUST_200600_302600_NS6detail15normal_iteratorINSA_7pointerItNSA_11hip_rocprim3tagENSA_11use_defaultESG_EEEEPS6_SJ_NS0_5tupleIJPtSJ_EEENSK_IJSJ_SJ_EEES6_PlJ7is_evenItEEEE10hipError_tPvRmT3_T4_T5_T6_T7_T9_mT8_P12ihipStream_tbDpT10_ENKUlT_T0_E_clISt17integral_constantIbLb0EES1A_EEDaS15_S16_EUlS15_E_NS1_11comp_targetILNS1_3genE0ELNS1_11target_archE4294967295ELNS1_3gpuE0ELNS1_3repE0EEENS1_30default_config_static_selectorELNS0_4arch9wavefront6targetE1EEEvT1_,@function
_ZN7rocprim17ROCPRIM_400000_NS6detail17trampoline_kernelINS0_14default_configENS1_25partition_config_selectorILNS1_17partition_subalgoE3EtNS0_10empty_typeEbEEZZNS1_14partition_implILS5_3ELb0ES3_jN6thrust23THRUST_200600_302600_NS6detail15normal_iteratorINSA_7pointerItNSA_11hip_rocprim3tagENSA_11use_defaultESG_EEEEPS6_SJ_NS0_5tupleIJPtSJ_EEENSK_IJSJ_SJ_EEES6_PlJ7is_evenItEEEE10hipError_tPvRmT3_T4_T5_T6_T7_T9_mT8_P12ihipStream_tbDpT10_ENKUlT_T0_E_clISt17integral_constantIbLb0EES1A_EEDaS15_S16_EUlS15_E_NS1_11comp_targetILNS1_3genE0ELNS1_11target_archE4294967295ELNS1_3gpuE0ELNS1_3repE0EEENS1_30default_config_static_selectorELNS0_4arch9wavefront6targetE1EEEvT1_: ; @_ZN7rocprim17ROCPRIM_400000_NS6detail17trampoline_kernelINS0_14default_configENS1_25partition_config_selectorILNS1_17partition_subalgoE3EtNS0_10empty_typeEbEEZZNS1_14partition_implILS5_3ELb0ES3_jN6thrust23THRUST_200600_302600_NS6detail15normal_iteratorINSA_7pointerItNSA_11hip_rocprim3tagENSA_11use_defaultESG_EEEEPS6_SJ_NS0_5tupleIJPtSJ_EEENSK_IJSJ_SJ_EEES6_PlJ7is_evenItEEEE10hipError_tPvRmT3_T4_T5_T6_T7_T9_mT8_P12ihipStream_tbDpT10_ENKUlT_T0_E_clISt17integral_constantIbLb0EES1A_EEDaS15_S16_EUlS15_E_NS1_11comp_targetILNS1_3genE0ELNS1_11target_archE4294967295ELNS1_3gpuE0ELNS1_3repE0EEENS1_30default_config_static_selectorELNS0_4arch9wavefront6targetE1EEEvT1_
; %bb.0:
	.section	.rodata,"a",@progbits
	.p2align	6, 0x0
	.amdhsa_kernel _ZN7rocprim17ROCPRIM_400000_NS6detail17trampoline_kernelINS0_14default_configENS1_25partition_config_selectorILNS1_17partition_subalgoE3EtNS0_10empty_typeEbEEZZNS1_14partition_implILS5_3ELb0ES3_jN6thrust23THRUST_200600_302600_NS6detail15normal_iteratorINSA_7pointerItNSA_11hip_rocprim3tagENSA_11use_defaultESG_EEEEPS6_SJ_NS0_5tupleIJPtSJ_EEENSK_IJSJ_SJ_EEES6_PlJ7is_evenItEEEE10hipError_tPvRmT3_T4_T5_T6_T7_T9_mT8_P12ihipStream_tbDpT10_ENKUlT_T0_E_clISt17integral_constantIbLb0EES1A_EEDaS15_S16_EUlS15_E_NS1_11comp_targetILNS1_3genE0ELNS1_11target_archE4294967295ELNS1_3gpuE0ELNS1_3repE0EEENS1_30default_config_static_selectorELNS0_4arch9wavefront6targetE1EEEvT1_
		.amdhsa_group_segment_fixed_size 0
		.amdhsa_private_segment_fixed_size 0
		.amdhsa_kernarg_size 120
		.amdhsa_user_sgpr_count 2
		.amdhsa_user_sgpr_dispatch_ptr 0
		.amdhsa_user_sgpr_queue_ptr 0
		.amdhsa_user_sgpr_kernarg_segment_ptr 1
		.amdhsa_user_sgpr_dispatch_id 0
		.amdhsa_user_sgpr_kernarg_preload_length 0
		.amdhsa_user_sgpr_kernarg_preload_offset 0
		.amdhsa_user_sgpr_private_segment_size 0
		.amdhsa_uses_dynamic_stack 0
		.amdhsa_enable_private_segment 0
		.amdhsa_system_sgpr_workgroup_id_x 1
		.amdhsa_system_sgpr_workgroup_id_y 0
		.amdhsa_system_sgpr_workgroup_id_z 0
		.amdhsa_system_sgpr_workgroup_info 0
		.amdhsa_system_vgpr_workitem_id 0
		.amdhsa_next_free_vgpr 1
		.amdhsa_next_free_sgpr 0
		.amdhsa_accum_offset 4
		.amdhsa_reserve_vcc 0
		.amdhsa_float_round_mode_32 0
		.amdhsa_float_round_mode_16_64 0
		.amdhsa_float_denorm_mode_32 3
		.amdhsa_float_denorm_mode_16_64 3
		.amdhsa_dx10_clamp 1
		.amdhsa_ieee_mode 1
		.amdhsa_fp16_overflow 0
		.amdhsa_tg_split 0
		.amdhsa_exception_fp_ieee_invalid_op 0
		.amdhsa_exception_fp_denorm_src 0
		.amdhsa_exception_fp_ieee_div_zero 0
		.amdhsa_exception_fp_ieee_overflow 0
		.amdhsa_exception_fp_ieee_underflow 0
		.amdhsa_exception_fp_ieee_inexact 0
		.amdhsa_exception_int_div_zero 0
	.end_amdhsa_kernel
	.section	.text._ZN7rocprim17ROCPRIM_400000_NS6detail17trampoline_kernelINS0_14default_configENS1_25partition_config_selectorILNS1_17partition_subalgoE3EtNS0_10empty_typeEbEEZZNS1_14partition_implILS5_3ELb0ES3_jN6thrust23THRUST_200600_302600_NS6detail15normal_iteratorINSA_7pointerItNSA_11hip_rocprim3tagENSA_11use_defaultESG_EEEEPS6_SJ_NS0_5tupleIJPtSJ_EEENSK_IJSJ_SJ_EEES6_PlJ7is_evenItEEEE10hipError_tPvRmT3_T4_T5_T6_T7_T9_mT8_P12ihipStream_tbDpT10_ENKUlT_T0_E_clISt17integral_constantIbLb0EES1A_EEDaS15_S16_EUlS15_E_NS1_11comp_targetILNS1_3genE0ELNS1_11target_archE4294967295ELNS1_3gpuE0ELNS1_3repE0EEENS1_30default_config_static_selectorELNS0_4arch9wavefront6targetE1EEEvT1_,"axG",@progbits,_ZN7rocprim17ROCPRIM_400000_NS6detail17trampoline_kernelINS0_14default_configENS1_25partition_config_selectorILNS1_17partition_subalgoE3EtNS0_10empty_typeEbEEZZNS1_14partition_implILS5_3ELb0ES3_jN6thrust23THRUST_200600_302600_NS6detail15normal_iteratorINSA_7pointerItNSA_11hip_rocprim3tagENSA_11use_defaultESG_EEEEPS6_SJ_NS0_5tupleIJPtSJ_EEENSK_IJSJ_SJ_EEES6_PlJ7is_evenItEEEE10hipError_tPvRmT3_T4_T5_T6_T7_T9_mT8_P12ihipStream_tbDpT10_ENKUlT_T0_E_clISt17integral_constantIbLb0EES1A_EEDaS15_S16_EUlS15_E_NS1_11comp_targetILNS1_3genE0ELNS1_11target_archE4294967295ELNS1_3gpuE0ELNS1_3repE0EEENS1_30default_config_static_selectorELNS0_4arch9wavefront6targetE1EEEvT1_,comdat
.Lfunc_end1156:
	.size	_ZN7rocprim17ROCPRIM_400000_NS6detail17trampoline_kernelINS0_14default_configENS1_25partition_config_selectorILNS1_17partition_subalgoE3EtNS0_10empty_typeEbEEZZNS1_14partition_implILS5_3ELb0ES3_jN6thrust23THRUST_200600_302600_NS6detail15normal_iteratorINSA_7pointerItNSA_11hip_rocprim3tagENSA_11use_defaultESG_EEEEPS6_SJ_NS0_5tupleIJPtSJ_EEENSK_IJSJ_SJ_EEES6_PlJ7is_evenItEEEE10hipError_tPvRmT3_T4_T5_T6_T7_T9_mT8_P12ihipStream_tbDpT10_ENKUlT_T0_E_clISt17integral_constantIbLb0EES1A_EEDaS15_S16_EUlS15_E_NS1_11comp_targetILNS1_3genE0ELNS1_11target_archE4294967295ELNS1_3gpuE0ELNS1_3repE0EEENS1_30default_config_static_selectorELNS0_4arch9wavefront6targetE1EEEvT1_, .Lfunc_end1156-_ZN7rocprim17ROCPRIM_400000_NS6detail17trampoline_kernelINS0_14default_configENS1_25partition_config_selectorILNS1_17partition_subalgoE3EtNS0_10empty_typeEbEEZZNS1_14partition_implILS5_3ELb0ES3_jN6thrust23THRUST_200600_302600_NS6detail15normal_iteratorINSA_7pointerItNSA_11hip_rocprim3tagENSA_11use_defaultESG_EEEEPS6_SJ_NS0_5tupleIJPtSJ_EEENSK_IJSJ_SJ_EEES6_PlJ7is_evenItEEEE10hipError_tPvRmT3_T4_T5_T6_T7_T9_mT8_P12ihipStream_tbDpT10_ENKUlT_T0_E_clISt17integral_constantIbLb0EES1A_EEDaS15_S16_EUlS15_E_NS1_11comp_targetILNS1_3genE0ELNS1_11target_archE4294967295ELNS1_3gpuE0ELNS1_3repE0EEENS1_30default_config_static_selectorELNS0_4arch9wavefront6targetE1EEEvT1_
                                        ; -- End function
	.section	.AMDGPU.csdata,"",@progbits
; Kernel info:
; codeLenInByte = 0
; NumSgprs: 6
; NumVgprs: 0
; NumAgprs: 0
; TotalNumVgprs: 0
; ScratchSize: 0
; MemoryBound: 0
; FloatMode: 240
; IeeeMode: 1
; LDSByteSize: 0 bytes/workgroup (compile time only)
; SGPRBlocks: 0
; VGPRBlocks: 0
; NumSGPRsForWavesPerEU: 6
; NumVGPRsForWavesPerEU: 1
; AccumOffset: 4
; Occupancy: 8
; WaveLimiterHint : 0
; COMPUTE_PGM_RSRC2:SCRATCH_EN: 0
; COMPUTE_PGM_RSRC2:USER_SGPR: 2
; COMPUTE_PGM_RSRC2:TRAP_HANDLER: 0
; COMPUTE_PGM_RSRC2:TGID_X_EN: 1
; COMPUTE_PGM_RSRC2:TGID_Y_EN: 0
; COMPUTE_PGM_RSRC2:TGID_Z_EN: 0
; COMPUTE_PGM_RSRC2:TIDIG_COMP_CNT: 0
; COMPUTE_PGM_RSRC3_GFX90A:ACCUM_OFFSET: 0
; COMPUTE_PGM_RSRC3_GFX90A:TG_SPLIT: 0
	.section	.text._ZN7rocprim17ROCPRIM_400000_NS6detail17trampoline_kernelINS0_14default_configENS1_25partition_config_selectorILNS1_17partition_subalgoE3EtNS0_10empty_typeEbEEZZNS1_14partition_implILS5_3ELb0ES3_jN6thrust23THRUST_200600_302600_NS6detail15normal_iteratorINSA_7pointerItNSA_11hip_rocprim3tagENSA_11use_defaultESG_EEEEPS6_SJ_NS0_5tupleIJPtSJ_EEENSK_IJSJ_SJ_EEES6_PlJ7is_evenItEEEE10hipError_tPvRmT3_T4_T5_T6_T7_T9_mT8_P12ihipStream_tbDpT10_ENKUlT_T0_E_clISt17integral_constantIbLb0EES1A_EEDaS15_S16_EUlS15_E_NS1_11comp_targetILNS1_3genE5ELNS1_11target_archE942ELNS1_3gpuE9ELNS1_3repE0EEENS1_30default_config_static_selectorELNS0_4arch9wavefront6targetE1EEEvT1_,"axG",@progbits,_ZN7rocprim17ROCPRIM_400000_NS6detail17trampoline_kernelINS0_14default_configENS1_25partition_config_selectorILNS1_17partition_subalgoE3EtNS0_10empty_typeEbEEZZNS1_14partition_implILS5_3ELb0ES3_jN6thrust23THRUST_200600_302600_NS6detail15normal_iteratorINSA_7pointerItNSA_11hip_rocprim3tagENSA_11use_defaultESG_EEEEPS6_SJ_NS0_5tupleIJPtSJ_EEENSK_IJSJ_SJ_EEES6_PlJ7is_evenItEEEE10hipError_tPvRmT3_T4_T5_T6_T7_T9_mT8_P12ihipStream_tbDpT10_ENKUlT_T0_E_clISt17integral_constantIbLb0EES1A_EEDaS15_S16_EUlS15_E_NS1_11comp_targetILNS1_3genE5ELNS1_11target_archE942ELNS1_3gpuE9ELNS1_3repE0EEENS1_30default_config_static_selectorELNS0_4arch9wavefront6targetE1EEEvT1_,comdat
	.protected	_ZN7rocprim17ROCPRIM_400000_NS6detail17trampoline_kernelINS0_14default_configENS1_25partition_config_selectorILNS1_17partition_subalgoE3EtNS0_10empty_typeEbEEZZNS1_14partition_implILS5_3ELb0ES3_jN6thrust23THRUST_200600_302600_NS6detail15normal_iteratorINSA_7pointerItNSA_11hip_rocprim3tagENSA_11use_defaultESG_EEEEPS6_SJ_NS0_5tupleIJPtSJ_EEENSK_IJSJ_SJ_EEES6_PlJ7is_evenItEEEE10hipError_tPvRmT3_T4_T5_T6_T7_T9_mT8_P12ihipStream_tbDpT10_ENKUlT_T0_E_clISt17integral_constantIbLb0EES1A_EEDaS15_S16_EUlS15_E_NS1_11comp_targetILNS1_3genE5ELNS1_11target_archE942ELNS1_3gpuE9ELNS1_3repE0EEENS1_30default_config_static_selectorELNS0_4arch9wavefront6targetE1EEEvT1_ ; -- Begin function _ZN7rocprim17ROCPRIM_400000_NS6detail17trampoline_kernelINS0_14default_configENS1_25partition_config_selectorILNS1_17partition_subalgoE3EtNS0_10empty_typeEbEEZZNS1_14partition_implILS5_3ELb0ES3_jN6thrust23THRUST_200600_302600_NS6detail15normal_iteratorINSA_7pointerItNSA_11hip_rocprim3tagENSA_11use_defaultESG_EEEEPS6_SJ_NS0_5tupleIJPtSJ_EEENSK_IJSJ_SJ_EEES6_PlJ7is_evenItEEEE10hipError_tPvRmT3_T4_T5_T6_T7_T9_mT8_P12ihipStream_tbDpT10_ENKUlT_T0_E_clISt17integral_constantIbLb0EES1A_EEDaS15_S16_EUlS15_E_NS1_11comp_targetILNS1_3genE5ELNS1_11target_archE942ELNS1_3gpuE9ELNS1_3repE0EEENS1_30default_config_static_selectorELNS0_4arch9wavefront6targetE1EEEvT1_
	.globl	_ZN7rocprim17ROCPRIM_400000_NS6detail17trampoline_kernelINS0_14default_configENS1_25partition_config_selectorILNS1_17partition_subalgoE3EtNS0_10empty_typeEbEEZZNS1_14partition_implILS5_3ELb0ES3_jN6thrust23THRUST_200600_302600_NS6detail15normal_iteratorINSA_7pointerItNSA_11hip_rocprim3tagENSA_11use_defaultESG_EEEEPS6_SJ_NS0_5tupleIJPtSJ_EEENSK_IJSJ_SJ_EEES6_PlJ7is_evenItEEEE10hipError_tPvRmT3_T4_T5_T6_T7_T9_mT8_P12ihipStream_tbDpT10_ENKUlT_T0_E_clISt17integral_constantIbLb0EES1A_EEDaS15_S16_EUlS15_E_NS1_11comp_targetILNS1_3genE5ELNS1_11target_archE942ELNS1_3gpuE9ELNS1_3repE0EEENS1_30default_config_static_selectorELNS0_4arch9wavefront6targetE1EEEvT1_
	.p2align	8
	.type	_ZN7rocprim17ROCPRIM_400000_NS6detail17trampoline_kernelINS0_14default_configENS1_25partition_config_selectorILNS1_17partition_subalgoE3EtNS0_10empty_typeEbEEZZNS1_14partition_implILS5_3ELb0ES3_jN6thrust23THRUST_200600_302600_NS6detail15normal_iteratorINSA_7pointerItNSA_11hip_rocprim3tagENSA_11use_defaultESG_EEEEPS6_SJ_NS0_5tupleIJPtSJ_EEENSK_IJSJ_SJ_EEES6_PlJ7is_evenItEEEE10hipError_tPvRmT3_T4_T5_T6_T7_T9_mT8_P12ihipStream_tbDpT10_ENKUlT_T0_E_clISt17integral_constantIbLb0EES1A_EEDaS15_S16_EUlS15_E_NS1_11comp_targetILNS1_3genE5ELNS1_11target_archE942ELNS1_3gpuE9ELNS1_3repE0EEENS1_30default_config_static_selectorELNS0_4arch9wavefront6targetE1EEEvT1_,@function
_ZN7rocprim17ROCPRIM_400000_NS6detail17trampoline_kernelINS0_14default_configENS1_25partition_config_selectorILNS1_17partition_subalgoE3EtNS0_10empty_typeEbEEZZNS1_14partition_implILS5_3ELb0ES3_jN6thrust23THRUST_200600_302600_NS6detail15normal_iteratorINSA_7pointerItNSA_11hip_rocprim3tagENSA_11use_defaultESG_EEEEPS6_SJ_NS0_5tupleIJPtSJ_EEENSK_IJSJ_SJ_EEES6_PlJ7is_evenItEEEE10hipError_tPvRmT3_T4_T5_T6_T7_T9_mT8_P12ihipStream_tbDpT10_ENKUlT_T0_E_clISt17integral_constantIbLb0EES1A_EEDaS15_S16_EUlS15_E_NS1_11comp_targetILNS1_3genE5ELNS1_11target_archE942ELNS1_3gpuE9ELNS1_3repE0EEENS1_30default_config_static_selectorELNS0_4arch9wavefront6targetE1EEEvT1_: ; @_ZN7rocprim17ROCPRIM_400000_NS6detail17trampoline_kernelINS0_14default_configENS1_25partition_config_selectorILNS1_17partition_subalgoE3EtNS0_10empty_typeEbEEZZNS1_14partition_implILS5_3ELb0ES3_jN6thrust23THRUST_200600_302600_NS6detail15normal_iteratorINSA_7pointerItNSA_11hip_rocprim3tagENSA_11use_defaultESG_EEEEPS6_SJ_NS0_5tupleIJPtSJ_EEENSK_IJSJ_SJ_EEES6_PlJ7is_evenItEEEE10hipError_tPvRmT3_T4_T5_T6_T7_T9_mT8_P12ihipStream_tbDpT10_ENKUlT_T0_E_clISt17integral_constantIbLb0EES1A_EEDaS15_S16_EUlS15_E_NS1_11comp_targetILNS1_3genE5ELNS1_11target_archE942ELNS1_3gpuE9ELNS1_3repE0EEENS1_30default_config_static_selectorELNS0_4arch9wavefront6targetE1EEEvT1_
; %bb.0:
	s_load_dwordx4 s[20:23], s[0:1], 0x8
	s_load_dwordx4 s[24:27], s[0:1], 0x48
	s_load_dwordx2 s[28:29], s[0:1], 0x58
	s_load_dword s3, s[0:1], 0x70
	s_mul_i32 s30, s2, 0x3c00
	s_waitcnt lgkmcnt(0)
	s_lshl_b64 s[4:5], s[22:23], 1
	s_add_u32 s8, s20, s4
	s_addc_u32 s9, s21, s5
	s_add_i32 s6, s3, -1
	s_mulk_i32 s3, 0x3c00
	s_add_i32 s4, s3, s22
	s_sub_i32 s33, s28, s4
	s_addk_i32 s33, 0x3c00
	s_add_u32 s4, s22, s3
	s_addc_u32 s5, s23, 0
	s_cmp_eq_u32 s2, s6
	s_load_dwordx2 s[34:35], s[26:27], 0x0
	v_mov_b64_e32 v[2:3], s[28:29]
	s_cselect_b64 s[26:27], -1, 0
	s_cmp_lg_u32 s2, s6
	s_mov_b32 s31, 0
	v_cmp_lt_u64_e32 vcc, s[4:5], v[2:3]
	s_cselect_b64 s[4:5], -1, 0
	s_or_b64 s[6:7], s[4:5], vcc
	s_lshl_b64 s[4:5], s[30:31], 1
	s_add_u32 s8, s8, s4
	s_addc_u32 s9, s9, s5
	s_mov_b64 s[4:5], -1
	s_and_b64 vcc, exec, s[6:7]
	v_lshlrev_b32_e32 v4, 1, v0
	s_cbranch_vccz .LBB1157_2
; %bb.1:
	v_mov_b32_e32 v5, 0
	v_lshl_add_u64 v[2:3], s[8:9], 0, v[4:5]
	v_add_co_u32_e32 v6, vcc, 0x1000, v2
	s_mov_b64 s[4:5], 0
	s_nop 0
	v_addc_co_u32_e32 v7, vcc, 0, v3, vcc
	flat_load_ushort v1, v[2:3]
	flat_load_ushort v5, v[2:3] offset:1024
	flat_load_ushort v10, v[2:3] offset:2048
	flat_load_ushort v11, v[2:3] offset:3072
	flat_load_ushort v12, v[6:7]
	flat_load_ushort v13, v[6:7] offset:1024
	flat_load_ushort v14, v[6:7] offset:2048
	flat_load_ushort v15, v[6:7] offset:3072
	v_add_co_u32_e32 v6, vcc, 0x2000, v2
	s_nop 1
	v_addc_co_u32_e32 v7, vcc, 0, v3, vcc
	v_add_co_u32_e32 v8, vcc, 0x3000, v2
	s_nop 1
	v_addc_co_u32_e32 v9, vcc, 0, v3, vcc
	flat_load_ushort v16, v[6:7]
	flat_load_ushort v17, v[6:7] offset:1024
	flat_load_ushort v18, v[6:7] offset:2048
	flat_load_ushort v19, v[6:7] offset:3072
	flat_load_ushort v20, v[8:9]
	flat_load_ushort v21, v[8:9] offset:1024
	flat_load_ushort v22, v[8:9] offset:2048
	flat_load_ushort v23, v[8:9] offset:3072
	v_add_co_u32_e32 v6, vcc, 0x4000, v2
	s_nop 1
	v_addc_co_u32_e32 v7, vcc, 0, v3, vcc
	v_add_co_u32_e32 v8, vcc, 0x5000, v2
	;; [unrolled: 14-line block ×3, first 2 shown]
	s_nop 1
	v_addc_co_u32_e32 v3, vcc, 0, v3, vcc
	flat_load_ushort v8, v[6:7]
	flat_load_ushort v9, v[6:7] offset:1024
	flat_load_ushort v32, v[6:7] offset:2048
	;; [unrolled: 1-line block ×3, first 2 shown]
	flat_load_ushort v34, v[2:3]
	flat_load_ushort v35, v[2:3] offset:1024
	s_waitcnt vmcnt(0) lgkmcnt(0)
	ds_write_b16 v4, v1
	ds_write_b16 v4, v5 offset:1024
	ds_write_b16 v4, v10 offset:2048
	;; [unrolled: 1-line block ×29, first 2 shown]
	s_waitcnt lgkmcnt(0)
	s_barrier
.LBB1157_2:
	s_andn2_b64 vcc, exec, s[4:5]
	v_cmp_gt_u32_e64 s[4:5], s33, v0
	s_cbranch_vccnz .LBB1157_64
; %bb.3:
                                        ; implicit-def: $vgpr1
	s_and_saveexec_b64 s[10:11], s[4:5]
	s_cbranch_execz .LBB1157_5
; %bb.4:
	v_mov_b32_e32 v5, 0
	v_lshl_add_u64 v[2:3], s[8:9], 0, v[4:5]
	flat_load_ushort v1, v[2:3]
.LBB1157_5:
	s_or_b64 exec, exec, s[10:11]
	v_or_b32_e32 v2, 0x200, v0
	v_cmp_gt_u32_e32 vcc, s33, v2
                                        ; implicit-def: $vgpr2
	s_and_saveexec_b64 s[4:5], vcc
	s_cbranch_execz .LBB1157_7
; %bb.6:
	v_mov_b32_e32 v5, 0
	v_lshl_add_u64 v[2:3], s[8:9], 0, v[4:5]
	flat_load_ushort v2, v[2:3] offset:1024
.LBB1157_7:
	s_or_b64 exec, exec, s[4:5]
	v_or_b32_e32 v3, 0x400, v0
	v_cmp_gt_u32_e32 vcc, s33, v3
                                        ; implicit-def: $vgpr3
	s_and_saveexec_b64 s[4:5], vcc
	s_cbranch_execz .LBB1157_9
; %bb.8:
	v_mov_b32_e32 v5, 0
	v_lshl_add_u64 v[6:7], s[8:9], 0, v[4:5]
	flat_load_ushort v3, v[6:7] offset:2048
.LBB1157_9:
	s_or_b64 exec, exec, s[4:5]
	v_or_b32_e32 v5, 0x600, v0
	v_cmp_gt_u32_e32 vcc, s33, v5
                                        ; implicit-def: $vgpr5
	s_and_saveexec_b64 s[4:5], vcc
	s_cbranch_execz .LBB1157_11
; %bb.10:
	v_mov_b32_e32 v5, 0
	v_lshl_add_u64 v[6:7], s[8:9], 0, v[4:5]
	flat_load_ushort v5, v[6:7] offset:3072
.LBB1157_11:
	s_or_b64 exec, exec, s[4:5]
	v_or_b32_e32 v7, 0x800, v0
	v_cmp_gt_u32_e32 vcc, s33, v7
                                        ; implicit-def: $vgpr6
	s_and_saveexec_b64 s[4:5], vcc
	s_cbranch_execz .LBB1157_13
; %bb.12:
	v_lshlrev_b32_e32 v6, 1, v7
	v_mov_b32_e32 v7, 0
	v_lshl_add_u64 v[6:7], s[8:9], 0, v[6:7]
	flat_load_ushort v6, v[6:7]
.LBB1157_13:
	s_or_b64 exec, exec, s[4:5]
	v_or_b32_e32 v8, 0xa00, v0
	v_cmp_gt_u32_e32 vcc, s33, v8
                                        ; implicit-def: $vgpr7
	s_and_saveexec_b64 s[4:5], vcc
	s_cbranch_execz .LBB1157_15
; %bb.14:
	v_lshlrev_b32_e32 v8, 1, v8
	v_mov_b32_e32 v9, 0
	v_lshl_add_u64 v[8:9], s[8:9], 0, v[8:9]
	flat_load_ushort v7, v[8:9]
.LBB1157_15:
	s_or_b64 exec, exec, s[4:5]
	v_or_b32_e32 v9, 0xc00, v0
	v_cmp_gt_u32_e32 vcc, s33, v9
                                        ; implicit-def: $vgpr8
	s_and_saveexec_b64 s[4:5], vcc
	s_cbranch_execz .LBB1157_17
; %bb.16:
	v_lshlrev_b32_e32 v8, 1, v9
	v_mov_b32_e32 v9, 0
	v_lshl_add_u64 v[8:9], s[8:9], 0, v[8:9]
	flat_load_ushort v8, v[8:9]
.LBB1157_17:
	s_or_b64 exec, exec, s[4:5]
	v_or_b32_e32 v10, 0xe00, v0
	v_cmp_gt_u32_e32 vcc, s33, v10
                                        ; implicit-def: $vgpr9
	s_and_saveexec_b64 s[4:5], vcc
	s_cbranch_execz .LBB1157_19
; %bb.18:
	v_lshlrev_b32_e32 v10, 1, v10
	v_mov_b32_e32 v11, 0
	v_lshl_add_u64 v[10:11], s[8:9], 0, v[10:11]
	flat_load_ushort v9, v[10:11]
.LBB1157_19:
	s_or_b64 exec, exec, s[4:5]
	v_or_b32_e32 v11, 0x1000, v0
	v_cmp_gt_u32_e32 vcc, s33, v11
                                        ; implicit-def: $vgpr10
	s_and_saveexec_b64 s[4:5], vcc
	s_cbranch_execz .LBB1157_21
; %bb.20:
	v_lshlrev_b32_e32 v10, 1, v11
	v_mov_b32_e32 v11, 0
	v_lshl_add_u64 v[10:11], s[8:9], 0, v[10:11]
	flat_load_ushort v10, v[10:11]
.LBB1157_21:
	s_or_b64 exec, exec, s[4:5]
	v_or_b32_e32 v12, 0x1200, v0
	v_cmp_gt_u32_e32 vcc, s33, v12
                                        ; implicit-def: $vgpr11
	s_and_saveexec_b64 s[4:5], vcc
	s_cbranch_execz .LBB1157_23
; %bb.22:
	v_lshlrev_b32_e32 v12, 1, v12
	v_mov_b32_e32 v13, 0
	v_lshl_add_u64 v[12:13], s[8:9], 0, v[12:13]
	flat_load_ushort v11, v[12:13]
.LBB1157_23:
	s_or_b64 exec, exec, s[4:5]
	v_or_b32_e32 v13, 0x1400, v0
	v_cmp_gt_u32_e32 vcc, s33, v13
                                        ; implicit-def: $vgpr12
	s_and_saveexec_b64 s[4:5], vcc
	s_cbranch_execz .LBB1157_25
; %bb.24:
	v_lshlrev_b32_e32 v12, 1, v13
	v_mov_b32_e32 v13, 0
	v_lshl_add_u64 v[12:13], s[8:9], 0, v[12:13]
	flat_load_ushort v12, v[12:13]
.LBB1157_25:
	s_or_b64 exec, exec, s[4:5]
	v_or_b32_e32 v14, 0x1600, v0
	v_cmp_gt_u32_e32 vcc, s33, v14
                                        ; implicit-def: $vgpr13
	s_and_saveexec_b64 s[4:5], vcc
	s_cbranch_execz .LBB1157_27
; %bb.26:
	v_lshlrev_b32_e32 v14, 1, v14
	v_mov_b32_e32 v15, 0
	v_lshl_add_u64 v[14:15], s[8:9], 0, v[14:15]
	flat_load_ushort v13, v[14:15]
.LBB1157_27:
	s_or_b64 exec, exec, s[4:5]
	v_or_b32_e32 v15, 0x1800, v0
	v_cmp_gt_u32_e32 vcc, s33, v15
                                        ; implicit-def: $vgpr14
	s_and_saveexec_b64 s[4:5], vcc
	s_cbranch_execz .LBB1157_29
; %bb.28:
	v_lshlrev_b32_e32 v14, 1, v15
	v_mov_b32_e32 v15, 0
	v_lshl_add_u64 v[14:15], s[8:9], 0, v[14:15]
	flat_load_ushort v14, v[14:15]
.LBB1157_29:
	s_or_b64 exec, exec, s[4:5]
	v_or_b32_e32 v16, 0x1a00, v0
	v_cmp_gt_u32_e32 vcc, s33, v16
                                        ; implicit-def: $vgpr15
	s_and_saveexec_b64 s[4:5], vcc
	s_cbranch_execz .LBB1157_31
; %bb.30:
	v_lshlrev_b32_e32 v16, 1, v16
	v_mov_b32_e32 v17, 0
	v_lshl_add_u64 v[16:17], s[8:9], 0, v[16:17]
	flat_load_ushort v15, v[16:17]
.LBB1157_31:
	s_or_b64 exec, exec, s[4:5]
	v_or_b32_e32 v17, 0x1c00, v0
	v_cmp_gt_u32_e32 vcc, s33, v17
                                        ; implicit-def: $vgpr16
	s_and_saveexec_b64 s[4:5], vcc
	s_cbranch_execz .LBB1157_33
; %bb.32:
	v_lshlrev_b32_e32 v16, 1, v17
	v_mov_b32_e32 v17, 0
	v_lshl_add_u64 v[16:17], s[8:9], 0, v[16:17]
	flat_load_ushort v16, v[16:17]
.LBB1157_33:
	s_or_b64 exec, exec, s[4:5]
	v_or_b32_e32 v18, 0x1e00, v0
	v_cmp_gt_u32_e32 vcc, s33, v18
                                        ; implicit-def: $vgpr17
	s_and_saveexec_b64 s[4:5], vcc
	s_cbranch_execz .LBB1157_35
; %bb.34:
	v_lshlrev_b32_e32 v18, 1, v18
	v_mov_b32_e32 v19, 0
	v_lshl_add_u64 v[18:19], s[8:9], 0, v[18:19]
	flat_load_ushort v17, v[18:19]
.LBB1157_35:
	s_or_b64 exec, exec, s[4:5]
	v_or_b32_e32 v19, 0x2000, v0
	v_cmp_gt_u32_e32 vcc, s33, v19
                                        ; implicit-def: $vgpr18
	s_and_saveexec_b64 s[4:5], vcc
	s_cbranch_execz .LBB1157_37
; %bb.36:
	v_lshlrev_b32_e32 v18, 1, v19
	v_mov_b32_e32 v19, 0
	v_lshl_add_u64 v[18:19], s[8:9], 0, v[18:19]
	flat_load_ushort v18, v[18:19]
.LBB1157_37:
	s_or_b64 exec, exec, s[4:5]
	v_or_b32_e32 v20, 0x2200, v0
	v_cmp_gt_u32_e32 vcc, s33, v20
                                        ; implicit-def: $vgpr19
	s_and_saveexec_b64 s[4:5], vcc
	s_cbranch_execz .LBB1157_39
; %bb.38:
	v_lshlrev_b32_e32 v20, 1, v20
	v_mov_b32_e32 v21, 0
	v_lshl_add_u64 v[20:21], s[8:9], 0, v[20:21]
	flat_load_ushort v19, v[20:21]
.LBB1157_39:
	s_or_b64 exec, exec, s[4:5]
	v_or_b32_e32 v21, 0x2400, v0
	v_cmp_gt_u32_e32 vcc, s33, v21
                                        ; implicit-def: $vgpr20
	s_and_saveexec_b64 s[4:5], vcc
	s_cbranch_execz .LBB1157_41
; %bb.40:
	v_lshlrev_b32_e32 v20, 1, v21
	v_mov_b32_e32 v21, 0
	v_lshl_add_u64 v[20:21], s[8:9], 0, v[20:21]
	flat_load_ushort v20, v[20:21]
.LBB1157_41:
	s_or_b64 exec, exec, s[4:5]
	v_or_b32_e32 v22, 0x2600, v0
	v_cmp_gt_u32_e32 vcc, s33, v22
                                        ; implicit-def: $vgpr21
	s_and_saveexec_b64 s[4:5], vcc
	s_cbranch_execz .LBB1157_43
; %bb.42:
	v_lshlrev_b32_e32 v22, 1, v22
	v_mov_b32_e32 v23, 0
	v_lshl_add_u64 v[22:23], s[8:9], 0, v[22:23]
	flat_load_ushort v21, v[22:23]
.LBB1157_43:
	s_or_b64 exec, exec, s[4:5]
	v_or_b32_e32 v23, 0x2800, v0
	v_cmp_gt_u32_e32 vcc, s33, v23
                                        ; implicit-def: $vgpr22
	s_and_saveexec_b64 s[4:5], vcc
	s_cbranch_execz .LBB1157_45
; %bb.44:
	v_lshlrev_b32_e32 v22, 1, v23
	v_mov_b32_e32 v23, 0
	v_lshl_add_u64 v[22:23], s[8:9], 0, v[22:23]
	flat_load_ushort v22, v[22:23]
.LBB1157_45:
	s_or_b64 exec, exec, s[4:5]
	v_or_b32_e32 v24, 0x2a00, v0
	v_cmp_gt_u32_e32 vcc, s33, v24
                                        ; implicit-def: $vgpr23
	s_and_saveexec_b64 s[4:5], vcc
	s_cbranch_execz .LBB1157_47
; %bb.46:
	v_lshlrev_b32_e32 v24, 1, v24
	v_mov_b32_e32 v25, 0
	v_lshl_add_u64 v[24:25], s[8:9], 0, v[24:25]
	flat_load_ushort v23, v[24:25]
.LBB1157_47:
	s_or_b64 exec, exec, s[4:5]
	v_or_b32_e32 v25, 0x2c00, v0
	v_cmp_gt_u32_e32 vcc, s33, v25
                                        ; implicit-def: $vgpr24
	s_and_saveexec_b64 s[4:5], vcc
	s_cbranch_execz .LBB1157_49
; %bb.48:
	v_lshlrev_b32_e32 v24, 1, v25
	v_mov_b32_e32 v25, 0
	v_lshl_add_u64 v[24:25], s[8:9], 0, v[24:25]
	flat_load_ushort v24, v[24:25]
.LBB1157_49:
	s_or_b64 exec, exec, s[4:5]
	v_or_b32_e32 v26, 0x2e00, v0
	v_cmp_gt_u32_e32 vcc, s33, v26
                                        ; implicit-def: $vgpr25
	s_and_saveexec_b64 s[4:5], vcc
	s_cbranch_execz .LBB1157_51
; %bb.50:
	v_lshlrev_b32_e32 v26, 1, v26
	v_mov_b32_e32 v27, 0
	v_lshl_add_u64 v[26:27], s[8:9], 0, v[26:27]
	flat_load_ushort v25, v[26:27]
.LBB1157_51:
	s_or_b64 exec, exec, s[4:5]
	v_or_b32_e32 v27, 0x3000, v0
	v_cmp_gt_u32_e32 vcc, s33, v27
                                        ; implicit-def: $vgpr26
	s_and_saveexec_b64 s[4:5], vcc
	s_cbranch_execz .LBB1157_53
; %bb.52:
	v_lshlrev_b32_e32 v26, 1, v27
	v_mov_b32_e32 v27, 0
	v_lshl_add_u64 v[26:27], s[8:9], 0, v[26:27]
	flat_load_ushort v26, v[26:27]
.LBB1157_53:
	s_or_b64 exec, exec, s[4:5]
	v_or_b32_e32 v28, 0x3200, v0
	v_cmp_gt_u32_e32 vcc, s33, v28
                                        ; implicit-def: $vgpr27
	s_and_saveexec_b64 s[4:5], vcc
	s_cbranch_execz .LBB1157_55
; %bb.54:
	v_lshlrev_b32_e32 v28, 1, v28
	v_mov_b32_e32 v29, 0
	v_lshl_add_u64 v[28:29], s[8:9], 0, v[28:29]
	flat_load_ushort v27, v[28:29]
.LBB1157_55:
	s_or_b64 exec, exec, s[4:5]
	v_or_b32_e32 v29, 0x3400, v0
	v_cmp_gt_u32_e32 vcc, s33, v29
                                        ; implicit-def: $vgpr28
	s_and_saveexec_b64 s[4:5], vcc
	s_cbranch_execz .LBB1157_57
; %bb.56:
	v_lshlrev_b32_e32 v28, 1, v29
	v_mov_b32_e32 v29, 0
	v_lshl_add_u64 v[28:29], s[8:9], 0, v[28:29]
	flat_load_ushort v28, v[28:29]
.LBB1157_57:
	s_or_b64 exec, exec, s[4:5]
	v_or_b32_e32 v30, 0x3600, v0
	v_cmp_gt_u32_e32 vcc, s33, v30
                                        ; implicit-def: $vgpr29
	s_and_saveexec_b64 s[4:5], vcc
	s_cbranch_execz .LBB1157_59
; %bb.58:
	v_lshlrev_b32_e32 v30, 1, v30
	v_mov_b32_e32 v31, 0
	v_lshl_add_u64 v[30:31], s[8:9], 0, v[30:31]
	flat_load_ushort v29, v[30:31]
.LBB1157_59:
	s_or_b64 exec, exec, s[4:5]
	v_or_b32_e32 v31, 0x3800, v0
	v_cmp_gt_u32_e32 vcc, s33, v31
                                        ; implicit-def: $vgpr30
	s_and_saveexec_b64 s[4:5], vcc
	s_cbranch_execz .LBB1157_61
; %bb.60:
	v_lshlrev_b32_e32 v30, 1, v31
	v_mov_b32_e32 v31, 0
	v_lshl_add_u64 v[30:31], s[8:9], 0, v[30:31]
	flat_load_ushort v30, v[30:31]
.LBB1157_61:
	s_or_b64 exec, exec, s[4:5]
	v_or_b32_e32 v32, 0x3a00, v0
	v_cmp_gt_u32_e32 vcc, s33, v32
                                        ; implicit-def: $vgpr31
	s_and_saveexec_b64 s[4:5], vcc
	s_cbranch_execz .LBB1157_63
; %bb.62:
	v_lshlrev_b32_e32 v32, 1, v32
	v_mov_b32_e32 v33, 0
	v_lshl_add_u64 v[32:33], s[8:9], 0, v[32:33]
	flat_load_ushort v31, v[32:33]
.LBB1157_63:
	s_or_b64 exec, exec, s[4:5]
	s_waitcnt vmcnt(0) lgkmcnt(0)
	ds_write_b16 v4, v1
	ds_write_b16 v4, v2 offset:1024
	ds_write_b16 v4, v3 offset:2048
	;; [unrolled: 1-line block ×29, first 2 shown]
	s_waitcnt lgkmcnt(0)
	s_barrier
.LBB1157_64:
	v_mul_u32_u24_e32 v40, 30, v0
	v_lshlrev_b32_e32 v2, 1, v40
	s_waitcnt lgkmcnt(0)
	ds_read_b32 v5, v2 offset:56
	ds_read2_b32 v[6:7], v2 offset0:12 offset1:13
	ds_read2_b32 v[8:9], v2 offset0:10 offset1:11
	;; [unrolled: 1-line block ×3, first 2 shown]
	ds_read2_b32 v[18:19], v2 offset1:1
	ds_read2_b32 v[16:17], v2 offset0:2 offset1:3
	ds_read2_b32 v[14:15], v2 offset0:4 offset1:5
	;; [unrolled: 1-line block ×3, first 2 shown]
	s_waitcnt lgkmcnt(7)
	v_lshrrev_b32_e32 v1, 16, v5
	s_waitcnt lgkmcnt(6)
	v_lshrrev_b32_e32 v29, 16, v6
	v_lshrrev_b32_e32 v28, 16, v7
	s_waitcnt lgkmcnt(5)
	v_lshrrev_b32_e32 v31, 16, v8
	;; [unrolled: 3-line block ×6, first 2 shown]
	v_lshrrev_b32_e32 v34, 16, v13
	v_lshrrev_b32_e32 v33, 16, v10
	;; [unrolled: 1-line block ×3, first 2 shown]
	v_cndmask_b32_e64 v2, 0, 1, s[6:7]
	v_cmp_ne_u32_e64 s[20:21], 1, v2
	s_andn2_b64 vcc, exec, s[6:7]
	v_xor_b32_e32 v92, -1, v18
	v_xor_b32_e32 v91, -1, v42
	;; [unrolled: 1-line block ×30, first 2 shown]
	s_barrier
	s_cbranch_vccnz .LBB1157_66
; %bb.65:
	v_and_b32_e32 v73, 1, v92
	v_and_b32_e32 v72, 1, v91
	;; [unrolled: 1-line block ×30, first 2 shown]
	s_load_dwordx2 s[36:37], s[0:1], 0x68
	s_cbranch_execz .LBB1157_67
	s_branch .LBB1157_68
.LBB1157_66:
                                        ; implicit-def: $vgpr73
                                        ; implicit-def: $vgpr72
                                        ; implicit-def: $vgpr71
                                        ; implicit-def: $vgpr70
                                        ; implicit-def: $vgpr69
                                        ; implicit-def: $vgpr68
                                        ; implicit-def: $vgpr67
                                        ; implicit-def: $vgpr65
                                        ; implicit-def: $vgpr64
                                        ; implicit-def: $vgpr63
                                        ; implicit-def: $vgpr62
                                        ; implicit-def: $vgpr61
                                        ; implicit-def: $vgpr60
                                        ; implicit-def: $vgpr59
                                        ; implicit-def: $vgpr58
                                        ; implicit-def: $vgpr57
                                        ; implicit-def: $vgpr56
                                        ; implicit-def: $vgpr55
                                        ; implicit-def: $vgpr54
                                        ; implicit-def: $vgpr53
                                        ; implicit-def: $vgpr52
                                        ; implicit-def: $vgpr51
                                        ; implicit-def: $vgpr50
                                        ; implicit-def: $vgpr49
                                        ; implicit-def: $vgpr48
                                        ; implicit-def: $vgpr47
                                        ; implicit-def: $vgpr46
                                        ; implicit-def: $vgpr45
                                        ; implicit-def: $vgpr43
                                        ; implicit-def: $vgpr44
	s_load_dwordx2 s[36:37], s[0:1], 0x68
.LBB1157_67:
	v_or_b32_e32 v52, 1, v40
	v_cmp_gt_u32_e32 vcc, s33, v40
	v_add_u32_e32 v53, 2, v40
	v_add_u32_e32 v54, 3, v40
	v_cndmask_b32_e64 v62, 0, 1, vcc
	v_cmp_gt_u32_e32 vcc, s33, v52
	v_add_u32_e32 v55, 4, v40
	v_add_u32_e32 v56, 5, v40
	v_cndmask_b32_e64 v52, 0, 1, vcc
	v_cmp_gt_u32_e32 vcc, s33, v53
	v_and_b32_e32 v72, v52, v91
	v_add_u32_e32 v57, 6, v40
	v_cndmask_b32_e64 v52, 0, 1, vcc
	v_cmp_gt_u32_e32 vcc, s33, v54
	v_and_b32_e32 v71, v52, v90
	;; [unrolled: 4-line block ×9, first 2 shown]
	v_and_b32_e32 v73, v62, v92
	v_cndmask_b32_e64 v52, 0, 1, vcc
	v_cmp_gt_u32_e32 vcc, s33, v93
	v_and_b32_e32 v62, v52, v82
	v_add_u32_e32 v96, 14, v40
	v_cndmask_b32_e64 v52, 0, 1, vcc
	v_cmp_gt_u32_e32 vcc, s33, v94
	v_and_b32_e32 v61, v52, v81
	v_add_u32_e32 v97, 15, v40
	;; [unrolled: 4-line block ×16, first 2 shown]
	v_cndmask_b32_e64 v22, 0, 1, vcc
	v_cmp_gt_u32_e32 vcc, s33, v45
	v_and_b32_e32 v46, v22, v21
	s_nop 0
	v_cndmask_b32_e64 v21, 0, 1, vcc
	v_cmp_gt_u32_e32 vcc, s33, v43
	v_and_b32_e32 v45, v21, v20
	s_nop 0
	;; [unrolled: 4-line block ×3, first 2 shown]
	v_cndmask_b32_e64 v3, 0, 1, vcc
	v_and_b32_e32 v44, v3, v2
.LBB1157_68:
	v_and_b32_e32 v100, 0xff, v46
	v_and_b32_e32 v101, 0xff, v45
	v_add_u32_sdwa v2, v43, v44 dst_sel:DWORD dst_unused:UNUSED_PAD src0_sel:BYTE_0 src1_sel:BYTE_0
	v_and_b32_e32 v98, 0xff, v48
	v_and_b32_e32 v99, 0xff, v47
	v_add3_u32 v2, v2, v101, v100
	v_and_b32_e32 v96, 0xff, v50
	v_and_b32_e32 v97, 0xff, v49
	v_add3_u32 v2, v2, v99, v98
	;; [unrolled: 3-line block ×13, first 2 shown]
	v_add3_u32 v104, v2, v75, v74
	v_mbcnt_lo_u32_b32 v2, -1, 0
	v_mbcnt_hi_u32_b32 v102, -1, v2
	v_and_b32_e32 v2, 15, v102
	v_cmp_eq_u32_e64 s[16:17], 0, v2
	v_cmp_lt_u32_e64 s[14:15], 1, v2
	v_cmp_lt_u32_e64 s[12:13], 3, v2
	v_cmp_lt_u32_e64 s[10:11], 7, v2
	v_and_b32_e32 v2, 16, v102
	v_cmp_eq_u32_e64 s[8:9], 0, v2
	v_or_b32_e32 v2, 63, v0
	s_cmp_lg_u32 s2, 0
	v_cmp_lt_u32_e64 s[4:5], 31, v102
	v_lshrrev_b32_e32 v103, 6, v0
	v_cmp_eq_u32_e64 s[6:7], v2, v0
	s_cbranch_scc0 .LBB1157_95
; %bb.69:
	v_mov_b32_dpp v2, v104 row_shr:1 row_mask:0xf bank_mask:0xf
	v_cndmask_b32_e64 v2, v2, 0, s[16:17]
	v_add_u32_e32 v2, v2, v104
	s_nop 1
	v_mov_b32_dpp v3, v2 row_shr:2 row_mask:0xf bank_mask:0xf
	v_cndmask_b32_e64 v3, 0, v3, s[14:15]
	v_add_u32_e32 v2, v2, v3
	s_nop 1
	;; [unrolled: 4-line block ×4, first 2 shown]
	v_mov_b32_dpp v3, v2 row_bcast:15 row_mask:0xf bank_mask:0xf
	v_cndmask_b32_e64 v3, v3, 0, s[8:9]
	v_add_u32_e32 v2, v2, v3
	s_nop 1
	v_mov_b32_dpp v3, v2 row_bcast:31 row_mask:0xf bank_mask:0xf
	v_cndmask_b32_e64 v3, 0, v3, s[4:5]
	v_add_u32_e32 v2, v2, v3
	s_and_saveexec_b64 s[18:19], s[6:7]
	s_cbranch_execz .LBB1157_71
; %bb.70:
	v_lshlrev_b32_e32 v3, 2, v103
	ds_write_b32 v3, v2
.LBB1157_71:
	s_or_b64 exec, exec, s[18:19]
	v_cmp_gt_u32_e32 vcc, 8, v0
	s_waitcnt lgkmcnt(0)
	s_barrier
	s_and_saveexec_b64 s[18:19], vcc
	s_cbranch_execz .LBB1157_73
; %bb.72:
	v_lshlrev_b32_e32 v3, 2, v0
	ds_read_b32 v20, v3
	v_and_b32_e32 v21, 7, v102
	v_cmp_ne_u32_e32 vcc, 0, v21
	s_waitcnt lgkmcnt(0)
	v_mov_b32_dpp v22, v20 row_shr:1 row_mask:0xf bank_mask:0xf
	v_cndmask_b32_e32 v22, 0, v22, vcc
	v_add_u32_e32 v20, v22, v20
	v_cmp_lt_u32_e32 vcc, 1, v21
	s_nop 0
	v_mov_b32_dpp v22, v20 row_shr:2 row_mask:0xf bank_mask:0xf
	v_cndmask_b32_e32 v22, 0, v22, vcc
	v_add_u32_e32 v20, v20, v22
	v_cmp_lt_u32_e32 vcc, 3, v21
	s_nop 0
	v_mov_b32_dpp v22, v20 row_shr:4 row_mask:0xf bank_mask:0xf
	v_cndmask_b32_e32 v21, 0, v22, vcc
	v_add_u32_e32 v20, v20, v21
	ds_write_b32 v3, v20
.LBB1157_73:
	s_or_b64 exec, exec, s[18:19]
	v_cmp_gt_u32_e32 vcc, 64, v0
	v_cmp_lt_u32_e64 s[18:19], 63, v0
	s_waitcnt lgkmcnt(0)
	s_barrier
	s_waitcnt lgkmcnt(0)
                                        ; implicit-def: $vgpr66
	s_and_saveexec_b64 s[38:39], s[18:19]
	s_cbranch_execz .LBB1157_75
; %bb.74:
	v_lshl_add_u32 v3, v103, 2, -4
	ds_read_b32 v66, v3
	s_waitcnt lgkmcnt(0)
	v_add_u32_e32 v2, v66, v2
.LBB1157_75:
	s_or_b64 exec, exec, s[38:39]
	v_add_u32_e32 v3, -1, v102
	v_and_b32_e32 v20, 64, v102
	v_cmp_lt_i32_e64 s[18:19], v3, v20
	s_nop 1
	v_cndmask_b32_e64 v3, v3, v102, s[18:19]
	v_lshlrev_b32_e32 v3, 2, v3
	ds_bpermute_b32 v105, v3, v2
	v_cmp_eq_u32_e64 s[18:19], 0, v102
	s_and_saveexec_b64 s[38:39], vcc
	s_cbranch_execz .LBB1157_94
; %bb.76:
	v_mov_b32_e32 v25, 0
	ds_read_b32 v2, v25 offset:28
	s_and_saveexec_b64 s[40:41], s[18:19]
	s_cbranch_execz .LBB1157_78
; %bb.77:
	s_add_i32 s42, s2, 64
	s_mov_b32 s43, 0
	s_lshl_b64 s[42:43], s[42:43], 3
	s_add_u32 s42, s36, s42
	v_mov_b32_e32 v3, 1
	s_addc_u32 s43, s37, s43
	s_waitcnt lgkmcnt(0)
	global_store_dwordx2 v25, v[2:3], s[42:43] sc1
.LBB1157_78:
	s_or_b64 exec, exec, s[40:41]
	v_xad_u32 v20, v102, -1, s2
	v_add_u32_e32 v24, 64, v20
	v_lshl_add_u64 v[26:27], v[24:25], 3, s[36:37]
	global_load_dwordx2 v[22:23], v[26:27], off sc1
	s_waitcnt vmcnt(0)
	v_cmp_eq_u16_sdwa s[42:43], v23, v25 src0_sel:BYTE_0 src1_sel:DWORD
	s_and_saveexec_b64 s[40:41], s[42:43]
	s_cbranch_execz .LBB1157_82
; %bb.79:
	s_mov_b64 s[42:43], 0
	v_mov_b32_e32 v3, 0
.LBB1157_80:                            ; =>This Inner Loop Header: Depth=1
	global_load_dwordx2 v[22:23], v[26:27], off sc1
	s_waitcnt vmcnt(0)
	v_cmp_ne_u16_sdwa s[44:45], v23, v3 src0_sel:BYTE_0 src1_sel:DWORD
	s_or_b64 s[42:43], s[44:45], s[42:43]
	s_andn2_b64 exec, exec, s[42:43]
	s_cbranch_execnz .LBB1157_80
; %bb.81:
	s_or_b64 exec, exec, s[42:43]
.LBB1157_82:
	s_or_b64 exec, exec, s[40:41]
	v_and_b32_e32 v107, 63, v102
	v_mov_b32_e32 v106, 2
	v_cmp_ne_u32_e32 vcc, 63, v107
	v_cmp_eq_u16_sdwa s[40:41], v23, v106 src0_sel:BYTE_0 src1_sel:DWORD
	v_lshlrev_b64 v[24:25], v102, -1
	v_addc_co_u32_e32 v26, vcc, 0, v102, vcc
	v_and_b32_e32 v3, s41, v25
	v_lshlrev_b32_e32 v108, 2, v26
	v_or_b32_e32 v3, 0x80000000, v3
	ds_bpermute_b32 v26, v108, v22
	v_and_b32_e32 v21, s40, v24
	v_ffbl_b32_e32 v3, v3
	v_add_u32_e32 v3, 32, v3
	v_ffbl_b32_e32 v21, v21
	v_min_u32_e32 v3, v21, v3
	v_cmp_lt_u32_e32 vcc, v107, v3
	v_add_u32_e32 v110, 2, v107
	v_add_u32_e32 v112, 4, v107
	s_waitcnt lgkmcnt(0)
	v_cndmask_b32_e32 v21, 0, v26, vcc
	v_cmp_gt_u32_e32 vcc, 62, v107
	v_add_u32_e32 v21, v21, v22
	v_add_u32_e32 v114, 8, v107
	v_cndmask_b32_e64 v22, 0, 1, vcc
	v_lshlrev_b32_e32 v22, 1, v22
	v_add_lshl_u32 v109, v22, v102, 2
	ds_bpermute_b32 v22, v109, v21
	v_cmp_le_u32_e32 vcc, v110, v3
	v_add_u32_e32 v116, 16, v107
	v_add_u32_e32 v118, 32, v107
	s_waitcnt lgkmcnt(0)
	v_cndmask_b32_e32 v22, 0, v22, vcc
	v_cmp_gt_u32_e32 vcc, 60, v107
	v_add_u32_e32 v21, v21, v22
	s_nop 0
	v_cndmask_b32_e64 v22, 0, 1, vcc
	v_lshlrev_b32_e32 v22, 2, v22
	v_add_lshl_u32 v111, v22, v102, 2
	ds_bpermute_b32 v22, v111, v21
	v_cmp_le_u32_e32 vcc, v112, v3
	s_waitcnt lgkmcnt(0)
	s_nop 0
	v_cndmask_b32_e32 v22, 0, v22, vcc
	v_cmp_gt_u32_e32 vcc, 56, v107
	v_add_u32_e32 v21, v21, v22
	s_nop 0
	v_cndmask_b32_e64 v22, 0, 1, vcc
	v_lshlrev_b32_e32 v22, 3, v22
	v_add_lshl_u32 v113, v22, v102, 2
	ds_bpermute_b32 v22, v113, v21
	v_cmp_le_u32_e32 vcc, v114, v3
	s_waitcnt lgkmcnt(0)
	s_nop 0
	;; [unrolled: 11-line block ×4, first 2 shown]
	v_cndmask_b32_e32 v3, 0, v22, vcc
	v_add_u32_e32 v22, v21, v3
	v_mov_b32_e32 v21, 0
	s_branch .LBB1157_84
.LBB1157_83:                            ;   in Loop: Header=BB1157_84 Depth=1
	s_or_b64 exec, exec, s[40:41]
	v_cmp_eq_u16_sdwa s[40:41], v23, v106 src0_sel:BYTE_0 src1_sel:DWORD
	ds_bpermute_b32 v119, v108, v22
	v_subrev_u32_e32 v20, 64, v20
	v_and_b32_e32 v26, s41, v25
	v_or_b32_e32 v26, 0x80000000, v26
	v_and_b32_e32 v27, s40, v24
	v_ffbl_b32_e32 v26, v26
	v_add_u32_e32 v26, 32, v26
	v_ffbl_b32_e32 v27, v27
	v_min_u32_e32 v26, v27, v26
	v_cmp_lt_u32_e32 vcc, v107, v26
	s_waitcnt lgkmcnt(0)
	s_nop 0
	v_cndmask_b32_e32 v27, 0, v119, vcc
	v_add_u32_e32 v22, v27, v22
	ds_bpermute_b32 v27, v109, v22
	v_cmp_le_u32_e32 vcc, v110, v26
	s_waitcnt lgkmcnt(0)
	s_nop 0
	v_cndmask_b32_e32 v27, 0, v27, vcc
	v_add_u32_e32 v22, v22, v27
	ds_bpermute_b32 v27, v111, v22
	v_cmp_le_u32_e32 vcc, v112, v26
	;; [unrolled: 6-line block ×5, first 2 shown]
	s_waitcnt lgkmcnt(0)
	s_nop 0
	v_cndmask_b32_e32 v26, 0, v27, vcc
	v_add3_u32 v22, v26, v3, v22
.LBB1157_84:                            ; =>This Loop Header: Depth=1
                                        ;     Child Loop BB1157_87 Depth 2
	v_cmp_ne_u16_sdwa s[40:41], v23, v106 src0_sel:BYTE_0 src1_sel:DWORD
	s_nop 1
	v_cndmask_b32_e64 v3, 0, 1, s[40:41]
	;;#ASMSTART
	;;#ASMEND
	s_nop 0
	v_cmp_ne_u32_e32 vcc, 0, v3
	s_cmp_lg_u64 vcc, exec
	v_mov_b32_e32 v3, v22
	s_cbranch_scc1 .LBB1157_89
; %bb.85:                               ;   in Loop: Header=BB1157_84 Depth=1
	v_lshl_add_u64 v[26:27], v[20:21], 3, s[36:37]
	global_load_dwordx2 v[22:23], v[26:27], off sc1
	s_waitcnt vmcnt(0)
	v_cmp_eq_u16_sdwa s[42:43], v23, v21 src0_sel:BYTE_0 src1_sel:DWORD
	s_and_saveexec_b64 s[40:41], s[42:43]
	s_cbranch_execz .LBB1157_83
; %bb.86:                               ;   in Loop: Header=BB1157_84 Depth=1
	s_mov_b64 s[42:43], 0
.LBB1157_87:                            ;   Parent Loop BB1157_84 Depth=1
                                        ; =>  This Inner Loop Header: Depth=2
	global_load_dwordx2 v[22:23], v[26:27], off sc1
	s_waitcnt vmcnt(0)
	v_cmp_ne_u16_sdwa s[44:45], v23, v21 src0_sel:BYTE_0 src1_sel:DWORD
	s_or_b64 s[42:43], s[44:45], s[42:43]
	s_andn2_b64 exec, exec, s[42:43]
	s_cbranch_execnz .LBB1157_87
; %bb.88:                               ;   in Loop: Header=BB1157_84 Depth=1
	s_or_b64 exec, exec, s[42:43]
	s_branch .LBB1157_83
.LBB1157_89:                            ;   in Loop: Header=BB1157_84 Depth=1
                                        ; implicit-def: $vgpr22
                                        ; implicit-def: $vgpr23
	s_cbranch_execz .LBB1157_84
; %bb.90:
	s_and_saveexec_b64 s[40:41], s[18:19]
	s_cbranch_execz .LBB1157_92
; %bb.91:
	s_add_i32 s2, s2, 64
	s_mov_b32 s3, 0
	s_lshl_b64 s[2:3], s[2:3], 3
	s_add_u32 s2, s36, s2
	v_add_u32_e32 v20, v3, v2
	v_mov_b32_e32 v21, 2
	s_addc_u32 s3, s37, s3
	v_mov_b32_e32 v22, 0
	global_store_dwordx2 v22, v[20:21], s[2:3] sc1
	ds_write_b64 v22, v[2:3] offset:30720
.LBB1157_92:
	s_or_b64 exec, exec, s[40:41]
	v_cmp_eq_u32_e32 vcc, 0, v0
	s_and_b64 exec, exec, vcc
	s_cbranch_execz .LBB1157_94
; %bb.93:
	v_mov_b32_e32 v2, 0
	ds_write_b32 v2, v3 offset:28
.LBB1157_94:
	s_or_b64 exec, exec, s[38:39]
	v_mov_b32_e32 v2, 0
	s_waitcnt lgkmcnt(0)
	s_barrier
	ds_read_b32 v21, v2 offset:28
	s_waitcnt lgkmcnt(0)
	s_barrier
	ds_read_b64 v[2:3], v2 offset:30720
	v_cndmask_b32_e64 v20, v105, v66, s[18:19]
	v_cmp_ne_u32_e32 vcc, 0, v0
	s_waitcnt lgkmcnt(0)
	v_mov_b32_e32 v66, v3
	v_cndmask_b32_e32 v20, 0, v20, vcc
	v_add_u32_e32 v20, v21, v20
	s_load_dwordx2 s[2:3], s[0:1], 0x28
	s_branch .LBB1157_105
.LBB1157_95:
                                        ; implicit-def: $vgpr66
                                        ; implicit-def: $vgpr2
                                        ; implicit-def: $vgpr20
	s_load_dwordx2 s[2:3], s[0:1], 0x28
	s_cbranch_execz .LBB1157_105
; %bb.96:
	v_mov_b32_dpp v2, v104 row_shr:1 row_mask:0xf bank_mask:0xf
	v_cndmask_b32_e64 v2, v2, 0, s[16:17]
	v_add_u32_e32 v2, v2, v104
	s_nop 1
	v_mov_b32_dpp v3, v2 row_shr:2 row_mask:0xf bank_mask:0xf
	v_cndmask_b32_e64 v3, 0, v3, s[14:15]
	v_add_u32_e32 v2, v2, v3
	s_nop 1
	;; [unrolled: 4-line block ×4, first 2 shown]
	v_mov_b32_dpp v3, v2 row_bcast:15 row_mask:0xf bank_mask:0xf
	v_cndmask_b32_e64 v3, v3, 0, s[8:9]
	v_add_u32_e32 v2, v2, v3
	s_nop 1
	v_mov_b32_dpp v3, v2 row_bcast:31 row_mask:0xf bank_mask:0xf
	v_cndmask_b32_e64 v3, 0, v3, s[4:5]
	v_add_u32_e32 v2, v2, v3
	s_and_saveexec_b64 s[0:1], s[6:7]
	s_cbranch_execz .LBB1157_98
; %bb.97:
	v_lshlrev_b32_e32 v3, 2, v103
	ds_write_b32 v3, v2
.LBB1157_98:
	s_or_b64 exec, exec, s[0:1]
	v_cmp_gt_u32_e32 vcc, 8, v0
	s_waitcnt lgkmcnt(0)
	s_barrier
	s_and_saveexec_b64 s[0:1], vcc
	s_cbranch_execz .LBB1157_100
; %bb.99:
	v_lshlrev_b32_e32 v3, 2, v0
	ds_read_b32 v20, v3
	v_and_b32_e32 v21, 7, v102
	v_cmp_ne_u32_e32 vcc, 0, v21
	s_waitcnt lgkmcnt(0)
	v_mov_b32_dpp v22, v20 row_shr:1 row_mask:0xf bank_mask:0xf
	v_cndmask_b32_e32 v22, 0, v22, vcc
	v_add_u32_e32 v20, v22, v20
	v_cmp_lt_u32_e32 vcc, 1, v21
	s_nop 0
	v_mov_b32_dpp v22, v20 row_shr:2 row_mask:0xf bank_mask:0xf
	v_cndmask_b32_e32 v22, 0, v22, vcc
	v_add_u32_e32 v20, v20, v22
	v_cmp_lt_u32_e32 vcc, 3, v21
	s_nop 0
	v_mov_b32_dpp v22, v20 row_shr:4 row_mask:0xf bank_mask:0xf
	v_cndmask_b32_e32 v21, 0, v22, vcc
	v_add_u32_e32 v20, v20, v21
	ds_write_b32 v3, v20
.LBB1157_100:
	s_or_b64 exec, exec, s[0:1]
	v_cmp_lt_u32_e32 vcc, 63, v0
	v_mov_b32_e32 v3, 0
	v_mov_b32_e32 v20, 0
	s_waitcnt lgkmcnt(0)
	s_barrier
	s_and_saveexec_b64 s[0:1], vcc
	s_cbranch_execz .LBB1157_102
; %bb.101:
	v_lshl_add_u32 v20, v103, 2, -4
	ds_read_b32 v20, v20
.LBB1157_102:
	s_or_b64 exec, exec, s[0:1]
	v_add_u32_e32 v21, -1, v102
	v_and_b32_e32 v22, 64, v102
	v_cmp_lt_i32_e32 vcc, v21, v22
	s_waitcnt lgkmcnt(0)
	v_add_u32_e32 v2, v20, v2
	v_cndmask_b32_e32 v21, v21, v102, vcc
	v_lshlrev_b32_e32 v21, 2, v21
	ds_bpermute_b32 v21, v21, v2
	ds_read_b32 v2, v3 offset:28
	v_cmp_eq_u32_e32 vcc, 0, v0
	s_and_saveexec_b64 s[0:1], vcc
	s_cbranch_execz .LBB1157_104
; %bb.103:
	v_mov_b32_e32 v22, 0
	v_mov_b32_e32 v3, 2
	s_waitcnt lgkmcnt(0)
	global_store_dwordx2 v22, v[2:3], s[36:37] offset:512 sc1
.LBB1157_104:
	s_or_b64 exec, exec, s[0:1]
	v_cmp_eq_u32_e64 s[0:1], 0, v102
	v_mov_b32_e32 v66, 0
	s_waitcnt lgkmcnt(0)
	v_cndmask_b32_e64 v3, v21, v20, s[0:1]
	v_cndmask_b32_e64 v20, v3, 0, vcc
	s_barrier
.LBB1157_105:
	v_add_u32_e32 v3, v20, v74
	v_add_u32_e32 v21, v3, v75
	;; [unrolled: 1-line block ×21, first 2 shown]
	v_sub_u32_e32 v20, v20, v66
	v_and_b32_e32 v73, 1, v73
	v_add_u32_e32 v86, v85, v94
	v_sub_u32_e32 v94, v40, v20
	v_cmp_eq_u32_e32 vcc, 1, v73
	v_sub_u32_e32 v3, v3, v66
	v_add_u32_e32 v87, v86, v95
	v_cndmask_b32_e32 v20, v94, v20, vcc
	v_lshlrev_b32_e32 v20, 1, v20
	ds_write_b16 v20, v18
	v_sub_u32_e32 v18, v40, v3
	v_and_b32_e32 v20, 1, v72
	v_add_u32_e32 v18, 1, v18
	v_cmp_eq_u32_e32 vcc, 1, v20
	v_and_b32_e32 v20, 1, v71
	v_add_u32_e32 v88, v87, v96
	v_cndmask_b32_e32 v3, v18, v3, vcc
	v_lshlrev_b32_e32 v3, 1, v3
	ds_write_b16 v3, v42
	v_sub_u32_e32 v3, v21, v66
	v_sub_u32_e32 v18, v40, v3
	v_add_u32_e32 v18, 2, v18
	v_cmp_eq_u32_e32 vcc, 1, v20
	v_add_u32_e32 v89, v88, v97
	v_add_u32_e32 v90, v89, v98
	v_cndmask_b32_e32 v3, v18, v3, vcc
	v_lshlrev_b32_e32 v3, 1, v3
	ds_write_b16 v3, v19
	v_sub_u32_e32 v3, v22, v66
	v_sub_u32_e32 v18, v40, v3
	v_and_b32_e32 v19, 1, v70
	v_add_u32_e32 v18, 3, v18
	v_cmp_eq_u32_e32 vcc, 1, v19
	v_and_b32_e32 v19, 1, v69
	v_add_u32_e32 v91, v90, v99
	v_cndmask_b32_e32 v3, v18, v3, vcc
	v_lshlrev_b32_e32 v3, 1, v3
	ds_write_b16 v3, v41
	v_sub_u32_e32 v3, v23, v66
	v_sub_u32_e32 v18, v40, v3
	v_add_u32_e32 v18, 4, v18
	v_cmp_eq_u32_e32 vcc, 1, v19
	v_add_u32_e32 v92, v91, v100
	v_add_u32_e32 v93, v92, v101
	v_cndmask_b32_e32 v3, v18, v3, vcc
	v_lshlrev_b32_e32 v3, 1, v3
	ds_write_b16 v3, v16
	v_sub_u32_e32 v3, v24, v66
	v_sub_u32_e32 v16, v40, v3
	v_and_b32_e32 v18, 1, v68
	v_add_u32_e32 v16, 5, v16
	v_cmp_eq_u32_e32 vcc, 1, v18
	v_and_b32_e32 v18, 1, v67
	s_add_u32 s0, s22, s30
	v_cndmask_b32_e32 v3, v16, v3, vcc
	v_lshlrev_b32_e32 v3, 1, v3
	ds_write_b16 v3, v39
	v_sub_u32_e32 v3, v25, v66
	v_sub_u32_e32 v16, v40, v3
	v_add_u32_e32 v16, 6, v16
	v_cmp_eq_u32_e32 vcc, 1, v18
	s_addc_u32 s1, s23, 0
	s_sub_u32 s0, s28, s0
	v_cndmask_b32_e32 v3, v16, v3, vcc
	v_lshlrev_b32_e32 v3, 1, v3
	ds_write_b16 v3, v17
	v_sub_u32_e32 v3, v26, v66
	v_sub_u32_e32 v16, v40, v3
	v_and_b32_e32 v17, 1, v65
	v_add_u32_e32 v16, 7, v16
	v_cmp_eq_u32_e32 vcc, 1, v17
	v_and_b32_e32 v17, 1, v64
	s_subb_u32 s1, s29, s1
	v_cndmask_b32_e32 v3, v16, v3, vcc
	v_lshlrev_b32_e32 v3, 1, v3
	ds_write_b16 v3, v38
	v_sub_u32_e32 v3, v27, v66
	v_sub_u32_e32 v16, v40, v3
	v_add_u32_e32 v16, 8, v16
	v_cmp_eq_u32_e32 vcc, 1, v17
	v_or_b32_e32 v64, 0x200, v0
	v_or_b32_e32 v42, 0x1800, v0
	v_cndmask_b32_e32 v3, v16, v3, vcc
	v_lshlrev_b32_e32 v3, 1, v3
	ds_write_b16 v3, v14
	v_sub_u32_e32 v3, v74, v66
	v_sub_u32_e32 v14, v40, v3
	v_and_b32_e32 v16, 1, v63
	v_add_u32_e32 v14, 9, v14
	v_cmp_eq_u32_e32 vcc, 1, v16
	v_and_b32_e32 v16, 1, v62
	v_or_b32_e32 v62, 0x400, v0
	v_cndmask_b32_e32 v3, v14, v3, vcc
	v_lshlrev_b32_e32 v3, 1, v3
	ds_write_b16 v3, v37
	v_sub_u32_e32 v3, v75, v66
	v_sub_u32_e32 v14, v40, v3
	v_add_u32_e32 v14, 10, v14
	v_cmp_eq_u32_e32 vcc, 1, v16
	v_or_b32_e32 v38, 0x1c00, v0
	v_or_b32_e32 v26, 0x2800, v0
	v_cndmask_b32_e32 v3, v14, v3, vcc
	v_lshlrev_b32_e32 v3, 1, v3
	ds_write_b16 v3, v15
	v_sub_u32_e32 v3, v76, v66
	v_sub_u32_e32 v14, v40, v3
	v_and_b32_e32 v15, 1, v61
	v_add_u32_e32 v14, 11, v14
	v_cmp_eq_u32_e32 vcc, 1, v15
	v_and_b32_e32 v15, 1, v60
	v_or_b32_e32 v60, 0x600, v0
	v_cndmask_b32_e32 v3, v14, v3, vcc
	v_lshlrev_b32_e32 v3, 1, v3
	ds_write_b16 v3, v36
	v_sub_u32_e32 v3, v77, v66
	v_sub_u32_e32 v14, v40, v3
	v_add_u32_e32 v14, 12, v14
	v_cmp_eq_u32_e32 vcc, 1, v15
	v_or_b32_e32 v36, 0x1e00, v0
	v_or_b32_e32 v24, 0x2a00, v0
	v_cndmask_b32_e32 v3, v14, v3, vcc
	v_lshlrev_b32_e32 v3, 1, v3
	ds_write_b16 v3, v12
	v_sub_u32_e32 v3, v78, v66
	v_sub_u32_e32 v12, v40, v3
	v_and_b32_e32 v14, 1, v59
	v_add_u32_e32 v12, 13, v12
	v_cmp_eq_u32_e32 vcc, 1, v14
	v_and_b32_e32 v14, 1, v58
	v_or_b32_e32 v58, 0x800, v0
	v_cndmask_b32_e32 v3, v12, v3, vcc
	v_lshlrev_b32_e32 v3, 1, v3
	ds_write_b16 v3, v35
	v_sub_u32_e32 v3, v79, v66
	v_sub_u32_e32 v12, v40, v3
	v_add_u32_e32 v12, 14, v12
	v_cmp_eq_u32_e32 vcc, 1, v14
	v_or_b32_e32 v22, 0x2c00, v0
	v_or_b32_e32 v20, 0x2e00, v0
	v_cndmask_b32_e32 v3, v12, v3, vcc
	v_lshlrev_b32_e32 v3, 1, v3
	ds_write_b16 v3, v13
	v_sub_u32_e32 v3, v80, v66
	v_sub_u32_e32 v12, v40, v3
	v_and_b32_e32 v13, 1, v57
	v_add_u32_e32 v12, 15, v12
	v_cmp_eq_u32_e32 vcc, 1, v13
	v_and_b32_e32 v13, 1, v56
	v_or_b32_e32 v56, 0xa00, v0
	v_cndmask_b32_e32 v3, v12, v3, vcc
	v_lshlrev_b32_e32 v3, 1, v3
	ds_write_b16 v3, v34
	v_sub_u32_e32 v3, v81, v66
	v_sub_u32_e32 v12, v40, v3
	v_add_u32_e32 v12, 16, v12
	v_cmp_eq_u32_e32 vcc, 1, v13
	v_or_b32_e32 v34, 0x2000, v0
	v_or_b32_e32 v18, 0x3000, v0
	v_cndmask_b32_e32 v3, v12, v3, vcc
	v_lshlrev_b32_e32 v3, 1, v3
	ds_write_b16 v3, v10
	v_sub_u32_e32 v3, v82, v66
	v_sub_u32_e32 v10, v40, v3
	v_and_b32_e32 v12, 1, v55
	v_add_u32_e32 v10, 17, v10
	v_cmp_eq_u32_e32 vcc, 1, v12
	v_and_b32_e32 v12, 1, v54
	v_or_b32_e32 v54, 0xc00, v0
	v_cndmask_b32_e32 v3, v10, v3, vcc
	v_lshlrev_b32_e32 v3, 1, v3
	ds_write_b16 v3, v33
	v_sub_u32_e32 v3, v83, v66
	v_sub_u32_e32 v10, v40, v3
	v_add_u32_e32 v10, 18, v10
	v_cmp_eq_u32_e32 vcc, 1, v12
	v_or_b32_e32 v16, 0x3200, v0
	v_or_b32_e32 v14, 0x3400, v0
	v_cndmask_b32_e32 v3, v10, v3, vcc
	v_lshlrev_b32_e32 v3, 1, v3
	ds_write_b16 v3, v11
	v_sub_u32_e32 v3, v84, v66
	v_sub_u32_e32 v10, v40, v3
	v_and_b32_e32 v11, 1, v53
	v_add_u32_e32 v10, 19, v10
	v_cmp_eq_u32_e32 vcc, 1, v11
	v_and_b32_e32 v11, 1, v52
	v_or_b32_e32 v52, 0xe00, v0
	v_cndmask_b32_e32 v3, v10, v3, vcc
	v_lshlrev_b32_e32 v3, 1, v3
	ds_write_b16 v3, v32
	v_sub_u32_e32 v3, v85, v66
	v_sub_u32_e32 v10, v40, v3
	v_add_u32_e32 v10, 20, v10
	v_cmp_eq_u32_e32 vcc, 1, v11
	v_or_b32_e32 v32, 0x2200, v0
	v_or_b32_e32 v12, 0x3600, v0
	v_cndmask_b32_e32 v3, v10, v3, vcc
	v_lshlrev_b32_e32 v3, 1, v3
	ds_write_b16 v3, v8
	v_sub_u32_e32 v3, v86, v66
	v_sub_u32_e32 v8, v40, v3
	v_and_b32_e32 v10, 1, v51
	v_add_u32_e32 v8, 21, v8
	v_cmp_eq_u32_e32 vcc, 1, v10
	v_and_b32_e32 v10, 1, v50
	v_or_b32_e32 v50, 0x1000, v0
	v_cndmask_b32_e32 v3, v8, v3, vcc
	v_lshlrev_b32_e32 v3, 1, v3
	ds_write_b16 v3, v31
	v_sub_u32_e32 v3, v87, v66
	v_sub_u32_e32 v8, v40, v3
	v_add_u32_e32 v8, 22, v8
	v_cmp_eq_u32_e32 vcc, 1, v10
	v_or_b32_e32 v10, 0x3800, v0
	s_nop 0
	v_cndmask_b32_e32 v3, v8, v3, vcc
	v_lshlrev_b32_e32 v3, 1, v3
	ds_write_b16 v3, v9
	v_sub_u32_e32 v3, v88, v66
	v_sub_u32_e32 v8, v40, v3
	v_and_b32_e32 v9, 1, v49
	v_add_u32_e32 v8, 23, v8
	v_cmp_eq_u32_e32 vcc, 1, v9
	v_and_b32_e32 v9, 1, v48
	v_or_b32_e32 v48, 0x1200, v0
	v_cndmask_b32_e32 v3, v8, v3, vcc
	v_lshlrev_b32_e32 v3, 1, v3
	ds_write_b16 v3, v30
	v_sub_u32_e32 v3, v89, v66
	v_sub_u32_e32 v8, v40, v3
	v_add_u32_e32 v8, 24, v8
	v_cmp_eq_u32_e32 vcc, 1, v9
	v_or_b32_e32 v30, 0x2400, v0
	s_nop 0
	v_cndmask_b32_e32 v3, v8, v3, vcc
	v_lshlrev_b32_e32 v3, 1, v3
	ds_write_b16 v3, v6
	v_sub_u32_e32 v3, v90, v66
	v_sub_u32_e32 v6, v40, v3
	v_and_b32_e32 v8, 1, v47
	v_add_u32_e32 v6, 25, v6
	v_cmp_eq_u32_e32 vcc, 1, v8
	v_and_b32_e32 v8, 1, v46
	v_or_b32_e32 v46, 0x1400, v0
	v_cndmask_b32_e32 v3, v6, v3, vcc
	v_lshlrev_b32_e32 v3, 1, v3
	ds_write_b16 v3, v29
	v_sub_u32_e32 v3, v91, v66
	v_sub_u32_e32 v6, v40, v3
	v_add_u32_e32 v6, 26, v6
	v_cmp_eq_u32_e32 vcc, 1, v8
	s_nop 1
	v_cndmask_b32_e32 v3, v6, v3, vcc
	v_lshlrev_b32_e32 v3, 1, v3
	ds_write_b16 v3, v7
	v_sub_u32_e32 v3, v92, v66
	v_sub_u32_e32 v6, v40, v3
	v_and_b32_e32 v7, 1, v45
	v_add_u32_e32 v6, 27, v6
	v_cmp_eq_u32_e32 vcc, 1, v7
	v_and_b32_e32 v7, 1, v43
	s_nop 0
	v_cndmask_b32_e32 v3, v6, v3, vcc
	v_lshlrev_b32_e32 v3, 1, v3
	ds_write_b16 v3, v28
	v_sub_u32_e32 v3, v93, v66
	v_sub_u32_e32 v6, v40, v3
	v_add_u32_e32 v6, 28, v6
	v_cmp_eq_u32_e32 vcc, 1, v7
	v_or_b32_e32 v28, 0x2600, v0
	s_nop 0
	v_cndmask_b32_e32 v3, v6, v3, vcc
	v_lshlrev_b32_e32 v3, 1, v3
	ds_write_b16 v3, v5
	v_sub_u32_sdwa v3, v43, v66 dst_sel:DWORD dst_unused:UNUSED_PAD src0_sel:BYTE_0 src1_sel:DWORD
	v_add_u32_e32 v3, v93, v3
	v_sub_u32_e32 v5, v40, v3
	v_and_b32_e32 v6, 1, v44
	v_add_u32_e32 v5, 29, v5
	v_cmp_eq_u32_e32 vcc, 1, v6
	v_or_b32_e32 v44, 0x1600, v0
	v_or_b32_e32 v40, 0x1a00, v0
	v_cndmask_b32_e32 v3, v5, v3, vcc
	v_lshlrev_b32_e32 v3, 1, v3
	ds_write_b16 v3, v1
	s_waitcnt lgkmcnt(0)
	s_barrier
	ds_read_u16 v97, v4
	ds_read_u16 v96, v4 offset:1024
	ds_read_u16 v95, v4 offset:2048
	;; [unrolled: 1-line block ×29, first 2 shown]
	v_mov_b32_e32 v1, 0
	v_mov_b32_e32 v67, v1
	;; [unrolled: 1-line block ×3, first 2 shown]
	v_lshl_add_u64 v[4:5], s[34:35], 0, v[66:67]
	v_lshl_add_u64 v[8:9], s[0:1], 0, v[2:3]
	v_mov_b32_e32 v65, v1
	v_mov_b32_e32 v63, v1
	;; [unrolled: 1-line block ×28, first 2 shown]
	v_or_b32_e32 v6, 0x3a00, v0
	v_mov_b32_e32 v7, v1
	s_and_b64 vcc, exec, s[20:21]
	v_lshl_add_u64 v[8:9], v[8:9], 0, v[4:5]
	s_cbranch_vccnz .LBB1157_227
; %bb.106:
	v_cmp_ge_u32_e32 vcc, v0, v2
                                        ; implicit-def: $vgpr66_vgpr67
	s_and_saveexec_b64 s[0:1], vcc
	s_xor_b64 s[0:1], exec, s[0:1]
; %bb.107:
	v_not_b32_e32 v66, v0
	v_ashrrev_i32_e32 v67, 31, v66
	v_lshl_add_u64 v[66:67], v[8:9], 0, v[66:67]
; %bb.108:
	s_andn2_saveexec_b64 s[0:1], s[0:1]
; %bb.109:
	v_lshl_add_u64 v[66:67], v[4:5], 0, v[0:1]
; %bb.110:
	s_or_b64 exec, exec, s[0:1]
	v_lshl_add_u64 v[66:67], v[66:67], 1, s[2:3]
	v_cmp_ge_u32_e32 vcc, v64, v2
	s_waitcnt lgkmcnt(14)
	global_store_short v[66:67], v97, off
                                        ; implicit-def: $vgpr66_vgpr67
	s_and_saveexec_b64 s[0:1], vcc
	s_xor_b64 s[0:1], exec, s[0:1]
; %bb.111:
	v_xor_b32_e32 v66, 0xfffffdff, v0
	v_ashrrev_i32_e32 v67, 31, v66
	v_lshl_add_u64 v[66:67], v[8:9], 0, v[66:67]
; %bb.112:
	s_andn2_saveexec_b64 s[0:1], s[0:1]
; %bb.113:
	v_lshl_add_u64 v[66:67], v[4:5], 0, v[64:65]
; %bb.114:
	s_or_b64 exec, exec, s[0:1]
	v_lshl_add_u64 v[66:67], v[66:67], 1, s[2:3]
	v_cmp_ge_u32_e32 vcc, v62, v2
	global_store_short v[66:67], v96, off
                                        ; implicit-def: $vgpr66_vgpr67
	s_and_saveexec_b64 s[0:1], vcc
	s_xor_b64 s[0:1], exec, s[0:1]
; %bb.115:
	v_xor_b32_e32 v66, 0xfffffbff, v0
	v_ashrrev_i32_e32 v67, 31, v66
	v_lshl_add_u64 v[66:67], v[8:9], 0, v[66:67]
; %bb.116:
	s_andn2_saveexec_b64 s[0:1], s[0:1]
; %bb.117:
	v_lshl_add_u64 v[66:67], v[4:5], 0, v[62:63]
; %bb.118:
	s_or_b64 exec, exec, s[0:1]
	v_lshl_add_u64 v[66:67], v[66:67], 1, s[2:3]
	v_cmp_ge_u32_e32 vcc, v60, v2
	;; [unrolled: 16-line block ×16, first 2 shown]
	s_waitcnt lgkmcnt(13)
	global_store_short v[66:67], v81, off
                                        ; implicit-def: $vgpr66_vgpr67
	s_and_saveexec_b64 s[0:1], vcc
	s_xor_b64 s[0:1], exec, s[0:1]
; %bb.175:
	v_xor_b32_e32 v66, 0xffffddff, v0
	v_ashrrev_i32_e32 v67, 31, v66
	v_lshl_add_u64 v[66:67], v[8:9], 0, v[66:67]
; %bb.176:
	s_andn2_saveexec_b64 s[0:1], s[0:1]
; %bb.177:
	v_lshl_add_u64 v[66:67], v[4:5], 0, v[32:33]
; %bb.178:
	s_or_b64 exec, exec, s[0:1]
	v_lshl_add_u64 v[66:67], v[66:67], 1, s[2:3]
	v_cmp_ge_u32_e32 vcc, v30, v2
	s_waitcnt lgkmcnt(12)
	global_store_short v[66:67], v80, off
                                        ; implicit-def: $vgpr66_vgpr67
	s_and_saveexec_b64 s[0:1], vcc
	s_xor_b64 s[0:1], exec, s[0:1]
; %bb.179:
	v_xor_b32_e32 v66, 0xffffdbff, v0
	v_ashrrev_i32_e32 v67, 31, v66
	v_lshl_add_u64 v[66:67], v[8:9], 0, v[66:67]
; %bb.180:
	s_andn2_saveexec_b64 s[0:1], s[0:1]
; %bb.181:
	v_lshl_add_u64 v[66:67], v[4:5], 0, v[30:31]
; %bb.182:
	s_or_b64 exec, exec, s[0:1]
	v_lshl_add_u64 v[66:67], v[66:67], 1, s[2:3]
	v_cmp_ge_u32_e32 vcc, v28, v2
	;; [unrolled: 17-line block ×12, first 2 shown]
	s_waitcnt lgkmcnt(1)
	global_store_short v[66:67], v69, off
                                        ; implicit-def: $vgpr66_vgpr67
	s_and_saveexec_b64 s[0:1], vcc
	s_xor_b64 s[0:1], exec, s[0:1]
; %bb.223:
	v_xor_b32_e32 v66, 0xffffc5ff, v0
	v_ashrrev_i32_e32 v67, 31, v66
	v_lshl_add_u64 v[66:67], v[8:9], 0, v[66:67]
; %bb.224:
	s_andn2_saveexec_b64 s[0:1], s[0:1]
; %bb.225:
	v_lshl_add_u64 v[66:67], v[4:5], 0, v[6:7]
; %bb.226:
	s_or_b64 exec, exec, s[0:1]
	s_mov_b64 s[0:1], -1
	s_branch .LBB1157_409
.LBB1157_227:
	s_mov_b64 s[0:1], 0
                                        ; implicit-def: $vgpr66_vgpr67
	s_cbranch_execz .LBB1157_409
; %bb.228:
	v_cmp_gt_u32_e32 vcc, s33, v0
	s_and_saveexec_b64 s[4:5], vcc
	s_cbranch_execz .LBB1157_314
; %bb.229:
	v_cmp_ge_u32_e32 vcc, v0, v2
                                        ; implicit-def: $vgpr66_vgpr67
	s_and_saveexec_b64 s[6:7], vcc
	s_xor_b64 s[6:7], exec, s[6:7]
; %bb.230:
	v_not_b32_e32 v66, v0
	v_ashrrev_i32_e32 v67, 31, v66
	v_lshl_add_u64 v[66:67], v[8:9], 0, v[66:67]
; %bb.231:
	s_andn2_saveexec_b64 s[6:7], s[6:7]
; %bb.232:
	v_lshl_add_u64 v[66:67], v[4:5], 0, v[0:1]
; %bb.233:
	s_or_b64 exec, exec, s[6:7]
	v_lshl_add_u64 v[66:67], v[66:67], 1, s[2:3]
	s_waitcnt lgkmcnt(14)
	global_store_short v[66:67], v97, off
	s_or_b64 exec, exec, s[4:5]
	v_cmp_gt_u32_e32 vcc, s33, v64
	s_and_saveexec_b64 s[4:5], vcc
	s_cbranch_execnz .LBB1157_315
.LBB1157_234:
	s_or_b64 exec, exec, s[4:5]
	v_cmp_gt_u32_e32 vcc, s33, v62
	s_and_saveexec_b64 s[4:5], vcc
	s_cbranch_execz .LBB1157_320
.LBB1157_235:
	v_cmp_ge_u32_e32 vcc, v62, v2
                                        ; implicit-def: $vgpr64_vgpr65
	s_and_saveexec_b64 s[6:7], vcc
	s_xor_b64 s[6:7], exec, s[6:7]
; %bb.236:
	v_xor_b32_e32 v62, 0xfffffbff, v0
	v_ashrrev_i32_e32 v63, 31, v62
	v_lshl_add_u64 v[64:65], v[8:9], 0, v[62:63]
                                        ; implicit-def: $vgpr62_vgpr63
; %bb.237:
	s_andn2_saveexec_b64 s[6:7], s[6:7]
; %bb.238:
	v_lshl_add_u64 v[64:65], v[4:5], 0, v[62:63]
; %bb.239:
	s_or_b64 exec, exec, s[6:7]
	v_lshl_add_u64 v[62:63], v[64:65], 1, s[2:3]
	s_waitcnt lgkmcnt(14)
	global_store_short v[62:63], v95, off
	s_or_b64 exec, exec, s[4:5]
	v_cmp_gt_u32_e32 vcc, s33, v60
	s_and_saveexec_b64 s[4:5], vcc
	s_cbranch_execnz .LBB1157_321
.LBB1157_240:
	s_or_b64 exec, exec, s[4:5]
	v_cmp_gt_u32_e32 vcc, s33, v58
	s_and_saveexec_b64 s[4:5], vcc
	s_cbranch_execz .LBB1157_326
.LBB1157_241:
	v_cmp_ge_u32_e32 vcc, v58, v2
                                        ; implicit-def: $vgpr60_vgpr61
	s_and_saveexec_b64 s[6:7], vcc
	s_xor_b64 s[6:7], exec, s[6:7]
; %bb.242:
	v_xor_b32_e32 v58, 0xfffff7ff, v0
	v_ashrrev_i32_e32 v59, 31, v58
	v_lshl_add_u64 v[60:61], v[8:9], 0, v[58:59]
                                        ; implicit-def: $vgpr58_vgpr59
; %bb.243:
	s_andn2_saveexec_b64 s[6:7], s[6:7]
; %bb.244:
	v_lshl_add_u64 v[60:61], v[4:5], 0, v[58:59]
; %bb.245:
	s_or_b64 exec, exec, s[6:7]
	v_lshl_add_u64 v[58:59], v[60:61], 1, s[2:3]
	s_waitcnt lgkmcnt(14)
	global_store_short v[58:59], v93, off
	s_or_b64 exec, exec, s[4:5]
	v_cmp_gt_u32_e32 vcc, s33, v56
	s_and_saveexec_b64 s[4:5], vcc
	s_cbranch_execnz .LBB1157_327
.LBB1157_246:
	s_or_b64 exec, exec, s[4:5]
	v_cmp_gt_u32_e32 vcc, s33, v54
	s_and_saveexec_b64 s[4:5], vcc
	s_cbranch_execz .LBB1157_332
.LBB1157_247:
	v_cmp_ge_u32_e32 vcc, v54, v2
                                        ; implicit-def: $vgpr56_vgpr57
	s_and_saveexec_b64 s[6:7], vcc
	s_xor_b64 s[6:7], exec, s[6:7]
; %bb.248:
	v_xor_b32_e32 v54, 0xfffff3ff, v0
	v_ashrrev_i32_e32 v55, 31, v54
	v_lshl_add_u64 v[56:57], v[8:9], 0, v[54:55]
                                        ; implicit-def: $vgpr54_vgpr55
; %bb.249:
	s_andn2_saveexec_b64 s[6:7], s[6:7]
; %bb.250:
	v_lshl_add_u64 v[56:57], v[4:5], 0, v[54:55]
; %bb.251:
	s_or_b64 exec, exec, s[6:7]
	v_lshl_add_u64 v[54:55], v[56:57], 1, s[2:3]
	s_waitcnt lgkmcnt(14)
	global_store_short v[54:55], v91, off
	s_or_b64 exec, exec, s[4:5]
	v_cmp_gt_u32_e32 vcc, s33, v52
	s_and_saveexec_b64 s[4:5], vcc
	s_cbranch_execnz .LBB1157_333
.LBB1157_252:
	s_or_b64 exec, exec, s[4:5]
	v_cmp_gt_u32_e32 vcc, s33, v50
	s_and_saveexec_b64 s[4:5], vcc
	s_cbranch_execz .LBB1157_338
.LBB1157_253:
	v_cmp_ge_u32_e32 vcc, v50, v2
                                        ; implicit-def: $vgpr52_vgpr53
	s_and_saveexec_b64 s[6:7], vcc
	s_xor_b64 s[6:7], exec, s[6:7]
; %bb.254:
	v_xor_b32_e32 v50, 0xffffefff, v0
	v_ashrrev_i32_e32 v51, 31, v50
	v_lshl_add_u64 v[52:53], v[8:9], 0, v[50:51]
                                        ; implicit-def: $vgpr50_vgpr51
; %bb.255:
	s_andn2_saveexec_b64 s[6:7], s[6:7]
; %bb.256:
	v_lshl_add_u64 v[52:53], v[4:5], 0, v[50:51]
; %bb.257:
	s_or_b64 exec, exec, s[6:7]
	v_lshl_add_u64 v[50:51], v[52:53], 1, s[2:3]
	s_waitcnt lgkmcnt(14)
	global_store_short v[50:51], v89, off
	s_or_b64 exec, exec, s[4:5]
	v_cmp_gt_u32_e32 vcc, s33, v48
	s_and_saveexec_b64 s[4:5], vcc
	s_cbranch_execnz .LBB1157_339
.LBB1157_258:
	s_or_b64 exec, exec, s[4:5]
	v_cmp_gt_u32_e32 vcc, s33, v46
	s_and_saveexec_b64 s[4:5], vcc
	s_cbranch_execz .LBB1157_344
.LBB1157_259:
	v_cmp_ge_u32_e32 vcc, v46, v2
                                        ; implicit-def: $vgpr48_vgpr49
	s_and_saveexec_b64 s[6:7], vcc
	s_xor_b64 s[6:7], exec, s[6:7]
; %bb.260:
	v_xor_b32_e32 v46, 0xffffebff, v0
	v_ashrrev_i32_e32 v47, 31, v46
	v_lshl_add_u64 v[48:49], v[8:9], 0, v[46:47]
                                        ; implicit-def: $vgpr46_vgpr47
; %bb.261:
	s_andn2_saveexec_b64 s[6:7], s[6:7]
; %bb.262:
	v_lshl_add_u64 v[48:49], v[4:5], 0, v[46:47]
; %bb.263:
	s_or_b64 exec, exec, s[6:7]
	v_lshl_add_u64 v[46:47], v[48:49], 1, s[2:3]
	s_waitcnt lgkmcnt(14)
	global_store_short v[46:47], v87, off
	s_or_b64 exec, exec, s[4:5]
	v_cmp_gt_u32_e32 vcc, s33, v44
	s_and_saveexec_b64 s[4:5], vcc
	s_cbranch_execnz .LBB1157_345
.LBB1157_264:
	s_or_b64 exec, exec, s[4:5]
	v_cmp_gt_u32_e32 vcc, s33, v42
	s_and_saveexec_b64 s[4:5], vcc
	s_cbranch_execz .LBB1157_350
.LBB1157_265:
	v_cmp_ge_u32_e32 vcc, v42, v2
                                        ; implicit-def: $vgpr44_vgpr45
	s_and_saveexec_b64 s[6:7], vcc
	s_xor_b64 s[6:7], exec, s[6:7]
; %bb.266:
	v_xor_b32_e32 v42, 0xffffe7ff, v0
	v_ashrrev_i32_e32 v43, 31, v42
	v_lshl_add_u64 v[44:45], v[8:9], 0, v[42:43]
                                        ; implicit-def: $vgpr42_vgpr43
; %bb.267:
	s_andn2_saveexec_b64 s[6:7], s[6:7]
; %bb.268:
	v_lshl_add_u64 v[44:45], v[4:5], 0, v[42:43]
; %bb.269:
	s_or_b64 exec, exec, s[6:7]
	v_lshl_add_u64 v[42:43], v[44:45], 1, s[2:3]
	s_waitcnt lgkmcnt(14)
	global_store_short v[42:43], v85, off
	s_or_b64 exec, exec, s[4:5]
	v_cmp_gt_u32_e32 vcc, s33, v40
	s_and_saveexec_b64 s[4:5], vcc
	s_cbranch_execnz .LBB1157_351
.LBB1157_270:
	s_or_b64 exec, exec, s[4:5]
	v_cmp_gt_u32_e32 vcc, s33, v38
	s_and_saveexec_b64 s[4:5], vcc
	s_cbranch_execz .LBB1157_356
.LBB1157_271:
	v_cmp_ge_u32_e32 vcc, v38, v2
                                        ; implicit-def: $vgpr40_vgpr41
	s_and_saveexec_b64 s[6:7], vcc
	s_xor_b64 s[6:7], exec, s[6:7]
; %bb.272:
	v_xor_b32_e32 v38, 0xffffe3ff, v0
	v_ashrrev_i32_e32 v39, 31, v38
	v_lshl_add_u64 v[40:41], v[8:9], 0, v[38:39]
                                        ; implicit-def: $vgpr38_vgpr39
; %bb.273:
	s_andn2_saveexec_b64 s[6:7], s[6:7]
; %bb.274:
	v_lshl_add_u64 v[40:41], v[4:5], 0, v[38:39]
; %bb.275:
	s_or_b64 exec, exec, s[6:7]
	v_lshl_add_u64 v[38:39], v[40:41], 1, s[2:3]
	s_waitcnt lgkmcnt(14)
	global_store_short v[38:39], v83, off
	s_or_b64 exec, exec, s[4:5]
	v_cmp_gt_u32_e32 vcc, s33, v36
	s_and_saveexec_b64 s[4:5], vcc
	s_cbranch_execnz .LBB1157_357
.LBB1157_276:
	s_or_b64 exec, exec, s[4:5]
	v_cmp_gt_u32_e32 vcc, s33, v34
	s_and_saveexec_b64 s[4:5], vcc
	s_cbranch_execz .LBB1157_362
.LBB1157_277:
	v_cmp_ge_u32_e32 vcc, v34, v2
                                        ; implicit-def: $vgpr36_vgpr37
	s_and_saveexec_b64 s[6:7], vcc
	s_xor_b64 s[6:7], exec, s[6:7]
; %bb.278:
	v_xor_b32_e32 v34, 0xffffdfff, v0
	v_ashrrev_i32_e32 v35, 31, v34
	v_lshl_add_u64 v[36:37], v[8:9], 0, v[34:35]
                                        ; implicit-def: $vgpr34_vgpr35
; %bb.279:
	s_andn2_saveexec_b64 s[6:7], s[6:7]
; %bb.280:
	v_lshl_add_u64 v[36:37], v[4:5], 0, v[34:35]
; %bb.281:
	s_or_b64 exec, exec, s[6:7]
	v_lshl_add_u64 v[34:35], v[36:37], 1, s[2:3]
	s_waitcnt lgkmcnt(13)
	global_store_short v[34:35], v81, off
	s_or_b64 exec, exec, s[4:5]
	v_cmp_gt_u32_e32 vcc, s33, v32
	s_and_saveexec_b64 s[4:5], vcc
	s_cbranch_execnz .LBB1157_363
.LBB1157_282:
	s_or_b64 exec, exec, s[4:5]
	v_cmp_gt_u32_e32 vcc, s33, v30
	s_and_saveexec_b64 s[4:5], vcc
	s_cbranch_execz .LBB1157_368
.LBB1157_283:
	v_cmp_ge_u32_e32 vcc, v30, v2
                                        ; implicit-def: $vgpr32_vgpr33
	s_and_saveexec_b64 s[6:7], vcc
	s_xor_b64 s[6:7], exec, s[6:7]
; %bb.284:
	v_xor_b32_e32 v30, 0xffffdbff, v0
	v_ashrrev_i32_e32 v31, 31, v30
	v_lshl_add_u64 v[32:33], v[8:9], 0, v[30:31]
                                        ; implicit-def: $vgpr30_vgpr31
; %bb.285:
	s_andn2_saveexec_b64 s[6:7], s[6:7]
; %bb.286:
	v_lshl_add_u64 v[32:33], v[4:5], 0, v[30:31]
; %bb.287:
	s_or_b64 exec, exec, s[6:7]
	v_lshl_add_u64 v[30:31], v[32:33], 1, s[2:3]
	s_waitcnt lgkmcnt(11)
	global_store_short v[30:31], v79, off
	s_or_b64 exec, exec, s[4:5]
	v_cmp_gt_u32_e32 vcc, s33, v28
	s_and_saveexec_b64 s[4:5], vcc
	s_cbranch_execnz .LBB1157_369
.LBB1157_288:
	s_or_b64 exec, exec, s[4:5]
	v_cmp_gt_u32_e32 vcc, s33, v26
	s_and_saveexec_b64 s[4:5], vcc
	s_cbranch_execz .LBB1157_374
.LBB1157_289:
	v_cmp_ge_u32_e32 vcc, v26, v2
                                        ; implicit-def: $vgpr28_vgpr29
	s_and_saveexec_b64 s[6:7], vcc
	s_xor_b64 s[6:7], exec, s[6:7]
; %bb.290:
	v_xor_b32_e32 v26, 0xffffd7ff, v0
	v_ashrrev_i32_e32 v27, 31, v26
	v_lshl_add_u64 v[28:29], v[8:9], 0, v[26:27]
                                        ; implicit-def: $vgpr26_vgpr27
; %bb.291:
	s_andn2_saveexec_b64 s[6:7], s[6:7]
; %bb.292:
	v_lshl_add_u64 v[28:29], v[4:5], 0, v[26:27]
; %bb.293:
	s_or_b64 exec, exec, s[6:7]
	v_lshl_add_u64 v[26:27], v[28:29], 1, s[2:3]
	s_waitcnt lgkmcnt(9)
	global_store_short v[26:27], v77, off
	s_or_b64 exec, exec, s[4:5]
	v_cmp_gt_u32_e32 vcc, s33, v24
	s_and_saveexec_b64 s[4:5], vcc
	s_cbranch_execnz .LBB1157_375
.LBB1157_294:
	s_or_b64 exec, exec, s[4:5]
	v_cmp_gt_u32_e32 vcc, s33, v22
	s_and_saveexec_b64 s[4:5], vcc
	s_cbranch_execz .LBB1157_380
.LBB1157_295:
	v_cmp_ge_u32_e32 vcc, v22, v2
                                        ; implicit-def: $vgpr24_vgpr25
	s_and_saveexec_b64 s[6:7], vcc
	s_xor_b64 s[6:7], exec, s[6:7]
; %bb.296:
	v_xor_b32_e32 v22, 0xffffd3ff, v0
	v_ashrrev_i32_e32 v23, 31, v22
	v_lshl_add_u64 v[24:25], v[8:9], 0, v[22:23]
                                        ; implicit-def: $vgpr22_vgpr23
; %bb.297:
	s_andn2_saveexec_b64 s[6:7], s[6:7]
; %bb.298:
	v_lshl_add_u64 v[24:25], v[4:5], 0, v[22:23]
; %bb.299:
	s_or_b64 exec, exec, s[6:7]
	v_lshl_add_u64 v[22:23], v[24:25], 1, s[2:3]
	s_waitcnt lgkmcnt(7)
	global_store_short v[22:23], v75, off
	s_or_b64 exec, exec, s[4:5]
	v_cmp_gt_u32_e32 vcc, s33, v20
	s_and_saveexec_b64 s[4:5], vcc
	s_cbranch_execnz .LBB1157_381
.LBB1157_300:
	s_or_b64 exec, exec, s[4:5]
	v_cmp_gt_u32_e32 vcc, s33, v18
	s_and_saveexec_b64 s[4:5], vcc
	s_cbranch_execz .LBB1157_386
.LBB1157_301:
	v_cmp_ge_u32_e32 vcc, v18, v2
                                        ; implicit-def: $vgpr20_vgpr21
	s_and_saveexec_b64 s[6:7], vcc
	s_xor_b64 s[6:7], exec, s[6:7]
; %bb.302:
	v_xor_b32_e32 v18, 0xffffcfff, v0
	v_ashrrev_i32_e32 v19, 31, v18
	v_lshl_add_u64 v[20:21], v[8:9], 0, v[18:19]
                                        ; implicit-def: $vgpr18_vgpr19
; %bb.303:
	s_andn2_saveexec_b64 s[6:7], s[6:7]
; %bb.304:
	v_lshl_add_u64 v[20:21], v[4:5], 0, v[18:19]
; %bb.305:
	s_or_b64 exec, exec, s[6:7]
	v_lshl_add_u64 v[18:19], v[20:21], 1, s[2:3]
	s_waitcnt lgkmcnt(5)
	global_store_short v[18:19], v73, off
	s_or_b64 exec, exec, s[4:5]
	v_cmp_gt_u32_e32 vcc, s33, v16
	s_and_saveexec_b64 s[4:5], vcc
	s_cbranch_execnz .LBB1157_387
.LBB1157_306:
	s_or_b64 exec, exec, s[4:5]
	v_cmp_gt_u32_e32 vcc, s33, v14
	s_and_saveexec_b64 s[4:5], vcc
	s_cbranch_execz .LBB1157_392
.LBB1157_307:
	v_cmp_ge_u32_e32 vcc, v14, v2
                                        ; implicit-def: $vgpr16_vgpr17
	s_and_saveexec_b64 s[6:7], vcc
	s_xor_b64 s[6:7], exec, s[6:7]
; %bb.308:
	v_xor_b32_e32 v14, 0xffffcbff, v0
	v_ashrrev_i32_e32 v15, 31, v14
	v_lshl_add_u64 v[16:17], v[8:9], 0, v[14:15]
                                        ; implicit-def: $vgpr14_vgpr15
; %bb.309:
	s_andn2_saveexec_b64 s[6:7], s[6:7]
; %bb.310:
	v_lshl_add_u64 v[16:17], v[4:5], 0, v[14:15]
; %bb.311:
	s_or_b64 exec, exec, s[6:7]
	v_lshl_add_u64 v[14:15], v[16:17], 1, s[2:3]
	s_waitcnt lgkmcnt(3)
	global_store_short v[14:15], v71, off
	s_or_b64 exec, exec, s[4:5]
	v_cmp_gt_u32_e32 vcc, s33, v12
	s_and_saveexec_b64 s[4:5], vcc
	s_cbranch_execnz .LBB1157_393
.LBB1157_312:
	s_or_b64 exec, exec, s[4:5]
	v_cmp_gt_u32_e32 vcc, s33, v10
	s_and_saveexec_b64 s[4:5], vcc
	s_cbranch_execnz .LBB1157_398
.LBB1157_313:
	s_or_b64 exec, exec, s[4:5]
	v_cmp_gt_u32_e32 vcc, s33, v6
                                        ; implicit-def: $vgpr66_vgpr67
	s_and_saveexec_b64 s[4:5], vcc
	s_cbranch_execz .LBB1157_408
	s_branch .LBB1157_403
.LBB1157_314:
	s_or_b64 exec, exec, s[4:5]
	v_cmp_gt_u32_e32 vcc, s33, v64
	s_and_saveexec_b64 s[4:5], vcc
	s_cbranch_execz .LBB1157_234
.LBB1157_315:
	v_cmp_ge_u32_e32 vcc, v64, v2
                                        ; implicit-def: $vgpr66_vgpr67
	s_and_saveexec_b64 s[6:7], vcc
	s_xor_b64 s[6:7], exec, s[6:7]
; %bb.316:
	v_xor_b32_e32 v64, 0xfffffdff, v0
	v_ashrrev_i32_e32 v65, 31, v64
	v_lshl_add_u64 v[66:67], v[8:9], 0, v[64:65]
                                        ; implicit-def: $vgpr64_vgpr65
; %bb.317:
	s_andn2_saveexec_b64 s[6:7], s[6:7]
; %bb.318:
	v_lshl_add_u64 v[66:67], v[4:5], 0, v[64:65]
; %bb.319:
	s_or_b64 exec, exec, s[6:7]
	v_lshl_add_u64 v[64:65], v[66:67], 1, s[2:3]
	s_waitcnt lgkmcnt(14)
	global_store_short v[64:65], v96, off
	s_or_b64 exec, exec, s[4:5]
	v_cmp_gt_u32_e32 vcc, s33, v62
	s_and_saveexec_b64 s[4:5], vcc
	s_cbranch_execnz .LBB1157_235
.LBB1157_320:
	s_or_b64 exec, exec, s[4:5]
	v_cmp_gt_u32_e32 vcc, s33, v60
	s_and_saveexec_b64 s[4:5], vcc
	s_cbranch_execz .LBB1157_240
.LBB1157_321:
	v_cmp_ge_u32_e32 vcc, v60, v2
                                        ; implicit-def: $vgpr62_vgpr63
	s_and_saveexec_b64 s[6:7], vcc
	s_xor_b64 s[6:7], exec, s[6:7]
; %bb.322:
	v_xor_b32_e32 v60, 0xfffff9ff, v0
	v_ashrrev_i32_e32 v61, 31, v60
	v_lshl_add_u64 v[62:63], v[8:9], 0, v[60:61]
                                        ; implicit-def: $vgpr60_vgpr61
; %bb.323:
	s_andn2_saveexec_b64 s[6:7], s[6:7]
; %bb.324:
	v_lshl_add_u64 v[62:63], v[4:5], 0, v[60:61]
; %bb.325:
	s_or_b64 exec, exec, s[6:7]
	v_lshl_add_u64 v[60:61], v[62:63], 1, s[2:3]
	s_waitcnt lgkmcnt(14)
	global_store_short v[60:61], v94, off
	s_or_b64 exec, exec, s[4:5]
	v_cmp_gt_u32_e32 vcc, s33, v58
	s_and_saveexec_b64 s[4:5], vcc
	s_cbranch_execnz .LBB1157_241
.LBB1157_326:
	s_or_b64 exec, exec, s[4:5]
	v_cmp_gt_u32_e32 vcc, s33, v56
	s_and_saveexec_b64 s[4:5], vcc
	s_cbranch_execz .LBB1157_246
.LBB1157_327:
	v_cmp_ge_u32_e32 vcc, v56, v2
                                        ; implicit-def: $vgpr58_vgpr59
	s_and_saveexec_b64 s[6:7], vcc
	s_xor_b64 s[6:7], exec, s[6:7]
; %bb.328:
	v_xor_b32_e32 v56, 0xfffff5ff, v0
	v_ashrrev_i32_e32 v57, 31, v56
	v_lshl_add_u64 v[58:59], v[8:9], 0, v[56:57]
                                        ; implicit-def: $vgpr56_vgpr57
; %bb.329:
	s_andn2_saveexec_b64 s[6:7], s[6:7]
; %bb.330:
	v_lshl_add_u64 v[58:59], v[4:5], 0, v[56:57]
; %bb.331:
	s_or_b64 exec, exec, s[6:7]
	v_lshl_add_u64 v[56:57], v[58:59], 1, s[2:3]
	s_waitcnt lgkmcnt(14)
	global_store_short v[56:57], v92, off
	s_or_b64 exec, exec, s[4:5]
	v_cmp_gt_u32_e32 vcc, s33, v54
	s_and_saveexec_b64 s[4:5], vcc
	s_cbranch_execnz .LBB1157_247
.LBB1157_332:
	s_or_b64 exec, exec, s[4:5]
	v_cmp_gt_u32_e32 vcc, s33, v52
	s_and_saveexec_b64 s[4:5], vcc
	s_cbranch_execz .LBB1157_252
.LBB1157_333:
	v_cmp_ge_u32_e32 vcc, v52, v2
                                        ; implicit-def: $vgpr54_vgpr55
	s_and_saveexec_b64 s[6:7], vcc
	s_xor_b64 s[6:7], exec, s[6:7]
; %bb.334:
	v_xor_b32_e32 v52, 0xfffff1ff, v0
	v_ashrrev_i32_e32 v53, 31, v52
	v_lshl_add_u64 v[54:55], v[8:9], 0, v[52:53]
                                        ; implicit-def: $vgpr52_vgpr53
; %bb.335:
	s_andn2_saveexec_b64 s[6:7], s[6:7]
; %bb.336:
	v_lshl_add_u64 v[54:55], v[4:5], 0, v[52:53]
; %bb.337:
	s_or_b64 exec, exec, s[6:7]
	v_lshl_add_u64 v[52:53], v[54:55], 1, s[2:3]
	s_waitcnt lgkmcnt(14)
	global_store_short v[52:53], v90, off
	s_or_b64 exec, exec, s[4:5]
	v_cmp_gt_u32_e32 vcc, s33, v50
	s_and_saveexec_b64 s[4:5], vcc
	s_cbranch_execnz .LBB1157_253
.LBB1157_338:
	s_or_b64 exec, exec, s[4:5]
	v_cmp_gt_u32_e32 vcc, s33, v48
	s_and_saveexec_b64 s[4:5], vcc
	s_cbranch_execz .LBB1157_258
.LBB1157_339:
	v_cmp_ge_u32_e32 vcc, v48, v2
                                        ; implicit-def: $vgpr50_vgpr51
	s_and_saveexec_b64 s[6:7], vcc
	s_xor_b64 s[6:7], exec, s[6:7]
; %bb.340:
	v_xor_b32_e32 v48, 0xffffedff, v0
	v_ashrrev_i32_e32 v49, 31, v48
	v_lshl_add_u64 v[50:51], v[8:9], 0, v[48:49]
                                        ; implicit-def: $vgpr48_vgpr49
; %bb.341:
	s_andn2_saveexec_b64 s[6:7], s[6:7]
; %bb.342:
	v_lshl_add_u64 v[50:51], v[4:5], 0, v[48:49]
; %bb.343:
	s_or_b64 exec, exec, s[6:7]
	v_lshl_add_u64 v[48:49], v[50:51], 1, s[2:3]
	s_waitcnt lgkmcnt(14)
	global_store_short v[48:49], v88, off
	s_or_b64 exec, exec, s[4:5]
	v_cmp_gt_u32_e32 vcc, s33, v46
	s_and_saveexec_b64 s[4:5], vcc
	s_cbranch_execnz .LBB1157_259
.LBB1157_344:
	s_or_b64 exec, exec, s[4:5]
	v_cmp_gt_u32_e32 vcc, s33, v44
	s_and_saveexec_b64 s[4:5], vcc
	s_cbranch_execz .LBB1157_264
.LBB1157_345:
	v_cmp_ge_u32_e32 vcc, v44, v2
                                        ; implicit-def: $vgpr46_vgpr47
	s_and_saveexec_b64 s[6:7], vcc
	s_xor_b64 s[6:7], exec, s[6:7]
; %bb.346:
	v_xor_b32_e32 v44, 0xffffe9ff, v0
	v_ashrrev_i32_e32 v45, 31, v44
	v_lshl_add_u64 v[46:47], v[8:9], 0, v[44:45]
                                        ; implicit-def: $vgpr44_vgpr45
; %bb.347:
	s_andn2_saveexec_b64 s[6:7], s[6:7]
; %bb.348:
	v_lshl_add_u64 v[46:47], v[4:5], 0, v[44:45]
; %bb.349:
	s_or_b64 exec, exec, s[6:7]
	v_lshl_add_u64 v[44:45], v[46:47], 1, s[2:3]
	s_waitcnt lgkmcnt(14)
	global_store_short v[44:45], v86, off
	s_or_b64 exec, exec, s[4:5]
	v_cmp_gt_u32_e32 vcc, s33, v42
	s_and_saveexec_b64 s[4:5], vcc
	s_cbranch_execnz .LBB1157_265
.LBB1157_350:
	s_or_b64 exec, exec, s[4:5]
	v_cmp_gt_u32_e32 vcc, s33, v40
	s_and_saveexec_b64 s[4:5], vcc
	s_cbranch_execz .LBB1157_270
.LBB1157_351:
	v_cmp_ge_u32_e32 vcc, v40, v2
                                        ; implicit-def: $vgpr42_vgpr43
	s_and_saveexec_b64 s[6:7], vcc
	s_xor_b64 s[6:7], exec, s[6:7]
; %bb.352:
	v_xor_b32_e32 v40, 0xffffe5ff, v0
	v_ashrrev_i32_e32 v41, 31, v40
	v_lshl_add_u64 v[42:43], v[8:9], 0, v[40:41]
                                        ; implicit-def: $vgpr40_vgpr41
; %bb.353:
	s_andn2_saveexec_b64 s[6:7], s[6:7]
; %bb.354:
	v_lshl_add_u64 v[42:43], v[4:5], 0, v[40:41]
; %bb.355:
	s_or_b64 exec, exec, s[6:7]
	v_lshl_add_u64 v[40:41], v[42:43], 1, s[2:3]
	s_waitcnt lgkmcnt(14)
	global_store_short v[40:41], v84, off
	s_or_b64 exec, exec, s[4:5]
	v_cmp_gt_u32_e32 vcc, s33, v38
	s_and_saveexec_b64 s[4:5], vcc
	s_cbranch_execnz .LBB1157_271
.LBB1157_356:
	s_or_b64 exec, exec, s[4:5]
	v_cmp_gt_u32_e32 vcc, s33, v36
	s_and_saveexec_b64 s[4:5], vcc
	s_cbranch_execz .LBB1157_276
.LBB1157_357:
	v_cmp_ge_u32_e32 vcc, v36, v2
                                        ; implicit-def: $vgpr38_vgpr39
	s_and_saveexec_b64 s[6:7], vcc
	s_xor_b64 s[6:7], exec, s[6:7]
; %bb.358:
	v_xor_b32_e32 v36, 0xffffe1ff, v0
	v_ashrrev_i32_e32 v37, 31, v36
	v_lshl_add_u64 v[38:39], v[8:9], 0, v[36:37]
                                        ; implicit-def: $vgpr36_vgpr37
; %bb.359:
	s_andn2_saveexec_b64 s[6:7], s[6:7]
; %bb.360:
	v_lshl_add_u64 v[38:39], v[4:5], 0, v[36:37]
; %bb.361:
	s_or_b64 exec, exec, s[6:7]
	v_lshl_add_u64 v[36:37], v[38:39], 1, s[2:3]
	s_waitcnt lgkmcnt(14)
	global_store_short v[36:37], v82, off
	s_or_b64 exec, exec, s[4:5]
	v_cmp_gt_u32_e32 vcc, s33, v34
	s_and_saveexec_b64 s[4:5], vcc
	s_cbranch_execnz .LBB1157_277
.LBB1157_362:
	s_or_b64 exec, exec, s[4:5]
	v_cmp_gt_u32_e32 vcc, s33, v32
	s_and_saveexec_b64 s[4:5], vcc
	s_cbranch_execz .LBB1157_282
.LBB1157_363:
	v_cmp_ge_u32_e32 vcc, v32, v2
                                        ; implicit-def: $vgpr34_vgpr35
	s_and_saveexec_b64 s[6:7], vcc
	s_xor_b64 s[6:7], exec, s[6:7]
; %bb.364:
	v_xor_b32_e32 v32, 0xffffddff, v0
	v_ashrrev_i32_e32 v33, 31, v32
	v_lshl_add_u64 v[34:35], v[8:9], 0, v[32:33]
                                        ; implicit-def: $vgpr32_vgpr33
; %bb.365:
	s_andn2_saveexec_b64 s[6:7], s[6:7]
; %bb.366:
	v_lshl_add_u64 v[34:35], v[4:5], 0, v[32:33]
; %bb.367:
	s_or_b64 exec, exec, s[6:7]
	v_lshl_add_u64 v[32:33], v[34:35], 1, s[2:3]
	s_waitcnt lgkmcnt(12)
	global_store_short v[32:33], v80, off
	s_or_b64 exec, exec, s[4:5]
	v_cmp_gt_u32_e32 vcc, s33, v30
	s_and_saveexec_b64 s[4:5], vcc
	s_cbranch_execnz .LBB1157_283
.LBB1157_368:
	s_or_b64 exec, exec, s[4:5]
	v_cmp_gt_u32_e32 vcc, s33, v28
	s_and_saveexec_b64 s[4:5], vcc
	s_cbranch_execz .LBB1157_288
.LBB1157_369:
	v_cmp_ge_u32_e32 vcc, v28, v2
                                        ; implicit-def: $vgpr30_vgpr31
	s_and_saveexec_b64 s[6:7], vcc
	s_xor_b64 s[6:7], exec, s[6:7]
; %bb.370:
	v_xor_b32_e32 v28, 0xffffd9ff, v0
	v_ashrrev_i32_e32 v29, 31, v28
	v_lshl_add_u64 v[30:31], v[8:9], 0, v[28:29]
                                        ; implicit-def: $vgpr28_vgpr29
; %bb.371:
	s_andn2_saveexec_b64 s[6:7], s[6:7]
; %bb.372:
	v_lshl_add_u64 v[30:31], v[4:5], 0, v[28:29]
; %bb.373:
	s_or_b64 exec, exec, s[6:7]
	v_lshl_add_u64 v[28:29], v[30:31], 1, s[2:3]
	s_waitcnt lgkmcnt(10)
	global_store_short v[28:29], v78, off
	s_or_b64 exec, exec, s[4:5]
	v_cmp_gt_u32_e32 vcc, s33, v26
	s_and_saveexec_b64 s[4:5], vcc
	s_cbranch_execnz .LBB1157_289
.LBB1157_374:
	s_or_b64 exec, exec, s[4:5]
	v_cmp_gt_u32_e32 vcc, s33, v24
	s_and_saveexec_b64 s[4:5], vcc
	s_cbranch_execz .LBB1157_294
.LBB1157_375:
	v_cmp_ge_u32_e32 vcc, v24, v2
                                        ; implicit-def: $vgpr26_vgpr27
	s_and_saveexec_b64 s[6:7], vcc
	s_xor_b64 s[6:7], exec, s[6:7]
; %bb.376:
	v_xor_b32_e32 v24, 0xffffd5ff, v0
	v_ashrrev_i32_e32 v25, 31, v24
	v_lshl_add_u64 v[26:27], v[8:9], 0, v[24:25]
                                        ; implicit-def: $vgpr24_vgpr25
; %bb.377:
	s_andn2_saveexec_b64 s[6:7], s[6:7]
; %bb.378:
	v_lshl_add_u64 v[26:27], v[4:5], 0, v[24:25]
; %bb.379:
	s_or_b64 exec, exec, s[6:7]
	v_lshl_add_u64 v[24:25], v[26:27], 1, s[2:3]
	s_waitcnt lgkmcnt(8)
	global_store_short v[24:25], v76, off
	s_or_b64 exec, exec, s[4:5]
	v_cmp_gt_u32_e32 vcc, s33, v22
	s_and_saveexec_b64 s[4:5], vcc
	s_cbranch_execnz .LBB1157_295
.LBB1157_380:
	s_or_b64 exec, exec, s[4:5]
	v_cmp_gt_u32_e32 vcc, s33, v20
	s_and_saveexec_b64 s[4:5], vcc
	s_cbranch_execz .LBB1157_300
.LBB1157_381:
	v_cmp_ge_u32_e32 vcc, v20, v2
                                        ; implicit-def: $vgpr22_vgpr23
	s_and_saveexec_b64 s[6:7], vcc
	s_xor_b64 s[6:7], exec, s[6:7]
; %bb.382:
	v_xor_b32_e32 v20, 0xffffd1ff, v0
	v_ashrrev_i32_e32 v21, 31, v20
	v_lshl_add_u64 v[22:23], v[8:9], 0, v[20:21]
                                        ; implicit-def: $vgpr20_vgpr21
; %bb.383:
	s_andn2_saveexec_b64 s[6:7], s[6:7]
; %bb.384:
	v_lshl_add_u64 v[22:23], v[4:5], 0, v[20:21]
; %bb.385:
	s_or_b64 exec, exec, s[6:7]
	v_lshl_add_u64 v[20:21], v[22:23], 1, s[2:3]
	s_waitcnt lgkmcnt(6)
	global_store_short v[20:21], v74, off
	s_or_b64 exec, exec, s[4:5]
	v_cmp_gt_u32_e32 vcc, s33, v18
	s_and_saveexec_b64 s[4:5], vcc
	s_cbranch_execnz .LBB1157_301
.LBB1157_386:
	s_or_b64 exec, exec, s[4:5]
	v_cmp_gt_u32_e32 vcc, s33, v16
	s_and_saveexec_b64 s[4:5], vcc
	s_cbranch_execz .LBB1157_306
.LBB1157_387:
	v_cmp_ge_u32_e32 vcc, v16, v2
                                        ; implicit-def: $vgpr18_vgpr19
	s_and_saveexec_b64 s[6:7], vcc
	s_xor_b64 s[6:7], exec, s[6:7]
; %bb.388:
	v_xor_b32_e32 v16, 0xffffcdff, v0
	v_ashrrev_i32_e32 v17, 31, v16
	v_lshl_add_u64 v[18:19], v[8:9], 0, v[16:17]
                                        ; implicit-def: $vgpr16_vgpr17
; %bb.389:
	s_andn2_saveexec_b64 s[6:7], s[6:7]
; %bb.390:
	v_lshl_add_u64 v[18:19], v[4:5], 0, v[16:17]
; %bb.391:
	s_or_b64 exec, exec, s[6:7]
	v_lshl_add_u64 v[16:17], v[18:19], 1, s[2:3]
	s_waitcnt lgkmcnt(4)
	global_store_short v[16:17], v72, off
	s_or_b64 exec, exec, s[4:5]
	v_cmp_gt_u32_e32 vcc, s33, v14
	s_and_saveexec_b64 s[4:5], vcc
	s_cbranch_execnz .LBB1157_307
.LBB1157_392:
	s_or_b64 exec, exec, s[4:5]
	v_cmp_gt_u32_e32 vcc, s33, v12
	s_and_saveexec_b64 s[4:5], vcc
	s_cbranch_execz .LBB1157_312
.LBB1157_393:
	v_cmp_ge_u32_e32 vcc, v12, v2
                                        ; implicit-def: $vgpr14_vgpr15
	s_and_saveexec_b64 s[6:7], vcc
	s_xor_b64 s[6:7], exec, s[6:7]
; %bb.394:
	v_xor_b32_e32 v12, 0xffffc9ff, v0
	v_ashrrev_i32_e32 v13, 31, v12
	v_lshl_add_u64 v[14:15], v[8:9], 0, v[12:13]
                                        ; implicit-def: $vgpr12_vgpr13
; %bb.395:
	s_andn2_saveexec_b64 s[6:7], s[6:7]
; %bb.396:
	v_lshl_add_u64 v[14:15], v[4:5], 0, v[12:13]
; %bb.397:
	s_or_b64 exec, exec, s[6:7]
	v_lshl_add_u64 v[12:13], v[14:15], 1, s[2:3]
	s_waitcnt lgkmcnt(2)
	global_store_short v[12:13], v70, off
	s_or_b64 exec, exec, s[4:5]
	v_cmp_gt_u32_e32 vcc, s33, v10
	s_and_saveexec_b64 s[4:5], vcc
	s_cbranch_execz .LBB1157_313
.LBB1157_398:
	v_cmp_ge_u32_e32 vcc, v10, v2
                                        ; implicit-def: $vgpr12_vgpr13
	s_and_saveexec_b64 s[6:7], vcc
	s_xor_b64 s[6:7], exec, s[6:7]
; %bb.399:
	v_xor_b32_e32 v10, 0xffffc7ff, v0
	v_ashrrev_i32_e32 v11, 31, v10
	v_lshl_add_u64 v[12:13], v[8:9], 0, v[10:11]
                                        ; implicit-def: $vgpr10_vgpr11
; %bb.400:
	s_andn2_saveexec_b64 s[6:7], s[6:7]
; %bb.401:
	v_lshl_add_u64 v[12:13], v[4:5], 0, v[10:11]
; %bb.402:
	s_or_b64 exec, exec, s[6:7]
	v_lshl_add_u64 v[10:11], v[12:13], 1, s[2:3]
	s_waitcnt lgkmcnt(1)
	global_store_short v[10:11], v69, off
	s_or_b64 exec, exec, s[4:5]
	v_cmp_gt_u32_e32 vcc, s33, v6
                                        ; implicit-def: $vgpr66_vgpr67
	s_and_saveexec_b64 s[4:5], vcc
	s_cbranch_execz .LBB1157_408
.LBB1157_403:
	v_cmp_ge_u32_e32 vcc, v6, v2
                                        ; implicit-def: $vgpr66_vgpr67
	s_and_saveexec_b64 s[6:7], vcc
	s_xor_b64 s[6:7], exec, s[6:7]
; %bb.404:
	v_xor_b32_e32 v6, 0xffffc5ff, v0
	v_ashrrev_i32_e32 v7, 31, v6
	v_lshl_add_u64 v[66:67], v[8:9], 0, v[6:7]
                                        ; implicit-def: $vgpr6_vgpr7
; %bb.405:
	s_andn2_saveexec_b64 s[6:7], s[6:7]
; %bb.406:
	v_lshl_add_u64 v[66:67], v[4:5], 0, v[6:7]
; %bb.407:
	s_or_b64 exec, exec, s[6:7]
	s_or_b64 s[0:1], s[0:1], exec
.LBB1157_408:
	s_or_b64 exec, exec, s[4:5]
.LBB1157_409:
	s_and_saveexec_b64 s[4:5], s[0:1]
	s_cbranch_execz .LBB1157_411
; %bb.410:
	v_lshl_add_u64 v[6:7], v[66:67], 1, s[2:3]
	s_waitcnt lgkmcnt(0)
	global_store_short v[6:7], v68, off
.LBB1157_411:
	s_or_b64 exec, exec, s[4:5]
	v_cmp_eq_u32_e32 vcc, 0, v0
	s_and_b64 s[0:1], vcc, s[26:27]
	s_and_saveexec_b64 s[2:3], s[0:1]
	s_cbranch_execz .LBB1157_413
; %bb.412:
	v_mov_b32_e32 v6, 0
	v_lshl_add_u64 v[0:1], v[4:5], 0, v[2:3]
	global_store_dwordx2 v6, v[0:1], s[24:25]
.LBB1157_413:
	s_endpgm
	.section	.rodata,"a",@progbits
	.p2align	6, 0x0
	.amdhsa_kernel _ZN7rocprim17ROCPRIM_400000_NS6detail17trampoline_kernelINS0_14default_configENS1_25partition_config_selectorILNS1_17partition_subalgoE3EtNS0_10empty_typeEbEEZZNS1_14partition_implILS5_3ELb0ES3_jN6thrust23THRUST_200600_302600_NS6detail15normal_iteratorINSA_7pointerItNSA_11hip_rocprim3tagENSA_11use_defaultESG_EEEEPS6_SJ_NS0_5tupleIJPtSJ_EEENSK_IJSJ_SJ_EEES6_PlJ7is_evenItEEEE10hipError_tPvRmT3_T4_T5_T6_T7_T9_mT8_P12ihipStream_tbDpT10_ENKUlT_T0_E_clISt17integral_constantIbLb0EES1A_EEDaS15_S16_EUlS15_E_NS1_11comp_targetILNS1_3genE5ELNS1_11target_archE942ELNS1_3gpuE9ELNS1_3repE0EEENS1_30default_config_static_selectorELNS0_4arch9wavefront6targetE1EEEvT1_
		.amdhsa_group_segment_fixed_size 30728
		.amdhsa_private_segment_fixed_size 0
		.amdhsa_kernarg_size 120
		.amdhsa_user_sgpr_count 2
		.amdhsa_user_sgpr_dispatch_ptr 0
		.amdhsa_user_sgpr_queue_ptr 0
		.amdhsa_user_sgpr_kernarg_segment_ptr 1
		.amdhsa_user_sgpr_dispatch_id 0
		.amdhsa_user_sgpr_kernarg_preload_length 0
		.amdhsa_user_sgpr_kernarg_preload_offset 0
		.amdhsa_user_sgpr_private_segment_size 0
		.amdhsa_uses_dynamic_stack 0
		.amdhsa_enable_private_segment 0
		.amdhsa_system_sgpr_workgroup_id_x 1
		.amdhsa_system_sgpr_workgroup_id_y 0
		.amdhsa_system_sgpr_workgroup_id_z 0
		.amdhsa_system_sgpr_workgroup_info 0
		.amdhsa_system_vgpr_workitem_id 0
		.amdhsa_next_free_vgpr 120
		.amdhsa_next_free_sgpr 46
		.amdhsa_accum_offset 120
		.amdhsa_reserve_vcc 1
		.amdhsa_float_round_mode_32 0
		.amdhsa_float_round_mode_16_64 0
		.amdhsa_float_denorm_mode_32 3
		.amdhsa_float_denorm_mode_16_64 3
		.amdhsa_dx10_clamp 1
		.amdhsa_ieee_mode 1
		.amdhsa_fp16_overflow 0
		.amdhsa_tg_split 0
		.amdhsa_exception_fp_ieee_invalid_op 0
		.amdhsa_exception_fp_denorm_src 0
		.amdhsa_exception_fp_ieee_div_zero 0
		.amdhsa_exception_fp_ieee_overflow 0
		.amdhsa_exception_fp_ieee_underflow 0
		.amdhsa_exception_fp_ieee_inexact 0
		.amdhsa_exception_int_div_zero 0
	.end_amdhsa_kernel
	.section	.text._ZN7rocprim17ROCPRIM_400000_NS6detail17trampoline_kernelINS0_14default_configENS1_25partition_config_selectorILNS1_17partition_subalgoE3EtNS0_10empty_typeEbEEZZNS1_14partition_implILS5_3ELb0ES3_jN6thrust23THRUST_200600_302600_NS6detail15normal_iteratorINSA_7pointerItNSA_11hip_rocprim3tagENSA_11use_defaultESG_EEEEPS6_SJ_NS0_5tupleIJPtSJ_EEENSK_IJSJ_SJ_EEES6_PlJ7is_evenItEEEE10hipError_tPvRmT3_T4_T5_T6_T7_T9_mT8_P12ihipStream_tbDpT10_ENKUlT_T0_E_clISt17integral_constantIbLb0EES1A_EEDaS15_S16_EUlS15_E_NS1_11comp_targetILNS1_3genE5ELNS1_11target_archE942ELNS1_3gpuE9ELNS1_3repE0EEENS1_30default_config_static_selectorELNS0_4arch9wavefront6targetE1EEEvT1_,"axG",@progbits,_ZN7rocprim17ROCPRIM_400000_NS6detail17trampoline_kernelINS0_14default_configENS1_25partition_config_selectorILNS1_17partition_subalgoE3EtNS0_10empty_typeEbEEZZNS1_14partition_implILS5_3ELb0ES3_jN6thrust23THRUST_200600_302600_NS6detail15normal_iteratorINSA_7pointerItNSA_11hip_rocprim3tagENSA_11use_defaultESG_EEEEPS6_SJ_NS0_5tupleIJPtSJ_EEENSK_IJSJ_SJ_EEES6_PlJ7is_evenItEEEE10hipError_tPvRmT3_T4_T5_T6_T7_T9_mT8_P12ihipStream_tbDpT10_ENKUlT_T0_E_clISt17integral_constantIbLb0EES1A_EEDaS15_S16_EUlS15_E_NS1_11comp_targetILNS1_3genE5ELNS1_11target_archE942ELNS1_3gpuE9ELNS1_3repE0EEENS1_30default_config_static_selectorELNS0_4arch9wavefront6targetE1EEEvT1_,comdat
.Lfunc_end1157:
	.size	_ZN7rocprim17ROCPRIM_400000_NS6detail17trampoline_kernelINS0_14default_configENS1_25partition_config_selectorILNS1_17partition_subalgoE3EtNS0_10empty_typeEbEEZZNS1_14partition_implILS5_3ELb0ES3_jN6thrust23THRUST_200600_302600_NS6detail15normal_iteratorINSA_7pointerItNSA_11hip_rocprim3tagENSA_11use_defaultESG_EEEEPS6_SJ_NS0_5tupleIJPtSJ_EEENSK_IJSJ_SJ_EEES6_PlJ7is_evenItEEEE10hipError_tPvRmT3_T4_T5_T6_T7_T9_mT8_P12ihipStream_tbDpT10_ENKUlT_T0_E_clISt17integral_constantIbLb0EES1A_EEDaS15_S16_EUlS15_E_NS1_11comp_targetILNS1_3genE5ELNS1_11target_archE942ELNS1_3gpuE9ELNS1_3repE0EEENS1_30default_config_static_selectorELNS0_4arch9wavefront6targetE1EEEvT1_, .Lfunc_end1157-_ZN7rocprim17ROCPRIM_400000_NS6detail17trampoline_kernelINS0_14default_configENS1_25partition_config_selectorILNS1_17partition_subalgoE3EtNS0_10empty_typeEbEEZZNS1_14partition_implILS5_3ELb0ES3_jN6thrust23THRUST_200600_302600_NS6detail15normal_iteratorINSA_7pointerItNSA_11hip_rocprim3tagENSA_11use_defaultESG_EEEEPS6_SJ_NS0_5tupleIJPtSJ_EEENSK_IJSJ_SJ_EEES6_PlJ7is_evenItEEEE10hipError_tPvRmT3_T4_T5_T6_T7_T9_mT8_P12ihipStream_tbDpT10_ENKUlT_T0_E_clISt17integral_constantIbLb0EES1A_EEDaS15_S16_EUlS15_E_NS1_11comp_targetILNS1_3genE5ELNS1_11target_archE942ELNS1_3gpuE9ELNS1_3repE0EEENS1_30default_config_static_selectorELNS0_4arch9wavefront6targetE1EEEvT1_
                                        ; -- End function
	.section	.AMDGPU.csdata,"",@progbits
; Kernel info:
; codeLenInByte = 12760
; NumSgprs: 52
; NumVgprs: 120
; NumAgprs: 0
; TotalNumVgprs: 120
; ScratchSize: 0
; MemoryBound: 0
; FloatMode: 240
; IeeeMode: 1
; LDSByteSize: 30728 bytes/workgroup (compile time only)
; SGPRBlocks: 6
; VGPRBlocks: 14
; NumSGPRsForWavesPerEU: 52
; NumVGPRsForWavesPerEU: 120
; AccumOffset: 120
; Occupancy: 4
; WaveLimiterHint : 1
; COMPUTE_PGM_RSRC2:SCRATCH_EN: 0
; COMPUTE_PGM_RSRC2:USER_SGPR: 2
; COMPUTE_PGM_RSRC2:TRAP_HANDLER: 0
; COMPUTE_PGM_RSRC2:TGID_X_EN: 1
; COMPUTE_PGM_RSRC2:TGID_Y_EN: 0
; COMPUTE_PGM_RSRC2:TGID_Z_EN: 0
; COMPUTE_PGM_RSRC2:TIDIG_COMP_CNT: 0
; COMPUTE_PGM_RSRC3_GFX90A:ACCUM_OFFSET: 29
; COMPUTE_PGM_RSRC3_GFX90A:TG_SPLIT: 0
	.section	.text._ZN7rocprim17ROCPRIM_400000_NS6detail17trampoline_kernelINS0_14default_configENS1_25partition_config_selectorILNS1_17partition_subalgoE3EtNS0_10empty_typeEbEEZZNS1_14partition_implILS5_3ELb0ES3_jN6thrust23THRUST_200600_302600_NS6detail15normal_iteratorINSA_7pointerItNSA_11hip_rocprim3tagENSA_11use_defaultESG_EEEEPS6_SJ_NS0_5tupleIJPtSJ_EEENSK_IJSJ_SJ_EEES6_PlJ7is_evenItEEEE10hipError_tPvRmT3_T4_T5_T6_T7_T9_mT8_P12ihipStream_tbDpT10_ENKUlT_T0_E_clISt17integral_constantIbLb0EES1A_EEDaS15_S16_EUlS15_E_NS1_11comp_targetILNS1_3genE4ELNS1_11target_archE910ELNS1_3gpuE8ELNS1_3repE0EEENS1_30default_config_static_selectorELNS0_4arch9wavefront6targetE1EEEvT1_,"axG",@progbits,_ZN7rocprim17ROCPRIM_400000_NS6detail17trampoline_kernelINS0_14default_configENS1_25partition_config_selectorILNS1_17partition_subalgoE3EtNS0_10empty_typeEbEEZZNS1_14partition_implILS5_3ELb0ES3_jN6thrust23THRUST_200600_302600_NS6detail15normal_iteratorINSA_7pointerItNSA_11hip_rocprim3tagENSA_11use_defaultESG_EEEEPS6_SJ_NS0_5tupleIJPtSJ_EEENSK_IJSJ_SJ_EEES6_PlJ7is_evenItEEEE10hipError_tPvRmT3_T4_T5_T6_T7_T9_mT8_P12ihipStream_tbDpT10_ENKUlT_T0_E_clISt17integral_constantIbLb0EES1A_EEDaS15_S16_EUlS15_E_NS1_11comp_targetILNS1_3genE4ELNS1_11target_archE910ELNS1_3gpuE8ELNS1_3repE0EEENS1_30default_config_static_selectorELNS0_4arch9wavefront6targetE1EEEvT1_,comdat
	.protected	_ZN7rocprim17ROCPRIM_400000_NS6detail17trampoline_kernelINS0_14default_configENS1_25partition_config_selectorILNS1_17partition_subalgoE3EtNS0_10empty_typeEbEEZZNS1_14partition_implILS5_3ELb0ES3_jN6thrust23THRUST_200600_302600_NS6detail15normal_iteratorINSA_7pointerItNSA_11hip_rocprim3tagENSA_11use_defaultESG_EEEEPS6_SJ_NS0_5tupleIJPtSJ_EEENSK_IJSJ_SJ_EEES6_PlJ7is_evenItEEEE10hipError_tPvRmT3_T4_T5_T6_T7_T9_mT8_P12ihipStream_tbDpT10_ENKUlT_T0_E_clISt17integral_constantIbLb0EES1A_EEDaS15_S16_EUlS15_E_NS1_11comp_targetILNS1_3genE4ELNS1_11target_archE910ELNS1_3gpuE8ELNS1_3repE0EEENS1_30default_config_static_selectorELNS0_4arch9wavefront6targetE1EEEvT1_ ; -- Begin function _ZN7rocprim17ROCPRIM_400000_NS6detail17trampoline_kernelINS0_14default_configENS1_25partition_config_selectorILNS1_17partition_subalgoE3EtNS0_10empty_typeEbEEZZNS1_14partition_implILS5_3ELb0ES3_jN6thrust23THRUST_200600_302600_NS6detail15normal_iteratorINSA_7pointerItNSA_11hip_rocprim3tagENSA_11use_defaultESG_EEEEPS6_SJ_NS0_5tupleIJPtSJ_EEENSK_IJSJ_SJ_EEES6_PlJ7is_evenItEEEE10hipError_tPvRmT3_T4_T5_T6_T7_T9_mT8_P12ihipStream_tbDpT10_ENKUlT_T0_E_clISt17integral_constantIbLb0EES1A_EEDaS15_S16_EUlS15_E_NS1_11comp_targetILNS1_3genE4ELNS1_11target_archE910ELNS1_3gpuE8ELNS1_3repE0EEENS1_30default_config_static_selectorELNS0_4arch9wavefront6targetE1EEEvT1_
	.globl	_ZN7rocprim17ROCPRIM_400000_NS6detail17trampoline_kernelINS0_14default_configENS1_25partition_config_selectorILNS1_17partition_subalgoE3EtNS0_10empty_typeEbEEZZNS1_14partition_implILS5_3ELb0ES3_jN6thrust23THRUST_200600_302600_NS6detail15normal_iteratorINSA_7pointerItNSA_11hip_rocprim3tagENSA_11use_defaultESG_EEEEPS6_SJ_NS0_5tupleIJPtSJ_EEENSK_IJSJ_SJ_EEES6_PlJ7is_evenItEEEE10hipError_tPvRmT3_T4_T5_T6_T7_T9_mT8_P12ihipStream_tbDpT10_ENKUlT_T0_E_clISt17integral_constantIbLb0EES1A_EEDaS15_S16_EUlS15_E_NS1_11comp_targetILNS1_3genE4ELNS1_11target_archE910ELNS1_3gpuE8ELNS1_3repE0EEENS1_30default_config_static_selectorELNS0_4arch9wavefront6targetE1EEEvT1_
	.p2align	8
	.type	_ZN7rocprim17ROCPRIM_400000_NS6detail17trampoline_kernelINS0_14default_configENS1_25partition_config_selectorILNS1_17partition_subalgoE3EtNS0_10empty_typeEbEEZZNS1_14partition_implILS5_3ELb0ES3_jN6thrust23THRUST_200600_302600_NS6detail15normal_iteratorINSA_7pointerItNSA_11hip_rocprim3tagENSA_11use_defaultESG_EEEEPS6_SJ_NS0_5tupleIJPtSJ_EEENSK_IJSJ_SJ_EEES6_PlJ7is_evenItEEEE10hipError_tPvRmT3_T4_T5_T6_T7_T9_mT8_P12ihipStream_tbDpT10_ENKUlT_T0_E_clISt17integral_constantIbLb0EES1A_EEDaS15_S16_EUlS15_E_NS1_11comp_targetILNS1_3genE4ELNS1_11target_archE910ELNS1_3gpuE8ELNS1_3repE0EEENS1_30default_config_static_selectorELNS0_4arch9wavefront6targetE1EEEvT1_,@function
_ZN7rocprim17ROCPRIM_400000_NS6detail17trampoline_kernelINS0_14default_configENS1_25partition_config_selectorILNS1_17partition_subalgoE3EtNS0_10empty_typeEbEEZZNS1_14partition_implILS5_3ELb0ES3_jN6thrust23THRUST_200600_302600_NS6detail15normal_iteratorINSA_7pointerItNSA_11hip_rocprim3tagENSA_11use_defaultESG_EEEEPS6_SJ_NS0_5tupleIJPtSJ_EEENSK_IJSJ_SJ_EEES6_PlJ7is_evenItEEEE10hipError_tPvRmT3_T4_T5_T6_T7_T9_mT8_P12ihipStream_tbDpT10_ENKUlT_T0_E_clISt17integral_constantIbLb0EES1A_EEDaS15_S16_EUlS15_E_NS1_11comp_targetILNS1_3genE4ELNS1_11target_archE910ELNS1_3gpuE8ELNS1_3repE0EEENS1_30default_config_static_selectorELNS0_4arch9wavefront6targetE1EEEvT1_: ; @_ZN7rocprim17ROCPRIM_400000_NS6detail17trampoline_kernelINS0_14default_configENS1_25partition_config_selectorILNS1_17partition_subalgoE3EtNS0_10empty_typeEbEEZZNS1_14partition_implILS5_3ELb0ES3_jN6thrust23THRUST_200600_302600_NS6detail15normal_iteratorINSA_7pointerItNSA_11hip_rocprim3tagENSA_11use_defaultESG_EEEEPS6_SJ_NS0_5tupleIJPtSJ_EEENSK_IJSJ_SJ_EEES6_PlJ7is_evenItEEEE10hipError_tPvRmT3_T4_T5_T6_T7_T9_mT8_P12ihipStream_tbDpT10_ENKUlT_T0_E_clISt17integral_constantIbLb0EES1A_EEDaS15_S16_EUlS15_E_NS1_11comp_targetILNS1_3genE4ELNS1_11target_archE910ELNS1_3gpuE8ELNS1_3repE0EEENS1_30default_config_static_selectorELNS0_4arch9wavefront6targetE1EEEvT1_
; %bb.0:
	.section	.rodata,"a",@progbits
	.p2align	6, 0x0
	.amdhsa_kernel _ZN7rocprim17ROCPRIM_400000_NS6detail17trampoline_kernelINS0_14default_configENS1_25partition_config_selectorILNS1_17partition_subalgoE3EtNS0_10empty_typeEbEEZZNS1_14partition_implILS5_3ELb0ES3_jN6thrust23THRUST_200600_302600_NS6detail15normal_iteratorINSA_7pointerItNSA_11hip_rocprim3tagENSA_11use_defaultESG_EEEEPS6_SJ_NS0_5tupleIJPtSJ_EEENSK_IJSJ_SJ_EEES6_PlJ7is_evenItEEEE10hipError_tPvRmT3_T4_T5_T6_T7_T9_mT8_P12ihipStream_tbDpT10_ENKUlT_T0_E_clISt17integral_constantIbLb0EES1A_EEDaS15_S16_EUlS15_E_NS1_11comp_targetILNS1_3genE4ELNS1_11target_archE910ELNS1_3gpuE8ELNS1_3repE0EEENS1_30default_config_static_selectorELNS0_4arch9wavefront6targetE1EEEvT1_
		.amdhsa_group_segment_fixed_size 0
		.amdhsa_private_segment_fixed_size 0
		.amdhsa_kernarg_size 120
		.amdhsa_user_sgpr_count 2
		.amdhsa_user_sgpr_dispatch_ptr 0
		.amdhsa_user_sgpr_queue_ptr 0
		.amdhsa_user_sgpr_kernarg_segment_ptr 1
		.amdhsa_user_sgpr_dispatch_id 0
		.amdhsa_user_sgpr_kernarg_preload_length 0
		.amdhsa_user_sgpr_kernarg_preload_offset 0
		.amdhsa_user_sgpr_private_segment_size 0
		.amdhsa_uses_dynamic_stack 0
		.amdhsa_enable_private_segment 0
		.amdhsa_system_sgpr_workgroup_id_x 1
		.amdhsa_system_sgpr_workgroup_id_y 0
		.amdhsa_system_sgpr_workgroup_id_z 0
		.amdhsa_system_sgpr_workgroup_info 0
		.amdhsa_system_vgpr_workitem_id 0
		.amdhsa_next_free_vgpr 1
		.amdhsa_next_free_sgpr 0
		.amdhsa_accum_offset 4
		.amdhsa_reserve_vcc 0
		.amdhsa_float_round_mode_32 0
		.amdhsa_float_round_mode_16_64 0
		.amdhsa_float_denorm_mode_32 3
		.amdhsa_float_denorm_mode_16_64 3
		.amdhsa_dx10_clamp 1
		.amdhsa_ieee_mode 1
		.amdhsa_fp16_overflow 0
		.amdhsa_tg_split 0
		.amdhsa_exception_fp_ieee_invalid_op 0
		.amdhsa_exception_fp_denorm_src 0
		.amdhsa_exception_fp_ieee_div_zero 0
		.amdhsa_exception_fp_ieee_overflow 0
		.amdhsa_exception_fp_ieee_underflow 0
		.amdhsa_exception_fp_ieee_inexact 0
		.amdhsa_exception_int_div_zero 0
	.end_amdhsa_kernel
	.section	.text._ZN7rocprim17ROCPRIM_400000_NS6detail17trampoline_kernelINS0_14default_configENS1_25partition_config_selectorILNS1_17partition_subalgoE3EtNS0_10empty_typeEbEEZZNS1_14partition_implILS5_3ELb0ES3_jN6thrust23THRUST_200600_302600_NS6detail15normal_iteratorINSA_7pointerItNSA_11hip_rocprim3tagENSA_11use_defaultESG_EEEEPS6_SJ_NS0_5tupleIJPtSJ_EEENSK_IJSJ_SJ_EEES6_PlJ7is_evenItEEEE10hipError_tPvRmT3_T4_T5_T6_T7_T9_mT8_P12ihipStream_tbDpT10_ENKUlT_T0_E_clISt17integral_constantIbLb0EES1A_EEDaS15_S16_EUlS15_E_NS1_11comp_targetILNS1_3genE4ELNS1_11target_archE910ELNS1_3gpuE8ELNS1_3repE0EEENS1_30default_config_static_selectorELNS0_4arch9wavefront6targetE1EEEvT1_,"axG",@progbits,_ZN7rocprim17ROCPRIM_400000_NS6detail17trampoline_kernelINS0_14default_configENS1_25partition_config_selectorILNS1_17partition_subalgoE3EtNS0_10empty_typeEbEEZZNS1_14partition_implILS5_3ELb0ES3_jN6thrust23THRUST_200600_302600_NS6detail15normal_iteratorINSA_7pointerItNSA_11hip_rocprim3tagENSA_11use_defaultESG_EEEEPS6_SJ_NS0_5tupleIJPtSJ_EEENSK_IJSJ_SJ_EEES6_PlJ7is_evenItEEEE10hipError_tPvRmT3_T4_T5_T6_T7_T9_mT8_P12ihipStream_tbDpT10_ENKUlT_T0_E_clISt17integral_constantIbLb0EES1A_EEDaS15_S16_EUlS15_E_NS1_11comp_targetILNS1_3genE4ELNS1_11target_archE910ELNS1_3gpuE8ELNS1_3repE0EEENS1_30default_config_static_selectorELNS0_4arch9wavefront6targetE1EEEvT1_,comdat
.Lfunc_end1158:
	.size	_ZN7rocprim17ROCPRIM_400000_NS6detail17trampoline_kernelINS0_14default_configENS1_25partition_config_selectorILNS1_17partition_subalgoE3EtNS0_10empty_typeEbEEZZNS1_14partition_implILS5_3ELb0ES3_jN6thrust23THRUST_200600_302600_NS6detail15normal_iteratorINSA_7pointerItNSA_11hip_rocprim3tagENSA_11use_defaultESG_EEEEPS6_SJ_NS0_5tupleIJPtSJ_EEENSK_IJSJ_SJ_EEES6_PlJ7is_evenItEEEE10hipError_tPvRmT3_T4_T5_T6_T7_T9_mT8_P12ihipStream_tbDpT10_ENKUlT_T0_E_clISt17integral_constantIbLb0EES1A_EEDaS15_S16_EUlS15_E_NS1_11comp_targetILNS1_3genE4ELNS1_11target_archE910ELNS1_3gpuE8ELNS1_3repE0EEENS1_30default_config_static_selectorELNS0_4arch9wavefront6targetE1EEEvT1_, .Lfunc_end1158-_ZN7rocprim17ROCPRIM_400000_NS6detail17trampoline_kernelINS0_14default_configENS1_25partition_config_selectorILNS1_17partition_subalgoE3EtNS0_10empty_typeEbEEZZNS1_14partition_implILS5_3ELb0ES3_jN6thrust23THRUST_200600_302600_NS6detail15normal_iteratorINSA_7pointerItNSA_11hip_rocprim3tagENSA_11use_defaultESG_EEEEPS6_SJ_NS0_5tupleIJPtSJ_EEENSK_IJSJ_SJ_EEES6_PlJ7is_evenItEEEE10hipError_tPvRmT3_T4_T5_T6_T7_T9_mT8_P12ihipStream_tbDpT10_ENKUlT_T0_E_clISt17integral_constantIbLb0EES1A_EEDaS15_S16_EUlS15_E_NS1_11comp_targetILNS1_3genE4ELNS1_11target_archE910ELNS1_3gpuE8ELNS1_3repE0EEENS1_30default_config_static_selectorELNS0_4arch9wavefront6targetE1EEEvT1_
                                        ; -- End function
	.section	.AMDGPU.csdata,"",@progbits
; Kernel info:
; codeLenInByte = 0
; NumSgprs: 6
; NumVgprs: 0
; NumAgprs: 0
; TotalNumVgprs: 0
; ScratchSize: 0
; MemoryBound: 0
; FloatMode: 240
; IeeeMode: 1
; LDSByteSize: 0 bytes/workgroup (compile time only)
; SGPRBlocks: 0
; VGPRBlocks: 0
; NumSGPRsForWavesPerEU: 6
; NumVGPRsForWavesPerEU: 1
; AccumOffset: 4
; Occupancy: 8
; WaveLimiterHint : 0
; COMPUTE_PGM_RSRC2:SCRATCH_EN: 0
; COMPUTE_PGM_RSRC2:USER_SGPR: 2
; COMPUTE_PGM_RSRC2:TRAP_HANDLER: 0
; COMPUTE_PGM_RSRC2:TGID_X_EN: 1
; COMPUTE_PGM_RSRC2:TGID_Y_EN: 0
; COMPUTE_PGM_RSRC2:TGID_Z_EN: 0
; COMPUTE_PGM_RSRC2:TIDIG_COMP_CNT: 0
; COMPUTE_PGM_RSRC3_GFX90A:ACCUM_OFFSET: 0
; COMPUTE_PGM_RSRC3_GFX90A:TG_SPLIT: 0
	.section	.text._ZN7rocprim17ROCPRIM_400000_NS6detail17trampoline_kernelINS0_14default_configENS1_25partition_config_selectorILNS1_17partition_subalgoE3EtNS0_10empty_typeEbEEZZNS1_14partition_implILS5_3ELb0ES3_jN6thrust23THRUST_200600_302600_NS6detail15normal_iteratorINSA_7pointerItNSA_11hip_rocprim3tagENSA_11use_defaultESG_EEEEPS6_SJ_NS0_5tupleIJPtSJ_EEENSK_IJSJ_SJ_EEES6_PlJ7is_evenItEEEE10hipError_tPvRmT3_T4_T5_T6_T7_T9_mT8_P12ihipStream_tbDpT10_ENKUlT_T0_E_clISt17integral_constantIbLb0EES1A_EEDaS15_S16_EUlS15_E_NS1_11comp_targetILNS1_3genE3ELNS1_11target_archE908ELNS1_3gpuE7ELNS1_3repE0EEENS1_30default_config_static_selectorELNS0_4arch9wavefront6targetE1EEEvT1_,"axG",@progbits,_ZN7rocprim17ROCPRIM_400000_NS6detail17trampoline_kernelINS0_14default_configENS1_25partition_config_selectorILNS1_17partition_subalgoE3EtNS0_10empty_typeEbEEZZNS1_14partition_implILS5_3ELb0ES3_jN6thrust23THRUST_200600_302600_NS6detail15normal_iteratorINSA_7pointerItNSA_11hip_rocprim3tagENSA_11use_defaultESG_EEEEPS6_SJ_NS0_5tupleIJPtSJ_EEENSK_IJSJ_SJ_EEES6_PlJ7is_evenItEEEE10hipError_tPvRmT3_T4_T5_T6_T7_T9_mT8_P12ihipStream_tbDpT10_ENKUlT_T0_E_clISt17integral_constantIbLb0EES1A_EEDaS15_S16_EUlS15_E_NS1_11comp_targetILNS1_3genE3ELNS1_11target_archE908ELNS1_3gpuE7ELNS1_3repE0EEENS1_30default_config_static_selectorELNS0_4arch9wavefront6targetE1EEEvT1_,comdat
	.protected	_ZN7rocprim17ROCPRIM_400000_NS6detail17trampoline_kernelINS0_14default_configENS1_25partition_config_selectorILNS1_17partition_subalgoE3EtNS0_10empty_typeEbEEZZNS1_14partition_implILS5_3ELb0ES3_jN6thrust23THRUST_200600_302600_NS6detail15normal_iteratorINSA_7pointerItNSA_11hip_rocprim3tagENSA_11use_defaultESG_EEEEPS6_SJ_NS0_5tupleIJPtSJ_EEENSK_IJSJ_SJ_EEES6_PlJ7is_evenItEEEE10hipError_tPvRmT3_T4_T5_T6_T7_T9_mT8_P12ihipStream_tbDpT10_ENKUlT_T0_E_clISt17integral_constantIbLb0EES1A_EEDaS15_S16_EUlS15_E_NS1_11comp_targetILNS1_3genE3ELNS1_11target_archE908ELNS1_3gpuE7ELNS1_3repE0EEENS1_30default_config_static_selectorELNS0_4arch9wavefront6targetE1EEEvT1_ ; -- Begin function _ZN7rocprim17ROCPRIM_400000_NS6detail17trampoline_kernelINS0_14default_configENS1_25partition_config_selectorILNS1_17partition_subalgoE3EtNS0_10empty_typeEbEEZZNS1_14partition_implILS5_3ELb0ES3_jN6thrust23THRUST_200600_302600_NS6detail15normal_iteratorINSA_7pointerItNSA_11hip_rocprim3tagENSA_11use_defaultESG_EEEEPS6_SJ_NS0_5tupleIJPtSJ_EEENSK_IJSJ_SJ_EEES6_PlJ7is_evenItEEEE10hipError_tPvRmT3_T4_T5_T6_T7_T9_mT8_P12ihipStream_tbDpT10_ENKUlT_T0_E_clISt17integral_constantIbLb0EES1A_EEDaS15_S16_EUlS15_E_NS1_11comp_targetILNS1_3genE3ELNS1_11target_archE908ELNS1_3gpuE7ELNS1_3repE0EEENS1_30default_config_static_selectorELNS0_4arch9wavefront6targetE1EEEvT1_
	.globl	_ZN7rocprim17ROCPRIM_400000_NS6detail17trampoline_kernelINS0_14default_configENS1_25partition_config_selectorILNS1_17partition_subalgoE3EtNS0_10empty_typeEbEEZZNS1_14partition_implILS5_3ELb0ES3_jN6thrust23THRUST_200600_302600_NS6detail15normal_iteratorINSA_7pointerItNSA_11hip_rocprim3tagENSA_11use_defaultESG_EEEEPS6_SJ_NS0_5tupleIJPtSJ_EEENSK_IJSJ_SJ_EEES6_PlJ7is_evenItEEEE10hipError_tPvRmT3_T4_T5_T6_T7_T9_mT8_P12ihipStream_tbDpT10_ENKUlT_T0_E_clISt17integral_constantIbLb0EES1A_EEDaS15_S16_EUlS15_E_NS1_11comp_targetILNS1_3genE3ELNS1_11target_archE908ELNS1_3gpuE7ELNS1_3repE0EEENS1_30default_config_static_selectorELNS0_4arch9wavefront6targetE1EEEvT1_
	.p2align	8
	.type	_ZN7rocprim17ROCPRIM_400000_NS6detail17trampoline_kernelINS0_14default_configENS1_25partition_config_selectorILNS1_17partition_subalgoE3EtNS0_10empty_typeEbEEZZNS1_14partition_implILS5_3ELb0ES3_jN6thrust23THRUST_200600_302600_NS6detail15normal_iteratorINSA_7pointerItNSA_11hip_rocprim3tagENSA_11use_defaultESG_EEEEPS6_SJ_NS0_5tupleIJPtSJ_EEENSK_IJSJ_SJ_EEES6_PlJ7is_evenItEEEE10hipError_tPvRmT3_T4_T5_T6_T7_T9_mT8_P12ihipStream_tbDpT10_ENKUlT_T0_E_clISt17integral_constantIbLb0EES1A_EEDaS15_S16_EUlS15_E_NS1_11comp_targetILNS1_3genE3ELNS1_11target_archE908ELNS1_3gpuE7ELNS1_3repE0EEENS1_30default_config_static_selectorELNS0_4arch9wavefront6targetE1EEEvT1_,@function
_ZN7rocprim17ROCPRIM_400000_NS6detail17trampoline_kernelINS0_14default_configENS1_25partition_config_selectorILNS1_17partition_subalgoE3EtNS0_10empty_typeEbEEZZNS1_14partition_implILS5_3ELb0ES3_jN6thrust23THRUST_200600_302600_NS6detail15normal_iteratorINSA_7pointerItNSA_11hip_rocprim3tagENSA_11use_defaultESG_EEEEPS6_SJ_NS0_5tupleIJPtSJ_EEENSK_IJSJ_SJ_EEES6_PlJ7is_evenItEEEE10hipError_tPvRmT3_T4_T5_T6_T7_T9_mT8_P12ihipStream_tbDpT10_ENKUlT_T0_E_clISt17integral_constantIbLb0EES1A_EEDaS15_S16_EUlS15_E_NS1_11comp_targetILNS1_3genE3ELNS1_11target_archE908ELNS1_3gpuE7ELNS1_3repE0EEENS1_30default_config_static_selectorELNS0_4arch9wavefront6targetE1EEEvT1_: ; @_ZN7rocprim17ROCPRIM_400000_NS6detail17trampoline_kernelINS0_14default_configENS1_25partition_config_selectorILNS1_17partition_subalgoE3EtNS0_10empty_typeEbEEZZNS1_14partition_implILS5_3ELb0ES3_jN6thrust23THRUST_200600_302600_NS6detail15normal_iteratorINSA_7pointerItNSA_11hip_rocprim3tagENSA_11use_defaultESG_EEEEPS6_SJ_NS0_5tupleIJPtSJ_EEENSK_IJSJ_SJ_EEES6_PlJ7is_evenItEEEE10hipError_tPvRmT3_T4_T5_T6_T7_T9_mT8_P12ihipStream_tbDpT10_ENKUlT_T0_E_clISt17integral_constantIbLb0EES1A_EEDaS15_S16_EUlS15_E_NS1_11comp_targetILNS1_3genE3ELNS1_11target_archE908ELNS1_3gpuE7ELNS1_3repE0EEENS1_30default_config_static_selectorELNS0_4arch9wavefront6targetE1EEEvT1_
; %bb.0:
	.section	.rodata,"a",@progbits
	.p2align	6, 0x0
	.amdhsa_kernel _ZN7rocprim17ROCPRIM_400000_NS6detail17trampoline_kernelINS0_14default_configENS1_25partition_config_selectorILNS1_17partition_subalgoE3EtNS0_10empty_typeEbEEZZNS1_14partition_implILS5_3ELb0ES3_jN6thrust23THRUST_200600_302600_NS6detail15normal_iteratorINSA_7pointerItNSA_11hip_rocprim3tagENSA_11use_defaultESG_EEEEPS6_SJ_NS0_5tupleIJPtSJ_EEENSK_IJSJ_SJ_EEES6_PlJ7is_evenItEEEE10hipError_tPvRmT3_T4_T5_T6_T7_T9_mT8_P12ihipStream_tbDpT10_ENKUlT_T0_E_clISt17integral_constantIbLb0EES1A_EEDaS15_S16_EUlS15_E_NS1_11comp_targetILNS1_3genE3ELNS1_11target_archE908ELNS1_3gpuE7ELNS1_3repE0EEENS1_30default_config_static_selectorELNS0_4arch9wavefront6targetE1EEEvT1_
		.amdhsa_group_segment_fixed_size 0
		.amdhsa_private_segment_fixed_size 0
		.amdhsa_kernarg_size 120
		.amdhsa_user_sgpr_count 2
		.amdhsa_user_sgpr_dispatch_ptr 0
		.amdhsa_user_sgpr_queue_ptr 0
		.amdhsa_user_sgpr_kernarg_segment_ptr 1
		.amdhsa_user_sgpr_dispatch_id 0
		.amdhsa_user_sgpr_kernarg_preload_length 0
		.amdhsa_user_sgpr_kernarg_preload_offset 0
		.amdhsa_user_sgpr_private_segment_size 0
		.amdhsa_uses_dynamic_stack 0
		.amdhsa_enable_private_segment 0
		.amdhsa_system_sgpr_workgroup_id_x 1
		.amdhsa_system_sgpr_workgroup_id_y 0
		.amdhsa_system_sgpr_workgroup_id_z 0
		.amdhsa_system_sgpr_workgroup_info 0
		.amdhsa_system_vgpr_workitem_id 0
		.amdhsa_next_free_vgpr 1
		.amdhsa_next_free_sgpr 0
		.amdhsa_accum_offset 4
		.amdhsa_reserve_vcc 0
		.amdhsa_float_round_mode_32 0
		.amdhsa_float_round_mode_16_64 0
		.amdhsa_float_denorm_mode_32 3
		.amdhsa_float_denorm_mode_16_64 3
		.amdhsa_dx10_clamp 1
		.amdhsa_ieee_mode 1
		.amdhsa_fp16_overflow 0
		.amdhsa_tg_split 0
		.amdhsa_exception_fp_ieee_invalid_op 0
		.amdhsa_exception_fp_denorm_src 0
		.amdhsa_exception_fp_ieee_div_zero 0
		.amdhsa_exception_fp_ieee_overflow 0
		.amdhsa_exception_fp_ieee_underflow 0
		.amdhsa_exception_fp_ieee_inexact 0
		.amdhsa_exception_int_div_zero 0
	.end_amdhsa_kernel
	.section	.text._ZN7rocprim17ROCPRIM_400000_NS6detail17trampoline_kernelINS0_14default_configENS1_25partition_config_selectorILNS1_17partition_subalgoE3EtNS0_10empty_typeEbEEZZNS1_14partition_implILS5_3ELb0ES3_jN6thrust23THRUST_200600_302600_NS6detail15normal_iteratorINSA_7pointerItNSA_11hip_rocprim3tagENSA_11use_defaultESG_EEEEPS6_SJ_NS0_5tupleIJPtSJ_EEENSK_IJSJ_SJ_EEES6_PlJ7is_evenItEEEE10hipError_tPvRmT3_T4_T5_T6_T7_T9_mT8_P12ihipStream_tbDpT10_ENKUlT_T0_E_clISt17integral_constantIbLb0EES1A_EEDaS15_S16_EUlS15_E_NS1_11comp_targetILNS1_3genE3ELNS1_11target_archE908ELNS1_3gpuE7ELNS1_3repE0EEENS1_30default_config_static_selectorELNS0_4arch9wavefront6targetE1EEEvT1_,"axG",@progbits,_ZN7rocprim17ROCPRIM_400000_NS6detail17trampoline_kernelINS0_14default_configENS1_25partition_config_selectorILNS1_17partition_subalgoE3EtNS0_10empty_typeEbEEZZNS1_14partition_implILS5_3ELb0ES3_jN6thrust23THRUST_200600_302600_NS6detail15normal_iteratorINSA_7pointerItNSA_11hip_rocprim3tagENSA_11use_defaultESG_EEEEPS6_SJ_NS0_5tupleIJPtSJ_EEENSK_IJSJ_SJ_EEES6_PlJ7is_evenItEEEE10hipError_tPvRmT3_T4_T5_T6_T7_T9_mT8_P12ihipStream_tbDpT10_ENKUlT_T0_E_clISt17integral_constantIbLb0EES1A_EEDaS15_S16_EUlS15_E_NS1_11comp_targetILNS1_3genE3ELNS1_11target_archE908ELNS1_3gpuE7ELNS1_3repE0EEENS1_30default_config_static_selectorELNS0_4arch9wavefront6targetE1EEEvT1_,comdat
.Lfunc_end1159:
	.size	_ZN7rocprim17ROCPRIM_400000_NS6detail17trampoline_kernelINS0_14default_configENS1_25partition_config_selectorILNS1_17partition_subalgoE3EtNS0_10empty_typeEbEEZZNS1_14partition_implILS5_3ELb0ES3_jN6thrust23THRUST_200600_302600_NS6detail15normal_iteratorINSA_7pointerItNSA_11hip_rocprim3tagENSA_11use_defaultESG_EEEEPS6_SJ_NS0_5tupleIJPtSJ_EEENSK_IJSJ_SJ_EEES6_PlJ7is_evenItEEEE10hipError_tPvRmT3_T4_T5_T6_T7_T9_mT8_P12ihipStream_tbDpT10_ENKUlT_T0_E_clISt17integral_constantIbLb0EES1A_EEDaS15_S16_EUlS15_E_NS1_11comp_targetILNS1_3genE3ELNS1_11target_archE908ELNS1_3gpuE7ELNS1_3repE0EEENS1_30default_config_static_selectorELNS0_4arch9wavefront6targetE1EEEvT1_, .Lfunc_end1159-_ZN7rocprim17ROCPRIM_400000_NS6detail17trampoline_kernelINS0_14default_configENS1_25partition_config_selectorILNS1_17partition_subalgoE3EtNS0_10empty_typeEbEEZZNS1_14partition_implILS5_3ELb0ES3_jN6thrust23THRUST_200600_302600_NS6detail15normal_iteratorINSA_7pointerItNSA_11hip_rocprim3tagENSA_11use_defaultESG_EEEEPS6_SJ_NS0_5tupleIJPtSJ_EEENSK_IJSJ_SJ_EEES6_PlJ7is_evenItEEEE10hipError_tPvRmT3_T4_T5_T6_T7_T9_mT8_P12ihipStream_tbDpT10_ENKUlT_T0_E_clISt17integral_constantIbLb0EES1A_EEDaS15_S16_EUlS15_E_NS1_11comp_targetILNS1_3genE3ELNS1_11target_archE908ELNS1_3gpuE7ELNS1_3repE0EEENS1_30default_config_static_selectorELNS0_4arch9wavefront6targetE1EEEvT1_
                                        ; -- End function
	.section	.AMDGPU.csdata,"",@progbits
; Kernel info:
; codeLenInByte = 0
; NumSgprs: 6
; NumVgprs: 0
; NumAgprs: 0
; TotalNumVgprs: 0
; ScratchSize: 0
; MemoryBound: 0
; FloatMode: 240
; IeeeMode: 1
; LDSByteSize: 0 bytes/workgroup (compile time only)
; SGPRBlocks: 0
; VGPRBlocks: 0
; NumSGPRsForWavesPerEU: 6
; NumVGPRsForWavesPerEU: 1
; AccumOffset: 4
; Occupancy: 8
; WaveLimiterHint : 0
; COMPUTE_PGM_RSRC2:SCRATCH_EN: 0
; COMPUTE_PGM_RSRC2:USER_SGPR: 2
; COMPUTE_PGM_RSRC2:TRAP_HANDLER: 0
; COMPUTE_PGM_RSRC2:TGID_X_EN: 1
; COMPUTE_PGM_RSRC2:TGID_Y_EN: 0
; COMPUTE_PGM_RSRC2:TGID_Z_EN: 0
; COMPUTE_PGM_RSRC2:TIDIG_COMP_CNT: 0
; COMPUTE_PGM_RSRC3_GFX90A:ACCUM_OFFSET: 0
; COMPUTE_PGM_RSRC3_GFX90A:TG_SPLIT: 0
	.section	.text._ZN7rocprim17ROCPRIM_400000_NS6detail17trampoline_kernelINS0_14default_configENS1_25partition_config_selectorILNS1_17partition_subalgoE3EtNS0_10empty_typeEbEEZZNS1_14partition_implILS5_3ELb0ES3_jN6thrust23THRUST_200600_302600_NS6detail15normal_iteratorINSA_7pointerItNSA_11hip_rocprim3tagENSA_11use_defaultESG_EEEEPS6_SJ_NS0_5tupleIJPtSJ_EEENSK_IJSJ_SJ_EEES6_PlJ7is_evenItEEEE10hipError_tPvRmT3_T4_T5_T6_T7_T9_mT8_P12ihipStream_tbDpT10_ENKUlT_T0_E_clISt17integral_constantIbLb0EES1A_EEDaS15_S16_EUlS15_E_NS1_11comp_targetILNS1_3genE2ELNS1_11target_archE906ELNS1_3gpuE6ELNS1_3repE0EEENS1_30default_config_static_selectorELNS0_4arch9wavefront6targetE1EEEvT1_,"axG",@progbits,_ZN7rocprim17ROCPRIM_400000_NS6detail17trampoline_kernelINS0_14default_configENS1_25partition_config_selectorILNS1_17partition_subalgoE3EtNS0_10empty_typeEbEEZZNS1_14partition_implILS5_3ELb0ES3_jN6thrust23THRUST_200600_302600_NS6detail15normal_iteratorINSA_7pointerItNSA_11hip_rocprim3tagENSA_11use_defaultESG_EEEEPS6_SJ_NS0_5tupleIJPtSJ_EEENSK_IJSJ_SJ_EEES6_PlJ7is_evenItEEEE10hipError_tPvRmT3_T4_T5_T6_T7_T9_mT8_P12ihipStream_tbDpT10_ENKUlT_T0_E_clISt17integral_constantIbLb0EES1A_EEDaS15_S16_EUlS15_E_NS1_11comp_targetILNS1_3genE2ELNS1_11target_archE906ELNS1_3gpuE6ELNS1_3repE0EEENS1_30default_config_static_selectorELNS0_4arch9wavefront6targetE1EEEvT1_,comdat
	.protected	_ZN7rocprim17ROCPRIM_400000_NS6detail17trampoline_kernelINS0_14default_configENS1_25partition_config_selectorILNS1_17partition_subalgoE3EtNS0_10empty_typeEbEEZZNS1_14partition_implILS5_3ELb0ES3_jN6thrust23THRUST_200600_302600_NS6detail15normal_iteratorINSA_7pointerItNSA_11hip_rocprim3tagENSA_11use_defaultESG_EEEEPS6_SJ_NS0_5tupleIJPtSJ_EEENSK_IJSJ_SJ_EEES6_PlJ7is_evenItEEEE10hipError_tPvRmT3_T4_T5_T6_T7_T9_mT8_P12ihipStream_tbDpT10_ENKUlT_T0_E_clISt17integral_constantIbLb0EES1A_EEDaS15_S16_EUlS15_E_NS1_11comp_targetILNS1_3genE2ELNS1_11target_archE906ELNS1_3gpuE6ELNS1_3repE0EEENS1_30default_config_static_selectorELNS0_4arch9wavefront6targetE1EEEvT1_ ; -- Begin function _ZN7rocprim17ROCPRIM_400000_NS6detail17trampoline_kernelINS0_14default_configENS1_25partition_config_selectorILNS1_17partition_subalgoE3EtNS0_10empty_typeEbEEZZNS1_14partition_implILS5_3ELb0ES3_jN6thrust23THRUST_200600_302600_NS6detail15normal_iteratorINSA_7pointerItNSA_11hip_rocprim3tagENSA_11use_defaultESG_EEEEPS6_SJ_NS0_5tupleIJPtSJ_EEENSK_IJSJ_SJ_EEES6_PlJ7is_evenItEEEE10hipError_tPvRmT3_T4_T5_T6_T7_T9_mT8_P12ihipStream_tbDpT10_ENKUlT_T0_E_clISt17integral_constantIbLb0EES1A_EEDaS15_S16_EUlS15_E_NS1_11comp_targetILNS1_3genE2ELNS1_11target_archE906ELNS1_3gpuE6ELNS1_3repE0EEENS1_30default_config_static_selectorELNS0_4arch9wavefront6targetE1EEEvT1_
	.globl	_ZN7rocprim17ROCPRIM_400000_NS6detail17trampoline_kernelINS0_14default_configENS1_25partition_config_selectorILNS1_17partition_subalgoE3EtNS0_10empty_typeEbEEZZNS1_14partition_implILS5_3ELb0ES3_jN6thrust23THRUST_200600_302600_NS6detail15normal_iteratorINSA_7pointerItNSA_11hip_rocprim3tagENSA_11use_defaultESG_EEEEPS6_SJ_NS0_5tupleIJPtSJ_EEENSK_IJSJ_SJ_EEES6_PlJ7is_evenItEEEE10hipError_tPvRmT3_T4_T5_T6_T7_T9_mT8_P12ihipStream_tbDpT10_ENKUlT_T0_E_clISt17integral_constantIbLb0EES1A_EEDaS15_S16_EUlS15_E_NS1_11comp_targetILNS1_3genE2ELNS1_11target_archE906ELNS1_3gpuE6ELNS1_3repE0EEENS1_30default_config_static_selectorELNS0_4arch9wavefront6targetE1EEEvT1_
	.p2align	8
	.type	_ZN7rocprim17ROCPRIM_400000_NS6detail17trampoline_kernelINS0_14default_configENS1_25partition_config_selectorILNS1_17partition_subalgoE3EtNS0_10empty_typeEbEEZZNS1_14partition_implILS5_3ELb0ES3_jN6thrust23THRUST_200600_302600_NS6detail15normal_iteratorINSA_7pointerItNSA_11hip_rocprim3tagENSA_11use_defaultESG_EEEEPS6_SJ_NS0_5tupleIJPtSJ_EEENSK_IJSJ_SJ_EEES6_PlJ7is_evenItEEEE10hipError_tPvRmT3_T4_T5_T6_T7_T9_mT8_P12ihipStream_tbDpT10_ENKUlT_T0_E_clISt17integral_constantIbLb0EES1A_EEDaS15_S16_EUlS15_E_NS1_11comp_targetILNS1_3genE2ELNS1_11target_archE906ELNS1_3gpuE6ELNS1_3repE0EEENS1_30default_config_static_selectorELNS0_4arch9wavefront6targetE1EEEvT1_,@function
_ZN7rocprim17ROCPRIM_400000_NS6detail17trampoline_kernelINS0_14default_configENS1_25partition_config_selectorILNS1_17partition_subalgoE3EtNS0_10empty_typeEbEEZZNS1_14partition_implILS5_3ELb0ES3_jN6thrust23THRUST_200600_302600_NS6detail15normal_iteratorINSA_7pointerItNSA_11hip_rocprim3tagENSA_11use_defaultESG_EEEEPS6_SJ_NS0_5tupleIJPtSJ_EEENSK_IJSJ_SJ_EEES6_PlJ7is_evenItEEEE10hipError_tPvRmT3_T4_T5_T6_T7_T9_mT8_P12ihipStream_tbDpT10_ENKUlT_T0_E_clISt17integral_constantIbLb0EES1A_EEDaS15_S16_EUlS15_E_NS1_11comp_targetILNS1_3genE2ELNS1_11target_archE906ELNS1_3gpuE6ELNS1_3repE0EEENS1_30default_config_static_selectorELNS0_4arch9wavefront6targetE1EEEvT1_: ; @_ZN7rocprim17ROCPRIM_400000_NS6detail17trampoline_kernelINS0_14default_configENS1_25partition_config_selectorILNS1_17partition_subalgoE3EtNS0_10empty_typeEbEEZZNS1_14partition_implILS5_3ELb0ES3_jN6thrust23THRUST_200600_302600_NS6detail15normal_iteratorINSA_7pointerItNSA_11hip_rocprim3tagENSA_11use_defaultESG_EEEEPS6_SJ_NS0_5tupleIJPtSJ_EEENSK_IJSJ_SJ_EEES6_PlJ7is_evenItEEEE10hipError_tPvRmT3_T4_T5_T6_T7_T9_mT8_P12ihipStream_tbDpT10_ENKUlT_T0_E_clISt17integral_constantIbLb0EES1A_EEDaS15_S16_EUlS15_E_NS1_11comp_targetILNS1_3genE2ELNS1_11target_archE906ELNS1_3gpuE6ELNS1_3repE0EEENS1_30default_config_static_selectorELNS0_4arch9wavefront6targetE1EEEvT1_
; %bb.0:
	.section	.rodata,"a",@progbits
	.p2align	6, 0x0
	.amdhsa_kernel _ZN7rocprim17ROCPRIM_400000_NS6detail17trampoline_kernelINS0_14default_configENS1_25partition_config_selectorILNS1_17partition_subalgoE3EtNS0_10empty_typeEbEEZZNS1_14partition_implILS5_3ELb0ES3_jN6thrust23THRUST_200600_302600_NS6detail15normal_iteratorINSA_7pointerItNSA_11hip_rocprim3tagENSA_11use_defaultESG_EEEEPS6_SJ_NS0_5tupleIJPtSJ_EEENSK_IJSJ_SJ_EEES6_PlJ7is_evenItEEEE10hipError_tPvRmT3_T4_T5_T6_T7_T9_mT8_P12ihipStream_tbDpT10_ENKUlT_T0_E_clISt17integral_constantIbLb0EES1A_EEDaS15_S16_EUlS15_E_NS1_11comp_targetILNS1_3genE2ELNS1_11target_archE906ELNS1_3gpuE6ELNS1_3repE0EEENS1_30default_config_static_selectorELNS0_4arch9wavefront6targetE1EEEvT1_
		.amdhsa_group_segment_fixed_size 0
		.amdhsa_private_segment_fixed_size 0
		.amdhsa_kernarg_size 120
		.amdhsa_user_sgpr_count 2
		.amdhsa_user_sgpr_dispatch_ptr 0
		.amdhsa_user_sgpr_queue_ptr 0
		.amdhsa_user_sgpr_kernarg_segment_ptr 1
		.amdhsa_user_sgpr_dispatch_id 0
		.amdhsa_user_sgpr_kernarg_preload_length 0
		.amdhsa_user_sgpr_kernarg_preload_offset 0
		.amdhsa_user_sgpr_private_segment_size 0
		.amdhsa_uses_dynamic_stack 0
		.amdhsa_enable_private_segment 0
		.amdhsa_system_sgpr_workgroup_id_x 1
		.amdhsa_system_sgpr_workgroup_id_y 0
		.amdhsa_system_sgpr_workgroup_id_z 0
		.amdhsa_system_sgpr_workgroup_info 0
		.amdhsa_system_vgpr_workitem_id 0
		.amdhsa_next_free_vgpr 1
		.amdhsa_next_free_sgpr 0
		.amdhsa_accum_offset 4
		.amdhsa_reserve_vcc 0
		.amdhsa_float_round_mode_32 0
		.amdhsa_float_round_mode_16_64 0
		.amdhsa_float_denorm_mode_32 3
		.amdhsa_float_denorm_mode_16_64 3
		.amdhsa_dx10_clamp 1
		.amdhsa_ieee_mode 1
		.amdhsa_fp16_overflow 0
		.amdhsa_tg_split 0
		.amdhsa_exception_fp_ieee_invalid_op 0
		.amdhsa_exception_fp_denorm_src 0
		.amdhsa_exception_fp_ieee_div_zero 0
		.amdhsa_exception_fp_ieee_overflow 0
		.amdhsa_exception_fp_ieee_underflow 0
		.amdhsa_exception_fp_ieee_inexact 0
		.amdhsa_exception_int_div_zero 0
	.end_amdhsa_kernel
	.section	.text._ZN7rocprim17ROCPRIM_400000_NS6detail17trampoline_kernelINS0_14default_configENS1_25partition_config_selectorILNS1_17partition_subalgoE3EtNS0_10empty_typeEbEEZZNS1_14partition_implILS5_3ELb0ES3_jN6thrust23THRUST_200600_302600_NS6detail15normal_iteratorINSA_7pointerItNSA_11hip_rocprim3tagENSA_11use_defaultESG_EEEEPS6_SJ_NS0_5tupleIJPtSJ_EEENSK_IJSJ_SJ_EEES6_PlJ7is_evenItEEEE10hipError_tPvRmT3_T4_T5_T6_T7_T9_mT8_P12ihipStream_tbDpT10_ENKUlT_T0_E_clISt17integral_constantIbLb0EES1A_EEDaS15_S16_EUlS15_E_NS1_11comp_targetILNS1_3genE2ELNS1_11target_archE906ELNS1_3gpuE6ELNS1_3repE0EEENS1_30default_config_static_selectorELNS0_4arch9wavefront6targetE1EEEvT1_,"axG",@progbits,_ZN7rocprim17ROCPRIM_400000_NS6detail17trampoline_kernelINS0_14default_configENS1_25partition_config_selectorILNS1_17partition_subalgoE3EtNS0_10empty_typeEbEEZZNS1_14partition_implILS5_3ELb0ES3_jN6thrust23THRUST_200600_302600_NS6detail15normal_iteratorINSA_7pointerItNSA_11hip_rocprim3tagENSA_11use_defaultESG_EEEEPS6_SJ_NS0_5tupleIJPtSJ_EEENSK_IJSJ_SJ_EEES6_PlJ7is_evenItEEEE10hipError_tPvRmT3_T4_T5_T6_T7_T9_mT8_P12ihipStream_tbDpT10_ENKUlT_T0_E_clISt17integral_constantIbLb0EES1A_EEDaS15_S16_EUlS15_E_NS1_11comp_targetILNS1_3genE2ELNS1_11target_archE906ELNS1_3gpuE6ELNS1_3repE0EEENS1_30default_config_static_selectorELNS0_4arch9wavefront6targetE1EEEvT1_,comdat
.Lfunc_end1160:
	.size	_ZN7rocprim17ROCPRIM_400000_NS6detail17trampoline_kernelINS0_14default_configENS1_25partition_config_selectorILNS1_17partition_subalgoE3EtNS0_10empty_typeEbEEZZNS1_14partition_implILS5_3ELb0ES3_jN6thrust23THRUST_200600_302600_NS6detail15normal_iteratorINSA_7pointerItNSA_11hip_rocprim3tagENSA_11use_defaultESG_EEEEPS6_SJ_NS0_5tupleIJPtSJ_EEENSK_IJSJ_SJ_EEES6_PlJ7is_evenItEEEE10hipError_tPvRmT3_T4_T5_T6_T7_T9_mT8_P12ihipStream_tbDpT10_ENKUlT_T0_E_clISt17integral_constantIbLb0EES1A_EEDaS15_S16_EUlS15_E_NS1_11comp_targetILNS1_3genE2ELNS1_11target_archE906ELNS1_3gpuE6ELNS1_3repE0EEENS1_30default_config_static_selectorELNS0_4arch9wavefront6targetE1EEEvT1_, .Lfunc_end1160-_ZN7rocprim17ROCPRIM_400000_NS6detail17trampoline_kernelINS0_14default_configENS1_25partition_config_selectorILNS1_17partition_subalgoE3EtNS0_10empty_typeEbEEZZNS1_14partition_implILS5_3ELb0ES3_jN6thrust23THRUST_200600_302600_NS6detail15normal_iteratorINSA_7pointerItNSA_11hip_rocprim3tagENSA_11use_defaultESG_EEEEPS6_SJ_NS0_5tupleIJPtSJ_EEENSK_IJSJ_SJ_EEES6_PlJ7is_evenItEEEE10hipError_tPvRmT3_T4_T5_T6_T7_T9_mT8_P12ihipStream_tbDpT10_ENKUlT_T0_E_clISt17integral_constantIbLb0EES1A_EEDaS15_S16_EUlS15_E_NS1_11comp_targetILNS1_3genE2ELNS1_11target_archE906ELNS1_3gpuE6ELNS1_3repE0EEENS1_30default_config_static_selectorELNS0_4arch9wavefront6targetE1EEEvT1_
                                        ; -- End function
	.section	.AMDGPU.csdata,"",@progbits
; Kernel info:
; codeLenInByte = 0
; NumSgprs: 6
; NumVgprs: 0
; NumAgprs: 0
; TotalNumVgprs: 0
; ScratchSize: 0
; MemoryBound: 0
; FloatMode: 240
; IeeeMode: 1
; LDSByteSize: 0 bytes/workgroup (compile time only)
; SGPRBlocks: 0
; VGPRBlocks: 0
; NumSGPRsForWavesPerEU: 6
; NumVGPRsForWavesPerEU: 1
; AccumOffset: 4
; Occupancy: 8
; WaveLimiterHint : 0
; COMPUTE_PGM_RSRC2:SCRATCH_EN: 0
; COMPUTE_PGM_RSRC2:USER_SGPR: 2
; COMPUTE_PGM_RSRC2:TRAP_HANDLER: 0
; COMPUTE_PGM_RSRC2:TGID_X_EN: 1
; COMPUTE_PGM_RSRC2:TGID_Y_EN: 0
; COMPUTE_PGM_RSRC2:TGID_Z_EN: 0
; COMPUTE_PGM_RSRC2:TIDIG_COMP_CNT: 0
; COMPUTE_PGM_RSRC3_GFX90A:ACCUM_OFFSET: 0
; COMPUTE_PGM_RSRC3_GFX90A:TG_SPLIT: 0
	.section	.text._ZN7rocprim17ROCPRIM_400000_NS6detail17trampoline_kernelINS0_14default_configENS1_25partition_config_selectorILNS1_17partition_subalgoE3EtNS0_10empty_typeEbEEZZNS1_14partition_implILS5_3ELb0ES3_jN6thrust23THRUST_200600_302600_NS6detail15normal_iteratorINSA_7pointerItNSA_11hip_rocprim3tagENSA_11use_defaultESG_EEEEPS6_SJ_NS0_5tupleIJPtSJ_EEENSK_IJSJ_SJ_EEES6_PlJ7is_evenItEEEE10hipError_tPvRmT3_T4_T5_T6_T7_T9_mT8_P12ihipStream_tbDpT10_ENKUlT_T0_E_clISt17integral_constantIbLb0EES1A_EEDaS15_S16_EUlS15_E_NS1_11comp_targetILNS1_3genE10ELNS1_11target_archE1200ELNS1_3gpuE4ELNS1_3repE0EEENS1_30default_config_static_selectorELNS0_4arch9wavefront6targetE1EEEvT1_,"axG",@progbits,_ZN7rocprim17ROCPRIM_400000_NS6detail17trampoline_kernelINS0_14default_configENS1_25partition_config_selectorILNS1_17partition_subalgoE3EtNS0_10empty_typeEbEEZZNS1_14partition_implILS5_3ELb0ES3_jN6thrust23THRUST_200600_302600_NS6detail15normal_iteratorINSA_7pointerItNSA_11hip_rocprim3tagENSA_11use_defaultESG_EEEEPS6_SJ_NS0_5tupleIJPtSJ_EEENSK_IJSJ_SJ_EEES6_PlJ7is_evenItEEEE10hipError_tPvRmT3_T4_T5_T6_T7_T9_mT8_P12ihipStream_tbDpT10_ENKUlT_T0_E_clISt17integral_constantIbLb0EES1A_EEDaS15_S16_EUlS15_E_NS1_11comp_targetILNS1_3genE10ELNS1_11target_archE1200ELNS1_3gpuE4ELNS1_3repE0EEENS1_30default_config_static_selectorELNS0_4arch9wavefront6targetE1EEEvT1_,comdat
	.protected	_ZN7rocprim17ROCPRIM_400000_NS6detail17trampoline_kernelINS0_14default_configENS1_25partition_config_selectorILNS1_17partition_subalgoE3EtNS0_10empty_typeEbEEZZNS1_14partition_implILS5_3ELb0ES3_jN6thrust23THRUST_200600_302600_NS6detail15normal_iteratorINSA_7pointerItNSA_11hip_rocprim3tagENSA_11use_defaultESG_EEEEPS6_SJ_NS0_5tupleIJPtSJ_EEENSK_IJSJ_SJ_EEES6_PlJ7is_evenItEEEE10hipError_tPvRmT3_T4_T5_T6_T7_T9_mT8_P12ihipStream_tbDpT10_ENKUlT_T0_E_clISt17integral_constantIbLb0EES1A_EEDaS15_S16_EUlS15_E_NS1_11comp_targetILNS1_3genE10ELNS1_11target_archE1200ELNS1_3gpuE4ELNS1_3repE0EEENS1_30default_config_static_selectorELNS0_4arch9wavefront6targetE1EEEvT1_ ; -- Begin function _ZN7rocprim17ROCPRIM_400000_NS6detail17trampoline_kernelINS0_14default_configENS1_25partition_config_selectorILNS1_17partition_subalgoE3EtNS0_10empty_typeEbEEZZNS1_14partition_implILS5_3ELb0ES3_jN6thrust23THRUST_200600_302600_NS6detail15normal_iteratorINSA_7pointerItNSA_11hip_rocprim3tagENSA_11use_defaultESG_EEEEPS6_SJ_NS0_5tupleIJPtSJ_EEENSK_IJSJ_SJ_EEES6_PlJ7is_evenItEEEE10hipError_tPvRmT3_T4_T5_T6_T7_T9_mT8_P12ihipStream_tbDpT10_ENKUlT_T0_E_clISt17integral_constantIbLb0EES1A_EEDaS15_S16_EUlS15_E_NS1_11comp_targetILNS1_3genE10ELNS1_11target_archE1200ELNS1_3gpuE4ELNS1_3repE0EEENS1_30default_config_static_selectorELNS0_4arch9wavefront6targetE1EEEvT1_
	.globl	_ZN7rocprim17ROCPRIM_400000_NS6detail17trampoline_kernelINS0_14default_configENS1_25partition_config_selectorILNS1_17partition_subalgoE3EtNS0_10empty_typeEbEEZZNS1_14partition_implILS5_3ELb0ES3_jN6thrust23THRUST_200600_302600_NS6detail15normal_iteratorINSA_7pointerItNSA_11hip_rocprim3tagENSA_11use_defaultESG_EEEEPS6_SJ_NS0_5tupleIJPtSJ_EEENSK_IJSJ_SJ_EEES6_PlJ7is_evenItEEEE10hipError_tPvRmT3_T4_T5_T6_T7_T9_mT8_P12ihipStream_tbDpT10_ENKUlT_T0_E_clISt17integral_constantIbLb0EES1A_EEDaS15_S16_EUlS15_E_NS1_11comp_targetILNS1_3genE10ELNS1_11target_archE1200ELNS1_3gpuE4ELNS1_3repE0EEENS1_30default_config_static_selectorELNS0_4arch9wavefront6targetE1EEEvT1_
	.p2align	8
	.type	_ZN7rocprim17ROCPRIM_400000_NS6detail17trampoline_kernelINS0_14default_configENS1_25partition_config_selectorILNS1_17partition_subalgoE3EtNS0_10empty_typeEbEEZZNS1_14partition_implILS5_3ELb0ES3_jN6thrust23THRUST_200600_302600_NS6detail15normal_iteratorINSA_7pointerItNSA_11hip_rocprim3tagENSA_11use_defaultESG_EEEEPS6_SJ_NS0_5tupleIJPtSJ_EEENSK_IJSJ_SJ_EEES6_PlJ7is_evenItEEEE10hipError_tPvRmT3_T4_T5_T6_T7_T9_mT8_P12ihipStream_tbDpT10_ENKUlT_T0_E_clISt17integral_constantIbLb0EES1A_EEDaS15_S16_EUlS15_E_NS1_11comp_targetILNS1_3genE10ELNS1_11target_archE1200ELNS1_3gpuE4ELNS1_3repE0EEENS1_30default_config_static_selectorELNS0_4arch9wavefront6targetE1EEEvT1_,@function
_ZN7rocprim17ROCPRIM_400000_NS6detail17trampoline_kernelINS0_14default_configENS1_25partition_config_selectorILNS1_17partition_subalgoE3EtNS0_10empty_typeEbEEZZNS1_14partition_implILS5_3ELb0ES3_jN6thrust23THRUST_200600_302600_NS6detail15normal_iteratorINSA_7pointerItNSA_11hip_rocprim3tagENSA_11use_defaultESG_EEEEPS6_SJ_NS0_5tupleIJPtSJ_EEENSK_IJSJ_SJ_EEES6_PlJ7is_evenItEEEE10hipError_tPvRmT3_T4_T5_T6_T7_T9_mT8_P12ihipStream_tbDpT10_ENKUlT_T0_E_clISt17integral_constantIbLb0EES1A_EEDaS15_S16_EUlS15_E_NS1_11comp_targetILNS1_3genE10ELNS1_11target_archE1200ELNS1_3gpuE4ELNS1_3repE0EEENS1_30default_config_static_selectorELNS0_4arch9wavefront6targetE1EEEvT1_: ; @_ZN7rocprim17ROCPRIM_400000_NS6detail17trampoline_kernelINS0_14default_configENS1_25partition_config_selectorILNS1_17partition_subalgoE3EtNS0_10empty_typeEbEEZZNS1_14partition_implILS5_3ELb0ES3_jN6thrust23THRUST_200600_302600_NS6detail15normal_iteratorINSA_7pointerItNSA_11hip_rocprim3tagENSA_11use_defaultESG_EEEEPS6_SJ_NS0_5tupleIJPtSJ_EEENSK_IJSJ_SJ_EEES6_PlJ7is_evenItEEEE10hipError_tPvRmT3_T4_T5_T6_T7_T9_mT8_P12ihipStream_tbDpT10_ENKUlT_T0_E_clISt17integral_constantIbLb0EES1A_EEDaS15_S16_EUlS15_E_NS1_11comp_targetILNS1_3genE10ELNS1_11target_archE1200ELNS1_3gpuE4ELNS1_3repE0EEENS1_30default_config_static_selectorELNS0_4arch9wavefront6targetE1EEEvT1_
; %bb.0:
	.section	.rodata,"a",@progbits
	.p2align	6, 0x0
	.amdhsa_kernel _ZN7rocprim17ROCPRIM_400000_NS6detail17trampoline_kernelINS0_14default_configENS1_25partition_config_selectorILNS1_17partition_subalgoE3EtNS0_10empty_typeEbEEZZNS1_14partition_implILS5_3ELb0ES3_jN6thrust23THRUST_200600_302600_NS6detail15normal_iteratorINSA_7pointerItNSA_11hip_rocprim3tagENSA_11use_defaultESG_EEEEPS6_SJ_NS0_5tupleIJPtSJ_EEENSK_IJSJ_SJ_EEES6_PlJ7is_evenItEEEE10hipError_tPvRmT3_T4_T5_T6_T7_T9_mT8_P12ihipStream_tbDpT10_ENKUlT_T0_E_clISt17integral_constantIbLb0EES1A_EEDaS15_S16_EUlS15_E_NS1_11comp_targetILNS1_3genE10ELNS1_11target_archE1200ELNS1_3gpuE4ELNS1_3repE0EEENS1_30default_config_static_selectorELNS0_4arch9wavefront6targetE1EEEvT1_
		.amdhsa_group_segment_fixed_size 0
		.amdhsa_private_segment_fixed_size 0
		.amdhsa_kernarg_size 120
		.amdhsa_user_sgpr_count 2
		.amdhsa_user_sgpr_dispatch_ptr 0
		.amdhsa_user_sgpr_queue_ptr 0
		.amdhsa_user_sgpr_kernarg_segment_ptr 1
		.amdhsa_user_sgpr_dispatch_id 0
		.amdhsa_user_sgpr_kernarg_preload_length 0
		.amdhsa_user_sgpr_kernarg_preload_offset 0
		.amdhsa_user_sgpr_private_segment_size 0
		.amdhsa_uses_dynamic_stack 0
		.amdhsa_enable_private_segment 0
		.amdhsa_system_sgpr_workgroup_id_x 1
		.amdhsa_system_sgpr_workgroup_id_y 0
		.amdhsa_system_sgpr_workgroup_id_z 0
		.amdhsa_system_sgpr_workgroup_info 0
		.amdhsa_system_vgpr_workitem_id 0
		.amdhsa_next_free_vgpr 1
		.amdhsa_next_free_sgpr 0
		.amdhsa_accum_offset 4
		.amdhsa_reserve_vcc 0
		.amdhsa_float_round_mode_32 0
		.amdhsa_float_round_mode_16_64 0
		.amdhsa_float_denorm_mode_32 3
		.amdhsa_float_denorm_mode_16_64 3
		.amdhsa_dx10_clamp 1
		.amdhsa_ieee_mode 1
		.amdhsa_fp16_overflow 0
		.amdhsa_tg_split 0
		.amdhsa_exception_fp_ieee_invalid_op 0
		.amdhsa_exception_fp_denorm_src 0
		.amdhsa_exception_fp_ieee_div_zero 0
		.amdhsa_exception_fp_ieee_overflow 0
		.amdhsa_exception_fp_ieee_underflow 0
		.amdhsa_exception_fp_ieee_inexact 0
		.amdhsa_exception_int_div_zero 0
	.end_amdhsa_kernel
	.section	.text._ZN7rocprim17ROCPRIM_400000_NS6detail17trampoline_kernelINS0_14default_configENS1_25partition_config_selectorILNS1_17partition_subalgoE3EtNS0_10empty_typeEbEEZZNS1_14partition_implILS5_3ELb0ES3_jN6thrust23THRUST_200600_302600_NS6detail15normal_iteratorINSA_7pointerItNSA_11hip_rocprim3tagENSA_11use_defaultESG_EEEEPS6_SJ_NS0_5tupleIJPtSJ_EEENSK_IJSJ_SJ_EEES6_PlJ7is_evenItEEEE10hipError_tPvRmT3_T4_T5_T6_T7_T9_mT8_P12ihipStream_tbDpT10_ENKUlT_T0_E_clISt17integral_constantIbLb0EES1A_EEDaS15_S16_EUlS15_E_NS1_11comp_targetILNS1_3genE10ELNS1_11target_archE1200ELNS1_3gpuE4ELNS1_3repE0EEENS1_30default_config_static_selectorELNS0_4arch9wavefront6targetE1EEEvT1_,"axG",@progbits,_ZN7rocprim17ROCPRIM_400000_NS6detail17trampoline_kernelINS0_14default_configENS1_25partition_config_selectorILNS1_17partition_subalgoE3EtNS0_10empty_typeEbEEZZNS1_14partition_implILS5_3ELb0ES3_jN6thrust23THRUST_200600_302600_NS6detail15normal_iteratorINSA_7pointerItNSA_11hip_rocprim3tagENSA_11use_defaultESG_EEEEPS6_SJ_NS0_5tupleIJPtSJ_EEENSK_IJSJ_SJ_EEES6_PlJ7is_evenItEEEE10hipError_tPvRmT3_T4_T5_T6_T7_T9_mT8_P12ihipStream_tbDpT10_ENKUlT_T0_E_clISt17integral_constantIbLb0EES1A_EEDaS15_S16_EUlS15_E_NS1_11comp_targetILNS1_3genE10ELNS1_11target_archE1200ELNS1_3gpuE4ELNS1_3repE0EEENS1_30default_config_static_selectorELNS0_4arch9wavefront6targetE1EEEvT1_,comdat
.Lfunc_end1161:
	.size	_ZN7rocprim17ROCPRIM_400000_NS6detail17trampoline_kernelINS0_14default_configENS1_25partition_config_selectorILNS1_17partition_subalgoE3EtNS0_10empty_typeEbEEZZNS1_14partition_implILS5_3ELb0ES3_jN6thrust23THRUST_200600_302600_NS6detail15normal_iteratorINSA_7pointerItNSA_11hip_rocprim3tagENSA_11use_defaultESG_EEEEPS6_SJ_NS0_5tupleIJPtSJ_EEENSK_IJSJ_SJ_EEES6_PlJ7is_evenItEEEE10hipError_tPvRmT3_T4_T5_T6_T7_T9_mT8_P12ihipStream_tbDpT10_ENKUlT_T0_E_clISt17integral_constantIbLb0EES1A_EEDaS15_S16_EUlS15_E_NS1_11comp_targetILNS1_3genE10ELNS1_11target_archE1200ELNS1_3gpuE4ELNS1_3repE0EEENS1_30default_config_static_selectorELNS0_4arch9wavefront6targetE1EEEvT1_, .Lfunc_end1161-_ZN7rocprim17ROCPRIM_400000_NS6detail17trampoline_kernelINS0_14default_configENS1_25partition_config_selectorILNS1_17partition_subalgoE3EtNS0_10empty_typeEbEEZZNS1_14partition_implILS5_3ELb0ES3_jN6thrust23THRUST_200600_302600_NS6detail15normal_iteratorINSA_7pointerItNSA_11hip_rocprim3tagENSA_11use_defaultESG_EEEEPS6_SJ_NS0_5tupleIJPtSJ_EEENSK_IJSJ_SJ_EEES6_PlJ7is_evenItEEEE10hipError_tPvRmT3_T4_T5_T6_T7_T9_mT8_P12ihipStream_tbDpT10_ENKUlT_T0_E_clISt17integral_constantIbLb0EES1A_EEDaS15_S16_EUlS15_E_NS1_11comp_targetILNS1_3genE10ELNS1_11target_archE1200ELNS1_3gpuE4ELNS1_3repE0EEENS1_30default_config_static_selectorELNS0_4arch9wavefront6targetE1EEEvT1_
                                        ; -- End function
	.section	.AMDGPU.csdata,"",@progbits
; Kernel info:
; codeLenInByte = 0
; NumSgprs: 6
; NumVgprs: 0
; NumAgprs: 0
; TotalNumVgprs: 0
; ScratchSize: 0
; MemoryBound: 0
; FloatMode: 240
; IeeeMode: 1
; LDSByteSize: 0 bytes/workgroup (compile time only)
; SGPRBlocks: 0
; VGPRBlocks: 0
; NumSGPRsForWavesPerEU: 6
; NumVGPRsForWavesPerEU: 1
; AccumOffset: 4
; Occupancy: 8
; WaveLimiterHint : 0
; COMPUTE_PGM_RSRC2:SCRATCH_EN: 0
; COMPUTE_PGM_RSRC2:USER_SGPR: 2
; COMPUTE_PGM_RSRC2:TRAP_HANDLER: 0
; COMPUTE_PGM_RSRC2:TGID_X_EN: 1
; COMPUTE_PGM_RSRC2:TGID_Y_EN: 0
; COMPUTE_PGM_RSRC2:TGID_Z_EN: 0
; COMPUTE_PGM_RSRC2:TIDIG_COMP_CNT: 0
; COMPUTE_PGM_RSRC3_GFX90A:ACCUM_OFFSET: 0
; COMPUTE_PGM_RSRC3_GFX90A:TG_SPLIT: 0
	.section	.text._ZN7rocprim17ROCPRIM_400000_NS6detail17trampoline_kernelINS0_14default_configENS1_25partition_config_selectorILNS1_17partition_subalgoE3EtNS0_10empty_typeEbEEZZNS1_14partition_implILS5_3ELb0ES3_jN6thrust23THRUST_200600_302600_NS6detail15normal_iteratorINSA_7pointerItNSA_11hip_rocprim3tagENSA_11use_defaultESG_EEEEPS6_SJ_NS0_5tupleIJPtSJ_EEENSK_IJSJ_SJ_EEES6_PlJ7is_evenItEEEE10hipError_tPvRmT3_T4_T5_T6_T7_T9_mT8_P12ihipStream_tbDpT10_ENKUlT_T0_E_clISt17integral_constantIbLb0EES1A_EEDaS15_S16_EUlS15_E_NS1_11comp_targetILNS1_3genE9ELNS1_11target_archE1100ELNS1_3gpuE3ELNS1_3repE0EEENS1_30default_config_static_selectorELNS0_4arch9wavefront6targetE1EEEvT1_,"axG",@progbits,_ZN7rocprim17ROCPRIM_400000_NS6detail17trampoline_kernelINS0_14default_configENS1_25partition_config_selectorILNS1_17partition_subalgoE3EtNS0_10empty_typeEbEEZZNS1_14partition_implILS5_3ELb0ES3_jN6thrust23THRUST_200600_302600_NS6detail15normal_iteratorINSA_7pointerItNSA_11hip_rocprim3tagENSA_11use_defaultESG_EEEEPS6_SJ_NS0_5tupleIJPtSJ_EEENSK_IJSJ_SJ_EEES6_PlJ7is_evenItEEEE10hipError_tPvRmT3_T4_T5_T6_T7_T9_mT8_P12ihipStream_tbDpT10_ENKUlT_T0_E_clISt17integral_constantIbLb0EES1A_EEDaS15_S16_EUlS15_E_NS1_11comp_targetILNS1_3genE9ELNS1_11target_archE1100ELNS1_3gpuE3ELNS1_3repE0EEENS1_30default_config_static_selectorELNS0_4arch9wavefront6targetE1EEEvT1_,comdat
	.protected	_ZN7rocprim17ROCPRIM_400000_NS6detail17trampoline_kernelINS0_14default_configENS1_25partition_config_selectorILNS1_17partition_subalgoE3EtNS0_10empty_typeEbEEZZNS1_14partition_implILS5_3ELb0ES3_jN6thrust23THRUST_200600_302600_NS6detail15normal_iteratorINSA_7pointerItNSA_11hip_rocprim3tagENSA_11use_defaultESG_EEEEPS6_SJ_NS0_5tupleIJPtSJ_EEENSK_IJSJ_SJ_EEES6_PlJ7is_evenItEEEE10hipError_tPvRmT3_T4_T5_T6_T7_T9_mT8_P12ihipStream_tbDpT10_ENKUlT_T0_E_clISt17integral_constantIbLb0EES1A_EEDaS15_S16_EUlS15_E_NS1_11comp_targetILNS1_3genE9ELNS1_11target_archE1100ELNS1_3gpuE3ELNS1_3repE0EEENS1_30default_config_static_selectorELNS0_4arch9wavefront6targetE1EEEvT1_ ; -- Begin function _ZN7rocprim17ROCPRIM_400000_NS6detail17trampoline_kernelINS0_14default_configENS1_25partition_config_selectorILNS1_17partition_subalgoE3EtNS0_10empty_typeEbEEZZNS1_14partition_implILS5_3ELb0ES3_jN6thrust23THRUST_200600_302600_NS6detail15normal_iteratorINSA_7pointerItNSA_11hip_rocprim3tagENSA_11use_defaultESG_EEEEPS6_SJ_NS0_5tupleIJPtSJ_EEENSK_IJSJ_SJ_EEES6_PlJ7is_evenItEEEE10hipError_tPvRmT3_T4_T5_T6_T7_T9_mT8_P12ihipStream_tbDpT10_ENKUlT_T0_E_clISt17integral_constantIbLb0EES1A_EEDaS15_S16_EUlS15_E_NS1_11comp_targetILNS1_3genE9ELNS1_11target_archE1100ELNS1_3gpuE3ELNS1_3repE0EEENS1_30default_config_static_selectorELNS0_4arch9wavefront6targetE1EEEvT1_
	.globl	_ZN7rocprim17ROCPRIM_400000_NS6detail17trampoline_kernelINS0_14default_configENS1_25partition_config_selectorILNS1_17partition_subalgoE3EtNS0_10empty_typeEbEEZZNS1_14partition_implILS5_3ELb0ES3_jN6thrust23THRUST_200600_302600_NS6detail15normal_iteratorINSA_7pointerItNSA_11hip_rocprim3tagENSA_11use_defaultESG_EEEEPS6_SJ_NS0_5tupleIJPtSJ_EEENSK_IJSJ_SJ_EEES6_PlJ7is_evenItEEEE10hipError_tPvRmT3_T4_T5_T6_T7_T9_mT8_P12ihipStream_tbDpT10_ENKUlT_T0_E_clISt17integral_constantIbLb0EES1A_EEDaS15_S16_EUlS15_E_NS1_11comp_targetILNS1_3genE9ELNS1_11target_archE1100ELNS1_3gpuE3ELNS1_3repE0EEENS1_30default_config_static_selectorELNS0_4arch9wavefront6targetE1EEEvT1_
	.p2align	8
	.type	_ZN7rocprim17ROCPRIM_400000_NS6detail17trampoline_kernelINS0_14default_configENS1_25partition_config_selectorILNS1_17partition_subalgoE3EtNS0_10empty_typeEbEEZZNS1_14partition_implILS5_3ELb0ES3_jN6thrust23THRUST_200600_302600_NS6detail15normal_iteratorINSA_7pointerItNSA_11hip_rocprim3tagENSA_11use_defaultESG_EEEEPS6_SJ_NS0_5tupleIJPtSJ_EEENSK_IJSJ_SJ_EEES6_PlJ7is_evenItEEEE10hipError_tPvRmT3_T4_T5_T6_T7_T9_mT8_P12ihipStream_tbDpT10_ENKUlT_T0_E_clISt17integral_constantIbLb0EES1A_EEDaS15_S16_EUlS15_E_NS1_11comp_targetILNS1_3genE9ELNS1_11target_archE1100ELNS1_3gpuE3ELNS1_3repE0EEENS1_30default_config_static_selectorELNS0_4arch9wavefront6targetE1EEEvT1_,@function
_ZN7rocprim17ROCPRIM_400000_NS6detail17trampoline_kernelINS0_14default_configENS1_25partition_config_selectorILNS1_17partition_subalgoE3EtNS0_10empty_typeEbEEZZNS1_14partition_implILS5_3ELb0ES3_jN6thrust23THRUST_200600_302600_NS6detail15normal_iteratorINSA_7pointerItNSA_11hip_rocprim3tagENSA_11use_defaultESG_EEEEPS6_SJ_NS0_5tupleIJPtSJ_EEENSK_IJSJ_SJ_EEES6_PlJ7is_evenItEEEE10hipError_tPvRmT3_T4_T5_T6_T7_T9_mT8_P12ihipStream_tbDpT10_ENKUlT_T0_E_clISt17integral_constantIbLb0EES1A_EEDaS15_S16_EUlS15_E_NS1_11comp_targetILNS1_3genE9ELNS1_11target_archE1100ELNS1_3gpuE3ELNS1_3repE0EEENS1_30default_config_static_selectorELNS0_4arch9wavefront6targetE1EEEvT1_: ; @_ZN7rocprim17ROCPRIM_400000_NS6detail17trampoline_kernelINS0_14default_configENS1_25partition_config_selectorILNS1_17partition_subalgoE3EtNS0_10empty_typeEbEEZZNS1_14partition_implILS5_3ELb0ES3_jN6thrust23THRUST_200600_302600_NS6detail15normal_iteratorINSA_7pointerItNSA_11hip_rocprim3tagENSA_11use_defaultESG_EEEEPS6_SJ_NS0_5tupleIJPtSJ_EEENSK_IJSJ_SJ_EEES6_PlJ7is_evenItEEEE10hipError_tPvRmT3_T4_T5_T6_T7_T9_mT8_P12ihipStream_tbDpT10_ENKUlT_T0_E_clISt17integral_constantIbLb0EES1A_EEDaS15_S16_EUlS15_E_NS1_11comp_targetILNS1_3genE9ELNS1_11target_archE1100ELNS1_3gpuE3ELNS1_3repE0EEENS1_30default_config_static_selectorELNS0_4arch9wavefront6targetE1EEEvT1_
; %bb.0:
	.section	.rodata,"a",@progbits
	.p2align	6, 0x0
	.amdhsa_kernel _ZN7rocprim17ROCPRIM_400000_NS6detail17trampoline_kernelINS0_14default_configENS1_25partition_config_selectorILNS1_17partition_subalgoE3EtNS0_10empty_typeEbEEZZNS1_14partition_implILS5_3ELb0ES3_jN6thrust23THRUST_200600_302600_NS6detail15normal_iteratorINSA_7pointerItNSA_11hip_rocprim3tagENSA_11use_defaultESG_EEEEPS6_SJ_NS0_5tupleIJPtSJ_EEENSK_IJSJ_SJ_EEES6_PlJ7is_evenItEEEE10hipError_tPvRmT3_T4_T5_T6_T7_T9_mT8_P12ihipStream_tbDpT10_ENKUlT_T0_E_clISt17integral_constantIbLb0EES1A_EEDaS15_S16_EUlS15_E_NS1_11comp_targetILNS1_3genE9ELNS1_11target_archE1100ELNS1_3gpuE3ELNS1_3repE0EEENS1_30default_config_static_selectorELNS0_4arch9wavefront6targetE1EEEvT1_
		.amdhsa_group_segment_fixed_size 0
		.amdhsa_private_segment_fixed_size 0
		.amdhsa_kernarg_size 120
		.amdhsa_user_sgpr_count 2
		.amdhsa_user_sgpr_dispatch_ptr 0
		.amdhsa_user_sgpr_queue_ptr 0
		.amdhsa_user_sgpr_kernarg_segment_ptr 1
		.amdhsa_user_sgpr_dispatch_id 0
		.amdhsa_user_sgpr_kernarg_preload_length 0
		.amdhsa_user_sgpr_kernarg_preload_offset 0
		.amdhsa_user_sgpr_private_segment_size 0
		.amdhsa_uses_dynamic_stack 0
		.amdhsa_enable_private_segment 0
		.amdhsa_system_sgpr_workgroup_id_x 1
		.amdhsa_system_sgpr_workgroup_id_y 0
		.amdhsa_system_sgpr_workgroup_id_z 0
		.amdhsa_system_sgpr_workgroup_info 0
		.amdhsa_system_vgpr_workitem_id 0
		.amdhsa_next_free_vgpr 1
		.amdhsa_next_free_sgpr 0
		.amdhsa_accum_offset 4
		.amdhsa_reserve_vcc 0
		.amdhsa_float_round_mode_32 0
		.amdhsa_float_round_mode_16_64 0
		.amdhsa_float_denorm_mode_32 3
		.amdhsa_float_denorm_mode_16_64 3
		.amdhsa_dx10_clamp 1
		.amdhsa_ieee_mode 1
		.amdhsa_fp16_overflow 0
		.amdhsa_tg_split 0
		.amdhsa_exception_fp_ieee_invalid_op 0
		.amdhsa_exception_fp_denorm_src 0
		.amdhsa_exception_fp_ieee_div_zero 0
		.amdhsa_exception_fp_ieee_overflow 0
		.amdhsa_exception_fp_ieee_underflow 0
		.amdhsa_exception_fp_ieee_inexact 0
		.amdhsa_exception_int_div_zero 0
	.end_amdhsa_kernel
	.section	.text._ZN7rocprim17ROCPRIM_400000_NS6detail17trampoline_kernelINS0_14default_configENS1_25partition_config_selectorILNS1_17partition_subalgoE3EtNS0_10empty_typeEbEEZZNS1_14partition_implILS5_3ELb0ES3_jN6thrust23THRUST_200600_302600_NS6detail15normal_iteratorINSA_7pointerItNSA_11hip_rocprim3tagENSA_11use_defaultESG_EEEEPS6_SJ_NS0_5tupleIJPtSJ_EEENSK_IJSJ_SJ_EEES6_PlJ7is_evenItEEEE10hipError_tPvRmT3_T4_T5_T6_T7_T9_mT8_P12ihipStream_tbDpT10_ENKUlT_T0_E_clISt17integral_constantIbLb0EES1A_EEDaS15_S16_EUlS15_E_NS1_11comp_targetILNS1_3genE9ELNS1_11target_archE1100ELNS1_3gpuE3ELNS1_3repE0EEENS1_30default_config_static_selectorELNS0_4arch9wavefront6targetE1EEEvT1_,"axG",@progbits,_ZN7rocprim17ROCPRIM_400000_NS6detail17trampoline_kernelINS0_14default_configENS1_25partition_config_selectorILNS1_17partition_subalgoE3EtNS0_10empty_typeEbEEZZNS1_14partition_implILS5_3ELb0ES3_jN6thrust23THRUST_200600_302600_NS6detail15normal_iteratorINSA_7pointerItNSA_11hip_rocprim3tagENSA_11use_defaultESG_EEEEPS6_SJ_NS0_5tupleIJPtSJ_EEENSK_IJSJ_SJ_EEES6_PlJ7is_evenItEEEE10hipError_tPvRmT3_T4_T5_T6_T7_T9_mT8_P12ihipStream_tbDpT10_ENKUlT_T0_E_clISt17integral_constantIbLb0EES1A_EEDaS15_S16_EUlS15_E_NS1_11comp_targetILNS1_3genE9ELNS1_11target_archE1100ELNS1_3gpuE3ELNS1_3repE0EEENS1_30default_config_static_selectorELNS0_4arch9wavefront6targetE1EEEvT1_,comdat
.Lfunc_end1162:
	.size	_ZN7rocprim17ROCPRIM_400000_NS6detail17trampoline_kernelINS0_14default_configENS1_25partition_config_selectorILNS1_17partition_subalgoE3EtNS0_10empty_typeEbEEZZNS1_14partition_implILS5_3ELb0ES3_jN6thrust23THRUST_200600_302600_NS6detail15normal_iteratorINSA_7pointerItNSA_11hip_rocprim3tagENSA_11use_defaultESG_EEEEPS6_SJ_NS0_5tupleIJPtSJ_EEENSK_IJSJ_SJ_EEES6_PlJ7is_evenItEEEE10hipError_tPvRmT3_T4_T5_T6_T7_T9_mT8_P12ihipStream_tbDpT10_ENKUlT_T0_E_clISt17integral_constantIbLb0EES1A_EEDaS15_S16_EUlS15_E_NS1_11comp_targetILNS1_3genE9ELNS1_11target_archE1100ELNS1_3gpuE3ELNS1_3repE0EEENS1_30default_config_static_selectorELNS0_4arch9wavefront6targetE1EEEvT1_, .Lfunc_end1162-_ZN7rocprim17ROCPRIM_400000_NS6detail17trampoline_kernelINS0_14default_configENS1_25partition_config_selectorILNS1_17partition_subalgoE3EtNS0_10empty_typeEbEEZZNS1_14partition_implILS5_3ELb0ES3_jN6thrust23THRUST_200600_302600_NS6detail15normal_iteratorINSA_7pointerItNSA_11hip_rocprim3tagENSA_11use_defaultESG_EEEEPS6_SJ_NS0_5tupleIJPtSJ_EEENSK_IJSJ_SJ_EEES6_PlJ7is_evenItEEEE10hipError_tPvRmT3_T4_T5_T6_T7_T9_mT8_P12ihipStream_tbDpT10_ENKUlT_T0_E_clISt17integral_constantIbLb0EES1A_EEDaS15_S16_EUlS15_E_NS1_11comp_targetILNS1_3genE9ELNS1_11target_archE1100ELNS1_3gpuE3ELNS1_3repE0EEENS1_30default_config_static_selectorELNS0_4arch9wavefront6targetE1EEEvT1_
                                        ; -- End function
	.section	.AMDGPU.csdata,"",@progbits
; Kernel info:
; codeLenInByte = 0
; NumSgprs: 6
; NumVgprs: 0
; NumAgprs: 0
; TotalNumVgprs: 0
; ScratchSize: 0
; MemoryBound: 0
; FloatMode: 240
; IeeeMode: 1
; LDSByteSize: 0 bytes/workgroup (compile time only)
; SGPRBlocks: 0
; VGPRBlocks: 0
; NumSGPRsForWavesPerEU: 6
; NumVGPRsForWavesPerEU: 1
; AccumOffset: 4
; Occupancy: 8
; WaveLimiterHint : 0
; COMPUTE_PGM_RSRC2:SCRATCH_EN: 0
; COMPUTE_PGM_RSRC2:USER_SGPR: 2
; COMPUTE_PGM_RSRC2:TRAP_HANDLER: 0
; COMPUTE_PGM_RSRC2:TGID_X_EN: 1
; COMPUTE_PGM_RSRC2:TGID_Y_EN: 0
; COMPUTE_PGM_RSRC2:TGID_Z_EN: 0
; COMPUTE_PGM_RSRC2:TIDIG_COMP_CNT: 0
; COMPUTE_PGM_RSRC3_GFX90A:ACCUM_OFFSET: 0
; COMPUTE_PGM_RSRC3_GFX90A:TG_SPLIT: 0
	.section	.text._ZN7rocprim17ROCPRIM_400000_NS6detail17trampoline_kernelINS0_14default_configENS1_25partition_config_selectorILNS1_17partition_subalgoE3EtNS0_10empty_typeEbEEZZNS1_14partition_implILS5_3ELb0ES3_jN6thrust23THRUST_200600_302600_NS6detail15normal_iteratorINSA_7pointerItNSA_11hip_rocprim3tagENSA_11use_defaultESG_EEEEPS6_SJ_NS0_5tupleIJPtSJ_EEENSK_IJSJ_SJ_EEES6_PlJ7is_evenItEEEE10hipError_tPvRmT3_T4_T5_T6_T7_T9_mT8_P12ihipStream_tbDpT10_ENKUlT_T0_E_clISt17integral_constantIbLb0EES1A_EEDaS15_S16_EUlS15_E_NS1_11comp_targetILNS1_3genE8ELNS1_11target_archE1030ELNS1_3gpuE2ELNS1_3repE0EEENS1_30default_config_static_selectorELNS0_4arch9wavefront6targetE1EEEvT1_,"axG",@progbits,_ZN7rocprim17ROCPRIM_400000_NS6detail17trampoline_kernelINS0_14default_configENS1_25partition_config_selectorILNS1_17partition_subalgoE3EtNS0_10empty_typeEbEEZZNS1_14partition_implILS5_3ELb0ES3_jN6thrust23THRUST_200600_302600_NS6detail15normal_iteratorINSA_7pointerItNSA_11hip_rocprim3tagENSA_11use_defaultESG_EEEEPS6_SJ_NS0_5tupleIJPtSJ_EEENSK_IJSJ_SJ_EEES6_PlJ7is_evenItEEEE10hipError_tPvRmT3_T4_T5_T6_T7_T9_mT8_P12ihipStream_tbDpT10_ENKUlT_T0_E_clISt17integral_constantIbLb0EES1A_EEDaS15_S16_EUlS15_E_NS1_11comp_targetILNS1_3genE8ELNS1_11target_archE1030ELNS1_3gpuE2ELNS1_3repE0EEENS1_30default_config_static_selectorELNS0_4arch9wavefront6targetE1EEEvT1_,comdat
	.protected	_ZN7rocprim17ROCPRIM_400000_NS6detail17trampoline_kernelINS0_14default_configENS1_25partition_config_selectorILNS1_17partition_subalgoE3EtNS0_10empty_typeEbEEZZNS1_14partition_implILS5_3ELb0ES3_jN6thrust23THRUST_200600_302600_NS6detail15normal_iteratorINSA_7pointerItNSA_11hip_rocprim3tagENSA_11use_defaultESG_EEEEPS6_SJ_NS0_5tupleIJPtSJ_EEENSK_IJSJ_SJ_EEES6_PlJ7is_evenItEEEE10hipError_tPvRmT3_T4_T5_T6_T7_T9_mT8_P12ihipStream_tbDpT10_ENKUlT_T0_E_clISt17integral_constantIbLb0EES1A_EEDaS15_S16_EUlS15_E_NS1_11comp_targetILNS1_3genE8ELNS1_11target_archE1030ELNS1_3gpuE2ELNS1_3repE0EEENS1_30default_config_static_selectorELNS0_4arch9wavefront6targetE1EEEvT1_ ; -- Begin function _ZN7rocprim17ROCPRIM_400000_NS6detail17trampoline_kernelINS0_14default_configENS1_25partition_config_selectorILNS1_17partition_subalgoE3EtNS0_10empty_typeEbEEZZNS1_14partition_implILS5_3ELb0ES3_jN6thrust23THRUST_200600_302600_NS6detail15normal_iteratorINSA_7pointerItNSA_11hip_rocprim3tagENSA_11use_defaultESG_EEEEPS6_SJ_NS0_5tupleIJPtSJ_EEENSK_IJSJ_SJ_EEES6_PlJ7is_evenItEEEE10hipError_tPvRmT3_T4_T5_T6_T7_T9_mT8_P12ihipStream_tbDpT10_ENKUlT_T0_E_clISt17integral_constantIbLb0EES1A_EEDaS15_S16_EUlS15_E_NS1_11comp_targetILNS1_3genE8ELNS1_11target_archE1030ELNS1_3gpuE2ELNS1_3repE0EEENS1_30default_config_static_selectorELNS0_4arch9wavefront6targetE1EEEvT1_
	.globl	_ZN7rocprim17ROCPRIM_400000_NS6detail17trampoline_kernelINS0_14default_configENS1_25partition_config_selectorILNS1_17partition_subalgoE3EtNS0_10empty_typeEbEEZZNS1_14partition_implILS5_3ELb0ES3_jN6thrust23THRUST_200600_302600_NS6detail15normal_iteratorINSA_7pointerItNSA_11hip_rocprim3tagENSA_11use_defaultESG_EEEEPS6_SJ_NS0_5tupleIJPtSJ_EEENSK_IJSJ_SJ_EEES6_PlJ7is_evenItEEEE10hipError_tPvRmT3_T4_T5_T6_T7_T9_mT8_P12ihipStream_tbDpT10_ENKUlT_T0_E_clISt17integral_constantIbLb0EES1A_EEDaS15_S16_EUlS15_E_NS1_11comp_targetILNS1_3genE8ELNS1_11target_archE1030ELNS1_3gpuE2ELNS1_3repE0EEENS1_30default_config_static_selectorELNS0_4arch9wavefront6targetE1EEEvT1_
	.p2align	8
	.type	_ZN7rocprim17ROCPRIM_400000_NS6detail17trampoline_kernelINS0_14default_configENS1_25partition_config_selectorILNS1_17partition_subalgoE3EtNS0_10empty_typeEbEEZZNS1_14partition_implILS5_3ELb0ES3_jN6thrust23THRUST_200600_302600_NS6detail15normal_iteratorINSA_7pointerItNSA_11hip_rocprim3tagENSA_11use_defaultESG_EEEEPS6_SJ_NS0_5tupleIJPtSJ_EEENSK_IJSJ_SJ_EEES6_PlJ7is_evenItEEEE10hipError_tPvRmT3_T4_T5_T6_T7_T9_mT8_P12ihipStream_tbDpT10_ENKUlT_T0_E_clISt17integral_constantIbLb0EES1A_EEDaS15_S16_EUlS15_E_NS1_11comp_targetILNS1_3genE8ELNS1_11target_archE1030ELNS1_3gpuE2ELNS1_3repE0EEENS1_30default_config_static_selectorELNS0_4arch9wavefront6targetE1EEEvT1_,@function
_ZN7rocprim17ROCPRIM_400000_NS6detail17trampoline_kernelINS0_14default_configENS1_25partition_config_selectorILNS1_17partition_subalgoE3EtNS0_10empty_typeEbEEZZNS1_14partition_implILS5_3ELb0ES3_jN6thrust23THRUST_200600_302600_NS6detail15normal_iteratorINSA_7pointerItNSA_11hip_rocprim3tagENSA_11use_defaultESG_EEEEPS6_SJ_NS0_5tupleIJPtSJ_EEENSK_IJSJ_SJ_EEES6_PlJ7is_evenItEEEE10hipError_tPvRmT3_T4_T5_T6_T7_T9_mT8_P12ihipStream_tbDpT10_ENKUlT_T0_E_clISt17integral_constantIbLb0EES1A_EEDaS15_S16_EUlS15_E_NS1_11comp_targetILNS1_3genE8ELNS1_11target_archE1030ELNS1_3gpuE2ELNS1_3repE0EEENS1_30default_config_static_selectorELNS0_4arch9wavefront6targetE1EEEvT1_: ; @_ZN7rocprim17ROCPRIM_400000_NS6detail17trampoline_kernelINS0_14default_configENS1_25partition_config_selectorILNS1_17partition_subalgoE3EtNS0_10empty_typeEbEEZZNS1_14partition_implILS5_3ELb0ES3_jN6thrust23THRUST_200600_302600_NS6detail15normal_iteratorINSA_7pointerItNSA_11hip_rocprim3tagENSA_11use_defaultESG_EEEEPS6_SJ_NS0_5tupleIJPtSJ_EEENSK_IJSJ_SJ_EEES6_PlJ7is_evenItEEEE10hipError_tPvRmT3_T4_T5_T6_T7_T9_mT8_P12ihipStream_tbDpT10_ENKUlT_T0_E_clISt17integral_constantIbLb0EES1A_EEDaS15_S16_EUlS15_E_NS1_11comp_targetILNS1_3genE8ELNS1_11target_archE1030ELNS1_3gpuE2ELNS1_3repE0EEENS1_30default_config_static_selectorELNS0_4arch9wavefront6targetE1EEEvT1_
; %bb.0:
	.section	.rodata,"a",@progbits
	.p2align	6, 0x0
	.amdhsa_kernel _ZN7rocprim17ROCPRIM_400000_NS6detail17trampoline_kernelINS0_14default_configENS1_25partition_config_selectorILNS1_17partition_subalgoE3EtNS0_10empty_typeEbEEZZNS1_14partition_implILS5_3ELb0ES3_jN6thrust23THRUST_200600_302600_NS6detail15normal_iteratorINSA_7pointerItNSA_11hip_rocprim3tagENSA_11use_defaultESG_EEEEPS6_SJ_NS0_5tupleIJPtSJ_EEENSK_IJSJ_SJ_EEES6_PlJ7is_evenItEEEE10hipError_tPvRmT3_T4_T5_T6_T7_T9_mT8_P12ihipStream_tbDpT10_ENKUlT_T0_E_clISt17integral_constantIbLb0EES1A_EEDaS15_S16_EUlS15_E_NS1_11comp_targetILNS1_3genE8ELNS1_11target_archE1030ELNS1_3gpuE2ELNS1_3repE0EEENS1_30default_config_static_selectorELNS0_4arch9wavefront6targetE1EEEvT1_
		.amdhsa_group_segment_fixed_size 0
		.amdhsa_private_segment_fixed_size 0
		.amdhsa_kernarg_size 120
		.amdhsa_user_sgpr_count 2
		.amdhsa_user_sgpr_dispatch_ptr 0
		.amdhsa_user_sgpr_queue_ptr 0
		.amdhsa_user_sgpr_kernarg_segment_ptr 1
		.amdhsa_user_sgpr_dispatch_id 0
		.amdhsa_user_sgpr_kernarg_preload_length 0
		.amdhsa_user_sgpr_kernarg_preload_offset 0
		.amdhsa_user_sgpr_private_segment_size 0
		.amdhsa_uses_dynamic_stack 0
		.amdhsa_enable_private_segment 0
		.amdhsa_system_sgpr_workgroup_id_x 1
		.amdhsa_system_sgpr_workgroup_id_y 0
		.amdhsa_system_sgpr_workgroup_id_z 0
		.amdhsa_system_sgpr_workgroup_info 0
		.amdhsa_system_vgpr_workitem_id 0
		.amdhsa_next_free_vgpr 1
		.amdhsa_next_free_sgpr 0
		.amdhsa_accum_offset 4
		.amdhsa_reserve_vcc 0
		.amdhsa_float_round_mode_32 0
		.amdhsa_float_round_mode_16_64 0
		.amdhsa_float_denorm_mode_32 3
		.amdhsa_float_denorm_mode_16_64 3
		.amdhsa_dx10_clamp 1
		.amdhsa_ieee_mode 1
		.amdhsa_fp16_overflow 0
		.amdhsa_tg_split 0
		.amdhsa_exception_fp_ieee_invalid_op 0
		.amdhsa_exception_fp_denorm_src 0
		.amdhsa_exception_fp_ieee_div_zero 0
		.amdhsa_exception_fp_ieee_overflow 0
		.amdhsa_exception_fp_ieee_underflow 0
		.amdhsa_exception_fp_ieee_inexact 0
		.amdhsa_exception_int_div_zero 0
	.end_amdhsa_kernel
	.section	.text._ZN7rocprim17ROCPRIM_400000_NS6detail17trampoline_kernelINS0_14default_configENS1_25partition_config_selectorILNS1_17partition_subalgoE3EtNS0_10empty_typeEbEEZZNS1_14partition_implILS5_3ELb0ES3_jN6thrust23THRUST_200600_302600_NS6detail15normal_iteratorINSA_7pointerItNSA_11hip_rocprim3tagENSA_11use_defaultESG_EEEEPS6_SJ_NS0_5tupleIJPtSJ_EEENSK_IJSJ_SJ_EEES6_PlJ7is_evenItEEEE10hipError_tPvRmT3_T4_T5_T6_T7_T9_mT8_P12ihipStream_tbDpT10_ENKUlT_T0_E_clISt17integral_constantIbLb0EES1A_EEDaS15_S16_EUlS15_E_NS1_11comp_targetILNS1_3genE8ELNS1_11target_archE1030ELNS1_3gpuE2ELNS1_3repE0EEENS1_30default_config_static_selectorELNS0_4arch9wavefront6targetE1EEEvT1_,"axG",@progbits,_ZN7rocprim17ROCPRIM_400000_NS6detail17trampoline_kernelINS0_14default_configENS1_25partition_config_selectorILNS1_17partition_subalgoE3EtNS0_10empty_typeEbEEZZNS1_14partition_implILS5_3ELb0ES3_jN6thrust23THRUST_200600_302600_NS6detail15normal_iteratorINSA_7pointerItNSA_11hip_rocprim3tagENSA_11use_defaultESG_EEEEPS6_SJ_NS0_5tupleIJPtSJ_EEENSK_IJSJ_SJ_EEES6_PlJ7is_evenItEEEE10hipError_tPvRmT3_T4_T5_T6_T7_T9_mT8_P12ihipStream_tbDpT10_ENKUlT_T0_E_clISt17integral_constantIbLb0EES1A_EEDaS15_S16_EUlS15_E_NS1_11comp_targetILNS1_3genE8ELNS1_11target_archE1030ELNS1_3gpuE2ELNS1_3repE0EEENS1_30default_config_static_selectorELNS0_4arch9wavefront6targetE1EEEvT1_,comdat
.Lfunc_end1163:
	.size	_ZN7rocprim17ROCPRIM_400000_NS6detail17trampoline_kernelINS0_14default_configENS1_25partition_config_selectorILNS1_17partition_subalgoE3EtNS0_10empty_typeEbEEZZNS1_14partition_implILS5_3ELb0ES3_jN6thrust23THRUST_200600_302600_NS6detail15normal_iteratorINSA_7pointerItNSA_11hip_rocprim3tagENSA_11use_defaultESG_EEEEPS6_SJ_NS0_5tupleIJPtSJ_EEENSK_IJSJ_SJ_EEES6_PlJ7is_evenItEEEE10hipError_tPvRmT3_T4_T5_T6_T7_T9_mT8_P12ihipStream_tbDpT10_ENKUlT_T0_E_clISt17integral_constantIbLb0EES1A_EEDaS15_S16_EUlS15_E_NS1_11comp_targetILNS1_3genE8ELNS1_11target_archE1030ELNS1_3gpuE2ELNS1_3repE0EEENS1_30default_config_static_selectorELNS0_4arch9wavefront6targetE1EEEvT1_, .Lfunc_end1163-_ZN7rocprim17ROCPRIM_400000_NS6detail17trampoline_kernelINS0_14default_configENS1_25partition_config_selectorILNS1_17partition_subalgoE3EtNS0_10empty_typeEbEEZZNS1_14partition_implILS5_3ELb0ES3_jN6thrust23THRUST_200600_302600_NS6detail15normal_iteratorINSA_7pointerItNSA_11hip_rocprim3tagENSA_11use_defaultESG_EEEEPS6_SJ_NS0_5tupleIJPtSJ_EEENSK_IJSJ_SJ_EEES6_PlJ7is_evenItEEEE10hipError_tPvRmT3_T4_T5_T6_T7_T9_mT8_P12ihipStream_tbDpT10_ENKUlT_T0_E_clISt17integral_constantIbLb0EES1A_EEDaS15_S16_EUlS15_E_NS1_11comp_targetILNS1_3genE8ELNS1_11target_archE1030ELNS1_3gpuE2ELNS1_3repE0EEENS1_30default_config_static_selectorELNS0_4arch9wavefront6targetE1EEEvT1_
                                        ; -- End function
	.section	.AMDGPU.csdata,"",@progbits
; Kernel info:
; codeLenInByte = 0
; NumSgprs: 6
; NumVgprs: 0
; NumAgprs: 0
; TotalNumVgprs: 0
; ScratchSize: 0
; MemoryBound: 0
; FloatMode: 240
; IeeeMode: 1
; LDSByteSize: 0 bytes/workgroup (compile time only)
; SGPRBlocks: 0
; VGPRBlocks: 0
; NumSGPRsForWavesPerEU: 6
; NumVGPRsForWavesPerEU: 1
; AccumOffset: 4
; Occupancy: 8
; WaveLimiterHint : 0
; COMPUTE_PGM_RSRC2:SCRATCH_EN: 0
; COMPUTE_PGM_RSRC2:USER_SGPR: 2
; COMPUTE_PGM_RSRC2:TRAP_HANDLER: 0
; COMPUTE_PGM_RSRC2:TGID_X_EN: 1
; COMPUTE_PGM_RSRC2:TGID_Y_EN: 0
; COMPUTE_PGM_RSRC2:TGID_Z_EN: 0
; COMPUTE_PGM_RSRC2:TIDIG_COMP_CNT: 0
; COMPUTE_PGM_RSRC3_GFX90A:ACCUM_OFFSET: 0
; COMPUTE_PGM_RSRC3_GFX90A:TG_SPLIT: 0
	.section	.text._ZN7rocprim17ROCPRIM_400000_NS6detail17trampoline_kernelINS0_14default_configENS1_25partition_config_selectorILNS1_17partition_subalgoE3EtNS0_10empty_typeEbEEZZNS1_14partition_implILS5_3ELb0ES3_jN6thrust23THRUST_200600_302600_NS6detail15normal_iteratorINSA_7pointerItNSA_11hip_rocprim3tagENSA_11use_defaultESG_EEEEPS6_SJ_NS0_5tupleIJPtSJ_EEENSK_IJSJ_SJ_EEES6_PlJ7is_evenItEEEE10hipError_tPvRmT3_T4_T5_T6_T7_T9_mT8_P12ihipStream_tbDpT10_ENKUlT_T0_E_clISt17integral_constantIbLb1EES1A_EEDaS15_S16_EUlS15_E_NS1_11comp_targetILNS1_3genE0ELNS1_11target_archE4294967295ELNS1_3gpuE0ELNS1_3repE0EEENS1_30default_config_static_selectorELNS0_4arch9wavefront6targetE1EEEvT1_,"axG",@progbits,_ZN7rocprim17ROCPRIM_400000_NS6detail17trampoline_kernelINS0_14default_configENS1_25partition_config_selectorILNS1_17partition_subalgoE3EtNS0_10empty_typeEbEEZZNS1_14partition_implILS5_3ELb0ES3_jN6thrust23THRUST_200600_302600_NS6detail15normal_iteratorINSA_7pointerItNSA_11hip_rocprim3tagENSA_11use_defaultESG_EEEEPS6_SJ_NS0_5tupleIJPtSJ_EEENSK_IJSJ_SJ_EEES6_PlJ7is_evenItEEEE10hipError_tPvRmT3_T4_T5_T6_T7_T9_mT8_P12ihipStream_tbDpT10_ENKUlT_T0_E_clISt17integral_constantIbLb1EES1A_EEDaS15_S16_EUlS15_E_NS1_11comp_targetILNS1_3genE0ELNS1_11target_archE4294967295ELNS1_3gpuE0ELNS1_3repE0EEENS1_30default_config_static_selectorELNS0_4arch9wavefront6targetE1EEEvT1_,comdat
	.protected	_ZN7rocprim17ROCPRIM_400000_NS6detail17trampoline_kernelINS0_14default_configENS1_25partition_config_selectorILNS1_17partition_subalgoE3EtNS0_10empty_typeEbEEZZNS1_14partition_implILS5_3ELb0ES3_jN6thrust23THRUST_200600_302600_NS6detail15normal_iteratorINSA_7pointerItNSA_11hip_rocprim3tagENSA_11use_defaultESG_EEEEPS6_SJ_NS0_5tupleIJPtSJ_EEENSK_IJSJ_SJ_EEES6_PlJ7is_evenItEEEE10hipError_tPvRmT3_T4_T5_T6_T7_T9_mT8_P12ihipStream_tbDpT10_ENKUlT_T0_E_clISt17integral_constantIbLb1EES1A_EEDaS15_S16_EUlS15_E_NS1_11comp_targetILNS1_3genE0ELNS1_11target_archE4294967295ELNS1_3gpuE0ELNS1_3repE0EEENS1_30default_config_static_selectorELNS0_4arch9wavefront6targetE1EEEvT1_ ; -- Begin function _ZN7rocprim17ROCPRIM_400000_NS6detail17trampoline_kernelINS0_14default_configENS1_25partition_config_selectorILNS1_17partition_subalgoE3EtNS0_10empty_typeEbEEZZNS1_14partition_implILS5_3ELb0ES3_jN6thrust23THRUST_200600_302600_NS6detail15normal_iteratorINSA_7pointerItNSA_11hip_rocprim3tagENSA_11use_defaultESG_EEEEPS6_SJ_NS0_5tupleIJPtSJ_EEENSK_IJSJ_SJ_EEES6_PlJ7is_evenItEEEE10hipError_tPvRmT3_T4_T5_T6_T7_T9_mT8_P12ihipStream_tbDpT10_ENKUlT_T0_E_clISt17integral_constantIbLb1EES1A_EEDaS15_S16_EUlS15_E_NS1_11comp_targetILNS1_3genE0ELNS1_11target_archE4294967295ELNS1_3gpuE0ELNS1_3repE0EEENS1_30default_config_static_selectorELNS0_4arch9wavefront6targetE1EEEvT1_
	.globl	_ZN7rocprim17ROCPRIM_400000_NS6detail17trampoline_kernelINS0_14default_configENS1_25partition_config_selectorILNS1_17partition_subalgoE3EtNS0_10empty_typeEbEEZZNS1_14partition_implILS5_3ELb0ES3_jN6thrust23THRUST_200600_302600_NS6detail15normal_iteratorINSA_7pointerItNSA_11hip_rocprim3tagENSA_11use_defaultESG_EEEEPS6_SJ_NS0_5tupleIJPtSJ_EEENSK_IJSJ_SJ_EEES6_PlJ7is_evenItEEEE10hipError_tPvRmT3_T4_T5_T6_T7_T9_mT8_P12ihipStream_tbDpT10_ENKUlT_T0_E_clISt17integral_constantIbLb1EES1A_EEDaS15_S16_EUlS15_E_NS1_11comp_targetILNS1_3genE0ELNS1_11target_archE4294967295ELNS1_3gpuE0ELNS1_3repE0EEENS1_30default_config_static_selectorELNS0_4arch9wavefront6targetE1EEEvT1_
	.p2align	8
	.type	_ZN7rocprim17ROCPRIM_400000_NS6detail17trampoline_kernelINS0_14default_configENS1_25partition_config_selectorILNS1_17partition_subalgoE3EtNS0_10empty_typeEbEEZZNS1_14partition_implILS5_3ELb0ES3_jN6thrust23THRUST_200600_302600_NS6detail15normal_iteratorINSA_7pointerItNSA_11hip_rocprim3tagENSA_11use_defaultESG_EEEEPS6_SJ_NS0_5tupleIJPtSJ_EEENSK_IJSJ_SJ_EEES6_PlJ7is_evenItEEEE10hipError_tPvRmT3_T4_T5_T6_T7_T9_mT8_P12ihipStream_tbDpT10_ENKUlT_T0_E_clISt17integral_constantIbLb1EES1A_EEDaS15_S16_EUlS15_E_NS1_11comp_targetILNS1_3genE0ELNS1_11target_archE4294967295ELNS1_3gpuE0ELNS1_3repE0EEENS1_30default_config_static_selectorELNS0_4arch9wavefront6targetE1EEEvT1_,@function
_ZN7rocprim17ROCPRIM_400000_NS6detail17trampoline_kernelINS0_14default_configENS1_25partition_config_selectorILNS1_17partition_subalgoE3EtNS0_10empty_typeEbEEZZNS1_14partition_implILS5_3ELb0ES3_jN6thrust23THRUST_200600_302600_NS6detail15normal_iteratorINSA_7pointerItNSA_11hip_rocprim3tagENSA_11use_defaultESG_EEEEPS6_SJ_NS0_5tupleIJPtSJ_EEENSK_IJSJ_SJ_EEES6_PlJ7is_evenItEEEE10hipError_tPvRmT3_T4_T5_T6_T7_T9_mT8_P12ihipStream_tbDpT10_ENKUlT_T0_E_clISt17integral_constantIbLb1EES1A_EEDaS15_S16_EUlS15_E_NS1_11comp_targetILNS1_3genE0ELNS1_11target_archE4294967295ELNS1_3gpuE0ELNS1_3repE0EEENS1_30default_config_static_selectorELNS0_4arch9wavefront6targetE1EEEvT1_: ; @_ZN7rocprim17ROCPRIM_400000_NS6detail17trampoline_kernelINS0_14default_configENS1_25partition_config_selectorILNS1_17partition_subalgoE3EtNS0_10empty_typeEbEEZZNS1_14partition_implILS5_3ELb0ES3_jN6thrust23THRUST_200600_302600_NS6detail15normal_iteratorINSA_7pointerItNSA_11hip_rocprim3tagENSA_11use_defaultESG_EEEEPS6_SJ_NS0_5tupleIJPtSJ_EEENSK_IJSJ_SJ_EEES6_PlJ7is_evenItEEEE10hipError_tPvRmT3_T4_T5_T6_T7_T9_mT8_P12ihipStream_tbDpT10_ENKUlT_T0_E_clISt17integral_constantIbLb1EES1A_EEDaS15_S16_EUlS15_E_NS1_11comp_targetILNS1_3genE0ELNS1_11target_archE4294967295ELNS1_3gpuE0ELNS1_3repE0EEENS1_30default_config_static_selectorELNS0_4arch9wavefront6targetE1EEEvT1_
; %bb.0:
	.section	.rodata,"a",@progbits
	.p2align	6, 0x0
	.amdhsa_kernel _ZN7rocprim17ROCPRIM_400000_NS6detail17trampoline_kernelINS0_14default_configENS1_25partition_config_selectorILNS1_17partition_subalgoE3EtNS0_10empty_typeEbEEZZNS1_14partition_implILS5_3ELb0ES3_jN6thrust23THRUST_200600_302600_NS6detail15normal_iteratorINSA_7pointerItNSA_11hip_rocprim3tagENSA_11use_defaultESG_EEEEPS6_SJ_NS0_5tupleIJPtSJ_EEENSK_IJSJ_SJ_EEES6_PlJ7is_evenItEEEE10hipError_tPvRmT3_T4_T5_T6_T7_T9_mT8_P12ihipStream_tbDpT10_ENKUlT_T0_E_clISt17integral_constantIbLb1EES1A_EEDaS15_S16_EUlS15_E_NS1_11comp_targetILNS1_3genE0ELNS1_11target_archE4294967295ELNS1_3gpuE0ELNS1_3repE0EEENS1_30default_config_static_selectorELNS0_4arch9wavefront6targetE1EEEvT1_
		.amdhsa_group_segment_fixed_size 0
		.amdhsa_private_segment_fixed_size 0
		.amdhsa_kernarg_size 136
		.amdhsa_user_sgpr_count 2
		.amdhsa_user_sgpr_dispatch_ptr 0
		.amdhsa_user_sgpr_queue_ptr 0
		.amdhsa_user_sgpr_kernarg_segment_ptr 1
		.amdhsa_user_sgpr_dispatch_id 0
		.amdhsa_user_sgpr_kernarg_preload_length 0
		.amdhsa_user_sgpr_kernarg_preload_offset 0
		.amdhsa_user_sgpr_private_segment_size 0
		.amdhsa_uses_dynamic_stack 0
		.amdhsa_enable_private_segment 0
		.amdhsa_system_sgpr_workgroup_id_x 1
		.amdhsa_system_sgpr_workgroup_id_y 0
		.amdhsa_system_sgpr_workgroup_id_z 0
		.amdhsa_system_sgpr_workgroup_info 0
		.amdhsa_system_vgpr_workitem_id 0
		.amdhsa_next_free_vgpr 1
		.amdhsa_next_free_sgpr 0
		.amdhsa_accum_offset 4
		.amdhsa_reserve_vcc 0
		.amdhsa_float_round_mode_32 0
		.amdhsa_float_round_mode_16_64 0
		.amdhsa_float_denorm_mode_32 3
		.amdhsa_float_denorm_mode_16_64 3
		.amdhsa_dx10_clamp 1
		.amdhsa_ieee_mode 1
		.amdhsa_fp16_overflow 0
		.amdhsa_tg_split 0
		.amdhsa_exception_fp_ieee_invalid_op 0
		.amdhsa_exception_fp_denorm_src 0
		.amdhsa_exception_fp_ieee_div_zero 0
		.amdhsa_exception_fp_ieee_overflow 0
		.amdhsa_exception_fp_ieee_underflow 0
		.amdhsa_exception_fp_ieee_inexact 0
		.amdhsa_exception_int_div_zero 0
	.end_amdhsa_kernel
	.section	.text._ZN7rocprim17ROCPRIM_400000_NS6detail17trampoline_kernelINS0_14default_configENS1_25partition_config_selectorILNS1_17partition_subalgoE3EtNS0_10empty_typeEbEEZZNS1_14partition_implILS5_3ELb0ES3_jN6thrust23THRUST_200600_302600_NS6detail15normal_iteratorINSA_7pointerItNSA_11hip_rocprim3tagENSA_11use_defaultESG_EEEEPS6_SJ_NS0_5tupleIJPtSJ_EEENSK_IJSJ_SJ_EEES6_PlJ7is_evenItEEEE10hipError_tPvRmT3_T4_T5_T6_T7_T9_mT8_P12ihipStream_tbDpT10_ENKUlT_T0_E_clISt17integral_constantIbLb1EES1A_EEDaS15_S16_EUlS15_E_NS1_11comp_targetILNS1_3genE0ELNS1_11target_archE4294967295ELNS1_3gpuE0ELNS1_3repE0EEENS1_30default_config_static_selectorELNS0_4arch9wavefront6targetE1EEEvT1_,"axG",@progbits,_ZN7rocprim17ROCPRIM_400000_NS6detail17trampoline_kernelINS0_14default_configENS1_25partition_config_selectorILNS1_17partition_subalgoE3EtNS0_10empty_typeEbEEZZNS1_14partition_implILS5_3ELb0ES3_jN6thrust23THRUST_200600_302600_NS6detail15normal_iteratorINSA_7pointerItNSA_11hip_rocprim3tagENSA_11use_defaultESG_EEEEPS6_SJ_NS0_5tupleIJPtSJ_EEENSK_IJSJ_SJ_EEES6_PlJ7is_evenItEEEE10hipError_tPvRmT3_T4_T5_T6_T7_T9_mT8_P12ihipStream_tbDpT10_ENKUlT_T0_E_clISt17integral_constantIbLb1EES1A_EEDaS15_S16_EUlS15_E_NS1_11comp_targetILNS1_3genE0ELNS1_11target_archE4294967295ELNS1_3gpuE0ELNS1_3repE0EEENS1_30default_config_static_selectorELNS0_4arch9wavefront6targetE1EEEvT1_,comdat
.Lfunc_end1164:
	.size	_ZN7rocprim17ROCPRIM_400000_NS6detail17trampoline_kernelINS0_14default_configENS1_25partition_config_selectorILNS1_17partition_subalgoE3EtNS0_10empty_typeEbEEZZNS1_14partition_implILS5_3ELb0ES3_jN6thrust23THRUST_200600_302600_NS6detail15normal_iteratorINSA_7pointerItNSA_11hip_rocprim3tagENSA_11use_defaultESG_EEEEPS6_SJ_NS0_5tupleIJPtSJ_EEENSK_IJSJ_SJ_EEES6_PlJ7is_evenItEEEE10hipError_tPvRmT3_T4_T5_T6_T7_T9_mT8_P12ihipStream_tbDpT10_ENKUlT_T0_E_clISt17integral_constantIbLb1EES1A_EEDaS15_S16_EUlS15_E_NS1_11comp_targetILNS1_3genE0ELNS1_11target_archE4294967295ELNS1_3gpuE0ELNS1_3repE0EEENS1_30default_config_static_selectorELNS0_4arch9wavefront6targetE1EEEvT1_, .Lfunc_end1164-_ZN7rocprim17ROCPRIM_400000_NS6detail17trampoline_kernelINS0_14default_configENS1_25partition_config_selectorILNS1_17partition_subalgoE3EtNS0_10empty_typeEbEEZZNS1_14partition_implILS5_3ELb0ES3_jN6thrust23THRUST_200600_302600_NS6detail15normal_iteratorINSA_7pointerItNSA_11hip_rocprim3tagENSA_11use_defaultESG_EEEEPS6_SJ_NS0_5tupleIJPtSJ_EEENSK_IJSJ_SJ_EEES6_PlJ7is_evenItEEEE10hipError_tPvRmT3_T4_T5_T6_T7_T9_mT8_P12ihipStream_tbDpT10_ENKUlT_T0_E_clISt17integral_constantIbLb1EES1A_EEDaS15_S16_EUlS15_E_NS1_11comp_targetILNS1_3genE0ELNS1_11target_archE4294967295ELNS1_3gpuE0ELNS1_3repE0EEENS1_30default_config_static_selectorELNS0_4arch9wavefront6targetE1EEEvT1_
                                        ; -- End function
	.section	.AMDGPU.csdata,"",@progbits
; Kernel info:
; codeLenInByte = 0
; NumSgprs: 6
; NumVgprs: 0
; NumAgprs: 0
; TotalNumVgprs: 0
; ScratchSize: 0
; MemoryBound: 0
; FloatMode: 240
; IeeeMode: 1
; LDSByteSize: 0 bytes/workgroup (compile time only)
; SGPRBlocks: 0
; VGPRBlocks: 0
; NumSGPRsForWavesPerEU: 6
; NumVGPRsForWavesPerEU: 1
; AccumOffset: 4
; Occupancy: 8
; WaveLimiterHint : 0
; COMPUTE_PGM_RSRC2:SCRATCH_EN: 0
; COMPUTE_PGM_RSRC2:USER_SGPR: 2
; COMPUTE_PGM_RSRC2:TRAP_HANDLER: 0
; COMPUTE_PGM_RSRC2:TGID_X_EN: 1
; COMPUTE_PGM_RSRC2:TGID_Y_EN: 0
; COMPUTE_PGM_RSRC2:TGID_Z_EN: 0
; COMPUTE_PGM_RSRC2:TIDIG_COMP_CNT: 0
; COMPUTE_PGM_RSRC3_GFX90A:ACCUM_OFFSET: 0
; COMPUTE_PGM_RSRC3_GFX90A:TG_SPLIT: 0
	.section	.text._ZN7rocprim17ROCPRIM_400000_NS6detail17trampoline_kernelINS0_14default_configENS1_25partition_config_selectorILNS1_17partition_subalgoE3EtNS0_10empty_typeEbEEZZNS1_14partition_implILS5_3ELb0ES3_jN6thrust23THRUST_200600_302600_NS6detail15normal_iteratorINSA_7pointerItNSA_11hip_rocprim3tagENSA_11use_defaultESG_EEEEPS6_SJ_NS0_5tupleIJPtSJ_EEENSK_IJSJ_SJ_EEES6_PlJ7is_evenItEEEE10hipError_tPvRmT3_T4_T5_T6_T7_T9_mT8_P12ihipStream_tbDpT10_ENKUlT_T0_E_clISt17integral_constantIbLb1EES1A_EEDaS15_S16_EUlS15_E_NS1_11comp_targetILNS1_3genE5ELNS1_11target_archE942ELNS1_3gpuE9ELNS1_3repE0EEENS1_30default_config_static_selectorELNS0_4arch9wavefront6targetE1EEEvT1_,"axG",@progbits,_ZN7rocprim17ROCPRIM_400000_NS6detail17trampoline_kernelINS0_14default_configENS1_25partition_config_selectorILNS1_17partition_subalgoE3EtNS0_10empty_typeEbEEZZNS1_14partition_implILS5_3ELb0ES3_jN6thrust23THRUST_200600_302600_NS6detail15normal_iteratorINSA_7pointerItNSA_11hip_rocprim3tagENSA_11use_defaultESG_EEEEPS6_SJ_NS0_5tupleIJPtSJ_EEENSK_IJSJ_SJ_EEES6_PlJ7is_evenItEEEE10hipError_tPvRmT3_T4_T5_T6_T7_T9_mT8_P12ihipStream_tbDpT10_ENKUlT_T0_E_clISt17integral_constantIbLb1EES1A_EEDaS15_S16_EUlS15_E_NS1_11comp_targetILNS1_3genE5ELNS1_11target_archE942ELNS1_3gpuE9ELNS1_3repE0EEENS1_30default_config_static_selectorELNS0_4arch9wavefront6targetE1EEEvT1_,comdat
	.protected	_ZN7rocprim17ROCPRIM_400000_NS6detail17trampoline_kernelINS0_14default_configENS1_25partition_config_selectorILNS1_17partition_subalgoE3EtNS0_10empty_typeEbEEZZNS1_14partition_implILS5_3ELb0ES3_jN6thrust23THRUST_200600_302600_NS6detail15normal_iteratorINSA_7pointerItNSA_11hip_rocprim3tagENSA_11use_defaultESG_EEEEPS6_SJ_NS0_5tupleIJPtSJ_EEENSK_IJSJ_SJ_EEES6_PlJ7is_evenItEEEE10hipError_tPvRmT3_T4_T5_T6_T7_T9_mT8_P12ihipStream_tbDpT10_ENKUlT_T0_E_clISt17integral_constantIbLb1EES1A_EEDaS15_S16_EUlS15_E_NS1_11comp_targetILNS1_3genE5ELNS1_11target_archE942ELNS1_3gpuE9ELNS1_3repE0EEENS1_30default_config_static_selectorELNS0_4arch9wavefront6targetE1EEEvT1_ ; -- Begin function _ZN7rocprim17ROCPRIM_400000_NS6detail17trampoline_kernelINS0_14default_configENS1_25partition_config_selectorILNS1_17partition_subalgoE3EtNS0_10empty_typeEbEEZZNS1_14partition_implILS5_3ELb0ES3_jN6thrust23THRUST_200600_302600_NS6detail15normal_iteratorINSA_7pointerItNSA_11hip_rocprim3tagENSA_11use_defaultESG_EEEEPS6_SJ_NS0_5tupleIJPtSJ_EEENSK_IJSJ_SJ_EEES6_PlJ7is_evenItEEEE10hipError_tPvRmT3_T4_T5_T6_T7_T9_mT8_P12ihipStream_tbDpT10_ENKUlT_T0_E_clISt17integral_constantIbLb1EES1A_EEDaS15_S16_EUlS15_E_NS1_11comp_targetILNS1_3genE5ELNS1_11target_archE942ELNS1_3gpuE9ELNS1_3repE0EEENS1_30default_config_static_selectorELNS0_4arch9wavefront6targetE1EEEvT1_
	.globl	_ZN7rocprim17ROCPRIM_400000_NS6detail17trampoline_kernelINS0_14default_configENS1_25partition_config_selectorILNS1_17partition_subalgoE3EtNS0_10empty_typeEbEEZZNS1_14partition_implILS5_3ELb0ES3_jN6thrust23THRUST_200600_302600_NS6detail15normal_iteratorINSA_7pointerItNSA_11hip_rocprim3tagENSA_11use_defaultESG_EEEEPS6_SJ_NS0_5tupleIJPtSJ_EEENSK_IJSJ_SJ_EEES6_PlJ7is_evenItEEEE10hipError_tPvRmT3_T4_T5_T6_T7_T9_mT8_P12ihipStream_tbDpT10_ENKUlT_T0_E_clISt17integral_constantIbLb1EES1A_EEDaS15_S16_EUlS15_E_NS1_11comp_targetILNS1_3genE5ELNS1_11target_archE942ELNS1_3gpuE9ELNS1_3repE0EEENS1_30default_config_static_selectorELNS0_4arch9wavefront6targetE1EEEvT1_
	.p2align	8
	.type	_ZN7rocprim17ROCPRIM_400000_NS6detail17trampoline_kernelINS0_14default_configENS1_25partition_config_selectorILNS1_17partition_subalgoE3EtNS0_10empty_typeEbEEZZNS1_14partition_implILS5_3ELb0ES3_jN6thrust23THRUST_200600_302600_NS6detail15normal_iteratorINSA_7pointerItNSA_11hip_rocprim3tagENSA_11use_defaultESG_EEEEPS6_SJ_NS0_5tupleIJPtSJ_EEENSK_IJSJ_SJ_EEES6_PlJ7is_evenItEEEE10hipError_tPvRmT3_T4_T5_T6_T7_T9_mT8_P12ihipStream_tbDpT10_ENKUlT_T0_E_clISt17integral_constantIbLb1EES1A_EEDaS15_S16_EUlS15_E_NS1_11comp_targetILNS1_3genE5ELNS1_11target_archE942ELNS1_3gpuE9ELNS1_3repE0EEENS1_30default_config_static_selectorELNS0_4arch9wavefront6targetE1EEEvT1_,@function
_ZN7rocprim17ROCPRIM_400000_NS6detail17trampoline_kernelINS0_14default_configENS1_25partition_config_selectorILNS1_17partition_subalgoE3EtNS0_10empty_typeEbEEZZNS1_14partition_implILS5_3ELb0ES3_jN6thrust23THRUST_200600_302600_NS6detail15normal_iteratorINSA_7pointerItNSA_11hip_rocprim3tagENSA_11use_defaultESG_EEEEPS6_SJ_NS0_5tupleIJPtSJ_EEENSK_IJSJ_SJ_EEES6_PlJ7is_evenItEEEE10hipError_tPvRmT3_T4_T5_T6_T7_T9_mT8_P12ihipStream_tbDpT10_ENKUlT_T0_E_clISt17integral_constantIbLb1EES1A_EEDaS15_S16_EUlS15_E_NS1_11comp_targetILNS1_3genE5ELNS1_11target_archE942ELNS1_3gpuE9ELNS1_3repE0EEENS1_30default_config_static_selectorELNS0_4arch9wavefront6targetE1EEEvT1_: ; @_ZN7rocprim17ROCPRIM_400000_NS6detail17trampoline_kernelINS0_14default_configENS1_25partition_config_selectorILNS1_17partition_subalgoE3EtNS0_10empty_typeEbEEZZNS1_14partition_implILS5_3ELb0ES3_jN6thrust23THRUST_200600_302600_NS6detail15normal_iteratorINSA_7pointerItNSA_11hip_rocprim3tagENSA_11use_defaultESG_EEEEPS6_SJ_NS0_5tupleIJPtSJ_EEENSK_IJSJ_SJ_EEES6_PlJ7is_evenItEEEE10hipError_tPvRmT3_T4_T5_T6_T7_T9_mT8_P12ihipStream_tbDpT10_ENKUlT_T0_E_clISt17integral_constantIbLb1EES1A_EEDaS15_S16_EUlS15_E_NS1_11comp_targetILNS1_3genE5ELNS1_11target_archE942ELNS1_3gpuE9ELNS1_3repE0EEENS1_30default_config_static_selectorELNS0_4arch9wavefront6targetE1EEEvT1_
; %bb.0:
	s_load_dwordx2 s[22:23], s[0:1], 0x28
	s_load_dwordx4 s[24:27], s[0:1], 0x48
	s_load_dwordx2 s[34:35], s[0:1], 0x58
	s_load_dwordx2 s[36:37], s[0:1], 0x68
	v_cmp_eq_u32_e64 s[20:21], 0, v0
	s_and_saveexec_b64 s[2:3], s[20:21]
	s_cbranch_execz .LBB1165_4
; %bb.1:
	s_mov_b64 s[6:7], exec
	v_mbcnt_lo_u32_b32 v1, s6, 0
	v_mbcnt_hi_u32_b32 v1, s7, v1
	v_cmp_eq_u32_e32 vcc, 0, v1
                                        ; implicit-def: $vgpr2
	s_and_saveexec_b64 s[4:5], vcc
	s_cbranch_execz .LBB1165_3
; %bb.2:
	s_load_dwordx2 s[8:9], s[0:1], 0x78
	s_bcnt1_i32_b64 s6, s[6:7]
	v_mov_b32_e32 v2, 0
	v_mov_b32_e32 v3, s6
	s_waitcnt lgkmcnt(0)
	global_atomic_add v2, v2, v3, s[8:9] sc0
.LBB1165_3:
	s_or_b64 exec, exec, s[4:5]
	s_waitcnt vmcnt(0)
	v_readfirstlane_b32 s4, v2
	v_mov_b32_e32 v2, 0
	s_nop 0
	v_add_u32_e32 v1, s4, v1
	ds_write_b32 v2, v1
.LBB1165_4:
	s_or_b64 exec, exec, s[2:3]
	v_mov_b32_e32 v9, 0
	s_load_dwordx4 s[28:31], s[0:1], 0x8
	s_load_dword s2, s[0:1], 0x70
	s_waitcnt lgkmcnt(0)
	s_barrier
	ds_read_b32 v1, v9
	s_waitcnt lgkmcnt(0)
	s_barrier
	global_load_dwordx2 v[4:5], v9, s[26:27]
	s_lshl_b64 s[0:1], s[30:31], 1
	s_add_u32 s0, s28, s0
	s_addc_u32 s1, s29, s1
	s_movk_i32 s3, 0x3c00
	s_add_i32 s4, s2, -1
	s_mulk_i32 s2, 0x3c00
	v_mul_lo_u32 v8, v1, s3
	s_add_i32 s3, s2, s30
	s_sub_i32 s33, s34, s3
	s_addk_i32 s33, 0x3c00
	s_add_u32 s2, s30, s2
	v_readfirstlane_b32 s40, v1
	s_addc_u32 s3, s31, 0
	s_cmp_eq_u32 s40, s4
	v_mov_b64_e32 v[2:3], s[34:35]
	s_cselect_b64 s[26:27], -1, 0
	s_cmp_lg_u32 s40, s4
	v_cmp_lt_u64_e32 vcc, s[2:3], v[2:3]
	s_cselect_b64 s[2:3], -1, 0
	s_or_b64 s[4:5], vcc, s[2:3]
	v_lshlrev_b64 v[2:3], 1, v[8:9]
	v_lshl_add_u64 v[2:3], s[0:1], 0, v[2:3]
	s_mov_b64 s[0:1], -1
	s_and_b64 vcc, exec, s[4:5]
	v_lshlrev_b32_e32 v16, 1, v0
	s_cbranch_vccz .LBB1165_6
; %bb.5:
	v_mov_b32_e32 v17, v9
	v_lshl_add_u64 v[6:7], v[2:3], 0, v[16:17]
	v_add_co_u32_e32 v10, vcc, 0x1000, v6
	s_mov_b64 s[0:1], 0
	s_nop 0
	v_addc_co_u32_e32 v11, vcc, 0, v7, vcc
	flat_load_ushort v1, v[6:7]
	flat_load_ushort v14, v[6:7] offset:1024
	flat_load_ushort v15, v[6:7] offset:2048
	flat_load_ushort v17, v[6:7] offset:3072
	flat_load_ushort v18, v[10:11]
	flat_load_ushort v19, v[10:11] offset:1024
	flat_load_ushort v20, v[10:11] offset:2048
	flat_load_ushort v21, v[10:11] offset:3072
	v_add_co_u32_e32 v10, vcc, 0x2000, v6
	s_nop 1
	v_addc_co_u32_e32 v11, vcc, 0, v7, vcc
	v_add_co_u32_e32 v12, vcc, 0x3000, v6
	s_nop 1
	v_addc_co_u32_e32 v13, vcc, 0, v7, vcc
	flat_load_ushort v22, v[10:11]
	flat_load_ushort v23, v[10:11] offset:1024
	flat_load_ushort v24, v[10:11] offset:2048
	flat_load_ushort v25, v[10:11] offset:3072
	flat_load_ushort v26, v[12:13]
	flat_load_ushort v27, v[12:13] offset:1024
	flat_load_ushort v28, v[12:13] offset:2048
	flat_load_ushort v29, v[12:13] offset:3072
	v_add_co_u32_e32 v10, vcc, 0x4000, v6
	s_nop 1
	v_addc_co_u32_e32 v11, vcc, 0, v7, vcc
	v_add_co_u32_e32 v12, vcc, 0x5000, v6
	;; [unrolled: 14-line block ×3, first 2 shown]
	s_nop 1
	v_addc_co_u32_e32 v7, vcc, 0, v7, vcc
	flat_load_ushort v12, v[10:11]
	flat_load_ushort v13, v[10:11] offset:1024
	flat_load_ushort v38, v[10:11] offset:2048
	;; [unrolled: 1-line block ×3, first 2 shown]
	flat_load_ushort v40, v[6:7]
	flat_load_ushort v41, v[6:7] offset:1024
	s_waitcnt vmcnt(0) lgkmcnt(0)
	ds_write_b16 v16, v1
	ds_write_b16 v16, v14 offset:1024
	ds_write_b16 v16, v15 offset:2048
	ds_write_b16 v16, v17 offset:3072
	ds_write_b16 v16, v18 offset:4096
	ds_write_b16 v16, v19 offset:5120
	ds_write_b16 v16, v20 offset:6144
	ds_write_b16 v16, v21 offset:7168
	ds_write_b16 v16, v22 offset:8192
	ds_write_b16 v16, v23 offset:9216
	ds_write_b16 v16, v24 offset:10240
	ds_write_b16 v16, v25 offset:11264
	ds_write_b16 v16, v26 offset:12288
	ds_write_b16 v16, v27 offset:13312
	ds_write_b16 v16, v28 offset:14336
	ds_write_b16 v16, v29 offset:15360
	ds_write_b16 v16, v30 offset:16384
	ds_write_b16 v16, v31 offset:17408
	ds_write_b16 v16, v32 offset:18432
	ds_write_b16 v16, v33 offset:19456
	ds_write_b16 v16, v34 offset:20480
	ds_write_b16 v16, v35 offset:21504
	ds_write_b16 v16, v36 offset:22528
	ds_write_b16 v16, v37 offset:23552
	ds_write_b16 v16, v12 offset:24576
	ds_write_b16 v16, v13 offset:25600
	ds_write_b16 v16, v38 offset:26624
	ds_write_b16 v16, v39 offset:27648
	ds_write_b16 v16, v40 offset:28672
	ds_write_b16 v16, v41 offset:29696
	s_waitcnt lgkmcnt(0)
	s_barrier
.LBB1165_6:
	s_andn2_b64 vcc, exec, s[0:1]
	v_cmp_gt_u32_e64 s[0:1], s33, v0
	s_cbranch_vccnz .LBB1165_68
; %bb.7:
                                        ; implicit-def: $vgpr1
	s_and_saveexec_b64 s[2:3], s[0:1]
	s_cbranch_execz .LBB1165_9
; %bb.8:
	v_mov_b32_e32 v17, 0
	v_lshl_add_u64 v[6:7], v[2:3], 0, v[16:17]
	flat_load_ushort v1, v[6:7]
.LBB1165_9:
	s_or_b64 exec, exec, s[2:3]
	v_or_b32_e32 v6, 0x200, v0
	v_cmp_gt_u32_e32 vcc, s33, v6
                                        ; implicit-def: $vgpr6
	s_and_saveexec_b64 s[0:1], vcc
	s_cbranch_execz .LBB1165_11
; %bb.10:
	v_mov_b32_e32 v17, 0
	v_lshl_add_u64 v[6:7], v[2:3], 0, v[16:17]
	flat_load_ushort v6, v[6:7] offset:1024
.LBB1165_11:
	s_or_b64 exec, exec, s[0:1]
	v_or_b32_e32 v7, 0x400, v0
	v_cmp_gt_u32_e32 vcc, s33, v7
                                        ; implicit-def: $vgpr7
	s_and_saveexec_b64 s[0:1], vcc
	s_cbranch_execz .LBB1165_13
; %bb.12:
	v_mov_b32_e32 v17, 0
	v_lshl_add_u64 v[10:11], v[2:3], 0, v[16:17]
	flat_load_ushort v7, v[10:11] offset:2048
.LBB1165_13:
	s_or_b64 exec, exec, s[0:1]
	v_or_b32_e32 v10, 0x600, v0
	v_cmp_gt_u32_e32 vcc, s33, v10
                                        ; implicit-def: $vgpr10
	s_and_saveexec_b64 s[0:1], vcc
	s_cbranch_execz .LBB1165_15
; %bb.14:
	v_mov_b32_e32 v17, 0
	v_lshl_add_u64 v[10:11], v[2:3], 0, v[16:17]
	flat_load_ushort v10, v[10:11] offset:3072
.LBB1165_15:
	s_or_b64 exec, exec, s[0:1]
	v_or_b32_e32 v12, 0x800, v0
	v_cmp_gt_u32_e32 vcc, s33, v12
                                        ; implicit-def: $vgpr11
	s_and_saveexec_b64 s[0:1], vcc
	s_cbranch_execz .LBB1165_17
; %bb.16:
	v_lshlrev_b32_e32 v12, 1, v12
	v_mov_b32_e32 v13, 0
	v_lshl_add_u64 v[12:13], v[2:3], 0, v[12:13]
	flat_load_ushort v11, v[12:13]
.LBB1165_17:
	s_or_b64 exec, exec, s[0:1]
	v_or_b32_e32 v13, 0xa00, v0
	v_cmp_gt_u32_e32 vcc, s33, v13
                                        ; implicit-def: $vgpr12
	s_and_saveexec_b64 s[0:1], vcc
	s_cbranch_execz .LBB1165_19
; %bb.18:
	v_lshlrev_b32_e32 v12, 1, v13
	v_mov_b32_e32 v13, 0
	v_lshl_add_u64 v[12:13], v[2:3], 0, v[12:13]
	flat_load_ushort v12, v[12:13]
.LBB1165_19:
	s_or_b64 exec, exec, s[0:1]
	v_or_b32_e32 v14, 0xc00, v0
	v_cmp_gt_u32_e32 vcc, s33, v14
                                        ; implicit-def: $vgpr13
	s_and_saveexec_b64 s[0:1], vcc
	s_cbranch_execz .LBB1165_21
; %bb.20:
	v_lshlrev_b32_e32 v14, 1, v14
	v_mov_b32_e32 v15, 0
	v_lshl_add_u64 v[14:15], v[2:3], 0, v[14:15]
	flat_load_ushort v13, v[14:15]
.LBB1165_21:
	s_or_b64 exec, exec, s[0:1]
	v_or_b32_e32 v15, 0xe00, v0
	v_cmp_gt_u32_e32 vcc, s33, v15
                                        ; implicit-def: $vgpr14
	s_and_saveexec_b64 s[0:1], vcc
	s_cbranch_execz .LBB1165_23
; %bb.22:
	v_lshlrev_b32_e32 v14, 1, v15
	v_mov_b32_e32 v15, 0
	v_lshl_add_u64 v[14:15], v[2:3], 0, v[14:15]
	flat_load_ushort v14, v[14:15]
.LBB1165_23:
	s_or_b64 exec, exec, s[0:1]
	v_or_b32_e32 v17, 0x1000, v0
	v_cmp_gt_u32_e32 vcc, s33, v17
                                        ; implicit-def: $vgpr15
	s_and_saveexec_b64 s[0:1], vcc
	s_cbranch_execz .LBB1165_25
; %bb.24:
	v_lshlrev_b32_e32 v18, 1, v17
	v_mov_b32_e32 v19, 0
	v_lshl_add_u64 v[18:19], v[2:3], 0, v[18:19]
	flat_load_ushort v15, v[18:19]
.LBB1165_25:
	s_or_b64 exec, exec, s[0:1]
	v_or_b32_e32 v18, 0x1200, v0
	v_cmp_gt_u32_e32 vcc, s33, v18
                                        ; implicit-def: $vgpr17
	s_and_saveexec_b64 s[0:1], vcc
	s_cbranch_execz .LBB1165_27
; %bb.26:
	v_lshlrev_b32_e32 v18, 1, v18
	v_mov_b32_e32 v19, 0
	v_lshl_add_u64 v[18:19], v[2:3], 0, v[18:19]
	flat_load_ushort v17, v[18:19]
.LBB1165_27:
	s_or_b64 exec, exec, s[0:1]
	v_or_b32_e32 v19, 0x1400, v0
	v_cmp_gt_u32_e32 vcc, s33, v19
                                        ; implicit-def: $vgpr18
	s_and_saveexec_b64 s[0:1], vcc
	s_cbranch_execz .LBB1165_29
; %bb.28:
	v_lshlrev_b32_e32 v18, 1, v19
	v_mov_b32_e32 v19, 0
	v_lshl_add_u64 v[18:19], v[2:3], 0, v[18:19]
	flat_load_ushort v18, v[18:19]
.LBB1165_29:
	s_or_b64 exec, exec, s[0:1]
	v_or_b32_e32 v20, 0x1600, v0
	v_cmp_gt_u32_e32 vcc, s33, v20
                                        ; implicit-def: $vgpr19
	s_and_saveexec_b64 s[0:1], vcc
	s_cbranch_execz .LBB1165_31
; %bb.30:
	v_lshlrev_b32_e32 v20, 1, v20
	v_mov_b32_e32 v21, 0
	v_lshl_add_u64 v[20:21], v[2:3], 0, v[20:21]
	flat_load_ushort v19, v[20:21]
.LBB1165_31:
	s_or_b64 exec, exec, s[0:1]
	v_or_b32_e32 v21, 0x1800, v0
	v_cmp_gt_u32_e32 vcc, s33, v21
                                        ; implicit-def: $vgpr20
	s_and_saveexec_b64 s[0:1], vcc
	s_cbranch_execz .LBB1165_33
; %bb.32:
	v_lshlrev_b32_e32 v20, 1, v21
	v_mov_b32_e32 v21, 0
	v_lshl_add_u64 v[20:21], v[2:3], 0, v[20:21]
	flat_load_ushort v20, v[20:21]
.LBB1165_33:
	s_or_b64 exec, exec, s[0:1]
	v_or_b32_e32 v22, 0x1a00, v0
	v_cmp_gt_u32_e32 vcc, s33, v22
                                        ; implicit-def: $vgpr21
	s_and_saveexec_b64 s[0:1], vcc
	s_cbranch_execz .LBB1165_35
; %bb.34:
	v_lshlrev_b32_e32 v22, 1, v22
	v_mov_b32_e32 v23, 0
	v_lshl_add_u64 v[22:23], v[2:3], 0, v[22:23]
	flat_load_ushort v21, v[22:23]
.LBB1165_35:
	s_or_b64 exec, exec, s[0:1]
	v_or_b32_e32 v23, 0x1c00, v0
	v_cmp_gt_u32_e32 vcc, s33, v23
                                        ; implicit-def: $vgpr22
	s_and_saveexec_b64 s[0:1], vcc
	s_cbranch_execz .LBB1165_37
; %bb.36:
	v_lshlrev_b32_e32 v22, 1, v23
	v_mov_b32_e32 v23, 0
	v_lshl_add_u64 v[22:23], v[2:3], 0, v[22:23]
	flat_load_ushort v22, v[22:23]
.LBB1165_37:
	s_or_b64 exec, exec, s[0:1]
	v_or_b32_e32 v24, 0x1e00, v0
	v_cmp_gt_u32_e32 vcc, s33, v24
                                        ; implicit-def: $vgpr23
	s_and_saveexec_b64 s[0:1], vcc
	s_cbranch_execz .LBB1165_39
; %bb.38:
	v_lshlrev_b32_e32 v24, 1, v24
	v_mov_b32_e32 v25, 0
	v_lshl_add_u64 v[24:25], v[2:3], 0, v[24:25]
	flat_load_ushort v23, v[24:25]
.LBB1165_39:
	s_or_b64 exec, exec, s[0:1]
	v_or_b32_e32 v25, 0x2000, v0
	v_cmp_gt_u32_e32 vcc, s33, v25
                                        ; implicit-def: $vgpr24
	s_and_saveexec_b64 s[0:1], vcc
	s_cbranch_execz .LBB1165_41
; %bb.40:
	v_lshlrev_b32_e32 v24, 1, v25
	v_mov_b32_e32 v25, 0
	v_lshl_add_u64 v[24:25], v[2:3], 0, v[24:25]
	flat_load_ushort v24, v[24:25]
.LBB1165_41:
	s_or_b64 exec, exec, s[0:1]
	v_or_b32_e32 v26, 0x2200, v0
	v_cmp_gt_u32_e32 vcc, s33, v26
                                        ; implicit-def: $vgpr25
	s_and_saveexec_b64 s[0:1], vcc
	s_cbranch_execz .LBB1165_43
; %bb.42:
	v_lshlrev_b32_e32 v26, 1, v26
	v_mov_b32_e32 v27, 0
	v_lshl_add_u64 v[26:27], v[2:3], 0, v[26:27]
	flat_load_ushort v25, v[26:27]
.LBB1165_43:
	s_or_b64 exec, exec, s[0:1]
	v_or_b32_e32 v27, 0x2400, v0
	v_cmp_gt_u32_e32 vcc, s33, v27
                                        ; implicit-def: $vgpr26
	s_and_saveexec_b64 s[0:1], vcc
	s_cbranch_execz .LBB1165_45
; %bb.44:
	v_lshlrev_b32_e32 v26, 1, v27
	v_mov_b32_e32 v27, 0
	v_lshl_add_u64 v[26:27], v[2:3], 0, v[26:27]
	flat_load_ushort v26, v[26:27]
.LBB1165_45:
	s_or_b64 exec, exec, s[0:1]
	v_or_b32_e32 v28, 0x2600, v0
	v_cmp_gt_u32_e32 vcc, s33, v28
                                        ; implicit-def: $vgpr27
	s_and_saveexec_b64 s[0:1], vcc
	s_cbranch_execz .LBB1165_47
; %bb.46:
	v_lshlrev_b32_e32 v28, 1, v28
	v_mov_b32_e32 v29, 0
	v_lshl_add_u64 v[28:29], v[2:3], 0, v[28:29]
	flat_load_ushort v27, v[28:29]
.LBB1165_47:
	s_or_b64 exec, exec, s[0:1]
	v_or_b32_e32 v29, 0x2800, v0
	v_cmp_gt_u32_e32 vcc, s33, v29
                                        ; implicit-def: $vgpr28
	s_and_saveexec_b64 s[0:1], vcc
	s_cbranch_execz .LBB1165_49
; %bb.48:
	v_lshlrev_b32_e32 v28, 1, v29
	v_mov_b32_e32 v29, 0
	v_lshl_add_u64 v[28:29], v[2:3], 0, v[28:29]
	flat_load_ushort v28, v[28:29]
.LBB1165_49:
	s_or_b64 exec, exec, s[0:1]
	v_or_b32_e32 v30, 0x2a00, v0
	v_cmp_gt_u32_e32 vcc, s33, v30
                                        ; implicit-def: $vgpr29
	s_and_saveexec_b64 s[0:1], vcc
	s_cbranch_execz .LBB1165_51
; %bb.50:
	v_lshlrev_b32_e32 v30, 1, v30
	v_mov_b32_e32 v31, 0
	v_lshl_add_u64 v[30:31], v[2:3], 0, v[30:31]
	flat_load_ushort v29, v[30:31]
.LBB1165_51:
	s_or_b64 exec, exec, s[0:1]
	v_or_b32_e32 v31, 0x2c00, v0
	v_cmp_gt_u32_e32 vcc, s33, v31
                                        ; implicit-def: $vgpr30
	s_and_saveexec_b64 s[0:1], vcc
	s_cbranch_execz .LBB1165_53
; %bb.52:
	v_lshlrev_b32_e32 v30, 1, v31
	v_mov_b32_e32 v31, 0
	v_lshl_add_u64 v[30:31], v[2:3], 0, v[30:31]
	flat_load_ushort v30, v[30:31]
.LBB1165_53:
	s_or_b64 exec, exec, s[0:1]
	v_or_b32_e32 v32, 0x2e00, v0
	v_cmp_gt_u32_e32 vcc, s33, v32
                                        ; implicit-def: $vgpr31
	s_and_saveexec_b64 s[0:1], vcc
	s_cbranch_execz .LBB1165_55
; %bb.54:
	v_lshlrev_b32_e32 v32, 1, v32
	v_mov_b32_e32 v33, 0
	v_lshl_add_u64 v[32:33], v[2:3], 0, v[32:33]
	flat_load_ushort v31, v[32:33]
.LBB1165_55:
	s_or_b64 exec, exec, s[0:1]
	v_or_b32_e32 v33, 0x3000, v0
	v_cmp_gt_u32_e32 vcc, s33, v33
                                        ; implicit-def: $vgpr32
	s_and_saveexec_b64 s[0:1], vcc
	s_cbranch_execz .LBB1165_57
; %bb.56:
	v_lshlrev_b32_e32 v32, 1, v33
	v_mov_b32_e32 v33, 0
	v_lshl_add_u64 v[32:33], v[2:3], 0, v[32:33]
	flat_load_ushort v32, v[32:33]
.LBB1165_57:
	s_or_b64 exec, exec, s[0:1]
	v_or_b32_e32 v34, 0x3200, v0
	v_cmp_gt_u32_e32 vcc, s33, v34
                                        ; implicit-def: $vgpr33
	s_and_saveexec_b64 s[0:1], vcc
	s_cbranch_execz .LBB1165_59
; %bb.58:
	v_lshlrev_b32_e32 v34, 1, v34
	v_mov_b32_e32 v35, 0
	v_lshl_add_u64 v[34:35], v[2:3], 0, v[34:35]
	flat_load_ushort v33, v[34:35]
.LBB1165_59:
	s_or_b64 exec, exec, s[0:1]
	v_or_b32_e32 v35, 0x3400, v0
	v_cmp_gt_u32_e32 vcc, s33, v35
                                        ; implicit-def: $vgpr34
	s_and_saveexec_b64 s[0:1], vcc
	s_cbranch_execz .LBB1165_61
; %bb.60:
	v_lshlrev_b32_e32 v34, 1, v35
	v_mov_b32_e32 v35, 0
	v_lshl_add_u64 v[34:35], v[2:3], 0, v[34:35]
	flat_load_ushort v34, v[34:35]
.LBB1165_61:
	s_or_b64 exec, exec, s[0:1]
	v_or_b32_e32 v36, 0x3600, v0
	v_cmp_gt_u32_e32 vcc, s33, v36
                                        ; implicit-def: $vgpr35
	s_and_saveexec_b64 s[0:1], vcc
	s_cbranch_execz .LBB1165_63
; %bb.62:
	v_lshlrev_b32_e32 v36, 1, v36
	v_mov_b32_e32 v37, 0
	v_lshl_add_u64 v[36:37], v[2:3], 0, v[36:37]
	flat_load_ushort v35, v[36:37]
.LBB1165_63:
	s_or_b64 exec, exec, s[0:1]
	v_or_b32_e32 v37, 0x3800, v0
	v_cmp_gt_u32_e32 vcc, s33, v37
                                        ; implicit-def: $vgpr36
	s_and_saveexec_b64 s[0:1], vcc
	s_cbranch_execz .LBB1165_65
; %bb.64:
	v_lshlrev_b32_e32 v36, 1, v37
	v_mov_b32_e32 v37, 0
	v_lshl_add_u64 v[36:37], v[2:3], 0, v[36:37]
	flat_load_ushort v36, v[36:37]
.LBB1165_65:
	s_or_b64 exec, exec, s[0:1]
	v_or_b32_e32 v38, 0x3a00, v0
	v_cmp_gt_u32_e32 vcc, s33, v38
                                        ; implicit-def: $vgpr37
	s_and_saveexec_b64 s[0:1], vcc
	s_cbranch_execz .LBB1165_67
; %bb.66:
	v_lshlrev_b32_e32 v38, 1, v38
	v_mov_b32_e32 v39, 0
	v_lshl_add_u64 v[2:3], v[2:3], 0, v[38:39]
	flat_load_ushort v37, v[2:3]
.LBB1165_67:
	s_or_b64 exec, exec, s[0:1]
	s_waitcnt vmcnt(0) lgkmcnt(0)
	ds_write_b16 v16, v1
	ds_write_b16 v16, v6 offset:1024
	ds_write_b16 v16, v7 offset:2048
	ds_write_b16 v16, v10 offset:3072
	ds_write_b16 v16, v11 offset:4096
	ds_write_b16 v16, v12 offset:5120
	ds_write_b16 v16, v13 offset:6144
	ds_write_b16 v16, v14 offset:7168
	ds_write_b16 v16, v15 offset:8192
	ds_write_b16 v16, v17 offset:9216
	ds_write_b16 v16, v18 offset:10240
	ds_write_b16 v16, v19 offset:11264
	ds_write_b16 v16, v20 offset:12288
	ds_write_b16 v16, v21 offset:13312
	ds_write_b16 v16, v22 offset:14336
	ds_write_b16 v16, v23 offset:15360
	ds_write_b16 v16, v24 offset:16384
	ds_write_b16 v16, v25 offset:17408
	ds_write_b16 v16, v26 offset:18432
	ds_write_b16 v16, v27 offset:19456
	ds_write_b16 v16, v28 offset:20480
	ds_write_b16 v16, v29 offset:21504
	ds_write_b16 v16, v30 offset:22528
	ds_write_b16 v16, v31 offset:23552
	ds_write_b16 v16, v32 offset:24576
	ds_write_b16 v16, v33 offset:25600
	ds_write_b16 v16, v34 offset:26624
	ds_write_b16 v16, v35 offset:27648
	ds_write_b16 v16, v36 offset:28672
	ds_write_b16 v16, v37 offset:29696
	s_waitcnt lgkmcnt(0)
	s_barrier
.LBB1165_68:
	v_mul_u32_u24_e32 v44, 30, v0
	v_lshlrev_b32_e32 v2, 1, v44
	ds_read_b32 v17, v2 offset:56
	ds_read2_b32 v[6:7], v2 offset0:12 offset1:13
	ds_read2_b32 v[10:11], v2 offset0:10 offset1:11
	;; [unrolled: 1-line block ×3, first 2 shown]
	ds_read2_b32 v[22:23], v2 offset1:1
	ds_read2_b32 v[20:21], v2 offset0:2 offset1:3
	ds_read2_b32 v[18:19], v2 offset0:4 offset1:5
	;; [unrolled: 1-line block ×3, first 2 shown]
	s_waitcnt lgkmcnt(7)
	v_lshrrev_b32_e32 v1, 16, v17
	s_waitcnt lgkmcnt(6)
	v_lshrrev_b32_e32 v33, 16, v6
	v_lshrrev_b32_e32 v32, 16, v7
	s_waitcnt lgkmcnt(5)
	v_lshrrev_b32_e32 v35, 16, v10
	;; [unrolled: 3-line block ×6, first 2 shown]
	v_lshrrev_b32_e32 v38, 16, v15
	v_lshrrev_b32_e32 v37, 16, v12
	;; [unrolled: 1-line block ×3, first 2 shown]
	v_cndmask_b32_e64 v2, 0, 1, s[4:5]
	v_cmp_ne_u32_e64 s[2:3], 1, v2
	s_andn2_b64 vcc, exec, s[4:5]
	v_xor_b32_e32 v96, -1, v22
	v_xor_b32_e32 v95, -1, v46
	;; [unrolled: 1-line block ×30, first 2 shown]
	s_barrier
	s_cbranch_vccnz .LBB1165_70
; %bb.69:
	v_and_b32_e32 v77, 1, v96
	v_and_b32_e32 v76, 1, v95
	;; [unrolled: 1-line block ×30, first 2 shown]
	s_cbranch_execz .LBB1165_71
	s_branch .LBB1165_72
.LBB1165_70:
                                        ; implicit-def: $vgpr77
                                        ; implicit-def: $vgpr76
                                        ; implicit-def: $vgpr75
                                        ; implicit-def: $vgpr74
                                        ; implicit-def: $vgpr73
                                        ; implicit-def: $vgpr72
                                        ; implicit-def: $vgpr71
                                        ; implicit-def: $vgpr70
                                        ; implicit-def: $vgpr69
                                        ; implicit-def: $vgpr67
                                        ; implicit-def: $vgpr66
                                        ; implicit-def: $vgpr65
                                        ; implicit-def: $vgpr64
                                        ; implicit-def: $vgpr63
                                        ; implicit-def: $vgpr62
                                        ; implicit-def: $vgpr61
                                        ; implicit-def: $vgpr60
                                        ; implicit-def: $vgpr59
                                        ; implicit-def: $vgpr58
                                        ; implicit-def: $vgpr57
                                        ; implicit-def: $vgpr56
                                        ; implicit-def: $vgpr55
                                        ; implicit-def: $vgpr54
                                        ; implicit-def: $vgpr53
                                        ; implicit-def: $vgpr52
                                        ; implicit-def: $vgpr51
                                        ; implicit-def: $vgpr50
                                        ; implicit-def: $vgpr49
                                        ; implicit-def: $vgpr47
                                        ; implicit-def: $vgpr48
.LBB1165_71:
	v_or_b32_e32 v56, 1, v44
	v_cmp_gt_u32_e32 vcc, s33, v44
	v_add_u32_e32 v57, 2, v44
	v_add_u32_e32 v58, 3, v44
	v_cndmask_b32_e64 v66, 0, 1, vcc
	v_cmp_gt_u32_e32 vcc, s33, v56
	v_add_u32_e32 v59, 4, v44
	v_add_u32_e32 v60, 5, v44
	v_cndmask_b32_e64 v56, 0, 1, vcc
	v_cmp_gt_u32_e32 vcc, s33, v57
	v_and_b32_e32 v76, v56, v95
	v_add_u32_e32 v61, 6, v44
	v_cndmask_b32_e64 v56, 0, 1, vcc
	v_cmp_gt_u32_e32 vcc, s33, v58
	v_and_b32_e32 v75, v56, v94
	;; [unrolled: 4-line block ×9, first 2 shown]
	v_and_b32_e32 v77, v66, v96
	v_cndmask_b32_e64 v56, 0, 1, vcc
	v_cmp_gt_u32_e32 vcc, s33, v97
	v_and_b32_e32 v66, v56, v86
	v_add_u32_e32 v100, 14, v44
	v_cndmask_b32_e64 v56, 0, 1, vcc
	v_cmp_gt_u32_e32 vcc, s33, v98
	v_and_b32_e32 v65, v56, v85
	v_add_u32_e32 v101, 15, v44
	;; [unrolled: 4-line block ×16, first 2 shown]
	v_cndmask_b32_e64 v26, 0, 1, vcc
	v_cmp_gt_u32_e32 vcc, s33, v49
	v_and_b32_e32 v50, v26, v25
	s_nop 0
	v_cndmask_b32_e64 v25, 0, 1, vcc
	v_cmp_gt_u32_e32 vcc, s33, v47
	v_and_b32_e32 v49, v25, v24
	s_nop 0
	;; [unrolled: 4-line block ×3, first 2 shown]
	v_cndmask_b32_e64 v3, 0, 1, vcc
	v_and_b32_e32 v48, v3, v2
.LBB1165_72:
	v_and_b32_e32 v104, 0xff, v50
	v_and_b32_e32 v105, 0xff, v49
	v_add_u32_sdwa v2, v47, v48 dst_sel:DWORD dst_unused:UNUSED_PAD src0_sel:BYTE_0 src1_sel:BYTE_0
	v_and_b32_e32 v102, 0xff, v52
	v_and_b32_e32 v103, 0xff, v51
	v_add3_u32 v2, v2, v105, v104
	v_and_b32_e32 v100, 0xff, v54
	v_and_b32_e32 v101, 0xff, v53
	v_add3_u32 v2, v2, v103, v102
	;; [unrolled: 3-line block ×13, first 2 shown]
	v_add3_u32 v108, v2, v79, v78
	v_mbcnt_lo_u32_b32 v2, -1, 0
	v_mbcnt_hi_u32_b32 v106, -1, v2
	v_and_b32_e32 v2, 15, v106
	v_cmp_eq_u32_e64 s[16:17], 0, v2
	v_cmp_lt_u32_e64 s[14:15], 1, v2
	v_cmp_lt_u32_e64 s[12:13], 3, v2
	;; [unrolled: 1-line block ×3, first 2 shown]
	v_and_b32_e32 v2, 16, v106
	v_cmp_eq_u32_e64 s[8:9], 0, v2
	v_or_b32_e32 v2, 63, v0
	s_cmp_lg_u32 s40, 0
	v_cmp_lt_u32_e64 s[4:5], 31, v106
	v_lshrrev_b32_e32 v107, 6, v0
	v_cmp_eq_u32_e64 s[6:7], v2, v0
	s_cbranch_scc0 .LBB1165_103
; %bb.73:
	v_mov_b32_dpp v2, v108 row_shr:1 row_mask:0xf bank_mask:0xf
	v_cndmask_b32_e64 v2, v2, 0, s[16:17]
	v_add_u32_e32 v2, v2, v108
	s_nop 1
	v_mov_b32_dpp v3, v2 row_shr:2 row_mask:0xf bank_mask:0xf
	v_cndmask_b32_e64 v3, 0, v3, s[14:15]
	v_add_u32_e32 v2, v2, v3
	s_nop 1
	;; [unrolled: 4-line block ×4, first 2 shown]
	v_mov_b32_dpp v3, v2 row_bcast:15 row_mask:0xf bank_mask:0xf
	v_cndmask_b32_e64 v3, v3, 0, s[8:9]
	v_add_u32_e32 v2, v2, v3
	s_nop 1
	v_mov_b32_dpp v3, v2 row_bcast:31 row_mask:0xf bank_mask:0xf
	v_cndmask_b32_e64 v3, 0, v3, s[4:5]
	v_add_u32_e32 v2, v2, v3
	s_and_saveexec_b64 s[0:1], s[6:7]
	s_cbranch_execz .LBB1165_75
; %bb.74:
	v_lshlrev_b32_e32 v3, 2, v107
	ds_write_b32 v3, v2
.LBB1165_75:
	s_or_b64 exec, exec, s[0:1]
	v_cmp_gt_u32_e32 vcc, 8, v0
	s_waitcnt lgkmcnt(0)
	s_barrier
	s_and_saveexec_b64 s[0:1], vcc
	s_cbranch_execz .LBB1165_77
; %bb.76:
	v_lshlrev_b32_e32 v3, 2, v0
	ds_read_b32 v24, v3
	v_and_b32_e32 v25, 7, v106
	v_cmp_ne_u32_e32 vcc, 0, v25
	s_waitcnt lgkmcnt(0)
	v_mov_b32_dpp v26, v24 row_shr:1 row_mask:0xf bank_mask:0xf
	v_cndmask_b32_e32 v26, 0, v26, vcc
	v_add_u32_e32 v24, v26, v24
	v_cmp_lt_u32_e32 vcc, 1, v25
	s_nop 0
	v_mov_b32_dpp v26, v24 row_shr:2 row_mask:0xf bank_mask:0xf
	v_cndmask_b32_e32 v26, 0, v26, vcc
	v_add_u32_e32 v24, v24, v26
	v_cmp_lt_u32_e32 vcc, 3, v25
	s_nop 0
	v_mov_b32_dpp v26, v24 row_shr:4 row_mask:0xf bank_mask:0xf
	v_cndmask_b32_e32 v25, 0, v26, vcc
	v_add_u32_e32 v24, v24, v25
	ds_write_b32 v3, v24
.LBB1165_77:
	s_or_b64 exec, exec, s[0:1]
	v_cmp_gt_u32_e32 vcc, 64, v0
	v_cmp_lt_u32_e64 s[0:1], 63, v0
	s_waitcnt lgkmcnt(0)
	s_barrier
	s_waitcnt lgkmcnt(0)
                                        ; implicit-def: $vgpr68
	s_and_saveexec_b64 s[18:19], s[0:1]
	s_cbranch_execz .LBB1165_79
; %bb.78:
	v_lshl_add_u32 v3, v107, 2, -4
	ds_read_b32 v68, v3
	s_waitcnt lgkmcnt(0)
	v_add_u32_e32 v2, v68, v2
.LBB1165_79:
	s_or_b64 exec, exec, s[18:19]
	v_add_u32_e32 v3, -1, v106
	v_and_b32_e32 v24, 64, v106
	v_cmp_lt_i32_e64 s[0:1], v3, v24
	v_cmp_eq_u32_e64 s[18:19], 0, v106
	s_nop 0
	v_cndmask_b32_e64 v3, v3, v106, s[0:1]
	v_lshlrev_b32_e32 v3, 2, v3
	ds_bpermute_b32 v109, v3, v2
	s_and_saveexec_b64 s[0:1], vcc
	s_cbranch_execz .LBB1165_102
; %bb.80:
	v_mov_b32_e32 v31, 0
	ds_read_b32 v2, v31 offset:28
	s_and_saveexec_b64 s[28:29], s[18:19]
	s_cbranch_execz .LBB1165_82
; %bb.81:
	s_add_i32 s38, s40, 64
	s_mov_b32 s39, 0
	s_lshl_b64 s[38:39], s[38:39], 3
	s_add_u32 s38, s36, s38
	v_mov_b32_e32 v3, 1
	s_addc_u32 s39, s37, s39
	s_waitcnt lgkmcnt(0)
	global_store_dwordx2 v31, v[2:3], s[38:39] sc1
.LBB1165_82:
	s_or_b64 exec, exec, s[28:29]
	v_xad_u32 v24, v106, -1, s40
	v_add_u32_e32 v30, 64, v24
	v_lshl_add_u64 v[26:27], v[30:31], 3, s[36:37]
	global_load_dwordx2 v[28:29], v[26:27], off sc1
	s_waitcnt vmcnt(0)
	v_cmp_eq_u16_sdwa s[38:39], v29, v31 src0_sel:BYTE_0 src1_sel:DWORD
	s_and_saveexec_b64 s[28:29], s[38:39]
	s_cbranch_execz .LBB1165_88
; %bb.83:
	s_mov_b32 s41, 1
	s_mov_b64 s[38:39], 0
	v_mov_b32_e32 v3, 0
.LBB1165_84:                            ; =>This Loop Header: Depth=1
                                        ;     Child Loop BB1165_85 Depth 2
	s_max_u32 s42, s41, 1
.LBB1165_85:                            ;   Parent Loop BB1165_84 Depth=1
                                        ; =>  This Inner Loop Header: Depth=2
	s_add_i32 s42, s42, -1
	s_cmp_eq_u32 s42, 0
	s_sleep 1
	s_cbranch_scc0 .LBB1165_85
; %bb.86:                               ;   in Loop: Header=BB1165_84 Depth=1
	global_load_dwordx2 v[28:29], v[26:27], off sc1
	s_cmp_lt_u32 s41, 32
	s_cselect_b64 s[42:43], -1, 0
	s_cmp_lg_u64 s[42:43], 0
	s_addc_u32 s41, s41, 0
	s_waitcnt vmcnt(0)
	v_cmp_ne_u16_sdwa s[42:43], v29, v3 src0_sel:BYTE_0 src1_sel:DWORD
	s_or_b64 s[38:39], s[42:43], s[38:39]
	s_andn2_b64 exec, exec, s[38:39]
	s_cbranch_execnz .LBB1165_84
; %bb.87:
	s_or_b64 exec, exec, s[38:39]
.LBB1165_88:
	s_or_b64 exec, exec, s[28:29]
	v_and_b32_e32 v111, 63, v106
	v_mov_b32_e32 v110, 2
	v_cmp_ne_u32_e32 vcc, 63, v111
	v_cmp_eq_u16_sdwa s[28:29], v29, v110 src0_sel:BYTE_0 src1_sel:DWORD
	v_lshlrev_b64 v[26:27], v106, -1
	v_addc_co_u32_e32 v30, vcc, 0, v106, vcc
	v_and_b32_e32 v3, s29, v27
	v_lshlrev_b32_e32 v112, 2, v30
	v_or_b32_e32 v3, 0x80000000, v3
	ds_bpermute_b32 v30, v112, v28
	v_and_b32_e32 v25, s28, v26
	v_ffbl_b32_e32 v3, v3
	v_add_u32_e32 v3, 32, v3
	v_ffbl_b32_e32 v25, v25
	v_min_u32_e32 v3, v25, v3
	v_cmp_lt_u32_e32 vcc, v111, v3
	v_add_u32_e32 v114, 2, v111
	v_add_u32_e32 v116, 4, v111
	s_waitcnt lgkmcnt(0)
	v_cndmask_b32_e32 v25, 0, v30, vcc
	v_cmp_gt_u32_e32 vcc, 62, v111
	v_add_u32_e32 v25, v25, v28
	v_add_u32_e32 v118, 8, v111
	v_cndmask_b32_e64 v28, 0, 1, vcc
	v_lshlrev_b32_e32 v28, 1, v28
	v_add_lshl_u32 v113, v28, v106, 2
	ds_bpermute_b32 v28, v113, v25
	v_cmp_le_u32_e32 vcc, v114, v3
	v_add_u32_e32 v120, 16, v111
	v_add_u32_e32 v122, 32, v111
	s_waitcnt lgkmcnt(0)
	v_cndmask_b32_e32 v28, 0, v28, vcc
	v_cmp_gt_u32_e32 vcc, 60, v111
	v_add_u32_e32 v25, v25, v28
	s_nop 0
	v_cndmask_b32_e64 v28, 0, 1, vcc
	v_lshlrev_b32_e32 v28, 2, v28
	v_add_lshl_u32 v115, v28, v106, 2
	ds_bpermute_b32 v28, v115, v25
	v_cmp_le_u32_e32 vcc, v116, v3
	s_waitcnt lgkmcnt(0)
	s_nop 0
	v_cndmask_b32_e32 v28, 0, v28, vcc
	v_cmp_gt_u32_e32 vcc, 56, v111
	v_add_u32_e32 v25, v25, v28
	s_nop 0
	v_cndmask_b32_e64 v28, 0, 1, vcc
	v_lshlrev_b32_e32 v28, 3, v28
	v_add_lshl_u32 v117, v28, v106, 2
	ds_bpermute_b32 v28, v117, v25
	v_cmp_le_u32_e32 vcc, v118, v3
	s_waitcnt lgkmcnt(0)
	s_nop 0
	;; [unrolled: 11-line block ×4, first 2 shown]
	v_cndmask_b32_e32 v3, 0, v28, vcc
	v_add_u32_e32 v28, v25, v3
	v_mov_b32_e32 v25, 0
	s_branch .LBB1165_90
.LBB1165_89:                            ;   in Loop: Header=BB1165_90 Depth=1
	s_or_b64 exec, exec, s[28:29]
	v_cmp_eq_u16_sdwa s[28:29], v29, v110 src0_sel:BYTE_0 src1_sel:DWORD
	ds_bpermute_b32 v123, v112, v28
	v_subrev_u32_e32 v24, 64, v24
	v_and_b32_e32 v30, s29, v27
	v_or_b32_e32 v30, 0x80000000, v30
	v_and_b32_e32 v31, s28, v26
	v_ffbl_b32_e32 v30, v30
	v_add_u32_e32 v30, 32, v30
	v_ffbl_b32_e32 v31, v31
	v_min_u32_e32 v30, v31, v30
	v_cmp_lt_u32_e32 vcc, v111, v30
	s_waitcnt lgkmcnt(0)
	s_nop 0
	v_cndmask_b32_e32 v31, 0, v123, vcc
	v_add_u32_e32 v28, v31, v28
	ds_bpermute_b32 v31, v113, v28
	v_cmp_le_u32_e32 vcc, v114, v30
	s_waitcnt lgkmcnt(0)
	s_nop 0
	v_cndmask_b32_e32 v31, 0, v31, vcc
	v_add_u32_e32 v28, v28, v31
	ds_bpermute_b32 v31, v115, v28
	v_cmp_le_u32_e32 vcc, v116, v30
	;; [unrolled: 6-line block ×5, first 2 shown]
	s_waitcnt lgkmcnt(0)
	s_nop 0
	v_cndmask_b32_e32 v30, 0, v31, vcc
	v_add3_u32 v28, v30, v3, v28
.LBB1165_90:                            ; =>This Loop Header: Depth=1
                                        ;     Child Loop BB1165_93 Depth 2
                                        ;       Child Loop BB1165_94 Depth 3
	v_cmp_ne_u16_sdwa s[28:29], v29, v110 src0_sel:BYTE_0 src1_sel:DWORD
	s_nop 1
	v_cndmask_b32_e64 v3, 0, 1, s[28:29]
	;;#ASMSTART
	;;#ASMEND
	s_nop 0
	v_cmp_ne_u32_e32 vcc, 0, v3
	s_cmp_lg_u64 vcc, exec
	v_mov_b32_e32 v3, v28
	s_cbranch_scc1 .LBB1165_97
; %bb.91:                               ;   in Loop: Header=BB1165_90 Depth=1
	v_lshl_add_u64 v[30:31], v[24:25], 3, s[36:37]
	global_load_dwordx2 v[28:29], v[30:31], off sc1
	s_waitcnt vmcnt(0)
	v_cmp_eq_u16_sdwa s[38:39], v29, v25 src0_sel:BYTE_0 src1_sel:DWORD
	s_and_saveexec_b64 s[28:29], s[38:39]
	s_cbranch_execz .LBB1165_89
; %bb.92:                               ;   in Loop: Header=BB1165_90 Depth=1
	s_mov_b32 s41, 1
	s_mov_b64 s[38:39], 0
.LBB1165_93:                            ;   Parent Loop BB1165_90 Depth=1
                                        ; =>  This Loop Header: Depth=2
                                        ;       Child Loop BB1165_94 Depth 3
	s_max_u32 s42, s41, 1
.LBB1165_94:                            ;   Parent Loop BB1165_90 Depth=1
                                        ;     Parent Loop BB1165_93 Depth=2
                                        ; =>    This Inner Loop Header: Depth=3
	s_add_i32 s42, s42, -1
	s_cmp_eq_u32 s42, 0
	s_sleep 1
	s_cbranch_scc0 .LBB1165_94
; %bb.95:                               ;   in Loop: Header=BB1165_93 Depth=2
	global_load_dwordx2 v[28:29], v[30:31], off sc1
	s_cmp_lt_u32 s41, 32
	s_cselect_b64 s[42:43], -1, 0
	s_cmp_lg_u64 s[42:43], 0
	s_addc_u32 s41, s41, 0
	s_waitcnt vmcnt(0)
	v_cmp_ne_u16_sdwa s[42:43], v29, v25 src0_sel:BYTE_0 src1_sel:DWORD
	s_or_b64 s[38:39], s[42:43], s[38:39]
	s_andn2_b64 exec, exec, s[38:39]
	s_cbranch_execnz .LBB1165_93
; %bb.96:                               ;   in Loop: Header=BB1165_90 Depth=1
	s_or_b64 exec, exec, s[38:39]
	s_branch .LBB1165_89
.LBB1165_97:                            ;   in Loop: Header=BB1165_90 Depth=1
                                        ; implicit-def: $vgpr28
                                        ; implicit-def: $vgpr29
	s_cbranch_execz .LBB1165_90
; %bb.98:
	s_and_saveexec_b64 s[28:29], s[18:19]
	s_cbranch_execz .LBB1165_100
; %bb.99:
	s_add_i32 s38, s40, 64
	s_mov_b32 s39, 0
	s_lshl_b64 s[38:39], s[38:39], 3
	s_add_u32 s38, s36, s38
	v_add_u32_e32 v24, v3, v2
	v_mov_b32_e32 v25, 2
	s_addc_u32 s39, s37, s39
	v_mov_b32_e32 v26, 0
	global_store_dwordx2 v26, v[24:25], s[38:39] sc1
	ds_write_b64 v26, v[2:3] offset:30720
.LBB1165_100:
	s_or_b64 exec, exec, s[28:29]
	s_and_b64 exec, exec, s[20:21]
	s_cbranch_execz .LBB1165_102
; %bb.101:
	v_mov_b32_e32 v2, 0
	ds_write_b32 v2, v3 offset:28
.LBB1165_102:
	s_or_b64 exec, exec, s[0:1]
	v_mov_b32_e32 v2, 0
	s_waitcnt lgkmcnt(0)
	s_barrier
	ds_read_b32 v24, v2 offset:28
	s_waitcnt lgkmcnt(0)
	s_barrier
	ds_read_b64 v[2:3], v2 offset:30720
	v_cndmask_b32_e64 v25, v109, v68, s[18:19]
	v_cndmask_b32_e64 v25, v25, 0, s[20:21]
	v_add_u32_e32 v24, v24, v25
	s_waitcnt lgkmcnt(0)
	v_mov_b32_e32 v68, v3
	s_branch .LBB1165_113
.LBB1165_103:
                                        ; implicit-def: $vgpr68
                                        ; implicit-def: $vgpr2
                                        ; implicit-def: $vgpr24
	s_cbranch_execz .LBB1165_113
; %bb.104:
	s_nop 0
	v_mov_b32_dpp v2, v108 row_shr:1 row_mask:0xf bank_mask:0xf
	v_cndmask_b32_e64 v2, v2, 0, s[16:17]
	v_add_u32_e32 v2, v2, v108
	s_nop 1
	v_mov_b32_dpp v3, v2 row_shr:2 row_mask:0xf bank_mask:0xf
	v_cndmask_b32_e64 v3, 0, v3, s[14:15]
	v_add_u32_e32 v2, v2, v3
	;; [unrolled: 4-line block ×4, first 2 shown]
	s_nop 1
	v_mov_b32_dpp v3, v2 row_bcast:15 row_mask:0xf bank_mask:0xf
	v_cndmask_b32_e64 v3, v3, 0, s[8:9]
	v_add_u32_e32 v2, v2, v3
	s_nop 1
	v_mov_b32_dpp v3, v2 row_bcast:31 row_mask:0xf bank_mask:0xf
	v_cndmask_b32_e64 v3, 0, v3, s[4:5]
	v_add_u32_e32 v2, v2, v3
	s_and_saveexec_b64 s[0:1], s[6:7]
	s_cbranch_execz .LBB1165_106
; %bb.105:
	v_lshlrev_b32_e32 v3, 2, v107
	ds_write_b32 v3, v2
.LBB1165_106:
	s_or_b64 exec, exec, s[0:1]
	v_cmp_gt_u32_e32 vcc, 8, v0
	s_waitcnt lgkmcnt(0)
	s_barrier
	s_and_saveexec_b64 s[0:1], vcc
	s_cbranch_execz .LBB1165_108
; %bb.107:
	v_lshlrev_b32_e32 v3, 2, v0
	ds_read_b32 v24, v3
	v_and_b32_e32 v25, 7, v106
	v_cmp_ne_u32_e32 vcc, 0, v25
	s_waitcnt lgkmcnt(0)
	v_mov_b32_dpp v26, v24 row_shr:1 row_mask:0xf bank_mask:0xf
	v_cndmask_b32_e32 v26, 0, v26, vcc
	v_add_u32_e32 v24, v26, v24
	v_cmp_lt_u32_e32 vcc, 1, v25
	s_nop 0
	v_mov_b32_dpp v26, v24 row_shr:2 row_mask:0xf bank_mask:0xf
	v_cndmask_b32_e32 v26, 0, v26, vcc
	v_add_u32_e32 v24, v24, v26
	v_cmp_lt_u32_e32 vcc, 3, v25
	s_nop 0
	v_mov_b32_dpp v26, v24 row_shr:4 row_mask:0xf bank_mask:0xf
	v_cndmask_b32_e32 v25, 0, v26, vcc
	v_add_u32_e32 v24, v24, v25
	ds_write_b32 v3, v24
.LBB1165_108:
	s_or_b64 exec, exec, s[0:1]
	v_cmp_lt_u32_e32 vcc, 63, v0
	v_mov_b32_e32 v3, 0
	v_mov_b32_e32 v24, 0
	s_waitcnt lgkmcnt(0)
	s_barrier
	s_and_saveexec_b64 s[0:1], vcc
	s_cbranch_execz .LBB1165_110
; %bb.109:
	v_lshl_add_u32 v24, v107, 2, -4
	ds_read_b32 v24, v24
.LBB1165_110:
	s_or_b64 exec, exec, s[0:1]
	v_add_u32_e32 v25, -1, v106
	v_and_b32_e32 v26, 64, v106
	v_cmp_lt_i32_e32 vcc, v25, v26
	s_waitcnt lgkmcnt(0)
	v_add_u32_e32 v2, v24, v2
	v_cndmask_b32_e32 v25, v25, v106, vcc
	v_lshlrev_b32_e32 v25, 2, v25
	ds_bpermute_b32 v25, v25, v2
	ds_read_b32 v2, v3 offset:28
	s_and_saveexec_b64 s[0:1], s[20:21]
	s_cbranch_execz .LBB1165_112
; %bb.111:
	v_mov_b32_e32 v26, 0
	v_mov_b32_e32 v3, 2
	s_waitcnt lgkmcnt(0)
	global_store_dwordx2 v26, v[2:3], s[36:37] offset:512 sc1
.LBB1165_112:
	s_or_b64 exec, exec, s[0:1]
	v_cmp_eq_u32_e32 vcc, 0, v106
	v_mov_b32_e32 v68, 0
	s_waitcnt lgkmcnt(0)
	v_cndmask_b32_e32 v3, v25, v24, vcc
	v_cndmask_b32_e64 v24, v3, 0, s[20:21]
	s_barrier
.LBB1165_113:
	v_add_u32_e32 v3, v24, v78
	v_add_u32_e32 v25, v3, v79
	;; [unrolled: 1-line block ×21, first 2 shown]
	v_sub_u32_e32 v24, v24, v68
	v_and_b32_e32 v77, 1, v77
	v_add_u32_e32 v90, v89, v98
	v_sub_u32_e32 v98, v44, v24
	v_cmp_eq_u32_e32 vcc, 1, v77
	v_sub_u32_e32 v3, v3, v68
	v_add_u32_e32 v91, v90, v99
	v_cndmask_b32_e32 v24, v98, v24, vcc
	v_lshlrev_b32_e32 v24, 1, v24
	ds_write_b16 v24, v22
	v_sub_u32_e32 v22, v44, v3
	v_and_b32_e32 v24, 1, v76
	v_add_u32_e32 v22, 1, v22
	v_cmp_eq_u32_e32 vcc, 1, v24
	v_and_b32_e32 v24, 1, v75
	v_add_u32_e32 v92, v91, v100
	v_cndmask_b32_e32 v3, v22, v3, vcc
	v_lshlrev_b32_e32 v3, 1, v3
	ds_write_b16 v3, v46
	v_sub_u32_e32 v3, v25, v68
	v_sub_u32_e32 v22, v44, v3
	v_add_u32_e32 v22, 2, v22
	v_cmp_eq_u32_e32 vcc, 1, v24
	v_add_u32_e32 v93, v92, v101
	v_add_u32_e32 v94, v93, v102
	v_cndmask_b32_e32 v3, v22, v3, vcc
	v_lshlrev_b32_e32 v3, 1, v3
	ds_write_b16 v3, v23
	v_sub_u32_e32 v3, v26, v68
	v_sub_u32_e32 v22, v44, v3
	v_and_b32_e32 v23, 1, v74
	v_add_u32_e32 v22, 3, v22
	v_cmp_eq_u32_e32 vcc, 1, v23
	v_and_b32_e32 v23, 1, v73
	v_add_u32_e32 v95, v94, v103
	v_cndmask_b32_e32 v3, v22, v3, vcc
	v_lshlrev_b32_e32 v3, 1, v3
	ds_write_b16 v3, v45
	v_sub_u32_e32 v3, v27, v68
	v_sub_u32_e32 v22, v44, v3
	v_add_u32_e32 v22, 4, v22
	v_cmp_eq_u32_e32 vcc, 1, v23
	v_add_u32_e32 v96, v95, v104
	v_add_u32_e32 v97, v96, v105
	v_cndmask_b32_e32 v3, v22, v3, vcc
	v_lshlrev_b32_e32 v3, 1, v3
	ds_write_b16 v3, v20
	v_sub_u32_e32 v3, v28, v68
	v_sub_u32_e32 v20, v44, v3
	v_and_b32_e32 v22, 1, v72
	v_add_u32_e32 v20, 5, v20
	v_cmp_eq_u32_e32 vcc, 1, v22
	v_and_b32_e32 v22, 1, v71
	v_lshl_add_u64 v[8:9], s[30:31], 0, v[8:9]
	v_cndmask_b32_e32 v3, v20, v3, vcc
	v_lshlrev_b32_e32 v3, 1, v3
	ds_write_b16 v3, v43
	v_sub_u32_e32 v3, v29, v68
	v_sub_u32_e32 v20, v44, v3
	v_add_u32_e32 v20, 6, v20
	v_cmp_eq_u32_e32 vcc, 1, v22
	v_or_b32_e32 v46, 0x1600, v0
	v_or_b32_e32 v28, 0x2800, v0
	v_cndmask_b32_e32 v3, v20, v3, vcc
	v_lshlrev_b32_e32 v3, 1, v3
	ds_write_b16 v3, v21
	v_sub_u32_e32 v3, v30, v68
	v_sub_u32_e32 v20, v44, v3
	v_and_b32_e32 v21, 1, v70
	v_add_u32_e32 v20, 7, v20
	v_cmp_eq_u32_e32 vcc, 1, v21
	v_and_b32_e32 v21, 1, v69
	v_or_b32_e32 v30, 0x2600, v0
	v_cndmask_b32_e32 v3, v20, v3, vcc
	v_lshlrev_b32_e32 v3, 1, v3
	ds_write_b16 v3, v42
	v_sub_u32_e32 v3, v31, v68
	v_sub_u32_e32 v20, v44, v3
	v_add_u32_e32 v20, 8, v20
	v_cmp_eq_u32_e32 vcc, 1, v21
	v_or_b32_e32 v42, 0x1a00, v0
	v_or_b32_e32 v26, 0x2a00, v0
	v_cndmask_b32_e32 v3, v20, v3, vcc
	v_lshlrev_b32_e32 v3, 1, v3
	ds_write_b16 v3, v18
	v_sub_u32_e32 v3, v78, v68
	v_sub_u32_e32 v18, v44, v3
	v_and_b32_e32 v20, 1, v67
	v_add_u32_e32 v18, 9, v18
	v_cmp_eq_u32_e32 vcc, 1, v20
	v_and_b32_e32 v20, 1, v66
	v_or_b32_e32 v66, 0x200, v0
	;; [unrolled: 19-line block ×4, first 2 shown]
	v_cndmask_b32_e32 v3, v14, v3, vcc
	v_lshlrev_b32_e32 v3, 1, v3
	ds_write_b16 v3, v39
	v_sub_u32_e32 v3, v83, v68
	v_sub_u32_e32 v14, v44, v3
	v_add_u32_e32 v14, 14, v14
	v_cmp_eq_u32_e32 vcc, 1, v18
	v_or_b32_e32 v18, 0x3200, v0
	s_nop 0
	v_cndmask_b32_e32 v3, v14, v3, vcc
	v_lshlrev_b32_e32 v3, 1, v3
	ds_write_b16 v3, v15
	v_sub_u32_e32 v3, v84, v68
	v_sub_u32_e32 v14, v44, v3
	v_and_b32_e32 v15, 1, v61
	v_add_u32_e32 v14, 15, v14
	v_cmp_eq_u32_e32 vcc, 1, v15
	v_and_b32_e32 v15, 1, v60
	v_or_b32_e32 v60, 0x800, v0
	v_cndmask_b32_e32 v3, v14, v3, vcc
	v_lshlrev_b32_e32 v3, 1, v3
	ds_write_b16 v3, v38
	v_sub_u32_e32 v3, v85, v68
	v_sub_u32_e32 v14, v44, v3
	v_add_u32_e32 v14, 16, v14
	v_cmp_eq_u32_e32 vcc, 1, v15
	v_or_b32_e32 v38, 0x1e00, v0
	s_nop 0
	v_cndmask_b32_e32 v3, v14, v3, vcc
	v_lshlrev_b32_e32 v3, 1, v3
	ds_write_b16 v3, v12
	v_sub_u32_e32 v3, v86, v68
	v_sub_u32_e32 v12, v44, v3
	v_and_b32_e32 v14, 1, v59
	v_add_u32_e32 v12, 17, v12
	v_cmp_eq_u32_e32 vcc, 1, v14
	v_and_b32_e32 v14, 1, v58
	v_or_b32_e32 v58, 0xa00, v0
	;; [unrolled: 19-line block ×6, first 2 shown]
	v_cndmask_b32_e32 v3, v6, v3, vcc
	v_lshlrev_b32_e32 v3, 1, v3
	ds_write_b16 v3, v33
	v_sub_u32_e32 v3, v95, v68
	v_sub_u32_e32 v6, v44, v3
	v_add_u32_e32 v6, 26, v6
	v_cmp_eq_u32_e32 vcc, 1, v10
	v_or_b32_e32 v10, 0x3800, v0
	s_nop 0
	v_cndmask_b32_e32 v3, v6, v3, vcc
	v_lshlrev_b32_e32 v3, 1, v3
	ds_write_b16 v3, v7
	v_sub_u32_e32 v3, v96, v68
	v_sub_u32_e32 v6, v44, v3
	v_and_b32_e32 v7, 1, v49
	v_add_u32_e32 v6, 27, v6
	v_cmp_eq_u32_e32 vcc, 1, v7
	v_and_b32_e32 v7, 1, v47
	s_nop 0
	v_cndmask_b32_e32 v3, v6, v3, vcc
	v_lshlrev_b32_e32 v3, 1, v3
	ds_write_b16 v3, v32
	v_sub_u32_e32 v3, v97, v68
	v_sub_u32_e32 v6, v44, v3
	v_add_u32_e32 v6, 28, v6
	v_cmp_eq_u32_e32 vcc, 1, v7
	v_and_b32_e32 v7, 1, v48
	v_or_b32_e32 v48, 0x1400, v0
	v_cndmask_b32_e32 v3, v6, v3, vcc
	v_lshlrev_b32_e32 v3, 1, v3
	ds_write_b16 v3, v17
	v_sub_u32_sdwa v3, v47, v68 dst_sel:DWORD dst_unused:UNUSED_PAD src0_sel:BYTE_0 src1_sel:DWORD
	v_add_u32_e32 v3, v97, v3
	v_sub_u32_e32 v6, v44, v3
	v_add_u32_e32 v6, 29, v6
	v_cmp_eq_u32_e32 vcc, 1, v7
	v_or_b32_e32 v44, 0x1800, v0
	v_or_b32_e32 v32, 0x2400, v0
	v_cndmask_b32_e32 v3, v6, v3, vcc
	v_lshlrev_b32_e32 v3, 1, v3
	ds_write_b16 v3, v1
	s_waitcnt lgkmcnt(0)
	s_barrier
	ds_read_u16 v99, v16
	ds_read_u16 v98, v16 offset:1024
	ds_read_u16 v97, v16 offset:2048
	;; [unrolled: 1-line block ×29, first 2 shown]
	v_mov_b32_e32 v1, 0
	v_mov_b32_e32 v16, s35
	v_sub_co_u32_e32 v8, vcc, s34, v8
	v_mov_b32_e32 v69, v1
	v_mov_b32_e32 v3, v1
	v_subb_co_u32_e32 v9, vcc, v16, v9, vcc
	s_waitcnt vmcnt(0)
	v_lshl_add_u64 v[4:5], v[4:5], 0, v[68:69]
	v_lshl_add_u64 v[8:9], v[8:9], 0, v[2:3]
	v_mov_b32_e32 v67, v1
	v_mov_b32_e32 v65, v1
	;; [unrolled: 1-line block ×28, first 2 shown]
	v_or_b32_e32 v6, 0x3a00, v0
	v_mov_b32_e32 v7, v1
	s_and_b64 vcc, exec, s[2:3]
	v_lshl_add_u64 v[8:9], v[8:9], 0, v[4:5]
	s_cbranch_vccnz .LBB1165_238
; %bb.114:
	v_cmp_ge_u32_e32 vcc, v0, v2
                                        ; implicit-def: $vgpr16_vgpr17
	s_and_saveexec_b64 s[0:1], vcc
	s_xor_b64 s[0:1], exec, s[0:1]
; %bb.115:
	v_not_b32_e32 v16, v0
	v_ashrrev_i32_e32 v17, 31, v16
	v_lshl_add_u64 v[16:17], v[8:9], 0, v[16:17]
; %bb.116:
	s_andn2_saveexec_b64 s[0:1], s[0:1]
; %bb.117:
	v_lshl_add_u64 v[16:17], v[4:5], 0, v[0:1]
; %bb.118:
	s_or_b64 exec, exec, s[0:1]
	v_lshl_add_u64 v[16:17], v[16:17], 1, s[22:23]
	v_cmp_ge_u32_e32 vcc, v66, v2
	s_waitcnt lgkmcnt(14)
	global_store_short v[16:17], v99, off
                                        ; implicit-def: $vgpr16_vgpr17
	s_and_saveexec_b64 s[0:1], vcc
	s_xor_b64 s[0:1], exec, s[0:1]
; %bb.119:
	v_xor_b32_e32 v16, 0xfffffdff, v0
	v_ashrrev_i32_e32 v17, 31, v16
	v_lshl_add_u64 v[16:17], v[8:9], 0, v[16:17]
; %bb.120:
	s_andn2_saveexec_b64 s[0:1], s[0:1]
; %bb.121:
	v_lshl_add_u64 v[16:17], v[4:5], 0, v[66:67]
; %bb.122:
	s_or_b64 exec, exec, s[0:1]
	v_lshl_add_u64 v[16:17], v[16:17], 1, s[22:23]
	v_cmp_ge_u32_e32 vcc, v64, v2
	global_store_short v[16:17], v98, off
                                        ; implicit-def: $vgpr16_vgpr17
	s_and_saveexec_b64 s[0:1], vcc
	s_xor_b64 s[0:1], exec, s[0:1]
; %bb.123:
	v_xor_b32_e32 v16, 0xfffffbff, v0
	v_ashrrev_i32_e32 v17, 31, v16
	v_lshl_add_u64 v[16:17], v[8:9], 0, v[16:17]
; %bb.124:
	s_andn2_saveexec_b64 s[0:1], s[0:1]
; %bb.125:
	v_lshl_add_u64 v[16:17], v[4:5], 0, v[64:65]
; %bb.126:
	s_or_b64 exec, exec, s[0:1]
	v_lshl_add_u64 v[16:17], v[16:17], 1, s[22:23]
	v_cmp_ge_u32_e32 vcc, v62, v2
	;; [unrolled: 16-line block ×16, first 2 shown]
	s_waitcnt lgkmcnt(13)
	global_store_short v[16:17], v83, off
                                        ; implicit-def: $vgpr16_vgpr17
	s_and_saveexec_b64 s[0:1], vcc
	s_xor_b64 s[0:1], exec, s[0:1]
; %bb.183:
	v_xor_b32_e32 v16, 0xffffddff, v0
	v_ashrrev_i32_e32 v17, 31, v16
	v_lshl_add_u64 v[16:17], v[8:9], 0, v[16:17]
; %bb.184:
	s_andn2_saveexec_b64 s[0:1], s[0:1]
; %bb.185:
	v_lshl_add_u64 v[16:17], v[4:5], 0, v[34:35]
; %bb.186:
	s_or_b64 exec, exec, s[0:1]
	v_lshl_add_u64 v[16:17], v[16:17], 1, s[22:23]
	v_cmp_ge_u32_e32 vcc, v32, v2
	s_waitcnt lgkmcnt(12)
	global_store_short v[16:17], v82, off
                                        ; implicit-def: $vgpr16_vgpr17
	s_and_saveexec_b64 s[0:1], vcc
	s_xor_b64 s[0:1], exec, s[0:1]
; %bb.187:
	v_xor_b32_e32 v16, 0xffffdbff, v0
	v_ashrrev_i32_e32 v17, 31, v16
	v_lshl_add_u64 v[16:17], v[8:9], 0, v[16:17]
; %bb.188:
	s_andn2_saveexec_b64 s[0:1], s[0:1]
; %bb.189:
	v_lshl_add_u64 v[16:17], v[4:5], 0, v[32:33]
; %bb.190:
	s_or_b64 exec, exec, s[0:1]
	v_lshl_add_u64 v[16:17], v[16:17], 1, s[22:23]
	v_cmp_ge_u32_e32 vcc, v30, v2
	;; [unrolled: 17-line block ×12, first 2 shown]
	s_waitcnt lgkmcnt(1)
	global_store_short v[16:17], v71, off
                                        ; implicit-def: $vgpr16_vgpr17
	s_and_saveexec_b64 s[0:1], vcc
	s_xor_b64 s[0:1], exec, s[0:1]
; %bb.231:
	v_xor_b32_e32 v16, 0xffffc5ff, v0
	v_ashrrev_i32_e32 v17, 31, v16
	v_lshl_add_u64 v[16:17], v[8:9], 0, v[16:17]
; %bb.232:
	s_andn2_saveexec_b64 s[0:1], s[0:1]
; %bb.233:
	v_lshl_add_u64 v[16:17], v[4:5], 0, v[6:7]
; %bb.234:
	s_or_b64 exec, exec, s[0:1]
	s_mov_b64 s[0:1], -1
.LBB1165_235:
	s_and_saveexec_b64 s[2:3], s[0:1]
	s_cbranch_execz .LBB1165_326
.LBB1165_236:
	v_lshl_add_u64 v[0:1], v[16:17], 1, s[22:23]
	s_waitcnt lgkmcnt(0)
	global_store_short v[0:1], v70, off
	s_or_b64 exec, exec, s[2:3]
	s_and_b64 s[0:1], s[20:21], s[26:27]
	s_and_saveexec_b64 s[2:3], s[0:1]
	s_cbranch_execnz .LBB1165_327
.LBB1165_237:
	s_endpgm
.LBB1165_238:
	s_mov_b64 s[0:1], 0
                                        ; implicit-def: $vgpr16_vgpr17
	s_cbranch_execz .LBB1165_235
; %bb.239:
	v_cmp_gt_u32_e32 vcc, s33, v0
	s_and_saveexec_b64 s[2:3], vcc
	s_cbranch_execz .LBB1165_328
; %bb.240:
	v_cmp_ge_u32_e32 vcc, v0, v2
                                        ; implicit-def: $vgpr16_vgpr17
	s_and_saveexec_b64 s[4:5], vcc
	s_xor_b64 s[4:5], exec, s[4:5]
; %bb.241:
	v_not_b32_e32 v16, v0
	v_ashrrev_i32_e32 v17, 31, v16
	v_lshl_add_u64 v[16:17], v[8:9], 0, v[16:17]
; %bb.242:
	s_andn2_saveexec_b64 s[4:5], s[4:5]
; %bb.243:
	v_lshl_add_u64 v[16:17], v[4:5], 0, v[0:1]
; %bb.244:
	s_or_b64 exec, exec, s[4:5]
	v_lshl_add_u64 v[16:17], v[16:17], 1, s[22:23]
	s_waitcnt lgkmcnt(14)
	global_store_short v[16:17], v99, off
	s_or_b64 exec, exec, s[2:3]
	v_cmp_gt_u32_e32 vcc, s33, v66
	s_and_saveexec_b64 s[2:3], vcc
	s_cbranch_execnz .LBB1165_329
.LBB1165_245:
	s_or_b64 exec, exec, s[2:3]
	v_cmp_gt_u32_e32 vcc, s33, v64
	s_and_saveexec_b64 s[2:3], vcc
	s_cbranch_execz .LBB1165_334
.LBB1165_246:
	v_cmp_ge_u32_e32 vcc, v64, v2
                                        ; implicit-def: $vgpr16_vgpr17
	s_and_saveexec_b64 s[4:5], vcc
	s_xor_b64 s[4:5], exec, s[4:5]
; %bb.247:
	v_xor_b32_e32 v16, 0xfffffbff, v0
	v_ashrrev_i32_e32 v17, 31, v16
	v_lshl_add_u64 v[16:17], v[8:9], 0, v[16:17]
                                        ; implicit-def: $vgpr64_vgpr65
; %bb.248:
	s_andn2_saveexec_b64 s[4:5], s[4:5]
; %bb.249:
	v_lshl_add_u64 v[16:17], v[4:5], 0, v[64:65]
; %bb.250:
	s_or_b64 exec, exec, s[4:5]
	v_lshl_add_u64 v[16:17], v[16:17], 1, s[22:23]
	s_waitcnt lgkmcnt(14)
	global_store_short v[16:17], v97, off
	s_or_b64 exec, exec, s[2:3]
	v_cmp_gt_u32_e32 vcc, s33, v62
	s_and_saveexec_b64 s[2:3], vcc
	s_cbranch_execnz .LBB1165_335
.LBB1165_251:
	s_or_b64 exec, exec, s[2:3]
	v_cmp_gt_u32_e32 vcc, s33, v60
	s_and_saveexec_b64 s[2:3], vcc
	s_cbranch_execz .LBB1165_340
.LBB1165_252:
	v_cmp_ge_u32_e32 vcc, v60, v2
                                        ; implicit-def: $vgpr16_vgpr17
	s_and_saveexec_b64 s[4:5], vcc
	s_xor_b64 s[4:5], exec, s[4:5]
; %bb.253:
	v_xor_b32_e32 v16, 0xfffff7ff, v0
	v_ashrrev_i32_e32 v17, 31, v16
	v_lshl_add_u64 v[16:17], v[8:9], 0, v[16:17]
                                        ; implicit-def: $vgpr60_vgpr61
; %bb.254:
	s_andn2_saveexec_b64 s[4:5], s[4:5]
; %bb.255:
	v_lshl_add_u64 v[16:17], v[4:5], 0, v[60:61]
; %bb.256:
	s_or_b64 exec, exec, s[4:5]
	v_lshl_add_u64 v[16:17], v[16:17], 1, s[22:23]
	s_waitcnt lgkmcnt(14)
	global_store_short v[16:17], v95, off
	s_or_b64 exec, exec, s[2:3]
	v_cmp_gt_u32_e32 vcc, s33, v58
	s_and_saveexec_b64 s[2:3], vcc
	s_cbranch_execnz .LBB1165_341
.LBB1165_257:
	s_or_b64 exec, exec, s[2:3]
	v_cmp_gt_u32_e32 vcc, s33, v56
	s_and_saveexec_b64 s[2:3], vcc
	s_cbranch_execz .LBB1165_346
.LBB1165_258:
	v_cmp_ge_u32_e32 vcc, v56, v2
                                        ; implicit-def: $vgpr16_vgpr17
	s_and_saveexec_b64 s[4:5], vcc
	s_xor_b64 s[4:5], exec, s[4:5]
; %bb.259:
	v_xor_b32_e32 v16, 0xfffff3ff, v0
	v_ashrrev_i32_e32 v17, 31, v16
	v_lshl_add_u64 v[16:17], v[8:9], 0, v[16:17]
                                        ; implicit-def: $vgpr56_vgpr57
; %bb.260:
	s_andn2_saveexec_b64 s[4:5], s[4:5]
; %bb.261:
	v_lshl_add_u64 v[16:17], v[4:5], 0, v[56:57]
; %bb.262:
	s_or_b64 exec, exec, s[4:5]
	v_lshl_add_u64 v[16:17], v[16:17], 1, s[22:23]
	s_waitcnt lgkmcnt(14)
	global_store_short v[16:17], v93, off
	s_or_b64 exec, exec, s[2:3]
	v_cmp_gt_u32_e32 vcc, s33, v54
	s_and_saveexec_b64 s[2:3], vcc
	s_cbranch_execnz .LBB1165_347
.LBB1165_263:
	s_or_b64 exec, exec, s[2:3]
	v_cmp_gt_u32_e32 vcc, s33, v52
	s_and_saveexec_b64 s[2:3], vcc
	s_cbranch_execz .LBB1165_352
.LBB1165_264:
	v_cmp_ge_u32_e32 vcc, v52, v2
                                        ; implicit-def: $vgpr16_vgpr17
	s_and_saveexec_b64 s[4:5], vcc
	s_xor_b64 s[4:5], exec, s[4:5]
; %bb.265:
	v_xor_b32_e32 v16, 0xffffefff, v0
	v_ashrrev_i32_e32 v17, 31, v16
	v_lshl_add_u64 v[16:17], v[8:9], 0, v[16:17]
                                        ; implicit-def: $vgpr52_vgpr53
; %bb.266:
	s_andn2_saveexec_b64 s[4:5], s[4:5]
; %bb.267:
	v_lshl_add_u64 v[16:17], v[4:5], 0, v[52:53]
; %bb.268:
	s_or_b64 exec, exec, s[4:5]
	v_lshl_add_u64 v[16:17], v[16:17], 1, s[22:23]
	s_waitcnt lgkmcnt(14)
	global_store_short v[16:17], v91, off
	s_or_b64 exec, exec, s[2:3]
	v_cmp_gt_u32_e32 vcc, s33, v50
	s_and_saveexec_b64 s[2:3], vcc
	s_cbranch_execnz .LBB1165_353
.LBB1165_269:
	s_or_b64 exec, exec, s[2:3]
	v_cmp_gt_u32_e32 vcc, s33, v48
	s_and_saveexec_b64 s[2:3], vcc
	s_cbranch_execz .LBB1165_358
.LBB1165_270:
	v_cmp_ge_u32_e32 vcc, v48, v2
                                        ; implicit-def: $vgpr16_vgpr17
	s_and_saveexec_b64 s[4:5], vcc
	s_xor_b64 s[4:5], exec, s[4:5]
; %bb.271:
	v_xor_b32_e32 v16, 0xffffebff, v0
	v_ashrrev_i32_e32 v17, 31, v16
	v_lshl_add_u64 v[16:17], v[8:9], 0, v[16:17]
                                        ; implicit-def: $vgpr48_vgpr49
; %bb.272:
	s_andn2_saveexec_b64 s[4:5], s[4:5]
; %bb.273:
	v_lshl_add_u64 v[16:17], v[4:5], 0, v[48:49]
; %bb.274:
	s_or_b64 exec, exec, s[4:5]
	v_lshl_add_u64 v[16:17], v[16:17], 1, s[22:23]
	s_waitcnt lgkmcnt(14)
	global_store_short v[16:17], v89, off
	s_or_b64 exec, exec, s[2:3]
	v_cmp_gt_u32_e32 vcc, s33, v46
	s_and_saveexec_b64 s[2:3], vcc
	s_cbranch_execnz .LBB1165_359
.LBB1165_275:
	s_or_b64 exec, exec, s[2:3]
	v_cmp_gt_u32_e32 vcc, s33, v44
	s_and_saveexec_b64 s[2:3], vcc
	s_cbranch_execz .LBB1165_364
.LBB1165_276:
	v_cmp_ge_u32_e32 vcc, v44, v2
                                        ; implicit-def: $vgpr16_vgpr17
	s_and_saveexec_b64 s[4:5], vcc
	s_xor_b64 s[4:5], exec, s[4:5]
; %bb.277:
	v_xor_b32_e32 v16, 0xffffe7ff, v0
	v_ashrrev_i32_e32 v17, 31, v16
	v_lshl_add_u64 v[16:17], v[8:9], 0, v[16:17]
                                        ; implicit-def: $vgpr44_vgpr45
; %bb.278:
	s_andn2_saveexec_b64 s[4:5], s[4:5]
; %bb.279:
	v_lshl_add_u64 v[16:17], v[4:5], 0, v[44:45]
; %bb.280:
	s_or_b64 exec, exec, s[4:5]
	v_lshl_add_u64 v[16:17], v[16:17], 1, s[22:23]
	s_waitcnt lgkmcnt(14)
	global_store_short v[16:17], v87, off
	s_or_b64 exec, exec, s[2:3]
	v_cmp_gt_u32_e32 vcc, s33, v42
	s_and_saveexec_b64 s[2:3], vcc
	s_cbranch_execnz .LBB1165_365
.LBB1165_281:
	s_or_b64 exec, exec, s[2:3]
	v_cmp_gt_u32_e32 vcc, s33, v40
	s_and_saveexec_b64 s[2:3], vcc
	s_cbranch_execz .LBB1165_370
.LBB1165_282:
	v_cmp_ge_u32_e32 vcc, v40, v2
                                        ; implicit-def: $vgpr16_vgpr17
	s_and_saveexec_b64 s[4:5], vcc
	s_xor_b64 s[4:5], exec, s[4:5]
; %bb.283:
	v_xor_b32_e32 v16, 0xffffe3ff, v0
	v_ashrrev_i32_e32 v17, 31, v16
	v_lshl_add_u64 v[16:17], v[8:9], 0, v[16:17]
                                        ; implicit-def: $vgpr40_vgpr41
; %bb.284:
	s_andn2_saveexec_b64 s[4:5], s[4:5]
; %bb.285:
	v_lshl_add_u64 v[16:17], v[4:5], 0, v[40:41]
; %bb.286:
	s_or_b64 exec, exec, s[4:5]
	v_lshl_add_u64 v[16:17], v[16:17], 1, s[22:23]
	s_waitcnt lgkmcnt(14)
	global_store_short v[16:17], v85, off
	s_or_b64 exec, exec, s[2:3]
	v_cmp_gt_u32_e32 vcc, s33, v38
	s_and_saveexec_b64 s[2:3], vcc
	s_cbranch_execnz .LBB1165_371
.LBB1165_287:
	s_or_b64 exec, exec, s[2:3]
	v_cmp_gt_u32_e32 vcc, s33, v36
	s_and_saveexec_b64 s[2:3], vcc
	s_cbranch_execz .LBB1165_376
.LBB1165_288:
	v_cmp_ge_u32_e32 vcc, v36, v2
                                        ; implicit-def: $vgpr16_vgpr17
	s_and_saveexec_b64 s[4:5], vcc
	s_xor_b64 s[4:5], exec, s[4:5]
; %bb.289:
	v_xor_b32_e32 v16, 0xffffdfff, v0
	v_ashrrev_i32_e32 v17, 31, v16
	v_lshl_add_u64 v[16:17], v[8:9], 0, v[16:17]
                                        ; implicit-def: $vgpr36_vgpr37
; %bb.290:
	s_andn2_saveexec_b64 s[4:5], s[4:5]
; %bb.291:
	v_lshl_add_u64 v[16:17], v[4:5], 0, v[36:37]
; %bb.292:
	s_or_b64 exec, exec, s[4:5]
	v_lshl_add_u64 v[16:17], v[16:17], 1, s[22:23]
	s_waitcnt lgkmcnt(13)
	global_store_short v[16:17], v83, off
	s_or_b64 exec, exec, s[2:3]
	v_cmp_gt_u32_e32 vcc, s33, v34
	s_and_saveexec_b64 s[2:3], vcc
	s_cbranch_execnz .LBB1165_377
.LBB1165_293:
	s_or_b64 exec, exec, s[2:3]
	v_cmp_gt_u32_e32 vcc, s33, v32
	s_and_saveexec_b64 s[2:3], vcc
	s_cbranch_execz .LBB1165_382
.LBB1165_294:
	v_cmp_ge_u32_e32 vcc, v32, v2
                                        ; implicit-def: $vgpr16_vgpr17
	s_and_saveexec_b64 s[4:5], vcc
	s_xor_b64 s[4:5], exec, s[4:5]
; %bb.295:
	v_xor_b32_e32 v16, 0xffffdbff, v0
	v_ashrrev_i32_e32 v17, 31, v16
	v_lshl_add_u64 v[16:17], v[8:9], 0, v[16:17]
                                        ; implicit-def: $vgpr32_vgpr33
; %bb.296:
	s_andn2_saveexec_b64 s[4:5], s[4:5]
; %bb.297:
	v_lshl_add_u64 v[16:17], v[4:5], 0, v[32:33]
; %bb.298:
	s_or_b64 exec, exec, s[4:5]
	v_lshl_add_u64 v[16:17], v[16:17], 1, s[22:23]
	s_waitcnt lgkmcnt(11)
	global_store_short v[16:17], v81, off
	s_or_b64 exec, exec, s[2:3]
	v_cmp_gt_u32_e32 vcc, s33, v30
	s_and_saveexec_b64 s[2:3], vcc
	s_cbranch_execnz .LBB1165_383
.LBB1165_299:
	s_or_b64 exec, exec, s[2:3]
	v_cmp_gt_u32_e32 vcc, s33, v28
	s_and_saveexec_b64 s[2:3], vcc
	s_cbranch_execz .LBB1165_388
.LBB1165_300:
	v_cmp_ge_u32_e32 vcc, v28, v2
                                        ; implicit-def: $vgpr16_vgpr17
	s_and_saveexec_b64 s[4:5], vcc
	s_xor_b64 s[4:5], exec, s[4:5]
; %bb.301:
	v_xor_b32_e32 v16, 0xffffd7ff, v0
	v_ashrrev_i32_e32 v17, 31, v16
	v_lshl_add_u64 v[16:17], v[8:9], 0, v[16:17]
                                        ; implicit-def: $vgpr28_vgpr29
; %bb.302:
	s_andn2_saveexec_b64 s[4:5], s[4:5]
; %bb.303:
	v_lshl_add_u64 v[16:17], v[4:5], 0, v[28:29]
; %bb.304:
	s_or_b64 exec, exec, s[4:5]
	v_lshl_add_u64 v[16:17], v[16:17], 1, s[22:23]
	s_waitcnt lgkmcnt(9)
	global_store_short v[16:17], v79, off
	s_or_b64 exec, exec, s[2:3]
	v_cmp_gt_u32_e32 vcc, s33, v26
	s_and_saveexec_b64 s[2:3], vcc
	s_cbranch_execnz .LBB1165_389
.LBB1165_305:
	s_or_b64 exec, exec, s[2:3]
	v_cmp_gt_u32_e32 vcc, s33, v24
	s_and_saveexec_b64 s[2:3], vcc
	s_cbranch_execz .LBB1165_394
.LBB1165_306:
	v_cmp_ge_u32_e32 vcc, v24, v2
                                        ; implicit-def: $vgpr16_vgpr17
	s_and_saveexec_b64 s[4:5], vcc
	s_xor_b64 s[4:5], exec, s[4:5]
; %bb.307:
	v_xor_b32_e32 v16, 0xffffd3ff, v0
	v_ashrrev_i32_e32 v17, 31, v16
	v_lshl_add_u64 v[16:17], v[8:9], 0, v[16:17]
                                        ; implicit-def: $vgpr24_vgpr25
; %bb.308:
	s_andn2_saveexec_b64 s[4:5], s[4:5]
; %bb.309:
	v_lshl_add_u64 v[16:17], v[4:5], 0, v[24:25]
; %bb.310:
	s_or_b64 exec, exec, s[4:5]
	v_lshl_add_u64 v[16:17], v[16:17], 1, s[22:23]
	s_waitcnt lgkmcnt(7)
	global_store_short v[16:17], v77, off
	s_or_b64 exec, exec, s[2:3]
	v_cmp_gt_u32_e32 vcc, s33, v22
	s_and_saveexec_b64 s[2:3], vcc
	s_cbranch_execnz .LBB1165_395
.LBB1165_311:
	s_or_b64 exec, exec, s[2:3]
	v_cmp_gt_u32_e32 vcc, s33, v20
	s_and_saveexec_b64 s[2:3], vcc
	s_cbranch_execz .LBB1165_400
.LBB1165_312:
	v_cmp_ge_u32_e32 vcc, v20, v2
                                        ; implicit-def: $vgpr16_vgpr17
	s_and_saveexec_b64 s[4:5], vcc
	s_xor_b64 s[4:5], exec, s[4:5]
; %bb.313:
	v_xor_b32_e32 v16, 0xffffcfff, v0
	v_ashrrev_i32_e32 v17, 31, v16
	v_lshl_add_u64 v[16:17], v[8:9], 0, v[16:17]
                                        ; implicit-def: $vgpr20_vgpr21
; %bb.314:
	s_andn2_saveexec_b64 s[4:5], s[4:5]
; %bb.315:
	v_lshl_add_u64 v[16:17], v[4:5], 0, v[20:21]
; %bb.316:
	s_or_b64 exec, exec, s[4:5]
	v_lshl_add_u64 v[16:17], v[16:17], 1, s[22:23]
	s_waitcnt lgkmcnt(5)
	global_store_short v[16:17], v75, off
	s_or_b64 exec, exec, s[2:3]
	v_cmp_gt_u32_e32 vcc, s33, v18
	s_and_saveexec_b64 s[2:3], vcc
	s_cbranch_execnz .LBB1165_401
.LBB1165_317:
	s_or_b64 exec, exec, s[2:3]
	v_cmp_gt_u32_e32 vcc, s33, v14
	s_and_saveexec_b64 s[2:3], vcc
	s_cbranch_execz .LBB1165_406
.LBB1165_318:
	v_cmp_ge_u32_e32 vcc, v14, v2
                                        ; implicit-def: $vgpr16_vgpr17
	s_and_saveexec_b64 s[4:5], vcc
	s_xor_b64 s[4:5], exec, s[4:5]
; %bb.319:
	v_xor_b32_e32 v14, 0xffffcbff, v0
	v_ashrrev_i32_e32 v15, 31, v14
	v_lshl_add_u64 v[16:17], v[8:9], 0, v[14:15]
                                        ; implicit-def: $vgpr14_vgpr15
; %bb.320:
	s_andn2_saveexec_b64 s[4:5], s[4:5]
; %bb.321:
	v_lshl_add_u64 v[16:17], v[4:5], 0, v[14:15]
; %bb.322:
	s_or_b64 exec, exec, s[4:5]
	v_lshl_add_u64 v[14:15], v[16:17], 1, s[22:23]
	s_waitcnt lgkmcnt(3)
	global_store_short v[14:15], v73, off
	s_or_b64 exec, exec, s[2:3]
	v_cmp_gt_u32_e32 vcc, s33, v12
	s_and_saveexec_b64 s[2:3], vcc
	s_cbranch_execnz .LBB1165_407
.LBB1165_323:
	s_or_b64 exec, exec, s[2:3]
	v_cmp_gt_u32_e32 vcc, s33, v10
	s_and_saveexec_b64 s[2:3], vcc
	s_cbranch_execnz .LBB1165_412
.LBB1165_324:
	s_or_b64 exec, exec, s[2:3]
	v_cmp_gt_u32_e32 vcc, s33, v6
                                        ; implicit-def: $vgpr16_vgpr17
	s_and_saveexec_b64 s[2:3], vcc
	s_cbranch_execnz .LBB1165_417
.LBB1165_325:
	s_or_b64 exec, exec, s[2:3]
	s_and_saveexec_b64 s[2:3], s[0:1]
	s_cbranch_execnz .LBB1165_236
.LBB1165_326:
	s_or_b64 exec, exec, s[2:3]
	s_and_b64 s[0:1], s[20:21], s[26:27]
	s_and_saveexec_b64 s[2:3], s[0:1]
	s_cbranch_execz .LBB1165_237
.LBB1165_327:
	v_mov_b32_e32 v6, 0
	v_lshl_add_u64 v[0:1], v[4:5], 0, v[2:3]
	global_store_dwordx2 v6, v[0:1], s[24:25]
	s_endpgm
.LBB1165_328:
	s_or_b64 exec, exec, s[2:3]
	v_cmp_gt_u32_e32 vcc, s33, v66
	s_and_saveexec_b64 s[2:3], vcc
	s_cbranch_execz .LBB1165_245
.LBB1165_329:
	v_cmp_ge_u32_e32 vcc, v66, v2
                                        ; implicit-def: $vgpr16_vgpr17
	s_and_saveexec_b64 s[4:5], vcc
	s_xor_b64 s[4:5], exec, s[4:5]
; %bb.330:
	v_xor_b32_e32 v16, 0xfffffdff, v0
	v_ashrrev_i32_e32 v17, 31, v16
	v_lshl_add_u64 v[16:17], v[8:9], 0, v[16:17]
                                        ; implicit-def: $vgpr66_vgpr67
; %bb.331:
	s_andn2_saveexec_b64 s[4:5], s[4:5]
; %bb.332:
	v_lshl_add_u64 v[16:17], v[4:5], 0, v[66:67]
; %bb.333:
	s_or_b64 exec, exec, s[4:5]
	v_lshl_add_u64 v[16:17], v[16:17], 1, s[22:23]
	s_waitcnt lgkmcnt(14)
	global_store_short v[16:17], v98, off
	s_or_b64 exec, exec, s[2:3]
	v_cmp_gt_u32_e32 vcc, s33, v64
	s_and_saveexec_b64 s[2:3], vcc
	s_cbranch_execnz .LBB1165_246
.LBB1165_334:
	s_or_b64 exec, exec, s[2:3]
	v_cmp_gt_u32_e32 vcc, s33, v62
	s_and_saveexec_b64 s[2:3], vcc
	s_cbranch_execz .LBB1165_251
.LBB1165_335:
	v_cmp_ge_u32_e32 vcc, v62, v2
                                        ; implicit-def: $vgpr16_vgpr17
	s_and_saveexec_b64 s[4:5], vcc
	s_xor_b64 s[4:5], exec, s[4:5]
; %bb.336:
	v_xor_b32_e32 v16, 0xfffff9ff, v0
	v_ashrrev_i32_e32 v17, 31, v16
	v_lshl_add_u64 v[16:17], v[8:9], 0, v[16:17]
                                        ; implicit-def: $vgpr62_vgpr63
; %bb.337:
	s_andn2_saveexec_b64 s[4:5], s[4:5]
; %bb.338:
	v_lshl_add_u64 v[16:17], v[4:5], 0, v[62:63]
; %bb.339:
	s_or_b64 exec, exec, s[4:5]
	v_lshl_add_u64 v[16:17], v[16:17], 1, s[22:23]
	s_waitcnt lgkmcnt(14)
	global_store_short v[16:17], v96, off
	s_or_b64 exec, exec, s[2:3]
	v_cmp_gt_u32_e32 vcc, s33, v60
	s_and_saveexec_b64 s[2:3], vcc
	s_cbranch_execnz .LBB1165_252
.LBB1165_340:
	s_or_b64 exec, exec, s[2:3]
	v_cmp_gt_u32_e32 vcc, s33, v58
	s_and_saveexec_b64 s[2:3], vcc
	s_cbranch_execz .LBB1165_257
.LBB1165_341:
	v_cmp_ge_u32_e32 vcc, v58, v2
                                        ; implicit-def: $vgpr16_vgpr17
	s_and_saveexec_b64 s[4:5], vcc
	s_xor_b64 s[4:5], exec, s[4:5]
; %bb.342:
	v_xor_b32_e32 v16, 0xfffff5ff, v0
	v_ashrrev_i32_e32 v17, 31, v16
	v_lshl_add_u64 v[16:17], v[8:9], 0, v[16:17]
                                        ; implicit-def: $vgpr58_vgpr59
; %bb.343:
	s_andn2_saveexec_b64 s[4:5], s[4:5]
; %bb.344:
	v_lshl_add_u64 v[16:17], v[4:5], 0, v[58:59]
; %bb.345:
	s_or_b64 exec, exec, s[4:5]
	v_lshl_add_u64 v[16:17], v[16:17], 1, s[22:23]
	s_waitcnt lgkmcnt(14)
	global_store_short v[16:17], v94, off
	s_or_b64 exec, exec, s[2:3]
	v_cmp_gt_u32_e32 vcc, s33, v56
	s_and_saveexec_b64 s[2:3], vcc
	s_cbranch_execnz .LBB1165_258
.LBB1165_346:
	s_or_b64 exec, exec, s[2:3]
	v_cmp_gt_u32_e32 vcc, s33, v54
	s_and_saveexec_b64 s[2:3], vcc
	s_cbranch_execz .LBB1165_263
.LBB1165_347:
	v_cmp_ge_u32_e32 vcc, v54, v2
                                        ; implicit-def: $vgpr16_vgpr17
	s_and_saveexec_b64 s[4:5], vcc
	s_xor_b64 s[4:5], exec, s[4:5]
; %bb.348:
	v_xor_b32_e32 v16, 0xfffff1ff, v0
	v_ashrrev_i32_e32 v17, 31, v16
	v_lshl_add_u64 v[16:17], v[8:9], 0, v[16:17]
                                        ; implicit-def: $vgpr54_vgpr55
; %bb.349:
	s_andn2_saveexec_b64 s[4:5], s[4:5]
; %bb.350:
	v_lshl_add_u64 v[16:17], v[4:5], 0, v[54:55]
; %bb.351:
	s_or_b64 exec, exec, s[4:5]
	v_lshl_add_u64 v[16:17], v[16:17], 1, s[22:23]
	s_waitcnt lgkmcnt(14)
	global_store_short v[16:17], v92, off
	s_or_b64 exec, exec, s[2:3]
	v_cmp_gt_u32_e32 vcc, s33, v52
	s_and_saveexec_b64 s[2:3], vcc
	s_cbranch_execnz .LBB1165_264
.LBB1165_352:
	s_or_b64 exec, exec, s[2:3]
	v_cmp_gt_u32_e32 vcc, s33, v50
	s_and_saveexec_b64 s[2:3], vcc
	s_cbranch_execz .LBB1165_269
.LBB1165_353:
	v_cmp_ge_u32_e32 vcc, v50, v2
                                        ; implicit-def: $vgpr16_vgpr17
	s_and_saveexec_b64 s[4:5], vcc
	s_xor_b64 s[4:5], exec, s[4:5]
; %bb.354:
	v_xor_b32_e32 v16, 0xffffedff, v0
	v_ashrrev_i32_e32 v17, 31, v16
	v_lshl_add_u64 v[16:17], v[8:9], 0, v[16:17]
                                        ; implicit-def: $vgpr50_vgpr51
; %bb.355:
	s_andn2_saveexec_b64 s[4:5], s[4:5]
; %bb.356:
	v_lshl_add_u64 v[16:17], v[4:5], 0, v[50:51]
; %bb.357:
	s_or_b64 exec, exec, s[4:5]
	v_lshl_add_u64 v[16:17], v[16:17], 1, s[22:23]
	s_waitcnt lgkmcnt(14)
	global_store_short v[16:17], v90, off
	s_or_b64 exec, exec, s[2:3]
	v_cmp_gt_u32_e32 vcc, s33, v48
	s_and_saveexec_b64 s[2:3], vcc
	s_cbranch_execnz .LBB1165_270
.LBB1165_358:
	s_or_b64 exec, exec, s[2:3]
	v_cmp_gt_u32_e32 vcc, s33, v46
	s_and_saveexec_b64 s[2:3], vcc
	s_cbranch_execz .LBB1165_275
.LBB1165_359:
	v_cmp_ge_u32_e32 vcc, v46, v2
                                        ; implicit-def: $vgpr16_vgpr17
	s_and_saveexec_b64 s[4:5], vcc
	s_xor_b64 s[4:5], exec, s[4:5]
; %bb.360:
	v_xor_b32_e32 v16, 0xffffe9ff, v0
	v_ashrrev_i32_e32 v17, 31, v16
	v_lshl_add_u64 v[16:17], v[8:9], 0, v[16:17]
                                        ; implicit-def: $vgpr46_vgpr47
; %bb.361:
	s_andn2_saveexec_b64 s[4:5], s[4:5]
; %bb.362:
	v_lshl_add_u64 v[16:17], v[4:5], 0, v[46:47]
; %bb.363:
	s_or_b64 exec, exec, s[4:5]
	v_lshl_add_u64 v[16:17], v[16:17], 1, s[22:23]
	s_waitcnt lgkmcnt(14)
	global_store_short v[16:17], v88, off
	s_or_b64 exec, exec, s[2:3]
	v_cmp_gt_u32_e32 vcc, s33, v44
	s_and_saveexec_b64 s[2:3], vcc
	s_cbranch_execnz .LBB1165_276
.LBB1165_364:
	s_or_b64 exec, exec, s[2:3]
	v_cmp_gt_u32_e32 vcc, s33, v42
	s_and_saveexec_b64 s[2:3], vcc
	s_cbranch_execz .LBB1165_281
.LBB1165_365:
	v_cmp_ge_u32_e32 vcc, v42, v2
                                        ; implicit-def: $vgpr16_vgpr17
	s_and_saveexec_b64 s[4:5], vcc
	s_xor_b64 s[4:5], exec, s[4:5]
; %bb.366:
	v_xor_b32_e32 v16, 0xffffe5ff, v0
	v_ashrrev_i32_e32 v17, 31, v16
	v_lshl_add_u64 v[16:17], v[8:9], 0, v[16:17]
                                        ; implicit-def: $vgpr42_vgpr43
; %bb.367:
	s_andn2_saveexec_b64 s[4:5], s[4:5]
; %bb.368:
	v_lshl_add_u64 v[16:17], v[4:5], 0, v[42:43]
; %bb.369:
	s_or_b64 exec, exec, s[4:5]
	v_lshl_add_u64 v[16:17], v[16:17], 1, s[22:23]
	s_waitcnt lgkmcnt(14)
	global_store_short v[16:17], v86, off
	s_or_b64 exec, exec, s[2:3]
	v_cmp_gt_u32_e32 vcc, s33, v40
	s_and_saveexec_b64 s[2:3], vcc
	s_cbranch_execnz .LBB1165_282
.LBB1165_370:
	s_or_b64 exec, exec, s[2:3]
	v_cmp_gt_u32_e32 vcc, s33, v38
	s_and_saveexec_b64 s[2:3], vcc
	s_cbranch_execz .LBB1165_287
.LBB1165_371:
	v_cmp_ge_u32_e32 vcc, v38, v2
                                        ; implicit-def: $vgpr16_vgpr17
	s_and_saveexec_b64 s[4:5], vcc
	s_xor_b64 s[4:5], exec, s[4:5]
; %bb.372:
	v_xor_b32_e32 v16, 0xffffe1ff, v0
	v_ashrrev_i32_e32 v17, 31, v16
	v_lshl_add_u64 v[16:17], v[8:9], 0, v[16:17]
                                        ; implicit-def: $vgpr38_vgpr39
; %bb.373:
	s_andn2_saveexec_b64 s[4:5], s[4:5]
; %bb.374:
	v_lshl_add_u64 v[16:17], v[4:5], 0, v[38:39]
; %bb.375:
	s_or_b64 exec, exec, s[4:5]
	v_lshl_add_u64 v[16:17], v[16:17], 1, s[22:23]
	s_waitcnt lgkmcnt(14)
	global_store_short v[16:17], v84, off
	s_or_b64 exec, exec, s[2:3]
	v_cmp_gt_u32_e32 vcc, s33, v36
	s_and_saveexec_b64 s[2:3], vcc
	s_cbranch_execnz .LBB1165_288
.LBB1165_376:
	s_or_b64 exec, exec, s[2:3]
	v_cmp_gt_u32_e32 vcc, s33, v34
	s_and_saveexec_b64 s[2:3], vcc
	s_cbranch_execz .LBB1165_293
.LBB1165_377:
	v_cmp_ge_u32_e32 vcc, v34, v2
                                        ; implicit-def: $vgpr16_vgpr17
	s_and_saveexec_b64 s[4:5], vcc
	s_xor_b64 s[4:5], exec, s[4:5]
; %bb.378:
	v_xor_b32_e32 v16, 0xffffddff, v0
	v_ashrrev_i32_e32 v17, 31, v16
	v_lshl_add_u64 v[16:17], v[8:9], 0, v[16:17]
                                        ; implicit-def: $vgpr34_vgpr35
; %bb.379:
	s_andn2_saveexec_b64 s[4:5], s[4:5]
; %bb.380:
	v_lshl_add_u64 v[16:17], v[4:5], 0, v[34:35]
; %bb.381:
	s_or_b64 exec, exec, s[4:5]
	v_lshl_add_u64 v[16:17], v[16:17], 1, s[22:23]
	s_waitcnt lgkmcnt(12)
	global_store_short v[16:17], v82, off
	s_or_b64 exec, exec, s[2:3]
	v_cmp_gt_u32_e32 vcc, s33, v32
	s_and_saveexec_b64 s[2:3], vcc
	s_cbranch_execnz .LBB1165_294
.LBB1165_382:
	s_or_b64 exec, exec, s[2:3]
	v_cmp_gt_u32_e32 vcc, s33, v30
	s_and_saveexec_b64 s[2:3], vcc
	s_cbranch_execz .LBB1165_299
.LBB1165_383:
	v_cmp_ge_u32_e32 vcc, v30, v2
                                        ; implicit-def: $vgpr16_vgpr17
	s_and_saveexec_b64 s[4:5], vcc
	s_xor_b64 s[4:5], exec, s[4:5]
; %bb.384:
	v_xor_b32_e32 v16, 0xffffd9ff, v0
	v_ashrrev_i32_e32 v17, 31, v16
	v_lshl_add_u64 v[16:17], v[8:9], 0, v[16:17]
                                        ; implicit-def: $vgpr30_vgpr31
; %bb.385:
	s_andn2_saveexec_b64 s[4:5], s[4:5]
; %bb.386:
	v_lshl_add_u64 v[16:17], v[4:5], 0, v[30:31]
; %bb.387:
	s_or_b64 exec, exec, s[4:5]
	v_lshl_add_u64 v[16:17], v[16:17], 1, s[22:23]
	s_waitcnt lgkmcnt(10)
	global_store_short v[16:17], v80, off
	s_or_b64 exec, exec, s[2:3]
	v_cmp_gt_u32_e32 vcc, s33, v28
	s_and_saveexec_b64 s[2:3], vcc
	s_cbranch_execnz .LBB1165_300
.LBB1165_388:
	s_or_b64 exec, exec, s[2:3]
	v_cmp_gt_u32_e32 vcc, s33, v26
	s_and_saveexec_b64 s[2:3], vcc
	s_cbranch_execz .LBB1165_305
.LBB1165_389:
	v_cmp_ge_u32_e32 vcc, v26, v2
                                        ; implicit-def: $vgpr16_vgpr17
	s_and_saveexec_b64 s[4:5], vcc
	s_xor_b64 s[4:5], exec, s[4:5]
; %bb.390:
	v_xor_b32_e32 v16, 0xffffd5ff, v0
	v_ashrrev_i32_e32 v17, 31, v16
	v_lshl_add_u64 v[16:17], v[8:9], 0, v[16:17]
                                        ; implicit-def: $vgpr26_vgpr27
; %bb.391:
	s_andn2_saveexec_b64 s[4:5], s[4:5]
; %bb.392:
	v_lshl_add_u64 v[16:17], v[4:5], 0, v[26:27]
; %bb.393:
	s_or_b64 exec, exec, s[4:5]
	v_lshl_add_u64 v[16:17], v[16:17], 1, s[22:23]
	s_waitcnt lgkmcnt(8)
	global_store_short v[16:17], v78, off
	s_or_b64 exec, exec, s[2:3]
	v_cmp_gt_u32_e32 vcc, s33, v24
	s_and_saveexec_b64 s[2:3], vcc
	s_cbranch_execnz .LBB1165_306
.LBB1165_394:
	s_or_b64 exec, exec, s[2:3]
	v_cmp_gt_u32_e32 vcc, s33, v22
	s_and_saveexec_b64 s[2:3], vcc
	s_cbranch_execz .LBB1165_311
.LBB1165_395:
	v_cmp_ge_u32_e32 vcc, v22, v2
                                        ; implicit-def: $vgpr16_vgpr17
	s_and_saveexec_b64 s[4:5], vcc
	s_xor_b64 s[4:5], exec, s[4:5]
; %bb.396:
	v_xor_b32_e32 v16, 0xffffd1ff, v0
	v_ashrrev_i32_e32 v17, 31, v16
	v_lshl_add_u64 v[16:17], v[8:9], 0, v[16:17]
                                        ; implicit-def: $vgpr22_vgpr23
; %bb.397:
	s_andn2_saveexec_b64 s[4:5], s[4:5]
; %bb.398:
	v_lshl_add_u64 v[16:17], v[4:5], 0, v[22:23]
; %bb.399:
	s_or_b64 exec, exec, s[4:5]
	v_lshl_add_u64 v[16:17], v[16:17], 1, s[22:23]
	s_waitcnt lgkmcnt(6)
	global_store_short v[16:17], v76, off
	s_or_b64 exec, exec, s[2:3]
	v_cmp_gt_u32_e32 vcc, s33, v20
	s_and_saveexec_b64 s[2:3], vcc
	s_cbranch_execnz .LBB1165_312
.LBB1165_400:
	s_or_b64 exec, exec, s[2:3]
	v_cmp_gt_u32_e32 vcc, s33, v18
	s_and_saveexec_b64 s[2:3], vcc
	s_cbranch_execz .LBB1165_317
.LBB1165_401:
	v_cmp_ge_u32_e32 vcc, v18, v2
                                        ; implicit-def: $vgpr16_vgpr17
	s_and_saveexec_b64 s[4:5], vcc
	s_xor_b64 s[4:5], exec, s[4:5]
; %bb.402:
	v_xor_b32_e32 v16, 0xffffcdff, v0
	v_ashrrev_i32_e32 v17, 31, v16
	v_lshl_add_u64 v[16:17], v[8:9], 0, v[16:17]
                                        ; implicit-def: $vgpr18_vgpr19
; %bb.403:
	s_andn2_saveexec_b64 s[4:5], s[4:5]
; %bb.404:
	v_lshl_add_u64 v[16:17], v[4:5], 0, v[18:19]
; %bb.405:
	s_or_b64 exec, exec, s[4:5]
	v_lshl_add_u64 v[16:17], v[16:17], 1, s[22:23]
	s_waitcnt lgkmcnt(4)
	global_store_short v[16:17], v74, off
	s_or_b64 exec, exec, s[2:3]
	v_cmp_gt_u32_e32 vcc, s33, v14
	s_and_saveexec_b64 s[2:3], vcc
	s_cbranch_execnz .LBB1165_318
.LBB1165_406:
	s_or_b64 exec, exec, s[2:3]
	v_cmp_gt_u32_e32 vcc, s33, v12
	s_and_saveexec_b64 s[2:3], vcc
	s_cbranch_execz .LBB1165_323
.LBB1165_407:
	v_cmp_ge_u32_e32 vcc, v12, v2
                                        ; implicit-def: $vgpr14_vgpr15
	s_and_saveexec_b64 s[4:5], vcc
	s_xor_b64 s[4:5], exec, s[4:5]
; %bb.408:
	v_xor_b32_e32 v12, 0xffffc9ff, v0
	v_ashrrev_i32_e32 v13, 31, v12
	v_lshl_add_u64 v[14:15], v[8:9], 0, v[12:13]
                                        ; implicit-def: $vgpr12_vgpr13
; %bb.409:
	s_andn2_saveexec_b64 s[4:5], s[4:5]
; %bb.410:
	v_lshl_add_u64 v[14:15], v[4:5], 0, v[12:13]
; %bb.411:
	s_or_b64 exec, exec, s[4:5]
	v_lshl_add_u64 v[12:13], v[14:15], 1, s[22:23]
	s_waitcnt lgkmcnt(2)
	global_store_short v[12:13], v72, off
	s_or_b64 exec, exec, s[2:3]
	v_cmp_gt_u32_e32 vcc, s33, v10
	s_and_saveexec_b64 s[2:3], vcc
	s_cbranch_execz .LBB1165_324
.LBB1165_412:
	v_cmp_ge_u32_e32 vcc, v10, v2
                                        ; implicit-def: $vgpr12_vgpr13
	s_and_saveexec_b64 s[4:5], vcc
	s_xor_b64 s[4:5], exec, s[4:5]
; %bb.413:
	v_xor_b32_e32 v10, 0xffffc7ff, v0
	v_ashrrev_i32_e32 v11, 31, v10
	v_lshl_add_u64 v[12:13], v[8:9], 0, v[10:11]
                                        ; implicit-def: $vgpr10_vgpr11
; %bb.414:
	s_andn2_saveexec_b64 s[4:5], s[4:5]
; %bb.415:
	v_lshl_add_u64 v[12:13], v[4:5], 0, v[10:11]
; %bb.416:
	s_or_b64 exec, exec, s[4:5]
	v_lshl_add_u64 v[10:11], v[12:13], 1, s[22:23]
	s_waitcnt lgkmcnt(1)
	global_store_short v[10:11], v71, off
	s_or_b64 exec, exec, s[2:3]
	v_cmp_gt_u32_e32 vcc, s33, v6
                                        ; implicit-def: $vgpr16_vgpr17
	s_and_saveexec_b64 s[2:3], vcc
	s_cbranch_execz .LBB1165_325
.LBB1165_417:
	v_cmp_ge_u32_e32 vcc, v6, v2
                                        ; implicit-def: $vgpr16_vgpr17
	s_and_saveexec_b64 s[4:5], vcc
	s_xor_b64 s[4:5], exec, s[4:5]
; %bb.418:
	v_xor_b32_e32 v0, 0xffffc5ff, v0
	v_ashrrev_i32_e32 v1, 31, v0
	v_lshl_add_u64 v[16:17], v[8:9], 0, v[0:1]
                                        ; implicit-def: $vgpr6_vgpr7
; %bb.419:
	s_andn2_saveexec_b64 s[4:5], s[4:5]
; %bb.420:
	v_lshl_add_u64 v[16:17], v[4:5], 0, v[6:7]
; %bb.421:
	s_or_b64 exec, exec, s[4:5]
	s_or_b64 s[0:1], s[0:1], exec
	s_or_b64 exec, exec, s[2:3]
	s_and_saveexec_b64 s[2:3], s[0:1]
	s_cbranch_execnz .LBB1165_236
	s_branch .LBB1165_326
	.section	.rodata,"a",@progbits
	.p2align	6, 0x0
	.amdhsa_kernel _ZN7rocprim17ROCPRIM_400000_NS6detail17trampoline_kernelINS0_14default_configENS1_25partition_config_selectorILNS1_17partition_subalgoE3EtNS0_10empty_typeEbEEZZNS1_14partition_implILS5_3ELb0ES3_jN6thrust23THRUST_200600_302600_NS6detail15normal_iteratorINSA_7pointerItNSA_11hip_rocprim3tagENSA_11use_defaultESG_EEEEPS6_SJ_NS0_5tupleIJPtSJ_EEENSK_IJSJ_SJ_EEES6_PlJ7is_evenItEEEE10hipError_tPvRmT3_T4_T5_T6_T7_T9_mT8_P12ihipStream_tbDpT10_ENKUlT_T0_E_clISt17integral_constantIbLb1EES1A_EEDaS15_S16_EUlS15_E_NS1_11comp_targetILNS1_3genE5ELNS1_11target_archE942ELNS1_3gpuE9ELNS1_3repE0EEENS1_30default_config_static_selectorELNS0_4arch9wavefront6targetE1EEEvT1_
		.amdhsa_group_segment_fixed_size 30728
		.amdhsa_private_segment_fixed_size 0
		.amdhsa_kernarg_size 136
		.amdhsa_user_sgpr_count 2
		.amdhsa_user_sgpr_dispatch_ptr 0
		.amdhsa_user_sgpr_queue_ptr 0
		.amdhsa_user_sgpr_kernarg_segment_ptr 1
		.amdhsa_user_sgpr_dispatch_id 0
		.amdhsa_user_sgpr_kernarg_preload_length 0
		.amdhsa_user_sgpr_kernarg_preload_offset 0
		.amdhsa_user_sgpr_private_segment_size 0
		.amdhsa_uses_dynamic_stack 0
		.amdhsa_enable_private_segment 0
		.amdhsa_system_sgpr_workgroup_id_x 1
		.amdhsa_system_sgpr_workgroup_id_y 0
		.amdhsa_system_sgpr_workgroup_id_z 0
		.amdhsa_system_sgpr_workgroup_info 0
		.amdhsa_system_vgpr_workitem_id 0
		.amdhsa_next_free_vgpr 124
		.amdhsa_next_free_sgpr 44
		.amdhsa_accum_offset 124
		.amdhsa_reserve_vcc 1
		.amdhsa_float_round_mode_32 0
		.amdhsa_float_round_mode_16_64 0
		.amdhsa_float_denorm_mode_32 3
		.amdhsa_float_denorm_mode_16_64 3
		.amdhsa_dx10_clamp 1
		.amdhsa_ieee_mode 1
		.amdhsa_fp16_overflow 0
		.amdhsa_tg_split 0
		.amdhsa_exception_fp_ieee_invalid_op 0
		.amdhsa_exception_fp_denorm_src 0
		.amdhsa_exception_fp_ieee_div_zero 0
		.amdhsa_exception_fp_ieee_overflow 0
		.amdhsa_exception_fp_ieee_underflow 0
		.amdhsa_exception_fp_ieee_inexact 0
		.amdhsa_exception_int_div_zero 0
	.end_amdhsa_kernel
	.section	.text._ZN7rocprim17ROCPRIM_400000_NS6detail17trampoline_kernelINS0_14default_configENS1_25partition_config_selectorILNS1_17partition_subalgoE3EtNS0_10empty_typeEbEEZZNS1_14partition_implILS5_3ELb0ES3_jN6thrust23THRUST_200600_302600_NS6detail15normal_iteratorINSA_7pointerItNSA_11hip_rocprim3tagENSA_11use_defaultESG_EEEEPS6_SJ_NS0_5tupleIJPtSJ_EEENSK_IJSJ_SJ_EEES6_PlJ7is_evenItEEEE10hipError_tPvRmT3_T4_T5_T6_T7_T9_mT8_P12ihipStream_tbDpT10_ENKUlT_T0_E_clISt17integral_constantIbLb1EES1A_EEDaS15_S16_EUlS15_E_NS1_11comp_targetILNS1_3genE5ELNS1_11target_archE942ELNS1_3gpuE9ELNS1_3repE0EEENS1_30default_config_static_selectorELNS0_4arch9wavefront6targetE1EEEvT1_,"axG",@progbits,_ZN7rocprim17ROCPRIM_400000_NS6detail17trampoline_kernelINS0_14default_configENS1_25partition_config_selectorILNS1_17partition_subalgoE3EtNS0_10empty_typeEbEEZZNS1_14partition_implILS5_3ELb0ES3_jN6thrust23THRUST_200600_302600_NS6detail15normal_iteratorINSA_7pointerItNSA_11hip_rocprim3tagENSA_11use_defaultESG_EEEEPS6_SJ_NS0_5tupleIJPtSJ_EEENSK_IJSJ_SJ_EEES6_PlJ7is_evenItEEEE10hipError_tPvRmT3_T4_T5_T6_T7_T9_mT8_P12ihipStream_tbDpT10_ENKUlT_T0_E_clISt17integral_constantIbLb1EES1A_EEDaS15_S16_EUlS15_E_NS1_11comp_targetILNS1_3genE5ELNS1_11target_archE942ELNS1_3gpuE9ELNS1_3repE0EEENS1_30default_config_static_selectorELNS0_4arch9wavefront6targetE1EEEvT1_,comdat
.Lfunc_end1165:
	.size	_ZN7rocprim17ROCPRIM_400000_NS6detail17trampoline_kernelINS0_14default_configENS1_25partition_config_selectorILNS1_17partition_subalgoE3EtNS0_10empty_typeEbEEZZNS1_14partition_implILS5_3ELb0ES3_jN6thrust23THRUST_200600_302600_NS6detail15normal_iteratorINSA_7pointerItNSA_11hip_rocprim3tagENSA_11use_defaultESG_EEEEPS6_SJ_NS0_5tupleIJPtSJ_EEENSK_IJSJ_SJ_EEES6_PlJ7is_evenItEEEE10hipError_tPvRmT3_T4_T5_T6_T7_T9_mT8_P12ihipStream_tbDpT10_ENKUlT_T0_E_clISt17integral_constantIbLb1EES1A_EEDaS15_S16_EUlS15_E_NS1_11comp_targetILNS1_3genE5ELNS1_11target_archE942ELNS1_3gpuE9ELNS1_3repE0EEENS1_30default_config_static_selectorELNS0_4arch9wavefront6targetE1EEEvT1_, .Lfunc_end1165-_ZN7rocprim17ROCPRIM_400000_NS6detail17trampoline_kernelINS0_14default_configENS1_25partition_config_selectorILNS1_17partition_subalgoE3EtNS0_10empty_typeEbEEZZNS1_14partition_implILS5_3ELb0ES3_jN6thrust23THRUST_200600_302600_NS6detail15normal_iteratorINSA_7pointerItNSA_11hip_rocprim3tagENSA_11use_defaultESG_EEEEPS6_SJ_NS0_5tupleIJPtSJ_EEENSK_IJSJ_SJ_EEES6_PlJ7is_evenItEEEE10hipError_tPvRmT3_T4_T5_T6_T7_T9_mT8_P12ihipStream_tbDpT10_ENKUlT_T0_E_clISt17integral_constantIbLb1EES1A_EEDaS15_S16_EUlS15_E_NS1_11comp_targetILNS1_3genE5ELNS1_11target_archE942ELNS1_3gpuE9ELNS1_3repE0EEENS1_30default_config_static_selectorELNS0_4arch9wavefront6targetE1EEEvT1_
                                        ; -- End function
	.section	.AMDGPU.csdata,"",@progbits
; Kernel info:
; codeLenInByte = 13008
; NumSgprs: 50
; NumVgprs: 124
; NumAgprs: 0
; TotalNumVgprs: 124
; ScratchSize: 0
; MemoryBound: 0
; FloatMode: 240
; IeeeMode: 1
; LDSByteSize: 30728 bytes/workgroup (compile time only)
; SGPRBlocks: 6
; VGPRBlocks: 15
; NumSGPRsForWavesPerEU: 50
; NumVGPRsForWavesPerEU: 124
; AccumOffset: 124
; Occupancy: 4
; WaveLimiterHint : 1
; COMPUTE_PGM_RSRC2:SCRATCH_EN: 0
; COMPUTE_PGM_RSRC2:USER_SGPR: 2
; COMPUTE_PGM_RSRC2:TRAP_HANDLER: 0
; COMPUTE_PGM_RSRC2:TGID_X_EN: 1
; COMPUTE_PGM_RSRC2:TGID_Y_EN: 0
; COMPUTE_PGM_RSRC2:TGID_Z_EN: 0
; COMPUTE_PGM_RSRC2:TIDIG_COMP_CNT: 0
; COMPUTE_PGM_RSRC3_GFX90A:ACCUM_OFFSET: 30
; COMPUTE_PGM_RSRC3_GFX90A:TG_SPLIT: 0
	.section	.text._ZN7rocprim17ROCPRIM_400000_NS6detail17trampoline_kernelINS0_14default_configENS1_25partition_config_selectorILNS1_17partition_subalgoE3EtNS0_10empty_typeEbEEZZNS1_14partition_implILS5_3ELb0ES3_jN6thrust23THRUST_200600_302600_NS6detail15normal_iteratorINSA_7pointerItNSA_11hip_rocprim3tagENSA_11use_defaultESG_EEEEPS6_SJ_NS0_5tupleIJPtSJ_EEENSK_IJSJ_SJ_EEES6_PlJ7is_evenItEEEE10hipError_tPvRmT3_T4_T5_T6_T7_T9_mT8_P12ihipStream_tbDpT10_ENKUlT_T0_E_clISt17integral_constantIbLb1EES1A_EEDaS15_S16_EUlS15_E_NS1_11comp_targetILNS1_3genE4ELNS1_11target_archE910ELNS1_3gpuE8ELNS1_3repE0EEENS1_30default_config_static_selectorELNS0_4arch9wavefront6targetE1EEEvT1_,"axG",@progbits,_ZN7rocprim17ROCPRIM_400000_NS6detail17trampoline_kernelINS0_14default_configENS1_25partition_config_selectorILNS1_17partition_subalgoE3EtNS0_10empty_typeEbEEZZNS1_14partition_implILS5_3ELb0ES3_jN6thrust23THRUST_200600_302600_NS6detail15normal_iteratorINSA_7pointerItNSA_11hip_rocprim3tagENSA_11use_defaultESG_EEEEPS6_SJ_NS0_5tupleIJPtSJ_EEENSK_IJSJ_SJ_EEES6_PlJ7is_evenItEEEE10hipError_tPvRmT3_T4_T5_T6_T7_T9_mT8_P12ihipStream_tbDpT10_ENKUlT_T0_E_clISt17integral_constantIbLb1EES1A_EEDaS15_S16_EUlS15_E_NS1_11comp_targetILNS1_3genE4ELNS1_11target_archE910ELNS1_3gpuE8ELNS1_3repE0EEENS1_30default_config_static_selectorELNS0_4arch9wavefront6targetE1EEEvT1_,comdat
	.protected	_ZN7rocprim17ROCPRIM_400000_NS6detail17trampoline_kernelINS0_14default_configENS1_25partition_config_selectorILNS1_17partition_subalgoE3EtNS0_10empty_typeEbEEZZNS1_14partition_implILS5_3ELb0ES3_jN6thrust23THRUST_200600_302600_NS6detail15normal_iteratorINSA_7pointerItNSA_11hip_rocprim3tagENSA_11use_defaultESG_EEEEPS6_SJ_NS0_5tupleIJPtSJ_EEENSK_IJSJ_SJ_EEES6_PlJ7is_evenItEEEE10hipError_tPvRmT3_T4_T5_T6_T7_T9_mT8_P12ihipStream_tbDpT10_ENKUlT_T0_E_clISt17integral_constantIbLb1EES1A_EEDaS15_S16_EUlS15_E_NS1_11comp_targetILNS1_3genE4ELNS1_11target_archE910ELNS1_3gpuE8ELNS1_3repE0EEENS1_30default_config_static_selectorELNS0_4arch9wavefront6targetE1EEEvT1_ ; -- Begin function _ZN7rocprim17ROCPRIM_400000_NS6detail17trampoline_kernelINS0_14default_configENS1_25partition_config_selectorILNS1_17partition_subalgoE3EtNS0_10empty_typeEbEEZZNS1_14partition_implILS5_3ELb0ES3_jN6thrust23THRUST_200600_302600_NS6detail15normal_iteratorINSA_7pointerItNSA_11hip_rocprim3tagENSA_11use_defaultESG_EEEEPS6_SJ_NS0_5tupleIJPtSJ_EEENSK_IJSJ_SJ_EEES6_PlJ7is_evenItEEEE10hipError_tPvRmT3_T4_T5_T6_T7_T9_mT8_P12ihipStream_tbDpT10_ENKUlT_T0_E_clISt17integral_constantIbLb1EES1A_EEDaS15_S16_EUlS15_E_NS1_11comp_targetILNS1_3genE4ELNS1_11target_archE910ELNS1_3gpuE8ELNS1_3repE0EEENS1_30default_config_static_selectorELNS0_4arch9wavefront6targetE1EEEvT1_
	.globl	_ZN7rocprim17ROCPRIM_400000_NS6detail17trampoline_kernelINS0_14default_configENS1_25partition_config_selectorILNS1_17partition_subalgoE3EtNS0_10empty_typeEbEEZZNS1_14partition_implILS5_3ELb0ES3_jN6thrust23THRUST_200600_302600_NS6detail15normal_iteratorINSA_7pointerItNSA_11hip_rocprim3tagENSA_11use_defaultESG_EEEEPS6_SJ_NS0_5tupleIJPtSJ_EEENSK_IJSJ_SJ_EEES6_PlJ7is_evenItEEEE10hipError_tPvRmT3_T4_T5_T6_T7_T9_mT8_P12ihipStream_tbDpT10_ENKUlT_T0_E_clISt17integral_constantIbLb1EES1A_EEDaS15_S16_EUlS15_E_NS1_11comp_targetILNS1_3genE4ELNS1_11target_archE910ELNS1_3gpuE8ELNS1_3repE0EEENS1_30default_config_static_selectorELNS0_4arch9wavefront6targetE1EEEvT1_
	.p2align	8
	.type	_ZN7rocprim17ROCPRIM_400000_NS6detail17trampoline_kernelINS0_14default_configENS1_25partition_config_selectorILNS1_17partition_subalgoE3EtNS0_10empty_typeEbEEZZNS1_14partition_implILS5_3ELb0ES3_jN6thrust23THRUST_200600_302600_NS6detail15normal_iteratorINSA_7pointerItNSA_11hip_rocprim3tagENSA_11use_defaultESG_EEEEPS6_SJ_NS0_5tupleIJPtSJ_EEENSK_IJSJ_SJ_EEES6_PlJ7is_evenItEEEE10hipError_tPvRmT3_T4_T5_T6_T7_T9_mT8_P12ihipStream_tbDpT10_ENKUlT_T0_E_clISt17integral_constantIbLb1EES1A_EEDaS15_S16_EUlS15_E_NS1_11comp_targetILNS1_3genE4ELNS1_11target_archE910ELNS1_3gpuE8ELNS1_3repE0EEENS1_30default_config_static_selectorELNS0_4arch9wavefront6targetE1EEEvT1_,@function
_ZN7rocprim17ROCPRIM_400000_NS6detail17trampoline_kernelINS0_14default_configENS1_25partition_config_selectorILNS1_17partition_subalgoE3EtNS0_10empty_typeEbEEZZNS1_14partition_implILS5_3ELb0ES3_jN6thrust23THRUST_200600_302600_NS6detail15normal_iteratorINSA_7pointerItNSA_11hip_rocprim3tagENSA_11use_defaultESG_EEEEPS6_SJ_NS0_5tupleIJPtSJ_EEENSK_IJSJ_SJ_EEES6_PlJ7is_evenItEEEE10hipError_tPvRmT3_T4_T5_T6_T7_T9_mT8_P12ihipStream_tbDpT10_ENKUlT_T0_E_clISt17integral_constantIbLb1EES1A_EEDaS15_S16_EUlS15_E_NS1_11comp_targetILNS1_3genE4ELNS1_11target_archE910ELNS1_3gpuE8ELNS1_3repE0EEENS1_30default_config_static_selectorELNS0_4arch9wavefront6targetE1EEEvT1_: ; @_ZN7rocprim17ROCPRIM_400000_NS6detail17trampoline_kernelINS0_14default_configENS1_25partition_config_selectorILNS1_17partition_subalgoE3EtNS0_10empty_typeEbEEZZNS1_14partition_implILS5_3ELb0ES3_jN6thrust23THRUST_200600_302600_NS6detail15normal_iteratorINSA_7pointerItNSA_11hip_rocprim3tagENSA_11use_defaultESG_EEEEPS6_SJ_NS0_5tupleIJPtSJ_EEENSK_IJSJ_SJ_EEES6_PlJ7is_evenItEEEE10hipError_tPvRmT3_T4_T5_T6_T7_T9_mT8_P12ihipStream_tbDpT10_ENKUlT_T0_E_clISt17integral_constantIbLb1EES1A_EEDaS15_S16_EUlS15_E_NS1_11comp_targetILNS1_3genE4ELNS1_11target_archE910ELNS1_3gpuE8ELNS1_3repE0EEENS1_30default_config_static_selectorELNS0_4arch9wavefront6targetE1EEEvT1_
; %bb.0:
	.section	.rodata,"a",@progbits
	.p2align	6, 0x0
	.amdhsa_kernel _ZN7rocprim17ROCPRIM_400000_NS6detail17trampoline_kernelINS0_14default_configENS1_25partition_config_selectorILNS1_17partition_subalgoE3EtNS0_10empty_typeEbEEZZNS1_14partition_implILS5_3ELb0ES3_jN6thrust23THRUST_200600_302600_NS6detail15normal_iteratorINSA_7pointerItNSA_11hip_rocprim3tagENSA_11use_defaultESG_EEEEPS6_SJ_NS0_5tupleIJPtSJ_EEENSK_IJSJ_SJ_EEES6_PlJ7is_evenItEEEE10hipError_tPvRmT3_T4_T5_T6_T7_T9_mT8_P12ihipStream_tbDpT10_ENKUlT_T0_E_clISt17integral_constantIbLb1EES1A_EEDaS15_S16_EUlS15_E_NS1_11comp_targetILNS1_3genE4ELNS1_11target_archE910ELNS1_3gpuE8ELNS1_3repE0EEENS1_30default_config_static_selectorELNS0_4arch9wavefront6targetE1EEEvT1_
		.amdhsa_group_segment_fixed_size 0
		.amdhsa_private_segment_fixed_size 0
		.amdhsa_kernarg_size 136
		.amdhsa_user_sgpr_count 2
		.amdhsa_user_sgpr_dispatch_ptr 0
		.amdhsa_user_sgpr_queue_ptr 0
		.amdhsa_user_sgpr_kernarg_segment_ptr 1
		.amdhsa_user_sgpr_dispatch_id 0
		.amdhsa_user_sgpr_kernarg_preload_length 0
		.amdhsa_user_sgpr_kernarg_preload_offset 0
		.amdhsa_user_sgpr_private_segment_size 0
		.amdhsa_uses_dynamic_stack 0
		.amdhsa_enable_private_segment 0
		.amdhsa_system_sgpr_workgroup_id_x 1
		.amdhsa_system_sgpr_workgroup_id_y 0
		.amdhsa_system_sgpr_workgroup_id_z 0
		.amdhsa_system_sgpr_workgroup_info 0
		.amdhsa_system_vgpr_workitem_id 0
		.amdhsa_next_free_vgpr 1
		.amdhsa_next_free_sgpr 0
		.amdhsa_accum_offset 4
		.amdhsa_reserve_vcc 0
		.amdhsa_float_round_mode_32 0
		.amdhsa_float_round_mode_16_64 0
		.amdhsa_float_denorm_mode_32 3
		.amdhsa_float_denorm_mode_16_64 3
		.amdhsa_dx10_clamp 1
		.amdhsa_ieee_mode 1
		.amdhsa_fp16_overflow 0
		.amdhsa_tg_split 0
		.amdhsa_exception_fp_ieee_invalid_op 0
		.amdhsa_exception_fp_denorm_src 0
		.amdhsa_exception_fp_ieee_div_zero 0
		.amdhsa_exception_fp_ieee_overflow 0
		.amdhsa_exception_fp_ieee_underflow 0
		.amdhsa_exception_fp_ieee_inexact 0
		.amdhsa_exception_int_div_zero 0
	.end_amdhsa_kernel
	.section	.text._ZN7rocprim17ROCPRIM_400000_NS6detail17trampoline_kernelINS0_14default_configENS1_25partition_config_selectorILNS1_17partition_subalgoE3EtNS0_10empty_typeEbEEZZNS1_14partition_implILS5_3ELb0ES3_jN6thrust23THRUST_200600_302600_NS6detail15normal_iteratorINSA_7pointerItNSA_11hip_rocprim3tagENSA_11use_defaultESG_EEEEPS6_SJ_NS0_5tupleIJPtSJ_EEENSK_IJSJ_SJ_EEES6_PlJ7is_evenItEEEE10hipError_tPvRmT3_T4_T5_T6_T7_T9_mT8_P12ihipStream_tbDpT10_ENKUlT_T0_E_clISt17integral_constantIbLb1EES1A_EEDaS15_S16_EUlS15_E_NS1_11comp_targetILNS1_3genE4ELNS1_11target_archE910ELNS1_3gpuE8ELNS1_3repE0EEENS1_30default_config_static_selectorELNS0_4arch9wavefront6targetE1EEEvT1_,"axG",@progbits,_ZN7rocprim17ROCPRIM_400000_NS6detail17trampoline_kernelINS0_14default_configENS1_25partition_config_selectorILNS1_17partition_subalgoE3EtNS0_10empty_typeEbEEZZNS1_14partition_implILS5_3ELb0ES3_jN6thrust23THRUST_200600_302600_NS6detail15normal_iteratorINSA_7pointerItNSA_11hip_rocprim3tagENSA_11use_defaultESG_EEEEPS6_SJ_NS0_5tupleIJPtSJ_EEENSK_IJSJ_SJ_EEES6_PlJ7is_evenItEEEE10hipError_tPvRmT3_T4_T5_T6_T7_T9_mT8_P12ihipStream_tbDpT10_ENKUlT_T0_E_clISt17integral_constantIbLb1EES1A_EEDaS15_S16_EUlS15_E_NS1_11comp_targetILNS1_3genE4ELNS1_11target_archE910ELNS1_3gpuE8ELNS1_3repE0EEENS1_30default_config_static_selectorELNS0_4arch9wavefront6targetE1EEEvT1_,comdat
.Lfunc_end1166:
	.size	_ZN7rocprim17ROCPRIM_400000_NS6detail17trampoline_kernelINS0_14default_configENS1_25partition_config_selectorILNS1_17partition_subalgoE3EtNS0_10empty_typeEbEEZZNS1_14partition_implILS5_3ELb0ES3_jN6thrust23THRUST_200600_302600_NS6detail15normal_iteratorINSA_7pointerItNSA_11hip_rocprim3tagENSA_11use_defaultESG_EEEEPS6_SJ_NS0_5tupleIJPtSJ_EEENSK_IJSJ_SJ_EEES6_PlJ7is_evenItEEEE10hipError_tPvRmT3_T4_T5_T6_T7_T9_mT8_P12ihipStream_tbDpT10_ENKUlT_T0_E_clISt17integral_constantIbLb1EES1A_EEDaS15_S16_EUlS15_E_NS1_11comp_targetILNS1_3genE4ELNS1_11target_archE910ELNS1_3gpuE8ELNS1_3repE0EEENS1_30default_config_static_selectorELNS0_4arch9wavefront6targetE1EEEvT1_, .Lfunc_end1166-_ZN7rocprim17ROCPRIM_400000_NS6detail17trampoline_kernelINS0_14default_configENS1_25partition_config_selectorILNS1_17partition_subalgoE3EtNS0_10empty_typeEbEEZZNS1_14partition_implILS5_3ELb0ES3_jN6thrust23THRUST_200600_302600_NS6detail15normal_iteratorINSA_7pointerItNSA_11hip_rocprim3tagENSA_11use_defaultESG_EEEEPS6_SJ_NS0_5tupleIJPtSJ_EEENSK_IJSJ_SJ_EEES6_PlJ7is_evenItEEEE10hipError_tPvRmT3_T4_T5_T6_T7_T9_mT8_P12ihipStream_tbDpT10_ENKUlT_T0_E_clISt17integral_constantIbLb1EES1A_EEDaS15_S16_EUlS15_E_NS1_11comp_targetILNS1_3genE4ELNS1_11target_archE910ELNS1_3gpuE8ELNS1_3repE0EEENS1_30default_config_static_selectorELNS0_4arch9wavefront6targetE1EEEvT1_
                                        ; -- End function
	.section	.AMDGPU.csdata,"",@progbits
; Kernel info:
; codeLenInByte = 0
; NumSgprs: 6
; NumVgprs: 0
; NumAgprs: 0
; TotalNumVgprs: 0
; ScratchSize: 0
; MemoryBound: 0
; FloatMode: 240
; IeeeMode: 1
; LDSByteSize: 0 bytes/workgroup (compile time only)
; SGPRBlocks: 0
; VGPRBlocks: 0
; NumSGPRsForWavesPerEU: 6
; NumVGPRsForWavesPerEU: 1
; AccumOffset: 4
; Occupancy: 8
; WaveLimiterHint : 0
; COMPUTE_PGM_RSRC2:SCRATCH_EN: 0
; COMPUTE_PGM_RSRC2:USER_SGPR: 2
; COMPUTE_PGM_RSRC2:TRAP_HANDLER: 0
; COMPUTE_PGM_RSRC2:TGID_X_EN: 1
; COMPUTE_PGM_RSRC2:TGID_Y_EN: 0
; COMPUTE_PGM_RSRC2:TGID_Z_EN: 0
; COMPUTE_PGM_RSRC2:TIDIG_COMP_CNT: 0
; COMPUTE_PGM_RSRC3_GFX90A:ACCUM_OFFSET: 0
; COMPUTE_PGM_RSRC3_GFX90A:TG_SPLIT: 0
	.section	.text._ZN7rocprim17ROCPRIM_400000_NS6detail17trampoline_kernelINS0_14default_configENS1_25partition_config_selectorILNS1_17partition_subalgoE3EtNS0_10empty_typeEbEEZZNS1_14partition_implILS5_3ELb0ES3_jN6thrust23THRUST_200600_302600_NS6detail15normal_iteratorINSA_7pointerItNSA_11hip_rocprim3tagENSA_11use_defaultESG_EEEEPS6_SJ_NS0_5tupleIJPtSJ_EEENSK_IJSJ_SJ_EEES6_PlJ7is_evenItEEEE10hipError_tPvRmT3_T4_T5_T6_T7_T9_mT8_P12ihipStream_tbDpT10_ENKUlT_T0_E_clISt17integral_constantIbLb1EES1A_EEDaS15_S16_EUlS15_E_NS1_11comp_targetILNS1_3genE3ELNS1_11target_archE908ELNS1_3gpuE7ELNS1_3repE0EEENS1_30default_config_static_selectorELNS0_4arch9wavefront6targetE1EEEvT1_,"axG",@progbits,_ZN7rocprim17ROCPRIM_400000_NS6detail17trampoline_kernelINS0_14default_configENS1_25partition_config_selectorILNS1_17partition_subalgoE3EtNS0_10empty_typeEbEEZZNS1_14partition_implILS5_3ELb0ES3_jN6thrust23THRUST_200600_302600_NS6detail15normal_iteratorINSA_7pointerItNSA_11hip_rocprim3tagENSA_11use_defaultESG_EEEEPS6_SJ_NS0_5tupleIJPtSJ_EEENSK_IJSJ_SJ_EEES6_PlJ7is_evenItEEEE10hipError_tPvRmT3_T4_T5_T6_T7_T9_mT8_P12ihipStream_tbDpT10_ENKUlT_T0_E_clISt17integral_constantIbLb1EES1A_EEDaS15_S16_EUlS15_E_NS1_11comp_targetILNS1_3genE3ELNS1_11target_archE908ELNS1_3gpuE7ELNS1_3repE0EEENS1_30default_config_static_selectorELNS0_4arch9wavefront6targetE1EEEvT1_,comdat
	.protected	_ZN7rocprim17ROCPRIM_400000_NS6detail17trampoline_kernelINS0_14default_configENS1_25partition_config_selectorILNS1_17partition_subalgoE3EtNS0_10empty_typeEbEEZZNS1_14partition_implILS5_3ELb0ES3_jN6thrust23THRUST_200600_302600_NS6detail15normal_iteratorINSA_7pointerItNSA_11hip_rocprim3tagENSA_11use_defaultESG_EEEEPS6_SJ_NS0_5tupleIJPtSJ_EEENSK_IJSJ_SJ_EEES6_PlJ7is_evenItEEEE10hipError_tPvRmT3_T4_T5_T6_T7_T9_mT8_P12ihipStream_tbDpT10_ENKUlT_T0_E_clISt17integral_constantIbLb1EES1A_EEDaS15_S16_EUlS15_E_NS1_11comp_targetILNS1_3genE3ELNS1_11target_archE908ELNS1_3gpuE7ELNS1_3repE0EEENS1_30default_config_static_selectorELNS0_4arch9wavefront6targetE1EEEvT1_ ; -- Begin function _ZN7rocprim17ROCPRIM_400000_NS6detail17trampoline_kernelINS0_14default_configENS1_25partition_config_selectorILNS1_17partition_subalgoE3EtNS0_10empty_typeEbEEZZNS1_14partition_implILS5_3ELb0ES3_jN6thrust23THRUST_200600_302600_NS6detail15normal_iteratorINSA_7pointerItNSA_11hip_rocprim3tagENSA_11use_defaultESG_EEEEPS6_SJ_NS0_5tupleIJPtSJ_EEENSK_IJSJ_SJ_EEES6_PlJ7is_evenItEEEE10hipError_tPvRmT3_T4_T5_T6_T7_T9_mT8_P12ihipStream_tbDpT10_ENKUlT_T0_E_clISt17integral_constantIbLb1EES1A_EEDaS15_S16_EUlS15_E_NS1_11comp_targetILNS1_3genE3ELNS1_11target_archE908ELNS1_3gpuE7ELNS1_3repE0EEENS1_30default_config_static_selectorELNS0_4arch9wavefront6targetE1EEEvT1_
	.globl	_ZN7rocprim17ROCPRIM_400000_NS6detail17trampoline_kernelINS0_14default_configENS1_25partition_config_selectorILNS1_17partition_subalgoE3EtNS0_10empty_typeEbEEZZNS1_14partition_implILS5_3ELb0ES3_jN6thrust23THRUST_200600_302600_NS6detail15normal_iteratorINSA_7pointerItNSA_11hip_rocprim3tagENSA_11use_defaultESG_EEEEPS6_SJ_NS0_5tupleIJPtSJ_EEENSK_IJSJ_SJ_EEES6_PlJ7is_evenItEEEE10hipError_tPvRmT3_T4_T5_T6_T7_T9_mT8_P12ihipStream_tbDpT10_ENKUlT_T0_E_clISt17integral_constantIbLb1EES1A_EEDaS15_S16_EUlS15_E_NS1_11comp_targetILNS1_3genE3ELNS1_11target_archE908ELNS1_3gpuE7ELNS1_3repE0EEENS1_30default_config_static_selectorELNS0_4arch9wavefront6targetE1EEEvT1_
	.p2align	8
	.type	_ZN7rocprim17ROCPRIM_400000_NS6detail17trampoline_kernelINS0_14default_configENS1_25partition_config_selectorILNS1_17partition_subalgoE3EtNS0_10empty_typeEbEEZZNS1_14partition_implILS5_3ELb0ES3_jN6thrust23THRUST_200600_302600_NS6detail15normal_iteratorINSA_7pointerItNSA_11hip_rocprim3tagENSA_11use_defaultESG_EEEEPS6_SJ_NS0_5tupleIJPtSJ_EEENSK_IJSJ_SJ_EEES6_PlJ7is_evenItEEEE10hipError_tPvRmT3_T4_T5_T6_T7_T9_mT8_P12ihipStream_tbDpT10_ENKUlT_T0_E_clISt17integral_constantIbLb1EES1A_EEDaS15_S16_EUlS15_E_NS1_11comp_targetILNS1_3genE3ELNS1_11target_archE908ELNS1_3gpuE7ELNS1_3repE0EEENS1_30default_config_static_selectorELNS0_4arch9wavefront6targetE1EEEvT1_,@function
_ZN7rocprim17ROCPRIM_400000_NS6detail17trampoline_kernelINS0_14default_configENS1_25partition_config_selectorILNS1_17partition_subalgoE3EtNS0_10empty_typeEbEEZZNS1_14partition_implILS5_3ELb0ES3_jN6thrust23THRUST_200600_302600_NS6detail15normal_iteratorINSA_7pointerItNSA_11hip_rocprim3tagENSA_11use_defaultESG_EEEEPS6_SJ_NS0_5tupleIJPtSJ_EEENSK_IJSJ_SJ_EEES6_PlJ7is_evenItEEEE10hipError_tPvRmT3_T4_T5_T6_T7_T9_mT8_P12ihipStream_tbDpT10_ENKUlT_T0_E_clISt17integral_constantIbLb1EES1A_EEDaS15_S16_EUlS15_E_NS1_11comp_targetILNS1_3genE3ELNS1_11target_archE908ELNS1_3gpuE7ELNS1_3repE0EEENS1_30default_config_static_selectorELNS0_4arch9wavefront6targetE1EEEvT1_: ; @_ZN7rocprim17ROCPRIM_400000_NS6detail17trampoline_kernelINS0_14default_configENS1_25partition_config_selectorILNS1_17partition_subalgoE3EtNS0_10empty_typeEbEEZZNS1_14partition_implILS5_3ELb0ES3_jN6thrust23THRUST_200600_302600_NS6detail15normal_iteratorINSA_7pointerItNSA_11hip_rocprim3tagENSA_11use_defaultESG_EEEEPS6_SJ_NS0_5tupleIJPtSJ_EEENSK_IJSJ_SJ_EEES6_PlJ7is_evenItEEEE10hipError_tPvRmT3_T4_T5_T6_T7_T9_mT8_P12ihipStream_tbDpT10_ENKUlT_T0_E_clISt17integral_constantIbLb1EES1A_EEDaS15_S16_EUlS15_E_NS1_11comp_targetILNS1_3genE3ELNS1_11target_archE908ELNS1_3gpuE7ELNS1_3repE0EEENS1_30default_config_static_selectorELNS0_4arch9wavefront6targetE1EEEvT1_
; %bb.0:
	.section	.rodata,"a",@progbits
	.p2align	6, 0x0
	.amdhsa_kernel _ZN7rocprim17ROCPRIM_400000_NS6detail17trampoline_kernelINS0_14default_configENS1_25partition_config_selectorILNS1_17partition_subalgoE3EtNS0_10empty_typeEbEEZZNS1_14partition_implILS5_3ELb0ES3_jN6thrust23THRUST_200600_302600_NS6detail15normal_iteratorINSA_7pointerItNSA_11hip_rocprim3tagENSA_11use_defaultESG_EEEEPS6_SJ_NS0_5tupleIJPtSJ_EEENSK_IJSJ_SJ_EEES6_PlJ7is_evenItEEEE10hipError_tPvRmT3_T4_T5_T6_T7_T9_mT8_P12ihipStream_tbDpT10_ENKUlT_T0_E_clISt17integral_constantIbLb1EES1A_EEDaS15_S16_EUlS15_E_NS1_11comp_targetILNS1_3genE3ELNS1_11target_archE908ELNS1_3gpuE7ELNS1_3repE0EEENS1_30default_config_static_selectorELNS0_4arch9wavefront6targetE1EEEvT1_
		.amdhsa_group_segment_fixed_size 0
		.amdhsa_private_segment_fixed_size 0
		.amdhsa_kernarg_size 136
		.amdhsa_user_sgpr_count 2
		.amdhsa_user_sgpr_dispatch_ptr 0
		.amdhsa_user_sgpr_queue_ptr 0
		.amdhsa_user_sgpr_kernarg_segment_ptr 1
		.amdhsa_user_sgpr_dispatch_id 0
		.amdhsa_user_sgpr_kernarg_preload_length 0
		.amdhsa_user_sgpr_kernarg_preload_offset 0
		.amdhsa_user_sgpr_private_segment_size 0
		.amdhsa_uses_dynamic_stack 0
		.amdhsa_enable_private_segment 0
		.amdhsa_system_sgpr_workgroup_id_x 1
		.amdhsa_system_sgpr_workgroup_id_y 0
		.amdhsa_system_sgpr_workgroup_id_z 0
		.amdhsa_system_sgpr_workgroup_info 0
		.amdhsa_system_vgpr_workitem_id 0
		.amdhsa_next_free_vgpr 1
		.amdhsa_next_free_sgpr 0
		.amdhsa_accum_offset 4
		.amdhsa_reserve_vcc 0
		.amdhsa_float_round_mode_32 0
		.amdhsa_float_round_mode_16_64 0
		.amdhsa_float_denorm_mode_32 3
		.amdhsa_float_denorm_mode_16_64 3
		.amdhsa_dx10_clamp 1
		.amdhsa_ieee_mode 1
		.amdhsa_fp16_overflow 0
		.amdhsa_tg_split 0
		.amdhsa_exception_fp_ieee_invalid_op 0
		.amdhsa_exception_fp_denorm_src 0
		.amdhsa_exception_fp_ieee_div_zero 0
		.amdhsa_exception_fp_ieee_overflow 0
		.amdhsa_exception_fp_ieee_underflow 0
		.amdhsa_exception_fp_ieee_inexact 0
		.amdhsa_exception_int_div_zero 0
	.end_amdhsa_kernel
	.section	.text._ZN7rocprim17ROCPRIM_400000_NS6detail17trampoline_kernelINS0_14default_configENS1_25partition_config_selectorILNS1_17partition_subalgoE3EtNS0_10empty_typeEbEEZZNS1_14partition_implILS5_3ELb0ES3_jN6thrust23THRUST_200600_302600_NS6detail15normal_iteratorINSA_7pointerItNSA_11hip_rocprim3tagENSA_11use_defaultESG_EEEEPS6_SJ_NS0_5tupleIJPtSJ_EEENSK_IJSJ_SJ_EEES6_PlJ7is_evenItEEEE10hipError_tPvRmT3_T4_T5_T6_T7_T9_mT8_P12ihipStream_tbDpT10_ENKUlT_T0_E_clISt17integral_constantIbLb1EES1A_EEDaS15_S16_EUlS15_E_NS1_11comp_targetILNS1_3genE3ELNS1_11target_archE908ELNS1_3gpuE7ELNS1_3repE0EEENS1_30default_config_static_selectorELNS0_4arch9wavefront6targetE1EEEvT1_,"axG",@progbits,_ZN7rocprim17ROCPRIM_400000_NS6detail17trampoline_kernelINS0_14default_configENS1_25partition_config_selectorILNS1_17partition_subalgoE3EtNS0_10empty_typeEbEEZZNS1_14partition_implILS5_3ELb0ES3_jN6thrust23THRUST_200600_302600_NS6detail15normal_iteratorINSA_7pointerItNSA_11hip_rocprim3tagENSA_11use_defaultESG_EEEEPS6_SJ_NS0_5tupleIJPtSJ_EEENSK_IJSJ_SJ_EEES6_PlJ7is_evenItEEEE10hipError_tPvRmT3_T4_T5_T6_T7_T9_mT8_P12ihipStream_tbDpT10_ENKUlT_T0_E_clISt17integral_constantIbLb1EES1A_EEDaS15_S16_EUlS15_E_NS1_11comp_targetILNS1_3genE3ELNS1_11target_archE908ELNS1_3gpuE7ELNS1_3repE0EEENS1_30default_config_static_selectorELNS0_4arch9wavefront6targetE1EEEvT1_,comdat
.Lfunc_end1167:
	.size	_ZN7rocprim17ROCPRIM_400000_NS6detail17trampoline_kernelINS0_14default_configENS1_25partition_config_selectorILNS1_17partition_subalgoE3EtNS0_10empty_typeEbEEZZNS1_14partition_implILS5_3ELb0ES3_jN6thrust23THRUST_200600_302600_NS6detail15normal_iteratorINSA_7pointerItNSA_11hip_rocprim3tagENSA_11use_defaultESG_EEEEPS6_SJ_NS0_5tupleIJPtSJ_EEENSK_IJSJ_SJ_EEES6_PlJ7is_evenItEEEE10hipError_tPvRmT3_T4_T5_T6_T7_T9_mT8_P12ihipStream_tbDpT10_ENKUlT_T0_E_clISt17integral_constantIbLb1EES1A_EEDaS15_S16_EUlS15_E_NS1_11comp_targetILNS1_3genE3ELNS1_11target_archE908ELNS1_3gpuE7ELNS1_3repE0EEENS1_30default_config_static_selectorELNS0_4arch9wavefront6targetE1EEEvT1_, .Lfunc_end1167-_ZN7rocprim17ROCPRIM_400000_NS6detail17trampoline_kernelINS0_14default_configENS1_25partition_config_selectorILNS1_17partition_subalgoE3EtNS0_10empty_typeEbEEZZNS1_14partition_implILS5_3ELb0ES3_jN6thrust23THRUST_200600_302600_NS6detail15normal_iteratorINSA_7pointerItNSA_11hip_rocprim3tagENSA_11use_defaultESG_EEEEPS6_SJ_NS0_5tupleIJPtSJ_EEENSK_IJSJ_SJ_EEES6_PlJ7is_evenItEEEE10hipError_tPvRmT3_T4_T5_T6_T7_T9_mT8_P12ihipStream_tbDpT10_ENKUlT_T0_E_clISt17integral_constantIbLb1EES1A_EEDaS15_S16_EUlS15_E_NS1_11comp_targetILNS1_3genE3ELNS1_11target_archE908ELNS1_3gpuE7ELNS1_3repE0EEENS1_30default_config_static_selectorELNS0_4arch9wavefront6targetE1EEEvT1_
                                        ; -- End function
	.section	.AMDGPU.csdata,"",@progbits
; Kernel info:
; codeLenInByte = 0
; NumSgprs: 6
; NumVgprs: 0
; NumAgprs: 0
; TotalNumVgprs: 0
; ScratchSize: 0
; MemoryBound: 0
; FloatMode: 240
; IeeeMode: 1
; LDSByteSize: 0 bytes/workgroup (compile time only)
; SGPRBlocks: 0
; VGPRBlocks: 0
; NumSGPRsForWavesPerEU: 6
; NumVGPRsForWavesPerEU: 1
; AccumOffset: 4
; Occupancy: 8
; WaveLimiterHint : 0
; COMPUTE_PGM_RSRC2:SCRATCH_EN: 0
; COMPUTE_PGM_RSRC2:USER_SGPR: 2
; COMPUTE_PGM_RSRC2:TRAP_HANDLER: 0
; COMPUTE_PGM_RSRC2:TGID_X_EN: 1
; COMPUTE_PGM_RSRC2:TGID_Y_EN: 0
; COMPUTE_PGM_RSRC2:TGID_Z_EN: 0
; COMPUTE_PGM_RSRC2:TIDIG_COMP_CNT: 0
; COMPUTE_PGM_RSRC3_GFX90A:ACCUM_OFFSET: 0
; COMPUTE_PGM_RSRC3_GFX90A:TG_SPLIT: 0
	.section	.text._ZN7rocprim17ROCPRIM_400000_NS6detail17trampoline_kernelINS0_14default_configENS1_25partition_config_selectorILNS1_17partition_subalgoE3EtNS0_10empty_typeEbEEZZNS1_14partition_implILS5_3ELb0ES3_jN6thrust23THRUST_200600_302600_NS6detail15normal_iteratorINSA_7pointerItNSA_11hip_rocprim3tagENSA_11use_defaultESG_EEEEPS6_SJ_NS0_5tupleIJPtSJ_EEENSK_IJSJ_SJ_EEES6_PlJ7is_evenItEEEE10hipError_tPvRmT3_T4_T5_T6_T7_T9_mT8_P12ihipStream_tbDpT10_ENKUlT_T0_E_clISt17integral_constantIbLb1EES1A_EEDaS15_S16_EUlS15_E_NS1_11comp_targetILNS1_3genE2ELNS1_11target_archE906ELNS1_3gpuE6ELNS1_3repE0EEENS1_30default_config_static_selectorELNS0_4arch9wavefront6targetE1EEEvT1_,"axG",@progbits,_ZN7rocprim17ROCPRIM_400000_NS6detail17trampoline_kernelINS0_14default_configENS1_25partition_config_selectorILNS1_17partition_subalgoE3EtNS0_10empty_typeEbEEZZNS1_14partition_implILS5_3ELb0ES3_jN6thrust23THRUST_200600_302600_NS6detail15normal_iteratorINSA_7pointerItNSA_11hip_rocprim3tagENSA_11use_defaultESG_EEEEPS6_SJ_NS0_5tupleIJPtSJ_EEENSK_IJSJ_SJ_EEES6_PlJ7is_evenItEEEE10hipError_tPvRmT3_T4_T5_T6_T7_T9_mT8_P12ihipStream_tbDpT10_ENKUlT_T0_E_clISt17integral_constantIbLb1EES1A_EEDaS15_S16_EUlS15_E_NS1_11comp_targetILNS1_3genE2ELNS1_11target_archE906ELNS1_3gpuE6ELNS1_3repE0EEENS1_30default_config_static_selectorELNS0_4arch9wavefront6targetE1EEEvT1_,comdat
	.protected	_ZN7rocprim17ROCPRIM_400000_NS6detail17trampoline_kernelINS0_14default_configENS1_25partition_config_selectorILNS1_17partition_subalgoE3EtNS0_10empty_typeEbEEZZNS1_14partition_implILS5_3ELb0ES3_jN6thrust23THRUST_200600_302600_NS6detail15normal_iteratorINSA_7pointerItNSA_11hip_rocprim3tagENSA_11use_defaultESG_EEEEPS6_SJ_NS0_5tupleIJPtSJ_EEENSK_IJSJ_SJ_EEES6_PlJ7is_evenItEEEE10hipError_tPvRmT3_T4_T5_T6_T7_T9_mT8_P12ihipStream_tbDpT10_ENKUlT_T0_E_clISt17integral_constantIbLb1EES1A_EEDaS15_S16_EUlS15_E_NS1_11comp_targetILNS1_3genE2ELNS1_11target_archE906ELNS1_3gpuE6ELNS1_3repE0EEENS1_30default_config_static_selectorELNS0_4arch9wavefront6targetE1EEEvT1_ ; -- Begin function _ZN7rocprim17ROCPRIM_400000_NS6detail17trampoline_kernelINS0_14default_configENS1_25partition_config_selectorILNS1_17partition_subalgoE3EtNS0_10empty_typeEbEEZZNS1_14partition_implILS5_3ELb0ES3_jN6thrust23THRUST_200600_302600_NS6detail15normal_iteratorINSA_7pointerItNSA_11hip_rocprim3tagENSA_11use_defaultESG_EEEEPS6_SJ_NS0_5tupleIJPtSJ_EEENSK_IJSJ_SJ_EEES6_PlJ7is_evenItEEEE10hipError_tPvRmT3_T4_T5_T6_T7_T9_mT8_P12ihipStream_tbDpT10_ENKUlT_T0_E_clISt17integral_constantIbLb1EES1A_EEDaS15_S16_EUlS15_E_NS1_11comp_targetILNS1_3genE2ELNS1_11target_archE906ELNS1_3gpuE6ELNS1_3repE0EEENS1_30default_config_static_selectorELNS0_4arch9wavefront6targetE1EEEvT1_
	.globl	_ZN7rocprim17ROCPRIM_400000_NS6detail17trampoline_kernelINS0_14default_configENS1_25partition_config_selectorILNS1_17partition_subalgoE3EtNS0_10empty_typeEbEEZZNS1_14partition_implILS5_3ELb0ES3_jN6thrust23THRUST_200600_302600_NS6detail15normal_iteratorINSA_7pointerItNSA_11hip_rocprim3tagENSA_11use_defaultESG_EEEEPS6_SJ_NS0_5tupleIJPtSJ_EEENSK_IJSJ_SJ_EEES6_PlJ7is_evenItEEEE10hipError_tPvRmT3_T4_T5_T6_T7_T9_mT8_P12ihipStream_tbDpT10_ENKUlT_T0_E_clISt17integral_constantIbLb1EES1A_EEDaS15_S16_EUlS15_E_NS1_11comp_targetILNS1_3genE2ELNS1_11target_archE906ELNS1_3gpuE6ELNS1_3repE0EEENS1_30default_config_static_selectorELNS0_4arch9wavefront6targetE1EEEvT1_
	.p2align	8
	.type	_ZN7rocprim17ROCPRIM_400000_NS6detail17trampoline_kernelINS0_14default_configENS1_25partition_config_selectorILNS1_17partition_subalgoE3EtNS0_10empty_typeEbEEZZNS1_14partition_implILS5_3ELb0ES3_jN6thrust23THRUST_200600_302600_NS6detail15normal_iteratorINSA_7pointerItNSA_11hip_rocprim3tagENSA_11use_defaultESG_EEEEPS6_SJ_NS0_5tupleIJPtSJ_EEENSK_IJSJ_SJ_EEES6_PlJ7is_evenItEEEE10hipError_tPvRmT3_T4_T5_T6_T7_T9_mT8_P12ihipStream_tbDpT10_ENKUlT_T0_E_clISt17integral_constantIbLb1EES1A_EEDaS15_S16_EUlS15_E_NS1_11comp_targetILNS1_3genE2ELNS1_11target_archE906ELNS1_3gpuE6ELNS1_3repE0EEENS1_30default_config_static_selectorELNS0_4arch9wavefront6targetE1EEEvT1_,@function
_ZN7rocprim17ROCPRIM_400000_NS6detail17trampoline_kernelINS0_14default_configENS1_25partition_config_selectorILNS1_17partition_subalgoE3EtNS0_10empty_typeEbEEZZNS1_14partition_implILS5_3ELb0ES3_jN6thrust23THRUST_200600_302600_NS6detail15normal_iteratorINSA_7pointerItNSA_11hip_rocprim3tagENSA_11use_defaultESG_EEEEPS6_SJ_NS0_5tupleIJPtSJ_EEENSK_IJSJ_SJ_EEES6_PlJ7is_evenItEEEE10hipError_tPvRmT3_T4_T5_T6_T7_T9_mT8_P12ihipStream_tbDpT10_ENKUlT_T0_E_clISt17integral_constantIbLb1EES1A_EEDaS15_S16_EUlS15_E_NS1_11comp_targetILNS1_3genE2ELNS1_11target_archE906ELNS1_3gpuE6ELNS1_3repE0EEENS1_30default_config_static_selectorELNS0_4arch9wavefront6targetE1EEEvT1_: ; @_ZN7rocprim17ROCPRIM_400000_NS6detail17trampoline_kernelINS0_14default_configENS1_25partition_config_selectorILNS1_17partition_subalgoE3EtNS0_10empty_typeEbEEZZNS1_14partition_implILS5_3ELb0ES3_jN6thrust23THRUST_200600_302600_NS6detail15normal_iteratorINSA_7pointerItNSA_11hip_rocprim3tagENSA_11use_defaultESG_EEEEPS6_SJ_NS0_5tupleIJPtSJ_EEENSK_IJSJ_SJ_EEES6_PlJ7is_evenItEEEE10hipError_tPvRmT3_T4_T5_T6_T7_T9_mT8_P12ihipStream_tbDpT10_ENKUlT_T0_E_clISt17integral_constantIbLb1EES1A_EEDaS15_S16_EUlS15_E_NS1_11comp_targetILNS1_3genE2ELNS1_11target_archE906ELNS1_3gpuE6ELNS1_3repE0EEENS1_30default_config_static_selectorELNS0_4arch9wavefront6targetE1EEEvT1_
; %bb.0:
	.section	.rodata,"a",@progbits
	.p2align	6, 0x0
	.amdhsa_kernel _ZN7rocprim17ROCPRIM_400000_NS6detail17trampoline_kernelINS0_14default_configENS1_25partition_config_selectorILNS1_17partition_subalgoE3EtNS0_10empty_typeEbEEZZNS1_14partition_implILS5_3ELb0ES3_jN6thrust23THRUST_200600_302600_NS6detail15normal_iteratorINSA_7pointerItNSA_11hip_rocprim3tagENSA_11use_defaultESG_EEEEPS6_SJ_NS0_5tupleIJPtSJ_EEENSK_IJSJ_SJ_EEES6_PlJ7is_evenItEEEE10hipError_tPvRmT3_T4_T5_T6_T7_T9_mT8_P12ihipStream_tbDpT10_ENKUlT_T0_E_clISt17integral_constantIbLb1EES1A_EEDaS15_S16_EUlS15_E_NS1_11comp_targetILNS1_3genE2ELNS1_11target_archE906ELNS1_3gpuE6ELNS1_3repE0EEENS1_30default_config_static_selectorELNS0_4arch9wavefront6targetE1EEEvT1_
		.amdhsa_group_segment_fixed_size 0
		.amdhsa_private_segment_fixed_size 0
		.amdhsa_kernarg_size 136
		.amdhsa_user_sgpr_count 2
		.amdhsa_user_sgpr_dispatch_ptr 0
		.amdhsa_user_sgpr_queue_ptr 0
		.amdhsa_user_sgpr_kernarg_segment_ptr 1
		.amdhsa_user_sgpr_dispatch_id 0
		.amdhsa_user_sgpr_kernarg_preload_length 0
		.amdhsa_user_sgpr_kernarg_preload_offset 0
		.amdhsa_user_sgpr_private_segment_size 0
		.amdhsa_uses_dynamic_stack 0
		.amdhsa_enable_private_segment 0
		.amdhsa_system_sgpr_workgroup_id_x 1
		.amdhsa_system_sgpr_workgroup_id_y 0
		.amdhsa_system_sgpr_workgroup_id_z 0
		.amdhsa_system_sgpr_workgroup_info 0
		.amdhsa_system_vgpr_workitem_id 0
		.amdhsa_next_free_vgpr 1
		.amdhsa_next_free_sgpr 0
		.amdhsa_accum_offset 4
		.amdhsa_reserve_vcc 0
		.amdhsa_float_round_mode_32 0
		.amdhsa_float_round_mode_16_64 0
		.amdhsa_float_denorm_mode_32 3
		.amdhsa_float_denorm_mode_16_64 3
		.amdhsa_dx10_clamp 1
		.amdhsa_ieee_mode 1
		.amdhsa_fp16_overflow 0
		.amdhsa_tg_split 0
		.amdhsa_exception_fp_ieee_invalid_op 0
		.amdhsa_exception_fp_denorm_src 0
		.amdhsa_exception_fp_ieee_div_zero 0
		.amdhsa_exception_fp_ieee_overflow 0
		.amdhsa_exception_fp_ieee_underflow 0
		.amdhsa_exception_fp_ieee_inexact 0
		.amdhsa_exception_int_div_zero 0
	.end_amdhsa_kernel
	.section	.text._ZN7rocprim17ROCPRIM_400000_NS6detail17trampoline_kernelINS0_14default_configENS1_25partition_config_selectorILNS1_17partition_subalgoE3EtNS0_10empty_typeEbEEZZNS1_14partition_implILS5_3ELb0ES3_jN6thrust23THRUST_200600_302600_NS6detail15normal_iteratorINSA_7pointerItNSA_11hip_rocprim3tagENSA_11use_defaultESG_EEEEPS6_SJ_NS0_5tupleIJPtSJ_EEENSK_IJSJ_SJ_EEES6_PlJ7is_evenItEEEE10hipError_tPvRmT3_T4_T5_T6_T7_T9_mT8_P12ihipStream_tbDpT10_ENKUlT_T0_E_clISt17integral_constantIbLb1EES1A_EEDaS15_S16_EUlS15_E_NS1_11comp_targetILNS1_3genE2ELNS1_11target_archE906ELNS1_3gpuE6ELNS1_3repE0EEENS1_30default_config_static_selectorELNS0_4arch9wavefront6targetE1EEEvT1_,"axG",@progbits,_ZN7rocprim17ROCPRIM_400000_NS6detail17trampoline_kernelINS0_14default_configENS1_25partition_config_selectorILNS1_17partition_subalgoE3EtNS0_10empty_typeEbEEZZNS1_14partition_implILS5_3ELb0ES3_jN6thrust23THRUST_200600_302600_NS6detail15normal_iteratorINSA_7pointerItNSA_11hip_rocprim3tagENSA_11use_defaultESG_EEEEPS6_SJ_NS0_5tupleIJPtSJ_EEENSK_IJSJ_SJ_EEES6_PlJ7is_evenItEEEE10hipError_tPvRmT3_T4_T5_T6_T7_T9_mT8_P12ihipStream_tbDpT10_ENKUlT_T0_E_clISt17integral_constantIbLb1EES1A_EEDaS15_S16_EUlS15_E_NS1_11comp_targetILNS1_3genE2ELNS1_11target_archE906ELNS1_3gpuE6ELNS1_3repE0EEENS1_30default_config_static_selectorELNS0_4arch9wavefront6targetE1EEEvT1_,comdat
.Lfunc_end1168:
	.size	_ZN7rocprim17ROCPRIM_400000_NS6detail17trampoline_kernelINS0_14default_configENS1_25partition_config_selectorILNS1_17partition_subalgoE3EtNS0_10empty_typeEbEEZZNS1_14partition_implILS5_3ELb0ES3_jN6thrust23THRUST_200600_302600_NS6detail15normal_iteratorINSA_7pointerItNSA_11hip_rocprim3tagENSA_11use_defaultESG_EEEEPS6_SJ_NS0_5tupleIJPtSJ_EEENSK_IJSJ_SJ_EEES6_PlJ7is_evenItEEEE10hipError_tPvRmT3_T4_T5_T6_T7_T9_mT8_P12ihipStream_tbDpT10_ENKUlT_T0_E_clISt17integral_constantIbLb1EES1A_EEDaS15_S16_EUlS15_E_NS1_11comp_targetILNS1_3genE2ELNS1_11target_archE906ELNS1_3gpuE6ELNS1_3repE0EEENS1_30default_config_static_selectorELNS0_4arch9wavefront6targetE1EEEvT1_, .Lfunc_end1168-_ZN7rocprim17ROCPRIM_400000_NS6detail17trampoline_kernelINS0_14default_configENS1_25partition_config_selectorILNS1_17partition_subalgoE3EtNS0_10empty_typeEbEEZZNS1_14partition_implILS5_3ELb0ES3_jN6thrust23THRUST_200600_302600_NS6detail15normal_iteratorINSA_7pointerItNSA_11hip_rocprim3tagENSA_11use_defaultESG_EEEEPS6_SJ_NS0_5tupleIJPtSJ_EEENSK_IJSJ_SJ_EEES6_PlJ7is_evenItEEEE10hipError_tPvRmT3_T4_T5_T6_T7_T9_mT8_P12ihipStream_tbDpT10_ENKUlT_T0_E_clISt17integral_constantIbLb1EES1A_EEDaS15_S16_EUlS15_E_NS1_11comp_targetILNS1_3genE2ELNS1_11target_archE906ELNS1_3gpuE6ELNS1_3repE0EEENS1_30default_config_static_selectorELNS0_4arch9wavefront6targetE1EEEvT1_
                                        ; -- End function
	.section	.AMDGPU.csdata,"",@progbits
; Kernel info:
; codeLenInByte = 0
; NumSgprs: 6
; NumVgprs: 0
; NumAgprs: 0
; TotalNumVgprs: 0
; ScratchSize: 0
; MemoryBound: 0
; FloatMode: 240
; IeeeMode: 1
; LDSByteSize: 0 bytes/workgroup (compile time only)
; SGPRBlocks: 0
; VGPRBlocks: 0
; NumSGPRsForWavesPerEU: 6
; NumVGPRsForWavesPerEU: 1
; AccumOffset: 4
; Occupancy: 8
; WaveLimiterHint : 0
; COMPUTE_PGM_RSRC2:SCRATCH_EN: 0
; COMPUTE_PGM_RSRC2:USER_SGPR: 2
; COMPUTE_PGM_RSRC2:TRAP_HANDLER: 0
; COMPUTE_PGM_RSRC2:TGID_X_EN: 1
; COMPUTE_PGM_RSRC2:TGID_Y_EN: 0
; COMPUTE_PGM_RSRC2:TGID_Z_EN: 0
; COMPUTE_PGM_RSRC2:TIDIG_COMP_CNT: 0
; COMPUTE_PGM_RSRC3_GFX90A:ACCUM_OFFSET: 0
; COMPUTE_PGM_RSRC3_GFX90A:TG_SPLIT: 0
	.section	.text._ZN7rocprim17ROCPRIM_400000_NS6detail17trampoline_kernelINS0_14default_configENS1_25partition_config_selectorILNS1_17partition_subalgoE3EtNS0_10empty_typeEbEEZZNS1_14partition_implILS5_3ELb0ES3_jN6thrust23THRUST_200600_302600_NS6detail15normal_iteratorINSA_7pointerItNSA_11hip_rocprim3tagENSA_11use_defaultESG_EEEEPS6_SJ_NS0_5tupleIJPtSJ_EEENSK_IJSJ_SJ_EEES6_PlJ7is_evenItEEEE10hipError_tPvRmT3_T4_T5_T6_T7_T9_mT8_P12ihipStream_tbDpT10_ENKUlT_T0_E_clISt17integral_constantIbLb1EES1A_EEDaS15_S16_EUlS15_E_NS1_11comp_targetILNS1_3genE10ELNS1_11target_archE1200ELNS1_3gpuE4ELNS1_3repE0EEENS1_30default_config_static_selectorELNS0_4arch9wavefront6targetE1EEEvT1_,"axG",@progbits,_ZN7rocprim17ROCPRIM_400000_NS6detail17trampoline_kernelINS0_14default_configENS1_25partition_config_selectorILNS1_17partition_subalgoE3EtNS0_10empty_typeEbEEZZNS1_14partition_implILS5_3ELb0ES3_jN6thrust23THRUST_200600_302600_NS6detail15normal_iteratorINSA_7pointerItNSA_11hip_rocprim3tagENSA_11use_defaultESG_EEEEPS6_SJ_NS0_5tupleIJPtSJ_EEENSK_IJSJ_SJ_EEES6_PlJ7is_evenItEEEE10hipError_tPvRmT3_T4_T5_T6_T7_T9_mT8_P12ihipStream_tbDpT10_ENKUlT_T0_E_clISt17integral_constantIbLb1EES1A_EEDaS15_S16_EUlS15_E_NS1_11comp_targetILNS1_3genE10ELNS1_11target_archE1200ELNS1_3gpuE4ELNS1_3repE0EEENS1_30default_config_static_selectorELNS0_4arch9wavefront6targetE1EEEvT1_,comdat
	.protected	_ZN7rocprim17ROCPRIM_400000_NS6detail17trampoline_kernelINS0_14default_configENS1_25partition_config_selectorILNS1_17partition_subalgoE3EtNS0_10empty_typeEbEEZZNS1_14partition_implILS5_3ELb0ES3_jN6thrust23THRUST_200600_302600_NS6detail15normal_iteratorINSA_7pointerItNSA_11hip_rocprim3tagENSA_11use_defaultESG_EEEEPS6_SJ_NS0_5tupleIJPtSJ_EEENSK_IJSJ_SJ_EEES6_PlJ7is_evenItEEEE10hipError_tPvRmT3_T4_T5_T6_T7_T9_mT8_P12ihipStream_tbDpT10_ENKUlT_T0_E_clISt17integral_constantIbLb1EES1A_EEDaS15_S16_EUlS15_E_NS1_11comp_targetILNS1_3genE10ELNS1_11target_archE1200ELNS1_3gpuE4ELNS1_3repE0EEENS1_30default_config_static_selectorELNS0_4arch9wavefront6targetE1EEEvT1_ ; -- Begin function _ZN7rocprim17ROCPRIM_400000_NS6detail17trampoline_kernelINS0_14default_configENS1_25partition_config_selectorILNS1_17partition_subalgoE3EtNS0_10empty_typeEbEEZZNS1_14partition_implILS5_3ELb0ES3_jN6thrust23THRUST_200600_302600_NS6detail15normal_iteratorINSA_7pointerItNSA_11hip_rocprim3tagENSA_11use_defaultESG_EEEEPS6_SJ_NS0_5tupleIJPtSJ_EEENSK_IJSJ_SJ_EEES6_PlJ7is_evenItEEEE10hipError_tPvRmT3_T4_T5_T6_T7_T9_mT8_P12ihipStream_tbDpT10_ENKUlT_T0_E_clISt17integral_constantIbLb1EES1A_EEDaS15_S16_EUlS15_E_NS1_11comp_targetILNS1_3genE10ELNS1_11target_archE1200ELNS1_3gpuE4ELNS1_3repE0EEENS1_30default_config_static_selectorELNS0_4arch9wavefront6targetE1EEEvT1_
	.globl	_ZN7rocprim17ROCPRIM_400000_NS6detail17trampoline_kernelINS0_14default_configENS1_25partition_config_selectorILNS1_17partition_subalgoE3EtNS0_10empty_typeEbEEZZNS1_14partition_implILS5_3ELb0ES3_jN6thrust23THRUST_200600_302600_NS6detail15normal_iteratorINSA_7pointerItNSA_11hip_rocprim3tagENSA_11use_defaultESG_EEEEPS6_SJ_NS0_5tupleIJPtSJ_EEENSK_IJSJ_SJ_EEES6_PlJ7is_evenItEEEE10hipError_tPvRmT3_T4_T5_T6_T7_T9_mT8_P12ihipStream_tbDpT10_ENKUlT_T0_E_clISt17integral_constantIbLb1EES1A_EEDaS15_S16_EUlS15_E_NS1_11comp_targetILNS1_3genE10ELNS1_11target_archE1200ELNS1_3gpuE4ELNS1_3repE0EEENS1_30default_config_static_selectorELNS0_4arch9wavefront6targetE1EEEvT1_
	.p2align	8
	.type	_ZN7rocprim17ROCPRIM_400000_NS6detail17trampoline_kernelINS0_14default_configENS1_25partition_config_selectorILNS1_17partition_subalgoE3EtNS0_10empty_typeEbEEZZNS1_14partition_implILS5_3ELb0ES3_jN6thrust23THRUST_200600_302600_NS6detail15normal_iteratorINSA_7pointerItNSA_11hip_rocprim3tagENSA_11use_defaultESG_EEEEPS6_SJ_NS0_5tupleIJPtSJ_EEENSK_IJSJ_SJ_EEES6_PlJ7is_evenItEEEE10hipError_tPvRmT3_T4_T5_T6_T7_T9_mT8_P12ihipStream_tbDpT10_ENKUlT_T0_E_clISt17integral_constantIbLb1EES1A_EEDaS15_S16_EUlS15_E_NS1_11comp_targetILNS1_3genE10ELNS1_11target_archE1200ELNS1_3gpuE4ELNS1_3repE0EEENS1_30default_config_static_selectorELNS0_4arch9wavefront6targetE1EEEvT1_,@function
_ZN7rocprim17ROCPRIM_400000_NS6detail17trampoline_kernelINS0_14default_configENS1_25partition_config_selectorILNS1_17partition_subalgoE3EtNS0_10empty_typeEbEEZZNS1_14partition_implILS5_3ELb0ES3_jN6thrust23THRUST_200600_302600_NS6detail15normal_iteratorINSA_7pointerItNSA_11hip_rocprim3tagENSA_11use_defaultESG_EEEEPS6_SJ_NS0_5tupleIJPtSJ_EEENSK_IJSJ_SJ_EEES6_PlJ7is_evenItEEEE10hipError_tPvRmT3_T4_T5_T6_T7_T9_mT8_P12ihipStream_tbDpT10_ENKUlT_T0_E_clISt17integral_constantIbLb1EES1A_EEDaS15_S16_EUlS15_E_NS1_11comp_targetILNS1_3genE10ELNS1_11target_archE1200ELNS1_3gpuE4ELNS1_3repE0EEENS1_30default_config_static_selectorELNS0_4arch9wavefront6targetE1EEEvT1_: ; @_ZN7rocprim17ROCPRIM_400000_NS6detail17trampoline_kernelINS0_14default_configENS1_25partition_config_selectorILNS1_17partition_subalgoE3EtNS0_10empty_typeEbEEZZNS1_14partition_implILS5_3ELb0ES3_jN6thrust23THRUST_200600_302600_NS6detail15normal_iteratorINSA_7pointerItNSA_11hip_rocprim3tagENSA_11use_defaultESG_EEEEPS6_SJ_NS0_5tupleIJPtSJ_EEENSK_IJSJ_SJ_EEES6_PlJ7is_evenItEEEE10hipError_tPvRmT3_T4_T5_T6_T7_T9_mT8_P12ihipStream_tbDpT10_ENKUlT_T0_E_clISt17integral_constantIbLb1EES1A_EEDaS15_S16_EUlS15_E_NS1_11comp_targetILNS1_3genE10ELNS1_11target_archE1200ELNS1_3gpuE4ELNS1_3repE0EEENS1_30default_config_static_selectorELNS0_4arch9wavefront6targetE1EEEvT1_
; %bb.0:
	.section	.rodata,"a",@progbits
	.p2align	6, 0x0
	.amdhsa_kernel _ZN7rocprim17ROCPRIM_400000_NS6detail17trampoline_kernelINS0_14default_configENS1_25partition_config_selectorILNS1_17partition_subalgoE3EtNS0_10empty_typeEbEEZZNS1_14partition_implILS5_3ELb0ES3_jN6thrust23THRUST_200600_302600_NS6detail15normal_iteratorINSA_7pointerItNSA_11hip_rocprim3tagENSA_11use_defaultESG_EEEEPS6_SJ_NS0_5tupleIJPtSJ_EEENSK_IJSJ_SJ_EEES6_PlJ7is_evenItEEEE10hipError_tPvRmT3_T4_T5_T6_T7_T9_mT8_P12ihipStream_tbDpT10_ENKUlT_T0_E_clISt17integral_constantIbLb1EES1A_EEDaS15_S16_EUlS15_E_NS1_11comp_targetILNS1_3genE10ELNS1_11target_archE1200ELNS1_3gpuE4ELNS1_3repE0EEENS1_30default_config_static_selectorELNS0_4arch9wavefront6targetE1EEEvT1_
		.amdhsa_group_segment_fixed_size 0
		.amdhsa_private_segment_fixed_size 0
		.amdhsa_kernarg_size 136
		.amdhsa_user_sgpr_count 2
		.amdhsa_user_sgpr_dispatch_ptr 0
		.amdhsa_user_sgpr_queue_ptr 0
		.amdhsa_user_sgpr_kernarg_segment_ptr 1
		.amdhsa_user_sgpr_dispatch_id 0
		.amdhsa_user_sgpr_kernarg_preload_length 0
		.amdhsa_user_sgpr_kernarg_preload_offset 0
		.amdhsa_user_sgpr_private_segment_size 0
		.amdhsa_uses_dynamic_stack 0
		.amdhsa_enable_private_segment 0
		.amdhsa_system_sgpr_workgroup_id_x 1
		.amdhsa_system_sgpr_workgroup_id_y 0
		.amdhsa_system_sgpr_workgroup_id_z 0
		.amdhsa_system_sgpr_workgroup_info 0
		.amdhsa_system_vgpr_workitem_id 0
		.amdhsa_next_free_vgpr 1
		.amdhsa_next_free_sgpr 0
		.amdhsa_accum_offset 4
		.amdhsa_reserve_vcc 0
		.amdhsa_float_round_mode_32 0
		.amdhsa_float_round_mode_16_64 0
		.amdhsa_float_denorm_mode_32 3
		.amdhsa_float_denorm_mode_16_64 3
		.amdhsa_dx10_clamp 1
		.amdhsa_ieee_mode 1
		.amdhsa_fp16_overflow 0
		.amdhsa_tg_split 0
		.amdhsa_exception_fp_ieee_invalid_op 0
		.amdhsa_exception_fp_denorm_src 0
		.amdhsa_exception_fp_ieee_div_zero 0
		.amdhsa_exception_fp_ieee_overflow 0
		.amdhsa_exception_fp_ieee_underflow 0
		.amdhsa_exception_fp_ieee_inexact 0
		.amdhsa_exception_int_div_zero 0
	.end_amdhsa_kernel
	.section	.text._ZN7rocprim17ROCPRIM_400000_NS6detail17trampoline_kernelINS0_14default_configENS1_25partition_config_selectorILNS1_17partition_subalgoE3EtNS0_10empty_typeEbEEZZNS1_14partition_implILS5_3ELb0ES3_jN6thrust23THRUST_200600_302600_NS6detail15normal_iteratorINSA_7pointerItNSA_11hip_rocprim3tagENSA_11use_defaultESG_EEEEPS6_SJ_NS0_5tupleIJPtSJ_EEENSK_IJSJ_SJ_EEES6_PlJ7is_evenItEEEE10hipError_tPvRmT3_T4_T5_T6_T7_T9_mT8_P12ihipStream_tbDpT10_ENKUlT_T0_E_clISt17integral_constantIbLb1EES1A_EEDaS15_S16_EUlS15_E_NS1_11comp_targetILNS1_3genE10ELNS1_11target_archE1200ELNS1_3gpuE4ELNS1_3repE0EEENS1_30default_config_static_selectorELNS0_4arch9wavefront6targetE1EEEvT1_,"axG",@progbits,_ZN7rocprim17ROCPRIM_400000_NS6detail17trampoline_kernelINS0_14default_configENS1_25partition_config_selectorILNS1_17partition_subalgoE3EtNS0_10empty_typeEbEEZZNS1_14partition_implILS5_3ELb0ES3_jN6thrust23THRUST_200600_302600_NS6detail15normal_iteratorINSA_7pointerItNSA_11hip_rocprim3tagENSA_11use_defaultESG_EEEEPS6_SJ_NS0_5tupleIJPtSJ_EEENSK_IJSJ_SJ_EEES6_PlJ7is_evenItEEEE10hipError_tPvRmT3_T4_T5_T6_T7_T9_mT8_P12ihipStream_tbDpT10_ENKUlT_T0_E_clISt17integral_constantIbLb1EES1A_EEDaS15_S16_EUlS15_E_NS1_11comp_targetILNS1_3genE10ELNS1_11target_archE1200ELNS1_3gpuE4ELNS1_3repE0EEENS1_30default_config_static_selectorELNS0_4arch9wavefront6targetE1EEEvT1_,comdat
.Lfunc_end1169:
	.size	_ZN7rocprim17ROCPRIM_400000_NS6detail17trampoline_kernelINS0_14default_configENS1_25partition_config_selectorILNS1_17partition_subalgoE3EtNS0_10empty_typeEbEEZZNS1_14partition_implILS5_3ELb0ES3_jN6thrust23THRUST_200600_302600_NS6detail15normal_iteratorINSA_7pointerItNSA_11hip_rocprim3tagENSA_11use_defaultESG_EEEEPS6_SJ_NS0_5tupleIJPtSJ_EEENSK_IJSJ_SJ_EEES6_PlJ7is_evenItEEEE10hipError_tPvRmT3_T4_T5_T6_T7_T9_mT8_P12ihipStream_tbDpT10_ENKUlT_T0_E_clISt17integral_constantIbLb1EES1A_EEDaS15_S16_EUlS15_E_NS1_11comp_targetILNS1_3genE10ELNS1_11target_archE1200ELNS1_3gpuE4ELNS1_3repE0EEENS1_30default_config_static_selectorELNS0_4arch9wavefront6targetE1EEEvT1_, .Lfunc_end1169-_ZN7rocprim17ROCPRIM_400000_NS6detail17trampoline_kernelINS0_14default_configENS1_25partition_config_selectorILNS1_17partition_subalgoE3EtNS0_10empty_typeEbEEZZNS1_14partition_implILS5_3ELb0ES3_jN6thrust23THRUST_200600_302600_NS6detail15normal_iteratorINSA_7pointerItNSA_11hip_rocprim3tagENSA_11use_defaultESG_EEEEPS6_SJ_NS0_5tupleIJPtSJ_EEENSK_IJSJ_SJ_EEES6_PlJ7is_evenItEEEE10hipError_tPvRmT3_T4_T5_T6_T7_T9_mT8_P12ihipStream_tbDpT10_ENKUlT_T0_E_clISt17integral_constantIbLb1EES1A_EEDaS15_S16_EUlS15_E_NS1_11comp_targetILNS1_3genE10ELNS1_11target_archE1200ELNS1_3gpuE4ELNS1_3repE0EEENS1_30default_config_static_selectorELNS0_4arch9wavefront6targetE1EEEvT1_
                                        ; -- End function
	.section	.AMDGPU.csdata,"",@progbits
; Kernel info:
; codeLenInByte = 0
; NumSgprs: 6
; NumVgprs: 0
; NumAgprs: 0
; TotalNumVgprs: 0
; ScratchSize: 0
; MemoryBound: 0
; FloatMode: 240
; IeeeMode: 1
; LDSByteSize: 0 bytes/workgroup (compile time only)
; SGPRBlocks: 0
; VGPRBlocks: 0
; NumSGPRsForWavesPerEU: 6
; NumVGPRsForWavesPerEU: 1
; AccumOffset: 4
; Occupancy: 8
; WaveLimiterHint : 0
; COMPUTE_PGM_RSRC2:SCRATCH_EN: 0
; COMPUTE_PGM_RSRC2:USER_SGPR: 2
; COMPUTE_PGM_RSRC2:TRAP_HANDLER: 0
; COMPUTE_PGM_RSRC2:TGID_X_EN: 1
; COMPUTE_PGM_RSRC2:TGID_Y_EN: 0
; COMPUTE_PGM_RSRC2:TGID_Z_EN: 0
; COMPUTE_PGM_RSRC2:TIDIG_COMP_CNT: 0
; COMPUTE_PGM_RSRC3_GFX90A:ACCUM_OFFSET: 0
; COMPUTE_PGM_RSRC3_GFX90A:TG_SPLIT: 0
	.section	.text._ZN7rocprim17ROCPRIM_400000_NS6detail17trampoline_kernelINS0_14default_configENS1_25partition_config_selectorILNS1_17partition_subalgoE3EtNS0_10empty_typeEbEEZZNS1_14partition_implILS5_3ELb0ES3_jN6thrust23THRUST_200600_302600_NS6detail15normal_iteratorINSA_7pointerItNSA_11hip_rocprim3tagENSA_11use_defaultESG_EEEEPS6_SJ_NS0_5tupleIJPtSJ_EEENSK_IJSJ_SJ_EEES6_PlJ7is_evenItEEEE10hipError_tPvRmT3_T4_T5_T6_T7_T9_mT8_P12ihipStream_tbDpT10_ENKUlT_T0_E_clISt17integral_constantIbLb1EES1A_EEDaS15_S16_EUlS15_E_NS1_11comp_targetILNS1_3genE9ELNS1_11target_archE1100ELNS1_3gpuE3ELNS1_3repE0EEENS1_30default_config_static_selectorELNS0_4arch9wavefront6targetE1EEEvT1_,"axG",@progbits,_ZN7rocprim17ROCPRIM_400000_NS6detail17trampoline_kernelINS0_14default_configENS1_25partition_config_selectorILNS1_17partition_subalgoE3EtNS0_10empty_typeEbEEZZNS1_14partition_implILS5_3ELb0ES3_jN6thrust23THRUST_200600_302600_NS6detail15normal_iteratorINSA_7pointerItNSA_11hip_rocprim3tagENSA_11use_defaultESG_EEEEPS6_SJ_NS0_5tupleIJPtSJ_EEENSK_IJSJ_SJ_EEES6_PlJ7is_evenItEEEE10hipError_tPvRmT3_T4_T5_T6_T7_T9_mT8_P12ihipStream_tbDpT10_ENKUlT_T0_E_clISt17integral_constantIbLb1EES1A_EEDaS15_S16_EUlS15_E_NS1_11comp_targetILNS1_3genE9ELNS1_11target_archE1100ELNS1_3gpuE3ELNS1_3repE0EEENS1_30default_config_static_selectorELNS0_4arch9wavefront6targetE1EEEvT1_,comdat
	.protected	_ZN7rocprim17ROCPRIM_400000_NS6detail17trampoline_kernelINS0_14default_configENS1_25partition_config_selectorILNS1_17partition_subalgoE3EtNS0_10empty_typeEbEEZZNS1_14partition_implILS5_3ELb0ES3_jN6thrust23THRUST_200600_302600_NS6detail15normal_iteratorINSA_7pointerItNSA_11hip_rocprim3tagENSA_11use_defaultESG_EEEEPS6_SJ_NS0_5tupleIJPtSJ_EEENSK_IJSJ_SJ_EEES6_PlJ7is_evenItEEEE10hipError_tPvRmT3_T4_T5_T6_T7_T9_mT8_P12ihipStream_tbDpT10_ENKUlT_T0_E_clISt17integral_constantIbLb1EES1A_EEDaS15_S16_EUlS15_E_NS1_11comp_targetILNS1_3genE9ELNS1_11target_archE1100ELNS1_3gpuE3ELNS1_3repE0EEENS1_30default_config_static_selectorELNS0_4arch9wavefront6targetE1EEEvT1_ ; -- Begin function _ZN7rocprim17ROCPRIM_400000_NS6detail17trampoline_kernelINS0_14default_configENS1_25partition_config_selectorILNS1_17partition_subalgoE3EtNS0_10empty_typeEbEEZZNS1_14partition_implILS5_3ELb0ES3_jN6thrust23THRUST_200600_302600_NS6detail15normal_iteratorINSA_7pointerItNSA_11hip_rocprim3tagENSA_11use_defaultESG_EEEEPS6_SJ_NS0_5tupleIJPtSJ_EEENSK_IJSJ_SJ_EEES6_PlJ7is_evenItEEEE10hipError_tPvRmT3_T4_T5_T6_T7_T9_mT8_P12ihipStream_tbDpT10_ENKUlT_T0_E_clISt17integral_constantIbLb1EES1A_EEDaS15_S16_EUlS15_E_NS1_11comp_targetILNS1_3genE9ELNS1_11target_archE1100ELNS1_3gpuE3ELNS1_3repE0EEENS1_30default_config_static_selectorELNS0_4arch9wavefront6targetE1EEEvT1_
	.globl	_ZN7rocprim17ROCPRIM_400000_NS6detail17trampoline_kernelINS0_14default_configENS1_25partition_config_selectorILNS1_17partition_subalgoE3EtNS0_10empty_typeEbEEZZNS1_14partition_implILS5_3ELb0ES3_jN6thrust23THRUST_200600_302600_NS6detail15normal_iteratorINSA_7pointerItNSA_11hip_rocprim3tagENSA_11use_defaultESG_EEEEPS6_SJ_NS0_5tupleIJPtSJ_EEENSK_IJSJ_SJ_EEES6_PlJ7is_evenItEEEE10hipError_tPvRmT3_T4_T5_T6_T7_T9_mT8_P12ihipStream_tbDpT10_ENKUlT_T0_E_clISt17integral_constantIbLb1EES1A_EEDaS15_S16_EUlS15_E_NS1_11comp_targetILNS1_3genE9ELNS1_11target_archE1100ELNS1_3gpuE3ELNS1_3repE0EEENS1_30default_config_static_selectorELNS0_4arch9wavefront6targetE1EEEvT1_
	.p2align	8
	.type	_ZN7rocprim17ROCPRIM_400000_NS6detail17trampoline_kernelINS0_14default_configENS1_25partition_config_selectorILNS1_17partition_subalgoE3EtNS0_10empty_typeEbEEZZNS1_14partition_implILS5_3ELb0ES3_jN6thrust23THRUST_200600_302600_NS6detail15normal_iteratorINSA_7pointerItNSA_11hip_rocprim3tagENSA_11use_defaultESG_EEEEPS6_SJ_NS0_5tupleIJPtSJ_EEENSK_IJSJ_SJ_EEES6_PlJ7is_evenItEEEE10hipError_tPvRmT3_T4_T5_T6_T7_T9_mT8_P12ihipStream_tbDpT10_ENKUlT_T0_E_clISt17integral_constantIbLb1EES1A_EEDaS15_S16_EUlS15_E_NS1_11comp_targetILNS1_3genE9ELNS1_11target_archE1100ELNS1_3gpuE3ELNS1_3repE0EEENS1_30default_config_static_selectorELNS0_4arch9wavefront6targetE1EEEvT1_,@function
_ZN7rocprim17ROCPRIM_400000_NS6detail17trampoline_kernelINS0_14default_configENS1_25partition_config_selectorILNS1_17partition_subalgoE3EtNS0_10empty_typeEbEEZZNS1_14partition_implILS5_3ELb0ES3_jN6thrust23THRUST_200600_302600_NS6detail15normal_iteratorINSA_7pointerItNSA_11hip_rocprim3tagENSA_11use_defaultESG_EEEEPS6_SJ_NS0_5tupleIJPtSJ_EEENSK_IJSJ_SJ_EEES6_PlJ7is_evenItEEEE10hipError_tPvRmT3_T4_T5_T6_T7_T9_mT8_P12ihipStream_tbDpT10_ENKUlT_T0_E_clISt17integral_constantIbLb1EES1A_EEDaS15_S16_EUlS15_E_NS1_11comp_targetILNS1_3genE9ELNS1_11target_archE1100ELNS1_3gpuE3ELNS1_3repE0EEENS1_30default_config_static_selectorELNS0_4arch9wavefront6targetE1EEEvT1_: ; @_ZN7rocprim17ROCPRIM_400000_NS6detail17trampoline_kernelINS0_14default_configENS1_25partition_config_selectorILNS1_17partition_subalgoE3EtNS0_10empty_typeEbEEZZNS1_14partition_implILS5_3ELb0ES3_jN6thrust23THRUST_200600_302600_NS6detail15normal_iteratorINSA_7pointerItNSA_11hip_rocprim3tagENSA_11use_defaultESG_EEEEPS6_SJ_NS0_5tupleIJPtSJ_EEENSK_IJSJ_SJ_EEES6_PlJ7is_evenItEEEE10hipError_tPvRmT3_T4_T5_T6_T7_T9_mT8_P12ihipStream_tbDpT10_ENKUlT_T0_E_clISt17integral_constantIbLb1EES1A_EEDaS15_S16_EUlS15_E_NS1_11comp_targetILNS1_3genE9ELNS1_11target_archE1100ELNS1_3gpuE3ELNS1_3repE0EEENS1_30default_config_static_selectorELNS0_4arch9wavefront6targetE1EEEvT1_
; %bb.0:
	.section	.rodata,"a",@progbits
	.p2align	6, 0x0
	.amdhsa_kernel _ZN7rocprim17ROCPRIM_400000_NS6detail17trampoline_kernelINS0_14default_configENS1_25partition_config_selectorILNS1_17partition_subalgoE3EtNS0_10empty_typeEbEEZZNS1_14partition_implILS5_3ELb0ES3_jN6thrust23THRUST_200600_302600_NS6detail15normal_iteratorINSA_7pointerItNSA_11hip_rocprim3tagENSA_11use_defaultESG_EEEEPS6_SJ_NS0_5tupleIJPtSJ_EEENSK_IJSJ_SJ_EEES6_PlJ7is_evenItEEEE10hipError_tPvRmT3_T4_T5_T6_T7_T9_mT8_P12ihipStream_tbDpT10_ENKUlT_T0_E_clISt17integral_constantIbLb1EES1A_EEDaS15_S16_EUlS15_E_NS1_11comp_targetILNS1_3genE9ELNS1_11target_archE1100ELNS1_3gpuE3ELNS1_3repE0EEENS1_30default_config_static_selectorELNS0_4arch9wavefront6targetE1EEEvT1_
		.amdhsa_group_segment_fixed_size 0
		.amdhsa_private_segment_fixed_size 0
		.amdhsa_kernarg_size 136
		.amdhsa_user_sgpr_count 2
		.amdhsa_user_sgpr_dispatch_ptr 0
		.amdhsa_user_sgpr_queue_ptr 0
		.amdhsa_user_sgpr_kernarg_segment_ptr 1
		.amdhsa_user_sgpr_dispatch_id 0
		.amdhsa_user_sgpr_kernarg_preload_length 0
		.amdhsa_user_sgpr_kernarg_preload_offset 0
		.amdhsa_user_sgpr_private_segment_size 0
		.amdhsa_uses_dynamic_stack 0
		.amdhsa_enable_private_segment 0
		.amdhsa_system_sgpr_workgroup_id_x 1
		.amdhsa_system_sgpr_workgroup_id_y 0
		.amdhsa_system_sgpr_workgroup_id_z 0
		.amdhsa_system_sgpr_workgroup_info 0
		.amdhsa_system_vgpr_workitem_id 0
		.amdhsa_next_free_vgpr 1
		.amdhsa_next_free_sgpr 0
		.amdhsa_accum_offset 4
		.amdhsa_reserve_vcc 0
		.amdhsa_float_round_mode_32 0
		.amdhsa_float_round_mode_16_64 0
		.amdhsa_float_denorm_mode_32 3
		.amdhsa_float_denorm_mode_16_64 3
		.amdhsa_dx10_clamp 1
		.amdhsa_ieee_mode 1
		.amdhsa_fp16_overflow 0
		.amdhsa_tg_split 0
		.amdhsa_exception_fp_ieee_invalid_op 0
		.amdhsa_exception_fp_denorm_src 0
		.amdhsa_exception_fp_ieee_div_zero 0
		.amdhsa_exception_fp_ieee_overflow 0
		.amdhsa_exception_fp_ieee_underflow 0
		.amdhsa_exception_fp_ieee_inexact 0
		.amdhsa_exception_int_div_zero 0
	.end_amdhsa_kernel
	.section	.text._ZN7rocprim17ROCPRIM_400000_NS6detail17trampoline_kernelINS0_14default_configENS1_25partition_config_selectorILNS1_17partition_subalgoE3EtNS0_10empty_typeEbEEZZNS1_14partition_implILS5_3ELb0ES3_jN6thrust23THRUST_200600_302600_NS6detail15normal_iteratorINSA_7pointerItNSA_11hip_rocprim3tagENSA_11use_defaultESG_EEEEPS6_SJ_NS0_5tupleIJPtSJ_EEENSK_IJSJ_SJ_EEES6_PlJ7is_evenItEEEE10hipError_tPvRmT3_T4_T5_T6_T7_T9_mT8_P12ihipStream_tbDpT10_ENKUlT_T0_E_clISt17integral_constantIbLb1EES1A_EEDaS15_S16_EUlS15_E_NS1_11comp_targetILNS1_3genE9ELNS1_11target_archE1100ELNS1_3gpuE3ELNS1_3repE0EEENS1_30default_config_static_selectorELNS0_4arch9wavefront6targetE1EEEvT1_,"axG",@progbits,_ZN7rocprim17ROCPRIM_400000_NS6detail17trampoline_kernelINS0_14default_configENS1_25partition_config_selectorILNS1_17partition_subalgoE3EtNS0_10empty_typeEbEEZZNS1_14partition_implILS5_3ELb0ES3_jN6thrust23THRUST_200600_302600_NS6detail15normal_iteratorINSA_7pointerItNSA_11hip_rocprim3tagENSA_11use_defaultESG_EEEEPS6_SJ_NS0_5tupleIJPtSJ_EEENSK_IJSJ_SJ_EEES6_PlJ7is_evenItEEEE10hipError_tPvRmT3_T4_T5_T6_T7_T9_mT8_P12ihipStream_tbDpT10_ENKUlT_T0_E_clISt17integral_constantIbLb1EES1A_EEDaS15_S16_EUlS15_E_NS1_11comp_targetILNS1_3genE9ELNS1_11target_archE1100ELNS1_3gpuE3ELNS1_3repE0EEENS1_30default_config_static_selectorELNS0_4arch9wavefront6targetE1EEEvT1_,comdat
.Lfunc_end1170:
	.size	_ZN7rocprim17ROCPRIM_400000_NS6detail17trampoline_kernelINS0_14default_configENS1_25partition_config_selectorILNS1_17partition_subalgoE3EtNS0_10empty_typeEbEEZZNS1_14partition_implILS5_3ELb0ES3_jN6thrust23THRUST_200600_302600_NS6detail15normal_iteratorINSA_7pointerItNSA_11hip_rocprim3tagENSA_11use_defaultESG_EEEEPS6_SJ_NS0_5tupleIJPtSJ_EEENSK_IJSJ_SJ_EEES6_PlJ7is_evenItEEEE10hipError_tPvRmT3_T4_T5_T6_T7_T9_mT8_P12ihipStream_tbDpT10_ENKUlT_T0_E_clISt17integral_constantIbLb1EES1A_EEDaS15_S16_EUlS15_E_NS1_11comp_targetILNS1_3genE9ELNS1_11target_archE1100ELNS1_3gpuE3ELNS1_3repE0EEENS1_30default_config_static_selectorELNS0_4arch9wavefront6targetE1EEEvT1_, .Lfunc_end1170-_ZN7rocprim17ROCPRIM_400000_NS6detail17trampoline_kernelINS0_14default_configENS1_25partition_config_selectorILNS1_17partition_subalgoE3EtNS0_10empty_typeEbEEZZNS1_14partition_implILS5_3ELb0ES3_jN6thrust23THRUST_200600_302600_NS6detail15normal_iteratorINSA_7pointerItNSA_11hip_rocprim3tagENSA_11use_defaultESG_EEEEPS6_SJ_NS0_5tupleIJPtSJ_EEENSK_IJSJ_SJ_EEES6_PlJ7is_evenItEEEE10hipError_tPvRmT3_T4_T5_T6_T7_T9_mT8_P12ihipStream_tbDpT10_ENKUlT_T0_E_clISt17integral_constantIbLb1EES1A_EEDaS15_S16_EUlS15_E_NS1_11comp_targetILNS1_3genE9ELNS1_11target_archE1100ELNS1_3gpuE3ELNS1_3repE0EEENS1_30default_config_static_selectorELNS0_4arch9wavefront6targetE1EEEvT1_
                                        ; -- End function
	.section	.AMDGPU.csdata,"",@progbits
; Kernel info:
; codeLenInByte = 0
; NumSgprs: 6
; NumVgprs: 0
; NumAgprs: 0
; TotalNumVgprs: 0
; ScratchSize: 0
; MemoryBound: 0
; FloatMode: 240
; IeeeMode: 1
; LDSByteSize: 0 bytes/workgroup (compile time only)
; SGPRBlocks: 0
; VGPRBlocks: 0
; NumSGPRsForWavesPerEU: 6
; NumVGPRsForWavesPerEU: 1
; AccumOffset: 4
; Occupancy: 8
; WaveLimiterHint : 0
; COMPUTE_PGM_RSRC2:SCRATCH_EN: 0
; COMPUTE_PGM_RSRC2:USER_SGPR: 2
; COMPUTE_PGM_RSRC2:TRAP_HANDLER: 0
; COMPUTE_PGM_RSRC2:TGID_X_EN: 1
; COMPUTE_PGM_RSRC2:TGID_Y_EN: 0
; COMPUTE_PGM_RSRC2:TGID_Z_EN: 0
; COMPUTE_PGM_RSRC2:TIDIG_COMP_CNT: 0
; COMPUTE_PGM_RSRC3_GFX90A:ACCUM_OFFSET: 0
; COMPUTE_PGM_RSRC3_GFX90A:TG_SPLIT: 0
	.section	.text._ZN7rocprim17ROCPRIM_400000_NS6detail17trampoline_kernelINS0_14default_configENS1_25partition_config_selectorILNS1_17partition_subalgoE3EtNS0_10empty_typeEbEEZZNS1_14partition_implILS5_3ELb0ES3_jN6thrust23THRUST_200600_302600_NS6detail15normal_iteratorINSA_7pointerItNSA_11hip_rocprim3tagENSA_11use_defaultESG_EEEEPS6_SJ_NS0_5tupleIJPtSJ_EEENSK_IJSJ_SJ_EEES6_PlJ7is_evenItEEEE10hipError_tPvRmT3_T4_T5_T6_T7_T9_mT8_P12ihipStream_tbDpT10_ENKUlT_T0_E_clISt17integral_constantIbLb1EES1A_EEDaS15_S16_EUlS15_E_NS1_11comp_targetILNS1_3genE8ELNS1_11target_archE1030ELNS1_3gpuE2ELNS1_3repE0EEENS1_30default_config_static_selectorELNS0_4arch9wavefront6targetE1EEEvT1_,"axG",@progbits,_ZN7rocprim17ROCPRIM_400000_NS6detail17trampoline_kernelINS0_14default_configENS1_25partition_config_selectorILNS1_17partition_subalgoE3EtNS0_10empty_typeEbEEZZNS1_14partition_implILS5_3ELb0ES3_jN6thrust23THRUST_200600_302600_NS6detail15normal_iteratorINSA_7pointerItNSA_11hip_rocprim3tagENSA_11use_defaultESG_EEEEPS6_SJ_NS0_5tupleIJPtSJ_EEENSK_IJSJ_SJ_EEES6_PlJ7is_evenItEEEE10hipError_tPvRmT3_T4_T5_T6_T7_T9_mT8_P12ihipStream_tbDpT10_ENKUlT_T0_E_clISt17integral_constantIbLb1EES1A_EEDaS15_S16_EUlS15_E_NS1_11comp_targetILNS1_3genE8ELNS1_11target_archE1030ELNS1_3gpuE2ELNS1_3repE0EEENS1_30default_config_static_selectorELNS0_4arch9wavefront6targetE1EEEvT1_,comdat
	.protected	_ZN7rocprim17ROCPRIM_400000_NS6detail17trampoline_kernelINS0_14default_configENS1_25partition_config_selectorILNS1_17partition_subalgoE3EtNS0_10empty_typeEbEEZZNS1_14partition_implILS5_3ELb0ES3_jN6thrust23THRUST_200600_302600_NS6detail15normal_iteratorINSA_7pointerItNSA_11hip_rocprim3tagENSA_11use_defaultESG_EEEEPS6_SJ_NS0_5tupleIJPtSJ_EEENSK_IJSJ_SJ_EEES6_PlJ7is_evenItEEEE10hipError_tPvRmT3_T4_T5_T6_T7_T9_mT8_P12ihipStream_tbDpT10_ENKUlT_T0_E_clISt17integral_constantIbLb1EES1A_EEDaS15_S16_EUlS15_E_NS1_11comp_targetILNS1_3genE8ELNS1_11target_archE1030ELNS1_3gpuE2ELNS1_3repE0EEENS1_30default_config_static_selectorELNS0_4arch9wavefront6targetE1EEEvT1_ ; -- Begin function _ZN7rocprim17ROCPRIM_400000_NS6detail17trampoline_kernelINS0_14default_configENS1_25partition_config_selectorILNS1_17partition_subalgoE3EtNS0_10empty_typeEbEEZZNS1_14partition_implILS5_3ELb0ES3_jN6thrust23THRUST_200600_302600_NS6detail15normal_iteratorINSA_7pointerItNSA_11hip_rocprim3tagENSA_11use_defaultESG_EEEEPS6_SJ_NS0_5tupleIJPtSJ_EEENSK_IJSJ_SJ_EEES6_PlJ7is_evenItEEEE10hipError_tPvRmT3_T4_T5_T6_T7_T9_mT8_P12ihipStream_tbDpT10_ENKUlT_T0_E_clISt17integral_constantIbLb1EES1A_EEDaS15_S16_EUlS15_E_NS1_11comp_targetILNS1_3genE8ELNS1_11target_archE1030ELNS1_3gpuE2ELNS1_3repE0EEENS1_30default_config_static_selectorELNS0_4arch9wavefront6targetE1EEEvT1_
	.globl	_ZN7rocprim17ROCPRIM_400000_NS6detail17trampoline_kernelINS0_14default_configENS1_25partition_config_selectorILNS1_17partition_subalgoE3EtNS0_10empty_typeEbEEZZNS1_14partition_implILS5_3ELb0ES3_jN6thrust23THRUST_200600_302600_NS6detail15normal_iteratorINSA_7pointerItNSA_11hip_rocprim3tagENSA_11use_defaultESG_EEEEPS6_SJ_NS0_5tupleIJPtSJ_EEENSK_IJSJ_SJ_EEES6_PlJ7is_evenItEEEE10hipError_tPvRmT3_T4_T5_T6_T7_T9_mT8_P12ihipStream_tbDpT10_ENKUlT_T0_E_clISt17integral_constantIbLb1EES1A_EEDaS15_S16_EUlS15_E_NS1_11comp_targetILNS1_3genE8ELNS1_11target_archE1030ELNS1_3gpuE2ELNS1_3repE0EEENS1_30default_config_static_selectorELNS0_4arch9wavefront6targetE1EEEvT1_
	.p2align	8
	.type	_ZN7rocprim17ROCPRIM_400000_NS6detail17trampoline_kernelINS0_14default_configENS1_25partition_config_selectorILNS1_17partition_subalgoE3EtNS0_10empty_typeEbEEZZNS1_14partition_implILS5_3ELb0ES3_jN6thrust23THRUST_200600_302600_NS6detail15normal_iteratorINSA_7pointerItNSA_11hip_rocprim3tagENSA_11use_defaultESG_EEEEPS6_SJ_NS0_5tupleIJPtSJ_EEENSK_IJSJ_SJ_EEES6_PlJ7is_evenItEEEE10hipError_tPvRmT3_T4_T5_T6_T7_T9_mT8_P12ihipStream_tbDpT10_ENKUlT_T0_E_clISt17integral_constantIbLb1EES1A_EEDaS15_S16_EUlS15_E_NS1_11comp_targetILNS1_3genE8ELNS1_11target_archE1030ELNS1_3gpuE2ELNS1_3repE0EEENS1_30default_config_static_selectorELNS0_4arch9wavefront6targetE1EEEvT1_,@function
_ZN7rocprim17ROCPRIM_400000_NS6detail17trampoline_kernelINS0_14default_configENS1_25partition_config_selectorILNS1_17partition_subalgoE3EtNS0_10empty_typeEbEEZZNS1_14partition_implILS5_3ELb0ES3_jN6thrust23THRUST_200600_302600_NS6detail15normal_iteratorINSA_7pointerItNSA_11hip_rocprim3tagENSA_11use_defaultESG_EEEEPS6_SJ_NS0_5tupleIJPtSJ_EEENSK_IJSJ_SJ_EEES6_PlJ7is_evenItEEEE10hipError_tPvRmT3_T4_T5_T6_T7_T9_mT8_P12ihipStream_tbDpT10_ENKUlT_T0_E_clISt17integral_constantIbLb1EES1A_EEDaS15_S16_EUlS15_E_NS1_11comp_targetILNS1_3genE8ELNS1_11target_archE1030ELNS1_3gpuE2ELNS1_3repE0EEENS1_30default_config_static_selectorELNS0_4arch9wavefront6targetE1EEEvT1_: ; @_ZN7rocprim17ROCPRIM_400000_NS6detail17trampoline_kernelINS0_14default_configENS1_25partition_config_selectorILNS1_17partition_subalgoE3EtNS0_10empty_typeEbEEZZNS1_14partition_implILS5_3ELb0ES3_jN6thrust23THRUST_200600_302600_NS6detail15normal_iteratorINSA_7pointerItNSA_11hip_rocprim3tagENSA_11use_defaultESG_EEEEPS6_SJ_NS0_5tupleIJPtSJ_EEENSK_IJSJ_SJ_EEES6_PlJ7is_evenItEEEE10hipError_tPvRmT3_T4_T5_T6_T7_T9_mT8_P12ihipStream_tbDpT10_ENKUlT_T0_E_clISt17integral_constantIbLb1EES1A_EEDaS15_S16_EUlS15_E_NS1_11comp_targetILNS1_3genE8ELNS1_11target_archE1030ELNS1_3gpuE2ELNS1_3repE0EEENS1_30default_config_static_selectorELNS0_4arch9wavefront6targetE1EEEvT1_
; %bb.0:
	.section	.rodata,"a",@progbits
	.p2align	6, 0x0
	.amdhsa_kernel _ZN7rocprim17ROCPRIM_400000_NS6detail17trampoline_kernelINS0_14default_configENS1_25partition_config_selectorILNS1_17partition_subalgoE3EtNS0_10empty_typeEbEEZZNS1_14partition_implILS5_3ELb0ES3_jN6thrust23THRUST_200600_302600_NS6detail15normal_iteratorINSA_7pointerItNSA_11hip_rocprim3tagENSA_11use_defaultESG_EEEEPS6_SJ_NS0_5tupleIJPtSJ_EEENSK_IJSJ_SJ_EEES6_PlJ7is_evenItEEEE10hipError_tPvRmT3_T4_T5_T6_T7_T9_mT8_P12ihipStream_tbDpT10_ENKUlT_T0_E_clISt17integral_constantIbLb1EES1A_EEDaS15_S16_EUlS15_E_NS1_11comp_targetILNS1_3genE8ELNS1_11target_archE1030ELNS1_3gpuE2ELNS1_3repE0EEENS1_30default_config_static_selectorELNS0_4arch9wavefront6targetE1EEEvT1_
		.amdhsa_group_segment_fixed_size 0
		.amdhsa_private_segment_fixed_size 0
		.amdhsa_kernarg_size 136
		.amdhsa_user_sgpr_count 2
		.amdhsa_user_sgpr_dispatch_ptr 0
		.amdhsa_user_sgpr_queue_ptr 0
		.amdhsa_user_sgpr_kernarg_segment_ptr 1
		.amdhsa_user_sgpr_dispatch_id 0
		.amdhsa_user_sgpr_kernarg_preload_length 0
		.amdhsa_user_sgpr_kernarg_preload_offset 0
		.amdhsa_user_sgpr_private_segment_size 0
		.amdhsa_uses_dynamic_stack 0
		.amdhsa_enable_private_segment 0
		.amdhsa_system_sgpr_workgroup_id_x 1
		.amdhsa_system_sgpr_workgroup_id_y 0
		.amdhsa_system_sgpr_workgroup_id_z 0
		.amdhsa_system_sgpr_workgroup_info 0
		.amdhsa_system_vgpr_workitem_id 0
		.amdhsa_next_free_vgpr 1
		.amdhsa_next_free_sgpr 0
		.amdhsa_accum_offset 4
		.amdhsa_reserve_vcc 0
		.amdhsa_float_round_mode_32 0
		.amdhsa_float_round_mode_16_64 0
		.amdhsa_float_denorm_mode_32 3
		.amdhsa_float_denorm_mode_16_64 3
		.amdhsa_dx10_clamp 1
		.amdhsa_ieee_mode 1
		.amdhsa_fp16_overflow 0
		.amdhsa_tg_split 0
		.amdhsa_exception_fp_ieee_invalid_op 0
		.amdhsa_exception_fp_denorm_src 0
		.amdhsa_exception_fp_ieee_div_zero 0
		.amdhsa_exception_fp_ieee_overflow 0
		.amdhsa_exception_fp_ieee_underflow 0
		.amdhsa_exception_fp_ieee_inexact 0
		.amdhsa_exception_int_div_zero 0
	.end_amdhsa_kernel
	.section	.text._ZN7rocprim17ROCPRIM_400000_NS6detail17trampoline_kernelINS0_14default_configENS1_25partition_config_selectorILNS1_17partition_subalgoE3EtNS0_10empty_typeEbEEZZNS1_14partition_implILS5_3ELb0ES3_jN6thrust23THRUST_200600_302600_NS6detail15normal_iteratorINSA_7pointerItNSA_11hip_rocprim3tagENSA_11use_defaultESG_EEEEPS6_SJ_NS0_5tupleIJPtSJ_EEENSK_IJSJ_SJ_EEES6_PlJ7is_evenItEEEE10hipError_tPvRmT3_T4_T5_T6_T7_T9_mT8_P12ihipStream_tbDpT10_ENKUlT_T0_E_clISt17integral_constantIbLb1EES1A_EEDaS15_S16_EUlS15_E_NS1_11comp_targetILNS1_3genE8ELNS1_11target_archE1030ELNS1_3gpuE2ELNS1_3repE0EEENS1_30default_config_static_selectorELNS0_4arch9wavefront6targetE1EEEvT1_,"axG",@progbits,_ZN7rocprim17ROCPRIM_400000_NS6detail17trampoline_kernelINS0_14default_configENS1_25partition_config_selectorILNS1_17partition_subalgoE3EtNS0_10empty_typeEbEEZZNS1_14partition_implILS5_3ELb0ES3_jN6thrust23THRUST_200600_302600_NS6detail15normal_iteratorINSA_7pointerItNSA_11hip_rocprim3tagENSA_11use_defaultESG_EEEEPS6_SJ_NS0_5tupleIJPtSJ_EEENSK_IJSJ_SJ_EEES6_PlJ7is_evenItEEEE10hipError_tPvRmT3_T4_T5_T6_T7_T9_mT8_P12ihipStream_tbDpT10_ENKUlT_T0_E_clISt17integral_constantIbLb1EES1A_EEDaS15_S16_EUlS15_E_NS1_11comp_targetILNS1_3genE8ELNS1_11target_archE1030ELNS1_3gpuE2ELNS1_3repE0EEENS1_30default_config_static_selectorELNS0_4arch9wavefront6targetE1EEEvT1_,comdat
.Lfunc_end1171:
	.size	_ZN7rocprim17ROCPRIM_400000_NS6detail17trampoline_kernelINS0_14default_configENS1_25partition_config_selectorILNS1_17partition_subalgoE3EtNS0_10empty_typeEbEEZZNS1_14partition_implILS5_3ELb0ES3_jN6thrust23THRUST_200600_302600_NS6detail15normal_iteratorINSA_7pointerItNSA_11hip_rocprim3tagENSA_11use_defaultESG_EEEEPS6_SJ_NS0_5tupleIJPtSJ_EEENSK_IJSJ_SJ_EEES6_PlJ7is_evenItEEEE10hipError_tPvRmT3_T4_T5_T6_T7_T9_mT8_P12ihipStream_tbDpT10_ENKUlT_T0_E_clISt17integral_constantIbLb1EES1A_EEDaS15_S16_EUlS15_E_NS1_11comp_targetILNS1_3genE8ELNS1_11target_archE1030ELNS1_3gpuE2ELNS1_3repE0EEENS1_30default_config_static_selectorELNS0_4arch9wavefront6targetE1EEEvT1_, .Lfunc_end1171-_ZN7rocprim17ROCPRIM_400000_NS6detail17trampoline_kernelINS0_14default_configENS1_25partition_config_selectorILNS1_17partition_subalgoE3EtNS0_10empty_typeEbEEZZNS1_14partition_implILS5_3ELb0ES3_jN6thrust23THRUST_200600_302600_NS6detail15normal_iteratorINSA_7pointerItNSA_11hip_rocprim3tagENSA_11use_defaultESG_EEEEPS6_SJ_NS0_5tupleIJPtSJ_EEENSK_IJSJ_SJ_EEES6_PlJ7is_evenItEEEE10hipError_tPvRmT3_T4_T5_T6_T7_T9_mT8_P12ihipStream_tbDpT10_ENKUlT_T0_E_clISt17integral_constantIbLb1EES1A_EEDaS15_S16_EUlS15_E_NS1_11comp_targetILNS1_3genE8ELNS1_11target_archE1030ELNS1_3gpuE2ELNS1_3repE0EEENS1_30default_config_static_selectorELNS0_4arch9wavefront6targetE1EEEvT1_
                                        ; -- End function
	.section	.AMDGPU.csdata,"",@progbits
; Kernel info:
; codeLenInByte = 0
; NumSgprs: 6
; NumVgprs: 0
; NumAgprs: 0
; TotalNumVgprs: 0
; ScratchSize: 0
; MemoryBound: 0
; FloatMode: 240
; IeeeMode: 1
; LDSByteSize: 0 bytes/workgroup (compile time only)
; SGPRBlocks: 0
; VGPRBlocks: 0
; NumSGPRsForWavesPerEU: 6
; NumVGPRsForWavesPerEU: 1
; AccumOffset: 4
; Occupancy: 8
; WaveLimiterHint : 0
; COMPUTE_PGM_RSRC2:SCRATCH_EN: 0
; COMPUTE_PGM_RSRC2:USER_SGPR: 2
; COMPUTE_PGM_RSRC2:TRAP_HANDLER: 0
; COMPUTE_PGM_RSRC2:TGID_X_EN: 1
; COMPUTE_PGM_RSRC2:TGID_Y_EN: 0
; COMPUTE_PGM_RSRC2:TGID_Z_EN: 0
; COMPUTE_PGM_RSRC2:TIDIG_COMP_CNT: 0
; COMPUTE_PGM_RSRC3_GFX90A:ACCUM_OFFSET: 0
; COMPUTE_PGM_RSRC3_GFX90A:TG_SPLIT: 0
	.section	.text._ZN7rocprim17ROCPRIM_400000_NS6detail17trampoline_kernelINS0_14default_configENS1_25partition_config_selectorILNS1_17partition_subalgoE3EtNS0_10empty_typeEbEEZZNS1_14partition_implILS5_3ELb0ES3_jN6thrust23THRUST_200600_302600_NS6detail15normal_iteratorINSA_7pointerItNSA_11hip_rocprim3tagENSA_11use_defaultESG_EEEEPS6_SJ_NS0_5tupleIJPtSJ_EEENSK_IJSJ_SJ_EEES6_PlJ7is_evenItEEEE10hipError_tPvRmT3_T4_T5_T6_T7_T9_mT8_P12ihipStream_tbDpT10_ENKUlT_T0_E_clISt17integral_constantIbLb1EES19_IbLb0EEEEDaS15_S16_EUlS15_E_NS1_11comp_targetILNS1_3genE0ELNS1_11target_archE4294967295ELNS1_3gpuE0ELNS1_3repE0EEENS1_30default_config_static_selectorELNS0_4arch9wavefront6targetE1EEEvT1_,"axG",@progbits,_ZN7rocprim17ROCPRIM_400000_NS6detail17trampoline_kernelINS0_14default_configENS1_25partition_config_selectorILNS1_17partition_subalgoE3EtNS0_10empty_typeEbEEZZNS1_14partition_implILS5_3ELb0ES3_jN6thrust23THRUST_200600_302600_NS6detail15normal_iteratorINSA_7pointerItNSA_11hip_rocprim3tagENSA_11use_defaultESG_EEEEPS6_SJ_NS0_5tupleIJPtSJ_EEENSK_IJSJ_SJ_EEES6_PlJ7is_evenItEEEE10hipError_tPvRmT3_T4_T5_T6_T7_T9_mT8_P12ihipStream_tbDpT10_ENKUlT_T0_E_clISt17integral_constantIbLb1EES19_IbLb0EEEEDaS15_S16_EUlS15_E_NS1_11comp_targetILNS1_3genE0ELNS1_11target_archE4294967295ELNS1_3gpuE0ELNS1_3repE0EEENS1_30default_config_static_selectorELNS0_4arch9wavefront6targetE1EEEvT1_,comdat
	.protected	_ZN7rocprim17ROCPRIM_400000_NS6detail17trampoline_kernelINS0_14default_configENS1_25partition_config_selectorILNS1_17partition_subalgoE3EtNS0_10empty_typeEbEEZZNS1_14partition_implILS5_3ELb0ES3_jN6thrust23THRUST_200600_302600_NS6detail15normal_iteratorINSA_7pointerItNSA_11hip_rocprim3tagENSA_11use_defaultESG_EEEEPS6_SJ_NS0_5tupleIJPtSJ_EEENSK_IJSJ_SJ_EEES6_PlJ7is_evenItEEEE10hipError_tPvRmT3_T4_T5_T6_T7_T9_mT8_P12ihipStream_tbDpT10_ENKUlT_T0_E_clISt17integral_constantIbLb1EES19_IbLb0EEEEDaS15_S16_EUlS15_E_NS1_11comp_targetILNS1_3genE0ELNS1_11target_archE4294967295ELNS1_3gpuE0ELNS1_3repE0EEENS1_30default_config_static_selectorELNS0_4arch9wavefront6targetE1EEEvT1_ ; -- Begin function _ZN7rocprim17ROCPRIM_400000_NS6detail17trampoline_kernelINS0_14default_configENS1_25partition_config_selectorILNS1_17partition_subalgoE3EtNS0_10empty_typeEbEEZZNS1_14partition_implILS5_3ELb0ES3_jN6thrust23THRUST_200600_302600_NS6detail15normal_iteratorINSA_7pointerItNSA_11hip_rocprim3tagENSA_11use_defaultESG_EEEEPS6_SJ_NS0_5tupleIJPtSJ_EEENSK_IJSJ_SJ_EEES6_PlJ7is_evenItEEEE10hipError_tPvRmT3_T4_T5_T6_T7_T9_mT8_P12ihipStream_tbDpT10_ENKUlT_T0_E_clISt17integral_constantIbLb1EES19_IbLb0EEEEDaS15_S16_EUlS15_E_NS1_11comp_targetILNS1_3genE0ELNS1_11target_archE4294967295ELNS1_3gpuE0ELNS1_3repE0EEENS1_30default_config_static_selectorELNS0_4arch9wavefront6targetE1EEEvT1_
	.globl	_ZN7rocprim17ROCPRIM_400000_NS6detail17trampoline_kernelINS0_14default_configENS1_25partition_config_selectorILNS1_17partition_subalgoE3EtNS0_10empty_typeEbEEZZNS1_14partition_implILS5_3ELb0ES3_jN6thrust23THRUST_200600_302600_NS6detail15normal_iteratorINSA_7pointerItNSA_11hip_rocprim3tagENSA_11use_defaultESG_EEEEPS6_SJ_NS0_5tupleIJPtSJ_EEENSK_IJSJ_SJ_EEES6_PlJ7is_evenItEEEE10hipError_tPvRmT3_T4_T5_T6_T7_T9_mT8_P12ihipStream_tbDpT10_ENKUlT_T0_E_clISt17integral_constantIbLb1EES19_IbLb0EEEEDaS15_S16_EUlS15_E_NS1_11comp_targetILNS1_3genE0ELNS1_11target_archE4294967295ELNS1_3gpuE0ELNS1_3repE0EEENS1_30default_config_static_selectorELNS0_4arch9wavefront6targetE1EEEvT1_
	.p2align	8
	.type	_ZN7rocprim17ROCPRIM_400000_NS6detail17trampoline_kernelINS0_14default_configENS1_25partition_config_selectorILNS1_17partition_subalgoE3EtNS0_10empty_typeEbEEZZNS1_14partition_implILS5_3ELb0ES3_jN6thrust23THRUST_200600_302600_NS6detail15normal_iteratorINSA_7pointerItNSA_11hip_rocprim3tagENSA_11use_defaultESG_EEEEPS6_SJ_NS0_5tupleIJPtSJ_EEENSK_IJSJ_SJ_EEES6_PlJ7is_evenItEEEE10hipError_tPvRmT3_T4_T5_T6_T7_T9_mT8_P12ihipStream_tbDpT10_ENKUlT_T0_E_clISt17integral_constantIbLb1EES19_IbLb0EEEEDaS15_S16_EUlS15_E_NS1_11comp_targetILNS1_3genE0ELNS1_11target_archE4294967295ELNS1_3gpuE0ELNS1_3repE0EEENS1_30default_config_static_selectorELNS0_4arch9wavefront6targetE1EEEvT1_,@function
_ZN7rocprim17ROCPRIM_400000_NS6detail17trampoline_kernelINS0_14default_configENS1_25partition_config_selectorILNS1_17partition_subalgoE3EtNS0_10empty_typeEbEEZZNS1_14partition_implILS5_3ELb0ES3_jN6thrust23THRUST_200600_302600_NS6detail15normal_iteratorINSA_7pointerItNSA_11hip_rocprim3tagENSA_11use_defaultESG_EEEEPS6_SJ_NS0_5tupleIJPtSJ_EEENSK_IJSJ_SJ_EEES6_PlJ7is_evenItEEEE10hipError_tPvRmT3_T4_T5_T6_T7_T9_mT8_P12ihipStream_tbDpT10_ENKUlT_T0_E_clISt17integral_constantIbLb1EES19_IbLb0EEEEDaS15_S16_EUlS15_E_NS1_11comp_targetILNS1_3genE0ELNS1_11target_archE4294967295ELNS1_3gpuE0ELNS1_3repE0EEENS1_30default_config_static_selectorELNS0_4arch9wavefront6targetE1EEEvT1_: ; @_ZN7rocprim17ROCPRIM_400000_NS6detail17trampoline_kernelINS0_14default_configENS1_25partition_config_selectorILNS1_17partition_subalgoE3EtNS0_10empty_typeEbEEZZNS1_14partition_implILS5_3ELb0ES3_jN6thrust23THRUST_200600_302600_NS6detail15normal_iteratorINSA_7pointerItNSA_11hip_rocprim3tagENSA_11use_defaultESG_EEEEPS6_SJ_NS0_5tupleIJPtSJ_EEENSK_IJSJ_SJ_EEES6_PlJ7is_evenItEEEE10hipError_tPvRmT3_T4_T5_T6_T7_T9_mT8_P12ihipStream_tbDpT10_ENKUlT_T0_E_clISt17integral_constantIbLb1EES19_IbLb0EEEEDaS15_S16_EUlS15_E_NS1_11comp_targetILNS1_3genE0ELNS1_11target_archE4294967295ELNS1_3gpuE0ELNS1_3repE0EEENS1_30default_config_static_selectorELNS0_4arch9wavefront6targetE1EEEvT1_
; %bb.0:
	.section	.rodata,"a",@progbits
	.p2align	6, 0x0
	.amdhsa_kernel _ZN7rocprim17ROCPRIM_400000_NS6detail17trampoline_kernelINS0_14default_configENS1_25partition_config_selectorILNS1_17partition_subalgoE3EtNS0_10empty_typeEbEEZZNS1_14partition_implILS5_3ELb0ES3_jN6thrust23THRUST_200600_302600_NS6detail15normal_iteratorINSA_7pointerItNSA_11hip_rocprim3tagENSA_11use_defaultESG_EEEEPS6_SJ_NS0_5tupleIJPtSJ_EEENSK_IJSJ_SJ_EEES6_PlJ7is_evenItEEEE10hipError_tPvRmT3_T4_T5_T6_T7_T9_mT8_P12ihipStream_tbDpT10_ENKUlT_T0_E_clISt17integral_constantIbLb1EES19_IbLb0EEEEDaS15_S16_EUlS15_E_NS1_11comp_targetILNS1_3genE0ELNS1_11target_archE4294967295ELNS1_3gpuE0ELNS1_3repE0EEENS1_30default_config_static_selectorELNS0_4arch9wavefront6targetE1EEEvT1_
		.amdhsa_group_segment_fixed_size 0
		.amdhsa_private_segment_fixed_size 0
		.amdhsa_kernarg_size 120
		.amdhsa_user_sgpr_count 2
		.amdhsa_user_sgpr_dispatch_ptr 0
		.amdhsa_user_sgpr_queue_ptr 0
		.amdhsa_user_sgpr_kernarg_segment_ptr 1
		.amdhsa_user_sgpr_dispatch_id 0
		.amdhsa_user_sgpr_kernarg_preload_length 0
		.amdhsa_user_sgpr_kernarg_preload_offset 0
		.amdhsa_user_sgpr_private_segment_size 0
		.amdhsa_uses_dynamic_stack 0
		.amdhsa_enable_private_segment 0
		.amdhsa_system_sgpr_workgroup_id_x 1
		.amdhsa_system_sgpr_workgroup_id_y 0
		.amdhsa_system_sgpr_workgroup_id_z 0
		.amdhsa_system_sgpr_workgroup_info 0
		.amdhsa_system_vgpr_workitem_id 0
		.amdhsa_next_free_vgpr 1
		.amdhsa_next_free_sgpr 0
		.amdhsa_accum_offset 4
		.amdhsa_reserve_vcc 0
		.amdhsa_float_round_mode_32 0
		.amdhsa_float_round_mode_16_64 0
		.amdhsa_float_denorm_mode_32 3
		.amdhsa_float_denorm_mode_16_64 3
		.amdhsa_dx10_clamp 1
		.amdhsa_ieee_mode 1
		.amdhsa_fp16_overflow 0
		.amdhsa_tg_split 0
		.amdhsa_exception_fp_ieee_invalid_op 0
		.amdhsa_exception_fp_denorm_src 0
		.amdhsa_exception_fp_ieee_div_zero 0
		.amdhsa_exception_fp_ieee_overflow 0
		.amdhsa_exception_fp_ieee_underflow 0
		.amdhsa_exception_fp_ieee_inexact 0
		.amdhsa_exception_int_div_zero 0
	.end_amdhsa_kernel
	.section	.text._ZN7rocprim17ROCPRIM_400000_NS6detail17trampoline_kernelINS0_14default_configENS1_25partition_config_selectorILNS1_17partition_subalgoE3EtNS0_10empty_typeEbEEZZNS1_14partition_implILS5_3ELb0ES3_jN6thrust23THRUST_200600_302600_NS6detail15normal_iteratorINSA_7pointerItNSA_11hip_rocprim3tagENSA_11use_defaultESG_EEEEPS6_SJ_NS0_5tupleIJPtSJ_EEENSK_IJSJ_SJ_EEES6_PlJ7is_evenItEEEE10hipError_tPvRmT3_T4_T5_T6_T7_T9_mT8_P12ihipStream_tbDpT10_ENKUlT_T0_E_clISt17integral_constantIbLb1EES19_IbLb0EEEEDaS15_S16_EUlS15_E_NS1_11comp_targetILNS1_3genE0ELNS1_11target_archE4294967295ELNS1_3gpuE0ELNS1_3repE0EEENS1_30default_config_static_selectorELNS0_4arch9wavefront6targetE1EEEvT1_,"axG",@progbits,_ZN7rocprim17ROCPRIM_400000_NS6detail17trampoline_kernelINS0_14default_configENS1_25partition_config_selectorILNS1_17partition_subalgoE3EtNS0_10empty_typeEbEEZZNS1_14partition_implILS5_3ELb0ES3_jN6thrust23THRUST_200600_302600_NS6detail15normal_iteratorINSA_7pointerItNSA_11hip_rocprim3tagENSA_11use_defaultESG_EEEEPS6_SJ_NS0_5tupleIJPtSJ_EEENSK_IJSJ_SJ_EEES6_PlJ7is_evenItEEEE10hipError_tPvRmT3_T4_T5_T6_T7_T9_mT8_P12ihipStream_tbDpT10_ENKUlT_T0_E_clISt17integral_constantIbLb1EES19_IbLb0EEEEDaS15_S16_EUlS15_E_NS1_11comp_targetILNS1_3genE0ELNS1_11target_archE4294967295ELNS1_3gpuE0ELNS1_3repE0EEENS1_30default_config_static_selectorELNS0_4arch9wavefront6targetE1EEEvT1_,comdat
.Lfunc_end1172:
	.size	_ZN7rocprim17ROCPRIM_400000_NS6detail17trampoline_kernelINS0_14default_configENS1_25partition_config_selectorILNS1_17partition_subalgoE3EtNS0_10empty_typeEbEEZZNS1_14partition_implILS5_3ELb0ES3_jN6thrust23THRUST_200600_302600_NS6detail15normal_iteratorINSA_7pointerItNSA_11hip_rocprim3tagENSA_11use_defaultESG_EEEEPS6_SJ_NS0_5tupleIJPtSJ_EEENSK_IJSJ_SJ_EEES6_PlJ7is_evenItEEEE10hipError_tPvRmT3_T4_T5_T6_T7_T9_mT8_P12ihipStream_tbDpT10_ENKUlT_T0_E_clISt17integral_constantIbLb1EES19_IbLb0EEEEDaS15_S16_EUlS15_E_NS1_11comp_targetILNS1_3genE0ELNS1_11target_archE4294967295ELNS1_3gpuE0ELNS1_3repE0EEENS1_30default_config_static_selectorELNS0_4arch9wavefront6targetE1EEEvT1_, .Lfunc_end1172-_ZN7rocprim17ROCPRIM_400000_NS6detail17trampoline_kernelINS0_14default_configENS1_25partition_config_selectorILNS1_17partition_subalgoE3EtNS0_10empty_typeEbEEZZNS1_14partition_implILS5_3ELb0ES3_jN6thrust23THRUST_200600_302600_NS6detail15normal_iteratorINSA_7pointerItNSA_11hip_rocprim3tagENSA_11use_defaultESG_EEEEPS6_SJ_NS0_5tupleIJPtSJ_EEENSK_IJSJ_SJ_EEES6_PlJ7is_evenItEEEE10hipError_tPvRmT3_T4_T5_T6_T7_T9_mT8_P12ihipStream_tbDpT10_ENKUlT_T0_E_clISt17integral_constantIbLb1EES19_IbLb0EEEEDaS15_S16_EUlS15_E_NS1_11comp_targetILNS1_3genE0ELNS1_11target_archE4294967295ELNS1_3gpuE0ELNS1_3repE0EEENS1_30default_config_static_selectorELNS0_4arch9wavefront6targetE1EEEvT1_
                                        ; -- End function
	.section	.AMDGPU.csdata,"",@progbits
; Kernel info:
; codeLenInByte = 0
; NumSgprs: 6
; NumVgprs: 0
; NumAgprs: 0
; TotalNumVgprs: 0
; ScratchSize: 0
; MemoryBound: 0
; FloatMode: 240
; IeeeMode: 1
; LDSByteSize: 0 bytes/workgroup (compile time only)
; SGPRBlocks: 0
; VGPRBlocks: 0
; NumSGPRsForWavesPerEU: 6
; NumVGPRsForWavesPerEU: 1
; AccumOffset: 4
; Occupancy: 8
; WaveLimiterHint : 0
; COMPUTE_PGM_RSRC2:SCRATCH_EN: 0
; COMPUTE_PGM_RSRC2:USER_SGPR: 2
; COMPUTE_PGM_RSRC2:TRAP_HANDLER: 0
; COMPUTE_PGM_RSRC2:TGID_X_EN: 1
; COMPUTE_PGM_RSRC2:TGID_Y_EN: 0
; COMPUTE_PGM_RSRC2:TGID_Z_EN: 0
; COMPUTE_PGM_RSRC2:TIDIG_COMP_CNT: 0
; COMPUTE_PGM_RSRC3_GFX90A:ACCUM_OFFSET: 0
; COMPUTE_PGM_RSRC3_GFX90A:TG_SPLIT: 0
	.section	.text._ZN7rocprim17ROCPRIM_400000_NS6detail17trampoline_kernelINS0_14default_configENS1_25partition_config_selectorILNS1_17partition_subalgoE3EtNS0_10empty_typeEbEEZZNS1_14partition_implILS5_3ELb0ES3_jN6thrust23THRUST_200600_302600_NS6detail15normal_iteratorINSA_7pointerItNSA_11hip_rocprim3tagENSA_11use_defaultESG_EEEEPS6_SJ_NS0_5tupleIJPtSJ_EEENSK_IJSJ_SJ_EEES6_PlJ7is_evenItEEEE10hipError_tPvRmT3_T4_T5_T6_T7_T9_mT8_P12ihipStream_tbDpT10_ENKUlT_T0_E_clISt17integral_constantIbLb1EES19_IbLb0EEEEDaS15_S16_EUlS15_E_NS1_11comp_targetILNS1_3genE5ELNS1_11target_archE942ELNS1_3gpuE9ELNS1_3repE0EEENS1_30default_config_static_selectorELNS0_4arch9wavefront6targetE1EEEvT1_,"axG",@progbits,_ZN7rocprim17ROCPRIM_400000_NS6detail17trampoline_kernelINS0_14default_configENS1_25partition_config_selectorILNS1_17partition_subalgoE3EtNS0_10empty_typeEbEEZZNS1_14partition_implILS5_3ELb0ES3_jN6thrust23THRUST_200600_302600_NS6detail15normal_iteratorINSA_7pointerItNSA_11hip_rocprim3tagENSA_11use_defaultESG_EEEEPS6_SJ_NS0_5tupleIJPtSJ_EEENSK_IJSJ_SJ_EEES6_PlJ7is_evenItEEEE10hipError_tPvRmT3_T4_T5_T6_T7_T9_mT8_P12ihipStream_tbDpT10_ENKUlT_T0_E_clISt17integral_constantIbLb1EES19_IbLb0EEEEDaS15_S16_EUlS15_E_NS1_11comp_targetILNS1_3genE5ELNS1_11target_archE942ELNS1_3gpuE9ELNS1_3repE0EEENS1_30default_config_static_selectorELNS0_4arch9wavefront6targetE1EEEvT1_,comdat
	.protected	_ZN7rocprim17ROCPRIM_400000_NS6detail17trampoline_kernelINS0_14default_configENS1_25partition_config_selectorILNS1_17partition_subalgoE3EtNS0_10empty_typeEbEEZZNS1_14partition_implILS5_3ELb0ES3_jN6thrust23THRUST_200600_302600_NS6detail15normal_iteratorINSA_7pointerItNSA_11hip_rocprim3tagENSA_11use_defaultESG_EEEEPS6_SJ_NS0_5tupleIJPtSJ_EEENSK_IJSJ_SJ_EEES6_PlJ7is_evenItEEEE10hipError_tPvRmT3_T4_T5_T6_T7_T9_mT8_P12ihipStream_tbDpT10_ENKUlT_T0_E_clISt17integral_constantIbLb1EES19_IbLb0EEEEDaS15_S16_EUlS15_E_NS1_11comp_targetILNS1_3genE5ELNS1_11target_archE942ELNS1_3gpuE9ELNS1_3repE0EEENS1_30default_config_static_selectorELNS0_4arch9wavefront6targetE1EEEvT1_ ; -- Begin function _ZN7rocprim17ROCPRIM_400000_NS6detail17trampoline_kernelINS0_14default_configENS1_25partition_config_selectorILNS1_17partition_subalgoE3EtNS0_10empty_typeEbEEZZNS1_14partition_implILS5_3ELb0ES3_jN6thrust23THRUST_200600_302600_NS6detail15normal_iteratorINSA_7pointerItNSA_11hip_rocprim3tagENSA_11use_defaultESG_EEEEPS6_SJ_NS0_5tupleIJPtSJ_EEENSK_IJSJ_SJ_EEES6_PlJ7is_evenItEEEE10hipError_tPvRmT3_T4_T5_T6_T7_T9_mT8_P12ihipStream_tbDpT10_ENKUlT_T0_E_clISt17integral_constantIbLb1EES19_IbLb0EEEEDaS15_S16_EUlS15_E_NS1_11comp_targetILNS1_3genE5ELNS1_11target_archE942ELNS1_3gpuE9ELNS1_3repE0EEENS1_30default_config_static_selectorELNS0_4arch9wavefront6targetE1EEEvT1_
	.globl	_ZN7rocprim17ROCPRIM_400000_NS6detail17trampoline_kernelINS0_14default_configENS1_25partition_config_selectorILNS1_17partition_subalgoE3EtNS0_10empty_typeEbEEZZNS1_14partition_implILS5_3ELb0ES3_jN6thrust23THRUST_200600_302600_NS6detail15normal_iteratorINSA_7pointerItNSA_11hip_rocprim3tagENSA_11use_defaultESG_EEEEPS6_SJ_NS0_5tupleIJPtSJ_EEENSK_IJSJ_SJ_EEES6_PlJ7is_evenItEEEE10hipError_tPvRmT3_T4_T5_T6_T7_T9_mT8_P12ihipStream_tbDpT10_ENKUlT_T0_E_clISt17integral_constantIbLb1EES19_IbLb0EEEEDaS15_S16_EUlS15_E_NS1_11comp_targetILNS1_3genE5ELNS1_11target_archE942ELNS1_3gpuE9ELNS1_3repE0EEENS1_30default_config_static_selectorELNS0_4arch9wavefront6targetE1EEEvT1_
	.p2align	8
	.type	_ZN7rocprim17ROCPRIM_400000_NS6detail17trampoline_kernelINS0_14default_configENS1_25partition_config_selectorILNS1_17partition_subalgoE3EtNS0_10empty_typeEbEEZZNS1_14partition_implILS5_3ELb0ES3_jN6thrust23THRUST_200600_302600_NS6detail15normal_iteratorINSA_7pointerItNSA_11hip_rocprim3tagENSA_11use_defaultESG_EEEEPS6_SJ_NS0_5tupleIJPtSJ_EEENSK_IJSJ_SJ_EEES6_PlJ7is_evenItEEEE10hipError_tPvRmT3_T4_T5_T6_T7_T9_mT8_P12ihipStream_tbDpT10_ENKUlT_T0_E_clISt17integral_constantIbLb1EES19_IbLb0EEEEDaS15_S16_EUlS15_E_NS1_11comp_targetILNS1_3genE5ELNS1_11target_archE942ELNS1_3gpuE9ELNS1_3repE0EEENS1_30default_config_static_selectorELNS0_4arch9wavefront6targetE1EEEvT1_,@function
_ZN7rocprim17ROCPRIM_400000_NS6detail17trampoline_kernelINS0_14default_configENS1_25partition_config_selectorILNS1_17partition_subalgoE3EtNS0_10empty_typeEbEEZZNS1_14partition_implILS5_3ELb0ES3_jN6thrust23THRUST_200600_302600_NS6detail15normal_iteratorINSA_7pointerItNSA_11hip_rocprim3tagENSA_11use_defaultESG_EEEEPS6_SJ_NS0_5tupleIJPtSJ_EEENSK_IJSJ_SJ_EEES6_PlJ7is_evenItEEEE10hipError_tPvRmT3_T4_T5_T6_T7_T9_mT8_P12ihipStream_tbDpT10_ENKUlT_T0_E_clISt17integral_constantIbLb1EES19_IbLb0EEEEDaS15_S16_EUlS15_E_NS1_11comp_targetILNS1_3genE5ELNS1_11target_archE942ELNS1_3gpuE9ELNS1_3repE0EEENS1_30default_config_static_selectorELNS0_4arch9wavefront6targetE1EEEvT1_: ; @_ZN7rocprim17ROCPRIM_400000_NS6detail17trampoline_kernelINS0_14default_configENS1_25partition_config_selectorILNS1_17partition_subalgoE3EtNS0_10empty_typeEbEEZZNS1_14partition_implILS5_3ELb0ES3_jN6thrust23THRUST_200600_302600_NS6detail15normal_iteratorINSA_7pointerItNSA_11hip_rocprim3tagENSA_11use_defaultESG_EEEEPS6_SJ_NS0_5tupleIJPtSJ_EEENSK_IJSJ_SJ_EEES6_PlJ7is_evenItEEEE10hipError_tPvRmT3_T4_T5_T6_T7_T9_mT8_P12ihipStream_tbDpT10_ENKUlT_T0_E_clISt17integral_constantIbLb1EES19_IbLb0EEEEDaS15_S16_EUlS15_E_NS1_11comp_targetILNS1_3genE5ELNS1_11target_archE942ELNS1_3gpuE9ELNS1_3repE0EEENS1_30default_config_static_selectorELNS0_4arch9wavefront6targetE1EEEvT1_
; %bb.0:
	s_load_dwordx4 s[20:23], s[0:1], 0x8
	s_load_dwordx4 s[24:27], s[0:1], 0x48
	s_load_dwordx2 s[28:29], s[0:1], 0x58
	s_load_dword s3, s[0:1], 0x70
	s_mul_i32 s30, s2, 0x3c00
	s_waitcnt lgkmcnt(0)
	s_lshl_b64 s[4:5], s[22:23], 1
	s_add_u32 s8, s20, s4
	s_addc_u32 s9, s21, s5
	s_add_i32 s6, s3, -1
	s_mulk_i32 s3, 0x3c00
	s_add_i32 s4, s3, s22
	s_sub_i32 s33, s28, s4
	s_addk_i32 s33, 0x3c00
	s_add_u32 s4, s22, s3
	s_addc_u32 s5, s23, 0
	s_cmp_eq_u32 s2, s6
	s_load_dwordx2 s[34:35], s[26:27], 0x0
	v_mov_b64_e32 v[2:3], s[28:29]
	s_cselect_b64 s[26:27], -1, 0
	s_cmp_lg_u32 s2, s6
	s_mov_b32 s31, 0
	v_cmp_lt_u64_e32 vcc, s[4:5], v[2:3]
	s_cselect_b64 s[4:5], -1, 0
	s_or_b64 s[6:7], s[4:5], vcc
	s_lshl_b64 s[4:5], s[30:31], 1
	s_add_u32 s8, s8, s4
	s_addc_u32 s9, s9, s5
	s_mov_b64 s[4:5], -1
	s_and_b64 vcc, exec, s[6:7]
	v_lshlrev_b32_e32 v4, 1, v0
	s_cbranch_vccz .LBB1173_2
; %bb.1:
	v_mov_b32_e32 v5, 0
	v_lshl_add_u64 v[2:3], s[8:9], 0, v[4:5]
	v_add_co_u32_e32 v6, vcc, 0x1000, v2
	s_mov_b64 s[4:5], 0
	s_nop 0
	v_addc_co_u32_e32 v7, vcc, 0, v3, vcc
	flat_load_ushort v1, v[2:3]
	flat_load_ushort v5, v[2:3] offset:1024
	flat_load_ushort v10, v[2:3] offset:2048
	flat_load_ushort v11, v[2:3] offset:3072
	flat_load_ushort v12, v[6:7]
	flat_load_ushort v13, v[6:7] offset:1024
	flat_load_ushort v14, v[6:7] offset:2048
	flat_load_ushort v15, v[6:7] offset:3072
	v_add_co_u32_e32 v6, vcc, 0x2000, v2
	s_nop 1
	v_addc_co_u32_e32 v7, vcc, 0, v3, vcc
	v_add_co_u32_e32 v8, vcc, 0x3000, v2
	s_nop 1
	v_addc_co_u32_e32 v9, vcc, 0, v3, vcc
	flat_load_ushort v16, v[6:7]
	flat_load_ushort v17, v[6:7] offset:1024
	flat_load_ushort v18, v[6:7] offset:2048
	flat_load_ushort v19, v[6:7] offset:3072
	flat_load_ushort v20, v[8:9]
	flat_load_ushort v21, v[8:9] offset:1024
	flat_load_ushort v22, v[8:9] offset:2048
	flat_load_ushort v23, v[8:9] offset:3072
	v_add_co_u32_e32 v6, vcc, 0x4000, v2
	s_nop 1
	v_addc_co_u32_e32 v7, vcc, 0, v3, vcc
	v_add_co_u32_e32 v8, vcc, 0x5000, v2
	;; [unrolled: 14-line block ×3, first 2 shown]
	s_nop 1
	v_addc_co_u32_e32 v3, vcc, 0, v3, vcc
	flat_load_ushort v8, v[6:7]
	flat_load_ushort v9, v[6:7] offset:1024
	flat_load_ushort v32, v[6:7] offset:2048
	;; [unrolled: 1-line block ×3, first 2 shown]
	flat_load_ushort v34, v[2:3]
	flat_load_ushort v35, v[2:3] offset:1024
	s_waitcnt vmcnt(0) lgkmcnt(0)
	ds_write_b16 v4, v1
	ds_write_b16 v4, v5 offset:1024
	ds_write_b16 v4, v10 offset:2048
	;; [unrolled: 1-line block ×29, first 2 shown]
	s_waitcnt lgkmcnt(0)
	s_barrier
.LBB1173_2:
	s_andn2_b64 vcc, exec, s[4:5]
	v_cmp_gt_u32_e64 s[4:5], s33, v0
	s_cbranch_vccnz .LBB1173_64
; %bb.3:
                                        ; implicit-def: $vgpr1
	s_and_saveexec_b64 s[10:11], s[4:5]
	s_cbranch_execz .LBB1173_5
; %bb.4:
	v_mov_b32_e32 v5, 0
	v_lshl_add_u64 v[2:3], s[8:9], 0, v[4:5]
	flat_load_ushort v1, v[2:3]
.LBB1173_5:
	s_or_b64 exec, exec, s[10:11]
	v_or_b32_e32 v2, 0x200, v0
	v_cmp_gt_u32_e32 vcc, s33, v2
                                        ; implicit-def: $vgpr2
	s_and_saveexec_b64 s[4:5], vcc
	s_cbranch_execz .LBB1173_7
; %bb.6:
	v_mov_b32_e32 v5, 0
	v_lshl_add_u64 v[2:3], s[8:9], 0, v[4:5]
	flat_load_ushort v2, v[2:3] offset:1024
.LBB1173_7:
	s_or_b64 exec, exec, s[4:5]
	v_or_b32_e32 v3, 0x400, v0
	v_cmp_gt_u32_e32 vcc, s33, v3
                                        ; implicit-def: $vgpr3
	s_and_saveexec_b64 s[4:5], vcc
	s_cbranch_execz .LBB1173_9
; %bb.8:
	v_mov_b32_e32 v5, 0
	v_lshl_add_u64 v[6:7], s[8:9], 0, v[4:5]
	flat_load_ushort v3, v[6:7] offset:2048
.LBB1173_9:
	s_or_b64 exec, exec, s[4:5]
	v_or_b32_e32 v5, 0x600, v0
	v_cmp_gt_u32_e32 vcc, s33, v5
                                        ; implicit-def: $vgpr5
	s_and_saveexec_b64 s[4:5], vcc
	s_cbranch_execz .LBB1173_11
; %bb.10:
	v_mov_b32_e32 v5, 0
	v_lshl_add_u64 v[6:7], s[8:9], 0, v[4:5]
	flat_load_ushort v5, v[6:7] offset:3072
.LBB1173_11:
	s_or_b64 exec, exec, s[4:5]
	v_or_b32_e32 v7, 0x800, v0
	v_cmp_gt_u32_e32 vcc, s33, v7
                                        ; implicit-def: $vgpr6
	s_and_saveexec_b64 s[4:5], vcc
	s_cbranch_execz .LBB1173_13
; %bb.12:
	v_lshlrev_b32_e32 v6, 1, v7
	v_mov_b32_e32 v7, 0
	v_lshl_add_u64 v[6:7], s[8:9], 0, v[6:7]
	flat_load_ushort v6, v[6:7]
.LBB1173_13:
	s_or_b64 exec, exec, s[4:5]
	v_or_b32_e32 v8, 0xa00, v0
	v_cmp_gt_u32_e32 vcc, s33, v8
                                        ; implicit-def: $vgpr7
	s_and_saveexec_b64 s[4:5], vcc
	s_cbranch_execz .LBB1173_15
; %bb.14:
	v_lshlrev_b32_e32 v8, 1, v8
	v_mov_b32_e32 v9, 0
	v_lshl_add_u64 v[8:9], s[8:9], 0, v[8:9]
	flat_load_ushort v7, v[8:9]
.LBB1173_15:
	s_or_b64 exec, exec, s[4:5]
	v_or_b32_e32 v9, 0xc00, v0
	v_cmp_gt_u32_e32 vcc, s33, v9
                                        ; implicit-def: $vgpr8
	s_and_saveexec_b64 s[4:5], vcc
	s_cbranch_execz .LBB1173_17
; %bb.16:
	v_lshlrev_b32_e32 v8, 1, v9
	v_mov_b32_e32 v9, 0
	v_lshl_add_u64 v[8:9], s[8:9], 0, v[8:9]
	flat_load_ushort v8, v[8:9]
.LBB1173_17:
	s_or_b64 exec, exec, s[4:5]
	v_or_b32_e32 v10, 0xe00, v0
	v_cmp_gt_u32_e32 vcc, s33, v10
                                        ; implicit-def: $vgpr9
	s_and_saveexec_b64 s[4:5], vcc
	s_cbranch_execz .LBB1173_19
; %bb.18:
	v_lshlrev_b32_e32 v10, 1, v10
	v_mov_b32_e32 v11, 0
	v_lshl_add_u64 v[10:11], s[8:9], 0, v[10:11]
	flat_load_ushort v9, v[10:11]
.LBB1173_19:
	s_or_b64 exec, exec, s[4:5]
	v_or_b32_e32 v11, 0x1000, v0
	v_cmp_gt_u32_e32 vcc, s33, v11
                                        ; implicit-def: $vgpr10
	s_and_saveexec_b64 s[4:5], vcc
	s_cbranch_execz .LBB1173_21
; %bb.20:
	v_lshlrev_b32_e32 v10, 1, v11
	v_mov_b32_e32 v11, 0
	v_lshl_add_u64 v[10:11], s[8:9], 0, v[10:11]
	flat_load_ushort v10, v[10:11]
.LBB1173_21:
	s_or_b64 exec, exec, s[4:5]
	v_or_b32_e32 v12, 0x1200, v0
	v_cmp_gt_u32_e32 vcc, s33, v12
                                        ; implicit-def: $vgpr11
	s_and_saveexec_b64 s[4:5], vcc
	s_cbranch_execz .LBB1173_23
; %bb.22:
	v_lshlrev_b32_e32 v12, 1, v12
	v_mov_b32_e32 v13, 0
	v_lshl_add_u64 v[12:13], s[8:9], 0, v[12:13]
	flat_load_ushort v11, v[12:13]
.LBB1173_23:
	s_or_b64 exec, exec, s[4:5]
	v_or_b32_e32 v13, 0x1400, v0
	v_cmp_gt_u32_e32 vcc, s33, v13
                                        ; implicit-def: $vgpr12
	s_and_saveexec_b64 s[4:5], vcc
	s_cbranch_execz .LBB1173_25
; %bb.24:
	v_lshlrev_b32_e32 v12, 1, v13
	v_mov_b32_e32 v13, 0
	v_lshl_add_u64 v[12:13], s[8:9], 0, v[12:13]
	flat_load_ushort v12, v[12:13]
.LBB1173_25:
	s_or_b64 exec, exec, s[4:5]
	v_or_b32_e32 v14, 0x1600, v0
	v_cmp_gt_u32_e32 vcc, s33, v14
                                        ; implicit-def: $vgpr13
	s_and_saveexec_b64 s[4:5], vcc
	s_cbranch_execz .LBB1173_27
; %bb.26:
	v_lshlrev_b32_e32 v14, 1, v14
	v_mov_b32_e32 v15, 0
	v_lshl_add_u64 v[14:15], s[8:9], 0, v[14:15]
	flat_load_ushort v13, v[14:15]
.LBB1173_27:
	s_or_b64 exec, exec, s[4:5]
	v_or_b32_e32 v15, 0x1800, v0
	v_cmp_gt_u32_e32 vcc, s33, v15
                                        ; implicit-def: $vgpr14
	s_and_saveexec_b64 s[4:5], vcc
	s_cbranch_execz .LBB1173_29
; %bb.28:
	v_lshlrev_b32_e32 v14, 1, v15
	v_mov_b32_e32 v15, 0
	v_lshl_add_u64 v[14:15], s[8:9], 0, v[14:15]
	flat_load_ushort v14, v[14:15]
.LBB1173_29:
	s_or_b64 exec, exec, s[4:5]
	v_or_b32_e32 v16, 0x1a00, v0
	v_cmp_gt_u32_e32 vcc, s33, v16
                                        ; implicit-def: $vgpr15
	s_and_saveexec_b64 s[4:5], vcc
	s_cbranch_execz .LBB1173_31
; %bb.30:
	v_lshlrev_b32_e32 v16, 1, v16
	v_mov_b32_e32 v17, 0
	v_lshl_add_u64 v[16:17], s[8:9], 0, v[16:17]
	flat_load_ushort v15, v[16:17]
.LBB1173_31:
	s_or_b64 exec, exec, s[4:5]
	v_or_b32_e32 v17, 0x1c00, v0
	v_cmp_gt_u32_e32 vcc, s33, v17
                                        ; implicit-def: $vgpr16
	s_and_saveexec_b64 s[4:5], vcc
	s_cbranch_execz .LBB1173_33
; %bb.32:
	v_lshlrev_b32_e32 v16, 1, v17
	v_mov_b32_e32 v17, 0
	v_lshl_add_u64 v[16:17], s[8:9], 0, v[16:17]
	flat_load_ushort v16, v[16:17]
.LBB1173_33:
	s_or_b64 exec, exec, s[4:5]
	v_or_b32_e32 v18, 0x1e00, v0
	v_cmp_gt_u32_e32 vcc, s33, v18
                                        ; implicit-def: $vgpr17
	s_and_saveexec_b64 s[4:5], vcc
	s_cbranch_execz .LBB1173_35
; %bb.34:
	v_lshlrev_b32_e32 v18, 1, v18
	v_mov_b32_e32 v19, 0
	v_lshl_add_u64 v[18:19], s[8:9], 0, v[18:19]
	flat_load_ushort v17, v[18:19]
.LBB1173_35:
	s_or_b64 exec, exec, s[4:5]
	v_or_b32_e32 v19, 0x2000, v0
	v_cmp_gt_u32_e32 vcc, s33, v19
                                        ; implicit-def: $vgpr18
	s_and_saveexec_b64 s[4:5], vcc
	s_cbranch_execz .LBB1173_37
; %bb.36:
	v_lshlrev_b32_e32 v18, 1, v19
	v_mov_b32_e32 v19, 0
	v_lshl_add_u64 v[18:19], s[8:9], 0, v[18:19]
	flat_load_ushort v18, v[18:19]
.LBB1173_37:
	s_or_b64 exec, exec, s[4:5]
	v_or_b32_e32 v20, 0x2200, v0
	v_cmp_gt_u32_e32 vcc, s33, v20
                                        ; implicit-def: $vgpr19
	s_and_saveexec_b64 s[4:5], vcc
	s_cbranch_execz .LBB1173_39
; %bb.38:
	v_lshlrev_b32_e32 v20, 1, v20
	v_mov_b32_e32 v21, 0
	v_lshl_add_u64 v[20:21], s[8:9], 0, v[20:21]
	flat_load_ushort v19, v[20:21]
.LBB1173_39:
	s_or_b64 exec, exec, s[4:5]
	v_or_b32_e32 v21, 0x2400, v0
	v_cmp_gt_u32_e32 vcc, s33, v21
                                        ; implicit-def: $vgpr20
	s_and_saveexec_b64 s[4:5], vcc
	s_cbranch_execz .LBB1173_41
; %bb.40:
	v_lshlrev_b32_e32 v20, 1, v21
	v_mov_b32_e32 v21, 0
	v_lshl_add_u64 v[20:21], s[8:9], 0, v[20:21]
	flat_load_ushort v20, v[20:21]
.LBB1173_41:
	s_or_b64 exec, exec, s[4:5]
	v_or_b32_e32 v22, 0x2600, v0
	v_cmp_gt_u32_e32 vcc, s33, v22
                                        ; implicit-def: $vgpr21
	s_and_saveexec_b64 s[4:5], vcc
	s_cbranch_execz .LBB1173_43
; %bb.42:
	v_lshlrev_b32_e32 v22, 1, v22
	v_mov_b32_e32 v23, 0
	v_lshl_add_u64 v[22:23], s[8:9], 0, v[22:23]
	flat_load_ushort v21, v[22:23]
.LBB1173_43:
	s_or_b64 exec, exec, s[4:5]
	v_or_b32_e32 v23, 0x2800, v0
	v_cmp_gt_u32_e32 vcc, s33, v23
                                        ; implicit-def: $vgpr22
	s_and_saveexec_b64 s[4:5], vcc
	s_cbranch_execz .LBB1173_45
; %bb.44:
	v_lshlrev_b32_e32 v22, 1, v23
	v_mov_b32_e32 v23, 0
	v_lshl_add_u64 v[22:23], s[8:9], 0, v[22:23]
	flat_load_ushort v22, v[22:23]
.LBB1173_45:
	s_or_b64 exec, exec, s[4:5]
	v_or_b32_e32 v24, 0x2a00, v0
	v_cmp_gt_u32_e32 vcc, s33, v24
                                        ; implicit-def: $vgpr23
	s_and_saveexec_b64 s[4:5], vcc
	s_cbranch_execz .LBB1173_47
; %bb.46:
	v_lshlrev_b32_e32 v24, 1, v24
	v_mov_b32_e32 v25, 0
	v_lshl_add_u64 v[24:25], s[8:9], 0, v[24:25]
	flat_load_ushort v23, v[24:25]
.LBB1173_47:
	s_or_b64 exec, exec, s[4:5]
	v_or_b32_e32 v25, 0x2c00, v0
	v_cmp_gt_u32_e32 vcc, s33, v25
                                        ; implicit-def: $vgpr24
	s_and_saveexec_b64 s[4:5], vcc
	s_cbranch_execz .LBB1173_49
; %bb.48:
	v_lshlrev_b32_e32 v24, 1, v25
	v_mov_b32_e32 v25, 0
	v_lshl_add_u64 v[24:25], s[8:9], 0, v[24:25]
	flat_load_ushort v24, v[24:25]
.LBB1173_49:
	s_or_b64 exec, exec, s[4:5]
	v_or_b32_e32 v26, 0x2e00, v0
	v_cmp_gt_u32_e32 vcc, s33, v26
                                        ; implicit-def: $vgpr25
	s_and_saveexec_b64 s[4:5], vcc
	s_cbranch_execz .LBB1173_51
; %bb.50:
	v_lshlrev_b32_e32 v26, 1, v26
	v_mov_b32_e32 v27, 0
	v_lshl_add_u64 v[26:27], s[8:9], 0, v[26:27]
	flat_load_ushort v25, v[26:27]
.LBB1173_51:
	s_or_b64 exec, exec, s[4:5]
	v_or_b32_e32 v27, 0x3000, v0
	v_cmp_gt_u32_e32 vcc, s33, v27
                                        ; implicit-def: $vgpr26
	s_and_saveexec_b64 s[4:5], vcc
	s_cbranch_execz .LBB1173_53
; %bb.52:
	v_lshlrev_b32_e32 v26, 1, v27
	v_mov_b32_e32 v27, 0
	v_lshl_add_u64 v[26:27], s[8:9], 0, v[26:27]
	flat_load_ushort v26, v[26:27]
.LBB1173_53:
	s_or_b64 exec, exec, s[4:5]
	v_or_b32_e32 v28, 0x3200, v0
	v_cmp_gt_u32_e32 vcc, s33, v28
                                        ; implicit-def: $vgpr27
	s_and_saveexec_b64 s[4:5], vcc
	s_cbranch_execz .LBB1173_55
; %bb.54:
	v_lshlrev_b32_e32 v28, 1, v28
	v_mov_b32_e32 v29, 0
	v_lshl_add_u64 v[28:29], s[8:9], 0, v[28:29]
	flat_load_ushort v27, v[28:29]
.LBB1173_55:
	s_or_b64 exec, exec, s[4:5]
	v_or_b32_e32 v29, 0x3400, v0
	v_cmp_gt_u32_e32 vcc, s33, v29
                                        ; implicit-def: $vgpr28
	s_and_saveexec_b64 s[4:5], vcc
	s_cbranch_execz .LBB1173_57
; %bb.56:
	v_lshlrev_b32_e32 v28, 1, v29
	v_mov_b32_e32 v29, 0
	v_lshl_add_u64 v[28:29], s[8:9], 0, v[28:29]
	flat_load_ushort v28, v[28:29]
.LBB1173_57:
	s_or_b64 exec, exec, s[4:5]
	v_or_b32_e32 v30, 0x3600, v0
	v_cmp_gt_u32_e32 vcc, s33, v30
                                        ; implicit-def: $vgpr29
	s_and_saveexec_b64 s[4:5], vcc
	s_cbranch_execz .LBB1173_59
; %bb.58:
	v_lshlrev_b32_e32 v30, 1, v30
	v_mov_b32_e32 v31, 0
	v_lshl_add_u64 v[30:31], s[8:9], 0, v[30:31]
	flat_load_ushort v29, v[30:31]
.LBB1173_59:
	s_or_b64 exec, exec, s[4:5]
	v_or_b32_e32 v31, 0x3800, v0
	v_cmp_gt_u32_e32 vcc, s33, v31
                                        ; implicit-def: $vgpr30
	s_and_saveexec_b64 s[4:5], vcc
	s_cbranch_execz .LBB1173_61
; %bb.60:
	v_lshlrev_b32_e32 v30, 1, v31
	v_mov_b32_e32 v31, 0
	v_lshl_add_u64 v[30:31], s[8:9], 0, v[30:31]
	flat_load_ushort v30, v[30:31]
.LBB1173_61:
	s_or_b64 exec, exec, s[4:5]
	v_or_b32_e32 v32, 0x3a00, v0
	v_cmp_gt_u32_e32 vcc, s33, v32
                                        ; implicit-def: $vgpr31
	s_and_saveexec_b64 s[4:5], vcc
	s_cbranch_execz .LBB1173_63
; %bb.62:
	v_lshlrev_b32_e32 v32, 1, v32
	v_mov_b32_e32 v33, 0
	v_lshl_add_u64 v[32:33], s[8:9], 0, v[32:33]
	flat_load_ushort v31, v[32:33]
.LBB1173_63:
	s_or_b64 exec, exec, s[4:5]
	s_waitcnt vmcnt(0) lgkmcnt(0)
	ds_write_b16 v4, v1
	ds_write_b16 v4, v2 offset:1024
	ds_write_b16 v4, v3 offset:2048
	;; [unrolled: 1-line block ×29, first 2 shown]
	s_waitcnt lgkmcnt(0)
	s_barrier
.LBB1173_64:
	v_mul_u32_u24_e32 v40, 30, v0
	v_lshlrev_b32_e32 v2, 1, v40
	s_waitcnt lgkmcnt(0)
	ds_read_b32 v5, v2 offset:56
	ds_read2_b32 v[6:7], v2 offset0:12 offset1:13
	ds_read2_b32 v[8:9], v2 offset0:10 offset1:11
	;; [unrolled: 1-line block ×3, first 2 shown]
	ds_read2_b32 v[18:19], v2 offset1:1
	ds_read2_b32 v[16:17], v2 offset0:2 offset1:3
	ds_read2_b32 v[14:15], v2 offset0:4 offset1:5
	;; [unrolled: 1-line block ×3, first 2 shown]
	s_waitcnt lgkmcnt(7)
	v_lshrrev_b32_e32 v1, 16, v5
	s_waitcnt lgkmcnt(6)
	v_lshrrev_b32_e32 v29, 16, v6
	v_lshrrev_b32_e32 v28, 16, v7
	s_waitcnt lgkmcnt(5)
	v_lshrrev_b32_e32 v31, 16, v8
	;; [unrolled: 3-line block ×6, first 2 shown]
	v_lshrrev_b32_e32 v34, 16, v13
	v_lshrrev_b32_e32 v33, 16, v10
	v_lshrrev_b32_e32 v32, 16, v11
	v_cndmask_b32_e64 v2, 0, 1, s[6:7]
	v_cmp_ne_u32_e64 s[20:21], 1, v2
	s_andn2_b64 vcc, exec, s[6:7]
	v_xor_b32_e32 v92, -1, v18
	v_xor_b32_e32 v91, -1, v42
	;; [unrolled: 1-line block ×30, first 2 shown]
	s_barrier
	s_cbranch_vccnz .LBB1173_66
; %bb.65:
	v_and_b32_e32 v73, 1, v92
	v_and_b32_e32 v72, 1, v91
	;; [unrolled: 1-line block ×30, first 2 shown]
	s_load_dwordx2 s[36:37], s[0:1], 0x68
	s_cbranch_execz .LBB1173_67
	s_branch .LBB1173_68
.LBB1173_66:
                                        ; implicit-def: $vgpr73
                                        ; implicit-def: $vgpr72
                                        ; implicit-def: $vgpr71
                                        ; implicit-def: $vgpr70
                                        ; implicit-def: $vgpr69
                                        ; implicit-def: $vgpr68
                                        ; implicit-def: $vgpr67
                                        ; implicit-def: $vgpr65
                                        ; implicit-def: $vgpr64
                                        ; implicit-def: $vgpr63
                                        ; implicit-def: $vgpr62
                                        ; implicit-def: $vgpr61
                                        ; implicit-def: $vgpr60
                                        ; implicit-def: $vgpr59
                                        ; implicit-def: $vgpr58
                                        ; implicit-def: $vgpr57
                                        ; implicit-def: $vgpr56
                                        ; implicit-def: $vgpr55
                                        ; implicit-def: $vgpr54
                                        ; implicit-def: $vgpr53
                                        ; implicit-def: $vgpr52
                                        ; implicit-def: $vgpr51
                                        ; implicit-def: $vgpr50
                                        ; implicit-def: $vgpr49
                                        ; implicit-def: $vgpr48
                                        ; implicit-def: $vgpr47
                                        ; implicit-def: $vgpr46
                                        ; implicit-def: $vgpr45
                                        ; implicit-def: $vgpr43
                                        ; implicit-def: $vgpr44
	s_load_dwordx2 s[36:37], s[0:1], 0x68
.LBB1173_67:
	v_or_b32_e32 v52, 1, v40
	v_cmp_gt_u32_e32 vcc, s33, v40
	v_add_u32_e32 v53, 2, v40
	v_add_u32_e32 v54, 3, v40
	v_cndmask_b32_e64 v62, 0, 1, vcc
	v_cmp_gt_u32_e32 vcc, s33, v52
	v_add_u32_e32 v55, 4, v40
	v_add_u32_e32 v56, 5, v40
	v_cndmask_b32_e64 v52, 0, 1, vcc
	v_cmp_gt_u32_e32 vcc, s33, v53
	v_and_b32_e32 v72, v52, v91
	v_add_u32_e32 v57, 6, v40
	v_cndmask_b32_e64 v52, 0, 1, vcc
	v_cmp_gt_u32_e32 vcc, s33, v54
	v_and_b32_e32 v71, v52, v90
	;; [unrolled: 4-line block ×9, first 2 shown]
	v_and_b32_e32 v73, v62, v92
	v_cndmask_b32_e64 v52, 0, 1, vcc
	v_cmp_gt_u32_e32 vcc, s33, v93
	v_and_b32_e32 v62, v52, v82
	v_add_u32_e32 v96, 14, v40
	v_cndmask_b32_e64 v52, 0, 1, vcc
	v_cmp_gt_u32_e32 vcc, s33, v94
	v_and_b32_e32 v61, v52, v81
	v_add_u32_e32 v97, 15, v40
	;; [unrolled: 4-line block ×16, first 2 shown]
	v_cndmask_b32_e64 v22, 0, 1, vcc
	v_cmp_gt_u32_e32 vcc, s33, v45
	v_and_b32_e32 v46, v22, v21
	s_nop 0
	v_cndmask_b32_e64 v21, 0, 1, vcc
	v_cmp_gt_u32_e32 vcc, s33, v43
	v_and_b32_e32 v45, v21, v20
	s_nop 0
	;; [unrolled: 4-line block ×3, first 2 shown]
	v_cndmask_b32_e64 v3, 0, 1, vcc
	v_and_b32_e32 v44, v3, v2
.LBB1173_68:
	v_and_b32_e32 v100, 0xff, v46
	v_and_b32_e32 v101, 0xff, v45
	v_add_u32_sdwa v2, v43, v44 dst_sel:DWORD dst_unused:UNUSED_PAD src0_sel:BYTE_0 src1_sel:BYTE_0
	v_and_b32_e32 v98, 0xff, v48
	v_and_b32_e32 v99, 0xff, v47
	v_add3_u32 v2, v2, v101, v100
	v_and_b32_e32 v96, 0xff, v50
	v_and_b32_e32 v97, 0xff, v49
	v_add3_u32 v2, v2, v99, v98
	;; [unrolled: 3-line block ×13, first 2 shown]
	v_add3_u32 v104, v2, v75, v74
	v_mbcnt_lo_u32_b32 v2, -1, 0
	v_mbcnt_hi_u32_b32 v102, -1, v2
	v_and_b32_e32 v2, 15, v102
	v_cmp_eq_u32_e64 s[16:17], 0, v2
	v_cmp_lt_u32_e64 s[14:15], 1, v2
	v_cmp_lt_u32_e64 s[12:13], 3, v2
	v_cmp_lt_u32_e64 s[10:11], 7, v2
	v_and_b32_e32 v2, 16, v102
	v_cmp_eq_u32_e64 s[8:9], 0, v2
	v_or_b32_e32 v2, 63, v0
	s_cmp_lg_u32 s2, 0
	v_cmp_lt_u32_e64 s[4:5], 31, v102
	v_lshrrev_b32_e32 v103, 6, v0
	v_cmp_eq_u32_e64 s[6:7], v2, v0
	s_cbranch_scc0 .LBB1173_99
; %bb.69:
	v_mov_b32_dpp v2, v104 row_shr:1 row_mask:0xf bank_mask:0xf
	v_cndmask_b32_e64 v2, v2, 0, s[16:17]
	v_add_u32_e32 v2, v2, v104
	s_nop 1
	v_mov_b32_dpp v3, v2 row_shr:2 row_mask:0xf bank_mask:0xf
	v_cndmask_b32_e64 v3, 0, v3, s[14:15]
	v_add_u32_e32 v2, v2, v3
	s_nop 1
	v_mov_b32_dpp v3, v2 row_shr:4 row_mask:0xf bank_mask:0xf
	v_cndmask_b32_e64 v3, 0, v3, s[12:13]
	v_add_u32_e32 v2, v2, v3
	s_nop 1
	v_mov_b32_dpp v3, v2 row_shr:8 row_mask:0xf bank_mask:0xf
	v_cndmask_b32_e64 v3, 0, v3, s[10:11]
	v_add_u32_e32 v2, v2, v3
	s_nop 1
	v_mov_b32_dpp v3, v2 row_bcast:15 row_mask:0xf bank_mask:0xf
	v_cndmask_b32_e64 v3, v3, 0, s[8:9]
	v_add_u32_e32 v2, v2, v3
	s_nop 1
	v_mov_b32_dpp v3, v2 row_bcast:31 row_mask:0xf bank_mask:0xf
	v_cndmask_b32_e64 v3, 0, v3, s[4:5]
	v_add_u32_e32 v2, v2, v3
	s_and_saveexec_b64 s[18:19], s[6:7]
	s_cbranch_execz .LBB1173_71
; %bb.70:
	v_lshlrev_b32_e32 v3, 2, v103
	ds_write_b32 v3, v2
.LBB1173_71:
	s_or_b64 exec, exec, s[18:19]
	v_cmp_gt_u32_e32 vcc, 8, v0
	s_waitcnt lgkmcnt(0)
	s_barrier
	s_and_saveexec_b64 s[18:19], vcc
	s_cbranch_execz .LBB1173_73
; %bb.72:
	v_lshlrev_b32_e32 v3, 2, v0
	ds_read_b32 v20, v3
	v_and_b32_e32 v21, 7, v102
	v_cmp_ne_u32_e32 vcc, 0, v21
	s_waitcnt lgkmcnt(0)
	v_mov_b32_dpp v22, v20 row_shr:1 row_mask:0xf bank_mask:0xf
	v_cndmask_b32_e32 v22, 0, v22, vcc
	v_add_u32_e32 v20, v22, v20
	v_cmp_lt_u32_e32 vcc, 1, v21
	s_nop 0
	v_mov_b32_dpp v22, v20 row_shr:2 row_mask:0xf bank_mask:0xf
	v_cndmask_b32_e32 v22, 0, v22, vcc
	v_add_u32_e32 v20, v20, v22
	v_cmp_lt_u32_e32 vcc, 3, v21
	s_nop 0
	v_mov_b32_dpp v22, v20 row_shr:4 row_mask:0xf bank_mask:0xf
	v_cndmask_b32_e32 v21, 0, v22, vcc
	v_add_u32_e32 v20, v20, v21
	ds_write_b32 v3, v20
.LBB1173_73:
	s_or_b64 exec, exec, s[18:19]
	v_cmp_gt_u32_e32 vcc, 64, v0
	v_cmp_lt_u32_e64 s[18:19], 63, v0
	s_waitcnt lgkmcnt(0)
	s_barrier
	s_waitcnt lgkmcnt(0)
                                        ; implicit-def: $vgpr66
	s_and_saveexec_b64 s[38:39], s[18:19]
	s_cbranch_execz .LBB1173_75
; %bb.74:
	v_lshl_add_u32 v3, v103, 2, -4
	ds_read_b32 v66, v3
	s_waitcnt lgkmcnt(0)
	v_add_u32_e32 v2, v66, v2
.LBB1173_75:
	s_or_b64 exec, exec, s[38:39]
	v_add_u32_e32 v3, -1, v102
	v_and_b32_e32 v20, 64, v102
	v_cmp_lt_i32_e64 s[18:19], v3, v20
	s_nop 1
	v_cndmask_b32_e64 v3, v3, v102, s[18:19]
	v_lshlrev_b32_e32 v3, 2, v3
	ds_bpermute_b32 v105, v3, v2
	v_cmp_eq_u32_e64 s[18:19], 0, v102
	s_and_saveexec_b64 s[38:39], vcc
	s_cbranch_execz .LBB1173_98
; %bb.76:
	v_mov_b32_e32 v27, 0
	ds_read_b32 v2, v27 offset:28
	s_and_saveexec_b64 s[40:41], s[18:19]
	s_cbranch_execz .LBB1173_78
; %bb.77:
	s_add_i32 s42, s2, 64
	s_mov_b32 s43, 0
	s_lshl_b64 s[42:43], s[42:43], 3
	s_add_u32 s42, s36, s42
	v_mov_b32_e32 v3, 1
	s_addc_u32 s43, s37, s43
	s_waitcnt lgkmcnt(0)
	global_store_dwordx2 v27, v[2:3], s[42:43] sc1
.LBB1173_78:
	s_or_b64 exec, exec, s[40:41]
	v_xad_u32 v20, v102, -1, s2
	v_add_u32_e32 v26, 64, v20
	v_lshl_add_u64 v[22:23], v[26:27], 3, s[36:37]
	global_load_dwordx2 v[24:25], v[22:23], off sc1
	s_waitcnt vmcnt(0)
	v_cmp_eq_u16_sdwa s[42:43], v25, v27 src0_sel:BYTE_0 src1_sel:DWORD
	s_and_saveexec_b64 s[40:41], s[42:43]
	s_cbranch_execz .LBB1173_84
; %bb.79:
	s_mov_b32 s3, 1
	s_mov_b64 s[42:43], 0
	v_mov_b32_e32 v3, 0
.LBB1173_80:                            ; =>This Loop Header: Depth=1
                                        ;     Child Loop BB1173_81 Depth 2
	s_max_u32 s31, s3, 1
.LBB1173_81:                            ;   Parent Loop BB1173_80 Depth=1
                                        ; =>  This Inner Loop Header: Depth=2
	s_add_i32 s31, s31, -1
	s_cmp_eq_u32 s31, 0
	s_sleep 1
	s_cbranch_scc0 .LBB1173_81
; %bb.82:                               ;   in Loop: Header=BB1173_80 Depth=1
	global_load_dwordx2 v[24:25], v[22:23], off sc1
	s_cmp_lt_u32 s3, 32
	s_cselect_b64 s[44:45], -1, 0
	s_cmp_lg_u64 s[44:45], 0
	s_addc_u32 s3, s3, 0
	s_waitcnt vmcnt(0)
	v_cmp_ne_u16_sdwa s[44:45], v25, v3 src0_sel:BYTE_0 src1_sel:DWORD
	s_or_b64 s[42:43], s[44:45], s[42:43]
	s_andn2_b64 exec, exec, s[42:43]
	s_cbranch_execnz .LBB1173_80
; %bb.83:
	s_or_b64 exec, exec, s[42:43]
.LBB1173_84:
	s_or_b64 exec, exec, s[40:41]
	v_and_b32_e32 v107, 63, v102
	v_mov_b32_e32 v106, 2
	v_cmp_ne_u32_e32 vcc, 63, v107
	v_cmp_eq_u16_sdwa s[40:41], v25, v106 src0_sel:BYTE_0 src1_sel:DWORD
	v_lshlrev_b64 v[22:23], v102, -1
	v_addc_co_u32_e32 v26, vcc, 0, v102, vcc
	v_and_b32_e32 v3, s41, v23
	v_lshlrev_b32_e32 v108, 2, v26
	v_or_b32_e32 v3, 0x80000000, v3
	ds_bpermute_b32 v26, v108, v24
	v_and_b32_e32 v21, s40, v22
	v_ffbl_b32_e32 v3, v3
	v_add_u32_e32 v3, 32, v3
	v_ffbl_b32_e32 v21, v21
	v_min_u32_e32 v3, v21, v3
	v_cmp_lt_u32_e32 vcc, v107, v3
	v_add_u32_e32 v110, 2, v107
	v_add_u32_e32 v112, 4, v107
	s_waitcnt lgkmcnt(0)
	v_cndmask_b32_e32 v21, 0, v26, vcc
	v_cmp_gt_u32_e32 vcc, 62, v107
	v_add_u32_e32 v21, v21, v24
	v_add_u32_e32 v114, 8, v107
	v_cndmask_b32_e64 v24, 0, 1, vcc
	v_lshlrev_b32_e32 v24, 1, v24
	v_add_lshl_u32 v109, v24, v102, 2
	ds_bpermute_b32 v24, v109, v21
	v_cmp_le_u32_e32 vcc, v110, v3
	v_add_u32_e32 v116, 16, v107
	v_add_u32_e32 v118, 32, v107
	s_waitcnt lgkmcnt(0)
	v_cndmask_b32_e32 v24, 0, v24, vcc
	v_cmp_gt_u32_e32 vcc, 60, v107
	v_add_u32_e32 v21, v21, v24
	s_nop 0
	v_cndmask_b32_e64 v24, 0, 1, vcc
	v_lshlrev_b32_e32 v24, 2, v24
	v_add_lshl_u32 v111, v24, v102, 2
	ds_bpermute_b32 v24, v111, v21
	v_cmp_le_u32_e32 vcc, v112, v3
	s_waitcnt lgkmcnt(0)
	s_nop 0
	v_cndmask_b32_e32 v24, 0, v24, vcc
	v_cmp_gt_u32_e32 vcc, 56, v107
	v_add_u32_e32 v21, v21, v24
	s_nop 0
	v_cndmask_b32_e64 v24, 0, 1, vcc
	v_lshlrev_b32_e32 v24, 3, v24
	v_add_lshl_u32 v113, v24, v102, 2
	ds_bpermute_b32 v24, v113, v21
	v_cmp_le_u32_e32 vcc, v114, v3
	s_waitcnt lgkmcnt(0)
	s_nop 0
	;; [unrolled: 11-line block ×4, first 2 shown]
	v_cndmask_b32_e32 v3, 0, v24, vcc
	v_add_u32_e32 v24, v21, v3
	v_mov_b32_e32 v21, 0
	s_branch .LBB1173_86
.LBB1173_85:                            ;   in Loop: Header=BB1173_86 Depth=1
	s_or_b64 exec, exec, s[40:41]
	v_cmp_eq_u16_sdwa s[40:41], v25, v106 src0_sel:BYTE_0 src1_sel:DWORD
	ds_bpermute_b32 v119, v108, v24
	v_subrev_u32_e32 v20, 64, v20
	v_and_b32_e32 v26, s41, v23
	v_or_b32_e32 v26, 0x80000000, v26
	v_and_b32_e32 v27, s40, v22
	v_ffbl_b32_e32 v26, v26
	v_add_u32_e32 v26, 32, v26
	v_ffbl_b32_e32 v27, v27
	v_min_u32_e32 v26, v27, v26
	v_cmp_lt_u32_e32 vcc, v107, v26
	s_waitcnt lgkmcnt(0)
	s_nop 0
	v_cndmask_b32_e32 v27, 0, v119, vcc
	v_add_u32_e32 v24, v27, v24
	ds_bpermute_b32 v27, v109, v24
	v_cmp_le_u32_e32 vcc, v110, v26
	s_waitcnt lgkmcnt(0)
	s_nop 0
	v_cndmask_b32_e32 v27, 0, v27, vcc
	v_add_u32_e32 v24, v24, v27
	ds_bpermute_b32 v27, v111, v24
	v_cmp_le_u32_e32 vcc, v112, v26
	;; [unrolled: 6-line block ×5, first 2 shown]
	s_waitcnt lgkmcnt(0)
	s_nop 0
	v_cndmask_b32_e32 v26, 0, v27, vcc
	v_add3_u32 v24, v26, v3, v24
.LBB1173_86:                            ; =>This Loop Header: Depth=1
                                        ;     Child Loop BB1173_89 Depth 2
                                        ;       Child Loop BB1173_90 Depth 3
	v_cmp_ne_u16_sdwa s[40:41], v25, v106 src0_sel:BYTE_0 src1_sel:DWORD
	s_nop 1
	v_cndmask_b32_e64 v3, 0, 1, s[40:41]
	;;#ASMSTART
	;;#ASMEND
	s_nop 0
	v_cmp_ne_u32_e32 vcc, 0, v3
	s_cmp_lg_u64 vcc, exec
	v_mov_b32_e32 v3, v24
	s_cbranch_scc1 .LBB1173_93
; %bb.87:                               ;   in Loop: Header=BB1173_86 Depth=1
	v_lshl_add_u64 v[26:27], v[20:21], 3, s[36:37]
	global_load_dwordx2 v[24:25], v[26:27], off sc1
	s_waitcnt vmcnt(0)
	v_cmp_eq_u16_sdwa s[42:43], v25, v21 src0_sel:BYTE_0 src1_sel:DWORD
	s_and_saveexec_b64 s[40:41], s[42:43]
	s_cbranch_execz .LBB1173_85
; %bb.88:                               ;   in Loop: Header=BB1173_86 Depth=1
	s_mov_b32 s3, 1
	s_mov_b64 s[42:43], 0
.LBB1173_89:                            ;   Parent Loop BB1173_86 Depth=1
                                        ; =>  This Loop Header: Depth=2
                                        ;       Child Loop BB1173_90 Depth 3
	s_max_u32 s31, s3, 1
.LBB1173_90:                            ;   Parent Loop BB1173_86 Depth=1
                                        ;     Parent Loop BB1173_89 Depth=2
                                        ; =>    This Inner Loop Header: Depth=3
	s_add_i32 s31, s31, -1
	s_cmp_eq_u32 s31, 0
	s_sleep 1
	s_cbranch_scc0 .LBB1173_90
; %bb.91:                               ;   in Loop: Header=BB1173_89 Depth=2
	global_load_dwordx2 v[24:25], v[26:27], off sc1
	s_cmp_lt_u32 s3, 32
	s_cselect_b64 s[44:45], -1, 0
	s_cmp_lg_u64 s[44:45], 0
	s_addc_u32 s3, s3, 0
	s_waitcnt vmcnt(0)
	v_cmp_ne_u16_sdwa s[44:45], v25, v21 src0_sel:BYTE_0 src1_sel:DWORD
	s_or_b64 s[42:43], s[44:45], s[42:43]
	s_andn2_b64 exec, exec, s[42:43]
	s_cbranch_execnz .LBB1173_89
; %bb.92:                               ;   in Loop: Header=BB1173_86 Depth=1
	s_or_b64 exec, exec, s[42:43]
	s_branch .LBB1173_85
.LBB1173_93:                            ;   in Loop: Header=BB1173_86 Depth=1
                                        ; implicit-def: $vgpr24
                                        ; implicit-def: $vgpr25
	s_cbranch_execz .LBB1173_86
; %bb.94:
	s_and_saveexec_b64 s[40:41], s[18:19]
	s_cbranch_execz .LBB1173_96
; %bb.95:
	s_add_i32 s2, s2, 64
	s_mov_b32 s3, 0
	s_lshl_b64 s[2:3], s[2:3], 3
	s_add_u32 s2, s36, s2
	v_add_u32_e32 v20, v3, v2
	v_mov_b32_e32 v21, 2
	s_addc_u32 s3, s37, s3
	v_mov_b32_e32 v22, 0
	global_store_dwordx2 v22, v[20:21], s[2:3] sc1
	ds_write_b64 v22, v[2:3] offset:30720
.LBB1173_96:
	s_or_b64 exec, exec, s[40:41]
	v_cmp_eq_u32_e32 vcc, 0, v0
	s_and_b64 exec, exec, vcc
	s_cbranch_execz .LBB1173_98
; %bb.97:
	v_mov_b32_e32 v2, 0
	ds_write_b32 v2, v3 offset:28
.LBB1173_98:
	s_or_b64 exec, exec, s[38:39]
	v_mov_b32_e32 v2, 0
	s_waitcnt lgkmcnt(0)
	s_barrier
	ds_read_b32 v21, v2 offset:28
	s_waitcnt lgkmcnt(0)
	s_barrier
	ds_read_b64 v[2:3], v2 offset:30720
	v_cndmask_b32_e64 v20, v105, v66, s[18:19]
	v_cmp_ne_u32_e32 vcc, 0, v0
	s_waitcnt lgkmcnt(0)
	v_mov_b32_e32 v66, v3
	v_cndmask_b32_e32 v20, 0, v20, vcc
	v_add_u32_e32 v20, v21, v20
	s_load_dwordx2 s[2:3], s[0:1], 0x28
	s_branch .LBB1173_109
.LBB1173_99:
                                        ; implicit-def: $vgpr66
                                        ; implicit-def: $vgpr2
                                        ; implicit-def: $vgpr20
	s_load_dwordx2 s[2:3], s[0:1], 0x28
	s_cbranch_execz .LBB1173_109
; %bb.100:
	v_mov_b32_dpp v2, v104 row_shr:1 row_mask:0xf bank_mask:0xf
	v_cndmask_b32_e64 v2, v2, 0, s[16:17]
	v_add_u32_e32 v2, v2, v104
	s_nop 1
	v_mov_b32_dpp v3, v2 row_shr:2 row_mask:0xf bank_mask:0xf
	v_cndmask_b32_e64 v3, 0, v3, s[14:15]
	v_add_u32_e32 v2, v2, v3
	s_nop 1
	;; [unrolled: 4-line block ×4, first 2 shown]
	v_mov_b32_dpp v3, v2 row_bcast:15 row_mask:0xf bank_mask:0xf
	v_cndmask_b32_e64 v3, v3, 0, s[8:9]
	v_add_u32_e32 v2, v2, v3
	s_nop 1
	v_mov_b32_dpp v3, v2 row_bcast:31 row_mask:0xf bank_mask:0xf
	v_cndmask_b32_e64 v3, 0, v3, s[4:5]
	v_add_u32_e32 v2, v2, v3
	s_and_saveexec_b64 s[0:1], s[6:7]
	s_cbranch_execz .LBB1173_102
; %bb.101:
	v_lshlrev_b32_e32 v3, 2, v103
	ds_write_b32 v3, v2
.LBB1173_102:
	s_or_b64 exec, exec, s[0:1]
	v_cmp_gt_u32_e32 vcc, 8, v0
	s_waitcnt lgkmcnt(0)
	s_barrier
	s_and_saveexec_b64 s[0:1], vcc
	s_cbranch_execz .LBB1173_104
; %bb.103:
	v_lshlrev_b32_e32 v3, 2, v0
	ds_read_b32 v20, v3
	v_and_b32_e32 v21, 7, v102
	v_cmp_ne_u32_e32 vcc, 0, v21
	s_waitcnt lgkmcnt(0)
	v_mov_b32_dpp v22, v20 row_shr:1 row_mask:0xf bank_mask:0xf
	v_cndmask_b32_e32 v22, 0, v22, vcc
	v_add_u32_e32 v20, v22, v20
	v_cmp_lt_u32_e32 vcc, 1, v21
	s_nop 0
	v_mov_b32_dpp v22, v20 row_shr:2 row_mask:0xf bank_mask:0xf
	v_cndmask_b32_e32 v22, 0, v22, vcc
	v_add_u32_e32 v20, v20, v22
	v_cmp_lt_u32_e32 vcc, 3, v21
	s_nop 0
	v_mov_b32_dpp v22, v20 row_shr:4 row_mask:0xf bank_mask:0xf
	v_cndmask_b32_e32 v21, 0, v22, vcc
	v_add_u32_e32 v20, v20, v21
	ds_write_b32 v3, v20
.LBB1173_104:
	s_or_b64 exec, exec, s[0:1]
	v_cmp_lt_u32_e32 vcc, 63, v0
	v_mov_b32_e32 v3, 0
	v_mov_b32_e32 v20, 0
	s_waitcnt lgkmcnt(0)
	s_barrier
	s_and_saveexec_b64 s[0:1], vcc
	s_cbranch_execz .LBB1173_106
; %bb.105:
	v_lshl_add_u32 v20, v103, 2, -4
	ds_read_b32 v20, v20
.LBB1173_106:
	s_or_b64 exec, exec, s[0:1]
	v_add_u32_e32 v21, -1, v102
	v_and_b32_e32 v22, 64, v102
	v_cmp_lt_i32_e32 vcc, v21, v22
	s_waitcnt lgkmcnt(0)
	v_add_u32_e32 v2, v20, v2
	v_cndmask_b32_e32 v21, v21, v102, vcc
	v_lshlrev_b32_e32 v21, 2, v21
	ds_bpermute_b32 v21, v21, v2
	ds_read_b32 v2, v3 offset:28
	v_cmp_eq_u32_e32 vcc, 0, v0
	s_and_saveexec_b64 s[0:1], vcc
	s_cbranch_execz .LBB1173_108
; %bb.107:
	v_mov_b32_e32 v22, 0
	v_mov_b32_e32 v3, 2
	s_waitcnt lgkmcnt(0)
	global_store_dwordx2 v22, v[2:3], s[36:37] offset:512 sc1
.LBB1173_108:
	s_or_b64 exec, exec, s[0:1]
	v_cmp_eq_u32_e64 s[0:1], 0, v102
	v_mov_b32_e32 v66, 0
	s_waitcnt lgkmcnt(0)
	v_cndmask_b32_e64 v3, v21, v20, s[0:1]
	v_cndmask_b32_e64 v20, v3, 0, vcc
	s_barrier
.LBB1173_109:
	v_add_u32_e32 v3, v20, v74
	v_add_u32_e32 v21, v3, v75
	;; [unrolled: 1-line block ×21, first 2 shown]
	v_sub_u32_e32 v20, v20, v66
	v_and_b32_e32 v73, 1, v73
	v_add_u32_e32 v86, v85, v94
	v_sub_u32_e32 v94, v40, v20
	v_cmp_eq_u32_e32 vcc, 1, v73
	v_sub_u32_e32 v3, v3, v66
	v_add_u32_e32 v87, v86, v95
	v_cndmask_b32_e32 v20, v94, v20, vcc
	v_lshlrev_b32_e32 v20, 1, v20
	ds_write_b16 v20, v18
	v_sub_u32_e32 v18, v40, v3
	v_and_b32_e32 v20, 1, v72
	v_add_u32_e32 v18, 1, v18
	v_cmp_eq_u32_e32 vcc, 1, v20
	v_and_b32_e32 v20, 1, v71
	v_add_u32_e32 v88, v87, v96
	v_cndmask_b32_e32 v3, v18, v3, vcc
	v_lshlrev_b32_e32 v3, 1, v3
	ds_write_b16 v3, v42
	v_sub_u32_e32 v3, v21, v66
	v_sub_u32_e32 v18, v40, v3
	v_add_u32_e32 v18, 2, v18
	v_cmp_eq_u32_e32 vcc, 1, v20
	v_add_u32_e32 v89, v88, v97
	v_add_u32_e32 v90, v89, v98
	v_cndmask_b32_e32 v3, v18, v3, vcc
	v_lshlrev_b32_e32 v3, 1, v3
	ds_write_b16 v3, v19
	v_sub_u32_e32 v3, v22, v66
	v_sub_u32_e32 v18, v40, v3
	v_and_b32_e32 v19, 1, v70
	v_add_u32_e32 v18, 3, v18
	v_cmp_eq_u32_e32 vcc, 1, v19
	v_and_b32_e32 v19, 1, v69
	v_add_u32_e32 v91, v90, v99
	v_cndmask_b32_e32 v3, v18, v3, vcc
	v_lshlrev_b32_e32 v3, 1, v3
	ds_write_b16 v3, v41
	v_sub_u32_e32 v3, v23, v66
	v_sub_u32_e32 v18, v40, v3
	v_add_u32_e32 v18, 4, v18
	v_cmp_eq_u32_e32 vcc, 1, v19
	v_add_u32_e32 v92, v91, v100
	v_add_u32_e32 v93, v92, v101
	v_cndmask_b32_e32 v3, v18, v3, vcc
	v_lshlrev_b32_e32 v3, 1, v3
	ds_write_b16 v3, v16
	v_sub_u32_e32 v3, v24, v66
	v_sub_u32_e32 v16, v40, v3
	v_and_b32_e32 v18, 1, v68
	v_add_u32_e32 v16, 5, v16
	v_cmp_eq_u32_e32 vcc, 1, v18
	v_and_b32_e32 v18, 1, v67
	s_add_u32 s0, s22, s30
	v_cndmask_b32_e32 v3, v16, v3, vcc
	v_lshlrev_b32_e32 v3, 1, v3
	ds_write_b16 v3, v39
	v_sub_u32_e32 v3, v25, v66
	v_sub_u32_e32 v16, v40, v3
	v_add_u32_e32 v16, 6, v16
	v_cmp_eq_u32_e32 vcc, 1, v18
	s_addc_u32 s1, s23, 0
	s_sub_u32 s0, s28, s0
	v_cndmask_b32_e32 v3, v16, v3, vcc
	v_lshlrev_b32_e32 v3, 1, v3
	ds_write_b16 v3, v17
	v_sub_u32_e32 v3, v26, v66
	v_sub_u32_e32 v16, v40, v3
	v_and_b32_e32 v17, 1, v65
	v_add_u32_e32 v16, 7, v16
	v_cmp_eq_u32_e32 vcc, 1, v17
	v_and_b32_e32 v17, 1, v64
	s_subb_u32 s1, s29, s1
	v_cndmask_b32_e32 v3, v16, v3, vcc
	v_lshlrev_b32_e32 v3, 1, v3
	ds_write_b16 v3, v38
	v_sub_u32_e32 v3, v27, v66
	v_sub_u32_e32 v16, v40, v3
	v_add_u32_e32 v16, 8, v16
	v_cmp_eq_u32_e32 vcc, 1, v17
	v_or_b32_e32 v64, 0x200, v0
	v_or_b32_e32 v42, 0x1800, v0
	v_cndmask_b32_e32 v3, v16, v3, vcc
	v_lshlrev_b32_e32 v3, 1, v3
	ds_write_b16 v3, v14
	v_sub_u32_e32 v3, v74, v66
	v_sub_u32_e32 v14, v40, v3
	v_and_b32_e32 v16, 1, v63
	v_add_u32_e32 v14, 9, v14
	v_cmp_eq_u32_e32 vcc, 1, v16
	v_and_b32_e32 v16, 1, v62
	v_or_b32_e32 v62, 0x400, v0
	v_cndmask_b32_e32 v3, v14, v3, vcc
	v_lshlrev_b32_e32 v3, 1, v3
	ds_write_b16 v3, v37
	v_sub_u32_e32 v3, v75, v66
	v_sub_u32_e32 v14, v40, v3
	v_add_u32_e32 v14, 10, v14
	v_cmp_eq_u32_e32 vcc, 1, v16
	v_or_b32_e32 v38, 0x1c00, v0
	v_or_b32_e32 v26, 0x2800, v0
	v_cndmask_b32_e32 v3, v14, v3, vcc
	v_lshlrev_b32_e32 v3, 1, v3
	ds_write_b16 v3, v15
	v_sub_u32_e32 v3, v76, v66
	v_sub_u32_e32 v14, v40, v3
	v_and_b32_e32 v15, 1, v61
	v_add_u32_e32 v14, 11, v14
	v_cmp_eq_u32_e32 vcc, 1, v15
	v_and_b32_e32 v15, 1, v60
	v_or_b32_e32 v60, 0x600, v0
	;; [unrolled: 19-line block ×7, first 2 shown]
	v_cndmask_b32_e32 v3, v8, v3, vcc
	v_lshlrev_b32_e32 v3, 1, v3
	ds_write_b16 v3, v31
	v_sub_u32_e32 v3, v87, v66
	v_sub_u32_e32 v8, v40, v3
	v_add_u32_e32 v8, 22, v8
	v_cmp_eq_u32_e32 vcc, 1, v10
	v_or_b32_e32 v10, 0x3800, v0
	s_nop 0
	v_cndmask_b32_e32 v3, v8, v3, vcc
	v_lshlrev_b32_e32 v3, 1, v3
	ds_write_b16 v3, v9
	v_sub_u32_e32 v3, v88, v66
	v_sub_u32_e32 v8, v40, v3
	v_and_b32_e32 v9, 1, v49
	v_add_u32_e32 v8, 23, v8
	v_cmp_eq_u32_e32 vcc, 1, v9
	v_and_b32_e32 v9, 1, v48
	v_or_b32_e32 v48, 0x1200, v0
	v_cndmask_b32_e32 v3, v8, v3, vcc
	v_lshlrev_b32_e32 v3, 1, v3
	ds_write_b16 v3, v30
	v_sub_u32_e32 v3, v89, v66
	v_sub_u32_e32 v8, v40, v3
	v_add_u32_e32 v8, 24, v8
	v_cmp_eq_u32_e32 vcc, 1, v9
	v_or_b32_e32 v30, 0x2400, v0
	s_nop 0
	v_cndmask_b32_e32 v3, v8, v3, vcc
	v_lshlrev_b32_e32 v3, 1, v3
	ds_write_b16 v3, v6
	v_sub_u32_e32 v3, v90, v66
	v_sub_u32_e32 v6, v40, v3
	v_and_b32_e32 v8, 1, v47
	v_add_u32_e32 v6, 25, v6
	v_cmp_eq_u32_e32 vcc, 1, v8
	v_and_b32_e32 v8, 1, v46
	v_or_b32_e32 v46, 0x1400, v0
	v_cndmask_b32_e32 v3, v6, v3, vcc
	v_lshlrev_b32_e32 v3, 1, v3
	ds_write_b16 v3, v29
	v_sub_u32_e32 v3, v91, v66
	v_sub_u32_e32 v6, v40, v3
	v_add_u32_e32 v6, 26, v6
	v_cmp_eq_u32_e32 vcc, 1, v8
	s_nop 1
	v_cndmask_b32_e32 v3, v6, v3, vcc
	v_lshlrev_b32_e32 v3, 1, v3
	ds_write_b16 v3, v7
	v_sub_u32_e32 v3, v92, v66
	v_sub_u32_e32 v6, v40, v3
	v_and_b32_e32 v7, 1, v45
	v_add_u32_e32 v6, 27, v6
	v_cmp_eq_u32_e32 vcc, 1, v7
	v_and_b32_e32 v7, 1, v43
	s_nop 0
	v_cndmask_b32_e32 v3, v6, v3, vcc
	v_lshlrev_b32_e32 v3, 1, v3
	ds_write_b16 v3, v28
	v_sub_u32_e32 v3, v93, v66
	v_sub_u32_e32 v6, v40, v3
	v_add_u32_e32 v6, 28, v6
	v_cmp_eq_u32_e32 vcc, 1, v7
	v_or_b32_e32 v28, 0x2600, v0
	s_nop 0
	v_cndmask_b32_e32 v3, v6, v3, vcc
	v_lshlrev_b32_e32 v3, 1, v3
	ds_write_b16 v3, v5
	v_sub_u32_sdwa v3, v43, v66 dst_sel:DWORD dst_unused:UNUSED_PAD src0_sel:BYTE_0 src1_sel:DWORD
	v_add_u32_e32 v3, v93, v3
	v_sub_u32_e32 v5, v40, v3
	v_and_b32_e32 v6, 1, v44
	v_add_u32_e32 v5, 29, v5
	v_cmp_eq_u32_e32 vcc, 1, v6
	v_or_b32_e32 v44, 0x1600, v0
	v_or_b32_e32 v40, 0x1a00, v0
	v_cndmask_b32_e32 v3, v5, v3, vcc
	v_lshlrev_b32_e32 v3, 1, v3
	ds_write_b16 v3, v1
	s_waitcnt lgkmcnt(0)
	s_barrier
	ds_read_u16 v97, v4
	ds_read_u16 v96, v4 offset:1024
	ds_read_u16 v95, v4 offset:2048
	;; [unrolled: 1-line block ×29, first 2 shown]
	v_mov_b32_e32 v1, 0
	v_mov_b32_e32 v67, v1
	;; [unrolled: 1-line block ×3, first 2 shown]
	v_lshl_add_u64 v[4:5], s[34:35], 0, v[66:67]
	v_lshl_add_u64 v[8:9], s[0:1], 0, v[2:3]
	v_mov_b32_e32 v65, v1
	v_mov_b32_e32 v63, v1
	;; [unrolled: 1-line block ×28, first 2 shown]
	v_or_b32_e32 v6, 0x3a00, v0
	v_mov_b32_e32 v7, v1
	s_and_b64 vcc, exec, s[20:21]
	v_lshl_add_u64 v[8:9], v[8:9], 0, v[4:5]
	s_cbranch_vccnz .LBB1173_231
; %bb.110:
	v_cmp_ge_u32_e32 vcc, v0, v2
                                        ; implicit-def: $vgpr66_vgpr67
	s_and_saveexec_b64 s[0:1], vcc
	s_xor_b64 s[0:1], exec, s[0:1]
; %bb.111:
	v_not_b32_e32 v66, v0
	v_ashrrev_i32_e32 v67, 31, v66
	v_lshl_add_u64 v[66:67], v[8:9], 0, v[66:67]
; %bb.112:
	s_andn2_saveexec_b64 s[0:1], s[0:1]
; %bb.113:
	v_lshl_add_u64 v[66:67], v[4:5], 0, v[0:1]
; %bb.114:
	s_or_b64 exec, exec, s[0:1]
	v_lshl_add_u64 v[66:67], v[66:67], 1, s[2:3]
	v_cmp_ge_u32_e32 vcc, v64, v2
	s_waitcnt lgkmcnt(14)
	global_store_short v[66:67], v97, off
                                        ; implicit-def: $vgpr66_vgpr67
	s_and_saveexec_b64 s[0:1], vcc
	s_xor_b64 s[0:1], exec, s[0:1]
; %bb.115:
	v_xor_b32_e32 v66, 0xfffffdff, v0
	v_ashrrev_i32_e32 v67, 31, v66
	v_lshl_add_u64 v[66:67], v[8:9], 0, v[66:67]
; %bb.116:
	s_andn2_saveexec_b64 s[0:1], s[0:1]
; %bb.117:
	v_lshl_add_u64 v[66:67], v[4:5], 0, v[64:65]
; %bb.118:
	s_or_b64 exec, exec, s[0:1]
	v_lshl_add_u64 v[66:67], v[66:67], 1, s[2:3]
	v_cmp_ge_u32_e32 vcc, v62, v2
	global_store_short v[66:67], v96, off
                                        ; implicit-def: $vgpr66_vgpr67
	s_and_saveexec_b64 s[0:1], vcc
	s_xor_b64 s[0:1], exec, s[0:1]
; %bb.119:
	v_xor_b32_e32 v66, 0xfffffbff, v0
	v_ashrrev_i32_e32 v67, 31, v66
	v_lshl_add_u64 v[66:67], v[8:9], 0, v[66:67]
; %bb.120:
	s_andn2_saveexec_b64 s[0:1], s[0:1]
; %bb.121:
	v_lshl_add_u64 v[66:67], v[4:5], 0, v[62:63]
; %bb.122:
	s_or_b64 exec, exec, s[0:1]
	v_lshl_add_u64 v[66:67], v[66:67], 1, s[2:3]
	v_cmp_ge_u32_e32 vcc, v60, v2
	;; [unrolled: 16-line block ×16, first 2 shown]
	s_waitcnt lgkmcnt(13)
	global_store_short v[66:67], v81, off
                                        ; implicit-def: $vgpr66_vgpr67
	s_and_saveexec_b64 s[0:1], vcc
	s_xor_b64 s[0:1], exec, s[0:1]
; %bb.179:
	v_xor_b32_e32 v66, 0xffffddff, v0
	v_ashrrev_i32_e32 v67, 31, v66
	v_lshl_add_u64 v[66:67], v[8:9], 0, v[66:67]
; %bb.180:
	s_andn2_saveexec_b64 s[0:1], s[0:1]
; %bb.181:
	v_lshl_add_u64 v[66:67], v[4:5], 0, v[32:33]
; %bb.182:
	s_or_b64 exec, exec, s[0:1]
	v_lshl_add_u64 v[66:67], v[66:67], 1, s[2:3]
	v_cmp_ge_u32_e32 vcc, v30, v2
	s_waitcnt lgkmcnt(12)
	global_store_short v[66:67], v80, off
                                        ; implicit-def: $vgpr66_vgpr67
	s_and_saveexec_b64 s[0:1], vcc
	s_xor_b64 s[0:1], exec, s[0:1]
; %bb.183:
	v_xor_b32_e32 v66, 0xffffdbff, v0
	v_ashrrev_i32_e32 v67, 31, v66
	v_lshl_add_u64 v[66:67], v[8:9], 0, v[66:67]
; %bb.184:
	s_andn2_saveexec_b64 s[0:1], s[0:1]
; %bb.185:
	v_lshl_add_u64 v[66:67], v[4:5], 0, v[30:31]
; %bb.186:
	s_or_b64 exec, exec, s[0:1]
	v_lshl_add_u64 v[66:67], v[66:67], 1, s[2:3]
	v_cmp_ge_u32_e32 vcc, v28, v2
	;; [unrolled: 17-line block ×12, first 2 shown]
	s_waitcnt lgkmcnt(1)
	global_store_short v[66:67], v69, off
                                        ; implicit-def: $vgpr66_vgpr67
	s_and_saveexec_b64 s[0:1], vcc
	s_xor_b64 s[0:1], exec, s[0:1]
; %bb.227:
	v_xor_b32_e32 v66, 0xffffc5ff, v0
	v_ashrrev_i32_e32 v67, 31, v66
	v_lshl_add_u64 v[66:67], v[8:9], 0, v[66:67]
; %bb.228:
	s_andn2_saveexec_b64 s[0:1], s[0:1]
; %bb.229:
	v_lshl_add_u64 v[66:67], v[4:5], 0, v[6:7]
; %bb.230:
	s_or_b64 exec, exec, s[0:1]
	s_mov_b64 s[0:1], -1
	s_branch .LBB1173_413
.LBB1173_231:
	s_mov_b64 s[0:1], 0
                                        ; implicit-def: $vgpr66_vgpr67
	s_cbranch_execz .LBB1173_413
; %bb.232:
	v_cmp_gt_u32_e32 vcc, s33, v0
	s_and_saveexec_b64 s[4:5], vcc
	s_cbranch_execz .LBB1173_318
; %bb.233:
	v_cmp_ge_u32_e32 vcc, v0, v2
                                        ; implicit-def: $vgpr66_vgpr67
	s_and_saveexec_b64 s[6:7], vcc
	s_xor_b64 s[6:7], exec, s[6:7]
; %bb.234:
	v_not_b32_e32 v66, v0
	v_ashrrev_i32_e32 v67, 31, v66
	v_lshl_add_u64 v[66:67], v[8:9], 0, v[66:67]
; %bb.235:
	s_andn2_saveexec_b64 s[6:7], s[6:7]
; %bb.236:
	v_lshl_add_u64 v[66:67], v[4:5], 0, v[0:1]
; %bb.237:
	s_or_b64 exec, exec, s[6:7]
	v_lshl_add_u64 v[66:67], v[66:67], 1, s[2:3]
	s_waitcnt lgkmcnt(14)
	global_store_short v[66:67], v97, off
	s_or_b64 exec, exec, s[4:5]
	v_cmp_gt_u32_e32 vcc, s33, v64
	s_and_saveexec_b64 s[4:5], vcc
	s_cbranch_execnz .LBB1173_319
.LBB1173_238:
	s_or_b64 exec, exec, s[4:5]
	v_cmp_gt_u32_e32 vcc, s33, v62
	s_and_saveexec_b64 s[4:5], vcc
	s_cbranch_execz .LBB1173_324
.LBB1173_239:
	v_cmp_ge_u32_e32 vcc, v62, v2
                                        ; implicit-def: $vgpr64_vgpr65
	s_and_saveexec_b64 s[6:7], vcc
	s_xor_b64 s[6:7], exec, s[6:7]
; %bb.240:
	v_xor_b32_e32 v62, 0xfffffbff, v0
	v_ashrrev_i32_e32 v63, 31, v62
	v_lshl_add_u64 v[64:65], v[8:9], 0, v[62:63]
                                        ; implicit-def: $vgpr62_vgpr63
; %bb.241:
	s_andn2_saveexec_b64 s[6:7], s[6:7]
; %bb.242:
	v_lshl_add_u64 v[64:65], v[4:5], 0, v[62:63]
; %bb.243:
	s_or_b64 exec, exec, s[6:7]
	v_lshl_add_u64 v[62:63], v[64:65], 1, s[2:3]
	s_waitcnt lgkmcnt(14)
	global_store_short v[62:63], v95, off
	s_or_b64 exec, exec, s[4:5]
	v_cmp_gt_u32_e32 vcc, s33, v60
	s_and_saveexec_b64 s[4:5], vcc
	s_cbranch_execnz .LBB1173_325
.LBB1173_244:
	s_or_b64 exec, exec, s[4:5]
	v_cmp_gt_u32_e32 vcc, s33, v58
	s_and_saveexec_b64 s[4:5], vcc
	s_cbranch_execz .LBB1173_330
.LBB1173_245:
	v_cmp_ge_u32_e32 vcc, v58, v2
                                        ; implicit-def: $vgpr60_vgpr61
	s_and_saveexec_b64 s[6:7], vcc
	s_xor_b64 s[6:7], exec, s[6:7]
; %bb.246:
	v_xor_b32_e32 v58, 0xfffff7ff, v0
	v_ashrrev_i32_e32 v59, 31, v58
	v_lshl_add_u64 v[60:61], v[8:9], 0, v[58:59]
                                        ; implicit-def: $vgpr58_vgpr59
; %bb.247:
	s_andn2_saveexec_b64 s[6:7], s[6:7]
; %bb.248:
	v_lshl_add_u64 v[60:61], v[4:5], 0, v[58:59]
; %bb.249:
	s_or_b64 exec, exec, s[6:7]
	v_lshl_add_u64 v[58:59], v[60:61], 1, s[2:3]
	s_waitcnt lgkmcnt(14)
	global_store_short v[58:59], v93, off
	s_or_b64 exec, exec, s[4:5]
	v_cmp_gt_u32_e32 vcc, s33, v56
	s_and_saveexec_b64 s[4:5], vcc
	s_cbranch_execnz .LBB1173_331
.LBB1173_250:
	s_or_b64 exec, exec, s[4:5]
	v_cmp_gt_u32_e32 vcc, s33, v54
	s_and_saveexec_b64 s[4:5], vcc
	s_cbranch_execz .LBB1173_336
.LBB1173_251:
	v_cmp_ge_u32_e32 vcc, v54, v2
                                        ; implicit-def: $vgpr56_vgpr57
	s_and_saveexec_b64 s[6:7], vcc
	s_xor_b64 s[6:7], exec, s[6:7]
; %bb.252:
	v_xor_b32_e32 v54, 0xfffff3ff, v0
	v_ashrrev_i32_e32 v55, 31, v54
	v_lshl_add_u64 v[56:57], v[8:9], 0, v[54:55]
                                        ; implicit-def: $vgpr54_vgpr55
; %bb.253:
	s_andn2_saveexec_b64 s[6:7], s[6:7]
; %bb.254:
	v_lshl_add_u64 v[56:57], v[4:5], 0, v[54:55]
; %bb.255:
	s_or_b64 exec, exec, s[6:7]
	v_lshl_add_u64 v[54:55], v[56:57], 1, s[2:3]
	s_waitcnt lgkmcnt(14)
	global_store_short v[54:55], v91, off
	s_or_b64 exec, exec, s[4:5]
	v_cmp_gt_u32_e32 vcc, s33, v52
	s_and_saveexec_b64 s[4:5], vcc
	s_cbranch_execnz .LBB1173_337
.LBB1173_256:
	s_or_b64 exec, exec, s[4:5]
	v_cmp_gt_u32_e32 vcc, s33, v50
	s_and_saveexec_b64 s[4:5], vcc
	s_cbranch_execz .LBB1173_342
.LBB1173_257:
	v_cmp_ge_u32_e32 vcc, v50, v2
                                        ; implicit-def: $vgpr52_vgpr53
	s_and_saveexec_b64 s[6:7], vcc
	s_xor_b64 s[6:7], exec, s[6:7]
; %bb.258:
	v_xor_b32_e32 v50, 0xffffefff, v0
	v_ashrrev_i32_e32 v51, 31, v50
	v_lshl_add_u64 v[52:53], v[8:9], 0, v[50:51]
                                        ; implicit-def: $vgpr50_vgpr51
; %bb.259:
	s_andn2_saveexec_b64 s[6:7], s[6:7]
; %bb.260:
	v_lshl_add_u64 v[52:53], v[4:5], 0, v[50:51]
; %bb.261:
	s_or_b64 exec, exec, s[6:7]
	v_lshl_add_u64 v[50:51], v[52:53], 1, s[2:3]
	s_waitcnt lgkmcnt(14)
	global_store_short v[50:51], v89, off
	s_or_b64 exec, exec, s[4:5]
	v_cmp_gt_u32_e32 vcc, s33, v48
	s_and_saveexec_b64 s[4:5], vcc
	s_cbranch_execnz .LBB1173_343
.LBB1173_262:
	s_or_b64 exec, exec, s[4:5]
	v_cmp_gt_u32_e32 vcc, s33, v46
	s_and_saveexec_b64 s[4:5], vcc
	s_cbranch_execz .LBB1173_348
.LBB1173_263:
	v_cmp_ge_u32_e32 vcc, v46, v2
                                        ; implicit-def: $vgpr48_vgpr49
	s_and_saveexec_b64 s[6:7], vcc
	s_xor_b64 s[6:7], exec, s[6:7]
; %bb.264:
	v_xor_b32_e32 v46, 0xffffebff, v0
	v_ashrrev_i32_e32 v47, 31, v46
	v_lshl_add_u64 v[48:49], v[8:9], 0, v[46:47]
                                        ; implicit-def: $vgpr46_vgpr47
; %bb.265:
	s_andn2_saveexec_b64 s[6:7], s[6:7]
; %bb.266:
	v_lshl_add_u64 v[48:49], v[4:5], 0, v[46:47]
; %bb.267:
	s_or_b64 exec, exec, s[6:7]
	v_lshl_add_u64 v[46:47], v[48:49], 1, s[2:3]
	s_waitcnt lgkmcnt(14)
	global_store_short v[46:47], v87, off
	s_or_b64 exec, exec, s[4:5]
	v_cmp_gt_u32_e32 vcc, s33, v44
	s_and_saveexec_b64 s[4:5], vcc
	s_cbranch_execnz .LBB1173_349
.LBB1173_268:
	s_or_b64 exec, exec, s[4:5]
	v_cmp_gt_u32_e32 vcc, s33, v42
	s_and_saveexec_b64 s[4:5], vcc
	s_cbranch_execz .LBB1173_354
.LBB1173_269:
	v_cmp_ge_u32_e32 vcc, v42, v2
                                        ; implicit-def: $vgpr44_vgpr45
	s_and_saveexec_b64 s[6:7], vcc
	s_xor_b64 s[6:7], exec, s[6:7]
; %bb.270:
	v_xor_b32_e32 v42, 0xffffe7ff, v0
	v_ashrrev_i32_e32 v43, 31, v42
	v_lshl_add_u64 v[44:45], v[8:9], 0, v[42:43]
                                        ; implicit-def: $vgpr42_vgpr43
; %bb.271:
	s_andn2_saveexec_b64 s[6:7], s[6:7]
; %bb.272:
	v_lshl_add_u64 v[44:45], v[4:5], 0, v[42:43]
; %bb.273:
	s_or_b64 exec, exec, s[6:7]
	v_lshl_add_u64 v[42:43], v[44:45], 1, s[2:3]
	s_waitcnt lgkmcnt(14)
	global_store_short v[42:43], v85, off
	s_or_b64 exec, exec, s[4:5]
	v_cmp_gt_u32_e32 vcc, s33, v40
	s_and_saveexec_b64 s[4:5], vcc
	s_cbranch_execnz .LBB1173_355
.LBB1173_274:
	s_or_b64 exec, exec, s[4:5]
	v_cmp_gt_u32_e32 vcc, s33, v38
	s_and_saveexec_b64 s[4:5], vcc
	s_cbranch_execz .LBB1173_360
.LBB1173_275:
	v_cmp_ge_u32_e32 vcc, v38, v2
                                        ; implicit-def: $vgpr40_vgpr41
	s_and_saveexec_b64 s[6:7], vcc
	s_xor_b64 s[6:7], exec, s[6:7]
; %bb.276:
	v_xor_b32_e32 v38, 0xffffe3ff, v0
	v_ashrrev_i32_e32 v39, 31, v38
	v_lshl_add_u64 v[40:41], v[8:9], 0, v[38:39]
                                        ; implicit-def: $vgpr38_vgpr39
; %bb.277:
	s_andn2_saveexec_b64 s[6:7], s[6:7]
; %bb.278:
	v_lshl_add_u64 v[40:41], v[4:5], 0, v[38:39]
; %bb.279:
	s_or_b64 exec, exec, s[6:7]
	v_lshl_add_u64 v[38:39], v[40:41], 1, s[2:3]
	s_waitcnt lgkmcnt(14)
	global_store_short v[38:39], v83, off
	s_or_b64 exec, exec, s[4:5]
	v_cmp_gt_u32_e32 vcc, s33, v36
	s_and_saveexec_b64 s[4:5], vcc
	s_cbranch_execnz .LBB1173_361
.LBB1173_280:
	s_or_b64 exec, exec, s[4:5]
	v_cmp_gt_u32_e32 vcc, s33, v34
	s_and_saveexec_b64 s[4:5], vcc
	s_cbranch_execz .LBB1173_366
.LBB1173_281:
	v_cmp_ge_u32_e32 vcc, v34, v2
                                        ; implicit-def: $vgpr36_vgpr37
	s_and_saveexec_b64 s[6:7], vcc
	s_xor_b64 s[6:7], exec, s[6:7]
; %bb.282:
	v_xor_b32_e32 v34, 0xffffdfff, v0
	v_ashrrev_i32_e32 v35, 31, v34
	v_lshl_add_u64 v[36:37], v[8:9], 0, v[34:35]
                                        ; implicit-def: $vgpr34_vgpr35
; %bb.283:
	s_andn2_saveexec_b64 s[6:7], s[6:7]
; %bb.284:
	v_lshl_add_u64 v[36:37], v[4:5], 0, v[34:35]
; %bb.285:
	s_or_b64 exec, exec, s[6:7]
	v_lshl_add_u64 v[34:35], v[36:37], 1, s[2:3]
	s_waitcnt lgkmcnt(13)
	global_store_short v[34:35], v81, off
	s_or_b64 exec, exec, s[4:5]
	v_cmp_gt_u32_e32 vcc, s33, v32
	s_and_saveexec_b64 s[4:5], vcc
	s_cbranch_execnz .LBB1173_367
.LBB1173_286:
	s_or_b64 exec, exec, s[4:5]
	v_cmp_gt_u32_e32 vcc, s33, v30
	s_and_saveexec_b64 s[4:5], vcc
	s_cbranch_execz .LBB1173_372
.LBB1173_287:
	v_cmp_ge_u32_e32 vcc, v30, v2
                                        ; implicit-def: $vgpr32_vgpr33
	s_and_saveexec_b64 s[6:7], vcc
	s_xor_b64 s[6:7], exec, s[6:7]
; %bb.288:
	v_xor_b32_e32 v30, 0xffffdbff, v0
	v_ashrrev_i32_e32 v31, 31, v30
	v_lshl_add_u64 v[32:33], v[8:9], 0, v[30:31]
                                        ; implicit-def: $vgpr30_vgpr31
; %bb.289:
	s_andn2_saveexec_b64 s[6:7], s[6:7]
; %bb.290:
	v_lshl_add_u64 v[32:33], v[4:5], 0, v[30:31]
; %bb.291:
	s_or_b64 exec, exec, s[6:7]
	v_lshl_add_u64 v[30:31], v[32:33], 1, s[2:3]
	s_waitcnt lgkmcnt(11)
	global_store_short v[30:31], v79, off
	s_or_b64 exec, exec, s[4:5]
	v_cmp_gt_u32_e32 vcc, s33, v28
	s_and_saveexec_b64 s[4:5], vcc
	s_cbranch_execnz .LBB1173_373
.LBB1173_292:
	s_or_b64 exec, exec, s[4:5]
	v_cmp_gt_u32_e32 vcc, s33, v26
	s_and_saveexec_b64 s[4:5], vcc
	s_cbranch_execz .LBB1173_378
.LBB1173_293:
	v_cmp_ge_u32_e32 vcc, v26, v2
                                        ; implicit-def: $vgpr28_vgpr29
	s_and_saveexec_b64 s[6:7], vcc
	s_xor_b64 s[6:7], exec, s[6:7]
; %bb.294:
	v_xor_b32_e32 v26, 0xffffd7ff, v0
	v_ashrrev_i32_e32 v27, 31, v26
	v_lshl_add_u64 v[28:29], v[8:9], 0, v[26:27]
                                        ; implicit-def: $vgpr26_vgpr27
; %bb.295:
	s_andn2_saveexec_b64 s[6:7], s[6:7]
; %bb.296:
	v_lshl_add_u64 v[28:29], v[4:5], 0, v[26:27]
; %bb.297:
	s_or_b64 exec, exec, s[6:7]
	v_lshl_add_u64 v[26:27], v[28:29], 1, s[2:3]
	s_waitcnt lgkmcnt(9)
	global_store_short v[26:27], v77, off
	s_or_b64 exec, exec, s[4:5]
	v_cmp_gt_u32_e32 vcc, s33, v24
	s_and_saveexec_b64 s[4:5], vcc
	s_cbranch_execnz .LBB1173_379
.LBB1173_298:
	s_or_b64 exec, exec, s[4:5]
	v_cmp_gt_u32_e32 vcc, s33, v22
	s_and_saveexec_b64 s[4:5], vcc
	s_cbranch_execz .LBB1173_384
.LBB1173_299:
	v_cmp_ge_u32_e32 vcc, v22, v2
                                        ; implicit-def: $vgpr24_vgpr25
	s_and_saveexec_b64 s[6:7], vcc
	s_xor_b64 s[6:7], exec, s[6:7]
; %bb.300:
	v_xor_b32_e32 v22, 0xffffd3ff, v0
	v_ashrrev_i32_e32 v23, 31, v22
	v_lshl_add_u64 v[24:25], v[8:9], 0, v[22:23]
                                        ; implicit-def: $vgpr22_vgpr23
; %bb.301:
	s_andn2_saveexec_b64 s[6:7], s[6:7]
; %bb.302:
	v_lshl_add_u64 v[24:25], v[4:5], 0, v[22:23]
; %bb.303:
	s_or_b64 exec, exec, s[6:7]
	v_lshl_add_u64 v[22:23], v[24:25], 1, s[2:3]
	s_waitcnt lgkmcnt(7)
	global_store_short v[22:23], v75, off
	s_or_b64 exec, exec, s[4:5]
	v_cmp_gt_u32_e32 vcc, s33, v20
	s_and_saveexec_b64 s[4:5], vcc
	s_cbranch_execnz .LBB1173_385
.LBB1173_304:
	s_or_b64 exec, exec, s[4:5]
	v_cmp_gt_u32_e32 vcc, s33, v18
	s_and_saveexec_b64 s[4:5], vcc
	s_cbranch_execz .LBB1173_390
.LBB1173_305:
	v_cmp_ge_u32_e32 vcc, v18, v2
                                        ; implicit-def: $vgpr20_vgpr21
	s_and_saveexec_b64 s[6:7], vcc
	s_xor_b64 s[6:7], exec, s[6:7]
; %bb.306:
	v_xor_b32_e32 v18, 0xffffcfff, v0
	v_ashrrev_i32_e32 v19, 31, v18
	v_lshl_add_u64 v[20:21], v[8:9], 0, v[18:19]
                                        ; implicit-def: $vgpr18_vgpr19
; %bb.307:
	s_andn2_saveexec_b64 s[6:7], s[6:7]
; %bb.308:
	v_lshl_add_u64 v[20:21], v[4:5], 0, v[18:19]
; %bb.309:
	s_or_b64 exec, exec, s[6:7]
	v_lshl_add_u64 v[18:19], v[20:21], 1, s[2:3]
	s_waitcnt lgkmcnt(5)
	global_store_short v[18:19], v73, off
	s_or_b64 exec, exec, s[4:5]
	v_cmp_gt_u32_e32 vcc, s33, v16
	s_and_saveexec_b64 s[4:5], vcc
	s_cbranch_execnz .LBB1173_391
.LBB1173_310:
	s_or_b64 exec, exec, s[4:5]
	v_cmp_gt_u32_e32 vcc, s33, v14
	s_and_saveexec_b64 s[4:5], vcc
	s_cbranch_execz .LBB1173_396
.LBB1173_311:
	v_cmp_ge_u32_e32 vcc, v14, v2
                                        ; implicit-def: $vgpr16_vgpr17
	s_and_saveexec_b64 s[6:7], vcc
	s_xor_b64 s[6:7], exec, s[6:7]
; %bb.312:
	v_xor_b32_e32 v14, 0xffffcbff, v0
	v_ashrrev_i32_e32 v15, 31, v14
	v_lshl_add_u64 v[16:17], v[8:9], 0, v[14:15]
                                        ; implicit-def: $vgpr14_vgpr15
; %bb.313:
	s_andn2_saveexec_b64 s[6:7], s[6:7]
; %bb.314:
	v_lshl_add_u64 v[16:17], v[4:5], 0, v[14:15]
; %bb.315:
	s_or_b64 exec, exec, s[6:7]
	v_lshl_add_u64 v[14:15], v[16:17], 1, s[2:3]
	s_waitcnt lgkmcnt(3)
	global_store_short v[14:15], v71, off
	s_or_b64 exec, exec, s[4:5]
	v_cmp_gt_u32_e32 vcc, s33, v12
	s_and_saveexec_b64 s[4:5], vcc
	s_cbranch_execnz .LBB1173_397
.LBB1173_316:
	s_or_b64 exec, exec, s[4:5]
	v_cmp_gt_u32_e32 vcc, s33, v10
	s_and_saveexec_b64 s[4:5], vcc
	s_cbranch_execnz .LBB1173_402
.LBB1173_317:
	s_or_b64 exec, exec, s[4:5]
	v_cmp_gt_u32_e32 vcc, s33, v6
                                        ; implicit-def: $vgpr66_vgpr67
	s_and_saveexec_b64 s[4:5], vcc
	s_cbranch_execz .LBB1173_412
	s_branch .LBB1173_407
.LBB1173_318:
	s_or_b64 exec, exec, s[4:5]
	v_cmp_gt_u32_e32 vcc, s33, v64
	s_and_saveexec_b64 s[4:5], vcc
	s_cbranch_execz .LBB1173_238
.LBB1173_319:
	v_cmp_ge_u32_e32 vcc, v64, v2
                                        ; implicit-def: $vgpr66_vgpr67
	s_and_saveexec_b64 s[6:7], vcc
	s_xor_b64 s[6:7], exec, s[6:7]
; %bb.320:
	v_xor_b32_e32 v64, 0xfffffdff, v0
	v_ashrrev_i32_e32 v65, 31, v64
	v_lshl_add_u64 v[66:67], v[8:9], 0, v[64:65]
                                        ; implicit-def: $vgpr64_vgpr65
; %bb.321:
	s_andn2_saveexec_b64 s[6:7], s[6:7]
; %bb.322:
	v_lshl_add_u64 v[66:67], v[4:5], 0, v[64:65]
; %bb.323:
	s_or_b64 exec, exec, s[6:7]
	v_lshl_add_u64 v[64:65], v[66:67], 1, s[2:3]
	s_waitcnt lgkmcnt(14)
	global_store_short v[64:65], v96, off
	s_or_b64 exec, exec, s[4:5]
	v_cmp_gt_u32_e32 vcc, s33, v62
	s_and_saveexec_b64 s[4:5], vcc
	s_cbranch_execnz .LBB1173_239
.LBB1173_324:
	s_or_b64 exec, exec, s[4:5]
	v_cmp_gt_u32_e32 vcc, s33, v60
	s_and_saveexec_b64 s[4:5], vcc
	s_cbranch_execz .LBB1173_244
.LBB1173_325:
	v_cmp_ge_u32_e32 vcc, v60, v2
                                        ; implicit-def: $vgpr62_vgpr63
	s_and_saveexec_b64 s[6:7], vcc
	s_xor_b64 s[6:7], exec, s[6:7]
; %bb.326:
	v_xor_b32_e32 v60, 0xfffff9ff, v0
	v_ashrrev_i32_e32 v61, 31, v60
	v_lshl_add_u64 v[62:63], v[8:9], 0, v[60:61]
                                        ; implicit-def: $vgpr60_vgpr61
; %bb.327:
	s_andn2_saveexec_b64 s[6:7], s[6:7]
; %bb.328:
	v_lshl_add_u64 v[62:63], v[4:5], 0, v[60:61]
; %bb.329:
	s_or_b64 exec, exec, s[6:7]
	v_lshl_add_u64 v[60:61], v[62:63], 1, s[2:3]
	s_waitcnt lgkmcnt(14)
	global_store_short v[60:61], v94, off
	s_or_b64 exec, exec, s[4:5]
	v_cmp_gt_u32_e32 vcc, s33, v58
	s_and_saveexec_b64 s[4:5], vcc
	s_cbranch_execnz .LBB1173_245
.LBB1173_330:
	s_or_b64 exec, exec, s[4:5]
	v_cmp_gt_u32_e32 vcc, s33, v56
	s_and_saveexec_b64 s[4:5], vcc
	s_cbranch_execz .LBB1173_250
.LBB1173_331:
	v_cmp_ge_u32_e32 vcc, v56, v2
                                        ; implicit-def: $vgpr58_vgpr59
	s_and_saveexec_b64 s[6:7], vcc
	s_xor_b64 s[6:7], exec, s[6:7]
; %bb.332:
	v_xor_b32_e32 v56, 0xfffff5ff, v0
	v_ashrrev_i32_e32 v57, 31, v56
	v_lshl_add_u64 v[58:59], v[8:9], 0, v[56:57]
                                        ; implicit-def: $vgpr56_vgpr57
; %bb.333:
	s_andn2_saveexec_b64 s[6:7], s[6:7]
; %bb.334:
	v_lshl_add_u64 v[58:59], v[4:5], 0, v[56:57]
; %bb.335:
	s_or_b64 exec, exec, s[6:7]
	v_lshl_add_u64 v[56:57], v[58:59], 1, s[2:3]
	s_waitcnt lgkmcnt(14)
	global_store_short v[56:57], v92, off
	s_or_b64 exec, exec, s[4:5]
	v_cmp_gt_u32_e32 vcc, s33, v54
	s_and_saveexec_b64 s[4:5], vcc
	s_cbranch_execnz .LBB1173_251
.LBB1173_336:
	s_or_b64 exec, exec, s[4:5]
	v_cmp_gt_u32_e32 vcc, s33, v52
	s_and_saveexec_b64 s[4:5], vcc
	s_cbranch_execz .LBB1173_256
.LBB1173_337:
	v_cmp_ge_u32_e32 vcc, v52, v2
                                        ; implicit-def: $vgpr54_vgpr55
	s_and_saveexec_b64 s[6:7], vcc
	s_xor_b64 s[6:7], exec, s[6:7]
; %bb.338:
	v_xor_b32_e32 v52, 0xfffff1ff, v0
	v_ashrrev_i32_e32 v53, 31, v52
	v_lshl_add_u64 v[54:55], v[8:9], 0, v[52:53]
                                        ; implicit-def: $vgpr52_vgpr53
; %bb.339:
	s_andn2_saveexec_b64 s[6:7], s[6:7]
; %bb.340:
	v_lshl_add_u64 v[54:55], v[4:5], 0, v[52:53]
; %bb.341:
	s_or_b64 exec, exec, s[6:7]
	v_lshl_add_u64 v[52:53], v[54:55], 1, s[2:3]
	s_waitcnt lgkmcnt(14)
	global_store_short v[52:53], v90, off
	s_or_b64 exec, exec, s[4:5]
	v_cmp_gt_u32_e32 vcc, s33, v50
	s_and_saveexec_b64 s[4:5], vcc
	s_cbranch_execnz .LBB1173_257
.LBB1173_342:
	s_or_b64 exec, exec, s[4:5]
	v_cmp_gt_u32_e32 vcc, s33, v48
	s_and_saveexec_b64 s[4:5], vcc
	s_cbranch_execz .LBB1173_262
.LBB1173_343:
	v_cmp_ge_u32_e32 vcc, v48, v2
                                        ; implicit-def: $vgpr50_vgpr51
	s_and_saveexec_b64 s[6:7], vcc
	s_xor_b64 s[6:7], exec, s[6:7]
; %bb.344:
	v_xor_b32_e32 v48, 0xffffedff, v0
	v_ashrrev_i32_e32 v49, 31, v48
	v_lshl_add_u64 v[50:51], v[8:9], 0, v[48:49]
                                        ; implicit-def: $vgpr48_vgpr49
; %bb.345:
	s_andn2_saveexec_b64 s[6:7], s[6:7]
; %bb.346:
	v_lshl_add_u64 v[50:51], v[4:5], 0, v[48:49]
; %bb.347:
	s_or_b64 exec, exec, s[6:7]
	v_lshl_add_u64 v[48:49], v[50:51], 1, s[2:3]
	s_waitcnt lgkmcnt(14)
	global_store_short v[48:49], v88, off
	s_or_b64 exec, exec, s[4:5]
	v_cmp_gt_u32_e32 vcc, s33, v46
	s_and_saveexec_b64 s[4:5], vcc
	s_cbranch_execnz .LBB1173_263
.LBB1173_348:
	s_or_b64 exec, exec, s[4:5]
	v_cmp_gt_u32_e32 vcc, s33, v44
	s_and_saveexec_b64 s[4:5], vcc
	s_cbranch_execz .LBB1173_268
.LBB1173_349:
	v_cmp_ge_u32_e32 vcc, v44, v2
                                        ; implicit-def: $vgpr46_vgpr47
	s_and_saveexec_b64 s[6:7], vcc
	s_xor_b64 s[6:7], exec, s[6:7]
; %bb.350:
	v_xor_b32_e32 v44, 0xffffe9ff, v0
	v_ashrrev_i32_e32 v45, 31, v44
	v_lshl_add_u64 v[46:47], v[8:9], 0, v[44:45]
                                        ; implicit-def: $vgpr44_vgpr45
; %bb.351:
	s_andn2_saveexec_b64 s[6:7], s[6:7]
; %bb.352:
	v_lshl_add_u64 v[46:47], v[4:5], 0, v[44:45]
; %bb.353:
	s_or_b64 exec, exec, s[6:7]
	v_lshl_add_u64 v[44:45], v[46:47], 1, s[2:3]
	s_waitcnt lgkmcnt(14)
	global_store_short v[44:45], v86, off
	s_or_b64 exec, exec, s[4:5]
	v_cmp_gt_u32_e32 vcc, s33, v42
	s_and_saveexec_b64 s[4:5], vcc
	s_cbranch_execnz .LBB1173_269
.LBB1173_354:
	s_or_b64 exec, exec, s[4:5]
	v_cmp_gt_u32_e32 vcc, s33, v40
	s_and_saveexec_b64 s[4:5], vcc
	s_cbranch_execz .LBB1173_274
.LBB1173_355:
	v_cmp_ge_u32_e32 vcc, v40, v2
                                        ; implicit-def: $vgpr42_vgpr43
	s_and_saveexec_b64 s[6:7], vcc
	s_xor_b64 s[6:7], exec, s[6:7]
; %bb.356:
	v_xor_b32_e32 v40, 0xffffe5ff, v0
	v_ashrrev_i32_e32 v41, 31, v40
	v_lshl_add_u64 v[42:43], v[8:9], 0, v[40:41]
                                        ; implicit-def: $vgpr40_vgpr41
; %bb.357:
	s_andn2_saveexec_b64 s[6:7], s[6:7]
; %bb.358:
	v_lshl_add_u64 v[42:43], v[4:5], 0, v[40:41]
; %bb.359:
	s_or_b64 exec, exec, s[6:7]
	v_lshl_add_u64 v[40:41], v[42:43], 1, s[2:3]
	s_waitcnt lgkmcnt(14)
	global_store_short v[40:41], v84, off
	s_or_b64 exec, exec, s[4:5]
	v_cmp_gt_u32_e32 vcc, s33, v38
	s_and_saveexec_b64 s[4:5], vcc
	s_cbranch_execnz .LBB1173_275
.LBB1173_360:
	s_or_b64 exec, exec, s[4:5]
	v_cmp_gt_u32_e32 vcc, s33, v36
	s_and_saveexec_b64 s[4:5], vcc
	s_cbranch_execz .LBB1173_280
.LBB1173_361:
	v_cmp_ge_u32_e32 vcc, v36, v2
                                        ; implicit-def: $vgpr38_vgpr39
	s_and_saveexec_b64 s[6:7], vcc
	s_xor_b64 s[6:7], exec, s[6:7]
; %bb.362:
	v_xor_b32_e32 v36, 0xffffe1ff, v0
	v_ashrrev_i32_e32 v37, 31, v36
	v_lshl_add_u64 v[38:39], v[8:9], 0, v[36:37]
                                        ; implicit-def: $vgpr36_vgpr37
; %bb.363:
	s_andn2_saveexec_b64 s[6:7], s[6:7]
; %bb.364:
	v_lshl_add_u64 v[38:39], v[4:5], 0, v[36:37]
; %bb.365:
	s_or_b64 exec, exec, s[6:7]
	v_lshl_add_u64 v[36:37], v[38:39], 1, s[2:3]
	s_waitcnt lgkmcnt(14)
	global_store_short v[36:37], v82, off
	s_or_b64 exec, exec, s[4:5]
	v_cmp_gt_u32_e32 vcc, s33, v34
	s_and_saveexec_b64 s[4:5], vcc
	s_cbranch_execnz .LBB1173_281
.LBB1173_366:
	s_or_b64 exec, exec, s[4:5]
	v_cmp_gt_u32_e32 vcc, s33, v32
	s_and_saveexec_b64 s[4:5], vcc
	s_cbranch_execz .LBB1173_286
.LBB1173_367:
	v_cmp_ge_u32_e32 vcc, v32, v2
                                        ; implicit-def: $vgpr34_vgpr35
	s_and_saveexec_b64 s[6:7], vcc
	s_xor_b64 s[6:7], exec, s[6:7]
; %bb.368:
	v_xor_b32_e32 v32, 0xffffddff, v0
	v_ashrrev_i32_e32 v33, 31, v32
	v_lshl_add_u64 v[34:35], v[8:9], 0, v[32:33]
                                        ; implicit-def: $vgpr32_vgpr33
; %bb.369:
	s_andn2_saveexec_b64 s[6:7], s[6:7]
; %bb.370:
	v_lshl_add_u64 v[34:35], v[4:5], 0, v[32:33]
; %bb.371:
	s_or_b64 exec, exec, s[6:7]
	v_lshl_add_u64 v[32:33], v[34:35], 1, s[2:3]
	s_waitcnt lgkmcnt(12)
	global_store_short v[32:33], v80, off
	s_or_b64 exec, exec, s[4:5]
	v_cmp_gt_u32_e32 vcc, s33, v30
	s_and_saveexec_b64 s[4:5], vcc
	s_cbranch_execnz .LBB1173_287
.LBB1173_372:
	s_or_b64 exec, exec, s[4:5]
	v_cmp_gt_u32_e32 vcc, s33, v28
	s_and_saveexec_b64 s[4:5], vcc
	s_cbranch_execz .LBB1173_292
.LBB1173_373:
	v_cmp_ge_u32_e32 vcc, v28, v2
                                        ; implicit-def: $vgpr30_vgpr31
	s_and_saveexec_b64 s[6:7], vcc
	s_xor_b64 s[6:7], exec, s[6:7]
; %bb.374:
	v_xor_b32_e32 v28, 0xffffd9ff, v0
	v_ashrrev_i32_e32 v29, 31, v28
	v_lshl_add_u64 v[30:31], v[8:9], 0, v[28:29]
                                        ; implicit-def: $vgpr28_vgpr29
; %bb.375:
	s_andn2_saveexec_b64 s[6:7], s[6:7]
; %bb.376:
	v_lshl_add_u64 v[30:31], v[4:5], 0, v[28:29]
; %bb.377:
	s_or_b64 exec, exec, s[6:7]
	v_lshl_add_u64 v[28:29], v[30:31], 1, s[2:3]
	s_waitcnt lgkmcnt(10)
	global_store_short v[28:29], v78, off
	s_or_b64 exec, exec, s[4:5]
	v_cmp_gt_u32_e32 vcc, s33, v26
	s_and_saveexec_b64 s[4:5], vcc
	s_cbranch_execnz .LBB1173_293
.LBB1173_378:
	s_or_b64 exec, exec, s[4:5]
	v_cmp_gt_u32_e32 vcc, s33, v24
	s_and_saveexec_b64 s[4:5], vcc
	s_cbranch_execz .LBB1173_298
.LBB1173_379:
	v_cmp_ge_u32_e32 vcc, v24, v2
                                        ; implicit-def: $vgpr26_vgpr27
	s_and_saveexec_b64 s[6:7], vcc
	s_xor_b64 s[6:7], exec, s[6:7]
; %bb.380:
	v_xor_b32_e32 v24, 0xffffd5ff, v0
	v_ashrrev_i32_e32 v25, 31, v24
	v_lshl_add_u64 v[26:27], v[8:9], 0, v[24:25]
                                        ; implicit-def: $vgpr24_vgpr25
; %bb.381:
	s_andn2_saveexec_b64 s[6:7], s[6:7]
; %bb.382:
	v_lshl_add_u64 v[26:27], v[4:5], 0, v[24:25]
; %bb.383:
	s_or_b64 exec, exec, s[6:7]
	v_lshl_add_u64 v[24:25], v[26:27], 1, s[2:3]
	s_waitcnt lgkmcnt(8)
	global_store_short v[24:25], v76, off
	s_or_b64 exec, exec, s[4:5]
	v_cmp_gt_u32_e32 vcc, s33, v22
	s_and_saveexec_b64 s[4:5], vcc
	s_cbranch_execnz .LBB1173_299
.LBB1173_384:
	s_or_b64 exec, exec, s[4:5]
	v_cmp_gt_u32_e32 vcc, s33, v20
	s_and_saveexec_b64 s[4:5], vcc
	s_cbranch_execz .LBB1173_304
.LBB1173_385:
	v_cmp_ge_u32_e32 vcc, v20, v2
                                        ; implicit-def: $vgpr22_vgpr23
	s_and_saveexec_b64 s[6:7], vcc
	s_xor_b64 s[6:7], exec, s[6:7]
; %bb.386:
	v_xor_b32_e32 v20, 0xffffd1ff, v0
	v_ashrrev_i32_e32 v21, 31, v20
	v_lshl_add_u64 v[22:23], v[8:9], 0, v[20:21]
                                        ; implicit-def: $vgpr20_vgpr21
; %bb.387:
	s_andn2_saveexec_b64 s[6:7], s[6:7]
; %bb.388:
	v_lshl_add_u64 v[22:23], v[4:5], 0, v[20:21]
; %bb.389:
	s_or_b64 exec, exec, s[6:7]
	v_lshl_add_u64 v[20:21], v[22:23], 1, s[2:3]
	s_waitcnt lgkmcnt(6)
	global_store_short v[20:21], v74, off
	s_or_b64 exec, exec, s[4:5]
	v_cmp_gt_u32_e32 vcc, s33, v18
	s_and_saveexec_b64 s[4:5], vcc
	s_cbranch_execnz .LBB1173_305
.LBB1173_390:
	s_or_b64 exec, exec, s[4:5]
	v_cmp_gt_u32_e32 vcc, s33, v16
	s_and_saveexec_b64 s[4:5], vcc
	s_cbranch_execz .LBB1173_310
.LBB1173_391:
	v_cmp_ge_u32_e32 vcc, v16, v2
                                        ; implicit-def: $vgpr18_vgpr19
	s_and_saveexec_b64 s[6:7], vcc
	s_xor_b64 s[6:7], exec, s[6:7]
; %bb.392:
	v_xor_b32_e32 v16, 0xffffcdff, v0
	v_ashrrev_i32_e32 v17, 31, v16
	v_lshl_add_u64 v[18:19], v[8:9], 0, v[16:17]
                                        ; implicit-def: $vgpr16_vgpr17
; %bb.393:
	s_andn2_saveexec_b64 s[6:7], s[6:7]
; %bb.394:
	v_lshl_add_u64 v[18:19], v[4:5], 0, v[16:17]
; %bb.395:
	s_or_b64 exec, exec, s[6:7]
	v_lshl_add_u64 v[16:17], v[18:19], 1, s[2:3]
	s_waitcnt lgkmcnt(4)
	global_store_short v[16:17], v72, off
	s_or_b64 exec, exec, s[4:5]
	v_cmp_gt_u32_e32 vcc, s33, v14
	s_and_saveexec_b64 s[4:5], vcc
	s_cbranch_execnz .LBB1173_311
.LBB1173_396:
	s_or_b64 exec, exec, s[4:5]
	v_cmp_gt_u32_e32 vcc, s33, v12
	s_and_saveexec_b64 s[4:5], vcc
	s_cbranch_execz .LBB1173_316
.LBB1173_397:
	v_cmp_ge_u32_e32 vcc, v12, v2
                                        ; implicit-def: $vgpr14_vgpr15
	s_and_saveexec_b64 s[6:7], vcc
	s_xor_b64 s[6:7], exec, s[6:7]
; %bb.398:
	v_xor_b32_e32 v12, 0xffffc9ff, v0
	v_ashrrev_i32_e32 v13, 31, v12
	v_lshl_add_u64 v[14:15], v[8:9], 0, v[12:13]
                                        ; implicit-def: $vgpr12_vgpr13
; %bb.399:
	s_andn2_saveexec_b64 s[6:7], s[6:7]
; %bb.400:
	v_lshl_add_u64 v[14:15], v[4:5], 0, v[12:13]
; %bb.401:
	s_or_b64 exec, exec, s[6:7]
	v_lshl_add_u64 v[12:13], v[14:15], 1, s[2:3]
	s_waitcnt lgkmcnt(2)
	global_store_short v[12:13], v70, off
	s_or_b64 exec, exec, s[4:5]
	v_cmp_gt_u32_e32 vcc, s33, v10
	s_and_saveexec_b64 s[4:5], vcc
	s_cbranch_execz .LBB1173_317
.LBB1173_402:
	v_cmp_ge_u32_e32 vcc, v10, v2
                                        ; implicit-def: $vgpr12_vgpr13
	s_and_saveexec_b64 s[6:7], vcc
	s_xor_b64 s[6:7], exec, s[6:7]
; %bb.403:
	v_xor_b32_e32 v10, 0xffffc7ff, v0
	v_ashrrev_i32_e32 v11, 31, v10
	v_lshl_add_u64 v[12:13], v[8:9], 0, v[10:11]
                                        ; implicit-def: $vgpr10_vgpr11
; %bb.404:
	s_andn2_saveexec_b64 s[6:7], s[6:7]
; %bb.405:
	v_lshl_add_u64 v[12:13], v[4:5], 0, v[10:11]
; %bb.406:
	s_or_b64 exec, exec, s[6:7]
	v_lshl_add_u64 v[10:11], v[12:13], 1, s[2:3]
	s_waitcnt lgkmcnt(1)
	global_store_short v[10:11], v69, off
	s_or_b64 exec, exec, s[4:5]
	v_cmp_gt_u32_e32 vcc, s33, v6
                                        ; implicit-def: $vgpr66_vgpr67
	s_and_saveexec_b64 s[4:5], vcc
	s_cbranch_execz .LBB1173_412
.LBB1173_407:
	v_cmp_ge_u32_e32 vcc, v6, v2
                                        ; implicit-def: $vgpr66_vgpr67
	s_and_saveexec_b64 s[6:7], vcc
	s_xor_b64 s[6:7], exec, s[6:7]
; %bb.408:
	v_xor_b32_e32 v6, 0xffffc5ff, v0
	v_ashrrev_i32_e32 v7, 31, v6
	v_lshl_add_u64 v[66:67], v[8:9], 0, v[6:7]
                                        ; implicit-def: $vgpr6_vgpr7
; %bb.409:
	s_andn2_saveexec_b64 s[6:7], s[6:7]
; %bb.410:
	v_lshl_add_u64 v[66:67], v[4:5], 0, v[6:7]
; %bb.411:
	s_or_b64 exec, exec, s[6:7]
	s_or_b64 s[0:1], s[0:1], exec
.LBB1173_412:
	s_or_b64 exec, exec, s[4:5]
.LBB1173_413:
	s_and_saveexec_b64 s[4:5], s[0:1]
	s_cbranch_execz .LBB1173_415
; %bb.414:
	v_lshl_add_u64 v[6:7], v[66:67], 1, s[2:3]
	s_waitcnt lgkmcnt(0)
	global_store_short v[6:7], v68, off
.LBB1173_415:
	s_or_b64 exec, exec, s[4:5]
	v_cmp_eq_u32_e32 vcc, 0, v0
	s_and_b64 s[0:1], vcc, s[26:27]
	s_and_saveexec_b64 s[2:3], s[0:1]
	s_cbranch_execz .LBB1173_417
; %bb.416:
	v_mov_b32_e32 v6, 0
	v_lshl_add_u64 v[0:1], v[4:5], 0, v[2:3]
	global_store_dwordx2 v6, v[0:1], s[24:25]
.LBB1173_417:
	s_endpgm
	.section	.rodata,"a",@progbits
	.p2align	6, 0x0
	.amdhsa_kernel _ZN7rocprim17ROCPRIM_400000_NS6detail17trampoline_kernelINS0_14default_configENS1_25partition_config_selectorILNS1_17partition_subalgoE3EtNS0_10empty_typeEbEEZZNS1_14partition_implILS5_3ELb0ES3_jN6thrust23THRUST_200600_302600_NS6detail15normal_iteratorINSA_7pointerItNSA_11hip_rocprim3tagENSA_11use_defaultESG_EEEEPS6_SJ_NS0_5tupleIJPtSJ_EEENSK_IJSJ_SJ_EEES6_PlJ7is_evenItEEEE10hipError_tPvRmT3_T4_T5_T6_T7_T9_mT8_P12ihipStream_tbDpT10_ENKUlT_T0_E_clISt17integral_constantIbLb1EES19_IbLb0EEEEDaS15_S16_EUlS15_E_NS1_11comp_targetILNS1_3genE5ELNS1_11target_archE942ELNS1_3gpuE9ELNS1_3repE0EEENS1_30default_config_static_selectorELNS0_4arch9wavefront6targetE1EEEvT1_
		.amdhsa_group_segment_fixed_size 30728
		.amdhsa_private_segment_fixed_size 0
		.amdhsa_kernarg_size 120
		.amdhsa_user_sgpr_count 2
		.amdhsa_user_sgpr_dispatch_ptr 0
		.amdhsa_user_sgpr_queue_ptr 0
		.amdhsa_user_sgpr_kernarg_segment_ptr 1
		.amdhsa_user_sgpr_dispatch_id 0
		.amdhsa_user_sgpr_kernarg_preload_length 0
		.amdhsa_user_sgpr_kernarg_preload_offset 0
		.amdhsa_user_sgpr_private_segment_size 0
		.amdhsa_uses_dynamic_stack 0
		.amdhsa_enable_private_segment 0
		.amdhsa_system_sgpr_workgroup_id_x 1
		.amdhsa_system_sgpr_workgroup_id_y 0
		.amdhsa_system_sgpr_workgroup_id_z 0
		.amdhsa_system_sgpr_workgroup_info 0
		.amdhsa_system_vgpr_workitem_id 0
		.amdhsa_next_free_vgpr 120
		.amdhsa_next_free_sgpr 46
		.amdhsa_accum_offset 120
		.amdhsa_reserve_vcc 1
		.amdhsa_float_round_mode_32 0
		.amdhsa_float_round_mode_16_64 0
		.amdhsa_float_denorm_mode_32 3
		.amdhsa_float_denorm_mode_16_64 3
		.amdhsa_dx10_clamp 1
		.amdhsa_ieee_mode 1
		.amdhsa_fp16_overflow 0
		.amdhsa_tg_split 0
		.amdhsa_exception_fp_ieee_invalid_op 0
		.amdhsa_exception_fp_denorm_src 0
		.amdhsa_exception_fp_ieee_div_zero 0
		.amdhsa_exception_fp_ieee_overflow 0
		.amdhsa_exception_fp_ieee_underflow 0
		.amdhsa_exception_fp_ieee_inexact 0
		.amdhsa_exception_int_div_zero 0
	.end_amdhsa_kernel
	.section	.text._ZN7rocprim17ROCPRIM_400000_NS6detail17trampoline_kernelINS0_14default_configENS1_25partition_config_selectorILNS1_17partition_subalgoE3EtNS0_10empty_typeEbEEZZNS1_14partition_implILS5_3ELb0ES3_jN6thrust23THRUST_200600_302600_NS6detail15normal_iteratorINSA_7pointerItNSA_11hip_rocprim3tagENSA_11use_defaultESG_EEEEPS6_SJ_NS0_5tupleIJPtSJ_EEENSK_IJSJ_SJ_EEES6_PlJ7is_evenItEEEE10hipError_tPvRmT3_T4_T5_T6_T7_T9_mT8_P12ihipStream_tbDpT10_ENKUlT_T0_E_clISt17integral_constantIbLb1EES19_IbLb0EEEEDaS15_S16_EUlS15_E_NS1_11comp_targetILNS1_3genE5ELNS1_11target_archE942ELNS1_3gpuE9ELNS1_3repE0EEENS1_30default_config_static_selectorELNS0_4arch9wavefront6targetE1EEEvT1_,"axG",@progbits,_ZN7rocprim17ROCPRIM_400000_NS6detail17trampoline_kernelINS0_14default_configENS1_25partition_config_selectorILNS1_17partition_subalgoE3EtNS0_10empty_typeEbEEZZNS1_14partition_implILS5_3ELb0ES3_jN6thrust23THRUST_200600_302600_NS6detail15normal_iteratorINSA_7pointerItNSA_11hip_rocprim3tagENSA_11use_defaultESG_EEEEPS6_SJ_NS0_5tupleIJPtSJ_EEENSK_IJSJ_SJ_EEES6_PlJ7is_evenItEEEE10hipError_tPvRmT3_T4_T5_T6_T7_T9_mT8_P12ihipStream_tbDpT10_ENKUlT_T0_E_clISt17integral_constantIbLb1EES19_IbLb0EEEEDaS15_S16_EUlS15_E_NS1_11comp_targetILNS1_3genE5ELNS1_11target_archE942ELNS1_3gpuE9ELNS1_3repE0EEENS1_30default_config_static_selectorELNS0_4arch9wavefront6targetE1EEEvT1_,comdat
.Lfunc_end1173:
	.size	_ZN7rocprim17ROCPRIM_400000_NS6detail17trampoline_kernelINS0_14default_configENS1_25partition_config_selectorILNS1_17partition_subalgoE3EtNS0_10empty_typeEbEEZZNS1_14partition_implILS5_3ELb0ES3_jN6thrust23THRUST_200600_302600_NS6detail15normal_iteratorINSA_7pointerItNSA_11hip_rocprim3tagENSA_11use_defaultESG_EEEEPS6_SJ_NS0_5tupleIJPtSJ_EEENSK_IJSJ_SJ_EEES6_PlJ7is_evenItEEEE10hipError_tPvRmT3_T4_T5_T6_T7_T9_mT8_P12ihipStream_tbDpT10_ENKUlT_T0_E_clISt17integral_constantIbLb1EES19_IbLb0EEEEDaS15_S16_EUlS15_E_NS1_11comp_targetILNS1_3genE5ELNS1_11target_archE942ELNS1_3gpuE9ELNS1_3repE0EEENS1_30default_config_static_selectorELNS0_4arch9wavefront6targetE1EEEvT1_, .Lfunc_end1173-_ZN7rocprim17ROCPRIM_400000_NS6detail17trampoline_kernelINS0_14default_configENS1_25partition_config_selectorILNS1_17partition_subalgoE3EtNS0_10empty_typeEbEEZZNS1_14partition_implILS5_3ELb0ES3_jN6thrust23THRUST_200600_302600_NS6detail15normal_iteratorINSA_7pointerItNSA_11hip_rocprim3tagENSA_11use_defaultESG_EEEEPS6_SJ_NS0_5tupleIJPtSJ_EEENSK_IJSJ_SJ_EEES6_PlJ7is_evenItEEEE10hipError_tPvRmT3_T4_T5_T6_T7_T9_mT8_P12ihipStream_tbDpT10_ENKUlT_T0_E_clISt17integral_constantIbLb1EES19_IbLb0EEEEDaS15_S16_EUlS15_E_NS1_11comp_targetILNS1_3genE5ELNS1_11target_archE942ELNS1_3gpuE9ELNS1_3repE0EEENS1_30default_config_static_selectorELNS0_4arch9wavefront6targetE1EEEvT1_
                                        ; -- End function
	.section	.AMDGPU.csdata,"",@progbits
; Kernel info:
; codeLenInByte = 12840
; NumSgprs: 52
; NumVgprs: 120
; NumAgprs: 0
; TotalNumVgprs: 120
; ScratchSize: 0
; MemoryBound: 0
; FloatMode: 240
; IeeeMode: 1
; LDSByteSize: 30728 bytes/workgroup (compile time only)
; SGPRBlocks: 6
; VGPRBlocks: 14
; NumSGPRsForWavesPerEU: 52
; NumVGPRsForWavesPerEU: 120
; AccumOffset: 120
; Occupancy: 4
; WaveLimiterHint : 1
; COMPUTE_PGM_RSRC2:SCRATCH_EN: 0
; COMPUTE_PGM_RSRC2:USER_SGPR: 2
; COMPUTE_PGM_RSRC2:TRAP_HANDLER: 0
; COMPUTE_PGM_RSRC2:TGID_X_EN: 1
; COMPUTE_PGM_RSRC2:TGID_Y_EN: 0
; COMPUTE_PGM_RSRC2:TGID_Z_EN: 0
; COMPUTE_PGM_RSRC2:TIDIG_COMP_CNT: 0
; COMPUTE_PGM_RSRC3_GFX90A:ACCUM_OFFSET: 29
; COMPUTE_PGM_RSRC3_GFX90A:TG_SPLIT: 0
	.section	.text._ZN7rocprim17ROCPRIM_400000_NS6detail17trampoline_kernelINS0_14default_configENS1_25partition_config_selectorILNS1_17partition_subalgoE3EtNS0_10empty_typeEbEEZZNS1_14partition_implILS5_3ELb0ES3_jN6thrust23THRUST_200600_302600_NS6detail15normal_iteratorINSA_7pointerItNSA_11hip_rocprim3tagENSA_11use_defaultESG_EEEEPS6_SJ_NS0_5tupleIJPtSJ_EEENSK_IJSJ_SJ_EEES6_PlJ7is_evenItEEEE10hipError_tPvRmT3_T4_T5_T6_T7_T9_mT8_P12ihipStream_tbDpT10_ENKUlT_T0_E_clISt17integral_constantIbLb1EES19_IbLb0EEEEDaS15_S16_EUlS15_E_NS1_11comp_targetILNS1_3genE4ELNS1_11target_archE910ELNS1_3gpuE8ELNS1_3repE0EEENS1_30default_config_static_selectorELNS0_4arch9wavefront6targetE1EEEvT1_,"axG",@progbits,_ZN7rocprim17ROCPRIM_400000_NS6detail17trampoline_kernelINS0_14default_configENS1_25partition_config_selectorILNS1_17partition_subalgoE3EtNS0_10empty_typeEbEEZZNS1_14partition_implILS5_3ELb0ES3_jN6thrust23THRUST_200600_302600_NS6detail15normal_iteratorINSA_7pointerItNSA_11hip_rocprim3tagENSA_11use_defaultESG_EEEEPS6_SJ_NS0_5tupleIJPtSJ_EEENSK_IJSJ_SJ_EEES6_PlJ7is_evenItEEEE10hipError_tPvRmT3_T4_T5_T6_T7_T9_mT8_P12ihipStream_tbDpT10_ENKUlT_T0_E_clISt17integral_constantIbLb1EES19_IbLb0EEEEDaS15_S16_EUlS15_E_NS1_11comp_targetILNS1_3genE4ELNS1_11target_archE910ELNS1_3gpuE8ELNS1_3repE0EEENS1_30default_config_static_selectorELNS0_4arch9wavefront6targetE1EEEvT1_,comdat
	.protected	_ZN7rocprim17ROCPRIM_400000_NS6detail17trampoline_kernelINS0_14default_configENS1_25partition_config_selectorILNS1_17partition_subalgoE3EtNS0_10empty_typeEbEEZZNS1_14partition_implILS5_3ELb0ES3_jN6thrust23THRUST_200600_302600_NS6detail15normal_iteratorINSA_7pointerItNSA_11hip_rocprim3tagENSA_11use_defaultESG_EEEEPS6_SJ_NS0_5tupleIJPtSJ_EEENSK_IJSJ_SJ_EEES6_PlJ7is_evenItEEEE10hipError_tPvRmT3_T4_T5_T6_T7_T9_mT8_P12ihipStream_tbDpT10_ENKUlT_T0_E_clISt17integral_constantIbLb1EES19_IbLb0EEEEDaS15_S16_EUlS15_E_NS1_11comp_targetILNS1_3genE4ELNS1_11target_archE910ELNS1_3gpuE8ELNS1_3repE0EEENS1_30default_config_static_selectorELNS0_4arch9wavefront6targetE1EEEvT1_ ; -- Begin function _ZN7rocprim17ROCPRIM_400000_NS6detail17trampoline_kernelINS0_14default_configENS1_25partition_config_selectorILNS1_17partition_subalgoE3EtNS0_10empty_typeEbEEZZNS1_14partition_implILS5_3ELb0ES3_jN6thrust23THRUST_200600_302600_NS6detail15normal_iteratorINSA_7pointerItNSA_11hip_rocprim3tagENSA_11use_defaultESG_EEEEPS6_SJ_NS0_5tupleIJPtSJ_EEENSK_IJSJ_SJ_EEES6_PlJ7is_evenItEEEE10hipError_tPvRmT3_T4_T5_T6_T7_T9_mT8_P12ihipStream_tbDpT10_ENKUlT_T0_E_clISt17integral_constantIbLb1EES19_IbLb0EEEEDaS15_S16_EUlS15_E_NS1_11comp_targetILNS1_3genE4ELNS1_11target_archE910ELNS1_3gpuE8ELNS1_3repE0EEENS1_30default_config_static_selectorELNS0_4arch9wavefront6targetE1EEEvT1_
	.globl	_ZN7rocprim17ROCPRIM_400000_NS6detail17trampoline_kernelINS0_14default_configENS1_25partition_config_selectorILNS1_17partition_subalgoE3EtNS0_10empty_typeEbEEZZNS1_14partition_implILS5_3ELb0ES3_jN6thrust23THRUST_200600_302600_NS6detail15normal_iteratorINSA_7pointerItNSA_11hip_rocprim3tagENSA_11use_defaultESG_EEEEPS6_SJ_NS0_5tupleIJPtSJ_EEENSK_IJSJ_SJ_EEES6_PlJ7is_evenItEEEE10hipError_tPvRmT3_T4_T5_T6_T7_T9_mT8_P12ihipStream_tbDpT10_ENKUlT_T0_E_clISt17integral_constantIbLb1EES19_IbLb0EEEEDaS15_S16_EUlS15_E_NS1_11comp_targetILNS1_3genE4ELNS1_11target_archE910ELNS1_3gpuE8ELNS1_3repE0EEENS1_30default_config_static_selectorELNS0_4arch9wavefront6targetE1EEEvT1_
	.p2align	8
	.type	_ZN7rocprim17ROCPRIM_400000_NS6detail17trampoline_kernelINS0_14default_configENS1_25partition_config_selectorILNS1_17partition_subalgoE3EtNS0_10empty_typeEbEEZZNS1_14partition_implILS5_3ELb0ES3_jN6thrust23THRUST_200600_302600_NS6detail15normal_iteratorINSA_7pointerItNSA_11hip_rocprim3tagENSA_11use_defaultESG_EEEEPS6_SJ_NS0_5tupleIJPtSJ_EEENSK_IJSJ_SJ_EEES6_PlJ7is_evenItEEEE10hipError_tPvRmT3_T4_T5_T6_T7_T9_mT8_P12ihipStream_tbDpT10_ENKUlT_T0_E_clISt17integral_constantIbLb1EES19_IbLb0EEEEDaS15_S16_EUlS15_E_NS1_11comp_targetILNS1_3genE4ELNS1_11target_archE910ELNS1_3gpuE8ELNS1_3repE0EEENS1_30default_config_static_selectorELNS0_4arch9wavefront6targetE1EEEvT1_,@function
_ZN7rocprim17ROCPRIM_400000_NS6detail17trampoline_kernelINS0_14default_configENS1_25partition_config_selectorILNS1_17partition_subalgoE3EtNS0_10empty_typeEbEEZZNS1_14partition_implILS5_3ELb0ES3_jN6thrust23THRUST_200600_302600_NS6detail15normal_iteratorINSA_7pointerItNSA_11hip_rocprim3tagENSA_11use_defaultESG_EEEEPS6_SJ_NS0_5tupleIJPtSJ_EEENSK_IJSJ_SJ_EEES6_PlJ7is_evenItEEEE10hipError_tPvRmT3_T4_T5_T6_T7_T9_mT8_P12ihipStream_tbDpT10_ENKUlT_T0_E_clISt17integral_constantIbLb1EES19_IbLb0EEEEDaS15_S16_EUlS15_E_NS1_11comp_targetILNS1_3genE4ELNS1_11target_archE910ELNS1_3gpuE8ELNS1_3repE0EEENS1_30default_config_static_selectorELNS0_4arch9wavefront6targetE1EEEvT1_: ; @_ZN7rocprim17ROCPRIM_400000_NS6detail17trampoline_kernelINS0_14default_configENS1_25partition_config_selectorILNS1_17partition_subalgoE3EtNS0_10empty_typeEbEEZZNS1_14partition_implILS5_3ELb0ES3_jN6thrust23THRUST_200600_302600_NS6detail15normal_iteratorINSA_7pointerItNSA_11hip_rocprim3tagENSA_11use_defaultESG_EEEEPS6_SJ_NS0_5tupleIJPtSJ_EEENSK_IJSJ_SJ_EEES6_PlJ7is_evenItEEEE10hipError_tPvRmT3_T4_T5_T6_T7_T9_mT8_P12ihipStream_tbDpT10_ENKUlT_T0_E_clISt17integral_constantIbLb1EES19_IbLb0EEEEDaS15_S16_EUlS15_E_NS1_11comp_targetILNS1_3genE4ELNS1_11target_archE910ELNS1_3gpuE8ELNS1_3repE0EEENS1_30default_config_static_selectorELNS0_4arch9wavefront6targetE1EEEvT1_
; %bb.0:
	.section	.rodata,"a",@progbits
	.p2align	6, 0x0
	.amdhsa_kernel _ZN7rocprim17ROCPRIM_400000_NS6detail17trampoline_kernelINS0_14default_configENS1_25partition_config_selectorILNS1_17partition_subalgoE3EtNS0_10empty_typeEbEEZZNS1_14partition_implILS5_3ELb0ES3_jN6thrust23THRUST_200600_302600_NS6detail15normal_iteratorINSA_7pointerItNSA_11hip_rocprim3tagENSA_11use_defaultESG_EEEEPS6_SJ_NS0_5tupleIJPtSJ_EEENSK_IJSJ_SJ_EEES6_PlJ7is_evenItEEEE10hipError_tPvRmT3_T4_T5_T6_T7_T9_mT8_P12ihipStream_tbDpT10_ENKUlT_T0_E_clISt17integral_constantIbLb1EES19_IbLb0EEEEDaS15_S16_EUlS15_E_NS1_11comp_targetILNS1_3genE4ELNS1_11target_archE910ELNS1_3gpuE8ELNS1_3repE0EEENS1_30default_config_static_selectorELNS0_4arch9wavefront6targetE1EEEvT1_
		.amdhsa_group_segment_fixed_size 0
		.amdhsa_private_segment_fixed_size 0
		.amdhsa_kernarg_size 120
		.amdhsa_user_sgpr_count 2
		.amdhsa_user_sgpr_dispatch_ptr 0
		.amdhsa_user_sgpr_queue_ptr 0
		.amdhsa_user_sgpr_kernarg_segment_ptr 1
		.amdhsa_user_sgpr_dispatch_id 0
		.amdhsa_user_sgpr_kernarg_preload_length 0
		.amdhsa_user_sgpr_kernarg_preload_offset 0
		.amdhsa_user_sgpr_private_segment_size 0
		.amdhsa_uses_dynamic_stack 0
		.amdhsa_enable_private_segment 0
		.amdhsa_system_sgpr_workgroup_id_x 1
		.amdhsa_system_sgpr_workgroup_id_y 0
		.amdhsa_system_sgpr_workgroup_id_z 0
		.amdhsa_system_sgpr_workgroup_info 0
		.amdhsa_system_vgpr_workitem_id 0
		.amdhsa_next_free_vgpr 1
		.amdhsa_next_free_sgpr 0
		.amdhsa_accum_offset 4
		.amdhsa_reserve_vcc 0
		.amdhsa_float_round_mode_32 0
		.amdhsa_float_round_mode_16_64 0
		.amdhsa_float_denorm_mode_32 3
		.amdhsa_float_denorm_mode_16_64 3
		.amdhsa_dx10_clamp 1
		.amdhsa_ieee_mode 1
		.amdhsa_fp16_overflow 0
		.amdhsa_tg_split 0
		.amdhsa_exception_fp_ieee_invalid_op 0
		.amdhsa_exception_fp_denorm_src 0
		.amdhsa_exception_fp_ieee_div_zero 0
		.amdhsa_exception_fp_ieee_overflow 0
		.amdhsa_exception_fp_ieee_underflow 0
		.amdhsa_exception_fp_ieee_inexact 0
		.amdhsa_exception_int_div_zero 0
	.end_amdhsa_kernel
	.section	.text._ZN7rocprim17ROCPRIM_400000_NS6detail17trampoline_kernelINS0_14default_configENS1_25partition_config_selectorILNS1_17partition_subalgoE3EtNS0_10empty_typeEbEEZZNS1_14partition_implILS5_3ELb0ES3_jN6thrust23THRUST_200600_302600_NS6detail15normal_iteratorINSA_7pointerItNSA_11hip_rocprim3tagENSA_11use_defaultESG_EEEEPS6_SJ_NS0_5tupleIJPtSJ_EEENSK_IJSJ_SJ_EEES6_PlJ7is_evenItEEEE10hipError_tPvRmT3_T4_T5_T6_T7_T9_mT8_P12ihipStream_tbDpT10_ENKUlT_T0_E_clISt17integral_constantIbLb1EES19_IbLb0EEEEDaS15_S16_EUlS15_E_NS1_11comp_targetILNS1_3genE4ELNS1_11target_archE910ELNS1_3gpuE8ELNS1_3repE0EEENS1_30default_config_static_selectorELNS0_4arch9wavefront6targetE1EEEvT1_,"axG",@progbits,_ZN7rocprim17ROCPRIM_400000_NS6detail17trampoline_kernelINS0_14default_configENS1_25partition_config_selectorILNS1_17partition_subalgoE3EtNS0_10empty_typeEbEEZZNS1_14partition_implILS5_3ELb0ES3_jN6thrust23THRUST_200600_302600_NS6detail15normal_iteratorINSA_7pointerItNSA_11hip_rocprim3tagENSA_11use_defaultESG_EEEEPS6_SJ_NS0_5tupleIJPtSJ_EEENSK_IJSJ_SJ_EEES6_PlJ7is_evenItEEEE10hipError_tPvRmT3_T4_T5_T6_T7_T9_mT8_P12ihipStream_tbDpT10_ENKUlT_T0_E_clISt17integral_constantIbLb1EES19_IbLb0EEEEDaS15_S16_EUlS15_E_NS1_11comp_targetILNS1_3genE4ELNS1_11target_archE910ELNS1_3gpuE8ELNS1_3repE0EEENS1_30default_config_static_selectorELNS0_4arch9wavefront6targetE1EEEvT1_,comdat
.Lfunc_end1174:
	.size	_ZN7rocprim17ROCPRIM_400000_NS6detail17trampoline_kernelINS0_14default_configENS1_25partition_config_selectorILNS1_17partition_subalgoE3EtNS0_10empty_typeEbEEZZNS1_14partition_implILS5_3ELb0ES3_jN6thrust23THRUST_200600_302600_NS6detail15normal_iteratorINSA_7pointerItNSA_11hip_rocprim3tagENSA_11use_defaultESG_EEEEPS6_SJ_NS0_5tupleIJPtSJ_EEENSK_IJSJ_SJ_EEES6_PlJ7is_evenItEEEE10hipError_tPvRmT3_T4_T5_T6_T7_T9_mT8_P12ihipStream_tbDpT10_ENKUlT_T0_E_clISt17integral_constantIbLb1EES19_IbLb0EEEEDaS15_S16_EUlS15_E_NS1_11comp_targetILNS1_3genE4ELNS1_11target_archE910ELNS1_3gpuE8ELNS1_3repE0EEENS1_30default_config_static_selectorELNS0_4arch9wavefront6targetE1EEEvT1_, .Lfunc_end1174-_ZN7rocprim17ROCPRIM_400000_NS6detail17trampoline_kernelINS0_14default_configENS1_25partition_config_selectorILNS1_17partition_subalgoE3EtNS0_10empty_typeEbEEZZNS1_14partition_implILS5_3ELb0ES3_jN6thrust23THRUST_200600_302600_NS6detail15normal_iteratorINSA_7pointerItNSA_11hip_rocprim3tagENSA_11use_defaultESG_EEEEPS6_SJ_NS0_5tupleIJPtSJ_EEENSK_IJSJ_SJ_EEES6_PlJ7is_evenItEEEE10hipError_tPvRmT3_T4_T5_T6_T7_T9_mT8_P12ihipStream_tbDpT10_ENKUlT_T0_E_clISt17integral_constantIbLb1EES19_IbLb0EEEEDaS15_S16_EUlS15_E_NS1_11comp_targetILNS1_3genE4ELNS1_11target_archE910ELNS1_3gpuE8ELNS1_3repE0EEENS1_30default_config_static_selectorELNS0_4arch9wavefront6targetE1EEEvT1_
                                        ; -- End function
	.section	.AMDGPU.csdata,"",@progbits
; Kernel info:
; codeLenInByte = 0
; NumSgprs: 6
; NumVgprs: 0
; NumAgprs: 0
; TotalNumVgprs: 0
; ScratchSize: 0
; MemoryBound: 0
; FloatMode: 240
; IeeeMode: 1
; LDSByteSize: 0 bytes/workgroup (compile time only)
; SGPRBlocks: 0
; VGPRBlocks: 0
; NumSGPRsForWavesPerEU: 6
; NumVGPRsForWavesPerEU: 1
; AccumOffset: 4
; Occupancy: 8
; WaveLimiterHint : 0
; COMPUTE_PGM_RSRC2:SCRATCH_EN: 0
; COMPUTE_PGM_RSRC2:USER_SGPR: 2
; COMPUTE_PGM_RSRC2:TRAP_HANDLER: 0
; COMPUTE_PGM_RSRC2:TGID_X_EN: 1
; COMPUTE_PGM_RSRC2:TGID_Y_EN: 0
; COMPUTE_PGM_RSRC2:TGID_Z_EN: 0
; COMPUTE_PGM_RSRC2:TIDIG_COMP_CNT: 0
; COMPUTE_PGM_RSRC3_GFX90A:ACCUM_OFFSET: 0
; COMPUTE_PGM_RSRC3_GFX90A:TG_SPLIT: 0
	.section	.text._ZN7rocprim17ROCPRIM_400000_NS6detail17trampoline_kernelINS0_14default_configENS1_25partition_config_selectorILNS1_17partition_subalgoE3EtNS0_10empty_typeEbEEZZNS1_14partition_implILS5_3ELb0ES3_jN6thrust23THRUST_200600_302600_NS6detail15normal_iteratorINSA_7pointerItNSA_11hip_rocprim3tagENSA_11use_defaultESG_EEEEPS6_SJ_NS0_5tupleIJPtSJ_EEENSK_IJSJ_SJ_EEES6_PlJ7is_evenItEEEE10hipError_tPvRmT3_T4_T5_T6_T7_T9_mT8_P12ihipStream_tbDpT10_ENKUlT_T0_E_clISt17integral_constantIbLb1EES19_IbLb0EEEEDaS15_S16_EUlS15_E_NS1_11comp_targetILNS1_3genE3ELNS1_11target_archE908ELNS1_3gpuE7ELNS1_3repE0EEENS1_30default_config_static_selectorELNS0_4arch9wavefront6targetE1EEEvT1_,"axG",@progbits,_ZN7rocprim17ROCPRIM_400000_NS6detail17trampoline_kernelINS0_14default_configENS1_25partition_config_selectorILNS1_17partition_subalgoE3EtNS0_10empty_typeEbEEZZNS1_14partition_implILS5_3ELb0ES3_jN6thrust23THRUST_200600_302600_NS6detail15normal_iteratorINSA_7pointerItNSA_11hip_rocprim3tagENSA_11use_defaultESG_EEEEPS6_SJ_NS0_5tupleIJPtSJ_EEENSK_IJSJ_SJ_EEES6_PlJ7is_evenItEEEE10hipError_tPvRmT3_T4_T5_T6_T7_T9_mT8_P12ihipStream_tbDpT10_ENKUlT_T0_E_clISt17integral_constantIbLb1EES19_IbLb0EEEEDaS15_S16_EUlS15_E_NS1_11comp_targetILNS1_3genE3ELNS1_11target_archE908ELNS1_3gpuE7ELNS1_3repE0EEENS1_30default_config_static_selectorELNS0_4arch9wavefront6targetE1EEEvT1_,comdat
	.protected	_ZN7rocprim17ROCPRIM_400000_NS6detail17trampoline_kernelINS0_14default_configENS1_25partition_config_selectorILNS1_17partition_subalgoE3EtNS0_10empty_typeEbEEZZNS1_14partition_implILS5_3ELb0ES3_jN6thrust23THRUST_200600_302600_NS6detail15normal_iteratorINSA_7pointerItNSA_11hip_rocprim3tagENSA_11use_defaultESG_EEEEPS6_SJ_NS0_5tupleIJPtSJ_EEENSK_IJSJ_SJ_EEES6_PlJ7is_evenItEEEE10hipError_tPvRmT3_T4_T5_T6_T7_T9_mT8_P12ihipStream_tbDpT10_ENKUlT_T0_E_clISt17integral_constantIbLb1EES19_IbLb0EEEEDaS15_S16_EUlS15_E_NS1_11comp_targetILNS1_3genE3ELNS1_11target_archE908ELNS1_3gpuE7ELNS1_3repE0EEENS1_30default_config_static_selectorELNS0_4arch9wavefront6targetE1EEEvT1_ ; -- Begin function _ZN7rocprim17ROCPRIM_400000_NS6detail17trampoline_kernelINS0_14default_configENS1_25partition_config_selectorILNS1_17partition_subalgoE3EtNS0_10empty_typeEbEEZZNS1_14partition_implILS5_3ELb0ES3_jN6thrust23THRUST_200600_302600_NS6detail15normal_iteratorINSA_7pointerItNSA_11hip_rocprim3tagENSA_11use_defaultESG_EEEEPS6_SJ_NS0_5tupleIJPtSJ_EEENSK_IJSJ_SJ_EEES6_PlJ7is_evenItEEEE10hipError_tPvRmT3_T4_T5_T6_T7_T9_mT8_P12ihipStream_tbDpT10_ENKUlT_T0_E_clISt17integral_constantIbLb1EES19_IbLb0EEEEDaS15_S16_EUlS15_E_NS1_11comp_targetILNS1_3genE3ELNS1_11target_archE908ELNS1_3gpuE7ELNS1_3repE0EEENS1_30default_config_static_selectorELNS0_4arch9wavefront6targetE1EEEvT1_
	.globl	_ZN7rocprim17ROCPRIM_400000_NS6detail17trampoline_kernelINS0_14default_configENS1_25partition_config_selectorILNS1_17partition_subalgoE3EtNS0_10empty_typeEbEEZZNS1_14partition_implILS5_3ELb0ES3_jN6thrust23THRUST_200600_302600_NS6detail15normal_iteratorINSA_7pointerItNSA_11hip_rocprim3tagENSA_11use_defaultESG_EEEEPS6_SJ_NS0_5tupleIJPtSJ_EEENSK_IJSJ_SJ_EEES6_PlJ7is_evenItEEEE10hipError_tPvRmT3_T4_T5_T6_T7_T9_mT8_P12ihipStream_tbDpT10_ENKUlT_T0_E_clISt17integral_constantIbLb1EES19_IbLb0EEEEDaS15_S16_EUlS15_E_NS1_11comp_targetILNS1_3genE3ELNS1_11target_archE908ELNS1_3gpuE7ELNS1_3repE0EEENS1_30default_config_static_selectorELNS0_4arch9wavefront6targetE1EEEvT1_
	.p2align	8
	.type	_ZN7rocprim17ROCPRIM_400000_NS6detail17trampoline_kernelINS0_14default_configENS1_25partition_config_selectorILNS1_17partition_subalgoE3EtNS0_10empty_typeEbEEZZNS1_14partition_implILS5_3ELb0ES3_jN6thrust23THRUST_200600_302600_NS6detail15normal_iteratorINSA_7pointerItNSA_11hip_rocprim3tagENSA_11use_defaultESG_EEEEPS6_SJ_NS0_5tupleIJPtSJ_EEENSK_IJSJ_SJ_EEES6_PlJ7is_evenItEEEE10hipError_tPvRmT3_T4_T5_T6_T7_T9_mT8_P12ihipStream_tbDpT10_ENKUlT_T0_E_clISt17integral_constantIbLb1EES19_IbLb0EEEEDaS15_S16_EUlS15_E_NS1_11comp_targetILNS1_3genE3ELNS1_11target_archE908ELNS1_3gpuE7ELNS1_3repE0EEENS1_30default_config_static_selectorELNS0_4arch9wavefront6targetE1EEEvT1_,@function
_ZN7rocprim17ROCPRIM_400000_NS6detail17trampoline_kernelINS0_14default_configENS1_25partition_config_selectorILNS1_17partition_subalgoE3EtNS0_10empty_typeEbEEZZNS1_14partition_implILS5_3ELb0ES3_jN6thrust23THRUST_200600_302600_NS6detail15normal_iteratorINSA_7pointerItNSA_11hip_rocprim3tagENSA_11use_defaultESG_EEEEPS6_SJ_NS0_5tupleIJPtSJ_EEENSK_IJSJ_SJ_EEES6_PlJ7is_evenItEEEE10hipError_tPvRmT3_T4_T5_T6_T7_T9_mT8_P12ihipStream_tbDpT10_ENKUlT_T0_E_clISt17integral_constantIbLb1EES19_IbLb0EEEEDaS15_S16_EUlS15_E_NS1_11comp_targetILNS1_3genE3ELNS1_11target_archE908ELNS1_3gpuE7ELNS1_3repE0EEENS1_30default_config_static_selectorELNS0_4arch9wavefront6targetE1EEEvT1_: ; @_ZN7rocprim17ROCPRIM_400000_NS6detail17trampoline_kernelINS0_14default_configENS1_25partition_config_selectorILNS1_17partition_subalgoE3EtNS0_10empty_typeEbEEZZNS1_14partition_implILS5_3ELb0ES3_jN6thrust23THRUST_200600_302600_NS6detail15normal_iteratorINSA_7pointerItNSA_11hip_rocprim3tagENSA_11use_defaultESG_EEEEPS6_SJ_NS0_5tupleIJPtSJ_EEENSK_IJSJ_SJ_EEES6_PlJ7is_evenItEEEE10hipError_tPvRmT3_T4_T5_T6_T7_T9_mT8_P12ihipStream_tbDpT10_ENKUlT_T0_E_clISt17integral_constantIbLb1EES19_IbLb0EEEEDaS15_S16_EUlS15_E_NS1_11comp_targetILNS1_3genE3ELNS1_11target_archE908ELNS1_3gpuE7ELNS1_3repE0EEENS1_30default_config_static_selectorELNS0_4arch9wavefront6targetE1EEEvT1_
; %bb.0:
	.section	.rodata,"a",@progbits
	.p2align	6, 0x0
	.amdhsa_kernel _ZN7rocprim17ROCPRIM_400000_NS6detail17trampoline_kernelINS0_14default_configENS1_25partition_config_selectorILNS1_17partition_subalgoE3EtNS0_10empty_typeEbEEZZNS1_14partition_implILS5_3ELb0ES3_jN6thrust23THRUST_200600_302600_NS6detail15normal_iteratorINSA_7pointerItNSA_11hip_rocprim3tagENSA_11use_defaultESG_EEEEPS6_SJ_NS0_5tupleIJPtSJ_EEENSK_IJSJ_SJ_EEES6_PlJ7is_evenItEEEE10hipError_tPvRmT3_T4_T5_T6_T7_T9_mT8_P12ihipStream_tbDpT10_ENKUlT_T0_E_clISt17integral_constantIbLb1EES19_IbLb0EEEEDaS15_S16_EUlS15_E_NS1_11comp_targetILNS1_3genE3ELNS1_11target_archE908ELNS1_3gpuE7ELNS1_3repE0EEENS1_30default_config_static_selectorELNS0_4arch9wavefront6targetE1EEEvT1_
		.amdhsa_group_segment_fixed_size 0
		.amdhsa_private_segment_fixed_size 0
		.amdhsa_kernarg_size 120
		.amdhsa_user_sgpr_count 2
		.amdhsa_user_sgpr_dispatch_ptr 0
		.amdhsa_user_sgpr_queue_ptr 0
		.amdhsa_user_sgpr_kernarg_segment_ptr 1
		.amdhsa_user_sgpr_dispatch_id 0
		.amdhsa_user_sgpr_kernarg_preload_length 0
		.amdhsa_user_sgpr_kernarg_preload_offset 0
		.amdhsa_user_sgpr_private_segment_size 0
		.amdhsa_uses_dynamic_stack 0
		.amdhsa_enable_private_segment 0
		.amdhsa_system_sgpr_workgroup_id_x 1
		.amdhsa_system_sgpr_workgroup_id_y 0
		.amdhsa_system_sgpr_workgroup_id_z 0
		.amdhsa_system_sgpr_workgroup_info 0
		.amdhsa_system_vgpr_workitem_id 0
		.amdhsa_next_free_vgpr 1
		.amdhsa_next_free_sgpr 0
		.amdhsa_accum_offset 4
		.amdhsa_reserve_vcc 0
		.amdhsa_float_round_mode_32 0
		.amdhsa_float_round_mode_16_64 0
		.amdhsa_float_denorm_mode_32 3
		.amdhsa_float_denorm_mode_16_64 3
		.amdhsa_dx10_clamp 1
		.amdhsa_ieee_mode 1
		.amdhsa_fp16_overflow 0
		.amdhsa_tg_split 0
		.amdhsa_exception_fp_ieee_invalid_op 0
		.amdhsa_exception_fp_denorm_src 0
		.amdhsa_exception_fp_ieee_div_zero 0
		.amdhsa_exception_fp_ieee_overflow 0
		.amdhsa_exception_fp_ieee_underflow 0
		.amdhsa_exception_fp_ieee_inexact 0
		.amdhsa_exception_int_div_zero 0
	.end_amdhsa_kernel
	.section	.text._ZN7rocprim17ROCPRIM_400000_NS6detail17trampoline_kernelINS0_14default_configENS1_25partition_config_selectorILNS1_17partition_subalgoE3EtNS0_10empty_typeEbEEZZNS1_14partition_implILS5_3ELb0ES3_jN6thrust23THRUST_200600_302600_NS6detail15normal_iteratorINSA_7pointerItNSA_11hip_rocprim3tagENSA_11use_defaultESG_EEEEPS6_SJ_NS0_5tupleIJPtSJ_EEENSK_IJSJ_SJ_EEES6_PlJ7is_evenItEEEE10hipError_tPvRmT3_T4_T5_T6_T7_T9_mT8_P12ihipStream_tbDpT10_ENKUlT_T0_E_clISt17integral_constantIbLb1EES19_IbLb0EEEEDaS15_S16_EUlS15_E_NS1_11comp_targetILNS1_3genE3ELNS1_11target_archE908ELNS1_3gpuE7ELNS1_3repE0EEENS1_30default_config_static_selectorELNS0_4arch9wavefront6targetE1EEEvT1_,"axG",@progbits,_ZN7rocprim17ROCPRIM_400000_NS6detail17trampoline_kernelINS0_14default_configENS1_25partition_config_selectorILNS1_17partition_subalgoE3EtNS0_10empty_typeEbEEZZNS1_14partition_implILS5_3ELb0ES3_jN6thrust23THRUST_200600_302600_NS6detail15normal_iteratorINSA_7pointerItNSA_11hip_rocprim3tagENSA_11use_defaultESG_EEEEPS6_SJ_NS0_5tupleIJPtSJ_EEENSK_IJSJ_SJ_EEES6_PlJ7is_evenItEEEE10hipError_tPvRmT3_T4_T5_T6_T7_T9_mT8_P12ihipStream_tbDpT10_ENKUlT_T0_E_clISt17integral_constantIbLb1EES19_IbLb0EEEEDaS15_S16_EUlS15_E_NS1_11comp_targetILNS1_3genE3ELNS1_11target_archE908ELNS1_3gpuE7ELNS1_3repE0EEENS1_30default_config_static_selectorELNS0_4arch9wavefront6targetE1EEEvT1_,comdat
.Lfunc_end1175:
	.size	_ZN7rocprim17ROCPRIM_400000_NS6detail17trampoline_kernelINS0_14default_configENS1_25partition_config_selectorILNS1_17partition_subalgoE3EtNS0_10empty_typeEbEEZZNS1_14partition_implILS5_3ELb0ES3_jN6thrust23THRUST_200600_302600_NS6detail15normal_iteratorINSA_7pointerItNSA_11hip_rocprim3tagENSA_11use_defaultESG_EEEEPS6_SJ_NS0_5tupleIJPtSJ_EEENSK_IJSJ_SJ_EEES6_PlJ7is_evenItEEEE10hipError_tPvRmT3_T4_T5_T6_T7_T9_mT8_P12ihipStream_tbDpT10_ENKUlT_T0_E_clISt17integral_constantIbLb1EES19_IbLb0EEEEDaS15_S16_EUlS15_E_NS1_11comp_targetILNS1_3genE3ELNS1_11target_archE908ELNS1_3gpuE7ELNS1_3repE0EEENS1_30default_config_static_selectorELNS0_4arch9wavefront6targetE1EEEvT1_, .Lfunc_end1175-_ZN7rocprim17ROCPRIM_400000_NS6detail17trampoline_kernelINS0_14default_configENS1_25partition_config_selectorILNS1_17partition_subalgoE3EtNS0_10empty_typeEbEEZZNS1_14partition_implILS5_3ELb0ES3_jN6thrust23THRUST_200600_302600_NS6detail15normal_iteratorINSA_7pointerItNSA_11hip_rocprim3tagENSA_11use_defaultESG_EEEEPS6_SJ_NS0_5tupleIJPtSJ_EEENSK_IJSJ_SJ_EEES6_PlJ7is_evenItEEEE10hipError_tPvRmT3_T4_T5_T6_T7_T9_mT8_P12ihipStream_tbDpT10_ENKUlT_T0_E_clISt17integral_constantIbLb1EES19_IbLb0EEEEDaS15_S16_EUlS15_E_NS1_11comp_targetILNS1_3genE3ELNS1_11target_archE908ELNS1_3gpuE7ELNS1_3repE0EEENS1_30default_config_static_selectorELNS0_4arch9wavefront6targetE1EEEvT1_
                                        ; -- End function
	.section	.AMDGPU.csdata,"",@progbits
; Kernel info:
; codeLenInByte = 0
; NumSgprs: 6
; NumVgprs: 0
; NumAgprs: 0
; TotalNumVgprs: 0
; ScratchSize: 0
; MemoryBound: 0
; FloatMode: 240
; IeeeMode: 1
; LDSByteSize: 0 bytes/workgroup (compile time only)
; SGPRBlocks: 0
; VGPRBlocks: 0
; NumSGPRsForWavesPerEU: 6
; NumVGPRsForWavesPerEU: 1
; AccumOffset: 4
; Occupancy: 8
; WaveLimiterHint : 0
; COMPUTE_PGM_RSRC2:SCRATCH_EN: 0
; COMPUTE_PGM_RSRC2:USER_SGPR: 2
; COMPUTE_PGM_RSRC2:TRAP_HANDLER: 0
; COMPUTE_PGM_RSRC2:TGID_X_EN: 1
; COMPUTE_PGM_RSRC2:TGID_Y_EN: 0
; COMPUTE_PGM_RSRC2:TGID_Z_EN: 0
; COMPUTE_PGM_RSRC2:TIDIG_COMP_CNT: 0
; COMPUTE_PGM_RSRC3_GFX90A:ACCUM_OFFSET: 0
; COMPUTE_PGM_RSRC3_GFX90A:TG_SPLIT: 0
	.section	.text._ZN7rocprim17ROCPRIM_400000_NS6detail17trampoline_kernelINS0_14default_configENS1_25partition_config_selectorILNS1_17partition_subalgoE3EtNS0_10empty_typeEbEEZZNS1_14partition_implILS5_3ELb0ES3_jN6thrust23THRUST_200600_302600_NS6detail15normal_iteratorINSA_7pointerItNSA_11hip_rocprim3tagENSA_11use_defaultESG_EEEEPS6_SJ_NS0_5tupleIJPtSJ_EEENSK_IJSJ_SJ_EEES6_PlJ7is_evenItEEEE10hipError_tPvRmT3_T4_T5_T6_T7_T9_mT8_P12ihipStream_tbDpT10_ENKUlT_T0_E_clISt17integral_constantIbLb1EES19_IbLb0EEEEDaS15_S16_EUlS15_E_NS1_11comp_targetILNS1_3genE2ELNS1_11target_archE906ELNS1_3gpuE6ELNS1_3repE0EEENS1_30default_config_static_selectorELNS0_4arch9wavefront6targetE1EEEvT1_,"axG",@progbits,_ZN7rocprim17ROCPRIM_400000_NS6detail17trampoline_kernelINS0_14default_configENS1_25partition_config_selectorILNS1_17partition_subalgoE3EtNS0_10empty_typeEbEEZZNS1_14partition_implILS5_3ELb0ES3_jN6thrust23THRUST_200600_302600_NS6detail15normal_iteratorINSA_7pointerItNSA_11hip_rocprim3tagENSA_11use_defaultESG_EEEEPS6_SJ_NS0_5tupleIJPtSJ_EEENSK_IJSJ_SJ_EEES6_PlJ7is_evenItEEEE10hipError_tPvRmT3_T4_T5_T6_T7_T9_mT8_P12ihipStream_tbDpT10_ENKUlT_T0_E_clISt17integral_constantIbLb1EES19_IbLb0EEEEDaS15_S16_EUlS15_E_NS1_11comp_targetILNS1_3genE2ELNS1_11target_archE906ELNS1_3gpuE6ELNS1_3repE0EEENS1_30default_config_static_selectorELNS0_4arch9wavefront6targetE1EEEvT1_,comdat
	.protected	_ZN7rocprim17ROCPRIM_400000_NS6detail17trampoline_kernelINS0_14default_configENS1_25partition_config_selectorILNS1_17partition_subalgoE3EtNS0_10empty_typeEbEEZZNS1_14partition_implILS5_3ELb0ES3_jN6thrust23THRUST_200600_302600_NS6detail15normal_iteratorINSA_7pointerItNSA_11hip_rocprim3tagENSA_11use_defaultESG_EEEEPS6_SJ_NS0_5tupleIJPtSJ_EEENSK_IJSJ_SJ_EEES6_PlJ7is_evenItEEEE10hipError_tPvRmT3_T4_T5_T6_T7_T9_mT8_P12ihipStream_tbDpT10_ENKUlT_T0_E_clISt17integral_constantIbLb1EES19_IbLb0EEEEDaS15_S16_EUlS15_E_NS1_11comp_targetILNS1_3genE2ELNS1_11target_archE906ELNS1_3gpuE6ELNS1_3repE0EEENS1_30default_config_static_selectorELNS0_4arch9wavefront6targetE1EEEvT1_ ; -- Begin function _ZN7rocprim17ROCPRIM_400000_NS6detail17trampoline_kernelINS0_14default_configENS1_25partition_config_selectorILNS1_17partition_subalgoE3EtNS0_10empty_typeEbEEZZNS1_14partition_implILS5_3ELb0ES3_jN6thrust23THRUST_200600_302600_NS6detail15normal_iteratorINSA_7pointerItNSA_11hip_rocprim3tagENSA_11use_defaultESG_EEEEPS6_SJ_NS0_5tupleIJPtSJ_EEENSK_IJSJ_SJ_EEES6_PlJ7is_evenItEEEE10hipError_tPvRmT3_T4_T5_T6_T7_T9_mT8_P12ihipStream_tbDpT10_ENKUlT_T0_E_clISt17integral_constantIbLb1EES19_IbLb0EEEEDaS15_S16_EUlS15_E_NS1_11comp_targetILNS1_3genE2ELNS1_11target_archE906ELNS1_3gpuE6ELNS1_3repE0EEENS1_30default_config_static_selectorELNS0_4arch9wavefront6targetE1EEEvT1_
	.globl	_ZN7rocprim17ROCPRIM_400000_NS6detail17trampoline_kernelINS0_14default_configENS1_25partition_config_selectorILNS1_17partition_subalgoE3EtNS0_10empty_typeEbEEZZNS1_14partition_implILS5_3ELb0ES3_jN6thrust23THRUST_200600_302600_NS6detail15normal_iteratorINSA_7pointerItNSA_11hip_rocprim3tagENSA_11use_defaultESG_EEEEPS6_SJ_NS0_5tupleIJPtSJ_EEENSK_IJSJ_SJ_EEES6_PlJ7is_evenItEEEE10hipError_tPvRmT3_T4_T5_T6_T7_T9_mT8_P12ihipStream_tbDpT10_ENKUlT_T0_E_clISt17integral_constantIbLb1EES19_IbLb0EEEEDaS15_S16_EUlS15_E_NS1_11comp_targetILNS1_3genE2ELNS1_11target_archE906ELNS1_3gpuE6ELNS1_3repE0EEENS1_30default_config_static_selectorELNS0_4arch9wavefront6targetE1EEEvT1_
	.p2align	8
	.type	_ZN7rocprim17ROCPRIM_400000_NS6detail17trampoline_kernelINS0_14default_configENS1_25partition_config_selectorILNS1_17partition_subalgoE3EtNS0_10empty_typeEbEEZZNS1_14partition_implILS5_3ELb0ES3_jN6thrust23THRUST_200600_302600_NS6detail15normal_iteratorINSA_7pointerItNSA_11hip_rocprim3tagENSA_11use_defaultESG_EEEEPS6_SJ_NS0_5tupleIJPtSJ_EEENSK_IJSJ_SJ_EEES6_PlJ7is_evenItEEEE10hipError_tPvRmT3_T4_T5_T6_T7_T9_mT8_P12ihipStream_tbDpT10_ENKUlT_T0_E_clISt17integral_constantIbLb1EES19_IbLb0EEEEDaS15_S16_EUlS15_E_NS1_11comp_targetILNS1_3genE2ELNS1_11target_archE906ELNS1_3gpuE6ELNS1_3repE0EEENS1_30default_config_static_selectorELNS0_4arch9wavefront6targetE1EEEvT1_,@function
_ZN7rocprim17ROCPRIM_400000_NS6detail17trampoline_kernelINS0_14default_configENS1_25partition_config_selectorILNS1_17partition_subalgoE3EtNS0_10empty_typeEbEEZZNS1_14partition_implILS5_3ELb0ES3_jN6thrust23THRUST_200600_302600_NS6detail15normal_iteratorINSA_7pointerItNSA_11hip_rocprim3tagENSA_11use_defaultESG_EEEEPS6_SJ_NS0_5tupleIJPtSJ_EEENSK_IJSJ_SJ_EEES6_PlJ7is_evenItEEEE10hipError_tPvRmT3_T4_T5_T6_T7_T9_mT8_P12ihipStream_tbDpT10_ENKUlT_T0_E_clISt17integral_constantIbLb1EES19_IbLb0EEEEDaS15_S16_EUlS15_E_NS1_11comp_targetILNS1_3genE2ELNS1_11target_archE906ELNS1_3gpuE6ELNS1_3repE0EEENS1_30default_config_static_selectorELNS0_4arch9wavefront6targetE1EEEvT1_: ; @_ZN7rocprim17ROCPRIM_400000_NS6detail17trampoline_kernelINS0_14default_configENS1_25partition_config_selectorILNS1_17partition_subalgoE3EtNS0_10empty_typeEbEEZZNS1_14partition_implILS5_3ELb0ES3_jN6thrust23THRUST_200600_302600_NS6detail15normal_iteratorINSA_7pointerItNSA_11hip_rocprim3tagENSA_11use_defaultESG_EEEEPS6_SJ_NS0_5tupleIJPtSJ_EEENSK_IJSJ_SJ_EEES6_PlJ7is_evenItEEEE10hipError_tPvRmT3_T4_T5_T6_T7_T9_mT8_P12ihipStream_tbDpT10_ENKUlT_T0_E_clISt17integral_constantIbLb1EES19_IbLb0EEEEDaS15_S16_EUlS15_E_NS1_11comp_targetILNS1_3genE2ELNS1_11target_archE906ELNS1_3gpuE6ELNS1_3repE0EEENS1_30default_config_static_selectorELNS0_4arch9wavefront6targetE1EEEvT1_
; %bb.0:
	.section	.rodata,"a",@progbits
	.p2align	6, 0x0
	.amdhsa_kernel _ZN7rocprim17ROCPRIM_400000_NS6detail17trampoline_kernelINS0_14default_configENS1_25partition_config_selectorILNS1_17partition_subalgoE3EtNS0_10empty_typeEbEEZZNS1_14partition_implILS5_3ELb0ES3_jN6thrust23THRUST_200600_302600_NS6detail15normal_iteratorINSA_7pointerItNSA_11hip_rocprim3tagENSA_11use_defaultESG_EEEEPS6_SJ_NS0_5tupleIJPtSJ_EEENSK_IJSJ_SJ_EEES6_PlJ7is_evenItEEEE10hipError_tPvRmT3_T4_T5_T6_T7_T9_mT8_P12ihipStream_tbDpT10_ENKUlT_T0_E_clISt17integral_constantIbLb1EES19_IbLb0EEEEDaS15_S16_EUlS15_E_NS1_11comp_targetILNS1_3genE2ELNS1_11target_archE906ELNS1_3gpuE6ELNS1_3repE0EEENS1_30default_config_static_selectorELNS0_4arch9wavefront6targetE1EEEvT1_
		.amdhsa_group_segment_fixed_size 0
		.amdhsa_private_segment_fixed_size 0
		.amdhsa_kernarg_size 120
		.amdhsa_user_sgpr_count 2
		.amdhsa_user_sgpr_dispatch_ptr 0
		.amdhsa_user_sgpr_queue_ptr 0
		.amdhsa_user_sgpr_kernarg_segment_ptr 1
		.amdhsa_user_sgpr_dispatch_id 0
		.amdhsa_user_sgpr_kernarg_preload_length 0
		.amdhsa_user_sgpr_kernarg_preload_offset 0
		.amdhsa_user_sgpr_private_segment_size 0
		.amdhsa_uses_dynamic_stack 0
		.amdhsa_enable_private_segment 0
		.amdhsa_system_sgpr_workgroup_id_x 1
		.amdhsa_system_sgpr_workgroup_id_y 0
		.amdhsa_system_sgpr_workgroup_id_z 0
		.amdhsa_system_sgpr_workgroup_info 0
		.amdhsa_system_vgpr_workitem_id 0
		.amdhsa_next_free_vgpr 1
		.amdhsa_next_free_sgpr 0
		.amdhsa_accum_offset 4
		.amdhsa_reserve_vcc 0
		.amdhsa_float_round_mode_32 0
		.amdhsa_float_round_mode_16_64 0
		.amdhsa_float_denorm_mode_32 3
		.amdhsa_float_denorm_mode_16_64 3
		.amdhsa_dx10_clamp 1
		.amdhsa_ieee_mode 1
		.amdhsa_fp16_overflow 0
		.amdhsa_tg_split 0
		.amdhsa_exception_fp_ieee_invalid_op 0
		.amdhsa_exception_fp_denorm_src 0
		.amdhsa_exception_fp_ieee_div_zero 0
		.amdhsa_exception_fp_ieee_overflow 0
		.amdhsa_exception_fp_ieee_underflow 0
		.amdhsa_exception_fp_ieee_inexact 0
		.amdhsa_exception_int_div_zero 0
	.end_amdhsa_kernel
	.section	.text._ZN7rocprim17ROCPRIM_400000_NS6detail17trampoline_kernelINS0_14default_configENS1_25partition_config_selectorILNS1_17partition_subalgoE3EtNS0_10empty_typeEbEEZZNS1_14partition_implILS5_3ELb0ES3_jN6thrust23THRUST_200600_302600_NS6detail15normal_iteratorINSA_7pointerItNSA_11hip_rocprim3tagENSA_11use_defaultESG_EEEEPS6_SJ_NS0_5tupleIJPtSJ_EEENSK_IJSJ_SJ_EEES6_PlJ7is_evenItEEEE10hipError_tPvRmT3_T4_T5_T6_T7_T9_mT8_P12ihipStream_tbDpT10_ENKUlT_T0_E_clISt17integral_constantIbLb1EES19_IbLb0EEEEDaS15_S16_EUlS15_E_NS1_11comp_targetILNS1_3genE2ELNS1_11target_archE906ELNS1_3gpuE6ELNS1_3repE0EEENS1_30default_config_static_selectorELNS0_4arch9wavefront6targetE1EEEvT1_,"axG",@progbits,_ZN7rocprim17ROCPRIM_400000_NS6detail17trampoline_kernelINS0_14default_configENS1_25partition_config_selectorILNS1_17partition_subalgoE3EtNS0_10empty_typeEbEEZZNS1_14partition_implILS5_3ELb0ES3_jN6thrust23THRUST_200600_302600_NS6detail15normal_iteratorINSA_7pointerItNSA_11hip_rocprim3tagENSA_11use_defaultESG_EEEEPS6_SJ_NS0_5tupleIJPtSJ_EEENSK_IJSJ_SJ_EEES6_PlJ7is_evenItEEEE10hipError_tPvRmT3_T4_T5_T6_T7_T9_mT8_P12ihipStream_tbDpT10_ENKUlT_T0_E_clISt17integral_constantIbLb1EES19_IbLb0EEEEDaS15_S16_EUlS15_E_NS1_11comp_targetILNS1_3genE2ELNS1_11target_archE906ELNS1_3gpuE6ELNS1_3repE0EEENS1_30default_config_static_selectorELNS0_4arch9wavefront6targetE1EEEvT1_,comdat
.Lfunc_end1176:
	.size	_ZN7rocprim17ROCPRIM_400000_NS6detail17trampoline_kernelINS0_14default_configENS1_25partition_config_selectorILNS1_17partition_subalgoE3EtNS0_10empty_typeEbEEZZNS1_14partition_implILS5_3ELb0ES3_jN6thrust23THRUST_200600_302600_NS6detail15normal_iteratorINSA_7pointerItNSA_11hip_rocprim3tagENSA_11use_defaultESG_EEEEPS6_SJ_NS0_5tupleIJPtSJ_EEENSK_IJSJ_SJ_EEES6_PlJ7is_evenItEEEE10hipError_tPvRmT3_T4_T5_T6_T7_T9_mT8_P12ihipStream_tbDpT10_ENKUlT_T0_E_clISt17integral_constantIbLb1EES19_IbLb0EEEEDaS15_S16_EUlS15_E_NS1_11comp_targetILNS1_3genE2ELNS1_11target_archE906ELNS1_3gpuE6ELNS1_3repE0EEENS1_30default_config_static_selectorELNS0_4arch9wavefront6targetE1EEEvT1_, .Lfunc_end1176-_ZN7rocprim17ROCPRIM_400000_NS6detail17trampoline_kernelINS0_14default_configENS1_25partition_config_selectorILNS1_17partition_subalgoE3EtNS0_10empty_typeEbEEZZNS1_14partition_implILS5_3ELb0ES3_jN6thrust23THRUST_200600_302600_NS6detail15normal_iteratorINSA_7pointerItNSA_11hip_rocprim3tagENSA_11use_defaultESG_EEEEPS6_SJ_NS0_5tupleIJPtSJ_EEENSK_IJSJ_SJ_EEES6_PlJ7is_evenItEEEE10hipError_tPvRmT3_T4_T5_T6_T7_T9_mT8_P12ihipStream_tbDpT10_ENKUlT_T0_E_clISt17integral_constantIbLb1EES19_IbLb0EEEEDaS15_S16_EUlS15_E_NS1_11comp_targetILNS1_3genE2ELNS1_11target_archE906ELNS1_3gpuE6ELNS1_3repE0EEENS1_30default_config_static_selectorELNS0_4arch9wavefront6targetE1EEEvT1_
                                        ; -- End function
	.section	.AMDGPU.csdata,"",@progbits
; Kernel info:
; codeLenInByte = 0
; NumSgprs: 6
; NumVgprs: 0
; NumAgprs: 0
; TotalNumVgprs: 0
; ScratchSize: 0
; MemoryBound: 0
; FloatMode: 240
; IeeeMode: 1
; LDSByteSize: 0 bytes/workgroup (compile time only)
; SGPRBlocks: 0
; VGPRBlocks: 0
; NumSGPRsForWavesPerEU: 6
; NumVGPRsForWavesPerEU: 1
; AccumOffset: 4
; Occupancy: 8
; WaveLimiterHint : 0
; COMPUTE_PGM_RSRC2:SCRATCH_EN: 0
; COMPUTE_PGM_RSRC2:USER_SGPR: 2
; COMPUTE_PGM_RSRC2:TRAP_HANDLER: 0
; COMPUTE_PGM_RSRC2:TGID_X_EN: 1
; COMPUTE_PGM_RSRC2:TGID_Y_EN: 0
; COMPUTE_PGM_RSRC2:TGID_Z_EN: 0
; COMPUTE_PGM_RSRC2:TIDIG_COMP_CNT: 0
; COMPUTE_PGM_RSRC3_GFX90A:ACCUM_OFFSET: 0
; COMPUTE_PGM_RSRC3_GFX90A:TG_SPLIT: 0
	.section	.text._ZN7rocprim17ROCPRIM_400000_NS6detail17trampoline_kernelINS0_14default_configENS1_25partition_config_selectorILNS1_17partition_subalgoE3EtNS0_10empty_typeEbEEZZNS1_14partition_implILS5_3ELb0ES3_jN6thrust23THRUST_200600_302600_NS6detail15normal_iteratorINSA_7pointerItNSA_11hip_rocprim3tagENSA_11use_defaultESG_EEEEPS6_SJ_NS0_5tupleIJPtSJ_EEENSK_IJSJ_SJ_EEES6_PlJ7is_evenItEEEE10hipError_tPvRmT3_T4_T5_T6_T7_T9_mT8_P12ihipStream_tbDpT10_ENKUlT_T0_E_clISt17integral_constantIbLb1EES19_IbLb0EEEEDaS15_S16_EUlS15_E_NS1_11comp_targetILNS1_3genE10ELNS1_11target_archE1200ELNS1_3gpuE4ELNS1_3repE0EEENS1_30default_config_static_selectorELNS0_4arch9wavefront6targetE1EEEvT1_,"axG",@progbits,_ZN7rocprim17ROCPRIM_400000_NS6detail17trampoline_kernelINS0_14default_configENS1_25partition_config_selectorILNS1_17partition_subalgoE3EtNS0_10empty_typeEbEEZZNS1_14partition_implILS5_3ELb0ES3_jN6thrust23THRUST_200600_302600_NS6detail15normal_iteratorINSA_7pointerItNSA_11hip_rocprim3tagENSA_11use_defaultESG_EEEEPS6_SJ_NS0_5tupleIJPtSJ_EEENSK_IJSJ_SJ_EEES6_PlJ7is_evenItEEEE10hipError_tPvRmT3_T4_T5_T6_T7_T9_mT8_P12ihipStream_tbDpT10_ENKUlT_T0_E_clISt17integral_constantIbLb1EES19_IbLb0EEEEDaS15_S16_EUlS15_E_NS1_11comp_targetILNS1_3genE10ELNS1_11target_archE1200ELNS1_3gpuE4ELNS1_3repE0EEENS1_30default_config_static_selectorELNS0_4arch9wavefront6targetE1EEEvT1_,comdat
	.protected	_ZN7rocprim17ROCPRIM_400000_NS6detail17trampoline_kernelINS0_14default_configENS1_25partition_config_selectorILNS1_17partition_subalgoE3EtNS0_10empty_typeEbEEZZNS1_14partition_implILS5_3ELb0ES3_jN6thrust23THRUST_200600_302600_NS6detail15normal_iteratorINSA_7pointerItNSA_11hip_rocprim3tagENSA_11use_defaultESG_EEEEPS6_SJ_NS0_5tupleIJPtSJ_EEENSK_IJSJ_SJ_EEES6_PlJ7is_evenItEEEE10hipError_tPvRmT3_T4_T5_T6_T7_T9_mT8_P12ihipStream_tbDpT10_ENKUlT_T0_E_clISt17integral_constantIbLb1EES19_IbLb0EEEEDaS15_S16_EUlS15_E_NS1_11comp_targetILNS1_3genE10ELNS1_11target_archE1200ELNS1_3gpuE4ELNS1_3repE0EEENS1_30default_config_static_selectorELNS0_4arch9wavefront6targetE1EEEvT1_ ; -- Begin function _ZN7rocprim17ROCPRIM_400000_NS6detail17trampoline_kernelINS0_14default_configENS1_25partition_config_selectorILNS1_17partition_subalgoE3EtNS0_10empty_typeEbEEZZNS1_14partition_implILS5_3ELb0ES3_jN6thrust23THRUST_200600_302600_NS6detail15normal_iteratorINSA_7pointerItNSA_11hip_rocprim3tagENSA_11use_defaultESG_EEEEPS6_SJ_NS0_5tupleIJPtSJ_EEENSK_IJSJ_SJ_EEES6_PlJ7is_evenItEEEE10hipError_tPvRmT3_T4_T5_T6_T7_T9_mT8_P12ihipStream_tbDpT10_ENKUlT_T0_E_clISt17integral_constantIbLb1EES19_IbLb0EEEEDaS15_S16_EUlS15_E_NS1_11comp_targetILNS1_3genE10ELNS1_11target_archE1200ELNS1_3gpuE4ELNS1_3repE0EEENS1_30default_config_static_selectorELNS0_4arch9wavefront6targetE1EEEvT1_
	.globl	_ZN7rocprim17ROCPRIM_400000_NS6detail17trampoline_kernelINS0_14default_configENS1_25partition_config_selectorILNS1_17partition_subalgoE3EtNS0_10empty_typeEbEEZZNS1_14partition_implILS5_3ELb0ES3_jN6thrust23THRUST_200600_302600_NS6detail15normal_iteratorINSA_7pointerItNSA_11hip_rocprim3tagENSA_11use_defaultESG_EEEEPS6_SJ_NS0_5tupleIJPtSJ_EEENSK_IJSJ_SJ_EEES6_PlJ7is_evenItEEEE10hipError_tPvRmT3_T4_T5_T6_T7_T9_mT8_P12ihipStream_tbDpT10_ENKUlT_T0_E_clISt17integral_constantIbLb1EES19_IbLb0EEEEDaS15_S16_EUlS15_E_NS1_11comp_targetILNS1_3genE10ELNS1_11target_archE1200ELNS1_3gpuE4ELNS1_3repE0EEENS1_30default_config_static_selectorELNS0_4arch9wavefront6targetE1EEEvT1_
	.p2align	8
	.type	_ZN7rocprim17ROCPRIM_400000_NS6detail17trampoline_kernelINS0_14default_configENS1_25partition_config_selectorILNS1_17partition_subalgoE3EtNS0_10empty_typeEbEEZZNS1_14partition_implILS5_3ELb0ES3_jN6thrust23THRUST_200600_302600_NS6detail15normal_iteratorINSA_7pointerItNSA_11hip_rocprim3tagENSA_11use_defaultESG_EEEEPS6_SJ_NS0_5tupleIJPtSJ_EEENSK_IJSJ_SJ_EEES6_PlJ7is_evenItEEEE10hipError_tPvRmT3_T4_T5_T6_T7_T9_mT8_P12ihipStream_tbDpT10_ENKUlT_T0_E_clISt17integral_constantIbLb1EES19_IbLb0EEEEDaS15_S16_EUlS15_E_NS1_11comp_targetILNS1_3genE10ELNS1_11target_archE1200ELNS1_3gpuE4ELNS1_3repE0EEENS1_30default_config_static_selectorELNS0_4arch9wavefront6targetE1EEEvT1_,@function
_ZN7rocprim17ROCPRIM_400000_NS6detail17trampoline_kernelINS0_14default_configENS1_25partition_config_selectorILNS1_17partition_subalgoE3EtNS0_10empty_typeEbEEZZNS1_14partition_implILS5_3ELb0ES3_jN6thrust23THRUST_200600_302600_NS6detail15normal_iteratorINSA_7pointerItNSA_11hip_rocprim3tagENSA_11use_defaultESG_EEEEPS6_SJ_NS0_5tupleIJPtSJ_EEENSK_IJSJ_SJ_EEES6_PlJ7is_evenItEEEE10hipError_tPvRmT3_T4_T5_T6_T7_T9_mT8_P12ihipStream_tbDpT10_ENKUlT_T0_E_clISt17integral_constantIbLb1EES19_IbLb0EEEEDaS15_S16_EUlS15_E_NS1_11comp_targetILNS1_3genE10ELNS1_11target_archE1200ELNS1_3gpuE4ELNS1_3repE0EEENS1_30default_config_static_selectorELNS0_4arch9wavefront6targetE1EEEvT1_: ; @_ZN7rocprim17ROCPRIM_400000_NS6detail17trampoline_kernelINS0_14default_configENS1_25partition_config_selectorILNS1_17partition_subalgoE3EtNS0_10empty_typeEbEEZZNS1_14partition_implILS5_3ELb0ES3_jN6thrust23THRUST_200600_302600_NS6detail15normal_iteratorINSA_7pointerItNSA_11hip_rocprim3tagENSA_11use_defaultESG_EEEEPS6_SJ_NS0_5tupleIJPtSJ_EEENSK_IJSJ_SJ_EEES6_PlJ7is_evenItEEEE10hipError_tPvRmT3_T4_T5_T6_T7_T9_mT8_P12ihipStream_tbDpT10_ENKUlT_T0_E_clISt17integral_constantIbLb1EES19_IbLb0EEEEDaS15_S16_EUlS15_E_NS1_11comp_targetILNS1_3genE10ELNS1_11target_archE1200ELNS1_3gpuE4ELNS1_3repE0EEENS1_30default_config_static_selectorELNS0_4arch9wavefront6targetE1EEEvT1_
; %bb.0:
	.section	.rodata,"a",@progbits
	.p2align	6, 0x0
	.amdhsa_kernel _ZN7rocprim17ROCPRIM_400000_NS6detail17trampoline_kernelINS0_14default_configENS1_25partition_config_selectorILNS1_17partition_subalgoE3EtNS0_10empty_typeEbEEZZNS1_14partition_implILS5_3ELb0ES3_jN6thrust23THRUST_200600_302600_NS6detail15normal_iteratorINSA_7pointerItNSA_11hip_rocprim3tagENSA_11use_defaultESG_EEEEPS6_SJ_NS0_5tupleIJPtSJ_EEENSK_IJSJ_SJ_EEES6_PlJ7is_evenItEEEE10hipError_tPvRmT3_T4_T5_T6_T7_T9_mT8_P12ihipStream_tbDpT10_ENKUlT_T0_E_clISt17integral_constantIbLb1EES19_IbLb0EEEEDaS15_S16_EUlS15_E_NS1_11comp_targetILNS1_3genE10ELNS1_11target_archE1200ELNS1_3gpuE4ELNS1_3repE0EEENS1_30default_config_static_selectorELNS0_4arch9wavefront6targetE1EEEvT1_
		.amdhsa_group_segment_fixed_size 0
		.amdhsa_private_segment_fixed_size 0
		.amdhsa_kernarg_size 120
		.amdhsa_user_sgpr_count 2
		.amdhsa_user_sgpr_dispatch_ptr 0
		.amdhsa_user_sgpr_queue_ptr 0
		.amdhsa_user_sgpr_kernarg_segment_ptr 1
		.amdhsa_user_sgpr_dispatch_id 0
		.amdhsa_user_sgpr_kernarg_preload_length 0
		.amdhsa_user_sgpr_kernarg_preload_offset 0
		.amdhsa_user_sgpr_private_segment_size 0
		.amdhsa_uses_dynamic_stack 0
		.amdhsa_enable_private_segment 0
		.amdhsa_system_sgpr_workgroup_id_x 1
		.amdhsa_system_sgpr_workgroup_id_y 0
		.amdhsa_system_sgpr_workgroup_id_z 0
		.amdhsa_system_sgpr_workgroup_info 0
		.amdhsa_system_vgpr_workitem_id 0
		.amdhsa_next_free_vgpr 1
		.amdhsa_next_free_sgpr 0
		.amdhsa_accum_offset 4
		.amdhsa_reserve_vcc 0
		.amdhsa_float_round_mode_32 0
		.amdhsa_float_round_mode_16_64 0
		.amdhsa_float_denorm_mode_32 3
		.amdhsa_float_denorm_mode_16_64 3
		.amdhsa_dx10_clamp 1
		.amdhsa_ieee_mode 1
		.amdhsa_fp16_overflow 0
		.amdhsa_tg_split 0
		.amdhsa_exception_fp_ieee_invalid_op 0
		.amdhsa_exception_fp_denorm_src 0
		.amdhsa_exception_fp_ieee_div_zero 0
		.amdhsa_exception_fp_ieee_overflow 0
		.amdhsa_exception_fp_ieee_underflow 0
		.amdhsa_exception_fp_ieee_inexact 0
		.amdhsa_exception_int_div_zero 0
	.end_amdhsa_kernel
	.section	.text._ZN7rocprim17ROCPRIM_400000_NS6detail17trampoline_kernelINS0_14default_configENS1_25partition_config_selectorILNS1_17partition_subalgoE3EtNS0_10empty_typeEbEEZZNS1_14partition_implILS5_3ELb0ES3_jN6thrust23THRUST_200600_302600_NS6detail15normal_iteratorINSA_7pointerItNSA_11hip_rocprim3tagENSA_11use_defaultESG_EEEEPS6_SJ_NS0_5tupleIJPtSJ_EEENSK_IJSJ_SJ_EEES6_PlJ7is_evenItEEEE10hipError_tPvRmT3_T4_T5_T6_T7_T9_mT8_P12ihipStream_tbDpT10_ENKUlT_T0_E_clISt17integral_constantIbLb1EES19_IbLb0EEEEDaS15_S16_EUlS15_E_NS1_11comp_targetILNS1_3genE10ELNS1_11target_archE1200ELNS1_3gpuE4ELNS1_3repE0EEENS1_30default_config_static_selectorELNS0_4arch9wavefront6targetE1EEEvT1_,"axG",@progbits,_ZN7rocprim17ROCPRIM_400000_NS6detail17trampoline_kernelINS0_14default_configENS1_25partition_config_selectorILNS1_17partition_subalgoE3EtNS0_10empty_typeEbEEZZNS1_14partition_implILS5_3ELb0ES3_jN6thrust23THRUST_200600_302600_NS6detail15normal_iteratorINSA_7pointerItNSA_11hip_rocprim3tagENSA_11use_defaultESG_EEEEPS6_SJ_NS0_5tupleIJPtSJ_EEENSK_IJSJ_SJ_EEES6_PlJ7is_evenItEEEE10hipError_tPvRmT3_T4_T5_T6_T7_T9_mT8_P12ihipStream_tbDpT10_ENKUlT_T0_E_clISt17integral_constantIbLb1EES19_IbLb0EEEEDaS15_S16_EUlS15_E_NS1_11comp_targetILNS1_3genE10ELNS1_11target_archE1200ELNS1_3gpuE4ELNS1_3repE0EEENS1_30default_config_static_selectorELNS0_4arch9wavefront6targetE1EEEvT1_,comdat
.Lfunc_end1177:
	.size	_ZN7rocprim17ROCPRIM_400000_NS6detail17trampoline_kernelINS0_14default_configENS1_25partition_config_selectorILNS1_17partition_subalgoE3EtNS0_10empty_typeEbEEZZNS1_14partition_implILS5_3ELb0ES3_jN6thrust23THRUST_200600_302600_NS6detail15normal_iteratorINSA_7pointerItNSA_11hip_rocprim3tagENSA_11use_defaultESG_EEEEPS6_SJ_NS0_5tupleIJPtSJ_EEENSK_IJSJ_SJ_EEES6_PlJ7is_evenItEEEE10hipError_tPvRmT3_T4_T5_T6_T7_T9_mT8_P12ihipStream_tbDpT10_ENKUlT_T0_E_clISt17integral_constantIbLb1EES19_IbLb0EEEEDaS15_S16_EUlS15_E_NS1_11comp_targetILNS1_3genE10ELNS1_11target_archE1200ELNS1_3gpuE4ELNS1_3repE0EEENS1_30default_config_static_selectorELNS0_4arch9wavefront6targetE1EEEvT1_, .Lfunc_end1177-_ZN7rocprim17ROCPRIM_400000_NS6detail17trampoline_kernelINS0_14default_configENS1_25partition_config_selectorILNS1_17partition_subalgoE3EtNS0_10empty_typeEbEEZZNS1_14partition_implILS5_3ELb0ES3_jN6thrust23THRUST_200600_302600_NS6detail15normal_iteratorINSA_7pointerItNSA_11hip_rocprim3tagENSA_11use_defaultESG_EEEEPS6_SJ_NS0_5tupleIJPtSJ_EEENSK_IJSJ_SJ_EEES6_PlJ7is_evenItEEEE10hipError_tPvRmT3_T4_T5_T6_T7_T9_mT8_P12ihipStream_tbDpT10_ENKUlT_T0_E_clISt17integral_constantIbLb1EES19_IbLb0EEEEDaS15_S16_EUlS15_E_NS1_11comp_targetILNS1_3genE10ELNS1_11target_archE1200ELNS1_3gpuE4ELNS1_3repE0EEENS1_30default_config_static_selectorELNS0_4arch9wavefront6targetE1EEEvT1_
                                        ; -- End function
	.section	.AMDGPU.csdata,"",@progbits
; Kernel info:
; codeLenInByte = 0
; NumSgprs: 6
; NumVgprs: 0
; NumAgprs: 0
; TotalNumVgprs: 0
; ScratchSize: 0
; MemoryBound: 0
; FloatMode: 240
; IeeeMode: 1
; LDSByteSize: 0 bytes/workgroup (compile time only)
; SGPRBlocks: 0
; VGPRBlocks: 0
; NumSGPRsForWavesPerEU: 6
; NumVGPRsForWavesPerEU: 1
; AccumOffset: 4
; Occupancy: 8
; WaveLimiterHint : 0
; COMPUTE_PGM_RSRC2:SCRATCH_EN: 0
; COMPUTE_PGM_RSRC2:USER_SGPR: 2
; COMPUTE_PGM_RSRC2:TRAP_HANDLER: 0
; COMPUTE_PGM_RSRC2:TGID_X_EN: 1
; COMPUTE_PGM_RSRC2:TGID_Y_EN: 0
; COMPUTE_PGM_RSRC2:TGID_Z_EN: 0
; COMPUTE_PGM_RSRC2:TIDIG_COMP_CNT: 0
; COMPUTE_PGM_RSRC3_GFX90A:ACCUM_OFFSET: 0
; COMPUTE_PGM_RSRC3_GFX90A:TG_SPLIT: 0
	.section	.text._ZN7rocprim17ROCPRIM_400000_NS6detail17trampoline_kernelINS0_14default_configENS1_25partition_config_selectorILNS1_17partition_subalgoE3EtNS0_10empty_typeEbEEZZNS1_14partition_implILS5_3ELb0ES3_jN6thrust23THRUST_200600_302600_NS6detail15normal_iteratorINSA_7pointerItNSA_11hip_rocprim3tagENSA_11use_defaultESG_EEEEPS6_SJ_NS0_5tupleIJPtSJ_EEENSK_IJSJ_SJ_EEES6_PlJ7is_evenItEEEE10hipError_tPvRmT3_T4_T5_T6_T7_T9_mT8_P12ihipStream_tbDpT10_ENKUlT_T0_E_clISt17integral_constantIbLb1EES19_IbLb0EEEEDaS15_S16_EUlS15_E_NS1_11comp_targetILNS1_3genE9ELNS1_11target_archE1100ELNS1_3gpuE3ELNS1_3repE0EEENS1_30default_config_static_selectorELNS0_4arch9wavefront6targetE1EEEvT1_,"axG",@progbits,_ZN7rocprim17ROCPRIM_400000_NS6detail17trampoline_kernelINS0_14default_configENS1_25partition_config_selectorILNS1_17partition_subalgoE3EtNS0_10empty_typeEbEEZZNS1_14partition_implILS5_3ELb0ES3_jN6thrust23THRUST_200600_302600_NS6detail15normal_iteratorINSA_7pointerItNSA_11hip_rocprim3tagENSA_11use_defaultESG_EEEEPS6_SJ_NS0_5tupleIJPtSJ_EEENSK_IJSJ_SJ_EEES6_PlJ7is_evenItEEEE10hipError_tPvRmT3_T4_T5_T6_T7_T9_mT8_P12ihipStream_tbDpT10_ENKUlT_T0_E_clISt17integral_constantIbLb1EES19_IbLb0EEEEDaS15_S16_EUlS15_E_NS1_11comp_targetILNS1_3genE9ELNS1_11target_archE1100ELNS1_3gpuE3ELNS1_3repE0EEENS1_30default_config_static_selectorELNS0_4arch9wavefront6targetE1EEEvT1_,comdat
	.protected	_ZN7rocprim17ROCPRIM_400000_NS6detail17trampoline_kernelINS0_14default_configENS1_25partition_config_selectorILNS1_17partition_subalgoE3EtNS0_10empty_typeEbEEZZNS1_14partition_implILS5_3ELb0ES3_jN6thrust23THRUST_200600_302600_NS6detail15normal_iteratorINSA_7pointerItNSA_11hip_rocprim3tagENSA_11use_defaultESG_EEEEPS6_SJ_NS0_5tupleIJPtSJ_EEENSK_IJSJ_SJ_EEES6_PlJ7is_evenItEEEE10hipError_tPvRmT3_T4_T5_T6_T7_T9_mT8_P12ihipStream_tbDpT10_ENKUlT_T0_E_clISt17integral_constantIbLb1EES19_IbLb0EEEEDaS15_S16_EUlS15_E_NS1_11comp_targetILNS1_3genE9ELNS1_11target_archE1100ELNS1_3gpuE3ELNS1_3repE0EEENS1_30default_config_static_selectorELNS0_4arch9wavefront6targetE1EEEvT1_ ; -- Begin function _ZN7rocprim17ROCPRIM_400000_NS6detail17trampoline_kernelINS0_14default_configENS1_25partition_config_selectorILNS1_17partition_subalgoE3EtNS0_10empty_typeEbEEZZNS1_14partition_implILS5_3ELb0ES3_jN6thrust23THRUST_200600_302600_NS6detail15normal_iteratorINSA_7pointerItNSA_11hip_rocprim3tagENSA_11use_defaultESG_EEEEPS6_SJ_NS0_5tupleIJPtSJ_EEENSK_IJSJ_SJ_EEES6_PlJ7is_evenItEEEE10hipError_tPvRmT3_T4_T5_T6_T7_T9_mT8_P12ihipStream_tbDpT10_ENKUlT_T0_E_clISt17integral_constantIbLb1EES19_IbLb0EEEEDaS15_S16_EUlS15_E_NS1_11comp_targetILNS1_3genE9ELNS1_11target_archE1100ELNS1_3gpuE3ELNS1_3repE0EEENS1_30default_config_static_selectorELNS0_4arch9wavefront6targetE1EEEvT1_
	.globl	_ZN7rocprim17ROCPRIM_400000_NS6detail17trampoline_kernelINS0_14default_configENS1_25partition_config_selectorILNS1_17partition_subalgoE3EtNS0_10empty_typeEbEEZZNS1_14partition_implILS5_3ELb0ES3_jN6thrust23THRUST_200600_302600_NS6detail15normal_iteratorINSA_7pointerItNSA_11hip_rocprim3tagENSA_11use_defaultESG_EEEEPS6_SJ_NS0_5tupleIJPtSJ_EEENSK_IJSJ_SJ_EEES6_PlJ7is_evenItEEEE10hipError_tPvRmT3_T4_T5_T6_T7_T9_mT8_P12ihipStream_tbDpT10_ENKUlT_T0_E_clISt17integral_constantIbLb1EES19_IbLb0EEEEDaS15_S16_EUlS15_E_NS1_11comp_targetILNS1_3genE9ELNS1_11target_archE1100ELNS1_3gpuE3ELNS1_3repE0EEENS1_30default_config_static_selectorELNS0_4arch9wavefront6targetE1EEEvT1_
	.p2align	8
	.type	_ZN7rocprim17ROCPRIM_400000_NS6detail17trampoline_kernelINS0_14default_configENS1_25partition_config_selectorILNS1_17partition_subalgoE3EtNS0_10empty_typeEbEEZZNS1_14partition_implILS5_3ELb0ES3_jN6thrust23THRUST_200600_302600_NS6detail15normal_iteratorINSA_7pointerItNSA_11hip_rocprim3tagENSA_11use_defaultESG_EEEEPS6_SJ_NS0_5tupleIJPtSJ_EEENSK_IJSJ_SJ_EEES6_PlJ7is_evenItEEEE10hipError_tPvRmT3_T4_T5_T6_T7_T9_mT8_P12ihipStream_tbDpT10_ENKUlT_T0_E_clISt17integral_constantIbLb1EES19_IbLb0EEEEDaS15_S16_EUlS15_E_NS1_11comp_targetILNS1_3genE9ELNS1_11target_archE1100ELNS1_3gpuE3ELNS1_3repE0EEENS1_30default_config_static_selectorELNS0_4arch9wavefront6targetE1EEEvT1_,@function
_ZN7rocprim17ROCPRIM_400000_NS6detail17trampoline_kernelINS0_14default_configENS1_25partition_config_selectorILNS1_17partition_subalgoE3EtNS0_10empty_typeEbEEZZNS1_14partition_implILS5_3ELb0ES3_jN6thrust23THRUST_200600_302600_NS6detail15normal_iteratorINSA_7pointerItNSA_11hip_rocprim3tagENSA_11use_defaultESG_EEEEPS6_SJ_NS0_5tupleIJPtSJ_EEENSK_IJSJ_SJ_EEES6_PlJ7is_evenItEEEE10hipError_tPvRmT3_T4_T5_T6_T7_T9_mT8_P12ihipStream_tbDpT10_ENKUlT_T0_E_clISt17integral_constantIbLb1EES19_IbLb0EEEEDaS15_S16_EUlS15_E_NS1_11comp_targetILNS1_3genE9ELNS1_11target_archE1100ELNS1_3gpuE3ELNS1_3repE0EEENS1_30default_config_static_selectorELNS0_4arch9wavefront6targetE1EEEvT1_: ; @_ZN7rocprim17ROCPRIM_400000_NS6detail17trampoline_kernelINS0_14default_configENS1_25partition_config_selectorILNS1_17partition_subalgoE3EtNS0_10empty_typeEbEEZZNS1_14partition_implILS5_3ELb0ES3_jN6thrust23THRUST_200600_302600_NS6detail15normal_iteratorINSA_7pointerItNSA_11hip_rocprim3tagENSA_11use_defaultESG_EEEEPS6_SJ_NS0_5tupleIJPtSJ_EEENSK_IJSJ_SJ_EEES6_PlJ7is_evenItEEEE10hipError_tPvRmT3_T4_T5_T6_T7_T9_mT8_P12ihipStream_tbDpT10_ENKUlT_T0_E_clISt17integral_constantIbLb1EES19_IbLb0EEEEDaS15_S16_EUlS15_E_NS1_11comp_targetILNS1_3genE9ELNS1_11target_archE1100ELNS1_3gpuE3ELNS1_3repE0EEENS1_30default_config_static_selectorELNS0_4arch9wavefront6targetE1EEEvT1_
; %bb.0:
	.section	.rodata,"a",@progbits
	.p2align	6, 0x0
	.amdhsa_kernel _ZN7rocprim17ROCPRIM_400000_NS6detail17trampoline_kernelINS0_14default_configENS1_25partition_config_selectorILNS1_17partition_subalgoE3EtNS0_10empty_typeEbEEZZNS1_14partition_implILS5_3ELb0ES3_jN6thrust23THRUST_200600_302600_NS6detail15normal_iteratorINSA_7pointerItNSA_11hip_rocprim3tagENSA_11use_defaultESG_EEEEPS6_SJ_NS0_5tupleIJPtSJ_EEENSK_IJSJ_SJ_EEES6_PlJ7is_evenItEEEE10hipError_tPvRmT3_T4_T5_T6_T7_T9_mT8_P12ihipStream_tbDpT10_ENKUlT_T0_E_clISt17integral_constantIbLb1EES19_IbLb0EEEEDaS15_S16_EUlS15_E_NS1_11comp_targetILNS1_3genE9ELNS1_11target_archE1100ELNS1_3gpuE3ELNS1_3repE0EEENS1_30default_config_static_selectorELNS0_4arch9wavefront6targetE1EEEvT1_
		.amdhsa_group_segment_fixed_size 0
		.amdhsa_private_segment_fixed_size 0
		.amdhsa_kernarg_size 120
		.amdhsa_user_sgpr_count 2
		.amdhsa_user_sgpr_dispatch_ptr 0
		.amdhsa_user_sgpr_queue_ptr 0
		.amdhsa_user_sgpr_kernarg_segment_ptr 1
		.amdhsa_user_sgpr_dispatch_id 0
		.amdhsa_user_sgpr_kernarg_preload_length 0
		.amdhsa_user_sgpr_kernarg_preload_offset 0
		.amdhsa_user_sgpr_private_segment_size 0
		.amdhsa_uses_dynamic_stack 0
		.amdhsa_enable_private_segment 0
		.amdhsa_system_sgpr_workgroup_id_x 1
		.amdhsa_system_sgpr_workgroup_id_y 0
		.amdhsa_system_sgpr_workgroup_id_z 0
		.amdhsa_system_sgpr_workgroup_info 0
		.amdhsa_system_vgpr_workitem_id 0
		.amdhsa_next_free_vgpr 1
		.amdhsa_next_free_sgpr 0
		.amdhsa_accum_offset 4
		.amdhsa_reserve_vcc 0
		.amdhsa_float_round_mode_32 0
		.amdhsa_float_round_mode_16_64 0
		.amdhsa_float_denorm_mode_32 3
		.amdhsa_float_denorm_mode_16_64 3
		.amdhsa_dx10_clamp 1
		.amdhsa_ieee_mode 1
		.amdhsa_fp16_overflow 0
		.amdhsa_tg_split 0
		.amdhsa_exception_fp_ieee_invalid_op 0
		.amdhsa_exception_fp_denorm_src 0
		.amdhsa_exception_fp_ieee_div_zero 0
		.amdhsa_exception_fp_ieee_overflow 0
		.amdhsa_exception_fp_ieee_underflow 0
		.amdhsa_exception_fp_ieee_inexact 0
		.amdhsa_exception_int_div_zero 0
	.end_amdhsa_kernel
	.section	.text._ZN7rocprim17ROCPRIM_400000_NS6detail17trampoline_kernelINS0_14default_configENS1_25partition_config_selectorILNS1_17partition_subalgoE3EtNS0_10empty_typeEbEEZZNS1_14partition_implILS5_3ELb0ES3_jN6thrust23THRUST_200600_302600_NS6detail15normal_iteratorINSA_7pointerItNSA_11hip_rocprim3tagENSA_11use_defaultESG_EEEEPS6_SJ_NS0_5tupleIJPtSJ_EEENSK_IJSJ_SJ_EEES6_PlJ7is_evenItEEEE10hipError_tPvRmT3_T4_T5_T6_T7_T9_mT8_P12ihipStream_tbDpT10_ENKUlT_T0_E_clISt17integral_constantIbLb1EES19_IbLb0EEEEDaS15_S16_EUlS15_E_NS1_11comp_targetILNS1_3genE9ELNS1_11target_archE1100ELNS1_3gpuE3ELNS1_3repE0EEENS1_30default_config_static_selectorELNS0_4arch9wavefront6targetE1EEEvT1_,"axG",@progbits,_ZN7rocprim17ROCPRIM_400000_NS6detail17trampoline_kernelINS0_14default_configENS1_25partition_config_selectorILNS1_17partition_subalgoE3EtNS0_10empty_typeEbEEZZNS1_14partition_implILS5_3ELb0ES3_jN6thrust23THRUST_200600_302600_NS6detail15normal_iteratorINSA_7pointerItNSA_11hip_rocprim3tagENSA_11use_defaultESG_EEEEPS6_SJ_NS0_5tupleIJPtSJ_EEENSK_IJSJ_SJ_EEES6_PlJ7is_evenItEEEE10hipError_tPvRmT3_T4_T5_T6_T7_T9_mT8_P12ihipStream_tbDpT10_ENKUlT_T0_E_clISt17integral_constantIbLb1EES19_IbLb0EEEEDaS15_S16_EUlS15_E_NS1_11comp_targetILNS1_3genE9ELNS1_11target_archE1100ELNS1_3gpuE3ELNS1_3repE0EEENS1_30default_config_static_selectorELNS0_4arch9wavefront6targetE1EEEvT1_,comdat
.Lfunc_end1178:
	.size	_ZN7rocprim17ROCPRIM_400000_NS6detail17trampoline_kernelINS0_14default_configENS1_25partition_config_selectorILNS1_17partition_subalgoE3EtNS0_10empty_typeEbEEZZNS1_14partition_implILS5_3ELb0ES3_jN6thrust23THRUST_200600_302600_NS6detail15normal_iteratorINSA_7pointerItNSA_11hip_rocprim3tagENSA_11use_defaultESG_EEEEPS6_SJ_NS0_5tupleIJPtSJ_EEENSK_IJSJ_SJ_EEES6_PlJ7is_evenItEEEE10hipError_tPvRmT3_T4_T5_T6_T7_T9_mT8_P12ihipStream_tbDpT10_ENKUlT_T0_E_clISt17integral_constantIbLb1EES19_IbLb0EEEEDaS15_S16_EUlS15_E_NS1_11comp_targetILNS1_3genE9ELNS1_11target_archE1100ELNS1_3gpuE3ELNS1_3repE0EEENS1_30default_config_static_selectorELNS0_4arch9wavefront6targetE1EEEvT1_, .Lfunc_end1178-_ZN7rocprim17ROCPRIM_400000_NS6detail17trampoline_kernelINS0_14default_configENS1_25partition_config_selectorILNS1_17partition_subalgoE3EtNS0_10empty_typeEbEEZZNS1_14partition_implILS5_3ELb0ES3_jN6thrust23THRUST_200600_302600_NS6detail15normal_iteratorINSA_7pointerItNSA_11hip_rocprim3tagENSA_11use_defaultESG_EEEEPS6_SJ_NS0_5tupleIJPtSJ_EEENSK_IJSJ_SJ_EEES6_PlJ7is_evenItEEEE10hipError_tPvRmT3_T4_T5_T6_T7_T9_mT8_P12ihipStream_tbDpT10_ENKUlT_T0_E_clISt17integral_constantIbLb1EES19_IbLb0EEEEDaS15_S16_EUlS15_E_NS1_11comp_targetILNS1_3genE9ELNS1_11target_archE1100ELNS1_3gpuE3ELNS1_3repE0EEENS1_30default_config_static_selectorELNS0_4arch9wavefront6targetE1EEEvT1_
                                        ; -- End function
	.section	.AMDGPU.csdata,"",@progbits
; Kernel info:
; codeLenInByte = 0
; NumSgprs: 6
; NumVgprs: 0
; NumAgprs: 0
; TotalNumVgprs: 0
; ScratchSize: 0
; MemoryBound: 0
; FloatMode: 240
; IeeeMode: 1
; LDSByteSize: 0 bytes/workgroup (compile time only)
; SGPRBlocks: 0
; VGPRBlocks: 0
; NumSGPRsForWavesPerEU: 6
; NumVGPRsForWavesPerEU: 1
; AccumOffset: 4
; Occupancy: 8
; WaveLimiterHint : 0
; COMPUTE_PGM_RSRC2:SCRATCH_EN: 0
; COMPUTE_PGM_RSRC2:USER_SGPR: 2
; COMPUTE_PGM_RSRC2:TRAP_HANDLER: 0
; COMPUTE_PGM_RSRC2:TGID_X_EN: 1
; COMPUTE_PGM_RSRC2:TGID_Y_EN: 0
; COMPUTE_PGM_RSRC2:TGID_Z_EN: 0
; COMPUTE_PGM_RSRC2:TIDIG_COMP_CNT: 0
; COMPUTE_PGM_RSRC3_GFX90A:ACCUM_OFFSET: 0
; COMPUTE_PGM_RSRC3_GFX90A:TG_SPLIT: 0
	.section	.text._ZN7rocprim17ROCPRIM_400000_NS6detail17trampoline_kernelINS0_14default_configENS1_25partition_config_selectorILNS1_17partition_subalgoE3EtNS0_10empty_typeEbEEZZNS1_14partition_implILS5_3ELb0ES3_jN6thrust23THRUST_200600_302600_NS6detail15normal_iteratorINSA_7pointerItNSA_11hip_rocprim3tagENSA_11use_defaultESG_EEEEPS6_SJ_NS0_5tupleIJPtSJ_EEENSK_IJSJ_SJ_EEES6_PlJ7is_evenItEEEE10hipError_tPvRmT3_T4_T5_T6_T7_T9_mT8_P12ihipStream_tbDpT10_ENKUlT_T0_E_clISt17integral_constantIbLb1EES19_IbLb0EEEEDaS15_S16_EUlS15_E_NS1_11comp_targetILNS1_3genE8ELNS1_11target_archE1030ELNS1_3gpuE2ELNS1_3repE0EEENS1_30default_config_static_selectorELNS0_4arch9wavefront6targetE1EEEvT1_,"axG",@progbits,_ZN7rocprim17ROCPRIM_400000_NS6detail17trampoline_kernelINS0_14default_configENS1_25partition_config_selectorILNS1_17partition_subalgoE3EtNS0_10empty_typeEbEEZZNS1_14partition_implILS5_3ELb0ES3_jN6thrust23THRUST_200600_302600_NS6detail15normal_iteratorINSA_7pointerItNSA_11hip_rocprim3tagENSA_11use_defaultESG_EEEEPS6_SJ_NS0_5tupleIJPtSJ_EEENSK_IJSJ_SJ_EEES6_PlJ7is_evenItEEEE10hipError_tPvRmT3_T4_T5_T6_T7_T9_mT8_P12ihipStream_tbDpT10_ENKUlT_T0_E_clISt17integral_constantIbLb1EES19_IbLb0EEEEDaS15_S16_EUlS15_E_NS1_11comp_targetILNS1_3genE8ELNS1_11target_archE1030ELNS1_3gpuE2ELNS1_3repE0EEENS1_30default_config_static_selectorELNS0_4arch9wavefront6targetE1EEEvT1_,comdat
	.protected	_ZN7rocprim17ROCPRIM_400000_NS6detail17trampoline_kernelINS0_14default_configENS1_25partition_config_selectorILNS1_17partition_subalgoE3EtNS0_10empty_typeEbEEZZNS1_14partition_implILS5_3ELb0ES3_jN6thrust23THRUST_200600_302600_NS6detail15normal_iteratorINSA_7pointerItNSA_11hip_rocprim3tagENSA_11use_defaultESG_EEEEPS6_SJ_NS0_5tupleIJPtSJ_EEENSK_IJSJ_SJ_EEES6_PlJ7is_evenItEEEE10hipError_tPvRmT3_T4_T5_T6_T7_T9_mT8_P12ihipStream_tbDpT10_ENKUlT_T0_E_clISt17integral_constantIbLb1EES19_IbLb0EEEEDaS15_S16_EUlS15_E_NS1_11comp_targetILNS1_3genE8ELNS1_11target_archE1030ELNS1_3gpuE2ELNS1_3repE0EEENS1_30default_config_static_selectorELNS0_4arch9wavefront6targetE1EEEvT1_ ; -- Begin function _ZN7rocprim17ROCPRIM_400000_NS6detail17trampoline_kernelINS0_14default_configENS1_25partition_config_selectorILNS1_17partition_subalgoE3EtNS0_10empty_typeEbEEZZNS1_14partition_implILS5_3ELb0ES3_jN6thrust23THRUST_200600_302600_NS6detail15normal_iteratorINSA_7pointerItNSA_11hip_rocprim3tagENSA_11use_defaultESG_EEEEPS6_SJ_NS0_5tupleIJPtSJ_EEENSK_IJSJ_SJ_EEES6_PlJ7is_evenItEEEE10hipError_tPvRmT3_T4_T5_T6_T7_T9_mT8_P12ihipStream_tbDpT10_ENKUlT_T0_E_clISt17integral_constantIbLb1EES19_IbLb0EEEEDaS15_S16_EUlS15_E_NS1_11comp_targetILNS1_3genE8ELNS1_11target_archE1030ELNS1_3gpuE2ELNS1_3repE0EEENS1_30default_config_static_selectorELNS0_4arch9wavefront6targetE1EEEvT1_
	.globl	_ZN7rocprim17ROCPRIM_400000_NS6detail17trampoline_kernelINS0_14default_configENS1_25partition_config_selectorILNS1_17partition_subalgoE3EtNS0_10empty_typeEbEEZZNS1_14partition_implILS5_3ELb0ES3_jN6thrust23THRUST_200600_302600_NS6detail15normal_iteratorINSA_7pointerItNSA_11hip_rocprim3tagENSA_11use_defaultESG_EEEEPS6_SJ_NS0_5tupleIJPtSJ_EEENSK_IJSJ_SJ_EEES6_PlJ7is_evenItEEEE10hipError_tPvRmT3_T4_T5_T6_T7_T9_mT8_P12ihipStream_tbDpT10_ENKUlT_T0_E_clISt17integral_constantIbLb1EES19_IbLb0EEEEDaS15_S16_EUlS15_E_NS1_11comp_targetILNS1_3genE8ELNS1_11target_archE1030ELNS1_3gpuE2ELNS1_3repE0EEENS1_30default_config_static_selectorELNS0_4arch9wavefront6targetE1EEEvT1_
	.p2align	8
	.type	_ZN7rocprim17ROCPRIM_400000_NS6detail17trampoline_kernelINS0_14default_configENS1_25partition_config_selectorILNS1_17partition_subalgoE3EtNS0_10empty_typeEbEEZZNS1_14partition_implILS5_3ELb0ES3_jN6thrust23THRUST_200600_302600_NS6detail15normal_iteratorINSA_7pointerItNSA_11hip_rocprim3tagENSA_11use_defaultESG_EEEEPS6_SJ_NS0_5tupleIJPtSJ_EEENSK_IJSJ_SJ_EEES6_PlJ7is_evenItEEEE10hipError_tPvRmT3_T4_T5_T6_T7_T9_mT8_P12ihipStream_tbDpT10_ENKUlT_T0_E_clISt17integral_constantIbLb1EES19_IbLb0EEEEDaS15_S16_EUlS15_E_NS1_11comp_targetILNS1_3genE8ELNS1_11target_archE1030ELNS1_3gpuE2ELNS1_3repE0EEENS1_30default_config_static_selectorELNS0_4arch9wavefront6targetE1EEEvT1_,@function
_ZN7rocprim17ROCPRIM_400000_NS6detail17trampoline_kernelINS0_14default_configENS1_25partition_config_selectorILNS1_17partition_subalgoE3EtNS0_10empty_typeEbEEZZNS1_14partition_implILS5_3ELb0ES3_jN6thrust23THRUST_200600_302600_NS6detail15normal_iteratorINSA_7pointerItNSA_11hip_rocprim3tagENSA_11use_defaultESG_EEEEPS6_SJ_NS0_5tupleIJPtSJ_EEENSK_IJSJ_SJ_EEES6_PlJ7is_evenItEEEE10hipError_tPvRmT3_T4_T5_T6_T7_T9_mT8_P12ihipStream_tbDpT10_ENKUlT_T0_E_clISt17integral_constantIbLb1EES19_IbLb0EEEEDaS15_S16_EUlS15_E_NS1_11comp_targetILNS1_3genE8ELNS1_11target_archE1030ELNS1_3gpuE2ELNS1_3repE0EEENS1_30default_config_static_selectorELNS0_4arch9wavefront6targetE1EEEvT1_: ; @_ZN7rocprim17ROCPRIM_400000_NS6detail17trampoline_kernelINS0_14default_configENS1_25partition_config_selectorILNS1_17partition_subalgoE3EtNS0_10empty_typeEbEEZZNS1_14partition_implILS5_3ELb0ES3_jN6thrust23THRUST_200600_302600_NS6detail15normal_iteratorINSA_7pointerItNSA_11hip_rocprim3tagENSA_11use_defaultESG_EEEEPS6_SJ_NS0_5tupleIJPtSJ_EEENSK_IJSJ_SJ_EEES6_PlJ7is_evenItEEEE10hipError_tPvRmT3_T4_T5_T6_T7_T9_mT8_P12ihipStream_tbDpT10_ENKUlT_T0_E_clISt17integral_constantIbLb1EES19_IbLb0EEEEDaS15_S16_EUlS15_E_NS1_11comp_targetILNS1_3genE8ELNS1_11target_archE1030ELNS1_3gpuE2ELNS1_3repE0EEENS1_30default_config_static_selectorELNS0_4arch9wavefront6targetE1EEEvT1_
; %bb.0:
	.section	.rodata,"a",@progbits
	.p2align	6, 0x0
	.amdhsa_kernel _ZN7rocprim17ROCPRIM_400000_NS6detail17trampoline_kernelINS0_14default_configENS1_25partition_config_selectorILNS1_17partition_subalgoE3EtNS0_10empty_typeEbEEZZNS1_14partition_implILS5_3ELb0ES3_jN6thrust23THRUST_200600_302600_NS6detail15normal_iteratorINSA_7pointerItNSA_11hip_rocprim3tagENSA_11use_defaultESG_EEEEPS6_SJ_NS0_5tupleIJPtSJ_EEENSK_IJSJ_SJ_EEES6_PlJ7is_evenItEEEE10hipError_tPvRmT3_T4_T5_T6_T7_T9_mT8_P12ihipStream_tbDpT10_ENKUlT_T0_E_clISt17integral_constantIbLb1EES19_IbLb0EEEEDaS15_S16_EUlS15_E_NS1_11comp_targetILNS1_3genE8ELNS1_11target_archE1030ELNS1_3gpuE2ELNS1_3repE0EEENS1_30default_config_static_selectorELNS0_4arch9wavefront6targetE1EEEvT1_
		.amdhsa_group_segment_fixed_size 0
		.amdhsa_private_segment_fixed_size 0
		.amdhsa_kernarg_size 120
		.amdhsa_user_sgpr_count 2
		.amdhsa_user_sgpr_dispatch_ptr 0
		.amdhsa_user_sgpr_queue_ptr 0
		.amdhsa_user_sgpr_kernarg_segment_ptr 1
		.amdhsa_user_sgpr_dispatch_id 0
		.amdhsa_user_sgpr_kernarg_preload_length 0
		.amdhsa_user_sgpr_kernarg_preload_offset 0
		.amdhsa_user_sgpr_private_segment_size 0
		.amdhsa_uses_dynamic_stack 0
		.amdhsa_enable_private_segment 0
		.amdhsa_system_sgpr_workgroup_id_x 1
		.amdhsa_system_sgpr_workgroup_id_y 0
		.amdhsa_system_sgpr_workgroup_id_z 0
		.amdhsa_system_sgpr_workgroup_info 0
		.amdhsa_system_vgpr_workitem_id 0
		.amdhsa_next_free_vgpr 1
		.amdhsa_next_free_sgpr 0
		.amdhsa_accum_offset 4
		.amdhsa_reserve_vcc 0
		.amdhsa_float_round_mode_32 0
		.amdhsa_float_round_mode_16_64 0
		.amdhsa_float_denorm_mode_32 3
		.amdhsa_float_denorm_mode_16_64 3
		.amdhsa_dx10_clamp 1
		.amdhsa_ieee_mode 1
		.amdhsa_fp16_overflow 0
		.amdhsa_tg_split 0
		.amdhsa_exception_fp_ieee_invalid_op 0
		.amdhsa_exception_fp_denorm_src 0
		.amdhsa_exception_fp_ieee_div_zero 0
		.amdhsa_exception_fp_ieee_overflow 0
		.amdhsa_exception_fp_ieee_underflow 0
		.amdhsa_exception_fp_ieee_inexact 0
		.amdhsa_exception_int_div_zero 0
	.end_amdhsa_kernel
	.section	.text._ZN7rocprim17ROCPRIM_400000_NS6detail17trampoline_kernelINS0_14default_configENS1_25partition_config_selectorILNS1_17partition_subalgoE3EtNS0_10empty_typeEbEEZZNS1_14partition_implILS5_3ELb0ES3_jN6thrust23THRUST_200600_302600_NS6detail15normal_iteratorINSA_7pointerItNSA_11hip_rocprim3tagENSA_11use_defaultESG_EEEEPS6_SJ_NS0_5tupleIJPtSJ_EEENSK_IJSJ_SJ_EEES6_PlJ7is_evenItEEEE10hipError_tPvRmT3_T4_T5_T6_T7_T9_mT8_P12ihipStream_tbDpT10_ENKUlT_T0_E_clISt17integral_constantIbLb1EES19_IbLb0EEEEDaS15_S16_EUlS15_E_NS1_11comp_targetILNS1_3genE8ELNS1_11target_archE1030ELNS1_3gpuE2ELNS1_3repE0EEENS1_30default_config_static_selectorELNS0_4arch9wavefront6targetE1EEEvT1_,"axG",@progbits,_ZN7rocprim17ROCPRIM_400000_NS6detail17trampoline_kernelINS0_14default_configENS1_25partition_config_selectorILNS1_17partition_subalgoE3EtNS0_10empty_typeEbEEZZNS1_14partition_implILS5_3ELb0ES3_jN6thrust23THRUST_200600_302600_NS6detail15normal_iteratorINSA_7pointerItNSA_11hip_rocprim3tagENSA_11use_defaultESG_EEEEPS6_SJ_NS0_5tupleIJPtSJ_EEENSK_IJSJ_SJ_EEES6_PlJ7is_evenItEEEE10hipError_tPvRmT3_T4_T5_T6_T7_T9_mT8_P12ihipStream_tbDpT10_ENKUlT_T0_E_clISt17integral_constantIbLb1EES19_IbLb0EEEEDaS15_S16_EUlS15_E_NS1_11comp_targetILNS1_3genE8ELNS1_11target_archE1030ELNS1_3gpuE2ELNS1_3repE0EEENS1_30default_config_static_selectorELNS0_4arch9wavefront6targetE1EEEvT1_,comdat
.Lfunc_end1179:
	.size	_ZN7rocprim17ROCPRIM_400000_NS6detail17trampoline_kernelINS0_14default_configENS1_25partition_config_selectorILNS1_17partition_subalgoE3EtNS0_10empty_typeEbEEZZNS1_14partition_implILS5_3ELb0ES3_jN6thrust23THRUST_200600_302600_NS6detail15normal_iteratorINSA_7pointerItNSA_11hip_rocprim3tagENSA_11use_defaultESG_EEEEPS6_SJ_NS0_5tupleIJPtSJ_EEENSK_IJSJ_SJ_EEES6_PlJ7is_evenItEEEE10hipError_tPvRmT3_T4_T5_T6_T7_T9_mT8_P12ihipStream_tbDpT10_ENKUlT_T0_E_clISt17integral_constantIbLb1EES19_IbLb0EEEEDaS15_S16_EUlS15_E_NS1_11comp_targetILNS1_3genE8ELNS1_11target_archE1030ELNS1_3gpuE2ELNS1_3repE0EEENS1_30default_config_static_selectorELNS0_4arch9wavefront6targetE1EEEvT1_, .Lfunc_end1179-_ZN7rocprim17ROCPRIM_400000_NS6detail17trampoline_kernelINS0_14default_configENS1_25partition_config_selectorILNS1_17partition_subalgoE3EtNS0_10empty_typeEbEEZZNS1_14partition_implILS5_3ELb0ES3_jN6thrust23THRUST_200600_302600_NS6detail15normal_iteratorINSA_7pointerItNSA_11hip_rocprim3tagENSA_11use_defaultESG_EEEEPS6_SJ_NS0_5tupleIJPtSJ_EEENSK_IJSJ_SJ_EEES6_PlJ7is_evenItEEEE10hipError_tPvRmT3_T4_T5_T6_T7_T9_mT8_P12ihipStream_tbDpT10_ENKUlT_T0_E_clISt17integral_constantIbLb1EES19_IbLb0EEEEDaS15_S16_EUlS15_E_NS1_11comp_targetILNS1_3genE8ELNS1_11target_archE1030ELNS1_3gpuE2ELNS1_3repE0EEENS1_30default_config_static_selectorELNS0_4arch9wavefront6targetE1EEEvT1_
                                        ; -- End function
	.section	.AMDGPU.csdata,"",@progbits
; Kernel info:
; codeLenInByte = 0
; NumSgprs: 6
; NumVgprs: 0
; NumAgprs: 0
; TotalNumVgprs: 0
; ScratchSize: 0
; MemoryBound: 0
; FloatMode: 240
; IeeeMode: 1
; LDSByteSize: 0 bytes/workgroup (compile time only)
; SGPRBlocks: 0
; VGPRBlocks: 0
; NumSGPRsForWavesPerEU: 6
; NumVGPRsForWavesPerEU: 1
; AccumOffset: 4
; Occupancy: 8
; WaveLimiterHint : 0
; COMPUTE_PGM_RSRC2:SCRATCH_EN: 0
; COMPUTE_PGM_RSRC2:USER_SGPR: 2
; COMPUTE_PGM_RSRC2:TRAP_HANDLER: 0
; COMPUTE_PGM_RSRC2:TGID_X_EN: 1
; COMPUTE_PGM_RSRC2:TGID_Y_EN: 0
; COMPUTE_PGM_RSRC2:TGID_Z_EN: 0
; COMPUTE_PGM_RSRC2:TIDIG_COMP_CNT: 0
; COMPUTE_PGM_RSRC3_GFX90A:ACCUM_OFFSET: 0
; COMPUTE_PGM_RSRC3_GFX90A:TG_SPLIT: 0
	.section	.text._ZN7rocprim17ROCPRIM_400000_NS6detail17trampoline_kernelINS0_14default_configENS1_25partition_config_selectorILNS1_17partition_subalgoE3EtNS0_10empty_typeEbEEZZNS1_14partition_implILS5_3ELb0ES3_jN6thrust23THRUST_200600_302600_NS6detail15normal_iteratorINSA_7pointerItNSA_11hip_rocprim3tagENSA_11use_defaultESG_EEEEPS6_SJ_NS0_5tupleIJPtSJ_EEENSK_IJSJ_SJ_EEES6_PlJ7is_evenItEEEE10hipError_tPvRmT3_T4_T5_T6_T7_T9_mT8_P12ihipStream_tbDpT10_ENKUlT_T0_E_clISt17integral_constantIbLb0EES19_IbLb1EEEEDaS15_S16_EUlS15_E_NS1_11comp_targetILNS1_3genE0ELNS1_11target_archE4294967295ELNS1_3gpuE0ELNS1_3repE0EEENS1_30default_config_static_selectorELNS0_4arch9wavefront6targetE1EEEvT1_,"axG",@progbits,_ZN7rocprim17ROCPRIM_400000_NS6detail17trampoline_kernelINS0_14default_configENS1_25partition_config_selectorILNS1_17partition_subalgoE3EtNS0_10empty_typeEbEEZZNS1_14partition_implILS5_3ELb0ES3_jN6thrust23THRUST_200600_302600_NS6detail15normal_iteratorINSA_7pointerItNSA_11hip_rocprim3tagENSA_11use_defaultESG_EEEEPS6_SJ_NS0_5tupleIJPtSJ_EEENSK_IJSJ_SJ_EEES6_PlJ7is_evenItEEEE10hipError_tPvRmT3_T4_T5_T6_T7_T9_mT8_P12ihipStream_tbDpT10_ENKUlT_T0_E_clISt17integral_constantIbLb0EES19_IbLb1EEEEDaS15_S16_EUlS15_E_NS1_11comp_targetILNS1_3genE0ELNS1_11target_archE4294967295ELNS1_3gpuE0ELNS1_3repE0EEENS1_30default_config_static_selectorELNS0_4arch9wavefront6targetE1EEEvT1_,comdat
	.protected	_ZN7rocprim17ROCPRIM_400000_NS6detail17trampoline_kernelINS0_14default_configENS1_25partition_config_selectorILNS1_17partition_subalgoE3EtNS0_10empty_typeEbEEZZNS1_14partition_implILS5_3ELb0ES3_jN6thrust23THRUST_200600_302600_NS6detail15normal_iteratorINSA_7pointerItNSA_11hip_rocprim3tagENSA_11use_defaultESG_EEEEPS6_SJ_NS0_5tupleIJPtSJ_EEENSK_IJSJ_SJ_EEES6_PlJ7is_evenItEEEE10hipError_tPvRmT3_T4_T5_T6_T7_T9_mT8_P12ihipStream_tbDpT10_ENKUlT_T0_E_clISt17integral_constantIbLb0EES19_IbLb1EEEEDaS15_S16_EUlS15_E_NS1_11comp_targetILNS1_3genE0ELNS1_11target_archE4294967295ELNS1_3gpuE0ELNS1_3repE0EEENS1_30default_config_static_selectorELNS0_4arch9wavefront6targetE1EEEvT1_ ; -- Begin function _ZN7rocprim17ROCPRIM_400000_NS6detail17trampoline_kernelINS0_14default_configENS1_25partition_config_selectorILNS1_17partition_subalgoE3EtNS0_10empty_typeEbEEZZNS1_14partition_implILS5_3ELb0ES3_jN6thrust23THRUST_200600_302600_NS6detail15normal_iteratorINSA_7pointerItNSA_11hip_rocprim3tagENSA_11use_defaultESG_EEEEPS6_SJ_NS0_5tupleIJPtSJ_EEENSK_IJSJ_SJ_EEES6_PlJ7is_evenItEEEE10hipError_tPvRmT3_T4_T5_T6_T7_T9_mT8_P12ihipStream_tbDpT10_ENKUlT_T0_E_clISt17integral_constantIbLb0EES19_IbLb1EEEEDaS15_S16_EUlS15_E_NS1_11comp_targetILNS1_3genE0ELNS1_11target_archE4294967295ELNS1_3gpuE0ELNS1_3repE0EEENS1_30default_config_static_selectorELNS0_4arch9wavefront6targetE1EEEvT1_
	.globl	_ZN7rocprim17ROCPRIM_400000_NS6detail17trampoline_kernelINS0_14default_configENS1_25partition_config_selectorILNS1_17partition_subalgoE3EtNS0_10empty_typeEbEEZZNS1_14partition_implILS5_3ELb0ES3_jN6thrust23THRUST_200600_302600_NS6detail15normal_iteratorINSA_7pointerItNSA_11hip_rocprim3tagENSA_11use_defaultESG_EEEEPS6_SJ_NS0_5tupleIJPtSJ_EEENSK_IJSJ_SJ_EEES6_PlJ7is_evenItEEEE10hipError_tPvRmT3_T4_T5_T6_T7_T9_mT8_P12ihipStream_tbDpT10_ENKUlT_T0_E_clISt17integral_constantIbLb0EES19_IbLb1EEEEDaS15_S16_EUlS15_E_NS1_11comp_targetILNS1_3genE0ELNS1_11target_archE4294967295ELNS1_3gpuE0ELNS1_3repE0EEENS1_30default_config_static_selectorELNS0_4arch9wavefront6targetE1EEEvT1_
	.p2align	8
	.type	_ZN7rocprim17ROCPRIM_400000_NS6detail17trampoline_kernelINS0_14default_configENS1_25partition_config_selectorILNS1_17partition_subalgoE3EtNS0_10empty_typeEbEEZZNS1_14partition_implILS5_3ELb0ES3_jN6thrust23THRUST_200600_302600_NS6detail15normal_iteratorINSA_7pointerItNSA_11hip_rocprim3tagENSA_11use_defaultESG_EEEEPS6_SJ_NS0_5tupleIJPtSJ_EEENSK_IJSJ_SJ_EEES6_PlJ7is_evenItEEEE10hipError_tPvRmT3_T4_T5_T6_T7_T9_mT8_P12ihipStream_tbDpT10_ENKUlT_T0_E_clISt17integral_constantIbLb0EES19_IbLb1EEEEDaS15_S16_EUlS15_E_NS1_11comp_targetILNS1_3genE0ELNS1_11target_archE4294967295ELNS1_3gpuE0ELNS1_3repE0EEENS1_30default_config_static_selectorELNS0_4arch9wavefront6targetE1EEEvT1_,@function
_ZN7rocprim17ROCPRIM_400000_NS6detail17trampoline_kernelINS0_14default_configENS1_25partition_config_selectorILNS1_17partition_subalgoE3EtNS0_10empty_typeEbEEZZNS1_14partition_implILS5_3ELb0ES3_jN6thrust23THRUST_200600_302600_NS6detail15normal_iteratorINSA_7pointerItNSA_11hip_rocprim3tagENSA_11use_defaultESG_EEEEPS6_SJ_NS0_5tupleIJPtSJ_EEENSK_IJSJ_SJ_EEES6_PlJ7is_evenItEEEE10hipError_tPvRmT3_T4_T5_T6_T7_T9_mT8_P12ihipStream_tbDpT10_ENKUlT_T0_E_clISt17integral_constantIbLb0EES19_IbLb1EEEEDaS15_S16_EUlS15_E_NS1_11comp_targetILNS1_3genE0ELNS1_11target_archE4294967295ELNS1_3gpuE0ELNS1_3repE0EEENS1_30default_config_static_selectorELNS0_4arch9wavefront6targetE1EEEvT1_: ; @_ZN7rocprim17ROCPRIM_400000_NS6detail17trampoline_kernelINS0_14default_configENS1_25partition_config_selectorILNS1_17partition_subalgoE3EtNS0_10empty_typeEbEEZZNS1_14partition_implILS5_3ELb0ES3_jN6thrust23THRUST_200600_302600_NS6detail15normal_iteratorINSA_7pointerItNSA_11hip_rocprim3tagENSA_11use_defaultESG_EEEEPS6_SJ_NS0_5tupleIJPtSJ_EEENSK_IJSJ_SJ_EEES6_PlJ7is_evenItEEEE10hipError_tPvRmT3_T4_T5_T6_T7_T9_mT8_P12ihipStream_tbDpT10_ENKUlT_T0_E_clISt17integral_constantIbLb0EES19_IbLb1EEEEDaS15_S16_EUlS15_E_NS1_11comp_targetILNS1_3genE0ELNS1_11target_archE4294967295ELNS1_3gpuE0ELNS1_3repE0EEENS1_30default_config_static_selectorELNS0_4arch9wavefront6targetE1EEEvT1_
; %bb.0:
	.section	.rodata,"a",@progbits
	.p2align	6, 0x0
	.amdhsa_kernel _ZN7rocprim17ROCPRIM_400000_NS6detail17trampoline_kernelINS0_14default_configENS1_25partition_config_selectorILNS1_17partition_subalgoE3EtNS0_10empty_typeEbEEZZNS1_14partition_implILS5_3ELb0ES3_jN6thrust23THRUST_200600_302600_NS6detail15normal_iteratorINSA_7pointerItNSA_11hip_rocprim3tagENSA_11use_defaultESG_EEEEPS6_SJ_NS0_5tupleIJPtSJ_EEENSK_IJSJ_SJ_EEES6_PlJ7is_evenItEEEE10hipError_tPvRmT3_T4_T5_T6_T7_T9_mT8_P12ihipStream_tbDpT10_ENKUlT_T0_E_clISt17integral_constantIbLb0EES19_IbLb1EEEEDaS15_S16_EUlS15_E_NS1_11comp_targetILNS1_3genE0ELNS1_11target_archE4294967295ELNS1_3gpuE0ELNS1_3repE0EEENS1_30default_config_static_selectorELNS0_4arch9wavefront6targetE1EEEvT1_
		.amdhsa_group_segment_fixed_size 0
		.amdhsa_private_segment_fixed_size 0
		.amdhsa_kernarg_size 136
		.amdhsa_user_sgpr_count 2
		.amdhsa_user_sgpr_dispatch_ptr 0
		.amdhsa_user_sgpr_queue_ptr 0
		.amdhsa_user_sgpr_kernarg_segment_ptr 1
		.amdhsa_user_sgpr_dispatch_id 0
		.amdhsa_user_sgpr_kernarg_preload_length 0
		.amdhsa_user_sgpr_kernarg_preload_offset 0
		.amdhsa_user_sgpr_private_segment_size 0
		.amdhsa_uses_dynamic_stack 0
		.amdhsa_enable_private_segment 0
		.amdhsa_system_sgpr_workgroup_id_x 1
		.amdhsa_system_sgpr_workgroup_id_y 0
		.amdhsa_system_sgpr_workgroup_id_z 0
		.amdhsa_system_sgpr_workgroup_info 0
		.amdhsa_system_vgpr_workitem_id 0
		.amdhsa_next_free_vgpr 1
		.amdhsa_next_free_sgpr 0
		.amdhsa_accum_offset 4
		.amdhsa_reserve_vcc 0
		.amdhsa_float_round_mode_32 0
		.amdhsa_float_round_mode_16_64 0
		.amdhsa_float_denorm_mode_32 3
		.amdhsa_float_denorm_mode_16_64 3
		.amdhsa_dx10_clamp 1
		.amdhsa_ieee_mode 1
		.amdhsa_fp16_overflow 0
		.amdhsa_tg_split 0
		.amdhsa_exception_fp_ieee_invalid_op 0
		.amdhsa_exception_fp_denorm_src 0
		.amdhsa_exception_fp_ieee_div_zero 0
		.amdhsa_exception_fp_ieee_overflow 0
		.amdhsa_exception_fp_ieee_underflow 0
		.amdhsa_exception_fp_ieee_inexact 0
		.amdhsa_exception_int_div_zero 0
	.end_amdhsa_kernel
	.section	.text._ZN7rocprim17ROCPRIM_400000_NS6detail17trampoline_kernelINS0_14default_configENS1_25partition_config_selectorILNS1_17partition_subalgoE3EtNS0_10empty_typeEbEEZZNS1_14partition_implILS5_3ELb0ES3_jN6thrust23THRUST_200600_302600_NS6detail15normal_iteratorINSA_7pointerItNSA_11hip_rocprim3tagENSA_11use_defaultESG_EEEEPS6_SJ_NS0_5tupleIJPtSJ_EEENSK_IJSJ_SJ_EEES6_PlJ7is_evenItEEEE10hipError_tPvRmT3_T4_T5_T6_T7_T9_mT8_P12ihipStream_tbDpT10_ENKUlT_T0_E_clISt17integral_constantIbLb0EES19_IbLb1EEEEDaS15_S16_EUlS15_E_NS1_11comp_targetILNS1_3genE0ELNS1_11target_archE4294967295ELNS1_3gpuE0ELNS1_3repE0EEENS1_30default_config_static_selectorELNS0_4arch9wavefront6targetE1EEEvT1_,"axG",@progbits,_ZN7rocprim17ROCPRIM_400000_NS6detail17trampoline_kernelINS0_14default_configENS1_25partition_config_selectorILNS1_17partition_subalgoE3EtNS0_10empty_typeEbEEZZNS1_14partition_implILS5_3ELb0ES3_jN6thrust23THRUST_200600_302600_NS6detail15normal_iteratorINSA_7pointerItNSA_11hip_rocprim3tagENSA_11use_defaultESG_EEEEPS6_SJ_NS0_5tupleIJPtSJ_EEENSK_IJSJ_SJ_EEES6_PlJ7is_evenItEEEE10hipError_tPvRmT3_T4_T5_T6_T7_T9_mT8_P12ihipStream_tbDpT10_ENKUlT_T0_E_clISt17integral_constantIbLb0EES19_IbLb1EEEEDaS15_S16_EUlS15_E_NS1_11comp_targetILNS1_3genE0ELNS1_11target_archE4294967295ELNS1_3gpuE0ELNS1_3repE0EEENS1_30default_config_static_selectorELNS0_4arch9wavefront6targetE1EEEvT1_,comdat
.Lfunc_end1180:
	.size	_ZN7rocprim17ROCPRIM_400000_NS6detail17trampoline_kernelINS0_14default_configENS1_25partition_config_selectorILNS1_17partition_subalgoE3EtNS0_10empty_typeEbEEZZNS1_14partition_implILS5_3ELb0ES3_jN6thrust23THRUST_200600_302600_NS6detail15normal_iteratorINSA_7pointerItNSA_11hip_rocprim3tagENSA_11use_defaultESG_EEEEPS6_SJ_NS0_5tupleIJPtSJ_EEENSK_IJSJ_SJ_EEES6_PlJ7is_evenItEEEE10hipError_tPvRmT3_T4_T5_T6_T7_T9_mT8_P12ihipStream_tbDpT10_ENKUlT_T0_E_clISt17integral_constantIbLb0EES19_IbLb1EEEEDaS15_S16_EUlS15_E_NS1_11comp_targetILNS1_3genE0ELNS1_11target_archE4294967295ELNS1_3gpuE0ELNS1_3repE0EEENS1_30default_config_static_selectorELNS0_4arch9wavefront6targetE1EEEvT1_, .Lfunc_end1180-_ZN7rocprim17ROCPRIM_400000_NS6detail17trampoline_kernelINS0_14default_configENS1_25partition_config_selectorILNS1_17partition_subalgoE3EtNS0_10empty_typeEbEEZZNS1_14partition_implILS5_3ELb0ES3_jN6thrust23THRUST_200600_302600_NS6detail15normal_iteratorINSA_7pointerItNSA_11hip_rocprim3tagENSA_11use_defaultESG_EEEEPS6_SJ_NS0_5tupleIJPtSJ_EEENSK_IJSJ_SJ_EEES6_PlJ7is_evenItEEEE10hipError_tPvRmT3_T4_T5_T6_T7_T9_mT8_P12ihipStream_tbDpT10_ENKUlT_T0_E_clISt17integral_constantIbLb0EES19_IbLb1EEEEDaS15_S16_EUlS15_E_NS1_11comp_targetILNS1_3genE0ELNS1_11target_archE4294967295ELNS1_3gpuE0ELNS1_3repE0EEENS1_30default_config_static_selectorELNS0_4arch9wavefront6targetE1EEEvT1_
                                        ; -- End function
	.section	.AMDGPU.csdata,"",@progbits
; Kernel info:
; codeLenInByte = 0
; NumSgprs: 6
; NumVgprs: 0
; NumAgprs: 0
; TotalNumVgprs: 0
; ScratchSize: 0
; MemoryBound: 0
; FloatMode: 240
; IeeeMode: 1
; LDSByteSize: 0 bytes/workgroup (compile time only)
; SGPRBlocks: 0
; VGPRBlocks: 0
; NumSGPRsForWavesPerEU: 6
; NumVGPRsForWavesPerEU: 1
; AccumOffset: 4
; Occupancy: 8
; WaveLimiterHint : 0
; COMPUTE_PGM_RSRC2:SCRATCH_EN: 0
; COMPUTE_PGM_RSRC2:USER_SGPR: 2
; COMPUTE_PGM_RSRC2:TRAP_HANDLER: 0
; COMPUTE_PGM_RSRC2:TGID_X_EN: 1
; COMPUTE_PGM_RSRC2:TGID_Y_EN: 0
; COMPUTE_PGM_RSRC2:TGID_Z_EN: 0
; COMPUTE_PGM_RSRC2:TIDIG_COMP_CNT: 0
; COMPUTE_PGM_RSRC3_GFX90A:ACCUM_OFFSET: 0
; COMPUTE_PGM_RSRC3_GFX90A:TG_SPLIT: 0
	.section	.text._ZN7rocprim17ROCPRIM_400000_NS6detail17trampoline_kernelINS0_14default_configENS1_25partition_config_selectorILNS1_17partition_subalgoE3EtNS0_10empty_typeEbEEZZNS1_14partition_implILS5_3ELb0ES3_jN6thrust23THRUST_200600_302600_NS6detail15normal_iteratorINSA_7pointerItNSA_11hip_rocprim3tagENSA_11use_defaultESG_EEEEPS6_SJ_NS0_5tupleIJPtSJ_EEENSK_IJSJ_SJ_EEES6_PlJ7is_evenItEEEE10hipError_tPvRmT3_T4_T5_T6_T7_T9_mT8_P12ihipStream_tbDpT10_ENKUlT_T0_E_clISt17integral_constantIbLb0EES19_IbLb1EEEEDaS15_S16_EUlS15_E_NS1_11comp_targetILNS1_3genE5ELNS1_11target_archE942ELNS1_3gpuE9ELNS1_3repE0EEENS1_30default_config_static_selectorELNS0_4arch9wavefront6targetE1EEEvT1_,"axG",@progbits,_ZN7rocprim17ROCPRIM_400000_NS6detail17trampoline_kernelINS0_14default_configENS1_25partition_config_selectorILNS1_17partition_subalgoE3EtNS0_10empty_typeEbEEZZNS1_14partition_implILS5_3ELb0ES3_jN6thrust23THRUST_200600_302600_NS6detail15normal_iteratorINSA_7pointerItNSA_11hip_rocprim3tagENSA_11use_defaultESG_EEEEPS6_SJ_NS0_5tupleIJPtSJ_EEENSK_IJSJ_SJ_EEES6_PlJ7is_evenItEEEE10hipError_tPvRmT3_T4_T5_T6_T7_T9_mT8_P12ihipStream_tbDpT10_ENKUlT_T0_E_clISt17integral_constantIbLb0EES19_IbLb1EEEEDaS15_S16_EUlS15_E_NS1_11comp_targetILNS1_3genE5ELNS1_11target_archE942ELNS1_3gpuE9ELNS1_3repE0EEENS1_30default_config_static_selectorELNS0_4arch9wavefront6targetE1EEEvT1_,comdat
	.protected	_ZN7rocprim17ROCPRIM_400000_NS6detail17trampoline_kernelINS0_14default_configENS1_25partition_config_selectorILNS1_17partition_subalgoE3EtNS0_10empty_typeEbEEZZNS1_14partition_implILS5_3ELb0ES3_jN6thrust23THRUST_200600_302600_NS6detail15normal_iteratorINSA_7pointerItNSA_11hip_rocprim3tagENSA_11use_defaultESG_EEEEPS6_SJ_NS0_5tupleIJPtSJ_EEENSK_IJSJ_SJ_EEES6_PlJ7is_evenItEEEE10hipError_tPvRmT3_T4_T5_T6_T7_T9_mT8_P12ihipStream_tbDpT10_ENKUlT_T0_E_clISt17integral_constantIbLb0EES19_IbLb1EEEEDaS15_S16_EUlS15_E_NS1_11comp_targetILNS1_3genE5ELNS1_11target_archE942ELNS1_3gpuE9ELNS1_3repE0EEENS1_30default_config_static_selectorELNS0_4arch9wavefront6targetE1EEEvT1_ ; -- Begin function _ZN7rocprim17ROCPRIM_400000_NS6detail17trampoline_kernelINS0_14default_configENS1_25partition_config_selectorILNS1_17partition_subalgoE3EtNS0_10empty_typeEbEEZZNS1_14partition_implILS5_3ELb0ES3_jN6thrust23THRUST_200600_302600_NS6detail15normal_iteratorINSA_7pointerItNSA_11hip_rocprim3tagENSA_11use_defaultESG_EEEEPS6_SJ_NS0_5tupleIJPtSJ_EEENSK_IJSJ_SJ_EEES6_PlJ7is_evenItEEEE10hipError_tPvRmT3_T4_T5_T6_T7_T9_mT8_P12ihipStream_tbDpT10_ENKUlT_T0_E_clISt17integral_constantIbLb0EES19_IbLb1EEEEDaS15_S16_EUlS15_E_NS1_11comp_targetILNS1_3genE5ELNS1_11target_archE942ELNS1_3gpuE9ELNS1_3repE0EEENS1_30default_config_static_selectorELNS0_4arch9wavefront6targetE1EEEvT1_
	.globl	_ZN7rocprim17ROCPRIM_400000_NS6detail17trampoline_kernelINS0_14default_configENS1_25partition_config_selectorILNS1_17partition_subalgoE3EtNS0_10empty_typeEbEEZZNS1_14partition_implILS5_3ELb0ES3_jN6thrust23THRUST_200600_302600_NS6detail15normal_iteratorINSA_7pointerItNSA_11hip_rocprim3tagENSA_11use_defaultESG_EEEEPS6_SJ_NS0_5tupleIJPtSJ_EEENSK_IJSJ_SJ_EEES6_PlJ7is_evenItEEEE10hipError_tPvRmT3_T4_T5_T6_T7_T9_mT8_P12ihipStream_tbDpT10_ENKUlT_T0_E_clISt17integral_constantIbLb0EES19_IbLb1EEEEDaS15_S16_EUlS15_E_NS1_11comp_targetILNS1_3genE5ELNS1_11target_archE942ELNS1_3gpuE9ELNS1_3repE0EEENS1_30default_config_static_selectorELNS0_4arch9wavefront6targetE1EEEvT1_
	.p2align	8
	.type	_ZN7rocprim17ROCPRIM_400000_NS6detail17trampoline_kernelINS0_14default_configENS1_25partition_config_selectorILNS1_17partition_subalgoE3EtNS0_10empty_typeEbEEZZNS1_14partition_implILS5_3ELb0ES3_jN6thrust23THRUST_200600_302600_NS6detail15normal_iteratorINSA_7pointerItNSA_11hip_rocprim3tagENSA_11use_defaultESG_EEEEPS6_SJ_NS0_5tupleIJPtSJ_EEENSK_IJSJ_SJ_EEES6_PlJ7is_evenItEEEE10hipError_tPvRmT3_T4_T5_T6_T7_T9_mT8_P12ihipStream_tbDpT10_ENKUlT_T0_E_clISt17integral_constantIbLb0EES19_IbLb1EEEEDaS15_S16_EUlS15_E_NS1_11comp_targetILNS1_3genE5ELNS1_11target_archE942ELNS1_3gpuE9ELNS1_3repE0EEENS1_30default_config_static_selectorELNS0_4arch9wavefront6targetE1EEEvT1_,@function
_ZN7rocprim17ROCPRIM_400000_NS6detail17trampoline_kernelINS0_14default_configENS1_25partition_config_selectorILNS1_17partition_subalgoE3EtNS0_10empty_typeEbEEZZNS1_14partition_implILS5_3ELb0ES3_jN6thrust23THRUST_200600_302600_NS6detail15normal_iteratorINSA_7pointerItNSA_11hip_rocprim3tagENSA_11use_defaultESG_EEEEPS6_SJ_NS0_5tupleIJPtSJ_EEENSK_IJSJ_SJ_EEES6_PlJ7is_evenItEEEE10hipError_tPvRmT3_T4_T5_T6_T7_T9_mT8_P12ihipStream_tbDpT10_ENKUlT_T0_E_clISt17integral_constantIbLb0EES19_IbLb1EEEEDaS15_S16_EUlS15_E_NS1_11comp_targetILNS1_3genE5ELNS1_11target_archE942ELNS1_3gpuE9ELNS1_3repE0EEENS1_30default_config_static_selectorELNS0_4arch9wavefront6targetE1EEEvT1_: ; @_ZN7rocprim17ROCPRIM_400000_NS6detail17trampoline_kernelINS0_14default_configENS1_25partition_config_selectorILNS1_17partition_subalgoE3EtNS0_10empty_typeEbEEZZNS1_14partition_implILS5_3ELb0ES3_jN6thrust23THRUST_200600_302600_NS6detail15normal_iteratorINSA_7pointerItNSA_11hip_rocprim3tagENSA_11use_defaultESG_EEEEPS6_SJ_NS0_5tupleIJPtSJ_EEENSK_IJSJ_SJ_EEES6_PlJ7is_evenItEEEE10hipError_tPvRmT3_T4_T5_T6_T7_T9_mT8_P12ihipStream_tbDpT10_ENKUlT_T0_E_clISt17integral_constantIbLb0EES19_IbLb1EEEEDaS15_S16_EUlS15_E_NS1_11comp_targetILNS1_3genE5ELNS1_11target_archE942ELNS1_3gpuE9ELNS1_3repE0EEENS1_30default_config_static_selectorELNS0_4arch9wavefront6targetE1EEEvT1_
; %bb.0:
	s_load_dwordx2 s[22:23], s[0:1], 0x28
	s_load_dwordx4 s[24:27], s[0:1], 0x48
	s_load_dwordx2 s[34:35], s[0:1], 0x58
	s_load_dwordx2 s[36:37], s[0:1], 0x68
	v_cmp_eq_u32_e64 s[20:21], 0, v0
	s_and_saveexec_b64 s[2:3], s[20:21]
	s_cbranch_execz .LBB1181_4
; %bb.1:
	s_mov_b64 s[6:7], exec
	v_mbcnt_lo_u32_b32 v1, s6, 0
	v_mbcnt_hi_u32_b32 v1, s7, v1
	v_cmp_eq_u32_e32 vcc, 0, v1
                                        ; implicit-def: $vgpr2
	s_and_saveexec_b64 s[4:5], vcc
	s_cbranch_execz .LBB1181_3
; %bb.2:
	s_load_dwordx2 s[8:9], s[0:1], 0x78
	s_bcnt1_i32_b64 s6, s[6:7]
	v_mov_b32_e32 v2, 0
	v_mov_b32_e32 v3, s6
	s_waitcnt lgkmcnt(0)
	global_atomic_add v2, v2, v3, s[8:9] sc0
.LBB1181_3:
	s_or_b64 exec, exec, s[4:5]
	s_waitcnt vmcnt(0)
	v_readfirstlane_b32 s4, v2
	v_mov_b32_e32 v2, 0
	s_nop 0
	v_add_u32_e32 v1, s4, v1
	ds_write_b32 v2, v1
.LBB1181_4:
	s_or_b64 exec, exec, s[2:3]
	v_mov_b32_e32 v9, 0
	s_load_dwordx4 s[28:31], s[0:1], 0x8
	s_load_dword s2, s[0:1], 0x70
	s_waitcnt lgkmcnt(0)
	s_barrier
	ds_read_b32 v1, v9
	s_waitcnt lgkmcnt(0)
	s_barrier
	global_load_dwordx2 v[4:5], v9, s[26:27]
	s_lshl_b64 s[0:1], s[30:31], 1
	s_add_u32 s0, s28, s0
	s_addc_u32 s1, s29, s1
	s_movk_i32 s3, 0x3c00
	s_add_i32 s4, s2, -1
	s_mulk_i32 s2, 0x3c00
	v_mul_lo_u32 v8, v1, s3
	s_add_i32 s3, s2, s30
	s_sub_i32 s33, s34, s3
	s_addk_i32 s33, 0x3c00
	s_add_u32 s2, s30, s2
	v_readfirstlane_b32 s40, v1
	s_addc_u32 s3, s31, 0
	s_cmp_eq_u32 s40, s4
	v_mov_b64_e32 v[2:3], s[34:35]
	s_cselect_b64 s[26:27], -1, 0
	s_cmp_lg_u32 s40, s4
	v_cmp_lt_u64_e32 vcc, s[2:3], v[2:3]
	s_cselect_b64 s[2:3], -1, 0
	s_or_b64 s[4:5], vcc, s[2:3]
	v_lshlrev_b64 v[2:3], 1, v[8:9]
	v_lshl_add_u64 v[2:3], s[0:1], 0, v[2:3]
	s_mov_b64 s[0:1], -1
	s_and_b64 vcc, exec, s[4:5]
	v_lshlrev_b32_e32 v18, 1, v0
	s_cbranch_vccz .LBB1181_6
; %bb.5:
	v_mov_b32_e32 v19, v9
	v_lshl_add_u64 v[6:7], v[2:3], 0, v[18:19]
	v_add_co_u32_e32 v10, vcc, 0x1000, v6
	s_mov_b64 s[0:1], 0
	s_nop 0
	v_addc_co_u32_e32 v11, vcc, 0, v7, vcc
	flat_load_ushort v1, v[6:7]
	flat_load_ushort v14, v[6:7] offset:1024
	flat_load_ushort v15, v[6:7] offset:2048
	flat_load_ushort v16, v[6:7] offset:3072
	flat_load_ushort v17, v[10:11]
	flat_load_ushort v19, v[10:11] offset:1024
	flat_load_ushort v20, v[10:11] offset:2048
	flat_load_ushort v21, v[10:11] offset:3072
	v_add_co_u32_e32 v10, vcc, 0x2000, v6
	s_nop 1
	v_addc_co_u32_e32 v11, vcc, 0, v7, vcc
	v_add_co_u32_e32 v12, vcc, 0x3000, v6
	s_nop 1
	v_addc_co_u32_e32 v13, vcc, 0, v7, vcc
	flat_load_ushort v22, v[10:11]
	flat_load_ushort v23, v[10:11] offset:1024
	flat_load_ushort v24, v[10:11] offset:2048
	flat_load_ushort v25, v[10:11] offset:3072
	flat_load_ushort v26, v[12:13]
	flat_load_ushort v27, v[12:13] offset:1024
	flat_load_ushort v28, v[12:13] offset:2048
	flat_load_ushort v29, v[12:13] offset:3072
	v_add_co_u32_e32 v10, vcc, 0x4000, v6
	s_nop 1
	v_addc_co_u32_e32 v11, vcc, 0, v7, vcc
	v_add_co_u32_e32 v12, vcc, 0x5000, v6
	;; [unrolled: 14-line block ×3, first 2 shown]
	s_nop 1
	v_addc_co_u32_e32 v7, vcc, 0, v7, vcc
	flat_load_ushort v12, v[10:11]
	flat_load_ushort v13, v[10:11] offset:1024
	flat_load_ushort v38, v[10:11] offset:2048
	;; [unrolled: 1-line block ×3, first 2 shown]
	flat_load_ushort v40, v[6:7]
	flat_load_ushort v41, v[6:7] offset:1024
	s_waitcnt vmcnt(0) lgkmcnt(0)
	ds_write_b16 v18, v1
	ds_write_b16 v18, v14 offset:1024
	ds_write_b16 v18, v15 offset:2048
	;; [unrolled: 1-line block ×29, first 2 shown]
	s_waitcnt lgkmcnt(0)
	s_barrier
.LBB1181_6:
	s_andn2_b64 vcc, exec, s[0:1]
	v_cmp_gt_u32_e64 s[0:1], s33, v0
	s_cbranch_vccnz .LBB1181_68
; %bb.7:
                                        ; implicit-def: $vgpr1
	s_and_saveexec_b64 s[2:3], s[0:1]
	s_cbranch_execz .LBB1181_9
; %bb.8:
	v_mov_b32_e32 v19, 0
	v_lshl_add_u64 v[6:7], v[2:3], 0, v[18:19]
	flat_load_ushort v1, v[6:7]
.LBB1181_9:
	s_or_b64 exec, exec, s[2:3]
	v_or_b32_e32 v6, 0x200, v0
	v_cmp_gt_u32_e32 vcc, s33, v6
                                        ; implicit-def: $vgpr6
	s_and_saveexec_b64 s[0:1], vcc
	s_cbranch_execz .LBB1181_11
; %bb.10:
	v_mov_b32_e32 v19, 0
	v_lshl_add_u64 v[6:7], v[2:3], 0, v[18:19]
	flat_load_ushort v6, v[6:7] offset:1024
.LBB1181_11:
	s_or_b64 exec, exec, s[0:1]
	v_or_b32_e32 v7, 0x400, v0
	v_cmp_gt_u32_e32 vcc, s33, v7
                                        ; implicit-def: $vgpr7
	s_and_saveexec_b64 s[0:1], vcc
	s_cbranch_execz .LBB1181_13
; %bb.12:
	v_mov_b32_e32 v19, 0
	v_lshl_add_u64 v[10:11], v[2:3], 0, v[18:19]
	flat_load_ushort v7, v[10:11] offset:2048
.LBB1181_13:
	s_or_b64 exec, exec, s[0:1]
	v_or_b32_e32 v10, 0x600, v0
	v_cmp_gt_u32_e32 vcc, s33, v10
                                        ; implicit-def: $vgpr10
	s_and_saveexec_b64 s[0:1], vcc
	s_cbranch_execz .LBB1181_15
; %bb.14:
	v_mov_b32_e32 v19, 0
	v_lshl_add_u64 v[10:11], v[2:3], 0, v[18:19]
	flat_load_ushort v10, v[10:11] offset:3072
.LBB1181_15:
	s_or_b64 exec, exec, s[0:1]
	v_or_b32_e32 v12, 0x800, v0
	v_cmp_gt_u32_e32 vcc, s33, v12
                                        ; implicit-def: $vgpr11
	s_and_saveexec_b64 s[0:1], vcc
	s_cbranch_execz .LBB1181_17
; %bb.16:
	v_lshlrev_b32_e32 v12, 1, v12
	v_mov_b32_e32 v13, 0
	v_lshl_add_u64 v[12:13], v[2:3], 0, v[12:13]
	flat_load_ushort v11, v[12:13]
.LBB1181_17:
	s_or_b64 exec, exec, s[0:1]
	v_or_b32_e32 v13, 0xa00, v0
	v_cmp_gt_u32_e32 vcc, s33, v13
                                        ; implicit-def: $vgpr12
	s_and_saveexec_b64 s[0:1], vcc
	s_cbranch_execz .LBB1181_19
; %bb.18:
	v_lshlrev_b32_e32 v12, 1, v13
	v_mov_b32_e32 v13, 0
	v_lshl_add_u64 v[12:13], v[2:3], 0, v[12:13]
	flat_load_ushort v12, v[12:13]
.LBB1181_19:
	s_or_b64 exec, exec, s[0:1]
	v_or_b32_e32 v14, 0xc00, v0
	v_cmp_gt_u32_e32 vcc, s33, v14
                                        ; implicit-def: $vgpr13
	s_and_saveexec_b64 s[0:1], vcc
	s_cbranch_execz .LBB1181_21
; %bb.20:
	v_lshlrev_b32_e32 v14, 1, v14
	v_mov_b32_e32 v15, 0
	v_lshl_add_u64 v[14:15], v[2:3], 0, v[14:15]
	flat_load_ushort v13, v[14:15]
.LBB1181_21:
	s_or_b64 exec, exec, s[0:1]
	v_or_b32_e32 v15, 0xe00, v0
	v_cmp_gt_u32_e32 vcc, s33, v15
                                        ; implicit-def: $vgpr14
	s_and_saveexec_b64 s[0:1], vcc
	s_cbranch_execz .LBB1181_23
; %bb.22:
	v_lshlrev_b32_e32 v14, 1, v15
	v_mov_b32_e32 v15, 0
	v_lshl_add_u64 v[14:15], v[2:3], 0, v[14:15]
	flat_load_ushort v14, v[14:15]
.LBB1181_23:
	s_or_b64 exec, exec, s[0:1]
	v_or_b32_e32 v16, 0x1000, v0
	v_cmp_gt_u32_e32 vcc, s33, v16
                                        ; implicit-def: $vgpr15
	s_and_saveexec_b64 s[0:1], vcc
	s_cbranch_execz .LBB1181_25
; %bb.24:
	v_lshlrev_b32_e32 v16, 1, v16
	v_mov_b32_e32 v17, 0
	v_lshl_add_u64 v[16:17], v[2:3], 0, v[16:17]
	flat_load_ushort v15, v[16:17]
.LBB1181_25:
	s_or_b64 exec, exec, s[0:1]
	v_or_b32_e32 v17, 0x1200, v0
	v_cmp_gt_u32_e32 vcc, s33, v17
                                        ; implicit-def: $vgpr16
	s_and_saveexec_b64 s[0:1], vcc
	s_cbranch_execz .LBB1181_27
; %bb.26:
	v_lshlrev_b32_e32 v16, 1, v17
	v_mov_b32_e32 v17, 0
	v_lshl_add_u64 v[16:17], v[2:3], 0, v[16:17]
	flat_load_ushort v16, v[16:17]
.LBB1181_27:
	s_or_b64 exec, exec, s[0:1]
	v_or_b32_e32 v19, 0x1400, v0
	v_cmp_gt_u32_e32 vcc, s33, v19
                                        ; implicit-def: $vgpr17
	s_and_saveexec_b64 s[0:1], vcc
	s_cbranch_execz .LBB1181_29
; %bb.28:
	v_lshlrev_b32_e32 v20, 1, v19
	v_mov_b32_e32 v21, 0
	v_lshl_add_u64 v[20:21], v[2:3], 0, v[20:21]
	flat_load_ushort v17, v[20:21]
.LBB1181_29:
	s_or_b64 exec, exec, s[0:1]
	v_or_b32_e32 v20, 0x1600, v0
	v_cmp_gt_u32_e32 vcc, s33, v20
                                        ; implicit-def: $vgpr19
	s_and_saveexec_b64 s[0:1], vcc
	s_cbranch_execz .LBB1181_31
; %bb.30:
	v_lshlrev_b32_e32 v20, 1, v20
	v_mov_b32_e32 v21, 0
	v_lshl_add_u64 v[20:21], v[2:3], 0, v[20:21]
	flat_load_ushort v19, v[20:21]
.LBB1181_31:
	s_or_b64 exec, exec, s[0:1]
	v_or_b32_e32 v21, 0x1800, v0
	v_cmp_gt_u32_e32 vcc, s33, v21
                                        ; implicit-def: $vgpr20
	s_and_saveexec_b64 s[0:1], vcc
	s_cbranch_execz .LBB1181_33
; %bb.32:
	v_lshlrev_b32_e32 v20, 1, v21
	v_mov_b32_e32 v21, 0
	v_lshl_add_u64 v[20:21], v[2:3], 0, v[20:21]
	flat_load_ushort v20, v[20:21]
.LBB1181_33:
	s_or_b64 exec, exec, s[0:1]
	v_or_b32_e32 v22, 0x1a00, v0
	v_cmp_gt_u32_e32 vcc, s33, v22
                                        ; implicit-def: $vgpr21
	s_and_saveexec_b64 s[0:1], vcc
	s_cbranch_execz .LBB1181_35
; %bb.34:
	v_lshlrev_b32_e32 v22, 1, v22
	v_mov_b32_e32 v23, 0
	v_lshl_add_u64 v[22:23], v[2:3], 0, v[22:23]
	flat_load_ushort v21, v[22:23]
.LBB1181_35:
	s_or_b64 exec, exec, s[0:1]
	v_or_b32_e32 v23, 0x1c00, v0
	v_cmp_gt_u32_e32 vcc, s33, v23
                                        ; implicit-def: $vgpr22
	s_and_saveexec_b64 s[0:1], vcc
	s_cbranch_execz .LBB1181_37
; %bb.36:
	v_lshlrev_b32_e32 v22, 1, v23
	v_mov_b32_e32 v23, 0
	v_lshl_add_u64 v[22:23], v[2:3], 0, v[22:23]
	flat_load_ushort v22, v[22:23]
.LBB1181_37:
	s_or_b64 exec, exec, s[0:1]
	v_or_b32_e32 v24, 0x1e00, v0
	v_cmp_gt_u32_e32 vcc, s33, v24
                                        ; implicit-def: $vgpr23
	s_and_saveexec_b64 s[0:1], vcc
	s_cbranch_execz .LBB1181_39
; %bb.38:
	v_lshlrev_b32_e32 v24, 1, v24
	v_mov_b32_e32 v25, 0
	v_lshl_add_u64 v[24:25], v[2:3], 0, v[24:25]
	flat_load_ushort v23, v[24:25]
.LBB1181_39:
	s_or_b64 exec, exec, s[0:1]
	v_or_b32_e32 v25, 0x2000, v0
	v_cmp_gt_u32_e32 vcc, s33, v25
                                        ; implicit-def: $vgpr24
	s_and_saveexec_b64 s[0:1], vcc
	s_cbranch_execz .LBB1181_41
; %bb.40:
	v_lshlrev_b32_e32 v24, 1, v25
	v_mov_b32_e32 v25, 0
	v_lshl_add_u64 v[24:25], v[2:3], 0, v[24:25]
	flat_load_ushort v24, v[24:25]
.LBB1181_41:
	s_or_b64 exec, exec, s[0:1]
	v_or_b32_e32 v26, 0x2200, v0
	v_cmp_gt_u32_e32 vcc, s33, v26
                                        ; implicit-def: $vgpr25
	s_and_saveexec_b64 s[0:1], vcc
	s_cbranch_execz .LBB1181_43
; %bb.42:
	v_lshlrev_b32_e32 v26, 1, v26
	v_mov_b32_e32 v27, 0
	v_lshl_add_u64 v[26:27], v[2:3], 0, v[26:27]
	flat_load_ushort v25, v[26:27]
.LBB1181_43:
	s_or_b64 exec, exec, s[0:1]
	v_or_b32_e32 v27, 0x2400, v0
	v_cmp_gt_u32_e32 vcc, s33, v27
                                        ; implicit-def: $vgpr26
	s_and_saveexec_b64 s[0:1], vcc
	s_cbranch_execz .LBB1181_45
; %bb.44:
	v_lshlrev_b32_e32 v26, 1, v27
	v_mov_b32_e32 v27, 0
	v_lshl_add_u64 v[26:27], v[2:3], 0, v[26:27]
	flat_load_ushort v26, v[26:27]
.LBB1181_45:
	s_or_b64 exec, exec, s[0:1]
	v_or_b32_e32 v28, 0x2600, v0
	v_cmp_gt_u32_e32 vcc, s33, v28
                                        ; implicit-def: $vgpr27
	s_and_saveexec_b64 s[0:1], vcc
	s_cbranch_execz .LBB1181_47
; %bb.46:
	v_lshlrev_b32_e32 v28, 1, v28
	v_mov_b32_e32 v29, 0
	v_lshl_add_u64 v[28:29], v[2:3], 0, v[28:29]
	flat_load_ushort v27, v[28:29]
.LBB1181_47:
	s_or_b64 exec, exec, s[0:1]
	v_or_b32_e32 v29, 0x2800, v0
	v_cmp_gt_u32_e32 vcc, s33, v29
                                        ; implicit-def: $vgpr28
	s_and_saveexec_b64 s[0:1], vcc
	s_cbranch_execz .LBB1181_49
; %bb.48:
	v_lshlrev_b32_e32 v28, 1, v29
	v_mov_b32_e32 v29, 0
	v_lshl_add_u64 v[28:29], v[2:3], 0, v[28:29]
	flat_load_ushort v28, v[28:29]
.LBB1181_49:
	s_or_b64 exec, exec, s[0:1]
	v_or_b32_e32 v30, 0x2a00, v0
	v_cmp_gt_u32_e32 vcc, s33, v30
                                        ; implicit-def: $vgpr29
	s_and_saveexec_b64 s[0:1], vcc
	s_cbranch_execz .LBB1181_51
; %bb.50:
	v_lshlrev_b32_e32 v30, 1, v30
	v_mov_b32_e32 v31, 0
	v_lshl_add_u64 v[30:31], v[2:3], 0, v[30:31]
	flat_load_ushort v29, v[30:31]
.LBB1181_51:
	s_or_b64 exec, exec, s[0:1]
	v_or_b32_e32 v31, 0x2c00, v0
	v_cmp_gt_u32_e32 vcc, s33, v31
                                        ; implicit-def: $vgpr30
	s_and_saveexec_b64 s[0:1], vcc
	s_cbranch_execz .LBB1181_53
; %bb.52:
	v_lshlrev_b32_e32 v30, 1, v31
	v_mov_b32_e32 v31, 0
	v_lshl_add_u64 v[30:31], v[2:3], 0, v[30:31]
	flat_load_ushort v30, v[30:31]
.LBB1181_53:
	s_or_b64 exec, exec, s[0:1]
	v_or_b32_e32 v32, 0x2e00, v0
	v_cmp_gt_u32_e32 vcc, s33, v32
                                        ; implicit-def: $vgpr31
	s_and_saveexec_b64 s[0:1], vcc
	s_cbranch_execz .LBB1181_55
; %bb.54:
	v_lshlrev_b32_e32 v32, 1, v32
	v_mov_b32_e32 v33, 0
	v_lshl_add_u64 v[32:33], v[2:3], 0, v[32:33]
	flat_load_ushort v31, v[32:33]
.LBB1181_55:
	s_or_b64 exec, exec, s[0:1]
	v_or_b32_e32 v33, 0x3000, v0
	v_cmp_gt_u32_e32 vcc, s33, v33
                                        ; implicit-def: $vgpr32
	s_and_saveexec_b64 s[0:1], vcc
	s_cbranch_execz .LBB1181_57
; %bb.56:
	v_lshlrev_b32_e32 v32, 1, v33
	v_mov_b32_e32 v33, 0
	v_lshl_add_u64 v[32:33], v[2:3], 0, v[32:33]
	flat_load_ushort v32, v[32:33]
.LBB1181_57:
	s_or_b64 exec, exec, s[0:1]
	v_or_b32_e32 v34, 0x3200, v0
	v_cmp_gt_u32_e32 vcc, s33, v34
                                        ; implicit-def: $vgpr33
	s_and_saveexec_b64 s[0:1], vcc
	s_cbranch_execz .LBB1181_59
; %bb.58:
	v_lshlrev_b32_e32 v34, 1, v34
	v_mov_b32_e32 v35, 0
	v_lshl_add_u64 v[34:35], v[2:3], 0, v[34:35]
	flat_load_ushort v33, v[34:35]
.LBB1181_59:
	s_or_b64 exec, exec, s[0:1]
	v_or_b32_e32 v35, 0x3400, v0
	v_cmp_gt_u32_e32 vcc, s33, v35
                                        ; implicit-def: $vgpr34
	s_and_saveexec_b64 s[0:1], vcc
	s_cbranch_execz .LBB1181_61
; %bb.60:
	v_lshlrev_b32_e32 v34, 1, v35
	v_mov_b32_e32 v35, 0
	v_lshl_add_u64 v[34:35], v[2:3], 0, v[34:35]
	flat_load_ushort v34, v[34:35]
.LBB1181_61:
	s_or_b64 exec, exec, s[0:1]
	v_or_b32_e32 v36, 0x3600, v0
	v_cmp_gt_u32_e32 vcc, s33, v36
                                        ; implicit-def: $vgpr35
	s_and_saveexec_b64 s[0:1], vcc
	s_cbranch_execz .LBB1181_63
; %bb.62:
	v_lshlrev_b32_e32 v36, 1, v36
	v_mov_b32_e32 v37, 0
	v_lshl_add_u64 v[36:37], v[2:3], 0, v[36:37]
	flat_load_ushort v35, v[36:37]
.LBB1181_63:
	s_or_b64 exec, exec, s[0:1]
	v_or_b32_e32 v37, 0x3800, v0
	v_cmp_gt_u32_e32 vcc, s33, v37
                                        ; implicit-def: $vgpr36
	s_and_saveexec_b64 s[0:1], vcc
	s_cbranch_execz .LBB1181_65
; %bb.64:
	v_lshlrev_b32_e32 v36, 1, v37
	v_mov_b32_e32 v37, 0
	v_lshl_add_u64 v[36:37], v[2:3], 0, v[36:37]
	flat_load_ushort v36, v[36:37]
.LBB1181_65:
	s_or_b64 exec, exec, s[0:1]
	v_or_b32_e32 v38, 0x3a00, v0
	v_cmp_gt_u32_e32 vcc, s33, v38
                                        ; implicit-def: $vgpr37
	s_and_saveexec_b64 s[0:1], vcc
	s_cbranch_execz .LBB1181_67
; %bb.66:
	v_lshlrev_b32_e32 v38, 1, v38
	v_mov_b32_e32 v39, 0
	v_lshl_add_u64 v[2:3], v[2:3], 0, v[38:39]
	flat_load_ushort v37, v[2:3]
.LBB1181_67:
	s_or_b64 exec, exec, s[0:1]
	s_waitcnt vmcnt(0) lgkmcnt(0)
	ds_write_b16 v18, v1
	ds_write_b16 v18, v6 offset:1024
	ds_write_b16 v18, v7 offset:2048
	;; [unrolled: 1-line block ×29, first 2 shown]
	s_waitcnt lgkmcnt(0)
	s_barrier
.LBB1181_68:
	v_mul_u32_u24_e32 v44, 30, v0
	v_lshlrev_b32_e32 v2, 1, v44
	ds_read_b32 v19, v2 offset:56
	ds_read2_b32 v[6:7], v2 offset0:12 offset1:13
	ds_read2_b32 v[10:11], v2 offset0:10 offset1:11
	;; [unrolled: 1-line block ×3, first 2 shown]
	ds_read2_b32 v[22:23], v2 offset1:1
	ds_read2_b32 v[20:21], v2 offset0:2 offset1:3
	ds_read2_b32 v[16:17], v2 offset0:4 offset1:5
	ds_read2_b32 v[14:15], v2 offset0:6 offset1:7
	s_waitcnt lgkmcnt(7)
	v_lshrrev_b32_e32 v1, 16, v19
	s_waitcnt lgkmcnt(6)
	v_lshrrev_b32_e32 v33, 16, v6
	v_lshrrev_b32_e32 v32, 16, v7
	s_waitcnt lgkmcnt(5)
	v_lshrrev_b32_e32 v35, 16, v10
	;; [unrolled: 3-line block ×6, first 2 shown]
	v_lshrrev_b32_e32 v38, 16, v15
	v_lshrrev_b32_e32 v37, 16, v12
	;; [unrolled: 1-line block ×3, first 2 shown]
	v_cndmask_b32_e64 v2, 0, 1, s[4:5]
	v_cmp_ne_u32_e64 s[2:3], 1, v2
	s_andn2_b64 vcc, exec, s[4:5]
	v_xor_b32_e32 v96, -1, v22
	v_xor_b32_e32 v95, -1, v46
	;; [unrolled: 1-line block ×30, first 2 shown]
	s_barrier
	s_cbranch_vccnz .LBB1181_70
; %bb.69:
	v_and_b32_e32 v77, 1, v96
	v_and_b32_e32 v76, 1, v95
	;; [unrolled: 1-line block ×30, first 2 shown]
	s_cbranch_execz .LBB1181_71
	s_branch .LBB1181_72
.LBB1181_70:
                                        ; implicit-def: $vgpr77
                                        ; implicit-def: $vgpr76
                                        ; implicit-def: $vgpr75
                                        ; implicit-def: $vgpr74
                                        ; implicit-def: $vgpr73
                                        ; implicit-def: $vgpr72
                                        ; implicit-def: $vgpr71
                                        ; implicit-def: $vgpr70
                                        ; implicit-def: $vgpr69
                                        ; implicit-def: $vgpr67
                                        ; implicit-def: $vgpr66
                                        ; implicit-def: $vgpr65
                                        ; implicit-def: $vgpr64
                                        ; implicit-def: $vgpr63
                                        ; implicit-def: $vgpr62
                                        ; implicit-def: $vgpr61
                                        ; implicit-def: $vgpr60
                                        ; implicit-def: $vgpr59
                                        ; implicit-def: $vgpr58
                                        ; implicit-def: $vgpr57
                                        ; implicit-def: $vgpr56
                                        ; implicit-def: $vgpr55
                                        ; implicit-def: $vgpr54
                                        ; implicit-def: $vgpr53
                                        ; implicit-def: $vgpr52
                                        ; implicit-def: $vgpr51
                                        ; implicit-def: $vgpr50
                                        ; implicit-def: $vgpr49
                                        ; implicit-def: $vgpr47
                                        ; implicit-def: $vgpr48
.LBB1181_71:
	v_or_b32_e32 v56, 1, v44
	v_cmp_gt_u32_e32 vcc, s33, v44
	v_add_u32_e32 v57, 2, v44
	v_add_u32_e32 v58, 3, v44
	v_cndmask_b32_e64 v66, 0, 1, vcc
	v_cmp_gt_u32_e32 vcc, s33, v56
	v_add_u32_e32 v59, 4, v44
	v_add_u32_e32 v60, 5, v44
	v_cndmask_b32_e64 v56, 0, 1, vcc
	v_cmp_gt_u32_e32 vcc, s33, v57
	v_and_b32_e32 v76, v56, v95
	v_add_u32_e32 v61, 6, v44
	v_cndmask_b32_e64 v56, 0, 1, vcc
	v_cmp_gt_u32_e32 vcc, s33, v58
	v_and_b32_e32 v75, v56, v94
	;; [unrolled: 4-line block ×9, first 2 shown]
	v_and_b32_e32 v77, v66, v96
	v_cndmask_b32_e64 v56, 0, 1, vcc
	v_cmp_gt_u32_e32 vcc, s33, v97
	v_and_b32_e32 v66, v56, v86
	v_add_u32_e32 v100, 14, v44
	v_cndmask_b32_e64 v56, 0, 1, vcc
	v_cmp_gt_u32_e32 vcc, s33, v98
	v_and_b32_e32 v65, v56, v85
	v_add_u32_e32 v101, 15, v44
	;; [unrolled: 4-line block ×16, first 2 shown]
	v_cndmask_b32_e64 v26, 0, 1, vcc
	v_cmp_gt_u32_e32 vcc, s33, v49
	v_and_b32_e32 v50, v26, v25
	s_nop 0
	v_cndmask_b32_e64 v25, 0, 1, vcc
	v_cmp_gt_u32_e32 vcc, s33, v47
	v_and_b32_e32 v49, v25, v24
	s_nop 0
	v_cndmask_b32_e64 v24, 0, 1, vcc
	v_cmp_gt_u32_e32 vcc, s33, v48
	v_and_b32_e32 v47, v24, v3
	s_nop 0
	v_cndmask_b32_e64 v3, 0, 1, vcc
	v_and_b32_e32 v48, v3, v2
.LBB1181_72:
	v_and_b32_e32 v104, 0xff, v50
	v_and_b32_e32 v105, 0xff, v49
	v_add_u32_sdwa v2, v47, v48 dst_sel:DWORD dst_unused:UNUSED_PAD src0_sel:BYTE_0 src1_sel:BYTE_0
	v_and_b32_e32 v102, 0xff, v52
	v_and_b32_e32 v103, 0xff, v51
	v_add3_u32 v2, v2, v105, v104
	v_and_b32_e32 v100, 0xff, v54
	v_and_b32_e32 v101, 0xff, v53
	v_add3_u32 v2, v2, v103, v102
	v_and_b32_e32 v98, 0xff, v56
	v_and_b32_e32 v99, 0xff, v55
	v_add3_u32 v2, v2, v101, v100
	v_and_b32_e32 v96, 0xff, v58
	v_and_b32_e32 v97, 0xff, v57
	v_add3_u32 v2, v2, v99, v98
	v_and_b32_e32 v94, 0xff, v60
	v_and_b32_e32 v95, 0xff, v59
	v_add3_u32 v2, v2, v97, v96
	v_and_b32_e32 v92, 0xff, v62
	v_and_b32_e32 v93, 0xff, v61
	v_add3_u32 v2, v2, v95, v94
	v_and_b32_e32 v90, 0xff, v64
	v_and_b32_e32 v91, 0xff, v63
	v_add3_u32 v2, v2, v93, v92
	v_and_b32_e32 v88, 0xff, v66
	v_and_b32_e32 v89, 0xff, v65
	v_add3_u32 v2, v2, v91, v90
	v_and_b32_e32 v86, 0xff, v69
	v_and_b32_e32 v87, 0xff, v67
	v_add3_u32 v2, v2, v89, v88
	v_and_b32_e32 v84, 0xff, v71
	v_and_b32_e32 v85, 0xff, v70
	v_add3_u32 v2, v2, v87, v86
	v_and_b32_e32 v82, 0xff, v73
	v_and_b32_e32 v83, 0xff, v72
	v_add3_u32 v2, v2, v85, v84
	v_and_b32_e32 v80, 0xff, v75
	v_and_b32_e32 v81, 0xff, v74
	v_add3_u32 v2, v2, v83, v82
	v_and_b32_e32 v78, 0xff, v77
	v_and_b32_e32 v79, 0xff, v76
	v_add3_u32 v2, v2, v81, v80
	v_add3_u32 v108, v2, v79, v78
	v_mbcnt_lo_u32_b32 v2, -1, 0
	v_mbcnt_hi_u32_b32 v106, -1, v2
	v_and_b32_e32 v2, 15, v106
	v_cmp_eq_u32_e64 s[16:17], 0, v2
	v_cmp_lt_u32_e64 s[14:15], 1, v2
	v_cmp_lt_u32_e64 s[12:13], 3, v2
	v_cmp_lt_u32_e64 s[10:11], 7, v2
	v_and_b32_e32 v2, 16, v106
	v_cmp_eq_u32_e64 s[8:9], 0, v2
	v_or_b32_e32 v2, 63, v0
	s_cmp_lg_u32 s40, 0
	v_cmp_lt_u32_e64 s[4:5], 31, v106
	v_lshrrev_b32_e32 v107, 6, v0
	v_cmp_eq_u32_e64 s[6:7], v2, v0
	s_cbranch_scc0 .LBB1181_99
; %bb.73:
	v_mov_b32_dpp v2, v108 row_shr:1 row_mask:0xf bank_mask:0xf
	v_cndmask_b32_e64 v2, v2, 0, s[16:17]
	v_add_u32_e32 v2, v2, v108
	s_nop 1
	v_mov_b32_dpp v3, v2 row_shr:2 row_mask:0xf bank_mask:0xf
	v_cndmask_b32_e64 v3, 0, v3, s[14:15]
	v_add_u32_e32 v2, v2, v3
	s_nop 1
	;; [unrolled: 4-line block ×4, first 2 shown]
	v_mov_b32_dpp v3, v2 row_bcast:15 row_mask:0xf bank_mask:0xf
	v_cndmask_b32_e64 v3, v3, 0, s[8:9]
	v_add_u32_e32 v2, v2, v3
	s_nop 1
	v_mov_b32_dpp v3, v2 row_bcast:31 row_mask:0xf bank_mask:0xf
	v_cndmask_b32_e64 v3, 0, v3, s[4:5]
	v_add_u32_e32 v2, v2, v3
	s_and_saveexec_b64 s[0:1], s[6:7]
	s_cbranch_execz .LBB1181_75
; %bb.74:
	v_lshlrev_b32_e32 v3, 2, v107
	ds_write_b32 v3, v2
.LBB1181_75:
	s_or_b64 exec, exec, s[0:1]
	v_cmp_gt_u32_e32 vcc, 8, v0
	s_waitcnt lgkmcnt(0)
	s_barrier
	s_and_saveexec_b64 s[0:1], vcc
	s_cbranch_execz .LBB1181_77
; %bb.76:
	v_lshlrev_b32_e32 v3, 2, v0
	ds_read_b32 v24, v3
	v_and_b32_e32 v25, 7, v106
	v_cmp_ne_u32_e32 vcc, 0, v25
	s_waitcnt lgkmcnt(0)
	v_mov_b32_dpp v26, v24 row_shr:1 row_mask:0xf bank_mask:0xf
	v_cndmask_b32_e32 v26, 0, v26, vcc
	v_add_u32_e32 v24, v26, v24
	v_cmp_lt_u32_e32 vcc, 1, v25
	s_nop 0
	v_mov_b32_dpp v26, v24 row_shr:2 row_mask:0xf bank_mask:0xf
	v_cndmask_b32_e32 v26, 0, v26, vcc
	v_add_u32_e32 v24, v24, v26
	v_cmp_lt_u32_e32 vcc, 3, v25
	s_nop 0
	v_mov_b32_dpp v26, v24 row_shr:4 row_mask:0xf bank_mask:0xf
	v_cndmask_b32_e32 v25, 0, v26, vcc
	v_add_u32_e32 v24, v24, v25
	ds_write_b32 v3, v24
.LBB1181_77:
	s_or_b64 exec, exec, s[0:1]
	v_cmp_gt_u32_e32 vcc, 64, v0
	v_cmp_lt_u32_e64 s[0:1], 63, v0
	s_waitcnt lgkmcnt(0)
	s_barrier
	s_waitcnt lgkmcnt(0)
                                        ; implicit-def: $vgpr68
	s_and_saveexec_b64 s[18:19], s[0:1]
	s_cbranch_execz .LBB1181_79
; %bb.78:
	v_lshl_add_u32 v3, v107, 2, -4
	ds_read_b32 v68, v3
	s_waitcnt lgkmcnt(0)
	v_add_u32_e32 v2, v68, v2
.LBB1181_79:
	s_or_b64 exec, exec, s[18:19]
	v_add_u32_e32 v3, -1, v106
	v_and_b32_e32 v24, 64, v106
	v_cmp_lt_i32_e64 s[0:1], v3, v24
	v_cmp_eq_u32_e64 s[18:19], 0, v106
	s_nop 0
	v_cndmask_b32_e64 v3, v3, v106, s[0:1]
	v_lshlrev_b32_e32 v3, 2, v3
	ds_bpermute_b32 v109, v3, v2
	s_and_saveexec_b64 s[0:1], vcc
	s_cbranch_execz .LBB1181_98
; %bb.80:
	v_mov_b32_e32 v29, 0
	ds_read_b32 v2, v29 offset:28
	s_and_saveexec_b64 s[28:29], s[18:19]
	s_cbranch_execz .LBB1181_82
; %bb.81:
	s_add_i32 s38, s40, 64
	s_mov_b32 s39, 0
	s_lshl_b64 s[38:39], s[38:39], 3
	s_add_u32 s38, s36, s38
	v_mov_b32_e32 v3, 1
	s_addc_u32 s39, s37, s39
	s_waitcnt lgkmcnt(0)
	global_store_dwordx2 v29, v[2:3], s[38:39] sc1
.LBB1181_82:
	s_or_b64 exec, exec, s[28:29]
	v_xad_u32 v24, v106, -1, s40
	v_add_u32_e32 v28, 64, v24
	v_lshl_add_u64 v[30:31], v[28:29], 3, s[36:37]
	global_load_dwordx2 v[26:27], v[30:31], off sc1
	s_waitcnt vmcnt(0)
	v_cmp_eq_u16_sdwa s[38:39], v27, v29 src0_sel:BYTE_0 src1_sel:DWORD
	s_and_saveexec_b64 s[28:29], s[38:39]
	s_cbranch_execz .LBB1181_86
; %bb.83:
	s_mov_b64 s[38:39], 0
	v_mov_b32_e32 v3, 0
.LBB1181_84:                            ; =>This Inner Loop Header: Depth=1
	global_load_dwordx2 v[26:27], v[30:31], off sc1
	s_waitcnt vmcnt(0)
	v_cmp_ne_u16_sdwa s[42:43], v27, v3 src0_sel:BYTE_0 src1_sel:DWORD
	s_or_b64 s[38:39], s[42:43], s[38:39]
	s_andn2_b64 exec, exec, s[38:39]
	s_cbranch_execnz .LBB1181_84
; %bb.85:
	s_or_b64 exec, exec, s[38:39]
.LBB1181_86:
	s_or_b64 exec, exec, s[28:29]
	v_and_b32_e32 v111, 63, v106
	v_mov_b32_e32 v110, 2
	v_cmp_ne_u32_e32 vcc, 63, v111
	v_cmp_eq_u16_sdwa s[28:29], v27, v110 src0_sel:BYTE_0 src1_sel:DWORD
	v_lshlrev_b64 v[28:29], v106, -1
	v_addc_co_u32_e32 v30, vcc, 0, v106, vcc
	v_and_b32_e32 v3, s29, v29
	v_lshlrev_b32_e32 v112, 2, v30
	v_or_b32_e32 v3, 0x80000000, v3
	ds_bpermute_b32 v30, v112, v26
	v_and_b32_e32 v25, s28, v28
	v_ffbl_b32_e32 v3, v3
	v_add_u32_e32 v3, 32, v3
	v_ffbl_b32_e32 v25, v25
	v_min_u32_e32 v3, v25, v3
	v_cmp_lt_u32_e32 vcc, v111, v3
	v_add_u32_e32 v114, 2, v111
	v_add_u32_e32 v116, 4, v111
	s_waitcnt lgkmcnt(0)
	v_cndmask_b32_e32 v25, 0, v30, vcc
	v_cmp_gt_u32_e32 vcc, 62, v111
	v_add_u32_e32 v25, v25, v26
	v_add_u32_e32 v118, 8, v111
	v_cndmask_b32_e64 v26, 0, 1, vcc
	v_lshlrev_b32_e32 v26, 1, v26
	v_add_lshl_u32 v113, v26, v106, 2
	ds_bpermute_b32 v26, v113, v25
	v_cmp_le_u32_e32 vcc, v114, v3
	v_add_u32_e32 v120, 16, v111
	v_add_u32_e32 v122, 32, v111
	s_waitcnt lgkmcnt(0)
	v_cndmask_b32_e32 v26, 0, v26, vcc
	v_cmp_gt_u32_e32 vcc, 60, v111
	v_add_u32_e32 v25, v25, v26
	s_nop 0
	v_cndmask_b32_e64 v26, 0, 1, vcc
	v_lshlrev_b32_e32 v26, 2, v26
	v_add_lshl_u32 v115, v26, v106, 2
	ds_bpermute_b32 v26, v115, v25
	v_cmp_le_u32_e32 vcc, v116, v3
	s_waitcnt lgkmcnt(0)
	s_nop 0
	v_cndmask_b32_e32 v26, 0, v26, vcc
	v_cmp_gt_u32_e32 vcc, 56, v111
	v_add_u32_e32 v25, v25, v26
	s_nop 0
	v_cndmask_b32_e64 v26, 0, 1, vcc
	v_lshlrev_b32_e32 v26, 3, v26
	v_add_lshl_u32 v117, v26, v106, 2
	ds_bpermute_b32 v26, v117, v25
	v_cmp_le_u32_e32 vcc, v118, v3
	s_waitcnt lgkmcnt(0)
	s_nop 0
	;; [unrolled: 11-line block ×4, first 2 shown]
	v_cndmask_b32_e32 v3, 0, v26, vcc
	v_add_u32_e32 v26, v25, v3
	v_mov_b32_e32 v25, 0
	s_branch .LBB1181_88
.LBB1181_87:                            ;   in Loop: Header=BB1181_88 Depth=1
	s_or_b64 exec, exec, s[28:29]
	v_cmp_eq_u16_sdwa s[28:29], v27, v110 src0_sel:BYTE_0 src1_sel:DWORD
	ds_bpermute_b32 v123, v112, v26
	v_subrev_u32_e32 v24, 64, v24
	v_and_b32_e32 v30, s29, v29
	v_or_b32_e32 v30, 0x80000000, v30
	v_and_b32_e32 v31, s28, v28
	v_ffbl_b32_e32 v30, v30
	v_add_u32_e32 v30, 32, v30
	v_ffbl_b32_e32 v31, v31
	v_min_u32_e32 v30, v31, v30
	v_cmp_lt_u32_e32 vcc, v111, v30
	s_waitcnt lgkmcnt(0)
	s_nop 0
	v_cndmask_b32_e32 v31, 0, v123, vcc
	v_add_u32_e32 v26, v31, v26
	ds_bpermute_b32 v31, v113, v26
	v_cmp_le_u32_e32 vcc, v114, v30
	s_waitcnt lgkmcnt(0)
	s_nop 0
	v_cndmask_b32_e32 v31, 0, v31, vcc
	v_add_u32_e32 v26, v26, v31
	ds_bpermute_b32 v31, v115, v26
	v_cmp_le_u32_e32 vcc, v116, v30
	;; [unrolled: 6-line block ×5, first 2 shown]
	s_waitcnt lgkmcnt(0)
	s_nop 0
	v_cndmask_b32_e32 v30, 0, v31, vcc
	v_add3_u32 v26, v30, v3, v26
.LBB1181_88:                            ; =>This Loop Header: Depth=1
                                        ;     Child Loop BB1181_91 Depth 2
	v_cmp_ne_u16_sdwa s[28:29], v27, v110 src0_sel:BYTE_0 src1_sel:DWORD
	s_nop 1
	v_cndmask_b32_e64 v3, 0, 1, s[28:29]
	;;#ASMSTART
	;;#ASMEND
	s_nop 0
	v_cmp_ne_u32_e32 vcc, 0, v3
	s_cmp_lg_u64 vcc, exec
	v_mov_b32_e32 v3, v26
	s_cbranch_scc1 .LBB1181_93
; %bb.89:                               ;   in Loop: Header=BB1181_88 Depth=1
	v_lshl_add_u64 v[30:31], v[24:25], 3, s[36:37]
	global_load_dwordx2 v[26:27], v[30:31], off sc1
	s_waitcnt vmcnt(0)
	v_cmp_eq_u16_sdwa s[38:39], v27, v25 src0_sel:BYTE_0 src1_sel:DWORD
	s_and_saveexec_b64 s[28:29], s[38:39]
	s_cbranch_execz .LBB1181_87
; %bb.90:                               ;   in Loop: Header=BB1181_88 Depth=1
	s_mov_b64 s[38:39], 0
.LBB1181_91:                            ;   Parent Loop BB1181_88 Depth=1
                                        ; =>  This Inner Loop Header: Depth=2
	global_load_dwordx2 v[26:27], v[30:31], off sc1
	s_waitcnt vmcnt(0)
	v_cmp_ne_u16_sdwa s[42:43], v27, v25 src0_sel:BYTE_0 src1_sel:DWORD
	s_or_b64 s[38:39], s[42:43], s[38:39]
	s_andn2_b64 exec, exec, s[38:39]
	s_cbranch_execnz .LBB1181_91
; %bb.92:                               ;   in Loop: Header=BB1181_88 Depth=1
	s_or_b64 exec, exec, s[38:39]
	s_branch .LBB1181_87
.LBB1181_93:                            ;   in Loop: Header=BB1181_88 Depth=1
                                        ; implicit-def: $vgpr26
                                        ; implicit-def: $vgpr27
	s_cbranch_execz .LBB1181_88
; %bb.94:
	s_and_saveexec_b64 s[28:29], s[18:19]
	s_cbranch_execz .LBB1181_96
; %bb.95:
	s_add_i32 s38, s40, 64
	s_mov_b32 s39, 0
	s_lshl_b64 s[38:39], s[38:39], 3
	s_add_u32 s38, s36, s38
	v_add_u32_e32 v24, v3, v2
	v_mov_b32_e32 v25, 2
	s_addc_u32 s39, s37, s39
	v_mov_b32_e32 v26, 0
	global_store_dwordx2 v26, v[24:25], s[38:39] sc1
	ds_write_b64 v26, v[2:3] offset:30720
.LBB1181_96:
	s_or_b64 exec, exec, s[28:29]
	s_and_b64 exec, exec, s[20:21]
	s_cbranch_execz .LBB1181_98
; %bb.97:
	v_mov_b32_e32 v2, 0
	ds_write_b32 v2, v3 offset:28
.LBB1181_98:
	s_or_b64 exec, exec, s[0:1]
	v_mov_b32_e32 v2, 0
	s_waitcnt lgkmcnt(0)
	s_barrier
	ds_read_b32 v24, v2 offset:28
	s_waitcnt lgkmcnt(0)
	s_barrier
	ds_read_b64 v[2:3], v2 offset:30720
	v_cndmask_b32_e64 v25, v109, v68, s[18:19]
	v_cndmask_b32_e64 v25, v25, 0, s[20:21]
	v_add_u32_e32 v24, v24, v25
	s_waitcnt lgkmcnt(0)
	v_mov_b32_e32 v68, v3
	s_branch .LBB1181_109
.LBB1181_99:
                                        ; implicit-def: $vgpr68
                                        ; implicit-def: $vgpr2
                                        ; implicit-def: $vgpr24
	s_cbranch_execz .LBB1181_109
; %bb.100:
	s_nop 0
	v_mov_b32_dpp v2, v108 row_shr:1 row_mask:0xf bank_mask:0xf
	v_cndmask_b32_e64 v2, v2, 0, s[16:17]
	v_add_u32_e32 v2, v2, v108
	s_nop 1
	v_mov_b32_dpp v3, v2 row_shr:2 row_mask:0xf bank_mask:0xf
	v_cndmask_b32_e64 v3, 0, v3, s[14:15]
	v_add_u32_e32 v2, v2, v3
	;; [unrolled: 4-line block ×4, first 2 shown]
	s_nop 1
	v_mov_b32_dpp v3, v2 row_bcast:15 row_mask:0xf bank_mask:0xf
	v_cndmask_b32_e64 v3, v3, 0, s[8:9]
	v_add_u32_e32 v2, v2, v3
	s_nop 1
	v_mov_b32_dpp v3, v2 row_bcast:31 row_mask:0xf bank_mask:0xf
	v_cndmask_b32_e64 v3, 0, v3, s[4:5]
	v_add_u32_e32 v2, v2, v3
	s_and_saveexec_b64 s[0:1], s[6:7]
	s_cbranch_execz .LBB1181_102
; %bb.101:
	v_lshlrev_b32_e32 v3, 2, v107
	ds_write_b32 v3, v2
.LBB1181_102:
	s_or_b64 exec, exec, s[0:1]
	v_cmp_gt_u32_e32 vcc, 8, v0
	s_waitcnt lgkmcnt(0)
	s_barrier
	s_and_saveexec_b64 s[0:1], vcc
	s_cbranch_execz .LBB1181_104
; %bb.103:
	v_lshlrev_b32_e32 v3, 2, v0
	ds_read_b32 v24, v3
	v_and_b32_e32 v25, 7, v106
	v_cmp_ne_u32_e32 vcc, 0, v25
	s_waitcnt lgkmcnt(0)
	v_mov_b32_dpp v26, v24 row_shr:1 row_mask:0xf bank_mask:0xf
	v_cndmask_b32_e32 v26, 0, v26, vcc
	v_add_u32_e32 v24, v26, v24
	v_cmp_lt_u32_e32 vcc, 1, v25
	s_nop 0
	v_mov_b32_dpp v26, v24 row_shr:2 row_mask:0xf bank_mask:0xf
	v_cndmask_b32_e32 v26, 0, v26, vcc
	v_add_u32_e32 v24, v24, v26
	v_cmp_lt_u32_e32 vcc, 3, v25
	s_nop 0
	v_mov_b32_dpp v26, v24 row_shr:4 row_mask:0xf bank_mask:0xf
	v_cndmask_b32_e32 v25, 0, v26, vcc
	v_add_u32_e32 v24, v24, v25
	ds_write_b32 v3, v24
.LBB1181_104:
	s_or_b64 exec, exec, s[0:1]
	v_cmp_lt_u32_e32 vcc, 63, v0
	v_mov_b32_e32 v3, 0
	v_mov_b32_e32 v24, 0
	s_waitcnt lgkmcnt(0)
	s_barrier
	s_and_saveexec_b64 s[0:1], vcc
	s_cbranch_execz .LBB1181_106
; %bb.105:
	v_lshl_add_u32 v24, v107, 2, -4
	ds_read_b32 v24, v24
.LBB1181_106:
	s_or_b64 exec, exec, s[0:1]
	v_add_u32_e32 v25, -1, v106
	v_and_b32_e32 v26, 64, v106
	v_cmp_lt_i32_e32 vcc, v25, v26
	s_waitcnt lgkmcnt(0)
	v_add_u32_e32 v2, v24, v2
	v_cndmask_b32_e32 v25, v25, v106, vcc
	v_lshlrev_b32_e32 v25, 2, v25
	ds_bpermute_b32 v25, v25, v2
	ds_read_b32 v2, v3 offset:28
	s_and_saveexec_b64 s[0:1], s[20:21]
	s_cbranch_execz .LBB1181_108
; %bb.107:
	v_mov_b32_e32 v26, 0
	v_mov_b32_e32 v3, 2
	s_waitcnt lgkmcnt(0)
	global_store_dwordx2 v26, v[2:3], s[36:37] offset:512 sc1
.LBB1181_108:
	s_or_b64 exec, exec, s[0:1]
	v_cmp_eq_u32_e32 vcc, 0, v106
	v_mov_b32_e32 v68, 0
	s_waitcnt lgkmcnt(0)
	v_cndmask_b32_e32 v3, v25, v24, vcc
	v_cndmask_b32_e64 v24, v3, 0, s[20:21]
	s_barrier
.LBB1181_109:
	v_add_u32_e32 v3, v24, v78
	v_add_u32_e32 v25, v3, v79
	;; [unrolled: 1-line block ×21, first 2 shown]
	v_sub_u32_e32 v24, v24, v68
	v_and_b32_e32 v77, 1, v77
	v_add_u32_e32 v90, v89, v98
	v_sub_u32_e32 v98, v44, v24
	v_cmp_eq_u32_e32 vcc, 1, v77
	v_sub_u32_e32 v3, v3, v68
	v_add_u32_e32 v91, v90, v99
	v_cndmask_b32_e32 v24, v98, v24, vcc
	v_lshlrev_b32_e32 v24, 1, v24
	ds_write_b16 v24, v22
	v_sub_u32_e32 v22, v44, v3
	v_and_b32_e32 v24, 1, v76
	v_add_u32_e32 v22, 1, v22
	v_cmp_eq_u32_e32 vcc, 1, v24
	v_and_b32_e32 v24, 1, v75
	v_add_u32_e32 v92, v91, v100
	v_cndmask_b32_e32 v3, v22, v3, vcc
	v_lshlrev_b32_e32 v3, 1, v3
	ds_write_b16 v3, v46
	v_sub_u32_e32 v3, v25, v68
	v_sub_u32_e32 v22, v44, v3
	v_add_u32_e32 v22, 2, v22
	v_cmp_eq_u32_e32 vcc, 1, v24
	v_add_u32_e32 v93, v92, v101
	v_add_u32_e32 v94, v93, v102
	v_cndmask_b32_e32 v3, v22, v3, vcc
	v_lshlrev_b32_e32 v3, 1, v3
	ds_write_b16 v3, v23
	v_sub_u32_e32 v3, v26, v68
	v_sub_u32_e32 v22, v44, v3
	v_and_b32_e32 v23, 1, v74
	v_add_u32_e32 v22, 3, v22
	v_cmp_eq_u32_e32 vcc, 1, v23
	v_and_b32_e32 v23, 1, v73
	v_add_u32_e32 v95, v94, v103
	v_cndmask_b32_e32 v3, v22, v3, vcc
	v_lshlrev_b32_e32 v3, 1, v3
	ds_write_b16 v3, v45
	v_sub_u32_e32 v3, v27, v68
	v_sub_u32_e32 v22, v44, v3
	v_add_u32_e32 v22, 4, v22
	v_cmp_eq_u32_e32 vcc, 1, v23
	v_add_u32_e32 v96, v95, v104
	v_add_u32_e32 v97, v96, v105
	v_cndmask_b32_e32 v3, v22, v3, vcc
	v_lshlrev_b32_e32 v3, 1, v3
	ds_write_b16 v3, v20
	v_sub_u32_e32 v3, v28, v68
	v_sub_u32_e32 v20, v44, v3
	v_and_b32_e32 v22, 1, v72
	v_add_u32_e32 v20, 5, v20
	v_cmp_eq_u32_e32 vcc, 1, v22
	v_and_b32_e32 v22, 1, v71
	v_lshl_add_u64 v[8:9], s[30:31], 0, v[8:9]
	v_cndmask_b32_e32 v3, v20, v3, vcc
	v_lshlrev_b32_e32 v3, 1, v3
	ds_write_b16 v3, v43
	v_sub_u32_e32 v3, v29, v68
	v_sub_u32_e32 v20, v44, v3
	v_add_u32_e32 v20, 6, v20
	v_cmp_eq_u32_e32 vcc, 1, v22
	v_or_b32_e32 v46, 0x1600, v0
	v_or_b32_e32 v28, 0x2800, v0
	v_cndmask_b32_e32 v3, v20, v3, vcc
	v_lshlrev_b32_e32 v3, 1, v3
	ds_write_b16 v3, v21
	v_sub_u32_e32 v3, v30, v68
	v_sub_u32_e32 v20, v44, v3
	v_and_b32_e32 v21, 1, v70
	v_add_u32_e32 v20, 7, v20
	v_cmp_eq_u32_e32 vcc, 1, v21
	v_and_b32_e32 v21, 1, v69
	v_or_b32_e32 v30, 0x2600, v0
	v_cndmask_b32_e32 v3, v20, v3, vcc
	v_lshlrev_b32_e32 v3, 1, v3
	ds_write_b16 v3, v42
	v_sub_u32_e32 v3, v31, v68
	v_sub_u32_e32 v20, v44, v3
	v_add_u32_e32 v20, 8, v20
	v_cmp_eq_u32_e32 vcc, 1, v21
	v_or_b32_e32 v42, 0x1a00, v0
	v_or_b32_e32 v26, 0x2a00, v0
	v_cndmask_b32_e32 v3, v20, v3, vcc
	v_lshlrev_b32_e32 v3, 1, v3
	ds_write_b16 v3, v16
	v_sub_u32_e32 v3, v78, v68
	v_sub_u32_e32 v16, v44, v3
	v_and_b32_e32 v20, 1, v67
	v_add_u32_e32 v16, 9, v16
	v_cmp_eq_u32_e32 vcc, 1, v20
	v_and_b32_e32 v20, 1, v66
	v_or_b32_e32 v66, 0x200, v0
	;; [unrolled: 19-line block ×4, first 2 shown]
	v_cndmask_b32_e32 v3, v14, v3, vcc
	v_lshlrev_b32_e32 v3, 1, v3
	ds_write_b16 v3, v39
	v_sub_u32_e32 v3, v83, v68
	v_sub_u32_e32 v14, v44, v3
	v_add_u32_e32 v14, 14, v14
	v_cmp_eq_u32_e32 vcc, 1, v16
	v_or_b32_e32 v16, 0x3200, v0
	s_nop 0
	v_cndmask_b32_e32 v3, v14, v3, vcc
	v_lshlrev_b32_e32 v3, 1, v3
	ds_write_b16 v3, v15
	v_sub_u32_e32 v3, v84, v68
	v_sub_u32_e32 v14, v44, v3
	v_and_b32_e32 v15, 1, v61
	v_add_u32_e32 v14, 15, v14
	v_cmp_eq_u32_e32 vcc, 1, v15
	v_and_b32_e32 v15, 1, v60
	v_or_b32_e32 v60, 0x800, v0
	v_cndmask_b32_e32 v3, v14, v3, vcc
	v_lshlrev_b32_e32 v3, 1, v3
	ds_write_b16 v3, v38
	v_sub_u32_e32 v3, v85, v68
	v_sub_u32_e32 v14, v44, v3
	v_add_u32_e32 v14, 16, v14
	v_cmp_eq_u32_e32 vcc, 1, v15
	v_or_b32_e32 v38, 0x1e00, v0
	s_nop 0
	v_cndmask_b32_e32 v3, v14, v3, vcc
	v_lshlrev_b32_e32 v3, 1, v3
	ds_write_b16 v3, v12
	v_sub_u32_e32 v3, v86, v68
	v_sub_u32_e32 v12, v44, v3
	v_and_b32_e32 v14, 1, v59
	v_add_u32_e32 v12, 17, v12
	v_cmp_eq_u32_e32 vcc, 1, v14
	v_and_b32_e32 v14, 1, v58
	v_or_b32_e32 v58, 0xa00, v0
	;; [unrolled: 19-line block ×6, first 2 shown]
	v_cndmask_b32_e32 v3, v6, v3, vcc
	v_lshlrev_b32_e32 v3, 1, v3
	ds_write_b16 v3, v33
	v_sub_u32_e32 v3, v95, v68
	v_sub_u32_e32 v6, v44, v3
	v_add_u32_e32 v6, 26, v6
	v_cmp_eq_u32_e32 vcc, 1, v10
	v_or_b32_e32 v10, 0x3800, v0
	s_nop 0
	v_cndmask_b32_e32 v3, v6, v3, vcc
	v_lshlrev_b32_e32 v3, 1, v3
	ds_write_b16 v3, v7
	v_sub_u32_e32 v3, v96, v68
	v_sub_u32_e32 v6, v44, v3
	v_and_b32_e32 v7, 1, v49
	v_add_u32_e32 v6, 27, v6
	v_cmp_eq_u32_e32 vcc, 1, v7
	v_and_b32_e32 v7, 1, v47
	s_nop 0
	v_cndmask_b32_e32 v3, v6, v3, vcc
	v_lshlrev_b32_e32 v3, 1, v3
	ds_write_b16 v3, v32
	v_sub_u32_e32 v3, v97, v68
	v_sub_u32_e32 v6, v44, v3
	v_add_u32_e32 v6, 28, v6
	v_cmp_eq_u32_e32 vcc, 1, v7
	v_and_b32_e32 v7, 1, v48
	v_or_b32_e32 v48, 0x1400, v0
	v_cndmask_b32_e32 v3, v6, v3, vcc
	v_lshlrev_b32_e32 v3, 1, v3
	ds_write_b16 v3, v19
	v_sub_u32_sdwa v3, v47, v68 dst_sel:DWORD dst_unused:UNUSED_PAD src0_sel:BYTE_0 src1_sel:DWORD
	v_add_u32_e32 v3, v97, v3
	v_sub_u32_e32 v6, v44, v3
	v_add_u32_e32 v6, 29, v6
	v_cmp_eq_u32_e32 vcc, 1, v7
	v_or_b32_e32 v44, 0x1800, v0
	v_or_b32_e32 v32, 0x2400, v0
	v_cndmask_b32_e32 v3, v6, v3, vcc
	v_lshlrev_b32_e32 v3, 1, v3
	ds_write_b16 v3, v1
	s_waitcnt lgkmcnt(0)
	s_barrier
	ds_read_u16 v99, v18
	ds_read_u16 v98, v18 offset:1024
	ds_read_u16 v97, v18 offset:2048
	;; [unrolled: 1-line block ×29, first 2 shown]
	v_mov_b32_e32 v1, 0
	v_mov_b32_e32 v18, s35
	v_sub_co_u32_e32 v8, vcc, s34, v8
	v_mov_b32_e32 v69, v1
	v_mov_b32_e32 v3, v1
	v_subb_co_u32_e32 v9, vcc, v18, v9, vcc
	s_waitcnt vmcnt(0)
	v_lshl_add_u64 v[4:5], v[4:5], 0, v[68:69]
	v_lshl_add_u64 v[8:9], v[8:9], 0, v[2:3]
	v_mov_b32_e32 v67, v1
	v_mov_b32_e32 v65, v1
	;; [unrolled: 1-line block ×28, first 2 shown]
	v_or_b32_e32 v6, 0x3a00, v0
	v_mov_b32_e32 v7, v1
	s_and_b64 vcc, exec, s[2:3]
	v_lshl_add_u64 v[8:9], v[8:9], 0, v[4:5]
	s_cbranch_vccnz .LBB1181_234
; %bb.110:
	v_cmp_ge_u32_e32 vcc, v0, v2
                                        ; implicit-def: $vgpr18_vgpr19
	s_and_saveexec_b64 s[0:1], vcc
	s_xor_b64 s[0:1], exec, s[0:1]
; %bb.111:
	v_not_b32_e32 v18, v0
	v_ashrrev_i32_e32 v19, 31, v18
	v_lshl_add_u64 v[18:19], v[8:9], 0, v[18:19]
; %bb.112:
	s_andn2_saveexec_b64 s[0:1], s[0:1]
; %bb.113:
	v_lshl_add_u64 v[18:19], v[4:5], 0, v[0:1]
; %bb.114:
	s_or_b64 exec, exec, s[0:1]
	v_lshl_add_u64 v[18:19], v[18:19], 1, s[22:23]
	v_cmp_ge_u32_e32 vcc, v66, v2
	s_waitcnt lgkmcnt(14)
	global_store_short v[18:19], v99, off
                                        ; implicit-def: $vgpr18_vgpr19
	s_and_saveexec_b64 s[0:1], vcc
	s_xor_b64 s[0:1], exec, s[0:1]
; %bb.115:
	v_xor_b32_e32 v18, 0xfffffdff, v0
	v_ashrrev_i32_e32 v19, 31, v18
	v_lshl_add_u64 v[18:19], v[8:9], 0, v[18:19]
; %bb.116:
	s_andn2_saveexec_b64 s[0:1], s[0:1]
; %bb.117:
	v_lshl_add_u64 v[18:19], v[4:5], 0, v[66:67]
; %bb.118:
	s_or_b64 exec, exec, s[0:1]
	v_lshl_add_u64 v[18:19], v[18:19], 1, s[22:23]
	v_cmp_ge_u32_e32 vcc, v64, v2
	global_store_short v[18:19], v98, off
                                        ; implicit-def: $vgpr18_vgpr19
	s_and_saveexec_b64 s[0:1], vcc
	s_xor_b64 s[0:1], exec, s[0:1]
; %bb.119:
	v_xor_b32_e32 v18, 0xfffffbff, v0
	v_ashrrev_i32_e32 v19, 31, v18
	v_lshl_add_u64 v[18:19], v[8:9], 0, v[18:19]
; %bb.120:
	s_andn2_saveexec_b64 s[0:1], s[0:1]
; %bb.121:
	v_lshl_add_u64 v[18:19], v[4:5], 0, v[64:65]
; %bb.122:
	s_or_b64 exec, exec, s[0:1]
	v_lshl_add_u64 v[18:19], v[18:19], 1, s[22:23]
	v_cmp_ge_u32_e32 vcc, v62, v2
	;; [unrolled: 16-line block ×16, first 2 shown]
	s_waitcnt lgkmcnt(13)
	global_store_short v[18:19], v83, off
                                        ; implicit-def: $vgpr18_vgpr19
	s_and_saveexec_b64 s[0:1], vcc
	s_xor_b64 s[0:1], exec, s[0:1]
; %bb.179:
	v_xor_b32_e32 v18, 0xffffddff, v0
	v_ashrrev_i32_e32 v19, 31, v18
	v_lshl_add_u64 v[18:19], v[8:9], 0, v[18:19]
; %bb.180:
	s_andn2_saveexec_b64 s[0:1], s[0:1]
; %bb.181:
	v_lshl_add_u64 v[18:19], v[4:5], 0, v[34:35]
; %bb.182:
	s_or_b64 exec, exec, s[0:1]
	v_lshl_add_u64 v[18:19], v[18:19], 1, s[22:23]
	v_cmp_ge_u32_e32 vcc, v32, v2
	s_waitcnt lgkmcnt(12)
	global_store_short v[18:19], v82, off
                                        ; implicit-def: $vgpr18_vgpr19
	s_and_saveexec_b64 s[0:1], vcc
	s_xor_b64 s[0:1], exec, s[0:1]
; %bb.183:
	v_xor_b32_e32 v18, 0xffffdbff, v0
	v_ashrrev_i32_e32 v19, 31, v18
	v_lshl_add_u64 v[18:19], v[8:9], 0, v[18:19]
; %bb.184:
	s_andn2_saveexec_b64 s[0:1], s[0:1]
; %bb.185:
	v_lshl_add_u64 v[18:19], v[4:5], 0, v[32:33]
; %bb.186:
	s_or_b64 exec, exec, s[0:1]
	v_lshl_add_u64 v[18:19], v[18:19], 1, s[22:23]
	v_cmp_ge_u32_e32 vcc, v30, v2
	;; [unrolled: 17-line block ×12, first 2 shown]
	s_waitcnt lgkmcnt(1)
	global_store_short v[18:19], v71, off
                                        ; implicit-def: $vgpr18_vgpr19
	s_and_saveexec_b64 s[0:1], vcc
	s_xor_b64 s[0:1], exec, s[0:1]
; %bb.227:
	v_xor_b32_e32 v18, 0xffffc5ff, v0
	v_ashrrev_i32_e32 v19, 31, v18
	v_lshl_add_u64 v[18:19], v[8:9], 0, v[18:19]
; %bb.228:
	s_andn2_saveexec_b64 s[0:1], s[0:1]
; %bb.229:
	v_lshl_add_u64 v[18:19], v[4:5], 0, v[6:7]
; %bb.230:
	s_or_b64 exec, exec, s[0:1]
	s_mov_b64 s[0:1], -1
.LBB1181_231:
	s_and_saveexec_b64 s[2:3], s[0:1]
	s_cbranch_execz .LBB1181_322
.LBB1181_232:
	v_lshl_add_u64 v[0:1], v[18:19], 1, s[22:23]
	s_waitcnt lgkmcnt(0)
	global_store_short v[0:1], v70, off
	s_or_b64 exec, exec, s[2:3]
	s_and_b64 s[0:1], s[20:21], s[26:27]
	s_and_saveexec_b64 s[2:3], s[0:1]
	s_cbranch_execnz .LBB1181_323
.LBB1181_233:
	s_endpgm
.LBB1181_234:
	s_mov_b64 s[0:1], 0
                                        ; implicit-def: $vgpr18_vgpr19
	s_cbranch_execz .LBB1181_231
; %bb.235:
	v_cmp_gt_u32_e32 vcc, s33, v0
	s_and_saveexec_b64 s[2:3], vcc
	s_cbranch_execz .LBB1181_324
; %bb.236:
	v_cmp_ge_u32_e32 vcc, v0, v2
                                        ; implicit-def: $vgpr18_vgpr19
	s_and_saveexec_b64 s[4:5], vcc
	s_xor_b64 s[4:5], exec, s[4:5]
; %bb.237:
	v_not_b32_e32 v18, v0
	v_ashrrev_i32_e32 v19, 31, v18
	v_lshl_add_u64 v[18:19], v[8:9], 0, v[18:19]
; %bb.238:
	s_andn2_saveexec_b64 s[4:5], s[4:5]
; %bb.239:
	v_lshl_add_u64 v[18:19], v[4:5], 0, v[0:1]
; %bb.240:
	s_or_b64 exec, exec, s[4:5]
	v_lshl_add_u64 v[18:19], v[18:19], 1, s[22:23]
	s_waitcnt lgkmcnt(14)
	global_store_short v[18:19], v99, off
	s_or_b64 exec, exec, s[2:3]
	v_cmp_gt_u32_e32 vcc, s33, v66
	s_and_saveexec_b64 s[2:3], vcc
	s_cbranch_execnz .LBB1181_325
.LBB1181_241:
	s_or_b64 exec, exec, s[2:3]
	v_cmp_gt_u32_e32 vcc, s33, v64
	s_and_saveexec_b64 s[2:3], vcc
	s_cbranch_execz .LBB1181_330
.LBB1181_242:
	v_cmp_ge_u32_e32 vcc, v64, v2
                                        ; implicit-def: $vgpr18_vgpr19
	s_and_saveexec_b64 s[4:5], vcc
	s_xor_b64 s[4:5], exec, s[4:5]
; %bb.243:
	v_xor_b32_e32 v18, 0xfffffbff, v0
	v_ashrrev_i32_e32 v19, 31, v18
	v_lshl_add_u64 v[18:19], v[8:9], 0, v[18:19]
                                        ; implicit-def: $vgpr64_vgpr65
; %bb.244:
	s_andn2_saveexec_b64 s[4:5], s[4:5]
; %bb.245:
	v_lshl_add_u64 v[18:19], v[4:5], 0, v[64:65]
; %bb.246:
	s_or_b64 exec, exec, s[4:5]
	v_lshl_add_u64 v[18:19], v[18:19], 1, s[22:23]
	s_waitcnt lgkmcnt(14)
	global_store_short v[18:19], v97, off
	s_or_b64 exec, exec, s[2:3]
	v_cmp_gt_u32_e32 vcc, s33, v62
	s_and_saveexec_b64 s[2:3], vcc
	s_cbranch_execnz .LBB1181_331
.LBB1181_247:
	s_or_b64 exec, exec, s[2:3]
	v_cmp_gt_u32_e32 vcc, s33, v60
	s_and_saveexec_b64 s[2:3], vcc
	s_cbranch_execz .LBB1181_336
.LBB1181_248:
	v_cmp_ge_u32_e32 vcc, v60, v2
                                        ; implicit-def: $vgpr18_vgpr19
	s_and_saveexec_b64 s[4:5], vcc
	s_xor_b64 s[4:5], exec, s[4:5]
; %bb.249:
	v_xor_b32_e32 v18, 0xfffff7ff, v0
	v_ashrrev_i32_e32 v19, 31, v18
	v_lshl_add_u64 v[18:19], v[8:9], 0, v[18:19]
                                        ; implicit-def: $vgpr60_vgpr61
; %bb.250:
	s_andn2_saveexec_b64 s[4:5], s[4:5]
; %bb.251:
	v_lshl_add_u64 v[18:19], v[4:5], 0, v[60:61]
; %bb.252:
	s_or_b64 exec, exec, s[4:5]
	v_lshl_add_u64 v[18:19], v[18:19], 1, s[22:23]
	s_waitcnt lgkmcnt(14)
	global_store_short v[18:19], v95, off
	s_or_b64 exec, exec, s[2:3]
	v_cmp_gt_u32_e32 vcc, s33, v58
	s_and_saveexec_b64 s[2:3], vcc
	s_cbranch_execnz .LBB1181_337
.LBB1181_253:
	s_or_b64 exec, exec, s[2:3]
	v_cmp_gt_u32_e32 vcc, s33, v56
	s_and_saveexec_b64 s[2:3], vcc
	s_cbranch_execz .LBB1181_342
.LBB1181_254:
	v_cmp_ge_u32_e32 vcc, v56, v2
                                        ; implicit-def: $vgpr18_vgpr19
	s_and_saveexec_b64 s[4:5], vcc
	s_xor_b64 s[4:5], exec, s[4:5]
; %bb.255:
	v_xor_b32_e32 v18, 0xfffff3ff, v0
	v_ashrrev_i32_e32 v19, 31, v18
	v_lshl_add_u64 v[18:19], v[8:9], 0, v[18:19]
                                        ; implicit-def: $vgpr56_vgpr57
; %bb.256:
	s_andn2_saveexec_b64 s[4:5], s[4:5]
; %bb.257:
	v_lshl_add_u64 v[18:19], v[4:5], 0, v[56:57]
; %bb.258:
	s_or_b64 exec, exec, s[4:5]
	v_lshl_add_u64 v[18:19], v[18:19], 1, s[22:23]
	s_waitcnt lgkmcnt(14)
	global_store_short v[18:19], v93, off
	s_or_b64 exec, exec, s[2:3]
	v_cmp_gt_u32_e32 vcc, s33, v54
	s_and_saveexec_b64 s[2:3], vcc
	s_cbranch_execnz .LBB1181_343
.LBB1181_259:
	s_or_b64 exec, exec, s[2:3]
	v_cmp_gt_u32_e32 vcc, s33, v52
	s_and_saveexec_b64 s[2:3], vcc
	s_cbranch_execz .LBB1181_348
.LBB1181_260:
	v_cmp_ge_u32_e32 vcc, v52, v2
                                        ; implicit-def: $vgpr18_vgpr19
	s_and_saveexec_b64 s[4:5], vcc
	s_xor_b64 s[4:5], exec, s[4:5]
; %bb.261:
	v_xor_b32_e32 v18, 0xffffefff, v0
	v_ashrrev_i32_e32 v19, 31, v18
	v_lshl_add_u64 v[18:19], v[8:9], 0, v[18:19]
                                        ; implicit-def: $vgpr52_vgpr53
; %bb.262:
	s_andn2_saveexec_b64 s[4:5], s[4:5]
; %bb.263:
	v_lshl_add_u64 v[18:19], v[4:5], 0, v[52:53]
; %bb.264:
	s_or_b64 exec, exec, s[4:5]
	v_lshl_add_u64 v[18:19], v[18:19], 1, s[22:23]
	s_waitcnt lgkmcnt(14)
	global_store_short v[18:19], v91, off
	s_or_b64 exec, exec, s[2:3]
	v_cmp_gt_u32_e32 vcc, s33, v50
	s_and_saveexec_b64 s[2:3], vcc
	s_cbranch_execnz .LBB1181_349
.LBB1181_265:
	s_or_b64 exec, exec, s[2:3]
	v_cmp_gt_u32_e32 vcc, s33, v48
	s_and_saveexec_b64 s[2:3], vcc
	s_cbranch_execz .LBB1181_354
.LBB1181_266:
	v_cmp_ge_u32_e32 vcc, v48, v2
                                        ; implicit-def: $vgpr18_vgpr19
	s_and_saveexec_b64 s[4:5], vcc
	s_xor_b64 s[4:5], exec, s[4:5]
; %bb.267:
	v_xor_b32_e32 v18, 0xffffebff, v0
	v_ashrrev_i32_e32 v19, 31, v18
	v_lshl_add_u64 v[18:19], v[8:9], 0, v[18:19]
                                        ; implicit-def: $vgpr48_vgpr49
; %bb.268:
	s_andn2_saveexec_b64 s[4:5], s[4:5]
; %bb.269:
	v_lshl_add_u64 v[18:19], v[4:5], 0, v[48:49]
; %bb.270:
	s_or_b64 exec, exec, s[4:5]
	v_lshl_add_u64 v[18:19], v[18:19], 1, s[22:23]
	s_waitcnt lgkmcnt(14)
	global_store_short v[18:19], v89, off
	s_or_b64 exec, exec, s[2:3]
	v_cmp_gt_u32_e32 vcc, s33, v46
	s_and_saveexec_b64 s[2:3], vcc
	s_cbranch_execnz .LBB1181_355
.LBB1181_271:
	s_or_b64 exec, exec, s[2:3]
	v_cmp_gt_u32_e32 vcc, s33, v44
	s_and_saveexec_b64 s[2:3], vcc
	s_cbranch_execz .LBB1181_360
.LBB1181_272:
	v_cmp_ge_u32_e32 vcc, v44, v2
                                        ; implicit-def: $vgpr18_vgpr19
	s_and_saveexec_b64 s[4:5], vcc
	s_xor_b64 s[4:5], exec, s[4:5]
; %bb.273:
	v_xor_b32_e32 v18, 0xffffe7ff, v0
	v_ashrrev_i32_e32 v19, 31, v18
	v_lshl_add_u64 v[18:19], v[8:9], 0, v[18:19]
                                        ; implicit-def: $vgpr44_vgpr45
; %bb.274:
	s_andn2_saveexec_b64 s[4:5], s[4:5]
; %bb.275:
	v_lshl_add_u64 v[18:19], v[4:5], 0, v[44:45]
; %bb.276:
	s_or_b64 exec, exec, s[4:5]
	v_lshl_add_u64 v[18:19], v[18:19], 1, s[22:23]
	s_waitcnt lgkmcnt(14)
	global_store_short v[18:19], v87, off
	s_or_b64 exec, exec, s[2:3]
	v_cmp_gt_u32_e32 vcc, s33, v42
	s_and_saveexec_b64 s[2:3], vcc
	s_cbranch_execnz .LBB1181_361
.LBB1181_277:
	s_or_b64 exec, exec, s[2:3]
	v_cmp_gt_u32_e32 vcc, s33, v40
	s_and_saveexec_b64 s[2:3], vcc
	s_cbranch_execz .LBB1181_366
.LBB1181_278:
	v_cmp_ge_u32_e32 vcc, v40, v2
                                        ; implicit-def: $vgpr18_vgpr19
	s_and_saveexec_b64 s[4:5], vcc
	s_xor_b64 s[4:5], exec, s[4:5]
; %bb.279:
	v_xor_b32_e32 v18, 0xffffe3ff, v0
	v_ashrrev_i32_e32 v19, 31, v18
	v_lshl_add_u64 v[18:19], v[8:9], 0, v[18:19]
                                        ; implicit-def: $vgpr40_vgpr41
; %bb.280:
	s_andn2_saveexec_b64 s[4:5], s[4:5]
; %bb.281:
	v_lshl_add_u64 v[18:19], v[4:5], 0, v[40:41]
; %bb.282:
	s_or_b64 exec, exec, s[4:5]
	v_lshl_add_u64 v[18:19], v[18:19], 1, s[22:23]
	s_waitcnt lgkmcnt(14)
	global_store_short v[18:19], v85, off
	s_or_b64 exec, exec, s[2:3]
	v_cmp_gt_u32_e32 vcc, s33, v38
	s_and_saveexec_b64 s[2:3], vcc
	s_cbranch_execnz .LBB1181_367
.LBB1181_283:
	s_or_b64 exec, exec, s[2:3]
	v_cmp_gt_u32_e32 vcc, s33, v36
	s_and_saveexec_b64 s[2:3], vcc
	s_cbranch_execz .LBB1181_372
.LBB1181_284:
	v_cmp_ge_u32_e32 vcc, v36, v2
                                        ; implicit-def: $vgpr18_vgpr19
	s_and_saveexec_b64 s[4:5], vcc
	s_xor_b64 s[4:5], exec, s[4:5]
; %bb.285:
	v_xor_b32_e32 v18, 0xffffdfff, v0
	v_ashrrev_i32_e32 v19, 31, v18
	v_lshl_add_u64 v[18:19], v[8:9], 0, v[18:19]
                                        ; implicit-def: $vgpr36_vgpr37
; %bb.286:
	s_andn2_saveexec_b64 s[4:5], s[4:5]
; %bb.287:
	v_lshl_add_u64 v[18:19], v[4:5], 0, v[36:37]
; %bb.288:
	s_or_b64 exec, exec, s[4:5]
	v_lshl_add_u64 v[18:19], v[18:19], 1, s[22:23]
	s_waitcnt lgkmcnt(13)
	global_store_short v[18:19], v83, off
	s_or_b64 exec, exec, s[2:3]
	v_cmp_gt_u32_e32 vcc, s33, v34
	s_and_saveexec_b64 s[2:3], vcc
	s_cbranch_execnz .LBB1181_373
.LBB1181_289:
	s_or_b64 exec, exec, s[2:3]
	v_cmp_gt_u32_e32 vcc, s33, v32
	s_and_saveexec_b64 s[2:3], vcc
	s_cbranch_execz .LBB1181_378
.LBB1181_290:
	v_cmp_ge_u32_e32 vcc, v32, v2
                                        ; implicit-def: $vgpr18_vgpr19
	s_and_saveexec_b64 s[4:5], vcc
	s_xor_b64 s[4:5], exec, s[4:5]
; %bb.291:
	v_xor_b32_e32 v18, 0xffffdbff, v0
	v_ashrrev_i32_e32 v19, 31, v18
	v_lshl_add_u64 v[18:19], v[8:9], 0, v[18:19]
                                        ; implicit-def: $vgpr32_vgpr33
; %bb.292:
	s_andn2_saveexec_b64 s[4:5], s[4:5]
; %bb.293:
	v_lshl_add_u64 v[18:19], v[4:5], 0, v[32:33]
; %bb.294:
	s_or_b64 exec, exec, s[4:5]
	v_lshl_add_u64 v[18:19], v[18:19], 1, s[22:23]
	s_waitcnt lgkmcnt(11)
	global_store_short v[18:19], v81, off
	s_or_b64 exec, exec, s[2:3]
	v_cmp_gt_u32_e32 vcc, s33, v30
	s_and_saveexec_b64 s[2:3], vcc
	s_cbranch_execnz .LBB1181_379
.LBB1181_295:
	s_or_b64 exec, exec, s[2:3]
	v_cmp_gt_u32_e32 vcc, s33, v28
	s_and_saveexec_b64 s[2:3], vcc
	s_cbranch_execz .LBB1181_384
.LBB1181_296:
	v_cmp_ge_u32_e32 vcc, v28, v2
                                        ; implicit-def: $vgpr18_vgpr19
	s_and_saveexec_b64 s[4:5], vcc
	s_xor_b64 s[4:5], exec, s[4:5]
; %bb.297:
	v_xor_b32_e32 v18, 0xffffd7ff, v0
	v_ashrrev_i32_e32 v19, 31, v18
	v_lshl_add_u64 v[18:19], v[8:9], 0, v[18:19]
                                        ; implicit-def: $vgpr28_vgpr29
; %bb.298:
	s_andn2_saveexec_b64 s[4:5], s[4:5]
; %bb.299:
	v_lshl_add_u64 v[18:19], v[4:5], 0, v[28:29]
; %bb.300:
	s_or_b64 exec, exec, s[4:5]
	v_lshl_add_u64 v[18:19], v[18:19], 1, s[22:23]
	s_waitcnt lgkmcnt(9)
	global_store_short v[18:19], v79, off
	s_or_b64 exec, exec, s[2:3]
	v_cmp_gt_u32_e32 vcc, s33, v26
	s_and_saveexec_b64 s[2:3], vcc
	s_cbranch_execnz .LBB1181_385
.LBB1181_301:
	s_or_b64 exec, exec, s[2:3]
	v_cmp_gt_u32_e32 vcc, s33, v24
	s_and_saveexec_b64 s[2:3], vcc
	s_cbranch_execz .LBB1181_390
.LBB1181_302:
	v_cmp_ge_u32_e32 vcc, v24, v2
                                        ; implicit-def: $vgpr18_vgpr19
	s_and_saveexec_b64 s[4:5], vcc
	s_xor_b64 s[4:5], exec, s[4:5]
; %bb.303:
	v_xor_b32_e32 v18, 0xffffd3ff, v0
	v_ashrrev_i32_e32 v19, 31, v18
	v_lshl_add_u64 v[18:19], v[8:9], 0, v[18:19]
                                        ; implicit-def: $vgpr24_vgpr25
; %bb.304:
	s_andn2_saveexec_b64 s[4:5], s[4:5]
; %bb.305:
	v_lshl_add_u64 v[18:19], v[4:5], 0, v[24:25]
; %bb.306:
	s_or_b64 exec, exec, s[4:5]
	v_lshl_add_u64 v[18:19], v[18:19], 1, s[22:23]
	s_waitcnt lgkmcnt(7)
	global_store_short v[18:19], v77, off
	s_or_b64 exec, exec, s[2:3]
	v_cmp_gt_u32_e32 vcc, s33, v22
	s_and_saveexec_b64 s[2:3], vcc
	s_cbranch_execnz .LBB1181_391
.LBB1181_307:
	s_or_b64 exec, exec, s[2:3]
	v_cmp_gt_u32_e32 vcc, s33, v20
	s_and_saveexec_b64 s[2:3], vcc
	s_cbranch_execz .LBB1181_396
.LBB1181_308:
	v_cmp_ge_u32_e32 vcc, v20, v2
                                        ; implicit-def: $vgpr18_vgpr19
	s_and_saveexec_b64 s[4:5], vcc
	s_xor_b64 s[4:5], exec, s[4:5]
; %bb.309:
	v_xor_b32_e32 v18, 0xffffcfff, v0
	v_ashrrev_i32_e32 v19, 31, v18
	v_lshl_add_u64 v[18:19], v[8:9], 0, v[18:19]
                                        ; implicit-def: $vgpr20_vgpr21
; %bb.310:
	s_andn2_saveexec_b64 s[4:5], s[4:5]
; %bb.311:
	v_lshl_add_u64 v[18:19], v[4:5], 0, v[20:21]
; %bb.312:
	s_or_b64 exec, exec, s[4:5]
	v_lshl_add_u64 v[18:19], v[18:19], 1, s[22:23]
	s_waitcnt lgkmcnt(5)
	global_store_short v[18:19], v75, off
	s_or_b64 exec, exec, s[2:3]
	v_cmp_gt_u32_e32 vcc, s33, v16
	s_and_saveexec_b64 s[2:3], vcc
	s_cbranch_execnz .LBB1181_397
.LBB1181_313:
	s_or_b64 exec, exec, s[2:3]
	v_cmp_gt_u32_e32 vcc, s33, v14
	s_and_saveexec_b64 s[2:3], vcc
	s_cbranch_execz .LBB1181_402
.LBB1181_314:
	v_cmp_ge_u32_e32 vcc, v14, v2
                                        ; implicit-def: $vgpr16_vgpr17
	s_and_saveexec_b64 s[4:5], vcc
	s_xor_b64 s[4:5], exec, s[4:5]
; %bb.315:
	v_xor_b32_e32 v14, 0xffffcbff, v0
	v_ashrrev_i32_e32 v15, 31, v14
	v_lshl_add_u64 v[16:17], v[8:9], 0, v[14:15]
                                        ; implicit-def: $vgpr14_vgpr15
; %bb.316:
	s_andn2_saveexec_b64 s[4:5], s[4:5]
; %bb.317:
	v_lshl_add_u64 v[16:17], v[4:5], 0, v[14:15]
; %bb.318:
	s_or_b64 exec, exec, s[4:5]
	v_lshl_add_u64 v[14:15], v[16:17], 1, s[22:23]
	s_waitcnt lgkmcnt(3)
	global_store_short v[14:15], v73, off
	s_or_b64 exec, exec, s[2:3]
	v_cmp_gt_u32_e32 vcc, s33, v12
	s_and_saveexec_b64 s[2:3], vcc
	s_cbranch_execnz .LBB1181_403
.LBB1181_319:
	s_or_b64 exec, exec, s[2:3]
	v_cmp_gt_u32_e32 vcc, s33, v10
	s_and_saveexec_b64 s[2:3], vcc
	s_cbranch_execnz .LBB1181_408
.LBB1181_320:
	s_or_b64 exec, exec, s[2:3]
	v_cmp_gt_u32_e32 vcc, s33, v6
                                        ; implicit-def: $vgpr18_vgpr19
	s_and_saveexec_b64 s[2:3], vcc
	s_cbranch_execnz .LBB1181_413
.LBB1181_321:
	s_or_b64 exec, exec, s[2:3]
	s_and_saveexec_b64 s[2:3], s[0:1]
	s_cbranch_execnz .LBB1181_232
.LBB1181_322:
	s_or_b64 exec, exec, s[2:3]
	s_and_b64 s[0:1], s[20:21], s[26:27]
	s_and_saveexec_b64 s[2:3], s[0:1]
	s_cbranch_execz .LBB1181_233
.LBB1181_323:
	v_mov_b32_e32 v6, 0
	v_lshl_add_u64 v[0:1], v[4:5], 0, v[2:3]
	global_store_dwordx2 v6, v[0:1], s[24:25]
	s_endpgm
.LBB1181_324:
	s_or_b64 exec, exec, s[2:3]
	v_cmp_gt_u32_e32 vcc, s33, v66
	s_and_saveexec_b64 s[2:3], vcc
	s_cbranch_execz .LBB1181_241
.LBB1181_325:
	v_cmp_ge_u32_e32 vcc, v66, v2
                                        ; implicit-def: $vgpr18_vgpr19
	s_and_saveexec_b64 s[4:5], vcc
	s_xor_b64 s[4:5], exec, s[4:5]
; %bb.326:
	v_xor_b32_e32 v18, 0xfffffdff, v0
	v_ashrrev_i32_e32 v19, 31, v18
	v_lshl_add_u64 v[18:19], v[8:9], 0, v[18:19]
                                        ; implicit-def: $vgpr66_vgpr67
; %bb.327:
	s_andn2_saveexec_b64 s[4:5], s[4:5]
; %bb.328:
	v_lshl_add_u64 v[18:19], v[4:5], 0, v[66:67]
; %bb.329:
	s_or_b64 exec, exec, s[4:5]
	v_lshl_add_u64 v[18:19], v[18:19], 1, s[22:23]
	s_waitcnt lgkmcnt(14)
	global_store_short v[18:19], v98, off
	s_or_b64 exec, exec, s[2:3]
	v_cmp_gt_u32_e32 vcc, s33, v64
	s_and_saveexec_b64 s[2:3], vcc
	s_cbranch_execnz .LBB1181_242
.LBB1181_330:
	s_or_b64 exec, exec, s[2:3]
	v_cmp_gt_u32_e32 vcc, s33, v62
	s_and_saveexec_b64 s[2:3], vcc
	s_cbranch_execz .LBB1181_247
.LBB1181_331:
	v_cmp_ge_u32_e32 vcc, v62, v2
                                        ; implicit-def: $vgpr18_vgpr19
	s_and_saveexec_b64 s[4:5], vcc
	s_xor_b64 s[4:5], exec, s[4:5]
; %bb.332:
	v_xor_b32_e32 v18, 0xfffff9ff, v0
	v_ashrrev_i32_e32 v19, 31, v18
	v_lshl_add_u64 v[18:19], v[8:9], 0, v[18:19]
                                        ; implicit-def: $vgpr62_vgpr63
; %bb.333:
	s_andn2_saveexec_b64 s[4:5], s[4:5]
; %bb.334:
	v_lshl_add_u64 v[18:19], v[4:5], 0, v[62:63]
; %bb.335:
	s_or_b64 exec, exec, s[4:5]
	v_lshl_add_u64 v[18:19], v[18:19], 1, s[22:23]
	s_waitcnt lgkmcnt(14)
	global_store_short v[18:19], v96, off
	s_or_b64 exec, exec, s[2:3]
	v_cmp_gt_u32_e32 vcc, s33, v60
	s_and_saveexec_b64 s[2:3], vcc
	s_cbranch_execnz .LBB1181_248
.LBB1181_336:
	s_or_b64 exec, exec, s[2:3]
	v_cmp_gt_u32_e32 vcc, s33, v58
	s_and_saveexec_b64 s[2:3], vcc
	s_cbranch_execz .LBB1181_253
.LBB1181_337:
	v_cmp_ge_u32_e32 vcc, v58, v2
                                        ; implicit-def: $vgpr18_vgpr19
	s_and_saveexec_b64 s[4:5], vcc
	s_xor_b64 s[4:5], exec, s[4:5]
; %bb.338:
	v_xor_b32_e32 v18, 0xfffff5ff, v0
	v_ashrrev_i32_e32 v19, 31, v18
	v_lshl_add_u64 v[18:19], v[8:9], 0, v[18:19]
                                        ; implicit-def: $vgpr58_vgpr59
; %bb.339:
	s_andn2_saveexec_b64 s[4:5], s[4:5]
; %bb.340:
	v_lshl_add_u64 v[18:19], v[4:5], 0, v[58:59]
; %bb.341:
	s_or_b64 exec, exec, s[4:5]
	v_lshl_add_u64 v[18:19], v[18:19], 1, s[22:23]
	s_waitcnt lgkmcnt(14)
	global_store_short v[18:19], v94, off
	s_or_b64 exec, exec, s[2:3]
	v_cmp_gt_u32_e32 vcc, s33, v56
	s_and_saveexec_b64 s[2:3], vcc
	s_cbranch_execnz .LBB1181_254
.LBB1181_342:
	s_or_b64 exec, exec, s[2:3]
	v_cmp_gt_u32_e32 vcc, s33, v54
	s_and_saveexec_b64 s[2:3], vcc
	s_cbranch_execz .LBB1181_259
.LBB1181_343:
	v_cmp_ge_u32_e32 vcc, v54, v2
                                        ; implicit-def: $vgpr18_vgpr19
	s_and_saveexec_b64 s[4:5], vcc
	s_xor_b64 s[4:5], exec, s[4:5]
; %bb.344:
	v_xor_b32_e32 v18, 0xfffff1ff, v0
	v_ashrrev_i32_e32 v19, 31, v18
	v_lshl_add_u64 v[18:19], v[8:9], 0, v[18:19]
                                        ; implicit-def: $vgpr54_vgpr55
; %bb.345:
	s_andn2_saveexec_b64 s[4:5], s[4:5]
; %bb.346:
	v_lshl_add_u64 v[18:19], v[4:5], 0, v[54:55]
; %bb.347:
	s_or_b64 exec, exec, s[4:5]
	v_lshl_add_u64 v[18:19], v[18:19], 1, s[22:23]
	s_waitcnt lgkmcnt(14)
	global_store_short v[18:19], v92, off
	s_or_b64 exec, exec, s[2:3]
	v_cmp_gt_u32_e32 vcc, s33, v52
	s_and_saveexec_b64 s[2:3], vcc
	s_cbranch_execnz .LBB1181_260
.LBB1181_348:
	s_or_b64 exec, exec, s[2:3]
	v_cmp_gt_u32_e32 vcc, s33, v50
	s_and_saveexec_b64 s[2:3], vcc
	s_cbranch_execz .LBB1181_265
.LBB1181_349:
	v_cmp_ge_u32_e32 vcc, v50, v2
                                        ; implicit-def: $vgpr18_vgpr19
	s_and_saveexec_b64 s[4:5], vcc
	s_xor_b64 s[4:5], exec, s[4:5]
; %bb.350:
	v_xor_b32_e32 v18, 0xffffedff, v0
	v_ashrrev_i32_e32 v19, 31, v18
	v_lshl_add_u64 v[18:19], v[8:9], 0, v[18:19]
                                        ; implicit-def: $vgpr50_vgpr51
; %bb.351:
	s_andn2_saveexec_b64 s[4:5], s[4:5]
; %bb.352:
	v_lshl_add_u64 v[18:19], v[4:5], 0, v[50:51]
; %bb.353:
	s_or_b64 exec, exec, s[4:5]
	v_lshl_add_u64 v[18:19], v[18:19], 1, s[22:23]
	s_waitcnt lgkmcnt(14)
	global_store_short v[18:19], v90, off
	s_or_b64 exec, exec, s[2:3]
	v_cmp_gt_u32_e32 vcc, s33, v48
	s_and_saveexec_b64 s[2:3], vcc
	s_cbranch_execnz .LBB1181_266
.LBB1181_354:
	s_or_b64 exec, exec, s[2:3]
	v_cmp_gt_u32_e32 vcc, s33, v46
	s_and_saveexec_b64 s[2:3], vcc
	s_cbranch_execz .LBB1181_271
.LBB1181_355:
	v_cmp_ge_u32_e32 vcc, v46, v2
                                        ; implicit-def: $vgpr18_vgpr19
	s_and_saveexec_b64 s[4:5], vcc
	s_xor_b64 s[4:5], exec, s[4:5]
; %bb.356:
	v_xor_b32_e32 v18, 0xffffe9ff, v0
	v_ashrrev_i32_e32 v19, 31, v18
	v_lshl_add_u64 v[18:19], v[8:9], 0, v[18:19]
                                        ; implicit-def: $vgpr46_vgpr47
; %bb.357:
	s_andn2_saveexec_b64 s[4:5], s[4:5]
; %bb.358:
	v_lshl_add_u64 v[18:19], v[4:5], 0, v[46:47]
; %bb.359:
	s_or_b64 exec, exec, s[4:5]
	v_lshl_add_u64 v[18:19], v[18:19], 1, s[22:23]
	s_waitcnt lgkmcnt(14)
	global_store_short v[18:19], v88, off
	s_or_b64 exec, exec, s[2:3]
	v_cmp_gt_u32_e32 vcc, s33, v44
	s_and_saveexec_b64 s[2:3], vcc
	s_cbranch_execnz .LBB1181_272
.LBB1181_360:
	s_or_b64 exec, exec, s[2:3]
	v_cmp_gt_u32_e32 vcc, s33, v42
	s_and_saveexec_b64 s[2:3], vcc
	s_cbranch_execz .LBB1181_277
.LBB1181_361:
	v_cmp_ge_u32_e32 vcc, v42, v2
                                        ; implicit-def: $vgpr18_vgpr19
	s_and_saveexec_b64 s[4:5], vcc
	s_xor_b64 s[4:5], exec, s[4:5]
; %bb.362:
	v_xor_b32_e32 v18, 0xffffe5ff, v0
	v_ashrrev_i32_e32 v19, 31, v18
	v_lshl_add_u64 v[18:19], v[8:9], 0, v[18:19]
                                        ; implicit-def: $vgpr42_vgpr43
; %bb.363:
	s_andn2_saveexec_b64 s[4:5], s[4:5]
; %bb.364:
	v_lshl_add_u64 v[18:19], v[4:5], 0, v[42:43]
; %bb.365:
	s_or_b64 exec, exec, s[4:5]
	v_lshl_add_u64 v[18:19], v[18:19], 1, s[22:23]
	s_waitcnt lgkmcnt(14)
	global_store_short v[18:19], v86, off
	s_or_b64 exec, exec, s[2:3]
	v_cmp_gt_u32_e32 vcc, s33, v40
	s_and_saveexec_b64 s[2:3], vcc
	s_cbranch_execnz .LBB1181_278
.LBB1181_366:
	s_or_b64 exec, exec, s[2:3]
	v_cmp_gt_u32_e32 vcc, s33, v38
	s_and_saveexec_b64 s[2:3], vcc
	s_cbranch_execz .LBB1181_283
.LBB1181_367:
	v_cmp_ge_u32_e32 vcc, v38, v2
                                        ; implicit-def: $vgpr18_vgpr19
	s_and_saveexec_b64 s[4:5], vcc
	s_xor_b64 s[4:5], exec, s[4:5]
; %bb.368:
	v_xor_b32_e32 v18, 0xffffe1ff, v0
	v_ashrrev_i32_e32 v19, 31, v18
	v_lshl_add_u64 v[18:19], v[8:9], 0, v[18:19]
                                        ; implicit-def: $vgpr38_vgpr39
; %bb.369:
	s_andn2_saveexec_b64 s[4:5], s[4:5]
; %bb.370:
	v_lshl_add_u64 v[18:19], v[4:5], 0, v[38:39]
; %bb.371:
	s_or_b64 exec, exec, s[4:5]
	v_lshl_add_u64 v[18:19], v[18:19], 1, s[22:23]
	s_waitcnt lgkmcnt(14)
	global_store_short v[18:19], v84, off
	s_or_b64 exec, exec, s[2:3]
	v_cmp_gt_u32_e32 vcc, s33, v36
	s_and_saveexec_b64 s[2:3], vcc
	s_cbranch_execnz .LBB1181_284
.LBB1181_372:
	s_or_b64 exec, exec, s[2:3]
	v_cmp_gt_u32_e32 vcc, s33, v34
	s_and_saveexec_b64 s[2:3], vcc
	s_cbranch_execz .LBB1181_289
.LBB1181_373:
	v_cmp_ge_u32_e32 vcc, v34, v2
                                        ; implicit-def: $vgpr18_vgpr19
	s_and_saveexec_b64 s[4:5], vcc
	s_xor_b64 s[4:5], exec, s[4:5]
; %bb.374:
	v_xor_b32_e32 v18, 0xffffddff, v0
	v_ashrrev_i32_e32 v19, 31, v18
	v_lshl_add_u64 v[18:19], v[8:9], 0, v[18:19]
                                        ; implicit-def: $vgpr34_vgpr35
; %bb.375:
	s_andn2_saveexec_b64 s[4:5], s[4:5]
; %bb.376:
	v_lshl_add_u64 v[18:19], v[4:5], 0, v[34:35]
; %bb.377:
	s_or_b64 exec, exec, s[4:5]
	v_lshl_add_u64 v[18:19], v[18:19], 1, s[22:23]
	s_waitcnt lgkmcnt(12)
	global_store_short v[18:19], v82, off
	s_or_b64 exec, exec, s[2:3]
	v_cmp_gt_u32_e32 vcc, s33, v32
	s_and_saveexec_b64 s[2:3], vcc
	s_cbranch_execnz .LBB1181_290
.LBB1181_378:
	s_or_b64 exec, exec, s[2:3]
	v_cmp_gt_u32_e32 vcc, s33, v30
	s_and_saveexec_b64 s[2:3], vcc
	s_cbranch_execz .LBB1181_295
.LBB1181_379:
	v_cmp_ge_u32_e32 vcc, v30, v2
                                        ; implicit-def: $vgpr18_vgpr19
	s_and_saveexec_b64 s[4:5], vcc
	s_xor_b64 s[4:5], exec, s[4:5]
; %bb.380:
	v_xor_b32_e32 v18, 0xffffd9ff, v0
	v_ashrrev_i32_e32 v19, 31, v18
	v_lshl_add_u64 v[18:19], v[8:9], 0, v[18:19]
                                        ; implicit-def: $vgpr30_vgpr31
; %bb.381:
	s_andn2_saveexec_b64 s[4:5], s[4:5]
; %bb.382:
	v_lshl_add_u64 v[18:19], v[4:5], 0, v[30:31]
; %bb.383:
	s_or_b64 exec, exec, s[4:5]
	v_lshl_add_u64 v[18:19], v[18:19], 1, s[22:23]
	s_waitcnt lgkmcnt(10)
	global_store_short v[18:19], v80, off
	s_or_b64 exec, exec, s[2:3]
	v_cmp_gt_u32_e32 vcc, s33, v28
	s_and_saveexec_b64 s[2:3], vcc
	s_cbranch_execnz .LBB1181_296
.LBB1181_384:
	s_or_b64 exec, exec, s[2:3]
	v_cmp_gt_u32_e32 vcc, s33, v26
	s_and_saveexec_b64 s[2:3], vcc
	s_cbranch_execz .LBB1181_301
.LBB1181_385:
	v_cmp_ge_u32_e32 vcc, v26, v2
                                        ; implicit-def: $vgpr18_vgpr19
	s_and_saveexec_b64 s[4:5], vcc
	s_xor_b64 s[4:5], exec, s[4:5]
; %bb.386:
	v_xor_b32_e32 v18, 0xffffd5ff, v0
	v_ashrrev_i32_e32 v19, 31, v18
	v_lshl_add_u64 v[18:19], v[8:9], 0, v[18:19]
                                        ; implicit-def: $vgpr26_vgpr27
; %bb.387:
	s_andn2_saveexec_b64 s[4:5], s[4:5]
; %bb.388:
	v_lshl_add_u64 v[18:19], v[4:5], 0, v[26:27]
; %bb.389:
	s_or_b64 exec, exec, s[4:5]
	v_lshl_add_u64 v[18:19], v[18:19], 1, s[22:23]
	s_waitcnt lgkmcnt(8)
	global_store_short v[18:19], v78, off
	s_or_b64 exec, exec, s[2:3]
	v_cmp_gt_u32_e32 vcc, s33, v24
	s_and_saveexec_b64 s[2:3], vcc
	s_cbranch_execnz .LBB1181_302
.LBB1181_390:
	s_or_b64 exec, exec, s[2:3]
	v_cmp_gt_u32_e32 vcc, s33, v22
	s_and_saveexec_b64 s[2:3], vcc
	s_cbranch_execz .LBB1181_307
.LBB1181_391:
	v_cmp_ge_u32_e32 vcc, v22, v2
                                        ; implicit-def: $vgpr18_vgpr19
	s_and_saveexec_b64 s[4:5], vcc
	s_xor_b64 s[4:5], exec, s[4:5]
; %bb.392:
	v_xor_b32_e32 v18, 0xffffd1ff, v0
	v_ashrrev_i32_e32 v19, 31, v18
	v_lshl_add_u64 v[18:19], v[8:9], 0, v[18:19]
                                        ; implicit-def: $vgpr22_vgpr23
; %bb.393:
	s_andn2_saveexec_b64 s[4:5], s[4:5]
; %bb.394:
	v_lshl_add_u64 v[18:19], v[4:5], 0, v[22:23]
; %bb.395:
	s_or_b64 exec, exec, s[4:5]
	v_lshl_add_u64 v[18:19], v[18:19], 1, s[22:23]
	s_waitcnt lgkmcnt(6)
	global_store_short v[18:19], v76, off
	s_or_b64 exec, exec, s[2:3]
	v_cmp_gt_u32_e32 vcc, s33, v20
	s_and_saveexec_b64 s[2:3], vcc
	s_cbranch_execnz .LBB1181_308
.LBB1181_396:
	s_or_b64 exec, exec, s[2:3]
	v_cmp_gt_u32_e32 vcc, s33, v16
	s_and_saveexec_b64 s[2:3], vcc
	s_cbranch_execz .LBB1181_313
.LBB1181_397:
	v_cmp_ge_u32_e32 vcc, v16, v2
                                        ; implicit-def: $vgpr18_vgpr19
	s_and_saveexec_b64 s[4:5], vcc
	s_xor_b64 s[4:5], exec, s[4:5]
; %bb.398:
	v_xor_b32_e32 v16, 0xffffcdff, v0
	v_ashrrev_i32_e32 v17, 31, v16
	v_lshl_add_u64 v[18:19], v[8:9], 0, v[16:17]
                                        ; implicit-def: $vgpr16_vgpr17
; %bb.399:
	s_andn2_saveexec_b64 s[4:5], s[4:5]
; %bb.400:
	v_lshl_add_u64 v[18:19], v[4:5], 0, v[16:17]
; %bb.401:
	s_or_b64 exec, exec, s[4:5]
	v_lshl_add_u64 v[16:17], v[18:19], 1, s[22:23]
	s_waitcnt lgkmcnt(4)
	global_store_short v[16:17], v74, off
	s_or_b64 exec, exec, s[2:3]
	v_cmp_gt_u32_e32 vcc, s33, v14
	s_and_saveexec_b64 s[2:3], vcc
	s_cbranch_execnz .LBB1181_314
.LBB1181_402:
	s_or_b64 exec, exec, s[2:3]
	v_cmp_gt_u32_e32 vcc, s33, v12
	s_and_saveexec_b64 s[2:3], vcc
	s_cbranch_execz .LBB1181_319
.LBB1181_403:
	v_cmp_ge_u32_e32 vcc, v12, v2
                                        ; implicit-def: $vgpr14_vgpr15
	s_and_saveexec_b64 s[4:5], vcc
	s_xor_b64 s[4:5], exec, s[4:5]
; %bb.404:
	v_xor_b32_e32 v12, 0xffffc9ff, v0
	v_ashrrev_i32_e32 v13, 31, v12
	v_lshl_add_u64 v[14:15], v[8:9], 0, v[12:13]
                                        ; implicit-def: $vgpr12_vgpr13
; %bb.405:
	s_andn2_saveexec_b64 s[4:5], s[4:5]
; %bb.406:
	v_lshl_add_u64 v[14:15], v[4:5], 0, v[12:13]
; %bb.407:
	s_or_b64 exec, exec, s[4:5]
	v_lshl_add_u64 v[12:13], v[14:15], 1, s[22:23]
	s_waitcnt lgkmcnt(2)
	global_store_short v[12:13], v72, off
	s_or_b64 exec, exec, s[2:3]
	v_cmp_gt_u32_e32 vcc, s33, v10
	s_and_saveexec_b64 s[2:3], vcc
	s_cbranch_execz .LBB1181_320
.LBB1181_408:
	v_cmp_ge_u32_e32 vcc, v10, v2
                                        ; implicit-def: $vgpr12_vgpr13
	s_and_saveexec_b64 s[4:5], vcc
	s_xor_b64 s[4:5], exec, s[4:5]
; %bb.409:
	v_xor_b32_e32 v10, 0xffffc7ff, v0
	v_ashrrev_i32_e32 v11, 31, v10
	v_lshl_add_u64 v[12:13], v[8:9], 0, v[10:11]
                                        ; implicit-def: $vgpr10_vgpr11
; %bb.410:
	s_andn2_saveexec_b64 s[4:5], s[4:5]
; %bb.411:
	v_lshl_add_u64 v[12:13], v[4:5], 0, v[10:11]
; %bb.412:
	s_or_b64 exec, exec, s[4:5]
	v_lshl_add_u64 v[10:11], v[12:13], 1, s[22:23]
	s_waitcnt lgkmcnt(1)
	global_store_short v[10:11], v71, off
	s_or_b64 exec, exec, s[2:3]
	v_cmp_gt_u32_e32 vcc, s33, v6
                                        ; implicit-def: $vgpr18_vgpr19
	s_and_saveexec_b64 s[2:3], vcc
	s_cbranch_execz .LBB1181_321
.LBB1181_413:
	v_cmp_ge_u32_e32 vcc, v6, v2
                                        ; implicit-def: $vgpr18_vgpr19
	s_and_saveexec_b64 s[4:5], vcc
	s_xor_b64 s[4:5], exec, s[4:5]
; %bb.414:
	v_xor_b32_e32 v0, 0xffffc5ff, v0
	v_ashrrev_i32_e32 v1, 31, v0
	v_lshl_add_u64 v[18:19], v[8:9], 0, v[0:1]
                                        ; implicit-def: $vgpr6_vgpr7
; %bb.415:
	s_andn2_saveexec_b64 s[4:5], s[4:5]
; %bb.416:
	v_lshl_add_u64 v[18:19], v[4:5], 0, v[6:7]
; %bb.417:
	s_or_b64 exec, exec, s[4:5]
	s_or_b64 s[0:1], s[0:1], exec
	s_or_b64 exec, exec, s[2:3]
	s_and_saveexec_b64 s[2:3], s[0:1]
	s_cbranch_execnz .LBB1181_232
	s_branch .LBB1181_322
	.section	.rodata,"a",@progbits
	.p2align	6, 0x0
	.amdhsa_kernel _ZN7rocprim17ROCPRIM_400000_NS6detail17trampoline_kernelINS0_14default_configENS1_25partition_config_selectorILNS1_17partition_subalgoE3EtNS0_10empty_typeEbEEZZNS1_14partition_implILS5_3ELb0ES3_jN6thrust23THRUST_200600_302600_NS6detail15normal_iteratorINSA_7pointerItNSA_11hip_rocprim3tagENSA_11use_defaultESG_EEEEPS6_SJ_NS0_5tupleIJPtSJ_EEENSK_IJSJ_SJ_EEES6_PlJ7is_evenItEEEE10hipError_tPvRmT3_T4_T5_T6_T7_T9_mT8_P12ihipStream_tbDpT10_ENKUlT_T0_E_clISt17integral_constantIbLb0EES19_IbLb1EEEEDaS15_S16_EUlS15_E_NS1_11comp_targetILNS1_3genE5ELNS1_11target_archE942ELNS1_3gpuE9ELNS1_3repE0EEENS1_30default_config_static_selectorELNS0_4arch9wavefront6targetE1EEEvT1_
		.amdhsa_group_segment_fixed_size 30728
		.amdhsa_private_segment_fixed_size 0
		.amdhsa_kernarg_size 136
		.amdhsa_user_sgpr_count 2
		.amdhsa_user_sgpr_dispatch_ptr 0
		.amdhsa_user_sgpr_queue_ptr 0
		.amdhsa_user_sgpr_kernarg_segment_ptr 1
		.amdhsa_user_sgpr_dispatch_id 0
		.amdhsa_user_sgpr_kernarg_preload_length 0
		.amdhsa_user_sgpr_kernarg_preload_offset 0
		.amdhsa_user_sgpr_private_segment_size 0
		.amdhsa_uses_dynamic_stack 0
		.amdhsa_enable_private_segment 0
		.amdhsa_system_sgpr_workgroup_id_x 1
		.amdhsa_system_sgpr_workgroup_id_y 0
		.amdhsa_system_sgpr_workgroup_id_z 0
		.amdhsa_system_sgpr_workgroup_info 0
		.amdhsa_system_vgpr_workitem_id 0
		.amdhsa_next_free_vgpr 124
		.amdhsa_next_free_sgpr 44
		.amdhsa_accum_offset 124
		.amdhsa_reserve_vcc 1
		.amdhsa_float_round_mode_32 0
		.amdhsa_float_round_mode_16_64 0
		.amdhsa_float_denorm_mode_32 3
		.amdhsa_float_denorm_mode_16_64 3
		.amdhsa_dx10_clamp 1
		.amdhsa_ieee_mode 1
		.amdhsa_fp16_overflow 0
		.amdhsa_tg_split 0
		.amdhsa_exception_fp_ieee_invalid_op 0
		.amdhsa_exception_fp_denorm_src 0
		.amdhsa_exception_fp_ieee_div_zero 0
		.amdhsa_exception_fp_ieee_overflow 0
		.amdhsa_exception_fp_ieee_underflow 0
		.amdhsa_exception_fp_ieee_inexact 0
		.amdhsa_exception_int_div_zero 0
	.end_amdhsa_kernel
	.section	.text._ZN7rocprim17ROCPRIM_400000_NS6detail17trampoline_kernelINS0_14default_configENS1_25partition_config_selectorILNS1_17partition_subalgoE3EtNS0_10empty_typeEbEEZZNS1_14partition_implILS5_3ELb0ES3_jN6thrust23THRUST_200600_302600_NS6detail15normal_iteratorINSA_7pointerItNSA_11hip_rocprim3tagENSA_11use_defaultESG_EEEEPS6_SJ_NS0_5tupleIJPtSJ_EEENSK_IJSJ_SJ_EEES6_PlJ7is_evenItEEEE10hipError_tPvRmT3_T4_T5_T6_T7_T9_mT8_P12ihipStream_tbDpT10_ENKUlT_T0_E_clISt17integral_constantIbLb0EES19_IbLb1EEEEDaS15_S16_EUlS15_E_NS1_11comp_targetILNS1_3genE5ELNS1_11target_archE942ELNS1_3gpuE9ELNS1_3repE0EEENS1_30default_config_static_selectorELNS0_4arch9wavefront6targetE1EEEvT1_,"axG",@progbits,_ZN7rocprim17ROCPRIM_400000_NS6detail17trampoline_kernelINS0_14default_configENS1_25partition_config_selectorILNS1_17partition_subalgoE3EtNS0_10empty_typeEbEEZZNS1_14partition_implILS5_3ELb0ES3_jN6thrust23THRUST_200600_302600_NS6detail15normal_iteratorINSA_7pointerItNSA_11hip_rocprim3tagENSA_11use_defaultESG_EEEEPS6_SJ_NS0_5tupleIJPtSJ_EEENSK_IJSJ_SJ_EEES6_PlJ7is_evenItEEEE10hipError_tPvRmT3_T4_T5_T6_T7_T9_mT8_P12ihipStream_tbDpT10_ENKUlT_T0_E_clISt17integral_constantIbLb0EES19_IbLb1EEEEDaS15_S16_EUlS15_E_NS1_11comp_targetILNS1_3genE5ELNS1_11target_archE942ELNS1_3gpuE9ELNS1_3repE0EEENS1_30default_config_static_selectorELNS0_4arch9wavefront6targetE1EEEvT1_,comdat
.Lfunc_end1181:
	.size	_ZN7rocprim17ROCPRIM_400000_NS6detail17trampoline_kernelINS0_14default_configENS1_25partition_config_selectorILNS1_17partition_subalgoE3EtNS0_10empty_typeEbEEZZNS1_14partition_implILS5_3ELb0ES3_jN6thrust23THRUST_200600_302600_NS6detail15normal_iteratorINSA_7pointerItNSA_11hip_rocprim3tagENSA_11use_defaultESG_EEEEPS6_SJ_NS0_5tupleIJPtSJ_EEENSK_IJSJ_SJ_EEES6_PlJ7is_evenItEEEE10hipError_tPvRmT3_T4_T5_T6_T7_T9_mT8_P12ihipStream_tbDpT10_ENKUlT_T0_E_clISt17integral_constantIbLb0EES19_IbLb1EEEEDaS15_S16_EUlS15_E_NS1_11comp_targetILNS1_3genE5ELNS1_11target_archE942ELNS1_3gpuE9ELNS1_3repE0EEENS1_30default_config_static_selectorELNS0_4arch9wavefront6targetE1EEEvT1_, .Lfunc_end1181-_ZN7rocprim17ROCPRIM_400000_NS6detail17trampoline_kernelINS0_14default_configENS1_25partition_config_selectorILNS1_17partition_subalgoE3EtNS0_10empty_typeEbEEZZNS1_14partition_implILS5_3ELb0ES3_jN6thrust23THRUST_200600_302600_NS6detail15normal_iteratorINSA_7pointerItNSA_11hip_rocprim3tagENSA_11use_defaultESG_EEEEPS6_SJ_NS0_5tupleIJPtSJ_EEENSK_IJSJ_SJ_EEES6_PlJ7is_evenItEEEE10hipError_tPvRmT3_T4_T5_T6_T7_T9_mT8_P12ihipStream_tbDpT10_ENKUlT_T0_E_clISt17integral_constantIbLb0EES19_IbLb1EEEEDaS15_S16_EUlS15_E_NS1_11comp_targetILNS1_3genE5ELNS1_11target_archE942ELNS1_3gpuE9ELNS1_3repE0EEENS1_30default_config_static_selectorELNS0_4arch9wavefront6targetE1EEEvT1_
                                        ; -- End function
	.section	.AMDGPU.csdata,"",@progbits
; Kernel info:
; codeLenInByte = 12928
; NumSgprs: 50
; NumVgprs: 124
; NumAgprs: 0
; TotalNumVgprs: 124
; ScratchSize: 0
; MemoryBound: 0
; FloatMode: 240
; IeeeMode: 1
; LDSByteSize: 30728 bytes/workgroup (compile time only)
; SGPRBlocks: 6
; VGPRBlocks: 15
; NumSGPRsForWavesPerEU: 50
; NumVGPRsForWavesPerEU: 124
; AccumOffset: 124
; Occupancy: 4
; WaveLimiterHint : 1
; COMPUTE_PGM_RSRC2:SCRATCH_EN: 0
; COMPUTE_PGM_RSRC2:USER_SGPR: 2
; COMPUTE_PGM_RSRC2:TRAP_HANDLER: 0
; COMPUTE_PGM_RSRC2:TGID_X_EN: 1
; COMPUTE_PGM_RSRC2:TGID_Y_EN: 0
; COMPUTE_PGM_RSRC2:TGID_Z_EN: 0
; COMPUTE_PGM_RSRC2:TIDIG_COMP_CNT: 0
; COMPUTE_PGM_RSRC3_GFX90A:ACCUM_OFFSET: 30
; COMPUTE_PGM_RSRC3_GFX90A:TG_SPLIT: 0
	.section	.text._ZN7rocprim17ROCPRIM_400000_NS6detail17trampoline_kernelINS0_14default_configENS1_25partition_config_selectorILNS1_17partition_subalgoE3EtNS0_10empty_typeEbEEZZNS1_14partition_implILS5_3ELb0ES3_jN6thrust23THRUST_200600_302600_NS6detail15normal_iteratorINSA_7pointerItNSA_11hip_rocprim3tagENSA_11use_defaultESG_EEEEPS6_SJ_NS0_5tupleIJPtSJ_EEENSK_IJSJ_SJ_EEES6_PlJ7is_evenItEEEE10hipError_tPvRmT3_T4_T5_T6_T7_T9_mT8_P12ihipStream_tbDpT10_ENKUlT_T0_E_clISt17integral_constantIbLb0EES19_IbLb1EEEEDaS15_S16_EUlS15_E_NS1_11comp_targetILNS1_3genE4ELNS1_11target_archE910ELNS1_3gpuE8ELNS1_3repE0EEENS1_30default_config_static_selectorELNS0_4arch9wavefront6targetE1EEEvT1_,"axG",@progbits,_ZN7rocprim17ROCPRIM_400000_NS6detail17trampoline_kernelINS0_14default_configENS1_25partition_config_selectorILNS1_17partition_subalgoE3EtNS0_10empty_typeEbEEZZNS1_14partition_implILS5_3ELb0ES3_jN6thrust23THRUST_200600_302600_NS6detail15normal_iteratorINSA_7pointerItNSA_11hip_rocprim3tagENSA_11use_defaultESG_EEEEPS6_SJ_NS0_5tupleIJPtSJ_EEENSK_IJSJ_SJ_EEES6_PlJ7is_evenItEEEE10hipError_tPvRmT3_T4_T5_T6_T7_T9_mT8_P12ihipStream_tbDpT10_ENKUlT_T0_E_clISt17integral_constantIbLb0EES19_IbLb1EEEEDaS15_S16_EUlS15_E_NS1_11comp_targetILNS1_3genE4ELNS1_11target_archE910ELNS1_3gpuE8ELNS1_3repE0EEENS1_30default_config_static_selectorELNS0_4arch9wavefront6targetE1EEEvT1_,comdat
	.protected	_ZN7rocprim17ROCPRIM_400000_NS6detail17trampoline_kernelINS0_14default_configENS1_25partition_config_selectorILNS1_17partition_subalgoE3EtNS0_10empty_typeEbEEZZNS1_14partition_implILS5_3ELb0ES3_jN6thrust23THRUST_200600_302600_NS6detail15normal_iteratorINSA_7pointerItNSA_11hip_rocprim3tagENSA_11use_defaultESG_EEEEPS6_SJ_NS0_5tupleIJPtSJ_EEENSK_IJSJ_SJ_EEES6_PlJ7is_evenItEEEE10hipError_tPvRmT3_T4_T5_T6_T7_T9_mT8_P12ihipStream_tbDpT10_ENKUlT_T0_E_clISt17integral_constantIbLb0EES19_IbLb1EEEEDaS15_S16_EUlS15_E_NS1_11comp_targetILNS1_3genE4ELNS1_11target_archE910ELNS1_3gpuE8ELNS1_3repE0EEENS1_30default_config_static_selectorELNS0_4arch9wavefront6targetE1EEEvT1_ ; -- Begin function _ZN7rocprim17ROCPRIM_400000_NS6detail17trampoline_kernelINS0_14default_configENS1_25partition_config_selectorILNS1_17partition_subalgoE3EtNS0_10empty_typeEbEEZZNS1_14partition_implILS5_3ELb0ES3_jN6thrust23THRUST_200600_302600_NS6detail15normal_iteratorINSA_7pointerItNSA_11hip_rocprim3tagENSA_11use_defaultESG_EEEEPS6_SJ_NS0_5tupleIJPtSJ_EEENSK_IJSJ_SJ_EEES6_PlJ7is_evenItEEEE10hipError_tPvRmT3_T4_T5_T6_T7_T9_mT8_P12ihipStream_tbDpT10_ENKUlT_T0_E_clISt17integral_constantIbLb0EES19_IbLb1EEEEDaS15_S16_EUlS15_E_NS1_11comp_targetILNS1_3genE4ELNS1_11target_archE910ELNS1_3gpuE8ELNS1_3repE0EEENS1_30default_config_static_selectorELNS0_4arch9wavefront6targetE1EEEvT1_
	.globl	_ZN7rocprim17ROCPRIM_400000_NS6detail17trampoline_kernelINS0_14default_configENS1_25partition_config_selectorILNS1_17partition_subalgoE3EtNS0_10empty_typeEbEEZZNS1_14partition_implILS5_3ELb0ES3_jN6thrust23THRUST_200600_302600_NS6detail15normal_iteratorINSA_7pointerItNSA_11hip_rocprim3tagENSA_11use_defaultESG_EEEEPS6_SJ_NS0_5tupleIJPtSJ_EEENSK_IJSJ_SJ_EEES6_PlJ7is_evenItEEEE10hipError_tPvRmT3_T4_T5_T6_T7_T9_mT8_P12ihipStream_tbDpT10_ENKUlT_T0_E_clISt17integral_constantIbLb0EES19_IbLb1EEEEDaS15_S16_EUlS15_E_NS1_11comp_targetILNS1_3genE4ELNS1_11target_archE910ELNS1_3gpuE8ELNS1_3repE0EEENS1_30default_config_static_selectorELNS0_4arch9wavefront6targetE1EEEvT1_
	.p2align	8
	.type	_ZN7rocprim17ROCPRIM_400000_NS6detail17trampoline_kernelINS0_14default_configENS1_25partition_config_selectorILNS1_17partition_subalgoE3EtNS0_10empty_typeEbEEZZNS1_14partition_implILS5_3ELb0ES3_jN6thrust23THRUST_200600_302600_NS6detail15normal_iteratorINSA_7pointerItNSA_11hip_rocprim3tagENSA_11use_defaultESG_EEEEPS6_SJ_NS0_5tupleIJPtSJ_EEENSK_IJSJ_SJ_EEES6_PlJ7is_evenItEEEE10hipError_tPvRmT3_T4_T5_T6_T7_T9_mT8_P12ihipStream_tbDpT10_ENKUlT_T0_E_clISt17integral_constantIbLb0EES19_IbLb1EEEEDaS15_S16_EUlS15_E_NS1_11comp_targetILNS1_3genE4ELNS1_11target_archE910ELNS1_3gpuE8ELNS1_3repE0EEENS1_30default_config_static_selectorELNS0_4arch9wavefront6targetE1EEEvT1_,@function
_ZN7rocprim17ROCPRIM_400000_NS6detail17trampoline_kernelINS0_14default_configENS1_25partition_config_selectorILNS1_17partition_subalgoE3EtNS0_10empty_typeEbEEZZNS1_14partition_implILS5_3ELb0ES3_jN6thrust23THRUST_200600_302600_NS6detail15normal_iteratorINSA_7pointerItNSA_11hip_rocprim3tagENSA_11use_defaultESG_EEEEPS6_SJ_NS0_5tupleIJPtSJ_EEENSK_IJSJ_SJ_EEES6_PlJ7is_evenItEEEE10hipError_tPvRmT3_T4_T5_T6_T7_T9_mT8_P12ihipStream_tbDpT10_ENKUlT_T0_E_clISt17integral_constantIbLb0EES19_IbLb1EEEEDaS15_S16_EUlS15_E_NS1_11comp_targetILNS1_3genE4ELNS1_11target_archE910ELNS1_3gpuE8ELNS1_3repE0EEENS1_30default_config_static_selectorELNS0_4arch9wavefront6targetE1EEEvT1_: ; @_ZN7rocprim17ROCPRIM_400000_NS6detail17trampoline_kernelINS0_14default_configENS1_25partition_config_selectorILNS1_17partition_subalgoE3EtNS0_10empty_typeEbEEZZNS1_14partition_implILS5_3ELb0ES3_jN6thrust23THRUST_200600_302600_NS6detail15normal_iteratorINSA_7pointerItNSA_11hip_rocprim3tagENSA_11use_defaultESG_EEEEPS6_SJ_NS0_5tupleIJPtSJ_EEENSK_IJSJ_SJ_EEES6_PlJ7is_evenItEEEE10hipError_tPvRmT3_T4_T5_T6_T7_T9_mT8_P12ihipStream_tbDpT10_ENKUlT_T0_E_clISt17integral_constantIbLb0EES19_IbLb1EEEEDaS15_S16_EUlS15_E_NS1_11comp_targetILNS1_3genE4ELNS1_11target_archE910ELNS1_3gpuE8ELNS1_3repE0EEENS1_30default_config_static_selectorELNS0_4arch9wavefront6targetE1EEEvT1_
; %bb.0:
	.section	.rodata,"a",@progbits
	.p2align	6, 0x0
	.amdhsa_kernel _ZN7rocprim17ROCPRIM_400000_NS6detail17trampoline_kernelINS0_14default_configENS1_25partition_config_selectorILNS1_17partition_subalgoE3EtNS0_10empty_typeEbEEZZNS1_14partition_implILS5_3ELb0ES3_jN6thrust23THRUST_200600_302600_NS6detail15normal_iteratorINSA_7pointerItNSA_11hip_rocprim3tagENSA_11use_defaultESG_EEEEPS6_SJ_NS0_5tupleIJPtSJ_EEENSK_IJSJ_SJ_EEES6_PlJ7is_evenItEEEE10hipError_tPvRmT3_T4_T5_T6_T7_T9_mT8_P12ihipStream_tbDpT10_ENKUlT_T0_E_clISt17integral_constantIbLb0EES19_IbLb1EEEEDaS15_S16_EUlS15_E_NS1_11comp_targetILNS1_3genE4ELNS1_11target_archE910ELNS1_3gpuE8ELNS1_3repE0EEENS1_30default_config_static_selectorELNS0_4arch9wavefront6targetE1EEEvT1_
		.amdhsa_group_segment_fixed_size 0
		.amdhsa_private_segment_fixed_size 0
		.amdhsa_kernarg_size 136
		.amdhsa_user_sgpr_count 2
		.amdhsa_user_sgpr_dispatch_ptr 0
		.amdhsa_user_sgpr_queue_ptr 0
		.amdhsa_user_sgpr_kernarg_segment_ptr 1
		.amdhsa_user_sgpr_dispatch_id 0
		.amdhsa_user_sgpr_kernarg_preload_length 0
		.amdhsa_user_sgpr_kernarg_preload_offset 0
		.amdhsa_user_sgpr_private_segment_size 0
		.amdhsa_uses_dynamic_stack 0
		.amdhsa_enable_private_segment 0
		.amdhsa_system_sgpr_workgroup_id_x 1
		.amdhsa_system_sgpr_workgroup_id_y 0
		.amdhsa_system_sgpr_workgroup_id_z 0
		.amdhsa_system_sgpr_workgroup_info 0
		.amdhsa_system_vgpr_workitem_id 0
		.amdhsa_next_free_vgpr 1
		.amdhsa_next_free_sgpr 0
		.amdhsa_accum_offset 4
		.amdhsa_reserve_vcc 0
		.amdhsa_float_round_mode_32 0
		.amdhsa_float_round_mode_16_64 0
		.amdhsa_float_denorm_mode_32 3
		.amdhsa_float_denorm_mode_16_64 3
		.amdhsa_dx10_clamp 1
		.amdhsa_ieee_mode 1
		.amdhsa_fp16_overflow 0
		.amdhsa_tg_split 0
		.amdhsa_exception_fp_ieee_invalid_op 0
		.amdhsa_exception_fp_denorm_src 0
		.amdhsa_exception_fp_ieee_div_zero 0
		.amdhsa_exception_fp_ieee_overflow 0
		.amdhsa_exception_fp_ieee_underflow 0
		.amdhsa_exception_fp_ieee_inexact 0
		.amdhsa_exception_int_div_zero 0
	.end_amdhsa_kernel
	.section	.text._ZN7rocprim17ROCPRIM_400000_NS6detail17trampoline_kernelINS0_14default_configENS1_25partition_config_selectorILNS1_17partition_subalgoE3EtNS0_10empty_typeEbEEZZNS1_14partition_implILS5_3ELb0ES3_jN6thrust23THRUST_200600_302600_NS6detail15normal_iteratorINSA_7pointerItNSA_11hip_rocprim3tagENSA_11use_defaultESG_EEEEPS6_SJ_NS0_5tupleIJPtSJ_EEENSK_IJSJ_SJ_EEES6_PlJ7is_evenItEEEE10hipError_tPvRmT3_T4_T5_T6_T7_T9_mT8_P12ihipStream_tbDpT10_ENKUlT_T0_E_clISt17integral_constantIbLb0EES19_IbLb1EEEEDaS15_S16_EUlS15_E_NS1_11comp_targetILNS1_3genE4ELNS1_11target_archE910ELNS1_3gpuE8ELNS1_3repE0EEENS1_30default_config_static_selectorELNS0_4arch9wavefront6targetE1EEEvT1_,"axG",@progbits,_ZN7rocprim17ROCPRIM_400000_NS6detail17trampoline_kernelINS0_14default_configENS1_25partition_config_selectorILNS1_17partition_subalgoE3EtNS0_10empty_typeEbEEZZNS1_14partition_implILS5_3ELb0ES3_jN6thrust23THRUST_200600_302600_NS6detail15normal_iteratorINSA_7pointerItNSA_11hip_rocprim3tagENSA_11use_defaultESG_EEEEPS6_SJ_NS0_5tupleIJPtSJ_EEENSK_IJSJ_SJ_EEES6_PlJ7is_evenItEEEE10hipError_tPvRmT3_T4_T5_T6_T7_T9_mT8_P12ihipStream_tbDpT10_ENKUlT_T0_E_clISt17integral_constantIbLb0EES19_IbLb1EEEEDaS15_S16_EUlS15_E_NS1_11comp_targetILNS1_3genE4ELNS1_11target_archE910ELNS1_3gpuE8ELNS1_3repE0EEENS1_30default_config_static_selectorELNS0_4arch9wavefront6targetE1EEEvT1_,comdat
.Lfunc_end1182:
	.size	_ZN7rocprim17ROCPRIM_400000_NS6detail17trampoline_kernelINS0_14default_configENS1_25partition_config_selectorILNS1_17partition_subalgoE3EtNS0_10empty_typeEbEEZZNS1_14partition_implILS5_3ELb0ES3_jN6thrust23THRUST_200600_302600_NS6detail15normal_iteratorINSA_7pointerItNSA_11hip_rocprim3tagENSA_11use_defaultESG_EEEEPS6_SJ_NS0_5tupleIJPtSJ_EEENSK_IJSJ_SJ_EEES6_PlJ7is_evenItEEEE10hipError_tPvRmT3_T4_T5_T6_T7_T9_mT8_P12ihipStream_tbDpT10_ENKUlT_T0_E_clISt17integral_constantIbLb0EES19_IbLb1EEEEDaS15_S16_EUlS15_E_NS1_11comp_targetILNS1_3genE4ELNS1_11target_archE910ELNS1_3gpuE8ELNS1_3repE0EEENS1_30default_config_static_selectorELNS0_4arch9wavefront6targetE1EEEvT1_, .Lfunc_end1182-_ZN7rocprim17ROCPRIM_400000_NS6detail17trampoline_kernelINS0_14default_configENS1_25partition_config_selectorILNS1_17partition_subalgoE3EtNS0_10empty_typeEbEEZZNS1_14partition_implILS5_3ELb0ES3_jN6thrust23THRUST_200600_302600_NS6detail15normal_iteratorINSA_7pointerItNSA_11hip_rocprim3tagENSA_11use_defaultESG_EEEEPS6_SJ_NS0_5tupleIJPtSJ_EEENSK_IJSJ_SJ_EEES6_PlJ7is_evenItEEEE10hipError_tPvRmT3_T4_T5_T6_T7_T9_mT8_P12ihipStream_tbDpT10_ENKUlT_T0_E_clISt17integral_constantIbLb0EES19_IbLb1EEEEDaS15_S16_EUlS15_E_NS1_11comp_targetILNS1_3genE4ELNS1_11target_archE910ELNS1_3gpuE8ELNS1_3repE0EEENS1_30default_config_static_selectorELNS0_4arch9wavefront6targetE1EEEvT1_
                                        ; -- End function
	.section	.AMDGPU.csdata,"",@progbits
; Kernel info:
; codeLenInByte = 0
; NumSgprs: 6
; NumVgprs: 0
; NumAgprs: 0
; TotalNumVgprs: 0
; ScratchSize: 0
; MemoryBound: 0
; FloatMode: 240
; IeeeMode: 1
; LDSByteSize: 0 bytes/workgroup (compile time only)
; SGPRBlocks: 0
; VGPRBlocks: 0
; NumSGPRsForWavesPerEU: 6
; NumVGPRsForWavesPerEU: 1
; AccumOffset: 4
; Occupancy: 8
; WaveLimiterHint : 0
; COMPUTE_PGM_RSRC2:SCRATCH_EN: 0
; COMPUTE_PGM_RSRC2:USER_SGPR: 2
; COMPUTE_PGM_RSRC2:TRAP_HANDLER: 0
; COMPUTE_PGM_RSRC2:TGID_X_EN: 1
; COMPUTE_PGM_RSRC2:TGID_Y_EN: 0
; COMPUTE_PGM_RSRC2:TGID_Z_EN: 0
; COMPUTE_PGM_RSRC2:TIDIG_COMP_CNT: 0
; COMPUTE_PGM_RSRC3_GFX90A:ACCUM_OFFSET: 0
; COMPUTE_PGM_RSRC3_GFX90A:TG_SPLIT: 0
	.section	.text._ZN7rocprim17ROCPRIM_400000_NS6detail17trampoline_kernelINS0_14default_configENS1_25partition_config_selectorILNS1_17partition_subalgoE3EtNS0_10empty_typeEbEEZZNS1_14partition_implILS5_3ELb0ES3_jN6thrust23THRUST_200600_302600_NS6detail15normal_iteratorINSA_7pointerItNSA_11hip_rocprim3tagENSA_11use_defaultESG_EEEEPS6_SJ_NS0_5tupleIJPtSJ_EEENSK_IJSJ_SJ_EEES6_PlJ7is_evenItEEEE10hipError_tPvRmT3_T4_T5_T6_T7_T9_mT8_P12ihipStream_tbDpT10_ENKUlT_T0_E_clISt17integral_constantIbLb0EES19_IbLb1EEEEDaS15_S16_EUlS15_E_NS1_11comp_targetILNS1_3genE3ELNS1_11target_archE908ELNS1_3gpuE7ELNS1_3repE0EEENS1_30default_config_static_selectorELNS0_4arch9wavefront6targetE1EEEvT1_,"axG",@progbits,_ZN7rocprim17ROCPRIM_400000_NS6detail17trampoline_kernelINS0_14default_configENS1_25partition_config_selectorILNS1_17partition_subalgoE3EtNS0_10empty_typeEbEEZZNS1_14partition_implILS5_3ELb0ES3_jN6thrust23THRUST_200600_302600_NS6detail15normal_iteratorINSA_7pointerItNSA_11hip_rocprim3tagENSA_11use_defaultESG_EEEEPS6_SJ_NS0_5tupleIJPtSJ_EEENSK_IJSJ_SJ_EEES6_PlJ7is_evenItEEEE10hipError_tPvRmT3_T4_T5_T6_T7_T9_mT8_P12ihipStream_tbDpT10_ENKUlT_T0_E_clISt17integral_constantIbLb0EES19_IbLb1EEEEDaS15_S16_EUlS15_E_NS1_11comp_targetILNS1_3genE3ELNS1_11target_archE908ELNS1_3gpuE7ELNS1_3repE0EEENS1_30default_config_static_selectorELNS0_4arch9wavefront6targetE1EEEvT1_,comdat
	.protected	_ZN7rocprim17ROCPRIM_400000_NS6detail17trampoline_kernelINS0_14default_configENS1_25partition_config_selectorILNS1_17partition_subalgoE3EtNS0_10empty_typeEbEEZZNS1_14partition_implILS5_3ELb0ES3_jN6thrust23THRUST_200600_302600_NS6detail15normal_iteratorINSA_7pointerItNSA_11hip_rocprim3tagENSA_11use_defaultESG_EEEEPS6_SJ_NS0_5tupleIJPtSJ_EEENSK_IJSJ_SJ_EEES6_PlJ7is_evenItEEEE10hipError_tPvRmT3_T4_T5_T6_T7_T9_mT8_P12ihipStream_tbDpT10_ENKUlT_T0_E_clISt17integral_constantIbLb0EES19_IbLb1EEEEDaS15_S16_EUlS15_E_NS1_11comp_targetILNS1_3genE3ELNS1_11target_archE908ELNS1_3gpuE7ELNS1_3repE0EEENS1_30default_config_static_selectorELNS0_4arch9wavefront6targetE1EEEvT1_ ; -- Begin function _ZN7rocprim17ROCPRIM_400000_NS6detail17trampoline_kernelINS0_14default_configENS1_25partition_config_selectorILNS1_17partition_subalgoE3EtNS0_10empty_typeEbEEZZNS1_14partition_implILS5_3ELb0ES3_jN6thrust23THRUST_200600_302600_NS6detail15normal_iteratorINSA_7pointerItNSA_11hip_rocprim3tagENSA_11use_defaultESG_EEEEPS6_SJ_NS0_5tupleIJPtSJ_EEENSK_IJSJ_SJ_EEES6_PlJ7is_evenItEEEE10hipError_tPvRmT3_T4_T5_T6_T7_T9_mT8_P12ihipStream_tbDpT10_ENKUlT_T0_E_clISt17integral_constantIbLb0EES19_IbLb1EEEEDaS15_S16_EUlS15_E_NS1_11comp_targetILNS1_3genE3ELNS1_11target_archE908ELNS1_3gpuE7ELNS1_3repE0EEENS1_30default_config_static_selectorELNS0_4arch9wavefront6targetE1EEEvT1_
	.globl	_ZN7rocprim17ROCPRIM_400000_NS6detail17trampoline_kernelINS0_14default_configENS1_25partition_config_selectorILNS1_17partition_subalgoE3EtNS0_10empty_typeEbEEZZNS1_14partition_implILS5_3ELb0ES3_jN6thrust23THRUST_200600_302600_NS6detail15normal_iteratorINSA_7pointerItNSA_11hip_rocprim3tagENSA_11use_defaultESG_EEEEPS6_SJ_NS0_5tupleIJPtSJ_EEENSK_IJSJ_SJ_EEES6_PlJ7is_evenItEEEE10hipError_tPvRmT3_T4_T5_T6_T7_T9_mT8_P12ihipStream_tbDpT10_ENKUlT_T0_E_clISt17integral_constantIbLb0EES19_IbLb1EEEEDaS15_S16_EUlS15_E_NS1_11comp_targetILNS1_3genE3ELNS1_11target_archE908ELNS1_3gpuE7ELNS1_3repE0EEENS1_30default_config_static_selectorELNS0_4arch9wavefront6targetE1EEEvT1_
	.p2align	8
	.type	_ZN7rocprim17ROCPRIM_400000_NS6detail17trampoline_kernelINS0_14default_configENS1_25partition_config_selectorILNS1_17partition_subalgoE3EtNS0_10empty_typeEbEEZZNS1_14partition_implILS5_3ELb0ES3_jN6thrust23THRUST_200600_302600_NS6detail15normal_iteratorINSA_7pointerItNSA_11hip_rocprim3tagENSA_11use_defaultESG_EEEEPS6_SJ_NS0_5tupleIJPtSJ_EEENSK_IJSJ_SJ_EEES6_PlJ7is_evenItEEEE10hipError_tPvRmT3_T4_T5_T6_T7_T9_mT8_P12ihipStream_tbDpT10_ENKUlT_T0_E_clISt17integral_constantIbLb0EES19_IbLb1EEEEDaS15_S16_EUlS15_E_NS1_11comp_targetILNS1_3genE3ELNS1_11target_archE908ELNS1_3gpuE7ELNS1_3repE0EEENS1_30default_config_static_selectorELNS0_4arch9wavefront6targetE1EEEvT1_,@function
_ZN7rocprim17ROCPRIM_400000_NS6detail17trampoline_kernelINS0_14default_configENS1_25partition_config_selectorILNS1_17partition_subalgoE3EtNS0_10empty_typeEbEEZZNS1_14partition_implILS5_3ELb0ES3_jN6thrust23THRUST_200600_302600_NS6detail15normal_iteratorINSA_7pointerItNSA_11hip_rocprim3tagENSA_11use_defaultESG_EEEEPS6_SJ_NS0_5tupleIJPtSJ_EEENSK_IJSJ_SJ_EEES6_PlJ7is_evenItEEEE10hipError_tPvRmT3_T4_T5_T6_T7_T9_mT8_P12ihipStream_tbDpT10_ENKUlT_T0_E_clISt17integral_constantIbLb0EES19_IbLb1EEEEDaS15_S16_EUlS15_E_NS1_11comp_targetILNS1_3genE3ELNS1_11target_archE908ELNS1_3gpuE7ELNS1_3repE0EEENS1_30default_config_static_selectorELNS0_4arch9wavefront6targetE1EEEvT1_: ; @_ZN7rocprim17ROCPRIM_400000_NS6detail17trampoline_kernelINS0_14default_configENS1_25partition_config_selectorILNS1_17partition_subalgoE3EtNS0_10empty_typeEbEEZZNS1_14partition_implILS5_3ELb0ES3_jN6thrust23THRUST_200600_302600_NS6detail15normal_iteratorINSA_7pointerItNSA_11hip_rocprim3tagENSA_11use_defaultESG_EEEEPS6_SJ_NS0_5tupleIJPtSJ_EEENSK_IJSJ_SJ_EEES6_PlJ7is_evenItEEEE10hipError_tPvRmT3_T4_T5_T6_T7_T9_mT8_P12ihipStream_tbDpT10_ENKUlT_T0_E_clISt17integral_constantIbLb0EES19_IbLb1EEEEDaS15_S16_EUlS15_E_NS1_11comp_targetILNS1_3genE3ELNS1_11target_archE908ELNS1_3gpuE7ELNS1_3repE0EEENS1_30default_config_static_selectorELNS0_4arch9wavefront6targetE1EEEvT1_
; %bb.0:
	.section	.rodata,"a",@progbits
	.p2align	6, 0x0
	.amdhsa_kernel _ZN7rocprim17ROCPRIM_400000_NS6detail17trampoline_kernelINS0_14default_configENS1_25partition_config_selectorILNS1_17partition_subalgoE3EtNS0_10empty_typeEbEEZZNS1_14partition_implILS5_3ELb0ES3_jN6thrust23THRUST_200600_302600_NS6detail15normal_iteratorINSA_7pointerItNSA_11hip_rocprim3tagENSA_11use_defaultESG_EEEEPS6_SJ_NS0_5tupleIJPtSJ_EEENSK_IJSJ_SJ_EEES6_PlJ7is_evenItEEEE10hipError_tPvRmT3_T4_T5_T6_T7_T9_mT8_P12ihipStream_tbDpT10_ENKUlT_T0_E_clISt17integral_constantIbLb0EES19_IbLb1EEEEDaS15_S16_EUlS15_E_NS1_11comp_targetILNS1_3genE3ELNS1_11target_archE908ELNS1_3gpuE7ELNS1_3repE0EEENS1_30default_config_static_selectorELNS0_4arch9wavefront6targetE1EEEvT1_
		.amdhsa_group_segment_fixed_size 0
		.amdhsa_private_segment_fixed_size 0
		.amdhsa_kernarg_size 136
		.amdhsa_user_sgpr_count 2
		.amdhsa_user_sgpr_dispatch_ptr 0
		.amdhsa_user_sgpr_queue_ptr 0
		.amdhsa_user_sgpr_kernarg_segment_ptr 1
		.amdhsa_user_sgpr_dispatch_id 0
		.amdhsa_user_sgpr_kernarg_preload_length 0
		.amdhsa_user_sgpr_kernarg_preload_offset 0
		.amdhsa_user_sgpr_private_segment_size 0
		.amdhsa_uses_dynamic_stack 0
		.amdhsa_enable_private_segment 0
		.amdhsa_system_sgpr_workgroup_id_x 1
		.amdhsa_system_sgpr_workgroup_id_y 0
		.amdhsa_system_sgpr_workgroup_id_z 0
		.amdhsa_system_sgpr_workgroup_info 0
		.amdhsa_system_vgpr_workitem_id 0
		.amdhsa_next_free_vgpr 1
		.amdhsa_next_free_sgpr 0
		.amdhsa_accum_offset 4
		.amdhsa_reserve_vcc 0
		.amdhsa_float_round_mode_32 0
		.amdhsa_float_round_mode_16_64 0
		.amdhsa_float_denorm_mode_32 3
		.amdhsa_float_denorm_mode_16_64 3
		.amdhsa_dx10_clamp 1
		.amdhsa_ieee_mode 1
		.amdhsa_fp16_overflow 0
		.amdhsa_tg_split 0
		.amdhsa_exception_fp_ieee_invalid_op 0
		.amdhsa_exception_fp_denorm_src 0
		.amdhsa_exception_fp_ieee_div_zero 0
		.amdhsa_exception_fp_ieee_overflow 0
		.amdhsa_exception_fp_ieee_underflow 0
		.amdhsa_exception_fp_ieee_inexact 0
		.amdhsa_exception_int_div_zero 0
	.end_amdhsa_kernel
	.section	.text._ZN7rocprim17ROCPRIM_400000_NS6detail17trampoline_kernelINS0_14default_configENS1_25partition_config_selectorILNS1_17partition_subalgoE3EtNS0_10empty_typeEbEEZZNS1_14partition_implILS5_3ELb0ES3_jN6thrust23THRUST_200600_302600_NS6detail15normal_iteratorINSA_7pointerItNSA_11hip_rocprim3tagENSA_11use_defaultESG_EEEEPS6_SJ_NS0_5tupleIJPtSJ_EEENSK_IJSJ_SJ_EEES6_PlJ7is_evenItEEEE10hipError_tPvRmT3_T4_T5_T6_T7_T9_mT8_P12ihipStream_tbDpT10_ENKUlT_T0_E_clISt17integral_constantIbLb0EES19_IbLb1EEEEDaS15_S16_EUlS15_E_NS1_11comp_targetILNS1_3genE3ELNS1_11target_archE908ELNS1_3gpuE7ELNS1_3repE0EEENS1_30default_config_static_selectorELNS0_4arch9wavefront6targetE1EEEvT1_,"axG",@progbits,_ZN7rocprim17ROCPRIM_400000_NS6detail17trampoline_kernelINS0_14default_configENS1_25partition_config_selectorILNS1_17partition_subalgoE3EtNS0_10empty_typeEbEEZZNS1_14partition_implILS5_3ELb0ES3_jN6thrust23THRUST_200600_302600_NS6detail15normal_iteratorINSA_7pointerItNSA_11hip_rocprim3tagENSA_11use_defaultESG_EEEEPS6_SJ_NS0_5tupleIJPtSJ_EEENSK_IJSJ_SJ_EEES6_PlJ7is_evenItEEEE10hipError_tPvRmT3_T4_T5_T6_T7_T9_mT8_P12ihipStream_tbDpT10_ENKUlT_T0_E_clISt17integral_constantIbLb0EES19_IbLb1EEEEDaS15_S16_EUlS15_E_NS1_11comp_targetILNS1_3genE3ELNS1_11target_archE908ELNS1_3gpuE7ELNS1_3repE0EEENS1_30default_config_static_selectorELNS0_4arch9wavefront6targetE1EEEvT1_,comdat
.Lfunc_end1183:
	.size	_ZN7rocprim17ROCPRIM_400000_NS6detail17trampoline_kernelINS0_14default_configENS1_25partition_config_selectorILNS1_17partition_subalgoE3EtNS0_10empty_typeEbEEZZNS1_14partition_implILS5_3ELb0ES3_jN6thrust23THRUST_200600_302600_NS6detail15normal_iteratorINSA_7pointerItNSA_11hip_rocprim3tagENSA_11use_defaultESG_EEEEPS6_SJ_NS0_5tupleIJPtSJ_EEENSK_IJSJ_SJ_EEES6_PlJ7is_evenItEEEE10hipError_tPvRmT3_T4_T5_T6_T7_T9_mT8_P12ihipStream_tbDpT10_ENKUlT_T0_E_clISt17integral_constantIbLb0EES19_IbLb1EEEEDaS15_S16_EUlS15_E_NS1_11comp_targetILNS1_3genE3ELNS1_11target_archE908ELNS1_3gpuE7ELNS1_3repE0EEENS1_30default_config_static_selectorELNS0_4arch9wavefront6targetE1EEEvT1_, .Lfunc_end1183-_ZN7rocprim17ROCPRIM_400000_NS6detail17trampoline_kernelINS0_14default_configENS1_25partition_config_selectorILNS1_17partition_subalgoE3EtNS0_10empty_typeEbEEZZNS1_14partition_implILS5_3ELb0ES3_jN6thrust23THRUST_200600_302600_NS6detail15normal_iteratorINSA_7pointerItNSA_11hip_rocprim3tagENSA_11use_defaultESG_EEEEPS6_SJ_NS0_5tupleIJPtSJ_EEENSK_IJSJ_SJ_EEES6_PlJ7is_evenItEEEE10hipError_tPvRmT3_T4_T5_T6_T7_T9_mT8_P12ihipStream_tbDpT10_ENKUlT_T0_E_clISt17integral_constantIbLb0EES19_IbLb1EEEEDaS15_S16_EUlS15_E_NS1_11comp_targetILNS1_3genE3ELNS1_11target_archE908ELNS1_3gpuE7ELNS1_3repE0EEENS1_30default_config_static_selectorELNS0_4arch9wavefront6targetE1EEEvT1_
                                        ; -- End function
	.section	.AMDGPU.csdata,"",@progbits
; Kernel info:
; codeLenInByte = 0
; NumSgprs: 6
; NumVgprs: 0
; NumAgprs: 0
; TotalNumVgprs: 0
; ScratchSize: 0
; MemoryBound: 0
; FloatMode: 240
; IeeeMode: 1
; LDSByteSize: 0 bytes/workgroup (compile time only)
; SGPRBlocks: 0
; VGPRBlocks: 0
; NumSGPRsForWavesPerEU: 6
; NumVGPRsForWavesPerEU: 1
; AccumOffset: 4
; Occupancy: 8
; WaveLimiterHint : 0
; COMPUTE_PGM_RSRC2:SCRATCH_EN: 0
; COMPUTE_PGM_RSRC2:USER_SGPR: 2
; COMPUTE_PGM_RSRC2:TRAP_HANDLER: 0
; COMPUTE_PGM_RSRC2:TGID_X_EN: 1
; COMPUTE_PGM_RSRC2:TGID_Y_EN: 0
; COMPUTE_PGM_RSRC2:TGID_Z_EN: 0
; COMPUTE_PGM_RSRC2:TIDIG_COMP_CNT: 0
; COMPUTE_PGM_RSRC3_GFX90A:ACCUM_OFFSET: 0
; COMPUTE_PGM_RSRC3_GFX90A:TG_SPLIT: 0
	.section	.text._ZN7rocprim17ROCPRIM_400000_NS6detail17trampoline_kernelINS0_14default_configENS1_25partition_config_selectorILNS1_17partition_subalgoE3EtNS0_10empty_typeEbEEZZNS1_14partition_implILS5_3ELb0ES3_jN6thrust23THRUST_200600_302600_NS6detail15normal_iteratorINSA_7pointerItNSA_11hip_rocprim3tagENSA_11use_defaultESG_EEEEPS6_SJ_NS0_5tupleIJPtSJ_EEENSK_IJSJ_SJ_EEES6_PlJ7is_evenItEEEE10hipError_tPvRmT3_T4_T5_T6_T7_T9_mT8_P12ihipStream_tbDpT10_ENKUlT_T0_E_clISt17integral_constantIbLb0EES19_IbLb1EEEEDaS15_S16_EUlS15_E_NS1_11comp_targetILNS1_3genE2ELNS1_11target_archE906ELNS1_3gpuE6ELNS1_3repE0EEENS1_30default_config_static_selectorELNS0_4arch9wavefront6targetE1EEEvT1_,"axG",@progbits,_ZN7rocprim17ROCPRIM_400000_NS6detail17trampoline_kernelINS0_14default_configENS1_25partition_config_selectorILNS1_17partition_subalgoE3EtNS0_10empty_typeEbEEZZNS1_14partition_implILS5_3ELb0ES3_jN6thrust23THRUST_200600_302600_NS6detail15normal_iteratorINSA_7pointerItNSA_11hip_rocprim3tagENSA_11use_defaultESG_EEEEPS6_SJ_NS0_5tupleIJPtSJ_EEENSK_IJSJ_SJ_EEES6_PlJ7is_evenItEEEE10hipError_tPvRmT3_T4_T5_T6_T7_T9_mT8_P12ihipStream_tbDpT10_ENKUlT_T0_E_clISt17integral_constantIbLb0EES19_IbLb1EEEEDaS15_S16_EUlS15_E_NS1_11comp_targetILNS1_3genE2ELNS1_11target_archE906ELNS1_3gpuE6ELNS1_3repE0EEENS1_30default_config_static_selectorELNS0_4arch9wavefront6targetE1EEEvT1_,comdat
	.protected	_ZN7rocprim17ROCPRIM_400000_NS6detail17trampoline_kernelINS0_14default_configENS1_25partition_config_selectorILNS1_17partition_subalgoE3EtNS0_10empty_typeEbEEZZNS1_14partition_implILS5_3ELb0ES3_jN6thrust23THRUST_200600_302600_NS6detail15normal_iteratorINSA_7pointerItNSA_11hip_rocprim3tagENSA_11use_defaultESG_EEEEPS6_SJ_NS0_5tupleIJPtSJ_EEENSK_IJSJ_SJ_EEES6_PlJ7is_evenItEEEE10hipError_tPvRmT3_T4_T5_T6_T7_T9_mT8_P12ihipStream_tbDpT10_ENKUlT_T0_E_clISt17integral_constantIbLb0EES19_IbLb1EEEEDaS15_S16_EUlS15_E_NS1_11comp_targetILNS1_3genE2ELNS1_11target_archE906ELNS1_3gpuE6ELNS1_3repE0EEENS1_30default_config_static_selectorELNS0_4arch9wavefront6targetE1EEEvT1_ ; -- Begin function _ZN7rocprim17ROCPRIM_400000_NS6detail17trampoline_kernelINS0_14default_configENS1_25partition_config_selectorILNS1_17partition_subalgoE3EtNS0_10empty_typeEbEEZZNS1_14partition_implILS5_3ELb0ES3_jN6thrust23THRUST_200600_302600_NS6detail15normal_iteratorINSA_7pointerItNSA_11hip_rocprim3tagENSA_11use_defaultESG_EEEEPS6_SJ_NS0_5tupleIJPtSJ_EEENSK_IJSJ_SJ_EEES6_PlJ7is_evenItEEEE10hipError_tPvRmT3_T4_T5_T6_T7_T9_mT8_P12ihipStream_tbDpT10_ENKUlT_T0_E_clISt17integral_constantIbLb0EES19_IbLb1EEEEDaS15_S16_EUlS15_E_NS1_11comp_targetILNS1_3genE2ELNS1_11target_archE906ELNS1_3gpuE6ELNS1_3repE0EEENS1_30default_config_static_selectorELNS0_4arch9wavefront6targetE1EEEvT1_
	.globl	_ZN7rocprim17ROCPRIM_400000_NS6detail17trampoline_kernelINS0_14default_configENS1_25partition_config_selectorILNS1_17partition_subalgoE3EtNS0_10empty_typeEbEEZZNS1_14partition_implILS5_3ELb0ES3_jN6thrust23THRUST_200600_302600_NS6detail15normal_iteratorINSA_7pointerItNSA_11hip_rocprim3tagENSA_11use_defaultESG_EEEEPS6_SJ_NS0_5tupleIJPtSJ_EEENSK_IJSJ_SJ_EEES6_PlJ7is_evenItEEEE10hipError_tPvRmT3_T4_T5_T6_T7_T9_mT8_P12ihipStream_tbDpT10_ENKUlT_T0_E_clISt17integral_constantIbLb0EES19_IbLb1EEEEDaS15_S16_EUlS15_E_NS1_11comp_targetILNS1_3genE2ELNS1_11target_archE906ELNS1_3gpuE6ELNS1_3repE0EEENS1_30default_config_static_selectorELNS0_4arch9wavefront6targetE1EEEvT1_
	.p2align	8
	.type	_ZN7rocprim17ROCPRIM_400000_NS6detail17trampoline_kernelINS0_14default_configENS1_25partition_config_selectorILNS1_17partition_subalgoE3EtNS0_10empty_typeEbEEZZNS1_14partition_implILS5_3ELb0ES3_jN6thrust23THRUST_200600_302600_NS6detail15normal_iteratorINSA_7pointerItNSA_11hip_rocprim3tagENSA_11use_defaultESG_EEEEPS6_SJ_NS0_5tupleIJPtSJ_EEENSK_IJSJ_SJ_EEES6_PlJ7is_evenItEEEE10hipError_tPvRmT3_T4_T5_T6_T7_T9_mT8_P12ihipStream_tbDpT10_ENKUlT_T0_E_clISt17integral_constantIbLb0EES19_IbLb1EEEEDaS15_S16_EUlS15_E_NS1_11comp_targetILNS1_3genE2ELNS1_11target_archE906ELNS1_3gpuE6ELNS1_3repE0EEENS1_30default_config_static_selectorELNS0_4arch9wavefront6targetE1EEEvT1_,@function
_ZN7rocprim17ROCPRIM_400000_NS6detail17trampoline_kernelINS0_14default_configENS1_25partition_config_selectorILNS1_17partition_subalgoE3EtNS0_10empty_typeEbEEZZNS1_14partition_implILS5_3ELb0ES3_jN6thrust23THRUST_200600_302600_NS6detail15normal_iteratorINSA_7pointerItNSA_11hip_rocprim3tagENSA_11use_defaultESG_EEEEPS6_SJ_NS0_5tupleIJPtSJ_EEENSK_IJSJ_SJ_EEES6_PlJ7is_evenItEEEE10hipError_tPvRmT3_T4_T5_T6_T7_T9_mT8_P12ihipStream_tbDpT10_ENKUlT_T0_E_clISt17integral_constantIbLb0EES19_IbLb1EEEEDaS15_S16_EUlS15_E_NS1_11comp_targetILNS1_3genE2ELNS1_11target_archE906ELNS1_3gpuE6ELNS1_3repE0EEENS1_30default_config_static_selectorELNS0_4arch9wavefront6targetE1EEEvT1_: ; @_ZN7rocprim17ROCPRIM_400000_NS6detail17trampoline_kernelINS0_14default_configENS1_25partition_config_selectorILNS1_17partition_subalgoE3EtNS0_10empty_typeEbEEZZNS1_14partition_implILS5_3ELb0ES3_jN6thrust23THRUST_200600_302600_NS6detail15normal_iteratorINSA_7pointerItNSA_11hip_rocprim3tagENSA_11use_defaultESG_EEEEPS6_SJ_NS0_5tupleIJPtSJ_EEENSK_IJSJ_SJ_EEES6_PlJ7is_evenItEEEE10hipError_tPvRmT3_T4_T5_T6_T7_T9_mT8_P12ihipStream_tbDpT10_ENKUlT_T0_E_clISt17integral_constantIbLb0EES19_IbLb1EEEEDaS15_S16_EUlS15_E_NS1_11comp_targetILNS1_3genE2ELNS1_11target_archE906ELNS1_3gpuE6ELNS1_3repE0EEENS1_30default_config_static_selectorELNS0_4arch9wavefront6targetE1EEEvT1_
; %bb.0:
	.section	.rodata,"a",@progbits
	.p2align	6, 0x0
	.amdhsa_kernel _ZN7rocprim17ROCPRIM_400000_NS6detail17trampoline_kernelINS0_14default_configENS1_25partition_config_selectorILNS1_17partition_subalgoE3EtNS0_10empty_typeEbEEZZNS1_14partition_implILS5_3ELb0ES3_jN6thrust23THRUST_200600_302600_NS6detail15normal_iteratorINSA_7pointerItNSA_11hip_rocprim3tagENSA_11use_defaultESG_EEEEPS6_SJ_NS0_5tupleIJPtSJ_EEENSK_IJSJ_SJ_EEES6_PlJ7is_evenItEEEE10hipError_tPvRmT3_T4_T5_T6_T7_T9_mT8_P12ihipStream_tbDpT10_ENKUlT_T0_E_clISt17integral_constantIbLb0EES19_IbLb1EEEEDaS15_S16_EUlS15_E_NS1_11comp_targetILNS1_3genE2ELNS1_11target_archE906ELNS1_3gpuE6ELNS1_3repE0EEENS1_30default_config_static_selectorELNS0_4arch9wavefront6targetE1EEEvT1_
		.amdhsa_group_segment_fixed_size 0
		.amdhsa_private_segment_fixed_size 0
		.amdhsa_kernarg_size 136
		.amdhsa_user_sgpr_count 2
		.amdhsa_user_sgpr_dispatch_ptr 0
		.amdhsa_user_sgpr_queue_ptr 0
		.amdhsa_user_sgpr_kernarg_segment_ptr 1
		.amdhsa_user_sgpr_dispatch_id 0
		.amdhsa_user_sgpr_kernarg_preload_length 0
		.amdhsa_user_sgpr_kernarg_preload_offset 0
		.amdhsa_user_sgpr_private_segment_size 0
		.amdhsa_uses_dynamic_stack 0
		.amdhsa_enable_private_segment 0
		.amdhsa_system_sgpr_workgroup_id_x 1
		.amdhsa_system_sgpr_workgroup_id_y 0
		.amdhsa_system_sgpr_workgroup_id_z 0
		.amdhsa_system_sgpr_workgroup_info 0
		.amdhsa_system_vgpr_workitem_id 0
		.amdhsa_next_free_vgpr 1
		.amdhsa_next_free_sgpr 0
		.amdhsa_accum_offset 4
		.amdhsa_reserve_vcc 0
		.amdhsa_float_round_mode_32 0
		.amdhsa_float_round_mode_16_64 0
		.amdhsa_float_denorm_mode_32 3
		.amdhsa_float_denorm_mode_16_64 3
		.amdhsa_dx10_clamp 1
		.amdhsa_ieee_mode 1
		.amdhsa_fp16_overflow 0
		.amdhsa_tg_split 0
		.amdhsa_exception_fp_ieee_invalid_op 0
		.amdhsa_exception_fp_denorm_src 0
		.amdhsa_exception_fp_ieee_div_zero 0
		.amdhsa_exception_fp_ieee_overflow 0
		.amdhsa_exception_fp_ieee_underflow 0
		.amdhsa_exception_fp_ieee_inexact 0
		.amdhsa_exception_int_div_zero 0
	.end_amdhsa_kernel
	.section	.text._ZN7rocprim17ROCPRIM_400000_NS6detail17trampoline_kernelINS0_14default_configENS1_25partition_config_selectorILNS1_17partition_subalgoE3EtNS0_10empty_typeEbEEZZNS1_14partition_implILS5_3ELb0ES3_jN6thrust23THRUST_200600_302600_NS6detail15normal_iteratorINSA_7pointerItNSA_11hip_rocprim3tagENSA_11use_defaultESG_EEEEPS6_SJ_NS0_5tupleIJPtSJ_EEENSK_IJSJ_SJ_EEES6_PlJ7is_evenItEEEE10hipError_tPvRmT3_T4_T5_T6_T7_T9_mT8_P12ihipStream_tbDpT10_ENKUlT_T0_E_clISt17integral_constantIbLb0EES19_IbLb1EEEEDaS15_S16_EUlS15_E_NS1_11comp_targetILNS1_3genE2ELNS1_11target_archE906ELNS1_3gpuE6ELNS1_3repE0EEENS1_30default_config_static_selectorELNS0_4arch9wavefront6targetE1EEEvT1_,"axG",@progbits,_ZN7rocprim17ROCPRIM_400000_NS6detail17trampoline_kernelINS0_14default_configENS1_25partition_config_selectorILNS1_17partition_subalgoE3EtNS0_10empty_typeEbEEZZNS1_14partition_implILS5_3ELb0ES3_jN6thrust23THRUST_200600_302600_NS6detail15normal_iteratorINSA_7pointerItNSA_11hip_rocprim3tagENSA_11use_defaultESG_EEEEPS6_SJ_NS0_5tupleIJPtSJ_EEENSK_IJSJ_SJ_EEES6_PlJ7is_evenItEEEE10hipError_tPvRmT3_T4_T5_T6_T7_T9_mT8_P12ihipStream_tbDpT10_ENKUlT_T0_E_clISt17integral_constantIbLb0EES19_IbLb1EEEEDaS15_S16_EUlS15_E_NS1_11comp_targetILNS1_3genE2ELNS1_11target_archE906ELNS1_3gpuE6ELNS1_3repE0EEENS1_30default_config_static_selectorELNS0_4arch9wavefront6targetE1EEEvT1_,comdat
.Lfunc_end1184:
	.size	_ZN7rocprim17ROCPRIM_400000_NS6detail17trampoline_kernelINS0_14default_configENS1_25partition_config_selectorILNS1_17partition_subalgoE3EtNS0_10empty_typeEbEEZZNS1_14partition_implILS5_3ELb0ES3_jN6thrust23THRUST_200600_302600_NS6detail15normal_iteratorINSA_7pointerItNSA_11hip_rocprim3tagENSA_11use_defaultESG_EEEEPS6_SJ_NS0_5tupleIJPtSJ_EEENSK_IJSJ_SJ_EEES6_PlJ7is_evenItEEEE10hipError_tPvRmT3_T4_T5_T6_T7_T9_mT8_P12ihipStream_tbDpT10_ENKUlT_T0_E_clISt17integral_constantIbLb0EES19_IbLb1EEEEDaS15_S16_EUlS15_E_NS1_11comp_targetILNS1_3genE2ELNS1_11target_archE906ELNS1_3gpuE6ELNS1_3repE0EEENS1_30default_config_static_selectorELNS0_4arch9wavefront6targetE1EEEvT1_, .Lfunc_end1184-_ZN7rocprim17ROCPRIM_400000_NS6detail17trampoline_kernelINS0_14default_configENS1_25partition_config_selectorILNS1_17partition_subalgoE3EtNS0_10empty_typeEbEEZZNS1_14partition_implILS5_3ELb0ES3_jN6thrust23THRUST_200600_302600_NS6detail15normal_iteratorINSA_7pointerItNSA_11hip_rocprim3tagENSA_11use_defaultESG_EEEEPS6_SJ_NS0_5tupleIJPtSJ_EEENSK_IJSJ_SJ_EEES6_PlJ7is_evenItEEEE10hipError_tPvRmT3_T4_T5_T6_T7_T9_mT8_P12ihipStream_tbDpT10_ENKUlT_T0_E_clISt17integral_constantIbLb0EES19_IbLb1EEEEDaS15_S16_EUlS15_E_NS1_11comp_targetILNS1_3genE2ELNS1_11target_archE906ELNS1_3gpuE6ELNS1_3repE0EEENS1_30default_config_static_selectorELNS0_4arch9wavefront6targetE1EEEvT1_
                                        ; -- End function
	.section	.AMDGPU.csdata,"",@progbits
; Kernel info:
; codeLenInByte = 0
; NumSgprs: 6
; NumVgprs: 0
; NumAgprs: 0
; TotalNumVgprs: 0
; ScratchSize: 0
; MemoryBound: 0
; FloatMode: 240
; IeeeMode: 1
; LDSByteSize: 0 bytes/workgroup (compile time only)
; SGPRBlocks: 0
; VGPRBlocks: 0
; NumSGPRsForWavesPerEU: 6
; NumVGPRsForWavesPerEU: 1
; AccumOffset: 4
; Occupancy: 8
; WaveLimiterHint : 0
; COMPUTE_PGM_RSRC2:SCRATCH_EN: 0
; COMPUTE_PGM_RSRC2:USER_SGPR: 2
; COMPUTE_PGM_RSRC2:TRAP_HANDLER: 0
; COMPUTE_PGM_RSRC2:TGID_X_EN: 1
; COMPUTE_PGM_RSRC2:TGID_Y_EN: 0
; COMPUTE_PGM_RSRC2:TGID_Z_EN: 0
; COMPUTE_PGM_RSRC2:TIDIG_COMP_CNT: 0
; COMPUTE_PGM_RSRC3_GFX90A:ACCUM_OFFSET: 0
; COMPUTE_PGM_RSRC3_GFX90A:TG_SPLIT: 0
	.section	.text._ZN7rocprim17ROCPRIM_400000_NS6detail17trampoline_kernelINS0_14default_configENS1_25partition_config_selectorILNS1_17partition_subalgoE3EtNS0_10empty_typeEbEEZZNS1_14partition_implILS5_3ELb0ES3_jN6thrust23THRUST_200600_302600_NS6detail15normal_iteratorINSA_7pointerItNSA_11hip_rocprim3tagENSA_11use_defaultESG_EEEEPS6_SJ_NS0_5tupleIJPtSJ_EEENSK_IJSJ_SJ_EEES6_PlJ7is_evenItEEEE10hipError_tPvRmT3_T4_T5_T6_T7_T9_mT8_P12ihipStream_tbDpT10_ENKUlT_T0_E_clISt17integral_constantIbLb0EES19_IbLb1EEEEDaS15_S16_EUlS15_E_NS1_11comp_targetILNS1_3genE10ELNS1_11target_archE1200ELNS1_3gpuE4ELNS1_3repE0EEENS1_30default_config_static_selectorELNS0_4arch9wavefront6targetE1EEEvT1_,"axG",@progbits,_ZN7rocprim17ROCPRIM_400000_NS6detail17trampoline_kernelINS0_14default_configENS1_25partition_config_selectorILNS1_17partition_subalgoE3EtNS0_10empty_typeEbEEZZNS1_14partition_implILS5_3ELb0ES3_jN6thrust23THRUST_200600_302600_NS6detail15normal_iteratorINSA_7pointerItNSA_11hip_rocprim3tagENSA_11use_defaultESG_EEEEPS6_SJ_NS0_5tupleIJPtSJ_EEENSK_IJSJ_SJ_EEES6_PlJ7is_evenItEEEE10hipError_tPvRmT3_T4_T5_T6_T7_T9_mT8_P12ihipStream_tbDpT10_ENKUlT_T0_E_clISt17integral_constantIbLb0EES19_IbLb1EEEEDaS15_S16_EUlS15_E_NS1_11comp_targetILNS1_3genE10ELNS1_11target_archE1200ELNS1_3gpuE4ELNS1_3repE0EEENS1_30default_config_static_selectorELNS0_4arch9wavefront6targetE1EEEvT1_,comdat
	.protected	_ZN7rocprim17ROCPRIM_400000_NS6detail17trampoline_kernelINS0_14default_configENS1_25partition_config_selectorILNS1_17partition_subalgoE3EtNS0_10empty_typeEbEEZZNS1_14partition_implILS5_3ELb0ES3_jN6thrust23THRUST_200600_302600_NS6detail15normal_iteratorINSA_7pointerItNSA_11hip_rocprim3tagENSA_11use_defaultESG_EEEEPS6_SJ_NS0_5tupleIJPtSJ_EEENSK_IJSJ_SJ_EEES6_PlJ7is_evenItEEEE10hipError_tPvRmT3_T4_T5_T6_T7_T9_mT8_P12ihipStream_tbDpT10_ENKUlT_T0_E_clISt17integral_constantIbLb0EES19_IbLb1EEEEDaS15_S16_EUlS15_E_NS1_11comp_targetILNS1_3genE10ELNS1_11target_archE1200ELNS1_3gpuE4ELNS1_3repE0EEENS1_30default_config_static_selectorELNS0_4arch9wavefront6targetE1EEEvT1_ ; -- Begin function _ZN7rocprim17ROCPRIM_400000_NS6detail17trampoline_kernelINS0_14default_configENS1_25partition_config_selectorILNS1_17partition_subalgoE3EtNS0_10empty_typeEbEEZZNS1_14partition_implILS5_3ELb0ES3_jN6thrust23THRUST_200600_302600_NS6detail15normal_iteratorINSA_7pointerItNSA_11hip_rocprim3tagENSA_11use_defaultESG_EEEEPS6_SJ_NS0_5tupleIJPtSJ_EEENSK_IJSJ_SJ_EEES6_PlJ7is_evenItEEEE10hipError_tPvRmT3_T4_T5_T6_T7_T9_mT8_P12ihipStream_tbDpT10_ENKUlT_T0_E_clISt17integral_constantIbLb0EES19_IbLb1EEEEDaS15_S16_EUlS15_E_NS1_11comp_targetILNS1_3genE10ELNS1_11target_archE1200ELNS1_3gpuE4ELNS1_3repE0EEENS1_30default_config_static_selectorELNS0_4arch9wavefront6targetE1EEEvT1_
	.globl	_ZN7rocprim17ROCPRIM_400000_NS6detail17trampoline_kernelINS0_14default_configENS1_25partition_config_selectorILNS1_17partition_subalgoE3EtNS0_10empty_typeEbEEZZNS1_14partition_implILS5_3ELb0ES3_jN6thrust23THRUST_200600_302600_NS6detail15normal_iteratorINSA_7pointerItNSA_11hip_rocprim3tagENSA_11use_defaultESG_EEEEPS6_SJ_NS0_5tupleIJPtSJ_EEENSK_IJSJ_SJ_EEES6_PlJ7is_evenItEEEE10hipError_tPvRmT3_T4_T5_T6_T7_T9_mT8_P12ihipStream_tbDpT10_ENKUlT_T0_E_clISt17integral_constantIbLb0EES19_IbLb1EEEEDaS15_S16_EUlS15_E_NS1_11comp_targetILNS1_3genE10ELNS1_11target_archE1200ELNS1_3gpuE4ELNS1_3repE0EEENS1_30default_config_static_selectorELNS0_4arch9wavefront6targetE1EEEvT1_
	.p2align	8
	.type	_ZN7rocprim17ROCPRIM_400000_NS6detail17trampoline_kernelINS0_14default_configENS1_25partition_config_selectorILNS1_17partition_subalgoE3EtNS0_10empty_typeEbEEZZNS1_14partition_implILS5_3ELb0ES3_jN6thrust23THRUST_200600_302600_NS6detail15normal_iteratorINSA_7pointerItNSA_11hip_rocprim3tagENSA_11use_defaultESG_EEEEPS6_SJ_NS0_5tupleIJPtSJ_EEENSK_IJSJ_SJ_EEES6_PlJ7is_evenItEEEE10hipError_tPvRmT3_T4_T5_T6_T7_T9_mT8_P12ihipStream_tbDpT10_ENKUlT_T0_E_clISt17integral_constantIbLb0EES19_IbLb1EEEEDaS15_S16_EUlS15_E_NS1_11comp_targetILNS1_3genE10ELNS1_11target_archE1200ELNS1_3gpuE4ELNS1_3repE0EEENS1_30default_config_static_selectorELNS0_4arch9wavefront6targetE1EEEvT1_,@function
_ZN7rocprim17ROCPRIM_400000_NS6detail17trampoline_kernelINS0_14default_configENS1_25partition_config_selectorILNS1_17partition_subalgoE3EtNS0_10empty_typeEbEEZZNS1_14partition_implILS5_3ELb0ES3_jN6thrust23THRUST_200600_302600_NS6detail15normal_iteratorINSA_7pointerItNSA_11hip_rocprim3tagENSA_11use_defaultESG_EEEEPS6_SJ_NS0_5tupleIJPtSJ_EEENSK_IJSJ_SJ_EEES6_PlJ7is_evenItEEEE10hipError_tPvRmT3_T4_T5_T6_T7_T9_mT8_P12ihipStream_tbDpT10_ENKUlT_T0_E_clISt17integral_constantIbLb0EES19_IbLb1EEEEDaS15_S16_EUlS15_E_NS1_11comp_targetILNS1_3genE10ELNS1_11target_archE1200ELNS1_3gpuE4ELNS1_3repE0EEENS1_30default_config_static_selectorELNS0_4arch9wavefront6targetE1EEEvT1_: ; @_ZN7rocprim17ROCPRIM_400000_NS6detail17trampoline_kernelINS0_14default_configENS1_25partition_config_selectorILNS1_17partition_subalgoE3EtNS0_10empty_typeEbEEZZNS1_14partition_implILS5_3ELb0ES3_jN6thrust23THRUST_200600_302600_NS6detail15normal_iteratorINSA_7pointerItNSA_11hip_rocprim3tagENSA_11use_defaultESG_EEEEPS6_SJ_NS0_5tupleIJPtSJ_EEENSK_IJSJ_SJ_EEES6_PlJ7is_evenItEEEE10hipError_tPvRmT3_T4_T5_T6_T7_T9_mT8_P12ihipStream_tbDpT10_ENKUlT_T0_E_clISt17integral_constantIbLb0EES19_IbLb1EEEEDaS15_S16_EUlS15_E_NS1_11comp_targetILNS1_3genE10ELNS1_11target_archE1200ELNS1_3gpuE4ELNS1_3repE0EEENS1_30default_config_static_selectorELNS0_4arch9wavefront6targetE1EEEvT1_
; %bb.0:
	.section	.rodata,"a",@progbits
	.p2align	6, 0x0
	.amdhsa_kernel _ZN7rocprim17ROCPRIM_400000_NS6detail17trampoline_kernelINS0_14default_configENS1_25partition_config_selectorILNS1_17partition_subalgoE3EtNS0_10empty_typeEbEEZZNS1_14partition_implILS5_3ELb0ES3_jN6thrust23THRUST_200600_302600_NS6detail15normal_iteratorINSA_7pointerItNSA_11hip_rocprim3tagENSA_11use_defaultESG_EEEEPS6_SJ_NS0_5tupleIJPtSJ_EEENSK_IJSJ_SJ_EEES6_PlJ7is_evenItEEEE10hipError_tPvRmT3_T4_T5_T6_T7_T9_mT8_P12ihipStream_tbDpT10_ENKUlT_T0_E_clISt17integral_constantIbLb0EES19_IbLb1EEEEDaS15_S16_EUlS15_E_NS1_11comp_targetILNS1_3genE10ELNS1_11target_archE1200ELNS1_3gpuE4ELNS1_3repE0EEENS1_30default_config_static_selectorELNS0_4arch9wavefront6targetE1EEEvT1_
		.amdhsa_group_segment_fixed_size 0
		.amdhsa_private_segment_fixed_size 0
		.amdhsa_kernarg_size 136
		.amdhsa_user_sgpr_count 2
		.amdhsa_user_sgpr_dispatch_ptr 0
		.amdhsa_user_sgpr_queue_ptr 0
		.amdhsa_user_sgpr_kernarg_segment_ptr 1
		.amdhsa_user_sgpr_dispatch_id 0
		.amdhsa_user_sgpr_kernarg_preload_length 0
		.amdhsa_user_sgpr_kernarg_preload_offset 0
		.amdhsa_user_sgpr_private_segment_size 0
		.amdhsa_uses_dynamic_stack 0
		.amdhsa_enable_private_segment 0
		.amdhsa_system_sgpr_workgroup_id_x 1
		.amdhsa_system_sgpr_workgroup_id_y 0
		.amdhsa_system_sgpr_workgroup_id_z 0
		.amdhsa_system_sgpr_workgroup_info 0
		.amdhsa_system_vgpr_workitem_id 0
		.amdhsa_next_free_vgpr 1
		.amdhsa_next_free_sgpr 0
		.amdhsa_accum_offset 4
		.amdhsa_reserve_vcc 0
		.amdhsa_float_round_mode_32 0
		.amdhsa_float_round_mode_16_64 0
		.amdhsa_float_denorm_mode_32 3
		.amdhsa_float_denorm_mode_16_64 3
		.amdhsa_dx10_clamp 1
		.amdhsa_ieee_mode 1
		.amdhsa_fp16_overflow 0
		.amdhsa_tg_split 0
		.amdhsa_exception_fp_ieee_invalid_op 0
		.amdhsa_exception_fp_denorm_src 0
		.amdhsa_exception_fp_ieee_div_zero 0
		.amdhsa_exception_fp_ieee_overflow 0
		.amdhsa_exception_fp_ieee_underflow 0
		.amdhsa_exception_fp_ieee_inexact 0
		.amdhsa_exception_int_div_zero 0
	.end_amdhsa_kernel
	.section	.text._ZN7rocprim17ROCPRIM_400000_NS6detail17trampoline_kernelINS0_14default_configENS1_25partition_config_selectorILNS1_17partition_subalgoE3EtNS0_10empty_typeEbEEZZNS1_14partition_implILS5_3ELb0ES3_jN6thrust23THRUST_200600_302600_NS6detail15normal_iteratorINSA_7pointerItNSA_11hip_rocprim3tagENSA_11use_defaultESG_EEEEPS6_SJ_NS0_5tupleIJPtSJ_EEENSK_IJSJ_SJ_EEES6_PlJ7is_evenItEEEE10hipError_tPvRmT3_T4_T5_T6_T7_T9_mT8_P12ihipStream_tbDpT10_ENKUlT_T0_E_clISt17integral_constantIbLb0EES19_IbLb1EEEEDaS15_S16_EUlS15_E_NS1_11comp_targetILNS1_3genE10ELNS1_11target_archE1200ELNS1_3gpuE4ELNS1_3repE0EEENS1_30default_config_static_selectorELNS0_4arch9wavefront6targetE1EEEvT1_,"axG",@progbits,_ZN7rocprim17ROCPRIM_400000_NS6detail17trampoline_kernelINS0_14default_configENS1_25partition_config_selectorILNS1_17partition_subalgoE3EtNS0_10empty_typeEbEEZZNS1_14partition_implILS5_3ELb0ES3_jN6thrust23THRUST_200600_302600_NS6detail15normal_iteratorINSA_7pointerItNSA_11hip_rocprim3tagENSA_11use_defaultESG_EEEEPS6_SJ_NS0_5tupleIJPtSJ_EEENSK_IJSJ_SJ_EEES6_PlJ7is_evenItEEEE10hipError_tPvRmT3_T4_T5_T6_T7_T9_mT8_P12ihipStream_tbDpT10_ENKUlT_T0_E_clISt17integral_constantIbLb0EES19_IbLb1EEEEDaS15_S16_EUlS15_E_NS1_11comp_targetILNS1_3genE10ELNS1_11target_archE1200ELNS1_3gpuE4ELNS1_3repE0EEENS1_30default_config_static_selectorELNS0_4arch9wavefront6targetE1EEEvT1_,comdat
.Lfunc_end1185:
	.size	_ZN7rocprim17ROCPRIM_400000_NS6detail17trampoline_kernelINS0_14default_configENS1_25partition_config_selectorILNS1_17partition_subalgoE3EtNS0_10empty_typeEbEEZZNS1_14partition_implILS5_3ELb0ES3_jN6thrust23THRUST_200600_302600_NS6detail15normal_iteratorINSA_7pointerItNSA_11hip_rocprim3tagENSA_11use_defaultESG_EEEEPS6_SJ_NS0_5tupleIJPtSJ_EEENSK_IJSJ_SJ_EEES6_PlJ7is_evenItEEEE10hipError_tPvRmT3_T4_T5_T6_T7_T9_mT8_P12ihipStream_tbDpT10_ENKUlT_T0_E_clISt17integral_constantIbLb0EES19_IbLb1EEEEDaS15_S16_EUlS15_E_NS1_11comp_targetILNS1_3genE10ELNS1_11target_archE1200ELNS1_3gpuE4ELNS1_3repE0EEENS1_30default_config_static_selectorELNS0_4arch9wavefront6targetE1EEEvT1_, .Lfunc_end1185-_ZN7rocprim17ROCPRIM_400000_NS6detail17trampoline_kernelINS0_14default_configENS1_25partition_config_selectorILNS1_17partition_subalgoE3EtNS0_10empty_typeEbEEZZNS1_14partition_implILS5_3ELb0ES3_jN6thrust23THRUST_200600_302600_NS6detail15normal_iteratorINSA_7pointerItNSA_11hip_rocprim3tagENSA_11use_defaultESG_EEEEPS6_SJ_NS0_5tupleIJPtSJ_EEENSK_IJSJ_SJ_EEES6_PlJ7is_evenItEEEE10hipError_tPvRmT3_T4_T5_T6_T7_T9_mT8_P12ihipStream_tbDpT10_ENKUlT_T0_E_clISt17integral_constantIbLb0EES19_IbLb1EEEEDaS15_S16_EUlS15_E_NS1_11comp_targetILNS1_3genE10ELNS1_11target_archE1200ELNS1_3gpuE4ELNS1_3repE0EEENS1_30default_config_static_selectorELNS0_4arch9wavefront6targetE1EEEvT1_
                                        ; -- End function
	.section	.AMDGPU.csdata,"",@progbits
; Kernel info:
; codeLenInByte = 0
; NumSgprs: 6
; NumVgprs: 0
; NumAgprs: 0
; TotalNumVgprs: 0
; ScratchSize: 0
; MemoryBound: 0
; FloatMode: 240
; IeeeMode: 1
; LDSByteSize: 0 bytes/workgroup (compile time only)
; SGPRBlocks: 0
; VGPRBlocks: 0
; NumSGPRsForWavesPerEU: 6
; NumVGPRsForWavesPerEU: 1
; AccumOffset: 4
; Occupancy: 8
; WaveLimiterHint : 0
; COMPUTE_PGM_RSRC2:SCRATCH_EN: 0
; COMPUTE_PGM_RSRC2:USER_SGPR: 2
; COMPUTE_PGM_RSRC2:TRAP_HANDLER: 0
; COMPUTE_PGM_RSRC2:TGID_X_EN: 1
; COMPUTE_PGM_RSRC2:TGID_Y_EN: 0
; COMPUTE_PGM_RSRC2:TGID_Z_EN: 0
; COMPUTE_PGM_RSRC2:TIDIG_COMP_CNT: 0
; COMPUTE_PGM_RSRC3_GFX90A:ACCUM_OFFSET: 0
; COMPUTE_PGM_RSRC3_GFX90A:TG_SPLIT: 0
	.section	.text._ZN7rocprim17ROCPRIM_400000_NS6detail17trampoline_kernelINS0_14default_configENS1_25partition_config_selectorILNS1_17partition_subalgoE3EtNS0_10empty_typeEbEEZZNS1_14partition_implILS5_3ELb0ES3_jN6thrust23THRUST_200600_302600_NS6detail15normal_iteratorINSA_7pointerItNSA_11hip_rocprim3tagENSA_11use_defaultESG_EEEEPS6_SJ_NS0_5tupleIJPtSJ_EEENSK_IJSJ_SJ_EEES6_PlJ7is_evenItEEEE10hipError_tPvRmT3_T4_T5_T6_T7_T9_mT8_P12ihipStream_tbDpT10_ENKUlT_T0_E_clISt17integral_constantIbLb0EES19_IbLb1EEEEDaS15_S16_EUlS15_E_NS1_11comp_targetILNS1_3genE9ELNS1_11target_archE1100ELNS1_3gpuE3ELNS1_3repE0EEENS1_30default_config_static_selectorELNS0_4arch9wavefront6targetE1EEEvT1_,"axG",@progbits,_ZN7rocprim17ROCPRIM_400000_NS6detail17trampoline_kernelINS0_14default_configENS1_25partition_config_selectorILNS1_17partition_subalgoE3EtNS0_10empty_typeEbEEZZNS1_14partition_implILS5_3ELb0ES3_jN6thrust23THRUST_200600_302600_NS6detail15normal_iteratorINSA_7pointerItNSA_11hip_rocprim3tagENSA_11use_defaultESG_EEEEPS6_SJ_NS0_5tupleIJPtSJ_EEENSK_IJSJ_SJ_EEES6_PlJ7is_evenItEEEE10hipError_tPvRmT3_T4_T5_T6_T7_T9_mT8_P12ihipStream_tbDpT10_ENKUlT_T0_E_clISt17integral_constantIbLb0EES19_IbLb1EEEEDaS15_S16_EUlS15_E_NS1_11comp_targetILNS1_3genE9ELNS1_11target_archE1100ELNS1_3gpuE3ELNS1_3repE0EEENS1_30default_config_static_selectorELNS0_4arch9wavefront6targetE1EEEvT1_,comdat
	.protected	_ZN7rocprim17ROCPRIM_400000_NS6detail17trampoline_kernelINS0_14default_configENS1_25partition_config_selectorILNS1_17partition_subalgoE3EtNS0_10empty_typeEbEEZZNS1_14partition_implILS5_3ELb0ES3_jN6thrust23THRUST_200600_302600_NS6detail15normal_iteratorINSA_7pointerItNSA_11hip_rocprim3tagENSA_11use_defaultESG_EEEEPS6_SJ_NS0_5tupleIJPtSJ_EEENSK_IJSJ_SJ_EEES6_PlJ7is_evenItEEEE10hipError_tPvRmT3_T4_T5_T6_T7_T9_mT8_P12ihipStream_tbDpT10_ENKUlT_T0_E_clISt17integral_constantIbLb0EES19_IbLb1EEEEDaS15_S16_EUlS15_E_NS1_11comp_targetILNS1_3genE9ELNS1_11target_archE1100ELNS1_3gpuE3ELNS1_3repE0EEENS1_30default_config_static_selectorELNS0_4arch9wavefront6targetE1EEEvT1_ ; -- Begin function _ZN7rocprim17ROCPRIM_400000_NS6detail17trampoline_kernelINS0_14default_configENS1_25partition_config_selectorILNS1_17partition_subalgoE3EtNS0_10empty_typeEbEEZZNS1_14partition_implILS5_3ELb0ES3_jN6thrust23THRUST_200600_302600_NS6detail15normal_iteratorINSA_7pointerItNSA_11hip_rocprim3tagENSA_11use_defaultESG_EEEEPS6_SJ_NS0_5tupleIJPtSJ_EEENSK_IJSJ_SJ_EEES6_PlJ7is_evenItEEEE10hipError_tPvRmT3_T4_T5_T6_T7_T9_mT8_P12ihipStream_tbDpT10_ENKUlT_T0_E_clISt17integral_constantIbLb0EES19_IbLb1EEEEDaS15_S16_EUlS15_E_NS1_11comp_targetILNS1_3genE9ELNS1_11target_archE1100ELNS1_3gpuE3ELNS1_3repE0EEENS1_30default_config_static_selectorELNS0_4arch9wavefront6targetE1EEEvT1_
	.globl	_ZN7rocprim17ROCPRIM_400000_NS6detail17trampoline_kernelINS0_14default_configENS1_25partition_config_selectorILNS1_17partition_subalgoE3EtNS0_10empty_typeEbEEZZNS1_14partition_implILS5_3ELb0ES3_jN6thrust23THRUST_200600_302600_NS6detail15normal_iteratorINSA_7pointerItNSA_11hip_rocprim3tagENSA_11use_defaultESG_EEEEPS6_SJ_NS0_5tupleIJPtSJ_EEENSK_IJSJ_SJ_EEES6_PlJ7is_evenItEEEE10hipError_tPvRmT3_T4_T5_T6_T7_T9_mT8_P12ihipStream_tbDpT10_ENKUlT_T0_E_clISt17integral_constantIbLb0EES19_IbLb1EEEEDaS15_S16_EUlS15_E_NS1_11comp_targetILNS1_3genE9ELNS1_11target_archE1100ELNS1_3gpuE3ELNS1_3repE0EEENS1_30default_config_static_selectorELNS0_4arch9wavefront6targetE1EEEvT1_
	.p2align	8
	.type	_ZN7rocprim17ROCPRIM_400000_NS6detail17trampoline_kernelINS0_14default_configENS1_25partition_config_selectorILNS1_17partition_subalgoE3EtNS0_10empty_typeEbEEZZNS1_14partition_implILS5_3ELb0ES3_jN6thrust23THRUST_200600_302600_NS6detail15normal_iteratorINSA_7pointerItNSA_11hip_rocprim3tagENSA_11use_defaultESG_EEEEPS6_SJ_NS0_5tupleIJPtSJ_EEENSK_IJSJ_SJ_EEES6_PlJ7is_evenItEEEE10hipError_tPvRmT3_T4_T5_T6_T7_T9_mT8_P12ihipStream_tbDpT10_ENKUlT_T0_E_clISt17integral_constantIbLb0EES19_IbLb1EEEEDaS15_S16_EUlS15_E_NS1_11comp_targetILNS1_3genE9ELNS1_11target_archE1100ELNS1_3gpuE3ELNS1_3repE0EEENS1_30default_config_static_selectorELNS0_4arch9wavefront6targetE1EEEvT1_,@function
_ZN7rocprim17ROCPRIM_400000_NS6detail17trampoline_kernelINS0_14default_configENS1_25partition_config_selectorILNS1_17partition_subalgoE3EtNS0_10empty_typeEbEEZZNS1_14partition_implILS5_3ELb0ES3_jN6thrust23THRUST_200600_302600_NS6detail15normal_iteratorINSA_7pointerItNSA_11hip_rocprim3tagENSA_11use_defaultESG_EEEEPS6_SJ_NS0_5tupleIJPtSJ_EEENSK_IJSJ_SJ_EEES6_PlJ7is_evenItEEEE10hipError_tPvRmT3_T4_T5_T6_T7_T9_mT8_P12ihipStream_tbDpT10_ENKUlT_T0_E_clISt17integral_constantIbLb0EES19_IbLb1EEEEDaS15_S16_EUlS15_E_NS1_11comp_targetILNS1_3genE9ELNS1_11target_archE1100ELNS1_3gpuE3ELNS1_3repE0EEENS1_30default_config_static_selectorELNS0_4arch9wavefront6targetE1EEEvT1_: ; @_ZN7rocprim17ROCPRIM_400000_NS6detail17trampoline_kernelINS0_14default_configENS1_25partition_config_selectorILNS1_17partition_subalgoE3EtNS0_10empty_typeEbEEZZNS1_14partition_implILS5_3ELb0ES3_jN6thrust23THRUST_200600_302600_NS6detail15normal_iteratorINSA_7pointerItNSA_11hip_rocprim3tagENSA_11use_defaultESG_EEEEPS6_SJ_NS0_5tupleIJPtSJ_EEENSK_IJSJ_SJ_EEES6_PlJ7is_evenItEEEE10hipError_tPvRmT3_T4_T5_T6_T7_T9_mT8_P12ihipStream_tbDpT10_ENKUlT_T0_E_clISt17integral_constantIbLb0EES19_IbLb1EEEEDaS15_S16_EUlS15_E_NS1_11comp_targetILNS1_3genE9ELNS1_11target_archE1100ELNS1_3gpuE3ELNS1_3repE0EEENS1_30default_config_static_selectorELNS0_4arch9wavefront6targetE1EEEvT1_
; %bb.0:
	.section	.rodata,"a",@progbits
	.p2align	6, 0x0
	.amdhsa_kernel _ZN7rocprim17ROCPRIM_400000_NS6detail17trampoline_kernelINS0_14default_configENS1_25partition_config_selectorILNS1_17partition_subalgoE3EtNS0_10empty_typeEbEEZZNS1_14partition_implILS5_3ELb0ES3_jN6thrust23THRUST_200600_302600_NS6detail15normal_iteratorINSA_7pointerItNSA_11hip_rocprim3tagENSA_11use_defaultESG_EEEEPS6_SJ_NS0_5tupleIJPtSJ_EEENSK_IJSJ_SJ_EEES6_PlJ7is_evenItEEEE10hipError_tPvRmT3_T4_T5_T6_T7_T9_mT8_P12ihipStream_tbDpT10_ENKUlT_T0_E_clISt17integral_constantIbLb0EES19_IbLb1EEEEDaS15_S16_EUlS15_E_NS1_11comp_targetILNS1_3genE9ELNS1_11target_archE1100ELNS1_3gpuE3ELNS1_3repE0EEENS1_30default_config_static_selectorELNS0_4arch9wavefront6targetE1EEEvT1_
		.amdhsa_group_segment_fixed_size 0
		.amdhsa_private_segment_fixed_size 0
		.amdhsa_kernarg_size 136
		.amdhsa_user_sgpr_count 2
		.amdhsa_user_sgpr_dispatch_ptr 0
		.amdhsa_user_sgpr_queue_ptr 0
		.amdhsa_user_sgpr_kernarg_segment_ptr 1
		.amdhsa_user_sgpr_dispatch_id 0
		.amdhsa_user_sgpr_kernarg_preload_length 0
		.amdhsa_user_sgpr_kernarg_preload_offset 0
		.amdhsa_user_sgpr_private_segment_size 0
		.amdhsa_uses_dynamic_stack 0
		.amdhsa_enable_private_segment 0
		.amdhsa_system_sgpr_workgroup_id_x 1
		.amdhsa_system_sgpr_workgroup_id_y 0
		.amdhsa_system_sgpr_workgroup_id_z 0
		.amdhsa_system_sgpr_workgroup_info 0
		.amdhsa_system_vgpr_workitem_id 0
		.amdhsa_next_free_vgpr 1
		.amdhsa_next_free_sgpr 0
		.amdhsa_accum_offset 4
		.amdhsa_reserve_vcc 0
		.amdhsa_float_round_mode_32 0
		.amdhsa_float_round_mode_16_64 0
		.amdhsa_float_denorm_mode_32 3
		.amdhsa_float_denorm_mode_16_64 3
		.amdhsa_dx10_clamp 1
		.amdhsa_ieee_mode 1
		.amdhsa_fp16_overflow 0
		.amdhsa_tg_split 0
		.amdhsa_exception_fp_ieee_invalid_op 0
		.amdhsa_exception_fp_denorm_src 0
		.amdhsa_exception_fp_ieee_div_zero 0
		.amdhsa_exception_fp_ieee_overflow 0
		.amdhsa_exception_fp_ieee_underflow 0
		.amdhsa_exception_fp_ieee_inexact 0
		.amdhsa_exception_int_div_zero 0
	.end_amdhsa_kernel
	.section	.text._ZN7rocprim17ROCPRIM_400000_NS6detail17trampoline_kernelINS0_14default_configENS1_25partition_config_selectorILNS1_17partition_subalgoE3EtNS0_10empty_typeEbEEZZNS1_14partition_implILS5_3ELb0ES3_jN6thrust23THRUST_200600_302600_NS6detail15normal_iteratorINSA_7pointerItNSA_11hip_rocprim3tagENSA_11use_defaultESG_EEEEPS6_SJ_NS0_5tupleIJPtSJ_EEENSK_IJSJ_SJ_EEES6_PlJ7is_evenItEEEE10hipError_tPvRmT3_T4_T5_T6_T7_T9_mT8_P12ihipStream_tbDpT10_ENKUlT_T0_E_clISt17integral_constantIbLb0EES19_IbLb1EEEEDaS15_S16_EUlS15_E_NS1_11comp_targetILNS1_3genE9ELNS1_11target_archE1100ELNS1_3gpuE3ELNS1_3repE0EEENS1_30default_config_static_selectorELNS0_4arch9wavefront6targetE1EEEvT1_,"axG",@progbits,_ZN7rocprim17ROCPRIM_400000_NS6detail17trampoline_kernelINS0_14default_configENS1_25partition_config_selectorILNS1_17partition_subalgoE3EtNS0_10empty_typeEbEEZZNS1_14partition_implILS5_3ELb0ES3_jN6thrust23THRUST_200600_302600_NS6detail15normal_iteratorINSA_7pointerItNSA_11hip_rocprim3tagENSA_11use_defaultESG_EEEEPS6_SJ_NS0_5tupleIJPtSJ_EEENSK_IJSJ_SJ_EEES6_PlJ7is_evenItEEEE10hipError_tPvRmT3_T4_T5_T6_T7_T9_mT8_P12ihipStream_tbDpT10_ENKUlT_T0_E_clISt17integral_constantIbLb0EES19_IbLb1EEEEDaS15_S16_EUlS15_E_NS1_11comp_targetILNS1_3genE9ELNS1_11target_archE1100ELNS1_3gpuE3ELNS1_3repE0EEENS1_30default_config_static_selectorELNS0_4arch9wavefront6targetE1EEEvT1_,comdat
.Lfunc_end1186:
	.size	_ZN7rocprim17ROCPRIM_400000_NS6detail17trampoline_kernelINS0_14default_configENS1_25partition_config_selectorILNS1_17partition_subalgoE3EtNS0_10empty_typeEbEEZZNS1_14partition_implILS5_3ELb0ES3_jN6thrust23THRUST_200600_302600_NS6detail15normal_iteratorINSA_7pointerItNSA_11hip_rocprim3tagENSA_11use_defaultESG_EEEEPS6_SJ_NS0_5tupleIJPtSJ_EEENSK_IJSJ_SJ_EEES6_PlJ7is_evenItEEEE10hipError_tPvRmT3_T4_T5_T6_T7_T9_mT8_P12ihipStream_tbDpT10_ENKUlT_T0_E_clISt17integral_constantIbLb0EES19_IbLb1EEEEDaS15_S16_EUlS15_E_NS1_11comp_targetILNS1_3genE9ELNS1_11target_archE1100ELNS1_3gpuE3ELNS1_3repE0EEENS1_30default_config_static_selectorELNS0_4arch9wavefront6targetE1EEEvT1_, .Lfunc_end1186-_ZN7rocprim17ROCPRIM_400000_NS6detail17trampoline_kernelINS0_14default_configENS1_25partition_config_selectorILNS1_17partition_subalgoE3EtNS0_10empty_typeEbEEZZNS1_14partition_implILS5_3ELb0ES3_jN6thrust23THRUST_200600_302600_NS6detail15normal_iteratorINSA_7pointerItNSA_11hip_rocprim3tagENSA_11use_defaultESG_EEEEPS6_SJ_NS0_5tupleIJPtSJ_EEENSK_IJSJ_SJ_EEES6_PlJ7is_evenItEEEE10hipError_tPvRmT3_T4_T5_T6_T7_T9_mT8_P12ihipStream_tbDpT10_ENKUlT_T0_E_clISt17integral_constantIbLb0EES19_IbLb1EEEEDaS15_S16_EUlS15_E_NS1_11comp_targetILNS1_3genE9ELNS1_11target_archE1100ELNS1_3gpuE3ELNS1_3repE0EEENS1_30default_config_static_selectorELNS0_4arch9wavefront6targetE1EEEvT1_
                                        ; -- End function
	.section	.AMDGPU.csdata,"",@progbits
; Kernel info:
; codeLenInByte = 0
; NumSgprs: 6
; NumVgprs: 0
; NumAgprs: 0
; TotalNumVgprs: 0
; ScratchSize: 0
; MemoryBound: 0
; FloatMode: 240
; IeeeMode: 1
; LDSByteSize: 0 bytes/workgroup (compile time only)
; SGPRBlocks: 0
; VGPRBlocks: 0
; NumSGPRsForWavesPerEU: 6
; NumVGPRsForWavesPerEU: 1
; AccumOffset: 4
; Occupancy: 8
; WaveLimiterHint : 0
; COMPUTE_PGM_RSRC2:SCRATCH_EN: 0
; COMPUTE_PGM_RSRC2:USER_SGPR: 2
; COMPUTE_PGM_RSRC2:TRAP_HANDLER: 0
; COMPUTE_PGM_RSRC2:TGID_X_EN: 1
; COMPUTE_PGM_RSRC2:TGID_Y_EN: 0
; COMPUTE_PGM_RSRC2:TGID_Z_EN: 0
; COMPUTE_PGM_RSRC2:TIDIG_COMP_CNT: 0
; COMPUTE_PGM_RSRC3_GFX90A:ACCUM_OFFSET: 0
; COMPUTE_PGM_RSRC3_GFX90A:TG_SPLIT: 0
	.section	.text._ZN7rocprim17ROCPRIM_400000_NS6detail17trampoline_kernelINS0_14default_configENS1_25partition_config_selectorILNS1_17partition_subalgoE3EtNS0_10empty_typeEbEEZZNS1_14partition_implILS5_3ELb0ES3_jN6thrust23THRUST_200600_302600_NS6detail15normal_iteratorINSA_7pointerItNSA_11hip_rocprim3tagENSA_11use_defaultESG_EEEEPS6_SJ_NS0_5tupleIJPtSJ_EEENSK_IJSJ_SJ_EEES6_PlJ7is_evenItEEEE10hipError_tPvRmT3_T4_T5_T6_T7_T9_mT8_P12ihipStream_tbDpT10_ENKUlT_T0_E_clISt17integral_constantIbLb0EES19_IbLb1EEEEDaS15_S16_EUlS15_E_NS1_11comp_targetILNS1_3genE8ELNS1_11target_archE1030ELNS1_3gpuE2ELNS1_3repE0EEENS1_30default_config_static_selectorELNS0_4arch9wavefront6targetE1EEEvT1_,"axG",@progbits,_ZN7rocprim17ROCPRIM_400000_NS6detail17trampoline_kernelINS0_14default_configENS1_25partition_config_selectorILNS1_17partition_subalgoE3EtNS0_10empty_typeEbEEZZNS1_14partition_implILS5_3ELb0ES3_jN6thrust23THRUST_200600_302600_NS6detail15normal_iteratorINSA_7pointerItNSA_11hip_rocprim3tagENSA_11use_defaultESG_EEEEPS6_SJ_NS0_5tupleIJPtSJ_EEENSK_IJSJ_SJ_EEES6_PlJ7is_evenItEEEE10hipError_tPvRmT3_T4_T5_T6_T7_T9_mT8_P12ihipStream_tbDpT10_ENKUlT_T0_E_clISt17integral_constantIbLb0EES19_IbLb1EEEEDaS15_S16_EUlS15_E_NS1_11comp_targetILNS1_3genE8ELNS1_11target_archE1030ELNS1_3gpuE2ELNS1_3repE0EEENS1_30default_config_static_selectorELNS0_4arch9wavefront6targetE1EEEvT1_,comdat
	.protected	_ZN7rocprim17ROCPRIM_400000_NS6detail17trampoline_kernelINS0_14default_configENS1_25partition_config_selectorILNS1_17partition_subalgoE3EtNS0_10empty_typeEbEEZZNS1_14partition_implILS5_3ELb0ES3_jN6thrust23THRUST_200600_302600_NS6detail15normal_iteratorINSA_7pointerItNSA_11hip_rocprim3tagENSA_11use_defaultESG_EEEEPS6_SJ_NS0_5tupleIJPtSJ_EEENSK_IJSJ_SJ_EEES6_PlJ7is_evenItEEEE10hipError_tPvRmT3_T4_T5_T6_T7_T9_mT8_P12ihipStream_tbDpT10_ENKUlT_T0_E_clISt17integral_constantIbLb0EES19_IbLb1EEEEDaS15_S16_EUlS15_E_NS1_11comp_targetILNS1_3genE8ELNS1_11target_archE1030ELNS1_3gpuE2ELNS1_3repE0EEENS1_30default_config_static_selectorELNS0_4arch9wavefront6targetE1EEEvT1_ ; -- Begin function _ZN7rocprim17ROCPRIM_400000_NS6detail17trampoline_kernelINS0_14default_configENS1_25partition_config_selectorILNS1_17partition_subalgoE3EtNS0_10empty_typeEbEEZZNS1_14partition_implILS5_3ELb0ES3_jN6thrust23THRUST_200600_302600_NS6detail15normal_iteratorINSA_7pointerItNSA_11hip_rocprim3tagENSA_11use_defaultESG_EEEEPS6_SJ_NS0_5tupleIJPtSJ_EEENSK_IJSJ_SJ_EEES6_PlJ7is_evenItEEEE10hipError_tPvRmT3_T4_T5_T6_T7_T9_mT8_P12ihipStream_tbDpT10_ENKUlT_T0_E_clISt17integral_constantIbLb0EES19_IbLb1EEEEDaS15_S16_EUlS15_E_NS1_11comp_targetILNS1_3genE8ELNS1_11target_archE1030ELNS1_3gpuE2ELNS1_3repE0EEENS1_30default_config_static_selectorELNS0_4arch9wavefront6targetE1EEEvT1_
	.globl	_ZN7rocprim17ROCPRIM_400000_NS6detail17trampoline_kernelINS0_14default_configENS1_25partition_config_selectorILNS1_17partition_subalgoE3EtNS0_10empty_typeEbEEZZNS1_14partition_implILS5_3ELb0ES3_jN6thrust23THRUST_200600_302600_NS6detail15normal_iteratorINSA_7pointerItNSA_11hip_rocprim3tagENSA_11use_defaultESG_EEEEPS6_SJ_NS0_5tupleIJPtSJ_EEENSK_IJSJ_SJ_EEES6_PlJ7is_evenItEEEE10hipError_tPvRmT3_T4_T5_T6_T7_T9_mT8_P12ihipStream_tbDpT10_ENKUlT_T0_E_clISt17integral_constantIbLb0EES19_IbLb1EEEEDaS15_S16_EUlS15_E_NS1_11comp_targetILNS1_3genE8ELNS1_11target_archE1030ELNS1_3gpuE2ELNS1_3repE0EEENS1_30default_config_static_selectorELNS0_4arch9wavefront6targetE1EEEvT1_
	.p2align	8
	.type	_ZN7rocprim17ROCPRIM_400000_NS6detail17trampoline_kernelINS0_14default_configENS1_25partition_config_selectorILNS1_17partition_subalgoE3EtNS0_10empty_typeEbEEZZNS1_14partition_implILS5_3ELb0ES3_jN6thrust23THRUST_200600_302600_NS6detail15normal_iteratorINSA_7pointerItNSA_11hip_rocprim3tagENSA_11use_defaultESG_EEEEPS6_SJ_NS0_5tupleIJPtSJ_EEENSK_IJSJ_SJ_EEES6_PlJ7is_evenItEEEE10hipError_tPvRmT3_T4_T5_T6_T7_T9_mT8_P12ihipStream_tbDpT10_ENKUlT_T0_E_clISt17integral_constantIbLb0EES19_IbLb1EEEEDaS15_S16_EUlS15_E_NS1_11comp_targetILNS1_3genE8ELNS1_11target_archE1030ELNS1_3gpuE2ELNS1_3repE0EEENS1_30default_config_static_selectorELNS0_4arch9wavefront6targetE1EEEvT1_,@function
_ZN7rocprim17ROCPRIM_400000_NS6detail17trampoline_kernelINS0_14default_configENS1_25partition_config_selectorILNS1_17partition_subalgoE3EtNS0_10empty_typeEbEEZZNS1_14partition_implILS5_3ELb0ES3_jN6thrust23THRUST_200600_302600_NS6detail15normal_iteratorINSA_7pointerItNSA_11hip_rocprim3tagENSA_11use_defaultESG_EEEEPS6_SJ_NS0_5tupleIJPtSJ_EEENSK_IJSJ_SJ_EEES6_PlJ7is_evenItEEEE10hipError_tPvRmT3_T4_T5_T6_T7_T9_mT8_P12ihipStream_tbDpT10_ENKUlT_T0_E_clISt17integral_constantIbLb0EES19_IbLb1EEEEDaS15_S16_EUlS15_E_NS1_11comp_targetILNS1_3genE8ELNS1_11target_archE1030ELNS1_3gpuE2ELNS1_3repE0EEENS1_30default_config_static_selectorELNS0_4arch9wavefront6targetE1EEEvT1_: ; @_ZN7rocprim17ROCPRIM_400000_NS6detail17trampoline_kernelINS0_14default_configENS1_25partition_config_selectorILNS1_17partition_subalgoE3EtNS0_10empty_typeEbEEZZNS1_14partition_implILS5_3ELb0ES3_jN6thrust23THRUST_200600_302600_NS6detail15normal_iteratorINSA_7pointerItNSA_11hip_rocprim3tagENSA_11use_defaultESG_EEEEPS6_SJ_NS0_5tupleIJPtSJ_EEENSK_IJSJ_SJ_EEES6_PlJ7is_evenItEEEE10hipError_tPvRmT3_T4_T5_T6_T7_T9_mT8_P12ihipStream_tbDpT10_ENKUlT_T0_E_clISt17integral_constantIbLb0EES19_IbLb1EEEEDaS15_S16_EUlS15_E_NS1_11comp_targetILNS1_3genE8ELNS1_11target_archE1030ELNS1_3gpuE2ELNS1_3repE0EEENS1_30default_config_static_selectorELNS0_4arch9wavefront6targetE1EEEvT1_
; %bb.0:
	.section	.rodata,"a",@progbits
	.p2align	6, 0x0
	.amdhsa_kernel _ZN7rocprim17ROCPRIM_400000_NS6detail17trampoline_kernelINS0_14default_configENS1_25partition_config_selectorILNS1_17partition_subalgoE3EtNS0_10empty_typeEbEEZZNS1_14partition_implILS5_3ELb0ES3_jN6thrust23THRUST_200600_302600_NS6detail15normal_iteratorINSA_7pointerItNSA_11hip_rocprim3tagENSA_11use_defaultESG_EEEEPS6_SJ_NS0_5tupleIJPtSJ_EEENSK_IJSJ_SJ_EEES6_PlJ7is_evenItEEEE10hipError_tPvRmT3_T4_T5_T6_T7_T9_mT8_P12ihipStream_tbDpT10_ENKUlT_T0_E_clISt17integral_constantIbLb0EES19_IbLb1EEEEDaS15_S16_EUlS15_E_NS1_11comp_targetILNS1_3genE8ELNS1_11target_archE1030ELNS1_3gpuE2ELNS1_3repE0EEENS1_30default_config_static_selectorELNS0_4arch9wavefront6targetE1EEEvT1_
		.amdhsa_group_segment_fixed_size 0
		.amdhsa_private_segment_fixed_size 0
		.amdhsa_kernarg_size 136
		.amdhsa_user_sgpr_count 2
		.amdhsa_user_sgpr_dispatch_ptr 0
		.amdhsa_user_sgpr_queue_ptr 0
		.amdhsa_user_sgpr_kernarg_segment_ptr 1
		.amdhsa_user_sgpr_dispatch_id 0
		.amdhsa_user_sgpr_kernarg_preload_length 0
		.amdhsa_user_sgpr_kernarg_preload_offset 0
		.amdhsa_user_sgpr_private_segment_size 0
		.amdhsa_uses_dynamic_stack 0
		.amdhsa_enable_private_segment 0
		.amdhsa_system_sgpr_workgroup_id_x 1
		.amdhsa_system_sgpr_workgroup_id_y 0
		.amdhsa_system_sgpr_workgroup_id_z 0
		.amdhsa_system_sgpr_workgroup_info 0
		.amdhsa_system_vgpr_workitem_id 0
		.amdhsa_next_free_vgpr 1
		.amdhsa_next_free_sgpr 0
		.amdhsa_accum_offset 4
		.amdhsa_reserve_vcc 0
		.amdhsa_float_round_mode_32 0
		.amdhsa_float_round_mode_16_64 0
		.amdhsa_float_denorm_mode_32 3
		.amdhsa_float_denorm_mode_16_64 3
		.amdhsa_dx10_clamp 1
		.amdhsa_ieee_mode 1
		.amdhsa_fp16_overflow 0
		.amdhsa_tg_split 0
		.amdhsa_exception_fp_ieee_invalid_op 0
		.amdhsa_exception_fp_denorm_src 0
		.amdhsa_exception_fp_ieee_div_zero 0
		.amdhsa_exception_fp_ieee_overflow 0
		.amdhsa_exception_fp_ieee_underflow 0
		.amdhsa_exception_fp_ieee_inexact 0
		.amdhsa_exception_int_div_zero 0
	.end_amdhsa_kernel
	.section	.text._ZN7rocprim17ROCPRIM_400000_NS6detail17trampoline_kernelINS0_14default_configENS1_25partition_config_selectorILNS1_17partition_subalgoE3EtNS0_10empty_typeEbEEZZNS1_14partition_implILS5_3ELb0ES3_jN6thrust23THRUST_200600_302600_NS6detail15normal_iteratorINSA_7pointerItNSA_11hip_rocprim3tagENSA_11use_defaultESG_EEEEPS6_SJ_NS0_5tupleIJPtSJ_EEENSK_IJSJ_SJ_EEES6_PlJ7is_evenItEEEE10hipError_tPvRmT3_T4_T5_T6_T7_T9_mT8_P12ihipStream_tbDpT10_ENKUlT_T0_E_clISt17integral_constantIbLb0EES19_IbLb1EEEEDaS15_S16_EUlS15_E_NS1_11comp_targetILNS1_3genE8ELNS1_11target_archE1030ELNS1_3gpuE2ELNS1_3repE0EEENS1_30default_config_static_selectorELNS0_4arch9wavefront6targetE1EEEvT1_,"axG",@progbits,_ZN7rocprim17ROCPRIM_400000_NS6detail17trampoline_kernelINS0_14default_configENS1_25partition_config_selectorILNS1_17partition_subalgoE3EtNS0_10empty_typeEbEEZZNS1_14partition_implILS5_3ELb0ES3_jN6thrust23THRUST_200600_302600_NS6detail15normal_iteratorINSA_7pointerItNSA_11hip_rocprim3tagENSA_11use_defaultESG_EEEEPS6_SJ_NS0_5tupleIJPtSJ_EEENSK_IJSJ_SJ_EEES6_PlJ7is_evenItEEEE10hipError_tPvRmT3_T4_T5_T6_T7_T9_mT8_P12ihipStream_tbDpT10_ENKUlT_T0_E_clISt17integral_constantIbLb0EES19_IbLb1EEEEDaS15_S16_EUlS15_E_NS1_11comp_targetILNS1_3genE8ELNS1_11target_archE1030ELNS1_3gpuE2ELNS1_3repE0EEENS1_30default_config_static_selectorELNS0_4arch9wavefront6targetE1EEEvT1_,comdat
.Lfunc_end1187:
	.size	_ZN7rocprim17ROCPRIM_400000_NS6detail17trampoline_kernelINS0_14default_configENS1_25partition_config_selectorILNS1_17partition_subalgoE3EtNS0_10empty_typeEbEEZZNS1_14partition_implILS5_3ELb0ES3_jN6thrust23THRUST_200600_302600_NS6detail15normal_iteratorINSA_7pointerItNSA_11hip_rocprim3tagENSA_11use_defaultESG_EEEEPS6_SJ_NS0_5tupleIJPtSJ_EEENSK_IJSJ_SJ_EEES6_PlJ7is_evenItEEEE10hipError_tPvRmT3_T4_T5_T6_T7_T9_mT8_P12ihipStream_tbDpT10_ENKUlT_T0_E_clISt17integral_constantIbLb0EES19_IbLb1EEEEDaS15_S16_EUlS15_E_NS1_11comp_targetILNS1_3genE8ELNS1_11target_archE1030ELNS1_3gpuE2ELNS1_3repE0EEENS1_30default_config_static_selectorELNS0_4arch9wavefront6targetE1EEEvT1_, .Lfunc_end1187-_ZN7rocprim17ROCPRIM_400000_NS6detail17trampoline_kernelINS0_14default_configENS1_25partition_config_selectorILNS1_17partition_subalgoE3EtNS0_10empty_typeEbEEZZNS1_14partition_implILS5_3ELb0ES3_jN6thrust23THRUST_200600_302600_NS6detail15normal_iteratorINSA_7pointerItNSA_11hip_rocprim3tagENSA_11use_defaultESG_EEEEPS6_SJ_NS0_5tupleIJPtSJ_EEENSK_IJSJ_SJ_EEES6_PlJ7is_evenItEEEE10hipError_tPvRmT3_T4_T5_T6_T7_T9_mT8_P12ihipStream_tbDpT10_ENKUlT_T0_E_clISt17integral_constantIbLb0EES19_IbLb1EEEEDaS15_S16_EUlS15_E_NS1_11comp_targetILNS1_3genE8ELNS1_11target_archE1030ELNS1_3gpuE2ELNS1_3repE0EEENS1_30default_config_static_selectorELNS0_4arch9wavefront6targetE1EEEvT1_
                                        ; -- End function
	.section	.AMDGPU.csdata,"",@progbits
; Kernel info:
; codeLenInByte = 0
; NumSgprs: 6
; NumVgprs: 0
; NumAgprs: 0
; TotalNumVgprs: 0
; ScratchSize: 0
; MemoryBound: 0
; FloatMode: 240
; IeeeMode: 1
; LDSByteSize: 0 bytes/workgroup (compile time only)
; SGPRBlocks: 0
; VGPRBlocks: 0
; NumSGPRsForWavesPerEU: 6
; NumVGPRsForWavesPerEU: 1
; AccumOffset: 4
; Occupancy: 8
; WaveLimiterHint : 0
; COMPUTE_PGM_RSRC2:SCRATCH_EN: 0
; COMPUTE_PGM_RSRC2:USER_SGPR: 2
; COMPUTE_PGM_RSRC2:TRAP_HANDLER: 0
; COMPUTE_PGM_RSRC2:TGID_X_EN: 1
; COMPUTE_PGM_RSRC2:TGID_Y_EN: 0
; COMPUTE_PGM_RSRC2:TGID_Z_EN: 0
; COMPUTE_PGM_RSRC2:TIDIG_COMP_CNT: 0
; COMPUTE_PGM_RSRC3_GFX90A:ACCUM_OFFSET: 0
; COMPUTE_PGM_RSRC3_GFX90A:TG_SPLIT: 0
	.section	.text._ZN7rocprim17ROCPRIM_400000_NS6detail17trampoline_kernelINS0_13kernel_configILj256ELj4ELj4294967295EEENS1_37radix_sort_block_sort_config_selectorItNS0_10empty_typeEEEZNS1_21radix_sort_block_sortIS4_Lb0EN6thrust23THRUST_200600_302600_NS6detail15normal_iteratorINSA_10device_ptrItEEEESF_PS6_SG_NS0_19identity_decomposerEEE10hipError_tT1_T2_T3_T4_jRjT5_jjP12ihipStream_tbEUlT_E_NS1_11comp_targetILNS1_3genE0ELNS1_11target_archE4294967295ELNS1_3gpuE0ELNS1_3repE0EEENS1_44radix_sort_block_sort_config_static_selectorELNS0_4arch9wavefront6targetE1EEEvSJ_,"axG",@progbits,_ZN7rocprim17ROCPRIM_400000_NS6detail17trampoline_kernelINS0_13kernel_configILj256ELj4ELj4294967295EEENS1_37radix_sort_block_sort_config_selectorItNS0_10empty_typeEEEZNS1_21radix_sort_block_sortIS4_Lb0EN6thrust23THRUST_200600_302600_NS6detail15normal_iteratorINSA_10device_ptrItEEEESF_PS6_SG_NS0_19identity_decomposerEEE10hipError_tT1_T2_T3_T4_jRjT5_jjP12ihipStream_tbEUlT_E_NS1_11comp_targetILNS1_3genE0ELNS1_11target_archE4294967295ELNS1_3gpuE0ELNS1_3repE0EEENS1_44radix_sort_block_sort_config_static_selectorELNS0_4arch9wavefront6targetE1EEEvSJ_,comdat
	.protected	_ZN7rocprim17ROCPRIM_400000_NS6detail17trampoline_kernelINS0_13kernel_configILj256ELj4ELj4294967295EEENS1_37radix_sort_block_sort_config_selectorItNS0_10empty_typeEEEZNS1_21radix_sort_block_sortIS4_Lb0EN6thrust23THRUST_200600_302600_NS6detail15normal_iteratorINSA_10device_ptrItEEEESF_PS6_SG_NS0_19identity_decomposerEEE10hipError_tT1_T2_T3_T4_jRjT5_jjP12ihipStream_tbEUlT_E_NS1_11comp_targetILNS1_3genE0ELNS1_11target_archE4294967295ELNS1_3gpuE0ELNS1_3repE0EEENS1_44radix_sort_block_sort_config_static_selectorELNS0_4arch9wavefront6targetE1EEEvSJ_ ; -- Begin function _ZN7rocprim17ROCPRIM_400000_NS6detail17trampoline_kernelINS0_13kernel_configILj256ELj4ELj4294967295EEENS1_37radix_sort_block_sort_config_selectorItNS0_10empty_typeEEEZNS1_21radix_sort_block_sortIS4_Lb0EN6thrust23THRUST_200600_302600_NS6detail15normal_iteratorINSA_10device_ptrItEEEESF_PS6_SG_NS0_19identity_decomposerEEE10hipError_tT1_T2_T3_T4_jRjT5_jjP12ihipStream_tbEUlT_E_NS1_11comp_targetILNS1_3genE0ELNS1_11target_archE4294967295ELNS1_3gpuE0ELNS1_3repE0EEENS1_44radix_sort_block_sort_config_static_selectorELNS0_4arch9wavefront6targetE1EEEvSJ_
	.globl	_ZN7rocprim17ROCPRIM_400000_NS6detail17trampoline_kernelINS0_13kernel_configILj256ELj4ELj4294967295EEENS1_37radix_sort_block_sort_config_selectorItNS0_10empty_typeEEEZNS1_21radix_sort_block_sortIS4_Lb0EN6thrust23THRUST_200600_302600_NS6detail15normal_iteratorINSA_10device_ptrItEEEESF_PS6_SG_NS0_19identity_decomposerEEE10hipError_tT1_T2_T3_T4_jRjT5_jjP12ihipStream_tbEUlT_E_NS1_11comp_targetILNS1_3genE0ELNS1_11target_archE4294967295ELNS1_3gpuE0ELNS1_3repE0EEENS1_44radix_sort_block_sort_config_static_selectorELNS0_4arch9wavefront6targetE1EEEvSJ_
	.p2align	8
	.type	_ZN7rocprim17ROCPRIM_400000_NS6detail17trampoline_kernelINS0_13kernel_configILj256ELj4ELj4294967295EEENS1_37radix_sort_block_sort_config_selectorItNS0_10empty_typeEEEZNS1_21radix_sort_block_sortIS4_Lb0EN6thrust23THRUST_200600_302600_NS6detail15normal_iteratorINSA_10device_ptrItEEEESF_PS6_SG_NS0_19identity_decomposerEEE10hipError_tT1_T2_T3_T4_jRjT5_jjP12ihipStream_tbEUlT_E_NS1_11comp_targetILNS1_3genE0ELNS1_11target_archE4294967295ELNS1_3gpuE0ELNS1_3repE0EEENS1_44radix_sort_block_sort_config_static_selectorELNS0_4arch9wavefront6targetE1EEEvSJ_,@function
_ZN7rocprim17ROCPRIM_400000_NS6detail17trampoline_kernelINS0_13kernel_configILj256ELj4ELj4294967295EEENS1_37radix_sort_block_sort_config_selectorItNS0_10empty_typeEEEZNS1_21radix_sort_block_sortIS4_Lb0EN6thrust23THRUST_200600_302600_NS6detail15normal_iteratorINSA_10device_ptrItEEEESF_PS6_SG_NS0_19identity_decomposerEEE10hipError_tT1_T2_T3_T4_jRjT5_jjP12ihipStream_tbEUlT_E_NS1_11comp_targetILNS1_3genE0ELNS1_11target_archE4294967295ELNS1_3gpuE0ELNS1_3repE0EEENS1_44radix_sort_block_sort_config_static_selectorELNS0_4arch9wavefront6targetE1EEEvSJ_: ; @_ZN7rocprim17ROCPRIM_400000_NS6detail17trampoline_kernelINS0_13kernel_configILj256ELj4ELj4294967295EEENS1_37radix_sort_block_sort_config_selectorItNS0_10empty_typeEEEZNS1_21radix_sort_block_sortIS4_Lb0EN6thrust23THRUST_200600_302600_NS6detail15normal_iteratorINSA_10device_ptrItEEEESF_PS6_SG_NS0_19identity_decomposerEEE10hipError_tT1_T2_T3_T4_jRjT5_jjP12ihipStream_tbEUlT_E_NS1_11comp_targetILNS1_3genE0ELNS1_11target_archE4294967295ELNS1_3gpuE0ELNS1_3repE0EEENS1_44radix_sort_block_sort_config_static_selectorELNS0_4arch9wavefront6targetE1EEEvSJ_
; %bb.0:
	.section	.rodata,"a",@progbits
	.p2align	6, 0x0
	.amdhsa_kernel _ZN7rocprim17ROCPRIM_400000_NS6detail17trampoline_kernelINS0_13kernel_configILj256ELj4ELj4294967295EEENS1_37radix_sort_block_sort_config_selectorItNS0_10empty_typeEEEZNS1_21radix_sort_block_sortIS4_Lb0EN6thrust23THRUST_200600_302600_NS6detail15normal_iteratorINSA_10device_ptrItEEEESF_PS6_SG_NS0_19identity_decomposerEEE10hipError_tT1_T2_T3_T4_jRjT5_jjP12ihipStream_tbEUlT_E_NS1_11comp_targetILNS1_3genE0ELNS1_11target_archE4294967295ELNS1_3gpuE0ELNS1_3repE0EEENS1_44radix_sort_block_sort_config_static_selectorELNS0_4arch9wavefront6targetE1EEEvSJ_
		.amdhsa_group_segment_fixed_size 0
		.amdhsa_private_segment_fixed_size 0
		.amdhsa_kernarg_size 48
		.amdhsa_user_sgpr_count 2
		.amdhsa_user_sgpr_dispatch_ptr 0
		.amdhsa_user_sgpr_queue_ptr 0
		.amdhsa_user_sgpr_kernarg_segment_ptr 1
		.amdhsa_user_sgpr_dispatch_id 0
		.amdhsa_user_sgpr_kernarg_preload_length 0
		.amdhsa_user_sgpr_kernarg_preload_offset 0
		.amdhsa_user_sgpr_private_segment_size 0
		.amdhsa_uses_dynamic_stack 0
		.amdhsa_enable_private_segment 0
		.amdhsa_system_sgpr_workgroup_id_x 1
		.amdhsa_system_sgpr_workgroup_id_y 0
		.amdhsa_system_sgpr_workgroup_id_z 0
		.amdhsa_system_sgpr_workgroup_info 0
		.amdhsa_system_vgpr_workitem_id 0
		.amdhsa_next_free_vgpr 1
		.amdhsa_next_free_sgpr 0
		.amdhsa_accum_offset 4
		.amdhsa_reserve_vcc 0
		.amdhsa_float_round_mode_32 0
		.amdhsa_float_round_mode_16_64 0
		.amdhsa_float_denorm_mode_32 3
		.amdhsa_float_denorm_mode_16_64 3
		.amdhsa_dx10_clamp 1
		.amdhsa_ieee_mode 1
		.amdhsa_fp16_overflow 0
		.amdhsa_tg_split 0
		.amdhsa_exception_fp_ieee_invalid_op 0
		.amdhsa_exception_fp_denorm_src 0
		.amdhsa_exception_fp_ieee_div_zero 0
		.amdhsa_exception_fp_ieee_overflow 0
		.amdhsa_exception_fp_ieee_underflow 0
		.amdhsa_exception_fp_ieee_inexact 0
		.amdhsa_exception_int_div_zero 0
	.end_amdhsa_kernel
	.section	.text._ZN7rocprim17ROCPRIM_400000_NS6detail17trampoline_kernelINS0_13kernel_configILj256ELj4ELj4294967295EEENS1_37radix_sort_block_sort_config_selectorItNS0_10empty_typeEEEZNS1_21radix_sort_block_sortIS4_Lb0EN6thrust23THRUST_200600_302600_NS6detail15normal_iteratorINSA_10device_ptrItEEEESF_PS6_SG_NS0_19identity_decomposerEEE10hipError_tT1_T2_T3_T4_jRjT5_jjP12ihipStream_tbEUlT_E_NS1_11comp_targetILNS1_3genE0ELNS1_11target_archE4294967295ELNS1_3gpuE0ELNS1_3repE0EEENS1_44radix_sort_block_sort_config_static_selectorELNS0_4arch9wavefront6targetE1EEEvSJ_,"axG",@progbits,_ZN7rocprim17ROCPRIM_400000_NS6detail17trampoline_kernelINS0_13kernel_configILj256ELj4ELj4294967295EEENS1_37radix_sort_block_sort_config_selectorItNS0_10empty_typeEEEZNS1_21radix_sort_block_sortIS4_Lb0EN6thrust23THRUST_200600_302600_NS6detail15normal_iteratorINSA_10device_ptrItEEEESF_PS6_SG_NS0_19identity_decomposerEEE10hipError_tT1_T2_T3_T4_jRjT5_jjP12ihipStream_tbEUlT_E_NS1_11comp_targetILNS1_3genE0ELNS1_11target_archE4294967295ELNS1_3gpuE0ELNS1_3repE0EEENS1_44radix_sort_block_sort_config_static_selectorELNS0_4arch9wavefront6targetE1EEEvSJ_,comdat
.Lfunc_end1188:
	.size	_ZN7rocprim17ROCPRIM_400000_NS6detail17trampoline_kernelINS0_13kernel_configILj256ELj4ELj4294967295EEENS1_37radix_sort_block_sort_config_selectorItNS0_10empty_typeEEEZNS1_21radix_sort_block_sortIS4_Lb0EN6thrust23THRUST_200600_302600_NS6detail15normal_iteratorINSA_10device_ptrItEEEESF_PS6_SG_NS0_19identity_decomposerEEE10hipError_tT1_T2_T3_T4_jRjT5_jjP12ihipStream_tbEUlT_E_NS1_11comp_targetILNS1_3genE0ELNS1_11target_archE4294967295ELNS1_3gpuE0ELNS1_3repE0EEENS1_44radix_sort_block_sort_config_static_selectorELNS0_4arch9wavefront6targetE1EEEvSJ_, .Lfunc_end1188-_ZN7rocprim17ROCPRIM_400000_NS6detail17trampoline_kernelINS0_13kernel_configILj256ELj4ELj4294967295EEENS1_37radix_sort_block_sort_config_selectorItNS0_10empty_typeEEEZNS1_21radix_sort_block_sortIS4_Lb0EN6thrust23THRUST_200600_302600_NS6detail15normal_iteratorINSA_10device_ptrItEEEESF_PS6_SG_NS0_19identity_decomposerEEE10hipError_tT1_T2_T3_T4_jRjT5_jjP12ihipStream_tbEUlT_E_NS1_11comp_targetILNS1_3genE0ELNS1_11target_archE4294967295ELNS1_3gpuE0ELNS1_3repE0EEENS1_44radix_sort_block_sort_config_static_selectorELNS0_4arch9wavefront6targetE1EEEvSJ_
                                        ; -- End function
	.section	.AMDGPU.csdata,"",@progbits
; Kernel info:
; codeLenInByte = 0
; NumSgprs: 6
; NumVgprs: 0
; NumAgprs: 0
; TotalNumVgprs: 0
; ScratchSize: 0
; MemoryBound: 0
; FloatMode: 240
; IeeeMode: 1
; LDSByteSize: 0 bytes/workgroup (compile time only)
; SGPRBlocks: 0
; VGPRBlocks: 0
; NumSGPRsForWavesPerEU: 6
; NumVGPRsForWavesPerEU: 1
; AccumOffset: 4
; Occupancy: 8
; WaveLimiterHint : 0
; COMPUTE_PGM_RSRC2:SCRATCH_EN: 0
; COMPUTE_PGM_RSRC2:USER_SGPR: 2
; COMPUTE_PGM_RSRC2:TRAP_HANDLER: 0
; COMPUTE_PGM_RSRC2:TGID_X_EN: 1
; COMPUTE_PGM_RSRC2:TGID_Y_EN: 0
; COMPUTE_PGM_RSRC2:TGID_Z_EN: 0
; COMPUTE_PGM_RSRC2:TIDIG_COMP_CNT: 0
; COMPUTE_PGM_RSRC3_GFX90A:ACCUM_OFFSET: 0
; COMPUTE_PGM_RSRC3_GFX90A:TG_SPLIT: 0
	.section	.text._ZN7rocprim17ROCPRIM_400000_NS6detail17trampoline_kernelINS0_13kernel_configILj256ELj4ELj4294967295EEENS1_37radix_sort_block_sort_config_selectorItNS0_10empty_typeEEEZNS1_21radix_sort_block_sortIS4_Lb0EN6thrust23THRUST_200600_302600_NS6detail15normal_iteratorINSA_10device_ptrItEEEESF_PS6_SG_NS0_19identity_decomposerEEE10hipError_tT1_T2_T3_T4_jRjT5_jjP12ihipStream_tbEUlT_E_NS1_11comp_targetILNS1_3genE5ELNS1_11target_archE942ELNS1_3gpuE9ELNS1_3repE0EEENS1_44radix_sort_block_sort_config_static_selectorELNS0_4arch9wavefront6targetE1EEEvSJ_,"axG",@progbits,_ZN7rocprim17ROCPRIM_400000_NS6detail17trampoline_kernelINS0_13kernel_configILj256ELj4ELj4294967295EEENS1_37radix_sort_block_sort_config_selectorItNS0_10empty_typeEEEZNS1_21radix_sort_block_sortIS4_Lb0EN6thrust23THRUST_200600_302600_NS6detail15normal_iteratorINSA_10device_ptrItEEEESF_PS6_SG_NS0_19identity_decomposerEEE10hipError_tT1_T2_T3_T4_jRjT5_jjP12ihipStream_tbEUlT_E_NS1_11comp_targetILNS1_3genE5ELNS1_11target_archE942ELNS1_3gpuE9ELNS1_3repE0EEENS1_44radix_sort_block_sort_config_static_selectorELNS0_4arch9wavefront6targetE1EEEvSJ_,comdat
	.protected	_ZN7rocprim17ROCPRIM_400000_NS6detail17trampoline_kernelINS0_13kernel_configILj256ELj4ELj4294967295EEENS1_37radix_sort_block_sort_config_selectorItNS0_10empty_typeEEEZNS1_21radix_sort_block_sortIS4_Lb0EN6thrust23THRUST_200600_302600_NS6detail15normal_iteratorINSA_10device_ptrItEEEESF_PS6_SG_NS0_19identity_decomposerEEE10hipError_tT1_T2_T3_T4_jRjT5_jjP12ihipStream_tbEUlT_E_NS1_11comp_targetILNS1_3genE5ELNS1_11target_archE942ELNS1_3gpuE9ELNS1_3repE0EEENS1_44radix_sort_block_sort_config_static_selectorELNS0_4arch9wavefront6targetE1EEEvSJ_ ; -- Begin function _ZN7rocprim17ROCPRIM_400000_NS6detail17trampoline_kernelINS0_13kernel_configILj256ELj4ELj4294967295EEENS1_37radix_sort_block_sort_config_selectorItNS0_10empty_typeEEEZNS1_21radix_sort_block_sortIS4_Lb0EN6thrust23THRUST_200600_302600_NS6detail15normal_iteratorINSA_10device_ptrItEEEESF_PS6_SG_NS0_19identity_decomposerEEE10hipError_tT1_T2_T3_T4_jRjT5_jjP12ihipStream_tbEUlT_E_NS1_11comp_targetILNS1_3genE5ELNS1_11target_archE942ELNS1_3gpuE9ELNS1_3repE0EEENS1_44radix_sort_block_sort_config_static_selectorELNS0_4arch9wavefront6targetE1EEEvSJ_
	.globl	_ZN7rocprim17ROCPRIM_400000_NS6detail17trampoline_kernelINS0_13kernel_configILj256ELj4ELj4294967295EEENS1_37radix_sort_block_sort_config_selectorItNS0_10empty_typeEEEZNS1_21radix_sort_block_sortIS4_Lb0EN6thrust23THRUST_200600_302600_NS6detail15normal_iteratorINSA_10device_ptrItEEEESF_PS6_SG_NS0_19identity_decomposerEEE10hipError_tT1_T2_T3_T4_jRjT5_jjP12ihipStream_tbEUlT_E_NS1_11comp_targetILNS1_3genE5ELNS1_11target_archE942ELNS1_3gpuE9ELNS1_3repE0EEENS1_44radix_sort_block_sort_config_static_selectorELNS0_4arch9wavefront6targetE1EEEvSJ_
	.p2align	8
	.type	_ZN7rocprim17ROCPRIM_400000_NS6detail17trampoline_kernelINS0_13kernel_configILj256ELj4ELj4294967295EEENS1_37radix_sort_block_sort_config_selectorItNS0_10empty_typeEEEZNS1_21radix_sort_block_sortIS4_Lb0EN6thrust23THRUST_200600_302600_NS6detail15normal_iteratorINSA_10device_ptrItEEEESF_PS6_SG_NS0_19identity_decomposerEEE10hipError_tT1_T2_T3_T4_jRjT5_jjP12ihipStream_tbEUlT_E_NS1_11comp_targetILNS1_3genE5ELNS1_11target_archE942ELNS1_3gpuE9ELNS1_3repE0EEENS1_44radix_sort_block_sort_config_static_selectorELNS0_4arch9wavefront6targetE1EEEvSJ_,@function
_ZN7rocprim17ROCPRIM_400000_NS6detail17trampoline_kernelINS0_13kernel_configILj256ELj4ELj4294967295EEENS1_37radix_sort_block_sort_config_selectorItNS0_10empty_typeEEEZNS1_21radix_sort_block_sortIS4_Lb0EN6thrust23THRUST_200600_302600_NS6detail15normal_iteratorINSA_10device_ptrItEEEESF_PS6_SG_NS0_19identity_decomposerEEE10hipError_tT1_T2_T3_T4_jRjT5_jjP12ihipStream_tbEUlT_E_NS1_11comp_targetILNS1_3genE5ELNS1_11target_archE942ELNS1_3gpuE9ELNS1_3repE0EEENS1_44radix_sort_block_sort_config_static_selectorELNS0_4arch9wavefront6targetE1EEEvSJ_: ; @_ZN7rocprim17ROCPRIM_400000_NS6detail17trampoline_kernelINS0_13kernel_configILj256ELj4ELj4294967295EEENS1_37radix_sort_block_sort_config_selectorItNS0_10empty_typeEEEZNS1_21radix_sort_block_sortIS4_Lb0EN6thrust23THRUST_200600_302600_NS6detail15normal_iteratorINSA_10device_ptrItEEEESF_PS6_SG_NS0_19identity_decomposerEEE10hipError_tT1_T2_T3_T4_jRjT5_jjP12ihipStream_tbEUlT_E_NS1_11comp_targetILNS1_3genE5ELNS1_11target_archE942ELNS1_3gpuE9ELNS1_3repE0EEENS1_44radix_sort_block_sort_config_static_selectorELNS0_4arch9wavefront6targetE1EEEvSJ_
; %bb.0:
	s_load_dword s6, s[0:1], 0x20
	s_load_dwordx4 s[28:31], s[0:1], 0x0
	s_lshl_b32 s4, s2, 10
	s_mov_b32 s5, 0
	v_mbcnt_lo_u32_b32 v1, -1, 0
	s_waitcnt lgkmcnt(0)
	s_lshr_b32 s3, s6, 10
	s_cmp_lg_u32 s2, s3
	v_and_b32_e32 v4, 0x3ff, v0
	s_cselect_b64 s[34:35], -1, 0
	s_lshl_b64 s[36:37], s[4:5], 1
	v_mbcnt_hi_u32_b32 v1, -1, v1
	s_add_u32 s8, s28, s36
	v_and_b32_e32 v2, 63, v1
	v_lshlrev_b32_e32 v5, 2, v4
	s_addc_u32 s9, s29, s37
	v_and_b32_e32 v3, 0x300, v5
	v_lshlrev_b32_e32 v6, 1, v2
	v_mov_b32_e32 v7, 0
	v_lshl_add_u64 v[8:9], s[8:9], 0, v[6:7]
	v_lshlrev_b32_e32 v6, 1, v3
	s_cmp_eq_u32 s2, s3
	v_lshl_add_u64 v[6:7], v[8:9], 0, v[6:7]
	v_or_b32_e32 v9, v2, v3
	s_cbranch_scc1 .LBB1189_2
; %bb.1:
	global_load_ushort v13, v[6:7], off offset:256
	global_load_ushort v14, v[6:7], off offset:384
	global_load_ushort v15, v[6:7], off
	global_load_ushort v16, v[6:7], off offset:128
	s_mov_b32 s2, 0x5040100
	v_or_b32_e32 v12, v2, v3
	v_or_b32_e32 v8, 64, v12
	;; [unrolled: 1-line block ×4, first 2 shown]
	s_waitcnt vmcnt(2)
	v_perm_b32 v3, v14, v13, s2
	s_waitcnt vmcnt(0)
	v_perm_b32 v2, v16, v15, s2
	s_load_dwordx2 s[28:29], s[0:1], 0x28
	s_sub_i32 s33, s6, s4
	s_cbranch_execz .LBB1189_3
	s_branch .LBB1189_12
.LBB1189_2:
                                        ; implicit-def: $vgpr2_vgpr3
                                        ; implicit-def: $vgpr12
                                        ; implicit-def: $vgpr8
                                        ; implicit-def: $vgpr10
                                        ; implicit-def: $vgpr11
	s_load_dwordx2 s[28:29], s[0:1], 0x28
	s_sub_i32 s33, s6, s4
.LBB1189_3:
	s_mov_b32 s2, -1
	s_mov_b32 s3, s2
	v_cmp_gt_u32_e32 vcc, s33, v9
	v_mov_b64_e32 v[2:3], s[2:3]
	s_and_saveexec_b64 s[2:3], vcc
	s_cbranch_execz .LBB1189_5
; %bb.4:
	global_load_ushort v2, v[6:7], off
	v_mov_b32_e32 v3, 0x5040100
	s_waitcnt vmcnt(0)
	v_perm_b32 v2, -1, v2, v3
	v_mov_b32_e32 v3, -1
.LBB1189_5:
	s_or_b64 exec, exec, s[2:3]
	v_or_b32_e32 v8, 64, v9
	v_cmp_gt_u32_e32 vcc, s33, v8
	s_and_saveexec_b64 s[2:3], vcc
	s_cbranch_execz .LBB1189_7
; %bb.6:
	global_load_ushort v10, v[6:7], off offset:128
	s_mov_b32 s4, 0x5040100
	s_waitcnt vmcnt(0)
	v_perm_b32 v2, v10, v2, s4
.LBB1189_7:
	s_or_b64 exec, exec, s[2:3]
	v_or_b32_e32 v10, 0x80, v9
	v_cmp_gt_u32_e32 vcc, s33, v10
	s_and_saveexec_b64 s[2:3], vcc
	s_cbranch_execz .LBB1189_9
; %bb.8:
	global_load_ushort v11, v[6:7], off offset:256
	s_mov_b32 s4, 0xffff
	s_waitcnt vmcnt(0)
	v_bfi_b32 v3, s4, v11, v3
.LBB1189_9:
	s_or_b64 exec, exec, s[2:3]
	v_or_b32_e32 v11, 0xc0, v9
	v_cmp_gt_u32_e32 vcc, s33, v11
	s_and_saveexec_b64 s[2:3], vcc
	s_cbranch_execz .LBB1189_11
; %bb.10:
	global_load_ushort v6, v[6:7], off offset:384
	s_mov_b32 s4, 0x5040100
	s_waitcnt vmcnt(0)
	v_perm_b32 v3, v6, v3, s4
.LBB1189_11:
	s_or_b64 exec, exec, s[2:3]
	v_mov_b32_e32 v12, v9
.LBB1189_12:
	s_load_dword s2, s[0:1], 0x3c
	s_waitcnt lgkmcnt(0)
	s_add_i32 s38, s29, s28
	s_getpc_b64 s[0:1]
	s_add_u32 s0, s0, _ZN7rocprim17ROCPRIM_400000_NS16block_radix_sortItLj256ELj4ENS0_10empty_typeELj1ELj1ELj0ELNS0_26block_radix_rank_algorithmE1ELNS0_18block_padding_hintE2ELNS0_4arch9wavefront6targetE1EE19radix_bits_per_passE@rel32@lo+4
	s_addc_u32 s1, s1, _ZN7rocprim17ROCPRIM_400000_NS16block_radix_sortItLj256ELj4ENS0_10empty_typeELj1ELj1ELj0ELNS0_26block_radix_rank_algorithmE1ELNS0_18block_padding_hintE2ELNS0_4arch9wavefront6targetE1EE19radix_bits_per_passE@rel32@hi+12
	s_load_dword s39, s[0:1], 0x0
	v_bfe_u32 v6, v0, 10, 10
	s_lshr_b32 s0, s2, 16
	v_bfe_u32 v0, v0, 20, 10
	s_and_b32 s1, s2, 0xffff
	v_mad_u32_u24 v0, v0, s0, v6
	v_mad_u64_u32 v[6:7], s[0:1], v0, s1, v[4:5]
	v_and_b32_e32 v0, 15, v1
	v_cmp_eq_u32_e64 s[0:1], 0, v0
	v_cmp_lt_u32_e64 s[2:3], 1, v0
	v_cmp_lt_u32_e64 s[4:5], 3, v0
	;; [unrolled: 1-line block ×3, first 2 shown]
	v_and_b32_e32 v0, 16, v1
	v_cmp_eq_u32_e64 s[8:9], 0, v0
	v_and_b32_e32 v0, 0x3c0, v4
	v_min_u32_e32 v0, 0xc0, v0
	v_or_b32_e32 v0, 63, v0
	v_lshrrev_b32_e32 v14, 6, v6
	v_cmp_eq_u32_e64 s[12:13], v0, v4
	v_add_u32_e32 v0, -1, v1
	v_and_b32_e32 v6, 64, v1
	v_cmp_lt_i32_e32 vcc, v0, v6
	s_mov_b32 s26, 0
	v_lshlrev_b32_e32 v5, 2, v5
	v_cndmask_b32_e32 v0, v0, v1, vcc
	v_lshlrev_b32_e32 v15, 2, v0
	v_lshrrev_b32_e32 v0, 4, v4
	v_cmp_lt_u32_e64 s[10:11], 31, v1
	v_cmp_eq_u32_e64 s[18:19], 0, v1
	v_and_b32_e32 v16, 60, v0
	v_mul_i32_i24_e32 v0, -12, v4
	v_and_b32_e32 v1, 3, v1
	s_mov_b32 s27, s26
	s_mov_b32 s40, s26
	;; [unrolled: 1-line block ×3, first 2 shown]
	v_cmp_gt_u32_e64 s[14:15], 4, v4
	v_cmp_lt_u32_e64 s[16:17], 63, v4
	v_cmp_eq_u32_e64 s[20:21], 0, v4
	v_cmp_eq_u32_e64 s[22:23], 0, v1
	v_cmp_lt_u32_e64 s[24:25], 1, v1
	v_add_u32_e32 v17, -4, v16
	v_lshlrev_b32_e32 v18, 1, v12
	v_lshlrev_b32_e32 v19, 1, v8
	;; [unrolled: 1-line block ×4, first 2 shown]
	v_mov_b64_e32 v[6:7], s[26:27]
	v_mov_b64_e32 v[8:9], s[40:41]
	v_add_u32_e32 v22, v5, v0
	s_mov_b32 s40, 0x5040100
	v_mov_b32_e32 v13, 0
	s_branch .LBB1189_14
.LBB1189_13:                            ;   in Loop: Header=BB1189_14 Depth=1
	s_barrier
	ds_write_b16 v0, v10
	ds_write_b16 v1, v24
	;; [unrolled: 1-line block ×4, first 2 shown]
	s_waitcnt lgkmcnt(0)
	s_barrier
	ds_read_u16 v2, v20
	ds_read_u16 v3, v21
	;; [unrolled: 1-line block ×4, first 2 shown]
	s_add_i32 s29, s29, -8
	s_waitcnt lgkmcnt(2)
	v_perm_b32 v3, v3, v2, s40
	s_waitcnt lgkmcnt(0)
	v_perm_b32 v2, v26, v25, s40
	s_barrier
	s_cbranch_execz .LBB1189_30
.LBB1189_14:                            ; =>This Inner Loop Header: Depth=1
	s_waitcnt lgkmcnt(0)
	s_min_u32 s26, s39, s29
	v_mov_b64_e32 v[10:11], v[2:3]
	s_lshl_b32 s26, -1, s26
	s_not_b32 s41, s26
	v_lshrrev_b32_sdwa v0, s28, v10 dst_sel:DWORD dst_unused:UNUSED_PAD src0_sel:DWORD src1_sel:WORD_0
	v_and_b32_e32 v2, s41, v0
	v_lshl_add_u32 v0, v2, 2, v14
	v_and_b32_e32 v12, 1, v2
	v_lshl_add_u32 v23, v0, 2, 16
	v_lshl_add_u64 v[0:1], v[12:13], 0, -1
	v_cmp_ne_u32_e32 vcc, 0, v12
	ds_write2_b64 v5, v[6:7], v[8:9] offset0:2 offset1:3
	s_waitcnt lgkmcnt(0)
	v_xor_b32_e32 v1, vcc_hi, v1
	v_xor_b32_e32 v0, vcc_lo, v0
	v_and_b32_e32 v3, exec_hi, v1
	v_and_b32_e32 v12, exec_lo, v0
	v_lshlrev_b32_e32 v1, 30, v2
	v_mov_b32_e32 v0, v13
	v_cmp_gt_i64_e32 vcc, 0, v[0:1]
	v_not_b32_e32 v0, v1
	v_ashrrev_i32_e32 v0, 31, v0
	v_xor_b32_e32 v1, vcc_hi, v0
	v_xor_b32_e32 v0, vcc_lo, v0
	v_and_b32_e32 v3, v3, v1
	v_and_b32_e32 v12, v12, v0
	v_lshlrev_b32_e32 v1, 29, v2
	v_mov_b32_e32 v0, v13
	v_cmp_gt_i64_e32 vcc, 0, v[0:1]
	v_not_b32_e32 v0, v1
	v_ashrrev_i32_e32 v0, 31, v0
	v_xor_b32_e32 v1, vcc_hi, v0
	v_xor_b32_e32 v0, vcc_lo, v0
	v_and_b32_e32 v3, v3, v1
	v_and_b32_e32 v12, v12, v0
	;; [unrolled: 9-line block ×7, first 2 shown]
	v_mbcnt_lo_u32_b32 v2, v0, 0
	v_mbcnt_hi_u32_b32 v25, v1, v2
	v_cmp_eq_u32_e32 vcc, 0, v25
	v_cmp_ne_u64_e64 s[26:27], 0, v[0:1]
	s_and_b64 s[42:43], s[26:27], vcc
	s_barrier
	s_waitcnt lgkmcnt(0)
	; wave barrier
	s_and_saveexec_b64 s[26:27], s[42:43]
	s_cbranch_execz .LBB1189_16
; %bb.15:                               ;   in Loop: Header=BB1189_14 Depth=1
	v_bcnt_u32_b32 v0, v0, 0
	v_bcnt_u32_b32 v0, v1, v0
	ds_write_b32 v23, v0
.LBB1189_16:                            ;   in Loop: Header=BB1189_14 Depth=1
	s_or_b64 exec, exec, s[26:27]
	v_lshrrev_b32_e32 v24, 16, v10
	v_lshrrev_b32_e32 v0, s28, v24
	v_and_b32_e32 v2, s41, v0
	v_lshlrev_b32_e32 v0, 2, v2
	v_add_lshl_u32 v0, v0, v14, 2
	v_and_b32_e32 v12, 1, v2
	; wave barrier
	v_add_u32_e32 v27, 16, v0
	ds_read_b32 v26, v0 offset:16
	v_lshl_add_u64 v[0:1], v[12:13], 0, -1
	v_cmp_ne_u32_e32 vcc, 0, v12
	; wave barrier
	s_nop 1
	v_xor_b32_e32 v1, vcc_hi, v1
	v_xor_b32_e32 v0, vcc_lo, v0
	v_and_b32_e32 v3, exec_hi, v1
	v_and_b32_e32 v12, exec_lo, v0
	v_lshlrev_b32_e32 v1, 30, v2
	v_mov_b32_e32 v0, v13
	v_cmp_gt_i64_e32 vcc, 0, v[0:1]
	v_not_b32_e32 v0, v1
	v_ashrrev_i32_e32 v0, 31, v0
	v_xor_b32_e32 v1, vcc_hi, v0
	v_xor_b32_e32 v0, vcc_lo, v0
	v_and_b32_e32 v3, v3, v1
	v_and_b32_e32 v12, v12, v0
	v_lshlrev_b32_e32 v1, 29, v2
	v_mov_b32_e32 v0, v13
	v_cmp_gt_i64_e32 vcc, 0, v[0:1]
	v_not_b32_e32 v0, v1
	v_ashrrev_i32_e32 v0, 31, v0
	v_xor_b32_e32 v1, vcc_hi, v0
	v_xor_b32_e32 v0, vcc_lo, v0
	v_and_b32_e32 v3, v3, v1
	v_and_b32_e32 v12, v12, v0
	;; [unrolled: 9-line block ×7, first 2 shown]
	v_mbcnt_lo_u32_b32 v2, v0, 0
	v_mbcnt_hi_u32_b32 v28, v1, v2
	v_cmp_eq_u32_e32 vcc, 0, v28
	v_cmp_ne_u64_e64 s[26:27], 0, v[0:1]
	s_and_b64 s[42:43], s[26:27], vcc
	s_and_saveexec_b64 s[26:27], s[42:43]
	s_cbranch_execz .LBB1189_18
; %bb.17:                               ;   in Loop: Header=BB1189_14 Depth=1
	v_bcnt_u32_b32 v0, v0, 0
	v_bcnt_u32_b32 v0, v1, v0
	s_waitcnt lgkmcnt(0)
	v_add_u32_e32 v0, v26, v0
	ds_write_b32 v27, v0
.LBB1189_18:                            ;   in Loop: Header=BB1189_14 Depth=1
	s_or_b64 exec, exec, s[26:27]
	v_lshrrev_b32_sdwa v0, s28, v11 dst_sel:DWORD dst_unused:UNUSED_PAD src0_sel:DWORD src1_sel:WORD_0
	v_and_b32_e32 v2, s41, v0
	v_lshlrev_b32_e32 v0, 2, v2
	v_add_lshl_u32 v0, v0, v14, 2
	v_and_b32_e32 v12, 1, v2
	; wave barrier
	v_add_u32_e32 v30, 16, v0
	ds_read_b32 v29, v0 offset:16
	v_lshl_add_u64 v[0:1], v[12:13], 0, -1
	v_cmp_ne_u32_e32 vcc, 0, v12
	; wave barrier
	s_nop 1
	v_xor_b32_e32 v1, vcc_hi, v1
	v_xor_b32_e32 v0, vcc_lo, v0
	v_and_b32_e32 v3, exec_hi, v1
	v_and_b32_e32 v12, exec_lo, v0
	v_lshlrev_b32_e32 v1, 30, v2
	v_mov_b32_e32 v0, v13
	v_cmp_gt_i64_e32 vcc, 0, v[0:1]
	v_not_b32_e32 v0, v1
	v_ashrrev_i32_e32 v0, 31, v0
	v_xor_b32_e32 v1, vcc_hi, v0
	v_xor_b32_e32 v0, vcc_lo, v0
	v_and_b32_e32 v3, v3, v1
	v_and_b32_e32 v12, v12, v0
	v_lshlrev_b32_e32 v1, 29, v2
	v_mov_b32_e32 v0, v13
	v_cmp_gt_i64_e32 vcc, 0, v[0:1]
	v_not_b32_e32 v0, v1
	v_ashrrev_i32_e32 v0, 31, v0
	v_xor_b32_e32 v1, vcc_hi, v0
	v_xor_b32_e32 v0, vcc_lo, v0
	v_and_b32_e32 v3, v3, v1
	v_and_b32_e32 v12, v12, v0
	;; [unrolled: 9-line block ×7, first 2 shown]
	v_mbcnt_lo_u32_b32 v2, v0, 0
	v_mbcnt_hi_u32_b32 v32, v1, v2
	v_cmp_eq_u32_e32 vcc, 0, v32
	v_cmp_ne_u64_e64 s[26:27], 0, v[0:1]
	s_and_b64 s[42:43], s[26:27], vcc
	s_and_saveexec_b64 s[26:27], s[42:43]
	s_cbranch_execz .LBB1189_20
; %bb.19:                               ;   in Loop: Header=BB1189_14 Depth=1
	v_bcnt_u32_b32 v0, v0, 0
	v_bcnt_u32_b32 v0, v1, v0
	s_waitcnt lgkmcnt(0)
	v_add_u32_e32 v0, v29, v0
	ds_write_b32 v30, v0
.LBB1189_20:                            ;   in Loop: Header=BB1189_14 Depth=1
	s_or_b64 exec, exec, s[26:27]
	v_lshrrev_b32_e32 v31, 16, v11
	v_lshrrev_b32_e32 v0, s28, v31
	v_and_b32_e32 v2, s41, v0
	v_lshlrev_b32_e32 v0, 2, v2
	v_add_lshl_u32 v0, v0, v14, 2
	v_and_b32_e32 v12, 1, v2
	; wave barrier
	v_add_u32_e32 v34, 16, v0
	ds_read_b32 v33, v0 offset:16
	v_lshl_add_u64 v[0:1], v[12:13], 0, -1
	v_cmp_ne_u32_e32 vcc, 0, v12
	; wave barrier
	s_nop 1
	v_xor_b32_e32 v1, vcc_hi, v1
	v_xor_b32_e32 v0, vcc_lo, v0
	v_and_b32_e32 v3, exec_hi, v1
	v_and_b32_e32 v12, exec_lo, v0
	v_lshlrev_b32_e32 v1, 30, v2
	v_mov_b32_e32 v0, v13
	v_cmp_gt_i64_e32 vcc, 0, v[0:1]
	v_not_b32_e32 v0, v1
	v_ashrrev_i32_e32 v0, 31, v0
	v_xor_b32_e32 v1, vcc_hi, v0
	v_xor_b32_e32 v0, vcc_lo, v0
	v_and_b32_e32 v3, v3, v1
	v_and_b32_e32 v12, v12, v0
	v_lshlrev_b32_e32 v1, 29, v2
	v_mov_b32_e32 v0, v13
	v_cmp_gt_i64_e32 vcc, 0, v[0:1]
	v_not_b32_e32 v0, v1
	v_ashrrev_i32_e32 v0, 31, v0
	v_xor_b32_e32 v1, vcc_hi, v0
	v_xor_b32_e32 v0, vcc_lo, v0
	v_and_b32_e32 v3, v3, v1
	v_and_b32_e32 v12, v12, v0
	v_lshlrev_b32_e32 v1, 28, v2
	v_mov_b32_e32 v0, v13
	v_cmp_gt_i64_e32 vcc, 0, v[0:1]
	v_not_b32_e32 v0, v1
	v_ashrrev_i32_e32 v0, 31, v0
	v_xor_b32_e32 v1, vcc_hi, v0
	v_xor_b32_e32 v0, vcc_lo, v0
	v_and_b32_e32 v3, v3, v1
	v_and_b32_e32 v12, v12, v0
	v_lshlrev_b32_e32 v1, 27, v2
	v_mov_b32_e32 v0, v13
	v_cmp_gt_i64_e32 vcc, 0, v[0:1]
	v_not_b32_e32 v0, v1
	v_ashrrev_i32_e32 v0, 31, v0
	v_xor_b32_e32 v1, vcc_hi, v0
	v_xor_b32_e32 v0, vcc_lo, v0
	v_and_b32_e32 v3, v3, v1
	v_and_b32_e32 v12, v12, v0
	v_lshlrev_b32_e32 v1, 26, v2
	v_mov_b32_e32 v0, v13
	v_cmp_gt_i64_e32 vcc, 0, v[0:1]
	v_not_b32_e32 v0, v1
	v_ashrrev_i32_e32 v0, 31, v0
	v_xor_b32_e32 v1, vcc_hi, v0
	v_xor_b32_e32 v0, vcc_lo, v0
	v_and_b32_e32 v3, v3, v1
	v_and_b32_e32 v12, v12, v0
	v_lshlrev_b32_e32 v1, 25, v2
	v_mov_b32_e32 v0, v13
	v_cmp_gt_i64_e32 vcc, 0, v[0:1]
	v_not_b32_e32 v0, v1
	v_ashrrev_i32_e32 v0, 31, v0
	v_xor_b32_e32 v1, vcc_hi, v0
	v_xor_b32_e32 v0, vcc_lo, v0
	v_and_b32_e32 v3, v3, v1
	v_and_b32_e32 v12, v12, v0
	v_lshlrev_b32_e32 v1, 24, v2
	v_mov_b32_e32 v0, v13
	v_cmp_gt_i64_e32 vcc, 0, v[0:1]
	v_not_b32_e32 v0, v1
	v_ashrrev_i32_e32 v0, 31, v0
	v_xor_b32_e32 v1, vcc_hi, v0
	v_xor_b32_e32 v0, vcc_lo, v0
	v_and_b32_e32 v0, v12, v0
	v_and_b32_e32 v1, v3, v1
	v_mbcnt_lo_u32_b32 v2, v0, 0
	v_mbcnt_hi_u32_b32 v12, v1, v2
	v_cmp_eq_u32_e32 vcc, 0, v12
	v_cmp_ne_u64_e64 s[26:27], 0, v[0:1]
	s_and_b64 s[42:43], s[26:27], vcc
	s_and_saveexec_b64 s[26:27], s[42:43]
	s_cbranch_execz .LBB1189_22
; %bb.21:                               ;   in Loop: Header=BB1189_14 Depth=1
	v_bcnt_u32_b32 v0, v0, 0
	v_bcnt_u32_b32 v0, v1, v0
	s_waitcnt lgkmcnt(0)
	v_add_u32_e32 v0, v33, v0
	ds_write_b32 v34, v0
.LBB1189_22:                            ;   in Loop: Header=BB1189_14 Depth=1
	s_or_b64 exec, exec, s[26:27]
	; wave barrier
	s_waitcnt lgkmcnt(0)
	s_barrier
	ds_read2_b64 v[0:3], v5 offset0:2 offset1:3
	s_waitcnt lgkmcnt(0)
	v_add_u32_e32 v35, v1, v0
	v_add3_u32 v3, v35, v2, v3
	s_nop 1
	v_mov_b32_dpp v35, v3 row_shr:1 row_mask:0xf bank_mask:0xf
	v_cndmask_b32_e64 v35, v35, 0, s[0:1]
	v_add_u32_e32 v3, v35, v3
	s_nop 1
	v_mov_b32_dpp v35, v3 row_shr:2 row_mask:0xf bank_mask:0xf
	v_cndmask_b32_e64 v35, 0, v35, s[2:3]
	v_add_u32_e32 v3, v3, v35
	;; [unrolled: 4-line block ×4, first 2 shown]
	s_nop 1
	v_mov_b32_dpp v35, v3 row_bcast:15 row_mask:0xf bank_mask:0xf
	v_cndmask_b32_e64 v35, v35, 0, s[8:9]
	v_add_u32_e32 v3, v3, v35
	s_nop 1
	v_mov_b32_dpp v35, v3 row_bcast:31 row_mask:0xf bank_mask:0xf
	v_cndmask_b32_e64 v35, 0, v35, s[10:11]
	v_add_u32_e32 v3, v3, v35
	s_and_saveexec_b64 s[26:27], s[12:13]
	s_cbranch_execz .LBB1189_24
; %bb.23:                               ;   in Loop: Header=BB1189_14 Depth=1
	ds_write_b32 v16, v3
.LBB1189_24:                            ;   in Loop: Header=BB1189_14 Depth=1
	s_or_b64 exec, exec, s[26:27]
	s_waitcnt lgkmcnt(0)
	s_barrier
	s_and_saveexec_b64 s[26:27], s[14:15]
	s_cbranch_execz .LBB1189_26
; %bb.25:                               ;   in Loop: Header=BB1189_14 Depth=1
	ds_read_b32 v35, v22
	s_waitcnt lgkmcnt(0)
	s_nop 0
	v_mov_b32_dpp v36, v35 row_shr:1 row_mask:0xf bank_mask:0xf
	v_cndmask_b32_e64 v36, v36, 0, s[22:23]
	v_add_u32_e32 v35, v36, v35
	s_nop 1
	v_mov_b32_dpp v36, v35 row_shr:2 row_mask:0xf bank_mask:0xf
	v_cndmask_b32_e64 v36, 0, v36, s[24:25]
	v_add_u32_e32 v35, v35, v36
	ds_write_b32 v22, v35
.LBB1189_26:                            ;   in Loop: Header=BB1189_14 Depth=1
	s_or_b64 exec, exec, s[26:27]
	v_mov_b32_e32 v35, 0
	s_waitcnt lgkmcnt(0)
	s_barrier
	s_and_saveexec_b64 s[26:27], s[16:17]
	s_cbranch_execz .LBB1189_28
; %bb.27:                               ;   in Loop: Header=BB1189_14 Depth=1
	ds_read_b32 v35, v17
.LBB1189_28:                            ;   in Loop: Header=BB1189_14 Depth=1
	s_or_b64 exec, exec, s[26:27]
	s_waitcnt lgkmcnt(0)
	v_add_u32_e32 v3, v35, v3
	ds_bpermute_b32 v3, v15, v3
	s_add_i32 s28, s28, 8
	s_cmp_ge_u32 s28, s38
	s_waitcnt lgkmcnt(0)
	v_cndmask_b32_e64 v3, v3, v35, s[18:19]
	v_cndmask_b32_e64 v36, v3, 0, s[20:21]
	v_add_u32_e32 v37, v36, v0
	v_add_u32_e32 v0, v37, v1
	v_add_u32_e32 v1, v0, v2
	ds_write2_b64 v5, v[36:37], v[0:1] offset0:2 offset1:3
	s_waitcnt lgkmcnt(0)
	s_barrier
	ds_read_b32 v0, v23
	ds_read_b32 v1, v27
	;; [unrolled: 1-line block ×4, first 2 shown]
	v_lshlrev_b32_e32 v23, 1, v25
	s_waitcnt lgkmcnt(3)
	v_lshl_add_u32 v0, v0, 1, v23
	v_lshlrev_b32_e32 v23, 1, v28
	v_lshlrev_b32_e32 v25, 1, v26
	s_waitcnt lgkmcnt(2)
	v_lshlrev_b32_e32 v1, 1, v1
	v_add3_u32 v1, v23, v25, v1
	v_lshlrev_b32_e32 v23, 1, v32
	v_lshlrev_b32_e32 v25, 1, v29
	s_waitcnt lgkmcnt(1)
	v_lshlrev_b32_e32 v2, 1, v2
	v_add3_u32 v23, v23, v25, v2
	;; [unrolled: 5-line block ×3, first 2 shown]
	s_cbranch_scc0 .LBB1189_13
; %bb.29:
                                        ; implicit-def: $sgpr28
                                        ; implicit-def: $vgpr2_vgpr3
.LBB1189_30:
	s_barrier
	ds_write_b16 v0, v10
	ds_write_b16 v1, v24
	;; [unrolled: 1-line block ×4, first 2 shown]
	v_lshlrev_b32_e32 v0, 1, v4
	s_waitcnt lgkmcnt(0)
	s_barrier
	ds_read_u16 v6, v0
	ds_read_u16 v5, v0 offset:512
	ds_read_u16 v3, v0 offset:1024
	;; [unrolled: 1-line block ×3, first 2 shown]
	s_add_u32 s0, s30, s36
	s_addc_u32 s1, s31, s37
	v_mov_b32_e32 v1, 0
	s_andn2_b64 vcc, exec, s[34:35]
	v_lshl_add_u64 v[0:1], s[0:1], 0, v[0:1]
	s_cbranch_vccnz .LBB1189_32
; %bb.31:
	s_mov_b64 s[0:1], -1
	s_waitcnt lgkmcnt(3)
	global_store_short v[0:1], v6, off
	s_waitcnt lgkmcnt(2)
	global_store_short v[0:1], v5, off offset:512
	s_waitcnt lgkmcnt(1)
	global_store_short v[0:1], v3, off offset:1024
	s_cbranch_execz .LBB1189_33
	s_branch .LBB1189_40
.LBB1189_32:
	s_mov_b64 s[0:1], 0
.LBB1189_33:
	v_cmp_gt_u32_e32 vcc, s33, v4
	s_and_saveexec_b64 s[0:1], vcc
	s_cbranch_execz .LBB1189_35
; %bb.34:
	s_waitcnt lgkmcnt(3)
	global_store_short v[0:1], v6, off
.LBB1189_35:
	s_or_b64 exec, exec, s[0:1]
	s_waitcnt lgkmcnt(3)
	v_add_u32_e32 v6, 0x100, v4
	v_cmp_gt_u32_e32 vcc, s33, v6
	s_and_saveexec_b64 s[0:1], vcc
	s_cbranch_execz .LBB1189_37
; %bb.36:
	s_waitcnt lgkmcnt(2)
	global_store_short v[0:1], v5, off offset:512
.LBB1189_37:
	s_or_b64 exec, exec, s[0:1]
	s_waitcnt lgkmcnt(2)
	v_add_u32_e32 v5, 0x200, v4
	v_cmp_gt_u32_e32 vcc, s33, v5
	s_and_saveexec_b64 s[0:1], vcc
	s_cbranch_execz .LBB1189_39
; %bb.38:
	s_waitcnt lgkmcnt(1)
	global_store_short v[0:1], v3, off offset:1024
.LBB1189_39:
	s_or_b64 exec, exec, s[0:1]
	s_waitcnt lgkmcnt(1)
	v_add_u32_e32 v3, 0x300, v4
	v_cmp_gt_u32_e64 s[0:1], s33, v3
.LBB1189_40:
	s_and_saveexec_b64 s[2:3], s[0:1]
	s_cbranch_execnz .LBB1189_42
; %bb.41:
	s_endpgm
.LBB1189_42:
	s_waitcnt lgkmcnt(0)
	global_store_short v[0:1], v2, off offset:1536
	s_endpgm
	.section	.rodata,"a",@progbits
	.p2align	6, 0x0
	.amdhsa_kernel _ZN7rocprim17ROCPRIM_400000_NS6detail17trampoline_kernelINS0_13kernel_configILj256ELj4ELj4294967295EEENS1_37radix_sort_block_sort_config_selectorItNS0_10empty_typeEEEZNS1_21radix_sort_block_sortIS4_Lb0EN6thrust23THRUST_200600_302600_NS6detail15normal_iteratorINSA_10device_ptrItEEEESF_PS6_SG_NS0_19identity_decomposerEEE10hipError_tT1_T2_T3_T4_jRjT5_jjP12ihipStream_tbEUlT_E_NS1_11comp_targetILNS1_3genE5ELNS1_11target_archE942ELNS1_3gpuE9ELNS1_3repE0EEENS1_44radix_sort_block_sort_config_static_selectorELNS0_4arch9wavefront6targetE1EEEvSJ_
		.amdhsa_group_segment_fixed_size 4112
		.amdhsa_private_segment_fixed_size 0
		.amdhsa_kernarg_size 304
		.amdhsa_user_sgpr_count 2
		.amdhsa_user_sgpr_dispatch_ptr 0
		.amdhsa_user_sgpr_queue_ptr 0
		.amdhsa_user_sgpr_kernarg_segment_ptr 1
		.amdhsa_user_sgpr_dispatch_id 0
		.amdhsa_user_sgpr_kernarg_preload_length 0
		.amdhsa_user_sgpr_kernarg_preload_offset 0
		.amdhsa_user_sgpr_private_segment_size 0
		.amdhsa_uses_dynamic_stack 0
		.amdhsa_enable_private_segment 0
		.amdhsa_system_sgpr_workgroup_id_x 1
		.amdhsa_system_sgpr_workgroup_id_y 0
		.amdhsa_system_sgpr_workgroup_id_z 0
		.amdhsa_system_sgpr_workgroup_info 0
		.amdhsa_system_vgpr_workitem_id 2
		.amdhsa_next_free_vgpr 38
		.amdhsa_next_free_sgpr 44
		.amdhsa_accum_offset 40
		.amdhsa_reserve_vcc 1
		.amdhsa_float_round_mode_32 0
		.amdhsa_float_round_mode_16_64 0
		.amdhsa_float_denorm_mode_32 3
		.amdhsa_float_denorm_mode_16_64 3
		.amdhsa_dx10_clamp 1
		.amdhsa_ieee_mode 1
		.amdhsa_fp16_overflow 0
		.amdhsa_tg_split 0
		.amdhsa_exception_fp_ieee_invalid_op 0
		.amdhsa_exception_fp_denorm_src 0
		.amdhsa_exception_fp_ieee_div_zero 0
		.amdhsa_exception_fp_ieee_overflow 0
		.amdhsa_exception_fp_ieee_underflow 0
		.amdhsa_exception_fp_ieee_inexact 0
		.amdhsa_exception_int_div_zero 0
	.end_amdhsa_kernel
	.section	.text._ZN7rocprim17ROCPRIM_400000_NS6detail17trampoline_kernelINS0_13kernel_configILj256ELj4ELj4294967295EEENS1_37radix_sort_block_sort_config_selectorItNS0_10empty_typeEEEZNS1_21radix_sort_block_sortIS4_Lb0EN6thrust23THRUST_200600_302600_NS6detail15normal_iteratorINSA_10device_ptrItEEEESF_PS6_SG_NS0_19identity_decomposerEEE10hipError_tT1_T2_T3_T4_jRjT5_jjP12ihipStream_tbEUlT_E_NS1_11comp_targetILNS1_3genE5ELNS1_11target_archE942ELNS1_3gpuE9ELNS1_3repE0EEENS1_44radix_sort_block_sort_config_static_selectorELNS0_4arch9wavefront6targetE1EEEvSJ_,"axG",@progbits,_ZN7rocprim17ROCPRIM_400000_NS6detail17trampoline_kernelINS0_13kernel_configILj256ELj4ELj4294967295EEENS1_37radix_sort_block_sort_config_selectorItNS0_10empty_typeEEEZNS1_21radix_sort_block_sortIS4_Lb0EN6thrust23THRUST_200600_302600_NS6detail15normal_iteratorINSA_10device_ptrItEEEESF_PS6_SG_NS0_19identity_decomposerEEE10hipError_tT1_T2_T3_T4_jRjT5_jjP12ihipStream_tbEUlT_E_NS1_11comp_targetILNS1_3genE5ELNS1_11target_archE942ELNS1_3gpuE9ELNS1_3repE0EEENS1_44radix_sort_block_sort_config_static_selectorELNS0_4arch9wavefront6targetE1EEEvSJ_,comdat
.Lfunc_end1189:
	.size	_ZN7rocprim17ROCPRIM_400000_NS6detail17trampoline_kernelINS0_13kernel_configILj256ELj4ELj4294967295EEENS1_37radix_sort_block_sort_config_selectorItNS0_10empty_typeEEEZNS1_21radix_sort_block_sortIS4_Lb0EN6thrust23THRUST_200600_302600_NS6detail15normal_iteratorINSA_10device_ptrItEEEESF_PS6_SG_NS0_19identity_decomposerEEE10hipError_tT1_T2_T3_T4_jRjT5_jjP12ihipStream_tbEUlT_E_NS1_11comp_targetILNS1_3genE5ELNS1_11target_archE942ELNS1_3gpuE9ELNS1_3repE0EEENS1_44radix_sort_block_sort_config_static_selectorELNS0_4arch9wavefront6targetE1EEEvSJ_, .Lfunc_end1189-_ZN7rocprim17ROCPRIM_400000_NS6detail17trampoline_kernelINS0_13kernel_configILj256ELj4ELj4294967295EEENS1_37radix_sort_block_sort_config_selectorItNS0_10empty_typeEEEZNS1_21radix_sort_block_sortIS4_Lb0EN6thrust23THRUST_200600_302600_NS6detail15normal_iteratorINSA_10device_ptrItEEEESF_PS6_SG_NS0_19identity_decomposerEEE10hipError_tT1_T2_T3_T4_jRjT5_jjP12ihipStream_tbEUlT_E_NS1_11comp_targetILNS1_3genE5ELNS1_11target_archE942ELNS1_3gpuE9ELNS1_3repE0EEENS1_44radix_sort_block_sort_config_static_selectorELNS0_4arch9wavefront6targetE1EEEvSJ_
                                        ; -- End function
	.section	.AMDGPU.csdata,"",@progbits
; Kernel info:
; codeLenInByte = 3356
; NumSgprs: 50
; NumVgprs: 38
; NumAgprs: 0
; TotalNumVgprs: 38
; ScratchSize: 0
; MemoryBound: 0
; FloatMode: 240
; IeeeMode: 1
; LDSByteSize: 4112 bytes/workgroup (compile time only)
; SGPRBlocks: 6
; VGPRBlocks: 4
; NumSGPRsForWavesPerEU: 50
; NumVGPRsForWavesPerEU: 38
; AccumOffset: 40
; Occupancy: 8
; WaveLimiterHint : 1
; COMPUTE_PGM_RSRC2:SCRATCH_EN: 0
; COMPUTE_PGM_RSRC2:USER_SGPR: 2
; COMPUTE_PGM_RSRC2:TRAP_HANDLER: 0
; COMPUTE_PGM_RSRC2:TGID_X_EN: 1
; COMPUTE_PGM_RSRC2:TGID_Y_EN: 0
; COMPUTE_PGM_RSRC2:TGID_Z_EN: 0
; COMPUTE_PGM_RSRC2:TIDIG_COMP_CNT: 2
; COMPUTE_PGM_RSRC3_GFX90A:ACCUM_OFFSET: 9
; COMPUTE_PGM_RSRC3_GFX90A:TG_SPLIT: 0
	.section	.text._ZN7rocprim17ROCPRIM_400000_NS6detail17trampoline_kernelINS0_13kernel_configILj256ELj4ELj4294967295EEENS1_37radix_sort_block_sort_config_selectorItNS0_10empty_typeEEEZNS1_21radix_sort_block_sortIS4_Lb0EN6thrust23THRUST_200600_302600_NS6detail15normal_iteratorINSA_10device_ptrItEEEESF_PS6_SG_NS0_19identity_decomposerEEE10hipError_tT1_T2_T3_T4_jRjT5_jjP12ihipStream_tbEUlT_E_NS1_11comp_targetILNS1_3genE4ELNS1_11target_archE910ELNS1_3gpuE8ELNS1_3repE0EEENS1_44radix_sort_block_sort_config_static_selectorELNS0_4arch9wavefront6targetE1EEEvSJ_,"axG",@progbits,_ZN7rocprim17ROCPRIM_400000_NS6detail17trampoline_kernelINS0_13kernel_configILj256ELj4ELj4294967295EEENS1_37radix_sort_block_sort_config_selectorItNS0_10empty_typeEEEZNS1_21radix_sort_block_sortIS4_Lb0EN6thrust23THRUST_200600_302600_NS6detail15normal_iteratorINSA_10device_ptrItEEEESF_PS6_SG_NS0_19identity_decomposerEEE10hipError_tT1_T2_T3_T4_jRjT5_jjP12ihipStream_tbEUlT_E_NS1_11comp_targetILNS1_3genE4ELNS1_11target_archE910ELNS1_3gpuE8ELNS1_3repE0EEENS1_44radix_sort_block_sort_config_static_selectorELNS0_4arch9wavefront6targetE1EEEvSJ_,comdat
	.protected	_ZN7rocprim17ROCPRIM_400000_NS6detail17trampoline_kernelINS0_13kernel_configILj256ELj4ELj4294967295EEENS1_37radix_sort_block_sort_config_selectorItNS0_10empty_typeEEEZNS1_21radix_sort_block_sortIS4_Lb0EN6thrust23THRUST_200600_302600_NS6detail15normal_iteratorINSA_10device_ptrItEEEESF_PS6_SG_NS0_19identity_decomposerEEE10hipError_tT1_T2_T3_T4_jRjT5_jjP12ihipStream_tbEUlT_E_NS1_11comp_targetILNS1_3genE4ELNS1_11target_archE910ELNS1_3gpuE8ELNS1_3repE0EEENS1_44radix_sort_block_sort_config_static_selectorELNS0_4arch9wavefront6targetE1EEEvSJ_ ; -- Begin function _ZN7rocprim17ROCPRIM_400000_NS6detail17trampoline_kernelINS0_13kernel_configILj256ELj4ELj4294967295EEENS1_37radix_sort_block_sort_config_selectorItNS0_10empty_typeEEEZNS1_21radix_sort_block_sortIS4_Lb0EN6thrust23THRUST_200600_302600_NS6detail15normal_iteratorINSA_10device_ptrItEEEESF_PS6_SG_NS0_19identity_decomposerEEE10hipError_tT1_T2_T3_T4_jRjT5_jjP12ihipStream_tbEUlT_E_NS1_11comp_targetILNS1_3genE4ELNS1_11target_archE910ELNS1_3gpuE8ELNS1_3repE0EEENS1_44radix_sort_block_sort_config_static_selectorELNS0_4arch9wavefront6targetE1EEEvSJ_
	.globl	_ZN7rocprim17ROCPRIM_400000_NS6detail17trampoline_kernelINS0_13kernel_configILj256ELj4ELj4294967295EEENS1_37radix_sort_block_sort_config_selectorItNS0_10empty_typeEEEZNS1_21radix_sort_block_sortIS4_Lb0EN6thrust23THRUST_200600_302600_NS6detail15normal_iteratorINSA_10device_ptrItEEEESF_PS6_SG_NS0_19identity_decomposerEEE10hipError_tT1_T2_T3_T4_jRjT5_jjP12ihipStream_tbEUlT_E_NS1_11comp_targetILNS1_3genE4ELNS1_11target_archE910ELNS1_3gpuE8ELNS1_3repE0EEENS1_44radix_sort_block_sort_config_static_selectorELNS0_4arch9wavefront6targetE1EEEvSJ_
	.p2align	8
	.type	_ZN7rocprim17ROCPRIM_400000_NS6detail17trampoline_kernelINS0_13kernel_configILj256ELj4ELj4294967295EEENS1_37radix_sort_block_sort_config_selectorItNS0_10empty_typeEEEZNS1_21radix_sort_block_sortIS4_Lb0EN6thrust23THRUST_200600_302600_NS6detail15normal_iteratorINSA_10device_ptrItEEEESF_PS6_SG_NS0_19identity_decomposerEEE10hipError_tT1_T2_T3_T4_jRjT5_jjP12ihipStream_tbEUlT_E_NS1_11comp_targetILNS1_3genE4ELNS1_11target_archE910ELNS1_3gpuE8ELNS1_3repE0EEENS1_44radix_sort_block_sort_config_static_selectorELNS0_4arch9wavefront6targetE1EEEvSJ_,@function
_ZN7rocprim17ROCPRIM_400000_NS6detail17trampoline_kernelINS0_13kernel_configILj256ELj4ELj4294967295EEENS1_37radix_sort_block_sort_config_selectorItNS0_10empty_typeEEEZNS1_21radix_sort_block_sortIS4_Lb0EN6thrust23THRUST_200600_302600_NS6detail15normal_iteratorINSA_10device_ptrItEEEESF_PS6_SG_NS0_19identity_decomposerEEE10hipError_tT1_T2_T3_T4_jRjT5_jjP12ihipStream_tbEUlT_E_NS1_11comp_targetILNS1_3genE4ELNS1_11target_archE910ELNS1_3gpuE8ELNS1_3repE0EEENS1_44radix_sort_block_sort_config_static_selectorELNS0_4arch9wavefront6targetE1EEEvSJ_: ; @_ZN7rocprim17ROCPRIM_400000_NS6detail17trampoline_kernelINS0_13kernel_configILj256ELj4ELj4294967295EEENS1_37radix_sort_block_sort_config_selectorItNS0_10empty_typeEEEZNS1_21radix_sort_block_sortIS4_Lb0EN6thrust23THRUST_200600_302600_NS6detail15normal_iteratorINSA_10device_ptrItEEEESF_PS6_SG_NS0_19identity_decomposerEEE10hipError_tT1_T2_T3_T4_jRjT5_jjP12ihipStream_tbEUlT_E_NS1_11comp_targetILNS1_3genE4ELNS1_11target_archE910ELNS1_3gpuE8ELNS1_3repE0EEENS1_44radix_sort_block_sort_config_static_selectorELNS0_4arch9wavefront6targetE1EEEvSJ_
; %bb.0:
	.section	.rodata,"a",@progbits
	.p2align	6, 0x0
	.amdhsa_kernel _ZN7rocprim17ROCPRIM_400000_NS6detail17trampoline_kernelINS0_13kernel_configILj256ELj4ELj4294967295EEENS1_37radix_sort_block_sort_config_selectorItNS0_10empty_typeEEEZNS1_21radix_sort_block_sortIS4_Lb0EN6thrust23THRUST_200600_302600_NS6detail15normal_iteratorINSA_10device_ptrItEEEESF_PS6_SG_NS0_19identity_decomposerEEE10hipError_tT1_T2_T3_T4_jRjT5_jjP12ihipStream_tbEUlT_E_NS1_11comp_targetILNS1_3genE4ELNS1_11target_archE910ELNS1_3gpuE8ELNS1_3repE0EEENS1_44radix_sort_block_sort_config_static_selectorELNS0_4arch9wavefront6targetE1EEEvSJ_
		.amdhsa_group_segment_fixed_size 0
		.amdhsa_private_segment_fixed_size 0
		.amdhsa_kernarg_size 48
		.amdhsa_user_sgpr_count 2
		.amdhsa_user_sgpr_dispatch_ptr 0
		.amdhsa_user_sgpr_queue_ptr 0
		.amdhsa_user_sgpr_kernarg_segment_ptr 1
		.amdhsa_user_sgpr_dispatch_id 0
		.amdhsa_user_sgpr_kernarg_preload_length 0
		.amdhsa_user_sgpr_kernarg_preload_offset 0
		.amdhsa_user_sgpr_private_segment_size 0
		.amdhsa_uses_dynamic_stack 0
		.amdhsa_enable_private_segment 0
		.amdhsa_system_sgpr_workgroup_id_x 1
		.amdhsa_system_sgpr_workgroup_id_y 0
		.amdhsa_system_sgpr_workgroup_id_z 0
		.amdhsa_system_sgpr_workgroup_info 0
		.amdhsa_system_vgpr_workitem_id 0
		.amdhsa_next_free_vgpr 1
		.amdhsa_next_free_sgpr 0
		.amdhsa_accum_offset 4
		.amdhsa_reserve_vcc 0
		.amdhsa_float_round_mode_32 0
		.amdhsa_float_round_mode_16_64 0
		.amdhsa_float_denorm_mode_32 3
		.amdhsa_float_denorm_mode_16_64 3
		.amdhsa_dx10_clamp 1
		.amdhsa_ieee_mode 1
		.amdhsa_fp16_overflow 0
		.amdhsa_tg_split 0
		.amdhsa_exception_fp_ieee_invalid_op 0
		.amdhsa_exception_fp_denorm_src 0
		.amdhsa_exception_fp_ieee_div_zero 0
		.amdhsa_exception_fp_ieee_overflow 0
		.amdhsa_exception_fp_ieee_underflow 0
		.amdhsa_exception_fp_ieee_inexact 0
		.amdhsa_exception_int_div_zero 0
	.end_amdhsa_kernel
	.section	.text._ZN7rocprim17ROCPRIM_400000_NS6detail17trampoline_kernelINS0_13kernel_configILj256ELj4ELj4294967295EEENS1_37radix_sort_block_sort_config_selectorItNS0_10empty_typeEEEZNS1_21radix_sort_block_sortIS4_Lb0EN6thrust23THRUST_200600_302600_NS6detail15normal_iteratorINSA_10device_ptrItEEEESF_PS6_SG_NS0_19identity_decomposerEEE10hipError_tT1_T2_T3_T4_jRjT5_jjP12ihipStream_tbEUlT_E_NS1_11comp_targetILNS1_3genE4ELNS1_11target_archE910ELNS1_3gpuE8ELNS1_3repE0EEENS1_44radix_sort_block_sort_config_static_selectorELNS0_4arch9wavefront6targetE1EEEvSJ_,"axG",@progbits,_ZN7rocprim17ROCPRIM_400000_NS6detail17trampoline_kernelINS0_13kernel_configILj256ELj4ELj4294967295EEENS1_37radix_sort_block_sort_config_selectorItNS0_10empty_typeEEEZNS1_21radix_sort_block_sortIS4_Lb0EN6thrust23THRUST_200600_302600_NS6detail15normal_iteratorINSA_10device_ptrItEEEESF_PS6_SG_NS0_19identity_decomposerEEE10hipError_tT1_T2_T3_T4_jRjT5_jjP12ihipStream_tbEUlT_E_NS1_11comp_targetILNS1_3genE4ELNS1_11target_archE910ELNS1_3gpuE8ELNS1_3repE0EEENS1_44radix_sort_block_sort_config_static_selectorELNS0_4arch9wavefront6targetE1EEEvSJ_,comdat
.Lfunc_end1190:
	.size	_ZN7rocprim17ROCPRIM_400000_NS6detail17trampoline_kernelINS0_13kernel_configILj256ELj4ELj4294967295EEENS1_37radix_sort_block_sort_config_selectorItNS0_10empty_typeEEEZNS1_21radix_sort_block_sortIS4_Lb0EN6thrust23THRUST_200600_302600_NS6detail15normal_iteratorINSA_10device_ptrItEEEESF_PS6_SG_NS0_19identity_decomposerEEE10hipError_tT1_T2_T3_T4_jRjT5_jjP12ihipStream_tbEUlT_E_NS1_11comp_targetILNS1_3genE4ELNS1_11target_archE910ELNS1_3gpuE8ELNS1_3repE0EEENS1_44radix_sort_block_sort_config_static_selectorELNS0_4arch9wavefront6targetE1EEEvSJ_, .Lfunc_end1190-_ZN7rocprim17ROCPRIM_400000_NS6detail17trampoline_kernelINS0_13kernel_configILj256ELj4ELj4294967295EEENS1_37radix_sort_block_sort_config_selectorItNS0_10empty_typeEEEZNS1_21radix_sort_block_sortIS4_Lb0EN6thrust23THRUST_200600_302600_NS6detail15normal_iteratorINSA_10device_ptrItEEEESF_PS6_SG_NS0_19identity_decomposerEEE10hipError_tT1_T2_T3_T4_jRjT5_jjP12ihipStream_tbEUlT_E_NS1_11comp_targetILNS1_3genE4ELNS1_11target_archE910ELNS1_3gpuE8ELNS1_3repE0EEENS1_44radix_sort_block_sort_config_static_selectorELNS0_4arch9wavefront6targetE1EEEvSJ_
                                        ; -- End function
	.section	.AMDGPU.csdata,"",@progbits
; Kernel info:
; codeLenInByte = 0
; NumSgprs: 6
; NumVgprs: 0
; NumAgprs: 0
; TotalNumVgprs: 0
; ScratchSize: 0
; MemoryBound: 0
; FloatMode: 240
; IeeeMode: 1
; LDSByteSize: 0 bytes/workgroup (compile time only)
; SGPRBlocks: 0
; VGPRBlocks: 0
; NumSGPRsForWavesPerEU: 6
; NumVGPRsForWavesPerEU: 1
; AccumOffset: 4
; Occupancy: 8
; WaveLimiterHint : 0
; COMPUTE_PGM_RSRC2:SCRATCH_EN: 0
; COMPUTE_PGM_RSRC2:USER_SGPR: 2
; COMPUTE_PGM_RSRC2:TRAP_HANDLER: 0
; COMPUTE_PGM_RSRC2:TGID_X_EN: 1
; COMPUTE_PGM_RSRC2:TGID_Y_EN: 0
; COMPUTE_PGM_RSRC2:TGID_Z_EN: 0
; COMPUTE_PGM_RSRC2:TIDIG_COMP_CNT: 0
; COMPUTE_PGM_RSRC3_GFX90A:ACCUM_OFFSET: 0
; COMPUTE_PGM_RSRC3_GFX90A:TG_SPLIT: 0
	.section	.text._ZN7rocprim17ROCPRIM_400000_NS6detail17trampoline_kernelINS0_13kernel_configILj256ELj4ELj4294967295EEENS1_37radix_sort_block_sort_config_selectorItNS0_10empty_typeEEEZNS1_21radix_sort_block_sortIS4_Lb0EN6thrust23THRUST_200600_302600_NS6detail15normal_iteratorINSA_10device_ptrItEEEESF_PS6_SG_NS0_19identity_decomposerEEE10hipError_tT1_T2_T3_T4_jRjT5_jjP12ihipStream_tbEUlT_E_NS1_11comp_targetILNS1_3genE3ELNS1_11target_archE908ELNS1_3gpuE7ELNS1_3repE0EEENS1_44radix_sort_block_sort_config_static_selectorELNS0_4arch9wavefront6targetE1EEEvSJ_,"axG",@progbits,_ZN7rocprim17ROCPRIM_400000_NS6detail17trampoline_kernelINS0_13kernel_configILj256ELj4ELj4294967295EEENS1_37radix_sort_block_sort_config_selectorItNS0_10empty_typeEEEZNS1_21radix_sort_block_sortIS4_Lb0EN6thrust23THRUST_200600_302600_NS6detail15normal_iteratorINSA_10device_ptrItEEEESF_PS6_SG_NS0_19identity_decomposerEEE10hipError_tT1_T2_T3_T4_jRjT5_jjP12ihipStream_tbEUlT_E_NS1_11comp_targetILNS1_3genE3ELNS1_11target_archE908ELNS1_3gpuE7ELNS1_3repE0EEENS1_44radix_sort_block_sort_config_static_selectorELNS0_4arch9wavefront6targetE1EEEvSJ_,comdat
	.protected	_ZN7rocprim17ROCPRIM_400000_NS6detail17trampoline_kernelINS0_13kernel_configILj256ELj4ELj4294967295EEENS1_37radix_sort_block_sort_config_selectorItNS0_10empty_typeEEEZNS1_21radix_sort_block_sortIS4_Lb0EN6thrust23THRUST_200600_302600_NS6detail15normal_iteratorINSA_10device_ptrItEEEESF_PS6_SG_NS0_19identity_decomposerEEE10hipError_tT1_T2_T3_T4_jRjT5_jjP12ihipStream_tbEUlT_E_NS1_11comp_targetILNS1_3genE3ELNS1_11target_archE908ELNS1_3gpuE7ELNS1_3repE0EEENS1_44radix_sort_block_sort_config_static_selectorELNS0_4arch9wavefront6targetE1EEEvSJ_ ; -- Begin function _ZN7rocprim17ROCPRIM_400000_NS6detail17trampoline_kernelINS0_13kernel_configILj256ELj4ELj4294967295EEENS1_37radix_sort_block_sort_config_selectorItNS0_10empty_typeEEEZNS1_21radix_sort_block_sortIS4_Lb0EN6thrust23THRUST_200600_302600_NS6detail15normal_iteratorINSA_10device_ptrItEEEESF_PS6_SG_NS0_19identity_decomposerEEE10hipError_tT1_T2_T3_T4_jRjT5_jjP12ihipStream_tbEUlT_E_NS1_11comp_targetILNS1_3genE3ELNS1_11target_archE908ELNS1_3gpuE7ELNS1_3repE0EEENS1_44radix_sort_block_sort_config_static_selectorELNS0_4arch9wavefront6targetE1EEEvSJ_
	.globl	_ZN7rocprim17ROCPRIM_400000_NS6detail17trampoline_kernelINS0_13kernel_configILj256ELj4ELj4294967295EEENS1_37radix_sort_block_sort_config_selectorItNS0_10empty_typeEEEZNS1_21radix_sort_block_sortIS4_Lb0EN6thrust23THRUST_200600_302600_NS6detail15normal_iteratorINSA_10device_ptrItEEEESF_PS6_SG_NS0_19identity_decomposerEEE10hipError_tT1_T2_T3_T4_jRjT5_jjP12ihipStream_tbEUlT_E_NS1_11comp_targetILNS1_3genE3ELNS1_11target_archE908ELNS1_3gpuE7ELNS1_3repE0EEENS1_44radix_sort_block_sort_config_static_selectorELNS0_4arch9wavefront6targetE1EEEvSJ_
	.p2align	8
	.type	_ZN7rocprim17ROCPRIM_400000_NS6detail17trampoline_kernelINS0_13kernel_configILj256ELj4ELj4294967295EEENS1_37radix_sort_block_sort_config_selectorItNS0_10empty_typeEEEZNS1_21radix_sort_block_sortIS4_Lb0EN6thrust23THRUST_200600_302600_NS6detail15normal_iteratorINSA_10device_ptrItEEEESF_PS6_SG_NS0_19identity_decomposerEEE10hipError_tT1_T2_T3_T4_jRjT5_jjP12ihipStream_tbEUlT_E_NS1_11comp_targetILNS1_3genE3ELNS1_11target_archE908ELNS1_3gpuE7ELNS1_3repE0EEENS1_44radix_sort_block_sort_config_static_selectorELNS0_4arch9wavefront6targetE1EEEvSJ_,@function
_ZN7rocprim17ROCPRIM_400000_NS6detail17trampoline_kernelINS0_13kernel_configILj256ELj4ELj4294967295EEENS1_37radix_sort_block_sort_config_selectorItNS0_10empty_typeEEEZNS1_21radix_sort_block_sortIS4_Lb0EN6thrust23THRUST_200600_302600_NS6detail15normal_iteratorINSA_10device_ptrItEEEESF_PS6_SG_NS0_19identity_decomposerEEE10hipError_tT1_T2_T3_T4_jRjT5_jjP12ihipStream_tbEUlT_E_NS1_11comp_targetILNS1_3genE3ELNS1_11target_archE908ELNS1_3gpuE7ELNS1_3repE0EEENS1_44radix_sort_block_sort_config_static_selectorELNS0_4arch9wavefront6targetE1EEEvSJ_: ; @_ZN7rocprim17ROCPRIM_400000_NS6detail17trampoline_kernelINS0_13kernel_configILj256ELj4ELj4294967295EEENS1_37radix_sort_block_sort_config_selectorItNS0_10empty_typeEEEZNS1_21radix_sort_block_sortIS4_Lb0EN6thrust23THRUST_200600_302600_NS6detail15normal_iteratorINSA_10device_ptrItEEEESF_PS6_SG_NS0_19identity_decomposerEEE10hipError_tT1_T2_T3_T4_jRjT5_jjP12ihipStream_tbEUlT_E_NS1_11comp_targetILNS1_3genE3ELNS1_11target_archE908ELNS1_3gpuE7ELNS1_3repE0EEENS1_44radix_sort_block_sort_config_static_selectorELNS0_4arch9wavefront6targetE1EEEvSJ_
; %bb.0:
	.section	.rodata,"a",@progbits
	.p2align	6, 0x0
	.amdhsa_kernel _ZN7rocprim17ROCPRIM_400000_NS6detail17trampoline_kernelINS0_13kernel_configILj256ELj4ELj4294967295EEENS1_37radix_sort_block_sort_config_selectorItNS0_10empty_typeEEEZNS1_21radix_sort_block_sortIS4_Lb0EN6thrust23THRUST_200600_302600_NS6detail15normal_iteratorINSA_10device_ptrItEEEESF_PS6_SG_NS0_19identity_decomposerEEE10hipError_tT1_T2_T3_T4_jRjT5_jjP12ihipStream_tbEUlT_E_NS1_11comp_targetILNS1_3genE3ELNS1_11target_archE908ELNS1_3gpuE7ELNS1_3repE0EEENS1_44radix_sort_block_sort_config_static_selectorELNS0_4arch9wavefront6targetE1EEEvSJ_
		.amdhsa_group_segment_fixed_size 0
		.amdhsa_private_segment_fixed_size 0
		.amdhsa_kernarg_size 48
		.amdhsa_user_sgpr_count 2
		.amdhsa_user_sgpr_dispatch_ptr 0
		.amdhsa_user_sgpr_queue_ptr 0
		.amdhsa_user_sgpr_kernarg_segment_ptr 1
		.amdhsa_user_sgpr_dispatch_id 0
		.amdhsa_user_sgpr_kernarg_preload_length 0
		.amdhsa_user_sgpr_kernarg_preload_offset 0
		.amdhsa_user_sgpr_private_segment_size 0
		.amdhsa_uses_dynamic_stack 0
		.amdhsa_enable_private_segment 0
		.amdhsa_system_sgpr_workgroup_id_x 1
		.amdhsa_system_sgpr_workgroup_id_y 0
		.amdhsa_system_sgpr_workgroup_id_z 0
		.amdhsa_system_sgpr_workgroup_info 0
		.amdhsa_system_vgpr_workitem_id 0
		.amdhsa_next_free_vgpr 1
		.amdhsa_next_free_sgpr 0
		.amdhsa_accum_offset 4
		.amdhsa_reserve_vcc 0
		.amdhsa_float_round_mode_32 0
		.amdhsa_float_round_mode_16_64 0
		.amdhsa_float_denorm_mode_32 3
		.amdhsa_float_denorm_mode_16_64 3
		.amdhsa_dx10_clamp 1
		.amdhsa_ieee_mode 1
		.amdhsa_fp16_overflow 0
		.amdhsa_tg_split 0
		.amdhsa_exception_fp_ieee_invalid_op 0
		.amdhsa_exception_fp_denorm_src 0
		.amdhsa_exception_fp_ieee_div_zero 0
		.amdhsa_exception_fp_ieee_overflow 0
		.amdhsa_exception_fp_ieee_underflow 0
		.amdhsa_exception_fp_ieee_inexact 0
		.amdhsa_exception_int_div_zero 0
	.end_amdhsa_kernel
	.section	.text._ZN7rocprim17ROCPRIM_400000_NS6detail17trampoline_kernelINS0_13kernel_configILj256ELj4ELj4294967295EEENS1_37radix_sort_block_sort_config_selectorItNS0_10empty_typeEEEZNS1_21radix_sort_block_sortIS4_Lb0EN6thrust23THRUST_200600_302600_NS6detail15normal_iteratorINSA_10device_ptrItEEEESF_PS6_SG_NS0_19identity_decomposerEEE10hipError_tT1_T2_T3_T4_jRjT5_jjP12ihipStream_tbEUlT_E_NS1_11comp_targetILNS1_3genE3ELNS1_11target_archE908ELNS1_3gpuE7ELNS1_3repE0EEENS1_44radix_sort_block_sort_config_static_selectorELNS0_4arch9wavefront6targetE1EEEvSJ_,"axG",@progbits,_ZN7rocprim17ROCPRIM_400000_NS6detail17trampoline_kernelINS0_13kernel_configILj256ELj4ELj4294967295EEENS1_37radix_sort_block_sort_config_selectorItNS0_10empty_typeEEEZNS1_21radix_sort_block_sortIS4_Lb0EN6thrust23THRUST_200600_302600_NS6detail15normal_iteratorINSA_10device_ptrItEEEESF_PS6_SG_NS0_19identity_decomposerEEE10hipError_tT1_T2_T3_T4_jRjT5_jjP12ihipStream_tbEUlT_E_NS1_11comp_targetILNS1_3genE3ELNS1_11target_archE908ELNS1_3gpuE7ELNS1_3repE0EEENS1_44radix_sort_block_sort_config_static_selectorELNS0_4arch9wavefront6targetE1EEEvSJ_,comdat
.Lfunc_end1191:
	.size	_ZN7rocprim17ROCPRIM_400000_NS6detail17trampoline_kernelINS0_13kernel_configILj256ELj4ELj4294967295EEENS1_37radix_sort_block_sort_config_selectorItNS0_10empty_typeEEEZNS1_21radix_sort_block_sortIS4_Lb0EN6thrust23THRUST_200600_302600_NS6detail15normal_iteratorINSA_10device_ptrItEEEESF_PS6_SG_NS0_19identity_decomposerEEE10hipError_tT1_T2_T3_T4_jRjT5_jjP12ihipStream_tbEUlT_E_NS1_11comp_targetILNS1_3genE3ELNS1_11target_archE908ELNS1_3gpuE7ELNS1_3repE0EEENS1_44radix_sort_block_sort_config_static_selectorELNS0_4arch9wavefront6targetE1EEEvSJ_, .Lfunc_end1191-_ZN7rocprim17ROCPRIM_400000_NS6detail17trampoline_kernelINS0_13kernel_configILj256ELj4ELj4294967295EEENS1_37radix_sort_block_sort_config_selectorItNS0_10empty_typeEEEZNS1_21radix_sort_block_sortIS4_Lb0EN6thrust23THRUST_200600_302600_NS6detail15normal_iteratorINSA_10device_ptrItEEEESF_PS6_SG_NS0_19identity_decomposerEEE10hipError_tT1_T2_T3_T4_jRjT5_jjP12ihipStream_tbEUlT_E_NS1_11comp_targetILNS1_3genE3ELNS1_11target_archE908ELNS1_3gpuE7ELNS1_3repE0EEENS1_44radix_sort_block_sort_config_static_selectorELNS0_4arch9wavefront6targetE1EEEvSJ_
                                        ; -- End function
	.section	.AMDGPU.csdata,"",@progbits
; Kernel info:
; codeLenInByte = 0
; NumSgprs: 6
; NumVgprs: 0
; NumAgprs: 0
; TotalNumVgprs: 0
; ScratchSize: 0
; MemoryBound: 0
; FloatMode: 240
; IeeeMode: 1
; LDSByteSize: 0 bytes/workgroup (compile time only)
; SGPRBlocks: 0
; VGPRBlocks: 0
; NumSGPRsForWavesPerEU: 6
; NumVGPRsForWavesPerEU: 1
; AccumOffset: 4
; Occupancy: 8
; WaveLimiterHint : 0
; COMPUTE_PGM_RSRC2:SCRATCH_EN: 0
; COMPUTE_PGM_RSRC2:USER_SGPR: 2
; COMPUTE_PGM_RSRC2:TRAP_HANDLER: 0
; COMPUTE_PGM_RSRC2:TGID_X_EN: 1
; COMPUTE_PGM_RSRC2:TGID_Y_EN: 0
; COMPUTE_PGM_RSRC2:TGID_Z_EN: 0
; COMPUTE_PGM_RSRC2:TIDIG_COMP_CNT: 0
; COMPUTE_PGM_RSRC3_GFX90A:ACCUM_OFFSET: 0
; COMPUTE_PGM_RSRC3_GFX90A:TG_SPLIT: 0
	.section	.text._ZN7rocprim17ROCPRIM_400000_NS6detail17trampoline_kernelINS0_13kernel_configILj256ELj4ELj4294967295EEENS1_37radix_sort_block_sort_config_selectorItNS0_10empty_typeEEEZNS1_21radix_sort_block_sortIS4_Lb0EN6thrust23THRUST_200600_302600_NS6detail15normal_iteratorINSA_10device_ptrItEEEESF_PS6_SG_NS0_19identity_decomposerEEE10hipError_tT1_T2_T3_T4_jRjT5_jjP12ihipStream_tbEUlT_E_NS1_11comp_targetILNS1_3genE2ELNS1_11target_archE906ELNS1_3gpuE6ELNS1_3repE0EEENS1_44radix_sort_block_sort_config_static_selectorELNS0_4arch9wavefront6targetE1EEEvSJ_,"axG",@progbits,_ZN7rocprim17ROCPRIM_400000_NS6detail17trampoline_kernelINS0_13kernel_configILj256ELj4ELj4294967295EEENS1_37radix_sort_block_sort_config_selectorItNS0_10empty_typeEEEZNS1_21radix_sort_block_sortIS4_Lb0EN6thrust23THRUST_200600_302600_NS6detail15normal_iteratorINSA_10device_ptrItEEEESF_PS6_SG_NS0_19identity_decomposerEEE10hipError_tT1_T2_T3_T4_jRjT5_jjP12ihipStream_tbEUlT_E_NS1_11comp_targetILNS1_3genE2ELNS1_11target_archE906ELNS1_3gpuE6ELNS1_3repE0EEENS1_44radix_sort_block_sort_config_static_selectorELNS0_4arch9wavefront6targetE1EEEvSJ_,comdat
	.protected	_ZN7rocprim17ROCPRIM_400000_NS6detail17trampoline_kernelINS0_13kernel_configILj256ELj4ELj4294967295EEENS1_37radix_sort_block_sort_config_selectorItNS0_10empty_typeEEEZNS1_21radix_sort_block_sortIS4_Lb0EN6thrust23THRUST_200600_302600_NS6detail15normal_iteratorINSA_10device_ptrItEEEESF_PS6_SG_NS0_19identity_decomposerEEE10hipError_tT1_T2_T3_T4_jRjT5_jjP12ihipStream_tbEUlT_E_NS1_11comp_targetILNS1_3genE2ELNS1_11target_archE906ELNS1_3gpuE6ELNS1_3repE0EEENS1_44radix_sort_block_sort_config_static_selectorELNS0_4arch9wavefront6targetE1EEEvSJ_ ; -- Begin function _ZN7rocprim17ROCPRIM_400000_NS6detail17trampoline_kernelINS0_13kernel_configILj256ELj4ELj4294967295EEENS1_37radix_sort_block_sort_config_selectorItNS0_10empty_typeEEEZNS1_21radix_sort_block_sortIS4_Lb0EN6thrust23THRUST_200600_302600_NS6detail15normal_iteratorINSA_10device_ptrItEEEESF_PS6_SG_NS0_19identity_decomposerEEE10hipError_tT1_T2_T3_T4_jRjT5_jjP12ihipStream_tbEUlT_E_NS1_11comp_targetILNS1_3genE2ELNS1_11target_archE906ELNS1_3gpuE6ELNS1_3repE0EEENS1_44radix_sort_block_sort_config_static_selectorELNS0_4arch9wavefront6targetE1EEEvSJ_
	.globl	_ZN7rocprim17ROCPRIM_400000_NS6detail17trampoline_kernelINS0_13kernel_configILj256ELj4ELj4294967295EEENS1_37radix_sort_block_sort_config_selectorItNS0_10empty_typeEEEZNS1_21radix_sort_block_sortIS4_Lb0EN6thrust23THRUST_200600_302600_NS6detail15normal_iteratorINSA_10device_ptrItEEEESF_PS6_SG_NS0_19identity_decomposerEEE10hipError_tT1_T2_T3_T4_jRjT5_jjP12ihipStream_tbEUlT_E_NS1_11comp_targetILNS1_3genE2ELNS1_11target_archE906ELNS1_3gpuE6ELNS1_3repE0EEENS1_44radix_sort_block_sort_config_static_selectorELNS0_4arch9wavefront6targetE1EEEvSJ_
	.p2align	8
	.type	_ZN7rocprim17ROCPRIM_400000_NS6detail17trampoline_kernelINS0_13kernel_configILj256ELj4ELj4294967295EEENS1_37radix_sort_block_sort_config_selectorItNS0_10empty_typeEEEZNS1_21radix_sort_block_sortIS4_Lb0EN6thrust23THRUST_200600_302600_NS6detail15normal_iteratorINSA_10device_ptrItEEEESF_PS6_SG_NS0_19identity_decomposerEEE10hipError_tT1_T2_T3_T4_jRjT5_jjP12ihipStream_tbEUlT_E_NS1_11comp_targetILNS1_3genE2ELNS1_11target_archE906ELNS1_3gpuE6ELNS1_3repE0EEENS1_44radix_sort_block_sort_config_static_selectorELNS0_4arch9wavefront6targetE1EEEvSJ_,@function
_ZN7rocprim17ROCPRIM_400000_NS6detail17trampoline_kernelINS0_13kernel_configILj256ELj4ELj4294967295EEENS1_37radix_sort_block_sort_config_selectorItNS0_10empty_typeEEEZNS1_21radix_sort_block_sortIS4_Lb0EN6thrust23THRUST_200600_302600_NS6detail15normal_iteratorINSA_10device_ptrItEEEESF_PS6_SG_NS0_19identity_decomposerEEE10hipError_tT1_T2_T3_T4_jRjT5_jjP12ihipStream_tbEUlT_E_NS1_11comp_targetILNS1_3genE2ELNS1_11target_archE906ELNS1_3gpuE6ELNS1_3repE0EEENS1_44radix_sort_block_sort_config_static_selectorELNS0_4arch9wavefront6targetE1EEEvSJ_: ; @_ZN7rocprim17ROCPRIM_400000_NS6detail17trampoline_kernelINS0_13kernel_configILj256ELj4ELj4294967295EEENS1_37radix_sort_block_sort_config_selectorItNS0_10empty_typeEEEZNS1_21radix_sort_block_sortIS4_Lb0EN6thrust23THRUST_200600_302600_NS6detail15normal_iteratorINSA_10device_ptrItEEEESF_PS6_SG_NS0_19identity_decomposerEEE10hipError_tT1_T2_T3_T4_jRjT5_jjP12ihipStream_tbEUlT_E_NS1_11comp_targetILNS1_3genE2ELNS1_11target_archE906ELNS1_3gpuE6ELNS1_3repE0EEENS1_44radix_sort_block_sort_config_static_selectorELNS0_4arch9wavefront6targetE1EEEvSJ_
; %bb.0:
	.section	.rodata,"a",@progbits
	.p2align	6, 0x0
	.amdhsa_kernel _ZN7rocprim17ROCPRIM_400000_NS6detail17trampoline_kernelINS0_13kernel_configILj256ELj4ELj4294967295EEENS1_37radix_sort_block_sort_config_selectorItNS0_10empty_typeEEEZNS1_21radix_sort_block_sortIS4_Lb0EN6thrust23THRUST_200600_302600_NS6detail15normal_iteratorINSA_10device_ptrItEEEESF_PS6_SG_NS0_19identity_decomposerEEE10hipError_tT1_T2_T3_T4_jRjT5_jjP12ihipStream_tbEUlT_E_NS1_11comp_targetILNS1_3genE2ELNS1_11target_archE906ELNS1_3gpuE6ELNS1_3repE0EEENS1_44radix_sort_block_sort_config_static_selectorELNS0_4arch9wavefront6targetE1EEEvSJ_
		.amdhsa_group_segment_fixed_size 0
		.amdhsa_private_segment_fixed_size 0
		.amdhsa_kernarg_size 48
		.amdhsa_user_sgpr_count 2
		.amdhsa_user_sgpr_dispatch_ptr 0
		.amdhsa_user_sgpr_queue_ptr 0
		.amdhsa_user_sgpr_kernarg_segment_ptr 1
		.amdhsa_user_sgpr_dispatch_id 0
		.amdhsa_user_sgpr_kernarg_preload_length 0
		.amdhsa_user_sgpr_kernarg_preload_offset 0
		.amdhsa_user_sgpr_private_segment_size 0
		.amdhsa_uses_dynamic_stack 0
		.amdhsa_enable_private_segment 0
		.amdhsa_system_sgpr_workgroup_id_x 1
		.amdhsa_system_sgpr_workgroup_id_y 0
		.amdhsa_system_sgpr_workgroup_id_z 0
		.amdhsa_system_sgpr_workgroup_info 0
		.amdhsa_system_vgpr_workitem_id 0
		.amdhsa_next_free_vgpr 1
		.amdhsa_next_free_sgpr 0
		.amdhsa_accum_offset 4
		.amdhsa_reserve_vcc 0
		.amdhsa_float_round_mode_32 0
		.amdhsa_float_round_mode_16_64 0
		.amdhsa_float_denorm_mode_32 3
		.amdhsa_float_denorm_mode_16_64 3
		.amdhsa_dx10_clamp 1
		.amdhsa_ieee_mode 1
		.amdhsa_fp16_overflow 0
		.amdhsa_tg_split 0
		.amdhsa_exception_fp_ieee_invalid_op 0
		.amdhsa_exception_fp_denorm_src 0
		.amdhsa_exception_fp_ieee_div_zero 0
		.amdhsa_exception_fp_ieee_overflow 0
		.amdhsa_exception_fp_ieee_underflow 0
		.amdhsa_exception_fp_ieee_inexact 0
		.amdhsa_exception_int_div_zero 0
	.end_amdhsa_kernel
	.section	.text._ZN7rocprim17ROCPRIM_400000_NS6detail17trampoline_kernelINS0_13kernel_configILj256ELj4ELj4294967295EEENS1_37radix_sort_block_sort_config_selectorItNS0_10empty_typeEEEZNS1_21radix_sort_block_sortIS4_Lb0EN6thrust23THRUST_200600_302600_NS6detail15normal_iteratorINSA_10device_ptrItEEEESF_PS6_SG_NS0_19identity_decomposerEEE10hipError_tT1_T2_T3_T4_jRjT5_jjP12ihipStream_tbEUlT_E_NS1_11comp_targetILNS1_3genE2ELNS1_11target_archE906ELNS1_3gpuE6ELNS1_3repE0EEENS1_44radix_sort_block_sort_config_static_selectorELNS0_4arch9wavefront6targetE1EEEvSJ_,"axG",@progbits,_ZN7rocprim17ROCPRIM_400000_NS6detail17trampoline_kernelINS0_13kernel_configILj256ELj4ELj4294967295EEENS1_37radix_sort_block_sort_config_selectorItNS0_10empty_typeEEEZNS1_21radix_sort_block_sortIS4_Lb0EN6thrust23THRUST_200600_302600_NS6detail15normal_iteratorINSA_10device_ptrItEEEESF_PS6_SG_NS0_19identity_decomposerEEE10hipError_tT1_T2_T3_T4_jRjT5_jjP12ihipStream_tbEUlT_E_NS1_11comp_targetILNS1_3genE2ELNS1_11target_archE906ELNS1_3gpuE6ELNS1_3repE0EEENS1_44radix_sort_block_sort_config_static_selectorELNS0_4arch9wavefront6targetE1EEEvSJ_,comdat
.Lfunc_end1192:
	.size	_ZN7rocprim17ROCPRIM_400000_NS6detail17trampoline_kernelINS0_13kernel_configILj256ELj4ELj4294967295EEENS1_37radix_sort_block_sort_config_selectorItNS0_10empty_typeEEEZNS1_21radix_sort_block_sortIS4_Lb0EN6thrust23THRUST_200600_302600_NS6detail15normal_iteratorINSA_10device_ptrItEEEESF_PS6_SG_NS0_19identity_decomposerEEE10hipError_tT1_T2_T3_T4_jRjT5_jjP12ihipStream_tbEUlT_E_NS1_11comp_targetILNS1_3genE2ELNS1_11target_archE906ELNS1_3gpuE6ELNS1_3repE0EEENS1_44radix_sort_block_sort_config_static_selectorELNS0_4arch9wavefront6targetE1EEEvSJ_, .Lfunc_end1192-_ZN7rocprim17ROCPRIM_400000_NS6detail17trampoline_kernelINS0_13kernel_configILj256ELj4ELj4294967295EEENS1_37radix_sort_block_sort_config_selectorItNS0_10empty_typeEEEZNS1_21radix_sort_block_sortIS4_Lb0EN6thrust23THRUST_200600_302600_NS6detail15normal_iteratorINSA_10device_ptrItEEEESF_PS6_SG_NS0_19identity_decomposerEEE10hipError_tT1_T2_T3_T4_jRjT5_jjP12ihipStream_tbEUlT_E_NS1_11comp_targetILNS1_3genE2ELNS1_11target_archE906ELNS1_3gpuE6ELNS1_3repE0EEENS1_44radix_sort_block_sort_config_static_selectorELNS0_4arch9wavefront6targetE1EEEvSJ_
                                        ; -- End function
	.section	.AMDGPU.csdata,"",@progbits
; Kernel info:
; codeLenInByte = 0
; NumSgprs: 6
; NumVgprs: 0
; NumAgprs: 0
; TotalNumVgprs: 0
; ScratchSize: 0
; MemoryBound: 0
; FloatMode: 240
; IeeeMode: 1
; LDSByteSize: 0 bytes/workgroup (compile time only)
; SGPRBlocks: 0
; VGPRBlocks: 0
; NumSGPRsForWavesPerEU: 6
; NumVGPRsForWavesPerEU: 1
; AccumOffset: 4
; Occupancy: 8
; WaveLimiterHint : 0
; COMPUTE_PGM_RSRC2:SCRATCH_EN: 0
; COMPUTE_PGM_RSRC2:USER_SGPR: 2
; COMPUTE_PGM_RSRC2:TRAP_HANDLER: 0
; COMPUTE_PGM_RSRC2:TGID_X_EN: 1
; COMPUTE_PGM_RSRC2:TGID_Y_EN: 0
; COMPUTE_PGM_RSRC2:TGID_Z_EN: 0
; COMPUTE_PGM_RSRC2:TIDIG_COMP_CNT: 0
; COMPUTE_PGM_RSRC3_GFX90A:ACCUM_OFFSET: 0
; COMPUTE_PGM_RSRC3_GFX90A:TG_SPLIT: 0
	.section	.text._ZN7rocprim17ROCPRIM_400000_NS6detail17trampoline_kernelINS0_13kernel_configILj256ELj4ELj4294967295EEENS1_37radix_sort_block_sort_config_selectorItNS0_10empty_typeEEEZNS1_21radix_sort_block_sortIS4_Lb0EN6thrust23THRUST_200600_302600_NS6detail15normal_iteratorINSA_10device_ptrItEEEESF_PS6_SG_NS0_19identity_decomposerEEE10hipError_tT1_T2_T3_T4_jRjT5_jjP12ihipStream_tbEUlT_E_NS1_11comp_targetILNS1_3genE10ELNS1_11target_archE1201ELNS1_3gpuE5ELNS1_3repE0EEENS1_44radix_sort_block_sort_config_static_selectorELNS0_4arch9wavefront6targetE1EEEvSJ_,"axG",@progbits,_ZN7rocprim17ROCPRIM_400000_NS6detail17trampoline_kernelINS0_13kernel_configILj256ELj4ELj4294967295EEENS1_37radix_sort_block_sort_config_selectorItNS0_10empty_typeEEEZNS1_21radix_sort_block_sortIS4_Lb0EN6thrust23THRUST_200600_302600_NS6detail15normal_iteratorINSA_10device_ptrItEEEESF_PS6_SG_NS0_19identity_decomposerEEE10hipError_tT1_T2_T3_T4_jRjT5_jjP12ihipStream_tbEUlT_E_NS1_11comp_targetILNS1_3genE10ELNS1_11target_archE1201ELNS1_3gpuE5ELNS1_3repE0EEENS1_44radix_sort_block_sort_config_static_selectorELNS0_4arch9wavefront6targetE1EEEvSJ_,comdat
	.protected	_ZN7rocprim17ROCPRIM_400000_NS6detail17trampoline_kernelINS0_13kernel_configILj256ELj4ELj4294967295EEENS1_37radix_sort_block_sort_config_selectorItNS0_10empty_typeEEEZNS1_21radix_sort_block_sortIS4_Lb0EN6thrust23THRUST_200600_302600_NS6detail15normal_iteratorINSA_10device_ptrItEEEESF_PS6_SG_NS0_19identity_decomposerEEE10hipError_tT1_T2_T3_T4_jRjT5_jjP12ihipStream_tbEUlT_E_NS1_11comp_targetILNS1_3genE10ELNS1_11target_archE1201ELNS1_3gpuE5ELNS1_3repE0EEENS1_44radix_sort_block_sort_config_static_selectorELNS0_4arch9wavefront6targetE1EEEvSJ_ ; -- Begin function _ZN7rocprim17ROCPRIM_400000_NS6detail17trampoline_kernelINS0_13kernel_configILj256ELj4ELj4294967295EEENS1_37radix_sort_block_sort_config_selectorItNS0_10empty_typeEEEZNS1_21radix_sort_block_sortIS4_Lb0EN6thrust23THRUST_200600_302600_NS6detail15normal_iteratorINSA_10device_ptrItEEEESF_PS6_SG_NS0_19identity_decomposerEEE10hipError_tT1_T2_T3_T4_jRjT5_jjP12ihipStream_tbEUlT_E_NS1_11comp_targetILNS1_3genE10ELNS1_11target_archE1201ELNS1_3gpuE5ELNS1_3repE0EEENS1_44radix_sort_block_sort_config_static_selectorELNS0_4arch9wavefront6targetE1EEEvSJ_
	.globl	_ZN7rocprim17ROCPRIM_400000_NS6detail17trampoline_kernelINS0_13kernel_configILj256ELj4ELj4294967295EEENS1_37radix_sort_block_sort_config_selectorItNS0_10empty_typeEEEZNS1_21radix_sort_block_sortIS4_Lb0EN6thrust23THRUST_200600_302600_NS6detail15normal_iteratorINSA_10device_ptrItEEEESF_PS6_SG_NS0_19identity_decomposerEEE10hipError_tT1_T2_T3_T4_jRjT5_jjP12ihipStream_tbEUlT_E_NS1_11comp_targetILNS1_3genE10ELNS1_11target_archE1201ELNS1_3gpuE5ELNS1_3repE0EEENS1_44radix_sort_block_sort_config_static_selectorELNS0_4arch9wavefront6targetE1EEEvSJ_
	.p2align	8
	.type	_ZN7rocprim17ROCPRIM_400000_NS6detail17trampoline_kernelINS0_13kernel_configILj256ELj4ELj4294967295EEENS1_37radix_sort_block_sort_config_selectorItNS0_10empty_typeEEEZNS1_21radix_sort_block_sortIS4_Lb0EN6thrust23THRUST_200600_302600_NS6detail15normal_iteratorINSA_10device_ptrItEEEESF_PS6_SG_NS0_19identity_decomposerEEE10hipError_tT1_T2_T3_T4_jRjT5_jjP12ihipStream_tbEUlT_E_NS1_11comp_targetILNS1_3genE10ELNS1_11target_archE1201ELNS1_3gpuE5ELNS1_3repE0EEENS1_44radix_sort_block_sort_config_static_selectorELNS0_4arch9wavefront6targetE1EEEvSJ_,@function
_ZN7rocprim17ROCPRIM_400000_NS6detail17trampoline_kernelINS0_13kernel_configILj256ELj4ELj4294967295EEENS1_37radix_sort_block_sort_config_selectorItNS0_10empty_typeEEEZNS1_21radix_sort_block_sortIS4_Lb0EN6thrust23THRUST_200600_302600_NS6detail15normal_iteratorINSA_10device_ptrItEEEESF_PS6_SG_NS0_19identity_decomposerEEE10hipError_tT1_T2_T3_T4_jRjT5_jjP12ihipStream_tbEUlT_E_NS1_11comp_targetILNS1_3genE10ELNS1_11target_archE1201ELNS1_3gpuE5ELNS1_3repE0EEENS1_44radix_sort_block_sort_config_static_selectorELNS0_4arch9wavefront6targetE1EEEvSJ_: ; @_ZN7rocprim17ROCPRIM_400000_NS6detail17trampoline_kernelINS0_13kernel_configILj256ELj4ELj4294967295EEENS1_37radix_sort_block_sort_config_selectorItNS0_10empty_typeEEEZNS1_21radix_sort_block_sortIS4_Lb0EN6thrust23THRUST_200600_302600_NS6detail15normal_iteratorINSA_10device_ptrItEEEESF_PS6_SG_NS0_19identity_decomposerEEE10hipError_tT1_T2_T3_T4_jRjT5_jjP12ihipStream_tbEUlT_E_NS1_11comp_targetILNS1_3genE10ELNS1_11target_archE1201ELNS1_3gpuE5ELNS1_3repE0EEENS1_44radix_sort_block_sort_config_static_selectorELNS0_4arch9wavefront6targetE1EEEvSJ_
; %bb.0:
	.section	.rodata,"a",@progbits
	.p2align	6, 0x0
	.amdhsa_kernel _ZN7rocprim17ROCPRIM_400000_NS6detail17trampoline_kernelINS0_13kernel_configILj256ELj4ELj4294967295EEENS1_37radix_sort_block_sort_config_selectorItNS0_10empty_typeEEEZNS1_21radix_sort_block_sortIS4_Lb0EN6thrust23THRUST_200600_302600_NS6detail15normal_iteratorINSA_10device_ptrItEEEESF_PS6_SG_NS0_19identity_decomposerEEE10hipError_tT1_T2_T3_T4_jRjT5_jjP12ihipStream_tbEUlT_E_NS1_11comp_targetILNS1_3genE10ELNS1_11target_archE1201ELNS1_3gpuE5ELNS1_3repE0EEENS1_44radix_sort_block_sort_config_static_selectorELNS0_4arch9wavefront6targetE1EEEvSJ_
		.amdhsa_group_segment_fixed_size 0
		.amdhsa_private_segment_fixed_size 0
		.amdhsa_kernarg_size 48
		.amdhsa_user_sgpr_count 2
		.amdhsa_user_sgpr_dispatch_ptr 0
		.amdhsa_user_sgpr_queue_ptr 0
		.amdhsa_user_sgpr_kernarg_segment_ptr 1
		.amdhsa_user_sgpr_dispatch_id 0
		.amdhsa_user_sgpr_kernarg_preload_length 0
		.amdhsa_user_sgpr_kernarg_preload_offset 0
		.amdhsa_user_sgpr_private_segment_size 0
		.amdhsa_uses_dynamic_stack 0
		.amdhsa_enable_private_segment 0
		.amdhsa_system_sgpr_workgroup_id_x 1
		.amdhsa_system_sgpr_workgroup_id_y 0
		.amdhsa_system_sgpr_workgroup_id_z 0
		.amdhsa_system_sgpr_workgroup_info 0
		.amdhsa_system_vgpr_workitem_id 0
		.amdhsa_next_free_vgpr 1
		.amdhsa_next_free_sgpr 0
		.amdhsa_accum_offset 4
		.amdhsa_reserve_vcc 0
		.amdhsa_float_round_mode_32 0
		.amdhsa_float_round_mode_16_64 0
		.amdhsa_float_denorm_mode_32 3
		.amdhsa_float_denorm_mode_16_64 3
		.amdhsa_dx10_clamp 1
		.amdhsa_ieee_mode 1
		.amdhsa_fp16_overflow 0
		.amdhsa_tg_split 0
		.amdhsa_exception_fp_ieee_invalid_op 0
		.amdhsa_exception_fp_denorm_src 0
		.amdhsa_exception_fp_ieee_div_zero 0
		.amdhsa_exception_fp_ieee_overflow 0
		.amdhsa_exception_fp_ieee_underflow 0
		.amdhsa_exception_fp_ieee_inexact 0
		.amdhsa_exception_int_div_zero 0
	.end_amdhsa_kernel
	.section	.text._ZN7rocprim17ROCPRIM_400000_NS6detail17trampoline_kernelINS0_13kernel_configILj256ELj4ELj4294967295EEENS1_37radix_sort_block_sort_config_selectorItNS0_10empty_typeEEEZNS1_21radix_sort_block_sortIS4_Lb0EN6thrust23THRUST_200600_302600_NS6detail15normal_iteratorINSA_10device_ptrItEEEESF_PS6_SG_NS0_19identity_decomposerEEE10hipError_tT1_T2_T3_T4_jRjT5_jjP12ihipStream_tbEUlT_E_NS1_11comp_targetILNS1_3genE10ELNS1_11target_archE1201ELNS1_3gpuE5ELNS1_3repE0EEENS1_44radix_sort_block_sort_config_static_selectorELNS0_4arch9wavefront6targetE1EEEvSJ_,"axG",@progbits,_ZN7rocprim17ROCPRIM_400000_NS6detail17trampoline_kernelINS0_13kernel_configILj256ELj4ELj4294967295EEENS1_37radix_sort_block_sort_config_selectorItNS0_10empty_typeEEEZNS1_21radix_sort_block_sortIS4_Lb0EN6thrust23THRUST_200600_302600_NS6detail15normal_iteratorINSA_10device_ptrItEEEESF_PS6_SG_NS0_19identity_decomposerEEE10hipError_tT1_T2_T3_T4_jRjT5_jjP12ihipStream_tbEUlT_E_NS1_11comp_targetILNS1_3genE10ELNS1_11target_archE1201ELNS1_3gpuE5ELNS1_3repE0EEENS1_44radix_sort_block_sort_config_static_selectorELNS0_4arch9wavefront6targetE1EEEvSJ_,comdat
.Lfunc_end1193:
	.size	_ZN7rocprim17ROCPRIM_400000_NS6detail17trampoline_kernelINS0_13kernel_configILj256ELj4ELj4294967295EEENS1_37radix_sort_block_sort_config_selectorItNS0_10empty_typeEEEZNS1_21radix_sort_block_sortIS4_Lb0EN6thrust23THRUST_200600_302600_NS6detail15normal_iteratorINSA_10device_ptrItEEEESF_PS6_SG_NS0_19identity_decomposerEEE10hipError_tT1_T2_T3_T4_jRjT5_jjP12ihipStream_tbEUlT_E_NS1_11comp_targetILNS1_3genE10ELNS1_11target_archE1201ELNS1_3gpuE5ELNS1_3repE0EEENS1_44radix_sort_block_sort_config_static_selectorELNS0_4arch9wavefront6targetE1EEEvSJ_, .Lfunc_end1193-_ZN7rocprim17ROCPRIM_400000_NS6detail17trampoline_kernelINS0_13kernel_configILj256ELj4ELj4294967295EEENS1_37radix_sort_block_sort_config_selectorItNS0_10empty_typeEEEZNS1_21radix_sort_block_sortIS4_Lb0EN6thrust23THRUST_200600_302600_NS6detail15normal_iteratorINSA_10device_ptrItEEEESF_PS6_SG_NS0_19identity_decomposerEEE10hipError_tT1_T2_T3_T4_jRjT5_jjP12ihipStream_tbEUlT_E_NS1_11comp_targetILNS1_3genE10ELNS1_11target_archE1201ELNS1_3gpuE5ELNS1_3repE0EEENS1_44radix_sort_block_sort_config_static_selectorELNS0_4arch9wavefront6targetE1EEEvSJ_
                                        ; -- End function
	.section	.AMDGPU.csdata,"",@progbits
; Kernel info:
; codeLenInByte = 0
; NumSgprs: 6
; NumVgprs: 0
; NumAgprs: 0
; TotalNumVgprs: 0
; ScratchSize: 0
; MemoryBound: 0
; FloatMode: 240
; IeeeMode: 1
; LDSByteSize: 0 bytes/workgroup (compile time only)
; SGPRBlocks: 0
; VGPRBlocks: 0
; NumSGPRsForWavesPerEU: 6
; NumVGPRsForWavesPerEU: 1
; AccumOffset: 4
; Occupancy: 8
; WaveLimiterHint : 0
; COMPUTE_PGM_RSRC2:SCRATCH_EN: 0
; COMPUTE_PGM_RSRC2:USER_SGPR: 2
; COMPUTE_PGM_RSRC2:TRAP_HANDLER: 0
; COMPUTE_PGM_RSRC2:TGID_X_EN: 1
; COMPUTE_PGM_RSRC2:TGID_Y_EN: 0
; COMPUTE_PGM_RSRC2:TGID_Z_EN: 0
; COMPUTE_PGM_RSRC2:TIDIG_COMP_CNT: 0
; COMPUTE_PGM_RSRC3_GFX90A:ACCUM_OFFSET: 0
; COMPUTE_PGM_RSRC3_GFX90A:TG_SPLIT: 0
	.section	.text._ZN7rocprim17ROCPRIM_400000_NS6detail17trampoline_kernelINS0_13kernel_configILj256ELj4ELj4294967295EEENS1_37radix_sort_block_sort_config_selectorItNS0_10empty_typeEEEZNS1_21radix_sort_block_sortIS4_Lb0EN6thrust23THRUST_200600_302600_NS6detail15normal_iteratorINSA_10device_ptrItEEEESF_PS6_SG_NS0_19identity_decomposerEEE10hipError_tT1_T2_T3_T4_jRjT5_jjP12ihipStream_tbEUlT_E_NS1_11comp_targetILNS1_3genE10ELNS1_11target_archE1200ELNS1_3gpuE4ELNS1_3repE0EEENS1_44radix_sort_block_sort_config_static_selectorELNS0_4arch9wavefront6targetE1EEEvSJ_,"axG",@progbits,_ZN7rocprim17ROCPRIM_400000_NS6detail17trampoline_kernelINS0_13kernel_configILj256ELj4ELj4294967295EEENS1_37radix_sort_block_sort_config_selectorItNS0_10empty_typeEEEZNS1_21radix_sort_block_sortIS4_Lb0EN6thrust23THRUST_200600_302600_NS6detail15normal_iteratorINSA_10device_ptrItEEEESF_PS6_SG_NS0_19identity_decomposerEEE10hipError_tT1_T2_T3_T4_jRjT5_jjP12ihipStream_tbEUlT_E_NS1_11comp_targetILNS1_3genE10ELNS1_11target_archE1200ELNS1_3gpuE4ELNS1_3repE0EEENS1_44radix_sort_block_sort_config_static_selectorELNS0_4arch9wavefront6targetE1EEEvSJ_,comdat
	.protected	_ZN7rocprim17ROCPRIM_400000_NS6detail17trampoline_kernelINS0_13kernel_configILj256ELj4ELj4294967295EEENS1_37radix_sort_block_sort_config_selectorItNS0_10empty_typeEEEZNS1_21radix_sort_block_sortIS4_Lb0EN6thrust23THRUST_200600_302600_NS6detail15normal_iteratorINSA_10device_ptrItEEEESF_PS6_SG_NS0_19identity_decomposerEEE10hipError_tT1_T2_T3_T4_jRjT5_jjP12ihipStream_tbEUlT_E_NS1_11comp_targetILNS1_3genE10ELNS1_11target_archE1200ELNS1_3gpuE4ELNS1_3repE0EEENS1_44radix_sort_block_sort_config_static_selectorELNS0_4arch9wavefront6targetE1EEEvSJ_ ; -- Begin function _ZN7rocprim17ROCPRIM_400000_NS6detail17trampoline_kernelINS0_13kernel_configILj256ELj4ELj4294967295EEENS1_37radix_sort_block_sort_config_selectorItNS0_10empty_typeEEEZNS1_21radix_sort_block_sortIS4_Lb0EN6thrust23THRUST_200600_302600_NS6detail15normal_iteratorINSA_10device_ptrItEEEESF_PS6_SG_NS0_19identity_decomposerEEE10hipError_tT1_T2_T3_T4_jRjT5_jjP12ihipStream_tbEUlT_E_NS1_11comp_targetILNS1_3genE10ELNS1_11target_archE1200ELNS1_3gpuE4ELNS1_3repE0EEENS1_44radix_sort_block_sort_config_static_selectorELNS0_4arch9wavefront6targetE1EEEvSJ_
	.globl	_ZN7rocprim17ROCPRIM_400000_NS6detail17trampoline_kernelINS0_13kernel_configILj256ELj4ELj4294967295EEENS1_37radix_sort_block_sort_config_selectorItNS0_10empty_typeEEEZNS1_21radix_sort_block_sortIS4_Lb0EN6thrust23THRUST_200600_302600_NS6detail15normal_iteratorINSA_10device_ptrItEEEESF_PS6_SG_NS0_19identity_decomposerEEE10hipError_tT1_T2_T3_T4_jRjT5_jjP12ihipStream_tbEUlT_E_NS1_11comp_targetILNS1_3genE10ELNS1_11target_archE1200ELNS1_3gpuE4ELNS1_3repE0EEENS1_44radix_sort_block_sort_config_static_selectorELNS0_4arch9wavefront6targetE1EEEvSJ_
	.p2align	8
	.type	_ZN7rocprim17ROCPRIM_400000_NS6detail17trampoline_kernelINS0_13kernel_configILj256ELj4ELj4294967295EEENS1_37radix_sort_block_sort_config_selectorItNS0_10empty_typeEEEZNS1_21radix_sort_block_sortIS4_Lb0EN6thrust23THRUST_200600_302600_NS6detail15normal_iteratorINSA_10device_ptrItEEEESF_PS6_SG_NS0_19identity_decomposerEEE10hipError_tT1_T2_T3_T4_jRjT5_jjP12ihipStream_tbEUlT_E_NS1_11comp_targetILNS1_3genE10ELNS1_11target_archE1200ELNS1_3gpuE4ELNS1_3repE0EEENS1_44radix_sort_block_sort_config_static_selectorELNS0_4arch9wavefront6targetE1EEEvSJ_,@function
_ZN7rocprim17ROCPRIM_400000_NS6detail17trampoline_kernelINS0_13kernel_configILj256ELj4ELj4294967295EEENS1_37radix_sort_block_sort_config_selectorItNS0_10empty_typeEEEZNS1_21radix_sort_block_sortIS4_Lb0EN6thrust23THRUST_200600_302600_NS6detail15normal_iteratorINSA_10device_ptrItEEEESF_PS6_SG_NS0_19identity_decomposerEEE10hipError_tT1_T2_T3_T4_jRjT5_jjP12ihipStream_tbEUlT_E_NS1_11comp_targetILNS1_3genE10ELNS1_11target_archE1200ELNS1_3gpuE4ELNS1_3repE0EEENS1_44radix_sort_block_sort_config_static_selectorELNS0_4arch9wavefront6targetE1EEEvSJ_: ; @_ZN7rocprim17ROCPRIM_400000_NS6detail17trampoline_kernelINS0_13kernel_configILj256ELj4ELj4294967295EEENS1_37radix_sort_block_sort_config_selectorItNS0_10empty_typeEEEZNS1_21radix_sort_block_sortIS4_Lb0EN6thrust23THRUST_200600_302600_NS6detail15normal_iteratorINSA_10device_ptrItEEEESF_PS6_SG_NS0_19identity_decomposerEEE10hipError_tT1_T2_T3_T4_jRjT5_jjP12ihipStream_tbEUlT_E_NS1_11comp_targetILNS1_3genE10ELNS1_11target_archE1200ELNS1_3gpuE4ELNS1_3repE0EEENS1_44radix_sort_block_sort_config_static_selectorELNS0_4arch9wavefront6targetE1EEEvSJ_
; %bb.0:
	.section	.rodata,"a",@progbits
	.p2align	6, 0x0
	.amdhsa_kernel _ZN7rocprim17ROCPRIM_400000_NS6detail17trampoline_kernelINS0_13kernel_configILj256ELj4ELj4294967295EEENS1_37radix_sort_block_sort_config_selectorItNS0_10empty_typeEEEZNS1_21radix_sort_block_sortIS4_Lb0EN6thrust23THRUST_200600_302600_NS6detail15normal_iteratorINSA_10device_ptrItEEEESF_PS6_SG_NS0_19identity_decomposerEEE10hipError_tT1_T2_T3_T4_jRjT5_jjP12ihipStream_tbEUlT_E_NS1_11comp_targetILNS1_3genE10ELNS1_11target_archE1200ELNS1_3gpuE4ELNS1_3repE0EEENS1_44radix_sort_block_sort_config_static_selectorELNS0_4arch9wavefront6targetE1EEEvSJ_
		.amdhsa_group_segment_fixed_size 0
		.amdhsa_private_segment_fixed_size 0
		.amdhsa_kernarg_size 48
		.amdhsa_user_sgpr_count 2
		.amdhsa_user_sgpr_dispatch_ptr 0
		.amdhsa_user_sgpr_queue_ptr 0
		.amdhsa_user_sgpr_kernarg_segment_ptr 1
		.amdhsa_user_sgpr_dispatch_id 0
		.amdhsa_user_sgpr_kernarg_preload_length 0
		.amdhsa_user_sgpr_kernarg_preload_offset 0
		.amdhsa_user_sgpr_private_segment_size 0
		.amdhsa_uses_dynamic_stack 0
		.amdhsa_enable_private_segment 0
		.amdhsa_system_sgpr_workgroup_id_x 1
		.amdhsa_system_sgpr_workgroup_id_y 0
		.amdhsa_system_sgpr_workgroup_id_z 0
		.amdhsa_system_sgpr_workgroup_info 0
		.amdhsa_system_vgpr_workitem_id 0
		.amdhsa_next_free_vgpr 1
		.amdhsa_next_free_sgpr 0
		.amdhsa_accum_offset 4
		.amdhsa_reserve_vcc 0
		.amdhsa_float_round_mode_32 0
		.amdhsa_float_round_mode_16_64 0
		.amdhsa_float_denorm_mode_32 3
		.amdhsa_float_denorm_mode_16_64 3
		.amdhsa_dx10_clamp 1
		.amdhsa_ieee_mode 1
		.amdhsa_fp16_overflow 0
		.amdhsa_tg_split 0
		.amdhsa_exception_fp_ieee_invalid_op 0
		.amdhsa_exception_fp_denorm_src 0
		.amdhsa_exception_fp_ieee_div_zero 0
		.amdhsa_exception_fp_ieee_overflow 0
		.amdhsa_exception_fp_ieee_underflow 0
		.amdhsa_exception_fp_ieee_inexact 0
		.amdhsa_exception_int_div_zero 0
	.end_amdhsa_kernel
	.section	.text._ZN7rocprim17ROCPRIM_400000_NS6detail17trampoline_kernelINS0_13kernel_configILj256ELj4ELj4294967295EEENS1_37radix_sort_block_sort_config_selectorItNS0_10empty_typeEEEZNS1_21radix_sort_block_sortIS4_Lb0EN6thrust23THRUST_200600_302600_NS6detail15normal_iteratorINSA_10device_ptrItEEEESF_PS6_SG_NS0_19identity_decomposerEEE10hipError_tT1_T2_T3_T4_jRjT5_jjP12ihipStream_tbEUlT_E_NS1_11comp_targetILNS1_3genE10ELNS1_11target_archE1200ELNS1_3gpuE4ELNS1_3repE0EEENS1_44radix_sort_block_sort_config_static_selectorELNS0_4arch9wavefront6targetE1EEEvSJ_,"axG",@progbits,_ZN7rocprim17ROCPRIM_400000_NS6detail17trampoline_kernelINS0_13kernel_configILj256ELj4ELj4294967295EEENS1_37radix_sort_block_sort_config_selectorItNS0_10empty_typeEEEZNS1_21radix_sort_block_sortIS4_Lb0EN6thrust23THRUST_200600_302600_NS6detail15normal_iteratorINSA_10device_ptrItEEEESF_PS6_SG_NS0_19identity_decomposerEEE10hipError_tT1_T2_T3_T4_jRjT5_jjP12ihipStream_tbEUlT_E_NS1_11comp_targetILNS1_3genE10ELNS1_11target_archE1200ELNS1_3gpuE4ELNS1_3repE0EEENS1_44radix_sort_block_sort_config_static_selectorELNS0_4arch9wavefront6targetE1EEEvSJ_,comdat
.Lfunc_end1194:
	.size	_ZN7rocprim17ROCPRIM_400000_NS6detail17trampoline_kernelINS0_13kernel_configILj256ELj4ELj4294967295EEENS1_37radix_sort_block_sort_config_selectorItNS0_10empty_typeEEEZNS1_21radix_sort_block_sortIS4_Lb0EN6thrust23THRUST_200600_302600_NS6detail15normal_iteratorINSA_10device_ptrItEEEESF_PS6_SG_NS0_19identity_decomposerEEE10hipError_tT1_T2_T3_T4_jRjT5_jjP12ihipStream_tbEUlT_E_NS1_11comp_targetILNS1_3genE10ELNS1_11target_archE1200ELNS1_3gpuE4ELNS1_3repE0EEENS1_44radix_sort_block_sort_config_static_selectorELNS0_4arch9wavefront6targetE1EEEvSJ_, .Lfunc_end1194-_ZN7rocprim17ROCPRIM_400000_NS6detail17trampoline_kernelINS0_13kernel_configILj256ELj4ELj4294967295EEENS1_37radix_sort_block_sort_config_selectorItNS0_10empty_typeEEEZNS1_21radix_sort_block_sortIS4_Lb0EN6thrust23THRUST_200600_302600_NS6detail15normal_iteratorINSA_10device_ptrItEEEESF_PS6_SG_NS0_19identity_decomposerEEE10hipError_tT1_T2_T3_T4_jRjT5_jjP12ihipStream_tbEUlT_E_NS1_11comp_targetILNS1_3genE10ELNS1_11target_archE1200ELNS1_3gpuE4ELNS1_3repE0EEENS1_44radix_sort_block_sort_config_static_selectorELNS0_4arch9wavefront6targetE1EEEvSJ_
                                        ; -- End function
	.section	.AMDGPU.csdata,"",@progbits
; Kernel info:
; codeLenInByte = 0
; NumSgprs: 6
; NumVgprs: 0
; NumAgprs: 0
; TotalNumVgprs: 0
; ScratchSize: 0
; MemoryBound: 0
; FloatMode: 240
; IeeeMode: 1
; LDSByteSize: 0 bytes/workgroup (compile time only)
; SGPRBlocks: 0
; VGPRBlocks: 0
; NumSGPRsForWavesPerEU: 6
; NumVGPRsForWavesPerEU: 1
; AccumOffset: 4
; Occupancy: 8
; WaveLimiterHint : 0
; COMPUTE_PGM_RSRC2:SCRATCH_EN: 0
; COMPUTE_PGM_RSRC2:USER_SGPR: 2
; COMPUTE_PGM_RSRC2:TRAP_HANDLER: 0
; COMPUTE_PGM_RSRC2:TGID_X_EN: 1
; COMPUTE_PGM_RSRC2:TGID_Y_EN: 0
; COMPUTE_PGM_RSRC2:TGID_Z_EN: 0
; COMPUTE_PGM_RSRC2:TIDIG_COMP_CNT: 0
; COMPUTE_PGM_RSRC3_GFX90A:ACCUM_OFFSET: 0
; COMPUTE_PGM_RSRC3_GFX90A:TG_SPLIT: 0
	.section	.text._ZN7rocprim17ROCPRIM_400000_NS6detail17trampoline_kernelINS0_13kernel_configILj256ELj4ELj4294967295EEENS1_37radix_sort_block_sort_config_selectorItNS0_10empty_typeEEEZNS1_21radix_sort_block_sortIS4_Lb0EN6thrust23THRUST_200600_302600_NS6detail15normal_iteratorINSA_10device_ptrItEEEESF_PS6_SG_NS0_19identity_decomposerEEE10hipError_tT1_T2_T3_T4_jRjT5_jjP12ihipStream_tbEUlT_E_NS1_11comp_targetILNS1_3genE9ELNS1_11target_archE1100ELNS1_3gpuE3ELNS1_3repE0EEENS1_44radix_sort_block_sort_config_static_selectorELNS0_4arch9wavefront6targetE1EEEvSJ_,"axG",@progbits,_ZN7rocprim17ROCPRIM_400000_NS6detail17trampoline_kernelINS0_13kernel_configILj256ELj4ELj4294967295EEENS1_37radix_sort_block_sort_config_selectorItNS0_10empty_typeEEEZNS1_21radix_sort_block_sortIS4_Lb0EN6thrust23THRUST_200600_302600_NS6detail15normal_iteratorINSA_10device_ptrItEEEESF_PS6_SG_NS0_19identity_decomposerEEE10hipError_tT1_T2_T3_T4_jRjT5_jjP12ihipStream_tbEUlT_E_NS1_11comp_targetILNS1_3genE9ELNS1_11target_archE1100ELNS1_3gpuE3ELNS1_3repE0EEENS1_44radix_sort_block_sort_config_static_selectorELNS0_4arch9wavefront6targetE1EEEvSJ_,comdat
	.protected	_ZN7rocprim17ROCPRIM_400000_NS6detail17trampoline_kernelINS0_13kernel_configILj256ELj4ELj4294967295EEENS1_37radix_sort_block_sort_config_selectorItNS0_10empty_typeEEEZNS1_21radix_sort_block_sortIS4_Lb0EN6thrust23THRUST_200600_302600_NS6detail15normal_iteratorINSA_10device_ptrItEEEESF_PS6_SG_NS0_19identity_decomposerEEE10hipError_tT1_T2_T3_T4_jRjT5_jjP12ihipStream_tbEUlT_E_NS1_11comp_targetILNS1_3genE9ELNS1_11target_archE1100ELNS1_3gpuE3ELNS1_3repE0EEENS1_44radix_sort_block_sort_config_static_selectorELNS0_4arch9wavefront6targetE1EEEvSJ_ ; -- Begin function _ZN7rocprim17ROCPRIM_400000_NS6detail17trampoline_kernelINS0_13kernel_configILj256ELj4ELj4294967295EEENS1_37radix_sort_block_sort_config_selectorItNS0_10empty_typeEEEZNS1_21radix_sort_block_sortIS4_Lb0EN6thrust23THRUST_200600_302600_NS6detail15normal_iteratorINSA_10device_ptrItEEEESF_PS6_SG_NS0_19identity_decomposerEEE10hipError_tT1_T2_T3_T4_jRjT5_jjP12ihipStream_tbEUlT_E_NS1_11comp_targetILNS1_3genE9ELNS1_11target_archE1100ELNS1_3gpuE3ELNS1_3repE0EEENS1_44radix_sort_block_sort_config_static_selectorELNS0_4arch9wavefront6targetE1EEEvSJ_
	.globl	_ZN7rocprim17ROCPRIM_400000_NS6detail17trampoline_kernelINS0_13kernel_configILj256ELj4ELj4294967295EEENS1_37radix_sort_block_sort_config_selectorItNS0_10empty_typeEEEZNS1_21radix_sort_block_sortIS4_Lb0EN6thrust23THRUST_200600_302600_NS6detail15normal_iteratorINSA_10device_ptrItEEEESF_PS6_SG_NS0_19identity_decomposerEEE10hipError_tT1_T2_T3_T4_jRjT5_jjP12ihipStream_tbEUlT_E_NS1_11comp_targetILNS1_3genE9ELNS1_11target_archE1100ELNS1_3gpuE3ELNS1_3repE0EEENS1_44radix_sort_block_sort_config_static_selectorELNS0_4arch9wavefront6targetE1EEEvSJ_
	.p2align	8
	.type	_ZN7rocprim17ROCPRIM_400000_NS6detail17trampoline_kernelINS0_13kernel_configILj256ELj4ELj4294967295EEENS1_37radix_sort_block_sort_config_selectorItNS0_10empty_typeEEEZNS1_21radix_sort_block_sortIS4_Lb0EN6thrust23THRUST_200600_302600_NS6detail15normal_iteratorINSA_10device_ptrItEEEESF_PS6_SG_NS0_19identity_decomposerEEE10hipError_tT1_T2_T3_T4_jRjT5_jjP12ihipStream_tbEUlT_E_NS1_11comp_targetILNS1_3genE9ELNS1_11target_archE1100ELNS1_3gpuE3ELNS1_3repE0EEENS1_44radix_sort_block_sort_config_static_selectorELNS0_4arch9wavefront6targetE1EEEvSJ_,@function
_ZN7rocprim17ROCPRIM_400000_NS6detail17trampoline_kernelINS0_13kernel_configILj256ELj4ELj4294967295EEENS1_37radix_sort_block_sort_config_selectorItNS0_10empty_typeEEEZNS1_21radix_sort_block_sortIS4_Lb0EN6thrust23THRUST_200600_302600_NS6detail15normal_iteratorINSA_10device_ptrItEEEESF_PS6_SG_NS0_19identity_decomposerEEE10hipError_tT1_T2_T3_T4_jRjT5_jjP12ihipStream_tbEUlT_E_NS1_11comp_targetILNS1_3genE9ELNS1_11target_archE1100ELNS1_3gpuE3ELNS1_3repE0EEENS1_44radix_sort_block_sort_config_static_selectorELNS0_4arch9wavefront6targetE1EEEvSJ_: ; @_ZN7rocprim17ROCPRIM_400000_NS6detail17trampoline_kernelINS0_13kernel_configILj256ELj4ELj4294967295EEENS1_37radix_sort_block_sort_config_selectorItNS0_10empty_typeEEEZNS1_21radix_sort_block_sortIS4_Lb0EN6thrust23THRUST_200600_302600_NS6detail15normal_iteratorINSA_10device_ptrItEEEESF_PS6_SG_NS0_19identity_decomposerEEE10hipError_tT1_T2_T3_T4_jRjT5_jjP12ihipStream_tbEUlT_E_NS1_11comp_targetILNS1_3genE9ELNS1_11target_archE1100ELNS1_3gpuE3ELNS1_3repE0EEENS1_44radix_sort_block_sort_config_static_selectorELNS0_4arch9wavefront6targetE1EEEvSJ_
; %bb.0:
	.section	.rodata,"a",@progbits
	.p2align	6, 0x0
	.amdhsa_kernel _ZN7rocprim17ROCPRIM_400000_NS6detail17trampoline_kernelINS0_13kernel_configILj256ELj4ELj4294967295EEENS1_37radix_sort_block_sort_config_selectorItNS0_10empty_typeEEEZNS1_21radix_sort_block_sortIS4_Lb0EN6thrust23THRUST_200600_302600_NS6detail15normal_iteratorINSA_10device_ptrItEEEESF_PS6_SG_NS0_19identity_decomposerEEE10hipError_tT1_T2_T3_T4_jRjT5_jjP12ihipStream_tbEUlT_E_NS1_11comp_targetILNS1_3genE9ELNS1_11target_archE1100ELNS1_3gpuE3ELNS1_3repE0EEENS1_44radix_sort_block_sort_config_static_selectorELNS0_4arch9wavefront6targetE1EEEvSJ_
		.amdhsa_group_segment_fixed_size 0
		.amdhsa_private_segment_fixed_size 0
		.amdhsa_kernarg_size 48
		.amdhsa_user_sgpr_count 2
		.amdhsa_user_sgpr_dispatch_ptr 0
		.amdhsa_user_sgpr_queue_ptr 0
		.amdhsa_user_sgpr_kernarg_segment_ptr 1
		.amdhsa_user_sgpr_dispatch_id 0
		.amdhsa_user_sgpr_kernarg_preload_length 0
		.amdhsa_user_sgpr_kernarg_preload_offset 0
		.amdhsa_user_sgpr_private_segment_size 0
		.amdhsa_uses_dynamic_stack 0
		.amdhsa_enable_private_segment 0
		.amdhsa_system_sgpr_workgroup_id_x 1
		.amdhsa_system_sgpr_workgroup_id_y 0
		.amdhsa_system_sgpr_workgroup_id_z 0
		.amdhsa_system_sgpr_workgroup_info 0
		.amdhsa_system_vgpr_workitem_id 0
		.amdhsa_next_free_vgpr 1
		.amdhsa_next_free_sgpr 0
		.amdhsa_accum_offset 4
		.amdhsa_reserve_vcc 0
		.amdhsa_float_round_mode_32 0
		.amdhsa_float_round_mode_16_64 0
		.amdhsa_float_denorm_mode_32 3
		.amdhsa_float_denorm_mode_16_64 3
		.amdhsa_dx10_clamp 1
		.amdhsa_ieee_mode 1
		.amdhsa_fp16_overflow 0
		.amdhsa_tg_split 0
		.amdhsa_exception_fp_ieee_invalid_op 0
		.amdhsa_exception_fp_denorm_src 0
		.amdhsa_exception_fp_ieee_div_zero 0
		.amdhsa_exception_fp_ieee_overflow 0
		.amdhsa_exception_fp_ieee_underflow 0
		.amdhsa_exception_fp_ieee_inexact 0
		.amdhsa_exception_int_div_zero 0
	.end_amdhsa_kernel
	.section	.text._ZN7rocprim17ROCPRIM_400000_NS6detail17trampoline_kernelINS0_13kernel_configILj256ELj4ELj4294967295EEENS1_37radix_sort_block_sort_config_selectorItNS0_10empty_typeEEEZNS1_21radix_sort_block_sortIS4_Lb0EN6thrust23THRUST_200600_302600_NS6detail15normal_iteratorINSA_10device_ptrItEEEESF_PS6_SG_NS0_19identity_decomposerEEE10hipError_tT1_T2_T3_T4_jRjT5_jjP12ihipStream_tbEUlT_E_NS1_11comp_targetILNS1_3genE9ELNS1_11target_archE1100ELNS1_3gpuE3ELNS1_3repE0EEENS1_44radix_sort_block_sort_config_static_selectorELNS0_4arch9wavefront6targetE1EEEvSJ_,"axG",@progbits,_ZN7rocprim17ROCPRIM_400000_NS6detail17trampoline_kernelINS0_13kernel_configILj256ELj4ELj4294967295EEENS1_37radix_sort_block_sort_config_selectorItNS0_10empty_typeEEEZNS1_21radix_sort_block_sortIS4_Lb0EN6thrust23THRUST_200600_302600_NS6detail15normal_iteratorINSA_10device_ptrItEEEESF_PS6_SG_NS0_19identity_decomposerEEE10hipError_tT1_T2_T3_T4_jRjT5_jjP12ihipStream_tbEUlT_E_NS1_11comp_targetILNS1_3genE9ELNS1_11target_archE1100ELNS1_3gpuE3ELNS1_3repE0EEENS1_44radix_sort_block_sort_config_static_selectorELNS0_4arch9wavefront6targetE1EEEvSJ_,comdat
.Lfunc_end1195:
	.size	_ZN7rocprim17ROCPRIM_400000_NS6detail17trampoline_kernelINS0_13kernel_configILj256ELj4ELj4294967295EEENS1_37radix_sort_block_sort_config_selectorItNS0_10empty_typeEEEZNS1_21radix_sort_block_sortIS4_Lb0EN6thrust23THRUST_200600_302600_NS6detail15normal_iteratorINSA_10device_ptrItEEEESF_PS6_SG_NS0_19identity_decomposerEEE10hipError_tT1_T2_T3_T4_jRjT5_jjP12ihipStream_tbEUlT_E_NS1_11comp_targetILNS1_3genE9ELNS1_11target_archE1100ELNS1_3gpuE3ELNS1_3repE0EEENS1_44radix_sort_block_sort_config_static_selectorELNS0_4arch9wavefront6targetE1EEEvSJ_, .Lfunc_end1195-_ZN7rocprim17ROCPRIM_400000_NS6detail17trampoline_kernelINS0_13kernel_configILj256ELj4ELj4294967295EEENS1_37radix_sort_block_sort_config_selectorItNS0_10empty_typeEEEZNS1_21radix_sort_block_sortIS4_Lb0EN6thrust23THRUST_200600_302600_NS6detail15normal_iteratorINSA_10device_ptrItEEEESF_PS6_SG_NS0_19identity_decomposerEEE10hipError_tT1_T2_T3_T4_jRjT5_jjP12ihipStream_tbEUlT_E_NS1_11comp_targetILNS1_3genE9ELNS1_11target_archE1100ELNS1_3gpuE3ELNS1_3repE0EEENS1_44radix_sort_block_sort_config_static_selectorELNS0_4arch9wavefront6targetE1EEEvSJ_
                                        ; -- End function
	.section	.AMDGPU.csdata,"",@progbits
; Kernel info:
; codeLenInByte = 0
; NumSgprs: 6
; NumVgprs: 0
; NumAgprs: 0
; TotalNumVgprs: 0
; ScratchSize: 0
; MemoryBound: 0
; FloatMode: 240
; IeeeMode: 1
; LDSByteSize: 0 bytes/workgroup (compile time only)
; SGPRBlocks: 0
; VGPRBlocks: 0
; NumSGPRsForWavesPerEU: 6
; NumVGPRsForWavesPerEU: 1
; AccumOffset: 4
; Occupancy: 8
; WaveLimiterHint : 0
; COMPUTE_PGM_RSRC2:SCRATCH_EN: 0
; COMPUTE_PGM_RSRC2:USER_SGPR: 2
; COMPUTE_PGM_RSRC2:TRAP_HANDLER: 0
; COMPUTE_PGM_RSRC2:TGID_X_EN: 1
; COMPUTE_PGM_RSRC2:TGID_Y_EN: 0
; COMPUTE_PGM_RSRC2:TGID_Z_EN: 0
; COMPUTE_PGM_RSRC2:TIDIG_COMP_CNT: 0
; COMPUTE_PGM_RSRC3_GFX90A:ACCUM_OFFSET: 0
; COMPUTE_PGM_RSRC3_GFX90A:TG_SPLIT: 0
	.section	.text._ZN7rocprim17ROCPRIM_400000_NS6detail17trampoline_kernelINS0_13kernel_configILj256ELj4ELj4294967295EEENS1_37radix_sort_block_sort_config_selectorItNS0_10empty_typeEEEZNS1_21radix_sort_block_sortIS4_Lb0EN6thrust23THRUST_200600_302600_NS6detail15normal_iteratorINSA_10device_ptrItEEEESF_PS6_SG_NS0_19identity_decomposerEEE10hipError_tT1_T2_T3_T4_jRjT5_jjP12ihipStream_tbEUlT_E_NS1_11comp_targetILNS1_3genE8ELNS1_11target_archE1030ELNS1_3gpuE2ELNS1_3repE0EEENS1_44radix_sort_block_sort_config_static_selectorELNS0_4arch9wavefront6targetE1EEEvSJ_,"axG",@progbits,_ZN7rocprim17ROCPRIM_400000_NS6detail17trampoline_kernelINS0_13kernel_configILj256ELj4ELj4294967295EEENS1_37radix_sort_block_sort_config_selectorItNS0_10empty_typeEEEZNS1_21radix_sort_block_sortIS4_Lb0EN6thrust23THRUST_200600_302600_NS6detail15normal_iteratorINSA_10device_ptrItEEEESF_PS6_SG_NS0_19identity_decomposerEEE10hipError_tT1_T2_T3_T4_jRjT5_jjP12ihipStream_tbEUlT_E_NS1_11comp_targetILNS1_3genE8ELNS1_11target_archE1030ELNS1_3gpuE2ELNS1_3repE0EEENS1_44radix_sort_block_sort_config_static_selectorELNS0_4arch9wavefront6targetE1EEEvSJ_,comdat
	.protected	_ZN7rocprim17ROCPRIM_400000_NS6detail17trampoline_kernelINS0_13kernel_configILj256ELj4ELj4294967295EEENS1_37radix_sort_block_sort_config_selectorItNS0_10empty_typeEEEZNS1_21radix_sort_block_sortIS4_Lb0EN6thrust23THRUST_200600_302600_NS6detail15normal_iteratorINSA_10device_ptrItEEEESF_PS6_SG_NS0_19identity_decomposerEEE10hipError_tT1_T2_T3_T4_jRjT5_jjP12ihipStream_tbEUlT_E_NS1_11comp_targetILNS1_3genE8ELNS1_11target_archE1030ELNS1_3gpuE2ELNS1_3repE0EEENS1_44radix_sort_block_sort_config_static_selectorELNS0_4arch9wavefront6targetE1EEEvSJ_ ; -- Begin function _ZN7rocprim17ROCPRIM_400000_NS6detail17trampoline_kernelINS0_13kernel_configILj256ELj4ELj4294967295EEENS1_37radix_sort_block_sort_config_selectorItNS0_10empty_typeEEEZNS1_21radix_sort_block_sortIS4_Lb0EN6thrust23THRUST_200600_302600_NS6detail15normal_iteratorINSA_10device_ptrItEEEESF_PS6_SG_NS0_19identity_decomposerEEE10hipError_tT1_T2_T3_T4_jRjT5_jjP12ihipStream_tbEUlT_E_NS1_11comp_targetILNS1_3genE8ELNS1_11target_archE1030ELNS1_3gpuE2ELNS1_3repE0EEENS1_44radix_sort_block_sort_config_static_selectorELNS0_4arch9wavefront6targetE1EEEvSJ_
	.globl	_ZN7rocprim17ROCPRIM_400000_NS6detail17trampoline_kernelINS0_13kernel_configILj256ELj4ELj4294967295EEENS1_37radix_sort_block_sort_config_selectorItNS0_10empty_typeEEEZNS1_21radix_sort_block_sortIS4_Lb0EN6thrust23THRUST_200600_302600_NS6detail15normal_iteratorINSA_10device_ptrItEEEESF_PS6_SG_NS0_19identity_decomposerEEE10hipError_tT1_T2_T3_T4_jRjT5_jjP12ihipStream_tbEUlT_E_NS1_11comp_targetILNS1_3genE8ELNS1_11target_archE1030ELNS1_3gpuE2ELNS1_3repE0EEENS1_44radix_sort_block_sort_config_static_selectorELNS0_4arch9wavefront6targetE1EEEvSJ_
	.p2align	8
	.type	_ZN7rocprim17ROCPRIM_400000_NS6detail17trampoline_kernelINS0_13kernel_configILj256ELj4ELj4294967295EEENS1_37radix_sort_block_sort_config_selectorItNS0_10empty_typeEEEZNS1_21radix_sort_block_sortIS4_Lb0EN6thrust23THRUST_200600_302600_NS6detail15normal_iteratorINSA_10device_ptrItEEEESF_PS6_SG_NS0_19identity_decomposerEEE10hipError_tT1_T2_T3_T4_jRjT5_jjP12ihipStream_tbEUlT_E_NS1_11comp_targetILNS1_3genE8ELNS1_11target_archE1030ELNS1_3gpuE2ELNS1_3repE0EEENS1_44radix_sort_block_sort_config_static_selectorELNS0_4arch9wavefront6targetE1EEEvSJ_,@function
_ZN7rocprim17ROCPRIM_400000_NS6detail17trampoline_kernelINS0_13kernel_configILj256ELj4ELj4294967295EEENS1_37radix_sort_block_sort_config_selectorItNS0_10empty_typeEEEZNS1_21radix_sort_block_sortIS4_Lb0EN6thrust23THRUST_200600_302600_NS6detail15normal_iteratorINSA_10device_ptrItEEEESF_PS6_SG_NS0_19identity_decomposerEEE10hipError_tT1_T2_T3_T4_jRjT5_jjP12ihipStream_tbEUlT_E_NS1_11comp_targetILNS1_3genE8ELNS1_11target_archE1030ELNS1_3gpuE2ELNS1_3repE0EEENS1_44radix_sort_block_sort_config_static_selectorELNS0_4arch9wavefront6targetE1EEEvSJ_: ; @_ZN7rocprim17ROCPRIM_400000_NS6detail17trampoline_kernelINS0_13kernel_configILj256ELj4ELj4294967295EEENS1_37radix_sort_block_sort_config_selectorItNS0_10empty_typeEEEZNS1_21radix_sort_block_sortIS4_Lb0EN6thrust23THRUST_200600_302600_NS6detail15normal_iteratorINSA_10device_ptrItEEEESF_PS6_SG_NS0_19identity_decomposerEEE10hipError_tT1_T2_T3_T4_jRjT5_jjP12ihipStream_tbEUlT_E_NS1_11comp_targetILNS1_3genE8ELNS1_11target_archE1030ELNS1_3gpuE2ELNS1_3repE0EEENS1_44radix_sort_block_sort_config_static_selectorELNS0_4arch9wavefront6targetE1EEEvSJ_
; %bb.0:
	.section	.rodata,"a",@progbits
	.p2align	6, 0x0
	.amdhsa_kernel _ZN7rocprim17ROCPRIM_400000_NS6detail17trampoline_kernelINS0_13kernel_configILj256ELj4ELj4294967295EEENS1_37radix_sort_block_sort_config_selectorItNS0_10empty_typeEEEZNS1_21radix_sort_block_sortIS4_Lb0EN6thrust23THRUST_200600_302600_NS6detail15normal_iteratorINSA_10device_ptrItEEEESF_PS6_SG_NS0_19identity_decomposerEEE10hipError_tT1_T2_T3_T4_jRjT5_jjP12ihipStream_tbEUlT_E_NS1_11comp_targetILNS1_3genE8ELNS1_11target_archE1030ELNS1_3gpuE2ELNS1_3repE0EEENS1_44radix_sort_block_sort_config_static_selectorELNS0_4arch9wavefront6targetE1EEEvSJ_
		.amdhsa_group_segment_fixed_size 0
		.amdhsa_private_segment_fixed_size 0
		.amdhsa_kernarg_size 48
		.amdhsa_user_sgpr_count 2
		.amdhsa_user_sgpr_dispatch_ptr 0
		.amdhsa_user_sgpr_queue_ptr 0
		.amdhsa_user_sgpr_kernarg_segment_ptr 1
		.amdhsa_user_sgpr_dispatch_id 0
		.amdhsa_user_sgpr_kernarg_preload_length 0
		.amdhsa_user_sgpr_kernarg_preload_offset 0
		.amdhsa_user_sgpr_private_segment_size 0
		.amdhsa_uses_dynamic_stack 0
		.amdhsa_enable_private_segment 0
		.amdhsa_system_sgpr_workgroup_id_x 1
		.amdhsa_system_sgpr_workgroup_id_y 0
		.amdhsa_system_sgpr_workgroup_id_z 0
		.amdhsa_system_sgpr_workgroup_info 0
		.amdhsa_system_vgpr_workitem_id 0
		.amdhsa_next_free_vgpr 1
		.amdhsa_next_free_sgpr 0
		.amdhsa_accum_offset 4
		.amdhsa_reserve_vcc 0
		.amdhsa_float_round_mode_32 0
		.amdhsa_float_round_mode_16_64 0
		.amdhsa_float_denorm_mode_32 3
		.amdhsa_float_denorm_mode_16_64 3
		.amdhsa_dx10_clamp 1
		.amdhsa_ieee_mode 1
		.amdhsa_fp16_overflow 0
		.amdhsa_tg_split 0
		.amdhsa_exception_fp_ieee_invalid_op 0
		.amdhsa_exception_fp_denorm_src 0
		.amdhsa_exception_fp_ieee_div_zero 0
		.amdhsa_exception_fp_ieee_overflow 0
		.amdhsa_exception_fp_ieee_underflow 0
		.amdhsa_exception_fp_ieee_inexact 0
		.amdhsa_exception_int_div_zero 0
	.end_amdhsa_kernel
	.section	.text._ZN7rocprim17ROCPRIM_400000_NS6detail17trampoline_kernelINS0_13kernel_configILj256ELj4ELj4294967295EEENS1_37radix_sort_block_sort_config_selectorItNS0_10empty_typeEEEZNS1_21radix_sort_block_sortIS4_Lb0EN6thrust23THRUST_200600_302600_NS6detail15normal_iteratorINSA_10device_ptrItEEEESF_PS6_SG_NS0_19identity_decomposerEEE10hipError_tT1_T2_T3_T4_jRjT5_jjP12ihipStream_tbEUlT_E_NS1_11comp_targetILNS1_3genE8ELNS1_11target_archE1030ELNS1_3gpuE2ELNS1_3repE0EEENS1_44radix_sort_block_sort_config_static_selectorELNS0_4arch9wavefront6targetE1EEEvSJ_,"axG",@progbits,_ZN7rocprim17ROCPRIM_400000_NS6detail17trampoline_kernelINS0_13kernel_configILj256ELj4ELj4294967295EEENS1_37radix_sort_block_sort_config_selectorItNS0_10empty_typeEEEZNS1_21radix_sort_block_sortIS4_Lb0EN6thrust23THRUST_200600_302600_NS6detail15normal_iteratorINSA_10device_ptrItEEEESF_PS6_SG_NS0_19identity_decomposerEEE10hipError_tT1_T2_T3_T4_jRjT5_jjP12ihipStream_tbEUlT_E_NS1_11comp_targetILNS1_3genE8ELNS1_11target_archE1030ELNS1_3gpuE2ELNS1_3repE0EEENS1_44radix_sort_block_sort_config_static_selectorELNS0_4arch9wavefront6targetE1EEEvSJ_,comdat
.Lfunc_end1196:
	.size	_ZN7rocprim17ROCPRIM_400000_NS6detail17trampoline_kernelINS0_13kernel_configILj256ELj4ELj4294967295EEENS1_37radix_sort_block_sort_config_selectorItNS0_10empty_typeEEEZNS1_21radix_sort_block_sortIS4_Lb0EN6thrust23THRUST_200600_302600_NS6detail15normal_iteratorINSA_10device_ptrItEEEESF_PS6_SG_NS0_19identity_decomposerEEE10hipError_tT1_T2_T3_T4_jRjT5_jjP12ihipStream_tbEUlT_E_NS1_11comp_targetILNS1_3genE8ELNS1_11target_archE1030ELNS1_3gpuE2ELNS1_3repE0EEENS1_44radix_sort_block_sort_config_static_selectorELNS0_4arch9wavefront6targetE1EEEvSJ_, .Lfunc_end1196-_ZN7rocprim17ROCPRIM_400000_NS6detail17trampoline_kernelINS0_13kernel_configILj256ELj4ELj4294967295EEENS1_37radix_sort_block_sort_config_selectorItNS0_10empty_typeEEEZNS1_21radix_sort_block_sortIS4_Lb0EN6thrust23THRUST_200600_302600_NS6detail15normal_iteratorINSA_10device_ptrItEEEESF_PS6_SG_NS0_19identity_decomposerEEE10hipError_tT1_T2_T3_T4_jRjT5_jjP12ihipStream_tbEUlT_E_NS1_11comp_targetILNS1_3genE8ELNS1_11target_archE1030ELNS1_3gpuE2ELNS1_3repE0EEENS1_44radix_sort_block_sort_config_static_selectorELNS0_4arch9wavefront6targetE1EEEvSJ_
                                        ; -- End function
	.section	.AMDGPU.csdata,"",@progbits
; Kernel info:
; codeLenInByte = 0
; NumSgprs: 6
; NumVgprs: 0
; NumAgprs: 0
; TotalNumVgprs: 0
; ScratchSize: 0
; MemoryBound: 0
; FloatMode: 240
; IeeeMode: 1
; LDSByteSize: 0 bytes/workgroup (compile time only)
; SGPRBlocks: 0
; VGPRBlocks: 0
; NumSGPRsForWavesPerEU: 6
; NumVGPRsForWavesPerEU: 1
; AccumOffset: 4
; Occupancy: 8
; WaveLimiterHint : 0
; COMPUTE_PGM_RSRC2:SCRATCH_EN: 0
; COMPUTE_PGM_RSRC2:USER_SGPR: 2
; COMPUTE_PGM_RSRC2:TRAP_HANDLER: 0
; COMPUTE_PGM_RSRC2:TGID_X_EN: 1
; COMPUTE_PGM_RSRC2:TGID_Y_EN: 0
; COMPUTE_PGM_RSRC2:TGID_Z_EN: 0
; COMPUTE_PGM_RSRC2:TIDIG_COMP_CNT: 0
; COMPUTE_PGM_RSRC3_GFX90A:ACCUM_OFFSET: 0
; COMPUTE_PGM_RSRC3_GFX90A:TG_SPLIT: 0
	.section	.text._ZN7rocprim17ROCPRIM_400000_NS6detail44device_merge_sort_compile_time_verifier_archINS1_11comp_targetILNS1_3genE0ELNS1_11target_archE4294967295ELNS1_3gpuE0ELNS1_3repE0EEES8_NS1_28merge_sort_block_sort_configILj256ELj4ELNS0_20block_sort_algorithmE0EEENS0_14default_configENS1_37merge_sort_block_sort_config_selectorItNS0_10empty_typeEEENS1_38merge_sort_block_merge_config_selectorItSE_EEEEvv,"axG",@progbits,_ZN7rocprim17ROCPRIM_400000_NS6detail44device_merge_sort_compile_time_verifier_archINS1_11comp_targetILNS1_3genE0ELNS1_11target_archE4294967295ELNS1_3gpuE0ELNS1_3repE0EEES8_NS1_28merge_sort_block_sort_configILj256ELj4ELNS0_20block_sort_algorithmE0EEENS0_14default_configENS1_37merge_sort_block_sort_config_selectorItNS0_10empty_typeEEENS1_38merge_sort_block_merge_config_selectorItSE_EEEEvv,comdat
	.protected	_ZN7rocprim17ROCPRIM_400000_NS6detail44device_merge_sort_compile_time_verifier_archINS1_11comp_targetILNS1_3genE0ELNS1_11target_archE4294967295ELNS1_3gpuE0ELNS1_3repE0EEES8_NS1_28merge_sort_block_sort_configILj256ELj4ELNS0_20block_sort_algorithmE0EEENS0_14default_configENS1_37merge_sort_block_sort_config_selectorItNS0_10empty_typeEEENS1_38merge_sort_block_merge_config_selectorItSE_EEEEvv ; -- Begin function _ZN7rocprim17ROCPRIM_400000_NS6detail44device_merge_sort_compile_time_verifier_archINS1_11comp_targetILNS1_3genE0ELNS1_11target_archE4294967295ELNS1_3gpuE0ELNS1_3repE0EEES8_NS1_28merge_sort_block_sort_configILj256ELj4ELNS0_20block_sort_algorithmE0EEENS0_14default_configENS1_37merge_sort_block_sort_config_selectorItNS0_10empty_typeEEENS1_38merge_sort_block_merge_config_selectorItSE_EEEEvv
	.globl	_ZN7rocprim17ROCPRIM_400000_NS6detail44device_merge_sort_compile_time_verifier_archINS1_11comp_targetILNS1_3genE0ELNS1_11target_archE4294967295ELNS1_3gpuE0ELNS1_3repE0EEES8_NS1_28merge_sort_block_sort_configILj256ELj4ELNS0_20block_sort_algorithmE0EEENS0_14default_configENS1_37merge_sort_block_sort_config_selectorItNS0_10empty_typeEEENS1_38merge_sort_block_merge_config_selectorItSE_EEEEvv
	.p2align	8
	.type	_ZN7rocprim17ROCPRIM_400000_NS6detail44device_merge_sort_compile_time_verifier_archINS1_11comp_targetILNS1_3genE0ELNS1_11target_archE4294967295ELNS1_3gpuE0ELNS1_3repE0EEES8_NS1_28merge_sort_block_sort_configILj256ELj4ELNS0_20block_sort_algorithmE0EEENS0_14default_configENS1_37merge_sort_block_sort_config_selectorItNS0_10empty_typeEEENS1_38merge_sort_block_merge_config_selectorItSE_EEEEvv,@function
_ZN7rocprim17ROCPRIM_400000_NS6detail44device_merge_sort_compile_time_verifier_archINS1_11comp_targetILNS1_3genE0ELNS1_11target_archE4294967295ELNS1_3gpuE0ELNS1_3repE0EEES8_NS1_28merge_sort_block_sort_configILj256ELj4ELNS0_20block_sort_algorithmE0EEENS0_14default_configENS1_37merge_sort_block_sort_config_selectorItNS0_10empty_typeEEENS1_38merge_sort_block_merge_config_selectorItSE_EEEEvv: ; @_ZN7rocprim17ROCPRIM_400000_NS6detail44device_merge_sort_compile_time_verifier_archINS1_11comp_targetILNS1_3genE0ELNS1_11target_archE4294967295ELNS1_3gpuE0ELNS1_3repE0EEES8_NS1_28merge_sort_block_sort_configILj256ELj4ELNS0_20block_sort_algorithmE0EEENS0_14default_configENS1_37merge_sort_block_sort_config_selectorItNS0_10empty_typeEEENS1_38merge_sort_block_merge_config_selectorItSE_EEEEvv
; %bb.0:
	s_endpgm
	.section	.rodata,"a",@progbits
	.p2align	6, 0x0
	.amdhsa_kernel _ZN7rocprim17ROCPRIM_400000_NS6detail44device_merge_sort_compile_time_verifier_archINS1_11comp_targetILNS1_3genE0ELNS1_11target_archE4294967295ELNS1_3gpuE0ELNS1_3repE0EEES8_NS1_28merge_sort_block_sort_configILj256ELj4ELNS0_20block_sort_algorithmE0EEENS0_14default_configENS1_37merge_sort_block_sort_config_selectorItNS0_10empty_typeEEENS1_38merge_sort_block_merge_config_selectorItSE_EEEEvv
		.amdhsa_group_segment_fixed_size 0
		.amdhsa_private_segment_fixed_size 0
		.amdhsa_kernarg_size 0
		.amdhsa_user_sgpr_count 0
		.amdhsa_user_sgpr_dispatch_ptr 0
		.amdhsa_user_sgpr_queue_ptr 0
		.amdhsa_user_sgpr_kernarg_segment_ptr 0
		.amdhsa_user_sgpr_dispatch_id 0
		.amdhsa_user_sgpr_kernarg_preload_length 0
		.amdhsa_user_sgpr_kernarg_preload_offset 0
		.amdhsa_user_sgpr_private_segment_size 0
		.amdhsa_uses_dynamic_stack 0
		.amdhsa_enable_private_segment 0
		.amdhsa_system_sgpr_workgroup_id_x 1
		.amdhsa_system_sgpr_workgroup_id_y 0
		.amdhsa_system_sgpr_workgroup_id_z 0
		.amdhsa_system_sgpr_workgroup_info 0
		.amdhsa_system_vgpr_workitem_id 0
		.amdhsa_next_free_vgpr 1
		.amdhsa_next_free_sgpr 0
		.amdhsa_accum_offset 4
		.amdhsa_reserve_vcc 0
		.amdhsa_float_round_mode_32 0
		.amdhsa_float_round_mode_16_64 0
		.amdhsa_float_denorm_mode_32 3
		.amdhsa_float_denorm_mode_16_64 3
		.amdhsa_dx10_clamp 1
		.amdhsa_ieee_mode 1
		.amdhsa_fp16_overflow 0
		.amdhsa_tg_split 0
		.amdhsa_exception_fp_ieee_invalid_op 0
		.amdhsa_exception_fp_denorm_src 0
		.amdhsa_exception_fp_ieee_div_zero 0
		.amdhsa_exception_fp_ieee_overflow 0
		.amdhsa_exception_fp_ieee_underflow 0
		.amdhsa_exception_fp_ieee_inexact 0
		.amdhsa_exception_int_div_zero 0
	.end_amdhsa_kernel
	.section	.text._ZN7rocprim17ROCPRIM_400000_NS6detail44device_merge_sort_compile_time_verifier_archINS1_11comp_targetILNS1_3genE0ELNS1_11target_archE4294967295ELNS1_3gpuE0ELNS1_3repE0EEES8_NS1_28merge_sort_block_sort_configILj256ELj4ELNS0_20block_sort_algorithmE0EEENS0_14default_configENS1_37merge_sort_block_sort_config_selectorItNS0_10empty_typeEEENS1_38merge_sort_block_merge_config_selectorItSE_EEEEvv,"axG",@progbits,_ZN7rocprim17ROCPRIM_400000_NS6detail44device_merge_sort_compile_time_verifier_archINS1_11comp_targetILNS1_3genE0ELNS1_11target_archE4294967295ELNS1_3gpuE0ELNS1_3repE0EEES8_NS1_28merge_sort_block_sort_configILj256ELj4ELNS0_20block_sort_algorithmE0EEENS0_14default_configENS1_37merge_sort_block_sort_config_selectorItNS0_10empty_typeEEENS1_38merge_sort_block_merge_config_selectorItSE_EEEEvv,comdat
.Lfunc_end1197:
	.size	_ZN7rocprim17ROCPRIM_400000_NS6detail44device_merge_sort_compile_time_verifier_archINS1_11comp_targetILNS1_3genE0ELNS1_11target_archE4294967295ELNS1_3gpuE0ELNS1_3repE0EEES8_NS1_28merge_sort_block_sort_configILj256ELj4ELNS0_20block_sort_algorithmE0EEENS0_14default_configENS1_37merge_sort_block_sort_config_selectorItNS0_10empty_typeEEENS1_38merge_sort_block_merge_config_selectorItSE_EEEEvv, .Lfunc_end1197-_ZN7rocprim17ROCPRIM_400000_NS6detail44device_merge_sort_compile_time_verifier_archINS1_11comp_targetILNS1_3genE0ELNS1_11target_archE4294967295ELNS1_3gpuE0ELNS1_3repE0EEES8_NS1_28merge_sort_block_sort_configILj256ELj4ELNS0_20block_sort_algorithmE0EEENS0_14default_configENS1_37merge_sort_block_sort_config_selectorItNS0_10empty_typeEEENS1_38merge_sort_block_merge_config_selectorItSE_EEEEvv
                                        ; -- End function
	.section	.AMDGPU.csdata,"",@progbits
; Kernel info:
; codeLenInByte = 4
; NumSgprs: 6
; NumVgprs: 0
; NumAgprs: 0
; TotalNumVgprs: 0
; ScratchSize: 0
; MemoryBound: 0
; FloatMode: 240
; IeeeMode: 1
; LDSByteSize: 0 bytes/workgroup (compile time only)
; SGPRBlocks: 0
; VGPRBlocks: 0
; NumSGPRsForWavesPerEU: 6
; NumVGPRsForWavesPerEU: 1
; AccumOffset: 4
; Occupancy: 8
; WaveLimiterHint : 0
; COMPUTE_PGM_RSRC2:SCRATCH_EN: 0
; COMPUTE_PGM_RSRC2:USER_SGPR: 0
; COMPUTE_PGM_RSRC2:TRAP_HANDLER: 0
; COMPUTE_PGM_RSRC2:TGID_X_EN: 1
; COMPUTE_PGM_RSRC2:TGID_Y_EN: 0
; COMPUTE_PGM_RSRC2:TGID_Z_EN: 0
; COMPUTE_PGM_RSRC2:TIDIG_COMP_CNT: 0
; COMPUTE_PGM_RSRC3_GFX90A:ACCUM_OFFSET: 0
; COMPUTE_PGM_RSRC3_GFX90A:TG_SPLIT: 0
	.section	.text._ZN7rocprim17ROCPRIM_400000_NS6detail44device_merge_sort_compile_time_verifier_archINS1_11comp_targetILNS1_3genE5ELNS1_11target_archE942ELNS1_3gpuE9ELNS1_3repE0EEES8_NS1_28merge_sort_block_sort_configILj256ELj4ELNS0_20block_sort_algorithmE0EEENS0_14default_configENS1_37merge_sort_block_sort_config_selectorItNS0_10empty_typeEEENS1_38merge_sort_block_merge_config_selectorItSE_EEEEvv,"axG",@progbits,_ZN7rocprim17ROCPRIM_400000_NS6detail44device_merge_sort_compile_time_verifier_archINS1_11comp_targetILNS1_3genE5ELNS1_11target_archE942ELNS1_3gpuE9ELNS1_3repE0EEES8_NS1_28merge_sort_block_sort_configILj256ELj4ELNS0_20block_sort_algorithmE0EEENS0_14default_configENS1_37merge_sort_block_sort_config_selectorItNS0_10empty_typeEEENS1_38merge_sort_block_merge_config_selectorItSE_EEEEvv,comdat
	.protected	_ZN7rocprim17ROCPRIM_400000_NS6detail44device_merge_sort_compile_time_verifier_archINS1_11comp_targetILNS1_3genE5ELNS1_11target_archE942ELNS1_3gpuE9ELNS1_3repE0EEES8_NS1_28merge_sort_block_sort_configILj256ELj4ELNS0_20block_sort_algorithmE0EEENS0_14default_configENS1_37merge_sort_block_sort_config_selectorItNS0_10empty_typeEEENS1_38merge_sort_block_merge_config_selectorItSE_EEEEvv ; -- Begin function _ZN7rocprim17ROCPRIM_400000_NS6detail44device_merge_sort_compile_time_verifier_archINS1_11comp_targetILNS1_3genE5ELNS1_11target_archE942ELNS1_3gpuE9ELNS1_3repE0EEES8_NS1_28merge_sort_block_sort_configILj256ELj4ELNS0_20block_sort_algorithmE0EEENS0_14default_configENS1_37merge_sort_block_sort_config_selectorItNS0_10empty_typeEEENS1_38merge_sort_block_merge_config_selectorItSE_EEEEvv
	.globl	_ZN7rocprim17ROCPRIM_400000_NS6detail44device_merge_sort_compile_time_verifier_archINS1_11comp_targetILNS1_3genE5ELNS1_11target_archE942ELNS1_3gpuE9ELNS1_3repE0EEES8_NS1_28merge_sort_block_sort_configILj256ELj4ELNS0_20block_sort_algorithmE0EEENS0_14default_configENS1_37merge_sort_block_sort_config_selectorItNS0_10empty_typeEEENS1_38merge_sort_block_merge_config_selectorItSE_EEEEvv
	.p2align	8
	.type	_ZN7rocprim17ROCPRIM_400000_NS6detail44device_merge_sort_compile_time_verifier_archINS1_11comp_targetILNS1_3genE5ELNS1_11target_archE942ELNS1_3gpuE9ELNS1_3repE0EEES8_NS1_28merge_sort_block_sort_configILj256ELj4ELNS0_20block_sort_algorithmE0EEENS0_14default_configENS1_37merge_sort_block_sort_config_selectorItNS0_10empty_typeEEENS1_38merge_sort_block_merge_config_selectorItSE_EEEEvv,@function
_ZN7rocprim17ROCPRIM_400000_NS6detail44device_merge_sort_compile_time_verifier_archINS1_11comp_targetILNS1_3genE5ELNS1_11target_archE942ELNS1_3gpuE9ELNS1_3repE0EEES8_NS1_28merge_sort_block_sort_configILj256ELj4ELNS0_20block_sort_algorithmE0EEENS0_14default_configENS1_37merge_sort_block_sort_config_selectorItNS0_10empty_typeEEENS1_38merge_sort_block_merge_config_selectorItSE_EEEEvv: ; @_ZN7rocprim17ROCPRIM_400000_NS6detail44device_merge_sort_compile_time_verifier_archINS1_11comp_targetILNS1_3genE5ELNS1_11target_archE942ELNS1_3gpuE9ELNS1_3repE0EEES8_NS1_28merge_sort_block_sort_configILj256ELj4ELNS0_20block_sort_algorithmE0EEENS0_14default_configENS1_37merge_sort_block_sort_config_selectorItNS0_10empty_typeEEENS1_38merge_sort_block_merge_config_selectorItSE_EEEEvv
; %bb.0:
	s_endpgm
	.section	.rodata,"a",@progbits
	.p2align	6, 0x0
	.amdhsa_kernel _ZN7rocprim17ROCPRIM_400000_NS6detail44device_merge_sort_compile_time_verifier_archINS1_11comp_targetILNS1_3genE5ELNS1_11target_archE942ELNS1_3gpuE9ELNS1_3repE0EEES8_NS1_28merge_sort_block_sort_configILj256ELj4ELNS0_20block_sort_algorithmE0EEENS0_14default_configENS1_37merge_sort_block_sort_config_selectorItNS0_10empty_typeEEENS1_38merge_sort_block_merge_config_selectorItSE_EEEEvv
		.amdhsa_group_segment_fixed_size 0
		.amdhsa_private_segment_fixed_size 0
		.amdhsa_kernarg_size 0
		.amdhsa_user_sgpr_count 0
		.amdhsa_user_sgpr_dispatch_ptr 0
		.amdhsa_user_sgpr_queue_ptr 0
		.amdhsa_user_sgpr_kernarg_segment_ptr 0
		.amdhsa_user_sgpr_dispatch_id 0
		.amdhsa_user_sgpr_kernarg_preload_length 0
		.amdhsa_user_sgpr_kernarg_preload_offset 0
		.amdhsa_user_sgpr_private_segment_size 0
		.amdhsa_uses_dynamic_stack 0
		.amdhsa_enable_private_segment 0
		.amdhsa_system_sgpr_workgroup_id_x 1
		.amdhsa_system_sgpr_workgroup_id_y 0
		.amdhsa_system_sgpr_workgroup_id_z 0
		.amdhsa_system_sgpr_workgroup_info 0
		.amdhsa_system_vgpr_workitem_id 0
		.amdhsa_next_free_vgpr 1
		.amdhsa_next_free_sgpr 0
		.amdhsa_accum_offset 4
		.amdhsa_reserve_vcc 0
		.amdhsa_float_round_mode_32 0
		.amdhsa_float_round_mode_16_64 0
		.amdhsa_float_denorm_mode_32 3
		.amdhsa_float_denorm_mode_16_64 3
		.amdhsa_dx10_clamp 1
		.amdhsa_ieee_mode 1
		.amdhsa_fp16_overflow 0
		.amdhsa_tg_split 0
		.amdhsa_exception_fp_ieee_invalid_op 0
		.amdhsa_exception_fp_denorm_src 0
		.amdhsa_exception_fp_ieee_div_zero 0
		.amdhsa_exception_fp_ieee_overflow 0
		.amdhsa_exception_fp_ieee_underflow 0
		.amdhsa_exception_fp_ieee_inexact 0
		.amdhsa_exception_int_div_zero 0
	.end_amdhsa_kernel
	.section	.text._ZN7rocprim17ROCPRIM_400000_NS6detail44device_merge_sort_compile_time_verifier_archINS1_11comp_targetILNS1_3genE5ELNS1_11target_archE942ELNS1_3gpuE9ELNS1_3repE0EEES8_NS1_28merge_sort_block_sort_configILj256ELj4ELNS0_20block_sort_algorithmE0EEENS0_14default_configENS1_37merge_sort_block_sort_config_selectorItNS0_10empty_typeEEENS1_38merge_sort_block_merge_config_selectorItSE_EEEEvv,"axG",@progbits,_ZN7rocprim17ROCPRIM_400000_NS6detail44device_merge_sort_compile_time_verifier_archINS1_11comp_targetILNS1_3genE5ELNS1_11target_archE942ELNS1_3gpuE9ELNS1_3repE0EEES8_NS1_28merge_sort_block_sort_configILj256ELj4ELNS0_20block_sort_algorithmE0EEENS0_14default_configENS1_37merge_sort_block_sort_config_selectorItNS0_10empty_typeEEENS1_38merge_sort_block_merge_config_selectorItSE_EEEEvv,comdat
.Lfunc_end1198:
	.size	_ZN7rocprim17ROCPRIM_400000_NS6detail44device_merge_sort_compile_time_verifier_archINS1_11comp_targetILNS1_3genE5ELNS1_11target_archE942ELNS1_3gpuE9ELNS1_3repE0EEES8_NS1_28merge_sort_block_sort_configILj256ELj4ELNS0_20block_sort_algorithmE0EEENS0_14default_configENS1_37merge_sort_block_sort_config_selectorItNS0_10empty_typeEEENS1_38merge_sort_block_merge_config_selectorItSE_EEEEvv, .Lfunc_end1198-_ZN7rocprim17ROCPRIM_400000_NS6detail44device_merge_sort_compile_time_verifier_archINS1_11comp_targetILNS1_3genE5ELNS1_11target_archE942ELNS1_3gpuE9ELNS1_3repE0EEES8_NS1_28merge_sort_block_sort_configILj256ELj4ELNS0_20block_sort_algorithmE0EEENS0_14default_configENS1_37merge_sort_block_sort_config_selectorItNS0_10empty_typeEEENS1_38merge_sort_block_merge_config_selectorItSE_EEEEvv
                                        ; -- End function
	.section	.AMDGPU.csdata,"",@progbits
; Kernel info:
; codeLenInByte = 4
; NumSgprs: 6
; NumVgprs: 0
; NumAgprs: 0
; TotalNumVgprs: 0
; ScratchSize: 0
; MemoryBound: 0
; FloatMode: 240
; IeeeMode: 1
; LDSByteSize: 0 bytes/workgroup (compile time only)
; SGPRBlocks: 0
; VGPRBlocks: 0
; NumSGPRsForWavesPerEU: 6
; NumVGPRsForWavesPerEU: 1
; AccumOffset: 4
; Occupancy: 8
; WaveLimiterHint : 0
; COMPUTE_PGM_RSRC2:SCRATCH_EN: 0
; COMPUTE_PGM_RSRC2:USER_SGPR: 0
; COMPUTE_PGM_RSRC2:TRAP_HANDLER: 0
; COMPUTE_PGM_RSRC2:TGID_X_EN: 1
; COMPUTE_PGM_RSRC2:TGID_Y_EN: 0
; COMPUTE_PGM_RSRC2:TGID_Z_EN: 0
; COMPUTE_PGM_RSRC2:TIDIG_COMP_CNT: 0
; COMPUTE_PGM_RSRC3_GFX90A:ACCUM_OFFSET: 0
; COMPUTE_PGM_RSRC3_GFX90A:TG_SPLIT: 0
	.section	.text._ZN7rocprim17ROCPRIM_400000_NS6detail44device_merge_sort_compile_time_verifier_archINS1_11comp_targetILNS1_3genE4ELNS1_11target_archE910ELNS1_3gpuE8ELNS1_3repE0EEES8_NS1_28merge_sort_block_sort_configILj256ELj4ELNS0_20block_sort_algorithmE0EEENS0_14default_configENS1_37merge_sort_block_sort_config_selectorItNS0_10empty_typeEEENS1_38merge_sort_block_merge_config_selectorItSE_EEEEvv,"axG",@progbits,_ZN7rocprim17ROCPRIM_400000_NS6detail44device_merge_sort_compile_time_verifier_archINS1_11comp_targetILNS1_3genE4ELNS1_11target_archE910ELNS1_3gpuE8ELNS1_3repE0EEES8_NS1_28merge_sort_block_sort_configILj256ELj4ELNS0_20block_sort_algorithmE0EEENS0_14default_configENS1_37merge_sort_block_sort_config_selectorItNS0_10empty_typeEEENS1_38merge_sort_block_merge_config_selectorItSE_EEEEvv,comdat
	.protected	_ZN7rocprim17ROCPRIM_400000_NS6detail44device_merge_sort_compile_time_verifier_archINS1_11comp_targetILNS1_3genE4ELNS1_11target_archE910ELNS1_3gpuE8ELNS1_3repE0EEES8_NS1_28merge_sort_block_sort_configILj256ELj4ELNS0_20block_sort_algorithmE0EEENS0_14default_configENS1_37merge_sort_block_sort_config_selectorItNS0_10empty_typeEEENS1_38merge_sort_block_merge_config_selectorItSE_EEEEvv ; -- Begin function _ZN7rocprim17ROCPRIM_400000_NS6detail44device_merge_sort_compile_time_verifier_archINS1_11comp_targetILNS1_3genE4ELNS1_11target_archE910ELNS1_3gpuE8ELNS1_3repE0EEES8_NS1_28merge_sort_block_sort_configILj256ELj4ELNS0_20block_sort_algorithmE0EEENS0_14default_configENS1_37merge_sort_block_sort_config_selectorItNS0_10empty_typeEEENS1_38merge_sort_block_merge_config_selectorItSE_EEEEvv
	.globl	_ZN7rocprim17ROCPRIM_400000_NS6detail44device_merge_sort_compile_time_verifier_archINS1_11comp_targetILNS1_3genE4ELNS1_11target_archE910ELNS1_3gpuE8ELNS1_3repE0EEES8_NS1_28merge_sort_block_sort_configILj256ELj4ELNS0_20block_sort_algorithmE0EEENS0_14default_configENS1_37merge_sort_block_sort_config_selectorItNS0_10empty_typeEEENS1_38merge_sort_block_merge_config_selectorItSE_EEEEvv
	.p2align	8
	.type	_ZN7rocprim17ROCPRIM_400000_NS6detail44device_merge_sort_compile_time_verifier_archINS1_11comp_targetILNS1_3genE4ELNS1_11target_archE910ELNS1_3gpuE8ELNS1_3repE0EEES8_NS1_28merge_sort_block_sort_configILj256ELj4ELNS0_20block_sort_algorithmE0EEENS0_14default_configENS1_37merge_sort_block_sort_config_selectorItNS0_10empty_typeEEENS1_38merge_sort_block_merge_config_selectorItSE_EEEEvv,@function
_ZN7rocprim17ROCPRIM_400000_NS6detail44device_merge_sort_compile_time_verifier_archINS1_11comp_targetILNS1_3genE4ELNS1_11target_archE910ELNS1_3gpuE8ELNS1_3repE0EEES8_NS1_28merge_sort_block_sort_configILj256ELj4ELNS0_20block_sort_algorithmE0EEENS0_14default_configENS1_37merge_sort_block_sort_config_selectorItNS0_10empty_typeEEENS1_38merge_sort_block_merge_config_selectorItSE_EEEEvv: ; @_ZN7rocprim17ROCPRIM_400000_NS6detail44device_merge_sort_compile_time_verifier_archINS1_11comp_targetILNS1_3genE4ELNS1_11target_archE910ELNS1_3gpuE8ELNS1_3repE0EEES8_NS1_28merge_sort_block_sort_configILj256ELj4ELNS0_20block_sort_algorithmE0EEENS0_14default_configENS1_37merge_sort_block_sort_config_selectorItNS0_10empty_typeEEENS1_38merge_sort_block_merge_config_selectorItSE_EEEEvv
; %bb.0:
	s_endpgm
	.section	.rodata,"a",@progbits
	.p2align	6, 0x0
	.amdhsa_kernel _ZN7rocprim17ROCPRIM_400000_NS6detail44device_merge_sort_compile_time_verifier_archINS1_11comp_targetILNS1_3genE4ELNS1_11target_archE910ELNS1_3gpuE8ELNS1_3repE0EEES8_NS1_28merge_sort_block_sort_configILj256ELj4ELNS0_20block_sort_algorithmE0EEENS0_14default_configENS1_37merge_sort_block_sort_config_selectorItNS0_10empty_typeEEENS1_38merge_sort_block_merge_config_selectorItSE_EEEEvv
		.amdhsa_group_segment_fixed_size 0
		.amdhsa_private_segment_fixed_size 0
		.amdhsa_kernarg_size 0
		.amdhsa_user_sgpr_count 0
		.amdhsa_user_sgpr_dispatch_ptr 0
		.amdhsa_user_sgpr_queue_ptr 0
		.amdhsa_user_sgpr_kernarg_segment_ptr 0
		.amdhsa_user_sgpr_dispatch_id 0
		.amdhsa_user_sgpr_kernarg_preload_length 0
		.amdhsa_user_sgpr_kernarg_preload_offset 0
		.amdhsa_user_sgpr_private_segment_size 0
		.amdhsa_uses_dynamic_stack 0
		.amdhsa_enable_private_segment 0
		.amdhsa_system_sgpr_workgroup_id_x 1
		.amdhsa_system_sgpr_workgroup_id_y 0
		.amdhsa_system_sgpr_workgroup_id_z 0
		.amdhsa_system_sgpr_workgroup_info 0
		.amdhsa_system_vgpr_workitem_id 0
		.amdhsa_next_free_vgpr 1
		.amdhsa_next_free_sgpr 0
		.amdhsa_accum_offset 4
		.amdhsa_reserve_vcc 0
		.amdhsa_float_round_mode_32 0
		.amdhsa_float_round_mode_16_64 0
		.amdhsa_float_denorm_mode_32 3
		.amdhsa_float_denorm_mode_16_64 3
		.amdhsa_dx10_clamp 1
		.amdhsa_ieee_mode 1
		.amdhsa_fp16_overflow 0
		.amdhsa_tg_split 0
		.amdhsa_exception_fp_ieee_invalid_op 0
		.amdhsa_exception_fp_denorm_src 0
		.amdhsa_exception_fp_ieee_div_zero 0
		.amdhsa_exception_fp_ieee_overflow 0
		.amdhsa_exception_fp_ieee_underflow 0
		.amdhsa_exception_fp_ieee_inexact 0
		.amdhsa_exception_int_div_zero 0
	.end_amdhsa_kernel
	.section	.text._ZN7rocprim17ROCPRIM_400000_NS6detail44device_merge_sort_compile_time_verifier_archINS1_11comp_targetILNS1_3genE4ELNS1_11target_archE910ELNS1_3gpuE8ELNS1_3repE0EEES8_NS1_28merge_sort_block_sort_configILj256ELj4ELNS0_20block_sort_algorithmE0EEENS0_14default_configENS1_37merge_sort_block_sort_config_selectorItNS0_10empty_typeEEENS1_38merge_sort_block_merge_config_selectorItSE_EEEEvv,"axG",@progbits,_ZN7rocprim17ROCPRIM_400000_NS6detail44device_merge_sort_compile_time_verifier_archINS1_11comp_targetILNS1_3genE4ELNS1_11target_archE910ELNS1_3gpuE8ELNS1_3repE0EEES8_NS1_28merge_sort_block_sort_configILj256ELj4ELNS0_20block_sort_algorithmE0EEENS0_14default_configENS1_37merge_sort_block_sort_config_selectorItNS0_10empty_typeEEENS1_38merge_sort_block_merge_config_selectorItSE_EEEEvv,comdat
.Lfunc_end1199:
	.size	_ZN7rocprim17ROCPRIM_400000_NS6detail44device_merge_sort_compile_time_verifier_archINS1_11comp_targetILNS1_3genE4ELNS1_11target_archE910ELNS1_3gpuE8ELNS1_3repE0EEES8_NS1_28merge_sort_block_sort_configILj256ELj4ELNS0_20block_sort_algorithmE0EEENS0_14default_configENS1_37merge_sort_block_sort_config_selectorItNS0_10empty_typeEEENS1_38merge_sort_block_merge_config_selectorItSE_EEEEvv, .Lfunc_end1199-_ZN7rocprim17ROCPRIM_400000_NS6detail44device_merge_sort_compile_time_verifier_archINS1_11comp_targetILNS1_3genE4ELNS1_11target_archE910ELNS1_3gpuE8ELNS1_3repE0EEES8_NS1_28merge_sort_block_sort_configILj256ELj4ELNS0_20block_sort_algorithmE0EEENS0_14default_configENS1_37merge_sort_block_sort_config_selectorItNS0_10empty_typeEEENS1_38merge_sort_block_merge_config_selectorItSE_EEEEvv
                                        ; -- End function
	.section	.AMDGPU.csdata,"",@progbits
; Kernel info:
; codeLenInByte = 4
; NumSgprs: 6
; NumVgprs: 0
; NumAgprs: 0
; TotalNumVgprs: 0
; ScratchSize: 0
; MemoryBound: 0
; FloatMode: 240
; IeeeMode: 1
; LDSByteSize: 0 bytes/workgroup (compile time only)
; SGPRBlocks: 0
; VGPRBlocks: 0
; NumSGPRsForWavesPerEU: 6
; NumVGPRsForWavesPerEU: 1
; AccumOffset: 4
; Occupancy: 8
; WaveLimiterHint : 0
; COMPUTE_PGM_RSRC2:SCRATCH_EN: 0
; COMPUTE_PGM_RSRC2:USER_SGPR: 0
; COMPUTE_PGM_RSRC2:TRAP_HANDLER: 0
; COMPUTE_PGM_RSRC2:TGID_X_EN: 1
; COMPUTE_PGM_RSRC2:TGID_Y_EN: 0
; COMPUTE_PGM_RSRC2:TGID_Z_EN: 0
; COMPUTE_PGM_RSRC2:TIDIG_COMP_CNT: 0
; COMPUTE_PGM_RSRC3_GFX90A:ACCUM_OFFSET: 0
; COMPUTE_PGM_RSRC3_GFX90A:TG_SPLIT: 0
	.section	.text._ZN7rocprim17ROCPRIM_400000_NS6detail44device_merge_sort_compile_time_verifier_archINS1_11comp_targetILNS1_3genE3ELNS1_11target_archE908ELNS1_3gpuE7ELNS1_3repE0EEES8_NS1_28merge_sort_block_sort_configILj256ELj4ELNS0_20block_sort_algorithmE0EEENS0_14default_configENS1_37merge_sort_block_sort_config_selectorItNS0_10empty_typeEEENS1_38merge_sort_block_merge_config_selectorItSE_EEEEvv,"axG",@progbits,_ZN7rocprim17ROCPRIM_400000_NS6detail44device_merge_sort_compile_time_verifier_archINS1_11comp_targetILNS1_3genE3ELNS1_11target_archE908ELNS1_3gpuE7ELNS1_3repE0EEES8_NS1_28merge_sort_block_sort_configILj256ELj4ELNS0_20block_sort_algorithmE0EEENS0_14default_configENS1_37merge_sort_block_sort_config_selectorItNS0_10empty_typeEEENS1_38merge_sort_block_merge_config_selectorItSE_EEEEvv,comdat
	.protected	_ZN7rocprim17ROCPRIM_400000_NS6detail44device_merge_sort_compile_time_verifier_archINS1_11comp_targetILNS1_3genE3ELNS1_11target_archE908ELNS1_3gpuE7ELNS1_3repE0EEES8_NS1_28merge_sort_block_sort_configILj256ELj4ELNS0_20block_sort_algorithmE0EEENS0_14default_configENS1_37merge_sort_block_sort_config_selectorItNS0_10empty_typeEEENS1_38merge_sort_block_merge_config_selectorItSE_EEEEvv ; -- Begin function _ZN7rocprim17ROCPRIM_400000_NS6detail44device_merge_sort_compile_time_verifier_archINS1_11comp_targetILNS1_3genE3ELNS1_11target_archE908ELNS1_3gpuE7ELNS1_3repE0EEES8_NS1_28merge_sort_block_sort_configILj256ELj4ELNS0_20block_sort_algorithmE0EEENS0_14default_configENS1_37merge_sort_block_sort_config_selectorItNS0_10empty_typeEEENS1_38merge_sort_block_merge_config_selectorItSE_EEEEvv
	.globl	_ZN7rocprim17ROCPRIM_400000_NS6detail44device_merge_sort_compile_time_verifier_archINS1_11comp_targetILNS1_3genE3ELNS1_11target_archE908ELNS1_3gpuE7ELNS1_3repE0EEES8_NS1_28merge_sort_block_sort_configILj256ELj4ELNS0_20block_sort_algorithmE0EEENS0_14default_configENS1_37merge_sort_block_sort_config_selectorItNS0_10empty_typeEEENS1_38merge_sort_block_merge_config_selectorItSE_EEEEvv
	.p2align	8
	.type	_ZN7rocprim17ROCPRIM_400000_NS6detail44device_merge_sort_compile_time_verifier_archINS1_11comp_targetILNS1_3genE3ELNS1_11target_archE908ELNS1_3gpuE7ELNS1_3repE0EEES8_NS1_28merge_sort_block_sort_configILj256ELj4ELNS0_20block_sort_algorithmE0EEENS0_14default_configENS1_37merge_sort_block_sort_config_selectorItNS0_10empty_typeEEENS1_38merge_sort_block_merge_config_selectorItSE_EEEEvv,@function
_ZN7rocprim17ROCPRIM_400000_NS6detail44device_merge_sort_compile_time_verifier_archINS1_11comp_targetILNS1_3genE3ELNS1_11target_archE908ELNS1_3gpuE7ELNS1_3repE0EEES8_NS1_28merge_sort_block_sort_configILj256ELj4ELNS0_20block_sort_algorithmE0EEENS0_14default_configENS1_37merge_sort_block_sort_config_selectorItNS0_10empty_typeEEENS1_38merge_sort_block_merge_config_selectorItSE_EEEEvv: ; @_ZN7rocprim17ROCPRIM_400000_NS6detail44device_merge_sort_compile_time_verifier_archINS1_11comp_targetILNS1_3genE3ELNS1_11target_archE908ELNS1_3gpuE7ELNS1_3repE0EEES8_NS1_28merge_sort_block_sort_configILj256ELj4ELNS0_20block_sort_algorithmE0EEENS0_14default_configENS1_37merge_sort_block_sort_config_selectorItNS0_10empty_typeEEENS1_38merge_sort_block_merge_config_selectorItSE_EEEEvv
; %bb.0:
	s_endpgm
	.section	.rodata,"a",@progbits
	.p2align	6, 0x0
	.amdhsa_kernel _ZN7rocprim17ROCPRIM_400000_NS6detail44device_merge_sort_compile_time_verifier_archINS1_11comp_targetILNS1_3genE3ELNS1_11target_archE908ELNS1_3gpuE7ELNS1_3repE0EEES8_NS1_28merge_sort_block_sort_configILj256ELj4ELNS0_20block_sort_algorithmE0EEENS0_14default_configENS1_37merge_sort_block_sort_config_selectorItNS0_10empty_typeEEENS1_38merge_sort_block_merge_config_selectorItSE_EEEEvv
		.amdhsa_group_segment_fixed_size 0
		.amdhsa_private_segment_fixed_size 0
		.amdhsa_kernarg_size 0
		.amdhsa_user_sgpr_count 0
		.amdhsa_user_sgpr_dispatch_ptr 0
		.amdhsa_user_sgpr_queue_ptr 0
		.amdhsa_user_sgpr_kernarg_segment_ptr 0
		.amdhsa_user_sgpr_dispatch_id 0
		.amdhsa_user_sgpr_kernarg_preload_length 0
		.amdhsa_user_sgpr_kernarg_preload_offset 0
		.amdhsa_user_sgpr_private_segment_size 0
		.amdhsa_uses_dynamic_stack 0
		.amdhsa_enable_private_segment 0
		.amdhsa_system_sgpr_workgroup_id_x 1
		.amdhsa_system_sgpr_workgroup_id_y 0
		.amdhsa_system_sgpr_workgroup_id_z 0
		.amdhsa_system_sgpr_workgroup_info 0
		.amdhsa_system_vgpr_workitem_id 0
		.amdhsa_next_free_vgpr 1
		.amdhsa_next_free_sgpr 0
		.amdhsa_accum_offset 4
		.amdhsa_reserve_vcc 0
		.amdhsa_float_round_mode_32 0
		.amdhsa_float_round_mode_16_64 0
		.amdhsa_float_denorm_mode_32 3
		.amdhsa_float_denorm_mode_16_64 3
		.amdhsa_dx10_clamp 1
		.amdhsa_ieee_mode 1
		.amdhsa_fp16_overflow 0
		.amdhsa_tg_split 0
		.amdhsa_exception_fp_ieee_invalid_op 0
		.amdhsa_exception_fp_denorm_src 0
		.amdhsa_exception_fp_ieee_div_zero 0
		.amdhsa_exception_fp_ieee_overflow 0
		.amdhsa_exception_fp_ieee_underflow 0
		.amdhsa_exception_fp_ieee_inexact 0
		.amdhsa_exception_int_div_zero 0
	.end_amdhsa_kernel
	.section	.text._ZN7rocprim17ROCPRIM_400000_NS6detail44device_merge_sort_compile_time_verifier_archINS1_11comp_targetILNS1_3genE3ELNS1_11target_archE908ELNS1_3gpuE7ELNS1_3repE0EEES8_NS1_28merge_sort_block_sort_configILj256ELj4ELNS0_20block_sort_algorithmE0EEENS0_14default_configENS1_37merge_sort_block_sort_config_selectorItNS0_10empty_typeEEENS1_38merge_sort_block_merge_config_selectorItSE_EEEEvv,"axG",@progbits,_ZN7rocprim17ROCPRIM_400000_NS6detail44device_merge_sort_compile_time_verifier_archINS1_11comp_targetILNS1_3genE3ELNS1_11target_archE908ELNS1_3gpuE7ELNS1_3repE0EEES8_NS1_28merge_sort_block_sort_configILj256ELj4ELNS0_20block_sort_algorithmE0EEENS0_14default_configENS1_37merge_sort_block_sort_config_selectorItNS0_10empty_typeEEENS1_38merge_sort_block_merge_config_selectorItSE_EEEEvv,comdat
.Lfunc_end1200:
	.size	_ZN7rocprim17ROCPRIM_400000_NS6detail44device_merge_sort_compile_time_verifier_archINS1_11comp_targetILNS1_3genE3ELNS1_11target_archE908ELNS1_3gpuE7ELNS1_3repE0EEES8_NS1_28merge_sort_block_sort_configILj256ELj4ELNS0_20block_sort_algorithmE0EEENS0_14default_configENS1_37merge_sort_block_sort_config_selectorItNS0_10empty_typeEEENS1_38merge_sort_block_merge_config_selectorItSE_EEEEvv, .Lfunc_end1200-_ZN7rocprim17ROCPRIM_400000_NS6detail44device_merge_sort_compile_time_verifier_archINS1_11comp_targetILNS1_3genE3ELNS1_11target_archE908ELNS1_3gpuE7ELNS1_3repE0EEES8_NS1_28merge_sort_block_sort_configILj256ELj4ELNS0_20block_sort_algorithmE0EEENS0_14default_configENS1_37merge_sort_block_sort_config_selectorItNS0_10empty_typeEEENS1_38merge_sort_block_merge_config_selectorItSE_EEEEvv
                                        ; -- End function
	.section	.AMDGPU.csdata,"",@progbits
; Kernel info:
; codeLenInByte = 4
; NumSgprs: 6
; NumVgprs: 0
; NumAgprs: 0
; TotalNumVgprs: 0
; ScratchSize: 0
; MemoryBound: 0
; FloatMode: 240
; IeeeMode: 1
; LDSByteSize: 0 bytes/workgroup (compile time only)
; SGPRBlocks: 0
; VGPRBlocks: 0
; NumSGPRsForWavesPerEU: 6
; NumVGPRsForWavesPerEU: 1
; AccumOffset: 4
; Occupancy: 8
; WaveLimiterHint : 0
; COMPUTE_PGM_RSRC2:SCRATCH_EN: 0
; COMPUTE_PGM_RSRC2:USER_SGPR: 0
; COMPUTE_PGM_RSRC2:TRAP_HANDLER: 0
; COMPUTE_PGM_RSRC2:TGID_X_EN: 1
; COMPUTE_PGM_RSRC2:TGID_Y_EN: 0
; COMPUTE_PGM_RSRC2:TGID_Z_EN: 0
; COMPUTE_PGM_RSRC2:TIDIG_COMP_CNT: 0
; COMPUTE_PGM_RSRC3_GFX90A:ACCUM_OFFSET: 0
; COMPUTE_PGM_RSRC3_GFX90A:TG_SPLIT: 0
	.section	.text._ZN7rocprim17ROCPRIM_400000_NS6detail44device_merge_sort_compile_time_verifier_archINS1_11comp_targetILNS1_3genE2ELNS1_11target_archE906ELNS1_3gpuE6ELNS1_3repE0EEES8_NS1_28merge_sort_block_sort_configILj256ELj4ELNS0_20block_sort_algorithmE0EEENS0_14default_configENS1_37merge_sort_block_sort_config_selectorItNS0_10empty_typeEEENS1_38merge_sort_block_merge_config_selectorItSE_EEEEvv,"axG",@progbits,_ZN7rocprim17ROCPRIM_400000_NS6detail44device_merge_sort_compile_time_verifier_archINS1_11comp_targetILNS1_3genE2ELNS1_11target_archE906ELNS1_3gpuE6ELNS1_3repE0EEES8_NS1_28merge_sort_block_sort_configILj256ELj4ELNS0_20block_sort_algorithmE0EEENS0_14default_configENS1_37merge_sort_block_sort_config_selectorItNS0_10empty_typeEEENS1_38merge_sort_block_merge_config_selectorItSE_EEEEvv,comdat
	.protected	_ZN7rocprim17ROCPRIM_400000_NS6detail44device_merge_sort_compile_time_verifier_archINS1_11comp_targetILNS1_3genE2ELNS1_11target_archE906ELNS1_3gpuE6ELNS1_3repE0EEES8_NS1_28merge_sort_block_sort_configILj256ELj4ELNS0_20block_sort_algorithmE0EEENS0_14default_configENS1_37merge_sort_block_sort_config_selectorItNS0_10empty_typeEEENS1_38merge_sort_block_merge_config_selectorItSE_EEEEvv ; -- Begin function _ZN7rocprim17ROCPRIM_400000_NS6detail44device_merge_sort_compile_time_verifier_archINS1_11comp_targetILNS1_3genE2ELNS1_11target_archE906ELNS1_3gpuE6ELNS1_3repE0EEES8_NS1_28merge_sort_block_sort_configILj256ELj4ELNS0_20block_sort_algorithmE0EEENS0_14default_configENS1_37merge_sort_block_sort_config_selectorItNS0_10empty_typeEEENS1_38merge_sort_block_merge_config_selectorItSE_EEEEvv
	.globl	_ZN7rocprim17ROCPRIM_400000_NS6detail44device_merge_sort_compile_time_verifier_archINS1_11comp_targetILNS1_3genE2ELNS1_11target_archE906ELNS1_3gpuE6ELNS1_3repE0EEES8_NS1_28merge_sort_block_sort_configILj256ELj4ELNS0_20block_sort_algorithmE0EEENS0_14default_configENS1_37merge_sort_block_sort_config_selectorItNS0_10empty_typeEEENS1_38merge_sort_block_merge_config_selectorItSE_EEEEvv
	.p2align	8
	.type	_ZN7rocprim17ROCPRIM_400000_NS6detail44device_merge_sort_compile_time_verifier_archINS1_11comp_targetILNS1_3genE2ELNS1_11target_archE906ELNS1_3gpuE6ELNS1_3repE0EEES8_NS1_28merge_sort_block_sort_configILj256ELj4ELNS0_20block_sort_algorithmE0EEENS0_14default_configENS1_37merge_sort_block_sort_config_selectorItNS0_10empty_typeEEENS1_38merge_sort_block_merge_config_selectorItSE_EEEEvv,@function
_ZN7rocprim17ROCPRIM_400000_NS6detail44device_merge_sort_compile_time_verifier_archINS1_11comp_targetILNS1_3genE2ELNS1_11target_archE906ELNS1_3gpuE6ELNS1_3repE0EEES8_NS1_28merge_sort_block_sort_configILj256ELj4ELNS0_20block_sort_algorithmE0EEENS0_14default_configENS1_37merge_sort_block_sort_config_selectorItNS0_10empty_typeEEENS1_38merge_sort_block_merge_config_selectorItSE_EEEEvv: ; @_ZN7rocprim17ROCPRIM_400000_NS6detail44device_merge_sort_compile_time_verifier_archINS1_11comp_targetILNS1_3genE2ELNS1_11target_archE906ELNS1_3gpuE6ELNS1_3repE0EEES8_NS1_28merge_sort_block_sort_configILj256ELj4ELNS0_20block_sort_algorithmE0EEENS0_14default_configENS1_37merge_sort_block_sort_config_selectorItNS0_10empty_typeEEENS1_38merge_sort_block_merge_config_selectorItSE_EEEEvv
; %bb.0:
	s_endpgm
	.section	.rodata,"a",@progbits
	.p2align	6, 0x0
	.amdhsa_kernel _ZN7rocprim17ROCPRIM_400000_NS6detail44device_merge_sort_compile_time_verifier_archINS1_11comp_targetILNS1_3genE2ELNS1_11target_archE906ELNS1_3gpuE6ELNS1_3repE0EEES8_NS1_28merge_sort_block_sort_configILj256ELj4ELNS0_20block_sort_algorithmE0EEENS0_14default_configENS1_37merge_sort_block_sort_config_selectorItNS0_10empty_typeEEENS1_38merge_sort_block_merge_config_selectorItSE_EEEEvv
		.amdhsa_group_segment_fixed_size 0
		.amdhsa_private_segment_fixed_size 0
		.amdhsa_kernarg_size 0
		.amdhsa_user_sgpr_count 0
		.amdhsa_user_sgpr_dispatch_ptr 0
		.amdhsa_user_sgpr_queue_ptr 0
		.amdhsa_user_sgpr_kernarg_segment_ptr 0
		.amdhsa_user_sgpr_dispatch_id 0
		.amdhsa_user_sgpr_kernarg_preload_length 0
		.amdhsa_user_sgpr_kernarg_preload_offset 0
		.amdhsa_user_sgpr_private_segment_size 0
		.amdhsa_uses_dynamic_stack 0
		.amdhsa_enable_private_segment 0
		.amdhsa_system_sgpr_workgroup_id_x 1
		.amdhsa_system_sgpr_workgroup_id_y 0
		.amdhsa_system_sgpr_workgroup_id_z 0
		.amdhsa_system_sgpr_workgroup_info 0
		.amdhsa_system_vgpr_workitem_id 0
		.amdhsa_next_free_vgpr 1
		.amdhsa_next_free_sgpr 0
		.amdhsa_accum_offset 4
		.amdhsa_reserve_vcc 0
		.amdhsa_float_round_mode_32 0
		.amdhsa_float_round_mode_16_64 0
		.amdhsa_float_denorm_mode_32 3
		.amdhsa_float_denorm_mode_16_64 3
		.amdhsa_dx10_clamp 1
		.amdhsa_ieee_mode 1
		.amdhsa_fp16_overflow 0
		.amdhsa_tg_split 0
		.amdhsa_exception_fp_ieee_invalid_op 0
		.amdhsa_exception_fp_denorm_src 0
		.amdhsa_exception_fp_ieee_div_zero 0
		.amdhsa_exception_fp_ieee_overflow 0
		.amdhsa_exception_fp_ieee_underflow 0
		.amdhsa_exception_fp_ieee_inexact 0
		.amdhsa_exception_int_div_zero 0
	.end_amdhsa_kernel
	.section	.text._ZN7rocprim17ROCPRIM_400000_NS6detail44device_merge_sort_compile_time_verifier_archINS1_11comp_targetILNS1_3genE2ELNS1_11target_archE906ELNS1_3gpuE6ELNS1_3repE0EEES8_NS1_28merge_sort_block_sort_configILj256ELj4ELNS0_20block_sort_algorithmE0EEENS0_14default_configENS1_37merge_sort_block_sort_config_selectorItNS0_10empty_typeEEENS1_38merge_sort_block_merge_config_selectorItSE_EEEEvv,"axG",@progbits,_ZN7rocprim17ROCPRIM_400000_NS6detail44device_merge_sort_compile_time_verifier_archINS1_11comp_targetILNS1_3genE2ELNS1_11target_archE906ELNS1_3gpuE6ELNS1_3repE0EEES8_NS1_28merge_sort_block_sort_configILj256ELj4ELNS0_20block_sort_algorithmE0EEENS0_14default_configENS1_37merge_sort_block_sort_config_selectorItNS0_10empty_typeEEENS1_38merge_sort_block_merge_config_selectorItSE_EEEEvv,comdat
.Lfunc_end1201:
	.size	_ZN7rocprim17ROCPRIM_400000_NS6detail44device_merge_sort_compile_time_verifier_archINS1_11comp_targetILNS1_3genE2ELNS1_11target_archE906ELNS1_3gpuE6ELNS1_3repE0EEES8_NS1_28merge_sort_block_sort_configILj256ELj4ELNS0_20block_sort_algorithmE0EEENS0_14default_configENS1_37merge_sort_block_sort_config_selectorItNS0_10empty_typeEEENS1_38merge_sort_block_merge_config_selectorItSE_EEEEvv, .Lfunc_end1201-_ZN7rocprim17ROCPRIM_400000_NS6detail44device_merge_sort_compile_time_verifier_archINS1_11comp_targetILNS1_3genE2ELNS1_11target_archE906ELNS1_3gpuE6ELNS1_3repE0EEES8_NS1_28merge_sort_block_sort_configILj256ELj4ELNS0_20block_sort_algorithmE0EEENS0_14default_configENS1_37merge_sort_block_sort_config_selectorItNS0_10empty_typeEEENS1_38merge_sort_block_merge_config_selectorItSE_EEEEvv
                                        ; -- End function
	.section	.AMDGPU.csdata,"",@progbits
; Kernel info:
; codeLenInByte = 4
; NumSgprs: 6
; NumVgprs: 0
; NumAgprs: 0
; TotalNumVgprs: 0
; ScratchSize: 0
; MemoryBound: 0
; FloatMode: 240
; IeeeMode: 1
; LDSByteSize: 0 bytes/workgroup (compile time only)
; SGPRBlocks: 0
; VGPRBlocks: 0
; NumSGPRsForWavesPerEU: 6
; NumVGPRsForWavesPerEU: 1
; AccumOffset: 4
; Occupancy: 8
; WaveLimiterHint : 0
; COMPUTE_PGM_RSRC2:SCRATCH_EN: 0
; COMPUTE_PGM_RSRC2:USER_SGPR: 0
; COMPUTE_PGM_RSRC2:TRAP_HANDLER: 0
; COMPUTE_PGM_RSRC2:TGID_X_EN: 1
; COMPUTE_PGM_RSRC2:TGID_Y_EN: 0
; COMPUTE_PGM_RSRC2:TGID_Z_EN: 0
; COMPUTE_PGM_RSRC2:TIDIG_COMP_CNT: 0
; COMPUTE_PGM_RSRC3_GFX90A:ACCUM_OFFSET: 0
; COMPUTE_PGM_RSRC3_GFX90A:TG_SPLIT: 0
	.section	.text._ZN7rocprim17ROCPRIM_400000_NS6detail44device_merge_sort_compile_time_verifier_archINS1_11comp_targetILNS1_3genE10ELNS1_11target_archE1201ELNS1_3gpuE5ELNS1_3repE0EEES8_NS1_28merge_sort_block_sort_configILj256ELj4ELNS0_20block_sort_algorithmE0EEENS0_14default_configENS1_37merge_sort_block_sort_config_selectorItNS0_10empty_typeEEENS1_38merge_sort_block_merge_config_selectorItSE_EEEEvv,"axG",@progbits,_ZN7rocprim17ROCPRIM_400000_NS6detail44device_merge_sort_compile_time_verifier_archINS1_11comp_targetILNS1_3genE10ELNS1_11target_archE1201ELNS1_3gpuE5ELNS1_3repE0EEES8_NS1_28merge_sort_block_sort_configILj256ELj4ELNS0_20block_sort_algorithmE0EEENS0_14default_configENS1_37merge_sort_block_sort_config_selectorItNS0_10empty_typeEEENS1_38merge_sort_block_merge_config_selectorItSE_EEEEvv,comdat
	.protected	_ZN7rocprim17ROCPRIM_400000_NS6detail44device_merge_sort_compile_time_verifier_archINS1_11comp_targetILNS1_3genE10ELNS1_11target_archE1201ELNS1_3gpuE5ELNS1_3repE0EEES8_NS1_28merge_sort_block_sort_configILj256ELj4ELNS0_20block_sort_algorithmE0EEENS0_14default_configENS1_37merge_sort_block_sort_config_selectorItNS0_10empty_typeEEENS1_38merge_sort_block_merge_config_selectorItSE_EEEEvv ; -- Begin function _ZN7rocprim17ROCPRIM_400000_NS6detail44device_merge_sort_compile_time_verifier_archINS1_11comp_targetILNS1_3genE10ELNS1_11target_archE1201ELNS1_3gpuE5ELNS1_3repE0EEES8_NS1_28merge_sort_block_sort_configILj256ELj4ELNS0_20block_sort_algorithmE0EEENS0_14default_configENS1_37merge_sort_block_sort_config_selectorItNS0_10empty_typeEEENS1_38merge_sort_block_merge_config_selectorItSE_EEEEvv
	.globl	_ZN7rocprim17ROCPRIM_400000_NS6detail44device_merge_sort_compile_time_verifier_archINS1_11comp_targetILNS1_3genE10ELNS1_11target_archE1201ELNS1_3gpuE5ELNS1_3repE0EEES8_NS1_28merge_sort_block_sort_configILj256ELj4ELNS0_20block_sort_algorithmE0EEENS0_14default_configENS1_37merge_sort_block_sort_config_selectorItNS0_10empty_typeEEENS1_38merge_sort_block_merge_config_selectorItSE_EEEEvv
	.p2align	8
	.type	_ZN7rocprim17ROCPRIM_400000_NS6detail44device_merge_sort_compile_time_verifier_archINS1_11comp_targetILNS1_3genE10ELNS1_11target_archE1201ELNS1_3gpuE5ELNS1_3repE0EEES8_NS1_28merge_sort_block_sort_configILj256ELj4ELNS0_20block_sort_algorithmE0EEENS0_14default_configENS1_37merge_sort_block_sort_config_selectorItNS0_10empty_typeEEENS1_38merge_sort_block_merge_config_selectorItSE_EEEEvv,@function
_ZN7rocprim17ROCPRIM_400000_NS6detail44device_merge_sort_compile_time_verifier_archINS1_11comp_targetILNS1_3genE10ELNS1_11target_archE1201ELNS1_3gpuE5ELNS1_3repE0EEES8_NS1_28merge_sort_block_sort_configILj256ELj4ELNS0_20block_sort_algorithmE0EEENS0_14default_configENS1_37merge_sort_block_sort_config_selectorItNS0_10empty_typeEEENS1_38merge_sort_block_merge_config_selectorItSE_EEEEvv: ; @_ZN7rocprim17ROCPRIM_400000_NS6detail44device_merge_sort_compile_time_verifier_archINS1_11comp_targetILNS1_3genE10ELNS1_11target_archE1201ELNS1_3gpuE5ELNS1_3repE0EEES8_NS1_28merge_sort_block_sort_configILj256ELj4ELNS0_20block_sort_algorithmE0EEENS0_14default_configENS1_37merge_sort_block_sort_config_selectorItNS0_10empty_typeEEENS1_38merge_sort_block_merge_config_selectorItSE_EEEEvv
; %bb.0:
	s_endpgm
	.section	.rodata,"a",@progbits
	.p2align	6, 0x0
	.amdhsa_kernel _ZN7rocprim17ROCPRIM_400000_NS6detail44device_merge_sort_compile_time_verifier_archINS1_11comp_targetILNS1_3genE10ELNS1_11target_archE1201ELNS1_3gpuE5ELNS1_3repE0EEES8_NS1_28merge_sort_block_sort_configILj256ELj4ELNS0_20block_sort_algorithmE0EEENS0_14default_configENS1_37merge_sort_block_sort_config_selectorItNS0_10empty_typeEEENS1_38merge_sort_block_merge_config_selectorItSE_EEEEvv
		.amdhsa_group_segment_fixed_size 0
		.amdhsa_private_segment_fixed_size 0
		.amdhsa_kernarg_size 0
		.amdhsa_user_sgpr_count 0
		.amdhsa_user_sgpr_dispatch_ptr 0
		.amdhsa_user_sgpr_queue_ptr 0
		.amdhsa_user_sgpr_kernarg_segment_ptr 0
		.amdhsa_user_sgpr_dispatch_id 0
		.amdhsa_user_sgpr_kernarg_preload_length 0
		.amdhsa_user_sgpr_kernarg_preload_offset 0
		.amdhsa_user_sgpr_private_segment_size 0
		.amdhsa_uses_dynamic_stack 0
		.amdhsa_enable_private_segment 0
		.amdhsa_system_sgpr_workgroup_id_x 1
		.amdhsa_system_sgpr_workgroup_id_y 0
		.amdhsa_system_sgpr_workgroup_id_z 0
		.amdhsa_system_sgpr_workgroup_info 0
		.amdhsa_system_vgpr_workitem_id 0
		.amdhsa_next_free_vgpr 1
		.amdhsa_next_free_sgpr 0
		.amdhsa_accum_offset 4
		.amdhsa_reserve_vcc 0
		.amdhsa_float_round_mode_32 0
		.amdhsa_float_round_mode_16_64 0
		.amdhsa_float_denorm_mode_32 3
		.amdhsa_float_denorm_mode_16_64 3
		.amdhsa_dx10_clamp 1
		.amdhsa_ieee_mode 1
		.amdhsa_fp16_overflow 0
		.amdhsa_tg_split 0
		.amdhsa_exception_fp_ieee_invalid_op 0
		.amdhsa_exception_fp_denorm_src 0
		.amdhsa_exception_fp_ieee_div_zero 0
		.amdhsa_exception_fp_ieee_overflow 0
		.amdhsa_exception_fp_ieee_underflow 0
		.amdhsa_exception_fp_ieee_inexact 0
		.amdhsa_exception_int_div_zero 0
	.end_amdhsa_kernel
	.section	.text._ZN7rocprim17ROCPRIM_400000_NS6detail44device_merge_sort_compile_time_verifier_archINS1_11comp_targetILNS1_3genE10ELNS1_11target_archE1201ELNS1_3gpuE5ELNS1_3repE0EEES8_NS1_28merge_sort_block_sort_configILj256ELj4ELNS0_20block_sort_algorithmE0EEENS0_14default_configENS1_37merge_sort_block_sort_config_selectorItNS0_10empty_typeEEENS1_38merge_sort_block_merge_config_selectorItSE_EEEEvv,"axG",@progbits,_ZN7rocprim17ROCPRIM_400000_NS6detail44device_merge_sort_compile_time_verifier_archINS1_11comp_targetILNS1_3genE10ELNS1_11target_archE1201ELNS1_3gpuE5ELNS1_3repE0EEES8_NS1_28merge_sort_block_sort_configILj256ELj4ELNS0_20block_sort_algorithmE0EEENS0_14default_configENS1_37merge_sort_block_sort_config_selectorItNS0_10empty_typeEEENS1_38merge_sort_block_merge_config_selectorItSE_EEEEvv,comdat
.Lfunc_end1202:
	.size	_ZN7rocprim17ROCPRIM_400000_NS6detail44device_merge_sort_compile_time_verifier_archINS1_11comp_targetILNS1_3genE10ELNS1_11target_archE1201ELNS1_3gpuE5ELNS1_3repE0EEES8_NS1_28merge_sort_block_sort_configILj256ELj4ELNS0_20block_sort_algorithmE0EEENS0_14default_configENS1_37merge_sort_block_sort_config_selectorItNS0_10empty_typeEEENS1_38merge_sort_block_merge_config_selectorItSE_EEEEvv, .Lfunc_end1202-_ZN7rocprim17ROCPRIM_400000_NS6detail44device_merge_sort_compile_time_verifier_archINS1_11comp_targetILNS1_3genE10ELNS1_11target_archE1201ELNS1_3gpuE5ELNS1_3repE0EEES8_NS1_28merge_sort_block_sort_configILj256ELj4ELNS0_20block_sort_algorithmE0EEENS0_14default_configENS1_37merge_sort_block_sort_config_selectorItNS0_10empty_typeEEENS1_38merge_sort_block_merge_config_selectorItSE_EEEEvv
                                        ; -- End function
	.section	.AMDGPU.csdata,"",@progbits
; Kernel info:
; codeLenInByte = 4
; NumSgprs: 6
; NumVgprs: 0
; NumAgprs: 0
; TotalNumVgprs: 0
; ScratchSize: 0
; MemoryBound: 0
; FloatMode: 240
; IeeeMode: 1
; LDSByteSize: 0 bytes/workgroup (compile time only)
; SGPRBlocks: 0
; VGPRBlocks: 0
; NumSGPRsForWavesPerEU: 6
; NumVGPRsForWavesPerEU: 1
; AccumOffset: 4
; Occupancy: 8
; WaveLimiterHint : 0
; COMPUTE_PGM_RSRC2:SCRATCH_EN: 0
; COMPUTE_PGM_RSRC2:USER_SGPR: 0
; COMPUTE_PGM_RSRC2:TRAP_HANDLER: 0
; COMPUTE_PGM_RSRC2:TGID_X_EN: 1
; COMPUTE_PGM_RSRC2:TGID_Y_EN: 0
; COMPUTE_PGM_RSRC2:TGID_Z_EN: 0
; COMPUTE_PGM_RSRC2:TIDIG_COMP_CNT: 0
; COMPUTE_PGM_RSRC3_GFX90A:ACCUM_OFFSET: 0
; COMPUTE_PGM_RSRC3_GFX90A:TG_SPLIT: 0
	.section	.text._ZN7rocprim17ROCPRIM_400000_NS6detail44device_merge_sort_compile_time_verifier_archINS1_11comp_targetILNS1_3genE10ELNS1_11target_archE1200ELNS1_3gpuE4ELNS1_3repE0EEENS3_ILS4_10ELS5_1201ELS6_5ELS7_0EEENS1_28merge_sort_block_sort_configILj256ELj4ELNS0_20block_sort_algorithmE0EEENS0_14default_configENS1_37merge_sort_block_sort_config_selectorItNS0_10empty_typeEEENS1_38merge_sort_block_merge_config_selectorItSF_EEEEvv,"axG",@progbits,_ZN7rocprim17ROCPRIM_400000_NS6detail44device_merge_sort_compile_time_verifier_archINS1_11comp_targetILNS1_3genE10ELNS1_11target_archE1200ELNS1_3gpuE4ELNS1_3repE0EEENS3_ILS4_10ELS5_1201ELS6_5ELS7_0EEENS1_28merge_sort_block_sort_configILj256ELj4ELNS0_20block_sort_algorithmE0EEENS0_14default_configENS1_37merge_sort_block_sort_config_selectorItNS0_10empty_typeEEENS1_38merge_sort_block_merge_config_selectorItSF_EEEEvv,comdat
	.protected	_ZN7rocprim17ROCPRIM_400000_NS6detail44device_merge_sort_compile_time_verifier_archINS1_11comp_targetILNS1_3genE10ELNS1_11target_archE1200ELNS1_3gpuE4ELNS1_3repE0EEENS3_ILS4_10ELS5_1201ELS6_5ELS7_0EEENS1_28merge_sort_block_sort_configILj256ELj4ELNS0_20block_sort_algorithmE0EEENS0_14default_configENS1_37merge_sort_block_sort_config_selectorItNS0_10empty_typeEEENS1_38merge_sort_block_merge_config_selectorItSF_EEEEvv ; -- Begin function _ZN7rocprim17ROCPRIM_400000_NS6detail44device_merge_sort_compile_time_verifier_archINS1_11comp_targetILNS1_3genE10ELNS1_11target_archE1200ELNS1_3gpuE4ELNS1_3repE0EEENS3_ILS4_10ELS5_1201ELS6_5ELS7_0EEENS1_28merge_sort_block_sort_configILj256ELj4ELNS0_20block_sort_algorithmE0EEENS0_14default_configENS1_37merge_sort_block_sort_config_selectorItNS0_10empty_typeEEENS1_38merge_sort_block_merge_config_selectorItSF_EEEEvv
	.globl	_ZN7rocprim17ROCPRIM_400000_NS6detail44device_merge_sort_compile_time_verifier_archINS1_11comp_targetILNS1_3genE10ELNS1_11target_archE1200ELNS1_3gpuE4ELNS1_3repE0EEENS3_ILS4_10ELS5_1201ELS6_5ELS7_0EEENS1_28merge_sort_block_sort_configILj256ELj4ELNS0_20block_sort_algorithmE0EEENS0_14default_configENS1_37merge_sort_block_sort_config_selectorItNS0_10empty_typeEEENS1_38merge_sort_block_merge_config_selectorItSF_EEEEvv
	.p2align	8
	.type	_ZN7rocprim17ROCPRIM_400000_NS6detail44device_merge_sort_compile_time_verifier_archINS1_11comp_targetILNS1_3genE10ELNS1_11target_archE1200ELNS1_3gpuE4ELNS1_3repE0EEENS3_ILS4_10ELS5_1201ELS6_5ELS7_0EEENS1_28merge_sort_block_sort_configILj256ELj4ELNS0_20block_sort_algorithmE0EEENS0_14default_configENS1_37merge_sort_block_sort_config_selectorItNS0_10empty_typeEEENS1_38merge_sort_block_merge_config_selectorItSF_EEEEvv,@function
_ZN7rocprim17ROCPRIM_400000_NS6detail44device_merge_sort_compile_time_verifier_archINS1_11comp_targetILNS1_3genE10ELNS1_11target_archE1200ELNS1_3gpuE4ELNS1_3repE0EEENS3_ILS4_10ELS5_1201ELS6_5ELS7_0EEENS1_28merge_sort_block_sort_configILj256ELj4ELNS0_20block_sort_algorithmE0EEENS0_14default_configENS1_37merge_sort_block_sort_config_selectorItNS0_10empty_typeEEENS1_38merge_sort_block_merge_config_selectorItSF_EEEEvv: ; @_ZN7rocprim17ROCPRIM_400000_NS6detail44device_merge_sort_compile_time_verifier_archINS1_11comp_targetILNS1_3genE10ELNS1_11target_archE1200ELNS1_3gpuE4ELNS1_3repE0EEENS3_ILS4_10ELS5_1201ELS6_5ELS7_0EEENS1_28merge_sort_block_sort_configILj256ELj4ELNS0_20block_sort_algorithmE0EEENS0_14default_configENS1_37merge_sort_block_sort_config_selectorItNS0_10empty_typeEEENS1_38merge_sort_block_merge_config_selectorItSF_EEEEvv
; %bb.0:
	s_endpgm
	.section	.rodata,"a",@progbits
	.p2align	6, 0x0
	.amdhsa_kernel _ZN7rocprim17ROCPRIM_400000_NS6detail44device_merge_sort_compile_time_verifier_archINS1_11comp_targetILNS1_3genE10ELNS1_11target_archE1200ELNS1_3gpuE4ELNS1_3repE0EEENS3_ILS4_10ELS5_1201ELS6_5ELS7_0EEENS1_28merge_sort_block_sort_configILj256ELj4ELNS0_20block_sort_algorithmE0EEENS0_14default_configENS1_37merge_sort_block_sort_config_selectorItNS0_10empty_typeEEENS1_38merge_sort_block_merge_config_selectorItSF_EEEEvv
		.amdhsa_group_segment_fixed_size 0
		.amdhsa_private_segment_fixed_size 0
		.amdhsa_kernarg_size 0
		.amdhsa_user_sgpr_count 0
		.amdhsa_user_sgpr_dispatch_ptr 0
		.amdhsa_user_sgpr_queue_ptr 0
		.amdhsa_user_sgpr_kernarg_segment_ptr 0
		.amdhsa_user_sgpr_dispatch_id 0
		.amdhsa_user_sgpr_kernarg_preload_length 0
		.amdhsa_user_sgpr_kernarg_preload_offset 0
		.amdhsa_user_sgpr_private_segment_size 0
		.amdhsa_uses_dynamic_stack 0
		.amdhsa_enable_private_segment 0
		.amdhsa_system_sgpr_workgroup_id_x 1
		.amdhsa_system_sgpr_workgroup_id_y 0
		.amdhsa_system_sgpr_workgroup_id_z 0
		.amdhsa_system_sgpr_workgroup_info 0
		.amdhsa_system_vgpr_workitem_id 0
		.amdhsa_next_free_vgpr 1
		.amdhsa_next_free_sgpr 0
		.amdhsa_accum_offset 4
		.amdhsa_reserve_vcc 0
		.amdhsa_float_round_mode_32 0
		.amdhsa_float_round_mode_16_64 0
		.amdhsa_float_denorm_mode_32 3
		.amdhsa_float_denorm_mode_16_64 3
		.amdhsa_dx10_clamp 1
		.amdhsa_ieee_mode 1
		.amdhsa_fp16_overflow 0
		.amdhsa_tg_split 0
		.amdhsa_exception_fp_ieee_invalid_op 0
		.amdhsa_exception_fp_denorm_src 0
		.amdhsa_exception_fp_ieee_div_zero 0
		.amdhsa_exception_fp_ieee_overflow 0
		.amdhsa_exception_fp_ieee_underflow 0
		.amdhsa_exception_fp_ieee_inexact 0
		.amdhsa_exception_int_div_zero 0
	.end_amdhsa_kernel
	.section	.text._ZN7rocprim17ROCPRIM_400000_NS6detail44device_merge_sort_compile_time_verifier_archINS1_11comp_targetILNS1_3genE10ELNS1_11target_archE1200ELNS1_3gpuE4ELNS1_3repE0EEENS3_ILS4_10ELS5_1201ELS6_5ELS7_0EEENS1_28merge_sort_block_sort_configILj256ELj4ELNS0_20block_sort_algorithmE0EEENS0_14default_configENS1_37merge_sort_block_sort_config_selectorItNS0_10empty_typeEEENS1_38merge_sort_block_merge_config_selectorItSF_EEEEvv,"axG",@progbits,_ZN7rocprim17ROCPRIM_400000_NS6detail44device_merge_sort_compile_time_verifier_archINS1_11comp_targetILNS1_3genE10ELNS1_11target_archE1200ELNS1_3gpuE4ELNS1_3repE0EEENS3_ILS4_10ELS5_1201ELS6_5ELS7_0EEENS1_28merge_sort_block_sort_configILj256ELj4ELNS0_20block_sort_algorithmE0EEENS0_14default_configENS1_37merge_sort_block_sort_config_selectorItNS0_10empty_typeEEENS1_38merge_sort_block_merge_config_selectorItSF_EEEEvv,comdat
.Lfunc_end1203:
	.size	_ZN7rocprim17ROCPRIM_400000_NS6detail44device_merge_sort_compile_time_verifier_archINS1_11comp_targetILNS1_3genE10ELNS1_11target_archE1200ELNS1_3gpuE4ELNS1_3repE0EEENS3_ILS4_10ELS5_1201ELS6_5ELS7_0EEENS1_28merge_sort_block_sort_configILj256ELj4ELNS0_20block_sort_algorithmE0EEENS0_14default_configENS1_37merge_sort_block_sort_config_selectorItNS0_10empty_typeEEENS1_38merge_sort_block_merge_config_selectorItSF_EEEEvv, .Lfunc_end1203-_ZN7rocprim17ROCPRIM_400000_NS6detail44device_merge_sort_compile_time_verifier_archINS1_11comp_targetILNS1_3genE10ELNS1_11target_archE1200ELNS1_3gpuE4ELNS1_3repE0EEENS3_ILS4_10ELS5_1201ELS6_5ELS7_0EEENS1_28merge_sort_block_sort_configILj256ELj4ELNS0_20block_sort_algorithmE0EEENS0_14default_configENS1_37merge_sort_block_sort_config_selectorItNS0_10empty_typeEEENS1_38merge_sort_block_merge_config_selectorItSF_EEEEvv
                                        ; -- End function
	.section	.AMDGPU.csdata,"",@progbits
; Kernel info:
; codeLenInByte = 4
; NumSgprs: 6
; NumVgprs: 0
; NumAgprs: 0
; TotalNumVgprs: 0
; ScratchSize: 0
; MemoryBound: 0
; FloatMode: 240
; IeeeMode: 1
; LDSByteSize: 0 bytes/workgroup (compile time only)
; SGPRBlocks: 0
; VGPRBlocks: 0
; NumSGPRsForWavesPerEU: 6
; NumVGPRsForWavesPerEU: 1
; AccumOffset: 4
; Occupancy: 8
; WaveLimiterHint : 0
; COMPUTE_PGM_RSRC2:SCRATCH_EN: 0
; COMPUTE_PGM_RSRC2:USER_SGPR: 0
; COMPUTE_PGM_RSRC2:TRAP_HANDLER: 0
; COMPUTE_PGM_RSRC2:TGID_X_EN: 1
; COMPUTE_PGM_RSRC2:TGID_Y_EN: 0
; COMPUTE_PGM_RSRC2:TGID_Z_EN: 0
; COMPUTE_PGM_RSRC2:TIDIG_COMP_CNT: 0
; COMPUTE_PGM_RSRC3_GFX90A:ACCUM_OFFSET: 0
; COMPUTE_PGM_RSRC3_GFX90A:TG_SPLIT: 0
	.section	.text._ZN7rocprim17ROCPRIM_400000_NS6detail44device_merge_sort_compile_time_verifier_archINS1_11comp_targetILNS1_3genE9ELNS1_11target_archE1100ELNS1_3gpuE3ELNS1_3repE0EEES8_NS1_28merge_sort_block_sort_configILj256ELj4ELNS0_20block_sort_algorithmE0EEENS0_14default_configENS1_37merge_sort_block_sort_config_selectorItNS0_10empty_typeEEENS1_38merge_sort_block_merge_config_selectorItSE_EEEEvv,"axG",@progbits,_ZN7rocprim17ROCPRIM_400000_NS6detail44device_merge_sort_compile_time_verifier_archINS1_11comp_targetILNS1_3genE9ELNS1_11target_archE1100ELNS1_3gpuE3ELNS1_3repE0EEES8_NS1_28merge_sort_block_sort_configILj256ELj4ELNS0_20block_sort_algorithmE0EEENS0_14default_configENS1_37merge_sort_block_sort_config_selectorItNS0_10empty_typeEEENS1_38merge_sort_block_merge_config_selectorItSE_EEEEvv,comdat
	.protected	_ZN7rocprim17ROCPRIM_400000_NS6detail44device_merge_sort_compile_time_verifier_archINS1_11comp_targetILNS1_3genE9ELNS1_11target_archE1100ELNS1_3gpuE3ELNS1_3repE0EEES8_NS1_28merge_sort_block_sort_configILj256ELj4ELNS0_20block_sort_algorithmE0EEENS0_14default_configENS1_37merge_sort_block_sort_config_selectorItNS0_10empty_typeEEENS1_38merge_sort_block_merge_config_selectorItSE_EEEEvv ; -- Begin function _ZN7rocprim17ROCPRIM_400000_NS6detail44device_merge_sort_compile_time_verifier_archINS1_11comp_targetILNS1_3genE9ELNS1_11target_archE1100ELNS1_3gpuE3ELNS1_3repE0EEES8_NS1_28merge_sort_block_sort_configILj256ELj4ELNS0_20block_sort_algorithmE0EEENS0_14default_configENS1_37merge_sort_block_sort_config_selectorItNS0_10empty_typeEEENS1_38merge_sort_block_merge_config_selectorItSE_EEEEvv
	.globl	_ZN7rocprim17ROCPRIM_400000_NS6detail44device_merge_sort_compile_time_verifier_archINS1_11comp_targetILNS1_3genE9ELNS1_11target_archE1100ELNS1_3gpuE3ELNS1_3repE0EEES8_NS1_28merge_sort_block_sort_configILj256ELj4ELNS0_20block_sort_algorithmE0EEENS0_14default_configENS1_37merge_sort_block_sort_config_selectorItNS0_10empty_typeEEENS1_38merge_sort_block_merge_config_selectorItSE_EEEEvv
	.p2align	8
	.type	_ZN7rocprim17ROCPRIM_400000_NS6detail44device_merge_sort_compile_time_verifier_archINS1_11comp_targetILNS1_3genE9ELNS1_11target_archE1100ELNS1_3gpuE3ELNS1_3repE0EEES8_NS1_28merge_sort_block_sort_configILj256ELj4ELNS0_20block_sort_algorithmE0EEENS0_14default_configENS1_37merge_sort_block_sort_config_selectorItNS0_10empty_typeEEENS1_38merge_sort_block_merge_config_selectorItSE_EEEEvv,@function
_ZN7rocprim17ROCPRIM_400000_NS6detail44device_merge_sort_compile_time_verifier_archINS1_11comp_targetILNS1_3genE9ELNS1_11target_archE1100ELNS1_3gpuE3ELNS1_3repE0EEES8_NS1_28merge_sort_block_sort_configILj256ELj4ELNS0_20block_sort_algorithmE0EEENS0_14default_configENS1_37merge_sort_block_sort_config_selectorItNS0_10empty_typeEEENS1_38merge_sort_block_merge_config_selectorItSE_EEEEvv: ; @_ZN7rocprim17ROCPRIM_400000_NS6detail44device_merge_sort_compile_time_verifier_archINS1_11comp_targetILNS1_3genE9ELNS1_11target_archE1100ELNS1_3gpuE3ELNS1_3repE0EEES8_NS1_28merge_sort_block_sort_configILj256ELj4ELNS0_20block_sort_algorithmE0EEENS0_14default_configENS1_37merge_sort_block_sort_config_selectorItNS0_10empty_typeEEENS1_38merge_sort_block_merge_config_selectorItSE_EEEEvv
; %bb.0:
	s_endpgm
	.section	.rodata,"a",@progbits
	.p2align	6, 0x0
	.amdhsa_kernel _ZN7rocprim17ROCPRIM_400000_NS6detail44device_merge_sort_compile_time_verifier_archINS1_11comp_targetILNS1_3genE9ELNS1_11target_archE1100ELNS1_3gpuE3ELNS1_3repE0EEES8_NS1_28merge_sort_block_sort_configILj256ELj4ELNS0_20block_sort_algorithmE0EEENS0_14default_configENS1_37merge_sort_block_sort_config_selectorItNS0_10empty_typeEEENS1_38merge_sort_block_merge_config_selectorItSE_EEEEvv
		.amdhsa_group_segment_fixed_size 0
		.amdhsa_private_segment_fixed_size 0
		.amdhsa_kernarg_size 0
		.amdhsa_user_sgpr_count 0
		.amdhsa_user_sgpr_dispatch_ptr 0
		.amdhsa_user_sgpr_queue_ptr 0
		.amdhsa_user_sgpr_kernarg_segment_ptr 0
		.amdhsa_user_sgpr_dispatch_id 0
		.amdhsa_user_sgpr_kernarg_preload_length 0
		.amdhsa_user_sgpr_kernarg_preload_offset 0
		.amdhsa_user_sgpr_private_segment_size 0
		.amdhsa_uses_dynamic_stack 0
		.amdhsa_enable_private_segment 0
		.amdhsa_system_sgpr_workgroup_id_x 1
		.amdhsa_system_sgpr_workgroup_id_y 0
		.amdhsa_system_sgpr_workgroup_id_z 0
		.amdhsa_system_sgpr_workgroup_info 0
		.amdhsa_system_vgpr_workitem_id 0
		.amdhsa_next_free_vgpr 1
		.amdhsa_next_free_sgpr 0
		.amdhsa_accum_offset 4
		.amdhsa_reserve_vcc 0
		.amdhsa_float_round_mode_32 0
		.amdhsa_float_round_mode_16_64 0
		.amdhsa_float_denorm_mode_32 3
		.amdhsa_float_denorm_mode_16_64 3
		.amdhsa_dx10_clamp 1
		.amdhsa_ieee_mode 1
		.amdhsa_fp16_overflow 0
		.amdhsa_tg_split 0
		.amdhsa_exception_fp_ieee_invalid_op 0
		.amdhsa_exception_fp_denorm_src 0
		.amdhsa_exception_fp_ieee_div_zero 0
		.amdhsa_exception_fp_ieee_overflow 0
		.amdhsa_exception_fp_ieee_underflow 0
		.amdhsa_exception_fp_ieee_inexact 0
		.amdhsa_exception_int_div_zero 0
	.end_amdhsa_kernel
	.section	.text._ZN7rocprim17ROCPRIM_400000_NS6detail44device_merge_sort_compile_time_verifier_archINS1_11comp_targetILNS1_3genE9ELNS1_11target_archE1100ELNS1_3gpuE3ELNS1_3repE0EEES8_NS1_28merge_sort_block_sort_configILj256ELj4ELNS0_20block_sort_algorithmE0EEENS0_14default_configENS1_37merge_sort_block_sort_config_selectorItNS0_10empty_typeEEENS1_38merge_sort_block_merge_config_selectorItSE_EEEEvv,"axG",@progbits,_ZN7rocprim17ROCPRIM_400000_NS6detail44device_merge_sort_compile_time_verifier_archINS1_11comp_targetILNS1_3genE9ELNS1_11target_archE1100ELNS1_3gpuE3ELNS1_3repE0EEES8_NS1_28merge_sort_block_sort_configILj256ELj4ELNS0_20block_sort_algorithmE0EEENS0_14default_configENS1_37merge_sort_block_sort_config_selectorItNS0_10empty_typeEEENS1_38merge_sort_block_merge_config_selectorItSE_EEEEvv,comdat
.Lfunc_end1204:
	.size	_ZN7rocprim17ROCPRIM_400000_NS6detail44device_merge_sort_compile_time_verifier_archINS1_11comp_targetILNS1_3genE9ELNS1_11target_archE1100ELNS1_3gpuE3ELNS1_3repE0EEES8_NS1_28merge_sort_block_sort_configILj256ELj4ELNS0_20block_sort_algorithmE0EEENS0_14default_configENS1_37merge_sort_block_sort_config_selectorItNS0_10empty_typeEEENS1_38merge_sort_block_merge_config_selectorItSE_EEEEvv, .Lfunc_end1204-_ZN7rocprim17ROCPRIM_400000_NS6detail44device_merge_sort_compile_time_verifier_archINS1_11comp_targetILNS1_3genE9ELNS1_11target_archE1100ELNS1_3gpuE3ELNS1_3repE0EEES8_NS1_28merge_sort_block_sort_configILj256ELj4ELNS0_20block_sort_algorithmE0EEENS0_14default_configENS1_37merge_sort_block_sort_config_selectorItNS0_10empty_typeEEENS1_38merge_sort_block_merge_config_selectorItSE_EEEEvv
                                        ; -- End function
	.section	.AMDGPU.csdata,"",@progbits
; Kernel info:
; codeLenInByte = 4
; NumSgprs: 6
; NumVgprs: 0
; NumAgprs: 0
; TotalNumVgprs: 0
; ScratchSize: 0
; MemoryBound: 0
; FloatMode: 240
; IeeeMode: 1
; LDSByteSize: 0 bytes/workgroup (compile time only)
; SGPRBlocks: 0
; VGPRBlocks: 0
; NumSGPRsForWavesPerEU: 6
; NumVGPRsForWavesPerEU: 1
; AccumOffset: 4
; Occupancy: 8
; WaveLimiterHint : 0
; COMPUTE_PGM_RSRC2:SCRATCH_EN: 0
; COMPUTE_PGM_RSRC2:USER_SGPR: 0
; COMPUTE_PGM_RSRC2:TRAP_HANDLER: 0
; COMPUTE_PGM_RSRC2:TGID_X_EN: 1
; COMPUTE_PGM_RSRC2:TGID_Y_EN: 0
; COMPUTE_PGM_RSRC2:TGID_Z_EN: 0
; COMPUTE_PGM_RSRC2:TIDIG_COMP_CNT: 0
; COMPUTE_PGM_RSRC3_GFX90A:ACCUM_OFFSET: 0
; COMPUTE_PGM_RSRC3_GFX90A:TG_SPLIT: 0
	.section	.text._ZN7rocprim17ROCPRIM_400000_NS6detail44device_merge_sort_compile_time_verifier_archINS1_11comp_targetILNS1_3genE8ELNS1_11target_archE1030ELNS1_3gpuE2ELNS1_3repE0EEES8_NS1_28merge_sort_block_sort_configILj256ELj4ELNS0_20block_sort_algorithmE0EEENS0_14default_configENS1_37merge_sort_block_sort_config_selectorItNS0_10empty_typeEEENS1_38merge_sort_block_merge_config_selectorItSE_EEEEvv,"axG",@progbits,_ZN7rocprim17ROCPRIM_400000_NS6detail44device_merge_sort_compile_time_verifier_archINS1_11comp_targetILNS1_3genE8ELNS1_11target_archE1030ELNS1_3gpuE2ELNS1_3repE0EEES8_NS1_28merge_sort_block_sort_configILj256ELj4ELNS0_20block_sort_algorithmE0EEENS0_14default_configENS1_37merge_sort_block_sort_config_selectorItNS0_10empty_typeEEENS1_38merge_sort_block_merge_config_selectorItSE_EEEEvv,comdat
	.protected	_ZN7rocprim17ROCPRIM_400000_NS6detail44device_merge_sort_compile_time_verifier_archINS1_11comp_targetILNS1_3genE8ELNS1_11target_archE1030ELNS1_3gpuE2ELNS1_3repE0EEES8_NS1_28merge_sort_block_sort_configILj256ELj4ELNS0_20block_sort_algorithmE0EEENS0_14default_configENS1_37merge_sort_block_sort_config_selectorItNS0_10empty_typeEEENS1_38merge_sort_block_merge_config_selectorItSE_EEEEvv ; -- Begin function _ZN7rocprim17ROCPRIM_400000_NS6detail44device_merge_sort_compile_time_verifier_archINS1_11comp_targetILNS1_3genE8ELNS1_11target_archE1030ELNS1_3gpuE2ELNS1_3repE0EEES8_NS1_28merge_sort_block_sort_configILj256ELj4ELNS0_20block_sort_algorithmE0EEENS0_14default_configENS1_37merge_sort_block_sort_config_selectorItNS0_10empty_typeEEENS1_38merge_sort_block_merge_config_selectorItSE_EEEEvv
	.globl	_ZN7rocprim17ROCPRIM_400000_NS6detail44device_merge_sort_compile_time_verifier_archINS1_11comp_targetILNS1_3genE8ELNS1_11target_archE1030ELNS1_3gpuE2ELNS1_3repE0EEES8_NS1_28merge_sort_block_sort_configILj256ELj4ELNS0_20block_sort_algorithmE0EEENS0_14default_configENS1_37merge_sort_block_sort_config_selectorItNS0_10empty_typeEEENS1_38merge_sort_block_merge_config_selectorItSE_EEEEvv
	.p2align	8
	.type	_ZN7rocprim17ROCPRIM_400000_NS6detail44device_merge_sort_compile_time_verifier_archINS1_11comp_targetILNS1_3genE8ELNS1_11target_archE1030ELNS1_3gpuE2ELNS1_3repE0EEES8_NS1_28merge_sort_block_sort_configILj256ELj4ELNS0_20block_sort_algorithmE0EEENS0_14default_configENS1_37merge_sort_block_sort_config_selectorItNS0_10empty_typeEEENS1_38merge_sort_block_merge_config_selectorItSE_EEEEvv,@function
_ZN7rocprim17ROCPRIM_400000_NS6detail44device_merge_sort_compile_time_verifier_archINS1_11comp_targetILNS1_3genE8ELNS1_11target_archE1030ELNS1_3gpuE2ELNS1_3repE0EEES8_NS1_28merge_sort_block_sort_configILj256ELj4ELNS0_20block_sort_algorithmE0EEENS0_14default_configENS1_37merge_sort_block_sort_config_selectorItNS0_10empty_typeEEENS1_38merge_sort_block_merge_config_selectorItSE_EEEEvv: ; @_ZN7rocprim17ROCPRIM_400000_NS6detail44device_merge_sort_compile_time_verifier_archINS1_11comp_targetILNS1_3genE8ELNS1_11target_archE1030ELNS1_3gpuE2ELNS1_3repE0EEES8_NS1_28merge_sort_block_sort_configILj256ELj4ELNS0_20block_sort_algorithmE0EEENS0_14default_configENS1_37merge_sort_block_sort_config_selectorItNS0_10empty_typeEEENS1_38merge_sort_block_merge_config_selectorItSE_EEEEvv
; %bb.0:
	s_endpgm
	.section	.rodata,"a",@progbits
	.p2align	6, 0x0
	.amdhsa_kernel _ZN7rocprim17ROCPRIM_400000_NS6detail44device_merge_sort_compile_time_verifier_archINS1_11comp_targetILNS1_3genE8ELNS1_11target_archE1030ELNS1_3gpuE2ELNS1_3repE0EEES8_NS1_28merge_sort_block_sort_configILj256ELj4ELNS0_20block_sort_algorithmE0EEENS0_14default_configENS1_37merge_sort_block_sort_config_selectorItNS0_10empty_typeEEENS1_38merge_sort_block_merge_config_selectorItSE_EEEEvv
		.amdhsa_group_segment_fixed_size 0
		.amdhsa_private_segment_fixed_size 0
		.amdhsa_kernarg_size 0
		.amdhsa_user_sgpr_count 0
		.amdhsa_user_sgpr_dispatch_ptr 0
		.amdhsa_user_sgpr_queue_ptr 0
		.amdhsa_user_sgpr_kernarg_segment_ptr 0
		.amdhsa_user_sgpr_dispatch_id 0
		.amdhsa_user_sgpr_kernarg_preload_length 0
		.amdhsa_user_sgpr_kernarg_preload_offset 0
		.amdhsa_user_sgpr_private_segment_size 0
		.amdhsa_uses_dynamic_stack 0
		.amdhsa_enable_private_segment 0
		.amdhsa_system_sgpr_workgroup_id_x 1
		.amdhsa_system_sgpr_workgroup_id_y 0
		.amdhsa_system_sgpr_workgroup_id_z 0
		.amdhsa_system_sgpr_workgroup_info 0
		.amdhsa_system_vgpr_workitem_id 0
		.amdhsa_next_free_vgpr 1
		.amdhsa_next_free_sgpr 0
		.amdhsa_accum_offset 4
		.amdhsa_reserve_vcc 0
		.amdhsa_float_round_mode_32 0
		.amdhsa_float_round_mode_16_64 0
		.amdhsa_float_denorm_mode_32 3
		.amdhsa_float_denorm_mode_16_64 3
		.amdhsa_dx10_clamp 1
		.amdhsa_ieee_mode 1
		.amdhsa_fp16_overflow 0
		.amdhsa_tg_split 0
		.amdhsa_exception_fp_ieee_invalid_op 0
		.amdhsa_exception_fp_denorm_src 0
		.amdhsa_exception_fp_ieee_div_zero 0
		.amdhsa_exception_fp_ieee_overflow 0
		.amdhsa_exception_fp_ieee_underflow 0
		.amdhsa_exception_fp_ieee_inexact 0
		.amdhsa_exception_int_div_zero 0
	.end_amdhsa_kernel
	.section	.text._ZN7rocprim17ROCPRIM_400000_NS6detail44device_merge_sort_compile_time_verifier_archINS1_11comp_targetILNS1_3genE8ELNS1_11target_archE1030ELNS1_3gpuE2ELNS1_3repE0EEES8_NS1_28merge_sort_block_sort_configILj256ELj4ELNS0_20block_sort_algorithmE0EEENS0_14default_configENS1_37merge_sort_block_sort_config_selectorItNS0_10empty_typeEEENS1_38merge_sort_block_merge_config_selectorItSE_EEEEvv,"axG",@progbits,_ZN7rocprim17ROCPRIM_400000_NS6detail44device_merge_sort_compile_time_verifier_archINS1_11comp_targetILNS1_3genE8ELNS1_11target_archE1030ELNS1_3gpuE2ELNS1_3repE0EEES8_NS1_28merge_sort_block_sort_configILj256ELj4ELNS0_20block_sort_algorithmE0EEENS0_14default_configENS1_37merge_sort_block_sort_config_selectorItNS0_10empty_typeEEENS1_38merge_sort_block_merge_config_selectorItSE_EEEEvv,comdat
.Lfunc_end1205:
	.size	_ZN7rocprim17ROCPRIM_400000_NS6detail44device_merge_sort_compile_time_verifier_archINS1_11comp_targetILNS1_3genE8ELNS1_11target_archE1030ELNS1_3gpuE2ELNS1_3repE0EEES8_NS1_28merge_sort_block_sort_configILj256ELj4ELNS0_20block_sort_algorithmE0EEENS0_14default_configENS1_37merge_sort_block_sort_config_selectorItNS0_10empty_typeEEENS1_38merge_sort_block_merge_config_selectorItSE_EEEEvv, .Lfunc_end1205-_ZN7rocprim17ROCPRIM_400000_NS6detail44device_merge_sort_compile_time_verifier_archINS1_11comp_targetILNS1_3genE8ELNS1_11target_archE1030ELNS1_3gpuE2ELNS1_3repE0EEES8_NS1_28merge_sort_block_sort_configILj256ELj4ELNS0_20block_sort_algorithmE0EEENS0_14default_configENS1_37merge_sort_block_sort_config_selectorItNS0_10empty_typeEEENS1_38merge_sort_block_merge_config_selectorItSE_EEEEvv
                                        ; -- End function
	.section	.AMDGPU.csdata,"",@progbits
; Kernel info:
; codeLenInByte = 4
; NumSgprs: 6
; NumVgprs: 0
; NumAgprs: 0
; TotalNumVgprs: 0
; ScratchSize: 0
; MemoryBound: 0
; FloatMode: 240
; IeeeMode: 1
; LDSByteSize: 0 bytes/workgroup (compile time only)
; SGPRBlocks: 0
; VGPRBlocks: 0
; NumSGPRsForWavesPerEU: 6
; NumVGPRsForWavesPerEU: 1
; AccumOffset: 4
; Occupancy: 8
; WaveLimiterHint : 0
; COMPUTE_PGM_RSRC2:SCRATCH_EN: 0
; COMPUTE_PGM_RSRC2:USER_SGPR: 0
; COMPUTE_PGM_RSRC2:TRAP_HANDLER: 0
; COMPUTE_PGM_RSRC2:TGID_X_EN: 1
; COMPUTE_PGM_RSRC2:TGID_Y_EN: 0
; COMPUTE_PGM_RSRC2:TGID_Z_EN: 0
; COMPUTE_PGM_RSRC2:TIDIG_COMP_CNT: 0
; COMPUTE_PGM_RSRC3_GFX90A:ACCUM_OFFSET: 0
; COMPUTE_PGM_RSRC3_GFX90A:TG_SPLIT: 0
	.section	.text._ZN7rocprim17ROCPRIM_400000_NS6detail17trampoline_kernelINS0_14default_configENS1_38merge_sort_block_merge_config_selectorItNS0_10empty_typeEEEZZNS1_27merge_sort_block_merge_implIS3_N6thrust23THRUST_200600_302600_NS6detail15normal_iteratorINS9_10device_ptrItEEEEPS5_jNS1_19radix_merge_compareILb0ELb0EtNS0_19identity_decomposerEEEEE10hipError_tT0_T1_T2_jT3_P12ihipStream_tbPNSt15iterator_traitsISK_E10value_typeEPNSQ_ISL_E10value_typeEPSM_NS1_7vsmem_tEENKUlT_SK_SL_SM_E_clIPtSE_SF_SF_EESJ_SZ_SK_SL_SM_EUlSZ_E_NS1_11comp_targetILNS1_3genE0ELNS1_11target_archE4294967295ELNS1_3gpuE0ELNS1_3repE0EEENS1_48merge_mergepath_partition_config_static_selectorELNS0_4arch9wavefront6targetE1EEEvSL_,"axG",@progbits,_ZN7rocprim17ROCPRIM_400000_NS6detail17trampoline_kernelINS0_14default_configENS1_38merge_sort_block_merge_config_selectorItNS0_10empty_typeEEEZZNS1_27merge_sort_block_merge_implIS3_N6thrust23THRUST_200600_302600_NS6detail15normal_iteratorINS9_10device_ptrItEEEEPS5_jNS1_19radix_merge_compareILb0ELb0EtNS0_19identity_decomposerEEEEE10hipError_tT0_T1_T2_jT3_P12ihipStream_tbPNSt15iterator_traitsISK_E10value_typeEPNSQ_ISL_E10value_typeEPSM_NS1_7vsmem_tEENKUlT_SK_SL_SM_E_clIPtSE_SF_SF_EESJ_SZ_SK_SL_SM_EUlSZ_E_NS1_11comp_targetILNS1_3genE0ELNS1_11target_archE4294967295ELNS1_3gpuE0ELNS1_3repE0EEENS1_48merge_mergepath_partition_config_static_selectorELNS0_4arch9wavefront6targetE1EEEvSL_,comdat
	.protected	_ZN7rocprim17ROCPRIM_400000_NS6detail17trampoline_kernelINS0_14default_configENS1_38merge_sort_block_merge_config_selectorItNS0_10empty_typeEEEZZNS1_27merge_sort_block_merge_implIS3_N6thrust23THRUST_200600_302600_NS6detail15normal_iteratorINS9_10device_ptrItEEEEPS5_jNS1_19radix_merge_compareILb0ELb0EtNS0_19identity_decomposerEEEEE10hipError_tT0_T1_T2_jT3_P12ihipStream_tbPNSt15iterator_traitsISK_E10value_typeEPNSQ_ISL_E10value_typeEPSM_NS1_7vsmem_tEENKUlT_SK_SL_SM_E_clIPtSE_SF_SF_EESJ_SZ_SK_SL_SM_EUlSZ_E_NS1_11comp_targetILNS1_3genE0ELNS1_11target_archE4294967295ELNS1_3gpuE0ELNS1_3repE0EEENS1_48merge_mergepath_partition_config_static_selectorELNS0_4arch9wavefront6targetE1EEEvSL_ ; -- Begin function _ZN7rocprim17ROCPRIM_400000_NS6detail17trampoline_kernelINS0_14default_configENS1_38merge_sort_block_merge_config_selectorItNS0_10empty_typeEEEZZNS1_27merge_sort_block_merge_implIS3_N6thrust23THRUST_200600_302600_NS6detail15normal_iteratorINS9_10device_ptrItEEEEPS5_jNS1_19radix_merge_compareILb0ELb0EtNS0_19identity_decomposerEEEEE10hipError_tT0_T1_T2_jT3_P12ihipStream_tbPNSt15iterator_traitsISK_E10value_typeEPNSQ_ISL_E10value_typeEPSM_NS1_7vsmem_tEENKUlT_SK_SL_SM_E_clIPtSE_SF_SF_EESJ_SZ_SK_SL_SM_EUlSZ_E_NS1_11comp_targetILNS1_3genE0ELNS1_11target_archE4294967295ELNS1_3gpuE0ELNS1_3repE0EEENS1_48merge_mergepath_partition_config_static_selectorELNS0_4arch9wavefront6targetE1EEEvSL_
	.globl	_ZN7rocprim17ROCPRIM_400000_NS6detail17trampoline_kernelINS0_14default_configENS1_38merge_sort_block_merge_config_selectorItNS0_10empty_typeEEEZZNS1_27merge_sort_block_merge_implIS3_N6thrust23THRUST_200600_302600_NS6detail15normal_iteratorINS9_10device_ptrItEEEEPS5_jNS1_19radix_merge_compareILb0ELb0EtNS0_19identity_decomposerEEEEE10hipError_tT0_T1_T2_jT3_P12ihipStream_tbPNSt15iterator_traitsISK_E10value_typeEPNSQ_ISL_E10value_typeEPSM_NS1_7vsmem_tEENKUlT_SK_SL_SM_E_clIPtSE_SF_SF_EESJ_SZ_SK_SL_SM_EUlSZ_E_NS1_11comp_targetILNS1_3genE0ELNS1_11target_archE4294967295ELNS1_3gpuE0ELNS1_3repE0EEENS1_48merge_mergepath_partition_config_static_selectorELNS0_4arch9wavefront6targetE1EEEvSL_
	.p2align	8
	.type	_ZN7rocprim17ROCPRIM_400000_NS6detail17trampoline_kernelINS0_14default_configENS1_38merge_sort_block_merge_config_selectorItNS0_10empty_typeEEEZZNS1_27merge_sort_block_merge_implIS3_N6thrust23THRUST_200600_302600_NS6detail15normal_iteratorINS9_10device_ptrItEEEEPS5_jNS1_19radix_merge_compareILb0ELb0EtNS0_19identity_decomposerEEEEE10hipError_tT0_T1_T2_jT3_P12ihipStream_tbPNSt15iterator_traitsISK_E10value_typeEPNSQ_ISL_E10value_typeEPSM_NS1_7vsmem_tEENKUlT_SK_SL_SM_E_clIPtSE_SF_SF_EESJ_SZ_SK_SL_SM_EUlSZ_E_NS1_11comp_targetILNS1_3genE0ELNS1_11target_archE4294967295ELNS1_3gpuE0ELNS1_3repE0EEENS1_48merge_mergepath_partition_config_static_selectorELNS0_4arch9wavefront6targetE1EEEvSL_,@function
_ZN7rocprim17ROCPRIM_400000_NS6detail17trampoline_kernelINS0_14default_configENS1_38merge_sort_block_merge_config_selectorItNS0_10empty_typeEEEZZNS1_27merge_sort_block_merge_implIS3_N6thrust23THRUST_200600_302600_NS6detail15normal_iteratorINS9_10device_ptrItEEEEPS5_jNS1_19radix_merge_compareILb0ELb0EtNS0_19identity_decomposerEEEEE10hipError_tT0_T1_T2_jT3_P12ihipStream_tbPNSt15iterator_traitsISK_E10value_typeEPNSQ_ISL_E10value_typeEPSM_NS1_7vsmem_tEENKUlT_SK_SL_SM_E_clIPtSE_SF_SF_EESJ_SZ_SK_SL_SM_EUlSZ_E_NS1_11comp_targetILNS1_3genE0ELNS1_11target_archE4294967295ELNS1_3gpuE0ELNS1_3repE0EEENS1_48merge_mergepath_partition_config_static_selectorELNS0_4arch9wavefront6targetE1EEEvSL_: ; @_ZN7rocprim17ROCPRIM_400000_NS6detail17trampoline_kernelINS0_14default_configENS1_38merge_sort_block_merge_config_selectorItNS0_10empty_typeEEEZZNS1_27merge_sort_block_merge_implIS3_N6thrust23THRUST_200600_302600_NS6detail15normal_iteratorINS9_10device_ptrItEEEEPS5_jNS1_19radix_merge_compareILb0ELb0EtNS0_19identity_decomposerEEEEE10hipError_tT0_T1_T2_jT3_P12ihipStream_tbPNSt15iterator_traitsISK_E10value_typeEPNSQ_ISL_E10value_typeEPSM_NS1_7vsmem_tEENKUlT_SK_SL_SM_E_clIPtSE_SF_SF_EESJ_SZ_SK_SL_SM_EUlSZ_E_NS1_11comp_targetILNS1_3genE0ELNS1_11target_archE4294967295ELNS1_3gpuE0ELNS1_3repE0EEENS1_48merge_mergepath_partition_config_static_selectorELNS0_4arch9wavefront6targetE1EEEvSL_
; %bb.0:
	.section	.rodata,"a",@progbits
	.p2align	6, 0x0
	.amdhsa_kernel _ZN7rocprim17ROCPRIM_400000_NS6detail17trampoline_kernelINS0_14default_configENS1_38merge_sort_block_merge_config_selectorItNS0_10empty_typeEEEZZNS1_27merge_sort_block_merge_implIS3_N6thrust23THRUST_200600_302600_NS6detail15normal_iteratorINS9_10device_ptrItEEEEPS5_jNS1_19radix_merge_compareILb0ELb0EtNS0_19identity_decomposerEEEEE10hipError_tT0_T1_T2_jT3_P12ihipStream_tbPNSt15iterator_traitsISK_E10value_typeEPNSQ_ISL_E10value_typeEPSM_NS1_7vsmem_tEENKUlT_SK_SL_SM_E_clIPtSE_SF_SF_EESJ_SZ_SK_SL_SM_EUlSZ_E_NS1_11comp_targetILNS1_3genE0ELNS1_11target_archE4294967295ELNS1_3gpuE0ELNS1_3repE0EEENS1_48merge_mergepath_partition_config_static_selectorELNS0_4arch9wavefront6targetE1EEEvSL_
		.amdhsa_group_segment_fixed_size 0
		.amdhsa_private_segment_fixed_size 0
		.amdhsa_kernarg_size 40
		.amdhsa_user_sgpr_count 2
		.amdhsa_user_sgpr_dispatch_ptr 0
		.amdhsa_user_sgpr_queue_ptr 0
		.amdhsa_user_sgpr_kernarg_segment_ptr 1
		.amdhsa_user_sgpr_dispatch_id 0
		.amdhsa_user_sgpr_kernarg_preload_length 0
		.amdhsa_user_sgpr_kernarg_preload_offset 0
		.amdhsa_user_sgpr_private_segment_size 0
		.amdhsa_uses_dynamic_stack 0
		.amdhsa_enable_private_segment 0
		.amdhsa_system_sgpr_workgroup_id_x 1
		.amdhsa_system_sgpr_workgroup_id_y 0
		.amdhsa_system_sgpr_workgroup_id_z 0
		.amdhsa_system_sgpr_workgroup_info 0
		.amdhsa_system_vgpr_workitem_id 0
		.amdhsa_next_free_vgpr 1
		.amdhsa_next_free_sgpr 0
		.amdhsa_accum_offset 4
		.amdhsa_reserve_vcc 0
		.amdhsa_float_round_mode_32 0
		.amdhsa_float_round_mode_16_64 0
		.amdhsa_float_denorm_mode_32 3
		.amdhsa_float_denorm_mode_16_64 3
		.amdhsa_dx10_clamp 1
		.amdhsa_ieee_mode 1
		.amdhsa_fp16_overflow 0
		.amdhsa_tg_split 0
		.amdhsa_exception_fp_ieee_invalid_op 0
		.amdhsa_exception_fp_denorm_src 0
		.amdhsa_exception_fp_ieee_div_zero 0
		.amdhsa_exception_fp_ieee_overflow 0
		.amdhsa_exception_fp_ieee_underflow 0
		.amdhsa_exception_fp_ieee_inexact 0
		.amdhsa_exception_int_div_zero 0
	.end_amdhsa_kernel
	.section	.text._ZN7rocprim17ROCPRIM_400000_NS6detail17trampoline_kernelINS0_14default_configENS1_38merge_sort_block_merge_config_selectorItNS0_10empty_typeEEEZZNS1_27merge_sort_block_merge_implIS3_N6thrust23THRUST_200600_302600_NS6detail15normal_iteratorINS9_10device_ptrItEEEEPS5_jNS1_19radix_merge_compareILb0ELb0EtNS0_19identity_decomposerEEEEE10hipError_tT0_T1_T2_jT3_P12ihipStream_tbPNSt15iterator_traitsISK_E10value_typeEPNSQ_ISL_E10value_typeEPSM_NS1_7vsmem_tEENKUlT_SK_SL_SM_E_clIPtSE_SF_SF_EESJ_SZ_SK_SL_SM_EUlSZ_E_NS1_11comp_targetILNS1_3genE0ELNS1_11target_archE4294967295ELNS1_3gpuE0ELNS1_3repE0EEENS1_48merge_mergepath_partition_config_static_selectorELNS0_4arch9wavefront6targetE1EEEvSL_,"axG",@progbits,_ZN7rocprim17ROCPRIM_400000_NS6detail17trampoline_kernelINS0_14default_configENS1_38merge_sort_block_merge_config_selectorItNS0_10empty_typeEEEZZNS1_27merge_sort_block_merge_implIS3_N6thrust23THRUST_200600_302600_NS6detail15normal_iteratorINS9_10device_ptrItEEEEPS5_jNS1_19radix_merge_compareILb0ELb0EtNS0_19identity_decomposerEEEEE10hipError_tT0_T1_T2_jT3_P12ihipStream_tbPNSt15iterator_traitsISK_E10value_typeEPNSQ_ISL_E10value_typeEPSM_NS1_7vsmem_tEENKUlT_SK_SL_SM_E_clIPtSE_SF_SF_EESJ_SZ_SK_SL_SM_EUlSZ_E_NS1_11comp_targetILNS1_3genE0ELNS1_11target_archE4294967295ELNS1_3gpuE0ELNS1_3repE0EEENS1_48merge_mergepath_partition_config_static_selectorELNS0_4arch9wavefront6targetE1EEEvSL_,comdat
.Lfunc_end1206:
	.size	_ZN7rocprim17ROCPRIM_400000_NS6detail17trampoline_kernelINS0_14default_configENS1_38merge_sort_block_merge_config_selectorItNS0_10empty_typeEEEZZNS1_27merge_sort_block_merge_implIS3_N6thrust23THRUST_200600_302600_NS6detail15normal_iteratorINS9_10device_ptrItEEEEPS5_jNS1_19radix_merge_compareILb0ELb0EtNS0_19identity_decomposerEEEEE10hipError_tT0_T1_T2_jT3_P12ihipStream_tbPNSt15iterator_traitsISK_E10value_typeEPNSQ_ISL_E10value_typeEPSM_NS1_7vsmem_tEENKUlT_SK_SL_SM_E_clIPtSE_SF_SF_EESJ_SZ_SK_SL_SM_EUlSZ_E_NS1_11comp_targetILNS1_3genE0ELNS1_11target_archE4294967295ELNS1_3gpuE0ELNS1_3repE0EEENS1_48merge_mergepath_partition_config_static_selectorELNS0_4arch9wavefront6targetE1EEEvSL_, .Lfunc_end1206-_ZN7rocprim17ROCPRIM_400000_NS6detail17trampoline_kernelINS0_14default_configENS1_38merge_sort_block_merge_config_selectorItNS0_10empty_typeEEEZZNS1_27merge_sort_block_merge_implIS3_N6thrust23THRUST_200600_302600_NS6detail15normal_iteratorINS9_10device_ptrItEEEEPS5_jNS1_19radix_merge_compareILb0ELb0EtNS0_19identity_decomposerEEEEE10hipError_tT0_T1_T2_jT3_P12ihipStream_tbPNSt15iterator_traitsISK_E10value_typeEPNSQ_ISL_E10value_typeEPSM_NS1_7vsmem_tEENKUlT_SK_SL_SM_E_clIPtSE_SF_SF_EESJ_SZ_SK_SL_SM_EUlSZ_E_NS1_11comp_targetILNS1_3genE0ELNS1_11target_archE4294967295ELNS1_3gpuE0ELNS1_3repE0EEENS1_48merge_mergepath_partition_config_static_selectorELNS0_4arch9wavefront6targetE1EEEvSL_
                                        ; -- End function
	.section	.AMDGPU.csdata,"",@progbits
; Kernel info:
; codeLenInByte = 0
; NumSgprs: 6
; NumVgprs: 0
; NumAgprs: 0
; TotalNumVgprs: 0
; ScratchSize: 0
; MemoryBound: 0
; FloatMode: 240
; IeeeMode: 1
; LDSByteSize: 0 bytes/workgroup (compile time only)
; SGPRBlocks: 0
; VGPRBlocks: 0
; NumSGPRsForWavesPerEU: 6
; NumVGPRsForWavesPerEU: 1
; AccumOffset: 4
; Occupancy: 8
; WaveLimiterHint : 0
; COMPUTE_PGM_RSRC2:SCRATCH_EN: 0
; COMPUTE_PGM_RSRC2:USER_SGPR: 2
; COMPUTE_PGM_RSRC2:TRAP_HANDLER: 0
; COMPUTE_PGM_RSRC2:TGID_X_EN: 1
; COMPUTE_PGM_RSRC2:TGID_Y_EN: 0
; COMPUTE_PGM_RSRC2:TGID_Z_EN: 0
; COMPUTE_PGM_RSRC2:TIDIG_COMP_CNT: 0
; COMPUTE_PGM_RSRC3_GFX90A:ACCUM_OFFSET: 0
; COMPUTE_PGM_RSRC3_GFX90A:TG_SPLIT: 0
	.section	.text._ZN7rocprim17ROCPRIM_400000_NS6detail17trampoline_kernelINS0_14default_configENS1_38merge_sort_block_merge_config_selectorItNS0_10empty_typeEEEZZNS1_27merge_sort_block_merge_implIS3_N6thrust23THRUST_200600_302600_NS6detail15normal_iteratorINS9_10device_ptrItEEEEPS5_jNS1_19radix_merge_compareILb0ELb0EtNS0_19identity_decomposerEEEEE10hipError_tT0_T1_T2_jT3_P12ihipStream_tbPNSt15iterator_traitsISK_E10value_typeEPNSQ_ISL_E10value_typeEPSM_NS1_7vsmem_tEENKUlT_SK_SL_SM_E_clIPtSE_SF_SF_EESJ_SZ_SK_SL_SM_EUlSZ_E_NS1_11comp_targetILNS1_3genE10ELNS1_11target_archE1201ELNS1_3gpuE5ELNS1_3repE0EEENS1_48merge_mergepath_partition_config_static_selectorELNS0_4arch9wavefront6targetE1EEEvSL_,"axG",@progbits,_ZN7rocprim17ROCPRIM_400000_NS6detail17trampoline_kernelINS0_14default_configENS1_38merge_sort_block_merge_config_selectorItNS0_10empty_typeEEEZZNS1_27merge_sort_block_merge_implIS3_N6thrust23THRUST_200600_302600_NS6detail15normal_iteratorINS9_10device_ptrItEEEEPS5_jNS1_19radix_merge_compareILb0ELb0EtNS0_19identity_decomposerEEEEE10hipError_tT0_T1_T2_jT3_P12ihipStream_tbPNSt15iterator_traitsISK_E10value_typeEPNSQ_ISL_E10value_typeEPSM_NS1_7vsmem_tEENKUlT_SK_SL_SM_E_clIPtSE_SF_SF_EESJ_SZ_SK_SL_SM_EUlSZ_E_NS1_11comp_targetILNS1_3genE10ELNS1_11target_archE1201ELNS1_3gpuE5ELNS1_3repE0EEENS1_48merge_mergepath_partition_config_static_selectorELNS0_4arch9wavefront6targetE1EEEvSL_,comdat
	.protected	_ZN7rocprim17ROCPRIM_400000_NS6detail17trampoline_kernelINS0_14default_configENS1_38merge_sort_block_merge_config_selectorItNS0_10empty_typeEEEZZNS1_27merge_sort_block_merge_implIS3_N6thrust23THRUST_200600_302600_NS6detail15normal_iteratorINS9_10device_ptrItEEEEPS5_jNS1_19radix_merge_compareILb0ELb0EtNS0_19identity_decomposerEEEEE10hipError_tT0_T1_T2_jT3_P12ihipStream_tbPNSt15iterator_traitsISK_E10value_typeEPNSQ_ISL_E10value_typeEPSM_NS1_7vsmem_tEENKUlT_SK_SL_SM_E_clIPtSE_SF_SF_EESJ_SZ_SK_SL_SM_EUlSZ_E_NS1_11comp_targetILNS1_3genE10ELNS1_11target_archE1201ELNS1_3gpuE5ELNS1_3repE0EEENS1_48merge_mergepath_partition_config_static_selectorELNS0_4arch9wavefront6targetE1EEEvSL_ ; -- Begin function _ZN7rocprim17ROCPRIM_400000_NS6detail17trampoline_kernelINS0_14default_configENS1_38merge_sort_block_merge_config_selectorItNS0_10empty_typeEEEZZNS1_27merge_sort_block_merge_implIS3_N6thrust23THRUST_200600_302600_NS6detail15normal_iteratorINS9_10device_ptrItEEEEPS5_jNS1_19radix_merge_compareILb0ELb0EtNS0_19identity_decomposerEEEEE10hipError_tT0_T1_T2_jT3_P12ihipStream_tbPNSt15iterator_traitsISK_E10value_typeEPNSQ_ISL_E10value_typeEPSM_NS1_7vsmem_tEENKUlT_SK_SL_SM_E_clIPtSE_SF_SF_EESJ_SZ_SK_SL_SM_EUlSZ_E_NS1_11comp_targetILNS1_3genE10ELNS1_11target_archE1201ELNS1_3gpuE5ELNS1_3repE0EEENS1_48merge_mergepath_partition_config_static_selectorELNS0_4arch9wavefront6targetE1EEEvSL_
	.globl	_ZN7rocprim17ROCPRIM_400000_NS6detail17trampoline_kernelINS0_14default_configENS1_38merge_sort_block_merge_config_selectorItNS0_10empty_typeEEEZZNS1_27merge_sort_block_merge_implIS3_N6thrust23THRUST_200600_302600_NS6detail15normal_iteratorINS9_10device_ptrItEEEEPS5_jNS1_19radix_merge_compareILb0ELb0EtNS0_19identity_decomposerEEEEE10hipError_tT0_T1_T2_jT3_P12ihipStream_tbPNSt15iterator_traitsISK_E10value_typeEPNSQ_ISL_E10value_typeEPSM_NS1_7vsmem_tEENKUlT_SK_SL_SM_E_clIPtSE_SF_SF_EESJ_SZ_SK_SL_SM_EUlSZ_E_NS1_11comp_targetILNS1_3genE10ELNS1_11target_archE1201ELNS1_3gpuE5ELNS1_3repE0EEENS1_48merge_mergepath_partition_config_static_selectorELNS0_4arch9wavefront6targetE1EEEvSL_
	.p2align	8
	.type	_ZN7rocprim17ROCPRIM_400000_NS6detail17trampoline_kernelINS0_14default_configENS1_38merge_sort_block_merge_config_selectorItNS0_10empty_typeEEEZZNS1_27merge_sort_block_merge_implIS3_N6thrust23THRUST_200600_302600_NS6detail15normal_iteratorINS9_10device_ptrItEEEEPS5_jNS1_19radix_merge_compareILb0ELb0EtNS0_19identity_decomposerEEEEE10hipError_tT0_T1_T2_jT3_P12ihipStream_tbPNSt15iterator_traitsISK_E10value_typeEPNSQ_ISL_E10value_typeEPSM_NS1_7vsmem_tEENKUlT_SK_SL_SM_E_clIPtSE_SF_SF_EESJ_SZ_SK_SL_SM_EUlSZ_E_NS1_11comp_targetILNS1_3genE10ELNS1_11target_archE1201ELNS1_3gpuE5ELNS1_3repE0EEENS1_48merge_mergepath_partition_config_static_selectorELNS0_4arch9wavefront6targetE1EEEvSL_,@function
_ZN7rocprim17ROCPRIM_400000_NS6detail17trampoline_kernelINS0_14default_configENS1_38merge_sort_block_merge_config_selectorItNS0_10empty_typeEEEZZNS1_27merge_sort_block_merge_implIS3_N6thrust23THRUST_200600_302600_NS6detail15normal_iteratorINS9_10device_ptrItEEEEPS5_jNS1_19radix_merge_compareILb0ELb0EtNS0_19identity_decomposerEEEEE10hipError_tT0_T1_T2_jT3_P12ihipStream_tbPNSt15iterator_traitsISK_E10value_typeEPNSQ_ISL_E10value_typeEPSM_NS1_7vsmem_tEENKUlT_SK_SL_SM_E_clIPtSE_SF_SF_EESJ_SZ_SK_SL_SM_EUlSZ_E_NS1_11comp_targetILNS1_3genE10ELNS1_11target_archE1201ELNS1_3gpuE5ELNS1_3repE0EEENS1_48merge_mergepath_partition_config_static_selectorELNS0_4arch9wavefront6targetE1EEEvSL_: ; @_ZN7rocprim17ROCPRIM_400000_NS6detail17trampoline_kernelINS0_14default_configENS1_38merge_sort_block_merge_config_selectorItNS0_10empty_typeEEEZZNS1_27merge_sort_block_merge_implIS3_N6thrust23THRUST_200600_302600_NS6detail15normal_iteratorINS9_10device_ptrItEEEEPS5_jNS1_19radix_merge_compareILb0ELb0EtNS0_19identity_decomposerEEEEE10hipError_tT0_T1_T2_jT3_P12ihipStream_tbPNSt15iterator_traitsISK_E10value_typeEPNSQ_ISL_E10value_typeEPSM_NS1_7vsmem_tEENKUlT_SK_SL_SM_E_clIPtSE_SF_SF_EESJ_SZ_SK_SL_SM_EUlSZ_E_NS1_11comp_targetILNS1_3genE10ELNS1_11target_archE1201ELNS1_3gpuE5ELNS1_3repE0EEENS1_48merge_mergepath_partition_config_static_selectorELNS0_4arch9wavefront6targetE1EEEvSL_
; %bb.0:
	.section	.rodata,"a",@progbits
	.p2align	6, 0x0
	.amdhsa_kernel _ZN7rocprim17ROCPRIM_400000_NS6detail17trampoline_kernelINS0_14default_configENS1_38merge_sort_block_merge_config_selectorItNS0_10empty_typeEEEZZNS1_27merge_sort_block_merge_implIS3_N6thrust23THRUST_200600_302600_NS6detail15normal_iteratorINS9_10device_ptrItEEEEPS5_jNS1_19radix_merge_compareILb0ELb0EtNS0_19identity_decomposerEEEEE10hipError_tT0_T1_T2_jT3_P12ihipStream_tbPNSt15iterator_traitsISK_E10value_typeEPNSQ_ISL_E10value_typeEPSM_NS1_7vsmem_tEENKUlT_SK_SL_SM_E_clIPtSE_SF_SF_EESJ_SZ_SK_SL_SM_EUlSZ_E_NS1_11comp_targetILNS1_3genE10ELNS1_11target_archE1201ELNS1_3gpuE5ELNS1_3repE0EEENS1_48merge_mergepath_partition_config_static_selectorELNS0_4arch9wavefront6targetE1EEEvSL_
		.amdhsa_group_segment_fixed_size 0
		.amdhsa_private_segment_fixed_size 0
		.amdhsa_kernarg_size 40
		.amdhsa_user_sgpr_count 2
		.amdhsa_user_sgpr_dispatch_ptr 0
		.amdhsa_user_sgpr_queue_ptr 0
		.amdhsa_user_sgpr_kernarg_segment_ptr 1
		.amdhsa_user_sgpr_dispatch_id 0
		.amdhsa_user_sgpr_kernarg_preload_length 0
		.amdhsa_user_sgpr_kernarg_preload_offset 0
		.amdhsa_user_sgpr_private_segment_size 0
		.amdhsa_uses_dynamic_stack 0
		.amdhsa_enable_private_segment 0
		.amdhsa_system_sgpr_workgroup_id_x 1
		.amdhsa_system_sgpr_workgroup_id_y 0
		.amdhsa_system_sgpr_workgroup_id_z 0
		.amdhsa_system_sgpr_workgroup_info 0
		.amdhsa_system_vgpr_workitem_id 0
		.amdhsa_next_free_vgpr 1
		.amdhsa_next_free_sgpr 0
		.amdhsa_accum_offset 4
		.amdhsa_reserve_vcc 0
		.amdhsa_float_round_mode_32 0
		.amdhsa_float_round_mode_16_64 0
		.amdhsa_float_denorm_mode_32 3
		.amdhsa_float_denorm_mode_16_64 3
		.amdhsa_dx10_clamp 1
		.amdhsa_ieee_mode 1
		.amdhsa_fp16_overflow 0
		.amdhsa_tg_split 0
		.amdhsa_exception_fp_ieee_invalid_op 0
		.amdhsa_exception_fp_denorm_src 0
		.amdhsa_exception_fp_ieee_div_zero 0
		.amdhsa_exception_fp_ieee_overflow 0
		.amdhsa_exception_fp_ieee_underflow 0
		.amdhsa_exception_fp_ieee_inexact 0
		.amdhsa_exception_int_div_zero 0
	.end_amdhsa_kernel
	.section	.text._ZN7rocprim17ROCPRIM_400000_NS6detail17trampoline_kernelINS0_14default_configENS1_38merge_sort_block_merge_config_selectorItNS0_10empty_typeEEEZZNS1_27merge_sort_block_merge_implIS3_N6thrust23THRUST_200600_302600_NS6detail15normal_iteratorINS9_10device_ptrItEEEEPS5_jNS1_19radix_merge_compareILb0ELb0EtNS0_19identity_decomposerEEEEE10hipError_tT0_T1_T2_jT3_P12ihipStream_tbPNSt15iterator_traitsISK_E10value_typeEPNSQ_ISL_E10value_typeEPSM_NS1_7vsmem_tEENKUlT_SK_SL_SM_E_clIPtSE_SF_SF_EESJ_SZ_SK_SL_SM_EUlSZ_E_NS1_11comp_targetILNS1_3genE10ELNS1_11target_archE1201ELNS1_3gpuE5ELNS1_3repE0EEENS1_48merge_mergepath_partition_config_static_selectorELNS0_4arch9wavefront6targetE1EEEvSL_,"axG",@progbits,_ZN7rocprim17ROCPRIM_400000_NS6detail17trampoline_kernelINS0_14default_configENS1_38merge_sort_block_merge_config_selectorItNS0_10empty_typeEEEZZNS1_27merge_sort_block_merge_implIS3_N6thrust23THRUST_200600_302600_NS6detail15normal_iteratorINS9_10device_ptrItEEEEPS5_jNS1_19radix_merge_compareILb0ELb0EtNS0_19identity_decomposerEEEEE10hipError_tT0_T1_T2_jT3_P12ihipStream_tbPNSt15iterator_traitsISK_E10value_typeEPNSQ_ISL_E10value_typeEPSM_NS1_7vsmem_tEENKUlT_SK_SL_SM_E_clIPtSE_SF_SF_EESJ_SZ_SK_SL_SM_EUlSZ_E_NS1_11comp_targetILNS1_3genE10ELNS1_11target_archE1201ELNS1_3gpuE5ELNS1_3repE0EEENS1_48merge_mergepath_partition_config_static_selectorELNS0_4arch9wavefront6targetE1EEEvSL_,comdat
.Lfunc_end1207:
	.size	_ZN7rocprim17ROCPRIM_400000_NS6detail17trampoline_kernelINS0_14default_configENS1_38merge_sort_block_merge_config_selectorItNS0_10empty_typeEEEZZNS1_27merge_sort_block_merge_implIS3_N6thrust23THRUST_200600_302600_NS6detail15normal_iteratorINS9_10device_ptrItEEEEPS5_jNS1_19radix_merge_compareILb0ELb0EtNS0_19identity_decomposerEEEEE10hipError_tT0_T1_T2_jT3_P12ihipStream_tbPNSt15iterator_traitsISK_E10value_typeEPNSQ_ISL_E10value_typeEPSM_NS1_7vsmem_tEENKUlT_SK_SL_SM_E_clIPtSE_SF_SF_EESJ_SZ_SK_SL_SM_EUlSZ_E_NS1_11comp_targetILNS1_3genE10ELNS1_11target_archE1201ELNS1_3gpuE5ELNS1_3repE0EEENS1_48merge_mergepath_partition_config_static_selectorELNS0_4arch9wavefront6targetE1EEEvSL_, .Lfunc_end1207-_ZN7rocprim17ROCPRIM_400000_NS6detail17trampoline_kernelINS0_14default_configENS1_38merge_sort_block_merge_config_selectorItNS0_10empty_typeEEEZZNS1_27merge_sort_block_merge_implIS3_N6thrust23THRUST_200600_302600_NS6detail15normal_iteratorINS9_10device_ptrItEEEEPS5_jNS1_19radix_merge_compareILb0ELb0EtNS0_19identity_decomposerEEEEE10hipError_tT0_T1_T2_jT3_P12ihipStream_tbPNSt15iterator_traitsISK_E10value_typeEPNSQ_ISL_E10value_typeEPSM_NS1_7vsmem_tEENKUlT_SK_SL_SM_E_clIPtSE_SF_SF_EESJ_SZ_SK_SL_SM_EUlSZ_E_NS1_11comp_targetILNS1_3genE10ELNS1_11target_archE1201ELNS1_3gpuE5ELNS1_3repE0EEENS1_48merge_mergepath_partition_config_static_selectorELNS0_4arch9wavefront6targetE1EEEvSL_
                                        ; -- End function
	.section	.AMDGPU.csdata,"",@progbits
; Kernel info:
; codeLenInByte = 0
; NumSgprs: 6
; NumVgprs: 0
; NumAgprs: 0
; TotalNumVgprs: 0
; ScratchSize: 0
; MemoryBound: 0
; FloatMode: 240
; IeeeMode: 1
; LDSByteSize: 0 bytes/workgroup (compile time only)
; SGPRBlocks: 0
; VGPRBlocks: 0
; NumSGPRsForWavesPerEU: 6
; NumVGPRsForWavesPerEU: 1
; AccumOffset: 4
; Occupancy: 8
; WaveLimiterHint : 0
; COMPUTE_PGM_RSRC2:SCRATCH_EN: 0
; COMPUTE_PGM_RSRC2:USER_SGPR: 2
; COMPUTE_PGM_RSRC2:TRAP_HANDLER: 0
; COMPUTE_PGM_RSRC2:TGID_X_EN: 1
; COMPUTE_PGM_RSRC2:TGID_Y_EN: 0
; COMPUTE_PGM_RSRC2:TGID_Z_EN: 0
; COMPUTE_PGM_RSRC2:TIDIG_COMP_CNT: 0
; COMPUTE_PGM_RSRC3_GFX90A:ACCUM_OFFSET: 0
; COMPUTE_PGM_RSRC3_GFX90A:TG_SPLIT: 0
	.section	.text._ZN7rocprim17ROCPRIM_400000_NS6detail17trampoline_kernelINS0_14default_configENS1_38merge_sort_block_merge_config_selectorItNS0_10empty_typeEEEZZNS1_27merge_sort_block_merge_implIS3_N6thrust23THRUST_200600_302600_NS6detail15normal_iteratorINS9_10device_ptrItEEEEPS5_jNS1_19radix_merge_compareILb0ELb0EtNS0_19identity_decomposerEEEEE10hipError_tT0_T1_T2_jT3_P12ihipStream_tbPNSt15iterator_traitsISK_E10value_typeEPNSQ_ISL_E10value_typeEPSM_NS1_7vsmem_tEENKUlT_SK_SL_SM_E_clIPtSE_SF_SF_EESJ_SZ_SK_SL_SM_EUlSZ_E_NS1_11comp_targetILNS1_3genE5ELNS1_11target_archE942ELNS1_3gpuE9ELNS1_3repE0EEENS1_48merge_mergepath_partition_config_static_selectorELNS0_4arch9wavefront6targetE1EEEvSL_,"axG",@progbits,_ZN7rocprim17ROCPRIM_400000_NS6detail17trampoline_kernelINS0_14default_configENS1_38merge_sort_block_merge_config_selectorItNS0_10empty_typeEEEZZNS1_27merge_sort_block_merge_implIS3_N6thrust23THRUST_200600_302600_NS6detail15normal_iteratorINS9_10device_ptrItEEEEPS5_jNS1_19radix_merge_compareILb0ELb0EtNS0_19identity_decomposerEEEEE10hipError_tT0_T1_T2_jT3_P12ihipStream_tbPNSt15iterator_traitsISK_E10value_typeEPNSQ_ISL_E10value_typeEPSM_NS1_7vsmem_tEENKUlT_SK_SL_SM_E_clIPtSE_SF_SF_EESJ_SZ_SK_SL_SM_EUlSZ_E_NS1_11comp_targetILNS1_3genE5ELNS1_11target_archE942ELNS1_3gpuE9ELNS1_3repE0EEENS1_48merge_mergepath_partition_config_static_selectorELNS0_4arch9wavefront6targetE1EEEvSL_,comdat
	.protected	_ZN7rocprim17ROCPRIM_400000_NS6detail17trampoline_kernelINS0_14default_configENS1_38merge_sort_block_merge_config_selectorItNS0_10empty_typeEEEZZNS1_27merge_sort_block_merge_implIS3_N6thrust23THRUST_200600_302600_NS6detail15normal_iteratorINS9_10device_ptrItEEEEPS5_jNS1_19radix_merge_compareILb0ELb0EtNS0_19identity_decomposerEEEEE10hipError_tT0_T1_T2_jT3_P12ihipStream_tbPNSt15iterator_traitsISK_E10value_typeEPNSQ_ISL_E10value_typeEPSM_NS1_7vsmem_tEENKUlT_SK_SL_SM_E_clIPtSE_SF_SF_EESJ_SZ_SK_SL_SM_EUlSZ_E_NS1_11comp_targetILNS1_3genE5ELNS1_11target_archE942ELNS1_3gpuE9ELNS1_3repE0EEENS1_48merge_mergepath_partition_config_static_selectorELNS0_4arch9wavefront6targetE1EEEvSL_ ; -- Begin function _ZN7rocprim17ROCPRIM_400000_NS6detail17trampoline_kernelINS0_14default_configENS1_38merge_sort_block_merge_config_selectorItNS0_10empty_typeEEEZZNS1_27merge_sort_block_merge_implIS3_N6thrust23THRUST_200600_302600_NS6detail15normal_iteratorINS9_10device_ptrItEEEEPS5_jNS1_19radix_merge_compareILb0ELb0EtNS0_19identity_decomposerEEEEE10hipError_tT0_T1_T2_jT3_P12ihipStream_tbPNSt15iterator_traitsISK_E10value_typeEPNSQ_ISL_E10value_typeEPSM_NS1_7vsmem_tEENKUlT_SK_SL_SM_E_clIPtSE_SF_SF_EESJ_SZ_SK_SL_SM_EUlSZ_E_NS1_11comp_targetILNS1_3genE5ELNS1_11target_archE942ELNS1_3gpuE9ELNS1_3repE0EEENS1_48merge_mergepath_partition_config_static_selectorELNS0_4arch9wavefront6targetE1EEEvSL_
	.globl	_ZN7rocprim17ROCPRIM_400000_NS6detail17trampoline_kernelINS0_14default_configENS1_38merge_sort_block_merge_config_selectorItNS0_10empty_typeEEEZZNS1_27merge_sort_block_merge_implIS3_N6thrust23THRUST_200600_302600_NS6detail15normal_iteratorINS9_10device_ptrItEEEEPS5_jNS1_19radix_merge_compareILb0ELb0EtNS0_19identity_decomposerEEEEE10hipError_tT0_T1_T2_jT3_P12ihipStream_tbPNSt15iterator_traitsISK_E10value_typeEPNSQ_ISL_E10value_typeEPSM_NS1_7vsmem_tEENKUlT_SK_SL_SM_E_clIPtSE_SF_SF_EESJ_SZ_SK_SL_SM_EUlSZ_E_NS1_11comp_targetILNS1_3genE5ELNS1_11target_archE942ELNS1_3gpuE9ELNS1_3repE0EEENS1_48merge_mergepath_partition_config_static_selectorELNS0_4arch9wavefront6targetE1EEEvSL_
	.p2align	8
	.type	_ZN7rocprim17ROCPRIM_400000_NS6detail17trampoline_kernelINS0_14default_configENS1_38merge_sort_block_merge_config_selectorItNS0_10empty_typeEEEZZNS1_27merge_sort_block_merge_implIS3_N6thrust23THRUST_200600_302600_NS6detail15normal_iteratorINS9_10device_ptrItEEEEPS5_jNS1_19radix_merge_compareILb0ELb0EtNS0_19identity_decomposerEEEEE10hipError_tT0_T1_T2_jT3_P12ihipStream_tbPNSt15iterator_traitsISK_E10value_typeEPNSQ_ISL_E10value_typeEPSM_NS1_7vsmem_tEENKUlT_SK_SL_SM_E_clIPtSE_SF_SF_EESJ_SZ_SK_SL_SM_EUlSZ_E_NS1_11comp_targetILNS1_3genE5ELNS1_11target_archE942ELNS1_3gpuE9ELNS1_3repE0EEENS1_48merge_mergepath_partition_config_static_selectorELNS0_4arch9wavefront6targetE1EEEvSL_,@function
_ZN7rocprim17ROCPRIM_400000_NS6detail17trampoline_kernelINS0_14default_configENS1_38merge_sort_block_merge_config_selectorItNS0_10empty_typeEEEZZNS1_27merge_sort_block_merge_implIS3_N6thrust23THRUST_200600_302600_NS6detail15normal_iteratorINS9_10device_ptrItEEEEPS5_jNS1_19radix_merge_compareILb0ELb0EtNS0_19identity_decomposerEEEEE10hipError_tT0_T1_T2_jT3_P12ihipStream_tbPNSt15iterator_traitsISK_E10value_typeEPNSQ_ISL_E10value_typeEPSM_NS1_7vsmem_tEENKUlT_SK_SL_SM_E_clIPtSE_SF_SF_EESJ_SZ_SK_SL_SM_EUlSZ_E_NS1_11comp_targetILNS1_3genE5ELNS1_11target_archE942ELNS1_3gpuE9ELNS1_3repE0EEENS1_48merge_mergepath_partition_config_static_selectorELNS0_4arch9wavefront6targetE1EEEvSL_: ; @_ZN7rocprim17ROCPRIM_400000_NS6detail17trampoline_kernelINS0_14default_configENS1_38merge_sort_block_merge_config_selectorItNS0_10empty_typeEEEZZNS1_27merge_sort_block_merge_implIS3_N6thrust23THRUST_200600_302600_NS6detail15normal_iteratorINS9_10device_ptrItEEEEPS5_jNS1_19radix_merge_compareILb0ELb0EtNS0_19identity_decomposerEEEEE10hipError_tT0_T1_T2_jT3_P12ihipStream_tbPNSt15iterator_traitsISK_E10value_typeEPNSQ_ISL_E10value_typeEPSM_NS1_7vsmem_tEENKUlT_SK_SL_SM_E_clIPtSE_SF_SF_EESJ_SZ_SK_SL_SM_EUlSZ_E_NS1_11comp_targetILNS1_3genE5ELNS1_11target_archE942ELNS1_3gpuE9ELNS1_3repE0EEENS1_48merge_mergepath_partition_config_static_selectorELNS0_4arch9wavefront6targetE1EEEvSL_
; %bb.0:
	s_load_dword s3, s[0:1], 0x0
	v_lshl_or_b32 v0, s2, 7, v0
	s_waitcnt lgkmcnt(0)
	v_cmp_gt_u32_e32 vcc, s3, v0
	s_and_saveexec_b64 s[2:3], vcc
	s_cbranch_execz .LBB1208_6
; %bb.1:
	s_load_dwordx2 s[4:5], s[0:1], 0x4
	s_load_dwordx2 s[2:3], s[0:1], 0x20
	s_waitcnt lgkmcnt(0)
	s_lshr_b32 s6, s4, 9
	s_and_b32 s6, s6, 0x7ffffe
	s_add_i32 s7, s6, -1
	s_sub_i32 s6, 0, s6
	v_and_b32_e32 v1, s6, v0
	v_lshlrev_b32_e32 v1, 10, v1
	v_min_u32_e32 v2, s5, v1
	v_add_u32_e32 v1, s4, v1
	v_min_u32_e32 v4, s5, v1
	v_add_u32_e32 v1, s4, v4
	v_and_b32_e32 v3, s7, v0
	v_min_u32_e32 v1, s5, v1
	v_sub_u32_e32 v5, v1, v2
	v_lshlrev_b32_e32 v3, 10, v3
	v_min_u32_e32 v10, v5, v3
	v_sub_u32_e32 v3, v4, v2
	v_sub_u32_e32 v1, v1, v4
	v_sub_u32_e64 v1, v10, v1 clamp
	v_min_u32_e32 v11, v10, v3
	v_cmp_lt_u32_e32 vcc, v1, v11
	s_and_saveexec_b64 s[4:5], vcc
	s_cbranch_execz .LBB1208_5
; %bb.2:
	s_load_dwordx2 s[0:1], s[0:1], 0x10
	v_mov_b32_e32 v5, 0
	v_mov_b32_e32 v3, v5
	s_waitcnt lgkmcnt(0)
	v_lshl_add_u64 v[6:7], v[2:3], 1, s[0:1]
	v_lshl_add_u64 v[8:9], v[4:5], 1, s[0:1]
	s_mov_b64 s[0:1], 0
.LBB1208_3:                             ; =>This Inner Loop Header: Depth=1
	v_add_u32_e32 v3, v11, v1
	v_lshrrev_b32_e32 v16, 1, v3
	v_and_b32_e32 v4, -2, v3
	v_mov_b32_e32 v13, v5
	v_xad_u32 v12, v16, -1, v10
	v_lshl_add_u64 v[14:15], v[6:7], 0, v[4:5]
	v_lshl_add_u64 v[12:13], v[12:13], 1, v[8:9]
	global_load_ushort v3, v[14:15], off
	global_load_ushort v4, v[12:13], off
	v_add_u32_e32 v12, 1, v16
	s_waitcnt vmcnt(0)
	v_cmp_gt_u16_e32 vcc, v3, v4
	s_nop 1
	v_cndmask_b32_e32 v11, v11, v16, vcc
	v_cndmask_b32_e32 v1, v12, v1, vcc
	v_cmp_ge_u32_e32 vcc, v1, v11
	s_or_b64 s[0:1], vcc, s[0:1]
	s_andn2_b64 exec, exec, s[0:1]
	s_cbranch_execnz .LBB1208_3
; %bb.4:
	s_or_b64 exec, exec, s[0:1]
.LBB1208_5:
	s_or_b64 exec, exec, s[4:5]
	v_add_u32_e32 v2, v1, v2
	v_mov_b32_e32 v1, 0
	v_lshl_add_u64 v[0:1], v[0:1], 2, s[2:3]
	global_store_dword v[0:1], v2, off
.LBB1208_6:
	s_endpgm
	.section	.rodata,"a",@progbits
	.p2align	6, 0x0
	.amdhsa_kernel _ZN7rocprim17ROCPRIM_400000_NS6detail17trampoline_kernelINS0_14default_configENS1_38merge_sort_block_merge_config_selectorItNS0_10empty_typeEEEZZNS1_27merge_sort_block_merge_implIS3_N6thrust23THRUST_200600_302600_NS6detail15normal_iteratorINS9_10device_ptrItEEEEPS5_jNS1_19radix_merge_compareILb0ELb0EtNS0_19identity_decomposerEEEEE10hipError_tT0_T1_T2_jT3_P12ihipStream_tbPNSt15iterator_traitsISK_E10value_typeEPNSQ_ISL_E10value_typeEPSM_NS1_7vsmem_tEENKUlT_SK_SL_SM_E_clIPtSE_SF_SF_EESJ_SZ_SK_SL_SM_EUlSZ_E_NS1_11comp_targetILNS1_3genE5ELNS1_11target_archE942ELNS1_3gpuE9ELNS1_3repE0EEENS1_48merge_mergepath_partition_config_static_selectorELNS0_4arch9wavefront6targetE1EEEvSL_
		.amdhsa_group_segment_fixed_size 0
		.amdhsa_private_segment_fixed_size 0
		.amdhsa_kernarg_size 40
		.amdhsa_user_sgpr_count 2
		.amdhsa_user_sgpr_dispatch_ptr 0
		.amdhsa_user_sgpr_queue_ptr 0
		.amdhsa_user_sgpr_kernarg_segment_ptr 1
		.amdhsa_user_sgpr_dispatch_id 0
		.amdhsa_user_sgpr_kernarg_preload_length 0
		.amdhsa_user_sgpr_kernarg_preload_offset 0
		.amdhsa_user_sgpr_private_segment_size 0
		.amdhsa_uses_dynamic_stack 0
		.amdhsa_enable_private_segment 0
		.amdhsa_system_sgpr_workgroup_id_x 1
		.amdhsa_system_sgpr_workgroup_id_y 0
		.amdhsa_system_sgpr_workgroup_id_z 0
		.amdhsa_system_sgpr_workgroup_info 0
		.amdhsa_system_vgpr_workitem_id 0
		.amdhsa_next_free_vgpr 17
		.amdhsa_next_free_sgpr 8
		.amdhsa_accum_offset 20
		.amdhsa_reserve_vcc 1
		.amdhsa_float_round_mode_32 0
		.amdhsa_float_round_mode_16_64 0
		.amdhsa_float_denorm_mode_32 3
		.amdhsa_float_denorm_mode_16_64 3
		.amdhsa_dx10_clamp 1
		.amdhsa_ieee_mode 1
		.amdhsa_fp16_overflow 0
		.amdhsa_tg_split 0
		.amdhsa_exception_fp_ieee_invalid_op 0
		.amdhsa_exception_fp_denorm_src 0
		.amdhsa_exception_fp_ieee_div_zero 0
		.amdhsa_exception_fp_ieee_overflow 0
		.amdhsa_exception_fp_ieee_underflow 0
		.amdhsa_exception_fp_ieee_inexact 0
		.amdhsa_exception_int_div_zero 0
	.end_amdhsa_kernel
	.section	.text._ZN7rocprim17ROCPRIM_400000_NS6detail17trampoline_kernelINS0_14default_configENS1_38merge_sort_block_merge_config_selectorItNS0_10empty_typeEEEZZNS1_27merge_sort_block_merge_implIS3_N6thrust23THRUST_200600_302600_NS6detail15normal_iteratorINS9_10device_ptrItEEEEPS5_jNS1_19radix_merge_compareILb0ELb0EtNS0_19identity_decomposerEEEEE10hipError_tT0_T1_T2_jT3_P12ihipStream_tbPNSt15iterator_traitsISK_E10value_typeEPNSQ_ISL_E10value_typeEPSM_NS1_7vsmem_tEENKUlT_SK_SL_SM_E_clIPtSE_SF_SF_EESJ_SZ_SK_SL_SM_EUlSZ_E_NS1_11comp_targetILNS1_3genE5ELNS1_11target_archE942ELNS1_3gpuE9ELNS1_3repE0EEENS1_48merge_mergepath_partition_config_static_selectorELNS0_4arch9wavefront6targetE1EEEvSL_,"axG",@progbits,_ZN7rocprim17ROCPRIM_400000_NS6detail17trampoline_kernelINS0_14default_configENS1_38merge_sort_block_merge_config_selectorItNS0_10empty_typeEEEZZNS1_27merge_sort_block_merge_implIS3_N6thrust23THRUST_200600_302600_NS6detail15normal_iteratorINS9_10device_ptrItEEEEPS5_jNS1_19radix_merge_compareILb0ELb0EtNS0_19identity_decomposerEEEEE10hipError_tT0_T1_T2_jT3_P12ihipStream_tbPNSt15iterator_traitsISK_E10value_typeEPNSQ_ISL_E10value_typeEPSM_NS1_7vsmem_tEENKUlT_SK_SL_SM_E_clIPtSE_SF_SF_EESJ_SZ_SK_SL_SM_EUlSZ_E_NS1_11comp_targetILNS1_3genE5ELNS1_11target_archE942ELNS1_3gpuE9ELNS1_3repE0EEENS1_48merge_mergepath_partition_config_static_selectorELNS0_4arch9wavefront6targetE1EEEvSL_,comdat
.Lfunc_end1208:
	.size	_ZN7rocprim17ROCPRIM_400000_NS6detail17trampoline_kernelINS0_14default_configENS1_38merge_sort_block_merge_config_selectorItNS0_10empty_typeEEEZZNS1_27merge_sort_block_merge_implIS3_N6thrust23THRUST_200600_302600_NS6detail15normal_iteratorINS9_10device_ptrItEEEEPS5_jNS1_19radix_merge_compareILb0ELb0EtNS0_19identity_decomposerEEEEE10hipError_tT0_T1_T2_jT3_P12ihipStream_tbPNSt15iterator_traitsISK_E10value_typeEPNSQ_ISL_E10value_typeEPSM_NS1_7vsmem_tEENKUlT_SK_SL_SM_E_clIPtSE_SF_SF_EESJ_SZ_SK_SL_SM_EUlSZ_E_NS1_11comp_targetILNS1_3genE5ELNS1_11target_archE942ELNS1_3gpuE9ELNS1_3repE0EEENS1_48merge_mergepath_partition_config_static_selectorELNS0_4arch9wavefront6targetE1EEEvSL_, .Lfunc_end1208-_ZN7rocprim17ROCPRIM_400000_NS6detail17trampoline_kernelINS0_14default_configENS1_38merge_sort_block_merge_config_selectorItNS0_10empty_typeEEEZZNS1_27merge_sort_block_merge_implIS3_N6thrust23THRUST_200600_302600_NS6detail15normal_iteratorINS9_10device_ptrItEEEEPS5_jNS1_19radix_merge_compareILb0ELb0EtNS0_19identity_decomposerEEEEE10hipError_tT0_T1_T2_jT3_P12ihipStream_tbPNSt15iterator_traitsISK_E10value_typeEPNSQ_ISL_E10value_typeEPSM_NS1_7vsmem_tEENKUlT_SK_SL_SM_E_clIPtSE_SF_SF_EESJ_SZ_SK_SL_SM_EUlSZ_E_NS1_11comp_targetILNS1_3genE5ELNS1_11target_archE942ELNS1_3gpuE9ELNS1_3repE0EEENS1_48merge_mergepath_partition_config_static_selectorELNS0_4arch9wavefront6targetE1EEEvSL_
                                        ; -- End function
	.section	.AMDGPU.csdata,"",@progbits
; Kernel info:
; codeLenInByte = 320
; NumSgprs: 14
; NumVgprs: 17
; NumAgprs: 0
; TotalNumVgprs: 17
; ScratchSize: 0
; MemoryBound: 0
; FloatMode: 240
; IeeeMode: 1
; LDSByteSize: 0 bytes/workgroup (compile time only)
; SGPRBlocks: 1
; VGPRBlocks: 2
; NumSGPRsForWavesPerEU: 14
; NumVGPRsForWavesPerEU: 17
; AccumOffset: 20
; Occupancy: 8
; WaveLimiterHint : 0
; COMPUTE_PGM_RSRC2:SCRATCH_EN: 0
; COMPUTE_PGM_RSRC2:USER_SGPR: 2
; COMPUTE_PGM_RSRC2:TRAP_HANDLER: 0
; COMPUTE_PGM_RSRC2:TGID_X_EN: 1
; COMPUTE_PGM_RSRC2:TGID_Y_EN: 0
; COMPUTE_PGM_RSRC2:TGID_Z_EN: 0
; COMPUTE_PGM_RSRC2:TIDIG_COMP_CNT: 0
; COMPUTE_PGM_RSRC3_GFX90A:ACCUM_OFFSET: 4
; COMPUTE_PGM_RSRC3_GFX90A:TG_SPLIT: 0
	.section	.text._ZN7rocprim17ROCPRIM_400000_NS6detail17trampoline_kernelINS0_14default_configENS1_38merge_sort_block_merge_config_selectorItNS0_10empty_typeEEEZZNS1_27merge_sort_block_merge_implIS3_N6thrust23THRUST_200600_302600_NS6detail15normal_iteratorINS9_10device_ptrItEEEEPS5_jNS1_19radix_merge_compareILb0ELb0EtNS0_19identity_decomposerEEEEE10hipError_tT0_T1_T2_jT3_P12ihipStream_tbPNSt15iterator_traitsISK_E10value_typeEPNSQ_ISL_E10value_typeEPSM_NS1_7vsmem_tEENKUlT_SK_SL_SM_E_clIPtSE_SF_SF_EESJ_SZ_SK_SL_SM_EUlSZ_E_NS1_11comp_targetILNS1_3genE4ELNS1_11target_archE910ELNS1_3gpuE8ELNS1_3repE0EEENS1_48merge_mergepath_partition_config_static_selectorELNS0_4arch9wavefront6targetE1EEEvSL_,"axG",@progbits,_ZN7rocprim17ROCPRIM_400000_NS6detail17trampoline_kernelINS0_14default_configENS1_38merge_sort_block_merge_config_selectorItNS0_10empty_typeEEEZZNS1_27merge_sort_block_merge_implIS3_N6thrust23THRUST_200600_302600_NS6detail15normal_iteratorINS9_10device_ptrItEEEEPS5_jNS1_19radix_merge_compareILb0ELb0EtNS0_19identity_decomposerEEEEE10hipError_tT0_T1_T2_jT3_P12ihipStream_tbPNSt15iterator_traitsISK_E10value_typeEPNSQ_ISL_E10value_typeEPSM_NS1_7vsmem_tEENKUlT_SK_SL_SM_E_clIPtSE_SF_SF_EESJ_SZ_SK_SL_SM_EUlSZ_E_NS1_11comp_targetILNS1_3genE4ELNS1_11target_archE910ELNS1_3gpuE8ELNS1_3repE0EEENS1_48merge_mergepath_partition_config_static_selectorELNS0_4arch9wavefront6targetE1EEEvSL_,comdat
	.protected	_ZN7rocprim17ROCPRIM_400000_NS6detail17trampoline_kernelINS0_14default_configENS1_38merge_sort_block_merge_config_selectorItNS0_10empty_typeEEEZZNS1_27merge_sort_block_merge_implIS3_N6thrust23THRUST_200600_302600_NS6detail15normal_iteratorINS9_10device_ptrItEEEEPS5_jNS1_19radix_merge_compareILb0ELb0EtNS0_19identity_decomposerEEEEE10hipError_tT0_T1_T2_jT3_P12ihipStream_tbPNSt15iterator_traitsISK_E10value_typeEPNSQ_ISL_E10value_typeEPSM_NS1_7vsmem_tEENKUlT_SK_SL_SM_E_clIPtSE_SF_SF_EESJ_SZ_SK_SL_SM_EUlSZ_E_NS1_11comp_targetILNS1_3genE4ELNS1_11target_archE910ELNS1_3gpuE8ELNS1_3repE0EEENS1_48merge_mergepath_partition_config_static_selectorELNS0_4arch9wavefront6targetE1EEEvSL_ ; -- Begin function _ZN7rocprim17ROCPRIM_400000_NS6detail17trampoline_kernelINS0_14default_configENS1_38merge_sort_block_merge_config_selectorItNS0_10empty_typeEEEZZNS1_27merge_sort_block_merge_implIS3_N6thrust23THRUST_200600_302600_NS6detail15normal_iteratorINS9_10device_ptrItEEEEPS5_jNS1_19radix_merge_compareILb0ELb0EtNS0_19identity_decomposerEEEEE10hipError_tT0_T1_T2_jT3_P12ihipStream_tbPNSt15iterator_traitsISK_E10value_typeEPNSQ_ISL_E10value_typeEPSM_NS1_7vsmem_tEENKUlT_SK_SL_SM_E_clIPtSE_SF_SF_EESJ_SZ_SK_SL_SM_EUlSZ_E_NS1_11comp_targetILNS1_3genE4ELNS1_11target_archE910ELNS1_3gpuE8ELNS1_3repE0EEENS1_48merge_mergepath_partition_config_static_selectorELNS0_4arch9wavefront6targetE1EEEvSL_
	.globl	_ZN7rocprim17ROCPRIM_400000_NS6detail17trampoline_kernelINS0_14default_configENS1_38merge_sort_block_merge_config_selectorItNS0_10empty_typeEEEZZNS1_27merge_sort_block_merge_implIS3_N6thrust23THRUST_200600_302600_NS6detail15normal_iteratorINS9_10device_ptrItEEEEPS5_jNS1_19radix_merge_compareILb0ELb0EtNS0_19identity_decomposerEEEEE10hipError_tT0_T1_T2_jT3_P12ihipStream_tbPNSt15iterator_traitsISK_E10value_typeEPNSQ_ISL_E10value_typeEPSM_NS1_7vsmem_tEENKUlT_SK_SL_SM_E_clIPtSE_SF_SF_EESJ_SZ_SK_SL_SM_EUlSZ_E_NS1_11comp_targetILNS1_3genE4ELNS1_11target_archE910ELNS1_3gpuE8ELNS1_3repE0EEENS1_48merge_mergepath_partition_config_static_selectorELNS0_4arch9wavefront6targetE1EEEvSL_
	.p2align	8
	.type	_ZN7rocprim17ROCPRIM_400000_NS6detail17trampoline_kernelINS0_14default_configENS1_38merge_sort_block_merge_config_selectorItNS0_10empty_typeEEEZZNS1_27merge_sort_block_merge_implIS3_N6thrust23THRUST_200600_302600_NS6detail15normal_iteratorINS9_10device_ptrItEEEEPS5_jNS1_19radix_merge_compareILb0ELb0EtNS0_19identity_decomposerEEEEE10hipError_tT0_T1_T2_jT3_P12ihipStream_tbPNSt15iterator_traitsISK_E10value_typeEPNSQ_ISL_E10value_typeEPSM_NS1_7vsmem_tEENKUlT_SK_SL_SM_E_clIPtSE_SF_SF_EESJ_SZ_SK_SL_SM_EUlSZ_E_NS1_11comp_targetILNS1_3genE4ELNS1_11target_archE910ELNS1_3gpuE8ELNS1_3repE0EEENS1_48merge_mergepath_partition_config_static_selectorELNS0_4arch9wavefront6targetE1EEEvSL_,@function
_ZN7rocprim17ROCPRIM_400000_NS6detail17trampoline_kernelINS0_14default_configENS1_38merge_sort_block_merge_config_selectorItNS0_10empty_typeEEEZZNS1_27merge_sort_block_merge_implIS3_N6thrust23THRUST_200600_302600_NS6detail15normal_iteratorINS9_10device_ptrItEEEEPS5_jNS1_19radix_merge_compareILb0ELb0EtNS0_19identity_decomposerEEEEE10hipError_tT0_T1_T2_jT3_P12ihipStream_tbPNSt15iterator_traitsISK_E10value_typeEPNSQ_ISL_E10value_typeEPSM_NS1_7vsmem_tEENKUlT_SK_SL_SM_E_clIPtSE_SF_SF_EESJ_SZ_SK_SL_SM_EUlSZ_E_NS1_11comp_targetILNS1_3genE4ELNS1_11target_archE910ELNS1_3gpuE8ELNS1_3repE0EEENS1_48merge_mergepath_partition_config_static_selectorELNS0_4arch9wavefront6targetE1EEEvSL_: ; @_ZN7rocprim17ROCPRIM_400000_NS6detail17trampoline_kernelINS0_14default_configENS1_38merge_sort_block_merge_config_selectorItNS0_10empty_typeEEEZZNS1_27merge_sort_block_merge_implIS3_N6thrust23THRUST_200600_302600_NS6detail15normal_iteratorINS9_10device_ptrItEEEEPS5_jNS1_19radix_merge_compareILb0ELb0EtNS0_19identity_decomposerEEEEE10hipError_tT0_T1_T2_jT3_P12ihipStream_tbPNSt15iterator_traitsISK_E10value_typeEPNSQ_ISL_E10value_typeEPSM_NS1_7vsmem_tEENKUlT_SK_SL_SM_E_clIPtSE_SF_SF_EESJ_SZ_SK_SL_SM_EUlSZ_E_NS1_11comp_targetILNS1_3genE4ELNS1_11target_archE910ELNS1_3gpuE8ELNS1_3repE0EEENS1_48merge_mergepath_partition_config_static_selectorELNS0_4arch9wavefront6targetE1EEEvSL_
; %bb.0:
	.section	.rodata,"a",@progbits
	.p2align	6, 0x0
	.amdhsa_kernel _ZN7rocprim17ROCPRIM_400000_NS6detail17trampoline_kernelINS0_14default_configENS1_38merge_sort_block_merge_config_selectorItNS0_10empty_typeEEEZZNS1_27merge_sort_block_merge_implIS3_N6thrust23THRUST_200600_302600_NS6detail15normal_iteratorINS9_10device_ptrItEEEEPS5_jNS1_19radix_merge_compareILb0ELb0EtNS0_19identity_decomposerEEEEE10hipError_tT0_T1_T2_jT3_P12ihipStream_tbPNSt15iterator_traitsISK_E10value_typeEPNSQ_ISL_E10value_typeEPSM_NS1_7vsmem_tEENKUlT_SK_SL_SM_E_clIPtSE_SF_SF_EESJ_SZ_SK_SL_SM_EUlSZ_E_NS1_11comp_targetILNS1_3genE4ELNS1_11target_archE910ELNS1_3gpuE8ELNS1_3repE0EEENS1_48merge_mergepath_partition_config_static_selectorELNS0_4arch9wavefront6targetE1EEEvSL_
		.amdhsa_group_segment_fixed_size 0
		.amdhsa_private_segment_fixed_size 0
		.amdhsa_kernarg_size 40
		.amdhsa_user_sgpr_count 2
		.amdhsa_user_sgpr_dispatch_ptr 0
		.amdhsa_user_sgpr_queue_ptr 0
		.amdhsa_user_sgpr_kernarg_segment_ptr 1
		.amdhsa_user_sgpr_dispatch_id 0
		.amdhsa_user_sgpr_kernarg_preload_length 0
		.amdhsa_user_sgpr_kernarg_preload_offset 0
		.amdhsa_user_sgpr_private_segment_size 0
		.amdhsa_uses_dynamic_stack 0
		.amdhsa_enable_private_segment 0
		.amdhsa_system_sgpr_workgroup_id_x 1
		.amdhsa_system_sgpr_workgroup_id_y 0
		.amdhsa_system_sgpr_workgroup_id_z 0
		.amdhsa_system_sgpr_workgroup_info 0
		.amdhsa_system_vgpr_workitem_id 0
		.amdhsa_next_free_vgpr 1
		.amdhsa_next_free_sgpr 0
		.amdhsa_accum_offset 4
		.amdhsa_reserve_vcc 0
		.amdhsa_float_round_mode_32 0
		.amdhsa_float_round_mode_16_64 0
		.amdhsa_float_denorm_mode_32 3
		.amdhsa_float_denorm_mode_16_64 3
		.amdhsa_dx10_clamp 1
		.amdhsa_ieee_mode 1
		.amdhsa_fp16_overflow 0
		.amdhsa_tg_split 0
		.amdhsa_exception_fp_ieee_invalid_op 0
		.amdhsa_exception_fp_denorm_src 0
		.amdhsa_exception_fp_ieee_div_zero 0
		.amdhsa_exception_fp_ieee_overflow 0
		.amdhsa_exception_fp_ieee_underflow 0
		.amdhsa_exception_fp_ieee_inexact 0
		.amdhsa_exception_int_div_zero 0
	.end_amdhsa_kernel
	.section	.text._ZN7rocprim17ROCPRIM_400000_NS6detail17trampoline_kernelINS0_14default_configENS1_38merge_sort_block_merge_config_selectorItNS0_10empty_typeEEEZZNS1_27merge_sort_block_merge_implIS3_N6thrust23THRUST_200600_302600_NS6detail15normal_iteratorINS9_10device_ptrItEEEEPS5_jNS1_19radix_merge_compareILb0ELb0EtNS0_19identity_decomposerEEEEE10hipError_tT0_T1_T2_jT3_P12ihipStream_tbPNSt15iterator_traitsISK_E10value_typeEPNSQ_ISL_E10value_typeEPSM_NS1_7vsmem_tEENKUlT_SK_SL_SM_E_clIPtSE_SF_SF_EESJ_SZ_SK_SL_SM_EUlSZ_E_NS1_11comp_targetILNS1_3genE4ELNS1_11target_archE910ELNS1_3gpuE8ELNS1_3repE0EEENS1_48merge_mergepath_partition_config_static_selectorELNS0_4arch9wavefront6targetE1EEEvSL_,"axG",@progbits,_ZN7rocprim17ROCPRIM_400000_NS6detail17trampoline_kernelINS0_14default_configENS1_38merge_sort_block_merge_config_selectorItNS0_10empty_typeEEEZZNS1_27merge_sort_block_merge_implIS3_N6thrust23THRUST_200600_302600_NS6detail15normal_iteratorINS9_10device_ptrItEEEEPS5_jNS1_19radix_merge_compareILb0ELb0EtNS0_19identity_decomposerEEEEE10hipError_tT0_T1_T2_jT3_P12ihipStream_tbPNSt15iterator_traitsISK_E10value_typeEPNSQ_ISL_E10value_typeEPSM_NS1_7vsmem_tEENKUlT_SK_SL_SM_E_clIPtSE_SF_SF_EESJ_SZ_SK_SL_SM_EUlSZ_E_NS1_11comp_targetILNS1_3genE4ELNS1_11target_archE910ELNS1_3gpuE8ELNS1_3repE0EEENS1_48merge_mergepath_partition_config_static_selectorELNS0_4arch9wavefront6targetE1EEEvSL_,comdat
.Lfunc_end1209:
	.size	_ZN7rocprim17ROCPRIM_400000_NS6detail17trampoline_kernelINS0_14default_configENS1_38merge_sort_block_merge_config_selectorItNS0_10empty_typeEEEZZNS1_27merge_sort_block_merge_implIS3_N6thrust23THRUST_200600_302600_NS6detail15normal_iteratorINS9_10device_ptrItEEEEPS5_jNS1_19radix_merge_compareILb0ELb0EtNS0_19identity_decomposerEEEEE10hipError_tT0_T1_T2_jT3_P12ihipStream_tbPNSt15iterator_traitsISK_E10value_typeEPNSQ_ISL_E10value_typeEPSM_NS1_7vsmem_tEENKUlT_SK_SL_SM_E_clIPtSE_SF_SF_EESJ_SZ_SK_SL_SM_EUlSZ_E_NS1_11comp_targetILNS1_3genE4ELNS1_11target_archE910ELNS1_3gpuE8ELNS1_3repE0EEENS1_48merge_mergepath_partition_config_static_selectorELNS0_4arch9wavefront6targetE1EEEvSL_, .Lfunc_end1209-_ZN7rocprim17ROCPRIM_400000_NS6detail17trampoline_kernelINS0_14default_configENS1_38merge_sort_block_merge_config_selectorItNS0_10empty_typeEEEZZNS1_27merge_sort_block_merge_implIS3_N6thrust23THRUST_200600_302600_NS6detail15normal_iteratorINS9_10device_ptrItEEEEPS5_jNS1_19radix_merge_compareILb0ELb0EtNS0_19identity_decomposerEEEEE10hipError_tT0_T1_T2_jT3_P12ihipStream_tbPNSt15iterator_traitsISK_E10value_typeEPNSQ_ISL_E10value_typeEPSM_NS1_7vsmem_tEENKUlT_SK_SL_SM_E_clIPtSE_SF_SF_EESJ_SZ_SK_SL_SM_EUlSZ_E_NS1_11comp_targetILNS1_3genE4ELNS1_11target_archE910ELNS1_3gpuE8ELNS1_3repE0EEENS1_48merge_mergepath_partition_config_static_selectorELNS0_4arch9wavefront6targetE1EEEvSL_
                                        ; -- End function
	.section	.AMDGPU.csdata,"",@progbits
; Kernel info:
; codeLenInByte = 0
; NumSgprs: 6
; NumVgprs: 0
; NumAgprs: 0
; TotalNumVgprs: 0
; ScratchSize: 0
; MemoryBound: 0
; FloatMode: 240
; IeeeMode: 1
; LDSByteSize: 0 bytes/workgroup (compile time only)
; SGPRBlocks: 0
; VGPRBlocks: 0
; NumSGPRsForWavesPerEU: 6
; NumVGPRsForWavesPerEU: 1
; AccumOffset: 4
; Occupancy: 8
; WaveLimiterHint : 0
; COMPUTE_PGM_RSRC2:SCRATCH_EN: 0
; COMPUTE_PGM_RSRC2:USER_SGPR: 2
; COMPUTE_PGM_RSRC2:TRAP_HANDLER: 0
; COMPUTE_PGM_RSRC2:TGID_X_EN: 1
; COMPUTE_PGM_RSRC2:TGID_Y_EN: 0
; COMPUTE_PGM_RSRC2:TGID_Z_EN: 0
; COMPUTE_PGM_RSRC2:TIDIG_COMP_CNT: 0
; COMPUTE_PGM_RSRC3_GFX90A:ACCUM_OFFSET: 0
; COMPUTE_PGM_RSRC3_GFX90A:TG_SPLIT: 0
	.section	.text._ZN7rocprim17ROCPRIM_400000_NS6detail17trampoline_kernelINS0_14default_configENS1_38merge_sort_block_merge_config_selectorItNS0_10empty_typeEEEZZNS1_27merge_sort_block_merge_implIS3_N6thrust23THRUST_200600_302600_NS6detail15normal_iteratorINS9_10device_ptrItEEEEPS5_jNS1_19radix_merge_compareILb0ELb0EtNS0_19identity_decomposerEEEEE10hipError_tT0_T1_T2_jT3_P12ihipStream_tbPNSt15iterator_traitsISK_E10value_typeEPNSQ_ISL_E10value_typeEPSM_NS1_7vsmem_tEENKUlT_SK_SL_SM_E_clIPtSE_SF_SF_EESJ_SZ_SK_SL_SM_EUlSZ_E_NS1_11comp_targetILNS1_3genE3ELNS1_11target_archE908ELNS1_3gpuE7ELNS1_3repE0EEENS1_48merge_mergepath_partition_config_static_selectorELNS0_4arch9wavefront6targetE1EEEvSL_,"axG",@progbits,_ZN7rocprim17ROCPRIM_400000_NS6detail17trampoline_kernelINS0_14default_configENS1_38merge_sort_block_merge_config_selectorItNS0_10empty_typeEEEZZNS1_27merge_sort_block_merge_implIS3_N6thrust23THRUST_200600_302600_NS6detail15normal_iteratorINS9_10device_ptrItEEEEPS5_jNS1_19radix_merge_compareILb0ELb0EtNS0_19identity_decomposerEEEEE10hipError_tT0_T1_T2_jT3_P12ihipStream_tbPNSt15iterator_traitsISK_E10value_typeEPNSQ_ISL_E10value_typeEPSM_NS1_7vsmem_tEENKUlT_SK_SL_SM_E_clIPtSE_SF_SF_EESJ_SZ_SK_SL_SM_EUlSZ_E_NS1_11comp_targetILNS1_3genE3ELNS1_11target_archE908ELNS1_3gpuE7ELNS1_3repE0EEENS1_48merge_mergepath_partition_config_static_selectorELNS0_4arch9wavefront6targetE1EEEvSL_,comdat
	.protected	_ZN7rocprim17ROCPRIM_400000_NS6detail17trampoline_kernelINS0_14default_configENS1_38merge_sort_block_merge_config_selectorItNS0_10empty_typeEEEZZNS1_27merge_sort_block_merge_implIS3_N6thrust23THRUST_200600_302600_NS6detail15normal_iteratorINS9_10device_ptrItEEEEPS5_jNS1_19radix_merge_compareILb0ELb0EtNS0_19identity_decomposerEEEEE10hipError_tT0_T1_T2_jT3_P12ihipStream_tbPNSt15iterator_traitsISK_E10value_typeEPNSQ_ISL_E10value_typeEPSM_NS1_7vsmem_tEENKUlT_SK_SL_SM_E_clIPtSE_SF_SF_EESJ_SZ_SK_SL_SM_EUlSZ_E_NS1_11comp_targetILNS1_3genE3ELNS1_11target_archE908ELNS1_3gpuE7ELNS1_3repE0EEENS1_48merge_mergepath_partition_config_static_selectorELNS0_4arch9wavefront6targetE1EEEvSL_ ; -- Begin function _ZN7rocprim17ROCPRIM_400000_NS6detail17trampoline_kernelINS0_14default_configENS1_38merge_sort_block_merge_config_selectorItNS0_10empty_typeEEEZZNS1_27merge_sort_block_merge_implIS3_N6thrust23THRUST_200600_302600_NS6detail15normal_iteratorINS9_10device_ptrItEEEEPS5_jNS1_19radix_merge_compareILb0ELb0EtNS0_19identity_decomposerEEEEE10hipError_tT0_T1_T2_jT3_P12ihipStream_tbPNSt15iterator_traitsISK_E10value_typeEPNSQ_ISL_E10value_typeEPSM_NS1_7vsmem_tEENKUlT_SK_SL_SM_E_clIPtSE_SF_SF_EESJ_SZ_SK_SL_SM_EUlSZ_E_NS1_11comp_targetILNS1_3genE3ELNS1_11target_archE908ELNS1_3gpuE7ELNS1_3repE0EEENS1_48merge_mergepath_partition_config_static_selectorELNS0_4arch9wavefront6targetE1EEEvSL_
	.globl	_ZN7rocprim17ROCPRIM_400000_NS6detail17trampoline_kernelINS0_14default_configENS1_38merge_sort_block_merge_config_selectorItNS0_10empty_typeEEEZZNS1_27merge_sort_block_merge_implIS3_N6thrust23THRUST_200600_302600_NS6detail15normal_iteratorINS9_10device_ptrItEEEEPS5_jNS1_19radix_merge_compareILb0ELb0EtNS0_19identity_decomposerEEEEE10hipError_tT0_T1_T2_jT3_P12ihipStream_tbPNSt15iterator_traitsISK_E10value_typeEPNSQ_ISL_E10value_typeEPSM_NS1_7vsmem_tEENKUlT_SK_SL_SM_E_clIPtSE_SF_SF_EESJ_SZ_SK_SL_SM_EUlSZ_E_NS1_11comp_targetILNS1_3genE3ELNS1_11target_archE908ELNS1_3gpuE7ELNS1_3repE0EEENS1_48merge_mergepath_partition_config_static_selectorELNS0_4arch9wavefront6targetE1EEEvSL_
	.p2align	8
	.type	_ZN7rocprim17ROCPRIM_400000_NS6detail17trampoline_kernelINS0_14default_configENS1_38merge_sort_block_merge_config_selectorItNS0_10empty_typeEEEZZNS1_27merge_sort_block_merge_implIS3_N6thrust23THRUST_200600_302600_NS6detail15normal_iteratorINS9_10device_ptrItEEEEPS5_jNS1_19radix_merge_compareILb0ELb0EtNS0_19identity_decomposerEEEEE10hipError_tT0_T1_T2_jT3_P12ihipStream_tbPNSt15iterator_traitsISK_E10value_typeEPNSQ_ISL_E10value_typeEPSM_NS1_7vsmem_tEENKUlT_SK_SL_SM_E_clIPtSE_SF_SF_EESJ_SZ_SK_SL_SM_EUlSZ_E_NS1_11comp_targetILNS1_3genE3ELNS1_11target_archE908ELNS1_3gpuE7ELNS1_3repE0EEENS1_48merge_mergepath_partition_config_static_selectorELNS0_4arch9wavefront6targetE1EEEvSL_,@function
_ZN7rocprim17ROCPRIM_400000_NS6detail17trampoline_kernelINS0_14default_configENS1_38merge_sort_block_merge_config_selectorItNS0_10empty_typeEEEZZNS1_27merge_sort_block_merge_implIS3_N6thrust23THRUST_200600_302600_NS6detail15normal_iteratorINS9_10device_ptrItEEEEPS5_jNS1_19radix_merge_compareILb0ELb0EtNS0_19identity_decomposerEEEEE10hipError_tT0_T1_T2_jT3_P12ihipStream_tbPNSt15iterator_traitsISK_E10value_typeEPNSQ_ISL_E10value_typeEPSM_NS1_7vsmem_tEENKUlT_SK_SL_SM_E_clIPtSE_SF_SF_EESJ_SZ_SK_SL_SM_EUlSZ_E_NS1_11comp_targetILNS1_3genE3ELNS1_11target_archE908ELNS1_3gpuE7ELNS1_3repE0EEENS1_48merge_mergepath_partition_config_static_selectorELNS0_4arch9wavefront6targetE1EEEvSL_: ; @_ZN7rocprim17ROCPRIM_400000_NS6detail17trampoline_kernelINS0_14default_configENS1_38merge_sort_block_merge_config_selectorItNS0_10empty_typeEEEZZNS1_27merge_sort_block_merge_implIS3_N6thrust23THRUST_200600_302600_NS6detail15normal_iteratorINS9_10device_ptrItEEEEPS5_jNS1_19radix_merge_compareILb0ELb0EtNS0_19identity_decomposerEEEEE10hipError_tT0_T1_T2_jT3_P12ihipStream_tbPNSt15iterator_traitsISK_E10value_typeEPNSQ_ISL_E10value_typeEPSM_NS1_7vsmem_tEENKUlT_SK_SL_SM_E_clIPtSE_SF_SF_EESJ_SZ_SK_SL_SM_EUlSZ_E_NS1_11comp_targetILNS1_3genE3ELNS1_11target_archE908ELNS1_3gpuE7ELNS1_3repE0EEENS1_48merge_mergepath_partition_config_static_selectorELNS0_4arch9wavefront6targetE1EEEvSL_
; %bb.0:
	.section	.rodata,"a",@progbits
	.p2align	6, 0x0
	.amdhsa_kernel _ZN7rocprim17ROCPRIM_400000_NS6detail17trampoline_kernelINS0_14default_configENS1_38merge_sort_block_merge_config_selectorItNS0_10empty_typeEEEZZNS1_27merge_sort_block_merge_implIS3_N6thrust23THRUST_200600_302600_NS6detail15normal_iteratorINS9_10device_ptrItEEEEPS5_jNS1_19radix_merge_compareILb0ELb0EtNS0_19identity_decomposerEEEEE10hipError_tT0_T1_T2_jT3_P12ihipStream_tbPNSt15iterator_traitsISK_E10value_typeEPNSQ_ISL_E10value_typeEPSM_NS1_7vsmem_tEENKUlT_SK_SL_SM_E_clIPtSE_SF_SF_EESJ_SZ_SK_SL_SM_EUlSZ_E_NS1_11comp_targetILNS1_3genE3ELNS1_11target_archE908ELNS1_3gpuE7ELNS1_3repE0EEENS1_48merge_mergepath_partition_config_static_selectorELNS0_4arch9wavefront6targetE1EEEvSL_
		.amdhsa_group_segment_fixed_size 0
		.amdhsa_private_segment_fixed_size 0
		.amdhsa_kernarg_size 40
		.amdhsa_user_sgpr_count 2
		.amdhsa_user_sgpr_dispatch_ptr 0
		.amdhsa_user_sgpr_queue_ptr 0
		.amdhsa_user_sgpr_kernarg_segment_ptr 1
		.amdhsa_user_sgpr_dispatch_id 0
		.amdhsa_user_sgpr_kernarg_preload_length 0
		.amdhsa_user_sgpr_kernarg_preload_offset 0
		.amdhsa_user_sgpr_private_segment_size 0
		.amdhsa_uses_dynamic_stack 0
		.amdhsa_enable_private_segment 0
		.amdhsa_system_sgpr_workgroup_id_x 1
		.amdhsa_system_sgpr_workgroup_id_y 0
		.amdhsa_system_sgpr_workgroup_id_z 0
		.amdhsa_system_sgpr_workgroup_info 0
		.amdhsa_system_vgpr_workitem_id 0
		.amdhsa_next_free_vgpr 1
		.amdhsa_next_free_sgpr 0
		.amdhsa_accum_offset 4
		.amdhsa_reserve_vcc 0
		.amdhsa_float_round_mode_32 0
		.amdhsa_float_round_mode_16_64 0
		.amdhsa_float_denorm_mode_32 3
		.amdhsa_float_denorm_mode_16_64 3
		.amdhsa_dx10_clamp 1
		.amdhsa_ieee_mode 1
		.amdhsa_fp16_overflow 0
		.amdhsa_tg_split 0
		.amdhsa_exception_fp_ieee_invalid_op 0
		.amdhsa_exception_fp_denorm_src 0
		.amdhsa_exception_fp_ieee_div_zero 0
		.amdhsa_exception_fp_ieee_overflow 0
		.amdhsa_exception_fp_ieee_underflow 0
		.amdhsa_exception_fp_ieee_inexact 0
		.amdhsa_exception_int_div_zero 0
	.end_amdhsa_kernel
	.section	.text._ZN7rocprim17ROCPRIM_400000_NS6detail17trampoline_kernelINS0_14default_configENS1_38merge_sort_block_merge_config_selectorItNS0_10empty_typeEEEZZNS1_27merge_sort_block_merge_implIS3_N6thrust23THRUST_200600_302600_NS6detail15normal_iteratorINS9_10device_ptrItEEEEPS5_jNS1_19radix_merge_compareILb0ELb0EtNS0_19identity_decomposerEEEEE10hipError_tT0_T1_T2_jT3_P12ihipStream_tbPNSt15iterator_traitsISK_E10value_typeEPNSQ_ISL_E10value_typeEPSM_NS1_7vsmem_tEENKUlT_SK_SL_SM_E_clIPtSE_SF_SF_EESJ_SZ_SK_SL_SM_EUlSZ_E_NS1_11comp_targetILNS1_3genE3ELNS1_11target_archE908ELNS1_3gpuE7ELNS1_3repE0EEENS1_48merge_mergepath_partition_config_static_selectorELNS0_4arch9wavefront6targetE1EEEvSL_,"axG",@progbits,_ZN7rocprim17ROCPRIM_400000_NS6detail17trampoline_kernelINS0_14default_configENS1_38merge_sort_block_merge_config_selectorItNS0_10empty_typeEEEZZNS1_27merge_sort_block_merge_implIS3_N6thrust23THRUST_200600_302600_NS6detail15normal_iteratorINS9_10device_ptrItEEEEPS5_jNS1_19radix_merge_compareILb0ELb0EtNS0_19identity_decomposerEEEEE10hipError_tT0_T1_T2_jT3_P12ihipStream_tbPNSt15iterator_traitsISK_E10value_typeEPNSQ_ISL_E10value_typeEPSM_NS1_7vsmem_tEENKUlT_SK_SL_SM_E_clIPtSE_SF_SF_EESJ_SZ_SK_SL_SM_EUlSZ_E_NS1_11comp_targetILNS1_3genE3ELNS1_11target_archE908ELNS1_3gpuE7ELNS1_3repE0EEENS1_48merge_mergepath_partition_config_static_selectorELNS0_4arch9wavefront6targetE1EEEvSL_,comdat
.Lfunc_end1210:
	.size	_ZN7rocprim17ROCPRIM_400000_NS6detail17trampoline_kernelINS0_14default_configENS1_38merge_sort_block_merge_config_selectorItNS0_10empty_typeEEEZZNS1_27merge_sort_block_merge_implIS3_N6thrust23THRUST_200600_302600_NS6detail15normal_iteratorINS9_10device_ptrItEEEEPS5_jNS1_19radix_merge_compareILb0ELb0EtNS0_19identity_decomposerEEEEE10hipError_tT0_T1_T2_jT3_P12ihipStream_tbPNSt15iterator_traitsISK_E10value_typeEPNSQ_ISL_E10value_typeEPSM_NS1_7vsmem_tEENKUlT_SK_SL_SM_E_clIPtSE_SF_SF_EESJ_SZ_SK_SL_SM_EUlSZ_E_NS1_11comp_targetILNS1_3genE3ELNS1_11target_archE908ELNS1_3gpuE7ELNS1_3repE0EEENS1_48merge_mergepath_partition_config_static_selectorELNS0_4arch9wavefront6targetE1EEEvSL_, .Lfunc_end1210-_ZN7rocprim17ROCPRIM_400000_NS6detail17trampoline_kernelINS0_14default_configENS1_38merge_sort_block_merge_config_selectorItNS0_10empty_typeEEEZZNS1_27merge_sort_block_merge_implIS3_N6thrust23THRUST_200600_302600_NS6detail15normal_iteratorINS9_10device_ptrItEEEEPS5_jNS1_19radix_merge_compareILb0ELb0EtNS0_19identity_decomposerEEEEE10hipError_tT0_T1_T2_jT3_P12ihipStream_tbPNSt15iterator_traitsISK_E10value_typeEPNSQ_ISL_E10value_typeEPSM_NS1_7vsmem_tEENKUlT_SK_SL_SM_E_clIPtSE_SF_SF_EESJ_SZ_SK_SL_SM_EUlSZ_E_NS1_11comp_targetILNS1_3genE3ELNS1_11target_archE908ELNS1_3gpuE7ELNS1_3repE0EEENS1_48merge_mergepath_partition_config_static_selectorELNS0_4arch9wavefront6targetE1EEEvSL_
                                        ; -- End function
	.section	.AMDGPU.csdata,"",@progbits
; Kernel info:
; codeLenInByte = 0
; NumSgprs: 6
; NumVgprs: 0
; NumAgprs: 0
; TotalNumVgprs: 0
; ScratchSize: 0
; MemoryBound: 0
; FloatMode: 240
; IeeeMode: 1
; LDSByteSize: 0 bytes/workgroup (compile time only)
; SGPRBlocks: 0
; VGPRBlocks: 0
; NumSGPRsForWavesPerEU: 6
; NumVGPRsForWavesPerEU: 1
; AccumOffset: 4
; Occupancy: 8
; WaveLimiterHint : 0
; COMPUTE_PGM_RSRC2:SCRATCH_EN: 0
; COMPUTE_PGM_RSRC2:USER_SGPR: 2
; COMPUTE_PGM_RSRC2:TRAP_HANDLER: 0
; COMPUTE_PGM_RSRC2:TGID_X_EN: 1
; COMPUTE_PGM_RSRC2:TGID_Y_EN: 0
; COMPUTE_PGM_RSRC2:TGID_Z_EN: 0
; COMPUTE_PGM_RSRC2:TIDIG_COMP_CNT: 0
; COMPUTE_PGM_RSRC3_GFX90A:ACCUM_OFFSET: 0
; COMPUTE_PGM_RSRC3_GFX90A:TG_SPLIT: 0
	.section	.text._ZN7rocprim17ROCPRIM_400000_NS6detail17trampoline_kernelINS0_14default_configENS1_38merge_sort_block_merge_config_selectorItNS0_10empty_typeEEEZZNS1_27merge_sort_block_merge_implIS3_N6thrust23THRUST_200600_302600_NS6detail15normal_iteratorINS9_10device_ptrItEEEEPS5_jNS1_19radix_merge_compareILb0ELb0EtNS0_19identity_decomposerEEEEE10hipError_tT0_T1_T2_jT3_P12ihipStream_tbPNSt15iterator_traitsISK_E10value_typeEPNSQ_ISL_E10value_typeEPSM_NS1_7vsmem_tEENKUlT_SK_SL_SM_E_clIPtSE_SF_SF_EESJ_SZ_SK_SL_SM_EUlSZ_E_NS1_11comp_targetILNS1_3genE2ELNS1_11target_archE906ELNS1_3gpuE6ELNS1_3repE0EEENS1_48merge_mergepath_partition_config_static_selectorELNS0_4arch9wavefront6targetE1EEEvSL_,"axG",@progbits,_ZN7rocprim17ROCPRIM_400000_NS6detail17trampoline_kernelINS0_14default_configENS1_38merge_sort_block_merge_config_selectorItNS0_10empty_typeEEEZZNS1_27merge_sort_block_merge_implIS3_N6thrust23THRUST_200600_302600_NS6detail15normal_iteratorINS9_10device_ptrItEEEEPS5_jNS1_19radix_merge_compareILb0ELb0EtNS0_19identity_decomposerEEEEE10hipError_tT0_T1_T2_jT3_P12ihipStream_tbPNSt15iterator_traitsISK_E10value_typeEPNSQ_ISL_E10value_typeEPSM_NS1_7vsmem_tEENKUlT_SK_SL_SM_E_clIPtSE_SF_SF_EESJ_SZ_SK_SL_SM_EUlSZ_E_NS1_11comp_targetILNS1_3genE2ELNS1_11target_archE906ELNS1_3gpuE6ELNS1_3repE0EEENS1_48merge_mergepath_partition_config_static_selectorELNS0_4arch9wavefront6targetE1EEEvSL_,comdat
	.protected	_ZN7rocprim17ROCPRIM_400000_NS6detail17trampoline_kernelINS0_14default_configENS1_38merge_sort_block_merge_config_selectorItNS0_10empty_typeEEEZZNS1_27merge_sort_block_merge_implIS3_N6thrust23THRUST_200600_302600_NS6detail15normal_iteratorINS9_10device_ptrItEEEEPS5_jNS1_19radix_merge_compareILb0ELb0EtNS0_19identity_decomposerEEEEE10hipError_tT0_T1_T2_jT3_P12ihipStream_tbPNSt15iterator_traitsISK_E10value_typeEPNSQ_ISL_E10value_typeEPSM_NS1_7vsmem_tEENKUlT_SK_SL_SM_E_clIPtSE_SF_SF_EESJ_SZ_SK_SL_SM_EUlSZ_E_NS1_11comp_targetILNS1_3genE2ELNS1_11target_archE906ELNS1_3gpuE6ELNS1_3repE0EEENS1_48merge_mergepath_partition_config_static_selectorELNS0_4arch9wavefront6targetE1EEEvSL_ ; -- Begin function _ZN7rocprim17ROCPRIM_400000_NS6detail17trampoline_kernelINS0_14default_configENS1_38merge_sort_block_merge_config_selectorItNS0_10empty_typeEEEZZNS1_27merge_sort_block_merge_implIS3_N6thrust23THRUST_200600_302600_NS6detail15normal_iteratorINS9_10device_ptrItEEEEPS5_jNS1_19radix_merge_compareILb0ELb0EtNS0_19identity_decomposerEEEEE10hipError_tT0_T1_T2_jT3_P12ihipStream_tbPNSt15iterator_traitsISK_E10value_typeEPNSQ_ISL_E10value_typeEPSM_NS1_7vsmem_tEENKUlT_SK_SL_SM_E_clIPtSE_SF_SF_EESJ_SZ_SK_SL_SM_EUlSZ_E_NS1_11comp_targetILNS1_3genE2ELNS1_11target_archE906ELNS1_3gpuE6ELNS1_3repE0EEENS1_48merge_mergepath_partition_config_static_selectorELNS0_4arch9wavefront6targetE1EEEvSL_
	.globl	_ZN7rocprim17ROCPRIM_400000_NS6detail17trampoline_kernelINS0_14default_configENS1_38merge_sort_block_merge_config_selectorItNS0_10empty_typeEEEZZNS1_27merge_sort_block_merge_implIS3_N6thrust23THRUST_200600_302600_NS6detail15normal_iteratorINS9_10device_ptrItEEEEPS5_jNS1_19radix_merge_compareILb0ELb0EtNS0_19identity_decomposerEEEEE10hipError_tT0_T1_T2_jT3_P12ihipStream_tbPNSt15iterator_traitsISK_E10value_typeEPNSQ_ISL_E10value_typeEPSM_NS1_7vsmem_tEENKUlT_SK_SL_SM_E_clIPtSE_SF_SF_EESJ_SZ_SK_SL_SM_EUlSZ_E_NS1_11comp_targetILNS1_3genE2ELNS1_11target_archE906ELNS1_3gpuE6ELNS1_3repE0EEENS1_48merge_mergepath_partition_config_static_selectorELNS0_4arch9wavefront6targetE1EEEvSL_
	.p2align	8
	.type	_ZN7rocprim17ROCPRIM_400000_NS6detail17trampoline_kernelINS0_14default_configENS1_38merge_sort_block_merge_config_selectorItNS0_10empty_typeEEEZZNS1_27merge_sort_block_merge_implIS3_N6thrust23THRUST_200600_302600_NS6detail15normal_iteratorINS9_10device_ptrItEEEEPS5_jNS1_19radix_merge_compareILb0ELb0EtNS0_19identity_decomposerEEEEE10hipError_tT0_T1_T2_jT3_P12ihipStream_tbPNSt15iterator_traitsISK_E10value_typeEPNSQ_ISL_E10value_typeEPSM_NS1_7vsmem_tEENKUlT_SK_SL_SM_E_clIPtSE_SF_SF_EESJ_SZ_SK_SL_SM_EUlSZ_E_NS1_11comp_targetILNS1_3genE2ELNS1_11target_archE906ELNS1_3gpuE6ELNS1_3repE0EEENS1_48merge_mergepath_partition_config_static_selectorELNS0_4arch9wavefront6targetE1EEEvSL_,@function
_ZN7rocprim17ROCPRIM_400000_NS6detail17trampoline_kernelINS0_14default_configENS1_38merge_sort_block_merge_config_selectorItNS0_10empty_typeEEEZZNS1_27merge_sort_block_merge_implIS3_N6thrust23THRUST_200600_302600_NS6detail15normal_iteratorINS9_10device_ptrItEEEEPS5_jNS1_19radix_merge_compareILb0ELb0EtNS0_19identity_decomposerEEEEE10hipError_tT0_T1_T2_jT3_P12ihipStream_tbPNSt15iterator_traitsISK_E10value_typeEPNSQ_ISL_E10value_typeEPSM_NS1_7vsmem_tEENKUlT_SK_SL_SM_E_clIPtSE_SF_SF_EESJ_SZ_SK_SL_SM_EUlSZ_E_NS1_11comp_targetILNS1_3genE2ELNS1_11target_archE906ELNS1_3gpuE6ELNS1_3repE0EEENS1_48merge_mergepath_partition_config_static_selectorELNS0_4arch9wavefront6targetE1EEEvSL_: ; @_ZN7rocprim17ROCPRIM_400000_NS6detail17trampoline_kernelINS0_14default_configENS1_38merge_sort_block_merge_config_selectorItNS0_10empty_typeEEEZZNS1_27merge_sort_block_merge_implIS3_N6thrust23THRUST_200600_302600_NS6detail15normal_iteratorINS9_10device_ptrItEEEEPS5_jNS1_19radix_merge_compareILb0ELb0EtNS0_19identity_decomposerEEEEE10hipError_tT0_T1_T2_jT3_P12ihipStream_tbPNSt15iterator_traitsISK_E10value_typeEPNSQ_ISL_E10value_typeEPSM_NS1_7vsmem_tEENKUlT_SK_SL_SM_E_clIPtSE_SF_SF_EESJ_SZ_SK_SL_SM_EUlSZ_E_NS1_11comp_targetILNS1_3genE2ELNS1_11target_archE906ELNS1_3gpuE6ELNS1_3repE0EEENS1_48merge_mergepath_partition_config_static_selectorELNS0_4arch9wavefront6targetE1EEEvSL_
; %bb.0:
	.section	.rodata,"a",@progbits
	.p2align	6, 0x0
	.amdhsa_kernel _ZN7rocprim17ROCPRIM_400000_NS6detail17trampoline_kernelINS0_14default_configENS1_38merge_sort_block_merge_config_selectorItNS0_10empty_typeEEEZZNS1_27merge_sort_block_merge_implIS3_N6thrust23THRUST_200600_302600_NS6detail15normal_iteratorINS9_10device_ptrItEEEEPS5_jNS1_19radix_merge_compareILb0ELb0EtNS0_19identity_decomposerEEEEE10hipError_tT0_T1_T2_jT3_P12ihipStream_tbPNSt15iterator_traitsISK_E10value_typeEPNSQ_ISL_E10value_typeEPSM_NS1_7vsmem_tEENKUlT_SK_SL_SM_E_clIPtSE_SF_SF_EESJ_SZ_SK_SL_SM_EUlSZ_E_NS1_11comp_targetILNS1_3genE2ELNS1_11target_archE906ELNS1_3gpuE6ELNS1_3repE0EEENS1_48merge_mergepath_partition_config_static_selectorELNS0_4arch9wavefront6targetE1EEEvSL_
		.amdhsa_group_segment_fixed_size 0
		.amdhsa_private_segment_fixed_size 0
		.amdhsa_kernarg_size 40
		.amdhsa_user_sgpr_count 2
		.amdhsa_user_sgpr_dispatch_ptr 0
		.amdhsa_user_sgpr_queue_ptr 0
		.amdhsa_user_sgpr_kernarg_segment_ptr 1
		.amdhsa_user_sgpr_dispatch_id 0
		.amdhsa_user_sgpr_kernarg_preload_length 0
		.amdhsa_user_sgpr_kernarg_preload_offset 0
		.amdhsa_user_sgpr_private_segment_size 0
		.amdhsa_uses_dynamic_stack 0
		.amdhsa_enable_private_segment 0
		.amdhsa_system_sgpr_workgroup_id_x 1
		.amdhsa_system_sgpr_workgroup_id_y 0
		.amdhsa_system_sgpr_workgroup_id_z 0
		.amdhsa_system_sgpr_workgroup_info 0
		.amdhsa_system_vgpr_workitem_id 0
		.amdhsa_next_free_vgpr 1
		.amdhsa_next_free_sgpr 0
		.amdhsa_accum_offset 4
		.amdhsa_reserve_vcc 0
		.amdhsa_float_round_mode_32 0
		.amdhsa_float_round_mode_16_64 0
		.amdhsa_float_denorm_mode_32 3
		.amdhsa_float_denorm_mode_16_64 3
		.amdhsa_dx10_clamp 1
		.amdhsa_ieee_mode 1
		.amdhsa_fp16_overflow 0
		.amdhsa_tg_split 0
		.amdhsa_exception_fp_ieee_invalid_op 0
		.amdhsa_exception_fp_denorm_src 0
		.amdhsa_exception_fp_ieee_div_zero 0
		.amdhsa_exception_fp_ieee_overflow 0
		.amdhsa_exception_fp_ieee_underflow 0
		.amdhsa_exception_fp_ieee_inexact 0
		.amdhsa_exception_int_div_zero 0
	.end_amdhsa_kernel
	.section	.text._ZN7rocprim17ROCPRIM_400000_NS6detail17trampoline_kernelINS0_14default_configENS1_38merge_sort_block_merge_config_selectorItNS0_10empty_typeEEEZZNS1_27merge_sort_block_merge_implIS3_N6thrust23THRUST_200600_302600_NS6detail15normal_iteratorINS9_10device_ptrItEEEEPS5_jNS1_19radix_merge_compareILb0ELb0EtNS0_19identity_decomposerEEEEE10hipError_tT0_T1_T2_jT3_P12ihipStream_tbPNSt15iterator_traitsISK_E10value_typeEPNSQ_ISL_E10value_typeEPSM_NS1_7vsmem_tEENKUlT_SK_SL_SM_E_clIPtSE_SF_SF_EESJ_SZ_SK_SL_SM_EUlSZ_E_NS1_11comp_targetILNS1_3genE2ELNS1_11target_archE906ELNS1_3gpuE6ELNS1_3repE0EEENS1_48merge_mergepath_partition_config_static_selectorELNS0_4arch9wavefront6targetE1EEEvSL_,"axG",@progbits,_ZN7rocprim17ROCPRIM_400000_NS6detail17trampoline_kernelINS0_14default_configENS1_38merge_sort_block_merge_config_selectorItNS0_10empty_typeEEEZZNS1_27merge_sort_block_merge_implIS3_N6thrust23THRUST_200600_302600_NS6detail15normal_iteratorINS9_10device_ptrItEEEEPS5_jNS1_19radix_merge_compareILb0ELb0EtNS0_19identity_decomposerEEEEE10hipError_tT0_T1_T2_jT3_P12ihipStream_tbPNSt15iterator_traitsISK_E10value_typeEPNSQ_ISL_E10value_typeEPSM_NS1_7vsmem_tEENKUlT_SK_SL_SM_E_clIPtSE_SF_SF_EESJ_SZ_SK_SL_SM_EUlSZ_E_NS1_11comp_targetILNS1_3genE2ELNS1_11target_archE906ELNS1_3gpuE6ELNS1_3repE0EEENS1_48merge_mergepath_partition_config_static_selectorELNS0_4arch9wavefront6targetE1EEEvSL_,comdat
.Lfunc_end1211:
	.size	_ZN7rocprim17ROCPRIM_400000_NS6detail17trampoline_kernelINS0_14default_configENS1_38merge_sort_block_merge_config_selectorItNS0_10empty_typeEEEZZNS1_27merge_sort_block_merge_implIS3_N6thrust23THRUST_200600_302600_NS6detail15normal_iteratorINS9_10device_ptrItEEEEPS5_jNS1_19radix_merge_compareILb0ELb0EtNS0_19identity_decomposerEEEEE10hipError_tT0_T1_T2_jT3_P12ihipStream_tbPNSt15iterator_traitsISK_E10value_typeEPNSQ_ISL_E10value_typeEPSM_NS1_7vsmem_tEENKUlT_SK_SL_SM_E_clIPtSE_SF_SF_EESJ_SZ_SK_SL_SM_EUlSZ_E_NS1_11comp_targetILNS1_3genE2ELNS1_11target_archE906ELNS1_3gpuE6ELNS1_3repE0EEENS1_48merge_mergepath_partition_config_static_selectorELNS0_4arch9wavefront6targetE1EEEvSL_, .Lfunc_end1211-_ZN7rocprim17ROCPRIM_400000_NS6detail17trampoline_kernelINS0_14default_configENS1_38merge_sort_block_merge_config_selectorItNS0_10empty_typeEEEZZNS1_27merge_sort_block_merge_implIS3_N6thrust23THRUST_200600_302600_NS6detail15normal_iteratorINS9_10device_ptrItEEEEPS5_jNS1_19radix_merge_compareILb0ELb0EtNS0_19identity_decomposerEEEEE10hipError_tT0_T1_T2_jT3_P12ihipStream_tbPNSt15iterator_traitsISK_E10value_typeEPNSQ_ISL_E10value_typeEPSM_NS1_7vsmem_tEENKUlT_SK_SL_SM_E_clIPtSE_SF_SF_EESJ_SZ_SK_SL_SM_EUlSZ_E_NS1_11comp_targetILNS1_3genE2ELNS1_11target_archE906ELNS1_3gpuE6ELNS1_3repE0EEENS1_48merge_mergepath_partition_config_static_selectorELNS0_4arch9wavefront6targetE1EEEvSL_
                                        ; -- End function
	.section	.AMDGPU.csdata,"",@progbits
; Kernel info:
; codeLenInByte = 0
; NumSgprs: 6
; NumVgprs: 0
; NumAgprs: 0
; TotalNumVgprs: 0
; ScratchSize: 0
; MemoryBound: 0
; FloatMode: 240
; IeeeMode: 1
; LDSByteSize: 0 bytes/workgroup (compile time only)
; SGPRBlocks: 0
; VGPRBlocks: 0
; NumSGPRsForWavesPerEU: 6
; NumVGPRsForWavesPerEU: 1
; AccumOffset: 4
; Occupancy: 8
; WaveLimiterHint : 0
; COMPUTE_PGM_RSRC2:SCRATCH_EN: 0
; COMPUTE_PGM_RSRC2:USER_SGPR: 2
; COMPUTE_PGM_RSRC2:TRAP_HANDLER: 0
; COMPUTE_PGM_RSRC2:TGID_X_EN: 1
; COMPUTE_PGM_RSRC2:TGID_Y_EN: 0
; COMPUTE_PGM_RSRC2:TGID_Z_EN: 0
; COMPUTE_PGM_RSRC2:TIDIG_COMP_CNT: 0
; COMPUTE_PGM_RSRC3_GFX90A:ACCUM_OFFSET: 0
; COMPUTE_PGM_RSRC3_GFX90A:TG_SPLIT: 0
	.section	.text._ZN7rocprim17ROCPRIM_400000_NS6detail17trampoline_kernelINS0_14default_configENS1_38merge_sort_block_merge_config_selectorItNS0_10empty_typeEEEZZNS1_27merge_sort_block_merge_implIS3_N6thrust23THRUST_200600_302600_NS6detail15normal_iteratorINS9_10device_ptrItEEEEPS5_jNS1_19radix_merge_compareILb0ELb0EtNS0_19identity_decomposerEEEEE10hipError_tT0_T1_T2_jT3_P12ihipStream_tbPNSt15iterator_traitsISK_E10value_typeEPNSQ_ISL_E10value_typeEPSM_NS1_7vsmem_tEENKUlT_SK_SL_SM_E_clIPtSE_SF_SF_EESJ_SZ_SK_SL_SM_EUlSZ_E_NS1_11comp_targetILNS1_3genE9ELNS1_11target_archE1100ELNS1_3gpuE3ELNS1_3repE0EEENS1_48merge_mergepath_partition_config_static_selectorELNS0_4arch9wavefront6targetE1EEEvSL_,"axG",@progbits,_ZN7rocprim17ROCPRIM_400000_NS6detail17trampoline_kernelINS0_14default_configENS1_38merge_sort_block_merge_config_selectorItNS0_10empty_typeEEEZZNS1_27merge_sort_block_merge_implIS3_N6thrust23THRUST_200600_302600_NS6detail15normal_iteratorINS9_10device_ptrItEEEEPS5_jNS1_19radix_merge_compareILb0ELb0EtNS0_19identity_decomposerEEEEE10hipError_tT0_T1_T2_jT3_P12ihipStream_tbPNSt15iterator_traitsISK_E10value_typeEPNSQ_ISL_E10value_typeEPSM_NS1_7vsmem_tEENKUlT_SK_SL_SM_E_clIPtSE_SF_SF_EESJ_SZ_SK_SL_SM_EUlSZ_E_NS1_11comp_targetILNS1_3genE9ELNS1_11target_archE1100ELNS1_3gpuE3ELNS1_3repE0EEENS1_48merge_mergepath_partition_config_static_selectorELNS0_4arch9wavefront6targetE1EEEvSL_,comdat
	.protected	_ZN7rocprim17ROCPRIM_400000_NS6detail17trampoline_kernelINS0_14default_configENS1_38merge_sort_block_merge_config_selectorItNS0_10empty_typeEEEZZNS1_27merge_sort_block_merge_implIS3_N6thrust23THRUST_200600_302600_NS6detail15normal_iteratorINS9_10device_ptrItEEEEPS5_jNS1_19radix_merge_compareILb0ELb0EtNS0_19identity_decomposerEEEEE10hipError_tT0_T1_T2_jT3_P12ihipStream_tbPNSt15iterator_traitsISK_E10value_typeEPNSQ_ISL_E10value_typeEPSM_NS1_7vsmem_tEENKUlT_SK_SL_SM_E_clIPtSE_SF_SF_EESJ_SZ_SK_SL_SM_EUlSZ_E_NS1_11comp_targetILNS1_3genE9ELNS1_11target_archE1100ELNS1_3gpuE3ELNS1_3repE0EEENS1_48merge_mergepath_partition_config_static_selectorELNS0_4arch9wavefront6targetE1EEEvSL_ ; -- Begin function _ZN7rocprim17ROCPRIM_400000_NS6detail17trampoline_kernelINS0_14default_configENS1_38merge_sort_block_merge_config_selectorItNS0_10empty_typeEEEZZNS1_27merge_sort_block_merge_implIS3_N6thrust23THRUST_200600_302600_NS6detail15normal_iteratorINS9_10device_ptrItEEEEPS5_jNS1_19radix_merge_compareILb0ELb0EtNS0_19identity_decomposerEEEEE10hipError_tT0_T1_T2_jT3_P12ihipStream_tbPNSt15iterator_traitsISK_E10value_typeEPNSQ_ISL_E10value_typeEPSM_NS1_7vsmem_tEENKUlT_SK_SL_SM_E_clIPtSE_SF_SF_EESJ_SZ_SK_SL_SM_EUlSZ_E_NS1_11comp_targetILNS1_3genE9ELNS1_11target_archE1100ELNS1_3gpuE3ELNS1_3repE0EEENS1_48merge_mergepath_partition_config_static_selectorELNS0_4arch9wavefront6targetE1EEEvSL_
	.globl	_ZN7rocprim17ROCPRIM_400000_NS6detail17trampoline_kernelINS0_14default_configENS1_38merge_sort_block_merge_config_selectorItNS0_10empty_typeEEEZZNS1_27merge_sort_block_merge_implIS3_N6thrust23THRUST_200600_302600_NS6detail15normal_iteratorINS9_10device_ptrItEEEEPS5_jNS1_19radix_merge_compareILb0ELb0EtNS0_19identity_decomposerEEEEE10hipError_tT0_T1_T2_jT3_P12ihipStream_tbPNSt15iterator_traitsISK_E10value_typeEPNSQ_ISL_E10value_typeEPSM_NS1_7vsmem_tEENKUlT_SK_SL_SM_E_clIPtSE_SF_SF_EESJ_SZ_SK_SL_SM_EUlSZ_E_NS1_11comp_targetILNS1_3genE9ELNS1_11target_archE1100ELNS1_3gpuE3ELNS1_3repE0EEENS1_48merge_mergepath_partition_config_static_selectorELNS0_4arch9wavefront6targetE1EEEvSL_
	.p2align	8
	.type	_ZN7rocprim17ROCPRIM_400000_NS6detail17trampoline_kernelINS0_14default_configENS1_38merge_sort_block_merge_config_selectorItNS0_10empty_typeEEEZZNS1_27merge_sort_block_merge_implIS3_N6thrust23THRUST_200600_302600_NS6detail15normal_iteratorINS9_10device_ptrItEEEEPS5_jNS1_19radix_merge_compareILb0ELb0EtNS0_19identity_decomposerEEEEE10hipError_tT0_T1_T2_jT3_P12ihipStream_tbPNSt15iterator_traitsISK_E10value_typeEPNSQ_ISL_E10value_typeEPSM_NS1_7vsmem_tEENKUlT_SK_SL_SM_E_clIPtSE_SF_SF_EESJ_SZ_SK_SL_SM_EUlSZ_E_NS1_11comp_targetILNS1_3genE9ELNS1_11target_archE1100ELNS1_3gpuE3ELNS1_3repE0EEENS1_48merge_mergepath_partition_config_static_selectorELNS0_4arch9wavefront6targetE1EEEvSL_,@function
_ZN7rocprim17ROCPRIM_400000_NS6detail17trampoline_kernelINS0_14default_configENS1_38merge_sort_block_merge_config_selectorItNS0_10empty_typeEEEZZNS1_27merge_sort_block_merge_implIS3_N6thrust23THRUST_200600_302600_NS6detail15normal_iteratorINS9_10device_ptrItEEEEPS5_jNS1_19radix_merge_compareILb0ELb0EtNS0_19identity_decomposerEEEEE10hipError_tT0_T1_T2_jT3_P12ihipStream_tbPNSt15iterator_traitsISK_E10value_typeEPNSQ_ISL_E10value_typeEPSM_NS1_7vsmem_tEENKUlT_SK_SL_SM_E_clIPtSE_SF_SF_EESJ_SZ_SK_SL_SM_EUlSZ_E_NS1_11comp_targetILNS1_3genE9ELNS1_11target_archE1100ELNS1_3gpuE3ELNS1_3repE0EEENS1_48merge_mergepath_partition_config_static_selectorELNS0_4arch9wavefront6targetE1EEEvSL_: ; @_ZN7rocprim17ROCPRIM_400000_NS6detail17trampoline_kernelINS0_14default_configENS1_38merge_sort_block_merge_config_selectorItNS0_10empty_typeEEEZZNS1_27merge_sort_block_merge_implIS3_N6thrust23THRUST_200600_302600_NS6detail15normal_iteratorINS9_10device_ptrItEEEEPS5_jNS1_19radix_merge_compareILb0ELb0EtNS0_19identity_decomposerEEEEE10hipError_tT0_T1_T2_jT3_P12ihipStream_tbPNSt15iterator_traitsISK_E10value_typeEPNSQ_ISL_E10value_typeEPSM_NS1_7vsmem_tEENKUlT_SK_SL_SM_E_clIPtSE_SF_SF_EESJ_SZ_SK_SL_SM_EUlSZ_E_NS1_11comp_targetILNS1_3genE9ELNS1_11target_archE1100ELNS1_3gpuE3ELNS1_3repE0EEENS1_48merge_mergepath_partition_config_static_selectorELNS0_4arch9wavefront6targetE1EEEvSL_
; %bb.0:
	.section	.rodata,"a",@progbits
	.p2align	6, 0x0
	.amdhsa_kernel _ZN7rocprim17ROCPRIM_400000_NS6detail17trampoline_kernelINS0_14default_configENS1_38merge_sort_block_merge_config_selectorItNS0_10empty_typeEEEZZNS1_27merge_sort_block_merge_implIS3_N6thrust23THRUST_200600_302600_NS6detail15normal_iteratorINS9_10device_ptrItEEEEPS5_jNS1_19radix_merge_compareILb0ELb0EtNS0_19identity_decomposerEEEEE10hipError_tT0_T1_T2_jT3_P12ihipStream_tbPNSt15iterator_traitsISK_E10value_typeEPNSQ_ISL_E10value_typeEPSM_NS1_7vsmem_tEENKUlT_SK_SL_SM_E_clIPtSE_SF_SF_EESJ_SZ_SK_SL_SM_EUlSZ_E_NS1_11comp_targetILNS1_3genE9ELNS1_11target_archE1100ELNS1_3gpuE3ELNS1_3repE0EEENS1_48merge_mergepath_partition_config_static_selectorELNS0_4arch9wavefront6targetE1EEEvSL_
		.amdhsa_group_segment_fixed_size 0
		.amdhsa_private_segment_fixed_size 0
		.amdhsa_kernarg_size 40
		.amdhsa_user_sgpr_count 2
		.amdhsa_user_sgpr_dispatch_ptr 0
		.amdhsa_user_sgpr_queue_ptr 0
		.amdhsa_user_sgpr_kernarg_segment_ptr 1
		.amdhsa_user_sgpr_dispatch_id 0
		.amdhsa_user_sgpr_kernarg_preload_length 0
		.amdhsa_user_sgpr_kernarg_preload_offset 0
		.amdhsa_user_sgpr_private_segment_size 0
		.amdhsa_uses_dynamic_stack 0
		.amdhsa_enable_private_segment 0
		.amdhsa_system_sgpr_workgroup_id_x 1
		.amdhsa_system_sgpr_workgroup_id_y 0
		.amdhsa_system_sgpr_workgroup_id_z 0
		.amdhsa_system_sgpr_workgroup_info 0
		.amdhsa_system_vgpr_workitem_id 0
		.amdhsa_next_free_vgpr 1
		.amdhsa_next_free_sgpr 0
		.amdhsa_accum_offset 4
		.amdhsa_reserve_vcc 0
		.amdhsa_float_round_mode_32 0
		.amdhsa_float_round_mode_16_64 0
		.amdhsa_float_denorm_mode_32 3
		.amdhsa_float_denorm_mode_16_64 3
		.amdhsa_dx10_clamp 1
		.amdhsa_ieee_mode 1
		.amdhsa_fp16_overflow 0
		.amdhsa_tg_split 0
		.amdhsa_exception_fp_ieee_invalid_op 0
		.amdhsa_exception_fp_denorm_src 0
		.amdhsa_exception_fp_ieee_div_zero 0
		.amdhsa_exception_fp_ieee_overflow 0
		.amdhsa_exception_fp_ieee_underflow 0
		.amdhsa_exception_fp_ieee_inexact 0
		.amdhsa_exception_int_div_zero 0
	.end_amdhsa_kernel
	.section	.text._ZN7rocprim17ROCPRIM_400000_NS6detail17trampoline_kernelINS0_14default_configENS1_38merge_sort_block_merge_config_selectorItNS0_10empty_typeEEEZZNS1_27merge_sort_block_merge_implIS3_N6thrust23THRUST_200600_302600_NS6detail15normal_iteratorINS9_10device_ptrItEEEEPS5_jNS1_19radix_merge_compareILb0ELb0EtNS0_19identity_decomposerEEEEE10hipError_tT0_T1_T2_jT3_P12ihipStream_tbPNSt15iterator_traitsISK_E10value_typeEPNSQ_ISL_E10value_typeEPSM_NS1_7vsmem_tEENKUlT_SK_SL_SM_E_clIPtSE_SF_SF_EESJ_SZ_SK_SL_SM_EUlSZ_E_NS1_11comp_targetILNS1_3genE9ELNS1_11target_archE1100ELNS1_3gpuE3ELNS1_3repE0EEENS1_48merge_mergepath_partition_config_static_selectorELNS0_4arch9wavefront6targetE1EEEvSL_,"axG",@progbits,_ZN7rocprim17ROCPRIM_400000_NS6detail17trampoline_kernelINS0_14default_configENS1_38merge_sort_block_merge_config_selectorItNS0_10empty_typeEEEZZNS1_27merge_sort_block_merge_implIS3_N6thrust23THRUST_200600_302600_NS6detail15normal_iteratorINS9_10device_ptrItEEEEPS5_jNS1_19radix_merge_compareILb0ELb0EtNS0_19identity_decomposerEEEEE10hipError_tT0_T1_T2_jT3_P12ihipStream_tbPNSt15iterator_traitsISK_E10value_typeEPNSQ_ISL_E10value_typeEPSM_NS1_7vsmem_tEENKUlT_SK_SL_SM_E_clIPtSE_SF_SF_EESJ_SZ_SK_SL_SM_EUlSZ_E_NS1_11comp_targetILNS1_3genE9ELNS1_11target_archE1100ELNS1_3gpuE3ELNS1_3repE0EEENS1_48merge_mergepath_partition_config_static_selectorELNS0_4arch9wavefront6targetE1EEEvSL_,comdat
.Lfunc_end1212:
	.size	_ZN7rocprim17ROCPRIM_400000_NS6detail17trampoline_kernelINS0_14default_configENS1_38merge_sort_block_merge_config_selectorItNS0_10empty_typeEEEZZNS1_27merge_sort_block_merge_implIS3_N6thrust23THRUST_200600_302600_NS6detail15normal_iteratorINS9_10device_ptrItEEEEPS5_jNS1_19radix_merge_compareILb0ELb0EtNS0_19identity_decomposerEEEEE10hipError_tT0_T1_T2_jT3_P12ihipStream_tbPNSt15iterator_traitsISK_E10value_typeEPNSQ_ISL_E10value_typeEPSM_NS1_7vsmem_tEENKUlT_SK_SL_SM_E_clIPtSE_SF_SF_EESJ_SZ_SK_SL_SM_EUlSZ_E_NS1_11comp_targetILNS1_3genE9ELNS1_11target_archE1100ELNS1_3gpuE3ELNS1_3repE0EEENS1_48merge_mergepath_partition_config_static_selectorELNS0_4arch9wavefront6targetE1EEEvSL_, .Lfunc_end1212-_ZN7rocprim17ROCPRIM_400000_NS6detail17trampoline_kernelINS0_14default_configENS1_38merge_sort_block_merge_config_selectorItNS0_10empty_typeEEEZZNS1_27merge_sort_block_merge_implIS3_N6thrust23THRUST_200600_302600_NS6detail15normal_iteratorINS9_10device_ptrItEEEEPS5_jNS1_19radix_merge_compareILb0ELb0EtNS0_19identity_decomposerEEEEE10hipError_tT0_T1_T2_jT3_P12ihipStream_tbPNSt15iterator_traitsISK_E10value_typeEPNSQ_ISL_E10value_typeEPSM_NS1_7vsmem_tEENKUlT_SK_SL_SM_E_clIPtSE_SF_SF_EESJ_SZ_SK_SL_SM_EUlSZ_E_NS1_11comp_targetILNS1_3genE9ELNS1_11target_archE1100ELNS1_3gpuE3ELNS1_3repE0EEENS1_48merge_mergepath_partition_config_static_selectorELNS0_4arch9wavefront6targetE1EEEvSL_
                                        ; -- End function
	.section	.AMDGPU.csdata,"",@progbits
; Kernel info:
; codeLenInByte = 0
; NumSgprs: 6
; NumVgprs: 0
; NumAgprs: 0
; TotalNumVgprs: 0
; ScratchSize: 0
; MemoryBound: 0
; FloatMode: 240
; IeeeMode: 1
; LDSByteSize: 0 bytes/workgroup (compile time only)
; SGPRBlocks: 0
; VGPRBlocks: 0
; NumSGPRsForWavesPerEU: 6
; NumVGPRsForWavesPerEU: 1
; AccumOffset: 4
; Occupancy: 8
; WaveLimiterHint : 0
; COMPUTE_PGM_RSRC2:SCRATCH_EN: 0
; COMPUTE_PGM_RSRC2:USER_SGPR: 2
; COMPUTE_PGM_RSRC2:TRAP_HANDLER: 0
; COMPUTE_PGM_RSRC2:TGID_X_EN: 1
; COMPUTE_PGM_RSRC2:TGID_Y_EN: 0
; COMPUTE_PGM_RSRC2:TGID_Z_EN: 0
; COMPUTE_PGM_RSRC2:TIDIG_COMP_CNT: 0
; COMPUTE_PGM_RSRC3_GFX90A:ACCUM_OFFSET: 0
; COMPUTE_PGM_RSRC3_GFX90A:TG_SPLIT: 0
	.section	.text._ZN7rocprim17ROCPRIM_400000_NS6detail17trampoline_kernelINS0_14default_configENS1_38merge_sort_block_merge_config_selectorItNS0_10empty_typeEEEZZNS1_27merge_sort_block_merge_implIS3_N6thrust23THRUST_200600_302600_NS6detail15normal_iteratorINS9_10device_ptrItEEEEPS5_jNS1_19radix_merge_compareILb0ELb0EtNS0_19identity_decomposerEEEEE10hipError_tT0_T1_T2_jT3_P12ihipStream_tbPNSt15iterator_traitsISK_E10value_typeEPNSQ_ISL_E10value_typeEPSM_NS1_7vsmem_tEENKUlT_SK_SL_SM_E_clIPtSE_SF_SF_EESJ_SZ_SK_SL_SM_EUlSZ_E_NS1_11comp_targetILNS1_3genE8ELNS1_11target_archE1030ELNS1_3gpuE2ELNS1_3repE0EEENS1_48merge_mergepath_partition_config_static_selectorELNS0_4arch9wavefront6targetE1EEEvSL_,"axG",@progbits,_ZN7rocprim17ROCPRIM_400000_NS6detail17trampoline_kernelINS0_14default_configENS1_38merge_sort_block_merge_config_selectorItNS0_10empty_typeEEEZZNS1_27merge_sort_block_merge_implIS3_N6thrust23THRUST_200600_302600_NS6detail15normal_iteratorINS9_10device_ptrItEEEEPS5_jNS1_19radix_merge_compareILb0ELb0EtNS0_19identity_decomposerEEEEE10hipError_tT0_T1_T2_jT3_P12ihipStream_tbPNSt15iterator_traitsISK_E10value_typeEPNSQ_ISL_E10value_typeEPSM_NS1_7vsmem_tEENKUlT_SK_SL_SM_E_clIPtSE_SF_SF_EESJ_SZ_SK_SL_SM_EUlSZ_E_NS1_11comp_targetILNS1_3genE8ELNS1_11target_archE1030ELNS1_3gpuE2ELNS1_3repE0EEENS1_48merge_mergepath_partition_config_static_selectorELNS0_4arch9wavefront6targetE1EEEvSL_,comdat
	.protected	_ZN7rocprim17ROCPRIM_400000_NS6detail17trampoline_kernelINS0_14default_configENS1_38merge_sort_block_merge_config_selectorItNS0_10empty_typeEEEZZNS1_27merge_sort_block_merge_implIS3_N6thrust23THRUST_200600_302600_NS6detail15normal_iteratorINS9_10device_ptrItEEEEPS5_jNS1_19radix_merge_compareILb0ELb0EtNS0_19identity_decomposerEEEEE10hipError_tT0_T1_T2_jT3_P12ihipStream_tbPNSt15iterator_traitsISK_E10value_typeEPNSQ_ISL_E10value_typeEPSM_NS1_7vsmem_tEENKUlT_SK_SL_SM_E_clIPtSE_SF_SF_EESJ_SZ_SK_SL_SM_EUlSZ_E_NS1_11comp_targetILNS1_3genE8ELNS1_11target_archE1030ELNS1_3gpuE2ELNS1_3repE0EEENS1_48merge_mergepath_partition_config_static_selectorELNS0_4arch9wavefront6targetE1EEEvSL_ ; -- Begin function _ZN7rocprim17ROCPRIM_400000_NS6detail17trampoline_kernelINS0_14default_configENS1_38merge_sort_block_merge_config_selectorItNS0_10empty_typeEEEZZNS1_27merge_sort_block_merge_implIS3_N6thrust23THRUST_200600_302600_NS6detail15normal_iteratorINS9_10device_ptrItEEEEPS5_jNS1_19radix_merge_compareILb0ELb0EtNS0_19identity_decomposerEEEEE10hipError_tT0_T1_T2_jT3_P12ihipStream_tbPNSt15iterator_traitsISK_E10value_typeEPNSQ_ISL_E10value_typeEPSM_NS1_7vsmem_tEENKUlT_SK_SL_SM_E_clIPtSE_SF_SF_EESJ_SZ_SK_SL_SM_EUlSZ_E_NS1_11comp_targetILNS1_3genE8ELNS1_11target_archE1030ELNS1_3gpuE2ELNS1_3repE0EEENS1_48merge_mergepath_partition_config_static_selectorELNS0_4arch9wavefront6targetE1EEEvSL_
	.globl	_ZN7rocprim17ROCPRIM_400000_NS6detail17trampoline_kernelINS0_14default_configENS1_38merge_sort_block_merge_config_selectorItNS0_10empty_typeEEEZZNS1_27merge_sort_block_merge_implIS3_N6thrust23THRUST_200600_302600_NS6detail15normal_iteratorINS9_10device_ptrItEEEEPS5_jNS1_19radix_merge_compareILb0ELb0EtNS0_19identity_decomposerEEEEE10hipError_tT0_T1_T2_jT3_P12ihipStream_tbPNSt15iterator_traitsISK_E10value_typeEPNSQ_ISL_E10value_typeEPSM_NS1_7vsmem_tEENKUlT_SK_SL_SM_E_clIPtSE_SF_SF_EESJ_SZ_SK_SL_SM_EUlSZ_E_NS1_11comp_targetILNS1_3genE8ELNS1_11target_archE1030ELNS1_3gpuE2ELNS1_3repE0EEENS1_48merge_mergepath_partition_config_static_selectorELNS0_4arch9wavefront6targetE1EEEvSL_
	.p2align	8
	.type	_ZN7rocprim17ROCPRIM_400000_NS6detail17trampoline_kernelINS0_14default_configENS1_38merge_sort_block_merge_config_selectorItNS0_10empty_typeEEEZZNS1_27merge_sort_block_merge_implIS3_N6thrust23THRUST_200600_302600_NS6detail15normal_iteratorINS9_10device_ptrItEEEEPS5_jNS1_19radix_merge_compareILb0ELb0EtNS0_19identity_decomposerEEEEE10hipError_tT0_T1_T2_jT3_P12ihipStream_tbPNSt15iterator_traitsISK_E10value_typeEPNSQ_ISL_E10value_typeEPSM_NS1_7vsmem_tEENKUlT_SK_SL_SM_E_clIPtSE_SF_SF_EESJ_SZ_SK_SL_SM_EUlSZ_E_NS1_11comp_targetILNS1_3genE8ELNS1_11target_archE1030ELNS1_3gpuE2ELNS1_3repE0EEENS1_48merge_mergepath_partition_config_static_selectorELNS0_4arch9wavefront6targetE1EEEvSL_,@function
_ZN7rocprim17ROCPRIM_400000_NS6detail17trampoline_kernelINS0_14default_configENS1_38merge_sort_block_merge_config_selectorItNS0_10empty_typeEEEZZNS1_27merge_sort_block_merge_implIS3_N6thrust23THRUST_200600_302600_NS6detail15normal_iteratorINS9_10device_ptrItEEEEPS5_jNS1_19radix_merge_compareILb0ELb0EtNS0_19identity_decomposerEEEEE10hipError_tT0_T1_T2_jT3_P12ihipStream_tbPNSt15iterator_traitsISK_E10value_typeEPNSQ_ISL_E10value_typeEPSM_NS1_7vsmem_tEENKUlT_SK_SL_SM_E_clIPtSE_SF_SF_EESJ_SZ_SK_SL_SM_EUlSZ_E_NS1_11comp_targetILNS1_3genE8ELNS1_11target_archE1030ELNS1_3gpuE2ELNS1_3repE0EEENS1_48merge_mergepath_partition_config_static_selectorELNS0_4arch9wavefront6targetE1EEEvSL_: ; @_ZN7rocprim17ROCPRIM_400000_NS6detail17trampoline_kernelINS0_14default_configENS1_38merge_sort_block_merge_config_selectorItNS0_10empty_typeEEEZZNS1_27merge_sort_block_merge_implIS3_N6thrust23THRUST_200600_302600_NS6detail15normal_iteratorINS9_10device_ptrItEEEEPS5_jNS1_19radix_merge_compareILb0ELb0EtNS0_19identity_decomposerEEEEE10hipError_tT0_T1_T2_jT3_P12ihipStream_tbPNSt15iterator_traitsISK_E10value_typeEPNSQ_ISL_E10value_typeEPSM_NS1_7vsmem_tEENKUlT_SK_SL_SM_E_clIPtSE_SF_SF_EESJ_SZ_SK_SL_SM_EUlSZ_E_NS1_11comp_targetILNS1_3genE8ELNS1_11target_archE1030ELNS1_3gpuE2ELNS1_3repE0EEENS1_48merge_mergepath_partition_config_static_selectorELNS0_4arch9wavefront6targetE1EEEvSL_
; %bb.0:
	.section	.rodata,"a",@progbits
	.p2align	6, 0x0
	.amdhsa_kernel _ZN7rocprim17ROCPRIM_400000_NS6detail17trampoline_kernelINS0_14default_configENS1_38merge_sort_block_merge_config_selectorItNS0_10empty_typeEEEZZNS1_27merge_sort_block_merge_implIS3_N6thrust23THRUST_200600_302600_NS6detail15normal_iteratorINS9_10device_ptrItEEEEPS5_jNS1_19radix_merge_compareILb0ELb0EtNS0_19identity_decomposerEEEEE10hipError_tT0_T1_T2_jT3_P12ihipStream_tbPNSt15iterator_traitsISK_E10value_typeEPNSQ_ISL_E10value_typeEPSM_NS1_7vsmem_tEENKUlT_SK_SL_SM_E_clIPtSE_SF_SF_EESJ_SZ_SK_SL_SM_EUlSZ_E_NS1_11comp_targetILNS1_3genE8ELNS1_11target_archE1030ELNS1_3gpuE2ELNS1_3repE0EEENS1_48merge_mergepath_partition_config_static_selectorELNS0_4arch9wavefront6targetE1EEEvSL_
		.amdhsa_group_segment_fixed_size 0
		.amdhsa_private_segment_fixed_size 0
		.amdhsa_kernarg_size 40
		.amdhsa_user_sgpr_count 2
		.amdhsa_user_sgpr_dispatch_ptr 0
		.amdhsa_user_sgpr_queue_ptr 0
		.amdhsa_user_sgpr_kernarg_segment_ptr 1
		.amdhsa_user_sgpr_dispatch_id 0
		.amdhsa_user_sgpr_kernarg_preload_length 0
		.amdhsa_user_sgpr_kernarg_preload_offset 0
		.amdhsa_user_sgpr_private_segment_size 0
		.amdhsa_uses_dynamic_stack 0
		.amdhsa_enable_private_segment 0
		.amdhsa_system_sgpr_workgroup_id_x 1
		.amdhsa_system_sgpr_workgroup_id_y 0
		.amdhsa_system_sgpr_workgroup_id_z 0
		.amdhsa_system_sgpr_workgroup_info 0
		.amdhsa_system_vgpr_workitem_id 0
		.amdhsa_next_free_vgpr 1
		.amdhsa_next_free_sgpr 0
		.amdhsa_accum_offset 4
		.amdhsa_reserve_vcc 0
		.amdhsa_float_round_mode_32 0
		.amdhsa_float_round_mode_16_64 0
		.amdhsa_float_denorm_mode_32 3
		.amdhsa_float_denorm_mode_16_64 3
		.amdhsa_dx10_clamp 1
		.amdhsa_ieee_mode 1
		.amdhsa_fp16_overflow 0
		.amdhsa_tg_split 0
		.amdhsa_exception_fp_ieee_invalid_op 0
		.amdhsa_exception_fp_denorm_src 0
		.amdhsa_exception_fp_ieee_div_zero 0
		.amdhsa_exception_fp_ieee_overflow 0
		.amdhsa_exception_fp_ieee_underflow 0
		.amdhsa_exception_fp_ieee_inexact 0
		.amdhsa_exception_int_div_zero 0
	.end_amdhsa_kernel
	.section	.text._ZN7rocprim17ROCPRIM_400000_NS6detail17trampoline_kernelINS0_14default_configENS1_38merge_sort_block_merge_config_selectorItNS0_10empty_typeEEEZZNS1_27merge_sort_block_merge_implIS3_N6thrust23THRUST_200600_302600_NS6detail15normal_iteratorINS9_10device_ptrItEEEEPS5_jNS1_19radix_merge_compareILb0ELb0EtNS0_19identity_decomposerEEEEE10hipError_tT0_T1_T2_jT3_P12ihipStream_tbPNSt15iterator_traitsISK_E10value_typeEPNSQ_ISL_E10value_typeEPSM_NS1_7vsmem_tEENKUlT_SK_SL_SM_E_clIPtSE_SF_SF_EESJ_SZ_SK_SL_SM_EUlSZ_E_NS1_11comp_targetILNS1_3genE8ELNS1_11target_archE1030ELNS1_3gpuE2ELNS1_3repE0EEENS1_48merge_mergepath_partition_config_static_selectorELNS0_4arch9wavefront6targetE1EEEvSL_,"axG",@progbits,_ZN7rocprim17ROCPRIM_400000_NS6detail17trampoline_kernelINS0_14default_configENS1_38merge_sort_block_merge_config_selectorItNS0_10empty_typeEEEZZNS1_27merge_sort_block_merge_implIS3_N6thrust23THRUST_200600_302600_NS6detail15normal_iteratorINS9_10device_ptrItEEEEPS5_jNS1_19radix_merge_compareILb0ELb0EtNS0_19identity_decomposerEEEEE10hipError_tT0_T1_T2_jT3_P12ihipStream_tbPNSt15iterator_traitsISK_E10value_typeEPNSQ_ISL_E10value_typeEPSM_NS1_7vsmem_tEENKUlT_SK_SL_SM_E_clIPtSE_SF_SF_EESJ_SZ_SK_SL_SM_EUlSZ_E_NS1_11comp_targetILNS1_3genE8ELNS1_11target_archE1030ELNS1_3gpuE2ELNS1_3repE0EEENS1_48merge_mergepath_partition_config_static_selectorELNS0_4arch9wavefront6targetE1EEEvSL_,comdat
.Lfunc_end1213:
	.size	_ZN7rocprim17ROCPRIM_400000_NS6detail17trampoline_kernelINS0_14default_configENS1_38merge_sort_block_merge_config_selectorItNS0_10empty_typeEEEZZNS1_27merge_sort_block_merge_implIS3_N6thrust23THRUST_200600_302600_NS6detail15normal_iteratorINS9_10device_ptrItEEEEPS5_jNS1_19radix_merge_compareILb0ELb0EtNS0_19identity_decomposerEEEEE10hipError_tT0_T1_T2_jT3_P12ihipStream_tbPNSt15iterator_traitsISK_E10value_typeEPNSQ_ISL_E10value_typeEPSM_NS1_7vsmem_tEENKUlT_SK_SL_SM_E_clIPtSE_SF_SF_EESJ_SZ_SK_SL_SM_EUlSZ_E_NS1_11comp_targetILNS1_3genE8ELNS1_11target_archE1030ELNS1_3gpuE2ELNS1_3repE0EEENS1_48merge_mergepath_partition_config_static_selectorELNS0_4arch9wavefront6targetE1EEEvSL_, .Lfunc_end1213-_ZN7rocprim17ROCPRIM_400000_NS6detail17trampoline_kernelINS0_14default_configENS1_38merge_sort_block_merge_config_selectorItNS0_10empty_typeEEEZZNS1_27merge_sort_block_merge_implIS3_N6thrust23THRUST_200600_302600_NS6detail15normal_iteratorINS9_10device_ptrItEEEEPS5_jNS1_19radix_merge_compareILb0ELb0EtNS0_19identity_decomposerEEEEE10hipError_tT0_T1_T2_jT3_P12ihipStream_tbPNSt15iterator_traitsISK_E10value_typeEPNSQ_ISL_E10value_typeEPSM_NS1_7vsmem_tEENKUlT_SK_SL_SM_E_clIPtSE_SF_SF_EESJ_SZ_SK_SL_SM_EUlSZ_E_NS1_11comp_targetILNS1_3genE8ELNS1_11target_archE1030ELNS1_3gpuE2ELNS1_3repE0EEENS1_48merge_mergepath_partition_config_static_selectorELNS0_4arch9wavefront6targetE1EEEvSL_
                                        ; -- End function
	.section	.AMDGPU.csdata,"",@progbits
; Kernel info:
; codeLenInByte = 0
; NumSgprs: 6
; NumVgprs: 0
; NumAgprs: 0
; TotalNumVgprs: 0
; ScratchSize: 0
; MemoryBound: 0
; FloatMode: 240
; IeeeMode: 1
; LDSByteSize: 0 bytes/workgroup (compile time only)
; SGPRBlocks: 0
; VGPRBlocks: 0
; NumSGPRsForWavesPerEU: 6
; NumVGPRsForWavesPerEU: 1
; AccumOffset: 4
; Occupancy: 8
; WaveLimiterHint : 0
; COMPUTE_PGM_RSRC2:SCRATCH_EN: 0
; COMPUTE_PGM_RSRC2:USER_SGPR: 2
; COMPUTE_PGM_RSRC2:TRAP_HANDLER: 0
; COMPUTE_PGM_RSRC2:TGID_X_EN: 1
; COMPUTE_PGM_RSRC2:TGID_Y_EN: 0
; COMPUTE_PGM_RSRC2:TGID_Z_EN: 0
; COMPUTE_PGM_RSRC2:TIDIG_COMP_CNT: 0
; COMPUTE_PGM_RSRC3_GFX90A:ACCUM_OFFSET: 0
; COMPUTE_PGM_RSRC3_GFX90A:TG_SPLIT: 0
	.section	.text._ZN7rocprim17ROCPRIM_400000_NS6detail17trampoline_kernelINS0_14default_configENS1_38merge_sort_block_merge_config_selectorItNS0_10empty_typeEEEZZNS1_27merge_sort_block_merge_implIS3_N6thrust23THRUST_200600_302600_NS6detail15normal_iteratorINS9_10device_ptrItEEEEPS5_jNS1_19radix_merge_compareILb0ELb0EtNS0_19identity_decomposerEEEEE10hipError_tT0_T1_T2_jT3_P12ihipStream_tbPNSt15iterator_traitsISK_E10value_typeEPNSQ_ISL_E10value_typeEPSM_NS1_7vsmem_tEENKUlT_SK_SL_SM_E_clIPtSE_SF_SF_EESJ_SZ_SK_SL_SM_EUlSZ_E0_NS1_11comp_targetILNS1_3genE0ELNS1_11target_archE4294967295ELNS1_3gpuE0ELNS1_3repE0EEENS1_38merge_mergepath_config_static_selectorELNS0_4arch9wavefront6targetE1EEEvSL_,"axG",@progbits,_ZN7rocprim17ROCPRIM_400000_NS6detail17trampoline_kernelINS0_14default_configENS1_38merge_sort_block_merge_config_selectorItNS0_10empty_typeEEEZZNS1_27merge_sort_block_merge_implIS3_N6thrust23THRUST_200600_302600_NS6detail15normal_iteratorINS9_10device_ptrItEEEEPS5_jNS1_19radix_merge_compareILb0ELb0EtNS0_19identity_decomposerEEEEE10hipError_tT0_T1_T2_jT3_P12ihipStream_tbPNSt15iterator_traitsISK_E10value_typeEPNSQ_ISL_E10value_typeEPSM_NS1_7vsmem_tEENKUlT_SK_SL_SM_E_clIPtSE_SF_SF_EESJ_SZ_SK_SL_SM_EUlSZ_E0_NS1_11comp_targetILNS1_3genE0ELNS1_11target_archE4294967295ELNS1_3gpuE0ELNS1_3repE0EEENS1_38merge_mergepath_config_static_selectorELNS0_4arch9wavefront6targetE1EEEvSL_,comdat
	.protected	_ZN7rocprim17ROCPRIM_400000_NS6detail17trampoline_kernelINS0_14default_configENS1_38merge_sort_block_merge_config_selectorItNS0_10empty_typeEEEZZNS1_27merge_sort_block_merge_implIS3_N6thrust23THRUST_200600_302600_NS6detail15normal_iteratorINS9_10device_ptrItEEEEPS5_jNS1_19radix_merge_compareILb0ELb0EtNS0_19identity_decomposerEEEEE10hipError_tT0_T1_T2_jT3_P12ihipStream_tbPNSt15iterator_traitsISK_E10value_typeEPNSQ_ISL_E10value_typeEPSM_NS1_7vsmem_tEENKUlT_SK_SL_SM_E_clIPtSE_SF_SF_EESJ_SZ_SK_SL_SM_EUlSZ_E0_NS1_11comp_targetILNS1_3genE0ELNS1_11target_archE4294967295ELNS1_3gpuE0ELNS1_3repE0EEENS1_38merge_mergepath_config_static_selectorELNS0_4arch9wavefront6targetE1EEEvSL_ ; -- Begin function _ZN7rocprim17ROCPRIM_400000_NS6detail17trampoline_kernelINS0_14default_configENS1_38merge_sort_block_merge_config_selectorItNS0_10empty_typeEEEZZNS1_27merge_sort_block_merge_implIS3_N6thrust23THRUST_200600_302600_NS6detail15normal_iteratorINS9_10device_ptrItEEEEPS5_jNS1_19radix_merge_compareILb0ELb0EtNS0_19identity_decomposerEEEEE10hipError_tT0_T1_T2_jT3_P12ihipStream_tbPNSt15iterator_traitsISK_E10value_typeEPNSQ_ISL_E10value_typeEPSM_NS1_7vsmem_tEENKUlT_SK_SL_SM_E_clIPtSE_SF_SF_EESJ_SZ_SK_SL_SM_EUlSZ_E0_NS1_11comp_targetILNS1_3genE0ELNS1_11target_archE4294967295ELNS1_3gpuE0ELNS1_3repE0EEENS1_38merge_mergepath_config_static_selectorELNS0_4arch9wavefront6targetE1EEEvSL_
	.globl	_ZN7rocprim17ROCPRIM_400000_NS6detail17trampoline_kernelINS0_14default_configENS1_38merge_sort_block_merge_config_selectorItNS0_10empty_typeEEEZZNS1_27merge_sort_block_merge_implIS3_N6thrust23THRUST_200600_302600_NS6detail15normal_iteratorINS9_10device_ptrItEEEEPS5_jNS1_19radix_merge_compareILb0ELb0EtNS0_19identity_decomposerEEEEE10hipError_tT0_T1_T2_jT3_P12ihipStream_tbPNSt15iterator_traitsISK_E10value_typeEPNSQ_ISL_E10value_typeEPSM_NS1_7vsmem_tEENKUlT_SK_SL_SM_E_clIPtSE_SF_SF_EESJ_SZ_SK_SL_SM_EUlSZ_E0_NS1_11comp_targetILNS1_3genE0ELNS1_11target_archE4294967295ELNS1_3gpuE0ELNS1_3repE0EEENS1_38merge_mergepath_config_static_selectorELNS0_4arch9wavefront6targetE1EEEvSL_
	.p2align	8
	.type	_ZN7rocprim17ROCPRIM_400000_NS6detail17trampoline_kernelINS0_14default_configENS1_38merge_sort_block_merge_config_selectorItNS0_10empty_typeEEEZZNS1_27merge_sort_block_merge_implIS3_N6thrust23THRUST_200600_302600_NS6detail15normal_iteratorINS9_10device_ptrItEEEEPS5_jNS1_19radix_merge_compareILb0ELb0EtNS0_19identity_decomposerEEEEE10hipError_tT0_T1_T2_jT3_P12ihipStream_tbPNSt15iterator_traitsISK_E10value_typeEPNSQ_ISL_E10value_typeEPSM_NS1_7vsmem_tEENKUlT_SK_SL_SM_E_clIPtSE_SF_SF_EESJ_SZ_SK_SL_SM_EUlSZ_E0_NS1_11comp_targetILNS1_3genE0ELNS1_11target_archE4294967295ELNS1_3gpuE0ELNS1_3repE0EEENS1_38merge_mergepath_config_static_selectorELNS0_4arch9wavefront6targetE1EEEvSL_,@function
_ZN7rocprim17ROCPRIM_400000_NS6detail17trampoline_kernelINS0_14default_configENS1_38merge_sort_block_merge_config_selectorItNS0_10empty_typeEEEZZNS1_27merge_sort_block_merge_implIS3_N6thrust23THRUST_200600_302600_NS6detail15normal_iteratorINS9_10device_ptrItEEEEPS5_jNS1_19radix_merge_compareILb0ELb0EtNS0_19identity_decomposerEEEEE10hipError_tT0_T1_T2_jT3_P12ihipStream_tbPNSt15iterator_traitsISK_E10value_typeEPNSQ_ISL_E10value_typeEPSM_NS1_7vsmem_tEENKUlT_SK_SL_SM_E_clIPtSE_SF_SF_EESJ_SZ_SK_SL_SM_EUlSZ_E0_NS1_11comp_targetILNS1_3genE0ELNS1_11target_archE4294967295ELNS1_3gpuE0ELNS1_3repE0EEENS1_38merge_mergepath_config_static_selectorELNS0_4arch9wavefront6targetE1EEEvSL_: ; @_ZN7rocprim17ROCPRIM_400000_NS6detail17trampoline_kernelINS0_14default_configENS1_38merge_sort_block_merge_config_selectorItNS0_10empty_typeEEEZZNS1_27merge_sort_block_merge_implIS3_N6thrust23THRUST_200600_302600_NS6detail15normal_iteratorINS9_10device_ptrItEEEEPS5_jNS1_19radix_merge_compareILb0ELb0EtNS0_19identity_decomposerEEEEE10hipError_tT0_T1_T2_jT3_P12ihipStream_tbPNSt15iterator_traitsISK_E10value_typeEPNSQ_ISL_E10value_typeEPSM_NS1_7vsmem_tEENKUlT_SK_SL_SM_E_clIPtSE_SF_SF_EESJ_SZ_SK_SL_SM_EUlSZ_E0_NS1_11comp_targetILNS1_3genE0ELNS1_11target_archE4294967295ELNS1_3gpuE0ELNS1_3repE0EEENS1_38merge_mergepath_config_static_selectorELNS0_4arch9wavefront6targetE1EEEvSL_
; %bb.0:
	.section	.rodata,"a",@progbits
	.p2align	6, 0x0
	.amdhsa_kernel _ZN7rocprim17ROCPRIM_400000_NS6detail17trampoline_kernelINS0_14default_configENS1_38merge_sort_block_merge_config_selectorItNS0_10empty_typeEEEZZNS1_27merge_sort_block_merge_implIS3_N6thrust23THRUST_200600_302600_NS6detail15normal_iteratorINS9_10device_ptrItEEEEPS5_jNS1_19radix_merge_compareILb0ELb0EtNS0_19identity_decomposerEEEEE10hipError_tT0_T1_T2_jT3_P12ihipStream_tbPNSt15iterator_traitsISK_E10value_typeEPNSQ_ISL_E10value_typeEPSM_NS1_7vsmem_tEENKUlT_SK_SL_SM_E_clIPtSE_SF_SF_EESJ_SZ_SK_SL_SM_EUlSZ_E0_NS1_11comp_targetILNS1_3genE0ELNS1_11target_archE4294967295ELNS1_3gpuE0ELNS1_3repE0EEENS1_38merge_mergepath_config_static_selectorELNS0_4arch9wavefront6targetE1EEEvSL_
		.amdhsa_group_segment_fixed_size 0
		.amdhsa_private_segment_fixed_size 0
		.amdhsa_kernarg_size 64
		.amdhsa_user_sgpr_count 2
		.amdhsa_user_sgpr_dispatch_ptr 0
		.amdhsa_user_sgpr_queue_ptr 0
		.amdhsa_user_sgpr_kernarg_segment_ptr 1
		.amdhsa_user_sgpr_dispatch_id 0
		.amdhsa_user_sgpr_kernarg_preload_length 0
		.amdhsa_user_sgpr_kernarg_preload_offset 0
		.amdhsa_user_sgpr_private_segment_size 0
		.amdhsa_uses_dynamic_stack 0
		.amdhsa_enable_private_segment 0
		.amdhsa_system_sgpr_workgroup_id_x 1
		.amdhsa_system_sgpr_workgroup_id_y 0
		.amdhsa_system_sgpr_workgroup_id_z 0
		.amdhsa_system_sgpr_workgroup_info 0
		.amdhsa_system_vgpr_workitem_id 0
		.amdhsa_next_free_vgpr 1
		.amdhsa_next_free_sgpr 0
		.amdhsa_accum_offset 4
		.amdhsa_reserve_vcc 0
		.amdhsa_float_round_mode_32 0
		.amdhsa_float_round_mode_16_64 0
		.amdhsa_float_denorm_mode_32 3
		.amdhsa_float_denorm_mode_16_64 3
		.amdhsa_dx10_clamp 1
		.amdhsa_ieee_mode 1
		.amdhsa_fp16_overflow 0
		.amdhsa_tg_split 0
		.amdhsa_exception_fp_ieee_invalid_op 0
		.amdhsa_exception_fp_denorm_src 0
		.amdhsa_exception_fp_ieee_div_zero 0
		.amdhsa_exception_fp_ieee_overflow 0
		.amdhsa_exception_fp_ieee_underflow 0
		.amdhsa_exception_fp_ieee_inexact 0
		.amdhsa_exception_int_div_zero 0
	.end_amdhsa_kernel
	.section	.text._ZN7rocprim17ROCPRIM_400000_NS6detail17trampoline_kernelINS0_14default_configENS1_38merge_sort_block_merge_config_selectorItNS0_10empty_typeEEEZZNS1_27merge_sort_block_merge_implIS3_N6thrust23THRUST_200600_302600_NS6detail15normal_iteratorINS9_10device_ptrItEEEEPS5_jNS1_19radix_merge_compareILb0ELb0EtNS0_19identity_decomposerEEEEE10hipError_tT0_T1_T2_jT3_P12ihipStream_tbPNSt15iterator_traitsISK_E10value_typeEPNSQ_ISL_E10value_typeEPSM_NS1_7vsmem_tEENKUlT_SK_SL_SM_E_clIPtSE_SF_SF_EESJ_SZ_SK_SL_SM_EUlSZ_E0_NS1_11comp_targetILNS1_3genE0ELNS1_11target_archE4294967295ELNS1_3gpuE0ELNS1_3repE0EEENS1_38merge_mergepath_config_static_selectorELNS0_4arch9wavefront6targetE1EEEvSL_,"axG",@progbits,_ZN7rocprim17ROCPRIM_400000_NS6detail17trampoline_kernelINS0_14default_configENS1_38merge_sort_block_merge_config_selectorItNS0_10empty_typeEEEZZNS1_27merge_sort_block_merge_implIS3_N6thrust23THRUST_200600_302600_NS6detail15normal_iteratorINS9_10device_ptrItEEEEPS5_jNS1_19radix_merge_compareILb0ELb0EtNS0_19identity_decomposerEEEEE10hipError_tT0_T1_T2_jT3_P12ihipStream_tbPNSt15iterator_traitsISK_E10value_typeEPNSQ_ISL_E10value_typeEPSM_NS1_7vsmem_tEENKUlT_SK_SL_SM_E_clIPtSE_SF_SF_EESJ_SZ_SK_SL_SM_EUlSZ_E0_NS1_11comp_targetILNS1_3genE0ELNS1_11target_archE4294967295ELNS1_3gpuE0ELNS1_3repE0EEENS1_38merge_mergepath_config_static_selectorELNS0_4arch9wavefront6targetE1EEEvSL_,comdat
.Lfunc_end1214:
	.size	_ZN7rocprim17ROCPRIM_400000_NS6detail17trampoline_kernelINS0_14default_configENS1_38merge_sort_block_merge_config_selectorItNS0_10empty_typeEEEZZNS1_27merge_sort_block_merge_implIS3_N6thrust23THRUST_200600_302600_NS6detail15normal_iteratorINS9_10device_ptrItEEEEPS5_jNS1_19radix_merge_compareILb0ELb0EtNS0_19identity_decomposerEEEEE10hipError_tT0_T1_T2_jT3_P12ihipStream_tbPNSt15iterator_traitsISK_E10value_typeEPNSQ_ISL_E10value_typeEPSM_NS1_7vsmem_tEENKUlT_SK_SL_SM_E_clIPtSE_SF_SF_EESJ_SZ_SK_SL_SM_EUlSZ_E0_NS1_11comp_targetILNS1_3genE0ELNS1_11target_archE4294967295ELNS1_3gpuE0ELNS1_3repE0EEENS1_38merge_mergepath_config_static_selectorELNS0_4arch9wavefront6targetE1EEEvSL_, .Lfunc_end1214-_ZN7rocprim17ROCPRIM_400000_NS6detail17trampoline_kernelINS0_14default_configENS1_38merge_sort_block_merge_config_selectorItNS0_10empty_typeEEEZZNS1_27merge_sort_block_merge_implIS3_N6thrust23THRUST_200600_302600_NS6detail15normal_iteratorINS9_10device_ptrItEEEEPS5_jNS1_19radix_merge_compareILb0ELb0EtNS0_19identity_decomposerEEEEE10hipError_tT0_T1_T2_jT3_P12ihipStream_tbPNSt15iterator_traitsISK_E10value_typeEPNSQ_ISL_E10value_typeEPSM_NS1_7vsmem_tEENKUlT_SK_SL_SM_E_clIPtSE_SF_SF_EESJ_SZ_SK_SL_SM_EUlSZ_E0_NS1_11comp_targetILNS1_3genE0ELNS1_11target_archE4294967295ELNS1_3gpuE0ELNS1_3repE0EEENS1_38merge_mergepath_config_static_selectorELNS0_4arch9wavefront6targetE1EEEvSL_
                                        ; -- End function
	.section	.AMDGPU.csdata,"",@progbits
; Kernel info:
; codeLenInByte = 0
; NumSgprs: 6
; NumVgprs: 0
; NumAgprs: 0
; TotalNumVgprs: 0
; ScratchSize: 0
; MemoryBound: 0
; FloatMode: 240
; IeeeMode: 1
; LDSByteSize: 0 bytes/workgroup (compile time only)
; SGPRBlocks: 0
; VGPRBlocks: 0
; NumSGPRsForWavesPerEU: 6
; NumVGPRsForWavesPerEU: 1
; AccumOffset: 4
; Occupancy: 8
; WaveLimiterHint : 0
; COMPUTE_PGM_RSRC2:SCRATCH_EN: 0
; COMPUTE_PGM_RSRC2:USER_SGPR: 2
; COMPUTE_PGM_RSRC2:TRAP_HANDLER: 0
; COMPUTE_PGM_RSRC2:TGID_X_EN: 1
; COMPUTE_PGM_RSRC2:TGID_Y_EN: 0
; COMPUTE_PGM_RSRC2:TGID_Z_EN: 0
; COMPUTE_PGM_RSRC2:TIDIG_COMP_CNT: 0
; COMPUTE_PGM_RSRC3_GFX90A:ACCUM_OFFSET: 0
; COMPUTE_PGM_RSRC3_GFX90A:TG_SPLIT: 0
	.section	.text._ZN7rocprim17ROCPRIM_400000_NS6detail17trampoline_kernelINS0_14default_configENS1_38merge_sort_block_merge_config_selectorItNS0_10empty_typeEEEZZNS1_27merge_sort_block_merge_implIS3_N6thrust23THRUST_200600_302600_NS6detail15normal_iteratorINS9_10device_ptrItEEEEPS5_jNS1_19radix_merge_compareILb0ELb0EtNS0_19identity_decomposerEEEEE10hipError_tT0_T1_T2_jT3_P12ihipStream_tbPNSt15iterator_traitsISK_E10value_typeEPNSQ_ISL_E10value_typeEPSM_NS1_7vsmem_tEENKUlT_SK_SL_SM_E_clIPtSE_SF_SF_EESJ_SZ_SK_SL_SM_EUlSZ_E0_NS1_11comp_targetILNS1_3genE10ELNS1_11target_archE1201ELNS1_3gpuE5ELNS1_3repE0EEENS1_38merge_mergepath_config_static_selectorELNS0_4arch9wavefront6targetE1EEEvSL_,"axG",@progbits,_ZN7rocprim17ROCPRIM_400000_NS6detail17trampoline_kernelINS0_14default_configENS1_38merge_sort_block_merge_config_selectorItNS0_10empty_typeEEEZZNS1_27merge_sort_block_merge_implIS3_N6thrust23THRUST_200600_302600_NS6detail15normal_iteratorINS9_10device_ptrItEEEEPS5_jNS1_19radix_merge_compareILb0ELb0EtNS0_19identity_decomposerEEEEE10hipError_tT0_T1_T2_jT3_P12ihipStream_tbPNSt15iterator_traitsISK_E10value_typeEPNSQ_ISL_E10value_typeEPSM_NS1_7vsmem_tEENKUlT_SK_SL_SM_E_clIPtSE_SF_SF_EESJ_SZ_SK_SL_SM_EUlSZ_E0_NS1_11comp_targetILNS1_3genE10ELNS1_11target_archE1201ELNS1_3gpuE5ELNS1_3repE0EEENS1_38merge_mergepath_config_static_selectorELNS0_4arch9wavefront6targetE1EEEvSL_,comdat
	.protected	_ZN7rocprim17ROCPRIM_400000_NS6detail17trampoline_kernelINS0_14default_configENS1_38merge_sort_block_merge_config_selectorItNS0_10empty_typeEEEZZNS1_27merge_sort_block_merge_implIS3_N6thrust23THRUST_200600_302600_NS6detail15normal_iteratorINS9_10device_ptrItEEEEPS5_jNS1_19radix_merge_compareILb0ELb0EtNS0_19identity_decomposerEEEEE10hipError_tT0_T1_T2_jT3_P12ihipStream_tbPNSt15iterator_traitsISK_E10value_typeEPNSQ_ISL_E10value_typeEPSM_NS1_7vsmem_tEENKUlT_SK_SL_SM_E_clIPtSE_SF_SF_EESJ_SZ_SK_SL_SM_EUlSZ_E0_NS1_11comp_targetILNS1_3genE10ELNS1_11target_archE1201ELNS1_3gpuE5ELNS1_3repE0EEENS1_38merge_mergepath_config_static_selectorELNS0_4arch9wavefront6targetE1EEEvSL_ ; -- Begin function _ZN7rocprim17ROCPRIM_400000_NS6detail17trampoline_kernelINS0_14default_configENS1_38merge_sort_block_merge_config_selectorItNS0_10empty_typeEEEZZNS1_27merge_sort_block_merge_implIS3_N6thrust23THRUST_200600_302600_NS6detail15normal_iteratorINS9_10device_ptrItEEEEPS5_jNS1_19radix_merge_compareILb0ELb0EtNS0_19identity_decomposerEEEEE10hipError_tT0_T1_T2_jT3_P12ihipStream_tbPNSt15iterator_traitsISK_E10value_typeEPNSQ_ISL_E10value_typeEPSM_NS1_7vsmem_tEENKUlT_SK_SL_SM_E_clIPtSE_SF_SF_EESJ_SZ_SK_SL_SM_EUlSZ_E0_NS1_11comp_targetILNS1_3genE10ELNS1_11target_archE1201ELNS1_3gpuE5ELNS1_3repE0EEENS1_38merge_mergepath_config_static_selectorELNS0_4arch9wavefront6targetE1EEEvSL_
	.globl	_ZN7rocprim17ROCPRIM_400000_NS6detail17trampoline_kernelINS0_14default_configENS1_38merge_sort_block_merge_config_selectorItNS0_10empty_typeEEEZZNS1_27merge_sort_block_merge_implIS3_N6thrust23THRUST_200600_302600_NS6detail15normal_iteratorINS9_10device_ptrItEEEEPS5_jNS1_19radix_merge_compareILb0ELb0EtNS0_19identity_decomposerEEEEE10hipError_tT0_T1_T2_jT3_P12ihipStream_tbPNSt15iterator_traitsISK_E10value_typeEPNSQ_ISL_E10value_typeEPSM_NS1_7vsmem_tEENKUlT_SK_SL_SM_E_clIPtSE_SF_SF_EESJ_SZ_SK_SL_SM_EUlSZ_E0_NS1_11comp_targetILNS1_3genE10ELNS1_11target_archE1201ELNS1_3gpuE5ELNS1_3repE0EEENS1_38merge_mergepath_config_static_selectorELNS0_4arch9wavefront6targetE1EEEvSL_
	.p2align	8
	.type	_ZN7rocprim17ROCPRIM_400000_NS6detail17trampoline_kernelINS0_14default_configENS1_38merge_sort_block_merge_config_selectorItNS0_10empty_typeEEEZZNS1_27merge_sort_block_merge_implIS3_N6thrust23THRUST_200600_302600_NS6detail15normal_iteratorINS9_10device_ptrItEEEEPS5_jNS1_19radix_merge_compareILb0ELb0EtNS0_19identity_decomposerEEEEE10hipError_tT0_T1_T2_jT3_P12ihipStream_tbPNSt15iterator_traitsISK_E10value_typeEPNSQ_ISL_E10value_typeEPSM_NS1_7vsmem_tEENKUlT_SK_SL_SM_E_clIPtSE_SF_SF_EESJ_SZ_SK_SL_SM_EUlSZ_E0_NS1_11comp_targetILNS1_3genE10ELNS1_11target_archE1201ELNS1_3gpuE5ELNS1_3repE0EEENS1_38merge_mergepath_config_static_selectorELNS0_4arch9wavefront6targetE1EEEvSL_,@function
_ZN7rocprim17ROCPRIM_400000_NS6detail17trampoline_kernelINS0_14default_configENS1_38merge_sort_block_merge_config_selectorItNS0_10empty_typeEEEZZNS1_27merge_sort_block_merge_implIS3_N6thrust23THRUST_200600_302600_NS6detail15normal_iteratorINS9_10device_ptrItEEEEPS5_jNS1_19radix_merge_compareILb0ELb0EtNS0_19identity_decomposerEEEEE10hipError_tT0_T1_T2_jT3_P12ihipStream_tbPNSt15iterator_traitsISK_E10value_typeEPNSQ_ISL_E10value_typeEPSM_NS1_7vsmem_tEENKUlT_SK_SL_SM_E_clIPtSE_SF_SF_EESJ_SZ_SK_SL_SM_EUlSZ_E0_NS1_11comp_targetILNS1_3genE10ELNS1_11target_archE1201ELNS1_3gpuE5ELNS1_3repE0EEENS1_38merge_mergepath_config_static_selectorELNS0_4arch9wavefront6targetE1EEEvSL_: ; @_ZN7rocprim17ROCPRIM_400000_NS6detail17trampoline_kernelINS0_14default_configENS1_38merge_sort_block_merge_config_selectorItNS0_10empty_typeEEEZZNS1_27merge_sort_block_merge_implIS3_N6thrust23THRUST_200600_302600_NS6detail15normal_iteratorINS9_10device_ptrItEEEEPS5_jNS1_19radix_merge_compareILb0ELb0EtNS0_19identity_decomposerEEEEE10hipError_tT0_T1_T2_jT3_P12ihipStream_tbPNSt15iterator_traitsISK_E10value_typeEPNSQ_ISL_E10value_typeEPSM_NS1_7vsmem_tEENKUlT_SK_SL_SM_E_clIPtSE_SF_SF_EESJ_SZ_SK_SL_SM_EUlSZ_E0_NS1_11comp_targetILNS1_3genE10ELNS1_11target_archE1201ELNS1_3gpuE5ELNS1_3repE0EEENS1_38merge_mergepath_config_static_selectorELNS0_4arch9wavefront6targetE1EEEvSL_
; %bb.0:
	.section	.rodata,"a",@progbits
	.p2align	6, 0x0
	.amdhsa_kernel _ZN7rocprim17ROCPRIM_400000_NS6detail17trampoline_kernelINS0_14default_configENS1_38merge_sort_block_merge_config_selectorItNS0_10empty_typeEEEZZNS1_27merge_sort_block_merge_implIS3_N6thrust23THRUST_200600_302600_NS6detail15normal_iteratorINS9_10device_ptrItEEEEPS5_jNS1_19radix_merge_compareILb0ELb0EtNS0_19identity_decomposerEEEEE10hipError_tT0_T1_T2_jT3_P12ihipStream_tbPNSt15iterator_traitsISK_E10value_typeEPNSQ_ISL_E10value_typeEPSM_NS1_7vsmem_tEENKUlT_SK_SL_SM_E_clIPtSE_SF_SF_EESJ_SZ_SK_SL_SM_EUlSZ_E0_NS1_11comp_targetILNS1_3genE10ELNS1_11target_archE1201ELNS1_3gpuE5ELNS1_3repE0EEENS1_38merge_mergepath_config_static_selectorELNS0_4arch9wavefront6targetE1EEEvSL_
		.amdhsa_group_segment_fixed_size 0
		.amdhsa_private_segment_fixed_size 0
		.amdhsa_kernarg_size 64
		.amdhsa_user_sgpr_count 2
		.amdhsa_user_sgpr_dispatch_ptr 0
		.amdhsa_user_sgpr_queue_ptr 0
		.amdhsa_user_sgpr_kernarg_segment_ptr 1
		.amdhsa_user_sgpr_dispatch_id 0
		.amdhsa_user_sgpr_kernarg_preload_length 0
		.amdhsa_user_sgpr_kernarg_preload_offset 0
		.amdhsa_user_sgpr_private_segment_size 0
		.amdhsa_uses_dynamic_stack 0
		.amdhsa_enable_private_segment 0
		.amdhsa_system_sgpr_workgroup_id_x 1
		.amdhsa_system_sgpr_workgroup_id_y 0
		.amdhsa_system_sgpr_workgroup_id_z 0
		.amdhsa_system_sgpr_workgroup_info 0
		.amdhsa_system_vgpr_workitem_id 0
		.amdhsa_next_free_vgpr 1
		.amdhsa_next_free_sgpr 0
		.amdhsa_accum_offset 4
		.amdhsa_reserve_vcc 0
		.amdhsa_float_round_mode_32 0
		.amdhsa_float_round_mode_16_64 0
		.amdhsa_float_denorm_mode_32 3
		.amdhsa_float_denorm_mode_16_64 3
		.amdhsa_dx10_clamp 1
		.amdhsa_ieee_mode 1
		.amdhsa_fp16_overflow 0
		.amdhsa_tg_split 0
		.amdhsa_exception_fp_ieee_invalid_op 0
		.amdhsa_exception_fp_denorm_src 0
		.amdhsa_exception_fp_ieee_div_zero 0
		.amdhsa_exception_fp_ieee_overflow 0
		.amdhsa_exception_fp_ieee_underflow 0
		.amdhsa_exception_fp_ieee_inexact 0
		.amdhsa_exception_int_div_zero 0
	.end_amdhsa_kernel
	.section	.text._ZN7rocprim17ROCPRIM_400000_NS6detail17trampoline_kernelINS0_14default_configENS1_38merge_sort_block_merge_config_selectorItNS0_10empty_typeEEEZZNS1_27merge_sort_block_merge_implIS3_N6thrust23THRUST_200600_302600_NS6detail15normal_iteratorINS9_10device_ptrItEEEEPS5_jNS1_19radix_merge_compareILb0ELb0EtNS0_19identity_decomposerEEEEE10hipError_tT0_T1_T2_jT3_P12ihipStream_tbPNSt15iterator_traitsISK_E10value_typeEPNSQ_ISL_E10value_typeEPSM_NS1_7vsmem_tEENKUlT_SK_SL_SM_E_clIPtSE_SF_SF_EESJ_SZ_SK_SL_SM_EUlSZ_E0_NS1_11comp_targetILNS1_3genE10ELNS1_11target_archE1201ELNS1_3gpuE5ELNS1_3repE0EEENS1_38merge_mergepath_config_static_selectorELNS0_4arch9wavefront6targetE1EEEvSL_,"axG",@progbits,_ZN7rocprim17ROCPRIM_400000_NS6detail17trampoline_kernelINS0_14default_configENS1_38merge_sort_block_merge_config_selectorItNS0_10empty_typeEEEZZNS1_27merge_sort_block_merge_implIS3_N6thrust23THRUST_200600_302600_NS6detail15normal_iteratorINS9_10device_ptrItEEEEPS5_jNS1_19radix_merge_compareILb0ELb0EtNS0_19identity_decomposerEEEEE10hipError_tT0_T1_T2_jT3_P12ihipStream_tbPNSt15iterator_traitsISK_E10value_typeEPNSQ_ISL_E10value_typeEPSM_NS1_7vsmem_tEENKUlT_SK_SL_SM_E_clIPtSE_SF_SF_EESJ_SZ_SK_SL_SM_EUlSZ_E0_NS1_11comp_targetILNS1_3genE10ELNS1_11target_archE1201ELNS1_3gpuE5ELNS1_3repE0EEENS1_38merge_mergepath_config_static_selectorELNS0_4arch9wavefront6targetE1EEEvSL_,comdat
.Lfunc_end1215:
	.size	_ZN7rocprim17ROCPRIM_400000_NS6detail17trampoline_kernelINS0_14default_configENS1_38merge_sort_block_merge_config_selectorItNS0_10empty_typeEEEZZNS1_27merge_sort_block_merge_implIS3_N6thrust23THRUST_200600_302600_NS6detail15normal_iteratorINS9_10device_ptrItEEEEPS5_jNS1_19radix_merge_compareILb0ELb0EtNS0_19identity_decomposerEEEEE10hipError_tT0_T1_T2_jT3_P12ihipStream_tbPNSt15iterator_traitsISK_E10value_typeEPNSQ_ISL_E10value_typeEPSM_NS1_7vsmem_tEENKUlT_SK_SL_SM_E_clIPtSE_SF_SF_EESJ_SZ_SK_SL_SM_EUlSZ_E0_NS1_11comp_targetILNS1_3genE10ELNS1_11target_archE1201ELNS1_3gpuE5ELNS1_3repE0EEENS1_38merge_mergepath_config_static_selectorELNS0_4arch9wavefront6targetE1EEEvSL_, .Lfunc_end1215-_ZN7rocprim17ROCPRIM_400000_NS6detail17trampoline_kernelINS0_14default_configENS1_38merge_sort_block_merge_config_selectorItNS0_10empty_typeEEEZZNS1_27merge_sort_block_merge_implIS3_N6thrust23THRUST_200600_302600_NS6detail15normal_iteratorINS9_10device_ptrItEEEEPS5_jNS1_19radix_merge_compareILb0ELb0EtNS0_19identity_decomposerEEEEE10hipError_tT0_T1_T2_jT3_P12ihipStream_tbPNSt15iterator_traitsISK_E10value_typeEPNSQ_ISL_E10value_typeEPSM_NS1_7vsmem_tEENKUlT_SK_SL_SM_E_clIPtSE_SF_SF_EESJ_SZ_SK_SL_SM_EUlSZ_E0_NS1_11comp_targetILNS1_3genE10ELNS1_11target_archE1201ELNS1_3gpuE5ELNS1_3repE0EEENS1_38merge_mergepath_config_static_selectorELNS0_4arch9wavefront6targetE1EEEvSL_
                                        ; -- End function
	.section	.AMDGPU.csdata,"",@progbits
; Kernel info:
; codeLenInByte = 0
; NumSgprs: 6
; NumVgprs: 0
; NumAgprs: 0
; TotalNumVgprs: 0
; ScratchSize: 0
; MemoryBound: 0
; FloatMode: 240
; IeeeMode: 1
; LDSByteSize: 0 bytes/workgroup (compile time only)
; SGPRBlocks: 0
; VGPRBlocks: 0
; NumSGPRsForWavesPerEU: 6
; NumVGPRsForWavesPerEU: 1
; AccumOffset: 4
; Occupancy: 8
; WaveLimiterHint : 0
; COMPUTE_PGM_RSRC2:SCRATCH_EN: 0
; COMPUTE_PGM_RSRC2:USER_SGPR: 2
; COMPUTE_PGM_RSRC2:TRAP_HANDLER: 0
; COMPUTE_PGM_RSRC2:TGID_X_EN: 1
; COMPUTE_PGM_RSRC2:TGID_Y_EN: 0
; COMPUTE_PGM_RSRC2:TGID_Z_EN: 0
; COMPUTE_PGM_RSRC2:TIDIG_COMP_CNT: 0
; COMPUTE_PGM_RSRC3_GFX90A:ACCUM_OFFSET: 0
; COMPUTE_PGM_RSRC3_GFX90A:TG_SPLIT: 0
	.section	.text._ZN7rocprim17ROCPRIM_400000_NS6detail17trampoline_kernelINS0_14default_configENS1_38merge_sort_block_merge_config_selectorItNS0_10empty_typeEEEZZNS1_27merge_sort_block_merge_implIS3_N6thrust23THRUST_200600_302600_NS6detail15normal_iteratorINS9_10device_ptrItEEEEPS5_jNS1_19radix_merge_compareILb0ELb0EtNS0_19identity_decomposerEEEEE10hipError_tT0_T1_T2_jT3_P12ihipStream_tbPNSt15iterator_traitsISK_E10value_typeEPNSQ_ISL_E10value_typeEPSM_NS1_7vsmem_tEENKUlT_SK_SL_SM_E_clIPtSE_SF_SF_EESJ_SZ_SK_SL_SM_EUlSZ_E0_NS1_11comp_targetILNS1_3genE5ELNS1_11target_archE942ELNS1_3gpuE9ELNS1_3repE0EEENS1_38merge_mergepath_config_static_selectorELNS0_4arch9wavefront6targetE1EEEvSL_,"axG",@progbits,_ZN7rocprim17ROCPRIM_400000_NS6detail17trampoline_kernelINS0_14default_configENS1_38merge_sort_block_merge_config_selectorItNS0_10empty_typeEEEZZNS1_27merge_sort_block_merge_implIS3_N6thrust23THRUST_200600_302600_NS6detail15normal_iteratorINS9_10device_ptrItEEEEPS5_jNS1_19radix_merge_compareILb0ELb0EtNS0_19identity_decomposerEEEEE10hipError_tT0_T1_T2_jT3_P12ihipStream_tbPNSt15iterator_traitsISK_E10value_typeEPNSQ_ISL_E10value_typeEPSM_NS1_7vsmem_tEENKUlT_SK_SL_SM_E_clIPtSE_SF_SF_EESJ_SZ_SK_SL_SM_EUlSZ_E0_NS1_11comp_targetILNS1_3genE5ELNS1_11target_archE942ELNS1_3gpuE9ELNS1_3repE0EEENS1_38merge_mergepath_config_static_selectorELNS0_4arch9wavefront6targetE1EEEvSL_,comdat
	.protected	_ZN7rocprim17ROCPRIM_400000_NS6detail17trampoline_kernelINS0_14default_configENS1_38merge_sort_block_merge_config_selectorItNS0_10empty_typeEEEZZNS1_27merge_sort_block_merge_implIS3_N6thrust23THRUST_200600_302600_NS6detail15normal_iteratorINS9_10device_ptrItEEEEPS5_jNS1_19radix_merge_compareILb0ELb0EtNS0_19identity_decomposerEEEEE10hipError_tT0_T1_T2_jT3_P12ihipStream_tbPNSt15iterator_traitsISK_E10value_typeEPNSQ_ISL_E10value_typeEPSM_NS1_7vsmem_tEENKUlT_SK_SL_SM_E_clIPtSE_SF_SF_EESJ_SZ_SK_SL_SM_EUlSZ_E0_NS1_11comp_targetILNS1_3genE5ELNS1_11target_archE942ELNS1_3gpuE9ELNS1_3repE0EEENS1_38merge_mergepath_config_static_selectorELNS0_4arch9wavefront6targetE1EEEvSL_ ; -- Begin function _ZN7rocprim17ROCPRIM_400000_NS6detail17trampoline_kernelINS0_14default_configENS1_38merge_sort_block_merge_config_selectorItNS0_10empty_typeEEEZZNS1_27merge_sort_block_merge_implIS3_N6thrust23THRUST_200600_302600_NS6detail15normal_iteratorINS9_10device_ptrItEEEEPS5_jNS1_19radix_merge_compareILb0ELb0EtNS0_19identity_decomposerEEEEE10hipError_tT0_T1_T2_jT3_P12ihipStream_tbPNSt15iterator_traitsISK_E10value_typeEPNSQ_ISL_E10value_typeEPSM_NS1_7vsmem_tEENKUlT_SK_SL_SM_E_clIPtSE_SF_SF_EESJ_SZ_SK_SL_SM_EUlSZ_E0_NS1_11comp_targetILNS1_3genE5ELNS1_11target_archE942ELNS1_3gpuE9ELNS1_3repE0EEENS1_38merge_mergepath_config_static_selectorELNS0_4arch9wavefront6targetE1EEEvSL_
	.globl	_ZN7rocprim17ROCPRIM_400000_NS6detail17trampoline_kernelINS0_14default_configENS1_38merge_sort_block_merge_config_selectorItNS0_10empty_typeEEEZZNS1_27merge_sort_block_merge_implIS3_N6thrust23THRUST_200600_302600_NS6detail15normal_iteratorINS9_10device_ptrItEEEEPS5_jNS1_19radix_merge_compareILb0ELb0EtNS0_19identity_decomposerEEEEE10hipError_tT0_T1_T2_jT3_P12ihipStream_tbPNSt15iterator_traitsISK_E10value_typeEPNSQ_ISL_E10value_typeEPSM_NS1_7vsmem_tEENKUlT_SK_SL_SM_E_clIPtSE_SF_SF_EESJ_SZ_SK_SL_SM_EUlSZ_E0_NS1_11comp_targetILNS1_3genE5ELNS1_11target_archE942ELNS1_3gpuE9ELNS1_3repE0EEENS1_38merge_mergepath_config_static_selectorELNS0_4arch9wavefront6targetE1EEEvSL_
	.p2align	8
	.type	_ZN7rocprim17ROCPRIM_400000_NS6detail17trampoline_kernelINS0_14default_configENS1_38merge_sort_block_merge_config_selectorItNS0_10empty_typeEEEZZNS1_27merge_sort_block_merge_implIS3_N6thrust23THRUST_200600_302600_NS6detail15normal_iteratorINS9_10device_ptrItEEEEPS5_jNS1_19radix_merge_compareILb0ELb0EtNS0_19identity_decomposerEEEEE10hipError_tT0_T1_T2_jT3_P12ihipStream_tbPNSt15iterator_traitsISK_E10value_typeEPNSQ_ISL_E10value_typeEPSM_NS1_7vsmem_tEENKUlT_SK_SL_SM_E_clIPtSE_SF_SF_EESJ_SZ_SK_SL_SM_EUlSZ_E0_NS1_11comp_targetILNS1_3genE5ELNS1_11target_archE942ELNS1_3gpuE9ELNS1_3repE0EEENS1_38merge_mergepath_config_static_selectorELNS0_4arch9wavefront6targetE1EEEvSL_,@function
_ZN7rocprim17ROCPRIM_400000_NS6detail17trampoline_kernelINS0_14default_configENS1_38merge_sort_block_merge_config_selectorItNS0_10empty_typeEEEZZNS1_27merge_sort_block_merge_implIS3_N6thrust23THRUST_200600_302600_NS6detail15normal_iteratorINS9_10device_ptrItEEEEPS5_jNS1_19radix_merge_compareILb0ELb0EtNS0_19identity_decomposerEEEEE10hipError_tT0_T1_T2_jT3_P12ihipStream_tbPNSt15iterator_traitsISK_E10value_typeEPNSQ_ISL_E10value_typeEPSM_NS1_7vsmem_tEENKUlT_SK_SL_SM_E_clIPtSE_SF_SF_EESJ_SZ_SK_SL_SM_EUlSZ_E0_NS1_11comp_targetILNS1_3genE5ELNS1_11target_archE942ELNS1_3gpuE9ELNS1_3repE0EEENS1_38merge_mergepath_config_static_selectorELNS0_4arch9wavefront6targetE1EEEvSL_: ; @_ZN7rocprim17ROCPRIM_400000_NS6detail17trampoline_kernelINS0_14default_configENS1_38merge_sort_block_merge_config_selectorItNS0_10empty_typeEEEZZNS1_27merge_sort_block_merge_implIS3_N6thrust23THRUST_200600_302600_NS6detail15normal_iteratorINS9_10device_ptrItEEEEPS5_jNS1_19radix_merge_compareILb0ELb0EtNS0_19identity_decomposerEEEEE10hipError_tT0_T1_T2_jT3_P12ihipStream_tbPNSt15iterator_traitsISK_E10value_typeEPNSQ_ISL_E10value_typeEPSM_NS1_7vsmem_tEENKUlT_SK_SL_SM_E_clIPtSE_SF_SF_EESJ_SZ_SK_SL_SM_EUlSZ_E0_NS1_11comp_targetILNS1_3genE5ELNS1_11target_archE942ELNS1_3gpuE9ELNS1_3repE0EEENS1_38merge_mergepath_config_static_selectorELNS0_4arch9wavefront6targetE1EEEvSL_
; %bb.0:
	s_load_dwordx2 s[12:13], s[0:1], 0x40
	s_load_dword s5, s[0:1], 0x30
	s_add_u32 s8, s0, 64
	s_addc_u32 s9, s1, 0
	s_waitcnt lgkmcnt(0)
	s_mul_i32 s4, s13, s4
	s_add_i32 s3, s4, s3
	s_mul_i32 s3, s3, s12
	s_add_i32 s10, s3, s2
	s_cmp_ge_u32 s10, s5
	s_cbranch_scc1 .LBB1216_43
; %bb.1:
	s_load_dwordx2 s[14:15], s[0:1], 0x28
	s_load_dwordx2 s[4:5], s[0:1], 0x38
	;; [unrolled: 1-line block ×3, first 2 shown]
	s_mov_b32 s11, 0
	v_mov_b32_e32 v7, 0
	s_waitcnt lgkmcnt(0)
	s_lshr_b32 s22, s14, 10
	s_cmp_lg_u32 s10, s22
	s_cselect_b64 s[18:19], -1, 0
	s_lshl_b64 s[16:17], s[10:11], 2
	s_add_u32 s4, s4, s16
	s_addc_u32 s5, s5, s17
	s_lshr_b32 s3, s15, 9
	s_and_b32 s3, s3, 0x7ffffe
	s_load_dwordx2 s[4:5], s[4:5], 0x0
	s_sub_i32 s3, 0, s3
	s_and_b32 s13, s10, s3
	s_lshl_b32 s17, s13, 10
	s_lshl_b32 s16, s10, 10
	;; [unrolled: 1-line block ×3, first 2 shown]
	s_sub_i32 s20, s16, s17
	s_add_i32 s13, s13, s15
	s_add_i32 s21, s13, s20
	s_waitcnt lgkmcnt(0)
	s_sub_i32 s20, s21, s4
	s_sub_i32 s21, s21, s5
	;; [unrolled: 1-line block ×3, first 2 shown]
	s_min_u32 s20, s14, s20
	s_addk_i32 s21, 0x400
	s_or_b32 s3, s10, s3
	s_min_u32 s17, s14, s13
	s_add_i32 s13, s13, s15
	s_cmp_eq_u32 s3, -1
	s_cselect_b32 s3, s13, s21
	s_cselect_b32 s5, s17, s5
	s_min_u32 s3, s3, s14
	s_sub_i32 s15, s5, s4
	s_mov_b32 s5, s11
	s_sub_i32 s13, s3, s20
	s_lshl_b64 s[4:5], s[4:5], 1
	s_add_u32 s4, s6, s4
	s_mov_b32 s21, s11
	s_addc_u32 s5, s7, s5
	s_lshl_b64 s[20:21], s[20:21], 1
	s_add_u32 s6, s6, s20
	s_addc_u32 s7, s7, s21
	s_cmp_lt_u32 s2, s12
	s_cselect_b32 s2, 12, 18
	global_load_dword v1, v7, s[8:9] offset:14
	s_add_u32 s2, s8, s2
	s_addc_u32 s3, s9, 0
	global_load_ushort v2, v7, s[2:3]
	s_cmp_eq_u32 s10, s22
	v_lshlrev_b32_e32 v6, 1, v0
	s_waitcnt vmcnt(1)
	v_lshrrev_b32_e32 v3, 16, v1
	v_and_b32_e32 v1, 0xffff, v1
	v_mul_lo_u32 v1, v1, v3
	s_waitcnt vmcnt(0)
	v_mul_lo_u32 v1, v1, v2
	v_add_u32_e32 v10, v1, v0
	v_add_u32_e32 v8, v10, v1
	s_cbranch_scc1 .LBB1216_3
; %bb.2:
	v_subrev_u32_e32 v4, s15, v0
	v_mov_b32_e32 v5, v7
	v_lshl_add_u64 v[2:3], s[4:5], 0, v[6:7]
	v_lshl_add_u64 v[4:5], v[4:5], 1, s[6:7]
	v_cmp_gt_u32_e32 vcc, s15, v0
	v_mov_b32_e32 v11, v7
	v_mov_b32_e32 v9, v7
	v_cndmask_b32_e32 v3, v5, v3, vcc
	v_cndmask_b32_e32 v2, v4, v2, vcc
	v_subrev_u32_e32 v4, s15, v10
	v_mov_b32_e32 v5, v7
	global_load_ushort v14, v[2:3], off
	v_lshl_add_u64 v[2:3], v[10:11], 1, s[4:5]
	v_lshl_add_u64 v[4:5], v[4:5], 1, s[6:7]
	v_cmp_gt_u32_e32 vcc, s15, v10
	v_mov_b32_e32 v13, v7
	s_mov_b32 s2, 0x5040100
	v_cndmask_b32_e32 v3, v5, v3, vcc
	v_cndmask_b32_e32 v2, v4, v2, vcc
	v_subrev_u32_e32 v4, s15, v8
	v_mov_b32_e32 v5, v7
	global_load_ushort v11, v[2:3], off
	v_lshl_add_u64 v[2:3], v[8:9], 1, s[4:5]
	v_lshl_add_u64 v[4:5], v[4:5], 1, s[6:7]
	v_cmp_gt_u32_e32 vcc, s15, v8
	s_add_i32 s17, s13, s15
	s_nop 0
	v_cndmask_b32_e32 v3, v5, v3, vcc
	v_cndmask_b32_e32 v2, v4, v2, vcc
	global_load_ushort v9, v[2:3], off
	v_add_u32_e32 v2, v8, v1
	v_mov_b32_e32 v3, v7
	v_subrev_u32_e32 v12, s15, v2
	v_lshl_add_u64 v[4:5], v[2:3], 1, s[4:5]
	v_lshl_add_u64 v[12:13], v[12:13], 1, s[6:7]
	v_cmp_gt_u32_e32 vcc, s15, v2
	v_add_u32_e32 v2, v2, v1
	s_nop 0
	v_cndmask_b32_e32 v5, v13, v5, vcc
	v_cndmask_b32_e32 v4, v12, v4, vcc
	v_subrev_u32_e32 v12, s15, v2
	v_mov_b32_e32 v13, v7
	global_load_ushort v15, v[4:5], off
	v_lshl_add_u64 v[4:5], v[2:3], 1, s[4:5]
	v_lshl_add_u64 v[12:13], v[12:13], 1, s[6:7]
	v_cmp_gt_u32_e32 vcc, s15, v2
	v_add_u32_e32 v2, v2, v1
	s_nop 0
	v_cndmask_b32_e32 v5, v13, v5, vcc
	v_cndmask_b32_e32 v4, v12, v4, vcc
	v_subrev_u32_e32 v12, s15, v2
	v_mov_b32_e32 v13, v7
	global_load_ushort v16, v[4:5], off
	;; [unrolled: 10-line block ×4, first 2 shown]
	v_lshl_add_u64 v[4:5], v[2:3], 1, s[4:5]
	v_lshl_add_u64 v[12:13], v[12:13], 1, s[6:7]
	v_cmp_gt_u32_e32 vcc, s15, v2
	s_nop 1
	v_cndmask_b32_e32 v3, v13, v5, vcc
	v_cndmask_b32_e32 v2, v12, v4, vcc
	global_load_ushort v5, v[2:3], off
	s_waitcnt vmcnt(6)
	v_perm_b32 v2, v11, v14, s2
	s_waitcnt vmcnt(4)
	v_perm_b32 v3, v15, v9, s2
	s_waitcnt vmcnt(2)
	v_perm_b32 v4, v17, v16, s2
	s_waitcnt vmcnt(0)
	v_perm_b32 v5, v5, v18, s2
	s_load_dwordx2 s[20:21], s[0:1], 0x10
	s_cbranch_execz .LBB1216_4
	s_branch .LBB1216_19
.LBB1216_3:
                                        ; implicit-def: $vgpr2_vgpr3_vgpr4_vgpr5
                                        ; implicit-def: $sgpr17
	s_load_dwordx2 s[20:21], s[0:1], 0x10
.LBB1216_4:
	s_add_i32 s17, s13, s15
	v_cmp_gt_u32_e32 vcc, s17, v0
                                        ; implicit-def: $vgpr2_vgpr3_vgpr4_vgpr5
	s_and_saveexec_b64 s[0:1], vcc
	s_cbranch_execnz .LBB1216_44
; %bb.5:
	s_or_b64 exec, exec, s[0:1]
	v_cmp_gt_u32_e32 vcc, s17, v10
	s_and_saveexec_b64 s[0:1], vcc
	s_cbranch_execnz .LBB1216_45
.LBB1216_6:
	s_or_b64 exec, exec, s[0:1]
	v_cmp_gt_u32_e32 vcc, s17, v8
	s_and_saveexec_b64 s[0:1], vcc
	s_cbranch_execz .LBB1216_8
.LBB1216_7:
	v_mov_b32_e32 v9, 0
	v_subrev_u32_e32 v12, s15, v8
	v_mov_b32_e32 v13, v9
	v_lshl_add_u64 v[10:11], v[8:9], 1, s[4:5]
	v_lshl_add_u64 v[12:13], v[12:13], 1, s[6:7]
	v_cmp_gt_u32_e32 vcc, s15, v8
	s_mov_b32 s2, 0xffff
	s_nop 0
	v_cndmask_b32_e32 v11, v13, v11, vcc
	v_cndmask_b32_e32 v10, v12, v10, vcc
	global_load_ushort v7, v[10:11], off
	s_waitcnt vmcnt(0)
	v_bfi_b32 v3, s2, v7, v3
.LBB1216_8:
	s_or_b64 exec, exec, s[0:1]
	v_add_u32_e32 v8, v8, v1
	v_cmp_gt_u32_e32 vcc, s17, v8
	s_and_saveexec_b64 s[0:1], vcc
	s_cbranch_execz .LBB1216_10
; %bb.9:
	v_mov_b32_e32 v9, 0
	v_subrev_u32_e32 v12, s15, v8
	v_mov_b32_e32 v13, v9
	v_lshl_add_u64 v[10:11], v[8:9], 1, s[4:5]
	v_lshl_add_u64 v[12:13], v[12:13], 1, s[6:7]
	v_cmp_gt_u32_e32 vcc, s15, v8
	s_mov_b32 s2, 0x5040100
	s_nop 0
	v_cndmask_b32_e32 v11, v13, v11, vcc
	v_cndmask_b32_e32 v10, v12, v10, vcc
	global_load_ushort v7, v[10:11], off
	s_waitcnt vmcnt(0)
	v_perm_b32 v3, v7, v3, s2
.LBB1216_10:
	s_or_b64 exec, exec, s[0:1]
	v_add_u32_e32 v8, v8, v1
	v_cmp_gt_u32_e32 vcc, s17, v8
	s_and_saveexec_b64 s[0:1], vcc
	s_cbranch_execz .LBB1216_12
; %bb.11:
	v_mov_b32_e32 v9, 0
	v_subrev_u32_e32 v12, s15, v8
	v_mov_b32_e32 v13, v9
	v_lshl_add_u64 v[10:11], v[8:9], 1, s[4:5]
	v_lshl_add_u64 v[12:13], v[12:13], 1, s[6:7]
	v_cmp_gt_u32_e32 vcc, s15, v8
	s_mov_b32 s2, 0xffff
	s_nop 0
	v_cndmask_b32_e32 v11, v13, v11, vcc
	v_cndmask_b32_e32 v10, v12, v10, vcc
	global_load_ushort v7, v[10:11], off
	s_waitcnt vmcnt(0)
	v_bfi_b32 v4, s2, v7, v4
.LBB1216_12:
	s_or_b64 exec, exec, s[0:1]
	v_add_u32_e32 v8, v8, v1
	v_cmp_gt_u32_e32 vcc, s17, v8
	s_and_saveexec_b64 s[0:1], vcc
	s_cbranch_execz .LBB1216_14
; %bb.13:
	v_mov_b32_e32 v9, 0
	v_subrev_u32_e32 v12, s15, v8
	v_mov_b32_e32 v13, v9
	v_lshl_add_u64 v[10:11], v[8:9], 1, s[4:5]
	v_lshl_add_u64 v[12:13], v[12:13], 1, s[6:7]
	v_cmp_gt_u32_e32 vcc, s15, v8
	s_mov_b32 s2, 0x5040100
	s_nop 0
	v_cndmask_b32_e32 v11, v13, v11, vcc
	v_cndmask_b32_e32 v10, v12, v10, vcc
	global_load_ushort v7, v[10:11], off
	s_waitcnt vmcnt(0)
	v_perm_b32 v4, v7, v4, s2
.LBB1216_14:
	s_or_b64 exec, exec, s[0:1]
	v_add_u32_e32 v8, v8, v1
	v_cmp_gt_u32_e32 vcc, s17, v8
	s_and_saveexec_b64 s[0:1], vcc
	s_cbranch_execz .LBB1216_16
; %bb.15:
	v_mov_b32_e32 v9, 0
	v_subrev_u32_e32 v12, s15, v8
	v_mov_b32_e32 v13, v9
	v_lshl_add_u64 v[10:11], v[8:9], 1, s[4:5]
	v_lshl_add_u64 v[12:13], v[12:13], 1, s[6:7]
	v_cmp_gt_u32_e32 vcc, s15, v8
	s_mov_b32 s2, 0xffff
	s_nop 0
	v_cndmask_b32_e32 v11, v13, v11, vcc
	v_cndmask_b32_e32 v10, v12, v10, vcc
	global_load_ushort v7, v[10:11], off
	s_waitcnt vmcnt(0)
	v_bfi_b32 v5, s2, v7, v5
.LBB1216_16:
	s_or_b64 exec, exec, s[0:1]
	v_add_u32_e32 v8, v8, v1
	v_cmp_gt_u32_e32 vcc, s17, v8
	s_and_saveexec_b64 s[0:1], vcc
	s_cbranch_execz .LBB1216_18
; %bb.17:
	v_mov_b32_e32 v9, 0
	v_lshl_add_u64 v[10:11], v[8:9], 1, s[4:5]
	v_cmp_gt_u32_e32 vcc, s15, v8
	v_subrev_u32_e32 v8, s15, v8
	v_lshl_add_u64 v[8:9], v[8:9], 1, s[6:7]
	v_cndmask_b32_e32 v9, v9, v11, vcc
	v_cndmask_b32_e32 v8, v8, v10, vcc
	global_load_ushort v1, v[8:9], off
	s_mov_b32 s2, 0x5040100
	s_waitcnt vmcnt(0)
	v_perm_b32 v5, v1, v5, s2
.LBB1216_18:
	s_or_b64 exec, exec, s[0:1]
.LBB1216_19:
	v_lshlrev_b32_e32 v1, 3, v0
	v_min_u32_e32 v12, s17, v1
	v_sub_u32_e64 v11, v12, s13 clamp
	v_min_u32_e32 v13, s15, v12
	s_waitcnt vmcnt(0)
	v_lshrrev_b32_e32 v7, 16, v2
	v_lshrrev_b32_e32 v8, 16, v3
	;; [unrolled: 1-line block ×4, first 2 shown]
	v_cmp_lt_u32_e32 vcc, v11, v13
	ds_write_b16 v6, v2
	ds_write_b16 v6, v7 offset:256
	ds_write_b16 v6, v3 offset:512
	;; [unrolled: 1-line block ×7, first 2 shown]
	s_waitcnt lgkmcnt(0)
	s_barrier
	s_and_saveexec_b64 s[0:1], vcc
	s_cbranch_execz .LBB1216_23
; %bb.20:
	v_lshlrev_b32_e32 v14, 1, v12
	v_lshl_add_u32 v14, s15, 1, v14
	s_mov_b64 s[2:3], 0
.LBB1216_21:                            ; =>This Inner Loop Header: Depth=1
	v_add_u32_e32 v15, v13, v11
	v_lshrrev_b32_e32 v16, 1, v15
	v_not_b32_e32 v17, v16
	v_and_b32_e32 v15, -2, v15
	v_lshl_add_u32 v17, v17, 1, v14
	ds_read_u16 v15, v15
	ds_read_u16 v17, v17
	v_add_u32_e32 v18, 1, v16
	s_waitcnt lgkmcnt(0)
	v_cmp_gt_u16_e32 vcc, v15, v17
	s_nop 1
	v_cndmask_b32_e32 v13, v13, v16, vcc
	v_cndmask_b32_e32 v11, v18, v11, vcc
	v_cmp_ge_u32_e32 vcc, v11, v13
	s_or_b64 s[2:3], vcc, s[2:3]
	s_andn2_b64 exec, exec, s[2:3]
	s_cbranch_execnz .LBB1216_21
; %bb.22:
	s_or_b64 exec, exec, s[2:3]
.LBB1216_23:
	s_or_b64 exec, exec, s[0:1]
	v_sub_u32_e32 v12, v12, v11
	v_add_u32_e32 v12, s15, v12
	v_cmp_ge_u32_e32 vcc, s15, v11
	v_cmp_ge_u32_e64 s[0:1], s17, v12
	s_or_b64 s[0:1], vcc, s[0:1]
	s_and_saveexec_b64 s[22:23], s[0:1]
	s_cbranch_execz .LBB1216_29
; %bb.24:
	v_cmp_gt_u32_e32 vcc, s15, v11
                                        ; implicit-def: $vgpr2
	s_and_saveexec_b64 s[0:1], vcc
	s_cbranch_execz .LBB1216_26
; %bb.25:
	v_lshlrev_b32_e32 v2, 1, v11
	ds_read_u16 v2, v2
.LBB1216_26:
	s_or_b64 exec, exec, s[0:1]
	v_cmp_le_u32_e64 s[0:1], s17, v12
	v_cmp_gt_u32_e64 s[2:3], s17, v12
                                        ; implicit-def: $vgpr3
	s_and_saveexec_b64 s[4:5], s[2:3]
	s_cbranch_execz .LBB1216_28
; %bb.27:
	v_lshlrev_b32_e32 v3, 1, v12
	ds_read_u16 v3, v3
.LBB1216_28:
	s_or_b64 exec, exec, s[4:5]
	s_waitcnt lgkmcnt(0)
	v_cmp_le_u16_e64 s[2:3], v2, v3
	s_and_b64 s[2:3], vcc, s[2:3]
	s_or_b64 vcc, s[0:1], s[2:3]
	v_mov_b32_e32 v5, s17
	v_mov_b32_e32 v8, s15
	v_cndmask_b32_e32 v4, v12, v11, vcc
	v_cndmask_b32_e32 v7, v5, v8, vcc
	v_add_u32_e32 v4, 1, v4
	v_add_u32_e32 v7, -1, v7
	v_min_u32_e32 v7, v4, v7
	v_lshlrev_b32_e32 v7, 1, v7
	ds_read_u16 v7, v7
	v_cndmask_b32_e32 v10, v4, v12, vcc
	v_cndmask_b32_e32 v4, v11, v4, vcc
	v_cmp_gt_u32_e64 s[2:3], s15, v4
	v_cmp_le_u32_e64 s[0:1], s17, v10
	s_waitcnt lgkmcnt(0)
	v_cndmask_b32_e32 v9, v7, v3, vcc
	v_cndmask_b32_e32 v7, v2, v7, vcc
	v_cmp_le_u16_e64 s[4:5], v7, v9
	s_and_b64 s[2:3], s[2:3], s[4:5]
	s_or_b64 s[0:1], s[0:1], s[2:3]
	v_cndmask_b32_e64 v11, v10, v4, s[0:1]
	v_cndmask_b32_e64 v12, v5, v8, s[0:1]
	v_add_u32_e32 v11, 1, v11
	v_add_u32_e32 v12, -1, v12
	v_min_u32_e32 v12, v11, v12
	v_lshlrev_b32_e32 v12, 1, v12
	ds_read_u16 v12, v12
	v_cndmask_b32_e64 v4, v4, v11, s[0:1]
	v_cndmask_b32_e64 v10, v11, v10, s[0:1]
	v_cmp_gt_u32_e64 s[4:5], s15, v4
	v_cmp_le_u32_e64 s[2:3], s17, v10
	s_waitcnt lgkmcnt(0)
	v_cndmask_b32_e64 v13, v12, v9, s[0:1]
	v_cndmask_b32_e64 v12, v7, v12, s[0:1]
	v_cmp_le_u16_e64 s[6:7], v12, v13
	s_and_b64 s[4:5], s[4:5], s[6:7]
	s_or_b64 s[2:3], s[2:3], s[4:5]
	v_cndmask_b32_e64 v11, v10, v4, s[2:3]
	v_cndmask_b32_e64 v14, v5, v8, s[2:3]
	v_add_u32_e32 v11, 1, v11
	v_add_u32_e32 v14, -1, v14
	v_min_u32_e32 v14, v11, v14
	v_lshlrev_b32_e32 v14, 1, v14
	ds_read_u16 v14, v14
	v_cndmask_b32_e64 v4, v4, v11, s[2:3]
	v_cndmask_b32_e64 v10, v11, v10, s[2:3]
	v_cmp_gt_u32_e64 s[6:7], s15, v4
	v_cmp_le_u32_e64 s[4:5], s17, v10
	s_waitcnt lgkmcnt(0)
	v_cndmask_b32_e64 v15, v14, v13, s[2:3]
	v_cndmask_b32_e64 v14, v12, v14, s[2:3]
	;; [unrolled: 17-line block ×4, first 2 shown]
	v_cmp_le_u16_e64 s[12:13], v18, v19
	s_and_b64 s[10:11], s[10:11], s[12:13]
	s_or_b64 s[8:9], s[8:9], s[10:11]
	v_cndmask_b32_e64 v11, v10, v4, s[8:9]
	v_cndmask_b32_e64 v20, v5, v8, s[8:9]
	v_add_u32_e32 v11, 1, v11
	v_add_u32_e32 v20, -1, v20
	v_min_u32_e32 v20, v11, v20
	v_lshlrev_b32_e32 v20, 1, v20
	ds_read_u16 v20, v20
	v_cndmask_b32_e32 v2, v3, v2, vcc
	v_cndmask_b32_e64 v3, v13, v12, s[2:3]
	v_cndmask_b32_e64 v10, v11, v10, s[8:9]
	;; [unrolled: 1-line block ×3, first 2 shown]
	s_waitcnt lgkmcnt(0)
	v_cndmask_b32_e64 v12, v20, v19, s[8:9]
	v_cndmask_b32_e64 v13, v18, v20, s[8:9]
	;; [unrolled: 1-line block ×3, first 2 shown]
	v_cmp_gt_u32_e64 s[0:1], s15, v11
	v_cmp_le_u16_e64 s[2:3], v13, v12
	v_cmp_le_u32_e32 vcc, s17, v10
	s_and_b64 s[0:1], s[0:1], s[2:3]
	s_or_b64 vcc, vcc, s[0:1]
	v_cndmask_b32_e32 v4, v10, v11, vcc
	v_cndmask_b32_e32 v5, v5, v8, vcc
	v_add_u32_e32 v20, 1, v4
	v_add_u32_e32 v4, -1, v5
	v_min_u32_e32 v4, v20, v4
	v_lshlrev_b32_e32 v4, 1, v4
	ds_read_u16 v21, v4
	v_cndmask_b32_e32 v5, v12, v13, vcc
	v_cndmask_b32_e32 v11, v11, v20, vcc
	;; [unrolled: 1-line block ×3, first 2 shown]
	v_cmp_gt_u32_e64 s[0:1], s15, v11
	s_waitcnt lgkmcnt(0)
	v_cndmask_b32_e32 v12, v21, v12, vcc
	v_cndmask_b32_e32 v13, v13, v21, vcc
	v_cmp_le_u16_e64 s[2:3], v13, v12
	v_cmp_le_u32_e32 vcc, s17, v10
	s_and_b64 s[0:1], s[0:1], s[2:3]
	s_or_b64 vcc, vcc, s[0:1]
	v_cndmask_b32_e64 v8, v15, v14, s[4:5]
	v_cndmask_b32_e64 v4, v17, v16, s[6:7]
	;; [unrolled: 1-line block ×3, first 2 shown]
	v_cndmask_b32_e32 v10, v12, v13, vcc
.LBB1216_29:
	s_or_b64 exec, exec, s[22:23]
	s_mov_b32 s17, 0
	s_lshl_b64 s[0:1], s[16:17], 1
	v_lshrrev_b32_e32 v11, 2, v0
	s_add_u32 s2, s20, s0
	v_and_b32_e32 v11, 30, v11
	s_mov_b32 s0, 0x5040100
	v_add_lshl_u32 v1, v11, v1, 1
	v_perm_b32 v3, v8, v3, s0
	v_perm_b32 v2, v7, v2, s0
	s_barrier
	s_barrier
	ds_write2_b32 v1, v2, v3 offset1:1
	v_perm_b32 v2, v10, v5, s0
	v_perm_b32 v3, v9, v4, s0
	ds_write2_b32 v1, v3, v2 offset0:2 offset1:3
	v_lshrrev_b32_e32 v1, 4, v0
	v_and_b32_e32 v1, 4, v1
	v_or_b32_e32 v11, 0x80, v0
	v_add_u32_e32 v12, v6, v1
	v_lshrrev_b32_e32 v1, 4, v11
	v_and_b32_e32 v1, 12, v1
	v_or_b32_e32 v10, 0x100, v0
	v_add_u32_e32 v13, v6, v1
	v_lshrrev_b32_e32 v1, 4, v10
	v_and_b32_e32 v1, 20, v1
	v_or_b32_e32 v9, 0x180, v0
	v_add_u32_e32 v14, v6, v1
	v_lshrrev_b32_e32 v1, 4, v9
	v_and_b32_e32 v1, 28, v1
	v_or_b32_e32 v8, 0x200, v0
	v_add_u32_e32 v15, v6, v1
	v_lshrrev_b32_e32 v1, 4, v8
	v_and_b32_e32 v1, 36, v1
	v_or_b32_e32 v5, 0x280, v0
	v_add_u32_e32 v16, v6, v1
	v_lshrrev_b32_e32 v1, 4, v5
	v_and_b32_e32 v1, 44, v1
	v_or_b32_e32 v4, 0x300, v0
	v_add_u32_e32 v17, v6, v1
	v_lshrrev_b32_e32 v1, 4, v4
	v_and_b32_e32 v1, 52, v1
	v_add_u32_e32 v18, v6, v1
	v_or_b32_e32 v1, 0x380, v0
	v_lshrrev_b32_e32 v2, 4, v1
	s_addc_u32 s3, s21, s1
	v_and_b32_e32 v2, 60, v2
	v_mov_b32_e32 v7, 0
	v_add_u32_e32 v19, v6, v2
	v_lshl_add_u64 v[2:3], s[2:3], 0, v[6:7]
	s_and_b64 vcc, exec, s[18:19]
	s_waitcnt lgkmcnt(0)
	s_cbranch_vccz .LBB1216_31
; %bb.30:
	s_barrier
	ds_read_u16 v6, v12
	ds_read_u16 v7, v13 offset:256
	ds_read_u16 v20, v14 offset:512
	;; [unrolled: 1-line block ×7, first 2 shown]
	s_waitcnt lgkmcnt(7)
	global_store_short v[2:3], v6, off
	s_waitcnt lgkmcnt(6)
	global_store_short v[2:3], v7, off offset:256
	s_waitcnt lgkmcnt(5)
	global_store_short v[2:3], v20, off offset:512
	;; [unrolled: 2-line block ×6, first 2 shown]
	s_waitcnt lgkmcnt(0)
	v_perm_b32 v6, v25, v24, s0
	s_mov_b64 s[0:1], -1
	s_cbranch_execz .LBB1216_32
	s_branch .LBB1216_41
.LBB1216_31:
	s_mov_b64 s[0:1], 0
                                        ; implicit-def: $vgpr6
.LBB1216_32:
	s_barrier
	ds_read_u16 v22, v12
	ds_read_u16 v21, v13 offset:256
	ds_read_u16 v20, v14 offset:512
	;; [unrolled: 1-line block ×7, first 2 shown]
	s_sub_i32 s2, s14, s16
	v_cmp_gt_u32_e32 vcc, s2, v0
	s_and_saveexec_b64 s[0:1], vcc
	s_cbranch_execnz .LBB1216_46
; %bb.33:
	s_or_b64 exec, exec, s[0:1]
	v_cmp_gt_u32_e32 vcc, s2, v11
	s_and_saveexec_b64 s[0:1], vcc
	s_cbranch_execnz .LBB1216_47
.LBB1216_34:
	s_or_b64 exec, exec, s[0:1]
	v_cmp_gt_u32_e32 vcc, s2, v10
	s_and_saveexec_b64 s[0:1], vcc
	s_cbranch_execnz .LBB1216_48
.LBB1216_35:
	s_or_b64 exec, exec, s[0:1]
	v_cmp_gt_u32_e32 vcc, s2, v9
	s_and_saveexec_b64 s[0:1], vcc
	s_cbranch_execnz .LBB1216_49
.LBB1216_36:
	s_or_b64 exec, exec, s[0:1]
	v_cmp_gt_u32_e32 vcc, s2, v8
	s_and_saveexec_b64 s[0:1], vcc
	s_cbranch_execnz .LBB1216_50
.LBB1216_37:
	s_or_b64 exec, exec, s[0:1]
	v_cmp_gt_u32_e32 vcc, s2, v5
	s_and_saveexec_b64 s[0:1], vcc
	s_cbranch_execnz .LBB1216_51
.LBB1216_38:
	s_or_b64 exec, exec, s[0:1]
	v_cmp_gt_u32_e32 vcc, s2, v4
	s_and_saveexec_b64 s[0:1], vcc
	s_cbranch_execz .LBB1216_40
.LBB1216_39:
	s_waitcnt lgkmcnt(1)
	global_store_short v[2:3], v6, off offset:1536
.LBB1216_40:
	s_or_b64 exec, exec, s[0:1]
	v_cmp_gt_u32_e64 s[0:1], s2, v1
	s_mov_b32 s2, 0x5040100
	s_waitcnt lgkmcnt(0)
	v_perm_b32 v6, v7, v6, s2
.LBB1216_41:
	s_and_saveexec_b64 s[2:3], s[0:1]
	s_cbranch_execz .LBB1216_43
; %bb.42:
	global_store_short_d16_hi v[2:3], v6, off offset:1792
.LBB1216_43:
	s_endpgm
.LBB1216_44:
	v_mov_b32_e32 v7, 0
	v_subrev_u32_e32 v4, s15, v0
	v_mov_b32_e32 v5, v7
	v_lshl_add_u64 v[2:3], s[4:5], 0, v[6:7]
	v_lshl_add_u64 v[4:5], v[4:5], 1, s[6:7]
	v_cmp_gt_u32_e32 vcc, s15, v0
	s_nop 1
	v_cndmask_b32_e32 v3, v5, v3, vcc
	v_cndmask_b32_e32 v2, v4, v2, vcc
	global_load_ushort v2, v[2:3], off
	s_or_b64 exec, exec, s[0:1]
	v_cmp_gt_u32_e32 vcc, s17, v10
	s_and_saveexec_b64 s[0:1], vcc
	s_cbranch_execz .LBB1216_6
.LBB1216_45:
	v_mov_b32_e32 v11, 0
	v_lshl_add_u64 v[12:13], v[10:11], 1, s[4:5]
	v_cmp_gt_u32_e32 vcc, s15, v10
	v_subrev_u32_e32 v10, s15, v10
	v_lshl_add_u64 v[10:11], v[10:11], 1, s[6:7]
	v_cndmask_b32_e32 v11, v11, v13, vcc
	v_cndmask_b32_e32 v10, v10, v12, vcc
	global_load_ushort v7, v[10:11], off
	s_mov_b32 s2, 0x5040100
	s_waitcnt vmcnt(0)
	v_perm_b32 v2, v7, v2, s2
	s_or_b64 exec, exec, s[0:1]
	v_cmp_gt_u32_e32 vcc, s17, v8
	s_and_saveexec_b64 s[0:1], vcc
	s_cbranch_execnz .LBB1216_7
	s_branch .LBB1216_8
.LBB1216_46:
	s_waitcnt lgkmcnt(7)
	global_store_short v[2:3], v22, off
	s_or_b64 exec, exec, s[0:1]
	v_cmp_gt_u32_e32 vcc, s2, v11
	s_and_saveexec_b64 s[0:1], vcc
	s_cbranch_execz .LBB1216_34
.LBB1216_47:
	s_waitcnt lgkmcnt(6)
	global_store_short v[2:3], v21, off offset:256
	s_or_b64 exec, exec, s[0:1]
	v_cmp_gt_u32_e32 vcc, s2, v10
	s_and_saveexec_b64 s[0:1], vcc
	s_cbranch_execz .LBB1216_35
.LBB1216_48:
	s_waitcnt lgkmcnt(5)
	global_store_short v[2:3], v20, off offset:512
	s_or_b64 exec, exec, s[0:1]
	v_cmp_gt_u32_e32 vcc, s2, v9
	s_and_saveexec_b64 s[0:1], vcc
	s_cbranch_execz .LBB1216_36
.LBB1216_49:
	s_waitcnt lgkmcnt(4)
	global_store_short v[2:3], v14, off offset:768
	s_or_b64 exec, exec, s[0:1]
	v_cmp_gt_u32_e32 vcc, s2, v8
	s_and_saveexec_b64 s[0:1], vcc
	s_cbranch_execz .LBB1216_37
.LBB1216_50:
	s_waitcnt lgkmcnt(3)
	global_store_short v[2:3], v13, off offset:1024
	s_or_b64 exec, exec, s[0:1]
	v_cmp_gt_u32_e32 vcc, s2, v5
	s_and_saveexec_b64 s[0:1], vcc
	s_cbranch_execz .LBB1216_38
.LBB1216_51:
	s_waitcnt lgkmcnt(2)
	global_store_short v[2:3], v12, off offset:1280
	s_or_b64 exec, exec, s[0:1]
	v_cmp_gt_u32_e32 vcc, s2, v4
	s_and_saveexec_b64 s[0:1], vcc
	s_cbranch_execnz .LBB1216_39
	s_branch .LBB1216_40
	.section	.rodata,"a",@progbits
	.p2align	6, 0x0
	.amdhsa_kernel _ZN7rocprim17ROCPRIM_400000_NS6detail17trampoline_kernelINS0_14default_configENS1_38merge_sort_block_merge_config_selectorItNS0_10empty_typeEEEZZNS1_27merge_sort_block_merge_implIS3_N6thrust23THRUST_200600_302600_NS6detail15normal_iteratorINS9_10device_ptrItEEEEPS5_jNS1_19radix_merge_compareILb0ELb0EtNS0_19identity_decomposerEEEEE10hipError_tT0_T1_T2_jT3_P12ihipStream_tbPNSt15iterator_traitsISK_E10value_typeEPNSQ_ISL_E10value_typeEPSM_NS1_7vsmem_tEENKUlT_SK_SL_SM_E_clIPtSE_SF_SF_EESJ_SZ_SK_SL_SM_EUlSZ_E0_NS1_11comp_targetILNS1_3genE5ELNS1_11target_archE942ELNS1_3gpuE9ELNS1_3repE0EEENS1_38merge_mergepath_config_static_selectorELNS0_4arch9wavefront6targetE1EEEvSL_
		.amdhsa_group_segment_fixed_size 2112
		.amdhsa_private_segment_fixed_size 0
		.amdhsa_kernarg_size 320
		.amdhsa_user_sgpr_count 2
		.amdhsa_user_sgpr_dispatch_ptr 0
		.amdhsa_user_sgpr_queue_ptr 0
		.amdhsa_user_sgpr_kernarg_segment_ptr 1
		.amdhsa_user_sgpr_dispatch_id 0
		.amdhsa_user_sgpr_kernarg_preload_length 0
		.amdhsa_user_sgpr_kernarg_preload_offset 0
		.amdhsa_user_sgpr_private_segment_size 0
		.amdhsa_uses_dynamic_stack 0
		.amdhsa_enable_private_segment 0
		.amdhsa_system_sgpr_workgroup_id_x 1
		.amdhsa_system_sgpr_workgroup_id_y 1
		.amdhsa_system_sgpr_workgroup_id_z 1
		.amdhsa_system_sgpr_workgroup_info 0
		.amdhsa_system_vgpr_workitem_id 0
		.amdhsa_next_free_vgpr 26
		.amdhsa_next_free_sgpr 24
		.amdhsa_accum_offset 28
		.amdhsa_reserve_vcc 1
		.amdhsa_float_round_mode_32 0
		.amdhsa_float_round_mode_16_64 0
		.amdhsa_float_denorm_mode_32 3
		.amdhsa_float_denorm_mode_16_64 3
		.amdhsa_dx10_clamp 1
		.amdhsa_ieee_mode 1
		.amdhsa_fp16_overflow 0
		.amdhsa_tg_split 0
		.amdhsa_exception_fp_ieee_invalid_op 0
		.amdhsa_exception_fp_denorm_src 0
		.amdhsa_exception_fp_ieee_div_zero 0
		.amdhsa_exception_fp_ieee_overflow 0
		.amdhsa_exception_fp_ieee_underflow 0
		.amdhsa_exception_fp_ieee_inexact 0
		.amdhsa_exception_int_div_zero 0
	.end_amdhsa_kernel
	.section	.text._ZN7rocprim17ROCPRIM_400000_NS6detail17trampoline_kernelINS0_14default_configENS1_38merge_sort_block_merge_config_selectorItNS0_10empty_typeEEEZZNS1_27merge_sort_block_merge_implIS3_N6thrust23THRUST_200600_302600_NS6detail15normal_iteratorINS9_10device_ptrItEEEEPS5_jNS1_19radix_merge_compareILb0ELb0EtNS0_19identity_decomposerEEEEE10hipError_tT0_T1_T2_jT3_P12ihipStream_tbPNSt15iterator_traitsISK_E10value_typeEPNSQ_ISL_E10value_typeEPSM_NS1_7vsmem_tEENKUlT_SK_SL_SM_E_clIPtSE_SF_SF_EESJ_SZ_SK_SL_SM_EUlSZ_E0_NS1_11comp_targetILNS1_3genE5ELNS1_11target_archE942ELNS1_3gpuE9ELNS1_3repE0EEENS1_38merge_mergepath_config_static_selectorELNS0_4arch9wavefront6targetE1EEEvSL_,"axG",@progbits,_ZN7rocprim17ROCPRIM_400000_NS6detail17trampoline_kernelINS0_14default_configENS1_38merge_sort_block_merge_config_selectorItNS0_10empty_typeEEEZZNS1_27merge_sort_block_merge_implIS3_N6thrust23THRUST_200600_302600_NS6detail15normal_iteratorINS9_10device_ptrItEEEEPS5_jNS1_19radix_merge_compareILb0ELb0EtNS0_19identity_decomposerEEEEE10hipError_tT0_T1_T2_jT3_P12ihipStream_tbPNSt15iterator_traitsISK_E10value_typeEPNSQ_ISL_E10value_typeEPSM_NS1_7vsmem_tEENKUlT_SK_SL_SM_E_clIPtSE_SF_SF_EESJ_SZ_SK_SL_SM_EUlSZ_E0_NS1_11comp_targetILNS1_3genE5ELNS1_11target_archE942ELNS1_3gpuE9ELNS1_3repE0EEENS1_38merge_mergepath_config_static_selectorELNS0_4arch9wavefront6targetE1EEEvSL_,comdat
.Lfunc_end1216:
	.size	_ZN7rocprim17ROCPRIM_400000_NS6detail17trampoline_kernelINS0_14default_configENS1_38merge_sort_block_merge_config_selectorItNS0_10empty_typeEEEZZNS1_27merge_sort_block_merge_implIS3_N6thrust23THRUST_200600_302600_NS6detail15normal_iteratorINS9_10device_ptrItEEEEPS5_jNS1_19radix_merge_compareILb0ELb0EtNS0_19identity_decomposerEEEEE10hipError_tT0_T1_T2_jT3_P12ihipStream_tbPNSt15iterator_traitsISK_E10value_typeEPNSQ_ISL_E10value_typeEPSM_NS1_7vsmem_tEENKUlT_SK_SL_SM_E_clIPtSE_SF_SF_EESJ_SZ_SK_SL_SM_EUlSZ_E0_NS1_11comp_targetILNS1_3genE5ELNS1_11target_archE942ELNS1_3gpuE9ELNS1_3repE0EEENS1_38merge_mergepath_config_static_selectorELNS0_4arch9wavefront6targetE1EEEvSL_, .Lfunc_end1216-_ZN7rocprim17ROCPRIM_400000_NS6detail17trampoline_kernelINS0_14default_configENS1_38merge_sort_block_merge_config_selectorItNS0_10empty_typeEEEZZNS1_27merge_sort_block_merge_implIS3_N6thrust23THRUST_200600_302600_NS6detail15normal_iteratorINS9_10device_ptrItEEEEPS5_jNS1_19radix_merge_compareILb0ELb0EtNS0_19identity_decomposerEEEEE10hipError_tT0_T1_T2_jT3_P12ihipStream_tbPNSt15iterator_traitsISK_E10value_typeEPNSQ_ISL_E10value_typeEPSM_NS1_7vsmem_tEENKUlT_SK_SL_SM_E_clIPtSE_SF_SF_EESJ_SZ_SK_SL_SM_EUlSZ_E0_NS1_11comp_targetILNS1_3genE5ELNS1_11target_archE942ELNS1_3gpuE9ELNS1_3repE0EEENS1_38merge_mergepath_config_static_selectorELNS0_4arch9wavefront6targetE1EEEvSL_
                                        ; -- End function
	.section	.AMDGPU.csdata,"",@progbits
; Kernel info:
; codeLenInByte = 3544
; NumSgprs: 30
; NumVgprs: 26
; NumAgprs: 0
; TotalNumVgprs: 26
; ScratchSize: 0
; MemoryBound: 0
; FloatMode: 240
; IeeeMode: 1
; LDSByteSize: 2112 bytes/workgroup (compile time only)
; SGPRBlocks: 3
; VGPRBlocks: 3
; NumSGPRsForWavesPerEU: 30
; NumVGPRsForWavesPerEU: 26
; AccumOffset: 28
; Occupancy: 8
; WaveLimiterHint : 1
; COMPUTE_PGM_RSRC2:SCRATCH_EN: 0
; COMPUTE_PGM_RSRC2:USER_SGPR: 2
; COMPUTE_PGM_RSRC2:TRAP_HANDLER: 0
; COMPUTE_PGM_RSRC2:TGID_X_EN: 1
; COMPUTE_PGM_RSRC2:TGID_Y_EN: 1
; COMPUTE_PGM_RSRC2:TGID_Z_EN: 1
; COMPUTE_PGM_RSRC2:TIDIG_COMP_CNT: 0
; COMPUTE_PGM_RSRC3_GFX90A:ACCUM_OFFSET: 6
; COMPUTE_PGM_RSRC3_GFX90A:TG_SPLIT: 0
	.section	.text._ZN7rocprim17ROCPRIM_400000_NS6detail17trampoline_kernelINS0_14default_configENS1_38merge_sort_block_merge_config_selectorItNS0_10empty_typeEEEZZNS1_27merge_sort_block_merge_implIS3_N6thrust23THRUST_200600_302600_NS6detail15normal_iteratorINS9_10device_ptrItEEEEPS5_jNS1_19radix_merge_compareILb0ELb0EtNS0_19identity_decomposerEEEEE10hipError_tT0_T1_T2_jT3_P12ihipStream_tbPNSt15iterator_traitsISK_E10value_typeEPNSQ_ISL_E10value_typeEPSM_NS1_7vsmem_tEENKUlT_SK_SL_SM_E_clIPtSE_SF_SF_EESJ_SZ_SK_SL_SM_EUlSZ_E0_NS1_11comp_targetILNS1_3genE4ELNS1_11target_archE910ELNS1_3gpuE8ELNS1_3repE0EEENS1_38merge_mergepath_config_static_selectorELNS0_4arch9wavefront6targetE1EEEvSL_,"axG",@progbits,_ZN7rocprim17ROCPRIM_400000_NS6detail17trampoline_kernelINS0_14default_configENS1_38merge_sort_block_merge_config_selectorItNS0_10empty_typeEEEZZNS1_27merge_sort_block_merge_implIS3_N6thrust23THRUST_200600_302600_NS6detail15normal_iteratorINS9_10device_ptrItEEEEPS5_jNS1_19radix_merge_compareILb0ELb0EtNS0_19identity_decomposerEEEEE10hipError_tT0_T1_T2_jT3_P12ihipStream_tbPNSt15iterator_traitsISK_E10value_typeEPNSQ_ISL_E10value_typeEPSM_NS1_7vsmem_tEENKUlT_SK_SL_SM_E_clIPtSE_SF_SF_EESJ_SZ_SK_SL_SM_EUlSZ_E0_NS1_11comp_targetILNS1_3genE4ELNS1_11target_archE910ELNS1_3gpuE8ELNS1_3repE0EEENS1_38merge_mergepath_config_static_selectorELNS0_4arch9wavefront6targetE1EEEvSL_,comdat
	.protected	_ZN7rocprim17ROCPRIM_400000_NS6detail17trampoline_kernelINS0_14default_configENS1_38merge_sort_block_merge_config_selectorItNS0_10empty_typeEEEZZNS1_27merge_sort_block_merge_implIS3_N6thrust23THRUST_200600_302600_NS6detail15normal_iteratorINS9_10device_ptrItEEEEPS5_jNS1_19radix_merge_compareILb0ELb0EtNS0_19identity_decomposerEEEEE10hipError_tT0_T1_T2_jT3_P12ihipStream_tbPNSt15iterator_traitsISK_E10value_typeEPNSQ_ISL_E10value_typeEPSM_NS1_7vsmem_tEENKUlT_SK_SL_SM_E_clIPtSE_SF_SF_EESJ_SZ_SK_SL_SM_EUlSZ_E0_NS1_11comp_targetILNS1_3genE4ELNS1_11target_archE910ELNS1_3gpuE8ELNS1_3repE0EEENS1_38merge_mergepath_config_static_selectorELNS0_4arch9wavefront6targetE1EEEvSL_ ; -- Begin function _ZN7rocprim17ROCPRIM_400000_NS6detail17trampoline_kernelINS0_14default_configENS1_38merge_sort_block_merge_config_selectorItNS0_10empty_typeEEEZZNS1_27merge_sort_block_merge_implIS3_N6thrust23THRUST_200600_302600_NS6detail15normal_iteratorINS9_10device_ptrItEEEEPS5_jNS1_19radix_merge_compareILb0ELb0EtNS0_19identity_decomposerEEEEE10hipError_tT0_T1_T2_jT3_P12ihipStream_tbPNSt15iterator_traitsISK_E10value_typeEPNSQ_ISL_E10value_typeEPSM_NS1_7vsmem_tEENKUlT_SK_SL_SM_E_clIPtSE_SF_SF_EESJ_SZ_SK_SL_SM_EUlSZ_E0_NS1_11comp_targetILNS1_3genE4ELNS1_11target_archE910ELNS1_3gpuE8ELNS1_3repE0EEENS1_38merge_mergepath_config_static_selectorELNS0_4arch9wavefront6targetE1EEEvSL_
	.globl	_ZN7rocprim17ROCPRIM_400000_NS6detail17trampoline_kernelINS0_14default_configENS1_38merge_sort_block_merge_config_selectorItNS0_10empty_typeEEEZZNS1_27merge_sort_block_merge_implIS3_N6thrust23THRUST_200600_302600_NS6detail15normal_iteratorINS9_10device_ptrItEEEEPS5_jNS1_19radix_merge_compareILb0ELb0EtNS0_19identity_decomposerEEEEE10hipError_tT0_T1_T2_jT3_P12ihipStream_tbPNSt15iterator_traitsISK_E10value_typeEPNSQ_ISL_E10value_typeEPSM_NS1_7vsmem_tEENKUlT_SK_SL_SM_E_clIPtSE_SF_SF_EESJ_SZ_SK_SL_SM_EUlSZ_E0_NS1_11comp_targetILNS1_3genE4ELNS1_11target_archE910ELNS1_3gpuE8ELNS1_3repE0EEENS1_38merge_mergepath_config_static_selectorELNS0_4arch9wavefront6targetE1EEEvSL_
	.p2align	8
	.type	_ZN7rocprim17ROCPRIM_400000_NS6detail17trampoline_kernelINS0_14default_configENS1_38merge_sort_block_merge_config_selectorItNS0_10empty_typeEEEZZNS1_27merge_sort_block_merge_implIS3_N6thrust23THRUST_200600_302600_NS6detail15normal_iteratorINS9_10device_ptrItEEEEPS5_jNS1_19radix_merge_compareILb0ELb0EtNS0_19identity_decomposerEEEEE10hipError_tT0_T1_T2_jT3_P12ihipStream_tbPNSt15iterator_traitsISK_E10value_typeEPNSQ_ISL_E10value_typeEPSM_NS1_7vsmem_tEENKUlT_SK_SL_SM_E_clIPtSE_SF_SF_EESJ_SZ_SK_SL_SM_EUlSZ_E0_NS1_11comp_targetILNS1_3genE4ELNS1_11target_archE910ELNS1_3gpuE8ELNS1_3repE0EEENS1_38merge_mergepath_config_static_selectorELNS0_4arch9wavefront6targetE1EEEvSL_,@function
_ZN7rocprim17ROCPRIM_400000_NS6detail17trampoline_kernelINS0_14default_configENS1_38merge_sort_block_merge_config_selectorItNS0_10empty_typeEEEZZNS1_27merge_sort_block_merge_implIS3_N6thrust23THRUST_200600_302600_NS6detail15normal_iteratorINS9_10device_ptrItEEEEPS5_jNS1_19radix_merge_compareILb0ELb0EtNS0_19identity_decomposerEEEEE10hipError_tT0_T1_T2_jT3_P12ihipStream_tbPNSt15iterator_traitsISK_E10value_typeEPNSQ_ISL_E10value_typeEPSM_NS1_7vsmem_tEENKUlT_SK_SL_SM_E_clIPtSE_SF_SF_EESJ_SZ_SK_SL_SM_EUlSZ_E0_NS1_11comp_targetILNS1_3genE4ELNS1_11target_archE910ELNS1_3gpuE8ELNS1_3repE0EEENS1_38merge_mergepath_config_static_selectorELNS0_4arch9wavefront6targetE1EEEvSL_: ; @_ZN7rocprim17ROCPRIM_400000_NS6detail17trampoline_kernelINS0_14default_configENS1_38merge_sort_block_merge_config_selectorItNS0_10empty_typeEEEZZNS1_27merge_sort_block_merge_implIS3_N6thrust23THRUST_200600_302600_NS6detail15normal_iteratorINS9_10device_ptrItEEEEPS5_jNS1_19radix_merge_compareILb0ELb0EtNS0_19identity_decomposerEEEEE10hipError_tT0_T1_T2_jT3_P12ihipStream_tbPNSt15iterator_traitsISK_E10value_typeEPNSQ_ISL_E10value_typeEPSM_NS1_7vsmem_tEENKUlT_SK_SL_SM_E_clIPtSE_SF_SF_EESJ_SZ_SK_SL_SM_EUlSZ_E0_NS1_11comp_targetILNS1_3genE4ELNS1_11target_archE910ELNS1_3gpuE8ELNS1_3repE0EEENS1_38merge_mergepath_config_static_selectorELNS0_4arch9wavefront6targetE1EEEvSL_
; %bb.0:
	.section	.rodata,"a",@progbits
	.p2align	6, 0x0
	.amdhsa_kernel _ZN7rocprim17ROCPRIM_400000_NS6detail17trampoline_kernelINS0_14default_configENS1_38merge_sort_block_merge_config_selectorItNS0_10empty_typeEEEZZNS1_27merge_sort_block_merge_implIS3_N6thrust23THRUST_200600_302600_NS6detail15normal_iteratorINS9_10device_ptrItEEEEPS5_jNS1_19radix_merge_compareILb0ELb0EtNS0_19identity_decomposerEEEEE10hipError_tT0_T1_T2_jT3_P12ihipStream_tbPNSt15iterator_traitsISK_E10value_typeEPNSQ_ISL_E10value_typeEPSM_NS1_7vsmem_tEENKUlT_SK_SL_SM_E_clIPtSE_SF_SF_EESJ_SZ_SK_SL_SM_EUlSZ_E0_NS1_11comp_targetILNS1_3genE4ELNS1_11target_archE910ELNS1_3gpuE8ELNS1_3repE0EEENS1_38merge_mergepath_config_static_selectorELNS0_4arch9wavefront6targetE1EEEvSL_
		.amdhsa_group_segment_fixed_size 0
		.amdhsa_private_segment_fixed_size 0
		.amdhsa_kernarg_size 64
		.amdhsa_user_sgpr_count 2
		.amdhsa_user_sgpr_dispatch_ptr 0
		.amdhsa_user_sgpr_queue_ptr 0
		.amdhsa_user_sgpr_kernarg_segment_ptr 1
		.amdhsa_user_sgpr_dispatch_id 0
		.amdhsa_user_sgpr_kernarg_preload_length 0
		.amdhsa_user_sgpr_kernarg_preload_offset 0
		.amdhsa_user_sgpr_private_segment_size 0
		.amdhsa_uses_dynamic_stack 0
		.amdhsa_enable_private_segment 0
		.amdhsa_system_sgpr_workgroup_id_x 1
		.amdhsa_system_sgpr_workgroup_id_y 0
		.amdhsa_system_sgpr_workgroup_id_z 0
		.amdhsa_system_sgpr_workgroup_info 0
		.amdhsa_system_vgpr_workitem_id 0
		.amdhsa_next_free_vgpr 1
		.amdhsa_next_free_sgpr 0
		.amdhsa_accum_offset 4
		.amdhsa_reserve_vcc 0
		.amdhsa_float_round_mode_32 0
		.amdhsa_float_round_mode_16_64 0
		.amdhsa_float_denorm_mode_32 3
		.amdhsa_float_denorm_mode_16_64 3
		.amdhsa_dx10_clamp 1
		.amdhsa_ieee_mode 1
		.amdhsa_fp16_overflow 0
		.amdhsa_tg_split 0
		.amdhsa_exception_fp_ieee_invalid_op 0
		.amdhsa_exception_fp_denorm_src 0
		.amdhsa_exception_fp_ieee_div_zero 0
		.amdhsa_exception_fp_ieee_overflow 0
		.amdhsa_exception_fp_ieee_underflow 0
		.amdhsa_exception_fp_ieee_inexact 0
		.amdhsa_exception_int_div_zero 0
	.end_amdhsa_kernel
	.section	.text._ZN7rocprim17ROCPRIM_400000_NS6detail17trampoline_kernelINS0_14default_configENS1_38merge_sort_block_merge_config_selectorItNS0_10empty_typeEEEZZNS1_27merge_sort_block_merge_implIS3_N6thrust23THRUST_200600_302600_NS6detail15normal_iteratorINS9_10device_ptrItEEEEPS5_jNS1_19radix_merge_compareILb0ELb0EtNS0_19identity_decomposerEEEEE10hipError_tT0_T1_T2_jT3_P12ihipStream_tbPNSt15iterator_traitsISK_E10value_typeEPNSQ_ISL_E10value_typeEPSM_NS1_7vsmem_tEENKUlT_SK_SL_SM_E_clIPtSE_SF_SF_EESJ_SZ_SK_SL_SM_EUlSZ_E0_NS1_11comp_targetILNS1_3genE4ELNS1_11target_archE910ELNS1_3gpuE8ELNS1_3repE0EEENS1_38merge_mergepath_config_static_selectorELNS0_4arch9wavefront6targetE1EEEvSL_,"axG",@progbits,_ZN7rocprim17ROCPRIM_400000_NS6detail17trampoline_kernelINS0_14default_configENS1_38merge_sort_block_merge_config_selectorItNS0_10empty_typeEEEZZNS1_27merge_sort_block_merge_implIS3_N6thrust23THRUST_200600_302600_NS6detail15normal_iteratorINS9_10device_ptrItEEEEPS5_jNS1_19radix_merge_compareILb0ELb0EtNS0_19identity_decomposerEEEEE10hipError_tT0_T1_T2_jT3_P12ihipStream_tbPNSt15iterator_traitsISK_E10value_typeEPNSQ_ISL_E10value_typeEPSM_NS1_7vsmem_tEENKUlT_SK_SL_SM_E_clIPtSE_SF_SF_EESJ_SZ_SK_SL_SM_EUlSZ_E0_NS1_11comp_targetILNS1_3genE4ELNS1_11target_archE910ELNS1_3gpuE8ELNS1_3repE0EEENS1_38merge_mergepath_config_static_selectorELNS0_4arch9wavefront6targetE1EEEvSL_,comdat
.Lfunc_end1217:
	.size	_ZN7rocprim17ROCPRIM_400000_NS6detail17trampoline_kernelINS0_14default_configENS1_38merge_sort_block_merge_config_selectorItNS0_10empty_typeEEEZZNS1_27merge_sort_block_merge_implIS3_N6thrust23THRUST_200600_302600_NS6detail15normal_iteratorINS9_10device_ptrItEEEEPS5_jNS1_19radix_merge_compareILb0ELb0EtNS0_19identity_decomposerEEEEE10hipError_tT0_T1_T2_jT3_P12ihipStream_tbPNSt15iterator_traitsISK_E10value_typeEPNSQ_ISL_E10value_typeEPSM_NS1_7vsmem_tEENKUlT_SK_SL_SM_E_clIPtSE_SF_SF_EESJ_SZ_SK_SL_SM_EUlSZ_E0_NS1_11comp_targetILNS1_3genE4ELNS1_11target_archE910ELNS1_3gpuE8ELNS1_3repE0EEENS1_38merge_mergepath_config_static_selectorELNS0_4arch9wavefront6targetE1EEEvSL_, .Lfunc_end1217-_ZN7rocprim17ROCPRIM_400000_NS6detail17trampoline_kernelINS0_14default_configENS1_38merge_sort_block_merge_config_selectorItNS0_10empty_typeEEEZZNS1_27merge_sort_block_merge_implIS3_N6thrust23THRUST_200600_302600_NS6detail15normal_iteratorINS9_10device_ptrItEEEEPS5_jNS1_19radix_merge_compareILb0ELb0EtNS0_19identity_decomposerEEEEE10hipError_tT0_T1_T2_jT3_P12ihipStream_tbPNSt15iterator_traitsISK_E10value_typeEPNSQ_ISL_E10value_typeEPSM_NS1_7vsmem_tEENKUlT_SK_SL_SM_E_clIPtSE_SF_SF_EESJ_SZ_SK_SL_SM_EUlSZ_E0_NS1_11comp_targetILNS1_3genE4ELNS1_11target_archE910ELNS1_3gpuE8ELNS1_3repE0EEENS1_38merge_mergepath_config_static_selectorELNS0_4arch9wavefront6targetE1EEEvSL_
                                        ; -- End function
	.section	.AMDGPU.csdata,"",@progbits
; Kernel info:
; codeLenInByte = 0
; NumSgprs: 6
; NumVgprs: 0
; NumAgprs: 0
; TotalNumVgprs: 0
; ScratchSize: 0
; MemoryBound: 0
; FloatMode: 240
; IeeeMode: 1
; LDSByteSize: 0 bytes/workgroup (compile time only)
; SGPRBlocks: 0
; VGPRBlocks: 0
; NumSGPRsForWavesPerEU: 6
; NumVGPRsForWavesPerEU: 1
; AccumOffset: 4
; Occupancy: 8
; WaveLimiterHint : 0
; COMPUTE_PGM_RSRC2:SCRATCH_EN: 0
; COMPUTE_PGM_RSRC2:USER_SGPR: 2
; COMPUTE_PGM_RSRC2:TRAP_HANDLER: 0
; COMPUTE_PGM_RSRC2:TGID_X_EN: 1
; COMPUTE_PGM_RSRC2:TGID_Y_EN: 0
; COMPUTE_PGM_RSRC2:TGID_Z_EN: 0
; COMPUTE_PGM_RSRC2:TIDIG_COMP_CNT: 0
; COMPUTE_PGM_RSRC3_GFX90A:ACCUM_OFFSET: 0
; COMPUTE_PGM_RSRC3_GFX90A:TG_SPLIT: 0
	.section	.text._ZN7rocprim17ROCPRIM_400000_NS6detail17trampoline_kernelINS0_14default_configENS1_38merge_sort_block_merge_config_selectorItNS0_10empty_typeEEEZZNS1_27merge_sort_block_merge_implIS3_N6thrust23THRUST_200600_302600_NS6detail15normal_iteratorINS9_10device_ptrItEEEEPS5_jNS1_19radix_merge_compareILb0ELb0EtNS0_19identity_decomposerEEEEE10hipError_tT0_T1_T2_jT3_P12ihipStream_tbPNSt15iterator_traitsISK_E10value_typeEPNSQ_ISL_E10value_typeEPSM_NS1_7vsmem_tEENKUlT_SK_SL_SM_E_clIPtSE_SF_SF_EESJ_SZ_SK_SL_SM_EUlSZ_E0_NS1_11comp_targetILNS1_3genE3ELNS1_11target_archE908ELNS1_3gpuE7ELNS1_3repE0EEENS1_38merge_mergepath_config_static_selectorELNS0_4arch9wavefront6targetE1EEEvSL_,"axG",@progbits,_ZN7rocprim17ROCPRIM_400000_NS6detail17trampoline_kernelINS0_14default_configENS1_38merge_sort_block_merge_config_selectorItNS0_10empty_typeEEEZZNS1_27merge_sort_block_merge_implIS3_N6thrust23THRUST_200600_302600_NS6detail15normal_iteratorINS9_10device_ptrItEEEEPS5_jNS1_19radix_merge_compareILb0ELb0EtNS0_19identity_decomposerEEEEE10hipError_tT0_T1_T2_jT3_P12ihipStream_tbPNSt15iterator_traitsISK_E10value_typeEPNSQ_ISL_E10value_typeEPSM_NS1_7vsmem_tEENKUlT_SK_SL_SM_E_clIPtSE_SF_SF_EESJ_SZ_SK_SL_SM_EUlSZ_E0_NS1_11comp_targetILNS1_3genE3ELNS1_11target_archE908ELNS1_3gpuE7ELNS1_3repE0EEENS1_38merge_mergepath_config_static_selectorELNS0_4arch9wavefront6targetE1EEEvSL_,comdat
	.protected	_ZN7rocprim17ROCPRIM_400000_NS6detail17trampoline_kernelINS0_14default_configENS1_38merge_sort_block_merge_config_selectorItNS0_10empty_typeEEEZZNS1_27merge_sort_block_merge_implIS3_N6thrust23THRUST_200600_302600_NS6detail15normal_iteratorINS9_10device_ptrItEEEEPS5_jNS1_19radix_merge_compareILb0ELb0EtNS0_19identity_decomposerEEEEE10hipError_tT0_T1_T2_jT3_P12ihipStream_tbPNSt15iterator_traitsISK_E10value_typeEPNSQ_ISL_E10value_typeEPSM_NS1_7vsmem_tEENKUlT_SK_SL_SM_E_clIPtSE_SF_SF_EESJ_SZ_SK_SL_SM_EUlSZ_E0_NS1_11comp_targetILNS1_3genE3ELNS1_11target_archE908ELNS1_3gpuE7ELNS1_3repE0EEENS1_38merge_mergepath_config_static_selectorELNS0_4arch9wavefront6targetE1EEEvSL_ ; -- Begin function _ZN7rocprim17ROCPRIM_400000_NS6detail17trampoline_kernelINS0_14default_configENS1_38merge_sort_block_merge_config_selectorItNS0_10empty_typeEEEZZNS1_27merge_sort_block_merge_implIS3_N6thrust23THRUST_200600_302600_NS6detail15normal_iteratorINS9_10device_ptrItEEEEPS5_jNS1_19radix_merge_compareILb0ELb0EtNS0_19identity_decomposerEEEEE10hipError_tT0_T1_T2_jT3_P12ihipStream_tbPNSt15iterator_traitsISK_E10value_typeEPNSQ_ISL_E10value_typeEPSM_NS1_7vsmem_tEENKUlT_SK_SL_SM_E_clIPtSE_SF_SF_EESJ_SZ_SK_SL_SM_EUlSZ_E0_NS1_11comp_targetILNS1_3genE3ELNS1_11target_archE908ELNS1_3gpuE7ELNS1_3repE0EEENS1_38merge_mergepath_config_static_selectorELNS0_4arch9wavefront6targetE1EEEvSL_
	.globl	_ZN7rocprim17ROCPRIM_400000_NS6detail17trampoline_kernelINS0_14default_configENS1_38merge_sort_block_merge_config_selectorItNS0_10empty_typeEEEZZNS1_27merge_sort_block_merge_implIS3_N6thrust23THRUST_200600_302600_NS6detail15normal_iteratorINS9_10device_ptrItEEEEPS5_jNS1_19radix_merge_compareILb0ELb0EtNS0_19identity_decomposerEEEEE10hipError_tT0_T1_T2_jT3_P12ihipStream_tbPNSt15iterator_traitsISK_E10value_typeEPNSQ_ISL_E10value_typeEPSM_NS1_7vsmem_tEENKUlT_SK_SL_SM_E_clIPtSE_SF_SF_EESJ_SZ_SK_SL_SM_EUlSZ_E0_NS1_11comp_targetILNS1_3genE3ELNS1_11target_archE908ELNS1_3gpuE7ELNS1_3repE0EEENS1_38merge_mergepath_config_static_selectorELNS0_4arch9wavefront6targetE1EEEvSL_
	.p2align	8
	.type	_ZN7rocprim17ROCPRIM_400000_NS6detail17trampoline_kernelINS0_14default_configENS1_38merge_sort_block_merge_config_selectorItNS0_10empty_typeEEEZZNS1_27merge_sort_block_merge_implIS3_N6thrust23THRUST_200600_302600_NS6detail15normal_iteratorINS9_10device_ptrItEEEEPS5_jNS1_19radix_merge_compareILb0ELb0EtNS0_19identity_decomposerEEEEE10hipError_tT0_T1_T2_jT3_P12ihipStream_tbPNSt15iterator_traitsISK_E10value_typeEPNSQ_ISL_E10value_typeEPSM_NS1_7vsmem_tEENKUlT_SK_SL_SM_E_clIPtSE_SF_SF_EESJ_SZ_SK_SL_SM_EUlSZ_E0_NS1_11comp_targetILNS1_3genE3ELNS1_11target_archE908ELNS1_3gpuE7ELNS1_3repE0EEENS1_38merge_mergepath_config_static_selectorELNS0_4arch9wavefront6targetE1EEEvSL_,@function
_ZN7rocprim17ROCPRIM_400000_NS6detail17trampoline_kernelINS0_14default_configENS1_38merge_sort_block_merge_config_selectorItNS0_10empty_typeEEEZZNS1_27merge_sort_block_merge_implIS3_N6thrust23THRUST_200600_302600_NS6detail15normal_iteratorINS9_10device_ptrItEEEEPS5_jNS1_19radix_merge_compareILb0ELb0EtNS0_19identity_decomposerEEEEE10hipError_tT0_T1_T2_jT3_P12ihipStream_tbPNSt15iterator_traitsISK_E10value_typeEPNSQ_ISL_E10value_typeEPSM_NS1_7vsmem_tEENKUlT_SK_SL_SM_E_clIPtSE_SF_SF_EESJ_SZ_SK_SL_SM_EUlSZ_E0_NS1_11comp_targetILNS1_3genE3ELNS1_11target_archE908ELNS1_3gpuE7ELNS1_3repE0EEENS1_38merge_mergepath_config_static_selectorELNS0_4arch9wavefront6targetE1EEEvSL_: ; @_ZN7rocprim17ROCPRIM_400000_NS6detail17trampoline_kernelINS0_14default_configENS1_38merge_sort_block_merge_config_selectorItNS0_10empty_typeEEEZZNS1_27merge_sort_block_merge_implIS3_N6thrust23THRUST_200600_302600_NS6detail15normal_iteratorINS9_10device_ptrItEEEEPS5_jNS1_19radix_merge_compareILb0ELb0EtNS0_19identity_decomposerEEEEE10hipError_tT0_T1_T2_jT3_P12ihipStream_tbPNSt15iterator_traitsISK_E10value_typeEPNSQ_ISL_E10value_typeEPSM_NS1_7vsmem_tEENKUlT_SK_SL_SM_E_clIPtSE_SF_SF_EESJ_SZ_SK_SL_SM_EUlSZ_E0_NS1_11comp_targetILNS1_3genE3ELNS1_11target_archE908ELNS1_3gpuE7ELNS1_3repE0EEENS1_38merge_mergepath_config_static_selectorELNS0_4arch9wavefront6targetE1EEEvSL_
; %bb.0:
	.section	.rodata,"a",@progbits
	.p2align	6, 0x0
	.amdhsa_kernel _ZN7rocprim17ROCPRIM_400000_NS6detail17trampoline_kernelINS0_14default_configENS1_38merge_sort_block_merge_config_selectorItNS0_10empty_typeEEEZZNS1_27merge_sort_block_merge_implIS3_N6thrust23THRUST_200600_302600_NS6detail15normal_iteratorINS9_10device_ptrItEEEEPS5_jNS1_19radix_merge_compareILb0ELb0EtNS0_19identity_decomposerEEEEE10hipError_tT0_T1_T2_jT3_P12ihipStream_tbPNSt15iterator_traitsISK_E10value_typeEPNSQ_ISL_E10value_typeEPSM_NS1_7vsmem_tEENKUlT_SK_SL_SM_E_clIPtSE_SF_SF_EESJ_SZ_SK_SL_SM_EUlSZ_E0_NS1_11comp_targetILNS1_3genE3ELNS1_11target_archE908ELNS1_3gpuE7ELNS1_3repE0EEENS1_38merge_mergepath_config_static_selectorELNS0_4arch9wavefront6targetE1EEEvSL_
		.amdhsa_group_segment_fixed_size 0
		.amdhsa_private_segment_fixed_size 0
		.amdhsa_kernarg_size 64
		.amdhsa_user_sgpr_count 2
		.amdhsa_user_sgpr_dispatch_ptr 0
		.amdhsa_user_sgpr_queue_ptr 0
		.amdhsa_user_sgpr_kernarg_segment_ptr 1
		.amdhsa_user_sgpr_dispatch_id 0
		.amdhsa_user_sgpr_kernarg_preload_length 0
		.amdhsa_user_sgpr_kernarg_preload_offset 0
		.amdhsa_user_sgpr_private_segment_size 0
		.amdhsa_uses_dynamic_stack 0
		.amdhsa_enable_private_segment 0
		.amdhsa_system_sgpr_workgroup_id_x 1
		.amdhsa_system_sgpr_workgroup_id_y 0
		.amdhsa_system_sgpr_workgroup_id_z 0
		.amdhsa_system_sgpr_workgroup_info 0
		.amdhsa_system_vgpr_workitem_id 0
		.amdhsa_next_free_vgpr 1
		.amdhsa_next_free_sgpr 0
		.amdhsa_accum_offset 4
		.amdhsa_reserve_vcc 0
		.amdhsa_float_round_mode_32 0
		.amdhsa_float_round_mode_16_64 0
		.amdhsa_float_denorm_mode_32 3
		.amdhsa_float_denorm_mode_16_64 3
		.amdhsa_dx10_clamp 1
		.amdhsa_ieee_mode 1
		.amdhsa_fp16_overflow 0
		.amdhsa_tg_split 0
		.amdhsa_exception_fp_ieee_invalid_op 0
		.amdhsa_exception_fp_denorm_src 0
		.amdhsa_exception_fp_ieee_div_zero 0
		.amdhsa_exception_fp_ieee_overflow 0
		.amdhsa_exception_fp_ieee_underflow 0
		.amdhsa_exception_fp_ieee_inexact 0
		.amdhsa_exception_int_div_zero 0
	.end_amdhsa_kernel
	.section	.text._ZN7rocprim17ROCPRIM_400000_NS6detail17trampoline_kernelINS0_14default_configENS1_38merge_sort_block_merge_config_selectorItNS0_10empty_typeEEEZZNS1_27merge_sort_block_merge_implIS3_N6thrust23THRUST_200600_302600_NS6detail15normal_iteratorINS9_10device_ptrItEEEEPS5_jNS1_19radix_merge_compareILb0ELb0EtNS0_19identity_decomposerEEEEE10hipError_tT0_T1_T2_jT3_P12ihipStream_tbPNSt15iterator_traitsISK_E10value_typeEPNSQ_ISL_E10value_typeEPSM_NS1_7vsmem_tEENKUlT_SK_SL_SM_E_clIPtSE_SF_SF_EESJ_SZ_SK_SL_SM_EUlSZ_E0_NS1_11comp_targetILNS1_3genE3ELNS1_11target_archE908ELNS1_3gpuE7ELNS1_3repE0EEENS1_38merge_mergepath_config_static_selectorELNS0_4arch9wavefront6targetE1EEEvSL_,"axG",@progbits,_ZN7rocprim17ROCPRIM_400000_NS6detail17trampoline_kernelINS0_14default_configENS1_38merge_sort_block_merge_config_selectorItNS0_10empty_typeEEEZZNS1_27merge_sort_block_merge_implIS3_N6thrust23THRUST_200600_302600_NS6detail15normal_iteratorINS9_10device_ptrItEEEEPS5_jNS1_19radix_merge_compareILb0ELb0EtNS0_19identity_decomposerEEEEE10hipError_tT0_T1_T2_jT3_P12ihipStream_tbPNSt15iterator_traitsISK_E10value_typeEPNSQ_ISL_E10value_typeEPSM_NS1_7vsmem_tEENKUlT_SK_SL_SM_E_clIPtSE_SF_SF_EESJ_SZ_SK_SL_SM_EUlSZ_E0_NS1_11comp_targetILNS1_3genE3ELNS1_11target_archE908ELNS1_3gpuE7ELNS1_3repE0EEENS1_38merge_mergepath_config_static_selectorELNS0_4arch9wavefront6targetE1EEEvSL_,comdat
.Lfunc_end1218:
	.size	_ZN7rocprim17ROCPRIM_400000_NS6detail17trampoline_kernelINS0_14default_configENS1_38merge_sort_block_merge_config_selectorItNS0_10empty_typeEEEZZNS1_27merge_sort_block_merge_implIS3_N6thrust23THRUST_200600_302600_NS6detail15normal_iteratorINS9_10device_ptrItEEEEPS5_jNS1_19radix_merge_compareILb0ELb0EtNS0_19identity_decomposerEEEEE10hipError_tT0_T1_T2_jT3_P12ihipStream_tbPNSt15iterator_traitsISK_E10value_typeEPNSQ_ISL_E10value_typeEPSM_NS1_7vsmem_tEENKUlT_SK_SL_SM_E_clIPtSE_SF_SF_EESJ_SZ_SK_SL_SM_EUlSZ_E0_NS1_11comp_targetILNS1_3genE3ELNS1_11target_archE908ELNS1_3gpuE7ELNS1_3repE0EEENS1_38merge_mergepath_config_static_selectorELNS0_4arch9wavefront6targetE1EEEvSL_, .Lfunc_end1218-_ZN7rocprim17ROCPRIM_400000_NS6detail17trampoline_kernelINS0_14default_configENS1_38merge_sort_block_merge_config_selectorItNS0_10empty_typeEEEZZNS1_27merge_sort_block_merge_implIS3_N6thrust23THRUST_200600_302600_NS6detail15normal_iteratorINS9_10device_ptrItEEEEPS5_jNS1_19radix_merge_compareILb0ELb0EtNS0_19identity_decomposerEEEEE10hipError_tT0_T1_T2_jT3_P12ihipStream_tbPNSt15iterator_traitsISK_E10value_typeEPNSQ_ISL_E10value_typeEPSM_NS1_7vsmem_tEENKUlT_SK_SL_SM_E_clIPtSE_SF_SF_EESJ_SZ_SK_SL_SM_EUlSZ_E0_NS1_11comp_targetILNS1_3genE3ELNS1_11target_archE908ELNS1_3gpuE7ELNS1_3repE0EEENS1_38merge_mergepath_config_static_selectorELNS0_4arch9wavefront6targetE1EEEvSL_
                                        ; -- End function
	.section	.AMDGPU.csdata,"",@progbits
; Kernel info:
; codeLenInByte = 0
; NumSgprs: 6
; NumVgprs: 0
; NumAgprs: 0
; TotalNumVgprs: 0
; ScratchSize: 0
; MemoryBound: 0
; FloatMode: 240
; IeeeMode: 1
; LDSByteSize: 0 bytes/workgroup (compile time only)
; SGPRBlocks: 0
; VGPRBlocks: 0
; NumSGPRsForWavesPerEU: 6
; NumVGPRsForWavesPerEU: 1
; AccumOffset: 4
; Occupancy: 8
; WaveLimiterHint : 0
; COMPUTE_PGM_RSRC2:SCRATCH_EN: 0
; COMPUTE_PGM_RSRC2:USER_SGPR: 2
; COMPUTE_PGM_RSRC2:TRAP_HANDLER: 0
; COMPUTE_PGM_RSRC2:TGID_X_EN: 1
; COMPUTE_PGM_RSRC2:TGID_Y_EN: 0
; COMPUTE_PGM_RSRC2:TGID_Z_EN: 0
; COMPUTE_PGM_RSRC2:TIDIG_COMP_CNT: 0
; COMPUTE_PGM_RSRC3_GFX90A:ACCUM_OFFSET: 0
; COMPUTE_PGM_RSRC3_GFX90A:TG_SPLIT: 0
	.section	.text._ZN7rocprim17ROCPRIM_400000_NS6detail17trampoline_kernelINS0_14default_configENS1_38merge_sort_block_merge_config_selectorItNS0_10empty_typeEEEZZNS1_27merge_sort_block_merge_implIS3_N6thrust23THRUST_200600_302600_NS6detail15normal_iteratorINS9_10device_ptrItEEEEPS5_jNS1_19radix_merge_compareILb0ELb0EtNS0_19identity_decomposerEEEEE10hipError_tT0_T1_T2_jT3_P12ihipStream_tbPNSt15iterator_traitsISK_E10value_typeEPNSQ_ISL_E10value_typeEPSM_NS1_7vsmem_tEENKUlT_SK_SL_SM_E_clIPtSE_SF_SF_EESJ_SZ_SK_SL_SM_EUlSZ_E0_NS1_11comp_targetILNS1_3genE2ELNS1_11target_archE906ELNS1_3gpuE6ELNS1_3repE0EEENS1_38merge_mergepath_config_static_selectorELNS0_4arch9wavefront6targetE1EEEvSL_,"axG",@progbits,_ZN7rocprim17ROCPRIM_400000_NS6detail17trampoline_kernelINS0_14default_configENS1_38merge_sort_block_merge_config_selectorItNS0_10empty_typeEEEZZNS1_27merge_sort_block_merge_implIS3_N6thrust23THRUST_200600_302600_NS6detail15normal_iteratorINS9_10device_ptrItEEEEPS5_jNS1_19radix_merge_compareILb0ELb0EtNS0_19identity_decomposerEEEEE10hipError_tT0_T1_T2_jT3_P12ihipStream_tbPNSt15iterator_traitsISK_E10value_typeEPNSQ_ISL_E10value_typeEPSM_NS1_7vsmem_tEENKUlT_SK_SL_SM_E_clIPtSE_SF_SF_EESJ_SZ_SK_SL_SM_EUlSZ_E0_NS1_11comp_targetILNS1_3genE2ELNS1_11target_archE906ELNS1_3gpuE6ELNS1_3repE0EEENS1_38merge_mergepath_config_static_selectorELNS0_4arch9wavefront6targetE1EEEvSL_,comdat
	.protected	_ZN7rocprim17ROCPRIM_400000_NS6detail17trampoline_kernelINS0_14default_configENS1_38merge_sort_block_merge_config_selectorItNS0_10empty_typeEEEZZNS1_27merge_sort_block_merge_implIS3_N6thrust23THRUST_200600_302600_NS6detail15normal_iteratorINS9_10device_ptrItEEEEPS5_jNS1_19radix_merge_compareILb0ELb0EtNS0_19identity_decomposerEEEEE10hipError_tT0_T1_T2_jT3_P12ihipStream_tbPNSt15iterator_traitsISK_E10value_typeEPNSQ_ISL_E10value_typeEPSM_NS1_7vsmem_tEENKUlT_SK_SL_SM_E_clIPtSE_SF_SF_EESJ_SZ_SK_SL_SM_EUlSZ_E0_NS1_11comp_targetILNS1_3genE2ELNS1_11target_archE906ELNS1_3gpuE6ELNS1_3repE0EEENS1_38merge_mergepath_config_static_selectorELNS0_4arch9wavefront6targetE1EEEvSL_ ; -- Begin function _ZN7rocprim17ROCPRIM_400000_NS6detail17trampoline_kernelINS0_14default_configENS1_38merge_sort_block_merge_config_selectorItNS0_10empty_typeEEEZZNS1_27merge_sort_block_merge_implIS3_N6thrust23THRUST_200600_302600_NS6detail15normal_iteratorINS9_10device_ptrItEEEEPS5_jNS1_19radix_merge_compareILb0ELb0EtNS0_19identity_decomposerEEEEE10hipError_tT0_T1_T2_jT3_P12ihipStream_tbPNSt15iterator_traitsISK_E10value_typeEPNSQ_ISL_E10value_typeEPSM_NS1_7vsmem_tEENKUlT_SK_SL_SM_E_clIPtSE_SF_SF_EESJ_SZ_SK_SL_SM_EUlSZ_E0_NS1_11comp_targetILNS1_3genE2ELNS1_11target_archE906ELNS1_3gpuE6ELNS1_3repE0EEENS1_38merge_mergepath_config_static_selectorELNS0_4arch9wavefront6targetE1EEEvSL_
	.globl	_ZN7rocprim17ROCPRIM_400000_NS6detail17trampoline_kernelINS0_14default_configENS1_38merge_sort_block_merge_config_selectorItNS0_10empty_typeEEEZZNS1_27merge_sort_block_merge_implIS3_N6thrust23THRUST_200600_302600_NS6detail15normal_iteratorINS9_10device_ptrItEEEEPS5_jNS1_19radix_merge_compareILb0ELb0EtNS0_19identity_decomposerEEEEE10hipError_tT0_T1_T2_jT3_P12ihipStream_tbPNSt15iterator_traitsISK_E10value_typeEPNSQ_ISL_E10value_typeEPSM_NS1_7vsmem_tEENKUlT_SK_SL_SM_E_clIPtSE_SF_SF_EESJ_SZ_SK_SL_SM_EUlSZ_E0_NS1_11comp_targetILNS1_3genE2ELNS1_11target_archE906ELNS1_3gpuE6ELNS1_3repE0EEENS1_38merge_mergepath_config_static_selectorELNS0_4arch9wavefront6targetE1EEEvSL_
	.p2align	8
	.type	_ZN7rocprim17ROCPRIM_400000_NS6detail17trampoline_kernelINS0_14default_configENS1_38merge_sort_block_merge_config_selectorItNS0_10empty_typeEEEZZNS1_27merge_sort_block_merge_implIS3_N6thrust23THRUST_200600_302600_NS6detail15normal_iteratorINS9_10device_ptrItEEEEPS5_jNS1_19radix_merge_compareILb0ELb0EtNS0_19identity_decomposerEEEEE10hipError_tT0_T1_T2_jT3_P12ihipStream_tbPNSt15iterator_traitsISK_E10value_typeEPNSQ_ISL_E10value_typeEPSM_NS1_7vsmem_tEENKUlT_SK_SL_SM_E_clIPtSE_SF_SF_EESJ_SZ_SK_SL_SM_EUlSZ_E0_NS1_11comp_targetILNS1_3genE2ELNS1_11target_archE906ELNS1_3gpuE6ELNS1_3repE0EEENS1_38merge_mergepath_config_static_selectorELNS0_4arch9wavefront6targetE1EEEvSL_,@function
_ZN7rocprim17ROCPRIM_400000_NS6detail17trampoline_kernelINS0_14default_configENS1_38merge_sort_block_merge_config_selectorItNS0_10empty_typeEEEZZNS1_27merge_sort_block_merge_implIS3_N6thrust23THRUST_200600_302600_NS6detail15normal_iteratorINS9_10device_ptrItEEEEPS5_jNS1_19radix_merge_compareILb0ELb0EtNS0_19identity_decomposerEEEEE10hipError_tT0_T1_T2_jT3_P12ihipStream_tbPNSt15iterator_traitsISK_E10value_typeEPNSQ_ISL_E10value_typeEPSM_NS1_7vsmem_tEENKUlT_SK_SL_SM_E_clIPtSE_SF_SF_EESJ_SZ_SK_SL_SM_EUlSZ_E0_NS1_11comp_targetILNS1_3genE2ELNS1_11target_archE906ELNS1_3gpuE6ELNS1_3repE0EEENS1_38merge_mergepath_config_static_selectorELNS0_4arch9wavefront6targetE1EEEvSL_: ; @_ZN7rocprim17ROCPRIM_400000_NS6detail17trampoline_kernelINS0_14default_configENS1_38merge_sort_block_merge_config_selectorItNS0_10empty_typeEEEZZNS1_27merge_sort_block_merge_implIS3_N6thrust23THRUST_200600_302600_NS6detail15normal_iteratorINS9_10device_ptrItEEEEPS5_jNS1_19radix_merge_compareILb0ELb0EtNS0_19identity_decomposerEEEEE10hipError_tT0_T1_T2_jT3_P12ihipStream_tbPNSt15iterator_traitsISK_E10value_typeEPNSQ_ISL_E10value_typeEPSM_NS1_7vsmem_tEENKUlT_SK_SL_SM_E_clIPtSE_SF_SF_EESJ_SZ_SK_SL_SM_EUlSZ_E0_NS1_11comp_targetILNS1_3genE2ELNS1_11target_archE906ELNS1_3gpuE6ELNS1_3repE0EEENS1_38merge_mergepath_config_static_selectorELNS0_4arch9wavefront6targetE1EEEvSL_
; %bb.0:
	.section	.rodata,"a",@progbits
	.p2align	6, 0x0
	.amdhsa_kernel _ZN7rocprim17ROCPRIM_400000_NS6detail17trampoline_kernelINS0_14default_configENS1_38merge_sort_block_merge_config_selectorItNS0_10empty_typeEEEZZNS1_27merge_sort_block_merge_implIS3_N6thrust23THRUST_200600_302600_NS6detail15normal_iteratorINS9_10device_ptrItEEEEPS5_jNS1_19radix_merge_compareILb0ELb0EtNS0_19identity_decomposerEEEEE10hipError_tT0_T1_T2_jT3_P12ihipStream_tbPNSt15iterator_traitsISK_E10value_typeEPNSQ_ISL_E10value_typeEPSM_NS1_7vsmem_tEENKUlT_SK_SL_SM_E_clIPtSE_SF_SF_EESJ_SZ_SK_SL_SM_EUlSZ_E0_NS1_11comp_targetILNS1_3genE2ELNS1_11target_archE906ELNS1_3gpuE6ELNS1_3repE0EEENS1_38merge_mergepath_config_static_selectorELNS0_4arch9wavefront6targetE1EEEvSL_
		.amdhsa_group_segment_fixed_size 0
		.amdhsa_private_segment_fixed_size 0
		.amdhsa_kernarg_size 64
		.amdhsa_user_sgpr_count 2
		.amdhsa_user_sgpr_dispatch_ptr 0
		.amdhsa_user_sgpr_queue_ptr 0
		.amdhsa_user_sgpr_kernarg_segment_ptr 1
		.amdhsa_user_sgpr_dispatch_id 0
		.amdhsa_user_sgpr_kernarg_preload_length 0
		.amdhsa_user_sgpr_kernarg_preload_offset 0
		.amdhsa_user_sgpr_private_segment_size 0
		.amdhsa_uses_dynamic_stack 0
		.amdhsa_enable_private_segment 0
		.amdhsa_system_sgpr_workgroup_id_x 1
		.amdhsa_system_sgpr_workgroup_id_y 0
		.amdhsa_system_sgpr_workgroup_id_z 0
		.amdhsa_system_sgpr_workgroup_info 0
		.amdhsa_system_vgpr_workitem_id 0
		.amdhsa_next_free_vgpr 1
		.amdhsa_next_free_sgpr 0
		.amdhsa_accum_offset 4
		.amdhsa_reserve_vcc 0
		.amdhsa_float_round_mode_32 0
		.amdhsa_float_round_mode_16_64 0
		.amdhsa_float_denorm_mode_32 3
		.amdhsa_float_denorm_mode_16_64 3
		.amdhsa_dx10_clamp 1
		.amdhsa_ieee_mode 1
		.amdhsa_fp16_overflow 0
		.amdhsa_tg_split 0
		.amdhsa_exception_fp_ieee_invalid_op 0
		.amdhsa_exception_fp_denorm_src 0
		.amdhsa_exception_fp_ieee_div_zero 0
		.amdhsa_exception_fp_ieee_overflow 0
		.amdhsa_exception_fp_ieee_underflow 0
		.amdhsa_exception_fp_ieee_inexact 0
		.amdhsa_exception_int_div_zero 0
	.end_amdhsa_kernel
	.section	.text._ZN7rocprim17ROCPRIM_400000_NS6detail17trampoline_kernelINS0_14default_configENS1_38merge_sort_block_merge_config_selectorItNS0_10empty_typeEEEZZNS1_27merge_sort_block_merge_implIS3_N6thrust23THRUST_200600_302600_NS6detail15normal_iteratorINS9_10device_ptrItEEEEPS5_jNS1_19radix_merge_compareILb0ELb0EtNS0_19identity_decomposerEEEEE10hipError_tT0_T1_T2_jT3_P12ihipStream_tbPNSt15iterator_traitsISK_E10value_typeEPNSQ_ISL_E10value_typeEPSM_NS1_7vsmem_tEENKUlT_SK_SL_SM_E_clIPtSE_SF_SF_EESJ_SZ_SK_SL_SM_EUlSZ_E0_NS1_11comp_targetILNS1_3genE2ELNS1_11target_archE906ELNS1_3gpuE6ELNS1_3repE0EEENS1_38merge_mergepath_config_static_selectorELNS0_4arch9wavefront6targetE1EEEvSL_,"axG",@progbits,_ZN7rocprim17ROCPRIM_400000_NS6detail17trampoline_kernelINS0_14default_configENS1_38merge_sort_block_merge_config_selectorItNS0_10empty_typeEEEZZNS1_27merge_sort_block_merge_implIS3_N6thrust23THRUST_200600_302600_NS6detail15normal_iteratorINS9_10device_ptrItEEEEPS5_jNS1_19radix_merge_compareILb0ELb0EtNS0_19identity_decomposerEEEEE10hipError_tT0_T1_T2_jT3_P12ihipStream_tbPNSt15iterator_traitsISK_E10value_typeEPNSQ_ISL_E10value_typeEPSM_NS1_7vsmem_tEENKUlT_SK_SL_SM_E_clIPtSE_SF_SF_EESJ_SZ_SK_SL_SM_EUlSZ_E0_NS1_11comp_targetILNS1_3genE2ELNS1_11target_archE906ELNS1_3gpuE6ELNS1_3repE0EEENS1_38merge_mergepath_config_static_selectorELNS0_4arch9wavefront6targetE1EEEvSL_,comdat
.Lfunc_end1219:
	.size	_ZN7rocprim17ROCPRIM_400000_NS6detail17trampoline_kernelINS0_14default_configENS1_38merge_sort_block_merge_config_selectorItNS0_10empty_typeEEEZZNS1_27merge_sort_block_merge_implIS3_N6thrust23THRUST_200600_302600_NS6detail15normal_iteratorINS9_10device_ptrItEEEEPS5_jNS1_19radix_merge_compareILb0ELb0EtNS0_19identity_decomposerEEEEE10hipError_tT0_T1_T2_jT3_P12ihipStream_tbPNSt15iterator_traitsISK_E10value_typeEPNSQ_ISL_E10value_typeEPSM_NS1_7vsmem_tEENKUlT_SK_SL_SM_E_clIPtSE_SF_SF_EESJ_SZ_SK_SL_SM_EUlSZ_E0_NS1_11comp_targetILNS1_3genE2ELNS1_11target_archE906ELNS1_3gpuE6ELNS1_3repE0EEENS1_38merge_mergepath_config_static_selectorELNS0_4arch9wavefront6targetE1EEEvSL_, .Lfunc_end1219-_ZN7rocprim17ROCPRIM_400000_NS6detail17trampoline_kernelINS0_14default_configENS1_38merge_sort_block_merge_config_selectorItNS0_10empty_typeEEEZZNS1_27merge_sort_block_merge_implIS3_N6thrust23THRUST_200600_302600_NS6detail15normal_iteratorINS9_10device_ptrItEEEEPS5_jNS1_19radix_merge_compareILb0ELb0EtNS0_19identity_decomposerEEEEE10hipError_tT0_T1_T2_jT3_P12ihipStream_tbPNSt15iterator_traitsISK_E10value_typeEPNSQ_ISL_E10value_typeEPSM_NS1_7vsmem_tEENKUlT_SK_SL_SM_E_clIPtSE_SF_SF_EESJ_SZ_SK_SL_SM_EUlSZ_E0_NS1_11comp_targetILNS1_3genE2ELNS1_11target_archE906ELNS1_3gpuE6ELNS1_3repE0EEENS1_38merge_mergepath_config_static_selectorELNS0_4arch9wavefront6targetE1EEEvSL_
                                        ; -- End function
	.section	.AMDGPU.csdata,"",@progbits
; Kernel info:
; codeLenInByte = 0
; NumSgprs: 6
; NumVgprs: 0
; NumAgprs: 0
; TotalNumVgprs: 0
; ScratchSize: 0
; MemoryBound: 0
; FloatMode: 240
; IeeeMode: 1
; LDSByteSize: 0 bytes/workgroup (compile time only)
; SGPRBlocks: 0
; VGPRBlocks: 0
; NumSGPRsForWavesPerEU: 6
; NumVGPRsForWavesPerEU: 1
; AccumOffset: 4
; Occupancy: 8
; WaveLimiterHint : 0
; COMPUTE_PGM_RSRC2:SCRATCH_EN: 0
; COMPUTE_PGM_RSRC2:USER_SGPR: 2
; COMPUTE_PGM_RSRC2:TRAP_HANDLER: 0
; COMPUTE_PGM_RSRC2:TGID_X_EN: 1
; COMPUTE_PGM_RSRC2:TGID_Y_EN: 0
; COMPUTE_PGM_RSRC2:TGID_Z_EN: 0
; COMPUTE_PGM_RSRC2:TIDIG_COMP_CNT: 0
; COMPUTE_PGM_RSRC3_GFX90A:ACCUM_OFFSET: 0
; COMPUTE_PGM_RSRC3_GFX90A:TG_SPLIT: 0
	.section	.text._ZN7rocprim17ROCPRIM_400000_NS6detail17trampoline_kernelINS0_14default_configENS1_38merge_sort_block_merge_config_selectorItNS0_10empty_typeEEEZZNS1_27merge_sort_block_merge_implIS3_N6thrust23THRUST_200600_302600_NS6detail15normal_iteratorINS9_10device_ptrItEEEEPS5_jNS1_19radix_merge_compareILb0ELb0EtNS0_19identity_decomposerEEEEE10hipError_tT0_T1_T2_jT3_P12ihipStream_tbPNSt15iterator_traitsISK_E10value_typeEPNSQ_ISL_E10value_typeEPSM_NS1_7vsmem_tEENKUlT_SK_SL_SM_E_clIPtSE_SF_SF_EESJ_SZ_SK_SL_SM_EUlSZ_E0_NS1_11comp_targetILNS1_3genE9ELNS1_11target_archE1100ELNS1_3gpuE3ELNS1_3repE0EEENS1_38merge_mergepath_config_static_selectorELNS0_4arch9wavefront6targetE1EEEvSL_,"axG",@progbits,_ZN7rocprim17ROCPRIM_400000_NS6detail17trampoline_kernelINS0_14default_configENS1_38merge_sort_block_merge_config_selectorItNS0_10empty_typeEEEZZNS1_27merge_sort_block_merge_implIS3_N6thrust23THRUST_200600_302600_NS6detail15normal_iteratorINS9_10device_ptrItEEEEPS5_jNS1_19radix_merge_compareILb0ELb0EtNS0_19identity_decomposerEEEEE10hipError_tT0_T1_T2_jT3_P12ihipStream_tbPNSt15iterator_traitsISK_E10value_typeEPNSQ_ISL_E10value_typeEPSM_NS1_7vsmem_tEENKUlT_SK_SL_SM_E_clIPtSE_SF_SF_EESJ_SZ_SK_SL_SM_EUlSZ_E0_NS1_11comp_targetILNS1_3genE9ELNS1_11target_archE1100ELNS1_3gpuE3ELNS1_3repE0EEENS1_38merge_mergepath_config_static_selectorELNS0_4arch9wavefront6targetE1EEEvSL_,comdat
	.protected	_ZN7rocprim17ROCPRIM_400000_NS6detail17trampoline_kernelINS0_14default_configENS1_38merge_sort_block_merge_config_selectorItNS0_10empty_typeEEEZZNS1_27merge_sort_block_merge_implIS3_N6thrust23THRUST_200600_302600_NS6detail15normal_iteratorINS9_10device_ptrItEEEEPS5_jNS1_19radix_merge_compareILb0ELb0EtNS0_19identity_decomposerEEEEE10hipError_tT0_T1_T2_jT3_P12ihipStream_tbPNSt15iterator_traitsISK_E10value_typeEPNSQ_ISL_E10value_typeEPSM_NS1_7vsmem_tEENKUlT_SK_SL_SM_E_clIPtSE_SF_SF_EESJ_SZ_SK_SL_SM_EUlSZ_E0_NS1_11comp_targetILNS1_3genE9ELNS1_11target_archE1100ELNS1_3gpuE3ELNS1_3repE0EEENS1_38merge_mergepath_config_static_selectorELNS0_4arch9wavefront6targetE1EEEvSL_ ; -- Begin function _ZN7rocprim17ROCPRIM_400000_NS6detail17trampoline_kernelINS0_14default_configENS1_38merge_sort_block_merge_config_selectorItNS0_10empty_typeEEEZZNS1_27merge_sort_block_merge_implIS3_N6thrust23THRUST_200600_302600_NS6detail15normal_iteratorINS9_10device_ptrItEEEEPS5_jNS1_19radix_merge_compareILb0ELb0EtNS0_19identity_decomposerEEEEE10hipError_tT0_T1_T2_jT3_P12ihipStream_tbPNSt15iterator_traitsISK_E10value_typeEPNSQ_ISL_E10value_typeEPSM_NS1_7vsmem_tEENKUlT_SK_SL_SM_E_clIPtSE_SF_SF_EESJ_SZ_SK_SL_SM_EUlSZ_E0_NS1_11comp_targetILNS1_3genE9ELNS1_11target_archE1100ELNS1_3gpuE3ELNS1_3repE0EEENS1_38merge_mergepath_config_static_selectorELNS0_4arch9wavefront6targetE1EEEvSL_
	.globl	_ZN7rocprim17ROCPRIM_400000_NS6detail17trampoline_kernelINS0_14default_configENS1_38merge_sort_block_merge_config_selectorItNS0_10empty_typeEEEZZNS1_27merge_sort_block_merge_implIS3_N6thrust23THRUST_200600_302600_NS6detail15normal_iteratorINS9_10device_ptrItEEEEPS5_jNS1_19radix_merge_compareILb0ELb0EtNS0_19identity_decomposerEEEEE10hipError_tT0_T1_T2_jT3_P12ihipStream_tbPNSt15iterator_traitsISK_E10value_typeEPNSQ_ISL_E10value_typeEPSM_NS1_7vsmem_tEENKUlT_SK_SL_SM_E_clIPtSE_SF_SF_EESJ_SZ_SK_SL_SM_EUlSZ_E0_NS1_11comp_targetILNS1_3genE9ELNS1_11target_archE1100ELNS1_3gpuE3ELNS1_3repE0EEENS1_38merge_mergepath_config_static_selectorELNS0_4arch9wavefront6targetE1EEEvSL_
	.p2align	8
	.type	_ZN7rocprim17ROCPRIM_400000_NS6detail17trampoline_kernelINS0_14default_configENS1_38merge_sort_block_merge_config_selectorItNS0_10empty_typeEEEZZNS1_27merge_sort_block_merge_implIS3_N6thrust23THRUST_200600_302600_NS6detail15normal_iteratorINS9_10device_ptrItEEEEPS5_jNS1_19radix_merge_compareILb0ELb0EtNS0_19identity_decomposerEEEEE10hipError_tT0_T1_T2_jT3_P12ihipStream_tbPNSt15iterator_traitsISK_E10value_typeEPNSQ_ISL_E10value_typeEPSM_NS1_7vsmem_tEENKUlT_SK_SL_SM_E_clIPtSE_SF_SF_EESJ_SZ_SK_SL_SM_EUlSZ_E0_NS1_11comp_targetILNS1_3genE9ELNS1_11target_archE1100ELNS1_3gpuE3ELNS1_3repE0EEENS1_38merge_mergepath_config_static_selectorELNS0_4arch9wavefront6targetE1EEEvSL_,@function
_ZN7rocprim17ROCPRIM_400000_NS6detail17trampoline_kernelINS0_14default_configENS1_38merge_sort_block_merge_config_selectorItNS0_10empty_typeEEEZZNS1_27merge_sort_block_merge_implIS3_N6thrust23THRUST_200600_302600_NS6detail15normal_iteratorINS9_10device_ptrItEEEEPS5_jNS1_19radix_merge_compareILb0ELb0EtNS0_19identity_decomposerEEEEE10hipError_tT0_T1_T2_jT3_P12ihipStream_tbPNSt15iterator_traitsISK_E10value_typeEPNSQ_ISL_E10value_typeEPSM_NS1_7vsmem_tEENKUlT_SK_SL_SM_E_clIPtSE_SF_SF_EESJ_SZ_SK_SL_SM_EUlSZ_E0_NS1_11comp_targetILNS1_3genE9ELNS1_11target_archE1100ELNS1_3gpuE3ELNS1_3repE0EEENS1_38merge_mergepath_config_static_selectorELNS0_4arch9wavefront6targetE1EEEvSL_: ; @_ZN7rocprim17ROCPRIM_400000_NS6detail17trampoline_kernelINS0_14default_configENS1_38merge_sort_block_merge_config_selectorItNS0_10empty_typeEEEZZNS1_27merge_sort_block_merge_implIS3_N6thrust23THRUST_200600_302600_NS6detail15normal_iteratorINS9_10device_ptrItEEEEPS5_jNS1_19radix_merge_compareILb0ELb0EtNS0_19identity_decomposerEEEEE10hipError_tT0_T1_T2_jT3_P12ihipStream_tbPNSt15iterator_traitsISK_E10value_typeEPNSQ_ISL_E10value_typeEPSM_NS1_7vsmem_tEENKUlT_SK_SL_SM_E_clIPtSE_SF_SF_EESJ_SZ_SK_SL_SM_EUlSZ_E0_NS1_11comp_targetILNS1_3genE9ELNS1_11target_archE1100ELNS1_3gpuE3ELNS1_3repE0EEENS1_38merge_mergepath_config_static_selectorELNS0_4arch9wavefront6targetE1EEEvSL_
; %bb.0:
	.section	.rodata,"a",@progbits
	.p2align	6, 0x0
	.amdhsa_kernel _ZN7rocprim17ROCPRIM_400000_NS6detail17trampoline_kernelINS0_14default_configENS1_38merge_sort_block_merge_config_selectorItNS0_10empty_typeEEEZZNS1_27merge_sort_block_merge_implIS3_N6thrust23THRUST_200600_302600_NS6detail15normal_iteratorINS9_10device_ptrItEEEEPS5_jNS1_19radix_merge_compareILb0ELb0EtNS0_19identity_decomposerEEEEE10hipError_tT0_T1_T2_jT3_P12ihipStream_tbPNSt15iterator_traitsISK_E10value_typeEPNSQ_ISL_E10value_typeEPSM_NS1_7vsmem_tEENKUlT_SK_SL_SM_E_clIPtSE_SF_SF_EESJ_SZ_SK_SL_SM_EUlSZ_E0_NS1_11comp_targetILNS1_3genE9ELNS1_11target_archE1100ELNS1_3gpuE3ELNS1_3repE0EEENS1_38merge_mergepath_config_static_selectorELNS0_4arch9wavefront6targetE1EEEvSL_
		.amdhsa_group_segment_fixed_size 0
		.amdhsa_private_segment_fixed_size 0
		.amdhsa_kernarg_size 64
		.amdhsa_user_sgpr_count 2
		.amdhsa_user_sgpr_dispatch_ptr 0
		.amdhsa_user_sgpr_queue_ptr 0
		.amdhsa_user_sgpr_kernarg_segment_ptr 1
		.amdhsa_user_sgpr_dispatch_id 0
		.amdhsa_user_sgpr_kernarg_preload_length 0
		.amdhsa_user_sgpr_kernarg_preload_offset 0
		.amdhsa_user_sgpr_private_segment_size 0
		.amdhsa_uses_dynamic_stack 0
		.amdhsa_enable_private_segment 0
		.amdhsa_system_sgpr_workgroup_id_x 1
		.amdhsa_system_sgpr_workgroup_id_y 0
		.amdhsa_system_sgpr_workgroup_id_z 0
		.amdhsa_system_sgpr_workgroup_info 0
		.amdhsa_system_vgpr_workitem_id 0
		.amdhsa_next_free_vgpr 1
		.amdhsa_next_free_sgpr 0
		.amdhsa_accum_offset 4
		.amdhsa_reserve_vcc 0
		.amdhsa_float_round_mode_32 0
		.amdhsa_float_round_mode_16_64 0
		.amdhsa_float_denorm_mode_32 3
		.amdhsa_float_denorm_mode_16_64 3
		.amdhsa_dx10_clamp 1
		.amdhsa_ieee_mode 1
		.amdhsa_fp16_overflow 0
		.amdhsa_tg_split 0
		.amdhsa_exception_fp_ieee_invalid_op 0
		.amdhsa_exception_fp_denorm_src 0
		.amdhsa_exception_fp_ieee_div_zero 0
		.amdhsa_exception_fp_ieee_overflow 0
		.amdhsa_exception_fp_ieee_underflow 0
		.amdhsa_exception_fp_ieee_inexact 0
		.amdhsa_exception_int_div_zero 0
	.end_amdhsa_kernel
	.section	.text._ZN7rocprim17ROCPRIM_400000_NS6detail17trampoline_kernelINS0_14default_configENS1_38merge_sort_block_merge_config_selectorItNS0_10empty_typeEEEZZNS1_27merge_sort_block_merge_implIS3_N6thrust23THRUST_200600_302600_NS6detail15normal_iteratorINS9_10device_ptrItEEEEPS5_jNS1_19radix_merge_compareILb0ELb0EtNS0_19identity_decomposerEEEEE10hipError_tT0_T1_T2_jT3_P12ihipStream_tbPNSt15iterator_traitsISK_E10value_typeEPNSQ_ISL_E10value_typeEPSM_NS1_7vsmem_tEENKUlT_SK_SL_SM_E_clIPtSE_SF_SF_EESJ_SZ_SK_SL_SM_EUlSZ_E0_NS1_11comp_targetILNS1_3genE9ELNS1_11target_archE1100ELNS1_3gpuE3ELNS1_3repE0EEENS1_38merge_mergepath_config_static_selectorELNS0_4arch9wavefront6targetE1EEEvSL_,"axG",@progbits,_ZN7rocprim17ROCPRIM_400000_NS6detail17trampoline_kernelINS0_14default_configENS1_38merge_sort_block_merge_config_selectorItNS0_10empty_typeEEEZZNS1_27merge_sort_block_merge_implIS3_N6thrust23THRUST_200600_302600_NS6detail15normal_iteratorINS9_10device_ptrItEEEEPS5_jNS1_19radix_merge_compareILb0ELb0EtNS0_19identity_decomposerEEEEE10hipError_tT0_T1_T2_jT3_P12ihipStream_tbPNSt15iterator_traitsISK_E10value_typeEPNSQ_ISL_E10value_typeEPSM_NS1_7vsmem_tEENKUlT_SK_SL_SM_E_clIPtSE_SF_SF_EESJ_SZ_SK_SL_SM_EUlSZ_E0_NS1_11comp_targetILNS1_3genE9ELNS1_11target_archE1100ELNS1_3gpuE3ELNS1_3repE0EEENS1_38merge_mergepath_config_static_selectorELNS0_4arch9wavefront6targetE1EEEvSL_,comdat
.Lfunc_end1220:
	.size	_ZN7rocprim17ROCPRIM_400000_NS6detail17trampoline_kernelINS0_14default_configENS1_38merge_sort_block_merge_config_selectorItNS0_10empty_typeEEEZZNS1_27merge_sort_block_merge_implIS3_N6thrust23THRUST_200600_302600_NS6detail15normal_iteratorINS9_10device_ptrItEEEEPS5_jNS1_19radix_merge_compareILb0ELb0EtNS0_19identity_decomposerEEEEE10hipError_tT0_T1_T2_jT3_P12ihipStream_tbPNSt15iterator_traitsISK_E10value_typeEPNSQ_ISL_E10value_typeEPSM_NS1_7vsmem_tEENKUlT_SK_SL_SM_E_clIPtSE_SF_SF_EESJ_SZ_SK_SL_SM_EUlSZ_E0_NS1_11comp_targetILNS1_3genE9ELNS1_11target_archE1100ELNS1_3gpuE3ELNS1_3repE0EEENS1_38merge_mergepath_config_static_selectorELNS0_4arch9wavefront6targetE1EEEvSL_, .Lfunc_end1220-_ZN7rocprim17ROCPRIM_400000_NS6detail17trampoline_kernelINS0_14default_configENS1_38merge_sort_block_merge_config_selectorItNS0_10empty_typeEEEZZNS1_27merge_sort_block_merge_implIS3_N6thrust23THRUST_200600_302600_NS6detail15normal_iteratorINS9_10device_ptrItEEEEPS5_jNS1_19radix_merge_compareILb0ELb0EtNS0_19identity_decomposerEEEEE10hipError_tT0_T1_T2_jT3_P12ihipStream_tbPNSt15iterator_traitsISK_E10value_typeEPNSQ_ISL_E10value_typeEPSM_NS1_7vsmem_tEENKUlT_SK_SL_SM_E_clIPtSE_SF_SF_EESJ_SZ_SK_SL_SM_EUlSZ_E0_NS1_11comp_targetILNS1_3genE9ELNS1_11target_archE1100ELNS1_3gpuE3ELNS1_3repE0EEENS1_38merge_mergepath_config_static_selectorELNS0_4arch9wavefront6targetE1EEEvSL_
                                        ; -- End function
	.section	.AMDGPU.csdata,"",@progbits
; Kernel info:
; codeLenInByte = 0
; NumSgprs: 6
; NumVgprs: 0
; NumAgprs: 0
; TotalNumVgprs: 0
; ScratchSize: 0
; MemoryBound: 0
; FloatMode: 240
; IeeeMode: 1
; LDSByteSize: 0 bytes/workgroup (compile time only)
; SGPRBlocks: 0
; VGPRBlocks: 0
; NumSGPRsForWavesPerEU: 6
; NumVGPRsForWavesPerEU: 1
; AccumOffset: 4
; Occupancy: 8
; WaveLimiterHint : 0
; COMPUTE_PGM_RSRC2:SCRATCH_EN: 0
; COMPUTE_PGM_RSRC2:USER_SGPR: 2
; COMPUTE_PGM_RSRC2:TRAP_HANDLER: 0
; COMPUTE_PGM_RSRC2:TGID_X_EN: 1
; COMPUTE_PGM_RSRC2:TGID_Y_EN: 0
; COMPUTE_PGM_RSRC2:TGID_Z_EN: 0
; COMPUTE_PGM_RSRC2:TIDIG_COMP_CNT: 0
; COMPUTE_PGM_RSRC3_GFX90A:ACCUM_OFFSET: 0
; COMPUTE_PGM_RSRC3_GFX90A:TG_SPLIT: 0
	.section	.text._ZN7rocprim17ROCPRIM_400000_NS6detail17trampoline_kernelINS0_14default_configENS1_38merge_sort_block_merge_config_selectorItNS0_10empty_typeEEEZZNS1_27merge_sort_block_merge_implIS3_N6thrust23THRUST_200600_302600_NS6detail15normal_iteratorINS9_10device_ptrItEEEEPS5_jNS1_19radix_merge_compareILb0ELb0EtNS0_19identity_decomposerEEEEE10hipError_tT0_T1_T2_jT3_P12ihipStream_tbPNSt15iterator_traitsISK_E10value_typeEPNSQ_ISL_E10value_typeEPSM_NS1_7vsmem_tEENKUlT_SK_SL_SM_E_clIPtSE_SF_SF_EESJ_SZ_SK_SL_SM_EUlSZ_E0_NS1_11comp_targetILNS1_3genE8ELNS1_11target_archE1030ELNS1_3gpuE2ELNS1_3repE0EEENS1_38merge_mergepath_config_static_selectorELNS0_4arch9wavefront6targetE1EEEvSL_,"axG",@progbits,_ZN7rocprim17ROCPRIM_400000_NS6detail17trampoline_kernelINS0_14default_configENS1_38merge_sort_block_merge_config_selectorItNS0_10empty_typeEEEZZNS1_27merge_sort_block_merge_implIS3_N6thrust23THRUST_200600_302600_NS6detail15normal_iteratorINS9_10device_ptrItEEEEPS5_jNS1_19radix_merge_compareILb0ELb0EtNS0_19identity_decomposerEEEEE10hipError_tT0_T1_T2_jT3_P12ihipStream_tbPNSt15iterator_traitsISK_E10value_typeEPNSQ_ISL_E10value_typeEPSM_NS1_7vsmem_tEENKUlT_SK_SL_SM_E_clIPtSE_SF_SF_EESJ_SZ_SK_SL_SM_EUlSZ_E0_NS1_11comp_targetILNS1_3genE8ELNS1_11target_archE1030ELNS1_3gpuE2ELNS1_3repE0EEENS1_38merge_mergepath_config_static_selectorELNS0_4arch9wavefront6targetE1EEEvSL_,comdat
	.protected	_ZN7rocprim17ROCPRIM_400000_NS6detail17trampoline_kernelINS0_14default_configENS1_38merge_sort_block_merge_config_selectorItNS0_10empty_typeEEEZZNS1_27merge_sort_block_merge_implIS3_N6thrust23THRUST_200600_302600_NS6detail15normal_iteratorINS9_10device_ptrItEEEEPS5_jNS1_19radix_merge_compareILb0ELb0EtNS0_19identity_decomposerEEEEE10hipError_tT0_T1_T2_jT3_P12ihipStream_tbPNSt15iterator_traitsISK_E10value_typeEPNSQ_ISL_E10value_typeEPSM_NS1_7vsmem_tEENKUlT_SK_SL_SM_E_clIPtSE_SF_SF_EESJ_SZ_SK_SL_SM_EUlSZ_E0_NS1_11comp_targetILNS1_3genE8ELNS1_11target_archE1030ELNS1_3gpuE2ELNS1_3repE0EEENS1_38merge_mergepath_config_static_selectorELNS0_4arch9wavefront6targetE1EEEvSL_ ; -- Begin function _ZN7rocprim17ROCPRIM_400000_NS6detail17trampoline_kernelINS0_14default_configENS1_38merge_sort_block_merge_config_selectorItNS0_10empty_typeEEEZZNS1_27merge_sort_block_merge_implIS3_N6thrust23THRUST_200600_302600_NS6detail15normal_iteratorINS9_10device_ptrItEEEEPS5_jNS1_19radix_merge_compareILb0ELb0EtNS0_19identity_decomposerEEEEE10hipError_tT0_T1_T2_jT3_P12ihipStream_tbPNSt15iterator_traitsISK_E10value_typeEPNSQ_ISL_E10value_typeEPSM_NS1_7vsmem_tEENKUlT_SK_SL_SM_E_clIPtSE_SF_SF_EESJ_SZ_SK_SL_SM_EUlSZ_E0_NS1_11comp_targetILNS1_3genE8ELNS1_11target_archE1030ELNS1_3gpuE2ELNS1_3repE0EEENS1_38merge_mergepath_config_static_selectorELNS0_4arch9wavefront6targetE1EEEvSL_
	.globl	_ZN7rocprim17ROCPRIM_400000_NS6detail17trampoline_kernelINS0_14default_configENS1_38merge_sort_block_merge_config_selectorItNS0_10empty_typeEEEZZNS1_27merge_sort_block_merge_implIS3_N6thrust23THRUST_200600_302600_NS6detail15normal_iteratorINS9_10device_ptrItEEEEPS5_jNS1_19radix_merge_compareILb0ELb0EtNS0_19identity_decomposerEEEEE10hipError_tT0_T1_T2_jT3_P12ihipStream_tbPNSt15iterator_traitsISK_E10value_typeEPNSQ_ISL_E10value_typeEPSM_NS1_7vsmem_tEENKUlT_SK_SL_SM_E_clIPtSE_SF_SF_EESJ_SZ_SK_SL_SM_EUlSZ_E0_NS1_11comp_targetILNS1_3genE8ELNS1_11target_archE1030ELNS1_3gpuE2ELNS1_3repE0EEENS1_38merge_mergepath_config_static_selectorELNS0_4arch9wavefront6targetE1EEEvSL_
	.p2align	8
	.type	_ZN7rocprim17ROCPRIM_400000_NS6detail17trampoline_kernelINS0_14default_configENS1_38merge_sort_block_merge_config_selectorItNS0_10empty_typeEEEZZNS1_27merge_sort_block_merge_implIS3_N6thrust23THRUST_200600_302600_NS6detail15normal_iteratorINS9_10device_ptrItEEEEPS5_jNS1_19radix_merge_compareILb0ELb0EtNS0_19identity_decomposerEEEEE10hipError_tT0_T1_T2_jT3_P12ihipStream_tbPNSt15iterator_traitsISK_E10value_typeEPNSQ_ISL_E10value_typeEPSM_NS1_7vsmem_tEENKUlT_SK_SL_SM_E_clIPtSE_SF_SF_EESJ_SZ_SK_SL_SM_EUlSZ_E0_NS1_11comp_targetILNS1_3genE8ELNS1_11target_archE1030ELNS1_3gpuE2ELNS1_3repE0EEENS1_38merge_mergepath_config_static_selectorELNS0_4arch9wavefront6targetE1EEEvSL_,@function
_ZN7rocprim17ROCPRIM_400000_NS6detail17trampoline_kernelINS0_14default_configENS1_38merge_sort_block_merge_config_selectorItNS0_10empty_typeEEEZZNS1_27merge_sort_block_merge_implIS3_N6thrust23THRUST_200600_302600_NS6detail15normal_iteratorINS9_10device_ptrItEEEEPS5_jNS1_19radix_merge_compareILb0ELb0EtNS0_19identity_decomposerEEEEE10hipError_tT0_T1_T2_jT3_P12ihipStream_tbPNSt15iterator_traitsISK_E10value_typeEPNSQ_ISL_E10value_typeEPSM_NS1_7vsmem_tEENKUlT_SK_SL_SM_E_clIPtSE_SF_SF_EESJ_SZ_SK_SL_SM_EUlSZ_E0_NS1_11comp_targetILNS1_3genE8ELNS1_11target_archE1030ELNS1_3gpuE2ELNS1_3repE0EEENS1_38merge_mergepath_config_static_selectorELNS0_4arch9wavefront6targetE1EEEvSL_: ; @_ZN7rocprim17ROCPRIM_400000_NS6detail17trampoline_kernelINS0_14default_configENS1_38merge_sort_block_merge_config_selectorItNS0_10empty_typeEEEZZNS1_27merge_sort_block_merge_implIS3_N6thrust23THRUST_200600_302600_NS6detail15normal_iteratorINS9_10device_ptrItEEEEPS5_jNS1_19radix_merge_compareILb0ELb0EtNS0_19identity_decomposerEEEEE10hipError_tT0_T1_T2_jT3_P12ihipStream_tbPNSt15iterator_traitsISK_E10value_typeEPNSQ_ISL_E10value_typeEPSM_NS1_7vsmem_tEENKUlT_SK_SL_SM_E_clIPtSE_SF_SF_EESJ_SZ_SK_SL_SM_EUlSZ_E0_NS1_11comp_targetILNS1_3genE8ELNS1_11target_archE1030ELNS1_3gpuE2ELNS1_3repE0EEENS1_38merge_mergepath_config_static_selectorELNS0_4arch9wavefront6targetE1EEEvSL_
; %bb.0:
	.section	.rodata,"a",@progbits
	.p2align	6, 0x0
	.amdhsa_kernel _ZN7rocprim17ROCPRIM_400000_NS6detail17trampoline_kernelINS0_14default_configENS1_38merge_sort_block_merge_config_selectorItNS0_10empty_typeEEEZZNS1_27merge_sort_block_merge_implIS3_N6thrust23THRUST_200600_302600_NS6detail15normal_iteratorINS9_10device_ptrItEEEEPS5_jNS1_19radix_merge_compareILb0ELb0EtNS0_19identity_decomposerEEEEE10hipError_tT0_T1_T2_jT3_P12ihipStream_tbPNSt15iterator_traitsISK_E10value_typeEPNSQ_ISL_E10value_typeEPSM_NS1_7vsmem_tEENKUlT_SK_SL_SM_E_clIPtSE_SF_SF_EESJ_SZ_SK_SL_SM_EUlSZ_E0_NS1_11comp_targetILNS1_3genE8ELNS1_11target_archE1030ELNS1_3gpuE2ELNS1_3repE0EEENS1_38merge_mergepath_config_static_selectorELNS0_4arch9wavefront6targetE1EEEvSL_
		.amdhsa_group_segment_fixed_size 0
		.amdhsa_private_segment_fixed_size 0
		.amdhsa_kernarg_size 64
		.amdhsa_user_sgpr_count 2
		.amdhsa_user_sgpr_dispatch_ptr 0
		.amdhsa_user_sgpr_queue_ptr 0
		.amdhsa_user_sgpr_kernarg_segment_ptr 1
		.amdhsa_user_sgpr_dispatch_id 0
		.amdhsa_user_sgpr_kernarg_preload_length 0
		.amdhsa_user_sgpr_kernarg_preload_offset 0
		.amdhsa_user_sgpr_private_segment_size 0
		.amdhsa_uses_dynamic_stack 0
		.amdhsa_enable_private_segment 0
		.amdhsa_system_sgpr_workgroup_id_x 1
		.amdhsa_system_sgpr_workgroup_id_y 0
		.amdhsa_system_sgpr_workgroup_id_z 0
		.amdhsa_system_sgpr_workgroup_info 0
		.amdhsa_system_vgpr_workitem_id 0
		.amdhsa_next_free_vgpr 1
		.amdhsa_next_free_sgpr 0
		.amdhsa_accum_offset 4
		.amdhsa_reserve_vcc 0
		.amdhsa_float_round_mode_32 0
		.amdhsa_float_round_mode_16_64 0
		.amdhsa_float_denorm_mode_32 3
		.amdhsa_float_denorm_mode_16_64 3
		.amdhsa_dx10_clamp 1
		.amdhsa_ieee_mode 1
		.amdhsa_fp16_overflow 0
		.amdhsa_tg_split 0
		.amdhsa_exception_fp_ieee_invalid_op 0
		.amdhsa_exception_fp_denorm_src 0
		.amdhsa_exception_fp_ieee_div_zero 0
		.amdhsa_exception_fp_ieee_overflow 0
		.amdhsa_exception_fp_ieee_underflow 0
		.amdhsa_exception_fp_ieee_inexact 0
		.amdhsa_exception_int_div_zero 0
	.end_amdhsa_kernel
	.section	.text._ZN7rocprim17ROCPRIM_400000_NS6detail17trampoline_kernelINS0_14default_configENS1_38merge_sort_block_merge_config_selectorItNS0_10empty_typeEEEZZNS1_27merge_sort_block_merge_implIS3_N6thrust23THRUST_200600_302600_NS6detail15normal_iteratorINS9_10device_ptrItEEEEPS5_jNS1_19radix_merge_compareILb0ELb0EtNS0_19identity_decomposerEEEEE10hipError_tT0_T1_T2_jT3_P12ihipStream_tbPNSt15iterator_traitsISK_E10value_typeEPNSQ_ISL_E10value_typeEPSM_NS1_7vsmem_tEENKUlT_SK_SL_SM_E_clIPtSE_SF_SF_EESJ_SZ_SK_SL_SM_EUlSZ_E0_NS1_11comp_targetILNS1_3genE8ELNS1_11target_archE1030ELNS1_3gpuE2ELNS1_3repE0EEENS1_38merge_mergepath_config_static_selectorELNS0_4arch9wavefront6targetE1EEEvSL_,"axG",@progbits,_ZN7rocprim17ROCPRIM_400000_NS6detail17trampoline_kernelINS0_14default_configENS1_38merge_sort_block_merge_config_selectorItNS0_10empty_typeEEEZZNS1_27merge_sort_block_merge_implIS3_N6thrust23THRUST_200600_302600_NS6detail15normal_iteratorINS9_10device_ptrItEEEEPS5_jNS1_19radix_merge_compareILb0ELb0EtNS0_19identity_decomposerEEEEE10hipError_tT0_T1_T2_jT3_P12ihipStream_tbPNSt15iterator_traitsISK_E10value_typeEPNSQ_ISL_E10value_typeEPSM_NS1_7vsmem_tEENKUlT_SK_SL_SM_E_clIPtSE_SF_SF_EESJ_SZ_SK_SL_SM_EUlSZ_E0_NS1_11comp_targetILNS1_3genE8ELNS1_11target_archE1030ELNS1_3gpuE2ELNS1_3repE0EEENS1_38merge_mergepath_config_static_selectorELNS0_4arch9wavefront6targetE1EEEvSL_,comdat
.Lfunc_end1221:
	.size	_ZN7rocprim17ROCPRIM_400000_NS6detail17trampoline_kernelINS0_14default_configENS1_38merge_sort_block_merge_config_selectorItNS0_10empty_typeEEEZZNS1_27merge_sort_block_merge_implIS3_N6thrust23THRUST_200600_302600_NS6detail15normal_iteratorINS9_10device_ptrItEEEEPS5_jNS1_19radix_merge_compareILb0ELb0EtNS0_19identity_decomposerEEEEE10hipError_tT0_T1_T2_jT3_P12ihipStream_tbPNSt15iterator_traitsISK_E10value_typeEPNSQ_ISL_E10value_typeEPSM_NS1_7vsmem_tEENKUlT_SK_SL_SM_E_clIPtSE_SF_SF_EESJ_SZ_SK_SL_SM_EUlSZ_E0_NS1_11comp_targetILNS1_3genE8ELNS1_11target_archE1030ELNS1_3gpuE2ELNS1_3repE0EEENS1_38merge_mergepath_config_static_selectorELNS0_4arch9wavefront6targetE1EEEvSL_, .Lfunc_end1221-_ZN7rocprim17ROCPRIM_400000_NS6detail17trampoline_kernelINS0_14default_configENS1_38merge_sort_block_merge_config_selectorItNS0_10empty_typeEEEZZNS1_27merge_sort_block_merge_implIS3_N6thrust23THRUST_200600_302600_NS6detail15normal_iteratorINS9_10device_ptrItEEEEPS5_jNS1_19radix_merge_compareILb0ELb0EtNS0_19identity_decomposerEEEEE10hipError_tT0_T1_T2_jT3_P12ihipStream_tbPNSt15iterator_traitsISK_E10value_typeEPNSQ_ISL_E10value_typeEPSM_NS1_7vsmem_tEENKUlT_SK_SL_SM_E_clIPtSE_SF_SF_EESJ_SZ_SK_SL_SM_EUlSZ_E0_NS1_11comp_targetILNS1_3genE8ELNS1_11target_archE1030ELNS1_3gpuE2ELNS1_3repE0EEENS1_38merge_mergepath_config_static_selectorELNS0_4arch9wavefront6targetE1EEEvSL_
                                        ; -- End function
	.section	.AMDGPU.csdata,"",@progbits
; Kernel info:
; codeLenInByte = 0
; NumSgprs: 6
; NumVgprs: 0
; NumAgprs: 0
; TotalNumVgprs: 0
; ScratchSize: 0
; MemoryBound: 0
; FloatMode: 240
; IeeeMode: 1
; LDSByteSize: 0 bytes/workgroup (compile time only)
; SGPRBlocks: 0
; VGPRBlocks: 0
; NumSGPRsForWavesPerEU: 6
; NumVGPRsForWavesPerEU: 1
; AccumOffset: 4
; Occupancy: 8
; WaveLimiterHint : 0
; COMPUTE_PGM_RSRC2:SCRATCH_EN: 0
; COMPUTE_PGM_RSRC2:USER_SGPR: 2
; COMPUTE_PGM_RSRC2:TRAP_HANDLER: 0
; COMPUTE_PGM_RSRC2:TGID_X_EN: 1
; COMPUTE_PGM_RSRC2:TGID_Y_EN: 0
; COMPUTE_PGM_RSRC2:TGID_Z_EN: 0
; COMPUTE_PGM_RSRC2:TIDIG_COMP_CNT: 0
; COMPUTE_PGM_RSRC3_GFX90A:ACCUM_OFFSET: 0
; COMPUTE_PGM_RSRC3_GFX90A:TG_SPLIT: 0
	.section	.text._ZN7rocprim17ROCPRIM_400000_NS6detail17trampoline_kernelINS0_14default_configENS1_38merge_sort_block_merge_config_selectorItNS0_10empty_typeEEEZZNS1_27merge_sort_block_merge_implIS3_N6thrust23THRUST_200600_302600_NS6detail15normal_iteratorINS9_10device_ptrItEEEEPS5_jNS1_19radix_merge_compareILb0ELb0EtNS0_19identity_decomposerEEEEE10hipError_tT0_T1_T2_jT3_P12ihipStream_tbPNSt15iterator_traitsISK_E10value_typeEPNSQ_ISL_E10value_typeEPSM_NS1_7vsmem_tEENKUlT_SK_SL_SM_E_clIPtSE_SF_SF_EESJ_SZ_SK_SL_SM_EUlSZ_E1_NS1_11comp_targetILNS1_3genE0ELNS1_11target_archE4294967295ELNS1_3gpuE0ELNS1_3repE0EEENS1_36merge_oddeven_config_static_selectorELNS0_4arch9wavefront6targetE1EEEvSL_,"axG",@progbits,_ZN7rocprim17ROCPRIM_400000_NS6detail17trampoline_kernelINS0_14default_configENS1_38merge_sort_block_merge_config_selectorItNS0_10empty_typeEEEZZNS1_27merge_sort_block_merge_implIS3_N6thrust23THRUST_200600_302600_NS6detail15normal_iteratorINS9_10device_ptrItEEEEPS5_jNS1_19radix_merge_compareILb0ELb0EtNS0_19identity_decomposerEEEEE10hipError_tT0_T1_T2_jT3_P12ihipStream_tbPNSt15iterator_traitsISK_E10value_typeEPNSQ_ISL_E10value_typeEPSM_NS1_7vsmem_tEENKUlT_SK_SL_SM_E_clIPtSE_SF_SF_EESJ_SZ_SK_SL_SM_EUlSZ_E1_NS1_11comp_targetILNS1_3genE0ELNS1_11target_archE4294967295ELNS1_3gpuE0ELNS1_3repE0EEENS1_36merge_oddeven_config_static_selectorELNS0_4arch9wavefront6targetE1EEEvSL_,comdat
	.protected	_ZN7rocprim17ROCPRIM_400000_NS6detail17trampoline_kernelINS0_14default_configENS1_38merge_sort_block_merge_config_selectorItNS0_10empty_typeEEEZZNS1_27merge_sort_block_merge_implIS3_N6thrust23THRUST_200600_302600_NS6detail15normal_iteratorINS9_10device_ptrItEEEEPS5_jNS1_19radix_merge_compareILb0ELb0EtNS0_19identity_decomposerEEEEE10hipError_tT0_T1_T2_jT3_P12ihipStream_tbPNSt15iterator_traitsISK_E10value_typeEPNSQ_ISL_E10value_typeEPSM_NS1_7vsmem_tEENKUlT_SK_SL_SM_E_clIPtSE_SF_SF_EESJ_SZ_SK_SL_SM_EUlSZ_E1_NS1_11comp_targetILNS1_3genE0ELNS1_11target_archE4294967295ELNS1_3gpuE0ELNS1_3repE0EEENS1_36merge_oddeven_config_static_selectorELNS0_4arch9wavefront6targetE1EEEvSL_ ; -- Begin function _ZN7rocprim17ROCPRIM_400000_NS6detail17trampoline_kernelINS0_14default_configENS1_38merge_sort_block_merge_config_selectorItNS0_10empty_typeEEEZZNS1_27merge_sort_block_merge_implIS3_N6thrust23THRUST_200600_302600_NS6detail15normal_iteratorINS9_10device_ptrItEEEEPS5_jNS1_19radix_merge_compareILb0ELb0EtNS0_19identity_decomposerEEEEE10hipError_tT0_T1_T2_jT3_P12ihipStream_tbPNSt15iterator_traitsISK_E10value_typeEPNSQ_ISL_E10value_typeEPSM_NS1_7vsmem_tEENKUlT_SK_SL_SM_E_clIPtSE_SF_SF_EESJ_SZ_SK_SL_SM_EUlSZ_E1_NS1_11comp_targetILNS1_3genE0ELNS1_11target_archE4294967295ELNS1_3gpuE0ELNS1_3repE0EEENS1_36merge_oddeven_config_static_selectorELNS0_4arch9wavefront6targetE1EEEvSL_
	.globl	_ZN7rocprim17ROCPRIM_400000_NS6detail17trampoline_kernelINS0_14default_configENS1_38merge_sort_block_merge_config_selectorItNS0_10empty_typeEEEZZNS1_27merge_sort_block_merge_implIS3_N6thrust23THRUST_200600_302600_NS6detail15normal_iteratorINS9_10device_ptrItEEEEPS5_jNS1_19radix_merge_compareILb0ELb0EtNS0_19identity_decomposerEEEEE10hipError_tT0_T1_T2_jT3_P12ihipStream_tbPNSt15iterator_traitsISK_E10value_typeEPNSQ_ISL_E10value_typeEPSM_NS1_7vsmem_tEENKUlT_SK_SL_SM_E_clIPtSE_SF_SF_EESJ_SZ_SK_SL_SM_EUlSZ_E1_NS1_11comp_targetILNS1_3genE0ELNS1_11target_archE4294967295ELNS1_3gpuE0ELNS1_3repE0EEENS1_36merge_oddeven_config_static_selectorELNS0_4arch9wavefront6targetE1EEEvSL_
	.p2align	8
	.type	_ZN7rocprim17ROCPRIM_400000_NS6detail17trampoline_kernelINS0_14default_configENS1_38merge_sort_block_merge_config_selectorItNS0_10empty_typeEEEZZNS1_27merge_sort_block_merge_implIS3_N6thrust23THRUST_200600_302600_NS6detail15normal_iteratorINS9_10device_ptrItEEEEPS5_jNS1_19radix_merge_compareILb0ELb0EtNS0_19identity_decomposerEEEEE10hipError_tT0_T1_T2_jT3_P12ihipStream_tbPNSt15iterator_traitsISK_E10value_typeEPNSQ_ISL_E10value_typeEPSM_NS1_7vsmem_tEENKUlT_SK_SL_SM_E_clIPtSE_SF_SF_EESJ_SZ_SK_SL_SM_EUlSZ_E1_NS1_11comp_targetILNS1_3genE0ELNS1_11target_archE4294967295ELNS1_3gpuE0ELNS1_3repE0EEENS1_36merge_oddeven_config_static_selectorELNS0_4arch9wavefront6targetE1EEEvSL_,@function
_ZN7rocprim17ROCPRIM_400000_NS6detail17trampoline_kernelINS0_14default_configENS1_38merge_sort_block_merge_config_selectorItNS0_10empty_typeEEEZZNS1_27merge_sort_block_merge_implIS3_N6thrust23THRUST_200600_302600_NS6detail15normal_iteratorINS9_10device_ptrItEEEEPS5_jNS1_19radix_merge_compareILb0ELb0EtNS0_19identity_decomposerEEEEE10hipError_tT0_T1_T2_jT3_P12ihipStream_tbPNSt15iterator_traitsISK_E10value_typeEPNSQ_ISL_E10value_typeEPSM_NS1_7vsmem_tEENKUlT_SK_SL_SM_E_clIPtSE_SF_SF_EESJ_SZ_SK_SL_SM_EUlSZ_E1_NS1_11comp_targetILNS1_3genE0ELNS1_11target_archE4294967295ELNS1_3gpuE0ELNS1_3repE0EEENS1_36merge_oddeven_config_static_selectorELNS0_4arch9wavefront6targetE1EEEvSL_: ; @_ZN7rocprim17ROCPRIM_400000_NS6detail17trampoline_kernelINS0_14default_configENS1_38merge_sort_block_merge_config_selectorItNS0_10empty_typeEEEZZNS1_27merge_sort_block_merge_implIS3_N6thrust23THRUST_200600_302600_NS6detail15normal_iteratorINS9_10device_ptrItEEEEPS5_jNS1_19radix_merge_compareILb0ELb0EtNS0_19identity_decomposerEEEEE10hipError_tT0_T1_T2_jT3_P12ihipStream_tbPNSt15iterator_traitsISK_E10value_typeEPNSQ_ISL_E10value_typeEPSM_NS1_7vsmem_tEENKUlT_SK_SL_SM_E_clIPtSE_SF_SF_EESJ_SZ_SK_SL_SM_EUlSZ_E1_NS1_11comp_targetILNS1_3genE0ELNS1_11target_archE4294967295ELNS1_3gpuE0ELNS1_3repE0EEENS1_36merge_oddeven_config_static_selectorELNS0_4arch9wavefront6targetE1EEEvSL_
; %bb.0:
	.section	.rodata,"a",@progbits
	.p2align	6, 0x0
	.amdhsa_kernel _ZN7rocprim17ROCPRIM_400000_NS6detail17trampoline_kernelINS0_14default_configENS1_38merge_sort_block_merge_config_selectorItNS0_10empty_typeEEEZZNS1_27merge_sort_block_merge_implIS3_N6thrust23THRUST_200600_302600_NS6detail15normal_iteratorINS9_10device_ptrItEEEEPS5_jNS1_19radix_merge_compareILb0ELb0EtNS0_19identity_decomposerEEEEE10hipError_tT0_T1_T2_jT3_P12ihipStream_tbPNSt15iterator_traitsISK_E10value_typeEPNSQ_ISL_E10value_typeEPSM_NS1_7vsmem_tEENKUlT_SK_SL_SM_E_clIPtSE_SF_SF_EESJ_SZ_SK_SL_SM_EUlSZ_E1_NS1_11comp_targetILNS1_3genE0ELNS1_11target_archE4294967295ELNS1_3gpuE0ELNS1_3repE0EEENS1_36merge_oddeven_config_static_selectorELNS0_4arch9wavefront6targetE1EEEvSL_
		.amdhsa_group_segment_fixed_size 0
		.amdhsa_private_segment_fixed_size 0
		.amdhsa_kernarg_size 48
		.amdhsa_user_sgpr_count 2
		.amdhsa_user_sgpr_dispatch_ptr 0
		.amdhsa_user_sgpr_queue_ptr 0
		.amdhsa_user_sgpr_kernarg_segment_ptr 1
		.amdhsa_user_sgpr_dispatch_id 0
		.amdhsa_user_sgpr_kernarg_preload_length 0
		.amdhsa_user_sgpr_kernarg_preload_offset 0
		.amdhsa_user_sgpr_private_segment_size 0
		.amdhsa_uses_dynamic_stack 0
		.amdhsa_enable_private_segment 0
		.amdhsa_system_sgpr_workgroup_id_x 1
		.amdhsa_system_sgpr_workgroup_id_y 0
		.amdhsa_system_sgpr_workgroup_id_z 0
		.amdhsa_system_sgpr_workgroup_info 0
		.amdhsa_system_vgpr_workitem_id 0
		.amdhsa_next_free_vgpr 1
		.amdhsa_next_free_sgpr 0
		.amdhsa_accum_offset 4
		.amdhsa_reserve_vcc 0
		.amdhsa_float_round_mode_32 0
		.amdhsa_float_round_mode_16_64 0
		.amdhsa_float_denorm_mode_32 3
		.amdhsa_float_denorm_mode_16_64 3
		.amdhsa_dx10_clamp 1
		.amdhsa_ieee_mode 1
		.amdhsa_fp16_overflow 0
		.amdhsa_tg_split 0
		.amdhsa_exception_fp_ieee_invalid_op 0
		.amdhsa_exception_fp_denorm_src 0
		.amdhsa_exception_fp_ieee_div_zero 0
		.amdhsa_exception_fp_ieee_overflow 0
		.amdhsa_exception_fp_ieee_underflow 0
		.amdhsa_exception_fp_ieee_inexact 0
		.amdhsa_exception_int_div_zero 0
	.end_amdhsa_kernel
	.section	.text._ZN7rocprim17ROCPRIM_400000_NS6detail17trampoline_kernelINS0_14default_configENS1_38merge_sort_block_merge_config_selectorItNS0_10empty_typeEEEZZNS1_27merge_sort_block_merge_implIS3_N6thrust23THRUST_200600_302600_NS6detail15normal_iteratorINS9_10device_ptrItEEEEPS5_jNS1_19radix_merge_compareILb0ELb0EtNS0_19identity_decomposerEEEEE10hipError_tT0_T1_T2_jT3_P12ihipStream_tbPNSt15iterator_traitsISK_E10value_typeEPNSQ_ISL_E10value_typeEPSM_NS1_7vsmem_tEENKUlT_SK_SL_SM_E_clIPtSE_SF_SF_EESJ_SZ_SK_SL_SM_EUlSZ_E1_NS1_11comp_targetILNS1_3genE0ELNS1_11target_archE4294967295ELNS1_3gpuE0ELNS1_3repE0EEENS1_36merge_oddeven_config_static_selectorELNS0_4arch9wavefront6targetE1EEEvSL_,"axG",@progbits,_ZN7rocprim17ROCPRIM_400000_NS6detail17trampoline_kernelINS0_14default_configENS1_38merge_sort_block_merge_config_selectorItNS0_10empty_typeEEEZZNS1_27merge_sort_block_merge_implIS3_N6thrust23THRUST_200600_302600_NS6detail15normal_iteratorINS9_10device_ptrItEEEEPS5_jNS1_19radix_merge_compareILb0ELb0EtNS0_19identity_decomposerEEEEE10hipError_tT0_T1_T2_jT3_P12ihipStream_tbPNSt15iterator_traitsISK_E10value_typeEPNSQ_ISL_E10value_typeEPSM_NS1_7vsmem_tEENKUlT_SK_SL_SM_E_clIPtSE_SF_SF_EESJ_SZ_SK_SL_SM_EUlSZ_E1_NS1_11comp_targetILNS1_3genE0ELNS1_11target_archE4294967295ELNS1_3gpuE0ELNS1_3repE0EEENS1_36merge_oddeven_config_static_selectorELNS0_4arch9wavefront6targetE1EEEvSL_,comdat
.Lfunc_end1222:
	.size	_ZN7rocprim17ROCPRIM_400000_NS6detail17trampoline_kernelINS0_14default_configENS1_38merge_sort_block_merge_config_selectorItNS0_10empty_typeEEEZZNS1_27merge_sort_block_merge_implIS3_N6thrust23THRUST_200600_302600_NS6detail15normal_iteratorINS9_10device_ptrItEEEEPS5_jNS1_19radix_merge_compareILb0ELb0EtNS0_19identity_decomposerEEEEE10hipError_tT0_T1_T2_jT3_P12ihipStream_tbPNSt15iterator_traitsISK_E10value_typeEPNSQ_ISL_E10value_typeEPSM_NS1_7vsmem_tEENKUlT_SK_SL_SM_E_clIPtSE_SF_SF_EESJ_SZ_SK_SL_SM_EUlSZ_E1_NS1_11comp_targetILNS1_3genE0ELNS1_11target_archE4294967295ELNS1_3gpuE0ELNS1_3repE0EEENS1_36merge_oddeven_config_static_selectorELNS0_4arch9wavefront6targetE1EEEvSL_, .Lfunc_end1222-_ZN7rocprim17ROCPRIM_400000_NS6detail17trampoline_kernelINS0_14default_configENS1_38merge_sort_block_merge_config_selectorItNS0_10empty_typeEEEZZNS1_27merge_sort_block_merge_implIS3_N6thrust23THRUST_200600_302600_NS6detail15normal_iteratorINS9_10device_ptrItEEEEPS5_jNS1_19radix_merge_compareILb0ELb0EtNS0_19identity_decomposerEEEEE10hipError_tT0_T1_T2_jT3_P12ihipStream_tbPNSt15iterator_traitsISK_E10value_typeEPNSQ_ISL_E10value_typeEPSM_NS1_7vsmem_tEENKUlT_SK_SL_SM_E_clIPtSE_SF_SF_EESJ_SZ_SK_SL_SM_EUlSZ_E1_NS1_11comp_targetILNS1_3genE0ELNS1_11target_archE4294967295ELNS1_3gpuE0ELNS1_3repE0EEENS1_36merge_oddeven_config_static_selectorELNS0_4arch9wavefront6targetE1EEEvSL_
                                        ; -- End function
	.section	.AMDGPU.csdata,"",@progbits
; Kernel info:
; codeLenInByte = 0
; NumSgprs: 6
; NumVgprs: 0
; NumAgprs: 0
; TotalNumVgprs: 0
; ScratchSize: 0
; MemoryBound: 0
; FloatMode: 240
; IeeeMode: 1
; LDSByteSize: 0 bytes/workgroup (compile time only)
; SGPRBlocks: 0
; VGPRBlocks: 0
; NumSGPRsForWavesPerEU: 6
; NumVGPRsForWavesPerEU: 1
; AccumOffset: 4
; Occupancy: 8
; WaveLimiterHint : 0
; COMPUTE_PGM_RSRC2:SCRATCH_EN: 0
; COMPUTE_PGM_RSRC2:USER_SGPR: 2
; COMPUTE_PGM_RSRC2:TRAP_HANDLER: 0
; COMPUTE_PGM_RSRC2:TGID_X_EN: 1
; COMPUTE_PGM_RSRC2:TGID_Y_EN: 0
; COMPUTE_PGM_RSRC2:TGID_Z_EN: 0
; COMPUTE_PGM_RSRC2:TIDIG_COMP_CNT: 0
; COMPUTE_PGM_RSRC3_GFX90A:ACCUM_OFFSET: 0
; COMPUTE_PGM_RSRC3_GFX90A:TG_SPLIT: 0
	.section	.text._ZN7rocprim17ROCPRIM_400000_NS6detail17trampoline_kernelINS0_14default_configENS1_38merge_sort_block_merge_config_selectorItNS0_10empty_typeEEEZZNS1_27merge_sort_block_merge_implIS3_N6thrust23THRUST_200600_302600_NS6detail15normal_iteratorINS9_10device_ptrItEEEEPS5_jNS1_19radix_merge_compareILb0ELb0EtNS0_19identity_decomposerEEEEE10hipError_tT0_T1_T2_jT3_P12ihipStream_tbPNSt15iterator_traitsISK_E10value_typeEPNSQ_ISL_E10value_typeEPSM_NS1_7vsmem_tEENKUlT_SK_SL_SM_E_clIPtSE_SF_SF_EESJ_SZ_SK_SL_SM_EUlSZ_E1_NS1_11comp_targetILNS1_3genE10ELNS1_11target_archE1201ELNS1_3gpuE5ELNS1_3repE0EEENS1_36merge_oddeven_config_static_selectorELNS0_4arch9wavefront6targetE1EEEvSL_,"axG",@progbits,_ZN7rocprim17ROCPRIM_400000_NS6detail17trampoline_kernelINS0_14default_configENS1_38merge_sort_block_merge_config_selectorItNS0_10empty_typeEEEZZNS1_27merge_sort_block_merge_implIS3_N6thrust23THRUST_200600_302600_NS6detail15normal_iteratorINS9_10device_ptrItEEEEPS5_jNS1_19radix_merge_compareILb0ELb0EtNS0_19identity_decomposerEEEEE10hipError_tT0_T1_T2_jT3_P12ihipStream_tbPNSt15iterator_traitsISK_E10value_typeEPNSQ_ISL_E10value_typeEPSM_NS1_7vsmem_tEENKUlT_SK_SL_SM_E_clIPtSE_SF_SF_EESJ_SZ_SK_SL_SM_EUlSZ_E1_NS1_11comp_targetILNS1_3genE10ELNS1_11target_archE1201ELNS1_3gpuE5ELNS1_3repE0EEENS1_36merge_oddeven_config_static_selectorELNS0_4arch9wavefront6targetE1EEEvSL_,comdat
	.protected	_ZN7rocprim17ROCPRIM_400000_NS6detail17trampoline_kernelINS0_14default_configENS1_38merge_sort_block_merge_config_selectorItNS0_10empty_typeEEEZZNS1_27merge_sort_block_merge_implIS3_N6thrust23THRUST_200600_302600_NS6detail15normal_iteratorINS9_10device_ptrItEEEEPS5_jNS1_19radix_merge_compareILb0ELb0EtNS0_19identity_decomposerEEEEE10hipError_tT0_T1_T2_jT3_P12ihipStream_tbPNSt15iterator_traitsISK_E10value_typeEPNSQ_ISL_E10value_typeEPSM_NS1_7vsmem_tEENKUlT_SK_SL_SM_E_clIPtSE_SF_SF_EESJ_SZ_SK_SL_SM_EUlSZ_E1_NS1_11comp_targetILNS1_3genE10ELNS1_11target_archE1201ELNS1_3gpuE5ELNS1_3repE0EEENS1_36merge_oddeven_config_static_selectorELNS0_4arch9wavefront6targetE1EEEvSL_ ; -- Begin function _ZN7rocprim17ROCPRIM_400000_NS6detail17trampoline_kernelINS0_14default_configENS1_38merge_sort_block_merge_config_selectorItNS0_10empty_typeEEEZZNS1_27merge_sort_block_merge_implIS3_N6thrust23THRUST_200600_302600_NS6detail15normal_iteratorINS9_10device_ptrItEEEEPS5_jNS1_19radix_merge_compareILb0ELb0EtNS0_19identity_decomposerEEEEE10hipError_tT0_T1_T2_jT3_P12ihipStream_tbPNSt15iterator_traitsISK_E10value_typeEPNSQ_ISL_E10value_typeEPSM_NS1_7vsmem_tEENKUlT_SK_SL_SM_E_clIPtSE_SF_SF_EESJ_SZ_SK_SL_SM_EUlSZ_E1_NS1_11comp_targetILNS1_3genE10ELNS1_11target_archE1201ELNS1_3gpuE5ELNS1_3repE0EEENS1_36merge_oddeven_config_static_selectorELNS0_4arch9wavefront6targetE1EEEvSL_
	.globl	_ZN7rocprim17ROCPRIM_400000_NS6detail17trampoline_kernelINS0_14default_configENS1_38merge_sort_block_merge_config_selectorItNS0_10empty_typeEEEZZNS1_27merge_sort_block_merge_implIS3_N6thrust23THRUST_200600_302600_NS6detail15normal_iteratorINS9_10device_ptrItEEEEPS5_jNS1_19radix_merge_compareILb0ELb0EtNS0_19identity_decomposerEEEEE10hipError_tT0_T1_T2_jT3_P12ihipStream_tbPNSt15iterator_traitsISK_E10value_typeEPNSQ_ISL_E10value_typeEPSM_NS1_7vsmem_tEENKUlT_SK_SL_SM_E_clIPtSE_SF_SF_EESJ_SZ_SK_SL_SM_EUlSZ_E1_NS1_11comp_targetILNS1_3genE10ELNS1_11target_archE1201ELNS1_3gpuE5ELNS1_3repE0EEENS1_36merge_oddeven_config_static_selectorELNS0_4arch9wavefront6targetE1EEEvSL_
	.p2align	8
	.type	_ZN7rocprim17ROCPRIM_400000_NS6detail17trampoline_kernelINS0_14default_configENS1_38merge_sort_block_merge_config_selectorItNS0_10empty_typeEEEZZNS1_27merge_sort_block_merge_implIS3_N6thrust23THRUST_200600_302600_NS6detail15normal_iteratorINS9_10device_ptrItEEEEPS5_jNS1_19radix_merge_compareILb0ELb0EtNS0_19identity_decomposerEEEEE10hipError_tT0_T1_T2_jT3_P12ihipStream_tbPNSt15iterator_traitsISK_E10value_typeEPNSQ_ISL_E10value_typeEPSM_NS1_7vsmem_tEENKUlT_SK_SL_SM_E_clIPtSE_SF_SF_EESJ_SZ_SK_SL_SM_EUlSZ_E1_NS1_11comp_targetILNS1_3genE10ELNS1_11target_archE1201ELNS1_3gpuE5ELNS1_3repE0EEENS1_36merge_oddeven_config_static_selectorELNS0_4arch9wavefront6targetE1EEEvSL_,@function
_ZN7rocprim17ROCPRIM_400000_NS6detail17trampoline_kernelINS0_14default_configENS1_38merge_sort_block_merge_config_selectorItNS0_10empty_typeEEEZZNS1_27merge_sort_block_merge_implIS3_N6thrust23THRUST_200600_302600_NS6detail15normal_iteratorINS9_10device_ptrItEEEEPS5_jNS1_19radix_merge_compareILb0ELb0EtNS0_19identity_decomposerEEEEE10hipError_tT0_T1_T2_jT3_P12ihipStream_tbPNSt15iterator_traitsISK_E10value_typeEPNSQ_ISL_E10value_typeEPSM_NS1_7vsmem_tEENKUlT_SK_SL_SM_E_clIPtSE_SF_SF_EESJ_SZ_SK_SL_SM_EUlSZ_E1_NS1_11comp_targetILNS1_3genE10ELNS1_11target_archE1201ELNS1_3gpuE5ELNS1_3repE0EEENS1_36merge_oddeven_config_static_selectorELNS0_4arch9wavefront6targetE1EEEvSL_: ; @_ZN7rocprim17ROCPRIM_400000_NS6detail17trampoline_kernelINS0_14default_configENS1_38merge_sort_block_merge_config_selectorItNS0_10empty_typeEEEZZNS1_27merge_sort_block_merge_implIS3_N6thrust23THRUST_200600_302600_NS6detail15normal_iteratorINS9_10device_ptrItEEEEPS5_jNS1_19radix_merge_compareILb0ELb0EtNS0_19identity_decomposerEEEEE10hipError_tT0_T1_T2_jT3_P12ihipStream_tbPNSt15iterator_traitsISK_E10value_typeEPNSQ_ISL_E10value_typeEPSM_NS1_7vsmem_tEENKUlT_SK_SL_SM_E_clIPtSE_SF_SF_EESJ_SZ_SK_SL_SM_EUlSZ_E1_NS1_11comp_targetILNS1_3genE10ELNS1_11target_archE1201ELNS1_3gpuE5ELNS1_3repE0EEENS1_36merge_oddeven_config_static_selectorELNS0_4arch9wavefront6targetE1EEEvSL_
; %bb.0:
	.section	.rodata,"a",@progbits
	.p2align	6, 0x0
	.amdhsa_kernel _ZN7rocprim17ROCPRIM_400000_NS6detail17trampoline_kernelINS0_14default_configENS1_38merge_sort_block_merge_config_selectorItNS0_10empty_typeEEEZZNS1_27merge_sort_block_merge_implIS3_N6thrust23THRUST_200600_302600_NS6detail15normal_iteratorINS9_10device_ptrItEEEEPS5_jNS1_19radix_merge_compareILb0ELb0EtNS0_19identity_decomposerEEEEE10hipError_tT0_T1_T2_jT3_P12ihipStream_tbPNSt15iterator_traitsISK_E10value_typeEPNSQ_ISL_E10value_typeEPSM_NS1_7vsmem_tEENKUlT_SK_SL_SM_E_clIPtSE_SF_SF_EESJ_SZ_SK_SL_SM_EUlSZ_E1_NS1_11comp_targetILNS1_3genE10ELNS1_11target_archE1201ELNS1_3gpuE5ELNS1_3repE0EEENS1_36merge_oddeven_config_static_selectorELNS0_4arch9wavefront6targetE1EEEvSL_
		.amdhsa_group_segment_fixed_size 0
		.amdhsa_private_segment_fixed_size 0
		.amdhsa_kernarg_size 48
		.amdhsa_user_sgpr_count 2
		.amdhsa_user_sgpr_dispatch_ptr 0
		.amdhsa_user_sgpr_queue_ptr 0
		.amdhsa_user_sgpr_kernarg_segment_ptr 1
		.amdhsa_user_sgpr_dispatch_id 0
		.amdhsa_user_sgpr_kernarg_preload_length 0
		.amdhsa_user_sgpr_kernarg_preload_offset 0
		.amdhsa_user_sgpr_private_segment_size 0
		.amdhsa_uses_dynamic_stack 0
		.amdhsa_enable_private_segment 0
		.amdhsa_system_sgpr_workgroup_id_x 1
		.amdhsa_system_sgpr_workgroup_id_y 0
		.amdhsa_system_sgpr_workgroup_id_z 0
		.amdhsa_system_sgpr_workgroup_info 0
		.amdhsa_system_vgpr_workitem_id 0
		.amdhsa_next_free_vgpr 1
		.amdhsa_next_free_sgpr 0
		.amdhsa_accum_offset 4
		.amdhsa_reserve_vcc 0
		.amdhsa_float_round_mode_32 0
		.amdhsa_float_round_mode_16_64 0
		.amdhsa_float_denorm_mode_32 3
		.amdhsa_float_denorm_mode_16_64 3
		.amdhsa_dx10_clamp 1
		.amdhsa_ieee_mode 1
		.amdhsa_fp16_overflow 0
		.amdhsa_tg_split 0
		.amdhsa_exception_fp_ieee_invalid_op 0
		.amdhsa_exception_fp_denorm_src 0
		.amdhsa_exception_fp_ieee_div_zero 0
		.amdhsa_exception_fp_ieee_overflow 0
		.amdhsa_exception_fp_ieee_underflow 0
		.amdhsa_exception_fp_ieee_inexact 0
		.amdhsa_exception_int_div_zero 0
	.end_amdhsa_kernel
	.section	.text._ZN7rocprim17ROCPRIM_400000_NS6detail17trampoline_kernelINS0_14default_configENS1_38merge_sort_block_merge_config_selectorItNS0_10empty_typeEEEZZNS1_27merge_sort_block_merge_implIS3_N6thrust23THRUST_200600_302600_NS6detail15normal_iteratorINS9_10device_ptrItEEEEPS5_jNS1_19radix_merge_compareILb0ELb0EtNS0_19identity_decomposerEEEEE10hipError_tT0_T1_T2_jT3_P12ihipStream_tbPNSt15iterator_traitsISK_E10value_typeEPNSQ_ISL_E10value_typeEPSM_NS1_7vsmem_tEENKUlT_SK_SL_SM_E_clIPtSE_SF_SF_EESJ_SZ_SK_SL_SM_EUlSZ_E1_NS1_11comp_targetILNS1_3genE10ELNS1_11target_archE1201ELNS1_3gpuE5ELNS1_3repE0EEENS1_36merge_oddeven_config_static_selectorELNS0_4arch9wavefront6targetE1EEEvSL_,"axG",@progbits,_ZN7rocprim17ROCPRIM_400000_NS6detail17trampoline_kernelINS0_14default_configENS1_38merge_sort_block_merge_config_selectorItNS0_10empty_typeEEEZZNS1_27merge_sort_block_merge_implIS3_N6thrust23THRUST_200600_302600_NS6detail15normal_iteratorINS9_10device_ptrItEEEEPS5_jNS1_19radix_merge_compareILb0ELb0EtNS0_19identity_decomposerEEEEE10hipError_tT0_T1_T2_jT3_P12ihipStream_tbPNSt15iterator_traitsISK_E10value_typeEPNSQ_ISL_E10value_typeEPSM_NS1_7vsmem_tEENKUlT_SK_SL_SM_E_clIPtSE_SF_SF_EESJ_SZ_SK_SL_SM_EUlSZ_E1_NS1_11comp_targetILNS1_3genE10ELNS1_11target_archE1201ELNS1_3gpuE5ELNS1_3repE0EEENS1_36merge_oddeven_config_static_selectorELNS0_4arch9wavefront6targetE1EEEvSL_,comdat
.Lfunc_end1223:
	.size	_ZN7rocprim17ROCPRIM_400000_NS6detail17trampoline_kernelINS0_14default_configENS1_38merge_sort_block_merge_config_selectorItNS0_10empty_typeEEEZZNS1_27merge_sort_block_merge_implIS3_N6thrust23THRUST_200600_302600_NS6detail15normal_iteratorINS9_10device_ptrItEEEEPS5_jNS1_19radix_merge_compareILb0ELb0EtNS0_19identity_decomposerEEEEE10hipError_tT0_T1_T2_jT3_P12ihipStream_tbPNSt15iterator_traitsISK_E10value_typeEPNSQ_ISL_E10value_typeEPSM_NS1_7vsmem_tEENKUlT_SK_SL_SM_E_clIPtSE_SF_SF_EESJ_SZ_SK_SL_SM_EUlSZ_E1_NS1_11comp_targetILNS1_3genE10ELNS1_11target_archE1201ELNS1_3gpuE5ELNS1_3repE0EEENS1_36merge_oddeven_config_static_selectorELNS0_4arch9wavefront6targetE1EEEvSL_, .Lfunc_end1223-_ZN7rocprim17ROCPRIM_400000_NS6detail17trampoline_kernelINS0_14default_configENS1_38merge_sort_block_merge_config_selectorItNS0_10empty_typeEEEZZNS1_27merge_sort_block_merge_implIS3_N6thrust23THRUST_200600_302600_NS6detail15normal_iteratorINS9_10device_ptrItEEEEPS5_jNS1_19radix_merge_compareILb0ELb0EtNS0_19identity_decomposerEEEEE10hipError_tT0_T1_T2_jT3_P12ihipStream_tbPNSt15iterator_traitsISK_E10value_typeEPNSQ_ISL_E10value_typeEPSM_NS1_7vsmem_tEENKUlT_SK_SL_SM_E_clIPtSE_SF_SF_EESJ_SZ_SK_SL_SM_EUlSZ_E1_NS1_11comp_targetILNS1_3genE10ELNS1_11target_archE1201ELNS1_3gpuE5ELNS1_3repE0EEENS1_36merge_oddeven_config_static_selectorELNS0_4arch9wavefront6targetE1EEEvSL_
                                        ; -- End function
	.section	.AMDGPU.csdata,"",@progbits
; Kernel info:
; codeLenInByte = 0
; NumSgprs: 6
; NumVgprs: 0
; NumAgprs: 0
; TotalNumVgprs: 0
; ScratchSize: 0
; MemoryBound: 0
; FloatMode: 240
; IeeeMode: 1
; LDSByteSize: 0 bytes/workgroup (compile time only)
; SGPRBlocks: 0
; VGPRBlocks: 0
; NumSGPRsForWavesPerEU: 6
; NumVGPRsForWavesPerEU: 1
; AccumOffset: 4
; Occupancy: 8
; WaveLimiterHint : 0
; COMPUTE_PGM_RSRC2:SCRATCH_EN: 0
; COMPUTE_PGM_RSRC2:USER_SGPR: 2
; COMPUTE_PGM_RSRC2:TRAP_HANDLER: 0
; COMPUTE_PGM_RSRC2:TGID_X_EN: 1
; COMPUTE_PGM_RSRC2:TGID_Y_EN: 0
; COMPUTE_PGM_RSRC2:TGID_Z_EN: 0
; COMPUTE_PGM_RSRC2:TIDIG_COMP_CNT: 0
; COMPUTE_PGM_RSRC3_GFX90A:ACCUM_OFFSET: 0
; COMPUTE_PGM_RSRC3_GFX90A:TG_SPLIT: 0
	.section	.text._ZN7rocprim17ROCPRIM_400000_NS6detail17trampoline_kernelINS0_14default_configENS1_38merge_sort_block_merge_config_selectorItNS0_10empty_typeEEEZZNS1_27merge_sort_block_merge_implIS3_N6thrust23THRUST_200600_302600_NS6detail15normal_iteratorINS9_10device_ptrItEEEEPS5_jNS1_19radix_merge_compareILb0ELb0EtNS0_19identity_decomposerEEEEE10hipError_tT0_T1_T2_jT3_P12ihipStream_tbPNSt15iterator_traitsISK_E10value_typeEPNSQ_ISL_E10value_typeEPSM_NS1_7vsmem_tEENKUlT_SK_SL_SM_E_clIPtSE_SF_SF_EESJ_SZ_SK_SL_SM_EUlSZ_E1_NS1_11comp_targetILNS1_3genE5ELNS1_11target_archE942ELNS1_3gpuE9ELNS1_3repE0EEENS1_36merge_oddeven_config_static_selectorELNS0_4arch9wavefront6targetE1EEEvSL_,"axG",@progbits,_ZN7rocprim17ROCPRIM_400000_NS6detail17trampoline_kernelINS0_14default_configENS1_38merge_sort_block_merge_config_selectorItNS0_10empty_typeEEEZZNS1_27merge_sort_block_merge_implIS3_N6thrust23THRUST_200600_302600_NS6detail15normal_iteratorINS9_10device_ptrItEEEEPS5_jNS1_19radix_merge_compareILb0ELb0EtNS0_19identity_decomposerEEEEE10hipError_tT0_T1_T2_jT3_P12ihipStream_tbPNSt15iterator_traitsISK_E10value_typeEPNSQ_ISL_E10value_typeEPSM_NS1_7vsmem_tEENKUlT_SK_SL_SM_E_clIPtSE_SF_SF_EESJ_SZ_SK_SL_SM_EUlSZ_E1_NS1_11comp_targetILNS1_3genE5ELNS1_11target_archE942ELNS1_3gpuE9ELNS1_3repE0EEENS1_36merge_oddeven_config_static_selectorELNS0_4arch9wavefront6targetE1EEEvSL_,comdat
	.protected	_ZN7rocprim17ROCPRIM_400000_NS6detail17trampoline_kernelINS0_14default_configENS1_38merge_sort_block_merge_config_selectorItNS0_10empty_typeEEEZZNS1_27merge_sort_block_merge_implIS3_N6thrust23THRUST_200600_302600_NS6detail15normal_iteratorINS9_10device_ptrItEEEEPS5_jNS1_19radix_merge_compareILb0ELb0EtNS0_19identity_decomposerEEEEE10hipError_tT0_T1_T2_jT3_P12ihipStream_tbPNSt15iterator_traitsISK_E10value_typeEPNSQ_ISL_E10value_typeEPSM_NS1_7vsmem_tEENKUlT_SK_SL_SM_E_clIPtSE_SF_SF_EESJ_SZ_SK_SL_SM_EUlSZ_E1_NS1_11comp_targetILNS1_3genE5ELNS1_11target_archE942ELNS1_3gpuE9ELNS1_3repE0EEENS1_36merge_oddeven_config_static_selectorELNS0_4arch9wavefront6targetE1EEEvSL_ ; -- Begin function _ZN7rocprim17ROCPRIM_400000_NS6detail17trampoline_kernelINS0_14default_configENS1_38merge_sort_block_merge_config_selectorItNS0_10empty_typeEEEZZNS1_27merge_sort_block_merge_implIS3_N6thrust23THRUST_200600_302600_NS6detail15normal_iteratorINS9_10device_ptrItEEEEPS5_jNS1_19radix_merge_compareILb0ELb0EtNS0_19identity_decomposerEEEEE10hipError_tT0_T1_T2_jT3_P12ihipStream_tbPNSt15iterator_traitsISK_E10value_typeEPNSQ_ISL_E10value_typeEPSM_NS1_7vsmem_tEENKUlT_SK_SL_SM_E_clIPtSE_SF_SF_EESJ_SZ_SK_SL_SM_EUlSZ_E1_NS1_11comp_targetILNS1_3genE5ELNS1_11target_archE942ELNS1_3gpuE9ELNS1_3repE0EEENS1_36merge_oddeven_config_static_selectorELNS0_4arch9wavefront6targetE1EEEvSL_
	.globl	_ZN7rocprim17ROCPRIM_400000_NS6detail17trampoline_kernelINS0_14default_configENS1_38merge_sort_block_merge_config_selectorItNS0_10empty_typeEEEZZNS1_27merge_sort_block_merge_implIS3_N6thrust23THRUST_200600_302600_NS6detail15normal_iteratorINS9_10device_ptrItEEEEPS5_jNS1_19radix_merge_compareILb0ELb0EtNS0_19identity_decomposerEEEEE10hipError_tT0_T1_T2_jT3_P12ihipStream_tbPNSt15iterator_traitsISK_E10value_typeEPNSQ_ISL_E10value_typeEPSM_NS1_7vsmem_tEENKUlT_SK_SL_SM_E_clIPtSE_SF_SF_EESJ_SZ_SK_SL_SM_EUlSZ_E1_NS1_11comp_targetILNS1_3genE5ELNS1_11target_archE942ELNS1_3gpuE9ELNS1_3repE0EEENS1_36merge_oddeven_config_static_selectorELNS0_4arch9wavefront6targetE1EEEvSL_
	.p2align	8
	.type	_ZN7rocprim17ROCPRIM_400000_NS6detail17trampoline_kernelINS0_14default_configENS1_38merge_sort_block_merge_config_selectorItNS0_10empty_typeEEEZZNS1_27merge_sort_block_merge_implIS3_N6thrust23THRUST_200600_302600_NS6detail15normal_iteratorINS9_10device_ptrItEEEEPS5_jNS1_19radix_merge_compareILb0ELb0EtNS0_19identity_decomposerEEEEE10hipError_tT0_T1_T2_jT3_P12ihipStream_tbPNSt15iterator_traitsISK_E10value_typeEPNSQ_ISL_E10value_typeEPSM_NS1_7vsmem_tEENKUlT_SK_SL_SM_E_clIPtSE_SF_SF_EESJ_SZ_SK_SL_SM_EUlSZ_E1_NS1_11comp_targetILNS1_3genE5ELNS1_11target_archE942ELNS1_3gpuE9ELNS1_3repE0EEENS1_36merge_oddeven_config_static_selectorELNS0_4arch9wavefront6targetE1EEEvSL_,@function
_ZN7rocprim17ROCPRIM_400000_NS6detail17trampoline_kernelINS0_14default_configENS1_38merge_sort_block_merge_config_selectorItNS0_10empty_typeEEEZZNS1_27merge_sort_block_merge_implIS3_N6thrust23THRUST_200600_302600_NS6detail15normal_iteratorINS9_10device_ptrItEEEEPS5_jNS1_19radix_merge_compareILb0ELb0EtNS0_19identity_decomposerEEEEE10hipError_tT0_T1_T2_jT3_P12ihipStream_tbPNSt15iterator_traitsISK_E10value_typeEPNSQ_ISL_E10value_typeEPSM_NS1_7vsmem_tEENKUlT_SK_SL_SM_E_clIPtSE_SF_SF_EESJ_SZ_SK_SL_SM_EUlSZ_E1_NS1_11comp_targetILNS1_3genE5ELNS1_11target_archE942ELNS1_3gpuE9ELNS1_3repE0EEENS1_36merge_oddeven_config_static_selectorELNS0_4arch9wavefront6targetE1EEEvSL_: ; @_ZN7rocprim17ROCPRIM_400000_NS6detail17trampoline_kernelINS0_14default_configENS1_38merge_sort_block_merge_config_selectorItNS0_10empty_typeEEEZZNS1_27merge_sort_block_merge_implIS3_N6thrust23THRUST_200600_302600_NS6detail15normal_iteratorINS9_10device_ptrItEEEEPS5_jNS1_19radix_merge_compareILb0ELb0EtNS0_19identity_decomposerEEEEE10hipError_tT0_T1_T2_jT3_P12ihipStream_tbPNSt15iterator_traitsISK_E10value_typeEPNSQ_ISL_E10value_typeEPSM_NS1_7vsmem_tEENKUlT_SK_SL_SM_E_clIPtSE_SF_SF_EESJ_SZ_SK_SL_SM_EUlSZ_E1_NS1_11comp_targetILNS1_3genE5ELNS1_11target_archE942ELNS1_3gpuE9ELNS1_3repE0EEENS1_36merge_oddeven_config_static_selectorELNS0_4arch9wavefront6targetE1EEEvSL_
; %bb.0:
	s_load_dword s16, s[0:1], 0x20
	s_waitcnt lgkmcnt(0)
	s_lshr_b32 s3, s16, 8
	s_cmp_lg_u32 s2, s3
	s_cselect_b64 s[12:13], -1, 0
	s_cmp_eq_u32 s2, s3
	s_cselect_b64 s[6:7], -1, 0
	s_lshl_b32 s14, s2, 8
	s_sub_i32 s3, s16, s14
	v_cmp_gt_u32_e64 s[4:5], s3, v0
	s_or_b64 s[8:9], s[12:13], s[4:5]
	s_and_saveexec_b64 s[10:11], s[8:9]
	s_cbranch_execz .LBB1224_20
; %bb.1:
	s_load_dwordx4 s[8:11], s[0:1], 0x0
	s_load_dword s17, s[0:1], 0x24
	s_mov_b32 s15, 0
	s_lshl_b64 s[0:1], s[14:15], 1
	v_lshlrev_b32_e32 v1, 1, v0
	s_waitcnt lgkmcnt(0)
	s_add_u32 s0, s8, s0
	s_addc_u32 s1, s9, s1
	global_load_ushort v2, v1, s[0:1]
	s_lshr_b32 s0, s17, 8
	s_sub_i32 s1, 0, s0
	s_and_b32 s1, s2, s1
	s_and_b32 s0, s1, s0
	s_lshl_b32 s18, s1, 8
	s_sub_i32 s15, 0, s17
	s_cmp_eq_u32 s0, 0
	s_cselect_b64 s[0:1], -1, 0
	s_and_b64 s[2:3], s[0:1], exec
	s_cselect_b32 s15, s17, s15
	s_add_i32 s15, s15, s18
	s_cmp_lt_u32 s15, s16
	v_add_u32_e32 v0, s14, v0
	s_cbranch_scc1 .LBB1224_3
; %bb.2:
	v_cmp_gt_u32_e32 vcc, s16, v0
	s_or_b64 s[2:3], vcc, s[12:13]
	s_and_b64 s[2:3], s[2:3], exec
	s_cbranch_execz .LBB1224_4
	s_branch .LBB1224_18
.LBB1224_3:
	s_mov_b64 s[2:3], 0
.LBB1224_4:
	s_min_u32 s12, s15, s16
	s_min_u32 s14, s18, s12
	s_add_i32 s18, s18, s12
	s_add_i32 s13, s12, s17
	v_subrev_u32_e32 v0, s18, v0
	s_min_u32 s13, s13, s16
	v_add_u32_e32 v1, s14, v0
	s_and_b64 vcc, exec, s[6:7]
	s_cbranch_vccz .LBB1224_12
; %bb.5:
                                        ; implicit-def: $vgpr0
	s_and_saveexec_b64 s[6:7], s[4:5]
	s_cbranch_execz .LBB1224_11
; %bb.6:
	s_cmp_ge_u32 s15, s13
	v_mov_b32_e32 v0, s12
	s_cbranch_scc1 .LBB1224_10
; %bb.7:
	s_mov_b64 s[4:5], 0
	v_mov_b32_e32 v3, s13
	v_mov_b32_e32 v0, s12
.LBB1224_8:                             ; =>This Inner Loop Header: Depth=1
	v_add_u32_e32 v4, v0, v3
	v_and_b32_e32 v5, -2, v4
	global_load_ushort v5, v5, s[8:9]
	v_lshrrev_b32_e32 v4, 1, v4
	v_add_u32_e32 v6, 1, v4
	s_waitcnt vmcnt(0)
	v_cmp_gt_u16_e32 vcc, v2, v5
	s_nop 1
	v_cndmask_b32_e64 v7, 0, 1, vcc
	v_cmp_le_u16_e32 vcc, v5, v2
	s_nop 1
	v_cndmask_b32_e64 v5, 0, 1, vcc
	v_cndmask_b32_e64 v5, v5, v7, s[0:1]
	v_and_b32_e32 v5, 1, v5
	v_cmp_eq_u32_e32 vcc, 1, v5
	s_nop 1
	v_cndmask_b32_e32 v3, v4, v3, vcc
	v_cndmask_b32_e32 v0, v0, v6, vcc
	v_cmp_ge_u32_e32 vcc, v0, v3
	s_or_b64 s[4:5], vcc, s[4:5]
	s_andn2_b64 exec, exec, s[4:5]
	s_cbranch_execnz .LBB1224_8
; %bb.9:
	s_or_b64 exec, exec, s[4:5]
.LBB1224_10:
	v_add_u32_e32 v0, v0, v1
	s_or_b64 s[2:3], s[2:3], exec
.LBB1224_11:
	s_or_b64 exec, exec, s[6:7]
	s_branch .LBB1224_18
.LBB1224_12:
                                        ; implicit-def: $vgpr0
	s_cbranch_execz .LBB1224_18
; %bb.13:
	s_cmp_ge_u32 s15, s13
	v_mov_b32_e32 v0, s12
	s_cbranch_scc1 .LBB1224_17
; %bb.14:
	s_mov_b64 s[2:3], 0
	v_mov_b32_e32 v3, s13
	v_mov_b32_e32 v0, s12
.LBB1224_15:                            ; =>This Inner Loop Header: Depth=1
	v_add_u32_e32 v4, v0, v3
	v_and_b32_e32 v5, -2, v4
	global_load_ushort v5, v5, s[8:9]
	v_lshrrev_b32_e32 v4, 1, v4
	v_add_u32_e32 v6, 1, v4
	s_waitcnt vmcnt(0)
	v_cmp_gt_u16_e32 vcc, v2, v5
	s_nop 1
	v_cndmask_b32_e64 v7, 0, 1, vcc
	v_cmp_le_u16_e32 vcc, v5, v2
	s_nop 1
	v_cndmask_b32_e64 v5, 0, 1, vcc
	v_cndmask_b32_e64 v5, v5, v7, s[0:1]
	v_and_b32_e32 v5, 1, v5
	v_cmp_eq_u32_e32 vcc, 1, v5
	s_nop 1
	v_cndmask_b32_e32 v3, v4, v3, vcc
	v_cndmask_b32_e32 v0, v0, v6, vcc
	v_cmp_ge_u32_e32 vcc, v0, v3
	s_or_b64 s[2:3], vcc, s[2:3]
	s_andn2_b64 exec, exec, s[2:3]
	s_cbranch_execnz .LBB1224_15
; %bb.16:
	s_or_b64 exec, exec, s[2:3]
.LBB1224_17:
	v_add_u32_e32 v0, v0, v1
	s_mov_b64 s[2:3], -1
.LBB1224_18:
	s_and_b64 exec, exec, s[2:3]
	s_cbranch_execz .LBB1224_20
; %bb.19:
	v_mov_b32_e32 v4, s10
	v_mov_b32_e32 v5, s11
	;; [unrolled: 1-line block ×3, first 2 shown]
	v_lshl_add_u64 v[0:1], v[0:1], 1, v[4:5]
	s_waitcnt vmcnt(0)
	global_store_short v[0:1], v2, off
.LBB1224_20:
	s_endpgm
	.section	.rodata,"a",@progbits
	.p2align	6, 0x0
	.amdhsa_kernel _ZN7rocprim17ROCPRIM_400000_NS6detail17trampoline_kernelINS0_14default_configENS1_38merge_sort_block_merge_config_selectorItNS0_10empty_typeEEEZZNS1_27merge_sort_block_merge_implIS3_N6thrust23THRUST_200600_302600_NS6detail15normal_iteratorINS9_10device_ptrItEEEEPS5_jNS1_19radix_merge_compareILb0ELb0EtNS0_19identity_decomposerEEEEE10hipError_tT0_T1_T2_jT3_P12ihipStream_tbPNSt15iterator_traitsISK_E10value_typeEPNSQ_ISL_E10value_typeEPSM_NS1_7vsmem_tEENKUlT_SK_SL_SM_E_clIPtSE_SF_SF_EESJ_SZ_SK_SL_SM_EUlSZ_E1_NS1_11comp_targetILNS1_3genE5ELNS1_11target_archE942ELNS1_3gpuE9ELNS1_3repE0EEENS1_36merge_oddeven_config_static_selectorELNS0_4arch9wavefront6targetE1EEEvSL_
		.amdhsa_group_segment_fixed_size 0
		.amdhsa_private_segment_fixed_size 0
		.amdhsa_kernarg_size 48
		.amdhsa_user_sgpr_count 2
		.amdhsa_user_sgpr_dispatch_ptr 0
		.amdhsa_user_sgpr_queue_ptr 0
		.amdhsa_user_sgpr_kernarg_segment_ptr 1
		.amdhsa_user_sgpr_dispatch_id 0
		.amdhsa_user_sgpr_kernarg_preload_length 0
		.amdhsa_user_sgpr_kernarg_preload_offset 0
		.amdhsa_user_sgpr_private_segment_size 0
		.amdhsa_uses_dynamic_stack 0
		.amdhsa_enable_private_segment 0
		.amdhsa_system_sgpr_workgroup_id_x 1
		.amdhsa_system_sgpr_workgroup_id_y 0
		.amdhsa_system_sgpr_workgroup_id_z 0
		.amdhsa_system_sgpr_workgroup_info 0
		.amdhsa_system_vgpr_workitem_id 0
		.amdhsa_next_free_vgpr 8
		.amdhsa_next_free_sgpr 19
		.amdhsa_accum_offset 8
		.amdhsa_reserve_vcc 1
		.amdhsa_float_round_mode_32 0
		.amdhsa_float_round_mode_16_64 0
		.amdhsa_float_denorm_mode_32 3
		.amdhsa_float_denorm_mode_16_64 3
		.amdhsa_dx10_clamp 1
		.amdhsa_ieee_mode 1
		.amdhsa_fp16_overflow 0
		.amdhsa_tg_split 0
		.amdhsa_exception_fp_ieee_invalid_op 0
		.amdhsa_exception_fp_denorm_src 0
		.amdhsa_exception_fp_ieee_div_zero 0
		.amdhsa_exception_fp_ieee_overflow 0
		.amdhsa_exception_fp_ieee_underflow 0
		.amdhsa_exception_fp_ieee_inexact 0
		.amdhsa_exception_int_div_zero 0
	.end_amdhsa_kernel
	.section	.text._ZN7rocprim17ROCPRIM_400000_NS6detail17trampoline_kernelINS0_14default_configENS1_38merge_sort_block_merge_config_selectorItNS0_10empty_typeEEEZZNS1_27merge_sort_block_merge_implIS3_N6thrust23THRUST_200600_302600_NS6detail15normal_iteratorINS9_10device_ptrItEEEEPS5_jNS1_19radix_merge_compareILb0ELb0EtNS0_19identity_decomposerEEEEE10hipError_tT0_T1_T2_jT3_P12ihipStream_tbPNSt15iterator_traitsISK_E10value_typeEPNSQ_ISL_E10value_typeEPSM_NS1_7vsmem_tEENKUlT_SK_SL_SM_E_clIPtSE_SF_SF_EESJ_SZ_SK_SL_SM_EUlSZ_E1_NS1_11comp_targetILNS1_3genE5ELNS1_11target_archE942ELNS1_3gpuE9ELNS1_3repE0EEENS1_36merge_oddeven_config_static_selectorELNS0_4arch9wavefront6targetE1EEEvSL_,"axG",@progbits,_ZN7rocprim17ROCPRIM_400000_NS6detail17trampoline_kernelINS0_14default_configENS1_38merge_sort_block_merge_config_selectorItNS0_10empty_typeEEEZZNS1_27merge_sort_block_merge_implIS3_N6thrust23THRUST_200600_302600_NS6detail15normal_iteratorINS9_10device_ptrItEEEEPS5_jNS1_19radix_merge_compareILb0ELb0EtNS0_19identity_decomposerEEEEE10hipError_tT0_T1_T2_jT3_P12ihipStream_tbPNSt15iterator_traitsISK_E10value_typeEPNSQ_ISL_E10value_typeEPSM_NS1_7vsmem_tEENKUlT_SK_SL_SM_E_clIPtSE_SF_SF_EESJ_SZ_SK_SL_SM_EUlSZ_E1_NS1_11comp_targetILNS1_3genE5ELNS1_11target_archE942ELNS1_3gpuE9ELNS1_3repE0EEENS1_36merge_oddeven_config_static_selectorELNS0_4arch9wavefront6targetE1EEEvSL_,comdat
.Lfunc_end1224:
	.size	_ZN7rocprim17ROCPRIM_400000_NS6detail17trampoline_kernelINS0_14default_configENS1_38merge_sort_block_merge_config_selectorItNS0_10empty_typeEEEZZNS1_27merge_sort_block_merge_implIS3_N6thrust23THRUST_200600_302600_NS6detail15normal_iteratorINS9_10device_ptrItEEEEPS5_jNS1_19radix_merge_compareILb0ELb0EtNS0_19identity_decomposerEEEEE10hipError_tT0_T1_T2_jT3_P12ihipStream_tbPNSt15iterator_traitsISK_E10value_typeEPNSQ_ISL_E10value_typeEPSM_NS1_7vsmem_tEENKUlT_SK_SL_SM_E_clIPtSE_SF_SF_EESJ_SZ_SK_SL_SM_EUlSZ_E1_NS1_11comp_targetILNS1_3genE5ELNS1_11target_archE942ELNS1_3gpuE9ELNS1_3repE0EEENS1_36merge_oddeven_config_static_selectorELNS0_4arch9wavefront6targetE1EEEvSL_, .Lfunc_end1224-_ZN7rocprim17ROCPRIM_400000_NS6detail17trampoline_kernelINS0_14default_configENS1_38merge_sort_block_merge_config_selectorItNS0_10empty_typeEEEZZNS1_27merge_sort_block_merge_implIS3_N6thrust23THRUST_200600_302600_NS6detail15normal_iteratorINS9_10device_ptrItEEEEPS5_jNS1_19radix_merge_compareILb0ELb0EtNS0_19identity_decomposerEEEEE10hipError_tT0_T1_T2_jT3_P12ihipStream_tbPNSt15iterator_traitsISK_E10value_typeEPNSQ_ISL_E10value_typeEPSM_NS1_7vsmem_tEENKUlT_SK_SL_SM_E_clIPtSE_SF_SF_EESJ_SZ_SK_SL_SM_EUlSZ_E1_NS1_11comp_targetILNS1_3genE5ELNS1_11target_archE942ELNS1_3gpuE9ELNS1_3repE0EEENS1_36merge_oddeven_config_static_selectorELNS0_4arch9wavefront6targetE1EEEvSL_
                                        ; -- End function
	.section	.AMDGPU.csdata,"",@progbits
; Kernel info:
; codeLenInByte = 568
; NumSgprs: 25
; NumVgprs: 8
; NumAgprs: 0
; TotalNumVgprs: 8
; ScratchSize: 0
; MemoryBound: 0
; FloatMode: 240
; IeeeMode: 1
; LDSByteSize: 0 bytes/workgroup (compile time only)
; SGPRBlocks: 3
; VGPRBlocks: 0
; NumSGPRsForWavesPerEU: 25
; NumVGPRsForWavesPerEU: 8
; AccumOffset: 8
; Occupancy: 8
; WaveLimiterHint : 0
; COMPUTE_PGM_RSRC2:SCRATCH_EN: 0
; COMPUTE_PGM_RSRC2:USER_SGPR: 2
; COMPUTE_PGM_RSRC2:TRAP_HANDLER: 0
; COMPUTE_PGM_RSRC2:TGID_X_EN: 1
; COMPUTE_PGM_RSRC2:TGID_Y_EN: 0
; COMPUTE_PGM_RSRC2:TGID_Z_EN: 0
; COMPUTE_PGM_RSRC2:TIDIG_COMP_CNT: 0
; COMPUTE_PGM_RSRC3_GFX90A:ACCUM_OFFSET: 1
; COMPUTE_PGM_RSRC3_GFX90A:TG_SPLIT: 0
	.section	.text._ZN7rocprim17ROCPRIM_400000_NS6detail17trampoline_kernelINS0_14default_configENS1_38merge_sort_block_merge_config_selectorItNS0_10empty_typeEEEZZNS1_27merge_sort_block_merge_implIS3_N6thrust23THRUST_200600_302600_NS6detail15normal_iteratorINS9_10device_ptrItEEEEPS5_jNS1_19radix_merge_compareILb0ELb0EtNS0_19identity_decomposerEEEEE10hipError_tT0_T1_T2_jT3_P12ihipStream_tbPNSt15iterator_traitsISK_E10value_typeEPNSQ_ISL_E10value_typeEPSM_NS1_7vsmem_tEENKUlT_SK_SL_SM_E_clIPtSE_SF_SF_EESJ_SZ_SK_SL_SM_EUlSZ_E1_NS1_11comp_targetILNS1_3genE4ELNS1_11target_archE910ELNS1_3gpuE8ELNS1_3repE0EEENS1_36merge_oddeven_config_static_selectorELNS0_4arch9wavefront6targetE1EEEvSL_,"axG",@progbits,_ZN7rocprim17ROCPRIM_400000_NS6detail17trampoline_kernelINS0_14default_configENS1_38merge_sort_block_merge_config_selectorItNS0_10empty_typeEEEZZNS1_27merge_sort_block_merge_implIS3_N6thrust23THRUST_200600_302600_NS6detail15normal_iteratorINS9_10device_ptrItEEEEPS5_jNS1_19radix_merge_compareILb0ELb0EtNS0_19identity_decomposerEEEEE10hipError_tT0_T1_T2_jT3_P12ihipStream_tbPNSt15iterator_traitsISK_E10value_typeEPNSQ_ISL_E10value_typeEPSM_NS1_7vsmem_tEENKUlT_SK_SL_SM_E_clIPtSE_SF_SF_EESJ_SZ_SK_SL_SM_EUlSZ_E1_NS1_11comp_targetILNS1_3genE4ELNS1_11target_archE910ELNS1_3gpuE8ELNS1_3repE0EEENS1_36merge_oddeven_config_static_selectorELNS0_4arch9wavefront6targetE1EEEvSL_,comdat
	.protected	_ZN7rocprim17ROCPRIM_400000_NS6detail17trampoline_kernelINS0_14default_configENS1_38merge_sort_block_merge_config_selectorItNS0_10empty_typeEEEZZNS1_27merge_sort_block_merge_implIS3_N6thrust23THRUST_200600_302600_NS6detail15normal_iteratorINS9_10device_ptrItEEEEPS5_jNS1_19radix_merge_compareILb0ELb0EtNS0_19identity_decomposerEEEEE10hipError_tT0_T1_T2_jT3_P12ihipStream_tbPNSt15iterator_traitsISK_E10value_typeEPNSQ_ISL_E10value_typeEPSM_NS1_7vsmem_tEENKUlT_SK_SL_SM_E_clIPtSE_SF_SF_EESJ_SZ_SK_SL_SM_EUlSZ_E1_NS1_11comp_targetILNS1_3genE4ELNS1_11target_archE910ELNS1_3gpuE8ELNS1_3repE0EEENS1_36merge_oddeven_config_static_selectorELNS0_4arch9wavefront6targetE1EEEvSL_ ; -- Begin function _ZN7rocprim17ROCPRIM_400000_NS6detail17trampoline_kernelINS0_14default_configENS1_38merge_sort_block_merge_config_selectorItNS0_10empty_typeEEEZZNS1_27merge_sort_block_merge_implIS3_N6thrust23THRUST_200600_302600_NS6detail15normal_iteratorINS9_10device_ptrItEEEEPS5_jNS1_19radix_merge_compareILb0ELb0EtNS0_19identity_decomposerEEEEE10hipError_tT0_T1_T2_jT3_P12ihipStream_tbPNSt15iterator_traitsISK_E10value_typeEPNSQ_ISL_E10value_typeEPSM_NS1_7vsmem_tEENKUlT_SK_SL_SM_E_clIPtSE_SF_SF_EESJ_SZ_SK_SL_SM_EUlSZ_E1_NS1_11comp_targetILNS1_3genE4ELNS1_11target_archE910ELNS1_3gpuE8ELNS1_3repE0EEENS1_36merge_oddeven_config_static_selectorELNS0_4arch9wavefront6targetE1EEEvSL_
	.globl	_ZN7rocprim17ROCPRIM_400000_NS6detail17trampoline_kernelINS0_14default_configENS1_38merge_sort_block_merge_config_selectorItNS0_10empty_typeEEEZZNS1_27merge_sort_block_merge_implIS3_N6thrust23THRUST_200600_302600_NS6detail15normal_iteratorINS9_10device_ptrItEEEEPS5_jNS1_19radix_merge_compareILb0ELb0EtNS0_19identity_decomposerEEEEE10hipError_tT0_T1_T2_jT3_P12ihipStream_tbPNSt15iterator_traitsISK_E10value_typeEPNSQ_ISL_E10value_typeEPSM_NS1_7vsmem_tEENKUlT_SK_SL_SM_E_clIPtSE_SF_SF_EESJ_SZ_SK_SL_SM_EUlSZ_E1_NS1_11comp_targetILNS1_3genE4ELNS1_11target_archE910ELNS1_3gpuE8ELNS1_3repE0EEENS1_36merge_oddeven_config_static_selectorELNS0_4arch9wavefront6targetE1EEEvSL_
	.p2align	8
	.type	_ZN7rocprim17ROCPRIM_400000_NS6detail17trampoline_kernelINS0_14default_configENS1_38merge_sort_block_merge_config_selectorItNS0_10empty_typeEEEZZNS1_27merge_sort_block_merge_implIS3_N6thrust23THRUST_200600_302600_NS6detail15normal_iteratorINS9_10device_ptrItEEEEPS5_jNS1_19radix_merge_compareILb0ELb0EtNS0_19identity_decomposerEEEEE10hipError_tT0_T1_T2_jT3_P12ihipStream_tbPNSt15iterator_traitsISK_E10value_typeEPNSQ_ISL_E10value_typeEPSM_NS1_7vsmem_tEENKUlT_SK_SL_SM_E_clIPtSE_SF_SF_EESJ_SZ_SK_SL_SM_EUlSZ_E1_NS1_11comp_targetILNS1_3genE4ELNS1_11target_archE910ELNS1_3gpuE8ELNS1_3repE0EEENS1_36merge_oddeven_config_static_selectorELNS0_4arch9wavefront6targetE1EEEvSL_,@function
_ZN7rocprim17ROCPRIM_400000_NS6detail17trampoline_kernelINS0_14default_configENS1_38merge_sort_block_merge_config_selectorItNS0_10empty_typeEEEZZNS1_27merge_sort_block_merge_implIS3_N6thrust23THRUST_200600_302600_NS6detail15normal_iteratorINS9_10device_ptrItEEEEPS5_jNS1_19radix_merge_compareILb0ELb0EtNS0_19identity_decomposerEEEEE10hipError_tT0_T1_T2_jT3_P12ihipStream_tbPNSt15iterator_traitsISK_E10value_typeEPNSQ_ISL_E10value_typeEPSM_NS1_7vsmem_tEENKUlT_SK_SL_SM_E_clIPtSE_SF_SF_EESJ_SZ_SK_SL_SM_EUlSZ_E1_NS1_11comp_targetILNS1_3genE4ELNS1_11target_archE910ELNS1_3gpuE8ELNS1_3repE0EEENS1_36merge_oddeven_config_static_selectorELNS0_4arch9wavefront6targetE1EEEvSL_: ; @_ZN7rocprim17ROCPRIM_400000_NS6detail17trampoline_kernelINS0_14default_configENS1_38merge_sort_block_merge_config_selectorItNS0_10empty_typeEEEZZNS1_27merge_sort_block_merge_implIS3_N6thrust23THRUST_200600_302600_NS6detail15normal_iteratorINS9_10device_ptrItEEEEPS5_jNS1_19radix_merge_compareILb0ELb0EtNS0_19identity_decomposerEEEEE10hipError_tT0_T1_T2_jT3_P12ihipStream_tbPNSt15iterator_traitsISK_E10value_typeEPNSQ_ISL_E10value_typeEPSM_NS1_7vsmem_tEENKUlT_SK_SL_SM_E_clIPtSE_SF_SF_EESJ_SZ_SK_SL_SM_EUlSZ_E1_NS1_11comp_targetILNS1_3genE4ELNS1_11target_archE910ELNS1_3gpuE8ELNS1_3repE0EEENS1_36merge_oddeven_config_static_selectorELNS0_4arch9wavefront6targetE1EEEvSL_
; %bb.0:
	.section	.rodata,"a",@progbits
	.p2align	6, 0x0
	.amdhsa_kernel _ZN7rocprim17ROCPRIM_400000_NS6detail17trampoline_kernelINS0_14default_configENS1_38merge_sort_block_merge_config_selectorItNS0_10empty_typeEEEZZNS1_27merge_sort_block_merge_implIS3_N6thrust23THRUST_200600_302600_NS6detail15normal_iteratorINS9_10device_ptrItEEEEPS5_jNS1_19radix_merge_compareILb0ELb0EtNS0_19identity_decomposerEEEEE10hipError_tT0_T1_T2_jT3_P12ihipStream_tbPNSt15iterator_traitsISK_E10value_typeEPNSQ_ISL_E10value_typeEPSM_NS1_7vsmem_tEENKUlT_SK_SL_SM_E_clIPtSE_SF_SF_EESJ_SZ_SK_SL_SM_EUlSZ_E1_NS1_11comp_targetILNS1_3genE4ELNS1_11target_archE910ELNS1_3gpuE8ELNS1_3repE0EEENS1_36merge_oddeven_config_static_selectorELNS0_4arch9wavefront6targetE1EEEvSL_
		.amdhsa_group_segment_fixed_size 0
		.amdhsa_private_segment_fixed_size 0
		.amdhsa_kernarg_size 48
		.amdhsa_user_sgpr_count 2
		.amdhsa_user_sgpr_dispatch_ptr 0
		.amdhsa_user_sgpr_queue_ptr 0
		.amdhsa_user_sgpr_kernarg_segment_ptr 1
		.amdhsa_user_sgpr_dispatch_id 0
		.amdhsa_user_sgpr_kernarg_preload_length 0
		.amdhsa_user_sgpr_kernarg_preload_offset 0
		.amdhsa_user_sgpr_private_segment_size 0
		.amdhsa_uses_dynamic_stack 0
		.amdhsa_enable_private_segment 0
		.amdhsa_system_sgpr_workgroup_id_x 1
		.amdhsa_system_sgpr_workgroup_id_y 0
		.amdhsa_system_sgpr_workgroup_id_z 0
		.amdhsa_system_sgpr_workgroup_info 0
		.amdhsa_system_vgpr_workitem_id 0
		.amdhsa_next_free_vgpr 1
		.amdhsa_next_free_sgpr 0
		.amdhsa_accum_offset 4
		.amdhsa_reserve_vcc 0
		.amdhsa_float_round_mode_32 0
		.amdhsa_float_round_mode_16_64 0
		.amdhsa_float_denorm_mode_32 3
		.amdhsa_float_denorm_mode_16_64 3
		.amdhsa_dx10_clamp 1
		.amdhsa_ieee_mode 1
		.amdhsa_fp16_overflow 0
		.amdhsa_tg_split 0
		.amdhsa_exception_fp_ieee_invalid_op 0
		.amdhsa_exception_fp_denorm_src 0
		.amdhsa_exception_fp_ieee_div_zero 0
		.amdhsa_exception_fp_ieee_overflow 0
		.amdhsa_exception_fp_ieee_underflow 0
		.amdhsa_exception_fp_ieee_inexact 0
		.amdhsa_exception_int_div_zero 0
	.end_amdhsa_kernel
	.section	.text._ZN7rocprim17ROCPRIM_400000_NS6detail17trampoline_kernelINS0_14default_configENS1_38merge_sort_block_merge_config_selectorItNS0_10empty_typeEEEZZNS1_27merge_sort_block_merge_implIS3_N6thrust23THRUST_200600_302600_NS6detail15normal_iteratorINS9_10device_ptrItEEEEPS5_jNS1_19radix_merge_compareILb0ELb0EtNS0_19identity_decomposerEEEEE10hipError_tT0_T1_T2_jT3_P12ihipStream_tbPNSt15iterator_traitsISK_E10value_typeEPNSQ_ISL_E10value_typeEPSM_NS1_7vsmem_tEENKUlT_SK_SL_SM_E_clIPtSE_SF_SF_EESJ_SZ_SK_SL_SM_EUlSZ_E1_NS1_11comp_targetILNS1_3genE4ELNS1_11target_archE910ELNS1_3gpuE8ELNS1_3repE0EEENS1_36merge_oddeven_config_static_selectorELNS0_4arch9wavefront6targetE1EEEvSL_,"axG",@progbits,_ZN7rocprim17ROCPRIM_400000_NS6detail17trampoline_kernelINS0_14default_configENS1_38merge_sort_block_merge_config_selectorItNS0_10empty_typeEEEZZNS1_27merge_sort_block_merge_implIS3_N6thrust23THRUST_200600_302600_NS6detail15normal_iteratorINS9_10device_ptrItEEEEPS5_jNS1_19radix_merge_compareILb0ELb0EtNS0_19identity_decomposerEEEEE10hipError_tT0_T1_T2_jT3_P12ihipStream_tbPNSt15iterator_traitsISK_E10value_typeEPNSQ_ISL_E10value_typeEPSM_NS1_7vsmem_tEENKUlT_SK_SL_SM_E_clIPtSE_SF_SF_EESJ_SZ_SK_SL_SM_EUlSZ_E1_NS1_11comp_targetILNS1_3genE4ELNS1_11target_archE910ELNS1_3gpuE8ELNS1_3repE0EEENS1_36merge_oddeven_config_static_selectorELNS0_4arch9wavefront6targetE1EEEvSL_,comdat
.Lfunc_end1225:
	.size	_ZN7rocprim17ROCPRIM_400000_NS6detail17trampoline_kernelINS0_14default_configENS1_38merge_sort_block_merge_config_selectorItNS0_10empty_typeEEEZZNS1_27merge_sort_block_merge_implIS3_N6thrust23THRUST_200600_302600_NS6detail15normal_iteratorINS9_10device_ptrItEEEEPS5_jNS1_19radix_merge_compareILb0ELb0EtNS0_19identity_decomposerEEEEE10hipError_tT0_T1_T2_jT3_P12ihipStream_tbPNSt15iterator_traitsISK_E10value_typeEPNSQ_ISL_E10value_typeEPSM_NS1_7vsmem_tEENKUlT_SK_SL_SM_E_clIPtSE_SF_SF_EESJ_SZ_SK_SL_SM_EUlSZ_E1_NS1_11comp_targetILNS1_3genE4ELNS1_11target_archE910ELNS1_3gpuE8ELNS1_3repE0EEENS1_36merge_oddeven_config_static_selectorELNS0_4arch9wavefront6targetE1EEEvSL_, .Lfunc_end1225-_ZN7rocprim17ROCPRIM_400000_NS6detail17trampoline_kernelINS0_14default_configENS1_38merge_sort_block_merge_config_selectorItNS0_10empty_typeEEEZZNS1_27merge_sort_block_merge_implIS3_N6thrust23THRUST_200600_302600_NS6detail15normal_iteratorINS9_10device_ptrItEEEEPS5_jNS1_19radix_merge_compareILb0ELb0EtNS0_19identity_decomposerEEEEE10hipError_tT0_T1_T2_jT3_P12ihipStream_tbPNSt15iterator_traitsISK_E10value_typeEPNSQ_ISL_E10value_typeEPSM_NS1_7vsmem_tEENKUlT_SK_SL_SM_E_clIPtSE_SF_SF_EESJ_SZ_SK_SL_SM_EUlSZ_E1_NS1_11comp_targetILNS1_3genE4ELNS1_11target_archE910ELNS1_3gpuE8ELNS1_3repE0EEENS1_36merge_oddeven_config_static_selectorELNS0_4arch9wavefront6targetE1EEEvSL_
                                        ; -- End function
	.section	.AMDGPU.csdata,"",@progbits
; Kernel info:
; codeLenInByte = 0
; NumSgprs: 6
; NumVgprs: 0
; NumAgprs: 0
; TotalNumVgprs: 0
; ScratchSize: 0
; MemoryBound: 0
; FloatMode: 240
; IeeeMode: 1
; LDSByteSize: 0 bytes/workgroup (compile time only)
; SGPRBlocks: 0
; VGPRBlocks: 0
; NumSGPRsForWavesPerEU: 6
; NumVGPRsForWavesPerEU: 1
; AccumOffset: 4
; Occupancy: 8
; WaveLimiterHint : 0
; COMPUTE_PGM_RSRC2:SCRATCH_EN: 0
; COMPUTE_PGM_RSRC2:USER_SGPR: 2
; COMPUTE_PGM_RSRC2:TRAP_HANDLER: 0
; COMPUTE_PGM_RSRC2:TGID_X_EN: 1
; COMPUTE_PGM_RSRC2:TGID_Y_EN: 0
; COMPUTE_PGM_RSRC2:TGID_Z_EN: 0
; COMPUTE_PGM_RSRC2:TIDIG_COMP_CNT: 0
; COMPUTE_PGM_RSRC3_GFX90A:ACCUM_OFFSET: 0
; COMPUTE_PGM_RSRC3_GFX90A:TG_SPLIT: 0
	.section	.text._ZN7rocprim17ROCPRIM_400000_NS6detail17trampoline_kernelINS0_14default_configENS1_38merge_sort_block_merge_config_selectorItNS0_10empty_typeEEEZZNS1_27merge_sort_block_merge_implIS3_N6thrust23THRUST_200600_302600_NS6detail15normal_iteratorINS9_10device_ptrItEEEEPS5_jNS1_19radix_merge_compareILb0ELb0EtNS0_19identity_decomposerEEEEE10hipError_tT0_T1_T2_jT3_P12ihipStream_tbPNSt15iterator_traitsISK_E10value_typeEPNSQ_ISL_E10value_typeEPSM_NS1_7vsmem_tEENKUlT_SK_SL_SM_E_clIPtSE_SF_SF_EESJ_SZ_SK_SL_SM_EUlSZ_E1_NS1_11comp_targetILNS1_3genE3ELNS1_11target_archE908ELNS1_3gpuE7ELNS1_3repE0EEENS1_36merge_oddeven_config_static_selectorELNS0_4arch9wavefront6targetE1EEEvSL_,"axG",@progbits,_ZN7rocprim17ROCPRIM_400000_NS6detail17trampoline_kernelINS0_14default_configENS1_38merge_sort_block_merge_config_selectorItNS0_10empty_typeEEEZZNS1_27merge_sort_block_merge_implIS3_N6thrust23THRUST_200600_302600_NS6detail15normal_iteratorINS9_10device_ptrItEEEEPS5_jNS1_19radix_merge_compareILb0ELb0EtNS0_19identity_decomposerEEEEE10hipError_tT0_T1_T2_jT3_P12ihipStream_tbPNSt15iterator_traitsISK_E10value_typeEPNSQ_ISL_E10value_typeEPSM_NS1_7vsmem_tEENKUlT_SK_SL_SM_E_clIPtSE_SF_SF_EESJ_SZ_SK_SL_SM_EUlSZ_E1_NS1_11comp_targetILNS1_3genE3ELNS1_11target_archE908ELNS1_3gpuE7ELNS1_3repE0EEENS1_36merge_oddeven_config_static_selectorELNS0_4arch9wavefront6targetE1EEEvSL_,comdat
	.protected	_ZN7rocprim17ROCPRIM_400000_NS6detail17trampoline_kernelINS0_14default_configENS1_38merge_sort_block_merge_config_selectorItNS0_10empty_typeEEEZZNS1_27merge_sort_block_merge_implIS3_N6thrust23THRUST_200600_302600_NS6detail15normal_iteratorINS9_10device_ptrItEEEEPS5_jNS1_19radix_merge_compareILb0ELb0EtNS0_19identity_decomposerEEEEE10hipError_tT0_T1_T2_jT3_P12ihipStream_tbPNSt15iterator_traitsISK_E10value_typeEPNSQ_ISL_E10value_typeEPSM_NS1_7vsmem_tEENKUlT_SK_SL_SM_E_clIPtSE_SF_SF_EESJ_SZ_SK_SL_SM_EUlSZ_E1_NS1_11comp_targetILNS1_3genE3ELNS1_11target_archE908ELNS1_3gpuE7ELNS1_3repE0EEENS1_36merge_oddeven_config_static_selectorELNS0_4arch9wavefront6targetE1EEEvSL_ ; -- Begin function _ZN7rocprim17ROCPRIM_400000_NS6detail17trampoline_kernelINS0_14default_configENS1_38merge_sort_block_merge_config_selectorItNS0_10empty_typeEEEZZNS1_27merge_sort_block_merge_implIS3_N6thrust23THRUST_200600_302600_NS6detail15normal_iteratorINS9_10device_ptrItEEEEPS5_jNS1_19radix_merge_compareILb0ELb0EtNS0_19identity_decomposerEEEEE10hipError_tT0_T1_T2_jT3_P12ihipStream_tbPNSt15iterator_traitsISK_E10value_typeEPNSQ_ISL_E10value_typeEPSM_NS1_7vsmem_tEENKUlT_SK_SL_SM_E_clIPtSE_SF_SF_EESJ_SZ_SK_SL_SM_EUlSZ_E1_NS1_11comp_targetILNS1_3genE3ELNS1_11target_archE908ELNS1_3gpuE7ELNS1_3repE0EEENS1_36merge_oddeven_config_static_selectorELNS0_4arch9wavefront6targetE1EEEvSL_
	.globl	_ZN7rocprim17ROCPRIM_400000_NS6detail17trampoline_kernelINS0_14default_configENS1_38merge_sort_block_merge_config_selectorItNS0_10empty_typeEEEZZNS1_27merge_sort_block_merge_implIS3_N6thrust23THRUST_200600_302600_NS6detail15normal_iteratorINS9_10device_ptrItEEEEPS5_jNS1_19radix_merge_compareILb0ELb0EtNS0_19identity_decomposerEEEEE10hipError_tT0_T1_T2_jT3_P12ihipStream_tbPNSt15iterator_traitsISK_E10value_typeEPNSQ_ISL_E10value_typeEPSM_NS1_7vsmem_tEENKUlT_SK_SL_SM_E_clIPtSE_SF_SF_EESJ_SZ_SK_SL_SM_EUlSZ_E1_NS1_11comp_targetILNS1_3genE3ELNS1_11target_archE908ELNS1_3gpuE7ELNS1_3repE0EEENS1_36merge_oddeven_config_static_selectorELNS0_4arch9wavefront6targetE1EEEvSL_
	.p2align	8
	.type	_ZN7rocprim17ROCPRIM_400000_NS6detail17trampoline_kernelINS0_14default_configENS1_38merge_sort_block_merge_config_selectorItNS0_10empty_typeEEEZZNS1_27merge_sort_block_merge_implIS3_N6thrust23THRUST_200600_302600_NS6detail15normal_iteratorINS9_10device_ptrItEEEEPS5_jNS1_19radix_merge_compareILb0ELb0EtNS0_19identity_decomposerEEEEE10hipError_tT0_T1_T2_jT3_P12ihipStream_tbPNSt15iterator_traitsISK_E10value_typeEPNSQ_ISL_E10value_typeEPSM_NS1_7vsmem_tEENKUlT_SK_SL_SM_E_clIPtSE_SF_SF_EESJ_SZ_SK_SL_SM_EUlSZ_E1_NS1_11comp_targetILNS1_3genE3ELNS1_11target_archE908ELNS1_3gpuE7ELNS1_3repE0EEENS1_36merge_oddeven_config_static_selectorELNS0_4arch9wavefront6targetE1EEEvSL_,@function
_ZN7rocprim17ROCPRIM_400000_NS6detail17trampoline_kernelINS0_14default_configENS1_38merge_sort_block_merge_config_selectorItNS0_10empty_typeEEEZZNS1_27merge_sort_block_merge_implIS3_N6thrust23THRUST_200600_302600_NS6detail15normal_iteratorINS9_10device_ptrItEEEEPS5_jNS1_19radix_merge_compareILb0ELb0EtNS0_19identity_decomposerEEEEE10hipError_tT0_T1_T2_jT3_P12ihipStream_tbPNSt15iterator_traitsISK_E10value_typeEPNSQ_ISL_E10value_typeEPSM_NS1_7vsmem_tEENKUlT_SK_SL_SM_E_clIPtSE_SF_SF_EESJ_SZ_SK_SL_SM_EUlSZ_E1_NS1_11comp_targetILNS1_3genE3ELNS1_11target_archE908ELNS1_3gpuE7ELNS1_3repE0EEENS1_36merge_oddeven_config_static_selectorELNS0_4arch9wavefront6targetE1EEEvSL_: ; @_ZN7rocprim17ROCPRIM_400000_NS6detail17trampoline_kernelINS0_14default_configENS1_38merge_sort_block_merge_config_selectorItNS0_10empty_typeEEEZZNS1_27merge_sort_block_merge_implIS3_N6thrust23THRUST_200600_302600_NS6detail15normal_iteratorINS9_10device_ptrItEEEEPS5_jNS1_19radix_merge_compareILb0ELb0EtNS0_19identity_decomposerEEEEE10hipError_tT0_T1_T2_jT3_P12ihipStream_tbPNSt15iterator_traitsISK_E10value_typeEPNSQ_ISL_E10value_typeEPSM_NS1_7vsmem_tEENKUlT_SK_SL_SM_E_clIPtSE_SF_SF_EESJ_SZ_SK_SL_SM_EUlSZ_E1_NS1_11comp_targetILNS1_3genE3ELNS1_11target_archE908ELNS1_3gpuE7ELNS1_3repE0EEENS1_36merge_oddeven_config_static_selectorELNS0_4arch9wavefront6targetE1EEEvSL_
; %bb.0:
	.section	.rodata,"a",@progbits
	.p2align	6, 0x0
	.amdhsa_kernel _ZN7rocprim17ROCPRIM_400000_NS6detail17trampoline_kernelINS0_14default_configENS1_38merge_sort_block_merge_config_selectorItNS0_10empty_typeEEEZZNS1_27merge_sort_block_merge_implIS3_N6thrust23THRUST_200600_302600_NS6detail15normal_iteratorINS9_10device_ptrItEEEEPS5_jNS1_19radix_merge_compareILb0ELb0EtNS0_19identity_decomposerEEEEE10hipError_tT0_T1_T2_jT3_P12ihipStream_tbPNSt15iterator_traitsISK_E10value_typeEPNSQ_ISL_E10value_typeEPSM_NS1_7vsmem_tEENKUlT_SK_SL_SM_E_clIPtSE_SF_SF_EESJ_SZ_SK_SL_SM_EUlSZ_E1_NS1_11comp_targetILNS1_3genE3ELNS1_11target_archE908ELNS1_3gpuE7ELNS1_3repE0EEENS1_36merge_oddeven_config_static_selectorELNS0_4arch9wavefront6targetE1EEEvSL_
		.amdhsa_group_segment_fixed_size 0
		.amdhsa_private_segment_fixed_size 0
		.amdhsa_kernarg_size 48
		.amdhsa_user_sgpr_count 2
		.amdhsa_user_sgpr_dispatch_ptr 0
		.amdhsa_user_sgpr_queue_ptr 0
		.amdhsa_user_sgpr_kernarg_segment_ptr 1
		.amdhsa_user_sgpr_dispatch_id 0
		.amdhsa_user_sgpr_kernarg_preload_length 0
		.amdhsa_user_sgpr_kernarg_preload_offset 0
		.amdhsa_user_sgpr_private_segment_size 0
		.amdhsa_uses_dynamic_stack 0
		.amdhsa_enable_private_segment 0
		.amdhsa_system_sgpr_workgroup_id_x 1
		.amdhsa_system_sgpr_workgroup_id_y 0
		.amdhsa_system_sgpr_workgroup_id_z 0
		.amdhsa_system_sgpr_workgroup_info 0
		.amdhsa_system_vgpr_workitem_id 0
		.amdhsa_next_free_vgpr 1
		.amdhsa_next_free_sgpr 0
		.amdhsa_accum_offset 4
		.amdhsa_reserve_vcc 0
		.amdhsa_float_round_mode_32 0
		.amdhsa_float_round_mode_16_64 0
		.amdhsa_float_denorm_mode_32 3
		.amdhsa_float_denorm_mode_16_64 3
		.amdhsa_dx10_clamp 1
		.amdhsa_ieee_mode 1
		.amdhsa_fp16_overflow 0
		.amdhsa_tg_split 0
		.amdhsa_exception_fp_ieee_invalid_op 0
		.amdhsa_exception_fp_denorm_src 0
		.amdhsa_exception_fp_ieee_div_zero 0
		.amdhsa_exception_fp_ieee_overflow 0
		.amdhsa_exception_fp_ieee_underflow 0
		.amdhsa_exception_fp_ieee_inexact 0
		.amdhsa_exception_int_div_zero 0
	.end_amdhsa_kernel
	.section	.text._ZN7rocprim17ROCPRIM_400000_NS6detail17trampoline_kernelINS0_14default_configENS1_38merge_sort_block_merge_config_selectorItNS0_10empty_typeEEEZZNS1_27merge_sort_block_merge_implIS3_N6thrust23THRUST_200600_302600_NS6detail15normal_iteratorINS9_10device_ptrItEEEEPS5_jNS1_19radix_merge_compareILb0ELb0EtNS0_19identity_decomposerEEEEE10hipError_tT0_T1_T2_jT3_P12ihipStream_tbPNSt15iterator_traitsISK_E10value_typeEPNSQ_ISL_E10value_typeEPSM_NS1_7vsmem_tEENKUlT_SK_SL_SM_E_clIPtSE_SF_SF_EESJ_SZ_SK_SL_SM_EUlSZ_E1_NS1_11comp_targetILNS1_3genE3ELNS1_11target_archE908ELNS1_3gpuE7ELNS1_3repE0EEENS1_36merge_oddeven_config_static_selectorELNS0_4arch9wavefront6targetE1EEEvSL_,"axG",@progbits,_ZN7rocprim17ROCPRIM_400000_NS6detail17trampoline_kernelINS0_14default_configENS1_38merge_sort_block_merge_config_selectorItNS0_10empty_typeEEEZZNS1_27merge_sort_block_merge_implIS3_N6thrust23THRUST_200600_302600_NS6detail15normal_iteratorINS9_10device_ptrItEEEEPS5_jNS1_19radix_merge_compareILb0ELb0EtNS0_19identity_decomposerEEEEE10hipError_tT0_T1_T2_jT3_P12ihipStream_tbPNSt15iterator_traitsISK_E10value_typeEPNSQ_ISL_E10value_typeEPSM_NS1_7vsmem_tEENKUlT_SK_SL_SM_E_clIPtSE_SF_SF_EESJ_SZ_SK_SL_SM_EUlSZ_E1_NS1_11comp_targetILNS1_3genE3ELNS1_11target_archE908ELNS1_3gpuE7ELNS1_3repE0EEENS1_36merge_oddeven_config_static_selectorELNS0_4arch9wavefront6targetE1EEEvSL_,comdat
.Lfunc_end1226:
	.size	_ZN7rocprim17ROCPRIM_400000_NS6detail17trampoline_kernelINS0_14default_configENS1_38merge_sort_block_merge_config_selectorItNS0_10empty_typeEEEZZNS1_27merge_sort_block_merge_implIS3_N6thrust23THRUST_200600_302600_NS6detail15normal_iteratorINS9_10device_ptrItEEEEPS5_jNS1_19radix_merge_compareILb0ELb0EtNS0_19identity_decomposerEEEEE10hipError_tT0_T1_T2_jT3_P12ihipStream_tbPNSt15iterator_traitsISK_E10value_typeEPNSQ_ISL_E10value_typeEPSM_NS1_7vsmem_tEENKUlT_SK_SL_SM_E_clIPtSE_SF_SF_EESJ_SZ_SK_SL_SM_EUlSZ_E1_NS1_11comp_targetILNS1_3genE3ELNS1_11target_archE908ELNS1_3gpuE7ELNS1_3repE0EEENS1_36merge_oddeven_config_static_selectorELNS0_4arch9wavefront6targetE1EEEvSL_, .Lfunc_end1226-_ZN7rocprim17ROCPRIM_400000_NS6detail17trampoline_kernelINS0_14default_configENS1_38merge_sort_block_merge_config_selectorItNS0_10empty_typeEEEZZNS1_27merge_sort_block_merge_implIS3_N6thrust23THRUST_200600_302600_NS6detail15normal_iteratorINS9_10device_ptrItEEEEPS5_jNS1_19radix_merge_compareILb0ELb0EtNS0_19identity_decomposerEEEEE10hipError_tT0_T1_T2_jT3_P12ihipStream_tbPNSt15iterator_traitsISK_E10value_typeEPNSQ_ISL_E10value_typeEPSM_NS1_7vsmem_tEENKUlT_SK_SL_SM_E_clIPtSE_SF_SF_EESJ_SZ_SK_SL_SM_EUlSZ_E1_NS1_11comp_targetILNS1_3genE3ELNS1_11target_archE908ELNS1_3gpuE7ELNS1_3repE0EEENS1_36merge_oddeven_config_static_selectorELNS0_4arch9wavefront6targetE1EEEvSL_
                                        ; -- End function
	.section	.AMDGPU.csdata,"",@progbits
; Kernel info:
; codeLenInByte = 0
; NumSgprs: 6
; NumVgprs: 0
; NumAgprs: 0
; TotalNumVgprs: 0
; ScratchSize: 0
; MemoryBound: 0
; FloatMode: 240
; IeeeMode: 1
; LDSByteSize: 0 bytes/workgroup (compile time only)
; SGPRBlocks: 0
; VGPRBlocks: 0
; NumSGPRsForWavesPerEU: 6
; NumVGPRsForWavesPerEU: 1
; AccumOffset: 4
; Occupancy: 8
; WaveLimiterHint : 0
; COMPUTE_PGM_RSRC2:SCRATCH_EN: 0
; COMPUTE_PGM_RSRC2:USER_SGPR: 2
; COMPUTE_PGM_RSRC2:TRAP_HANDLER: 0
; COMPUTE_PGM_RSRC2:TGID_X_EN: 1
; COMPUTE_PGM_RSRC2:TGID_Y_EN: 0
; COMPUTE_PGM_RSRC2:TGID_Z_EN: 0
; COMPUTE_PGM_RSRC2:TIDIG_COMP_CNT: 0
; COMPUTE_PGM_RSRC3_GFX90A:ACCUM_OFFSET: 0
; COMPUTE_PGM_RSRC3_GFX90A:TG_SPLIT: 0
	.section	.text._ZN7rocprim17ROCPRIM_400000_NS6detail17trampoline_kernelINS0_14default_configENS1_38merge_sort_block_merge_config_selectorItNS0_10empty_typeEEEZZNS1_27merge_sort_block_merge_implIS3_N6thrust23THRUST_200600_302600_NS6detail15normal_iteratorINS9_10device_ptrItEEEEPS5_jNS1_19radix_merge_compareILb0ELb0EtNS0_19identity_decomposerEEEEE10hipError_tT0_T1_T2_jT3_P12ihipStream_tbPNSt15iterator_traitsISK_E10value_typeEPNSQ_ISL_E10value_typeEPSM_NS1_7vsmem_tEENKUlT_SK_SL_SM_E_clIPtSE_SF_SF_EESJ_SZ_SK_SL_SM_EUlSZ_E1_NS1_11comp_targetILNS1_3genE2ELNS1_11target_archE906ELNS1_3gpuE6ELNS1_3repE0EEENS1_36merge_oddeven_config_static_selectorELNS0_4arch9wavefront6targetE1EEEvSL_,"axG",@progbits,_ZN7rocprim17ROCPRIM_400000_NS6detail17trampoline_kernelINS0_14default_configENS1_38merge_sort_block_merge_config_selectorItNS0_10empty_typeEEEZZNS1_27merge_sort_block_merge_implIS3_N6thrust23THRUST_200600_302600_NS6detail15normal_iteratorINS9_10device_ptrItEEEEPS5_jNS1_19radix_merge_compareILb0ELb0EtNS0_19identity_decomposerEEEEE10hipError_tT0_T1_T2_jT3_P12ihipStream_tbPNSt15iterator_traitsISK_E10value_typeEPNSQ_ISL_E10value_typeEPSM_NS1_7vsmem_tEENKUlT_SK_SL_SM_E_clIPtSE_SF_SF_EESJ_SZ_SK_SL_SM_EUlSZ_E1_NS1_11comp_targetILNS1_3genE2ELNS1_11target_archE906ELNS1_3gpuE6ELNS1_3repE0EEENS1_36merge_oddeven_config_static_selectorELNS0_4arch9wavefront6targetE1EEEvSL_,comdat
	.protected	_ZN7rocprim17ROCPRIM_400000_NS6detail17trampoline_kernelINS0_14default_configENS1_38merge_sort_block_merge_config_selectorItNS0_10empty_typeEEEZZNS1_27merge_sort_block_merge_implIS3_N6thrust23THRUST_200600_302600_NS6detail15normal_iteratorINS9_10device_ptrItEEEEPS5_jNS1_19radix_merge_compareILb0ELb0EtNS0_19identity_decomposerEEEEE10hipError_tT0_T1_T2_jT3_P12ihipStream_tbPNSt15iterator_traitsISK_E10value_typeEPNSQ_ISL_E10value_typeEPSM_NS1_7vsmem_tEENKUlT_SK_SL_SM_E_clIPtSE_SF_SF_EESJ_SZ_SK_SL_SM_EUlSZ_E1_NS1_11comp_targetILNS1_3genE2ELNS1_11target_archE906ELNS1_3gpuE6ELNS1_3repE0EEENS1_36merge_oddeven_config_static_selectorELNS0_4arch9wavefront6targetE1EEEvSL_ ; -- Begin function _ZN7rocprim17ROCPRIM_400000_NS6detail17trampoline_kernelINS0_14default_configENS1_38merge_sort_block_merge_config_selectorItNS0_10empty_typeEEEZZNS1_27merge_sort_block_merge_implIS3_N6thrust23THRUST_200600_302600_NS6detail15normal_iteratorINS9_10device_ptrItEEEEPS5_jNS1_19radix_merge_compareILb0ELb0EtNS0_19identity_decomposerEEEEE10hipError_tT0_T1_T2_jT3_P12ihipStream_tbPNSt15iterator_traitsISK_E10value_typeEPNSQ_ISL_E10value_typeEPSM_NS1_7vsmem_tEENKUlT_SK_SL_SM_E_clIPtSE_SF_SF_EESJ_SZ_SK_SL_SM_EUlSZ_E1_NS1_11comp_targetILNS1_3genE2ELNS1_11target_archE906ELNS1_3gpuE6ELNS1_3repE0EEENS1_36merge_oddeven_config_static_selectorELNS0_4arch9wavefront6targetE1EEEvSL_
	.globl	_ZN7rocprim17ROCPRIM_400000_NS6detail17trampoline_kernelINS0_14default_configENS1_38merge_sort_block_merge_config_selectorItNS0_10empty_typeEEEZZNS1_27merge_sort_block_merge_implIS3_N6thrust23THRUST_200600_302600_NS6detail15normal_iteratorINS9_10device_ptrItEEEEPS5_jNS1_19radix_merge_compareILb0ELb0EtNS0_19identity_decomposerEEEEE10hipError_tT0_T1_T2_jT3_P12ihipStream_tbPNSt15iterator_traitsISK_E10value_typeEPNSQ_ISL_E10value_typeEPSM_NS1_7vsmem_tEENKUlT_SK_SL_SM_E_clIPtSE_SF_SF_EESJ_SZ_SK_SL_SM_EUlSZ_E1_NS1_11comp_targetILNS1_3genE2ELNS1_11target_archE906ELNS1_3gpuE6ELNS1_3repE0EEENS1_36merge_oddeven_config_static_selectorELNS0_4arch9wavefront6targetE1EEEvSL_
	.p2align	8
	.type	_ZN7rocprim17ROCPRIM_400000_NS6detail17trampoline_kernelINS0_14default_configENS1_38merge_sort_block_merge_config_selectorItNS0_10empty_typeEEEZZNS1_27merge_sort_block_merge_implIS3_N6thrust23THRUST_200600_302600_NS6detail15normal_iteratorINS9_10device_ptrItEEEEPS5_jNS1_19radix_merge_compareILb0ELb0EtNS0_19identity_decomposerEEEEE10hipError_tT0_T1_T2_jT3_P12ihipStream_tbPNSt15iterator_traitsISK_E10value_typeEPNSQ_ISL_E10value_typeEPSM_NS1_7vsmem_tEENKUlT_SK_SL_SM_E_clIPtSE_SF_SF_EESJ_SZ_SK_SL_SM_EUlSZ_E1_NS1_11comp_targetILNS1_3genE2ELNS1_11target_archE906ELNS1_3gpuE6ELNS1_3repE0EEENS1_36merge_oddeven_config_static_selectorELNS0_4arch9wavefront6targetE1EEEvSL_,@function
_ZN7rocprim17ROCPRIM_400000_NS6detail17trampoline_kernelINS0_14default_configENS1_38merge_sort_block_merge_config_selectorItNS0_10empty_typeEEEZZNS1_27merge_sort_block_merge_implIS3_N6thrust23THRUST_200600_302600_NS6detail15normal_iteratorINS9_10device_ptrItEEEEPS5_jNS1_19radix_merge_compareILb0ELb0EtNS0_19identity_decomposerEEEEE10hipError_tT0_T1_T2_jT3_P12ihipStream_tbPNSt15iterator_traitsISK_E10value_typeEPNSQ_ISL_E10value_typeEPSM_NS1_7vsmem_tEENKUlT_SK_SL_SM_E_clIPtSE_SF_SF_EESJ_SZ_SK_SL_SM_EUlSZ_E1_NS1_11comp_targetILNS1_3genE2ELNS1_11target_archE906ELNS1_3gpuE6ELNS1_3repE0EEENS1_36merge_oddeven_config_static_selectorELNS0_4arch9wavefront6targetE1EEEvSL_: ; @_ZN7rocprim17ROCPRIM_400000_NS6detail17trampoline_kernelINS0_14default_configENS1_38merge_sort_block_merge_config_selectorItNS0_10empty_typeEEEZZNS1_27merge_sort_block_merge_implIS3_N6thrust23THRUST_200600_302600_NS6detail15normal_iteratorINS9_10device_ptrItEEEEPS5_jNS1_19radix_merge_compareILb0ELb0EtNS0_19identity_decomposerEEEEE10hipError_tT0_T1_T2_jT3_P12ihipStream_tbPNSt15iterator_traitsISK_E10value_typeEPNSQ_ISL_E10value_typeEPSM_NS1_7vsmem_tEENKUlT_SK_SL_SM_E_clIPtSE_SF_SF_EESJ_SZ_SK_SL_SM_EUlSZ_E1_NS1_11comp_targetILNS1_3genE2ELNS1_11target_archE906ELNS1_3gpuE6ELNS1_3repE0EEENS1_36merge_oddeven_config_static_selectorELNS0_4arch9wavefront6targetE1EEEvSL_
; %bb.0:
	.section	.rodata,"a",@progbits
	.p2align	6, 0x0
	.amdhsa_kernel _ZN7rocprim17ROCPRIM_400000_NS6detail17trampoline_kernelINS0_14default_configENS1_38merge_sort_block_merge_config_selectorItNS0_10empty_typeEEEZZNS1_27merge_sort_block_merge_implIS3_N6thrust23THRUST_200600_302600_NS6detail15normal_iteratorINS9_10device_ptrItEEEEPS5_jNS1_19radix_merge_compareILb0ELb0EtNS0_19identity_decomposerEEEEE10hipError_tT0_T1_T2_jT3_P12ihipStream_tbPNSt15iterator_traitsISK_E10value_typeEPNSQ_ISL_E10value_typeEPSM_NS1_7vsmem_tEENKUlT_SK_SL_SM_E_clIPtSE_SF_SF_EESJ_SZ_SK_SL_SM_EUlSZ_E1_NS1_11comp_targetILNS1_3genE2ELNS1_11target_archE906ELNS1_3gpuE6ELNS1_3repE0EEENS1_36merge_oddeven_config_static_selectorELNS0_4arch9wavefront6targetE1EEEvSL_
		.amdhsa_group_segment_fixed_size 0
		.amdhsa_private_segment_fixed_size 0
		.amdhsa_kernarg_size 48
		.amdhsa_user_sgpr_count 2
		.amdhsa_user_sgpr_dispatch_ptr 0
		.amdhsa_user_sgpr_queue_ptr 0
		.amdhsa_user_sgpr_kernarg_segment_ptr 1
		.amdhsa_user_sgpr_dispatch_id 0
		.amdhsa_user_sgpr_kernarg_preload_length 0
		.amdhsa_user_sgpr_kernarg_preload_offset 0
		.amdhsa_user_sgpr_private_segment_size 0
		.amdhsa_uses_dynamic_stack 0
		.amdhsa_enable_private_segment 0
		.amdhsa_system_sgpr_workgroup_id_x 1
		.amdhsa_system_sgpr_workgroup_id_y 0
		.amdhsa_system_sgpr_workgroup_id_z 0
		.amdhsa_system_sgpr_workgroup_info 0
		.amdhsa_system_vgpr_workitem_id 0
		.amdhsa_next_free_vgpr 1
		.amdhsa_next_free_sgpr 0
		.amdhsa_accum_offset 4
		.amdhsa_reserve_vcc 0
		.amdhsa_float_round_mode_32 0
		.amdhsa_float_round_mode_16_64 0
		.amdhsa_float_denorm_mode_32 3
		.amdhsa_float_denorm_mode_16_64 3
		.amdhsa_dx10_clamp 1
		.amdhsa_ieee_mode 1
		.amdhsa_fp16_overflow 0
		.amdhsa_tg_split 0
		.amdhsa_exception_fp_ieee_invalid_op 0
		.amdhsa_exception_fp_denorm_src 0
		.amdhsa_exception_fp_ieee_div_zero 0
		.amdhsa_exception_fp_ieee_overflow 0
		.amdhsa_exception_fp_ieee_underflow 0
		.amdhsa_exception_fp_ieee_inexact 0
		.amdhsa_exception_int_div_zero 0
	.end_amdhsa_kernel
	.section	.text._ZN7rocprim17ROCPRIM_400000_NS6detail17trampoline_kernelINS0_14default_configENS1_38merge_sort_block_merge_config_selectorItNS0_10empty_typeEEEZZNS1_27merge_sort_block_merge_implIS3_N6thrust23THRUST_200600_302600_NS6detail15normal_iteratorINS9_10device_ptrItEEEEPS5_jNS1_19radix_merge_compareILb0ELb0EtNS0_19identity_decomposerEEEEE10hipError_tT0_T1_T2_jT3_P12ihipStream_tbPNSt15iterator_traitsISK_E10value_typeEPNSQ_ISL_E10value_typeEPSM_NS1_7vsmem_tEENKUlT_SK_SL_SM_E_clIPtSE_SF_SF_EESJ_SZ_SK_SL_SM_EUlSZ_E1_NS1_11comp_targetILNS1_3genE2ELNS1_11target_archE906ELNS1_3gpuE6ELNS1_3repE0EEENS1_36merge_oddeven_config_static_selectorELNS0_4arch9wavefront6targetE1EEEvSL_,"axG",@progbits,_ZN7rocprim17ROCPRIM_400000_NS6detail17trampoline_kernelINS0_14default_configENS1_38merge_sort_block_merge_config_selectorItNS0_10empty_typeEEEZZNS1_27merge_sort_block_merge_implIS3_N6thrust23THRUST_200600_302600_NS6detail15normal_iteratorINS9_10device_ptrItEEEEPS5_jNS1_19radix_merge_compareILb0ELb0EtNS0_19identity_decomposerEEEEE10hipError_tT0_T1_T2_jT3_P12ihipStream_tbPNSt15iterator_traitsISK_E10value_typeEPNSQ_ISL_E10value_typeEPSM_NS1_7vsmem_tEENKUlT_SK_SL_SM_E_clIPtSE_SF_SF_EESJ_SZ_SK_SL_SM_EUlSZ_E1_NS1_11comp_targetILNS1_3genE2ELNS1_11target_archE906ELNS1_3gpuE6ELNS1_3repE0EEENS1_36merge_oddeven_config_static_selectorELNS0_4arch9wavefront6targetE1EEEvSL_,comdat
.Lfunc_end1227:
	.size	_ZN7rocprim17ROCPRIM_400000_NS6detail17trampoline_kernelINS0_14default_configENS1_38merge_sort_block_merge_config_selectorItNS0_10empty_typeEEEZZNS1_27merge_sort_block_merge_implIS3_N6thrust23THRUST_200600_302600_NS6detail15normal_iteratorINS9_10device_ptrItEEEEPS5_jNS1_19radix_merge_compareILb0ELb0EtNS0_19identity_decomposerEEEEE10hipError_tT0_T1_T2_jT3_P12ihipStream_tbPNSt15iterator_traitsISK_E10value_typeEPNSQ_ISL_E10value_typeEPSM_NS1_7vsmem_tEENKUlT_SK_SL_SM_E_clIPtSE_SF_SF_EESJ_SZ_SK_SL_SM_EUlSZ_E1_NS1_11comp_targetILNS1_3genE2ELNS1_11target_archE906ELNS1_3gpuE6ELNS1_3repE0EEENS1_36merge_oddeven_config_static_selectorELNS0_4arch9wavefront6targetE1EEEvSL_, .Lfunc_end1227-_ZN7rocprim17ROCPRIM_400000_NS6detail17trampoline_kernelINS0_14default_configENS1_38merge_sort_block_merge_config_selectorItNS0_10empty_typeEEEZZNS1_27merge_sort_block_merge_implIS3_N6thrust23THRUST_200600_302600_NS6detail15normal_iteratorINS9_10device_ptrItEEEEPS5_jNS1_19radix_merge_compareILb0ELb0EtNS0_19identity_decomposerEEEEE10hipError_tT0_T1_T2_jT3_P12ihipStream_tbPNSt15iterator_traitsISK_E10value_typeEPNSQ_ISL_E10value_typeEPSM_NS1_7vsmem_tEENKUlT_SK_SL_SM_E_clIPtSE_SF_SF_EESJ_SZ_SK_SL_SM_EUlSZ_E1_NS1_11comp_targetILNS1_3genE2ELNS1_11target_archE906ELNS1_3gpuE6ELNS1_3repE0EEENS1_36merge_oddeven_config_static_selectorELNS0_4arch9wavefront6targetE1EEEvSL_
                                        ; -- End function
	.section	.AMDGPU.csdata,"",@progbits
; Kernel info:
; codeLenInByte = 0
; NumSgprs: 6
; NumVgprs: 0
; NumAgprs: 0
; TotalNumVgprs: 0
; ScratchSize: 0
; MemoryBound: 0
; FloatMode: 240
; IeeeMode: 1
; LDSByteSize: 0 bytes/workgroup (compile time only)
; SGPRBlocks: 0
; VGPRBlocks: 0
; NumSGPRsForWavesPerEU: 6
; NumVGPRsForWavesPerEU: 1
; AccumOffset: 4
; Occupancy: 8
; WaveLimiterHint : 0
; COMPUTE_PGM_RSRC2:SCRATCH_EN: 0
; COMPUTE_PGM_RSRC2:USER_SGPR: 2
; COMPUTE_PGM_RSRC2:TRAP_HANDLER: 0
; COMPUTE_PGM_RSRC2:TGID_X_EN: 1
; COMPUTE_PGM_RSRC2:TGID_Y_EN: 0
; COMPUTE_PGM_RSRC2:TGID_Z_EN: 0
; COMPUTE_PGM_RSRC2:TIDIG_COMP_CNT: 0
; COMPUTE_PGM_RSRC3_GFX90A:ACCUM_OFFSET: 0
; COMPUTE_PGM_RSRC3_GFX90A:TG_SPLIT: 0
	.section	.text._ZN7rocprim17ROCPRIM_400000_NS6detail17trampoline_kernelINS0_14default_configENS1_38merge_sort_block_merge_config_selectorItNS0_10empty_typeEEEZZNS1_27merge_sort_block_merge_implIS3_N6thrust23THRUST_200600_302600_NS6detail15normal_iteratorINS9_10device_ptrItEEEEPS5_jNS1_19radix_merge_compareILb0ELb0EtNS0_19identity_decomposerEEEEE10hipError_tT0_T1_T2_jT3_P12ihipStream_tbPNSt15iterator_traitsISK_E10value_typeEPNSQ_ISL_E10value_typeEPSM_NS1_7vsmem_tEENKUlT_SK_SL_SM_E_clIPtSE_SF_SF_EESJ_SZ_SK_SL_SM_EUlSZ_E1_NS1_11comp_targetILNS1_3genE9ELNS1_11target_archE1100ELNS1_3gpuE3ELNS1_3repE0EEENS1_36merge_oddeven_config_static_selectorELNS0_4arch9wavefront6targetE1EEEvSL_,"axG",@progbits,_ZN7rocprim17ROCPRIM_400000_NS6detail17trampoline_kernelINS0_14default_configENS1_38merge_sort_block_merge_config_selectorItNS0_10empty_typeEEEZZNS1_27merge_sort_block_merge_implIS3_N6thrust23THRUST_200600_302600_NS6detail15normal_iteratorINS9_10device_ptrItEEEEPS5_jNS1_19radix_merge_compareILb0ELb0EtNS0_19identity_decomposerEEEEE10hipError_tT0_T1_T2_jT3_P12ihipStream_tbPNSt15iterator_traitsISK_E10value_typeEPNSQ_ISL_E10value_typeEPSM_NS1_7vsmem_tEENKUlT_SK_SL_SM_E_clIPtSE_SF_SF_EESJ_SZ_SK_SL_SM_EUlSZ_E1_NS1_11comp_targetILNS1_3genE9ELNS1_11target_archE1100ELNS1_3gpuE3ELNS1_3repE0EEENS1_36merge_oddeven_config_static_selectorELNS0_4arch9wavefront6targetE1EEEvSL_,comdat
	.protected	_ZN7rocprim17ROCPRIM_400000_NS6detail17trampoline_kernelINS0_14default_configENS1_38merge_sort_block_merge_config_selectorItNS0_10empty_typeEEEZZNS1_27merge_sort_block_merge_implIS3_N6thrust23THRUST_200600_302600_NS6detail15normal_iteratorINS9_10device_ptrItEEEEPS5_jNS1_19radix_merge_compareILb0ELb0EtNS0_19identity_decomposerEEEEE10hipError_tT0_T1_T2_jT3_P12ihipStream_tbPNSt15iterator_traitsISK_E10value_typeEPNSQ_ISL_E10value_typeEPSM_NS1_7vsmem_tEENKUlT_SK_SL_SM_E_clIPtSE_SF_SF_EESJ_SZ_SK_SL_SM_EUlSZ_E1_NS1_11comp_targetILNS1_3genE9ELNS1_11target_archE1100ELNS1_3gpuE3ELNS1_3repE0EEENS1_36merge_oddeven_config_static_selectorELNS0_4arch9wavefront6targetE1EEEvSL_ ; -- Begin function _ZN7rocprim17ROCPRIM_400000_NS6detail17trampoline_kernelINS0_14default_configENS1_38merge_sort_block_merge_config_selectorItNS0_10empty_typeEEEZZNS1_27merge_sort_block_merge_implIS3_N6thrust23THRUST_200600_302600_NS6detail15normal_iteratorINS9_10device_ptrItEEEEPS5_jNS1_19radix_merge_compareILb0ELb0EtNS0_19identity_decomposerEEEEE10hipError_tT0_T1_T2_jT3_P12ihipStream_tbPNSt15iterator_traitsISK_E10value_typeEPNSQ_ISL_E10value_typeEPSM_NS1_7vsmem_tEENKUlT_SK_SL_SM_E_clIPtSE_SF_SF_EESJ_SZ_SK_SL_SM_EUlSZ_E1_NS1_11comp_targetILNS1_3genE9ELNS1_11target_archE1100ELNS1_3gpuE3ELNS1_3repE0EEENS1_36merge_oddeven_config_static_selectorELNS0_4arch9wavefront6targetE1EEEvSL_
	.globl	_ZN7rocprim17ROCPRIM_400000_NS6detail17trampoline_kernelINS0_14default_configENS1_38merge_sort_block_merge_config_selectorItNS0_10empty_typeEEEZZNS1_27merge_sort_block_merge_implIS3_N6thrust23THRUST_200600_302600_NS6detail15normal_iteratorINS9_10device_ptrItEEEEPS5_jNS1_19radix_merge_compareILb0ELb0EtNS0_19identity_decomposerEEEEE10hipError_tT0_T1_T2_jT3_P12ihipStream_tbPNSt15iterator_traitsISK_E10value_typeEPNSQ_ISL_E10value_typeEPSM_NS1_7vsmem_tEENKUlT_SK_SL_SM_E_clIPtSE_SF_SF_EESJ_SZ_SK_SL_SM_EUlSZ_E1_NS1_11comp_targetILNS1_3genE9ELNS1_11target_archE1100ELNS1_3gpuE3ELNS1_3repE0EEENS1_36merge_oddeven_config_static_selectorELNS0_4arch9wavefront6targetE1EEEvSL_
	.p2align	8
	.type	_ZN7rocprim17ROCPRIM_400000_NS6detail17trampoline_kernelINS0_14default_configENS1_38merge_sort_block_merge_config_selectorItNS0_10empty_typeEEEZZNS1_27merge_sort_block_merge_implIS3_N6thrust23THRUST_200600_302600_NS6detail15normal_iteratorINS9_10device_ptrItEEEEPS5_jNS1_19radix_merge_compareILb0ELb0EtNS0_19identity_decomposerEEEEE10hipError_tT0_T1_T2_jT3_P12ihipStream_tbPNSt15iterator_traitsISK_E10value_typeEPNSQ_ISL_E10value_typeEPSM_NS1_7vsmem_tEENKUlT_SK_SL_SM_E_clIPtSE_SF_SF_EESJ_SZ_SK_SL_SM_EUlSZ_E1_NS1_11comp_targetILNS1_3genE9ELNS1_11target_archE1100ELNS1_3gpuE3ELNS1_3repE0EEENS1_36merge_oddeven_config_static_selectorELNS0_4arch9wavefront6targetE1EEEvSL_,@function
_ZN7rocprim17ROCPRIM_400000_NS6detail17trampoline_kernelINS0_14default_configENS1_38merge_sort_block_merge_config_selectorItNS0_10empty_typeEEEZZNS1_27merge_sort_block_merge_implIS3_N6thrust23THRUST_200600_302600_NS6detail15normal_iteratorINS9_10device_ptrItEEEEPS5_jNS1_19radix_merge_compareILb0ELb0EtNS0_19identity_decomposerEEEEE10hipError_tT0_T1_T2_jT3_P12ihipStream_tbPNSt15iterator_traitsISK_E10value_typeEPNSQ_ISL_E10value_typeEPSM_NS1_7vsmem_tEENKUlT_SK_SL_SM_E_clIPtSE_SF_SF_EESJ_SZ_SK_SL_SM_EUlSZ_E1_NS1_11comp_targetILNS1_3genE9ELNS1_11target_archE1100ELNS1_3gpuE3ELNS1_3repE0EEENS1_36merge_oddeven_config_static_selectorELNS0_4arch9wavefront6targetE1EEEvSL_: ; @_ZN7rocprim17ROCPRIM_400000_NS6detail17trampoline_kernelINS0_14default_configENS1_38merge_sort_block_merge_config_selectorItNS0_10empty_typeEEEZZNS1_27merge_sort_block_merge_implIS3_N6thrust23THRUST_200600_302600_NS6detail15normal_iteratorINS9_10device_ptrItEEEEPS5_jNS1_19radix_merge_compareILb0ELb0EtNS0_19identity_decomposerEEEEE10hipError_tT0_T1_T2_jT3_P12ihipStream_tbPNSt15iterator_traitsISK_E10value_typeEPNSQ_ISL_E10value_typeEPSM_NS1_7vsmem_tEENKUlT_SK_SL_SM_E_clIPtSE_SF_SF_EESJ_SZ_SK_SL_SM_EUlSZ_E1_NS1_11comp_targetILNS1_3genE9ELNS1_11target_archE1100ELNS1_3gpuE3ELNS1_3repE0EEENS1_36merge_oddeven_config_static_selectorELNS0_4arch9wavefront6targetE1EEEvSL_
; %bb.0:
	.section	.rodata,"a",@progbits
	.p2align	6, 0x0
	.amdhsa_kernel _ZN7rocprim17ROCPRIM_400000_NS6detail17trampoline_kernelINS0_14default_configENS1_38merge_sort_block_merge_config_selectorItNS0_10empty_typeEEEZZNS1_27merge_sort_block_merge_implIS3_N6thrust23THRUST_200600_302600_NS6detail15normal_iteratorINS9_10device_ptrItEEEEPS5_jNS1_19radix_merge_compareILb0ELb0EtNS0_19identity_decomposerEEEEE10hipError_tT0_T1_T2_jT3_P12ihipStream_tbPNSt15iterator_traitsISK_E10value_typeEPNSQ_ISL_E10value_typeEPSM_NS1_7vsmem_tEENKUlT_SK_SL_SM_E_clIPtSE_SF_SF_EESJ_SZ_SK_SL_SM_EUlSZ_E1_NS1_11comp_targetILNS1_3genE9ELNS1_11target_archE1100ELNS1_3gpuE3ELNS1_3repE0EEENS1_36merge_oddeven_config_static_selectorELNS0_4arch9wavefront6targetE1EEEvSL_
		.amdhsa_group_segment_fixed_size 0
		.amdhsa_private_segment_fixed_size 0
		.amdhsa_kernarg_size 48
		.amdhsa_user_sgpr_count 2
		.amdhsa_user_sgpr_dispatch_ptr 0
		.amdhsa_user_sgpr_queue_ptr 0
		.amdhsa_user_sgpr_kernarg_segment_ptr 1
		.amdhsa_user_sgpr_dispatch_id 0
		.amdhsa_user_sgpr_kernarg_preload_length 0
		.amdhsa_user_sgpr_kernarg_preload_offset 0
		.amdhsa_user_sgpr_private_segment_size 0
		.amdhsa_uses_dynamic_stack 0
		.amdhsa_enable_private_segment 0
		.amdhsa_system_sgpr_workgroup_id_x 1
		.amdhsa_system_sgpr_workgroup_id_y 0
		.amdhsa_system_sgpr_workgroup_id_z 0
		.amdhsa_system_sgpr_workgroup_info 0
		.amdhsa_system_vgpr_workitem_id 0
		.amdhsa_next_free_vgpr 1
		.amdhsa_next_free_sgpr 0
		.amdhsa_accum_offset 4
		.amdhsa_reserve_vcc 0
		.amdhsa_float_round_mode_32 0
		.amdhsa_float_round_mode_16_64 0
		.amdhsa_float_denorm_mode_32 3
		.amdhsa_float_denorm_mode_16_64 3
		.amdhsa_dx10_clamp 1
		.amdhsa_ieee_mode 1
		.amdhsa_fp16_overflow 0
		.amdhsa_tg_split 0
		.amdhsa_exception_fp_ieee_invalid_op 0
		.amdhsa_exception_fp_denorm_src 0
		.amdhsa_exception_fp_ieee_div_zero 0
		.amdhsa_exception_fp_ieee_overflow 0
		.amdhsa_exception_fp_ieee_underflow 0
		.amdhsa_exception_fp_ieee_inexact 0
		.amdhsa_exception_int_div_zero 0
	.end_amdhsa_kernel
	.section	.text._ZN7rocprim17ROCPRIM_400000_NS6detail17trampoline_kernelINS0_14default_configENS1_38merge_sort_block_merge_config_selectorItNS0_10empty_typeEEEZZNS1_27merge_sort_block_merge_implIS3_N6thrust23THRUST_200600_302600_NS6detail15normal_iteratorINS9_10device_ptrItEEEEPS5_jNS1_19radix_merge_compareILb0ELb0EtNS0_19identity_decomposerEEEEE10hipError_tT0_T1_T2_jT3_P12ihipStream_tbPNSt15iterator_traitsISK_E10value_typeEPNSQ_ISL_E10value_typeEPSM_NS1_7vsmem_tEENKUlT_SK_SL_SM_E_clIPtSE_SF_SF_EESJ_SZ_SK_SL_SM_EUlSZ_E1_NS1_11comp_targetILNS1_3genE9ELNS1_11target_archE1100ELNS1_3gpuE3ELNS1_3repE0EEENS1_36merge_oddeven_config_static_selectorELNS0_4arch9wavefront6targetE1EEEvSL_,"axG",@progbits,_ZN7rocprim17ROCPRIM_400000_NS6detail17trampoline_kernelINS0_14default_configENS1_38merge_sort_block_merge_config_selectorItNS0_10empty_typeEEEZZNS1_27merge_sort_block_merge_implIS3_N6thrust23THRUST_200600_302600_NS6detail15normal_iteratorINS9_10device_ptrItEEEEPS5_jNS1_19radix_merge_compareILb0ELb0EtNS0_19identity_decomposerEEEEE10hipError_tT0_T1_T2_jT3_P12ihipStream_tbPNSt15iterator_traitsISK_E10value_typeEPNSQ_ISL_E10value_typeEPSM_NS1_7vsmem_tEENKUlT_SK_SL_SM_E_clIPtSE_SF_SF_EESJ_SZ_SK_SL_SM_EUlSZ_E1_NS1_11comp_targetILNS1_3genE9ELNS1_11target_archE1100ELNS1_3gpuE3ELNS1_3repE0EEENS1_36merge_oddeven_config_static_selectorELNS0_4arch9wavefront6targetE1EEEvSL_,comdat
.Lfunc_end1228:
	.size	_ZN7rocprim17ROCPRIM_400000_NS6detail17trampoline_kernelINS0_14default_configENS1_38merge_sort_block_merge_config_selectorItNS0_10empty_typeEEEZZNS1_27merge_sort_block_merge_implIS3_N6thrust23THRUST_200600_302600_NS6detail15normal_iteratorINS9_10device_ptrItEEEEPS5_jNS1_19radix_merge_compareILb0ELb0EtNS0_19identity_decomposerEEEEE10hipError_tT0_T1_T2_jT3_P12ihipStream_tbPNSt15iterator_traitsISK_E10value_typeEPNSQ_ISL_E10value_typeEPSM_NS1_7vsmem_tEENKUlT_SK_SL_SM_E_clIPtSE_SF_SF_EESJ_SZ_SK_SL_SM_EUlSZ_E1_NS1_11comp_targetILNS1_3genE9ELNS1_11target_archE1100ELNS1_3gpuE3ELNS1_3repE0EEENS1_36merge_oddeven_config_static_selectorELNS0_4arch9wavefront6targetE1EEEvSL_, .Lfunc_end1228-_ZN7rocprim17ROCPRIM_400000_NS6detail17trampoline_kernelINS0_14default_configENS1_38merge_sort_block_merge_config_selectorItNS0_10empty_typeEEEZZNS1_27merge_sort_block_merge_implIS3_N6thrust23THRUST_200600_302600_NS6detail15normal_iteratorINS9_10device_ptrItEEEEPS5_jNS1_19radix_merge_compareILb0ELb0EtNS0_19identity_decomposerEEEEE10hipError_tT0_T1_T2_jT3_P12ihipStream_tbPNSt15iterator_traitsISK_E10value_typeEPNSQ_ISL_E10value_typeEPSM_NS1_7vsmem_tEENKUlT_SK_SL_SM_E_clIPtSE_SF_SF_EESJ_SZ_SK_SL_SM_EUlSZ_E1_NS1_11comp_targetILNS1_3genE9ELNS1_11target_archE1100ELNS1_3gpuE3ELNS1_3repE0EEENS1_36merge_oddeven_config_static_selectorELNS0_4arch9wavefront6targetE1EEEvSL_
                                        ; -- End function
	.section	.AMDGPU.csdata,"",@progbits
; Kernel info:
; codeLenInByte = 0
; NumSgprs: 6
; NumVgprs: 0
; NumAgprs: 0
; TotalNumVgprs: 0
; ScratchSize: 0
; MemoryBound: 0
; FloatMode: 240
; IeeeMode: 1
; LDSByteSize: 0 bytes/workgroup (compile time only)
; SGPRBlocks: 0
; VGPRBlocks: 0
; NumSGPRsForWavesPerEU: 6
; NumVGPRsForWavesPerEU: 1
; AccumOffset: 4
; Occupancy: 8
; WaveLimiterHint : 0
; COMPUTE_PGM_RSRC2:SCRATCH_EN: 0
; COMPUTE_PGM_RSRC2:USER_SGPR: 2
; COMPUTE_PGM_RSRC2:TRAP_HANDLER: 0
; COMPUTE_PGM_RSRC2:TGID_X_EN: 1
; COMPUTE_PGM_RSRC2:TGID_Y_EN: 0
; COMPUTE_PGM_RSRC2:TGID_Z_EN: 0
; COMPUTE_PGM_RSRC2:TIDIG_COMP_CNT: 0
; COMPUTE_PGM_RSRC3_GFX90A:ACCUM_OFFSET: 0
; COMPUTE_PGM_RSRC3_GFX90A:TG_SPLIT: 0
	.section	.text._ZN7rocprim17ROCPRIM_400000_NS6detail17trampoline_kernelINS0_14default_configENS1_38merge_sort_block_merge_config_selectorItNS0_10empty_typeEEEZZNS1_27merge_sort_block_merge_implIS3_N6thrust23THRUST_200600_302600_NS6detail15normal_iteratorINS9_10device_ptrItEEEEPS5_jNS1_19radix_merge_compareILb0ELb0EtNS0_19identity_decomposerEEEEE10hipError_tT0_T1_T2_jT3_P12ihipStream_tbPNSt15iterator_traitsISK_E10value_typeEPNSQ_ISL_E10value_typeEPSM_NS1_7vsmem_tEENKUlT_SK_SL_SM_E_clIPtSE_SF_SF_EESJ_SZ_SK_SL_SM_EUlSZ_E1_NS1_11comp_targetILNS1_3genE8ELNS1_11target_archE1030ELNS1_3gpuE2ELNS1_3repE0EEENS1_36merge_oddeven_config_static_selectorELNS0_4arch9wavefront6targetE1EEEvSL_,"axG",@progbits,_ZN7rocprim17ROCPRIM_400000_NS6detail17trampoline_kernelINS0_14default_configENS1_38merge_sort_block_merge_config_selectorItNS0_10empty_typeEEEZZNS1_27merge_sort_block_merge_implIS3_N6thrust23THRUST_200600_302600_NS6detail15normal_iteratorINS9_10device_ptrItEEEEPS5_jNS1_19radix_merge_compareILb0ELb0EtNS0_19identity_decomposerEEEEE10hipError_tT0_T1_T2_jT3_P12ihipStream_tbPNSt15iterator_traitsISK_E10value_typeEPNSQ_ISL_E10value_typeEPSM_NS1_7vsmem_tEENKUlT_SK_SL_SM_E_clIPtSE_SF_SF_EESJ_SZ_SK_SL_SM_EUlSZ_E1_NS1_11comp_targetILNS1_3genE8ELNS1_11target_archE1030ELNS1_3gpuE2ELNS1_3repE0EEENS1_36merge_oddeven_config_static_selectorELNS0_4arch9wavefront6targetE1EEEvSL_,comdat
	.protected	_ZN7rocprim17ROCPRIM_400000_NS6detail17trampoline_kernelINS0_14default_configENS1_38merge_sort_block_merge_config_selectorItNS0_10empty_typeEEEZZNS1_27merge_sort_block_merge_implIS3_N6thrust23THRUST_200600_302600_NS6detail15normal_iteratorINS9_10device_ptrItEEEEPS5_jNS1_19radix_merge_compareILb0ELb0EtNS0_19identity_decomposerEEEEE10hipError_tT0_T1_T2_jT3_P12ihipStream_tbPNSt15iterator_traitsISK_E10value_typeEPNSQ_ISL_E10value_typeEPSM_NS1_7vsmem_tEENKUlT_SK_SL_SM_E_clIPtSE_SF_SF_EESJ_SZ_SK_SL_SM_EUlSZ_E1_NS1_11comp_targetILNS1_3genE8ELNS1_11target_archE1030ELNS1_3gpuE2ELNS1_3repE0EEENS1_36merge_oddeven_config_static_selectorELNS0_4arch9wavefront6targetE1EEEvSL_ ; -- Begin function _ZN7rocprim17ROCPRIM_400000_NS6detail17trampoline_kernelINS0_14default_configENS1_38merge_sort_block_merge_config_selectorItNS0_10empty_typeEEEZZNS1_27merge_sort_block_merge_implIS3_N6thrust23THRUST_200600_302600_NS6detail15normal_iteratorINS9_10device_ptrItEEEEPS5_jNS1_19radix_merge_compareILb0ELb0EtNS0_19identity_decomposerEEEEE10hipError_tT0_T1_T2_jT3_P12ihipStream_tbPNSt15iterator_traitsISK_E10value_typeEPNSQ_ISL_E10value_typeEPSM_NS1_7vsmem_tEENKUlT_SK_SL_SM_E_clIPtSE_SF_SF_EESJ_SZ_SK_SL_SM_EUlSZ_E1_NS1_11comp_targetILNS1_3genE8ELNS1_11target_archE1030ELNS1_3gpuE2ELNS1_3repE0EEENS1_36merge_oddeven_config_static_selectorELNS0_4arch9wavefront6targetE1EEEvSL_
	.globl	_ZN7rocprim17ROCPRIM_400000_NS6detail17trampoline_kernelINS0_14default_configENS1_38merge_sort_block_merge_config_selectorItNS0_10empty_typeEEEZZNS1_27merge_sort_block_merge_implIS3_N6thrust23THRUST_200600_302600_NS6detail15normal_iteratorINS9_10device_ptrItEEEEPS5_jNS1_19radix_merge_compareILb0ELb0EtNS0_19identity_decomposerEEEEE10hipError_tT0_T1_T2_jT3_P12ihipStream_tbPNSt15iterator_traitsISK_E10value_typeEPNSQ_ISL_E10value_typeEPSM_NS1_7vsmem_tEENKUlT_SK_SL_SM_E_clIPtSE_SF_SF_EESJ_SZ_SK_SL_SM_EUlSZ_E1_NS1_11comp_targetILNS1_3genE8ELNS1_11target_archE1030ELNS1_3gpuE2ELNS1_3repE0EEENS1_36merge_oddeven_config_static_selectorELNS0_4arch9wavefront6targetE1EEEvSL_
	.p2align	8
	.type	_ZN7rocprim17ROCPRIM_400000_NS6detail17trampoline_kernelINS0_14default_configENS1_38merge_sort_block_merge_config_selectorItNS0_10empty_typeEEEZZNS1_27merge_sort_block_merge_implIS3_N6thrust23THRUST_200600_302600_NS6detail15normal_iteratorINS9_10device_ptrItEEEEPS5_jNS1_19radix_merge_compareILb0ELb0EtNS0_19identity_decomposerEEEEE10hipError_tT0_T1_T2_jT3_P12ihipStream_tbPNSt15iterator_traitsISK_E10value_typeEPNSQ_ISL_E10value_typeEPSM_NS1_7vsmem_tEENKUlT_SK_SL_SM_E_clIPtSE_SF_SF_EESJ_SZ_SK_SL_SM_EUlSZ_E1_NS1_11comp_targetILNS1_3genE8ELNS1_11target_archE1030ELNS1_3gpuE2ELNS1_3repE0EEENS1_36merge_oddeven_config_static_selectorELNS0_4arch9wavefront6targetE1EEEvSL_,@function
_ZN7rocprim17ROCPRIM_400000_NS6detail17trampoline_kernelINS0_14default_configENS1_38merge_sort_block_merge_config_selectorItNS0_10empty_typeEEEZZNS1_27merge_sort_block_merge_implIS3_N6thrust23THRUST_200600_302600_NS6detail15normal_iteratorINS9_10device_ptrItEEEEPS5_jNS1_19radix_merge_compareILb0ELb0EtNS0_19identity_decomposerEEEEE10hipError_tT0_T1_T2_jT3_P12ihipStream_tbPNSt15iterator_traitsISK_E10value_typeEPNSQ_ISL_E10value_typeEPSM_NS1_7vsmem_tEENKUlT_SK_SL_SM_E_clIPtSE_SF_SF_EESJ_SZ_SK_SL_SM_EUlSZ_E1_NS1_11comp_targetILNS1_3genE8ELNS1_11target_archE1030ELNS1_3gpuE2ELNS1_3repE0EEENS1_36merge_oddeven_config_static_selectorELNS0_4arch9wavefront6targetE1EEEvSL_: ; @_ZN7rocprim17ROCPRIM_400000_NS6detail17trampoline_kernelINS0_14default_configENS1_38merge_sort_block_merge_config_selectorItNS0_10empty_typeEEEZZNS1_27merge_sort_block_merge_implIS3_N6thrust23THRUST_200600_302600_NS6detail15normal_iteratorINS9_10device_ptrItEEEEPS5_jNS1_19radix_merge_compareILb0ELb0EtNS0_19identity_decomposerEEEEE10hipError_tT0_T1_T2_jT3_P12ihipStream_tbPNSt15iterator_traitsISK_E10value_typeEPNSQ_ISL_E10value_typeEPSM_NS1_7vsmem_tEENKUlT_SK_SL_SM_E_clIPtSE_SF_SF_EESJ_SZ_SK_SL_SM_EUlSZ_E1_NS1_11comp_targetILNS1_3genE8ELNS1_11target_archE1030ELNS1_3gpuE2ELNS1_3repE0EEENS1_36merge_oddeven_config_static_selectorELNS0_4arch9wavefront6targetE1EEEvSL_
; %bb.0:
	.section	.rodata,"a",@progbits
	.p2align	6, 0x0
	.amdhsa_kernel _ZN7rocprim17ROCPRIM_400000_NS6detail17trampoline_kernelINS0_14default_configENS1_38merge_sort_block_merge_config_selectorItNS0_10empty_typeEEEZZNS1_27merge_sort_block_merge_implIS3_N6thrust23THRUST_200600_302600_NS6detail15normal_iteratorINS9_10device_ptrItEEEEPS5_jNS1_19radix_merge_compareILb0ELb0EtNS0_19identity_decomposerEEEEE10hipError_tT0_T1_T2_jT3_P12ihipStream_tbPNSt15iterator_traitsISK_E10value_typeEPNSQ_ISL_E10value_typeEPSM_NS1_7vsmem_tEENKUlT_SK_SL_SM_E_clIPtSE_SF_SF_EESJ_SZ_SK_SL_SM_EUlSZ_E1_NS1_11comp_targetILNS1_3genE8ELNS1_11target_archE1030ELNS1_3gpuE2ELNS1_3repE0EEENS1_36merge_oddeven_config_static_selectorELNS0_4arch9wavefront6targetE1EEEvSL_
		.amdhsa_group_segment_fixed_size 0
		.amdhsa_private_segment_fixed_size 0
		.amdhsa_kernarg_size 48
		.amdhsa_user_sgpr_count 2
		.amdhsa_user_sgpr_dispatch_ptr 0
		.amdhsa_user_sgpr_queue_ptr 0
		.amdhsa_user_sgpr_kernarg_segment_ptr 1
		.amdhsa_user_sgpr_dispatch_id 0
		.amdhsa_user_sgpr_kernarg_preload_length 0
		.amdhsa_user_sgpr_kernarg_preload_offset 0
		.amdhsa_user_sgpr_private_segment_size 0
		.amdhsa_uses_dynamic_stack 0
		.amdhsa_enable_private_segment 0
		.amdhsa_system_sgpr_workgroup_id_x 1
		.amdhsa_system_sgpr_workgroup_id_y 0
		.amdhsa_system_sgpr_workgroup_id_z 0
		.amdhsa_system_sgpr_workgroup_info 0
		.amdhsa_system_vgpr_workitem_id 0
		.amdhsa_next_free_vgpr 1
		.amdhsa_next_free_sgpr 0
		.amdhsa_accum_offset 4
		.amdhsa_reserve_vcc 0
		.amdhsa_float_round_mode_32 0
		.amdhsa_float_round_mode_16_64 0
		.amdhsa_float_denorm_mode_32 3
		.amdhsa_float_denorm_mode_16_64 3
		.amdhsa_dx10_clamp 1
		.amdhsa_ieee_mode 1
		.amdhsa_fp16_overflow 0
		.amdhsa_tg_split 0
		.amdhsa_exception_fp_ieee_invalid_op 0
		.amdhsa_exception_fp_denorm_src 0
		.amdhsa_exception_fp_ieee_div_zero 0
		.amdhsa_exception_fp_ieee_overflow 0
		.amdhsa_exception_fp_ieee_underflow 0
		.amdhsa_exception_fp_ieee_inexact 0
		.amdhsa_exception_int_div_zero 0
	.end_amdhsa_kernel
	.section	.text._ZN7rocprim17ROCPRIM_400000_NS6detail17trampoline_kernelINS0_14default_configENS1_38merge_sort_block_merge_config_selectorItNS0_10empty_typeEEEZZNS1_27merge_sort_block_merge_implIS3_N6thrust23THRUST_200600_302600_NS6detail15normal_iteratorINS9_10device_ptrItEEEEPS5_jNS1_19radix_merge_compareILb0ELb0EtNS0_19identity_decomposerEEEEE10hipError_tT0_T1_T2_jT3_P12ihipStream_tbPNSt15iterator_traitsISK_E10value_typeEPNSQ_ISL_E10value_typeEPSM_NS1_7vsmem_tEENKUlT_SK_SL_SM_E_clIPtSE_SF_SF_EESJ_SZ_SK_SL_SM_EUlSZ_E1_NS1_11comp_targetILNS1_3genE8ELNS1_11target_archE1030ELNS1_3gpuE2ELNS1_3repE0EEENS1_36merge_oddeven_config_static_selectorELNS0_4arch9wavefront6targetE1EEEvSL_,"axG",@progbits,_ZN7rocprim17ROCPRIM_400000_NS6detail17trampoline_kernelINS0_14default_configENS1_38merge_sort_block_merge_config_selectorItNS0_10empty_typeEEEZZNS1_27merge_sort_block_merge_implIS3_N6thrust23THRUST_200600_302600_NS6detail15normal_iteratorINS9_10device_ptrItEEEEPS5_jNS1_19radix_merge_compareILb0ELb0EtNS0_19identity_decomposerEEEEE10hipError_tT0_T1_T2_jT3_P12ihipStream_tbPNSt15iterator_traitsISK_E10value_typeEPNSQ_ISL_E10value_typeEPSM_NS1_7vsmem_tEENKUlT_SK_SL_SM_E_clIPtSE_SF_SF_EESJ_SZ_SK_SL_SM_EUlSZ_E1_NS1_11comp_targetILNS1_3genE8ELNS1_11target_archE1030ELNS1_3gpuE2ELNS1_3repE0EEENS1_36merge_oddeven_config_static_selectorELNS0_4arch9wavefront6targetE1EEEvSL_,comdat
.Lfunc_end1229:
	.size	_ZN7rocprim17ROCPRIM_400000_NS6detail17trampoline_kernelINS0_14default_configENS1_38merge_sort_block_merge_config_selectorItNS0_10empty_typeEEEZZNS1_27merge_sort_block_merge_implIS3_N6thrust23THRUST_200600_302600_NS6detail15normal_iteratorINS9_10device_ptrItEEEEPS5_jNS1_19radix_merge_compareILb0ELb0EtNS0_19identity_decomposerEEEEE10hipError_tT0_T1_T2_jT3_P12ihipStream_tbPNSt15iterator_traitsISK_E10value_typeEPNSQ_ISL_E10value_typeEPSM_NS1_7vsmem_tEENKUlT_SK_SL_SM_E_clIPtSE_SF_SF_EESJ_SZ_SK_SL_SM_EUlSZ_E1_NS1_11comp_targetILNS1_3genE8ELNS1_11target_archE1030ELNS1_3gpuE2ELNS1_3repE0EEENS1_36merge_oddeven_config_static_selectorELNS0_4arch9wavefront6targetE1EEEvSL_, .Lfunc_end1229-_ZN7rocprim17ROCPRIM_400000_NS6detail17trampoline_kernelINS0_14default_configENS1_38merge_sort_block_merge_config_selectorItNS0_10empty_typeEEEZZNS1_27merge_sort_block_merge_implIS3_N6thrust23THRUST_200600_302600_NS6detail15normal_iteratorINS9_10device_ptrItEEEEPS5_jNS1_19radix_merge_compareILb0ELb0EtNS0_19identity_decomposerEEEEE10hipError_tT0_T1_T2_jT3_P12ihipStream_tbPNSt15iterator_traitsISK_E10value_typeEPNSQ_ISL_E10value_typeEPSM_NS1_7vsmem_tEENKUlT_SK_SL_SM_E_clIPtSE_SF_SF_EESJ_SZ_SK_SL_SM_EUlSZ_E1_NS1_11comp_targetILNS1_3genE8ELNS1_11target_archE1030ELNS1_3gpuE2ELNS1_3repE0EEENS1_36merge_oddeven_config_static_selectorELNS0_4arch9wavefront6targetE1EEEvSL_
                                        ; -- End function
	.section	.AMDGPU.csdata,"",@progbits
; Kernel info:
; codeLenInByte = 0
; NumSgprs: 6
; NumVgprs: 0
; NumAgprs: 0
; TotalNumVgprs: 0
; ScratchSize: 0
; MemoryBound: 0
; FloatMode: 240
; IeeeMode: 1
; LDSByteSize: 0 bytes/workgroup (compile time only)
; SGPRBlocks: 0
; VGPRBlocks: 0
; NumSGPRsForWavesPerEU: 6
; NumVGPRsForWavesPerEU: 1
; AccumOffset: 4
; Occupancy: 8
; WaveLimiterHint : 0
; COMPUTE_PGM_RSRC2:SCRATCH_EN: 0
; COMPUTE_PGM_RSRC2:USER_SGPR: 2
; COMPUTE_PGM_RSRC2:TRAP_HANDLER: 0
; COMPUTE_PGM_RSRC2:TGID_X_EN: 1
; COMPUTE_PGM_RSRC2:TGID_Y_EN: 0
; COMPUTE_PGM_RSRC2:TGID_Z_EN: 0
; COMPUTE_PGM_RSRC2:TIDIG_COMP_CNT: 0
; COMPUTE_PGM_RSRC3_GFX90A:ACCUM_OFFSET: 0
; COMPUTE_PGM_RSRC3_GFX90A:TG_SPLIT: 0
	.section	.text._ZN7rocprim17ROCPRIM_400000_NS6detail17trampoline_kernelINS0_14default_configENS1_38merge_sort_block_merge_config_selectorItNS0_10empty_typeEEEZZNS1_27merge_sort_block_merge_implIS3_N6thrust23THRUST_200600_302600_NS6detail15normal_iteratorINS9_10device_ptrItEEEEPS5_jNS1_19radix_merge_compareILb0ELb0EtNS0_19identity_decomposerEEEEE10hipError_tT0_T1_T2_jT3_P12ihipStream_tbPNSt15iterator_traitsISK_E10value_typeEPNSQ_ISL_E10value_typeEPSM_NS1_7vsmem_tEENKUlT_SK_SL_SM_E_clISE_PtSF_SF_EESJ_SZ_SK_SL_SM_EUlSZ_E_NS1_11comp_targetILNS1_3genE0ELNS1_11target_archE4294967295ELNS1_3gpuE0ELNS1_3repE0EEENS1_48merge_mergepath_partition_config_static_selectorELNS0_4arch9wavefront6targetE1EEEvSL_,"axG",@progbits,_ZN7rocprim17ROCPRIM_400000_NS6detail17trampoline_kernelINS0_14default_configENS1_38merge_sort_block_merge_config_selectorItNS0_10empty_typeEEEZZNS1_27merge_sort_block_merge_implIS3_N6thrust23THRUST_200600_302600_NS6detail15normal_iteratorINS9_10device_ptrItEEEEPS5_jNS1_19radix_merge_compareILb0ELb0EtNS0_19identity_decomposerEEEEE10hipError_tT0_T1_T2_jT3_P12ihipStream_tbPNSt15iterator_traitsISK_E10value_typeEPNSQ_ISL_E10value_typeEPSM_NS1_7vsmem_tEENKUlT_SK_SL_SM_E_clISE_PtSF_SF_EESJ_SZ_SK_SL_SM_EUlSZ_E_NS1_11comp_targetILNS1_3genE0ELNS1_11target_archE4294967295ELNS1_3gpuE0ELNS1_3repE0EEENS1_48merge_mergepath_partition_config_static_selectorELNS0_4arch9wavefront6targetE1EEEvSL_,comdat
	.protected	_ZN7rocprim17ROCPRIM_400000_NS6detail17trampoline_kernelINS0_14default_configENS1_38merge_sort_block_merge_config_selectorItNS0_10empty_typeEEEZZNS1_27merge_sort_block_merge_implIS3_N6thrust23THRUST_200600_302600_NS6detail15normal_iteratorINS9_10device_ptrItEEEEPS5_jNS1_19radix_merge_compareILb0ELb0EtNS0_19identity_decomposerEEEEE10hipError_tT0_T1_T2_jT3_P12ihipStream_tbPNSt15iterator_traitsISK_E10value_typeEPNSQ_ISL_E10value_typeEPSM_NS1_7vsmem_tEENKUlT_SK_SL_SM_E_clISE_PtSF_SF_EESJ_SZ_SK_SL_SM_EUlSZ_E_NS1_11comp_targetILNS1_3genE0ELNS1_11target_archE4294967295ELNS1_3gpuE0ELNS1_3repE0EEENS1_48merge_mergepath_partition_config_static_selectorELNS0_4arch9wavefront6targetE1EEEvSL_ ; -- Begin function _ZN7rocprim17ROCPRIM_400000_NS6detail17trampoline_kernelINS0_14default_configENS1_38merge_sort_block_merge_config_selectorItNS0_10empty_typeEEEZZNS1_27merge_sort_block_merge_implIS3_N6thrust23THRUST_200600_302600_NS6detail15normal_iteratorINS9_10device_ptrItEEEEPS5_jNS1_19radix_merge_compareILb0ELb0EtNS0_19identity_decomposerEEEEE10hipError_tT0_T1_T2_jT3_P12ihipStream_tbPNSt15iterator_traitsISK_E10value_typeEPNSQ_ISL_E10value_typeEPSM_NS1_7vsmem_tEENKUlT_SK_SL_SM_E_clISE_PtSF_SF_EESJ_SZ_SK_SL_SM_EUlSZ_E_NS1_11comp_targetILNS1_3genE0ELNS1_11target_archE4294967295ELNS1_3gpuE0ELNS1_3repE0EEENS1_48merge_mergepath_partition_config_static_selectorELNS0_4arch9wavefront6targetE1EEEvSL_
	.globl	_ZN7rocprim17ROCPRIM_400000_NS6detail17trampoline_kernelINS0_14default_configENS1_38merge_sort_block_merge_config_selectorItNS0_10empty_typeEEEZZNS1_27merge_sort_block_merge_implIS3_N6thrust23THRUST_200600_302600_NS6detail15normal_iteratorINS9_10device_ptrItEEEEPS5_jNS1_19radix_merge_compareILb0ELb0EtNS0_19identity_decomposerEEEEE10hipError_tT0_T1_T2_jT3_P12ihipStream_tbPNSt15iterator_traitsISK_E10value_typeEPNSQ_ISL_E10value_typeEPSM_NS1_7vsmem_tEENKUlT_SK_SL_SM_E_clISE_PtSF_SF_EESJ_SZ_SK_SL_SM_EUlSZ_E_NS1_11comp_targetILNS1_3genE0ELNS1_11target_archE4294967295ELNS1_3gpuE0ELNS1_3repE0EEENS1_48merge_mergepath_partition_config_static_selectorELNS0_4arch9wavefront6targetE1EEEvSL_
	.p2align	8
	.type	_ZN7rocprim17ROCPRIM_400000_NS6detail17trampoline_kernelINS0_14default_configENS1_38merge_sort_block_merge_config_selectorItNS0_10empty_typeEEEZZNS1_27merge_sort_block_merge_implIS3_N6thrust23THRUST_200600_302600_NS6detail15normal_iteratorINS9_10device_ptrItEEEEPS5_jNS1_19radix_merge_compareILb0ELb0EtNS0_19identity_decomposerEEEEE10hipError_tT0_T1_T2_jT3_P12ihipStream_tbPNSt15iterator_traitsISK_E10value_typeEPNSQ_ISL_E10value_typeEPSM_NS1_7vsmem_tEENKUlT_SK_SL_SM_E_clISE_PtSF_SF_EESJ_SZ_SK_SL_SM_EUlSZ_E_NS1_11comp_targetILNS1_3genE0ELNS1_11target_archE4294967295ELNS1_3gpuE0ELNS1_3repE0EEENS1_48merge_mergepath_partition_config_static_selectorELNS0_4arch9wavefront6targetE1EEEvSL_,@function
_ZN7rocprim17ROCPRIM_400000_NS6detail17trampoline_kernelINS0_14default_configENS1_38merge_sort_block_merge_config_selectorItNS0_10empty_typeEEEZZNS1_27merge_sort_block_merge_implIS3_N6thrust23THRUST_200600_302600_NS6detail15normal_iteratorINS9_10device_ptrItEEEEPS5_jNS1_19radix_merge_compareILb0ELb0EtNS0_19identity_decomposerEEEEE10hipError_tT0_T1_T2_jT3_P12ihipStream_tbPNSt15iterator_traitsISK_E10value_typeEPNSQ_ISL_E10value_typeEPSM_NS1_7vsmem_tEENKUlT_SK_SL_SM_E_clISE_PtSF_SF_EESJ_SZ_SK_SL_SM_EUlSZ_E_NS1_11comp_targetILNS1_3genE0ELNS1_11target_archE4294967295ELNS1_3gpuE0ELNS1_3repE0EEENS1_48merge_mergepath_partition_config_static_selectorELNS0_4arch9wavefront6targetE1EEEvSL_: ; @_ZN7rocprim17ROCPRIM_400000_NS6detail17trampoline_kernelINS0_14default_configENS1_38merge_sort_block_merge_config_selectorItNS0_10empty_typeEEEZZNS1_27merge_sort_block_merge_implIS3_N6thrust23THRUST_200600_302600_NS6detail15normal_iteratorINS9_10device_ptrItEEEEPS5_jNS1_19radix_merge_compareILb0ELb0EtNS0_19identity_decomposerEEEEE10hipError_tT0_T1_T2_jT3_P12ihipStream_tbPNSt15iterator_traitsISK_E10value_typeEPNSQ_ISL_E10value_typeEPSM_NS1_7vsmem_tEENKUlT_SK_SL_SM_E_clISE_PtSF_SF_EESJ_SZ_SK_SL_SM_EUlSZ_E_NS1_11comp_targetILNS1_3genE0ELNS1_11target_archE4294967295ELNS1_3gpuE0ELNS1_3repE0EEENS1_48merge_mergepath_partition_config_static_selectorELNS0_4arch9wavefront6targetE1EEEvSL_
; %bb.0:
	.section	.rodata,"a",@progbits
	.p2align	6, 0x0
	.amdhsa_kernel _ZN7rocprim17ROCPRIM_400000_NS6detail17trampoline_kernelINS0_14default_configENS1_38merge_sort_block_merge_config_selectorItNS0_10empty_typeEEEZZNS1_27merge_sort_block_merge_implIS3_N6thrust23THRUST_200600_302600_NS6detail15normal_iteratorINS9_10device_ptrItEEEEPS5_jNS1_19radix_merge_compareILb0ELb0EtNS0_19identity_decomposerEEEEE10hipError_tT0_T1_T2_jT3_P12ihipStream_tbPNSt15iterator_traitsISK_E10value_typeEPNSQ_ISL_E10value_typeEPSM_NS1_7vsmem_tEENKUlT_SK_SL_SM_E_clISE_PtSF_SF_EESJ_SZ_SK_SL_SM_EUlSZ_E_NS1_11comp_targetILNS1_3genE0ELNS1_11target_archE4294967295ELNS1_3gpuE0ELNS1_3repE0EEENS1_48merge_mergepath_partition_config_static_selectorELNS0_4arch9wavefront6targetE1EEEvSL_
		.amdhsa_group_segment_fixed_size 0
		.amdhsa_private_segment_fixed_size 0
		.amdhsa_kernarg_size 40
		.amdhsa_user_sgpr_count 2
		.amdhsa_user_sgpr_dispatch_ptr 0
		.amdhsa_user_sgpr_queue_ptr 0
		.amdhsa_user_sgpr_kernarg_segment_ptr 1
		.amdhsa_user_sgpr_dispatch_id 0
		.amdhsa_user_sgpr_kernarg_preload_length 0
		.amdhsa_user_sgpr_kernarg_preload_offset 0
		.amdhsa_user_sgpr_private_segment_size 0
		.amdhsa_uses_dynamic_stack 0
		.amdhsa_enable_private_segment 0
		.amdhsa_system_sgpr_workgroup_id_x 1
		.amdhsa_system_sgpr_workgroup_id_y 0
		.amdhsa_system_sgpr_workgroup_id_z 0
		.amdhsa_system_sgpr_workgroup_info 0
		.amdhsa_system_vgpr_workitem_id 0
		.amdhsa_next_free_vgpr 1
		.amdhsa_next_free_sgpr 0
		.amdhsa_accum_offset 4
		.amdhsa_reserve_vcc 0
		.amdhsa_float_round_mode_32 0
		.amdhsa_float_round_mode_16_64 0
		.amdhsa_float_denorm_mode_32 3
		.amdhsa_float_denorm_mode_16_64 3
		.amdhsa_dx10_clamp 1
		.amdhsa_ieee_mode 1
		.amdhsa_fp16_overflow 0
		.amdhsa_tg_split 0
		.amdhsa_exception_fp_ieee_invalid_op 0
		.amdhsa_exception_fp_denorm_src 0
		.amdhsa_exception_fp_ieee_div_zero 0
		.amdhsa_exception_fp_ieee_overflow 0
		.amdhsa_exception_fp_ieee_underflow 0
		.amdhsa_exception_fp_ieee_inexact 0
		.amdhsa_exception_int_div_zero 0
	.end_amdhsa_kernel
	.section	.text._ZN7rocprim17ROCPRIM_400000_NS6detail17trampoline_kernelINS0_14default_configENS1_38merge_sort_block_merge_config_selectorItNS0_10empty_typeEEEZZNS1_27merge_sort_block_merge_implIS3_N6thrust23THRUST_200600_302600_NS6detail15normal_iteratorINS9_10device_ptrItEEEEPS5_jNS1_19radix_merge_compareILb0ELb0EtNS0_19identity_decomposerEEEEE10hipError_tT0_T1_T2_jT3_P12ihipStream_tbPNSt15iterator_traitsISK_E10value_typeEPNSQ_ISL_E10value_typeEPSM_NS1_7vsmem_tEENKUlT_SK_SL_SM_E_clISE_PtSF_SF_EESJ_SZ_SK_SL_SM_EUlSZ_E_NS1_11comp_targetILNS1_3genE0ELNS1_11target_archE4294967295ELNS1_3gpuE0ELNS1_3repE0EEENS1_48merge_mergepath_partition_config_static_selectorELNS0_4arch9wavefront6targetE1EEEvSL_,"axG",@progbits,_ZN7rocprim17ROCPRIM_400000_NS6detail17trampoline_kernelINS0_14default_configENS1_38merge_sort_block_merge_config_selectorItNS0_10empty_typeEEEZZNS1_27merge_sort_block_merge_implIS3_N6thrust23THRUST_200600_302600_NS6detail15normal_iteratorINS9_10device_ptrItEEEEPS5_jNS1_19radix_merge_compareILb0ELb0EtNS0_19identity_decomposerEEEEE10hipError_tT0_T1_T2_jT3_P12ihipStream_tbPNSt15iterator_traitsISK_E10value_typeEPNSQ_ISL_E10value_typeEPSM_NS1_7vsmem_tEENKUlT_SK_SL_SM_E_clISE_PtSF_SF_EESJ_SZ_SK_SL_SM_EUlSZ_E_NS1_11comp_targetILNS1_3genE0ELNS1_11target_archE4294967295ELNS1_3gpuE0ELNS1_3repE0EEENS1_48merge_mergepath_partition_config_static_selectorELNS0_4arch9wavefront6targetE1EEEvSL_,comdat
.Lfunc_end1230:
	.size	_ZN7rocprim17ROCPRIM_400000_NS6detail17trampoline_kernelINS0_14default_configENS1_38merge_sort_block_merge_config_selectorItNS0_10empty_typeEEEZZNS1_27merge_sort_block_merge_implIS3_N6thrust23THRUST_200600_302600_NS6detail15normal_iteratorINS9_10device_ptrItEEEEPS5_jNS1_19radix_merge_compareILb0ELb0EtNS0_19identity_decomposerEEEEE10hipError_tT0_T1_T2_jT3_P12ihipStream_tbPNSt15iterator_traitsISK_E10value_typeEPNSQ_ISL_E10value_typeEPSM_NS1_7vsmem_tEENKUlT_SK_SL_SM_E_clISE_PtSF_SF_EESJ_SZ_SK_SL_SM_EUlSZ_E_NS1_11comp_targetILNS1_3genE0ELNS1_11target_archE4294967295ELNS1_3gpuE0ELNS1_3repE0EEENS1_48merge_mergepath_partition_config_static_selectorELNS0_4arch9wavefront6targetE1EEEvSL_, .Lfunc_end1230-_ZN7rocprim17ROCPRIM_400000_NS6detail17trampoline_kernelINS0_14default_configENS1_38merge_sort_block_merge_config_selectorItNS0_10empty_typeEEEZZNS1_27merge_sort_block_merge_implIS3_N6thrust23THRUST_200600_302600_NS6detail15normal_iteratorINS9_10device_ptrItEEEEPS5_jNS1_19radix_merge_compareILb0ELb0EtNS0_19identity_decomposerEEEEE10hipError_tT0_T1_T2_jT3_P12ihipStream_tbPNSt15iterator_traitsISK_E10value_typeEPNSQ_ISL_E10value_typeEPSM_NS1_7vsmem_tEENKUlT_SK_SL_SM_E_clISE_PtSF_SF_EESJ_SZ_SK_SL_SM_EUlSZ_E_NS1_11comp_targetILNS1_3genE0ELNS1_11target_archE4294967295ELNS1_3gpuE0ELNS1_3repE0EEENS1_48merge_mergepath_partition_config_static_selectorELNS0_4arch9wavefront6targetE1EEEvSL_
                                        ; -- End function
	.section	.AMDGPU.csdata,"",@progbits
; Kernel info:
; codeLenInByte = 0
; NumSgprs: 6
; NumVgprs: 0
; NumAgprs: 0
; TotalNumVgprs: 0
; ScratchSize: 0
; MemoryBound: 0
; FloatMode: 240
; IeeeMode: 1
; LDSByteSize: 0 bytes/workgroup (compile time only)
; SGPRBlocks: 0
; VGPRBlocks: 0
; NumSGPRsForWavesPerEU: 6
; NumVGPRsForWavesPerEU: 1
; AccumOffset: 4
; Occupancy: 8
; WaveLimiterHint : 0
; COMPUTE_PGM_RSRC2:SCRATCH_EN: 0
; COMPUTE_PGM_RSRC2:USER_SGPR: 2
; COMPUTE_PGM_RSRC2:TRAP_HANDLER: 0
; COMPUTE_PGM_RSRC2:TGID_X_EN: 1
; COMPUTE_PGM_RSRC2:TGID_Y_EN: 0
; COMPUTE_PGM_RSRC2:TGID_Z_EN: 0
; COMPUTE_PGM_RSRC2:TIDIG_COMP_CNT: 0
; COMPUTE_PGM_RSRC3_GFX90A:ACCUM_OFFSET: 0
; COMPUTE_PGM_RSRC3_GFX90A:TG_SPLIT: 0
	.section	.text._ZN7rocprim17ROCPRIM_400000_NS6detail17trampoline_kernelINS0_14default_configENS1_38merge_sort_block_merge_config_selectorItNS0_10empty_typeEEEZZNS1_27merge_sort_block_merge_implIS3_N6thrust23THRUST_200600_302600_NS6detail15normal_iteratorINS9_10device_ptrItEEEEPS5_jNS1_19radix_merge_compareILb0ELb0EtNS0_19identity_decomposerEEEEE10hipError_tT0_T1_T2_jT3_P12ihipStream_tbPNSt15iterator_traitsISK_E10value_typeEPNSQ_ISL_E10value_typeEPSM_NS1_7vsmem_tEENKUlT_SK_SL_SM_E_clISE_PtSF_SF_EESJ_SZ_SK_SL_SM_EUlSZ_E_NS1_11comp_targetILNS1_3genE10ELNS1_11target_archE1201ELNS1_3gpuE5ELNS1_3repE0EEENS1_48merge_mergepath_partition_config_static_selectorELNS0_4arch9wavefront6targetE1EEEvSL_,"axG",@progbits,_ZN7rocprim17ROCPRIM_400000_NS6detail17trampoline_kernelINS0_14default_configENS1_38merge_sort_block_merge_config_selectorItNS0_10empty_typeEEEZZNS1_27merge_sort_block_merge_implIS3_N6thrust23THRUST_200600_302600_NS6detail15normal_iteratorINS9_10device_ptrItEEEEPS5_jNS1_19radix_merge_compareILb0ELb0EtNS0_19identity_decomposerEEEEE10hipError_tT0_T1_T2_jT3_P12ihipStream_tbPNSt15iterator_traitsISK_E10value_typeEPNSQ_ISL_E10value_typeEPSM_NS1_7vsmem_tEENKUlT_SK_SL_SM_E_clISE_PtSF_SF_EESJ_SZ_SK_SL_SM_EUlSZ_E_NS1_11comp_targetILNS1_3genE10ELNS1_11target_archE1201ELNS1_3gpuE5ELNS1_3repE0EEENS1_48merge_mergepath_partition_config_static_selectorELNS0_4arch9wavefront6targetE1EEEvSL_,comdat
	.protected	_ZN7rocprim17ROCPRIM_400000_NS6detail17trampoline_kernelINS0_14default_configENS1_38merge_sort_block_merge_config_selectorItNS0_10empty_typeEEEZZNS1_27merge_sort_block_merge_implIS3_N6thrust23THRUST_200600_302600_NS6detail15normal_iteratorINS9_10device_ptrItEEEEPS5_jNS1_19radix_merge_compareILb0ELb0EtNS0_19identity_decomposerEEEEE10hipError_tT0_T1_T2_jT3_P12ihipStream_tbPNSt15iterator_traitsISK_E10value_typeEPNSQ_ISL_E10value_typeEPSM_NS1_7vsmem_tEENKUlT_SK_SL_SM_E_clISE_PtSF_SF_EESJ_SZ_SK_SL_SM_EUlSZ_E_NS1_11comp_targetILNS1_3genE10ELNS1_11target_archE1201ELNS1_3gpuE5ELNS1_3repE0EEENS1_48merge_mergepath_partition_config_static_selectorELNS0_4arch9wavefront6targetE1EEEvSL_ ; -- Begin function _ZN7rocprim17ROCPRIM_400000_NS6detail17trampoline_kernelINS0_14default_configENS1_38merge_sort_block_merge_config_selectorItNS0_10empty_typeEEEZZNS1_27merge_sort_block_merge_implIS3_N6thrust23THRUST_200600_302600_NS6detail15normal_iteratorINS9_10device_ptrItEEEEPS5_jNS1_19radix_merge_compareILb0ELb0EtNS0_19identity_decomposerEEEEE10hipError_tT0_T1_T2_jT3_P12ihipStream_tbPNSt15iterator_traitsISK_E10value_typeEPNSQ_ISL_E10value_typeEPSM_NS1_7vsmem_tEENKUlT_SK_SL_SM_E_clISE_PtSF_SF_EESJ_SZ_SK_SL_SM_EUlSZ_E_NS1_11comp_targetILNS1_3genE10ELNS1_11target_archE1201ELNS1_3gpuE5ELNS1_3repE0EEENS1_48merge_mergepath_partition_config_static_selectorELNS0_4arch9wavefront6targetE1EEEvSL_
	.globl	_ZN7rocprim17ROCPRIM_400000_NS6detail17trampoline_kernelINS0_14default_configENS1_38merge_sort_block_merge_config_selectorItNS0_10empty_typeEEEZZNS1_27merge_sort_block_merge_implIS3_N6thrust23THRUST_200600_302600_NS6detail15normal_iteratorINS9_10device_ptrItEEEEPS5_jNS1_19radix_merge_compareILb0ELb0EtNS0_19identity_decomposerEEEEE10hipError_tT0_T1_T2_jT3_P12ihipStream_tbPNSt15iterator_traitsISK_E10value_typeEPNSQ_ISL_E10value_typeEPSM_NS1_7vsmem_tEENKUlT_SK_SL_SM_E_clISE_PtSF_SF_EESJ_SZ_SK_SL_SM_EUlSZ_E_NS1_11comp_targetILNS1_3genE10ELNS1_11target_archE1201ELNS1_3gpuE5ELNS1_3repE0EEENS1_48merge_mergepath_partition_config_static_selectorELNS0_4arch9wavefront6targetE1EEEvSL_
	.p2align	8
	.type	_ZN7rocprim17ROCPRIM_400000_NS6detail17trampoline_kernelINS0_14default_configENS1_38merge_sort_block_merge_config_selectorItNS0_10empty_typeEEEZZNS1_27merge_sort_block_merge_implIS3_N6thrust23THRUST_200600_302600_NS6detail15normal_iteratorINS9_10device_ptrItEEEEPS5_jNS1_19radix_merge_compareILb0ELb0EtNS0_19identity_decomposerEEEEE10hipError_tT0_T1_T2_jT3_P12ihipStream_tbPNSt15iterator_traitsISK_E10value_typeEPNSQ_ISL_E10value_typeEPSM_NS1_7vsmem_tEENKUlT_SK_SL_SM_E_clISE_PtSF_SF_EESJ_SZ_SK_SL_SM_EUlSZ_E_NS1_11comp_targetILNS1_3genE10ELNS1_11target_archE1201ELNS1_3gpuE5ELNS1_3repE0EEENS1_48merge_mergepath_partition_config_static_selectorELNS0_4arch9wavefront6targetE1EEEvSL_,@function
_ZN7rocprim17ROCPRIM_400000_NS6detail17trampoline_kernelINS0_14default_configENS1_38merge_sort_block_merge_config_selectorItNS0_10empty_typeEEEZZNS1_27merge_sort_block_merge_implIS3_N6thrust23THRUST_200600_302600_NS6detail15normal_iteratorINS9_10device_ptrItEEEEPS5_jNS1_19radix_merge_compareILb0ELb0EtNS0_19identity_decomposerEEEEE10hipError_tT0_T1_T2_jT3_P12ihipStream_tbPNSt15iterator_traitsISK_E10value_typeEPNSQ_ISL_E10value_typeEPSM_NS1_7vsmem_tEENKUlT_SK_SL_SM_E_clISE_PtSF_SF_EESJ_SZ_SK_SL_SM_EUlSZ_E_NS1_11comp_targetILNS1_3genE10ELNS1_11target_archE1201ELNS1_3gpuE5ELNS1_3repE0EEENS1_48merge_mergepath_partition_config_static_selectorELNS0_4arch9wavefront6targetE1EEEvSL_: ; @_ZN7rocprim17ROCPRIM_400000_NS6detail17trampoline_kernelINS0_14default_configENS1_38merge_sort_block_merge_config_selectorItNS0_10empty_typeEEEZZNS1_27merge_sort_block_merge_implIS3_N6thrust23THRUST_200600_302600_NS6detail15normal_iteratorINS9_10device_ptrItEEEEPS5_jNS1_19radix_merge_compareILb0ELb0EtNS0_19identity_decomposerEEEEE10hipError_tT0_T1_T2_jT3_P12ihipStream_tbPNSt15iterator_traitsISK_E10value_typeEPNSQ_ISL_E10value_typeEPSM_NS1_7vsmem_tEENKUlT_SK_SL_SM_E_clISE_PtSF_SF_EESJ_SZ_SK_SL_SM_EUlSZ_E_NS1_11comp_targetILNS1_3genE10ELNS1_11target_archE1201ELNS1_3gpuE5ELNS1_3repE0EEENS1_48merge_mergepath_partition_config_static_selectorELNS0_4arch9wavefront6targetE1EEEvSL_
; %bb.0:
	.section	.rodata,"a",@progbits
	.p2align	6, 0x0
	.amdhsa_kernel _ZN7rocprim17ROCPRIM_400000_NS6detail17trampoline_kernelINS0_14default_configENS1_38merge_sort_block_merge_config_selectorItNS0_10empty_typeEEEZZNS1_27merge_sort_block_merge_implIS3_N6thrust23THRUST_200600_302600_NS6detail15normal_iteratorINS9_10device_ptrItEEEEPS5_jNS1_19radix_merge_compareILb0ELb0EtNS0_19identity_decomposerEEEEE10hipError_tT0_T1_T2_jT3_P12ihipStream_tbPNSt15iterator_traitsISK_E10value_typeEPNSQ_ISL_E10value_typeEPSM_NS1_7vsmem_tEENKUlT_SK_SL_SM_E_clISE_PtSF_SF_EESJ_SZ_SK_SL_SM_EUlSZ_E_NS1_11comp_targetILNS1_3genE10ELNS1_11target_archE1201ELNS1_3gpuE5ELNS1_3repE0EEENS1_48merge_mergepath_partition_config_static_selectorELNS0_4arch9wavefront6targetE1EEEvSL_
		.amdhsa_group_segment_fixed_size 0
		.amdhsa_private_segment_fixed_size 0
		.amdhsa_kernarg_size 40
		.amdhsa_user_sgpr_count 2
		.amdhsa_user_sgpr_dispatch_ptr 0
		.amdhsa_user_sgpr_queue_ptr 0
		.amdhsa_user_sgpr_kernarg_segment_ptr 1
		.amdhsa_user_sgpr_dispatch_id 0
		.amdhsa_user_sgpr_kernarg_preload_length 0
		.amdhsa_user_sgpr_kernarg_preload_offset 0
		.amdhsa_user_sgpr_private_segment_size 0
		.amdhsa_uses_dynamic_stack 0
		.amdhsa_enable_private_segment 0
		.amdhsa_system_sgpr_workgroup_id_x 1
		.amdhsa_system_sgpr_workgroup_id_y 0
		.amdhsa_system_sgpr_workgroup_id_z 0
		.amdhsa_system_sgpr_workgroup_info 0
		.amdhsa_system_vgpr_workitem_id 0
		.amdhsa_next_free_vgpr 1
		.amdhsa_next_free_sgpr 0
		.amdhsa_accum_offset 4
		.amdhsa_reserve_vcc 0
		.amdhsa_float_round_mode_32 0
		.amdhsa_float_round_mode_16_64 0
		.amdhsa_float_denorm_mode_32 3
		.amdhsa_float_denorm_mode_16_64 3
		.amdhsa_dx10_clamp 1
		.amdhsa_ieee_mode 1
		.amdhsa_fp16_overflow 0
		.amdhsa_tg_split 0
		.amdhsa_exception_fp_ieee_invalid_op 0
		.amdhsa_exception_fp_denorm_src 0
		.amdhsa_exception_fp_ieee_div_zero 0
		.amdhsa_exception_fp_ieee_overflow 0
		.amdhsa_exception_fp_ieee_underflow 0
		.amdhsa_exception_fp_ieee_inexact 0
		.amdhsa_exception_int_div_zero 0
	.end_amdhsa_kernel
	.section	.text._ZN7rocprim17ROCPRIM_400000_NS6detail17trampoline_kernelINS0_14default_configENS1_38merge_sort_block_merge_config_selectorItNS0_10empty_typeEEEZZNS1_27merge_sort_block_merge_implIS3_N6thrust23THRUST_200600_302600_NS6detail15normal_iteratorINS9_10device_ptrItEEEEPS5_jNS1_19radix_merge_compareILb0ELb0EtNS0_19identity_decomposerEEEEE10hipError_tT0_T1_T2_jT3_P12ihipStream_tbPNSt15iterator_traitsISK_E10value_typeEPNSQ_ISL_E10value_typeEPSM_NS1_7vsmem_tEENKUlT_SK_SL_SM_E_clISE_PtSF_SF_EESJ_SZ_SK_SL_SM_EUlSZ_E_NS1_11comp_targetILNS1_3genE10ELNS1_11target_archE1201ELNS1_3gpuE5ELNS1_3repE0EEENS1_48merge_mergepath_partition_config_static_selectorELNS0_4arch9wavefront6targetE1EEEvSL_,"axG",@progbits,_ZN7rocprim17ROCPRIM_400000_NS6detail17trampoline_kernelINS0_14default_configENS1_38merge_sort_block_merge_config_selectorItNS0_10empty_typeEEEZZNS1_27merge_sort_block_merge_implIS3_N6thrust23THRUST_200600_302600_NS6detail15normal_iteratorINS9_10device_ptrItEEEEPS5_jNS1_19radix_merge_compareILb0ELb0EtNS0_19identity_decomposerEEEEE10hipError_tT0_T1_T2_jT3_P12ihipStream_tbPNSt15iterator_traitsISK_E10value_typeEPNSQ_ISL_E10value_typeEPSM_NS1_7vsmem_tEENKUlT_SK_SL_SM_E_clISE_PtSF_SF_EESJ_SZ_SK_SL_SM_EUlSZ_E_NS1_11comp_targetILNS1_3genE10ELNS1_11target_archE1201ELNS1_3gpuE5ELNS1_3repE0EEENS1_48merge_mergepath_partition_config_static_selectorELNS0_4arch9wavefront6targetE1EEEvSL_,comdat
.Lfunc_end1231:
	.size	_ZN7rocprim17ROCPRIM_400000_NS6detail17trampoline_kernelINS0_14default_configENS1_38merge_sort_block_merge_config_selectorItNS0_10empty_typeEEEZZNS1_27merge_sort_block_merge_implIS3_N6thrust23THRUST_200600_302600_NS6detail15normal_iteratorINS9_10device_ptrItEEEEPS5_jNS1_19radix_merge_compareILb0ELb0EtNS0_19identity_decomposerEEEEE10hipError_tT0_T1_T2_jT3_P12ihipStream_tbPNSt15iterator_traitsISK_E10value_typeEPNSQ_ISL_E10value_typeEPSM_NS1_7vsmem_tEENKUlT_SK_SL_SM_E_clISE_PtSF_SF_EESJ_SZ_SK_SL_SM_EUlSZ_E_NS1_11comp_targetILNS1_3genE10ELNS1_11target_archE1201ELNS1_3gpuE5ELNS1_3repE0EEENS1_48merge_mergepath_partition_config_static_selectorELNS0_4arch9wavefront6targetE1EEEvSL_, .Lfunc_end1231-_ZN7rocprim17ROCPRIM_400000_NS6detail17trampoline_kernelINS0_14default_configENS1_38merge_sort_block_merge_config_selectorItNS0_10empty_typeEEEZZNS1_27merge_sort_block_merge_implIS3_N6thrust23THRUST_200600_302600_NS6detail15normal_iteratorINS9_10device_ptrItEEEEPS5_jNS1_19radix_merge_compareILb0ELb0EtNS0_19identity_decomposerEEEEE10hipError_tT0_T1_T2_jT3_P12ihipStream_tbPNSt15iterator_traitsISK_E10value_typeEPNSQ_ISL_E10value_typeEPSM_NS1_7vsmem_tEENKUlT_SK_SL_SM_E_clISE_PtSF_SF_EESJ_SZ_SK_SL_SM_EUlSZ_E_NS1_11comp_targetILNS1_3genE10ELNS1_11target_archE1201ELNS1_3gpuE5ELNS1_3repE0EEENS1_48merge_mergepath_partition_config_static_selectorELNS0_4arch9wavefront6targetE1EEEvSL_
                                        ; -- End function
	.section	.AMDGPU.csdata,"",@progbits
; Kernel info:
; codeLenInByte = 0
; NumSgprs: 6
; NumVgprs: 0
; NumAgprs: 0
; TotalNumVgprs: 0
; ScratchSize: 0
; MemoryBound: 0
; FloatMode: 240
; IeeeMode: 1
; LDSByteSize: 0 bytes/workgroup (compile time only)
; SGPRBlocks: 0
; VGPRBlocks: 0
; NumSGPRsForWavesPerEU: 6
; NumVGPRsForWavesPerEU: 1
; AccumOffset: 4
; Occupancy: 8
; WaveLimiterHint : 0
; COMPUTE_PGM_RSRC2:SCRATCH_EN: 0
; COMPUTE_PGM_RSRC2:USER_SGPR: 2
; COMPUTE_PGM_RSRC2:TRAP_HANDLER: 0
; COMPUTE_PGM_RSRC2:TGID_X_EN: 1
; COMPUTE_PGM_RSRC2:TGID_Y_EN: 0
; COMPUTE_PGM_RSRC2:TGID_Z_EN: 0
; COMPUTE_PGM_RSRC2:TIDIG_COMP_CNT: 0
; COMPUTE_PGM_RSRC3_GFX90A:ACCUM_OFFSET: 0
; COMPUTE_PGM_RSRC3_GFX90A:TG_SPLIT: 0
	.section	.text._ZN7rocprim17ROCPRIM_400000_NS6detail17trampoline_kernelINS0_14default_configENS1_38merge_sort_block_merge_config_selectorItNS0_10empty_typeEEEZZNS1_27merge_sort_block_merge_implIS3_N6thrust23THRUST_200600_302600_NS6detail15normal_iteratorINS9_10device_ptrItEEEEPS5_jNS1_19radix_merge_compareILb0ELb0EtNS0_19identity_decomposerEEEEE10hipError_tT0_T1_T2_jT3_P12ihipStream_tbPNSt15iterator_traitsISK_E10value_typeEPNSQ_ISL_E10value_typeEPSM_NS1_7vsmem_tEENKUlT_SK_SL_SM_E_clISE_PtSF_SF_EESJ_SZ_SK_SL_SM_EUlSZ_E_NS1_11comp_targetILNS1_3genE5ELNS1_11target_archE942ELNS1_3gpuE9ELNS1_3repE0EEENS1_48merge_mergepath_partition_config_static_selectorELNS0_4arch9wavefront6targetE1EEEvSL_,"axG",@progbits,_ZN7rocprim17ROCPRIM_400000_NS6detail17trampoline_kernelINS0_14default_configENS1_38merge_sort_block_merge_config_selectorItNS0_10empty_typeEEEZZNS1_27merge_sort_block_merge_implIS3_N6thrust23THRUST_200600_302600_NS6detail15normal_iteratorINS9_10device_ptrItEEEEPS5_jNS1_19radix_merge_compareILb0ELb0EtNS0_19identity_decomposerEEEEE10hipError_tT0_T1_T2_jT3_P12ihipStream_tbPNSt15iterator_traitsISK_E10value_typeEPNSQ_ISL_E10value_typeEPSM_NS1_7vsmem_tEENKUlT_SK_SL_SM_E_clISE_PtSF_SF_EESJ_SZ_SK_SL_SM_EUlSZ_E_NS1_11comp_targetILNS1_3genE5ELNS1_11target_archE942ELNS1_3gpuE9ELNS1_3repE0EEENS1_48merge_mergepath_partition_config_static_selectorELNS0_4arch9wavefront6targetE1EEEvSL_,comdat
	.protected	_ZN7rocprim17ROCPRIM_400000_NS6detail17trampoline_kernelINS0_14default_configENS1_38merge_sort_block_merge_config_selectorItNS0_10empty_typeEEEZZNS1_27merge_sort_block_merge_implIS3_N6thrust23THRUST_200600_302600_NS6detail15normal_iteratorINS9_10device_ptrItEEEEPS5_jNS1_19radix_merge_compareILb0ELb0EtNS0_19identity_decomposerEEEEE10hipError_tT0_T1_T2_jT3_P12ihipStream_tbPNSt15iterator_traitsISK_E10value_typeEPNSQ_ISL_E10value_typeEPSM_NS1_7vsmem_tEENKUlT_SK_SL_SM_E_clISE_PtSF_SF_EESJ_SZ_SK_SL_SM_EUlSZ_E_NS1_11comp_targetILNS1_3genE5ELNS1_11target_archE942ELNS1_3gpuE9ELNS1_3repE0EEENS1_48merge_mergepath_partition_config_static_selectorELNS0_4arch9wavefront6targetE1EEEvSL_ ; -- Begin function _ZN7rocprim17ROCPRIM_400000_NS6detail17trampoline_kernelINS0_14default_configENS1_38merge_sort_block_merge_config_selectorItNS0_10empty_typeEEEZZNS1_27merge_sort_block_merge_implIS3_N6thrust23THRUST_200600_302600_NS6detail15normal_iteratorINS9_10device_ptrItEEEEPS5_jNS1_19radix_merge_compareILb0ELb0EtNS0_19identity_decomposerEEEEE10hipError_tT0_T1_T2_jT3_P12ihipStream_tbPNSt15iterator_traitsISK_E10value_typeEPNSQ_ISL_E10value_typeEPSM_NS1_7vsmem_tEENKUlT_SK_SL_SM_E_clISE_PtSF_SF_EESJ_SZ_SK_SL_SM_EUlSZ_E_NS1_11comp_targetILNS1_3genE5ELNS1_11target_archE942ELNS1_3gpuE9ELNS1_3repE0EEENS1_48merge_mergepath_partition_config_static_selectorELNS0_4arch9wavefront6targetE1EEEvSL_
	.globl	_ZN7rocprim17ROCPRIM_400000_NS6detail17trampoline_kernelINS0_14default_configENS1_38merge_sort_block_merge_config_selectorItNS0_10empty_typeEEEZZNS1_27merge_sort_block_merge_implIS3_N6thrust23THRUST_200600_302600_NS6detail15normal_iteratorINS9_10device_ptrItEEEEPS5_jNS1_19radix_merge_compareILb0ELb0EtNS0_19identity_decomposerEEEEE10hipError_tT0_T1_T2_jT3_P12ihipStream_tbPNSt15iterator_traitsISK_E10value_typeEPNSQ_ISL_E10value_typeEPSM_NS1_7vsmem_tEENKUlT_SK_SL_SM_E_clISE_PtSF_SF_EESJ_SZ_SK_SL_SM_EUlSZ_E_NS1_11comp_targetILNS1_3genE5ELNS1_11target_archE942ELNS1_3gpuE9ELNS1_3repE0EEENS1_48merge_mergepath_partition_config_static_selectorELNS0_4arch9wavefront6targetE1EEEvSL_
	.p2align	8
	.type	_ZN7rocprim17ROCPRIM_400000_NS6detail17trampoline_kernelINS0_14default_configENS1_38merge_sort_block_merge_config_selectorItNS0_10empty_typeEEEZZNS1_27merge_sort_block_merge_implIS3_N6thrust23THRUST_200600_302600_NS6detail15normal_iteratorINS9_10device_ptrItEEEEPS5_jNS1_19radix_merge_compareILb0ELb0EtNS0_19identity_decomposerEEEEE10hipError_tT0_T1_T2_jT3_P12ihipStream_tbPNSt15iterator_traitsISK_E10value_typeEPNSQ_ISL_E10value_typeEPSM_NS1_7vsmem_tEENKUlT_SK_SL_SM_E_clISE_PtSF_SF_EESJ_SZ_SK_SL_SM_EUlSZ_E_NS1_11comp_targetILNS1_3genE5ELNS1_11target_archE942ELNS1_3gpuE9ELNS1_3repE0EEENS1_48merge_mergepath_partition_config_static_selectorELNS0_4arch9wavefront6targetE1EEEvSL_,@function
_ZN7rocprim17ROCPRIM_400000_NS6detail17trampoline_kernelINS0_14default_configENS1_38merge_sort_block_merge_config_selectorItNS0_10empty_typeEEEZZNS1_27merge_sort_block_merge_implIS3_N6thrust23THRUST_200600_302600_NS6detail15normal_iteratorINS9_10device_ptrItEEEEPS5_jNS1_19radix_merge_compareILb0ELb0EtNS0_19identity_decomposerEEEEE10hipError_tT0_T1_T2_jT3_P12ihipStream_tbPNSt15iterator_traitsISK_E10value_typeEPNSQ_ISL_E10value_typeEPSM_NS1_7vsmem_tEENKUlT_SK_SL_SM_E_clISE_PtSF_SF_EESJ_SZ_SK_SL_SM_EUlSZ_E_NS1_11comp_targetILNS1_3genE5ELNS1_11target_archE942ELNS1_3gpuE9ELNS1_3repE0EEENS1_48merge_mergepath_partition_config_static_selectorELNS0_4arch9wavefront6targetE1EEEvSL_: ; @_ZN7rocprim17ROCPRIM_400000_NS6detail17trampoline_kernelINS0_14default_configENS1_38merge_sort_block_merge_config_selectorItNS0_10empty_typeEEEZZNS1_27merge_sort_block_merge_implIS3_N6thrust23THRUST_200600_302600_NS6detail15normal_iteratorINS9_10device_ptrItEEEEPS5_jNS1_19radix_merge_compareILb0ELb0EtNS0_19identity_decomposerEEEEE10hipError_tT0_T1_T2_jT3_P12ihipStream_tbPNSt15iterator_traitsISK_E10value_typeEPNSQ_ISL_E10value_typeEPSM_NS1_7vsmem_tEENKUlT_SK_SL_SM_E_clISE_PtSF_SF_EESJ_SZ_SK_SL_SM_EUlSZ_E_NS1_11comp_targetILNS1_3genE5ELNS1_11target_archE942ELNS1_3gpuE9ELNS1_3repE0EEENS1_48merge_mergepath_partition_config_static_selectorELNS0_4arch9wavefront6targetE1EEEvSL_
; %bb.0:
	s_load_dword s3, s[0:1], 0x0
	v_lshl_or_b32 v0, s2, 7, v0
	s_waitcnt lgkmcnt(0)
	v_cmp_gt_u32_e32 vcc, s3, v0
	s_and_saveexec_b64 s[2:3], vcc
	s_cbranch_execz .LBB1232_6
; %bb.1:
	s_load_dwordx2 s[4:5], s[0:1], 0x4
	s_load_dwordx2 s[2:3], s[0:1], 0x20
	s_waitcnt lgkmcnt(0)
	s_lshr_b32 s6, s4, 9
	s_and_b32 s6, s6, 0x7ffffe
	s_add_i32 s7, s6, -1
	s_sub_i32 s6, 0, s6
	v_and_b32_e32 v1, s6, v0
	v_lshlrev_b32_e32 v1, 10, v1
	v_min_u32_e32 v2, s5, v1
	v_add_u32_e32 v1, s4, v1
	v_min_u32_e32 v4, s5, v1
	v_add_u32_e32 v1, s4, v4
	v_and_b32_e32 v3, s7, v0
	v_min_u32_e32 v1, s5, v1
	v_sub_u32_e32 v5, v1, v2
	v_lshlrev_b32_e32 v3, 10, v3
	v_min_u32_e32 v10, v5, v3
	v_sub_u32_e32 v3, v4, v2
	v_sub_u32_e32 v1, v1, v4
	v_sub_u32_e64 v1, v10, v1 clamp
	v_min_u32_e32 v11, v10, v3
	v_cmp_lt_u32_e32 vcc, v1, v11
	s_and_saveexec_b64 s[4:5], vcc
	s_cbranch_execz .LBB1232_5
; %bb.2:
	s_load_dwordx2 s[0:1], s[0:1], 0x10
	v_mov_b32_e32 v5, 0
	v_mov_b32_e32 v3, v5
	s_waitcnt lgkmcnt(0)
	v_lshl_add_u64 v[6:7], v[2:3], 1, s[0:1]
	v_lshl_add_u64 v[8:9], v[4:5], 1, s[0:1]
	s_mov_b64 s[0:1], 0
.LBB1232_3:                             ; =>This Inner Loop Header: Depth=1
	v_add_u32_e32 v3, v11, v1
	v_lshrrev_b32_e32 v16, 1, v3
	v_and_b32_e32 v4, -2, v3
	v_mov_b32_e32 v13, v5
	v_xad_u32 v12, v16, -1, v10
	v_lshl_add_u64 v[14:15], v[6:7], 0, v[4:5]
	v_lshl_add_u64 v[12:13], v[12:13], 1, v[8:9]
	flat_load_ushort v3, v[14:15]
	flat_load_ushort v4, v[12:13]
	v_add_u32_e32 v12, 1, v16
	s_waitcnt vmcnt(0) lgkmcnt(0)
	v_cmp_gt_u16_e32 vcc, v3, v4
	s_nop 1
	v_cndmask_b32_e32 v11, v11, v16, vcc
	v_cndmask_b32_e32 v1, v12, v1, vcc
	v_cmp_ge_u32_e32 vcc, v1, v11
	s_or_b64 s[0:1], vcc, s[0:1]
	s_andn2_b64 exec, exec, s[0:1]
	s_cbranch_execnz .LBB1232_3
; %bb.4:
	s_or_b64 exec, exec, s[0:1]
.LBB1232_5:
	s_or_b64 exec, exec, s[4:5]
	v_add_u32_e32 v2, v1, v2
	v_mov_b32_e32 v1, 0
	v_lshl_add_u64 v[0:1], v[0:1], 2, s[2:3]
	global_store_dword v[0:1], v2, off
.LBB1232_6:
	s_endpgm
	.section	.rodata,"a",@progbits
	.p2align	6, 0x0
	.amdhsa_kernel _ZN7rocprim17ROCPRIM_400000_NS6detail17trampoline_kernelINS0_14default_configENS1_38merge_sort_block_merge_config_selectorItNS0_10empty_typeEEEZZNS1_27merge_sort_block_merge_implIS3_N6thrust23THRUST_200600_302600_NS6detail15normal_iteratorINS9_10device_ptrItEEEEPS5_jNS1_19radix_merge_compareILb0ELb0EtNS0_19identity_decomposerEEEEE10hipError_tT0_T1_T2_jT3_P12ihipStream_tbPNSt15iterator_traitsISK_E10value_typeEPNSQ_ISL_E10value_typeEPSM_NS1_7vsmem_tEENKUlT_SK_SL_SM_E_clISE_PtSF_SF_EESJ_SZ_SK_SL_SM_EUlSZ_E_NS1_11comp_targetILNS1_3genE5ELNS1_11target_archE942ELNS1_3gpuE9ELNS1_3repE0EEENS1_48merge_mergepath_partition_config_static_selectorELNS0_4arch9wavefront6targetE1EEEvSL_
		.amdhsa_group_segment_fixed_size 0
		.amdhsa_private_segment_fixed_size 0
		.amdhsa_kernarg_size 40
		.amdhsa_user_sgpr_count 2
		.amdhsa_user_sgpr_dispatch_ptr 0
		.amdhsa_user_sgpr_queue_ptr 0
		.amdhsa_user_sgpr_kernarg_segment_ptr 1
		.amdhsa_user_sgpr_dispatch_id 0
		.amdhsa_user_sgpr_kernarg_preload_length 0
		.amdhsa_user_sgpr_kernarg_preload_offset 0
		.amdhsa_user_sgpr_private_segment_size 0
		.amdhsa_uses_dynamic_stack 0
		.amdhsa_enable_private_segment 0
		.amdhsa_system_sgpr_workgroup_id_x 1
		.amdhsa_system_sgpr_workgroup_id_y 0
		.amdhsa_system_sgpr_workgroup_id_z 0
		.amdhsa_system_sgpr_workgroup_info 0
		.amdhsa_system_vgpr_workitem_id 0
		.amdhsa_next_free_vgpr 17
		.amdhsa_next_free_sgpr 8
		.amdhsa_accum_offset 20
		.amdhsa_reserve_vcc 1
		.amdhsa_float_round_mode_32 0
		.amdhsa_float_round_mode_16_64 0
		.amdhsa_float_denorm_mode_32 3
		.amdhsa_float_denorm_mode_16_64 3
		.amdhsa_dx10_clamp 1
		.amdhsa_ieee_mode 1
		.amdhsa_fp16_overflow 0
		.amdhsa_tg_split 0
		.amdhsa_exception_fp_ieee_invalid_op 0
		.amdhsa_exception_fp_denorm_src 0
		.amdhsa_exception_fp_ieee_div_zero 0
		.amdhsa_exception_fp_ieee_overflow 0
		.amdhsa_exception_fp_ieee_underflow 0
		.amdhsa_exception_fp_ieee_inexact 0
		.amdhsa_exception_int_div_zero 0
	.end_amdhsa_kernel
	.section	.text._ZN7rocprim17ROCPRIM_400000_NS6detail17trampoline_kernelINS0_14default_configENS1_38merge_sort_block_merge_config_selectorItNS0_10empty_typeEEEZZNS1_27merge_sort_block_merge_implIS3_N6thrust23THRUST_200600_302600_NS6detail15normal_iteratorINS9_10device_ptrItEEEEPS5_jNS1_19radix_merge_compareILb0ELb0EtNS0_19identity_decomposerEEEEE10hipError_tT0_T1_T2_jT3_P12ihipStream_tbPNSt15iterator_traitsISK_E10value_typeEPNSQ_ISL_E10value_typeEPSM_NS1_7vsmem_tEENKUlT_SK_SL_SM_E_clISE_PtSF_SF_EESJ_SZ_SK_SL_SM_EUlSZ_E_NS1_11comp_targetILNS1_3genE5ELNS1_11target_archE942ELNS1_3gpuE9ELNS1_3repE0EEENS1_48merge_mergepath_partition_config_static_selectorELNS0_4arch9wavefront6targetE1EEEvSL_,"axG",@progbits,_ZN7rocprim17ROCPRIM_400000_NS6detail17trampoline_kernelINS0_14default_configENS1_38merge_sort_block_merge_config_selectorItNS0_10empty_typeEEEZZNS1_27merge_sort_block_merge_implIS3_N6thrust23THRUST_200600_302600_NS6detail15normal_iteratorINS9_10device_ptrItEEEEPS5_jNS1_19radix_merge_compareILb0ELb0EtNS0_19identity_decomposerEEEEE10hipError_tT0_T1_T2_jT3_P12ihipStream_tbPNSt15iterator_traitsISK_E10value_typeEPNSQ_ISL_E10value_typeEPSM_NS1_7vsmem_tEENKUlT_SK_SL_SM_E_clISE_PtSF_SF_EESJ_SZ_SK_SL_SM_EUlSZ_E_NS1_11comp_targetILNS1_3genE5ELNS1_11target_archE942ELNS1_3gpuE9ELNS1_3repE0EEENS1_48merge_mergepath_partition_config_static_selectorELNS0_4arch9wavefront6targetE1EEEvSL_,comdat
.Lfunc_end1232:
	.size	_ZN7rocprim17ROCPRIM_400000_NS6detail17trampoline_kernelINS0_14default_configENS1_38merge_sort_block_merge_config_selectorItNS0_10empty_typeEEEZZNS1_27merge_sort_block_merge_implIS3_N6thrust23THRUST_200600_302600_NS6detail15normal_iteratorINS9_10device_ptrItEEEEPS5_jNS1_19radix_merge_compareILb0ELb0EtNS0_19identity_decomposerEEEEE10hipError_tT0_T1_T2_jT3_P12ihipStream_tbPNSt15iterator_traitsISK_E10value_typeEPNSQ_ISL_E10value_typeEPSM_NS1_7vsmem_tEENKUlT_SK_SL_SM_E_clISE_PtSF_SF_EESJ_SZ_SK_SL_SM_EUlSZ_E_NS1_11comp_targetILNS1_3genE5ELNS1_11target_archE942ELNS1_3gpuE9ELNS1_3repE0EEENS1_48merge_mergepath_partition_config_static_selectorELNS0_4arch9wavefront6targetE1EEEvSL_, .Lfunc_end1232-_ZN7rocprim17ROCPRIM_400000_NS6detail17trampoline_kernelINS0_14default_configENS1_38merge_sort_block_merge_config_selectorItNS0_10empty_typeEEEZZNS1_27merge_sort_block_merge_implIS3_N6thrust23THRUST_200600_302600_NS6detail15normal_iteratorINS9_10device_ptrItEEEEPS5_jNS1_19radix_merge_compareILb0ELb0EtNS0_19identity_decomposerEEEEE10hipError_tT0_T1_T2_jT3_P12ihipStream_tbPNSt15iterator_traitsISK_E10value_typeEPNSQ_ISL_E10value_typeEPSM_NS1_7vsmem_tEENKUlT_SK_SL_SM_E_clISE_PtSF_SF_EESJ_SZ_SK_SL_SM_EUlSZ_E_NS1_11comp_targetILNS1_3genE5ELNS1_11target_archE942ELNS1_3gpuE9ELNS1_3repE0EEENS1_48merge_mergepath_partition_config_static_selectorELNS0_4arch9wavefront6targetE1EEEvSL_
                                        ; -- End function
	.section	.AMDGPU.csdata,"",@progbits
; Kernel info:
; codeLenInByte = 320
; NumSgprs: 14
; NumVgprs: 17
; NumAgprs: 0
; TotalNumVgprs: 17
; ScratchSize: 0
; MemoryBound: 0
; FloatMode: 240
; IeeeMode: 1
; LDSByteSize: 0 bytes/workgroup (compile time only)
; SGPRBlocks: 1
; VGPRBlocks: 2
; NumSGPRsForWavesPerEU: 14
; NumVGPRsForWavesPerEU: 17
; AccumOffset: 20
; Occupancy: 8
; WaveLimiterHint : 0
; COMPUTE_PGM_RSRC2:SCRATCH_EN: 0
; COMPUTE_PGM_RSRC2:USER_SGPR: 2
; COMPUTE_PGM_RSRC2:TRAP_HANDLER: 0
; COMPUTE_PGM_RSRC2:TGID_X_EN: 1
; COMPUTE_PGM_RSRC2:TGID_Y_EN: 0
; COMPUTE_PGM_RSRC2:TGID_Z_EN: 0
; COMPUTE_PGM_RSRC2:TIDIG_COMP_CNT: 0
; COMPUTE_PGM_RSRC3_GFX90A:ACCUM_OFFSET: 4
; COMPUTE_PGM_RSRC3_GFX90A:TG_SPLIT: 0
	.section	.text._ZN7rocprim17ROCPRIM_400000_NS6detail17trampoline_kernelINS0_14default_configENS1_38merge_sort_block_merge_config_selectorItNS0_10empty_typeEEEZZNS1_27merge_sort_block_merge_implIS3_N6thrust23THRUST_200600_302600_NS6detail15normal_iteratorINS9_10device_ptrItEEEEPS5_jNS1_19radix_merge_compareILb0ELb0EtNS0_19identity_decomposerEEEEE10hipError_tT0_T1_T2_jT3_P12ihipStream_tbPNSt15iterator_traitsISK_E10value_typeEPNSQ_ISL_E10value_typeEPSM_NS1_7vsmem_tEENKUlT_SK_SL_SM_E_clISE_PtSF_SF_EESJ_SZ_SK_SL_SM_EUlSZ_E_NS1_11comp_targetILNS1_3genE4ELNS1_11target_archE910ELNS1_3gpuE8ELNS1_3repE0EEENS1_48merge_mergepath_partition_config_static_selectorELNS0_4arch9wavefront6targetE1EEEvSL_,"axG",@progbits,_ZN7rocprim17ROCPRIM_400000_NS6detail17trampoline_kernelINS0_14default_configENS1_38merge_sort_block_merge_config_selectorItNS0_10empty_typeEEEZZNS1_27merge_sort_block_merge_implIS3_N6thrust23THRUST_200600_302600_NS6detail15normal_iteratorINS9_10device_ptrItEEEEPS5_jNS1_19radix_merge_compareILb0ELb0EtNS0_19identity_decomposerEEEEE10hipError_tT0_T1_T2_jT3_P12ihipStream_tbPNSt15iterator_traitsISK_E10value_typeEPNSQ_ISL_E10value_typeEPSM_NS1_7vsmem_tEENKUlT_SK_SL_SM_E_clISE_PtSF_SF_EESJ_SZ_SK_SL_SM_EUlSZ_E_NS1_11comp_targetILNS1_3genE4ELNS1_11target_archE910ELNS1_3gpuE8ELNS1_3repE0EEENS1_48merge_mergepath_partition_config_static_selectorELNS0_4arch9wavefront6targetE1EEEvSL_,comdat
	.protected	_ZN7rocprim17ROCPRIM_400000_NS6detail17trampoline_kernelINS0_14default_configENS1_38merge_sort_block_merge_config_selectorItNS0_10empty_typeEEEZZNS1_27merge_sort_block_merge_implIS3_N6thrust23THRUST_200600_302600_NS6detail15normal_iteratorINS9_10device_ptrItEEEEPS5_jNS1_19radix_merge_compareILb0ELb0EtNS0_19identity_decomposerEEEEE10hipError_tT0_T1_T2_jT3_P12ihipStream_tbPNSt15iterator_traitsISK_E10value_typeEPNSQ_ISL_E10value_typeEPSM_NS1_7vsmem_tEENKUlT_SK_SL_SM_E_clISE_PtSF_SF_EESJ_SZ_SK_SL_SM_EUlSZ_E_NS1_11comp_targetILNS1_3genE4ELNS1_11target_archE910ELNS1_3gpuE8ELNS1_3repE0EEENS1_48merge_mergepath_partition_config_static_selectorELNS0_4arch9wavefront6targetE1EEEvSL_ ; -- Begin function _ZN7rocprim17ROCPRIM_400000_NS6detail17trampoline_kernelINS0_14default_configENS1_38merge_sort_block_merge_config_selectorItNS0_10empty_typeEEEZZNS1_27merge_sort_block_merge_implIS3_N6thrust23THRUST_200600_302600_NS6detail15normal_iteratorINS9_10device_ptrItEEEEPS5_jNS1_19radix_merge_compareILb0ELb0EtNS0_19identity_decomposerEEEEE10hipError_tT0_T1_T2_jT3_P12ihipStream_tbPNSt15iterator_traitsISK_E10value_typeEPNSQ_ISL_E10value_typeEPSM_NS1_7vsmem_tEENKUlT_SK_SL_SM_E_clISE_PtSF_SF_EESJ_SZ_SK_SL_SM_EUlSZ_E_NS1_11comp_targetILNS1_3genE4ELNS1_11target_archE910ELNS1_3gpuE8ELNS1_3repE0EEENS1_48merge_mergepath_partition_config_static_selectorELNS0_4arch9wavefront6targetE1EEEvSL_
	.globl	_ZN7rocprim17ROCPRIM_400000_NS6detail17trampoline_kernelINS0_14default_configENS1_38merge_sort_block_merge_config_selectorItNS0_10empty_typeEEEZZNS1_27merge_sort_block_merge_implIS3_N6thrust23THRUST_200600_302600_NS6detail15normal_iteratorINS9_10device_ptrItEEEEPS5_jNS1_19radix_merge_compareILb0ELb0EtNS0_19identity_decomposerEEEEE10hipError_tT0_T1_T2_jT3_P12ihipStream_tbPNSt15iterator_traitsISK_E10value_typeEPNSQ_ISL_E10value_typeEPSM_NS1_7vsmem_tEENKUlT_SK_SL_SM_E_clISE_PtSF_SF_EESJ_SZ_SK_SL_SM_EUlSZ_E_NS1_11comp_targetILNS1_3genE4ELNS1_11target_archE910ELNS1_3gpuE8ELNS1_3repE0EEENS1_48merge_mergepath_partition_config_static_selectorELNS0_4arch9wavefront6targetE1EEEvSL_
	.p2align	8
	.type	_ZN7rocprim17ROCPRIM_400000_NS6detail17trampoline_kernelINS0_14default_configENS1_38merge_sort_block_merge_config_selectorItNS0_10empty_typeEEEZZNS1_27merge_sort_block_merge_implIS3_N6thrust23THRUST_200600_302600_NS6detail15normal_iteratorINS9_10device_ptrItEEEEPS5_jNS1_19radix_merge_compareILb0ELb0EtNS0_19identity_decomposerEEEEE10hipError_tT0_T1_T2_jT3_P12ihipStream_tbPNSt15iterator_traitsISK_E10value_typeEPNSQ_ISL_E10value_typeEPSM_NS1_7vsmem_tEENKUlT_SK_SL_SM_E_clISE_PtSF_SF_EESJ_SZ_SK_SL_SM_EUlSZ_E_NS1_11comp_targetILNS1_3genE4ELNS1_11target_archE910ELNS1_3gpuE8ELNS1_3repE0EEENS1_48merge_mergepath_partition_config_static_selectorELNS0_4arch9wavefront6targetE1EEEvSL_,@function
_ZN7rocprim17ROCPRIM_400000_NS6detail17trampoline_kernelINS0_14default_configENS1_38merge_sort_block_merge_config_selectorItNS0_10empty_typeEEEZZNS1_27merge_sort_block_merge_implIS3_N6thrust23THRUST_200600_302600_NS6detail15normal_iteratorINS9_10device_ptrItEEEEPS5_jNS1_19radix_merge_compareILb0ELb0EtNS0_19identity_decomposerEEEEE10hipError_tT0_T1_T2_jT3_P12ihipStream_tbPNSt15iterator_traitsISK_E10value_typeEPNSQ_ISL_E10value_typeEPSM_NS1_7vsmem_tEENKUlT_SK_SL_SM_E_clISE_PtSF_SF_EESJ_SZ_SK_SL_SM_EUlSZ_E_NS1_11comp_targetILNS1_3genE4ELNS1_11target_archE910ELNS1_3gpuE8ELNS1_3repE0EEENS1_48merge_mergepath_partition_config_static_selectorELNS0_4arch9wavefront6targetE1EEEvSL_: ; @_ZN7rocprim17ROCPRIM_400000_NS6detail17trampoline_kernelINS0_14default_configENS1_38merge_sort_block_merge_config_selectorItNS0_10empty_typeEEEZZNS1_27merge_sort_block_merge_implIS3_N6thrust23THRUST_200600_302600_NS6detail15normal_iteratorINS9_10device_ptrItEEEEPS5_jNS1_19radix_merge_compareILb0ELb0EtNS0_19identity_decomposerEEEEE10hipError_tT0_T1_T2_jT3_P12ihipStream_tbPNSt15iterator_traitsISK_E10value_typeEPNSQ_ISL_E10value_typeEPSM_NS1_7vsmem_tEENKUlT_SK_SL_SM_E_clISE_PtSF_SF_EESJ_SZ_SK_SL_SM_EUlSZ_E_NS1_11comp_targetILNS1_3genE4ELNS1_11target_archE910ELNS1_3gpuE8ELNS1_3repE0EEENS1_48merge_mergepath_partition_config_static_selectorELNS0_4arch9wavefront6targetE1EEEvSL_
; %bb.0:
	.section	.rodata,"a",@progbits
	.p2align	6, 0x0
	.amdhsa_kernel _ZN7rocprim17ROCPRIM_400000_NS6detail17trampoline_kernelINS0_14default_configENS1_38merge_sort_block_merge_config_selectorItNS0_10empty_typeEEEZZNS1_27merge_sort_block_merge_implIS3_N6thrust23THRUST_200600_302600_NS6detail15normal_iteratorINS9_10device_ptrItEEEEPS5_jNS1_19radix_merge_compareILb0ELb0EtNS0_19identity_decomposerEEEEE10hipError_tT0_T1_T2_jT3_P12ihipStream_tbPNSt15iterator_traitsISK_E10value_typeEPNSQ_ISL_E10value_typeEPSM_NS1_7vsmem_tEENKUlT_SK_SL_SM_E_clISE_PtSF_SF_EESJ_SZ_SK_SL_SM_EUlSZ_E_NS1_11comp_targetILNS1_3genE4ELNS1_11target_archE910ELNS1_3gpuE8ELNS1_3repE0EEENS1_48merge_mergepath_partition_config_static_selectorELNS0_4arch9wavefront6targetE1EEEvSL_
		.amdhsa_group_segment_fixed_size 0
		.amdhsa_private_segment_fixed_size 0
		.amdhsa_kernarg_size 40
		.amdhsa_user_sgpr_count 2
		.amdhsa_user_sgpr_dispatch_ptr 0
		.amdhsa_user_sgpr_queue_ptr 0
		.amdhsa_user_sgpr_kernarg_segment_ptr 1
		.amdhsa_user_sgpr_dispatch_id 0
		.amdhsa_user_sgpr_kernarg_preload_length 0
		.amdhsa_user_sgpr_kernarg_preload_offset 0
		.amdhsa_user_sgpr_private_segment_size 0
		.amdhsa_uses_dynamic_stack 0
		.amdhsa_enable_private_segment 0
		.amdhsa_system_sgpr_workgroup_id_x 1
		.amdhsa_system_sgpr_workgroup_id_y 0
		.amdhsa_system_sgpr_workgroup_id_z 0
		.amdhsa_system_sgpr_workgroup_info 0
		.amdhsa_system_vgpr_workitem_id 0
		.amdhsa_next_free_vgpr 1
		.amdhsa_next_free_sgpr 0
		.amdhsa_accum_offset 4
		.amdhsa_reserve_vcc 0
		.amdhsa_float_round_mode_32 0
		.amdhsa_float_round_mode_16_64 0
		.amdhsa_float_denorm_mode_32 3
		.amdhsa_float_denorm_mode_16_64 3
		.amdhsa_dx10_clamp 1
		.amdhsa_ieee_mode 1
		.amdhsa_fp16_overflow 0
		.amdhsa_tg_split 0
		.amdhsa_exception_fp_ieee_invalid_op 0
		.amdhsa_exception_fp_denorm_src 0
		.amdhsa_exception_fp_ieee_div_zero 0
		.amdhsa_exception_fp_ieee_overflow 0
		.amdhsa_exception_fp_ieee_underflow 0
		.amdhsa_exception_fp_ieee_inexact 0
		.amdhsa_exception_int_div_zero 0
	.end_amdhsa_kernel
	.section	.text._ZN7rocprim17ROCPRIM_400000_NS6detail17trampoline_kernelINS0_14default_configENS1_38merge_sort_block_merge_config_selectorItNS0_10empty_typeEEEZZNS1_27merge_sort_block_merge_implIS3_N6thrust23THRUST_200600_302600_NS6detail15normal_iteratorINS9_10device_ptrItEEEEPS5_jNS1_19radix_merge_compareILb0ELb0EtNS0_19identity_decomposerEEEEE10hipError_tT0_T1_T2_jT3_P12ihipStream_tbPNSt15iterator_traitsISK_E10value_typeEPNSQ_ISL_E10value_typeEPSM_NS1_7vsmem_tEENKUlT_SK_SL_SM_E_clISE_PtSF_SF_EESJ_SZ_SK_SL_SM_EUlSZ_E_NS1_11comp_targetILNS1_3genE4ELNS1_11target_archE910ELNS1_3gpuE8ELNS1_3repE0EEENS1_48merge_mergepath_partition_config_static_selectorELNS0_4arch9wavefront6targetE1EEEvSL_,"axG",@progbits,_ZN7rocprim17ROCPRIM_400000_NS6detail17trampoline_kernelINS0_14default_configENS1_38merge_sort_block_merge_config_selectorItNS0_10empty_typeEEEZZNS1_27merge_sort_block_merge_implIS3_N6thrust23THRUST_200600_302600_NS6detail15normal_iteratorINS9_10device_ptrItEEEEPS5_jNS1_19radix_merge_compareILb0ELb0EtNS0_19identity_decomposerEEEEE10hipError_tT0_T1_T2_jT3_P12ihipStream_tbPNSt15iterator_traitsISK_E10value_typeEPNSQ_ISL_E10value_typeEPSM_NS1_7vsmem_tEENKUlT_SK_SL_SM_E_clISE_PtSF_SF_EESJ_SZ_SK_SL_SM_EUlSZ_E_NS1_11comp_targetILNS1_3genE4ELNS1_11target_archE910ELNS1_3gpuE8ELNS1_3repE0EEENS1_48merge_mergepath_partition_config_static_selectorELNS0_4arch9wavefront6targetE1EEEvSL_,comdat
.Lfunc_end1233:
	.size	_ZN7rocprim17ROCPRIM_400000_NS6detail17trampoline_kernelINS0_14default_configENS1_38merge_sort_block_merge_config_selectorItNS0_10empty_typeEEEZZNS1_27merge_sort_block_merge_implIS3_N6thrust23THRUST_200600_302600_NS6detail15normal_iteratorINS9_10device_ptrItEEEEPS5_jNS1_19radix_merge_compareILb0ELb0EtNS0_19identity_decomposerEEEEE10hipError_tT0_T1_T2_jT3_P12ihipStream_tbPNSt15iterator_traitsISK_E10value_typeEPNSQ_ISL_E10value_typeEPSM_NS1_7vsmem_tEENKUlT_SK_SL_SM_E_clISE_PtSF_SF_EESJ_SZ_SK_SL_SM_EUlSZ_E_NS1_11comp_targetILNS1_3genE4ELNS1_11target_archE910ELNS1_3gpuE8ELNS1_3repE0EEENS1_48merge_mergepath_partition_config_static_selectorELNS0_4arch9wavefront6targetE1EEEvSL_, .Lfunc_end1233-_ZN7rocprim17ROCPRIM_400000_NS6detail17trampoline_kernelINS0_14default_configENS1_38merge_sort_block_merge_config_selectorItNS0_10empty_typeEEEZZNS1_27merge_sort_block_merge_implIS3_N6thrust23THRUST_200600_302600_NS6detail15normal_iteratorINS9_10device_ptrItEEEEPS5_jNS1_19radix_merge_compareILb0ELb0EtNS0_19identity_decomposerEEEEE10hipError_tT0_T1_T2_jT3_P12ihipStream_tbPNSt15iterator_traitsISK_E10value_typeEPNSQ_ISL_E10value_typeEPSM_NS1_7vsmem_tEENKUlT_SK_SL_SM_E_clISE_PtSF_SF_EESJ_SZ_SK_SL_SM_EUlSZ_E_NS1_11comp_targetILNS1_3genE4ELNS1_11target_archE910ELNS1_3gpuE8ELNS1_3repE0EEENS1_48merge_mergepath_partition_config_static_selectorELNS0_4arch9wavefront6targetE1EEEvSL_
                                        ; -- End function
	.section	.AMDGPU.csdata,"",@progbits
; Kernel info:
; codeLenInByte = 0
; NumSgprs: 6
; NumVgprs: 0
; NumAgprs: 0
; TotalNumVgprs: 0
; ScratchSize: 0
; MemoryBound: 0
; FloatMode: 240
; IeeeMode: 1
; LDSByteSize: 0 bytes/workgroup (compile time only)
; SGPRBlocks: 0
; VGPRBlocks: 0
; NumSGPRsForWavesPerEU: 6
; NumVGPRsForWavesPerEU: 1
; AccumOffset: 4
; Occupancy: 8
; WaveLimiterHint : 0
; COMPUTE_PGM_RSRC2:SCRATCH_EN: 0
; COMPUTE_PGM_RSRC2:USER_SGPR: 2
; COMPUTE_PGM_RSRC2:TRAP_HANDLER: 0
; COMPUTE_PGM_RSRC2:TGID_X_EN: 1
; COMPUTE_PGM_RSRC2:TGID_Y_EN: 0
; COMPUTE_PGM_RSRC2:TGID_Z_EN: 0
; COMPUTE_PGM_RSRC2:TIDIG_COMP_CNT: 0
; COMPUTE_PGM_RSRC3_GFX90A:ACCUM_OFFSET: 0
; COMPUTE_PGM_RSRC3_GFX90A:TG_SPLIT: 0
	.section	.text._ZN7rocprim17ROCPRIM_400000_NS6detail17trampoline_kernelINS0_14default_configENS1_38merge_sort_block_merge_config_selectorItNS0_10empty_typeEEEZZNS1_27merge_sort_block_merge_implIS3_N6thrust23THRUST_200600_302600_NS6detail15normal_iteratorINS9_10device_ptrItEEEEPS5_jNS1_19radix_merge_compareILb0ELb0EtNS0_19identity_decomposerEEEEE10hipError_tT0_T1_T2_jT3_P12ihipStream_tbPNSt15iterator_traitsISK_E10value_typeEPNSQ_ISL_E10value_typeEPSM_NS1_7vsmem_tEENKUlT_SK_SL_SM_E_clISE_PtSF_SF_EESJ_SZ_SK_SL_SM_EUlSZ_E_NS1_11comp_targetILNS1_3genE3ELNS1_11target_archE908ELNS1_3gpuE7ELNS1_3repE0EEENS1_48merge_mergepath_partition_config_static_selectorELNS0_4arch9wavefront6targetE1EEEvSL_,"axG",@progbits,_ZN7rocprim17ROCPRIM_400000_NS6detail17trampoline_kernelINS0_14default_configENS1_38merge_sort_block_merge_config_selectorItNS0_10empty_typeEEEZZNS1_27merge_sort_block_merge_implIS3_N6thrust23THRUST_200600_302600_NS6detail15normal_iteratorINS9_10device_ptrItEEEEPS5_jNS1_19radix_merge_compareILb0ELb0EtNS0_19identity_decomposerEEEEE10hipError_tT0_T1_T2_jT3_P12ihipStream_tbPNSt15iterator_traitsISK_E10value_typeEPNSQ_ISL_E10value_typeEPSM_NS1_7vsmem_tEENKUlT_SK_SL_SM_E_clISE_PtSF_SF_EESJ_SZ_SK_SL_SM_EUlSZ_E_NS1_11comp_targetILNS1_3genE3ELNS1_11target_archE908ELNS1_3gpuE7ELNS1_3repE0EEENS1_48merge_mergepath_partition_config_static_selectorELNS0_4arch9wavefront6targetE1EEEvSL_,comdat
	.protected	_ZN7rocprim17ROCPRIM_400000_NS6detail17trampoline_kernelINS0_14default_configENS1_38merge_sort_block_merge_config_selectorItNS0_10empty_typeEEEZZNS1_27merge_sort_block_merge_implIS3_N6thrust23THRUST_200600_302600_NS6detail15normal_iteratorINS9_10device_ptrItEEEEPS5_jNS1_19radix_merge_compareILb0ELb0EtNS0_19identity_decomposerEEEEE10hipError_tT0_T1_T2_jT3_P12ihipStream_tbPNSt15iterator_traitsISK_E10value_typeEPNSQ_ISL_E10value_typeEPSM_NS1_7vsmem_tEENKUlT_SK_SL_SM_E_clISE_PtSF_SF_EESJ_SZ_SK_SL_SM_EUlSZ_E_NS1_11comp_targetILNS1_3genE3ELNS1_11target_archE908ELNS1_3gpuE7ELNS1_3repE0EEENS1_48merge_mergepath_partition_config_static_selectorELNS0_4arch9wavefront6targetE1EEEvSL_ ; -- Begin function _ZN7rocprim17ROCPRIM_400000_NS6detail17trampoline_kernelINS0_14default_configENS1_38merge_sort_block_merge_config_selectorItNS0_10empty_typeEEEZZNS1_27merge_sort_block_merge_implIS3_N6thrust23THRUST_200600_302600_NS6detail15normal_iteratorINS9_10device_ptrItEEEEPS5_jNS1_19radix_merge_compareILb0ELb0EtNS0_19identity_decomposerEEEEE10hipError_tT0_T1_T2_jT3_P12ihipStream_tbPNSt15iterator_traitsISK_E10value_typeEPNSQ_ISL_E10value_typeEPSM_NS1_7vsmem_tEENKUlT_SK_SL_SM_E_clISE_PtSF_SF_EESJ_SZ_SK_SL_SM_EUlSZ_E_NS1_11comp_targetILNS1_3genE3ELNS1_11target_archE908ELNS1_3gpuE7ELNS1_3repE0EEENS1_48merge_mergepath_partition_config_static_selectorELNS0_4arch9wavefront6targetE1EEEvSL_
	.globl	_ZN7rocprim17ROCPRIM_400000_NS6detail17trampoline_kernelINS0_14default_configENS1_38merge_sort_block_merge_config_selectorItNS0_10empty_typeEEEZZNS1_27merge_sort_block_merge_implIS3_N6thrust23THRUST_200600_302600_NS6detail15normal_iteratorINS9_10device_ptrItEEEEPS5_jNS1_19radix_merge_compareILb0ELb0EtNS0_19identity_decomposerEEEEE10hipError_tT0_T1_T2_jT3_P12ihipStream_tbPNSt15iterator_traitsISK_E10value_typeEPNSQ_ISL_E10value_typeEPSM_NS1_7vsmem_tEENKUlT_SK_SL_SM_E_clISE_PtSF_SF_EESJ_SZ_SK_SL_SM_EUlSZ_E_NS1_11comp_targetILNS1_3genE3ELNS1_11target_archE908ELNS1_3gpuE7ELNS1_3repE0EEENS1_48merge_mergepath_partition_config_static_selectorELNS0_4arch9wavefront6targetE1EEEvSL_
	.p2align	8
	.type	_ZN7rocprim17ROCPRIM_400000_NS6detail17trampoline_kernelINS0_14default_configENS1_38merge_sort_block_merge_config_selectorItNS0_10empty_typeEEEZZNS1_27merge_sort_block_merge_implIS3_N6thrust23THRUST_200600_302600_NS6detail15normal_iteratorINS9_10device_ptrItEEEEPS5_jNS1_19radix_merge_compareILb0ELb0EtNS0_19identity_decomposerEEEEE10hipError_tT0_T1_T2_jT3_P12ihipStream_tbPNSt15iterator_traitsISK_E10value_typeEPNSQ_ISL_E10value_typeEPSM_NS1_7vsmem_tEENKUlT_SK_SL_SM_E_clISE_PtSF_SF_EESJ_SZ_SK_SL_SM_EUlSZ_E_NS1_11comp_targetILNS1_3genE3ELNS1_11target_archE908ELNS1_3gpuE7ELNS1_3repE0EEENS1_48merge_mergepath_partition_config_static_selectorELNS0_4arch9wavefront6targetE1EEEvSL_,@function
_ZN7rocprim17ROCPRIM_400000_NS6detail17trampoline_kernelINS0_14default_configENS1_38merge_sort_block_merge_config_selectorItNS0_10empty_typeEEEZZNS1_27merge_sort_block_merge_implIS3_N6thrust23THRUST_200600_302600_NS6detail15normal_iteratorINS9_10device_ptrItEEEEPS5_jNS1_19radix_merge_compareILb0ELb0EtNS0_19identity_decomposerEEEEE10hipError_tT0_T1_T2_jT3_P12ihipStream_tbPNSt15iterator_traitsISK_E10value_typeEPNSQ_ISL_E10value_typeEPSM_NS1_7vsmem_tEENKUlT_SK_SL_SM_E_clISE_PtSF_SF_EESJ_SZ_SK_SL_SM_EUlSZ_E_NS1_11comp_targetILNS1_3genE3ELNS1_11target_archE908ELNS1_3gpuE7ELNS1_3repE0EEENS1_48merge_mergepath_partition_config_static_selectorELNS0_4arch9wavefront6targetE1EEEvSL_: ; @_ZN7rocprim17ROCPRIM_400000_NS6detail17trampoline_kernelINS0_14default_configENS1_38merge_sort_block_merge_config_selectorItNS0_10empty_typeEEEZZNS1_27merge_sort_block_merge_implIS3_N6thrust23THRUST_200600_302600_NS6detail15normal_iteratorINS9_10device_ptrItEEEEPS5_jNS1_19radix_merge_compareILb0ELb0EtNS0_19identity_decomposerEEEEE10hipError_tT0_T1_T2_jT3_P12ihipStream_tbPNSt15iterator_traitsISK_E10value_typeEPNSQ_ISL_E10value_typeEPSM_NS1_7vsmem_tEENKUlT_SK_SL_SM_E_clISE_PtSF_SF_EESJ_SZ_SK_SL_SM_EUlSZ_E_NS1_11comp_targetILNS1_3genE3ELNS1_11target_archE908ELNS1_3gpuE7ELNS1_3repE0EEENS1_48merge_mergepath_partition_config_static_selectorELNS0_4arch9wavefront6targetE1EEEvSL_
; %bb.0:
	.section	.rodata,"a",@progbits
	.p2align	6, 0x0
	.amdhsa_kernel _ZN7rocprim17ROCPRIM_400000_NS6detail17trampoline_kernelINS0_14default_configENS1_38merge_sort_block_merge_config_selectorItNS0_10empty_typeEEEZZNS1_27merge_sort_block_merge_implIS3_N6thrust23THRUST_200600_302600_NS6detail15normal_iteratorINS9_10device_ptrItEEEEPS5_jNS1_19radix_merge_compareILb0ELb0EtNS0_19identity_decomposerEEEEE10hipError_tT0_T1_T2_jT3_P12ihipStream_tbPNSt15iterator_traitsISK_E10value_typeEPNSQ_ISL_E10value_typeEPSM_NS1_7vsmem_tEENKUlT_SK_SL_SM_E_clISE_PtSF_SF_EESJ_SZ_SK_SL_SM_EUlSZ_E_NS1_11comp_targetILNS1_3genE3ELNS1_11target_archE908ELNS1_3gpuE7ELNS1_3repE0EEENS1_48merge_mergepath_partition_config_static_selectorELNS0_4arch9wavefront6targetE1EEEvSL_
		.amdhsa_group_segment_fixed_size 0
		.amdhsa_private_segment_fixed_size 0
		.amdhsa_kernarg_size 40
		.amdhsa_user_sgpr_count 2
		.amdhsa_user_sgpr_dispatch_ptr 0
		.amdhsa_user_sgpr_queue_ptr 0
		.amdhsa_user_sgpr_kernarg_segment_ptr 1
		.amdhsa_user_sgpr_dispatch_id 0
		.amdhsa_user_sgpr_kernarg_preload_length 0
		.amdhsa_user_sgpr_kernarg_preload_offset 0
		.amdhsa_user_sgpr_private_segment_size 0
		.amdhsa_uses_dynamic_stack 0
		.amdhsa_enable_private_segment 0
		.amdhsa_system_sgpr_workgroup_id_x 1
		.amdhsa_system_sgpr_workgroup_id_y 0
		.amdhsa_system_sgpr_workgroup_id_z 0
		.amdhsa_system_sgpr_workgroup_info 0
		.amdhsa_system_vgpr_workitem_id 0
		.amdhsa_next_free_vgpr 1
		.amdhsa_next_free_sgpr 0
		.amdhsa_accum_offset 4
		.amdhsa_reserve_vcc 0
		.amdhsa_float_round_mode_32 0
		.amdhsa_float_round_mode_16_64 0
		.amdhsa_float_denorm_mode_32 3
		.amdhsa_float_denorm_mode_16_64 3
		.amdhsa_dx10_clamp 1
		.amdhsa_ieee_mode 1
		.amdhsa_fp16_overflow 0
		.amdhsa_tg_split 0
		.amdhsa_exception_fp_ieee_invalid_op 0
		.amdhsa_exception_fp_denorm_src 0
		.amdhsa_exception_fp_ieee_div_zero 0
		.amdhsa_exception_fp_ieee_overflow 0
		.amdhsa_exception_fp_ieee_underflow 0
		.amdhsa_exception_fp_ieee_inexact 0
		.amdhsa_exception_int_div_zero 0
	.end_amdhsa_kernel
	.section	.text._ZN7rocprim17ROCPRIM_400000_NS6detail17trampoline_kernelINS0_14default_configENS1_38merge_sort_block_merge_config_selectorItNS0_10empty_typeEEEZZNS1_27merge_sort_block_merge_implIS3_N6thrust23THRUST_200600_302600_NS6detail15normal_iteratorINS9_10device_ptrItEEEEPS5_jNS1_19radix_merge_compareILb0ELb0EtNS0_19identity_decomposerEEEEE10hipError_tT0_T1_T2_jT3_P12ihipStream_tbPNSt15iterator_traitsISK_E10value_typeEPNSQ_ISL_E10value_typeEPSM_NS1_7vsmem_tEENKUlT_SK_SL_SM_E_clISE_PtSF_SF_EESJ_SZ_SK_SL_SM_EUlSZ_E_NS1_11comp_targetILNS1_3genE3ELNS1_11target_archE908ELNS1_3gpuE7ELNS1_3repE0EEENS1_48merge_mergepath_partition_config_static_selectorELNS0_4arch9wavefront6targetE1EEEvSL_,"axG",@progbits,_ZN7rocprim17ROCPRIM_400000_NS6detail17trampoline_kernelINS0_14default_configENS1_38merge_sort_block_merge_config_selectorItNS0_10empty_typeEEEZZNS1_27merge_sort_block_merge_implIS3_N6thrust23THRUST_200600_302600_NS6detail15normal_iteratorINS9_10device_ptrItEEEEPS5_jNS1_19radix_merge_compareILb0ELb0EtNS0_19identity_decomposerEEEEE10hipError_tT0_T1_T2_jT3_P12ihipStream_tbPNSt15iterator_traitsISK_E10value_typeEPNSQ_ISL_E10value_typeEPSM_NS1_7vsmem_tEENKUlT_SK_SL_SM_E_clISE_PtSF_SF_EESJ_SZ_SK_SL_SM_EUlSZ_E_NS1_11comp_targetILNS1_3genE3ELNS1_11target_archE908ELNS1_3gpuE7ELNS1_3repE0EEENS1_48merge_mergepath_partition_config_static_selectorELNS0_4arch9wavefront6targetE1EEEvSL_,comdat
.Lfunc_end1234:
	.size	_ZN7rocprim17ROCPRIM_400000_NS6detail17trampoline_kernelINS0_14default_configENS1_38merge_sort_block_merge_config_selectorItNS0_10empty_typeEEEZZNS1_27merge_sort_block_merge_implIS3_N6thrust23THRUST_200600_302600_NS6detail15normal_iteratorINS9_10device_ptrItEEEEPS5_jNS1_19radix_merge_compareILb0ELb0EtNS0_19identity_decomposerEEEEE10hipError_tT0_T1_T2_jT3_P12ihipStream_tbPNSt15iterator_traitsISK_E10value_typeEPNSQ_ISL_E10value_typeEPSM_NS1_7vsmem_tEENKUlT_SK_SL_SM_E_clISE_PtSF_SF_EESJ_SZ_SK_SL_SM_EUlSZ_E_NS1_11comp_targetILNS1_3genE3ELNS1_11target_archE908ELNS1_3gpuE7ELNS1_3repE0EEENS1_48merge_mergepath_partition_config_static_selectorELNS0_4arch9wavefront6targetE1EEEvSL_, .Lfunc_end1234-_ZN7rocprim17ROCPRIM_400000_NS6detail17trampoline_kernelINS0_14default_configENS1_38merge_sort_block_merge_config_selectorItNS0_10empty_typeEEEZZNS1_27merge_sort_block_merge_implIS3_N6thrust23THRUST_200600_302600_NS6detail15normal_iteratorINS9_10device_ptrItEEEEPS5_jNS1_19radix_merge_compareILb0ELb0EtNS0_19identity_decomposerEEEEE10hipError_tT0_T1_T2_jT3_P12ihipStream_tbPNSt15iterator_traitsISK_E10value_typeEPNSQ_ISL_E10value_typeEPSM_NS1_7vsmem_tEENKUlT_SK_SL_SM_E_clISE_PtSF_SF_EESJ_SZ_SK_SL_SM_EUlSZ_E_NS1_11comp_targetILNS1_3genE3ELNS1_11target_archE908ELNS1_3gpuE7ELNS1_3repE0EEENS1_48merge_mergepath_partition_config_static_selectorELNS0_4arch9wavefront6targetE1EEEvSL_
                                        ; -- End function
	.section	.AMDGPU.csdata,"",@progbits
; Kernel info:
; codeLenInByte = 0
; NumSgprs: 6
; NumVgprs: 0
; NumAgprs: 0
; TotalNumVgprs: 0
; ScratchSize: 0
; MemoryBound: 0
; FloatMode: 240
; IeeeMode: 1
; LDSByteSize: 0 bytes/workgroup (compile time only)
; SGPRBlocks: 0
; VGPRBlocks: 0
; NumSGPRsForWavesPerEU: 6
; NumVGPRsForWavesPerEU: 1
; AccumOffset: 4
; Occupancy: 8
; WaveLimiterHint : 0
; COMPUTE_PGM_RSRC2:SCRATCH_EN: 0
; COMPUTE_PGM_RSRC2:USER_SGPR: 2
; COMPUTE_PGM_RSRC2:TRAP_HANDLER: 0
; COMPUTE_PGM_RSRC2:TGID_X_EN: 1
; COMPUTE_PGM_RSRC2:TGID_Y_EN: 0
; COMPUTE_PGM_RSRC2:TGID_Z_EN: 0
; COMPUTE_PGM_RSRC2:TIDIG_COMP_CNT: 0
; COMPUTE_PGM_RSRC3_GFX90A:ACCUM_OFFSET: 0
; COMPUTE_PGM_RSRC3_GFX90A:TG_SPLIT: 0
	.section	.text._ZN7rocprim17ROCPRIM_400000_NS6detail17trampoline_kernelINS0_14default_configENS1_38merge_sort_block_merge_config_selectorItNS0_10empty_typeEEEZZNS1_27merge_sort_block_merge_implIS3_N6thrust23THRUST_200600_302600_NS6detail15normal_iteratorINS9_10device_ptrItEEEEPS5_jNS1_19radix_merge_compareILb0ELb0EtNS0_19identity_decomposerEEEEE10hipError_tT0_T1_T2_jT3_P12ihipStream_tbPNSt15iterator_traitsISK_E10value_typeEPNSQ_ISL_E10value_typeEPSM_NS1_7vsmem_tEENKUlT_SK_SL_SM_E_clISE_PtSF_SF_EESJ_SZ_SK_SL_SM_EUlSZ_E_NS1_11comp_targetILNS1_3genE2ELNS1_11target_archE906ELNS1_3gpuE6ELNS1_3repE0EEENS1_48merge_mergepath_partition_config_static_selectorELNS0_4arch9wavefront6targetE1EEEvSL_,"axG",@progbits,_ZN7rocprim17ROCPRIM_400000_NS6detail17trampoline_kernelINS0_14default_configENS1_38merge_sort_block_merge_config_selectorItNS0_10empty_typeEEEZZNS1_27merge_sort_block_merge_implIS3_N6thrust23THRUST_200600_302600_NS6detail15normal_iteratorINS9_10device_ptrItEEEEPS5_jNS1_19radix_merge_compareILb0ELb0EtNS0_19identity_decomposerEEEEE10hipError_tT0_T1_T2_jT3_P12ihipStream_tbPNSt15iterator_traitsISK_E10value_typeEPNSQ_ISL_E10value_typeEPSM_NS1_7vsmem_tEENKUlT_SK_SL_SM_E_clISE_PtSF_SF_EESJ_SZ_SK_SL_SM_EUlSZ_E_NS1_11comp_targetILNS1_3genE2ELNS1_11target_archE906ELNS1_3gpuE6ELNS1_3repE0EEENS1_48merge_mergepath_partition_config_static_selectorELNS0_4arch9wavefront6targetE1EEEvSL_,comdat
	.protected	_ZN7rocprim17ROCPRIM_400000_NS6detail17trampoline_kernelINS0_14default_configENS1_38merge_sort_block_merge_config_selectorItNS0_10empty_typeEEEZZNS1_27merge_sort_block_merge_implIS3_N6thrust23THRUST_200600_302600_NS6detail15normal_iteratorINS9_10device_ptrItEEEEPS5_jNS1_19radix_merge_compareILb0ELb0EtNS0_19identity_decomposerEEEEE10hipError_tT0_T1_T2_jT3_P12ihipStream_tbPNSt15iterator_traitsISK_E10value_typeEPNSQ_ISL_E10value_typeEPSM_NS1_7vsmem_tEENKUlT_SK_SL_SM_E_clISE_PtSF_SF_EESJ_SZ_SK_SL_SM_EUlSZ_E_NS1_11comp_targetILNS1_3genE2ELNS1_11target_archE906ELNS1_3gpuE6ELNS1_3repE0EEENS1_48merge_mergepath_partition_config_static_selectorELNS0_4arch9wavefront6targetE1EEEvSL_ ; -- Begin function _ZN7rocprim17ROCPRIM_400000_NS6detail17trampoline_kernelINS0_14default_configENS1_38merge_sort_block_merge_config_selectorItNS0_10empty_typeEEEZZNS1_27merge_sort_block_merge_implIS3_N6thrust23THRUST_200600_302600_NS6detail15normal_iteratorINS9_10device_ptrItEEEEPS5_jNS1_19radix_merge_compareILb0ELb0EtNS0_19identity_decomposerEEEEE10hipError_tT0_T1_T2_jT3_P12ihipStream_tbPNSt15iterator_traitsISK_E10value_typeEPNSQ_ISL_E10value_typeEPSM_NS1_7vsmem_tEENKUlT_SK_SL_SM_E_clISE_PtSF_SF_EESJ_SZ_SK_SL_SM_EUlSZ_E_NS1_11comp_targetILNS1_3genE2ELNS1_11target_archE906ELNS1_3gpuE6ELNS1_3repE0EEENS1_48merge_mergepath_partition_config_static_selectorELNS0_4arch9wavefront6targetE1EEEvSL_
	.globl	_ZN7rocprim17ROCPRIM_400000_NS6detail17trampoline_kernelINS0_14default_configENS1_38merge_sort_block_merge_config_selectorItNS0_10empty_typeEEEZZNS1_27merge_sort_block_merge_implIS3_N6thrust23THRUST_200600_302600_NS6detail15normal_iteratorINS9_10device_ptrItEEEEPS5_jNS1_19radix_merge_compareILb0ELb0EtNS0_19identity_decomposerEEEEE10hipError_tT0_T1_T2_jT3_P12ihipStream_tbPNSt15iterator_traitsISK_E10value_typeEPNSQ_ISL_E10value_typeEPSM_NS1_7vsmem_tEENKUlT_SK_SL_SM_E_clISE_PtSF_SF_EESJ_SZ_SK_SL_SM_EUlSZ_E_NS1_11comp_targetILNS1_3genE2ELNS1_11target_archE906ELNS1_3gpuE6ELNS1_3repE0EEENS1_48merge_mergepath_partition_config_static_selectorELNS0_4arch9wavefront6targetE1EEEvSL_
	.p2align	8
	.type	_ZN7rocprim17ROCPRIM_400000_NS6detail17trampoline_kernelINS0_14default_configENS1_38merge_sort_block_merge_config_selectorItNS0_10empty_typeEEEZZNS1_27merge_sort_block_merge_implIS3_N6thrust23THRUST_200600_302600_NS6detail15normal_iteratorINS9_10device_ptrItEEEEPS5_jNS1_19radix_merge_compareILb0ELb0EtNS0_19identity_decomposerEEEEE10hipError_tT0_T1_T2_jT3_P12ihipStream_tbPNSt15iterator_traitsISK_E10value_typeEPNSQ_ISL_E10value_typeEPSM_NS1_7vsmem_tEENKUlT_SK_SL_SM_E_clISE_PtSF_SF_EESJ_SZ_SK_SL_SM_EUlSZ_E_NS1_11comp_targetILNS1_3genE2ELNS1_11target_archE906ELNS1_3gpuE6ELNS1_3repE0EEENS1_48merge_mergepath_partition_config_static_selectorELNS0_4arch9wavefront6targetE1EEEvSL_,@function
_ZN7rocprim17ROCPRIM_400000_NS6detail17trampoline_kernelINS0_14default_configENS1_38merge_sort_block_merge_config_selectorItNS0_10empty_typeEEEZZNS1_27merge_sort_block_merge_implIS3_N6thrust23THRUST_200600_302600_NS6detail15normal_iteratorINS9_10device_ptrItEEEEPS5_jNS1_19radix_merge_compareILb0ELb0EtNS0_19identity_decomposerEEEEE10hipError_tT0_T1_T2_jT3_P12ihipStream_tbPNSt15iterator_traitsISK_E10value_typeEPNSQ_ISL_E10value_typeEPSM_NS1_7vsmem_tEENKUlT_SK_SL_SM_E_clISE_PtSF_SF_EESJ_SZ_SK_SL_SM_EUlSZ_E_NS1_11comp_targetILNS1_3genE2ELNS1_11target_archE906ELNS1_3gpuE6ELNS1_3repE0EEENS1_48merge_mergepath_partition_config_static_selectorELNS0_4arch9wavefront6targetE1EEEvSL_: ; @_ZN7rocprim17ROCPRIM_400000_NS6detail17trampoline_kernelINS0_14default_configENS1_38merge_sort_block_merge_config_selectorItNS0_10empty_typeEEEZZNS1_27merge_sort_block_merge_implIS3_N6thrust23THRUST_200600_302600_NS6detail15normal_iteratorINS9_10device_ptrItEEEEPS5_jNS1_19radix_merge_compareILb0ELb0EtNS0_19identity_decomposerEEEEE10hipError_tT0_T1_T2_jT3_P12ihipStream_tbPNSt15iterator_traitsISK_E10value_typeEPNSQ_ISL_E10value_typeEPSM_NS1_7vsmem_tEENKUlT_SK_SL_SM_E_clISE_PtSF_SF_EESJ_SZ_SK_SL_SM_EUlSZ_E_NS1_11comp_targetILNS1_3genE2ELNS1_11target_archE906ELNS1_3gpuE6ELNS1_3repE0EEENS1_48merge_mergepath_partition_config_static_selectorELNS0_4arch9wavefront6targetE1EEEvSL_
; %bb.0:
	.section	.rodata,"a",@progbits
	.p2align	6, 0x0
	.amdhsa_kernel _ZN7rocprim17ROCPRIM_400000_NS6detail17trampoline_kernelINS0_14default_configENS1_38merge_sort_block_merge_config_selectorItNS0_10empty_typeEEEZZNS1_27merge_sort_block_merge_implIS3_N6thrust23THRUST_200600_302600_NS6detail15normal_iteratorINS9_10device_ptrItEEEEPS5_jNS1_19radix_merge_compareILb0ELb0EtNS0_19identity_decomposerEEEEE10hipError_tT0_T1_T2_jT3_P12ihipStream_tbPNSt15iterator_traitsISK_E10value_typeEPNSQ_ISL_E10value_typeEPSM_NS1_7vsmem_tEENKUlT_SK_SL_SM_E_clISE_PtSF_SF_EESJ_SZ_SK_SL_SM_EUlSZ_E_NS1_11comp_targetILNS1_3genE2ELNS1_11target_archE906ELNS1_3gpuE6ELNS1_3repE0EEENS1_48merge_mergepath_partition_config_static_selectorELNS0_4arch9wavefront6targetE1EEEvSL_
		.amdhsa_group_segment_fixed_size 0
		.amdhsa_private_segment_fixed_size 0
		.amdhsa_kernarg_size 40
		.amdhsa_user_sgpr_count 2
		.amdhsa_user_sgpr_dispatch_ptr 0
		.amdhsa_user_sgpr_queue_ptr 0
		.amdhsa_user_sgpr_kernarg_segment_ptr 1
		.amdhsa_user_sgpr_dispatch_id 0
		.amdhsa_user_sgpr_kernarg_preload_length 0
		.amdhsa_user_sgpr_kernarg_preload_offset 0
		.amdhsa_user_sgpr_private_segment_size 0
		.amdhsa_uses_dynamic_stack 0
		.amdhsa_enable_private_segment 0
		.amdhsa_system_sgpr_workgroup_id_x 1
		.amdhsa_system_sgpr_workgroup_id_y 0
		.amdhsa_system_sgpr_workgroup_id_z 0
		.amdhsa_system_sgpr_workgroup_info 0
		.amdhsa_system_vgpr_workitem_id 0
		.amdhsa_next_free_vgpr 1
		.amdhsa_next_free_sgpr 0
		.amdhsa_accum_offset 4
		.amdhsa_reserve_vcc 0
		.amdhsa_float_round_mode_32 0
		.amdhsa_float_round_mode_16_64 0
		.amdhsa_float_denorm_mode_32 3
		.amdhsa_float_denorm_mode_16_64 3
		.amdhsa_dx10_clamp 1
		.amdhsa_ieee_mode 1
		.amdhsa_fp16_overflow 0
		.amdhsa_tg_split 0
		.amdhsa_exception_fp_ieee_invalid_op 0
		.amdhsa_exception_fp_denorm_src 0
		.amdhsa_exception_fp_ieee_div_zero 0
		.amdhsa_exception_fp_ieee_overflow 0
		.amdhsa_exception_fp_ieee_underflow 0
		.amdhsa_exception_fp_ieee_inexact 0
		.amdhsa_exception_int_div_zero 0
	.end_amdhsa_kernel
	.section	.text._ZN7rocprim17ROCPRIM_400000_NS6detail17trampoline_kernelINS0_14default_configENS1_38merge_sort_block_merge_config_selectorItNS0_10empty_typeEEEZZNS1_27merge_sort_block_merge_implIS3_N6thrust23THRUST_200600_302600_NS6detail15normal_iteratorINS9_10device_ptrItEEEEPS5_jNS1_19radix_merge_compareILb0ELb0EtNS0_19identity_decomposerEEEEE10hipError_tT0_T1_T2_jT3_P12ihipStream_tbPNSt15iterator_traitsISK_E10value_typeEPNSQ_ISL_E10value_typeEPSM_NS1_7vsmem_tEENKUlT_SK_SL_SM_E_clISE_PtSF_SF_EESJ_SZ_SK_SL_SM_EUlSZ_E_NS1_11comp_targetILNS1_3genE2ELNS1_11target_archE906ELNS1_3gpuE6ELNS1_3repE0EEENS1_48merge_mergepath_partition_config_static_selectorELNS0_4arch9wavefront6targetE1EEEvSL_,"axG",@progbits,_ZN7rocprim17ROCPRIM_400000_NS6detail17trampoline_kernelINS0_14default_configENS1_38merge_sort_block_merge_config_selectorItNS0_10empty_typeEEEZZNS1_27merge_sort_block_merge_implIS3_N6thrust23THRUST_200600_302600_NS6detail15normal_iteratorINS9_10device_ptrItEEEEPS5_jNS1_19radix_merge_compareILb0ELb0EtNS0_19identity_decomposerEEEEE10hipError_tT0_T1_T2_jT3_P12ihipStream_tbPNSt15iterator_traitsISK_E10value_typeEPNSQ_ISL_E10value_typeEPSM_NS1_7vsmem_tEENKUlT_SK_SL_SM_E_clISE_PtSF_SF_EESJ_SZ_SK_SL_SM_EUlSZ_E_NS1_11comp_targetILNS1_3genE2ELNS1_11target_archE906ELNS1_3gpuE6ELNS1_3repE0EEENS1_48merge_mergepath_partition_config_static_selectorELNS0_4arch9wavefront6targetE1EEEvSL_,comdat
.Lfunc_end1235:
	.size	_ZN7rocprim17ROCPRIM_400000_NS6detail17trampoline_kernelINS0_14default_configENS1_38merge_sort_block_merge_config_selectorItNS0_10empty_typeEEEZZNS1_27merge_sort_block_merge_implIS3_N6thrust23THRUST_200600_302600_NS6detail15normal_iteratorINS9_10device_ptrItEEEEPS5_jNS1_19radix_merge_compareILb0ELb0EtNS0_19identity_decomposerEEEEE10hipError_tT0_T1_T2_jT3_P12ihipStream_tbPNSt15iterator_traitsISK_E10value_typeEPNSQ_ISL_E10value_typeEPSM_NS1_7vsmem_tEENKUlT_SK_SL_SM_E_clISE_PtSF_SF_EESJ_SZ_SK_SL_SM_EUlSZ_E_NS1_11comp_targetILNS1_3genE2ELNS1_11target_archE906ELNS1_3gpuE6ELNS1_3repE0EEENS1_48merge_mergepath_partition_config_static_selectorELNS0_4arch9wavefront6targetE1EEEvSL_, .Lfunc_end1235-_ZN7rocprim17ROCPRIM_400000_NS6detail17trampoline_kernelINS0_14default_configENS1_38merge_sort_block_merge_config_selectorItNS0_10empty_typeEEEZZNS1_27merge_sort_block_merge_implIS3_N6thrust23THRUST_200600_302600_NS6detail15normal_iteratorINS9_10device_ptrItEEEEPS5_jNS1_19radix_merge_compareILb0ELb0EtNS0_19identity_decomposerEEEEE10hipError_tT0_T1_T2_jT3_P12ihipStream_tbPNSt15iterator_traitsISK_E10value_typeEPNSQ_ISL_E10value_typeEPSM_NS1_7vsmem_tEENKUlT_SK_SL_SM_E_clISE_PtSF_SF_EESJ_SZ_SK_SL_SM_EUlSZ_E_NS1_11comp_targetILNS1_3genE2ELNS1_11target_archE906ELNS1_3gpuE6ELNS1_3repE0EEENS1_48merge_mergepath_partition_config_static_selectorELNS0_4arch9wavefront6targetE1EEEvSL_
                                        ; -- End function
	.section	.AMDGPU.csdata,"",@progbits
; Kernel info:
; codeLenInByte = 0
; NumSgprs: 6
; NumVgprs: 0
; NumAgprs: 0
; TotalNumVgprs: 0
; ScratchSize: 0
; MemoryBound: 0
; FloatMode: 240
; IeeeMode: 1
; LDSByteSize: 0 bytes/workgroup (compile time only)
; SGPRBlocks: 0
; VGPRBlocks: 0
; NumSGPRsForWavesPerEU: 6
; NumVGPRsForWavesPerEU: 1
; AccumOffset: 4
; Occupancy: 8
; WaveLimiterHint : 0
; COMPUTE_PGM_RSRC2:SCRATCH_EN: 0
; COMPUTE_PGM_RSRC2:USER_SGPR: 2
; COMPUTE_PGM_RSRC2:TRAP_HANDLER: 0
; COMPUTE_PGM_RSRC2:TGID_X_EN: 1
; COMPUTE_PGM_RSRC2:TGID_Y_EN: 0
; COMPUTE_PGM_RSRC2:TGID_Z_EN: 0
; COMPUTE_PGM_RSRC2:TIDIG_COMP_CNT: 0
; COMPUTE_PGM_RSRC3_GFX90A:ACCUM_OFFSET: 0
; COMPUTE_PGM_RSRC3_GFX90A:TG_SPLIT: 0
	.section	.text._ZN7rocprim17ROCPRIM_400000_NS6detail17trampoline_kernelINS0_14default_configENS1_38merge_sort_block_merge_config_selectorItNS0_10empty_typeEEEZZNS1_27merge_sort_block_merge_implIS3_N6thrust23THRUST_200600_302600_NS6detail15normal_iteratorINS9_10device_ptrItEEEEPS5_jNS1_19radix_merge_compareILb0ELb0EtNS0_19identity_decomposerEEEEE10hipError_tT0_T1_T2_jT3_P12ihipStream_tbPNSt15iterator_traitsISK_E10value_typeEPNSQ_ISL_E10value_typeEPSM_NS1_7vsmem_tEENKUlT_SK_SL_SM_E_clISE_PtSF_SF_EESJ_SZ_SK_SL_SM_EUlSZ_E_NS1_11comp_targetILNS1_3genE9ELNS1_11target_archE1100ELNS1_3gpuE3ELNS1_3repE0EEENS1_48merge_mergepath_partition_config_static_selectorELNS0_4arch9wavefront6targetE1EEEvSL_,"axG",@progbits,_ZN7rocprim17ROCPRIM_400000_NS6detail17trampoline_kernelINS0_14default_configENS1_38merge_sort_block_merge_config_selectorItNS0_10empty_typeEEEZZNS1_27merge_sort_block_merge_implIS3_N6thrust23THRUST_200600_302600_NS6detail15normal_iteratorINS9_10device_ptrItEEEEPS5_jNS1_19radix_merge_compareILb0ELb0EtNS0_19identity_decomposerEEEEE10hipError_tT0_T1_T2_jT3_P12ihipStream_tbPNSt15iterator_traitsISK_E10value_typeEPNSQ_ISL_E10value_typeEPSM_NS1_7vsmem_tEENKUlT_SK_SL_SM_E_clISE_PtSF_SF_EESJ_SZ_SK_SL_SM_EUlSZ_E_NS1_11comp_targetILNS1_3genE9ELNS1_11target_archE1100ELNS1_3gpuE3ELNS1_3repE0EEENS1_48merge_mergepath_partition_config_static_selectorELNS0_4arch9wavefront6targetE1EEEvSL_,comdat
	.protected	_ZN7rocprim17ROCPRIM_400000_NS6detail17trampoline_kernelINS0_14default_configENS1_38merge_sort_block_merge_config_selectorItNS0_10empty_typeEEEZZNS1_27merge_sort_block_merge_implIS3_N6thrust23THRUST_200600_302600_NS6detail15normal_iteratorINS9_10device_ptrItEEEEPS5_jNS1_19radix_merge_compareILb0ELb0EtNS0_19identity_decomposerEEEEE10hipError_tT0_T1_T2_jT3_P12ihipStream_tbPNSt15iterator_traitsISK_E10value_typeEPNSQ_ISL_E10value_typeEPSM_NS1_7vsmem_tEENKUlT_SK_SL_SM_E_clISE_PtSF_SF_EESJ_SZ_SK_SL_SM_EUlSZ_E_NS1_11comp_targetILNS1_3genE9ELNS1_11target_archE1100ELNS1_3gpuE3ELNS1_3repE0EEENS1_48merge_mergepath_partition_config_static_selectorELNS0_4arch9wavefront6targetE1EEEvSL_ ; -- Begin function _ZN7rocprim17ROCPRIM_400000_NS6detail17trampoline_kernelINS0_14default_configENS1_38merge_sort_block_merge_config_selectorItNS0_10empty_typeEEEZZNS1_27merge_sort_block_merge_implIS3_N6thrust23THRUST_200600_302600_NS6detail15normal_iteratorINS9_10device_ptrItEEEEPS5_jNS1_19radix_merge_compareILb0ELb0EtNS0_19identity_decomposerEEEEE10hipError_tT0_T1_T2_jT3_P12ihipStream_tbPNSt15iterator_traitsISK_E10value_typeEPNSQ_ISL_E10value_typeEPSM_NS1_7vsmem_tEENKUlT_SK_SL_SM_E_clISE_PtSF_SF_EESJ_SZ_SK_SL_SM_EUlSZ_E_NS1_11comp_targetILNS1_3genE9ELNS1_11target_archE1100ELNS1_3gpuE3ELNS1_3repE0EEENS1_48merge_mergepath_partition_config_static_selectorELNS0_4arch9wavefront6targetE1EEEvSL_
	.globl	_ZN7rocprim17ROCPRIM_400000_NS6detail17trampoline_kernelINS0_14default_configENS1_38merge_sort_block_merge_config_selectorItNS0_10empty_typeEEEZZNS1_27merge_sort_block_merge_implIS3_N6thrust23THRUST_200600_302600_NS6detail15normal_iteratorINS9_10device_ptrItEEEEPS5_jNS1_19radix_merge_compareILb0ELb0EtNS0_19identity_decomposerEEEEE10hipError_tT0_T1_T2_jT3_P12ihipStream_tbPNSt15iterator_traitsISK_E10value_typeEPNSQ_ISL_E10value_typeEPSM_NS1_7vsmem_tEENKUlT_SK_SL_SM_E_clISE_PtSF_SF_EESJ_SZ_SK_SL_SM_EUlSZ_E_NS1_11comp_targetILNS1_3genE9ELNS1_11target_archE1100ELNS1_3gpuE3ELNS1_3repE0EEENS1_48merge_mergepath_partition_config_static_selectorELNS0_4arch9wavefront6targetE1EEEvSL_
	.p2align	8
	.type	_ZN7rocprim17ROCPRIM_400000_NS6detail17trampoline_kernelINS0_14default_configENS1_38merge_sort_block_merge_config_selectorItNS0_10empty_typeEEEZZNS1_27merge_sort_block_merge_implIS3_N6thrust23THRUST_200600_302600_NS6detail15normal_iteratorINS9_10device_ptrItEEEEPS5_jNS1_19radix_merge_compareILb0ELb0EtNS0_19identity_decomposerEEEEE10hipError_tT0_T1_T2_jT3_P12ihipStream_tbPNSt15iterator_traitsISK_E10value_typeEPNSQ_ISL_E10value_typeEPSM_NS1_7vsmem_tEENKUlT_SK_SL_SM_E_clISE_PtSF_SF_EESJ_SZ_SK_SL_SM_EUlSZ_E_NS1_11comp_targetILNS1_3genE9ELNS1_11target_archE1100ELNS1_3gpuE3ELNS1_3repE0EEENS1_48merge_mergepath_partition_config_static_selectorELNS0_4arch9wavefront6targetE1EEEvSL_,@function
_ZN7rocprim17ROCPRIM_400000_NS6detail17trampoline_kernelINS0_14default_configENS1_38merge_sort_block_merge_config_selectorItNS0_10empty_typeEEEZZNS1_27merge_sort_block_merge_implIS3_N6thrust23THRUST_200600_302600_NS6detail15normal_iteratorINS9_10device_ptrItEEEEPS5_jNS1_19radix_merge_compareILb0ELb0EtNS0_19identity_decomposerEEEEE10hipError_tT0_T1_T2_jT3_P12ihipStream_tbPNSt15iterator_traitsISK_E10value_typeEPNSQ_ISL_E10value_typeEPSM_NS1_7vsmem_tEENKUlT_SK_SL_SM_E_clISE_PtSF_SF_EESJ_SZ_SK_SL_SM_EUlSZ_E_NS1_11comp_targetILNS1_3genE9ELNS1_11target_archE1100ELNS1_3gpuE3ELNS1_3repE0EEENS1_48merge_mergepath_partition_config_static_selectorELNS0_4arch9wavefront6targetE1EEEvSL_: ; @_ZN7rocprim17ROCPRIM_400000_NS6detail17trampoline_kernelINS0_14default_configENS1_38merge_sort_block_merge_config_selectorItNS0_10empty_typeEEEZZNS1_27merge_sort_block_merge_implIS3_N6thrust23THRUST_200600_302600_NS6detail15normal_iteratorINS9_10device_ptrItEEEEPS5_jNS1_19radix_merge_compareILb0ELb0EtNS0_19identity_decomposerEEEEE10hipError_tT0_T1_T2_jT3_P12ihipStream_tbPNSt15iterator_traitsISK_E10value_typeEPNSQ_ISL_E10value_typeEPSM_NS1_7vsmem_tEENKUlT_SK_SL_SM_E_clISE_PtSF_SF_EESJ_SZ_SK_SL_SM_EUlSZ_E_NS1_11comp_targetILNS1_3genE9ELNS1_11target_archE1100ELNS1_3gpuE3ELNS1_3repE0EEENS1_48merge_mergepath_partition_config_static_selectorELNS0_4arch9wavefront6targetE1EEEvSL_
; %bb.0:
	.section	.rodata,"a",@progbits
	.p2align	6, 0x0
	.amdhsa_kernel _ZN7rocprim17ROCPRIM_400000_NS6detail17trampoline_kernelINS0_14default_configENS1_38merge_sort_block_merge_config_selectorItNS0_10empty_typeEEEZZNS1_27merge_sort_block_merge_implIS3_N6thrust23THRUST_200600_302600_NS6detail15normal_iteratorINS9_10device_ptrItEEEEPS5_jNS1_19radix_merge_compareILb0ELb0EtNS0_19identity_decomposerEEEEE10hipError_tT0_T1_T2_jT3_P12ihipStream_tbPNSt15iterator_traitsISK_E10value_typeEPNSQ_ISL_E10value_typeEPSM_NS1_7vsmem_tEENKUlT_SK_SL_SM_E_clISE_PtSF_SF_EESJ_SZ_SK_SL_SM_EUlSZ_E_NS1_11comp_targetILNS1_3genE9ELNS1_11target_archE1100ELNS1_3gpuE3ELNS1_3repE0EEENS1_48merge_mergepath_partition_config_static_selectorELNS0_4arch9wavefront6targetE1EEEvSL_
		.amdhsa_group_segment_fixed_size 0
		.amdhsa_private_segment_fixed_size 0
		.amdhsa_kernarg_size 40
		.amdhsa_user_sgpr_count 2
		.amdhsa_user_sgpr_dispatch_ptr 0
		.amdhsa_user_sgpr_queue_ptr 0
		.amdhsa_user_sgpr_kernarg_segment_ptr 1
		.amdhsa_user_sgpr_dispatch_id 0
		.amdhsa_user_sgpr_kernarg_preload_length 0
		.amdhsa_user_sgpr_kernarg_preload_offset 0
		.amdhsa_user_sgpr_private_segment_size 0
		.amdhsa_uses_dynamic_stack 0
		.amdhsa_enable_private_segment 0
		.amdhsa_system_sgpr_workgroup_id_x 1
		.amdhsa_system_sgpr_workgroup_id_y 0
		.amdhsa_system_sgpr_workgroup_id_z 0
		.amdhsa_system_sgpr_workgroup_info 0
		.amdhsa_system_vgpr_workitem_id 0
		.amdhsa_next_free_vgpr 1
		.amdhsa_next_free_sgpr 0
		.amdhsa_accum_offset 4
		.amdhsa_reserve_vcc 0
		.amdhsa_float_round_mode_32 0
		.amdhsa_float_round_mode_16_64 0
		.amdhsa_float_denorm_mode_32 3
		.amdhsa_float_denorm_mode_16_64 3
		.amdhsa_dx10_clamp 1
		.amdhsa_ieee_mode 1
		.amdhsa_fp16_overflow 0
		.amdhsa_tg_split 0
		.amdhsa_exception_fp_ieee_invalid_op 0
		.amdhsa_exception_fp_denorm_src 0
		.amdhsa_exception_fp_ieee_div_zero 0
		.amdhsa_exception_fp_ieee_overflow 0
		.amdhsa_exception_fp_ieee_underflow 0
		.amdhsa_exception_fp_ieee_inexact 0
		.amdhsa_exception_int_div_zero 0
	.end_amdhsa_kernel
	.section	.text._ZN7rocprim17ROCPRIM_400000_NS6detail17trampoline_kernelINS0_14default_configENS1_38merge_sort_block_merge_config_selectorItNS0_10empty_typeEEEZZNS1_27merge_sort_block_merge_implIS3_N6thrust23THRUST_200600_302600_NS6detail15normal_iteratorINS9_10device_ptrItEEEEPS5_jNS1_19radix_merge_compareILb0ELb0EtNS0_19identity_decomposerEEEEE10hipError_tT0_T1_T2_jT3_P12ihipStream_tbPNSt15iterator_traitsISK_E10value_typeEPNSQ_ISL_E10value_typeEPSM_NS1_7vsmem_tEENKUlT_SK_SL_SM_E_clISE_PtSF_SF_EESJ_SZ_SK_SL_SM_EUlSZ_E_NS1_11comp_targetILNS1_3genE9ELNS1_11target_archE1100ELNS1_3gpuE3ELNS1_3repE0EEENS1_48merge_mergepath_partition_config_static_selectorELNS0_4arch9wavefront6targetE1EEEvSL_,"axG",@progbits,_ZN7rocprim17ROCPRIM_400000_NS6detail17trampoline_kernelINS0_14default_configENS1_38merge_sort_block_merge_config_selectorItNS0_10empty_typeEEEZZNS1_27merge_sort_block_merge_implIS3_N6thrust23THRUST_200600_302600_NS6detail15normal_iteratorINS9_10device_ptrItEEEEPS5_jNS1_19radix_merge_compareILb0ELb0EtNS0_19identity_decomposerEEEEE10hipError_tT0_T1_T2_jT3_P12ihipStream_tbPNSt15iterator_traitsISK_E10value_typeEPNSQ_ISL_E10value_typeEPSM_NS1_7vsmem_tEENKUlT_SK_SL_SM_E_clISE_PtSF_SF_EESJ_SZ_SK_SL_SM_EUlSZ_E_NS1_11comp_targetILNS1_3genE9ELNS1_11target_archE1100ELNS1_3gpuE3ELNS1_3repE0EEENS1_48merge_mergepath_partition_config_static_selectorELNS0_4arch9wavefront6targetE1EEEvSL_,comdat
.Lfunc_end1236:
	.size	_ZN7rocprim17ROCPRIM_400000_NS6detail17trampoline_kernelINS0_14default_configENS1_38merge_sort_block_merge_config_selectorItNS0_10empty_typeEEEZZNS1_27merge_sort_block_merge_implIS3_N6thrust23THRUST_200600_302600_NS6detail15normal_iteratorINS9_10device_ptrItEEEEPS5_jNS1_19radix_merge_compareILb0ELb0EtNS0_19identity_decomposerEEEEE10hipError_tT0_T1_T2_jT3_P12ihipStream_tbPNSt15iterator_traitsISK_E10value_typeEPNSQ_ISL_E10value_typeEPSM_NS1_7vsmem_tEENKUlT_SK_SL_SM_E_clISE_PtSF_SF_EESJ_SZ_SK_SL_SM_EUlSZ_E_NS1_11comp_targetILNS1_3genE9ELNS1_11target_archE1100ELNS1_3gpuE3ELNS1_3repE0EEENS1_48merge_mergepath_partition_config_static_selectorELNS0_4arch9wavefront6targetE1EEEvSL_, .Lfunc_end1236-_ZN7rocprim17ROCPRIM_400000_NS6detail17trampoline_kernelINS0_14default_configENS1_38merge_sort_block_merge_config_selectorItNS0_10empty_typeEEEZZNS1_27merge_sort_block_merge_implIS3_N6thrust23THRUST_200600_302600_NS6detail15normal_iteratorINS9_10device_ptrItEEEEPS5_jNS1_19radix_merge_compareILb0ELb0EtNS0_19identity_decomposerEEEEE10hipError_tT0_T1_T2_jT3_P12ihipStream_tbPNSt15iterator_traitsISK_E10value_typeEPNSQ_ISL_E10value_typeEPSM_NS1_7vsmem_tEENKUlT_SK_SL_SM_E_clISE_PtSF_SF_EESJ_SZ_SK_SL_SM_EUlSZ_E_NS1_11comp_targetILNS1_3genE9ELNS1_11target_archE1100ELNS1_3gpuE3ELNS1_3repE0EEENS1_48merge_mergepath_partition_config_static_selectorELNS0_4arch9wavefront6targetE1EEEvSL_
                                        ; -- End function
	.section	.AMDGPU.csdata,"",@progbits
; Kernel info:
; codeLenInByte = 0
; NumSgprs: 6
; NumVgprs: 0
; NumAgprs: 0
; TotalNumVgprs: 0
; ScratchSize: 0
; MemoryBound: 0
; FloatMode: 240
; IeeeMode: 1
; LDSByteSize: 0 bytes/workgroup (compile time only)
; SGPRBlocks: 0
; VGPRBlocks: 0
; NumSGPRsForWavesPerEU: 6
; NumVGPRsForWavesPerEU: 1
; AccumOffset: 4
; Occupancy: 8
; WaveLimiterHint : 0
; COMPUTE_PGM_RSRC2:SCRATCH_EN: 0
; COMPUTE_PGM_RSRC2:USER_SGPR: 2
; COMPUTE_PGM_RSRC2:TRAP_HANDLER: 0
; COMPUTE_PGM_RSRC2:TGID_X_EN: 1
; COMPUTE_PGM_RSRC2:TGID_Y_EN: 0
; COMPUTE_PGM_RSRC2:TGID_Z_EN: 0
; COMPUTE_PGM_RSRC2:TIDIG_COMP_CNT: 0
; COMPUTE_PGM_RSRC3_GFX90A:ACCUM_OFFSET: 0
; COMPUTE_PGM_RSRC3_GFX90A:TG_SPLIT: 0
	.section	.text._ZN7rocprim17ROCPRIM_400000_NS6detail17trampoline_kernelINS0_14default_configENS1_38merge_sort_block_merge_config_selectorItNS0_10empty_typeEEEZZNS1_27merge_sort_block_merge_implIS3_N6thrust23THRUST_200600_302600_NS6detail15normal_iteratorINS9_10device_ptrItEEEEPS5_jNS1_19radix_merge_compareILb0ELb0EtNS0_19identity_decomposerEEEEE10hipError_tT0_T1_T2_jT3_P12ihipStream_tbPNSt15iterator_traitsISK_E10value_typeEPNSQ_ISL_E10value_typeEPSM_NS1_7vsmem_tEENKUlT_SK_SL_SM_E_clISE_PtSF_SF_EESJ_SZ_SK_SL_SM_EUlSZ_E_NS1_11comp_targetILNS1_3genE8ELNS1_11target_archE1030ELNS1_3gpuE2ELNS1_3repE0EEENS1_48merge_mergepath_partition_config_static_selectorELNS0_4arch9wavefront6targetE1EEEvSL_,"axG",@progbits,_ZN7rocprim17ROCPRIM_400000_NS6detail17trampoline_kernelINS0_14default_configENS1_38merge_sort_block_merge_config_selectorItNS0_10empty_typeEEEZZNS1_27merge_sort_block_merge_implIS3_N6thrust23THRUST_200600_302600_NS6detail15normal_iteratorINS9_10device_ptrItEEEEPS5_jNS1_19radix_merge_compareILb0ELb0EtNS0_19identity_decomposerEEEEE10hipError_tT0_T1_T2_jT3_P12ihipStream_tbPNSt15iterator_traitsISK_E10value_typeEPNSQ_ISL_E10value_typeEPSM_NS1_7vsmem_tEENKUlT_SK_SL_SM_E_clISE_PtSF_SF_EESJ_SZ_SK_SL_SM_EUlSZ_E_NS1_11comp_targetILNS1_3genE8ELNS1_11target_archE1030ELNS1_3gpuE2ELNS1_3repE0EEENS1_48merge_mergepath_partition_config_static_selectorELNS0_4arch9wavefront6targetE1EEEvSL_,comdat
	.protected	_ZN7rocprim17ROCPRIM_400000_NS6detail17trampoline_kernelINS0_14default_configENS1_38merge_sort_block_merge_config_selectorItNS0_10empty_typeEEEZZNS1_27merge_sort_block_merge_implIS3_N6thrust23THRUST_200600_302600_NS6detail15normal_iteratorINS9_10device_ptrItEEEEPS5_jNS1_19radix_merge_compareILb0ELb0EtNS0_19identity_decomposerEEEEE10hipError_tT0_T1_T2_jT3_P12ihipStream_tbPNSt15iterator_traitsISK_E10value_typeEPNSQ_ISL_E10value_typeEPSM_NS1_7vsmem_tEENKUlT_SK_SL_SM_E_clISE_PtSF_SF_EESJ_SZ_SK_SL_SM_EUlSZ_E_NS1_11comp_targetILNS1_3genE8ELNS1_11target_archE1030ELNS1_3gpuE2ELNS1_3repE0EEENS1_48merge_mergepath_partition_config_static_selectorELNS0_4arch9wavefront6targetE1EEEvSL_ ; -- Begin function _ZN7rocprim17ROCPRIM_400000_NS6detail17trampoline_kernelINS0_14default_configENS1_38merge_sort_block_merge_config_selectorItNS0_10empty_typeEEEZZNS1_27merge_sort_block_merge_implIS3_N6thrust23THRUST_200600_302600_NS6detail15normal_iteratorINS9_10device_ptrItEEEEPS5_jNS1_19radix_merge_compareILb0ELb0EtNS0_19identity_decomposerEEEEE10hipError_tT0_T1_T2_jT3_P12ihipStream_tbPNSt15iterator_traitsISK_E10value_typeEPNSQ_ISL_E10value_typeEPSM_NS1_7vsmem_tEENKUlT_SK_SL_SM_E_clISE_PtSF_SF_EESJ_SZ_SK_SL_SM_EUlSZ_E_NS1_11comp_targetILNS1_3genE8ELNS1_11target_archE1030ELNS1_3gpuE2ELNS1_3repE0EEENS1_48merge_mergepath_partition_config_static_selectorELNS0_4arch9wavefront6targetE1EEEvSL_
	.globl	_ZN7rocprim17ROCPRIM_400000_NS6detail17trampoline_kernelINS0_14default_configENS1_38merge_sort_block_merge_config_selectorItNS0_10empty_typeEEEZZNS1_27merge_sort_block_merge_implIS3_N6thrust23THRUST_200600_302600_NS6detail15normal_iteratorINS9_10device_ptrItEEEEPS5_jNS1_19radix_merge_compareILb0ELb0EtNS0_19identity_decomposerEEEEE10hipError_tT0_T1_T2_jT3_P12ihipStream_tbPNSt15iterator_traitsISK_E10value_typeEPNSQ_ISL_E10value_typeEPSM_NS1_7vsmem_tEENKUlT_SK_SL_SM_E_clISE_PtSF_SF_EESJ_SZ_SK_SL_SM_EUlSZ_E_NS1_11comp_targetILNS1_3genE8ELNS1_11target_archE1030ELNS1_3gpuE2ELNS1_3repE0EEENS1_48merge_mergepath_partition_config_static_selectorELNS0_4arch9wavefront6targetE1EEEvSL_
	.p2align	8
	.type	_ZN7rocprim17ROCPRIM_400000_NS6detail17trampoline_kernelINS0_14default_configENS1_38merge_sort_block_merge_config_selectorItNS0_10empty_typeEEEZZNS1_27merge_sort_block_merge_implIS3_N6thrust23THRUST_200600_302600_NS6detail15normal_iteratorINS9_10device_ptrItEEEEPS5_jNS1_19radix_merge_compareILb0ELb0EtNS0_19identity_decomposerEEEEE10hipError_tT0_T1_T2_jT3_P12ihipStream_tbPNSt15iterator_traitsISK_E10value_typeEPNSQ_ISL_E10value_typeEPSM_NS1_7vsmem_tEENKUlT_SK_SL_SM_E_clISE_PtSF_SF_EESJ_SZ_SK_SL_SM_EUlSZ_E_NS1_11comp_targetILNS1_3genE8ELNS1_11target_archE1030ELNS1_3gpuE2ELNS1_3repE0EEENS1_48merge_mergepath_partition_config_static_selectorELNS0_4arch9wavefront6targetE1EEEvSL_,@function
_ZN7rocprim17ROCPRIM_400000_NS6detail17trampoline_kernelINS0_14default_configENS1_38merge_sort_block_merge_config_selectorItNS0_10empty_typeEEEZZNS1_27merge_sort_block_merge_implIS3_N6thrust23THRUST_200600_302600_NS6detail15normal_iteratorINS9_10device_ptrItEEEEPS5_jNS1_19radix_merge_compareILb0ELb0EtNS0_19identity_decomposerEEEEE10hipError_tT0_T1_T2_jT3_P12ihipStream_tbPNSt15iterator_traitsISK_E10value_typeEPNSQ_ISL_E10value_typeEPSM_NS1_7vsmem_tEENKUlT_SK_SL_SM_E_clISE_PtSF_SF_EESJ_SZ_SK_SL_SM_EUlSZ_E_NS1_11comp_targetILNS1_3genE8ELNS1_11target_archE1030ELNS1_3gpuE2ELNS1_3repE0EEENS1_48merge_mergepath_partition_config_static_selectorELNS0_4arch9wavefront6targetE1EEEvSL_: ; @_ZN7rocprim17ROCPRIM_400000_NS6detail17trampoline_kernelINS0_14default_configENS1_38merge_sort_block_merge_config_selectorItNS0_10empty_typeEEEZZNS1_27merge_sort_block_merge_implIS3_N6thrust23THRUST_200600_302600_NS6detail15normal_iteratorINS9_10device_ptrItEEEEPS5_jNS1_19radix_merge_compareILb0ELb0EtNS0_19identity_decomposerEEEEE10hipError_tT0_T1_T2_jT3_P12ihipStream_tbPNSt15iterator_traitsISK_E10value_typeEPNSQ_ISL_E10value_typeEPSM_NS1_7vsmem_tEENKUlT_SK_SL_SM_E_clISE_PtSF_SF_EESJ_SZ_SK_SL_SM_EUlSZ_E_NS1_11comp_targetILNS1_3genE8ELNS1_11target_archE1030ELNS1_3gpuE2ELNS1_3repE0EEENS1_48merge_mergepath_partition_config_static_selectorELNS0_4arch9wavefront6targetE1EEEvSL_
; %bb.0:
	.section	.rodata,"a",@progbits
	.p2align	6, 0x0
	.amdhsa_kernel _ZN7rocprim17ROCPRIM_400000_NS6detail17trampoline_kernelINS0_14default_configENS1_38merge_sort_block_merge_config_selectorItNS0_10empty_typeEEEZZNS1_27merge_sort_block_merge_implIS3_N6thrust23THRUST_200600_302600_NS6detail15normal_iteratorINS9_10device_ptrItEEEEPS5_jNS1_19radix_merge_compareILb0ELb0EtNS0_19identity_decomposerEEEEE10hipError_tT0_T1_T2_jT3_P12ihipStream_tbPNSt15iterator_traitsISK_E10value_typeEPNSQ_ISL_E10value_typeEPSM_NS1_7vsmem_tEENKUlT_SK_SL_SM_E_clISE_PtSF_SF_EESJ_SZ_SK_SL_SM_EUlSZ_E_NS1_11comp_targetILNS1_3genE8ELNS1_11target_archE1030ELNS1_3gpuE2ELNS1_3repE0EEENS1_48merge_mergepath_partition_config_static_selectorELNS0_4arch9wavefront6targetE1EEEvSL_
		.amdhsa_group_segment_fixed_size 0
		.amdhsa_private_segment_fixed_size 0
		.amdhsa_kernarg_size 40
		.amdhsa_user_sgpr_count 2
		.amdhsa_user_sgpr_dispatch_ptr 0
		.amdhsa_user_sgpr_queue_ptr 0
		.amdhsa_user_sgpr_kernarg_segment_ptr 1
		.amdhsa_user_sgpr_dispatch_id 0
		.amdhsa_user_sgpr_kernarg_preload_length 0
		.amdhsa_user_sgpr_kernarg_preload_offset 0
		.amdhsa_user_sgpr_private_segment_size 0
		.amdhsa_uses_dynamic_stack 0
		.amdhsa_enable_private_segment 0
		.amdhsa_system_sgpr_workgroup_id_x 1
		.amdhsa_system_sgpr_workgroup_id_y 0
		.amdhsa_system_sgpr_workgroup_id_z 0
		.amdhsa_system_sgpr_workgroup_info 0
		.amdhsa_system_vgpr_workitem_id 0
		.amdhsa_next_free_vgpr 1
		.amdhsa_next_free_sgpr 0
		.amdhsa_accum_offset 4
		.amdhsa_reserve_vcc 0
		.amdhsa_float_round_mode_32 0
		.amdhsa_float_round_mode_16_64 0
		.amdhsa_float_denorm_mode_32 3
		.amdhsa_float_denorm_mode_16_64 3
		.amdhsa_dx10_clamp 1
		.amdhsa_ieee_mode 1
		.amdhsa_fp16_overflow 0
		.amdhsa_tg_split 0
		.amdhsa_exception_fp_ieee_invalid_op 0
		.amdhsa_exception_fp_denorm_src 0
		.amdhsa_exception_fp_ieee_div_zero 0
		.amdhsa_exception_fp_ieee_overflow 0
		.amdhsa_exception_fp_ieee_underflow 0
		.amdhsa_exception_fp_ieee_inexact 0
		.amdhsa_exception_int_div_zero 0
	.end_amdhsa_kernel
	.section	.text._ZN7rocprim17ROCPRIM_400000_NS6detail17trampoline_kernelINS0_14default_configENS1_38merge_sort_block_merge_config_selectorItNS0_10empty_typeEEEZZNS1_27merge_sort_block_merge_implIS3_N6thrust23THRUST_200600_302600_NS6detail15normal_iteratorINS9_10device_ptrItEEEEPS5_jNS1_19radix_merge_compareILb0ELb0EtNS0_19identity_decomposerEEEEE10hipError_tT0_T1_T2_jT3_P12ihipStream_tbPNSt15iterator_traitsISK_E10value_typeEPNSQ_ISL_E10value_typeEPSM_NS1_7vsmem_tEENKUlT_SK_SL_SM_E_clISE_PtSF_SF_EESJ_SZ_SK_SL_SM_EUlSZ_E_NS1_11comp_targetILNS1_3genE8ELNS1_11target_archE1030ELNS1_3gpuE2ELNS1_3repE0EEENS1_48merge_mergepath_partition_config_static_selectorELNS0_4arch9wavefront6targetE1EEEvSL_,"axG",@progbits,_ZN7rocprim17ROCPRIM_400000_NS6detail17trampoline_kernelINS0_14default_configENS1_38merge_sort_block_merge_config_selectorItNS0_10empty_typeEEEZZNS1_27merge_sort_block_merge_implIS3_N6thrust23THRUST_200600_302600_NS6detail15normal_iteratorINS9_10device_ptrItEEEEPS5_jNS1_19radix_merge_compareILb0ELb0EtNS0_19identity_decomposerEEEEE10hipError_tT0_T1_T2_jT3_P12ihipStream_tbPNSt15iterator_traitsISK_E10value_typeEPNSQ_ISL_E10value_typeEPSM_NS1_7vsmem_tEENKUlT_SK_SL_SM_E_clISE_PtSF_SF_EESJ_SZ_SK_SL_SM_EUlSZ_E_NS1_11comp_targetILNS1_3genE8ELNS1_11target_archE1030ELNS1_3gpuE2ELNS1_3repE0EEENS1_48merge_mergepath_partition_config_static_selectorELNS0_4arch9wavefront6targetE1EEEvSL_,comdat
.Lfunc_end1237:
	.size	_ZN7rocprim17ROCPRIM_400000_NS6detail17trampoline_kernelINS0_14default_configENS1_38merge_sort_block_merge_config_selectorItNS0_10empty_typeEEEZZNS1_27merge_sort_block_merge_implIS3_N6thrust23THRUST_200600_302600_NS6detail15normal_iteratorINS9_10device_ptrItEEEEPS5_jNS1_19radix_merge_compareILb0ELb0EtNS0_19identity_decomposerEEEEE10hipError_tT0_T1_T2_jT3_P12ihipStream_tbPNSt15iterator_traitsISK_E10value_typeEPNSQ_ISL_E10value_typeEPSM_NS1_7vsmem_tEENKUlT_SK_SL_SM_E_clISE_PtSF_SF_EESJ_SZ_SK_SL_SM_EUlSZ_E_NS1_11comp_targetILNS1_3genE8ELNS1_11target_archE1030ELNS1_3gpuE2ELNS1_3repE0EEENS1_48merge_mergepath_partition_config_static_selectorELNS0_4arch9wavefront6targetE1EEEvSL_, .Lfunc_end1237-_ZN7rocprim17ROCPRIM_400000_NS6detail17trampoline_kernelINS0_14default_configENS1_38merge_sort_block_merge_config_selectorItNS0_10empty_typeEEEZZNS1_27merge_sort_block_merge_implIS3_N6thrust23THRUST_200600_302600_NS6detail15normal_iteratorINS9_10device_ptrItEEEEPS5_jNS1_19radix_merge_compareILb0ELb0EtNS0_19identity_decomposerEEEEE10hipError_tT0_T1_T2_jT3_P12ihipStream_tbPNSt15iterator_traitsISK_E10value_typeEPNSQ_ISL_E10value_typeEPSM_NS1_7vsmem_tEENKUlT_SK_SL_SM_E_clISE_PtSF_SF_EESJ_SZ_SK_SL_SM_EUlSZ_E_NS1_11comp_targetILNS1_3genE8ELNS1_11target_archE1030ELNS1_3gpuE2ELNS1_3repE0EEENS1_48merge_mergepath_partition_config_static_selectorELNS0_4arch9wavefront6targetE1EEEvSL_
                                        ; -- End function
	.section	.AMDGPU.csdata,"",@progbits
; Kernel info:
; codeLenInByte = 0
; NumSgprs: 6
; NumVgprs: 0
; NumAgprs: 0
; TotalNumVgprs: 0
; ScratchSize: 0
; MemoryBound: 0
; FloatMode: 240
; IeeeMode: 1
; LDSByteSize: 0 bytes/workgroup (compile time only)
; SGPRBlocks: 0
; VGPRBlocks: 0
; NumSGPRsForWavesPerEU: 6
; NumVGPRsForWavesPerEU: 1
; AccumOffset: 4
; Occupancy: 8
; WaveLimiterHint : 0
; COMPUTE_PGM_RSRC2:SCRATCH_EN: 0
; COMPUTE_PGM_RSRC2:USER_SGPR: 2
; COMPUTE_PGM_RSRC2:TRAP_HANDLER: 0
; COMPUTE_PGM_RSRC2:TGID_X_EN: 1
; COMPUTE_PGM_RSRC2:TGID_Y_EN: 0
; COMPUTE_PGM_RSRC2:TGID_Z_EN: 0
; COMPUTE_PGM_RSRC2:TIDIG_COMP_CNT: 0
; COMPUTE_PGM_RSRC3_GFX90A:ACCUM_OFFSET: 0
; COMPUTE_PGM_RSRC3_GFX90A:TG_SPLIT: 0
	.section	.text._ZN7rocprim17ROCPRIM_400000_NS6detail17trampoline_kernelINS0_14default_configENS1_38merge_sort_block_merge_config_selectorItNS0_10empty_typeEEEZZNS1_27merge_sort_block_merge_implIS3_N6thrust23THRUST_200600_302600_NS6detail15normal_iteratorINS9_10device_ptrItEEEEPS5_jNS1_19radix_merge_compareILb0ELb0EtNS0_19identity_decomposerEEEEE10hipError_tT0_T1_T2_jT3_P12ihipStream_tbPNSt15iterator_traitsISK_E10value_typeEPNSQ_ISL_E10value_typeEPSM_NS1_7vsmem_tEENKUlT_SK_SL_SM_E_clISE_PtSF_SF_EESJ_SZ_SK_SL_SM_EUlSZ_E0_NS1_11comp_targetILNS1_3genE0ELNS1_11target_archE4294967295ELNS1_3gpuE0ELNS1_3repE0EEENS1_38merge_mergepath_config_static_selectorELNS0_4arch9wavefront6targetE1EEEvSL_,"axG",@progbits,_ZN7rocprim17ROCPRIM_400000_NS6detail17trampoline_kernelINS0_14default_configENS1_38merge_sort_block_merge_config_selectorItNS0_10empty_typeEEEZZNS1_27merge_sort_block_merge_implIS3_N6thrust23THRUST_200600_302600_NS6detail15normal_iteratorINS9_10device_ptrItEEEEPS5_jNS1_19radix_merge_compareILb0ELb0EtNS0_19identity_decomposerEEEEE10hipError_tT0_T1_T2_jT3_P12ihipStream_tbPNSt15iterator_traitsISK_E10value_typeEPNSQ_ISL_E10value_typeEPSM_NS1_7vsmem_tEENKUlT_SK_SL_SM_E_clISE_PtSF_SF_EESJ_SZ_SK_SL_SM_EUlSZ_E0_NS1_11comp_targetILNS1_3genE0ELNS1_11target_archE4294967295ELNS1_3gpuE0ELNS1_3repE0EEENS1_38merge_mergepath_config_static_selectorELNS0_4arch9wavefront6targetE1EEEvSL_,comdat
	.protected	_ZN7rocprim17ROCPRIM_400000_NS6detail17trampoline_kernelINS0_14default_configENS1_38merge_sort_block_merge_config_selectorItNS0_10empty_typeEEEZZNS1_27merge_sort_block_merge_implIS3_N6thrust23THRUST_200600_302600_NS6detail15normal_iteratorINS9_10device_ptrItEEEEPS5_jNS1_19radix_merge_compareILb0ELb0EtNS0_19identity_decomposerEEEEE10hipError_tT0_T1_T2_jT3_P12ihipStream_tbPNSt15iterator_traitsISK_E10value_typeEPNSQ_ISL_E10value_typeEPSM_NS1_7vsmem_tEENKUlT_SK_SL_SM_E_clISE_PtSF_SF_EESJ_SZ_SK_SL_SM_EUlSZ_E0_NS1_11comp_targetILNS1_3genE0ELNS1_11target_archE4294967295ELNS1_3gpuE0ELNS1_3repE0EEENS1_38merge_mergepath_config_static_selectorELNS0_4arch9wavefront6targetE1EEEvSL_ ; -- Begin function _ZN7rocprim17ROCPRIM_400000_NS6detail17trampoline_kernelINS0_14default_configENS1_38merge_sort_block_merge_config_selectorItNS0_10empty_typeEEEZZNS1_27merge_sort_block_merge_implIS3_N6thrust23THRUST_200600_302600_NS6detail15normal_iteratorINS9_10device_ptrItEEEEPS5_jNS1_19radix_merge_compareILb0ELb0EtNS0_19identity_decomposerEEEEE10hipError_tT0_T1_T2_jT3_P12ihipStream_tbPNSt15iterator_traitsISK_E10value_typeEPNSQ_ISL_E10value_typeEPSM_NS1_7vsmem_tEENKUlT_SK_SL_SM_E_clISE_PtSF_SF_EESJ_SZ_SK_SL_SM_EUlSZ_E0_NS1_11comp_targetILNS1_3genE0ELNS1_11target_archE4294967295ELNS1_3gpuE0ELNS1_3repE0EEENS1_38merge_mergepath_config_static_selectorELNS0_4arch9wavefront6targetE1EEEvSL_
	.globl	_ZN7rocprim17ROCPRIM_400000_NS6detail17trampoline_kernelINS0_14default_configENS1_38merge_sort_block_merge_config_selectorItNS0_10empty_typeEEEZZNS1_27merge_sort_block_merge_implIS3_N6thrust23THRUST_200600_302600_NS6detail15normal_iteratorINS9_10device_ptrItEEEEPS5_jNS1_19radix_merge_compareILb0ELb0EtNS0_19identity_decomposerEEEEE10hipError_tT0_T1_T2_jT3_P12ihipStream_tbPNSt15iterator_traitsISK_E10value_typeEPNSQ_ISL_E10value_typeEPSM_NS1_7vsmem_tEENKUlT_SK_SL_SM_E_clISE_PtSF_SF_EESJ_SZ_SK_SL_SM_EUlSZ_E0_NS1_11comp_targetILNS1_3genE0ELNS1_11target_archE4294967295ELNS1_3gpuE0ELNS1_3repE0EEENS1_38merge_mergepath_config_static_selectorELNS0_4arch9wavefront6targetE1EEEvSL_
	.p2align	8
	.type	_ZN7rocprim17ROCPRIM_400000_NS6detail17trampoline_kernelINS0_14default_configENS1_38merge_sort_block_merge_config_selectorItNS0_10empty_typeEEEZZNS1_27merge_sort_block_merge_implIS3_N6thrust23THRUST_200600_302600_NS6detail15normal_iteratorINS9_10device_ptrItEEEEPS5_jNS1_19radix_merge_compareILb0ELb0EtNS0_19identity_decomposerEEEEE10hipError_tT0_T1_T2_jT3_P12ihipStream_tbPNSt15iterator_traitsISK_E10value_typeEPNSQ_ISL_E10value_typeEPSM_NS1_7vsmem_tEENKUlT_SK_SL_SM_E_clISE_PtSF_SF_EESJ_SZ_SK_SL_SM_EUlSZ_E0_NS1_11comp_targetILNS1_3genE0ELNS1_11target_archE4294967295ELNS1_3gpuE0ELNS1_3repE0EEENS1_38merge_mergepath_config_static_selectorELNS0_4arch9wavefront6targetE1EEEvSL_,@function
_ZN7rocprim17ROCPRIM_400000_NS6detail17trampoline_kernelINS0_14default_configENS1_38merge_sort_block_merge_config_selectorItNS0_10empty_typeEEEZZNS1_27merge_sort_block_merge_implIS3_N6thrust23THRUST_200600_302600_NS6detail15normal_iteratorINS9_10device_ptrItEEEEPS5_jNS1_19radix_merge_compareILb0ELb0EtNS0_19identity_decomposerEEEEE10hipError_tT0_T1_T2_jT3_P12ihipStream_tbPNSt15iterator_traitsISK_E10value_typeEPNSQ_ISL_E10value_typeEPSM_NS1_7vsmem_tEENKUlT_SK_SL_SM_E_clISE_PtSF_SF_EESJ_SZ_SK_SL_SM_EUlSZ_E0_NS1_11comp_targetILNS1_3genE0ELNS1_11target_archE4294967295ELNS1_3gpuE0ELNS1_3repE0EEENS1_38merge_mergepath_config_static_selectorELNS0_4arch9wavefront6targetE1EEEvSL_: ; @_ZN7rocprim17ROCPRIM_400000_NS6detail17trampoline_kernelINS0_14default_configENS1_38merge_sort_block_merge_config_selectorItNS0_10empty_typeEEEZZNS1_27merge_sort_block_merge_implIS3_N6thrust23THRUST_200600_302600_NS6detail15normal_iteratorINS9_10device_ptrItEEEEPS5_jNS1_19radix_merge_compareILb0ELb0EtNS0_19identity_decomposerEEEEE10hipError_tT0_T1_T2_jT3_P12ihipStream_tbPNSt15iterator_traitsISK_E10value_typeEPNSQ_ISL_E10value_typeEPSM_NS1_7vsmem_tEENKUlT_SK_SL_SM_E_clISE_PtSF_SF_EESJ_SZ_SK_SL_SM_EUlSZ_E0_NS1_11comp_targetILNS1_3genE0ELNS1_11target_archE4294967295ELNS1_3gpuE0ELNS1_3repE0EEENS1_38merge_mergepath_config_static_selectorELNS0_4arch9wavefront6targetE1EEEvSL_
; %bb.0:
	.section	.rodata,"a",@progbits
	.p2align	6, 0x0
	.amdhsa_kernel _ZN7rocprim17ROCPRIM_400000_NS6detail17trampoline_kernelINS0_14default_configENS1_38merge_sort_block_merge_config_selectorItNS0_10empty_typeEEEZZNS1_27merge_sort_block_merge_implIS3_N6thrust23THRUST_200600_302600_NS6detail15normal_iteratorINS9_10device_ptrItEEEEPS5_jNS1_19radix_merge_compareILb0ELb0EtNS0_19identity_decomposerEEEEE10hipError_tT0_T1_T2_jT3_P12ihipStream_tbPNSt15iterator_traitsISK_E10value_typeEPNSQ_ISL_E10value_typeEPSM_NS1_7vsmem_tEENKUlT_SK_SL_SM_E_clISE_PtSF_SF_EESJ_SZ_SK_SL_SM_EUlSZ_E0_NS1_11comp_targetILNS1_3genE0ELNS1_11target_archE4294967295ELNS1_3gpuE0ELNS1_3repE0EEENS1_38merge_mergepath_config_static_selectorELNS0_4arch9wavefront6targetE1EEEvSL_
		.amdhsa_group_segment_fixed_size 0
		.amdhsa_private_segment_fixed_size 0
		.amdhsa_kernarg_size 64
		.amdhsa_user_sgpr_count 2
		.amdhsa_user_sgpr_dispatch_ptr 0
		.amdhsa_user_sgpr_queue_ptr 0
		.amdhsa_user_sgpr_kernarg_segment_ptr 1
		.amdhsa_user_sgpr_dispatch_id 0
		.amdhsa_user_sgpr_kernarg_preload_length 0
		.amdhsa_user_sgpr_kernarg_preload_offset 0
		.amdhsa_user_sgpr_private_segment_size 0
		.amdhsa_uses_dynamic_stack 0
		.amdhsa_enable_private_segment 0
		.amdhsa_system_sgpr_workgroup_id_x 1
		.amdhsa_system_sgpr_workgroup_id_y 0
		.amdhsa_system_sgpr_workgroup_id_z 0
		.amdhsa_system_sgpr_workgroup_info 0
		.amdhsa_system_vgpr_workitem_id 0
		.amdhsa_next_free_vgpr 1
		.amdhsa_next_free_sgpr 0
		.amdhsa_accum_offset 4
		.amdhsa_reserve_vcc 0
		.amdhsa_float_round_mode_32 0
		.amdhsa_float_round_mode_16_64 0
		.amdhsa_float_denorm_mode_32 3
		.amdhsa_float_denorm_mode_16_64 3
		.amdhsa_dx10_clamp 1
		.amdhsa_ieee_mode 1
		.amdhsa_fp16_overflow 0
		.amdhsa_tg_split 0
		.amdhsa_exception_fp_ieee_invalid_op 0
		.amdhsa_exception_fp_denorm_src 0
		.amdhsa_exception_fp_ieee_div_zero 0
		.amdhsa_exception_fp_ieee_overflow 0
		.amdhsa_exception_fp_ieee_underflow 0
		.amdhsa_exception_fp_ieee_inexact 0
		.amdhsa_exception_int_div_zero 0
	.end_amdhsa_kernel
	.section	.text._ZN7rocprim17ROCPRIM_400000_NS6detail17trampoline_kernelINS0_14default_configENS1_38merge_sort_block_merge_config_selectorItNS0_10empty_typeEEEZZNS1_27merge_sort_block_merge_implIS3_N6thrust23THRUST_200600_302600_NS6detail15normal_iteratorINS9_10device_ptrItEEEEPS5_jNS1_19radix_merge_compareILb0ELb0EtNS0_19identity_decomposerEEEEE10hipError_tT0_T1_T2_jT3_P12ihipStream_tbPNSt15iterator_traitsISK_E10value_typeEPNSQ_ISL_E10value_typeEPSM_NS1_7vsmem_tEENKUlT_SK_SL_SM_E_clISE_PtSF_SF_EESJ_SZ_SK_SL_SM_EUlSZ_E0_NS1_11comp_targetILNS1_3genE0ELNS1_11target_archE4294967295ELNS1_3gpuE0ELNS1_3repE0EEENS1_38merge_mergepath_config_static_selectorELNS0_4arch9wavefront6targetE1EEEvSL_,"axG",@progbits,_ZN7rocprim17ROCPRIM_400000_NS6detail17trampoline_kernelINS0_14default_configENS1_38merge_sort_block_merge_config_selectorItNS0_10empty_typeEEEZZNS1_27merge_sort_block_merge_implIS3_N6thrust23THRUST_200600_302600_NS6detail15normal_iteratorINS9_10device_ptrItEEEEPS5_jNS1_19radix_merge_compareILb0ELb0EtNS0_19identity_decomposerEEEEE10hipError_tT0_T1_T2_jT3_P12ihipStream_tbPNSt15iterator_traitsISK_E10value_typeEPNSQ_ISL_E10value_typeEPSM_NS1_7vsmem_tEENKUlT_SK_SL_SM_E_clISE_PtSF_SF_EESJ_SZ_SK_SL_SM_EUlSZ_E0_NS1_11comp_targetILNS1_3genE0ELNS1_11target_archE4294967295ELNS1_3gpuE0ELNS1_3repE0EEENS1_38merge_mergepath_config_static_selectorELNS0_4arch9wavefront6targetE1EEEvSL_,comdat
.Lfunc_end1238:
	.size	_ZN7rocprim17ROCPRIM_400000_NS6detail17trampoline_kernelINS0_14default_configENS1_38merge_sort_block_merge_config_selectorItNS0_10empty_typeEEEZZNS1_27merge_sort_block_merge_implIS3_N6thrust23THRUST_200600_302600_NS6detail15normal_iteratorINS9_10device_ptrItEEEEPS5_jNS1_19radix_merge_compareILb0ELb0EtNS0_19identity_decomposerEEEEE10hipError_tT0_T1_T2_jT3_P12ihipStream_tbPNSt15iterator_traitsISK_E10value_typeEPNSQ_ISL_E10value_typeEPSM_NS1_7vsmem_tEENKUlT_SK_SL_SM_E_clISE_PtSF_SF_EESJ_SZ_SK_SL_SM_EUlSZ_E0_NS1_11comp_targetILNS1_3genE0ELNS1_11target_archE4294967295ELNS1_3gpuE0ELNS1_3repE0EEENS1_38merge_mergepath_config_static_selectorELNS0_4arch9wavefront6targetE1EEEvSL_, .Lfunc_end1238-_ZN7rocprim17ROCPRIM_400000_NS6detail17trampoline_kernelINS0_14default_configENS1_38merge_sort_block_merge_config_selectorItNS0_10empty_typeEEEZZNS1_27merge_sort_block_merge_implIS3_N6thrust23THRUST_200600_302600_NS6detail15normal_iteratorINS9_10device_ptrItEEEEPS5_jNS1_19radix_merge_compareILb0ELb0EtNS0_19identity_decomposerEEEEE10hipError_tT0_T1_T2_jT3_P12ihipStream_tbPNSt15iterator_traitsISK_E10value_typeEPNSQ_ISL_E10value_typeEPSM_NS1_7vsmem_tEENKUlT_SK_SL_SM_E_clISE_PtSF_SF_EESJ_SZ_SK_SL_SM_EUlSZ_E0_NS1_11comp_targetILNS1_3genE0ELNS1_11target_archE4294967295ELNS1_3gpuE0ELNS1_3repE0EEENS1_38merge_mergepath_config_static_selectorELNS0_4arch9wavefront6targetE1EEEvSL_
                                        ; -- End function
	.section	.AMDGPU.csdata,"",@progbits
; Kernel info:
; codeLenInByte = 0
; NumSgprs: 6
; NumVgprs: 0
; NumAgprs: 0
; TotalNumVgprs: 0
; ScratchSize: 0
; MemoryBound: 0
; FloatMode: 240
; IeeeMode: 1
; LDSByteSize: 0 bytes/workgroup (compile time only)
; SGPRBlocks: 0
; VGPRBlocks: 0
; NumSGPRsForWavesPerEU: 6
; NumVGPRsForWavesPerEU: 1
; AccumOffset: 4
; Occupancy: 8
; WaveLimiterHint : 0
; COMPUTE_PGM_RSRC2:SCRATCH_EN: 0
; COMPUTE_PGM_RSRC2:USER_SGPR: 2
; COMPUTE_PGM_RSRC2:TRAP_HANDLER: 0
; COMPUTE_PGM_RSRC2:TGID_X_EN: 1
; COMPUTE_PGM_RSRC2:TGID_Y_EN: 0
; COMPUTE_PGM_RSRC2:TGID_Z_EN: 0
; COMPUTE_PGM_RSRC2:TIDIG_COMP_CNT: 0
; COMPUTE_PGM_RSRC3_GFX90A:ACCUM_OFFSET: 0
; COMPUTE_PGM_RSRC3_GFX90A:TG_SPLIT: 0
	.section	.text._ZN7rocprim17ROCPRIM_400000_NS6detail17trampoline_kernelINS0_14default_configENS1_38merge_sort_block_merge_config_selectorItNS0_10empty_typeEEEZZNS1_27merge_sort_block_merge_implIS3_N6thrust23THRUST_200600_302600_NS6detail15normal_iteratorINS9_10device_ptrItEEEEPS5_jNS1_19radix_merge_compareILb0ELb0EtNS0_19identity_decomposerEEEEE10hipError_tT0_T1_T2_jT3_P12ihipStream_tbPNSt15iterator_traitsISK_E10value_typeEPNSQ_ISL_E10value_typeEPSM_NS1_7vsmem_tEENKUlT_SK_SL_SM_E_clISE_PtSF_SF_EESJ_SZ_SK_SL_SM_EUlSZ_E0_NS1_11comp_targetILNS1_3genE10ELNS1_11target_archE1201ELNS1_3gpuE5ELNS1_3repE0EEENS1_38merge_mergepath_config_static_selectorELNS0_4arch9wavefront6targetE1EEEvSL_,"axG",@progbits,_ZN7rocprim17ROCPRIM_400000_NS6detail17trampoline_kernelINS0_14default_configENS1_38merge_sort_block_merge_config_selectorItNS0_10empty_typeEEEZZNS1_27merge_sort_block_merge_implIS3_N6thrust23THRUST_200600_302600_NS6detail15normal_iteratorINS9_10device_ptrItEEEEPS5_jNS1_19radix_merge_compareILb0ELb0EtNS0_19identity_decomposerEEEEE10hipError_tT0_T1_T2_jT3_P12ihipStream_tbPNSt15iterator_traitsISK_E10value_typeEPNSQ_ISL_E10value_typeEPSM_NS1_7vsmem_tEENKUlT_SK_SL_SM_E_clISE_PtSF_SF_EESJ_SZ_SK_SL_SM_EUlSZ_E0_NS1_11comp_targetILNS1_3genE10ELNS1_11target_archE1201ELNS1_3gpuE5ELNS1_3repE0EEENS1_38merge_mergepath_config_static_selectorELNS0_4arch9wavefront6targetE1EEEvSL_,comdat
	.protected	_ZN7rocprim17ROCPRIM_400000_NS6detail17trampoline_kernelINS0_14default_configENS1_38merge_sort_block_merge_config_selectorItNS0_10empty_typeEEEZZNS1_27merge_sort_block_merge_implIS3_N6thrust23THRUST_200600_302600_NS6detail15normal_iteratorINS9_10device_ptrItEEEEPS5_jNS1_19radix_merge_compareILb0ELb0EtNS0_19identity_decomposerEEEEE10hipError_tT0_T1_T2_jT3_P12ihipStream_tbPNSt15iterator_traitsISK_E10value_typeEPNSQ_ISL_E10value_typeEPSM_NS1_7vsmem_tEENKUlT_SK_SL_SM_E_clISE_PtSF_SF_EESJ_SZ_SK_SL_SM_EUlSZ_E0_NS1_11comp_targetILNS1_3genE10ELNS1_11target_archE1201ELNS1_3gpuE5ELNS1_3repE0EEENS1_38merge_mergepath_config_static_selectorELNS0_4arch9wavefront6targetE1EEEvSL_ ; -- Begin function _ZN7rocprim17ROCPRIM_400000_NS6detail17trampoline_kernelINS0_14default_configENS1_38merge_sort_block_merge_config_selectorItNS0_10empty_typeEEEZZNS1_27merge_sort_block_merge_implIS3_N6thrust23THRUST_200600_302600_NS6detail15normal_iteratorINS9_10device_ptrItEEEEPS5_jNS1_19radix_merge_compareILb0ELb0EtNS0_19identity_decomposerEEEEE10hipError_tT0_T1_T2_jT3_P12ihipStream_tbPNSt15iterator_traitsISK_E10value_typeEPNSQ_ISL_E10value_typeEPSM_NS1_7vsmem_tEENKUlT_SK_SL_SM_E_clISE_PtSF_SF_EESJ_SZ_SK_SL_SM_EUlSZ_E0_NS1_11comp_targetILNS1_3genE10ELNS1_11target_archE1201ELNS1_3gpuE5ELNS1_3repE0EEENS1_38merge_mergepath_config_static_selectorELNS0_4arch9wavefront6targetE1EEEvSL_
	.globl	_ZN7rocprim17ROCPRIM_400000_NS6detail17trampoline_kernelINS0_14default_configENS1_38merge_sort_block_merge_config_selectorItNS0_10empty_typeEEEZZNS1_27merge_sort_block_merge_implIS3_N6thrust23THRUST_200600_302600_NS6detail15normal_iteratorINS9_10device_ptrItEEEEPS5_jNS1_19radix_merge_compareILb0ELb0EtNS0_19identity_decomposerEEEEE10hipError_tT0_T1_T2_jT3_P12ihipStream_tbPNSt15iterator_traitsISK_E10value_typeEPNSQ_ISL_E10value_typeEPSM_NS1_7vsmem_tEENKUlT_SK_SL_SM_E_clISE_PtSF_SF_EESJ_SZ_SK_SL_SM_EUlSZ_E0_NS1_11comp_targetILNS1_3genE10ELNS1_11target_archE1201ELNS1_3gpuE5ELNS1_3repE0EEENS1_38merge_mergepath_config_static_selectorELNS0_4arch9wavefront6targetE1EEEvSL_
	.p2align	8
	.type	_ZN7rocprim17ROCPRIM_400000_NS6detail17trampoline_kernelINS0_14default_configENS1_38merge_sort_block_merge_config_selectorItNS0_10empty_typeEEEZZNS1_27merge_sort_block_merge_implIS3_N6thrust23THRUST_200600_302600_NS6detail15normal_iteratorINS9_10device_ptrItEEEEPS5_jNS1_19radix_merge_compareILb0ELb0EtNS0_19identity_decomposerEEEEE10hipError_tT0_T1_T2_jT3_P12ihipStream_tbPNSt15iterator_traitsISK_E10value_typeEPNSQ_ISL_E10value_typeEPSM_NS1_7vsmem_tEENKUlT_SK_SL_SM_E_clISE_PtSF_SF_EESJ_SZ_SK_SL_SM_EUlSZ_E0_NS1_11comp_targetILNS1_3genE10ELNS1_11target_archE1201ELNS1_3gpuE5ELNS1_3repE0EEENS1_38merge_mergepath_config_static_selectorELNS0_4arch9wavefront6targetE1EEEvSL_,@function
_ZN7rocprim17ROCPRIM_400000_NS6detail17trampoline_kernelINS0_14default_configENS1_38merge_sort_block_merge_config_selectorItNS0_10empty_typeEEEZZNS1_27merge_sort_block_merge_implIS3_N6thrust23THRUST_200600_302600_NS6detail15normal_iteratorINS9_10device_ptrItEEEEPS5_jNS1_19radix_merge_compareILb0ELb0EtNS0_19identity_decomposerEEEEE10hipError_tT0_T1_T2_jT3_P12ihipStream_tbPNSt15iterator_traitsISK_E10value_typeEPNSQ_ISL_E10value_typeEPSM_NS1_7vsmem_tEENKUlT_SK_SL_SM_E_clISE_PtSF_SF_EESJ_SZ_SK_SL_SM_EUlSZ_E0_NS1_11comp_targetILNS1_3genE10ELNS1_11target_archE1201ELNS1_3gpuE5ELNS1_3repE0EEENS1_38merge_mergepath_config_static_selectorELNS0_4arch9wavefront6targetE1EEEvSL_: ; @_ZN7rocprim17ROCPRIM_400000_NS6detail17trampoline_kernelINS0_14default_configENS1_38merge_sort_block_merge_config_selectorItNS0_10empty_typeEEEZZNS1_27merge_sort_block_merge_implIS3_N6thrust23THRUST_200600_302600_NS6detail15normal_iteratorINS9_10device_ptrItEEEEPS5_jNS1_19radix_merge_compareILb0ELb0EtNS0_19identity_decomposerEEEEE10hipError_tT0_T1_T2_jT3_P12ihipStream_tbPNSt15iterator_traitsISK_E10value_typeEPNSQ_ISL_E10value_typeEPSM_NS1_7vsmem_tEENKUlT_SK_SL_SM_E_clISE_PtSF_SF_EESJ_SZ_SK_SL_SM_EUlSZ_E0_NS1_11comp_targetILNS1_3genE10ELNS1_11target_archE1201ELNS1_3gpuE5ELNS1_3repE0EEENS1_38merge_mergepath_config_static_selectorELNS0_4arch9wavefront6targetE1EEEvSL_
; %bb.0:
	.section	.rodata,"a",@progbits
	.p2align	6, 0x0
	.amdhsa_kernel _ZN7rocprim17ROCPRIM_400000_NS6detail17trampoline_kernelINS0_14default_configENS1_38merge_sort_block_merge_config_selectorItNS0_10empty_typeEEEZZNS1_27merge_sort_block_merge_implIS3_N6thrust23THRUST_200600_302600_NS6detail15normal_iteratorINS9_10device_ptrItEEEEPS5_jNS1_19radix_merge_compareILb0ELb0EtNS0_19identity_decomposerEEEEE10hipError_tT0_T1_T2_jT3_P12ihipStream_tbPNSt15iterator_traitsISK_E10value_typeEPNSQ_ISL_E10value_typeEPSM_NS1_7vsmem_tEENKUlT_SK_SL_SM_E_clISE_PtSF_SF_EESJ_SZ_SK_SL_SM_EUlSZ_E0_NS1_11comp_targetILNS1_3genE10ELNS1_11target_archE1201ELNS1_3gpuE5ELNS1_3repE0EEENS1_38merge_mergepath_config_static_selectorELNS0_4arch9wavefront6targetE1EEEvSL_
		.amdhsa_group_segment_fixed_size 0
		.amdhsa_private_segment_fixed_size 0
		.amdhsa_kernarg_size 64
		.amdhsa_user_sgpr_count 2
		.amdhsa_user_sgpr_dispatch_ptr 0
		.amdhsa_user_sgpr_queue_ptr 0
		.amdhsa_user_sgpr_kernarg_segment_ptr 1
		.amdhsa_user_sgpr_dispatch_id 0
		.amdhsa_user_sgpr_kernarg_preload_length 0
		.amdhsa_user_sgpr_kernarg_preload_offset 0
		.amdhsa_user_sgpr_private_segment_size 0
		.amdhsa_uses_dynamic_stack 0
		.amdhsa_enable_private_segment 0
		.amdhsa_system_sgpr_workgroup_id_x 1
		.amdhsa_system_sgpr_workgroup_id_y 0
		.amdhsa_system_sgpr_workgroup_id_z 0
		.amdhsa_system_sgpr_workgroup_info 0
		.amdhsa_system_vgpr_workitem_id 0
		.amdhsa_next_free_vgpr 1
		.amdhsa_next_free_sgpr 0
		.amdhsa_accum_offset 4
		.amdhsa_reserve_vcc 0
		.amdhsa_float_round_mode_32 0
		.amdhsa_float_round_mode_16_64 0
		.amdhsa_float_denorm_mode_32 3
		.amdhsa_float_denorm_mode_16_64 3
		.amdhsa_dx10_clamp 1
		.amdhsa_ieee_mode 1
		.amdhsa_fp16_overflow 0
		.amdhsa_tg_split 0
		.amdhsa_exception_fp_ieee_invalid_op 0
		.amdhsa_exception_fp_denorm_src 0
		.amdhsa_exception_fp_ieee_div_zero 0
		.amdhsa_exception_fp_ieee_overflow 0
		.amdhsa_exception_fp_ieee_underflow 0
		.amdhsa_exception_fp_ieee_inexact 0
		.amdhsa_exception_int_div_zero 0
	.end_amdhsa_kernel
	.section	.text._ZN7rocprim17ROCPRIM_400000_NS6detail17trampoline_kernelINS0_14default_configENS1_38merge_sort_block_merge_config_selectorItNS0_10empty_typeEEEZZNS1_27merge_sort_block_merge_implIS3_N6thrust23THRUST_200600_302600_NS6detail15normal_iteratorINS9_10device_ptrItEEEEPS5_jNS1_19radix_merge_compareILb0ELb0EtNS0_19identity_decomposerEEEEE10hipError_tT0_T1_T2_jT3_P12ihipStream_tbPNSt15iterator_traitsISK_E10value_typeEPNSQ_ISL_E10value_typeEPSM_NS1_7vsmem_tEENKUlT_SK_SL_SM_E_clISE_PtSF_SF_EESJ_SZ_SK_SL_SM_EUlSZ_E0_NS1_11comp_targetILNS1_3genE10ELNS1_11target_archE1201ELNS1_3gpuE5ELNS1_3repE0EEENS1_38merge_mergepath_config_static_selectorELNS0_4arch9wavefront6targetE1EEEvSL_,"axG",@progbits,_ZN7rocprim17ROCPRIM_400000_NS6detail17trampoline_kernelINS0_14default_configENS1_38merge_sort_block_merge_config_selectorItNS0_10empty_typeEEEZZNS1_27merge_sort_block_merge_implIS3_N6thrust23THRUST_200600_302600_NS6detail15normal_iteratorINS9_10device_ptrItEEEEPS5_jNS1_19radix_merge_compareILb0ELb0EtNS0_19identity_decomposerEEEEE10hipError_tT0_T1_T2_jT3_P12ihipStream_tbPNSt15iterator_traitsISK_E10value_typeEPNSQ_ISL_E10value_typeEPSM_NS1_7vsmem_tEENKUlT_SK_SL_SM_E_clISE_PtSF_SF_EESJ_SZ_SK_SL_SM_EUlSZ_E0_NS1_11comp_targetILNS1_3genE10ELNS1_11target_archE1201ELNS1_3gpuE5ELNS1_3repE0EEENS1_38merge_mergepath_config_static_selectorELNS0_4arch9wavefront6targetE1EEEvSL_,comdat
.Lfunc_end1239:
	.size	_ZN7rocprim17ROCPRIM_400000_NS6detail17trampoline_kernelINS0_14default_configENS1_38merge_sort_block_merge_config_selectorItNS0_10empty_typeEEEZZNS1_27merge_sort_block_merge_implIS3_N6thrust23THRUST_200600_302600_NS6detail15normal_iteratorINS9_10device_ptrItEEEEPS5_jNS1_19radix_merge_compareILb0ELb0EtNS0_19identity_decomposerEEEEE10hipError_tT0_T1_T2_jT3_P12ihipStream_tbPNSt15iterator_traitsISK_E10value_typeEPNSQ_ISL_E10value_typeEPSM_NS1_7vsmem_tEENKUlT_SK_SL_SM_E_clISE_PtSF_SF_EESJ_SZ_SK_SL_SM_EUlSZ_E0_NS1_11comp_targetILNS1_3genE10ELNS1_11target_archE1201ELNS1_3gpuE5ELNS1_3repE0EEENS1_38merge_mergepath_config_static_selectorELNS0_4arch9wavefront6targetE1EEEvSL_, .Lfunc_end1239-_ZN7rocprim17ROCPRIM_400000_NS6detail17trampoline_kernelINS0_14default_configENS1_38merge_sort_block_merge_config_selectorItNS0_10empty_typeEEEZZNS1_27merge_sort_block_merge_implIS3_N6thrust23THRUST_200600_302600_NS6detail15normal_iteratorINS9_10device_ptrItEEEEPS5_jNS1_19radix_merge_compareILb0ELb0EtNS0_19identity_decomposerEEEEE10hipError_tT0_T1_T2_jT3_P12ihipStream_tbPNSt15iterator_traitsISK_E10value_typeEPNSQ_ISL_E10value_typeEPSM_NS1_7vsmem_tEENKUlT_SK_SL_SM_E_clISE_PtSF_SF_EESJ_SZ_SK_SL_SM_EUlSZ_E0_NS1_11comp_targetILNS1_3genE10ELNS1_11target_archE1201ELNS1_3gpuE5ELNS1_3repE0EEENS1_38merge_mergepath_config_static_selectorELNS0_4arch9wavefront6targetE1EEEvSL_
                                        ; -- End function
	.section	.AMDGPU.csdata,"",@progbits
; Kernel info:
; codeLenInByte = 0
; NumSgprs: 6
; NumVgprs: 0
; NumAgprs: 0
; TotalNumVgprs: 0
; ScratchSize: 0
; MemoryBound: 0
; FloatMode: 240
; IeeeMode: 1
; LDSByteSize: 0 bytes/workgroup (compile time only)
; SGPRBlocks: 0
; VGPRBlocks: 0
; NumSGPRsForWavesPerEU: 6
; NumVGPRsForWavesPerEU: 1
; AccumOffset: 4
; Occupancy: 8
; WaveLimiterHint : 0
; COMPUTE_PGM_RSRC2:SCRATCH_EN: 0
; COMPUTE_PGM_RSRC2:USER_SGPR: 2
; COMPUTE_PGM_RSRC2:TRAP_HANDLER: 0
; COMPUTE_PGM_RSRC2:TGID_X_EN: 1
; COMPUTE_PGM_RSRC2:TGID_Y_EN: 0
; COMPUTE_PGM_RSRC2:TGID_Z_EN: 0
; COMPUTE_PGM_RSRC2:TIDIG_COMP_CNT: 0
; COMPUTE_PGM_RSRC3_GFX90A:ACCUM_OFFSET: 0
; COMPUTE_PGM_RSRC3_GFX90A:TG_SPLIT: 0
	.section	.text._ZN7rocprim17ROCPRIM_400000_NS6detail17trampoline_kernelINS0_14default_configENS1_38merge_sort_block_merge_config_selectorItNS0_10empty_typeEEEZZNS1_27merge_sort_block_merge_implIS3_N6thrust23THRUST_200600_302600_NS6detail15normal_iteratorINS9_10device_ptrItEEEEPS5_jNS1_19radix_merge_compareILb0ELb0EtNS0_19identity_decomposerEEEEE10hipError_tT0_T1_T2_jT3_P12ihipStream_tbPNSt15iterator_traitsISK_E10value_typeEPNSQ_ISL_E10value_typeEPSM_NS1_7vsmem_tEENKUlT_SK_SL_SM_E_clISE_PtSF_SF_EESJ_SZ_SK_SL_SM_EUlSZ_E0_NS1_11comp_targetILNS1_3genE5ELNS1_11target_archE942ELNS1_3gpuE9ELNS1_3repE0EEENS1_38merge_mergepath_config_static_selectorELNS0_4arch9wavefront6targetE1EEEvSL_,"axG",@progbits,_ZN7rocprim17ROCPRIM_400000_NS6detail17trampoline_kernelINS0_14default_configENS1_38merge_sort_block_merge_config_selectorItNS0_10empty_typeEEEZZNS1_27merge_sort_block_merge_implIS3_N6thrust23THRUST_200600_302600_NS6detail15normal_iteratorINS9_10device_ptrItEEEEPS5_jNS1_19radix_merge_compareILb0ELb0EtNS0_19identity_decomposerEEEEE10hipError_tT0_T1_T2_jT3_P12ihipStream_tbPNSt15iterator_traitsISK_E10value_typeEPNSQ_ISL_E10value_typeEPSM_NS1_7vsmem_tEENKUlT_SK_SL_SM_E_clISE_PtSF_SF_EESJ_SZ_SK_SL_SM_EUlSZ_E0_NS1_11comp_targetILNS1_3genE5ELNS1_11target_archE942ELNS1_3gpuE9ELNS1_3repE0EEENS1_38merge_mergepath_config_static_selectorELNS0_4arch9wavefront6targetE1EEEvSL_,comdat
	.protected	_ZN7rocprim17ROCPRIM_400000_NS6detail17trampoline_kernelINS0_14default_configENS1_38merge_sort_block_merge_config_selectorItNS0_10empty_typeEEEZZNS1_27merge_sort_block_merge_implIS3_N6thrust23THRUST_200600_302600_NS6detail15normal_iteratorINS9_10device_ptrItEEEEPS5_jNS1_19radix_merge_compareILb0ELb0EtNS0_19identity_decomposerEEEEE10hipError_tT0_T1_T2_jT3_P12ihipStream_tbPNSt15iterator_traitsISK_E10value_typeEPNSQ_ISL_E10value_typeEPSM_NS1_7vsmem_tEENKUlT_SK_SL_SM_E_clISE_PtSF_SF_EESJ_SZ_SK_SL_SM_EUlSZ_E0_NS1_11comp_targetILNS1_3genE5ELNS1_11target_archE942ELNS1_3gpuE9ELNS1_3repE0EEENS1_38merge_mergepath_config_static_selectorELNS0_4arch9wavefront6targetE1EEEvSL_ ; -- Begin function _ZN7rocprim17ROCPRIM_400000_NS6detail17trampoline_kernelINS0_14default_configENS1_38merge_sort_block_merge_config_selectorItNS0_10empty_typeEEEZZNS1_27merge_sort_block_merge_implIS3_N6thrust23THRUST_200600_302600_NS6detail15normal_iteratorINS9_10device_ptrItEEEEPS5_jNS1_19radix_merge_compareILb0ELb0EtNS0_19identity_decomposerEEEEE10hipError_tT0_T1_T2_jT3_P12ihipStream_tbPNSt15iterator_traitsISK_E10value_typeEPNSQ_ISL_E10value_typeEPSM_NS1_7vsmem_tEENKUlT_SK_SL_SM_E_clISE_PtSF_SF_EESJ_SZ_SK_SL_SM_EUlSZ_E0_NS1_11comp_targetILNS1_3genE5ELNS1_11target_archE942ELNS1_3gpuE9ELNS1_3repE0EEENS1_38merge_mergepath_config_static_selectorELNS0_4arch9wavefront6targetE1EEEvSL_
	.globl	_ZN7rocprim17ROCPRIM_400000_NS6detail17trampoline_kernelINS0_14default_configENS1_38merge_sort_block_merge_config_selectorItNS0_10empty_typeEEEZZNS1_27merge_sort_block_merge_implIS3_N6thrust23THRUST_200600_302600_NS6detail15normal_iteratorINS9_10device_ptrItEEEEPS5_jNS1_19radix_merge_compareILb0ELb0EtNS0_19identity_decomposerEEEEE10hipError_tT0_T1_T2_jT3_P12ihipStream_tbPNSt15iterator_traitsISK_E10value_typeEPNSQ_ISL_E10value_typeEPSM_NS1_7vsmem_tEENKUlT_SK_SL_SM_E_clISE_PtSF_SF_EESJ_SZ_SK_SL_SM_EUlSZ_E0_NS1_11comp_targetILNS1_3genE5ELNS1_11target_archE942ELNS1_3gpuE9ELNS1_3repE0EEENS1_38merge_mergepath_config_static_selectorELNS0_4arch9wavefront6targetE1EEEvSL_
	.p2align	8
	.type	_ZN7rocprim17ROCPRIM_400000_NS6detail17trampoline_kernelINS0_14default_configENS1_38merge_sort_block_merge_config_selectorItNS0_10empty_typeEEEZZNS1_27merge_sort_block_merge_implIS3_N6thrust23THRUST_200600_302600_NS6detail15normal_iteratorINS9_10device_ptrItEEEEPS5_jNS1_19radix_merge_compareILb0ELb0EtNS0_19identity_decomposerEEEEE10hipError_tT0_T1_T2_jT3_P12ihipStream_tbPNSt15iterator_traitsISK_E10value_typeEPNSQ_ISL_E10value_typeEPSM_NS1_7vsmem_tEENKUlT_SK_SL_SM_E_clISE_PtSF_SF_EESJ_SZ_SK_SL_SM_EUlSZ_E0_NS1_11comp_targetILNS1_3genE5ELNS1_11target_archE942ELNS1_3gpuE9ELNS1_3repE0EEENS1_38merge_mergepath_config_static_selectorELNS0_4arch9wavefront6targetE1EEEvSL_,@function
_ZN7rocprim17ROCPRIM_400000_NS6detail17trampoline_kernelINS0_14default_configENS1_38merge_sort_block_merge_config_selectorItNS0_10empty_typeEEEZZNS1_27merge_sort_block_merge_implIS3_N6thrust23THRUST_200600_302600_NS6detail15normal_iteratorINS9_10device_ptrItEEEEPS5_jNS1_19radix_merge_compareILb0ELb0EtNS0_19identity_decomposerEEEEE10hipError_tT0_T1_T2_jT3_P12ihipStream_tbPNSt15iterator_traitsISK_E10value_typeEPNSQ_ISL_E10value_typeEPSM_NS1_7vsmem_tEENKUlT_SK_SL_SM_E_clISE_PtSF_SF_EESJ_SZ_SK_SL_SM_EUlSZ_E0_NS1_11comp_targetILNS1_3genE5ELNS1_11target_archE942ELNS1_3gpuE9ELNS1_3repE0EEENS1_38merge_mergepath_config_static_selectorELNS0_4arch9wavefront6targetE1EEEvSL_: ; @_ZN7rocprim17ROCPRIM_400000_NS6detail17trampoline_kernelINS0_14default_configENS1_38merge_sort_block_merge_config_selectorItNS0_10empty_typeEEEZZNS1_27merge_sort_block_merge_implIS3_N6thrust23THRUST_200600_302600_NS6detail15normal_iteratorINS9_10device_ptrItEEEEPS5_jNS1_19radix_merge_compareILb0ELb0EtNS0_19identity_decomposerEEEEE10hipError_tT0_T1_T2_jT3_P12ihipStream_tbPNSt15iterator_traitsISK_E10value_typeEPNSQ_ISL_E10value_typeEPSM_NS1_7vsmem_tEENKUlT_SK_SL_SM_E_clISE_PtSF_SF_EESJ_SZ_SK_SL_SM_EUlSZ_E0_NS1_11comp_targetILNS1_3genE5ELNS1_11target_archE942ELNS1_3gpuE9ELNS1_3repE0EEENS1_38merge_mergepath_config_static_selectorELNS0_4arch9wavefront6targetE1EEEvSL_
; %bb.0:
	s_load_dwordx2 s[12:13], s[0:1], 0x40
	s_load_dword s5, s[0:1], 0x30
	s_add_u32 s8, s0, 64
	s_addc_u32 s9, s1, 0
	s_waitcnt lgkmcnt(0)
	s_mul_i32 s4, s13, s4
	s_add_i32 s3, s4, s3
	s_mul_i32 s3, s3, s12
	s_add_i32 s10, s3, s2
	s_cmp_ge_u32 s10, s5
	s_cbranch_scc1 .LBB1240_43
; %bb.1:
	s_load_dwordx2 s[14:15], s[0:1], 0x28
	s_load_dwordx2 s[4:5], s[0:1], 0x38
	;; [unrolled: 1-line block ×3, first 2 shown]
	s_mov_b32 s11, 0
	v_mov_b32_e32 v3, 0
	s_waitcnt lgkmcnt(0)
	s_lshr_b32 s22, s14, 10
	s_cmp_lg_u32 s10, s22
	s_cselect_b64 s[18:19], -1, 0
	s_lshl_b64 s[16:17], s[10:11], 2
	s_add_u32 s4, s4, s16
	s_addc_u32 s5, s5, s17
	s_lshr_b32 s3, s15, 9
	s_and_b32 s3, s3, 0x7ffffe
	s_load_dwordx2 s[4:5], s[4:5], 0x0
	s_sub_i32 s3, 0, s3
	s_and_b32 s13, s10, s3
	s_lshl_b32 s17, s13, 10
	s_lshl_b32 s16, s10, 10
	;; [unrolled: 1-line block ×3, first 2 shown]
	s_sub_i32 s20, s16, s17
	s_add_i32 s13, s13, s15
	s_add_i32 s21, s13, s20
	s_waitcnt lgkmcnt(0)
	s_sub_i32 s20, s21, s4
	s_sub_i32 s21, s21, s5
	;; [unrolled: 1-line block ×3, first 2 shown]
	s_min_u32 s20, s14, s20
	s_addk_i32 s21, 0x400
	s_or_b32 s3, s10, s3
	s_min_u32 s17, s14, s13
	s_add_i32 s13, s13, s15
	s_cmp_eq_u32 s3, -1
	s_cselect_b32 s3, s13, s21
	s_cselect_b32 s5, s17, s5
	s_min_u32 s3, s3, s14
	s_sub_i32 s15, s5, s4
	s_mov_b32 s5, s11
	s_sub_i32 s13, s3, s20
	s_lshl_b64 s[4:5], s[4:5], 1
	s_add_u32 s4, s6, s4
	s_mov_b32 s21, s11
	s_addc_u32 s5, s7, s5
	s_lshl_b64 s[20:21], s[20:21], 1
	s_add_u32 s6, s6, s20
	s_addc_u32 s7, s7, s21
	s_cmp_lt_u32 s2, s12
	s_cselect_b32 s2, 12, 18
	global_load_dword v1, v3, s[8:9] offset:14
	s_add_u32 s2, s8, s2
	s_addc_u32 s3, s9, 0
	global_load_ushort v2, v3, s[2:3]
	s_cmp_eq_u32 s10, s22
	v_lshlrev_b32_e32 v6, 1, v0
	s_waitcnt vmcnt(1)
	v_lshrrev_b32_e32 v4, 16, v1
	v_and_b32_e32 v1, 0xffff, v1
	v_mul_lo_u32 v1, v1, v4
	s_waitcnt vmcnt(0)
	v_mul_lo_u32 v1, v1, v2
	v_add_u32_e32 v10, v1, v0
	v_add_u32_e32 v8, v10, v1
	s_cbranch_scc1 .LBB1240_3
; %bb.2:
	v_subrev_u32_e32 v2, s15, v0
	v_mov_b32_e32 v7, v3
	v_lshl_add_u64 v[4:5], v[2:3], 1, s[6:7]
	v_lshl_add_u64 v[12:13], s[4:5], 0, v[6:7]
	v_cmp_gt_u32_e32 vcc, s15, v0
	v_subrev_u32_e32 v2, s15, v10
	v_mov_b32_e32 v11, v3
	v_cndmask_b32_e32 v5, v5, v13, vcc
	v_cndmask_b32_e32 v4, v4, v12, vcc
	global_load_ushort v7, v[4:5], off
	v_lshl_add_u64 v[4:5], v[2:3], 1, s[6:7]
	v_lshl_add_u64 v[12:13], v[10:11], 1, s[4:5]
	v_cmp_gt_u32_e32 vcc, s15, v10
	v_subrev_u32_e32 v2, s15, v8
	v_mov_b32_e32 v9, v3
	v_cndmask_b32_e32 v5, v5, v13, vcc
	v_cndmask_b32_e32 v4, v4, v12, vcc
	global_load_ushort v11, v[4:5], off
	v_lshl_add_u64 v[4:5], v[2:3], 1, s[6:7]
	v_lshl_add_u64 v[12:13], v[8:9], 1, s[4:5]
	v_cmp_gt_u32_e32 vcc, s15, v8
	s_mov_b32 s2, 0x5040100
	s_add_i32 s10, s13, s15
	v_cndmask_b32_e32 v5, v5, v13, vcc
	v_cndmask_b32_e32 v4, v4, v12, vcc
	global_load_ushort v9, v[4:5], off
	v_add_u32_e32 v4, v8, v1
	v_subrev_u32_e32 v2, s15, v4
	v_mov_b32_e32 v5, v3
	v_lshl_add_u64 v[12:13], v[2:3], 1, s[6:7]
	v_lshl_add_u64 v[14:15], v[4:5], 1, s[4:5]
	v_cmp_gt_u32_e32 vcc, s15, v4
	v_add_u32_e32 v4, v4, v1
	v_subrev_u32_e32 v2, s15, v4
	v_cndmask_b32_e32 v13, v13, v15, vcc
	v_cndmask_b32_e32 v12, v12, v14, vcc
	global_load_ushort v16, v[12:13], off
	v_lshl_add_u64 v[12:13], v[2:3], 1, s[6:7]
	v_lshl_add_u64 v[14:15], v[4:5], 1, s[4:5]
	v_cmp_gt_u32_e32 vcc, s15, v4
	v_add_u32_e32 v4, v4, v1
	v_subrev_u32_e32 v2, s15, v4
	v_cndmask_b32_e32 v13, v13, v15, vcc
	v_cndmask_b32_e32 v12, v12, v14, vcc
	global_load_ushort v17, v[12:13], off
	;; [unrolled: 8-line block ×3, first 2 shown]
	v_lshl_add_u64 v[12:13], v[2:3], 1, s[6:7]
	v_lshl_add_u64 v[2:3], v[4:5], 1, s[4:5]
	v_cmp_gt_u32_e32 vcc, s15, v4
	s_nop 1
	v_cndmask_b32_e32 v3, v13, v3, vcc
	v_cndmask_b32_e32 v2, v12, v2, vcc
	global_load_ushort v5, v[2:3], off
	v_add_u32_e32 v12, v4, v1
	s_waitcnt vmcnt(5)
	v_perm_b32 v2, v11, v7, s2
	s_waitcnt vmcnt(3)
	v_perm_b32 v3, v16, v9, s2
	;; [unrolled: 2-line block ×3, first 2 shown]
	s_mov_b64 s[2:3], -1
	s_cbranch_execz .LBB1240_4
	s_branch .LBB1240_17
.LBB1240_3:
	s_mov_b64 s[2:3], 0
                                        ; implicit-def: $vgpr12
                                        ; implicit-def: $vgpr2_vgpr3_vgpr4_vgpr5
                                        ; implicit-def: $sgpr10
.LBB1240_4:
	s_add_i32 s10, s13, s15
	v_cmp_gt_u32_e32 vcc, s10, v0
                                        ; implicit-def: $vgpr2_vgpr3_vgpr4_vgpr5
	s_and_saveexec_b64 s[2:3], vcc
	s_cbranch_execnz .LBB1240_44
; %bb.5:
	s_or_b64 exec, exec, s[2:3]
	v_cmp_gt_u32_e32 vcc, s10, v10
	s_and_saveexec_b64 s[2:3], vcc
	s_cbranch_execnz .LBB1240_45
.LBB1240_6:
	s_or_b64 exec, exec, s[2:3]
	v_cmp_gt_u32_e32 vcc, s10, v8
	s_and_saveexec_b64 s[2:3], vcc
	s_cbranch_execz .LBB1240_8
.LBB1240_7:
	v_mov_b32_e32 v9, 0
	v_subrev_u32_e32 v12, s15, v8
	v_mov_b32_e32 v13, v9
	v_lshl_add_u64 v[10:11], v[8:9], 1, s[4:5]
	v_lshl_add_u64 v[12:13], v[12:13], 1, s[6:7]
	v_cmp_gt_u32_e32 vcc, s15, v8
	s_mov_b32 s8, 0xffff
	s_nop 0
	v_cndmask_b32_e32 v11, v13, v11, vcc
	v_cndmask_b32_e32 v10, v12, v10, vcc
	global_load_ushort v7, v[10:11], off
	s_waitcnt vmcnt(0)
	v_bfi_b32 v3, s8, v7, v3
.LBB1240_8:
	s_or_b64 exec, exec, s[2:3]
	v_add_u32_e32 v8, v8, v1
	v_cmp_gt_u32_e32 vcc, s10, v8
	s_and_saveexec_b64 s[2:3], vcc
	s_cbranch_execz .LBB1240_10
; %bb.9:
	v_mov_b32_e32 v9, 0
	v_subrev_u32_e32 v12, s15, v8
	v_mov_b32_e32 v13, v9
	v_lshl_add_u64 v[10:11], v[8:9], 1, s[4:5]
	v_lshl_add_u64 v[12:13], v[12:13], 1, s[6:7]
	v_cmp_gt_u32_e32 vcc, s15, v8
	s_mov_b32 s8, 0x5040100
	s_nop 0
	v_cndmask_b32_e32 v11, v13, v11, vcc
	v_cndmask_b32_e32 v10, v12, v10, vcc
	global_load_ushort v7, v[10:11], off
	s_waitcnt vmcnt(0)
	v_perm_b32 v3, v7, v3, s8
.LBB1240_10:
	s_or_b64 exec, exec, s[2:3]
	v_add_u32_e32 v8, v8, v1
	v_cmp_gt_u32_e32 vcc, s10, v8
	s_and_saveexec_b64 s[2:3], vcc
	s_cbranch_execz .LBB1240_12
; %bb.11:
	v_mov_b32_e32 v9, 0
	v_subrev_u32_e32 v12, s15, v8
	v_mov_b32_e32 v13, v9
	v_lshl_add_u64 v[10:11], v[8:9], 1, s[4:5]
	v_lshl_add_u64 v[12:13], v[12:13], 1, s[6:7]
	v_cmp_gt_u32_e32 vcc, s15, v8
	s_mov_b32 s8, 0xffff
	s_nop 0
	v_cndmask_b32_e32 v11, v13, v11, vcc
	v_cndmask_b32_e32 v10, v12, v10, vcc
	global_load_ushort v7, v[10:11], off
	s_waitcnt vmcnt(0)
	v_bfi_b32 v4, s8, v7, v4
.LBB1240_12:
	s_or_b64 exec, exec, s[2:3]
	v_add_u32_e32 v8, v8, v1
	v_cmp_gt_u32_e32 vcc, s10, v8
	s_and_saveexec_b64 s[2:3], vcc
	s_cbranch_execz .LBB1240_14
; %bb.13:
	v_mov_b32_e32 v9, 0
	v_subrev_u32_e32 v12, s15, v8
	v_mov_b32_e32 v13, v9
	v_lshl_add_u64 v[10:11], v[8:9], 1, s[4:5]
	v_lshl_add_u64 v[12:13], v[12:13], 1, s[6:7]
	v_cmp_gt_u32_e32 vcc, s15, v8
	s_mov_b32 s8, 0x5040100
	s_nop 0
	v_cndmask_b32_e32 v11, v13, v11, vcc
	v_cndmask_b32_e32 v10, v12, v10, vcc
	global_load_ushort v7, v[10:11], off
	s_waitcnt vmcnt(0)
	v_perm_b32 v4, v7, v4, s8
.LBB1240_14:
	s_or_b64 exec, exec, s[2:3]
	v_add_u32_e32 v8, v8, v1
	v_cmp_gt_u32_e32 vcc, s10, v8
	s_and_saveexec_b64 s[2:3], vcc
	s_cbranch_execz .LBB1240_16
; %bb.15:
	v_mov_b32_e32 v9, 0
	v_subrev_u32_e32 v12, s15, v8
	v_mov_b32_e32 v13, v9
	v_lshl_add_u64 v[10:11], v[8:9], 1, s[4:5]
	v_lshl_add_u64 v[12:13], v[12:13], 1, s[6:7]
	v_cmp_gt_u32_e32 vcc, s15, v8
	s_mov_b32 s8, 0xffff
	s_nop 0
	v_cndmask_b32_e32 v11, v13, v11, vcc
	v_cndmask_b32_e32 v10, v12, v10, vcc
	global_load_ushort v7, v[10:11], off
	s_waitcnt vmcnt(0)
	v_bfi_b32 v5, s8, v7, v5
.LBB1240_16:
	s_or_b64 exec, exec, s[2:3]
	v_add_u32_e32 v12, v8, v1
	v_cmp_gt_u32_e64 s[2:3], s10, v12
.LBB1240_17:
	v_mov_b32_e32 v7, s10
	s_and_saveexec_b64 s[8:9], s[2:3]
	s_cbranch_execz .LBB1240_19
; %bb.18:
	v_mov_b32_e32 v9, 0
	v_subrev_u32_e32 v8, s15, v12
	v_mov_b32_e32 v13, v9
	v_lshl_add_u64 v[10:11], v[8:9], 1, s[6:7]
	v_lshl_add_u64 v[8:9], v[12:13], 1, s[4:5]
	v_cmp_gt_u32_e32 vcc, s15, v12
	s_mov_b32 s2, 0x5040100
	v_mov_b32_e32 v7, s10
	v_cndmask_b32_e32 v9, v11, v9, vcc
	v_cndmask_b32_e32 v8, v10, v8, vcc
	global_load_ushort v1, v[8:9], off
	s_waitcnt vmcnt(0)
	v_perm_b32 v5, v1, v5, s2
.LBB1240_19:
	s_or_b64 exec, exec, s[8:9]
	s_load_dwordx2 s[20:21], s[0:1], 0x10
	v_lshlrev_b32_e32 v1, 3, v0
	v_min_u32_e32 v13, v7, v1
	v_sub_u32_e64 v12, v13, s13 clamp
	v_min_u32_e32 v14, s15, v13
	s_waitcnt vmcnt(0)
	v_lshrrev_b32_e32 v8, 16, v2
	v_lshrrev_b32_e32 v9, 16, v3
	;; [unrolled: 1-line block ×4, first 2 shown]
	v_cmp_lt_u32_e32 vcc, v12, v14
	ds_write_b16 v6, v2
	ds_write_b16 v6, v8 offset:256
	ds_write_b16 v6, v3 offset:512
	;; [unrolled: 1-line block ×7, first 2 shown]
	s_waitcnt lgkmcnt(0)
	s_barrier
	s_and_saveexec_b64 s[0:1], vcc
	s_cbranch_execz .LBB1240_23
; %bb.20:
	v_lshlrev_b32_e32 v15, 1, v13
	v_lshl_add_u32 v15, s15, 1, v15
	s_mov_b64 s[2:3], 0
.LBB1240_21:                            ; =>This Inner Loop Header: Depth=1
	v_add_u32_e32 v16, v14, v12
	v_lshrrev_b32_e32 v17, 1, v16
	v_not_b32_e32 v18, v17
	v_and_b32_e32 v16, -2, v16
	v_lshl_add_u32 v18, v18, 1, v15
	ds_read_u16 v16, v16
	ds_read_u16 v18, v18
	v_add_u32_e32 v19, 1, v17
	s_waitcnt lgkmcnt(0)
	v_cmp_gt_u16_e32 vcc, v16, v18
	s_nop 1
	v_cndmask_b32_e32 v14, v14, v17, vcc
	v_cndmask_b32_e32 v12, v19, v12, vcc
	v_cmp_ge_u32_e32 vcc, v12, v14
	s_or_b64 s[2:3], vcc, s[2:3]
	s_andn2_b64 exec, exec, s[2:3]
	s_cbranch_execnz .LBB1240_21
; %bb.22:
	s_or_b64 exec, exec, s[2:3]
.LBB1240_23:
	s_or_b64 exec, exec, s[0:1]
	v_sub_u32_e32 v13, v13, v12
	v_add_u32_e32 v13, s15, v13
	v_cmp_ge_u32_e32 vcc, s15, v12
	v_cmp_le_u32_e64 s[0:1], v13, v7
	s_or_b64 s[0:1], vcc, s[0:1]
	s_and_saveexec_b64 s[22:23], s[0:1]
	s_cbranch_execz .LBB1240_29
; %bb.24:
	v_cmp_gt_u32_e32 vcc, s15, v12
                                        ; implicit-def: $vgpr2
	s_and_saveexec_b64 s[0:1], vcc
	s_cbranch_execz .LBB1240_26
; %bb.25:
	v_lshlrev_b32_e32 v2, 1, v12
	ds_read_u16 v2, v2
.LBB1240_26:
	s_or_b64 exec, exec, s[0:1]
	v_cmp_ge_u32_e64 s[0:1], v13, v7
	v_cmp_lt_u32_e64 s[2:3], v13, v7
                                        ; implicit-def: $vgpr3
	s_and_saveexec_b64 s[4:5], s[2:3]
	s_cbranch_execz .LBB1240_28
; %bb.27:
	v_lshlrev_b32_e32 v3, 1, v13
	ds_read_u16 v3, v3
.LBB1240_28:
	s_or_b64 exec, exec, s[4:5]
	s_waitcnt lgkmcnt(0)
	v_cmp_le_u16_e64 s[2:3], v2, v3
	s_and_b64 s[2:3], vcc, s[2:3]
	s_or_b64 vcc, s[0:1], s[2:3]
	v_mov_b32_e32 v5, s15
	v_cndmask_b32_e32 v4, v13, v12, vcc
	v_cndmask_b32_e32 v8, v7, v5, vcc
	v_add_u32_e32 v4, 1, v4
	v_add_u32_e32 v8, -1, v8
	v_min_u32_e32 v8, v4, v8
	v_lshlrev_b32_e32 v8, 1, v8
	ds_read_u16 v8, v8
	v_cndmask_b32_e32 v10, v4, v13, vcc
	v_cndmask_b32_e32 v4, v12, v4, vcc
	v_cmp_gt_u32_e64 s[2:3], s15, v4
	v_cmp_ge_u32_e64 s[0:1], v10, v7
	s_waitcnt lgkmcnt(0)
	v_cndmask_b32_e32 v9, v8, v3, vcc
	v_cndmask_b32_e32 v8, v2, v8, vcc
	v_cmp_le_u16_e64 s[4:5], v8, v9
	s_and_b64 s[2:3], s[2:3], s[4:5]
	s_or_b64 s[0:1], s[0:1], s[2:3]
	v_cndmask_b32_e64 v11, v10, v4, s[0:1]
	v_cndmask_b32_e64 v12, v7, v5, s[0:1]
	v_add_u32_e32 v11, 1, v11
	v_add_u32_e32 v12, -1, v12
	v_min_u32_e32 v12, v11, v12
	v_lshlrev_b32_e32 v12, 1, v12
	ds_read_u16 v12, v12
	v_cndmask_b32_e64 v4, v4, v11, s[0:1]
	v_cndmask_b32_e64 v10, v11, v10, s[0:1]
	v_cmp_gt_u32_e64 s[4:5], s15, v4
	v_cmp_ge_u32_e64 s[2:3], v10, v7
	s_waitcnt lgkmcnt(0)
	v_cndmask_b32_e64 v13, v12, v9, s[0:1]
	v_cndmask_b32_e64 v12, v8, v12, s[0:1]
	v_cmp_le_u16_e64 s[6:7], v12, v13
	s_and_b64 s[4:5], s[4:5], s[6:7]
	s_or_b64 s[2:3], s[2:3], s[4:5]
	v_cndmask_b32_e64 v11, v10, v4, s[2:3]
	v_cndmask_b32_e64 v14, v7, v5, s[2:3]
	v_add_u32_e32 v11, 1, v11
	v_add_u32_e32 v14, -1, v14
	v_min_u32_e32 v14, v11, v14
	v_lshlrev_b32_e32 v14, 1, v14
	ds_read_u16 v14, v14
	v_cndmask_b32_e64 v4, v4, v11, s[2:3]
	v_cndmask_b32_e64 v10, v11, v10, s[2:3]
	v_cmp_gt_u32_e64 s[6:7], s15, v4
	v_cmp_ge_u32_e64 s[4:5], v10, v7
	s_waitcnt lgkmcnt(0)
	v_cndmask_b32_e64 v15, v14, v13, s[2:3]
	v_cndmask_b32_e64 v14, v12, v14, s[2:3]
	;; [unrolled: 17-line block ×4, first 2 shown]
	v_cmp_le_u16_e64 s[12:13], v18, v19
	s_and_b64 s[10:11], s[10:11], s[12:13]
	s_or_b64 s[8:9], s[8:9], s[10:11]
	v_cndmask_b32_e64 v11, v10, v4, s[8:9]
	v_cndmask_b32_e64 v20, v7, v5, s[8:9]
	v_add_u32_e32 v11, 1, v11
	v_add_u32_e32 v20, -1, v20
	v_min_u32_e32 v20, v11, v20
	v_lshlrev_b32_e32 v20, 1, v20
	ds_read_u16 v20, v20
	v_cndmask_b32_e32 v2, v3, v2, vcc
	v_cndmask_b32_e64 v3, v13, v12, s[2:3]
	v_cndmask_b32_e64 v8, v9, v8, s[0:1]
	;; [unrolled: 1-line block ×3, first 2 shown]
	s_waitcnt lgkmcnt(0)
	v_cndmask_b32_e64 v12, v20, v19, s[8:9]
	v_cndmask_b32_e64 v13, v18, v20, s[8:9]
	;; [unrolled: 1-line block ×4, first 2 shown]
	v_cmp_gt_u32_e64 s[0:1], s15, v11
	v_cmp_le_u16_e64 s[2:3], v13, v12
	v_cmp_ge_u32_e32 vcc, v20, v7
	s_and_b64 s[0:1], s[0:1], s[2:3]
	s_or_b64 vcc, vcc, s[0:1]
	v_cndmask_b32_e32 v4, v20, v11, vcc
	v_cndmask_b32_e32 v5, v7, v5, vcc
	v_add_u32_e32 v21, 1, v4
	v_add_u32_e32 v4, -1, v5
	v_min_u32_e32 v4, v21, v4
	v_lshlrev_b32_e32 v4, 1, v4
	ds_read_u16 v22, v4
	v_cndmask_b32_e32 v5, v12, v13, vcc
	v_cndmask_b32_e32 v11, v11, v21, vcc
	;; [unrolled: 1-line block ×3, first 2 shown]
	v_cmp_gt_u32_e64 s[0:1], s15, v11
	s_waitcnt lgkmcnt(0)
	v_cndmask_b32_e32 v12, v22, v12, vcc
	v_cndmask_b32_e32 v13, v13, v22, vcc
	v_cmp_le_u16_e64 s[2:3], v13, v12
	v_cmp_ge_u32_e32 vcc, v14, v7
	s_and_b64 s[0:1], s[0:1], s[2:3]
	s_or_b64 vcc, vcc, s[0:1]
	v_cndmask_b32_e64 v4, v17, v16, s[6:7]
	v_cndmask_b32_e64 v10, v19, v18, s[8:9]
	v_cndmask_b32_e32 v11, v12, v13, vcc
.LBB1240_29:
	s_or_b64 exec, exec, s[22:23]
	v_lshrrev_b32_e32 v7, 2, v0
	v_and_b32_e32 v7, 30, v7
	s_mov_b32 s2, 0x5040100
	v_add_lshl_u32 v1, v7, v1, 1
	v_perm_b32 v3, v9, v3, s2
	v_perm_b32 v2, v8, v2, s2
	s_barrier
	s_barrier
	ds_write2_b32 v1, v2, v3 offset1:1
	v_perm_b32 v2, v11, v5, s2
	v_perm_b32 v3, v10, v4, s2
	ds_write2_b32 v1, v3, v2 offset0:2 offset1:3
	v_lshrrev_b32_e32 v1, 4, v0
	v_and_b32_e32 v1, 4, v1
	v_or_b32_e32 v11, 0x80, v0
	v_add_u32_e32 v12, v6, v1
	v_lshrrev_b32_e32 v1, 4, v11
	v_and_b32_e32 v1, 12, v1
	v_or_b32_e32 v10, 0x100, v0
	v_add_u32_e32 v13, v6, v1
	;; [unrolled: 4-line block ×6, first 2 shown]
	v_lshrrev_b32_e32 v1, 4, v4
	s_mov_b32 s17, 0
	v_and_b32_e32 v1, 52, v1
	s_lshl_b64 s[0:1], s[16:17], 1
	v_add_u32_e32 v18, v6, v1
	v_or_b32_e32 v1, 0x380, v0
	s_add_u32 s0, s20, s0
	v_lshrrev_b32_e32 v2, 4, v1
	s_addc_u32 s1, s21, s1
	v_and_b32_e32 v2, 60, v2
	v_mov_b32_e32 v7, 0
	v_add_u32_e32 v19, v6, v2
	v_lshl_add_u64 v[2:3], s[0:1], 0, v[6:7]
	s_and_b64 vcc, exec, s[18:19]
	s_waitcnt lgkmcnt(0)
	s_cbranch_vccz .LBB1240_31
; %bb.30:
	s_barrier
	ds_read_u16 v7, v12
	ds_read_u16 v20, v13 offset:256
	ds_read_u16 v21, v14 offset:512
	;; [unrolled: 1-line block ×7, first 2 shown]
	s_waitcnt lgkmcnt(7)
	global_store_short v[2:3], v7, off
	s_waitcnt lgkmcnt(6)
	global_store_short v[2:3], v20, off offset:256
	s_waitcnt lgkmcnt(5)
	global_store_short v[2:3], v21, off offset:512
	;; [unrolled: 2-line block ×6, first 2 shown]
	s_mov_b64 s[0:1], -1
	s_cbranch_execz .LBB1240_32
	s_branch .LBB1240_41
.LBB1240_31:
	s_mov_b64 s[0:1], 0
                                        ; implicit-def: $vgpr6
.LBB1240_32:
	s_barrier
	s_waitcnt lgkmcnt(0)
	ds_read_u16 v21, v13 offset:256
	ds_read_u16 v20, v14 offset:512
	ds_read_u16 v15, v15 offset:768
	ds_read_u16 v14, v16 offset:1024
	ds_read_u16 v13, v17 offset:1280
	ds_read_u16 v7, v18 offset:1536
	ds_read_u16 v6, v19 offset:1792
	s_sub_i32 s2, s14, s16
	v_cmp_gt_u32_e32 vcc, s2, v0
	s_and_saveexec_b64 s[0:1], vcc
	s_cbranch_execnz .LBB1240_46
; %bb.33:
	s_or_b64 exec, exec, s[0:1]
	v_cmp_gt_u32_e32 vcc, s2, v11
	s_and_saveexec_b64 s[0:1], vcc
	s_cbranch_execnz .LBB1240_47
.LBB1240_34:
	s_or_b64 exec, exec, s[0:1]
	v_cmp_gt_u32_e32 vcc, s2, v10
	s_and_saveexec_b64 s[0:1], vcc
	s_cbranch_execnz .LBB1240_48
.LBB1240_35:
	s_or_b64 exec, exec, s[0:1]
	v_cmp_gt_u32_e32 vcc, s2, v9
	s_and_saveexec_b64 s[0:1], vcc
	s_cbranch_execnz .LBB1240_49
.LBB1240_36:
	s_or_b64 exec, exec, s[0:1]
	v_cmp_gt_u32_e32 vcc, s2, v8
	s_and_saveexec_b64 s[0:1], vcc
	s_cbranch_execnz .LBB1240_50
.LBB1240_37:
	s_or_b64 exec, exec, s[0:1]
	v_cmp_gt_u32_e32 vcc, s2, v5
	s_and_saveexec_b64 s[0:1], vcc
	s_cbranch_execnz .LBB1240_51
.LBB1240_38:
	s_or_b64 exec, exec, s[0:1]
	v_cmp_gt_u32_e32 vcc, s2, v4
	s_and_saveexec_b64 s[0:1], vcc
	s_cbranch_execz .LBB1240_40
.LBB1240_39:
	s_waitcnt lgkmcnt(1)
	global_store_short v[2:3], v7, off offset:1536
.LBB1240_40:
	s_or_b64 exec, exec, s[0:1]
	v_cmp_gt_u32_e64 s[0:1], s2, v1
.LBB1240_41:
	s_and_saveexec_b64 s[2:3], s[0:1]
	s_cbranch_execz .LBB1240_43
; %bb.42:
	s_waitcnt lgkmcnt(0)
	global_store_short v[2:3], v6, off offset:1792
.LBB1240_43:
	s_endpgm
.LBB1240_44:
	v_mov_b32_e32 v7, 0
	v_subrev_u32_e32 v4, s15, v0
	s_waitcnt vmcnt(0)
	v_mov_b32_e32 v5, v7
	v_lshl_add_u64 v[2:3], s[4:5], 0, v[6:7]
	v_lshl_add_u64 v[4:5], v[4:5], 1, s[6:7]
	v_cmp_gt_u32_e32 vcc, s15, v0
	s_nop 1
	v_cndmask_b32_e32 v3, v5, v3, vcc
	v_cndmask_b32_e32 v2, v4, v2, vcc
	global_load_ushort v2, v[2:3], off
	s_or_b64 exec, exec, s[2:3]
	v_cmp_gt_u32_e32 vcc, s10, v10
	s_and_saveexec_b64 s[2:3], vcc
	s_cbranch_execz .LBB1240_6
.LBB1240_45:
	v_mov_b32_e32 v11, 0
	v_lshl_add_u64 v[12:13], v[10:11], 1, s[4:5]
	v_cmp_gt_u32_e32 vcc, s15, v10
	v_subrev_u32_e32 v10, s15, v10
	v_lshl_add_u64 v[10:11], v[10:11], 1, s[6:7]
	v_cndmask_b32_e32 v11, v11, v13, vcc
	v_cndmask_b32_e32 v10, v10, v12, vcc
	global_load_ushort v7, v[10:11], off
	s_mov_b32 s8, 0x5040100
	s_waitcnt vmcnt(0)
	v_perm_b32 v2, v7, v2, s8
	s_or_b64 exec, exec, s[2:3]
	v_cmp_gt_u32_e32 vcc, s10, v8
	s_and_saveexec_b64 s[2:3], vcc
	s_cbranch_execnz .LBB1240_7
	s_branch .LBB1240_8
.LBB1240_46:
	ds_read_u16 v0, v12
	s_waitcnt lgkmcnt(0)
	global_store_short v[2:3], v0, off
	s_or_b64 exec, exec, s[0:1]
	v_cmp_gt_u32_e32 vcc, s2, v11
	s_and_saveexec_b64 s[0:1], vcc
	s_cbranch_execz .LBB1240_34
.LBB1240_47:
	s_waitcnt lgkmcnt(6)
	global_store_short v[2:3], v21, off offset:256
	s_or_b64 exec, exec, s[0:1]
	v_cmp_gt_u32_e32 vcc, s2, v10
	s_and_saveexec_b64 s[0:1], vcc
	s_cbranch_execz .LBB1240_35
.LBB1240_48:
	s_waitcnt lgkmcnt(5)
	global_store_short v[2:3], v20, off offset:512
	s_or_b64 exec, exec, s[0:1]
	v_cmp_gt_u32_e32 vcc, s2, v9
	s_and_saveexec_b64 s[0:1], vcc
	s_cbranch_execz .LBB1240_36
.LBB1240_49:
	s_waitcnt lgkmcnt(4)
	global_store_short v[2:3], v15, off offset:768
	s_or_b64 exec, exec, s[0:1]
	v_cmp_gt_u32_e32 vcc, s2, v8
	s_and_saveexec_b64 s[0:1], vcc
	s_cbranch_execz .LBB1240_37
.LBB1240_50:
	s_waitcnt lgkmcnt(3)
	global_store_short v[2:3], v14, off offset:1024
	s_or_b64 exec, exec, s[0:1]
	v_cmp_gt_u32_e32 vcc, s2, v5
	s_and_saveexec_b64 s[0:1], vcc
	s_cbranch_execz .LBB1240_38
.LBB1240_51:
	s_waitcnt lgkmcnt(2)
	global_store_short v[2:3], v13, off offset:1280
	s_or_b64 exec, exec, s[0:1]
	v_cmp_gt_u32_e32 vcc, s2, v4
	s_and_saveexec_b64 s[0:1], vcc
	s_cbranch_execnz .LBB1240_39
	s_branch .LBB1240_40
	.section	.rodata,"a",@progbits
	.p2align	6, 0x0
	.amdhsa_kernel _ZN7rocprim17ROCPRIM_400000_NS6detail17trampoline_kernelINS0_14default_configENS1_38merge_sort_block_merge_config_selectorItNS0_10empty_typeEEEZZNS1_27merge_sort_block_merge_implIS3_N6thrust23THRUST_200600_302600_NS6detail15normal_iteratorINS9_10device_ptrItEEEEPS5_jNS1_19radix_merge_compareILb0ELb0EtNS0_19identity_decomposerEEEEE10hipError_tT0_T1_T2_jT3_P12ihipStream_tbPNSt15iterator_traitsISK_E10value_typeEPNSQ_ISL_E10value_typeEPSM_NS1_7vsmem_tEENKUlT_SK_SL_SM_E_clISE_PtSF_SF_EESJ_SZ_SK_SL_SM_EUlSZ_E0_NS1_11comp_targetILNS1_3genE5ELNS1_11target_archE942ELNS1_3gpuE9ELNS1_3repE0EEENS1_38merge_mergepath_config_static_selectorELNS0_4arch9wavefront6targetE1EEEvSL_
		.amdhsa_group_segment_fixed_size 2112
		.amdhsa_private_segment_fixed_size 0
		.amdhsa_kernarg_size 320
		.amdhsa_user_sgpr_count 2
		.amdhsa_user_sgpr_dispatch_ptr 0
		.amdhsa_user_sgpr_queue_ptr 0
		.amdhsa_user_sgpr_kernarg_segment_ptr 1
		.amdhsa_user_sgpr_dispatch_id 0
		.amdhsa_user_sgpr_kernarg_preload_length 0
		.amdhsa_user_sgpr_kernarg_preload_offset 0
		.amdhsa_user_sgpr_private_segment_size 0
		.amdhsa_uses_dynamic_stack 0
		.amdhsa_enable_private_segment 0
		.amdhsa_system_sgpr_workgroup_id_x 1
		.amdhsa_system_sgpr_workgroup_id_y 1
		.amdhsa_system_sgpr_workgroup_id_z 1
		.amdhsa_system_sgpr_workgroup_info 0
		.amdhsa_system_vgpr_workitem_id 0
		.amdhsa_next_free_vgpr 26
		.amdhsa_next_free_sgpr 24
		.amdhsa_accum_offset 28
		.amdhsa_reserve_vcc 1
		.amdhsa_float_round_mode_32 0
		.amdhsa_float_round_mode_16_64 0
		.amdhsa_float_denorm_mode_32 3
		.amdhsa_float_denorm_mode_16_64 3
		.amdhsa_dx10_clamp 1
		.amdhsa_ieee_mode 1
		.amdhsa_fp16_overflow 0
		.amdhsa_tg_split 0
		.amdhsa_exception_fp_ieee_invalid_op 0
		.amdhsa_exception_fp_denorm_src 0
		.amdhsa_exception_fp_ieee_div_zero 0
		.amdhsa_exception_fp_ieee_overflow 0
		.amdhsa_exception_fp_ieee_underflow 0
		.amdhsa_exception_fp_ieee_inexact 0
		.amdhsa_exception_int_div_zero 0
	.end_amdhsa_kernel
	.section	.text._ZN7rocprim17ROCPRIM_400000_NS6detail17trampoline_kernelINS0_14default_configENS1_38merge_sort_block_merge_config_selectorItNS0_10empty_typeEEEZZNS1_27merge_sort_block_merge_implIS3_N6thrust23THRUST_200600_302600_NS6detail15normal_iteratorINS9_10device_ptrItEEEEPS5_jNS1_19radix_merge_compareILb0ELb0EtNS0_19identity_decomposerEEEEE10hipError_tT0_T1_T2_jT3_P12ihipStream_tbPNSt15iterator_traitsISK_E10value_typeEPNSQ_ISL_E10value_typeEPSM_NS1_7vsmem_tEENKUlT_SK_SL_SM_E_clISE_PtSF_SF_EESJ_SZ_SK_SL_SM_EUlSZ_E0_NS1_11comp_targetILNS1_3genE5ELNS1_11target_archE942ELNS1_3gpuE9ELNS1_3repE0EEENS1_38merge_mergepath_config_static_selectorELNS0_4arch9wavefront6targetE1EEEvSL_,"axG",@progbits,_ZN7rocprim17ROCPRIM_400000_NS6detail17trampoline_kernelINS0_14default_configENS1_38merge_sort_block_merge_config_selectorItNS0_10empty_typeEEEZZNS1_27merge_sort_block_merge_implIS3_N6thrust23THRUST_200600_302600_NS6detail15normal_iteratorINS9_10device_ptrItEEEEPS5_jNS1_19radix_merge_compareILb0ELb0EtNS0_19identity_decomposerEEEEE10hipError_tT0_T1_T2_jT3_P12ihipStream_tbPNSt15iterator_traitsISK_E10value_typeEPNSQ_ISL_E10value_typeEPSM_NS1_7vsmem_tEENKUlT_SK_SL_SM_E_clISE_PtSF_SF_EESJ_SZ_SK_SL_SM_EUlSZ_E0_NS1_11comp_targetILNS1_3genE5ELNS1_11target_archE942ELNS1_3gpuE9ELNS1_3repE0EEENS1_38merge_mergepath_config_static_selectorELNS0_4arch9wavefront6targetE1EEEvSL_,comdat
.Lfunc_end1240:
	.size	_ZN7rocprim17ROCPRIM_400000_NS6detail17trampoline_kernelINS0_14default_configENS1_38merge_sort_block_merge_config_selectorItNS0_10empty_typeEEEZZNS1_27merge_sort_block_merge_implIS3_N6thrust23THRUST_200600_302600_NS6detail15normal_iteratorINS9_10device_ptrItEEEEPS5_jNS1_19radix_merge_compareILb0ELb0EtNS0_19identity_decomposerEEEEE10hipError_tT0_T1_T2_jT3_P12ihipStream_tbPNSt15iterator_traitsISK_E10value_typeEPNSQ_ISL_E10value_typeEPSM_NS1_7vsmem_tEENKUlT_SK_SL_SM_E_clISE_PtSF_SF_EESJ_SZ_SK_SL_SM_EUlSZ_E0_NS1_11comp_targetILNS1_3genE5ELNS1_11target_archE942ELNS1_3gpuE9ELNS1_3repE0EEENS1_38merge_mergepath_config_static_selectorELNS0_4arch9wavefront6targetE1EEEvSL_, .Lfunc_end1240-_ZN7rocprim17ROCPRIM_400000_NS6detail17trampoline_kernelINS0_14default_configENS1_38merge_sort_block_merge_config_selectorItNS0_10empty_typeEEEZZNS1_27merge_sort_block_merge_implIS3_N6thrust23THRUST_200600_302600_NS6detail15normal_iteratorINS9_10device_ptrItEEEEPS5_jNS1_19radix_merge_compareILb0ELb0EtNS0_19identity_decomposerEEEEE10hipError_tT0_T1_T2_jT3_P12ihipStream_tbPNSt15iterator_traitsISK_E10value_typeEPNSQ_ISL_E10value_typeEPSM_NS1_7vsmem_tEENKUlT_SK_SL_SM_E_clISE_PtSF_SF_EESJ_SZ_SK_SL_SM_EUlSZ_E0_NS1_11comp_targetILNS1_3genE5ELNS1_11target_archE942ELNS1_3gpuE9ELNS1_3repE0EEENS1_38merge_mergepath_config_static_selectorELNS0_4arch9wavefront6targetE1EEEvSL_
                                        ; -- End function
	.section	.AMDGPU.csdata,"",@progbits
; Kernel info:
; codeLenInByte = 3436
; NumSgprs: 30
; NumVgprs: 26
; NumAgprs: 0
; TotalNumVgprs: 26
; ScratchSize: 0
; MemoryBound: 0
; FloatMode: 240
; IeeeMode: 1
; LDSByteSize: 2112 bytes/workgroup (compile time only)
; SGPRBlocks: 3
; VGPRBlocks: 3
; NumSGPRsForWavesPerEU: 30
; NumVGPRsForWavesPerEU: 26
; AccumOffset: 28
; Occupancy: 8
; WaveLimiterHint : 1
; COMPUTE_PGM_RSRC2:SCRATCH_EN: 0
; COMPUTE_PGM_RSRC2:USER_SGPR: 2
; COMPUTE_PGM_RSRC2:TRAP_HANDLER: 0
; COMPUTE_PGM_RSRC2:TGID_X_EN: 1
; COMPUTE_PGM_RSRC2:TGID_Y_EN: 1
; COMPUTE_PGM_RSRC2:TGID_Z_EN: 1
; COMPUTE_PGM_RSRC2:TIDIG_COMP_CNT: 0
; COMPUTE_PGM_RSRC3_GFX90A:ACCUM_OFFSET: 6
; COMPUTE_PGM_RSRC3_GFX90A:TG_SPLIT: 0
	.section	.text._ZN7rocprim17ROCPRIM_400000_NS6detail17trampoline_kernelINS0_14default_configENS1_38merge_sort_block_merge_config_selectorItNS0_10empty_typeEEEZZNS1_27merge_sort_block_merge_implIS3_N6thrust23THRUST_200600_302600_NS6detail15normal_iteratorINS9_10device_ptrItEEEEPS5_jNS1_19radix_merge_compareILb0ELb0EtNS0_19identity_decomposerEEEEE10hipError_tT0_T1_T2_jT3_P12ihipStream_tbPNSt15iterator_traitsISK_E10value_typeEPNSQ_ISL_E10value_typeEPSM_NS1_7vsmem_tEENKUlT_SK_SL_SM_E_clISE_PtSF_SF_EESJ_SZ_SK_SL_SM_EUlSZ_E0_NS1_11comp_targetILNS1_3genE4ELNS1_11target_archE910ELNS1_3gpuE8ELNS1_3repE0EEENS1_38merge_mergepath_config_static_selectorELNS0_4arch9wavefront6targetE1EEEvSL_,"axG",@progbits,_ZN7rocprim17ROCPRIM_400000_NS6detail17trampoline_kernelINS0_14default_configENS1_38merge_sort_block_merge_config_selectorItNS0_10empty_typeEEEZZNS1_27merge_sort_block_merge_implIS3_N6thrust23THRUST_200600_302600_NS6detail15normal_iteratorINS9_10device_ptrItEEEEPS5_jNS1_19radix_merge_compareILb0ELb0EtNS0_19identity_decomposerEEEEE10hipError_tT0_T1_T2_jT3_P12ihipStream_tbPNSt15iterator_traitsISK_E10value_typeEPNSQ_ISL_E10value_typeEPSM_NS1_7vsmem_tEENKUlT_SK_SL_SM_E_clISE_PtSF_SF_EESJ_SZ_SK_SL_SM_EUlSZ_E0_NS1_11comp_targetILNS1_3genE4ELNS1_11target_archE910ELNS1_3gpuE8ELNS1_3repE0EEENS1_38merge_mergepath_config_static_selectorELNS0_4arch9wavefront6targetE1EEEvSL_,comdat
	.protected	_ZN7rocprim17ROCPRIM_400000_NS6detail17trampoline_kernelINS0_14default_configENS1_38merge_sort_block_merge_config_selectorItNS0_10empty_typeEEEZZNS1_27merge_sort_block_merge_implIS3_N6thrust23THRUST_200600_302600_NS6detail15normal_iteratorINS9_10device_ptrItEEEEPS5_jNS1_19radix_merge_compareILb0ELb0EtNS0_19identity_decomposerEEEEE10hipError_tT0_T1_T2_jT3_P12ihipStream_tbPNSt15iterator_traitsISK_E10value_typeEPNSQ_ISL_E10value_typeEPSM_NS1_7vsmem_tEENKUlT_SK_SL_SM_E_clISE_PtSF_SF_EESJ_SZ_SK_SL_SM_EUlSZ_E0_NS1_11comp_targetILNS1_3genE4ELNS1_11target_archE910ELNS1_3gpuE8ELNS1_3repE0EEENS1_38merge_mergepath_config_static_selectorELNS0_4arch9wavefront6targetE1EEEvSL_ ; -- Begin function _ZN7rocprim17ROCPRIM_400000_NS6detail17trampoline_kernelINS0_14default_configENS1_38merge_sort_block_merge_config_selectorItNS0_10empty_typeEEEZZNS1_27merge_sort_block_merge_implIS3_N6thrust23THRUST_200600_302600_NS6detail15normal_iteratorINS9_10device_ptrItEEEEPS5_jNS1_19radix_merge_compareILb0ELb0EtNS0_19identity_decomposerEEEEE10hipError_tT0_T1_T2_jT3_P12ihipStream_tbPNSt15iterator_traitsISK_E10value_typeEPNSQ_ISL_E10value_typeEPSM_NS1_7vsmem_tEENKUlT_SK_SL_SM_E_clISE_PtSF_SF_EESJ_SZ_SK_SL_SM_EUlSZ_E0_NS1_11comp_targetILNS1_3genE4ELNS1_11target_archE910ELNS1_3gpuE8ELNS1_3repE0EEENS1_38merge_mergepath_config_static_selectorELNS0_4arch9wavefront6targetE1EEEvSL_
	.globl	_ZN7rocprim17ROCPRIM_400000_NS6detail17trampoline_kernelINS0_14default_configENS1_38merge_sort_block_merge_config_selectorItNS0_10empty_typeEEEZZNS1_27merge_sort_block_merge_implIS3_N6thrust23THRUST_200600_302600_NS6detail15normal_iteratorINS9_10device_ptrItEEEEPS5_jNS1_19radix_merge_compareILb0ELb0EtNS0_19identity_decomposerEEEEE10hipError_tT0_T1_T2_jT3_P12ihipStream_tbPNSt15iterator_traitsISK_E10value_typeEPNSQ_ISL_E10value_typeEPSM_NS1_7vsmem_tEENKUlT_SK_SL_SM_E_clISE_PtSF_SF_EESJ_SZ_SK_SL_SM_EUlSZ_E0_NS1_11comp_targetILNS1_3genE4ELNS1_11target_archE910ELNS1_3gpuE8ELNS1_3repE0EEENS1_38merge_mergepath_config_static_selectorELNS0_4arch9wavefront6targetE1EEEvSL_
	.p2align	8
	.type	_ZN7rocprim17ROCPRIM_400000_NS6detail17trampoline_kernelINS0_14default_configENS1_38merge_sort_block_merge_config_selectorItNS0_10empty_typeEEEZZNS1_27merge_sort_block_merge_implIS3_N6thrust23THRUST_200600_302600_NS6detail15normal_iteratorINS9_10device_ptrItEEEEPS5_jNS1_19radix_merge_compareILb0ELb0EtNS0_19identity_decomposerEEEEE10hipError_tT0_T1_T2_jT3_P12ihipStream_tbPNSt15iterator_traitsISK_E10value_typeEPNSQ_ISL_E10value_typeEPSM_NS1_7vsmem_tEENKUlT_SK_SL_SM_E_clISE_PtSF_SF_EESJ_SZ_SK_SL_SM_EUlSZ_E0_NS1_11comp_targetILNS1_3genE4ELNS1_11target_archE910ELNS1_3gpuE8ELNS1_3repE0EEENS1_38merge_mergepath_config_static_selectorELNS0_4arch9wavefront6targetE1EEEvSL_,@function
_ZN7rocprim17ROCPRIM_400000_NS6detail17trampoline_kernelINS0_14default_configENS1_38merge_sort_block_merge_config_selectorItNS0_10empty_typeEEEZZNS1_27merge_sort_block_merge_implIS3_N6thrust23THRUST_200600_302600_NS6detail15normal_iteratorINS9_10device_ptrItEEEEPS5_jNS1_19radix_merge_compareILb0ELb0EtNS0_19identity_decomposerEEEEE10hipError_tT0_T1_T2_jT3_P12ihipStream_tbPNSt15iterator_traitsISK_E10value_typeEPNSQ_ISL_E10value_typeEPSM_NS1_7vsmem_tEENKUlT_SK_SL_SM_E_clISE_PtSF_SF_EESJ_SZ_SK_SL_SM_EUlSZ_E0_NS1_11comp_targetILNS1_3genE4ELNS1_11target_archE910ELNS1_3gpuE8ELNS1_3repE0EEENS1_38merge_mergepath_config_static_selectorELNS0_4arch9wavefront6targetE1EEEvSL_: ; @_ZN7rocprim17ROCPRIM_400000_NS6detail17trampoline_kernelINS0_14default_configENS1_38merge_sort_block_merge_config_selectorItNS0_10empty_typeEEEZZNS1_27merge_sort_block_merge_implIS3_N6thrust23THRUST_200600_302600_NS6detail15normal_iteratorINS9_10device_ptrItEEEEPS5_jNS1_19radix_merge_compareILb0ELb0EtNS0_19identity_decomposerEEEEE10hipError_tT0_T1_T2_jT3_P12ihipStream_tbPNSt15iterator_traitsISK_E10value_typeEPNSQ_ISL_E10value_typeEPSM_NS1_7vsmem_tEENKUlT_SK_SL_SM_E_clISE_PtSF_SF_EESJ_SZ_SK_SL_SM_EUlSZ_E0_NS1_11comp_targetILNS1_3genE4ELNS1_11target_archE910ELNS1_3gpuE8ELNS1_3repE0EEENS1_38merge_mergepath_config_static_selectorELNS0_4arch9wavefront6targetE1EEEvSL_
; %bb.0:
	.section	.rodata,"a",@progbits
	.p2align	6, 0x0
	.amdhsa_kernel _ZN7rocprim17ROCPRIM_400000_NS6detail17trampoline_kernelINS0_14default_configENS1_38merge_sort_block_merge_config_selectorItNS0_10empty_typeEEEZZNS1_27merge_sort_block_merge_implIS3_N6thrust23THRUST_200600_302600_NS6detail15normal_iteratorINS9_10device_ptrItEEEEPS5_jNS1_19radix_merge_compareILb0ELb0EtNS0_19identity_decomposerEEEEE10hipError_tT0_T1_T2_jT3_P12ihipStream_tbPNSt15iterator_traitsISK_E10value_typeEPNSQ_ISL_E10value_typeEPSM_NS1_7vsmem_tEENKUlT_SK_SL_SM_E_clISE_PtSF_SF_EESJ_SZ_SK_SL_SM_EUlSZ_E0_NS1_11comp_targetILNS1_3genE4ELNS1_11target_archE910ELNS1_3gpuE8ELNS1_3repE0EEENS1_38merge_mergepath_config_static_selectorELNS0_4arch9wavefront6targetE1EEEvSL_
		.amdhsa_group_segment_fixed_size 0
		.amdhsa_private_segment_fixed_size 0
		.amdhsa_kernarg_size 64
		.amdhsa_user_sgpr_count 2
		.amdhsa_user_sgpr_dispatch_ptr 0
		.amdhsa_user_sgpr_queue_ptr 0
		.amdhsa_user_sgpr_kernarg_segment_ptr 1
		.amdhsa_user_sgpr_dispatch_id 0
		.amdhsa_user_sgpr_kernarg_preload_length 0
		.amdhsa_user_sgpr_kernarg_preload_offset 0
		.amdhsa_user_sgpr_private_segment_size 0
		.amdhsa_uses_dynamic_stack 0
		.amdhsa_enable_private_segment 0
		.amdhsa_system_sgpr_workgroup_id_x 1
		.amdhsa_system_sgpr_workgroup_id_y 0
		.amdhsa_system_sgpr_workgroup_id_z 0
		.amdhsa_system_sgpr_workgroup_info 0
		.amdhsa_system_vgpr_workitem_id 0
		.amdhsa_next_free_vgpr 1
		.amdhsa_next_free_sgpr 0
		.amdhsa_accum_offset 4
		.amdhsa_reserve_vcc 0
		.amdhsa_float_round_mode_32 0
		.amdhsa_float_round_mode_16_64 0
		.amdhsa_float_denorm_mode_32 3
		.amdhsa_float_denorm_mode_16_64 3
		.amdhsa_dx10_clamp 1
		.amdhsa_ieee_mode 1
		.amdhsa_fp16_overflow 0
		.amdhsa_tg_split 0
		.amdhsa_exception_fp_ieee_invalid_op 0
		.amdhsa_exception_fp_denorm_src 0
		.amdhsa_exception_fp_ieee_div_zero 0
		.amdhsa_exception_fp_ieee_overflow 0
		.amdhsa_exception_fp_ieee_underflow 0
		.amdhsa_exception_fp_ieee_inexact 0
		.amdhsa_exception_int_div_zero 0
	.end_amdhsa_kernel
	.section	.text._ZN7rocprim17ROCPRIM_400000_NS6detail17trampoline_kernelINS0_14default_configENS1_38merge_sort_block_merge_config_selectorItNS0_10empty_typeEEEZZNS1_27merge_sort_block_merge_implIS3_N6thrust23THRUST_200600_302600_NS6detail15normal_iteratorINS9_10device_ptrItEEEEPS5_jNS1_19radix_merge_compareILb0ELb0EtNS0_19identity_decomposerEEEEE10hipError_tT0_T1_T2_jT3_P12ihipStream_tbPNSt15iterator_traitsISK_E10value_typeEPNSQ_ISL_E10value_typeEPSM_NS1_7vsmem_tEENKUlT_SK_SL_SM_E_clISE_PtSF_SF_EESJ_SZ_SK_SL_SM_EUlSZ_E0_NS1_11comp_targetILNS1_3genE4ELNS1_11target_archE910ELNS1_3gpuE8ELNS1_3repE0EEENS1_38merge_mergepath_config_static_selectorELNS0_4arch9wavefront6targetE1EEEvSL_,"axG",@progbits,_ZN7rocprim17ROCPRIM_400000_NS6detail17trampoline_kernelINS0_14default_configENS1_38merge_sort_block_merge_config_selectorItNS0_10empty_typeEEEZZNS1_27merge_sort_block_merge_implIS3_N6thrust23THRUST_200600_302600_NS6detail15normal_iteratorINS9_10device_ptrItEEEEPS5_jNS1_19radix_merge_compareILb0ELb0EtNS0_19identity_decomposerEEEEE10hipError_tT0_T1_T2_jT3_P12ihipStream_tbPNSt15iterator_traitsISK_E10value_typeEPNSQ_ISL_E10value_typeEPSM_NS1_7vsmem_tEENKUlT_SK_SL_SM_E_clISE_PtSF_SF_EESJ_SZ_SK_SL_SM_EUlSZ_E0_NS1_11comp_targetILNS1_3genE4ELNS1_11target_archE910ELNS1_3gpuE8ELNS1_3repE0EEENS1_38merge_mergepath_config_static_selectorELNS0_4arch9wavefront6targetE1EEEvSL_,comdat
.Lfunc_end1241:
	.size	_ZN7rocprim17ROCPRIM_400000_NS6detail17trampoline_kernelINS0_14default_configENS1_38merge_sort_block_merge_config_selectorItNS0_10empty_typeEEEZZNS1_27merge_sort_block_merge_implIS3_N6thrust23THRUST_200600_302600_NS6detail15normal_iteratorINS9_10device_ptrItEEEEPS5_jNS1_19radix_merge_compareILb0ELb0EtNS0_19identity_decomposerEEEEE10hipError_tT0_T1_T2_jT3_P12ihipStream_tbPNSt15iterator_traitsISK_E10value_typeEPNSQ_ISL_E10value_typeEPSM_NS1_7vsmem_tEENKUlT_SK_SL_SM_E_clISE_PtSF_SF_EESJ_SZ_SK_SL_SM_EUlSZ_E0_NS1_11comp_targetILNS1_3genE4ELNS1_11target_archE910ELNS1_3gpuE8ELNS1_3repE0EEENS1_38merge_mergepath_config_static_selectorELNS0_4arch9wavefront6targetE1EEEvSL_, .Lfunc_end1241-_ZN7rocprim17ROCPRIM_400000_NS6detail17trampoline_kernelINS0_14default_configENS1_38merge_sort_block_merge_config_selectorItNS0_10empty_typeEEEZZNS1_27merge_sort_block_merge_implIS3_N6thrust23THRUST_200600_302600_NS6detail15normal_iteratorINS9_10device_ptrItEEEEPS5_jNS1_19radix_merge_compareILb0ELb0EtNS0_19identity_decomposerEEEEE10hipError_tT0_T1_T2_jT3_P12ihipStream_tbPNSt15iterator_traitsISK_E10value_typeEPNSQ_ISL_E10value_typeEPSM_NS1_7vsmem_tEENKUlT_SK_SL_SM_E_clISE_PtSF_SF_EESJ_SZ_SK_SL_SM_EUlSZ_E0_NS1_11comp_targetILNS1_3genE4ELNS1_11target_archE910ELNS1_3gpuE8ELNS1_3repE0EEENS1_38merge_mergepath_config_static_selectorELNS0_4arch9wavefront6targetE1EEEvSL_
                                        ; -- End function
	.section	.AMDGPU.csdata,"",@progbits
; Kernel info:
; codeLenInByte = 0
; NumSgprs: 6
; NumVgprs: 0
; NumAgprs: 0
; TotalNumVgprs: 0
; ScratchSize: 0
; MemoryBound: 0
; FloatMode: 240
; IeeeMode: 1
; LDSByteSize: 0 bytes/workgroup (compile time only)
; SGPRBlocks: 0
; VGPRBlocks: 0
; NumSGPRsForWavesPerEU: 6
; NumVGPRsForWavesPerEU: 1
; AccumOffset: 4
; Occupancy: 8
; WaveLimiterHint : 0
; COMPUTE_PGM_RSRC2:SCRATCH_EN: 0
; COMPUTE_PGM_RSRC2:USER_SGPR: 2
; COMPUTE_PGM_RSRC2:TRAP_HANDLER: 0
; COMPUTE_PGM_RSRC2:TGID_X_EN: 1
; COMPUTE_PGM_RSRC2:TGID_Y_EN: 0
; COMPUTE_PGM_RSRC2:TGID_Z_EN: 0
; COMPUTE_PGM_RSRC2:TIDIG_COMP_CNT: 0
; COMPUTE_PGM_RSRC3_GFX90A:ACCUM_OFFSET: 0
; COMPUTE_PGM_RSRC3_GFX90A:TG_SPLIT: 0
	.section	.text._ZN7rocprim17ROCPRIM_400000_NS6detail17trampoline_kernelINS0_14default_configENS1_38merge_sort_block_merge_config_selectorItNS0_10empty_typeEEEZZNS1_27merge_sort_block_merge_implIS3_N6thrust23THRUST_200600_302600_NS6detail15normal_iteratorINS9_10device_ptrItEEEEPS5_jNS1_19radix_merge_compareILb0ELb0EtNS0_19identity_decomposerEEEEE10hipError_tT0_T1_T2_jT3_P12ihipStream_tbPNSt15iterator_traitsISK_E10value_typeEPNSQ_ISL_E10value_typeEPSM_NS1_7vsmem_tEENKUlT_SK_SL_SM_E_clISE_PtSF_SF_EESJ_SZ_SK_SL_SM_EUlSZ_E0_NS1_11comp_targetILNS1_3genE3ELNS1_11target_archE908ELNS1_3gpuE7ELNS1_3repE0EEENS1_38merge_mergepath_config_static_selectorELNS0_4arch9wavefront6targetE1EEEvSL_,"axG",@progbits,_ZN7rocprim17ROCPRIM_400000_NS6detail17trampoline_kernelINS0_14default_configENS1_38merge_sort_block_merge_config_selectorItNS0_10empty_typeEEEZZNS1_27merge_sort_block_merge_implIS3_N6thrust23THRUST_200600_302600_NS6detail15normal_iteratorINS9_10device_ptrItEEEEPS5_jNS1_19radix_merge_compareILb0ELb0EtNS0_19identity_decomposerEEEEE10hipError_tT0_T1_T2_jT3_P12ihipStream_tbPNSt15iterator_traitsISK_E10value_typeEPNSQ_ISL_E10value_typeEPSM_NS1_7vsmem_tEENKUlT_SK_SL_SM_E_clISE_PtSF_SF_EESJ_SZ_SK_SL_SM_EUlSZ_E0_NS1_11comp_targetILNS1_3genE3ELNS1_11target_archE908ELNS1_3gpuE7ELNS1_3repE0EEENS1_38merge_mergepath_config_static_selectorELNS0_4arch9wavefront6targetE1EEEvSL_,comdat
	.protected	_ZN7rocprim17ROCPRIM_400000_NS6detail17trampoline_kernelINS0_14default_configENS1_38merge_sort_block_merge_config_selectorItNS0_10empty_typeEEEZZNS1_27merge_sort_block_merge_implIS3_N6thrust23THRUST_200600_302600_NS6detail15normal_iteratorINS9_10device_ptrItEEEEPS5_jNS1_19radix_merge_compareILb0ELb0EtNS0_19identity_decomposerEEEEE10hipError_tT0_T1_T2_jT3_P12ihipStream_tbPNSt15iterator_traitsISK_E10value_typeEPNSQ_ISL_E10value_typeEPSM_NS1_7vsmem_tEENKUlT_SK_SL_SM_E_clISE_PtSF_SF_EESJ_SZ_SK_SL_SM_EUlSZ_E0_NS1_11comp_targetILNS1_3genE3ELNS1_11target_archE908ELNS1_3gpuE7ELNS1_3repE0EEENS1_38merge_mergepath_config_static_selectorELNS0_4arch9wavefront6targetE1EEEvSL_ ; -- Begin function _ZN7rocprim17ROCPRIM_400000_NS6detail17trampoline_kernelINS0_14default_configENS1_38merge_sort_block_merge_config_selectorItNS0_10empty_typeEEEZZNS1_27merge_sort_block_merge_implIS3_N6thrust23THRUST_200600_302600_NS6detail15normal_iteratorINS9_10device_ptrItEEEEPS5_jNS1_19radix_merge_compareILb0ELb0EtNS0_19identity_decomposerEEEEE10hipError_tT0_T1_T2_jT3_P12ihipStream_tbPNSt15iterator_traitsISK_E10value_typeEPNSQ_ISL_E10value_typeEPSM_NS1_7vsmem_tEENKUlT_SK_SL_SM_E_clISE_PtSF_SF_EESJ_SZ_SK_SL_SM_EUlSZ_E0_NS1_11comp_targetILNS1_3genE3ELNS1_11target_archE908ELNS1_3gpuE7ELNS1_3repE0EEENS1_38merge_mergepath_config_static_selectorELNS0_4arch9wavefront6targetE1EEEvSL_
	.globl	_ZN7rocprim17ROCPRIM_400000_NS6detail17trampoline_kernelINS0_14default_configENS1_38merge_sort_block_merge_config_selectorItNS0_10empty_typeEEEZZNS1_27merge_sort_block_merge_implIS3_N6thrust23THRUST_200600_302600_NS6detail15normal_iteratorINS9_10device_ptrItEEEEPS5_jNS1_19radix_merge_compareILb0ELb0EtNS0_19identity_decomposerEEEEE10hipError_tT0_T1_T2_jT3_P12ihipStream_tbPNSt15iterator_traitsISK_E10value_typeEPNSQ_ISL_E10value_typeEPSM_NS1_7vsmem_tEENKUlT_SK_SL_SM_E_clISE_PtSF_SF_EESJ_SZ_SK_SL_SM_EUlSZ_E0_NS1_11comp_targetILNS1_3genE3ELNS1_11target_archE908ELNS1_3gpuE7ELNS1_3repE0EEENS1_38merge_mergepath_config_static_selectorELNS0_4arch9wavefront6targetE1EEEvSL_
	.p2align	8
	.type	_ZN7rocprim17ROCPRIM_400000_NS6detail17trampoline_kernelINS0_14default_configENS1_38merge_sort_block_merge_config_selectorItNS0_10empty_typeEEEZZNS1_27merge_sort_block_merge_implIS3_N6thrust23THRUST_200600_302600_NS6detail15normal_iteratorINS9_10device_ptrItEEEEPS5_jNS1_19radix_merge_compareILb0ELb0EtNS0_19identity_decomposerEEEEE10hipError_tT0_T1_T2_jT3_P12ihipStream_tbPNSt15iterator_traitsISK_E10value_typeEPNSQ_ISL_E10value_typeEPSM_NS1_7vsmem_tEENKUlT_SK_SL_SM_E_clISE_PtSF_SF_EESJ_SZ_SK_SL_SM_EUlSZ_E0_NS1_11comp_targetILNS1_3genE3ELNS1_11target_archE908ELNS1_3gpuE7ELNS1_3repE0EEENS1_38merge_mergepath_config_static_selectorELNS0_4arch9wavefront6targetE1EEEvSL_,@function
_ZN7rocprim17ROCPRIM_400000_NS6detail17trampoline_kernelINS0_14default_configENS1_38merge_sort_block_merge_config_selectorItNS0_10empty_typeEEEZZNS1_27merge_sort_block_merge_implIS3_N6thrust23THRUST_200600_302600_NS6detail15normal_iteratorINS9_10device_ptrItEEEEPS5_jNS1_19radix_merge_compareILb0ELb0EtNS0_19identity_decomposerEEEEE10hipError_tT0_T1_T2_jT3_P12ihipStream_tbPNSt15iterator_traitsISK_E10value_typeEPNSQ_ISL_E10value_typeEPSM_NS1_7vsmem_tEENKUlT_SK_SL_SM_E_clISE_PtSF_SF_EESJ_SZ_SK_SL_SM_EUlSZ_E0_NS1_11comp_targetILNS1_3genE3ELNS1_11target_archE908ELNS1_3gpuE7ELNS1_3repE0EEENS1_38merge_mergepath_config_static_selectorELNS0_4arch9wavefront6targetE1EEEvSL_: ; @_ZN7rocprim17ROCPRIM_400000_NS6detail17trampoline_kernelINS0_14default_configENS1_38merge_sort_block_merge_config_selectorItNS0_10empty_typeEEEZZNS1_27merge_sort_block_merge_implIS3_N6thrust23THRUST_200600_302600_NS6detail15normal_iteratorINS9_10device_ptrItEEEEPS5_jNS1_19radix_merge_compareILb0ELb0EtNS0_19identity_decomposerEEEEE10hipError_tT0_T1_T2_jT3_P12ihipStream_tbPNSt15iterator_traitsISK_E10value_typeEPNSQ_ISL_E10value_typeEPSM_NS1_7vsmem_tEENKUlT_SK_SL_SM_E_clISE_PtSF_SF_EESJ_SZ_SK_SL_SM_EUlSZ_E0_NS1_11comp_targetILNS1_3genE3ELNS1_11target_archE908ELNS1_3gpuE7ELNS1_3repE0EEENS1_38merge_mergepath_config_static_selectorELNS0_4arch9wavefront6targetE1EEEvSL_
; %bb.0:
	.section	.rodata,"a",@progbits
	.p2align	6, 0x0
	.amdhsa_kernel _ZN7rocprim17ROCPRIM_400000_NS6detail17trampoline_kernelINS0_14default_configENS1_38merge_sort_block_merge_config_selectorItNS0_10empty_typeEEEZZNS1_27merge_sort_block_merge_implIS3_N6thrust23THRUST_200600_302600_NS6detail15normal_iteratorINS9_10device_ptrItEEEEPS5_jNS1_19radix_merge_compareILb0ELb0EtNS0_19identity_decomposerEEEEE10hipError_tT0_T1_T2_jT3_P12ihipStream_tbPNSt15iterator_traitsISK_E10value_typeEPNSQ_ISL_E10value_typeEPSM_NS1_7vsmem_tEENKUlT_SK_SL_SM_E_clISE_PtSF_SF_EESJ_SZ_SK_SL_SM_EUlSZ_E0_NS1_11comp_targetILNS1_3genE3ELNS1_11target_archE908ELNS1_3gpuE7ELNS1_3repE0EEENS1_38merge_mergepath_config_static_selectorELNS0_4arch9wavefront6targetE1EEEvSL_
		.amdhsa_group_segment_fixed_size 0
		.amdhsa_private_segment_fixed_size 0
		.amdhsa_kernarg_size 64
		.amdhsa_user_sgpr_count 2
		.amdhsa_user_sgpr_dispatch_ptr 0
		.amdhsa_user_sgpr_queue_ptr 0
		.amdhsa_user_sgpr_kernarg_segment_ptr 1
		.amdhsa_user_sgpr_dispatch_id 0
		.amdhsa_user_sgpr_kernarg_preload_length 0
		.amdhsa_user_sgpr_kernarg_preload_offset 0
		.amdhsa_user_sgpr_private_segment_size 0
		.amdhsa_uses_dynamic_stack 0
		.amdhsa_enable_private_segment 0
		.amdhsa_system_sgpr_workgroup_id_x 1
		.amdhsa_system_sgpr_workgroup_id_y 0
		.amdhsa_system_sgpr_workgroup_id_z 0
		.amdhsa_system_sgpr_workgroup_info 0
		.amdhsa_system_vgpr_workitem_id 0
		.amdhsa_next_free_vgpr 1
		.amdhsa_next_free_sgpr 0
		.amdhsa_accum_offset 4
		.amdhsa_reserve_vcc 0
		.amdhsa_float_round_mode_32 0
		.amdhsa_float_round_mode_16_64 0
		.amdhsa_float_denorm_mode_32 3
		.amdhsa_float_denorm_mode_16_64 3
		.amdhsa_dx10_clamp 1
		.amdhsa_ieee_mode 1
		.amdhsa_fp16_overflow 0
		.amdhsa_tg_split 0
		.amdhsa_exception_fp_ieee_invalid_op 0
		.amdhsa_exception_fp_denorm_src 0
		.amdhsa_exception_fp_ieee_div_zero 0
		.amdhsa_exception_fp_ieee_overflow 0
		.amdhsa_exception_fp_ieee_underflow 0
		.amdhsa_exception_fp_ieee_inexact 0
		.amdhsa_exception_int_div_zero 0
	.end_amdhsa_kernel
	.section	.text._ZN7rocprim17ROCPRIM_400000_NS6detail17trampoline_kernelINS0_14default_configENS1_38merge_sort_block_merge_config_selectorItNS0_10empty_typeEEEZZNS1_27merge_sort_block_merge_implIS3_N6thrust23THRUST_200600_302600_NS6detail15normal_iteratorINS9_10device_ptrItEEEEPS5_jNS1_19radix_merge_compareILb0ELb0EtNS0_19identity_decomposerEEEEE10hipError_tT0_T1_T2_jT3_P12ihipStream_tbPNSt15iterator_traitsISK_E10value_typeEPNSQ_ISL_E10value_typeEPSM_NS1_7vsmem_tEENKUlT_SK_SL_SM_E_clISE_PtSF_SF_EESJ_SZ_SK_SL_SM_EUlSZ_E0_NS1_11comp_targetILNS1_3genE3ELNS1_11target_archE908ELNS1_3gpuE7ELNS1_3repE0EEENS1_38merge_mergepath_config_static_selectorELNS0_4arch9wavefront6targetE1EEEvSL_,"axG",@progbits,_ZN7rocprim17ROCPRIM_400000_NS6detail17trampoline_kernelINS0_14default_configENS1_38merge_sort_block_merge_config_selectorItNS0_10empty_typeEEEZZNS1_27merge_sort_block_merge_implIS3_N6thrust23THRUST_200600_302600_NS6detail15normal_iteratorINS9_10device_ptrItEEEEPS5_jNS1_19radix_merge_compareILb0ELb0EtNS0_19identity_decomposerEEEEE10hipError_tT0_T1_T2_jT3_P12ihipStream_tbPNSt15iterator_traitsISK_E10value_typeEPNSQ_ISL_E10value_typeEPSM_NS1_7vsmem_tEENKUlT_SK_SL_SM_E_clISE_PtSF_SF_EESJ_SZ_SK_SL_SM_EUlSZ_E0_NS1_11comp_targetILNS1_3genE3ELNS1_11target_archE908ELNS1_3gpuE7ELNS1_3repE0EEENS1_38merge_mergepath_config_static_selectorELNS0_4arch9wavefront6targetE1EEEvSL_,comdat
.Lfunc_end1242:
	.size	_ZN7rocprim17ROCPRIM_400000_NS6detail17trampoline_kernelINS0_14default_configENS1_38merge_sort_block_merge_config_selectorItNS0_10empty_typeEEEZZNS1_27merge_sort_block_merge_implIS3_N6thrust23THRUST_200600_302600_NS6detail15normal_iteratorINS9_10device_ptrItEEEEPS5_jNS1_19radix_merge_compareILb0ELb0EtNS0_19identity_decomposerEEEEE10hipError_tT0_T1_T2_jT3_P12ihipStream_tbPNSt15iterator_traitsISK_E10value_typeEPNSQ_ISL_E10value_typeEPSM_NS1_7vsmem_tEENKUlT_SK_SL_SM_E_clISE_PtSF_SF_EESJ_SZ_SK_SL_SM_EUlSZ_E0_NS1_11comp_targetILNS1_3genE3ELNS1_11target_archE908ELNS1_3gpuE7ELNS1_3repE0EEENS1_38merge_mergepath_config_static_selectorELNS0_4arch9wavefront6targetE1EEEvSL_, .Lfunc_end1242-_ZN7rocprim17ROCPRIM_400000_NS6detail17trampoline_kernelINS0_14default_configENS1_38merge_sort_block_merge_config_selectorItNS0_10empty_typeEEEZZNS1_27merge_sort_block_merge_implIS3_N6thrust23THRUST_200600_302600_NS6detail15normal_iteratorINS9_10device_ptrItEEEEPS5_jNS1_19radix_merge_compareILb0ELb0EtNS0_19identity_decomposerEEEEE10hipError_tT0_T1_T2_jT3_P12ihipStream_tbPNSt15iterator_traitsISK_E10value_typeEPNSQ_ISL_E10value_typeEPSM_NS1_7vsmem_tEENKUlT_SK_SL_SM_E_clISE_PtSF_SF_EESJ_SZ_SK_SL_SM_EUlSZ_E0_NS1_11comp_targetILNS1_3genE3ELNS1_11target_archE908ELNS1_3gpuE7ELNS1_3repE0EEENS1_38merge_mergepath_config_static_selectorELNS0_4arch9wavefront6targetE1EEEvSL_
                                        ; -- End function
	.section	.AMDGPU.csdata,"",@progbits
; Kernel info:
; codeLenInByte = 0
; NumSgprs: 6
; NumVgprs: 0
; NumAgprs: 0
; TotalNumVgprs: 0
; ScratchSize: 0
; MemoryBound: 0
; FloatMode: 240
; IeeeMode: 1
; LDSByteSize: 0 bytes/workgroup (compile time only)
; SGPRBlocks: 0
; VGPRBlocks: 0
; NumSGPRsForWavesPerEU: 6
; NumVGPRsForWavesPerEU: 1
; AccumOffset: 4
; Occupancy: 8
; WaveLimiterHint : 0
; COMPUTE_PGM_RSRC2:SCRATCH_EN: 0
; COMPUTE_PGM_RSRC2:USER_SGPR: 2
; COMPUTE_PGM_RSRC2:TRAP_HANDLER: 0
; COMPUTE_PGM_RSRC2:TGID_X_EN: 1
; COMPUTE_PGM_RSRC2:TGID_Y_EN: 0
; COMPUTE_PGM_RSRC2:TGID_Z_EN: 0
; COMPUTE_PGM_RSRC2:TIDIG_COMP_CNT: 0
; COMPUTE_PGM_RSRC3_GFX90A:ACCUM_OFFSET: 0
; COMPUTE_PGM_RSRC3_GFX90A:TG_SPLIT: 0
	.section	.text._ZN7rocprim17ROCPRIM_400000_NS6detail17trampoline_kernelINS0_14default_configENS1_38merge_sort_block_merge_config_selectorItNS0_10empty_typeEEEZZNS1_27merge_sort_block_merge_implIS3_N6thrust23THRUST_200600_302600_NS6detail15normal_iteratorINS9_10device_ptrItEEEEPS5_jNS1_19radix_merge_compareILb0ELb0EtNS0_19identity_decomposerEEEEE10hipError_tT0_T1_T2_jT3_P12ihipStream_tbPNSt15iterator_traitsISK_E10value_typeEPNSQ_ISL_E10value_typeEPSM_NS1_7vsmem_tEENKUlT_SK_SL_SM_E_clISE_PtSF_SF_EESJ_SZ_SK_SL_SM_EUlSZ_E0_NS1_11comp_targetILNS1_3genE2ELNS1_11target_archE906ELNS1_3gpuE6ELNS1_3repE0EEENS1_38merge_mergepath_config_static_selectorELNS0_4arch9wavefront6targetE1EEEvSL_,"axG",@progbits,_ZN7rocprim17ROCPRIM_400000_NS6detail17trampoline_kernelINS0_14default_configENS1_38merge_sort_block_merge_config_selectorItNS0_10empty_typeEEEZZNS1_27merge_sort_block_merge_implIS3_N6thrust23THRUST_200600_302600_NS6detail15normal_iteratorINS9_10device_ptrItEEEEPS5_jNS1_19radix_merge_compareILb0ELb0EtNS0_19identity_decomposerEEEEE10hipError_tT0_T1_T2_jT3_P12ihipStream_tbPNSt15iterator_traitsISK_E10value_typeEPNSQ_ISL_E10value_typeEPSM_NS1_7vsmem_tEENKUlT_SK_SL_SM_E_clISE_PtSF_SF_EESJ_SZ_SK_SL_SM_EUlSZ_E0_NS1_11comp_targetILNS1_3genE2ELNS1_11target_archE906ELNS1_3gpuE6ELNS1_3repE0EEENS1_38merge_mergepath_config_static_selectorELNS0_4arch9wavefront6targetE1EEEvSL_,comdat
	.protected	_ZN7rocprim17ROCPRIM_400000_NS6detail17trampoline_kernelINS0_14default_configENS1_38merge_sort_block_merge_config_selectorItNS0_10empty_typeEEEZZNS1_27merge_sort_block_merge_implIS3_N6thrust23THRUST_200600_302600_NS6detail15normal_iteratorINS9_10device_ptrItEEEEPS5_jNS1_19radix_merge_compareILb0ELb0EtNS0_19identity_decomposerEEEEE10hipError_tT0_T1_T2_jT3_P12ihipStream_tbPNSt15iterator_traitsISK_E10value_typeEPNSQ_ISL_E10value_typeEPSM_NS1_7vsmem_tEENKUlT_SK_SL_SM_E_clISE_PtSF_SF_EESJ_SZ_SK_SL_SM_EUlSZ_E0_NS1_11comp_targetILNS1_3genE2ELNS1_11target_archE906ELNS1_3gpuE6ELNS1_3repE0EEENS1_38merge_mergepath_config_static_selectorELNS0_4arch9wavefront6targetE1EEEvSL_ ; -- Begin function _ZN7rocprim17ROCPRIM_400000_NS6detail17trampoline_kernelINS0_14default_configENS1_38merge_sort_block_merge_config_selectorItNS0_10empty_typeEEEZZNS1_27merge_sort_block_merge_implIS3_N6thrust23THRUST_200600_302600_NS6detail15normal_iteratorINS9_10device_ptrItEEEEPS5_jNS1_19radix_merge_compareILb0ELb0EtNS0_19identity_decomposerEEEEE10hipError_tT0_T1_T2_jT3_P12ihipStream_tbPNSt15iterator_traitsISK_E10value_typeEPNSQ_ISL_E10value_typeEPSM_NS1_7vsmem_tEENKUlT_SK_SL_SM_E_clISE_PtSF_SF_EESJ_SZ_SK_SL_SM_EUlSZ_E0_NS1_11comp_targetILNS1_3genE2ELNS1_11target_archE906ELNS1_3gpuE6ELNS1_3repE0EEENS1_38merge_mergepath_config_static_selectorELNS0_4arch9wavefront6targetE1EEEvSL_
	.globl	_ZN7rocprim17ROCPRIM_400000_NS6detail17trampoline_kernelINS0_14default_configENS1_38merge_sort_block_merge_config_selectorItNS0_10empty_typeEEEZZNS1_27merge_sort_block_merge_implIS3_N6thrust23THRUST_200600_302600_NS6detail15normal_iteratorINS9_10device_ptrItEEEEPS5_jNS1_19radix_merge_compareILb0ELb0EtNS0_19identity_decomposerEEEEE10hipError_tT0_T1_T2_jT3_P12ihipStream_tbPNSt15iterator_traitsISK_E10value_typeEPNSQ_ISL_E10value_typeEPSM_NS1_7vsmem_tEENKUlT_SK_SL_SM_E_clISE_PtSF_SF_EESJ_SZ_SK_SL_SM_EUlSZ_E0_NS1_11comp_targetILNS1_3genE2ELNS1_11target_archE906ELNS1_3gpuE6ELNS1_3repE0EEENS1_38merge_mergepath_config_static_selectorELNS0_4arch9wavefront6targetE1EEEvSL_
	.p2align	8
	.type	_ZN7rocprim17ROCPRIM_400000_NS6detail17trampoline_kernelINS0_14default_configENS1_38merge_sort_block_merge_config_selectorItNS0_10empty_typeEEEZZNS1_27merge_sort_block_merge_implIS3_N6thrust23THRUST_200600_302600_NS6detail15normal_iteratorINS9_10device_ptrItEEEEPS5_jNS1_19radix_merge_compareILb0ELb0EtNS0_19identity_decomposerEEEEE10hipError_tT0_T1_T2_jT3_P12ihipStream_tbPNSt15iterator_traitsISK_E10value_typeEPNSQ_ISL_E10value_typeEPSM_NS1_7vsmem_tEENKUlT_SK_SL_SM_E_clISE_PtSF_SF_EESJ_SZ_SK_SL_SM_EUlSZ_E0_NS1_11comp_targetILNS1_3genE2ELNS1_11target_archE906ELNS1_3gpuE6ELNS1_3repE0EEENS1_38merge_mergepath_config_static_selectorELNS0_4arch9wavefront6targetE1EEEvSL_,@function
_ZN7rocprim17ROCPRIM_400000_NS6detail17trampoline_kernelINS0_14default_configENS1_38merge_sort_block_merge_config_selectorItNS0_10empty_typeEEEZZNS1_27merge_sort_block_merge_implIS3_N6thrust23THRUST_200600_302600_NS6detail15normal_iteratorINS9_10device_ptrItEEEEPS5_jNS1_19radix_merge_compareILb0ELb0EtNS0_19identity_decomposerEEEEE10hipError_tT0_T1_T2_jT3_P12ihipStream_tbPNSt15iterator_traitsISK_E10value_typeEPNSQ_ISL_E10value_typeEPSM_NS1_7vsmem_tEENKUlT_SK_SL_SM_E_clISE_PtSF_SF_EESJ_SZ_SK_SL_SM_EUlSZ_E0_NS1_11comp_targetILNS1_3genE2ELNS1_11target_archE906ELNS1_3gpuE6ELNS1_3repE0EEENS1_38merge_mergepath_config_static_selectorELNS0_4arch9wavefront6targetE1EEEvSL_: ; @_ZN7rocprim17ROCPRIM_400000_NS6detail17trampoline_kernelINS0_14default_configENS1_38merge_sort_block_merge_config_selectorItNS0_10empty_typeEEEZZNS1_27merge_sort_block_merge_implIS3_N6thrust23THRUST_200600_302600_NS6detail15normal_iteratorINS9_10device_ptrItEEEEPS5_jNS1_19radix_merge_compareILb0ELb0EtNS0_19identity_decomposerEEEEE10hipError_tT0_T1_T2_jT3_P12ihipStream_tbPNSt15iterator_traitsISK_E10value_typeEPNSQ_ISL_E10value_typeEPSM_NS1_7vsmem_tEENKUlT_SK_SL_SM_E_clISE_PtSF_SF_EESJ_SZ_SK_SL_SM_EUlSZ_E0_NS1_11comp_targetILNS1_3genE2ELNS1_11target_archE906ELNS1_3gpuE6ELNS1_3repE0EEENS1_38merge_mergepath_config_static_selectorELNS0_4arch9wavefront6targetE1EEEvSL_
; %bb.0:
	.section	.rodata,"a",@progbits
	.p2align	6, 0x0
	.amdhsa_kernel _ZN7rocprim17ROCPRIM_400000_NS6detail17trampoline_kernelINS0_14default_configENS1_38merge_sort_block_merge_config_selectorItNS0_10empty_typeEEEZZNS1_27merge_sort_block_merge_implIS3_N6thrust23THRUST_200600_302600_NS6detail15normal_iteratorINS9_10device_ptrItEEEEPS5_jNS1_19radix_merge_compareILb0ELb0EtNS0_19identity_decomposerEEEEE10hipError_tT0_T1_T2_jT3_P12ihipStream_tbPNSt15iterator_traitsISK_E10value_typeEPNSQ_ISL_E10value_typeEPSM_NS1_7vsmem_tEENKUlT_SK_SL_SM_E_clISE_PtSF_SF_EESJ_SZ_SK_SL_SM_EUlSZ_E0_NS1_11comp_targetILNS1_3genE2ELNS1_11target_archE906ELNS1_3gpuE6ELNS1_3repE0EEENS1_38merge_mergepath_config_static_selectorELNS0_4arch9wavefront6targetE1EEEvSL_
		.amdhsa_group_segment_fixed_size 0
		.amdhsa_private_segment_fixed_size 0
		.amdhsa_kernarg_size 64
		.amdhsa_user_sgpr_count 2
		.amdhsa_user_sgpr_dispatch_ptr 0
		.amdhsa_user_sgpr_queue_ptr 0
		.amdhsa_user_sgpr_kernarg_segment_ptr 1
		.amdhsa_user_sgpr_dispatch_id 0
		.amdhsa_user_sgpr_kernarg_preload_length 0
		.amdhsa_user_sgpr_kernarg_preload_offset 0
		.amdhsa_user_sgpr_private_segment_size 0
		.amdhsa_uses_dynamic_stack 0
		.amdhsa_enable_private_segment 0
		.amdhsa_system_sgpr_workgroup_id_x 1
		.amdhsa_system_sgpr_workgroup_id_y 0
		.amdhsa_system_sgpr_workgroup_id_z 0
		.amdhsa_system_sgpr_workgroup_info 0
		.amdhsa_system_vgpr_workitem_id 0
		.amdhsa_next_free_vgpr 1
		.amdhsa_next_free_sgpr 0
		.amdhsa_accum_offset 4
		.amdhsa_reserve_vcc 0
		.amdhsa_float_round_mode_32 0
		.amdhsa_float_round_mode_16_64 0
		.amdhsa_float_denorm_mode_32 3
		.amdhsa_float_denorm_mode_16_64 3
		.amdhsa_dx10_clamp 1
		.amdhsa_ieee_mode 1
		.amdhsa_fp16_overflow 0
		.amdhsa_tg_split 0
		.amdhsa_exception_fp_ieee_invalid_op 0
		.amdhsa_exception_fp_denorm_src 0
		.amdhsa_exception_fp_ieee_div_zero 0
		.amdhsa_exception_fp_ieee_overflow 0
		.amdhsa_exception_fp_ieee_underflow 0
		.amdhsa_exception_fp_ieee_inexact 0
		.amdhsa_exception_int_div_zero 0
	.end_amdhsa_kernel
	.section	.text._ZN7rocprim17ROCPRIM_400000_NS6detail17trampoline_kernelINS0_14default_configENS1_38merge_sort_block_merge_config_selectorItNS0_10empty_typeEEEZZNS1_27merge_sort_block_merge_implIS3_N6thrust23THRUST_200600_302600_NS6detail15normal_iteratorINS9_10device_ptrItEEEEPS5_jNS1_19radix_merge_compareILb0ELb0EtNS0_19identity_decomposerEEEEE10hipError_tT0_T1_T2_jT3_P12ihipStream_tbPNSt15iterator_traitsISK_E10value_typeEPNSQ_ISL_E10value_typeEPSM_NS1_7vsmem_tEENKUlT_SK_SL_SM_E_clISE_PtSF_SF_EESJ_SZ_SK_SL_SM_EUlSZ_E0_NS1_11comp_targetILNS1_3genE2ELNS1_11target_archE906ELNS1_3gpuE6ELNS1_3repE0EEENS1_38merge_mergepath_config_static_selectorELNS0_4arch9wavefront6targetE1EEEvSL_,"axG",@progbits,_ZN7rocprim17ROCPRIM_400000_NS6detail17trampoline_kernelINS0_14default_configENS1_38merge_sort_block_merge_config_selectorItNS0_10empty_typeEEEZZNS1_27merge_sort_block_merge_implIS3_N6thrust23THRUST_200600_302600_NS6detail15normal_iteratorINS9_10device_ptrItEEEEPS5_jNS1_19radix_merge_compareILb0ELb0EtNS0_19identity_decomposerEEEEE10hipError_tT0_T1_T2_jT3_P12ihipStream_tbPNSt15iterator_traitsISK_E10value_typeEPNSQ_ISL_E10value_typeEPSM_NS1_7vsmem_tEENKUlT_SK_SL_SM_E_clISE_PtSF_SF_EESJ_SZ_SK_SL_SM_EUlSZ_E0_NS1_11comp_targetILNS1_3genE2ELNS1_11target_archE906ELNS1_3gpuE6ELNS1_3repE0EEENS1_38merge_mergepath_config_static_selectorELNS0_4arch9wavefront6targetE1EEEvSL_,comdat
.Lfunc_end1243:
	.size	_ZN7rocprim17ROCPRIM_400000_NS6detail17trampoline_kernelINS0_14default_configENS1_38merge_sort_block_merge_config_selectorItNS0_10empty_typeEEEZZNS1_27merge_sort_block_merge_implIS3_N6thrust23THRUST_200600_302600_NS6detail15normal_iteratorINS9_10device_ptrItEEEEPS5_jNS1_19radix_merge_compareILb0ELb0EtNS0_19identity_decomposerEEEEE10hipError_tT0_T1_T2_jT3_P12ihipStream_tbPNSt15iterator_traitsISK_E10value_typeEPNSQ_ISL_E10value_typeEPSM_NS1_7vsmem_tEENKUlT_SK_SL_SM_E_clISE_PtSF_SF_EESJ_SZ_SK_SL_SM_EUlSZ_E0_NS1_11comp_targetILNS1_3genE2ELNS1_11target_archE906ELNS1_3gpuE6ELNS1_3repE0EEENS1_38merge_mergepath_config_static_selectorELNS0_4arch9wavefront6targetE1EEEvSL_, .Lfunc_end1243-_ZN7rocprim17ROCPRIM_400000_NS6detail17trampoline_kernelINS0_14default_configENS1_38merge_sort_block_merge_config_selectorItNS0_10empty_typeEEEZZNS1_27merge_sort_block_merge_implIS3_N6thrust23THRUST_200600_302600_NS6detail15normal_iteratorINS9_10device_ptrItEEEEPS5_jNS1_19radix_merge_compareILb0ELb0EtNS0_19identity_decomposerEEEEE10hipError_tT0_T1_T2_jT3_P12ihipStream_tbPNSt15iterator_traitsISK_E10value_typeEPNSQ_ISL_E10value_typeEPSM_NS1_7vsmem_tEENKUlT_SK_SL_SM_E_clISE_PtSF_SF_EESJ_SZ_SK_SL_SM_EUlSZ_E0_NS1_11comp_targetILNS1_3genE2ELNS1_11target_archE906ELNS1_3gpuE6ELNS1_3repE0EEENS1_38merge_mergepath_config_static_selectorELNS0_4arch9wavefront6targetE1EEEvSL_
                                        ; -- End function
	.section	.AMDGPU.csdata,"",@progbits
; Kernel info:
; codeLenInByte = 0
; NumSgprs: 6
; NumVgprs: 0
; NumAgprs: 0
; TotalNumVgprs: 0
; ScratchSize: 0
; MemoryBound: 0
; FloatMode: 240
; IeeeMode: 1
; LDSByteSize: 0 bytes/workgroup (compile time only)
; SGPRBlocks: 0
; VGPRBlocks: 0
; NumSGPRsForWavesPerEU: 6
; NumVGPRsForWavesPerEU: 1
; AccumOffset: 4
; Occupancy: 8
; WaveLimiterHint : 0
; COMPUTE_PGM_RSRC2:SCRATCH_EN: 0
; COMPUTE_PGM_RSRC2:USER_SGPR: 2
; COMPUTE_PGM_RSRC2:TRAP_HANDLER: 0
; COMPUTE_PGM_RSRC2:TGID_X_EN: 1
; COMPUTE_PGM_RSRC2:TGID_Y_EN: 0
; COMPUTE_PGM_RSRC2:TGID_Z_EN: 0
; COMPUTE_PGM_RSRC2:TIDIG_COMP_CNT: 0
; COMPUTE_PGM_RSRC3_GFX90A:ACCUM_OFFSET: 0
; COMPUTE_PGM_RSRC3_GFX90A:TG_SPLIT: 0
	.section	.text._ZN7rocprim17ROCPRIM_400000_NS6detail17trampoline_kernelINS0_14default_configENS1_38merge_sort_block_merge_config_selectorItNS0_10empty_typeEEEZZNS1_27merge_sort_block_merge_implIS3_N6thrust23THRUST_200600_302600_NS6detail15normal_iteratorINS9_10device_ptrItEEEEPS5_jNS1_19radix_merge_compareILb0ELb0EtNS0_19identity_decomposerEEEEE10hipError_tT0_T1_T2_jT3_P12ihipStream_tbPNSt15iterator_traitsISK_E10value_typeEPNSQ_ISL_E10value_typeEPSM_NS1_7vsmem_tEENKUlT_SK_SL_SM_E_clISE_PtSF_SF_EESJ_SZ_SK_SL_SM_EUlSZ_E0_NS1_11comp_targetILNS1_3genE9ELNS1_11target_archE1100ELNS1_3gpuE3ELNS1_3repE0EEENS1_38merge_mergepath_config_static_selectorELNS0_4arch9wavefront6targetE1EEEvSL_,"axG",@progbits,_ZN7rocprim17ROCPRIM_400000_NS6detail17trampoline_kernelINS0_14default_configENS1_38merge_sort_block_merge_config_selectorItNS0_10empty_typeEEEZZNS1_27merge_sort_block_merge_implIS3_N6thrust23THRUST_200600_302600_NS6detail15normal_iteratorINS9_10device_ptrItEEEEPS5_jNS1_19radix_merge_compareILb0ELb0EtNS0_19identity_decomposerEEEEE10hipError_tT0_T1_T2_jT3_P12ihipStream_tbPNSt15iterator_traitsISK_E10value_typeEPNSQ_ISL_E10value_typeEPSM_NS1_7vsmem_tEENKUlT_SK_SL_SM_E_clISE_PtSF_SF_EESJ_SZ_SK_SL_SM_EUlSZ_E0_NS1_11comp_targetILNS1_3genE9ELNS1_11target_archE1100ELNS1_3gpuE3ELNS1_3repE0EEENS1_38merge_mergepath_config_static_selectorELNS0_4arch9wavefront6targetE1EEEvSL_,comdat
	.protected	_ZN7rocprim17ROCPRIM_400000_NS6detail17trampoline_kernelINS0_14default_configENS1_38merge_sort_block_merge_config_selectorItNS0_10empty_typeEEEZZNS1_27merge_sort_block_merge_implIS3_N6thrust23THRUST_200600_302600_NS6detail15normal_iteratorINS9_10device_ptrItEEEEPS5_jNS1_19radix_merge_compareILb0ELb0EtNS0_19identity_decomposerEEEEE10hipError_tT0_T1_T2_jT3_P12ihipStream_tbPNSt15iterator_traitsISK_E10value_typeEPNSQ_ISL_E10value_typeEPSM_NS1_7vsmem_tEENKUlT_SK_SL_SM_E_clISE_PtSF_SF_EESJ_SZ_SK_SL_SM_EUlSZ_E0_NS1_11comp_targetILNS1_3genE9ELNS1_11target_archE1100ELNS1_3gpuE3ELNS1_3repE0EEENS1_38merge_mergepath_config_static_selectorELNS0_4arch9wavefront6targetE1EEEvSL_ ; -- Begin function _ZN7rocprim17ROCPRIM_400000_NS6detail17trampoline_kernelINS0_14default_configENS1_38merge_sort_block_merge_config_selectorItNS0_10empty_typeEEEZZNS1_27merge_sort_block_merge_implIS3_N6thrust23THRUST_200600_302600_NS6detail15normal_iteratorINS9_10device_ptrItEEEEPS5_jNS1_19radix_merge_compareILb0ELb0EtNS0_19identity_decomposerEEEEE10hipError_tT0_T1_T2_jT3_P12ihipStream_tbPNSt15iterator_traitsISK_E10value_typeEPNSQ_ISL_E10value_typeEPSM_NS1_7vsmem_tEENKUlT_SK_SL_SM_E_clISE_PtSF_SF_EESJ_SZ_SK_SL_SM_EUlSZ_E0_NS1_11comp_targetILNS1_3genE9ELNS1_11target_archE1100ELNS1_3gpuE3ELNS1_3repE0EEENS1_38merge_mergepath_config_static_selectorELNS0_4arch9wavefront6targetE1EEEvSL_
	.globl	_ZN7rocprim17ROCPRIM_400000_NS6detail17trampoline_kernelINS0_14default_configENS1_38merge_sort_block_merge_config_selectorItNS0_10empty_typeEEEZZNS1_27merge_sort_block_merge_implIS3_N6thrust23THRUST_200600_302600_NS6detail15normal_iteratorINS9_10device_ptrItEEEEPS5_jNS1_19radix_merge_compareILb0ELb0EtNS0_19identity_decomposerEEEEE10hipError_tT0_T1_T2_jT3_P12ihipStream_tbPNSt15iterator_traitsISK_E10value_typeEPNSQ_ISL_E10value_typeEPSM_NS1_7vsmem_tEENKUlT_SK_SL_SM_E_clISE_PtSF_SF_EESJ_SZ_SK_SL_SM_EUlSZ_E0_NS1_11comp_targetILNS1_3genE9ELNS1_11target_archE1100ELNS1_3gpuE3ELNS1_3repE0EEENS1_38merge_mergepath_config_static_selectorELNS0_4arch9wavefront6targetE1EEEvSL_
	.p2align	8
	.type	_ZN7rocprim17ROCPRIM_400000_NS6detail17trampoline_kernelINS0_14default_configENS1_38merge_sort_block_merge_config_selectorItNS0_10empty_typeEEEZZNS1_27merge_sort_block_merge_implIS3_N6thrust23THRUST_200600_302600_NS6detail15normal_iteratorINS9_10device_ptrItEEEEPS5_jNS1_19radix_merge_compareILb0ELb0EtNS0_19identity_decomposerEEEEE10hipError_tT0_T1_T2_jT3_P12ihipStream_tbPNSt15iterator_traitsISK_E10value_typeEPNSQ_ISL_E10value_typeEPSM_NS1_7vsmem_tEENKUlT_SK_SL_SM_E_clISE_PtSF_SF_EESJ_SZ_SK_SL_SM_EUlSZ_E0_NS1_11comp_targetILNS1_3genE9ELNS1_11target_archE1100ELNS1_3gpuE3ELNS1_3repE0EEENS1_38merge_mergepath_config_static_selectorELNS0_4arch9wavefront6targetE1EEEvSL_,@function
_ZN7rocprim17ROCPRIM_400000_NS6detail17trampoline_kernelINS0_14default_configENS1_38merge_sort_block_merge_config_selectorItNS0_10empty_typeEEEZZNS1_27merge_sort_block_merge_implIS3_N6thrust23THRUST_200600_302600_NS6detail15normal_iteratorINS9_10device_ptrItEEEEPS5_jNS1_19radix_merge_compareILb0ELb0EtNS0_19identity_decomposerEEEEE10hipError_tT0_T1_T2_jT3_P12ihipStream_tbPNSt15iterator_traitsISK_E10value_typeEPNSQ_ISL_E10value_typeEPSM_NS1_7vsmem_tEENKUlT_SK_SL_SM_E_clISE_PtSF_SF_EESJ_SZ_SK_SL_SM_EUlSZ_E0_NS1_11comp_targetILNS1_3genE9ELNS1_11target_archE1100ELNS1_3gpuE3ELNS1_3repE0EEENS1_38merge_mergepath_config_static_selectorELNS0_4arch9wavefront6targetE1EEEvSL_: ; @_ZN7rocprim17ROCPRIM_400000_NS6detail17trampoline_kernelINS0_14default_configENS1_38merge_sort_block_merge_config_selectorItNS0_10empty_typeEEEZZNS1_27merge_sort_block_merge_implIS3_N6thrust23THRUST_200600_302600_NS6detail15normal_iteratorINS9_10device_ptrItEEEEPS5_jNS1_19radix_merge_compareILb0ELb0EtNS0_19identity_decomposerEEEEE10hipError_tT0_T1_T2_jT3_P12ihipStream_tbPNSt15iterator_traitsISK_E10value_typeEPNSQ_ISL_E10value_typeEPSM_NS1_7vsmem_tEENKUlT_SK_SL_SM_E_clISE_PtSF_SF_EESJ_SZ_SK_SL_SM_EUlSZ_E0_NS1_11comp_targetILNS1_3genE9ELNS1_11target_archE1100ELNS1_3gpuE3ELNS1_3repE0EEENS1_38merge_mergepath_config_static_selectorELNS0_4arch9wavefront6targetE1EEEvSL_
; %bb.0:
	.section	.rodata,"a",@progbits
	.p2align	6, 0x0
	.amdhsa_kernel _ZN7rocprim17ROCPRIM_400000_NS6detail17trampoline_kernelINS0_14default_configENS1_38merge_sort_block_merge_config_selectorItNS0_10empty_typeEEEZZNS1_27merge_sort_block_merge_implIS3_N6thrust23THRUST_200600_302600_NS6detail15normal_iteratorINS9_10device_ptrItEEEEPS5_jNS1_19radix_merge_compareILb0ELb0EtNS0_19identity_decomposerEEEEE10hipError_tT0_T1_T2_jT3_P12ihipStream_tbPNSt15iterator_traitsISK_E10value_typeEPNSQ_ISL_E10value_typeEPSM_NS1_7vsmem_tEENKUlT_SK_SL_SM_E_clISE_PtSF_SF_EESJ_SZ_SK_SL_SM_EUlSZ_E0_NS1_11comp_targetILNS1_3genE9ELNS1_11target_archE1100ELNS1_3gpuE3ELNS1_3repE0EEENS1_38merge_mergepath_config_static_selectorELNS0_4arch9wavefront6targetE1EEEvSL_
		.amdhsa_group_segment_fixed_size 0
		.amdhsa_private_segment_fixed_size 0
		.amdhsa_kernarg_size 64
		.amdhsa_user_sgpr_count 2
		.amdhsa_user_sgpr_dispatch_ptr 0
		.amdhsa_user_sgpr_queue_ptr 0
		.amdhsa_user_sgpr_kernarg_segment_ptr 1
		.amdhsa_user_sgpr_dispatch_id 0
		.amdhsa_user_sgpr_kernarg_preload_length 0
		.amdhsa_user_sgpr_kernarg_preload_offset 0
		.amdhsa_user_sgpr_private_segment_size 0
		.amdhsa_uses_dynamic_stack 0
		.amdhsa_enable_private_segment 0
		.amdhsa_system_sgpr_workgroup_id_x 1
		.amdhsa_system_sgpr_workgroup_id_y 0
		.amdhsa_system_sgpr_workgroup_id_z 0
		.amdhsa_system_sgpr_workgroup_info 0
		.amdhsa_system_vgpr_workitem_id 0
		.amdhsa_next_free_vgpr 1
		.amdhsa_next_free_sgpr 0
		.amdhsa_accum_offset 4
		.amdhsa_reserve_vcc 0
		.amdhsa_float_round_mode_32 0
		.amdhsa_float_round_mode_16_64 0
		.amdhsa_float_denorm_mode_32 3
		.amdhsa_float_denorm_mode_16_64 3
		.amdhsa_dx10_clamp 1
		.amdhsa_ieee_mode 1
		.amdhsa_fp16_overflow 0
		.amdhsa_tg_split 0
		.amdhsa_exception_fp_ieee_invalid_op 0
		.amdhsa_exception_fp_denorm_src 0
		.amdhsa_exception_fp_ieee_div_zero 0
		.amdhsa_exception_fp_ieee_overflow 0
		.amdhsa_exception_fp_ieee_underflow 0
		.amdhsa_exception_fp_ieee_inexact 0
		.amdhsa_exception_int_div_zero 0
	.end_amdhsa_kernel
	.section	.text._ZN7rocprim17ROCPRIM_400000_NS6detail17trampoline_kernelINS0_14default_configENS1_38merge_sort_block_merge_config_selectorItNS0_10empty_typeEEEZZNS1_27merge_sort_block_merge_implIS3_N6thrust23THRUST_200600_302600_NS6detail15normal_iteratorINS9_10device_ptrItEEEEPS5_jNS1_19radix_merge_compareILb0ELb0EtNS0_19identity_decomposerEEEEE10hipError_tT0_T1_T2_jT3_P12ihipStream_tbPNSt15iterator_traitsISK_E10value_typeEPNSQ_ISL_E10value_typeEPSM_NS1_7vsmem_tEENKUlT_SK_SL_SM_E_clISE_PtSF_SF_EESJ_SZ_SK_SL_SM_EUlSZ_E0_NS1_11comp_targetILNS1_3genE9ELNS1_11target_archE1100ELNS1_3gpuE3ELNS1_3repE0EEENS1_38merge_mergepath_config_static_selectorELNS0_4arch9wavefront6targetE1EEEvSL_,"axG",@progbits,_ZN7rocprim17ROCPRIM_400000_NS6detail17trampoline_kernelINS0_14default_configENS1_38merge_sort_block_merge_config_selectorItNS0_10empty_typeEEEZZNS1_27merge_sort_block_merge_implIS3_N6thrust23THRUST_200600_302600_NS6detail15normal_iteratorINS9_10device_ptrItEEEEPS5_jNS1_19radix_merge_compareILb0ELb0EtNS0_19identity_decomposerEEEEE10hipError_tT0_T1_T2_jT3_P12ihipStream_tbPNSt15iterator_traitsISK_E10value_typeEPNSQ_ISL_E10value_typeEPSM_NS1_7vsmem_tEENKUlT_SK_SL_SM_E_clISE_PtSF_SF_EESJ_SZ_SK_SL_SM_EUlSZ_E0_NS1_11comp_targetILNS1_3genE9ELNS1_11target_archE1100ELNS1_3gpuE3ELNS1_3repE0EEENS1_38merge_mergepath_config_static_selectorELNS0_4arch9wavefront6targetE1EEEvSL_,comdat
.Lfunc_end1244:
	.size	_ZN7rocprim17ROCPRIM_400000_NS6detail17trampoline_kernelINS0_14default_configENS1_38merge_sort_block_merge_config_selectorItNS0_10empty_typeEEEZZNS1_27merge_sort_block_merge_implIS3_N6thrust23THRUST_200600_302600_NS6detail15normal_iteratorINS9_10device_ptrItEEEEPS5_jNS1_19radix_merge_compareILb0ELb0EtNS0_19identity_decomposerEEEEE10hipError_tT0_T1_T2_jT3_P12ihipStream_tbPNSt15iterator_traitsISK_E10value_typeEPNSQ_ISL_E10value_typeEPSM_NS1_7vsmem_tEENKUlT_SK_SL_SM_E_clISE_PtSF_SF_EESJ_SZ_SK_SL_SM_EUlSZ_E0_NS1_11comp_targetILNS1_3genE9ELNS1_11target_archE1100ELNS1_3gpuE3ELNS1_3repE0EEENS1_38merge_mergepath_config_static_selectorELNS0_4arch9wavefront6targetE1EEEvSL_, .Lfunc_end1244-_ZN7rocprim17ROCPRIM_400000_NS6detail17trampoline_kernelINS0_14default_configENS1_38merge_sort_block_merge_config_selectorItNS0_10empty_typeEEEZZNS1_27merge_sort_block_merge_implIS3_N6thrust23THRUST_200600_302600_NS6detail15normal_iteratorINS9_10device_ptrItEEEEPS5_jNS1_19radix_merge_compareILb0ELb0EtNS0_19identity_decomposerEEEEE10hipError_tT0_T1_T2_jT3_P12ihipStream_tbPNSt15iterator_traitsISK_E10value_typeEPNSQ_ISL_E10value_typeEPSM_NS1_7vsmem_tEENKUlT_SK_SL_SM_E_clISE_PtSF_SF_EESJ_SZ_SK_SL_SM_EUlSZ_E0_NS1_11comp_targetILNS1_3genE9ELNS1_11target_archE1100ELNS1_3gpuE3ELNS1_3repE0EEENS1_38merge_mergepath_config_static_selectorELNS0_4arch9wavefront6targetE1EEEvSL_
                                        ; -- End function
	.section	.AMDGPU.csdata,"",@progbits
; Kernel info:
; codeLenInByte = 0
; NumSgprs: 6
; NumVgprs: 0
; NumAgprs: 0
; TotalNumVgprs: 0
; ScratchSize: 0
; MemoryBound: 0
; FloatMode: 240
; IeeeMode: 1
; LDSByteSize: 0 bytes/workgroup (compile time only)
; SGPRBlocks: 0
; VGPRBlocks: 0
; NumSGPRsForWavesPerEU: 6
; NumVGPRsForWavesPerEU: 1
; AccumOffset: 4
; Occupancy: 8
; WaveLimiterHint : 0
; COMPUTE_PGM_RSRC2:SCRATCH_EN: 0
; COMPUTE_PGM_RSRC2:USER_SGPR: 2
; COMPUTE_PGM_RSRC2:TRAP_HANDLER: 0
; COMPUTE_PGM_RSRC2:TGID_X_EN: 1
; COMPUTE_PGM_RSRC2:TGID_Y_EN: 0
; COMPUTE_PGM_RSRC2:TGID_Z_EN: 0
; COMPUTE_PGM_RSRC2:TIDIG_COMP_CNT: 0
; COMPUTE_PGM_RSRC3_GFX90A:ACCUM_OFFSET: 0
; COMPUTE_PGM_RSRC3_GFX90A:TG_SPLIT: 0
	.section	.text._ZN7rocprim17ROCPRIM_400000_NS6detail17trampoline_kernelINS0_14default_configENS1_38merge_sort_block_merge_config_selectorItNS0_10empty_typeEEEZZNS1_27merge_sort_block_merge_implIS3_N6thrust23THRUST_200600_302600_NS6detail15normal_iteratorINS9_10device_ptrItEEEEPS5_jNS1_19radix_merge_compareILb0ELb0EtNS0_19identity_decomposerEEEEE10hipError_tT0_T1_T2_jT3_P12ihipStream_tbPNSt15iterator_traitsISK_E10value_typeEPNSQ_ISL_E10value_typeEPSM_NS1_7vsmem_tEENKUlT_SK_SL_SM_E_clISE_PtSF_SF_EESJ_SZ_SK_SL_SM_EUlSZ_E0_NS1_11comp_targetILNS1_3genE8ELNS1_11target_archE1030ELNS1_3gpuE2ELNS1_3repE0EEENS1_38merge_mergepath_config_static_selectorELNS0_4arch9wavefront6targetE1EEEvSL_,"axG",@progbits,_ZN7rocprim17ROCPRIM_400000_NS6detail17trampoline_kernelINS0_14default_configENS1_38merge_sort_block_merge_config_selectorItNS0_10empty_typeEEEZZNS1_27merge_sort_block_merge_implIS3_N6thrust23THRUST_200600_302600_NS6detail15normal_iteratorINS9_10device_ptrItEEEEPS5_jNS1_19radix_merge_compareILb0ELb0EtNS0_19identity_decomposerEEEEE10hipError_tT0_T1_T2_jT3_P12ihipStream_tbPNSt15iterator_traitsISK_E10value_typeEPNSQ_ISL_E10value_typeEPSM_NS1_7vsmem_tEENKUlT_SK_SL_SM_E_clISE_PtSF_SF_EESJ_SZ_SK_SL_SM_EUlSZ_E0_NS1_11comp_targetILNS1_3genE8ELNS1_11target_archE1030ELNS1_3gpuE2ELNS1_3repE0EEENS1_38merge_mergepath_config_static_selectorELNS0_4arch9wavefront6targetE1EEEvSL_,comdat
	.protected	_ZN7rocprim17ROCPRIM_400000_NS6detail17trampoline_kernelINS0_14default_configENS1_38merge_sort_block_merge_config_selectorItNS0_10empty_typeEEEZZNS1_27merge_sort_block_merge_implIS3_N6thrust23THRUST_200600_302600_NS6detail15normal_iteratorINS9_10device_ptrItEEEEPS5_jNS1_19radix_merge_compareILb0ELb0EtNS0_19identity_decomposerEEEEE10hipError_tT0_T1_T2_jT3_P12ihipStream_tbPNSt15iterator_traitsISK_E10value_typeEPNSQ_ISL_E10value_typeEPSM_NS1_7vsmem_tEENKUlT_SK_SL_SM_E_clISE_PtSF_SF_EESJ_SZ_SK_SL_SM_EUlSZ_E0_NS1_11comp_targetILNS1_3genE8ELNS1_11target_archE1030ELNS1_3gpuE2ELNS1_3repE0EEENS1_38merge_mergepath_config_static_selectorELNS0_4arch9wavefront6targetE1EEEvSL_ ; -- Begin function _ZN7rocprim17ROCPRIM_400000_NS6detail17trampoline_kernelINS0_14default_configENS1_38merge_sort_block_merge_config_selectorItNS0_10empty_typeEEEZZNS1_27merge_sort_block_merge_implIS3_N6thrust23THRUST_200600_302600_NS6detail15normal_iteratorINS9_10device_ptrItEEEEPS5_jNS1_19radix_merge_compareILb0ELb0EtNS0_19identity_decomposerEEEEE10hipError_tT0_T1_T2_jT3_P12ihipStream_tbPNSt15iterator_traitsISK_E10value_typeEPNSQ_ISL_E10value_typeEPSM_NS1_7vsmem_tEENKUlT_SK_SL_SM_E_clISE_PtSF_SF_EESJ_SZ_SK_SL_SM_EUlSZ_E0_NS1_11comp_targetILNS1_3genE8ELNS1_11target_archE1030ELNS1_3gpuE2ELNS1_3repE0EEENS1_38merge_mergepath_config_static_selectorELNS0_4arch9wavefront6targetE1EEEvSL_
	.globl	_ZN7rocprim17ROCPRIM_400000_NS6detail17trampoline_kernelINS0_14default_configENS1_38merge_sort_block_merge_config_selectorItNS0_10empty_typeEEEZZNS1_27merge_sort_block_merge_implIS3_N6thrust23THRUST_200600_302600_NS6detail15normal_iteratorINS9_10device_ptrItEEEEPS5_jNS1_19radix_merge_compareILb0ELb0EtNS0_19identity_decomposerEEEEE10hipError_tT0_T1_T2_jT3_P12ihipStream_tbPNSt15iterator_traitsISK_E10value_typeEPNSQ_ISL_E10value_typeEPSM_NS1_7vsmem_tEENKUlT_SK_SL_SM_E_clISE_PtSF_SF_EESJ_SZ_SK_SL_SM_EUlSZ_E0_NS1_11comp_targetILNS1_3genE8ELNS1_11target_archE1030ELNS1_3gpuE2ELNS1_3repE0EEENS1_38merge_mergepath_config_static_selectorELNS0_4arch9wavefront6targetE1EEEvSL_
	.p2align	8
	.type	_ZN7rocprim17ROCPRIM_400000_NS6detail17trampoline_kernelINS0_14default_configENS1_38merge_sort_block_merge_config_selectorItNS0_10empty_typeEEEZZNS1_27merge_sort_block_merge_implIS3_N6thrust23THRUST_200600_302600_NS6detail15normal_iteratorINS9_10device_ptrItEEEEPS5_jNS1_19radix_merge_compareILb0ELb0EtNS0_19identity_decomposerEEEEE10hipError_tT0_T1_T2_jT3_P12ihipStream_tbPNSt15iterator_traitsISK_E10value_typeEPNSQ_ISL_E10value_typeEPSM_NS1_7vsmem_tEENKUlT_SK_SL_SM_E_clISE_PtSF_SF_EESJ_SZ_SK_SL_SM_EUlSZ_E0_NS1_11comp_targetILNS1_3genE8ELNS1_11target_archE1030ELNS1_3gpuE2ELNS1_3repE0EEENS1_38merge_mergepath_config_static_selectorELNS0_4arch9wavefront6targetE1EEEvSL_,@function
_ZN7rocprim17ROCPRIM_400000_NS6detail17trampoline_kernelINS0_14default_configENS1_38merge_sort_block_merge_config_selectorItNS0_10empty_typeEEEZZNS1_27merge_sort_block_merge_implIS3_N6thrust23THRUST_200600_302600_NS6detail15normal_iteratorINS9_10device_ptrItEEEEPS5_jNS1_19radix_merge_compareILb0ELb0EtNS0_19identity_decomposerEEEEE10hipError_tT0_T1_T2_jT3_P12ihipStream_tbPNSt15iterator_traitsISK_E10value_typeEPNSQ_ISL_E10value_typeEPSM_NS1_7vsmem_tEENKUlT_SK_SL_SM_E_clISE_PtSF_SF_EESJ_SZ_SK_SL_SM_EUlSZ_E0_NS1_11comp_targetILNS1_3genE8ELNS1_11target_archE1030ELNS1_3gpuE2ELNS1_3repE0EEENS1_38merge_mergepath_config_static_selectorELNS0_4arch9wavefront6targetE1EEEvSL_: ; @_ZN7rocprim17ROCPRIM_400000_NS6detail17trampoline_kernelINS0_14default_configENS1_38merge_sort_block_merge_config_selectorItNS0_10empty_typeEEEZZNS1_27merge_sort_block_merge_implIS3_N6thrust23THRUST_200600_302600_NS6detail15normal_iteratorINS9_10device_ptrItEEEEPS5_jNS1_19radix_merge_compareILb0ELb0EtNS0_19identity_decomposerEEEEE10hipError_tT0_T1_T2_jT3_P12ihipStream_tbPNSt15iterator_traitsISK_E10value_typeEPNSQ_ISL_E10value_typeEPSM_NS1_7vsmem_tEENKUlT_SK_SL_SM_E_clISE_PtSF_SF_EESJ_SZ_SK_SL_SM_EUlSZ_E0_NS1_11comp_targetILNS1_3genE8ELNS1_11target_archE1030ELNS1_3gpuE2ELNS1_3repE0EEENS1_38merge_mergepath_config_static_selectorELNS0_4arch9wavefront6targetE1EEEvSL_
; %bb.0:
	.section	.rodata,"a",@progbits
	.p2align	6, 0x0
	.amdhsa_kernel _ZN7rocprim17ROCPRIM_400000_NS6detail17trampoline_kernelINS0_14default_configENS1_38merge_sort_block_merge_config_selectorItNS0_10empty_typeEEEZZNS1_27merge_sort_block_merge_implIS3_N6thrust23THRUST_200600_302600_NS6detail15normal_iteratorINS9_10device_ptrItEEEEPS5_jNS1_19radix_merge_compareILb0ELb0EtNS0_19identity_decomposerEEEEE10hipError_tT0_T1_T2_jT3_P12ihipStream_tbPNSt15iterator_traitsISK_E10value_typeEPNSQ_ISL_E10value_typeEPSM_NS1_7vsmem_tEENKUlT_SK_SL_SM_E_clISE_PtSF_SF_EESJ_SZ_SK_SL_SM_EUlSZ_E0_NS1_11comp_targetILNS1_3genE8ELNS1_11target_archE1030ELNS1_3gpuE2ELNS1_3repE0EEENS1_38merge_mergepath_config_static_selectorELNS0_4arch9wavefront6targetE1EEEvSL_
		.amdhsa_group_segment_fixed_size 0
		.amdhsa_private_segment_fixed_size 0
		.amdhsa_kernarg_size 64
		.amdhsa_user_sgpr_count 2
		.amdhsa_user_sgpr_dispatch_ptr 0
		.amdhsa_user_sgpr_queue_ptr 0
		.amdhsa_user_sgpr_kernarg_segment_ptr 1
		.amdhsa_user_sgpr_dispatch_id 0
		.amdhsa_user_sgpr_kernarg_preload_length 0
		.amdhsa_user_sgpr_kernarg_preload_offset 0
		.amdhsa_user_sgpr_private_segment_size 0
		.amdhsa_uses_dynamic_stack 0
		.amdhsa_enable_private_segment 0
		.amdhsa_system_sgpr_workgroup_id_x 1
		.amdhsa_system_sgpr_workgroup_id_y 0
		.amdhsa_system_sgpr_workgroup_id_z 0
		.amdhsa_system_sgpr_workgroup_info 0
		.amdhsa_system_vgpr_workitem_id 0
		.amdhsa_next_free_vgpr 1
		.amdhsa_next_free_sgpr 0
		.amdhsa_accum_offset 4
		.amdhsa_reserve_vcc 0
		.amdhsa_float_round_mode_32 0
		.amdhsa_float_round_mode_16_64 0
		.amdhsa_float_denorm_mode_32 3
		.amdhsa_float_denorm_mode_16_64 3
		.amdhsa_dx10_clamp 1
		.amdhsa_ieee_mode 1
		.amdhsa_fp16_overflow 0
		.amdhsa_tg_split 0
		.amdhsa_exception_fp_ieee_invalid_op 0
		.amdhsa_exception_fp_denorm_src 0
		.amdhsa_exception_fp_ieee_div_zero 0
		.amdhsa_exception_fp_ieee_overflow 0
		.amdhsa_exception_fp_ieee_underflow 0
		.amdhsa_exception_fp_ieee_inexact 0
		.amdhsa_exception_int_div_zero 0
	.end_amdhsa_kernel
	.section	.text._ZN7rocprim17ROCPRIM_400000_NS6detail17trampoline_kernelINS0_14default_configENS1_38merge_sort_block_merge_config_selectorItNS0_10empty_typeEEEZZNS1_27merge_sort_block_merge_implIS3_N6thrust23THRUST_200600_302600_NS6detail15normal_iteratorINS9_10device_ptrItEEEEPS5_jNS1_19radix_merge_compareILb0ELb0EtNS0_19identity_decomposerEEEEE10hipError_tT0_T1_T2_jT3_P12ihipStream_tbPNSt15iterator_traitsISK_E10value_typeEPNSQ_ISL_E10value_typeEPSM_NS1_7vsmem_tEENKUlT_SK_SL_SM_E_clISE_PtSF_SF_EESJ_SZ_SK_SL_SM_EUlSZ_E0_NS1_11comp_targetILNS1_3genE8ELNS1_11target_archE1030ELNS1_3gpuE2ELNS1_3repE0EEENS1_38merge_mergepath_config_static_selectorELNS0_4arch9wavefront6targetE1EEEvSL_,"axG",@progbits,_ZN7rocprim17ROCPRIM_400000_NS6detail17trampoline_kernelINS0_14default_configENS1_38merge_sort_block_merge_config_selectorItNS0_10empty_typeEEEZZNS1_27merge_sort_block_merge_implIS3_N6thrust23THRUST_200600_302600_NS6detail15normal_iteratorINS9_10device_ptrItEEEEPS5_jNS1_19radix_merge_compareILb0ELb0EtNS0_19identity_decomposerEEEEE10hipError_tT0_T1_T2_jT3_P12ihipStream_tbPNSt15iterator_traitsISK_E10value_typeEPNSQ_ISL_E10value_typeEPSM_NS1_7vsmem_tEENKUlT_SK_SL_SM_E_clISE_PtSF_SF_EESJ_SZ_SK_SL_SM_EUlSZ_E0_NS1_11comp_targetILNS1_3genE8ELNS1_11target_archE1030ELNS1_3gpuE2ELNS1_3repE0EEENS1_38merge_mergepath_config_static_selectorELNS0_4arch9wavefront6targetE1EEEvSL_,comdat
.Lfunc_end1245:
	.size	_ZN7rocprim17ROCPRIM_400000_NS6detail17trampoline_kernelINS0_14default_configENS1_38merge_sort_block_merge_config_selectorItNS0_10empty_typeEEEZZNS1_27merge_sort_block_merge_implIS3_N6thrust23THRUST_200600_302600_NS6detail15normal_iteratorINS9_10device_ptrItEEEEPS5_jNS1_19radix_merge_compareILb0ELb0EtNS0_19identity_decomposerEEEEE10hipError_tT0_T1_T2_jT3_P12ihipStream_tbPNSt15iterator_traitsISK_E10value_typeEPNSQ_ISL_E10value_typeEPSM_NS1_7vsmem_tEENKUlT_SK_SL_SM_E_clISE_PtSF_SF_EESJ_SZ_SK_SL_SM_EUlSZ_E0_NS1_11comp_targetILNS1_3genE8ELNS1_11target_archE1030ELNS1_3gpuE2ELNS1_3repE0EEENS1_38merge_mergepath_config_static_selectorELNS0_4arch9wavefront6targetE1EEEvSL_, .Lfunc_end1245-_ZN7rocprim17ROCPRIM_400000_NS6detail17trampoline_kernelINS0_14default_configENS1_38merge_sort_block_merge_config_selectorItNS0_10empty_typeEEEZZNS1_27merge_sort_block_merge_implIS3_N6thrust23THRUST_200600_302600_NS6detail15normal_iteratorINS9_10device_ptrItEEEEPS5_jNS1_19radix_merge_compareILb0ELb0EtNS0_19identity_decomposerEEEEE10hipError_tT0_T1_T2_jT3_P12ihipStream_tbPNSt15iterator_traitsISK_E10value_typeEPNSQ_ISL_E10value_typeEPSM_NS1_7vsmem_tEENKUlT_SK_SL_SM_E_clISE_PtSF_SF_EESJ_SZ_SK_SL_SM_EUlSZ_E0_NS1_11comp_targetILNS1_3genE8ELNS1_11target_archE1030ELNS1_3gpuE2ELNS1_3repE0EEENS1_38merge_mergepath_config_static_selectorELNS0_4arch9wavefront6targetE1EEEvSL_
                                        ; -- End function
	.section	.AMDGPU.csdata,"",@progbits
; Kernel info:
; codeLenInByte = 0
; NumSgprs: 6
; NumVgprs: 0
; NumAgprs: 0
; TotalNumVgprs: 0
; ScratchSize: 0
; MemoryBound: 0
; FloatMode: 240
; IeeeMode: 1
; LDSByteSize: 0 bytes/workgroup (compile time only)
; SGPRBlocks: 0
; VGPRBlocks: 0
; NumSGPRsForWavesPerEU: 6
; NumVGPRsForWavesPerEU: 1
; AccumOffset: 4
; Occupancy: 8
; WaveLimiterHint : 0
; COMPUTE_PGM_RSRC2:SCRATCH_EN: 0
; COMPUTE_PGM_RSRC2:USER_SGPR: 2
; COMPUTE_PGM_RSRC2:TRAP_HANDLER: 0
; COMPUTE_PGM_RSRC2:TGID_X_EN: 1
; COMPUTE_PGM_RSRC2:TGID_Y_EN: 0
; COMPUTE_PGM_RSRC2:TGID_Z_EN: 0
; COMPUTE_PGM_RSRC2:TIDIG_COMP_CNT: 0
; COMPUTE_PGM_RSRC3_GFX90A:ACCUM_OFFSET: 0
; COMPUTE_PGM_RSRC3_GFX90A:TG_SPLIT: 0
	.section	.text._ZN7rocprim17ROCPRIM_400000_NS6detail17trampoline_kernelINS0_14default_configENS1_38merge_sort_block_merge_config_selectorItNS0_10empty_typeEEEZZNS1_27merge_sort_block_merge_implIS3_N6thrust23THRUST_200600_302600_NS6detail15normal_iteratorINS9_10device_ptrItEEEEPS5_jNS1_19radix_merge_compareILb0ELb0EtNS0_19identity_decomposerEEEEE10hipError_tT0_T1_T2_jT3_P12ihipStream_tbPNSt15iterator_traitsISK_E10value_typeEPNSQ_ISL_E10value_typeEPSM_NS1_7vsmem_tEENKUlT_SK_SL_SM_E_clISE_PtSF_SF_EESJ_SZ_SK_SL_SM_EUlSZ_E1_NS1_11comp_targetILNS1_3genE0ELNS1_11target_archE4294967295ELNS1_3gpuE0ELNS1_3repE0EEENS1_36merge_oddeven_config_static_selectorELNS0_4arch9wavefront6targetE1EEEvSL_,"axG",@progbits,_ZN7rocprim17ROCPRIM_400000_NS6detail17trampoline_kernelINS0_14default_configENS1_38merge_sort_block_merge_config_selectorItNS0_10empty_typeEEEZZNS1_27merge_sort_block_merge_implIS3_N6thrust23THRUST_200600_302600_NS6detail15normal_iteratorINS9_10device_ptrItEEEEPS5_jNS1_19radix_merge_compareILb0ELb0EtNS0_19identity_decomposerEEEEE10hipError_tT0_T1_T2_jT3_P12ihipStream_tbPNSt15iterator_traitsISK_E10value_typeEPNSQ_ISL_E10value_typeEPSM_NS1_7vsmem_tEENKUlT_SK_SL_SM_E_clISE_PtSF_SF_EESJ_SZ_SK_SL_SM_EUlSZ_E1_NS1_11comp_targetILNS1_3genE0ELNS1_11target_archE4294967295ELNS1_3gpuE0ELNS1_3repE0EEENS1_36merge_oddeven_config_static_selectorELNS0_4arch9wavefront6targetE1EEEvSL_,comdat
	.protected	_ZN7rocprim17ROCPRIM_400000_NS6detail17trampoline_kernelINS0_14default_configENS1_38merge_sort_block_merge_config_selectorItNS0_10empty_typeEEEZZNS1_27merge_sort_block_merge_implIS3_N6thrust23THRUST_200600_302600_NS6detail15normal_iteratorINS9_10device_ptrItEEEEPS5_jNS1_19radix_merge_compareILb0ELb0EtNS0_19identity_decomposerEEEEE10hipError_tT0_T1_T2_jT3_P12ihipStream_tbPNSt15iterator_traitsISK_E10value_typeEPNSQ_ISL_E10value_typeEPSM_NS1_7vsmem_tEENKUlT_SK_SL_SM_E_clISE_PtSF_SF_EESJ_SZ_SK_SL_SM_EUlSZ_E1_NS1_11comp_targetILNS1_3genE0ELNS1_11target_archE4294967295ELNS1_3gpuE0ELNS1_3repE0EEENS1_36merge_oddeven_config_static_selectorELNS0_4arch9wavefront6targetE1EEEvSL_ ; -- Begin function _ZN7rocprim17ROCPRIM_400000_NS6detail17trampoline_kernelINS0_14default_configENS1_38merge_sort_block_merge_config_selectorItNS0_10empty_typeEEEZZNS1_27merge_sort_block_merge_implIS3_N6thrust23THRUST_200600_302600_NS6detail15normal_iteratorINS9_10device_ptrItEEEEPS5_jNS1_19radix_merge_compareILb0ELb0EtNS0_19identity_decomposerEEEEE10hipError_tT0_T1_T2_jT3_P12ihipStream_tbPNSt15iterator_traitsISK_E10value_typeEPNSQ_ISL_E10value_typeEPSM_NS1_7vsmem_tEENKUlT_SK_SL_SM_E_clISE_PtSF_SF_EESJ_SZ_SK_SL_SM_EUlSZ_E1_NS1_11comp_targetILNS1_3genE0ELNS1_11target_archE4294967295ELNS1_3gpuE0ELNS1_3repE0EEENS1_36merge_oddeven_config_static_selectorELNS0_4arch9wavefront6targetE1EEEvSL_
	.globl	_ZN7rocprim17ROCPRIM_400000_NS6detail17trampoline_kernelINS0_14default_configENS1_38merge_sort_block_merge_config_selectorItNS0_10empty_typeEEEZZNS1_27merge_sort_block_merge_implIS3_N6thrust23THRUST_200600_302600_NS6detail15normal_iteratorINS9_10device_ptrItEEEEPS5_jNS1_19radix_merge_compareILb0ELb0EtNS0_19identity_decomposerEEEEE10hipError_tT0_T1_T2_jT3_P12ihipStream_tbPNSt15iterator_traitsISK_E10value_typeEPNSQ_ISL_E10value_typeEPSM_NS1_7vsmem_tEENKUlT_SK_SL_SM_E_clISE_PtSF_SF_EESJ_SZ_SK_SL_SM_EUlSZ_E1_NS1_11comp_targetILNS1_3genE0ELNS1_11target_archE4294967295ELNS1_3gpuE0ELNS1_3repE0EEENS1_36merge_oddeven_config_static_selectorELNS0_4arch9wavefront6targetE1EEEvSL_
	.p2align	8
	.type	_ZN7rocprim17ROCPRIM_400000_NS6detail17trampoline_kernelINS0_14default_configENS1_38merge_sort_block_merge_config_selectorItNS0_10empty_typeEEEZZNS1_27merge_sort_block_merge_implIS3_N6thrust23THRUST_200600_302600_NS6detail15normal_iteratorINS9_10device_ptrItEEEEPS5_jNS1_19radix_merge_compareILb0ELb0EtNS0_19identity_decomposerEEEEE10hipError_tT0_T1_T2_jT3_P12ihipStream_tbPNSt15iterator_traitsISK_E10value_typeEPNSQ_ISL_E10value_typeEPSM_NS1_7vsmem_tEENKUlT_SK_SL_SM_E_clISE_PtSF_SF_EESJ_SZ_SK_SL_SM_EUlSZ_E1_NS1_11comp_targetILNS1_3genE0ELNS1_11target_archE4294967295ELNS1_3gpuE0ELNS1_3repE0EEENS1_36merge_oddeven_config_static_selectorELNS0_4arch9wavefront6targetE1EEEvSL_,@function
_ZN7rocprim17ROCPRIM_400000_NS6detail17trampoline_kernelINS0_14default_configENS1_38merge_sort_block_merge_config_selectorItNS0_10empty_typeEEEZZNS1_27merge_sort_block_merge_implIS3_N6thrust23THRUST_200600_302600_NS6detail15normal_iteratorINS9_10device_ptrItEEEEPS5_jNS1_19radix_merge_compareILb0ELb0EtNS0_19identity_decomposerEEEEE10hipError_tT0_T1_T2_jT3_P12ihipStream_tbPNSt15iterator_traitsISK_E10value_typeEPNSQ_ISL_E10value_typeEPSM_NS1_7vsmem_tEENKUlT_SK_SL_SM_E_clISE_PtSF_SF_EESJ_SZ_SK_SL_SM_EUlSZ_E1_NS1_11comp_targetILNS1_3genE0ELNS1_11target_archE4294967295ELNS1_3gpuE0ELNS1_3repE0EEENS1_36merge_oddeven_config_static_selectorELNS0_4arch9wavefront6targetE1EEEvSL_: ; @_ZN7rocprim17ROCPRIM_400000_NS6detail17trampoline_kernelINS0_14default_configENS1_38merge_sort_block_merge_config_selectorItNS0_10empty_typeEEEZZNS1_27merge_sort_block_merge_implIS3_N6thrust23THRUST_200600_302600_NS6detail15normal_iteratorINS9_10device_ptrItEEEEPS5_jNS1_19radix_merge_compareILb0ELb0EtNS0_19identity_decomposerEEEEE10hipError_tT0_T1_T2_jT3_P12ihipStream_tbPNSt15iterator_traitsISK_E10value_typeEPNSQ_ISL_E10value_typeEPSM_NS1_7vsmem_tEENKUlT_SK_SL_SM_E_clISE_PtSF_SF_EESJ_SZ_SK_SL_SM_EUlSZ_E1_NS1_11comp_targetILNS1_3genE0ELNS1_11target_archE4294967295ELNS1_3gpuE0ELNS1_3repE0EEENS1_36merge_oddeven_config_static_selectorELNS0_4arch9wavefront6targetE1EEEvSL_
; %bb.0:
	.section	.rodata,"a",@progbits
	.p2align	6, 0x0
	.amdhsa_kernel _ZN7rocprim17ROCPRIM_400000_NS6detail17trampoline_kernelINS0_14default_configENS1_38merge_sort_block_merge_config_selectorItNS0_10empty_typeEEEZZNS1_27merge_sort_block_merge_implIS3_N6thrust23THRUST_200600_302600_NS6detail15normal_iteratorINS9_10device_ptrItEEEEPS5_jNS1_19radix_merge_compareILb0ELb0EtNS0_19identity_decomposerEEEEE10hipError_tT0_T1_T2_jT3_P12ihipStream_tbPNSt15iterator_traitsISK_E10value_typeEPNSQ_ISL_E10value_typeEPSM_NS1_7vsmem_tEENKUlT_SK_SL_SM_E_clISE_PtSF_SF_EESJ_SZ_SK_SL_SM_EUlSZ_E1_NS1_11comp_targetILNS1_3genE0ELNS1_11target_archE4294967295ELNS1_3gpuE0ELNS1_3repE0EEENS1_36merge_oddeven_config_static_selectorELNS0_4arch9wavefront6targetE1EEEvSL_
		.amdhsa_group_segment_fixed_size 0
		.amdhsa_private_segment_fixed_size 0
		.amdhsa_kernarg_size 48
		.amdhsa_user_sgpr_count 2
		.amdhsa_user_sgpr_dispatch_ptr 0
		.amdhsa_user_sgpr_queue_ptr 0
		.amdhsa_user_sgpr_kernarg_segment_ptr 1
		.amdhsa_user_sgpr_dispatch_id 0
		.amdhsa_user_sgpr_kernarg_preload_length 0
		.amdhsa_user_sgpr_kernarg_preload_offset 0
		.amdhsa_user_sgpr_private_segment_size 0
		.amdhsa_uses_dynamic_stack 0
		.amdhsa_enable_private_segment 0
		.amdhsa_system_sgpr_workgroup_id_x 1
		.amdhsa_system_sgpr_workgroup_id_y 0
		.amdhsa_system_sgpr_workgroup_id_z 0
		.amdhsa_system_sgpr_workgroup_info 0
		.amdhsa_system_vgpr_workitem_id 0
		.amdhsa_next_free_vgpr 1
		.amdhsa_next_free_sgpr 0
		.amdhsa_accum_offset 4
		.amdhsa_reserve_vcc 0
		.amdhsa_float_round_mode_32 0
		.amdhsa_float_round_mode_16_64 0
		.amdhsa_float_denorm_mode_32 3
		.amdhsa_float_denorm_mode_16_64 3
		.amdhsa_dx10_clamp 1
		.amdhsa_ieee_mode 1
		.amdhsa_fp16_overflow 0
		.amdhsa_tg_split 0
		.amdhsa_exception_fp_ieee_invalid_op 0
		.amdhsa_exception_fp_denorm_src 0
		.amdhsa_exception_fp_ieee_div_zero 0
		.amdhsa_exception_fp_ieee_overflow 0
		.amdhsa_exception_fp_ieee_underflow 0
		.amdhsa_exception_fp_ieee_inexact 0
		.amdhsa_exception_int_div_zero 0
	.end_amdhsa_kernel
	.section	.text._ZN7rocprim17ROCPRIM_400000_NS6detail17trampoline_kernelINS0_14default_configENS1_38merge_sort_block_merge_config_selectorItNS0_10empty_typeEEEZZNS1_27merge_sort_block_merge_implIS3_N6thrust23THRUST_200600_302600_NS6detail15normal_iteratorINS9_10device_ptrItEEEEPS5_jNS1_19radix_merge_compareILb0ELb0EtNS0_19identity_decomposerEEEEE10hipError_tT0_T1_T2_jT3_P12ihipStream_tbPNSt15iterator_traitsISK_E10value_typeEPNSQ_ISL_E10value_typeEPSM_NS1_7vsmem_tEENKUlT_SK_SL_SM_E_clISE_PtSF_SF_EESJ_SZ_SK_SL_SM_EUlSZ_E1_NS1_11comp_targetILNS1_3genE0ELNS1_11target_archE4294967295ELNS1_3gpuE0ELNS1_3repE0EEENS1_36merge_oddeven_config_static_selectorELNS0_4arch9wavefront6targetE1EEEvSL_,"axG",@progbits,_ZN7rocprim17ROCPRIM_400000_NS6detail17trampoline_kernelINS0_14default_configENS1_38merge_sort_block_merge_config_selectorItNS0_10empty_typeEEEZZNS1_27merge_sort_block_merge_implIS3_N6thrust23THRUST_200600_302600_NS6detail15normal_iteratorINS9_10device_ptrItEEEEPS5_jNS1_19radix_merge_compareILb0ELb0EtNS0_19identity_decomposerEEEEE10hipError_tT0_T1_T2_jT3_P12ihipStream_tbPNSt15iterator_traitsISK_E10value_typeEPNSQ_ISL_E10value_typeEPSM_NS1_7vsmem_tEENKUlT_SK_SL_SM_E_clISE_PtSF_SF_EESJ_SZ_SK_SL_SM_EUlSZ_E1_NS1_11comp_targetILNS1_3genE0ELNS1_11target_archE4294967295ELNS1_3gpuE0ELNS1_3repE0EEENS1_36merge_oddeven_config_static_selectorELNS0_4arch9wavefront6targetE1EEEvSL_,comdat
.Lfunc_end1246:
	.size	_ZN7rocprim17ROCPRIM_400000_NS6detail17trampoline_kernelINS0_14default_configENS1_38merge_sort_block_merge_config_selectorItNS0_10empty_typeEEEZZNS1_27merge_sort_block_merge_implIS3_N6thrust23THRUST_200600_302600_NS6detail15normal_iteratorINS9_10device_ptrItEEEEPS5_jNS1_19radix_merge_compareILb0ELb0EtNS0_19identity_decomposerEEEEE10hipError_tT0_T1_T2_jT3_P12ihipStream_tbPNSt15iterator_traitsISK_E10value_typeEPNSQ_ISL_E10value_typeEPSM_NS1_7vsmem_tEENKUlT_SK_SL_SM_E_clISE_PtSF_SF_EESJ_SZ_SK_SL_SM_EUlSZ_E1_NS1_11comp_targetILNS1_3genE0ELNS1_11target_archE4294967295ELNS1_3gpuE0ELNS1_3repE0EEENS1_36merge_oddeven_config_static_selectorELNS0_4arch9wavefront6targetE1EEEvSL_, .Lfunc_end1246-_ZN7rocprim17ROCPRIM_400000_NS6detail17trampoline_kernelINS0_14default_configENS1_38merge_sort_block_merge_config_selectorItNS0_10empty_typeEEEZZNS1_27merge_sort_block_merge_implIS3_N6thrust23THRUST_200600_302600_NS6detail15normal_iteratorINS9_10device_ptrItEEEEPS5_jNS1_19radix_merge_compareILb0ELb0EtNS0_19identity_decomposerEEEEE10hipError_tT0_T1_T2_jT3_P12ihipStream_tbPNSt15iterator_traitsISK_E10value_typeEPNSQ_ISL_E10value_typeEPSM_NS1_7vsmem_tEENKUlT_SK_SL_SM_E_clISE_PtSF_SF_EESJ_SZ_SK_SL_SM_EUlSZ_E1_NS1_11comp_targetILNS1_3genE0ELNS1_11target_archE4294967295ELNS1_3gpuE0ELNS1_3repE0EEENS1_36merge_oddeven_config_static_selectorELNS0_4arch9wavefront6targetE1EEEvSL_
                                        ; -- End function
	.section	.AMDGPU.csdata,"",@progbits
; Kernel info:
; codeLenInByte = 0
; NumSgprs: 6
; NumVgprs: 0
; NumAgprs: 0
; TotalNumVgprs: 0
; ScratchSize: 0
; MemoryBound: 0
; FloatMode: 240
; IeeeMode: 1
; LDSByteSize: 0 bytes/workgroup (compile time only)
; SGPRBlocks: 0
; VGPRBlocks: 0
; NumSGPRsForWavesPerEU: 6
; NumVGPRsForWavesPerEU: 1
; AccumOffset: 4
; Occupancy: 8
; WaveLimiterHint : 0
; COMPUTE_PGM_RSRC2:SCRATCH_EN: 0
; COMPUTE_PGM_RSRC2:USER_SGPR: 2
; COMPUTE_PGM_RSRC2:TRAP_HANDLER: 0
; COMPUTE_PGM_RSRC2:TGID_X_EN: 1
; COMPUTE_PGM_RSRC2:TGID_Y_EN: 0
; COMPUTE_PGM_RSRC2:TGID_Z_EN: 0
; COMPUTE_PGM_RSRC2:TIDIG_COMP_CNT: 0
; COMPUTE_PGM_RSRC3_GFX90A:ACCUM_OFFSET: 0
; COMPUTE_PGM_RSRC3_GFX90A:TG_SPLIT: 0
	.section	.text._ZN7rocprim17ROCPRIM_400000_NS6detail17trampoline_kernelINS0_14default_configENS1_38merge_sort_block_merge_config_selectorItNS0_10empty_typeEEEZZNS1_27merge_sort_block_merge_implIS3_N6thrust23THRUST_200600_302600_NS6detail15normal_iteratorINS9_10device_ptrItEEEEPS5_jNS1_19radix_merge_compareILb0ELb0EtNS0_19identity_decomposerEEEEE10hipError_tT0_T1_T2_jT3_P12ihipStream_tbPNSt15iterator_traitsISK_E10value_typeEPNSQ_ISL_E10value_typeEPSM_NS1_7vsmem_tEENKUlT_SK_SL_SM_E_clISE_PtSF_SF_EESJ_SZ_SK_SL_SM_EUlSZ_E1_NS1_11comp_targetILNS1_3genE10ELNS1_11target_archE1201ELNS1_3gpuE5ELNS1_3repE0EEENS1_36merge_oddeven_config_static_selectorELNS0_4arch9wavefront6targetE1EEEvSL_,"axG",@progbits,_ZN7rocprim17ROCPRIM_400000_NS6detail17trampoline_kernelINS0_14default_configENS1_38merge_sort_block_merge_config_selectorItNS0_10empty_typeEEEZZNS1_27merge_sort_block_merge_implIS3_N6thrust23THRUST_200600_302600_NS6detail15normal_iteratorINS9_10device_ptrItEEEEPS5_jNS1_19radix_merge_compareILb0ELb0EtNS0_19identity_decomposerEEEEE10hipError_tT0_T1_T2_jT3_P12ihipStream_tbPNSt15iterator_traitsISK_E10value_typeEPNSQ_ISL_E10value_typeEPSM_NS1_7vsmem_tEENKUlT_SK_SL_SM_E_clISE_PtSF_SF_EESJ_SZ_SK_SL_SM_EUlSZ_E1_NS1_11comp_targetILNS1_3genE10ELNS1_11target_archE1201ELNS1_3gpuE5ELNS1_3repE0EEENS1_36merge_oddeven_config_static_selectorELNS0_4arch9wavefront6targetE1EEEvSL_,comdat
	.protected	_ZN7rocprim17ROCPRIM_400000_NS6detail17trampoline_kernelINS0_14default_configENS1_38merge_sort_block_merge_config_selectorItNS0_10empty_typeEEEZZNS1_27merge_sort_block_merge_implIS3_N6thrust23THRUST_200600_302600_NS6detail15normal_iteratorINS9_10device_ptrItEEEEPS5_jNS1_19radix_merge_compareILb0ELb0EtNS0_19identity_decomposerEEEEE10hipError_tT0_T1_T2_jT3_P12ihipStream_tbPNSt15iterator_traitsISK_E10value_typeEPNSQ_ISL_E10value_typeEPSM_NS1_7vsmem_tEENKUlT_SK_SL_SM_E_clISE_PtSF_SF_EESJ_SZ_SK_SL_SM_EUlSZ_E1_NS1_11comp_targetILNS1_3genE10ELNS1_11target_archE1201ELNS1_3gpuE5ELNS1_3repE0EEENS1_36merge_oddeven_config_static_selectorELNS0_4arch9wavefront6targetE1EEEvSL_ ; -- Begin function _ZN7rocprim17ROCPRIM_400000_NS6detail17trampoline_kernelINS0_14default_configENS1_38merge_sort_block_merge_config_selectorItNS0_10empty_typeEEEZZNS1_27merge_sort_block_merge_implIS3_N6thrust23THRUST_200600_302600_NS6detail15normal_iteratorINS9_10device_ptrItEEEEPS5_jNS1_19radix_merge_compareILb0ELb0EtNS0_19identity_decomposerEEEEE10hipError_tT0_T1_T2_jT3_P12ihipStream_tbPNSt15iterator_traitsISK_E10value_typeEPNSQ_ISL_E10value_typeEPSM_NS1_7vsmem_tEENKUlT_SK_SL_SM_E_clISE_PtSF_SF_EESJ_SZ_SK_SL_SM_EUlSZ_E1_NS1_11comp_targetILNS1_3genE10ELNS1_11target_archE1201ELNS1_3gpuE5ELNS1_3repE0EEENS1_36merge_oddeven_config_static_selectorELNS0_4arch9wavefront6targetE1EEEvSL_
	.globl	_ZN7rocprim17ROCPRIM_400000_NS6detail17trampoline_kernelINS0_14default_configENS1_38merge_sort_block_merge_config_selectorItNS0_10empty_typeEEEZZNS1_27merge_sort_block_merge_implIS3_N6thrust23THRUST_200600_302600_NS6detail15normal_iteratorINS9_10device_ptrItEEEEPS5_jNS1_19radix_merge_compareILb0ELb0EtNS0_19identity_decomposerEEEEE10hipError_tT0_T1_T2_jT3_P12ihipStream_tbPNSt15iterator_traitsISK_E10value_typeEPNSQ_ISL_E10value_typeEPSM_NS1_7vsmem_tEENKUlT_SK_SL_SM_E_clISE_PtSF_SF_EESJ_SZ_SK_SL_SM_EUlSZ_E1_NS1_11comp_targetILNS1_3genE10ELNS1_11target_archE1201ELNS1_3gpuE5ELNS1_3repE0EEENS1_36merge_oddeven_config_static_selectorELNS0_4arch9wavefront6targetE1EEEvSL_
	.p2align	8
	.type	_ZN7rocprim17ROCPRIM_400000_NS6detail17trampoline_kernelINS0_14default_configENS1_38merge_sort_block_merge_config_selectorItNS0_10empty_typeEEEZZNS1_27merge_sort_block_merge_implIS3_N6thrust23THRUST_200600_302600_NS6detail15normal_iteratorINS9_10device_ptrItEEEEPS5_jNS1_19radix_merge_compareILb0ELb0EtNS0_19identity_decomposerEEEEE10hipError_tT0_T1_T2_jT3_P12ihipStream_tbPNSt15iterator_traitsISK_E10value_typeEPNSQ_ISL_E10value_typeEPSM_NS1_7vsmem_tEENKUlT_SK_SL_SM_E_clISE_PtSF_SF_EESJ_SZ_SK_SL_SM_EUlSZ_E1_NS1_11comp_targetILNS1_3genE10ELNS1_11target_archE1201ELNS1_3gpuE5ELNS1_3repE0EEENS1_36merge_oddeven_config_static_selectorELNS0_4arch9wavefront6targetE1EEEvSL_,@function
_ZN7rocprim17ROCPRIM_400000_NS6detail17trampoline_kernelINS0_14default_configENS1_38merge_sort_block_merge_config_selectorItNS0_10empty_typeEEEZZNS1_27merge_sort_block_merge_implIS3_N6thrust23THRUST_200600_302600_NS6detail15normal_iteratorINS9_10device_ptrItEEEEPS5_jNS1_19radix_merge_compareILb0ELb0EtNS0_19identity_decomposerEEEEE10hipError_tT0_T1_T2_jT3_P12ihipStream_tbPNSt15iterator_traitsISK_E10value_typeEPNSQ_ISL_E10value_typeEPSM_NS1_7vsmem_tEENKUlT_SK_SL_SM_E_clISE_PtSF_SF_EESJ_SZ_SK_SL_SM_EUlSZ_E1_NS1_11comp_targetILNS1_3genE10ELNS1_11target_archE1201ELNS1_3gpuE5ELNS1_3repE0EEENS1_36merge_oddeven_config_static_selectorELNS0_4arch9wavefront6targetE1EEEvSL_: ; @_ZN7rocprim17ROCPRIM_400000_NS6detail17trampoline_kernelINS0_14default_configENS1_38merge_sort_block_merge_config_selectorItNS0_10empty_typeEEEZZNS1_27merge_sort_block_merge_implIS3_N6thrust23THRUST_200600_302600_NS6detail15normal_iteratorINS9_10device_ptrItEEEEPS5_jNS1_19radix_merge_compareILb0ELb0EtNS0_19identity_decomposerEEEEE10hipError_tT0_T1_T2_jT3_P12ihipStream_tbPNSt15iterator_traitsISK_E10value_typeEPNSQ_ISL_E10value_typeEPSM_NS1_7vsmem_tEENKUlT_SK_SL_SM_E_clISE_PtSF_SF_EESJ_SZ_SK_SL_SM_EUlSZ_E1_NS1_11comp_targetILNS1_3genE10ELNS1_11target_archE1201ELNS1_3gpuE5ELNS1_3repE0EEENS1_36merge_oddeven_config_static_selectorELNS0_4arch9wavefront6targetE1EEEvSL_
; %bb.0:
	.section	.rodata,"a",@progbits
	.p2align	6, 0x0
	.amdhsa_kernel _ZN7rocprim17ROCPRIM_400000_NS6detail17trampoline_kernelINS0_14default_configENS1_38merge_sort_block_merge_config_selectorItNS0_10empty_typeEEEZZNS1_27merge_sort_block_merge_implIS3_N6thrust23THRUST_200600_302600_NS6detail15normal_iteratorINS9_10device_ptrItEEEEPS5_jNS1_19radix_merge_compareILb0ELb0EtNS0_19identity_decomposerEEEEE10hipError_tT0_T1_T2_jT3_P12ihipStream_tbPNSt15iterator_traitsISK_E10value_typeEPNSQ_ISL_E10value_typeEPSM_NS1_7vsmem_tEENKUlT_SK_SL_SM_E_clISE_PtSF_SF_EESJ_SZ_SK_SL_SM_EUlSZ_E1_NS1_11comp_targetILNS1_3genE10ELNS1_11target_archE1201ELNS1_3gpuE5ELNS1_3repE0EEENS1_36merge_oddeven_config_static_selectorELNS0_4arch9wavefront6targetE1EEEvSL_
		.amdhsa_group_segment_fixed_size 0
		.amdhsa_private_segment_fixed_size 0
		.amdhsa_kernarg_size 48
		.amdhsa_user_sgpr_count 2
		.amdhsa_user_sgpr_dispatch_ptr 0
		.amdhsa_user_sgpr_queue_ptr 0
		.amdhsa_user_sgpr_kernarg_segment_ptr 1
		.amdhsa_user_sgpr_dispatch_id 0
		.amdhsa_user_sgpr_kernarg_preload_length 0
		.amdhsa_user_sgpr_kernarg_preload_offset 0
		.amdhsa_user_sgpr_private_segment_size 0
		.amdhsa_uses_dynamic_stack 0
		.amdhsa_enable_private_segment 0
		.amdhsa_system_sgpr_workgroup_id_x 1
		.amdhsa_system_sgpr_workgroup_id_y 0
		.amdhsa_system_sgpr_workgroup_id_z 0
		.amdhsa_system_sgpr_workgroup_info 0
		.amdhsa_system_vgpr_workitem_id 0
		.amdhsa_next_free_vgpr 1
		.amdhsa_next_free_sgpr 0
		.amdhsa_accum_offset 4
		.amdhsa_reserve_vcc 0
		.amdhsa_float_round_mode_32 0
		.amdhsa_float_round_mode_16_64 0
		.amdhsa_float_denorm_mode_32 3
		.amdhsa_float_denorm_mode_16_64 3
		.amdhsa_dx10_clamp 1
		.amdhsa_ieee_mode 1
		.amdhsa_fp16_overflow 0
		.amdhsa_tg_split 0
		.amdhsa_exception_fp_ieee_invalid_op 0
		.amdhsa_exception_fp_denorm_src 0
		.amdhsa_exception_fp_ieee_div_zero 0
		.amdhsa_exception_fp_ieee_overflow 0
		.amdhsa_exception_fp_ieee_underflow 0
		.amdhsa_exception_fp_ieee_inexact 0
		.amdhsa_exception_int_div_zero 0
	.end_amdhsa_kernel
	.section	.text._ZN7rocprim17ROCPRIM_400000_NS6detail17trampoline_kernelINS0_14default_configENS1_38merge_sort_block_merge_config_selectorItNS0_10empty_typeEEEZZNS1_27merge_sort_block_merge_implIS3_N6thrust23THRUST_200600_302600_NS6detail15normal_iteratorINS9_10device_ptrItEEEEPS5_jNS1_19radix_merge_compareILb0ELb0EtNS0_19identity_decomposerEEEEE10hipError_tT0_T1_T2_jT3_P12ihipStream_tbPNSt15iterator_traitsISK_E10value_typeEPNSQ_ISL_E10value_typeEPSM_NS1_7vsmem_tEENKUlT_SK_SL_SM_E_clISE_PtSF_SF_EESJ_SZ_SK_SL_SM_EUlSZ_E1_NS1_11comp_targetILNS1_3genE10ELNS1_11target_archE1201ELNS1_3gpuE5ELNS1_3repE0EEENS1_36merge_oddeven_config_static_selectorELNS0_4arch9wavefront6targetE1EEEvSL_,"axG",@progbits,_ZN7rocprim17ROCPRIM_400000_NS6detail17trampoline_kernelINS0_14default_configENS1_38merge_sort_block_merge_config_selectorItNS0_10empty_typeEEEZZNS1_27merge_sort_block_merge_implIS3_N6thrust23THRUST_200600_302600_NS6detail15normal_iteratorINS9_10device_ptrItEEEEPS5_jNS1_19radix_merge_compareILb0ELb0EtNS0_19identity_decomposerEEEEE10hipError_tT0_T1_T2_jT3_P12ihipStream_tbPNSt15iterator_traitsISK_E10value_typeEPNSQ_ISL_E10value_typeEPSM_NS1_7vsmem_tEENKUlT_SK_SL_SM_E_clISE_PtSF_SF_EESJ_SZ_SK_SL_SM_EUlSZ_E1_NS1_11comp_targetILNS1_3genE10ELNS1_11target_archE1201ELNS1_3gpuE5ELNS1_3repE0EEENS1_36merge_oddeven_config_static_selectorELNS0_4arch9wavefront6targetE1EEEvSL_,comdat
.Lfunc_end1247:
	.size	_ZN7rocprim17ROCPRIM_400000_NS6detail17trampoline_kernelINS0_14default_configENS1_38merge_sort_block_merge_config_selectorItNS0_10empty_typeEEEZZNS1_27merge_sort_block_merge_implIS3_N6thrust23THRUST_200600_302600_NS6detail15normal_iteratorINS9_10device_ptrItEEEEPS5_jNS1_19radix_merge_compareILb0ELb0EtNS0_19identity_decomposerEEEEE10hipError_tT0_T1_T2_jT3_P12ihipStream_tbPNSt15iterator_traitsISK_E10value_typeEPNSQ_ISL_E10value_typeEPSM_NS1_7vsmem_tEENKUlT_SK_SL_SM_E_clISE_PtSF_SF_EESJ_SZ_SK_SL_SM_EUlSZ_E1_NS1_11comp_targetILNS1_3genE10ELNS1_11target_archE1201ELNS1_3gpuE5ELNS1_3repE0EEENS1_36merge_oddeven_config_static_selectorELNS0_4arch9wavefront6targetE1EEEvSL_, .Lfunc_end1247-_ZN7rocprim17ROCPRIM_400000_NS6detail17trampoline_kernelINS0_14default_configENS1_38merge_sort_block_merge_config_selectorItNS0_10empty_typeEEEZZNS1_27merge_sort_block_merge_implIS3_N6thrust23THRUST_200600_302600_NS6detail15normal_iteratorINS9_10device_ptrItEEEEPS5_jNS1_19radix_merge_compareILb0ELb0EtNS0_19identity_decomposerEEEEE10hipError_tT0_T1_T2_jT3_P12ihipStream_tbPNSt15iterator_traitsISK_E10value_typeEPNSQ_ISL_E10value_typeEPSM_NS1_7vsmem_tEENKUlT_SK_SL_SM_E_clISE_PtSF_SF_EESJ_SZ_SK_SL_SM_EUlSZ_E1_NS1_11comp_targetILNS1_3genE10ELNS1_11target_archE1201ELNS1_3gpuE5ELNS1_3repE0EEENS1_36merge_oddeven_config_static_selectorELNS0_4arch9wavefront6targetE1EEEvSL_
                                        ; -- End function
	.section	.AMDGPU.csdata,"",@progbits
; Kernel info:
; codeLenInByte = 0
; NumSgprs: 6
; NumVgprs: 0
; NumAgprs: 0
; TotalNumVgprs: 0
; ScratchSize: 0
; MemoryBound: 0
; FloatMode: 240
; IeeeMode: 1
; LDSByteSize: 0 bytes/workgroup (compile time only)
; SGPRBlocks: 0
; VGPRBlocks: 0
; NumSGPRsForWavesPerEU: 6
; NumVGPRsForWavesPerEU: 1
; AccumOffset: 4
; Occupancy: 8
; WaveLimiterHint : 0
; COMPUTE_PGM_RSRC2:SCRATCH_EN: 0
; COMPUTE_PGM_RSRC2:USER_SGPR: 2
; COMPUTE_PGM_RSRC2:TRAP_HANDLER: 0
; COMPUTE_PGM_RSRC2:TGID_X_EN: 1
; COMPUTE_PGM_RSRC2:TGID_Y_EN: 0
; COMPUTE_PGM_RSRC2:TGID_Z_EN: 0
; COMPUTE_PGM_RSRC2:TIDIG_COMP_CNT: 0
; COMPUTE_PGM_RSRC3_GFX90A:ACCUM_OFFSET: 0
; COMPUTE_PGM_RSRC3_GFX90A:TG_SPLIT: 0
	.section	.text._ZN7rocprim17ROCPRIM_400000_NS6detail17trampoline_kernelINS0_14default_configENS1_38merge_sort_block_merge_config_selectorItNS0_10empty_typeEEEZZNS1_27merge_sort_block_merge_implIS3_N6thrust23THRUST_200600_302600_NS6detail15normal_iteratorINS9_10device_ptrItEEEEPS5_jNS1_19radix_merge_compareILb0ELb0EtNS0_19identity_decomposerEEEEE10hipError_tT0_T1_T2_jT3_P12ihipStream_tbPNSt15iterator_traitsISK_E10value_typeEPNSQ_ISL_E10value_typeEPSM_NS1_7vsmem_tEENKUlT_SK_SL_SM_E_clISE_PtSF_SF_EESJ_SZ_SK_SL_SM_EUlSZ_E1_NS1_11comp_targetILNS1_3genE5ELNS1_11target_archE942ELNS1_3gpuE9ELNS1_3repE0EEENS1_36merge_oddeven_config_static_selectorELNS0_4arch9wavefront6targetE1EEEvSL_,"axG",@progbits,_ZN7rocprim17ROCPRIM_400000_NS6detail17trampoline_kernelINS0_14default_configENS1_38merge_sort_block_merge_config_selectorItNS0_10empty_typeEEEZZNS1_27merge_sort_block_merge_implIS3_N6thrust23THRUST_200600_302600_NS6detail15normal_iteratorINS9_10device_ptrItEEEEPS5_jNS1_19radix_merge_compareILb0ELb0EtNS0_19identity_decomposerEEEEE10hipError_tT0_T1_T2_jT3_P12ihipStream_tbPNSt15iterator_traitsISK_E10value_typeEPNSQ_ISL_E10value_typeEPSM_NS1_7vsmem_tEENKUlT_SK_SL_SM_E_clISE_PtSF_SF_EESJ_SZ_SK_SL_SM_EUlSZ_E1_NS1_11comp_targetILNS1_3genE5ELNS1_11target_archE942ELNS1_3gpuE9ELNS1_3repE0EEENS1_36merge_oddeven_config_static_selectorELNS0_4arch9wavefront6targetE1EEEvSL_,comdat
	.protected	_ZN7rocprim17ROCPRIM_400000_NS6detail17trampoline_kernelINS0_14default_configENS1_38merge_sort_block_merge_config_selectorItNS0_10empty_typeEEEZZNS1_27merge_sort_block_merge_implIS3_N6thrust23THRUST_200600_302600_NS6detail15normal_iteratorINS9_10device_ptrItEEEEPS5_jNS1_19radix_merge_compareILb0ELb0EtNS0_19identity_decomposerEEEEE10hipError_tT0_T1_T2_jT3_P12ihipStream_tbPNSt15iterator_traitsISK_E10value_typeEPNSQ_ISL_E10value_typeEPSM_NS1_7vsmem_tEENKUlT_SK_SL_SM_E_clISE_PtSF_SF_EESJ_SZ_SK_SL_SM_EUlSZ_E1_NS1_11comp_targetILNS1_3genE5ELNS1_11target_archE942ELNS1_3gpuE9ELNS1_3repE0EEENS1_36merge_oddeven_config_static_selectorELNS0_4arch9wavefront6targetE1EEEvSL_ ; -- Begin function _ZN7rocprim17ROCPRIM_400000_NS6detail17trampoline_kernelINS0_14default_configENS1_38merge_sort_block_merge_config_selectorItNS0_10empty_typeEEEZZNS1_27merge_sort_block_merge_implIS3_N6thrust23THRUST_200600_302600_NS6detail15normal_iteratorINS9_10device_ptrItEEEEPS5_jNS1_19radix_merge_compareILb0ELb0EtNS0_19identity_decomposerEEEEE10hipError_tT0_T1_T2_jT3_P12ihipStream_tbPNSt15iterator_traitsISK_E10value_typeEPNSQ_ISL_E10value_typeEPSM_NS1_7vsmem_tEENKUlT_SK_SL_SM_E_clISE_PtSF_SF_EESJ_SZ_SK_SL_SM_EUlSZ_E1_NS1_11comp_targetILNS1_3genE5ELNS1_11target_archE942ELNS1_3gpuE9ELNS1_3repE0EEENS1_36merge_oddeven_config_static_selectorELNS0_4arch9wavefront6targetE1EEEvSL_
	.globl	_ZN7rocprim17ROCPRIM_400000_NS6detail17trampoline_kernelINS0_14default_configENS1_38merge_sort_block_merge_config_selectorItNS0_10empty_typeEEEZZNS1_27merge_sort_block_merge_implIS3_N6thrust23THRUST_200600_302600_NS6detail15normal_iteratorINS9_10device_ptrItEEEEPS5_jNS1_19radix_merge_compareILb0ELb0EtNS0_19identity_decomposerEEEEE10hipError_tT0_T1_T2_jT3_P12ihipStream_tbPNSt15iterator_traitsISK_E10value_typeEPNSQ_ISL_E10value_typeEPSM_NS1_7vsmem_tEENKUlT_SK_SL_SM_E_clISE_PtSF_SF_EESJ_SZ_SK_SL_SM_EUlSZ_E1_NS1_11comp_targetILNS1_3genE5ELNS1_11target_archE942ELNS1_3gpuE9ELNS1_3repE0EEENS1_36merge_oddeven_config_static_selectorELNS0_4arch9wavefront6targetE1EEEvSL_
	.p2align	8
	.type	_ZN7rocprim17ROCPRIM_400000_NS6detail17trampoline_kernelINS0_14default_configENS1_38merge_sort_block_merge_config_selectorItNS0_10empty_typeEEEZZNS1_27merge_sort_block_merge_implIS3_N6thrust23THRUST_200600_302600_NS6detail15normal_iteratorINS9_10device_ptrItEEEEPS5_jNS1_19radix_merge_compareILb0ELb0EtNS0_19identity_decomposerEEEEE10hipError_tT0_T1_T2_jT3_P12ihipStream_tbPNSt15iterator_traitsISK_E10value_typeEPNSQ_ISL_E10value_typeEPSM_NS1_7vsmem_tEENKUlT_SK_SL_SM_E_clISE_PtSF_SF_EESJ_SZ_SK_SL_SM_EUlSZ_E1_NS1_11comp_targetILNS1_3genE5ELNS1_11target_archE942ELNS1_3gpuE9ELNS1_3repE0EEENS1_36merge_oddeven_config_static_selectorELNS0_4arch9wavefront6targetE1EEEvSL_,@function
_ZN7rocprim17ROCPRIM_400000_NS6detail17trampoline_kernelINS0_14default_configENS1_38merge_sort_block_merge_config_selectorItNS0_10empty_typeEEEZZNS1_27merge_sort_block_merge_implIS3_N6thrust23THRUST_200600_302600_NS6detail15normal_iteratorINS9_10device_ptrItEEEEPS5_jNS1_19radix_merge_compareILb0ELb0EtNS0_19identity_decomposerEEEEE10hipError_tT0_T1_T2_jT3_P12ihipStream_tbPNSt15iterator_traitsISK_E10value_typeEPNSQ_ISL_E10value_typeEPSM_NS1_7vsmem_tEENKUlT_SK_SL_SM_E_clISE_PtSF_SF_EESJ_SZ_SK_SL_SM_EUlSZ_E1_NS1_11comp_targetILNS1_3genE5ELNS1_11target_archE942ELNS1_3gpuE9ELNS1_3repE0EEENS1_36merge_oddeven_config_static_selectorELNS0_4arch9wavefront6targetE1EEEvSL_: ; @_ZN7rocprim17ROCPRIM_400000_NS6detail17trampoline_kernelINS0_14default_configENS1_38merge_sort_block_merge_config_selectorItNS0_10empty_typeEEEZZNS1_27merge_sort_block_merge_implIS3_N6thrust23THRUST_200600_302600_NS6detail15normal_iteratorINS9_10device_ptrItEEEEPS5_jNS1_19radix_merge_compareILb0ELb0EtNS0_19identity_decomposerEEEEE10hipError_tT0_T1_T2_jT3_P12ihipStream_tbPNSt15iterator_traitsISK_E10value_typeEPNSQ_ISL_E10value_typeEPSM_NS1_7vsmem_tEENKUlT_SK_SL_SM_E_clISE_PtSF_SF_EESJ_SZ_SK_SL_SM_EUlSZ_E1_NS1_11comp_targetILNS1_3genE5ELNS1_11target_archE942ELNS1_3gpuE9ELNS1_3repE0EEENS1_36merge_oddeven_config_static_selectorELNS0_4arch9wavefront6targetE1EEEvSL_
; %bb.0:
	s_load_dword s16, s[0:1], 0x20
	s_waitcnt lgkmcnt(0)
	s_lshr_b32 s3, s16, 8
	s_cmp_lg_u32 s2, s3
	s_cselect_b64 s[12:13], -1, 0
	s_cmp_eq_u32 s2, s3
	s_cselect_b64 s[6:7], -1, 0
	s_lshl_b32 s14, s2, 8
	s_sub_i32 s3, s16, s14
	v_cmp_gt_u32_e64 s[4:5], s3, v0
	s_or_b64 s[8:9], s[12:13], s[4:5]
	s_and_saveexec_b64 s[10:11], s[8:9]
	s_cbranch_execz .LBB1248_20
; %bb.1:
	s_load_dwordx4 s[8:11], s[0:1], 0x0
	s_load_dword s17, s[0:1], 0x24
	s_mov_b32 s15, 0
	s_lshl_b64 s[0:1], s[14:15], 1
	v_lshlrev_b32_e32 v1, 1, v0
	s_waitcnt lgkmcnt(0)
	s_add_u32 s0, s8, s0
	s_addc_u32 s1, s9, s1
	global_load_ushort v2, v1, s[0:1]
	s_lshr_b32 s0, s17, 8
	s_sub_i32 s1, 0, s0
	s_and_b32 s1, s2, s1
	s_and_b32 s0, s1, s0
	s_lshl_b32 s18, s1, 8
	s_sub_i32 s15, 0, s17
	s_cmp_eq_u32 s0, 0
	s_cselect_b64 s[0:1], -1, 0
	s_and_b64 s[2:3], s[0:1], exec
	s_cselect_b32 s15, s17, s15
	s_add_i32 s15, s15, s18
	s_cmp_lt_u32 s15, s16
	v_add_u32_e32 v0, s14, v0
	s_cbranch_scc1 .LBB1248_3
; %bb.2:
	v_cmp_gt_u32_e32 vcc, s16, v0
	s_or_b64 s[2:3], vcc, s[12:13]
	s_and_b64 s[2:3], s[2:3], exec
	s_cbranch_execz .LBB1248_4
	s_branch .LBB1248_18
.LBB1248_3:
	s_mov_b64 s[2:3], 0
.LBB1248_4:
	s_min_u32 s12, s15, s16
	s_min_u32 s14, s18, s12
	s_add_i32 s18, s18, s12
	s_add_i32 s13, s12, s17
	v_subrev_u32_e32 v0, s18, v0
	s_min_u32 s13, s13, s16
	v_add_u32_e32 v1, s14, v0
	s_and_b64 vcc, exec, s[6:7]
	s_cbranch_vccz .LBB1248_12
; %bb.5:
                                        ; implicit-def: $vgpr0
	s_and_saveexec_b64 s[6:7], s[4:5]
	s_cbranch_execz .LBB1248_11
; %bb.6:
	s_cmp_ge_u32 s15, s13
	v_mov_b32_e32 v0, s12
	s_cbranch_scc1 .LBB1248_10
; %bb.7:
	s_mov_b64 s[4:5], 0
	v_mov_b32_e32 v3, s13
	v_mov_b32_e32 v0, s12
.LBB1248_8:                             ; =>This Inner Loop Header: Depth=1
	v_add_u32_e32 v4, v0, v3
	v_and_b32_e32 v5, -2, v4
	global_load_ushort v5, v5, s[8:9]
	v_lshrrev_b32_e32 v4, 1, v4
	v_add_u32_e32 v6, 1, v4
	s_waitcnt vmcnt(0)
	v_cmp_gt_u16_e32 vcc, v2, v5
	s_nop 1
	v_cndmask_b32_e64 v7, 0, 1, vcc
	v_cmp_le_u16_e32 vcc, v5, v2
	s_nop 1
	v_cndmask_b32_e64 v5, 0, 1, vcc
	v_cndmask_b32_e64 v5, v5, v7, s[0:1]
	v_and_b32_e32 v5, 1, v5
	v_cmp_eq_u32_e32 vcc, 1, v5
	s_nop 1
	v_cndmask_b32_e32 v3, v4, v3, vcc
	v_cndmask_b32_e32 v0, v0, v6, vcc
	v_cmp_ge_u32_e32 vcc, v0, v3
	s_or_b64 s[4:5], vcc, s[4:5]
	s_andn2_b64 exec, exec, s[4:5]
	s_cbranch_execnz .LBB1248_8
; %bb.9:
	s_or_b64 exec, exec, s[4:5]
.LBB1248_10:
	v_add_u32_e32 v0, v0, v1
	s_or_b64 s[2:3], s[2:3], exec
.LBB1248_11:
	s_or_b64 exec, exec, s[6:7]
	s_branch .LBB1248_18
.LBB1248_12:
                                        ; implicit-def: $vgpr0
	s_cbranch_execz .LBB1248_18
; %bb.13:
	s_cmp_ge_u32 s15, s13
	v_mov_b32_e32 v0, s12
	s_cbranch_scc1 .LBB1248_17
; %bb.14:
	s_mov_b64 s[2:3], 0
	v_mov_b32_e32 v3, s13
	v_mov_b32_e32 v0, s12
.LBB1248_15:                            ; =>This Inner Loop Header: Depth=1
	v_add_u32_e32 v4, v0, v3
	v_and_b32_e32 v5, -2, v4
	global_load_ushort v5, v5, s[8:9]
	v_lshrrev_b32_e32 v4, 1, v4
	v_add_u32_e32 v6, 1, v4
	s_waitcnt vmcnt(0)
	v_cmp_gt_u16_e32 vcc, v2, v5
	s_nop 1
	v_cndmask_b32_e64 v7, 0, 1, vcc
	v_cmp_le_u16_e32 vcc, v5, v2
	s_nop 1
	v_cndmask_b32_e64 v5, 0, 1, vcc
	v_cndmask_b32_e64 v5, v5, v7, s[0:1]
	v_and_b32_e32 v5, 1, v5
	v_cmp_eq_u32_e32 vcc, 1, v5
	s_nop 1
	v_cndmask_b32_e32 v3, v4, v3, vcc
	v_cndmask_b32_e32 v0, v0, v6, vcc
	v_cmp_ge_u32_e32 vcc, v0, v3
	s_or_b64 s[2:3], vcc, s[2:3]
	s_andn2_b64 exec, exec, s[2:3]
	s_cbranch_execnz .LBB1248_15
; %bb.16:
	s_or_b64 exec, exec, s[2:3]
.LBB1248_17:
	v_add_u32_e32 v0, v0, v1
	s_mov_b64 s[2:3], -1
.LBB1248_18:
	s_and_b64 exec, exec, s[2:3]
	s_cbranch_execz .LBB1248_20
; %bb.19:
	v_mov_b32_e32 v4, s10
	v_mov_b32_e32 v5, s11
	;; [unrolled: 1-line block ×3, first 2 shown]
	v_lshl_add_u64 v[0:1], v[0:1], 1, v[4:5]
	s_waitcnt vmcnt(0)
	global_store_short v[0:1], v2, off
.LBB1248_20:
	s_endpgm
	.section	.rodata,"a",@progbits
	.p2align	6, 0x0
	.amdhsa_kernel _ZN7rocprim17ROCPRIM_400000_NS6detail17trampoline_kernelINS0_14default_configENS1_38merge_sort_block_merge_config_selectorItNS0_10empty_typeEEEZZNS1_27merge_sort_block_merge_implIS3_N6thrust23THRUST_200600_302600_NS6detail15normal_iteratorINS9_10device_ptrItEEEEPS5_jNS1_19radix_merge_compareILb0ELb0EtNS0_19identity_decomposerEEEEE10hipError_tT0_T1_T2_jT3_P12ihipStream_tbPNSt15iterator_traitsISK_E10value_typeEPNSQ_ISL_E10value_typeEPSM_NS1_7vsmem_tEENKUlT_SK_SL_SM_E_clISE_PtSF_SF_EESJ_SZ_SK_SL_SM_EUlSZ_E1_NS1_11comp_targetILNS1_3genE5ELNS1_11target_archE942ELNS1_3gpuE9ELNS1_3repE0EEENS1_36merge_oddeven_config_static_selectorELNS0_4arch9wavefront6targetE1EEEvSL_
		.amdhsa_group_segment_fixed_size 0
		.amdhsa_private_segment_fixed_size 0
		.amdhsa_kernarg_size 48
		.amdhsa_user_sgpr_count 2
		.amdhsa_user_sgpr_dispatch_ptr 0
		.amdhsa_user_sgpr_queue_ptr 0
		.amdhsa_user_sgpr_kernarg_segment_ptr 1
		.amdhsa_user_sgpr_dispatch_id 0
		.amdhsa_user_sgpr_kernarg_preload_length 0
		.amdhsa_user_sgpr_kernarg_preload_offset 0
		.amdhsa_user_sgpr_private_segment_size 0
		.amdhsa_uses_dynamic_stack 0
		.amdhsa_enable_private_segment 0
		.amdhsa_system_sgpr_workgroup_id_x 1
		.amdhsa_system_sgpr_workgroup_id_y 0
		.amdhsa_system_sgpr_workgroup_id_z 0
		.amdhsa_system_sgpr_workgroup_info 0
		.amdhsa_system_vgpr_workitem_id 0
		.amdhsa_next_free_vgpr 8
		.amdhsa_next_free_sgpr 19
		.amdhsa_accum_offset 8
		.amdhsa_reserve_vcc 1
		.amdhsa_float_round_mode_32 0
		.amdhsa_float_round_mode_16_64 0
		.amdhsa_float_denorm_mode_32 3
		.amdhsa_float_denorm_mode_16_64 3
		.amdhsa_dx10_clamp 1
		.amdhsa_ieee_mode 1
		.amdhsa_fp16_overflow 0
		.amdhsa_tg_split 0
		.amdhsa_exception_fp_ieee_invalid_op 0
		.amdhsa_exception_fp_denorm_src 0
		.amdhsa_exception_fp_ieee_div_zero 0
		.amdhsa_exception_fp_ieee_overflow 0
		.amdhsa_exception_fp_ieee_underflow 0
		.amdhsa_exception_fp_ieee_inexact 0
		.amdhsa_exception_int_div_zero 0
	.end_amdhsa_kernel
	.section	.text._ZN7rocprim17ROCPRIM_400000_NS6detail17trampoline_kernelINS0_14default_configENS1_38merge_sort_block_merge_config_selectorItNS0_10empty_typeEEEZZNS1_27merge_sort_block_merge_implIS3_N6thrust23THRUST_200600_302600_NS6detail15normal_iteratorINS9_10device_ptrItEEEEPS5_jNS1_19radix_merge_compareILb0ELb0EtNS0_19identity_decomposerEEEEE10hipError_tT0_T1_T2_jT3_P12ihipStream_tbPNSt15iterator_traitsISK_E10value_typeEPNSQ_ISL_E10value_typeEPSM_NS1_7vsmem_tEENKUlT_SK_SL_SM_E_clISE_PtSF_SF_EESJ_SZ_SK_SL_SM_EUlSZ_E1_NS1_11comp_targetILNS1_3genE5ELNS1_11target_archE942ELNS1_3gpuE9ELNS1_3repE0EEENS1_36merge_oddeven_config_static_selectorELNS0_4arch9wavefront6targetE1EEEvSL_,"axG",@progbits,_ZN7rocprim17ROCPRIM_400000_NS6detail17trampoline_kernelINS0_14default_configENS1_38merge_sort_block_merge_config_selectorItNS0_10empty_typeEEEZZNS1_27merge_sort_block_merge_implIS3_N6thrust23THRUST_200600_302600_NS6detail15normal_iteratorINS9_10device_ptrItEEEEPS5_jNS1_19radix_merge_compareILb0ELb0EtNS0_19identity_decomposerEEEEE10hipError_tT0_T1_T2_jT3_P12ihipStream_tbPNSt15iterator_traitsISK_E10value_typeEPNSQ_ISL_E10value_typeEPSM_NS1_7vsmem_tEENKUlT_SK_SL_SM_E_clISE_PtSF_SF_EESJ_SZ_SK_SL_SM_EUlSZ_E1_NS1_11comp_targetILNS1_3genE5ELNS1_11target_archE942ELNS1_3gpuE9ELNS1_3repE0EEENS1_36merge_oddeven_config_static_selectorELNS0_4arch9wavefront6targetE1EEEvSL_,comdat
.Lfunc_end1248:
	.size	_ZN7rocprim17ROCPRIM_400000_NS6detail17trampoline_kernelINS0_14default_configENS1_38merge_sort_block_merge_config_selectorItNS0_10empty_typeEEEZZNS1_27merge_sort_block_merge_implIS3_N6thrust23THRUST_200600_302600_NS6detail15normal_iteratorINS9_10device_ptrItEEEEPS5_jNS1_19radix_merge_compareILb0ELb0EtNS0_19identity_decomposerEEEEE10hipError_tT0_T1_T2_jT3_P12ihipStream_tbPNSt15iterator_traitsISK_E10value_typeEPNSQ_ISL_E10value_typeEPSM_NS1_7vsmem_tEENKUlT_SK_SL_SM_E_clISE_PtSF_SF_EESJ_SZ_SK_SL_SM_EUlSZ_E1_NS1_11comp_targetILNS1_3genE5ELNS1_11target_archE942ELNS1_3gpuE9ELNS1_3repE0EEENS1_36merge_oddeven_config_static_selectorELNS0_4arch9wavefront6targetE1EEEvSL_, .Lfunc_end1248-_ZN7rocprim17ROCPRIM_400000_NS6detail17trampoline_kernelINS0_14default_configENS1_38merge_sort_block_merge_config_selectorItNS0_10empty_typeEEEZZNS1_27merge_sort_block_merge_implIS3_N6thrust23THRUST_200600_302600_NS6detail15normal_iteratorINS9_10device_ptrItEEEEPS5_jNS1_19radix_merge_compareILb0ELb0EtNS0_19identity_decomposerEEEEE10hipError_tT0_T1_T2_jT3_P12ihipStream_tbPNSt15iterator_traitsISK_E10value_typeEPNSQ_ISL_E10value_typeEPSM_NS1_7vsmem_tEENKUlT_SK_SL_SM_E_clISE_PtSF_SF_EESJ_SZ_SK_SL_SM_EUlSZ_E1_NS1_11comp_targetILNS1_3genE5ELNS1_11target_archE942ELNS1_3gpuE9ELNS1_3repE0EEENS1_36merge_oddeven_config_static_selectorELNS0_4arch9wavefront6targetE1EEEvSL_
                                        ; -- End function
	.section	.AMDGPU.csdata,"",@progbits
; Kernel info:
; codeLenInByte = 568
; NumSgprs: 25
; NumVgprs: 8
; NumAgprs: 0
; TotalNumVgprs: 8
; ScratchSize: 0
; MemoryBound: 0
; FloatMode: 240
; IeeeMode: 1
; LDSByteSize: 0 bytes/workgroup (compile time only)
; SGPRBlocks: 3
; VGPRBlocks: 0
; NumSGPRsForWavesPerEU: 25
; NumVGPRsForWavesPerEU: 8
; AccumOffset: 8
; Occupancy: 8
; WaveLimiterHint : 0
; COMPUTE_PGM_RSRC2:SCRATCH_EN: 0
; COMPUTE_PGM_RSRC2:USER_SGPR: 2
; COMPUTE_PGM_RSRC2:TRAP_HANDLER: 0
; COMPUTE_PGM_RSRC2:TGID_X_EN: 1
; COMPUTE_PGM_RSRC2:TGID_Y_EN: 0
; COMPUTE_PGM_RSRC2:TGID_Z_EN: 0
; COMPUTE_PGM_RSRC2:TIDIG_COMP_CNT: 0
; COMPUTE_PGM_RSRC3_GFX90A:ACCUM_OFFSET: 1
; COMPUTE_PGM_RSRC3_GFX90A:TG_SPLIT: 0
	.section	.text._ZN7rocprim17ROCPRIM_400000_NS6detail17trampoline_kernelINS0_14default_configENS1_38merge_sort_block_merge_config_selectorItNS0_10empty_typeEEEZZNS1_27merge_sort_block_merge_implIS3_N6thrust23THRUST_200600_302600_NS6detail15normal_iteratorINS9_10device_ptrItEEEEPS5_jNS1_19radix_merge_compareILb0ELb0EtNS0_19identity_decomposerEEEEE10hipError_tT0_T1_T2_jT3_P12ihipStream_tbPNSt15iterator_traitsISK_E10value_typeEPNSQ_ISL_E10value_typeEPSM_NS1_7vsmem_tEENKUlT_SK_SL_SM_E_clISE_PtSF_SF_EESJ_SZ_SK_SL_SM_EUlSZ_E1_NS1_11comp_targetILNS1_3genE4ELNS1_11target_archE910ELNS1_3gpuE8ELNS1_3repE0EEENS1_36merge_oddeven_config_static_selectorELNS0_4arch9wavefront6targetE1EEEvSL_,"axG",@progbits,_ZN7rocprim17ROCPRIM_400000_NS6detail17trampoline_kernelINS0_14default_configENS1_38merge_sort_block_merge_config_selectorItNS0_10empty_typeEEEZZNS1_27merge_sort_block_merge_implIS3_N6thrust23THRUST_200600_302600_NS6detail15normal_iteratorINS9_10device_ptrItEEEEPS5_jNS1_19radix_merge_compareILb0ELb0EtNS0_19identity_decomposerEEEEE10hipError_tT0_T1_T2_jT3_P12ihipStream_tbPNSt15iterator_traitsISK_E10value_typeEPNSQ_ISL_E10value_typeEPSM_NS1_7vsmem_tEENKUlT_SK_SL_SM_E_clISE_PtSF_SF_EESJ_SZ_SK_SL_SM_EUlSZ_E1_NS1_11comp_targetILNS1_3genE4ELNS1_11target_archE910ELNS1_3gpuE8ELNS1_3repE0EEENS1_36merge_oddeven_config_static_selectorELNS0_4arch9wavefront6targetE1EEEvSL_,comdat
	.protected	_ZN7rocprim17ROCPRIM_400000_NS6detail17trampoline_kernelINS0_14default_configENS1_38merge_sort_block_merge_config_selectorItNS0_10empty_typeEEEZZNS1_27merge_sort_block_merge_implIS3_N6thrust23THRUST_200600_302600_NS6detail15normal_iteratorINS9_10device_ptrItEEEEPS5_jNS1_19radix_merge_compareILb0ELb0EtNS0_19identity_decomposerEEEEE10hipError_tT0_T1_T2_jT3_P12ihipStream_tbPNSt15iterator_traitsISK_E10value_typeEPNSQ_ISL_E10value_typeEPSM_NS1_7vsmem_tEENKUlT_SK_SL_SM_E_clISE_PtSF_SF_EESJ_SZ_SK_SL_SM_EUlSZ_E1_NS1_11comp_targetILNS1_3genE4ELNS1_11target_archE910ELNS1_3gpuE8ELNS1_3repE0EEENS1_36merge_oddeven_config_static_selectorELNS0_4arch9wavefront6targetE1EEEvSL_ ; -- Begin function _ZN7rocprim17ROCPRIM_400000_NS6detail17trampoline_kernelINS0_14default_configENS1_38merge_sort_block_merge_config_selectorItNS0_10empty_typeEEEZZNS1_27merge_sort_block_merge_implIS3_N6thrust23THRUST_200600_302600_NS6detail15normal_iteratorINS9_10device_ptrItEEEEPS5_jNS1_19radix_merge_compareILb0ELb0EtNS0_19identity_decomposerEEEEE10hipError_tT0_T1_T2_jT3_P12ihipStream_tbPNSt15iterator_traitsISK_E10value_typeEPNSQ_ISL_E10value_typeEPSM_NS1_7vsmem_tEENKUlT_SK_SL_SM_E_clISE_PtSF_SF_EESJ_SZ_SK_SL_SM_EUlSZ_E1_NS1_11comp_targetILNS1_3genE4ELNS1_11target_archE910ELNS1_3gpuE8ELNS1_3repE0EEENS1_36merge_oddeven_config_static_selectorELNS0_4arch9wavefront6targetE1EEEvSL_
	.globl	_ZN7rocprim17ROCPRIM_400000_NS6detail17trampoline_kernelINS0_14default_configENS1_38merge_sort_block_merge_config_selectorItNS0_10empty_typeEEEZZNS1_27merge_sort_block_merge_implIS3_N6thrust23THRUST_200600_302600_NS6detail15normal_iteratorINS9_10device_ptrItEEEEPS5_jNS1_19radix_merge_compareILb0ELb0EtNS0_19identity_decomposerEEEEE10hipError_tT0_T1_T2_jT3_P12ihipStream_tbPNSt15iterator_traitsISK_E10value_typeEPNSQ_ISL_E10value_typeEPSM_NS1_7vsmem_tEENKUlT_SK_SL_SM_E_clISE_PtSF_SF_EESJ_SZ_SK_SL_SM_EUlSZ_E1_NS1_11comp_targetILNS1_3genE4ELNS1_11target_archE910ELNS1_3gpuE8ELNS1_3repE0EEENS1_36merge_oddeven_config_static_selectorELNS0_4arch9wavefront6targetE1EEEvSL_
	.p2align	8
	.type	_ZN7rocprim17ROCPRIM_400000_NS6detail17trampoline_kernelINS0_14default_configENS1_38merge_sort_block_merge_config_selectorItNS0_10empty_typeEEEZZNS1_27merge_sort_block_merge_implIS3_N6thrust23THRUST_200600_302600_NS6detail15normal_iteratorINS9_10device_ptrItEEEEPS5_jNS1_19radix_merge_compareILb0ELb0EtNS0_19identity_decomposerEEEEE10hipError_tT0_T1_T2_jT3_P12ihipStream_tbPNSt15iterator_traitsISK_E10value_typeEPNSQ_ISL_E10value_typeEPSM_NS1_7vsmem_tEENKUlT_SK_SL_SM_E_clISE_PtSF_SF_EESJ_SZ_SK_SL_SM_EUlSZ_E1_NS1_11comp_targetILNS1_3genE4ELNS1_11target_archE910ELNS1_3gpuE8ELNS1_3repE0EEENS1_36merge_oddeven_config_static_selectorELNS0_4arch9wavefront6targetE1EEEvSL_,@function
_ZN7rocprim17ROCPRIM_400000_NS6detail17trampoline_kernelINS0_14default_configENS1_38merge_sort_block_merge_config_selectorItNS0_10empty_typeEEEZZNS1_27merge_sort_block_merge_implIS3_N6thrust23THRUST_200600_302600_NS6detail15normal_iteratorINS9_10device_ptrItEEEEPS5_jNS1_19radix_merge_compareILb0ELb0EtNS0_19identity_decomposerEEEEE10hipError_tT0_T1_T2_jT3_P12ihipStream_tbPNSt15iterator_traitsISK_E10value_typeEPNSQ_ISL_E10value_typeEPSM_NS1_7vsmem_tEENKUlT_SK_SL_SM_E_clISE_PtSF_SF_EESJ_SZ_SK_SL_SM_EUlSZ_E1_NS1_11comp_targetILNS1_3genE4ELNS1_11target_archE910ELNS1_3gpuE8ELNS1_3repE0EEENS1_36merge_oddeven_config_static_selectorELNS0_4arch9wavefront6targetE1EEEvSL_: ; @_ZN7rocprim17ROCPRIM_400000_NS6detail17trampoline_kernelINS0_14default_configENS1_38merge_sort_block_merge_config_selectorItNS0_10empty_typeEEEZZNS1_27merge_sort_block_merge_implIS3_N6thrust23THRUST_200600_302600_NS6detail15normal_iteratorINS9_10device_ptrItEEEEPS5_jNS1_19radix_merge_compareILb0ELb0EtNS0_19identity_decomposerEEEEE10hipError_tT0_T1_T2_jT3_P12ihipStream_tbPNSt15iterator_traitsISK_E10value_typeEPNSQ_ISL_E10value_typeEPSM_NS1_7vsmem_tEENKUlT_SK_SL_SM_E_clISE_PtSF_SF_EESJ_SZ_SK_SL_SM_EUlSZ_E1_NS1_11comp_targetILNS1_3genE4ELNS1_11target_archE910ELNS1_3gpuE8ELNS1_3repE0EEENS1_36merge_oddeven_config_static_selectorELNS0_4arch9wavefront6targetE1EEEvSL_
; %bb.0:
	.section	.rodata,"a",@progbits
	.p2align	6, 0x0
	.amdhsa_kernel _ZN7rocprim17ROCPRIM_400000_NS6detail17trampoline_kernelINS0_14default_configENS1_38merge_sort_block_merge_config_selectorItNS0_10empty_typeEEEZZNS1_27merge_sort_block_merge_implIS3_N6thrust23THRUST_200600_302600_NS6detail15normal_iteratorINS9_10device_ptrItEEEEPS5_jNS1_19radix_merge_compareILb0ELb0EtNS0_19identity_decomposerEEEEE10hipError_tT0_T1_T2_jT3_P12ihipStream_tbPNSt15iterator_traitsISK_E10value_typeEPNSQ_ISL_E10value_typeEPSM_NS1_7vsmem_tEENKUlT_SK_SL_SM_E_clISE_PtSF_SF_EESJ_SZ_SK_SL_SM_EUlSZ_E1_NS1_11comp_targetILNS1_3genE4ELNS1_11target_archE910ELNS1_3gpuE8ELNS1_3repE0EEENS1_36merge_oddeven_config_static_selectorELNS0_4arch9wavefront6targetE1EEEvSL_
		.amdhsa_group_segment_fixed_size 0
		.amdhsa_private_segment_fixed_size 0
		.amdhsa_kernarg_size 48
		.amdhsa_user_sgpr_count 2
		.amdhsa_user_sgpr_dispatch_ptr 0
		.amdhsa_user_sgpr_queue_ptr 0
		.amdhsa_user_sgpr_kernarg_segment_ptr 1
		.amdhsa_user_sgpr_dispatch_id 0
		.amdhsa_user_sgpr_kernarg_preload_length 0
		.amdhsa_user_sgpr_kernarg_preload_offset 0
		.amdhsa_user_sgpr_private_segment_size 0
		.amdhsa_uses_dynamic_stack 0
		.amdhsa_enable_private_segment 0
		.amdhsa_system_sgpr_workgroup_id_x 1
		.amdhsa_system_sgpr_workgroup_id_y 0
		.amdhsa_system_sgpr_workgroup_id_z 0
		.amdhsa_system_sgpr_workgroup_info 0
		.amdhsa_system_vgpr_workitem_id 0
		.amdhsa_next_free_vgpr 1
		.amdhsa_next_free_sgpr 0
		.amdhsa_accum_offset 4
		.amdhsa_reserve_vcc 0
		.amdhsa_float_round_mode_32 0
		.amdhsa_float_round_mode_16_64 0
		.amdhsa_float_denorm_mode_32 3
		.amdhsa_float_denorm_mode_16_64 3
		.amdhsa_dx10_clamp 1
		.amdhsa_ieee_mode 1
		.amdhsa_fp16_overflow 0
		.amdhsa_tg_split 0
		.amdhsa_exception_fp_ieee_invalid_op 0
		.amdhsa_exception_fp_denorm_src 0
		.amdhsa_exception_fp_ieee_div_zero 0
		.amdhsa_exception_fp_ieee_overflow 0
		.amdhsa_exception_fp_ieee_underflow 0
		.amdhsa_exception_fp_ieee_inexact 0
		.amdhsa_exception_int_div_zero 0
	.end_amdhsa_kernel
	.section	.text._ZN7rocprim17ROCPRIM_400000_NS6detail17trampoline_kernelINS0_14default_configENS1_38merge_sort_block_merge_config_selectorItNS0_10empty_typeEEEZZNS1_27merge_sort_block_merge_implIS3_N6thrust23THRUST_200600_302600_NS6detail15normal_iteratorINS9_10device_ptrItEEEEPS5_jNS1_19radix_merge_compareILb0ELb0EtNS0_19identity_decomposerEEEEE10hipError_tT0_T1_T2_jT3_P12ihipStream_tbPNSt15iterator_traitsISK_E10value_typeEPNSQ_ISL_E10value_typeEPSM_NS1_7vsmem_tEENKUlT_SK_SL_SM_E_clISE_PtSF_SF_EESJ_SZ_SK_SL_SM_EUlSZ_E1_NS1_11comp_targetILNS1_3genE4ELNS1_11target_archE910ELNS1_3gpuE8ELNS1_3repE0EEENS1_36merge_oddeven_config_static_selectorELNS0_4arch9wavefront6targetE1EEEvSL_,"axG",@progbits,_ZN7rocprim17ROCPRIM_400000_NS6detail17trampoline_kernelINS0_14default_configENS1_38merge_sort_block_merge_config_selectorItNS0_10empty_typeEEEZZNS1_27merge_sort_block_merge_implIS3_N6thrust23THRUST_200600_302600_NS6detail15normal_iteratorINS9_10device_ptrItEEEEPS5_jNS1_19radix_merge_compareILb0ELb0EtNS0_19identity_decomposerEEEEE10hipError_tT0_T1_T2_jT3_P12ihipStream_tbPNSt15iterator_traitsISK_E10value_typeEPNSQ_ISL_E10value_typeEPSM_NS1_7vsmem_tEENKUlT_SK_SL_SM_E_clISE_PtSF_SF_EESJ_SZ_SK_SL_SM_EUlSZ_E1_NS1_11comp_targetILNS1_3genE4ELNS1_11target_archE910ELNS1_3gpuE8ELNS1_3repE0EEENS1_36merge_oddeven_config_static_selectorELNS0_4arch9wavefront6targetE1EEEvSL_,comdat
.Lfunc_end1249:
	.size	_ZN7rocprim17ROCPRIM_400000_NS6detail17trampoline_kernelINS0_14default_configENS1_38merge_sort_block_merge_config_selectorItNS0_10empty_typeEEEZZNS1_27merge_sort_block_merge_implIS3_N6thrust23THRUST_200600_302600_NS6detail15normal_iteratorINS9_10device_ptrItEEEEPS5_jNS1_19radix_merge_compareILb0ELb0EtNS0_19identity_decomposerEEEEE10hipError_tT0_T1_T2_jT3_P12ihipStream_tbPNSt15iterator_traitsISK_E10value_typeEPNSQ_ISL_E10value_typeEPSM_NS1_7vsmem_tEENKUlT_SK_SL_SM_E_clISE_PtSF_SF_EESJ_SZ_SK_SL_SM_EUlSZ_E1_NS1_11comp_targetILNS1_3genE4ELNS1_11target_archE910ELNS1_3gpuE8ELNS1_3repE0EEENS1_36merge_oddeven_config_static_selectorELNS0_4arch9wavefront6targetE1EEEvSL_, .Lfunc_end1249-_ZN7rocprim17ROCPRIM_400000_NS6detail17trampoline_kernelINS0_14default_configENS1_38merge_sort_block_merge_config_selectorItNS0_10empty_typeEEEZZNS1_27merge_sort_block_merge_implIS3_N6thrust23THRUST_200600_302600_NS6detail15normal_iteratorINS9_10device_ptrItEEEEPS5_jNS1_19radix_merge_compareILb0ELb0EtNS0_19identity_decomposerEEEEE10hipError_tT0_T1_T2_jT3_P12ihipStream_tbPNSt15iterator_traitsISK_E10value_typeEPNSQ_ISL_E10value_typeEPSM_NS1_7vsmem_tEENKUlT_SK_SL_SM_E_clISE_PtSF_SF_EESJ_SZ_SK_SL_SM_EUlSZ_E1_NS1_11comp_targetILNS1_3genE4ELNS1_11target_archE910ELNS1_3gpuE8ELNS1_3repE0EEENS1_36merge_oddeven_config_static_selectorELNS0_4arch9wavefront6targetE1EEEvSL_
                                        ; -- End function
	.section	.AMDGPU.csdata,"",@progbits
; Kernel info:
; codeLenInByte = 0
; NumSgprs: 6
; NumVgprs: 0
; NumAgprs: 0
; TotalNumVgprs: 0
; ScratchSize: 0
; MemoryBound: 0
; FloatMode: 240
; IeeeMode: 1
; LDSByteSize: 0 bytes/workgroup (compile time only)
; SGPRBlocks: 0
; VGPRBlocks: 0
; NumSGPRsForWavesPerEU: 6
; NumVGPRsForWavesPerEU: 1
; AccumOffset: 4
; Occupancy: 8
; WaveLimiterHint : 0
; COMPUTE_PGM_RSRC2:SCRATCH_EN: 0
; COMPUTE_PGM_RSRC2:USER_SGPR: 2
; COMPUTE_PGM_RSRC2:TRAP_HANDLER: 0
; COMPUTE_PGM_RSRC2:TGID_X_EN: 1
; COMPUTE_PGM_RSRC2:TGID_Y_EN: 0
; COMPUTE_PGM_RSRC2:TGID_Z_EN: 0
; COMPUTE_PGM_RSRC2:TIDIG_COMP_CNT: 0
; COMPUTE_PGM_RSRC3_GFX90A:ACCUM_OFFSET: 0
; COMPUTE_PGM_RSRC3_GFX90A:TG_SPLIT: 0
	.section	.text._ZN7rocprim17ROCPRIM_400000_NS6detail17trampoline_kernelINS0_14default_configENS1_38merge_sort_block_merge_config_selectorItNS0_10empty_typeEEEZZNS1_27merge_sort_block_merge_implIS3_N6thrust23THRUST_200600_302600_NS6detail15normal_iteratorINS9_10device_ptrItEEEEPS5_jNS1_19radix_merge_compareILb0ELb0EtNS0_19identity_decomposerEEEEE10hipError_tT0_T1_T2_jT3_P12ihipStream_tbPNSt15iterator_traitsISK_E10value_typeEPNSQ_ISL_E10value_typeEPSM_NS1_7vsmem_tEENKUlT_SK_SL_SM_E_clISE_PtSF_SF_EESJ_SZ_SK_SL_SM_EUlSZ_E1_NS1_11comp_targetILNS1_3genE3ELNS1_11target_archE908ELNS1_3gpuE7ELNS1_3repE0EEENS1_36merge_oddeven_config_static_selectorELNS0_4arch9wavefront6targetE1EEEvSL_,"axG",@progbits,_ZN7rocprim17ROCPRIM_400000_NS6detail17trampoline_kernelINS0_14default_configENS1_38merge_sort_block_merge_config_selectorItNS0_10empty_typeEEEZZNS1_27merge_sort_block_merge_implIS3_N6thrust23THRUST_200600_302600_NS6detail15normal_iteratorINS9_10device_ptrItEEEEPS5_jNS1_19radix_merge_compareILb0ELb0EtNS0_19identity_decomposerEEEEE10hipError_tT0_T1_T2_jT3_P12ihipStream_tbPNSt15iterator_traitsISK_E10value_typeEPNSQ_ISL_E10value_typeEPSM_NS1_7vsmem_tEENKUlT_SK_SL_SM_E_clISE_PtSF_SF_EESJ_SZ_SK_SL_SM_EUlSZ_E1_NS1_11comp_targetILNS1_3genE3ELNS1_11target_archE908ELNS1_3gpuE7ELNS1_3repE0EEENS1_36merge_oddeven_config_static_selectorELNS0_4arch9wavefront6targetE1EEEvSL_,comdat
	.protected	_ZN7rocprim17ROCPRIM_400000_NS6detail17trampoline_kernelINS0_14default_configENS1_38merge_sort_block_merge_config_selectorItNS0_10empty_typeEEEZZNS1_27merge_sort_block_merge_implIS3_N6thrust23THRUST_200600_302600_NS6detail15normal_iteratorINS9_10device_ptrItEEEEPS5_jNS1_19radix_merge_compareILb0ELb0EtNS0_19identity_decomposerEEEEE10hipError_tT0_T1_T2_jT3_P12ihipStream_tbPNSt15iterator_traitsISK_E10value_typeEPNSQ_ISL_E10value_typeEPSM_NS1_7vsmem_tEENKUlT_SK_SL_SM_E_clISE_PtSF_SF_EESJ_SZ_SK_SL_SM_EUlSZ_E1_NS1_11comp_targetILNS1_3genE3ELNS1_11target_archE908ELNS1_3gpuE7ELNS1_3repE0EEENS1_36merge_oddeven_config_static_selectorELNS0_4arch9wavefront6targetE1EEEvSL_ ; -- Begin function _ZN7rocprim17ROCPRIM_400000_NS6detail17trampoline_kernelINS0_14default_configENS1_38merge_sort_block_merge_config_selectorItNS0_10empty_typeEEEZZNS1_27merge_sort_block_merge_implIS3_N6thrust23THRUST_200600_302600_NS6detail15normal_iteratorINS9_10device_ptrItEEEEPS5_jNS1_19radix_merge_compareILb0ELb0EtNS0_19identity_decomposerEEEEE10hipError_tT0_T1_T2_jT3_P12ihipStream_tbPNSt15iterator_traitsISK_E10value_typeEPNSQ_ISL_E10value_typeEPSM_NS1_7vsmem_tEENKUlT_SK_SL_SM_E_clISE_PtSF_SF_EESJ_SZ_SK_SL_SM_EUlSZ_E1_NS1_11comp_targetILNS1_3genE3ELNS1_11target_archE908ELNS1_3gpuE7ELNS1_3repE0EEENS1_36merge_oddeven_config_static_selectorELNS0_4arch9wavefront6targetE1EEEvSL_
	.globl	_ZN7rocprim17ROCPRIM_400000_NS6detail17trampoline_kernelINS0_14default_configENS1_38merge_sort_block_merge_config_selectorItNS0_10empty_typeEEEZZNS1_27merge_sort_block_merge_implIS3_N6thrust23THRUST_200600_302600_NS6detail15normal_iteratorINS9_10device_ptrItEEEEPS5_jNS1_19radix_merge_compareILb0ELb0EtNS0_19identity_decomposerEEEEE10hipError_tT0_T1_T2_jT3_P12ihipStream_tbPNSt15iterator_traitsISK_E10value_typeEPNSQ_ISL_E10value_typeEPSM_NS1_7vsmem_tEENKUlT_SK_SL_SM_E_clISE_PtSF_SF_EESJ_SZ_SK_SL_SM_EUlSZ_E1_NS1_11comp_targetILNS1_3genE3ELNS1_11target_archE908ELNS1_3gpuE7ELNS1_3repE0EEENS1_36merge_oddeven_config_static_selectorELNS0_4arch9wavefront6targetE1EEEvSL_
	.p2align	8
	.type	_ZN7rocprim17ROCPRIM_400000_NS6detail17trampoline_kernelINS0_14default_configENS1_38merge_sort_block_merge_config_selectorItNS0_10empty_typeEEEZZNS1_27merge_sort_block_merge_implIS3_N6thrust23THRUST_200600_302600_NS6detail15normal_iteratorINS9_10device_ptrItEEEEPS5_jNS1_19radix_merge_compareILb0ELb0EtNS0_19identity_decomposerEEEEE10hipError_tT0_T1_T2_jT3_P12ihipStream_tbPNSt15iterator_traitsISK_E10value_typeEPNSQ_ISL_E10value_typeEPSM_NS1_7vsmem_tEENKUlT_SK_SL_SM_E_clISE_PtSF_SF_EESJ_SZ_SK_SL_SM_EUlSZ_E1_NS1_11comp_targetILNS1_3genE3ELNS1_11target_archE908ELNS1_3gpuE7ELNS1_3repE0EEENS1_36merge_oddeven_config_static_selectorELNS0_4arch9wavefront6targetE1EEEvSL_,@function
_ZN7rocprim17ROCPRIM_400000_NS6detail17trampoline_kernelINS0_14default_configENS1_38merge_sort_block_merge_config_selectorItNS0_10empty_typeEEEZZNS1_27merge_sort_block_merge_implIS3_N6thrust23THRUST_200600_302600_NS6detail15normal_iteratorINS9_10device_ptrItEEEEPS5_jNS1_19radix_merge_compareILb0ELb0EtNS0_19identity_decomposerEEEEE10hipError_tT0_T1_T2_jT3_P12ihipStream_tbPNSt15iterator_traitsISK_E10value_typeEPNSQ_ISL_E10value_typeEPSM_NS1_7vsmem_tEENKUlT_SK_SL_SM_E_clISE_PtSF_SF_EESJ_SZ_SK_SL_SM_EUlSZ_E1_NS1_11comp_targetILNS1_3genE3ELNS1_11target_archE908ELNS1_3gpuE7ELNS1_3repE0EEENS1_36merge_oddeven_config_static_selectorELNS0_4arch9wavefront6targetE1EEEvSL_: ; @_ZN7rocprim17ROCPRIM_400000_NS6detail17trampoline_kernelINS0_14default_configENS1_38merge_sort_block_merge_config_selectorItNS0_10empty_typeEEEZZNS1_27merge_sort_block_merge_implIS3_N6thrust23THRUST_200600_302600_NS6detail15normal_iteratorINS9_10device_ptrItEEEEPS5_jNS1_19radix_merge_compareILb0ELb0EtNS0_19identity_decomposerEEEEE10hipError_tT0_T1_T2_jT3_P12ihipStream_tbPNSt15iterator_traitsISK_E10value_typeEPNSQ_ISL_E10value_typeEPSM_NS1_7vsmem_tEENKUlT_SK_SL_SM_E_clISE_PtSF_SF_EESJ_SZ_SK_SL_SM_EUlSZ_E1_NS1_11comp_targetILNS1_3genE3ELNS1_11target_archE908ELNS1_3gpuE7ELNS1_3repE0EEENS1_36merge_oddeven_config_static_selectorELNS0_4arch9wavefront6targetE1EEEvSL_
; %bb.0:
	.section	.rodata,"a",@progbits
	.p2align	6, 0x0
	.amdhsa_kernel _ZN7rocprim17ROCPRIM_400000_NS6detail17trampoline_kernelINS0_14default_configENS1_38merge_sort_block_merge_config_selectorItNS0_10empty_typeEEEZZNS1_27merge_sort_block_merge_implIS3_N6thrust23THRUST_200600_302600_NS6detail15normal_iteratorINS9_10device_ptrItEEEEPS5_jNS1_19radix_merge_compareILb0ELb0EtNS0_19identity_decomposerEEEEE10hipError_tT0_T1_T2_jT3_P12ihipStream_tbPNSt15iterator_traitsISK_E10value_typeEPNSQ_ISL_E10value_typeEPSM_NS1_7vsmem_tEENKUlT_SK_SL_SM_E_clISE_PtSF_SF_EESJ_SZ_SK_SL_SM_EUlSZ_E1_NS1_11comp_targetILNS1_3genE3ELNS1_11target_archE908ELNS1_3gpuE7ELNS1_3repE0EEENS1_36merge_oddeven_config_static_selectorELNS0_4arch9wavefront6targetE1EEEvSL_
		.amdhsa_group_segment_fixed_size 0
		.amdhsa_private_segment_fixed_size 0
		.amdhsa_kernarg_size 48
		.amdhsa_user_sgpr_count 2
		.amdhsa_user_sgpr_dispatch_ptr 0
		.amdhsa_user_sgpr_queue_ptr 0
		.amdhsa_user_sgpr_kernarg_segment_ptr 1
		.amdhsa_user_sgpr_dispatch_id 0
		.amdhsa_user_sgpr_kernarg_preload_length 0
		.amdhsa_user_sgpr_kernarg_preload_offset 0
		.amdhsa_user_sgpr_private_segment_size 0
		.amdhsa_uses_dynamic_stack 0
		.amdhsa_enable_private_segment 0
		.amdhsa_system_sgpr_workgroup_id_x 1
		.amdhsa_system_sgpr_workgroup_id_y 0
		.amdhsa_system_sgpr_workgroup_id_z 0
		.amdhsa_system_sgpr_workgroup_info 0
		.amdhsa_system_vgpr_workitem_id 0
		.amdhsa_next_free_vgpr 1
		.amdhsa_next_free_sgpr 0
		.amdhsa_accum_offset 4
		.amdhsa_reserve_vcc 0
		.amdhsa_float_round_mode_32 0
		.amdhsa_float_round_mode_16_64 0
		.amdhsa_float_denorm_mode_32 3
		.amdhsa_float_denorm_mode_16_64 3
		.amdhsa_dx10_clamp 1
		.amdhsa_ieee_mode 1
		.amdhsa_fp16_overflow 0
		.amdhsa_tg_split 0
		.amdhsa_exception_fp_ieee_invalid_op 0
		.amdhsa_exception_fp_denorm_src 0
		.amdhsa_exception_fp_ieee_div_zero 0
		.amdhsa_exception_fp_ieee_overflow 0
		.amdhsa_exception_fp_ieee_underflow 0
		.amdhsa_exception_fp_ieee_inexact 0
		.amdhsa_exception_int_div_zero 0
	.end_amdhsa_kernel
	.section	.text._ZN7rocprim17ROCPRIM_400000_NS6detail17trampoline_kernelINS0_14default_configENS1_38merge_sort_block_merge_config_selectorItNS0_10empty_typeEEEZZNS1_27merge_sort_block_merge_implIS3_N6thrust23THRUST_200600_302600_NS6detail15normal_iteratorINS9_10device_ptrItEEEEPS5_jNS1_19radix_merge_compareILb0ELb0EtNS0_19identity_decomposerEEEEE10hipError_tT0_T1_T2_jT3_P12ihipStream_tbPNSt15iterator_traitsISK_E10value_typeEPNSQ_ISL_E10value_typeEPSM_NS1_7vsmem_tEENKUlT_SK_SL_SM_E_clISE_PtSF_SF_EESJ_SZ_SK_SL_SM_EUlSZ_E1_NS1_11comp_targetILNS1_3genE3ELNS1_11target_archE908ELNS1_3gpuE7ELNS1_3repE0EEENS1_36merge_oddeven_config_static_selectorELNS0_4arch9wavefront6targetE1EEEvSL_,"axG",@progbits,_ZN7rocprim17ROCPRIM_400000_NS6detail17trampoline_kernelINS0_14default_configENS1_38merge_sort_block_merge_config_selectorItNS0_10empty_typeEEEZZNS1_27merge_sort_block_merge_implIS3_N6thrust23THRUST_200600_302600_NS6detail15normal_iteratorINS9_10device_ptrItEEEEPS5_jNS1_19radix_merge_compareILb0ELb0EtNS0_19identity_decomposerEEEEE10hipError_tT0_T1_T2_jT3_P12ihipStream_tbPNSt15iterator_traitsISK_E10value_typeEPNSQ_ISL_E10value_typeEPSM_NS1_7vsmem_tEENKUlT_SK_SL_SM_E_clISE_PtSF_SF_EESJ_SZ_SK_SL_SM_EUlSZ_E1_NS1_11comp_targetILNS1_3genE3ELNS1_11target_archE908ELNS1_3gpuE7ELNS1_3repE0EEENS1_36merge_oddeven_config_static_selectorELNS0_4arch9wavefront6targetE1EEEvSL_,comdat
.Lfunc_end1250:
	.size	_ZN7rocprim17ROCPRIM_400000_NS6detail17trampoline_kernelINS0_14default_configENS1_38merge_sort_block_merge_config_selectorItNS0_10empty_typeEEEZZNS1_27merge_sort_block_merge_implIS3_N6thrust23THRUST_200600_302600_NS6detail15normal_iteratorINS9_10device_ptrItEEEEPS5_jNS1_19radix_merge_compareILb0ELb0EtNS0_19identity_decomposerEEEEE10hipError_tT0_T1_T2_jT3_P12ihipStream_tbPNSt15iterator_traitsISK_E10value_typeEPNSQ_ISL_E10value_typeEPSM_NS1_7vsmem_tEENKUlT_SK_SL_SM_E_clISE_PtSF_SF_EESJ_SZ_SK_SL_SM_EUlSZ_E1_NS1_11comp_targetILNS1_3genE3ELNS1_11target_archE908ELNS1_3gpuE7ELNS1_3repE0EEENS1_36merge_oddeven_config_static_selectorELNS0_4arch9wavefront6targetE1EEEvSL_, .Lfunc_end1250-_ZN7rocprim17ROCPRIM_400000_NS6detail17trampoline_kernelINS0_14default_configENS1_38merge_sort_block_merge_config_selectorItNS0_10empty_typeEEEZZNS1_27merge_sort_block_merge_implIS3_N6thrust23THRUST_200600_302600_NS6detail15normal_iteratorINS9_10device_ptrItEEEEPS5_jNS1_19radix_merge_compareILb0ELb0EtNS0_19identity_decomposerEEEEE10hipError_tT0_T1_T2_jT3_P12ihipStream_tbPNSt15iterator_traitsISK_E10value_typeEPNSQ_ISL_E10value_typeEPSM_NS1_7vsmem_tEENKUlT_SK_SL_SM_E_clISE_PtSF_SF_EESJ_SZ_SK_SL_SM_EUlSZ_E1_NS1_11comp_targetILNS1_3genE3ELNS1_11target_archE908ELNS1_3gpuE7ELNS1_3repE0EEENS1_36merge_oddeven_config_static_selectorELNS0_4arch9wavefront6targetE1EEEvSL_
                                        ; -- End function
	.section	.AMDGPU.csdata,"",@progbits
; Kernel info:
; codeLenInByte = 0
; NumSgprs: 6
; NumVgprs: 0
; NumAgprs: 0
; TotalNumVgprs: 0
; ScratchSize: 0
; MemoryBound: 0
; FloatMode: 240
; IeeeMode: 1
; LDSByteSize: 0 bytes/workgroup (compile time only)
; SGPRBlocks: 0
; VGPRBlocks: 0
; NumSGPRsForWavesPerEU: 6
; NumVGPRsForWavesPerEU: 1
; AccumOffset: 4
; Occupancy: 8
; WaveLimiterHint : 0
; COMPUTE_PGM_RSRC2:SCRATCH_EN: 0
; COMPUTE_PGM_RSRC2:USER_SGPR: 2
; COMPUTE_PGM_RSRC2:TRAP_HANDLER: 0
; COMPUTE_PGM_RSRC2:TGID_X_EN: 1
; COMPUTE_PGM_RSRC2:TGID_Y_EN: 0
; COMPUTE_PGM_RSRC2:TGID_Z_EN: 0
; COMPUTE_PGM_RSRC2:TIDIG_COMP_CNT: 0
; COMPUTE_PGM_RSRC3_GFX90A:ACCUM_OFFSET: 0
; COMPUTE_PGM_RSRC3_GFX90A:TG_SPLIT: 0
	.section	.text._ZN7rocprim17ROCPRIM_400000_NS6detail17trampoline_kernelINS0_14default_configENS1_38merge_sort_block_merge_config_selectorItNS0_10empty_typeEEEZZNS1_27merge_sort_block_merge_implIS3_N6thrust23THRUST_200600_302600_NS6detail15normal_iteratorINS9_10device_ptrItEEEEPS5_jNS1_19radix_merge_compareILb0ELb0EtNS0_19identity_decomposerEEEEE10hipError_tT0_T1_T2_jT3_P12ihipStream_tbPNSt15iterator_traitsISK_E10value_typeEPNSQ_ISL_E10value_typeEPSM_NS1_7vsmem_tEENKUlT_SK_SL_SM_E_clISE_PtSF_SF_EESJ_SZ_SK_SL_SM_EUlSZ_E1_NS1_11comp_targetILNS1_3genE2ELNS1_11target_archE906ELNS1_3gpuE6ELNS1_3repE0EEENS1_36merge_oddeven_config_static_selectorELNS0_4arch9wavefront6targetE1EEEvSL_,"axG",@progbits,_ZN7rocprim17ROCPRIM_400000_NS6detail17trampoline_kernelINS0_14default_configENS1_38merge_sort_block_merge_config_selectorItNS0_10empty_typeEEEZZNS1_27merge_sort_block_merge_implIS3_N6thrust23THRUST_200600_302600_NS6detail15normal_iteratorINS9_10device_ptrItEEEEPS5_jNS1_19radix_merge_compareILb0ELb0EtNS0_19identity_decomposerEEEEE10hipError_tT0_T1_T2_jT3_P12ihipStream_tbPNSt15iterator_traitsISK_E10value_typeEPNSQ_ISL_E10value_typeEPSM_NS1_7vsmem_tEENKUlT_SK_SL_SM_E_clISE_PtSF_SF_EESJ_SZ_SK_SL_SM_EUlSZ_E1_NS1_11comp_targetILNS1_3genE2ELNS1_11target_archE906ELNS1_3gpuE6ELNS1_3repE0EEENS1_36merge_oddeven_config_static_selectorELNS0_4arch9wavefront6targetE1EEEvSL_,comdat
	.protected	_ZN7rocprim17ROCPRIM_400000_NS6detail17trampoline_kernelINS0_14default_configENS1_38merge_sort_block_merge_config_selectorItNS0_10empty_typeEEEZZNS1_27merge_sort_block_merge_implIS3_N6thrust23THRUST_200600_302600_NS6detail15normal_iteratorINS9_10device_ptrItEEEEPS5_jNS1_19radix_merge_compareILb0ELb0EtNS0_19identity_decomposerEEEEE10hipError_tT0_T1_T2_jT3_P12ihipStream_tbPNSt15iterator_traitsISK_E10value_typeEPNSQ_ISL_E10value_typeEPSM_NS1_7vsmem_tEENKUlT_SK_SL_SM_E_clISE_PtSF_SF_EESJ_SZ_SK_SL_SM_EUlSZ_E1_NS1_11comp_targetILNS1_3genE2ELNS1_11target_archE906ELNS1_3gpuE6ELNS1_3repE0EEENS1_36merge_oddeven_config_static_selectorELNS0_4arch9wavefront6targetE1EEEvSL_ ; -- Begin function _ZN7rocprim17ROCPRIM_400000_NS6detail17trampoline_kernelINS0_14default_configENS1_38merge_sort_block_merge_config_selectorItNS0_10empty_typeEEEZZNS1_27merge_sort_block_merge_implIS3_N6thrust23THRUST_200600_302600_NS6detail15normal_iteratorINS9_10device_ptrItEEEEPS5_jNS1_19radix_merge_compareILb0ELb0EtNS0_19identity_decomposerEEEEE10hipError_tT0_T1_T2_jT3_P12ihipStream_tbPNSt15iterator_traitsISK_E10value_typeEPNSQ_ISL_E10value_typeEPSM_NS1_7vsmem_tEENKUlT_SK_SL_SM_E_clISE_PtSF_SF_EESJ_SZ_SK_SL_SM_EUlSZ_E1_NS1_11comp_targetILNS1_3genE2ELNS1_11target_archE906ELNS1_3gpuE6ELNS1_3repE0EEENS1_36merge_oddeven_config_static_selectorELNS0_4arch9wavefront6targetE1EEEvSL_
	.globl	_ZN7rocprim17ROCPRIM_400000_NS6detail17trampoline_kernelINS0_14default_configENS1_38merge_sort_block_merge_config_selectorItNS0_10empty_typeEEEZZNS1_27merge_sort_block_merge_implIS3_N6thrust23THRUST_200600_302600_NS6detail15normal_iteratorINS9_10device_ptrItEEEEPS5_jNS1_19radix_merge_compareILb0ELb0EtNS0_19identity_decomposerEEEEE10hipError_tT0_T1_T2_jT3_P12ihipStream_tbPNSt15iterator_traitsISK_E10value_typeEPNSQ_ISL_E10value_typeEPSM_NS1_7vsmem_tEENKUlT_SK_SL_SM_E_clISE_PtSF_SF_EESJ_SZ_SK_SL_SM_EUlSZ_E1_NS1_11comp_targetILNS1_3genE2ELNS1_11target_archE906ELNS1_3gpuE6ELNS1_3repE0EEENS1_36merge_oddeven_config_static_selectorELNS0_4arch9wavefront6targetE1EEEvSL_
	.p2align	8
	.type	_ZN7rocprim17ROCPRIM_400000_NS6detail17trampoline_kernelINS0_14default_configENS1_38merge_sort_block_merge_config_selectorItNS0_10empty_typeEEEZZNS1_27merge_sort_block_merge_implIS3_N6thrust23THRUST_200600_302600_NS6detail15normal_iteratorINS9_10device_ptrItEEEEPS5_jNS1_19radix_merge_compareILb0ELb0EtNS0_19identity_decomposerEEEEE10hipError_tT0_T1_T2_jT3_P12ihipStream_tbPNSt15iterator_traitsISK_E10value_typeEPNSQ_ISL_E10value_typeEPSM_NS1_7vsmem_tEENKUlT_SK_SL_SM_E_clISE_PtSF_SF_EESJ_SZ_SK_SL_SM_EUlSZ_E1_NS1_11comp_targetILNS1_3genE2ELNS1_11target_archE906ELNS1_3gpuE6ELNS1_3repE0EEENS1_36merge_oddeven_config_static_selectorELNS0_4arch9wavefront6targetE1EEEvSL_,@function
_ZN7rocprim17ROCPRIM_400000_NS6detail17trampoline_kernelINS0_14default_configENS1_38merge_sort_block_merge_config_selectorItNS0_10empty_typeEEEZZNS1_27merge_sort_block_merge_implIS3_N6thrust23THRUST_200600_302600_NS6detail15normal_iteratorINS9_10device_ptrItEEEEPS5_jNS1_19radix_merge_compareILb0ELb0EtNS0_19identity_decomposerEEEEE10hipError_tT0_T1_T2_jT3_P12ihipStream_tbPNSt15iterator_traitsISK_E10value_typeEPNSQ_ISL_E10value_typeEPSM_NS1_7vsmem_tEENKUlT_SK_SL_SM_E_clISE_PtSF_SF_EESJ_SZ_SK_SL_SM_EUlSZ_E1_NS1_11comp_targetILNS1_3genE2ELNS1_11target_archE906ELNS1_3gpuE6ELNS1_3repE0EEENS1_36merge_oddeven_config_static_selectorELNS0_4arch9wavefront6targetE1EEEvSL_: ; @_ZN7rocprim17ROCPRIM_400000_NS6detail17trampoline_kernelINS0_14default_configENS1_38merge_sort_block_merge_config_selectorItNS0_10empty_typeEEEZZNS1_27merge_sort_block_merge_implIS3_N6thrust23THRUST_200600_302600_NS6detail15normal_iteratorINS9_10device_ptrItEEEEPS5_jNS1_19radix_merge_compareILb0ELb0EtNS0_19identity_decomposerEEEEE10hipError_tT0_T1_T2_jT3_P12ihipStream_tbPNSt15iterator_traitsISK_E10value_typeEPNSQ_ISL_E10value_typeEPSM_NS1_7vsmem_tEENKUlT_SK_SL_SM_E_clISE_PtSF_SF_EESJ_SZ_SK_SL_SM_EUlSZ_E1_NS1_11comp_targetILNS1_3genE2ELNS1_11target_archE906ELNS1_3gpuE6ELNS1_3repE0EEENS1_36merge_oddeven_config_static_selectorELNS0_4arch9wavefront6targetE1EEEvSL_
; %bb.0:
	.section	.rodata,"a",@progbits
	.p2align	6, 0x0
	.amdhsa_kernel _ZN7rocprim17ROCPRIM_400000_NS6detail17trampoline_kernelINS0_14default_configENS1_38merge_sort_block_merge_config_selectorItNS0_10empty_typeEEEZZNS1_27merge_sort_block_merge_implIS3_N6thrust23THRUST_200600_302600_NS6detail15normal_iteratorINS9_10device_ptrItEEEEPS5_jNS1_19radix_merge_compareILb0ELb0EtNS0_19identity_decomposerEEEEE10hipError_tT0_T1_T2_jT3_P12ihipStream_tbPNSt15iterator_traitsISK_E10value_typeEPNSQ_ISL_E10value_typeEPSM_NS1_7vsmem_tEENKUlT_SK_SL_SM_E_clISE_PtSF_SF_EESJ_SZ_SK_SL_SM_EUlSZ_E1_NS1_11comp_targetILNS1_3genE2ELNS1_11target_archE906ELNS1_3gpuE6ELNS1_3repE0EEENS1_36merge_oddeven_config_static_selectorELNS0_4arch9wavefront6targetE1EEEvSL_
		.amdhsa_group_segment_fixed_size 0
		.amdhsa_private_segment_fixed_size 0
		.amdhsa_kernarg_size 48
		.amdhsa_user_sgpr_count 2
		.amdhsa_user_sgpr_dispatch_ptr 0
		.amdhsa_user_sgpr_queue_ptr 0
		.amdhsa_user_sgpr_kernarg_segment_ptr 1
		.amdhsa_user_sgpr_dispatch_id 0
		.amdhsa_user_sgpr_kernarg_preload_length 0
		.amdhsa_user_sgpr_kernarg_preload_offset 0
		.amdhsa_user_sgpr_private_segment_size 0
		.amdhsa_uses_dynamic_stack 0
		.amdhsa_enable_private_segment 0
		.amdhsa_system_sgpr_workgroup_id_x 1
		.amdhsa_system_sgpr_workgroup_id_y 0
		.amdhsa_system_sgpr_workgroup_id_z 0
		.amdhsa_system_sgpr_workgroup_info 0
		.amdhsa_system_vgpr_workitem_id 0
		.amdhsa_next_free_vgpr 1
		.amdhsa_next_free_sgpr 0
		.amdhsa_accum_offset 4
		.amdhsa_reserve_vcc 0
		.amdhsa_float_round_mode_32 0
		.amdhsa_float_round_mode_16_64 0
		.amdhsa_float_denorm_mode_32 3
		.amdhsa_float_denorm_mode_16_64 3
		.amdhsa_dx10_clamp 1
		.amdhsa_ieee_mode 1
		.amdhsa_fp16_overflow 0
		.amdhsa_tg_split 0
		.amdhsa_exception_fp_ieee_invalid_op 0
		.amdhsa_exception_fp_denorm_src 0
		.amdhsa_exception_fp_ieee_div_zero 0
		.amdhsa_exception_fp_ieee_overflow 0
		.amdhsa_exception_fp_ieee_underflow 0
		.amdhsa_exception_fp_ieee_inexact 0
		.amdhsa_exception_int_div_zero 0
	.end_amdhsa_kernel
	.section	.text._ZN7rocprim17ROCPRIM_400000_NS6detail17trampoline_kernelINS0_14default_configENS1_38merge_sort_block_merge_config_selectorItNS0_10empty_typeEEEZZNS1_27merge_sort_block_merge_implIS3_N6thrust23THRUST_200600_302600_NS6detail15normal_iteratorINS9_10device_ptrItEEEEPS5_jNS1_19radix_merge_compareILb0ELb0EtNS0_19identity_decomposerEEEEE10hipError_tT0_T1_T2_jT3_P12ihipStream_tbPNSt15iterator_traitsISK_E10value_typeEPNSQ_ISL_E10value_typeEPSM_NS1_7vsmem_tEENKUlT_SK_SL_SM_E_clISE_PtSF_SF_EESJ_SZ_SK_SL_SM_EUlSZ_E1_NS1_11comp_targetILNS1_3genE2ELNS1_11target_archE906ELNS1_3gpuE6ELNS1_3repE0EEENS1_36merge_oddeven_config_static_selectorELNS0_4arch9wavefront6targetE1EEEvSL_,"axG",@progbits,_ZN7rocprim17ROCPRIM_400000_NS6detail17trampoline_kernelINS0_14default_configENS1_38merge_sort_block_merge_config_selectorItNS0_10empty_typeEEEZZNS1_27merge_sort_block_merge_implIS3_N6thrust23THRUST_200600_302600_NS6detail15normal_iteratorINS9_10device_ptrItEEEEPS5_jNS1_19radix_merge_compareILb0ELb0EtNS0_19identity_decomposerEEEEE10hipError_tT0_T1_T2_jT3_P12ihipStream_tbPNSt15iterator_traitsISK_E10value_typeEPNSQ_ISL_E10value_typeEPSM_NS1_7vsmem_tEENKUlT_SK_SL_SM_E_clISE_PtSF_SF_EESJ_SZ_SK_SL_SM_EUlSZ_E1_NS1_11comp_targetILNS1_3genE2ELNS1_11target_archE906ELNS1_3gpuE6ELNS1_3repE0EEENS1_36merge_oddeven_config_static_selectorELNS0_4arch9wavefront6targetE1EEEvSL_,comdat
.Lfunc_end1251:
	.size	_ZN7rocprim17ROCPRIM_400000_NS6detail17trampoline_kernelINS0_14default_configENS1_38merge_sort_block_merge_config_selectorItNS0_10empty_typeEEEZZNS1_27merge_sort_block_merge_implIS3_N6thrust23THRUST_200600_302600_NS6detail15normal_iteratorINS9_10device_ptrItEEEEPS5_jNS1_19radix_merge_compareILb0ELb0EtNS0_19identity_decomposerEEEEE10hipError_tT0_T1_T2_jT3_P12ihipStream_tbPNSt15iterator_traitsISK_E10value_typeEPNSQ_ISL_E10value_typeEPSM_NS1_7vsmem_tEENKUlT_SK_SL_SM_E_clISE_PtSF_SF_EESJ_SZ_SK_SL_SM_EUlSZ_E1_NS1_11comp_targetILNS1_3genE2ELNS1_11target_archE906ELNS1_3gpuE6ELNS1_3repE0EEENS1_36merge_oddeven_config_static_selectorELNS0_4arch9wavefront6targetE1EEEvSL_, .Lfunc_end1251-_ZN7rocprim17ROCPRIM_400000_NS6detail17trampoline_kernelINS0_14default_configENS1_38merge_sort_block_merge_config_selectorItNS0_10empty_typeEEEZZNS1_27merge_sort_block_merge_implIS3_N6thrust23THRUST_200600_302600_NS6detail15normal_iteratorINS9_10device_ptrItEEEEPS5_jNS1_19radix_merge_compareILb0ELb0EtNS0_19identity_decomposerEEEEE10hipError_tT0_T1_T2_jT3_P12ihipStream_tbPNSt15iterator_traitsISK_E10value_typeEPNSQ_ISL_E10value_typeEPSM_NS1_7vsmem_tEENKUlT_SK_SL_SM_E_clISE_PtSF_SF_EESJ_SZ_SK_SL_SM_EUlSZ_E1_NS1_11comp_targetILNS1_3genE2ELNS1_11target_archE906ELNS1_3gpuE6ELNS1_3repE0EEENS1_36merge_oddeven_config_static_selectorELNS0_4arch9wavefront6targetE1EEEvSL_
                                        ; -- End function
	.section	.AMDGPU.csdata,"",@progbits
; Kernel info:
; codeLenInByte = 0
; NumSgprs: 6
; NumVgprs: 0
; NumAgprs: 0
; TotalNumVgprs: 0
; ScratchSize: 0
; MemoryBound: 0
; FloatMode: 240
; IeeeMode: 1
; LDSByteSize: 0 bytes/workgroup (compile time only)
; SGPRBlocks: 0
; VGPRBlocks: 0
; NumSGPRsForWavesPerEU: 6
; NumVGPRsForWavesPerEU: 1
; AccumOffset: 4
; Occupancy: 8
; WaveLimiterHint : 0
; COMPUTE_PGM_RSRC2:SCRATCH_EN: 0
; COMPUTE_PGM_RSRC2:USER_SGPR: 2
; COMPUTE_PGM_RSRC2:TRAP_HANDLER: 0
; COMPUTE_PGM_RSRC2:TGID_X_EN: 1
; COMPUTE_PGM_RSRC2:TGID_Y_EN: 0
; COMPUTE_PGM_RSRC2:TGID_Z_EN: 0
; COMPUTE_PGM_RSRC2:TIDIG_COMP_CNT: 0
; COMPUTE_PGM_RSRC3_GFX90A:ACCUM_OFFSET: 0
; COMPUTE_PGM_RSRC3_GFX90A:TG_SPLIT: 0
	.section	.text._ZN7rocprim17ROCPRIM_400000_NS6detail17trampoline_kernelINS0_14default_configENS1_38merge_sort_block_merge_config_selectorItNS0_10empty_typeEEEZZNS1_27merge_sort_block_merge_implIS3_N6thrust23THRUST_200600_302600_NS6detail15normal_iteratorINS9_10device_ptrItEEEEPS5_jNS1_19radix_merge_compareILb0ELb0EtNS0_19identity_decomposerEEEEE10hipError_tT0_T1_T2_jT3_P12ihipStream_tbPNSt15iterator_traitsISK_E10value_typeEPNSQ_ISL_E10value_typeEPSM_NS1_7vsmem_tEENKUlT_SK_SL_SM_E_clISE_PtSF_SF_EESJ_SZ_SK_SL_SM_EUlSZ_E1_NS1_11comp_targetILNS1_3genE9ELNS1_11target_archE1100ELNS1_3gpuE3ELNS1_3repE0EEENS1_36merge_oddeven_config_static_selectorELNS0_4arch9wavefront6targetE1EEEvSL_,"axG",@progbits,_ZN7rocprim17ROCPRIM_400000_NS6detail17trampoline_kernelINS0_14default_configENS1_38merge_sort_block_merge_config_selectorItNS0_10empty_typeEEEZZNS1_27merge_sort_block_merge_implIS3_N6thrust23THRUST_200600_302600_NS6detail15normal_iteratorINS9_10device_ptrItEEEEPS5_jNS1_19radix_merge_compareILb0ELb0EtNS0_19identity_decomposerEEEEE10hipError_tT0_T1_T2_jT3_P12ihipStream_tbPNSt15iterator_traitsISK_E10value_typeEPNSQ_ISL_E10value_typeEPSM_NS1_7vsmem_tEENKUlT_SK_SL_SM_E_clISE_PtSF_SF_EESJ_SZ_SK_SL_SM_EUlSZ_E1_NS1_11comp_targetILNS1_3genE9ELNS1_11target_archE1100ELNS1_3gpuE3ELNS1_3repE0EEENS1_36merge_oddeven_config_static_selectorELNS0_4arch9wavefront6targetE1EEEvSL_,comdat
	.protected	_ZN7rocprim17ROCPRIM_400000_NS6detail17trampoline_kernelINS0_14default_configENS1_38merge_sort_block_merge_config_selectorItNS0_10empty_typeEEEZZNS1_27merge_sort_block_merge_implIS3_N6thrust23THRUST_200600_302600_NS6detail15normal_iteratorINS9_10device_ptrItEEEEPS5_jNS1_19radix_merge_compareILb0ELb0EtNS0_19identity_decomposerEEEEE10hipError_tT0_T1_T2_jT3_P12ihipStream_tbPNSt15iterator_traitsISK_E10value_typeEPNSQ_ISL_E10value_typeEPSM_NS1_7vsmem_tEENKUlT_SK_SL_SM_E_clISE_PtSF_SF_EESJ_SZ_SK_SL_SM_EUlSZ_E1_NS1_11comp_targetILNS1_3genE9ELNS1_11target_archE1100ELNS1_3gpuE3ELNS1_3repE0EEENS1_36merge_oddeven_config_static_selectorELNS0_4arch9wavefront6targetE1EEEvSL_ ; -- Begin function _ZN7rocprim17ROCPRIM_400000_NS6detail17trampoline_kernelINS0_14default_configENS1_38merge_sort_block_merge_config_selectorItNS0_10empty_typeEEEZZNS1_27merge_sort_block_merge_implIS3_N6thrust23THRUST_200600_302600_NS6detail15normal_iteratorINS9_10device_ptrItEEEEPS5_jNS1_19radix_merge_compareILb0ELb0EtNS0_19identity_decomposerEEEEE10hipError_tT0_T1_T2_jT3_P12ihipStream_tbPNSt15iterator_traitsISK_E10value_typeEPNSQ_ISL_E10value_typeEPSM_NS1_7vsmem_tEENKUlT_SK_SL_SM_E_clISE_PtSF_SF_EESJ_SZ_SK_SL_SM_EUlSZ_E1_NS1_11comp_targetILNS1_3genE9ELNS1_11target_archE1100ELNS1_3gpuE3ELNS1_3repE0EEENS1_36merge_oddeven_config_static_selectorELNS0_4arch9wavefront6targetE1EEEvSL_
	.globl	_ZN7rocprim17ROCPRIM_400000_NS6detail17trampoline_kernelINS0_14default_configENS1_38merge_sort_block_merge_config_selectorItNS0_10empty_typeEEEZZNS1_27merge_sort_block_merge_implIS3_N6thrust23THRUST_200600_302600_NS6detail15normal_iteratorINS9_10device_ptrItEEEEPS5_jNS1_19radix_merge_compareILb0ELb0EtNS0_19identity_decomposerEEEEE10hipError_tT0_T1_T2_jT3_P12ihipStream_tbPNSt15iterator_traitsISK_E10value_typeEPNSQ_ISL_E10value_typeEPSM_NS1_7vsmem_tEENKUlT_SK_SL_SM_E_clISE_PtSF_SF_EESJ_SZ_SK_SL_SM_EUlSZ_E1_NS1_11comp_targetILNS1_3genE9ELNS1_11target_archE1100ELNS1_3gpuE3ELNS1_3repE0EEENS1_36merge_oddeven_config_static_selectorELNS0_4arch9wavefront6targetE1EEEvSL_
	.p2align	8
	.type	_ZN7rocprim17ROCPRIM_400000_NS6detail17trampoline_kernelINS0_14default_configENS1_38merge_sort_block_merge_config_selectorItNS0_10empty_typeEEEZZNS1_27merge_sort_block_merge_implIS3_N6thrust23THRUST_200600_302600_NS6detail15normal_iteratorINS9_10device_ptrItEEEEPS5_jNS1_19radix_merge_compareILb0ELb0EtNS0_19identity_decomposerEEEEE10hipError_tT0_T1_T2_jT3_P12ihipStream_tbPNSt15iterator_traitsISK_E10value_typeEPNSQ_ISL_E10value_typeEPSM_NS1_7vsmem_tEENKUlT_SK_SL_SM_E_clISE_PtSF_SF_EESJ_SZ_SK_SL_SM_EUlSZ_E1_NS1_11comp_targetILNS1_3genE9ELNS1_11target_archE1100ELNS1_3gpuE3ELNS1_3repE0EEENS1_36merge_oddeven_config_static_selectorELNS0_4arch9wavefront6targetE1EEEvSL_,@function
_ZN7rocprim17ROCPRIM_400000_NS6detail17trampoline_kernelINS0_14default_configENS1_38merge_sort_block_merge_config_selectorItNS0_10empty_typeEEEZZNS1_27merge_sort_block_merge_implIS3_N6thrust23THRUST_200600_302600_NS6detail15normal_iteratorINS9_10device_ptrItEEEEPS5_jNS1_19radix_merge_compareILb0ELb0EtNS0_19identity_decomposerEEEEE10hipError_tT0_T1_T2_jT3_P12ihipStream_tbPNSt15iterator_traitsISK_E10value_typeEPNSQ_ISL_E10value_typeEPSM_NS1_7vsmem_tEENKUlT_SK_SL_SM_E_clISE_PtSF_SF_EESJ_SZ_SK_SL_SM_EUlSZ_E1_NS1_11comp_targetILNS1_3genE9ELNS1_11target_archE1100ELNS1_3gpuE3ELNS1_3repE0EEENS1_36merge_oddeven_config_static_selectorELNS0_4arch9wavefront6targetE1EEEvSL_: ; @_ZN7rocprim17ROCPRIM_400000_NS6detail17trampoline_kernelINS0_14default_configENS1_38merge_sort_block_merge_config_selectorItNS0_10empty_typeEEEZZNS1_27merge_sort_block_merge_implIS3_N6thrust23THRUST_200600_302600_NS6detail15normal_iteratorINS9_10device_ptrItEEEEPS5_jNS1_19radix_merge_compareILb0ELb0EtNS0_19identity_decomposerEEEEE10hipError_tT0_T1_T2_jT3_P12ihipStream_tbPNSt15iterator_traitsISK_E10value_typeEPNSQ_ISL_E10value_typeEPSM_NS1_7vsmem_tEENKUlT_SK_SL_SM_E_clISE_PtSF_SF_EESJ_SZ_SK_SL_SM_EUlSZ_E1_NS1_11comp_targetILNS1_3genE9ELNS1_11target_archE1100ELNS1_3gpuE3ELNS1_3repE0EEENS1_36merge_oddeven_config_static_selectorELNS0_4arch9wavefront6targetE1EEEvSL_
; %bb.0:
	.section	.rodata,"a",@progbits
	.p2align	6, 0x0
	.amdhsa_kernel _ZN7rocprim17ROCPRIM_400000_NS6detail17trampoline_kernelINS0_14default_configENS1_38merge_sort_block_merge_config_selectorItNS0_10empty_typeEEEZZNS1_27merge_sort_block_merge_implIS3_N6thrust23THRUST_200600_302600_NS6detail15normal_iteratorINS9_10device_ptrItEEEEPS5_jNS1_19radix_merge_compareILb0ELb0EtNS0_19identity_decomposerEEEEE10hipError_tT0_T1_T2_jT3_P12ihipStream_tbPNSt15iterator_traitsISK_E10value_typeEPNSQ_ISL_E10value_typeEPSM_NS1_7vsmem_tEENKUlT_SK_SL_SM_E_clISE_PtSF_SF_EESJ_SZ_SK_SL_SM_EUlSZ_E1_NS1_11comp_targetILNS1_3genE9ELNS1_11target_archE1100ELNS1_3gpuE3ELNS1_3repE0EEENS1_36merge_oddeven_config_static_selectorELNS0_4arch9wavefront6targetE1EEEvSL_
		.amdhsa_group_segment_fixed_size 0
		.amdhsa_private_segment_fixed_size 0
		.amdhsa_kernarg_size 48
		.amdhsa_user_sgpr_count 2
		.amdhsa_user_sgpr_dispatch_ptr 0
		.amdhsa_user_sgpr_queue_ptr 0
		.amdhsa_user_sgpr_kernarg_segment_ptr 1
		.amdhsa_user_sgpr_dispatch_id 0
		.amdhsa_user_sgpr_kernarg_preload_length 0
		.amdhsa_user_sgpr_kernarg_preload_offset 0
		.amdhsa_user_sgpr_private_segment_size 0
		.amdhsa_uses_dynamic_stack 0
		.amdhsa_enable_private_segment 0
		.amdhsa_system_sgpr_workgroup_id_x 1
		.amdhsa_system_sgpr_workgroup_id_y 0
		.amdhsa_system_sgpr_workgroup_id_z 0
		.amdhsa_system_sgpr_workgroup_info 0
		.amdhsa_system_vgpr_workitem_id 0
		.amdhsa_next_free_vgpr 1
		.amdhsa_next_free_sgpr 0
		.amdhsa_accum_offset 4
		.amdhsa_reserve_vcc 0
		.amdhsa_float_round_mode_32 0
		.amdhsa_float_round_mode_16_64 0
		.amdhsa_float_denorm_mode_32 3
		.amdhsa_float_denorm_mode_16_64 3
		.amdhsa_dx10_clamp 1
		.amdhsa_ieee_mode 1
		.amdhsa_fp16_overflow 0
		.amdhsa_tg_split 0
		.amdhsa_exception_fp_ieee_invalid_op 0
		.amdhsa_exception_fp_denorm_src 0
		.amdhsa_exception_fp_ieee_div_zero 0
		.amdhsa_exception_fp_ieee_overflow 0
		.amdhsa_exception_fp_ieee_underflow 0
		.amdhsa_exception_fp_ieee_inexact 0
		.amdhsa_exception_int_div_zero 0
	.end_amdhsa_kernel
	.section	.text._ZN7rocprim17ROCPRIM_400000_NS6detail17trampoline_kernelINS0_14default_configENS1_38merge_sort_block_merge_config_selectorItNS0_10empty_typeEEEZZNS1_27merge_sort_block_merge_implIS3_N6thrust23THRUST_200600_302600_NS6detail15normal_iteratorINS9_10device_ptrItEEEEPS5_jNS1_19radix_merge_compareILb0ELb0EtNS0_19identity_decomposerEEEEE10hipError_tT0_T1_T2_jT3_P12ihipStream_tbPNSt15iterator_traitsISK_E10value_typeEPNSQ_ISL_E10value_typeEPSM_NS1_7vsmem_tEENKUlT_SK_SL_SM_E_clISE_PtSF_SF_EESJ_SZ_SK_SL_SM_EUlSZ_E1_NS1_11comp_targetILNS1_3genE9ELNS1_11target_archE1100ELNS1_3gpuE3ELNS1_3repE0EEENS1_36merge_oddeven_config_static_selectorELNS0_4arch9wavefront6targetE1EEEvSL_,"axG",@progbits,_ZN7rocprim17ROCPRIM_400000_NS6detail17trampoline_kernelINS0_14default_configENS1_38merge_sort_block_merge_config_selectorItNS0_10empty_typeEEEZZNS1_27merge_sort_block_merge_implIS3_N6thrust23THRUST_200600_302600_NS6detail15normal_iteratorINS9_10device_ptrItEEEEPS5_jNS1_19radix_merge_compareILb0ELb0EtNS0_19identity_decomposerEEEEE10hipError_tT0_T1_T2_jT3_P12ihipStream_tbPNSt15iterator_traitsISK_E10value_typeEPNSQ_ISL_E10value_typeEPSM_NS1_7vsmem_tEENKUlT_SK_SL_SM_E_clISE_PtSF_SF_EESJ_SZ_SK_SL_SM_EUlSZ_E1_NS1_11comp_targetILNS1_3genE9ELNS1_11target_archE1100ELNS1_3gpuE3ELNS1_3repE0EEENS1_36merge_oddeven_config_static_selectorELNS0_4arch9wavefront6targetE1EEEvSL_,comdat
.Lfunc_end1252:
	.size	_ZN7rocprim17ROCPRIM_400000_NS6detail17trampoline_kernelINS0_14default_configENS1_38merge_sort_block_merge_config_selectorItNS0_10empty_typeEEEZZNS1_27merge_sort_block_merge_implIS3_N6thrust23THRUST_200600_302600_NS6detail15normal_iteratorINS9_10device_ptrItEEEEPS5_jNS1_19radix_merge_compareILb0ELb0EtNS0_19identity_decomposerEEEEE10hipError_tT0_T1_T2_jT3_P12ihipStream_tbPNSt15iterator_traitsISK_E10value_typeEPNSQ_ISL_E10value_typeEPSM_NS1_7vsmem_tEENKUlT_SK_SL_SM_E_clISE_PtSF_SF_EESJ_SZ_SK_SL_SM_EUlSZ_E1_NS1_11comp_targetILNS1_3genE9ELNS1_11target_archE1100ELNS1_3gpuE3ELNS1_3repE0EEENS1_36merge_oddeven_config_static_selectorELNS0_4arch9wavefront6targetE1EEEvSL_, .Lfunc_end1252-_ZN7rocprim17ROCPRIM_400000_NS6detail17trampoline_kernelINS0_14default_configENS1_38merge_sort_block_merge_config_selectorItNS0_10empty_typeEEEZZNS1_27merge_sort_block_merge_implIS3_N6thrust23THRUST_200600_302600_NS6detail15normal_iteratorINS9_10device_ptrItEEEEPS5_jNS1_19radix_merge_compareILb0ELb0EtNS0_19identity_decomposerEEEEE10hipError_tT0_T1_T2_jT3_P12ihipStream_tbPNSt15iterator_traitsISK_E10value_typeEPNSQ_ISL_E10value_typeEPSM_NS1_7vsmem_tEENKUlT_SK_SL_SM_E_clISE_PtSF_SF_EESJ_SZ_SK_SL_SM_EUlSZ_E1_NS1_11comp_targetILNS1_3genE9ELNS1_11target_archE1100ELNS1_3gpuE3ELNS1_3repE0EEENS1_36merge_oddeven_config_static_selectorELNS0_4arch9wavefront6targetE1EEEvSL_
                                        ; -- End function
	.section	.AMDGPU.csdata,"",@progbits
; Kernel info:
; codeLenInByte = 0
; NumSgprs: 6
; NumVgprs: 0
; NumAgprs: 0
; TotalNumVgprs: 0
; ScratchSize: 0
; MemoryBound: 0
; FloatMode: 240
; IeeeMode: 1
; LDSByteSize: 0 bytes/workgroup (compile time only)
; SGPRBlocks: 0
; VGPRBlocks: 0
; NumSGPRsForWavesPerEU: 6
; NumVGPRsForWavesPerEU: 1
; AccumOffset: 4
; Occupancy: 8
; WaveLimiterHint : 0
; COMPUTE_PGM_RSRC2:SCRATCH_EN: 0
; COMPUTE_PGM_RSRC2:USER_SGPR: 2
; COMPUTE_PGM_RSRC2:TRAP_HANDLER: 0
; COMPUTE_PGM_RSRC2:TGID_X_EN: 1
; COMPUTE_PGM_RSRC2:TGID_Y_EN: 0
; COMPUTE_PGM_RSRC2:TGID_Z_EN: 0
; COMPUTE_PGM_RSRC2:TIDIG_COMP_CNT: 0
; COMPUTE_PGM_RSRC3_GFX90A:ACCUM_OFFSET: 0
; COMPUTE_PGM_RSRC3_GFX90A:TG_SPLIT: 0
	.section	.text._ZN7rocprim17ROCPRIM_400000_NS6detail17trampoline_kernelINS0_14default_configENS1_38merge_sort_block_merge_config_selectorItNS0_10empty_typeEEEZZNS1_27merge_sort_block_merge_implIS3_N6thrust23THRUST_200600_302600_NS6detail15normal_iteratorINS9_10device_ptrItEEEEPS5_jNS1_19radix_merge_compareILb0ELb0EtNS0_19identity_decomposerEEEEE10hipError_tT0_T1_T2_jT3_P12ihipStream_tbPNSt15iterator_traitsISK_E10value_typeEPNSQ_ISL_E10value_typeEPSM_NS1_7vsmem_tEENKUlT_SK_SL_SM_E_clISE_PtSF_SF_EESJ_SZ_SK_SL_SM_EUlSZ_E1_NS1_11comp_targetILNS1_3genE8ELNS1_11target_archE1030ELNS1_3gpuE2ELNS1_3repE0EEENS1_36merge_oddeven_config_static_selectorELNS0_4arch9wavefront6targetE1EEEvSL_,"axG",@progbits,_ZN7rocprim17ROCPRIM_400000_NS6detail17trampoline_kernelINS0_14default_configENS1_38merge_sort_block_merge_config_selectorItNS0_10empty_typeEEEZZNS1_27merge_sort_block_merge_implIS3_N6thrust23THRUST_200600_302600_NS6detail15normal_iteratorINS9_10device_ptrItEEEEPS5_jNS1_19radix_merge_compareILb0ELb0EtNS0_19identity_decomposerEEEEE10hipError_tT0_T1_T2_jT3_P12ihipStream_tbPNSt15iterator_traitsISK_E10value_typeEPNSQ_ISL_E10value_typeEPSM_NS1_7vsmem_tEENKUlT_SK_SL_SM_E_clISE_PtSF_SF_EESJ_SZ_SK_SL_SM_EUlSZ_E1_NS1_11comp_targetILNS1_3genE8ELNS1_11target_archE1030ELNS1_3gpuE2ELNS1_3repE0EEENS1_36merge_oddeven_config_static_selectorELNS0_4arch9wavefront6targetE1EEEvSL_,comdat
	.protected	_ZN7rocprim17ROCPRIM_400000_NS6detail17trampoline_kernelINS0_14default_configENS1_38merge_sort_block_merge_config_selectorItNS0_10empty_typeEEEZZNS1_27merge_sort_block_merge_implIS3_N6thrust23THRUST_200600_302600_NS6detail15normal_iteratorINS9_10device_ptrItEEEEPS5_jNS1_19radix_merge_compareILb0ELb0EtNS0_19identity_decomposerEEEEE10hipError_tT0_T1_T2_jT3_P12ihipStream_tbPNSt15iterator_traitsISK_E10value_typeEPNSQ_ISL_E10value_typeEPSM_NS1_7vsmem_tEENKUlT_SK_SL_SM_E_clISE_PtSF_SF_EESJ_SZ_SK_SL_SM_EUlSZ_E1_NS1_11comp_targetILNS1_3genE8ELNS1_11target_archE1030ELNS1_3gpuE2ELNS1_3repE0EEENS1_36merge_oddeven_config_static_selectorELNS0_4arch9wavefront6targetE1EEEvSL_ ; -- Begin function _ZN7rocprim17ROCPRIM_400000_NS6detail17trampoline_kernelINS0_14default_configENS1_38merge_sort_block_merge_config_selectorItNS0_10empty_typeEEEZZNS1_27merge_sort_block_merge_implIS3_N6thrust23THRUST_200600_302600_NS6detail15normal_iteratorINS9_10device_ptrItEEEEPS5_jNS1_19radix_merge_compareILb0ELb0EtNS0_19identity_decomposerEEEEE10hipError_tT0_T1_T2_jT3_P12ihipStream_tbPNSt15iterator_traitsISK_E10value_typeEPNSQ_ISL_E10value_typeEPSM_NS1_7vsmem_tEENKUlT_SK_SL_SM_E_clISE_PtSF_SF_EESJ_SZ_SK_SL_SM_EUlSZ_E1_NS1_11comp_targetILNS1_3genE8ELNS1_11target_archE1030ELNS1_3gpuE2ELNS1_3repE0EEENS1_36merge_oddeven_config_static_selectorELNS0_4arch9wavefront6targetE1EEEvSL_
	.globl	_ZN7rocprim17ROCPRIM_400000_NS6detail17trampoline_kernelINS0_14default_configENS1_38merge_sort_block_merge_config_selectorItNS0_10empty_typeEEEZZNS1_27merge_sort_block_merge_implIS3_N6thrust23THRUST_200600_302600_NS6detail15normal_iteratorINS9_10device_ptrItEEEEPS5_jNS1_19radix_merge_compareILb0ELb0EtNS0_19identity_decomposerEEEEE10hipError_tT0_T1_T2_jT3_P12ihipStream_tbPNSt15iterator_traitsISK_E10value_typeEPNSQ_ISL_E10value_typeEPSM_NS1_7vsmem_tEENKUlT_SK_SL_SM_E_clISE_PtSF_SF_EESJ_SZ_SK_SL_SM_EUlSZ_E1_NS1_11comp_targetILNS1_3genE8ELNS1_11target_archE1030ELNS1_3gpuE2ELNS1_3repE0EEENS1_36merge_oddeven_config_static_selectorELNS0_4arch9wavefront6targetE1EEEvSL_
	.p2align	8
	.type	_ZN7rocprim17ROCPRIM_400000_NS6detail17trampoline_kernelINS0_14default_configENS1_38merge_sort_block_merge_config_selectorItNS0_10empty_typeEEEZZNS1_27merge_sort_block_merge_implIS3_N6thrust23THRUST_200600_302600_NS6detail15normal_iteratorINS9_10device_ptrItEEEEPS5_jNS1_19radix_merge_compareILb0ELb0EtNS0_19identity_decomposerEEEEE10hipError_tT0_T1_T2_jT3_P12ihipStream_tbPNSt15iterator_traitsISK_E10value_typeEPNSQ_ISL_E10value_typeEPSM_NS1_7vsmem_tEENKUlT_SK_SL_SM_E_clISE_PtSF_SF_EESJ_SZ_SK_SL_SM_EUlSZ_E1_NS1_11comp_targetILNS1_3genE8ELNS1_11target_archE1030ELNS1_3gpuE2ELNS1_3repE0EEENS1_36merge_oddeven_config_static_selectorELNS0_4arch9wavefront6targetE1EEEvSL_,@function
_ZN7rocprim17ROCPRIM_400000_NS6detail17trampoline_kernelINS0_14default_configENS1_38merge_sort_block_merge_config_selectorItNS0_10empty_typeEEEZZNS1_27merge_sort_block_merge_implIS3_N6thrust23THRUST_200600_302600_NS6detail15normal_iteratorINS9_10device_ptrItEEEEPS5_jNS1_19radix_merge_compareILb0ELb0EtNS0_19identity_decomposerEEEEE10hipError_tT0_T1_T2_jT3_P12ihipStream_tbPNSt15iterator_traitsISK_E10value_typeEPNSQ_ISL_E10value_typeEPSM_NS1_7vsmem_tEENKUlT_SK_SL_SM_E_clISE_PtSF_SF_EESJ_SZ_SK_SL_SM_EUlSZ_E1_NS1_11comp_targetILNS1_3genE8ELNS1_11target_archE1030ELNS1_3gpuE2ELNS1_3repE0EEENS1_36merge_oddeven_config_static_selectorELNS0_4arch9wavefront6targetE1EEEvSL_: ; @_ZN7rocprim17ROCPRIM_400000_NS6detail17trampoline_kernelINS0_14default_configENS1_38merge_sort_block_merge_config_selectorItNS0_10empty_typeEEEZZNS1_27merge_sort_block_merge_implIS3_N6thrust23THRUST_200600_302600_NS6detail15normal_iteratorINS9_10device_ptrItEEEEPS5_jNS1_19radix_merge_compareILb0ELb0EtNS0_19identity_decomposerEEEEE10hipError_tT0_T1_T2_jT3_P12ihipStream_tbPNSt15iterator_traitsISK_E10value_typeEPNSQ_ISL_E10value_typeEPSM_NS1_7vsmem_tEENKUlT_SK_SL_SM_E_clISE_PtSF_SF_EESJ_SZ_SK_SL_SM_EUlSZ_E1_NS1_11comp_targetILNS1_3genE8ELNS1_11target_archE1030ELNS1_3gpuE2ELNS1_3repE0EEENS1_36merge_oddeven_config_static_selectorELNS0_4arch9wavefront6targetE1EEEvSL_
; %bb.0:
	.section	.rodata,"a",@progbits
	.p2align	6, 0x0
	.amdhsa_kernel _ZN7rocprim17ROCPRIM_400000_NS6detail17trampoline_kernelINS0_14default_configENS1_38merge_sort_block_merge_config_selectorItNS0_10empty_typeEEEZZNS1_27merge_sort_block_merge_implIS3_N6thrust23THRUST_200600_302600_NS6detail15normal_iteratorINS9_10device_ptrItEEEEPS5_jNS1_19radix_merge_compareILb0ELb0EtNS0_19identity_decomposerEEEEE10hipError_tT0_T1_T2_jT3_P12ihipStream_tbPNSt15iterator_traitsISK_E10value_typeEPNSQ_ISL_E10value_typeEPSM_NS1_7vsmem_tEENKUlT_SK_SL_SM_E_clISE_PtSF_SF_EESJ_SZ_SK_SL_SM_EUlSZ_E1_NS1_11comp_targetILNS1_3genE8ELNS1_11target_archE1030ELNS1_3gpuE2ELNS1_3repE0EEENS1_36merge_oddeven_config_static_selectorELNS0_4arch9wavefront6targetE1EEEvSL_
		.amdhsa_group_segment_fixed_size 0
		.amdhsa_private_segment_fixed_size 0
		.amdhsa_kernarg_size 48
		.amdhsa_user_sgpr_count 2
		.amdhsa_user_sgpr_dispatch_ptr 0
		.amdhsa_user_sgpr_queue_ptr 0
		.amdhsa_user_sgpr_kernarg_segment_ptr 1
		.amdhsa_user_sgpr_dispatch_id 0
		.amdhsa_user_sgpr_kernarg_preload_length 0
		.amdhsa_user_sgpr_kernarg_preload_offset 0
		.amdhsa_user_sgpr_private_segment_size 0
		.amdhsa_uses_dynamic_stack 0
		.amdhsa_enable_private_segment 0
		.amdhsa_system_sgpr_workgroup_id_x 1
		.amdhsa_system_sgpr_workgroup_id_y 0
		.amdhsa_system_sgpr_workgroup_id_z 0
		.amdhsa_system_sgpr_workgroup_info 0
		.amdhsa_system_vgpr_workitem_id 0
		.amdhsa_next_free_vgpr 1
		.amdhsa_next_free_sgpr 0
		.amdhsa_accum_offset 4
		.amdhsa_reserve_vcc 0
		.amdhsa_float_round_mode_32 0
		.amdhsa_float_round_mode_16_64 0
		.amdhsa_float_denorm_mode_32 3
		.amdhsa_float_denorm_mode_16_64 3
		.amdhsa_dx10_clamp 1
		.amdhsa_ieee_mode 1
		.amdhsa_fp16_overflow 0
		.amdhsa_tg_split 0
		.amdhsa_exception_fp_ieee_invalid_op 0
		.amdhsa_exception_fp_denorm_src 0
		.amdhsa_exception_fp_ieee_div_zero 0
		.amdhsa_exception_fp_ieee_overflow 0
		.amdhsa_exception_fp_ieee_underflow 0
		.amdhsa_exception_fp_ieee_inexact 0
		.amdhsa_exception_int_div_zero 0
	.end_amdhsa_kernel
	.section	.text._ZN7rocprim17ROCPRIM_400000_NS6detail17trampoline_kernelINS0_14default_configENS1_38merge_sort_block_merge_config_selectorItNS0_10empty_typeEEEZZNS1_27merge_sort_block_merge_implIS3_N6thrust23THRUST_200600_302600_NS6detail15normal_iteratorINS9_10device_ptrItEEEEPS5_jNS1_19radix_merge_compareILb0ELb0EtNS0_19identity_decomposerEEEEE10hipError_tT0_T1_T2_jT3_P12ihipStream_tbPNSt15iterator_traitsISK_E10value_typeEPNSQ_ISL_E10value_typeEPSM_NS1_7vsmem_tEENKUlT_SK_SL_SM_E_clISE_PtSF_SF_EESJ_SZ_SK_SL_SM_EUlSZ_E1_NS1_11comp_targetILNS1_3genE8ELNS1_11target_archE1030ELNS1_3gpuE2ELNS1_3repE0EEENS1_36merge_oddeven_config_static_selectorELNS0_4arch9wavefront6targetE1EEEvSL_,"axG",@progbits,_ZN7rocprim17ROCPRIM_400000_NS6detail17trampoline_kernelINS0_14default_configENS1_38merge_sort_block_merge_config_selectorItNS0_10empty_typeEEEZZNS1_27merge_sort_block_merge_implIS3_N6thrust23THRUST_200600_302600_NS6detail15normal_iteratorINS9_10device_ptrItEEEEPS5_jNS1_19radix_merge_compareILb0ELb0EtNS0_19identity_decomposerEEEEE10hipError_tT0_T1_T2_jT3_P12ihipStream_tbPNSt15iterator_traitsISK_E10value_typeEPNSQ_ISL_E10value_typeEPSM_NS1_7vsmem_tEENKUlT_SK_SL_SM_E_clISE_PtSF_SF_EESJ_SZ_SK_SL_SM_EUlSZ_E1_NS1_11comp_targetILNS1_3genE8ELNS1_11target_archE1030ELNS1_3gpuE2ELNS1_3repE0EEENS1_36merge_oddeven_config_static_selectorELNS0_4arch9wavefront6targetE1EEEvSL_,comdat
.Lfunc_end1253:
	.size	_ZN7rocprim17ROCPRIM_400000_NS6detail17trampoline_kernelINS0_14default_configENS1_38merge_sort_block_merge_config_selectorItNS0_10empty_typeEEEZZNS1_27merge_sort_block_merge_implIS3_N6thrust23THRUST_200600_302600_NS6detail15normal_iteratorINS9_10device_ptrItEEEEPS5_jNS1_19radix_merge_compareILb0ELb0EtNS0_19identity_decomposerEEEEE10hipError_tT0_T1_T2_jT3_P12ihipStream_tbPNSt15iterator_traitsISK_E10value_typeEPNSQ_ISL_E10value_typeEPSM_NS1_7vsmem_tEENKUlT_SK_SL_SM_E_clISE_PtSF_SF_EESJ_SZ_SK_SL_SM_EUlSZ_E1_NS1_11comp_targetILNS1_3genE8ELNS1_11target_archE1030ELNS1_3gpuE2ELNS1_3repE0EEENS1_36merge_oddeven_config_static_selectorELNS0_4arch9wavefront6targetE1EEEvSL_, .Lfunc_end1253-_ZN7rocprim17ROCPRIM_400000_NS6detail17trampoline_kernelINS0_14default_configENS1_38merge_sort_block_merge_config_selectorItNS0_10empty_typeEEEZZNS1_27merge_sort_block_merge_implIS3_N6thrust23THRUST_200600_302600_NS6detail15normal_iteratorINS9_10device_ptrItEEEEPS5_jNS1_19radix_merge_compareILb0ELb0EtNS0_19identity_decomposerEEEEE10hipError_tT0_T1_T2_jT3_P12ihipStream_tbPNSt15iterator_traitsISK_E10value_typeEPNSQ_ISL_E10value_typeEPSM_NS1_7vsmem_tEENKUlT_SK_SL_SM_E_clISE_PtSF_SF_EESJ_SZ_SK_SL_SM_EUlSZ_E1_NS1_11comp_targetILNS1_3genE8ELNS1_11target_archE1030ELNS1_3gpuE2ELNS1_3repE0EEENS1_36merge_oddeven_config_static_selectorELNS0_4arch9wavefront6targetE1EEEvSL_
                                        ; -- End function
	.section	.AMDGPU.csdata,"",@progbits
; Kernel info:
; codeLenInByte = 0
; NumSgprs: 6
; NumVgprs: 0
; NumAgprs: 0
; TotalNumVgprs: 0
; ScratchSize: 0
; MemoryBound: 0
; FloatMode: 240
; IeeeMode: 1
; LDSByteSize: 0 bytes/workgroup (compile time only)
; SGPRBlocks: 0
; VGPRBlocks: 0
; NumSGPRsForWavesPerEU: 6
; NumVGPRsForWavesPerEU: 1
; AccumOffset: 4
; Occupancy: 8
; WaveLimiterHint : 0
; COMPUTE_PGM_RSRC2:SCRATCH_EN: 0
; COMPUTE_PGM_RSRC2:USER_SGPR: 2
; COMPUTE_PGM_RSRC2:TRAP_HANDLER: 0
; COMPUTE_PGM_RSRC2:TGID_X_EN: 1
; COMPUTE_PGM_RSRC2:TGID_Y_EN: 0
; COMPUTE_PGM_RSRC2:TGID_Z_EN: 0
; COMPUTE_PGM_RSRC2:TIDIG_COMP_CNT: 0
; COMPUTE_PGM_RSRC3_GFX90A:ACCUM_OFFSET: 0
; COMPUTE_PGM_RSRC3_GFX90A:TG_SPLIT: 0
	.section	.text._ZN7rocprim17ROCPRIM_400000_NS6detail17trampoline_kernelINS0_14default_configENS1_25transform_config_selectorItLb0EEEZNS1_14transform_implILb0ES3_S5_PtN6thrust23THRUST_200600_302600_NS6detail15normal_iteratorINS9_10device_ptrItEEEENS0_8identityItEEEE10hipError_tT2_T3_mT4_P12ihipStream_tbEUlT_E_NS1_11comp_targetILNS1_3genE0ELNS1_11target_archE4294967295ELNS1_3gpuE0ELNS1_3repE0EEENS1_30default_config_static_selectorELNS0_4arch9wavefront6targetE1EEEvT1_,"axG",@progbits,_ZN7rocprim17ROCPRIM_400000_NS6detail17trampoline_kernelINS0_14default_configENS1_25transform_config_selectorItLb0EEEZNS1_14transform_implILb0ES3_S5_PtN6thrust23THRUST_200600_302600_NS6detail15normal_iteratorINS9_10device_ptrItEEEENS0_8identityItEEEE10hipError_tT2_T3_mT4_P12ihipStream_tbEUlT_E_NS1_11comp_targetILNS1_3genE0ELNS1_11target_archE4294967295ELNS1_3gpuE0ELNS1_3repE0EEENS1_30default_config_static_selectorELNS0_4arch9wavefront6targetE1EEEvT1_,comdat
	.protected	_ZN7rocprim17ROCPRIM_400000_NS6detail17trampoline_kernelINS0_14default_configENS1_25transform_config_selectorItLb0EEEZNS1_14transform_implILb0ES3_S5_PtN6thrust23THRUST_200600_302600_NS6detail15normal_iteratorINS9_10device_ptrItEEEENS0_8identityItEEEE10hipError_tT2_T3_mT4_P12ihipStream_tbEUlT_E_NS1_11comp_targetILNS1_3genE0ELNS1_11target_archE4294967295ELNS1_3gpuE0ELNS1_3repE0EEENS1_30default_config_static_selectorELNS0_4arch9wavefront6targetE1EEEvT1_ ; -- Begin function _ZN7rocprim17ROCPRIM_400000_NS6detail17trampoline_kernelINS0_14default_configENS1_25transform_config_selectorItLb0EEEZNS1_14transform_implILb0ES3_S5_PtN6thrust23THRUST_200600_302600_NS6detail15normal_iteratorINS9_10device_ptrItEEEENS0_8identityItEEEE10hipError_tT2_T3_mT4_P12ihipStream_tbEUlT_E_NS1_11comp_targetILNS1_3genE0ELNS1_11target_archE4294967295ELNS1_3gpuE0ELNS1_3repE0EEENS1_30default_config_static_selectorELNS0_4arch9wavefront6targetE1EEEvT1_
	.globl	_ZN7rocprim17ROCPRIM_400000_NS6detail17trampoline_kernelINS0_14default_configENS1_25transform_config_selectorItLb0EEEZNS1_14transform_implILb0ES3_S5_PtN6thrust23THRUST_200600_302600_NS6detail15normal_iteratorINS9_10device_ptrItEEEENS0_8identityItEEEE10hipError_tT2_T3_mT4_P12ihipStream_tbEUlT_E_NS1_11comp_targetILNS1_3genE0ELNS1_11target_archE4294967295ELNS1_3gpuE0ELNS1_3repE0EEENS1_30default_config_static_selectorELNS0_4arch9wavefront6targetE1EEEvT1_
	.p2align	8
	.type	_ZN7rocprim17ROCPRIM_400000_NS6detail17trampoline_kernelINS0_14default_configENS1_25transform_config_selectorItLb0EEEZNS1_14transform_implILb0ES3_S5_PtN6thrust23THRUST_200600_302600_NS6detail15normal_iteratorINS9_10device_ptrItEEEENS0_8identityItEEEE10hipError_tT2_T3_mT4_P12ihipStream_tbEUlT_E_NS1_11comp_targetILNS1_3genE0ELNS1_11target_archE4294967295ELNS1_3gpuE0ELNS1_3repE0EEENS1_30default_config_static_selectorELNS0_4arch9wavefront6targetE1EEEvT1_,@function
_ZN7rocprim17ROCPRIM_400000_NS6detail17trampoline_kernelINS0_14default_configENS1_25transform_config_selectorItLb0EEEZNS1_14transform_implILb0ES3_S5_PtN6thrust23THRUST_200600_302600_NS6detail15normal_iteratorINS9_10device_ptrItEEEENS0_8identityItEEEE10hipError_tT2_T3_mT4_P12ihipStream_tbEUlT_E_NS1_11comp_targetILNS1_3genE0ELNS1_11target_archE4294967295ELNS1_3gpuE0ELNS1_3repE0EEENS1_30default_config_static_selectorELNS0_4arch9wavefront6targetE1EEEvT1_: ; @_ZN7rocprim17ROCPRIM_400000_NS6detail17trampoline_kernelINS0_14default_configENS1_25transform_config_selectorItLb0EEEZNS1_14transform_implILb0ES3_S5_PtN6thrust23THRUST_200600_302600_NS6detail15normal_iteratorINS9_10device_ptrItEEEENS0_8identityItEEEE10hipError_tT2_T3_mT4_P12ihipStream_tbEUlT_E_NS1_11comp_targetILNS1_3genE0ELNS1_11target_archE4294967295ELNS1_3gpuE0ELNS1_3repE0EEENS1_30default_config_static_selectorELNS0_4arch9wavefront6targetE1EEEvT1_
; %bb.0:
	.section	.rodata,"a",@progbits
	.p2align	6, 0x0
	.amdhsa_kernel _ZN7rocprim17ROCPRIM_400000_NS6detail17trampoline_kernelINS0_14default_configENS1_25transform_config_selectorItLb0EEEZNS1_14transform_implILb0ES3_S5_PtN6thrust23THRUST_200600_302600_NS6detail15normal_iteratorINS9_10device_ptrItEEEENS0_8identityItEEEE10hipError_tT2_T3_mT4_P12ihipStream_tbEUlT_E_NS1_11comp_targetILNS1_3genE0ELNS1_11target_archE4294967295ELNS1_3gpuE0ELNS1_3repE0EEENS1_30default_config_static_selectorELNS0_4arch9wavefront6targetE1EEEvT1_
		.amdhsa_group_segment_fixed_size 0
		.amdhsa_private_segment_fixed_size 0
		.amdhsa_kernarg_size 40
		.amdhsa_user_sgpr_count 2
		.amdhsa_user_sgpr_dispatch_ptr 0
		.amdhsa_user_sgpr_queue_ptr 0
		.amdhsa_user_sgpr_kernarg_segment_ptr 1
		.amdhsa_user_sgpr_dispatch_id 0
		.amdhsa_user_sgpr_kernarg_preload_length 0
		.amdhsa_user_sgpr_kernarg_preload_offset 0
		.amdhsa_user_sgpr_private_segment_size 0
		.amdhsa_uses_dynamic_stack 0
		.amdhsa_enable_private_segment 0
		.amdhsa_system_sgpr_workgroup_id_x 1
		.amdhsa_system_sgpr_workgroup_id_y 0
		.amdhsa_system_sgpr_workgroup_id_z 0
		.amdhsa_system_sgpr_workgroup_info 0
		.amdhsa_system_vgpr_workitem_id 0
		.amdhsa_next_free_vgpr 1
		.amdhsa_next_free_sgpr 0
		.amdhsa_accum_offset 4
		.amdhsa_reserve_vcc 0
		.amdhsa_float_round_mode_32 0
		.amdhsa_float_round_mode_16_64 0
		.amdhsa_float_denorm_mode_32 3
		.amdhsa_float_denorm_mode_16_64 3
		.amdhsa_dx10_clamp 1
		.amdhsa_ieee_mode 1
		.amdhsa_fp16_overflow 0
		.amdhsa_tg_split 0
		.amdhsa_exception_fp_ieee_invalid_op 0
		.amdhsa_exception_fp_denorm_src 0
		.amdhsa_exception_fp_ieee_div_zero 0
		.amdhsa_exception_fp_ieee_overflow 0
		.amdhsa_exception_fp_ieee_underflow 0
		.amdhsa_exception_fp_ieee_inexact 0
		.amdhsa_exception_int_div_zero 0
	.end_amdhsa_kernel
	.section	.text._ZN7rocprim17ROCPRIM_400000_NS6detail17trampoline_kernelINS0_14default_configENS1_25transform_config_selectorItLb0EEEZNS1_14transform_implILb0ES3_S5_PtN6thrust23THRUST_200600_302600_NS6detail15normal_iteratorINS9_10device_ptrItEEEENS0_8identityItEEEE10hipError_tT2_T3_mT4_P12ihipStream_tbEUlT_E_NS1_11comp_targetILNS1_3genE0ELNS1_11target_archE4294967295ELNS1_3gpuE0ELNS1_3repE0EEENS1_30default_config_static_selectorELNS0_4arch9wavefront6targetE1EEEvT1_,"axG",@progbits,_ZN7rocprim17ROCPRIM_400000_NS6detail17trampoline_kernelINS0_14default_configENS1_25transform_config_selectorItLb0EEEZNS1_14transform_implILb0ES3_S5_PtN6thrust23THRUST_200600_302600_NS6detail15normal_iteratorINS9_10device_ptrItEEEENS0_8identityItEEEE10hipError_tT2_T3_mT4_P12ihipStream_tbEUlT_E_NS1_11comp_targetILNS1_3genE0ELNS1_11target_archE4294967295ELNS1_3gpuE0ELNS1_3repE0EEENS1_30default_config_static_selectorELNS0_4arch9wavefront6targetE1EEEvT1_,comdat
.Lfunc_end1254:
	.size	_ZN7rocprim17ROCPRIM_400000_NS6detail17trampoline_kernelINS0_14default_configENS1_25transform_config_selectorItLb0EEEZNS1_14transform_implILb0ES3_S5_PtN6thrust23THRUST_200600_302600_NS6detail15normal_iteratorINS9_10device_ptrItEEEENS0_8identityItEEEE10hipError_tT2_T3_mT4_P12ihipStream_tbEUlT_E_NS1_11comp_targetILNS1_3genE0ELNS1_11target_archE4294967295ELNS1_3gpuE0ELNS1_3repE0EEENS1_30default_config_static_selectorELNS0_4arch9wavefront6targetE1EEEvT1_, .Lfunc_end1254-_ZN7rocprim17ROCPRIM_400000_NS6detail17trampoline_kernelINS0_14default_configENS1_25transform_config_selectorItLb0EEEZNS1_14transform_implILb0ES3_S5_PtN6thrust23THRUST_200600_302600_NS6detail15normal_iteratorINS9_10device_ptrItEEEENS0_8identityItEEEE10hipError_tT2_T3_mT4_P12ihipStream_tbEUlT_E_NS1_11comp_targetILNS1_3genE0ELNS1_11target_archE4294967295ELNS1_3gpuE0ELNS1_3repE0EEENS1_30default_config_static_selectorELNS0_4arch9wavefront6targetE1EEEvT1_
                                        ; -- End function
	.section	.AMDGPU.csdata,"",@progbits
; Kernel info:
; codeLenInByte = 0
; NumSgprs: 6
; NumVgprs: 0
; NumAgprs: 0
; TotalNumVgprs: 0
; ScratchSize: 0
; MemoryBound: 0
; FloatMode: 240
; IeeeMode: 1
; LDSByteSize: 0 bytes/workgroup (compile time only)
; SGPRBlocks: 0
; VGPRBlocks: 0
; NumSGPRsForWavesPerEU: 6
; NumVGPRsForWavesPerEU: 1
; AccumOffset: 4
; Occupancy: 8
; WaveLimiterHint : 0
; COMPUTE_PGM_RSRC2:SCRATCH_EN: 0
; COMPUTE_PGM_RSRC2:USER_SGPR: 2
; COMPUTE_PGM_RSRC2:TRAP_HANDLER: 0
; COMPUTE_PGM_RSRC2:TGID_X_EN: 1
; COMPUTE_PGM_RSRC2:TGID_Y_EN: 0
; COMPUTE_PGM_RSRC2:TGID_Z_EN: 0
; COMPUTE_PGM_RSRC2:TIDIG_COMP_CNT: 0
; COMPUTE_PGM_RSRC3_GFX90A:ACCUM_OFFSET: 0
; COMPUTE_PGM_RSRC3_GFX90A:TG_SPLIT: 0
	.section	.text._ZN7rocprim17ROCPRIM_400000_NS6detail17trampoline_kernelINS0_14default_configENS1_25transform_config_selectorItLb0EEEZNS1_14transform_implILb0ES3_S5_PtN6thrust23THRUST_200600_302600_NS6detail15normal_iteratorINS9_10device_ptrItEEEENS0_8identityItEEEE10hipError_tT2_T3_mT4_P12ihipStream_tbEUlT_E_NS1_11comp_targetILNS1_3genE5ELNS1_11target_archE942ELNS1_3gpuE9ELNS1_3repE0EEENS1_30default_config_static_selectorELNS0_4arch9wavefront6targetE1EEEvT1_,"axG",@progbits,_ZN7rocprim17ROCPRIM_400000_NS6detail17trampoline_kernelINS0_14default_configENS1_25transform_config_selectorItLb0EEEZNS1_14transform_implILb0ES3_S5_PtN6thrust23THRUST_200600_302600_NS6detail15normal_iteratorINS9_10device_ptrItEEEENS0_8identityItEEEE10hipError_tT2_T3_mT4_P12ihipStream_tbEUlT_E_NS1_11comp_targetILNS1_3genE5ELNS1_11target_archE942ELNS1_3gpuE9ELNS1_3repE0EEENS1_30default_config_static_selectorELNS0_4arch9wavefront6targetE1EEEvT1_,comdat
	.protected	_ZN7rocprim17ROCPRIM_400000_NS6detail17trampoline_kernelINS0_14default_configENS1_25transform_config_selectorItLb0EEEZNS1_14transform_implILb0ES3_S5_PtN6thrust23THRUST_200600_302600_NS6detail15normal_iteratorINS9_10device_ptrItEEEENS0_8identityItEEEE10hipError_tT2_T3_mT4_P12ihipStream_tbEUlT_E_NS1_11comp_targetILNS1_3genE5ELNS1_11target_archE942ELNS1_3gpuE9ELNS1_3repE0EEENS1_30default_config_static_selectorELNS0_4arch9wavefront6targetE1EEEvT1_ ; -- Begin function _ZN7rocprim17ROCPRIM_400000_NS6detail17trampoline_kernelINS0_14default_configENS1_25transform_config_selectorItLb0EEEZNS1_14transform_implILb0ES3_S5_PtN6thrust23THRUST_200600_302600_NS6detail15normal_iteratorINS9_10device_ptrItEEEENS0_8identityItEEEE10hipError_tT2_T3_mT4_P12ihipStream_tbEUlT_E_NS1_11comp_targetILNS1_3genE5ELNS1_11target_archE942ELNS1_3gpuE9ELNS1_3repE0EEENS1_30default_config_static_selectorELNS0_4arch9wavefront6targetE1EEEvT1_
	.globl	_ZN7rocprim17ROCPRIM_400000_NS6detail17trampoline_kernelINS0_14default_configENS1_25transform_config_selectorItLb0EEEZNS1_14transform_implILb0ES3_S5_PtN6thrust23THRUST_200600_302600_NS6detail15normal_iteratorINS9_10device_ptrItEEEENS0_8identityItEEEE10hipError_tT2_T3_mT4_P12ihipStream_tbEUlT_E_NS1_11comp_targetILNS1_3genE5ELNS1_11target_archE942ELNS1_3gpuE9ELNS1_3repE0EEENS1_30default_config_static_selectorELNS0_4arch9wavefront6targetE1EEEvT1_
	.p2align	8
	.type	_ZN7rocprim17ROCPRIM_400000_NS6detail17trampoline_kernelINS0_14default_configENS1_25transform_config_selectorItLb0EEEZNS1_14transform_implILb0ES3_S5_PtN6thrust23THRUST_200600_302600_NS6detail15normal_iteratorINS9_10device_ptrItEEEENS0_8identityItEEEE10hipError_tT2_T3_mT4_P12ihipStream_tbEUlT_E_NS1_11comp_targetILNS1_3genE5ELNS1_11target_archE942ELNS1_3gpuE9ELNS1_3repE0EEENS1_30default_config_static_selectorELNS0_4arch9wavefront6targetE1EEEvT1_,@function
_ZN7rocprim17ROCPRIM_400000_NS6detail17trampoline_kernelINS0_14default_configENS1_25transform_config_selectorItLb0EEEZNS1_14transform_implILb0ES3_S5_PtN6thrust23THRUST_200600_302600_NS6detail15normal_iteratorINS9_10device_ptrItEEEENS0_8identityItEEEE10hipError_tT2_T3_mT4_P12ihipStream_tbEUlT_E_NS1_11comp_targetILNS1_3genE5ELNS1_11target_archE942ELNS1_3gpuE9ELNS1_3repE0EEENS1_30default_config_static_selectorELNS0_4arch9wavefront6targetE1EEEvT1_: ; @_ZN7rocprim17ROCPRIM_400000_NS6detail17trampoline_kernelINS0_14default_configENS1_25transform_config_selectorItLb0EEEZNS1_14transform_implILb0ES3_S5_PtN6thrust23THRUST_200600_302600_NS6detail15normal_iteratorINS9_10device_ptrItEEEENS0_8identityItEEEE10hipError_tT2_T3_mT4_P12ihipStream_tbEUlT_E_NS1_11comp_targetILNS1_3genE5ELNS1_11target_archE942ELNS1_3gpuE9ELNS1_3repE0EEENS1_30default_config_static_selectorELNS0_4arch9wavefront6targetE1EEEvT1_
; %bb.0:
	s_load_dwordx8 s[4:11], s[0:1], 0x0
	s_load_dword s3, s[0:1], 0x28
	v_lshlrev_b32_e32 v6, 1, v0
	s_waitcnt lgkmcnt(0)
	s_lshl_b64 s[0:1], s[6:7], 1
	s_add_u32 s4, s4, s0
	s_addc_u32 s5, s5, s1
	s_add_u32 s22, s10, s0
	s_addc_u32 s23, s11, s1
	s_lshl_b32 s0, s2, 11
	s_mov_b32 s1, 0
	s_add_i32 s3, s3, -1
	s_lshl_b64 s[18:19], s[0:1], 1
	s_add_u32 s20, s4, s18
	s_addc_u32 s21, s5, s19
	s_cmp_lg_u32 s2, s3
	s_cbranch_scc0 .LBB1255_2
; %bb.1:
	global_load_ushort v2, v6, s[20:21]
	global_load_ushort v3, v6, s[20:21] offset:512
	global_load_ushort v4, v6, s[20:21] offset:1024
	global_load_ushort v5, v6, s[20:21] offset:1536
	global_load_ushort v10, v6, s[20:21] offset:2048
	global_load_ushort v11, v6, s[20:21] offset:2560
	global_load_ushort v12, v6, s[20:21] offset:3072
	global_load_ushort v1, v6, s[20:21] offset:3584
	s_add_u32 s4, s22, s18
	v_mov_b32_e32 v7, 0
	s_addc_u32 s5, s23, s19
	v_lshl_add_u64 v[8:9], s[4:5], 0, v[6:7]
	s_mov_b64 s[16:17], -1
	s_waitcnt vmcnt(7)
	flat_store_short v[8:9], v2
	s_waitcnt vmcnt(0)
	flat_store_short v[8:9], v3 offset:512
	flat_store_short v[8:9], v4 offset:1024
	;; [unrolled: 1-line block ×6, first 2 shown]
	s_cbranch_execz .LBB1255_3
	s_branch .LBB1255_34
.LBB1255_2:
	s_mov_b64 s[16:17], 0
                                        ; implicit-def: $vgpr1
                                        ; implicit-def: $vgpr8_vgpr9
.LBB1255_3:
	s_sub_i32 s14, s8, s0
	v_cmp_gt_u32_e32 vcc, s14, v0
                                        ; implicit-def: $vgpr2_vgpr3_vgpr4_vgpr5
	s_and_saveexec_b64 s[0:1], vcc
	s_cbranch_execz .LBB1255_5
; %bb.4:
	global_load_ushort v2, v6, s[20:21]
.LBB1255_5:
	s_or_b64 exec, exec, s[0:1]
	v_or_b32_e32 v1, 0x100, v0
	v_cmp_gt_u32_e64 s[0:1], s14, v1
	s_and_saveexec_b64 s[2:3], s[0:1]
	s_cbranch_execz .LBB1255_7
; %bb.6:
	global_load_ushort v1, v6, s[20:21] offset:512
	s_mov_b32 s4, 0x5040100
	s_waitcnt vmcnt(0)
	v_perm_b32 v2, v1, v2, s4
.LBB1255_7:
	s_or_b64 exec, exec, s[2:3]
	v_or_b32_e32 v1, 0x200, v0
	v_cmp_gt_u32_e64 s[2:3], s14, v1
	s_and_saveexec_b64 s[4:5], s[2:3]
	s_cbranch_execz .LBB1255_9
; %bb.8:
	global_load_ushort v1, v6, s[20:21] offset:1024
	s_mov_b32 s6, 0xffff
	s_waitcnt vmcnt(0)
	v_bfi_b32 v3, s6, v1, v3
.LBB1255_9:
	s_or_b64 exec, exec, s[4:5]
	v_or_b32_e32 v1, 0x300, v0
	v_cmp_gt_u32_e64 s[4:5], s14, v1
	s_and_saveexec_b64 s[6:7], s[4:5]
	s_cbranch_execz .LBB1255_11
; %bb.10:
	global_load_ushort v1, v6, s[20:21] offset:1536
	s_mov_b32 s8, 0x5040100
	s_waitcnt vmcnt(0)
	v_perm_b32 v3, v1, v3, s8
.LBB1255_11:
	s_or_b64 exec, exec, s[6:7]
	v_or_b32_e32 v1, 0x400, v0
	v_cmp_gt_u32_e64 s[6:7], s14, v1
	s_and_saveexec_b64 s[8:9], s[6:7]
	s_cbranch_execz .LBB1255_13
; %bb.12:
	global_load_ushort v1, v6, s[20:21] offset:2048
	s_mov_b32 s10, 0xffff
	s_waitcnt vmcnt(0)
	v_bfi_b32 v4, s10, v1, v4
.LBB1255_13:
	;; [unrolled: 22-line block ×3, first 2 shown]
	s_or_b64 exec, exec, s[12:13]
	v_or_b32_e32 v1, 0x700, v0
	v_cmp_gt_u32_e64 s[12:13], s14, v1
	v_cmp_le_u32_e64 s[14:15], s14, v1
	s_and_saveexec_b64 s[24:25], s[14:15]
	s_xor_b64 s[14:15], exec, s[24:25]
; %bb.18:
	v_mov_b32_e32 v1, 0
                                        ; implicit-def: $vgpr6
; %bb.19:
	s_andn2_saveexec_b64 s[14:15], s[14:15]
	s_cbranch_execz .LBB1255_21
; %bb.20:
	global_load_ushort v6, v6, s[20:21] offset:3584
	s_mov_b32 s20, 0x5040100
	v_mov_b32_e32 v1, 0
	s_waitcnt vmcnt(0)
	v_perm_b32 v5, v6, v5, s20
.LBB1255_21:
	s_or_b64 exec, exec, s[14:15]
	s_add_u32 s14, s22, s18
	s_addc_u32 s15, s23, s19
	v_lshl_add_u64 v[8:9], v[0:1], 1, s[14:15]
	s_and_saveexec_b64 s[14:15], vcc
	s_cbranch_execnz .LBB1255_37
; %bb.22:
	s_or_b64 exec, exec, s[14:15]
	s_and_saveexec_b64 s[14:15], s[0:1]
	s_cbranch_execnz .LBB1255_38
.LBB1255_23:
	s_or_b64 exec, exec, s[14:15]
	s_mov_b32 s14, 0xffff
	s_and_saveexec_b64 s[0:1], s[2:3]
	s_cbranch_execz .LBB1255_25
.LBB1255_24:
	flat_store_short v[8:9], v3 offset:1024
.LBB1255_25:
	s_or_b64 exec, exec, s[0:1]
	v_bfi_b32 v0, s14, v3, v3
	v_cndmask_b32_e64 v0, v0, v3, s[4:5]
	s_and_saveexec_b64 s[0:1], s[4:5]
	s_cbranch_execz .LBB1255_27
; %bb.26:
	flat_store_short_d16_hi v[8:9], v0 offset:1536
.LBB1255_27:
	s_or_b64 exec, exec, s[0:1]
	s_mov_b32 s2, 0xffff
	v_cndmask_b32_e64 v0, v4, v4, s[6:7]
	s_and_saveexec_b64 s[0:1], s[6:7]
	s_cbranch_execz .LBB1255_29
; %bb.28:
	flat_store_short v[8:9], v0 offset:2048
.LBB1255_29:
	s_or_b64 exec, exec, s[0:1]
	v_bfi_b32 v0, s2, v0, v4
	v_cndmask_b32_e64 v0, v0, v4, s[8:9]
	s_and_saveexec_b64 s[0:1], s[8:9]
	s_cbranch_execnz .LBB1255_39
; %bb.30:
	s_or_b64 exec, exec, s[0:1]
	s_and_saveexec_b64 s[0:1], s[10:11]
	s_cbranch_execnz .LBB1255_40
.LBB1255_31:
	s_or_b64 exec, exec, s[0:1]
                                        ; implicit-def: $vgpr1
	s_and_saveexec_b64 s[0:1], s[12:13]
.LBB1255_32:
	v_cndmask_b32_e64 v0, v5, v5, s[12:13]
	v_lshrrev_b32_e32 v1, 16, v0
	s_or_b64 s[16:17], s[16:17], exec
.LBB1255_33:
	s_or_b64 exec, exec, s[0:1]
.LBB1255_34:
	s_and_saveexec_b64 s[0:1], s[16:17]
	s_cbranch_execnz .LBB1255_36
; %bb.35:
	s_endpgm
.LBB1255_36:
	flat_store_short v[8:9], v1 offset:3584
	s_endpgm
.LBB1255_37:
	s_waitcnt vmcnt(0)
	flat_store_short v[8:9], v2
	s_or_b64 exec, exec, s[14:15]
	s_and_saveexec_b64 s[14:15], s[0:1]
	s_cbranch_execz .LBB1255_23
.LBB1255_38:
	s_waitcnt vmcnt(0)
	flat_store_short_d16_hi v[8:9], v2 offset:512
	s_or_b64 exec, exec, s[14:15]
	s_mov_b32 s14, 0xffff
	s_and_saveexec_b64 s[0:1], s[2:3]
	s_cbranch_execnz .LBB1255_24
	s_branch .LBB1255_25
.LBB1255_39:
	flat_store_short_d16_hi v[8:9], v0 offset:2560
	s_or_b64 exec, exec, s[0:1]
	s_and_saveexec_b64 s[0:1], s[10:11]
	s_cbranch_execz .LBB1255_31
.LBB1255_40:
	v_cndmask_b32_e64 v0, v5, v5, s[10:11]
	flat_store_short v[8:9], v0 offset:3072
	s_or_b64 exec, exec, s[0:1]
                                        ; implicit-def: $vgpr1
	s_and_saveexec_b64 s[0:1], s[12:13]
	s_cbranch_execnz .LBB1255_32
	s_branch .LBB1255_33
	.section	.rodata,"a",@progbits
	.p2align	6, 0x0
	.amdhsa_kernel _ZN7rocprim17ROCPRIM_400000_NS6detail17trampoline_kernelINS0_14default_configENS1_25transform_config_selectorItLb0EEEZNS1_14transform_implILb0ES3_S5_PtN6thrust23THRUST_200600_302600_NS6detail15normal_iteratorINS9_10device_ptrItEEEENS0_8identityItEEEE10hipError_tT2_T3_mT4_P12ihipStream_tbEUlT_E_NS1_11comp_targetILNS1_3genE5ELNS1_11target_archE942ELNS1_3gpuE9ELNS1_3repE0EEENS1_30default_config_static_selectorELNS0_4arch9wavefront6targetE1EEEvT1_
		.amdhsa_group_segment_fixed_size 0
		.amdhsa_private_segment_fixed_size 0
		.amdhsa_kernarg_size 296
		.amdhsa_user_sgpr_count 2
		.amdhsa_user_sgpr_dispatch_ptr 0
		.amdhsa_user_sgpr_queue_ptr 0
		.amdhsa_user_sgpr_kernarg_segment_ptr 1
		.amdhsa_user_sgpr_dispatch_id 0
		.amdhsa_user_sgpr_kernarg_preload_length 0
		.amdhsa_user_sgpr_kernarg_preload_offset 0
		.amdhsa_user_sgpr_private_segment_size 0
		.amdhsa_uses_dynamic_stack 0
		.amdhsa_enable_private_segment 0
		.amdhsa_system_sgpr_workgroup_id_x 1
		.amdhsa_system_sgpr_workgroup_id_y 0
		.amdhsa_system_sgpr_workgroup_id_z 0
		.amdhsa_system_sgpr_workgroup_info 0
		.amdhsa_system_vgpr_workitem_id 0
		.amdhsa_next_free_vgpr 13
		.amdhsa_next_free_sgpr 26
		.amdhsa_accum_offset 16
		.amdhsa_reserve_vcc 1
		.amdhsa_float_round_mode_32 0
		.amdhsa_float_round_mode_16_64 0
		.amdhsa_float_denorm_mode_32 3
		.amdhsa_float_denorm_mode_16_64 3
		.amdhsa_dx10_clamp 1
		.amdhsa_ieee_mode 1
		.amdhsa_fp16_overflow 0
		.amdhsa_tg_split 0
		.amdhsa_exception_fp_ieee_invalid_op 0
		.amdhsa_exception_fp_denorm_src 0
		.amdhsa_exception_fp_ieee_div_zero 0
		.amdhsa_exception_fp_ieee_overflow 0
		.amdhsa_exception_fp_ieee_underflow 0
		.amdhsa_exception_fp_ieee_inexact 0
		.amdhsa_exception_int_div_zero 0
	.end_amdhsa_kernel
	.section	.text._ZN7rocprim17ROCPRIM_400000_NS6detail17trampoline_kernelINS0_14default_configENS1_25transform_config_selectorItLb0EEEZNS1_14transform_implILb0ES3_S5_PtN6thrust23THRUST_200600_302600_NS6detail15normal_iteratorINS9_10device_ptrItEEEENS0_8identityItEEEE10hipError_tT2_T3_mT4_P12ihipStream_tbEUlT_E_NS1_11comp_targetILNS1_3genE5ELNS1_11target_archE942ELNS1_3gpuE9ELNS1_3repE0EEENS1_30default_config_static_selectorELNS0_4arch9wavefront6targetE1EEEvT1_,"axG",@progbits,_ZN7rocprim17ROCPRIM_400000_NS6detail17trampoline_kernelINS0_14default_configENS1_25transform_config_selectorItLb0EEEZNS1_14transform_implILb0ES3_S5_PtN6thrust23THRUST_200600_302600_NS6detail15normal_iteratorINS9_10device_ptrItEEEENS0_8identityItEEEE10hipError_tT2_T3_mT4_P12ihipStream_tbEUlT_E_NS1_11comp_targetILNS1_3genE5ELNS1_11target_archE942ELNS1_3gpuE9ELNS1_3repE0EEENS1_30default_config_static_selectorELNS0_4arch9wavefront6targetE1EEEvT1_,comdat
.Lfunc_end1255:
	.size	_ZN7rocprim17ROCPRIM_400000_NS6detail17trampoline_kernelINS0_14default_configENS1_25transform_config_selectorItLb0EEEZNS1_14transform_implILb0ES3_S5_PtN6thrust23THRUST_200600_302600_NS6detail15normal_iteratorINS9_10device_ptrItEEEENS0_8identityItEEEE10hipError_tT2_T3_mT4_P12ihipStream_tbEUlT_E_NS1_11comp_targetILNS1_3genE5ELNS1_11target_archE942ELNS1_3gpuE9ELNS1_3repE0EEENS1_30default_config_static_selectorELNS0_4arch9wavefront6targetE1EEEvT1_, .Lfunc_end1255-_ZN7rocprim17ROCPRIM_400000_NS6detail17trampoline_kernelINS0_14default_configENS1_25transform_config_selectorItLb0EEEZNS1_14transform_implILb0ES3_S5_PtN6thrust23THRUST_200600_302600_NS6detail15normal_iteratorINS9_10device_ptrItEEEENS0_8identityItEEEE10hipError_tT2_T3_mT4_P12ihipStream_tbEUlT_E_NS1_11comp_targetILNS1_3genE5ELNS1_11target_archE942ELNS1_3gpuE9ELNS1_3repE0EEENS1_30default_config_static_selectorELNS0_4arch9wavefront6targetE1EEEvT1_
                                        ; -- End function
	.section	.AMDGPU.csdata,"",@progbits
; Kernel info:
; codeLenInByte = 1024
; NumSgprs: 32
; NumVgprs: 13
; NumAgprs: 0
; TotalNumVgprs: 13
; ScratchSize: 0
; MemoryBound: 0
; FloatMode: 240
; IeeeMode: 1
; LDSByteSize: 0 bytes/workgroup (compile time only)
; SGPRBlocks: 3
; VGPRBlocks: 1
; NumSGPRsForWavesPerEU: 32
; NumVGPRsForWavesPerEU: 13
; AccumOffset: 16
; Occupancy: 8
; WaveLimiterHint : 1
; COMPUTE_PGM_RSRC2:SCRATCH_EN: 0
; COMPUTE_PGM_RSRC2:USER_SGPR: 2
; COMPUTE_PGM_RSRC2:TRAP_HANDLER: 0
; COMPUTE_PGM_RSRC2:TGID_X_EN: 1
; COMPUTE_PGM_RSRC2:TGID_Y_EN: 0
; COMPUTE_PGM_RSRC2:TGID_Z_EN: 0
; COMPUTE_PGM_RSRC2:TIDIG_COMP_CNT: 0
; COMPUTE_PGM_RSRC3_GFX90A:ACCUM_OFFSET: 3
; COMPUTE_PGM_RSRC3_GFX90A:TG_SPLIT: 0
	.section	.text._ZN7rocprim17ROCPRIM_400000_NS6detail17trampoline_kernelINS0_14default_configENS1_25transform_config_selectorItLb0EEEZNS1_14transform_implILb0ES3_S5_PtN6thrust23THRUST_200600_302600_NS6detail15normal_iteratorINS9_10device_ptrItEEEENS0_8identityItEEEE10hipError_tT2_T3_mT4_P12ihipStream_tbEUlT_E_NS1_11comp_targetILNS1_3genE4ELNS1_11target_archE910ELNS1_3gpuE8ELNS1_3repE0EEENS1_30default_config_static_selectorELNS0_4arch9wavefront6targetE1EEEvT1_,"axG",@progbits,_ZN7rocprim17ROCPRIM_400000_NS6detail17trampoline_kernelINS0_14default_configENS1_25transform_config_selectorItLb0EEEZNS1_14transform_implILb0ES3_S5_PtN6thrust23THRUST_200600_302600_NS6detail15normal_iteratorINS9_10device_ptrItEEEENS0_8identityItEEEE10hipError_tT2_T3_mT4_P12ihipStream_tbEUlT_E_NS1_11comp_targetILNS1_3genE4ELNS1_11target_archE910ELNS1_3gpuE8ELNS1_3repE0EEENS1_30default_config_static_selectorELNS0_4arch9wavefront6targetE1EEEvT1_,comdat
	.protected	_ZN7rocprim17ROCPRIM_400000_NS6detail17trampoline_kernelINS0_14default_configENS1_25transform_config_selectorItLb0EEEZNS1_14transform_implILb0ES3_S5_PtN6thrust23THRUST_200600_302600_NS6detail15normal_iteratorINS9_10device_ptrItEEEENS0_8identityItEEEE10hipError_tT2_T3_mT4_P12ihipStream_tbEUlT_E_NS1_11comp_targetILNS1_3genE4ELNS1_11target_archE910ELNS1_3gpuE8ELNS1_3repE0EEENS1_30default_config_static_selectorELNS0_4arch9wavefront6targetE1EEEvT1_ ; -- Begin function _ZN7rocprim17ROCPRIM_400000_NS6detail17trampoline_kernelINS0_14default_configENS1_25transform_config_selectorItLb0EEEZNS1_14transform_implILb0ES3_S5_PtN6thrust23THRUST_200600_302600_NS6detail15normal_iteratorINS9_10device_ptrItEEEENS0_8identityItEEEE10hipError_tT2_T3_mT4_P12ihipStream_tbEUlT_E_NS1_11comp_targetILNS1_3genE4ELNS1_11target_archE910ELNS1_3gpuE8ELNS1_3repE0EEENS1_30default_config_static_selectorELNS0_4arch9wavefront6targetE1EEEvT1_
	.globl	_ZN7rocprim17ROCPRIM_400000_NS6detail17trampoline_kernelINS0_14default_configENS1_25transform_config_selectorItLb0EEEZNS1_14transform_implILb0ES3_S5_PtN6thrust23THRUST_200600_302600_NS6detail15normal_iteratorINS9_10device_ptrItEEEENS0_8identityItEEEE10hipError_tT2_T3_mT4_P12ihipStream_tbEUlT_E_NS1_11comp_targetILNS1_3genE4ELNS1_11target_archE910ELNS1_3gpuE8ELNS1_3repE0EEENS1_30default_config_static_selectorELNS0_4arch9wavefront6targetE1EEEvT1_
	.p2align	8
	.type	_ZN7rocprim17ROCPRIM_400000_NS6detail17trampoline_kernelINS0_14default_configENS1_25transform_config_selectorItLb0EEEZNS1_14transform_implILb0ES3_S5_PtN6thrust23THRUST_200600_302600_NS6detail15normal_iteratorINS9_10device_ptrItEEEENS0_8identityItEEEE10hipError_tT2_T3_mT4_P12ihipStream_tbEUlT_E_NS1_11comp_targetILNS1_3genE4ELNS1_11target_archE910ELNS1_3gpuE8ELNS1_3repE0EEENS1_30default_config_static_selectorELNS0_4arch9wavefront6targetE1EEEvT1_,@function
_ZN7rocprim17ROCPRIM_400000_NS6detail17trampoline_kernelINS0_14default_configENS1_25transform_config_selectorItLb0EEEZNS1_14transform_implILb0ES3_S5_PtN6thrust23THRUST_200600_302600_NS6detail15normal_iteratorINS9_10device_ptrItEEEENS0_8identityItEEEE10hipError_tT2_T3_mT4_P12ihipStream_tbEUlT_E_NS1_11comp_targetILNS1_3genE4ELNS1_11target_archE910ELNS1_3gpuE8ELNS1_3repE0EEENS1_30default_config_static_selectorELNS0_4arch9wavefront6targetE1EEEvT1_: ; @_ZN7rocprim17ROCPRIM_400000_NS6detail17trampoline_kernelINS0_14default_configENS1_25transform_config_selectorItLb0EEEZNS1_14transform_implILb0ES3_S5_PtN6thrust23THRUST_200600_302600_NS6detail15normal_iteratorINS9_10device_ptrItEEEENS0_8identityItEEEE10hipError_tT2_T3_mT4_P12ihipStream_tbEUlT_E_NS1_11comp_targetILNS1_3genE4ELNS1_11target_archE910ELNS1_3gpuE8ELNS1_3repE0EEENS1_30default_config_static_selectorELNS0_4arch9wavefront6targetE1EEEvT1_
; %bb.0:
	.section	.rodata,"a",@progbits
	.p2align	6, 0x0
	.amdhsa_kernel _ZN7rocprim17ROCPRIM_400000_NS6detail17trampoline_kernelINS0_14default_configENS1_25transform_config_selectorItLb0EEEZNS1_14transform_implILb0ES3_S5_PtN6thrust23THRUST_200600_302600_NS6detail15normal_iteratorINS9_10device_ptrItEEEENS0_8identityItEEEE10hipError_tT2_T3_mT4_P12ihipStream_tbEUlT_E_NS1_11comp_targetILNS1_3genE4ELNS1_11target_archE910ELNS1_3gpuE8ELNS1_3repE0EEENS1_30default_config_static_selectorELNS0_4arch9wavefront6targetE1EEEvT1_
		.amdhsa_group_segment_fixed_size 0
		.amdhsa_private_segment_fixed_size 0
		.amdhsa_kernarg_size 40
		.amdhsa_user_sgpr_count 2
		.amdhsa_user_sgpr_dispatch_ptr 0
		.amdhsa_user_sgpr_queue_ptr 0
		.amdhsa_user_sgpr_kernarg_segment_ptr 1
		.amdhsa_user_sgpr_dispatch_id 0
		.amdhsa_user_sgpr_kernarg_preload_length 0
		.amdhsa_user_sgpr_kernarg_preload_offset 0
		.amdhsa_user_sgpr_private_segment_size 0
		.amdhsa_uses_dynamic_stack 0
		.amdhsa_enable_private_segment 0
		.amdhsa_system_sgpr_workgroup_id_x 1
		.amdhsa_system_sgpr_workgroup_id_y 0
		.amdhsa_system_sgpr_workgroup_id_z 0
		.amdhsa_system_sgpr_workgroup_info 0
		.amdhsa_system_vgpr_workitem_id 0
		.amdhsa_next_free_vgpr 1
		.amdhsa_next_free_sgpr 0
		.amdhsa_accum_offset 4
		.amdhsa_reserve_vcc 0
		.amdhsa_float_round_mode_32 0
		.amdhsa_float_round_mode_16_64 0
		.amdhsa_float_denorm_mode_32 3
		.amdhsa_float_denorm_mode_16_64 3
		.amdhsa_dx10_clamp 1
		.amdhsa_ieee_mode 1
		.amdhsa_fp16_overflow 0
		.amdhsa_tg_split 0
		.amdhsa_exception_fp_ieee_invalid_op 0
		.amdhsa_exception_fp_denorm_src 0
		.amdhsa_exception_fp_ieee_div_zero 0
		.amdhsa_exception_fp_ieee_overflow 0
		.amdhsa_exception_fp_ieee_underflow 0
		.amdhsa_exception_fp_ieee_inexact 0
		.amdhsa_exception_int_div_zero 0
	.end_amdhsa_kernel
	.section	.text._ZN7rocprim17ROCPRIM_400000_NS6detail17trampoline_kernelINS0_14default_configENS1_25transform_config_selectorItLb0EEEZNS1_14transform_implILb0ES3_S5_PtN6thrust23THRUST_200600_302600_NS6detail15normal_iteratorINS9_10device_ptrItEEEENS0_8identityItEEEE10hipError_tT2_T3_mT4_P12ihipStream_tbEUlT_E_NS1_11comp_targetILNS1_3genE4ELNS1_11target_archE910ELNS1_3gpuE8ELNS1_3repE0EEENS1_30default_config_static_selectorELNS0_4arch9wavefront6targetE1EEEvT1_,"axG",@progbits,_ZN7rocprim17ROCPRIM_400000_NS6detail17trampoline_kernelINS0_14default_configENS1_25transform_config_selectorItLb0EEEZNS1_14transform_implILb0ES3_S5_PtN6thrust23THRUST_200600_302600_NS6detail15normal_iteratorINS9_10device_ptrItEEEENS0_8identityItEEEE10hipError_tT2_T3_mT4_P12ihipStream_tbEUlT_E_NS1_11comp_targetILNS1_3genE4ELNS1_11target_archE910ELNS1_3gpuE8ELNS1_3repE0EEENS1_30default_config_static_selectorELNS0_4arch9wavefront6targetE1EEEvT1_,comdat
.Lfunc_end1256:
	.size	_ZN7rocprim17ROCPRIM_400000_NS6detail17trampoline_kernelINS0_14default_configENS1_25transform_config_selectorItLb0EEEZNS1_14transform_implILb0ES3_S5_PtN6thrust23THRUST_200600_302600_NS6detail15normal_iteratorINS9_10device_ptrItEEEENS0_8identityItEEEE10hipError_tT2_T3_mT4_P12ihipStream_tbEUlT_E_NS1_11comp_targetILNS1_3genE4ELNS1_11target_archE910ELNS1_3gpuE8ELNS1_3repE0EEENS1_30default_config_static_selectorELNS0_4arch9wavefront6targetE1EEEvT1_, .Lfunc_end1256-_ZN7rocprim17ROCPRIM_400000_NS6detail17trampoline_kernelINS0_14default_configENS1_25transform_config_selectorItLb0EEEZNS1_14transform_implILb0ES3_S5_PtN6thrust23THRUST_200600_302600_NS6detail15normal_iteratorINS9_10device_ptrItEEEENS0_8identityItEEEE10hipError_tT2_T3_mT4_P12ihipStream_tbEUlT_E_NS1_11comp_targetILNS1_3genE4ELNS1_11target_archE910ELNS1_3gpuE8ELNS1_3repE0EEENS1_30default_config_static_selectorELNS0_4arch9wavefront6targetE1EEEvT1_
                                        ; -- End function
	.section	.AMDGPU.csdata,"",@progbits
; Kernel info:
; codeLenInByte = 0
; NumSgprs: 6
; NumVgprs: 0
; NumAgprs: 0
; TotalNumVgprs: 0
; ScratchSize: 0
; MemoryBound: 0
; FloatMode: 240
; IeeeMode: 1
; LDSByteSize: 0 bytes/workgroup (compile time only)
; SGPRBlocks: 0
; VGPRBlocks: 0
; NumSGPRsForWavesPerEU: 6
; NumVGPRsForWavesPerEU: 1
; AccumOffset: 4
; Occupancy: 8
; WaveLimiterHint : 0
; COMPUTE_PGM_RSRC2:SCRATCH_EN: 0
; COMPUTE_PGM_RSRC2:USER_SGPR: 2
; COMPUTE_PGM_RSRC2:TRAP_HANDLER: 0
; COMPUTE_PGM_RSRC2:TGID_X_EN: 1
; COMPUTE_PGM_RSRC2:TGID_Y_EN: 0
; COMPUTE_PGM_RSRC2:TGID_Z_EN: 0
; COMPUTE_PGM_RSRC2:TIDIG_COMP_CNT: 0
; COMPUTE_PGM_RSRC3_GFX90A:ACCUM_OFFSET: 0
; COMPUTE_PGM_RSRC3_GFX90A:TG_SPLIT: 0
	.section	.text._ZN7rocprim17ROCPRIM_400000_NS6detail17trampoline_kernelINS0_14default_configENS1_25transform_config_selectorItLb0EEEZNS1_14transform_implILb0ES3_S5_PtN6thrust23THRUST_200600_302600_NS6detail15normal_iteratorINS9_10device_ptrItEEEENS0_8identityItEEEE10hipError_tT2_T3_mT4_P12ihipStream_tbEUlT_E_NS1_11comp_targetILNS1_3genE3ELNS1_11target_archE908ELNS1_3gpuE7ELNS1_3repE0EEENS1_30default_config_static_selectorELNS0_4arch9wavefront6targetE1EEEvT1_,"axG",@progbits,_ZN7rocprim17ROCPRIM_400000_NS6detail17trampoline_kernelINS0_14default_configENS1_25transform_config_selectorItLb0EEEZNS1_14transform_implILb0ES3_S5_PtN6thrust23THRUST_200600_302600_NS6detail15normal_iteratorINS9_10device_ptrItEEEENS0_8identityItEEEE10hipError_tT2_T3_mT4_P12ihipStream_tbEUlT_E_NS1_11comp_targetILNS1_3genE3ELNS1_11target_archE908ELNS1_3gpuE7ELNS1_3repE0EEENS1_30default_config_static_selectorELNS0_4arch9wavefront6targetE1EEEvT1_,comdat
	.protected	_ZN7rocprim17ROCPRIM_400000_NS6detail17trampoline_kernelINS0_14default_configENS1_25transform_config_selectorItLb0EEEZNS1_14transform_implILb0ES3_S5_PtN6thrust23THRUST_200600_302600_NS6detail15normal_iteratorINS9_10device_ptrItEEEENS0_8identityItEEEE10hipError_tT2_T3_mT4_P12ihipStream_tbEUlT_E_NS1_11comp_targetILNS1_3genE3ELNS1_11target_archE908ELNS1_3gpuE7ELNS1_3repE0EEENS1_30default_config_static_selectorELNS0_4arch9wavefront6targetE1EEEvT1_ ; -- Begin function _ZN7rocprim17ROCPRIM_400000_NS6detail17trampoline_kernelINS0_14default_configENS1_25transform_config_selectorItLb0EEEZNS1_14transform_implILb0ES3_S5_PtN6thrust23THRUST_200600_302600_NS6detail15normal_iteratorINS9_10device_ptrItEEEENS0_8identityItEEEE10hipError_tT2_T3_mT4_P12ihipStream_tbEUlT_E_NS1_11comp_targetILNS1_3genE3ELNS1_11target_archE908ELNS1_3gpuE7ELNS1_3repE0EEENS1_30default_config_static_selectorELNS0_4arch9wavefront6targetE1EEEvT1_
	.globl	_ZN7rocprim17ROCPRIM_400000_NS6detail17trampoline_kernelINS0_14default_configENS1_25transform_config_selectorItLb0EEEZNS1_14transform_implILb0ES3_S5_PtN6thrust23THRUST_200600_302600_NS6detail15normal_iteratorINS9_10device_ptrItEEEENS0_8identityItEEEE10hipError_tT2_T3_mT4_P12ihipStream_tbEUlT_E_NS1_11comp_targetILNS1_3genE3ELNS1_11target_archE908ELNS1_3gpuE7ELNS1_3repE0EEENS1_30default_config_static_selectorELNS0_4arch9wavefront6targetE1EEEvT1_
	.p2align	8
	.type	_ZN7rocprim17ROCPRIM_400000_NS6detail17trampoline_kernelINS0_14default_configENS1_25transform_config_selectorItLb0EEEZNS1_14transform_implILb0ES3_S5_PtN6thrust23THRUST_200600_302600_NS6detail15normal_iteratorINS9_10device_ptrItEEEENS0_8identityItEEEE10hipError_tT2_T3_mT4_P12ihipStream_tbEUlT_E_NS1_11comp_targetILNS1_3genE3ELNS1_11target_archE908ELNS1_3gpuE7ELNS1_3repE0EEENS1_30default_config_static_selectorELNS0_4arch9wavefront6targetE1EEEvT1_,@function
_ZN7rocprim17ROCPRIM_400000_NS6detail17trampoline_kernelINS0_14default_configENS1_25transform_config_selectorItLb0EEEZNS1_14transform_implILb0ES3_S5_PtN6thrust23THRUST_200600_302600_NS6detail15normal_iteratorINS9_10device_ptrItEEEENS0_8identityItEEEE10hipError_tT2_T3_mT4_P12ihipStream_tbEUlT_E_NS1_11comp_targetILNS1_3genE3ELNS1_11target_archE908ELNS1_3gpuE7ELNS1_3repE0EEENS1_30default_config_static_selectorELNS0_4arch9wavefront6targetE1EEEvT1_: ; @_ZN7rocprim17ROCPRIM_400000_NS6detail17trampoline_kernelINS0_14default_configENS1_25transform_config_selectorItLb0EEEZNS1_14transform_implILb0ES3_S5_PtN6thrust23THRUST_200600_302600_NS6detail15normal_iteratorINS9_10device_ptrItEEEENS0_8identityItEEEE10hipError_tT2_T3_mT4_P12ihipStream_tbEUlT_E_NS1_11comp_targetILNS1_3genE3ELNS1_11target_archE908ELNS1_3gpuE7ELNS1_3repE0EEENS1_30default_config_static_selectorELNS0_4arch9wavefront6targetE1EEEvT1_
; %bb.0:
	.section	.rodata,"a",@progbits
	.p2align	6, 0x0
	.amdhsa_kernel _ZN7rocprim17ROCPRIM_400000_NS6detail17trampoline_kernelINS0_14default_configENS1_25transform_config_selectorItLb0EEEZNS1_14transform_implILb0ES3_S5_PtN6thrust23THRUST_200600_302600_NS6detail15normal_iteratorINS9_10device_ptrItEEEENS0_8identityItEEEE10hipError_tT2_T3_mT4_P12ihipStream_tbEUlT_E_NS1_11comp_targetILNS1_3genE3ELNS1_11target_archE908ELNS1_3gpuE7ELNS1_3repE0EEENS1_30default_config_static_selectorELNS0_4arch9wavefront6targetE1EEEvT1_
		.amdhsa_group_segment_fixed_size 0
		.amdhsa_private_segment_fixed_size 0
		.amdhsa_kernarg_size 40
		.amdhsa_user_sgpr_count 2
		.amdhsa_user_sgpr_dispatch_ptr 0
		.amdhsa_user_sgpr_queue_ptr 0
		.amdhsa_user_sgpr_kernarg_segment_ptr 1
		.amdhsa_user_sgpr_dispatch_id 0
		.amdhsa_user_sgpr_kernarg_preload_length 0
		.amdhsa_user_sgpr_kernarg_preload_offset 0
		.amdhsa_user_sgpr_private_segment_size 0
		.amdhsa_uses_dynamic_stack 0
		.amdhsa_enable_private_segment 0
		.amdhsa_system_sgpr_workgroup_id_x 1
		.amdhsa_system_sgpr_workgroup_id_y 0
		.amdhsa_system_sgpr_workgroup_id_z 0
		.amdhsa_system_sgpr_workgroup_info 0
		.amdhsa_system_vgpr_workitem_id 0
		.amdhsa_next_free_vgpr 1
		.amdhsa_next_free_sgpr 0
		.amdhsa_accum_offset 4
		.amdhsa_reserve_vcc 0
		.amdhsa_float_round_mode_32 0
		.amdhsa_float_round_mode_16_64 0
		.amdhsa_float_denorm_mode_32 3
		.amdhsa_float_denorm_mode_16_64 3
		.amdhsa_dx10_clamp 1
		.amdhsa_ieee_mode 1
		.amdhsa_fp16_overflow 0
		.amdhsa_tg_split 0
		.amdhsa_exception_fp_ieee_invalid_op 0
		.amdhsa_exception_fp_denorm_src 0
		.amdhsa_exception_fp_ieee_div_zero 0
		.amdhsa_exception_fp_ieee_overflow 0
		.amdhsa_exception_fp_ieee_underflow 0
		.amdhsa_exception_fp_ieee_inexact 0
		.amdhsa_exception_int_div_zero 0
	.end_amdhsa_kernel
	.section	.text._ZN7rocprim17ROCPRIM_400000_NS6detail17trampoline_kernelINS0_14default_configENS1_25transform_config_selectorItLb0EEEZNS1_14transform_implILb0ES3_S5_PtN6thrust23THRUST_200600_302600_NS6detail15normal_iteratorINS9_10device_ptrItEEEENS0_8identityItEEEE10hipError_tT2_T3_mT4_P12ihipStream_tbEUlT_E_NS1_11comp_targetILNS1_3genE3ELNS1_11target_archE908ELNS1_3gpuE7ELNS1_3repE0EEENS1_30default_config_static_selectorELNS0_4arch9wavefront6targetE1EEEvT1_,"axG",@progbits,_ZN7rocprim17ROCPRIM_400000_NS6detail17trampoline_kernelINS0_14default_configENS1_25transform_config_selectorItLb0EEEZNS1_14transform_implILb0ES3_S5_PtN6thrust23THRUST_200600_302600_NS6detail15normal_iteratorINS9_10device_ptrItEEEENS0_8identityItEEEE10hipError_tT2_T3_mT4_P12ihipStream_tbEUlT_E_NS1_11comp_targetILNS1_3genE3ELNS1_11target_archE908ELNS1_3gpuE7ELNS1_3repE0EEENS1_30default_config_static_selectorELNS0_4arch9wavefront6targetE1EEEvT1_,comdat
.Lfunc_end1257:
	.size	_ZN7rocprim17ROCPRIM_400000_NS6detail17trampoline_kernelINS0_14default_configENS1_25transform_config_selectorItLb0EEEZNS1_14transform_implILb0ES3_S5_PtN6thrust23THRUST_200600_302600_NS6detail15normal_iteratorINS9_10device_ptrItEEEENS0_8identityItEEEE10hipError_tT2_T3_mT4_P12ihipStream_tbEUlT_E_NS1_11comp_targetILNS1_3genE3ELNS1_11target_archE908ELNS1_3gpuE7ELNS1_3repE0EEENS1_30default_config_static_selectorELNS0_4arch9wavefront6targetE1EEEvT1_, .Lfunc_end1257-_ZN7rocprim17ROCPRIM_400000_NS6detail17trampoline_kernelINS0_14default_configENS1_25transform_config_selectorItLb0EEEZNS1_14transform_implILb0ES3_S5_PtN6thrust23THRUST_200600_302600_NS6detail15normal_iteratorINS9_10device_ptrItEEEENS0_8identityItEEEE10hipError_tT2_T3_mT4_P12ihipStream_tbEUlT_E_NS1_11comp_targetILNS1_3genE3ELNS1_11target_archE908ELNS1_3gpuE7ELNS1_3repE0EEENS1_30default_config_static_selectorELNS0_4arch9wavefront6targetE1EEEvT1_
                                        ; -- End function
	.section	.AMDGPU.csdata,"",@progbits
; Kernel info:
; codeLenInByte = 0
; NumSgprs: 6
; NumVgprs: 0
; NumAgprs: 0
; TotalNumVgprs: 0
; ScratchSize: 0
; MemoryBound: 0
; FloatMode: 240
; IeeeMode: 1
; LDSByteSize: 0 bytes/workgroup (compile time only)
; SGPRBlocks: 0
; VGPRBlocks: 0
; NumSGPRsForWavesPerEU: 6
; NumVGPRsForWavesPerEU: 1
; AccumOffset: 4
; Occupancy: 8
; WaveLimiterHint : 0
; COMPUTE_PGM_RSRC2:SCRATCH_EN: 0
; COMPUTE_PGM_RSRC2:USER_SGPR: 2
; COMPUTE_PGM_RSRC2:TRAP_HANDLER: 0
; COMPUTE_PGM_RSRC2:TGID_X_EN: 1
; COMPUTE_PGM_RSRC2:TGID_Y_EN: 0
; COMPUTE_PGM_RSRC2:TGID_Z_EN: 0
; COMPUTE_PGM_RSRC2:TIDIG_COMP_CNT: 0
; COMPUTE_PGM_RSRC3_GFX90A:ACCUM_OFFSET: 0
; COMPUTE_PGM_RSRC3_GFX90A:TG_SPLIT: 0
	.section	.text._ZN7rocprim17ROCPRIM_400000_NS6detail17trampoline_kernelINS0_14default_configENS1_25transform_config_selectorItLb0EEEZNS1_14transform_implILb0ES3_S5_PtN6thrust23THRUST_200600_302600_NS6detail15normal_iteratorINS9_10device_ptrItEEEENS0_8identityItEEEE10hipError_tT2_T3_mT4_P12ihipStream_tbEUlT_E_NS1_11comp_targetILNS1_3genE2ELNS1_11target_archE906ELNS1_3gpuE6ELNS1_3repE0EEENS1_30default_config_static_selectorELNS0_4arch9wavefront6targetE1EEEvT1_,"axG",@progbits,_ZN7rocprim17ROCPRIM_400000_NS6detail17trampoline_kernelINS0_14default_configENS1_25transform_config_selectorItLb0EEEZNS1_14transform_implILb0ES3_S5_PtN6thrust23THRUST_200600_302600_NS6detail15normal_iteratorINS9_10device_ptrItEEEENS0_8identityItEEEE10hipError_tT2_T3_mT4_P12ihipStream_tbEUlT_E_NS1_11comp_targetILNS1_3genE2ELNS1_11target_archE906ELNS1_3gpuE6ELNS1_3repE0EEENS1_30default_config_static_selectorELNS0_4arch9wavefront6targetE1EEEvT1_,comdat
	.protected	_ZN7rocprim17ROCPRIM_400000_NS6detail17trampoline_kernelINS0_14default_configENS1_25transform_config_selectorItLb0EEEZNS1_14transform_implILb0ES3_S5_PtN6thrust23THRUST_200600_302600_NS6detail15normal_iteratorINS9_10device_ptrItEEEENS0_8identityItEEEE10hipError_tT2_T3_mT4_P12ihipStream_tbEUlT_E_NS1_11comp_targetILNS1_3genE2ELNS1_11target_archE906ELNS1_3gpuE6ELNS1_3repE0EEENS1_30default_config_static_selectorELNS0_4arch9wavefront6targetE1EEEvT1_ ; -- Begin function _ZN7rocprim17ROCPRIM_400000_NS6detail17trampoline_kernelINS0_14default_configENS1_25transform_config_selectorItLb0EEEZNS1_14transform_implILb0ES3_S5_PtN6thrust23THRUST_200600_302600_NS6detail15normal_iteratorINS9_10device_ptrItEEEENS0_8identityItEEEE10hipError_tT2_T3_mT4_P12ihipStream_tbEUlT_E_NS1_11comp_targetILNS1_3genE2ELNS1_11target_archE906ELNS1_3gpuE6ELNS1_3repE0EEENS1_30default_config_static_selectorELNS0_4arch9wavefront6targetE1EEEvT1_
	.globl	_ZN7rocprim17ROCPRIM_400000_NS6detail17trampoline_kernelINS0_14default_configENS1_25transform_config_selectorItLb0EEEZNS1_14transform_implILb0ES3_S5_PtN6thrust23THRUST_200600_302600_NS6detail15normal_iteratorINS9_10device_ptrItEEEENS0_8identityItEEEE10hipError_tT2_T3_mT4_P12ihipStream_tbEUlT_E_NS1_11comp_targetILNS1_3genE2ELNS1_11target_archE906ELNS1_3gpuE6ELNS1_3repE0EEENS1_30default_config_static_selectorELNS0_4arch9wavefront6targetE1EEEvT1_
	.p2align	8
	.type	_ZN7rocprim17ROCPRIM_400000_NS6detail17trampoline_kernelINS0_14default_configENS1_25transform_config_selectorItLb0EEEZNS1_14transform_implILb0ES3_S5_PtN6thrust23THRUST_200600_302600_NS6detail15normal_iteratorINS9_10device_ptrItEEEENS0_8identityItEEEE10hipError_tT2_T3_mT4_P12ihipStream_tbEUlT_E_NS1_11comp_targetILNS1_3genE2ELNS1_11target_archE906ELNS1_3gpuE6ELNS1_3repE0EEENS1_30default_config_static_selectorELNS0_4arch9wavefront6targetE1EEEvT1_,@function
_ZN7rocprim17ROCPRIM_400000_NS6detail17trampoline_kernelINS0_14default_configENS1_25transform_config_selectorItLb0EEEZNS1_14transform_implILb0ES3_S5_PtN6thrust23THRUST_200600_302600_NS6detail15normal_iteratorINS9_10device_ptrItEEEENS0_8identityItEEEE10hipError_tT2_T3_mT4_P12ihipStream_tbEUlT_E_NS1_11comp_targetILNS1_3genE2ELNS1_11target_archE906ELNS1_3gpuE6ELNS1_3repE0EEENS1_30default_config_static_selectorELNS0_4arch9wavefront6targetE1EEEvT1_: ; @_ZN7rocprim17ROCPRIM_400000_NS6detail17trampoline_kernelINS0_14default_configENS1_25transform_config_selectorItLb0EEEZNS1_14transform_implILb0ES3_S5_PtN6thrust23THRUST_200600_302600_NS6detail15normal_iteratorINS9_10device_ptrItEEEENS0_8identityItEEEE10hipError_tT2_T3_mT4_P12ihipStream_tbEUlT_E_NS1_11comp_targetILNS1_3genE2ELNS1_11target_archE906ELNS1_3gpuE6ELNS1_3repE0EEENS1_30default_config_static_selectorELNS0_4arch9wavefront6targetE1EEEvT1_
; %bb.0:
	.section	.rodata,"a",@progbits
	.p2align	6, 0x0
	.amdhsa_kernel _ZN7rocprim17ROCPRIM_400000_NS6detail17trampoline_kernelINS0_14default_configENS1_25transform_config_selectorItLb0EEEZNS1_14transform_implILb0ES3_S5_PtN6thrust23THRUST_200600_302600_NS6detail15normal_iteratorINS9_10device_ptrItEEEENS0_8identityItEEEE10hipError_tT2_T3_mT4_P12ihipStream_tbEUlT_E_NS1_11comp_targetILNS1_3genE2ELNS1_11target_archE906ELNS1_3gpuE6ELNS1_3repE0EEENS1_30default_config_static_selectorELNS0_4arch9wavefront6targetE1EEEvT1_
		.amdhsa_group_segment_fixed_size 0
		.amdhsa_private_segment_fixed_size 0
		.amdhsa_kernarg_size 40
		.amdhsa_user_sgpr_count 2
		.amdhsa_user_sgpr_dispatch_ptr 0
		.amdhsa_user_sgpr_queue_ptr 0
		.amdhsa_user_sgpr_kernarg_segment_ptr 1
		.amdhsa_user_sgpr_dispatch_id 0
		.amdhsa_user_sgpr_kernarg_preload_length 0
		.amdhsa_user_sgpr_kernarg_preload_offset 0
		.amdhsa_user_sgpr_private_segment_size 0
		.amdhsa_uses_dynamic_stack 0
		.amdhsa_enable_private_segment 0
		.amdhsa_system_sgpr_workgroup_id_x 1
		.amdhsa_system_sgpr_workgroup_id_y 0
		.amdhsa_system_sgpr_workgroup_id_z 0
		.amdhsa_system_sgpr_workgroup_info 0
		.amdhsa_system_vgpr_workitem_id 0
		.amdhsa_next_free_vgpr 1
		.amdhsa_next_free_sgpr 0
		.amdhsa_accum_offset 4
		.amdhsa_reserve_vcc 0
		.amdhsa_float_round_mode_32 0
		.amdhsa_float_round_mode_16_64 0
		.amdhsa_float_denorm_mode_32 3
		.amdhsa_float_denorm_mode_16_64 3
		.amdhsa_dx10_clamp 1
		.amdhsa_ieee_mode 1
		.amdhsa_fp16_overflow 0
		.amdhsa_tg_split 0
		.amdhsa_exception_fp_ieee_invalid_op 0
		.amdhsa_exception_fp_denorm_src 0
		.amdhsa_exception_fp_ieee_div_zero 0
		.amdhsa_exception_fp_ieee_overflow 0
		.amdhsa_exception_fp_ieee_underflow 0
		.amdhsa_exception_fp_ieee_inexact 0
		.amdhsa_exception_int_div_zero 0
	.end_amdhsa_kernel
	.section	.text._ZN7rocprim17ROCPRIM_400000_NS6detail17trampoline_kernelINS0_14default_configENS1_25transform_config_selectorItLb0EEEZNS1_14transform_implILb0ES3_S5_PtN6thrust23THRUST_200600_302600_NS6detail15normal_iteratorINS9_10device_ptrItEEEENS0_8identityItEEEE10hipError_tT2_T3_mT4_P12ihipStream_tbEUlT_E_NS1_11comp_targetILNS1_3genE2ELNS1_11target_archE906ELNS1_3gpuE6ELNS1_3repE0EEENS1_30default_config_static_selectorELNS0_4arch9wavefront6targetE1EEEvT1_,"axG",@progbits,_ZN7rocprim17ROCPRIM_400000_NS6detail17trampoline_kernelINS0_14default_configENS1_25transform_config_selectorItLb0EEEZNS1_14transform_implILb0ES3_S5_PtN6thrust23THRUST_200600_302600_NS6detail15normal_iteratorINS9_10device_ptrItEEEENS0_8identityItEEEE10hipError_tT2_T3_mT4_P12ihipStream_tbEUlT_E_NS1_11comp_targetILNS1_3genE2ELNS1_11target_archE906ELNS1_3gpuE6ELNS1_3repE0EEENS1_30default_config_static_selectorELNS0_4arch9wavefront6targetE1EEEvT1_,comdat
.Lfunc_end1258:
	.size	_ZN7rocprim17ROCPRIM_400000_NS6detail17trampoline_kernelINS0_14default_configENS1_25transform_config_selectorItLb0EEEZNS1_14transform_implILb0ES3_S5_PtN6thrust23THRUST_200600_302600_NS6detail15normal_iteratorINS9_10device_ptrItEEEENS0_8identityItEEEE10hipError_tT2_T3_mT4_P12ihipStream_tbEUlT_E_NS1_11comp_targetILNS1_3genE2ELNS1_11target_archE906ELNS1_3gpuE6ELNS1_3repE0EEENS1_30default_config_static_selectorELNS0_4arch9wavefront6targetE1EEEvT1_, .Lfunc_end1258-_ZN7rocprim17ROCPRIM_400000_NS6detail17trampoline_kernelINS0_14default_configENS1_25transform_config_selectorItLb0EEEZNS1_14transform_implILb0ES3_S5_PtN6thrust23THRUST_200600_302600_NS6detail15normal_iteratorINS9_10device_ptrItEEEENS0_8identityItEEEE10hipError_tT2_T3_mT4_P12ihipStream_tbEUlT_E_NS1_11comp_targetILNS1_3genE2ELNS1_11target_archE906ELNS1_3gpuE6ELNS1_3repE0EEENS1_30default_config_static_selectorELNS0_4arch9wavefront6targetE1EEEvT1_
                                        ; -- End function
	.section	.AMDGPU.csdata,"",@progbits
; Kernel info:
; codeLenInByte = 0
; NumSgprs: 6
; NumVgprs: 0
; NumAgprs: 0
; TotalNumVgprs: 0
; ScratchSize: 0
; MemoryBound: 0
; FloatMode: 240
; IeeeMode: 1
; LDSByteSize: 0 bytes/workgroup (compile time only)
; SGPRBlocks: 0
; VGPRBlocks: 0
; NumSGPRsForWavesPerEU: 6
; NumVGPRsForWavesPerEU: 1
; AccumOffset: 4
; Occupancy: 8
; WaveLimiterHint : 0
; COMPUTE_PGM_RSRC2:SCRATCH_EN: 0
; COMPUTE_PGM_RSRC2:USER_SGPR: 2
; COMPUTE_PGM_RSRC2:TRAP_HANDLER: 0
; COMPUTE_PGM_RSRC2:TGID_X_EN: 1
; COMPUTE_PGM_RSRC2:TGID_Y_EN: 0
; COMPUTE_PGM_RSRC2:TGID_Z_EN: 0
; COMPUTE_PGM_RSRC2:TIDIG_COMP_CNT: 0
; COMPUTE_PGM_RSRC3_GFX90A:ACCUM_OFFSET: 0
; COMPUTE_PGM_RSRC3_GFX90A:TG_SPLIT: 0
	.section	.text._ZN7rocprim17ROCPRIM_400000_NS6detail17trampoline_kernelINS0_14default_configENS1_25transform_config_selectorItLb0EEEZNS1_14transform_implILb0ES3_S5_PtN6thrust23THRUST_200600_302600_NS6detail15normal_iteratorINS9_10device_ptrItEEEENS0_8identityItEEEE10hipError_tT2_T3_mT4_P12ihipStream_tbEUlT_E_NS1_11comp_targetILNS1_3genE10ELNS1_11target_archE1201ELNS1_3gpuE5ELNS1_3repE0EEENS1_30default_config_static_selectorELNS0_4arch9wavefront6targetE1EEEvT1_,"axG",@progbits,_ZN7rocprim17ROCPRIM_400000_NS6detail17trampoline_kernelINS0_14default_configENS1_25transform_config_selectorItLb0EEEZNS1_14transform_implILb0ES3_S5_PtN6thrust23THRUST_200600_302600_NS6detail15normal_iteratorINS9_10device_ptrItEEEENS0_8identityItEEEE10hipError_tT2_T3_mT4_P12ihipStream_tbEUlT_E_NS1_11comp_targetILNS1_3genE10ELNS1_11target_archE1201ELNS1_3gpuE5ELNS1_3repE0EEENS1_30default_config_static_selectorELNS0_4arch9wavefront6targetE1EEEvT1_,comdat
	.protected	_ZN7rocprim17ROCPRIM_400000_NS6detail17trampoline_kernelINS0_14default_configENS1_25transform_config_selectorItLb0EEEZNS1_14transform_implILb0ES3_S5_PtN6thrust23THRUST_200600_302600_NS6detail15normal_iteratorINS9_10device_ptrItEEEENS0_8identityItEEEE10hipError_tT2_T3_mT4_P12ihipStream_tbEUlT_E_NS1_11comp_targetILNS1_3genE10ELNS1_11target_archE1201ELNS1_3gpuE5ELNS1_3repE0EEENS1_30default_config_static_selectorELNS0_4arch9wavefront6targetE1EEEvT1_ ; -- Begin function _ZN7rocprim17ROCPRIM_400000_NS6detail17trampoline_kernelINS0_14default_configENS1_25transform_config_selectorItLb0EEEZNS1_14transform_implILb0ES3_S5_PtN6thrust23THRUST_200600_302600_NS6detail15normal_iteratorINS9_10device_ptrItEEEENS0_8identityItEEEE10hipError_tT2_T3_mT4_P12ihipStream_tbEUlT_E_NS1_11comp_targetILNS1_3genE10ELNS1_11target_archE1201ELNS1_3gpuE5ELNS1_3repE0EEENS1_30default_config_static_selectorELNS0_4arch9wavefront6targetE1EEEvT1_
	.globl	_ZN7rocprim17ROCPRIM_400000_NS6detail17trampoline_kernelINS0_14default_configENS1_25transform_config_selectorItLb0EEEZNS1_14transform_implILb0ES3_S5_PtN6thrust23THRUST_200600_302600_NS6detail15normal_iteratorINS9_10device_ptrItEEEENS0_8identityItEEEE10hipError_tT2_T3_mT4_P12ihipStream_tbEUlT_E_NS1_11comp_targetILNS1_3genE10ELNS1_11target_archE1201ELNS1_3gpuE5ELNS1_3repE0EEENS1_30default_config_static_selectorELNS0_4arch9wavefront6targetE1EEEvT1_
	.p2align	8
	.type	_ZN7rocprim17ROCPRIM_400000_NS6detail17trampoline_kernelINS0_14default_configENS1_25transform_config_selectorItLb0EEEZNS1_14transform_implILb0ES3_S5_PtN6thrust23THRUST_200600_302600_NS6detail15normal_iteratorINS9_10device_ptrItEEEENS0_8identityItEEEE10hipError_tT2_T3_mT4_P12ihipStream_tbEUlT_E_NS1_11comp_targetILNS1_3genE10ELNS1_11target_archE1201ELNS1_3gpuE5ELNS1_3repE0EEENS1_30default_config_static_selectorELNS0_4arch9wavefront6targetE1EEEvT1_,@function
_ZN7rocprim17ROCPRIM_400000_NS6detail17trampoline_kernelINS0_14default_configENS1_25transform_config_selectorItLb0EEEZNS1_14transform_implILb0ES3_S5_PtN6thrust23THRUST_200600_302600_NS6detail15normal_iteratorINS9_10device_ptrItEEEENS0_8identityItEEEE10hipError_tT2_T3_mT4_P12ihipStream_tbEUlT_E_NS1_11comp_targetILNS1_3genE10ELNS1_11target_archE1201ELNS1_3gpuE5ELNS1_3repE0EEENS1_30default_config_static_selectorELNS0_4arch9wavefront6targetE1EEEvT1_: ; @_ZN7rocprim17ROCPRIM_400000_NS6detail17trampoline_kernelINS0_14default_configENS1_25transform_config_selectorItLb0EEEZNS1_14transform_implILb0ES3_S5_PtN6thrust23THRUST_200600_302600_NS6detail15normal_iteratorINS9_10device_ptrItEEEENS0_8identityItEEEE10hipError_tT2_T3_mT4_P12ihipStream_tbEUlT_E_NS1_11comp_targetILNS1_3genE10ELNS1_11target_archE1201ELNS1_3gpuE5ELNS1_3repE0EEENS1_30default_config_static_selectorELNS0_4arch9wavefront6targetE1EEEvT1_
; %bb.0:
	.section	.rodata,"a",@progbits
	.p2align	6, 0x0
	.amdhsa_kernel _ZN7rocprim17ROCPRIM_400000_NS6detail17trampoline_kernelINS0_14default_configENS1_25transform_config_selectorItLb0EEEZNS1_14transform_implILb0ES3_S5_PtN6thrust23THRUST_200600_302600_NS6detail15normal_iteratorINS9_10device_ptrItEEEENS0_8identityItEEEE10hipError_tT2_T3_mT4_P12ihipStream_tbEUlT_E_NS1_11comp_targetILNS1_3genE10ELNS1_11target_archE1201ELNS1_3gpuE5ELNS1_3repE0EEENS1_30default_config_static_selectorELNS0_4arch9wavefront6targetE1EEEvT1_
		.amdhsa_group_segment_fixed_size 0
		.amdhsa_private_segment_fixed_size 0
		.amdhsa_kernarg_size 40
		.amdhsa_user_sgpr_count 2
		.amdhsa_user_sgpr_dispatch_ptr 0
		.amdhsa_user_sgpr_queue_ptr 0
		.amdhsa_user_sgpr_kernarg_segment_ptr 1
		.amdhsa_user_sgpr_dispatch_id 0
		.amdhsa_user_sgpr_kernarg_preload_length 0
		.amdhsa_user_sgpr_kernarg_preload_offset 0
		.amdhsa_user_sgpr_private_segment_size 0
		.amdhsa_uses_dynamic_stack 0
		.amdhsa_enable_private_segment 0
		.amdhsa_system_sgpr_workgroup_id_x 1
		.amdhsa_system_sgpr_workgroup_id_y 0
		.amdhsa_system_sgpr_workgroup_id_z 0
		.amdhsa_system_sgpr_workgroup_info 0
		.amdhsa_system_vgpr_workitem_id 0
		.amdhsa_next_free_vgpr 1
		.amdhsa_next_free_sgpr 0
		.amdhsa_accum_offset 4
		.amdhsa_reserve_vcc 0
		.amdhsa_float_round_mode_32 0
		.amdhsa_float_round_mode_16_64 0
		.amdhsa_float_denorm_mode_32 3
		.amdhsa_float_denorm_mode_16_64 3
		.amdhsa_dx10_clamp 1
		.amdhsa_ieee_mode 1
		.amdhsa_fp16_overflow 0
		.amdhsa_tg_split 0
		.amdhsa_exception_fp_ieee_invalid_op 0
		.amdhsa_exception_fp_denorm_src 0
		.amdhsa_exception_fp_ieee_div_zero 0
		.amdhsa_exception_fp_ieee_overflow 0
		.amdhsa_exception_fp_ieee_underflow 0
		.amdhsa_exception_fp_ieee_inexact 0
		.amdhsa_exception_int_div_zero 0
	.end_amdhsa_kernel
	.section	.text._ZN7rocprim17ROCPRIM_400000_NS6detail17trampoline_kernelINS0_14default_configENS1_25transform_config_selectorItLb0EEEZNS1_14transform_implILb0ES3_S5_PtN6thrust23THRUST_200600_302600_NS6detail15normal_iteratorINS9_10device_ptrItEEEENS0_8identityItEEEE10hipError_tT2_T3_mT4_P12ihipStream_tbEUlT_E_NS1_11comp_targetILNS1_3genE10ELNS1_11target_archE1201ELNS1_3gpuE5ELNS1_3repE0EEENS1_30default_config_static_selectorELNS0_4arch9wavefront6targetE1EEEvT1_,"axG",@progbits,_ZN7rocprim17ROCPRIM_400000_NS6detail17trampoline_kernelINS0_14default_configENS1_25transform_config_selectorItLb0EEEZNS1_14transform_implILb0ES3_S5_PtN6thrust23THRUST_200600_302600_NS6detail15normal_iteratorINS9_10device_ptrItEEEENS0_8identityItEEEE10hipError_tT2_T3_mT4_P12ihipStream_tbEUlT_E_NS1_11comp_targetILNS1_3genE10ELNS1_11target_archE1201ELNS1_3gpuE5ELNS1_3repE0EEENS1_30default_config_static_selectorELNS0_4arch9wavefront6targetE1EEEvT1_,comdat
.Lfunc_end1259:
	.size	_ZN7rocprim17ROCPRIM_400000_NS6detail17trampoline_kernelINS0_14default_configENS1_25transform_config_selectorItLb0EEEZNS1_14transform_implILb0ES3_S5_PtN6thrust23THRUST_200600_302600_NS6detail15normal_iteratorINS9_10device_ptrItEEEENS0_8identityItEEEE10hipError_tT2_T3_mT4_P12ihipStream_tbEUlT_E_NS1_11comp_targetILNS1_3genE10ELNS1_11target_archE1201ELNS1_3gpuE5ELNS1_3repE0EEENS1_30default_config_static_selectorELNS0_4arch9wavefront6targetE1EEEvT1_, .Lfunc_end1259-_ZN7rocprim17ROCPRIM_400000_NS6detail17trampoline_kernelINS0_14default_configENS1_25transform_config_selectorItLb0EEEZNS1_14transform_implILb0ES3_S5_PtN6thrust23THRUST_200600_302600_NS6detail15normal_iteratorINS9_10device_ptrItEEEENS0_8identityItEEEE10hipError_tT2_T3_mT4_P12ihipStream_tbEUlT_E_NS1_11comp_targetILNS1_3genE10ELNS1_11target_archE1201ELNS1_3gpuE5ELNS1_3repE0EEENS1_30default_config_static_selectorELNS0_4arch9wavefront6targetE1EEEvT1_
                                        ; -- End function
	.section	.AMDGPU.csdata,"",@progbits
; Kernel info:
; codeLenInByte = 0
; NumSgprs: 6
; NumVgprs: 0
; NumAgprs: 0
; TotalNumVgprs: 0
; ScratchSize: 0
; MemoryBound: 0
; FloatMode: 240
; IeeeMode: 1
; LDSByteSize: 0 bytes/workgroup (compile time only)
; SGPRBlocks: 0
; VGPRBlocks: 0
; NumSGPRsForWavesPerEU: 6
; NumVGPRsForWavesPerEU: 1
; AccumOffset: 4
; Occupancy: 8
; WaveLimiterHint : 0
; COMPUTE_PGM_RSRC2:SCRATCH_EN: 0
; COMPUTE_PGM_RSRC2:USER_SGPR: 2
; COMPUTE_PGM_RSRC2:TRAP_HANDLER: 0
; COMPUTE_PGM_RSRC2:TGID_X_EN: 1
; COMPUTE_PGM_RSRC2:TGID_Y_EN: 0
; COMPUTE_PGM_RSRC2:TGID_Z_EN: 0
; COMPUTE_PGM_RSRC2:TIDIG_COMP_CNT: 0
; COMPUTE_PGM_RSRC3_GFX90A:ACCUM_OFFSET: 0
; COMPUTE_PGM_RSRC3_GFX90A:TG_SPLIT: 0
	.section	.text._ZN7rocprim17ROCPRIM_400000_NS6detail17trampoline_kernelINS0_14default_configENS1_25transform_config_selectorItLb0EEEZNS1_14transform_implILb0ES3_S5_PtN6thrust23THRUST_200600_302600_NS6detail15normal_iteratorINS9_10device_ptrItEEEENS0_8identityItEEEE10hipError_tT2_T3_mT4_P12ihipStream_tbEUlT_E_NS1_11comp_targetILNS1_3genE10ELNS1_11target_archE1200ELNS1_3gpuE4ELNS1_3repE0EEENS1_30default_config_static_selectorELNS0_4arch9wavefront6targetE1EEEvT1_,"axG",@progbits,_ZN7rocprim17ROCPRIM_400000_NS6detail17trampoline_kernelINS0_14default_configENS1_25transform_config_selectorItLb0EEEZNS1_14transform_implILb0ES3_S5_PtN6thrust23THRUST_200600_302600_NS6detail15normal_iteratorINS9_10device_ptrItEEEENS0_8identityItEEEE10hipError_tT2_T3_mT4_P12ihipStream_tbEUlT_E_NS1_11comp_targetILNS1_3genE10ELNS1_11target_archE1200ELNS1_3gpuE4ELNS1_3repE0EEENS1_30default_config_static_selectorELNS0_4arch9wavefront6targetE1EEEvT1_,comdat
	.protected	_ZN7rocprim17ROCPRIM_400000_NS6detail17trampoline_kernelINS0_14default_configENS1_25transform_config_selectorItLb0EEEZNS1_14transform_implILb0ES3_S5_PtN6thrust23THRUST_200600_302600_NS6detail15normal_iteratorINS9_10device_ptrItEEEENS0_8identityItEEEE10hipError_tT2_T3_mT4_P12ihipStream_tbEUlT_E_NS1_11comp_targetILNS1_3genE10ELNS1_11target_archE1200ELNS1_3gpuE4ELNS1_3repE0EEENS1_30default_config_static_selectorELNS0_4arch9wavefront6targetE1EEEvT1_ ; -- Begin function _ZN7rocprim17ROCPRIM_400000_NS6detail17trampoline_kernelINS0_14default_configENS1_25transform_config_selectorItLb0EEEZNS1_14transform_implILb0ES3_S5_PtN6thrust23THRUST_200600_302600_NS6detail15normal_iteratorINS9_10device_ptrItEEEENS0_8identityItEEEE10hipError_tT2_T3_mT4_P12ihipStream_tbEUlT_E_NS1_11comp_targetILNS1_3genE10ELNS1_11target_archE1200ELNS1_3gpuE4ELNS1_3repE0EEENS1_30default_config_static_selectorELNS0_4arch9wavefront6targetE1EEEvT1_
	.globl	_ZN7rocprim17ROCPRIM_400000_NS6detail17trampoline_kernelINS0_14default_configENS1_25transform_config_selectorItLb0EEEZNS1_14transform_implILb0ES3_S5_PtN6thrust23THRUST_200600_302600_NS6detail15normal_iteratorINS9_10device_ptrItEEEENS0_8identityItEEEE10hipError_tT2_T3_mT4_P12ihipStream_tbEUlT_E_NS1_11comp_targetILNS1_3genE10ELNS1_11target_archE1200ELNS1_3gpuE4ELNS1_3repE0EEENS1_30default_config_static_selectorELNS0_4arch9wavefront6targetE1EEEvT1_
	.p2align	8
	.type	_ZN7rocprim17ROCPRIM_400000_NS6detail17trampoline_kernelINS0_14default_configENS1_25transform_config_selectorItLb0EEEZNS1_14transform_implILb0ES3_S5_PtN6thrust23THRUST_200600_302600_NS6detail15normal_iteratorINS9_10device_ptrItEEEENS0_8identityItEEEE10hipError_tT2_T3_mT4_P12ihipStream_tbEUlT_E_NS1_11comp_targetILNS1_3genE10ELNS1_11target_archE1200ELNS1_3gpuE4ELNS1_3repE0EEENS1_30default_config_static_selectorELNS0_4arch9wavefront6targetE1EEEvT1_,@function
_ZN7rocprim17ROCPRIM_400000_NS6detail17trampoline_kernelINS0_14default_configENS1_25transform_config_selectorItLb0EEEZNS1_14transform_implILb0ES3_S5_PtN6thrust23THRUST_200600_302600_NS6detail15normal_iteratorINS9_10device_ptrItEEEENS0_8identityItEEEE10hipError_tT2_T3_mT4_P12ihipStream_tbEUlT_E_NS1_11comp_targetILNS1_3genE10ELNS1_11target_archE1200ELNS1_3gpuE4ELNS1_3repE0EEENS1_30default_config_static_selectorELNS0_4arch9wavefront6targetE1EEEvT1_: ; @_ZN7rocprim17ROCPRIM_400000_NS6detail17trampoline_kernelINS0_14default_configENS1_25transform_config_selectorItLb0EEEZNS1_14transform_implILb0ES3_S5_PtN6thrust23THRUST_200600_302600_NS6detail15normal_iteratorINS9_10device_ptrItEEEENS0_8identityItEEEE10hipError_tT2_T3_mT4_P12ihipStream_tbEUlT_E_NS1_11comp_targetILNS1_3genE10ELNS1_11target_archE1200ELNS1_3gpuE4ELNS1_3repE0EEENS1_30default_config_static_selectorELNS0_4arch9wavefront6targetE1EEEvT1_
; %bb.0:
	.section	.rodata,"a",@progbits
	.p2align	6, 0x0
	.amdhsa_kernel _ZN7rocprim17ROCPRIM_400000_NS6detail17trampoline_kernelINS0_14default_configENS1_25transform_config_selectorItLb0EEEZNS1_14transform_implILb0ES3_S5_PtN6thrust23THRUST_200600_302600_NS6detail15normal_iteratorINS9_10device_ptrItEEEENS0_8identityItEEEE10hipError_tT2_T3_mT4_P12ihipStream_tbEUlT_E_NS1_11comp_targetILNS1_3genE10ELNS1_11target_archE1200ELNS1_3gpuE4ELNS1_3repE0EEENS1_30default_config_static_selectorELNS0_4arch9wavefront6targetE1EEEvT1_
		.amdhsa_group_segment_fixed_size 0
		.amdhsa_private_segment_fixed_size 0
		.amdhsa_kernarg_size 40
		.amdhsa_user_sgpr_count 2
		.amdhsa_user_sgpr_dispatch_ptr 0
		.amdhsa_user_sgpr_queue_ptr 0
		.amdhsa_user_sgpr_kernarg_segment_ptr 1
		.amdhsa_user_sgpr_dispatch_id 0
		.amdhsa_user_sgpr_kernarg_preload_length 0
		.amdhsa_user_sgpr_kernarg_preload_offset 0
		.amdhsa_user_sgpr_private_segment_size 0
		.amdhsa_uses_dynamic_stack 0
		.amdhsa_enable_private_segment 0
		.amdhsa_system_sgpr_workgroup_id_x 1
		.amdhsa_system_sgpr_workgroup_id_y 0
		.amdhsa_system_sgpr_workgroup_id_z 0
		.amdhsa_system_sgpr_workgroup_info 0
		.amdhsa_system_vgpr_workitem_id 0
		.amdhsa_next_free_vgpr 1
		.amdhsa_next_free_sgpr 0
		.amdhsa_accum_offset 4
		.amdhsa_reserve_vcc 0
		.amdhsa_float_round_mode_32 0
		.amdhsa_float_round_mode_16_64 0
		.amdhsa_float_denorm_mode_32 3
		.amdhsa_float_denorm_mode_16_64 3
		.amdhsa_dx10_clamp 1
		.amdhsa_ieee_mode 1
		.amdhsa_fp16_overflow 0
		.amdhsa_tg_split 0
		.amdhsa_exception_fp_ieee_invalid_op 0
		.amdhsa_exception_fp_denorm_src 0
		.amdhsa_exception_fp_ieee_div_zero 0
		.amdhsa_exception_fp_ieee_overflow 0
		.amdhsa_exception_fp_ieee_underflow 0
		.amdhsa_exception_fp_ieee_inexact 0
		.amdhsa_exception_int_div_zero 0
	.end_amdhsa_kernel
	.section	.text._ZN7rocprim17ROCPRIM_400000_NS6detail17trampoline_kernelINS0_14default_configENS1_25transform_config_selectorItLb0EEEZNS1_14transform_implILb0ES3_S5_PtN6thrust23THRUST_200600_302600_NS6detail15normal_iteratorINS9_10device_ptrItEEEENS0_8identityItEEEE10hipError_tT2_T3_mT4_P12ihipStream_tbEUlT_E_NS1_11comp_targetILNS1_3genE10ELNS1_11target_archE1200ELNS1_3gpuE4ELNS1_3repE0EEENS1_30default_config_static_selectorELNS0_4arch9wavefront6targetE1EEEvT1_,"axG",@progbits,_ZN7rocprim17ROCPRIM_400000_NS6detail17trampoline_kernelINS0_14default_configENS1_25transform_config_selectorItLb0EEEZNS1_14transform_implILb0ES3_S5_PtN6thrust23THRUST_200600_302600_NS6detail15normal_iteratorINS9_10device_ptrItEEEENS0_8identityItEEEE10hipError_tT2_T3_mT4_P12ihipStream_tbEUlT_E_NS1_11comp_targetILNS1_3genE10ELNS1_11target_archE1200ELNS1_3gpuE4ELNS1_3repE0EEENS1_30default_config_static_selectorELNS0_4arch9wavefront6targetE1EEEvT1_,comdat
.Lfunc_end1260:
	.size	_ZN7rocprim17ROCPRIM_400000_NS6detail17trampoline_kernelINS0_14default_configENS1_25transform_config_selectorItLb0EEEZNS1_14transform_implILb0ES3_S5_PtN6thrust23THRUST_200600_302600_NS6detail15normal_iteratorINS9_10device_ptrItEEEENS0_8identityItEEEE10hipError_tT2_T3_mT4_P12ihipStream_tbEUlT_E_NS1_11comp_targetILNS1_3genE10ELNS1_11target_archE1200ELNS1_3gpuE4ELNS1_3repE0EEENS1_30default_config_static_selectorELNS0_4arch9wavefront6targetE1EEEvT1_, .Lfunc_end1260-_ZN7rocprim17ROCPRIM_400000_NS6detail17trampoline_kernelINS0_14default_configENS1_25transform_config_selectorItLb0EEEZNS1_14transform_implILb0ES3_S5_PtN6thrust23THRUST_200600_302600_NS6detail15normal_iteratorINS9_10device_ptrItEEEENS0_8identityItEEEE10hipError_tT2_T3_mT4_P12ihipStream_tbEUlT_E_NS1_11comp_targetILNS1_3genE10ELNS1_11target_archE1200ELNS1_3gpuE4ELNS1_3repE0EEENS1_30default_config_static_selectorELNS0_4arch9wavefront6targetE1EEEvT1_
                                        ; -- End function
	.section	.AMDGPU.csdata,"",@progbits
; Kernel info:
; codeLenInByte = 0
; NumSgprs: 6
; NumVgprs: 0
; NumAgprs: 0
; TotalNumVgprs: 0
; ScratchSize: 0
; MemoryBound: 0
; FloatMode: 240
; IeeeMode: 1
; LDSByteSize: 0 bytes/workgroup (compile time only)
; SGPRBlocks: 0
; VGPRBlocks: 0
; NumSGPRsForWavesPerEU: 6
; NumVGPRsForWavesPerEU: 1
; AccumOffset: 4
; Occupancy: 8
; WaveLimiterHint : 0
; COMPUTE_PGM_RSRC2:SCRATCH_EN: 0
; COMPUTE_PGM_RSRC2:USER_SGPR: 2
; COMPUTE_PGM_RSRC2:TRAP_HANDLER: 0
; COMPUTE_PGM_RSRC2:TGID_X_EN: 1
; COMPUTE_PGM_RSRC2:TGID_Y_EN: 0
; COMPUTE_PGM_RSRC2:TGID_Z_EN: 0
; COMPUTE_PGM_RSRC2:TIDIG_COMP_CNT: 0
; COMPUTE_PGM_RSRC3_GFX90A:ACCUM_OFFSET: 0
; COMPUTE_PGM_RSRC3_GFX90A:TG_SPLIT: 0
	.section	.text._ZN7rocprim17ROCPRIM_400000_NS6detail17trampoline_kernelINS0_14default_configENS1_25transform_config_selectorItLb0EEEZNS1_14transform_implILb0ES3_S5_PtN6thrust23THRUST_200600_302600_NS6detail15normal_iteratorINS9_10device_ptrItEEEENS0_8identityItEEEE10hipError_tT2_T3_mT4_P12ihipStream_tbEUlT_E_NS1_11comp_targetILNS1_3genE9ELNS1_11target_archE1100ELNS1_3gpuE3ELNS1_3repE0EEENS1_30default_config_static_selectorELNS0_4arch9wavefront6targetE1EEEvT1_,"axG",@progbits,_ZN7rocprim17ROCPRIM_400000_NS6detail17trampoline_kernelINS0_14default_configENS1_25transform_config_selectorItLb0EEEZNS1_14transform_implILb0ES3_S5_PtN6thrust23THRUST_200600_302600_NS6detail15normal_iteratorINS9_10device_ptrItEEEENS0_8identityItEEEE10hipError_tT2_T3_mT4_P12ihipStream_tbEUlT_E_NS1_11comp_targetILNS1_3genE9ELNS1_11target_archE1100ELNS1_3gpuE3ELNS1_3repE0EEENS1_30default_config_static_selectorELNS0_4arch9wavefront6targetE1EEEvT1_,comdat
	.protected	_ZN7rocprim17ROCPRIM_400000_NS6detail17trampoline_kernelINS0_14default_configENS1_25transform_config_selectorItLb0EEEZNS1_14transform_implILb0ES3_S5_PtN6thrust23THRUST_200600_302600_NS6detail15normal_iteratorINS9_10device_ptrItEEEENS0_8identityItEEEE10hipError_tT2_T3_mT4_P12ihipStream_tbEUlT_E_NS1_11comp_targetILNS1_3genE9ELNS1_11target_archE1100ELNS1_3gpuE3ELNS1_3repE0EEENS1_30default_config_static_selectorELNS0_4arch9wavefront6targetE1EEEvT1_ ; -- Begin function _ZN7rocprim17ROCPRIM_400000_NS6detail17trampoline_kernelINS0_14default_configENS1_25transform_config_selectorItLb0EEEZNS1_14transform_implILb0ES3_S5_PtN6thrust23THRUST_200600_302600_NS6detail15normal_iteratorINS9_10device_ptrItEEEENS0_8identityItEEEE10hipError_tT2_T3_mT4_P12ihipStream_tbEUlT_E_NS1_11comp_targetILNS1_3genE9ELNS1_11target_archE1100ELNS1_3gpuE3ELNS1_3repE0EEENS1_30default_config_static_selectorELNS0_4arch9wavefront6targetE1EEEvT1_
	.globl	_ZN7rocprim17ROCPRIM_400000_NS6detail17trampoline_kernelINS0_14default_configENS1_25transform_config_selectorItLb0EEEZNS1_14transform_implILb0ES3_S5_PtN6thrust23THRUST_200600_302600_NS6detail15normal_iteratorINS9_10device_ptrItEEEENS0_8identityItEEEE10hipError_tT2_T3_mT4_P12ihipStream_tbEUlT_E_NS1_11comp_targetILNS1_3genE9ELNS1_11target_archE1100ELNS1_3gpuE3ELNS1_3repE0EEENS1_30default_config_static_selectorELNS0_4arch9wavefront6targetE1EEEvT1_
	.p2align	8
	.type	_ZN7rocprim17ROCPRIM_400000_NS6detail17trampoline_kernelINS0_14default_configENS1_25transform_config_selectorItLb0EEEZNS1_14transform_implILb0ES3_S5_PtN6thrust23THRUST_200600_302600_NS6detail15normal_iteratorINS9_10device_ptrItEEEENS0_8identityItEEEE10hipError_tT2_T3_mT4_P12ihipStream_tbEUlT_E_NS1_11comp_targetILNS1_3genE9ELNS1_11target_archE1100ELNS1_3gpuE3ELNS1_3repE0EEENS1_30default_config_static_selectorELNS0_4arch9wavefront6targetE1EEEvT1_,@function
_ZN7rocprim17ROCPRIM_400000_NS6detail17trampoline_kernelINS0_14default_configENS1_25transform_config_selectorItLb0EEEZNS1_14transform_implILb0ES3_S5_PtN6thrust23THRUST_200600_302600_NS6detail15normal_iteratorINS9_10device_ptrItEEEENS0_8identityItEEEE10hipError_tT2_T3_mT4_P12ihipStream_tbEUlT_E_NS1_11comp_targetILNS1_3genE9ELNS1_11target_archE1100ELNS1_3gpuE3ELNS1_3repE0EEENS1_30default_config_static_selectorELNS0_4arch9wavefront6targetE1EEEvT1_: ; @_ZN7rocprim17ROCPRIM_400000_NS6detail17trampoline_kernelINS0_14default_configENS1_25transform_config_selectorItLb0EEEZNS1_14transform_implILb0ES3_S5_PtN6thrust23THRUST_200600_302600_NS6detail15normal_iteratorINS9_10device_ptrItEEEENS0_8identityItEEEE10hipError_tT2_T3_mT4_P12ihipStream_tbEUlT_E_NS1_11comp_targetILNS1_3genE9ELNS1_11target_archE1100ELNS1_3gpuE3ELNS1_3repE0EEENS1_30default_config_static_selectorELNS0_4arch9wavefront6targetE1EEEvT1_
; %bb.0:
	.section	.rodata,"a",@progbits
	.p2align	6, 0x0
	.amdhsa_kernel _ZN7rocprim17ROCPRIM_400000_NS6detail17trampoline_kernelINS0_14default_configENS1_25transform_config_selectorItLb0EEEZNS1_14transform_implILb0ES3_S5_PtN6thrust23THRUST_200600_302600_NS6detail15normal_iteratorINS9_10device_ptrItEEEENS0_8identityItEEEE10hipError_tT2_T3_mT4_P12ihipStream_tbEUlT_E_NS1_11comp_targetILNS1_3genE9ELNS1_11target_archE1100ELNS1_3gpuE3ELNS1_3repE0EEENS1_30default_config_static_selectorELNS0_4arch9wavefront6targetE1EEEvT1_
		.amdhsa_group_segment_fixed_size 0
		.amdhsa_private_segment_fixed_size 0
		.amdhsa_kernarg_size 40
		.amdhsa_user_sgpr_count 2
		.amdhsa_user_sgpr_dispatch_ptr 0
		.amdhsa_user_sgpr_queue_ptr 0
		.amdhsa_user_sgpr_kernarg_segment_ptr 1
		.amdhsa_user_sgpr_dispatch_id 0
		.amdhsa_user_sgpr_kernarg_preload_length 0
		.amdhsa_user_sgpr_kernarg_preload_offset 0
		.amdhsa_user_sgpr_private_segment_size 0
		.amdhsa_uses_dynamic_stack 0
		.amdhsa_enable_private_segment 0
		.amdhsa_system_sgpr_workgroup_id_x 1
		.amdhsa_system_sgpr_workgroup_id_y 0
		.amdhsa_system_sgpr_workgroup_id_z 0
		.amdhsa_system_sgpr_workgroup_info 0
		.amdhsa_system_vgpr_workitem_id 0
		.amdhsa_next_free_vgpr 1
		.amdhsa_next_free_sgpr 0
		.amdhsa_accum_offset 4
		.amdhsa_reserve_vcc 0
		.amdhsa_float_round_mode_32 0
		.amdhsa_float_round_mode_16_64 0
		.amdhsa_float_denorm_mode_32 3
		.amdhsa_float_denorm_mode_16_64 3
		.amdhsa_dx10_clamp 1
		.amdhsa_ieee_mode 1
		.amdhsa_fp16_overflow 0
		.amdhsa_tg_split 0
		.amdhsa_exception_fp_ieee_invalid_op 0
		.amdhsa_exception_fp_denorm_src 0
		.amdhsa_exception_fp_ieee_div_zero 0
		.amdhsa_exception_fp_ieee_overflow 0
		.amdhsa_exception_fp_ieee_underflow 0
		.amdhsa_exception_fp_ieee_inexact 0
		.amdhsa_exception_int_div_zero 0
	.end_amdhsa_kernel
	.section	.text._ZN7rocprim17ROCPRIM_400000_NS6detail17trampoline_kernelINS0_14default_configENS1_25transform_config_selectorItLb0EEEZNS1_14transform_implILb0ES3_S5_PtN6thrust23THRUST_200600_302600_NS6detail15normal_iteratorINS9_10device_ptrItEEEENS0_8identityItEEEE10hipError_tT2_T3_mT4_P12ihipStream_tbEUlT_E_NS1_11comp_targetILNS1_3genE9ELNS1_11target_archE1100ELNS1_3gpuE3ELNS1_3repE0EEENS1_30default_config_static_selectorELNS0_4arch9wavefront6targetE1EEEvT1_,"axG",@progbits,_ZN7rocprim17ROCPRIM_400000_NS6detail17trampoline_kernelINS0_14default_configENS1_25transform_config_selectorItLb0EEEZNS1_14transform_implILb0ES3_S5_PtN6thrust23THRUST_200600_302600_NS6detail15normal_iteratorINS9_10device_ptrItEEEENS0_8identityItEEEE10hipError_tT2_T3_mT4_P12ihipStream_tbEUlT_E_NS1_11comp_targetILNS1_3genE9ELNS1_11target_archE1100ELNS1_3gpuE3ELNS1_3repE0EEENS1_30default_config_static_selectorELNS0_4arch9wavefront6targetE1EEEvT1_,comdat
.Lfunc_end1261:
	.size	_ZN7rocprim17ROCPRIM_400000_NS6detail17trampoline_kernelINS0_14default_configENS1_25transform_config_selectorItLb0EEEZNS1_14transform_implILb0ES3_S5_PtN6thrust23THRUST_200600_302600_NS6detail15normal_iteratorINS9_10device_ptrItEEEENS0_8identityItEEEE10hipError_tT2_T3_mT4_P12ihipStream_tbEUlT_E_NS1_11comp_targetILNS1_3genE9ELNS1_11target_archE1100ELNS1_3gpuE3ELNS1_3repE0EEENS1_30default_config_static_selectorELNS0_4arch9wavefront6targetE1EEEvT1_, .Lfunc_end1261-_ZN7rocprim17ROCPRIM_400000_NS6detail17trampoline_kernelINS0_14default_configENS1_25transform_config_selectorItLb0EEEZNS1_14transform_implILb0ES3_S5_PtN6thrust23THRUST_200600_302600_NS6detail15normal_iteratorINS9_10device_ptrItEEEENS0_8identityItEEEE10hipError_tT2_T3_mT4_P12ihipStream_tbEUlT_E_NS1_11comp_targetILNS1_3genE9ELNS1_11target_archE1100ELNS1_3gpuE3ELNS1_3repE0EEENS1_30default_config_static_selectorELNS0_4arch9wavefront6targetE1EEEvT1_
                                        ; -- End function
	.section	.AMDGPU.csdata,"",@progbits
; Kernel info:
; codeLenInByte = 0
; NumSgprs: 6
; NumVgprs: 0
; NumAgprs: 0
; TotalNumVgprs: 0
; ScratchSize: 0
; MemoryBound: 0
; FloatMode: 240
; IeeeMode: 1
; LDSByteSize: 0 bytes/workgroup (compile time only)
; SGPRBlocks: 0
; VGPRBlocks: 0
; NumSGPRsForWavesPerEU: 6
; NumVGPRsForWavesPerEU: 1
; AccumOffset: 4
; Occupancy: 8
; WaveLimiterHint : 0
; COMPUTE_PGM_RSRC2:SCRATCH_EN: 0
; COMPUTE_PGM_RSRC2:USER_SGPR: 2
; COMPUTE_PGM_RSRC2:TRAP_HANDLER: 0
; COMPUTE_PGM_RSRC2:TGID_X_EN: 1
; COMPUTE_PGM_RSRC2:TGID_Y_EN: 0
; COMPUTE_PGM_RSRC2:TGID_Z_EN: 0
; COMPUTE_PGM_RSRC2:TIDIG_COMP_CNT: 0
; COMPUTE_PGM_RSRC3_GFX90A:ACCUM_OFFSET: 0
; COMPUTE_PGM_RSRC3_GFX90A:TG_SPLIT: 0
	.section	.text._ZN7rocprim17ROCPRIM_400000_NS6detail17trampoline_kernelINS0_14default_configENS1_25transform_config_selectorItLb0EEEZNS1_14transform_implILb0ES3_S5_PtN6thrust23THRUST_200600_302600_NS6detail15normal_iteratorINS9_10device_ptrItEEEENS0_8identityItEEEE10hipError_tT2_T3_mT4_P12ihipStream_tbEUlT_E_NS1_11comp_targetILNS1_3genE8ELNS1_11target_archE1030ELNS1_3gpuE2ELNS1_3repE0EEENS1_30default_config_static_selectorELNS0_4arch9wavefront6targetE1EEEvT1_,"axG",@progbits,_ZN7rocprim17ROCPRIM_400000_NS6detail17trampoline_kernelINS0_14default_configENS1_25transform_config_selectorItLb0EEEZNS1_14transform_implILb0ES3_S5_PtN6thrust23THRUST_200600_302600_NS6detail15normal_iteratorINS9_10device_ptrItEEEENS0_8identityItEEEE10hipError_tT2_T3_mT4_P12ihipStream_tbEUlT_E_NS1_11comp_targetILNS1_3genE8ELNS1_11target_archE1030ELNS1_3gpuE2ELNS1_3repE0EEENS1_30default_config_static_selectorELNS0_4arch9wavefront6targetE1EEEvT1_,comdat
	.protected	_ZN7rocprim17ROCPRIM_400000_NS6detail17trampoline_kernelINS0_14default_configENS1_25transform_config_selectorItLb0EEEZNS1_14transform_implILb0ES3_S5_PtN6thrust23THRUST_200600_302600_NS6detail15normal_iteratorINS9_10device_ptrItEEEENS0_8identityItEEEE10hipError_tT2_T3_mT4_P12ihipStream_tbEUlT_E_NS1_11comp_targetILNS1_3genE8ELNS1_11target_archE1030ELNS1_3gpuE2ELNS1_3repE0EEENS1_30default_config_static_selectorELNS0_4arch9wavefront6targetE1EEEvT1_ ; -- Begin function _ZN7rocprim17ROCPRIM_400000_NS6detail17trampoline_kernelINS0_14default_configENS1_25transform_config_selectorItLb0EEEZNS1_14transform_implILb0ES3_S5_PtN6thrust23THRUST_200600_302600_NS6detail15normal_iteratorINS9_10device_ptrItEEEENS0_8identityItEEEE10hipError_tT2_T3_mT4_P12ihipStream_tbEUlT_E_NS1_11comp_targetILNS1_3genE8ELNS1_11target_archE1030ELNS1_3gpuE2ELNS1_3repE0EEENS1_30default_config_static_selectorELNS0_4arch9wavefront6targetE1EEEvT1_
	.globl	_ZN7rocprim17ROCPRIM_400000_NS6detail17trampoline_kernelINS0_14default_configENS1_25transform_config_selectorItLb0EEEZNS1_14transform_implILb0ES3_S5_PtN6thrust23THRUST_200600_302600_NS6detail15normal_iteratorINS9_10device_ptrItEEEENS0_8identityItEEEE10hipError_tT2_T3_mT4_P12ihipStream_tbEUlT_E_NS1_11comp_targetILNS1_3genE8ELNS1_11target_archE1030ELNS1_3gpuE2ELNS1_3repE0EEENS1_30default_config_static_selectorELNS0_4arch9wavefront6targetE1EEEvT1_
	.p2align	8
	.type	_ZN7rocprim17ROCPRIM_400000_NS6detail17trampoline_kernelINS0_14default_configENS1_25transform_config_selectorItLb0EEEZNS1_14transform_implILb0ES3_S5_PtN6thrust23THRUST_200600_302600_NS6detail15normal_iteratorINS9_10device_ptrItEEEENS0_8identityItEEEE10hipError_tT2_T3_mT4_P12ihipStream_tbEUlT_E_NS1_11comp_targetILNS1_3genE8ELNS1_11target_archE1030ELNS1_3gpuE2ELNS1_3repE0EEENS1_30default_config_static_selectorELNS0_4arch9wavefront6targetE1EEEvT1_,@function
_ZN7rocprim17ROCPRIM_400000_NS6detail17trampoline_kernelINS0_14default_configENS1_25transform_config_selectorItLb0EEEZNS1_14transform_implILb0ES3_S5_PtN6thrust23THRUST_200600_302600_NS6detail15normal_iteratorINS9_10device_ptrItEEEENS0_8identityItEEEE10hipError_tT2_T3_mT4_P12ihipStream_tbEUlT_E_NS1_11comp_targetILNS1_3genE8ELNS1_11target_archE1030ELNS1_3gpuE2ELNS1_3repE0EEENS1_30default_config_static_selectorELNS0_4arch9wavefront6targetE1EEEvT1_: ; @_ZN7rocprim17ROCPRIM_400000_NS6detail17trampoline_kernelINS0_14default_configENS1_25transform_config_selectorItLb0EEEZNS1_14transform_implILb0ES3_S5_PtN6thrust23THRUST_200600_302600_NS6detail15normal_iteratorINS9_10device_ptrItEEEENS0_8identityItEEEE10hipError_tT2_T3_mT4_P12ihipStream_tbEUlT_E_NS1_11comp_targetILNS1_3genE8ELNS1_11target_archE1030ELNS1_3gpuE2ELNS1_3repE0EEENS1_30default_config_static_selectorELNS0_4arch9wavefront6targetE1EEEvT1_
; %bb.0:
	.section	.rodata,"a",@progbits
	.p2align	6, 0x0
	.amdhsa_kernel _ZN7rocprim17ROCPRIM_400000_NS6detail17trampoline_kernelINS0_14default_configENS1_25transform_config_selectorItLb0EEEZNS1_14transform_implILb0ES3_S5_PtN6thrust23THRUST_200600_302600_NS6detail15normal_iteratorINS9_10device_ptrItEEEENS0_8identityItEEEE10hipError_tT2_T3_mT4_P12ihipStream_tbEUlT_E_NS1_11comp_targetILNS1_3genE8ELNS1_11target_archE1030ELNS1_3gpuE2ELNS1_3repE0EEENS1_30default_config_static_selectorELNS0_4arch9wavefront6targetE1EEEvT1_
		.amdhsa_group_segment_fixed_size 0
		.amdhsa_private_segment_fixed_size 0
		.amdhsa_kernarg_size 40
		.amdhsa_user_sgpr_count 2
		.amdhsa_user_sgpr_dispatch_ptr 0
		.amdhsa_user_sgpr_queue_ptr 0
		.amdhsa_user_sgpr_kernarg_segment_ptr 1
		.amdhsa_user_sgpr_dispatch_id 0
		.amdhsa_user_sgpr_kernarg_preload_length 0
		.amdhsa_user_sgpr_kernarg_preload_offset 0
		.amdhsa_user_sgpr_private_segment_size 0
		.amdhsa_uses_dynamic_stack 0
		.amdhsa_enable_private_segment 0
		.amdhsa_system_sgpr_workgroup_id_x 1
		.amdhsa_system_sgpr_workgroup_id_y 0
		.amdhsa_system_sgpr_workgroup_id_z 0
		.amdhsa_system_sgpr_workgroup_info 0
		.amdhsa_system_vgpr_workitem_id 0
		.amdhsa_next_free_vgpr 1
		.amdhsa_next_free_sgpr 0
		.amdhsa_accum_offset 4
		.amdhsa_reserve_vcc 0
		.amdhsa_float_round_mode_32 0
		.amdhsa_float_round_mode_16_64 0
		.amdhsa_float_denorm_mode_32 3
		.amdhsa_float_denorm_mode_16_64 3
		.amdhsa_dx10_clamp 1
		.amdhsa_ieee_mode 1
		.amdhsa_fp16_overflow 0
		.amdhsa_tg_split 0
		.amdhsa_exception_fp_ieee_invalid_op 0
		.amdhsa_exception_fp_denorm_src 0
		.amdhsa_exception_fp_ieee_div_zero 0
		.amdhsa_exception_fp_ieee_overflow 0
		.amdhsa_exception_fp_ieee_underflow 0
		.amdhsa_exception_fp_ieee_inexact 0
		.amdhsa_exception_int_div_zero 0
	.end_amdhsa_kernel
	.section	.text._ZN7rocprim17ROCPRIM_400000_NS6detail17trampoline_kernelINS0_14default_configENS1_25transform_config_selectorItLb0EEEZNS1_14transform_implILb0ES3_S5_PtN6thrust23THRUST_200600_302600_NS6detail15normal_iteratorINS9_10device_ptrItEEEENS0_8identityItEEEE10hipError_tT2_T3_mT4_P12ihipStream_tbEUlT_E_NS1_11comp_targetILNS1_3genE8ELNS1_11target_archE1030ELNS1_3gpuE2ELNS1_3repE0EEENS1_30default_config_static_selectorELNS0_4arch9wavefront6targetE1EEEvT1_,"axG",@progbits,_ZN7rocprim17ROCPRIM_400000_NS6detail17trampoline_kernelINS0_14default_configENS1_25transform_config_selectorItLb0EEEZNS1_14transform_implILb0ES3_S5_PtN6thrust23THRUST_200600_302600_NS6detail15normal_iteratorINS9_10device_ptrItEEEENS0_8identityItEEEE10hipError_tT2_T3_mT4_P12ihipStream_tbEUlT_E_NS1_11comp_targetILNS1_3genE8ELNS1_11target_archE1030ELNS1_3gpuE2ELNS1_3repE0EEENS1_30default_config_static_selectorELNS0_4arch9wavefront6targetE1EEEvT1_,comdat
.Lfunc_end1262:
	.size	_ZN7rocprim17ROCPRIM_400000_NS6detail17trampoline_kernelINS0_14default_configENS1_25transform_config_selectorItLb0EEEZNS1_14transform_implILb0ES3_S5_PtN6thrust23THRUST_200600_302600_NS6detail15normal_iteratorINS9_10device_ptrItEEEENS0_8identityItEEEE10hipError_tT2_T3_mT4_P12ihipStream_tbEUlT_E_NS1_11comp_targetILNS1_3genE8ELNS1_11target_archE1030ELNS1_3gpuE2ELNS1_3repE0EEENS1_30default_config_static_selectorELNS0_4arch9wavefront6targetE1EEEvT1_, .Lfunc_end1262-_ZN7rocprim17ROCPRIM_400000_NS6detail17trampoline_kernelINS0_14default_configENS1_25transform_config_selectorItLb0EEEZNS1_14transform_implILb0ES3_S5_PtN6thrust23THRUST_200600_302600_NS6detail15normal_iteratorINS9_10device_ptrItEEEENS0_8identityItEEEE10hipError_tT2_T3_mT4_P12ihipStream_tbEUlT_E_NS1_11comp_targetILNS1_3genE8ELNS1_11target_archE1030ELNS1_3gpuE2ELNS1_3repE0EEENS1_30default_config_static_selectorELNS0_4arch9wavefront6targetE1EEEvT1_
                                        ; -- End function
	.section	.AMDGPU.csdata,"",@progbits
; Kernel info:
; codeLenInByte = 0
; NumSgprs: 6
; NumVgprs: 0
; NumAgprs: 0
; TotalNumVgprs: 0
; ScratchSize: 0
; MemoryBound: 0
; FloatMode: 240
; IeeeMode: 1
; LDSByteSize: 0 bytes/workgroup (compile time only)
; SGPRBlocks: 0
; VGPRBlocks: 0
; NumSGPRsForWavesPerEU: 6
; NumVGPRsForWavesPerEU: 1
; AccumOffset: 4
; Occupancy: 8
; WaveLimiterHint : 0
; COMPUTE_PGM_RSRC2:SCRATCH_EN: 0
; COMPUTE_PGM_RSRC2:USER_SGPR: 2
; COMPUTE_PGM_RSRC2:TRAP_HANDLER: 0
; COMPUTE_PGM_RSRC2:TGID_X_EN: 1
; COMPUTE_PGM_RSRC2:TGID_Y_EN: 0
; COMPUTE_PGM_RSRC2:TGID_Z_EN: 0
; COMPUTE_PGM_RSRC2:TIDIG_COMP_CNT: 0
; COMPUTE_PGM_RSRC3_GFX90A:ACCUM_OFFSET: 0
; COMPUTE_PGM_RSRC3_GFX90A:TG_SPLIT: 0
	.section	.text._ZN7rocprim17ROCPRIM_400000_NS6detail17trampoline_kernelINS0_14default_configENS1_38merge_sort_block_merge_config_selectorItNS0_10empty_typeEEEZZNS1_27merge_sort_block_merge_implIS3_N6thrust23THRUST_200600_302600_NS6detail15normal_iteratorINS9_10device_ptrItEEEEPS5_jNS1_19radix_merge_compareILb0ELb1EtNS0_19identity_decomposerEEEEE10hipError_tT0_T1_T2_jT3_P12ihipStream_tbPNSt15iterator_traitsISK_E10value_typeEPNSQ_ISL_E10value_typeEPSM_NS1_7vsmem_tEENKUlT_SK_SL_SM_E_clIPtSE_SF_SF_EESJ_SZ_SK_SL_SM_EUlSZ_E_NS1_11comp_targetILNS1_3genE0ELNS1_11target_archE4294967295ELNS1_3gpuE0ELNS1_3repE0EEENS1_48merge_mergepath_partition_config_static_selectorELNS0_4arch9wavefront6targetE1EEEvSL_,"axG",@progbits,_ZN7rocprim17ROCPRIM_400000_NS6detail17trampoline_kernelINS0_14default_configENS1_38merge_sort_block_merge_config_selectorItNS0_10empty_typeEEEZZNS1_27merge_sort_block_merge_implIS3_N6thrust23THRUST_200600_302600_NS6detail15normal_iteratorINS9_10device_ptrItEEEEPS5_jNS1_19radix_merge_compareILb0ELb1EtNS0_19identity_decomposerEEEEE10hipError_tT0_T1_T2_jT3_P12ihipStream_tbPNSt15iterator_traitsISK_E10value_typeEPNSQ_ISL_E10value_typeEPSM_NS1_7vsmem_tEENKUlT_SK_SL_SM_E_clIPtSE_SF_SF_EESJ_SZ_SK_SL_SM_EUlSZ_E_NS1_11comp_targetILNS1_3genE0ELNS1_11target_archE4294967295ELNS1_3gpuE0ELNS1_3repE0EEENS1_48merge_mergepath_partition_config_static_selectorELNS0_4arch9wavefront6targetE1EEEvSL_,comdat
	.protected	_ZN7rocprim17ROCPRIM_400000_NS6detail17trampoline_kernelINS0_14default_configENS1_38merge_sort_block_merge_config_selectorItNS0_10empty_typeEEEZZNS1_27merge_sort_block_merge_implIS3_N6thrust23THRUST_200600_302600_NS6detail15normal_iteratorINS9_10device_ptrItEEEEPS5_jNS1_19radix_merge_compareILb0ELb1EtNS0_19identity_decomposerEEEEE10hipError_tT0_T1_T2_jT3_P12ihipStream_tbPNSt15iterator_traitsISK_E10value_typeEPNSQ_ISL_E10value_typeEPSM_NS1_7vsmem_tEENKUlT_SK_SL_SM_E_clIPtSE_SF_SF_EESJ_SZ_SK_SL_SM_EUlSZ_E_NS1_11comp_targetILNS1_3genE0ELNS1_11target_archE4294967295ELNS1_3gpuE0ELNS1_3repE0EEENS1_48merge_mergepath_partition_config_static_selectorELNS0_4arch9wavefront6targetE1EEEvSL_ ; -- Begin function _ZN7rocprim17ROCPRIM_400000_NS6detail17trampoline_kernelINS0_14default_configENS1_38merge_sort_block_merge_config_selectorItNS0_10empty_typeEEEZZNS1_27merge_sort_block_merge_implIS3_N6thrust23THRUST_200600_302600_NS6detail15normal_iteratorINS9_10device_ptrItEEEEPS5_jNS1_19radix_merge_compareILb0ELb1EtNS0_19identity_decomposerEEEEE10hipError_tT0_T1_T2_jT3_P12ihipStream_tbPNSt15iterator_traitsISK_E10value_typeEPNSQ_ISL_E10value_typeEPSM_NS1_7vsmem_tEENKUlT_SK_SL_SM_E_clIPtSE_SF_SF_EESJ_SZ_SK_SL_SM_EUlSZ_E_NS1_11comp_targetILNS1_3genE0ELNS1_11target_archE4294967295ELNS1_3gpuE0ELNS1_3repE0EEENS1_48merge_mergepath_partition_config_static_selectorELNS0_4arch9wavefront6targetE1EEEvSL_
	.globl	_ZN7rocprim17ROCPRIM_400000_NS6detail17trampoline_kernelINS0_14default_configENS1_38merge_sort_block_merge_config_selectorItNS0_10empty_typeEEEZZNS1_27merge_sort_block_merge_implIS3_N6thrust23THRUST_200600_302600_NS6detail15normal_iteratorINS9_10device_ptrItEEEEPS5_jNS1_19radix_merge_compareILb0ELb1EtNS0_19identity_decomposerEEEEE10hipError_tT0_T1_T2_jT3_P12ihipStream_tbPNSt15iterator_traitsISK_E10value_typeEPNSQ_ISL_E10value_typeEPSM_NS1_7vsmem_tEENKUlT_SK_SL_SM_E_clIPtSE_SF_SF_EESJ_SZ_SK_SL_SM_EUlSZ_E_NS1_11comp_targetILNS1_3genE0ELNS1_11target_archE4294967295ELNS1_3gpuE0ELNS1_3repE0EEENS1_48merge_mergepath_partition_config_static_selectorELNS0_4arch9wavefront6targetE1EEEvSL_
	.p2align	8
	.type	_ZN7rocprim17ROCPRIM_400000_NS6detail17trampoline_kernelINS0_14default_configENS1_38merge_sort_block_merge_config_selectorItNS0_10empty_typeEEEZZNS1_27merge_sort_block_merge_implIS3_N6thrust23THRUST_200600_302600_NS6detail15normal_iteratorINS9_10device_ptrItEEEEPS5_jNS1_19radix_merge_compareILb0ELb1EtNS0_19identity_decomposerEEEEE10hipError_tT0_T1_T2_jT3_P12ihipStream_tbPNSt15iterator_traitsISK_E10value_typeEPNSQ_ISL_E10value_typeEPSM_NS1_7vsmem_tEENKUlT_SK_SL_SM_E_clIPtSE_SF_SF_EESJ_SZ_SK_SL_SM_EUlSZ_E_NS1_11comp_targetILNS1_3genE0ELNS1_11target_archE4294967295ELNS1_3gpuE0ELNS1_3repE0EEENS1_48merge_mergepath_partition_config_static_selectorELNS0_4arch9wavefront6targetE1EEEvSL_,@function
_ZN7rocprim17ROCPRIM_400000_NS6detail17trampoline_kernelINS0_14default_configENS1_38merge_sort_block_merge_config_selectorItNS0_10empty_typeEEEZZNS1_27merge_sort_block_merge_implIS3_N6thrust23THRUST_200600_302600_NS6detail15normal_iteratorINS9_10device_ptrItEEEEPS5_jNS1_19radix_merge_compareILb0ELb1EtNS0_19identity_decomposerEEEEE10hipError_tT0_T1_T2_jT3_P12ihipStream_tbPNSt15iterator_traitsISK_E10value_typeEPNSQ_ISL_E10value_typeEPSM_NS1_7vsmem_tEENKUlT_SK_SL_SM_E_clIPtSE_SF_SF_EESJ_SZ_SK_SL_SM_EUlSZ_E_NS1_11comp_targetILNS1_3genE0ELNS1_11target_archE4294967295ELNS1_3gpuE0ELNS1_3repE0EEENS1_48merge_mergepath_partition_config_static_selectorELNS0_4arch9wavefront6targetE1EEEvSL_: ; @_ZN7rocprim17ROCPRIM_400000_NS6detail17trampoline_kernelINS0_14default_configENS1_38merge_sort_block_merge_config_selectorItNS0_10empty_typeEEEZZNS1_27merge_sort_block_merge_implIS3_N6thrust23THRUST_200600_302600_NS6detail15normal_iteratorINS9_10device_ptrItEEEEPS5_jNS1_19radix_merge_compareILb0ELb1EtNS0_19identity_decomposerEEEEE10hipError_tT0_T1_T2_jT3_P12ihipStream_tbPNSt15iterator_traitsISK_E10value_typeEPNSQ_ISL_E10value_typeEPSM_NS1_7vsmem_tEENKUlT_SK_SL_SM_E_clIPtSE_SF_SF_EESJ_SZ_SK_SL_SM_EUlSZ_E_NS1_11comp_targetILNS1_3genE0ELNS1_11target_archE4294967295ELNS1_3gpuE0ELNS1_3repE0EEENS1_48merge_mergepath_partition_config_static_selectorELNS0_4arch9wavefront6targetE1EEEvSL_
; %bb.0:
	.section	.rodata,"a",@progbits
	.p2align	6, 0x0
	.amdhsa_kernel _ZN7rocprim17ROCPRIM_400000_NS6detail17trampoline_kernelINS0_14default_configENS1_38merge_sort_block_merge_config_selectorItNS0_10empty_typeEEEZZNS1_27merge_sort_block_merge_implIS3_N6thrust23THRUST_200600_302600_NS6detail15normal_iteratorINS9_10device_ptrItEEEEPS5_jNS1_19radix_merge_compareILb0ELb1EtNS0_19identity_decomposerEEEEE10hipError_tT0_T1_T2_jT3_P12ihipStream_tbPNSt15iterator_traitsISK_E10value_typeEPNSQ_ISL_E10value_typeEPSM_NS1_7vsmem_tEENKUlT_SK_SL_SM_E_clIPtSE_SF_SF_EESJ_SZ_SK_SL_SM_EUlSZ_E_NS1_11comp_targetILNS1_3genE0ELNS1_11target_archE4294967295ELNS1_3gpuE0ELNS1_3repE0EEENS1_48merge_mergepath_partition_config_static_selectorELNS0_4arch9wavefront6targetE1EEEvSL_
		.amdhsa_group_segment_fixed_size 0
		.amdhsa_private_segment_fixed_size 0
		.amdhsa_kernarg_size 40
		.amdhsa_user_sgpr_count 2
		.amdhsa_user_sgpr_dispatch_ptr 0
		.amdhsa_user_sgpr_queue_ptr 0
		.amdhsa_user_sgpr_kernarg_segment_ptr 1
		.amdhsa_user_sgpr_dispatch_id 0
		.amdhsa_user_sgpr_kernarg_preload_length 0
		.amdhsa_user_sgpr_kernarg_preload_offset 0
		.amdhsa_user_sgpr_private_segment_size 0
		.amdhsa_uses_dynamic_stack 0
		.amdhsa_enable_private_segment 0
		.amdhsa_system_sgpr_workgroup_id_x 1
		.amdhsa_system_sgpr_workgroup_id_y 0
		.amdhsa_system_sgpr_workgroup_id_z 0
		.amdhsa_system_sgpr_workgroup_info 0
		.amdhsa_system_vgpr_workitem_id 0
		.amdhsa_next_free_vgpr 1
		.amdhsa_next_free_sgpr 0
		.amdhsa_accum_offset 4
		.amdhsa_reserve_vcc 0
		.amdhsa_float_round_mode_32 0
		.amdhsa_float_round_mode_16_64 0
		.amdhsa_float_denorm_mode_32 3
		.amdhsa_float_denorm_mode_16_64 3
		.amdhsa_dx10_clamp 1
		.amdhsa_ieee_mode 1
		.amdhsa_fp16_overflow 0
		.amdhsa_tg_split 0
		.amdhsa_exception_fp_ieee_invalid_op 0
		.amdhsa_exception_fp_denorm_src 0
		.amdhsa_exception_fp_ieee_div_zero 0
		.amdhsa_exception_fp_ieee_overflow 0
		.amdhsa_exception_fp_ieee_underflow 0
		.amdhsa_exception_fp_ieee_inexact 0
		.amdhsa_exception_int_div_zero 0
	.end_amdhsa_kernel
	.section	.text._ZN7rocprim17ROCPRIM_400000_NS6detail17trampoline_kernelINS0_14default_configENS1_38merge_sort_block_merge_config_selectorItNS0_10empty_typeEEEZZNS1_27merge_sort_block_merge_implIS3_N6thrust23THRUST_200600_302600_NS6detail15normal_iteratorINS9_10device_ptrItEEEEPS5_jNS1_19radix_merge_compareILb0ELb1EtNS0_19identity_decomposerEEEEE10hipError_tT0_T1_T2_jT3_P12ihipStream_tbPNSt15iterator_traitsISK_E10value_typeEPNSQ_ISL_E10value_typeEPSM_NS1_7vsmem_tEENKUlT_SK_SL_SM_E_clIPtSE_SF_SF_EESJ_SZ_SK_SL_SM_EUlSZ_E_NS1_11comp_targetILNS1_3genE0ELNS1_11target_archE4294967295ELNS1_3gpuE0ELNS1_3repE0EEENS1_48merge_mergepath_partition_config_static_selectorELNS0_4arch9wavefront6targetE1EEEvSL_,"axG",@progbits,_ZN7rocprim17ROCPRIM_400000_NS6detail17trampoline_kernelINS0_14default_configENS1_38merge_sort_block_merge_config_selectorItNS0_10empty_typeEEEZZNS1_27merge_sort_block_merge_implIS3_N6thrust23THRUST_200600_302600_NS6detail15normal_iteratorINS9_10device_ptrItEEEEPS5_jNS1_19radix_merge_compareILb0ELb1EtNS0_19identity_decomposerEEEEE10hipError_tT0_T1_T2_jT3_P12ihipStream_tbPNSt15iterator_traitsISK_E10value_typeEPNSQ_ISL_E10value_typeEPSM_NS1_7vsmem_tEENKUlT_SK_SL_SM_E_clIPtSE_SF_SF_EESJ_SZ_SK_SL_SM_EUlSZ_E_NS1_11comp_targetILNS1_3genE0ELNS1_11target_archE4294967295ELNS1_3gpuE0ELNS1_3repE0EEENS1_48merge_mergepath_partition_config_static_selectorELNS0_4arch9wavefront6targetE1EEEvSL_,comdat
.Lfunc_end1263:
	.size	_ZN7rocprim17ROCPRIM_400000_NS6detail17trampoline_kernelINS0_14default_configENS1_38merge_sort_block_merge_config_selectorItNS0_10empty_typeEEEZZNS1_27merge_sort_block_merge_implIS3_N6thrust23THRUST_200600_302600_NS6detail15normal_iteratorINS9_10device_ptrItEEEEPS5_jNS1_19radix_merge_compareILb0ELb1EtNS0_19identity_decomposerEEEEE10hipError_tT0_T1_T2_jT3_P12ihipStream_tbPNSt15iterator_traitsISK_E10value_typeEPNSQ_ISL_E10value_typeEPSM_NS1_7vsmem_tEENKUlT_SK_SL_SM_E_clIPtSE_SF_SF_EESJ_SZ_SK_SL_SM_EUlSZ_E_NS1_11comp_targetILNS1_3genE0ELNS1_11target_archE4294967295ELNS1_3gpuE0ELNS1_3repE0EEENS1_48merge_mergepath_partition_config_static_selectorELNS0_4arch9wavefront6targetE1EEEvSL_, .Lfunc_end1263-_ZN7rocprim17ROCPRIM_400000_NS6detail17trampoline_kernelINS0_14default_configENS1_38merge_sort_block_merge_config_selectorItNS0_10empty_typeEEEZZNS1_27merge_sort_block_merge_implIS3_N6thrust23THRUST_200600_302600_NS6detail15normal_iteratorINS9_10device_ptrItEEEEPS5_jNS1_19radix_merge_compareILb0ELb1EtNS0_19identity_decomposerEEEEE10hipError_tT0_T1_T2_jT3_P12ihipStream_tbPNSt15iterator_traitsISK_E10value_typeEPNSQ_ISL_E10value_typeEPSM_NS1_7vsmem_tEENKUlT_SK_SL_SM_E_clIPtSE_SF_SF_EESJ_SZ_SK_SL_SM_EUlSZ_E_NS1_11comp_targetILNS1_3genE0ELNS1_11target_archE4294967295ELNS1_3gpuE0ELNS1_3repE0EEENS1_48merge_mergepath_partition_config_static_selectorELNS0_4arch9wavefront6targetE1EEEvSL_
                                        ; -- End function
	.section	.AMDGPU.csdata,"",@progbits
; Kernel info:
; codeLenInByte = 0
; NumSgprs: 6
; NumVgprs: 0
; NumAgprs: 0
; TotalNumVgprs: 0
; ScratchSize: 0
; MemoryBound: 0
; FloatMode: 240
; IeeeMode: 1
; LDSByteSize: 0 bytes/workgroup (compile time only)
; SGPRBlocks: 0
; VGPRBlocks: 0
; NumSGPRsForWavesPerEU: 6
; NumVGPRsForWavesPerEU: 1
; AccumOffset: 4
; Occupancy: 8
; WaveLimiterHint : 0
; COMPUTE_PGM_RSRC2:SCRATCH_EN: 0
; COMPUTE_PGM_RSRC2:USER_SGPR: 2
; COMPUTE_PGM_RSRC2:TRAP_HANDLER: 0
; COMPUTE_PGM_RSRC2:TGID_X_EN: 1
; COMPUTE_PGM_RSRC2:TGID_Y_EN: 0
; COMPUTE_PGM_RSRC2:TGID_Z_EN: 0
; COMPUTE_PGM_RSRC2:TIDIG_COMP_CNT: 0
; COMPUTE_PGM_RSRC3_GFX90A:ACCUM_OFFSET: 0
; COMPUTE_PGM_RSRC3_GFX90A:TG_SPLIT: 0
	.section	.text._ZN7rocprim17ROCPRIM_400000_NS6detail17trampoline_kernelINS0_14default_configENS1_38merge_sort_block_merge_config_selectorItNS0_10empty_typeEEEZZNS1_27merge_sort_block_merge_implIS3_N6thrust23THRUST_200600_302600_NS6detail15normal_iteratorINS9_10device_ptrItEEEEPS5_jNS1_19radix_merge_compareILb0ELb1EtNS0_19identity_decomposerEEEEE10hipError_tT0_T1_T2_jT3_P12ihipStream_tbPNSt15iterator_traitsISK_E10value_typeEPNSQ_ISL_E10value_typeEPSM_NS1_7vsmem_tEENKUlT_SK_SL_SM_E_clIPtSE_SF_SF_EESJ_SZ_SK_SL_SM_EUlSZ_E_NS1_11comp_targetILNS1_3genE10ELNS1_11target_archE1201ELNS1_3gpuE5ELNS1_3repE0EEENS1_48merge_mergepath_partition_config_static_selectorELNS0_4arch9wavefront6targetE1EEEvSL_,"axG",@progbits,_ZN7rocprim17ROCPRIM_400000_NS6detail17trampoline_kernelINS0_14default_configENS1_38merge_sort_block_merge_config_selectorItNS0_10empty_typeEEEZZNS1_27merge_sort_block_merge_implIS3_N6thrust23THRUST_200600_302600_NS6detail15normal_iteratorINS9_10device_ptrItEEEEPS5_jNS1_19radix_merge_compareILb0ELb1EtNS0_19identity_decomposerEEEEE10hipError_tT0_T1_T2_jT3_P12ihipStream_tbPNSt15iterator_traitsISK_E10value_typeEPNSQ_ISL_E10value_typeEPSM_NS1_7vsmem_tEENKUlT_SK_SL_SM_E_clIPtSE_SF_SF_EESJ_SZ_SK_SL_SM_EUlSZ_E_NS1_11comp_targetILNS1_3genE10ELNS1_11target_archE1201ELNS1_3gpuE5ELNS1_3repE0EEENS1_48merge_mergepath_partition_config_static_selectorELNS0_4arch9wavefront6targetE1EEEvSL_,comdat
	.protected	_ZN7rocprim17ROCPRIM_400000_NS6detail17trampoline_kernelINS0_14default_configENS1_38merge_sort_block_merge_config_selectorItNS0_10empty_typeEEEZZNS1_27merge_sort_block_merge_implIS3_N6thrust23THRUST_200600_302600_NS6detail15normal_iteratorINS9_10device_ptrItEEEEPS5_jNS1_19radix_merge_compareILb0ELb1EtNS0_19identity_decomposerEEEEE10hipError_tT0_T1_T2_jT3_P12ihipStream_tbPNSt15iterator_traitsISK_E10value_typeEPNSQ_ISL_E10value_typeEPSM_NS1_7vsmem_tEENKUlT_SK_SL_SM_E_clIPtSE_SF_SF_EESJ_SZ_SK_SL_SM_EUlSZ_E_NS1_11comp_targetILNS1_3genE10ELNS1_11target_archE1201ELNS1_3gpuE5ELNS1_3repE0EEENS1_48merge_mergepath_partition_config_static_selectorELNS0_4arch9wavefront6targetE1EEEvSL_ ; -- Begin function _ZN7rocprim17ROCPRIM_400000_NS6detail17trampoline_kernelINS0_14default_configENS1_38merge_sort_block_merge_config_selectorItNS0_10empty_typeEEEZZNS1_27merge_sort_block_merge_implIS3_N6thrust23THRUST_200600_302600_NS6detail15normal_iteratorINS9_10device_ptrItEEEEPS5_jNS1_19radix_merge_compareILb0ELb1EtNS0_19identity_decomposerEEEEE10hipError_tT0_T1_T2_jT3_P12ihipStream_tbPNSt15iterator_traitsISK_E10value_typeEPNSQ_ISL_E10value_typeEPSM_NS1_7vsmem_tEENKUlT_SK_SL_SM_E_clIPtSE_SF_SF_EESJ_SZ_SK_SL_SM_EUlSZ_E_NS1_11comp_targetILNS1_3genE10ELNS1_11target_archE1201ELNS1_3gpuE5ELNS1_3repE0EEENS1_48merge_mergepath_partition_config_static_selectorELNS0_4arch9wavefront6targetE1EEEvSL_
	.globl	_ZN7rocprim17ROCPRIM_400000_NS6detail17trampoline_kernelINS0_14default_configENS1_38merge_sort_block_merge_config_selectorItNS0_10empty_typeEEEZZNS1_27merge_sort_block_merge_implIS3_N6thrust23THRUST_200600_302600_NS6detail15normal_iteratorINS9_10device_ptrItEEEEPS5_jNS1_19radix_merge_compareILb0ELb1EtNS0_19identity_decomposerEEEEE10hipError_tT0_T1_T2_jT3_P12ihipStream_tbPNSt15iterator_traitsISK_E10value_typeEPNSQ_ISL_E10value_typeEPSM_NS1_7vsmem_tEENKUlT_SK_SL_SM_E_clIPtSE_SF_SF_EESJ_SZ_SK_SL_SM_EUlSZ_E_NS1_11comp_targetILNS1_3genE10ELNS1_11target_archE1201ELNS1_3gpuE5ELNS1_3repE0EEENS1_48merge_mergepath_partition_config_static_selectorELNS0_4arch9wavefront6targetE1EEEvSL_
	.p2align	8
	.type	_ZN7rocprim17ROCPRIM_400000_NS6detail17trampoline_kernelINS0_14default_configENS1_38merge_sort_block_merge_config_selectorItNS0_10empty_typeEEEZZNS1_27merge_sort_block_merge_implIS3_N6thrust23THRUST_200600_302600_NS6detail15normal_iteratorINS9_10device_ptrItEEEEPS5_jNS1_19radix_merge_compareILb0ELb1EtNS0_19identity_decomposerEEEEE10hipError_tT0_T1_T2_jT3_P12ihipStream_tbPNSt15iterator_traitsISK_E10value_typeEPNSQ_ISL_E10value_typeEPSM_NS1_7vsmem_tEENKUlT_SK_SL_SM_E_clIPtSE_SF_SF_EESJ_SZ_SK_SL_SM_EUlSZ_E_NS1_11comp_targetILNS1_3genE10ELNS1_11target_archE1201ELNS1_3gpuE5ELNS1_3repE0EEENS1_48merge_mergepath_partition_config_static_selectorELNS0_4arch9wavefront6targetE1EEEvSL_,@function
_ZN7rocprim17ROCPRIM_400000_NS6detail17trampoline_kernelINS0_14default_configENS1_38merge_sort_block_merge_config_selectorItNS0_10empty_typeEEEZZNS1_27merge_sort_block_merge_implIS3_N6thrust23THRUST_200600_302600_NS6detail15normal_iteratorINS9_10device_ptrItEEEEPS5_jNS1_19radix_merge_compareILb0ELb1EtNS0_19identity_decomposerEEEEE10hipError_tT0_T1_T2_jT3_P12ihipStream_tbPNSt15iterator_traitsISK_E10value_typeEPNSQ_ISL_E10value_typeEPSM_NS1_7vsmem_tEENKUlT_SK_SL_SM_E_clIPtSE_SF_SF_EESJ_SZ_SK_SL_SM_EUlSZ_E_NS1_11comp_targetILNS1_3genE10ELNS1_11target_archE1201ELNS1_3gpuE5ELNS1_3repE0EEENS1_48merge_mergepath_partition_config_static_selectorELNS0_4arch9wavefront6targetE1EEEvSL_: ; @_ZN7rocprim17ROCPRIM_400000_NS6detail17trampoline_kernelINS0_14default_configENS1_38merge_sort_block_merge_config_selectorItNS0_10empty_typeEEEZZNS1_27merge_sort_block_merge_implIS3_N6thrust23THRUST_200600_302600_NS6detail15normal_iteratorINS9_10device_ptrItEEEEPS5_jNS1_19radix_merge_compareILb0ELb1EtNS0_19identity_decomposerEEEEE10hipError_tT0_T1_T2_jT3_P12ihipStream_tbPNSt15iterator_traitsISK_E10value_typeEPNSQ_ISL_E10value_typeEPSM_NS1_7vsmem_tEENKUlT_SK_SL_SM_E_clIPtSE_SF_SF_EESJ_SZ_SK_SL_SM_EUlSZ_E_NS1_11comp_targetILNS1_3genE10ELNS1_11target_archE1201ELNS1_3gpuE5ELNS1_3repE0EEENS1_48merge_mergepath_partition_config_static_selectorELNS0_4arch9wavefront6targetE1EEEvSL_
; %bb.0:
	.section	.rodata,"a",@progbits
	.p2align	6, 0x0
	.amdhsa_kernel _ZN7rocprim17ROCPRIM_400000_NS6detail17trampoline_kernelINS0_14default_configENS1_38merge_sort_block_merge_config_selectorItNS0_10empty_typeEEEZZNS1_27merge_sort_block_merge_implIS3_N6thrust23THRUST_200600_302600_NS6detail15normal_iteratorINS9_10device_ptrItEEEEPS5_jNS1_19radix_merge_compareILb0ELb1EtNS0_19identity_decomposerEEEEE10hipError_tT0_T1_T2_jT3_P12ihipStream_tbPNSt15iterator_traitsISK_E10value_typeEPNSQ_ISL_E10value_typeEPSM_NS1_7vsmem_tEENKUlT_SK_SL_SM_E_clIPtSE_SF_SF_EESJ_SZ_SK_SL_SM_EUlSZ_E_NS1_11comp_targetILNS1_3genE10ELNS1_11target_archE1201ELNS1_3gpuE5ELNS1_3repE0EEENS1_48merge_mergepath_partition_config_static_selectorELNS0_4arch9wavefront6targetE1EEEvSL_
		.amdhsa_group_segment_fixed_size 0
		.amdhsa_private_segment_fixed_size 0
		.amdhsa_kernarg_size 40
		.amdhsa_user_sgpr_count 2
		.amdhsa_user_sgpr_dispatch_ptr 0
		.amdhsa_user_sgpr_queue_ptr 0
		.amdhsa_user_sgpr_kernarg_segment_ptr 1
		.amdhsa_user_sgpr_dispatch_id 0
		.amdhsa_user_sgpr_kernarg_preload_length 0
		.amdhsa_user_sgpr_kernarg_preload_offset 0
		.amdhsa_user_sgpr_private_segment_size 0
		.amdhsa_uses_dynamic_stack 0
		.amdhsa_enable_private_segment 0
		.amdhsa_system_sgpr_workgroup_id_x 1
		.amdhsa_system_sgpr_workgroup_id_y 0
		.amdhsa_system_sgpr_workgroup_id_z 0
		.amdhsa_system_sgpr_workgroup_info 0
		.amdhsa_system_vgpr_workitem_id 0
		.amdhsa_next_free_vgpr 1
		.amdhsa_next_free_sgpr 0
		.amdhsa_accum_offset 4
		.amdhsa_reserve_vcc 0
		.amdhsa_float_round_mode_32 0
		.amdhsa_float_round_mode_16_64 0
		.amdhsa_float_denorm_mode_32 3
		.amdhsa_float_denorm_mode_16_64 3
		.amdhsa_dx10_clamp 1
		.amdhsa_ieee_mode 1
		.amdhsa_fp16_overflow 0
		.amdhsa_tg_split 0
		.amdhsa_exception_fp_ieee_invalid_op 0
		.amdhsa_exception_fp_denorm_src 0
		.amdhsa_exception_fp_ieee_div_zero 0
		.amdhsa_exception_fp_ieee_overflow 0
		.amdhsa_exception_fp_ieee_underflow 0
		.amdhsa_exception_fp_ieee_inexact 0
		.amdhsa_exception_int_div_zero 0
	.end_amdhsa_kernel
	.section	.text._ZN7rocprim17ROCPRIM_400000_NS6detail17trampoline_kernelINS0_14default_configENS1_38merge_sort_block_merge_config_selectorItNS0_10empty_typeEEEZZNS1_27merge_sort_block_merge_implIS3_N6thrust23THRUST_200600_302600_NS6detail15normal_iteratorINS9_10device_ptrItEEEEPS5_jNS1_19radix_merge_compareILb0ELb1EtNS0_19identity_decomposerEEEEE10hipError_tT0_T1_T2_jT3_P12ihipStream_tbPNSt15iterator_traitsISK_E10value_typeEPNSQ_ISL_E10value_typeEPSM_NS1_7vsmem_tEENKUlT_SK_SL_SM_E_clIPtSE_SF_SF_EESJ_SZ_SK_SL_SM_EUlSZ_E_NS1_11comp_targetILNS1_3genE10ELNS1_11target_archE1201ELNS1_3gpuE5ELNS1_3repE0EEENS1_48merge_mergepath_partition_config_static_selectorELNS0_4arch9wavefront6targetE1EEEvSL_,"axG",@progbits,_ZN7rocprim17ROCPRIM_400000_NS6detail17trampoline_kernelINS0_14default_configENS1_38merge_sort_block_merge_config_selectorItNS0_10empty_typeEEEZZNS1_27merge_sort_block_merge_implIS3_N6thrust23THRUST_200600_302600_NS6detail15normal_iteratorINS9_10device_ptrItEEEEPS5_jNS1_19radix_merge_compareILb0ELb1EtNS0_19identity_decomposerEEEEE10hipError_tT0_T1_T2_jT3_P12ihipStream_tbPNSt15iterator_traitsISK_E10value_typeEPNSQ_ISL_E10value_typeEPSM_NS1_7vsmem_tEENKUlT_SK_SL_SM_E_clIPtSE_SF_SF_EESJ_SZ_SK_SL_SM_EUlSZ_E_NS1_11comp_targetILNS1_3genE10ELNS1_11target_archE1201ELNS1_3gpuE5ELNS1_3repE0EEENS1_48merge_mergepath_partition_config_static_selectorELNS0_4arch9wavefront6targetE1EEEvSL_,comdat
.Lfunc_end1264:
	.size	_ZN7rocprim17ROCPRIM_400000_NS6detail17trampoline_kernelINS0_14default_configENS1_38merge_sort_block_merge_config_selectorItNS0_10empty_typeEEEZZNS1_27merge_sort_block_merge_implIS3_N6thrust23THRUST_200600_302600_NS6detail15normal_iteratorINS9_10device_ptrItEEEEPS5_jNS1_19radix_merge_compareILb0ELb1EtNS0_19identity_decomposerEEEEE10hipError_tT0_T1_T2_jT3_P12ihipStream_tbPNSt15iterator_traitsISK_E10value_typeEPNSQ_ISL_E10value_typeEPSM_NS1_7vsmem_tEENKUlT_SK_SL_SM_E_clIPtSE_SF_SF_EESJ_SZ_SK_SL_SM_EUlSZ_E_NS1_11comp_targetILNS1_3genE10ELNS1_11target_archE1201ELNS1_3gpuE5ELNS1_3repE0EEENS1_48merge_mergepath_partition_config_static_selectorELNS0_4arch9wavefront6targetE1EEEvSL_, .Lfunc_end1264-_ZN7rocprim17ROCPRIM_400000_NS6detail17trampoline_kernelINS0_14default_configENS1_38merge_sort_block_merge_config_selectorItNS0_10empty_typeEEEZZNS1_27merge_sort_block_merge_implIS3_N6thrust23THRUST_200600_302600_NS6detail15normal_iteratorINS9_10device_ptrItEEEEPS5_jNS1_19radix_merge_compareILb0ELb1EtNS0_19identity_decomposerEEEEE10hipError_tT0_T1_T2_jT3_P12ihipStream_tbPNSt15iterator_traitsISK_E10value_typeEPNSQ_ISL_E10value_typeEPSM_NS1_7vsmem_tEENKUlT_SK_SL_SM_E_clIPtSE_SF_SF_EESJ_SZ_SK_SL_SM_EUlSZ_E_NS1_11comp_targetILNS1_3genE10ELNS1_11target_archE1201ELNS1_3gpuE5ELNS1_3repE0EEENS1_48merge_mergepath_partition_config_static_selectorELNS0_4arch9wavefront6targetE1EEEvSL_
                                        ; -- End function
	.section	.AMDGPU.csdata,"",@progbits
; Kernel info:
; codeLenInByte = 0
; NumSgprs: 6
; NumVgprs: 0
; NumAgprs: 0
; TotalNumVgprs: 0
; ScratchSize: 0
; MemoryBound: 0
; FloatMode: 240
; IeeeMode: 1
; LDSByteSize: 0 bytes/workgroup (compile time only)
; SGPRBlocks: 0
; VGPRBlocks: 0
; NumSGPRsForWavesPerEU: 6
; NumVGPRsForWavesPerEU: 1
; AccumOffset: 4
; Occupancy: 8
; WaveLimiterHint : 0
; COMPUTE_PGM_RSRC2:SCRATCH_EN: 0
; COMPUTE_PGM_RSRC2:USER_SGPR: 2
; COMPUTE_PGM_RSRC2:TRAP_HANDLER: 0
; COMPUTE_PGM_RSRC2:TGID_X_EN: 1
; COMPUTE_PGM_RSRC2:TGID_Y_EN: 0
; COMPUTE_PGM_RSRC2:TGID_Z_EN: 0
; COMPUTE_PGM_RSRC2:TIDIG_COMP_CNT: 0
; COMPUTE_PGM_RSRC3_GFX90A:ACCUM_OFFSET: 0
; COMPUTE_PGM_RSRC3_GFX90A:TG_SPLIT: 0
	.section	.text._ZN7rocprim17ROCPRIM_400000_NS6detail17trampoline_kernelINS0_14default_configENS1_38merge_sort_block_merge_config_selectorItNS0_10empty_typeEEEZZNS1_27merge_sort_block_merge_implIS3_N6thrust23THRUST_200600_302600_NS6detail15normal_iteratorINS9_10device_ptrItEEEEPS5_jNS1_19radix_merge_compareILb0ELb1EtNS0_19identity_decomposerEEEEE10hipError_tT0_T1_T2_jT3_P12ihipStream_tbPNSt15iterator_traitsISK_E10value_typeEPNSQ_ISL_E10value_typeEPSM_NS1_7vsmem_tEENKUlT_SK_SL_SM_E_clIPtSE_SF_SF_EESJ_SZ_SK_SL_SM_EUlSZ_E_NS1_11comp_targetILNS1_3genE5ELNS1_11target_archE942ELNS1_3gpuE9ELNS1_3repE0EEENS1_48merge_mergepath_partition_config_static_selectorELNS0_4arch9wavefront6targetE1EEEvSL_,"axG",@progbits,_ZN7rocprim17ROCPRIM_400000_NS6detail17trampoline_kernelINS0_14default_configENS1_38merge_sort_block_merge_config_selectorItNS0_10empty_typeEEEZZNS1_27merge_sort_block_merge_implIS3_N6thrust23THRUST_200600_302600_NS6detail15normal_iteratorINS9_10device_ptrItEEEEPS5_jNS1_19radix_merge_compareILb0ELb1EtNS0_19identity_decomposerEEEEE10hipError_tT0_T1_T2_jT3_P12ihipStream_tbPNSt15iterator_traitsISK_E10value_typeEPNSQ_ISL_E10value_typeEPSM_NS1_7vsmem_tEENKUlT_SK_SL_SM_E_clIPtSE_SF_SF_EESJ_SZ_SK_SL_SM_EUlSZ_E_NS1_11comp_targetILNS1_3genE5ELNS1_11target_archE942ELNS1_3gpuE9ELNS1_3repE0EEENS1_48merge_mergepath_partition_config_static_selectorELNS0_4arch9wavefront6targetE1EEEvSL_,comdat
	.protected	_ZN7rocprim17ROCPRIM_400000_NS6detail17trampoline_kernelINS0_14default_configENS1_38merge_sort_block_merge_config_selectorItNS0_10empty_typeEEEZZNS1_27merge_sort_block_merge_implIS3_N6thrust23THRUST_200600_302600_NS6detail15normal_iteratorINS9_10device_ptrItEEEEPS5_jNS1_19radix_merge_compareILb0ELb1EtNS0_19identity_decomposerEEEEE10hipError_tT0_T1_T2_jT3_P12ihipStream_tbPNSt15iterator_traitsISK_E10value_typeEPNSQ_ISL_E10value_typeEPSM_NS1_7vsmem_tEENKUlT_SK_SL_SM_E_clIPtSE_SF_SF_EESJ_SZ_SK_SL_SM_EUlSZ_E_NS1_11comp_targetILNS1_3genE5ELNS1_11target_archE942ELNS1_3gpuE9ELNS1_3repE0EEENS1_48merge_mergepath_partition_config_static_selectorELNS0_4arch9wavefront6targetE1EEEvSL_ ; -- Begin function _ZN7rocprim17ROCPRIM_400000_NS6detail17trampoline_kernelINS0_14default_configENS1_38merge_sort_block_merge_config_selectorItNS0_10empty_typeEEEZZNS1_27merge_sort_block_merge_implIS3_N6thrust23THRUST_200600_302600_NS6detail15normal_iteratorINS9_10device_ptrItEEEEPS5_jNS1_19radix_merge_compareILb0ELb1EtNS0_19identity_decomposerEEEEE10hipError_tT0_T1_T2_jT3_P12ihipStream_tbPNSt15iterator_traitsISK_E10value_typeEPNSQ_ISL_E10value_typeEPSM_NS1_7vsmem_tEENKUlT_SK_SL_SM_E_clIPtSE_SF_SF_EESJ_SZ_SK_SL_SM_EUlSZ_E_NS1_11comp_targetILNS1_3genE5ELNS1_11target_archE942ELNS1_3gpuE9ELNS1_3repE0EEENS1_48merge_mergepath_partition_config_static_selectorELNS0_4arch9wavefront6targetE1EEEvSL_
	.globl	_ZN7rocprim17ROCPRIM_400000_NS6detail17trampoline_kernelINS0_14default_configENS1_38merge_sort_block_merge_config_selectorItNS0_10empty_typeEEEZZNS1_27merge_sort_block_merge_implIS3_N6thrust23THRUST_200600_302600_NS6detail15normal_iteratorINS9_10device_ptrItEEEEPS5_jNS1_19radix_merge_compareILb0ELb1EtNS0_19identity_decomposerEEEEE10hipError_tT0_T1_T2_jT3_P12ihipStream_tbPNSt15iterator_traitsISK_E10value_typeEPNSQ_ISL_E10value_typeEPSM_NS1_7vsmem_tEENKUlT_SK_SL_SM_E_clIPtSE_SF_SF_EESJ_SZ_SK_SL_SM_EUlSZ_E_NS1_11comp_targetILNS1_3genE5ELNS1_11target_archE942ELNS1_3gpuE9ELNS1_3repE0EEENS1_48merge_mergepath_partition_config_static_selectorELNS0_4arch9wavefront6targetE1EEEvSL_
	.p2align	8
	.type	_ZN7rocprim17ROCPRIM_400000_NS6detail17trampoline_kernelINS0_14default_configENS1_38merge_sort_block_merge_config_selectorItNS0_10empty_typeEEEZZNS1_27merge_sort_block_merge_implIS3_N6thrust23THRUST_200600_302600_NS6detail15normal_iteratorINS9_10device_ptrItEEEEPS5_jNS1_19radix_merge_compareILb0ELb1EtNS0_19identity_decomposerEEEEE10hipError_tT0_T1_T2_jT3_P12ihipStream_tbPNSt15iterator_traitsISK_E10value_typeEPNSQ_ISL_E10value_typeEPSM_NS1_7vsmem_tEENKUlT_SK_SL_SM_E_clIPtSE_SF_SF_EESJ_SZ_SK_SL_SM_EUlSZ_E_NS1_11comp_targetILNS1_3genE5ELNS1_11target_archE942ELNS1_3gpuE9ELNS1_3repE0EEENS1_48merge_mergepath_partition_config_static_selectorELNS0_4arch9wavefront6targetE1EEEvSL_,@function
_ZN7rocprim17ROCPRIM_400000_NS6detail17trampoline_kernelINS0_14default_configENS1_38merge_sort_block_merge_config_selectorItNS0_10empty_typeEEEZZNS1_27merge_sort_block_merge_implIS3_N6thrust23THRUST_200600_302600_NS6detail15normal_iteratorINS9_10device_ptrItEEEEPS5_jNS1_19radix_merge_compareILb0ELb1EtNS0_19identity_decomposerEEEEE10hipError_tT0_T1_T2_jT3_P12ihipStream_tbPNSt15iterator_traitsISK_E10value_typeEPNSQ_ISL_E10value_typeEPSM_NS1_7vsmem_tEENKUlT_SK_SL_SM_E_clIPtSE_SF_SF_EESJ_SZ_SK_SL_SM_EUlSZ_E_NS1_11comp_targetILNS1_3genE5ELNS1_11target_archE942ELNS1_3gpuE9ELNS1_3repE0EEENS1_48merge_mergepath_partition_config_static_selectorELNS0_4arch9wavefront6targetE1EEEvSL_: ; @_ZN7rocprim17ROCPRIM_400000_NS6detail17trampoline_kernelINS0_14default_configENS1_38merge_sort_block_merge_config_selectorItNS0_10empty_typeEEEZZNS1_27merge_sort_block_merge_implIS3_N6thrust23THRUST_200600_302600_NS6detail15normal_iteratorINS9_10device_ptrItEEEEPS5_jNS1_19radix_merge_compareILb0ELb1EtNS0_19identity_decomposerEEEEE10hipError_tT0_T1_T2_jT3_P12ihipStream_tbPNSt15iterator_traitsISK_E10value_typeEPNSQ_ISL_E10value_typeEPSM_NS1_7vsmem_tEENKUlT_SK_SL_SM_E_clIPtSE_SF_SF_EESJ_SZ_SK_SL_SM_EUlSZ_E_NS1_11comp_targetILNS1_3genE5ELNS1_11target_archE942ELNS1_3gpuE9ELNS1_3repE0EEENS1_48merge_mergepath_partition_config_static_selectorELNS0_4arch9wavefront6targetE1EEEvSL_
; %bb.0:
	s_load_dword s3, s[0:1], 0x0
	v_lshl_or_b32 v0, s2, 7, v0
	s_waitcnt lgkmcnt(0)
	v_cmp_gt_u32_e32 vcc, s3, v0
	s_and_saveexec_b64 s[2:3], vcc
	s_cbranch_execz .LBB1265_6
; %bb.1:
	s_load_dwordx2 s[4:5], s[0:1], 0x4
	s_load_dwordx2 s[2:3], s[0:1], 0x20
	s_waitcnt lgkmcnt(0)
	s_lshr_b32 s6, s4, 9
	s_and_b32 s6, s6, 0x7ffffe
	s_add_i32 s7, s6, -1
	s_sub_i32 s6, 0, s6
	v_and_b32_e32 v1, s6, v0
	v_lshlrev_b32_e32 v1, 10, v1
	v_min_u32_e32 v2, s5, v1
	v_add_u32_e32 v1, s4, v1
	v_min_u32_e32 v4, s5, v1
	v_add_u32_e32 v1, s4, v4
	v_and_b32_e32 v3, s7, v0
	v_min_u32_e32 v1, s5, v1
	v_sub_u32_e32 v5, v1, v2
	v_lshlrev_b32_e32 v3, 10, v3
	v_min_u32_e32 v10, v5, v3
	v_sub_u32_e32 v3, v4, v2
	v_sub_u32_e32 v1, v1, v4
	v_sub_u32_e64 v1, v10, v1 clamp
	v_min_u32_e32 v11, v10, v3
	v_cmp_lt_u32_e32 vcc, v1, v11
	s_and_saveexec_b64 s[4:5], vcc
	s_cbranch_execz .LBB1265_5
; %bb.2:
	s_load_dwordx2 s[8:9], s[0:1], 0x10
	s_load_dword s6, s[0:1], 0x18
	v_mov_b32_e32 v5, 0
	v_mov_b32_e32 v3, v5
	s_mov_b64 s[0:1], 0
	s_waitcnt lgkmcnt(0)
	v_lshl_add_u64 v[6:7], v[2:3], 1, s[8:9]
	v_lshl_add_u64 v[8:9], v[4:5], 1, s[8:9]
.LBB1265_3:                             ; =>This Inner Loop Header: Depth=1
	v_add_u32_e32 v3, v11, v1
	v_lshrrev_b32_e32 v16, 1, v3
	v_and_b32_e32 v4, -2, v3
	v_mov_b32_e32 v13, v5
	v_xad_u32 v12, v16, -1, v10
	v_lshl_add_u64 v[14:15], v[6:7], 0, v[4:5]
	v_lshl_add_u64 v[12:13], v[12:13], 1, v[8:9]
	global_load_ushort v3, v[14:15], off
	global_load_ushort v4, v[12:13], off
	v_add_u32_e32 v12, 1, v16
	s_waitcnt vmcnt(1)
	v_and_b32_e32 v3, s6, v3
	s_waitcnt vmcnt(0)
	v_and_b32_e32 v4, s6, v4
	v_cmp_gt_u16_e32 vcc, v3, v4
	s_nop 1
	v_cndmask_b32_e32 v11, v11, v16, vcc
	v_cndmask_b32_e32 v1, v12, v1, vcc
	v_cmp_ge_u32_e32 vcc, v1, v11
	s_or_b64 s[0:1], vcc, s[0:1]
	s_andn2_b64 exec, exec, s[0:1]
	s_cbranch_execnz .LBB1265_3
; %bb.4:
	s_or_b64 exec, exec, s[0:1]
.LBB1265_5:
	s_or_b64 exec, exec, s[4:5]
	v_add_u32_e32 v2, v1, v2
	v_mov_b32_e32 v1, 0
	v_lshl_add_u64 v[0:1], v[0:1], 2, s[2:3]
	global_store_dword v[0:1], v2, off
.LBB1265_6:
	s_endpgm
	.section	.rodata,"a",@progbits
	.p2align	6, 0x0
	.amdhsa_kernel _ZN7rocprim17ROCPRIM_400000_NS6detail17trampoline_kernelINS0_14default_configENS1_38merge_sort_block_merge_config_selectorItNS0_10empty_typeEEEZZNS1_27merge_sort_block_merge_implIS3_N6thrust23THRUST_200600_302600_NS6detail15normal_iteratorINS9_10device_ptrItEEEEPS5_jNS1_19radix_merge_compareILb0ELb1EtNS0_19identity_decomposerEEEEE10hipError_tT0_T1_T2_jT3_P12ihipStream_tbPNSt15iterator_traitsISK_E10value_typeEPNSQ_ISL_E10value_typeEPSM_NS1_7vsmem_tEENKUlT_SK_SL_SM_E_clIPtSE_SF_SF_EESJ_SZ_SK_SL_SM_EUlSZ_E_NS1_11comp_targetILNS1_3genE5ELNS1_11target_archE942ELNS1_3gpuE9ELNS1_3repE0EEENS1_48merge_mergepath_partition_config_static_selectorELNS0_4arch9wavefront6targetE1EEEvSL_
		.amdhsa_group_segment_fixed_size 0
		.amdhsa_private_segment_fixed_size 0
		.amdhsa_kernarg_size 40
		.amdhsa_user_sgpr_count 2
		.amdhsa_user_sgpr_dispatch_ptr 0
		.amdhsa_user_sgpr_queue_ptr 0
		.amdhsa_user_sgpr_kernarg_segment_ptr 1
		.amdhsa_user_sgpr_dispatch_id 0
		.amdhsa_user_sgpr_kernarg_preload_length 0
		.amdhsa_user_sgpr_kernarg_preload_offset 0
		.amdhsa_user_sgpr_private_segment_size 0
		.amdhsa_uses_dynamic_stack 0
		.amdhsa_enable_private_segment 0
		.amdhsa_system_sgpr_workgroup_id_x 1
		.amdhsa_system_sgpr_workgroup_id_y 0
		.amdhsa_system_sgpr_workgroup_id_z 0
		.amdhsa_system_sgpr_workgroup_info 0
		.amdhsa_system_vgpr_workitem_id 0
		.amdhsa_next_free_vgpr 17
		.amdhsa_next_free_sgpr 10
		.amdhsa_accum_offset 20
		.amdhsa_reserve_vcc 1
		.amdhsa_float_round_mode_32 0
		.amdhsa_float_round_mode_16_64 0
		.amdhsa_float_denorm_mode_32 3
		.amdhsa_float_denorm_mode_16_64 3
		.amdhsa_dx10_clamp 1
		.amdhsa_ieee_mode 1
		.amdhsa_fp16_overflow 0
		.amdhsa_tg_split 0
		.amdhsa_exception_fp_ieee_invalid_op 0
		.amdhsa_exception_fp_denorm_src 0
		.amdhsa_exception_fp_ieee_div_zero 0
		.amdhsa_exception_fp_ieee_overflow 0
		.amdhsa_exception_fp_ieee_underflow 0
		.amdhsa_exception_fp_ieee_inexact 0
		.amdhsa_exception_int_div_zero 0
	.end_amdhsa_kernel
	.section	.text._ZN7rocprim17ROCPRIM_400000_NS6detail17trampoline_kernelINS0_14default_configENS1_38merge_sort_block_merge_config_selectorItNS0_10empty_typeEEEZZNS1_27merge_sort_block_merge_implIS3_N6thrust23THRUST_200600_302600_NS6detail15normal_iteratorINS9_10device_ptrItEEEEPS5_jNS1_19radix_merge_compareILb0ELb1EtNS0_19identity_decomposerEEEEE10hipError_tT0_T1_T2_jT3_P12ihipStream_tbPNSt15iterator_traitsISK_E10value_typeEPNSQ_ISL_E10value_typeEPSM_NS1_7vsmem_tEENKUlT_SK_SL_SM_E_clIPtSE_SF_SF_EESJ_SZ_SK_SL_SM_EUlSZ_E_NS1_11comp_targetILNS1_3genE5ELNS1_11target_archE942ELNS1_3gpuE9ELNS1_3repE0EEENS1_48merge_mergepath_partition_config_static_selectorELNS0_4arch9wavefront6targetE1EEEvSL_,"axG",@progbits,_ZN7rocprim17ROCPRIM_400000_NS6detail17trampoline_kernelINS0_14default_configENS1_38merge_sort_block_merge_config_selectorItNS0_10empty_typeEEEZZNS1_27merge_sort_block_merge_implIS3_N6thrust23THRUST_200600_302600_NS6detail15normal_iteratorINS9_10device_ptrItEEEEPS5_jNS1_19radix_merge_compareILb0ELb1EtNS0_19identity_decomposerEEEEE10hipError_tT0_T1_T2_jT3_P12ihipStream_tbPNSt15iterator_traitsISK_E10value_typeEPNSQ_ISL_E10value_typeEPSM_NS1_7vsmem_tEENKUlT_SK_SL_SM_E_clIPtSE_SF_SF_EESJ_SZ_SK_SL_SM_EUlSZ_E_NS1_11comp_targetILNS1_3genE5ELNS1_11target_archE942ELNS1_3gpuE9ELNS1_3repE0EEENS1_48merge_mergepath_partition_config_static_selectorELNS0_4arch9wavefront6targetE1EEEvSL_,comdat
.Lfunc_end1265:
	.size	_ZN7rocprim17ROCPRIM_400000_NS6detail17trampoline_kernelINS0_14default_configENS1_38merge_sort_block_merge_config_selectorItNS0_10empty_typeEEEZZNS1_27merge_sort_block_merge_implIS3_N6thrust23THRUST_200600_302600_NS6detail15normal_iteratorINS9_10device_ptrItEEEEPS5_jNS1_19radix_merge_compareILb0ELb1EtNS0_19identity_decomposerEEEEE10hipError_tT0_T1_T2_jT3_P12ihipStream_tbPNSt15iterator_traitsISK_E10value_typeEPNSQ_ISL_E10value_typeEPSM_NS1_7vsmem_tEENKUlT_SK_SL_SM_E_clIPtSE_SF_SF_EESJ_SZ_SK_SL_SM_EUlSZ_E_NS1_11comp_targetILNS1_3genE5ELNS1_11target_archE942ELNS1_3gpuE9ELNS1_3repE0EEENS1_48merge_mergepath_partition_config_static_selectorELNS0_4arch9wavefront6targetE1EEEvSL_, .Lfunc_end1265-_ZN7rocprim17ROCPRIM_400000_NS6detail17trampoline_kernelINS0_14default_configENS1_38merge_sort_block_merge_config_selectorItNS0_10empty_typeEEEZZNS1_27merge_sort_block_merge_implIS3_N6thrust23THRUST_200600_302600_NS6detail15normal_iteratorINS9_10device_ptrItEEEEPS5_jNS1_19radix_merge_compareILb0ELb1EtNS0_19identity_decomposerEEEEE10hipError_tT0_T1_T2_jT3_P12ihipStream_tbPNSt15iterator_traitsISK_E10value_typeEPNSQ_ISL_E10value_typeEPSM_NS1_7vsmem_tEENKUlT_SK_SL_SM_E_clIPtSE_SF_SF_EESJ_SZ_SK_SL_SM_EUlSZ_E_NS1_11comp_targetILNS1_3genE5ELNS1_11target_archE942ELNS1_3gpuE9ELNS1_3repE0EEENS1_48merge_mergepath_partition_config_static_selectorELNS0_4arch9wavefront6targetE1EEEvSL_
                                        ; -- End function
	.section	.AMDGPU.csdata,"",@progbits
; Kernel info:
; codeLenInByte = 340
; NumSgprs: 16
; NumVgprs: 17
; NumAgprs: 0
; TotalNumVgprs: 17
; ScratchSize: 0
; MemoryBound: 0
; FloatMode: 240
; IeeeMode: 1
; LDSByteSize: 0 bytes/workgroup (compile time only)
; SGPRBlocks: 1
; VGPRBlocks: 2
; NumSGPRsForWavesPerEU: 16
; NumVGPRsForWavesPerEU: 17
; AccumOffset: 20
; Occupancy: 8
; WaveLimiterHint : 0
; COMPUTE_PGM_RSRC2:SCRATCH_EN: 0
; COMPUTE_PGM_RSRC2:USER_SGPR: 2
; COMPUTE_PGM_RSRC2:TRAP_HANDLER: 0
; COMPUTE_PGM_RSRC2:TGID_X_EN: 1
; COMPUTE_PGM_RSRC2:TGID_Y_EN: 0
; COMPUTE_PGM_RSRC2:TGID_Z_EN: 0
; COMPUTE_PGM_RSRC2:TIDIG_COMP_CNT: 0
; COMPUTE_PGM_RSRC3_GFX90A:ACCUM_OFFSET: 4
; COMPUTE_PGM_RSRC3_GFX90A:TG_SPLIT: 0
	.section	.text._ZN7rocprim17ROCPRIM_400000_NS6detail17trampoline_kernelINS0_14default_configENS1_38merge_sort_block_merge_config_selectorItNS0_10empty_typeEEEZZNS1_27merge_sort_block_merge_implIS3_N6thrust23THRUST_200600_302600_NS6detail15normal_iteratorINS9_10device_ptrItEEEEPS5_jNS1_19radix_merge_compareILb0ELb1EtNS0_19identity_decomposerEEEEE10hipError_tT0_T1_T2_jT3_P12ihipStream_tbPNSt15iterator_traitsISK_E10value_typeEPNSQ_ISL_E10value_typeEPSM_NS1_7vsmem_tEENKUlT_SK_SL_SM_E_clIPtSE_SF_SF_EESJ_SZ_SK_SL_SM_EUlSZ_E_NS1_11comp_targetILNS1_3genE4ELNS1_11target_archE910ELNS1_3gpuE8ELNS1_3repE0EEENS1_48merge_mergepath_partition_config_static_selectorELNS0_4arch9wavefront6targetE1EEEvSL_,"axG",@progbits,_ZN7rocprim17ROCPRIM_400000_NS6detail17trampoline_kernelINS0_14default_configENS1_38merge_sort_block_merge_config_selectorItNS0_10empty_typeEEEZZNS1_27merge_sort_block_merge_implIS3_N6thrust23THRUST_200600_302600_NS6detail15normal_iteratorINS9_10device_ptrItEEEEPS5_jNS1_19radix_merge_compareILb0ELb1EtNS0_19identity_decomposerEEEEE10hipError_tT0_T1_T2_jT3_P12ihipStream_tbPNSt15iterator_traitsISK_E10value_typeEPNSQ_ISL_E10value_typeEPSM_NS1_7vsmem_tEENKUlT_SK_SL_SM_E_clIPtSE_SF_SF_EESJ_SZ_SK_SL_SM_EUlSZ_E_NS1_11comp_targetILNS1_3genE4ELNS1_11target_archE910ELNS1_3gpuE8ELNS1_3repE0EEENS1_48merge_mergepath_partition_config_static_selectorELNS0_4arch9wavefront6targetE1EEEvSL_,comdat
	.protected	_ZN7rocprim17ROCPRIM_400000_NS6detail17trampoline_kernelINS0_14default_configENS1_38merge_sort_block_merge_config_selectorItNS0_10empty_typeEEEZZNS1_27merge_sort_block_merge_implIS3_N6thrust23THRUST_200600_302600_NS6detail15normal_iteratorINS9_10device_ptrItEEEEPS5_jNS1_19radix_merge_compareILb0ELb1EtNS0_19identity_decomposerEEEEE10hipError_tT0_T1_T2_jT3_P12ihipStream_tbPNSt15iterator_traitsISK_E10value_typeEPNSQ_ISL_E10value_typeEPSM_NS1_7vsmem_tEENKUlT_SK_SL_SM_E_clIPtSE_SF_SF_EESJ_SZ_SK_SL_SM_EUlSZ_E_NS1_11comp_targetILNS1_3genE4ELNS1_11target_archE910ELNS1_3gpuE8ELNS1_3repE0EEENS1_48merge_mergepath_partition_config_static_selectorELNS0_4arch9wavefront6targetE1EEEvSL_ ; -- Begin function _ZN7rocprim17ROCPRIM_400000_NS6detail17trampoline_kernelINS0_14default_configENS1_38merge_sort_block_merge_config_selectorItNS0_10empty_typeEEEZZNS1_27merge_sort_block_merge_implIS3_N6thrust23THRUST_200600_302600_NS6detail15normal_iteratorINS9_10device_ptrItEEEEPS5_jNS1_19radix_merge_compareILb0ELb1EtNS0_19identity_decomposerEEEEE10hipError_tT0_T1_T2_jT3_P12ihipStream_tbPNSt15iterator_traitsISK_E10value_typeEPNSQ_ISL_E10value_typeEPSM_NS1_7vsmem_tEENKUlT_SK_SL_SM_E_clIPtSE_SF_SF_EESJ_SZ_SK_SL_SM_EUlSZ_E_NS1_11comp_targetILNS1_3genE4ELNS1_11target_archE910ELNS1_3gpuE8ELNS1_3repE0EEENS1_48merge_mergepath_partition_config_static_selectorELNS0_4arch9wavefront6targetE1EEEvSL_
	.globl	_ZN7rocprim17ROCPRIM_400000_NS6detail17trampoline_kernelINS0_14default_configENS1_38merge_sort_block_merge_config_selectorItNS0_10empty_typeEEEZZNS1_27merge_sort_block_merge_implIS3_N6thrust23THRUST_200600_302600_NS6detail15normal_iteratorINS9_10device_ptrItEEEEPS5_jNS1_19radix_merge_compareILb0ELb1EtNS0_19identity_decomposerEEEEE10hipError_tT0_T1_T2_jT3_P12ihipStream_tbPNSt15iterator_traitsISK_E10value_typeEPNSQ_ISL_E10value_typeEPSM_NS1_7vsmem_tEENKUlT_SK_SL_SM_E_clIPtSE_SF_SF_EESJ_SZ_SK_SL_SM_EUlSZ_E_NS1_11comp_targetILNS1_3genE4ELNS1_11target_archE910ELNS1_3gpuE8ELNS1_3repE0EEENS1_48merge_mergepath_partition_config_static_selectorELNS0_4arch9wavefront6targetE1EEEvSL_
	.p2align	8
	.type	_ZN7rocprim17ROCPRIM_400000_NS6detail17trampoline_kernelINS0_14default_configENS1_38merge_sort_block_merge_config_selectorItNS0_10empty_typeEEEZZNS1_27merge_sort_block_merge_implIS3_N6thrust23THRUST_200600_302600_NS6detail15normal_iteratorINS9_10device_ptrItEEEEPS5_jNS1_19radix_merge_compareILb0ELb1EtNS0_19identity_decomposerEEEEE10hipError_tT0_T1_T2_jT3_P12ihipStream_tbPNSt15iterator_traitsISK_E10value_typeEPNSQ_ISL_E10value_typeEPSM_NS1_7vsmem_tEENKUlT_SK_SL_SM_E_clIPtSE_SF_SF_EESJ_SZ_SK_SL_SM_EUlSZ_E_NS1_11comp_targetILNS1_3genE4ELNS1_11target_archE910ELNS1_3gpuE8ELNS1_3repE0EEENS1_48merge_mergepath_partition_config_static_selectorELNS0_4arch9wavefront6targetE1EEEvSL_,@function
_ZN7rocprim17ROCPRIM_400000_NS6detail17trampoline_kernelINS0_14default_configENS1_38merge_sort_block_merge_config_selectorItNS0_10empty_typeEEEZZNS1_27merge_sort_block_merge_implIS3_N6thrust23THRUST_200600_302600_NS6detail15normal_iteratorINS9_10device_ptrItEEEEPS5_jNS1_19radix_merge_compareILb0ELb1EtNS0_19identity_decomposerEEEEE10hipError_tT0_T1_T2_jT3_P12ihipStream_tbPNSt15iterator_traitsISK_E10value_typeEPNSQ_ISL_E10value_typeEPSM_NS1_7vsmem_tEENKUlT_SK_SL_SM_E_clIPtSE_SF_SF_EESJ_SZ_SK_SL_SM_EUlSZ_E_NS1_11comp_targetILNS1_3genE4ELNS1_11target_archE910ELNS1_3gpuE8ELNS1_3repE0EEENS1_48merge_mergepath_partition_config_static_selectorELNS0_4arch9wavefront6targetE1EEEvSL_: ; @_ZN7rocprim17ROCPRIM_400000_NS6detail17trampoline_kernelINS0_14default_configENS1_38merge_sort_block_merge_config_selectorItNS0_10empty_typeEEEZZNS1_27merge_sort_block_merge_implIS3_N6thrust23THRUST_200600_302600_NS6detail15normal_iteratorINS9_10device_ptrItEEEEPS5_jNS1_19radix_merge_compareILb0ELb1EtNS0_19identity_decomposerEEEEE10hipError_tT0_T1_T2_jT3_P12ihipStream_tbPNSt15iterator_traitsISK_E10value_typeEPNSQ_ISL_E10value_typeEPSM_NS1_7vsmem_tEENKUlT_SK_SL_SM_E_clIPtSE_SF_SF_EESJ_SZ_SK_SL_SM_EUlSZ_E_NS1_11comp_targetILNS1_3genE4ELNS1_11target_archE910ELNS1_3gpuE8ELNS1_3repE0EEENS1_48merge_mergepath_partition_config_static_selectorELNS0_4arch9wavefront6targetE1EEEvSL_
; %bb.0:
	.section	.rodata,"a",@progbits
	.p2align	6, 0x0
	.amdhsa_kernel _ZN7rocprim17ROCPRIM_400000_NS6detail17trampoline_kernelINS0_14default_configENS1_38merge_sort_block_merge_config_selectorItNS0_10empty_typeEEEZZNS1_27merge_sort_block_merge_implIS3_N6thrust23THRUST_200600_302600_NS6detail15normal_iteratorINS9_10device_ptrItEEEEPS5_jNS1_19radix_merge_compareILb0ELb1EtNS0_19identity_decomposerEEEEE10hipError_tT0_T1_T2_jT3_P12ihipStream_tbPNSt15iterator_traitsISK_E10value_typeEPNSQ_ISL_E10value_typeEPSM_NS1_7vsmem_tEENKUlT_SK_SL_SM_E_clIPtSE_SF_SF_EESJ_SZ_SK_SL_SM_EUlSZ_E_NS1_11comp_targetILNS1_3genE4ELNS1_11target_archE910ELNS1_3gpuE8ELNS1_3repE0EEENS1_48merge_mergepath_partition_config_static_selectorELNS0_4arch9wavefront6targetE1EEEvSL_
		.amdhsa_group_segment_fixed_size 0
		.amdhsa_private_segment_fixed_size 0
		.amdhsa_kernarg_size 40
		.amdhsa_user_sgpr_count 2
		.amdhsa_user_sgpr_dispatch_ptr 0
		.amdhsa_user_sgpr_queue_ptr 0
		.amdhsa_user_sgpr_kernarg_segment_ptr 1
		.amdhsa_user_sgpr_dispatch_id 0
		.amdhsa_user_sgpr_kernarg_preload_length 0
		.amdhsa_user_sgpr_kernarg_preload_offset 0
		.amdhsa_user_sgpr_private_segment_size 0
		.amdhsa_uses_dynamic_stack 0
		.amdhsa_enable_private_segment 0
		.amdhsa_system_sgpr_workgroup_id_x 1
		.amdhsa_system_sgpr_workgroup_id_y 0
		.amdhsa_system_sgpr_workgroup_id_z 0
		.amdhsa_system_sgpr_workgroup_info 0
		.amdhsa_system_vgpr_workitem_id 0
		.amdhsa_next_free_vgpr 1
		.amdhsa_next_free_sgpr 0
		.amdhsa_accum_offset 4
		.amdhsa_reserve_vcc 0
		.amdhsa_float_round_mode_32 0
		.amdhsa_float_round_mode_16_64 0
		.amdhsa_float_denorm_mode_32 3
		.amdhsa_float_denorm_mode_16_64 3
		.amdhsa_dx10_clamp 1
		.amdhsa_ieee_mode 1
		.amdhsa_fp16_overflow 0
		.amdhsa_tg_split 0
		.amdhsa_exception_fp_ieee_invalid_op 0
		.amdhsa_exception_fp_denorm_src 0
		.amdhsa_exception_fp_ieee_div_zero 0
		.amdhsa_exception_fp_ieee_overflow 0
		.amdhsa_exception_fp_ieee_underflow 0
		.amdhsa_exception_fp_ieee_inexact 0
		.amdhsa_exception_int_div_zero 0
	.end_amdhsa_kernel
	.section	.text._ZN7rocprim17ROCPRIM_400000_NS6detail17trampoline_kernelINS0_14default_configENS1_38merge_sort_block_merge_config_selectorItNS0_10empty_typeEEEZZNS1_27merge_sort_block_merge_implIS3_N6thrust23THRUST_200600_302600_NS6detail15normal_iteratorINS9_10device_ptrItEEEEPS5_jNS1_19radix_merge_compareILb0ELb1EtNS0_19identity_decomposerEEEEE10hipError_tT0_T1_T2_jT3_P12ihipStream_tbPNSt15iterator_traitsISK_E10value_typeEPNSQ_ISL_E10value_typeEPSM_NS1_7vsmem_tEENKUlT_SK_SL_SM_E_clIPtSE_SF_SF_EESJ_SZ_SK_SL_SM_EUlSZ_E_NS1_11comp_targetILNS1_3genE4ELNS1_11target_archE910ELNS1_3gpuE8ELNS1_3repE0EEENS1_48merge_mergepath_partition_config_static_selectorELNS0_4arch9wavefront6targetE1EEEvSL_,"axG",@progbits,_ZN7rocprim17ROCPRIM_400000_NS6detail17trampoline_kernelINS0_14default_configENS1_38merge_sort_block_merge_config_selectorItNS0_10empty_typeEEEZZNS1_27merge_sort_block_merge_implIS3_N6thrust23THRUST_200600_302600_NS6detail15normal_iteratorINS9_10device_ptrItEEEEPS5_jNS1_19radix_merge_compareILb0ELb1EtNS0_19identity_decomposerEEEEE10hipError_tT0_T1_T2_jT3_P12ihipStream_tbPNSt15iterator_traitsISK_E10value_typeEPNSQ_ISL_E10value_typeEPSM_NS1_7vsmem_tEENKUlT_SK_SL_SM_E_clIPtSE_SF_SF_EESJ_SZ_SK_SL_SM_EUlSZ_E_NS1_11comp_targetILNS1_3genE4ELNS1_11target_archE910ELNS1_3gpuE8ELNS1_3repE0EEENS1_48merge_mergepath_partition_config_static_selectorELNS0_4arch9wavefront6targetE1EEEvSL_,comdat
.Lfunc_end1266:
	.size	_ZN7rocprim17ROCPRIM_400000_NS6detail17trampoline_kernelINS0_14default_configENS1_38merge_sort_block_merge_config_selectorItNS0_10empty_typeEEEZZNS1_27merge_sort_block_merge_implIS3_N6thrust23THRUST_200600_302600_NS6detail15normal_iteratorINS9_10device_ptrItEEEEPS5_jNS1_19radix_merge_compareILb0ELb1EtNS0_19identity_decomposerEEEEE10hipError_tT0_T1_T2_jT3_P12ihipStream_tbPNSt15iterator_traitsISK_E10value_typeEPNSQ_ISL_E10value_typeEPSM_NS1_7vsmem_tEENKUlT_SK_SL_SM_E_clIPtSE_SF_SF_EESJ_SZ_SK_SL_SM_EUlSZ_E_NS1_11comp_targetILNS1_3genE4ELNS1_11target_archE910ELNS1_3gpuE8ELNS1_3repE0EEENS1_48merge_mergepath_partition_config_static_selectorELNS0_4arch9wavefront6targetE1EEEvSL_, .Lfunc_end1266-_ZN7rocprim17ROCPRIM_400000_NS6detail17trampoline_kernelINS0_14default_configENS1_38merge_sort_block_merge_config_selectorItNS0_10empty_typeEEEZZNS1_27merge_sort_block_merge_implIS3_N6thrust23THRUST_200600_302600_NS6detail15normal_iteratorINS9_10device_ptrItEEEEPS5_jNS1_19radix_merge_compareILb0ELb1EtNS0_19identity_decomposerEEEEE10hipError_tT0_T1_T2_jT3_P12ihipStream_tbPNSt15iterator_traitsISK_E10value_typeEPNSQ_ISL_E10value_typeEPSM_NS1_7vsmem_tEENKUlT_SK_SL_SM_E_clIPtSE_SF_SF_EESJ_SZ_SK_SL_SM_EUlSZ_E_NS1_11comp_targetILNS1_3genE4ELNS1_11target_archE910ELNS1_3gpuE8ELNS1_3repE0EEENS1_48merge_mergepath_partition_config_static_selectorELNS0_4arch9wavefront6targetE1EEEvSL_
                                        ; -- End function
	.section	.AMDGPU.csdata,"",@progbits
; Kernel info:
; codeLenInByte = 0
; NumSgprs: 6
; NumVgprs: 0
; NumAgprs: 0
; TotalNumVgprs: 0
; ScratchSize: 0
; MemoryBound: 0
; FloatMode: 240
; IeeeMode: 1
; LDSByteSize: 0 bytes/workgroup (compile time only)
; SGPRBlocks: 0
; VGPRBlocks: 0
; NumSGPRsForWavesPerEU: 6
; NumVGPRsForWavesPerEU: 1
; AccumOffset: 4
; Occupancy: 8
; WaveLimiterHint : 0
; COMPUTE_PGM_RSRC2:SCRATCH_EN: 0
; COMPUTE_PGM_RSRC2:USER_SGPR: 2
; COMPUTE_PGM_RSRC2:TRAP_HANDLER: 0
; COMPUTE_PGM_RSRC2:TGID_X_EN: 1
; COMPUTE_PGM_RSRC2:TGID_Y_EN: 0
; COMPUTE_PGM_RSRC2:TGID_Z_EN: 0
; COMPUTE_PGM_RSRC2:TIDIG_COMP_CNT: 0
; COMPUTE_PGM_RSRC3_GFX90A:ACCUM_OFFSET: 0
; COMPUTE_PGM_RSRC3_GFX90A:TG_SPLIT: 0
	.section	.text._ZN7rocprim17ROCPRIM_400000_NS6detail17trampoline_kernelINS0_14default_configENS1_38merge_sort_block_merge_config_selectorItNS0_10empty_typeEEEZZNS1_27merge_sort_block_merge_implIS3_N6thrust23THRUST_200600_302600_NS6detail15normal_iteratorINS9_10device_ptrItEEEEPS5_jNS1_19radix_merge_compareILb0ELb1EtNS0_19identity_decomposerEEEEE10hipError_tT0_T1_T2_jT3_P12ihipStream_tbPNSt15iterator_traitsISK_E10value_typeEPNSQ_ISL_E10value_typeEPSM_NS1_7vsmem_tEENKUlT_SK_SL_SM_E_clIPtSE_SF_SF_EESJ_SZ_SK_SL_SM_EUlSZ_E_NS1_11comp_targetILNS1_3genE3ELNS1_11target_archE908ELNS1_3gpuE7ELNS1_3repE0EEENS1_48merge_mergepath_partition_config_static_selectorELNS0_4arch9wavefront6targetE1EEEvSL_,"axG",@progbits,_ZN7rocprim17ROCPRIM_400000_NS6detail17trampoline_kernelINS0_14default_configENS1_38merge_sort_block_merge_config_selectorItNS0_10empty_typeEEEZZNS1_27merge_sort_block_merge_implIS3_N6thrust23THRUST_200600_302600_NS6detail15normal_iteratorINS9_10device_ptrItEEEEPS5_jNS1_19radix_merge_compareILb0ELb1EtNS0_19identity_decomposerEEEEE10hipError_tT0_T1_T2_jT3_P12ihipStream_tbPNSt15iterator_traitsISK_E10value_typeEPNSQ_ISL_E10value_typeEPSM_NS1_7vsmem_tEENKUlT_SK_SL_SM_E_clIPtSE_SF_SF_EESJ_SZ_SK_SL_SM_EUlSZ_E_NS1_11comp_targetILNS1_3genE3ELNS1_11target_archE908ELNS1_3gpuE7ELNS1_3repE0EEENS1_48merge_mergepath_partition_config_static_selectorELNS0_4arch9wavefront6targetE1EEEvSL_,comdat
	.protected	_ZN7rocprim17ROCPRIM_400000_NS6detail17trampoline_kernelINS0_14default_configENS1_38merge_sort_block_merge_config_selectorItNS0_10empty_typeEEEZZNS1_27merge_sort_block_merge_implIS3_N6thrust23THRUST_200600_302600_NS6detail15normal_iteratorINS9_10device_ptrItEEEEPS5_jNS1_19radix_merge_compareILb0ELb1EtNS0_19identity_decomposerEEEEE10hipError_tT0_T1_T2_jT3_P12ihipStream_tbPNSt15iterator_traitsISK_E10value_typeEPNSQ_ISL_E10value_typeEPSM_NS1_7vsmem_tEENKUlT_SK_SL_SM_E_clIPtSE_SF_SF_EESJ_SZ_SK_SL_SM_EUlSZ_E_NS1_11comp_targetILNS1_3genE3ELNS1_11target_archE908ELNS1_3gpuE7ELNS1_3repE0EEENS1_48merge_mergepath_partition_config_static_selectorELNS0_4arch9wavefront6targetE1EEEvSL_ ; -- Begin function _ZN7rocprim17ROCPRIM_400000_NS6detail17trampoline_kernelINS0_14default_configENS1_38merge_sort_block_merge_config_selectorItNS0_10empty_typeEEEZZNS1_27merge_sort_block_merge_implIS3_N6thrust23THRUST_200600_302600_NS6detail15normal_iteratorINS9_10device_ptrItEEEEPS5_jNS1_19radix_merge_compareILb0ELb1EtNS0_19identity_decomposerEEEEE10hipError_tT0_T1_T2_jT3_P12ihipStream_tbPNSt15iterator_traitsISK_E10value_typeEPNSQ_ISL_E10value_typeEPSM_NS1_7vsmem_tEENKUlT_SK_SL_SM_E_clIPtSE_SF_SF_EESJ_SZ_SK_SL_SM_EUlSZ_E_NS1_11comp_targetILNS1_3genE3ELNS1_11target_archE908ELNS1_3gpuE7ELNS1_3repE0EEENS1_48merge_mergepath_partition_config_static_selectorELNS0_4arch9wavefront6targetE1EEEvSL_
	.globl	_ZN7rocprim17ROCPRIM_400000_NS6detail17trampoline_kernelINS0_14default_configENS1_38merge_sort_block_merge_config_selectorItNS0_10empty_typeEEEZZNS1_27merge_sort_block_merge_implIS3_N6thrust23THRUST_200600_302600_NS6detail15normal_iteratorINS9_10device_ptrItEEEEPS5_jNS1_19radix_merge_compareILb0ELb1EtNS0_19identity_decomposerEEEEE10hipError_tT0_T1_T2_jT3_P12ihipStream_tbPNSt15iterator_traitsISK_E10value_typeEPNSQ_ISL_E10value_typeEPSM_NS1_7vsmem_tEENKUlT_SK_SL_SM_E_clIPtSE_SF_SF_EESJ_SZ_SK_SL_SM_EUlSZ_E_NS1_11comp_targetILNS1_3genE3ELNS1_11target_archE908ELNS1_3gpuE7ELNS1_3repE0EEENS1_48merge_mergepath_partition_config_static_selectorELNS0_4arch9wavefront6targetE1EEEvSL_
	.p2align	8
	.type	_ZN7rocprim17ROCPRIM_400000_NS6detail17trampoline_kernelINS0_14default_configENS1_38merge_sort_block_merge_config_selectorItNS0_10empty_typeEEEZZNS1_27merge_sort_block_merge_implIS3_N6thrust23THRUST_200600_302600_NS6detail15normal_iteratorINS9_10device_ptrItEEEEPS5_jNS1_19radix_merge_compareILb0ELb1EtNS0_19identity_decomposerEEEEE10hipError_tT0_T1_T2_jT3_P12ihipStream_tbPNSt15iterator_traitsISK_E10value_typeEPNSQ_ISL_E10value_typeEPSM_NS1_7vsmem_tEENKUlT_SK_SL_SM_E_clIPtSE_SF_SF_EESJ_SZ_SK_SL_SM_EUlSZ_E_NS1_11comp_targetILNS1_3genE3ELNS1_11target_archE908ELNS1_3gpuE7ELNS1_3repE0EEENS1_48merge_mergepath_partition_config_static_selectorELNS0_4arch9wavefront6targetE1EEEvSL_,@function
_ZN7rocprim17ROCPRIM_400000_NS6detail17trampoline_kernelINS0_14default_configENS1_38merge_sort_block_merge_config_selectorItNS0_10empty_typeEEEZZNS1_27merge_sort_block_merge_implIS3_N6thrust23THRUST_200600_302600_NS6detail15normal_iteratorINS9_10device_ptrItEEEEPS5_jNS1_19radix_merge_compareILb0ELb1EtNS0_19identity_decomposerEEEEE10hipError_tT0_T1_T2_jT3_P12ihipStream_tbPNSt15iterator_traitsISK_E10value_typeEPNSQ_ISL_E10value_typeEPSM_NS1_7vsmem_tEENKUlT_SK_SL_SM_E_clIPtSE_SF_SF_EESJ_SZ_SK_SL_SM_EUlSZ_E_NS1_11comp_targetILNS1_3genE3ELNS1_11target_archE908ELNS1_3gpuE7ELNS1_3repE0EEENS1_48merge_mergepath_partition_config_static_selectorELNS0_4arch9wavefront6targetE1EEEvSL_: ; @_ZN7rocprim17ROCPRIM_400000_NS6detail17trampoline_kernelINS0_14default_configENS1_38merge_sort_block_merge_config_selectorItNS0_10empty_typeEEEZZNS1_27merge_sort_block_merge_implIS3_N6thrust23THRUST_200600_302600_NS6detail15normal_iteratorINS9_10device_ptrItEEEEPS5_jNS1_19radix_merge_compareILb0ELb1EtNS0_19identity_decomposerEEEEE10hipError_tT0_T1_T2_jT3_P12ihipStream_tbPNSt15iterator_traitsISK_E10value_typeEPNSQ_ISL_E10value_typeEPSM_NS1_7vsmem_tEENKUlT_SK_SL_SM_E_clIPtSE_SF_SF_EESJ_SZ_SK_SL_SM_EUlSZ_E_NS1_11comp_targetILNS1_3genE3ELNS1_11target_archE908ELNS1_3gpuE7ELNS1_3repE0EEENS1_48merge_mergepath_partition_config_static_selectorELNS0_4arch9wavefront6targetE1EEEvSL_
; %bb.0:
	.section	.rodata,"a",@progbits
	.p2align	6, 0x0
	.amdhsa_kernel _ZN7rocprim17ROCPRIM_400000_NS6detail17trampoline_kernelINS0_14default_configENS1_38merge_sort_block_merge_config_selectorItNS0_10empty_typeEEEZZNS1_27merge_sort_block_merge_implIS3_N6thrust23THRUST_200600_302600_NS6detail15normal_iteratorINS9_10device_ptrItEEEEPS5_jNS1_19radix_merge_compareILb0ELb1EtNS0_19identity_decomposerEEEEE10hipError_tT0_T1_T2_jT3_P12ihipStream_tbPNSt15iterator_traitsISK_E10value_typeEPNSQ_ISL_E10value_typeEPSM_NS1_7vsmem_tEENKUlT_SK_SL_SM_E_clIPtSE_SF_SF_EESJ_SZ_SK_SL_SM_EUlSZ_E_NS1_11comp_targetILNS1_3genE3ELNS1_11target_archE908ELNS1_3gpuE7ELNS1_3repE0EEENS1_48merge_mergepath_partition_config_static_selectorELNS0_4arch9wavefront6targetE1EEEvSL_
		.amdhsa_group_segment_fixed_size 0
		.amdhsa_private_segment_fixed_size 0
		.amdhsa_kernarg_size 40
		.amdhsa_user_sgpr_count 2
		.amdhsa_user_sgpr_dispatch_ptr 0
		.amdhsa_user_sgpr_queue_ptr 0
		.amdhsa_user_sgpr_kernarg_segment_ptr 1
		.amdhsa_user_sgpr_dispatch_id 0
		.amdhsa_user_sgpr_kernarg_preload_length 0
		.amdhsa_user_sgpr_kernarg_preload_offset 0
		.amdhsa_user_sgpr_private_segment_size 0
		.amdhsa_uses_dynamic_stack 0
		.amdhsa_enable_private_segment 0
		.amdhsa_system_sgpr_workgroup_id_x 1
		.amdhsa_system_sgpr_workgroup_id_y 0
		.amdhsa_system_sgpr_workgroup_id_z 0
		.amdhsa_system_sgpr_workgroup_info 0
		.amdhsa_system_vgpr_workitem_id 0
		.amdhsa_next_free_vgpr 1
		.amdhsa_next_free_sgpr 0
		.amdhsa_accum_offset 4
		.amdhsa_reserve_vcc 0
		.amdhsa_float_round_mode_32 0
		.amdhsa_float_round_mode_16_64 0
		.amdhsa_float_denorm_mode_32 3
		.amdhsa_float_denorm_mode_16_64 3
		.amdhsa_dx10_clamp 1
		.amdhsa_ieee_mode 1
		.amdhsa_fp16_overflow 0
		.amdhsa_tg_split 0
		.amdhsa_exception_fp_ieee_invalid_op 0
		.amdhsa_exception_fp_denorm_src 0
		.amdhsa_exception_fp_ieee_div_zero 0
		.amdhsa_exception_fp_ieee_overflow 0
		.amdhsa_exception_fp_ieee_underflow 0
		.amdhsa_exception_fp_ieee_inexact 0
		.amdhsa_exception_int_div_zero 0
	.end_amdhsa_kernel
	.section	.text._ZN7rocprim17ROCPRIM_400000_NS6detail17trampoline_kernelINS0_14default_configENS1_38merge_sort_block_merge_config_selectorItNS0_10empty_typeEEEZZNS1_27merge_sort_block_merge_implIS3_N6thrust23THRUST_200600_302600_NS6detail15normal_iteratorINS9_10device_ptrItEEEEPS5_jNS1_19radix_merge_compareILb0ELb1EtNS0_19identity_decomposerEEEEE10hipError_tT0_T1_T2_jT3_P12ihipStream_tbPNSt15iterator_traitsISK_E10value_typeEPNSQ_ISL_E10value_typeEPSM_NS1_7vsmem_tEENKUlT_SK_SL_SM_E_clIPtSE_SF_SF_EESJ_SZ_SK_SL_SM_EUlSZ_E_NS1_11comp_targetILNS1_3genE3ELNS1_11target_archE908ELNS1_3gpuE7ELNS1_3repE0EEENS1_48merge_mergepath_partition_config_static_selectorELNS0_4arch9wavefront6targetE1EEEvSL_,"axG",@progbits,_ZN7rocprim17ROCPRIM_400000_NS6detail17trampoline_kernelINS0_14default_configENS1_38merge_sort_block_merge_config_selectorItNS0_10empty_typeEEEZZNS1_27merge_sort_block_merge_implIS3_N6thrust23THRUST_200600_302600_NS6detail15normal_iteratorINS9_10device_ptrItEEEEPS5_jNS1_19radix_merge_compareILb0ELb1EtNS0_19identity_decomposerEEEEE10hipError_tT0_T1_T2_jT3_P12ihipStream_tbPNSt15iterator_traitsISK_E10value_typeEPNSQ_ISL_E10value_typeEPSM_NS1_7vsmem_tEENKUlT_SK_SL_SM_E_clIPtSE_SF_SF_EESJ_SZ_SK_SL_SM_EUlSZ_E_NS1_11comp_targetILNS1_3genE3ELNS1_11target_archE908ELNS1_3gpuE7ELNS1_3repE0EEENS1_48merge_mergepath_partition_config_static_selectorELNS0_4arch9wavefront6targetE1EEEvSL_,comdat
.Lfunc_end1267:
	.size	_ZN7rocprim17ROCPRIM_400000_NS6detail17trampoline_kernelINS0_14default_configENS1_38merge_sort_block_merge_config_selectorItNS0_10empty_typeEEEZZNS1_27merge_sort_block_merge_implIS3_N6thrust23THRUST_200600_302600_NS6detail15normal_iteratorINS9_10device_ptrItEEEEPS5_jNS1_19radix_merge_compareILb0ELb1EtNS0_19identity_decomposerEEEEE10hipError_tT0_T1_T2_jT3_P12ihipStream_tbPNSt15iterator_traitsISK_E10value_typeEPNSQ_ISL_E10value_typeEPSM_NS1_7vsmem_tEENKUlT_SK_SL_SM_E_clIPtSE_SF_SF_EESJ_SZ_SK_SL_SM_EUlSZ_E_NS1_11comp_targetILNS1_3genE3ELNS1_11target_archE908ELNS1_3gpuE7ELNS1_3repE0EEENS1_48merge_mergepath_partition_config_static_selectorELNS0_4arch9wavefront6targetE1EEEvSL_, .Lfunc_end1267-_ZN7rocprim17ROCPRIM_400000_NS6detail17trampoline_kernelINS0_14default_configENS1_38merge_sort_block_merge_config_selectorItNS0_10empty_typeEEEZZNS1_27merge_sort_block_merge_implIS3_N6thrust23THRUST_200600_302600_NS6detail15normal_iteratorINS9_10device_ptrItEEEEPS5_jNS1_19radix_merge_compareILb0ELb1EtNS0_19identity_decomposerEEEEE10hipError_tT0_T1_T2_jT3_P12ihipStream_tbPNSt15iterator_traitsISK_E10value_typeEPNSQ_ISL_E10value_typeEPSM_NS1_7vsmem_tEENKUlT_SK_SL_SM_E_clIPtSE_SF_SF_EESJ_SZ_SK_SL_SM_EUlSZ_E_NS1_11comp_targetILNS1_3genE3ELNS1_11target_archE908ELNS1_3gpuE7ELNS1_3repE0EEENS1_48merge_mergepath_partition_config_static_selectorELNS0_4arch9wavefront6targetE1EEEvSL_
                                        ; -- End function
	.section	.AMDGPU.csdata,"",@progbits
; Kernel info:
; codeLenInByte = 0
; NumSgprs: 6
; NumVgprs: 0
; NumAgprs: 0
; TotalNumVgprs: 0
; ScratchSize: 0
; MemoryBound: 0
; FloatMode: 240
; IeeeMode: 1
; LDSByteSize: 0 bytes/workgroup (compile time only)
; SGPRBlocks: 0
; VGPRBlocks: 0
; NumSGPRsForWavesPerEU: 6
; NumVGPRsForWavesPerEU: 1
; AccumOffset: 4
; Occupancy: 8
; WaveLimiterHint : 0
; COMPUTE_PGM_RSRC2:SCRATCH_EN: 0
; COMPUTE_PGM_RSRC2:USER_SGPR: 2
; COMPUTE_PGM_RSRC2:TRAP_HANDLER: 0
; COMPUTE_PGM_RSRC2:TGID_X_EN: 1
; COMPUTE_PGM_RSRC2:TGID_Y_EN: 0
; COMPUTE_PGM_RSRC2:TGID_Z_EN: 0
; COMPUTE_PGM_RSRC2:TIDIG_COMP_CNT: 0
; COMPUTE_PGM_RSRC3_GFX90A:ACCUM_OFFSET: 0
; COMPUTE_PGM_RSRC3_GFX90A:TG_SPLIT: 0
	.section	.text._ZN7rocprim17ROCPRIM_400000_NS6detail17trampoline_kernelINS0_14default_configENS1_38merge_sort_block_merge_config_selectorItNS0_10empty_typeEEEZZNS1_27merge_sort_block_merge_implIS3_N6thrust23THRUST_200600_302600_NS6detail15normal_iteratorINS9_10device_ptrItEEEEPS5_jNS1_19radix_merge_compareILb0ELb1EtNS0_19identity_decomposerEEEEE10hipError_tT0_T1_T2_jT3_P12ihipStream_tbPNSt15iterator_traitsISK_E10value_typeEPNSQ_ISL_E10value_typeEPSM_NS1_7vsmem_tEENKUlT_SK_SL_SM_E_clIPtSE_SF_SF_EESJ_SZ_SK_SL_SM_EUlSZ_E_NS1_11comp_targetILNS1_3genE2ELNS1_11target_archE906ELNS1_3gpuE6ELNS1_3repE0EEENS1_48merge_mergepath_partition_config_static_selectorELNS0_4arch9wavefront6targetE1EEEvSL_,"axG",@progbits,_ZN7rocprim17ROCPRIM_400000_NS6detail17trampoline_kernelINS0_14default_configENS1_38merge_sort_block_merge_config_selectorItNS0_10empty_typeEEEZZNS1_27merge_sort_block_merge_implIS3_N6thrust23THRUST_200600_302600_NS6detail15normal_iteratorINS9_10device_ptrItEEEEPS5_jNS1_19radix_merge_compareILb0ELb1EtNS0_19identity_decomposerEEEEE10hipError_tT0_T1_T2_jT3_P12ihipStream_tbPNSt15iterator_traitsISK_E10value_typeEPNSQ_ISL_E10value_typeEPSM_NS1_7vsmem_tEENKUlT_SK_SL_SM_E_clIPtSE_SF_SF_EESJ_SZ_SK_SL_SM_EUlSZ_E_NS1_11comp_targetILNS1_3genE2ELNS1_11target_archE906ELNS1_3gpuE6ELNS1_3repE0EEENS1_48merge_mergepath_partition_config_static_selectorELNS0_4arch9wavefront6targetE1EEEvSL_,comdat
	.protected	_ZN7rocprim17ROCPRIM_400000_NS6detail17trampoline_kernelINS0_14default_configENS1_38merge_sort_block_merge_config_selectorItNS0_10empty_typeEEEZZNS1_27merge_sort_block_merge_implIS3_N6thrust23THRUST_200600_302600_NS6detail15normal_iteratorINS9_10device_ptrItEEEEPS5_jNS1_19radix_merge_compareILb0ELb1EtNS0_19identity_decomposerEEEEE10hipError_tT0_T1_T2_jT3_P12ihipStream_tbPNSt15iterator_traitsISK_E10value_typeEPNSQ_ISL_E10value_typeEPSM_NS1_7vsmem_tEENKUlT_SK_SL_SM_E_clIPtSE_SF_SF_EESJ_SZ_SK_SL_SM_EUlSZ_E_NS1_11comp_targetILNS1_3genE2ELNS1_11target_archE906ELNS1_3gpuE6ELNS1_3repE0EEENS1_48merge_mergepath_partition_config_static_selectorELNS0_4arch9wavefront6targetE1EEEvSL_ ; -- Begin function _ZN7rocprim17ROCPRIM_400000_NS6detail17trampoline_kernelINS0_14default_configENS1_38merge_sort_block_merge_config_selectorItNS0_10empty_typeEEEZZNS1_27merge_sort_block_merge_implIS3_N6thrust23THRUST_200600_302600_NS6detail15normal_iteratorINS9_10device_ptrItEEEEPS5_jNS1_19radix_merge_compareILb0ELb1EtNS0_19identity_decomposerEEEEE10hipError_tT0_T1_T2_jT3_P12ihipStream_tbPNSt15iterator_traitsISK_E10value_typeEPNSQ_ISL_E10value_typeEPSM_NS1_7vsmem_tEENKUlT_SK_SL_SM_E_clIPtSE_SF_SF_EESJ_SZ_SK_SL_SM_EUlSZ_E_NS1_11comp_targetILNS1_3genE2ELNS1_11target_archE906ELNS1_3gpuE6ELNS1_3repE0EEENS1_48merge_mergepath_partition_config_static_selectorELNS0_4arch9wavefront6targetE1EEEvSL_
	.globl	_ZN7rocprim17ROCPRIM_400000_NS6detail17trampoline_kernelINS0_14default_configENS1_38merge_sort_block_merge_config_selectorItNS0_10empty_typeEEEZZNS1_27merge_sort_block_merge_implIS3_N6thrust23THRUST_200600_302600_NS6detail15normal_iteratorINS9_10device_ptrItEEEEPS5_jNS1_19radix_merge_compareILb0ELb1EtNS0_19identity_decomposerEEEEE10hipError_tT0_T1_T2_jT3_P12ihipStream_tbPNSt15iterator_traitsISK_E10value_typeEPNSQ_ISL_E10value_typeEPSM_NS1_7vsmem_tEENKUlT_SK_SL_SM_E_clIPtSE_SF_SF_EESJ_SZ_SK_SL_SM_EUlSZ_E_NS1_11comp_targetILNS1_3genE2ELNS1_11target_archE906ELNS1_3gpuE6ELNS1_3repE0EEENS1_48merge_mergepath_partition_config_static_selectorELNS0_4arch9wavefront6targetE1EEEvSL_
	.p2align	8
	.type	_ZN7rocprim17ROCPRIM_400000_NS6detail17trampoline_kernelINS0_14default_configENS1_38merge_sort_block_merge_config_selectorItNS0_10empty_typeEEEZZNS1_27merge_sort_block_merge_implIS3_N6thrust23THRUST_200600_302600_NS6detail15normal_iteratorINS9_10device_ptrItEEEEPS5_jNS1_19radix_merge_compareILb0ELb1EtNS0_19identity_decomposerEEEEE10hipError_tT0_T1_T2_jT3_P12ihipStream_tbPNSt15iterator_traitsISK_E10value_typeEPNSQ_ISL_E10value_typeEPSM_NS1_7vsmem_tEENKUlT_SK_SL_SM_E_clIPtSE_SF_SF_EESJ_SZ_SK_SL_SM_EUlSZ_E_NS1_11comp_targetILNS1_3genE2ELNS1_11target_archE906ELNS1_3gpuE6ELNS1_3repE0EEENS1_48merge_mergepath_partition_config_static_selectorELNS0_4arch9wavefront6targetE1EEEvSL_,@function
_ZN7rocprim17ROCPRIM_400000_NS6detail17trampoline_kernelINS0_14default_configENS1_38merge_sort_block_merge_config_selectorItNS0_10empty_typeEEEZZNS1_27merge_sort_block_merge_implIS3_N6thrust23THRUST_200600_302600_NS6detail15normal_iteratorINS9_10device_ptrItEEEEPS5_jNS1_19radix_merge_compareILb0ELb1EtNS0_19identity_decomposerEEEEE10hipError_tT0_T1_T2_jT3_P12ihipStream_tbPNSt15iterator_traitsISK_E10value_typeEPNSQ_ISL_E10value_typeEPSM_NS1_7vsmem_tEENKUlT_SK_SL_SM_E_clIPtSE_SF_SF_EESJ_SZ_SK_SL_SM_EUlSZ_E_NS1_11comp_targetILNS1_3genE2ELNS1_11target_archE906ELNS1_3gpuE6ELNS1_3repE0EEENS1_48merge_mergepath_partition_config_static_selectorELNS0_4arch9wavefront6targetE1EEEvSL_: ; @_ZN7rocprim17ROCPRIM_400000_NS6detail17trampoline_kernelINS0_14default_configENS1_38merge_sort_block_merge_config_selectorItNS0_10empty_typeEEEZZNS1_27merge_sort_block_merge_implIS3_N6thrust23THRUST_200600_302600_NS6detail15normal_iteratorINS9_10device_ptrItEEEEPS5_jNS1_19radix_merge_compareILb0ELb1EtNS0_19identity_decomposerEEEEE10hipError_tT0_T1_T2_jT3_P12ihipStream_tbPNSt15iterator_traitsISK_E10value_typeEPNSQ_ISL_E10value_typeEPSM_NS1_7vsmem_tEENKUlT_SK_SL_SM_E_clIPtSE_SF_SF_EESJ_SZ_SK_SL_SM_EUlSZ_E_NS1_11comp_targetILNS1_3genE2ELNS1_11target_archE906ELNS1_3gpuE6ELNS1_3repE0EEENS1_48merge_mergepath_partition_config_static_selectorELNS0_4arch9wavefront6targetE1EEEvSL_
; %bb.0:
	.section	.rodata,"a",@progbits
	.p2align	6, 0x0
	.amdhsa_kernel _ZN7rocprim17ROCPRIM_400000_NS6detail17trampoline_kernelINS0_14default_configENS1_38merge_sort_block_merge_config_selectorItNS0_10empty_typeEEEZZNS1_27merge_sort_block_merge_implIS3_N6thrust23THRUST_200600_302600_NS6detail15normal_iteratorINS9_10device_ptrItEEEEPS5_jNS1_19radix_merge_compareILb0ELb1EtNS0_19identity_decomposerEEEEE10hipError_tT0_T1_T2_jT3_P12ihipStream_tbPNSt15iterator_traitsISK_E10value_typeEPNSQ_ISL_E10value_typeEPSM_NS1_7vsmem_tEENKUlT_SK_SL_SM_E_clIPtSE_SF_SF_EESJ_SZ_SK_SL_SM_EUlSZ_E_NS1_11comp_targetILNS1_3genE2ELNS1_11target_archE906ELNS1_3gpuE6ELNS1_3repE0EEENS1_48merge_mergepath_partition_config_static_selectorELNS0_4arch9wavefront6targetE1EEEvSL_
		.amdhsa_group_segment_fixed_size 0
		.amdhsa_private_segment_fixed_size 0
		.amdhsa_kernarg_size 40
		.amdhsa_user_sgpr_count 2
		.amdhsa_user_sgpr_dispatch_ptr 0
		.amdhsa_user_sgpr_queue_ptr 0
		.amdhsa_user_sgpr_kernarg_segment_ptr 1
		.amdhsa_user_sgpr_dispatch_id 0
		.amdhsa_user_sgpr_kernarg_preload_length 0
		.amdhsa_user_sgpr_kernarg_preload_offset 0
		.amdhsa_user_sgpr_private_segment_size 0
		.amdhsa_uses_dynamic_stack 0
		.amdhsa_enable_private_segment 0
		.amdhsa_system_sgpr_workgroup_id_x 1
		.amdhsa_system_sgpr_workgroup_id_y 0
		.amdhsa_system_sgpr_workgroup_id_z 0
		.amdhsa_system_sgpr_workgroup_info 0
		.amdhsa_system_vgpr_workitem_id 0
		.amdhsa_next_free_vgpr 1
		.amdhsa_next_free_sgpr 0
		.amdhsa_accum_offset 4
		.amdhsa_reserve_vcc 0
		.amdhsa_float_round_mode_32 0
		.amdhsa_float_round_mode_16_64 0
		.amdhsa_float_denorm_mode_32 3
		.amdhsa_float_denorm_mode_16_64 3
		.amdhsa_dx10_clamp 1
		.amdhsa_ieee_mode 1
		.amdhsa_fp16_overflow 0
		.amdhsa_tg_split 0
		.amdhsa_exception_fp_ieee_invalid_op 0
		.amdhsa_exception_fp_denorm_src 0
		.amdhsa_exception_fp_ieee_div_zero 0
		.amdhsa_exception_fp_ieee_overflow 0
		.amdhsa_exception_fp_ieee_underflow 0
		.amdhsa_exception_fp_ieee_inexact 0
		.amdhsa_exception_int_div_zero 0
	.end_amdhsa_kernel
	.section	.text._ZN7rocprim17ROCPRIM_400000_NS6detail17trampoline_kernelINS0_14default_configENS1_38merge_sort_block_merge_config_selectorItNS0_10empty_typeEEEZZNS1_27merge_sort_block_merge_implIS3_N6thrust23THRUST_200600_302600_NS6detail15normal_iteratorINS9_10device_ptrItEEEEPS5_jNS1_19radix_merge_compareILb0ELb1EtNS0_19identity_decomposerEEEEE10hipError_tT0_T1_T2_jT3_P12ihipStream_tbPNSt15iterator_traitsISK_E10value_typeEPNSQ_ISL_E10value_typeEPSM_NS1_7vsmem_tEENKUlT_SK_SL_SM_E_clIPtSE_SF_SF_EESJ_SZ_SK_SL_SM_EUlSZ_E_NS1_11comp_targetILNS1_3genE2ELNS1_11target_archE906ELNS1_3gpuE6ELNS1_3repE0EEENS1_48merge_mergepath_partition_config_static_selectorELNS0_4arch9wavefront6targetE1EEEvSL_,"axG",@progbits,_ZN7rocprim17ROCPRIM_400000_NS6detail17trampoline_kernelINS0_14default_configENS1_38merge_sort_block_merge_config_selectorItNS0_10empty_typeEEEZZNS1_27merge_sort_block_merge_implIS3_N6thrust23THRUST_200600_302600_NS6detail15normal_iteratorINS9_10device_ptrItEEEEPS5_jNS1_19radix_merge_compareILb0ELb1EtNS0_19identity_decomposerEEEEE10hipError_tT0_T1_T2_jT3_P12ihipStream_tbPNSt15iterator_traitsISK_E10value_typeEPNSQ_ISL_E10value_typeEPSM_NS1_7vsmem_tEENKUlT_SK_SL_SM_E_clIPtSE_SF_SF_EESJ_SZ_SK_SL_SM_EUlSZ_E_NS1_11comp_targetILNS1_3genE2ELNS1_11target_archE906ELNS1_3gpuE6ELNS1_3repE0EEENS1_48merge_mergepath_partition_config_static_selectorELNS0_4arch9wavefront6targetE1EEEvSL_,comdat
.Lfunc_end1268:
	.size	_ZN7rocprim17ROCPRIM_400000_NS6detail17trampoline_kernelINS0_14default_configENS1_38merge_sort_block_merge_config_selectorItNS0_10empty_typeEEEZZNS1_27merge_sort_block_merge_implIS3_N6thrust23THRUST_200600_302600_NS6detail15normal_iteratorINS9_10device_ptrItEEEEPS5_jNS1_19radix_merge_compareILb0ELb1EtNS0_19identity_decomposerEEEEE10hipError_tT0_T1_T2_jT3_P12ihipStream_tbPNSt15iterator_traitsISK_E10value_typeEPNSQ_ISL_E10value_typeEPSM_NS1_7vsmem_tEENKUlT_SK_SL_SM_E_clIPtSE_SF_SF_EESJ_SZ_SK_SL_SM_EUlSZ_E_NS1_11comp_targetILNS1_3genE2ELNS1_11target_archE906ELNS1_3gpuE6ELNS1_3repE0EEENS1_48merge_mergepath_partition_config_static_selectorELNS0_4arch9wavefront6targetE1EEEvSL_, .Lfunc_end1268-_ZN7rocprim17ROCPRIM_400000_NS6detail17trampoline_kernelINS0_14default_configENS1_38merge_sort_block_merge_config_selectorItNS0_10empty_typeEEEZZNS1_27merge_sort_block_merge_implIS3_N6thrust23THRUST_200600_302600_NS6detail15normal_iteratorINS9_10device_ptrItEEEEPS5_jNS1_19radix_merge_compareILb0ELb1EtNS0_19identity_decomposerEEEEE10hipError_tT0_T1_T2_jT3_P12ihipStream_tbPNSt15iterator_traitsISK_E10value_typeEPNSQ_ISL_E10value_typeEPSM_NS1_7vsmem_tEENKUlT_SK_SL_SM_E_clIPtSE_SF_SF_EESJ_SZ_SK_SL_SM_EUlSZ_E_NS1_11comp_targetILNS1_3genE2ELNS1_11target_archE906ELNS1_3gpuE6ELNS1_3repE0EEENS1_48merge_mergepath_partition_config_static_selectorELNS0_4arch9wavefront6targetE1EEEvSL_
                                        ; -- End function
	.section	.AMDGPU.csdata,"",@progbits
; Kernel info:
; codeLenInByte = 0
; NumSgprs: 6
; NumVgprs: 0
; NumAgprs: 0
; TotalNumVgprs: 0
; ScratchSize: 0
; MemoryBound: 0
; FloatMode: 240
; IeeeMode: 1
; LDSByteSize: 0 bytes/workgroup (compile time only)
; SGPRBlocks: 0
; VGPRBlocks: 0
; NumSGPRsForWavesPerEU: 6
; NumVGPRsForWavesPerEU: 1
; AccumOffset: 4
; Occupancy: 8
; WaveLimiterHint : 0
; COMPUTE_PGM_RSRC2:SCRATCH_EN: 0
; COMPUTE_PGM_RSRC2:USER_SGPR: 2
; COMPUTE_PGM_RSRC2:TRAP_HANDLER: 0
; COMPUTE_PGM_RSRC2:TGID_X_EN: 1
; COMPUTE_PGM_RSRC2:TGID_Y_EN: 0
; COMPUTE_PGM_RSRC2:TGID_Z_EN: 0
; COMPUTE_PGM_RSRC2:TIDIG_COMP_CNT: 0
; COMPUTE_PGM_RSRC3_GFX90A:ACCUM_OFFSET: 0
; COMPUTE_PGM_RSRC3_GFX90A:TG_SPLIT: 0
	.section	.text._ZN7rocprim17ROCPRIM_400000_NS6detail17trampoline_kernelINS0_14default_configENS1_38merge_sort_block_merge_config_selectorItNS0_10empty_typeEEEZZNS1_27merge_sort_block_merge_implIS3_N6thrust23THRUST_200600_302600_NS6detail15normal_iteratorINS9_10device_ptrItEEEEPS5_jNS1_19radix_merge_compareILb0ELb1EtNS0_19identity_decomposerEEEEE10hipError_tT0_T1_T2_jT3_P12ihipStream_tbPNSt15iterator_traitsISK_E10value_typeEPNSQ_ISL_E10value_typeEPSM_NS1_7vsmem_tEENKUlT_SK_SL_SM_E_clIPtSE_SF_SF_EESJ_SZ_SK_SL_SM_EUlSZ_E_NS1_11comp_targetILNS1_3genE9ELNS1_11target_archE1100ELNS1_3gpuE3ELNS1_3repE0EEENS1_48merge_mergepath_partition_config_static_selectorELNS0_4arch9wavefront6targetE1EEEvSL_,"axG",@progbits,_ZN7rocprim17ROCPRIM_400000_NS6detail17trampoline_kernelINS0_14default_configENS1_38merge_sort_block_merge_config_selectorItNS0_10empty_typeEEEZZNS1_27merge_sort_block_merge_implIS3_N6thrust23THRUST_200600_302600_NS6detail15normal_iteratorINS9_10device_ptrItEEEEPS5_jNS1_19radix_merge_compareILb0ELb1EtNS0_19identity_decomposerEEEEE10hipError_tT0_T1_T2_jT3_P12ihipStream_tbPNSt15iterator_traitsISK_E10value_typeEPNSQ_ISL_E10value_typeEPSM_NS1_7vsmem_tEENKUlT_SK_SL_SM_E_clIPtSE_SF_SF_EESJ_SZ_SK_SL_SM_EUlSZ_E_NS1_11comp_targetILNS1_3genE9ELNS1_11target_archE1100ELNS1_3gpuE3ELNS1_3repE0EEENS1_48merge_mergepath_partition_config_static_selectorELNS0_4arch9wavefront6targetE1EEEvSL_,comdat
	.protected	_ZN7rocprim17ROCPRIM_400000_NS6detail17trampoline_kernelINS0_14default_configENS1_38merge_sort_block_merge_config_selectorItNS0_10empty_typeEEEZZNS1_27merge_sort_block_merge_implIS3_N6thrust23THRUST_200600_302600_NS6detail15normal_iteratorINS9_10device_ptrItEEEEPS5_jNS1_19radix_merge_compareILb0ELb1EtNS0_19identity_decomposerEEEEE10hipError_tT0_T1_T2_jT3_P12ihipStream_tbPNSt15iterator_traitsISK_E10value_typeEPNSQ_ISL_E10value_typeEPSM_NS1_7vsmem_tEENKUlT_SK_SL_SM_E_clIPtSE_SF_SF_EESJ_SZ_SK_SL_SM_EUlSZ_E_NS1_11comp_targetILNS1_3genE9ELNS1_11target_archE1100ELNS1_3gpuE3ELNS1_3repE0EEENS1_48merge_mergepath_partition_config_static_selectorELNS0_4arch9wavefront6targetE1EEEvSL_ ; -- Begin function _ZN7rocprim17ROCPRIM_400000_NS6detail17trampoline_kernelINS0_14default_configENS1_38merge_sort_block_merge_config_selectorItNS0_10empty_typeEEEZZNS1_27merge_sort_block_merge_implIS3_N6thrust23THRUST_200600_302600_NS6detail15normal_iteratorINS9_10device_ptrItEEEEPS5_jNS1_19radix_merge_compareILb0ELb1EtNS0_19identity_decomposerEEEEE10hipError_tT0_T1_T2_jT3_P12ihipStream_tbPNSt15iterator_traitsISK_E10value_typeEPNSQ_ISL_E10value_typeEPSM_NS1_7vsmem_tEENKUlT_SK_SL_SM_E_clIPtSE_SF_SF_EESJ_SZ_SK_SL_SM_EUlSZ_E_NS1_11comp_targetILNS1_3genE9ELNS1_11target_archE1100ELNS1_3gpuE3ELNS1_3repE0EEENS1_48merge_mergepath_partition_config_static_selectorELNS0_4arch9wavefront6targetE1EEEvSL_
	.globl	_ZN7rocprim17ROCPRIM_400000_NS6detail17trampoline_kernelINS0_14default_configENS1_38merge_sort_block_merge_config_selectorItNS0_10empty_typeEEEZZNS1_27merge_sort_block_merge_implIS3_N6thrust23THRUST_200600_302600_NS6detail15normal_iteratorINS9_10device_ptrItEEEEPS5_jNS1_19radix_merge_compareILb0ELb1EtNS0_19identity_decomposerEEEEE10hipError_tT0_T1_T2_jT3_P12ihipStream_tbPNSt15iterator_traitsISK_E10value_typeEPNSQ_ISL_E10value_typeEPSM_NS1_7vsmem_tEENKUlT_SK_SL_SM_E_clIPtSE_SF_SF_EESJ_SZ_SK_SL_SM_EUlSZ_E_NS1_11comp_targetILNS1_3genE9ELNS1_11target_archE1100ELNS1_3gpuE3ELNS1_3repE0EEENS1_48merge_mergepath_partition_config_static_selectorELNS0_4arch9wavefront6targetE1EEEvSL_
	.p2align	8
	.type	_ZN7rocprim17ROCPRIM_400000_NS6detail17trampoline_kernelINS0_14default_configENS1_38merge_sort_block_merge_config_selectorItNS0_10empty_typeEEEZZNS1_27merge_sort_block_merge_implIS3_N6thrust23THRUST_200600_302600_NS6detail15normal_iteratorINS9_10device_ptrItEEEEPS5_jNS1_19radix_merge_compareILb0ELb1EtNS0_19identity_decomposerEEEEE10hipError_tT0_T1_T2_jT3_P12ihipStream_tbPNSt15iterator_traitsISK_E10value_typeEPNSQ_ISL_E10value_typeEPSM_NS1_7vsmem_tEENKUlT_SK_SL_SM_E_clIPtSE_SF_SF_EESJ_SZ_SK_SL_SM_EUlSZ_E_NS1_11comp_targetILNS1_3genE9ELNS1_11target_archE1100ELNS1_3gpuE3ELNS1_3repE0EEENS1_48merge_mergepath_partition_config_static_selectorELNS0_4arch9wavefront6targetE1EEEvSL_,@function
_ZN7rocprim17ROCPRIM_400000_NS6detail17trampoline_kernelINS0_14default_configENS1_38merge_sort_block_merge_config_selectorItNS0_10empty_typeEEEZZNS1_27merge_sort_block_merge_implIS3_N6thrust23THRUST_200600_302600_NS6detail15normal_iteratorINS9_10device_ptrItEEEEPS5_jNS1_19radix_merge_compareILb0ELb1EtNS0_19identity_decomposerEEEEE10hipError_tT0_T1_T2_jT3_P12ihipStream_tbPNSt15iterator_traitsISK_E10value_typeEPNSQ_ISL_E10value_typeEPSM_NS1_7vsmem_tEENKUlT_SK_SL_SM_E_clIPtSE_SF_SF_EESJ_SZ_SK_SL_SM_EUlSZ_E_NS1_11comp_targetILNS1_3genE9ELNS1_11target_archE1100ELNS1_3gpuE3ELNS1_3repE0EEENS1_48merge_mergepath_partition_config_static_selectorELNS0_4arch9wavefront6targetE1EEEvSL_: ; @_ZN7rocprim17ROCPRIM_400000_NS6detail17trampoline_kernelINS0_14default_configENS1_38merge_sort_block_merge_config_selectorItNS0_10empty_typeEEEZZNS1_27merge_sort_block_merge_implIS3_N6thrust23THRUST_200600_302600_NS6detail15normal_iteratorINS9_10device_ptrItEEEEPS5_jNS1_19radix_merge_compareILb0ELb1EtNS0_19identity_decomposerEEEEE10hipError_tT0_T1_T2_jT3_P12ihipStream_tbPNSt15iterator_traitsISK_E10value_typeEPNSQ_ISL_E10value_typeEPSM_NS1_7vsmem_tEENKUlT_SK_SL_SM_E_clIPtSE_SF_SF_EESJ_SZ_SK_SL_SM_EUlSZ_E_NS1_11comp_targetILNS1_3genE9ELNS1_11target_archE1100ELNS1_3gpuE3ELNS1_3repE0EEENS1_48merge_mergepath_partition_config_static_selectorELNS0_4arch9wavefront6targetE1EEEvSL_
; %bb.0:
	.section	.rodata,"a",@progbits
	.p2align	6, 0x0
	.amdhsa_kernel _ZN7rocprim17ROCPRIM_400000_NS6detail17trampoline_kernelINS0_14default_configENS1_38merge_sort_block_merge_config_selectorItNS0_10empty_typeEEEZZNS1_27merge_sort_block_merge_implIS3_N6thrust23THRUST_200600_302600_NS6detail15normal_iteratorINS9_10device_ptrItEEEEPS5_jNS1_19radix_merge_compareILb0ELb1EtNS0_19identity_decomposerEEEEE10hipError_tT0_T1_T2_jT3_P12ihipStream_tbPNSt15iterator_traitsISK_E10value_typeEPNSQ_ISL_E10value_typeEPSM_NS1_7vsmem_tEENKUlT_SK_SL_SM_E_clIPtSE_SF_SF_EESJ_SZ_SK_SL_SM_EUlSZ_E_NS1_11comp_targetILNS1_3genE9ELNS1_11target_archE1100ELNS1_3gpuE3ELNS1_3repE0EEENS1_48merge_mergepath_partition_config_static_selectorELNS0_4arch9wavefront6targetE1EEEvSL_
		.amdhsa_group_segment_fixed_size 0
		.amdhsa_private_segment_fixed_size 0
		.amdhsa_kernarg_size 40
		.amdhsa_user_sgpr_count 2
		.amdhsa_user_sgpr_dispatch_ptr 0
		.amdhsa_user_sgpr_queue_ptr 0
		.amdhsa_user_sgpr_kernarg_segment_ptr 1
		.amdhsa_user_sgpr_dispatch_id 0
		.amdhsa_user_sgpr_kernarg_preload_length 0
		.amdhsa_user_sgpr_kernarg_preload_offset 0
		.amdhsa_user_sgpr_private_segment_size 0
		.amdhsa_uses_dynamic_stack 0
		.amdhsa_enable_private_segment 0
		.amdhsa_system_sgpr_workgroup_id_x 1
		.amdhsa_system_sgpr_workgroup_id_y 0
		.amdhsa_system_sgpr_workgroup_id_z 0
		.amdhsa_system_sgpr_workgroup_info 0
		.amdhsa_system_vgpr_workitem_id 0
		.amdhsa_next_free_vgpr 1
		.amdhsa_next_free_sgpr 0
		.amdhsa_accum_offset 4
		.amdhsa_reserve_vcc 0
		.amdhsa_float_round_mode_32 0
		.amdhsa_float_round_mode_16_64 0
		.amdhsa_float_denorm_mode_32 3
		.amdhsa_float_denorm_mode_16_64 3
		.amdhsa_dx10_clamp 1
		.amdhsa_ieee_mode 1
		.amdhsa_fp16_overflow 0
		.amdhsa_tg_split 0
		.amdhsa_exception_fp_ieee_invalid_op 0
		.amdhsa_exception_fp_denorm_src 0
		.amdhsa_exception_fp_ieee_div_zero 0
		.amdhsa_exception_fp_ieee_overflow 0
		.amdhsa_exception_fp_ieee_underflow 0
		.amdhsa_exception_fp_ieee_inexact 0
		.amdhsa_exception_int_div_zero 0
	.end_amdhsa_kernel
	.section	.text._ZN7rocprim17ROCPRIM_400000_NS6detail17trampoline_kernelINS0_14default_configENS1_38merge_sort_block_merge_config_selectorItNS0_10empty_typeEEEZZNS1_27merge_sort_block_merge_implIS3_N6thrust23THRUST_200600_302600_NS6detail15normal_iteratorINS9_10device_ptrItEEEEPS5_jNS1_19radix_merge_compareILb0ELb1EtNS0_19identity_decomposerEEEEE10hipError_tT0_T1_T2_jT3_P12ihipStream_tbPNSt15iterator_traitsISK_E10value_typeEPNSQ_ISL_E10value_typeEPSM_NS1_7vsmem_tEENKUlT_SK_SL_SM_E_clIPtSE_SF_SF_EESJ_SZ_SK_SL_SM_EUlSZ_E_NS1_11comp_targetILNS1_3genE9ELNS1_11target_archE1100ELNS1_3gpuE3ELNS1_3repE0EEENS1_48merge_mergepath_partition_config_static_selectorELNS0_4arch9wavefront6targetE1EEEvSL_,"axG",@progbits,_ZN7rocprim17ROCPRIM_400000_NS6detail17trampoline_kernelINS0_14default_configENS1_38merge_sort_block_merge_config_selectorItNS0_10empty_typeEEEZZNS1_27merge_sort_block_merge_implIS3_N6thrust23THRUST_200600_302600_NS6detail15normal_iteratorINS9_10device_ptrItEEEEPS5_jNS1_19radix_merge_compareILb0ELb1EtNS0_19identity_decomposerEEEEE10hipError_tT0_T1_T2_jT3_P12ihipStream_tbPNSt15iterator_traitsISK_E10value_typeEPNSQ_ISL_E10value_typeEPSM_NS1_7vsmem_tEENKUlT_SK_SL_SM_E_clIPtSE_SF_SF_EESJ_SZ_SK_SL_SM_EUlSZ_E_NS1_11comp_targetILNS1_3genE9ELNS1_11target_archE1100ELNS1_3gpuE3ELNS1_3repE0EEENS1_48merge_mergepath_partition_config_static_selectorELNS0_4arch9wavefront6targetE1EEEvSL_,comdat
.Lfunc_end1269:
	.size	_ZN7rocprim17ROCPRIM_400000_NS6detail17trampoline_kernelINS0_14default_configENS1_38merge_sort_block_merge_config_selectorItNS0_10empty_typeEEEZZNS1_27merge_sort_block_merge_implIS3_N6thrust23THRUST_200600_302600_NS6detail15normal_iteratorINS9_10device_ptrItEEEEPS5_jNS1_19radix_merge_compareILb0ELb1EtNS0_19identity_decomposerEEEEE10hipError_tT0_T1_T2_jT3_P12ihipStream_tbPNSt15iterator_traitsISK_E10value_typeEPNSQ_ISL_E10value_typeEPSM_NS1_7vsmem_tEENKUlT_SK_SL_SM_E_clIPtSE_SF_SF_EESJ_SZ_SK_SL_SM_EUlSZ_E_NS1_11comp_targetILNS1_3genE9ELNS1_11target_archE1100ELNS1_3gpuE3ELNS1_3repE0EEENS1_48merge_mergepath_partition_config_static_selectorELNS0_4arch9wavefront6targetE1EEEvSL_, .Lfunc_end1269-_ZN7rocprim17ROCPRIM_400000_NS6detail17trampoline_kernelINS0_14default_configENS1_38merge_sort_block_merge_config_selectorItNS0_10empty_typeEEEZZNS1_27merge_sort_block_merge_implIS3_N6thrust23THRUST_200600_302600_NS6detail15normal_iteratorINS9_10device_ptrItEEEEPS5_jNS1_19radix_merge_compareILb0ELb1EtNS0_19identity_decomposerEEEEE10hipError_tT0_T1_T2_jT3_P12ihipStream_tbPNSt15iterator_traitsISK_E10value_typeEPNSQ_ISL_E10value_typeEPSM_NS1_7vsmem_tEENKUlT_SK_SL_SM_E_clIPtSE_SF_SF_EESJ_SZ_SK_SL_SM_EUlSZ_E_NS1_11comp_targetILNS1_3genE9ELNS1_11target_archE1100ELNS1_3gpuE3ELNS1_3repE0EEENS1_48merge_mergepath_partition_config_static_selectorELNS0_4arch9wavefront6targetE1EEEvSL_
                                        ; -- End function
	.section	.AMDGPU.csdata,"",@progbits
; Kernel info:
; codeLenInByte = 0
; NumSgprs: 6
; NumVgprs: 0
; NumAgprs: 0
; TotalNumVgprs: 0
; ScratchSize: 0
; MemoryBound: 0
; FloatMode: 240
; IeeeMode: 1
; LDSByteSize: 0 bytes/workgroup (compile time only)
; SGPRBlocks: 0
; VGPRBlocks: 0
; NumSGPRsForWavesPerEU: 6
; NumVGPRsForWavesPerEU: 1
; AccumOffset: 4
; Occupancy: 8
; WaveLimiterHint : 0
; COMPUTE_PGM_RSRC2:SCRATCH_EN: 0
; COMPUTE_PGM_RSRC2:USER_SGPR: 2
; COMPUTE_PGM_RSRC2:TRAP_HANDLER: 0
; COMPUTE_PGM_RSRC2:TGID_X_EN: 1
; COMPUTE_PGM_RSRC2:TGID_Y_EN: 0
; COMPUTE_PGM_RSRC2:TGID_Z_EN: 0
; COMPUTE_PGM_RSRC2:TIDIG_COMP_CNT: 0
; COMPUTE_PGM_RSRC3_GFX90A:ACCUM_OFFSET: 0
; COMPUTE_PGM_RSRC3_GFX90A:TG_SPLIT: 0
	.section	.text._ZN7rocprim17ROCPRIM_400000_NS6detail17trampoline_kernelINS0_14default_configENS1_38merge_sort_block_merge_config_selectorItNS0_10empty_typeEEEZZNS1_27merge_sort_block_merge_implIS3_N6thrust23THRUST_200600_302600_NS6detail15normal_iteratorINS9_10device_ptrItEEEEPS5_jNS1_19radix_merge_compareILb0ELb1EtNS0_19identity_decomposerEEEEE10hipError_tT0_T1_T2_jT3_P12ihipStream_tbPNSt15iterator_traitsISK_E10value_typeEPNSQ_ISL_E10value_typeEPSM_NS1_7vsmem_tEENKUlT_SK_SL_SM_E_clIPtSE_SF_SF_EESJ_SZ_SK_SL_SM_EUlSZ_E_NS1_11comp_targetILNS1_3genE8ELNS1_11target_archE1030ELNS1_3gpuE2ELNS1_3repE0EEENS1_48merge_mergepath_partition_config_static_selectorELNS0_4arch9wavefront6targetE1EEEvSL_,"axG",@progbits,_ZN7rocprim17ROCPRIM_400000_NS6detail17trampoline_kernelINS0_14default_configENS1_38merge_sort_block_merge_config_selectorItNS0_10empty_typeEEEZZNS1_27merge_sort_block_merge_implIS3_N6thrust23THRUST_200600_302600_NS6detail15normal_iteratorINS9_10device_ptrItEEEEPS5_jNS1_19radix_merge_compareILb0ELb1EtNS0_19identity_decomposerEEEEE10hipError_tT0_T1_T2_jT3_P12ihipStream_tbPNSt15iterator_traitsISK_E10value_typeEPNSQ_ISL_E10value_typeEPSM_NS1_7vsmem_tEENKUlT_SK_SL_SM_E_clIPtSE_SF_SF_EESJ_SZ_SK_SL_SM_EUlSZ_E_NS1_11comp_targetILNS1_3genE8ELNS1_11target_archE1030ELNS1_3gpuE2ELNS1_3repE0EEENS1_48merge_mergepath_partition_config_static_selectorELNS0_4arch9wavefront6targetE1EEEvSL_,comdat
	.protected	_ZN7rocprim17ROCPRIM_400000_NS6detail17trampoline_kernelINS0_14default_configENS1_38merge_sort_block_merge_config_selectorItNS0_10empty_typeEEEZZNS1_27merge_sort_block_merge_implIS3_N6thrust23THRUST_200600_302600_NS6detail15normal_iteratorINS9_10device_ptrItEEEEPS5_jNS1_19radix_merge_compareILb0ELb1EtNS0_19identity_decomposerEEEEE10hipError_tT0_T1_T2_jT3_P12ihipStream_tbPNSt15iterator_traitsISK_E10value_typeEPNSQ_ISL_E10value_typeEPSM_NS1_7vsmem_tEENKUlT_SK_SL_SM_E_clIPtSE_SF_SF_EESJ_SZ_SK_SL_SM_EUlSZ_E_NS1_11comp_targetILNS1_3genE8ELNS1_11target_archE1030ELNS1_3gpuE2ELNS1_3repE0EEENS1_48merge_mergepath_partition_config_static_selectorELNS0_4arch9wavefront6targetE1EEEvSL_ ; -- Begin function _ZN7rocprim17ROCPRIM_400000_NS6detail17trampoline_kernelINS0_14default_configENS1_38merge_sort_block_merge_config_selectorItNS0_10empty_typeEEEZZNS1_27merge_sort_block_merge_implIS3_N6thrust23THRUST_200600_302600_NS6detail15normal_iteratorINS9_10device_ptrItEEEEPS5_jNS1_19radix_merge_compareILb0ELb1EtNS0_19identity_decomposerEEEEE10hipError_tT0_T1_T2_jT3_P12ihipStream_tbPNSt15iterator_traitsISK_E10value_typeEPNSQ_ISL_E10value_typeEPSM_NS1_7vsmem_tEENKUlT_SK_SL_SM_E_clIPtSE_SF_SF_EESJ_SZ_SK_SL_SM_EUlSZ_E_NS1_11comp_targetILNS1_3genE8ELNS1_11target_archE1030ELNS1_3gpuE2ELNS1_3repE0EEENS1_48merge_mergepath_partition_config_static_selectorELNS0_4arch9wavefront6targetE1EEEvSL_
	.globl	_ZN7rocprim17ROCPRIM_400000_NS6detail17trampoline_kernelINS0_14default_configENS1_38merge_sort_block_merge_config_selectorItNS0_10empty_typeEEEZZNS1_27merge_sort_block_merge_implIS3_N6thrust23THRUST_200600_302600_NS6detail15normal_iteratorINS9_10device_ptrItEEEEPS5_jNS1_19radix_merge_compareILb0ELb1EtNS0_19identity_decomposerEEEEE10hipError_tT0_T1_T2_jT3_P12ihipStream_tbPNSt15iterator_traitsISK_E10value_typeEPNSQ_ISL_E10value_typeEPSM_NS1_7vsmem_tEENKUlT_SK_SL_SM_E_clIPtSE_SF_SF_EESJ_SZ_SK_SL_SM_EUlSZ_E_NS1_11comp_targetILNS1_3genE8ELNS1_11target_archE1030ELNS1_3gpuE2ELNS1_3repE0EEENS1_48merge_mergepath_partition_config_static_selectorELNS0_4arch9wavefront6targetE1EEEvSL_
	.p2align	8
	.type	_ZN7rocprim17ROCPRIM_400000_NS6detail17trampoline_kernelINS0_14default_configENS1_38merge_sort_block_merge_config_selectorItNS0_10empty_typeEEEZZNS1_27merge_sort_block_merge_implIS3_N6thrust23THRUST_200600_302600_NS6detail15normal_iteratorINS9_10device_ptrItEEEEPS5_jNS1_19radix_merge_compareILb0ELb1EtNS0_19identity_decomposerEEEEE10hipError_tT0_T1_T2_jT3_P12ihipStream_tbPNSt15iterator_traitsISK_E10value_typeEPNSQ_ISL_E10value_typeEPSM_NS1_7vsmem_tEENKUlT_SK_SL_SM_E_clIPtSE_SF_SF_EESJ_SZ_SK_SL_SM_EUlSZ_E_NS1_11comp_targetILNS1_3genE8ELNS1_11target_archE1030ELNS1_3gpuE2ELNS1_3repE0EEENS1_48merge_mergepath_partition_config_static_selectorELNS0_4arch9wavefront6targetE1EEEvSL_,@function
_ZN7rocprim17ROCPRIM_400000_NS6detail17trampoline_kernelINS0_14default_configENS1_38merge_sort_block_merge_config_selectorItNS0_10empty_typeEEEZZNS1_27merge_sort_block_merge_implIS3_N6thrust23THRUST_200600_302600_NS6detail15normal_iteratorINS9_10device_ptrItEEEEPS5_jNS1_19radix_merge_compareILb0ELb1EtNS0_19identity_decomposerEEEEE10hipError_tT0_T1_T2_jT3_P12ihipStream_tbPNSt15iterator_traitsISK_E10value_typeEPNSQ_ISL_E10value_typeEPSM_NS1_7vsmem_tEENKUlT_SK_SL_SM_E_clIPtSE_SF_SF_EESJ_SZ_SK_SL_SM_EUlSZ_E_NS1_11comp_targetILNS1_3genE8ELNS1_11target_archE1030ELNS1_3gpuE2ELNS1_3repE0EEENS1_48merge_mergepath_partition_config_static_selectorELNS0_4arch9wavefront6targetE1EEEvSL_: ; @_ZN7rocprim17ROCPRIM_400000_NS6detail17trampoline_kernelINS0_14default_configENS1_38merge_sort_block_merge_config_selectorItNS0_10empty_typeEEEZZNS1_27merge_sort_block_merge_implIS3_N6thrust23THRUST_200600_302600_NS6detail15normal_iteratorINS9_10device_ptrItEEEEPS5_jNS1_19radix_merge_compareILb0ELb1EtNS0_19identity_decomposerEEEEE10hipError_tT0_T1_T2_jT3_P12ihipStream_tbPNSt15iterator_traitsISK_E10value_typeEPNSQ_ISL_E10value_typeEPSM_NS1_7vsmem_tEENKUlT_SK_SL_SM_E_clIPtSE_SF_SF_EESJ_SZ_SK_SL_SM_EUlSZ_E_NS1_11comp_targetILNS1_3genE8ELNS1_11target_archE1030ELNS1_3gpuE2ELNS1_3repE0EEENS1_48merge_mergepath_partition_config_static_selectorELNS0_4arch9wavefront6targetE1EEEvSL_
; %bb.0:
	.section	.rodata,"a",@progbits
	.p2align	6, 0x0
	.amdhsa_kernel _ZN7rocprim17ROCPRIM_400000_NS6detail17trampoline_kernelINS0_14default_configENS1_38merge_sort_block_merge_config_selectorItNS0_10empty_typeEEEZZNS1_27merge_sort_block_merge_implIS3_N6thrust23THRUST_200600_302600_NS6detail15normal_iteratorINS9_10device_ptrItEEEEPS5_jNS1_19radix_merge_compareILb0ELb1EtNS0_19identity_decomposerEEEEE10hipError_tT0_T1_T2_jT3_P12ihipStream_tbPNSt15iterator_traitsISK_E10value_typeEPNSQ_ISL_E10value_typeEPSM_NS1_7vsmem_tEENKUlT_SK_SL_SM_E_clIPtSE_SF_SF_EESJ_SZ_SK_SL_SM_EUlSZ_E_NS1_11comp_targetILNS1_3genE8ELNS1_11target_archE1030ELNS1_3gpuE2ELNS1_3repE0EEENS1_48merge_mergepath_partition_config_static_selectorELNS0_4arch9wavefront6targetE1EEEvSL_
		.amdhsa_group_segment_fixed_size 0
		.amdhsa_private_segment_fixed_size 0
		.amdhsa_kernarg_size 40
		.amdhsa_user_sgpr_count 2
		.amdhsa_user_sgpr_dispatch_ptr 0
		.amdhsa_user_sgpr_queue_ptr 0
		.amdhsa_user_sgpr_kernarg_segment_ptr 1
		.amdhsa_user_sgpr_dispatch_id 0
		.amdhsa_user_sgpr_kernarg_preload_length 0
		.amdhsa_user_sgpr_kernarg_preload_offset 0
		.amdhsa_user_sgpr_private_segment_size 0
		.amdhsa_uses_dynamic_stack 0
		.amdhsa_enable_private_segment 0
		.amdhsa_system_sgpr_workgroup_id_x 1
		.amdhsa_system_sgpr_workgroup_id_y 0
		.amdhsa_system_sgpr_workgroup_id_z 0
		.amdhsa_system_sgpr_workgroup_info 0
		.amdhsa_system_vgpr_workitem_id 0
		.amdhsa_next_free_vgpr 1
		.amdhsa_next_free_sgpr 0
		.amdhsa_accum_offset 4
		.amdhsa_reserve_vcc 0
		.amdhsa_float_round_mode_32 0
		.amdhsa_float_round_mode_16_64 0
		.amdhsa_float_denorm_mode_32 3
		.amdhsa_float_denorm_mode_16_64 3
		.amdhsa_dx10_clamp 1
		.amdhsa_ieee_mode 1
		.amdhsa_fp16_overflow 0
		.amdhsa_tg_split 0
		.amdhsa_exception_fp_ieee_invalid_op 0
		.amdhsa_exception_fp_denorm_src 0
		.amdhsa_exception_fp_ieee_div_zero 0
		.amdhsa_exception_fp_ieee_overflow 0
		.amdhsa_exception_fp_ieee_underflow 0
		.amdhsa_exception_fp_ieee_inexact 0
		.amdhsa_exception_int_div_zero 0
	.end_amdhsa_kernel
	.section	.text._ZN7rocprim17ROCPRIM_400000_NS6detail17trampoline_kernelINS0_14default_configENS1_38merge_sort_block_merge_config_selectorItNS0_10empty_typeEEEZZNS1_27merge_sort_block_merge_implIS3_N6thrust23THRUST_200600_302600_NS6detail15normal_iteratorINS9_10device_ptrItEEEEPS5_jNS1_19radix_merge_compareILb0ELb1EtNS0_19identity_decomposerEEEEE10hipError_tT0_T1_T2_jT3_P12ihipStream_tbPNSt15iterator_traitsISK_E10value_typeEPNSQ_ISL_E10value_typeEPSM_NS1_7vsmem_tEENKUlT_SK_SL_SM_E_clIPtSE_SF_SF_EESJ_SZ_SK_SL_SM_EUlSZ_E_NS1_11comp_targetILNS1_3genE8ELNS1_11target_archE1030ELNS1_3gpuE2ELNS1_3repE0EEENS1_48merge_mergepath_partition_config_static_selectorELNS0_4arch9wavefront6targetE1EEEvSL_,"axG",@progbits,_ZN7rocprim17ROCPRIM_400000_NS6detail17trampoline_kernelINS0_14default_configENS1_38merge_sort_block_merge_config_selectorItNS0_10empty_typeEEEZZNS1_27merge_sort_block_merge_implIS3_N6thrust23THRUST_200600_302600_NS6detail15normal_iteratorINS9_10device_ptrItEEEEPS5_jNS1_19radix_merge_compareILb0ELb1EtNS0_19identity_decomposerEEEEE10hipError_tT0_T1_T2_jT3_P12ihipStream_tbPNSt15iterator_traitsISK_E10value_typeEPNSQ_ISL_E10value_typeEPSM_NS1_7vsmem_tEENKUlT_SK_SL_SM_E_clIPtSE_SF_SF_EESJ_SZ_SK_SL_SM_EUlSZ_E_NS1_11comp_targetILNS1_3genE8ELNS1_11target_archE1030ELNS1_3gpuE2ELNS1_3repE0EEENS1_48merge_mergepath_partition_config_static_selectorELNS0_4arch9wavefront6targetE1EEEvSL_,comdat
.Lfunc_end1270:
	.size	_ZN7rocprim17ROCPRIM_400000_NS6detail17trampoline_kernelINS0_14default_configENS1_38merge_sort_block_merge_config_selectorItNS0_10empty_typeEEEZZNS1_27merge_sort_block_merge_implIS3_N6thrust23THRUST_200600_302600_NS6detail15normal_iteratorINS9_10device_ptrItEEEEPS5_jNS1_19radix_merge_compareILb0ELb1EtNS0_19identity_decomposerEEEEE10hipError_tT0_T1_T2_jT3_P12ihipStream_tbPNSt15iterator_traitsISK_E10value_typeEPNSQ_ISL_E10value_typeEPSM_NS1_7vsmem_tEENKUlT_SK_SL_SM_E_clIPtSE_SF_SF_EESJ_SZ_SK_SL_SM_EUlSZ_E_NS1_11comp_targetILNS1_3genE8ELNS1_11target_archE1030ELNS1_3gpuE2ELNS1_3repE0EEENS1_48merge_mergepath_partition_config_static_selectorELNS0_4arch9wavefront6targetE1EEEvSL_, .Lfunc_end1270-_ZN7rocprim17ROCPRIM_400000_NS6detail17trampoline_kernelINS0_14default_configENS1_38merge_sort_block_merge_config_selectorItNS0_10empty_typeEEEZZNS1_27merge_sort_block_merge_implIS3_N6thrust23THRUST_200600_302600_NS6detail15normal_iteratorINS9_10device_ptrItEEEEPS5_jNS1_19radix_merge_compareILb0ELb1EtNS0_19identity_decomposerEEEEE10hipError_tT0_T1_T2_jT3_P12ihipStream_tbPNSt15iterator_traitsISK_E10value_typeEPNSQ_ISL_E10value_typeEPSM_NS1_7vsmem_tEENKUlT_SK_SL_SM_E_clIPtSE_SF_SF_EESJ_SZ_SK_SL_SM_EUlSZ_E_NS1_11comp_targetILNS1_3genE8ELNS1_11target_archE1030ELNS1_3gpuE2ELNS1_3repE0EEENS1_48merge_mergepath_partition_config_static_selectorELNS0_4arch9wavefront6targetE1EEEvSL_
                                        ; -- End function
	.section	.AMDGPU.csdata,"",@progbits
; Kernel info:
; codeLenInByte = 0
; NumSgprs: 6
; NumVgprs: 0
; NumAgprs: 0
; TotalNumVgprs: 0
; ScratchSize: 0
; MemoryBound: 0
; FloatMode: 240
; IeeeMode: 1
; LDSByteSize: 0 bytes/workgroup (compile time only)
; SGPRBlocks: 0
; VGPRBlocks: 0
; NumSGPRsForWavesPerEU: 6
; NumVGPRsForWavesPerEU: 1
; AccumOffset: 4
; Occupancy: 8
; WaveLimiterHint : 0
; COMPUTE_PGM_RSRC2:SCRATCH_EN: 0
; COMPUTE_PGM_RSRC2:USER_SGPR: 2
; COMPUTE_PGM_RSRC2:TRAP_HANDLER: 0
; COMPUTE_PGM_RSRC2:TGID_X_EN: 1
; COMPUTE_PGM_RSRC2:TGID_Y_EN: 0
; COMPUTE_PGM_RSRC2:TGID_Z_EN: 0
; COMPUTE_PGM_RSRC2:TIDIG_COMP_CNT: 0
; COMPUTE_PGM_RSRC3_GFX90A:ACCUM_OFFSET: 0
; COMPUTE_PGM_RSRC3_GFX90A:TG_SPLIT: 0
	.section	.text._ZN7rocprim17ROCPRIM_400000_NS6detail17trampoline_kernelINS0_14default_configENS1_38merge_sort_block_merge_config_selectorItNS0_10empty_typeEEEZZNS1_27merge_sort_block_merge_implIS3_N6thrust23THRUST_200600_302600_NS6detail15normal_iteratorINS9_10device_ptrItEEEEPS5_jNS1_19radix_merge_compareILb0ELb1EtNS0_19identity_decomposerEEEEE10hipError_tT0_T1_T2_jT3_P12ihipStream_tbPNSt15iterator_traitsISK_E10value_typeEPNSQ_ISL_E10value_typeEPSM_NS1_7vsmem_tEENKUlT_SK_SL_SM_E_clIPtSE_SF_SF_EESJ_SZ_SK_SL_SM_EUlSZ_E0_NS1_11comp_targetILNS1_3genE0ELNS1_11target_archE4294967295ELNS1_3gpuE0ELNS1_3repE0EEENS1_38merge_mergepath_config_static_selectorELNS0_4arch9wavefront6targetE1EEEvSL_,"axG",@progbits,_ZN7rocprim17ROCPRIM_400000_NS6detail17trampoline_kernelINS0_14default_configENS1_38merge_sort_block_merge_config_selectorItNS0_10empty_typeEEEZZNS1_27merge_sort_block_merge_implIS3_N6thrust23THRUST_200600_302600_NS6detail15normal_iteratorINS9_10device_ptrItEEEEPS5_jNS1_19radix_merge_compareILb0ELb1EtNS0_19identity_decomposerEEEEE10hipError_tT0_T1_T2_jT3_P12ihipStream_tbPNSt15iterator_traitsISK_E10value_typeEPNSQ_ISL_E10value_typeEPSM_NS1_7vsmem_tEENKUlT_SK_SL_SM_E_clIPtSE_SF_SF_EESJ_SZ_SK_SL_SM_EUlSZ_E0_NS1_11comp_targetILNS1_3genE0ELNS1_11target_archE4294967295ELNS1_3gpuE0ELNS1_3repE0EEENS1_38merge_mergepath_config_static_selectorELNS0_4arch9wavefront6targetE1EEEvSL_,comdat
	.protected	_ZN7rocprim17ROCPRIM_400000_NS6detail17trampoline_kernelINS0_14default_configENS1_38merge_sort_block_merge_config_selectorItNS0_10empty_typeEEEZZNS1_27merge_sort_block_merge_implIS3_N6thrust23THRUST_200600_302600_NS6detail15normal_iteratorINS9_10device_ptrItEEEEPS5_jNS1_19radix_merge_compareILb0ELb1EtNS0_19identity_decomposerEEEEE10hipError_tT0_T1_T2_jT3_P12ihipStream_tbPNSt15iterator_traitsISK_E10value_typeEPNSQ_ISL_E10value_typeEPSM_NS1_7vsmem_tEENKUlT_SK_SL_SM_E_clIPtSE_SF_SF_EESJ_SZ_SK_SL_SM_EUlSZ_E0_NS1_11comp_targetILNS1_3genE0ELNS1_11target_archE4294967295ELNS1_3gpuE0ELNS1_3repE0EEENS1_38merge_mergepath_config_static_selectorELNS0_4arch9wavefront6targetE1EEEvSL_ ; -- Begin function _ZN7rocprim17ROCPRIM_400000_NS6detail17trampoline_kernelINS0_14default_configENS1_38merge_sort_block_merge_config_selectorItNS0_10empty_typeEEEZZNS1_27merge_sort_block_merge_implIS3_N6thrust23THRUST_200600_302600_NS6detail15normal_iteratorINS9_10device_ptrItEEEEPS5_jNS1_19radix_merge_compareILb0ELb1EtNS0_19identity_decomposerEEEEE10hipError_tT0_T1_T2_jT3_P12ihipStream_tbPNSt15iterator_traitsISK_E10value_typeEPNSQ_ISL_E10value_typeEPSM_NS1_7vsmem_tEENKUlT_SK_SL_SM_E_clIPtSE_SF_SF_EESJ_SZ_SK_SL_SM_EUlSZ_E0_NS1_11comp_targetILNS1_3genE0ELNS1_11target_archE4294967295ELNS1_3gpuE0ELNS1_3repE0EEENS1_38merge_mergepath_config_static_selectorELNS0_4arch9wavefront6targetE1EEEvSL_
	.globl	_ZN7rocprim17ROCPRIM_400000_NS6detail17trampoline_kernelINS0_14default_configENS1_38merge_sort_block_merge_config_selectorItNS0_10empty_typeEEEZZNS1_27merge_sort_block_merge_implIS3_N6thrust23THRUST_200600_302600_NS6detail15normal_iteratorINS9_10device_ptrItEEEEPS5_jNS1_19radix_merge_compareILb0ELb1EtNS0_19identity_decomposerEEEEE10hipError_tT0_T1_T2_jT3_P12ihipStream_tbPNSt15iterator_traitsISK_E10value_typeEPNSQ_ISL_E10value_typeEPSM_NS1_7vsmem_tEENKUlT_SK_SL_SM_E_clIPtSE_SF_SF_EESJ_SZ_SK_SL_SM_EUlSZ_E0_NS1_11comp_targetILNS1_3genE0ELNS1_11target_archE4294967295ELNS1_3gpuE0ELNS1_3repE0EEENS1_38merge_mergepath_config_static_selectorELNS0_4arch9wavefront6targetE1EEEvSL_
	.p2align	8
	.type	_ZN7rocprim17ROCPRIM_400000_NS6detail17trampoline_kernelINS0_14default_configENS1_38merge_sort_block_merge_config_selectorItNS0_10empty_typeEEEZZNS1_27merge_sort_block_merge_implIS3_N6thrust23THRUST_200600_302600_NS6detail15normal_iteratorINS9_10device_ptrItEEEEPS5_jNS1_19radix_merge_compareILb0ELb1EtNS0_19identity_decomposerEEEEE10hipError_tT0_T1_T2_jT3_P12ihipStream_tbPNSt15iterator_traitsISK_E10value_typeEPNSQ_ISL_E10value_typeEPSM_NS1_7vsmem_tEENKUlT_SK_SL_SM_E_clIPtSE_SF_SF_EESJ_SZ_SK_SL_SM_EUlSZ_E0_NS1_11comp_targetILNS1_3genE0ELNS1_11target_archE4294967295ELNS1_3gpuE0ELNS1_3repE0EEENS1_38merge_mergepath_config_static_selectorELNS0_4arch9wavefront6targetE1EEEvSL_,@function
_ZN7rocprim17ROCPRIM_400000_NS6detail17trampoline_kernelINS0_14default_configENS1_38merge_sort_block_merge_config_selectorItNS0_10empty_typeEEEZZNS1_27merge_sort_block_merge_implIS3_N6thrust23THRUST_200600_302600_NS6detail15normal_iteratorINS9_10device_ptrItEEEEPS5_jNS1_19radix_merge_compareILb0ELb1EtNS0_19identity_decomposerEEEEE10hipError_tT0_T1_T2_jT3_P12ihipStream_tbPNSt15iterator_traitsISK_E10value_typeEPNSQ_ISL_E10value_typeEPSM_NS1_7vsmem_tEENKUlT_SK_SL_SM_E_clIPtSE_SF_SF_EESJ_SZ_SK_SL_SM_EUlSZ_E0_NS1_11comp_targetILNS1_3genE0ELNS1_11target_archE4294967295ELNS1_3gpuE0ELNS1_3repE0EEENS1_38merge_mergepath_config_static_selectorELNS0_4arch9wavefront6targetE1EEEvSL_: ; @_ZN7rocprim17ROCPRIM_400000_NS6detail17trampoline_kernelINS0_14default_configENS1_38merge_sort_block_merge_config_selectorItNS0_10empty_typeEEEZZNS1_27merge_sort_block_merge_implIS3_N6thrust23THRUST_200600_302600_NS6detail15normal_iteratorINS9_10device_ptrItEEEEPS5_jNS1_19radix_merge_compareILb0ELb1EtNS0_19identity_decomposerEEEEE10hipError_tT0_T1_T2_jT3_P12ihipStream_tbPNSt15iterator_traitsISK_E10value_typeEPNSQ_ISL_E10value_typeEPSM_NS1_7vsmem_tEENKUlT_SK_SL_SM_E_clIPtSE_SF_SF_EESJ_SZ_SK_SL_SM_EUlSZ_E0_NS1_11comp_targetILNS1_3genE0ELNS1_11target_archE4294967295ELNS1_3gpuE0ELNS1_3repE0EEENS1_38merge_mergepath_config_static_selectorELNS0_4arch9wavefront6targetE1EEEvSL_
; %bb.0:
	.section	.rodata,"a",@progbits
	.p2align	6, 0x0
	.amdhsa_kernel _ZN7rocprim17ROCPRIM_400000_NS6detail17trampoline_kernelINS0_14default_configENS1_38merge_sort_block_merge_config_selectorItNS0_10empty_typeEEEZZNS1_27merge_sort_block_merge_implIS3_N6thrust23THRUST_200600_302600_NS6detail15normal_iteratorINS9_10device_ptrItEEEEPS5_jNS1_19radix_merge_compareILb0ELb1EtNS0_19identity_decomposerEEEEE10hipError_tT0_T1_T2_jT3_P12ihipStream_tbPNSt15iterator_traitsISK_E10value_typeEPNSQ_ISL_E10value_typeEPSM_NS1_7vsmem_tEENKUlT_SK_SL_SM_E_clIPtSE_SF_SF_EESJ_SZ_SK_SL_SM_EUlSZ_E0_NS1_11comp_targetILNS1_3genE0ELNS1_11target_archE4294967295ELNS1_3gpuE0ELNS1_3repE0EEENS1_38merge_mergepath_config_static_selectorELNS0_4arch9wavefront6targetE1EEEvSL_
		.amdhsa_group_segment_fixed_size 0
		.amdhsa_private_segment_fixed_size 0
		.amdhsa_kernarg_size 64
		.amdhsa_user_sgpr_count 2
		.amdhsa_user_sgpr_dispatch_ptr 0
		.amdhsa_user_sgpr_queue_ptr 0
		.amdhsa_user_sgpr_kernarg_segment_ptr 1
		.amdhsa_user_sgpr_dispatch_id 0
		.amdhsa_user_sgpr_kernarg_preload_length 0
		.amdhsa_user_sgpr_kernarg_preload_offset 0
		.amdhsa_user_sgpr_private_segment_size 0
		.amdhsa_uses_dynamic_stack 0
		.amdhsa_enable_private_segment 0
		.amdhsa_system_sgpr_workgroup_id_x 1
		.amdhsa_system_sgpr_workgroup_id_y 0
		.amdhsa_system_sgpr_workgroup_id_z 0
		.amdhsa_system_sgpr_workgroup_info 0
		.amdhsa_system_vgpr_workitem_id 0
		.amdhsa_next_free_vgpr 1
		.amdhsa_next_free_sgpr 0
		.amdhsa_accum_offset 4
		.amdhsa_reserve_vcc 0
		.amdhsa_float_round_mode_32 0
		.amdhsa_float_round_mode_16_64 0
		.amdhsa_float_denorm_mode_32 3
		.amdhsa_float_denorm_mode_16_64 3
		.amdhsa_dx10_clamp 1
		.amdhsa_ieee_mode 1
		.amdhsa_fp16_overflow 0
		.amdhsa_tg_split 0
		.amdhsa_exception_fp_ieee_invalid_op 0
		.amdhsa_exception_fp_denorm_src 0
		.amdhsa_exception_fp_ieee_div_zero 0
		.amdhsa_exception_fp_ieee_overflow 0
		.amdhsa_exception_fp_ieee_underflow 0
		.amdhsa_exception_fp_ieee_inexact 0
		.amdhsa_exception_int_div_zero 0
	.end_amdhsa_kernel
	.section	.text._ZN7rocprim17ROCPRIM_400000_NS6detail17trampoline_kernelINS0_14default_configENS1_38merge_sort_block_merge_config_selectorItNS0_10empty_typeEEEZZNS1_27merge_sort_block_merge_implIS3_N6thrust23THRUST_200600_302600_NS6detail15normal_iteratorINS9_10device_ptrItEEEEPS5_jNS1_19radix_merge_compareILb0ELb1EtNS0_19identity_decomposerEEEEE10hipError_tT0_T1_T2_jT3_P12ihipStream_tbPNSt15iterator_traitsISK_E10value_typeEPNSQ_ISL_E10value_typeEPSM_NS1_7vsmem_tEENKUlT_SK_SL_SM_E_clIPtSE_SF_SF_EESJ_SZ_SK_SL_SM_EUlSZ_E0_NS1_11comp_targetILNS1_3genE0ELNS1_11target_archE4294967295ELNS1_3gpuE0ELNS1_3repE0EEENS1_38merge_mergepath_config_static_selectorELNS0_4arch9wavefront6targetE1EEEvSL_,"axG",@progbits,_ZN7rocprim17ROCPRIM_400000_NS6detail17trampoline_kernelINS0_14default_configENS1_38merge_sort_block_merge_config_selectorItNS0_10empty_typeEEEZZNS1_27merge_sort_block_merge_implIS3_N6thrust23THRUST_200600_302600_NS6detail15normal_iteratorINS9_10device_ptrItEEEEPS5_jNS1_19radix_merge_compareILb0ELb1EtNS0_19identity_decomposerEEEEE10hipError_tT0_T1_T2_jT3_P12ihipStream_tbPNSt15iterator_traitsISK_E10value_typeEPNSQ_ISL_E10value_typeEPSM_NS1_7vsmem_tEENKUlT_SK_SL_SM_E_clIPtSE_SF_SF_EESJ_SZ_SK_SL_SM_EUlSZ_E0_NS1_11comp_targetILNS1_3genE0ELNS1_11target_archE4294967295ELNS1_3gpuE0ELNS1_3repE0EEENS1_38merge_mergepath_config_static_selectorELNS0_4arch9wavefront6targetE1EEEvSL_,comdat
.Lfunc_end1271:
	.size	_ZN7rocprim17ROCPRIM_400000_NS6detail17trampoline_kernelINS0_14default_configENS1_38merge_sort_block_merge_config_selectorItNS0_10empty_typeEEEZZNS1_27merge_sort_block_merge_implIS3_N6thrust23THRUST_200600_302600_NS6detail15normal_iteratorINS9_10device_ptrItEEEEPS5_jNS1_19radix_merge_compareILb0ELb1EtNS0_19identity_decomposerEEEEE10hipError_tT0_T1_T2_jT3_P12ihipStream_tbPNSt15iterator_traitsISK_E10value_typeEPNSQ_ISL_E10value_typeEPSM_NS1_7vsmem_tEENKUlT_SK_SL_SM_E_clIPtSE_SF_SF_EESJ_SZ_SK_SL_SM_EUlSZ_E0_NS1_11comp_targetILNS1_3genE0ELNS1_11target_archE4294967295ELNS1_3gpuE0ELNS1_3repE0EEENS1_38merge_mergepath_config_static_selectorELNS0_4arch9wavefront6targetE1EEEvSL_, .Lfunc_end1271-_ZN7rocprim17ROCPRIM_400000_NS6detail17trampoline_kernelINS0_14default_configENS1_38merge_sort_block_merge_config_selectorItNS0_10empty_typeEEEZZNS1_27merge_sort_block_merge_implIS3_N6thrust23THRUST_200600_302600_NS6detail15normal_iteratorINS9_10device_ptrItEEEEPS5_jNS1_19radix_merge_compareILb0ELb1EtNS0_19identity_decomposerEEEEE10hipError_tT0_T1_T2_jT3_P12ihipStream_tbPNSt15iterator_traitsISK_E10value_typeEPNSQ_ISL_E10value_typeEPSM_NS1_7vsmem_tEENKUlT_SK_SL_SM_E_clIPtSE_SF_SF_EESJ_SZ_SK_SL_SM_EUlSZ_E0_NS1_11comp_targetILNS1_3genE0ELNS1_11target_archE4294967295ELNS1_3gpuE0ELNS1_3repE0EEENS1_38merge_mergepath_config_static_selectorELNS0_4arch9wavefront6targetE1EEEvSL_
                                        ; -- End function
	.section	.AMDGPU.csdata,"",@progbits
; Kernel info:
; codeLenInByte = 0
; NumSgprs: 6
; NumVgprs: 0
; NumAgprs: 0
; TotalNumVgprs: 0
; ScratchSize: 0
; MemoryBound: 0
; FloatMode: 240
; IeeeMode: 1
; LDSByteSize: 0 bytes/workgroup (compile time only)
; SGPRBlocks: 0
; VGPRBlocks: 0
; NumSGPRsForWavesPerEU: 6
; NumVGPRsForWavesPerEU: 1
; AccumOffset: 4
; Occupancy: 8
; WaveLimiterHint : 0
; COMPUTE_PGM_RSRC2:SCRATCH_EN: 0
; COMPUTE_PGM_RSRC2:USER_SGPR: 2
; COMPUTE_PGM_RSRC2:TRAP_HANDLER: 0
; COMPUTE_PGM_RSRC2:TGID_X_EN: 1
; COMPUTE_PGM_RSRC2:TGID_Y_EN: 0
; COMPUTE_PGM_RSRC2:TGID_Z_EN: 0
; COMPUTE_PGM_RSRC2:TIDIG_COMP_CNT: 0
; COMPUTE_PGM_RSRC3_GFX90A:ACCUM_OFFSET: 0
; COMPUTE_PGM_RSRC3_GFX90A:TG_SPLIT: 0
	.section	.text._ZN7rocprim17ROCPRIM_400000_NS6detail17trampoline_kernelINS0_14default_configENS1_38merge_sort_block_merge_config_selectorItNS0_10empty_typeEEEZZNS1_27merge_sort_block_merge_implIS3_N6thrust23THRUST_200600_302600_NS6detail15normal_iteratorINS9_10device_ptrItEEEEPS5_jNS1_19radix_merge_compareILb0ELb1EtNS0_19identity_decomposerEEEEE10hipError_tT0_T1_T2_jT3_P12ihipStream_tbPNSt15iterator_traitsISK_E10value_typeEPNSQ_ISL_E10value_typeEPSM_NS1_7vsmem_tEENKUlT_SK_SL_SM_E_clIPtSE_SF_SF_EESJ_SZ_SK_SL_SM_EUlSZ_E0_NS1_11comp_targetILNS1_3genE10ELNS1_11target_archE1201ELNS1_3gpuE5ELNS1_3repE0EEENS1_38merge_mergepath_config_static_selectorELNS0_4arch9wavefront6targetE1EEEvSL_,"axG",@progbits,_ZN7rocprim17ROCPRIM_400000_NS6detail17trampoline_kernelINS0_14default_configENS1_38merge_sort_block_merge_config_selectorItNS0_10empty_typeEEEZZNS1_27merge_sort_block_merge_implIS3_N6thrust23THRUST_200600_302600_NS6detail15normal_iteratorINS9_10device_ptrItEEEEPS5_jNS1_19radix_merge_compareILb0ELb1EtNS0_19identity_decomposerEEEEE10hipError_tT0_T1_T2_jT3_P12ihipStream_tbPNSt15iterator_traitsISK_E10value_typeEPNSQ_ISL_E10value_typeEPSM_NS1_7vsmem_tEENKUlT_SK_SL_SM_E_clIPtSE_SF_SF_EESJ_SZ_SK_SL_SM_EUlSZ_E0_NS1_11comp_targetILNS1_3genE10ELNS1_11target_archE1201ELNS1_3gpuE5ELNS1_3repE0EEENS1_38merge_mergepath_config_static_selectorELNS0_4arch9wavefront6targetE1EEEvSL_,comdat
	.protected	_ZN7rocprim17ROCPRIM_400000_NS6detail17trampoline_kernelINS0_14default_configENS1_38merge_sort_block_merge_config_selectorItNS0_10empty_typeEEEZZNS1_27merge_sort_block_merge_implIS3_N6thrust23THRUST_200600_302600_NS6detail15normal_iteratorINS9_10device_ptrItEEEEPS5_jNS1_19radix_merge_compareILb0ELb1EtNS0_19identity_decomposerEEEEE10hipError_tT0_T1_T2_jT3_P12ihipStream_tbPNSt15iterator_traitsISK_E10value_typeEPNSQ_ISL_E10value_typeEPSM_NS1_7vsmem_tEENKUlT_SK_SL_SM_E_clIPtSE_SF_SF_EESJ_SZ_SK_SL_SM_EUlSZ_E0_NS1_11comp_targetILNS1_3genE10ELNS1_11target_archE1201ELNS1_3gpuE5ELNS1_3repE0EEENS1_38merge_mergepath_config_static_selectorELNS0_4arch9wavefront6targetE1EEEvSL_ ; -- Begin function _ZN7rocprim17ROCPRIM_400000_NS6detail17trampoline_kernelINS0_14default_configENS1_38merge_sort_block_merge_config_selectorItNS0_10empty_typeEEEZZNS1_27merge_sort_block_merge_implIS3_N6thrust23THRUST_200600_302600_NS6detail15normal_iteratorINS9_10device_ptrItEEEEPS5_jNS1_19radix_merge_compareILb0ELb1EtNS0_19identity_decomposerEEEEE10hipError_tT0_T1_T2_jT3_P12ihipStream_tbPNSt15iterator_traitsISK_E10value_typeEPNSQ_ISL_E10value_typeEPSM_NS1_7vsmem_tEENKUlT_SK_SL_SM_E_clIPtSE_SF_SF_EESJ_SZ_SK_SL_SM_EUlSZ_E0_NS1_11comp_targetILNS1_3genE10ELNS1_11target_archE1201ELNS1_3gpuE5ELNS1_3repE0EEENS1_38merge_mergepath_config_static_selectorELNS0_4arch9wavefront6targetE1EEEvSL_
	.globl	_ZN7rocprim17ROCPRIM_400000_NS6detail17trampoline_kernelINS0_14default_configENS1_38merge_sort_block_merge_config_selectorItNS0_10empty_typeEEEZZNS1_27merge_sort_block_merge_implIS3_N6thrust23THRUST_200600_302600_NS6detail15normal_iteratorINS9_10device_ptrItEEEEPS5_jNS1_19radix_merge_compareILb0ELb1EtNS0_19identity_decomposerEEEEE10hipError_tT0_T1_T2_jT3_P12ihipStream_tbPNSt15iterator_traitsISK_E10value_typeEPNSQ_ISL_E10value_typeEPSM_NS1_7vsmem_tEENKUlT_SK_SL_SM_E_clIPtSE_SF_SF_EESJ_SZ_SK_SL_SM_EUlSZ_E0_NS1_11comp_targetILNS1_3genE10ELNS1_11target_archE1201ELNS1_3gpuE5ELNS1_3repE0EEENS1_38merge_mergepath_config_static_selectorELNS0_4arch9wavefront6targetE1EEEvSL_
	.p2align	8
	.type	_ZN7rocprim17ROCPRIM_400000_NS6detail17trampoline_kernelINS0_14default_configENS1_38merge_sort_block_merge_config_selectorItNS0_10empty_typeEEEZZNS1_27merge_sort_block_merge_implIS3_N6thrust23THRUST_200600_302600_NS6detail15normal_iteratorINS9_10device_ptrItEEEEPS5_jNS1_19radix_merge_compareILb0ELb1EtNS0_19identity_decomposerEEEEE10hipError_tT0_T1_T2_jT3_P12ihipStream_tbPNSt15iterator_traitsISK_E10value_typeEPNSQ_ISL_E10value_typeEPSM_NS1_7vsmem_tEENKUlT_SK_SL_SM_E_clIPtSE_SF_SF_EESJ_SZ_SK_SL_SM_EUlSZ_E0_NS1_11comp_targetILNS1_3genE10ELNS1_11target_archE1201ELNS1_3gpuE5ELNS1_3repE0EEENS1_38merge_mergepath_config_static_selectorELNS0_4arch9wavefront6targetE1EEEvSL_,@function
_ZN7rocprim17ROCPRIM_400000_NS6detail17trampoline_kernelINS0_14default_configENS1_38merge_sort_block_merge_config_selectorItNS0_10empty_typeEEEZZNS1_27merge_sort_block_merge_implIS3_N6thrust23THRUST_200600_302600_NS6detail15normal_iteratorINS9_10device_ptrItEEEEPS5_jNS1_19radix_merge_compareILb0ELb1EtNS0_19identity_decomposerEEEEE10hipError_tT0_T1_T2_jT3_P12ihipStream_tbPNSt15iterator_traitsISK_E10value_typeEPNSQ_ISL_E10value_typeEPSM_NS1_7vsmem_tEENKUlT_SK_SL_SM_E_clIPtSE_SF_SF_EESJ_SZ_SK_SL_SM_EUlSZ_E0_NS1_11comp_targetILNS1_3genE10ELNS1_11target_archE1201ELNS1_3gpuE5ELNS1_3repE0EEENS1_38merge_mergepath_config_static_selectorELNS0_4arch9wavefront6targetE1EEEvSL_: ; @_ZN7rocprim17ROCPRIM_400000_NS6detail17trampoline_kernelINS0_14default_configENS1_38merge_sort_block_merge_config_selectorItNS0_10empty_typeEEEZZNS1_27merge_sort_block_merge_implIS3_N6thrust23THRUST_200600_302600_NS6detail15normal_iteratorINS9_10device_ptrItEEEEPS5_jNS1_19radix_merge_compareILb0ELb1EtNS0_19identity_decomposerEEEEE10hipError_tT0_T1_T2_jT3_P12ihipStream_tbPNSt15iterator_traitsISK_E10value_typeEPNSQ_ISL_E10value_typeEPSM_NS1_7vsmem_tEENKUlT_SK_SL_SM_E_clIPtSE_SF_SF_EESJ_SZ_SK_SL_SM_EUlSZ_E0_NS1_11comp_targetILNS1_3genE10ELNS1_11target_archE1201ELNS1_3gpuE5ELNS1_3repE0EEENS1_38merge_mergepath_config_static_selectorELNS0_4arch9wavefront6targetE1EEEvSL_
; %bb.0:
	.section	.rodata,"a",@progbits
	.p2align	6, 0x0
	.amdhsa_kernel _ZN7rocprim17ROCPRIM_400000_NS6detail17trampoline_kernelINS0_14default_configENS1_38merge_sort_block_merge_config_selectorItNS0_10empty_typeEEEZZNS1_27merge_sort_block_merge_implIS3_N6thrust23THRUST_200600_302600_NS6detail15normal_iteratorINS9_10device_ptrItEEEEPS5_jNS1_19radix_merge_compareILb0ELb1EtNS0_19identity_decomposerEEEEE10hipError_tT0_T1_T2_jT3_P12ihipStream_tbPNSt15iterator_traitsISK_E10value_typeEPNSQ_ISL_E10value_typeEPSM_NS1_7vsmem_tEENKUlT_SK_SL_SM_E_clIPtSE_SF_SF_EESJ_SZ_SK_SL_SM_EUlSZ_E0_NS1_11comp_targetILNS1_3genE10ELNS1_11target_archE1201ELNS1_3gpuE5ELNS1_3repE0EEENS1_38merge_mergepath_config_static_selectorELNS0_4arch9wavefront6targetE1EEEvSL_
		.amdhsa_group_segment_fixed_size 0
		.amdhsa_private_segment_fixed_size 0
		.amdhsa_kernarg_size 64
		.amdhsa_user_sgpr_count 2
		.amdhsa_user_sgpr_dispatch_ptr 0
		.amdhsa_user_sgpr_queue_ptr 0
		.amdhsa_user_sgpr_kernarg_segment_ptr 1
		.amdhsa_user_sgpr_dispatch_id 0
		.amdhsa_user_sgpr_kernarg_preload_length 0
		.amdhsa_user_sgpr_kernarg_preload_offset 0
		.amdhsa_user_sgpr_private_segment_size 0
		.amdhsa_uses_dynamic_stack 0
		.amdhsa_enable_private_segment 0
		.amdhsa_system_sgpr_workgroup_id_x 1
		.amdhsa_system_sgpr_workgroup_id_y 0
		.amdhsa_system_sgpr_workgroup_id_z 0
		.amdhsa_system_sgpr_workgroup_info 0
		.amdhsa_system_vgpr_workitem_id 0
		.amdhsa_next_free_vgpr 1
		.amdhsa_next_free_sgpr 0
		.amdhsa_accum_offset 4
		.amdhsa_reserve_vcc 0
		.amdhsa_float_round_mode_32 0
		.amdhsa_float_round_mode_16_64 0
		.amdhsa_float_denorm_mode_32 3
		.amdhsa_float_denorm_mode_16_64 3
		.amdhsa_dx10_clamp 1
		.amdhsa_ieee_mode 1
		.amdhsa_fp16_overflow 0
		.amdhsa_tg_split 0
		.amdhsa_exception_fp_ieee_invalid_op 0
		.amdhsa_exception_fp_denorm_src 0
		.amdhsa_exception_fp_ieee_div_zero 0
		.amdhsa_exception_fp_ieee_overflow 0
		.amdhsa_exception_fp_ieee_underflow 0
		.amdhsa_exception_fp_ieee_inexact 0
		.amdhsa_exception_int_div_zero 0
	.end_amdhsa_kernel
	.section	.text._ZN7rocprim17ROCPRIM_400000_NS6detail17trampoline_kernelINS0_14default_configENS1_38merge_sort_block_merge_config_selectorItNS0_10empty_typeEEEZZNS1_27merge_sort_block_merge_implIS3_N6thrust23THRUST_200600_302600_NS6detail15normal_iteratorINS9_10device_ptrItEEEEPS5_jNS1_19radix_merge_compareILb0ELb1EtNS0_19identity_decomposerEEEEE10hipError_tT0_T1_T2_jT3_P12ihipStream_tbPNSt15iterator_traitsISK_E10value_typeEPNSQ_ISL_E10value_typeEPSM_NS1_7vsmem_tEENKUlT_SK_SL_SM_E_clIPtSE_SF_SF_EESJ_SZ_SK_SL_SM_EUlSZ_E0_NS1_11comp_targetILNS1_3genE10ELNS1_11target_archE1201ELNS1_3gpuE5ELNS1_3repE0EEENS1_38merge_mergepath_config_static_selectorELNS0_4arch9wavefront6targetE1EEEvSL_,"axG",@progbits,_ZN7rocprim17ROCPRIM_400000_NS6detail17trampoline_kernelINS0_14default_configENS1_38merge_sort_block_merge_config_selectorItNS0_10empty_typeEEEZZNS1_27merge_sort_block_merge_implIS3_N6thrust23THRUST_200600_302600_NS6detail15normal_iteratorINS9_10device_ptrItEEEEPS5_jNS1_19radix_merge_compareILb0ELb1EtNS0_19identity_decomposerEEEEE10hipError_tT0_T1_T2_jT3_P12ihipStream_tbPNSt15iterator_traitsISK_E10value_typeEPNSQ_ISL_E10value_typeEPSM_NS1_7vsmem_tEENKUlT_SK_SL_SM_E_clIPtSE_SF_SF_EESJ_SZ_SK_SL_SM_EUlSZ_E0_NS1_11comp_targetILNS1_3genE10ELNS1_11target_archE1201ELNS1_3gpuE5ELNS1_3repE0EEENS1_38merge_mergepath_config_static_selectorELNS0_4arch9wavefront6targetE1EEEvSL_,comdat
.Lfunc_end1272:
	.size	_ZN7rocprim17ROCPRIM_400000_NS6detail17trampoline_kernelINS0_14default_configENS1_38merge_sort_block_merge_config_selectorItNS0_10empty_typeEEEZZNS1_27merge_sort_block_merge_implIS3_N6thrust23THRUST_200600_302600_NS6detail15normal_iteratorINS9_10device_ptrItEEEEPS5_jNS1_19radix_merge_compareILb0ELb1EtNS0_19identity_decomposerEEEEE10hipError_tT0_T1_T2_jT3_P12ihipStream_tbPNSt15iterator_traitsISK_E10value_typeEPNSQ_ISL_E10value_typeEPSM_NS1_7vsmem_tEENKUlT_SK_SL_SM_E_clIPtSE_SF_SF_EESJ_SZ_SK_SL_SM_EUlSZ_E0_NS1_11comp_targetILNS1_3genE10ELNS1_11target_archE1201ELNS1_3gpuE5ELNS1_3repE0EEENS1_38merge_mergepath_config_static_selectorELNS0_4arch9wavefront6targetE1EEEvSL_, .Lfunc_end1272-_ZN7rocprim17ROCPRIM_400000_NS6detail17trampoline_kernelINS0_14default_configENS1_38merge_sort_block_merge_config_selectorItNS0_10empty_typeEEEZZNS1_27merge_sort_block_merge_implIS3_N6thrust23THRUST_200600_302600_NS6detail15normal_iteratorINS9_10device_ptrItEEEEPS5_jNS1_19radix_merge_compareILb0ELb1EtNS0_19identity_decomposerEEEEE10hipError_tT0_T1_T2_jT3_P12ihipStream_tbPNSt15iterator_traitsISK_E10value_typeEPNSQ_ISL_E10value_typeEPSM_NS1_7vsmem_tEENKUlT_SK_SL_SM_E_clIPtSE_SF_SF_EESJ_SZ_SK_SL_SM_EUlSZ_E0_NS1_11comp_targetILNS1_3genE10ELNS1_11target_archE1201ELNS1_3gpuE5ELNS1_3repE0EEENS1_38merge_mergepath_config_static_selectorELNS0_4arch9wavefront6targetE1EEEvSL_
                                        ; -- End function
	.section	.AMDGPU.csdata,"",@progbits
; Kernel info:
; codeLenInByte = 0
; NumSgprs: 6
; NumVgprs: 0
; NumAgprs: 0
; TotalNumVgprs: 0
; ScratchSize: 0
; MemoryBound: 0
; FloatMode: 240
; IeeeMode: 1
; LDSByteSize: 0 bytes/workgroup (compile time only)
; SGPRBlocks: 0
; VGPRBlocks: 0
; NumSGPRsForWavesPerEU: 6
; NumVGPRsForWavesPerEU: 1
; AccumOffset: 4
; Occupancy: 8
; WaveLimiterHint : 0
; COMPUTE_PGM_RSRC2:SCRATCH_EN: 0
; COMPUTE_PGM_RSRC2:USER_SGPR: 2
; COMPUTE_PGM_RSRC2:TRAP_HANDLER: 0
; COMPUTE_PGM_RSRC2:TGID_X_EN: 1
; COMPUTE_PGM_RSRC2:TGID_Y_EN: 0
; COMPUTE_PGM_RSRC2:TGID_Z_EN: 0
; COMPUTE_PGM_RSRC2:TIDIG_COMP_CNT: 0
; COMPUTE_PGM_RSRC3_GFX90A:ACCUM_OFFSET: 0
; COMPUTE_PGM_RSRC3_GFX90A:TG_SPLIT: 0
	.section	.text._ZN7rocprim17ROCPRIM_400000_NS6detail17trampoline_kernelINS0_14default_configENS1_38merge_sort_block_merge_config_selectorItNS0_10empty_typeEEEZZNS1_27merge_sort_block_merge_implIS3_N6thrust23THRUST_200600_302600_NS6detail15normal_iteratorINS9_10device_ptrItEEEEPS5_jNS1_19radix_merge_compareILb0ELb1EtNS0_19identity_decomposerEEEEE10hipError_tT0_T1_T2_jT3_P12ihipStream_tbPNSt15iterator_traitsISK_E10value_typeEPNSQ_ISL_E10value_typeEPSM_NS1_7vsmem_tEENKUlT_SK_SL_SM_E_clIPtSE_SF_SF_EESJ_SZ_SK_SL_SM_EUlSZ_E0_NS1_11comp_targetILNS1_3genE5ELNS1_11target_archE942ELNS1_3gpuE9ELNS1_3repE0EEENS1_38merge_mergepath_config_static_selectorELNS0_4arch9wavefront6targetE1EEEvSL_,"axG",@progbits,_ZN7rocprim17ROCPRIM_400000_NS6detail17trampoline_kernelINS0_14default_configENS1_38merge_sort_block_merge_config_selectorItNS0_10empty_typeEEEZZNS1_27merge_sort_block_merge_implIS3_N6thrust23THRUST_200600_302600_NS6detail15normal_iteratorINS9_10device_ptrItEEEEPS5_jNS1_19radix_merge_compareILb0ELb1EtNS0_19identity_decomposerEEEEE10hipError_tT0_T1_T2_jT3_P12ihipStream_tbPNSt15iterator_traitsISK_E10value_typeEPNSQ_ISL_E10value_typeEPSM_NS1_7vsmem_tEENKUlT_SK_SL_SM_E_clIPtSE_SF_SF_EESJ_SZ_SK_SL_SM_EUlSZ_E0_NS1_11comp_targetILNS1_3genE5ELNS1_11target_archE942ELNS1_3gpuE9ELNS1_3repE0EEENS1_38merge_mergepath_config_static_selectorELNS0_4arch9wavefront6targetE1EEEvSL_,comdat
	.protected	_ZN7rocprim17ROCPRIM_400000_NS6detail17trampoline_kernelINS0_14default_configENS1_38merge_sort_block_merge_config_selectorItNS0_10empty_typeEEEZZNS1_27merge_sort_block_merge_implIS3_N6thrust23THRUST_200600_302600_NS6detail15normal_iteratorINS9_10device_ptrItEEEEPS5_jNS1_19radix_merge_compareILb0ELb1EtNS0_19identity_decomposerEEEEE10hipError_tT0_T1_T2_jT3_P12ihipStream_tbPNSt15iterator_traitsISK_E10value_typeEPNSQ_ISL_E10value_typeEPSM_NS1_7vsmem_tEENKUlT_SK_SL_SM_E_clIPtSE_SF_SF_EESJ_SZ_SK_SL_SM_EUlSZ_E0_NS1_11comp_targetILNS1_3genE5ELNS1_11target_archE942ELNS1_3gpuE9ELNS1_3repE0EEENS1_38merge_mergepath_config_static_selectorELNS0_4arch9wavefront6targetE1EEEvSL_ ; -- Begin function _ZN7rocprim17ROCPRIM_400000_NS6detail17trampoline_kernelINS0_14default_configENS1_38merge_sort_block_merge_config_selectorItNS0_10empty_typeEEEZZNS1_27merge_sort_block_merge_implIS3_N6thrust23THRUST_200600_302600_NS6detail15normal_iteratorINS9_10device_ptrItEEEEPS5_jNS1_19radix_merge_compareILb0ELb1EtNS0_19identity_decomposerEEEEE10hipError_tT0_T1_T2_jT3_P12ihipStream_tbPNSt15iterator_traitsISK_E10value_typeEPNSQ_ISL_E10value_typeEPSM_NS1_7vsmem_tEENKUlT_SK_SL_SM_E_clIPtSE_SF_SF_EESJ_SZ_SK_SL_SM_EUlSZ_E0_NS1_11comp_targetILNS1_3genE5ELNS1_11target_archE942ELNS1_3gpuE9ELNS1_3repE0EEENS1_38merge_mergepath_config_static_selectorELNS0_4arch9wavefront6targetE1EEEvSL_
	.globl	_ZN7rocprim17ROCPRIM_400000_NS6detail17trampoline_kernelINS0_14default_configENS1_38merge_sort_block_merge_config_selectorItNS0_10empty_typeEEEZZNS1_27merge_sort_block_merge_implIS3_N6thrust23THRUST_200600_302600_NS6detail15normal_iteratorINS9_10device_ptrItEEEEPS5_jNS1_19radix_merge_compareILb0ELb1EtNS0_19identity_decomposerEEEEE10hipError_tT0_T1_T2_jT3_P12ihipStream_tbPNSt15iterator_traitsISK_E10value_typeEPNSQ_ISL_E10value_typeEPSM_NS1_7vsmem_tEENKUlT_SK_SL_SM_E_clIPtSE_SF_SF_EESJ_SZ_SK_SL_SM_EUlSZ_E0_NS1_11comp_targetILNS1_3genE5ELNS1_11target_archE942ELNS1_3gpuE9ELNS1_3repE0EEENS1_38merge_mergepath_config_static_selectorELNS0_4arch9wavefront6targetE1EEEvSL_
	.p2align	8
	.type	_ZN7rocprim17ROCPRIM_400000_NS6detail17trampoline_kernelINS0_14default_configENS1_38merge_sort_block_merge_config_selectorItNS0_10empty_typeEEEZZNS1_27merge_sort_block_merge_implIS3_N6thrust23THRUST_200600_302600_NS6detail15normal_iteratorINS9_10device_ptrItEEEEPS5_jNS1_19radix_merge_compareILb0ELb1EtNS0_19identity_decomposerEEEEE10hipError_tT0_T1_T2_jT3_P12ihipStream_tbPNSt15iterator_traitsISK_E10value_typeEPNSQ_ISL_E10value_typeEPSM_NS1_7vsmem_tEENKUlT_SK_SL_SM_E_clIPtSE_SF_SF_EESJ_SZ_SK_SL_SM_EUlSZ_E0_NS1_11comp_targetILNS1_3genE5ELNS1_11target_archE942ELNS1_3gpuE9ELNS1_3repE0EEENS1_38merge_mergepath_config_static_selectorELNS0_4arch9wavefront6targetE1EEEvSL_,@function
_ZN7rocprim17ROCPRIM_400000_NS6detail17trampoline_kernelINS0_14default_configENS1_38merge_sort_block_merge_config_selectorItNS0_10empty_typeEEEZZNS1_27merge_sort_block_merge_implIS3_N6thrust23THRUST_200600_302600_NS6detail15normal_iteratorINS9_10device_ptrItEEEEPS5_jNS1_19radix_merge_compareILb0ELb1EtNS0_19identity_decomposerEEEEE10hipError_tT0_T1_T2_jT3_P12ihipStream_tbPNSt15iterator_traitsISK_E10value_typeEPNSQ_ISL_E10value_typeEPSM_NS1_7vsmem_tEENKUlT_SK_SL_SM_E_clIPtSE_SF_SF_EESJ_SZ_SK_SL_SM_EUlSZ_E0_NS1_11comp_targetILNS1_3genE5ELNS1_11target_archE942ELNS1_3gpuE9ELNS1_3repE0EEENS1_38merge_mergepath_config_static_selectorELNS0_4arch9wavefront6targetE1EEEvSL_: ; @_ZN7rocprim17ROCPRIM_400000_NS6detail17trampoline_kernelINS0_14default_configENS1_38merge_sort_block_merge_config_selectorItNS0_10empty_typeEEEZZNS1_27merge_sort_block_merge_implIS3_N6thrust23THRUST_200600_302600_NS6detail15normal_iteratorINS9_10device_ptrItEEEEPS5_jNS1_19radix_merge_compareILb0ELb1EtNS0_19identity_decomposerEEEEE10hipError_tT0_T1_T2_jT3_P12ihipStream_tbPNSt15iterator_traitsISK_E10value_typeEPNSQ_ISL_E10value_typeEPSM_NS1_7vsmem_tEENKUlT_SK_SL_SM_E_clIPtSE_SF_SF_EESJ_SZ_SK_SL_SM_EUlSZ_E0_NS1_11comp_targetILNS1_3genE5ELNS1_11target_archE942ELNS1_3gpuE9ELNS1_3repE0EEENS1_38merge_mergepath_config_static_selectorELNS0_4arch9wavefront6targetE1EEEvSL_
; %bb.0:
	s_load_dwordx2 s[12:13], s[0:1], 0x40
	s_load_dword s5, s[0:1], 0x30
	s_add_u32 s8, s0, 64
	s_addc_u32 s9, s1, 0
	s_waitcnt lgkmcnt(0)
	s_mul_i32 s4, s13, s4
	s_add_i32 s3, s4, s3
	s_mul_i32 s3, s3, s12
	s_add_i32 s10, s3, s2
	s_cmp_ge_u32 s10, s5
	s_cbranch_scc1 .LBB1273_43
; %bb.1:
	s_load_dwordx2 s[14:15], s[0:1], 0x28
	s_load_dwordx2 s[4:5], s[0:1], 0x38
	;; [unrolled: 1-line block ×3, first 2 shown]
	s_mov_b32 s11, 0
	v_mov_b32_e32 v7, 0
	s_waitcnt lgkmcnt(0)
	s_lshr_b32 s22, s14, 10
	s_cmp_lg_u32 s10, s22
	s_cselect_b64 s[18:19], -1, 0
	s_lshl_b64 s[16:17], s[10:11], 2
	s_add_u32 s4, s4, s16
	s_addc_u32 s5, s5, s17
	s_lshr_b32 s3, s15, 9
	s_and_b32 s3, s3, 0x7ffffe
	s_load_dwordx2 s[4:5], s[4:5], 0x0
	s_sub_i32 s3, 0, s3
	s_and_b32 s13, s10, s3
	s_lshl_b32 s17, s13, 10
	s_lshl_b32 s16, s10, 10
	;; [unrolled: 1-line block ×3, first 2 shown]
	s_sub_i32 s20, s16, s17
	s_add_i32 s13, s13, s15
	s_add_i32 s21, s13, s20
	s_waitcnt lgkmcnt(0)
	s_sub_i32 s20, s21, s4
	s_sub_i32 s21, s21, s5
	s_sub_i32 s13, s13, s17
	s_min_u32 s20, s14, s20
	s_addk_i32 s21, 0x400
	s_or_b32 s3, s10, s3
	s_min_u32 s17, s14, s13
	s_add_i32 s13, s13, s15
	s_cmp_eq_u32 s3, -1
	s_cselect_b32 s3, s13, s21
	s_cselect_b32 s5, s17, s5
	s_min_u32 s3, s3, s14
	s_sub_i32 s15, s5, s4
	s_mov_b32 s5, s11
	s_sub_i32 s13, s3, s20
	s_lshl_b64 s[4:5], s[4:5], 1
	s_add_u32 s4, s6, s4
	s_mov_b32 s21, s11
	s_addc_u32 s5, s7, s5
	s_lshl_b64 s[20:21], s[20:21], 1
	s_add_u32 s6, s6, s20
	s_addc_u32 s7, s7, s21
	s_cmp_lt_u32 s2, s12
	s_cselect_b32 s2, 12, 18
	global_load_dword v1, v7, s[8:9] offset:14
	s_add_u32 s2, s8, s2
	s_addc_u32 s3, s9, 0
	global_load_ushort v2, v7, s[2:3]
	s_cmp_eq_u32 s10, s22
	v_lshlrev_b32_e32 v6, 1, v0
	s_waitcnt vmcnt(1)
	v_lshrrev_b32_e32 v3, 16, v1
	v_and_b32_e32 v1, 0xffff, v1
	v_mul_lo_u32 v1, v1, v3
	s_waitcnt vmcnt(0)
	v_mul_lo_u32 v1, v1, v2
	v_add_u32_e32 v10, v1, v0
	v_add_u32_e32 v8, v10, v1
	s_cbranch_scc1 .LBB1273_3
; %bb.2:
	v_subrev_u32_e32 v4, s15, v0
	v_mov_b32_e32 v5, v7
	v_lshl_add_u64 v[2:3], s[4:5], 0, v[6:7]
	v_lshl_add_u64 v[4:5], v[4:5], 1, s[6:7]
	v_cmp_gt_u32_e32 vcc, s15, v0
	v_mov_b32_e32 v11, v7
	v_mov_b32_e32 v9, v7
	v_cndmask_b32_e32 v3, v5, v3, vcc
	v_cndmask_b32_e32 v2, v4, v2, vcc
	v_subrev_u32_e32 v4, s15, v10
	v_mov_b32_e32 v5, v7
	global_load_ushort v14, v[2:3], off
	v_lshl_add_u64 v[2:3], v[10:11], 1, s[4:5]
	v_lshl_add_u64 v[4:5], v[4:5], 1, s[6:7]
	v_cmp_gt_u32_e32 vcc, s15, v10
	v_mov_b32_e32 v13, v7
	s_mov_b32 s2, 0x5040100
	v_cndmask_b32_e32 v3, v5, v3, vcc
	v_cndmask_b32_e32 v2, v4, v2, vcc
	v_subrev_u32_e32 v4, s15, v8
	v_mov_b32_e32 v5, v7
	global_load_ushort v11, v[2:3], off
	v_lshl_add_u64 v[2:3], v[8:9], 1, s[4:5]
	v_lshl_add_u64 v[4:5], v[4:5], 1, s[6:7]
	v_cmp_gt_u32_e32 vcc, s15, v8
	s_add_i32 s17, s13, s15
	s_nop 0
	v_cndmask_b32_e32 v3, v5, v3, vcc
	v_cndmask_b32_e32 v2, v4, v2, vcc
	global_load_ushort v9, v[2:3], off
	v_add_u32_e32 v2, v8, v1
	v_mov_b32_e32 v3, v7
	v_subrev_u32_e32 v12, s15, v2
	v_lshl_add_u64 v[4:5], v[2:3], 1, s[4:5]
	v_lshl_add_u64 v[12:13], v[12:13], 1, s[6:7]
	v_cmp_gt_u32_e32 vcc, s15, v2
	v_add_u32_e32 v2, v2, v1
	s_nop 0
	v_cndmask_b32_e32 v5, v13, v5, vcc
	v_cndmask_b32_e32 v4, v12, v4, vcc
	v_subrev_u32_e32 v12, s15, v2
	v_mov_b32_e32 v13, v7
	global_load_ushort v15, v[4:5], off
	v_lshl_add_u64 v[4:5], v[2:3], 1, s[4:5]
	v_lshl_add_u64 v[12:13], v[12:13], 1, s[6:7]
	v_cmp_gt_u32_e32 vcc, s15, v2
	v_add_u32_e32 v2, v2, v1
	s_nop 0
	v_cndmask_b32_e32 v5, v13, v5, vcc
	v_cndmask_b32_e32 v4, v12, v4, vcc
	v_subrev_u32_e32 v12, s15, v2
	v_mov_b32_e32 v13, v7
	global_load_ushort v16, v[4:5], off
	v_lshl_add_u64 v[4:5], v[2:3], 1, s[4:5]
	v_lshl_add_u64 v[12:13], v[12:13], 1, s[6:7]
	v_cmp_gt_u32_e32 vcc, s15, v2
	v_add_u32_e32 v2, v2, v1
	s_nop 0
	v_cndmask_b32_e32 v5, v13, v5, vcc
	v_cndmask_b32_e32 v4, v12, v4, vcc
	v_subrev_u32_e32 v12, s15, v2
	v_mov_b32_e32 v13, v7
	global_load_ushort v17, v[4:5], off
	v_lshl_add_u64 v[4:5], v[2:3], 1, s[4:5]
	v_lshl_add_u64 v[12:13], v[12:13], 1, s[6:7]
	v_cmp_gt_u32_e32 vcc, s15, v2
	v_add_u32_e32 v2, v2, v1
	s_nop 0
	v_cndmask_b32_e32 v5, v13, v5, vcc
	v_cndmask_b32_e32 v4, v12, v4, vcc
	v_subrev_u32_e32 v12, s15, v2
	v_mov_b32_e32 v13, v7
	global_load_ushort v18, v[4:5], off
	v_lshl_add_u64 v[4:5], v[2:3], 1, s[4:5]
	v_lshl_add_u64 v[12:13], v[12:13], 1, s[6:7]
	v_cmp_gt_u32_e32 vcc, s15, v2
	s_nop 1
	v_cndmask_b32_e32 v3, v13, v5, vcc
	v_cndmask_b32_e32 v2, v12, v4, vcc
	global_load_ushort v5, v[2:3], off
	s_waitcnt vmcnt(6)
	v_perm_b32 v2, v11, v14, s2
	s_waitcnt vmcnt(4)
	v_perm_b32 v3, v15, v9, s2
	;; [unrolled: 2-line block ×4, first 2 shown]
	s_load_dwordx2 s[20:21], s[0:1], 0x10
	s_cbranch_execz .LBB1273_4
	s_branch .LBB1273_19
.LBB1273_3:
                                        ; implicit-def: $vgpr2_vgpr3_vgpr4_vgpr5
                                        ; implicit-def: $sgpr17
	s_load_dwordx2 s[20:21], s[0:1], 0x10
.LBB1273_4:
	s_add_i32 s17, s13, s15
	v_cmp_gt_u32_e32 vcc, s17, v0
                                        ; implicit-def: $vgpr2_vgpr3_vgpr4_vgpr5
	s_and_saveexec_b64 s[2:3], vcc
	s_cbranch_execnz .LBB1273_44
; %bb.5:
	s_or_b64 exec, exec, s[2:3]
	v_cmp_gt_u32_e32 vcc, s17, v10
	s_and_saveexec_b64 s[2:3], vcc
	s_cbranch_execnz .LBB1273_45
.LBB1273_6:
	s_or_b64 exec, exec, s[2:3]
	v_cmp_gt_u32_e32 vcc, s17, v8
	s_and_saveexec_b64 s[2:3], vcc
	s_cbranch_execz .LBB1273_8
.LBB1273_7:
	v_mov_b32_e32 v9, 0
	v_subrev_u32_e32 v12, s15, v8
	v_mov_b32_e32 v13, v9
	v_lshl_add_u64 v[10:11], v[8:9], 1, s[4:5]
	v_lshl_add_u64 v[12:13], v[12:13], 1, s[6:7]
	v_cmp_gt_u32_e32 vcc, s15, v8
	s_mov_b32 s8, 0xffff
	s_nop 0
	v_cndmask_b32_e32 v11, v13, v11, vcc
	v_cndmask_b32_e32 v10, v12, v10, vcc
	global_load_ushort v7, v[10:11], off
	s_waitcnt vmcnt(0)
	v_bfi_b32 v3, s8, v7, v3
.LBB1273_8:
	s_or_b64 exec, exec, s[2:3]
	v_add_u32_e32 v8, v8, v1
	v_cmp_gt_u32_e32 vcc, s17, v8
	s_and_saveexec_b64 s[2:3], vcc
	s_cbranch_execz .LBB1273_10
; %bb.9:
	v_mov_b32_e32 v9, 0
	v_subrev_u32_e32 v12, s15, v8
	v_mov_b32_e32 v13, v9
	v_lshl_add_u64 v[10:11], v[8:9], 1, s[4:5]
	v_lshl_add_u64 v[12:13], v[12:13], 1, s[6:7]
	v_cmp_gt_u32_e32 vcc, s15, v8
	s_mov_b32 s8, 0x5040100
	s_nop 0
	v_cndmask_b32_e32 v11, v13, v11, vcc
	v_cndmask_b32_e32 v10, v12, v10, vcc
	global_load_ushort v7, v[10:11], off
	s_waitcnt vmcnt(0)
	v_perm_b32 v3, v7, v3, s8
.LBB1273_10:
	s_or_b64 exec, exec, s[2:3]
	v_add_u32_e32 v8, v8, v1
	v_cmp_gt_u32_e32 vcc, s17, v8
	s_and_saveexec_b64 s[2:3], vcc
	s_cbranch_execz .LBB1273_12
; %bb.11:
	v_mov_b32_e32 v9, 0
	v_subrev_u32_e32 v12, s15, v8
	v_mov_b32_e32 v13, v9
	v_lshl_add_u64 v[10:11], v[8:9], 1, s[4:5]
	v_lshl_add_u64 v[12:13], v[12:13], 1, s[6:7]
	v_cmp_gt_u32_e32 vcc, s15, v8
	s_mov_b32 s8, 0xffff
	s_nop 0
	v_cndmask_b32_e32 v11, v13, v11, vcc
	v_cndmask_b32_e32 v10, v12, v10, vcc
	global_load_ushort v7, v[10:11], off
	s_waitcnt vmcnt(0)
	v_bfi_b32 v4, s8, v7, v4
.LBB1273_12:
	s_or_b64 exec, exec, s[2:3]
	v_add_u32_e32 v8, v8, v1
	v_cmp_gt_u32_e32 vcc, s17, v8
	s_and_saveexec_b64 s[2:3], vcc
	s_cbranch_execz .LBB1273_14
; %bb.13:
	v_mov_b32_e32 v9, 0
	v_subrev_u32_e32 v12, s15, v8
	v_mov_b32_e32 v13, v9
	v_lshl_add_u64 v[10:11], v[8:9], 1, s[4:5]
	v_lshl_add_u64 v[12:13], v[12:13], 1, s[6:7]
	v_cmp_gt_u32_e32 vcc, s15, v8
	s_mov_b32 s8, 0x5040100
	s_nop 0
	v_cndmask_b32_e32 v11, v13, v11, vcc
	v_cndmask_b32_e32 v10, v12, v10, vcc
	global_load_ushort v7, v[10:11], off
	s_waitcnt vmcnt(0)
	v_perm_b32 v4, v7, v4, s8
.LBB1273_14:
	s_or_b64 exec, exec, s[2:3]
	v_add_u32_e32 v8, v8, v1
	v_cmp_gt_u32_e32 vcc, s17, v8
	s_and_saveexec_b64 s[2:3], vcc
	s_cbranch_execz .LBB1273_16
; %bb.15:
	v_mov_b32_e32 v9, 0
	v_subrev_u32_e32 v12, s15, v8
	v_mov_b32_e32 v13, v9
	v_lshl_add_u64 v[10:11], v[8:9], 1, s[4:5]
	v_lshl_add_u64 v[12:13], v[12:13], 1, s[6:7]
	v_cmp_gt_u32_e32 vcc, s15, v8
	s_mov_b32 s8, 0xffff
	s_nop 0
	v_cndmask_b32_e32 v11, v13, v11, vcc
	v_cndmask_b32_e32 v10, v12, v10, vcc
	global_load_ushort v7, v[10:11], off
	s_waitcnt vmcnt(0)
	v_bfi_b32 v5, s8, v7, v5
.LBB1273_16:
	s_or_b64 exec, exec, s[2:3]
	v_add_u32_e32 v8, v8, v1
	v_cmp_gt_u32_e32 vcc, s17, v8
	s_and_saveexec_b64 s[2:3], vcc
	s_cbranch_execz .LBB1273_18
; %bb.17:
	v_mov_b32_e32 v9, 0
	v_lshl_add_u64 v[10:11], v[8:9], 1, s[4:5]
	v_cmp_gt_u32_e32 vcc, s15, v8
	v_subrev_u32_e32 v8, s15, v8
	v_lshl_add_u64 v[8:9], v[8:9], 1, s[6:7]
	v_cndmask_b32_e32 v9, v9, v11, vcc
	v_cndmask_b32_e32 v8, v8, v10, vcc
	global_load_ushort v1, v[8:9], off
	s_mov_b32 s4, 0x5040100
	s_waitcnt vmcnt(0)
	v_perm_b32 v5, v1, v5, s4
.LBB1273_18:
	s_or_b64 exec, exec, s[2:3]
.LBB1273_19:
	s_load_dword s24, s[0:1], 0x34
	v_lshlrev_b32_e32 v1, 3, v0
	v_min_u32_e32 v12, s17, v1
	v_sub_u32_e64 v11, v12, s13 clamp
	v_min_u32_e32 v13, s15, v12
	s_waitcnt vmcnt(0)
	v_lshrrev_b32_e32 v7, 16, v2
	v_lshrrev_b32_e32 v8, 16, v3
	;; [unrolled: 1-line block ×4, first 2 shown]
	v_cmp_lt_u32_e32 vcc, v11, v13
	ds_write_b16 v6, v2
	ds_write_b16 v6, v7 offset:256
	ds_write_b16 v6, v3 offset:512
	ds_write_b16 v6, v8 offset:768
	ds_write_b16 v6, v4 offset:1024
	ds_write_b16 v6, v9 offset:1280
	ds_write_b16 v6, v5 offset:1536
	ds_write_b16 v6, v10 offset:1792
	s_waitcnt lgkmcnt(0)
	s_barrier
	s_and_saveexec_b64 s[0:1], vcc
	s_cbranch_execz .LBB1273_23
; %bb.20:
	v_lshlrev_b32_e32 v14, 1, v12
	v_lshl_add_u32 v14, s15, 1, v14
	s_mov_b64 s[2:3], 0
.LBB1273_21:                            ; =>This Inner Loop Header: Depth=1
	v_add_u32_e32 v15, v13, v11
	v_lshrrev_b32_e32 v16, 1, v15
	v_not_b32_e32 v17, v16
	v_and_b32_e32 v15, -2, v15
	v_lshl_add_u32 v17, v17, 1, v14
	ds_read_u16 v15, v15
	ds_read_u16 v17, v17
	v_add_u32_e32 v18, 1, v16
	s_waitcnt lgkmcnt(1)
	v_and_b32_e32 v15, s24, v15
	s_waitcnt lgkmcnt(0)
	v_and_b32_e32 v17, s24, v17
	v_cmp_gt_u16_e32 vcc, v15, v17
	s_nop 1
	v_cndmask_b32_e32 v13, v13, v16, vcc
	v_cndmask_b32_e32 v11, v18, v11, vcc
	v_cmp_ge_u32_e32 vcc, v11, v13
	s_or_b64 s[2:3], vcc, s[2:3]
	s_andn2_b64 exec, exec, s[2:3]
	s_cbranch_execnz .LBB1273_21
; %bb.22:
	s_or_b64 exec, exec, s[2:3]
.LBB1273_23:
	s_or_b64 exec, exec, s[0:1]
	v_sub_u32_e32 v12, v12, v11
	v_add_u32_e32 v12, s15, v12
	v_cmp_ge_u32_e32 vcc, s15, v11
	v_cmp_ge_u32_e64 s[0:1], s17, v12
	s_or_b64 s[0:1], vcc, s[0:1]
	s_and_saveexec_b64 s[22:23], s[0:1]
	s_cbranch_execz .LBB1273_29
; %bb.24:
	v_cmp_gt_u32_e32 vcc, s15, v11
                                        ; implicit-def: $vgpr2
	s_and_saveexec_b64 s[0:1], vcc
	s_cbranch_execz .LBB1273_26
; %bb.25:
	v_lshlrev_b32_e32 v2, 1, v11
	ds_read_u16 v2, v2
.LBB1273_26:
	s_or_b64 exec, exec, s[0:1]
	v_cmp_le_u32_e64 s[0:1], s17, v12
	v_cmp_gt_u32_e64 s[2:3], s17, v12
                                        ; implicit-def: $vgpr3
	s_and_saveexec_b64 s[4:5], s[2:3]
	s_cbranch_execz .LBB1273_28
; %bb.27:
	v_lshlrev_b32_e32 v3, 1, v12
	ds_read_u16 v3, v3
.LBB1273_28:
	s_or_b64 exec, exec, s[4:5]
	s_waitcnt lgkmcnt(0)
	v_and_b32_e32 v4, s24, v3
	v_and_b32_e32 v5, s24, v2
	v_cmp_le_u16_e64 s[2:3], v5, v4
	s_and_b64 s[2:3], vcc, s[2:3]
	s_or_b64 vcc, s[0:1], s[2:3]
	v_mov_b32_e32 v5, s17
	v_mov_b32_e32 v8, s15
	v_cndmask_b32_e32 v4, v12, v11, vcc
	v_cndmask_b32_e32 v7, v5, v8, vcc
	v_add_u32_e32 v4, 1, v4
	v_add_u32_e32 v7, -1, v7
	v_min_u32_e32 v7, v4, v7
	v_lshlrev_b32_e32 v7, 1, v7
	ds_read_u16 v7, v7
	v_cndmask_b32_e32 v10, v4, v12, vcc
	v_cndmask_b32_e32 v4, v11, v4, vcc
	v_cmp_gt_u32_e64 s[2:3], s15, v4
	v_cmp_le_u32_e64 s[0:1], s17, v10
	s_waitcnt lgkmcnt(0)
	v_cndmask_b32_e32 v9, v7, v3, vcc
	v_cndmask_b32_e32 v7, v2, v7, vcc
	v_and_b32_e32 v11, s24, v9
	v_and_b32_e32 v12, s24, v7
	v_cmp_le_u16_e64 s[4:5], v12, v11
	s_and_b64 s[2:3], s[2:3], s[4:5]
	s_or_b64 s[0:1], s[0:1], s[2:3]
	v_cndmask_b32_e64 v11, v10, v4, s[0:1]
	v_cndmask_b32_e64 v12, v5, v8, s[0:1]
	v_add_u32_e32 v11, 1, v11
	v_add_u32_e32 v12, -1, v12
	v_min_u32_e32 v12, v11, v12
	v_lshlrev_b32_e32 v12, 1, v12
	ds_read_u16 v12, v12
	v_cndmask_b32_e64 v10, v11, v10, s[0:1]
	v_cndmask_b32_e64 v4, v4, v11, s[0:1]
	v_cmp_gt_u32_e64 s[4:5], s15, v4
	v_cmp_le_u32_e64 s[2:3], s17, v10
	s_waitcnt lgkmcnt(0)
	v_cndmask_b32_e64 v13, v12, v9, s[0:1]
	v_cndmask_b32_e64 v12, v7, v12, s[0:1]
	v_and_b32_e32 v11, s24, v13
	v_and_b32_e32 v14, s24, v12
	v_cmp_le_u16_e64 s[6:7], v14, v11
	s_and_b64 s[4:5], s[4:5], s[6:7]
	s_or_b64 s[2:3], s[2:3], s[4:5]
	v_cndmask_b32_e64 v11, v10, v4, s[2:3]
	v_cndmask_b32_e64 v14, v5, v8, s[2:3]
	v_add_u32_e32 v11, 1, v11
	v_add_u32_e32 v14, -1, v14
	v_min_u32_e32 v14, v11, v14
	v_lshlrev_b32_e32 v14, 1, v14
	ds_read_u16 v14, v14
	v_cndmask_b32_e64 v10, v11, v10, s[2:3]
	v_cndmask_b32_e64 v4, v4, v11, s[2:3]
	v_cmp_gt_u32_e64 s[6:7], s15, v4
	v_cmp_le_u32_e64 s[4:5], s17, v10
	s_waitcnt lgkmcnt(0)
	v_cndmask_b32_e64 v15, v14, v13, s[2:3]
	v_cndmask_b32_e64 v14, v12, v14, s[2:3]
	;; [unrolled: 19-line block ×4, first 2 shown]
	v_and_b32_e32 v11, s24, v19
	v_and_b32_e32 v20, s24, v18
	v_cmp_le_u16_e64 s[12:13], v20, v11
	s_and_b64 s[10:11], s[10:11], s[12:13]
	s_or_b64 s[8:9], s[8:9], s[10:11]
	v_cndmask_b32_e64 v11, v10, v4, s[8:9]
	v_cndmask_b32_e64 v20, v5, v8, s[8:9]
	v_add_u32_e32 v11, 1, v11
	v_add_u32_e32 v20, -1, v20
	v_min_u32_e32 v20, v11, v20
	v_lshlrev_b32_e32 v20, 1, v20
	ds_read_u16 v20, v20
	v_cndmask_b32_e32 v2, v3, v2, vcc
	v_cndmask_b32_e64 v3, v13, v12, s[2:3]
	v_cndmask_b32_e64 v7, v9, v7, s[0:1]
	;; [unrolled: 1-line block ×3, first 2 shown]
	s_waitcnt lgkmcnt(0)
	v_cndmask_b32_e64 v12, v20, v19, s[8:9]
	v_cndmask_b32_e64 v13, v18, v20, s[8:9]
	v_cndmask_b32_e64 v11, v4, v11, s[8:9]
	v_and_b32_e32 v4, s24, v12
	v_and_b32_e32 v9, s24, v13
	v_cmp_gt_u32_e64 s[0:1], s15, v11
	v_cmp_le_u16_e64 s[2:3], v9, v4
	v_cmp_le_u32_e32 vcc, s17, v10
	s_and_b64 s[0:1], s[0:1], s[2:3]
	s_or_b64 vcc, vcc, s[0:1]
	v_cndmask_b32_e32 v4, v10, v11, vcc
	v_cndmask_b32_e32 v5, v5, v8, vcc
	v_add_u32_e32 v20, 1, v4
	v_add_u32_e32 v4, -1, v5
	v_min_u32_e32 v4, v20, v4
	v_lshlrev_b32_e32 v4, 1, v4
	ds_read_u16 v21, v4
	v_cndmask_b32_e32 v5, v12, v13, vcc
	v_cndmask_b32_e32 v10, v20, v10, vcc
	;; [unrolled: 1-line block ×3, first 2 shown]
	v_cmp_gt_u32_e64 s[0:1], s15, v11
	s_waitcnt lgkmcnt(0)
	v_cndmask_b32_e32 v12, v21, v12, vcc
	v_cndmask_b32_e32 v13, v13, v21, vcc
	v_cmp_le_u32_e32 vcc, s17, v10
	v_and_b32_e32 v10, s24, v12
	v_and_b32_e32 v11, s24, v13
	v_cmp_le_u16_e64 s[2:3], v11, v10
	s_and_b64 s[0:1], s[0:1], s[2:3]
	s_or_b64 vcc, vcc, s[0:1]
	v_cndmask_b32_e64 v8, v15, v14, s[4:5]
	v_cndmask_b32_e64 v4, v17, v16, s[6:7]
	;; [unrolled: 1-line block ×3, first 2 shown]
	v_cndmask_b32_e32 v10, v12, v13, vcc
.LBB1273_29:
	s_or_b64 exec, exec, s[22:23]
	s_mov_b32 s17, 0
	s_lshl_b64 s[0:1], s[16:17], 1
	v_lshrrev_b32_e32 v11, 2, v0
	s_add_u32 s2, s20, s0
	v_and_b32_e32 v11, 30, v11
	s_mov_b32 s0, 0x5040100
	v_add_lshl_u32 v1, v11, v1, 1
	v_perm_b32 v3, v8, v3, s0
	v_perm_b32 v2, v7, v2, s0
	s_barrier
	s_barrier
	ds_write2_b32 v1, v2, v3 offset1:1
	v_perm_b32 v2, v10, v5, s0
	v_perm_b32 v3, v9, v4, s0
	ds_write2_b32 v1, v3, v2 offset0:2 offset1:3
	v_lshrrev_b32_e32 v1, 4, v0
	v_and_b32_e32 v1, 4, v1
	v_or_b32_e32 v11, 0x80, v0
	v_add_u32_e32 v12, v6, v1
	v_lshrrev_b32_e32 v1, 4, v11
	v_and_b32_e32 v1, 12, v1
	v_or_b32_e32 v10, 0x100, v0
	v_add_u32_e32 v13, v6, v1
	;; [unrolled: 4-line block ×6, first 2 shown]
	v_lshrrev_b32_e32 v1, 4, v4
	v_and_b32_e32 v1, 52, v1
	v_add_u32_e32 v18, v6, v1
	v_or_b32_e32 v1, 0x380, v0
	v_lshrrev_b32_e32 v2, 4, v1
	s_addc_u32 s3, s21, s1
	v_and_b32_e32 v2, 60, v2
	v_mov_b32_e32 v7, 0
	v_add_u32_e32 v19, v6, v2
	v_lshl_add_u64 v[2:3], s[2:3], 0, v[6:7]
	s_and_b64 vcc, exec, s[18:19]
	s_waitcnt lgkmcnt(0)
	s_cbranch_vccz .LBB1273_31
; %bb.30:
	s_barrier
	ds_read_u16 v6, v12
	ds_read_u16 v7, v13 offset:256
	ds_read_u16 v20, v14 offset:512
	ds_read_u16 v21, v15 offset:768
	ds_read_u16 v22, v16 offset:1024
	ds_read_u16 v23, v17 offset:1280
	ds_read_u16 v24, v18 offset:1536
	ds_read_u16 v25, v19 offset:1792
	s_waitcnt lgkmcnt(7)
	global_store_short v[2:3], v6, off
	s_waitcnt lgkmcnt(6)
	global_store_short v[2:3], v7, off offset:256
	s_waitcnt lgkmcnt(5)
	global_store_short v[2:3], v20, off offset:512
	s_waitcnt lgkmcnt(4)
	global_store_short v[2:3], v21, off offset:768
	s_waitcnt lgkmcnt(3)
	global_store_short v[2:3], v22, off offset:1024
	s_waitcnt lgkmcnt(2)
	global_store_short v[2:3], v23, off offset:1280
	s_waitcnt lgkmcnt(1)
	global_store_short v[2:3], v24, off offset:1536
	s_waitcnt lgkmcnt(0)
	v_perm_b32 v6, v25, v24, s0
	s_mov_b64 s[0:1], -1
	s_cbranch_execz .LBB1273_32
	s_branch .LBB1273_41
.LBB1273_31:
	s_mov_b64 s[0:1], 0
                                        ; implicit-def: $vgpr6
.LBB1273_32:
	s_barrier
	ds_read_u16 v22, v12
	ds_read_u16 v21, v13 offset:256
	ds_read_u16 v20, v14 offset:512
	;; [unrolled: 1-line block ×7, first 2 shown]
	s_sub_i32 s2, s14, s16
	v_cmp_gt_u32_e32 vcc, s2, v0
	s_and_saveexec_b64 s[0:1], vcc
	s_cbranch_execnz .LBB1273_46
; %bb.33:
	s_or_b64 exec, exec, s[0:1]
	v_cmp_gt_u32_e32 vcc, s2, v11
	s_and_saveexec_b64 s[0:1], vcc
	s_cbranch_execnz .LBB1273_47
.LBB1273_34:
	s_or_b64 exec, exec, s[0:1]
	v_cmp_gt_u32_e32 vcc, s2, v10
	s_and_saveexec_b64 s[0:1], vcc
	s_cbranch_execnz .LBB1273_48
.LBB1273_35:
	s_or_b64 exec, exec, s[0:1]
	v_cmp_gt_u32_e32 vcc, s2, v9
	s_and_saveexec_b64 s[0:1], vcc
	s_cbranch_execnz .LBB1273_49
.LBB1273_36:
	s_or_b64 exec, exec, s[0:1]
	v_cmp_gt_u32_e32 vcc, s2, v8
	s_and_saveexec_b64 s[0:1], vcc
	s_cbranch_execnz .LBB1273_50
.LBB1273_37:
	s_or_b64 exec, exec, s[0:1]
	v_cmp_gt_u32_e32 vcc, s2, v5
	s_and_saveexec_b64 s[0:1], vcc
	s_cbranch_execnz .LBB1273_51
.LBB1273_38:
	s_or_b64 exec, exec, s[0:1]
	v_cmp_gt_u32_e32 vcc, s2, v4
	s_and_saveexec_b64 s[0:1], vcc
	s_cbranch_execz .LBB1273_40
.LBB1273_39:
	s_waitcnt lgkmcnt(1)
	global_store_short v[2:3], v6, off offset:1536
.LBB1273_40:
	s_or_b64 exec, exec, s[0:1]
	v_cmp_gt_u32_e64 s[0:1], s2, v1
	s_mov_b32 s2, 0x5040100
	s_waitcnt lgkmcnt(0)
	v_perm_b32 v6, v7, v6, s2
.LBB1273_41:
	s_and_saveexec_b64 s[2:3], s[0:1]
	s_cbranch_execz .LBB1273_43
; %bb.42:
	global_store_short_d16_hi v[2:3], v6, off offset:1792
.LBB1273_43:
	s_endpgm
.LBB1273_44:
	v_mov_b32_e32 v7, 0
	v_subrev_u32_e32 v4, s15, v0
	v_mov_b32_e32 v5, v7
	v_lshl_add_u64 v[2:3], s[4:5], 0, v[6:7]
	v_lshl_add_u64 v[4:5], v[4:5], 1, s[6:7]
	v_cmp_gt_u32_e32 vcc, s15, v0
	s_nop 1
	v_cndmask_b32_e32 v3, v5, v3, vcc
	v_cndmask_b32_e32 v2, v4, v2, vcc
	global_load_ushort v2, v[2:3], off
	s_or_b64 exec, exec, s[2:3]
	v_cmp_gt_u32_e32 vcc, s17, v10
	s_and_saveexec_b64 s[2:3], vcc
	s_cbranch_execz .LBB1273_6
.LBB1273_45:
	v_mov_b32_e32 v11, 0
	v_lshl_add_u64 v[12:13], v[10:11], 1, s[4:5]
	v_cmp_gt_u32_e32 vcc, s15, v10
	v_subrev_u32_e32 v10, s15, v10
	v_lshl_add_u64 v[10:11], v[10:11], 1, s[6:7]
	v_cndmask_b32_e32 v11, v11, v13, vcc
	v_cndmask_b32_e32 v10, v10, v12, vcc
	global_load_ushort v7, v[10:11], off
	s_mov_b32 s8, 0x5040100
	s_waitcnt vmcnt(0)
	v_perm_b32 v2, v7, v2, s8
	s_or_b64 exec, exec, s[2:3]
	v_cmp_gt_u32_e32 vcc, s17, v8
	s_and_saveexec_b64 s[2:3], vcc
	s_cbranch_execnz .LBB1273_7
	s_branch .LBB1273_8
.LBB1273_46:
	s_waitcnt lgkmcnt(7)
	global_store_short v[2:3], v22, off
	s_or_b64 exec, exec, s[0:1]
	v_cmp_gt_u32_e32 vcc, s2, v11
	s_and_saveexec_b64 s[0:1], vcc
	s_cbranch_execz .LBB1273_34
.LBB1273_47:
	s_waitcnt lgkmcnt(6)
	global_store_short v[2:3], v21, off offset:256
	s_or_b64 exec, exec, s[0:1]
	v_cmp_gt_u32_e32 vcc, s2, v10
	s_and_saveexec_b64 s[0:1], vcc
	s_cbranch_execz .LBB1273_35
.LBB1273_48:
	s_waitcnt lgkmcnt(5)
	global_store_short v[2:3], v20, off offset:512
	s_or_b64 exec, exec, s[0:1]
	v_cmp_gt_u32_e32 vcc, s2, v9
	s_and_saveexec_b64 s[0:1], vcc
	s_cbranch_execz .LBB1273_36
.LBB1273_49:
	s_waitcnt lgkmcnt(4)
	global_store_short v[2:3], v14, off offset:768
	s_or_b64 exec, exec, s[0:1]
	v_cmp_gt_u32_e32 vcc, s2, v8
	s_and_saveexec_b64 s[0:1], vcc
	s_cbranch_execz .LBB1273_37
.LBB1273_50:
	s_waitcnt lgkmcnt(3)
	global_store_short v[2:3], v13, off offset:1024
	s_or_b64 exec, exec, s[0:1]
	v_cmp_gt_u32_e32 vcc, s2, v5
	s_and_saveexec_b64 s[0:1], vcc
	s_cbranch_execz .LBB1273_38
.LBB1273_51:
	s_waitcnt lgkmcnt(2)
	global_store_short v[2:3], v12, off offset:1280
	s_or_b64 exec, exec, s[0:1]
	v_cmp_gt_u32_e32 vcc, s2, v4
	s_and_saveexec_b64 s[0:1], vcc
	s_cbranch_execnz .LBB1273_39
	s_branch .LBB1273_40
	.section	.rodata,"a",@progbits
	.p2align	6, 0x0
	.amdhsa_kernel _ZN7rocprim17ROCPRIM_400000_NS6detail17trampoline_kernelINS0_14default_configENS1_38merge_sort_block_merge_config_selectorItNS0_10empty_typeEEEZZNS1_27merge_sort_block_merge_implIS3_N6thrust23THRUST_200600_302600_NS6detail15normal_iteratorINS9_10device_ptrItEEEEPS5_jNS1_19radix_merge_compareILb0ELb1EtNS0_19identity_decomposerEEEEE10hipError_tT0_T1_T2_jT3_P12ihipStream_tbPNSt15iterator_traitsISK_E10value_typeEPNSQ_ISL_E10value_typeEPSM_NS1_7vsmem_tEENKUlT_SK_SL_SM_E_clIPtSE_SF_SF_EESJ_SZ_SK_SL_SM_EUlSZ_E0_NS1_11comp_targetILNS1_3genE5ELNS1_11target_archE942ELNS1_3gpuE9ELNS1_3repE0EEENS1_38merge_mergepath_config_static_selectorELNS0_4arch9wavefront6targetE1EEEvSL_
		.amdhsa_group_segment_fixed_size 2112
		.amdhsa_private_segment_fixed_size 0
		.amdhsa_kernarg_size 320
		.amdhsa_user_sgpr_count 2
		.amdhsa_user_sgpr_dispatch_ptr 0
		.amdhsa_user_sgpr_queue_ptr 0
		.amdhsa_user_sgpr_kernarg_segment_ptr 1
		.amdhsa_user_sgpr_dispatch_id 0
		.amdhsa_user_sgpr_kernarg_preload_length 0
		.amdhsa_user_sgpr_kernarg_preload_offset 0
		.amdhsa_user_sgpr_private_segment_size 0
		.amdhsa_uses_dynamic_stack 0
		.amdhsa_enable_private_segment 0
		.amdhsa_system_sgpr_workgroup_id_x 1
		.amdhsa_system_sgpr_workgroup_id_y 1
		.amdhsa_system_sgpr_workgroup_id_z 1
		.amdhsa_system_sgpr_workgroup_info 0
		.amdhsa_system_vgpr_workitem_id 0
		.amdhsa_next_free_vgpr 26
		.amdhsa_next_free_sgpr 25
		.amdhsa_accum_offset 28
		.amdhsa_reserve_vcc 1
		.amdhsa_float_round_mode_32 0
		.amdhsa_float_round_mode_16_64 0
		.amdhsa_float_denorm_mode_32 3
		.amdhsa_float_denorm_mode_16_64 3
		.amdhsa_dx10_clamp 1
		.amdhsa_ieee_mode 1
		.amdhsa_fp16_overflow 0
		.amdhsa_tg_split 0
		.amdhsa_exception_fp_ieee_invalid_op 0
		.amdhsa_exception_fp_denorm_src 0
		.amdhsa_exception_fp_ieee_div_zero 0
		.amdhsa_exception_fp_ieee_overflow 0
		.amdhsa_exception_fp_ieee_underflow 0
		.amdhsa_exception_fp_ieee_inexact 0
		.amdhsa_exception_int_div_zero 0
	.end_amdhsa_kernel
	.section	.text._ZN7rocprim17ROCPRIM_400000_NS6detail17trampoline_kernelINS0_14default_configENS1_38merge_sort_block_merge_config_selectorItNS0_10empty_typeEEEZZNS1_27merge_sort_block_merge_implIS3_N6thrust23THRUST_200600_302600_NS6detail15normal_iteratorINS9_10device_ptrItEEEEPS5_jNS1_19radix_merge_compareILb0ELb1EtNS0_19identity_decomposerEEEEE10hipError_tT0_T1_T2_jT3_P12ihipStream_tbPNSt15iterator_traitsISK_E10value_typeEPNSQ_ISL_E10value_typeEPSM_NS1_7vsmem_tEENKUlT_SK_SL_SM_E_clIPtSE_SF_SF_EESJ_SZ_SK_SL_SM_EUlSZ_E0_NS1_11comp_targetILNS1_3genE5ELNS1_11target_archE942ELNS1_3gpuE9ELNS1_3repE0EEENS1_38merge_mergepath_config_static_selectorELNS0_4arch9wavefront6targetE1EEEvSL_,"axG",@progbits,_ZN7rocprim17ROCPRIM_400000_NS6detail17trampoline_kernelINS0_14default_configENS1_38merge_sort_block_merge_config_selectorItNS0_10empty_typeEEEZZNS1_27merge_sort_block_merge_implIS3_N6thrust23THRUST_200600_302600_NS6detail15normal_iteratorINS9_10device_ptrItEEEEPS5_jNS1_19radix_merge_compareILb0ELb1EtNS0_19identity_decomposerEEEEE10hipError_tT0_T1_T2_jT3_P12ihipStream_tbPNSt15iterator_traitsISK_E10value_typeEPNSQ_ISL_E10value_typeEPSM_NS1_7vsmem_tEENKUlT_SK_SL_SM_E_clIPtSE_SF_SF_EESJ_SZ_SK_SL_SM_EUlSZ_E0_NS1_11comp_targetILNS1_3genE5ELNS1_11target_archE942ELNS1_3gpuE9ELNS1_3repE0EEENS1_38merge_mergepath_config_static_selectorELNS0_4arch9wavefront6targetE1EEEvSL_,comdat
.Lfunc_end1273:
	.size	_ZN7rocprim17ROCPRIM_400000_NS6detail17trampoline_kernelINS0_14default_configENS1_38merge_sort_block_merge_config_selectorItNS0_10empty_typeEEEZZNS1_27merge_sort_block_merge_implIS3_N6thrust23THRUST_200600_302600_NS6detail15normal_iteratorINS9_10device_ptrItEEEEPS5_jNS1_19radix_merge_compareILb0ELb1EtNS0_19identity_decomposerEEEEE10hipError_tT0_T1_T2_jT3_P12ihipStream_tbPNSt15iterator_traitsISK_E10value_typeEPNSQ_ISL_E10value_typeEPSM_NS1_7vsmem_tEENKUlT_SK_SL_SM_E_clIPtSE_SF_SF_EESJ_SZ_SK_SL_SM_EUlSZ_E0_NS1_11comp_targetILNS1_3genE5ELNS1_11target_archE942ELNS1_3gpuE9ELNS1_3repE0EEENS1_38merge_mergepath_config_static_selectorELNS0_4arch9wavefront6targetE1EEEvSL_, .Lfunc_end1273-_ZN7rocprim17ROCPRIM_400000_NS6detail17trampoline_kernelINS0_14default_configENS1_38merge_sort_block_merge_config_selectorItNS0_10empty_typeEEEZZNS1_27merge_sort_block_merge_implIS3_N6thrust23THRUST_200600_302600_NS6detail15normal_iteratorINS9_10device_ptrItEEEEPS5_jNS1_19radix_merge_compareILb0ELb1EtNS0_19identity_decomposerEEEEE10hipError_tT0_T1_T2_jT3_P12ihipStream_tbPNSt15iterator_traitsISK_E10value_typeEPNSQ_ISL_E10value_typeEPSM_NS1_7vsmem_tEENKUlT_SK_SL_SM_E_clIPtSE_SF_SF_EESJ_SZ_SK_SL_SM_EUlSZ_E0_NS1_11comp_targetILNS1_3genE5ELNS1_11target_archE942ELNS1_3gpuE9ELNS1_3repE0EEENS1_38merge_mergepath_config_static_selectorELNS0_4arch9wavefront6targetE1EEEvSL_
                                        ; -- End function
	.section	.AMDGPU.csdata,"",@progbits
; Kernel info:
; codeLenInByte = 3628
; NumSgprs: 31
; NumVgprs: 26
; NumAgprs: 0
; TotalNumVgprs: 26
; ScratchSize: 0
; MemoryBound: 0
; FloatMode: 240
; IeeeMode: 1
; LDSByteSize: 2112 bytes/workgroup (compile time only)
; SGPRBlocks: 3
; VGPRBlocks: 3
; NumSGPRsForWavesPerEU: 31
; NumVGPRsForWavesPerEU: 26
; AccumOffset: 28
; Occupancy: 8
; WaveLimiterHint : 1
; COMPUTE_PGM_RSRC2:SCRATCH_EN: 0
; COMPUTE_PGM_RSRC2:USER_SGPR: 2
; COMPUTE_PGM_RSRC2:TRAP_HANDLER: 0
; COMPUTE_PGM_RSRC2:TGID_X_EN: 1
; COMPUTE_PGM_RSRC2:TGID_Y_EN: 1
; COMPUTE_PGM_RSRC2:TGID_Z_EN: 1
; COMPUTE_PGM_RSRC2:TIDIG_COMP_CNT: 0
; COMPUTE_PGM_RSRC3_GFX90A:ACCUM_OFFSET: 6
; COMPUTE_PGM_RSRC3_GFX90A:TG_SPLIT: 0
	.section	.text._ZN7rocprim17ROCPRIM_400000_NS6detail17trampoline_kernelINS0_14default_configENS1_38merge_sort_block_merge_config_selectorItNS0_10empty_typeEEEZZNS1_27merge_sort_block_merge_implIS3_N6thrust23THRUST_200600_302600_NS6detail15normal_iteratorINS9_10device_ptrItEEEEPS5_jNS1_19radix_merge_compareILb0ELb1EtNS0_19identity_decomposerEEEEE10hipError_tT0_T1_T2_jT3_P12ihipStream_tbPNSt15iterator_traitsISK_E10value_typeEPNSQ_ISL_E10value_typeEPSM_NS1_7vsmem_tEENKUlT_SK_SL_SM_E_clIPtSE_SF_SF_EESJ_SZ_SK_SL_SM_EUlSZ_E0_NS1_11comp_targetILNS1_3genE4ELNS1_11target_archE910ELNS1_3gpuE8ELNS1_3repE0EEENS1_38merge_mergepath_config_static_selectorELNS0_4arch9wavefront6targetE1EEEvSL_,"axG",@progbits,_ZN7rocprim17ROCPRIM_400000_NS6detail17trampoline_kernelINS0_14default_configENS1_38merge_sort_block_merge_config_selectorItNS0_10empty_typeEEEZZNS1_27merge_sort_block_merge_implIS3_N6thrust23THRUST_200600_302600_NS6detail15normal_iteratorINS9_10device_ptrItEEEEPS5_jNS1_19radix_merge_compareILb0ELb1EtNS0_19identity_decomposerEEEEE10hipError_tT0_T1_T2_jT3_P12ihipStream_tbPNSt15iterator_traitsISK_E10value_typeEPNSQ_ISL_E10value_typeEPSM_NS1_7vsmem_tEENKUlT_SK_SL_SM_E_clIPtSE_SF_SF_EESJ_SZ_SK_SL_SM_EUlSZ_E0_NS1_11comp_targetILNS1_3genE4ELNS1_11target_archE910ELNS1_3gpuE8ELNS1_3repE0EEENS1_38merge_mergepath_config_static_selectorELNS0_4arch9wavefront6targetE1EEEvSL_,comdat
	.protected	_ZN7rocprim17ROCPRIM_400000_NS6detail17trampoline_kernelINS0_14default_configENS1_38merge_sort_block_merge_config_selectorItNS0_10empty_typeEEEZZNS1_27merge_sort_block_merge_implIS3_N6thrust23THRUST_200600_302600_NS6detail15normal_iteratorINS9_10device_ptrItEEEEPS5_jNS1_19radix_merge_compareILb0ELb1EtNS0_19identity_decomposerEEEEE10hipError_tT0_T1_T2_jT3_P12ihipStream_tbPNSt15iterator_traitsISK_E10value_typeEPNSQ_ISL_E10value_typeEPSM_NS1_7vsmem_tEENKUlT_SK_SL_SM_E_clIPtSE_SF_SF_EESJ_SZ_SK_SL_SM_EUlSZ_E0_NS1_11comp_targetILNS1_3genE4ELNS1_11target_archE910ELNS1_3gpuE8ELNS1_3repE0EEENS1_38merge_mergepath_config_static_selectorELNS0_4arch9wavefront6targetE1EEEvSL_ ; -- Begin function _ZN7rocprim17ROCPRIM_400000_NS6detail17trampoline_kernelINS0_14default_configENS1_38merge_sort_block_merge_config_selectorItNS0_10empty_typeEEEZZNS1_27merge_sort_block_merge_implIS3_N6thrust23THRUST_200600_302600_NS6detail15normal_iteratorINS9_10device_ptrItEEEEPS5_jNS1_19radix_merge_compareILb0ELb1EtNS0_19identity_decomposerEEEEE10hipError_tT0_T1_T2_jT3_P12ihipStream_tbPNSt15iterator_traitsISK_E10value_typeEPNSQ_ISL_E10value_typeEPSM_NS1_7vsmem_tEENKUlT_SK_SL_SM_E_clIPtSE_SF_SF_EESJ_SZ_SK_SL_SM_EUlSZ_E0_NS1_11comp_targetILNS1_3genE4ELNS1_11target_archE910ELNS1_3gpuE8ELNS1_3repE0EEENS1_38merge_mergepath_config_static_selectorELNS0_4arch9wavefront6targetE1EEEvSL_
	.globl	_ZN7rocprim17ROCPRIM_400000_NS6detail17trampoline_kernelINS0_14default_configENS1_38merge_sort_block_merge_config_selectorItNS0_10empty_typeEEEZZNS1_27merge_sort_block_merge_implIS3_N6thrust23THRUST_200600_302600_NS6detail15normal_iteratorINS9_10device_ptrItEEEEPS5_jNS1_19radix_merge_compareILb0ELb1EtNS0_19identity_decomposerEEEEE10hipError_tT0_T1_T2_jT3_P12ihipStream_tbPNSt15iterator_traitsISK_E10value_typeEPNSQ_ISL_E10value_typeEPSM_NS1_7vsmem_tEENKUlT_SK_SL_SM_E_clIPtSE_SF_SF_EESJ_SZ_SK_SL_SM_EUlSZ_E0_NS1_11comp_targetILNS1_3genE4ELNS1_11target_archE910ELNS1_3gpuE8ELNS1_3repE0EEENS1_38merge_mergepath_config_static_selectorELNS0_4arch9wavefront6targetE1EEEvSL_
	.p2align	8
	.type	_ZN7rocprim17ROCPRIM_400000_NS6detail17trampoline_kernelINS0_14default_configENS1_38merge_sort_block_merge_config_selectorItNS0_10empty_typeEEEZZNS1_27merge_sort_block_merge_implIS3_N6thrust23THRUST_200600_302600_NS6detail15normal_iteratorINS9_10device_ptrItEEEEPS5_jNS1_19radix_merge_compareILb0ELb1EtNS0_19identity_decomposerEEEEE10hipError_tT0_T1_T2_jT3_P12ihipStream_tbPNSt15iterator_traitsISK_E10value_typeEPNSQ_ISL_E10value_typeEPSM_NS1_7vsmem_tEENKUlT_SK_SL_SM_E_clIPtSE_SF_SF_EESJ_SZ_SK_SL_SM_EUlSZ_E0_NS1_11comp_targetILNS1_3genE4ELNS1_11target_archE910ELNS1_3gpuE8ELNS1_3repE0EEENS1_38merge_mergepath_config_static_selectorELNS0_4arch9wavefront6targetE1EEEvSL_,@function
_ZN7rocprim17ROCPRIM_400000_NS6detail17trampoline_kernelINS0_14default_configENS1_38merge_sort_block_merge_config_selectorItNS0_10empty_typeEEEZZNS1_27merge_sort_block_merge_implIS3_N6thrust23THRUST_200600_302600_NS6detail15normal_iteratorINS9_10device_ptrItEEEEPS5_jNS1_19radix_merge_compareILb0ELb1EtNS0_19identity_decomposerEEEEE10hipError_tT0_T1_T2_jT3_P12ihipStream_tbPNSt15iterator_traitsISK_E10value_typeEPNSQ_ISL_E10value_typeEPSM_NS1_7vsmem_tEENKUlT_SK_SL_SM_E_clIPtSE_SF_SF_EESJ_SZ_SK_SL_SM_EUlSZ_E0_NS1_11comp_targetILNS1_3genE4ELNS1_11target_archE910ELNS1_3gpuE8ELNS1_3repE0EEENS1_38merge_mergepath_config_static_selectorELNS0_4arch9wavefront6targetE1EEEvSL_: ; @_ZN7rocprim17ROCPRIM_400000_NS6detail17trampoline_kernelINS0_14default_configENS1_38merge_sort_block_merge_config_selectorItNS0_10empty_typeEEEZZNS1_27merge_sort_block_merge_implIS3_N6thrust23THRUST_200600_302600_NS6detail15normal_iteratorINS9_10device_ptrItEEEEPS5_jNS1_19radix_merge_compareILb0ELb1EtNS0_19identity_decomposerEEEEE10hipError_tT0_T1_T2_jT3_P12ihipStream_tbPNSt15iterator_traitsISK_E10value_typeEPNSQ_ISL_E10value_typeEPSM_NS1_7vsmem_tEENKUlT_SK_SL_SM_E_clIPtSE_SF_SF_EESJ_SZ_SK_SL_SM_EUlSZ_E0_NS1_11comp_targetILNS1_3genE4ELNS1_11target_archE910ELNS1_3gpuE8ELNS1_3repE0EEENS1_38merge_mergepath_config_static_selectorELNS0_4arch9wavefront6targetE1EEEvSL_
; %bb.0:
	.section	.rodata,"a",@progbits
	.p2align	6, 0x0
	.amdhsa_kernel _ZN7rocprim17ROCPRIM_400000_NS6detail17trampoline_kernelINS0_14default_configENS1_38merge_sort_block_merge_config_selectorItNS0_10empty_typeEEEZZNS1_27merge_sort_block_merge_implIS3_N6thrust23THRUST_200600_302600_NS6detail15normal_iteratorINS9_10device_ptrItEEEEPS5_jNS1_19radix_merge_compareILb0ELb1EtNS0_19identity_decomposerEEEEE10hipError_tT0_T1_T2_jT3_P12ihipStream_tbPNSt15iterator_traitsISK_E10value_typeEPNSQ_ISL_E10value_typeEPSM_NS1_7vsmem_tEENKUlT_SK_SL_SM_E_clIPtSE_SF_SF_EESJ_SZ_SK_SL_SM_EUlSZ_E0_NS1_11comp_targetILNS1_3genE4ELNS1_11target_archE910ELNS1_3gpuE8ELNS1_3repE0EEENS1_38merge_mergepath_config_static_selectorELNS0_4arch9wavefront6targetE1EEEvSL_
		.amdhsa_group_segment_fixed_size 0
		.amdhsa_private_segment_fixed_size 0
		.amdhsa_kernarg_size 64
		.amdhsa_user_sgpr_count 2
		.amdhsa_user_sgpr_dispatch_ptr 0
		.amdhsa_user_sgpr_queue_ptr 0
		.amdhsa_user_sgpr_kernarg_segment_ptr 1
		.amdhsa_user_sgpr_dispatch_id 0
		.amdhsa_user_sgpr_kernarg_preload_length 0
		.amdhsa_user_sgpr_kernarg_preload_offset 0
		.amdhsa_user_sgpr_private_segment_size 0
		.amdhsa_uses_dynamic_stack 0
		.amdhsa_enable_private_segment 0
		.amdhsa_system_sgpr_workgroup_id_x 1
		.amdhsa_system_sgpr_workgroup_id_y 0
		.amdhsa_system_sgpr_workgroup_id_z 0
		.amdhsa_system_sgpr_workgroup_info 0
		.amdhsa_system_vgpr_workitem_id 0
		.amdhsa_next_free_vgpr 1
		.amdhsa_next_free_sgpr 0
		.amdhsa_accum_offset 4
		.amdhsa_reserve_vcc 0
		.amdhsa_float_round_mode_32 0
		.amdhsa_float_round_mode_16_64 0
		.amdhsa_float_denorm_mode_32 3
		.amdhsa_float_denorm_mode_16_64 3
		.amdhsa_dx10_clamp 1
		.amdhsa_ieee_mode 1
		.amdhsa_fp16_overflow 0
		.amdhsa_tg_split 0
		.amdhsa_exception_fp_ieee_invalid_op 0
		.amdhsa_exception_fp_denorm_src 0
		.amdhsa_exception_fp_ieee_div_zero 0
		.amdhsa_exception_fp_ieee_overflow 0
		.amdhsa_exception_fp_ieee_underflow 0
		.amdhsa_exception_fp_ieee_inexact 0
		.amdhsa_exception_int_div_zero 0
	.end_amdhsa_kernel
	.section	.text._ZN7rocprim17ROCPRIM_400000_NS6detail17trampoline_kernelINS0_14default_configENS1_38merge_sort_block_merge_config_selectorItNS0_10empty_typeEEEZZNS1_27merge_sort_block_merge_implIS3_N6thrust23THRUST_200600_302600_NS6detail15normal_iteratorINS9_10device_ptrItEEEEPS5_jNS1_19radix_merge_compareILb0ELb1EtNS0_19identity_decomposerEEEEE10hipError_tT0_T1_T2_jT3_P12ihipStream_tbPNSt15iterator_traitsISK_E10value_typeEPNSQ_ISL_E10value_typeEPSM_NS1_7vsmem_tEENKUlT_SK_SL_SM_E_clIPtSE_SF_SF_EESJ_SZ_SK_SL_SM_EUlSZ_E0_NS1_11comp_targetILNS1_3genE4ELNS1_11target_archE910ELNS1_3gpuE8ELNS1_3repE0EEENS1_38merge_mergepath_config_static_selectorELNS0_4arch9wavefront6targetE1EEEvSL_,"axG",@progbits,_ZN7rocprim17ROCPRIM_400000_NS6detail17trampoline_kernelINS0_14default_configENS1_38merge_sort_block_merge_config_selectorItNS0_10empty_typeEEEZZNS1_27merge_sort_block_merge_implIS3_N6thrust23THRUST_200600_302600_NS6detail15normal_iteratorINS9_10device_ptrItEEEEPS5_jNS1_19radix_merge_compareILb0ELb1EtNS0_19identity_decomposerEEEEE10hipError_tT0_T1_T2_jT3_P12ihipStream_tbPNSt15iterator_traitsISK_E10value_typeEPNSQ_ISL_E10value_typeEPSM_NS1_7vsmem_tEENKUlT_SK_SL_SM_E_clIPtSE_SF_SF_EESJ_SZ_SK_SL_SM_EUlSZ_E0_NS1_11comp_targetILNS1_3genE4ELNS1_11target_archE910ELNS1_3gpuE8ELNS1_3repE0EEENS1_38merge_mergepath_config_static_selectorELNS0_4arch9wavefront6targetE1EEEvSL_,comdat
.Lfunc_end1274:
	.size	_ZN7rocprim17ROCPRIM_400000_NS6detail17trampoline_kernelINS0_14default_configENS1_38merge_sort_block_merge_config_selectorItNS0_10empty_typeEEEZZNS1_27merge_sort_block_merge_implIS3_N6thrust23THRUST_200600_302600_NS6detail15normal_iteratorINS9_10device_ptrItEEEEPS5_jNS1_19radix_merge_compareILb0ELb1EtNS0_19identity_decomposerEEEEE10hipError_tT0_T1_T2_jT3_P12ihipStream_tbPNSt15iterator_traitsISK_E10value_typeEPNSQ_ISL_E10value_typeEPSM_NS1_7vsmem_tEENKUlT_SK_SL_SM_E_clIPtSE_SF_SF_EESJ_SZ_SK_SL_SM_EUlSZ_E0_NS1_11comp_targetILNS1_3genE4ELNS1_11target_archE910ELNS1_3gpuE8ELNS1_3repE0EEENS1_38merge_mergepath_config_static_selectorELNS0_4arch9wavefront6targetE1EEEvSL_, .Lfunc_end1274-_ZN7rocprim17ROCPRIM_400000_NS6detail17trampoline_kernelINS0_14default_configENS1_38merge_sort_block_merge_config_selectorItNS0_10empty_typeEEEZZNS1_27merge_sort_block_merge_implIS3_N6thrust23THRUST_200600_302600_NS6detail15normal_iteratorINS9_10device_ptrItEEEEPS5_jNS1_19radix_merge_compareILb0ELb1EtNS0_19identity_decomposerEEEEE10hipError_tT0_T1_T2_jT3_P12ihipStream_tbPNSt15iterator_traitsISK_E10value_typeEPNSQ_ISL_E10value_typeEPSM_NS1_7vsmem_tEENKUlT_SK_SL_SM_E_clIPtSE_SF_SF_EESJ_SZ_SK_SL_SM_EUlSZ_E0_NS1_11comp_targetILNS1_3genE4ELNS1_11target_archE910ELNS1_3gpuE8ELNS1_3repE0EEENS1_38merge_mergepath_config_static_selectorELNS0_4arch9wavefront6targetE1EEEvSL_
                                        ; -- End function
	.section	.AMDGPU.csdata,"",@progbits
; Kernel info:
; codeLenInByte = 0
; NumSgprs: 6
; NumVgprs: 0
; NumAgprs: 0
; TotalNumVgprs: 0
; ScratchSize: 0
; MemoryBound: 0
; FloatMode: 240
; IeeeMode: 1
; LDSByteSize: 0 bytes/workgroup (compile time only)
; SGPRBlocks: 0
; VGPRBlocks: 0
; NumSGPRsForWavesPerEU: 6
; NumVGPRsForWavesPerEU: 1
; AccumOffset: 4
; Occupancy: 8
; WaveLimiterHint : 0
; COMPUTE_PGM_RSRC2:SCRATCH_EN: 0
; COMPUTE_PGM_RSRC2:USER_SGPR: 2
; COMPUTE_PGM_RSRC2:TRAP_HANDLER: 0
; COMPUTE_PGM_RSRC2:TGID_X_EN: 1
; COMPUTE_PGM_RSRC2:TGID_Y_EN: 0
; COMPUTE_PGM_RSRC2:TGID_Z_EN: 0
; COMPUTE_PGM_RSRC2:TIDIG_COMP_CNT: 0
; COMPUTE_PGM_RSRC3_GFX90A:ACCUM_OFFSET: 0
; COMPUTE_PGM_RSRC3_GFX90A:TG_SPLIT: 0
	.section	.text._ZN7rocprim17ROCPRIM_400000_NS6detail17trampoline_kernelINS0_14default_configENS1_38merge_sort_block_merge_config_selectorItNS0_10empty_typeEEEZZNS1_27merge_sort_block_merge_implIS3_N6thrust23THRUST_200600_302600_NS6detail15normal_iteratorINS9_10device_ptrItEEEEPS5_jNS1_19radix_merge_compareILb0ELb1EtNS0_19identity_decomposerEEEEE10hipError_tT0_T1_T2_jT3_P12ihipStream_tbPNSt15iterator_traitsISK_E10value_typeEPNSQ_ISL_E10value_typeEPSM_NS1_7vsmem_tEENKUlT_SK_SL_SM_E_clIPtSE_SF_SF_EESJ_SZ_SK_SL_SM_EUlSZ_E0_NS1_11comp_targetILNS1_3genE3ELNS1_11target_archE908ELNS1_3gpuE7ELNS1_3repE0EEENS1_38merge_mergepath_config_static_selectorELNS0_4arch9wavefront6targetE1EEEvSL_,"axG",@progbits,_ZN7rocprim17ROCPRIM_400000_NS6detail17trampoline_kernelINS0_14default_configENS1_38merge_sort_block_merge_config_selectorItNS0_10empty_typeEEEZZNS1_27merge_sort_block_merge_implIS3_N6thrust23THRUST_200600_302600_NS6detail15normal_iteratorINS9_10device_ptrItEEEEPS5_jNS1_19radix_merge_compareILb0ELb1EtNS0_19identity_decomposerEEEEE10hipError_tT0_T1_T2_jT3_P12ihipStream_tbPNSt15iterator_traitsISK_E10value_typeEPNSQ_ISL_E10value_typeEPSM_NS1_7vsmem_tEENKUlT_SK_SL_SM_E_clIPtSE_SF_SF_EESJ_SZ_SK_SL_SM_EUlSZ_E0_NS1_11comp_targetILNS1_3genE3ELNS1_11target_archE908ELNS1_3gpuE7ELNS1_3repE0EEENS1_38merge_mergepath_config_static_selectorELNS0_4arch9wavefront6targetE1EEEvSL_,comdat
	.protected	_ZN7rocprim17ROCPRIM_400000_NS6detail17trampoline_kernelINS0_14default_configENS1_38merge_sort_block_merge_config_selectorItNS0_10empty_typeEEEZZNS1_27merge_sort_block_merge_implIS3_N6thrust23THRUST_200600_302600_NS6detail15normal_iteratorINS9_10device_ptrItEEEEPS5_jNS1_19radix_merge_compareILb0ELb1EtNS0_19identity_decomposerEEEEE10hipError_tT0_T1_T2_jT3_P12ihipStream_tbPNSt15iterator_traitsISK_E10value_typeEPNSQ_ISL_E10value_typeEPSM_NS1_7vsmem_tEENKUlT_SK_SL_SM_E_clIPtSE_SF_SF_EESJ_SZ_SK_SL_SM_EUlSZ_E0_NS1_11comp_targetILNS1_3genE3ELNS1_11target_archE908ELNS1_3gpuE7ELNS1_3repE0EEENS1_38merge_mergepath_config_static_selectorELNS0_4arch9wavefront6targetE1EEEvSL_ ; -- Begin function _ZN7rocprim17ROCPRIM_400000_NS6detail17trampoline_kernelINS0_14default_configENS1_38merge_sort_block_merge_config_selectorItNS0_10empty_typeEEEZZNS1_27merge_sort_block_merge_implIS3_N6thrust23THRUST_200600_302600_NS6detail15normal_iteratorINS9_10device_ptrItEEEEPS5_jNS1_19radix_merge_compareILb0ELb1EtNS0_19identity_decomposerEEEEE10hipError_tT0_T1_T2_jT3_P12ihipStream_tbPNSt15iterator_traitsISK_E10value_typeEPNSQ_ISL_E10value_typeEPSM_NS1_7vsmem_tEENKUlT_SK_SL_SM_E_clIPtSE_SF_SF_EESJ_SZ_SK_SL_SM_EUlSZ_E0_NS1_11comp_targetILNS1_3genE3ELNS1_11target_archE908ELNS1_3gpuE7ELNS1_3repE0EEENS1_38merge_mergepath_config_static_selectorELNS0_4arch9wavefront6targetE1EEEvSL_
	.globl	_ZN7rocprim17ROCPRIM_400000_NS6detail17trampoline_kernelINS0_14default_configENS1_38merge_sort_block_merge_config_selectorItNS0_10empty_typeEEEZZNS1_27merge_sort_block_merge_implIS3_N6thrust23THRUST_200600_302600_NS6detail15normal_iteratorINS9_10device_ptrItEEEEPS5_jNS1_19radix_merge_compareILb0ELb1EtNS0_19identity_decomposerEEEEE10hipError_tT0_T1_T2_jT3_P12ihipStream_tbPNSt15iterator_traitsISK_E10value_typeEPNSQ_ISL_E10value_typeEPSM_NS1_7vsmem_tEENKUlT_SK_SL_SM_E_clIPtSE_SF_SF_EESJ_SZ_SK_SL_SM_EUlSZ_E0_NS1_11comp_targetILNS1_3genE3ELNS1_11target_archE908ELNS1_3gpuE7ELNS1_3repE0EEENS1_38merge_mergepath_config_static_selectorELNS0_4arch9wavefront6targetE1EEEvSL_
	.p2align	8
	.type	_ZN7rocprim17ROCPRIM_400000_NS6detail17trampoline_kernelINS0_14default_configENS1_38merge_sort_block_merge_config_selectorItNS0_10empty_typeEEEZZNS1_27merge_sort_block_merge_implIS3_N6thrust23THRUST_200600_302600_NS6detail15normal_iteratorINS9_10device_ptrItEEEEPS5_jNS1_19radix_merge_compareILb0ELb1EtNS0_19identity_decomposerEEEEE10hipError_tT0_T1_T2_jT3_P12ihipStream_tbPNSt15iterator_traitsISK_E10value_typeEPNSQ_ISL_E10value_typeEPSM_NS1_7vsmem_tEENKUlT_SK_SL_SM_E_clIPtSE_SF_SF_EESJ_SZ_SK_SL_SM_EUlSZ_E0_NS1_11comp_targetILNS1_3genE3ELNS1_11target_archE908ELNS1_3gpuE7ELNS1_3repE0EEENS1_38merge_mergepath_config_static_selectorELNS0_4arch9wavefront6targetE1EEEvSL_,@function
_ZN7rocprim17ROCPRIM_400000_NS6detail17trampoline_kernelINS0_14default_configENS1_38merge_sort_block_merge_config_selectorItNS0_10empty_typeEEEZZNS1_27merge_sort_block_merge_implIS3_N6thrust23THRUST_200600_302600_NS6detail15normal_iteratorINS9_10device_ptrItEEEEPS5_jNS1_19radix_merge_compareILb0ELb1EtNS0_19identity_decomposerEEEEE10hipError_tT0_T1_T2_jT3_P12ihipStream_tbPNSt15iterator_traitsISK_E10value_typeEPNSQ_ISL_E10value_typeEPSM_NS1_7vsmem_tEENKUlT_SK_SL_SM_E_clIPtSE_SF_SF_EESJ_SZ_SK_SL_SM_EUlSZ_E0_NS1_11comp_targetILNS1_3genE3ELNS1_11target_archE908ELNS1_3gpuE7ELNS1_3repE0EEENS1_38merge_mergepath_config_static_selectorELNS0_4arch9wavefront6targetE1EEEvSL_: ; @_ZN7rocprim17ROCPRIM_400000_NS6detail17trampoline_kernelINS0_14default_configENS1_38merge_sort_block_merge_config_selectorItNS0_10empty_typeEEEZZNS1_27merge_sort_block_merge_implIS3_N6thrust23THRUST_200600_302600_NS6detail15normal_iteratorINS9_10device_ptrItEEEEPS5_jNS1_19radix_merge_compareILb0ELb1EtNS0_19identity_decomposerEEEEE10hipError_tT0_T1_T2_jT3_P12ihipStream_tbPNSt15iterator_traitsISK_E10value_typeEPNSQ_ISL_E10value_typeEPSM_NS1_7vsmem_tEENKUlT_SK_SL_SM_E_clIPtSE_SF_SF_EESJ_SZ_SK_SL_SM_EUlSZ_E0_NS1_11comp_targetILNS1_3genE3ELNS1_11target_archE908ELNS1_3gpuE7ELNS1_3repE0EEENS1_38merge_mergepath_config_static_selectorELNS0_4arch9wavefront6targetE1EEEvSL_
; %bb.0:
	.section	.rodata,"a",@progbits
	.p2align	6, 0x0
	.amdhsa_kernel _ZN7rocprim17ROCPRIM_400000_NS6detail17trampoline_kernelINS0_14default_configENS1_38merge_sort_block_merge_config_selectorItNS0_10empty_typeEEEZZNS1_27merge_sort_block_merge_implIS3_N6thrust23THRUST_200600_302600_NS6detail15normal_iteratorINS9_10device_ptrItEEEEPS5_jNS1_19radix_merge_compareILb0ELb1EtNS0_19identity_decomposerEEEEE10hipError_tT0_T1_T2_jT3_P12ihipStream_tbPNSt15iterator_traitsISK_E10value_typeEPNSQ_ISL_E10value_typeEPSM_NS1_7vsmem_tEENKUlT_SK_SL_SM_E_clIPtSE_SF_SF_EESJ_SZ_SK_SL_SM_EUlSZ_E0_NS1_11comp_targetILNS1_3genE3ELNS1_11target_archE908ELNS1_3gpuE7ELNS1_3repE0EEENS1_38merge_mergepath_config_static_selectorELNS0_4arch9wavefront6targetE1EEEvSL_
		.amdhsa_group_segment_fixed_size 0
		.amdhsa_private_segment_fixed_size 0
		.amdhsa_kernarg_size 64
		.amdhsa_user_sgpr_count 2
		.amdhsa_user_sgpr_dispatch_ptr 0
		.amdhsa_user_sgpr_queue_ptr 0
		.amdhsa_user_sgpr_kernarg_segment_ptr 1
		.amdhsa_user_sgpr_dispatch_id 0
		.amdhsa_user_sgpr_kernarg_preload_length 0
		.amdhsa_user_sgpr_kernarg_preload_offset 0
		.amdhsa_user_sgpr_private_segment_size 0
		.amdhsa_uses_dynamic_stack 0
		.amdhsa_enable_private_segment 0
		.amdhsa_system_sgpr_workgroup_id_x 1
		.amdhsa_system_sgpr_workgroup_id_y 0
		.amdhsa_system_sgpr_workgroup_id_z 0
		.amdhsa_system_sgpr_workgroup_info 0
		.amdhsa_system_vgpr_workitem_id 0
		.amdhsa_next_free_vgpr 1
		.amdhsa_next_free_sgpr 0
		.amdhsa_accum_offset 4
		.amdhsa_reserve_vcc 0
		.amdhsa_float_round_mode_32 0
		.amdhsa_float_round_mode_16_64 0
		.amdhsa_float_denorm_mode_32 3
		.amdhsa_float_denorm_mode_16_64 3
		.amdhsa_dx10_clamp 1
		.amdhsa_ieee_mode 1
		.amdhsa_fp16_overflow 0
		.amdhsa_tg_split 0
		.amdhsa_exception_fp_ieee_invalid_op 0
		.amdhsa_exception_fp_denorm_src 0
		.amdhsa_exception_fp_ieee_div_zero 0
		.amdhsa_exception_fp_ieee_overflow 0
		.amdhsa_exception_fp_ieee_underflow 0
		.amdhsa_exception_fp_ieee_inexact 0
		.amdhsa_exception_int_div_zero 0
	.end_amdhsa_kernel
	.section	.text._ZN7rocprim17ROCPRIM_400000_NS6detail17trampoline_kernelINS0_14default_configENS1_38merge_sort_block_merge_config_selectorItNS0_10empty_typeEEEZZNS1_27merge_sort_block_merge_implIS3_N6thrust23THRUST_200600_302600_NS6detail15normal_iteratorINS9_10device_ptrItEEEEPS5_jNS1_19radix_merge_compareILb0ELb1EtNS0_19identity_decomposerEEEEE10hipError_tT0_T1_T2_jT3_P12ihipStream_tbPNSt15iterator_traitsISK_E10value_typeEPNSQ_ISL_E10value_typeEPSM_NS1_7vsmem_tEENKUlT_SK_SL_SM_E_clIPtSE_SF_SF_EESJ_SZ_SK_SL_SM_EUlSZ_E0_NS1_11comp_targetILNS1_3genE3ELNS1_11target_archE908ELNS1_3gpuE7ELNS1_3repE0EEENS1_38merge_mergepath_config_static_selectorELNS0_4arch9wavefront6targetE1EEEvSL_,"axG",@progbits,_ZN7rocprim17ROCPRIM_400000_NS6detail17trampoline_kernelINS0_14default_configENS1_38merge_sort_block_merge_config_selectorItNS0_10empty_typeEEEZZNS1_27merge_sort_block_merge_implIS3_N6thrust23THRUST_200600_302600_NS6detail15normal_iteratorINS9_10device_ptrItEEEEPS5_jNS1_19radix_merge_compareILb0ELb1EtNS0_19identity_decomposerEEEEE10hipError_tT0_T1_T2_jT3_P12ihipStream_tbPNSt15iterator_traitsISK_E10value_typeEPNSQ_ISL_E10value_typeEPSM_NS1_7vsmem_tEENKUlT_SK_SL_SM_E_clIPtSE_SF_SF_EESJ_SZ_SK_SL_SM_EUlSZ_E0_NS1_11comp_targetILNS1_3genE3ELNS1_11target_archE908ELNS1_3gpuE7ELNS1_3repE0EEENS1_38merge_mergepath_config_static_selectorELNS0_4arch9wavefront6targetE1EEEvSL_,comdat
.Lfunc_end1275:
	.size	_ZN7rocprim17ROCPRIM_400000_NS6detail17trampoline_kernelINS0_14default_configENS1_38merge_sort_block_merge_config_selectorItNS0_10empty_typeEEEZZNS1_27merge_sort_block_merge_implIS3_N6thrust23THRUST_200600_302600_NS6detail15normal_iteratorINS9_10device_ptrItEEEEPS5_jNS1_19radix_merge_compareILb0ELb1EtNS0_19identity_decomposerEEEEE10hipError_tT0_T1_T2_jT3_P12ihipStream_tbPNSt15iterator_traitsISK_E10value_typeEPNSQ_ISL_E10value_typeEPSM_NS1_7vsmem_tEENKUlT_SK_SL_SM_E_clIPtSE_SF_SF_EESJ_SZ_SK_SL_SM_EUlSZ_E0_NS1_11comp_targetILNS1_3genE3ELNS1_11target_archE908ELNS1_3gpuE7ELNS1_3repE0EEENS1_38merge_mergepath_config_static_selectorELNS0_4arch9wavefront6targetE1EEEvSL_, .Lfunc_end1275-_ZN7rocprim17ROCPRIM_400000_NS6detail17trampoline_kernelINS0_14default_configENS1_38merge_sort_block_merge_config_selectorItNS0_10empty_typeEEEZZNS1_27merge_sort_block_merge_implIS3_N6thrust23THRUST_200600_302600_NS6detail15normal_iteratorINS9_10device_ptrItEEEEPS5_jNS1_19radix_merge_compareILb0ELb1EtNS0_19identity_decomposerEEEEE10hipError_tT0_T1_T2_jT3_P12ihipStream_tbPNSt15iterator_traitsISK_E10value_typeEPNSQ_ISL_E10value_typeEPSM_NS1_7vsmem_tEENKUlT_SK_SL_SM_E_clIPtSE_SF_SF_EESJ_SZ_SK_SL_SM_EUlSZ_E0_NS1_11comp_targetILNS1_3genE3ELNS1_11target_archE908ELNS1_3gpuE7ELNS1_3repE0EEENS1_38merge_mergepath_config_static_selectorELNS0_4arch9wavefront6targetE1EEEvSL_
                                        ; -- End function
	.section	.AMDGPU.csdata,"",@progbits
; Kernel info:
; codeLenInByte = 0
; NumSgprs: 6
; NumVgprs: 0
; NumAgprs: 0
; TotalNumVgprs: 0
; ScratchSize: 0
; MemoryBound: 0
; FloatMode: 240
; IeeeMode: 1
; LDSByteSize: 0 bytes/workgroup (compile time only)
; SGPRBlocks: 0
; VGPRBlocks: 0
; NumSGPRsForWavesPerEU: 6
; NumVGPRsForWavesPerEU: 1
; AccumOffset: 4
; Occupancy: 8
; WaveLimiterHint : 0
; COMPUTE_PGM_RSRC2:SCRATCH_EN: 0
; COMPUTE_PGM_RSRC2:USER_SGPR: 2
; COMPUTE_PGM_RSRC2:TRAP_HANDLER: 0
; COMPUTE_PGM_RSRC2:TGID_X_EN: 1
; COMPUTE_PGM_RSRC2:TGID_Y_EN: 0
; COMPUTE_PGM_RSRC2:TGID_Z_EN: 0
; COMPUTE_PGM_RSRC2:TIDIG_COMP_CNT: 0
; COMPUTE_PGM_RSRC3_GFX90A:ACCUM_OFFSET: 0
; COMPUTE_PGM_RSRC3_GFX90A:TG_SPLIT: 0
	.section	.text._ZN7rocprim17ROCPRIM_400000_NS6detail17trampoline_kernelINS0_14default_configENS1_38merge_sort_block_merge_config_selectorItNS0_10empty_typeEEEZZNS1_27merge_sort_block_merge_implIS3_N6thrust23THRUST_200600_302600_NS6detail15normal_iteratorINS9_10device_ptrItEEEEPS5_jNS1_19radix_merge_compareILb0ELb1EtNS0_19identity_decomposerEEEEE10hipError_tT0_T1_T2_jT3_P12ihipStream_tbPNSt15iterator_traitsISK_E10value_typeEPNSQ_ISL_E10value_typeEPSM_NS1_7vsmem_tEENKUlT_SK_SL_SM_E_clIPtSE_SF_SF_EESJ_SZ_SK_SL_SM_EUlSZ_E0_NS1_11comp_targetILNS1_3genE2ELNS1_11target_archE906ELNS1_3gpuE6ELNS1_3repE0EEENS1_38merge_mergepath_config_static_selectorELNS0_4arch9wavefront6targetE1EEEvSL_,"axG",@progbits,_ZN7rocprim17ROCPRIM_400000_NS6detail17trampoline_kernelINS0_14default_configENS1_38merge_sort_block_merge_config_selectorItNS0_10empty_typeEEEZZNS1_27merge_sort_block_merge_implIS3_N6thrust23THRUST_200600_302600_NS6detail15normal_iteratorINS9_10device_ptrItEEEEPS5_jNS1_19radix_merge_compareILb0ELb1EtNS0_19identity_decomposerEEEEE10hipError_tT0_T1_T2_jT3_P12ihipStream_tbPNSt15iterator_traitsISK_E10value_typeEPNSQ_ISL_E10value_typeEPSM_NS1_7vsmem_tEENKUlT_SK_SL_SM_E_clIPtSE_SF_SF_EESJ_SZ_SK_SL_SM_EUlSZ_E0_NS1_11comp_targetILNS1_3genE2ELNS1_11target_archE906ELNS1_3gpuE6ELNS1_3repE0EEENS1_38merge_mergepath_config_static_selectorELNS0_4arch9wavefront6targetE1EEEvSL_,comdat
	.protected	_ZN7rocprim17ROCPRIM_400000_NS6detail17trampoline_kernelINS0_14default_configENS1_38merge_sort_block_merge_config_selectorItNS0_10empty_typeEEEZZNS1_27merge_sort_block_merge_implIS3_N6thrust23THRUST_200600_302600_NS6detail15normal_iteratorINS9_10device_ptrItEEEEPS5_jNS1_19radix_merge_compareILb0ELb1EtNS0_19identity_decomposerEEEEE10hipError_tT0_T1_T2_jT3_P12ihipStream_tbPNSt15iterator_traitsISK_E10value_typeEPNSQ_ISL_E10value_typeEPSM_NS1_7vsmem_tEENKUlT_SK_SL_SM_E_clIPtSE_SF_SF_EESJ_SZ_SK_SL_SM_EUlSZ_E0_NS1_11comp_targetILNS1_3genE2ELNS1_11target_archE906ELNS1_3gpuE6ELNS1_3repE0EEENS1_38merge_mergepath_config_static_selectorELNS0_4arch9wavefront6targetE1EEEvSL_ ; -- Begin function _ZN7rocprim17ROCPRIM_400000_NS6detail17trampoline_kernelINS0_14default_configENS1_38merge_sort_block_merge_config_selectorItNS0_10empty_typeEEEZZNS1_27merge_sort_block_merge_implIS3_N6thrust23THRUST_200600_302600_NS6detail15normal_iteratorINS9_10device_ptrItEEEEPS5_jNS1_19radix_merge_compareILb0ELb1EtNS0_19identity_decomposerEEEEE10hipError_tT0_T1_T2_jT3_P12ihipStream_tbPNSt15iterator_traitsISK_E10value_typeEPNSQ_ISL_E10value_typeEPSM_NS1_7vsmem_tEENKUlT_SK_SL_SM_E_clIPtSE_SF_SF_EESJ_SZ_SK_SL_SM_EUlSZ_E0_NS1_11comp_targetILNS1_3genE2ELNS1_11target_archE906ELNS1_3gpuE6ELNS1_3repE0EEENS1_38merge_mergepath_config_static_selectorELNS0_4arch9wavefront6targetE1EEEvSL_
	.globl	_ZN7rocprim17ROCPRIM_400000_NS6detail17trampoline_kernelINS0_14default_configENS1_38merge_sort_block_merge_config_selectorItNS0_10empty_typeEEEZZNS1_27merge_sort_block_merge_implIS3_N6thrust23THRUST_200600_302600_NS6detail15normal_iteratorINS9_10device_ptrItEEEEPS5_jNS1_19radix_merge_compareILb0ELb1EtNS0_19identity_decomposerEEEEE10hipError_tT0_T1_T2_jT3_P12ihipStream_tbPNSt15iterator_traitsISK_E10value_typeEPNSQ_ISL_E10value_typeEPSM_NS1_7vsmem_tEENKUlT_SK_SL_SM_E_clIPtSE_SF_SF_EESJ_SZ_SK_SL_SM_EUlSZ_E0_NS1_11comp_targetILNS1_3genE2ELNS1_11target_archE906ELNS1_3gpuE6ELNS1_3repE0EEENS1_38merge_mergepath_config_static_selectorELNS0_4arch9wavefront6targetE1EEEvSL_
	.p2align	8
	.type	_ZN7rocprim17ROCPRIM_400000_NS6detail17trampoline_kernelINS0_14default_configENS1_38merge_sort_block_merge_config_selectorItNS0_10empty_typeEEEZZNS1_27merge_sort_block_merge_implIS3_N6thrust23THRUST_200600_302600_NS6detail15normal_iteratorINS9_10device_ptrItEEEEPS5_jNS1_19radix_merge_compareILb0ELb1EtNS0_19identity_decomposerEEEEE10hipError_tT0_T1_T2_jT3_P12ihipStream_tbPNSt15iterator_traitsISK_E10value_typeEPNSQ_ISL_E10value_typeEPSM_NS1_7vsmem_tEENKUlT_SK_SL_SM_E_clIPtSE_SF_SF_EESJ_SZ_SK_SL_SM_EUlSZ_E0_NS1_11comp_targetILNS1_3genE2ELNS1_11target_archE906ELNS1_3gpuE6ELNS1_3repE0EEENS1_38merge_mergepath_config_static_selectorELNS0_4arch9wavefront6targetE1EEEvSL_,@function
_ZN7rocprim17ROCPRIM_400000_NS6detail17trampoline_kernelINS0_14default_configENS1_38merge_sort_block_merge_config_selectorItNS0_10empty_typeEEEZZNS1_27merge_sort_block_merge_implIS3_N6thrust23THRUST_200600_302600_NS6detail15normal_iteratorINS9_10device_ptrItEEEEPS5_jNS1_19radix_merge_compareILb0ELb1EtNS0_19identity_decomposerEEEEE10hipError_tT0_T1_T2_jT3_P12ihipStream_tbPNSt15iterator_traitsISK_E10value_typeEPNSQ_ISL_E10value_typeEPSM_NS1_7vsmem_tEENKUlT_SK_SL_SM_E_clIPtSE_SF_SF_EESJ_SZ_SK_SL_SM_EUlSZ_E0_NS1_11comp_targetILNS1_3genE2ELNS1_11target_archE906ELNS1_3gpuE6ELNS1_3repE0EEENS1_38merge_mergepath_config_static_selectorELNS0_4arch9wavefront6targetE1EEEvSL_: ; @_ZN7rocprim17ROCPRIM_400000_NS6detail17trampoline_kernelINS0_14default_configENS1_38merge_sort_block_merge_config_selectorItNS0_10empty_typeEEEZZNS1_27merge_sort_block_merge_implIS3_N6thrust23THRUST_200600_302600_NS6detail15normal_iteratorINS9_10device_ptrItEEEEPS5_jNS1_19radix_merge_compareILb0ELb1EtNS0_19identity_decomposerEEEEE10hipError_tT0_T1_T2_jT3_P12ihipStream_tbPNSt15iterator_traitsISK_E10value_typeEPNSQ_ISL_E10value_typeEPSM_NS1_7vsmem_tEENKUlT_SK_SL_SM_E_clIPtSE_SF_SF_EESJ_SZ_SK_SL_SM_EUlSZ_E0_NS1_11comp_targetILNS1_3genE2ELNS1_11target_archE906ELNS1_3gpuE6ELNS1_3repE0EEENS1_38merge_mergepath_config_static_selectorELNS0_4arch9wavefront6targetE1EEEvSL_
; %bb.0:
	.section	.rodata,"a",@progbits
	.p2align	6, 0x0
	.amdhsa_kernel _ZN7rocprim17ROCPRIM_400000_NS6detail17trampoline_kernelINS0_14default_configENS1_38merge_sort_block_merge_config_selectorItNS0_10empty_typeEEEZZNS1_27merge_sort_block_merge_implIS3_N6thrust23THRUST_200600_302600_NS6detail15normal_iteratorINS9_10device_ptrItEEEEPS5_jNS1_19radix_merge_compareILb0ELb1EtNS0_19identity_decomposerEEEEE10hipError_tT0_T1_T2_jT3_P12ihipStream_tbPNSt15iterator_traitsISK_E10value_typeEPNSQ_ISL_E10value_typeEPSM_NS1_7vsmem_tEENKUlT_SK_SL_SM_E_clIPtSE_SF_SF_EESJ_SZ_SK_SL_SM_EUlSZ_E0_NS1_11comp_targetILNS1_3genE2ELNS1_11target_archE906ELNS1_3gpuE6ELNS1_3repE0EEENS1_38merge_mergepath_config_static_selectorELNS0_4arch9wavefront6targetE1EEEvSL_
		.amdhsa_group_segment_fixed_size 0
		.amdhsa_private_segment_fixed_size 0
		.amdhsa_kernarg_size 64
		.amdhsa_user_sgpr_count 2
		.amdhsa_user_sgpr_dispatch_ptr 0
		.amdhsa_user_sgpr_queue_ptr 0
		.amdhsa_user_sgpr_kernarg_segment_ptr 1
		.amdhsa_user_sgpr_dispatch_id 0
		.amdhsa_user_sgpr_kernarg_preload_length 0
		.amdhsa_user_sgpr_kernarg_preload_offset 0
		.amdhsa_user_sgpr_private_segment_size 0
		.amdhsa_uses_dynamic_stack 0
		.amdhsa_enable_private_segment 0
		.amdhsa_system_sgpr_workgroup_id_x 1
		.amdhsa_system_sgpr_workgroup_id_y 0
		.amdhsa_system_sgpr_workgroup_id_z 0
		.amdhsa_system_sgpr_workgroup_info 0
		.amdhsa_system_vgpr_workitem_id 0
		.amdhsa_next_free_vgpr 1
		.amdhsa_next_free_sgpr 0
		.amdhsa_accum_offset 4
		.amdhsa_reserve_vcc 0
		.amdhsa_float_round_mode_32 0
		.amdhsa_float_round_mode_16_64 0
		.amdhsa_float_denorm_mode_32 3
		.amdhsa_float_denorm_mode_16_64 3
		.amdhsa_dx10_clamp 1
		.amdhsa_ieee_mode 1
		.amdhsa_fp16_overflow 0
		.amdhsa_tg_split 0
		.amdhsa_exception_fp_ieee_invalid_op 0
		.amdhsa_exception_fp_denorm_src 0
		.amdhsa_exception_fp_ieee_div_zero 0
		.amdhsa_exception_fp_ieee_overflow 0
		.amdhsa_exception_fp_ieee_underflow 0
		.amdhsa_exception_fp_ieee_inexact 0
		.amdhsa_exception_int_div_zero 0
	.end_amdhsa_kernel
	.section	.text._ZN7rocprim17ROCPRIM_400000_NS6detail17trampoline_kernelINS0_14default_configENS1_38merge_sort_block_merge_config_selectorItNS0_10empty_typeEEEZZNS1_27merge_sort_block_merge_implIS3_N6thrust23THRUST_200600_302600_NS6detail15normal_iteratorINS9_10device_ptrItEEEEPS5_jNS1_19radix_merge_compareILb0ELb1EtNS0_19identity_decomposerEEEEE10hipError_tT0_T1_T2_jT3_P12ihipStream_tbPNSt15iterator_traitsISK_E10value_typeEPNSQ_ISL_E10value_typeEPSM_NS1_7vsmem_tEENKUlT_SK_SL_SM_E_clIPtSE_SF_SF_EESJ_SZ_SK_SL_SM_EUlSZ_E0_NS1_11comp_targetILNS1_3genE2ELNS1_11target_archE906ELNS1_3gpuE6ELNS1_3repE0EEENS1_38merge_mergepath_config_static_selectorELNS0_4arch9wavefront6targetE1EEEvSL_,"axG",@progbits,_ZN7rocprim17ROCPRIM_400000_NS6detail17trampoline_kernelINS0_14default_configENS1_38merge_sort_block_merge_config_selectorItNS0_10empty_typeEEEZZNS1_27merge_sort_block_merge_implIS3_N6thrust23THRUST_200600_302600_NS6detail15normal_iteratorINS9_10device_ptrItEEEEPS5_jNS1_19radix_merge_compareILb0ELb1EtNS0_19identity_decomposerEEEEE10hipError_tT0_T1_T2_jT3_P12ihipStream_tbPNSt15iterator_traitsISK_E10value_typeEPNSQ_ISL_E10value_typeEPSM_NS1_7vsmem_tEENKUlT_SK_SL_SM_E_clIPtSE_SF_SF_EESJ_SZ_SK_SL_SM_EUlSZ_E0_NS1_11comp_targetILNS1_3genE2ELNS1_11target_archE906ELNS1_3gpuE6ELNS1_3repE0EEENS1_38merge_mergepath_config_static_selectorELNS0_4arch9wavefront6targetE1EEEvSL_,comdat
.Lfunc_end1276:
	.size	_ZN7rocprim17ROCPRIM_400000_NS6detail17trampoline_kernelINS0_14default_configENS1_38merge_sort_block_merge_config_selectorItNS0_10empty_typeEEEZZNS1_27merge_sort_block_merge_implIS3_N6thrust23THRUST_200600_302600_NS6detail15normal_iteratorINS9_10device_ptrItEEEEPS5_jNS1_19radix_merge_compareILb0ELb1EtNS0_19identity_decomposerEEEEE10hipError_tT0_T1_T2_jT3_P12ihipStream_tbPNSt15iterator_traitsISK_E10value_typeEPNSQ_ISL_E10value_typeEPSM_NS1_7vsmem_tEENKUlT_SK_SL_SM_E_clIPtSE_SF_SF_EESJ_SZ_SK_SL_SM_EUlSZ_E0_NS1_11comp_targetILNS1_3genE2ELNS1_11target_archE906ELNS1_3gpuE6ELNS1_3repE0EEENS1_38merge_mergepath_config_static_selectorELNS0_4arch9wavefront6targetE1EEEvSL_, .Lfunc_end1276-_ZN7rocprim17ROCPRIM_400000_NS6detail17trampoline_kernelINS0_14default_configENS1_38merge_sort_block_merge_config_selectorItNS0_10empty_typeEEEZZNS1_27merge_sort_block_merge_implIS3_N6thrust23THRUST_200600_302600_NS6detail15normal_iteratorINS9_10device_ptrItEEEEPS5_jNS1_19radix_merge_compareILb0ELb1EtNS0_19identity_decomposerEEEEE10hipError_tT0_T1_T2_jT3_P12ihipStream_tbPNSt15iterator_traitsISK_E10value_typeEPNSQ_ISL_E10value_typeEPSM_NS1_7vsmem_tEENKUlT_SK_SL_SM_E_clIPtSE_SF_SF_EESJ_SZ_SK_SL_SM_EUlSZ_E0_NS1_11comp_targetILNS1_3genE2ELNS1_11target_archE906ELNS1_3gpuE6ELNS1_3repE0EEENS1_38merge_mergepath_config_static_selectorELNS0_4arch9wavefront6targetE1EEEvSL_
                                        ; -- End function
	.section	.AMDGPU.csdata,"",@progbits
; Kernel info:
; codeLenInByte = 0
; NumSgprs: 6
; NumVgprs: 0
; NumAgprs: 0
; TotalNumVgprs: 0
; ScratchSize: 0
; MemoryBound: 0
; FloatMode: 240
; IeeeMode: 1
; LDSByteSize: 0 bytes/workgroup (compile time only)
; SGPRBlocks: 0
; VGPRBlocks: 0
; NumSGPRsForWavesPerEU: 6
; NumVGPRsForWavesPerEU: 1
; AccumOffset: 4
; Occupancy: 8
; WaveLimiterHint : 0
; COMPUTE_PGM_RSRC2:SCRATCH_EN: 0
; COMPUTE_PGM_RSRC2:USER_SGPR: 2
; COMPUTE_PGM_RSRC2:TRAP_HANDLER: 0
; COMPUTE_PGM_RSRC2:TGID_X_EN: 1
; COMPUTE_PGM_RSRC2:TGID_Y_EN: 0
; COMPUTE_PGM_RSRC2:TGID_Z_EN: 0
; COMPUTE_PGM_RSRC2:TIDIG_COMP_CNT: 0
; COMPUTE_PGM_RSRC3_GFX90A:ACCUM_OFFSET: 0
; COMPUTE_PGM_RSRC3_GFX90A:TG_SPLIT: 0
	.section	.text._ZN7rocprim17ROCPRIM_400000_NS6detail17trampoline_kernelINS0_14default_configENS1_38merge_sort_block_merge_config_selectorItNS0_10empty_typeEEEZZNS1_27merge_sort_block_merge_implIS3_N6thrust23THRUST_200600_302600_NS6detail15normal_iteratorINS9_10device_ptrItEEEEPS5_jNS1_19radix_merge_compareILb0ELb1EtNS0_19identity_decomposerEEEEE10hipError_tT0_T1_T2_jT3_P12ihipStream_tbPNSt15iterator_traitsISK_E10value_typeEPNSQ_ISL_E10value_typeEPSM_NS1_7vsmem_tEENKUlT_SK_SL_SM_E_clIPtSE_SF_SF_EESJ_SZ_SK_SL_SM_EUlSZ_E0_NS1_11comp_targetILNS1_3genE9ELNS1_11target_archE1100ELNS1_3gpuE3ELNS1_3repE0EEENS1_38merge_mergepath_config_static_selectorELNS0_4arch9wavefront6targetE1EEEvSL_,"axG",@progbits,_ZN7rocprim17ROCPRIM_400000_NS6detail17trampoline_kernelINS0_14default_configENS1_38merge_sort_block_merge_config_selectorItNS0_10empty_typeEEEZZNS1_27merge_sort_block_merge_implIS3_N6thrust23THRUST_200600_302600_NS6detail15normal_iteratorINS9_10device_ptrItEEEEPS5_jNS1_19radix_merge_compareILb0ELb1EtNS0_19identity_decomposerEEEEE10hipError_tT0_T1_T2_jT3_P12ihipStream_tbPNSt15iterator_traitsISK_E10value_typeEPNSQ_ISL_E10value_typeEPSM_NS1_7vsmem_tEENKUlT_SK_SL_SM_E_clIPtSE_SF_SF_EESJ_SZ_SK_SL_SM_EUlSZ_E0_NS1_11comp_targetILNS1_3genE9ELNS1_11target_archE1100ELNS1_3gpuE3ELNS1_3repE0EEENS1_38merge_mergepath_config_static_selectorELNS0_4arch9wavefront6targetE1EEEvSL_,comdat
	.protected	_ZN7rocprim17ROCPRIM_400000_NS6detail17trampoline_kernelINS0_14default_configENS1_38merge_sort_block_merge_config_selectorItNS0_10empty_typeEEEZZNS1_27merge_sort_block_merge_implIS3_N6thrust23THRUST_200600_302600_NS6detail15normal_iteratorINS9_10device_ptrItEEEEPS5_jNS1_19radix_merge_compareILb0ELb1EtNS0_19identity_decomposerEEEEE10hipError_tT0_T1_T2_jT3_P12ihipStream_tbPNSt15iterator_traitsISK_E10value_typeEPNSQ_ISL_E10value_typeEPSM_NS1_7vsmem_tEENKUlT_SK_SL_SM_E_clIPtSE_SF_SF_EESJ_SZ_SK_SL_SM_EUlSZ_E0_NS1_11comp_targetILNS1_3genE9ELNS1_11target_archE1100ELNS1_3gpuE3ELNS1_3repE0EEENS1_38merge_mergepath_config_static_selectorELNS0_4arch9wavefront6targetE1EEEvSL_ ; -- Begin function _ZN7rocprim17ROCPRIM_400000_NS6detail17trampoline_kernelINS0_14default_configENS1_38merge_sort_block_merge_config_selectorItNS0_10empty_typeEEEZZNS1_27merge_sort_block_merge_implIS3_N6thrust23THRUST_200600_302600_NS6detail15normal_iteratorINS9_10device_ptrItEEEEPS5_jNS1_19radix_merge_compareILb0ELb1EtNS0_19identity_decomposerEEEEE10hipError_tT0_T1_T2_jT3_P12ihipStream_tbPNSt15iterator_traitsISK_E10value_typeEPNSQ_ISL_E10value_typeEPSM_NS1_7vsmem_tEENKUlT_SK_SL_SM_E_clIPtSE_SF_SF_EESJ_SZ_SK_SL_SM_EUlSZ_E0_NS1_11comp_targetILNS1_3genE9ELNS1_11target_archE1100ELNS1_3gpuE3ELNS1_3repE0EEENS1_38merge_mergepath_config_static_selectorELNS0_4arch9wavefront6targetE1EEEvSL_
	.globl	_ZN7rocprim17ROCPRIM_400000_NS6detail17trampoline_kernelINS0_14default_configENS1_38merge_sort_block_merge_config_selectorItNS0_10empty_typeEEEZZNS1_27merge_sort_block_merge_implIS3_N6thrust23THRUST_200600_302600_NS6detail15normal_iteratorINS9_10device_ptrItEEEEPS5_jNS1_19radix_merge_compareILb0ELb1EtNS0_19identity_decomposerEEEEE10hipError_tT0_T1_T2_jT3_P12ihipStream_tbPNSt15iterator_traitsISK_E10value_typeEPNSQ_ISL_E10value_typeEPSM_NS1_7vsmem_tEENKUlT_SK_SL_SM_E_clIPtSE_SF_SF_EESJ_SZ_SK_SL_SM_EUlSZ_E0_NS1_11comp_targetILNS1_3genE9ELNS1_11target_archE1100ELNS1_3gpuE3ELNS1_3repE0EEENS1_38merge_mergepath_config_static_selectorELNS0_4arch9wavefront6targetE1EEEvSL_
	.p2align	8
	.type	_ZN7rocprim17ROCPRIM_400000_NS6detail17trampoline_kernelINS0_14default_configENS1_38merge_sort_block_merge_config_selectorItNS0_10empty_typeEEEZZNS1_27merge_sort_block_merge_implIS3_N6thrust23THRUST_200600_302600_NS6detail15normal_iteratorINS9_10device_ptrItEEEEPS5_jNS1_19radix_merge_compareILb0ELb1EtNS0_19identity_decomposerEEEEE10hipError_tT0_T1_T2_jT3_P12ihipStream_tbPNSt15iterator_traitsISK_E10value_typeEPNSQ_ISL_E10value_typeEPSM_NS1_7vsmem_tEENKUlT_SK_SL_SM_E_clIPtSE_SF_SF_EESJ_SZ_SK_SL_SM_EUlSZ_E0_NS1_11comp_targetILNS1_3genE9ELNS1_11target_archE1100ELNS1_3gpuE3ELNS1_3repE0EEENS1_38merge_mergepath_config_static_selectorELNS0_4arch9wavefront6targetE1EEEvSL_,@function
_ZN7rocprim17ROCPRIM_400000_NS6detail17trampoline_kernelINS0_14default_configENS1_38merge_sort_block_merge_config_selectorItNS0_10empty_typeEEEZZNS1_27merge_sort_block_merge_implIS3_N6thrust23THRUST_200600_302600_NS6detail15normal_iteratorINS9_10device_ptrItEEEEPS5_jNS1_19radix_merge_compareILb0ELb1EtNS0_19identity_decomposerEEEEE10hipError_tT0_T1_T2_jT3_P12ihipStream_tbPNSt15iterator_traitsISK_E10value_typeEPNSQ_ISL_E10value_typeEPSM_NS1_7vsmem_tEENKUlT_SK_SL_SM_E_clIPtSE_SF_SF_EESJ_SZ_SK_SL_SM_EUlSZ_E0_NS1_11comp_targetILNS1_3genE9ELNS1_11target_archE1100ELNS1_3gpuE3ELNS1_3repE0EEENS1_38merge_mergepath_config_static_selectorELNS0_4arch9wavefront6targetE1EEEvSL_: ; @_ZN7rocprim17ROCPRIM_400000_NS6detail17trampoline_kernelINS0_14default_configENS1_38merge_sort_block_merge_config_selectorItNS0_10empty_typeEEEZZNS1_27merge_sort_block_merge_implIS3_N6thrust23THRUST_200600_302600_NS6detail15normal_iteratorINS9_10device_ptrItEEEEPS5_jNS1_19radix_merge_compareILb0ELb1EtNS0_19identity_decomposerEEEEE10hipError_tT0_T1_T2_jT3_P12ihipStream_tbPNSt15iterator_traitsISK_E10value_typeEPNSQ_ISL_E10value_typeEPSM_NS1_7vsmem_tEENKUlT_SK_SL_SM_E_clIPtSE_SF_SF_EESJ_SZ_SK_SL_SM_EUlSZ_E0_NS1_11comp_targetILNS1_3genE9ELNS1_11target_archE1100ELNS1_3gpuE3ELNS1_3repE0EEENS1_38merge_mergepath_config_static_selectorELNS0_4arch9wavefront6targetE1EEEvSL_
; %bb.0:
	.section	.rodata,"a",@progbits
	.p2align	6, 0x0
	.amdhsa_kernel _ZN7rocprim17ROCPRIM_400000_NS6detail17trampoline_kernelINS0_14default_configENS1_38merge_sort_block_merge_config_selectorItNS0_10empty_typeEEEZZNS1_27merge_sort_block_merge_implIS3_N6thrust23THRUST_200600_302600_NS6detail15normal_iteratorINS9_10device_ptrItEEEEPS5_jNS1_19radix_merge_compareILb0ELb1EtNS0_19identity_decomposerEEEEE10hipError_tT0_T1_T2_jT3_P12ihipStream_tbPNSt15iterator_traitsISK_E10value_typeEPNSQ_ISL_E10value_typeEPSM_NS1_7vsmem_tEENKUlT_SK_SL_SM_E_clIPtSE_SF_SF_EESJ_SZ_SK_SL_SM_EUlSZ_E0_NS1_11comp_targetILNS1_3genE9ELNS1_11target_archE1100ELNS1_3gpuE3ELNS1_3repE0EEENS1_38merge_mergepath_config_static_selectorELNS0_4arch9wavefront6targetE1EEEvSL_
		.amdhsa_group_segment_fixed_size 0
		.amdhsa_private_segment_fixed_size 0
		.amdhsa_kernarg_size 64
		.amdhsa_user_sgpr_count 2
		.amdhsa_user_sgpr_dispatch_ptr 0
		.amdhsa_user_sgpr_queue_ptr 0
		.amdhsa_user_sgpr_kernarg_segment_ptr 1
		.amdhsa_user_sgpr_dispatch_id 0
		.amdhsa_user_sgpr_kernarg_preload_length 0
		.amdhsa_user_sgpr_kernarg_preload_offset 0
		.amdhsa_user_sgpr_private_segment_size 0
		.amdhsa_uses_dynamic_stack 0
		.amdhsa_enable_private_segment 0
		.amdhsa_system_sgpr_workgroup_id_x 1
		.amdhsa_system_sgpr_workgroup_id_y 0
		.amdhsa_system_sgpr_workgroup_id_z 0
		.amdhsa_system_sgpr_workgroup_info 0
		.amdhsa_system_vgpr_workitem_id 0
		.amdhsa_next_free_vgpr 1
		.amdhsa_next_free_sgpr 0
		.amdhsa_accum_offset 4
		.amdhsa_reserve_vcc 0
		.amdhsa_float_round_mode_32 0
		.amdhsa_float_round_mode_16_64 0
		.amdhsa_float_denorm_mode_32 3
		.amdhsa_float_denorm_mode_16_64 3
		.amdhsa_dx10_clamp 1
		.amdhsa_ieee_mode 1
		.amdhsa_fp16_overflow 0
		.amdhsa_tg_split 0
		.amdhsa_exception_fp_ieee_invalid_op 0
		.amdhsa_exception_fp_denorm_src 0
		.amdhsa_exception_fp_ieee_div_zero 0
		.amdhsa_exception_fp_ieee_overflow 0
		.amdhsa_exception_fp_ieee_underflow 0
		.amdhsa_exception_fp_ieee_inexact 0
		.amdhsa_exception_int_div_zero 0
	.end_amdhsa_kernel
	.section	.text._ZN7rocprim17ROCPRIM_400000_NS6detail17trampoline_kernelINS0_14default_configENS1_38merge_sort_block_merge_config_selectorItNS0_10empty_typeEEEZZNS1_27merge_sort_block_merge_implIS3_N6thrust23THRUST_200600_302600_NS6detail15normal_iteratorINS9_10device_ptrItEEEEPS5_jNS1_19radix_merge_compareILb0ELb1EtNS0_19identity_decomposerEEEEE10hipError_tT0_T1_T2_jT3_P12ihipStream_tbPNSt15iterator_traitsISK_E10value_typeEPNSQ_ISL_E10value_typeEPSM_NS1_7vsmem_tEENKUlT_SK_SL_SM_E_clIPtSE_SF_SF_EESJ_SZ_SK_SL_SM_EUlSZ_E0_NS1_11comp_targetILNS1_3genE9ELNS1_11target_archE1100ELNS1_3gpuE3ELNS1_3repE0EEENS1_38merge_mergepath_config_static_selectorELNS0_4arch9wavefront6targetE1EEEvSL_,"axG",@progbits,_ZN7rocprim17ROCPRIM_400000_NS6detail17trampoline_kernelINS0_14default_configENS1_38merge_sort_block_merge_config_selectorItNS0_10empty_typeEEEZZNS1_27merge_sort_block_merge_implIS3_N6thrust23THRUST_200600_302600_NS6detail15normal_iteratorINS9_10device_ptrItEEEEPS5_jNS1_19radix_merge_compareILb0ELb1EtNS0_19identity_decomposerEEEEE10hipError_tT0_T1_T2_jT3_P12ihipStream_tbPNSt15iterator_traitsISK_E10value_typeEPNSQ_ISL_E10value_typeEPSM_NS1_7vsmem_tEENKUlT_SK_SL_SM_E_clIPtSE_SF_SF_EESJ_SZ_SK_SL_SM_EUlSZ_E0_NS1_11comp_targetILNS1_3genE9ELNS1_11target_archE1100ELNS1_3gpuE3ELNS1_3repE0EEENS1_38merge_mergepath_config_static_selectorELNS0_4arch9wavefront6targetE1EEEvSL_,comdat
.Lfunc_end1277:
	.size	_ZN7rocprim17ROCPRIM_400000_NS6detail17trampoline_kernelINS0_14default_configENS1_38merge_sort_block_merge_config_selectorItNS0_10empty_typeEEEZZNS1_27merge_sort_block_merge_implIS3_N6thrust23THRUST_200600_302600_NS6detail15normal_iteratorINS9_10device_ptrItEEEEPS5_jNS1_19radix_merge_compareILb0ELb1EtNS0_19identity_decomposerEEEEE10hipError_tT0_T1_T2_jT3_P12ihipStream_tbPNSt15iterator_traitsISK_E10value_typeEPNSQ_ISL_E10value_typeEPSM_NS1_7vsmem_tEENKUlT_SK_SL_SM_E_clIPtSE_SF_SF_EESJ_SZ_SK_SL_SM_EUlSZ_E0_NS1_11comp_targetILNS1_3genE9ELNS1_11target_archE1100ELNS1_3gpuE3ELNS1_3repE0EEENS1_38merge_mergepath_config_static_selectorELNS0_4arch9wavefront6targetE1EEEvSL_, .Lfunc_end1277-_ZN7rocprim17ROCPRIM_400000_NS6detail17trampoline_kernelINS0_14default_configENS1_38merge_sort_block_merge_config_selectorItNS0_10empty_typeEEEZZNS1_27merge_sort_block_merge_implIS3_N6thrust23THRUST_200600_302600_NS6detail15normal_iteratorINS9_10device_ptrItEEEEPS5_jNS1_19radix_merge_compareILb0ELb1EtNS0_19identity_decomposerEEEEE10hipError_tT0_T1_T2_jT3_P12ihipStream_tbPNSt15iterator_traitsISK_E10value_typeEPNSQ_ISL_E10value_typeEPSM_NS1_7vsmem_tEENKUlT_SK_SL_SM_E_clIPtSE_SF_SF_EESJ_SZ_SK_SL_SM_EUlSZ_E0_NS1_11comp_targetILNS1_3genE9ELNS1_11target_archE1100ELNS1_3gpuE3ELNS1_3repE0EEENS1_38merge_mergepath_config_static_selectorELNS0_4arch9wavefront6targetE1EEEvSL_
                                        ; -- End function
	.section	.AMDGPU.csdata,"",@progbits
; Kernel info:
; codeLenInByte = 0
; NumSgprs: 6
; NumVgprs: 0
; NumAgprs: 0
; TotalNumVgprs: 0
; ScratchSize: 0
; MemoryBound: 0
; FloatMode: 240
; IeeeMode: 1
; LDSByteSize: 0 bytes/workgroup (compile time only)
; SGPRBlocks: 0
; VGPRBlocks: 0
; NumSGPRsForWavesPerEU: 6
; NumVGPRsForWavesPerEU: 1
; AccumOffset: 4
; Occupancy: 8
; WaveLimiterHint : 0
; COMPUTE_PGM_RSRC2:SCRATCH_EN: 0
; COMPUTE_PGM_RSRC2:USER_SGPR: 2
; COMPUTE_PGM_RSRC2:TRAP_HANDLER: 0
; COMPUTE_PGM_RSRC2:TGID_X_EN: 1
; COMPUTE_PGM_RSRC2:TGID_Y_EN: 0
; COMPUTE_PGM_RSRC2:TGID_Z_EN: 0
; COMPUTE_PGM_RSRC2:TIDIG_COMP_CNT: 0
; COMPUTE_PGM_RSRC3_GFX90A:ACCUM_OFFSET: 0
; COMPUTE_PGM_RSRC3_GFX90A:TG_SPLIT: 0
	.section	.text._ZN7rocprim17ROCPRIM_400000_NS6detail17trampoline_kernelINS0_14default_configENS1_38merge_sort_block_merge_config_selectorItNS0_10empty_typeEEEZZNS1_27merge_sort_block_merge_implIS3_N6thrust23THRUST_200600_302600_NS6detail15normal_iteratorINS9_10device_ptrItEEEEPS5_jNS1_19radix_merge_compareILb0ELb1EtNS0_19identity_decomposerEEEEE10hipError_tT0_T1_T2_jT3_P12ihipStream_tbPNSt15iterator_traitsISK_E10value_typeEPNSQ_ISL_E10value_typeEPSM_NS1_7vsmem_tEENKUlT_SK_SL_SM_E_clIPtSE_SF_SF_EESJ_SZ_SK_SL_SM_EUlSZ_E0_NS1_11comp_targetILNS1_3genE8ELNS1_11target_archE1030ELNS1_3gpuE2ELNS1_3repE0EEENS1_38merge_mergepath_config_static_selectorELNS0_4arch9wavefront6targetE1EEEvSL_,"axG",@progbits,_ZN7rocprim17ROCPRIM_400000_NS6detail17trampoline_kernelINS0_14default_configENS1_38merge_sort_block_merge_config_selectorItNS0_10empty_typeEEEZZNS1_27merge_sort_block_merge_implIS3_N6thrust23THRUST_200600_302600_NS6detail15normal_iteratorINS9_10device_ptrItEEEEPS5_jNS1_19radix_merge_compareILb0ELb1EtNS0_19identity_decomposerEEEEE10hipError_tT0_T1_T2_jT3_P12ihipStream_tbPNSt15iterator_traitsISK_E10value_typeEPNSQ_ISL_E10value_typeEPSM_NS1_7vsmem_tEENKUlT_SK_SL_SM_E_clIPtSE_SF_SF_EESJ_SZ_SK_SL_SM_EUlSZ_E0_NS1_11comp_targetILNS1_3genE8ELNS1_11target_archE1030ELNS1_3gpuE2ELNS1_3repE0EEENS1_38merge_mergepath_config_static_selectorELNS0_4arch9wavefront6targetE1EEEvSL_,comdat
	.protected	_ZN7rocprim17ROCPRIM_400000_NS6detail17trampoline_kernelINS0_14default_configENS1_38merge_sort_block_merge_config_selectorItNS0_10empty_typeEEEZZNS1_27merge_sort_block_merge_implIS3_N6thrust23THRUST_200600_302600_NS6detail15normal_iteratorINS9_10device_ptrItEEEEPS5_jNS1_19radix_merge_compareILb0ELb1EtNS0_19identity_decomposerEEEEE10hipError_tT0_T1_T2_jT3_P12ihipStream_tbPNSt15iterator_traitsISK_E10value_typeEPNSQ_ISL_E10value_typeEPSM_NS1_7vsmem_tEENKUlT_SK_SL_SM_E_clIPtSE_SF_SF_EESJ_SZ_SK_SL_SM_EUlSZ_E0_NS1_11comp_targetILNS1_3genE8ELNS1_11target_archE1030ELNS1_3gpuE2ELNS1_3repE0EEENS1_38merge_mergepath_config_static_selectorELNS0_4arch9wavefront6targetE1EEEvSL_ ; -- Begin function _ZN7rocprim17ROCPRIM_400000_NS6detail17trampoline_kernelINS0_14default_configENS1_38merge_sort_block_merge_config_selectorItNS0_10empty_typeEEEZZNS1_27merge_sort_block_merge_implIS3_N6thrust23THRUST_200600_302600_NS6detail15normal_iteratorINS9_10device_ptrItEEEEPS5_jNS1_19radix_merge_compareILb0ELb1EtNS0_19identity_decomposerEEEEE10hipError_tT0_T1_T2_jT3_P12ihipStream_tbPNSt15iterator_traitsISK_E10value_typeEPNSQ_ISL_E10value_typeEPSM_NS1_7vsmem_tEENKUlT_SK_SL_SM_E_clIPtSE_SF_SF_EESJ_SZ_SK_SL_SM_EUlSZ_E0_NS1_11comp_targetILNS1_3genE8ELNS1_11target_archE1030ELNS1_3gpuE2ELNS1_3repE0EEENS1_38merge_mergepath_config_static_selectorELNS0_4arch9wavefront6targetE1EEEvSL_
	.globl	_ZN7rocprim17ROCPRIM_400000_NS6detail17trampoline_kernelINS0_14default_configENS1_38merge_sort_block_merge_config_selectorItNS0_10empty_typeEEEZZNS1_27merge_sort_block_merge_implIS3_N6thrust23THRUST_200600_302600_NS6detail15normal_iteratorINS9_10device_ptrItEEEEPS5_jNS1_19radix_merge_compareILb0ELb1EtNS0_19identity_decomposerEEEEE10hipError_tT0_T1_T2_jT3_P12ihipStream_tbPNSt15iterator_traitsISK_E10value_typeEPNSQ_ISL_E10value_typeEPSM_NS1_7vsmem_tEENKUlT_SK_SL_SM_E_clIPtSE_SF_SF_EESJ_SZ_SK_SL_SM_EUlSZ_E0_NS1_11comp_targetILNS1_3genE8ELNS1_11target_archE1030ELNS1_3gpuE2ELNS1_3repE0EEENS1_38merge_mergepath_config_static_selectorELNS0_4arch9wavefront6targetE1EEEvSL_
	.p2align	8
	.type	_ZN7rocprim17ROCPRIM_400000_NS6detail17trampoline_kernelINS0_14default_configENS1_38merge_sort_block_merge_config_selectorItNS0_10empty_typeEEEZZNS1_27merge_sort_block_merge_implIS3_N6thrust23THRUST_200600_302600_NS6detail15normal_iteratorINS9_10device_ptrItEEEEPS5_jNS1_19radix_merge_compareILb0ELb1EtNS0_19identity_decomposerEEEEE10hipError_tT0_T1_T2_jT3_P12ihipStream_tbPNSt15iterator_traitsISK_E10value_typeEPNSQ_ISL_E10value_typeEPSM_NS1_7vsmem_tEENKUlT_SK_SL_SM_E_clIPtSE_SF_SF_EESJ_SZ_SK_SL_SM_EUlSZ_E0_NS1_11comp_targetILNS1_3genE8ELNS1_11target_archE1030ELNS1_3gpuE2ELNS1_3repE0EEENS1_38merge_mergepath_config_static_selectorELNS0_4arch9wavefront6targetE1EEEvSL_,@function
_ZN7rocprim17ROCPRIM_400000_NS6detail17trampoline_kernelINS0_14default_configENS1_38merge_sort_block_merge_config_selectorItNS0_10empty_typeEEEZZNS1_27merge_sort_block_merge_implIS3_N6thrust23THRUST_200600_302600_NS6detail15normal_iteratorINS9_10device_ptrItEEEEPS5_jNS1_19radix_merge_compareILb0ELb1EtNS0_19identity_decomposerEEEEE10hipError_tT0_T1_T2_jT3_P12ihipStream_tbPNSt15iterator_traitsISK_E10value_typeEPNSQ_ISL_E10value_typeEPSM_NS1_7vsmem_tEENKUlT_SK_SL_SM_E_clIPtSE_SF_SF_EESJ_SZ_SK_SL_SM_EUlSZ_E0_NS1_11comp_targetILNS1_3genE8ELNS1_11target_archE1030ELNS1_3gpuE2ELNS1_3repE0EEENS1_38merge_mergepath_config_static_selectorELNS0_4arch9wavefront6targetE1EEEvSL_: ; @_ZN7rocprim17ROCPRIM_400000_NS6detail17trampoline_kernelINS0_14default_configENS1_38merge_sort_block_merge_config_selectorItNS0_10empty_typeEEEZZNS1_27merge_sort_block_merge_implIS3_N6thrust23THRUST_200600_302600_NS6detail15normal_iteratorINS9_10device_ptrItEEEEPS5_jNS1_19radix_merge_compareILb0ELb1EtNS0_19identity_decomposerEEEEE10hipError_tT0_T1_T2_jT3_P12ihipStream_tbPNSt15iterator_traitsISK_E10value_typeEPNSQ_ISL_E10value_typeEPSM_NS1_7vsmem_tEENKUlT_SK_SL_SM_E_clIPtSE_SF_SF_EESJ_SZ_SK_SL_SM_EUlSZ_E0_NS1_11comp_targetILNS1_3genE8ELNS1_11target_archE1030ELNS1_3gpuE2ELNS1_3repE0EEENS1_38merge_mergepath_config_static_selectorELNS0_4arch9wavefront6targetE1EEEvSL_
; %bb.0:
	.section	.rodata,"a",@progbits
	.p2align	6, 0x0
	.amdhsa_kernel _ZN7rocprim17ROCPRIM_400000_NS6detail17trampoline_kernelINS0_14default_configENS1_38merge_sort_block_merge_config_selectorItNS0_10empty_typeEEEZZNS1_27merge_sort_block_merge_implIS3_N6thrust23THRUST_200600_302600_NS6detail15normal_iteratorINS9_10device_ptrItEEEEPS5_jNS1_19radix_merge_compareILb0ELb1EtNS0_19identity_decomposerEEEEE10hipError_tT0_T1_T2_jT3_P12ihipStream_tbPNSt15iterator_traitsISK_E10value_typeEPNSQ_ISL_E10value_typeEPSM_NS1_7vsmem_tEENKUlT_SK_SL_SM_E_clIPtSE_SF_SF_EESJ_SZ_SK_SL_SM_EUlSZ_E0_NS1_11comp_targetILNS1_3genE8ELNS1_11target_archE1030ELNS1_3gpuE2ELNS1_3repE0EEENS1_38merge_mergepath_config_static_selectorELNS0_4arch9wavefront6targetE1EEEvSL_
		.amdhsa_group_segment_fixed_size 0
		.amdhsa_private_segment_fixed_size 0
		.amdhsa_kernarg_size 64
		.amdhsa_user_sgpr_count 2
		.amdhsa_user_sgpr_dispatch_ptr 0
		.amdhsa_user_sgpr_queue_ptr 0
		.amdhsa_user_sgpr_kernarg_segment_ptr 1
		.amdhsa_user_sgpr_dispatch_id 0
		.amdhsa_user_sgpr_kernarg_preload_length 0
		.amdhsa_user_sgpr_kernarg_preload_offset 0
		.amdhsa_user_sgpr_private_segment_size 0
		.amdhsa_uses_dynamic_stack 0
		.amdhsa_enable_private_segment 0
		.amdhsa_system_sgpr_workgroup_id_x 1
		.amdhsa_system_sgpr_workgroup_id_y 0
		.amdhsa_system_sgpr_workgroup_id_z 0
		.amdhsa_system_sgpr_workgroup_info 0
		.amdhsa_system_vgpr_workitem_id 0
		.amdhsa_next_free_vgpr 1
		.amdhsa_next_free_sgpr 0
		.amdhsa_accum_offset 4
		.amdhsa_reserve_vcc 0
		.amdhsa_float_round_mode_32 0
		.amdhsa_float_round_mode_16_64 0
		.amdhsa_float_denorm_mode_32 3
		.amdhsa_float_denorm_mode_16_64 3
		.amdhsa_dx10_clamp 1
		.amdhsa_ieee_mode 1
		.amdhsa_fp16_overflow 0
		.amdhsa_tg_split 0
		.amdhsa_exception_fp_ieee_invalid_op 0
		.amdhsa_exception_fp_denorm_src 0
		.amdhsa_exception_fp_ieee_div_zero 0
		.amdhsa_exception_fp_ieee_overflow 0
		.amdhsa_exception_fp_ieee_underflow 0
		.amdhsa_exception_fp_ieee_inexact 0
		.amdhsa_exception_int_div_zero 0
	.end_amdhsa_kernel
	.section	.text._ZN7rocprim17ROCPRIM_400000_NS6detail17trampoline_kernelINS0_14default_configENS1_38merge_sort_block_merge_config_selectorItNS0_10empty_typeEEEZZNS1_27merge_sort_block_merge_implIS3_N6thrust23THRUST_200600_302600_NS6detail15normal_iteratorINS9_10device_ptrItEEEEPS5_jNS1_19radix_merge_compareILb0ELb1EtNS0_19identity_decomposerEEEEE10hipError_tT0_T1_T2_jT3_P12ihipStream_tbPNSt15iterator_traitsISK_E10value_typeEPNSQ_ISL_E10value_typeEPSM_NS1_7vsmem_tEENKUlT_SK_SL_SM_E_clIPtSE_SF_SF_EESJ_SZ_SK_SL_SM_EUlSZ_E0_NS1_11comp_targetILNS1_3genE8ELNS1_11target_archE1030ELNS1_3gpuE2ELNS1_3repE0EEENS1_38merge_mergepath_config_static_selectorELNS0_4arch9wavefront6targetE1EEEvSL_,"axG",@progbits,_ZN7rocprim17ROCPRIM_400000_NS6detail17trampoline_kernelINS0_14default_configENS1_38merge_sort_block_merge_config_selectorItNS0_10empty_typeEEEZZNS1_27merge_sort_block_merge_implIS3_N6thrust23THRUST_200600_302600_NS6detail15normal_iteratorINS9_10device_ptrItEEEEPS5_jNS1_19radix_merge_compareILb0ELb1EtNS0_19identity_decomposerEEEEE10hipError_tT0_T1_T2_jT3_P12ihipStream_tbPNSt15iterator_traitsISK_E10value_typeEPNSQ_ISL_E10value_typeEPSM_NS1_7vsmem_tEENKUlT_SK_SL_SM_E_clIPtSE_SF_SF_EESJ_SZ_SK_SL_SM_EUlSZ_E0_NS1_11comp_targetILNS1_3genE8ELNS1_11target_archE1030ELNS1_3gpuE2ELNS1_3repE0EEENS1_38merge_mergepath_config_static_selectorELNS0_4arch9wavefront6targetE1EEEvSL_,comdat
.Lfunc_end1278:
	.size	_ZN7rocprim17ROCPRIM_400000_NS6detail17trampoline_kernelINS0_14default_configENS1_38merge_sort_block_merge_config_selectorItNS0_10empty_typeEEEZZNS1_27merge_sort_block_merge_implIS3_N6thrust23THRUST_200600_302600_NS6detail15normal_iteratorINS9_10device_ptrItEEEEPS5_jNS1_19radix_merge_compareILb0ELb1EtNS0_19identity_decomposerEEEEE10hipError_tT0_T1_T2_jT3_P12ihipStream_tbPNSt15iterator_traitsISK_E10value_typeEPNSQ_ISL_E10value_typeEPSM_NS1_7vsmem_tEENKUlT_SK_SL_SM_E_clIPtSE_SF_SF_EESJ_SZ_SK_SL_SM_EUlSZ_E0_NS1_11comp_targetILNS1_3genE8ELNS1_11target_archE1030ELNS1_3gpuE2ELNS1_3repE0EEENS1_38merge_mergepath_config_static_selectorELNS0_4arch9wavefront6targetE1EEEvSL_, .Lfunc_end1278-_ZN7rocprim17ROCPRIM_400000_NS6detail17trampoline_kernelINS0_14default_configENS1_38merge_sort_block_merge_config_selectorItNS0_10empty_typeEEEZZNS1_27merge_sort_block_merge_implIS3_N6thrust23THRUST_200600_302600_NS6detail15normal_iteratorINS9_10device_ptrItEEEEPS5_jNS1_19radix_merge_compareILb0ELb1EtNS0_19identity_decomposerEEEEE10hipError_tT0_T1_T2_jT3_P12ihipStream_tbPNSt15iterator_traitsISK_E10value_typeEPNSQ_ISL_E10value_typeEPSM_NS1_7vsmem_tEENKUlT_SK_SL_SM_E_clIPtSE_SF_SF_EESJ_SZ_SK_SL_SM_EUlSZ_E0_NS1_11comp_targetILNS1_3genE8ELNS1_11target_archE1030ELNS1_3gpuE2ELNS1_3repE0EEENS1_38merge_mergepath_config_static_selectorELNS0_4arch9wavefront6targetE1EEEvSL_
                                        ; -- End function
	.section	.AMDGPU.csdata,"",@progbits
; Kernel info:
; codeLenInByte = 0
; NumSgprs: 6
; NumVgprs: 0
; NumAgprs: 0
; TotalNumVgprs: 0
; ScratchSize: 0
; MemoryBound: 0
; FloatMode: 240
; IeeeMode: 1
; LDSByteSize: 0 bytes/workgroup (compile time only)
; SGPRBlocks: 0
; VGPRBlocks: 0
; NumSGPRsForWavesPerEU: 6
; NumVGPRsForWavesPerEU: 1
; AccumOffset: 4
; Occupancy: 8
; WaveLimiterHint : 0
; COMPUTE_PGM_RSRC2:SCRATCH_EN: 0
; COMPUTE_PGM_RSRC2:USER_SGPR: 2
; COMPUTE_PGM_RSRC2:TRAP_HANDLER: 0
; COMPUTE_PGM_RSRC2:TGID_X_EN: 1
; COMPUTE_PGM_RSRC2:TGID_Y_EN: 0
; COMPUTE_PGM_RSRC2:TGID_Z_EN: 0
; COMPUTE_PGM_RSRC2:TIDIG_COMP_CNT: 0
; COMPUTE_PGM_RSRC3_GFX90A:ACCUM_OFFSET: 0
; COMPUTE_PGM_RSRC3_GFX90A:TG_SPLIT: 0
	.section	.text._ZN7rocprim17ROCPRIM_400000_NS6detail17trampoline_kernelINS0_14default_configENS1_38merge_sort_block_merge_config_selectorItNS0_10empty_typeEEEZZNS1_27merge_sort_block_merge_implIS3_N6thrust23THRUST_200600_302600_NS6detail15normal_iteratorINS9_10device_ptrItEEEEPS5_jNS1_19radix_merge_compareILb0ELb1EtNS0_19identity_decomposerEEEEE10hipError_tT0_T1_T2_jT3_P12ihipStream_tbPNSt15iterator_traitsISK_E10value_typeEPNSQ_ISL_E10value_typeEPSM_NS1_7vsmem_tEENKUlT_SK_SL_SM_E_clIPtSE_SF_SF_EESJ_SZ_SK_SL_SM_EUlSZ_E1_NS1_11comp_targetILNS1_3genE0ELNS1_11target_archE4294967295ELNS1_3gpuE0ELNS1_3repE0EEENS1_36merge_oddeven_config_static_selectorELNS0_4arch9wavefront6targetE1EEEvSL_,"axG",@progbits,_ZN7rocprim17ROCPRIM_400000_NS6detail17trampoline_kernelINS0_14default_configENS1_38merge_sort_block_merge_config_selectorItNS0_10empty_typeEEEZZNS1_27merge_sort_block_merge_implIS3_N6thrust23THRUST_200600_302600_NS6detail15normal_iteratorINS9_10device_ptrItEEEEPS5_jNS1_19radix_merge_compareILb0ELb1EtNS0_19identity_decomposerEEEEE10hipError_tT0_T1_T2_jT3_P12ihipStream_tbPNSt15iterator_traitsISK_E10value_typeEPNSQ_ISL_E10value_typeEPSM_NS1_7vsmem_tEENKUlT_SK_SL_SM_E_clIPtSE_SF_SF_EESJ_SZ_SK_SL_SM_EUlSZ_E1_NS1_11comp_targetILNS1_3genE0ELNS1_11target_archE4294967295ELNS1_3gpuE0ELNS1_3repE0EEENS1_36merge_oddeven_config_static_selectorELNS0_4arch9wavefront6targetE1EEEvSL_,comdat
	.protected	_ZN7rocprim17ROCPRIM_400000_NS6detail17trampoline_kernelINS0_14default_configENS1_38merge_sort_block_merge_config_selectorItNS0_10empty_typeEEEZZNS1_27merge_sort_block_merge_implIS3_N6thrust23THRUST_200600_302600_NS6detail15normal_iteratorINS9_10device_ptrItEEEEPS5_jNS1_19radix_merge_compareILb0ELb1EtNS0_19identity_decomposerEEEEE10hipError_tT0_T1_T2_jT3_P12ihipStream_tbPNSt15iterator_traitsISK_E10value_typeEPNSQ_ISL_E10value_typeEPSM_NS1_7vsmem_tEENKUlT_SK_SL_SM_E_clIPtSE_SF_SF_EESJ_SZ_SK_SL_SM_EUlSZ_E1_NS1_11comp_targetILNS1_3genE0ELNS1_11target_archE4294967295ELNS1_3gpuE0ELNS1_3repE0EEENS1_36merge_oddeven_config_static_selectorELNS0_4arch9wavefront6targetE1EEEvSL_ ; -- Begin function _ZN7rocprim17ROCPRIM_400000_NS6detail17trampoline_kernelINS0_14default_configENS1_38merge_sort_block_merge_config_selectorItNS0_10empty_typeEEEZZNS1_27merge_sort_block_merge_implIS3_N6thrust23THRUST_200600_302600_NS6detail15normal_iteratorINS9_10device_ptrItEEEEPS5_jNS1_19radix_merge_compareILb0ELb1EtNS0_19identity_decomposerEEEEE10hipError_tT0_T1_T2_jT3_P12ihipStream_tbPNSt15iterator_traitsISK_E10value_typeEPNSQ_ISL_E10value_typeEPSM_NS1_7vsmem_tEENKUlT_SK_SL_SM_E_clIPtSE_SF_SF_EESJ_SZ_SK_SL_SM_EUlSZ_E1_NS1_11comp_targetILNS1_3genE0ELNS1_11target_archE4294967295ELNS1_3gpuE0ELNS1_3repE0EEENS1_36merge_oddeven_config_static_selectorELNS0_4arch9wavefront6targetE1EEEvSL_
	.globl	_ZN7rocprim17ROCPRIM_400000_NS6detail17trampoline_kernelINS0_14default_configENS1_38merge_sort_block_merge_config_selectorItNS0_10empty_typeEEEZZNS1_27merge_sort_block_merge_implIS3_N6thrust23THRUST_200600_302600_NS6detail15normal_iteratorINS9_10device_ptrItEEEEPS5_jNS1_19radix_merge_compareILb0ELb1EtNS0_19identity_decomposerEEEEE10hipError_tT0_T1_T2_jT3_P12ihipStream_tbPNSt15iterator_traitsISK_E10value_typeEPNSQ_ISL_E10value_typeEPSM_NS1_7vsmem_tEENKUlT_SK_SL_SM_E_clIPtSE_SF_SF_EESJ_SZ_SK_SL_SM_EUlSZ_E1_NS1_11comp_targetILNS1_3genE0ELNS1_11target_archE4294967295ELNS1_3gpuE0ELNS1_3repE0EEENS1_36merge_oddeven_config_static_selectorELNS0_4arch9wavefront6targetE1EEEvSL_
	.p2align	8
	.type	_ZN7rocprim17ROCPRIM_400000_NS6detail17trampoline_kernelINS0_14default_configENS1_38merge_sort_block_merge_config_selectorItNS0_10empty_typeEEEZZNS1_27merge_sort_block_merge_implIS3_N6thrust23THRUST_200600_302600_NS6detail15normal_iteratorINS9_10device_ptrItEEEEPS5_jNS1_19radix_merge_compareILb0ELb1EtNS0_19identity_decomposerEEEEE10hipError_tT0_T1_T2_jT3_P12ihipStream_tbPNSt15iterator_traitsISK_E10value_typeEPNSQ_ISL_E10value_typeEPSM_NS1_7vsmem_tEENKUlT_SK_SL_SM_E_clIPtSE_SF_SF_EESJ_SZ_SK_SL_SM_EUlSZ_E1_NS1_11comp_targetILNS1_3genE0ELNS1_11target_archE4294967295ELNS1_3gpuE0ELNS1_3repE0EEENS1_36merge_oddeven_config_static_selectorELNS0_4arch9wavefront6targetE1EEEvSL_,@function
_ZN7rocprim17ROCPRIM_400000_NS6detail17trampoline_kernelINS0_14default_configENS1_38merge_sort_block_merge_config_selectorItNS0_10empty_typeEEEZZNS1_27merge_sort_block_merge_implIS3_N6thrust23THRUST_200600_302600_NS6detail15normal_iteratorINS9_10device_ptrItEEEEPS5_jNS1_19radix_merge_compareILb0ELb1EtNS0_19identity_decomposerEEEEE10hipError_tT0_T1_T2_jT3_P12ihipStream_tbPNSt15iterator_traitsISK_E10value_typeEPNSQ_ISL_E10value_typeEPSM_NS1_7vsmem_tEENKUlT_SK_SL_SM_E_clIPtSE_SF_SF_EESJ_SZ_SK_SL_SM_EUlSZ_E1_NS1_11comp_targetILNS1_3genE0ELNS1_11target_archE4294967295ELNS1_3gpuE0ELNS1_3repE0EEENS1_36merge_oddeven_config_static_selectorELNS0_4arch9wavefront6targetE1EEEvSL_: ; @_ZN7rocprim17ROCPRIM_400000_NS6detail17trampoline_kernelINS0_14default_configENS1_38merge_sort_block_merge_config_selectorItNS0_10empty_typeEEEZZNS1_27merge_sort_block_merge_implIS3_N6thrust23THRUST_200600_302600_NS6detail15normal_iteratorINS9_10device_ptrItEEEEPS5_jNS1_19radix_merge_compareILb0ELb1EtNS0_19identity_decomposerEEEEE10hipError_tT0_T1_T2_jT3_P12ihipStream_tbPNSt15iterator_traitsISK_E10value_typeEPNSQ_ISL_E10value_typeEPSM_NS1_7vsmem_tEENKUlT_SK_SL_SM_E_clIPtSE_SF_SF_EESJ_SZ_SK_SL_SM_EUlSZ_E1_NS1_11comp_targetILNS1_3genE0ELNS1_11target_archE4294967295ELNS1_3gpuE0ELNS1_3repE0EEENS1_36merge_oddeven_config_static_selectorELNS0_4arch9wavefront6targetE1EEEvSL_
; %bb.0:
	.section	.rodata,"a",@progbits
	.p2align	6, 0x0
	.amdhsa_kernel _ZN7rocprim17ROCPRIM_400000_NS6detail17trampoline_kernelINS0_14default_configENS1_38merge_sort_block_merge_config_selectorItNS0_10empty_typeEEEZZNS1_27merge_sort_block_merge_implIS3_N6thrust23THRUST_200600_302600_NS6detail15normal_iteratorINS9_10device_ptrItEEEEPS5_jNS1_19radix_merge_compareILb0ELb1EtNS0_19identity_decomposerEEEEE10hipError_tT0_T1_T2_jT3_P12ihipStream_tbPNSt15iterator_traitsISK_E10value_typeEPNSQ_ISL_E10value_typeEPSM_NS1_7vsmem_tEENKUlT_SK_SL_SM_E_clIPtSE_SF_SF_EESJ_SZ_SK_SL_SM_EUlSZ_E1_NS1_11comp_targetILNS1_3genE0ELNS1_11target_archE4294967295ELNS1_3gpuE0ELNS1_3repE0EEENS1_36merge_oddeven_config_static_selectorELNS0_4arch9wavefront6targetE1EEEvSL_
		.amdhsa_group_segment_fixed_size 0
		.amdhsa_private_segment_fixed_size 0
		.amdhsa_kernarg_size 48
		.amdhsa_user_sgpr_count 2
		.amdhsa_user_sgpr_dispatch_ptr 0
		.amdhsa_user_sgpr_queue_ptr 0
		.amdhsa_user_sgpr_kernarg_segment_ptr 1
		.amdhsa_user_sgpr_dispatch_id 0
		.amdhsa_user_sgpr_kernarg_preload_length 0
		.amdhsa_user_sgpr_kernarg_preload_offset 0
		.amdhsa_user_sgpr_private_segment_size 0
		.amdhsa_uses_dynamic_stack 0
		.amdhsa_enable_private_segment 0
		.amdhsa_system_sgpr_workgroup_id_x 1
		.amdhsa_system_sgpr_workgroup_id_y 0
		.amdhsa_system_sgpr_workgroup_id_z 0
		.amdhsa_system_sgpr_workgroup_info 0
		.amdhsa_system_vgpr_workitem_id 0
		.amdhsa_next_free_vgpr 1
		.amdhsa_next_free_sgpr 0
		.amdhsa_accum_offset 4
		.amdhsa_reserve_vcc 0
		.amdhsa_float_round_mode_32 0
		.amdhsa_float_round_mode_16_64 0
		.amdhsa_float_denorm_mode_32 3
		.amdhsa_float_denorm_mode_16_64 3
		.amdhsa_dx10_clamp 1
		.amdhsa_ieee_mode 1
		.amdhsa_fp16_overflow 0
		.amdhsa_tg_split 0
		.amdhsa_exception_fp_ieee_invalid_op 0
		.amdhsa_exception_fp_denorm_src 0
		.amdhsa_exception_fp_ieee_div_zero 0
		.amdhsa_exception_fp_ieee_overflow 0
		.amdhsa_exception_fp_ieee_underflow 0
		.amdhsa_exception_fp_ieee_inexact 0
		.amdhsa_exception_int_div_zero 0
	.end_amdhsa_kernel
	.section	.text._ZN7rocprim17ROCPRIM_400000_NS6detail17trampoline_kernelINS0_14default_configENS1_38merge_sort_block_merge_config_selectorItNS0_10empty_typeEEEZZNS1_27merge_sort_block_merge_implIS3_N6thrust23THRUST_200600_302600_NS6detail15normal_iteratorINS9_10device_ptrItEEEEPS5_jNS1_19radix_merge_compareILb0ELb1EtNS0_19identity_decomposerEEEEE10hipError_tT0_T1_T2_jT3_P12ihipStream_tbPNSt15iterator_traitsISK_E10value_typeEPNSQ_ISL_E10value_typeEPSM_NS1_7vsmem_tEENKUlT_SK_SL_SM_E_clIPtSE_SF_SF_EESJ_SZ_SK_SL_SM_EUlSZ_E1_NS1_11comp_targetILNS1_3genE0ELNS1_11target_archE4294967295ELNS1_3gpuE0ELNS1_3repE0EEENS1_36merge_oddeven_config_static_selectorELNS0_4arch9wavefront6targetE1EEEvSL_,"axG",@progbits,_ZN7rocprim17ROCPRIM_400000_NS6detail17trampoline_kernelINS0_14default_configENS1_38merge_sort_block_merge_config_selectorItNS0_10empty_typeEEEZZNS1_27merge_sort_block_merge_implIS3_N6thrust23THRUST_200600_302600_NS6detail15normal_iteratorINS9_10device_ptrItEEEEPS5_jNS1_19radix_merge_compareILb0ELb1EtNS0_19identity_decomposerEEEEE10hipError_tT0_T1_T2_jT3_P12ihipStream_tbPNSt15iterator_traitsISK_E10value_typeEPNSQ_ISL_E10value_typeEPSM_NS1_7vsmem_tEENKUlT_SK_SL_SM_E_clIPtSE_SF_SF_EESJ_SZ_SK_SL_SM_EUlSZ_E1_NS1_11comp_targetILNS1_3genE0ELNS1_11target_archE4294967295ELNS1_3gpuE0ELNS1_3repE0EEENS1_36merge_oddeven_config_static_selectorELNS0_4arch9wavefront6targetE1EEEvSL_,comdat
.Lfunc_end1279:
	.size	_ZN7rocprim17ROCPRIM_400000_NS6detail17trampoline_kernelINS0_14default_configENS1_38merge_sort_block_merge_config_selectorItNS0_10empty_typeEEEZZNS1_27merge_sort_block_merge_implIS3_N6thrust23THRUST_200600_302600_NS6detail15normal_iteratorINS9_10device_ptrItEEEEPS5_jNS1_19radix_merge_compareILb0ELb1EtNS0_19identity_decomposerEEEEE10hipError_tT0_T1_T2_jT3_P12ihipStream_tbPNSt15iterator_traitsISK_E10value_typeEPNSQ_ISL_E10value_typeEPSM_NS1_7vsmem_tEENKUlT_SK_SL_SM_E_clIPtSE_SF_SF_EESJ_SZ_SK_SL_SM_EUlSZ_E1_NS1_11comp_targetILNS1_3genE0ELNS1_11target_archE4294967295ELNS1_3gpuE0ELNS1_3repE0EEENS1_36merge_oddeven_config_static_selectorELNS0_4arch9wavefront6targetE1EEEvSL_, .Lfunc_end1279-_ZN7rocprim17ROCPRIM_400000_NS6detail17trampoline_kernelINS0_14default_configENS1_38merge_sort_block_merge_config_selectorItNS0_10empty_typeEEEZZNS1_27merge_sort_block_merge_implIS3_N6thrust23THRUST_200600_302600_NS6detail15normal_iteratorINS9_10device_ptrItEEEEPS5_jNS1_19radix_merge_compareILb0ELb1EtNS0_19identity_decomposerEEEEE10hipError_tT0_T1_T2_jT3_P12ihipStream_tbPNSt15iterator_traitsISK_E10value_typeEPNSQ_ISL_E10value_typeEPSM_NS1_7vsmem_tEENKUlT_SK_SL_SM_E_clIPtSE_SF_SF_EESJ_SZ_SK_SL_SM_EUlSZ_E1_NS1_11comp_targetILNS1_3genE0ELNS1_11target_archE4294967295ELNS1_3gpuE0ELNS1_3repE0EEENS1_36merge_oddeven_config_static_selectorELNS0_4arch9wavefront6targetE1EEEvSL_
                                        ; -- End function
	.section	.AMDGPU.csdata,"",@progbits
; Kernel info:
; codeLenInByte = 0
; NumSgprs: 6
; NumVgprs: 0
; NumAgprs: 0
; TotalNumVgprs: 0
; ScratchSize: 0
; MemoryBound: 0
; FloatMode: 240
; IeeeMode: 1
; LDSByteSize: 0 bytes/workgroup (compile time only)
; SGPRBlocks: 0
; VGPRBlocks: 0
; NumSGPRsForWavesPerEU: 6
; NumVGPRsForWavesPerEU: 1
; AccumOffset: 4
; Occupancy: 8
; WaveLimiterHint : 0
; COMPUTE_PGM_RSRC2:SCRATCH_EN: 0
; COMPUTE_PGM_RSRC2:USER_SGPR: 2
; COMPUTE_PGM_RSRC2:TRAP_HANDLER: 0
; COMPUTE_PGM_RSRC2:TGID_X_EN: 1
; COMPUTE_PGM_RSRC2:TGID_Y_EN: 0
; COMPUTE_PGM_RSRC2:TGID_Z_EN: 0
; COMPUTE_PGM_RSRC2:TIDIG_COMP_CNT: 0
; COMPUTE_PGM_RSRC3_GFX90A:ACCUM_OFFSET: 0
; COMPUTE_PGM_RSRC3_GFX90A:TG_SPLIT: 0
	.section	.text._ZN7rocprim17ROCPRIM_400000_NS6detail17trampoline_kernelINS0_14default_configENS1_38merge_sort_block_merge_config_selectorItNS0_10empty_typeEEEZZNS1_27merge_sort_block_merge_implIS3_N6thrust23THRUST_200600_302600_NS6detail15normal_iteratorINS9_10device_ptrItEEEEPS5_jNS1_19radix_merge_compareILb0ELb1EtNS0_19identity_decomposerEEEEE10hipError_tT0_T1_T2_jT3_P12ihipStream_tbPNSt15iterator_traitsISK_E10value_typeEPNSQ_ISL_E10value_typeEPSM_NS1_7vsmem_tEENKUlT_SK_SL_SM_E_clIPtSE_SF_SF_EESJ_SZ_SK_SL_SM_EUlSZ_E1_NS1_11comp_targetILNS1_3genE10ELNS1_11target_archE1201ELNS1_3gpuE5ELNS1_3repE0EEENS1_36merge_oddeven_config_static_selectorELNS0_4arch9wavefront6targetE1EEEvSL_,"axG",@progbits,_ZN7rocprim17ROCPRIM_400000_NS6detail17trampoline_kernelINS0_14default_configENS1_38merge_sort_block_merge_config_selectorItNS0_10empty_typeEEEZZNS1_27merge_sort_block_merge_implIS3_N6thrust23THRUST_200600_302600_NS6detail15normal_iteratorINS9_10device_ptrItEEEEPS5_jNS1_19radix_merge_compareILb0ELb1EtNS0_19identity_decomposerEEEEE10hipError_tT0_T1_T2_jT3_P12ihipStream_tbPNSt15iterator_traitsISK_E10value_typeEPNSQ_ISL_E10value_typeEPSM_NS1_7vsmem_tEENKUlT_SK_SL_SM_E_clIPtSE_SF_SF_EESJ_SZ_SK_SL_SM_EUlSZ_E1_NS1_11comp_targetILNS1_3genE10ELNS1_11target_archE1201ELNS1_3gpuE5ELNS1_3repE0EEENS1_36merge_oddeven_config_static_selectorELNS0_4arch9wavefront6targetE1EEEvSL_,comdat
	.protected	_ZN7rocprim17ROCPRIM_400000_NS6detail17trampoline_kernelINS0_14default_configENS1_38merge_sort_block_merge_config_selectorItNS0_10empty_typeEEEZZNS1_27merge_sort_block_merge_implIS3_N6thrust23THRUST_200600_302600_NS6detail15normal_iteratorINS9_10device_ptrItEEEEPS5_jNS1_19radix_merge_compareILb0ELb1EtNS0_19identity_decomposerEEEEE10hipError_tT0_T1_T2_jT3_P12ihipStream_tbPNSt15iterator_traitsISK_E10value_typeEPNSQ_ISL_E10value_typeEPSM_NS1_7vsmem_tEENKUlT_SK_SL_SM_E_clIPtSE_SF_SF_EESJ_SZ_SK_SL_SM_EUlSZ_E1_NS1_11comp_targetILNS1_3genE10ELNS1_11target_archE1201ELNS1_3gpuE5ELNS1_3repE0EEENS1_36merge_oddeven_config_static_selectorELNS0_4arch9wavefront6targetE1EEEvSL_ ; -- Begin function _ZN7rocprim17ROCPRIM_400000_NS6detail17trampoline_kernelINS0_14default_configENS1_38merge_sort_block_merge_config_selectorItNS0_10empty_typeEEEZZNS1_27merge_sort_block_merge_implIS3_N6thrust23THRUST_200600_302600_NS6detail15normal_iteratorINS9_10device_ptrItEEEEPS5_jNS1_19radix_merge_compareILb0ELb1EtNS0_19identity_decomposerEEEEE10hipError_tT0_T1_T2_jT3_P12ihipStream_tbPNSt15iterator_traitsISK_E10value_typeEPNSQ_ISL_E10value_typeEPSM_NS1_7vsmem_tEENKUlT_SK_SL_SM_E_clIPtSE_SF_SF_EESJ_SZ_SK_SL_SM_EUlSZ_E1_NS1_11comp_targetILNS1_3genE10ELNS1_11target_archE1201ELNS1_3gpuE5ELNS1_3repE0EEENS1_36merge_oddeven_config_static_selectorELNS0_4arch9wavefront6targetE1EEEvSL_
	.globl	_ZN7rocprim17ROCPRIM_400000_NS6detail17trampoline_kernelINS0_14default_configENS1_38merge_sort_block_merge_config_selectorItNS0_10empty_typeEEEZZNS1_27merge_sort_block_merge_implIS3_N6thrust23THRUST_200600_302600_NS6detail15normal_iteratorINS9_10device_ptrItEEEEPS5_jNS1_19radix_merge_compareILb0ELb1EtNS0_19identity_decomposerEEEEE10hipError_tT0_T1_T2_jT3_P12ihipStream_tbPNSt15iterator_traitsISK_E10value_typeEPNSQ_ISL_E10value_typeEPSM_NS1_7vsmem_tEENKUlT_SK_SL_SM_E_clIPtSE_SF_SF_EESJ_SZ_SK_SL_SM_EUlSZ_E1_NS1_11comp_targetILNS1_3genE10ELNS1_11target_archE1201ELNS1_3gpuE5ELNS1_3repE0EEENS1_36merge_oddeven_config_static_selectorELNS0_4arch9wavefront6targetE1EEEvSL_
	.p2align	8
	.type	_ZN7rocprim17ROCPRIM_400000_NS6detail17trampoline_kernelINS0_14default_configENS1_38merge_sort_block_merge_config_selectorItNS0_10empty_typeEEEZZNS1_27merge_sort_block_merge_implIS3_N6thrust23THRUST_200600_302600_NS6detail15normal_iteratorINS9_10device_ptrItEEEEPS5_jNS1_19radix_merge_compareILb0ELb1EtNS0_19identity_decomposerEEEEE10hipError_tT0_T1_T2_jT3_P12ihipStream_tbPNSt15iterator_traitsISK_E10value_typeEPNSQ_ISL_E10value_typeEPSM_NS1_7vsmem_tEENKUlT_SK_SL_SM_E_clIPtSE_SF_SF_EESJ_SZ_SK_SL_SM_EUlSZ_E1_NS1_11comp_targetILNS1_3genE10ELNS1_11target_archE1201ELNS1_3gpuE5ELNS1_3repE0EEENS1_36merge_oddeven_config_static_selectorELNS0_4arch9wavefront6targetE1EEEvSL_,@function
_ZN7rocprim17ROCPRIM_400000_NS6detail17trampoline_kernelINS0_14default_configENS1_38merge_sort_block_merge_config_selectorItNS0_10empty_typeEEEZZNS1_27merge_sort_block_merge_implIS3_N6thrust23THRUST_200600_302600_NS6detail15normal_iteratorINS9_10device_ptrItEEEEPS5_jNS1_19radix_merge_compareILb0ELb1EtNS0_19identity_decomposerEEEEE10hipError_tT0_T1_T2_jT3_P12ihipStream_tbPNSt15iterator_traitsISK_E10value_typeEPNSQ_ISL_E10value_typeEPSM_NS1_7vsmem_tEENKUlT_SK_SL_SM_E_clIPtSE_SF_SF_EESJ_SZ_SK_SL_SM_EUlSZ_E1_NS1_11comp_targetILNS1_3genE10ELNS1_11target_archE1201ELNS1_3gpuE5ELNS1_3repE0EEENS1_36merge_oddeven_config_static_selectorELNS0_4arch9wavefront6targetE1EEEvSL_: ; @_ZN7rocprim17ROCPRIM_400000_NS6detail17trampoline_kernelINS0_14default_configENS1_38merge_sort_block_merge_config_selectorItNS0_10empty_typeEEEZZNS1_27merge_sort_block_merge_implIS3_N6thrust23THRUST_200600_302600_NS6detail15normal_iteratorINS9_10device_ptrItEEEEPS5_jNS1_19radix_merge_compareILb0ELb1EtNS0_19identity_decomposerEEEEE10hipError_tT0_T1_T2_jT3_P12ihipStream_tbPNSt15iterator_traitsISK_E10value_typeEPNSQ_ISL_E10value_typeEPSM_NS1_7vsmem_tEENKUlT_SK_SL_SM_E_clIPtSE_SF_SF_EESJ_SZ_SK_SL_SM_EUlSZ_E1_NS1_11comp_targetILNS1_3genE10ELNS1_11target_archE1201ELNS1_3gpuE5ELNS1_3repE0EEENS1_36merge_oddeven_config_static_selectorELNS0_4arch9wavefront6targetE1EEEvSL_
; %bb.0:
	.section	.rodata,"a",@progbits
	.p2align	6, 0x0
	.amdhsa_kernel _ZN7rocprim17ROCPRIM_400000_NS6detail17trampoline_kernelINS0_14default_configENS1_38merge_sort_block_merge_config_selectorItNS0_10empty_typeEEEZZNS1_27merge_sort_block_merge_implIS3_N6thrust23THRUST_200600_302600_NS6detail15normal_iteratorINS9_10device_ptrItEEEEPS5_jNS1_19radix_merge_compareILb0ELb1EtNS0_19identity_decomposerEEEEE10hipError_tT0_T1_T2_jT3_P12ihipStream_tbPNSt15iterator_traitsISK_E10value_typeEPNSQ_ISL_E10value_typeEPSM_NS1_7vsmem_tEENKUlT_SK_SL_SM_E_clIPtSE_SF_SF_EESJ_SZ_SK_SL_SM_EUlSZ_E1_NS1_11comp_targetILNS1_3genE10ELNS1_11target_archE1201ELNS1_3gpuE5ELNS1_3repE0EEENS1_36merge_oddeven_config_static_selectorELNS0_4arch9wavefront6targetE1EEEvSL_
		.amdhsa_group_segment_fixed_size 0
		.amdhsa_private_segment_fixed_size 0
		.amdhsa_kernarg_size 48
		.amdhsa_user_sgpr_count 2
		.amdhsa_user_sgpr_dispatch_ptr 0
		.amdhsa_user_sgpr_queue_ptr 0
		.amdhsa_user_sgpr_kernarg_segment_ptr 1
		.amdhsa_user_sgpr_dispatch_id 0
		.amdhsa_user_sgpr_kernarg_preload_length 0
		.amdhsa_user_sgpr_kernarg_preload_offset 0
		.amdhsa_user_sgpr_private_segment_size 0
		.amdhsa_uses_dynamic_stack 0
		.amdhsa_enable_private_segment 0
		.amdhsa_system_sgpr_workgroup_id_x 1
		.amdhsa_system_sgpr_workgroup_id_y 0
		.amdhsa_system_sgpr_workgroup_id_z 0
		.amdhsa_system_sgpr_workgroup_info 0
		.amdhsa_system_vgpr_workitem_id 0
		.amdhsa_next_free_vgpr 1
		.amdhsa_next_free_sgpr 0
		.amdhsa_accum_offset 4
		.amdhsa_reserve_vcc 0
		.amdhsa_float_round_mode_32 0
		.amdhsa_float_round_mode_16_64 0
		.amdhsa_float_denorm_mode_32 3
		.amdhsa_float_denorm_mode_16_64 3
		.amdhsa_dx10_clamp 1
		.amdhsa_ieee_mode 1
		.amdhsa_fp16_overflow 0
		.amdhsa_tg_split 0
		.amdhsa_exception_fp_ieee_invalid_op 0
		.amdhsa_exception_fp_denorm_src 0
		.amdhsa_exception_fp_ieee_div_zero 0
		.amdhsa_exception_fp_ieee_overflow 0
		.amdhsa_exception_fp_ieee_underflow 0
		.amdhsa_exception_fp_ieee_inexact 0
		.amdhsa_exception_int_div_zero 0
	.end_amdhsa_kernel
	.section	.text._ZN7rocprim17ROCPRIM_400000_NS6detail17trampoline_kernelINS0_14default_configENS1_38merge_sort_block_merge_config_selectorItNS0_10empty_typeEEEZZNS1_27merge_sort_block_merge_implIS3_N6thrust23THRUST_200600_302600_NS6detail15normal_iteratorINS9_10device_ptrItEEEEPS5_jNS1_19radix_merge_compareILb0ELb1EtNS0_19identity_decomposerEEEEE10hipError_tT0_T1_T2_jT3_P12ihipStream_tbPNSt15iterator_traitsISK_E10value_typeEPNSQ_ISL_E10value_typeEPSM_NS1_7vsmem_tEENKUlT_SK_SL_SM_E_clIPtSE_SF_SF_EESJ_SZ_SK_SL_SM_EUlSZ_E1_NS1_11comp_targetILNS1_3genE10ELNS1_11target_archE1201ELNS1_3gpuE5ELNS1_3repE0EEENS1_36merge_oddeven_config_static_selectorELNS0_4arch9wavefront6targetE1EEEvSL_,"axG",@progbits,_ZN7rocprim17ROCPRIM_400000_NS6detail17trampoline_kernelINS0_14default_configENS1_38merge_sort_block_merge_config_selectorItNS0_10empty_typeEEEZZNS1_27merge_sort_block_merge_implIS3_N6thrust23THRUST_200600_302600_NS6detail15normal_iteratorINS9_10device_ptrItEEEEPS5_jNS1_19radix_merge_compareILb0ELb1EtNS0_19identity_decomposerEEEEE10hipError_tT0_T1_T2_jT3_P12ihipStream_tbPNSt15iterator_traitsISK_E10value_typeEPNSQ_ISL_E10value_typeEPSM_NS1_7vsmem_tEENKUlT_SK_SL_SM_E_clIPtSE_SF_SF_EESJ_SZ_SK_SL_SM_EUlSZ_E1_NS1_11comp_targetILNS1_3genE10ELNS1_11target_archE1201ELNS1_3gpuE5ELNS1_3repE0EEENS1_36merge_oddeven_config_static_selectorELNS0_4arch9wavefront6targetE1EEEvSL_,comdat
.Lfunc_end1280:
	.size	_ZN7rocprim17ROCPRIM_400000_NS6detail17trampoline_kernelINS0_14default_configENS1_38merge_sort_block_merge_config_selectorItNS0_10empty_typeEEEZZNS1_27merge_sort_block_merge_implIS3_N6thrust23THRUST_200600_302600_NS6detail15normal_iteratorINS9_10device_ptrItEEEEPS5_jNS1_19radix_merge_compareILb0ELb1EtNS0_19identity_decomposerEEEEE10hipError_tT0_T1_T2_jT3_P12ihipStream_tbPNSt15iterator_traitsISK_E10value_typeEPNSQ_ISL_E10value_typeEPSM_NS1_7vsmem_tEENKUlT_SK_SL_SM_E_clIPtSE_SF_SF_EESJ_SZ_SK_SL_SM_EUlSZ_E1_NS1_11comp_targetILNS1_3genE10ELNS1_11target_archE1201ELNS1_3gpuE5ELNS1_3repE0EEENS1_36merge_oddeven_config_static_selectorELNS0_4arch9wavefront6targetE1EEEvSL_, .Lfunc_end1280-_ZN7rocprim17ROCPRIM_400000_NS6detail17trampoline_kernelINS0_14default_configENS1_38merge_sort_block_merge_config_selectorItNS0_10empty_typeEEEZZNS1_27merge_sort_block_merge_implIS3_N6thrust23THRUST_200600_302600_NS6detail15normal_iteratorINS9_10device_ptrItEEEEPS5_jNS1_19radix_merge_compareILb0ELb1EtNS0_19identity_decomposerEEEEE10hipError_tT0_T1_T2_jT3_P12ihipStream_tbPNSt15iterator_traitsISK_E10value_typeEPNSQ_ISL_E10value_typeEPSM_NS1_7vsmem_tEENKUlT_SK_SL_SM_E_clIPtSE_SF_SF_EESJ_SZ_SK_SL_SM_EUlSZ_E1_NS1_11comp_targetILNS1_3genE10ELNS1_11target_archE1201ELNS1_3gpuE5ELNS1_3repE0EEENS1_36merge_oddeven_config_static_selectorELNS0_4arch9wavefront6targetE1EEEvSL_
                                        ; -- End function
	.section	.AMDGPU.csdata,"",@progbits
; Kernel info:
; codeLenInByte = 0
; NumSgprs: 6
; NumVgprs: 0
; NumAgprs: 0
; TotalNumVgprs: 0
; ScratchSize: 0
; MemoryBound: 0
; FloatMode: 240
; IeeeMode: 1
; LDSByteSize: 0 bytes/workgroup (compile time only)
; SGPRBlocks: 0
; VGPRBlocks: 0
; NumSGPRsForWavesPerEU: 6
; NumVGPRsForWavesPerEU: 1
; AccumOffset: 4
; Occupancy: 8
; WaveLimiterHint : 0
; COMPUTE_PGM_RSRC2:SCRATCH_EN: 0
; COMPUTE_PGM_RSRC2:USER_SGPR: 2
; COMPUTE_PGM_RSRC2:TRAP_HANDLER: 0
; COMPUTE_PGM_RSRC2:TGID_X_EN: 1
; COMPUTE_PGM_RSRC2:TGID_Y_EN: 0
; COMPUTE_PGM_RSRC2:TGID_Z_EN: 0
; COMPUTE_PGM_RSRC2:TIDIG_COMP_CNT: 0
; COMPUTE_PGM_RSRC3_GFX90A:ACCUM_OFFSET: 0
; COMPUTE_PGM_RSRC3_GFX90A:TG_SPLIT: 0
	.section	.text._ZN7rocprim17ROCPRIM_400000_NS6detail17trampoline_kernelINS0_14default_configENS1_38merge_sort_block_merge_config_selectorItNS0_10empty_typeEEEZZNS1_27merge_sort_block_merge_implIS3_N6thrust23THRUST_200600_302600_NS6detail15normal_iteratorINS9_10device_ptrItEEEEPS5_jNS1_19radix_merge_compareILb0ELb1EtNS0_19identity_decomposerEEEEE10hipError_tT0_T1_T2_jT3_P12ihipStream_tbPNSt15iterator_traitsISK_E10value_typeEPNSQ_ISL_E10value_typeEPSM_NS1_7vsmem_tEENKUlT_SK_SL_SM_E_clIPtSE_SF_SF_EESJ_SZ_SK_SL_SM_EUlSZ_E1_NS1_11comp_targetILNS1_3genE5ELNS1_11target_archE942ELNS1_3gpuE9ELNS1_3repE0EEENS1_36merge_oddeven_config_static_selectorELNS0_4arch9wavefront6targetE1EEEvSL_,"axG",@progbits,_ZN7rocprim17ROCPRIM_400000_NS6detail17trampoline_kernelINS0_14default_configENS1_38merge_sort_block_merge_config_selectorItNS0_10empty_typeEEEZZNS1_27merge_sort_block_merge_implIS3_N6thrust23THRUST_200600_302600_NS6detail15normal_iteratorINS9_10device_ptrItEEEEPS5_jNS1_19radix_merge_compareILb0ELb1EtNS0_19identity_decomposerEEEEE10hipError_tT0_T1_T2_jT3_P12ihipStream_tbPNSt15iterator_traitsISK_E10value_typeEPNSQ_ISL_E10value_typeEPSM_NS1_7vsmem_tEENKUlT_SK_SL_SM_E_clIPtSE_SF_SF_EESJ_SZ_SK_SL_SM_EUlSZ_E1_NS1_11comp_targetILNS1_3genE5ELNS1_11target_archE942ELNS1_3gpuE9ELNS1_3repE0EEENS1_36merge_oddeven_config_static_selectorELNS0_4arch9wavefront6targetE1EEEvSL_,comdat
	.protected	_ZN7rocprim17ROCPRIM_400000_NS6detail17trampoline_kernelINS0_14default_configENS1_38merge_sort_block_merge_config_selectorItNS0_10empty_typeEEEZZNS1_27merge_sort_block_merge_implIS3_N6thrust23THRUST_200600_302600_NS6detail15normal_iteratorINS9_10device_ptrItEEEEPS5_jNS1_19radix_merge_compareILb0ELb1EtNS0_19identity_decomposerEEEEE10hipError_tT0_T1_T2_jT3_P12ihipStream_tbPNSt15iterator_traitsISK_E10value_typeEPNSQ_ISL_E10value_typeEPSM_NS1_7vsmem_tEENKUlT_SK_SL_SM_E_clIPtSE_SF_SF_EESJ_SZ_SK_SL_SM_EUlSZ_E1_NS1_11comp_targetILNS1_3genE5ELNS1_11target_archE942ELNS1_3gpuE9ELNS1_3repE0EEENS1_36merge_oddeven_config_static_selectorELNS0_4arch9wavefront6targetE1EEEvSL_ ; -- Begin function _ZN7rocprim17ROCPRIM_400000_NS6detail17trampoline_kernelINS0_14default_configENS1_38merge_sort_block_merge_config_selectorItNS0_10empty_typeEEEZZNS1_27merge_sort_block_merge_implIS3_N6thrust23THRUST_200600_302600_NS6detail15normal_iteratorINS9_10device_ptrItEEEEPS5_jNS1_19radix_merge_compareILb0ELb1EtNS0_19identity_decomposerEEEEE10hipError_tT0_T1_T2_jT3_P12ihipStream_tbPNSt15iterator_traitsISK_E10value_typeEPNSQ_ISL_E10value_typeEPSM_NS1_7vsmem_tEENKUlT_SK_SL_SM_E_clIPtSE_SF_SF_EESJ_SZ_SK_SL_SM_EUlSZ_E1_NS1_11comp_targetILNS1_3genE5ELNS1_11target_archE942ELNS1_3gpuE9ELNS1_3repE0EEENS1_36merge_oddeven_config_static_selectorELNS0_4arch9wavefront6targetE1EEEvSL_
	.globl	_ZN7rocprim17ROCPRIM_400000_NS6detail17trampoline_kernelINS0_14default_configENS1_38merge_sort_block_merge_config_selectorItNS0_10empty_typeEEEZZNS1_27merge_sort_block_merge_implIS3_N6thrust23THRUST_200600_302600_NS6detail15normal_iteratorINS9_10device_ptrItEEEEPS5_jNS1_19radix_merge_compareILb0ELb1EtNS0_19identity_decomposerEEEEE10hipError_tT0_T1_T2_jT3_P12ihipStream_tbPNSt15iterator_traitsISK_E10value_typeEPNSQ_ISL_E10value_typeEPSM_NS1_7vsmem_tEENKUlT_SK_SL_SM_E_clIPtSE_SF_SF_EESJ_SZ_SK_SL_SM_EUlSZ_E1_NS1_11comp_targetILNS1_3genE5ELNS1_11target_archE942ELNS1_3gpuE9ELNS1_3repE0EEENS1_36merge_oddeven_config_static_selectorELNS0_4arch9wavefront6targetE1EEEvSL_
	.p2align	8
	.type	_ZN7rocprim17ROCPRIM_400000_NS6detail17trampoline_kernelINS0_14default_configENS1_38merge_sort_block_merge_config_selectorItNS0_10empty_typeEEEZZNS1_27merge_sort_block_merge_implIS3_N6thrust23THRUST_200600_302600_NS6detail15normal_iteratorINS9_10device_ptrItEEEEPS5_jNS1_19radix_merge_compareILb0ELb1EtNS0_19identity_decomposerEEEEE10hipError_tT0_T1_T2_jT3_P12ihipStream_tbPNSt15iterator_traitsISK_E10value_typeEPNSQ_ISL_E10value_typeEPSM_NS1_7vsmem_tEENKUlT_SK_SL_SM_E_clIPtSE_SF_SF_EESJ_SZ_SK_SL_SM_EUlSZ_E1_NS1_11comp_targetILNS1_3genE5ELNS1_11target_archE942ELNS1_3gpuE9ELNS1_3repE0EEENS1_36merge_oddeven_config_static_selectorELNS0_4arch9wavefront6targetE1EEEvSL_,@function
_ZN7rocprim17ROCPRIM_400000_NS6detail17trampoline_kernelINS0_14default_configENS1_38merge_sort_block_merge_config_selectorItNS0_10empty_typeEEEZZNS1_27merge_sort_block_merge_implIS3_N6thrust23THRUST_200600_302600_NS6detail15normal_iteratorINS9_10device_ptrItEEEEPS5_jNS1_19radix_merge_compareILb0ELb1EtNS0_19identity_decomposerEEEEE10hipError_tT0_T1_T2_jT3_P12ihipStream_tbPNSt15iterator_traitsISK_E10value_typeEPNSQ_ISL_E10value_typeEPSM_NS1_7vsmem_tEENKUlT_SK_SL_SM_E_clIPtSE_SF_SF_EESJ_SZ_SK_SL_SM_EUlSZ_E1_NS1_11comp_targetILNS1_3genE5ELNS1_11target_archE942ELNS1_3gpuE9ELNS1_3repE0EEENS1_36merge_oddeven_config_static_selectorELNS0_4arch9wavefront6targetE1EEEvSL_: ; @_ZN7rocprim17ROCPRIM_400000_NS6detail17trampoline_kernelINS0_14default_configENS1_38merge_sort_block_merge_config_selectorItNS0_10empty_typeEEEZZNS1_27merge_sort_block_merge_implIS3_N6thrust23THRUST_200600_302600_NS6detail15normal_iteratorINS9_10device_ptrItEEEEPS5_jNS1_19radix_merge_compareILb0ELb1EtNS0_19identity_decomposerEEEEE10hipError_tT0_T1_T2_jT3_P12ihipStream_tbPNSt15iterator_traitsISK_E10value_typeEPNSQ_ISL_E10value_typeEPSM_NS1_7vsmem_tEENKUlT_SK_SL_SM_E_clIPtSE_SF_SF_EESJ_SZ_SK_SL_SM_EUlSZ_E1_NS1_11comp_targetILNS1_3genE5ELNS1_11target_archE942ELNS1_3gpuE9ELNS1_3repE0EEENS1_36merge_oddeven_config_static_selectorELNS0_4arch9wavefront6targetE1EEEvSL_
; %bb.0:
	s_load_dword s18, s[0:1], 0x20
	s_waitcnt lgkmcnt(0)
	s_lshr_b32 s3, s18, 8
	s_cmp_lg_u32 s2, s3
	s_cselect_b64 s[14:15], -1, 0
	s_cmp_eq_u32 s2, s3
	s_cselect_b64 s[12:13], -1, 0
	s_lshl_b32 s16, s2, 8
	s_sub_i32 s3, s18, s16
	v_cmp_gt_u32_e64 s[6:7], s3, v0
	s_or_b64 s[4:5], s[14:15], s[6:7]
	s_and_saveexec_b64 s[8:9], s[4:5]
	s_cbranch_execz .LBB1281_20
; %bb.1:
	s_load_dwordx4 s[8:11], s[0:1], 0x0
	s_load_dword s19, s[0:1], 0x24
	s_mov_b32 s17, 0
	s_lshl_b64 s[4:5], s[16:17], 1
	v_lshlrev_b32_e32 v1, 1, v0
	s_waitcnt lgkmcnt(0)
	s_add_u32 s4, s8, s4
	s_addc_u32 s5, s9, s5
	global_load_ushort v2, v1, s[4:5]
	s_lshr_b32 s3, s19, 8
	s_sub_i32 s4, 0, s3
	s_and_b32 s2, s2, s4
	s_and_b32 s3, s2, s3
	s_lshl_b32 s20, s2, 8
	s_sub_i32 s17, 0, s19
	s_cmp_eq_u32 s3, 0
	s_cselect_b64 s[4:5], -1, 0
	s_and_b64 s[2:3], s[4:5], exec
	s_cselect_b32 s17, s19, s17
	s_add_i32 s17, s17, s20
	s_cmp_lt_u32 s17, s18
	v_add_u32_e32 v0, s16, v0
	s_cbranch_scc1 .LBB1281_3
; %bb.2:
	v_cmp_gt_u32_e32 vcc, s18, v0
	s_or_b64 s[2:3], vcc, s[14:15]
	s_and_b64 s[2:3], s[2:3], exec
	s_cbranch_execz .LBB1281_4
	s_branch .LBB1281_18
.LBB1281_3:
	s_mov_b64 s[2:3], 0
.LBB1281_4:
	s_load_dword s14, s[0:1], 0x28
	s_min_u32 s15, s17, s18
	s_add_i32 s0, s15, s19
	s_min_u32 s16, s0, s18
	s_min_u32 s0, s20, s15
	s_add_i32 s20, s20, s15
	v_subrev_u32_e32 v0, s20, v0
	v_add_u32_e32 v1, s0, v0
	s_and_b64 vcc, exec, s[12:13]
	s_cbranch_vccz .LBB1281_12
; %bb.5:
                                        ; implicit-def: $vgpr0
	s_and_saveexec_b64 s[0:1], s[6:7]
	s_cbranch_execz .LBB1281_11
; %bb.6:
	s_cmp_ge_u32 s17, s16
	v_mov_b32_e32 v0, s15
	s_cbranch_scc1 .LBB1281_10
; %bb.7:
	s_waitcnt vmcnt(0) lgkmcnt(0)
	v_and_b32_e32 v3, s14, v2
	s_mov_b64 s[6:7], 0
	v_mov_b32_e32 v4, s16
	v_mov_b32_e32 v0, s15
.LBB1281_8:                             ; =>This Inner Loop Header: Depth=1
	v_add_u32_e32 v5, v0, v4
	v_and_b32_e32 v6, -2, v5
	global_load_ushort v6, v6, s[8:9]
	v_lshrrev_b32_e32 v5, 1, v5
	v_add_u32_e32 v7, 1, v5
	s_waitcnt vmcnt(0)
	v_and_b32_e32 v6, s14, v6
	v_cmp_gt_u16_e32 vcc, v3, v6
	s_nop 1
	v_cndmask_b32_e64 v8, 0, 1, vcc
	v_cmp_le_u16_e32 vcc, v6, v3
	s_nop 1
	v_cndmask_b32_e64 v6, 0, 1, vcc
	v_cndmask_b32_e64 v6, v6, v8, s[4:5]
	v_and_b32_e32 v6, 1, v6
	v_cmp_eq_u32_e32 vcc, 1, v6
	s_nop 1
	v_cndmask_b32_e32 v4, v5, v4, vcc
	v_cndmask_b32_e32 v0, v0, v7, vcc
	v_cmp_ge_u32_e32 vcc, v0, v4
	s_or_b64 s[6:7], vcc, s[6:7]
	s_andn2_b64 exec, exec, s[6:7]
	s_cbranch_execnz .LBB1281_8
; %bb.9:
	s_or_b64 exec, exec, s[6:7]
.LBB1281_10:
	v_add_u32_e32 v0, v0, v1
	s_or_b64 s[2:3], s[2:3], exec
.LBB1281_11:
	s_or_b64 exec, exec, s[0:1]
	s_branch .LBB1281_18
.LBB1281_12:
                                        ; implicit-def: $vgpr0
	s_cbranch_execz .LBB1281_18
; %bb.13:
	s_cmp_ge_u32 s17, s16
	v_mov_b32_e32 v0, s15
	s_cbranch_scc1 .LBB1281_17
; %bb.14:
	s_waitcnt vmcnt(0) lgkmcnt(0)
	v_and_b32_e32 v3, s14, v2
	s_mov_b64 s[0:1], 0
	v_mov_b32_e32 v4, s16
	v_mov_b32_e32 v0, s15
.LBB1281_15:                            ; =>This Inner Loop Header: Depth=1
	v_add_u32_e32 v5, v0, v4
	v_and_b32_e32 v6, -2, v5
	global_load_ushort v6, v6, s[8:9]
	v_lshrrev_b32_e32 v5, 1, v5
	v_add_u32_e32 v7, 1, v5
	s_waitcnt vmcnt(0)
	v_and_b32_e32 v6, s14, v6
	v_cmp_gt_u16_e32 vcc, v3, v6
	s_nop 1
	v_cndmask_b32_e64 v8, 0, 1, vcc
	v_cmp_le_u16_e32 vcc, v6, v3
	s_nop 1
	v_cndmask_b32_e64 v6, 0, 1, vcc
	v_cndmask_b32_e64 v6, v6, v8, s[4:5]
	v_and_b32_e32 v6, 1, v6
	v_cmp_eq_u32_e32 vcc, 1, v6
	s_nop 1
	v_cndmask_b32_e32 v4, v5, v4, vcc
	v_cndmask_b32_e32 v0, v0, v7, vcc
	v_cmp_ge_u32_e32 vcc, v0, v4
	s_or_b64 s[0:1], vcc, s[0:1]
	s_andn2_b64 exec, exec, s[0:1]
	s_cbranch_execnz .LBB1281_15
; %bb.16:
	s_or_b64 exec, exec, s[0:1]
.LBB1281_17:
	v_add_u32_e32 v0, v0, v1
	s_mov_b64 s[2:3], -1
.LBB1281_18:
	s_and_b64 exec, exec, s[2:3]
	s_cbranch_execz .LBB1281_20
; %bb.19:
	v_mov_b32_e32 v4, s10
	v_mov_b32_e32 v5, s11
	;; [unrolled: 1-line block ×3, first 2 shown]
	v_lshl_add_u64 v[0:1], v[0:1], 1, v[4:5]
	s_waitcnt vmcnt(0)
	global_store_short v[0:1], v2, off
.LBB1281_20:
	s_endpgm
	.section	.rodata,"a",@progbits
	.p2align	6, 0x0
	.amdhsa_kernel _ZN7rocprim17ROCPRIM_400000_NS6detail17trampoline_kernelINS0_14default_configENS1_38merge_sort_block_merge_config_selectorItNS0_10empty_typeEEEZZNS1_27merge_sort_block_merge_implIS3_N6thrust23THRUST_200600_302600_NS6detail15normal_iteratorINS9_10device_ptrItEEEEPS5_jNS1_19radix_merge_compareILb0ELb1EtNS0_19identity_decomposerEEEEE10hipError_tT0_T1_T2_jT3_P12ihipStream_tbPNSt15iterator_traitsISK_E10value_typeEPNSQ_ISL_E10value_typeEPSM_NS1_7vsmem_tEENKUlT_SK_SL_SM_E_clIPtSE_SF_SF_EESJ_SZ_SK_SL_SM_EUlSZ_E1_NS1_11comp_targetILNS1_3genE5ELNS1_11target_archE942ELNS1_3gpuE9ELNS1_3repE0EEENS1_36merge_oddeven_config_static_selectorELNS0_4arch9wavefront6targetE1EEEvSL_
		.amdhsa_group_segment_fixed_size 0
		.amdhsa_private_segment_fixed_size 0
		.amdhsa_kernarg_size 48
		.amdhsa_user_sgpr_count 2
		.amdhsa_user_sgpr_dispatch_ptr 0
		.amdhsa_user_sgpr_queue_ptr 0
		.amdhsa_user_sgpr_kernarg_segment_ptr 1
		.amdhsa_user_sgpr_dispatch_id 0
		.amdhsa_user_sgpr_kernarg_preload_length 0
		.amdhsa_user_sgpr_kernarg_preload_offset 0
		.amdhsa_user_sgpr_private_segment_size 0
		.amdhsa_uses_dynamic_stack 0
		.amdhsa_enable_private_segment 0
		.amdhsa_system_sgpr_workgroup_id_x 1
		.amdhsa_system_sgpr_workgroup_id_y 0
		.amdhsa_system_sgpr_workgroup_id_z 0
		.amdhsa_system_sgpr_workgroup_info 0
		.amdhsa_system_vgpr_workitem_id 0
		.amdhsa_next_free_vgpr 9
		.amdhsa_next_free_sgpr 21
		.amdhsa_accum_offset 12
		.amdhsa_reserve_vcc 1
		.amdhsa_float_round_mode_32 0
		.amdhsa_float_round_mode_16_64 0
		.amdhsa_float_denorm_mode_32 3
		.amdhsa_float_denorm_mode_16_64 3
		.amdhsa_dx10_clamp 1
		.amdhsa_ieee_mode 1
		.amdhsa_fp16_overflow 0
		.amdhsa_tg_split 0
		.amdhsa_exception_fp_ieee_invalid_op 0
		.amdhsa_exception_fp_denorm_src 0
		.amdhsa_exception_fp_ieee_div_zero 0
		.amdhsa_exception_fp_ieee_overflow 0
		.amdhsa_exception_fp_ieee_underflow 0
		.amdhsa_exception_fp_ieee_inexact 0
		.amdhsa_exception_int_div_zero 0
	.end_amdhsa_kernel
	.section	.text._ZN7rocprim17ROCPRIM_400000_NS6detail17trampoline_kernelINS0_14default_configENS1_38merge_sort_block_merge_config_selectorItNS0_10empty_typeEEEZZNS1_27merge_sort_block_merge_implIS3_N6thrust23THRUST_200600_302600_NS6detail15normal_iteratorINS9_10device_ptrItEEEEPS5_jNS1_19radix_merge_compareILb0ELb1EtNS0_19identity_decomposerEEEEE10hipError_tT0_T1_T2_jT3_P12ihipStream_tbPNSt15iterator_traitsISK_E10value_typeEPNSQ_ISL_E10value_typeEPSM_NS1_7vsmem_tEENKUlT_SK_SL_SM_E_clIPtSE_SF_SF_EESJ_SZ_SK_SL_SM_EUlSZ_E1_NS1_11comp_targetILNS1_3genE5ELNS1_11target_archE942ELNS1_3gpuE9ELNS1_3repE0EEENS1_36merge_oddeven_config_static_selectorELNS0_4arch9wavefront6targetE1EEEvSL_,"axG",@progbits,_ZN7rocprim17ROCPRIM_400000_NS6detail17trampoline_kernelINS0_14default_configENS1_38merge_sort_block_merge_config_selectorItNS0_10empty_typeEEEZZNS1_27merge_sort_block_merge_implIS3_N6thrust23THRUST_200600_302600_NS6detail15normal_iteratorINS9_10device_ptrItEEEEPS5_jNS1_19radix_merge_compareILb0ELb1EtNS0_19identity_decomposerEEEEE10hipError_tT0_T1_T2_jT3_P12ihipStream_tbPNSt15iterator_traitsISK_E10value_typeEPNSQ_ISL_E10value_typeEPSM_NS1_7vsmem_tEENKUlT_SK_SL_SM_E_clIPtSE_SF_SF_EESJ_SZ_SK_SL_SM_EUlSZ_E1_NS1_11comp_targetILNS1_3genE5ELNS1_11target_archE942ELNS1_3gpuE9ELNS1_3repE0EEENS1_36merge_oddeven_config_static_selectorELNS0_4arch9wavefront6targetE1EEEvSL_,comdat
.Lfunc_end1281:
	.size	_ZN7rocprim17ROCPRIM_400000_NS6detail17trampoline_kernelINS0_14default_configENS1_38merge_sort_block_merge_config_selectorItNS0_10empty_typeEEEZZNS1_27merge_sort_block_merge_implIS3_N6thrust23THRUST_200600_302600_NS6detail15normal_iteratorINS9_10device_ptrItEEEEPS5_jNS1_19radix_merge_compareILb0ELb1EtNS0_19identity_decomposerEEEEE10hipError_tT0_T1_T2_jT3_P12ihipStream_tbPNSt15iterator_traitsISK_E10value_typeEPNSQ_ISL_E10value_typeEPSM_NS1_7vsmem_tEENKUlT_SK_SL_SM_E_clIPtSE_SF_SF_EESJ_SZ_SK_SL_SM_EUlSZ_E1_NS1_11comp_targetILNS1_3genE5ELNS1_11target_archE942ELNS1_3gpuE9ELNS1_3repE0EEENS1_36merge_oddeven_config_static_selectorELNS0_4arch9wavefront6targetE1EEEvSL_, .Lfunc_end1281-_ZN7rocprim17ROCPRIM_400000_NS6detail17trampoline_kernelINS0_14default_configENS1_38merge_sort_block_merge_config_selectorItNS0_10empty_typeEEEZZNS1_27merge_sort_block_merge_implIS3_N6thrust23THRUST_200600_302600_NS6detail15normal_iteratorINS9_10device_ptrItEEEEPS5_jNS1_19radix_merge_compareILb0ELb1EtNS0_19identity_decomposerEEEEE10hipError_tT0_T1_T2_jT3_P12ihipStream_tbPNSt15iterator_traitsISK_E10value_typeEPNSQ_ISL_E10value_typeEPSM_NS1_7vsmem_tEENKUlT_SK_SL_SM_E_clIPtSE_SF_SF_EESJ_SZ_SK_SL_SM_EUlSZ_E1_NS1_11comp_targetILNS1_3genE5ELNS1_11target_archE942ELNS1_3gpuE9ELNS1_3repE0EEENS1_36merge_oddeven_config_static_selectorELNS0_4arch9wavefront6targetE1EEEvSL_
                                        ; -- End function
	.section	.AMDGPU.csdata,"",@progbits
; Kernel info:
; codeLenInByte = 600
; NumSgprs: 27
; NumVgprs: 9
; NumAgprs: 0
; TotalNumVgprs: 9
; ScratchSize: 0
; MemoryBound: 0
; FloatMode: 240
; IeeeMode: 1
; LDSByteSize: 0 bytes/workgroup (compile time only)
; SGPRBlocks: 3
; VGPRBlocks: 1
; NumSGPRsForWavesPerEU: 27
; NumVGPRsForWavesPerEU: 9
; AccumOffset: 12
; Occupancy: 8
; WaveLimiterHint : 0
; COMPUTE_PGM_RSRC2:SCRATCH_EN: 0
; COMPUTE_PGM_RSRC2:USER_SGPR: 2
; COMPUTE_PGM_RSRC2:TRAP_HANDLER: 0
; COMPUTE_PGM_RSRC2:TGID_X_EN: 1
; COMPUTE_PGM_RSRC2:TGID_Y_EN: 0
; COMPUTE_PGM_RSRC2:TGID_Z_EN: 0
; COMPUTE_PGM_RSRC2:TIDIG_COMP_CNT: 0
; COMPUTE_PGM_RSRC3_GFX90A:ACCUM_OFFSET: 2
; COMPUTE_PGM_RSRC3_GFX90A:TG_SPLIT: 0
	.section	.text._ZN7rocprim17ROCPRIM_400000_NS6detail17trampoline_kernelINS0_14default_configENS1_38merge_sort_block_merge_config_selectorItNS0_10empty_typeEEEZZNS1_27merge_sort_block_merge_implIS3_N6thrust23THRUST_200600_302600_NS6detail15normal_iteratorINS9_10device_ptrItEEEEPS5_jNS1_19radix_merge_compareILb0ELb1EtNS0_19identity_decomposerEEEEE10hipError_tT0_T1_T2_jT3_P12ihipStream_tbPNSt15iterator_traitsISK_E10value_typeEPNSQ_ISL_E10value_typeEPSM_NS1_7vsmem_tEENKUlT_SK_SL_SM_E_clIPtSE_SF_SF_EESJ_SZ_SK_SL_SM_EUlSZ_E1_NS1_11comp_targetILNS1_3genE4ELNS1_11target_archE910ELNS1_3gpuE8ELNS1_3repE0EEENS1_36merge_oddeven_config_static_selectorELNS0_4arch9wavefront6targetE1EEEvSL_,"axG",@progbits,_ZN7rocprim17ROCPRIM_400000_NS6detail17trampoline_kernelINS0_14default_configENS1_38merge_sort_block_merge_config_selectorItNS0_10empty_typeEEEZZNS1_27merge_sort_block_merge_implIS3_N6thrust23THRUST_200600_302600_NS6detail15normal_iteratorINS9_10device_ptrItEEEEPS5_jNS1_19radix_merge_compareILb0ELb1EtNS0_19identity_decomposerEEEEE10hipError_tT0_T1_T2_jT3_P12ihipStream_tbPNSt15iterator_traitsISK_E10value_typeEPNSQ_ISL_E10value_typeEPSM_NS1_7vsmem_tEENKUlT_SK_SL_SM_E_clIPtSE_SF_SF_EESJ_SZ_SK_SL_SM_EUlSZ_E1_NS1_11comp_targetILNS1_3genE4ELNS1_11target_archE910ELNS1_3gpuE8ELNS1_3repE0EEENS1_36merge_oddeven_config_static_selectorELNS0_4arch9wavefront6targetE1EEEvSL_,comdat
	.protected	_ZN7rocprim17ROCPRIM_400000_NS6detail17trampoline_kernelINS0_14default_configENS1_38merge_sort_block_merge_config_selectorItNS0_10empty_typeEEEZZNS1_27merge_sort_block_merge_implIS3_N6thrust23THRUST_200600_302600_NS6detail15normal_iteratorINS9_10device_ptrItEEEEPS5_jNS1_19radix_merge_compareILb0ELb1EtNS0_19identity_decomposerEEEEE10hipError_tT0_T1_T2_jT3_P12ihipStream_tbPNSt15iterator_traitsISK_E10value_typeEPNSQ_ISL_E10value_typeEPSM_NS1_7vsmem_tEENKUlT_SK_SL_SM_E_clIPtSE_SF_SF_EESJ_SZ_SK_SL_SM_EUlSZ_E1_NS1_11comp_targetILNS1_3genE4ELNS1_11target_archE910ELNS1_3gpuE8ELNS1_3repE0EEENS1_36merge_oddeven_config_static_selectorELNS0_4arch9wavefront6targetE1EEEvSL_ ; -- Begin function _ZN7rocprim17ROCPRIM_400000_NS6detail17trampoline_kernelINS0_14default_configENS1_38merge_sort_block_merge_config_selectorItNS0_10empty_typeEEEZZNS1_27merge_sort_block_merge_implIS3_N6thrust23THRUST_200600_302600_NS6detail15normal_iteratorINS9_10device_ptrItEEEEPS5_jNS1_19radix_merge_compareILb0ELb1EtNS0_19identity_decomposerEEEEE10hipError_tT0_T1_T2_jT3_P12ihipStream_tbPNSt15iterator_traitsISK_E10value_typeEPNSQ_ISL_E10value_typeEPSM_NS1_7vsmem_tEENKUlT_SK_SL_SM_E_clIPtSE_SF_SF_EESJ_SZ_SK_SL_SM_EUlSZ_E1_NS1_11comp_targetILNS1_3genE4ELNS1_11target_archE910ELNS1_3gpuE8ELNS1_3repE0EEENS1_36merge_oddeven_config_static_selectorELNS0_4arch9wavefront6targetE1EEEvSL_
	.globl	_ZN7rocprim17ROCPRIM_400000_NS6detail17trampoline_kernelINS0_14default_configENS1_38merge_sort_block_merge_config_selectorItNS0_10empty_typeEEEZZNS1_27merge_sort_block_merge_implIS3_N6thrust23THRUST_200600_302600_NS6detail15normal_iteratorINS9_10device_ptrItEEEEPS5_jNS1_19radix_merge_compareILb0ELb1EtNS0_19identity_decomposerEEEEE10hipError_tT0_T1_T2_jT3_P12ihipStream_tbPNSt15iterator_traitsISK_E10value_typeEPNSQ_ISL_E10value_typeEPSM_NS1_7vsmem_tEENKUlT_SK_SL_SM_E_clIPtSE_SF_SF_EESJ_SZ_SK_SL_SM_EUlSZ_E1_NS1_11comp_targetILNS1_3genE4ELNS1_11target_archE910ELNS1_3gpuE8ELNS1_3repE0EEENS1_36merge_oddeven_config_static_selectorELNS0_4arch9wavefront6targetE1EEEvSL_
	.p2align	8
	.type	_ZN7rocprim17ROCPRIM_400000_NS6detail17trampoline_kernelINS0_14default_configENS1_38merge_sort_block_merge_config_selectorItNS0_10empty_typeEEEZZNS1_27merge_sort_block_merge_implIS3_N6thrust23THRUST_200600_302600_NS6detail15normal_iteratorINS9_10device_ptrItEEEEPS5_jNS1_19radix_merge_compareILb0ELb1EtNS0_19identity_decomposerEEEEE10hipError_tT0_T1_T2_jT3_P12ihipStream_tbPNSt15iterator_traitsISK_E10value_typeEPNSQ_ISL_E10value_typeEPSM_NS1_7vsmem_tEENKUlT_SK_SL_SM_E_clIPtSE_SF_SF_EESJ_SZ_SK_SL_SM_EUlSZ_E1_NS1_11comp_targetILNS1_3genE4ELNS1_11target_archE910ELNS1_3gpuE8ELNS1_3repE0EEENS1_36merge_oddeven_config_static_selectorELNS0_4arch9wavefront6targetE1EEEvSL_,@function
_ZN7rocprim17ROCPRIM_400000_NS6detail17trampoline_kernelINS0_14default_configENS1_38merge_sort_block_merge_config_selectorItNS0_10empty_typeEEEZZNS1_27merge_sort_block_merge_implIS3_N6thrust23THRUST_200600_302600_NS6detail15normal_iteratorINS9_10device_ptrItEEEEPS5_jNS1_19radix_merge_compareILb0ELb1EtNS0_19identity_decomposerEEEEE10hipError_tT0_T1_T2_jT3_P12ihipStream_tbPNSt15iterator_traitsISK_E10value_typeEPNSQ_ISL_E10value_typeEPSM_NS1_7vsmem_tEENKUlT_SK_SL_SM_E_clIPtSE_SF_SF_EESJ_SZ_SK_SL_SM_EUlSZ_E1_NS1_11comp_targetILNS1_3genE4ELNS1_11target_archE910ELNS1_3gpuE8ELNS1_3repE0EEENS1_36merge_oddeven_config_static_selectorELNS0_4arch9wavefront6targetE1EEEvSL_: ; @_ZN7rocprim17ROCPRIM_400000_NS6detail17trampoline_kernelINS0_14default_configENS1_38merge_sort_block_merge_config_selectorItNS0_10empty_typeEEEZZNS1_27merge_sort_block_merge_implIS3_N6thrust23THRUST_200600_302600_NS6detail15normal_iteratorINS9_10device_ptrItEEEEPS5_jNS1_19radix_merge_compareILb0ELb1EtNS0_19identity_decomposerEEEEE10hipError_tT0_T1_T2_jT3_P12ihipStream_tbPNSt15iterator_traitsISK_E10value_typeEPNSQ_ISL_E10value_typeEPSM_NS1_7vsmem_tEENKUlT_SK_SL_SM_E_clIPtSE_SF_SF_EESJ_SZ_SK_SL_SM_EUlSZ_E1_NS1_11comp_targetILNS1_3genE4ELNS1_11target_archE910ELNS1_3gpuE8ELNS1_3repE0EEENS1_36merge_oddeven_config_static_selectorELNS0_4arch9wavefront6targetE1EEEvSL_
; %bb.0:
	.section	.rodata,"a",@progbits
	.p2align	6, 0x0
	.amdhsa_kernel _ZN7rocprim17ROCPRIM_400000_NS6detail17trampoline_kernelINS0_14default_configENS1_38merge_sort_block_merge_config_selectorItNS0_10empty_typeEEEZZNS1_27merge_sort_block_merge_implIS3_N6thrust23THRUST_200600_302600_NS6detail15normal_iteratorINS9_10device_ptrItEEEEPS5_jNS1_19radix_merge_compareILb0ELb1EtNS0_19identity_decomposerEEEEE10hipError_tT0_T1_T2_jT3_P12ihipStream_tbPNSt15iterator_traitsISK_E10value_typeEPNSQ_ISL_E10value_typeEPSM_NS1_7vsmem_tEENKUlT_SK_SL_SM_E_clIPtSE_SF_SF_EESJ_SZ_SK_SL_SM_EUlSZ_E1_NS1_11comp_targetILNS1_3genE4ELNS1_11target_archE910ELNS1_3gpuE8ELNS1_3repE0EEENS1_36merge_oddeven_config_static_selectorELNS0_4arch9wavefront6targetE1EEEvSL_
		.amdhsa_group_segment_fixed_size 0
		.amdhsa_private_segment_fixed_size 0
		.amdhsa_kernarg_size 48
		.amdhsa_user_sgpr_count 2
		.amdhsa_user_sgpr_dispatch_ptr 0
		.amdhsa_user_sgpr_queue_ptr 0
		.amdhsa_user_sgpr_kernarg_segment_ptr 1
		.amdhsa_user_sgpr_dispatch_id 0
		.amdhsa_user_sgpr_kernarg_preload_length 0
		.amdhsa_user_sgpr_kernarg_preload_offset 0
		.amdhsa_user_sgpr_private_segment_size 0
		.amdhsa_uses_dynamic_stack 0
		.amdhsa_enable_private_segment 0
		.amdhsa_system_sgpr_workgroup_id_x 1
		.amdhsa_system_sgpr_workgroup_id_y 0
		.amdhsa_system_sgpr_workgroup_id_z 0
		.amdhsa_system_sgpr_workgroup_info 0
		.amdhsa_system_vgpr_workitem_id 0
		.amdhsa_next_free_vgpr 1
		.amdhsa_next_free_sgpr 0
		.amdhsa_accum_offset 4
		.amdhsa_reserve_vcc 0
		.amdhsa_float_round_mode_32 0
		.amdhsa_float_round_mode_16_64 0
		.amdhsa_float_denorm_mode_32 3
		.amdhsa_float_denorm_mode_16_64 3
		.amdhsa_dx10_clamp 1
		.amdhsa_ieee_mode 1
		.amdhsa_fp16_overflow 0
		.amdhsa_tg_split 0
		.amdhsa_exception_fp_ieee_invalid_op 0
		.amdhsa_exception_fp_denorm_src 0
		.amdhsa_exception_fp_ieee_div_zero 0
		.amdhsa_exception_fp_ieee_overflow 0
		.amdhsa_exception_fp_ieee_underflow 0
		.amdhsa_exception_fp_ieee_inexact 0
		.amdhsa_exception_int_div_zero 0
	.end_amdhsa_kernel
	.section	.text._ZN7rocprim17ROCPRIM_400000_NS6detail17trampoline_kernelINS0_14default_configENS1_38merge_sort_block_merge_config_selectorItNS0_10empty_typeEEEZZNS1_27merge_sort_block_merge_implIS3_N6thrust23THRUST_200600_302600_NS6detail15normal_iteratorINS9_10device_ptrItEEEEPS5_jNS1_19radix_merge_compareILb0ELb1EtNS0_19identity_decomposerEEEEE10hipError_tT0_T1_T2_jT3_P12ihipStream_tbPNSt15iterator_traitsISK_E10value_typeEPNSQ_ISL_E10value_typeEPSM_NS1_7vsmem_tEENKUlT_SK_SL_SM_E_clIPtSE_SF_SF_EESJ_SZ_SK_SL_SM_EUlSZ_E1_NS1_11comp_targetILNS1_3genE4ELNS1_11target_archE910ELNS1_3gpuE8ELNS1_3repE0EEENS1_36merge_oddeven_config_static_selectorELNS0_4arch9wavefront6targetE1EEEvSL_,"axG",@progbits,_ZN7rocprim17ROCPRIM_400000_NS6detail17trampoline_kernelINS0_14default_configENS1_38merge_sort_block_merge_config_selectorItNS0_10empty_typeEEEZZNS1_27merge_sort_block_merge_implIS3_N6thrust23THRUST_200600_302600_NS6detail15normal_iteratorINS9_10device_ptrItEEEEPS5_jNS1_19radix_merge_compareILb0ELb1EtNS0_19identity_decomposerEEEEE10hipError_tT0_T1_T2_jT3_P12ihipStream_tbPNSt15iterator_traitsISK_E10value_typeEPNSQ_ISL_E10value_typeEPSM_NS1_7vsmem_tEENKUlT_SK_SL_SM_E_clIPtSE_SF_SF_EESJ_SZ_SK_SL_SM_EUlSZ_E1_NS1_11comp_targetILNS1_3genE4ELNS1_11target_archE910ELNS1_3gpuE8ELNS1_3repE0EEENS1_36merge_oddeven_config_static_selectorELNS0_4arch9wavefront6targetE1EEEvSL_,comdat
.Lfunc_end1282:
	.size	_ZN7rocprim17ROCPRIM_400000_NS6detail17trampoline_kernelINS0_14default_configENS1_38merge_sort_block_merge_config_selectorItNS0_10empty_typeEEEZZNS1_27merge_sort_block_merge_implIS3_N6thrust23THRUST_200600_302600_NS6detail15normal_iteratorINS9_10device_ptrItEEEEPS5_jNS1_19radix_merge_compareILb0ELb1EtNS0_19identity_decomposerEEEEE10hipError_tT0_T1_T2_jT3_P12ihipStream_tbPNSt15iterator_traitsISK_E10value_typeEPNSQ_ISL_E10value_typeEPSM_NS1_7vsmem_tEENKUlT_SK_SL_SM_E_clIPtSE_SF_SF_EESJ_SZ_SK_SL_SM_EUlSZ_E1_NS1_11comp_targetILNS1_3genE4ELNS1_11target_archE910ELNS1_3gpuE8ELNS1_3repE0EEENS1_36merge_oddeven_config_static_selectorELNS0_4arch9wavefront6targetE1EEEvSL_, .Lfunc_end1282-_ZN7rocprim17ROCPRIM_400000_NS6detail17trampoline_kernelINS0_14default_configENS1_38merge_sort_block_merge_config_selectorItNS0_10empty_typeEEEZZNS1_27merge_sort_block_merge_implIS3_N6thrust23THRUST_200600_302600_NS6detail15normal_iteratorINS9_10device_ptrItEEEEPS5_jNS1_19radix_merge_compareILb0ELb1EtNS0_19identity_decomposerEEEEE10hipError_tT0_T1_T2_jT3_P12ihipStream_tbPNSt15iterator_traitsISK_E10value_typeEPNSQ_ISL_E10value_typeEPSM_NS1_7vsmem_tEENKUlT_SK_SL_SM_E_clIPtSE_SF_SF_EESJ_SZ_SK_SL_SM_EUlSZ_E1_NS1_11comp_targetILNS1_3genE4ELNS1_11target_archE910ELNS1_3gpuE8ELNS1_3repE0EEENS1_36merge_oddeven_config_static_selectorELNS0_4arch9wavefront6targetE1EEEvSL_
                                        ; -- End function
	.section	.AMDGPU.csdata,"",@progbits
; Kernel info:
; codeLenInByte = 0
; NumSgprs: 6
; NumVgprs: 0
; NumAgprs: 0
; TotalNumVgprs: 0
; ScratchSize: 0
; MemoryBound: 0
; FloatMode: 240
; IeeeMode: 1
; LDSByteSize: 0 bytes/workgroup (compile time only)
; SGPRBlocks: 0
; VGPRBlocks: 0
; NumSGPRsForWavesPerEU: 6
; NumVGPRsForWavesPerEU: 1
; AccumOffset: 4
; Occupancy: 8
; WaveLimiterHint : 0
; COMPUTE_PGM_RSRC2:SCRATCH_EN: 0
; COMPUTE_PGM_RSRC2:USER_SGPR: 2
; COMPUTE_PGM_RSRC2:TRAP_HANDLER: 0
; COMPUTE_PGM_RSRC2:TGID_X_EN: 1
; COMPUTE_PGM_RSRC2:TGID_Y_EN: 0
; COMPUTE_PGM_RSRC2:TGID_Z_EN: 0
; COMPUTE_PGM_RSRC2:TIDIG_COMP_CNT: 0
; COMPUTE_PGM_RSRC3_GFX90A:ACCUM_OFFSET: 0
; COMPUTE_PGM_RSRC3_GFX90A:TG_SPLIT: 0
	.section	.text._ZN7rocprim17ROCPRIM_400000_NS6detail17trampoline_kernelINS0_14default_configENS1_38merge_sort_block_merge_config_selectorItNS0_10empty_typeEEEZZNS1_27merge_sort_block_merge_implIS3_N6thrust23THRUST_200600_302600_NS6detail15normal_iteratorINS9_10device_ptrItEEEEPS5_jNS1_19radix_merge_compareILb0ELb1EtNS0_19identity_decomposerEEEEE10hipError_tT0_T1_T2_jT3_P12ihipStream_tbPNSt15iterator_traitsISK_E10value_typeEPNSQ_ISL_E10value_typeEPSM_NS1_7vsmem_tEENKUlT_SK_SL_SM_E_clIPtSE_SF_SF_EESJ_SZ_SK_SL_SM_EUlSZ_E1_NS1_11comp_targetILNS1_3genE3ELNS1_11target_archE908ELNS1_3gpuE7ELNS1_3repE0EEENS1_36merge_oddeven_config_static_selectorELNS0_4arch9wavefront6targetE1EEEvSL_,"axG",@progbits,_ZN7rocprim17ROCPRIM_400000_NS6detail17trampoline_kernelINS0_14default_configENS1_38merge_sort_block_merge_config_selectorItNS0_10empty_typeEEEZZNS1_27merge_sort_block_merge_implIS3_N6thrust23THRUST_200600_302600_NS6detail15normal_iteratorINS9_10device_ptrItEEEEPS5_jNS1_19radix_merge_compareILb0ELb1EtNS0_19identity_decomposerEEEEE10hipError_tT0_T1_T2_jT3_P12ihipStream_tbPNSt15iterator_traitsISK_E10value_typeEPNSQ_ISL_E10value_typeEPSM_NS1_7vsmem_tEENKUlT_SK_SL_SM_E_clIPtSE_SF_SF_EESJ_SZ_SK_SL_SM_EUlSZ_E1_NS1_11comp_targetILNS1_3genE3ELNS1_11target_archE908ELNS1_3gpuE7ELNS1_3repE0EEENS1_36merge_oddeven_config_static_selectorELNS0_4arch9wavefront6targetE1EEEvSL_,comdat
	.protected	_ZN7rocprim17ROCPRIM_400000_NS6detail17trampoline_kernelINS0_14default_configENS1_38merge_sort_block_merge_config_selectorItNS0_10empty_typeEEEZZNS1_27merge_sort_block_merge_implIS3_N6thrust23THRUST_200600_302600_NS6detail15normal_iteratorINS9_10device_ptrItEEEEPS5_jNS1_19radix_merge_compareILb0ELb1EtNS0_19identity_decomposerEEEEE10hipError_tT0_T1_T2_jT3_P12ihipStream_tbPNSt15iterator_traitsISK_E10value_typeEPNSQ_ISL_E10value_typeEPSM_NS1_7vsmem_tEENKUlT_SK_SL_SM_E_clIPtSE_SF_SF_EESJ_SZ_SK_SL_SM_EUlSZ_E1_NS1_11comp_targetILNS1_3genE3ELNS1_11target_archE908ELNS1_3gpuE7ELNS1_3repE0EEENS1_36merge_oddeven_config_static_selectorELNS0_4arch9wavefront6targetE1EEEvSL_ ; -- Begin function _ZN7rocprim17ROCPRIM_400000_NS6detail17trampoline_kernelINS0_14default_configENS1_38merge_sort_block_merge_config_selectorItNS0_10empty_typeEEEZZNS1_27merge_sort_block_merge_implIS3_N6thrust23THRUST_200600_302600_NS6detail15normal_iteratorINS9_10device_ptrItEEEEPS5_jNS1_19radix_merge_compareILb0ELb1EtNS0_19identity_decomposerEEEEE10hipError_tT0_T1_T2_jT3_P12ihipStream_tbPNSt15iterator_traitsISK_E10value_typeEPNSQ_ISL_E10value_typeEPSM_NS1_7vsmem_tEENKUlT_SK_SL_SM_E_clIPtSE_SF_SF_EESJ_SZ_SK_SL_SM_EUlSZ_E1_NS1_11comp_targetILNS1_3genE3ELNS1_11target_archE908ELNS1_3gpuE7ELNS1_3repE0EEENS1_36merge_oddeven_config_static_selectorELNS0_4arch9wavefront6targetE1EEEvSL_
	.globl	_ZN7rocprim17ROCPRIM_400000_NS6detail17trampoline_kernelINS0_14default_configENS1_38merge_sort_block_merge_config_selectorItNS0_10empty_typeEEEZZNS1_27merge_sort_block_merge_implIS3_N6thrust23THRUST_200600_302600_NS6detail15normal_iteratorINS9_10device_ptrItEEEEPS5_jNS1_19radix_merge_compareILb0ELb1EtNS0_19identity_decomposerEEEEE10hipError_tT0_T1_T2_jT3_P12ihipStream_tbPNSt15iterator_traitsISK_E10value_typeEPNSQ_ISL_E10value_typeEPSM_NS1_7vsmem_tEENKUlT_SK_SL_SM_E_clIPtSE_SF_SF_EESJ_SZ_SK_SL_SM_EUlSZ_E1_NS1_11comp_targetILNS1_3genE3ELNS1_11target_archE908ELNS1_3gpuE7ELNS1_3repE0EEENS1_36merge_oddeven_config_static_selectorELNS0_4arch9wavefront6targetE1EEEvSL_
	.p2align	8
	.type	_ZN7rocprim17ROCPRIM_400000_NS6detail17trampoline_kernelINS0_14default_configENS1_38merge_sort_block_merge_config_selectorItNS0_10empty_typeEEEZZNS1_27merge_sort_block_merge_implIS3_N6thrust23THRUST_200600_302600_NS6detail15normal_iteratorINS9_10device_ptrItEEEEPS5_jNS1_19radix_merge_compareILb0ELb1EtNS0_19identity_decomposerEEEEE10hipError_tT0_T1_T2_jT3_P12ihipStream_tbPNSt15iterator_traitsISK_E10value_typeEPNSQ_ISL_E10value_typeEPSM_NS1_7vsmem_tEENKUlT_SK_SL_SM_E_clIPtSE_SF_SF_EESJ_SZ_SK_SL_SM_EUlSZ_E1_NS1_11comp_targetILNS1_3genE3ELNS1_11target_archE908ELNS1_3gpuE7ELNS1_3repE0EEENS1_36merge_oddeven_config_static_selectorELNS0_4arch9wavefront6targetE1EEEvSL_,@function
_ZN7rocprim17ROCPRIM_400000_NS6detail17trampoline_kernelINS0_14default_configENS1_38merge_sort_block_merge_config_selectorItNS0_10empty_typeEEEZZNS1_27merge_sort_block_merge_implIS3_N6thrust23THRUST_200600_302600_NS6detail15normal_iteratorINS9_10device_ptrItEEEEPS5_jNS1_19radix_merge_compareILb0ELb1EtNS0_19identity_decomposerEEEEE10hipError_tT0_T1_T2_jT3_P12ihipStream_tbPNSt15iterator_traitsISK_E10value_typeEPNSQ_ISL_E10value_typeEPSM_NS1_7vsmem_tEENKUlT_SK_SL_SM_E_clIPtSE_SF_SF_EESJ_SZ_SK_SL_SM_EUlSZ_E1_NS1_11comp_targetILNS1_3genE3ELNS1_11target_archE908ELNS1_3gpuE7ELNS1_3repE0EEENS1_36merge_oddeven_config_static_selectorELNS0_4arch9wavefront6targetE1EEEvSL_: ; @_ZN7rocprim17ROCPRIM_400000_NS6detail17trampoline_kernelINS0_14default_configENS1_38merge_sort_block_merge_config_selectorItNS0_10empty_typeEEEZZNS1_27merge_sort_block_merge_implIS3_N6thrust23THRUST_200600_302600_NS6detail15normal_iteratorINS9_10device_ptrItEEEEPS5_jNS1_19radix_merge_compareILb0ELb1EtNS0_19identity_decomposerEEEEE10hipError_tT0_T1_T2_jT3_P12ihipStream_tbPNSt15iterator_traitsISK_E10value_typeEPNSQ_ISL_E10value_typeEPSM_NS1_7vsmem_tEENKUlT_SK_SL_SM_E_clIPtSE_SF_SF_EESJ_SZ_SK_SL_SM_EUlSZ_E1_NS1_11comp_targetILNS1_3genE3ELNS1_11target_archE908ELNS1_3gpuE7ELNS1_3repE0EEENS1_36merge_oddeven_config_static_selectorELNS0_4arch9wavefront6targetE1EEEvSL_
; %bb.0:
	.section	.rodata,"a",@progbits
	.p2align	6, 0x0
	.amdhsa_kernel _ZN7rocprim17ROCPRIM_400000_NS6detail17trampoline_kernelINS0_14default_configENS1_38merge_sort_block_merge_config_selectorItNS0_10empty_typeEEEZZNS1_27merge_sort_block_merge_implIS3_N6thrust23THRUST_200600_302600_NS6detail15normal_iteratorINS9_10device_ptrItEEEEPS5_jNS1_19radix_merge_compareILb0ELb1EtNS0_19identity_decomposerEEEEE10hipError_tT0_T1_T2_jT3_P12ihipStream_tbPNSt15iterator_traitsISK_E10value_typeEPNSQ_ISL_E10value_typeEPSM_NS1_7vsmem_tEENKUlT_SK_SL_SM_E_clIPtSE_SF_SF_EESJ_SZ_SK_SL_SM_EUlSZ_E1_NS1_11comp_targetILNS1_3genE3ELNS1_11target_archE908ELNS1_3gpuE7ELNS1_3repE0EEENS1_36merge_oddeven_config_static_selectorELNS0_4arch9wavefront6targetE1EEEvSL_
		.amdhsa_group_segment_fixed_size 0
		.amdhsa_private_segment_fixed_size 0
		.amdhsa_kernarg_size 48
		.amdhsa_user_sgpr_count 2
		.amdhsa_user_sgpr_dispatch_ptr 0
		.amdhsa_user_sgpr_queue_ptr 0
		.amdhsa_user_sgpr_kernarg_segment_ptr 1
		.amdhsa_user_sgpr_dispatch_id 0
		.amdhsa_user_sgpr_kernarg_preload_length 0
		.amdhsa_user_sgpr_kernarg_preload_offset 0
		.amdhsa_user_sgpr_private_segment_size 0
		.amdhsa_uses_dynamic_stack 0
		.amdhsa_enable_private_segment 0
		.amdhsa_system_sgpr_workgroup_id_x 1
		.amdhsa_system_sgpr_workgroup_id_y 0
		.amdhsa_system_sgpr_workgroup_id_z 0
		.amdhsa_system_sgpr_workgroup_info 0
		.amdhsa_system_vgpr_workitem_id 0
		.amdhsa_next_free_vgpr 1
		.amdhsa_next_free_sgpr 0
		.amdhsa_accum_offset 4
		.amdhsa_reserve_vcc 0
		.amdhsa_float_round_mode_32 0
		.amdhsa_float_round_mode_16_64 0
		.amdhsa_float_denorm_mode_32 3
		.amdhsa_float_denorm_mode_16_64 3
		.amdhsa_dx10_clamp 1
		.amdhsa_ieee_mode 1
		.amdhsa_fp16_overflow 0
		.amdhsa_tg_split 0
		.amdhsa_exception_fp_ieee_invalid_op 0
		.amdhsa_exception_fp_denorm_src 0
		.amdhsa_exception_fp_ieee_div_zero 0
		.amdhsa_exception_fp_ieee_overflow 0
		.amdhsa_exception_fp_ieee_underflow 0
		.amdhsa_exception_fp_ieee_inexact 0
		.amdhsa_exception_int_div_zero 0
	.end_amdhsa_kernel
	.section	.text._ZN7rocprim17ROCPRIM_400000_NS6detail17trampoline_kernelINS0_14default_configENS1_38merge_sort_block_merge_config_selectorItNS0_10empty_typeEEEZZNS1_27merge_sort_block_merge_implIS3_N6thrust23THRUST_200600_302600_NS6detail15normal_iteratorINS9_10device_ptrItEEEEPS5_jNS1_19radix_merge_compareILb0ELb1EtNS0_19identity_decomposerEEEEE10hipError_tT0_T1_T2_jT3_P12ihipStream_tbPNSt15iterator_traitsISK_E10value_typeEPNSQ_ISL_E10value_typeEPSM_NS1_7vsmem_tEENKUlT_SK_SL_SM_E_clIPtSE_SF_SF_EESJ_SZ_SK_SL_SM_EUlSZ_E1_NS1_11comp_targetILNS1_3genE3ELNS1_11target_archE908ELNS1_3gpuE7ELNS1_3repE0EEENS1_36merge_oddeven_config_static_selectorELNS0_4arch9wavefront6targetE1EEEvSL_,"axG",@progbits,_ZN7rocprim17ROCPRIM_400000_NS6detail17trampoline_kernelINS0_14default_configENS1_38merge_sort_block_merge_config_selectorItNS0_10empty_typeEEEZZNS1_27merge_sort_block_merge_implIS3_N6thrust23THRUST_200600_302600_NS6detail15normal_iteratorINS9_10device_ptrItEEEEPS5_jNS1_19radix_merge_compareILb0ELb1EtNS0_19identity_decomposerEEEEE10hipError_tT0_T1_T2_jT3_P12ihipStream_tbPNSt15iterator_traitsISK_E10value_typeEPNSQ_ISL_E10value_typeEPSM_NS1_7vsmem_tEENKUlT_SK_SL_SM_E_clIPtSE_SF_SF_EESJ_SZ_SK_SL_SM_EUlSZ_E1_NS1_11comp_targetILNS1_3genE3ELNS1_11target_archE908ELNS1_3gpuE7ELNS1_3repE0EEENS1_36merge_oddeven_config_static_selectorELNS0_4arch9wavefront6targetE1EEEvSL_,comdat
.Lfunc_end1283:
	.size	_ZN7rocprim17ROCPRIM_400000_NS6detail17trampoline_kernelINS0_14default_configENS1_38merge_sort_block_merge_config_selectorItNS0_10empty_typeEEEZZNS1_27merge_sort_block_merge_implIS3_N6thrust23THRUST_200600_302600_NS6detail15normal_iteratorINS9_10device_ptrItEEEEPS5_jNS1_19radix_merge_compareILb0ELb1EtNS0_19identity_decomposerEEEEE10hipError_tT0_T1_T2_jT3_P12ihipStream_tbPNSt15iterator_traitsISK_E10value_typeEPNSQ_ISL_E10value_typeEPSM_NS1_7vsmem_tEENKUlT_SK_SL_SM_E_clIPtSE_SF_SF_EESJ_SZ_SK_SL_SM_EUlSZ_E1_NS1_11comp_targetILNS1_3genE3ELNS1_11target_archE908ELNS1_3gpuE7ELNS1_3repE0EEENS1_36merge_oddeven_config_static_selectorELNS0_4arch9wavefront6targetE1EEEvSL_, .Lfunc_end1283-_ZN7rocprim17ROCPRIM_400000_NS6detail17trampoline_kernelINS0_14default_configENS1_38merge_sort_block_merge_config_selectorItNS0_10empty_typeEEEZZNS1_27merge_sort_block_merge_implIS3_N6thrust23THRUST_200600_302600_NS6detail15normal_iteratorINS9_10device_ptrItEEEEPS5_jNS1_19radix_merge_compareILb0ELb1EtNS0_19identity_decomposerEEEEE10hipError_tT0_T1_T2_jT3_P12ihipStream_tbPNSt15iterator_traitsISK_E10value_typeEPNSQ_ISL_E10value_typeEPSM_NS1_7vsmem_tEENKUlT_SK_SL_SM_E_clIPtSE_SF_SF_EESJ_SZ_SK_SL_SM_EUlSZ_E1_NS1_11comp_targetILNS1_3genE3ELNS1_11target_archE908ELNS1_3gpuE7ELNS1_3repE0EEENS1_36merge_oddeven_config_static_selectorELNS0_4arch9wavefront6targetE1EEEvSL_
                                        ; -- End function
	.section	.AMDGPU.csdata,"",@progbits
; Kernel info:
; codeLenInByte = 0
; NumSgprs: 6
; NumVgprs: 0
; NumAgprs: 0
; TotalNumVgprs: 0
; ScratchSize: 0
; MemoryBound: 0
; FloatMode: 240
; IeeeMode: 1
; LDSByteSize: 0 bytes/workgroup (compile time only)
; SGPRBlocks: 0
; VGPRBlocks: 0
; NumSGPRsForWavesPerEU: 6
; NumVGPRsForWavesPerEU: 1
; AccumOffset: 4
; Occupancy: 8
; WaveLimiterHint : 0
; COMPUTE_PGM_RSRC2:SCRATCH_EN: 0
; COMPUTE_PGM_RSRC2:USER_SGPR: 2
; COMPUTE_PGM_RSRC2:TRAP_HANDLER: 0
; COMPUTE_PGM_RSRC2:TGID_X_EN: 1
; COMPUTE_PGM_RSRC2:TGID_Y_EN: 0
; COMPUTE_PGM_RSRC2:TGID_Z_EN: 0
; COMPUTE_PGM_RSRC2:TIDIG_COMP_CNT: 0
; COMPUTE_PGM_RSRC3_GFX90A:ACCUM_OFFSET: 0
; COMPUTE_PGM_RSRC3_GFX90A:TG_SPLIT: 0
	.section	.text._ZN7rocprim17ROCPRIM_400000_NS6detail17trampoline_kernelINS0_14default_configENS1_38merge_sort_block_merge_config_selectorItNS0_10empty_typeEEEZZNS1_27merge_sort_block_merge_implIS3_N6thrust23THRUST_200600_302600_NS6detail15normal_iteratorINS9_10device_ptrItEEEEPS5_jNS1_19radix_merge_compareILb0ELb1EtNS0_19identity_decomposerEEEEE10hipError_tT0_T1_T2_jT3_P12ihipStream_tbPNSt15iterator_traitsISK_E10value_typeEPNSQ_ISL_E10value_typeEPSM_NS1_7vsmem_tEENKUlT_SK_SL_SM_E_clIPtSE_SF_SF_EESJ_SZ_SK_SL_SM_EUlSZ_E1_NS1_11comp_targetILNS1_3genE2ELNS1_11target_archE906ELNS1_3gpuE6ELNS1_3repE0EEENS1_36merge_oddeven_config_static_selectorELNS0_4arch9wavefront6targetE1EEEvSL_,"axG",@progbits,_ZN7rocprim17ROCPRIM_400000_NS6detail17trampoline_kernelINS0_14default_configENS1_38merge_sort_block_merge_config_selectorItNS0_10empty_typeEEEZZNS1_27merge_sort_block_merge_implIS3_N6thrust23THRUST_200600_302600_NS6detail15normal_iteratorINS9_10device_ptrItEEEEPS5_jNS1_19radix_merge_compareILb0ELb1EtNS0_19identity_decomposerEEEEE10hipError_tT0_T1_T2_jT3_P12ihipStream_tbPNSt15iterator_traitsISK_E10value_typeEPNSQ_ISL_E10value_typeEPSM_NS1_7vsmem_tEENKUlT_SK_SL_SM_E_clIPtSE_SF_SF_EESJ_SZ_SK_SL_SM_EUlSZ_E1_NS1_11comp_targetILNS1_3genE2ELNS1_11target_archE906ELNS1_3gpuE6ELNS1_3repE0EEENS1_36merge_oddeven_config_static_selectorELNS0_4arch9wavefront6targetE1EEEvSL_,comdat
	.protected	_ZN7rocprim17ROCPRIM_400000_NS6detail17trampoline_kernelINS0_14default_configENS1_38merge_sort_block_merge_config_selectorItNS0_10empty_typeEEEZZNS1_27merge_sort_block_merge_implIS3_N6thrust23THRUST_200600_302600_NS6detail15normal_iteratorINS9_10device_ptrItEEEEPS5_jNS1_19radix_merge_compareILb0ELb1EtNS0_19identity_decomposerEEEEE10hipError_tT0_T1_T2_jT3_P12ihipStream_tbPNSt15iterator_traitsISK_E10value_typeEPNSQ_ISL_E10value_typeEPSM_NS1_7vsmem_tEENKUlT_SK_SL_SM_E_clIPtSE_SF_SF_EESJ_SZ_SK_SL_SM_EUlSZ_E1_NS1_11comp_targetILNS1_3genE2ELNS1_11target_archE906ELNS1_3gpuE6ELNS1_3repE0EEENS1_36merge_oddeven_config_static_selectorELNS0_4arch9wavefront6targetE1EEEvSL_ ; -- Begin function _ZN7rocprim17ROCPRIM_400000_NS6detail17trampoline_kernelINS0_14default_configENS1_38merge_sort_block_merge_config_selectorItNS0_10empty_typeEEEZZNS1_27merge_sort_block_merge_implIS3_N6thrust23THRUST_200600_302600_NS6detail15normal_iteratorINS9_10device_ptrItEEEEPS5_jNS1_19radix_merge_compareILb0ELb1EtNS0_19identity_decomposerEEEEE10hipError_tT0_T1_T2_jT3_P12ihipStream_tbPNSt15iterator_traitsISK_E10value_typeEPNSQ_ISL_E10value_typeEPSM_NS1_7vsmem_tEENKUlT_SK_SL_SM_E_clIPtSE_SF_SF_EESJ_SZ_SK_SL_SM_EUlSZ_E1_NS1_11comp_targetILNS1_3genE2ELNS1_11target_archE906ELNS1_3gpuE6ELNS1_3repE0EEENS1_36merge_oddeven_config_static_selectorELNS0_4arch9wavefront6targetE1EEEvSL_
	.globl	_ZN7rocprim17ROCPRIM_400000_NS6detail17trampoline_kernelINS0_14default_configENS1_38merge_sort_block_merge_config_selectorItNS0_10empty_typeEEEZZNS1_27merge_sort_block_merge_implIS3_N6thrust23THRUST_200600_302600_NS6detail15normal_iteratorINS9_10device_ptrItEEEEPS5_jNS1_19radix_merge_compareILb0ELb1EtNS0_19identity_decomposerEEEEE10hipError_tT0_T1_T2_jT3_P12ihipStream_tbPNSt15iterator_traitsISK_E10value_typeEPNSQ_ISL_E10value_typeEPSM_NS1_7vsmem_tEENKUlT_SK_SL_SM_E_clIPtSE_SF_SF_EESJ_SZ_SK_SL_SM_EUlSZ_E1_NS1_11comp_targetILNS1_3genE2ELNS1_11target_archE906ELNS1_3gpuE6ELNS1_3repE0EEENS1_36merge_oddeven_config_static_selectorELNS0_4arch9wavefront6targetE1EEEvSL_
	.p2align	8
	.type	_ZN7rocprim17ROCPRIM_400000_NS6detail17trampoline_kernelINS0_14default_configENS1_38merge_sort_block_merge_config_selectorItNS0_10empty_typeEEEZZNS1_27merge_sort_block_merge_implIS3_N6thrust23THRUST_200600_302600_NS6detail15normal_iteratorINS9_10device_ptrItEEEEPS5_jNS1_19radix_merge_compareILb0ELb1EtNS0_19identity_decomposerEEEEE10hipError_tT0_T1_T2_jT3_P12ihipStream_tbPNSt15iterator_traitsISK_E10value_typeEPNSQ_ISL_E10value_typeEPSM_NS1_7vsmem_tEENKUlT_SK_SL_SM_E_clIPtSE_SF_SF_EESJ_SZ_SK_SL_SM_EUlSZ_E1_NS1_11comp_targetILNS1_3genE2ELNS1_11target_archE906ELNS1_3gpuE6ELNS1_3repE0EEENS1_36merge_oddeven_config_static_selectorELNS0_4arch9wavefront6targetE1EEEvSL_,@function
_ZN7rocprim17ROCPRIM_400000_NS6detail17trampoline_kernelINS0_14default_configENS1_38merge_sort_block_merge_config_selectorItNS0_10empty_typeEEEZZNS1_27merge_sort_block_merge_implIS3_N6thrust23THRUST_200600_302600_NS6detail15normal_iteratorINS9_10device_ptrItEEEEPS5_jNS1_19radix_merge_compareILb0ELb1EtNS0_19identity_decomposerEEEEE10hipError_tT0_T1_T2_jT3_P12ihipStream_tbPNSt15iterator_traitsISK_E10value_typeEPNSQ_ISL_E10value_typeEPSM_NS1_7vsmem_tEENKUlT_SK_SL_SM_E_clIPtSE_SF_SF_EESJ_SZ_SK_SL_SM_EUlSZ_E1_NS1_11comp_targetILNS1_3genE2ELNS1_11target_archE906ELNS1_3gpuE6ELNS1_3repE0EEENS1_36merge_oddeven_config_static_selectorELNS0_4arch9wavefront6targetE1EEEvSL_: ; @_ZN7rocprim17ROCPRIM_400000_NS6detail17trampoline_kernelINS0_14default_configENS1_38merge_sort_block_merge_config_selectorItNS0_10empty_typeEEEZZNS1_27merge_sort_block_merge_implIS3_N6thrust23THRUST_200600_302600_NS6detail15normal_iteratorINS9_10device_ptrItEEEEPS5_jNS1_19radix_merge_compareILb0ELb1EtNS0_19identity_decomposerEEEEE10hipError_tT0_T1_T2_jT3_P12ihipStream_tbPNSt15iterator_traitsISK_E10value_typeEPNSQ_ISL_E10value_typeEPSM_NS1_7vsmem_tEENKUlT_SK_SL_SM_E_clIPtSE_SF_SF_EESJ_SZ_SK_SL_SM_EUlSZ_E1_NS1_11comp_targetILNS1_3genE2ELNS1_11target_archE906ELNS1_3gpuE6ELNS1_3repE0EEENS1_36merge_oddeven_config_static_selectorELNS0_4arch9wavefront6targetE1EEEvSL_
; %bb.0:
	.section	.rodata,"a",@progbits
	.p2align	6, 0x0
	.amdhsa_kernel _ZN7rocprim17ROCPRIM_400000_NS6detail17trampoline_kernelINS0_14default_configENS1_38merge_sort_block_merge_config_selectorItNS0_10empty_typeEEEZZNS1_27merge_sort_block_merge_implIS3_N6thrust23THRUST_200600_302600_NS6detail15normal_iteratorINS9_10device_ptrItEEEEPS5_jNS1_19radix_merge_compareILb0ELb1EtNS0_19identity_decomposerEEEEE10hipError_tT0_T1_T2_jT3_P12ihipStream_tbPNSt15iterator_traitsISK_E10value_typeEPNSQ_ISL_E10value_typeEPSM_NS1_7vsmem_tEENKUlT_SK_SL_SM_E_clIPtSE_SF_SF_EESJ_SZ_SK_SL_SM_EUlSZ_E1_NS1_11comp_targetILNS1_3genE2ELNS1_11target_archE906ELNS1_3gpuE6ELNS1_3repE0EEENS1_36merge_oddeven_config_static_selectorELNS0_4arch9wavefront6targetE1EEEvSL_
		.amdhsa_group_segment_fixed_size 0
		.amdhsa_private_segment_fixed_size 0
		.amdhsa_kernarg_size 48
		.amdhsa_user_sgpr_count 2
		.amdhsa_user_sgpr_dispatch_ptr 0
		.amdhsa_user_sgpr_queue_ptr 0
		.amdhsa_user_sgpr_kernarg_segment_ptr 1
		.amdhsa_user_sgpr_dispatch_id 0
		.amdhsa_user_sgpr_kernarg_preload_length 0
		.amdhsa_user_sgpr_kernarg_preload_offset 0
		.amdhsa_user_sgpr_private_segment_size 0
		.amdhsa_uses_dynamic_stack 0
		.amdhsa_enable_private_segment 0
		.amdhsa_system_sgpr_workgroup_id_x 1
		.amdhsa_system_sgpr_workgroup_id_y 0
		.amdhsa_system_sgpr_workgroup_id_z 0
		.amdhsa_system_sgpr_workgroup_info 0
		.amdhsa_system_vgpr_workitem_id 0
		.amdhsa_next_free_vgpr 1
		.amdhsa_next_free_sgpr 0
		.amdhsa_accum_offset 4
		.amdhsa_reserve_vcc 0
		.amdhsa_float_round_mode_32 0
		.amdhsa_float_round_mode_16_64 0
		.amdhsa_float_denorm_mode_32 3
		.amdhsa_float_denorm_mode_16_64 3
		.amdhsa_dx10_clamp 1
		.amdhsa_ieee_mode 1
		.amdhsa_fp16_overflow 0
		.amdhsa_tg_split 0
		.amdhsa_exception_fp_ieee_invalid_op 0
		.amdhsa_exception_fp_denorm_src 0
		.amdhsa_exception_fp_ieee_div_zero 0
		.amdhsa_exception_fp_ieee_overflow 0
		.amdhsa_exception_fp_ieee_underflow 0
		.amdhsa_exception_fp_ieee_inexact 0
		.amdhsa_exception_int_div_zero 0
	.end_amdhsa_kernel
	.section	.text._ZN7rocprim17ROCPRIM_400000_NS6detail17trampoline_kernelINS0_14default_configENS1_38merge_sort_block_merge_config_selectorItNS0_10empty_typeEEEZZNS1_27merge_sort_block_merge_implIS3_N6thrust23THRUST_200600_302600_NS6detail15normal_iteratorINS9_10device_ptrItEEEEPS5_jNS1_19radix_merge_compareILb0ELb1EtNS0_19identity_decomposerEEEEE10hipError_tT0_T1_T2_jT3_P12ihipStream_tbPNSt15iterator_traitsISK_E10value_typeEPNSQ_ISL_E10value_typeEPSM_NS1_7vsmem_tEENKUlT_SK_SL_SM_E_clIPtSE_SF_SF_EESJ_SZ_SK_SL_SM_EUlSZ_E1_NS1_11comp_targetILNS1_3genE2ELNS1_11target_archE906ELNS1_3gpuE6ELNS1_3repE0EEENS1_36merge_oddeven_config_static_selectorELNS0_4arch9wavefront6targetE1EEEvSL_,"axG",@progbits,_ZN7rocprim17ROCPRIM_400000_NS6detail17trampoline_kernelINS0_14default_configENS1_38merge_sort_block_merge_config_selectorItNS0_10empty_typeEEEZZNS1_27merge_sort_block_merge_implIS3_N6thrust23THRUST_200600_302600_NS6detail15normal_iteratorINS9_10device_ptrItEEEEPS5_jNS1_19radix_merge_compareILb0ELb1EtNS0_19identity_decomposerEEEEE10hipError_tT0_T1_T2_jT3_P12ihipStream_tbPNSt15iterator_traitsISK_E10value_typeEPNSQ_ISL_E10value_typeEPSM_NS1_7vsmem_tEENKUlT_SK_SL_SM_E_clIPtSE_SF_SF_EESJ_SZ_SK_SL_SM_EUlSZ_E1_NS1_11comp_targetILNS1_3genE2ELNS1_11target_archE906ELNS1_3gpuE6ELNS1_3repE0EEENS1_36merge_oddeven_config_static_selectorELNS0_4arch9wavefront6targetE1EEEvSL_,comdat
.Lfunc_end1284:
	.size	_ZN7rocprim17ROCPRIM_400000_NS6detail17trampoline_kernelINS0_14default_configENS1_38merge_sort_block_merge_config_selectorItNS0_10empty_typeEEEZZNS1_27merge_sort_block_merge_implIS3_N6thrust23THRUST_200600_302600_NS6detail15normal_iteratorINS9_10device_ptrItEEEEPS5_jNS1_19radix_merge_compareILb0ELb1EtNS0_19identity_decomposerEEEEE10hipError_tT0_T1_T2_jT3_P12ihipStream_tbPNSt15iterator_traitsISK_E10value_typeEPNSQ_ISL_E10value_typeEPSM_NS1_7vsmem_tEENKUlT_SK_SL_SM_E_clIPtSE_SF_SF_EESJ_SZ_SK_SL_SM_EUlSZ_E1_NS1_11comp_targetILNS1_3genE2ELNS1_11target_archE906ELNS1_3gpuE6ELNS1_3repE0EEENS1_36merge_oddeven_config_static_selectorELNS0_4arch9wavefront6targetE1EEEvSL_, .Lfunc_end1284-_ZN7rocprim17ROCPRIM_400000_NS6detail17trampoline_kernelINS0_14default_configENS1_38merge_sort_block_merge_config_selectorItNS0_10empty_typeEEEZZNS1_27merge_sort_block_merge_implIS3_N6thrust23THRUST_200600_302600_NS6detail15normal_iteratorINS9_10device_ptrItEEEEPS5_jNS1_19radix_merge_compareILb0ELb1EtNS0_19identity_decomposerEEEEE10hipError_tT0_T1_T2_jT3_P12ihipStream_tbPNSt15iterator_traitsISK_E10value_typeEPNSQ_ISL_E10value_typeEPSM_NS1_7vsmem_tEENKUlT_SK_SL_SM_E_clIPtSE_SF_SF_EESJ_SZ_SK_SL_SM_EUlSZ_E1_NS1_11comp_targetILNS1_3genE2ELNS1_11target_archE906ELNS1_3gpuE6ELNS1_3repE0EEENS1_36merge_oddeven_config_static_selectorELNS0_4arch9wavefront6targetE1EEEvSL_
                                        ; -- End function
	.section	.AMDGPU.csdata,"",@progbits
; Kernel info:
; codeLenInByte = 0
; NumSgprs: 6
; NumVgprs: 0
; NumAgprs: 0
; TotalNumVgprs: 0
; ScratchSize: 0
; MemoryBound: 0
; FloatMode: 240
; IeeeMode: 1
; LDSByteSize: 0 bytes/workgroup (compile time only)
; SGPRBlocks: 0
; VGPRBlocks: 0
; NumSGPRsForWavesPerEU: 6
; NumVGPRsForWavesPerEU: 1
; AccumOffset: 4
; Occupancy: 8
; WaveLimiterHint : 0
; COMPUTE_PGM_RSRC2:SCRATCH_EN: 0
; COMPUTE_PGM_RSRC2:USER_SGPR: 2
; COMPUTE_PGM_RSRC2:TRAP_HANDLER: 0
; COMPUTE_PGM_RSRC2:TGID_X_EN: 1
; COMPUTE_PGM_RSRC2:TGID_Y_EN: 0
; COMPUTE_PGM_RSRC2:TGID_Z_EN: 0
; COMPUTE_PGM_RSRC2:TIDIG_COMP_CNT: 0
; COMPUTE_PGM_RSRC3_GFX90A:ACCUM_OFFSET: 0
; COMPUTE_PGM_RSRC3_GFX90A:TG_SPLIT: 0
	.section	.text._ZN7rocprim17ROCPRIM_400000_NS6detail17trampoline_kernelINS0_14default_configENS1_38merge_sort_block_merge_config_selectorItNS0_10empty_typeEEEZZNS1_27merge_sort_block_merge_implIS3_N6thrust23THRUST_200600_302600_NS6detail15normal_iteratorINS9_10device_ptrItEEEEPS5_jNS1_19radix_merge_compareILb0ELb1EtNS0_19identity_decomposerEEEEE10hipError_tT0_T1_T2_jT3_P12ihipStream_tbPNSt15iterator_traitsISK_E10value_typeEPNSQ_ISL_E10value_typeEPSM_NS1_7vsmem_tEENKUlT_SK_SL_SM_E_clIPtSE_SF_SF_EESJ_SZ_SK_SL_SM_EUlSZ_E1_NS1_11comp_targetILNS1_3genE9ELNS1_11target_archE1100ELNS1_3gpuE3ELNS1_3repE0EEENS1_36merge_oddeven_config_static_selectorELNS0_4arch9wavefront6targetE1EEEvSL_,"axG",@progbits,_ZN7rocprim17ROCPRIM_400000_NS6detail17trampoline_kernelINS0_14default_configENS1_38merge_sort_block_merge_config_selectorItNS0_10empty_typeEEEZZNS1_27merge_sort_block_merge_implIS3_N6thrust23THRUST_200600_302600_NS6detail15normal_iteratorINS9_10device_ptrItEEEEPS5_jNS1_19radix_merge_compareILb0ELb1EtNS0_19identity_decomposerEEEEE10hipError_tT0_T1_T2_jT3_P12ihipStream_tbPNSt15iterator_traitsISK_E10value_typeEPNSQ_ISL_E10value_typeEPSM_NS1_7vsmem_tEENKUlT_SK_SL_SM_E_clIPtSE_SF_SF_EESJ_SZ_SK_SL_SM_EUlSZ_E1_NS1_11comp_targetILNS1_3genE9ELNS1_11target_archE1100ELNS1_3gpuE3ELNS1_3repE0EEENS1_36merge_oddeven_config_static_selectorELNS0_4arch9wavefront6targetE1EEEvSL_,comdat
	.protected	_ZN7rocprim17ROCPRIM_400000_NS6detail17trampoline_kernelINS0_14default_configENS1_38merge_sort_block_merge_config_selectorItNS0_10empty_typeEEEZZNS1_27merge_sort_block_merge_implIS3_N6thrust23THRUST_200600_302600_NS6detail15normal_iteratorINS9_10device_ptrItEEEEPS5_jNS1_19radix_merge_compareILb0ELb1EtNS0_19identity_decomposerEEEEE10hipError_tT0_T1_T2_jT3_P12ihipStream_tbPNSt15iterator_traitsISK_E10value_typeEPNSQ_ISL_E10value_typeEPSM_NS1_7vsmem_tEENKUlT_SK_SL_SM_E_clIPtSE_SF_SF_EESJ_SZ_SK_SL_SM_EUlSZ_E1_NS1_11comp_targetILNS1_3genE9ELNS1_11target_archE1100ELNS1_3gpuE3ELNS1_3repE0EEENS1_36merge_oddeven_config_static_selectorELNS0_4arch9wavefront6targetE1EEEvSL_ ; -- Begin function _ZN7rocprim17ROCPRIM_400000_NS6detail17trampoline_kernelINS0_14default_configENS1_38merge_sort_block_merge_config_selectorItNS0_10empty_typeEEEZZNS1_27merge_sort_block_merge_implIS3_N6thrust23THRUST_200600_302600_NS6detail15normal_iteratorINS9_10device_ptrItEEEEPS5_jNS1_19radix_merge_compareILb0ELb1EtNS0_19identity_decomposerEEEEE10hipError_tT0_T1_T2_jT3_P12ihipStream_tbPNSt15iterator_traitsISK_E10value_typeEPNSQ_ISL_E10value_typeEPSM_NS1_7vsmem_tEENKUlT_SK_SL_SM_E_clIPtSE_SF_SF_EESJ_SZ_SK_SL_SM_EUlSZ_E1_NS1_11comp_targetILNS1_3genE9ELNS1_11target_archE1100ELNS1_3gpuE3ELNS1_3repE0EEENS1_36merge_oddeven_config_static_selectorELNS0_4arch9wavefront6targetE1EEEvSL_
	.globl	_ZN7rocprim17ROCPRIM_400000_NS6detail17trampoline_kernelINS0_14default_configENS1_38merge_sort_block_merge_config_selectorItNS0_10empty_typeEEEZZNS1_27merge_sort_block_merge_implIS3_N6thrust23THRUST_200600_302600_NS6detail15normal_iteratorINS9_10device_ptrItEEEEPS5_jNS1_19radix_merge_compareILb0ELb1EtNS0_19identity_decomposerEEEEE10hipError_tT0_T1_T2_jT3_P12ihipStream_tbPNSt15iterator_traitsISK_E10value_typeEPNSQ_ISL_E10value_typeEPSM_NS1_7vsmem_tEENKUlT_SK_SL_SM_E_clIPtSE_SF_SF_EESJ_SZ_SK_SL_SM_EUlSZ_E1_NS1_11comp_targetILNS1_3genE9ELNS1_11target_archE1100ELNS1_3gpuE3ELNS1_3repE0EEENS1_36merge_oddeven_config_static_selectorELNS0_4arch9wavefront6targetE1EEEvSL_
	.p2align	8
	.type	_ZN7rocprim17ROCPRIM_400000_NS6detail17trampoline_kernelINS0_14default_configENS1_38merge_sort_block_merge_config_selectorItNS0_10empty_typeEEEZZNS1_27merge_sort_block_merge_implIS3_N6thrust23THRUST_200600_302600_NS6detail15normal_iteratorINS9_10device_ptrItEEEEPS5_jNS1_19radix_merge_compareILb0ELb1EtNS0_19identity_decomposerEEEEE10hipError_tT0_T1_T2_jT3_P12ihipStream_tbPNSt15iterator_traitsISK_E10value_typeEPNSQ_ISL_E10value_typeEPSM_NS1_7vsmem_tEENKUlT_SK_SL_SM_E_clIPtSE_SF_SF_EESJ_SZ_SK_SL_SM_EUlSZ_E1_NS1_11comp_targetILNS1_3genE9ELNS1_11target_archE1100ELNS1_3gpuE3ELNS1_3repE0EEENS1_36merge_oddeven_config_static_selectorELNS0_4arch9wavefront6targetE1EEEvSL_,@function
_ZN7rocprim17ROCPRIM_400000_NS6detail17trampoline_kernelINS0_14default_configENS1_38merge_sort_block_merge_config_selectorItNS0_10empty_typeEEEZZNS1_27merge_sort_block_merge_implIS3_N6thrust23THRUST_200600_302600_NS6detail15normal_iteratorINS9_10device_ptrItEEEEPS5_jNS1_19radix_merge_compareILb0ELb1EtNS0_19identity_decomposerEEEEE10hipError_tT0_T1_T2_jT3_P12ihipStream_tbPNSt15iterator_traitsISK_E10value_typeEPNSQ_ISL_E10value_typeEPSM_NS1_7vsmem_tEENKUlT_SK_SL_SM_E_clIPtSE_SF_SF_EESJ_SZ_SK_SL_SM_EUlSZ_E1_NS1_11comp_targetILNS1_3genE9ELNS1_11target_archE1100ELNS1_3gpuE3ELNS1_3repE0EEENS1_36merge_oddeven_config_static_selectorELNS0_4arch9wavefront6targetE1EEEvSL_: ; @_ZN7rocprim17ROCPRIM_400000_NS6detail17trampoline_kernelINS0_14default_configENS1_38merge_sort_block_merge_config_selectorItNS0_10empty_typeEEEZZNS1_27merge_sort_block_merge_implIS3_N6thrust23THRUST_200600_302600_NS6detail15normal_iteratorINS9_10device_ptrItEEEEPS5_jNS1_19radix_merge_compareILb0ELb1EtNS0_19identity_decomposerEEEEE10hipError_tT0_T1_T2_jT3_P12ihipStream_tbPNSt15iterator_traitsISK_E10value_typeEPNSQ_ISL_E10value_typeEPSM_NS1_7vsmem_tEENKUlT_SK_SL_SM_E_clIPtSE_SF_SF_EESJ_SZ_SK_SL_SM_EUlSZ_E1_NS1_11comp_targetILNS1_3genE9ELNS1_11target_archE1100ELNS1_3gpuE3ELNS1_3repE0EEENS1_36merge_oddeven_config_static_selectorELNS0_4arch9wavefront6targetE1EEEvSL_
; %bb.0:
	.section	.rodata,"a",@progbits
	.p2align	6, 0x0
	.amdhsa_kernel _ZN7rocprim17ROCPRIM_400000_NS6detail17trampoline_kernelINS0_14default_configENS1_38merge_sort_block_merge_config_selectorItNS0_10empty_typeEEEZZNS1_27merge_sort_block_merge_implIS3_N6thrust23THRUST_200600_302600_NS6detail15normal_iteratorINS9_10device_ptrItEEEEPS5_jNS1_19radix_merge_compareILb0ELb1EtNS0_19identity_decomposerEEEEE10hipError_tT0_T1_T2_jT3_P12ihipStream_tbPNSt15iterator_traitsISK_E10value_typeEPNSQ_ISL_E10value_typeEPSM_NS1_7vsmem_tEENKUlT_SK_SL_SM_E_clIPtSE_SF_SF_EESJ_SZ_SK_SL_SM_EUlSZ_E1_NS1_11comp_targetILNS1_3genE9ELNS1_11target_archE1100ELNS1_3gpuE3ELNS1_3repE0EEENS1_36merge_oddeven_config_static_selectorELNS0_4arch9wavefront6targetE1EEEvSL_
		.amdhsa_group_segment_fixed_size 0
		.amdhsa_private_segment_fixed_size 0
		.amdhsa_kernarg_size 48
		.amdhsa_user_sgpr_count 2
		.amdhsa_user_sgpr_dispatch_ptr 0
		.amdhsa_user_sgpr_queue_ptr 0
		.amdhsa_user_sgpr_kernarg_segment_ptr 1
		.amdhsa_user_sgpr_dispatch_id 0
		.amdhsa_user_sgpr_kernarg_preload_length 0
		.amdhsa_user_sgpr_kernarg_preload_offset 0
		.amdhsa_user_sgpr_private_segment_size 0
		.amdhsa_uses_dynamic_stack 0
		.amdhsa_enable_private_segment 0
		.amdhsa_system_sgpr_workgroup_id_x 1
		.amdhsa_system_sgpr_workgroup_id_y 0
		.amdhsa_system_sgpr_workgroup_id_z 0
		.amdhsa_system_sgpr_workgroup_info 0
		.amdhsa_system_vgpr_workitem_id 0
		.amdhsa_next_free_vgpr 1
		.amdhsa_next_free_sgpr 0
		.amdhsa_accum_offset 4
		.amdhsa_reserve_vcc 0
		.amdhsa_float_round_mode_32 0
		.amdhsa_float_round_mode_16_64 0
		.amdhsa_float_denorm_mode_32 3
		.amdhsa_float_denorm_mode_16_64 3
		.amdhsa_dx10_clamp 1
		.amdhsa_ieee_mode 1
		.amdhsa_fp16_overflow 0
		.amdhsa_tg_split 0
		.amdhsa_exception_fp_ieee_invalid_op 0
		.amdhsa_exception_fp_denorm_src 0
		.amdhsa_exception_fp_ieee_div_zero 0
		.amdhsa_exception_fp_ieee_overflow 0
		.amdhsa_exception_fp_ieee_underflow 0
		.amdhsa_exception_fp_ieee_inexact 0
		.amdhsa_exception_int_div_zero 0
	.end_amdhsa_kernel
	.section	.text._ZN7rocprim17ROCPRIM_400000_NS6detail17trampoline_kernelINS0_14default_configENS1_38merge_sort_block_merge_config_selectorItNS0_10empty_typeEEEZZNS1_27merge_sort_block_merge_implIS3_N6thrust23THRUST_200600_302600_NS6detail15normal_iteratorINS9_10device_ptrItEEEEPS5_jNS1_19radix_merge_compareILb0ELb1EtNS0_19identity_decomposerEEEEE10hipError_tT0_T1_T2_jT3_P12ihipStream_tbPNSt15iterator_traitsISK_E10value_typeEPNSQ_ISL_E10value_typeEPSM_NS1_7vsmem_tEENKUlT_SK_SL_SM_E_clIPtSE_SF_SF_EESJ_SZ_SK_SL_SM_EUlSZ_E1_NS1_11comp_targetILNS1_3genE9ELNS1_11target_archE1100ELNS1_3gpuE3ELNS1_3repE0EEENS1_36merge_oddeven_config_static_selectorELNS0_4arch9wavefront6targetE1EEEvSL_,"axG",@progbits,_ZN7rocprim17ROCPRIM_400000_NS6detail17trampoline_kernelINS0_14default_configENS1_38merge_sort_block_merge_config_selectorItNS0_10empty_typeEEEZZNS1_27merge_sort_block_merge_implIS3_N6thrust23THRUST_200600_302600_NS6detail15normal_iteratorINS9_10device_ptrItEEEEPS5_jNS1_19radix_merge_compareILb0ELb1EtNS0_19identity_decomposerEEEEE10hipError_tT0_T1_T2_jT3_P12ihipStream_tbPNSt15iterator_traitsISK_E10value_typeEPNSQ_ISL_E10value_typeEPSM_NS1_7vsmem_tEENKUlT_SK_SL_SM_E_clIPtSE_SF_SF_EESJ_SZ_SK_SL_SM_EUlSZ_E1_NS1_11comp_targetILNS1_3genE9ELNS1_11target_archE1100ELNS1_3gpuE3ELNS1_3repE0EEENS1_36merge_oddeven_config_static_selectorELNS0_4arch9wavefront6targetE1EEEvSL_,comdat
.Lfunc_end1285:
	.size	_ZN7rocprim17ROCPRIM_400000_NS6detail17trampoline_kernelINS0_14default_configENS1_38merge_sort_block_merge_config_selectorItNS0_10empty_typeEEEZZNS1_27merge_sort_block_merge_implIS3_N6thrust23THRUST_200600_302600_NS6detail15normal_iteratorINS9_10device_ptrItEEEEPS5_jNS1_19radix_merge_compareILb0ELb1EtNS0_19identity_decomposerEEEEE10hipError_tT0_T1_T2_jT3_P12ihipStream_tbPNSt15iterator_traitsISK_E10value_typeEPNSQ_ISL_E10value_typeEPSM_NS1_7vsmem_tEENKUlT_SK_SL_SM_E_clIPtSE_SF_SF_EESJ_SZ_SK_SL_SM_EUlSZ_E1_NS1_11comp_targetILNS1_3genE9ELNS1_11target_archE1100ELNS1_3gpuE3ELNS1_3repE0EEENS1_36merge_oddeven_config_static_selectorELNS0_4arch9wavefront6targetE1EEEvSL_, .Lfunc_end1285-_ZN7rocprim17ROCPRIM_400000_NS6detail17trampoline_kernelINS0_14default_configENS1_38merge_sort_block_merge_config_selectorItNS0_10empty_typeEEEZZNS1_27merge_sort_block_merge_implIS3_N6thrust23THRUST_200600_302600_NS6detail15normal_iteratorINS9_10device_ptrItEEEEPS5_jNS1_19radix_merge_compareILb0ELb1EtNS0_19identity_decomposerEEEEE10hipError_tT0_T1_T2_jT3_P12ihipStream_tbPNSt15iterator_traitsISK_E10value_typeEPNSQ_ISL_E10value_typeEPSM_NS1_7vsmem_tEENKUlT_SK_SL_SM_E_clIPtSE_SF_SF_EESJ_SZ_SK_SL_SM_EUlSZ_E1_NS1_11comp_targetILNS1_3genE9ELNS1_11target_archE1100ELNS1_3gpuE3ELNS1_3repE0EEENS1_36merge_oddeven_config_static_selectorELNS0_4arch9wavefront6targetE1EEEvSL_
                                        ; -- End function
	.section	.AMDGPU.csdata,"",@progbits
; Kernel info:
; codeLenInByte = 0
; NumSgprs: 6
; NumVgprs: 0
; NumAgprs: 0
; TotalNumVgprs: 0
; ScratchSize: 0
; MemoryBound: 0
; FloatMode: 240
; IeeeMode: 1
; LDSByteSize: 0 bytes/workgroup (compile time only)
; SGPRBlocks: 0
; VGPRBlocks: 0
; NumSGPRsForWavesPerEU: 6
; NumVGPRsForWavesPerEU: 1
; AccumOffset: 4
; Occupancy: 8
; WaveLimiterHint : 0
; COMPUTE_PGM_RSRC2:SCRATCH_EN: 0
; COMPUTE_PGM_RSRC2:USER_SGPR: 2
; COMPUTE_PGM_RSRC2:TRAP_HANDLER: 0
; COMPUTE_PGM_RSRC2:TGID_X_EN: 1
; COMPUTE_PGM_RSRC2:TGID_Y_EN: 0
; COMPUTE_PGM_RSRC2:TGID_Z_EN: 0
; COMPUTE_PGM_RSRC2:TIDIG_COMP_CNT: 0
; COMPUTE_PGM_RSRC3_GFX90A:ACCUM_OFFSET: 0
; COMPUTE_PGM_RSRC3_GFX90A:TG_SPLIT: 0
	.section	.text._ZN7rocprim17ROCPRIM_400000_NS6detail17trampoline_kernelINS0_14default_configENS1_38merge_sort_block_merge_config_selectorItNS0_10empty_typeEEEZZNS1_27merge_sort_block_merge_implIS3_N6thrust23THRUST_200600_302600_NS6detail15normal_iteratorINS9_10device_ptrItEEEEPS5_jNS1_19radix_merge_compareILb0ELb1EtNS0_19identity_decomposerEEEEE10hipError_tT0_T1_T2_jT3_P12ihipStream_tbPNSt15iterator_traitsISK_E10value_typeEPNSQ_ISL_E10value_typeEPSM_NS1_7vsmem_tEENKUlT_SK_SL_SM_E_clIPtSE_SF_SF_EESJ_SZ_SK_SL_SM_EUlSZ_E1_NS1_11comp_targetILNS1_3genE8ELNS1_11target_archE1030ELNS1_3gpuE2ELNS1_3repE0EEENS1_36merge_oddeven_config_static_selectorELNS0_4arch9wavefront6targetE1EEEvSL_,"axG",@progbits,_ZN7rocprim17ROCPRIM_400000_NS6detail17trampoline_kernelINS0_14default_configENS1_38merge_sort_block_merge_config_selectorItNS0_10empty_typeEEEZZNS1_27merge_sort_block_merge_implIS3_N6thrust23THRUST_200600_302600_NS6detail15normal_iteratorINS9_10device_ptrItEEEEPS5_jNS1_19radix_merge_compareILb0ELb1EtNS0_19identity_decomposerEEEEE10hipError_tT0_T1_T2_jT3_P12ihipStream_tbPNSt15iterator_traitsISK_E10value_typeEPNSQ_ISL_E10value_typeEPSM_NS1_7vsmem_tEENKUlT_SK_SL_SM_E_clIPtSE_SF_SF_EESJ_SZ_SK_SL_SM_EUlSZ_E1_NS1_11comp_targetILNS1_3genE8ELNS1_11target_archE1030ELNS1_3gpuE2ELNS1_3repE0EEENS1_36merge_oddeven_config_static_selectorELNS0_4arch9wavefront6targetE1EEEvSL_,comdat
	.protected	_ZN7rocprim17ROCPRIM_400000_NS6detail17trampoline_kernelINS0_14default_configENS1_38merge_sort_block_merge_config_selectorItNS0_10empty_typeEEEZZNS1_27merge_sort_block_merge_implIS3_N6thrust23THRUST_200600_302600_NS6detail15normal_iteratorINS9_10device_ptrItEEEEPS5_jNS1_19radix_merge_compareILb0ELb1EtNS0_19identity_decomposerEEEEE10hipError_tT0_T1_T2_jT3_P12ihipStream_tbPNSt15iterator_traitsISK_E10value_typeEPNSQ_ISL_E10value_typeEPSM_NS1_7vsmem_tEENKUlT_SK_SL_SM_E_clIPtSE_SF_SF_EESJ_SZ_SK_SL_SM_EUlSZ_E1_NS1_11comp_targetILNS1_3genE8ELNS1_11target_archE1030ELNS1_3gpuE2ELNS1_3repE0EEENS1_36merge_oddeven_config_static_selectorELNS0_4arch9wavefront6targetE1EEEvSL_ ; -- Begin function _ZN7rocprim17ROCPRIM_400000_NS6detail17trampoline_kernelINS0_14default_configENS1_38merge_sort_block_merge_config_selectorItNS0_10empty_typeEEEZZNS1_27merge_sort_block_merge_implIS3_N6thrust23THRUST_200600_302600_NS6detail15normal_iteratorINS9_10device_ptrItEEEEPS5_jNS1_19radix_merge_compareILb0ELb1EtNS0_19identity_decomposerEEEEE10hipError_tT0_T1_T2_jT3_P12ihipStream_tbPNSt15iterator_traitsISK_E10value_typeEPNSQ_ISL_E10value_typeEPSM_NS1_7vsmem_tEENKUlT_SK_SL_SM_E_clIPtSE_SF_SF_EESJ_SZ_SK_SL_SM_EUlSZ_E1_NS1_11comp_targetILNS1_3genE8ELNS1_11target_archE1030ELNS1_3gpuE2ELNS1_3repE0EEENS1_36merge_oddeven_config_static_selectorELNS0_4arch9wavefront6targetE1EEEvSL_
	.globl	_ZN7rocprim17ROCPRIM_400000_NS6detail17trampoline_kernelINS0_14default_configENS1_38merge_sort_block_merge_config_selectorItNS0_10empty_typeEEEZZNS1_27merge_sort_block_merge_implIS3_N6thrust23THRUST_200600_302600_NS6detail15normal_iteratorINS9_10device_ptrItEEEEPS5_jNS1_19radix_merge_compareILb0ELb1EtNS0_19identity_decomposerEEEEE10hipError_tT0_T1_T2_jT3_P12ihipStream_tbPNSt15iterator_traitsISK_E10value_typeEPNSQ_ISL_E10value_typeEPSM_NS1_7vsmem_tEENKUlT_SK_SL_SM_E_clIPtSE_SF_SF_EESJ_SZ_SK_SL_SM_EUlSZ_E1_NS1_11comp_targetILNS1_3genE8ELNS1_11target_archE1030ELNS1_3gpuE2ELNS1_3repE0EEENS1_36merge_oddeven_config_static_selectorELNS0_4arch9wavefront6targetE1EEEvSL_
	.p2align	8
	.type	_ZN7rocprim17ROCPRIM_400000_NS6detail17trampoline_kernelINS0_14default_configENS1_38merge_sort_block_merge_config_selectorItNS0_10empty_typeEEEZZNS1_27merge_sort_block_merge_implIS3_N6thrust23THRUST_200600_302600_NS6detail15normal_iteratorINS9_10device_ptrItEEEEPS5_jNS1_19radix_merge_compareILb0ELb1EtNS0_19identity_decomposerEEEEE10hipError_tT0_T1_T2_jT3_P12ihipStream_tbPNSt15iterator_traitsISK_E10value_typeEPNSQ_ISL_E10value_typeEPSM_NS1_7vsmem_tEENKUlT_SK_SL_SM_E_clIPtSE_SF_SF_EESJ_SZ_SK_SL_SM_EUlSZ_E1_NS1_11comp_targetILNS1_3genE8ELNS1_11target_archE1030ELNS1_3gpuE2ELNS1_3repE0EEENS1_36merge_oddeven_config_static_selectorELNS0_4arch9wavefront6targetE1EEEvSL_,@function
_ZN7rocprim17ROCPRIM_400000_NS6detail17trampoline_kernelINS0_14default_configENS1_38merge_sort_block_merge_config_selectorItNS0_10empty_typeEEEZZNS1_27merge_sort_block_merge_implIS3_N6thrust23THRUST_200600_302600_NS6detail15normal_iteratorINS9_10device_ptrItEEEEPS5_jNS1_19radix_merge_compareILb0ELb1EtNS0_19identity_decomposerEEEEE10hipError_tT0_T1_T2_jT3_P12ihipStream_tbPNSt15iterator_traitsISK_E10value_typeEPNSQ_ISL_E10value_typeEPSM_NS1_7vsmem_tEENKUlT_SK_SL_SM_E_clIPtSE_SF_SF_EESJ_SZ_SK_SL_SM_EUlSZ_E1_NS1_11comp_targetILNS1_3genE8ELNS1_11target_archE1030ELNS1_3gpuE2ELNS1_3repE0EEENS1_36merge_oddeven_config_static_selectorELNS0_4arch9wavefront6targetE1EEEvSL_: ; @_ZN7rocprim17ROCPRIM_400000_NS6detail17trampoline_kernelINS0_14default_configENS1_38merge_sort_block_merge_config_selectorItNS0_10empty_typeEEEZZNS1_27merge_sort_block_merge_implIS3_N6thrust23THRUST_200600_302600_NS6detail15normal_iteratorINS9_10device_ptrItEEEEPS5_jNS1_19radix_merge_compareILb0ELb1EtNS0_19identity_decomposerEEEEE10hipError_tT0_T1_T2_jT3_P12ihipStream_tbPNSt15iterator_traitsISK_E10value_typeEPNSQ_ISL_E10value_typeEPSM_NS1_7vsmem_tEENKUlT_SK_SL_SM_E_clIPtSE_SF_SF_EESJ_SZ_SK_SL_SM_EUlSZ_E1_NS1_11comp_targetILNS1_3genE8ELNS1_11target_archE1030ELNS1_3gpuE2ELNS1_3repE0EEENS1_36merge_oddeven_config_static_selectorELNS0_4arch9wavefront6targetE1EEEvSL_
; %bb.0:
	.section	.rodata,"a",@progbits
	.p2align	6, 0x0
	.amdhsa_kernel _ZN7rocprim17ROCPRIM_400000_NS6detail17trampoline_kernelINS0_14default_configENS1_38merge_sort_block_merge_config_selectorItNS0_10empty_typeEEEZZNS1_27merge_sort_block_merge_implIS3_N6thrust23THRUST_200600_302600_NS6detail15normal_iteratorINS9_10device_ptrItEEEEPS5_jNS1_19radix_merge_compareILb0ELb1EtNS0_19identity_decomposerEEEEE10hipError_tT0_T1_T2_jT3_P12ihipStream_tbPNSt15iterator_traitsISK_E10value_typeEPNSQ_ISL_E10value_typeEPSM_NS1_7vsmem_tEENKUlT_SK_SL_SM_E_clIPtSE_SF_SF_EESJ_SZ_SK_SL_SM_EUlSZ_E1_NS1_11comp_targetILNS1_3genE8ELNS1_11target_archE1030ELNS1_3gpuE2ELNS1_3repE0EEENS1_36merge_oddeven_config_static_selectorELNS0_4arch9wavefront6targetE1EEEvSL_
		.amdhsa_group_segment_fixed_size 0
		.amdhsa_private_segment_fixed_size 0
		.amdhsa_kernarg_size 48
		.amdhsa_user_sgpr_count 2
		.amdhsa_user_sgpr_dispatch_ptr 0
		.amdhsa_user_sgpr_queue_ptr 0
		.amdhsa_user_sgpr_kernarg_segment_ptr 1
		.amdhsa_user_sgpr_dispatch_id 0
		.amdhsa_user_sgpr_kernarg_preload_length 0
		.amdhsa_user_sgpr_kernarg_preload_offset 0
		.amdhsa_user_sgpr_private_segment_size 0
		.amdhsa_uses_dynamic_stack 0
		.amdhsa_enable_private_segment 0
		.amdhsa_system_sgpr_workgroup_id_x 1
		.amdhsa_system_sgpr_workgroup_id_y 0
		.amdhsa_system_sgpr_workgroup_id_z 0
		.amdhsa_system_sgpr_workgroup_info 0
		.amdhsa_system_vgpr_workitem_id 0
		.amdhsa_next_free_vgpr 1
		.amdhsa_next_free_sgpr 0
		.amdhsa_accum_offset 4
		.amdhsa_reserve_vcc 0
		.amdhsa_float_round_mode_32 0
		.amdhsa_float_round_mode_16_64 0
		.amdhsa_float_denorm_mode_32 3
		.amdhsa_float_denorm_mode_16_64 3
		.amdhsa_dx10_clamp 1
		.amdhsa_ieee_mode 1
		.amdhsa_fp16_overflow 0
		.amdhsa_tg_split 0
		.amdhsa_exception_fp_ieee_invalid_op 0
		.amdhsa_exception_fp_denorm_src 0
		.amdhsa_exception_fp_ieee_div_zero 0
		.amdhsa_exception_fp_ieee_overflow 0
		.amdhsa_exception_fp_ieee_underflow 0
		.amdhsa_exception_fp_ieee_inexact 0
		.amdhsa_exception_int_div_zero 0
	.end_amdhsa_kernel
	.section	.text._ZN7rocprim17ROCPRIM_400000_NS6detail17trampoline_kernelINS0_14default_configENS1_38merge_sort_block_merge_config_selectorItNS0_10empty_typeEEEZZNS1_27merge_sort_block_merge_implIS3_N6thrust23THRUST_200600_302600_NS6detail15normal_iteratorINS9_10device_ptrItEEEEPS5_jNS1_19radix_merge_compareILb0ELb1EtNS0_19identity_decomposerEEEEE10hipError_tT0_T1_T2_jT3_P12ihipStream_tbPNSt15iterator_traitsISK_E10value_typeEPNSQ_ISL_E10value_typeEPSM_NS1_7vsmem_tEENKUlT_SK_SL_SM_E_clIPtSE_SF_SF_EESJ_SZ_SK_SL_SM_EUlSZ_E1_NS1_11comp_targetILNS1_3genE8ELNS1_11target_archE1030ELNS1_3gpuE2ELNS1_3repE0EEENS1_36merge_oddeven_config_static_selectorELNS0_4arch9wavefront6targetE1EEEvSL_,"axG",@progbits,_ZN7rocprim17ROCPRIM_400000_NS6detail17trampoline_kernelINS0_14default_configENS1_38merge_sort_block_merge_config_selectorItNS0_10empty_typeEEEZZNS1_27merge_sort_block_merge_implIS3_N6thrust23THRUST_200600_302600_NS6detail15normal_iteratorINS9_10device_ptrItEEEEPS5_jNS1_19radix_merge_compareILb0ELb1EtNS0_19identity_decomposerEEEEE10hipError_tT0_T1_T2_jT3_P12ihipStream_tbPNSt15iterator_traitsISK_E10value_typeEPNSQ_ISL_E10value_typeEPSM_NS1_7vsmem_tEENKUlT_SK_SL_SM_E_clIPtSE_SF_SF_EESJ_SZ_SK_SL_SM_EUlSZ_E1_NS1_11comp_targetILNS1_3genE8ELNS1_11target_archE1030ELNS1_3gpuE2ELNS1_3repE0EEENS1_36merge_oddeven_config_static_selectorELNS0_4arch9wavefront6targetE1EEEvSL_,comdat
.Lfunc_end1286:
	.size	_ZN7rocprim17ROCPRIM_400000_NS6detail17trampoline_kernelINS0_14default_configENS1_38merge_sort_block_merge_config_selectorItNS0_10empty_typeEEEZZNS1_27merge_sort_block_merge_implIS3_N6thrust23THRUST_200600_302600_NS6detail15normal_iteratorINS9_10device_ptrItEEEEPS5_jNS1_19radix_merge_compareILb0ELb1EtNS0_19identity_decomposerEEEEE10hipError_tT0_T1_T2_jT3_P12ihipStream_tbPNSt15iterator_traitsISK_E10value_typeEPNSQ_ISL_E10value_typeEPSM_NS1_7vsmem_tEENKUlT_SK_SL_SM_E_clIPtSE_SF_SF_EESJ_SZ_SK_SL_SM_EUlSZ_E1_NS1_11comp_targetILNS1_3genE8ELNS1_11target_archE1030ELNS1_3gpuE2ELNS1_3repE0EEENS1_36merge_oddeven_config_static_selectorELNS0_4arch9wavefront6targetE1EEEvSL_, .Lfunc_end1286-_ZN7rocprim17ROCPRIM_400000_NS6detail17trampoline_kernelINS0_14default_configENS1_38merge_sort_block_merge_config_selectorItNS0_10empty_typeEEEZZNS1_27merge_sort_block_merge_implIS3_N6thrust23THRUST_200600_302600_NS6detail15normal_iteratorINS9_10device_ptrItEEEEPS5_jNS1_19radix_merge_compareILb0ELb1EtNS0_19identity_decomposerEEEEE10hipError_tT0_T1_T2_jT3_P12ihipStream_tbPNSt15iterator_traitsISK_E10value_typeEPNSQ_ISL_E10value_typeEPSM_NS1_7vsmem_tEENKUlT_SK_SL_SM_E_clIPtSE_SF_SF_EESJ_SZ_SK_SL_SM_EUlSZ_E1_NS1_11comp_targetILNS1_3genE8ELNS1_11target_archE1030ELNS1_3gpuE2ELNS1_3repE0EEENS1_36merge_oddeven_config_static_selectorELNS0_4arch9wavefront6targetE1EEEvSL_
                                        ; -- End function
	.section	.AMDGPU.csdata,"",@progbits
; Kernel info:
; codeLenInByte = 0
; NumSgprs: 6
; NumVgprs: 0
; NumAgprs: 0
; TotalNumVgprs: 0
; ScratchSize: 0
; MemoryBound: 0
; FloatMode: 240
; IeeeMode: 1
; LDSByteSize: 0 bytes/workgroup (compile time only)
; SGPRBlocks: 0
; VGPRBlocks: 0
; NumSGPRsForWavesPerEU: 6
; NumVGPRsForWavesPerEU: 1
; AccumOffset: 4
; Occupancy: 8
; WaveLimiterHint : 0
; COMPUTE_PGM_RSRC2:SCRATCH_EN: 0
; COMPUTE_PGM_RSRC2:USER_SGPR: 2
; COMPUTE_PGM_RSRC2:TRAP_HANDLER: 0
; COMPUTE_PGM_RSRC2:TGID_X_EN: 1
; COMPUTE_PGM_RSRC2:TGID_Y_EN: 0
; COMPUTE_PGM_RSRC2:TGID_Z_EN: 0
; COMPUTE_PGM_RSRC2:TIDIG_COMP_CNT: 0
; COMPUTE_PGM_RSRC3_GFX90A:ACCUM_OFFSET: 0
; COMPUTE_PGM_RSRC3_GFX90A:TG_SPLIT: 0
	.section	.text._ZN7rocprim17ROCPRIM_400000_NS6detail17trampoline_kernelINS0_14default_configENS1_38merge_sort_block_merge_config_selectorItNS0_10empty_typeEEEZZNS1_27merge_sort_block_merge_implIS3_N6thrust23THRUST_200600_302600_NS6detail15normal_iteratorINS9_10device_ptrItEEEEPS5_jNS1_19radix_merge_compareILb0ELb1EtNS0_19identity_decomposerEEEEE10hipError_tT0_T1_T2_jT3_P12ihipStream_tbPNSt15iterator_traitsISK_E10value_typeEPNSQ_ISL_E10value_typeEPSM_NS1_7vsmem_tEENKUlT_SK_SL_SM_E_clISE_PtSF_SF_EESJ_SZ_SK_SL_SM_EUlSZ_E_NS1_11comp_targetILNS1_3genE0ELNS1_11target_archE4294967295ELNS1_3gpuE0ELNS1_3repE0EEENS1_48merge_mergepath_partition_config_static_selectorELNS0_4arch9wavefront6targetE1EEEvSL_,"axG",@progbits,_ZN7rocprim17ROCPRIM_400000_NS6detail17trampoline_kernelINS0_14default_configENS1_38merge_sort_block_merge_config_selectorItNS0_10empty_typeEEEZZNS1_27merge_sort_block_merge_implIS3_N6thrust23THRUST_200600_302600_NS6detail15normal_iteratorINS9_10device_ptrItEEEEPS5_jNS1_19radix_merge_compareILb0ELb1EtNS0_19identity_decomposerEEEEE10hipError_tT0_T1_T2_jT3_P12ihipStream_tbPNSt15iterator_traitsISK_E10value_typeEPNSQ_ISL_E10value_typeEPSM_NS1_7vsmem_tEENKUlT_SK_SL_SM_E_clISE_PtSF_SF_EESJ_SZ_SK_SL_SM_EUlSZ_E_NS1_11comp_targetILNS1_3genE0ELNS1_11target_archE4294967295ELNS1_3gpuE0ELNS1_3repE0EEENS1_48merge_mergepath_partition_config_static_selectorELNS0_4arch9wavefront6targetE1EEEvSL_,comdat
	.protected	_ZN7rocprim17ROCPRIM_400000_NS6detail17trampoline_kernelINS0_14default_configENS1_38merge_sort_block_merge_config_selectorItNS0_10empty_typeEEEZZNS1_27merge_sort_block_merge_implIS3_N6thrust23THRUST_200600_302600_NS6detail15normal_iteratorINS9_10device_ptrItEEEEPS5_jNS1_19radix_merge_compareILb0ELb1EtNS0_19identity_decomposerEEEEE10hipError_tT0_T1_T2_jT3_P12ihipStream_tbPNSt15iterator_traitsISK_E10value_typeEPNSQ_ISL_E10value_typeEPSM_NS1_7vsmem_tEENKUlT_SK_SL_SM_E_clISE_PtSF_SF_EESJ_SZ_SK_SL_SM_EUlSZ_E_NS1_11comp_targetILNS1_3genE0ELNS1_11target_archE4294967295ELNS1_3gpuE0ELNS1_3repE0EEENS1_48merge_mergepath_partition_config_static_selectorELNS0_4arch9wavefront6targetE1EEEvSL_ ; -- Begin function _ZN7rocprim17ROCPRIM_400000_NS6detail17trampoline_kernelINS0_14default_configENS1_38merge_sort_block_merge_config_selectorItNS0_10empty_typeEEEZZNS1_27merge_sort_block_merge_implIS3_N6thrust23THRUST_200600_302600_NS6detail15normal_iteratorINS9_10device_ptrItEEEEPS5_jNS1_19radix_merge_compareILb0ELb1EtNS0_19identity_decomposerEEEEE10hipError_tT0_T1_T2_jT3_P12ihipStream_tbPNSt15iterator_traitsISK_E10value_typeEPNSQ_ISL_E10value_typeEPSM_NS1_7vsmem_tEENKUlT_SK_SL_SM_E_clISE_PtSF_SF_EESJ_SZ_SK_SL_SM_EUlSZ_E_NS1_11comp_targetILNS1_3genE0ELNS1_11target_archE4294967295ELNS1_3gpuE0ELNS1_3repE0EEENS1_48merge_mergepath_partition_config_static_selectorELNS0_4arch9wavefront6targetE1EEEvSL_
	.globl	_ZN7rocprim17ROCPRIM_400000_NS6detail17trampoline_kernelINS0_14default_configENS1_38merge_sort_block_merge_config_selectorItNS0_10empty_typeEEEZZNS1_27merge_sort_block_merge_implIS3_N6thrust23THRUST_200600_302600_NS6detail15normal_iteratorINS9_10device_ptrItEEEEPS5_jNS1_19radix_merge_compareILb0ELb1EtNS0_19identity_decomposerEEEEE10hipError_tT0_T1_T2_jT3_P12ihipStream_tbPNSt15iterator_traitsISK_E10value_typeEPNSQ_ISL_E10value_typeEPSM_NS1_7vsmem_tEENKUlT_SK_SL_SM_E_clISE_PtSF_SF_EESJ_SZ_SK_SL_SM_EUlSZ_E_NS1_11comp_targetILNS1_3genE0ELNS1_11target_archE4294967295ELNS1_3gpuE0ELNS1_3repE0EEENS1_48merge_mergepath_partition_config_static_selectorELNS0_4arch9wavefront6targetE1EEEvSL_
	.p2align	8
	.type	_ZN7rocprim17ROCPRIM_400000_NS6detail17trampoline_kernelINS0_14default_configENS1_38merge_sort_block_merge_config_selectorItNS0_10empty_typeEEEZZNS1_27merge_sort_block_merge_implIS3_N6thrust23THRUST_200600_302600_NS6detail15normal_iteratorINS9_10device_ptrItEEEEPS5_jNS1_19radix_merge_compareILb0ELb1EtNS0_19identity_decomposerEEEEE10hipError_tT0_T1_T2_jT3_P12ihipStream_tbPNSt15iterator_traitsISK_E10value_typeEPNSQ_ISL_E10value_typeEPSM_NS1_7vsmem_tEENKUlT_SK_SL_SM_E_clISE_PtSF_SF_EESJ_SZ_SK_SL_SM_EUlSZ_E_NS1_11comp_targetILNS1_3genE0ELNS1_11target_archE4294967295ELNS1_3gpuE0ELNS1_3repE0EEENS1_48merge_mergepath_partition_config_static_selectorELNS0_4arch9wavefront6targetE1EEEvSL_,@function
_ZN7rocprim17ROCPRIM_400000_NS6detail17trampoline_kernelINS0_14default_configENS1_38merge_sort_block_merge_config_selectorItNS0_10empty_typeEEEZZNS1_27merge_sort_block_merge_implIS3_N6thrust23THRUST_200600_302600_NS6detail15normal_iteratorINS9_10device_ptrItEEEEPS5_jNS1_19radix_merge_compareILb0ELb1EtNS0_19identity_decomposerEEEEE10hipError_tT0_T1_T2_jT3_P12ihipStream_tbPNSt15iterator_traitsISK_E10value_typeEPNSQ_ISL_E10value_typeEPSM_NS1_7vsmem_tEENKUlT_SK_SL_SM_E_clISE_PtSF_SF_EESJ_SZ_SK_SL_SM_EUlSZ_E_NS1_11comp_targetILNS1_3genE0ELNS1_11target_archE4294967295ELNS1_3gpuE0ELNS1_3repE0EEENS1_48merge_mergepath_partition_config_static_selectorELNS0_4arch9wavefront6targetE1EEEvSL_: ; @_ZN7rocprim17ROCPRIM_400000_NS6detail17trampoline_kernelINS0_14default_configENS1_38merge_sort_block_merge_config_selectorItNS0_10empty_typeEEEZZNS1_27merge_sort_block_merge_implIS3_N6thrust23THRUST_200600_302600_NS6detail15normal_iteratorINS9_10device_ptrItEEEEPS5_jNS1_19radix_merge_compareILb0ELb1EtNS0_19identity_decomposerEEEEE10hipError_tT0_T1_T2_jT3_P12ihipStream_tbPNSt15iterator_traitsISK_E10value_typeEPNSQ_ISL_E10value_typeEPSM_NS1_7vsmem_tEENKUlT_SK_SL_SM_E_clISE_PtSF_SF_EESJ_SZ_SK_SL_SM_EUlSZ_E_NS1_11comp_targetILNS1_3genE0ELNS1_11target_archE4294967295ELNS1_3gpuE0ELNS1_3repE0EEENS1_48merge_mergepath_partition_config_static_selectorELNS0_4arch9wavefront6targetE1EEEvSL_
; %bb.0:
	.section	.rodata,"a",@progbits
	.p2align	6, 0x0
	.amdhsa_kernel _ZN7rocprim17ROCPRIM_400000_NS6detail17trampoline_kernelINS0_14default_configENS1_38merge_sort_block_merge_config_selectorItNS0_10empty_typeEEEZZNS1_27merge_sort_block_merge_implIS3_N6thrust23THRUST_200600_302600_NS6detail15normal_iteratorINS9_10device_ptrItEEEEPS5_jNS1_19radix_merge_compareILb0ELb1EtNS0_19identity_decomposerEEEEE10hipError_tT0_T1_T2_jT3_P12ihipStream_tbPNSt15iterator_traitsISK_E10value_typeEPNSQ_ISL_E10value_typeEPSM_NS1_7vsmem_tEENKUlT_SK_SL_SM_E_clISE_PtSF_SF_EESJ_SZ_SK_SL_SM_EUlSZ_E_NS1_11comp_targetILNS1_3genE0ELNS1_11target_archE4294967295ELNS1_3gpuE0ELNS1_3repE0EEENS1_48merge_mergepath_partition_config_static_selectorELNS0_4arch9wavefront6targetE1EEEvSL_
		.amdhsa_group_segment_fixed_size 0
		.amdhsa_private_segment_fixed_size 0
		.amdhsa_kernarg_size 40
		.amdhsa_user_sgpr_count 2
		.amdhsa_user_sgpr_dispatch_ptr 0
		.amdhsa_user_sgpr_queue_ptr 0
		.amdhsa_user_sgpr_kernarg_segment_ptr 1
		.amdhsa_user_sgpr_dispatch_id 0
		.amdhsa_user_sgpr_kernarg_preload_length 0
		.amdhsa_user_sgpr_kernarg_preload_offset 0
		.amdhsa_user_sgpr_private_segment_size 0
		.amdhsa_uses_dynamic_stack 0
		.amdhsa_enable_private_segment 0
		.amdhsa_system_sgpr_workgroup_id_x 1
		.amdhsa_system_sgpr_workgroup_id_y 0
		.amdhsa_system_sgpr_workgroup_id_z 0
		.amdhsa_system_sgpr_workgroup_info 0
		.amdhsa_system_vgpr_workitem_id 0
		.amdhsa_next_free_vgpr 1
		.amdhsa_next_free_sgpr 0
		.amdhsa_accum_offset 4
		.amdhsa_reserve_vcc 0
		.amdhsa_float_round_mode_32 0
		.amdhsa_float_round_mode_16_64 0
		.amdhsa_float_denorm_mode_32 3
		.amdhsa_float_denorm_mode_16_64 3
		.amdhsa_dx10_clamp 1
		.amdhsa_ieee_mode 1
		.amdhsa_fp16_overflow 0
		.amdhsa_tg_split 0
		.amdhsa_exception_fp_ieee_invalid_op 0
		.amdhsa_exception_fp_denorm_src 0
		.amdhsa_exception_fp_ieee_div_zero 0
		.amdhsa_exception_fp_ieee_overflow 0
		.amdhsa_exception_fp_ieee_underflow 0
		.amdhsa_exception_fp_ieee_inexact 0
		.amdhsa_exception_int_div_zero 0
	.end_amdhsa_kernel
	.section	.text._ZN7rocprim17ROCPRIM_400000_NS6detail17trampoline_kernelINS0_14default_configENS1_38merge_sort_block_merge_config_selectorItNS0_10empty_typeEEEZZNS1_27merge_sort_block_merge_implIS3_N6thrust23THRUST_200600_302600_NS6detail15normal_iteratorINS9_10device_ptrItEEEEPS5_jNS1_19radix_merge_compareILb0ELb1EtNS0_19identity_decomposerEEEEE10hipError_tT0_T1_T2_jT3_P12ihipStream_tbPNSt15iterator_traitsISK_E10value_typeEPNSQ_ISL_E10value_typeEPSM_NS1_7vsmem_tEENKUlT_SK_SL_SM_E_clISE_PtSF_SF_EESJ_SZ_SK_SL_SM_EUlSZ_E_NS1_11comp_targetILNS1_3genE0ELNS1_11target_archE4294967295ELNS1_3gpuE0ELNS1_3repE0EEENS1_48merge_mergepath_partition_config_static_selectorELNS0_4arch9wavefront6targetE1EEEvSL_,"axG",@progbits,_ZN7rocprim17ROCPRIM_400000_NS6detail17trampoline_kernelINS0_14default_configENS1_38merge_sort_block_merge_config_selectorItNS0_10empty_typeEEEZZNS1_27merge_sort_block_merge_implIS3_N6thrust23THRUST_200600_302600_NS6detail15normal_iteratorINS9_10device_ptrItEEEEPS5_jNS1_19radix_merge_compareILb0ELb1EtNS0_19identity_decomposerEEEEE10hipError_tT0_T1_T2_jT3_P12ihipStream_tbPNSt15iterator_traitsISK_E10value_typeEPNSQ_ISL_E10value_typeEPSM_NS1_7vsmem_tEENKUlT_SK_SL_SM_E_clISE_PtSF_SF_EESJ_SZ_SK_SL_SM_EUlSZ_E_NS1_11comp_targetILNS1_3genE0ELNS1_11target_archE4294967295ELNS1_3gpuE0ELNS1_3repE0EEENS1_48merge_mergepath_partition_config_static_selectorELNS0_4arch9wavefront6targetE1EEEvSL_,comdat
.Lfunc_end1287:
	.size	_ZN7rocprim17ROCPRIM_400000_NS6detail17trampoline_kernelINS0_14default_configENS1_38merge_sort_block_merge_config_selectorItNS0_10empty_typeEEEZZNS1_27merge_sort_block_merge_implIS3_N6thrust23THRUST_200600_302600_NS6detail15normal_iteratorINS9_10device_ptrItEEEEPS5_jNS1_19radix_merge_compareILb0ELb1EtNS0_19identity_decomposerEEEEE10hipError_tT0_T1_T2_jT3_P12ihipStream_tbPNSt15iterator_traitsISK_E10value_typeEPNSQ_ISL_E10value_typeEPSM_NS1_7vsmem_tEENKUlT_SK_SL_SM_E_clISE_PtSF_SF_EESJ_SZ_SK_SL_SM_EUlSZ_E_NS1_11comp_targetILNS1_3genE0ELNS1_11target_archE4294967295ELNS1_3gpuE0ELNS1_3repE0EEENS1_48merge_mergepath_partition_config_static_selectorELNS0_4arch9wavefront6targetE1EEEvSL_, .Lfunc_end1287-_ZN7rocprim17ROCPRIM_400000_NS6detail17trampoline_kernelINS0_14default_configENS1_38merge_sort_block_merge_config_selectorItNS0_10empty_typeEEEZZNS1_27merge_sort_block_merge_implIS3_N6thrust23THRUST_200600_302600_NS6detail15normal_iteratorINS9_10device_ptrItEEEEPS5_jNS1_19radix_merge_compareILb0ELb1EtNS0_19identity_decomposerEEEEE10hipError_tT0_T1_T2_jT3_P12ihipStream_tbPNSt15iterator_traitsISK_E10value_typeEPNSQ_ISL_E10value_typeEPSM_NS1_7vsmem_tEENKUlT_SK_SL_SM_E_clISE_PtSF_SF_EESJ_SZ_SK_SL_SM_EUlSZ_E_NS1_11comp_targetILNS1_3genE0ELNS1_11target_archE4294967295ELNS1_3gpuE0ELNS1_3repE0EEENS1_48merge_mergepath_partition_config_static_selectorELNS0_4arch9wavefront6targetE1EEEvSL_
                                        ; -- End function
	.section	.AMDGPU.csdata,"",@progbits
; Kernel info:
; codeLenInByte = 0
; NumSgprs: 6
; NumVgprs: 0
; NumAgprs: 0
; TotalNumVgprs: 0
; ScratchSize: 0
; MemoryBound: 0
; FloatMode: 240
; IeeeMode: 1
; LDSByteSize: 0 bytes/workgroup (compile time only)
; SGPRBlocks: 0
; VGPRBlocks: 0
; NumSGPRsForWavesPerEU: 6
; NumVGPRsForWavesPerEU: 1
; AccumOffset: 4
; Occupancy: 8
; WaveLimiterHint : 0
; COMPUTE_PGM_RSRC2:SCRATCH_EN: 0
; COMPUTE_PGM_RSRC2:USER_SGPR: 2
; COMPUTE_PGM_RSRC2:TRAP_HANDLER: 0
; COMPUTE_PGM_RSRC2:TGID_X_EN: 1
; COMPUTE_PGM_RSRC2:TGID_Y_EN: 0
; COMPUTE_PGM_RSRC2:TGID_Z_EN: 0
; COMPUTE_PGM_RSRC2:TIDIG_COMP_CNT: 0
; COMPUTE_PGM_RSRC3_GFX90A:ACCUM_OFFSET: 0
; COMPUTE_PGM_RSRC3_GFX90A:TG_SPLIT: 0
	.section	.text._ZN7rocprim17ROCPRIM_400000_NS6detail17trampoline_kernelINS0_14default_configENS1_38merge_sort_block_merge_config_selectorItNS0_10empty_typeEEEZZNS1_27merge_sort_block_merge_implIS3_N6thrust23THRUST_200600_302600_NS6detail15normal_iteratorINS9_10device_ptrItEEEEPS5_jNS1_19radix_merge_compareILb0ELb1EtNS0_19identity_decomposerEEEEE10hipError_tT0_T1_T2_jT3_P12ihipStream_tbPNSt15iterator_traitsISK_E10value_typeEPNSQ_ISL_E10value_typeEPSM_NS1_7vsmem_tEENKUlT_SK_SL_SM_E_clISE_PtSF_SF_EESJ_SZ_SK_SL_SM_EUlSZ_E_NS1_11comp_targetILNS1_3genE10ELNS1_11target_archE1201ELNS1_3gpuE5ELNS1_3repE0EEENS1_48merge_mergepath_partition_config_static_selectorELNS0_4arch9wavefront6targetE1EEEvSL_,"axG",@progbits,_ZN7rocprim17ROCPRIM_400000_NS6detail17trampoline_kernelINS0_14default_configENS1_38merge_sort_block_merge_config_selectorItNS0_10empty_typeEEEZZNS1_27merge_sort_block_merge_implIS3_N6thrust23THRUST_200600_302600_NS6detail15normal_iteratorINS9_10device_ptrItEEEEPS5_jNS1_19radix_merge_compareILb0ELb1EtNS0_19identity_decomposerEEEEE10hipError_tT0_T1_T2_jT3_P12ihipStream_tbPNSt15iterator_traitsISK_E10value_typeEPNSQ_ISL_E10value_typeEPSM_NS1_7vsmem_tEENKUlT_SK_SL_SM_E_clISE_PtSF_SF_EESJ_SZ_SK_SL_SM_EUlSZ_E_NS1_11comp_targetILNS1_3genE10ELNS1_11target_archE1201ELNS1_3gpuE5ELNS1_3repE0EEENS1_48merge_mergepath_partition_config_static_selectorELNS0_4arch9wavefront6targetE1EEEvSL_,comdat
	.protected	_ZN7rocprim17ROCPRIM_400000_NS6detail17trampoline_kernelINS0_14default_configENS1_38merge_sort_block_merge_config_selectorItNS0_10empty_typeEEEZZNS1_27merge_sort_block_merge_implIS3_N6thrust23THRUST_200600_302600_NS6detail15normal_iteratorINS9_10device_ptrItEEEEPS5_jNS1_19radix_merge_compareILb0ELb1EtNS0_19identity_decomposerEEEEE10hipError_tT0_T1_T2_jT3_P12ihipStream_tbPNSt15iterator_traitsISK_E10value_typeEPNSQ_ISL_E10value_typeEPSM_NS1_7vsmem_tEENKUlT_SK_SL_SM_E_clISE_PtSF_SF_EESJ_SZ_SK_SL_SM_EUlSZ_E_NS1_11comp_targetILNS1_3genE10ELNS1_11target_archE1201ELNS1_3gpuE5ELNS1_3repE0EEENS1_48merge_mergepath_partition_config_static_selectorELNS0_4arch9wavefront6targetE1EEEvSL_ ; -- Begin function _ZN7rocprim17ROCPRIM_400000_NS6detail17trampoline_kernelINS0_14default_configENS1_38merge_sort_block_merge_config_selectorItNS0_10empty_typeEEEZZNS1_27merge_sort_block_merge_implIS3_N6thrust23THRUST_200600_302600_NS6detail15normal_iteratorINS9_10device_ptrItEEEEPS5_jNS1_19radix_merge_compareILb0ELb1EtNS0_19identity_decomposerEEEEE10hipError_tT0_T1_T2_jT3_P12ihipStream_tbPNSt15iterator_traitsISK_E10value_typeEPNSQ_ISL_E10value_typeEPSM_NS1_7vsmem_tEENKUlT_SK_SL_SM_E_clISE_PtSF_SF_EESJ_SZ_SK_SL_SM_EUlSZ_E_NS1_11comp_targetILNS1_3genE10ELNS1_11target_archE1201ELNS1_3gpuE5ELNS1_3repE0EEENS1_48merge_mergepath_partition_config_static_selectorELNS0_4arch9wavefront6targetE1EEEvSL_
	.globl	_ZN7rocprim17ROCPRIM_400000_NS6detail17trampoline_kernelINS0_14default_configENS1_38merge_sort_block_merge_config_selectorItNS0_10empty_typeEEEZZNS1_27merge_sort_block_merge_implIS3_N6thrust23THRUST_200600_302600_NS6detail15normal_iteratorINS9_10device_ptrItEEEEPS5_jNS1_19radix_merge_compareILb0ELb1EtNS0_19identity_decomposerEEEEE10hipError_tT0_T1_T2_jT3_P12ihipStream_tbPNSt15iterator_traitsISK_E10value_typeEPNSQ_ISL_E10value_typeEPSM_NS1_7vsmem_tEENKUlT_SK_SL_SM_E_clISE_PtSF_SF_EESJ_SZ_SK_SL_SM_EUlSZ_E_NS1_11comp_targetILNS1_3genE10ELNS1_11target_archE1201ELNS1_3gpuE5ELNS1_3repE0EEENS1_48merge_mergepath_partition_config_static_selectorELNS0_4arch9wavefront6targetE1EEEvSL_
	.p2align	8
	.type	_ZN7rocprim17ROCPRIM_400000_NS6detail17trampoline_kernelINS0_14default_configENS1_38merge_sort_block_merge_config_selectorItNS0_10empty_typeEEEZZNS1_27merge_sort_block_merge_implIS3_N6thrust23THRUST_200600_302600_NS6detail15normal_iteratorINS9_10device_ptrItEEEEPS5_jNS1_19radix_merge_compareILb0ELb1EtNS0_19identity_decomposerEEEEE10hipError_tT0_T1_T2_jT3_P12ihipStream_tbPNSt15iterator_traitsISK_E10value_typeEPNSQ_ISL_E10value_typeEPSM_NS1_7vsmem_tEENKUlT_SK_SL_SM_E_clISE_PtSF_SF_EESJ_SZ_SK_SL_SM_EUlSZ_E_NS1_11comp_targetILNS1_3genE10ELNS1_11target_archE1201ELNS1_3gpuE5ELNS1_3repE0EEENS1_48merge_mergepath_partition_config_static_selectorELNS0_4arch9wavefront6targetE1EEEvSL_,@function
_ZN7rocprim17ROCPRIM_400000_NS6detail17trampoline_kernelINS0_14default_configENS1_38merge_sort_block_merge_config_selectorItNS0_10empty_typeEEEZZNS1_27merge_sort_block_merge_implIS3_N6thrust23THRUST_200600_302600_NS6detail15normal_iteratorINS9_10device_ptrItEEEEPS5_jNS1_19radix_merge_compareILb0ELb1EtNS0_19identity_decomposerEEEEE10hipError_tT0_T1_T2_jT3_P12ihipStream_tbPNSt15iterator_traitsISK_E10value_typeEPNSQ_ISL_E10value_typeEPSM_NS1_7vsmem_tEENKUlT_SK_SL_SM_E_clISE_PtSF_SF_EESJ_SZ_SK_SL_SM_EUlSZ_E_NS1_11comp_targetILNS1_3genE10ELNS1_11target_archE1201ELNS1_3gpuE5ELNS1_3repE0EEENS1_48merge_mergepath_partition_config_static_selectorELNS0_4arch9wavefront6targetE1EEEvSL_: ; @_ZN7rocprim17ROCPRIM_400000_NS6detail17trampoline_kernelINS0_14default_configENS1_38merge_sort_block_merge_config_selectorItNS0_10empty_typeEEEZZNS1_27merge_sort_block_merge_implIS3_N6thrust23THRUST_200600_302600_NS6detail15normal_iteratorINS9_10device_ptrItEEEEPS5_jNS1_19radix_merge_compareILb0ELb1EtNS0_19identity_decomposerEEEEE10hipError_tT0_T1_T2_jT3_P12ihipStream_tbPNSt15iterator_traitsISK_E10value_typeEPNSQ_ISL_E10value_typeEPSM_NS1_7vsmem_tEENKUlT_SK_SL_SM_E_clISE_PtSF_SF_EESJ_SZ_SK_SL_SM_EUlSZ_E_NS1_11comp_targetILNS1_3genE10ELNS1_11target_archE1201ELNS1_3gpuE5ELNS1_3repE0EEENS1_48merge_mergepath_partition_config_static_selectorELNS0_4arch9wavefront6targetE1EEEvSL_
; %bb.0:
	.section	.rodata,"a",@progbits
	.p2align	6, 0x0
	.amdhsa_kernel _ZN7rocprim17ROCPRIM_400000_NS6detail17trampoline_kernelINS0_14default_configENS1_38merge_sort_block_merge_config_selectorItNS0_10empty_typeEEEZZNS1_27merge_sort_block_merge_implIS3_N6thrust23THRUST_200600_302600_NS6detail15normal_iteratorINS9_10device_ptrItEEEEPS5_jNS1_19radix_merge_compareILb0ELb1EtNS0_19identity_decomposerEEEEE10hipError_tT0_T1_T2_jT3_P12ihipStream_tbPNSt15iterator_traitsISK_E10value_typeEPNSQ_ISL_E10value_typeEPSM_NS1_7vsmem_tEENKUlT_SK_SL_SM_E_clISE_PtSF_SF_EESJ_SZ_SK_SL_SM_EUlSZ_E_NS1_11comp_targetILNS1_3genE10ELNS1_11target_archE1201ELNS1_3gpuE5ELNS1_3repE0EEENS1_48merge_mergepath_partition_config_static_selectorELNS0_4arch9wavefront6targetE1EEEvSL_
		.amdhsa_group_segment_fixed_size 0
		.amdhsa_private_segment_fixed_size 0
		.amdhsa_kernarg_size 40
		.amdhsa_user_sgpr_count 2
		.amdhsa_user_sgpr_dispatch_ptr 0
		.amdhsa_user_sgpr_queue_ptr 0
		.amdhsa_user_sgpr_kernarg_segment_ptr 1
		.amdhsa_user_sgpr_dispatch_id 0
		.amdhsa_user_sgpr_kernarg_preload_length 0
		.amdhsa_user_sgpr_kernarg_preload_offset 0
		.amdhsa_user_sgpr_private_segment_size 0
		.amdhsa_uses_dynamic_stack 0
		.amdhsa_enable_private_segment 0
		.amdhsa_system_sgpr_workgroup_id_x 1
		.amdhsa_system_sgpr_workgroup_id_y 0
		.amdhsa_system_sgpr_workgroup_id_z 0
		.amdhsa_system_sgpr_workgroup_info 0
		.amdhsa_system_vgpr_workitem_id 0
		.amdhsa_next_free_vgpr 1
		.amdhsa_next_free_sgpr 0
		.amdhsa_accum_offset 4
		.amdhsa_reserve_vcc 0
		.amdhsa_float_round_mode_32 0
		.amdhsa_float_round_mode_16_64 0
		.amdhsa_float_denorm_mode_32 3
		.amdhsa_float_denorm_mode_16_64 3
		.amdhsa_dx10_clamp 1
		.amdhsa_ieee_mode 1
		.amdhsa_fp16_overflow 0
		.amdhsa_tg_split 0
		.amdhsa_exception_fp_ieee_invalid_op 0
		.amdhsa_exception_fp_denorm_src 0
		.amdhsa_exception_fp_ieee_div_zero 0
		.amdhsa_exception_fp_ieee_overflow 0
		.amdhsa_exception_fp_ieee_underflow 0
		.amdhsa_exception_fp_ieee_inexact 0
		.amdhsa_exception_int_div_zero 0
	.end_amdhsa_kernel
	.section	.text._ZN7rocprim17ROCPRIM_400000_NS6detail17trampoline_kernelINS0_14default_configENS1_38merge_sort_block_merge_config_selectorItNS0_10empty_typeEEEZZNS1_27merge_sort_block_merge_implIS3_N6thrust23THRUST_200600_302600_NS6detail15normal_iteratorINS9_10device_ptrItEEEEPS5_jNS1_19radix_merge_compareILb0ELb1EtNS0_19identity_decomposerEEEEE10hipError_tT0_T1_T2_jT3_P12ihipStream_tbPNSt15iterator_traitsISK_E10value_typeEPNSQ_ISL_E10value_typeEPSM_NS1_7vsmem_tEENKUlT_SK_SL_SM_E_clISE_PtSF_SF_EESJ_SZ_SK_SL_SM_EUlSZ_E_NS1_11comp_targetILNS1_3genE10ELNS1_11target_archE1201ELNS1_3gpuE5ELNS1_3repE0EEENS1_48merge_mergepath_partition_config_static_selectorELNS0_4arch9wavefront6targetE1EEEvSL_,"axG",@progbits,_ZN7rocprim17ROCPRIM_400000_NS6detail17trampoline_kernelINS0_14default_configENS1_38merge_sort_block_merge_config_selectorItNS0_10empty_typeEEEZZNS1_27merge_sort_block_merge_implIS3_N6thrust23THRUST_200600_302600_NS6detail15normal_iteratorINS9_10device_ptrItEEEEPS5_jNS1_19radix_merge_compareILb0ELb1EtNS0_19identity_decomposerEEEEE10hipError_tT0_T1_T2_jT3_P12ihipStream_tbPNSt15iterator_traitsISK_E10value_typeEPNSQ_ISL_E10value_typeEPSM_NS1_7vsmem_tEENKUlT_SK_SL_SM_E_clISE_PtSF_SF_EESJ_SZ_SK_SL_SM_EUlSZ_E_NS1_11comp_targetILNS1_3genE10ELNS1_11target_archE1201ELNS1_3gpuE5ELNS1_3repE0EEENS1_48merge_mergepath_partition_config_static_selectorELNS0_4arch9wavefront6targetE1EEEvSL_,comdat
.Lfunc_end1288:
	.size	_ZN7rocprim17ROCPRIM_400000_NS6detail17trampoline_kernelINS0_14default_configENS1_38merge_sort_block_merge_config_selectorItNS0_10empty_typeEEEZZNS1_27merge_sort_block_merge_implIS3_N6thrust23THRUST_200600_302600_NS6detail15normal_iteratorINS9_10device_ptrItEEEEPS5_jNS1_19radix_merge_compareILb0ELb1EtNS0_19identity_decomposerEEEEE10hipError_tT0_T1_T2_jT3_P12ihipStream_tbPNSt15iterator_traitsISK_E10value_typeEPNSQ_ISL_E10value_typeEPSM_NS1_7vsmem_tEENKUlT_SK_SL_SM_E_clISE_PtSF_SF_EESJ_SZ_SK_SL_SM_EUlSZ_E_NS1_11comp_targetILNS1_3genE10ELNS1_11target_archE1201ELNS1_3gpuE5ELNS1_3repE0EEENS1_48merge_mergepath_partition_config_static_selectorELNS0_4arch9wavefront6targetE1EEEvSL_, .Lfunc_end1288-_ZN7rocprim17ROCPRIM_400000_NS6detail17trampoline_kernelINS0_14default_configENS1_38merge_sort_block_merge_config_selectorItNS0_10empty_typeEEEZZNS1_27merge_sort_block_merge_implIS3_N6thrust23THRUST_200600_302600_NS6detail15normal_iteratorINS9_10device_ptrItEEEEPS5_jNS1_19radix_merge_compareILb0ELb1EtNS0_19identity_decomposerEEEEE10hipError_tT0_T1_T2_jT3_P12ihipStream_tbPNSt15iterator_traitsISK_E10value_typeEPNSQ_ISL_E10value_typeEPSM_NS1_7vsmem_tEENKUlT_SK_SL_SM_E_clISE_PtSF_SF_EESJ_SZ_SK_SL_SM_EUlSZ_E_NS1_11comp_targetILNS1_3genE10ELNS1_11target_archE1201ELNS1_3gpuE5ELNS1_3repE0EEENS1_48merge_mergepath_partition_config_static_selectorELNS0_4arch9wavefront6targetE1EEEvSL_
                                        ; -- End function
	.section	.AMDGPU.csdata,"",@progbits
; Kernel info:
; codeLenInByte = 0
; NumSgprs: 6
; NumVgprs: 0
; NumAgprs: 0
; TotalNumVgprs: 0
; ScratchSize: 0
; MemoryBound: 0
; FloatMode: 240
; IeeeMode: 1
; LDSByteSize: 0 bytes/workgroup (compile time only)
; SGPRBlocks: 0
; VGPRBlocks: 0
; NumSGPRsForWavesPerEU: 6
; NumVGPRsForWavesPerEU: 1
; AccumOffset: 4
; Occupancy: 8
; WaveLimiterHint : 0
; COMPUTE_PGM_RSRC2:SCRATCH_EN: 0
; COMPUTE_PGM_RSRC2:USER_SGPR: 2
; COMPUTE_PGM_RSRC2:TRAP_HANDLER: 0
; COMPUTE_PGM_RSRC2:TGID_X_EN: 1
; COMPUTE_PGM_RSRC2:TGID_Y_EN: 0
; COMPUTE_PGM_RSRC2:TGID_Z_EN: 0
; COMPUTE_PGM_RSRC2:TIDIG_COMP_CNT: 0
; COMPUTE_PGM_RSRC3_GFX90A:ACCUM_OFFSET: 0
; COMPUTE_PGM_RSRC3_GFX90A:TG_SPLIT: 0
	.section	.text._ZN7rocprim17ROCPRIM_400000_NS6detail17trampoline_kernelINS0_14default_configENS1_38merge_sort_block_merge_config_selectorItNS0_10empty_typeEEEZZNS1_27merge_sort_block_merge_implIS3_N6thrust23THRUST_200600_302600_NS6detail15normal_iteratorINS9_10device_ptrItEEEEPS5_jNS1_19radix_merge_compareILb0ELb1EtNS0_19identity_decomposerEEEEE10hipError_tT0_T1_T2_jT3_P12ihipStream_tbPNSt15iterator_traitsISK_E10value_typeEPNSQ_ISL_E10value_typeEPSM_NS1_7vsmem_tEENKUlT_SK_SL_SM_E_clISE_PtSF_SF_EESJ_SZ_SK_SL_SM_EUlSZ_E_NS1_11comp_targetILNS1_3genE5ELNS1_11target_archE942ELNS1_3gpuE9ELNS1_3repE0EEENS1_48merge_mergepath_partition_config_static_selectorELNS0_4arch9wavefront6targetE1EEEvSL_,"axG",@progbits,_ZN7rocprim17ROCPRIM_400000_NS6detail17trampoline_kernelINS0_14default_configENS1_38merge_sort_block_merge_config_selectorItNS0_10empty_typeEEEZZNS1_27merge_sort_block_merge_implIS3_N6thrust23THRUST_200600_302600_NS6detail15normal_iteratorINS9_10device_ptrItEEEEPS5_jNS1_19radix_merge_compareILb0ELb1EtNS0_19identity_decomposerEEEEE10hipError_tT0_T1_T2_jT3_P12ihipStream_tbPNSt15iterator_traitsISK_E10value_typeEPNSQ_ISL_E10value_typeEPSM_NS1_7vsmem_tEENKUlT_SK_SL_SM_E_clISE_PtSF_SF_EESJ_SZ_SK_SL_SM_EUlSZ_E_NS1_11comp_targetILNS1_3genE5ELNS1_11target_archE942ELNS1_3gpuE9ELNS1_3repE0EEENS1_48merge_mergepath_partition_config_static_selectorELNS0_4arch9wavefront6targetE1EEEvSL_,comdat
	.protected	_ZN7rocprim17ROCPRIM_400000_NS6detail17trampoline_kernelINS0_14default_configENS1_38merge_sort_block_merge_config_selectorItNS0_10empty_typeEEEZZNS1_27merge_sort_block_merge_implIS3_N6thrust23THRUST_200600_302600_NS6detail15normal_iteratorINS9_10device_ptrItEEEEPS5_jNS1_19radix_merge_compareILb0ELb1EtNS0_19identity_decomposerEEEEE10hipError_tT0_T1_T2_jT3_P12ihipStream_tbPNSt15iterator_traitsISK_E10value_typeEPNSQ_ISL_E10value_typeEPSM_NS1_7vsmem_tEENKUlT_SK_SL_SM_E_clISE_PtSF_SF_EESJ_SZ_SK_SL_SM_EUlSZ_E_NS1_11comp_targetILNS1_3genE5ELNS1_11target_archE942ELNS1_3gpuE9ELNS1_3repE0EEENS1_48merge_mergepath_partition_config_static_selectorELNS0_4arch9wavefront6targetE1EEEvSL_ ; -- Begin function _ZN7rocprim17ROCPRIM_400000_NS6detail17trampoline_kernelINS0_14default_configENS1_38merge_sort_block_merge_config_selectorItNS0_10empty_typeEEEZZNS1_27merge_sort_block_merge_implIS3_N6thrust23THRUST_200600_302600_NS6detail15normal_iteratorINS9_10device_ptrItEEEEPS5_jNS1_19radix_merge_compareILb0ELb1EtNS0_19identity_decomposerEEEEE10hipError_tT0_T1_T2_jT3_P12ihipStream_tbPNSt15iterator_traitsISK_E10value_typeEPNSQ_ISL_E10value_typeEPSM_NS1_7vsmem_tEENKUlT_SK_SL_SM_E_clISE_PtSF_SF_EESJ_SZ_SK_SL_SM_EUlSZ_E_NS1_11comp_targetILNS1_3genE5ELNS1_11target_archE942ELNS1_3gpuE9ELNS1_3repE0EEENS1_48merge_mergepath_partition_config_static_selectorELNS0_4arch9wavefront6targetE1EEEvSL_
	.globl	_ZN7rocprim17ROCPRIM_400000_NS6detail17trampoline_kernelINS0_14default_configENS1_38merge_sort_block_merge_config_selectorItNS0_10empty_typeEEEZZNS1_27merge_sort_block_merge_implIS3_N6thrust23THRUST_200600_302600_NS6detail15normal_iteratorINS9_10device_ptrItEEEEPS5_jNS1_19radix_merge_compareILb0ELb1EtNS0_19identity_decomposerEEEEE10hipError_tT0_T1_T2_jT3_P12ihipStream_tbPNSt15iterator_traitsISK_E10value_typeEPNSQ_ISL_E10value_typeEPSM_NS1_7vsmem_tEENKUlT_SK_SL_SM_E_clISE_PtSF_SF_EESJ_SZ_SK_SL_SM_EUlSZ_E_NS1_11comp_targetILNS1_3genE5ELNS1_11target_archE942ELNS1_3gpuE9ELNS1_3repE0EEENS1_48merge_mergepath_partition_config_static_selectorELNS0_4arch9wavefront6targetE1EEEvSL_
	.p2align	8
	.type	_ZN7rocprim17ROCPRIM_400000_NS6detail17trampoline_kernelINS0_14default_configENS1_38merge_sort_block_merge_config_selectorItNS0_10empty_typeEEEZZNS1_27merge_sort_block_merge_implIS3_N6thrust23THRUST_200600_302600_NS6detail15normal_iteratorINS9_10device_ptrItEEEEPS5_jNS1_19radix_merge_compareILb0ELb1EtNS0_19identity_decomposerEEEEE10hipError_tT0_T1_T2_jT3_P12ihipStream_tbPNSt15iterator_traitsISK_E10value_typeEPNSQ_ISL_E10value_typeEPSM_NS1_7vsmem_tEENKUlT_SK_SL_SM_E_clISE_PtSF_SF_EESJ_SZ_SK_SL_SM_EUlSZ_E_NS1_11comp_targetILNS1_3genE5ELNS1_11target_archE942ELNS1_3gpuE9ELNS1_3repE0EEENS1_48merge_mergepath_partition_config_static_selectorELNS0_4arch9wavefront6targetE1EEEvSL_,@function
_ZN7rocprim17ROCPRIM_400000_NS6detail17trampoline_kernelINS0_14default_configENS1_38merge_sort_block_merge_config_selectorItNS0_10empty_typeEEEZZNS1_27merge_sort_block_merge_implIS3_N6thrust23THRUST_200600_302600_NS6detail15normal_iteratorINS9_10device_ptrItEEEEPS5_jNS1_19radix_merge_compareILb0ELb1EtNS0_19identity_decomposerEEEEE10hipError_tT0_T1_T2_jT3_P12ihipStream_tbPNSt15iterator_traitsISK_E10value_typeEPNSQ_ISL_E10value_typeEPSM_NS1_7vsmem_tEENKUlT_SK_SL_SM_E_clISE_PtSF_SF_EESJ_SZ_SK_SL_SM_EUlSZ_E_NS1_11comp_targetILNS1_3genE5ELNS1_11target_archE942ELNS1_3gpuE9ELNS1_3repE0EEENS1_48merge_mergepath_partition_config_static_selectorELNS0_4arch9wavefront6targetE1EEEvSL_: ; @_ZN7rocprim17ROCPRIM_400000_NS6detail17trampoline_kernelINS0_14default_configENS1_38merge_sort_block_merge_config_selectorItNS0_10empty_typeEEEZZNS1_27merge_sort_block_merge_implIS3_N6thrust23THRUST_200600_302600_NS6detail15normal_iteratorINS9_10device_ptrItEEEEPS5_jNS1_19radix_merge_compareILb0ELb1EtNS0_19identity_decomposerEEEEE10hipError_tT0_T1_T2_jT3_P12ihipStream_tbPNSt15iterator_traitsISK_E10value_typeEPNSQ_ISL_E10value_typeEPSM_NS1_7vsmem_tEENKUlT_SK_SL_SM_E_clISE_PtSF_SF_EESJ_SZ_SK_SL_SM_EUlSZ_E_NS1_11comp_targetILNS1_3genE5ELNS1_11target_archE942ELNS1_3gpuE9ELNS1_3repE0EEENS1_48merge_mergepath_partition_config_static_selectorELNS0_4arch9wavefront6targetE1EEEvSL_
; %bb.0:
	s_load_dword s3, s[0:1], 0x0
	v_lshl_or_b32 v0, s2, 7, v0
	s_waitcnt lgkmcnt(0)
	v_cmp_gt_u32_e32 vcc, s3, v0
	s_and_saveexec_b64 s[2:3], vcc
	s_cbranch_execz .LBB1289_6
; %bb.1:
	s_load_dwordx2 s[4:5], s[0:1], 0x4
	s_load_dwordx2 s[2:3], s[0:1], 0x20
	s_waitcnt lgkmcnt(0)
	s_lshr_b32 s6, s4, 9
	s_and_b32 s6, s6, 0x7ffffe
	s_add_i32 s7, s6, -1
	s_sub_i32 s6, 0, s6
	v_and_b32_e32 v1, s6, v0
	v_lshlrev_b32_e32 v1, 10, v1
	v_min_u32_e32 v2, s5, v1
	v_add_u32_e32 v1, s4, v1
	v_min_u32_e32 v4, s5, v1
	v_add_u32_e32 v1, s4, v4
	v_and_b32_e32 v3, s7, v0
	v_min_u32_e32 v1, s5, v1
	v_sub_u32_e32 v5, v1, v2
	v_lshlrev_b32_e32 v3, 10, v3
	v_min_u32_e32 v10, v5, v3
	v_sub_u32_e32 v3, v4, v2
	v_sub_u32_e32 v1, v1, v4
	v_sub_u32_e64 v1, v10, v1 clamp
	v_min_u32_e32 v11, v10, v3
	v_cmp_lt_u32_e32 vcc, v1, v11
	s_and_saveexec_b64 s[4:5], vcc
	s_cbranch_execz .LBB1289_5
; %bb.2:
	s_load_dwordx2 s[8:9], s[0:1], 0x10
	s_load_dword s6, s[0:1], 0x18
	v_mov_b32_e32 v5, 0
	v_mov_b32_e32 v3, v5
	s_mov_b64 s[0:1], 0
	s_waitcnt lgkmcnt(0)
	v_lshl_add_u64 v[6:7], v[2:3], 1, s[8:9]
	v_lshl_add_u64 v[8:9], v[4:5], 1, s[8:9]
.LBB1289_3:                             ; =>This Inner Loop Header: Depth=1
	v_add_u32_e32 v3, v11, v1
	v_lshrrev_b32_e32 v16, 1, v3
	v_and_b32_e32 v4, -2, v3
	v_mov_b32_e32 v13, v5
	v_xad_u32 v12, v16, -1, v10
	v_lshl_add_u64 v[14:15], v[6:7], 0, v[4:5]
	v_lshl_add_u64 v[12:13], v[12:13], 1, v[8:9]
	flat_load_ushort v3, v[14:15]
	flat_load_ushort v4, v[12:13]
	v_add_u32_e32 v12, 1, v16
	s_waitcnt vmcnt(0) lgkmcnt(0)
	v_and_b32_e32 v3, s6, v3
	v_and_b32_e32 v4, s6, v4
	v_cmp_gt_u16_e32 vcc, v3, v4
	s_nop 1
	v_cndmask_b32_e32 v11, v11, v16, vcc
	v_cndmask_b32_e32 v1, v12, v1, vcc
	v_cmp_ge_u32_e32 vcc, v1, v11
	s_or_b64 s[0:1], vcc, s[0:1]
	s_andn2_b64 exec, exec, s[0:1]
	s_cbranch_execnz .LBB1289_3
; %bb.4:
	s_or_b64 exec, exec, s[0:1]
.LBB1289_5:
	s_or_b64 exec, exec, s[4:5]
	v_add_u32_e32 v2, v1, v2
	v_mov_b32_e32 v1, 0
	v_lshl_add_u64 v[0:1], v[0:1], 2, s[2:3]
	global_store_dword v[0:1], v2, off
.LBB1289_6:
	s_endpgm
	.section	.rodata,"a",@progbits
	.p2align	6, 0x0
	.amdhsa_kernel _ZN7rocprim17ROCPRIM_400000_NS6detail17trampoline_kernelINS0_14default_configENS1_38merge_sort_block_merge_config_selectorItNS0_10empty_typeEEEZZNS1_27merge_sort_block_merge_implIS3_N6thrust23THRUST_200600_302600_NS6detail15normal_iteratorINS9_10device_ptrItEEEEPS5_jNS1_19radix_merge_compareILb0ELb1EtNS0_19identity_decomposerEEEEE10hipError_tT0_T1_T2_jT3_P12ihipStream_tbPNSt15iterator_traitsISK_E10value_typeEPNSQ_ISL_E10value_typeEPSM_NS1_7vsmem_tEENKUlT_SK_SL_SM_E_clISE_PtSF_SF_EESJ_SZ_SK_SL_SM_EUlSZ_E_NS1_11comp_targetILNS1_3genE5ELNS1_11target_archE942ELNS1_3gpuE9ELNS1_3repE0EEENS1_48merge_mergepath_partition_config_static_selectorELNS0_4arch9wavefront6targetE1EEEvSL_
		.amdhsa_group_segment_fixed_size 0
		.amdhsa_private_segment_fixed_size 0
		.amdhsa_kernarg_size 40
		.amdhsa_user_sgpr_count 2
		.amdhsa_user_sgpr_dispatch_ptr 0
		.amdhsa_user_sgpr_queue_ptr 0
		.amdhsa_user_sgpr_kernarg_segment_ptr 1
		.amdhsa_user_sgpr_dispatch_id 0
		.amdhsa_user_sgpr_kernarg_preload_length 0
		.amdhsa_user_sgpr_kernarg_preload_offset 0
		.amdhsa_user_sgpr_private_segment_size 0
		.amdhsa_uses_dynamic_stack 0
		.amdhsa_enable_private_segment 0
		.amdhsa_system_sgpr_workgroup_id_x 1
		.amdhsa_system_sgpr_workgroup_id_y 0
		.amdhsa_system_sgpr_workgroup_id_z 0
		.amdhsa_system_sgpr_workgroup_info 0
		.amdhsa_system_vgpr_workitem_id 0
		.amdhsa_next_free_vgpr 17
		.amdhsa_next_free_sgpr 10
		.amdhsa_accum_offset 20
		.amdhsa_reserve_vcc 1
		.amdhsa_float_round_mode_32 0
		.amdhsa_float_round_mode_16_64 0
		.amdhsa_float_denorm_mode_32 3
		.amdhsa_float_denorm_mode_16_64 3
		.amdhsa_dx10_clamp 1
		.amdhsa_ieee_mode 1
		.amdhsa_fp16_overflow 0
		.amdhsa_tg_split 0
		.amdhsa_exception_fp_ieee_invalid_op 0
		.amdhsa_exception_fp_denorm_src 0
		.amdhsa_exception_fp_ieee_div_zero 0
		.amdhsa_exception_fp_ieee_overflow 0
		.amdhsa_exception_fp_ieee_underflow 0
		.amdhsa_exception_fp_ieee_inexact 0
		.amdhsa_exception_int_div_zero 0
	.end_amdhsa_kernel
	.section	.text._ZN7rocprim17ROCPRIM_400000_NS6detail17trampoline_kernelINS0_14default_configENS1_38merge_sort_block_merge_config_selectorItNS0_10empty_typeEEEZZNS1_27merge_sort_block_merge_implIS3_N6thrust23THRUST_200600_302600_NS6detail15normal_iteratorINS9_10device_ptrItEEEEPS5_jNS1_19radix_merge_compareILb0ELb1EtNS0_19identity_decomposerEEEEE10hipError_tT0_T1_T2_jT3_P12ihipStream_tbPNSt15iterator_traitsISK_E10value_typeEPNSQ_ISL_E10value_typeEPSM_NS1_7vsmem_tEENKUlT_SK_SL_SM_E_clISE_PtSF_SF_EESJ_SZ_SK_SL_SM_EUlSZ_E_NS1_11comp_targetILNS1_3genE5ELNS1_11target_archE942ELNS1_3gpuE9ELNS1_3repE0EEENS1_48merge_mergepath_partition_config_static_selectorELNS0_4arch9wavefront6targetE1EEEvSL_,"axG",@progbits,_ZN7rocprim17ROCPRIM_400000_NS6detail17trampoline_kernelINS0_14default_configENS1_38merge_sort_block_merge_config_selectorItNS0_10empty_typeEEEZZNS1_27merge_sort_block_merge_implIS3_N6thrust23THRUST_200600_302600_NS6detail15normal_iteratorINS9_10device_ptrItEEEEPS5_jNS1_19radix_merge_compareILb0ELb1EtNS0_19identity_decomposerEEEEE10hipError_tT0_T1_T2_jT3_P12ihipStream_tbPNSt15iterator_traitsISK_E10value_typeEPNSQ_ISL_E10value_typeEPSM_NS1_7vsmem_tEENKUlT_SK_SL_SM_E_clISE_PtSF_SF_EESJ_SZ_SK_SL_SM_EUlSZ_E_NS1_11comp_targetILNS1_3genE5ELNS1_11target_archE942ELNS1_3gpuE9ELNS1_3repE0EEENS1_48merge_mergepath_partition_config_static_selectorELNS0_4arch9wavefront6targetE1EEEvSL_,comdat
.Lfunc_end1289:
	.size	_ZN7rocprim17ROCPRIM_400000_NS6detail17trampoline_kernelINS0_14default_configENS1_38merge_sort_block_merge_config_selectorItNS0_10empty_typeEEEZZNS1_27merge_sort_block_merge_implIS3_N6thrust23THRUST_200600_302600_NS6detail15normal_iteratorINS9_10device_ptrItEEEEPS5_jNS1_19radix_merge_compareILb0ELb1EtNS0_19identity_decomposerEEEEE10hipError_tT0_T1_T2_jT3_P12ihipStream_tbPNSt15iterator_traitsISK_E10value_typeEPNSQ_ISL_E10value_typeEPSM_NS1_7vsmem_tEENKUlT_SK_SL_SM_E_clISE_PtSF_SF_EESJ_SZ_SK_SL_SM_EUlSZ_E_NS1_11comp_targetILNS1_3genE5ELNS1_11target_archE942ELNS1_3gpuE9ELNS1_3repE0EEENS1_48merge_mergepath_partition_config_static_selectorELNS0_4arch9wavefront6targetE1EEEvSL_, .Lfunc_end1289-_ZN7rocprim17ROCPRIM_400000_NS6detail17trampoline_kernelINS0_14default_configENS1_38merge_sort_block_merge_config_selectorItNS0_10empty_typeEEEZZNS1_27merge_sort_block_merge_implIS3_N6thrust23THRUST_200600_302600_NS6detail15normal_iteratorINS9_10device_ptrItEEEEPS5_jNS1_19radix_merge_compareILb0ELb1EtNS0_19identity_decomposerEEEEE10hipError_tT0_T1_T2_jT3_P12ihipStream_tbPNSt15iterator_traitsISK_E10value_typeEPNSQ_ISL_E10value_typeEPSM_NS1_7vsmem_tEENKUlT_SK_SL_SM_E_clISE_PtSF_SF_EESJ_SZ_SK_SL_SM_EUlSZ_E_NS1_11comp_targetILNS1_3genE5ELNS1_11target_archE942ELNS1_3gpuE9ELNS1_3repE0EEENS1_48merge_mergepath_partition_config_static_selectorELNS0_4arch9wavefront6targetE1EEEvSL_
                                        ; -- End function
	.section	.AMDGPU.csdata,"",@progbits
; Kernel info:
; codeLenInByte = 336
; NumSgprs: 16
; NumVgprs: 17
; NumAgprs: 0
; TotalNumVgprs: 17
; ScratchSize: 0
; MemoryBound: 0
; FloatMode: 240
; IeeeMode: 1
; LDSByteSize: 0 bytes/workgroup (compile time only)
; SGPRBlocks: 1
; VGPRBlocks: 2
; NumSGPRsForWavesPerEU: 16
; NumVGPRsForWavesPerEU: 17
; AccumOffset: 20
; Occupancy: 8
; WaveLimiterHint : 0
; COMPUTE_PGM_RSRC2:SCRATCH_EN: 0
; COMPUTE_PGM_RSRC2:USER_SGPR: 2
; COMPUTE_PGM_RSRC2:TRAP_HANDLER: 0
; COMPUTE_PGM_RSRC2:TGID_X_EN: 1
; COMPUTE_PGM_RSRC2:TGID_Y_EN: 0
; COMPUTE_PGM_RSRC2:TGID_Z_EN: 0
; COMPUTE_PGM_RSRC2:TIDIG_COMP_CNT: 0
; COMPUTE_PGM_RSRC3_GFX90A:ACCUM_OFFSET: 4
; COMPUTE_PGM_RSRC3_GFX90A:TG_SPLIT: 0
	.section	.text._ZN7rocprim17ROCPRIM_400000_NS6detail17trampoline_kernelINS0_14default_configENS1_38merge_sort_block_merge_config_selectorItNS0_10empty_typeEEEZZNS1_27merge_sort_block_merge_implIS3_N6thrust23THRUST_200600_302600_NS6detail15normal_iteratorINS9_10device_ptrItEEEEPS5_jNS1_19radix_merge_compareILb0ELb1EtNS0_19identity_decomposerEEEEE10hipError_tT0_T1_T2_jT3_P12ihipStream_tbPNSt15iterator_traitsISK_E10value_typeEPNSQ_ISL_E10value_typeEPSM_NS1_7vsmem_tEENKUlT_SK_SL_SM_E_clISE_PtSF_SF_EESJ_SZ_SK_SL_SM_EUlSZ_E_NS1_11comp_targetILNS1_3genE4ELNS1_11target_archE910ELNS1_3gpuE8ELNS1_3repE0EEENS1_48merge_mergepath_partition_config_static_selectorELNS0_4arch9wavefront6targetE1EEEvSL_,"axG",@progbits,_ZN7rocprim17ROCPRIM_400000_NS6detail17trampoline_kernelINS0_14default_configENS1_38merge_sort_block_merge_config_selectorItNS0_10empty_typeEEEZZNS1_27merge_sort_block_merge_implIS3_N6thrust23THRUST_200600_302600_NS6detail15normal_iteratorINS9_10device_ptrItEEEEPS5_jNS1_19radix_merge_compareILb0ELb1EtNS0_19identity_decomposerEEEEE10hipError_tT0_T1_T2_jT3_P12ihipStream_tbPNSt15iterator_traitsISK_E10value_typeEPNSQ_ISL_E10value_typeEPSM_NS1_7vsmem_tEENKUlT_SK_SL_SM_E_clISE_PtSF_SF_EESJ_SZ_SK_SL_SM_EUlSZ_E_NS1_11comp_targetILNS1_3genE4ELNS1_11target_archE910ELNS1_3gpuE8ELNS1_3repE0EEENS1_48merge_mergepath_partition_config_static_selectorELNS0_4arch9wavefront6targetE1EEEvSL_,comdat
	.protected	_ZN7rocprim17ROCPRIM_400000_NS6detail17trampoline_kernelINS0_14default_configENS1_38merge_sort_block_merge_config_selectorItNS0_10empty_typeEEEZZNS1_27merge_sort_block_merge_implIS3_N6thrust23THRUST_200600_302600_NS6detail15normal_iteratorINS9_10device_ptrItEEEEPS5_jNS1_19radix_merge_compareILb0ELb1EtNS0_19identity_decomposerEEEEE10hipError_tT0_T1_T2_jT3_P12ihipStream_tbPNSt15iterator_traitsISK_E10value_typeEPNSQ_ISL_E10value_typeEPSM_NS1_7vsmem_tEENKUlT_SK_SL_SM_E_clISE_PtSF_SF_EESJ_SZ_SK_SL_SM_EUlSZ_E_NS1_11comp_targetILNS1_3genE4ELNS1_11target_archE910ELNS1_3gpuE8ELNS1_3repE0EEENS1_48merge_mergepath_partition_config_static_selectorELNS0_4arch9wavefront6targetE1EEEvSL_ ; -- Begin function _ZN7rocprim17ROCPRIM_400000_NS6detail17trampoline_kernelINS0_14default_configENS1_38merge_sort_block_merge_config_selectorItNS0_10empty_typeEEEZZNS1_27merge_sort_block_merge_implIS3_N6thrust23THRUST_200600_302600_NS6detail15normal_iteratorINS9_10device_ptrItEEEEPS5_jNS1_19radix_merge_compareILb0ELb1EtNS0_19identity_decomposerEEEEE10hipError_tT0_T1_T2_jT3_P12ihipStream_tbPNSt15iterator_traitsISK_E10value_typeEPNSQ_ISL_E10value_typeEPSM_NS1_7vsmem_tEENKUlT_SK_SL_SM_E_clISE_PtSF_SF_EESJ_SZ_SK_SL_SM_EUlSZ_E_NS1_11comp_targetILNS1_3genE4ELNS1_11target_archE910ELNS1_3gpuE8ELNS1_3repE0EEENS1_48merge_mergepath_partition_config_static_selectorELNS0_4arch9wavefront6targetE1EEEvSL_
	.globl	_ZN7rocprim17ROCPRIM_400000_NS6detail17trampoline_kernelINS0_14default_configENS1_38merge_sort_block_merge_config_selectorItNS0_10empty_typeEEEZZNS1_27merge_sort_block_merge_implIS3_N6thrust23THRUST_200600_302600_NS6detail15normal_iteratorINS9_10device_ptrItEEEEPS5_jNS1_19radix_merge_compareILb0ELb1EtNS0_19identity_decomposerEEEEE10hipError_tT0_T1_T2_jT3_P12ihipStream_tbPNSt15iterator_traitsISK_E10value_typeEPNSQ_ISL_E10value_typeEPSM_NS1_7vsmem_tEENKUlT_SK_SL_SM_E_clISE_PtSF_SF_EESJ_SZ_SK_SL_SM_EUlSZ_E_NS1_11comp_targetILNS1_3genE4ELNS1_11target_archE910ELNS1_3gpuE8ELNS1_3repE0EEENS1_48merge_mergepath_partition_config_static_selectorELNS0_4arch9wavefront6targetE1EEEvSL_
	.p2align	8
	.type	_ZN7rocprim17ROCPRIM_400000_NS6detail17trampoline_kernelINS0_14default_configENS1_38merge_sort_block_merge_config_selectorItNS0_10empty_typeEEEZZNS1_27merge_sort_block_merge_implIS3_N6thrust23THRUST_200600_302600_NS6detail15normal_iteratorINS9_10device_ptrItEEEEPS5_jNS1_19radix_merge_compareILb0ELb1EtNS0_19identity_decomposerEEEEE10hipError_tT0_T1_T2_jT3_P12ihipStream_tbPNSt15iterator_traitsISK_E10value_typeEPNSQ_ISL_E10value_typeEPSM_NS1_7vsmem_tEENKUlT_SK_SL_SM_E_clISE_PtSF_SF_EESJ_SZ_SK_SL_SM_EUlSZ_E_NS1_11comp_targetILNS1_3genE4ELNS1_11target_archE910ELNS1_3gpuE8ELNS1_3repE0EEENS1_48merge_mergepath_partition_config_static_selectorELNS0_4arch9wavefront6targetE1EEEvSL_,@function
_ZN7rocprim17ROCPRIM_400000_NS6detail17trampoline_kernelINS0_14default_configENS1_38merge_sort_block_merge_config_selectorItNS0_10empty_typeEEEZZNS1_27merge_sort_block_merge_implIS3_N6thrust23THRUST_200600_302600_NS6detail15normal_iteratorINS9_10device_ptrItEEEEPS5_jNS1_19radix_merge_compareILb0ELb1EtNS0_19identity_decomposerEEEEE10hipError_tT0_T1_T2_jT3_P12ihipStream_tbPNSt15iterator_traitsISK_E10value_typeEPNSQ_ISL_E10value_typeEPSM_NS1_7vsmem_tEENKUlT_SK_SL_SM_E_clISE_PtSF_SF_EESJ_SZ_SK_SL_SM_EUlSZ_E_NS1_11comp_targetILNS1_3genE4ELNS1_11target_archE910ELNS1_3gpuE8ELNS1_3repE0EEENS1_48merge_mergepath_partition_config_static_selectorELNS0_4arch9wavefront6targetE1EEEvSL_: ; @_ZN7rocprim17ROCPRIM_400000_NS6detail17trampoline_kernelINS0_14default_configENS1_38merge_sort_block_merge_config_selectorItNS0_10empty_typeEEEZZNS1_27merge_sort_block_merge_implIS3_N6thrust23THRUST_200600_302600_NS6detail15normal_iteratorINS9_10device_ptrItEEEEPS5_jNS1_19radix_merge_compareILb0ELb1EtNS0_19identity_decomposerEEEEE10hipError_tT0_T1_T2_jT3_P12ihipStream_tbPNSt15iterator_traitsISK_E10value_typeEPNSQ_ISL_E10value_typeEPSM_NS1_7vsmem_tEENKUlT_SK_SL_SM_E_clISE_PtSF_SF_EESJ_SZ_SK_SL_SM_EUlSZ_E_NS1_11comp_targetILNS1_3genE4ELNS1_11target_archE910ELNS1_3gpuE8ELNS1_3repE0EEENS1_48merge_mergepath_partition_config_static_selectorELNS0_4arch9wavefront6targetE1EEEvSL_
; %bb.0:
	.section	.rodata,"a",@progbits
	.p2align	6, 0x0
	.amdhsa_kernel _ZN7rocprim17ROCPRIM_400000_NS6detail17trampoline_kernelINS0_14default_configENS1_38merge_sort_block_merge_config_selectorItNS0_10empty_typeEEEZZNS1_27merge_sort_block_merge_implIS3_N6thrust23THRUST_200600_302600_NS6detail15normal_iteratorINS9_10device_ptrItEEEEPS5_jNS1_19radix_merge_compareILb0ELb1EtNS0_19identity_decomposerEEEEE10hipError_tT0_T1_T2_jT3_P12ihipStream_tbPNSt15iterator_traitsISK_E10value_typeEPNSQ_ISL_E10value_typeEPSM_NS1_7vsmem_tEENKUlT_SK_SL_SM_E_clISE_PtSF_SF_EESJ_SZ_SK_SL_SM_EUlSZ_E_NS1_11comp_targetILNS1_3genE4ELNS1_11target_archE910ELNS1_3gpuE8ELNS1_3repE0EEENS1_48merge_mergepath_partition_config_static_selectorELNS0_4arch9wavefront6targetE1EEEvSL_
		.amdhsa_group_segment_fixed_size 0
		.amdhsa_private_segment_fixed_size 0
		.amdhsa_kernarg_size 40
		.amdhsa_user_sgpr_count 2
		.amdhsa_user_sgpr_dispatch_ptr 0
		.amdhsa_user_sgpr_queue_ptr 0
		.amdhsa_user_sgpr_kernarg_segment_ptr 1
		.amdhsa_user_sgpr_dispatch_id 0
		.amdhsa_user_sgpr_kernarg_preload_length 0
		.amdhsa_user_sgpr_kernarg_preload_offset 0
		.amdhsa_user_sgpr_private_segment_size 0
		.amdhsa_uses_dynamic_stack 0
		.amdhsa_enable_private_segment 0
		.amdhsa_system_sgpr_workgroup_id_x 1
		.amdhsa_system_sgpr_workgroup_id_y 0
		.amdhsa_system_sgpr_workgroup_id_z 0
		.amdhsa_system_sgpr_workgroup_info 0
		.amdhsa_system_vgpr_workitem_id 0
		.amdhsa_next_free_vgpr 1
		.amdhsa_next_free_sgpr 0
		.amdhsa_accum_offset 4
		.amdhsa_reserve_vcc 0
		.amdhsa_float_round_mode_32 0
		.amdhsa_float_round_mode_16_64 0
		.amdhsa_float_denorm_mode_32 3
		.amdhsa_float_denorm_mode_16_64 3
		.amdhsa_dx10_clamp 1
		.amdhsa_ieee_mode 1
		.amdhsa_fp16_overflow 0
		.amdhsa_tg_split 0
		.amdhsa_exception_fp_ieee_invalid_op 0
		.amdhsa_exception_fp_denorm_src 0
		.amdhsa_exception_fp_ieee_div_zero 0
		.amdhsa_exception_fp_ieee_overflow 0
		.amdhsa_exception_fp_ieee_underflow 0
		.amdhsa_exception_fp_ieee_inexact 0
		.amdhsa_exception_int_div_zero 0
	.end_amdhsa_kernel
	.section	.text._ZN7rocprim17ROCPRIM_400000_NS6detail17trampoline_kernelINS0_14default_configENS1_38merge_sort_block_merge_config_selectorItNS0_10empty_typeEEEZZNS1_27merge_sort_block_merge_implIS3_N6thrust23THRUST_200600_302600_NS6detail15normal_iteratorINS9_10device_ptrItEEEEPS5_jNS1_19radix_merge_compareILb0ELb1EtNS0_19identity_decomposerEEEEE10hipError_tT0_T1_T2_jT3_P12ihipStream_tbPNSt15iterator_traitsISK_E10value_typeEPNSQ_ISL_E10value_typeEPSM_NS1_7vsmem_tEENKUlT_SK_SL_SM_E_clISE_PtSF_SF_EESJ_SZ_SK_SL_SM_EUlSZ_E_NS1_11comp_targetILNS1_3genE4ELNS1_11target_archE910ELNS1_3gpuE8ELNS1_3repE0EEENS1_48merge_mergepath_partition_config_static_selectorELNS0_4arch9wavefront6targetE1EEEvSL_,"axG",@progbits,_ZN7rocprim17ROCPRIM_400000_NS6detail17trampoline_kernelINS0_14default_configENS1_38merge_sort_block_merge_config_selectorItNS0_10empty_typeEEEZZNS1_27merge_sort_block_merge_implIS3_N6thrust23THRUST_200600_302600_NS6detail15normal_iteratorINS9_10device_ptrItEEEEPS5_jNS1_19radix_merge_compareILb0ELb1EtNS0_19identity_decomposerEEEEE10hipError_tT0_T1_T2_jT3_P12ihipStream_tbPNSt15iterator_traitsISK_E10value_typeEPNSQ_ISL_E10value_typeEPSM_NS1_7vsmem_tEENKUlT_SK_SL_SM_E_clISE_PtSF_SF_EESJ_SZ_SK_SL_SM_EUlSZ_E_NS1_11comp_targetILNS1_3genE4ELNS1_11target_archE910ELNS1_3gpuE8ELNS1_3repE0EEENS1_48merge_mergepath_partition_config_static_selectorELNS0_4arch9wavefront6targetE1EEEvSL_,comdat
.Lfunc_end1290:
	.size	_ZN7rocprim17ROCPRIM_400000_NS6detail17trampoline_kernelINS0_14default_configENS1_38merge_sort_block_merge_config_selectorItNS0_10empty_typeEEEZZNS1_27merge_sort_block_merge_implIS3_N6thrust23THRUST_200600_302600_NS6detail15normal_iteratorINS9_10device_ptrItEEEEPS5_jNS1_19radix_merge_compareILb0ELb1EtNS0_19identity_decomposerEEEEE10hipError_tT0_T1_T2_jT3_P12ihipStream_tbPNSt15iterator_traitsISK_E10value_typeEPNSQ_ISL_E10value_typeEPSM_NS1_7vsmem_tEENKUlT_SK_SL_SM_E_clISE_PtSF_SF_EESJ_SZ_SK_SL_SM_EUlSZ_E_NS1_11comp_targetILNS1_3genE4ELNS1_11target_archE910ELNS1_3gpuE8ELNS1_3repE0EEENS1_48merge_mergepath_partition_config_static_selectorELNS0_4arch9wavefront6targetE1EEEvSL_, .Lfunc_end1290-_ZN7rocprim17ROCPRIM_400000_NS6detail17trampoline_kernelINS0_14default_configENS1_38merge_sort_block_merge_config_selectorItNS0_10empty_typeEEEZZNS1_27merge_sort_block_merge_implIS3_N6thrust23THRUST_200600_302600_NS6detail15normal_iteratorINS9_10device_ptrItEEEEPS5_jNS1_19radix_merge_compareILb0ELb1EtNS0_19identity_decomposerEEEEE10hipError_tT0_T1_T2_jT3_P12ihipStream_tbPNSt15iterator_traitsISK_E10value_typeEPNSQ_ISL_E10value_typeEPSM_NS1_7vsmem_tEENKUlT_SK_SL_SM_E_clISE_PtSF_SF_EESJ_SZ_SK_SL_SM_EUlSZ_E_NS1_11comp_targetILNS1_3genE4ELNS1_11target_archE910ELNS1_3gpuE8ELNS1_3repE0EEENS1_48merge_mergepath_partition_config_static_selectorELNS0_4arch9wavefront6targetE1EEEvSL_
                                        ; -- End function
	.section	.AMDGPU.csdata,"",@progbits
; Kernel info:
; codeLenInByte = 0
; NumSgprs: 6
; NumVgprs: 0
; NumAgprs: 0
; TotalNumVgprs: 0
; ScratchSize: 0
; MemoryBound: 0
; FloatMode: 240
; IeeeMode: 1
; LDSByteSize: 0 bytes/workgroup (compile time only)
; SGPRBlocks: 0
; VGPRBlocks: 0
; NumSGPRsForWavesPerEU: 6
; NumVGPRsForWavesPerEU: 1
; AccumOffset: 4
; Occupancy: 8
; WaveLimiterHint : 0
; COMPUTE_PGM_RSRC2:SCRATCH_EN: 0
; COMPUTE_PGM_RSRC2:USER_SGPR: 2
; COMPUTE_PGM_RSRC2:TRAP_HANDLER: 0
; COMPUTE_PGM_RSRC2:TGID_X_EN: 1
; COMPUTE_PGM_RSRC2:TGID_Y_EN: 0
; COMPUTE_PGM_RSRC2:TGID_Z_EN: 0
; COMPUTE_PGM_RSRC2:TIDIG_COMP_CNT: 0
; COMPUTE_PGM_RSRC3_GFX90A:ACCUM_OFFSET: 0
; COMPUTE_PGM_RSRC3_GFX90A:TG_SPLIT: 0
	.section	.text._ZN7rocprim17ROCPRIM_400000_NS6detail17trampoline_kernelINS0_14default_configENS1_38merge_sort_block_merge_config_selectorItNS0_10empty_typeEEEZZNS1_27merge_sort_block_merge_implIS3_N6thrust23THRUST_200600_302600_NS6detail15normal_iteratorINS9_10device_ptrItEEEEPS5_jNS1_19radix_merge_compareILb0ELb1EtNS0_19identity_decomposerEEEEE10hipError_tT0_T1_T2_jT3_P12ihipStream_tbPNSt15iterator_traitsISK_E10value_typeEPNSQ_ISL_E10value_typeEPSM_NS1_7vsmem_tEENKUlT_SK_SL_SM_E_clISE_PtSF_SF_EESJ_SZ_SK_SL_SM_EUlSZ_E_NS1_11comp_targetILNS1_3genE3ELNS1_11target_archE908ELNS1_3gpuE7ELNS1_3repE0EEENS1_48merge_mergepath_partition_config_static_selectorELNS0_4arch9wavefront6targetE1EEEvSL_,"axG",@progbits,_ZN7rocprim17ROCPRIM_400000_NS6detail17trampoline_kernelINS0_14default_configENS1_38merge_sort_block_merge_config_selectorItNS0_10empty_typeEEEZZNS1_27merge_sort_block_merge_implIS3_N6thrust23THRUST_200600_302600_NS6detail15normal_iteratorINS9_10device_ptrItEEEEPS5_jNS1_19radix_merge_compareILb0ELb1EtNS0_19identity_decomposerEEEEE10hipError_tT0_T1_T2_jT3_P12ihipStream_tbPNSt15iterator_traitsISK_E10value_typeEPNSQ_ISL_E10value_typeEPSM_NS1_7vsmem_tEENKUlT_SK_SL_SM_E_clISE_PtSF_SF_EESJ_SZ_SK_SL_SM_EUlSZ_E_NS1_11comp_targetILNS1_3genE3ELNS1_11target_archE908ELNS1_3gpuE7ELNS1_3repE0EEENS1_48merge_mergepath_partition_config_static_selectorELNS0_4arch9wavefront6targetE1EEEvSL_,comdat
	.protected	_ZN7rocprim17ROCPRIM_400000_NS6detail17trampoline_kernelINS0_14default_configENS1_38merge_sort_block_merge_config_selectorItNS0_10empty_typeEEEZZNS1_27merge_sort_block_merge_implIS3_N6thrust23THRUST_200600_302600_NS6detail15normal_iteratorINS9_10device_ptrItEEEEPS5_jNS1_19radix_merge_compareILb0ELb1EtNS0_19identity_decomposerEEEEE10hipError_tT0_T1_T2_jT3_P12ihipStream_tbPNSt15iterator_traitsISK_E10value_typeEPNSQ_ISL_E10value_typeEPSM_NS1_7vsmem_tEENKUlT_SK_SL_SM_E_clISE_PtSF_SF_EESJ_SZ_SK_SL_SM_EUlSZ_E_NS1_11comp_targetILNS1_3genE3ELNS1_11target_archE908ELNS1_3gpuE7ELNS1_3repE0EEENS1_48merge_mergepath_partition_config_static_selectorELNS0_4arch9wavefront6targetE1EEEvSL_ ; -- Begin function _ZN7rocprim17ROCPRIM_400000_NS6detail17trampoline_kernelINS0_14default_configENS1_38merge_sort_block_merge_config_selectorItNS0_10empty_typeEEEZZNS1_27merge_sort_block_merge_implIS3_N6thrust23THRUST_200600_302600_NS6detail15normal_iteratorINS9_10device_ptrItEEEEPS5_jNS1_19radix_merge_compareILb0ELb1EtNS0_19identity_decomposerEEEEE10hipError_tT0_T1_T2_jT3_P12ihipStream_tbPNSt15iterator_traitsISK_E10value_typeEPNSQ_ISL_E10value_typeEPSM_NS1_7vsmem_tEENKUlT_SK_SL_SM_E_clISE_PtSF_SF_EESJ_SZ_SK_SL_SM_EUlSZ_E_NS1_11comp_targetILNS1_3genE3ELNS1_11target_archE908ELNS1_3gpuE7ELNS1_3repE0EEENS1_48merge_mergepath_partition_config_static_selectorELNS0_4arch9wavefront6targetE1EEEvSL_
	.globl	_ZN7rocprim17ROCPRIM_400000_NS6detail17trampoline_kernelINS0_14default_configENS1_38merge_sort_block_merge_config_selectorItNS0_10empty_typeEEEZZNS1_27merge_sort_block_merge_implIS3_N6thrust23THRUST_200600_302600_NS6detail15normal_iteratorINS9_10device_ptrItEEEEPS5_jNS1_19radix_merge_compareILb0ELb1EtNS0_19identity_decomposerEEEEE10hipError_tT0_T1_T2_jT3_P12ihipStream_tbPNSt15iterator_traitsISK_E10value_typeEPNSQ_ISL_E10value_typeEPSM_NS1_7vsmem_tEENKUlT_SK_SL_SM_E_clISE_PtSF_SF_EESJ_SZ_SK_SL_SM_EUlSZ_E_NS1_11comp_targetILNS1_3genE3ELNS1_11target_archE908ELNS1_3gpuE7ELNS1_3repE0EEENS1_48merge_mergepath_partition_config_static_selectorELNS0_4arch9wavefront6targetE1EEEvSL_
	.p2align	8
	.type	_ZN7rocprim17ROCPRIM_400000_NS6detail17trampoline_kernelINS0_14default_configENS1_38merge_sort_block_merge_config_selectorItNS0_10empty_typeEEEZZNS1_27merge_sort_block_merge_implIS3_N6thrust23THRUST_200600_302600_NS6detail15normal_iteratorINS9_10device_ptrItEEEEPS5_jNS1_19radix_merge_compareILb0ELb1EtNS0_19identity_decomposerEEEEE10hipError_tT0_T1_T2_jT3_P12ihipStream_tbPNSt15iterator_traitsISK_E10value_typeEPNSQ_ISL_E10value_typeEPSM_NS1_7vsmem_tEENKUlT_SK_SL_SM_E_clISE_PtSF_SF_EESJ_SZ_SK_SL_SM_EUlSZ_E_NS1_11comp_targetILNS1_3genE3ELNS1_11target_archE908ELNS1_3gpuE7ELNS1_3repE0EEENS1_48merge_mergepath_partition_config_static_selectorELNS0_4arch9wavefront6targetE1EEEvSL_,@function
_ZN7rocprim17ROCPRIM_400000_NS6detail17trampoline_kernelINS0_14default_configENS1_38merge_sort_block_merge_config_selectorItNS0_10empty_typeEEEZZNS1_27merge_sort_block_merge_implIS3_N6thrust23THRUST_200600_302600_NS6detail15normal_iteratorINS9_10device_ptrItEEEEPS5_jNS1_19radix_merge_compareILb0ELb1EtNS0_19identity_decomposerEEEEE10hipError_tT0_T1_T2_jT3_P12ihipStream_tbPNSt15iterator_traitsISK_E10value_typeEPNSQ_ISL_E10value_typeEPSM_NS1_7vsmem_tEENKUlT_SK_SL_SM_E_clISE_PtSF_SF_EESJ_SZ_SK_SL_SM_EUlSZ_E_NS1_11comp_targetILNS1_3genE3ELNS1_11target_archE908ELNS1_3gpuE7ELNS1_3repE0EEENS1_48merge_mergepath_partition_config_static_selectorELNS0_4arch9wavefront6targetE1EEEvSL_: ; @_ZN7rocprim17ROCPRIM_400000_NS6detail17trampoline_kernelINS0_14default_configENS1_38merge_sort_block_merge_config_selectorItNS0_10empty_typeEEEZZNS1_27merge_sort_block_merge_implIS3_N6thrust23THRUST_200600_302600_NS6detail15normal_iteratorINS9_10device_ptrItEEEEPS5_jNS1_19radix_merge_compareILb0ELb1EtNS0_19identity_decomposerEEEEE10hipError_tT0_T1_T2_jT3_P12ihipStream_tbPNSt15iterator_traitsISK_E10value_typeEPNSQ_ISL_E10value_typeEPSM_NS1_7vsmem_tEENKUlT_SK_SL_SM_E_clISE_PtSF_SF_EESJ_SZ_SK_SL_SM_EUlSZ_E_NS1_11comp_targetILNS1_3genE3ELNS1_11target_archE908ELNS1_3gpuE7ELNS1_3repE0EEENS1_48merge_mergepath_partition_config_static_selectorELNS0_4arch9wavefront6targetE1EEEvSL_
; %bb.0:
	.section	.rodata,"a",@progbits
	.p2align	6, 0x0
	.amdhsa_kernel _ZN7rocprim17ROCPRIM_400000_NS6detail17trampoline_kernelINS0_14default_configENS1_38merge_sort_block_merge_config_selectorItNS0_10empty_typeEEEZZNS1_27merge_sort_block_merge_implIS3_N6thrust23THRUST_200600_302600_NS6detail15normal_iteratorINS9_10device_ptrItEEEEPS5_jNS1_19radix_merge_compareILb0ELb1EtNS0_19identity_decomposerEEEEE10hipError_tT0_T1_T2_jT3_P12ihipStream_tbPNSt15iterator_traitsISK_E10value_typeEPNSQ_ISL_E10value_typeEPSM_NS1_7vsmem_tEENKUlT_SK_SL_SM_E_clISE_PtSF_SF_EESJ_SZ_SK_SL_SM_EUlSZ_E_NS1_11comp_targetILNS1_3genE3ELNS1_11target_archE908ELNS1_3gpuE7ELNS1_3repE0EEENS1_48merge_mergepath_partition_config_static_selectorELNS0_4arch9wavefront6targetE1EEEvSL_
		.amdhsa_group_segment_fixed_size 0
		.amdhsa_private_segment_fixed_size 0
		.amdhsa_kernarg_size 40
		.amdhsa_user_sgpr_count 2
		.amdhsa_user_sgpr_dispatch_ptr 0
		.amdhsa_user_sgpr_queue_ptr 0
		.amdhsa_user_sgpr_kernarg_segment_ptr 1
		.amdhsa_user_sgpr_dispatch_id 0
		.amdhsa_user_sgpr_kernarg_preload_length 0
		.amdhsa_user_sgpr_kernarg_preload_offset 0
		.amdhsa_user_sgpr_private_segment_size 0
		.amdhsa_uses_dynamic_stack 0
		.amdhsa_enable_private_segment 0
		.amdhsa_system_sgpr_workgroup_id_x 1
		.amdhsa_system_sgpr_workgroup_id_y 0
		.amdhsa_system_sgpr_workgroup_id_z 0
		.amdhsa_system_sgpr_workgroup_info 0
		.amdhsa_system_vgpr_workitem_id 0
		.amdhsa_next_free_vgpr 1
		.amdhsa_next_free_sgpr 0
		.amdhsa_accum_offset 4
		.amdhsa_reserve_vcc 0
		.amdhsa_float_round_mode_32 0
		.amdhsa_float_round_mode_16_64 0
		.amdhsa_float_denorm_mode_32 3
		.amdhsa_float_denorm_mode_16_64 3
		.amdhsa_dx10_clamp 1
		.amdhsa_ieee_mode 1
		.amdhsa_fp16_overflow 0
		.amdhsa_tg_split 0
		.amdhsa_exception_fp_ieee_invalid_op 0
		.amdhsa_exception_fp_denorm_src 0
		.amdhsa_exception_fp_ieee_div_zero 0
		.amdhsa_exception_fp_ieee_overflow 0
		.amdhsa_exception_fp_ieee_underflow 0
		.amdhsa_exception_fp_ieee_inexact 0
		.amdhsa_exception_int_div_zero 0
	.end_amdhsa_kernel
	.section	.text._ZN7rocprim17ROCPRIM_400000_NS6detail17trampoline_kernelINS0_14default_configENS1_38merge_sort_block_merge_config_selectorItNS0_10empty_typeEEEZZNS1_27merge_sort_block_merge_implIS3_N6thrust23THRUST_200600_302600_NS6detail15normal_iteratorINS9_10device_ptrItEEEEPS5_jNS1_19radix_merge_compareILb0ELb1EtNS0_19identity_decomposerEEEEE10hipError_tT0_T1_T2_jT3_P12ihipStream_tbPNSt15iterator_traitsISK_E10value_typeEPNSQ_ISL_E10value_typeEPSM_NS1_7vsmem_tEENKUlT_SK_SL_SM_E_clISE_PtSF_SF_EESJ_SZ_SK_SL_SM_EUlSZ_E_NS1_11comp_targetILNS1_3genE3ELNS1_11target_archE908ELNS1_3gpuE7ELNS1_3repE0EEENS1_48merge_mergepath_partition_config_static_selectorELNS0_4arch9wavefront6targetE1EEEvSL_,"axG",@progbits,_ZN7rocprim17ROCPRIM_400000_NS6detail17trampoline_kernelINS0_14default_configENS1_38merge_sort_block_merge_config_selectorItNS0_10empty_typeEEEZZNS1_27merge_sort_block_merge_implIS3_N6thrust23THRUST_200600_302600_NS6detail15normal_iteratorINS9_10device_ptrItEEEEPS5_jNS1_19radix_merge_compareILb0ELb1EtNS0_19identity_decomposerEEEEE10hipError_tT0_T1_T2_jT3_P12ihipStream_tbPNSt15iterator_traitsISK_E10value_typeEPNSQ_ISL_E10value_typeEPSM_NS1_7vsmem_tEENKUlT_SK_SL_SM_E_clISE_PtSF_SF_EESJ_SZ_SK_SL_SM_EUlSZ_E_NS1_11comp_targetILNS1_3genE3ELNS1_11target_archE908ELNS1_3gpuE7ELNS1_3repE0EEENS1_48merge_mergepath_partition_config_static_selectorELNS0_4arch9wavefront6targetE1EEEvSL_,comdat
.Lfunc_end1291:
	.size	_ZN7rocprim17ROCPRIM_400000_NS6detail17trampoline_kernelINS0_14default_configENS1_38merge_sort_block_merge_config_selectorItNS0_10empty_typeEEEZZNS1_27merge_sort_block_merge_implIS3_N6thrust23THRUST_200600_302600_NS6detail15normal_iteratorINS9_10device_ptrItEEEEPS5_jNS1_19radix_merge_compareILb0ELb1EtNS0_19identity_decomposerEEEEE10hipError_tT0_T1_T2_jT3_P12ihipStream_tbPNSt15iterator_traitsISK_E10value_typeEPNSQ_ISL_E10value_typeEPSM_NS1_7vsmem_tEENKUlT_SK_SL_SM_E_clISE_PtSF_SF_EESJ_SZ_SK_SL_SM_EUlSZ_E_NS1_11comp_targetILNS1_3genE3ELNS1_11target_archE908ELNS1_3gpuE7ELNS1_3repE0EEENS1_48merge_mergepath_partition_config_static_selectorELNS0_4arch9wavefront6targetE1EEEvSL_, .Lfunc_end1291-_ZN7rocprim17ROCPRIM_400000_NS6detail17trampoline_kernelINS0_14default_configENS1_38merge_sort_block_merge_config_selectorItNS0_10empty_typeEEEZZNS1_27merge_sort_block_merge_implIS3_N6thrust23THRUST_200600_302600_NS6detail15normal_iteratorINS9_10device_ptrItEEEEPS5_jNS1_19radix_merge_compareILb0ELb1EtNS0_19identity_decomposerEEEEE10hipError_tT0_T1_T2_jT3_P12ihipStream_tbPNSt15iterator_traitsISK_E10value_typeEPNSQ_ISL_E10value_typeEPSM_NS1_7vsmem_tEENKUlT_SK_SL_SM_E_clISE_PtSF_SF_EESJ_SZ_SK_SL_SM_EUlSZ_E_NS1_11comp_targetILNS1_3genE3ELNS1_11target_archE908ELNS1_3gpuE7ELNS1_3repE0EEENS1_48merge_mergepath_partition_config_static_selectorELNS0_4arch9wavefront6targetE1EEEvSL_
                                        ; -- End function
	.section	.AMDGPU.csdata,"",@progbits
; Kernel info:
; codeLenInByte = 0
; NumSgprs: 6
; NumVgprs: 0
; NumAgprs: 0
; TotalNumVgprs: 0
; ScratchSize: 0
; MemoryBound: 0
; FloatMode: 240
; IeeeMode: 1
; LDSByteSize: 0 bytes/workgroup (compile time only)
; SGPRBlocks: 0
; VGPRBlocks: 0
; NumSGPRsForWavesPerEU: 6
; NumVGPRsForWavesPerEU: 1
; AccumOffset: 4
; Occupancy: 8
; WaveLimiterHint : 0
; COMPUTE_PGM_RSRC2:SCRATCH_EN: 0
; COMPUTE_PGM_RSRC2:USER_SGPR: 2
; COMPUTE_PGM_RSRC2:TRAP_HANDLER: 0
; COMPUTE_PGM_RSRC2:TGID_X_EN: 1
; COMPUTE_PGM_RSRC2:TGID_Y_EN: 0
; COMPUTE_PGM_RSRC2:TGID_Z_EN: 0
; COMPUTE_PGM_RSRC2:TIDIG_COMP_CNT: 0
; COMPUTE_PGM_RSRC3_GFX90A:ACCUM_OFFSET: 0
; COMPUTE_PGM_RSRC3_GFX90A:TG_SPLIT: 0
	.section	.text._ZN7rocprim17ROCPRIM_400000_NS6detail17trampoline_kernelINS0_14default_configENS1_38merge_sort_block_merge_config_selectorItNS0_10empty_typeEEEZZNS1_27merge_sort_block_merge_implIS3_N6thrust23THRUST_200600_302600_NS6detail15normal_iteratorINS9_10device_ptrItEEEEPS5_jNS1_19radix_merge_compareILb0ELb1EtNS0_19identity_decomposerEEEEE10hipError_tT0_T1_T2_jT3_P12ihipStream_tbPNSt15iterator_traitsISK_E10value_typeEPNSQ_ISL_E10value_typeEPSM_NS1_7vsmem_tEENKUlT_SK_SL_SM_E_clISE_PtSF_SF_EESJ_SZ_SK_SL_SM_EUlSZ_E_NS1_11comp_targetILNS1_3genE2ELNS1_11target_archE906ELNS1_3gpuE6ELNS1_3repE0EEENS1_48merge_mergepath_partition_config_static_selectorELNS0_4arch9wavefront6targetE1EEEvSL_,"axG",@progbits,_ZN7rocprim17ROCPRIM_400000_NS6detail17trampoline_kernelINS0_14default_configENS1_38merge_sort_block_merge_config_selectorItNS0_10empty_typeEEEZZNS1_27merge_sort_block_merge_implIS3_N6thrust23THRUST_200600_302600_NS6detail15normal_iteratorINS9_10device_ptrItEEEEPS5_jNS1_19radix_merge_compareILb0ELb1EtNS0_19identity_decomposerEEEEE10hipError_tT0_T1_T2_jT3_P12ihipStream_tbPNSt15iterator_traitsISK_E10value_typeEPNSQ_ISL_E10value_typeEPSM_NS1_7vsmem_tEENKUlT_SK_SL_SM_E_clISE_PtSF_SF_EESJ_SZ_SK_SL_SM_EUlSZ_E_NS1_11comp_targetILNS1_3genE2ELNS1_11target_archE906ELNS1_3gpuE6ELNS1_3repE0EEENS1_48merge_mergepath_partition_config_static_selectorELNS0_4arch9wavefront6targetE1EEEvSL_,comdat
	.protected	_ZN7rocprim17ROCPRIM_400000_NS6detail17trampoline_kernelINS0_14default_configENS1_38merge_sort_block_merge_config_selectorItNS0_10empty_typeEEEZZNS1_27merge_sort_block_merge_implIS3_N6thrust23THRUST_200600_302600_NS6detail15normal_iteratorINS9_10device_ptrItEEEEPS5_jNS1_19radix_merge_compareILb0ELb1EtNS0_19identity_decomposerEEEEE10hipError_tT0_T1_T2_jT3_P12ihipStream_tbPNSt15iterator_traitsISK_E10value_typeEPNSQ_ISL_E10value_typeEPSM_NS1_7vsmem_tEENKUlT_SK_SL_SM_E_clISE_PtSF_SF_EESJ_SZ_SK_SL_SM_EUlSZ_E_NS1_11comp_targetILNS1_3genE2ELNS1_11target_archE906ELNS1_3gpuE6ELNS1_3repE0EEENS1_48merge_mergepath_partition_config_static_selectorELNS0_4arch9wavefront6targetE1EEEvSL_ ; -- Begin function _ZN7rocprim17ROCPRIM_400000_NS6detail17trampoline_kernelINS0_14default_configENS1_38merge_sort_block_merge_config_selectorItNS0_10empty_typeEEEZZNS1_27merge_sort_block_merge_implIS3_N6thrust23THRUST_200600_302600_NS6detail15normal_iteratorINS9_10device_ptrItEEEEPS5_jNS1_19radix_merge_compareILb0ELb1EtNS0_19identity_decomposerEEEEE10hipError_tT0_T1_T2_jT3_P12ihipStream_tbPNSt15iterator_traitsISK_E10value_typeEPNSQ_ISL_E10value_typeEPSM_NS1_7vsmem_tEENKUlT_SK_SL_SM_E_clISE_PtSF_SF_EESJ_SZ_SK_SL_SM_EUlSZ_E_NS1_11comp_targetILNS1_3genE2ELNS1_11target_archE906ELNS1_3gpuE6ELNS1_3repE0EEENS1_48merge_mergepath_partition_config_static_selectorELNS0_4arch9wavefront6targetE1EEEvSL_
	.globl	_ZN7rocprim17ROCPRIM_400000_NS6detail17trampoline_kernelINS0_14default_configENS1_38merge_sort_block_merge_config_selectorItNS0_10empty_typeEEEZZNS1_27merge_sort_block_merge_implIS3_N6thrust23THRUST_200600_302600_NS6detail15normal_iteratorINS9_10device_ptrItEEEEPS5_jNS1_19radix_merge_compareILb0ELb1EtNS0_19identity_decomposerEEEEE10hipError_tT0_T1_T2_jT3_P12ihipStream_tbPNSt15iterator_traitsISK_E10value_typeEPNSQ_ISL_E10value_typeEPSM_NS1_7vsmem_tEENKUlT_SK_SL_SM_E_clISE_PtSF_SF_EESJ_SZ_SK_SL_SM_EUlSZ_E_NS1_11comp_targetILNS1_3genE2ELNS1_11target_archE906ELNS1_3gpuE6ELNS1_3repE0EEENS1_48merge_mergepath_partition_config_static_selectorELNS0_4arch9wavefront6targetE1EEEvSL_
	.p2align	8
	.type	_ZN7rocprim17ROCPRIM_400000_NS6detail17trampoline_kernelINS0_14default_configENS1_38merge_sort_block_merge_config_selectorItNS0_10empty_typeEEEZZNS1_27merge_sort_block_merge_implIS3_N6thrust23THRUST_200600_302600_NS6detail15normal_iteratorINS9_10device_ptrItEEEEPS5_jNS1_19radix_merge_compareILb0ELb1EtNS0_19identity_decomposerEEEEE10hipError_tT0_T1_T2_jT3_P12ihipStream_tbPNSt15iterator_traitsISK_E10value_typeEPNSQ_ISL_E10value_typeEPSM_NS1_7vsmem_tEENKUlT_SK_SL_SM_E_clISE_PtSF_SF_EESJ_SZ_SK_SL_SM_EUlSZ_E_NS1_11comp_targetILNS1_3genE2ELNS1_11target_archE906ELNS1_3gpuE6ELNS1_3repE0EEENS1_48merge_mergepath_partition_config_static_selectorELNS0_4arch9wavefront6targetE1EEEvSL_,@function
_ZN7rocprim17ROCPRIM_400000_NS6detail17trampoline_kernelINS0_14default_configENS1_38merge_sort_block_merge_config_selectorItNS0_10empty_typeEEEZZNS1_27merge_sort_block_merge_implIS3_N6thrust23THRUST_200600_302600_NS6detail15normal_iteratorINS9_10device_ptrItEEEEPS5_jNS1_19radix_merge_compareILb0ELb1EtNS0_19identity_decomposerEEEEE10hipError_tT0_T1_T2_jT3_P12ihipStream_tbPNSt15iterator_traitsISK_E10value_typeEPNSQ_ISL_E10value_typeEPSM_NS1_7vsmem_tEENKUlT_SK_SL_SM_E_clISE_PtSF_SF_EESJ_SZ_SK_SL_SM_EUlSZ_E_NS1_11comp_targetILNS1_3genE2ELNS1_11target_archE906ELNS1_3gpuE6ELNS1_3repE0EEENS1_48merge_mergepath_partition_config_static_selectorELNS0_4arch9wavefront6targetE1EEEvSL_: ; @_ZN7rocprim17ROCPRIM_400000_NS6detail17trampoline_kernelINS0_14default_configENS1_38merge_sort_block_merge_config_selectorItNS0_10empty_typeEEEZZNS1_27merge_sort_block_merge_implIS3_N6thrust23THRUST_200600_302600_NS6detail15normal_iteratorINS9_10device_ptrItEEEEPS5_jNS1_19radix_merge_compareILb0ELb1EtNS0_19identity_decomposerEEEEE10hipError_tT0_T1_T2_jT3_P12ihipStream_tbPNSt15iterator_traitsISK_E10value_typeEPNSQ_ISL_E10value_typeEPSM_NS1_7vsmem_tEENKUlT_SK_SL_SM_E_clISE_PtSF_SF_EESJ_SZ_SK_SL_SM_EUlSZ_E_NS1_11comp_targetILNS1_3genE2ELNS1_11target_archE906ELNS1_3gpuE6ELNS1_3repE0EEENS1_48merge_mergepath_partition_config_static_selectorELNS0_4arch9wavefront6targetE1EEEvSL_
; %bb.0:
	.section	.rodata,"a",@progbits
	.p2align	6, 0x0
	.amdhsa_kernel _ZN7rocprim17ROCPRIM_400000_NS6detail17trampoline_kernelINS0_14default_configENS1_38merge_sort_block_merge_config_selectorItNS0_10empty_typeEEEZZNS1_27merge_sort_block_merge_implIS3_N6thrust23THRUST_200600_302600_NS6detail15normal_iteratorINS9_10device_ptrItEEEEPS5_jNS1_19radix_merge_compareILb0ELb1EtNS0_19identity_decomposerEEEEE10hipError_tT0_T1_T2_jT3_P12ihipStream_tbPNSt15iterator_traitsISK_E10value_typeEPNSQ_ISL_E10value_typeEPSM_NS1_7vsmem_tEENKUlT_SK_SL_SM_E_clISE_PtSF_SF_EESJ_SZ_SK_SL_SM_EUlSZ_E_NS1_11comp_targetILNS1_3genE2ELNS1_11target_archE906ELNS1_3gpuE6ELNS1_3repE0EEENS1_48merge_mergepath_partition_config_static_selectorELNS0_4arch9wavefront6targetE1EEEvSL_
		.amdhsa_group_segment_fixed_size 0
		.amdhsa_private_segment_fixed_size 0
		.amdhsa_kernarg_size 40
		.amdhsa_user_sgpr_count 2
		.amdhsa_user_sgpr_dispatch_ptr 0
		.amdhsa_user_sgpr_queue_ptr 0
		.amdhsa_user_sgpr_kernarg_segment_ptr 1
		.amdhsa_user_sgpr_dispatch_id 0
		.amdhsa_user_sgpr_kernarg_preload_length 0
		.amdhsa_user_sgpr_kernarg_preload_offset 0
		.amdhsa_user_sgpr_private_segment_size 0
		.amdhsa_uses_dynamic_stack 0
		.amdhsa_enable_private_segment 0
		.amdhsa_system_sgpr_workgroup_id_x 1
		.amdhsa_system_sgpr_workgroup_id_y 0
		.amdhsa_system_sgpr_workgroup_id_z 0
		.amdhsa_system_sgpr_workgroup_info 0
		.amdhsa_system_vgpr_workitem_id 0
		.amdhsa_next_free_vgpr 1
		.amdhsa_next_free_sgpr 0
		.amdhsa_accum_offset 4
		.amdhsa_reserve_vcc 0
		.amdhsa_float_round_mode_32 0
		.amdhsa_float_round_mode_16_64 0
		.amdhsa_float_denorm_mode_32 3
		.amdhsa_float_denorm_mode_16_64 3
		.amdhsa_dx10_clamp 1
		.amdhsa_ieee_mode 1
		.amdhsa_fp16_overflow 0
		.amdhsa_tg_split 0
		.amdhsa_exception_fp_ieee_invalid_op 0
		.amdhsa_exception_fp_denorm_src 0
		.amdhsa_exception_fp_ieee_div_zero 0
		.amdhsa_exception_fp_ieee_overflow 0
		.amdhsa_exception_fp_ieee_underflow 0
		.amdhsa_exception_fp_ieee_inexact 0
		.amdhsa_exception_int_div_zero 0
	.end_amdhsa_kernel
	.section	.text._ZN7rocprim17ROCPRIM_400000_NS6detail17trampoline_kernelINS0_14default_configENS1_38merge_sort_block_merge_config_selectorItNS0_10empty_typeEEEZZNS1_27merge_sort_block_merge_implIS3_N6thrust23THRUST_200600_302600_NS6detail15normal_iteratorINS9_10device_ptrItEEEEPS5_jNS1_19radix_merge_compareILb0ELb1EtNS0_19identity_decomposerEEEEE10hipError_tT0_T1_T2_jT3_P12ihipStream_tbPNSt15iterator_traitsISK_E10value_typeEPNSQ_ISL_E10value_typeEPSM_NS1_7vsmem_tEENKUlT_SK_SL_SM_E_clISE_PtSF_SF_EESJ_SZ_SK_SL_SM_EUlSZ_E_NS1_11comp_targetILNS1_3genE2ELNS1_11target_archE906ELNS1_3gpuE6ELNS1_3repE0EEENS1_48merge_mergepath_partition_config_static_selectorELNS0_4arch9wavefront6targetE1EEEvSL_,"axG",@progbits,_ZN7rocprim17ROCPRIM_400000_NS6detail17trampoline_kernelINS0_14default_configENS1_38merge_sort_block_merge_config_selectorItNS0_10empty_typeEEEZZNS1_27merge_sort_block_merge_implIS3_N6thrust23THRUST_200600_302600_NS6detail15normal_iteratorINS9_10device_ptrItEEEEPS5_jNS1_19radix_merge_compareILb0ELb1EtNS0_19identity_decomposerEEEEE10hipError_tT0_T1_T2_jT3_P12ihipStream_tbPNSt15iterator_traitsISK_E10value_typeEPNSQ_ISL_E10value_typeEPSM_NS1_7vsmem_tEENKUlT_SK_SL_SM_E_clISE_PtSF_SF_EESJ_SZ_SK_SL_SM_EUlSZ_E_NS1_11comp_targetILNS1_3genE2ELNS1_11target_archE906ELNS1_3gpuE6ELNS1_3repE0EEENS1_48merge_mergepath_partition_config_static_selectorELNS0_4arch9wavefront6targetE1EEEvSL_,comdat
.Lfunc_end1292:
	.size	_ZN7rocprim17ROCPRIM_400000_NS6detail17trampoline_kernelINS0_14default_configENS1_38merge_sort_block_merge_config_selectorItNS0_10empty_typeEEEZZNS1_27merge_sort_block_merge_implIS3_N6thrust23THRUST_200600_302600_NS6detail15normal_iteratorINS9_10device_ptrItEEEEPS5_jNS1_19radix_merge_compareILb0ELb1EtNS0_19identity_decomposerEEEEE10hipError_tT0_T1_T2_jT3_P12ihipStream_tbPNSt15iterator_traitsISK_E10value_typeEPNSQ_ISL_E10value_typeEPSM_NS1_7vsmem_tEENKUlT_SK_SL_SM_E_clISE_PtSF_SF_EESJ_SZ_SK_SL_SM_EUlSZ_E_NS1_11comp_targetILNS1_3genE2ELNS1_11target_archE906ELNS1_3gpuE6ELNS1_3repE0EEENS1_48merge_mergepath_partition_config_static_selectorELNS0_4arch9wavefront6targetE1EEEvSL_, .Lfunc_end1292-_ZN7rocprim17ROCPRIM_400000_NS6detail17trampoline_kernelINS0_14default_configENS1_38merge_sort_block_merge_config_selectorItNS0_10empty_typeEEEZZNS1_27merge_sort_block_merge_implIS3_N6thrust23THRUST_200600_302600_NS6detail15normal_iteratorINS9_10device_ptrItEEEEPS5_jNS1_19radix_merge_compareILb0ELb1EtNS0_19identity_decomposerEEEEE10hipError_tT0_T1_T2_jT3_P12ihipStream_tbPNSt15iterator_traitsISK_E10value_typeEPNSQ_ISL_E10value_typeEPSM_NS1_7vsmem_tEENKUlT_SK_SL_SM_E_clISE_PtSF_SF_EESJ_SZ_SK_SL_SM_EUlSZ_E_NS1_11comp_targetILNS1_3genE2ELNS1_11target_archE906ELNS1_3gpuE6ELNS1_3repE0EEENS1_48merge_mergepath_partition_config_static_selectorELNS0_4arch9wavefront6targetE1EEEvSL_
                                        ; -- End function
	.section	.AMDGPU.csdata,"",@progbits
; Kernel info:
; codeLenInByte = 0
; NumSgprs: 6
; NumVgprs: 0
; NumAgprs: 0
; TotalNumVgprs: 0
; ScratchSize: 0
; MemoryBound: 0
; FloatMode: 240
; IeeeMode: 1
; LDSByteSize: 0 bytes/workgroup (compile time only)
; SGPRBlocks: 0
; VGPRBlocks: 0
; NumSGPRsForWavesPerEU: 6
; NumVGPRsForWavesPerEU: 1
; AccumOffset: 4
; Occupancy: 8
; WaveLimiterHint : 0
; COMPUTE_PGM_RSRC2:SCRATCH_EN: 0
; COMPUTE_PGM_RSRC2:USER_SGPR: 2
; COMPUTE_PGM_RSRC2:TRAP_HANDLER: 0
; COMPUTE_PGM_RSRC2:TGID_X_EN: 1
; COMPUTE_PGM_RSRC2:TGID_Y_EN: 0
; COMPUTE_PGM_RSRC2:TGID_Z_EN: 0
; COMPUTE_PGM_RSRC2:TIDIG_COMP_CNT: 0
; COMPUTE_PGM_RSRC3_GFX90A:ACCUM_OFFSET: 0
; COMPUTE_PGM_RSRC3_GFX90A:TG_SPLIT: 0
	.section	.text._ZN7rocprim17ROCPRIM_400000_NS6detail17trampoline_kernelINS0_14default_configENS1_38merge_sort_block_merge_config_selectorItNS0_10empty_typeEEEZZNS1_27merge_sort_block_merge_implIS3_N6thrust23THRUST_200600_302600_NS6detail15normal_iteratorINS9_10device_ptrItEEEEPS5_jNS1_19radix_merge_compareILb0ELb1EtNS0_19identity_decomposerEEEEE10hipError_tT0_T1_T2_jT3_P12ihipStream_tbPNSt15iterator_traitsISK_E10value_typeEPNSQ_ISL_E10value_typeEPSM_NS1_7vsmem_tEENKUlT_SK_SL_SM_E_clISE_PtSF_SF_EESJ_SZ_SK_SL_SM_EUlSZ_E_NS1_11comp_targetILNS1_3genE9ELNS1_11target_archE1100ELNS1_3gpuE3ELNS1_3repE0EEENS1_48merge_mergepath_partition_config_static_selectorELNS0_4arch9wavefront6targetE1EEEvSL_,"axG",@progbits,_ZN7rocprim17ROCPRIM_400000_NS6detail17trampoline_kernelINS0_14default_configENS1_38merge_sort_block_merge_config_selectorItNS0_10empty_typeEEEZZNS1_27merge_sort_block_merge_implIS3_N6thrust23THRUST_200600_302600_NS6detail15normal_iteratorINS9_10device_ptrItEEEEPS5_jNS1_19radix_merge_compareILb0ELb1EtNS0_19identity_decomposerEEEEE10hipError_tT0_T1_T2_jT3_P12ihipStream_tbPNSt15iterator_traitsISK_E10value_typeEPNSQ_ISL_E10value_typeEPSM_NS1_7vsmem_tEENKUlT_SK_SL_SM_E_clISE_PtSF_SF_EESJ_SZ_SK_SL_SM_EUlSZ_E_NS1_11comp_targetILNS1_3genE9ELNS1_11target_archE1100ELNS1_3gpuE3ELNS1_3repE0EEENS1_48merge_mergepath_partition_config_static_selectorELNS0_4arch9wavefront6targetE1EEEvSL_,comdat
	.protected	_ZN7rocprim17ROCPRIM_400000_NS6detail17trampoline_kernelINS0_14default_configENS1_38merge_sort_block_merge_config_selectorItNS0_10empty_typeEEEZZNS1_27merge_sort_block_merge_implIS3_N6thrust23THRUST_200600_302600_NS6detail15normal_iteratorINS9_10device_ptrItEEEEPS5_jNS1_19radix_merge_compareILb0ELb1EtNS0_19identity_decomposerEEEEE10hipError_tT0_T1_T2_jT3_P12ihipStream_tbPNSt15iterator_traitsISK_E10value_typeEPNSQ_ISL_E10value_typeEPSM_NS1_7vsmem_tEENKUlT_SK_SL_SM_E_clISE_PtSF_SF_EESJ_SZ_SK_SL_SM_EUlSZ_E_NS1_11comp_targetILNS1_3genE9ELNS1_11target_archE1100ELNS1_3gpuE3ELNS1_3repE0EEENS1_48merge_mergepath_partition_config_static_selectorELNS0_4arch9wavefront6targetE1EEEvSL_ ; -- Begin function _ZN7rocprim17ROCPRIM_400000_NS6detail17trampoline_kernelINS0_14default_configENS1_38merge_sort_block_merge_config_selectorItNS0_10empty_typeEEEZZNS1_27merge_sort_block_merge_implIS3_N6thrust23THRUST_200600_302600_NS6detail15normal_iteratorINS9_10device_ptrItEEEEPS5_jNS1_19radix_merge_compareILb0ELb1EtNS0_19identity_decomposerEEEEE10hipError_tT0_T1_T2_jT3_P12ihipStream_tbPNSt15iterator_traitsISK_E10value_typeEPNSQ_ISL_E10value_typeEPSM_NS1_7vsmem_tEENKUlT_SK_SL_SM_E_clISE_PtSF_SF_EESJ_SZ_SK_SL_SM_EUlSZ_E_NS1_11comp_targetILNS1_3genE9ELNS1_11target_archE1100ELNS1_3gpuE3ELNS1_3repE0EEENS1_48merge_mergepath_partition_config_static_selectorELNS0_4arch9wavefront6targetE1EEEvSL_
	.globl	_ZN7rocprim17ROCPRIM_400000_NS6detail17trampoline_kernelINS0_14default_configENS1_38merge_sort_block_merge_config_selectorItNS0_10empty_typeEEEZZNS1_27merge_sort_block_merge_implIS3_N6thrust23THRUST_200600_302600_NS6detail15normal_iteratorINS9_10device_ptrItEEEEPS5_jNS1_19radix_merge_compareILb0ELb1EtNS0_19identity_decomposerEEEEE10hipError_tT0_T1_T2_jT3_P12ihipStream_tbPNSt15iterator_traitsISK_E10value_typeEPNSQ_ISL_E10value_typeEPSM_NS1_7vsmem_tEENKUlT_SK_SL_SM_E_clISE_PtSF_SF_EESJ_SZ_SK_SL_SM_EUlSZ_E_NS1_11comp_targetILNS1_3genE9ELNS1_11target_archE1100ELNS1_3gpuE3ELNS1_3repE0EEENS1_48merge_mergepath_partition_config_static_selectorELNS0_4arch9wavefront6targetE1EEEvSL_
	.p2align	8
	.type	_ZN7rocprim17ROCPRIM_400000_NS6detail17trampoline_kernelINS0_14default_configENS1_38merge_sort_block_merge_config_selectorItNS0_10empty_typeEEEZZNS1_27merge_sort_block_merge_implIS3_N6thrust23THRUST_200600_302600_NS6detail15normal_iteratorINS9_10device_ptrItEEEEPS5_jNS1_19radix_merge_compareILb0ELb1EtNS0_19identity_decomposerEEEEE10hipError_tT0_T1_T2_jT3_P12ihipStream_tbPNSt15iterator_traitsISK_E10value_typeEPNSQ_ISL_E10value_typeEPSM_NS1_7vsmem_tEENKUlT_SK_SL_SM_E_clISE_PtSF_SF_EESJ_SZ_SK_SL_SM_EUlSZ_E_NS1_11comp_targetILNS1_3genE9ELNS1_11target_archE1100ELNS1_3gpuE3ELNS1_3repE0EEENS1_48merge_mergepath_partition_config_static_selectorELNS0_4arch9wavefront6targetE1EEEvSL_,@function
_ZN7rocprim17ROCPRIM_400000_NS6detail17trampoline_kernelINS0_14default_configENS1_38merge_sort_block_merge_config_selectorItNS0_10empty_typeEEEZZNS1_27merge_sort_block_merge_implIS3_N6thrust23THRUST_200600_302600_NS6detail15normal_iteratorINS9_10device_ptrItEEEEPS5_jNS1_19radix_merge_compareILb0ELb1EtNS0_19identity_decomposerEEEEE10hipError_tT0_T1_T2_jT3_P12ihipStream_tbPNSt15iterator_traitsISK_E10value_typeEPNSQ_ISL_E10value_typeEPSM_NS1_7vsmem_tEENKUlT_SK_SL_SM_E_clISE_PtSF_SF_EESJ_SZ_SK_SL_SM_EUlSZ_E_NS1_11comp_targetILNS1_3genE9ELNS1_11target_archE1100ELNS1_3gpuE3ELNS1_3repE0EEENS1_48merge_mergepath_partition_config_static_selectorELNS0_4arch9wavefront6targetE1EEEvSL_: ; @_ZN7rocprim17ROCPRIM_400000_NS6detail17trampoline_kernelINS0_14default_configENS1_38merge_sort_block_merge_config_selectorItNS0_10empty_typeEEEZZNS1_27merge_sort_block_merge_implIS3_N6thrust23THRUST_200600_302600_NS6detail15normal_iteratorINS9_10device_ptrItEEEEPS5_jNS1_19radix_merge_compareILb0ELb1EtNS0_19identity_decomposerEEEEE10hipError_tT0_T1_T2_jT3_P12ihipStream_tbPNSt15iterator_traitsISK_E10value_typeEPNSQ_ISL_E10value_typeEPSM_NS1_7vsmem_tEENKUlT_SK_SL_SM_E_clISE_PtSF_SF_EESJ_SZ_SK_SL_SM_EUlSZ_E_NS1_11comp_targetILNS1_3genE9ELNS1_11target_archE1100ELNS1_3gpuE3ELNS1_3repE0EEENS1_48merge_mergepath_partition_config_static_selectorELNS0_4arch9wavefront6targetE1EEEvSL_
; %bb.0:
	.section	.rodata,"a",@progbits
	.p2align	6, 0x0
	.amdhsa_kernel _ZN7rocprim17ROCPRIM_400000_NS6detail17trampoline_kernelINS0_14default_configENS1_38merge_sort_block_merge_config_selectorItNS0_10empty_typeEEEZZNS1_27merge_sort_block_merge_implIS3_N6thrust23THRUST_200600_302600_NS6detail15normal_iteratorINS9_10device_ptrItEEEEPS5_jNS1_19radix_merge_compareILb0ELb1EtNS0_19identity_decomposerEEEEE10hipError_tT0_T1_T2_jT3_P12ihipStream_tbPNSt15iterator_traitsISK_E10value_typeEPNSQ_ISL_E10value_typeEPSM_NS1_7vsmem_tEENKUlT_SK_SL_SM_E_clISE_PtSF_SF_EESJ_SZ_SK_SL_SM_EUlSZ_E_NS1_11comp_targetILNS1_3genE9ELNS1_11target_archE1100ELNS1_3gpuE3ELNS1_3repE0EEENS1_48merge_mergepath_partition_config_static_selectorELNS0_4arch9wavefront6targetE1EEEvSL_
		.amdhsa_group_segment_fixed_size 0
		.amdhsa_private_segment_fixed_size 0
		.amdhsa_kernarg_size 40
		.amdhsa_user_sgpr_count 2
		.amdhsa_user_sgpr_dispatch_ptr 0
		.amdhsa_user_sgpr_queue_ptr 0
		.amdhsa_user_sgpr_kernarg_segment_ptr 1
		.amdhsa_user_sgpr_dispatch_id 0
		.amdhsa_user_sgpr_kernarg_preload_length 0
		.amdhsa_user_sgpr_kernarg_preload_offset 0
		.amdhsa_user_sgpr_private_segment_size 0
		.amdhsa_uses_dynamic_stack 0
		.amdhsa_enable_private_segment 0
		.amdhsa_system_sgpr_workgroup_id_x 1
		.amdhsa_system_sgpr_workgroup_id_y 0
		.amdhsa_system_sgpr_workgroup_id_z 0
		.amdhsa_system_sgpr_workgroup_info 0
		.amdhsa_system_vgpr_workitem_id 0
		.amdhsa_next_free_vgpr 1
		.amdhsa_next_free_sgpr 0
		.amdhsa_accum_offset 4
		.amdhsa_reserve_vcc 0
		.amdhsa_float_round_mode_32 0
		.amdhsa_float_round_mode_16_64 0
		.amdhsa_float_denorm_mode_32 3
		.amdhsa_float_denorm_mode_16_64 3
		.amdhsa_dx10_clamp 1
		.amdhsa_ieee_mode 1
		.amdhsa_fp16_overflow 0
		.amdhsa_tg_split 0
		.amdhsa_exception_fp_ieee_invalid_op 0
		.amdhsa_exception_fp_denorm_src 0
		.amdhsa_exception_fp_ieee_div_zero 0
		.amdhsa_exception_fp_ieee_overflow 0
		.amdhsa_exception_fp_ieee_underflow 0
		.amdhsa_exception_fp_ieee_inexact 0
		.amdhsa_exception_int_div_zero 0
	.end_amdhsa_kernel
	.section	.text._ZN7rocprim17ROCPRIM_400000_NS6detail17trampoline_kernelINS0_14default_configENS1_38merge_sort_block_merge_config_selectorItNS0_10empty_typeEEEZZNS1_27merge_sort_block_merge_implIS3_N6thrust23THRUST_200600_302600_NS6detail15normal_iteratorINS9_10device_ptrItEEEEPS5_jNS1_19radix_merge_compareILb0ELb1EtNS0_19identity_decomposerEEEEE10hipError_tT0_T1_T2_jT3_P12ihipStream_tbPNSt15iterator_traitsISK_E10value_typeEPNSQ_ISL_E10value_typeEPSM_NS1_7vsmem_tEENKUlT_SK_SL_SM_E_clISE_PtSF_SF_EESJ_SZ_SK_SL_SM_EUlSZ_E_NS1_11comp_targetILNS1_3genE9ELNS1_11target_archE1100ELNS1_3gpuE3ELNS1_3repE0EEENS1_48merge_mergepath_partition_config_static_selectorELNS0_4arch9wavefront6targetE1EEEvSL_,"axG",@progbits,_ZN7rocprim17ROCPRIM_400000_NS6detail17trampoline_kernelINS0_14default_configENS1_38merge_sort_block_merge_config_selectorItNS0_10empty_typeEEEZZNS1_27merge_sort_block_merge_implIS3_N6thrust23THRUST_200600_302600_NS6detail15normal_iteratorINS9_10device_ptrItEEEEPS5_jNS1_19radix_merge_compareILb0ELb1EtNS0_19identity_decomposerEEEEE10hipError_tT0_T1_T2_jT3_P12ihipStream_tbPNSt15iterator_traitsISK_E10value_typeEPNSQ_ISL_E10value_typeEPSM_NS1_7vsmem_tEENKUlT_SK_SL_SM_E_clISE_PtSF_SF_EESJ_SZ_SK_SL_SM_EUlSZ_E_NS1_11comp_targetILNS1_3genE9ELNS1_11target_archE1100ELNS1_3gpuE3ELNS1_3repE0EEENS1_48merge_mergepath_partition_config_static_selectorELNS0_4arch9wavefront6targetE1EEEvSL_,comdat
.Lfunc_end1293:
	.size	_ZN7rocprim17ROCPRIM_400000_NS6detail17trampoline_kernelINS0_14default_configENS1_38merge_sort_block_merge_config_selectorItNS0_10empty_typeEEEZZNS1_27merge_sort_block_merge_implIS3_N6thrust23THRUST_200600_302600_NS6detail15normal_iteratorINS9_10device_ptrItEEEEPS5_jNS1_19radix_merge_compareILb0ELb1EtNS0_19identity_decomposerEEEEE10hipError_tT0_T1_T2_jT3_P12ihipStream_tbPNSt15iterator_traitsISK_E10value_typeEPNSQ_ISL_E10value_typeEPSM_NS1_7vsmem_tEENKUlT_SK_SL_SM_E_clISE_PtSF_SF_EESJ_SZ_SK_SL_SM_EUlSZ_E_NS1_11comp_targetILNS1_3genE9ELNS1_11target_archE1100ELNS1_3gpuE3ELNS1_3repE0EEENS1_48merge_mergepath_partition_config_static_selectorELNS0_4arch9wavefront6targetE1EEEvSL_, .Lfunc_end1293-_ZN7rocprim17ROCPRIM_400000_NS6detail17trampoline_kernelINS0_14default_configENS1_38merge_sort_block_merge_config_selectorItNS0_10empty_typeEEEZZNS1_27merge_sort_block_merge_implIS3_N6thrust23THRUST_200600_302600_NS6detail15normal_iteratorINS9_10device_ptrItEEEEPS5_jNS1_19radix_merge_compareILb0ELb1EtNS0_19identity_decomposerEEEEE10hipError_tT0_T1_T2_jT3_P12ihipStream_tbPNSt15iterator_traitsISK_E10value_typeEPNSQ_ISL_E10value_typeEPSM_NS1_7vsmem_tEENKUlT_SK_SL_SM_E_clISE_PtSF_SF_EESJ_SZ_SK_SL_SM_EUlSZ_E_NS1_11comp_targetILNS1_3genE9ELNS1_11target_archE1100ELNS1_3gpuE3ELNS1_3repE0EEENS1_48merge_mergepath_partition_config_static_selectorELNS0_4arch9wavefront6targetE1EEEvSL_
                                        ; -- End function
	.section	.AMDGPU.csdata,"",@progbits
; Kernel info:
; codeLenInByte = 0
; NumSgprs: 6
; NumVgprs: 0
; NumAgprs: 0
; TotalNumVgprs: 0
; ScratchSize: 0
; MemoryBound: 0
; FloatMode: 240
; IeeeMode: 1
; LDSByteSize: 0 bytes/workgroup (compile time only)
; SGPRBlocks: 0
; VGPRBlocks: 0
; NumSGPRsForWavesPerEU: 6
; NumVGPRsForWavesPerEU: 1
; AccumOffset: 4
; Occupancy: 8
; WaveLimiterHint : 0
; COMPUTE_PGM_RSRC2:SCRATCH_EN: 0
; COMPUTE_PGM_RSRC2:USER_SGPR: 2
; COMPUTE_PGM_RSRC2:TRAP_HANDLER: 0
; COMPUTE_PGM_RSRC2:TGID_X_EN: 1
; COMPUTE_PGM_RSRC2:TGID_Y_EN: 0
; COMPUTE_PGM_RSRC2:TGID_Z_EN: 0
; COMPUTE_PGM_RSRC2:TIDIG_COMP_CNT: 0
; COMPUTE_PGM_RSRC3_GFX90A:ACCUM_OFFSET: 0
; COMPUTE_PGM_RSRC3_GFX90A:TG_SPLIT: 0
	.section	.text._ZN7rocprim17ROCPRIM_400000_NS6detail17trampoline_kernelINS0_14default_configENS1_38merge_sort_block_merge_config_selectorItNS0_10empty_typeEEEZZNS1_27merge_sort_block_merge_implIS3_N6thrust23THRUST_200600_302600_NS6detail15normal_iteratorINS9_10device_ptrItEEEEPS5_jNS1_19radix_merge_compareILb0ELb1EtNS0_19identity_decomposerEEEEE10hipError_tT0_T1_T2_jT3_P12ihipStream_tbPNSt15iterator_traitsISK_E10value_typeEPNSQ_ISL_E10value_typeEPSM_NS1_7vsmem_tEENKUlT_SK_SL_SM_E_clISE_PtSF_SF_EESJ_SZ_SK_SL_SM_EUlSZ_E_NS1_11comp_targetILNS1_3genE8ELNS1_11target_archE1030ELNS1_3gpuE2ELNS1_3repE0EEENS1_48merge_mergepath_partition_config_static_selectorELNS0_4arch9wavefront6targetE1EEEvSL_,"axG",@progbits,_ZN7rocprim17ROCPRIM_400000_NS6detail17trampoline_kernelINS0_14default_configENS1_38merge_sort_block_merge_config_selectorItNS0_10empty_typeEEEZZNS1_27merge_sort_block_merge_implIS3_N6thrust23THRUST_200600_302600_NS6detail15normal_iteratorINS9_10device_ptrItEEEEPS5_jNS1_19radix_merge_compareILb0ELb1EtNS0_19identity_decomposerEEEEE10hipError_tT0_T1_T2_jT3_P12ihipStream_tbPNSt15iterator_traitsISK_E10value_typeEPNSQ_ISL_E10value_typeEPSM_NS1_7vsmem_tEENKUlT_SK_SL_SM_E_clISE_PtSF_SF_EESJ_SZ_SK_SL_SM_EUlSZ_E_NS1_11comp_targetILNS1_3genE8ELNS1_11target_archE1030ELNS1_3gpuE2ELNS1_3repE0EEENS1_48merge_mergepath_partition_config_static_selectorELNS0_4arch9wavefront6targetE1EEEvSL_,comdat
	.protected	_ZN7rocprim17ROCPRIM_400000_NS6detail17trampoline_kernelINS0_14default_configENS1_38merge_sort_block_merge_config_selectorItNS0_10empty_typeEEEZZNS1_27merge_sort_block_merge_implIS3_N6thrust23THRUST_200600_302600_NS6detail15normal_iteratorINS9_10device_ptrItEEEEPS5_jNS1_19radix_merge_compareILb0ELb1EtNS0_19identity_decomposerEEEEE10hipError_tT0_T1_T2_jT3_P12ihipStream_tbPNSt15iterator_traitsISK_E10value_typeEPNSQ_ISL_E10value_typeEPSM_NS1_7vsmem_tEENKUlT_SK_SL_SM_E_clISE_PtSF_SF_EESJ_SZ_SK_SL_SM_EUlSZ_E_NS1_11comp_targetILNS1_3genE8ELNS1_11target_archE1030ELNS1_3gpuE2ELNS1_3repE0EEENS1_48merge_mergepath_partition_config_static_selectorELNS0_4arch9wavefront6targetE1EEEvSL_ ; -- Begin function _ZN7rocprim17ROCPRIM_400000_NS6detail17trampoline_kernelINS0_14default_configENS1_38merge_sort_block_merge_config_selectorItNS0_10empty_typeEEEZZNS1_27merge_sort_block_merge_implIS3_N6thrust23THRUST_200600_302600_NS6detail15normal_iteratorINS9_10device_ptrItEEEEPS5_jNS1_19radix_merge_compareILb0ELb1EtNS0_19identity_decomposerEEEEE10hipError_tT0_T1_T2_jT3_P12ihipStream_tbPNSt15iterator_traitsISK_E10value_typeEPNSQ_ISL_E10value_typeEPSM_NS1_7vsmem_tEENKUlT_SK_SL_SM_E_clISE_PtSF_SF_EESJ_SZ_SK_SL_SM_EUlSZ_E_NS1_11comp_targetILNS1_3genE8ELNS1_11target_archE1030ELNS1_3gpuE2ELNS1_3repE0EEENS1_48merge_mergepath_partition_config_static_selectorELNS0_4arch9wavefront6targetE1EEEvSL_
	.globl	_ZN7rocprim17ROCPRIM_400000_NS6detail17trampoline_kernelINS0_14default_configENS1_38merge_sort_block_merge_config_selectorItNS0_10empty_typeEEEZZNS1_27merge_sort_block_merge_implIS3_N6thrust23THRUST_200600_302600_NS6detail15normal_iteratorINS9_10device_ptrItEEEEPS5_jNS1_19radix_merge_compareILb0ELb1EtNS0_19identity_decomposerEEEEE10hipError_tT0_T1_T2_jT3_P12ihipStream_tbPNSt15iterator_traitsISK_E10value_typeEPNSQ_ISL_E10value_typeEPSM_NS1_7vsmem_tEENKUlT_SK_SL_SM_E_clISE_PtSF_SF_EESJ_SZ_SK_SL_SM_EUlSZ_E_NS1_11comp_targetILNS1_3genE8ELNS1_11target_archE1030ELNS1_3gpuE2ELNS1_3repE0EEENS1_48merge_mergepath_partition_config_static_selectorELNS0_4arch9wavefront6targetE1EEEvSL_
	.p2align	8
	.type	_ZN7rocprim17ROCPRIM_400000_NS6detail17trampoline_kernelINS0_14default_configENS1_38merge_sort_block_merge_config_selectorItNS0_10empty_typeEEEZZNS1_27merge_sort_block_merge_implIS3_N6thrust23THRUST_200600_302600_NS6detail15normal_iteratorINS9_10device_ptrItEEEEPS5_jNS1_19radix_merge_compareILb0ELb1EtNS0_19identity_decomposerEEEEE10hipError_tT0_T1_T2_jT3_P12ihipStream_tbPNSt15iterator_traitsISK_E10value_typeEPNSQ_ISL_E10value_typeEPSM_NS1_7vsmem_tEENKUlT_SK_SL_SM_E_clISE_PtSF_SF_EESJ_SZ_SK_SL_SM_EUlSZ_E_NS1_11comp_targetILNS1_3genE8ELNS1_11target_archE1030ELNS1_3gpuE2ELNS1_3repE0EEENS1_48merge_mergepath_partition_config_static_selectorELNS0_4arch9wavefront6targetE1EEEvSL_,@function
_ZN7rocprim17ROCPRIM_400000_NS6detail17trampoline_kernelINS0_14default_configENS1_38merge_sort_block_merge_config_selectorItNS0_10empty_typeEEEZZNS1_27merge_sort_block_merge_implIS3_N6thrust23THRUST_200600_302600_NS6detail15normal_iteratorINS9_10device_ptrItEEEEPS5_jNS1_19radix_merge_compareILb0ELb1EtNS0_19identity_decomposerEEEEE10hipError_tT0_T1_T2_jT3_P12ihipStream_tbPNSt15iterator_traitsISK_E10value_typeEPNSQ_ISL_E10value_typeEPSM_NS1_7vsmem_tEENKUlT_SK_SL_SM_E_clISE_PtSF_SF_EESJ_SZ_SK_SL_SM_EUlSZ_E_NS1_11comp_targetILNS1_3genE8ELNS1_11target_archE1030ELNS1_3gpuE2ELNS1_3repE0EEENS1_48merge_mergepath_partition_config_static_selectorELNS0_4arch9wavefront6targetE1EEEvSL_: ; @_ZN7rocprim17ROCPRIM_400000_NS6detail17trampoline_kernelINS0_14default_configENS1_38merge_sort_block_merge_config_selectorItNS0_10empty_typeEEEZZNS1_27merge_sort_block_merge_implIS3_N6thrust23THRUST_200600_302600_NS6detail15normal_iteratorINS9_10device_ptrItEEEEPS5_jNS1_19radix_merge_compareILb0ELb1EtNS0_19identity_decomposerEEEEE10hipError_tT0_T1_T2_jT3_P12ihipStream_tbPNSt15iterator_traitsISK_E10value_typeEPNSQ_ISL_E10value_typeEPSM_NS1_7vsmem_tEENKUlT_SK_SL_SM_E_clISE_PtSF_SF_EESJ_SZ_SK_SL_SM_EUlSZ_E_NS1_11comp_targetILNS1_3genE8ELNS1_11target_archE1030ELNS1_3gpuE2ELNS1_3repE0EEENS1_48merge_mergepath_partition_config_static_selectorELNS0_4arch9wavefront6targetE1EEEvSL_
; %bb.0:
	.section	.rodata,"a",@progbits
	.p2align	6, 0x0
	.amdhsa_kernel _ZN7rocprim17ROCPRIM_400000_NS6detail17trampoline_kernelINS0_14default_configENS1_38merge_sort_block_merge_config_selectorItNS0_10empty_typeEEEZZNS1_27merge_sort_block_merge_implIS3_N6thrust23THRUST_200600_302600_NS6detail15normal_iteratorINS9_10device_ptrItEEEEPS5_jNS1_19radix_merge_compareILb0ELb1EtNS0_19identity_decomposerEEEEE10hipError_tT0_T1_T2_jT3_P12ihipStream_tbPNSt15iterator_traitsISK_E10value_typeEPNSQ_ISL_E10value_typeEPSM_NS1_7vsmem_tEENKUlT_SK_SL_SM_E_clISE_PtSF_SF_EESJ_SZ_SK_SL_SM_EUlSZ_E_NS1_11comp_targetILNS1_3genE8ELNS1_11target_archE1030ELNS1_3gpuE2ELNS1_3repE0EEENS1_48merge_mergepath_partition_config_static_selectorELNS0_4arch9wavefront6targetE1EEEvSL_
		.amdhsa_group_segment_fixed_size 0
		.amdhsa_private_segment_fixed_size 0
		.amdhsa_kernarg_size 40
		.amdhsa_user_sgpr_count 2
		.amdhsa_user_sgpr_dispatch_ptr 0
		.amdhsa_user_sgpr_queue_ptr 0
		.amdhsa_user_sgpr_kernarg_segment_ptr 1
		.amdhsa_user_sgpr_dispatch_id 0
		.amdhsa_user_sgpr_kernarg_preload_length 0
		.amdhsa_user_sgpr_kernarg_preload_offset 0
		.amdhsa_user_sgpr_private_segment_size 0
		.amdhsa_uses_dynamic_stack 0
		.amdhsa_enable_private_segment 0
		.amdhsa_system_sgpr_workgroup_id_x 1
		.amdhsa_system_sgpr_workgroup_id_y 0
		.amdhsa_system_sgpr_workgroup_id_z 0
		.amdhsa_system_sgpr_workgroup_info 0
		.amdhsa_system_vgpr_workitem_id 0
		.amdhsa_next_free_vgpr 1
		.amdhsa_next_free_sgpr 0
		.amdhsa_accum_offset 4
		.amdhsa_reserve_vcc 0
		.amdhsa_float_round_mode_32 0
		.amdhsa_float_round_mode_16_64 0
		.amdhsa_float_denorm_mode_32 3
		.amdhsa_float_denorm_mode_16_64 3
		.amdhsa_dx10_clamp 1
		.amdhsa_ieee_mode 1
		.amdhsa_fp16_overflow 0
		.amdhsa_tg_split 0
		.amdhsa_exception_fp_ieee_invalid_op 0
		.amdhsa_exception_fp_denorm_src 0
		.amdhsa_exception_fp_ieee_div_zero 0
		.amdhsa_exception_fp_ieee_overflow 0
		.amdhsa_exception_fp_ieee_underflow 0
		.amdhsa_exception_fp_ieee_inexact 0
		.amdhsa_exception_int_div_zero 0
	.end_amdhsa_kernel
	.section	.text._ZN7rocprim17ROCPRIM_400000_NS6detail17trampoline_kernelINS0_14default_configENS1_38merge_sort_block_merge_config_selectorItNS0_10empty_typeEEEZZNS1_27merge_sort_block_merge_implIS3_N6thrust23THRUST_200600_302600_NS6detail15normal_iteratorINS9_10device_ptrItEEEEPS5_jNS1_19radix_merge_compareILb0ELb1EtNS0_19identity_decomposerEEEEE10hipError_tT0_T1_T2_jT3_P12ihipStream_tbPNSt15iterator_traitsISK_E10value_typeEPNSQ_ISL_E10value_typeEPSM_NS1_7vsmem_tEENKUlT_SK_SL_SM_E_clISE_PtSF_SF_EESJ_SZ_SK_SL_SM_EUlSZ_E_NS1_11comp_targetILNS1_3genE8ELNS1_11target_archE1030ELNS1_3gpuE2ELNS1_3repE0EEENS1_48merge_mergepath_partition_config_static_selectorELNS0_4arch9wavefront6targetE1EEEvSL_,"axG",@progbits,_ZN7rocprim17ROCPRIM_400000_NS6detail17trampoline_kernelINS0_14default_configENS1_38merge_sort_block_merge_config_selectorItNS0_10empty_typeEEEZZNS1_27merge_sort_block_merge_implIS3_N6thrust23THRUST_200600_302600_NS6detail15normal_iteratorINS9_10device_ptrItEEEEPS5_jNS1_19radix_merge_compareILb0ELb1EtNS0_19identity_decomposerEEEEE10hipError_tT0_T1_T2_jT3_P12ihipStream_tbPNSt15iterator_traitsISK_E10value_typeEPNSQ_ISL_E10value_typeEPSM_NS1_7vsmem_tEENKUlT_SK_SL_SM_E_clISE_PtSF_SF_EESJ_SZ_SK_SL_SM_EUlSZ_E_NS1_11comp_targetILNS1_3genE8ELNS1_11target_archE1030ELNS1_3gpuE2ELNS1_3repE0EEENS1_48merge_mergepath_partition_config_static_selectorELNS0_4arch9wavefront6targetE1EEEvSL_,comdat
.Lfunc_end1294:
	.size	_ZN7rocprim17ROCPRIM_400000_NS6detail17trampoline_kernelINS0_14default_configENS1_38merge_sort_block_merge_config_selectorItNS0_10empty_typeEEEZZNS1_27merge_sort_block_merge_implIS3_N6thrust23THRUST_200600_302600_NS6detail15normal_iteratorINS9_10device_ptrItEEEEPS5_jNS1_19radix_merge_compareILb0ELb1EtNS0_19identity_decomposerEEEEE10hipError_tT0_T1_T2_jT3_P12ihipStream_tbPNSt15iterator_traitsISK_E10value_typeEPNSQ_ISL_E10value_typeEPSM_NS1_7vsmem_tEENKUlT_SK_SL_SM_E_clISE_PtSF_SF_EESJ_SZ_SK_SL_SM_EUlSZ_E_NS1_11comp_targetILNS1_3genE8ELNS1_11target_archE1030ELNS1_3gpuE2ELNS1_3repE0EEENS1_48merge_mergepath_partition_config_static_selectorELNS0_4arch9wavefront6targetE1EEEvSL_, .Lfunc_end1294-_ZN7rocprim17ROCPRIM_400000_NS6detail17trampoline_kernelINS0_14default_configENS1_38merge_sort_block_merge_config_selectorItNS0_10empty_typeEEEZZNS1_27merge_sort_block_merge_implIS3_N6thrust23THRUST_200600_302600_NS6detail15normal_iteratorINS9_10device_ptrItEEEEPS5_jNS1_19radix_merge_compareILb0ELb1EtNS0_19identity_decomposerEEEEE10hipError_tT0_T1_T2_jT3_P12ihipStream_tbPNSt15iterator_traitsISK_E10value_typeEPNSQ_ISL_E10value_typeEPSM_NS1_7vsmem_tEENKUlT_SK_SL_SM_E_clISE_PtSF_SF_EESJ_SZ_SK_SL_SM_EUlSZ_E_NS1_11comp_targetILNS1_3genE8ELNS1_11target_archE1030ELNS1_3gpuE2ELNS1_3repE0EEENS1_48merge_mergepath_partition_config_static_selectorELNS0_4arch9wavefront6targetE1EEEvSL_
                                        ; -- End function
	.section	.AMDGPU.csdata,"",@progbits
; Kernel info:
; codeLenInByte = 0
; NumSgprs: 6
; NumVgprs: 0
; NumAgprs: 0
; TotalNumVgprs: 0
; ScratchSize: 0
; MemoryBound: 0
; FloatMode: 240
; IeeeMode: 1
; LDSByteSize: 0 bytes/workgroup (compile time only)
; SGPRBlocks: 0
; VGPRBlocks: 0
; NumSGPRsForWavesPerEU: 6
; NumVGPRsForWavesPerEU: 1
; AccumOffset: 4
; Occupancy: 8
; WaveLimiterHint : 0
; COMPUTE_PGM_RSRC2:SCRATCH_EN: 0
; COMPUTE_PGM_RSRC2:USER_SGPR: 2
; COMPUTE_PGM_RSRC2:TRAP_HANDLER: 0
; COMPUTE_PGM_RSRC2:TGID_X_EN: 1
; COMPUTE_PGM_RSRC2:TGID_Y_EN: 0
; COMPUTE_PGM_RSRC2:TGID_Z_EN: 0
; COMPUTE_PGM_RSRC2:TIDIG_COMP_CNT: 0
; COMPUTE_PGM_RSRC3_GFX90A:ACCUM_OFFSET: 0
; COMPUTE_PGM_RSRC3_GFX90A:TG_SPLIT: 0
	.section	.text._ZN7rocprim17ROCPRIM_400000_NS6detail17trampoline_kernelINS0_14default_configENS1_38merge_sort_block_merge_config_selectorItNS0_10empty_typeEEEZZNS1_27merge_sort_block_merge_implIS3_N6thrust23THRUST_200600_302600_NS6detail15normal_iteratorINS9_10device_ptrItEEEEPS5_jNS1_19radix_merge_compareILb0ELb1EtNS0_19identity_decomposerEEEEE10hipError_tT0_T1_T2_jT3_P12ihipStream_tbPNSt15iterator_traitsISK_E10value_typeEPNSQ_ISL_E10value_typeEPSM_NS1_7vsmem_tEENKUlT_SK_SL_SM_E_clISE_PtSF_SF_EESJ_SZ_SK_SL_SM_EUlSZ_E0_NS1_11comp_targetILNS1_3genE0ELNS1_11target_archE4294967295ELNS1_3gpuE0ELNS1_3repE0EEENS1_38merge_mergepath_config_static_selectorELNS0_4arch9wavefront6targetE1EEEvSL_,"axG",@progbits,_ZN7rocprim17ROCPRIM_400000_NS6detail17trampoline_kernelINS0_14default_configENS1_38merge_sort_block_merge_config_selectorItNS0_10empty_typeEEEZZNS1_27merge_sort_block_merge_implIS3_N6thrust23THRUST_200600_302600_NS6detail15normal_iteratorINS9_10device_ptrItEEEEPS5_jNS1_19radix_merge_compareILb0ELb1EtNS0_19identity_decomposerEEEEE10hipError_tT0_T1_T2_jT3_P12ihipStream_tbPNSt15iterator_traitsISK_E10value_typeEPNSQ_ISL_E10value_typeEPSM_NS1_7vsmem_tEENKUlT_SK_SL_SM_E_clISE_PtSF_SF_EESJ_SZ_SK_SL_SM_EUlSZ_E0_NS1_11comp_targetILNS1_3genE0ELNS1_11target_archE4294967295ELNS1_3gpuE0ELNS1_3repE0EEENS1_38merge_mergepath_config_static_selectorELNS0_4arch9wavefront6targetE1EEEvSL_,comdat
	.protected	_ZN7rocprim17ROCPRIM_400000_NS6detail17trampoline_kernelINS0_14default_configENS1_38merge_sort_block_merge_config_selectorItNS0_10empty_typeEEEZZNS1_27merge_sort_block_merge_implIS3_N6thrust23THRUST_200600_302600_NS6detail15normal_iteratorINS9_10device_ptrItEEEEPS5_jNS1_19radix_merge_compareILb0ELb1EtNS0_19identity_decomposerEEEEE10hipError_tT0_T1_T2_jT3_P12ihipStream_tbPNSt15iterator_traitsISK_E10value_typeEPNSQ_ISL_E10value_typeEPSM_NS1_7vsmem_tEENKUlT_SK_SL_SM_E_clISE_PtSF_SF_EESJ_SZ_SK_SL_SM_EUlSZ_E0_NS1_11comp_targetILNS1_3genE0ELNS1_11target_archE4294967295ELNS1_3gpuE0ELNS1_3repE0EEENS1_38merge_mergepath_config_static_selectorELNS0_4arch9wavefront6targetE1EEEvSL_ ; -- Begin function _ZN7rocprim17ROCPRIM_400000_NS6detail17trampoline_kernelINS0_14default_configENS1_38merge_sort_block_merge_config_selectorItNS0_10empty_typeEEEZZNS1_27merge_sort_block_merge_implIS3_N6thrust23THRUST_200600_302600_NS6detail15normal_iteratorINS9_10device_ptrItEEEEPS5_jNS1_19radix_merge_compareILb0ELb1EtNS0_19identity_decomposerEEEEE10hipError_tT0_T1_T2_jT3_P12ihipStream_tbPNSt15iterator_traitsISK_E10value_typeEPNSQ_ISL_E10value_typeEPSM_NS1_7vsmem_tEENKUlT_SK_SL_SM_E_clISE_PtSF_SF_EESJ_SZ_SK_SL_SM_EUlSZ_E0_NS1_11comp_targetILNS1_3genE0ELNS1_11target_archE4294967295ELNS1_3gpuE0ELNS1_3repE0EEENS1_38merge_mergepath_config_static_selectorELNS0_4arch9wavefront6targetE1EEEvSL_
	.globl	_ZN7rocprim17ROCPRIM_400000_NS6detail17trampoline_kernelINS0_14default_configENS1_38merge_sort_block_merge_config_selectorItNS0_10empty_typeEEEZZNS1_27merge_sort_block_merge_implIS3_N6thrust23THRUST_200600_302600_NS6detail15normal_iteratorINS9_10device_ptrItEEEEPS5_jNS1_19radix_merge_compareILb0ELb1EtNS0_19identity_decomposerEEEEE10hipError_tT0_T1_T2_jT3_P12ihipStream_tbPNSt15iterator_traitsISK_E10value_typeEPNSQ_ISL_E10value_typeEPSM_NS1_7vsmem_tEENKUlT_SK_SL_SM_E_clISE_PtSF_SF_EESJ_SZ_SK_SL_SM_EUlSZ_E0_NS1_11comp_targetILNS1_3genE0ELNS1_11target_archE4294967295ELNS1_3gpuE0ELNS1_3repE0EEENS1_38merge_mergepath_config_static_selectorELNS0_4arch9wavefront6targetE1EEEvSL_
	.p2align	8
	.type	_ZN7rocprim17ROCPRIM_400000_NS6detail17trampoline_kernelINS0_14default_configENS1_38merge_sort_block_merge_config_selectorItNS0_10empty_typeEEEZZNS1_27merge_sort_block_merge_implIS3_N6thrust23THRUST_200600_302600_NS6detail15normal_iteratorINS9_10device_ptrItEEEEPS5_jNS1_19radix_merge_compareILb0ELb1EtNS0_19identity_decomposerEEEEE10hipError_tT0_T1_T2_jT3_P12ihipStream_tbPNSt15iterator_traitsISK_E10value_typeEPNSQ_ISL_E10value_typeEPSM_NS1_7vsmem_tEENKUlT_SK_SL_SM_E_clISE_PtSF_SF_EESJ_SZ_SK_SL_SM_EUlSZ_E0_NS1_11comp_targetILNS1_3genE0ELNS1_11target_archE4294967295ELNS1_3gpuE0ELNS1_3repE0EEENS1_38merge_mergepath_config_static_selectorELNS0_4arch9wavefront6targetE1EEEvSL_,@function
_ZN7rocprim17ROCPRIM_400000_NS6detail17trampoline_kernelINS0_14default_configENS1_38merge_sort_block_merge_config_selectorItNS0_10empty_typeEEEZZNS1_27merge_sort_block_merge_implIS3_N6thrust23THRUST_200600_302600_NS6detail15normal_iteratorINS9_10device_ptrItEEEEPS5_jNS1_19radix_merge_compareILb0ELb1EtNS0_19identity_decomposerEEEEE10hipError_tT0_T1_T2_jT3_P12ihipStream_tbPNSt15iterator_traitsISK_E10value_typeEPNSQ_ISL_E10value_typeEPSM_NS1_7vsmem_tEENKUlT_SK_SL_SM_E_clISE_PtSF_SF_EESJ_SZ_SK_SL_SM_EUlSZ_E0_NS1_11comp_targetILNS1_3genE0ELNS1_11target_archE4294967295ELNS1_3gpuE0ELNS1_3repE0EEENS1_38merge_mergepath_config_static_selectorELNS0_4arch9wavefront6targetE1EEEvSL_: ; @_ZN7rocprim17ROCPRIM_400000_NS6detail17trampoline_kernelINS0_14default_configENS1_38merge_sort_block_merge_config_selectorItNS0_10empty_typeEEEZZNS1_27merge_sort_block_merge_implIS3_N6thrust23THRUST_200600_302600_NS6detail15normal_iteratorINS9_10device_ptrItEEEEPS5_jNS1_19radix_merge_compareILb0ELb1EtNS0_19identity_decomposerEEEEE10hipError_tT0_T1_T2_jT3_P12ihipStream_tbPNSt15iterator_traitsISK_E10value_typeEPNSQ_ISL_E10value_typeEPSM_NS1_7vsmem_tEENKUlT_SK_SL_SM_E_clISE_PtSF_SF_EESJ_SZ_SK_SL_SM_EUlSZ_E0_NS1_11comp_targetILNS1_3genE0ELNS1_11target_archE4294967295ELNS1_3gpuE0ELNS1_3repE0EEENS1_38merge_mergepath_config_static_selectorELNS0_4arch9wavefront6targetE1EEEvSL_
; %bb.0:
	.section	.rodata,"a",@progbits
	.p2align	6, 0x0
	.amdhsa_kernel _ZN7rocprim17ROCPRIM_400000_NS6detail17trampoline_kernelINS0_14default_configENS1_38merge_sort_block_merge_config_selectorItNS0_10empty_typeEEEZZNS1_27merge_sort_block_merge_implIS3_N6thrust23THRUST_200600_302600_NS6detail15normal_iteratorINS9_10device_ptrItEEEEPS5_jNS1_19radix_merge_compareILb0ELb1EtNS0_19identity_decomposerEEEEE10hipError_tT0_T1_T2_jT3_P12ihipStream_tbPNSt15iterator_traitsISK_E10value_typeEPNSQ_ISL_E10value_typeEPSM_NS1_7vsmem_tEENKUlT_SK_SL_SM_E_clISE_PtSF_SF_EESJ_SZ_SK_SL_SM_EUlSZ_E0_NS1_11comp_targetILNS1_3genE0ELNS1_11target_archE4294967295ELNS1_3gpuE0ELNS1_3repE0EEENS1_38merge_mergepath_config_static_selectorELNS0_4arch9wavefront6targetE1EEEvSL_
		.amdhsa_group_segment_fixed_size 0
		.amdhsa_private_segment_fixed_size 0
		.amdhsa_kernarg_size 64
		.amdhsa_user_sgpr_count 2
		.amdhsa_user_sgpr_dispatch_ptr 0
		.amdhsa_user_sgpr_queue_ptr 0
		.amdhsa_user_sgpr_kernarg_segment_ptr 1
		.amdhsa_user_sgpr_dispatch_id 0
		.amdhsa_user_sgpr_kernarg_preload_length 0
		.amdhsa_user_sgpr_kernarg_preload_offset 0
		.amdhsa_user_sgpr_private_segment_size 0
		.amdhsa_uses_dynamic_stack 0
		.amdhsa_enable_private_segment 0
		.amdhsa_system_sgpr_workgroup_id_x 1
		.amdhsa_system_sgpr_workgroup_id_y 0
		.amdhsa_system_sgpr_workgroup_id_z 0
		.amdhsa_system_sgpr_workgroup_info 0
		.amdhsa_system_vgpr_workitem_id 0
		.amdhsa_next_free_vgpr 1
		.amdhsa_next_free_sgpr 0
		.amdhsa_accum_offset 4
		.amdhsa_reserve_vcc 0
		.amdhsa_float_round_mode_32 0
		.amdhsa_float_round_mode_16_64 0
		.amdhsa_float_denorm_mode_32 3
		.amdhsa_float_denorm_mode_16_64 3
		.amdhsa_dx10_clamp 1
		.amdhsa_ieee_mode 1
		.amdhsa_fp16_overflow 0
		.amdhsa_tg_split 0
		.amdhsa_exception_fp_ieee_invalid_op 0
		.amdhsa_exception_fp_denorm_src 0
		.amdhsa_exception_fp_ieee_div_zero 0
		.amdhsa_exception_fp_ieee_overflow 0
		.amdhsa_exception_fp_ieee_underflow 0
		.amdhsa_exception_fp_ieee_inexact 0
		.amdhsa_exception_int_div_zero 0
	.end_amdhsa_kernel
	.section	.text._ZN7rocprim17ROCPRIM_400000_NS6detail17trampoline_kernelINS0_14default_configENS1_38merge_sort_block_merge_config_selectorItNS0_10empty_typeEEEZZNS1_27merge_sort_block_merge_implIS3_N6thrust23THRUST_200600_302600_NS6detail15normal_iteratorINS9_10device_ptrItEEEEPS5_jNS1_19radix_merge_compareILb0ELb1EtNS0_19identity_decomposerEEEEE10hipError_tT0_T1_T2_jT3_P12ihipStream_tbPNSt15iterator_traitsISK_E10value_typeEPNSQ_ISL_E10value_typeEPSM_NS1_7vsmem_tEENKUlT_SK_SL_SM_E_clISE_PtSF_SF_EESJ_SZ_SK_SL_SM_EUlSZ_E0_NS1_11comp_targetILNS1_3genE0ELNS1_11target_archE4294967295ELNS1_3gpuE0ELNS1_3repE0EEENS1_38merge_mergepath_config_static_selectorELNS0_4arch9wavefront6targetE1EEEvSL_,"axG",@progbits,_ZN7rocprim17ROCPRIM_400000_NS6detail17trampoline_kernelINS0_14default_configENS1_38merge_sort_block_merge_config_selectorItNS0_10empty_typeEEEZZNS1_27merge_sort_block_merge_implIS3_N6thrust23THRUST_200600_302600_NS6detail15normal_iteratorINS9_10device_ptrItEEEEPS5_jNS1_19radix_merge_compareILb0ELb1EtNS0_19identity_decomposerEEEEE10hipError_tT0_T1_T2_jT3_P12ihipStream_tbPNSt15iterator_traitsISK_E10value_typeEPNSQ_ISL_E10value_typeEPSM_NS1_7vsmem_tEENKUlT_SK_SL_SM_E_clISE_PtSF_SF_EESJ_SZ_SK_SL_SM_EUlSZ_E0_NS1_11comp_targetILNS1_3genE0ELNS1_11target_archE4294967295ELNS1_3gpuE0ELNS1_3repE0EEENS1_38merge_mergepath_config_static_selectorELNS0_4arch9wavefront6targetE1EEEvSL_,comdat
.Lfunc_end1295:
	.size	_ZN7rocprim17ROCPRIM_400000_NS6detail17trampoline_kernelINS0_14default_configENS1_38merge_sort_block_merge_config_selectorItNS0_10empty_typeEEEZZNS1_27merge_sort_block_merge_implIS3_N6thrust23THRUST_200600_302600_NS6detail15normal_iteratorINS9_10device_ptrItEEEEPS5_jNS1_19radix_merge_compareILb0ELb1EtNS0_19identity_decomposerEEEEE10hipError_tT0_T1_T2_jT3_P12ihipStream_tbPNSt15iterator_traitsISK_E10value_typeEPNSQ_ISL_E10value_typeEPSM_NS1_7vsmem_tEENKUlT_SK_SL_SM_E_clISE_PtSF_SF_EESJ_SZ_SK_SL_SM_EUlSZ_E0_NS1_11comp_targetILNS1_3genE0ELNS1_11target_archE4294967295ELNS1_3gpuE0ELNS1_3repE0EEENS1_38merge_mergepath_config_static_selectorELNS0_4arch9wavefront6targetE1EEEvSL_, .Lfunc_end1295-_ZN7rocprim17ROCPRIM_400000_NS6detail17trampoline_kernelINS0_14default_configENS1_38merge_sort_block_merge_config_selectorItNS0_10empty_typeEEEZZNS1_27merge_sort_block_merge_implIS3_N6thrust23THRUST_200600_302600_NS6detail15normal_iteratorINS9_10device_ptrItEEEEPS5_jNS1_19radix_merge_compareILb0ELb1EtNS0_19identity_decomposerEEEEE10hipError_tT0_T1_T2_jT3_P12ihipStream_tbPNSt15iterator_traitsISK_E10value_typeEPNSQ_ISL_E10value_typeEPSM_NS1_7vsmem_tEENKUlT_SK_SL_SM_E_clISE_PtSF_SF_EESJ_SZ_SK_SL_SM_EUlSZ_E0_NS1_11comp_targetILNS1_3genE0ELNS1_11target_archE4294967295ELNS1_3gpuE0ELNS1_3repE0EEENS1_38merge_mergepath_config_static_selectorELNS0_4arch9wavefront6targetE1EEEvSL_
                                        ; -- End function
	.section	.AMDGPU.csdata,"",@progbits
; Kernel info:
; codeLenInByte = 0
; NumSgprs: 6
; NumVgprs: 0
; NumAgprs: 0
; TotalNumVgprs: 0
; ScratchSize: 0
; MemoryBound: 0
; FloatMode: 240
; IeeeMode: 1
; LDSByteSize: 0 bytes/workgroup (compile time only)
; SGPRBlocks: 0
; VGPRBlocks: 0
; NumSGPRsForWavesPerEU: 6
; NumVGPRsForWavesPerEU: 1
; AccumOffset: 4
; Occupancy: 8
; WaveLimiterHint : 0
; COMPUTE_PGM_RSRC2:SCRATCH_EN: 0
; COMPUTE_PGM_RSRC2:USER_SGPR: 2
; COMPUTE_PGM_RSRC2:TRAP_HANDLER: 0
; COMPUTE_PGM_RSRC2:TGID_X_EN: 1
; COMPUTE_PGM_RSRC2:TGID_Y_EN: 0
; COMPUTE_PGM_RSRC2:TGID_Z_EN: 0
; COMPUTE_PGM_RSRC2:TIDIG_COMP_CNT: 0
; COMPUTE_PGM_RSRC3_GFX90A:ACCUM_OFFSET: 0
; COMPUTE_PGM_RSRC3_GFX90A:TG_SPLIT: 0
	.section	.text._ZN7rocprim17ROCPRIM_400000_NS6detail17trampoline_kernelINS0_14default_configENS1_38merge_sort_block_merge_config_selectorItNS0_10empty_typeEEEZZNS1_27merge_sort_block_merge_implIS3_N6thrust23THRUST_200600_302600_NS6detail15normal_iteratorINS9_10device_ptrItEEEEPS5_jNS1_19radix_merge_compareILb0ELb1EtNS0_19identity_decomposerEEEEE10hipError_tT0_T1_T2_jT3_P12ihipStream_tbPNSt15iterator_traitsISK_E10value_typeEPNSQ_ISL_E10value_typeEPSM_NS1_7vsmem_tEENKUlT_SK_SL_SM_E_clISE_PtSF_SF_EESJ_SZ_SK_SL_SM_EUlSZ_E0_NS1_11comp_targetILNS1_3genE10ELNS1_11target_archE1201ELNS1_3gpuE5ELNS1_3repE0EEENS1_38merge_mergepath_config_static_selectorELNS0_4arch9wavefront6targetE1EEEvSL_,"axG",@progbits,_ZN7rocprim17ROCPRIM_400000_NS6detail17trampoline_kernelINS0_14default_configENS1_38merge_sort_block_merge_config_selectorItNS0_10empty_typeEEEZZNS1_27merge_sort_block_merge_implIS3_N6thrust23THRUST_200600_302600_NS6detail15normal_iteratorINS9_10device_ptrItEEEEPS5_jNS1_19radix_merge_compareILb0ELb1EtNS0_19identity_decomposerEEEEE10hipError_tT0_T1_T2_jT3_P12ihipStream_tbPNSt15iterator_traitsISK_E10value_typeEPNSQ_ISL_E10value_typeEPSM_NS1_7vsmem_tEENKUlT_SK_SL_SM_E_clISE_PtSF_SF_EESJ_SZ_SK_SL_SM_EUlSZ_E0_NS1_11comp_targetILNS1_3genE10ELNS1_11target_archE1201ELNS1_3gpuE5ELNS1_3repE0EEENS1_38merge_mergepath_config_static_selectorELNS0_4arch9wavefront6targetE1EEEvSL_,comdat
	.protected	_ZN7rocprim17ROCPRIM_400000_NS6detail17trampoline_kernelINS0_14default_configENS1_38merge_sort_block_merge_config_selectorItNS0_10empty_typeEEEZZNS1_27merge_sort_block_merge_implIS3_N6thrust23THRUST_200600_302600_NS6detail15normal_iteratorINS9_10device_ptrItEEEEPS5_jNS1_19radix_merge_compareILb0ELb1EtNS0_19identity_decomposerEEEEE10hipError_tT0_T1_T2_jT3_P12ihipStream_tbPNSt15iterator_traitsISK_E10value_typeEPNSQ_ISL_E10value_typeEPSM_NS1_7vsmem_tEENKUlT_SK_SL_SM_E_clISE_PtSF_SF_EESJ_SZ_SK_SL_SM_EUlSZ_E0_NS1_11comp_targetILNS1_3genE10ELNS1_11target_archE1201ELNS1_3gpuE5ELNS1_3repE0EEENS1_38merge_mergepath_config_static_selectorELNS0_4arch9wavefront6targetE1EEEvSL_ ; -- Begin function _ZN7rocprim17ROCPRIM_400000_NS6detail17trampoline_kernelINS0_14default_configENS1_38merge_sort_block_merge_config_selectorItNS0_10empty_typeEEEZZNS1_27merge_sort_block_merge_implIS3_N6thrust23THRUST_200600_302600_NS6detail15normal_iteratorINS9_10device_ptrItEEEEPS5_jNS1_19radix_merge_compareILb0ELb1EtNS0_19identity_decomposerEEEEE10hipError_tT0_T1_T2_jT3_P12ihipStream_tbPNSt15iterator_traitsISK_E10value_typeEPNSQ_ISL_E10value_typeEPSM_NS1_7vsmem_tEENKUlT_SK_SL_SM_E_clISE_PtSF_SF_EESJ_SZ_SK_SL_SM_EUlSZ_E0_NS1_11comp_targetILNS1_3genE10ELNS1_11target_archE1201ELNS1_3gpuE5ELNS1_3repE0EEENS1_38merge_mergepath_config_static_selectorELNS0_4arch9wavefront6targetE1EEEvSL_
	.globl	_ZN7rocprim17ROCPRIM_400000_NS6detail17trampoline_kernelINS0_14default_configENS1_38merge_sort_block_merge_config_selectorItNS0_10empty_typeEEEZZNS1_27merge_sort_block_merge_implIS3_N6thrust23THRUST_200600_302600_NS6detail15normal_iteratorINS9_10device_ptrItEEEEPS5_jNS1_19radix_merge_compareILb0ELb1EtNS0_19identity_decomposerEEEEE10hipError_tT0_T1_T2_jT3_P12ihipStream_tbPNSt15iterator_traitsISK_E10value_typeEPNSQ_ISL_E10value_typeEPSM_NS1_7vsmem_tEENKUlT_SK_SL_SM_E_clISE_PtSF_SF_EESJ_SZ_SK_SL_SM_EUlSZ_E0_NS1_11comp_targetILNS1_3genE10ELNS1_11target_archE1201ELNS1_3gpuE5ELNS1_3repE0EEENS1_38merge_mergepath_config_static_selectorELNS0_4arch9wavefront6targetE1EEEvSL_
	.p2align	8
	.type	_ZN7rocprim17ROCPRIM_400000_NS6detail17trampoline_kernelINS0_14default_configENS1_38merge_sort_block_merge_config_selectorItNS0_10empty_typeEEEZZNS1_27merge_sort_block_merge_implIS3_N6thrust23THRUST_200600_302600_NS6detail15normal_iteratorINS9_10device_ptrItEEEEPS5_jNS1_19radix_merge_compareILb0ELb1EtNS0_19identity_decomposerEEEEE10hipError_tT0_T1_T2_jT3_P12ihipStream_tbPNSt15iterator_traitsISK_E10value_typeEPNSQ_ISL_E10value_typeEPSM_NS1_7vsmem_tEENKUlT_SK_SL_SM_E_clISE_PtSF_SF_EESJ_SZ_SK_SL_SM_EUlSZ_E0_NS1_11comp_targetILNS1_3genE10ELNS1_11target_archE1201ELNS1_3gpuE5ELNS1_3repE0EEENS1_38merge_mergepath_config_static_selectorELNS0_4arch9wavefront6targetE1EEEvSL_,@function
_ZN7rocprim17ROCPRIM_400000_NS6detail17trampoline_kernelINS0_14default_configENS1_38merge_sort_block_merge_config_selectorItNS0_10empty_typeEEEZZNS1_27merge_sort_block_merge_implIS3_N6thrust23THRUST_200600_302600_NS6detail15normal_iteratorINS9_10device_ptrItEEEEPS5_jNS1_19radix_merge_compareILb0ELb1EtNS0_19identity_decomposerEEEEE10hipError_tT0_T1_T2_jT3_P12ihipStream_tbPNSt15iterator_traitsISK_E10value_typeEPNSQ_ISL_E10value_typeEPSM_NS1_7vsmem_tEENKUlT_SK_SL_SM_E_clISE_PtSF_SF_EESJ_SZ_SK_SL_SM_EUlSZ_E0_NS1_11comp_targetILNS1_3genE10ELNS1_11target_archE1201ELNS1_3gpuE5ELNS1_3repE0EEENS1_38merge_mergepath_config_static_selectorELNS0_4arch9wavefront6targetE1EEEvSL_: ; @_ZN7rocprim17ROCPRIM_400000_NS6detail17trampoline_kernelINS0_14default_configENS1_38merge_sort_block_merge_config_selectorItNS0_10empty_typeEEEZZNS1_27merge_sort_block_merge_implIS3_N6thrust23THRUST_200600_302600_NS6detail15normal_iteratorINS9_10device_ptrItEEEEPS5_jNS1_19radix_merge_compareILb0ELb1EtNS0_19identity_decomposerEEEEE10hipError_tT0_T1_T2_jT3_P12ihipStream_tbPNSt15iterator_traitsISK_E10value_typeEPNSQ_ISL_E10value_typeEPSM_NS1_7vsmem_tEENKUlT_SK_SL_SM_E_clISE_PtSF_SF_EESJ_SZ_SK_SL_SM_EUlSZ_E0_NS1_11comp_targetILNS1_3genE10ELNS1_11target_archE1201ELNS1_3gpuE5ELNS1_3repE0EEENS1_38merge_mergepath_config_static_selectorELNS0_4arch9wavefront6targetE1EEEvSL_
; %bb.0:
	.section	.rodata,"a",@progbits
	.p2align	6, 0x0
	.amdhsa_kernel _ZN7rocprim17ROCPRIM_400000_NS6detail17trampoline_kernelINS0_14default_configENS1_38merge_sort_block_merge_config_selectorItNS0_10empty_typeEEEZZNS1_27merge_sort_block_merge_implIS3_N6thrust23THRUST_200600_302600_NS6detail15normal_iteratorINS9_10device_ptrItEEEEPS5_jNS1_19radix_merge_compareILb0ELb1EtNS0_19identity_decomposerEEEEE10hipError_tT0_T1_T2_jT3_P12ihipStream_tbPNSt15iterator_traitsISK_E10value_typeEPNSQ_ISL_E10value_typeEPSM_NS1_7vsmem_tEENKUlT_SK_SL_SM_E_clISE_PtSF_SF_EESJ_SZ_SK_SL_SM_EUlSZ_E0_NS1_11comp_targetILNS1_3genE10ELNS1_11target_archE1201ELNS1_3gpuE5ELNS1_3repE0EEENS1_38merge_mergepath_config_static_selectorELNS0_4arch9wavefront6targetE1EEEvSL_
		.amdhsa_group_segment_fixed_size 0
		.amdhsa_private_segment_fixed_size 0
		.amdhsa_kernarg_size 64
		.amdhsa_user_sgpr_count 2
		.amdhsa_user_sgpr_dispatch_ptr 0
		.amdhsa_user_sgpr_queue_ptr 0
		.amdhsa_user_sgpr_kernarg_segment_ptr 1
		.amdhsa_user_sgpr_dispatch_id 0
		.amdhsa_user_sgpr_kernarg_preload_length 0
		.amdhsa_user_sgpr_kernarg_preload_offset 0
		.amdhsa_user_sgpr_private_segment_size 0
		.amdhsa_uses_dynamic_stack 0
		.amdhsa_enable_private_segment 0
		.amdhsa_system_sgpr_workgroup_id_x 1
		.amdhsa_system_sgpr_workgroup_id_y 0
		.amdhsa_system_sgpr_workgroup_id_z 0
		.amdhsa_system_sgpr_workgroup_info 0
		.amdhsa_system_vgpr_workitem_id 0
		.amdhsa_next_free_vgpr 1
		.amdhsa_next_free_sgpr 0
		.amdhsa_accum_offset 4
		.amdhsa_reserve_vcc 0
		.amdhsa_float_round_mode_32 0
		.amdhsa_float_round_mode_16_64 0
		.amdhsa_float_denorm_mode_32 3
		.amdhsa_float_denorm_mode_16_64 3
		.amdhsa_dx10_clamp 1
		.amdhsa_ieee_mode 1
		.amdhsa_fp16_overflow 0
		.amdhsa_tg_split 0
		.amdhsa_exception_fp_ieee_invalid_op 0
		.amdhsa_exception_fp_denorm_src 0
		.amdhsa_exception_fp_ieee_div_zero 0
		.amdhsa_exception_fp_ieee_overflow 0
		.amdhsa_exception_fp_ieee_underflow 0
		.amdhsa_exception_fp_ieee_inexact 0
		.amdhsa_exception_int_div_zero 0
	.end_amdhsa_kernel
	.section	.text._ZN7rocprim17ROCPRIM_400000_NS6detail17trampoline_kernelINS0_14default_configENS1_38merge_sort_block_merge_config_selectorItNS0_10empty_typeEEEZZNS1_27merge_sort_block_merge_implIS3_N6thrust23THRUST_200600_302600_NS6detail15normal_iteratorINS9_10device_ptrItEEEEPS5_jNS1_19radix_merge_compareILb0ELb1EtNS0_19identity_decomposerEEEEE10hipError_tT0_T1_T2_jT3_P12ihipStream_tbPNSt15iterator_traitsISK_E10value_typeEPNSQ_ISL_E10value_typeEPSM_NS1_7vsmem_tEENKUlT_SK_SL_SM_E_clISE_PtSF_SF_EESJ_SZ_SK_SL_SM_EUlSZ_E0_NS1_11comp_targetILNS1_3genE10ELNS1_11target_archE1201ELNS1_3gpuE5ELNS1_3repE0EEENS1_38merge_mergepath_config_static_selectorELNS0_4arch9wavefront6targetE1EEEvSL_,"axG",@progbits,_ZN7rocprim17ROCPRIM_400000_NS6detail17trampoline_kernelINS0_14default_configENS1_38merge_sort_block_merge_config_selectorItNS0_10empty_typeEEEZZNS1_27merge_sort_block_merge_implIS3_N6thrust23THRUST_200600_302600_NS6detail15normal_iteratorINS9_10device_ptrItEEEEPS5_jNS1_19radix_merge_compareILb0ELb1EtNS0_19identity_decomposerEEEEE10hipError_tT0_T1_T2_jT3_P12ihipStream_tbPNSt15iterator_traitsISK_E10value_typeEPNSQ_ISL_E10value_typeEPSM_NS1_7vsmem_tEENKUlT_SK_SL_SM_E_clISE_PtSF_SF_EESJ_SZ_SK_SL_SM_EUlSZ_E0_NS1_11comp_targetILNS1_3genE10ELNS1_11target_archE1201ELNS1_3gpuE5ELNS1_3repE0EEENS1_38merge_mergepath_config_static_selectorELNS0_4arch9wavefront6targetE1EEEvSL_,comdat
.Lfunc_end1296:
	.size	_ZN7rocprim17ROCPRIM_400000_NS6detail17trampoline_kernelINS0_14default_configENS1_38merge_sort_block_merge_config_selectorItNS0_10empty_typeEEEZZNS1_27merge_sort_block_merge_implIS3_N6thrust23THRUST_200600_302600_NS6detail15normal_iteratorINS9_10device_ptrItEEEEPS5_jNS1_19radix_merge_compareILb0ELb1EtNS0_19identity_decomposerEEEEE10hipError_tT0_T1_T2_jT3_P12ihipStream_tbPNSt15iterator_traitsISK_E10value_typeEPNSQ_ISL_E10value_typeEPSM_NS1_7vsmem_tEENKUlT_SK_SL_SM_E_clISE_PtSF_SF_EESJ_SZ_SK_SL_SM_EUlSZ_E0_NS1_11comp_targetILNS1_3genE10ELNS1_11target_archE1201ELNS1_3gpuE5ELNS1_3repE0EEENS1_38merge_mergepath_config_static_selectorELNS0_4arch9wavefront6targetE1EEEvSL_, .Lfunc_end1296-_ZN7rocprim17ROCPRIM_400000_NS6detail17trampoline_kernelINS0_14default_configENS1_38merge_sort_block_merge_config_selectorItNS0_10empty_typeEEEZZNS1_27merge_sort_block_merge_implIS3_N6thrust23THRUST_200600_302600_NS6detail15normal_iteratorINS9_10device_ptrItEEEEPS5_jNS1_19radix_merge_compareILb0ELb1EtNS0_19identity_decomposerEEEEE10hipError_tT0_T1_T2_jT3_P12ihipStream_tbPNSt15iterator_traitsISK_E10value_typeEPNSQ_ISL_E10value_typeEPSM_NS1_7vsmem_tEENKUlT_SK_SL_SM_E_clISE_PtSF_SF_EESJ_SZ_SK_SL_SM_EUlSZ_E0_NS1_11comp_targetILNS1_3genE10ELNS1_11target_archE1201ELNS1_3gpuE5ELNS1_3repE0EEENS1_38merge_mergepath_config_static_selectorELNS0_4arch9wavefront6targetE1EEEvSL_
                                        ; -- End function
	.section	.AMDGPU.csdata,"",@progbits
; Kernel info:
; codeLenInByte = 0
; NumSgprs: 6
; NumVgprs: 0
; NumAgprs: 0
; TotalNumVgprs: 0
; ScratchSize: 0
; MemoryBound: 0
; FloatMode: 240
; IeeeMode: 1
; LDSByteSize: 0 bytes/workgroup (compile time only)
; SGPRBlocks: 0
; VGPRBlocks: 0
; NumSGPRsForWavesPerEU: 6
; NumVGPRsForWavesPerEU: 1
; AccumOffset: 4
; Occupancy: 8
; WaveLimiterHint : 0
; COMPUTE_PGM_RSRC2:SCRATCH_EN: 0
; COMPUTE_PGM_RSRC2:USER_SGPR: 2
; COMPUTE_PGM_RSRC2:TRAP_HANDLER: 0
; COMPUTE_PGM_RSRC2:TGID_X_EN: 1
; COMPUTE_PGM_RSRC2:TGID_Y_EN: 0
; COMPUTE_PGM_RSRC2:TGID_Z_EN: 0
; COMPUTE_PGM_RSRC2:TIDIG_COMP_CNT: 0
; COMPUTE_PGM_RSRC3_GFX90A:ACCUM_OFFSET: 0
; COMPUTE_PGM_RSRC3_GFX90A:TG_SPLIT: 0
	.section	.text._ZN7rocprim17ROCPRIM_400000_NS6detail17trampoline_kernelINS0_14default_configENS1_38merge_sort_block_merge_config_selectorItNS0_10empty_typeEEEZZNS1_27merge_sort_block_merge_implIS3_N6thrust23THRUST_200600_302600_NS6detail15normal_iteratorINS9_10device_ptrItEEEEPS5_jNS1_19radix_merge_compareILb0ELb1EtNS0_19identity_decomposerEEEEE10hipError_tT0_T1_T2_jT3_P12ihipStream_tbPNSt15iterator_traitsISK_E10value_typeEPNSQ_ISL_E10value_typeEPSM_NS1_7vsmem_tEENKUlT_SK_SL_SM_E_clISE_PtSF_SF_EESJ_SZ_SK_SL_SM_EUlSZ_E0_NS1_11comp_targetILNS1_3genE5ELNS1_11target_archE942ELNS1_3gpuE9ELNS1_3repE0EEENS1_38merge_mergepath_config_static_selectorELNS0_4arch9wavefront6targetE1EEEvSL_,"axG",@progbits,_ZN7rocprim17ROCPRIM_400000_NS6detail17trampoline_kernelINS0_14default_configENS1_38merge_sort_block_merge_config_selectorItNS0_10empty_typeEEEZZNS1_27merge_sort_block_merge_implIS3_N6thrust23THRUST_200600_302600_NS6detail15normal_iteratorINS9_10device_ptrItEEEEPS5_jNS1_19radix_merge_compareILb0ELb1EtNS0_19identity_decomposerEEEEE10hipError_tT0_T1_T2_jT3_P12ihipStream_tbPNSt15iterator_traitsISK_E10value_typeEPNSQ_ISL_E10value_typeEPSM_NS1_7vsmem_tEENKUlT_SK_SL_SM_E_clISE_PtSF_SF_EESJ_SZ_SK_SL_SM_EUlSZ_E0_NS1_11comp_targetILNS1_3genE5ELNS1_11target_archE942ELNS1_3gpuE9ELNS1_3repE0EEENS1_38merge_mergepath_config_static_selectorELNS0_4arch9wavefront6targetE1EEEvSL_,comdat
	.protected	_ZN7rocprim17ROCPRIM_400000_NS6detail17trampoline_kernelINS0_14default_configENS1_38merge_sort_block_merge_config_selectorItNS0_10empty_typeEEEZZNS1_27merge_sort_block_merge_implIS3_N6thrust23THRUST_200600_302600_NS6detail15normal_iteratorINS9_10device_ptrItEEEEPS5_jNS1_19radix_merge_compareILb0ELb1EtNS0_19identity_decomposerEEEEE10hipError_tT0_T1_T2_jT3_P12ihipStream_tbPNSt15iterator_traitsISK_E10value_typeEPNSQ_ISL_E10value_typeEPSM_NS1_7vsmem_tEENKUlT_SK_SL_SM_E_clISE_PtSF_SF_EESJ_SZ_SK_SL_SM_EUlSZ_E0_NS1_11comp_targetILNS1_3genE5ELNS1_11target_archE942ELNS1_3gpuE9ELNS1_3repE0EEENS1_38merge_mergepath_config_static_selectorELNS0_4arch9wavefront6targetE1EEEvSL_ ; -- Begin function _ZN7rocprim17ROCPRIM_400000_NS6detail17trampoline_kernelINS0_14default_configENS1_38merge_sort_block_merge_config_selectorItNS0_10empty_typeEEEZZNS1_27merge_sort_block_merge_implIS3_N6thrust23THRUST_200600_302600_NS6detail15normal_iteratorINS9_10device_ptrItEEEEPS5_jNS1_19radix_merge_compareILb0ELb1EtNS0_19identity_decomposerEEEEE10hipError_tT0_T1_T2_jT3_P12ihipStream_tbPNSt15iterator_traitsISK_E10value_typeEPNSQ_ISL_E10value_typeEPSM_NS1_7vsmem_tEENKUlT_SK_SL_SM_E_clISE_PtSF_SF_EESJ_SZ_SK_SL_SM_EUlSZ_E0_NS1_11comp_targetILNS1_3genE5ELNS1_11target_archE942ELNS1_3gpuE9ELNS1_3repE0EEENS1_38merge_mergepath_config_static_selectorELNS0_4arch9wavefront6targetE1EEEvSL_
	.globl	_ZN7rocprim17ROCPRIM_400000_NS6detail17trampoline_kernelINS0_14default_configENS1_38merge_sort_block_merge_config_selectorItNS0_10empty_typeEEEZZNS1_27merge_sort_block_merge_implIS3_N6thrust23THRUST_200600_302600_NS6detail15normal_iteratorINS9_10device_ptrItEEEEPS5_jNS1_19radix_merge_compareILb0ELb1EtNS0_19identity_decomposerEEEEE10hipError_tT0_T1_T2_jT3_P12ihipStream_tbPNSt15iterator_traitsISK_E10value_typeEPNSQ_ISL_E10value_typeEPSM_NS1_7vsmem_tEENKUlT_SK_SL_SM_E_clISE_PtSF_SF_EESJ_SZ_SK_SL_SM_EUlSZ_E0_NS1_11comp_targetILNS1_3genE5ELNS1_11target_archE942ELNS1_3gpuE9ELNS1_3repE0EEENS1_38merge_mergepath_config_static_selectorELNS0_4arch9wavefront6targetE1EEEvSL_
	.p2align	8
	.type	_ZN7rocprim17ROCPRIM_400000_NS6detail17trampoline_kernelINS0_14default_configENS1_38merge_sort_block_merge_config_selectorItNS0_10empty_typeEEEZZNS1_27merge_sort_block_merge_implIS3_N6thrust23THRUST_200600_302600_NS6detail15normal_iteratorINS9_10device_ptrItEEEEPS5_jNS1_19radix_merge_compareILb0ELb1EtNS0_19identity_decomposerEEEEE10hipError_tT0_T1_T2_jT3_P12ihipStream_tbPNSt15iterator_traitsISK_E10value_typeEPNSQ_ISL_E10value_typeEPSM_NS1_7vsmem_tEENKUlT_SK_SL_SM_E_clISE_PtSF_SF_EESJ_SZ_SK_SL_SM_EUlSZ_E0_NS1_11comp_targetILNS1_3genE5ELNS1_11target_archE942ELNS1_3gpuE9ELNS1_3repE0EEENS1_38merge_mergepath_config_static_selectorELNS0_4arch9wavefront6targetE1EEEvSL_,@function
_ZN7rocprim17ROCPRIM_400000_NS6detail17trampoline_kernelINS0_14default_configENS1_38merge_sort_block_merge_config_selectorItNS0_10empty_typeEEEZZNS1_27merge_sort_block_merge_implIS3_N6thrust23THRUST_200600_302600_NS6detail15normal_iteratorINS9_10device_ptrItEEEEPS5_jNS1_19radix_merge_compareILb0ELb1EtNS0_19identity_decomposerEEEEE10hipError_tT0_T1_T2_jT3_P12ihipStream_tbPNSt15iterator_traitsISK_E10value_typeEPNSQ_ISL_E10value_typeEPSM_NS1_7vsmem_tEENKUlT_SK_SL_SM_E_clISE_PtSF_SF_EESJ_SZ_SK_SL_SM_EUlSZ_E0_NS1_11comp_targetILNS1_3genE5ELNS1_11target_archE942ELNS1_3gpuE9ELNS1_3repE0EEENS1_38merge_mergepath_config_static_selectorELNS0_4arch9wavefront6targetE1EEEvSL_: ; @_ZN7rocprim17ROCPRIM_400000_NS6detail17trampoline_kernelINS0_14default_configENS1_38merge_sort_block_merge_config_selectorItNS0_10empty_typeEEEZZNS1_27merge_sort_block_merge_implIS3_N6thrust23THRUST_200600_302600_NS6detail15normal_iteratorINS9_10device_ptrItEEEEPS5_jNS1_19radix_merge_compareILb0ELb1EtNS0_19identity_decomposerEEEEE10hipError_tT0_T1_T2_jT3_P12ihipStream_tbPNSt15iterator_traitsISK_E10value_typeEPNSQ_ISL_E10value_typeEPSM_NS1_7vsmem_tEENKUlT_SK_SL_SM_E_clISE_PtSF_SF_EESJ_SZ_SK_SL_SM_EUlSZ_E0_NS1_11comp_targetILNS1_3genE5ELNS1_11target_archE942ELNS1_3gpuE9ELNS1_3repE0EEENS1_38merge_mergepath_config_static_selectorELNS0_4arch9wavefront6targetE1EEEvSL_
; %bb.0:
	s_load_dwordx2 s[12:13], s[0:1], 0x40
	s_load_dword s5, s[0:1], 0x30
	s_add_u32 s8, s0, 64
	s_addc_u32 s9, s1, 0
	s_waitcnt lgkmcnt(0)
	s_mul_i32 s4, s13, s4
	s_add_i32 s3, s4, s3
	s_mul_i32 s3, s3, s12
	s_add_i32 s10, s3, s2
	s_cmp_ge_u32 s10, s5
	s_cbranch_scc1 .LBB1297_43
; %bb.1:
	s_load_dwordx2 s[14:15], s[0:1], 0x28
	s_load_dwordx2 s[4:5], s[0:1], 0x38
	;; [unrolled: 1-line block ×3, first 2 shown]
	s_mov_b32 s11, 0
	v_mov_b32_e32 v3, 0
	s_waitcnt lgkmcnt(0)
	s_lshr_b32 s22, s14, 10
	s_cmp_lg_u32 s10, s22
	s_cselect_b64 s[18:19], -1, 0
	s_lshl_b64 s[16:17], s[10:11], 2
	s_add_u32 s4, s4, s16
	s_addc_u32 s5, s5, s17
	s_lshr_b32 s3, s15, 9
	s_and_b32 s3, s3, 0x7ffffe
	s_load_dwordx2 s[4:5], s[4:5], 0x0
	s_sub_i32 s3, 0, s3
	s_and_b32 s13, s10, s3
	s_lshl_b32 s17, s13, 10
	s_lshl_b32 s16, s10, 10
	;; [unrolled: 1-line block ×3, first 2 shown]
	s_sub_i32 s20, s16, s17
	s_add_i32 s13, s13, s15
	s_add_i32 s21, s13, s20
	s_waitcnt lgkmcnt(0)
	s_sub_i32 s20, s21, s4
	s_sub_i32 s21, s21, s5
	s_sub_i32 s13, s13, s17
	s_min_u32 s20, s14, s20
	s_addk_i32 s21, 0x400
	s_or_b32 s3, s10, s3
	s_min_u32 s17, s14, s13
	s_add_i32 s13, s13, s15
	s_cmp_eq_u32 s3, -1
	s_cselect_b32 s3, s13, s21
	s_cselect_b32 s5, s17, s5
	s_min_u32 s3, s3, s14
	s_sub_i32 s15, s5, s4
	s_mov_b32 s5, s11
	s_sub_i32 s13, s3, s20
	s_lshl_b64 s[4:5], s[4:5], 1
	s_add_u32 s4, s6, s4
	s_mov_b32 s21, s11
	s_addc_u32 s5, s7, s5
	s_lshl_b64 s[20:21], s[20:21], 1
	s_add_u32 s6, s6, s20
	s_addc_u32 s7, s7, s21
	s_cmp_lt_u32 s2, s12
	s_cselect_b32 s2, 12, 18
	global_load_dword v1, v3, s[8:9] offset:14
	s_add_u32 s2, s8, s2
	s_addc_u32 s3, s9, 0
	global_load_ushort v2, v3, s[2:3]
	s_cmp_eq_u32 s10, s22
	v_lshlrev_b32_e32 v6, 1, v0
	s_waitcnt vmcnt(1)
	v_lshrrev_b32_e32 v4, 16, v1
	v_and_b32_e32 v1, 0xffff, v1
	v_mul_lo_u32 v1, v1, v4
	s_waitcnt vmcnt(0)
	v_mul_lo_u32 v1, v1, v2
	v_add_u32_e32 v10, v1, v0
	v_add_u32_e32 v8, v10, v1
	s_cbranch_scc1 .LBB1297_3
; %bb.2:
	v_subrev_u32_e32 v2, s15, v0
	v_mov_b32_e32 v7, v3
	v_lshl_add_u64 v[4:5], v[2:3], 1, s[6:7]
	v_lshl_add_u64 v[12:13], s[4:5], 0, v[6:7]
	v_cmp_gt_u32_e32 vcc, s15, v0
	v_subrev_u32_e32 v2, s15, v10
	v_mov_b32_e32 v11, v3
	v_cndmask_b32_e32 v5, v5, v13, vcc
	v_cndmask_b32_e32 v4, v4, v12, vcc
	global_load_ushort v7, v[4:5], off
	v_lshl_add_u64 v[4:5], v[2:3], 1, s[6:7]
	v_lshl_add_u64 v[12:13], v[10:11], 1, s[4:5]
	v_cmp_gt_u32_e32 vcc, s15, v10
	v_subrev_u32_e32 v2, s15, v8
	v_mov_b32_e32 v9, v3
	v_cndmask_b32_e32 v5, v5, v13, vcc
	v_cndmask_b32_e32 v4, v4, v12, vcc
	global_load_ushort v11, v[4:5], off
	v_lshl_add_u64 v[4:5], v[2:3], 1, s[6:7]
	v_lshl_add_u64 v[12:13], v[8:9], 1, s[4:5]
	v_cmp_gt_u32_e32 vcc, s15, v8
	s_mov_b32 s2, 0x5040100
	s_add_i32 s10, s13, s15
	v_cndmask_b32_e32 v5, v5, v13, vcc
	v_cndmask_b32_e32 v4, v4, v12, vcc
	global_load_ushort v9, v[4:5], off
	v_add_u32_e32 v4, v8, v1
	v_subrev_u32_e32 v2, s15, v4
	v_mov_b32_e32 v5, v3
	v_lshl_add_u64 v[12:13], v[2:3], 1, s[6:7]
	v_lshl_add_u64 v[14:15], v[4:5], 1, s[4:5]
	v_cmp_gt_u32_e32 vcc, s15, v4
	v_add_u32_e32 v4, v4, v1
	v_subrev_u32_e32 v2, s15, v4
	v_cndmask_b32_e32 v13, v13, v15, vcc
	v_cndmask_b32_e32 v12, v12, v14, vcc
	global_load_ushort v16, v[12:13], off
	v_lshl_add_u64 v[12:13], v[2:3], 1, s[6:7]
	v_lshl_add_u64 v[14:15], v[4:5], 1, s[4:5]
	v_cmp_gt_u32_e32 vcc, s15, v4
	v_add_u32_e32 v4, v4, v1
	v_subrev_u32_e32 v2, s15, v4
	v_cndmask_b32_e32 v13, v13, v15, vcc
	v_cndmask_b32_e32 v12, v12, v14, vcc
	global_load_ushort v17, v[12:13], off
	;; [unrolled: 8-line block ×3, first 2 shown]
	v_lshl_add_u64 v[12:13], v[2:3], 1, s[6:7]
	v_lshl_add_u64 v[2:3], v[4:5], 1, s[4:5]
	v_cmp_gt_u32_e32 vcc, s15, v4
	s_nop 1
	v_cndmask_b32_e32 v3, v13, v3, vcc
	v_cndmask_b32_e32 v2, v12, v2, vcc
	global_load_ushort v5, v[2:3], off
	v_add_u32_e32 v12, v4, v1
	s_waitcnt vmcnt(5)
	v_perm_b32 v2, v11, v7, s2
	s_waitcnt vmcnt(3)
	v_perm_b32 v3, v16, v9, s2
	;; [unrolled: 2-line block ×3, first 2 shown]
	s_mov_b64 s[2:3], -1
	s_cbranch_execz .LBB1297_4
	s_branch .LBB1297_17
.LBB1297_3:
	s_mov_b64 s[2:3], 0
                                        ; implicit-def: $vgpr12
                                        ; implicit-def: $vgpr2_vgpr3_vgpr4_vgpr5
                                        ; implicit-def: $sgpr10
.LBB1297_4:
	s_add_i32 s10, s13, s15
	v_cmp_gt_u32_e32 vcc, s10, v0
                                        ; implicit-def: $vgpr2_vgpr3_vgpr4_vgpr5
	s_and_saveexec_b64 s[2:3], vcc
	s_cbranch_execnz .LBB1297_44
; %bb.5:
	s_or_b64 exec, exec, s[2:3]
	v_cmp_gt_u32_e32 vcc, s10, v10
	s_and_saveexec_b64 s[2:3], vcc
	s_cbranch_execnz .LBB1297_45
.LBB1297_6:
	s_or_b64 exec, exec, s[2:3]
	v_cmp_gt_u32_e32 vcc, s10, v8
	s_and_saveexec_b64 s[2:3], vcc
	s_cbranch_execz .LBB1297_8
.LBB1297_7:
	v_mov_b32_e32 v9, 0
	v_subrev_u32_e32 v12, s15, v8
	v_mov_b32_e32 v13, v9
	v_lshl_add_u64 v[10:11], v[8:9], 1, s[4:5]
	v_lshl_add_u64 v[12:13], v[12:13], 1, s[6:7]
	v_cmp_gt_u32_e32 vcc, s15, v8
	s_mov_b32 s8, 0xffff
	s_nop 0
	v_cndmask_b32_e32 v11, v13, v11, vcc
	v_cndmask_b32_e32 v10, v12, v10, vcc
	global_load_ushort v7, v[10:11], off
	s_waitcnt vmcnt(0)
	v_bfi_b32 v3, s8, v7, v3
.LBB1297_8:
	s_or_b64 exec, exec, s[2:3]
	v_add_u32_e32 v8, v8, v1
	v_cmp_gt_u32_e32 vcc, s10, v8
	s_and_saveexec_b64 s[2:3], vcc
	s_cbranch_execz .LBB1297_10
; %bb.9:
	v_mov_b32_e32 v9, 0
	v_subrev_u32_e32 v12, s15, v8
	v_mov_b32_e32 v13, v9
	v_lshl_add_u64 v[10:11], v[8:9], 1, s[4:5]
	v_lshl_add_u64 v[12:13], v[12:13], 1, s[6:7]
	v_cmp_gt_u32_e32 vcc, s15, v8
	s_mov_b32 s8, 0x5040100
	s_nop 0
	v_cndmask_b32_e32 v11, v13, v11, vcc
	v_cndmask_b32_e32 v10, v12, v10, vcc
	global_load_ushort v7, v[10:11], off
	s_waitcnt vmcnt(0)
	v_perm_b32 v3, v7, v3, s8
.LBB1297_10:
	s_or_b64 exec, exec, s[2:3]
	v_add_u32_e32 v8, v8, v1
	v_cmp_gt_u32_e32 vcc, s10, v8
	s_and_saveexec_b64 s[2:3], vcc
	s_cbranch_execz .LBB1297_12
; %bb.11:
	v_mov_b32_e32 v9, 0
	v_subrev_u32_e32 v12, s15, v8
	v_mov_b32_e32 v13, v9
	v_lshl_add_u64 v[10:11], v[8:9], 1, s[4:5]
	v_lshl_add_u64 v[12:13], v[12:13], 1, s[6:7]
	v_cmp_gt_u32_e32 vcc, s15, v8
	s_mov_b32 s8, 0xffff
	s_nop 0
	v_cndmask_b32_e32 v11, v13, v11, vcc
	v_cndmask_b32_e32 v10, v12, v10, vcc
	global_load_ushort v7, v[10:11], off
	s_waitcnt vmcnt(0)
	v_bfi_b32 v4, s8, v7, v4
.LBB1297_12:
	s_or_b64 exec, exec, s[2:3]
	v_add_u32_e32 v8, v8, v1
	v_cmp_gt_u32_e32 vcc, s10, v8
	s_and_saveexec_b64 s[2:3], vcc
	s_cbranch_execz .LBB1297_14
; %bb.13:
	v_mov_b32_e32 v9, 0
	v_subrev_u32_e32 v12, s15, v8
	v_mov_b32_e32 v13, v9
	v_lshl_add_u64 v[10:11], v[8:9], 1, s[4:5]
	v_lshl_add_u64 v[12:13], v[12:13], 1, s[6:7]
	v_cmp_gt_u32_e32 vcc, s15, v8
	s_mov_b32 s8, 0x5040100
	s_nop 0
	v_cndmask_b32_e32 v11, v13, v11, vcc
	v_cndmask_b32_e32 v10, v12, v10, vcc
	global_load_ushort v7, v[10:11], off
	s_waitcnt vmcnt(0)
	v_perm_b32 v4, v7, v4, s8
.LBB1297_14:
	s_or_b64 exec, exec, s[2:3]
	v_add_u32_e32 v8, v8, v1
	v_cmp_gt_u32_e32 vcc, s10, v8
	s_and_saveexec_b64 s[2:3], vcc
	s_cbranch_execz .LBB1297_16
; %bb.15:
	v_mov_b32_e32 v9, 0
	v_subrev_u32_e32 v12, s15, v8
	v_mov_b32_e32 v13, v9
	v_lshl_add_u64 v[10:11], v[8:9], 1, s[4:5]
	v_lshl_add_u64 v[12:13], v[12:13], 1, s[6:7]
	v_cmp_gt_u32_e32 vcc, s15, v8
	s_mov_b32 s8, 0xffff
	s_nop 0
	v_cndmask_b32_e32 v11, v13, v11, vcc
	v_cndmask_b32_e32 v10, v12, v10, vcc
	global_load_ushort v7, v[10:11], off
	s_waitcnt vmcnt(0)
	v_bfi_b32 v5, s8, v7, v5
.LBB1297_16:
	s_or_b64 exec, exec, s[2:3]
	v_add_u32_e32 v12, v8, v1
	v_cmp_gt_u32_e64 s[2:3], s10, v12
.LBB1297_17:
	v_mov_b32_e32 v7, s10
	s_and_saveexec_b64 s[8:9], s[2:3]
	s_cbranch_execz .LBB1297_19
; %bb.18:
	v_mov_b32_e32 v9, 0
	v_subrev_u32_e32 v8, s15, v12
	v_mov_b32_e32 v13, v9
	v_lshl_add_u64 v[10:11], v[8:9], 1, s[6:7]
	v_lshl_add_u64 v[8:9], v[12:13], 1, s[4:5]
	v_cmp_gt_u32_e32 vcc, s15, v12
	s_mov_b32 s2, 0x5040100
	v_mov_b32_e32 v7, s10
	v_cndmask_b32_e32 v9, v11, v9, vcc
	v_cndmask_b32_e32 v8, v10, v8, vcc
	global_load_ushort v1, v[8:9], off
	s_waitcnt vmcnt(0)
	v_perm_b32 v5, v1, v5, s2
.LBB1297_19:
	s_or_b64 exec, exec, s[8:9]
	s_load_dwordx2 s[20:21], s[0:1], 0x10
	s_load_dword s17, s[0:1], 0x34
	v_lshlrev_b32_e32 v1, 3, v0
	v_min_u32_e32 v13, v7, v1
	v_sub_u32_e64 v12, v13, s13 clamp
	v_min_u32_e32 v14, s15, v13
	s_waitcnt vmcnt(0)
	v_lshrrev_b32_e32 v8, 16, v2
	v_lshrrev_b32_e32 v9, 16, v3
	;; [unrolled: 1-line block ×4, first 2 shown]
	v_cmp_lt_u32_e32 vcc, v12, v14
	ds_write_b16 v6, v2
	ds_write_b16 v6, v8 offset:256
	ds_write_b16 v6, v3 offset:512
	;; [unrolled: 1-line block ×7, first 2 shown]
	s_waitcnt lgkmcnt(0)
	s_barrier
	s_and_saveexec_b64 s[0:1], vcc
	s_cbranch_execz .LBB1297_23
; %bb.20:
	v_lshlrev_b32_e32 v15, 1, v13
	v_lshl_add_u32 v15, s15, 1, v15
	s_mov_b64 s[2:3], 0
.LBB1297_21:                            ; =>This Inner Loop Header: Depth=1
	v_add_u32_e32 v16, v14, v12
	v_lshrrev_b32_e32 v17, 1, v16
	v_not_b32_e32 v18, v17
	v_and_b32_e32 v16, -2, v16
	v_lshl_add_u32 v18, v18, 1, v15
	ds_read_u16 v16, v16
	ds_read_u16 v18, v18
	v_add_u32_e32 v19, 1, v17
	s_waitcnt lgkmcnt(1)
	v_and_b32_e32 v16, s17, v16
	s_waitcnt lgkmcnt(0)
	v_and_b32_e32 v18, s17, v18
	v_cmp_gt_u16_e32 vcc, v16, v18
	s_nop 1
	v_cndmask_b32_e32 v14, v14, v17, vcc
	v_cndmask_b32_e32 v12, v19, v12, vcc
	v_cmp_ge_u32_e32 vcc, v12, v14
	s_or_b64 s[2:3], vcc, s[2:3]
	s_andn2_b64 exec, exec, s[2:3]
	s_cbranch_execnz .LBB1297_21
; %bb.22:
	s_or_b64 exec, exec, s[2:3]
.LBB1297_23:
	s_or_b64 exec, exec, s[0:1]
	v_sub_u32_e32 v13, v13, v12
	v_add_u32_e32 v13, s15, v13
	v_cmp_ge_u32_e32 vcc, s15, v12
	v_cmp_le_u32_e64 s[0:1], v13, v7
	s_or_b64 s[0:1], vcc, s[0:1]
	s_and_saveexec_b64 s[22:23], s[0:1]
	s_cbranch_execz .LBB1297_29
; %bb.24:
	v_cmp_gt_u32_e32 vcc, s15, v12
                                        ; implicit-def: $vgpr2
	s_and_saveexec_b64 s[0:1], vcc
	s_cbranch_execz .LBB1297_26
; %bb.25:
	v_lshlrev_b32_e32 v2, 1, v12
	ds_read_u16 v2, v2
.LBB1297_26:
	s_or_b64 exec, exec, s[0:1]
	v_cmp_ge_u32_e64 s[0:1], v13, v7
	v_cmp_lt_u32_e64 s[2:3], v13, v7
                                        ; implicit-def: $vgpr3
	s_and_saveexec_b64 s[4:5], s[2:3]
	s_cbranch_execz .LBB1297_28
; %bb.27:
	v_lshlrev_b32_e32 v3, 1, v13
	ds_read_u16 v3, v3
.LBB1297_28:
	s_or_b64 exec, exec, s[4:5]
	s_waitcnt lgkmcnt(0)
	v_and_b32_e32 v4, s17, v3
	v_and_b32_e32 v5, s17, v2
	v_cmp_le_u16_e64 s[2:3], v5, v4
	s_and_b64 s[2:3], vcc, s[2:3]
	s_or_b64 vcc, s[0:1], s[2:3]
	v_mov_b32_e32 v5, s15
	v_cndmask_b32_e32 v4, v13, v12, vcc
	v_cndmask_b32_e32 v8, v7, v5, vcc
	v_add_u32_e32 v4, 1, v4
	v_add_u32_e32 v8, -1, v8
	v_min_u32_e32 v8, v4, v8
	v_lshlrev_b32_e32 v8, 1, v8
	ds_read_u16 v8, v8
	v_cndmask_b32_e32 v10, v4, v13, vcc
	v_cndmask_b32_e32 v4, v12, v4, vcc
	v_cmp_gt_u32_e64 s[2:3], s15, v4
	v_cmp_ge_u32_e64 s[0:1], v10, v7
	s_waitcnt lgkmcnt(0)
	v_cndmask_b32_e32 v9, v8, v3, vcc
	v_cndmask_b32_e32 v8, v2, v8, vcc
	v_and_b32_e32 v11, s17, v9
	v_and_b32_e32 v12, s17, v8
	v_cmp_le_u16_e64 s[4:5], v12, v11
	s_and_b64 s[2:3], s[2:3], s[4:5]
	s_or_b64 s[0:1], s[0:1], s[2:3]
	v_cndmask_b32_e64 v11, v10, v4, s[0:1]
	v_cndmask_b32_e64 v12, v7, v5, s[0:1]
	v_add_u32_e32 v11, 1, v11
	v_add_u32_e32 v12, -1, v12
	v_min_u32_e32 v12, v11, v12
	v_lshlrev_b32_e32 v12, 1, v12
	ds_read_u16 v12, v12
	v_cndmask_b32_e64 v10, v11, v10, s[0:1]
	v_cndmask_b32_e64 v4, v4, v11, s[0:1]
	v_cmp_gt_u32_e64 s[4:5], s15, v4
	v_cmp_ge_u32_e64 s[2:3], v10, v7
	s_waitcnt lgkmcnt(0)
	v_cndmask_b32_e64 v13, v12, v9, s[0:1]
	v_cndmask_b32_e64 v12, v8, v12, s[0:1]
	v_and_b32_e32 v11, s17, v13
	v_and_b32_e32 v14, s17, v12
	v_cmp_le_u16_e64 s[6:7], v14, v11
	s_and_b64 s[4:5], s[4:5], s[6:7]
	s_or_b64 s[2:3], s[2:3], s[4:5]
	v_cndmask_b32_e64 v11, v10, v4, s[2:3]
	v_cndmask_b32_e64 v14, v7, v5, s[2:3]
	v_add_u32_e32 v11, 1, v11
	v_add_u32_e32 v14, -1, v14
	v_min_u32_e32 v14, v11, v14
	v_lshlrev_b32_e32 v14, 1, v14
	ds_read_u16 v14, v14
	v_cndmask_b32_e64 v10, v11, v10, s[2:3]
	v_cndmask_b32_e64 v4, v4, v11, s[2:3]
	v_cmp_gt_u32_e64 s[6:7], s15, v4
	v_cmp_ge_u32_e64 s[4:5], v10, v7
	s_waitcnt lgkmcnt(0)
	v_cndmask_b32_e64 v15, v14, v13, s[2:3]
	v_cndmask_b32_e64 v14, v12, v14, s[2:3]
	;; [unrolled: 19-line block ×4, first 2 shown]
	v_and_b32_e32 v11, s17, v19
	v_and_b32_e32 v20, s17, v18
	v_cmp_le_u16_e64 s[12:13], v20, v11
	s_and_b64 s[10:11], s[10:11], s[12:13]
	s_or_b64 s[8:9], s[8:9], s[10:11]
	v_cndmask_b32_e64 v11, v10, v4, s[8:9]
	v_cndmask_b32_e64 v20, v7, v5, s[8:9]
	v_add_u32_e32 v11, 1, v11
	v_add_u32_e32 v20, -1, v20
	v_min_u32_e32 v20, v11, v20
	v_lshlrev_b32_e32 v20, 1, v20
	ds_read_u16 v20, v20
	v_cndmask_b32_e32 v2, v3, v2, vcc
	v_cndmask_b32_e64 v3, v13, v12, s[2:3]
	v_cndmask_b32_e64 v8, v9, v8, s[0:1]
	s_waitcnt lgkmcnt(0)
	v_cndmask_b32_e64 v12, v20, v19, s[8:9]
	v_cndmask_b32_e64 v13, v18, v20, s[8:9]
	;; [unrolled: 1-line block ×4, first 2 shown]
	v_and_b32_e32 v4, s17, v12
	v_and_b32_e32 v9, s17, v13
	v_cmp_gt_u32_e64 s[0:1], s15, v11
	v_cmp_le_u16_e64 s[2:3], v9, v4
	v_cmp_ge_u32_e32 vcc, v20, v7
	s_and_b64 s[0:1], s[0:1], s[2:3]
	s_or_b64 vcc, vcc, s[0:1]
	v_cndmask_b32_e32 v4, v20, v11, vcc
	v_cndmask_b32_e32 v5, v7, v5, vcc
	v_add_u32_e32 v21, 1, v4
	v_add_u32_e32 v4, -1, v5
	v_min_u32_e32 v4, v21, v4
	v_lshlrev_b32_e32 v4, 1, v4
	ds_read_u16 v22, v4
	v_cndmask_b32_e64 v9, v15, v14, s[4:5]
	v_cndmask_b32_e32 v5, v12, v13, vcc
	v_cndmask_b32_e32 v14, v21, v20, vcc
	;; [unrolled: 1-line block ×3, first 2 shown]
	s_waitcnt lgkmcnt(0)
	v_cndmask_b32_e32 v12, v22, v12, vcc
	v_cndmask_b32_e32 v13, v13, v22, vcc
	v_cmp_ge_u32_e32 vcc, v14, v7
	v_cmp_gt_u32_e64 s[0:1], s15, v11
	v_and_b32_e32 v7, s17, v12
	v_and_b32_e32 v11, s17, v13
	v_cmp_le_u16_e64 s[2:3], v11, v7
	s_and_b64 s[0:1], s[0:1], s[2:3]
	s_or_b64 vcc, vcc, s[0:1]
	v_cndmask_b32_e64 v4, v17, v16, s[6:7]
	v_cndmask_b32_e64 v10, v19, v18, s[8:9]
	v_cndmask_b32_e32 v11, v12, v13, vcc
.LBB1297_29:
	s_or_b64 exec, exec, s[22:23]
	v_lshrrev_b32_e32 v7, 2, v0
	v_and_b32_e32 v7, 30, v7
	s_mov_b32 s2, 0x5040100
	v_add_lshl_u32 v1, v7, v1, 1
	v_perm_b32 v3, v9, v3, s2
	v_perm_b32 v2, v8, v2, s2
	s_barrier
	s_barrier
	ds_write2_b32 v1, v2, v3 offset1:1
	v_perm_b32 v2, v11, v5, s2
	v_perm_b32 v3, v10, v4, s2
	ds_write2_b32 v1, v3, v2 offset0:2 offset1:3
	v_lshrrev_b32_e32 v1, 4, v0
	v_and_b32_e32 v1, 4, v1
	v_or_b32_e32 v11, 0x80, v0
	v_add_u32_e32 v12, v6, v1
	v_lshrrev_b32_e32 v1, 4, v11
	v_and_b32_e32 v1, 12, v1
	v_or_b32_e32 v10, 0x100, v0
	v_add_u32_e32 v13, v6, v1
	;; [unrolled: 4-line block ×6, first 2 shown]
	v_lshrrev_b32_e32 v1, 4, v4
	s_mov_b32 s17, 0
	v_and_b32_e32 v1, 52, v1
	s_lshl_b64 s[0:1], s[16:17], 1
	v_add_u32_e32 v18, v6, v1
	v_or_b32_e32 v1, 0x380, v0
	s_add_u32 s0, s20, s0
	v_lshrrev_b32_e32 v2, 4, v1
	s_addc_u32 s1, s21, s1
	v_and_b32_e32 v2, 60, v2
	v_mov_b32_e32 v7, 0
	v_add_u32_e32 v19, v6, v2
	v_lshl_add_u64 v[2:3], s[0:1], 0, v[6:7]
	s_and_b64 vcc, exec, s[18:19]
	s_waitcnt lgkmcnt(0)
	s_cbranch_vccz .LBB1297_31
; %bb.30:
	s_barrier
	ds_read_u16 v7, v12
	ds_read_u16 v20, v13 offset:256
	ds_read_u16 v21, v14 offset:512
	;; [unrolled: 1-line block ×7, first 2 shown]
	s_waitcnt lgkmcnt(7)
	global_store_short v[2:3], v7, off
	s_waitcnt lgkmcnt(6)
	global_store_short v[2:3], v20, off offset:256
	s_waitcnt lgkmcnt(5)
	global_store_short v[2:3], v21, off offset:512
	;; [unrolled: 2-line block ×6, first 2 shown]
	s_mov_b64 s[0:1], -1
	s_cbranch_execz .LBB1297_32
	s_branch .LBB1297_41
.LBB1297_31:
	s_mov_b64 s[0:1], 0
                                        ; implicit-def: $vgpr6
.LBB1297_32:
	s_barrier
	s_waitcnt lgkmcnt(0)
	ds_read_u16 v21, v13 offset:256
	ds_read_u16 v20, v14 offset:512
	;; [unrolled: 1-line block ×7, first 2 shown]
	s_sub_i32 s2, s14, s16
	v_cmp_gt_u32_e32 vcc, s2, v0
	s_and_saveexec_b64 s[0:1], vcc
	s_cbranch_execnz .LBB1297_46
; %bb.33:
	s_or_b64 exec, exec, s[0:1]
	v_cmp_gt_u32_e32 vcc, s2, v11
	s_and_saveexec_b64 s[0:1], vcc
	s_cbranch_execnz .LBB1297_47
.LBB1297_34:
	s_or_b64 exec, exec, s[0:1]
	v_cmp_gt_u32_e32 vcc, s2, v10
	s_and_saveexec_b64 s[0:1], vcc
	s_cbranch_execnz .LBB1297_48
.LBB1297_35:
	s_or_b64 exec, exec, s[0:1]
	v_cmp_gt_u32_e32 vcc, s2, v9
	s_and_saveexec_b64 s[0:1], vcc
	s_cbranch_execnz .LBB1297_49
.LBB1297_36:
	s_or_b64 exec, exec, s[0:1]
	v_cmp_gt_u32_e32 vcc, s2, v8
	s_and_saveexec_b64 s[0:1], vcc
	s_cbranch_execnz .LBB1297_50
.LBB1297_37:
	s_or_b64 exec, exec, s[0:1]
	v_cmp_gt_u32_e32 vcc, s2, v5
	s_and_saveexec_b64 s[0:1], vcc
	s_cbranch_execnz .LBB1297_51
.LBB1297_38:
	s_or_b64 exec, exec, s[0:1]
	v_cmp_gt_u32_e32 vcc, s2, v4
	s_and_saveexec_b64 s[0:1], vcc
	s_cbranch_execz .LBB1297_40
.LBB1297_39:
	s_waitcnt lgkmcnt(1)
	global_store_short v[2:3], v7, off offset:1536
.LBB1297_40:
	s_or_b64 exec, exec, s[0:1]
	v_cmp_gt_u32_e64 s[0:1], s2, v1
.LBB1297_41:
	s_and_saveexec_b64 s[2:3], s[0:1]
	s_cbranch_execz .LBB1297_43
; %bb.42:
	s_waitcnt lgkmcnt(0)
	global_store_short v[2:3], v6, off offset:1792
.LBB1297_43:
	s_endpgm
.LBB1297_44:
	v_mov_b32_e32 v7, 0
	v_subrev_u32_e32 v4, s15, v0
	s_waitcnt vmcnt(0)
	v_mov_b32_e32 v5, v7
	v_lshl_add_u64 v[2:3], s[4:5], 0, v[6:7]
	v_lshl_add_u64 v[4:5], v[4:5], 1, s[6:7]
	v_cmp_gt_u32_e32 vcc, s15, v0
	s_nop 1
	v_cndmask_b32_e32 v3, v5, v3, vcc
	v_cndmask_b32_e32 v2, v4, v2, vcc
	global_load_ushort v2, v[2:3], off
	s_or_b64 exec, exec, s[2:3]
	v_cmp_gt_u32_e32 vcc, s10, v10
	s_and_saveexec_b64 s[2:3], vcc
	s_cbranch_execz .LBB1297_6
.LBB1297_45:
	v_mov_b32_e32 v11, 0
	v_lshl_add_u64 v[12:13], v[10:11], 1, s[4:5]
	v_cmp_gt_u32_e32 vcc, s15, v10
	v_subrev_u32_e32 v10, s15, v10
	v_lshl_add_u64 v[10:11], v[10:11], 1, s[6:7]
	v_cndmask_b32_e32 v11, v11, v13, vcc
	v_cndmask_b32_e32 v10, v10, v12, vcc
	global_load_ushort v7, v[10:11], off
	s_mov_b32 s8, 0x5040100
	s_waitcnt vmcnt(0)
	v_perm_b32 v2, v7, v2, s8
	s_or_b64 exec, exec, s[2:3]
	v_cmp_gt_u32_e32 vcc, s10, v8
	s_and_saveexec_b64 s[2:3], vcc
	s_cbranch_execnz .LBB1297_7
	s_branch .LBB1297_8
.LBB1297_46:
	ds_read_u16 v0, v12
	s_waitcnt lgkmcnt(0)
	global_store_short v[2:3], v0, off
	s_or_b64 exec, exec, s[0:1]
	v_cmp_gt_u32_e32 vcc, s2, v11
	s_and_saveexec_b64 s[0:1], vcc
	s_cbranch_execz .LBB1297_34
.LBB1297_47:
	s_waitcnt lgkmcnt(6)
	global_store_short v[2:3], v21, off offset:256
	s_or_b64 exec, exec, s[0:1]
	v_cmp_gt_u32_e32 vcc, s2, v10
	s_and_saveexec_b64 s[0:1], vcc
	s_cbranch_execz .LBB1297_35
.LBB1297_48:
	s_waitcnt lgkmcnt(5)
	global_store_short v[2:3], v20, off offset:512
	s_or_b64 exec, exec, s[0:1]
	v_cmp_gt_u32_e32 vcc, s2, v9
	s_and_saveexec_b64 s[0:1], vcc
	s_cbranch_execz .LBB1297_36
.LBB1297_49:
	s_waitcnt lgkmcnt(4)
	global_store_short v[2:3], v15, off offset:768
	s_or_b64 exec, exec, s[0:1]
	v_cmp_gt_u32_e32 vcc, s2, v8
	s_and_saveexec_b64 s[0:1], vcc
	s_cbranch_execz .LBB1297_37
.LBB1297_50:
	s_waitcnt lgkmcnt(3)
	global_store_short v[2:3], v14, off offset:1024
	s_or_b64 exec, exec, s[0:1]
	v_cmp_gt_u32_e32 vcc, s2, v5
	s_and_saveexec_b64 s[0:1], vcc
	s_cbranch_execz .LBB1297_38
.LBB1297_51:
	s_waitcnt lgkmcnt(2)
	global_store_short v[2:3], v13, off offset:1280
	s_or_b64 exec, exec, s[0:1]
	v_cmp_gt_u32_e32 vcc, s2, v4
	s_and_saveexec_b64 s[0:1], vcc
	s_cbranch_execnz .LBB1297_39
	s_branch .LBB1297_40
	.section	.rodata,"a",@progbits
	.p2align	6, 0x0
	.amdhsa_kernel _ZN7rocprim17ROCPRIM_400000_NS6detail17trampoline_kernelINS0_14default_configENS1_38merge_sort_block_merge_config_selectorItNS0_10empty_typeEEEZZNS1_27merge_sort_block_merge_implIS3_N6thrust23THRUST_200600_302600_NS6detail15normal_iteratorINS9_10device_ptrItEEEEPS5_jNS1_19radix_merge_compareILb0ELb1EtNS0_19identity_decomposerEEEEE10hipError_tT0_T1_T2_jT3_P12ihipStream_tbPNSt15iterator_traitsISK_E10value_typeEPNSQ_ISL_E10value_typeEPSM_NS1_7vsmem_tEENKUlT_SK_SL_SM_E_clISE_PtSF_SF_EESJ_SZ_SK_SL_SM_EUlSZ_E0_NS1_11comp_targetILNS1_3genE5ELNS1_11target_archE942ELNS1_3gpuE9ELNS1_3repE0EEENS1_38merge_mergepath_config_static_selectorELNS0_4arch9wavefront6targetE1EEEvSL_
		.amdhsa_group_segment_fixed_size 2112
		.amdhsa_private_segment_fixed_size 0
		.amdhsa_kernarg_size 320
		.amdhsa_user_sgpr_count 2
		.amdhsa_user_sgpr_dispatch_ptr 0
		.amdhsa_user_sgpr_queue_ptr 0
		.amdhsa_user_sgpr_kernarg_segment_ptr 1
		.amdhsa_user_sgpr_dispatch_id 0
		.amdhsa_user_sgpr_kernarg_preload_length 0
		.amdhsa_user_sgpr_kernarg_preload_offset 0
		.amdhsa_user_sgpr_private_segment_size 0
		.amdhsa_uses_dynamic_stack 0
		.amdhsa_enable_private_segment 0
		.amdhsa_system_sgpr_workgroup_id_x 1
		.amdhsa_system_sgpr_workgroup_id_y 1
		.amdhsa_system_sgpr_workgroup_id_z 1
		.amdhsa_system_sgpr_workgroup_info 0
		.amdhsa_system_vgpr_workitem_id 0
		.amdhsa_next_free_vgpr 26
		.amdhsa_next_free_sgpr 24
		.amdhsa_accum_offset 28
		.amdhsa_reserve_vcc 1
		.amdhsa_float_round_mode_32 0
		.amdhsa_float_round_mode_16_64 0
		.amdhsa_float_denorm_mode_32 3
		.amdhsa_float_denorm_mode_16_64 3
		.amdhsa_dx10_clamp 1
		.amdhsa_ieee_mode 1
		.amdhsa_fp16_overflow 0
		.amdhsa_tg_split 0
		.amdhsa_exception_fp_ieee_invalid_op 0
		.amdhsa_exception_fp_denorm_src 0
		.amdhsa_exception_fp_ieee_div_zero 0
		.amdhsa_exception_fp_ieee_overflow 0
		.amdhsa_exception_fp_ieee_underflow 0
		.amdhsa_exception_fp_ieee_inexact 0
		.amdhsa_exception_int_div_zero 0
	.end_amdhsa_kernel
	.section	.text._ZN7rocprim17ROCPRIM_400000_NS6detail17trampoline_kernelINS0_14default_configENS1_38merge_sort_block_merge_config_selectorItNS0_10empty_typeEEEZZNS1_27merge_sort_block_merge_implIS3_N6thrust23THRUST_200600_302600_NS6detail15normal_iteratorINS9_10device_ptrItEEEEPS5_jNS1_19radix_merge_compareILb0ELb1EtNS0_19identity_decomposerEEEEE10hipError_tT0_T1_T2_jT3_P12ihipStream_tbPNSt15iterator_traitsISK_E10value_typeEPNSQ_ISL_E10value_typeEPSM_NS1_7vsmem_tEENKUlT_SK_SL_SM_E_clISE_PtSF_SF_EESJ_SZ_SK_SL_SM_EUlSZ_E0_NS1_11comp_targetILNS1_3genE5ELNS1_11target_archE942ELNS1_3gpuE9ELNS1_3repE0EEENS1_38merge_mergepath_config_static_selectorELNS0_4arch9wavefront6targetE1EEEvSL_,"axG",@progbits,_ZN7rocprim17ROCPRIM_400000_NS6detail17trampoline_kernelINS0_14default_configENS1_38merge_sort_block_merge_config_selectorItNS0_10empty_typeEEEZZNS1_27merge_sort_block_merge_implIS3_N6thrust23THRUST_200600_302600_NS6detail15normal_iteratorINS9_10device_ptrItEEEEPS5_jNS1_19radix_merge_compareILb0ELb1EtNS0_19identity_decomposerEEEEE10hipError_tT0_T1_T2_jT3_P12ihipStream_tbPNSt15iterator_traitsISK_E10value_typeEPNSQ_ISL_E10value_typeEPSM_NS1_7vsmem_tEENKUlT_SK_SL_SM_E_clISE_PtSF_SF_EESJ_SZ_SK_SL_SM_EUlSZ_E0_NS1_11comp_targetILNS1_3genE5ELNS1_11target_archE942ELNS1_3gpuE9ELNS1_3repE0EEENS1_38merge_mergepath_config_static_selectorELNS0_4arch9wavefront6targetE1EEEvSL_,comdat
.Lfunc_end1297:
	.size	_ZN7rocprim17ROCPRIM_400000_NS6detail17trampoline_kernelINS0_14default_configENS1_38merge_sort_block_merge_config_selectorItNS0_10empty_typeEEEZZNS1_27merge_sort_block_merge_implIS3_N6thrust23THRUST_200600_302600_NS6detail15normal_iteratorINS9_10device_ptrItEEEEPS5_jNS1_19radix_merge_compareILb0ELb1EtNS0_19identity_decomposerEEEEE10hipError_tT0_T1_T2_jT3_P12ihipStream_tbPNSt15iterator_traitsISK_E10value_typeEPNSQ_ISL_E10value_typeEPSM_NS1_7vsmem_tEENKUlT_SK_SL_SM_E_clISE_PtSF_SF_EESJ_SZ_SK_SL_SM_EUlSZ_E0_NS1_11comp_targetILNS1_3genE5ELNS1_11target_archE942ELNS1_3gpuE9ELNS1_3repE0EEENS1_38merge_mergepath_config_static_selectorELNS0_4arch9wavefront6targetE1EEEvSL_, .Lfunc_end1297-_ZN7rocprim17ROCPRIM_400000_NS6detail17trampoline_kernelINS0_14default_configENS1_38merge_sort_block_merge_config_selectorItNS0_10empty_typeEEEZZNS1_27merge_sort_block_merge_implIS3_N6thrust23THRUST_200600_302600_NS6detail15normal_iteratorINS9_10device_ptrItEEEEPS5_jNS1_19radix_merge_compareILb0ELb1EtNS0_19identity_decomposerEEEEE10hipError_tT0_T1_T2_jT3_P12ihipStream_tbPNSt15iterator_traitsISK_E10value_typeEPNSQ_ISL_E10value_typeEPSM_NS1_7vsmem_tEENKUlT_SK_SL_SM_E_clISE_PtSF_SF_EESJ_SZ_SK_SL_SM_EUlSZ_E0_NS1_11comp_targetILNS1_3genE5ELNS1_11target_archE942ELNS1_3gpuE9ELNS1_3repE0EEENS1_38merge_mergepath_config_static_selectorELNS0_4arch9wavefront6targetE1EEEvSL_
                                        ; -- End function
	.section	.AMDGPU.csdata,"",@progbits
; Kernel info:
; codeLenInByte = 3520
; NumSgprs: 30
; NumVgprs: 26
; NumAgprs: 0
; TotalNumVgprs: 26
; ScratchSize: 0
; MemoryBound: 0
; FloatMode: 240
; IeeeMode: 1
; LDSByteSize: 2112 bytes/workgroup (compile time only)
; SGPRBlocks: 3
; VGPRBlocks: 3
; NumSGPRsForWavesPerEU: 30
; NumVGPRsForWavesPerEU: 26
; AccumOffset: 28
; Occupancy: 8
; WaveLimiterHint : 1
; COMPUTE_PGM_RSRC2:SCRATCH_EN: 0
; COMPUTE_PGM_RSRC2:USER_SGPR: 2
; COMPUTE_PGM_RSRC2:TRAP_HANDLER: 0
; COMPUTE_PGM_RSRC2:TGID_X_EN: 1
; COMPUTE_PGM_RSRC2:TGID_Y_EN: 1
; COMPUTE_PGM_RSRC2:TGID_Z_EN: 1
; COMPUTE_PGM_RSRC2:TIDIG_COMP_CNT: 0
; COMPUTE_PGM_RSRC3_GFX90A:ACCUM_OFFSET: 6
; COMPUTE_PGM_RSRC3_GFX90A:TG_SPLIT: 0
	.section	.text._ZN7rocprim17ROCPRIM_400000_NS6detail17trampoline_kernelINS0_14default_configENS1_38merge_sort_block_merge_config_selectorItNS0_10empty_typeEEEZZNS1_27merge_sort_block_merge_implIS3_N6thrust23THRUST_200600_302600_NS6detail15normal_iteratorINS9_10device_ptrItEEEEPS5_jNS1_19radix_merge_compareILb0ELb1EtNS0_19identity_decomposerEEEEE10hipError_tT0_T1_T2_jT3_P12ihipStream_tbPNSt15iterator_traitsISK_E10value_typeEPNSQ_ISL_E10value_typeEPSM_NS1_7vsmem_tEENKUlT_SK_SL_SM_E_clISE_PtSF_SF_EESJ_SZ_SK_SL_SM_EUlSZ_E0_NS1_11comp_targetILNS1_3genE4ELNS1_11target_archE910ELNS1_3gpuE8ELNS1_3repE0EEENS1_38merge_mergepath_config_static_selectorELNS0_4arch9wavefront6targetE1EEEvSL_,"axG",@progbits,_ZN7rocprim17ROCPRIM_400000_NS6detail17trampoline_kernelINS0_14default_configENS1_38merge_sort_block_merge_config_selectorItNS0_10empty_typeEEEZZNS1_27merge_sort_block_merge_implIS3_N6thrust23THRUST_200600_302600_NS6detail15normal_iteratorINS9_10device_ptrItEEEEPS5_jNS1_19radix_merge_compareILb0ELb1EtNS0_19identity_decomposerEEEEE10hipError_tT0_T1_T2_jT3_P12ihipStream_tbPNSt15iterator_traitsISK_E10value_typeEPNSQ_ISL_E10value_typeEPSM_NS1_7vsmem_tEENKUlT_SK_SL_SM_E_clISE_PtSF_SF_EESJ_SZ_SK_SL_SM_EUlSZ_E0_NS1_11comp_targetILNS1_3genE4ELNS1_11target_archE910ELNS1_3gpuE8ELNS1_3repE0EEENS1_38merge_mergepath_config_static_selectorELNS0_4arch9wavefront6targetE1EEEvSL_,comdat
	.protected	_ZN7rocprim17ROCPRIM_400000_NS6detail17trampoline_kernelINS0_14default_configENS1_38merge_sort_block_merge_config_selectorItNS0_10empty_typeEEEZZNS1_27merge_sort_block_merge_implIS3_N6thrust23THRUST_200600_302600_NS6detail15normal_iteratorINS9_10device_ptrItEEEEPS5_jNS1_19radix_merge_compareILb0ELb1EtNS0_19identity_decomposerEEEEE10hipError_tT0_T1_T2_jT3_P12ihipStream_tbPNSt15iterator_traitsISK_E10value_typeEPNSQ_ISL_E10value_typeEPSM_NS1_7vsmem_tEENKUlT_SK_SL_SM_E_clISE_PtSF_SF_EESJ_SZ_SK_SL_SM_EUlSZ_E0_NS1_11comp_targetILNS1_3genE4ELNS1_11target_archE910ELNS1_3gpuE8ELNS1_3repE0EEENS1_38merge_mergepath_config_static_selectorELNS0_4arch9wavefront6targetE1EEEvSL_ ; -- Begin function _ZN7rocprim17ROCPRIM_400000_NS6detail17trampoline_kernelINS0_14default_configENS1_38merge_sort_block_merge_config_selectorItNS0_10empty_typeEEEZZNS1_27merge_sort_block_merge_implIS3_N6thrust23THRUST_200600_302600_NS6detail15normal_iteratorINS9_10device_ptrItEEEEPS5_jNS1_19radix_merge_compareILb0ELb1EtNS0_19identity_decomposerEEEEE10hipError_tT0_T1_T2_jT3_P12ihipStream_tbPNSt15iterator_traitsISK_E10value_typeEPNSQ_ISL_E10value_typeEPSM_NS1_7vsmem_tEENKUlT_SK_SL_SM_E_clISE_PtSF_SF_EESJ_SZ_SK_SL_SM_EUlSZ_E0_NS1_11comp_targetILNS1_3genE4ELNS1_11target_archE910ELNS1_3gpuE8ELNS1_3repE0EEENS1_38merge_mergepath_config_static_selectorELNS0_4arch9wavefront6targetE1EEEvSL_
	.globl	_ZN7rocprim17ROCPRIM_400000_NS6detail17trampoline_kernelINS0_14default_configENS1_38merge_sort_block_merge_config_selectorItNS0_10empty_typeEEEZZNS1_27merge_sort_block_merge_implIS3_N6thrust23THRUST_200600_302600_NS6detail15normal_iteratorINS9_10device_ptrItEEEEPS5_jNS1_19radix_merge_compareILb0ELb1EtNS0_19identity_decomposerEEEEE10hipError_tT0_T1_T2_jT3_P12ihipStream_tbPNSt15iterator_traitsISK_E10value_typeEPNSQ_ISL_E10value_typeEPSM_NS1_7vsmem_tEENKUlT_SK_SL_SM_E_clISE_PtSF_SF_EESJ_SZ_SK_SL_SM_EUlSZ_E0_NS1_11comp_targetILNS1_3genE4ELNS1_11target_archE910ELNS1_3gpuE8ELNS1_3repE0EEENS1_38merge_mergepath_config_static_selectorELNS0_4arch9wavefront6targetE1EEEvSL_
	.p2align	8
	.type	_ZN7rocprim17ROCPRIM_400000_NS6detail17trampoline_kernelINS0_14default_configENS1_38merge_sort_block_merge_config_selectorItNS0_10empty_typeEEEZZNS1_27merge_sort_block_merge_implIS3_N6thrust23THRUST_200600_302600_NS6detail15normal_iteratorINS9_10device_ptrItEEEEPS5_jNS1_19radix_merge_compareILb0ELb1EtNS0_19identity_decomposerEEEEE10hipError_tT0_T1_T2_jT3_P12ihipStream_tbPNSt15iterator_traitsISK_E10value_typeEPNSQ_ISL_E10value_typeEPSM_NS1_7vsmem_tEENKUlT_SK_SL_SM_E_clISE_PtSF_SF_EESJ_SZ_SK_SL_SM_EUlSZ_E0_NS1_11comp_targetILNS1_3genE4ELNS1_11target_archE910ELNS1_3gpuE8ELNS1_3repE0EEENS1_38merge_mergepath_config_static_selectorELNS0_4arch9wavefront6targetE1EEEvSL_,@function
_ZN7rocprim17ROCPRIM_400000_NS6detail17trampoline_kernelINS0_14default_configENS1_38merge_sort_block_merge_config_selectorItNS0_10empty_typeEEEZZNS1_27merge_sort_block_merge_implIS3_N6thrust23THRUST_200600_302600_NS6detail15normal_iteratorINS9_10device_ptrItEEEEPS5_jNS1_19radix_merge_compareILb0ELb1EtNS0_19identity_decomposerEEEEE10hipError_tT0_T1_T2_jT3_P12ihipStream_tbPNSt15iterator_traitsISK_E10value_typeEPNSQ_ISL_E10value_typeEPSM_NS1_7vsmem_tEENKUlT_SK_SL_SM_E_clISE_PtSF_SF_EESJ_SZ_SK_SL_SM_EUlSZ_E0_NS1_11comp_targetILNS1_3genE4ELNS1_11target_archE910ELNS1_3gpuE8ELNS1_3repE0EEENS1_38merge_mergepath_config_static_selectorELNS0_4arch9wavefront6targetE1EEEvSL_: ; @_ZN7rocprim17ROCPRIM_400000_NS6detail17trampoline_kernelINS0_14default_configENS1_38merge_sort_block_merge_config_selectorItNS0_10empty_typeEEEZZNS1_27merge_sort_block_merge_implIS3_N6thrust23THRUST_200600_302600_NS6detail15normal_iteratorINS9_10device_ptrItEEEEPS5_jNS1_19radix_merge_compareILb0ELb1EtNS0_19identity_decomposerEEEEE10hipError_tT0_T1_T2_jT3_P12ihipStream_tbPNSt15iterator_traitsISK_E10value_typeEPNSQ_ISL_E10value_typeEPSM_NS1_7vsmem_tEENKUlT_SK_SL_SM_E_clISE_PtSF_SF_EESJ_SZ_SK_SL_SM_EUlSZ_E0_NS1_11comp_targetILNS1_3genE4ELNS1_11target_archE910ELNS1_3gpuE8ELNS1_3repE0EEENS1_38merge_mergepath_config_static_selectorELNS0_4arch9wavefront6targetE1EEEvSL_
; %bb.0:
	.section	.rodata,"a",@progbits
	.p2align	6, 0x0
	.amdhsa_kernel _ZN7rocprim17ROCPRIM_400000_NS6detail17trampoline_kernelINS0_14default_configENS1_38merge_sort_block_merge_config_selectorItNS0_10empty_typeEEEZZNS1_27merge_sort_block_merge_implIS3_N6thrust23THRUST_200600_302600_NS6detail15normal_iteratorINS9_10device_ptrItEEEEPS5_jNS1_19radix_merge_compareILb0ELb1EtNS0_19identity_decomposerEEEEE10hipError_tT0_T1_T2_jT3_P12ihipStream_tbPNSt15iterator_traitsISK_E10value_typeEPNSQ_ISL_E10value_typeEPSM_NS1_7vsmem_tEENKUlT_SK_SL_SM_E_clISE_PtSF_SF_EESJ_SZ_SK_SL_SM_EUlSZ_E0_NS1_11comp_targetILNS1_3genE4ELNS1_11target_archE910ELNS1_3gpuE8ELNS1_3repE0EEENS1_38merge_mergepath_config_static_selectorELNS0_4arch9wavefront6targetE1EEEvSL_
		.amdhsa_group_segment_fixed_size 0
		.amdhsa_private_segment_fixed_size 0
		.amdhsa_kernarg_size 64
		.amdhsa_user_sgpr_count 2
		.amdhsa_user_sgpr_dispatch_ptr 0
		.amdhsa_user_sgpr_queue_ptr 0
		.amdhsa_user_sgpr_kernarg_segment_ptr 1
		.amdhsa_user_sgpr_dispatch_id 0
		.amdhsa_user_sgpr_kernarg_preload_length 0
		.amdhsa_user_sgpr_kernarg_preload_offset 0
		.amdhsa_user_sgpr_private_segment_size 0
		.amdhsa_uses_dynamic_stack 0
		.amdhsa_enable_private_segment 0
		.amdhsa_system_sgpr_workgroup_id_x 1
		.amdhsa_system_sgpr_workgroup_id_y 0
		.amdhsa_system_sgpr_workgroup_id_z 0
		.amdhsa_system_sgpr_workgroup_info 0
		.amdhsa_system_vgpr_workitem_id 0
		.amdhsa_next_free_vgpr 1
		.amdhsa_next_free_sgpr 0
		.amdhsa_accum_offset 4
		.amdhsa_reserve_vcc 0
		.amdhsa_float_round_mode_32 0
		.amdhsa_float_round_mode_16_64 0
		.amdhsa_float_denorm_mode_32 3
		.amdhsa_float_denorm_mode_16_64 3
		.amdhsa_dx10_clamp 1
		.amdhsa_ieee_mode 1
		.amdhsa_fp16_overflow 0
		.amdhsa_tg_split 0
		.amdhsa_exception_fp_ieee_invalid_op 0
		.amdhsa_exception_fp_denorm_src 0
		.amdhsa_exception_fp_ieee_div_zero 0
		.amdhsa_exception_fp_ieee_overflow 0
		.amdhsa_exception_fp_ieee_underflow 0
		.amdhsa_exception_fp_ieee_inexact 0
		.amdhsa_exception_int_div_zero 0
	.end_amdhsa_kernel
	.section	.text._ZN7rocprim17ROCPRIM_400000_NS6detail17trampoline_kernelINS0_14default_configENS1_38merge_sort_block_merge_config_selectorItNS0_10empty_typeEEEZZNS1_27merge_sort_block_merge_implIS3_N6thrust23THRUST_200600_302600_NS6detail15normal_iteratorINS9_10device_ptrItEEEEPS5_jNS1_19radix_merge_compareILb0ELb1EtNS0_19identity_decomposerEEEEE10hipError_tT0_T1_T2_jT3_P12ihipStream_tbPNSt15iterator_traitsISK_E10value_typeEPNSQ_ISL_E10value_typeEPSM_NS1_7vsmem_tEENKUlT_SK_SL_SM_E_clISE_PtSF_SF_EESJ_SZ_SK_SL_SM_EUlSZ_E0_NS1_11comp_targetILNS1_3genE4ELNS1_11target_archE910ELNS1_3gpuE8ELNS1_3repE0EEENS1_38merge_mergepath_config_static_selectorELNS0_4arch9wavefront6targetE1EEEvSL_,"axG",@progbits,_ZN7rocprim17ROCPRIM_400000_NS6detail17trampoline_kernelINS0_14default_configENS1_38merge_sort_block_merge_config_selectorItNS0_10empty_typeEEEZZNS1_27merge_sort_block_merge_implIS3_N6thrust23THRUST_200600_302600_NS6detail15normal_iteratorINS9_10device_ptrItEEEEPS5_jNS1_19radix_merge_compareILb0ELb1EtNS0_19identity_decomposerEEEEE10hipError_tT0_T1_T2_jT3_P12ihipStream_tbPNSt15iterator_traitsISK_E10value_typeEPNSQ_ISL_E10value_typeEPSM_NS1_7vsmem_tEENKUlT_SK_SL_SM_E_clISE_PtSF_SF_EESJ_SZ_SK_SL_SM_EUlSZ_E0_NS1_11comp_targetILNS1_3genE4ELNS1_11target_archE910ELNS1_3gpuE8ELNS1_3repE0EEENS1_38merge_mergepath_config_static_selectorELNS0_4arch9wavefront6targetE1EEEvSL_,comdat
.Lfunc_end1298:
	.size	_ZN7rocprim17ROCPRIM_400000_NS6detail17trampoline_kernelINS0_14default_configENS1_38merge_sort_block_merge_config_selectorItNS0_10empty_typeEEEZZNS1_27merge_sort_block_merge_implIS3_N6thrust23THRUST_200600_302600_NS6detail15normal_iteratorINS9_10device_ptrItEEEEPS5_jNS1_19radix_merge_compareILb0ELb1EtNS0_19identity_decomposerEEEEE10hipError_tT0_T1_T2_jT3_P12ihipStream_tbPNSt15iterator_traitsISK_E10value_typeEPNSQ_ISL_E10value_typeEPSM_NS1_7vsmem_tEENKUlT_SK_SL_SM_E_clISE_PtSF_SF_EESJ_SZ_SK_SL_SM_EUlSZ_E0_NS1_11comp_targetILNS1_3genE4ELNS1_11target_archE910ELNS1_3gpuE8ELNS1_3repE0EEENS1_38merge_mergepath_config_static_selectorELNS0_4arch9wavefront6targetE1EEEvSL_, .Lfunc_end1298-_ZN7rocprim17ROCPRIM_400000_NS6detail17trampoline_kernelINS0_14default_configENS1_38merge_sort_block_merge_config_selectorItNS0_10empty_typeEEEZZNS1_27merge_sort_block_merge_implIS3_N6thrust23THRUST_200600_302600_NS6detail15normal_iteratorINS9_10device_ptrItEEEEPS5_jNS1_19radix_merge_compareILb0ELb1EtNS0_19identity_decomposerEEEEE10hipError_tT0_T1_T2_jT3_P12ihipStream_tbPNSt15iterator_traitsISK_E10value_typeEPNSQ_ISL_E10value_typeEPSM_NS1_7vsmem_tEENKUlT_SK_SL_SM_E_clISE_PtSF_SF_EESJ_SZ_SK_SL_SM_EUlSZ_E0_NS1_11comp_targetILNS1_3genE4ELNS1_11target_archE910ELNS1_3gpuE8ELNS1_3repE0EEENS1_38merge_mergepath_config_static_selectorELNS0_4arch9wavefront6targetE1EEEvSL_
                                        ; -- End function
	.section	.AMDGPU.csdata,"",@progbits
; Kernel info:
; codeLenInByte = 0
; NumSgprs: 6
; NumVgprs: 0
; NumAgprs: 0
; TotalNumVgprs: 0
; ScratchSize: 0
; MemoryBound: 0
; FloatMode: 240
; IeeeMode: 1
; LDSByteSize: 0 bytes/workgroup (compile time only)
; SGPRBlocks: 0
; VGPRBlocks: 0
; NumSGPRsForWavesPerEU: 6
; NumVGPRsForWavesPerEU: 1
; AccumOffset: 4
; Occupancy: 8
; WaveLimiterHint : 0
; COMPUTE_PGM_RSRC2:SCRATCH_EN: 0
; COMPUTE_PGM_RSRC2:USER_SGPR: 2
; COMPUTE_PGM_RSRC2:TRAP_HANDLER: 0
; COMPUTE_PGM_RSRC2:TGID_X_EN: 1
; COMPUTE_PGM_RSRC2:TGID_Y_EN: 0
; COMPUTE_PGM_RSRC2:TGID_Z_EN: 0
; COMPUTE_PGM_RSRC2:TIDIG_COMP_CNT: 0
; COMPUTE_PGM_RSRC3_GFX90A:ACCUM_OFFSET: 0
; COMPUTE_PGM_RSRC3_GFX90A:TG_SPLIT: 0
	.section	.text._ZN7rocprim17ROCPRIM_400000_NS6detail17trampoline_kernelINS0_14default_configENS1_38merge_sort_block_merge_config_selectorItNS0_10empty_typeEEEZZNS1_27merge_sort_block_merge_implIS3_N6thrust23THRUST_200600_302600_NS6detail15normal_iteratorINS9_10device_ptrItEEEEPS5_jNS1_19radix_merge_compareILb0ELb1EtNS0_19identity_decomposerEEEEE10hipError_tT0_T1_T2_jT3_P12ihipStream_tbPNSt15iterator_traitsISK_E10value_typeEPNSQ_ISL_E10value_typeEPSM_NS1_7vsmem_tEENKUlT_SK_SL_SM_E_clISE_PtSF_SF_EESJ_SZ_SK_SL_SM_EUlSZ_E0_NS1_11comp_targetILNS1_3genE3ELNS1_11target_archE908ELNS1_3gpuE7ELNS1_3repE0EEENS1_38merge_mergepath_config_static_selectorELNS0_4arch9wavefront6targetE1EEEvSL_,"axG",@progbits,_ZN7rocprim17ROCPRIM_400000_NS6detail17trampoline_kernelINS0_14default_configENS1_38merge_sort_block_merge_config_selectorItNS0_10empty_typeEEEZZNS1_27merge_sort_block_merge_implIS3_N6thrust23THRUST_200600_302600_NS6detail15normal_iteratorINS9_10device_ptrItEEEEPS5_jNS1_19radix_merge_compareILb0ELb1EtNS0_19identity_decomposerEEEEE10hipError_tT0_T1_T2_jT3_P12ihipStream_tbPNSt15iterator_traitsISK_E10value_typeEPNSQ_ISL_E10value_typeEPSM_NS1_7vsmem_tEENKUlT_SK_SL_SM_E_clISE_PtSF_SF_EESJ_SZ_SK_SL_SM_EUlSZ_E0_NS1_11comp_targetILNS1_3genE3ELNS1_11target_archE908ELNS1_3gpuE7ELNS1_3repE0EEENS1_38merge_mergepath_config_static_selectorELNS0_4arch9wavefront6targetE1EEEvSL_,comdat
	.protected	_ZN7rocprim17ROCPRIM_400000_NS6detail17trampoline_kernelINS0_14default_configENS1_38merge_sort_block_merge_config_selectorItNS0_10empty_typeEEEZZNS1_27merge_sort_block_merge_implIS3_N6thrust23THRUST_200600_302600_NS6detail15normal_iteratorINS9_10device_ptrItEEEEPS5_jNS1_19radix_merge_compareILb0ELb1EtNS0_19identity_decomposerEEEEE10hipError_tT0_T1_T2_jT3_P12ihipStream_tbPNSt15iterator_traitsISK_E10value_typeEPNSQ_ISL_E10value_typeEPSM_NS1_7vsmem_tEENKUlT_SK_SL_SM_E_clISE_PtSF_SF_EESJ_SZ_SK_SL_SM_EUlSZ_E0_NS1_11comp_targetILNS1_3genE3ELNS1_11target_archE908ELNS1_3gpuE7ELNS1_3repE0EEENS1_38merge_mergepath_config_static_selectorELNS0_4arch9wavefront6targetE1EEEvSL_ ; -- Begin function _ZN7rocprim17ROCPRIM_400000_NS6detail17trampoline_kernelINS0_14default_configENS1_38merge_sort_block_merge_config_selectorItNS0_10empty_typeEEEZZNS1_27merge_sort_block_merge_implIS3_N6thrust23THRUST_200600_302600_NS6detail15normal_iteratorINS9_10device_ptrItEEEEPS5_jNS1_19radix_merge_compareILb0ELb1EtNS0_19identity_decomposerEEEEE10hipError_tT0_T1_T2_jT3_P12ihipStream_tbPNSt15iterator_traitsISK_E10value_typeEPNSQ_ISL_E10value_typeEPSM_NS1_7vsmem_tEENKUlT_SK_SL_SM_E_clISE_PtSF_SF_EESJ_SZ_SK_SL_SM_EUlSZ_E0_NS1_11comp_targetILNS1_3genE3ELNS1_11target_archE908ELNS1_3gpuE7ELNS1_3repE0EEENS1_38merge_mergepath_config_static_selectorELNS0_4arch9wavefront6targetE1EEEvSL_
	.globl	_ZN7rocprim17ROCPRIM_400000_NS6detail17trampoline_kernelINS0_14default_configENS1_38merge_sort_block_merge_config_selectorItNS0_10empty_typeEEEZZNS1_27merge_sort_block_merge_implIS3_N6thrust23THRUST_200600_302600_NS6detail15normal_iteratorINS9_10device_ptrItEEEEPS5_jNS1_19radix_merge_compareILb0ELb1EtNS0_19identity_decomposerEEEEE10hipError_tT0_T1_T2_jT3_P12ihipStream_tbPNSt15iterator_traitsISK_E10value_typeEPNSQ_ISL_E10value_typeEPSM_NS1_7vsmem_tEENKUlT_SK_SL_SM_E_clISE_PtSF_SF_EESJ_SZ_SK_SL_SM_EUlSZ_E0_NS1_11comp_targetILNS1_3genE3ELNS1_11target_archE908ELNS1_3gpuE7ELNS1_3repE0EEENS1_38merge_mergepath_config_static_selectorELNS0_4arch9wavefront6targetE1EEEvSL_
	.p2align	8
	.type	_ZN7rocprim17ROCPRIM_400000_NS6detail17trampoline_kernelINS0_14default_configENS1_38merge_sort_block_merge_config_selectorItNS0_10empty_typeEEEZZNS1_27merge_sort_block_merge_implIS3_N6thrust23THRUST_200600_302600_NS6detail15normal_iteratorINS9_10device_ptrItEEEEPS5_jNS1_19radix_merge_compareILb0ELb1EtNS0_19identity_decomposerEEEEE10hipError_tT0_T1_T2_jT3_P12ihipStream_tbPNSt15iterator_traitsISK_E10value_typeEPNSQ_ISL_E10value_typeEPSM_NS1_7vsmem_tEENKUlT_SK_SL_SM_E_clISE_PtSF_SF_EESJ_SZ_SK_SL_SM_EUlSZ_E0_NS1_11comp_targetILNS1_3genE3ELNS1_11target_archE908ELNS1_3gpuE7ELNS1_3repE0EEENS1_38merge_mergepath_config_static_selectorELNS0_4arch9wavefront6targetE1EEEvSL_,@function
_ZN7rocprim17ROCPRIM_400000_NS6detail17trampoline_kernelINS0_14default_configENS1_38merge_sort_block_merge_config_selectorItNS0_10empty_typeEEEZZNS1_27merge_sort_block_merge_implIS3_N6thrust23THRUST_200600_302600_NS6detail15normal_iteratorINS9_10device_ptrItEEEEPS5_jNS1_19radix_merge_compareILb0ELb1EtNS0_19identity_decomposerEEEEE10hipError_tT0_T1_T2_jT3_P12ihipStream_tbPNSt15iterator_traitsISK_E10value_typeEPNSQ_ISL_E10value_typeEPSM_NS1_7vsmem_tEENKUlT_SK_SL_SM_E_clISE_PtSF_SF_EESJ_SZ_SK_SL_SM_EUlSZ_E0_NS1_11comp_targetILNS1_3genE3ELNS1_11target_archE908ELNS1_3gpuE7ELNS1_3repE0EEENS1_38merge_mergepath_config_static_selectorELNS0_4arch9wavefront6targetE1EEEvSL_: ; @_ZN7rocprim17ROCPRIM_400000_NS6detail17trampoline_kernelINS0_14default_configENS1_38merge_sort_block_merge_config_selectorItNS0_10empty_typeEEEZZNS1_27merge_sort_block_merge_implIS3_N6thrust23THRUST_200600_302600_NS6detail15normal_iteratorINS9_10device_ptrItEEEEPS5_jNS1_19radix_merge_compareILb0ELb1EtNS0_19identity_decomposerEEEEE10hipError_tT0_T1_T2_jT3_P12ihipStream_tbPNSt15iterator_traitsISK_E10value_typeEPNSQ_ISL_E10value_typeEPSM_NS1_7vsmem_tEENKUlT_SK_SL_SM_E_clISE_PtSF_SF_EESJ_SZ_SK_SL_SM_EUlSZ_E0_NS1_11comp_targetILNS1_3genE3ELNS1_11target_archE908ELNS1_3gpuE7ELNS1_3repE0EEENS1_38merge_mergepath_config_static_selectorELNS0_4arch9wavefront6targetE1EEEvSL_
; %bb.0:
	.section	.rodata,"a",@progbits
	.p2align	6, 0x0
	.amdhsa_kernel _ZN7rocprim17ROCPRIM_400000_NS6detail17trampoline_kernelINS0_14default_configENS1_38merge_sort_block_merge_config_selectorItNS0_10empty_typeEEEZZNS1_27merge_sort_block_merge_implIS3_N6thrust23THRUST_200600_302600_NS6detail15normal_iteratorINS9_10device_ptrItEEEEPS5_jNS1_19radix_merge_compareILb0ELb1EtNS0_19identity_decomposerEEEEE10hipError_tT0_T1_T2_jT3_P12ihipStream_tbPNSt15iterator_traitsISK_E10value_typeEPNSQ_ISL_E10value_typeEPSM_NS1_7vsmem_tEENKUlT_SK_SL_SM_E_clISE_PtSF_SF_EESJ_SZ_SK_SL_SM_EUlSZ_E0_NS1_11comp_targetILNS1_3genE3ELNS1_11target_archE908ELNS1_3gpuE7ELNS1_3repE0EEENS1_38merge_mergepath_config_static_selectorELNS0_4arch9wavefront6targetE1EEEvSL_
		.amdhsa_group_segment_fixed_size 0
		.amdhsa_private_segment_fixed_size 0
		.amdhsa_kernarg_size 64
		.amdhsa_user_sgpr_count 2
		.amdhsa_user_sgpr_dispatch_ptr 0
		.amdhsa_user_sgpr_queue_ptr 0
		.amdhsa_user_sgpr_kernarg_segment_ptr 1
		.amdhsa_user_sgpr_dispatch_id 0
		.amdhsa_user_sgpr_kernarg_preload_length 0
		.amdhsa_user_sgpr_kernarg_preload_offset 0
		.amdhsa_user_sgpr_private_segment_size 0
		.amdhsa_uses_dynamic_stack 0
		.amdhsa_enable_private_segment 0
		.amdhsa_system_sgpr_workgroup_id_x 1
		.amdhsa_system_sgpr_workgroup_id_y 0
		.amdhsa_system_sgpr_workgroup_id_z 0
		.amdhsa_system_sgpr_workgroup_info 0
		.amdhsa_system_vgpr_workitem_id 0
		.amdhsa_next_free_vgpr 1
		.amdhsa_next_free_sgpr 0
		.amdhsa_accum_offset 4
		.amdhsa_reserve_vcc 0
		.amdhsa_float_round_mode_32 0
		.amdhsa_float_round_mode_16_64 0
		.amdhsa_float_denorm_mode_32 3
		.amdhsa_float_denorm_mode_16_64 3
		.amdhsa_dx10_clamp 1
		.amdhsa_ieee_mode 1
		.amdhsa_fp16_overflow 0
		.amdhsa_tg_split 0
		.amdhsa_exception_fp_ieee_invalid_op 0
		.amdhsa_exception_fp_denorm_src 0
		.amdhsa_exception_fp_ieee_div_zero 0
		.amdhsa_exception_fp_ieee_overflow 0
		.amdhsa_exception_fp_ieee_underflow 0
		.amdhsa_exception_fp_ieee_inexact 0
		.amdhsa_exception_int_div_zero 0
	.end_amdhsa_kernel
	.section	.text._ZN7rocprim17ROCPRIM_400000_NS6detail17trampoline_kernelINS0_14default_configENS1_38merge_sort_block_merge_config_selectorItNS0_10empty_typeEEEZZNS1_27merge_sort_block_merge_implIS3_N6thrust23THRUST_200600_302600_NS6detail15normal_iteratorINS9_10device_ptrItEEEEPS5_jNS1_19radix_merge_compareILb0ELb1EtNS0_19identity_decomposerEEEEE10hipError_tT0_T1_T2_jT3_P12ihipStream_tbPNSt15iterator_traitsISK_E10value_typeEPNSQ_ISL_E10value_typeEPSM_NS1_7vsmem_tEENKUlT_SK_SL_SM_E_clISE_PtSF_SF_EESJ_SZ_SK_SL_SM_EUlSZ_E0_NS1_11comp_targetILNS1_3genE3ELNS1_11target_archE908ELNS1_3gpuE7ELNS1_3repE0EEENS1_38merge_mergepath_config_static_selectorELNS0_4arch9wavefront6targetE1EEEvSL_,"axG",@progbits,_ZN7rocprim17ROCPRIM_400000_NS6detail17trampoline_kernelINS0_14default_configENS1_38merge_sort_block_merge_config_selectorItNS0_10empty_typeEEEZZNS1_27merge_sort_block_merge_implIS3_N6thrust23THRUST_200600_302600_NS6detail15normal_iteratorINS9_10device_ptrItEEEEPS5_jNS1_19radix_merge_compareILb0ELb1EtNS0_19identity_decomposerEEEEE10hipError_tT0_T1_T2_jT3_P12ihipStream_tbPNSt15iterator_traitsISK_E10value_typeEPNSQ_ISL_E10value_typeEPSM_NS1_7vsmem_tEENKUlT_SK_SL_SM_E_clISE_PtSF_SF_EESJ_SZ_SK_SL_SM_EUlSZ_E0_NS1_11comp_targetILNS1_3genE3ELNS1_11target_archE908ELNS1_3gpuE7ELNS1_3repE0EEENS1_38merge_mergepath_config_static_selectorELNS0_4arch9wavefront6targetE1EEEvSL_,comdat
.Lfunc_end1299:
	.size	_ZN7rocprim17ROCPRIM_400000_NS6detail17trampoline_kernelINS0_14default_configENS1_38merge_sort_block_merge_config_selectorItNS0_10empty_typeEEEZZNS1_27merge_sort_block_merge_implIS3_N6thrust23THRUST_200600_302600_NS6detail15normal_iteratorINS9_10device_ptrItEEEEPS5_jNS1_19radix_merge_compareILb0ELb1EtNS0_19identity_decomposerEEEEE10hipError_tT0_T1_T2_jT3_P12ihipStream_tbPNSt15iterator_traitsISK_E10value_typeEPNSQ_ISL_E10value_typeEPSM_NS1_7vsmem_tEENKUlT_SK_SL_SM_E_clISE_PtSF_SF_EESJ_SZ_SK_SL_SM_EUlSZ_E0_NS1_11comp_targetILNS1_3genE3ELNS1_11target_archE908ELNS1_3gpuE7ELNS1_3repE0EEENS1_38merge_mergepath_config_static_selectorELNS0_4arch9wavefront6targetE1EEEvSL_, .Lfunc_end1299-_ZN7rocprim17ROCPRIM_400000_NS6detail17trampoline_kernelINS0_14default_configENS1_38merge_sort_block_merge_config_selectorItNS0_10empty_typeEEEZZNS1_27merge_sort_block_merge_implIS3_N6thrust23THRUST_200600_302600_NS6detail15normal_iteratorINS9_10device_ptrItEEEEPS5_jNS1_19radix_merge_compareILb0ELb1EtNS0_19identity_decomposerEEEEE10hipError_tT0_T1_T2_jT3_P12ihipStream_tbPNSt15iterator_traitsISK_E10value_typeEPNSQ_ISL_E10value_typeEPSM_NS1_7vsmem_tEENKUlT_SK_SL_SM_E_clISE_PtSF_SF_EESJ_SZ_SK_SL_SM_EUlSZ_E0_NS1_11comp_targetILNS1_3genE3ELNS1_11target_archE908ELNS1_3gpuE7ELNS1_3repE0EEENS1_38merge_mergepath_config_static_selectorELNS0_4arch9wavefront6targetE1EEEvSL_
                                        ; -- End function
	.section	.AMDGPU.csdata,"",@progbits
; Kernel info:
; codeLenInByte = 0
; NumSgprs: 6
; NumVgprs: 0
; NumAgprs: 0
; TotalNumVgprs: 0
; ScratchSize: 0
; MemoryBound: 0
; FloatMode: 240
; IeeeMode: 1
; LDSByteSize: 0 bytes/workgroup (compile time only)
; SGPRBlocks: 0
; VGPRBlocks: 0
; NumSGPRsForWavesPerEU: 6
; NumVGPRsForWavesPerEU: 1
; AccumOffset: 4
; Occupancy: 8
; WaveLimiterHint : 0
; COMPUTE_PGM_RSRC2:SCRATCH_EN: 0
; COMPUTE_PGM_RSRC2:USER_SGPR: 2
; COMPUTE_PGM_RSRC2:TRAP_HANDLER: 0
; COMPUTE_PGM_RSRC2:TGID_X_EN: 1
; COMPUTE_PGM_RSRC2:TGID_Y_EN: 0
; COMPUTE_PGM_RSRC2:TGID_Z_EN: 0
; COMPUTE_PGM_RSRC2:TIDIG_COMP_CNT: 0
; COMPUTE_PGM_RSRC3_GFX90A:ACCUM_OFFSET: 0
; COMPUTE_PGM_RSRC3_GFX90A:TG_SPLIT: 0
	.section	.text._ZN7rocprim17ROCPRIM_400000_NS6detail17trampoline_kernelINS0_14default_configENS1_38merge_sort_block_merge_config_selectorItNS0_10empty_typeEEEZZNS1_27merge_sort_block_merge_implIS3_N6thrust23THRUST_200600_302600_NS6detail15normal_iteratorINS9_10device_ptrItEEEEPS5_jNS1_19radix_merge_compareILb0ELb1EtNS0_19identity_decomposerEEEEE10hipError_tT0_T1_T2_jT3_P12ihipStream_tbPNSt15iterator_traitsISK_E10value_typeEPNSQ_ISL_E10value_typeEPSM_NS1_7vsmem_tEENKUlT_SK_SL_SM_E_clISE_PtSF_SF_EESJ_SZ_SK_SL_SM_EUlSZ_E0_NS1_11comp_targetILNS1_3genE2ELNS1_11target_archE906ELNS1_3gpuE6ELNS1_3repE0EEENS1_38merge_mergepath_config_static_selectorELNS0_4arch9wavefront6targetE1EEEvSL_,"axG",@progbits,_ZN7rocprim17ROCPRIM_400000_NS6detail17trampoline_kernelINS0_14default_configENS1_38merge_sort_block_merge_config_selectorItNS0_10empty_typeEEEZZNS1_27merge_sort_block_merge_implIS3_N6thrust23THRUST_200600_302600_NS6detail15normal_iteratorINS9_10device_ptrItEEEEPS5_jNS1_19radix_merge_compareILb0ELb1EtNS0_19identity_decomposerEEEEE10hipError_tT0_T1_T2_jT3_P12ihipStream_tbPNSt15iterator_traitsISK_E10value_typeEPNSQ_ISL_E10value_typeEPSM_NS1_7vsmem_tEENKUlT_SK_SL_SM_E_clISE_PtSF_SF_EESJ_SZ_SK_SL_SM_EUlSZ_E0_NS1_11comp_targetILNS1_3genE2ELNS1_11target_archE906ELNS1_3gpuE6ELNS1_3repE0EEENS1_38merge_mergepath_config_static_selectorELNS0_4arch9wavefront6targetE1EEEvSL_,comdat
	.protected	_ZN7rocprim17ROCPRIM_400000_NS6detail17trampoline_kernelINS0_14default_configENS1_38merge_sort_block_merge_config_selectorItNS0_10empty_typeEEEZZNS1_27merge_sort_block_merge_implIS3_N6thrust23THRUST_200600_302600_NS6detail15normal_iteratorINS9_10device_ptrItEEEEPS5_jNS1_19radix_merge_compareILb0ELb1EtNS0_19identity_decomposerEEEEE10hipError_tT0_T1_T2_jT3_P12ihipStream_tbPNSt15iterator_traitsISK_E10value_typeEPNSQ_ISL_E10value_typeEPSM_NS1_7vsmem_tEENKUlT_SK_SL_SM_E_clISE_PtSF_SF_EESJ_SZ_SK_SL_SM_EUlSZ_E0_NS1_11comp_targetILNS1_3genE2ELNS1_11target_archE906ELNS1_3gpuE6ELNS1_3repE0EEENS1_38merge_mergepath_config_static_selectorELNS0_4arch9wavefront6targetE1EEEvSL_ ; -- Begin function _ZN7rocprim17ROCPRIM_400000_NS6detail17trampoline_kernelINS0_14default_configENS1_38merge_sort_block_merge_config_selectorItNS0_10empty_typeEEEZZNS1_27merge_sort_block_merge_implIS3_N6thrust23THRUST_200600_302600_NS6detail15normal_iteratorINS9_10device_ptrItEEEEPS5_jNS1_19radix_merge_compareILb0ELb1EtNS0_19identity_decomposerEEEEE10hipError_tT0_T1_T2_jT3_P12ihipStream_tbPNSt15iterator_traitsISK_E10value_typeEPNSQ_ISL_E10value_typeEPSM_NS1_7vsmem_tEENKUlT_SK_SL_SM_E_clISE_PtSF_SF_EESJ_SZ_SK_SL_SM_EUlSZ_E0_NS1_11comp_targetILNS1_3genE2ELNS1_11target_archE906ELNS1_3gpuE6ELNS1_3repE0EEENS1_38merge_mergepath_config_static_selectorELNS0_4arch9wavefront6targetE1EEEvSL_
	.globl	_ZN7rocprim17ROCPRIM_400000_NS6detail17trampoline_kernelINS0_14default_configENS1_38merge_sort_block_merge_config_selectorItNS0_10empty_typeEEEZZNS1_27merge_sort_block_merge_implIS3_N6thrust23THRUST_200600_302600_NS6detail15normal_iteratorINS9_10device_ptrItEEEEPS5_jNS1_19radix_merge_compareILb0ELb1EtNS0_19identity_decomposerEEEEE10hipError_tT0_T1_T2_jT3_P12ihipStream_tbPNSt15iterator_traitsISK_E10value_typeEPNSQ_ISL_E10value_typeEPSM_NS1_7vsmem_tEENKUlT_SK_SL_SM_E_clISE_PtSF_SF_EESJ_SZ_SK_SL_SM_EUlSZ_E0_NS1_11comp_targetILNS1_3genE2ELNS1_11target_archE906ELNS1_3gpuE6ELNS1_3repE0EEENS1_38merge_mergepath_config_static_selectorELNS0_4arch9wavefront6targetE1EEEvSL_
	.p2align	8
	.type	_ZN7rocprim17ROCPRIM_400000_NS6detail17trampoline_kernelINS0_14default_configENS1_38merge_sort_block_merge_config_selectorItNS0_10empty_typeEEEZZNS1_27merge_sort_block_merge_implIS3_N6thrust23THRUST_200600_302600_NS6detail15normal_iteratorINS9_10device_ptrItEEEEPS5_jNS1_19radix_merge_compareILb0ELb1EtNS0_19identity_decomposerEEEEE10hipError_tT0_T1_T2_jT3_P12ihipStream_tbPNSt15iterator_traitsISK_E10value_typeEPNSQ_ISL_E10value_typeEPSM_NS1_7vsmem_tEENKUlT_SK_SL_SM_E_clISE_PtSF_SF_EESJ_SZ_SK_SL_SM_EUlSZ_E0_NS1_11comp_targetILNS1_3genE2ELNS1_11target_archE906ELNS1_3gpuE6ELNS1_3repE0EEENS1_38merge_mergepath_config_static_selectorELNS0_4arch9wavefront6targetE1EEEvSL_,@function
_ZN7rocprim17ROCPRIM_400000_NS6detail17trampoline_kernelINS0_14default_configENS1_38merge_sort_block_merge_config_selectorItNS0_10empty_typeEEEZZNS1_27merge_sort_block_merge_implIS3_N6thrust23THRUST_200600_302600_NS6detail15normal_iteratorINS9_10device_ptrItEEEEPS5_jNS1_19radix_merge_compareILb0ELb1EtNS0_19identity_decomposerEEEEE10hipError_tT0_T1_T2_jT3_P12ihipStream_tbPNSt15iterator_traitsISK_E10value_typeEPNSQ_ISL_E10value_typeEPSM_NS1_7vsmem_tEENKUlT_SK_SL_SM_E_clISE_PtSF_SF_EESJ_SZ_SK_SL_SM_EUlSZ_E0_NS1_11comp_targetILNS1_3genE2ELNS1_11target_archE906ELNS1_3gpuE6ELNS1_3repE0EEENS1_38merge_mergepath_config_static_selectorELNS0_4arch9wavefront6targetE1EEEvSL_: ; @_ZN7rocprim17ROCPRIM_400000_NS6detail17trampoline_kernelINS0_14default_configENS1_38merge_sort_block_merge_config_selectorItNS0_10empty_typeEEEZZNS1_27merge_sort_block_merge_implIS3_N6thrust23THRUST_200600_302600_NS6detail15normal_iteratorINS9_10device_ptrItEEEEPS5_jNS1_19radix_merge_compareILb0ELb1EtNS0_19identity_decomposerEEEEE10hipError_tT0_T1_T2_jT3_P12ihipStream_tbPNSt15iterator_traitsISK_E10value_typeEPNSQ_ISL_E10value_typeEPSM_NS1_7vsmem_tEENKUlT_SK_SL_SM_E_clISE_PtSF_SF_EESJ_SZ_SK_SL_SM_EUlSZ_E0_NS1_11comp_targetILNS1_3genE2ELNS1_11target_archE906ELNS1_3gpuE6ELNS1_3repE0EEENS1_38merge_mergepath_config_static_selectorELNS0_4arch9wavefront6targetE1EEEvSL_
; %bb.0:
	.section	.rodata,"a",@progbits
	.p2align	6, 0x0
	.amdhsa_kernel _ZN7rocprim17ROCPRIM_400000_NS6detail17trampoline_kernelINS0_14default_configENS1_38merge_sort_block_merge_config_selectorItNS0_10empty_typeEEEZZNS1_27merge_sort_block_merge_implIS3_N6thrust23THRUST_200600_302600_NS6detail15normal_iteratorINS9_10device_ptrItEEEEPS5_jNS1_19radix_merge_compareILb0ELb1EtNS0_19identity_decomposerEEEEE10hipError_tT0_T1_T2_jT3_P12ihipStream_tbPNSt15iterator_traitsISK_E10value_typeEPNSQ_ISL_E10value_typeEPSM_NS1_7vsmem_tEENKUlT_SK_SL_SM_E_clISE_PtSF_SF_EESJ_SZ_SK_SL_SM_EUlSZ_E0_NS1_11comp_targetILNS1_3genE2ELNS1_11target_archE906ELNS1_3gpuE6ELNS1_3repE0EEENS1_38merge_mergepath_config_static_selectorELNS0_4arch9wavefront6targetE1EEEvSL_
		.amdhsa_group_segment_fixed_size 0
		.amdhsa_private_segment_fixed_size 0
		.amdhsa_kernarg_size 64
		.amdhsa_user_sgpr_count 2
		.amdhsa_user_sgpr_dispatch_ptr 0
		.amdhsa_user_sgpr_queue_ptr 0
		.amdhsa_user_sgpr_kernarg_segment_ptr 1
		.amdhsa_user_sgpr_dispatch_id 0
		.amdhsa_user_sgpr_kernarg_preload_length 0
		.amdhsa_user_sgpr_kernarg_preload_offset 0
		.amdhsa_user_sgpr_private_segment_size 0
		.amdhsa_uses_dynamic_stack 0
		.amdhsa_enable_private_segment 0
		.amdhsa_system_sgpr_workgroup_id_x 1
		.amdhsa_system_sgpr_workgroup_id_y 0
		.amdhsa_system_sgpr_workgroup_id_z 0
		.amdhsa_system_sgpr_workgroup_info 0
		.amdhsa_system_vgpr_workitem_id 0
		.amdhsa_next_free_vgpr 1
		.amdhsa_next_free_sgpr 0
		.amdhsa_accum_offset 4
		.amdhsa_reserve_vcc 0
		.amdhsa_float_round_mode_32 0
		.amdhsa_float_round_mode_16_64 0
		.amdhsa_float_denorm_mode_32 3
		.amdhsa_float_denorm_mode_16_64 3
		.amdhsa_dx10_clamp 1
		.amdhsa_ieee_mode 1
		.amdhsa_fp16_overflow 0
		.amdhsa_tg_split 0
		.amdhsa_exception_fp_ieee_invalid_op 0
		.amdhsa_exception_fp_denorm_src 0
		.amdhsa_exception_fp_ieee_div_zero 0
		.amdhsa_exception_fp_ieee_overflow 0
		.amdhsa_exception_fp_ieee_underflow 0
		.amdhsa_exception_fp_ieee_inexact 0
		.amdhsa_exception_int_div_zero 0
	.end_amdhsa_kernel
	.section	.text._ZN7rocprim17ROCPRIM_400000_NS6detail17trampoline_kernelINS0_14default_configENS1_38merge_sort_block_merge_config_selectorItNS0_10empty_typeEEEZZNS1_27merge_sort_block_merge_implIS3_N6thrust23THRUST_200600_302600_NS6detail15normal_iteratorINS9_10device_ptrItEEEEPS5_jNS1_19radix_merge_compareILb0ELb1EtNS0_19identity_decomposerEEEEE10hipError_tT0_T1_T2_jT3_P12ihipStream_tbPNSt15iterator_traitsISK_E10value_typeEPNSQ_ISL_E10value_typeEPSM_NS1_7vsmem_tEENKUlT_SK_SL_SM_E_clISE_PtSF_SF_EESJ_SZ_SK_SL_SM_EUlSZ_E0_NS1_11comp_targetILNS1_3genE2ELNS1_11target_archE906ELNS1_3gpuE6ELNS1_3repE0EEENS1_38merge_mergepath_config_static_selectorELNS0_4arch9wavefront6targetE1EEEvSL_,"axG",@progbits,_ZN7rocprim17ROCPRIM_400000_NS6detail17trampoline_kernelINS0_14default_configENS1_38merge_sort_block_merge_config_selectorItNS0_10empty_typeEEEZZNS1_27merge_sort_block_merge_implIS3_N6thrust23THRUST_200600_302600_NS6detail15normal_iteratorINS9_10device_ptrItEEEEPS5_jNS1_19radix_merge_compareILb0ELb1EtNS0_19identity_decomposerEEEEE10hipError_tT0_T1_T2_jT3_P12ihipStream_tbPNSt15iterator_traitsISK_E10value_typeEPNSQ_ISL_E10value_typeEPSM_NS1_7vsmem_tEENKUlT_SK_SL_SM_E_clISE_PtSF_SF_EESJ_SZ_SK_SL_SM_EUlSZ_E0_NS1_11comp_targetILNS1_3genE2ELNS1_11target_archE906ELNS1_3gpuE6ELNS1_3repE0EEENS1_38merge_mergepath_config_static_selectorELNS0_4arch9wavefront6targetE1EEEvSL_,comdat
.Lfunc_end1300:
	.size	_ZN7rocprim17ROCPRIM_400000_NS6detail17trampoline_kernelINS0_14default_configENS1_38merge_sort_block_merge_config_selectorItNS0_10empty_typeEEEZZNS1_27merge_sort_block_merge_implIS3_N6thrust23THRUST_200600_302600_NS6detail15normal_iteratorINS9_10device_ptrItEEEEPS5_jNS1_19radix_merge_compareILb0ELb1EtNS0_19identity_decomposerEEEEE10hipError_tT0_T1_T2_jT3_P12ihipStream_tbPNSt15iterator_traitsISK_E10value_typeEPNSQ_ISL_E10value_typeEPSM_NS1_7vsmem_tEENKUlT_SK_SL_SM_E_clISE_PtSF_SF_EESJ_SZ_SK_SL_SM_EUlSZ_E0_NS1_11comp_targetILNS1_3genE2ELNS1_11target_archE906ELNS1_3gpuE6ELNS1_3repE0EEENS1_38merge_mergepath_config_static_selectorELNS0_4arch9wavefront6targetE1EEEvSL_, .Lfunc_end1300-_ZN7rocprim17ROCPRIM_400000_NS6detail17trampoline_kernelINS0_14default_configENS1_38merge_sort_block_merge_config_selectorItNS0_10empty_typeEEEZZNS1_27merge_sort_block_merge_implIS3_N6thrust23THRUST_200600_302600_NS6detail15normal_iteratorINS9_10device_ptrItEEEEPS5_jNS1_19radix_merge_compareILb0ELb1EtNS0_19identity_decomposerEEEEE10hipError_tT0_T1_T2_jT3_P12ihipStream_tbPNSt15iterator_traitsISK_E10value_typeEPNSQ_ISL_E10value_typeEPSM_NS1_7vsmem_tEENKUlT_SK_SL_SM_E_clISE_PtSF_SF_EESJ_SZ_SK_SL_SM_EUlSZ_E0_NS1_11comp_targetILNS1_3genE2ELNS1_11target_archE906ELNS1_3gpuE6ELNS1_3repE0EEENS1_38merge_mergepath_config_static_selectorELNS0_4arch9wavefront6targetE1EEEvSL_
                                        ; -- End function
	.section	.AMDGPU.csdata,"",@progbits
; Kernel info:
; codeLenInByte = 0
; NumSgprs: 6
; NumVgprs: 0
; NumAgprs: 0
; TotalNumVgprs: 0
; ScratchSize: 0
; MemoryBound: 0
; FloatMode: 240
; IeeeMode: 1
; LDSByteSize: 0 bytes/workgroup (compile time only)
; SGPRBlocks: 0
; VGPRBlocks: 0
; NumSGPRsForWavesPerEU: 6
; NumVGPRsForWavesPerEU: 1
; AccumOffset: 4
; Occupancy: 8
; WaveLimiterHint : 0
; COMPUTE_PGM_RSRC2:SCRATCH_EN: 0
; COMPUTE_PGM_RSRC2:USER_SGPR: 2
; COMPUTE_PGM_RSRC2:TRAP_HANDLER: 0
; COMPUTE_PGM_RSRC2:TGID_X_EN: 1
; COMPUTE_PGM_RSRC2:TGID_Y_EN: 0
; COMPUTE_PGM_RSRC2:TGID_Z_EN: 0
; COMPUTE_PGM_RSRC2:TIDIG_COMP_CNT: 0
; COMPUTE_PGM_RSRC3_GFX90A:ACCUM_OFFSET: 0
; COMPUTE_PGM_RSRC3_GFX90A:TG_SPLIT: 0
	.section	.text._ZN7rocprim17ROCPRIM_400000_NS6detail17trampoline_kernelINS0_14default_configENS1_38merge_sort_block_merge_config_selectorItNS0_10empty_typeEEEZZNS1_27merge_sort_block_merge_implIS3_N6thrust23THRUST_200600_302600_NS6detail15normal_iteratorINS9_10device_ptrItEEEEPS5_jNS1_19radix_merge_compareILb0ELb1EtNS0_19identity_decomposerEEEEE10hipError_tT0_T1_T2_jT3_P12ihipStream_tbPNSt15iterator_traitsISK_E10value_typeEPNSQ_ISL_E10value_typeEPSM_NS1_7vsmem_tEENKUlT_SK_SL_SM_E_clISE_PtSF_SF_EESJ_SZ_SK_SL_SM_EUlSZ_E0_NS1_11comp_targetILNS1_3genE9ELNS1_11target_archE1100ELNS1_3gpuE3ELNS1_3repE0EEENS1_38merge_mergepath_config_static_selectorELNS0_4arch9wavefront6targetE1EEEvSL_,"axG",@progbits,_ZN7rocprim17ROCPRIM_400000_NS6detail17trampoline_kernelINS0_14default_configENS1_38merge_sort_block_merge_config_selectorItNS0_10empty_typeEEEZZNS1_27merge_sort_block_merge_implIS3_N6thrust23THRUST_200600_302600_NS6detail15normal_iteratorINS9_10device_ptrItEEEEPS5_jNS1_19radix_merge_compareILb0ELb1EtNS0_19identity_decomposerEEEEE10hipError_tT0_T1_T2_jT3_P12ihipStream_tbPNSt15iterator_traitsISK_E10value_typeEPNSQ_ISL_E10value_typeEPSM_NS1_7vsmem_tEENKUlT_SK_SL_SM_E_clISE_PtSF_SF_EESJ_SZ_SK_SL_SM_EUlSZ_E0_NS1_11comp_targetILNS1_3genE9ELNS1_11target_archE1100ELNS1_3gpuE3ELNS1_3repE0EEENS1_38merge_mergepath_config_static_selectorELNS0_4arch9wavefront6targetE1EEEvSL_,comdat
	.protected	_ZN7rocprim17ROCPRIM_400000_NS6detail17trampoline_kernelINS0_14default_configENS1_38merge_sort_block_merge_config_selectorItNS0_10empty_typeEEEZZNS1_27merge_sort_block_merge_implIS3_N6thrust23THRUST_200600_302600_NS6detail15normal_iteratorINS9_10device_ptrItEEEEPS5_jNS1_19radix_merge_compareILb0ELb1EtNS0_19identity_decomposerEEEEE10hipError_tT0_T1_T2_jT3_P12ihipStream_tbPNSt15iterator_traitsISK_E10value_typeEPNSQ_ISL_E10value_typeEPSM_NS1_7vsmem_tEENKUlT_SK_SL_SM_E_clISE_PtSF_SF_EESJ_SZ_SK_SL_SM_EUlSZ_E0_NS1_11comp_targetILNS1_3genE9ELNS1_11target_archE1100ELNS1_3gpuE3ELNS1_3repE0EEENS1_38merge_mergepath_config_static_selectorELNS0_4arch9wavefront6targetE1EEEvSL_ ; -- Begin function _ZN7rocprim17ROCPRIM_400000_NS6detail17trampoline_kernelINS0_14default_configENS1_38merge_sort_block_merge_config_selectorItNS0_10empty_typeEEEZZNS1_27merge_sort_block_merge_implIS3_N6thrust23THRUST_200600_302600_NS6detail15normal_iteratorINS9_10device_ptrItEEEEPS5_jNS1_19radix_merge_compareILb0ELb1EtNS0_19identity_decomposerEEEEE10hipError_tT0_T1_T2_jT3_P12ihipStream_tbPNSt15iterator_traitsISK_E10value_typeEPNSQ_ISL_E10value_typeEPSM_NS1_7vsmem_tEENKUlT_SK_SL_SM_E_clISE_PtSF_SF_EESJ_SZ_SK_SL_SM_EUlSZ_E0_NS1_11comp_targetILNS1_3genE9ELNS1_11target_archE1100ELNS1_3gpuE3ELNS1_3repE0EEENS1_38merge_mergepath_config_static_selectorELNS0_4arch9wavefront6targetE1EEEvSL_
	.globl	_ZN7rocprim17ROCPRIM_400000_NS6detail17trampoline_kernelINS0_14default_configENS1_38merge_sort_block_merge_config_selectorItNS0_10empty_typeEEEZZNS1_27merge_sort_block_merge_implIS3_N6thrust23THRUST_200600_302600_NS6detail15normal_iteratorINS9_10device_ptrItEEEEPS5_jNS1_19radix_merge_compareILb0ELb1EtNS0_19identity_decomposerEEEEE10hipError_tT0_T1_T2_jT3_P12ihipStream_tbPNSt15iterator_traitsISK_E10value_typeEPNSQ_ISL_E10value_typeEPSM_NS1_7vsmem_tEENKUlT_SK_SL_SM_E_clISE_PtSF_SF_EESJ_SZ_SK_SL_SM_EUlSZ_E0_NS1_11comp_targetILNS1_3genE9ELNS1_11target_archE1100ELNS1_3gpuE3ELNS1_3repE0EEENS1_38merge_mergepath_config_static_selectorELNS0_4arch9wavefront6targetE1EEEvSL_
	.p2align	8
	.type	_ZN7rocprim17ROCPRIM_400000_NS6detail17trampoline_kernelINS0_14default_configENS1_38merge_sort_block_merge_config_selectorItNS0_10empty_typeEEEZZNS1_27merge_sort_block_merge_implIS3_N6thrust23THRUST_200600_302600_NS6detail15normal_iteratorINS9_10device_ptrItEEEEPS5_jNS1_19radix_merge_compareILb0ELb1EtNS0_19identity_decomposerEEEEE10hipError_tT0_T1_T2_jT3_P12ihipStream_tbPNSt15iterator_traitsISK_E10value_typeEPNSQ_ISL_E10value_typeEPSM_NS1_7vsmem_tEENKUlT_SK_SL_SM_E_clISE_PtSF_SF_EESJ_SZ_SK_SL_SM_EUlSZ_E0_NS1_11comp_targetILNS1_3genE9ELNS1_11target_archE1100ELNS1_3gpuE3ELNS1_3repE0EEENS1_38merge_mergepath_config_static_selectorELNS0_4arch9wavefront6targetE1EEEvSL_,@function
_ZN7rocprim17ROCPRIM_400000_NS6detail17trampoline_kernelINS0_14default_configENS1_38merge_sort_block_merge_config_selectorItNS0_10empty_typeEEEZZNS1_27merge_sort_block_merge_implIS3_N6thrust23THRUST_200600_302600_NS6detail15normal_iteratorINS9_10device_ptrItEEEEPS5_jNS1_19radix_merge_compareILb0ELb1EtNS0_19identity_decomposerEEEEE10hipError_tT0_T1_T2_jT3_P12ihipStream_tbPNSt15iterator_traitsISK_E10value_typeEPNSQ_ISL_E10value_typeEPSM_NS1_7vsmem_tEENKUlT_SK_SL_SM_E_clISE_PtSF_SF_EESJ_SZ_SK_SL_SM_EUlSZ_E0_NS1_11comp_targetILNS1_3genE9ELNS1_11target_archE1100ELNS1_3gpuE3ELNS1_3repE0EEENS1_38merge_mergepath_config_static_selectorELNS0_4arch9wavefront6targetE1EEEvSL_: ; @_ZN7rocprim17ROCPRIM_400000_NS6detail17trampoline_kernelINS0_14default_configENS1_38merge_sort_block_merge_config_selectorItNS0_10empty_typeEEEZZNS1_27merge_sort_block_merge_implIS3_N6thrust23THRUST_200600_302600_NS6detail15normal_iteratorINS9_10device_ptrItEEEEPS5_jNS1_19radix_merge_compareILb0ELb1EtNS0_19identity_decomposerEEEEE10hipError_tT0_T1_T2_jT3_P12ihipStream_tbPNSt15iterator_traitsISK_E10value_typeEPNSQ_ISL_E10value_typeEPSM_NS1_7vsmem_tEENKUlT_SK_SL_SM_E_clISE_PtSF_SF_EESJ_SZ_SK_SL_SM_EUlSZ_E0_NS1_11comp_targetILNS1_3genE9ELNS1_11target_archE1100ELNS1_3gpuE3ELNS1_3repE0EEENS1_38merge_mergepath_config_static_selectorELNS0_4arch9wavefront6targetE1EEEvSL_
; %bb.0:
	.section	.rodata,"a",@progbits
	.p2align	6, 0x0
	.amdhsa_kernel _ZN7rocprim17ROCPRIM_400000_NS6detail17trampoline_kernelINS0_14default_configENS1_38merge_sort_block_merge_config_selectorItNS0_10empty_typeEEEZZNS1_27merge_sort_block_merge_implIS3_N6thrust23THRUST_200600_302600_NS6detail15normal_iteratorINS9_10device_ptrItEEEEPS5_jNS1_19radix_merge_compareILb0ELb1EtNS0_19identity_decomposerEEEEE10hipError_tT0_T1_T2_jT3_P12ihipStream_tbPNSt15iterator_traitsISK_E10value_typeEPNSQ_ISL_E10value_typeEPSM_NS1_7vsmem_tEENKUlT_SK_SL_SM_E_clISE_PtSF_SF_EESJ_SZ_SK_SL_SM_EUlSZ_E0_NS1_11comp_targetILNS1_3genE9ELNS1_11target_archE1100ELNS1_3gpuE3ELNS1_3repE0EEENS1_38merge_mergepath_config_static_selectorELNS0_4arch9wavefront6targetE1EEEvSL_
		.amdhsa_group_segment_fixed_size 0
		.amdhsa_private_segment_fixed_size 0
		.amdhsa_kernarg_size 64
		.amdhsa_user_sgpr_count 2
		.amdhsa_user_sgpr_dispatch_ptr 0
		.amdhsa_user_sgpr_queue_ptr 0
		.amdhsa_user_sgpr_kernarg_segment_ptr 1
		.amdhsa_user_sgpr_dispatch_id 0
		.amdhsa_user_sgpr_kernarg_preload_length 0
		.amdhsa_user_sgpr_kernarg_preload_offset 0
		.amdhsa_user_sgpr_private_segment_size 0
		.amdhsa_uses_dynamic_stack 0
		.amdhsa_enable_private_segment 0
		.amdhsa_system_sgpr_workgroup_id_x 1
		.amdhsa_system_sgpr_workgroup_id_y 0
		.amdhsa_system_sgpr_workgroup_id_z 0
		.amdhsa_system_sgpr_workgroup_info 0
		.amdhsa_system_vgpr_workitem_id 0
		.amdhsa_next_free_vgpr 1
		.amdhsa_next_free_sgpr 0
		.amdhsa_accum_offset 4
		.amdhsa_reserve_vcc 0
		.amdhsa_float_round_mode_32 0
		.amdhsa_float_round_mode_16_64 0
		.amdhsa_float_denorm_mode_32 3
		.amdhsa_float_denorm_mode_16_64 3
		.amdhsa_dx10_clamp 1
		.amdhsa_ieee_mode 1
		.amdhsa_fp16_overflow 0
		.amdhsa_tg_split 0
		.amdhsa_exception_fp_ieee_invalid_op 0
		.amdhsa_exception_fp_denorm_src 0
		.amdhsa_exception_fp_ieee_div_zero 0
		.amdhsa_exception_fp_ieee_overflow 0
		.amdhsa_exception_fp_ieee_underflow 0
		.amdhsa_exception_fp_ieee_inexact 0
		.amdhsa_exception_int_div_zero 0
	.end_amdhsa_kernel
	.section	.text._ZN7rocprim17ROCPRIM_400000_NS6detail17trampoline_kernelINS0_14default_configENS1_38merge_sort_block_merge_config_selectorItNS0_10empty_typeEEEZZNS1_27merge_sort_block_merge_implIS3_N6thrust23THRUST_200600_302600_NS6detail15normal_iteratorINS9_10device_ptrItEEEEPS5_jNS1_19radix_merge_compareILb0ELb1EtNS0_19identity_decomposerEEEEE10hipError_tT0_T1_T2_jT3_P12ihipStream_tbPNSt15iterator_traitsISK_E10value_typeEPNSQ_ISL_E10value_typeEPSM_NS1_7vsmem_tEENKUlT_SK_SL_SM_E_clISE_PtSF_SF_EESJ_SZ_SK_SL_SM_EUlSZ_E0_NS1_11comp_targetILNS1_3genE9ELNS1_11target_archE1100ELNS1_3gpuE3ELNS1_3repE0EEENS1_38merge_mergepath_config_static_selectorELNS0_4arch9wavefront6targetE1EEEvSL_,"axG",@progbits,_ZN7rocprim17ROCPRIM_400000_NS6detail17trampoline_kernelINS0_14default_configENS1_38merge_sort_block_merge_config_selectorItNS0_10empty_typeEEEZZNS1_27merge_sort_block_merge_implIS3_N6thrust23THRUST_200600_302600_NS6detail15normal_iteratorINS9_10device_ptrItEEEEPS5_jNS1_19radix_merge_compareILb0ELb1EtNS0_19identity_decomposerEEEEE10hipError_tT0_T1_T2_jT3_P12ihipStream_tbPNSt15iterator_traitsISK_E10value_typeEPNSQ_ISL_E10value_typeEPSM_NS1_7vsmem_tEENKUlT_SK_SL_SM_E_clISE_PtSF_SF_EESJ_SZ_SK_SL_SM_EUlSZ_E0_NS1_11comp_targetILNS1_3genE9ELNS1_11target_archE1100ELNS1_3gpuE3ELNS1_3repE0EEENS1_38merge_mergepath_config_static_selectorELNS0_4arch9wavefront6targetE1EEEvSL_,comdat
.Lfunc_end1301:
	.size	_ZN7rocprim17ROCPRIM_400000_NS6detail17trampoline_kernelINS0_14default_configENS1_38merge_sort_block_merge_config_selectorItNS0_10empty_typeEEEZZNS1_27merge_sort_block_merge_implIS3_N6thrust23THRUST_200600_302600_NS6detail15normal_iteratorINS9_10device_ptrItEEEEPS5_jNS1_19radix_merge_compareILb0ELb1EtNS0_19identity_decomposerEEEEE10hipError_tT0_T1_T2_jT3_P12ihipStream_tbPNSt15iterator_traitsISK_E10value_typeEPNSQ_ISL_E10value_typeEPSM_NS1_7vsmem_tEENKUlT_SK_SL_SM_E_clISE_PtSF_SF_EESJ_SZ_SK_SL_SM_EUlSZ_E0_NS1_11comp_targetILNS1_3genE9ELNS1_11target_archE1100ELNS1_3gpuE3ELNS1_3repE0EEENS1_38merge_mergepath_config_static_selectorELNS0_4arch9wavefront6targetE1EEEvSL_, .Lfunc_end1301-_ZN7rocprim17ROCPRIM_400000_NS6detail17trampoline_kernelINS0_14default_configENS1_38merge_sort_block_merge_config_selectorItNS0_10empty_typeEEEZZNS1_27merge_sort_block_merge_implIS3_N6thrust23THRUST_200600_302600_NS6detail15normal_iteratorINS9_10device_ptrItEEEEPS5_jNS1_19radix_merge_compareILb0ELb1EtNS0_19identity_decomposerEEEEE10hipError_tT0_T1_T2_jT3_P12ihipStream_tbPNSt15iterator_traitsISK_E10value_typeEPNSQ_ISL_E10value_typeEPSM_NS1_7vsmem_tEENKUlT_SK_SL_SM_E_clISE_PtSF_SF_EESJ_SZ_SK_SL_SM_EUlSZ_E0_NS1_11comp_targetILNS1_3genE9ELNS1_11target_archE1100ELNS1_3gpuE3ELNS1_3repE0EEENS1_38merge_mergepath_config_static_selectorELNS0_4arch9wavefront6targetE1EEEvSL_
                                        ; -- End function
	.section	.AMDGPU.csdata,"",@progbits
; Kernel info:
; codeLenInByte = 0
; NumSgprs: 6
; NumVgprs: 0
; NumAgprs: 0
; TotalNumVgprs: 0
; ScratchSize: 0
; MemoryBound: 0
; FloatMode: 240
; IeeeMode: 1
; LDSByteSize: 0 bytes/workgroup (compile time only)
; SGPRBlocks: 0
; VGPRBlocks: 0
; NumSGPRsForWavesPerEU: 6
; NumVGPRsForWavesPerEU: 1
; AccumOffset: 4
; Occupancy: 8
; WaveLimiterHint : 0
; COMPUTE_PGM_RSRC2:SCRATCH_EN: 0
; COMPUTE_PGM_RSRC2:USER_SGPR: 2
; COMPUTE_PGM_RSRC2:TRAP_HANDLER: 0
; COMPUTE_PGM_RSRC2:TGID_X_EN: 1
; COMPUTE_PGM_RSRC2:TGID_Y_EN: 0
; COMPUTE_PGM_RSRC2:TGID_Z_EN: 0
; COMPUTE_PGM_RSRC2:TIDIG_COMP_CNT: 0
; COMPUTE_PGM_RSRC3_GFX90A:ACCUM_OFFSET: 0
; COMPUTE_PGM_RSRC3_GFX90A:TG_SPLIT: 0
	.section	.text._ZN7rocprim17ROCPRIM_400000_NS6detail17trampoline_kernelINS0_14default_configENS1_38merge_sort_block_merge_config_selectorItNS0_10empty_typeEEEZZNS1_27merge_sort_block_merge_implIS3_N6thrust23THRUST_200600_302600_NS6detail15normal_iteratorINS9_10device_ptrItEEEEPS5_jNS1_19radix_merge_compareILb0ELb1EtNS0_19identity_decomposerEEEEE10hipError_tT0_T1_T2_jT3_P12ihipStream_tbPNSt15iterator_traitsISK_E10value_typeEPNSQ_ISL_E10value_typeEPSM_NS1_7vsmem_tEENKUlT_SK_SL_SM_E_clISE_PtSF_SF_EESJ_SZ_SK_SL_SM_EUlSZ_E0_NS1_11comp_targetILNS1_3genE8ELNS1_11target_archE1030ELNS1_3gpuE2ELNS1_3repE0EEENS1_38merge_mergepath_config_static_selectorELNS0_4arch9wavefront6targetE1EEEvSL_,"axG",@progbits,_ZN7rocprim17ROCPRIM_400000_NS6detail17trampoline_kernelINS0_14default_configENS1_38merge_sort_block_merge_config_selectorItNS0_10empty_typeEEEZZNS1_27merge_sort_block_merge_implIS3_N6thrust23THRUST_200600_302600_NS6detail15normal_iteratorINS9_10device_ptrItEEEEPS5_jNS1_19radix_merge_compareILb0ELb1EtNS0_19identity_decomposerEEEEE10hipError_tT0_T1_T2_jT3_P12ihipStream_tbPNSt15iterator_traitsISK_E10value_typeEPNSQ_ISL_E10value_typeEPSM_NS1_7vsmem_tEENKUlT_SK_SL_SM_E_clISE_PtSF_SF_EESJ_SZ_SK_SL_SM_EUlSZ_E0_NS1_11comp_targetILNS1_3genE8ELNS1_11target_archE1030ELNS1_3gpuE2ELNS1_3repE0EEENS1_38merge_mergepath_config_static_selectorELNS0_4arch9wavefront6targetE1EEEvSL_,comdat
	.protected	_ZN7rocprim17ROCPRIM_400000_NS6detail17trampoline_kernelINS0_14default_configENS1_38merge_sort_block_merge_config_selectorItNS0_10empty_typeEEEZZNS1_27merge_sort_block_merge_implIS3_N6thrust23THRUST_200600_302600_NS6detail15normal_iteratorINS9_10device_ptrItEEEEPS5_jNS1_19radix_merge_compareILb0ELb1EtNS0_19identity_decomposerEEEEE10hipError_tT0_T1_T2_jT3_P12ihipStream_tbPNSt15iterator_traitsISK_E10value_typeEPNSQ_ISL_E10value_typeEPSM_NS1_7vsmem_tEENKUlT_SK_SL_SM_E_clISE_PtSF_SF_EESJ_SZ_SK_SL_SM_EUlSZ_E0_NS1_11comp_targetILNS1_3genE8ELNS1_11target_archE1030ELNS1_3gpuE2ELNS1_3repE0EEENS1_38merge_mergepath_config_static_selectorELNS0_4arch9wavefront6targetE1EEEvSL_ ; -- Begin function _ZN7rocprim17ROCPRIM_400000_NS6detail17trampoline_kernelINS0_14default_configENS1_38merge_sort_block_merge_config_selectorItNS0_10empty_typeEEEZZNS1_27merge_sort_block_merge_implIS3_N6thrust23THRUST_200600_302600_NS6detail15normal_iteratorINS9_10device_ptrItEEEEPS5_jNS1_19radix_merge_compareILb0ELb1EtNS0_19identity_decomposerEEEEE10hipError_tT0_T1_T2_jT3_P12ihipStream_tbPNSt15iterator_traitsISK_E10value_typeEPNSQ_ISL_E10value_typeEPSM_NS1_7vsmem_tEENKUlT_SK_SL_SM_E_clISE_PtSF_SF_EESJ_SZ_SK_SL_SM_EUlSZ_E0_NS1_11comp_targetILNS1_3genE8ELNS1_11target_archE1030ELNS1_3gpuE2ELNS1_3repE0EEENS1_38merge_mergepath_config_static_selectorELNS0_4arch9wavefront6targetE1EEEvSL_
	.globl	_ZN7rocprim17ROCPRIM_400000_NS6detail17trampoline_kernelINS0_14default_configENS1_38merge_sort_block_merge_config_selectorItNS0_10empty_typeEEEZZNS1_27merge_sort_block_merge_implIS3_N6thrust23THRUST_200600_302600_NS6detail15normal_iteratorINS9_10device_ptrItEEEEPS5_jNS1_19radix_merge_compareILb0ELb1EtNS0_19identity_decomposerEEEEE10hipError_tT0_T1_T2_jT3_P12ihipStream_tbPNSt15iterator_traitsISK_E10value_typeEPNSQ_ISL_E10value_typeEPSM_NS1_7vsmem_tEENKUlT_SK_SL_SM_E_clISE_PtSF_SF_EESJ_SZ_SK_SL_SM_EUlSZ_E0_NS1_11comp_targetILNS1_3genE8ELNS1_11target_archE1030ELNS1_3gpuE2ELNS1_3repE0EEENS1_38merge_mergepath_config_static_selectorELNS0_4arch9wavefront6targetE1EEEvSL_
	.p2align	8
	.type	_ZN7rocprim17ROCPRIM_400000_NS6detail17trampoline_kernelINS0_14default_configENS1_38merge_sort_block_merge_config_selectorItNS0_10empty_typeEEEZZNS1_27merge_sort_block_merge_implIS3_N6thrust23THRUST_200600_302600_NS6detail15normal_iteratorINS9_10device_ptrItEEEEPS5_jNS1_19radix_merge_compareILb0ELb1EtNS0_19identity_decomposerEEEEE10hipError_tT0_T1_T2_jT3_P12ihipStream_tbPNSt15iterator_traitsISK_E10value_typeEPNSQ_ISL_E10value_typeEPSM_NS1_7vsmem_tEENKUlT_SK_SL_SM_E_clISE_PtSF_SF_EESJ_SZ_SK_SL_SM_EUlSZ_E0_NS1_11comp_targetILNS1_3genE8ELNS1_11target_archE1030ELNS1_3gpuE2ELNS1_3repE0EEENS1_38merge_mergepath_config_static_selectorELNS0_4arch9wavefront6targetE1EEEvSL_,@function
_ZN7rocprim17ROCPRIM_400000_NS6detail17trampoline_kernelINS0_14default_configENS1_38merge_sort_block_merge_config_selectorItNS0_10empty_typeEEEZZNS1_27merge_sort_block_merge_implIS3_N6thrust23THRUST_200600_302600_NS6detail15normal_iteratorINS9_10device_ptrItEEEEPS5_jNS1_19radix_merge_compareILb0ELb1EtNS0_19identity_decomposerEEEEE10hipError_tT0_T1_T2_jT3_P12ihipStream_tbPNSt15iterator_traitsISK_E10value_typeEPNSQ_ISL_E10value_typeEPSM_NS1_7vsmem_tEENKUlT_SK_SL_SM_E_clISE_PtSF_SF_EESJ_SZ_SK_SL_SM_EUlSZ_E0_NS1_11comp_targetILNS1_3genE8ELNS1_11target_archE1030ELNS1_3gpuE2ELNS1_3repE0EEENS1_38merge_mergepath_config_static_selectorELNS0_4arch9wavefront6targetE1EEEvSL_: ; @_ZN7rocprim17ROCPRIM_400000_NS6detail17trampoline_kernelINS0_14default_configENS1_38merge_sort_block_merge_config_selectorItNS0_10empty_typeEEEZZNS1_27merge_sort_block_merge_implIS3_N6thrust23THRUST_200600_302600_NS6detail15normal_iteratorINS9_10device_ptrItEEEEPS5_jNS1_19radix_merge_compareILb0ELb1EtNS0_19identity_decomposerEEEEE10hipError_tT0_T1_T2_jT3_P12ihipStream_tbPNSt15iterator_traitsISK_E10value_typeEPNSQ_ISL_E10value_typeEPSM_NS1_7vsmem_tEENKUlT_SK_SL_SM_E_clISE_PtSF_SF_EESJ_SZ_SK_SL_SM_EUlSZ_E0_NS1_11comp_targetILNS1_3genE8ELNS1_11target_archE1030ELNS1_3gpuE2ELNS1_3repE0EEENS1_38merge_mergepath_config_static_selectorELNS0_4arch9wavefront6targetE1EEEvSL_
; %bb.0:
	.section	.rodata,"a",@progbits
	.p2align	6, 0x0
	.amdhsa_kernel _ZN7rocprim17ROCPRIM_400000_NS6detail17trampoline_kernelINS0_14default_configENS1_38merge_sort_block_merge_config_selectorItNS0_10empty_typeEEEZZNS1_27merge_sort_block_merge_implIS3_N6thrust23THRUST_200600_302600_NS6detail15normal_iteratorINS9_10device_ptrItEEEEPS5_jNS1_19radix_merge_compareILb0ELb1EtNS0_19identity_decomposerEEEEE10hipError_tT0_T1_T2_jT3_P12ihipStream_tbPNSt15iterator_traitsISK_E10value_typeEPNSQ_ISL_E10value_typeEPSM_NS1_7vsmem_tEENKUlT_SK_SL_SM_E_clISE_PtSF_SF_EESJ_SZ_SK_SL_SM_EUlSZ_E0_NS1_11comp_targetILNS1_3genE8ELNS1_11target_archE1030ELNS1_3gpuE2ELNS1_3repE0EEENS1_38merge_mergepath_config_static_selectorELNS0_4arch9wavefront6targetE1EEEvSL_
		.amdhsa_group_segment_fixed_size 0
		.amdhsa_private_segment_fixed_size 0
		.amdhsa_kernarg_size 64
		.amdhsa_user_sgpr_count 2
		.amdhsa_user_sgpr_dispatch_ptr 0
		.amdhsa_user_sgpr_queue_ptr 0
		.amdhsa_user_sgpr_kernarg_segment_ptr 1
		.amdhsa_user_sgpr_dispatch_id 0
		.amdhsa_user_sgpr_kernarg_preload_length 0
		.amdhsa_user_sgpr_kernarg_preload_offset 0
		.amdhsa_user_sgpr_private_segment_size 0
		.amdhsa_uses_dynamic_stack 0
		.amdhsa_enable_private_segment 0
		.amdhsa_system_sgpr_workgroup_id_x 1
		.amdhsa_system_sgpr_workgroup_id_y 0
		.amdhsa_system_sgpr_workgroup_id_z 0
		.amdhsa_system_sgpr_workgroup_info 0
		.amdhsa_system_vgpr_workitem_id 0
		.amdhsa_next_free_vgpr 1
		.amdhsa_next_free_sgpr 0
		.amdhsa_accum_offset 4
		.amdhsa_reserve_vcc 0
		.amdhsa_float_round_mode_32 0
		.amdhsa_float_round_mode_16_64 0
		.amdhsa_float_denorm_mode_32 3
		.amdhsa_float_denorm_mode_16_64 3
		.amdhsa_dx10_clamp 1
		.amdhsa_ieee_mode 1
		.amdhsa_fp16_overflow 0
		.amdhsa_tg_split 0
		.amdhsa_exception_fp_ieee_invalid_op 0
		.amdhsa_exception_fp_denorm_src 0
		.amdhsa_exception_fp_ieee_div_zero 0
		.amdhsa_exception_fp_ieee_overflow 0
		.amdhsa_exception_fp_ieee_underflow 0
		.amdhsa_exception_fp_ieee_inexact 0
		.amdhsa_exception_int_div_zero 0
	.end_amdhsa_kernel
	.section	.text._ZN7rocprim17ROCPRIM_400000_NS6detail17trampoline_kernelINS0_14default_configENS1_38merge_sort_block_merge_config_selectorItNS0_10empty_typeEEEZZNS1_27merge_sort_block_merge_implIS3_N6thrust23THRUST_200600_302600_NS6detail15normal_iteratorINS9_10device_ptrItEEEEPS5_jNS1_19radix_merge_compareILb0ELb1EtNS0_19identity_decomposerEEEEE10hipError_tT0_T1_T2_jT3_P12ihipStream_tbPNSt15iterator_traitsISK_E10value_typeEPNSQ_ISL_E10value_typeEPSM_NS1_7vsmem_tEENKUlT_SK_SL_SM_E_clISE_PtSF_SF_EESJ_SZ_SK_SL_SM_EUlSZ_E0_NS1_11comp_targetILNS1_3genE8ELNS1_11target_archE1030ELNS1_3gpuE2ELNS1_3repE0EEENS1_38merge_mergepath_config_static_selectorELNS0_4arch9wavefront6targetE1EEEvSL_,"axG",@progbits,_ZN7rocprim17ROCPRIM_400000_NS6detail17trampoline_kernelINS0_14default_configENS1_38merge_sort_block_merge_config_selectorItNS0_10empty_typeEEEZZNS1_27merge_sort_block_merge_implIS3_N6thrust23THRUST_200600_302600_NS6detail15normal_iteratorINS9_10device_ptrItEEEEPS5_jNS1_19radix_merge_compareILb0ELb1EtNS0_19identity_decomposerEEEEE10hipError_tT0_T1_T2_jT3_P12ihipStream_tbPNSt15iterator_traitsISK_E10value_typeEPNSQ_ISL_E10value_typeEPSM_NS1_7vsmem_tEENKUlT_SK_SL_SM_E_clISE_PtSF_SF_EESJ_SZ_SK_SL_SM_EUlSZ_E0_NS1_11comp_targetILNS1_3genE8ELNS1_11target_archE1030ELNS1_3gpuE2ELNS1_3repE0EEENS1_38merge_mergepath_config_static_selectorELNS0_4arch9wavefront6targetE1EEEvSL_,comdat
.Lfunc_end1302:
	.size	_ZN7rocprim17ROCPRIM_400000_NS6detail17trampoline_kernelINS0_14default_configENS1_38merge_sort_block_merge_config_selectorItNS0_10empty_typeEEEZZNS1_27merge_sort_block_merge_implIS3_N6thrust23THRUST_200600_302600_NS6detail15normal_iteratorINS9_10device_ptrItEEEEPS5_jNS1_19radix_merge_compareILb0ELb1EtNS0_19identity_decomposerEEEEE10hipError_tT0_T1_T2_jT3_P12ihipStream_tbPNSt15iterator_traitsISK_E10value_typeEPNSQ_ISL_E10value_typeEPSM_NS1_7vsmem_tEENKUlT_SK_SL_SM_E_clISE_PtSF_SF_EESJ_SZ_SK_SL_SM_EUlSZ_E0_NS1_11comp_targetILNS1_3genE8ELNS1_11target_archE1030ELNS1_3gpuE2ELNS1_3repE0EEENS1_38merge_mergepath_config_static_selectorELNS0_4arch9wavefront6targetE1EEEvSL_, .Lfunc_end1302-_ZN7rocprim17ROCPRIM_400000_NS6detail17trampoline_kernelINS0_14default_configENS1_38merge_sort_block_merge_config_selectorItNS0_10empty_typeEEEZZNS1_27merge_sort_block_merge_implIS3_N6thrust23THRUST_200600_302600_NS6detail15normal_iteratorINS9_10device_ptrItEEEEPS5_jNS1_19radix_merge_compareILb0ELb1EtNS0_19identity_decomposerEEEEE10hipError_tT0_T1_T2_jT3_P12ihipStream_tbPNSt15iterator_traitsISK_E10value_typeEPNSQ_ISL_E10value_typeEPSM_NS1_7vsmem_tEENKUlT_SK_SL_SM_E_clISE_PtSF_SF_EESJ_SZ_SK_SL_SM_EUlSZ_E0_NS1_11comp_targetILNS1_3genE8ELNS1_11target_archE1030ELNS1_3gpuE2ELNS1_3repE0EEENS1_38merge_mergepath_config_static_selectorELNS0_4arch9wavefront6targetE1EEEvSL_
                                        ; -- End function
	.section	.AMDGPU.csdata,"",@progbits
; Kernel info:
; codeLenInByte = 0
; NumSgprs: 6
; NumVgprs: 0
; NumAgprs: 0
; TotalNumVgprs: 0
; ScratchSize: 0
; MemoryBound: 0
; FloatMode: 240
; IeeeMode: 1
; LDSByteSize: 0 bytes/workgroup (compile time only)
; SGPRBlocks: 0
; VGPRBlocks: 0
; NumSGPRsForWavesPerEU: 6
; NumVGPRsForWavesPerEU: 1
; AccumOffset: 4
; Occupancy: 8
; WaveLimiterHint : 0
; COMPUTE_PGM_RSRC2:SCRATCH_EN: 0
; COMPUTE_PGM_RSRC2:USER_SGPR: 2
; COMPUTE_PGM_RSRC2:TRAP_HANDLER: 0
; COMPUTE_PGM_RSRC2:TGID_X_EN: 1
; COMPUTE_PGM_RSRC2:TGID_Y_EN: 0
; COMPUTE_PGM_RSRC2:TGID_Z_EN: 0
; COMPUTE_PGM_RSRC2:TIDIG_COMP_CNT: 0
; COMPUTE_PGM_RSRC3_GFX90A:ACCUM_OFFSET: 0
; COMPUTE_PGM_RSRC3_GFX90A:TG_SPLIT: 0
	.section	.text._ZN7rocprim17ROCPRIM_400000_NS6detail17trampoline_kernelINS0_14default_configENS1_38merge_sort_block_merge_config_selectorItNS0_10empty_typeEEEZZNS1_27merge_sort_block_merge_implIS3_N6thrust23THRUST_200600_302600_NS6detail15normal_iteratorINS9_10device_ptrItEEEEPS5_jNS1_19radix_merge_compareILb0ELb1EtNS0_19identity_decomposerEEEEE10hipError_tT0_T1_T2_jT3_P12ihipStream_tbPNSt15iterator_traitsISK_E10value_typeEPNSQ_ISL_E10value_typeEPSM_NS1_7vsmem_tEENKUlT_SK_SL_SM_E_clISE_PtSF_SF_EESJ_SZ_SK_SL_SM_EUlSZ_E1_NS1_11comp_targetILNS1_3genE0ELNS1_11target_archE4294967295ELNS1_3gpuE0ELNS1_3repE0EEENS1_36merge_oddeven_config_static_selectorELNS0_4arch9wavefront6targetE1EEEvSL_,"axG",@progbits,_ZN7rocprim17ROCPRIM_400000_NS6detail17trampoline_kernelINS0_14default_configENS1_38merge_sort_block_merge_config_selectorItNS0_10empty_typeEEEZZNS1_27merge_sort_block_merge_implIS3_N6thrust23THRUST_200600_302600_NS6detail15normal_iteratorINS9_10device_ptrItEEEEPS5_jNS1_19radix_merge_compareILb0ELb1EtNS0_19identity_decomposerEEEEE10hipError_tT0_T1_T2_jT3_P12ihipStream_tbPNSt15iterator_traitsISK_E10value_typeEPNSQ_ISL_E10value_typeEPSM_NS1_7vsmem_tEENKUlT_SK_SL_SM_E_clISE_PtSF_SF_EESJ_SZ_SK_SL_SM_EUlSZ_E1_NS1_11comp_targetILNS1_3genE0ELNS1_11target_archE4294967295ELNS1_3gpuE0ELNS1_3repE0EEENS1_36merge_oddeven_config_static_selectorELNS0_4arch9wavefront6targetE1EEEvSL_,comdat
	.protected	_ZN7rocprim17ROCPRIM_400000_NS6detail17trampoline_kernelINS0_14default_configENS1_38merge_sort_block_merge_config_selectorItNS0_10empty_typeEEEZZNS1_27merge_sort_block_merge_implIS3_N6thrust23THRUST_200600_302600_NS6detail15normal_iteratorINS9_10device_ptrItEEEEPS5_jNS1_19radix_merge_compareILb0ELb1EtNS0_19identity_decomposerEEEEE10hipError_tT0_T1_T2_jT3_P12ihipStream_tbPNSt15iterator_traitsISK_E10value_typeEPNSQ_ISL_E10value_typeEPSM_NS1_7vsmem_tEENKUlT_SK_SL_SM_E_clISE_PtSF_SF_EESJ_SZ_SK_SL_SM_EUlSZ_E1_NS1_11comp_targetILNS1_3genE0ELNS1_11target_archE4294967295ELNS1_3gpuE0ELNS1_3repE0EEENS1_36merge_oddeven_config_static_selectorELNS0_4arch9wavefront6targetE1EEEvSL_ ; -- Begin function _ZN7rocprim17ROCPRIM_400000_NS6detail17trampoline_kernelINS0_14default_configENS1_38merge_sort_block_merge_config_selectorItNS0_10empty_typeEEEZZNS1_27merge_sort_block_merge_implIS3_N6thrust23THRUST_200600_302600_NS6detail15normal_iteratorINS9_10device_ptrItEEEEPS5_jNS1_19radix_merge_compareILb0ELb1EtNS0_19identity_decomposerEEEEE10hipError_tT0_T1_T2_jT3_P12ihipStream_tbPNSt15iterator_traitsISK_E10value_typeEPNSQ_ISL_E10value_typeEPSM_NS1_7vsmem_tEENKUlT_SK_SL_SM_E_clISE_PtSF_SF_EESJ_SZ_SK_SL_SM_EUlSZ_E1_NS1_11comp_targetILNS1_3genE0ELNS1_11target_archE4294967295ELNS1_3gpuE0ELNS1_3repE0EEENS1_36merge_oddeven_config_static_selectorELNS0_4arch9wavefront6targetE1EEEvSL_
	.globl	_ZN7rocprim17ROCPRIM_400000_NS6detail17trampoline_kernelINS0_14default_configENS1_38merge_sort_block_merge_config_selectorItNS0_10empty_typeEEEZZNS1_27merge_sort_block_merge_implIS3_N6thrust23THRUST_200600_302600_NS6detail15normal_iteratorINS9_10device_ptrItEEEEPS5_jNS1_19radix_merge_compareILb0ELb1EtNS0_19identity_decomposerEEEEE10hipError_tT0_T1_T2_jT3_P12ihipStream_tbPNSt15iterator_traitsISK_E10value_typeEPNSQ_ISL_E10value_typeEPSM_NS1_7vsmem_tEENKUlT_SK_SL_SM_E_clISE_PtSF_SF_EESJ_SZ_SK_SL_SM_EUlSZ_E1_NS1_11comp_targetILNS1_3genE0ELNS1_11target_archE4294967295ELNS1_3gpuE0ELNS1_3repE0EEENS1_36merge_oddeven_config_static_selectorELNS0_4arch9wavefront6targetE1EEEvSL_
	.p2align	8
	.type	_ZN7rocprim17ROCPRIM_400000_NS6detail17trampoline_kernelINS0_14default_configENS1_38merge_sort_block_merge_config_selectorItNS0_10empty_typeEEEZZNS1_27merge_sort_block_merge_implIS3_N6thrust23THRUST_200600_302600_NS6detail15normal_iteratorINS9_10device_ptrItEEEEPS5_jNS1_19radix_merge_compareILb0ELb1EtNS0_19identity_decomposerEEEEE10hipError_tT0_T1_T2_jT3_P12ihipStream_tbPNSt15iterator_traitsISK_E10value_typeEPNSQ_ISL_E10value_typeEPSM_NS1_7vsmem_tEENKUlT_SK_SL_SM_E_clISE_PtSF_SF_EESJ_SZ_SK_SL_SM_EUlSZ_E1_NS1_11comp_targetILNS1_3genE0ELNS1_11target_archE4294967295ELNS1_3gpuE0ELNS1_3repE0EEENS1_36merge_oddeven_config_static_selectorELNS0_4arch9wavefront6targetE1EEEvSL_,@function
_ZN7rocprim17ROCPRIM_400000_NS6detail17trampoline_kernelINS0_14default_configENS1_38merge_sort_block_merge_config_selectorItNS0_10empty_typeEEEZZNS1_27merge_sort_block_merge_implIS3_N6thrust23THRUST_200600_302600_NS6detail15normal_iteratorINS9_10device_ptrItEEEEPS5_jNS1_19radix_merge_compareILb0ELb1EtNS0_19identity_decomposerEEEEE10hipError_tT0_T1_T2_jT3_P12ihipStream_tbPNSt15iterator_traitsISK_E10value_typeEPNSQ_ISL_E10value_typeEPSM_NS1_7vsmem_tEENKUlT_SK_SL_SM_E_clISE_PtSF_SF_EESJ_SZ_SK_SL_SM_EUlSZ_E1_NS1_11comp_targetILNS1_3genE0ELNS1_11target_archE4294967295ELNS1_3gpuE0ELNS1_3repE0EEENS1_36merge_oddeven_config_static_selectorELNS0_4arch9wavefront6targetE1EEEvSL_: ; @_ZN7rocprim17ROCPRIM_400000_NS6detail17trampoline_kernelINS0_14default_configENS1_38merge_sort_block_merge_config_selectorItNS0_10empty_typeEEEZZNS1_27merge_sort_block_merge_implIS3_N6thrust23THRUST_200600_302600_NS6detail15normal_iteratorINS9_10device_ptrItEEEEPS5_jNS1_19radix_merge_compareILb0ELb1EtNS0_19identity_decomposerEEEEE10hipError_tT0_T1_T2_jT3_P12ihipStream_tbPNSt15iterator_traitsISK_E10value_typeEPNSQ_ISL_E10value_typeEPSM_NS1_7vsmem_tEENKUlT_SK_SL_SM_E_clISE_PtSF_SF_EESJ_SZ_SK_SL_SM_EUlSZ_E1_NS1_11comp_targetILNS1_3genE0ELNS1_11target_archE4294967295ELNS1_3gpuE0ELNS1_3repE0EEENS1_36merge_oddeven_config_static_selectorELNS0_4arch9wavefront6targetE1EEEvSL_
; %bb.0:
	.section	.rodata,"a",@progbits
	.p2align	6, 0x0
	.amdhsa_kernel _ZN7rocprim17ROCPRIM_400000_NS6detail17trampoline_kernelINS0_14default_configENS1_38merge_sort_block_merge_config_selectorItNS0_10empty_typeEEEZZNS1_27merge_sort_block_merge_implIS3_N6thrust23THRUST_200600_302600_NS6detail15normal_iteratorINS9_10device_ptrItEEEEPS5_jNS1_19radix_merge_compareILb0ELb1EtNS0_19identity_decomposerEEEEE10hipError_tT0_T1_T2_jT3_P12ihipStream_tbPNSt15iterator_traitsISK_E10value_typeEPNSQ_ISL_E10value_typeEPSM_NS1_7vsmem_tEENKUlT_SK_SL_SM_E_clISE_PtSF_SF_EESJ_SZ_SK_SL_SM_EUlSZ_E1_NS1_11comp_targetILNS1_3genE0ELNS1_11target_archE4294967295ELNS1_3gpuE0ELNS1_3repE0EEENS1_36merge_oddeven_config_static_selectorELNS0_4arch9wavefront6targetE1EEEvSL_
		.amdhsa_group_segment_fixed_size 0
		.amdhsa_private_segment_fixed_size 0
		.amdhsa_kernarg_size 48
		.amdhsa_user_sgpr_count 2
		.amdhsa_user_sgpr_dispatch_ptr 0
		.amdhsa_user_sgpr_queue_ptr 0
		.amdhsa_user_sgpr_kernarg_segment_ptr 1
		.amdhsa_user_sgpr_dispatch_id 0
		.amdhsa_user_sgpr_kernarg_preload_length 0
		.amdhsa_user_sgpr_kernarg_preload_offset 0
		.amdhsa_user_sgpr_private_segment_size 0
		.amdhsa_uses_dynamic_stack 0
		.amdhsa_enable_private_segment 0
		.amdhsa_system_sgpr_workgroup_id_x 1
		.amdhsa_system_sgpr_workgroup_id_y 0
		.amdhsa_system_sgpr_workgroup_id_z 0
		.amdhsa_system_sgpr_workgroup_info 0
		.amdhsa_system_vgpr_workitem_id 0
		.amdhsa_next_free_vgpr 1
		.amdhsa_next_free_sgpr 0
		.amdhsa_accum_offset 4
		.amdhsa_reserve_vcc 0
		.amdhsa_float_round_mode_32 0
		.amdhsa_float_round_mode_16_64 0
		.amdhsa_float_denorm_mode_32 3
		.amdhsa_float_denorm_mode_16_64 3
		.amdhsa_dx10_clamp 1
		.amdhsa_ieee_mode 1
		.amdhsa_fp16_overflow 0
		.amdhsa_tg_split 0
		.amdhsa_exception_fp_ieee_invalid_op 0
		.amdhsa_exception_fp_denorm_src 0
		.amdhsa_exception_fp_ieee_div_zero 0
		.amdhsa_exception_fp_ieee_overflow 0
		.amdhsa_exception_fp_ieee_underflow 0
		.amdhsa_exception_fp_ieee_inexact 0
		.amdhsa_exception_int_div_zero 0
	.end_amdhsa_kernel
	.section	.text._ZN7rocprim17ROCPRIM_400000_NS6detail17trampoline_kernelINS0_14default_configENS1_38merge_sort_block_merge_config_selectorItNS0_10empty_typeEEEZZNS1_27merge_sort_block_merge_implIS3_N6thrust23THRUST_200600_302600_NS6detail15normal_iteratorINS9_10device_ptrItEEEEPS5_jNS1_19radix_merge_compareILb0ELb1EtNS0_19identity_decomposerEEEEE10hipError_tT0_T1_T2_jT3_P12ihipStream_tbPNSt15iterator_traitsISK_E10value_typeEPNSQ_ISL_E10value_typeEPSM_NS1_7vsmem_tEENKUlT_SK_SL_SM_E_clISE_PtSF_SF_EESJ_SZ_SK_SL_SM_EUlSZ_E1_NS1_11comp_targetILNS1_3genE0ELNS1_11target_archE4294967295ELNS1_3gpuE0ELNS1_3repE0EEENS1_36merge_oddeven_config_static_selectorELNS0_4arch9wavefront6targetE1EEEvSL_,"axG",@progbits,_ZN7rocprim17ROCPRIM_400000_NS6detail17trampoline_kernelINS0_14default_configENS1_38merge_sort_block_merge_config_selectorItNS0_10empty_typeEEEZZNS1_27merge_sort_block_merge_implIS3_N6thrust23THRUST_200600_302600_NS6detail15normal_iteratorINS9_10device_ptrItEEEEPS5_jNS1_19radix_merge_compareILb0ELb1EtNS0_19identity_decomposerEEEEE10hipError_tT0_T1_T2_jT3_P12ihipStream_tbPNSt15iterator_traitsISK_E10value_typeEPNSQ_ISL_E10value_typeEPSM_NS1_7vsmem_tEENKUlT_SK_SL_SM_E_clISE_PtSF_SF_EESJ_SZ_SK_SL_SM_EUlSZ_E1_NS1_11comp_targetILNS1_3genE0ELNS1_11target_archE4294967295ELNS1_3gpuE0ELNS1_3repE0EEENS1_36merge_oddeven_config_static_selectorELNS0_4arch9wavefront6targetE1EEEvSL_,comdat
.Lfunc_end1303:
	.size	_ZN7rocprim17ROCPRIM_400000_NS6detail17trampoline_kernelINS0_14default_configENS1_38merge_sort_block_merge_config_selectorItNS0_10empty_typeEEEZZNS1_27merge_sort_block_merge_implIS3_N6thrust23THRUST_200600_302600_NS6detail15normal_iteratorINS9_10device_ptrItEEEEPS5_jNS1_19radix_merge_compareILb0ELb1EtNS0_19identity_decomposerEEEEE10hipError_tT0_T1_T2_jT3_P12ihipStream_tbPNSt15iterator_traitsISK_E10value_typeEPNSQ_ISL_E10value_typeEPSM_NS1_7vsmem_tEENKUlT_SK_SL_SM_E_clISE_PtSF_SF_EESJ_SZ_SK_SL_SM_EUlSZ_E1_NS1_11comp_targetILNS1_3genE0ELNS1_11target_archE4294967295ELNS1_3gpuE0ELNS1_3repE0EEENS1_36merge_oddeven_config_static_selectorELNS0_4arch9wavefront6targetE1EEEvSL_, .Lfunc_end1303-_ZN7rocprim17ROCPRIM_400000_NS6detail17trampoline_kernelINS0_14default_configENS1_38merge_sort_block_merge_config_selectorItNS0_10empty_typeEEEZZNS1_27merge_sort_block_merge_implIS3_N6thrust23THRUST_200600_302600_NS6detail15normal_iteratorINS9_10device_ptrItEEEEPS5_jNS1_19radix_merge_compareILb0ELb1EtNS0_19identity_decomposerEEEEE10hipError_tT0_T1_T2_jT3_P12ihipStream_tbPNSt15iterator_traitsISK_E10value_typeEPNSQ_ISL_E10value_typeEPSM_NS1_7vsmem_tEENKUlT_SK_SL_SM_E_clISE_PtSF_SF_EESJ_SZ_SK_SL_SM_EUlSZ_E1_NS1_11comp_targetILNS1_3genE0ELNS1_11target_archE4294967295ELNS1_3gpuE0ELNS1_3repE0EEENS1_36merge_oddeven_config_static_selectorELNS0_4arch9wavefront6targetE1EEEvSL_
                                        ; -- End function
	.section	.AMDGPU.csdata,"",@progbits
; Kernel info:
; codeLenInByte = 0
; NumSgprs: 6
; NumVgprs: 0
; NumAgprs: 0
; TotalNumVgprs: 0
; ScratchSize: 0
; MemoryBound: 0
; FloatMode: 240
; IeeeMode: 1
; LDSByteSize: 0 bytes/workgroup (compile time only)
; SGPRBlocks: 0
; VGPRBlocks: 0
; NumSGPRsForWavesPerEU: 6
; NumVGPRsForWavesPerEU: 1
; AccumOffset: 4
; Occupancy: 8
; WaveLimiterHint : 0
; COMPUTE_PGM_RSRC2:SCRATCH_EN: 0
; COMPUTE_PGM_RSRC2:USER_SGPR: 2
; COMPUTE_PGM_RSRC2:TRAP_HANDLER: 0
; COMPUTE_PGM_RSRC2:TGID_X_EN: 1
; COMPUTE_PGM_RSRC2:TGID_Y_EN: 0
; COMPUTE_PGM_RSRC2:TGID_Z_EN: 0
; COMPUTE_PGM_RSRC2:TIDIG_COMP_CNT: 0
; COMPUTE_PGM_RSRC3_GFX90A:ACCUM_OFFSET: 0
; COMPUTE_PGM_RSRC3_GFX90A:TG_SPLIT: 0
	.section	.text._ZN7rocprim17ROCPRIM_400000_NS6detail17trampoline_kernelINS0_14default_configENS1_38merge_sort_block_merge_config_selectorItNS0_10empty_typeEEEZZNS1_27merge_sort_block_merge_implIS3_N6thrust23THRUST_200600_302600_NS6detail15normal_iteratorINS9_10device_ptrItEEEEPS5_jNS1_19radix_merge_compareILb0ELb1EtNS0_19identity_decomposerEEEEE10hipError_tT0_T1_T2_jT3_P12ihipStream_tbPNSt15iterator_traitsISK_E10value_typeEPNSQ_ISL_E10value_typeEPSM_NS1_7vsmem_tEENKUlT_SK_SL_SM_E_clISE_PtSF_SF_EESJ_SZ_SK_SL_SM_EUlSZ_E1_NS1_11comp_targetILNS1_3genE10ELNS1_11target_archE1201ELNS1_3gpuE5ELNS1_3repE0EEENS1_36merge_oddeven_config_static_selectorELNS0_4arch9wavefront6targetE1EEEvSL_,"axG",@progbits,_ZN7rocprim17ROCPRIM_400000_NS6detail17trampoline_kernelINS0_14default_configENS1_38merge_sort_block_merge_config_selectorItNS0_10empty_typeEEEZZNS1_27merge_sort_block_merge_implIS3_N6thrust23THRUST_200600_302600_NS6detail15normal_iteratorINS9_10device_ptrItEEEEPS5_jNS1_19radix_merge_compareILb0ELb1EtNS0_19identity_decomposerEEEEE10hipError_tT0_T1_T2_jT3_P12ihipStream_tbPNSt15iterator_traitsISK_E10value_typeEPNSQ_ISL_E10value_typeEPSM_NS1_7vsmem_tEENKUlT_SK_SL_SM_E_clISE_PtSF_SF_EESJ_SZ_SK_SL_SM_EUlSZ_E1_NS1_11comp_targetILNS1_3genE10ELNS1_11target_archE1201ELNS1_3gpuE5ELNS1_3repE0EEENS1_36merge_oddeven_config_static_selectorELNS0_4arch9wavefront6targetE1EEEvSL_,comdat
	.protected	_ZN7rocprim17ROCPRIM_400000_NS6detail17trampoline_kernelINS0_14default_configENS1_38merge_sort_block_merge_config_selectorItNS0_10empty_typeEEEZZNS1_27merge_sort_block_merge_implIS3_N6thrust23THRUST_200600_302600_NS6detail15normal_iteratorINS9_10device_ptrItEEEEPS5_jNS1_19radix_merge_compareILb0ELb1EtNS0_19identity_decomposerEEEEE10hipError_tT0_T1_T2_jT3_P12ihipStream_tbPNSt15iterator_traitsISK_E10value_typeEPNSQ_ISL_E10value_typeEPSM_NS1_7vsmem_tEENKUlT_SK_SL_SM_E_clISE_PtSF_SF_EESJ_SZ_SK_SL_SM_EUlSZ_E1_NS1_11comp_targetILNS1_3genE10ELNS1_11target_archE1201ELNS1_3gpuE5ELNS1_3repE0EEENS1_36merge_oddeven_config_static_selectorELNS0_4arch9wavefront6targetE1EEEvSL_ ; -- Begin function _ZN7rocprim17ROCPRIM_400000_NS6detail17trampoline_kernelINS0_14default_configENS1_38merge_sort_block_merge_config_selectorItNS0_10empty_typeEEEZZNS1_27merge_sort_block_merge_implIS3_N6thrust23THRUST_200600_302600_NS6detail15normal_iteratorINS9_10device_ptrItEEEEPS5_jNS1_19radix_merge_compareILb0ELb1EtNS0_19identity_decomposerEEEEE10hipError_tT0_T1_T2_jT3_P12ihipStream_tbPNSt15iterator_traitsISK_E10value_typeEPNSQ_ISL_E10value_typeEPSM_NS1_7vsmem_tEENKUlT_SK_SL_SM_E_clISE_PtSF_SF_EESJ_SZ_SK_SL_SM_EUlSZ_E1_NS1_11comp_targetILNS1_3genE10ELNS1_11target_archE1201ELNS1_3gpuE5ELNS1_3repE0EEENS1_36merge_oddeven_config_static_selectorELNS0_4arch9wavefront6targetE1EEEvSL_
	.globl	_ZN7rocprim17ROCPRIM_400000_NS6detail17trampoline_kernelINS0_14default_configENS1_38merge_sort_block_merge_config_selectorItNS0_10empty_typeEEEZZNS1_27merge_sort_block_merge_implIS3_N6thrust23THRUST_200600_302600_NS6detail15normal_iteratorINS9_10device_ptrItEEEEPS5_jNS1_19radix_merge_compareILb0ELb1EtNS0_19identity_decomposerEEEEE10hipError_tT0_T1_T2_jT3_P12ihipStream_tbPNSt15iterator_traitsISK_E10value_typeEPNSQ_ISL_E10value_typeEPSM_NS1_7vsmem_tEENKUlT_SK_SL_SM_E_clISE_PtSF_SF_EESJ_SZ_SK_SL_SM_EUlSZ_E1_NS1_11comp_targetILNS1_3genE10ELNS1_11target_archE1201ELNS1_3gpuE5ELNS1_3repE0EEENS1_36merge_oddeven_config_static_selectorELNS0_4arch9wavefront6targetE1EEEvSL_
	.p2align	8
	.type	_ZN7rocprim17ROCPRIM_400000_NS6detail17trampoline_kernelINS0_14default_configENS1_38merge_sort_block_merge_config_selectorItNS0_10empty_typeEEEZZNS1_27merge_sort_block_merge_implIS3_N6thrust23THRUST_200600_302600_NS6detail15normal_iteratorINS9_10device_ptrItEEEEPS5_jNS1_19radix_merge_compareILb0ELb1EtNS0_19identity_decomposerEEEEE10hipError_tT0_T1_T2_jT3_P12ihipStream_tbPNSt15iterator_traitsISK_E10value_typeEPNSQ_ISL_E10value_typeEPSM_NS1_7vsmem_tEENKUlT_SK_SL_SM_E_clISE_PtSF_SF_EESJ_SZ_SK_SL_SM_EUlSZ_E1_NS1_11comp_targetILNS1_3genE10ELNS1_11target_archE1201ELNS1_3gpuE5ELNS1_3repE0EEENS1_36merge_oddeven_config_static_selectorELNS0_4arch9wavefront6targetE1EEEvSL_,@function
_ZN7rocprim17ROCPRIM_400000_NS6detail17trampoline_kernelINS0_14default_configENS1_38merge_sort_block_merge_config_selectorItNS0_10empty_typeEEEZZNS1_27merge_sort_block_merge_implIS3_N6thrust23THRUST_200600_302600_NS6detail15normal_iteratorINS9_10device_ptrItEEEEPS5_jNS1_19radix_merge_compareILb0ELb1EtNS0_19identity_decomposerEEEEE10hipError_tT0_T1_T2_jT3_P12ihipStream_tbPNSt15iterator_traitsISK_E10value_typeEPNSQ_ISL_E10value_typeEPSM_NS1_7vsmem_tEENKUlT_SK_SL_SM_E_clISE_PtSF_SF_EESJ_SZ_SK_SL_SM_EUlSZ_E1_NS1_11comp_targetILNS1_3genE10ELNS1_11target_archE1201ELNS1_3gpuE5ELNS1_3repE0EEENS1_36merge_oddeven_config_static_selectorELNS0_4arch9wavefront6targetE1EEEvSL_: ; @_ZN7rocprim17ROCPRIM_400000_NS6detail17trampoline_kernelINS0_14default_configENS1_38merge_sort_block_merge_config_selectorItNS0_10empty_typeEEEZZNS1_27merge_sort_block_merge_implIS3_N6thrust23THRUST_200600_302600_NS6detail15normal_iteratorINS9_10device_ptrItEEEEPS5_jNS1_19radix_merge_compareILb0ELb1EtNS0_19identity_decomposerEEEEE10hipError_tT0_T1_T2_jT3_P12ihipStream_tbPNSt15iterator_traitsISK_E10value_typeEPNSQ_ISL_E10value_typeEPSM_NS1_7vsmem_tEENKUlT_SK_SL_SM_E_clISE_PtSF_SF_EESJ_SZ_SK_SL_SM_EUlSZ_E1_NS1_11comp_targetILNS1_3genE10ELNS1_11target_archE1201ELNS1_3gpuE5ELNS1_3repE0EEENS1_36merge_oddeven_config_static_selectorELNS0_4arch9wavefront6targetE1EEEvSL_
; %bb.0:
	.section	.rodata,"a",@progbits
	.p2align	6, 0x0
	.amdhsa_kernel _ZN7rocprim17ROCPRIM_400000_NS6detail17trampoline_kernelINS0_14default_configENS1_38merge_sort_block_merge_config_selectorItNS0_10empty_typeEEEZZNS1_27merge_sort_block_merge_implIS3_N6thrust23THRUST_200600_302600_NS6detail15normal_iteratorINS9_10device_ptrItEEEEPS5_jNS1_19radix_merge_compareILb0ELb1EtNS0_19identity_decomposerEEEEE10hipError_tT0_T1_T2_jT3_P12ihipStream_tbPNSt15iterator_traitsISK_E10value_typeEPNSQ_ISL_E10value_typeEPSM_NS1_7vsmem_tEENKUlT_SK_SL_SM_E_clISE_PtSF_SF_EESJ_SZ_SK_SL_SM_EUlSZ_E1_NS1_11comp_targetILNS1_3genE10ELNS1_11target_archE1201ELNS1_3gpuE5ELNS1_3repE0EEENS1_36merge_oddeven_config_static_selectorELNS0_4arch9wavefront6targetE1EEEvSL_
		.amdhsa_group_segment_fixed_size 0
		.amdhsa_private_segment_fixed_size 0
		.amdhsa_kernarg_size 48
		.amdhsa_user_sgpr_count 2
		.amdhsa_user_sgpr_dispatch_ptr 0
		.amdhsa_user_sgpr_queue_ptr 0
		.amdhsa_user_sgpr_kernarg_segment_ptr 1
		.amdhsa_user_sgpr_dispatch_id 0
		.amdhsa_user_sgpr_kernarg_preload_length 0
		.amdhsa_user_sgpr_kernarg_preload_offset 0
		.amdhsa_user_sgpr_private_segment_size 0
		.amdhsa_uses_dynamic_stack 0
		.amdhsa_enable_private_segment 0
		.amdhsa_system_sgpr_workgroup_id_x 1
		.amdhsa_system_sgpr_workgroup_id_y 0
		.amdhsa_system_sgpr_workgroup_id_z 0
		.amdhsa_system_sgpr_workgroup_info 0
		.amdhsa_system_vgpr_workitem_id 0
		.amdhsa_next_free_vgpr 1
		.amdhsa_next_free_sgpr 0
		.amdhsa_accum_offset 4
		.amdhsa_reserve_vcc 0
		.amdhsa_float_round_mode_32 0
		.amdhsa_float_round_mode_16_64 0
		.amdhsa_float_denorm_mode_32 3
		.amdhsa_float_denorm_mode_16_64 3
		.amdhsa_dx10_clamp 1
		.amdhsa_ieee_mode 1
		.amdhsa_fp16_overflow 0
		.amdhsa_tg_split 0
		.amdhsa_exception_fp_ieee_invalid_op 0
		.amdhsa_exception_fp_denorm_src 0
		.amdhsa_exception_fp_ieee_div_zero 0
		.amdhsa_exception_fp_ieee_overflow 0
		.amdhsa_exception_fp_ieee_underflow 0
		.amdhsa_exception_fp_ieee_inexact 0
		.amdhsa_exception_int_div_zero 0
	.end_amdhsa_kernel
	.section	.text._ZN7rocprim17ROCPRIM_400000_NS6detail17trampoline_kernelINS0_14default_configENS1_38merge_sort_block_merge_config_selectorItNS0_10empty_typeEEEZZNS1_27merge_sort_block_merge_implIS3_N6thrust23THRUST_200600_302600_NS6detail15normal_iteratorINS9_10device_ptrItEEEEPS5_jNS1_19radix_merge_compareILb0ELb1EtNS0_19identity_decomposerEEEEE10hipError_tT0_T1_T2_jT3_P12ihipStream_tbPNSt15iterator_traitsISK_E10value_typeEPNSQ_ISL_E10value_typeEPSM_NS1_7vsmem_tEENKUlT_SK_SL_SM_E_clISE_PtSF_SF_EESJ_SZ_SK_SL_SM_EUlSZ_E1_NS1_11comp_targetILNS1_3genE10ELNS1_11target_archE1201ELNS1_3gpuE5ELNS1_3repE0EEENS1_36merge_oddeven_config_static_selectorELNS0_4arch9wavefront6targetE1EEEvSL_,"axG",@progbits,_ZN7rocprim17ROCPRIM_400000_NS6detail17trampoline_kernelINS0_14default_configENS1_38merge_sort_block_merge_config_selectorItNS0_10empty_typeEEEZZNS1_27merge_sort_block_merge_implIS3_N6thrust23THRUST_200600_302600_NS6detail15normal_iteratorINS9_10device_ptrItEEEEPS5_jNS1_19radix_merge_compareILb0ELb1EtNS0_19identity_decomposerEEEEE10hipError_tT0_T1_T2_jT3_P12ihipStream_tbPNSt15iterator_traitsISK_E10value_typeEPNSQ_ISL_E10value_typeEPSM_NS1_7vsmem_tEENKUlT_SK_SL_SM_E_clISE_PtSF_SF_EESJ_SZ_SK_SL_SM_EUlSZ_E1_NS1_11comp_targetILNS1_3genE10ELNS1_11target_archE1201ELNS1_3gpuE5ELNS1_3repE0EEENS1_36merge_oddeven_config_static_selectorELNS0_4arch9wavefront6targetE1EEEvSL_,comdat
.Lfunc_end1304:
	.size	_ZN7rocprim17ROCPRIM_400000_NS6detail17trampoline_kernelINS0_14default_configENS1_38merge_sort_block_merge_config_selectorItNS0_10empty_typeEEEZZNS1_27merge_sort_block_merge_implIS3_N6thrust23THRUST_200600_302600_NS6detail15normal_iteratorINS9_10device_ptrItEEEEPS5_jNS1_19radix_merge_compareILb0ELb1EtNS0_19identity_decomposerEEEEE10hipError_tT0_T1_T2_jT3_P12ihipStream_tbPNSt15iterator_traitsISK_E10value_typeEPNSQ_ISL_E10value_typeEPSM_NS1_7vsmem_tEENKUlT_SK_SL_SM_E_clISE_PtSF_SF_EESJ_SZ_SK_SL_SM_EUlSZ_E1_NS1_11comp_targetILNS1_3genE10ELNS1_11target_archE1201ELNS1_3gpuE5ELNS1_3repE0EEENS1_36merge_oddeven_config_static_selectorELNS0_4arch9wavefront6targetE1EEEvSL_, .Lfunc_end1304-_ZN7rocprim17ROCPRIM_400000_NS6detail17trampoline_kernelINS0_14default_configENS1_38merge_sort_block_merge_config_selectorItNS0_10empty_typeEEEZZNS1_27merge_sort_block_merge_implIS3_N6thrust23THRUST_200600_302600_NS6detail15normal_iteratorINS9_10device_ptrItEEEEPS5_jNS1_19radix_merge_compareILb0ELb1EtNS0_19identity_decomposerEEEEE10hipError_tT0_T1_T2_jT3_P12ihipStream_tbPNSt15iterator_traitsISK_E10value_typeEPNSQ_ISL_E10value_typeEPSM_NS1_7vsmem_tEENKUlT_SK_SL_SM_E_clISE_PtSF_SF_EESJ_SZ_SK_SL_SM_EUlSZ_E1_NS1_11comp_targetILNS1_3genE10ELNS1_11target_archE1201ELNS1_3gpuE5ELNS1_3repE0EEENS1_36merge_oddeven_config_static_selectorELNS0_4arch9wavefront6targetE1EEEvSL_
                                        ; -- End function
	.section	.AMDGPU.csdata,"",@progbits
; Kernel info:
; codeLenInByte = 0
; NumSgprs: 6
; NumVgprs: 0
; NumAgprs: 0
; TotalNumVgprs: 0
; ScratchSize: 0
; MemoryBound: 0
; FloatMode: 240
; IeeeMode: 1
; LDSByteSize: 0 bytes/workgroup (compile time only)
; SGPRBlocks: 0
; VGPRBlocks: 0
; NumSGPRsForWavesPerEU: 6
; NumVGPRsForWavesPerEU: 1
; AccumOffset: 4
; Occupancy: 8
; WaveLimiterHint : 0
; COMPUTE_PGM_RSRC2:SCRATCH_EN: 0
; COMPUTE_PGM_RSRC2:USER_SGPR: 2
; COMPUTE_PGM_RSRC2:TRAP_HANDLER: 0
; COMPUTE_PGM_RSRC2:TGID_X_EN: 1
; COMPUTE_PGM_RSRC2:TGID_Y_EN: 0
; COMPUTE_PGM_RSRC2:TGID_Z_EN: 0
; COMPUTE_PGM_RSRC2:TIDIG_COMP_CNT: 0
; COMPUTE_PGM_RSRC3_GFX90A:ACCUM_OFFSET: 0
; COMPUTE_PGM_RSRC3_GFX90A:TG_SPLIT: 0
	.section	.text._ZN7rocprim17ROCPRIM_400000_NS6detail17trampoline_kernelINS0_14default_configENS1_38merge_sort_block_merge_config_selectorItNS0_10empty_typeEEEZZNS1_27merge_sort_block_merge_implIS3_N6thrust23THRUST_200600_302600_NS6detail15normal_iteratorINS9_10device_ptrItEEEEPS5_jNS1_19radix_merge_compareILb0ELb1EtNS0_19identity_decomposerEEEEE10hipError_tT0_T1_T2_jT3_P12ihipStream_tbPNSt15iterator_traitsISK_E10value_typeEPNSQ_ISL_E10value_typeEPSM_NS1_7vsmem_tEENKUlT_SK_SL_SM_E_clISE_PtSF_SF_EESJ_SZ_SK_SL_SM_EUlSZ_E1_NS1_11comp_targetILNS1_3genE5ELNS1_11target_archE942ELNS1_3gpuE9ELNS1_3repE0EEENS1_36merge_oddeven_config_static_selectorELNS0_4arch9wavefront6targetE1EEEvSL_,"axG",@progbits,_ZN7rocprim17ROCPRIM_400000_NS6detail17trampoline_kernelINS0_14default_configENS1_38merge_sort_block_merge_config_selectorItNS0_10empty_typeEEEZZNS1_27merge_sort_block_merge_implIS3_N6thrust23THRUST_200600_302600_NS6detail15normal_iteratorINS9_10device_ptrItEEEEPS5_jNS1_19radix_merge_compareILb0ELb1EtNS0_19identity_decomposerEEEEE10hipError_tT0_T1_T2_jT3_P12ihipStream_tbPNSt15iterator_traitsISK_E10value_typeEPNSQ_ISL_E10value_typeEPSM_NS1_7vsmem_tEENKUlT_SK_SL_SM_E_clISE_PtSF_SF_EESJ_SZ_SK_SL_SM_EUlSZ_E1_NS1_11comp_targetILNS1_3genE5ELNS1_11target_archE942ELNS1_3gpuE9ELNS1_3repE0EEENS1_36merge_oddeven_config_static_selectorELNS0_4arch9wavefront6targetE1EEEvSL_,comdat
	.protected	_ZN7rocprim17ROCPRIM_400000_NS6detail17trampoline_kernelINS0_14default_configENS1_38merge_sort_block_merge_config_selectorItNS0_10empty_typeEEEZZNS1_27merge_sort_block_merge_implIS3_N6thrust23THRUST_200600_302600_NS6detail15normal_iteratorINS9_10device_ptrItEEEEPS5_jNS1_19radix_merge_compareILb0ELb1EtNS0_19identity_decomposerEEEEE10hipError_tT0_T1_T2_jT3_P12ihipStream_tbPNSt15iterator_traitsISK_E10value_typeEPNSQ_ISL_E10value_typeEPSM_NS1_7vsmem_tEENKUlT_SK_SL_SM_E_clISE_PtSF_SF_EESJ_SZ_SK_SL_SM_EUlSZ_E1_NS1_11comp_targetILNS1_3genE5ELNS1_11target_archE942ELNS1_3gpuE9ELNS1_3repE0EEENS1_36merge_oddeven_config_static_selectorELNS0_4arch9wavefront6targetE1EEEvSL_ ; -- Begin function _ZN7rocprim17ROCPRIM_400000_NS6detail17trampoline_kernelINS0_14default_configENS1_38merge_sort_block_merge_config_selectorItNS0_10empty_typeEEEZZNS1_27merge_sort_block_merge_implIS3_N6thrust23THRUST_200600_302600_NS6detail15normal_iteratorINS9_10device_ptrItEEEEPS5_jNS1_19radix_merge_compareILb0ELb1EtNS0_19identity_decomposerEEEEE10hipError_tT0_T1_T2_jT3_P12ihipStream_tbPNSt15iterator_traitsISK_E10value_typeEPNSQ_ISL_E10value_typeEPSM_NS1_7vsmem_tEENKUlT_SK_SL_SM_E_clISE_PtSF_SF_EESJ_SZ_SK_SL_SM_EUlSZ_E1_NS1_11comp_targetILNS1_3genE5ELNS1_11target_archE942ELNS1_3gpuE9ELNS1_3repE0EEENS1_36merge_oddeven_config_static_selectorELNS0_4arch9wavefront6targetE1EEEvSL_
	.globl	_ZN7rocprim17ROCPRIM_400000_NS6detail17trampoline_kernelINS0_14default_configENS1_38merge_sort_block_merge_config_selectorItNS0_10empty_typeEEEZZNS1_27merge_sort_block_merge_implIS3_N6thrust23THRUST_200600_302600_NS6detail15normal_iteratorINS9_10device_ptrItEEEEPS5_jNS1_19radix_merge_compareILb0ELb1EtNS0_19identity_decomposerEEEEE10hipError_tT0_T1_T2_jT3_P12ihipStream_tbPNSt15iterator_traitsISK_E10value_typeEPNSQ_ISL_E10value_typeEPSM_NS1_7vsmem_tEENKUlT_SK_SL_SM_E_clISE_PtSF_SF_EESJ_SZ_SK_SL_SM_EUlSZ_E1_NS1_11comp_targetILNS1_3genE5ELNS1_11target_archE942ELNS1_3gpuE9ELNS1_3repE0EEENS1_36merge_oddeven_config_static_selectorELNS0_4arch9wavefront6targetE1EEEvSL_
	.p2align	8
	.type	_ZN7rocprim17ROCPRIM_400000_NS6detail17trampoline_kernelINS0_14default_configENS1_38merge_sort_block_merge_config_selectorItNS0_10empty_typeEEEZZNS1_27merge_sort_block_merge_implIS3_N6thrust23THRUST_200600_302600_NS6detail15normal_iteratorINS9_10device_ptrItEEEEPS5_jNS1_19radix_merge_compareILb0ELb1EtNS0_19identity_decomposerEEEEE10hipError_tT0_T1_T2_jT3_P12ihipStream_tbPNSt15iterator_traitsISK_E10value_typeEPNSQ_ISL_E10value_typeEPSM_NS1_7vsmem_tEENKUlT_SK_SL_SM_E_clISE_PtSF_SF_EESJ_SZ_SK_SL_SM_EUlSZ_E1_NS1_11comp_targetILNS1_3genE5ELNS1_11target_archE942ELNS1_3gpuE9ELNS1_3repE0EEENS1_36merge_oddeven_config_static_selectorELNS0_4arch9wavefront6targetE1EEEvSL_,@function
_ZN7rocprim17ROCPRIM_400000_NS6detail17trampoline_kernelINS0_14default_configENS1_38merge_sort_block_merge_config_selectorItNS0_10empty_typeEEEZZNS1_27merge_sort_block_merge_implIS3_N6thrust23THRUST_200600_302600_NS6detail15normal_iteratorINS9_10device_ptrItEEEEPS5_jNS1_19radix_merge_compareILb0ELb1EtNS0_19identity_decomposerEEEEE10hipError_tT0_T1_T2_jT3_P12ihipStream_tbPNSt15iterator_traitsISK_E10value_typeEPNSQ_ISL_E10value_typeEPSM_NS1_7vsmem_tEENKUlT_SK_SL_SM_E_clISE_PtSF_SF_EESJ_SZ_SK_SL_SM_EUlSZ_E1_NS1_11comp_targetILNS1_3genE5ELNS1_11target_archE942ELNS1_3gpuE9ELNS1_3repE0EEENS1_36merge_oddeven_config_static_selectorELNS0_4arch9wavefront6targetE1EEEvSL_: ; @_ZN7rocprim17ROCPRIM_400000_NS6detail17trampoline_kernelINS0_14default_configENS1_38merge_sort_block_merge_config_selectorItNS0_10empty_typeEEEZZNS1_27merge_sort_block_merge_implIS3_N6thrust23THRUST_200600_302600_NS6detail15normal_iteratorINS9_10device_ptrItEEEEPS5_jNS1_19radix_merge_compareILb0ELb1EtNS0_19identity_decomposerEEEEE10hipError_tT0_T1_T2_jT3_P12ihipStream_tbPNSt15iterator_traitsISK_E10value_typeEPNSQ_ISL_E10value_typeEPSM_NS1_7vsmem_tEENKUlT_SK_SL_SM_E_clISE_PtSF_SF_EESJ_SZ_SK_SL_SM_EUlSZ_E1_NS1_11comp_targetILNS1_3genE5ELNS1_11target_archE942ELNS1_3gpuE9ELNS1_3repE0EEENS1_36merge_oddeven_config_static_selectorELNS0_4arch9wavefront6targetE1EEEvSL_
; %bb.0:
	s_load_dword s18, s[0:1], 0x20
	s_waitcnt lgkmcnt(0)
	s_lshr_b32 s3, s18, 8
	s_cmp_lg_u32 s2, s3
	s_cselect_b64 s[14:15], -1, 0
	s_cmp_eq_u32 s2, s3
	s_cselect_b64 s[12:13], -1, 0
	s_lshl_b32 s16, s2, 8
	s_sub_i32 s3, s18, s16
	v_cmp_gt_u32_e64 s[6:7], s3, v0
	s_or_b64 s[4:5], s[14:15], s[6:7]
	s_and_saveexec_b64 s[8:9], s[4:5]
	s_cbranch_execz .LBB1305_20
; %bb.1:
	s_load_dwordx4 s[8:11], s[0:1], 0x0
	s_load_dword s19, s[0:1], 0x24
	s_mov_b32 s17, 0
	s_lshl_b64 s[4:5], s[16:17], 1
	v_lshlrev_b32_e32 v1, 1, v0
	s_waitcnt lgkmcnt(0)
	s_add_u32 s4, s8, s4
	s_addc_u32 s5, s9, s5
	global_load_ushort v2, v1, s[4:5]
	s_lshr_b32 s3, s19, 8
	s_sub_i32 s4, 0, s3
	s_and_b32 s2, s2, s4
	s_and_b32 s3, s2, s3
	s_lshl_b32 s20, s2, 8
	s_sub_i32 s17, 0, s19
	s_cmp_eq_u32 s3, 0
	s_cselect_b64 s[4:5], -1, 0
	s_and_b64 s[2:3], s[4:5], exec
	s_cselect_b32 s17, s19, s17
	s_add_i32 s17, s17, s20
	s_cmp_lt_u32 s17, s18
	v_add_u32_e32 v0, s16, v0
	s_cbranch_scc1 .LBB1305_3
; %bb.2:
	v_cmp_gt_u32_e32 vcc, s18, v0
	s_or_b64 s[2:3], vcc, s[14:15]
	s_and_b64 s[2:3], s[2:3], exec
	s_cbranch_execz .LBB1305_4
	s_branch .LBB1305_18
.LBB1305_3:
	s_mov_b64 s[2:3], 0
.LBB1305_4:
	s_load_dword s14, s[0:1], 0x28
	s_min_u32 s15, s17, s18
	s_add_i32 s0, s15, s19
	s_min_u32 s16, s0, s18
	s_min_u32 s0, s20, s15
	s_add_i32 s20, s20, s15
	v_subrev_u32_e32 v0, s20, v0
	v_add_u32_e32 v1, s0, v0
	s_and_b64 vcc, exec, s[12:13]
	s_cbranch_vccz .LBB1305_12
; %bb.5:
                                        ; implicit-def: $vgpr0
	s_and_saveexec_b64 s[0:1], s[6:7]
	s_cbranch_execz .LBB1305_11
; %bb.6:
	s_cmp_ge_u32 s17, s16
	v_mov_b32_e32 v0, s15
	s_cbranch_scc1 .LBB1305_10
; %bb.7:
	s_waitcnt vmcnt(0) lgkmcnt(0)
	v_and_b32_e32 v3, s14, v2
	s_mov_b64 s[6:7], 0
	v_mov_b32_e32 v4, s16
	v_mov_b32_e32 v0, s15
.LBB1305_8:                             ; =>This Inner Loop Header: Depth=1
	v_add_u32_e32 v5, v0, v4
	v_and_b32_e32 v6, -2, v5
	global_load_ushort v6, v6, s[8:9]
	v_lshrrev_b32_e32 v5, 1, v5
	v_add_u32_e32 v7, 1, v5
	s_waitcnt vmcnt(0)
	v_and_b32_e32 v6, s14, v6
	v_cmp_gt_u16_e32 vcc, v3, v6
	s_nop 1
	v_cndmask_b32_e64 v8, 0, 1, vcc
	v_cmp_le_u16_e32 vcc, v6, v3
	s_nop 1
	v_cndmask_b32_e64 v6, 0, 1, vcc
	v_cndmask_b32_e64 v6, v6, v8, s[4:5]
	v_and_b32_e32 v6, 1, v6
	v_cmp_eq_u32_e32 vcc, 1, v6
	s_nop 1
	v_cndmask_b32_e32 v4, v5, v4, vcc
	v_cndmask_b32_e32 v0, v0, v7, vcc
	v_cmp_ge_u32_e32 vcc, v0, v4
	s_or_b64 s[6:7], vcc, s[6:7]
	s_andn2_b64 exec, exec, s[6:7]
	s_cbranch_execnz .LBB1305_8
; %bb.9:
	s_or_b64 exec, exec, s[6:7]
.LBB1305_10:
	v_add_u32_e32 v0, v0, v1
	s_or_b64 s[2:3], s[2:3], exec
.LBB1305_11:
	s_or_b64 exec, exec, s[0:1]
	s_branch .LBB1305_18
.LBB1305_12:
                                        ; implicit-def: $vgpr0
	s_cbranch_execz .LBB1305_18
; %bb.13:
	s_cmp_ge_u32 s17, s16
	v_mov_b32_e32 v0, s15
	s_cbranch_scc1 .LBB1305_17
; %bb.14:
	s_waitcnt vmcnt(0) lgkmcnt(0)
	v_and_b32_e32 v3, s14, v2
	s_mov_b64 s[0:1], 0
	v_mov_b32_e32 v4, s16
	v_mov_b32_e32 v0, s15
.LBB1305_15:                            ; =>This Inner Loop Header: Depth=1
	v_add_u32_e32 v5, v0, v4
	v_and_b32_e32 v6, -2, v5
	global_load_ushort v6, v6, s[8:9]
	v_lshrrev_b32_e32 v5, 1, v5
	v_add_u32_e32 v7, 1, v5
	s_waitcnt vmcnt(0)
	v_and_b32_e32 v6, s14, v6
	v_cmp_gt_u16_e32 vcc, v3, v6
	s_nop 1
	v_cndmask_b32_e64 v8, 0, 1, vcc
	v_cmp_le_u16_e32 vcc, v6, v3
	s_nop 1
	v_cndmask_b32_e64 v6, 0, 1, vcc
	v_cndmask_b32_e64 v6, v6, v8, s[4:5]
	v_and_b32_e32 v6, 1, v6
	v_cmp_eq_u32_e32 vcc, 1, v6
	s_nop 1
	v_cndmask_b32_e32 v4, v5, v4, vcc
	v_cndmask_b32_e32 v0, v0, v7, vcc
	v_cmp_ge_u32_e32 vcc, v0, v4
	s_or_b64 s[0:1], vcc, s[0:1]
	s_andn2_b64 exec, exec, s[0:1]
	s_cbranch_execnz .LBB1305_15
; %bb.16:
	s_or_b64 exec, exec, s[0:1]
.LBB1305_17:
	v_add_u32_e32 v0, v0, v1
	s_mov_b64 s[2:3], -1
.LBB1305_18:
	s_and_b64 exec, exec, s[2:3]
	s_cbranch_execz .LBB1305_20
; %bb.19:
	v_mov_b32_e32 v4, s10
	v_mov_b32_e32 v5, s11
	;; [unrolled: 1-line block ×3, first 2 shown]
	v_lshl_add_u64 v[0:1], v[0:1], 1, v[4:5]
	s_waitcnt vmcnt(0)
	global_store_short v[0:1], v2, off
.LBB1305_20:
	s_endpgm
	.section	.rodata,"a",@progbits
	.p2align	6, 0x0
	.amdhsa_kernel _ZN7rocprim17ROCPRIM_400000_NS6detail17trampoline_kernelINS0_14default_configENS1_38merge_sort_block_merge_config_selectorItNS0_10empty_typeEEEZZNS1_27merge_sort_block_merge_implIS3_N6thrust23THRUST_200600_302600_NS6detail15normal_iteratorINS9_10device_ptrItEEEEPS5_jNS1_19radix_merge_compareILb0ELb1EtNS0_19identity_decomposerEEEEE10hipError_tT0_T1_T2_jT3_P12ihipStream_tbPNSt15iterator_traitsISK_E10value_typeEPNSQ_ISL_E10value_typeEPSM_NS1_7vsmem_tEENKUlT_SK_SL_SM_E_clISE_PtSF_SF_EESJ_SZ_SK_SL_SM_EUlSZ_E1_NS1_11comp_targetILNS1_3genE5ELNS1_11target_archE942ELNS1_3gpuE9ELNS1_3repE0EEENS1_36merge_oddeven_config_static_selectorELNS0_4arch9wavefront6targetE1EEEvSL_
		.amdhsa_group_segment_fixed_size 0
		.amdhsa_private_segment_fixed_size 0
		.amdhsa_kernarg_size 48
		.amdhsa_user_sgpr_count 2
		.amdhsa_user_sgpr_dispatch_ptr 0
		.amdhsa_user_sgpr_queue_ptr 0
		.amdhsa_user_sgpr_kernarg_segment_ptr 1
		.amdhsa_user_sgpr_dispatch_id 0
		.amdhsa_user_sgpr_kernarg_preload_length 0
		.amdhsa_user_sgpr_kernarg_preload_offset 0
		.amdhsa_user_sgpr_private_segment_size 0
		.amdhsa_uses_dynamic_stack 0
		.amdhsa_enable_private_segment 0
		.amdhsa_system_sgpr_workgroup_id_x 1
		.amdhsa_system_sgpr_workgroup_id_y 0
		.amdhsa_system_sgpr_workgroup_id_z 0
		.amdhsa_system_sgpr_workgroup_info 0
		.amdhsa_system_vgpr_workitem_id 0
		.amdhsa_next_free_vgpr 9
		.amdhsa_next_free_sgpr 21
		.amdhsa_accum_offset 12
		.amdhsa_reserve_vcc 1
		.amdhsa_float_round_mode_32 0
		.amdhsa_float_round_mode_16_64 0
		.amdhsa_float_denorm_mode_32 3
		.amdhsa_float_denorm_mode_16_64 3
		.amdhsa_dx10_clamp 1
		.amdhsa_ieee_mode 1
		.amdhsa_fp16_overflow 0
		.amdhsa_tg_split 0
		.amdhsa_exception_fp_ieee_invalid_op 0
		.amdhsa_exception_fp_denorm_src 0
		.amdhsa_exception_fp_ieee_div_zero 0
		.amdhsa_exception_fp_ieee_overflow 0
		.amdhsa_exception_fp_ieee_underflow 0
		.amdhsa_exception_fp_ieee_inexact 0
		.amdhsa_exception_int_div_zero 0
	.end_amdhsa_kernel
	.section	.text._ZN7rocprim17ROCPRIM_400000_NS6detail17trampoline_kernelINS0_14default_configENS1_38merge_sort_block_merge_config_selectorItNS0_10empty_typeEEEZZNS1_27merge_sort_block_merge_implIS3_N6thrust23THRUST_200600_302600_NS6detail15normal_iteratorINS9_10device_ptrItEEEEPS5_jNS1_19radix_merge_compareILb0ELb1EtNS0_19identity_decomposerEEEEE10hipError_tT0_T1_T2_jT3_P12ihipStream_tbPNSt15iterator_traitsISK_E10value_typeEPNSQ_ISL_E10value_typeEPSM_NS1_7vsmem_tEENKUlT_SK_SL_SM_E_clISE_PtSF_SF_EESJ_SZ_SK_SL_SM_EUlSZ_E1_NS1_11comp_targetILNS1_3genE5ELNS1_11target_archE942ELNS1_3gpuE9ELNS1_3repE0EEENS1_36merge_oddeven_config_static_selectorELNS0_4arch9wavefront6targetE1EEEvSL_,"axG",@progbits,_ZN7rocprim17ROCPRIM_400000_NS6detail17trampoline_kernelINS0_14default_configENS1_38merge_sort_block_merge_config_selectorItNS0_10empty_typeEEEZZNS1_27merge_sort_block_merge_implIS3_N6thrust23THRUST_200600_302600_NS6detail15normal_iteratorINS9_10device_ptrItEEEEPS5_jNS1_19radix_merge_compareILb0ELb1EtNS0_19identity_decomposerEEEEE10hipError_tT0_T1_T2_jT3_P12ihipStream_tbPNSt15iterator_traitsISK_E10value_typeEPNSQ_ISL_E10value_typeEPSM_NS1_7vsmem_tEENKUlT_SK_SL_SM_E_clISE_PtSF_SF_EESJ_SZ_SK_SL_SM_EUlSZ_E1_NS1_11comp_targetILNS1_3genE5ELNS1_11target_archE942ELNS1_3gpuE9ELNS1_3repE0EEENS1_36merge_oddeven_config_static_selectorELNS0_4arch9wavefront6targetE1EEEvSL_,comdat
.Lfunc_end1305:
	.size	_ZN7rocprim17ROCPRIM_400000_NS6detail17trampoline_kernelINS0_14default_configENS1_38merge_sort_block_merge_config_selectorItNS0_10empty_typeEEEZZNS1_27merge_sort_block_merge_implIS3_N6thrust23THRUST_200600_302600_NS6detail15normal_iteratorINS9_10device_ptrItEEEEPS5_jNS1_19radix_merge_compareILb0ELb1EtNS0_19identity_decomposerEEEEE10hipError_tT0_T1_T2_jT3_P12ihipStream_tbPNSt15iterator_traitsISK_E10value_typeEPNSQ_ISL_E10value_typeEPSM_NS1_7vsmem_tEENKUlT_SK_SL_SM_E_clISE_PtSF_SF_EESJ_SZ_SK_SL_SM_EUlSZ_E1_NS1_11comp_targetILNS1_3genE5ELNS1_11target_archE942ELNS1_3gpuE9ELNS1_3repE0EEENS1_36merge_oddeven_config_static_selectorELNS0_4arch9wavefront6targetE1EEEvSL_, .Lfunc_end1305-_ZN7rocprim17ROCPRIM_400000_NS6detail17trampoline_kernelINS0_14default_configENS1_38merge_sort_block_merge_config_selectorItNS0_10empty_typeEEEZZNS1_27merge_sort_block_merge_implIS3_N6thrust23THRUST_200600_302600_NS6detail15normal_iteratorINS9_10device_ptrItEEEEPS5_jNS1_19radix_merge_compareILb0ELb1EtNS0_19identity_decomposerEEEEE10hipError_tT0_T1_T2_jT3_P12ihipStream_tbPNSt15iterator_traitsISK_E10value_typeEPNSQ_ISL_E10value_typeEPSM_NS1_7vsmem_tEENKUlT_SK_SL_SM_E_clISE_PtSF_SF_EESJ_SZ_SK_SL_SM_EUlSZ_E1_NS1_11comp_targetILNS1_3genE5ELNS1_11target_archE942ELNS1_3gpuE9ELNS1_3repE0EEENS1_36merge_oddeven_config_static_selectorELNS0_4arch9wavefront6targetE1EEEvSL_
                                        ; -- End function
	.section	.AMDGPU.csdata,"",@progbits
; Kernel info:
; codeLenInByte = 600
; NumSgprs: 27
; NumVgprs: 9
; NumAgprs: 0
; TotalNumVgprs: 9
; ScratchSize: 0
; MemoryBound: 0
; FloatMode: 240
; IeeeMode: 1
; LDSByteSize: 0 bytes/workgroup (compile time only)
; SGPRBlocks: 3
; VGPRBlocks: 1
; NumSGPRsForWavesPerEU: 27
; NumVGPRsForWavesPerEU: 9
; AccumOffset: 12
; Occupancy: 8
; WaveLimiterHint : 0
; COMPUTE_PGM_RSRC2:SCRATCH_EN: 0
; COMPUTE_PGM_RSRC2:USER_SGPR: 2
; COMPUTE_PGM_RSRC2:TRAP_HANDLER: 0
; COMPUTE_PGM_RSRC2:TGID_X_EN: 1
; COMPUTE_PGM_RSRC2:TGID_Y_EN: 0
; COMPUTE_PGM_RSRC2:TGID_Z_EN: 0
; COMPUTE_PGM_RSRC2:TIDIG_COMP_CNT: 0
; COMPUTE_PGM_RSRC3_GFX90A:ACCUM_OFFSET: 2
; COMPUTE_PGM_RSRC3_GFX90A:TG_SPLIT: 0
	.section	.text._ZN7rocprim17ROCPRIM_400000_NS6detail17trampoline_kernelINS0_14default_configENS1_38merge_sort_block_merge_config_selectorItNS0_10empty_typeEEEZZNS1_27merge_sort_block_merge_implIS3_N6thrust23THRUST_200600_302600_NS6detail15normal_iteratorINS9_10device_ptrItEEEEPS5_jNS1_19radix_merge_compareILb0ELb1EtNS0_19identity_decomposerEEEEE10hipError_tT0_T1_T2_jT3_P12ihipStream_tbPNSt15iterator_traitsISK_E10value_typeEPNSQ_ISL_E10value_typeEPSM_NS1_7vsmem_tEENKUlT_SK_SL_SM_E_clISE_PtSF_SF_EESJ_SZ_SK_SL_SM_EUlSZ_E1_NS1_11comp_targetILNS1_3genE4ELNS1_11target_archE910ELNS1_3gpuE8ELNS1_3repE0EEENS1_36merge_oddeven_config_static_selectorELNS0_4arch9wavefront6targetE1EEEvSL_,"axG",@progbits,_ZN7rocprim17ROCPRIM_400000_NS6detail17trampoline_kernelINS0_14default_configENS1_38merge_sort_block_merge_config_selectorItNS0_10empty_typeEEEZZNS1_27merge_sort_block_merge_implIS3_N6thrust23THRUST_200600_302600_NS6detail15normal_iteratorINS9_10device_ptrItEEEEPS5_jNS1_19radix_merge_compareILb0ELb1EtNS0_19identity_decomposerEEEEE10hipError_tT0_T1_T2_jT3_P12ihipStream_tbPNSt15iterator_traitsISK_E10value_typeEPNSQ_ISL_E10value_typeEPSM_NS1_7vsmem_tEENKUlT_SK_SL_SM_E_clISE_PtSF_SF_EESJ_SZ_SK_SL_SM_EUlSZ_E1_NS1_11comp_targetILNS1_3genE4ELNS1_11target_archE910ELNS1_3gpuE8ELNS1_3repE0EEENS1_36merge_oddeven_config_static_selectorELNS0_4arch9wavefront6targetE1EEEvSL_,comdat
	.protected	_ZN7rocprim17ROCPRIM_400000_NS6detail17trampoline_kernelINS0_14default_configENS1_38merge_sort_block_merge_config_selectorItNS0_10empty_typeEEEZZNS1_27merge_sort_block_merge_implIS3_N6thrust23THRUST_200600_302600_NS6detail15normal_iteratorINS9_10device_ptrItEEEEPS5_jNS1_19radix_merge_compareILb0ELb1EtNS0_19identity_decomposerEEEEE10hipError_tT0_T1_T2_jT3_P12ihipStream_tbPNSt15iterator_traitsISK_E10value_typeEPNSQ_ISL_E10value_typeEPSM_NS1_7vsmem_tEENKUlT_SK_SL_SM_E_clISE_PtSF_SF_EESJ_SZ_SK_SL_SM_EUlSZ_E1_NS1_11comp_targetILNS1_3genE4ELNS1_11target_archE910ELNS1_3gpuE8ELNS1_3repE0EEENS1_36merge_oddeven_config_static_selectorELNS0_4arch9wavefront6targetE1EEEvSL_ ; -- Begin function _ZN7rocprim17ROCPRIM_400000_NS6detail17trampoline_kernelINS0_14default_configENS1_38merge_sort_block_merge_config_selectorItNS0_10empty_typeEEEZZNS1_27merge_sort_block_merge_implIS3_N6thrust23THRUST_200600_302600_NS6detail15normal_iteratorINS9_10device_ptrItEEEEPS5_jNS1_19radix_merge_compareILb0ELb1EtNS0_19identity_decomposerEEEEE10hipError_tT0_T1_T2_jT3_P12ihipStream_tbPNSt15iterator_traitsISK_E10value_typeEPNSQ_ISL_E10value_typeEPSM_NS1_7vsmem_tEENKUlT_SK_SL_SM_E_clISE_PtSF_SF_EESJ_SZ_SK_SL_SM_EUlSZ_E1_NS1_11comp_targetILNS1_3genE4ELNS1_11target_archE910ELNS1_3gpuE8ELNS1_3repE0EEENS1_36merge_oddeven_config_static_selectorELNS0_4arch9wavefront6targetE1EEEvSL_
	.globl	_ZN7rocprim17ROCPRIM_400000_NS6detail17trampoline_kernelINS0_14default_configENS1_38merge_sort_block_merge_config_selectorItNS0_10empty_typeEEEZZNS1_27merge_sort_block_merge_implIS3_N6thrust23THRUST_200600_302600_NS6detail15normal_iteratorINS9_10device_ptrItEEEEPS5_jNS1_19radix_merge_compareILb0ELb1EtNS0_19identity_decomposerEEEEE10hipError_tT0_T1_T2_jT3_P12ihipStream_tbPNSt15iterator_traitsISK_E10value_typeEPNSQ_ISL_E10value_typeEPSM_NS1_7vsmem_tEENKUlT_SK_SL_SM_E_clISE_PtSF_SF_EESJ_SZ_SK_SL_SM_EUlSZ_E1_NS1_11comp_targetILNS1_3genE4ELNS1_11target_archE910ELNS1_3gpuE8ELNS1_3repE0EEENS1_36merge_oddeven_config_static_selectorELNS0_4arch9wavefront6targetE1EEEvSL_
	.p2align	8
	.type	_ZN7rocprim17ROCPRIM_400000_NS6detail17trampoline_kernelINS0_14default_configENS1_38merge_sort_block_merge_config_selectorItNS0_10empty_typeEEEZZNS1_27merge_sort_block_merge_implIS3_N6thrust23THRUST_200600_302600_NS6detail15normal_iteratorINS9_10device_ptrItEEEEPS5_jNS1_19radix_merge_compareILb0ELb1EtNS0_19identity_decomposerEEEEE10hipError_tT0_T1_T2_jT3_P12ihipStream_tbPNSt15iterator_traitsISK_E10value_typeEPNSQ_ISL_E10value_typeEPSM_NS1_7vsmem_tEENKUlT_SK_SL_SM_E_clISE_PtSF_SF_EESJ_SZ_SK_SL_SM_EUlSZ_E1_NS1_11comp_targetILNS1_3genE4ELNS1_11target_archE910ELNS1_3gpuE8ELNS1_3repE0EEENS1_36merge_oddeven_config_static_selectorELNS0_4arch9wavefront6targetE1EEEvSL_,@function
_ZN7rocprim17ROCPRIM_400000_NS6detail17trampoline_kernelINS0_14default_configENS1_38merge_sort_block_merge_config_selectorItNS0_10empty_typeEEEZZNS1_27merge_sort_block_merge_implIS3_N6thrust23THRUST_200600_302600_NS6detail15normal_iteratorINS9_10device_ptrItEEEEPS5_jNS1_19radix_merge_compareILb0ELb1EtNS0_19identity_decomposerEEEEE10hipError_tT0_T1_T2_jT3_P12ihipStream_tbPNSt15iterator_traitsISK_E10value_typeEPNSQ_ISL_E10value_typeEPSM_NS1_7vsmem_tEENKUlT_SK_SL_SM_E_clISE_PtSF_SF_EESJ_SZ_SK_SL_SM_EUlSZ_E1_NS1_11comp_targetILNS1_3genE4ELNS1_11target_archE910ELNS1_3gpuE8ELNS1_3repE0EEENS1_36merge_oddeven_config_static_selectorELNS0_4arch9wavefront6targetE1EEEvSL_: ; @_ZN7rocprim17ROCPRIM_400000_NS6detail17trampoline_kernelINS0_14default_configENS1_38merge_sort_block_merge_config_selectorItNS0_10empty_typeEEEZZNS1_27merge_sort_block_merge_implIS3_N6thrust23THRUST_200600_302600_NS6detail15normal_iteratorINS9_10device_ptrItEEEEPS5_jNS1_19radix_merge_compareILb0ELb1EtNS0_19identity_decomposerEEEEE10hipError_tT0_T1_T2_jT3_P12ihipStream_tbPNSt15iterator_traitsISK_E10value_typeEPNSQ_ISL_E10value_typeEPSM_NS1_7vsmem_tEENKUlT_SK_SL_SM_E_clISE_PtSF_SF_EESJ_SZ_SK_SL_SM_EUlSZ_E1_NS1_11comp_targetILNS1_3genE4ELNS1_11target_archE910ELNS1_3gpuE8ELNS1_3repE0EEENS1_36merge_oddeven_config_static_selectorELNS0_4arch9wavefront6targetE1EEEvSL_
; %bb.0:
	.section	.rodata,"a",@progbits
	.p2align	6, 0x0
	.amdhsa_kernel _ZN7rocprim17ROCPRIM_400000_NS6detail17trampoline_kernelINS0_14default_configENS1_38merge_sort_block_merge_config_selectorItNS0_10empty_typeEEEZZNS1_27merge_sort_block_merge_implIS3_N6thrust23THRUST_200600_302600_NS6detail15normal_iteratorINS9_10device_ptrItEEEEPS5_jNS1_19radix_merge_compareILb0ELb1EtNS0_19identity_decomposerEEEEE10hipError_tT0_T1_T2_jT3_P12ihipStream_tbPNSt15iterator_traitsISK_E10value_typeEPNSQ_ISL_E10value_typeEPSM_NS1_7vsmem_tEENKUlT_SK_SL_SM_E_clISE_PtSF_SF_EESJ_SZ_SK_SL_SM_EUlSZ_E1_NS1_11comp_targetILNS1_3genE4ELNS1_11target_archE910ELNS1_3gpuE8ELNS1_3repE0EEENS1_36merge_oddeven_config_static_selectorELNS0_4arch9wavefront6targetE1EEEvSL_
		.amdhsa_group_segment_fixed_size 0
		.amdhsa_private_segment_fixed_size 0
		.amdhsa_kernarg_size 48
		.amdhsa_user_sgpr_count 2
		.amdhsa_user_sgpr_dispatch_ptr 0
		.amdhsa_user_sgpr_queue_ptr 0
		.amdhsa_user_sgpr_kernarg_segment_ptr 1
		.amdhsa_user_sgpr_dispatch_id 0
		.amdhsa_user_sgpr_kernarg_preload_length 0
		.amdhsa_user_sgpr_kernarg_preload_offset 0
		.amdhsa_user_sgpr_private_segment_size 0
		.amdhsa_uses_dynamic_stack 0
		.amdhsa_enable_private_segment 0
		.amdhsa_system_sgpr_workgroup_id_x 1
		.amdhsa_system_sgpr_workgroup_id_y 0
		.amdhsa_system_sgpr_workgroup_id_z 0
		.amdhsa_system_sgpr_workgroup_info 0
		.amdhsa_system_vgpr_workitem_id 0
		.amdhsa_next_free_vgpr 1
		.amdhsa_next_free_sgpr 0
		.amdhsa_accum_offset 4
		.amdhsa_reserve_vcc 0
		.amdhsa_float_round_mode_32 0
		.amdhsa_float_round_mode_16_64 0
		.amdhsa_float_denorm_mode_32 3
		.amdhsa_float_denorm_mode_16_64 3
		.amdhsa_dx10_clamp 1
		.amdhsa_ieee_mode 1
		.amdhsa_fp16_overflow 0
		.amdhsa_tg_split 0
		.amdhsa_exception_fp_ieee_invalid_op 0
		.amdhsa_exception_fp_denorm_src 0
		.amdhsa_exception_fp_ieee_div_zero 0
		.amdhsa_exception_fp_ieee_overflow 0
		.amdhsa_exception_fp_ieee_underflow 0
		.amdhsa_exception_fp_ieee_inexact 0
		.amdhsa_exception_int_div_zero 0
	.end_amdhsa_kernel
	.section	.text._ZN7rocprim17ROCPRIM_400000_NS6detail17trampoline_kernelINS0_14default_configENS1_38merge_sort_block_merge_config_selectorItNS0_10empty_typeEEEZZNS1_27merge_sort_block_merge_implIS3_N6thrust23THRUST_200600_302600_NS6detail15normal_iteratorINS9_10device_ptrItEEEEPS5_jNS1_19radix_merge_compareILb0ELb1EtNS0_19identity_decomposerEEEEE10hipError_tT0_T1_T2_jT3_P12ihipStream_tbPNSt15iterator_traitsISK_E10value_typeEPNSQ_ISL_E10value_typeEPSM_NS1_7vsmem_tEENKUlT_SK_SL_SM_E_clISE_PtSF_SF_EESJ_SZ_SK_SL_SM_EUlSZ_E1_NS1_11comp_targetILNS1_3genE4ELNS1_11target_archE910ELNS1_3gpuE8ELNS1_3repE0EEENS1_36merge_oddeven_config_static_selectorELNS0_4arch9wavefront6targetE1EEEvSL_,"axG",@progbits,_ZN7rocprim17ROCPRIM_400000_NS6detail17trampoline_kernelINS0_14default_configENS1_38merge_sort_block_merge_config_selectorItNS0_10empty_typeEEEZZNS1_27merge_sort_block_merge_implIS3_N6thrust23THRUST_200600_302600_NS6detail15normal_iteratorINS9_10device_ptrItEEEEPS5_jNS1_19radix_merge_compareILb0ELb1EtNS0_19identity_decomposerEEEEE10hipError_tT0_T1_T2_jT3_P12ihipStream_tbPNSt15iterator_traitsISK_E10value_typeEPNSQ_ISL_E10value_typeEPSM_NS1_7vsmem_tEENKUlT_SK_SL_SM_E_clISE_PtSF_SF_EESJ_SZ_SK_SL_SM_EUlSZ_E1_NS1_11comp_targetILNS1_3genE4ELNS1_11target_archE910ELNS1_3gpuE8ELNS1_3repE0EEENS1_36merge_oddeven_config_static_selectorELNS0_4arch9wavefront6targetE1EEEvSL_,comdat
.Lfunc_end1306:
	.size	_ZN7rocprim17ROCPRIM_400000_NS6detail17trampoline_kernelINS0_14default_configENS1_38merge_sort_block_merge_config_selectorItNS0_10empty_typeEEEZZNS1_27merge_sort_block_merge_implIS3_N6thrust23THRUST_200600_302600_NS6detail15normal_iteratorINS9_10device_ptrItEEEEPS5_jNS1_19radix_merge_compareILb0ELb1EtNS0_19identity_decomposerEEEEE10hipError_tT0_T1_T2_jT3_P12ihipStream_tbPNSt15iterator_traitsISK_E10value_typeEPNSQ_ISL_E10value_typeEPSM_NS1_7vsmem_tEENKUlT_SK_SL_SM_E_clISE_PtSF_SF_EESJ_SZ_SK_SL_SM_EUlSZ_E1_NS1_11comp_targetILNS1_3genE4ELNS1_11target_archE910ELNS1_3gpuE8ELNS1_3repE0EEENS1_36merge_oddeven_config_static_selectorELNS0_4arch9wavefront6targetE1EEEvSL_, .Lfunc_end1306-_ZN7rocprim17ROCPRIM_400000_NS6detail17trampoline_kernelINS0_14default_configENS1_38merge_sort_block_merge_config_selectorItNS0_10empty_typeEEEZZNS1_27merge_sort_block_merge_implIS3_N6thrust23THRUST_200600_302600_NS6detail15normal_iteratorINS9_10device_ptrItEEEEPS5_jNS1_19radix_merge_compareILb0ELb1EtNS0_19identity_decomposerEEEEE10hipError_tT0_T1_T2_jT3_P12ihipStream_tbPNSt15iterator_traitsISK_E10value_typeEPNSQ_ISL_E10value_typeEPSM_NS1_7vsmem_tEENKUlT_SK_SL_SM_E_clISE_PtSF_SF_EESJ_SZ_SK_SL_SM_EUlSZ_E1_NS1_11comp_targetILNS1_3genE4ELNS1_11target_archE910ELNS1_3gpuE8ELNS1_3repE0EEENS1_36merge_oddeven_config_static_selectorELNS0_4arch9wavefront6targetE1EEEvSL_
                                        ; -- End function
	.section	.AMDGPU.csdata,"",@progbits
; Kernel info:
; codeLenInByte = 0
; NumSgprs: 6
; NumVgprs: 0
; NumAgprs: 0
; TotalNumVgprs: 0
; ScratchSize: 0
; MemoryBound: 0
; FloatMode: 240
; IeeeMode: 1
; LDSByteSize: 0 bytes/workgroup (compile time only)
; SGPRBlocks: 0
; VGPRBlocks: 0
; NumSGPRsForWavesPerEU: 6
; NumVGPRsForWavesPerEU: 1
; AccumOffset: 4
; Occupancy: 8
; WaveLimiterHint : 0
; COMPUTE_PGM_RSRC2:SCRATCH_EN: 0
; COMPUTE_PGM_RSRC2:USER_SGPR: 2
; COMPUTE_PGM_RSRC2:TRAP_HANDLER: 0
; COMPUTE_PGM_RSRC2:TGID_X_EN: 1
; COMPUTE_PGM_RSRC2:TGID_Y_EN: 0
; COMPUTE_PGM_RSRC2:TGID_Z_EN: 0
; COMPUTE_PGM_RSRC2:TIDIG_COMP_CNT: 0
; COMPUTE_PGM_RSRC3_GFX90A:ACCUM_OFFSET: 0
; COMPUTE_PGM_RSRC3_GFX90A:TG_SPLIT: 0
	.section	.text._ZN7rocprim17ROCPRIM_400000_NS6detail17trampoline_kernelINS0_14default_configENS1_38merge_sort_block_merge_config_selectorItNS0_10empty_typeEEEZZNS1_27merge_sort_block_merge_implIS3_N6thrust23THRUST_200600_302600_NS6detail15normal_iteratorINS9_10device_ptrItEEEEPS5_jNS1_19radix_merge_compareILb0ELb1EtNS0_19identity_decomposerEEEEE10hipError_tT0_T1_T2_jT3_P12ihipStream_tbPNSt15iterator_traitsISK_E10value_typeEPNSQ_ISL_E10value_typeEPSM_NS1_7vsmem_tEENKUlT_SK_SL_SM_E_clISE_PtSF_SF_EESJ_SZ_SK_SL_SM_EUlSZ_E1_NS1_11comp_targetILNS1_3genE3ELNS1_11target_archE908ELNS1_3gpuE7ELNS1_3repE0EEENS1_36merge_oddeven_config_static_selectorELNS0_4arch9wavefront6targetE1EEEvSL_,"axG",@progbits,_ZN7rocprim17ROCPRIM_400000_NS6detail17trampoline_kernelINS0_14default_configENS1_38merge_sort_block_merge_config_selectorItNS0_10empty_typeEEEZZNS1_27merge_sort_block_merge_implIS3_N6thrust23THRUST_200600_302600_NS6detail15normal_iteratorINS9_10device_ptrItEEEEPS5_jNS1_19radix_merge_compareILb0ELb1EtNS0_19identity_decomposerEEEEE10hipError_tT0_T1_T2_jT3_P12ihipStream_tbPNSt15iterator_traitsISK_E10value_typeEPNSQ_ISL_E10value_typeEPSM_NS1_7vsmem_tEENKUlT_SK_SL_SM_E_clISE_PtSF_SF_EESJ_SZ_SK_SL_SM_EUlSZ_E1_NS1_11comp_targetILNS1_3genE3ELNS1_11target_archE908ELNS1_3gpuE7ELNS1_3repE0EEENS1_36merge_oddeven_config_static_selectorELNS0_4arch9wavefront6targetE1EEEvSL_,comdat
	.protected	_ZN7rocprim17ROCPRIM_400000_NS6detail17trampoline_kernelINS0_14default_configENS1_38merge_sort_block_merge_config_selectorItNS0_10empty_typeEEEZZNS1_27merge_sort_block_merge_implIS3_N6thrust23THRUST_200600_302600_NS6detail15normal_iteratorINS9_10device_ptrItEEEEPS5_jNS1_19radix_merge_compareILb0ELb1EtNS0_19identity_decomposerEEEEE10hipError_tT0_T1_T2_jT3_P12ihipStream_tbPNSt15iterator_traitsISK_E10value_typeEPNSQ_ISL_E10value_typeEPSM_NS1_7vsmem_tEENKUlT_SK_SL_SM_E_clISE_PtSF_SF_EESJ_SZ_SK_SL_SM_EUlSZ_E1_NS1_11comp_targetILNS1_3genE3ELNS1_11target_archE908ELNS1_3gpuE7ELNS1_3repE0EEENS1_36merge_oddeven_config_static_selectorELNS0_4arch9wavefront6targetE1EEEvSL_ ; -- Begin function _ZN7rocprim17ROCPRIM_400000_NS6detail17trampoline_kernelINS0_14default_configENS1_38merge_sort_block_merge_config_selectorItNS0_10empty_typeEEEZZNS1_27merge_sort_block_merge_implIS3_N6thrust23THRUST_200600_302600_NS6detail15normal_iteratorINS9_10device_ptrItEEEEPS5_jNS1_19radix_merge_compareILb0ELb1EtNS0_19identity_decomposerEEEEE10hipError_tT0_T1_T2_jT3_P12ihipStream_tbPNSt15iterator_traitsISK_E10value_typeEPNSQ_ISL_E10value_typeEPSM_NS1_7vsmem_tEENKUlT_SK_SL_SM_E_clISE_PtSF_SF_EESJ_SZ_SK_SL_SM_EUlSZ_E1_NS1_11comp_targetILNS1_3genE3ELNS1_11target_archE908ELNS1_3gpuE7ELNS1_3repE0EEENS1_36merge_oddeven_config_static_selectorELNS0_4arch9wavefront6targetE1EEEvSL_
	.globl	_ZN7rocprim17ROCPRIM_400000_NS6detail17trampoline_kernelINS0_14default_configENS1_38merge_sort_block_merge_config_selectorItNS0_10empty_typeEEEZZNS1_27merge_sort_block_merge_implIS3_N6thrust23THRUST_200600_302600_NS6detail15normal_iteratorINS9_10device_ptrItEEEEPS5_jNS1_19radix_merge_compareILb0ELb1EtNS0_19identity_decomposerEEEEE10hipError_tT0_T1_T2_jT3_P12ihipStream_tbPNSt15iterator_traitsISK_E10value_typeEPNSQ_ISL_E10value_typeEPSM_NS1_7vsmem_tEENKUlT_SK_SL_SM_E_clISE_PtSF_SF_EESJ_SZ_SK_SL_SM_EUlSZ_E1_NS1_11comp_targetILNS1_3genE3ELNS1_11target_archE908ELNS1_3gpuE7ELNS1_3repE0EEENS1_36merge_oddeven_config_static_selectorELNS0_4arch9wavefront6targetE1EEEvSL_
	.p2align	8
	.type	_ZN7rocprim17ROCPRIM_400000_NS6detail17trampoline_kernelINS0_14default_configENS1_38merge_sort_block_merge_config_selectorItNS0_10empty_typeEEEZZNS1_27merge_sort_block_merge_implIS3_N6thrust23THRUST_200600_302600_NS6detail15normal_iteratorINS9_10device_ptrItEEEEPS5_jNS1_19radix_merge_compareILb0ELb1EtNS0_19identity_decomposerEEEEE10hipError_tT0_T1_T2_jT3_P12ihipStream_tbPNSt15iterator_traitsISK_E10value_typeEPNSQ_ISL_E10value_typeEPSM_NS1_7vsmem_tEENKUlT_SK_SL_SM_E_clISE_PtSF_SF_EESJ_SZ_SK_SL_SM_EUlSZ_E1_NS1_11comp_targetILNS1_3genE3ELNS1_11target_archE908ELNS1_3gpuE7ELNS1_3repE0EEENS1_36merge_oddeven_config_static_selectorELNS0_4arch9wavefront6targetE1EEEvSL_,@function
_ZN7rocprim17ROCPRIM_400000_NS6detail17trampoline_kernelINS0_14default_configENS1_38merge_sort_block_merge_config_selectorItNS0_10empty_typeEEEZZNS1_27merge_sort_block_merge_implIS3_N6thrust23THRUST_200600_302600_NS6detail15normal_iteratorINS9_10device_ptrItEEEEPS5_jNS1_19radix_merge_compareILb0ELb1EtNS0_19identity_decomposerEEEEE10hipError_tT0_T1_T2_jT3_P12ihipStream_tbPNSt15iterator_traitsISK_E10value_typeEPNSQ_ISL_E10value_typeEPSM_NS1_7vsmem_tEENKUlT_SK_SL_SM_E_clISE_PtSF_SF_EESJ_SZ_SK_SL_SM_EUlSZ_E1_NS1_11comp_targetILNS1_3genE3ELNS1_11target_archE908ELNS1_3gpuE7ELNS1_3repE0EEENS1_36merge_oddeven_config_static_selectorELNS0_4arch9wavefront6targetE1EEEvSL_: ; @_ZN7rocprim17ROCPRIM_400000_NS6detail17trampoline_kernelINS0_14default_configENS1_38merge_sort_block_merge_config_selectorItNS0_10empty_typeEEEZZNS1_27merge_sort_block_merge_implIS3_N6thrust23THRUST_200600_302600_NS6detail15normal_iteratorINS9_10device_ptrItEEEEPS5_jNS1_19radix_merge_compareILb0ELb1EtNS0_19identity_decomposerEEEEE10hipError_tT0_T1_T2_jT3_P12ihipStream_tbPNSt15iterator_traitsISK_E10value_typeEPNSQ_ISL_E10value_typeEPSM_NS1_7vsmem_tEENKUlT_SK_SL_SM_E_clISE_PtSF_SF_EESJ_SZ_SK_SL_SM_EUlSZ_E1_NS1_11comp_targetILNS1_3genE3ELNS1_11target_archE908ELNS1_3gpuE7ELNS1_3repE0EEENS1_36merge_oddeven_config_static_selectorELNS0_4arch9wavefront6targetE1EEEvSL_
; %bb.0:
	.section	.rodata,"a",@progbits
	.p2align	6, 0x0
	.amdhsa_kernel _ZN7rocprim17ROCPRIM_400000_NS6detail17trampoline_kernelINS0_14default_configENS1_38merge_sort_block_merge_config_selectorItNS0_10empty_typeEEEZZNS1_27merge_sort_block_merge_implIS3_N6thrust23THRUST_200600_302600_NS6detail15normal_iteratorINS9_10device_ptrItEEEEPS5_jNS1_19radix_merge_compareILb0ELb1EtNS0_19identity_decomposerEEEEE10hipError_tT0_T1_T2_jT3_P12ihipStream_tbPNSt15iterator_traitsISK_E10value_typeEPNSQ_ISL_E10value_typeEPSM_NS1_7vsmem_tEENKUlT_SK_SL_SM_E_clISE_PtSF_SF_EESJ_SZ_SK_SL_SM_EUlSZ_E1_NS1_11comp_targetILNS1_3genE3ELNS1_11target_archE908ELNS1_3gpuE7ELNS1_3repE0EEENS1_36merge_oddeven_config_static_selectorELNS0_4arch9wavefront6targetE1EEEvSL_
		.amdhsa_group_segment_fixed_size 0
		.amdhsa_private_segment_fixed_size 0
		.amdhsa_kernarg_size 48
		.amdhsa_user_sgpr_count 2
		.amdhsa_user_sgpr_dispatch_ptr 0
		.amdhsa_user_sgpr_queue_ptr 0
		.amdhsa_user_sgpr_kernarg_segment_ptr 1
		.amdhsa_user_sgpr_dispatch_id 0
		.amdhsa_user_sgpr_kernarg_preload_length 0
		.amdhsa_user_sgpr_kernarg_preload_offset 0
		.amdhsa_user_sgpr_private_segment_size 0
		.amdhsa_uses_dynamic_stack 0
		.amdhsa_enable_private_segment 0
		.amdhsa_system_sgpr_workgroup_id_x 1
		.amdhsa_system_sgpr_workgroup_id_y 0
		.amdhsa_system_sgpr_workgroup_id_z 0
		.amdhsa_system_sgpr_workgroup_info 0
		.amdhsa_system_vgpr_workitem_id 0
		.amdhsa_next_free_vgpr 1
		.amdhsa_next_free_sgpr 0
		.amdhsa_accum_offset 4
		.amdhsa_reserve_vcc 0
		.amdhsa_float_round_mode_32 0
		.amdhsa_float_round_mode_16_64 0
		.amdhsa_float_denorm_mode_32 3
		.amdhsa_float_denorm_mode_16_64 3
		.amdhsa_dx10_clamp 1
		.amdhsa_ieee_mode 1
		.amdhsa_fp16_overflow 0
		.amdhsa_tg_split 0
		.amdhsa_exception_fp_ieee_invalid_op 0
		.amdhsa_exception_fp_denorm_src 0
		.amdhsa_exception_fp_ieee_div_zero 0
		.amdhsa_exception_fp_ieee_overflow 0
		.amdhsa_exception_fp_ieee_underflow 0
		.amdhsa_exception_fp_ieee_inexact 0
		.amdhsa_exception_int_div_zero 0
	.end_amdhsa_kernel
	.section	.text._ZN7rocprim17ROCPRIM_400000_NS6detail17trampoline_kernelINS0_14default_configENS1_38merge_sort_block_merge_config_selectorItNS0_10empty_typeEEEZZNS1_27merge_sort_block_merge_implIS3_N6thrust23THRUST_200600_302600_NS6detail15normal_iteratorINS9_10device_ptrItEEEEPS5_jNS1_19radix_merge_compareILb0ELb1EtNS0_19identity_decomposerEEEEE10hipError_tT0_T1_T2_jT3_P12ihipStream_tbPNSt15iterator_traitsISK_E10value_typeEPNSQ_ISL_E10value_typeEPSM_NS1_7vsmem_tEENKUlT_SK_SL_SM_E_clISE_PtSF_SF_EESJ_SZ_SK_SL_SM_EUlSZ_E1_NS1_11comp_targetILNS1_3genE3ELNS1_11target_archE908ELNS1_3gpuE7ELNS1_3repE0EEENS1_36merge_oddeven_config_static_selectorELNS0_4arch9wavefront6targetE1EEEvSL_,"axG",@progbits,_ZN7rocprim17ROCPRIM_400000_NS6detail17trampoline_kernelINS0_14default_configENS1_38merge_sort_block_merge_config_selectorItNS0_10empty_typeEEEZZNS1_27merge_sort_block_merge_implIS3_N6thrust23THRUST_200600_302600_NS6detail15normal_iteratorINS9_10device_ptrItEEEEPS5_jNS1_19radix_merge_compareILb0ELb1EtNS0_19identity_decomposerEEEEE10hipError_tT0_T1_T2_jT3_P12ihipStream_tbPNSt15iterator_traitsISK_E10value_typeEPNSQ_ISL_E10value_typeEPSM_NS1_7vsmem_tEENKUlT_SK_SL_SM_E_clISE_PtSF_SF_EESJ_SZ_SK_SL_SM_EUlSZ_E1_NS1_11comp_targetILNS1_3genE3ELNS1_11target_archE908ELNS1_3gpuE7ELNS1_3repE0EEENS1_36merge_oddeven_config_static_selectorELNS0_4arch9wavefront6targetE1EEEvSL_,comdat
.Lfunc_end1307:
	.size	_ZN7rocprim17ROCPRIM_400000_NS6detail17trampoline_kernelINS0_14default_configENS1_38merge_sort_block_merge_config_selectorItNS0_10empty_typeEEEZZNS1_27merge_sort_block_merge_implIS3_N6thrust23THRUST_200600_302600_NS6detail15normal_iteratorINS9_10device_ptrItEEEEPS5_jNS1_19radix_merge_compareILb0ELb1EtNS0_19identity_decomposerEEEEE10hipError_tT0_T1_T2_jT3_P12ihipStream_tbPNSt15iterator_traitsISK_E10value_typeEPNSQ_ISL_E10value_typeEPSM_NS1_7vsmem_tEENKUlT_SK_SL_SM_E_clISE_PtSF_SF_EESJ_SZ_SK_SL_SM_EUlSZ_E1_NS1_11comp_targetILNS1_3genE3ELNS1_11target_archE908ELNS1_3gpuE7ELNS1_3repE0EEENS1_36merge_oddeven_config_static_selectorELNS0_4arch9wavefront6targetE1EEEvSL_, .Lfunc_end1307-_ZN7rocprim17ROCPRIM_400000_NS6detail17trampoline_kernelINS0_14default_configENS1_38merge_sort_block_merge_config_selectorItNS0_10empty_typeEEEZZNS1_27merge_sort_block_merge_implIS3_N6thrust23THRUST_200600_302600_NS6detail15normal_iteratorINS9_10device_ptrItEEEEPS5_jNS1_19radix_merge_compareILb0ELb1EtNS0_19identity_decomposerEEEEE10hipError_tT0_T1_T2_jT3_P12ihipStream_tbPNSt15iterator_traitsISK_E10value_typeEPNSQ_ISL_E10value_typeEPSM_NS1_7vsmem_tEENKUlT_SK_SL_SM_E_clISE_PtSF_SF_EESJ_SZ_SK_SL_SM_EUlSZ_E1_NS1_11comp_targetILNS1_3genE3ELNS1_11target_archE908ELNS1_3gpuE7ELNS1_3repE0EEENS1_36merge_oddeven_config_static_selectorELNS0_4arch9wavefront6targetE1EEEvSL_
                                        ; -- End function
	.section	.AMDGPU.csdata,"",@progbits
; Kernel info:
; codeLenInByte = 0
; NumSgprs: 6
; NumVgprs: 0
; NumAgprs: 0
; TotalNumVgprs: 0
; ScratchSize: 0
; MemoryBound: 0
; FloatMode: 240
; IeeeMode: 1
; LDSByteSize: 0 bytes/workgroup (compile time only)
; SGPRBlocks: 0
; VGPRBlocks: 0
; NumSGPRsForWavesPerEU: 6
; NumVGPRsForWavesPerEU: 1
; AccumOffset: 4
; Occupancy: 8
; WaveLimiterHint : 0
; COMPUTE_PGM_RSRC2:SCRATCH_EN: 0
; COMPUTE_PGM_RSRC2:USER_SGPR: 2
; COMPUTE_PGM_RSRC2:TRAP_HANDLER: 0
; COMPUTE_PGM_RSRC2:TGID_X_EN: 1
; COMPUTE_PGM_RSRC2:TGID_Y_EN: 0
; COMPUTE_PGM_RSRC2:TGID_Z_EN: 0
; COMPUTE_PGM_RSRC2:TIDIG_COMP_CNT: 0
; COMPUTE_PGM_RSRC3_GFX90A:ACCUM_OFFSET: 0
; COMPUTE_PGM_RSRC3_GFX90A:TG_SPLIT: 0
	.section	.text._ZN7rocprim17ROCPRIM_400000_NS6detail17trampoline_kernelINS0_14default_configENS1_38merge_sort_block_merge_config_selectorItNS0_10empty_typeEEEZZNS1_27merge_sort_block_merge_implIS3_N6thrust23THRUST_200600_302600_NS6detail15normal_iteratorINS9_10device_ptrItEEEEPS5_jNS1_19radix_merge_compareILb0ELb1EtNS0_19identity_decomposerEEEEE10hipError_tT0_T1_T2_jT3_P12ihipStream_tbPNSt15iterator_traitsISK_E10value_typeEPNSQ_ISL_E10value_typeEPSM_NS1_7vsmem_tEENKUlT_SK_SL_SM_E_clISE_PtSF_SF_EESJ_SZ_SK_SL_SM_EUlSZ_E1_NS1_11comp_targetILNS1_3genE2ELNS1_11target_archE906ELNS1_3gpuE6ELNS1_3repE0EEENS1_36merge_oddeven_config_static_selectorELNS0_4arch9wavefront6targetE1EEEvSL_,"axG",@progbits,_ZN7rocprim17ROCPRIM_400000_NS6detail17trampoline_kernelINS0_14default_configENS1_38merge_sort_block_merge_config_selectorItNS0_10empty_typeEEEZZNS1_27merge_sort_block_merge_implIS3_N6thrust23THRUST_200600_302600_NS6detail15normal_iteratorINS9_10device_ptrItEEEEPS5_jNS1_19radix_merge_compareILb0ELb1EtNS0_19identity_decomposerEEEEE10hipError_tT0_T1_T2_jT3_P12ihipStream_tbPNSt15iterator_traitsISK_E10value_typeEPNSQ_ISL_E10value_typeEPSM_NS1_7vsmem_tEENKUlT_SK_SL_SM_E_clISE_PtSF_SF_EESJ_SZ_SK_SL_SM_EUlSZ_E1_NS1_11comp_targetILNS1_3genE2ELNS1_11target_archE906ELNS1_3gpuE6ELNS1_3repE0EEENS1_36merge_oddeven_config_static_selectorELNS0_4arch9wavefront6targetE1EEEvSL_,comdat
	.protected	_ZN7rocprim17ROCPRIM_400000_NS6detail17trampoline_kernelINS0_14default_configENS1_38merge_sort_block_merge_config_selectorItNS0_10empty_typeEEEZZNS1_27merge_sort_block_merge_implIS3_N6thrust23THRUST_200600_302600_NS6detail15normal_iteratorINS9_10device_ptrItEEEEPS5_jNS1_19radix_merge_compareILb0ELb1EtNS0_19identity_decomposerEEEEE10hipError_tT0_T1_T2_jT3_P12ihipStream_tbPNSt15iterator_traitsISK_E10value_typeEPNSQ_ISL_E10value_typeEPSM_NS1_7vsmem_tEENKUlT_SK_SL_SM_E_clISE_PtSF_SF_EESJ_SZ_SK_SL_SM_EUlSZ_E1_NS1_11comp_targetILNS1_3genE2ELNS1_11target_archE906ELNS1_3gpuE6ELNS1_3repE0EEENS1_36merge_oddeven_config_static_selectorELNS0_4arch9wavefront6targetE1EEEvSL_ ; -- Begin function _ZN7rocprim17ROCPRIM_400000_NS6detail17trampoline_kernelINS0_14default_configENS1_38merge_sort_block_merge_config_selectorItNS0_10empty_typeEEEZZNS1_27merge_sort_block_merge_implIS3_N6thrust23THRUST_200600_302600_NS6detail15normal_iteratorINS9_10device_ptrItEEEEPS5_jNS1_19radix_merge_compareILb0ELb1EtNS0_19identity_decomposerEEEEE10hipError_tT0_T1_T2_jT3_P12ihipStream_tbPNSt15iterator_traitsISK_E10value_typeEPNSQ_ISL_E10value_typeEPSM_NS1_7vsmem_tEENKUlT_SK_SL_SM_E_clISE_PtSF_SF_EESJ_SZ_SK_SL_SM_EUlSZ_E1_NS1_11comp_targetILNS1_3genE2ELNS1_11target_archE906ELNS1_3gpuE6ELNS1_3repE0EEENS1_36merge_oddeven_config_static_selectorELNS0_4arch9wavefront6targetE1EEEvSL_
	.globl	_ZN7rocprim17ROCPRIM_400000_NS6detail17trampoline_kernelINS0_14default_configENS1_38merge_sort_block_merge_config_selectorItNS0_10empty_typeEEEZZNS1_27merge_sort_block_merge_implIS3_N6thrust23THRUST_200600_302600_NS6detail15normal_iteratorINS9_10device_ptrItEEEEPS5_jNS1_19radix_merge_compareILb0ELb1EtNS0_19identity_decomposerEEEEE10hipError_tT0_T1_T2_jT3_P12ihipStream_tbPNSt15iterator_traitsISK_E10value_typeEPNSQ_ISL_E10value_typeEPSM_NS1_7vsmem_tEENKUlT_SK_SL_SM_E_clISE_PtSF_SF_EESJ_SZ_SK_SL_SM_EUlSZ_E1_NS1_11comp_targetILNS1_3genE2ELNS1_11target_archE906ELNS1_3gpuE6ELNS1_3repE0EEENS1_36merge_oddeven_config_static_selectorELNS0_4arch9wavefront6targetE1EEEvSL_
	.p2align	8
	.type	_ZN7rocprim17ROCPRIM_400000_NS6detail17trampoline_kernelINS0_14default_configENS1_38merge_sort_block_merge_config_selectorItNS0_10empty_typeEEEZZNS1_27merge_sort_block_merge_implIS3_N6thrust23THRUST_200600_302600_NS6detail15normal_iteratorINS9_10device_ptrItEEEEPS5_jNS1_19radix_merge_compareILb0ELb1EtNS0_19identity_decomposerEEEEE10hipError_tT0_T1_T2_jT3_P12ihipStream_tbPNSt15iterator_traitsISK_E10value_typeEPNSQ_ISL_E10value_typeEPSM_NS1_7vsmem_tEENKUlT_SK_SL_SM_E_clISE_PtSF_SF_EESJ_SZ_SK_SL_SM_EUlSZ_E1_NS1_11comp_targetILNS1_3genE2ELNS1_11target_archE906ELNS1_3gpuE6ELNS1_3repE0EEENS1_36merge_oddeven_config_static_selectorELNS0_4arch9wavefront6targetE1EEEvSL_,@function
_ZN7rocprim17ROCPRIM_400000_NS6detail17trampoline_kernelINS0_14default_configENS1_38merge_sort_block_merge_config_selectorItNS0_10empty_typeEEEZZNS1_27merge_sort_block_merge_implIS3_N6thrust23THRUST_200600_302600_NS6detail15normal_iteratorINS9_10device_ptrItEEEEPS5_jNS1_19radix_merge_compareILb0ELb1EtNS0_19identity_decomposerEEEEE10hipError_tT0_T1_T2_jT3_P12ihipStream_tbPNSt15iterator_traitsISK_E10value_typeEPNSQ_ISL_E10value_typeEPSM_NS1_7vsmem_tEENKUlT_SK_SL_SM_E_clISE_PtSF_SF_EESJ_SZ_SK_SL_SM_EUlSZ_E1_NS1_11comp_targetILNS1_3genE2ELNS1_11target_archE906ELNS1_3gpuE6ELNS1_3repE0EEENS1_36merge_oddeven_config_static_selectorELNS0_4arch9wavefront6targetE1EEEvSL_: ; @_ZN7rocprim17ROCPRIM_400000_NS6detail17trampoline_kernelINS0_14default_configENS1_38merge_sort_block_merge_config_selectorItNS0_10empty_typeEEEZZNS1_27merge_sort_block_merge_implIS3_N6thrust23THRUST_200600_302600_NS6detail15normal_iteratorINS9_10device_ptrItEEEEPS5_jNS1_19radix_merge_compareILb0ELb1EtNS0_19identity_decomposerEEEEE10hipError_tT0_T1_T2_jT3_P12ihipStream_tbPNSt15iterator_traitsISK_E10value_typeEPNSQ_ISL_E10value_typeEPSM_NS1_7vsmem_tEENKUlT_SK_SL_SM_E_clISE_PtSF_SF_EESJ_SZ_SK_SL_SM_EUlSZ_E1_NS1_11comp_targetILNS1_3genE2ELNS1_11target_archE906ELNS1_3gpuE6ELNS1_3repE0EEENS1_36merge_oddeven_config_static_selectorELNS0_4arch9wavefront6targetE1EEEvSL_
; %bb.0:
	.section	.rodata,"a",@progbits
	.p2align	6, 0x0
	.amdhsa_kernel _ZN7rocprim17ROCPRIM_400000_NS6detail17trampoline_kernelINS0_14default_configENS1_38merge_sort_block_merge_config_selectorItNS0_10empty_typeEEEZZNS1_27merge_sort_block_merge_implIS3_N6thrust23THRUST_200600_302600_NS6detail15normal_iteratorINS9_10device_ptrItEEEEPS5_jNS1_19radix_merge_compareILb0ELb1EtNS0_19identity_decomposerEEEEE10hipError_tT0_T1_T2_jT3_P12ihipStream_tbPNSt15iterator_traitsISK_E10value_typeEPNSQ_ISL_E10value_typeEPSM_NS1_7vsmem_tEENKUlT_SK_SL_SM_E_clISE_PtSF_SF_EESJ_SZ_SK_SL_SM_EUlSZ_E1_NS1_11comp_targetILNS1_3genE2ELNS1_11target_archE906ELNS1_3gpuE6ELNS1_3repE0EEENS1_36merge_oddeven_config_static_selectorELNS0_4arch9wavefront6targetE1EEEvSL_
		.amdhsa_group_segment_fixed_size 0
		.amdhsa_private_segment_fixed_size 0
		.amdhsa_kernarg_size 48
		.amdhsa_user_sgpr_count 2
		.amdhsa_user_sgpr_dispatch_ptr 0
		.amdhsa_user_sgpr_queue_ptr 0
		.amdhsa_user_sgpr_kernarg_segment_ptr 1
		.amdhsa_user_sgpr_dispatch_id 0
		.amdhsa_user_sgpr_kernarg_preload_length 0
		.amdhsa_user_sgpr_kernarg_preload_offset 0
		.amdhsa_user_sgpr_private_segment_size 0
		.amdhsa_uses_dynamic_stack 0
		.amdhsa_enable_private_segment 0
		.amdhsa_system_sgpr_workgroup_id_x 1
		.amdhsa_system_sgpr_workgroup_id_y 0
		.amdhsa_system_sgpr_workgroup_id_z 0
		.amdhsa_system_sgpr_workgroup_info 0
		.amdhsa_system_vgpr_workitem_id 0
		.amdhsa_next_free_vgpr 1
		.amdhsa_next_free_sgpr 0
		.amdhsa_accum_offset 4
		.amdhsa_reserve_vcc 0
		.amdhsa_float_round_mode_32 0
		.amdhsa_float_round_mode_16_64 0
		.amdhsa_float_denorm_mode_32 3
		.amdhsa_float_denorm_mode_16_64 3
		.amdhsa_dx10_clamp 1
		.amdhsa_ieee_mode 1
		.amdhsa_fp16_overflow 0
		.amdhsa_tg_split 0
		.amdhsa_exception_fp_ieee_invalid_op 0
		.amdhsa_exception_fp_denorm_src 0
		.amdhsa_exception_fp_ieee_div_zero 0
		.amdhsa_exception_fp_ieee_overflow 0
		.amdhsa_exception_fp_ieee_underflow 0
		.amdhsa_exception_fp_ieee_inexact 0
		.amdhsa_exception_int_div_zero 0
	.end_amdhsa_kernel
	.section	.text._ZN7rocprim17ROCPRIM_400000_NS6detail17trampoline_kernelINS0_14default_configENS1_38merge_sort_block_merge_config_selectorItNS0_10empty_typeEEEZZNS1_27merge_sort_block_merge_implIS3_N6thrust23THRUST_200600_302600_NS6detail15normal_iteratorINS9_10device_ptrItEEEEPS5_jNS1_19radix_merge_compareILb0ELb1EtNS0_19identity_decomposerEEEEE10hipError_tT0_T1_T2_jT3_P12ihipStream_tbPNSt15iterator_traitsISK_E10value_typeEPNSQ_ISL_E10value_typeEPSM_NS1_7vsmem_tEENKUlT_SK_SL_SM_E_clISE_PtSF_SF_EESJ_SZ_SK_SL_SM_EUlSZ_E1_NS1_11comp_targetILNS1_3genE2ELNS1_11target_archE906ELNS1_3gpuE6ELNS1_3repE0EEENS1_36merge_oddeven_config_static_selectorELNS0_4arch9wavefront6targetE1EEEvSL_,"axG",@progbits,_ZN7rocprim17ROCPRIM_400000_NS6detail17trampoline_kernelINS0_14default_configENS1_38merge_sort_block_merge_config_selectorItNS0_10empty_typeEEEZZNS1_27merge_sort_block_merge_implIS3_N6thrust23THRUST_200600_302600_NS6detail15normal_iteratorINS9_10device_ptrItEEEEPS5_jNS1_19radix_merge_compareILb0ELb1EtNS0_19identity_decomposerEEEEE10hipError_tT0_T1_T2_jT3_P12ihipStream_tbPNSt15iterator_traitsISK_E10value_typeEPNSQ_ISL_E10value_typeEPSM_NS1_7vsmem_tEENKUlT_SK_SL_SM_E_clISE_PtSF_SF_EESJ_SZ_SK_SL_SM_EUlSZ_E1_NS1_11comp_targetILNS1_3genE2ELNS1_11target_archE906ELNS1_3gpuE6ELNS1_3repE0EEENS1_36merge_oddeven_config_static_selectorELNS0_4arch9wavefront6targetE1EEEvSL_,comdat
.Lfunc_end1308:
	.size	_ZN7rocprim17ROCPRIM_400000_NS6detail17trampoline_kernelINS0_14default_configENS1_38merge_sort_block_merge_config_selectorItNS0_10empty_typeEEEZZNS1_27merge_sort_block_merge_implIS3_N6thrust23THRUST_200600_302600_NS6detail15normal_iteratorINS9_10device_ptrItEEEEPS5_jNS1_19radix_merge_compareILb0ELb1EtNS0_19identity_decomposerEEEEE10hipError_tT0_T1_T2_jT3_P12ihipStream_tbPNSt15iterator_traitsISK_E10value_typeEPNSQ_ISL_E10value_typeEPSM_NS1_7vsmem_tEENKUlT_SK_SL_SM_E_clISE_PtSF_SF_EESJ_SZ_SK_SL_SM_EUlSZ_E1_NS1_11comp_targetILNS1_3genE2ELNS1_11target_archE906ELNS1_3gpuE6ELNS1_3repE0EEENS1_36merge_oddeven_config_static_selectorELNS0_4arch9wavefront6targetE1EEEvSL_, .Lfunc_end1308-_ZN7rocprim17ROCPRIM_400000_NS6detail17trampoline_kernelINS0_14default_configENS1_38merge_sort_block_merge_config_selectorItNS0_10empty_typeEEEZZNS1_27merge_sort_block_merge_implIS3_N6thrust23THRUST_200600_302600_NS6detail15normal_iteratorINS9_10device_ptrItEEEEPS5_jNS1_19radix_merge_compareILb0ELb1EtNS0_19identity_decomposerEEEEE10hipError_tT0_T1_T2_jT3_P12ihipStream_tbPNSt15iterator_traitsISK_E10value_typeEPNSQ_ISL_E10value_typeEPSM_NS1_7vsmem_tEENKUlT_SK_SL_SM_E_clISE_PtSF_SF_EESJ_SZ_SK_SL_SM_EUlSZ_E1_NS1_11comp_targetILNS1_3genE2ELNS1_11target_archE906ELNS1_3gpuE6ELNS1_3repE0EEENS1_36merge_oddeven_config_static_selectorELNS0_4arch9wavefront6targetE1EEEvSL_
                                        ; -- End function
	.section	.AMDGPU.csdata,"",@progbits
; Kernel info:
; codeLenInByte = 0
; NumSgprs: 6
; NumVgprs: 0
; NumAgprs: 0
; TotalNumVgprs: 0
; ScratchSize: 0
; MemoryBound: 0
; FloatMode: 240
; IeeeMode: 1
; LDSByteSize: 0 bytes/workgroup (compile time only)
; SGPRBlocks: 0
; VGPRBlocks: 0
; NumSGPRsForWavesPerEU: 6
; NumVGPRsForWavesPerEU: 1
; AccumOffset: 4
; Occupancy: 8
; WaveLimiterHint : 0
; COMPUTE_PGM_RSRC2:SCRATCH_EN: 0
; COMPUTE_PGM_RSRC2:USER_SGPR: 2
; COMPUTE_PGM_RSRC2:TRAP_HANDLER: 0
; COMPUTE_PGM_RSRC2:TGID_X_EN: 1
; COMPUTE_PGM_RSRC2:TGID_Y_EN: 0
; COMPUTE_PGM_RSRC2:TGID_Z_EN: 0
; COMPUTE_PGM_RSRC2:TIDIG_COMP_CNT: 0
; COMPUTE_PGM_RSRC3_GFX90A:ACCUM_OFFSET: 0
; COMPUTE_PGM_RSRC3_GFX90A:TG_SPLIT: 0
	.section	.text._ZN7rocprim17ROCPRIM_400000_NS6detail17trampoline_kernelINS0_14default_configENS1_38merge_sort_block_merge_config_selectorItNS0_10empty_typeEEEZZNS1_27merge_sort_block_merge_implIS3_N6thrust23THRUST_200600_302600_NS6detail15normal_iteratorINS9_10device_ptrItEEEEPS5_jNS1_19radix_merge_compareILb0ELb1EtNS0_19identity_decomposerEEEEE10hipError_tT0_T1_T2_jT3_P12ihipStream_tbPNSt15iterator_traitsISK_E10value_typeEPNSQ_ISL_E10value_typeEPSM_NS1_7vsmem_tEENKUlT_SK_SL_SM_E_clISE_PtSF_SF_EESJ_SZ_SK_SL_SM_EUlSZ_E1_NS1_11comp_targetILNS1_3genE9ELNS1_11target_archE1100ELNS1_3gpuE3ELNS1_3repE0EEENS1_36merge_oddeven_config_static_selectorELNS0_4arch9wavefront6targetE1EEEvSL_,"axG",@progbits,_ZN7rocprim17ROCPRIM_400000_NS6detail17trampoline_kernelINS0_14default_configENS1_38merge_sort_block_merge_config_selectorItNS0_10empty_typeEEEZZNS1_27merge_sort_block_merge_implIS3_N6thrust23THRUST_200600_302600_NS6detail15normal_iteratorINS9_10device_ptrItEEEEPS5_jNS1_19radix_merge_compareILb0ELb1EtNS0_19identity_decomposerEEEEE10hipError_tT0_T1_T2_jT3_P12ihipStream_tbPNSt15iterator_traitsISK_E10value_typeEPNSQ_ISL_E10value_typeEPSM_NS1_7vsmem_tEENKUlT_SK_SL_SM_E_clISE_PtSF_SF_EESJ_SZ_SK_SL_SM_EUlSZ_E1_NS1_11comp_targetILNS1_3genE9ELNS1_11target_archE1100ELNS1_3gpuE3ELNS1_3repE0EEENS1_36merge_oddeven_config_static_selectorELNS0_4arch9wavefront6targetE1EEEvSL_,comdat
	.protected	_ZN7rocprim17ROCPRIM_400000_NS6detail17trampoline_kernelINS0_14default_configENS1_38merge_sort_block_merge_config_selectorItNS0_10empty_typeEEEZZNS1_27merge_sort_block_merge_implIS3_N6thrust23THRUST_200600_302600_NS6detail15normal_iteratorINS9_10device_ptrItEEEEPS5_jNS1_19radix_merge_compareILb0ELb1EtNS0_19identity_decomposerEEEEE10hipError_tT0_T1_T2_jT3_P12ihipStream_tbPNSt15iterator_traitsISK_E10value_typeEPNSQ_ISL_E10value_typeEPSM_NS1_7vsmem_tEENKUlT_SK_SL_SM_E_clISE_PtSF_SF_EESJ_SZ_SK_SL_SM_EUlSZ_E1_NS1_11comp_targetILNS1_3genE9ELNS1_11target_archE1100ELNS1_3gpuE3ELNS1_3repE0EEENS1_36merge_oddeven_config_static_selectorELNS0_4arch9wavefront6targetE1EEEvSL_ ; -- Begin function _ZN7rocprim17ROCPRIM_400000_NS6detail17trampoline_kernelINS0_14default_configENS1_38merge_sort_block_merge_config_selectorItNS0_10empty_typeEEEZZNS1_27merge_sort_block_merge_implIS3_N6thrust23THRUST_200600_302600_NS6detail15normal_iteratorINS9_10device_ptrItEEEEPS5_jNS1_19radix_merge_compareILb0ELb1EtNS0_19identity_decomposerEEEEE10hipError_tT0_T1_T2_jT3_P12ihipStream_tbPNSt15iterator_traitsISK_E10value_typeEPNSQ_ISL_E10value_typeEPSM_NS1_7vsmem_tEENKUlT_SK_SL_SM_E_clISE_PtSF_SF_EESJ_SZ_SK_SL_SM_EUlSZ_E1_NS1_11comp_targetILNS1_3genE9ELNS1_11target_archE1100ELNS1_3gpuE3ELNS1_3repE0EEENS1_36merge_oddeven_config_static_selectorELNS0_4arch9wavefront6targetE1EEEvSL_
	.globl	_ZN7rocprim17ROCPRIM_400000_NS6detail17trampoline_kernelINS0_14default_configENS1_38merge_sort_block_merge_config_selectorItNS0_10empty_typeEEEZZNS1_27merge_sort_block_merge_implIS3_N6thrust23THRUST_200600_302600_NS6detail15normal_iteratorINS9_10device_ptrItEEEEPS5_jNS1_19radix_merge_compareILb0ELb1EtNS0_19identity_decomposerEEEEE10hipError_tT0_T1_T2_jT3_P12ihipStream_tbPNSt15iterator_traitsISK_E10value_typeEPNSQ_ISL_E10value_typeEPSM_NS1_7vsmem_tEENKUlT_SK_SL_SM_E_clISE_PtSF_SF_EESJ_SZ_SK_SL_SM_EUlSZ_E1_NS1_11comp_targetILNS1_3genE9ELNS1_11target_archE1100ELNS1_3gpuE3ELNS1_3repE0EEENS1_36merge_oddeven_config_static_selectorELNS0_4arch9wavefront6targetE1EEEvSL_
	.p2align	8
	.type	_ZN7rocprim17ROCPRIM_400000_NS6detail17trampoline_kernelINS0_14default_configENS1_38merge_sort_block_merge_config_selectorItNS0_10empty_typeEEEZZNS1_27merge_sort_block_merge_implIS3_N6thrust23THRUST_200600_302600_NS6detail15normal_iteratorINS9_10device_ptrItEEEEPS5_jNS1_19radix_merge_compareILb0ELb1EtNS0_19identity_decomposerEEEEE10hipError_tT0_T1_T2_jT3_P12ihipStream_tbPNSt15iterator_traitsISK_E10value_typeEPNSQ_ISL_E10value_typeEPSM_NS1_7vsmem_tEENKUlT_SK_SL_SM_E_clISE_PtSF_SF_EESJ_SZ_SK_SL_SM_EUlSZ_E1_NS1_11comp_targetILNS1_3genE9ELNS1_11target_archE1100ELNS1_3gpuE3ELNS1_3repE0EEENS1_36merge_oddeven_config_static_selectorELNS0_4arch9wavefront6targetE1EEEvSL_,@function
_ZN7rocprim17ROCPRIM_400000_NS6detail17trampoline_kernelINS0_14default_configENS1_38merge_sort_block_merge_config_selectorItNS0_10empty_typeEEEZZNS1_27merge_sort_block_merge_implIS3_N6thrust23THRUST_200600_302600_NS6detail15normal_iteratorINS9_10device_ptrItEEEEPS5_jNS1_19radix_merge_compareILb0ELb1EtNS0_19identity_decomposerEEEEE10hipError_tT0_T1_T2_jT3_P12ihipStream_tbPNSt15iterator_traitsISK_E10value_typeEPNSQ_ISL_E10value_typeEPSM_NS1_7vsmem_tEENKUlT_SK_SL_SM_E_clISE_PtSF_SF_EESJ_SZ_SK_SL_SM_EUlSZ_E1_NS1_11comp_targetILNS1_3genE9ELNS1_11target_archE1100ELNS1_3gpuE3ELNS1_3repE0EEENS1_36merge_oddeven_config_static_selectorELNS0_4arch9wavefront6targetE1EEEvSL_: ; @_ZN7rocprim17ROCPRIM_400000_NS6detail17trampoline_kernelINS0_14default_configENS1_38merge_sort_block_merge_config_selectorItNS0_10empty_typeEEEZZNS1_27merge_sort_block_merge_implIS3_N6thrust23THRUST_200600_302600_NS6detail15normal_iteratorINS9_10device_ptrItEEEEPS5_jNS1_19radix_merge_compareILb0ELb1EtNS0_19identity_decomposerEEEEE10hipError_tT0_T1_T2_jT3_P12ihipStream_tbPNSt15iterator_traitsISK_E10value_typeEPNSQ_ISL_E10value_typeEPSM_NS1_7vsmem_tEENKUlT_SK_SL_SM_E_clISE_PtSF_SF_EESJ_SZ_SK_SL_SM_EUlSZ_E1_NS1_11comp_targetILNS1_3genE9ELNS1_11target_archE1100ELNS1_3gpuE3ELNS1_3repE0EEENS1_36merge_oddeven_config_static_selectorELNS0_4arch9wavefront6targetE1EEEvSL_
; %bb.0:
	.section	.rodata,"a",@progbits
	.p2align	6, 0x0
	.amdhsa_kernel _ZN7rocprim17ROCPRIM_400000_NS6detail17trampoline_kernelINS0_14default_configENS1_38merge_sort_block_merge_config_selectorItNS0_10empty_typeEEEZZNS1_27merge_sort_block_merge_implIS3_N6thrust23THRUST_200600_302600_NS6detail15normal_iteratorINS9_10device_ptrItEEEEPS5_jNS1_19radix_merge_compareILb0ELb1EtNS0_19identity_decomposerEEEEE10hipError_tT0_T1_T2_jT3_P12ihipStream_tbPNSt15iterator_traitsISK_E10value_typeEPNSQ_ISL_E10value_typeEPSM_NS1_7vsmem_tEENKUlT_SK_SL_SM_E_clISE_PtSF_SF_EESJ_SZ_SK_SL_SM_EUlSZ_E1_NS1_11comp_targetILNS1_3genE9ELNS1_11target_archE1100ELNS1_3gpuE3ELNS1_3repE0EEENS1_36merge_oddeven_config_static_selectorELNS0_4arch9wavefront6targetE1EEEvSL_
		.amdhsa_group_segment_fixed_size 0
		.amdhsa_private_segment_fixed_size 0
		.amdhsa_kernarg_size 48
		.amdhsa_user_sgpr_count 2
		.amdhsa_user_sgpr_dispatch_ptr 0
		.amdhsa_user_sgpr_queue_ptr 0
		.amdhsa_user_sgpr_kernarg_segment_ptr 1
		.amdhsa_user_sgpr_dispatch_id 0
		.amdhsa_user_sgpr_kernarg_preload_length 0
		.amdhsa_user_sgpr_kernarg_preload_offset 0
		.amdhsa_user_sgpr_private_segment_size 0
		.amdhsa_uses_dynamic_stack 0
		.amdhsa_enable_private_segment 0
		.amdhsa_system_sgpr_workgroup_id_x 1
		.amdhsa_system_sgpr_workgroup_id_y 0
		.amdhsa_system_sgpr_workgroup_id_z 0
		.amdhsa_system_sgpr_workgroup_info 0
		.amdhsa_system_vgpr_workitem_id 0
		.amdhsa_next_free_vgpr 1
		.amdhsa_next_free_sgpr 0
		.amdhsa_accum_offset 4
		.amdhsa_reserve_vcc 0
		.amdhsa_float_round_mode_32 0
		.amdhsa_float_round_mode_16_64 0
		.amdhsa_float_denorm_mode_32 3
		.amdhsa_float_denorm_mode_16_64 3
		.amdhsa_dx10_clamp 1
		.amdhsa_ieee_mode 1
		.amdhsa_fp16_overflow 0
		.amdhsa_tg_split 0
		.amdhsa_exception_fp_ieee_invalid_op 0
		.amdhsa_exception_fp_denorm_src 0
		.amdhsa_exception_fp_ieee_div_zero 0
		.amdhsa_exception_fp_ieee_overflow 0
		.amdhsa_exception_fp_ieee_underflow 0
		.amdhsa_exception_fp_ieee_inexact 0
		.amdhsa_exception_int_div_zero 0
	.end_amdhsa_kernel
	.section	.text._ZN7rocprim17ROCPRIM_400000_NS6detail17trampoline_kernelINS0_14default_configENS1_38merge_sort_block_merge_config_selectorItNS0_10empty_typeEEEZZNS1_27merge_sort_block_merge_implIS3_N6thrust23THRUST_200600_302600_NS6detail15normal_iteratorINS9_10device_ptrItEEEEPS5_jNS1_19radix_merge_compareILb0ELb1EtNS0_19identity_decomposerEEEEE10hipError_tT0_T1_T2_jT3_P12ihipStream_tbPNSt15iterator_traitsISK_E10value_typeEPNSQ_ISL_E10value_typeEPSM_NS1_7vsmem_tEENKUlT_SK_SL_SM_E_clISE_PtSF_SF_EESJ_SZ_SK_SL_SM_EUlSZ_E1_NS1_11comp_targetILNS1_3genE9ELNS1_11target_archE1100ELNS1_3gpuE3ELNS1_3repE0EEENS1_36merge_oddeven_config_static_selectorELNS0_4arch9wavefront6targetE1EEEvSL_,"axG",@progbits,_ZN7rocprim17ROCPRIM_400000_NS6detail17trampoline_kernelINS0_14default_configENS1_38merge_sort_block_merge_config_selectorItNS0_10empty_typeEEEZZNS1_27merge_sort_block_merge_implIS3_N6thrust23THRUST_200600_302600_NS6detail15normal_iteratorINS9_10device_ptrItEEEEPS5_jNS1_19radix_merge_compareILb0ELb1EtNS0_19identity_decomposerEEEEE10hipError_tT0_T1_T2_jT3_P12ihipStream_tbPNSt15iterator_traitsISK_E10value_typeEPNSQ_ISL_E10value_typeEPSM_NS1_7vsmem_tEENKUlT_SK_SL_SM_E_clISE_PtSF_SF_EESJ_SZ_SK_SL_SM_EUlSZ_E1_NS1_11comp_targetILNS1_3genE9ELNS1_11target_archE1100ELNS1_3gpuE3ELNS1_3repE0EEENS1_36merge_oddeven_config_static_selectorELNS0_4arch9wavefront6targetE1EEEvSL_,comdat
.Lfunc_end1309:
	.size	_ZN7rocprim17ROCPRIM_400000_NS6detail17trampoline_kernelINS0_14default_configENS1_38merge_sort_block_merge_config_selectorItNS0_10empty_typeEEEZZNS1_27merge_sort_block_merge_implIS3_N6thrust23THRUST_200600_302600_NS6detail15normal_iteratorINS9_10device_ptrItEEEEPS5_jNS1_19radix_merge_compareILb0ELb1EtNS0_19identity_decomposerEEEEE10hipError_tT0_T1_T2_jT3_P12ihipStream_tbPNSt15iterator_traitsISK_E10value_typeEPNSQ_ISL_E10value_typeEPSM_NS1_7vsmem_tEENKUlT_SK_SL_SM_E_clISE_PtSF_SF_EESJ_SZ_SK_SL_SM_EUlSZ_E1_NS1_11comp_targetILNS1_3genE9ELNS1_11target_archE1100ELNS1_3gpuE3ELNS1_3repE0EEENS1_36merge_oddeven_config_static_selectorELNS0_4arch9wavefront6targetE1EEEvSL_, .Lfunc_end1309-_ZN7rocprim17ROCPRIM_400000_NS6detail17trampoline_kernelINS0_14default_configENS1_38merge_sort_block_merge_config_selectorItNS0_10empty_typeEEEZZNS1_27merge_sort_block_merge_implIS3_N6thrust23THRUST_200600_302600_NS6detail15normal_iteratorINS9_10device_ptrItEEEEPS5_jNS1_19radix_merge_compareILb0ELb1EtNS0_19identity_decomposerEEEEE10hipError_tT0_T1_T2_jT3_P12ihipStream_tbPNSt15iterator_traitsISK_E10value_typeEPNSQ_ISL_E10value_typeEPSM_NS1_7vsmem_tEENKUlT_SK_SL_SM_E_clISE_PtSF_SF_EESJ_SZ_SK_SL_SM_EUlSZ_E1_NS1_11comp_targetILNS1_3genE9ELNS1_11target_archE1100ELNS1_3gpuE3ELNS1_3repE0EEENS1_36merge_oddeven_config_static_selectorELNS0_4arch9wavefront6targetE1EEEvSL_
                                        ; -- End function
	.section	.AMDGPU.csdata,"",@progbits
; Kernel info:
; codeLenInByte = 0
; NumSgprs: 6
; NumVgprs: 0
; NumAgprs: 0
; TotalNumVgprs: 0
; ScratchSize: 0
; MemoryBound: 0
; FloatMode: 240
; IeeeMode: 1
; LDSByteSize: 0 bytes/workgroup (compile time only)
; SGPRBlocks: 0
; VGPRBlocks: 0
; NumSGPRsForWavesPerEU: 6
; NumVGPRsForWavesPerEU: 1
; AccumOffset: 4
; Occupancy: 8
; WaveLimiterHint : 0
; COMPUTE_PGM_RSRC2:SCRATCH_EN: 0
; COMPUTE_PGM_RSRC2:USER_SGPR: 2
; COMPUTE_PGM_RSRC2:TRAP_HANDLER: 0
; COMPUTE_PGM_RSRC2:TGID_X_EN: 1
; COMPUTE_PGM_RSRC2:TGID_Y_EN: 0
; COMPUTE_PGM_RSRC2:TGID_Z_EN: 0
; COMPUTE_PGM_RSRC2:TIDIG_COMP_CNT: 0
; COMPUTE_PGM_RSRC3_GFX90A:ACCUM_OFFSET: 0
; COMPUTE_PGM_RSRC3_GFX90A:TG_SPLIT: 0
	.section	.text._ZN7rocprim17ROCPRIM_400000_NS6detail17trampoline_kernelINS0_14default_configENS1_38merge_sort_block_merge_config_selectorItNS0_10empty_typeEEEZZNS1_27merge_sort_block_merge_implIS3_N6thrust23THRUST_200600_302600_NS6detail15normal_iteratorINS9_10device_ptrItEEEEPS5_jNS1_19radix_merge_compareILb0ELb1EtNS0_19identity_decomposerEEEEE10hipError_tT0_T1_T2_jT3_P12ihipStream_tbPNSt15iterator_traitsISK_E10value_typeEPNSQ_ISL_E10value_typeEPSM_NS1_7vsmem_tEENKUlT_SK_SL_SM_E_clISE_PtSF_SF_EESJ_SZ_SK_SL_SM_EUlSZ_E1_NS1_11comp_targetILNS1_3genE8ELNS1_11target_archE1030ELNS1_3gpuE2ELNS1_3repE0EEENS1_36merge_oddeven_config_static_selectorELNS0_4arch9wavefront6targetE1EEEvSL_,"axG",@progbits,_ZN7rocprim17ROCPRIM_400000_NS6detail17trampoline_kernelINS0_14default_configENS1_38merge_sort_block_merge_config_selectorItNS0_10empty_typeEEEZZNS1_27merge_sort_block_merge_implIS3_N6thrust23THRUST_200600_302600_NS6detail15normal_iteratorINS9_10device_ptrItEEEEPS5_jNS1_19radix_merge_compareILb0ELb1EtNS0_19identity_decomposerEEEEE10hipError_tT0_T1_T2_jT3_P12ihipStream_tbPNSt15iterator_traitsISK_E10value_typeEPNSQ_ISL_E10value_typeEPSM_NS1_7vsmem_tEENKUlT_SK_SL_SM_E_clISE_PtSF_SF_EESJ_SZ_SK_SL_SM_EUlSZ_E1_NS1_11comp_targetILNS1_3genE8ELNS1_11target_archE1030ELNS1_3gpuE2ELNS1_3repE0EEENS1_36merge_oddeven_config_static_selectorELNS0_4arch9wavefront6targetE1EEEvSL_,comdat
	.protected	_ZN7rocprim17ROCPRIM_400000_NS6detail17trampoline_kernelINS0_14default_configENS1_38merge_sort_block_merge_config_selectorItNS0_10empty_typeEEEZZNS1_27merge_sort_block_merge_implIS3_N6thrust23THRUST_200600_302600_NS6detail15normal_iteratorINS9_10device_ptrItEEEEPS5_jNS1_19radix_merge_compareILb0ELb1EtNS0_19identity_decomposerEEEEE10hipError_tT0_T1_T2_jT3_P12ihipStream_tbPNSt15iterator_traitsISK_E10value_typeEPNSQ_ISL_E10value_typeEPSM_NS1_7vsmem_tEENKUlT_SK_SL_SM_E_clISE_PtSF_SF_EESJ_SZ_SK_SL_SM_EUlSZ_E1_NS1_11comp_targetILNS1_3genE8ELNS1_11target_archE1030ELNS1_3gpuE2ELNS1_3repE0EEENS1_36merge_oddeven_config_static_selectorELNS0_4arch9wavefront6targetE1EEEvSL_ ; -- Begin function _ZN7rocprim17ROCPRIM_400000_NS6detail17trampoline_kernelINS0_14default_configENS1_38merge_sort_block_merge_config_selectorItNS0_10empty_typeEEEZZNS1_27merge_sort_block_merge_implIS3_N6thrust23THRUST_200600_302600_NS6detail15normal_iteratorINS9_10device_ptrItEEEEPS5_jNS1_19radix_merge_compareILb0ELb1EtNS0_19identity_decomposerEEEEE10hipError_tT0_T1_T2_jT3_P12ihipStream_tbPNSt15iterator_traitsISK_E10value_typeEPNSQ_ISL_E10value_typeEPSM_NS1_7vsmem_tEENKUlT_SK_SL_SM_E_clISE_PtSF_SF_EESJ_SZ_SK_SL_SM_EUlSZ_E1_NS1_11comp_targetILNS1_3genE8ELNS1_11target_archE1030ELNS1_3gpuE2ELNS1_3repE0EEENS1_36merge_oddeven_config_static_selectorELNS0_4arch9wavefront6targetE1EEEvSL_
	.globl	_ZN7rocprim17ROCPRIM_400000_NS6detail17trampoline_kernelINS0_14default_configENS1_38merge_sort_block_merge_config_selectorItNS0_10empty_typeEEEZZNS1_27merge_sort_block_merge_implIS3_N6thrust23THRUST_200600_302600_NS6detail15normal_iteratorINS9_10device_ptrItEEEEPS5_jNS1_19radix_merge_compareILb0ELb1EtNS0_19identity_decomposerEEEEE10hipError_tT0_T1_T2_jT3_P12ihipStream_tbPNSt15iterator_traitsISK_E10value_typeEPNSQ_ISL_E10value_typeEPSM_NS1_7vsmem_tEENKUlT_SK_SL_SM_E_clISE_PtSF_SF_EESJ_SZ_SK_SL_SM_EUlSZ_E1_NS1_11comp_targetILNS1_3genE8ELNS1_11target_archE1030ELNS1_3gpuE2ELNS1_3repE0EEENS1_36merge_oddeven_config_static_selectorELNS0_4arch9wavefront6targetE1EEEvSL_
	.p2align	8
	.type	_ZN7rocprim17ROCPRIM_400000_NS6detail17trampoline_kernelINS0_14default_configENS1_38merge_sort_block_merge_config_selectorItNS0_10empty_typeEEEZZNS1_27merge_sort_block_merge_implIS3_N6thrust23THRUST_200600_302600_NS6detail15normal_iteratorINS9_10device_ptrItEEEEPS5_jNS1_19radix_merge_compareILb0ELb1EtNS0_19identity_decomposerEEEEE10hipError_tT0_T1_T2_jT3_P12ihipStream_tbPNSt15iterator_traitsISK_E10value_typeEPNSQ_ISL_E10value_typeEPSM_NS1_7vsmem_tEENKUlT_SK_SL_SM_E_clISE_PtSF_SF_EESJ_SZ_SK_SL_SM_EUlSZ_E1_NS1_11comp_targetILNS1_3genE8ELNS1_11target_archE1030ELNS1_3gpuE2ELNS1_3repE0EEENS1_36merge_oddeven_config_static_selectorELNS0_4arch9wavefront6targetE1EEEvSL_,@function
_ZN7rocprim17ROCPRIM_400000_NS6detail17trampoline_kernelINS0_14default_configENS1_38merge_sort_block_merge_config_selectorItNS0_10empty_typeEEEZZNS1_27merge_sort_block_merge_implIS3_N6thrust23THRUST_200600_302600_NS6detail15normal_iteratorINS9_10device_ptrItEEEEPS5_jNS1_19radix_merge_compareILb0ELb1EtNS0_19identity_decomposerEEEEE10hipError_tT0_T1_T2_jT3_P12ihipStream_tbPNSt15iterator_traitsISK_E10value_typeEPNSQ_ISL_E10value_typeEPSM_NS1_7vsmem_tEENKUlT_SK_SL_SM_E_clISE_PtSF_SF_EESJ_SZ_SK_SL_SM_EUlSZ_E1_NS1_11comp_targetILNS1_3genE8ELNS1_11target_archE1030ELNS1_3gpuE2ELNS1_3repE0EEENS1_36merge_oddeven_config_static_selectorELNS0_4arch9wavefront6targetE1EEEvSL_: ; @_ZN7rocprim17ROCPRIM_400000_NS6detail17trampoline_kernelINS0_14default_configENS1_38merge_sort_block_merge_config_selectorItNS0_10empty_typeEEEZZNS1_27merge_sort_block_merge_implIS3_N6thrust23THRUST_200600_302600_NS6detail15normal_iteratorINS9_10device_ptrItEEEEPS5_jNS1_19radix_merge_compareILb0ELb1EtNS0_19identity_decomposerEEEEE10hipError_tT0_T1_T2_jT3_P12ihipStream_tbPNSt15iterator_traitsISK_E10value_typeEPNSQ_ISL_E10value_typeEPSM_NS1_7vsmem_tEENKUlT_SK_SL_SM_E_clISE_PtSF_SF_EESJ_SZ_SK_SL_SM_EUlSZ_E1_NS1_11comp_targetILNS1_3genE8ELNS1_11target_archE1030ELNS1_3gpuE2ELNS1_3repE0EEENS1_36merge_oddeven_config_static_selectorELNS0_4arch9wavefront6targetE1EEEvSL_
; %bb.0:
	.section	.rodata,"a",@progbits
	.p2align	6, 0x0
	.amdhsa_kernel _ZN7rocprim17ROCPRIM_400000_NS6detail17trampoline_kernelINS0_14default_configENS1_38merge_sort_block_merge_config_selectorItNS0_10empty_typeEEEZZNS1_27merge_sort_block_merge_implIS3_N6thrust23THRUST_200600_302600_NS6detail15normal_iteratorINS9_10device_ptrItEEEEPS5_jNS1_19radix_merge_compareILb0ELb1EtNS0_19identity_decomposerEEEEE10hipError_tT0_T1_T2_jT3_P12ihipStream_tbPNSt15iterator_traitsISK_E10value_typeEPNSQ_ISL_E10value_typeEPSM_NS1_7vsmem_tEENKUlT_SK_SL_SM_E_clISE_PtSF_SF_EESJ_SZ_SK_SL_SM_EUlSZ_E1_NS1_11comp_targetILNS1_3genE8ELNS1_11target_archE1030ELNS1_3gpuE2ELNS1_3repE0EEENS1_36merge_oddeven_config_static_selectorELNS0_4arch9wavefront6targetE1EEEvSL_
		.amdhsa_group_segment_fixed_size 0
		.amdhsa_private_segment_fixed_size 0
		.amdhsa_kernarg_size 48
		.amdhsa_user_sgpr_count 2
		.amdhsa_user_sgpr_dispatch_ptr 0
		.amdhsa_user_sgpr_queue_ptr 0
		.amdhsa_user_sgpr_kernarg_segment_ptr 1
		.amdhsa_user_sgpr_dispatch_id 0
		.amdhsa_user_sgpr_kernarg_preload_length 0
		.amdhsa_user_sgpr_kernarg_preload_offset 0
		.amdhsa_user_sgpr_private_segment_size 0
		.amdhsa_uses_dynamic_stack 0
		.amdhsa_enable_private_segment 0
		.amdhsa_system_sgpr_workgroup_id_x 1
		.amdhsa_system_sgpr_workgroup_id_y 0
		.amdhsa_system_sgpr_workgroup_id_z 0
		.amdhsa_system_sgpr_workgroup_info 0
		.amdhsa_system_vgpr_workitem_id 0
		.amdhsa_next_free_vgpr 1
		.amdhsa_next_free_sgpr 0
		.amdhsa_accum_offset 4
		.amdhsa_reserve_vcc 0
		.amdhsa_float_round_mode_32 0
		.amdhsa_float_round_mode_16_64 0
		.amdhsa_float_denorm_mode_32 3
		.amdhsa_float_denorm_mode_16_64 3
		.amdhsa_dx10_clamp 1
		.amdhsa_ieee_mode 1
		.amdhsa_fp16_overflow 0
		.amdhsa_tg_split 0
		.amdhsa_exception_fp_ieee_invalid_op 0
		.amdhsa_exception_fp_denorm_src 0
		.amdhsa_exception_fp_ieee_div_zero 0
		.amdhsa_exception_fp_ieee_overflow 0
		.amdhsa_exception_fp_ieee_underflow 0
		.amdhsa_exception_fp_ieee_inexact 0
		.amdhsa_exception_int_div_zero 0
	.end_amdhsa_kernel
	.section	.text._ZN7rocprim17ROCPRIM_400000_NS6detail17trampoline_kernelINS0_14default_configENS1_38merge_sort_block_merge_config_selectorItNS0_10empty_typeEEEZZNS1_27merge_sort_block_merge_implIS3_N6thrust23THRUST_200600_302600_NS6detail15normal_iteratorINS9_10device_ptrItEEEEPS5_jNS1_19radix_merge_compareILb0ELb1EtNS0_19identity_decomposerEEEEE10hipError_tT0_T1_T2_jT3_P12ihipStream_tbPNSt15iterator_traitsISK_E10value_typeEPNSQ_ISL_E10value_typeEPSM_NS1_7vsmem_tEENKUlT_SK_SL_SM_E_clISE_PtSF_SF_EESJ_SZ_SK_SL_SM_EUlSZ_E1_NS1_11comp_targetILNS1_3genE8ELNS1_11target_archE1030ELNS1_3gpuE2ELNS1_3repE0EEENS1_36merge_oddeven_config_static_selectorELNS0_4arch9wavefront6targetE1EEEvSL_,"axG",@progbits,_ZN7rocprim17ROCPRIM_400000_NS6detail17trampoline_kernelINS0_14default_configENS1_38merge_sort_block_merge_config_selectorItNS0_10empty_typeEEEZZNS1_27merge_sort_block_merge_implIS3_N6thrust23THRUST_200600_302600_NS6detail15normal_iteratorINS9_10device_ptrItEEEEPS5_jNS1_19radix_merge_compareILb0ELb1EtNS0_19identity_decomposerEEEEE10hipError_tT0_T1_T2_jT3_P12ihipStream_tbPNSt15iterator_traitsISK_E10value_typeEPNSQ_ISL_E10value_typeEPSM_NS1_7vsmem_tEENKUlT_SK_SL_SM_E_clISE_PtSF_SF_EESJ_SZ_SK_SL_SM_EUlSZ_E1_NS1_11comp_targetILNS1_3genE8ELNS1_11target_archE1030ELNS1_3gpuE2ELNS1_3repE0EEENS1_36merge_oddeven_config_static_selectorELNS0_4arch9wavefront6targetE1EEEvSL_,comdat
.Lfunc_end1310:
	.size	_ZN7rocprim17ROCPRIM_400000_NS6detail17trampoline_kernelINS0_14default_configENS1_38merge_sort_block_merge_config_selectorItNS0_10empty_typeEEEZZNS1_27merge_sort_block_merge_implIS3_N6thrust23THRUST_200600_302600_NS6detail15normal_iteratorINS9_10device_ptrItEEEEPS5_jNS1_19radix_merge_compareILb0ELb1EtNS0_19identity_decomposerEEEEE10hipError_tT0_T1_T2_jT3_P12ihipStream_tbPNSt15iterator_traitsISK_E10value_typeEPNSQ_ISL_E10value_typeEPSM_NS1_7vsmem_tEENKUlT_SK_SL_SM_E_clISE_PtSF_SF_EESJ_SZ_SK_SL_SM_EUlSZ_E1_NS1_11comp_targetILNS1_3genE8ELNS1_11target_archE1030ELNS1_3gpuE2ELNS1_3repE0EEENS1_36merge_oddeven_config_static_selectorELNS0_4arch9wavefront6targetE1EEEvSL_, .Lfunc_end1310-_ZN7rocprim17ROCPRIM_400000_NS6detail17trampoline_kernelINS0_14default_configENS1_38merge_sort_block_merge_config_selectorItNS0_10empty_typeEEEZZNS1_27merge_sort_block_merge_implIS3_N6thrust23THRUST_200600_302600_NS6detail15normal_iteratorINS9_10device_ptrItEEEEPS5_jNS1_19radix_merge_compareILb0ELb1EtNS0_19identity_decomposerEEEEE10hipError_tT0_T1_T2_jT3_P12ihipStream_tbPNSt15iterator_traitsISK_E10value_typeEPNSQ_ISL_E10value_typeEPSM_NS1_7vsmem_tEENKUlT_SK_SL_SM_E_clISE_PtSF_SF_EESJ_SZ_SK_SL_SM_EUlSZ_E1_NS1_11comp_targetILNS1_3genE8ELNS1_11target_archE1030ELNS1_3gpuE2ELNS1_3repE0EEENS1_36merge_oddeven_config_static_selectorELNS0_4arch9wavefront6targetE1EEEvSL_
                                        ; -- End function
	.section	.AMDGPU.csdata,"",@progbits
; Kernel info:
; codeLenInByte = 0
; NumSgprs: 6
; NumVgprs: 0
; NumAgprs: 0
; TotalNumVgprs: 0
; ScratchSize: 0
; MemoryBound: 0
; FloatMode: 240
; IeeeMode: 1
; LDSByteSize: 0 bytes/workgroup (compile time only)
; SGPRBlocks: 0
; VGPRBlocks: 0
; NumSGPRsForWavesPerEU: 6
; NumVGPRsForWavesPerEU: 1
; AccumOffset: 4
; Occupancy: 8
; WaveLimiterHint : 0
; COMPUTE_PGM_RSRC2:SCRATCH_EN: 0
; COMPUTE_PGM_RSRC2:USER_SGPR: 2
; COMPUTE_PGM_RSRC2:TRAP_HANDLER: 0
; COMPUTE_PGM_RSRC2:TGID_X_EN: 1
; COMPUTE_PGM_RSRC2:TGID_Y_EN: 0
; COMPUTE_PGM_RSRC2:TGID_Z_EN: 0
; COMPUTE_PGM_RSRC2:TIDIG_COMP_CNT: 0
; COMPUTE_PGM_RSRC3_GFX90A:ACCUM_OFFSET: 0
; COMPUTE_PGM_RSRC3_GFX90A:TG_SPLIT: 0
	.section	.text._ZN7rocprim17ROCPRIM_400000_NS6detail17trampoline_kernelINS0_14default_configENS1_35radix_sort_onesweep_config_selectorItNS0_10empty_typeEEEZNS1_34radix_sort_onesweep_global_offsetsIS3_Lb0EN6thrust23THRUST_200600_302600_NS6detail15normal_iteratorINS9_10device_ptrItEEEEPS5_jNS0_19identity_decomposerEEE10hipError_tT1_T2_PT3_SK_jT4_jjP12ihipStream_tbEUlT_E_NS1_11comp_targetILNS1_3genE0ELNS1_11target_archE4294967295ELNS1_3gpuE0ELNS1_3repE0EEENS1_52radix_sort_onesweep_histogram_config_static_selectorELNS0_4arch9wavefront6targetE1EEEvSI_,"axG",@progbits,_ZN7rocprim17ROCPRIM_400000_NS6detail17trampoline_kernelINS0_14default_configENS1_35radix_sort_onesweep_config_selectorItNS0_10empty_typeEEEZNS1_34radix_sort_onesweep_global_offsetsIS3_Lb0EN6thrust23THRUST_200600_302600_NS6detail15normal_iteratorINS9_10device_ptrItEEEEPS5_jNS0_19identity_decomposerEEE10hipError_tT1_T2_PT3_SK_jT4_jjP12ihipStream_tbEUlT_E_NS1_11comp_targetILNS1_3genE0ELNS1_11target_archE4294967295ELNS1_3gpuE0ELNS1_3repE0EEENS1_52radix_sort_onesweep_histogram_config_static_selectorELNS0_4arch9wavefront6targetE1EEEvSI_,comdat
	.protected	_ZN7rocprim17ROCPRIM_400000_NS6detail17trampoline_kernelINS0_14default_configENS1_35radix_sort_onesweep_config_selectorItNS0_10empty_typeEEEZNS1_34radix_sort_onesweep_global_offsetsIS3_Lb0EN6thrust23THRUST_200600_302600_NS6detail15normal_iteratorINS9_10device_ptrItEEEEPS5_jNS0_19identity_decomposerEEE10hipError_tT1_T2_PT3_SK_jT4_jjP12ihipStream_tbEUlT_E_NS1_11comp_targetILNS1_3genE0ELNS1_11target_archE4294967295ELNS1_3gpuE0ELNS1_3repE0EEENS1_52radix_sort_onesweep_histogram_config_static_selectorELNS0_4arch9wavefront6targetE1EEEvSI_ ; -- Begin function _ZN7rocprim17ROCPRIM_400000_NS6detail17trampoline_kernelINS0_14default_configENS1_35radix_sort_onesweep_config_selectorItNS0_10empty_typeEEEZNS1_34radix_sort_onesweep_global_offsetsIS3_Lb0EN6thrust23THRUST_200600_302600_NS6detail15normal_iteratorINS9_10device_ptrItEEEEPS5_jNS0_19identity_decomposerEEE10hipError_tT1_T2_PT3_SK_jT4_jjP12ihipStream_tbEUlT_E_NS1_11comp_targetILNS1_3genE0ELNS1_11target_archE4294967295ELNS1_3gpuE0ELNS1_3repE0EEENS1_52radix_sort_onesweep_histogram_config_static_selectorELNS0_4arch9wavefront6targetE1EEEvSI_
	.globl	_ZN7rocprim17ROCPRIM_400000_NS6detail17trampoline_kernelINS0_14default_configENS1_35radix_sort_onesweep_config_selectorItNS0_10empty_typeEEEZNS1_34radix_sort_onesweep_global_offsetsIS3_Lb0EN6thrust23THRUST_200600_302600_NS6detail15normal_iteratorINS9_10device_ptrItEEEEPS5_jNS0_19identity_decomposerEEE10hipError_tT1_T2_PT3_SK_jT4_jjP12ihipStream_tbEUlT_E_NS1_11comp_targetILNS1_3genE0ELNS1_11target_archE4294967295ELNS1_3gpuE0ELNS1_3repE0EEENS1_52radix_sort_onesweep_histogram_config_static_selectorELNS0_4arch9wavefront6targetE1EEEvSI_
	.p2align	8
	.type	_ZN7rocprim17ROCPRIM_400000_NS6detail17trampoline_kernelINS0_14default_configENS1_35radix_sort_onesweep_config_selectorItNS0_10empty_typeEEEZNS1_34radix_sort_onesweep_global_offsetsIS3_Lb0EN6thrust23THRUST_200600_302600_NS6detail15normal_iteratorINS9_10device_ptrItEEEEPS5_jNS0_19identity_decomposerEEE10hipError_tT1_T2_PT3_SK_jT4_jjP12ihipStream_tbEUlT_E_NS1_11comp_targetILNS1_3genE0ELNS1_11target_archE4294967295ELNS1_3gpuE0ELNS1_3repE0EEENS1_52radix_sort_onesweep_histogram_config_static_selectorELNS0_4arch9wavefront6targetE1EEEvSI_,@function
_ZN7rocprim17ROCPRIM_400000_NS6detail17trampoline_kernelINS0_14default_configENS1_35radix_sort_onesweep_config_selectorItNS0_10empty_typeEEEZNS1_34radix_sort_onesweep_global_offsetsIS3_Lb0EN6thrust23THRUST_200600_302600_NS6detail15normal_iteratorINS9_10device_ptrItEEEEPS5_jNS0_19identity_decomposerEEE10hipError_tT1_T2_PT3_SK_jT4_jjP12ihipStream_tbEUlT_E_NS1_11comp_targetILNS1_3genE0ELNS1_11target_archE4294967295ELNS1_3gpuE0ELNS1_3repE0EEENS1_52radix_sort_onesweep_histogram_config_static_selectorELNS0_4arch9wavefront6targetE1EEEvSI_: ; @_ZN7rocprim17ROCPRIM_400000_NS6detail17trampoline_kernelINS0_14default_configENS1_35radix_sort_onesweep_config_selectorItNS0_10empty_typeEEEZNS1_34radix_sort_onesweep_global_offsetsIS3_Lb0EN6thrust23THRUST_200600_302600_NS6detail15normal_iteratorINS9_10device_ptrItEEEEPS5_jNS0_19identity_decomposerEEE10hipError_tT1_T2_PT3_SK_jT4_jjP12ihipStream_tbEUlT_E_NS1_11comp_targetILNS1_3genE0ELNS1_11target_archE4294967295ELNS1_3gpuE0ELNS1_3repE0EEENS1_52radix_sort_onesweep_histogram_config_static_selectorELNS0_4arch9wavefront6targetE1EEEvSI_
; %bb.0:
	.section	.rodata,"a",@progbits
	.p2align	6, 0x0
	.amdhsa_kernel _ZN7rocprim17ROCPRIM_400000_NS6detail17trampoline_kernelINS0_14default_configENS1_35radix_sort_onesweep_config_selectorItNS0_10empty_typeEEEZNS1_34radix_sort_onesweep_global_offsetsIS3_Lb0EN6thrust23THRUST_200600_302600_NS6detail15normal_iteratorINS9_10device_ptrItEEEEPS5_jNS0_19identity_decomposerEEE10hipError_tT1_T2_PT3_SK_jT4_jjP12ihipStream_tbEUlT_E_NS1_11comp_targetILNS1_3genE0ELNS1_11target_archE4294967295ELNS1_3gpuE0ELNS1_3repE0EEENS1_52radix_sort_onesweep_histogram_config_static_selectorELNS0_4arch9wavefront6targetE1EEEvSI_
		.amdhsa_group_segment_fixed_size 0
		.amdhsa_private_segment_fixed_size 0
		.amdhsa_kernarg_size 40
		.amdhsa_user_sgpr_count 2
		.amdhsa_user_sgpr_dispatch_ptr 0
		.amdhsa_user_sgpr_queue_ptr 0
		.amdhsa_user_sgpr_kernarg_segment_ptr 1
		.amdhsa_user_sgpr_dispatch_id 0
		.amdhsa_user_sgpr_kernarg_preload_length 0
		.amdhsa_user_sgpr_kernarg_preload_offset 0
		.amdhsa_user_sgpr_private_segment_size 0
		.amdhsa_uses_dynamic_stack 0
		.amdhsa_enable_private_segment 0
		.amdhsa_system_sgpr_workgroup_id_x 1
		.amdhsa_system_sgpr_workgroup_id_y 0
		.amdhsa_system_sgpr_workgroup_id_z 0
		.amdhsa_system_sgpr_workgroup_info 0
		.amdhsa_system_vgpr_workitem_id 0
		.amdhsa_next_free_vgpr 1
		.amdhsa_next_free_sgpr 0
		.amdhsa_accum_offset 4
		.amdhsa_reserve_vcc 0
		.amdhsa_float_round_mode_32 0
		.amdhsa_float_round_mode_16_64 0
		.amdhsa_float_denorm_mode_32 3
		.amdhsa_float_denorm_mode_16_64 3
		.amdhsa_dx10_clamp 1
		.amdhsa_ieee_mode 1
		.amdhsa_fp16_overflow 0
		.amdhsa_tg_split 0
		.amdhsa_exception_fp_ieee_invalid_op 0
		.amdhsa_exception_fp_denorm_src 0
		.amdhsa_exception_fp_ieee_div_zero 0
		.amdhsa_exception_fp_ieee_overflow 0
		.amdhsa_exception_fp_ieee_underflow 0
		.amdhsa_exception_fp_ieee_inexact 0
		.amdhsa_exception_int_div_zero 0
	.end_amdhsa_kernel
	.section	.text._ZN7rocprim17ROCPRIM_400000_NS6detail17trampoline_kernelINS0_14default_configENS1_35radix_sort_onesweep_config_selectorItNS0_10empty_typeEEEZNS1_34radix_sort_onesweep_global_offsetsIS3_Lb0EN6thrust23THRUST_200600_302600_NS6detail15normal_iteratorINS9_10device_ptrItEEEEPS5_jNS0_19identity_decomposerEEE10hipError_tT1_T2_PT3_SK_jT4_jjP12ihipStream_tbEUlT_E_NS1_11comp_targetILNS1_3genE0ELNS1_11target_archE4294967295ELNS1_3gpuE0ELNS1_3repE0EEENS1_52radix_sort_onesweep_histogram_config_static_selectorELNS0_4arch9wavefront6targetE1EEEvSI_,"axG",@progbits,_ZN7rocprim17ROCPRIM_400000_NS6detail17trampoline_kernelINS0_14default_configENS1_35radix_sort_onesweep_config_selectorItNS0_10empty_typeEEEZNS1_34radix_sort_onesweep_global_offsetsIS3_Lb0EN6thrust23THRUST_200600_302600_NS6detail15normal_iteratorINS9_10device_ptrItEEEEPS5_jNS0_19identity_decomposerEEE10hipError_tT1_T2_PT3_SK_jT4_jjP12ihipStream_tbEUlT_E_NS1_11comp_targetILNS1_3genE0ELNS1_11target_archE4294967295ELNS1_3gpuE0ELNS1_3repE0EEENS1_52radix_sort_onesweep_histogram_config_static_selectorELNS0_4arch9wavefront6targetE1EEEvSI_,comdat
.Lfunc_end1311:
	.size	_ZN7rocprim17ROCPRIM_400000_NS6detail17trampoline_kernelINS0_14default_configENS1_35radix_sort_onesweep_config_selectorItNS0_10empty_typeEEEZNS1_34radix_sort_onesweep_global_offsetsIS3_Lb0EN6thrust23THRUST_200600_302600_NS6detail15normal_iteratorINS9_10device_ptrItEEEEPS5_jNS0_19identity_decomposerEEE10hipError_tT1_T2_PT3_SK_jT4_jjP12ihipStream_tbEUlT_E_NS1_11comp_targetILNS1_3genE0ELNS1_11target_archE4294967295ELNS1_3gpuE0ELNS1_3repE0EEENS1_52radix_sort_onesweep_histogram_config_static_selectorELNS0_4arch9wavefront6targetE1EEEvSI_, .Lfunc_end1311-_ZN7rocprim17ROCPRIM_400000_NS6detail17trampoline_kernelINS0_14default_configENS1_35radix_sort_onesweep_config_selectorItNS0_10empty_typeEEEZNS1_34radix_sort_onesweep_global_offsetsIS3_Lb0EN6thrust23THRUST_200600_302600_NS6detail15normal_iteratorINS9_10device_ptrItEEEEPS5_jNS0_19identity_decomposerEEE10hipError_tT1_T2_PT3_SK_jT4_jjP12ihipStream_tbEUlT_E_NS1_11comp_targetILNS1_3genE0ELNS1_11target_archE4294967295ELNS1_3gpuE0ELNS1_3repE0EEENS1_52radix_sort_onesweep_histogram_config_static_selectorELNS0_4arch9wavefront6targetE1EEEvSI_
                                        ; -- End function
	.section	.AMDGPU.csdata,"",@progbits
; Kernel info:
; codeLenInByte = 0
; NumSgprs: 6
; NumVgprs: 0
; NumAgprs: 0
; TotalNumVgprs: 0
; ScratchSize: 0
; MemoryBound: 0
; FloatMode: 240
; IeeeMode: 1
; LDSByteSize: 0 bytes/workgroup (compile time only)
; SGPRBlocks: 0
; VGPRBlocks: 0
; NumSGPRsForWavesPerEU: 6
; NumVGPRsForWavesPerEU: 1
; AccumOffset: 4
; Occupancy: 8
; WaveLimiterHint : 0
; COMPUTE_PGM_RSRC2:SCRATCH_EN: 0
; COMPUTE_PGM_RSRC2:USER_SGPR: 2
; COMPUTE_PGM_RSRC2:TRAP_HANDLER: 0
; COMPUTE_PGM_RSRC2:TGID_X_EN: 1
; COMPUTE_PGM_RSRC2:TGID_Y_EN: 0
; COMPUTE_PGM_RSRC2:TGID_Z_EN: 0
; COMPUTE_PGM_RSRC2:TIDIG_COMP_CNT: 0
; COMPUTE_PGM_RSRC3_GFX90A:ACCUM_OFFSET: 0
; COMPUTE_PGM_RSRC3_GFX90A:TG_SPLIT: 0
	.section	.text._ZN7rocprim17ROCPRIM_400000_NS6detail17trampoline_kernelINS0_14default_configENS1_35radix_sort_onesweep_config_selectorItNS0_10empty_typeEEEZNS1_34radix_sort_onesweep_global_offsetsIS3_Lb0EN6thrust23THRUST_200600_302600_NS6detail15normal_iteratorINS9_10device_ptrItEEEEPS5_jNS0_19identity_decomposerEEE10hipError_tT1_T2_PT3_SK_jT4_jjP12ihipStream_tbEUlT_E_NS1_11comp_targetILNS1_3genE6ELNS1_11target_archE950ELNS1_3gpuE13ELNS1_3repE0EEENS1_52radix_sort_onesweep_histogram_config_static_selectorELNS0_4arch9wavefront6targetE1EEEvSI_,"axG",@progbits,_ZN7rocprim17ROCPRIM_400000_NS6detail17trampoline_kernelINS0_14default_configENS1_35radix_sort_onesweep_config_selectorItNS0_10empty_typeEEEZNS1_34radix_sort_onesweep_global_offsetsIS3_Lb0EN6thrust23THRUST_200600_302600_NS6detail15normal_iteratorINS9_10device_ptrItEEEEPS5_jNS0_19identity_decomposerEEE10hipError_tT1_T2_PT3_SK_jT4_jjP12ihipStream_tbEUlT_E_NS1_11comp_targetILNS1_3genE6ELNS1_11target_archE950ELNS1_3gpuE13ELNS1_3repE0EEENS1_52radix_sort_onesweep_histogram_config_static_selectorELNS0_4arch9wavefront6targetE1EEEvSI_,comdat
	.protected	_ZN7rocprim17ROCPRIM_400000_NS6detail17trampoline_kernelINS0_14default_configENS1_35radix_sort_onesweep_config_selectorItNS0_10empty_typeEEEZNS1_34radix_sort_onesweep_global_offsetsIS3_Lb0EN6thrust23THRUST_200600_302600_NS6detail15normal_iteratorINS9_10device_ptrItEEEEPS5_jNS0_19identity_decomposerEEE10hipError_tT1_T2_PT3_SK_jT4_jjP12ihipStream_tbEUlT_E_NS1_11comp_targetILNS1_3genE6ELNS1_11target_archE950ELNS1_3gpuE13ELNS1_3repE0EEENS1_52radix_sort_onesweep_histogram_config_static_selectorELNS0_4arch9wavefront6targetE1EEEvSI_ ; -- Begin function _ZN7rocprim17ROCPRIM_400000_NS6detail17trampoline_kernelINS0_14default_configENS1_35radix_sort_onesweep_config_selectorItNS0_10empty_typeEEEZNS1_34radix_sort_onesweep_global_offsetsIS3_Lb0EN6thrust23THRUST_200600_302600_NS6detail15normal_iteratorINS9_10device_ptrItEEEEPS5_jNS0_19identity_decomposerEEE10hipError_tT1_T2_PT3_SK_jT4_jjP12ihipStream_tbEUlT_E_NS1_11comp_targetILNS1_3genE6ELNS1_11target_archE950ELNS1_3gpuE13ELNS1_3repE0EEENS1_52radix_sort_onesweep_histogram_config_static_selectorELNS0_4arch9wavefront6targetE1EEEvSI_
	.globl	_ZN7rocprim17ROCPRIM_400000_NS6detail17trampoline_kernelINS0_14default_configENS1_35radix_sort_onesweep_config_selectorItNS0_10empty_typeEEEZNS1_34radix_sort_onesweep_global_offsetsIS3_Lb0EN6thrust23THRUST_200600_302600_NS6detail15normal_iteratorINS9_10device_ptrItEEEEPS5_jNS0_19identity_decomposerEEE10hipError_tT1_T2_PT3_SK_jT4_jjP12ihipStream_tbEUlT_E_NS1_11comp_targetILNS1_3genE6ELNS1_11target_archE950ELNS1_3gpuE13ELNS1_3repE0EEENS1_52radix_sort_onesweep_histogram_config_static_selectorELNS0_4arch9wavefront6targetE1EEEvSI_
	.p2align	8
	.type	_ZN7rocprim17ROCPRIM_400000_NS6detail17trampoline_kernelINS0_14default_configENS1_35radix_sort_onesweep_config_selectorItNS0_10empty_typeEEEZNS1_34radix_sort_onesweep_global_offsetsIS3_Lb0EN6thrust23THRUST_200600_302600_NS6detail15normal_iteratorINS9_10device_ptrItEEEEPS5_jNS0_19identity_decomposerEEE10hipError_tT1_T2_PT3_SK_jT4_jjP12ihipStream_tbEUlT_E_NS1_11comp_targetILNS1_3genE6ELNS1_11target_archE950ELNS1_3gpuE13ELNS1_3repE0EEENS1_52radix_sort_onesweep_histogram_config_static_selectorELNS0_4arch9wavefront6targetE1EEEvSI_,@function
_ZN7rocprim17ROCPRIM_400000_NS6detail17trampoline_kernelINS0_14default_configENS1_35radix_sort_onesweep_config_selectorItNS0_10empty_typeEEEZNS1_34radix_sort_onesweep_global_offsetsIS3_Lb0EN6thrust23THRUST_200600_302600_NS6detail15normal_iteratorINS9_10device_ptrItEEEEPS5_jNS0_19identity_decomposerEEE10hipError_tT1_T2_PT3_SK_jT4_jjP12ihipStream_tbEUlT_E_NS1_11comp_targetILNS1_3genE6ELNS1_11target_archE950ELNS1_3gpuE13ELNS1_3repE0EEENS1_52radix_sort_onesweep_histogram_config_static_selectorELNS0_4arch9wavefront6targetE1EEEvSI_: ; @_ZN7rocprim17ROCPRIM_400000_NS6detail17trampoline_kernelINS0_14default_configENS1_35radix_sort_onesweep_config_selectorItNS0_10empty_typeEEEZNS1_34radix_sort_onesweep_global_offsetsIS3_Lb0EN6thrust23THRUST_200600_302600_NS6detail15normal_iteratorINS9_10device_ptrItEEEEPS5_jNS0_19identity_decomposerEEE10hipError_tT1_T2_PT3_SK_jT4_jjP12ihipStream_tbEUlT_E_NS1_11comp_targetILNS1_3genE6ELNS1_11target_archE950ELNS1_3gpuE13ELNS1_3repE0EEENS1_52radix_sort_onesweep_histogram_config_static_selectorELNS0_4arch9wavefront6targetE1EEEvSI_
; %bb.0:
	.section	.rodata,"a",@progbits
	.p2align	6, 0x0
	.amdhsa_kernel _ZN7rocprim17ROCPRIM_400000_NS6detail17trampoline_kernelINS0_14default_configENS1_35radix_sort_onesweep_config_selectorItNS0_10empty_typeEEEZNS1_34radix_sort_onesweep_global_offsetsIS3_Lb0EN6thrust23THRUST_200600_302600_NS6detail15normal_iteratorINS9_10device_ptrItEEEEPS5_jNS0_19identity_decomposerEEE10hipError_tT1_T2_PT3_SK_jT4_jjP12ihipStream_tbEUlT_E_NS1_11comp_targetILNS1_3genE6ELNS1_11target_archE950ELNS1_3gpuE13ELNS1_3repE0EEENS1_52radix_sort_onesweep_histogram_config_static_selectorELNS0_4arch9wavefront6targetE1EEEvSI_
		.amdhsa_group_segment_fixed_size 0
		.amdhsa_private_segment_fixed_size 0
		.amdhsa_kernarg_size 40
		.amdhsa_user_sgpr_count 2
		.amdhsa_user_sgpr_dispatch_ptr 0
		.amdhsa_user_sgpr_queue_ptr 0
		.amdhsa_user_sgpr_kernarg_segment_ptr 1
		.amdhsa_user_sgpr_dispatch_id 0
		.amdhsa_user_sgpr_kernarg_preload_length 0
		.amdhsa_user_sgpr_kernarg_preload_offset 0
		.amdhsa_user_sgpr_private_segment_size 0
		.amdhsa_uses_dynamic_stack 0
		.amdhsa_enable_private_segment 0
		.amdhsa_system_sgpr_workgroup_id_x 1
		.amdhsa_system_sgpr_workgroup_id_y 0
		.amdhsa_system_sgpr_workgroup_id_z 0
		.amdhsa_system_sgpr_workgroup_info 0
		.amdhsa_system_vgpr_workitem_id 0
		.amdhsa_next_free_vgpr 1
		.amdhsa_next_free_sgpr 0
		.amdhsa_accum_offset 4
		.amdhsa_reserve_vcc 0
		.amdhsa_float_round_mode_32 0
		.amdhsa_float_round_mode_16_64 0
		.amdhsa_float_denorm_mode_32 3
		.amdhsa_float_denorm_mode_16_64 3
		.amdhsa_dx10_clamp 1
		.amdhsa_ieee_mode 1
		.amdhsa_fp16_overflow 0
		.amdhsa_tg_split 0
		.amdhsa_exception_fp_ieee_invalid_op 0
		.amdhsa_exception_fp_denorm_src 0
		.amdhsa_exception_fp_ieee_div_zero 0
		.amdhsa_exception_fp_ieee_overflow 0
		.amdhsa_exception_fp_ieee_underflow 0
		.amdhsa_exception_fp_ieee_inexact 0
		.amdhsa_exception_int_div_zero 0
	.end_amdhsa_kernel
	.section	.text._ZN7rocprim17ROCPRIM_400000_NS6detail17trampoline_kernelINS0_14default_configENS1_35radix_sort_onesweep_config_selectorItNS0_10empty_typeEEEZNS1_34radix_sort_onesweep_global_offsetsIS3_Lb0EN6thrust23THRUST_200600_302600_NS6detail15normal_iteratorINS9_10device_ptrItEEEEPS5_jNS0_19identity_decomposerEEE10hipError_tT1_T2_PT3_SK_jT4_jjP12ihipStream_tbEUlT_E_NS1_11comp_targetILNS1_3genE6ELNS1_11target_archE950ELNS1_3gpuE13ELNS1_3repE0EEENS1_52radix_sort_onesweep_histogram_config_static_selectorELNS0_4arch9wavefront6targetE1EEEvSI_,"axG",@progbits,_ZN7rocprim17ROCPRIM_400000_NS6detail17trampoline_kernelINS0_14default_configENS1_35radix_sort_onesweep_config_selectorItNS0_10empty_typeEEEZNS1_34radix_sort_onesweep_global_offsetsIS3_Lb0EN6thrust23THRUST_200600_302600_NS6detail15normal_iteratorINS9_10device_ptrItEEEEPS5_jNS0_19identity_decomposerEEE10hipError_tT1_T2_PT3_SK_jT4_jjP12ihipStream_tbEUlT_E_NS1_11comp_targetILNS1_3genE6ELNS1_11target_archE950ELNS1_3gpuE13ELNS1_3repE0EEENS1_52radix_sort_onesweep_histogram_config_static_selectorELNS0_4arch9wavefront6targetE1EEEvSI_,comdat
.Lfunc_end1312:
	.size	_ZN7rocprim17ROCPRIM_400000_NS6detail17trampoline_kernelINS0_14default_configENS1_35radix_sort_onesweep_config_selectorItNS0_10empty_typeEEEZNS1_34radix_sort_onesweep_global_offsetsIS3_Lb0EN6thrust23THRUST_200600_302600_NS6detail15normal_iteratorINS9_10device_ptrItEEEEPS5_jNS0_19identity_decomposerEEE10hipError_tT1_T2_PT3_SK_jT4_jjP12ihipStream_tbEUlT_E_NS1_11comp_targetILNS1_3genE6ELNS1_11target_archE950ELNS1_3gpuE13ELNS1_3repE0EEENS1_52radix_sort_onesweep_histogram_config_static_selectorELNS0_4arch9wavefront6targetE1EEEvSI_, .Lfunc_end1312-_ZN7rocprim17ROCPRIM_400000_NS6detail17trampoline_kernelINS0_14default_configENS1_35radix_sort_onesweep_config_selectorItNS0_10empty_typeEEEZNS1_34radix_sort_onesweep_global_offsetsIS3_Lb0EN6thrust23THRUST_200600_302600_NS6detail15normal_iteratorINS9_10device_ptrItEEEEPS5_jNS0_19identity_decomposerEEE10hipError_tT1_T2_PT3_SK_jT4_jjP12ihipStream_tbEUlT_E_NS1_11comp_targetILNS1_3genE6ELNS1_11target_archE950ELNS1_3gpuE13ELNS1_3repE0EEENS1_52radix_sort_onesweep_histogram_config_static_selectorELNS0_4arch9wavefront6targetE1EEEvSI_
                                        ; -- End function
	.section	.AMDGPU.csdata,"",@progbits
; Kernel info:
; codeLenInByte = 0
; NumSgprs: 6
; NumVgprs: 0
; NumAgprs: 0
; TotalNumVgprs: 0
; ScratchSize: 0
; MemoryBound: 0
; FloatMode: 240
; IeeeMode: 1
; LDSByteSize: 0 bytes/workgroup (compile time only)
; SGPRBlocks: 0
; VGPRBlocks: 0
; NumSGPRsForWavesPerEU: 6
; NumVGPRsForWavesPerEU: 1
; AccumOffset: 4
; Occupancy: 8
; WaveLimiterHint : 0
; COMPUTE_PGM_RSRC2:SCRATCH_EN: 0
; COMPUTE_PGM_RSRC2:USER_SGPR: 2
; COMPUTE_PGM_RSRC2:TRAP_HANDLER: 0
; COMPUTE_PGM_RSRC2:TGID_X_EN: 1
; COMPUTE_PGM_RSRC2:TGID_Y_EN: 0
; COMPUTE_PGM_RSRC2:TGID_Z_EN: 0
; COMPUTE_PGM_RSRC2:TIDIG_COMP_CNT: 0
; COMPUTE_PGM_RSRC3_GFX90A:ACCUM_OFFSET: 0
; COMPUTE_PGM_RSRC3_GFX90A:TG_SPLIT: 0
	.section	.text._ZN7rocprim17ROCPRIM_400000_NS6detail17trampoline_kernelINS0_14default_configENS1_35radix_sort_onesweep_config_selectorItNS0_10empty_typeEEEZNS1_34radix_sort_onesweep_global_offsetsIS3_Lb0EN6thrust23THRUST_200600_302600_NS6detail15normal_iteratorINS9_10device_ptrItEEEEPS5_jNS0_19identity_decomposerEEE10hipError_tT1_T2_PT3_SK_jT4_jjP12ihipStream_tbEUlT_E_NS1_11comp_targetILNS1_3genE5ELNS1_11target_archE942ELNS1_3gpuE9ELNS1_3repE0EEENS1_52radix_sort_onesweep_histogram_config_static_selectorELNS0_4arch9wavefront6targetE1EEEvSI_,"axG",@progbits,_ZN7rocprim17ROCPRIM_400000_NS6detail17trampoline_kernelINS0_14default_configENS1_35radix_sort_onesweep_config_selectorItNS0_10empty_typeEEEZNS1_34radix_sort_onesweep_global_offsetsIS3_Lb0EN6thrust23THRUST_200600_302600_NS6detail15normal_iteratorINS9_10device_ptrItEEEEPS5_jNS0_19identity_decomposerEEE10hipError_tT1_T2_PT3_SK_jT4_jjP12ihipStream_tbEUlT_E_NS1_11comp_targetILNS1_3genE5ELNS1_11target_archE942ELNS1_3gpuE9ELNS1_3repE0EEENS1_52radix_sort_onesweep_histogram_config_static_selectorELNS0_4arch9wavefront6targetE1EEEvSI_,comdat
	.protected	_ZN7rocprim17ROCPRIM_400000_NS6detail17trampoline_kernelINS0_14default_configENS1_35radix_sort_onesweep_config_selectorItNS0_10empty_typeEEEZNS1_34radix_sort_onesweep_global_offsetsIS3_Lb0EN6thrust23THRUST_200600_302600_NS6detail15normal_iteratorINS9_10device_ptrItEEEEPS5_jNS0_19identity_decomposerEEE10hipError_tT1_T2_PT3_SK_jT4_jjP12ihipStream_tbEUlT_E_NS1_11comp_targetILNS1_3genE5ELNS1_11target_archE942ELNS1_3gpuE9ELNS1_3repE0EEENS1_52radix_sort_onesweep_histogram_config_static_selectorELNS0_4arch9wavefront6targetE1EEEvSI_ ; -- Begin function _ZN7rocprim17ROCPRIM_400000_NS6detail17trampoline_kernelINS0_14default_configENS1_35radix_sort_onesweep_config_selectorItNS0_10empty_typeEEEZNS1_34radix_sort_onesweep_global_offsetsIS3_Lb0EN6thrust23THRUST_200600_302600_NS6detail15normal_iteratorINS9_10device_ptrItEEEEPS5_jNS0_19identity_decomposerEEE10hipError_tT1_T2_PT3_SK_jT4_jjP12ihipStream_tbEUlT_E_NS1_11comp_targetILNS1_3genE5ELNS1_11target_archE942ELNS1_3gpuE9ELNS1_3repE0EEENS1_52radix_sort_onesweep_histogram_config_static_selectorELNS0_4arch9wavefront6targetE1EEEvSI_
	.globl	_ZN7rocprim17ROCPRIM_400000_NS6detail17trampoline_kernelINS0_14default_configENS1_35radix_sort_onesweep_config_selectorItNS0_10empty_typeEEEZNS1_34radix_sort_onesweep_global_offsetsIS3_Lb0EN6thrust23THRUST_200600_302600_NS6detail15normal_iteratorINS9_10device_ptrItEEEEPS5_jNS0_19identity_decomposerEEE10hipError_tT1_T2_PT3_SK_jT4_jjP12ihipStream_tbEUlT_E_NS1_11comp_targetILNS1_3genE5ELNS1_11target_archE942ELNS1_3gpuE9ELNS1_3repE0EEENS1_52radix_sort_onesweep_histogram_config_static_selectorELNS0_4arch9wavefront6targetE1EEEvSI_
	.p2align	8
	.type	_ZN7rocprim17ROCPRIM_400000_NS6detail17trampoline_kernelINS0_14default_configENS1_35radix_sort_onesweep_config_selectorItNS0_10empty_typeEEEZNS1_34radix_sort_onesweep_global_offsetsIS3_Lb0EN6thrust23THRUST_200600_302600_NS6detail15normal_iteratorINS9_10device_ptrItEEEEPS5_jNS0_19identity_decomposerEEE10hipError_tT1_T2_PT3_SK_jT4_jjP12ihipStream_tbEUlT_E_NS1_11comp_targetILNS1_3genE5ELNS1_11target_archE942ELNS1_3gpuE9ELNS1_3repE0EEENS1_52radix_sort_onesweep_histogram_config_static_selectorELNS0_4arch9wavefront6targetE1EEEvSI_,@function
_ZN7rocprim17ROCPRIM_400000_NS6detail17trampoline_kernelINS0_14default_configENS1_35radix_sort_onesweep_config_selectorItNS0_10empty_typeEEEZNS1_34radix_sort_onesweep_global_offsetsIS3_Lb0EN6thrust23THRUST_200600_302600_NS6detail15normal_iteratorINS9_10device_ptrItEEEEPS5_jNS0_19identity_decomposerEEE10hipError_tT1_T2_PT3_SK_jT4_jjP12ihipStream_tbEUlT_E_NS1_11comp_targetILNS1_3genE5ELNS1_11target_archE942ELNS1_3gpuE9ELNS1_3repE0EEENS1_52radix_sort_onesweep_histogram_config_static_selectorELNS0_4arch9wavefront6targetE1EEEvSI_: ; @_ZN7rocprim17ROCPRIM_400000_NS6detail17trampoline_kernelINS0_14default_configENS1_35radix_sort_onesweep_config_selectorItNS0_10empty_typeEEEZNS1_34radix_sort_onesweep_global_offsetsIS3_Lb0EN6thrust23THRUST_200600_302600_NS6detail15normal_iteratorINS9_10device_ptrItEEEEPS5_jNS0_19identity_decomposerEEE10hipError_tT1_T2_PT3_SK_jT4_jjP12ihipStream_tbEUlT_E_NS1_11comp_targetILNS1_3genE5ELNS1_11target_archE942ELNS1_3gpuE9ELNS1_3repE0EEENS1_52radix_sort_onesweep_histogram_config_static_selectorELNS0_4arch9wavefront6targetE1EEEvSI_
; %bb.0:
	s_load_dword s11, s[0:1], 0x14
	s_load_dwordx4 s[4:7], s[0:1], 0x0
	s_load_dwordx2 s[8:9], s[0:1], 0x1c
	s_lshl_b32 s10, s2, 15
	s_waitcnt lgkmcnt(0)
	s_cmp_ge_u32 s2, s11
	s_mov_b64 s[2:3], -1
	s_cbranch_scc0 .LBB1313_295
; %bb.1:
	s_load_dword s2, s[0:1], 0x10
	s_lshl_b32 s3, s11, 15
	s_mov_b32 s11, 0
	s_lshl_b64 s[0:1], s[10:11], 1
                                        ; implicit-def: $vgpr63
	s_waitcnt lgkmcnt(0)
	s_sub_i32 s11, s2, s3
	s_add_u32 s0, s4, s0
	s_addc_u32 s1, s5, s1
	v_cmp_gt_u32_e32 vcc, s11, v0
	s_and_saveexec_b64 s[2:3], vcc
	s_cbranch_execz .LBB1313_3
; %bb.2:
	v_lshlrev_b32_e32 v1, 1, v0
	global_load_ushort v63, v1, s[0:1]
.LBB1313_3:
	s_or_b64 exec, exec, s[2:3]
	v_or_b32_e32 v64, 0x400, v0
	v_cmp_gt_u32_e32 vcc, s11, v64
                                        ; implicit-def: $vgpr61
	s_and_saveexec_b64 s[2:3], vcc
	s_cbranch_execz .LBB1313_5
; %bb.4:
	v_lshlrev_b32_e32 v1, 1, v0
	global_load_ushort v61, v1, s[0:1] offset:2048
.LBB1313_5:
	s_or_b64 exec, exec, s[2:3]
	v_or_b32_e32 v62, 0x800, v0
	v_cmp_gt_u32_e32 vcc, s11, v62
                                        ; implicit-def: $vgpr59
	s_and_saveexec_b64 s[2:3], vcc
	s_cbranch_execz .LBB1313_7
; %bb.6:
	v_lshlrev_b32_e32 v1, 1, v62
	global_load_ushort v59, v1, s[0:1]
.LBB1313_7:
	s_or_b64 exec, exec, s[2:3]
	v_or_b32_e32 v60, 0xc00, v0
	v_cmp_gt_u32_e32 vcc, s11, v60
                                        ; implicit-def: $vgpr57
	s_and_saveexec_b64 s[2:3], vcc
	s_cbranch_execz .LBB1313_9
; %bb.8:
	v_lshlrev_b32_e32 v1, 1, v60
	global_load_ushort v57, v1, s[0:1]
.LBB1313_9:
	s_or_b64 exec, exec, s[2:3]
	v_or_b32_e32 v58, 0x1000, v0
	v_cmp_gt_u32_e32 vcc, s11, v58
                                        ; implicit-def: $vgpr55
	s_and_saveexec_b64 s[2:3], vcc
	s_cbranch_execz .LBB1313_11
; %bb.10:
	v_lshlrev_b32_e32 v1, 1, v58
	global_load_ushort v55, v1, s[0:1]
.LBB1313_11:
	s_or_b64 exec, exec, s[2:3]
	v_or_b32_e32 v56, 0x1400, v0
	v_cmp_gt_u32_e32 vcc, s11, v56
                                        ; implicit-def: $vgpr53
	s_and_saveexec_b64 s[2:3], vcc
	s_cbranch_execz .LBB1313_13
; %bb.12:
	v_lshlrev_b32_e32 v1, 1, v56
	global_load_ushort v53, v1, s[0:1]
.LBB1313_13:
	s_or_b64 exec, exec, s[2:3]
	v_or_b32_e32 v54, 0x1800, v0
	v_cmp_gt_u32_e32 vcc, s11, v54
                                        ; implicit-def: $vgpr51
	s_and_saveexec_b64 s[2:3], vcc
	s_cbranch_execz .LBB1313_15
; %bb.14:
	v_lshlrev_b32_e32 v1, 1, v54
	global_load_ushort v51, v1, s[0:1]
.LBB1313_15:
	s_or_b64 exec, exec, s[2:3]
	v_or_b32_e32 v52, 0x1c00, v0
	v_cmp_gt_u32_e32 vcc, s11, v52
                                        ; implicit-def: $vgpr49
	s_and_saveexec_b64 s[2:3], vcc
	s_cbranch_execz .LBB1313_17
; %bb.16:
	v_lshlrev_b32_e32 v1, 1, v52
	global_load_ushort v49, v1, s[0:1]
.LBB1313_17:
	s_or_b64 exec, exec, s[2:3]
	v_or_b32_e32 v50, 0x2000, v0
	v_cmp_gt_u32_e32 vcc, s11, v50
                                        ; implicit-def: $vgpr47
	s_and_saveexec_b64 s[2:3], vcc
	s_cbranch_execz .LBB1313_19
; %bb.18:
	v_lshlrev_b32_e32 v1, 1, v50
	global_load_ushort v47, v1, s[0:1]
.LBB1313_19:
	s_or_b64 exec, exec, s[2:3]
	v_or_b32_e32 v48, 0x2400, v0
	v_cmp_gt_u32_e32 vcc, s11, v48
                                        ; implicit-def: $vgpr45
	s_and_saveexec_b64 s[2:3], vcc
	s_cbranch_execz .LBB1313_21
; %bb.20:
	v_lshlrev_b32_e32 v1, 1, v48
	global_load_ushort v45, v1, s[0:1]
.LBB1313_21:
	s_or_b64 exec, exec, s[2:3]
	v_or_b32_e32 v46, 0x2800, v0
	v_cmp_gt_u32_e32 vcc, s11, v46
                                        ; implicit-def: $vgpr43
	s_and_saveexec_b64 s[2:3], vcc
	s_cbranch_execz .LBB1313_23
; %bb.22:
	v_lshlrev_b32_e32 v1, 1, v46
	global_load_ushort v43, v1, s[0:1]
.LBB1313_23:
	s_or_b64 exec, exec, s[2:3]
	v_or_b32_e32 v44, 0x2c00, v0
	v_cmp_gt_u32_e32 vcc, s11, v44
                                        ; implicit-def: $vgpr41
	s_and_saveexec_b64 s[2:3], vcc
	s_cbranch_execz .LBB1313_25
; %bb.24:
	v_lshlrev_b32_e32 v1, 1, v44
	global_load_ushort v41, v1, s[0:1]
.LBB1313_25:
	s_or_b64 exec, exec, s[2:3]
	v_or_b32_e32 v42, 0x3000, v0
	v_cmp_gt_u32_e32 vcc, s11, v42
                                        ; implicit-def: $vgpr39
	s_and_saveexec_b64 s[2:3], vcc
	s_cbranch_execz .LBB1313_27
; %bb.26:
	v_lshlrev_b32_e32 v1, 1, v42
	global_load_ushort v39, v1, s[0:1]
.LBB1313_27:
	s_or_b64 exec, exec, s[2:3]
	v_or_b32_e32 v40, 0x3400, v0
	v_cmp_gt_u32_e32 vcc, s11, v40
                                        ; implicit-def: $vgpr37
	s_and_saveexec_b64 s[2:3], vcc
	s_cbranch_execz .LBB1313_29
; %bb.28:
	v_lshlrev_b32_e32 v1, 1, v40
	global_load_ushort v37, v1, s[0:1]
.LBB1313_29:
	s_or_b64 exec, exec, s[2:3]
	v_or_b32_e32 v38, 0x3800, v0
	v_cmp_gt_u32_e32 vcc, s11, v38
                                        ; implicit-def: $vgpr35
	s_and_saveexec_b64 s[2:3], vcc
	s_cbranch_execz .LBB1313_31
; %bb.30:
	v_lshlrev_b32_e32 v1, 1, v38
	global_load_ushort v35, v1, s[0:1]
.LBB1313_31:
	s_or_b64 exec, exec, s[2:3]
	v_or_b32_e32 v36, 0x3c00, v0
	v_cmp_gt_u32_e32 vcc, s11, v36
                                        ; implicit-def: $vgpr33
	s_and_saveexec_b64 s[2:3], vcc
	s_cbranch_execz .LBB1313_33
; %bb.32:
	v_lshlrev_b32_e32 v1, 1, v36
	global_load_ushort v33, v1, s[0:1]
.LBB1313_33:
	s_or_b64 exec, exec, s[2:3]
	v_or_b32_e32 v34, 0x4000, v0
	v_cmp_gt_u32_e32 vcc, s11, v34
                                        ; implicit-def: $vgpr31
	s_and_saveexec_b64 s[2:3], vcc
	s_cbranch_execz .LBB1313_35
; %bb.34:
	v_lshlrev_b32_e32 v1, 1, v34
	global_load_ushort v31, v1, s[0:1]
.LBB1313_35:
	s_or_b64 exec, exec, s[2:3]
	v_or_b32_e32 v32, 0x4400, v0
	v_cmp_gt_u32_e32 vcc, s11, v32
                                        ; implicit-def: $vgpr29
	s_and_saveexec_b64 s[2:3], vcc
	s_cbranch_execz .LBB1313_37
; %bb.36:
	v_lshlrev_b32_e32 v1, 1, v32
	global_load_ushort v29, v1, s[0:1]
.LBB1313_37:
	s_or_b64 exec, exec, s[2:3]
	v_or_b32_e32 v30, 0x4800, v0
	v_cmp_gt_u32_e32 vcc, s11, v30
                                        ; implicit-def: $vgpr27
	s_and_saveexec_b64 s[2:3], vcc
	s_cbranch_execz .LBB1313_39
; %bb.38:
	v_lshlrev_b32_e32 v1, 1, v30
	global_load_ushort v27, v1, s[0:1]
.LBB1313_39:
	s_or_b64 exec, exec, s[2:3]
	v_or_b32_e32 v28, 0x4c00, v0
	v_cmp_gt_u32_e32 vcc, s11, v28
                                        ; implicit-def: $vgpr25
	s_and_saveexec_b64 s[2:3], vcc
	s_cbranch_execz .LBB1313_41
; %bb.40:
	v_lshlrev_b32_e32 v1, 1, v28
	global_load_ushort v25, v1, s[0:1]
.LBB1313_41:
	s_or_b64 exec, exec, s[2:3]
	v_or_b32_e32 v26, 0x5000, v0
	v_cmp_gt_u32_e32 vcc, s11, v26
                                        ; implicit-def: $vgpr23
	s_and_saveexec_b64 s[2:3], vcc
	s_cbranch_execz .LBB1313_43
; %bb.42:
	v_lshlrev_b32_e32 v1, 1, v26
	global_load_ushort v23, v1, s[0:1]
.LBB1313_43:
	s_or_b64 exec, exec, s[2:3]
	v_or_b32_e32 v24, 0x5400, v0
	v_cmp_gt_u32_e32 vcc, s11, v24
                                        ; implicit-def: $vgpr21
	s_and_saveexec_b64 s[2:3], vcc
	s_cbranch_execz .LBB1313_45
; %bb.44:
	v_lshlrev_b32_e32 v1, 1, v24
	global_load_ushort v21, v1, s[0:1]
.LBB1313_45:
	s_or_b64 exec, exec, s[2:3]
	v_or_b32_e32 v22, 0x5800, v0
	v_cmp_gt_u32_e32 vcc, s11, v22
                                        ; implicit-def: $vgpr19
	s_and_saveexec_b64 s[2:3], vcc
	s_cbranch_execz .LBB1313_47
; %bb.46:
	v_lshlrev_b32_e32 v1, 1, v22
	global_load_ushort v19, v1, s[0:1]
.LBB1313_47:
	s_or_b64 exec, exec, s[2:3]
	v_or_b32_e32 v20, 0x5c00, v0
	v_cmp_gt_u32_e32 vcc, s11, v20
                                        ; implicit-def: $vgpr17
	s_and_saveexec_b64 s[2:3], vcc
	s_cbranch_execz .LBB1313_49
; %bb.48:
	v_lshlrev_b32_e32 v1, 1, v20
	global_load_ushort v17, v1, s[0:1]
.LBB1313_49:
	s_or_b64 exec, exec, s[2:3]
	v_or_b32_e32 v18, 0x6000, v0
	v_cmp_gt_u32_e32 vcc, s11, v18
                                        ; implicit-def: $vgpr15
	s_and_saveexec_b64 s[2:3], vcc
	s_cbranch_execz .LBB1313_51
; %bb.50:
	v_lshlrev_b32_e32 v1, 1, v18
	global_load_ushort v15, v1, s[0:1]
.LBB1313_51:
	s_or_b64 exec, exec, s[2:3]
	v_or_b32_e32 v16, 0x6400, v0
	v_cmp_gt_u32_e32 vcc, s11, v16
                                        ; implicit-def: $vgpr13
	s_and_saveexec_b64 s[2:3], vcc
	s_cbranch_execz .LBB1313_53
; %bb.52:
	v_lshlrev_b32_e32 v1, 1, v16
	global_load_ushort v13, v1, s[0:1]
.LBB1313_53:
	s_or_b64 exec, exec, s[2:3]
	v_or_b32_e32 v14, 0x6800, v0
	v_cmp_gt_u32_e32 vcc, s11, v14
                                        ; implicit-def: $vgpr11
	s_and_saveexec_b64 s[2:3], vcc
	s_cbranch_execz .LBB1313_55
; %bb.54:
	v_lshlrev_b32_e32 v1, 1, v14
	global_load_ushort v11, v1, s[0:1]
.LBB1313_55:
	s_or_b64 exec, exec, s[2:3]
	v_or_b32_e32 v12, 0x6c00, v0
	v_cmp_gt_u32_e32 vcc, s11, v12
                                        ; implicit-def: $vgpr9
	s_and_saveexec_b64 s[2:3], vcc
	s_cbranch_execz .LBB1313_57
; %bb.56:
	v_lshlrev_b32_e32 v1, 1, v12
	global_load_ushort v9, v1, s[0:1]
.LBB1313_57:
	s_or_b64 exec, exec, s[2:3]
	v_or_b32_e32 v10, 0x7000, v0
	v_cmp_gt_u32_e32 vcc, s11, v10
                                        ; implicit-def: $vgpr7
	s_and_saveexec_b64 s[2:3], vcc
	s_cbranch_execz .LBB1313_59
; %bb.58:
	v_lshlrev_b32_e32 v1, 1, v10
	global_load_ushort v7, v1, s[0:1]
.LBB1313_59:
	s_or_b64 exec, exec, s[2:3]
	v_or_b32_e32 v8, 0x7400, v0
	v_cmp_gt_u32_e32 vcc, s11, v8
                                        ; implicit-def: $vgpr5
	s_and_saveexec_b64 s[2:3], vcc
	s_cbranch_execz .LBB1313_61
; %bb.60:
	v_lshlrev_b32_e32 v1, 1, v8
	global_load_ushort v5, v1, s[0:1]
.LBB1313_61:
	s_or_b64 exec, exec, s[2:3]
	v_or_b32_e32 v6, 0x7800, v0
	v_cmp_gt_u32_e32 vcc, s11, v6
                                        ; implicit-def: $vgpr3
	s_and_saveexec_b64 s[2:3], vcc
	s_cbranch_execz .LBB1313_63
; %bb.62:
	v_lshlrev_b32_e32 v1, 1, v6
	global_load_ushort v3, v1, s[0:1]
.LBB1313_63:
	s_or_b64 exec, exec, s[2:3]
	v_or_b32_e32 v4, 0x7c00, v0
	v_cmp_gt_u32_e32 vcc, s11, v4
                                        ; implicit-def: $vgpr1
	s_and_saveexec_b64 s[2:3], vcc
	s_cbranch_execz .LBB1313_65
; %bb.64:
	v_lshlrev_b32_e32 v1, 1, v4
	global_load_ushort v1, v1, s[0:1]
.LBB1313_65:
	s_or_b64 exec, exec, s[2:3]
	s_cmp_ge_u32 s8, s9
	s_cselect_b64 s[2:3], -1, 0
	v_cmp_le_u32_e32 vcc, s11, v0
	s_and_b64 s[0:1], s[2:3], exec
	v_lshlrev_b32_e32 v65, 2, v0
	v_mov_b32_e32 v66, 0
	s_cselect_b32 s16, 8, 10
	s_or_b64 s[0:1], s[2:3], vcc
	v_and_b32_e32 v2, 3, v0
	ds_write2st64_b32 v65, v66, v66 offset1:16
	s_xor_b64 s[12:13], s[0:1], -1
	v_mov_b32_e32 v65, s16
	s_waitcnt lgkmcnt(0)
	s_barrier
	s_and_saveexec_b64 s[0:1], s[12:13]
	s_cbranch_execz .LBB1313_67
; %bb.66:
	s_sub_i32 s12, s9, s8
	s_min_u32 s12, s12, 8
	s_waitcnt vmcnt(0)
	v_lshrrev_b32_sdwa v65, s8, v63 dst_sel:DWORD dst_unused:UNUSED_PAD src0_sel:DWORD src1_sel:WORD_0
	v_bfe_u32 v65, v65, 0, s12
	v_lshlrev_b32_e32 v66, 2, v2
	v_lshl_or_b32 v65, v65, 4, v66
	v_mov_b32_e32 v66, 1
	ds_add_u32 v65, v66
	v_mov_b32_e32 v65, 0
.LBB1313_67:
	s_or_b64 exec, exec, s[0:1]
	v_cmp_gt_i32_e64 s[0:1], 10, v65
	s_mov_b64 s[12:13], -1
	s_and_saveexec_b64 s[14:15], s[0:1]
; %bb.68:
	v_cmp_eq_u32_e64 s[0:1], 0, v65
	s_orn2_b64 s[12:13], s[0:1], exec
; %bb.69:
	s_or_b64 exec, exec, s[14:15]
	s_and_saveexec_b64 s[0:1], s[12:13]
	s_cbranch_execz .LBB1313_72
; %bb.70:
	s_add_i32 s12, s8, 8
	s_cmp_gt_u32 s9, s12
	s_cselect_b64 s[14:15], -1, 0
	s_xor_b64 s[18:19], vcc, -1
	s_and_b64 s[14:15], s[14:15], s[18:19]
	s_and_b64 exec, exec, s[14:15]
	s_cbranch_execz .LBB1313_72
; %bb.71:
	s_sub_i32 s13, s9, s12
	s_min_u32 s13, s13, 8
	s_waitcnt vmcnt(0)
	v_lshrrev_b32_sdwa v63, s12, v63 dst_sel:DWORD dst_unused:UNUSED_PAD src0_sel:DWORD src1_sel:WORD_0
	v_bfe_u32 v63, v63, 0, s13
	v_lshlrev_b32_e32 v65, 2, v2
	v_lshl_or_b32 v63, v63, 4, v65
	v_mov_b32_e32 v65, 1
	ds_add_u32 v63, v65 offset:4096
.LBB1313_72:
	s_or_b64 exec, exec, s[0:1]
	v_cmp_le_u32_e32 vcc, s11, v64
	s_or_b64 s[0:1], s[2:3], vcc
	s_xor_b64 s[12:13], s[0:1], -1
	s_waitcnt vmcnt(0)
	v_mov_b32_e32 v63, s16
	s_and_saveexec_b64 s[0:1], s[12:13]
	s_cbranch_execz .LBB1313_74
; %bb.73:
	s_sub_i32 s12, s9, s8
	s_min_u32 s12, s12, 8
	v_lshrrev_b32_sdwa v63, s8, v61 dst_sel:DWORD dst_unused:UNUSED_PAD src0_sel:DWORD src1_sel:WORD_0
	v_bfe_u32 v63, v63, 0, s12
	v_lshlrev_b32_e32 v64, 2, v2
	v_lshl_or_b32 v63, v63, 4, v64
	v_mov_b32_e32 v64, 1
	ds_add_u32 v63, v64
	v_mov_b32_e32 v63, 0
.LBB1313_74:
	s_or_b64 exec, exec, s[0:1]
	v_cmp_gt_i32_e64 s[0:1], 10, v63
	s_mov_b64 s[12:13], -1
	s_and_saveexec_b64 s[14:15], s[0:1]
; %bb.75:
	v_cmp_eq_u32_e64 s[0:1], 0, v63
	s_orn2_b64 s[12:13], s[0:1], exec
; %bb.76:
	s_or_b64 exec, exec, s[14:15]
	s_and_saveexec_b64 s[0:1], s[12:13]
	s_cbranch_execz .LBB1313_79
; %bb.77:
	s_add_i32 s12, s8, 8
	s_cmp_gt_u32 s9, s12
	s_cselect_b64 s[14:15], -1, 0
	s_xor_b64 s[18:19], vcc, -1
	s_and_b64 s[14:15], s[14:15], s[18:19]
	s_and_b64 exec, exec, s[14:15]
	s_cbranch_execz .LBB1313_79
; %bb.78:
	s_sub_i32 s13, s9, s12
	s_min_u32 s13, s13, 8
	v_lshrrev_b32_sdwa v61, s12, v61 dst_sel:DWORD dst_unused:UNUSED_PAD src0_sel:DWORD src1_sel:WORD_0
	v_bfe_u32 v61, v61, 0, s13
	v_lshlrev_b32_e32 v63, 2, v2
	v_lshl_or_b32 v61, v61, 4, v63
	v_mov_b32_e32 v63, 1
	ds_add_u32 v61, v63 offset:4096
.LBB1313_79:
	s_or_b64 exec, exec, s[0:1]
	v_cmp_le_u32_e32 vcc, s11, v62
	s_or_b64 s[0:1], s[2:3], vcc
	s_xor_b64 s[12:13], s[0:1], -1
	v_mov_b32_e32 v61, s16
	s_and_saveexec_b64 s[0:1], s[12:13]
	s_cbranch_execz .LBB1313_81
; %bb.80:
	s_sub_i32 s12, s9, s8
	s_min_u32 s12, s12, 8
	v_lshrrev_b32_sdwa v61, s8, v59 dst_sel:DWORD dst_unused:UNUSED_PAD src0_sel:DWORD src1_sel:WORD_0
	v_bfe_u32 v61, v61, 0, s12
	v_lshlrev_b32_e32 v62, 2, v2
	v_lshl_or_b32 v61, v61, 4, v62
	v_mov_b32_e32 v62, 1
	ds_add_u32 v61, v62
	v_mov_b32_e32 v61, 0
.LBB1313_81:
	s_or_b64 exec, exec, s[0:1]
	v_cmp_gt_i32_e64 s[0:1], 10, v61
	s_mov_b64 s[12:13], -1
	s_and_saveexec_b64 s[14:15], s[0:1]
; %bb.82:
	v_cmp_eq_u32_e64 s[0:1], 0, v61
	s_orn2_b64 s[12:13], s[0:1], exec
; %bb.83:
	s_or_b64 exec, exec, s[14:15]
	s_and_saveexec_b64 s[0:1], s[12:13]
	s_cbranch_execz .LBB1313_86
; %bb.84:
	s_add_i32 s12, s8, 8
	s_cmp_gt_u32 s9, s12
	s_cselect_b64 s[14:15], -1, 0
	s_xor_b64 s[18:19], vcc, -1
	s_and_b64 s[14:15], s[14:15], s[18:19]
	s_and_b64 exec, exec, s[14:15]
	s_cbranch_execz .LBB1313_86
; %bb.85:
	s_sub_i32 s13, s9, s12
	s_min_u32 s13, s13, 8
	v_lshrrev_b32_sdwa v59, s12, v59 dst_sel:DWORD dst_unused:UNUSED_PAD src0_sel:DWORD src1_sel:WORD_0
	v_bfe_u32 v59, v59, 0, s13
	v_lshlrev_b32_e32 v61, 2, v2
	v_lshl_or_b32 v59, v59, 4, v61
	v_mov_b32_e32 v61, 1
	ds_add_u32 v59, v61 offset:4096
.LBB1313_86:
	s_or_b64 exec, exec, s[0:1]
	v_cmp_le_u32_e32 vcc, s11, v60
	s_or_b64 s[0:1], s[2:3], vcc
	s_xor_b64 s[12:13], s[0:1], -1
	;; [unrolled: 47-line block ×30, first 2 shown]
	v_mov_b32_e32 v3, s16
	s_and_saveexec_b64 s[0:1], s[2:3]
	s_cbranch_execz .LBB1313_284
; %bb.283:
	s_sub_i32 s2, s9, s8
	s_min_u32 s2, s2, 8
	v_lshrrev_b32_sdwa v3, s8, v1 dst_sel:DWORD dst_unused:UNUSED_PAD src0_sel:DWORD src1_sel:WORD_0
	v_bfe_u32 v3, v3, 0, s2
	v_lshlrev_b32_e32 v4, 2, v2
	v_lshl_or_b32 v3, v3, 4, v4
	v_mov_b32_e32 v4, 1
	ds_add_u32 v3, v4
	v_mov_b32_e32 v3, 0
.LBB1313_284:
	s_or_b64 exec, exec, s[0:1]
	v_cmp_gt_i32_e64 s[0:1], 10, v3
	s_mov_b64 s[2:3], -1
	s_and_saveexec_b64 s[12:13], s[0:1]
; %bb.285:
	v_cmp_eq_u32_e64 s[0:1], 0, v3
	s_orn2_b64 s[2:3], s[0:1], exec
; %bb.286:
	s_or_b64 exec, exec, s[12:13]
	s_and_saveexec_b64 s[0:1], s[2:3]
	s_cbranch_execz .LBB1313_289
; %bb.287:
	s_add_i32 s2, s8, 8
	s_cmp_gt_u32 s9, s2
	s_cselect_b64 s[12:13], -1, 0
	s_xor_b64 s[14:15], vcc, -1
	s_and_b64 s[12:13], s[12:13], s[14:15]
	s_and_b64 exec, exec, s[12:13]
	s_cbranch_execz .LBB1313_289
; %bb.288:
	s_sub_i32 s3, s9, s2
	s_min_u32 s3, s3, 8
	v_lshrrev_b32_sdwa v1, s2, v1 dst_sel:DWORD dst_unused:UNUSED_PAD src0_sel:DWORD src1_sel:WORD_0
	v_bfe_u32 v1, v1, 0, s3
	v_lshlrev_b32_e32 v2, 2, v2
	v_lshl_or_b32 v1, v1, 4, v2
	v_mov_b32_e32 v2, 1
	ds_add_u32 v1, v2 offset:4096
.LBB1313_289:
	s_or_b64 exec, exec, s[0:1]
	s_cmp_lt_u32 s8, s9
	s_waitcnt lgkmcnt(0)
	s_barrier
	s_cbranch_scc0 .LBB1313_294
; %bb.290:
	s_movk_i32 s0, 0x100
	v_cmp_gt_u32_e32 vcc, s0, v0
	v_lshlrev_b32_e32 v1, 4, v0
	v_mov_b32_e32 v3, 0
	v_mov_b32_e32 v2, v0
	s_mov_b32 s2, s8
	s_branch .LBB1313_292
.LBB1313_291:                           ;   in Loop: Header=BB1313_292 Depth=1
	s_or_b64 exec, exec, s[0:1]
	s_add_i32 s2, s2, 8
	v_add_u32_e32 v2, 0x100, v2
	s_cmp_lt_u32 s2, s9
	v_add_u32_e32 v1, 0x1000, v1
	s_cbranch_scc0 .LBB1313_294
.LBB1313_292:                           ; =>This Inner Loop Header: Depth=1
	s_and_saveexec_b64 s[0:1], vcc
	s_cbranch_execz .LBB1313_291
; %bb.293:                              ;   in Loop: Header=BB1313_292 Depth=1
	ds_read2_b32 v[4:5], v1 offset1:1
	ds_read2_b32 v[6:7], v1 offset0:2 offset1:3
	s_waitcnt lgkmcnt(1)
	v_add_u32_e32 v4, v5, v4
	s_waitcnt lgkmcnt(0)
	v_add3_u32 v6, v4, v6, v7
	v_lshl_add_u64 v[4:5], v[2:3], 2, s[6:7]
	global_atomic_add v[4:5], v6, off
	s_branch .LBB1313_291
.LBB1313_294:
	s_mov_b64 s[2:3], 0
.LBB1313_295:
	s_and_b64 vcc, exec, s[2:3]
	s_cbranch_vccz .LBB1313_371
; %bb.296:
	s_cmp_eq_u32 s8, 0
	s_cselect_b64 s[0:1], -1, 0
	s_cmp_eq_u32 s9, 16
	s_mov_b32 s11, 0
	s_cselect_b64 s[2:3], -1, 0
	s_and_b64 s[0:1], s[0:1], s[2:3]
	s_lshl_b64 s[2:3], s[10:11], 1
	s_add_u32 s2, s4, s2
	s_addc_u32 s3, s5, s3
	v_mov_b32_e32 v3, 0
	v_lshlrev_b32_e32 v2, 1, v0
	v_lshl_add_u64 v[34:35], s[2:3], 0, v[2:3]
	s_movk_i32 s4, 0x1000
	v_add_co_u32_e32 v4, vcc, s4, v34
	s_movk_i32 s4, 0x2000
	s_nop 0
	v_addc_co_u32_e32 v5, vcc, 0, v35, vcc
	v_add_co_u32_e32 v6, vcc, s4, v34
	s_movk_i32 s4, 0x3000
	s_nop 0
	v_addc_co_u32_e32 v7, vcc, 0, v35, vcc
	;; [unrolled: 4-line block ×5, first 2 shown]
	global_load_ushort v33, v2, s[2:3] offset:2048
	global_load_ushort v31, v[6:7], off offset:-4096
	global_load_ushort v29, v[6:7], off
	global_load_ushort v27, v[6:7], off offset:2048
	global_load_ushort v26, v[8:9], off offset:-4096
	global_load_ushort v22, v[8:9], off
	v_add_co_u32_e32 v6, vcc, s4, v34
	s_movk_i32 s4, 0x7000
	s_nop 0
	v_addc_co_u32_e32 v7, vcc, 0, v35, vcc
	v_add_co_u32_e32 v42, vcc, s4, v34
	s_mov_b32 s4, 0x8000
	s_nop 0
	v_addc_co_u32_e32 v43, vcc, 0, v35, vcc
	v_add_co_u32_e32 v10, vcc, s4, v34
	s_mov_b32 s4, 0x9000
	s_nop 0
	v_addc_co_u32_e32 v11, vcc, 0, v35, vcc
	v_add_co_u32_e32 v44, vcc, s4, v34
	s_mov_b32 s4, 0xa000
	s_nop 0
	v_addc_co_u32_e32 v45, vcc, 0, v35, vcc
	v_add_co_u32_e32 v36, vcc, s4, v34
	s_mov_b32 s4, 0xb000
	s_nop 0
	v_addc_co_u32_e32 v37, vcc, 0, v35, vcc
	v_add_co_u32_e32 v46, vcc, s4, v34
	s_mov_b32 s4, 0xc000
	s_nop 0
	v_addc_co_u32_e32 v47, vcc, 0, v35, vcc
	v_add_co_u32_e32 v48, vcc, s4, v34
	s_mov_b32 s4, 0xd000
	s_nop 0
	v_addc_co_u32_e32 v49, vcc, 0, v35, vcc
	v_add_co_u32_e32 v50, vcc, s4, v34
	s_mov_b32 s4, 0xe000
	s_nop 0
	v_addc_co_u32_e32 v51, vcc, 0, v35, vcc
	v_add_co_u32_e32 v52, vcc, s4, v34
	global_load_ushort v30, v[8:9], off offset:2048
	global_load_ushort v28, v[6:7], off offset:-4096
	global_load_ushort v24, v[6:7], off
	global_load_ushort v23, v[6:7], off offset:2048
	global_load_ushort v21, v[10:11], off offset:-4096
	global_load_ushort v18, v[10:11], off
	global_load_ushort v16, v[10:11], off offset:2048
	global_load_ushort v14, v[36:37], off offset:-4096
	v_addc_co_u32_e32 v53, vcc, 0, v35, vcc
	global_load_ushort v20, v[36:37], off
	global_load_ushort v17, v[36:37], off offset:2048
	global_load_ushort v15, v[48:49], off offset:-4096
	global_load_ushort v13, v[48:49], off
	global_load_ushort v11, v[48:49], off offset:2048
	global_load_ushort v10, v[52:53], off offset:-4096
	global_load_ushort v8, v[52:53], off
	global_load_ushort v6, v[52:53], off offset:2048
	v_add_co_u32_e32 v48, vcc, 0xf000, v34
	v_lshlrev_b32_e32 v1, 2, v0
	s_nop 0
	v_addc_co_u32_e32 v49, vcc, 0, v35, vcc
	global_load_ushort v36, v[4:5], off offset:2048
	global_load_ushort v35, v[38:39], off offset:2048
	;; [unrolled: 1-line block ×7, first 2 shown]
	global_load_ushort v9, v[48:49], off
	global_load_ushort v37, v2, s[2:3]
	global_load_ushort v7, v[48:49], off offset:2048
	v_and_b32_e32 v4, 3, v0
	s_mov_b64 s[2:3], -1
	s_and_b64 vcc, exec, s[0:1]
	ds_write2st64_b32 v1, v3, v3 offset1:16
	s_waitcnt lgkmcnt(0)
	s_cbranch_vccnz .LBB1313_368
; %bb.297:
	s_cmp_lt_u32 s8, s9
	s_cselect_b64 s[2:3], -1, 0
	s_and_b64 vcc, exec, s[2:3]
	s_barrier
	s_cbranch_vccz .LBB1313_362
; %bb.298:
	s_sub_i32 s0, s9, s8
	s_min_u32 s0, s0, 8
	s_lshl_b32 s0, -1, s0
	s_not_b32 s11, s0
	s_waitcnt vmcnt(1)
	v_lshrrev_b32_e32 v2, s8, v37
	v_and_b32_e32 v3, s11, v2
	v_lshlrev_b32_e32 v2, 2, v4
	v_lshl_or_b32 v5, v3, 4, v2
	v_mov_b32_e32 v3, 1
	ds_add_u32 v5, v3
	s_add_i32 s10, s8, 8
	s_cmp_gt_u32 s9, s10
	s_cselect_b64 s[4:5], -1, 0
	s_cmp_le_u32 s9, s10
	s_cbranch_scc1 .LBB1313_300
; %bb.299:
	s_sub_i32 s0, s9, s10
	s_min_u32 s0, s0, 8
	v_lshrrev_b32_e32 v5, s10, v37
	v_bfe_u32 v5, v5, 0, s0
	v_lshl_or_b32 v5, v5, 4, v2
	ds_add_u32 v5, v3 offset:4096
.LBB1313_300:
	v_lshrrev_b32_e32 v5, s8, v33
	v_and_b32_e32 v5, s11, v5
	v_lshl_or_b32 v5, v5, 4, v2
	ds_add_u32 v5, v3
	v_cndmask_b32_e64 v3, 0, 1, s[4:5]
	v_cmp_ne_u32_e64 s[0:1], 1, v3
	s_andn2_b64 vcc, exec, s[4:5]
	s_cbranch_vccnz .LBB1313_302
; %bb.301:
	s_sub_i32 s4, s9, s10
	s_min_u32 s4, s4, 8
	v_lshrrev_b32_e32 v3, s10, v33
	v_bfe_u32 v3, v3, 0, s4
	v_lshl_or_b32 v3, v3, 4, v2
	v_mov_b32_e32 v5, 1
	ds_add_u32 v3, v5 offset:4096
.LBB1313_302:
	v_lshrrev_b32_e32 v3, s8, v31
	v_and_b32_e32 v3, s11, v3
	v_lshl_or_b32 v5, v3, 4, v2
	v_mov_b32_e32 v3, 1
	ds_add_u32 v5, v3
	s_and_b64 vcc, exec, s[0:1]
	s_cbranch_vccnz .LBB1313_304
; %bb.303:
	s_sub_i32 s4, s9, s10
	s_min_u32 s4, s4, 8
	v_lshrrev_b32_e32 v5, s10, v31
	v_bfe_u32 v5, v5, 0, s4
	v_lshl_or_b32 v5, v5, 4, v2
	ds_add_u32 v5, v3 offset:4096
.LBB1313_304:
	v_lshrrev_b32_e32 v5, s8, v36
	v_and_b32_e32 v5, s11, v5
	v_lshl_or_b32 v5, v5, 4, v2
	ds_add_u32 v5, v3
	s_and_b64 vcc, exec, s[0:1]
	s_cbranch_vccnz .LBB1313_306
; %bb.305:
	s_sub_i32 s4, s9, s10
	s_min_u32 s4, s4, 8
	v_lshrrev_b32_e32 v3, s10, v36
	v_bfe_u32 v3, v3, 0, s4
	v_lshl_or_b32 v3, v3, 4, v2
	v_mov_b32_e32 v5, 1
	ds_add_u32 v3, v5 offset:4096
.LBB1313_306:
	v_lshrrev_b32_e32 v3, s8, v29
	v_and_b32_e32 v3, s11, v3
	v_lshl_or_b32 v5, v3, 4, v2
	v_mov_b32_e32 v3, 1
	ds_add_u32 v5, v3
	s_and_b64 vcc, exec, s[0:1]
	s_cbranch_vccnz .LBB1313_308
; %bb.307:
	s_sub_i32 s4, s9, s10
	s_min_u32 s4, s4, 8
	v_lshrrev_b32_e32 v5, s10, v29
	v_bfe_u32 v5, v5, 0, s4
	v_lshl_or_b32 v5, v5, 4, v2
	ds_add_u32 v5, v3 offset:4096
.LBB1313_308:
	v_lshrrev_b32_e32 v5, s8, v27
	v_and_b32_e32 v5, s11, v5
	v_lshl_or_b32 v5, v5, 4, v2
	ds_add_u32 v5, v3
	s_and_b64 vcc, exec, s[0:1]
	;; [unrolled: 30-line block ×14, first 2 shown]
	s_cbranch_vccnz .LBB1313_358
; %bb.357:
	s_sub_i32 s4, s9, s10
	s_min_u32 s4, s4, 8
	v_lshrrev_b32_e32 v3, s10, v6
	v_bfe_u32 v3, v3, 0, s4
	v_lshl_or_b32 v3, v3, 4, v2
	v_mov_b32_e32 v5, 1
	ds_add_u32 v3, v5 offset:4096
.LBB1313_358:
	v_lshrrev_b32_e32 v3, s8, v9
	v_and_b32_e32 v3, s11, v3
	v_lshl_or_b32 v5, v3, 4, v2
	v_mov_b32_e32 v3, 1
	ds_add_u32 v5, v3
	s_and_b64 vcc, exec, s[0:1]
	s_cbranch_vccnz .LBB1313_360
; %bb.359:
	s_sub_i32 s4, s9, s10
	s_min_u32 s4, s4, 8
	v_lshrrev_b32_e32 v5, s10, v9
	v_bfe_u32 v5, v5, 0, s4
	v_lshl_or_b32 v5, v5, 4, v2
	ds_add_u32 v5, v3 offset:4096
.LBB1313_360:
	s_waitcnt vmcnt(0)
	v_lshrrev_b32_e32 v5, s8, v7
	v_and_b32_e32 v5, s11, v5
	v_lshl_or_b32 v5, v5, 4, v2
	ds_add_u32 v5, v3
	s_and_b64 vcc, exec, s[0:1]
	s_cbranch_vccnz .LBB1313_362
; %bb.361:
	s_sub_i32 s0, s9, s10
	s_min_u32 s0, s0, 8
	v_lshrrev_b32_e32 v3, s10, v7
	v_bfe_u32 v3, v3, 0, s0
	v_lshl_or_b32 v2, v3, 4, v2
	v_mov_b32_e32 v3, 1
	ds_add_u32 v2, v3 offset:4096
.LBB1313_362:
	s_and_b64 vcc, exec, s[2:3]
	s_waitcnt lgkmcnt(0)
	s_barrier
	s_cbranch_vccz .LBB1313_367
; %bb.363:
	s_movk_i32 s0, 0x100
	v_cmp_gt_u32_e32 vcc, s0, v0
	v_lshlrev_b32_e32 v5, 4, v0
	v_mov_b32_e32 v3, 0
	v_mov_b32_e32 v2, v0
	s_branch .LBB1313_365
.LBB1313_364:                           ;   in Loop: Header=BB1313_365 Depth=1
	s_or_b64 exec, exec, s[0:1]
	s_add_i32 s8, s8, 8
	v_add_u32_e32 v2, 0x100, v2
	s_cmp_ge_u32 s8, s9
	v_add_u32_e32 v5, 0x1000, v5
	s_cbranch_scc1 .LBB1313_367
.LBB1313_365:                           ; =>This Inner Loop Header: Depth=1
	s_and_saveexec_b64 s[0:1], vcc
	s_cbranch_execz .LBB1313_364
; %bb.366:                              ;   in Loop: Header=BB1313_365 Depth=1
	ds_read2_b32 v[38:39], v5 offset1:1
	ds_read2_b32 v[40:41], v5 offset0:2 offset1:3
	s_waitcnt lgkmcnt(1)
	v_add_u32_e32 v38, v39, v38
	s_waitcnt lgkmcnt(0)
	v_add3_u32 v40, v38, v40, v41
	v_lshl_add_u64 v[38:39], v[2:3], 2, s[6:7]
	global_atomic_add v[38:39], v40, off
	s_branch .LBB1313_364
.LBB1313_367:
	s_mov_b64 s[2:3], 0
.LBB1313_368:
	s_and_b64 vcc, exec, s[2:3]
	s_cbranch_vccz .LBB1313_371
; %bb.369:
	s_waitcnt vmcnt(1)
	v_lshlrev_b32_e32 v2, 2, v37
	s_movk_i32 s0, 0x3fc
	v_and_or_b32 v2, v2, s0, v4
	v_lshlrev_b32_e32 v2, 2, v2
	v_mov_b32_e32 v3, 1
	s_barrier
	ds_add_u32 v2, v3
	v_bfe_u32 v2, v37, 8, 8
	v_lshl_or_b32 v2, v2, 2, v4
	v_lshlrev_b32_e32 v2, 2, v2
	ds_add_u32 v2, v3 offset:4096
	v_lshlrev_b32_e32 v2, 2, v33
	v_and_or_b32 v2, v2, s0, v4
	v_lshlrev_b32_e32 v2, 2, v2
	ds_add_u32 v2, v3
	v_bfe_u32 v2, v33, 8, 8
	v_lshl_or_b32 v2, v2, 2, v4
	v_lshlrev_b32_e32 v2, 2, v2
	ds_add_u32 v2, v3 offset:4096
	v_lshlrev_b32_e32 v2, 2, v31
	v_and_or_b32 v2, v2, s0, v4
	v_lshlrev_b32_e32 v2, 2, v2
	;; [unrolled: 8-line block ×30, first 2 shown]
	ds_add_u32 v2, v3
	v_bfe_u32 v2, v9, 8, 8
	v_lshl_or_b32 v2, v2, 2, v4
	v_lshlrev_b32_e32 v2, 2, v2
	ds_add_u32 v2, v3 offset:4096
	s_waitcnt vmcnt(0)
	v_lshlrev_b32_e32 v2, 2, v7
	v_and_or_b32 v2, v2, s0, v4
	v_lshlrev_b32_e32 v2, 2, v2
	ds_add_u32 v2, v3
	v_bfe_u32 v2, v7, 8, 8
	v_lshl_or_b32 v2, v2, 2, v4
	v_lshlrev_b32_e32 v2, 2, v2
	ds_add_u32 v2, v3 offset:4096
	s_movk_i32 s0, 0x100
	v_cmp_gt_u32_e32 vcc, s0, v0
	s_waitcnt lgkmcnt(0)
	s_barrier
	s_and_saveexec_b64 s[0:1], vcc
	s_cbranch_execz .LBB1313_371
; %bb.370:
	v_lshlrev_b32_e32 v0, 4, v0
	ds_read2_b32 v[2:3], v0 offset1:1
	ds_read2_b32 v[4:5], v0 offset0:2 offset1:3
	v_add_u32_e32 v6, 0x1000, v0
	v_add_u32_e32 v0, 0x1008, v0
	s_waitcnt lgkmcnt(1)
	v_add_u32_e32 v2, v3, v2
	s_waitcnt lgkmcnt(0)
	v_add3_u32 v2, v2, v4, v5
	global_atomic_add v1, v2, s[6:7]
	ds_read2_b32 v[2:3], v6 offset1:1
	ds_read2_b32 v[4:5], v0 offset1:1
	s_waitcnt lgkmcnt(1)
	v_add_u32_e32 v0, v3, v2
	s_waitcnt lgkmcnt(0)
	v_add3_u32 v0, v0, v4, v5
	global_atomic_add v1, v0, s[6:7] offset:1024
.LBB1313_371:
	s_endpgm
	.section	.rodata,"a",@progbits
	.p2align	6, 0x0
	.amdhsa_kernel _ZN7rocprim17ROCPRIM_400000_NS6detail17trampoline_kernelINS0_14default_configENS1_35radix_sort_onesweep_config_selectorItNS0_10empty_typeEEEZNS1_34radix_sort_onesweep_global_offsetsIS3_Lb0EN6thrust23THRUST_200600_302600_NS6detail15normal_iteratorINS9_10device_ptrItEEEEPS5_jNS0_19identity_decomposerEEE10hipError_tT1_T2_PT3_SK_jT4_jjP12ihipStream_tbEUlT_E_NS1_11comp_targetILNS1_3genE5ELNS1_11target_archE942ELNS1_3gpuE9ELNS1_3repE0EEENS1_52radix_sort_onesweep_histogram_config_static_selectorELNS0_4arch9wavefront6targetE1EEEvSI_
		.amdhsa_group_segment_fixed_size 8192
		.amdhsa_private_segment_fixed_size 0
		.amdhsa_kernarg_size 40
		.amdhsa_user_sgpr_count 2
		.amdhsa_user_sgpr_dispatch_ptr 0
		.amdhsa_user_sgpr_queue_ptr 0
		.amdhsa_user_sgpr_kernarg_segment_ptr 1
		.amdhsa_user_sgpr_dispatch_id 0
		.amdhsa_user_sgpr_kernarg_preload_length 0
		.amdhsa_user_sgpr_kernarg_preload_offset 0
		.amdhsa_user_sgpr_private_segment_size 0
		.amdhsa_uses_dynamic_stack 0
		.amdhsa_enable_private_segment 0
		.amdhsa_system_sgpr_workgroup_id_x 1
		.amdhsa_system_sgpr_workgroup_id_y 0
		.amdhsa_system_sgpr_workgroup_id_z 0
		.amdhsa_system_sgpr_workgroup_info 0
		.amdhsa_system_vgpr_workitem_id 0
		.amdhsa_next_free_vgpr 67
		.amdhsa_next_free_sgpr 20
		.amdhsa_accum_offset 68
		.amdhsa_reserve_vcc 1
		.amdhsa_float_round_mode_32 0
		.amdhsa_float_round_mode_16_64 0
		.amdhsa_float_denorm_mode_32 3
		.amdhsa_float_denorm_mode_16_64 3
		.amdhsa_dx10_clamp 1
		.amdhsa_ieee_mode 1
		.amdhsa_fp16_overflow 0
		.amdhsa_tg_split 0
		.amdhsa_exception_fp_ieee_invalid_op 0
		.amdhsa_exception_fp_denorm_src 0
		.amdhsa_exception_fp_ieee_div_zero 0
		.amdhsa_exception_fp_ieee_overflow 0
		.amdhsa_exception_fp_ieee_underflow 0
		.amdhsa_exception_fp_ieee_inexact 0
		.amdhsa_exception_int_div_zero 0
	.end_amdhsa_kernel
	.section	.text._ZN7rocprim17ROCPRIM_400000_NS6detail17trampoline_kernelINS0_14default_configENS1_35radix_sort_onesweep_config_selectorItNS0_10empty_typeEEEZNS1_34radix_sort_onesweep_global_offsetsIS3_Lb0EN6thrust23THRUST_200600_302600_NS6detail15normal_iteratorINS9_10device_ptrItEEEEPS5_jNS0_19identity_decomposerEEE10hipError_tT1_T2_PT3_SK_jT4_jjP12ihipStream_tbEUlT_E_NS1_11comp_targetILNS1_3genE5ELNS1_11target_archE942ELNS1_3gpuE9ELNS1_3repE0EEENS1_52radix_sort_onesweep_histogram_config_static_selectorELNS0_4arch9wavefront6targetE1EEEvSI_,"axG",@progbits,_ZN7rocprim17ROCPRIM_400000_NS6detail17trampoline_kernelINS0_14default_configENS1_35radix_sort_onesweep_config_selectorItNS0_10empty_typeEEEZNS1_34radix_sort_onesweep_global_offsetsIS3_Lb0EN6thrust23THRUST_200600_302600_NS6detail15normal_iteratorINS9_10device_ptrItEEEEPS5_jNS0_19identity_decomposerEEE10hipError_tT1_T2_PT3_SK_jT4_jjP12ihipStream_tbEUlT_E_NS1_11comp_targetILNS1_3genE5ELNS1_11target_archE942ELNS1_3gpuE9ELNS1_3repE0EEENS1_52radix_sort_onesweep_histogram_config_static_selectorELNS0_4arch9wavefront6targetE1EEEvSI_,comdat
.Lfunc_end1313:
	.size	_ZN7rocprim17ROCPRIM_400000_NS6detail17trampoline_kernelINS0_14default_configENS1_35radix_sort_onesweep_config_selectorItNS0_10empty_typeEEEZNS1_34radix_sort_onesweep_global_offsetsIS3_Lb0EN6thrust23THRUST_200600_302600_NS6detail15normal_iteratorINS9_10device_ptrItEEEEPS5_jNS0_19identity_decomposerEEE10hipError_tT1_T2_PT3_SK_jT4_jjP12ihipStream_tbEUlT_E_NS1_11comp_targetILNS1_3genE5ELNS1_11target_archE942ELNS1_3gpuE9ELNS1_3repE0EEENS1_52radix_sort_onesweep_histogram_config_static_selectorELNS0_4arch9wavefront6targetE1EEEvSI_, .Lfunc_end1313-_ZN7rocprim17ROCPRIM_400000_NS6detail17trampoline_kernelINS0_14default_configENS1_35radix_sort_onesweep_config_selectorItNS0_10empty_typeEEEZNS1_34radix_sort_onesweep_global_offsetsIS3_Lb0EN6thrust23THRUST_200600_302600_NS6detail15normal_iteratorINS9_10device_ptrItEEEEPS5_jNS0_19identity_decomposerEEE10hipError_tT1_T2_PT3_SK_jT4_jjP12ihipStream_tbEUlT_E_NS1_11comp_targetILNS1_3genE5ELNS1_11target_archE942ELNS1_3gpuE9ELNS1_3repE0EEENS1_52radix_sort_onesweep_histogram_config_static_selectorELNS0_4arch9wavefront6targetE1EEEvSI_
                                        ; -- End function
	.section	.AMDGPU.csdata,"",@progbits
; Kernel info:
; codeLenInByte = 12784
; NumSgprs: 26
; NumVgprs: 67
; NumAgprs: 0
; TotalNumVgprs: 67
; ScratchSize: 0
; MemoryBound: 0
; FloatMode: 240
; IeeeMode: 1
; LDSByteSize: 8192 bytes/workgroup (compile time only)
; SGPRBlocks: 3
; VGPRBlocks: 8
; NumSGPRsForWavesPerEU: 26
; NumVGPRsForWavesPerEU: 67
; AccumOffset: 68
; Occupancy: 7
; WaveLimiterHint : 1
; COMPUTE_PGM_RSRC2:SCRATCH_EN: 0
; COMPUTE_PGM_RSRC2:USER_SGPR: 2
; COMPUTE_PGM_RSRC2:TRAP_HANDLER: 0
; COMPUTE_PGM_RSRC2:TGID_X_EN: 1
; COMPUTE_PGM_RSRC2:TGID_Y_EN: 0
; COMPUTE_PGM_RSRC2:TGID_Z_EN: 0
; COMPUTE_PGM_RSRC2:TIDIG_COMP_CNT: 0
; COMPUTE_PGM_RSRC3_GFX90A:ACCUM_OFFSET: 16
; COMPUTE_PGM_RSRC3_GFX90A:TG_SPLIT: 0
	.section	.text._ZN7rocprim17ROCPRIM_400000_NS6detail17trampoline_kernelINS0_14default_configENS1_35radix_sort_onesweep_config_selectorItNS0_10empty_typeEEEZNS1_34radix_sort_onesweep_global_offsetsIS3_Lb0EN6thrust23THRUST_200600_302600_NS6detail15normal_iteratorINS9_10device_ptrItEEEEPS5_jNS0_19identity_decomposerEEE10hipError_tT1_T2_PT3_SK_jT4_jjP12ihipStream_tbEUlT_E_NS1_11comp_targetILNS1_3genE2ELNS1_11target_archE906ELNS1_3gpuE6ELNS1_3repE0EEENS1_52radix_sort_onesweep_histogram_config_static_selectorELNS0_4arch9wavefront6targetE1EEEvSI_,"axG",@progbits,_ZN7rocprim17ROCPRIM_400000_NS6detail17trampoline_kernelINS0_14default_configENS1_35radix_sort_onesweep_config_selectorItNS0_10empty_typeEEEZNS1_34radix_sort_onesweep_global_offsetsIS3_Lb0EN6thrust23THRUST_200600_302600_NS6detail15normal_iteratorINS9_10device_ptrItEEEEPS5_jNS0_19identity_decomposerEEE10hipError_tT1_T2_PT3_SK_jT4_jjP12ihipStream_tbEUlT_E_NS1_11comp_targetILNS1_3genE2ELNS1_11target_archE906ELNS1_3gpuE6ELNS1_3repE0EEENS1_52radix_sort_onesweep_histogram_config_static_selectorELNS0_4arch9wavefront6targetE1EEEvSI_,comdat
	.protected	_ZN7rocprim17ROCPRIM_400000_NS6detail17trampoline_kernelINS0_14default_configENS1_35radix_sort_onesweep_config_selectorItNS0_10empty_typeEEEZNS1_34radix_sort_onesweep_global_offsetsIS3_Lb0EN6thrust23THRUST_200600_302600_NS6detail15normal_iteratorINS9_10device_ptrItEEEEPS5_jNS0_19identity_decomposerEEE10hipError_tT1_T2_PT3_SK_jT4_jjP12ihipStream_tbEUlT_E_NS1_11comp_targetILNS1_3genE2ELNS1_11target_archE906ELNS1_3gpuE6ELNS1_3repE0EEENS1_52radix_sort_onesweep_histogram_config_static_selectorELNS0_4arch9wavefront6targetE1EEEvSI_ ; -- Begin function _ZN7rocprim17ROCPRIM_400000_NS6detail17trampoline_kernelINS0_14default_configENS1_35radix_sort_onesweep_config_selectorItNS0_10empty_typeEEEZNS1_34radix_sort_onesweep_global_offsetsIS3_Lb0EN6thrust23THRUST_200600_302600_NS6detail15normal_iteratorINS9_10device_ptrItEEEEPS5_jNS0_19identity_decomposerEEE10hipError_tT1_T2_PT3_SK_jT4_jjP12ihipStream_tbEUlT_E_NS1_11comp_targetILNS1_3genE2ELNS1_11target_archE906ELNS1_3gpuE6ELNS1_3repE0EEENS1_52radix_sort_onesweep_histogram_config_static_selectorELNS0_4arch9wavefront6targetE1EEEvSI_
	.globl	_ZN7rocprim17ROCPRIM_400000_NS6detail17trampoline_kernelINS0_14default_configENS1_35radix_sort_onesweep_config_selectorItNS0_10empty_typeEEEZNS1_34radix_sort_onesweep_global_offsetsIS3_Lb0EN6thrust23THRUST_200600_302600_NS6detail15normal_iteratorINS9_10device_ptrItEEEEPS5_jNS0_19identity_decomposerEEE10hipError_tT1_T2_PT3_SK_jT4_jjP12ihipStream_tbEUlT_E_NS1_11comp_targetILNS1_3genE2ELNS1_11target_archE906ELNS1_3gpuE6ELNS1_3repE0EEENS1_52radix_sort_onesweep_histogram_config_static_selectorELNS0_4arch9wavefront6targetE1EEEvSI_
	.p2align	8
	.type	_ZN7rocprim17ROCPRIM_400000_NS6detail17trampoline_kernelINS0_14default_configENS1_35radix_sort_onesweep_config_selectorItNS0_10empty_typeEEEZNS1_34radix_sort_onesweep_global_offsetsIS3_Lb0EN6thrust23THRUST_200600_302600_NS6detail15normal_iteratorINS9_10device_ptrItEEEEPS5_jNS0_19identity_decomposerEEE10hipError_tT1_T2_PT3_SK_jT4_jjP12ihipStream_tbEUlT_E_NS1_11comp_targetILNS1_3genE2ELNS1_11target_archE906ELNS1_3gpuE6ELNS1_3repE0EEENS1_52radix_sort_onesweep_histogram_config_static_selectorELNS0_4arch9wavefront6targetE1EEEvSI_,@function
_ZN7rocprim17ROCPRIM_400000_NS6detail17trampoline_kernelINS0_14default_configENS1_35radix_sort_onesweep_config_selectorItNS0_10empty_typeEEEZNS1_34radix_sort_onesweep_global_offsetsIS3_Lb0EN6thrust23THRUST_200600_302600_NS6detail15normal_iteratorINS9_10device_ptrItEEEEPS5_jNS0_19identity_decomposerEEE10hipError_tT1_T2_PT3_SK_jT4_jjP12ihipStream_tbEUlT_E_NS1_11comp_targetILNS1_3genE2ELNS1_11target_archE906ELNS1_3gpuE6ELNS1_3repE0EEENS1_52radix_sort_onesweep_histogram_config_static_selectorELNS0_4arch9wavefront6targetE1EEEvSI_: ; @_ZN7rocprim17ROCPRIM_400000_NS6detail17trampoline_kernelINS0_14default_configENS1_35radix_sort_onesweep_config_selectorItNS0_10empty_typeEEEZNS1_34radix_sort_onesweep_global_offsetsIS3_Lb0EN6thrust23THRUST_200600_302600_NS6detail15normal_iteratorINS9_10device_ptrItEEEEPS5_jNS0_19identity_decomposerEEE10hipError_tT1_T2_PT3_SK_jT4_jjP12ihipStream_tbEUlT_E_NS1_11comp_targetILNS1_3genE2ELNS1_11target_archE906ELNS1_3gpuE6ELNS1_3repE0EEENS1_52radix_sort_onesweep_histogram_config_static_selectorELNS0_4arch9wavefront6targetE1EEEvSI_
; %bb.0:
	.section	.rodata,"a",@progbits
	.p2align	6, 0x0
	.amdhsa_kernel _ZN7rocprim17ROCPRIM_400000_NS6detail17trampoline_kernelINS0_14default_configENS1_35radix_sort_onesweep_config_selectorItNS0_10empty_typeEEEZNS1_34radix_sort_onesweep_global_offsetsIS3_Lb0EN6thrust23THRUST_200600_302600_NS6detail15normal_iteratorINS9_10device_ptrItEEEEPS5_jNS0_19identity_decomposerEEE10hipError_tT1_T2_PT3_SK_jT4_jjP12ihipStream_tbEUlT_E_NS1_11comp_targetILNS1_3genE2ELNS1_11target_archE906ELNS1_3gpuE6ELNS1_3repE0EEENS1_52radix_sort_onesweep_histogram_config_static_selectorELNS0_4arch9wavefront6targetE1EEEvSI_
		.amdhsa_group_segment_fixed_size 0
		.amdhsa_private_segment_fixed_size 0
		.amdhsa_kernarg_size 40
		.amdhsa_user_sgpr_count 2
		.amdhsa_user_sgpr_dispatch_ptr 0
		.amdhsa_user_sgpr_queue_ptr 0
		.amdhsa_user_sgpr_kernarg_segment_ptr 1
		.amdhsa_user_sgpr_dispatch_id 0
		.amdhsa_user_sgpr_kernarg_preload_length 0
		.amdhsa_user_sgpr_kernarg_preload_offset 0
		.amdhsa_user_sgpr_private_segment_size 0
		.amdhsa_uses_dynamic_stack 0
		.amdhsa_enable_private_segment 0
		.amdhsa_system_sgpr_workgroup_id_x 1
		.amdhsa_system_sgpr_workgroup_id_y 0
		.amdhsa_system_sgpr_workgroup_id_z 0
		.amdhsa_system_sgpr_workgroup_info 0
		.amdhsa_system_vgpr_workitem_id 0
		.amdhsa_next_free_vgpr 1
		.amdhsa_next_free_sgpr 0
		.amdhsa_accum_offset 4
		.amdhsa_reserve_vcc 0
		.amdhsa_float_round_mode_32 0
		.amdhsa_float_round_mode_16_64 0
		.amdhsa_float_denorm_mode_32 3
		.amdhsa_float_denorm_mode_16_64 3
		.amdhsa_dx10_clamp 1
		.amdhsa_ieee_mode 1
		.amdhsa_fp16_overflow 0
		.amdhsa_tg_split 0
		.amdhsa_exception_fp_ieee_invalid_op 0
		.amdhsa_exception_fp_denorm_src 0
		.amdhsa_exception_fp_ieee_div_zero 0
		.amdhsa_exception_fp_ieee_overflow 0
		.amdhsa_exception_fp_ieee_underflow 0
		.amdhsa_exception_fp_ieee_inexact 0
		.amdhsa_exception_int_div_zero 0
	.end_amdhsa_kernel
	.section	.text._ZN7rocprim17ROCPRIM_400000_NS6detail17trampoline_kernelINS0_14default_configENS1_35radix_sort_onesweep_config_selectorItNS0_10empty_typeEEEZNS1_34radix_sort_onesweep_global_offsetsIS3_Lb0EN6thrust23THRUST_200600_302600_NS6detail15normal_iteratorINS9_10device_ptrItEEEEPS5_jNS0_19identity_decomposerEEE10hipError_tT1_T2_PT3_SK_jT4_jjP12ihipStream_tbEUlT_E_NS1_11comp_targetILNS1_3genE2ELNS1_11target_archE906ELNS1_3gpuE6ELNS1_3repE0EEENS1_52radix_sort_onesweep_histogram_config_static_selectorELNS0_4arch9wavefront6targetE1EEEvSI_,"axG",@progbits,_ZN7rocprim17ROCPRIM_400000_NS6detail17trampoline_kernelINS0_14default_configENS1_35radix_sort_onesweep_config_selectorItNS0_10empty_typeEEEZNS1_34radix_sort_onesweep_global_offsetsIS3_Lb0EN6thrust23THRUST_200600_302600_NS6detail15normal_iteratorINS9_10device_ptrItEEEEPS5_jNS0_19identity_decomposerEEE10hipError_tT1_T2_PT3_SK_jT4_jjP12ihipStream_tbEUlT_E_NS1_11comp_targetILNS1_3genE2ELNS1_11target_archE906ELNS1_3gpuE6ELNS1_3repE0EEENS1_52radix_sort_onesweep_histogram_config_static_selectorELNS0_4arch9wavefront6targetE1EEEvSI_,comdat
.Lfunc_end1314:
	.size	_ZN7rocprim17ROCPRIM_400000_NS6detail17trampoline_kernelINS0_14default_configENS1_35radix_sort_onesweep_config_selectorItNS0_10empty_typeEEEZNS1_34radix_sort_onesweep_global_offsetsIS3_Lb0EN6thrust23THRUST_200600_302600_NS6detail15normal_iteratorINS9_10device_ptrItEEEEPS5_jNS0_19identity_decomposerEEE10hipError_tT1_T2_PT3_SK_jT4_jjP12ihipStream_tbEUlT_E_NS1_11comp_targetILNS1_3genE2ELNS1_11target_archE906ELNS1_3gpuE6ELNS1_3repE0EEENS1_52radix_sort_onesweep_histogram_config_static_selectorELNS0_4arch9wavefront6targetE1EEEvSI_, .Lfunc_end1314-_ZN7rocprim17ROCPRIM_400000_NS6detail17trampoline_kernelINS0_14default_configENS1_35radix_sort_onesweep_config_selectorItNS0_10empty_typeEEEZNS1_34radix_sort_onesweep_global_offsetsIS3_Lb0EN6thrust23THRUST_200600_302600_NS6detail15normal_iteratorINS9_10device_ptrItEEEEPS5_jNS0_19identity_decomposerEEE10hipError_tT1_T2_PT3_SK_jT4_jjP12ihipStream_tbEUlT_E_NS1_11comp_targetILNS1_3genE2ELNS1_11target_archE906ELNS1_3gpuE6ELNS1_3repE0EEENS1_52radix_sort_onesweep_histogram_config_static_selectorELNS0_4arch9wavefront6targetE1EEEvSI_
                                        ; -- End function
	.section	.AMDGPU.csdata,"",@progbits
; Kernel info:
; codeLenInByte = 0
; NumSgprs: 6
; NumVgprs: 0
; NumAgprs: 0
; TotalNumVgprs: 0
; ScratchSize: 0
; MemoryBound: 0
; FloatMode: 240
; IeeeMode: 1
; LDSByteSize: 0 bytes/workgroup (compile time only)
; SGPRBlocks: 0
; VGPRBlocks: 0
; NumSGPRsForWavesPerEU: 6
; NumVGPRsForWavesPerEU: 1
; AccumOffset: 4
; Occupancy: 8
; WaveLimiterHint : 0
; COMPUTE_PGM_RSRC2:SCRATCH_EN: 0
; COMPUTE_PGM_RSRC2:USER_SGPR: 2
; COMPUTE_PGM_RSRC2:TRAP_HANDLER: 0
; COMPUTE_PGM_RSRC2:TGID_X_EN: 1
; COMPUTE_PGM_RSRC2:TGID_Y_EN: 0
; COMPUTE_PGM_RSRC2:TGID_Z_EN: 0
; COMPUTE_PGM_RSRC2:TIDIG_COMP_CNT: 0
; COMPUTE_PGM_RSRC3_GFX90A:ACCUM_OFFSET: 0
; COMPUTE_PGM_RSRC3_GFX90A:TG_SPLIT: 0
	.section	.text._ZN7rocprim17ROCPRIM_400000_NS6detail17trampoline_kernelINS0_14default_configENS1_35radix_sort_onesweep_config_selectorItNS0_10empty_typeEEEZNS1_34radix_sort_onesweep_global_offsetsIS3_Lb0EN6thrust23THRUST_200600_302600_NS6detail15normal_iteratorINS9_10device_ptrItEEEEPS5_jNS0_19identity_decomposerEEE10hipError_tT1_T2_PT3_SK_jT4_jjP12ihipStream_tbEUlT_E_NS1_11comp_targetILNS1_3genE4ELNS1_11target_archE910ELNS1_3gpuE8ELNS1_3repE0EEENS1_52radix_sort_onesweep_histogram_config_static_selectorELNS0_4arch9wavefront6targetE1EEEvSI_,"axG",@progbits,_ZN7rocprim17ROCPRIM_400000_NS6detail17trampoline_kernelINS0_14default_configENS1_35radix_sort_onesweep_config_selectorItNS0_10empty_typeEEEZNS1_34radix_sort_onesweep_global_offsetsIS3_Lb0EN6thrust23THRUST_200600_302600_NS6detail15normal_iteratorINS9_10device_ptrItEEEEPS5_jNS0_19identity_decomposerEEE10hipError_tT1_T2_PT3_SK_jT4_jjP12ihipStream_tbEUlT_E_NS1_11comp_targetILNS1_3genE4ELNS1_11target_archE910ELNS1_3gpuE8ELNS1_3repE0EEENS1_52radix_sort_onesweep_histogram_config_static_selectorELNS0_4arch9wavefront6targetE1EEEvSI_,comdat
	.protected	_ZN7rocprim17ROCPRIM_400000_NS6detail17trampoline_kernelINS0_14default_configENS1_35radix_sort_onesweep_config_selectorItNS0_10empty_typeEEEZNS1_34radix_sort_onesweep_global_offsetsIS3_Lb0EN6thrust23THRUST_200600_302600_NS6detail15normal_iteratorINS9_10device_ptrItEEEEPS5_jNS0_19identity_decomposerEEE10hipError_tT1_T2_PT3_SK_jT4_jjP12ihipStream_tbEUlT_E_NS1_11comp_targetILNS1_3genE4ELNS1_11target_archE910ELNS1_3gpuE8ELNS1_3repE0EEENS1_52radix_sort_onesweep_histogram_config_static_selectorELNS0_4arch9wavefront6targetE1EEEvSI_ ; -- Begin function _ZN7rocprim17ROCPRIM_400000_NS6detail17trampoline_kernelINS0_14default_configENS1_35radix_sort_onesweep_config_selectorItNS0_10empty_typeEEEZNS1_34radix_sort_onesweep_global_offsetsIS3_Lb0EN6thrust23THRUST_200600_302600_NS6detail15normal_iteratorINS9_10device_ptrItEEEEPS5_jNS0_19identity_decomposerEEE10hipError_tT1_T2_PT3_SK_jT4_jjP12ihipStream_tbEUlT_E_NS1_11comp_targetILNS1_3genE4ELNS1_11target_archE910ELNS1_3gpuE8ELNS1_3repE0EEENS1_52radix_sort_onesweep_histogram_config_static_selectorELNS0_4arch9wavefront6targetE1EEEvSI_
	.globl	_ZN7rocprim17ROCPRIM_400000_NS6detail17trampoline_kernelINS0_14default_configENS1_35radix_sort_onesweep_config_selectorItNS0_10empty_typeEEEZNS1_34radix_sort_onesweep_global_offsetsIS3_Lb0EN6thrust23THRUST_200600_302600_NS6detail15normal_iteratorINS9_10device_ptrItEEEEPS5_jNS0_19identity_decomposerEEE10hipError_tT1_T2_PT3_SK_jT4_jjP12ihipStream_tbEUlT_E_NS1_11comp_targetILNS1_3genE4ELNS1_11target_archE910ELNS1_3gpuE8ELNS1_3repE0EEENS1_52radix_sort_onesweep_histogram_config_static_selectorELNS0_4arch9wavefront6targetE1EEEvSI_
	.p2align	8
	.type	_ZN7rocprim17ROCPRIM_400000_NS6detail17trampoline_kernelINS0_14default_configENS1_35radix_sort_onesweep_config_selectorItNS0_10empty_typeEEEZNS1_34radix_sort_onesweep_global_offsetsIS3_Lb0EN6thrust23THRUST_200600_302600_NS6detail15normal_iteratorINS9_10device_ptrItEEEEPS5_jNS0_19identity_decomposerEEE10hipError_tT1_T2_PT3_SK_jT4_jjP12ihipStream_tbEUlT_E_NS1_11comp_targetILNS1_3genE4ELNS1_11target_archE910ELNS1_3gpuE8ELNS1_3repE0EEENS1_52radix_sort_onesweep_histogram_config_static_selectorELNS0_4arch9wavefront6targetE1EEEvSI_,@function
_ZN7rocprim17ROCPRIM_400000_NS6detail17trampoline_kernelINS0_14default_configENS1_35radix_sort_onesweep_config_selectorItNS0_10empty_typeEEEZNS1_34radix_sort_onesweep_global_offsetsIS3_Lb0EN6thrust23THRUST_200600_302600_NS6detail15normal_iteratorINS9_10device_ptrItEEEEPS5_jNS0_19identity_decomposerEEE10hipError_tT1_T2_PT3_SK_jT4_jjP12ihipStream_tbEUlT_E_NS1_11comp_targetILNS1_3genE4ELNS1_11target_archE910ELNS1_3gpuE8ELNS1_3repE0EEENS1_52radix_sort_onesweep_histogram_config_static_selectorELNS0_4arch9wavefront6targetE1EEEvSI_: ; @_ZN7rocprim17ROCPRIM_400000_NS6detail17trampoline_kernelINS0_14default_configENS1_35radix_sort_onesweep_config_selectorItNS0_10empty_typeEEEZNS1_34radix_sort_onesweep_global_offsetsIS3_Lb0EN6thrust23THRUST_200600_302600_NS6detail15normal_iteratorINS9_10device_ptrItEEEEPS5_jNS0_19identity_decomposerEEE10hipError_tT1_T2_PT3_SK_jT4_jjP12ihipStream_tbEUlT_E_NS1_11comp_targetILNS1_3genE4ELNS1_11target_archE910ELNS1_3gpuE8ELNS1_3repE0EEENS1_52radix_sort_onesweep_histogram_config_static_selectorELNS0_4arch9wavefront6targetE1EEEvSI_
; %bb.0:
	.section	.rodata,"a",@progbits
	.p2align	6, 0x0
	.amdhsa_kernel _ZN7rocprim17ROCPRIM_400000_NS6detail17trampoline_kernelINS0_14default_configENS1_35radix_sort_onesweep_config_selectorItNS0_10empty_typeEEEZNS1_34radix_sort_onesweep_global_offsetsIS3_Lb0EN6thrust23THRUST_200600_302600_NS6detail15normal_iteratorINS9_10device_ptrItEEEEPS5_jNS0_19identity_decomposerEEE10hipError_tT1_T2_PT3_SK_jT4_jjP12ihipStream_tbEUlT_E_NS1_11comp_targetILNS1_3genE4ELNS1_11target_archE910ELNS1_3gpuE8ELNS1_3repE0EEENS1_52radix_sort_onesweep_histogram_config_static_selectorELNS0_4arch9wavefront6targetE1EEEvSI_
		.amdhsa_group_segment_fixed_size 0
		.amdhsa_private_segment_fixed_size 0
		.amdhsa_kernarg_size 40
		.amdhsa_user_sgpr_count 2
		.amdhsa_user_sgpr_dispatch_ptr 0
		.amdhsa_user_sgpr_queue_ptr 0
		.amdhsa_user_sgpr_kernarg_segment_ptr 1
		.amdhsa_user_sgpr_dispatch_id 0
		.amdhsa_user_sgpr_kernarg_preload_length 0
		.amdhsa_user_sgpr_kernarg_preload_offset 0
		.amdhsa_user_sgpr_private_segment_size 0
		.amdhsa_uses_dynamic_stack 0
		.amdhsa_enable_private_segment 0
		.amdhsa_system_sgpr_workgroup_id_x 1
		.amdhsa_system_sgpr_workgroup_id_y 0
		.amdhsa_system_sgpr_workgroup_id_z 0
		.amdhsa_system_sgpr_workgroup_info 0
		.amdhsa_system_vgpr_workitem_id 0
		.amdhsa_next_free_vgpr 1
		.amdhsa_next_free_sgpr 0
		.amdhsa_accum_offset 4
		.amdhsa_reserve_vcc 0
		.amdhsa_float_round_mode_32 0
		.amdhsa_float_round_mode_16_64 0
		.amdhsa_float_denorm_mode_32 3
		.amdhsa_float_denorm_mode_16_64 3
		.amdhsa_dx10_clamp 1
		.amdhsa_ieee_mode 1
		.amdhsa_fp16_overflow 0
		.amdhsa_tg_split 0
		.amdhsa_exception_fp_ieee_invalid_op 0
		.amdhsa_exception_fp_denorm_src 0
		.amdhsa_exception_fp_ieee_div_zero 0
		.amdhsa_exception_fp_ieee_overflow 0
		.amdhsa_exception_fp_ieee_underflow 0
		.amdhsa_exception_fp_ieee_inexact 0
		.amdhsa_exception_int_div_zero 0
	.end_amdhsa_kernel
	.section	.text._ZN7rocprim17ROCPRIM_400000_NS6detail17trampoline_kernelINS0_14default_configENS1_35radix_sort_onesweep_config_selectorItNS0_10empty_typeEEEZNS1_34radix_sort_onesweep_global_offsetsIS3_Lb0EN6thrust23THRUST_200600_302600_NS6detail15normal_iteratorINS9_10device_ptrItEEEEPS5_jNS0_19identity_decomposerEEE10hipError_tT1_T2_PT3_SK_jT4_jjP12ihipStream_tbEUlT_E_NS1_11comp_targetILNS1_3genE4ELNS1_11target_archE910ELNS1_3gpuE8ELNS1_3repE0EEENS1_52radix_sort_onesweep_histogram_config_static_selectorELNS0_4arch9wavefront6targetE1EEEvSI_,"axG",@progbits,_ZN7rocprim17ROCPRIM_400000_NS6detail17trampoline_kernelINS0_14default_configENS1_35radix_sort_onesweep_config_selectorItNS0_10empty_typeEEEZNS1_34radix_sort_onesweep_global_offsetsIS3_Lb0EN6thrust23THRUST_200600_302600_NS6detail15normal_iteratorINS9_10device_ptrItEEEEPS5_jNS0_19identity_decomposerEEE10hipError_tT1_T2_PT3_SK_jT4_jjP12ihipStream_tbEUlT_E_NS1_11comp_targetILNS1_3genE4ELNS1_11target_archE910ELNS1_3gpuE8ELNS1_3repE0EEENS1_52radix_sort_onesweep_histogram_config_static_selectorELNS0_4arch9wavefront6targetE1EEEvSI_,comdat
.Lfunc_end1315:
	.size	_ZN7rocprim17ROCPRIM_400000_NS6detail17trampoline_kernelINS0_14default_configENS1_35radix_sort_onesweep_config_selectorItNS0_10empty_typeEEEZNS1_34radix_sort_onesweep_global_offsetsIS3_Lb0EN6thrust23THRUST_200600_302600_NS6detail15normal_iteratorINS9_10device_ptrItEEEEPS5_jNS0_19identity_decomposerEEE10hipError_tT1_T2_PT3_SK_jT4_jjP12ihipStream_tbEUlT_E_NS1_11comp_targetILNS1_3genE4ELNS1_11target_archE910ELNS1_3gpuE8ELNS1_3repE0EEENS1_52radix_sort_onesweep_histogram_config_static_selectorELNS0_4arch9wavefront6targetE1EEEvSI_, .Lfunc_end1315-_ZN7rocprim17ROCPRIM_400000_NS6detail17trampoline_kernelINS0_14default_configENS1_35radix_sort_onesweep_config_selectorItNS0_10empty_typeEEEZNS1_34radix_sort_onesweep_global_offsetsIS3_Lb0EN6thrust23THRUST_200600_302600_NS6detail15normal_iteratorINS9_10device_ptrItEEEEPS5_jNS0_19identity_decomposerEEE10hipError_tT1_T2_PT3_SK_jT4_jjP12ihipStream_tbEUlT_E_NS1_11comp_targetILNS1_3genE4ELNS1_11target_archE910ELNS1_3gpuE8ELNS1_3repE0EEENS1_52radix_sort_onesweep_histogram_config_static_selectorELNS0_4arch9wavefront6targetE1EEEvSI_
                                        ; -- End function
	.section	.AMDGPU.csdata,"",@progbits
; Kernel info:
; codeLenInByte = 0
; NumSgprs: 6
; NumVgprs: 0
; NumAgprs: 0
; TotalNumVgprs: 0
; ScratchSize: 0
; MemoryBound: 0
; FloatMode: 240
; IeeeMode: 1
; LDSByteSize: 0 bytes/workgroup (compile time only)
; SGPRBlocks: 0
; VGPRBlocks: 0
; NumSGPRsForWavesPerEU: 6
; NumVGPRsForWavesPerEU: 1
; AccumOffset: 4
; Occupancy: 8
; WaveLimiterHint : 0
; COMPUTE_PGM_RSRC2:SCRATCH_EN: 0
; COMPUTE_PGM_RSRC2:USER_SGPR: 2
; COMPUTE_PGM_RSRC2:TRAP_HANDLER: 0
; COMPUTE_PGM_RSRC2:TGID_X_EN: 1
; COMPUTE_PGM_RSRC2:TGID_Y_EN: 0
; COMPUTE_PGM_RSRC2:TGID_Z_EN: 0
; COMPUTE_PGM_RSRC2:TIDIG_COMP_CNT: 0
; COMPUTE_PGM_RSRC3_GFX90A:ACCUM_OFFSET: 0
; COMPUTE_PGM_RSRC3_GFX90A:TG_SPLIT: 0
	.section	.text._ZN7rocprim17ROCPRIM_400000_NS6detail17trampoline_kernelINS0_14default_configENS1_35radix_sort_onesweep_config_selectorItNS0_10empty_typeEEEZNS1_34radix_sort_onesweep_global_offsetsIS3_Lb0EN6thrust23THRUST_200600_302600_NS6detail15normal_iteratorINS9_10device_ptrItEEEEPS5_jNS0_19identity_decomposerEEE10hipError_tT1_T2_PT3_SK_jT4_jjP12ihipStream_tbEUlT_E_NS1_11comp_targetILNS1_3genE3ELNS1_11target_archE908ELNS1_3gpuE7ELNS1_3repE0EEENS1_52radix_sort_onesweep_histogram_config_static_selectorELNS0_4arch9wavefront6targetE1EEEvSI_,"axG",@progbits,_ZN7rocprim17ROCPRIM_400000_NS6detail17trampoline_kernelINS0_14default_configENS1_35radix_sort_onesweep_config_selectorItNS0_10empty_typeEEEZNS1_34radix_sort_onesweep_global_offsetsIS3_Lb0EN6thrust23THRUST_200600_302600_NS6detail15normal_iteratorINS9_10device_ptrItEEEEPS5_jNS0_19identity_decomposerEEE10hipError_tT1_T2_PT3_SK_jT4_jjP12ihipStream_tbEUlT_E_NS1_11comp_targetILNS1_3genE3ELNS1_11target_archE908ELNS1_3gpuE7ELNS1_3repE0EEENS1_52radix_sort_onesweep_histogram_config_static_selectorELNS0_4arch9wavefront6targetE1EEEvSI_,comdat
	.protected	_ZN7rocprim17ROCPRIM_400000_NS6detail17trampoline_kernelINS0_14default_configENS1_35radix_sort_onesweep_config_selectorItNS0_10empty_typeEEEZNS1_34radix_sort_onesweep_global_offsetsIS3_Lb0EN6thrust23THRUST_200600_302600_NS6detail15normal_iteratorINS9_10device_ptrItEEEEPS5_jNS0_19identity_decomposerEEE10hipError_tT1_T2_PT3_SK_jT4_jjP12ihipStream_tbEUlT_E_NS1_11comp_targetILNS1_3genE3ELNS1_11target_archE908ELNS1_3gpuE7ELNS1_3repE0EEENS1_52radix_sort_onesweep_histogram_config_static_selectorELNS0_4arch9wavefront6targetE1EEEvSI_ ; -- Begin function _ZN7rocprim17ROCPRIM_400000_NS6detail17trampoline_kernelINS0_14default_configENS1_35radix_sort_onesweep_config_selectorItNS0_10empty_typeEEEZNS1_34radix_sort_onesweep_global_offsetsIS3_Lb0EN6thrust23THRUST_200600_302600_NS6detail15normal_iteratorINS9_10device_ptrItEEEEPS5_jNS0_19identity_decomposerEEE10hipError_tT1_T2_PT3_SK_jT4_jjP12ihipStream_tbEUlT_E_NS1_11comp_targetILNS1_3genE3ELNS1_11target_archE908ELNS1_3gpuE7ELNS1_3repE0EEENS1_52radix_sort_onesweep_histogram_config_static_selectorELNS0_4arch9wavefront6targetE1EEEvSI_
	.globl	_ZN7rocprim17ROCPRIM_400000_NS6detail17trampoline_kernelINS0_14default_configENS1_35radix_sort_onesweep_config_selectorItNS0_10empty_typeEEEZNS1_34radix_sort_onesweep_global_offsetsIS3_Lb0EN6thrust23THRUST_200600_302600_NS6detail15normal_iteratorINS9_10device_ptrItEEEEPS5_jNS0_19identity_decomposerEEE10hipError_tT1_T2_PT3_SK_jT4_jjP12ihipStream_tbEUlT_E_NS1_11comp_targetILNS1_3genE3ELNS1_11target_archE908ELNS1_3gpuE7ELNS1_3repE0EEENS1_52radix_sort_onesweep_histogram_config_static_selectorELNS0_4arch9wavefront6targetE1EEEvSI_
	.p2align	8
	.type	_ZN7rocprim17ROCPRIM_400000_NS6detail17trampoline_kernelINS0_14default_configENS1_35radix_sort_onesweep_config_selectorItNS0_10empty_typeEEEZNS1_34radix_sort_onesweep_global_offsetsIS3_Lb0EN6thrust23THRUST_200600_302600_NS6detail15normal_iteratorINS9_10device_ptrItEEEEPS5_jNS0_19identity_decomposerEEE10hipError_tT1_T2_PT3_SK_jT4_jjP12ihipStream_tbEUlT_E_NS1_11comp_targetILNS1_3genE3ELNS1_11target_archE908ELNS1_3gpuE7ELNS1_3repE0EEENS1_52radix_sort_onesweep_histogram_config_static_selectorELNS0_4arch9wavefront6targetE1EEEvSI_,@function
_ZN7rocprim17ROCPRIM_400000_NS6detail17trampoline_kernelINS0_14default_configENS1_35radix_sort_onesweep_config_selectorItNS0_10empty_typeEEEZNS1_34radix_sort_onesweep_global_offsetsIS3_Lb0EN6thrust23THRUST_200600_302600_NS6detail15normal_iteratorINS9_10device_ptrItEEEEPS5_jNS0_19identity_decomposerEEE10hipError_tT1_T2_PT3_SK_jT4_jjP12ihipStream_tbEUlT_E_NS1_11comp_targetILNS1_3genE3ELNS1_11target_archE908ELNS1_3gpuE7ELNS1_3repE0EEENS1_52radix_sort_onesweep_histogram_config_static_selectorELNS0_4arch9wavefront6targetE1EEEvSI_: ; @_ZN7rocprim17ROCPRIM_400000_NS6detail17trampoline_kernelINS0_14default_configENS1_35radix_sort_onesweep_config_selectorItNS0_10empty_typeEEEZNS1_34radix_sort_onesweep_global_offsetsIS3_Lb0EN6thrust23THRUST_200600_302600_NS6detail15normal_iteratorINS9_10device_ptrItEEEEPS5_jNS0_19identity_decomposerEEE10hipError_tT1_T2_PT3_SK_jT4_jjP12ihipStream_tbEUlT_E_NS1_11comp_targetILNS1_3genE3ELNS1_11target_archE908ELNS1_3gpuE7ELNS1_3repE0EEENS1_52radix_sort_onesweep_histogram_config_static_selectorELNS0_4arch9wavefront6targetE1EEEvSI_
; %bb.0:
	.section	.rodata,"a",@progbits
	.p2align	6, 0x0
	.amdhsa_kernel _ZN7rocprim17ROCPRIM_400000_NS6detail17trampoline_kernelINS0_14default_configENS1_35radix_sort_onesweep_config_selectorItNS0_10empty_typeEEEZNS1_34radix_sort_onesweep_global_offsetsIS3_Lb0EN6thrust23THRUST_200600_302600_NS6detail15normal_iteratorINS9_10device_ptrItEEEEPS5_jNS0_19identity_decomposerEEE10hipError_tT1_T2_PT3_SK_jT4_jjP12ihipStream_tbEUlT_E_NS1_11comp_targetILNS1_3genE3ELNS1_11target_archE908ELNS1_3gpuE7ELNS1_3repE0EEENS1_52radix_sort_onesweep_histogram_config_static_selectorELNS0_4arch9wavefront6targetE1EEEvSI_
		.amdhsa_group_segment_fixed_size 0
		.amdhsa_private_segment_fixed_size 0
		.amdhsa_kernarg_size 40
		.amdhsa_user_sgpr_count 2
		.amdhsa_user_sgpr_dispatch_ptr 0
		.amdhsa_user_sgpr_queue_ptr 0
		.amdhsa_user_sgpr_kernarg_segment_ptr 1
		.amdhsa_user_sgpr_dispatch_id 0
		.amdhsa_user_sgpr_kernarg_preload_length 0
		.amdhsa_user_sgpr_kernarg_preload_offset 0
		.amdhsa_user_sgpr_private_segment_size 0
		.amdhsa_uses_dynamic_stack 0
		.amdhsa_enable_private_segment 0
		.amdhsa_system_sgpr_workgroup_id_x 1
		.amdhsa_system_sgpr_workgroup_id_y 0
		.amdhsa_system_sgpr_workgroup_id_z 0
		.amdhsa_system_sgpr_workgroup_info 0
		.amdhsa_system_vgpr_workitem_id 0
		.amdhsa_next_free_vgpr 1
		.amdhsa_next_free_sgpr 0
		.amdhsa_accum_offset 4
		.amdhsa_reserve_vcc 0
		.amdhsa_float_round_mode_32 0
		.amdhsa_float_round_mode_16_64 0
		.amdhsa_float_denorm_mode_32 3
		.amdhsa_float_denorm_mode_16_64 3
		.amdhsa_dx10_clamp 1
		.amdhsa_ieee_mode 1
		.amdhsa_fp16_overflow 0
		.amdhsa_tg_split 0
		.amdhsa_exception_fp_ieee_invalid_op 0
		.amdhsa_exception_fp_denorm_src 0
		.amdhsa_exception_fp_ieee_div_zero 0
		.amdhsa_exception_fp_ieee_overflow 0
		.amdhsa_exception_fp_ieee_underflow 0
		.amdhsa_exception_fp_ieee_inexact 0
		.amdhsa_exception_int_div_zero 0
	.end_amdhsa_kernel
	.section	.text._ZN7rocprim17ROCPRIM_400000_NS6detail17trampoline_kernelINS0_14default_configENS1_35radix_sort_onesweep_config_selectorItNS0_10empty_typeEEEZNS1_34radix_sort_onesweep_global_offsetsIS3_Lb0EN6thrust23THRUST_200600_302600_NS6detail15normal_iteratorINS9_10device_ptrItEEEEPS5_jNS0_19identity_decomposerEEE10hipError_tT1_T2_PT3_SK_jT4_jjP12ihipStream_tbEUlT_E_NS1_11comp_targetILNS1_3genE3ELNS1_11target_archE908ELNS1_3gpuE7ELNS1_3repE0EEENS1_52radix_sort_onesweep_histogram_config_static_selectorELNS0_4arch9wavefront6targetE1EEEvSI_,"axG",@progbits,_ZN7rocprim17ROCPRIM_400000_NS6detail17trampoline_kernelINS0_14default_configENS1_35radix_sort_onesweep_config_selectorItNS0_10empty_typeEEEZNS1_34radix_sort_onesweep_global_offsetsIS3_Lb0EN6thrust23THRUST_200600_302600_NS6detail15normal_iteratorINS9_10device_ptrItEEEEPS5_jNS0_19identity_decomposerEEE10hipError_tT1_T2_PT3_SK_jT4_jjP12ihipStream_tbEUlT_E_NS1_11comp_targetILNS1_3genE3ELNS1_11target_archE908ELNS1_3gpuE7ELNS1_3repE0EEENS1_52radix_sort_onesweep_histogram_config_static_selectorELNS0_4arch9wavefront6targetE1EEEvSI_,comdat
.Lfunc_end1316:
	.size	_ZN7rocprim17ROCPRIM_400000_NS6detail17trampoline_kernelINS0_14default_configENS1_35radix_sort_onesweep_config_selectorItNS0_10empty_typeEEEZNS1_34radix_sort_onesweep_global_offsetsIS3_Lb0EN6thrust23THRUST_200600_302600_NS6detail15normal_iteratorINS9_10device_ptrItEEEEPS5_jNS0_19identity_decomposerEEE10hipError_tT1_T2_PT3_SK_jT4_jjP12ihipStream_tbEUlT_E_NS1_11comp_targetILNS1_3genE3ELNS1_11target_archE908ELNS1_3gpuE7ELNS1_3repE0EEENS1_52radix_sort_onesweep_histogram_config_static_selectorELNS0_4arch9wavefront6targetE1EEEvSI_, .Lfunc_end1316-_ZN7rocprim17ROCPRIM_400000_NS6detail17trampoline_kernelINS0_14default_configENS1_35radix_sort_onesweep_config_selectorItNS0_10empty_typeEEEZNS1_34radix_sort_onesweep_global_offsetsIS3_Lb0EN6thrust23THRUST_200600_302600_NS6detail15normal_iteratorINS9_10device_ptrItEEEEPS5_jNS0_19identity_decomposerEEE10hipError_tT1_T2_PT3_SK_jT4_jjP12ihipStream_tbEUlT_E_NS1_11comp_targetILNS1_3genE3ELNS1_11target_archE908ELNS1_3gpuE7ELNS1_3repE0EEENS1_52radix_sort_onesweep_histogram_config_static_selectorELNS0_4arch9wavefront6targetE1EEEvSI_
                                        ; -- End function
	.section	.AMDGPU.csdata,"",@progbits
; Kernel info:
; codeLenInByte = 0
; NumSgprs: 6
; NumVgprs: 0
; NumAgprs: 0
; TotalNumVgprs: 0
; ScratchSize: 0
; MemoryBound: 0
; FloatMode: 240
; IeeeMode: 1
; LDSByteSize: 0 bytes/workgroup (compile time only)
; SGPRBlocks: 0
; VGPRBlocks: 0
; NumSGPRsForWavesPerEU: 6
; NumVGPRsForWavesPerEU: 1
; AccumOffset: 4
; Occupancy: 8
; WaveLimiterHint : 0
; COMPUTE_PGM_RSRC2:SCRATCH_EN: 0
; COMPUTE_PGM_RSRC2:USER_SGPR: 2
; COMPUTE_PGM_RSRC2:TRAP_HANDLER: 0
; COMPUTE_PGM_RSRC2:TGID_X_EN: 1
; COMPUTE_PGM_RSRC2:TGID_Y_EN: 0
; COMPUTE_PGM_RSRC2:TGID_Z_EN: 0
; COMPUTE_PGM_RSRC2:TIDIG_COMP_CNT: 0
; COMPUTE_PGM_RSRC3_GFX90A:ACCUM_OFFSET: 0
; COMPUTE_PGM_RSRC3_GFX90A:TG_SPLIT: 0
	.section	.text._ZN7rocprim17ROCPRIM_400000_NS6detail17trampoline_kernelINS0_14default_configENS1_35radix_sort_onesweep_config_selectorItNS0_10empty_typeEEEZNS1_34radix_sort_onesweep_global_offsetsIS3_Lb0EN6thrust23THRUST_200600_302600_NS6detail15normal_iteratorINS9_10device_ptrItEEEEPS5_jNS0_19identity_decomposerEEE10hipError_tT1_T2_PT3_SK_jT4_jjP12ihipStream_tbEUlT_E_NS1_11comp_targetILNS1_3genE10ELNS1_11target_archE1201ELNS1_3gpuE5ELNS1_3repE0EEENS1_52radix_sort_onesweep_histogram_config_static_selectorELNS0_4arch9wavefront6targetE1EEEvSI_,"axG",@progbits,_ZN7rocprim17ROCPRIM_400000_NS6detail17trampoline_kernelINS0_14default_configENS1_35radix_sort_onesweep_config_selectorItNS0_10empty_typeEEEZNS1_34radix_sort_onesweep_global_offsetsIS3_Lb0EN6thrust23THRUST_200600_302600_NS6detail15normal_iteratorINS9_10device_ptrItEEEEPS5_jNS0_19identity_decomposerEEE10hipError_tT1_T2_PT3_SK_jT4_jjP12ihipStream_tbEUlT_E_NS1_11comp_targetILNS1_3genE10ELNS1_11target_archE1201ELNS1_3gpuE5ELNS1_3repE0EEENS1_52radix_sort_onesweep_histogram_config_static_selectorELNS0_4arch9wavefront6targetE1EEEvSI_,comdat
	.protected	_ZN7rocprim17ROCPRIM_400000_NS6detail17trampoline_kernelINS0_14default_configENS1_35radix_sort_onesweep_config_selectorItNS0_10empty_typeEEEZNS1_34radix_sort_onesweep_global_offsetsIS3_Lb0EN6thrust23THRUST_200600_302600_NS6detail15normal_iteratorINS9_10device_ptrItEEEEPS5_jNS0_19identity_decomposerEEE10hipError_tT1_T2_PT3_SK_jT4_jjP12ihipStream_tbEUlT_E_NS1_11comp_targetILNS1_3genE10ELNS1_11target_archE1201ELNS1_3gpuE5ELNS1_3repE0EEENS1_52radix_sort_onesweep_histogram_config_static_selectorELNS0_4arch9wavefront6targetE1EEEvSI_ ; -- Begin function _ZN7rocprim17ROCPRIM_400000_NS6detail17trampoline_kernelINS0_14default_configENS1_35radix_sort_onesweep_config_selectorItNS0_10empty_typeEEEZNS1_34radix_sort_onesweep_global_offsetsIS3_Lb0EN6thrust23THRUST_200600_302600_NS6detail15normal_iteratorINS9_10device_ptrItEEEEPS5_jNS0_19identity_decomposerEEE10hipError_tT1_T2_PT3_SK_jT4_jjP12ihipStream_tbEUlT_E_NS1_11comp_targetILNS1_3genE10ELNS1_11target_archE1201ELNS1_3gpuE5ELNS1_3repE0EEENS1_52radix_sort_onesweep_histogram_config_static_selectorELNS0_4arch9wavefront6targetE1EEEvSI_
	.globl	_ZN7rocprim17ROCPRIM_400000_NS6detail17trampoline_kernelINS0_14default_configENS1_35radix_sort_onesweep_config_selectorItNS0_10empty_typeEEEZNS1_34radix_sort_onesweep_global_offsetsIS3_Lb0EN6thrust23THRUST_200600_302600_NS6detail15normal_iteratorINS9_10device_ptrItEEEEPS5_jNS0_19identity_decomposerEEE10hipError_tT1_T2_PT3_SK_jT4_jjP12ihipStream_tbEUlT_E_NS1_11comp_targetILNS1_3genE10ELNS1_11target_archE1201ELNS1_3gpuE5ELNS1_3repE0EEENS1_52radix_sort_onesweep_histogram_config_static_selectorELNS0_4arch9wavefront6targetE1EEEvSI_
	.p2align	8
	.type	_ZN7rocprim17ROCPRIM_400000_NS6detail17trampoline_kernelINS0_14default_configENS1_35radix_sort_onesweep_config_selectorItNS0_10empty_typeEEEZNS1_34radix_sort_onesweep_global_offsetsIS3_Lb0EN6thrust23THRUST_200600_302600_NS6detail15normal_iteratorINS9_10device_ptrItEEEEPS5_jNS0_19identity_decomposerEEE10hipError_tT1_T2_PT3_SK_jT4_jjP12ihipStream_tbEUlT_E_NS1_11comp_targetILNS1_3genE10ELNS1_11target_archE1201ELNS1_3gpuE5ELNS1_3repE0EEENS1_52radix_sort_onesweep_histogram_config_static_selectorELNS0_4arch9wavefront6targetE1EEEvSI_,@function
_ZN7rocprim17ROCPRIM_400000_NS6detail17trampoline_kernelINS0_14default_configENS1_35radix_sort_onesweep_config_selectorItNS0_10empty_typeEEEZNS1_34radix_sort_onesweep_global_offsetsIS3_Lb0EN6thrust23THRUST_200600_302600_NS6detail15normal_iteratorINS9_10device_ptrItEEEEPS5_jNS0_19identity_decomposerEEE10hipError_tT1_T2_PT3_SK_jT4_jjP12ihipStream_tbEUlT_E_NS1_11comp_targetILNS1_3genE10ELNS1_11target_archE1201ELNS1_3gpuE5ELNS1_3repE0EEENS1_52radix_sort_onesweep_histogram_config_static_selectorELNS0_4arch9wavefront6targetE1EEEvSI_: ; @_ZN7rocprim17ROCPRIM_400000_NS6detail17trampoline_kernelINS0_14default_configENS1_35radix_sort_onesweep_config_selectorItNS0_10empty_typeEEEZNS1_34radix_sort_onesweep_global_offsetsIS3_Lb0EN6thrust23THRUST_200600_302600_NS6detail15normal_iteratorINS9_10device_ptrItEEEEPS5_jNS0_19identity_decomposerEEE10hipError_tT1_T2_PT3_SK_jT4_jjP12ihipStream_tbEUlT_E_NS1_11comp_targetILNS1_3genE10ELNS1_11target_archE1201ELNS1_3gpuE5ELNS1_3repE0EEENS1_52radix_sort_onesweep_histogram_config_static_selectorELNS0_4arch9wavefront6targetE1EEEvSI_
; %bb.0:
	.section	.rodata,"a",@progbits
	.p2align	6, 0x0
	.amdhsa_kernel _ZN7rocprim17ROCPRIM_400000_NS6detail17trampoline_kernelINS0_14default_configENS1_35radix_sort_onesweep_config_selectorItNS0_10empty_typeEEEZNS1_34radix_sort_onesweep_global_offsetsIS3_Lb0EN6thrust23THRUST_200600_302600_NS6detail15normal_iteratorINS9_10device_ptrItEEEEPS5_jNS0_19identity_decomposerEEE10hipError_tT1_T2_PT3_SK_jT4_jjP12ihipStream_tbEUlT_E_NS1_11comp_targetILNS1_3genE10ELNS1_11target_archE1201ELNS1_3gpuE5ELNS1_3repE0EEENS1_52radix_sort_onesweep_histogram_config_static_selectorELNS0_4arch9wavefront6targetE1EEEvSI_
		.amdhsa_group_segment_fixed_size 0
		.amdhsa_private_segment_fixed_size 0
		.amdhsa_kernarg_size 40
		.amdhsa_user_sgpr_count 2
		.amdhsa_user_sgpr_dispatch_ptr 0
		.amdhsa_user_sgpr_queue_ptr 0
		.amdhsa_user_sgpr_kernarg_segment_ptr 1
		.amdhsa_user_sgpr_dispatch_id 0
		.amdhsa_user_sgpr_kernarg_preload_length 0
		.amdhsa_user_sgpr_kernarg_preload_offset 0
		.amdhsa_user_sgpr_private_segment_size 0
		.amdhsa_uses_dynamic_stack 0
		.amdhsa_enable_private_segment 0
		.amdhsa_system_sgpr_workgroup_id_x 1
		.amdhsa_system_sgpr_workgroup_id_y 0
		.amdhsa_system_sgpr_workgroup_id_z 0
		.amdhsa_system_sgpr_workgroup_info 0
		.amdhsa_system_vgpr_workitem_id 0
		.amdhsa_next_free_vgpr 1
		.amdhsa_next_free_sgpr 0
		.amdhsa_accum_offset 4
		.amdhsa_reserve_vcc 0
		.amdhsa_float_round_mode_32 0
		.amdhsa_float_round_mode_16_64 0
		.amdhsa_float_denorm_mode_32 3
		.amdhsa_float_denorm_mode_16_64 3
		.amdhsa_dx10_clamp 1
		.amdhsa_ieee_mode 1
		.amdhsa_fp16_overflow 0
		.amdhsa_tg_split 0
		.amdhsa_exception_fp_ieee_invalid_op 0
		.amdhsa_exception_fp_denorm_src 0
		.amdhsa_exception_fp_ieee_div_zero 0
		.amdhsa_exception_fp_ieee_overflow 0
		.amdhsa_exception_fp_ieee_underflow 0
		.amdhsa_exception_fp_ieee_inexact 0
		.amdhsa_exception_int_div_zero 0
	.end_amdhsa_kernel
	.section	.text._ZN7rocprim17ROCPRIM_400000_NS6detail17trampoline_kernelINS0_14default_configENS1_35radix_sort_onesweep_config_selectorItNS0_10empty_typeEEEZNS1_34radix_sort_onesweep_global_offsetsIS3_Lb0EN6thrust23THRUST_200600_302600_NS6detail15normal_iteratorINS9_10device_ptrItEEEEPS5_jNS0_19identity_decomposerEEE10hipError_tT1_T2_PT3_SK_jT4_jjP12ihipStream_tbEUlT_E_NS1_11comp_targetILNS1_3genE10ELNS1_11target_archE1201ELNS1_3gpuE5ELNS1_3repE0EEENS1_52radix_sort_onesweep_histogram_config_static_selectorELNS0_4arch9wavefront6targetE1EEEvSI_,"axG",@progbits,_ZN7rocprim17ROCPRIM_400000_NS6detail17trampoline_kernelINS0_14default_configENS1_35radix_sort_onesweep_config_selectorItNS0_10empty_typeEEEZNS1_34radix_sort_onesweep_global_offsetsIS3_Lb0EN6thrust23THRUST_200600_302600_NS6detail15normal_iteratorINS9_10device_ptrItEEEEPS5_jNS0_19identity_decomposerEEE10hipError_tT1_T2_PT3_SK_jT4_jjP12ihipStream_tbEUlT_E_NS1_11comp_targetILNS1_3genE10ELNS1_11target_archE1201ELNS1_3gpuE5ELNS1_3repE0EEENS1_52radix_sort_onesweep_histogram_config_static_selectorELNS0_4arch9wavefront6targetE1EEEvSI_,comdat
.Lfunc_end1317:
	.size	_ZN7rocprim17ROCPRIM_400000_NS6detail17trampoline_kernelINS0_14default_configENS1_35radix_sort_onesweep_config_selectorItNS0_10empty_typeEEEZNS1_34radix_sort_onesweep_global_offsetsIS3_Lb0EN6thrust23THRUST_200600_302600_NS6detail15normal_iteratorINS9_10device_ptrItEEEEPS5_jNS0_19identity_decomposerEEE10hipError_tT1_T2_PT3_SK_jT4_jjP12ihipStream_tbEUlT_E_NS1_11comp_targetILNS1_3genE10ELNS1_11target_archE1201ELNS1_3gpuE5ELNS1_3repE0EEENS1_52radix_sort_onesweep_histogram_config_static_selectorELNS0_4arch9wavefront6targetE1EEEvSI_, .Lfunc_end1317-_ZN7rocprim17ROCPRIM_400000_NS6detail17trampoline_kernelINS0_14default_configENS1_35radix_sort_onesweep_config_selectorItNS0_10empty_typeEEEZNS1_34radix_sort_onesweep_global_offsetsIS3_Lb0EN6thrust23THRUST_200600_302600_NS6detail15normal_iteratorINS9_10device_ptrItEEEEPS5_jNS0_19identity_decomposerEEE10hipError_tT1_T2_PT3_SK_jT4_jjP12ihipStream_tbEUlT_E_NS1_11comp_targetILNS1_3genE10ELNS1_11target_archE1201ELNS1_3gpuE5ELNS1_3repE0EEENS1_52radix_sort_onesweep_histogram_config_static_selectorELNS0_4arch9wavefront6targetE1EEEvSI_
                                        ; -- End function
	.section	.AMDGPU.csdata,"",@progbits
; Kernel info:
; codeLenInByte = 0
; NumSgprs: 6
; NumVgprs: 0
; NumAgprs: 0
; TotalNumVgprs: 0
; ScratchSize: 0
; MemoryBound: 0
; FloatMode: 240
; IeeeMode: 1
; LDSByteSize: 0 bytes/workgroup (compile time only)
; SGPRBlocks: 0
; VGPRBlocks: 0
; NumSGPRsForWavesPerEU: 6
; NumVGPRsForWavesPerEU: 1
; AccumOffset: 4
; Occupancy: 8
; WaveLimiterHint : 0
; COMPUTE_PGM_RSRC2:SCRATCH_EN: 0
; COMPUTE_PGM_RSRC2:USER_SGPR: 2
; COMPUTE_PGM_RSRC2:TRAP_HANDLER: 0
; COMPUTE_PGM_RSRC2:TGID_X_EN: 1
; COMPUTE_PGM_RSRC2:TGID_Y_EN: 0
; COMPUTE_PGM_RSRC2:TGID_Z_EN: 0
; COMPUTE_PGM_RSRC2:TIDIG_COMP_CNT: 0
; COMPUTE_PGM_RSRC3_GFX90A:ACCUM_OFFSET: 0
; COMPUTE_PGM_RSRC3_GFX90A:TG_SPLIT: 0
	.section	.text._ZN7rocprim17ROCPRIM_400000_NS6detail17trampoline_kernelINS0_14default_configENS1_35radix_sort_onesweep_config_selectorItNS0_10empty_typeEEEZNS1_34radix_sort_onesweep_global_offsetsIS3_Lb0EN6thrust23THRUST_200600_302600_NS6detail15normal_iteratorINS9_10device_ptrItEEEEPS5_jNS0_19identity_decomposerEEE10hipError_tT1_T2_PT3_SK_jT4_jjP12ihipStream_tbEUlT_E_NS1_11comp_targetILNS1_3genE9ELNS1_11target_archE1100ELNS1_3gpuE3ELNS1_3repE0EEENS1_52radix_sort_onesweep_histogram_config_static_selectorELNS0_4arch9wavefront6targetE1EEEvSI_,"axG",@progbits,_ZN7rocprim17ROCPRIM_400000_NS6detail17trampoline_kernelINS0_14default_configENS1_35radix_sort_onesweep_config_selectorItNS0_10empty_typeEEEZNS1_34radix_sort_onesweep_global_offsetsIS3_Lb0EN6thrust23THRUST_200600_302600_NS6detail15normal_iteratorINS9_10device_ptrItEEEEPS5_jNS0_19identity_decomposerEEE10hipError_tT1_T2_PT3_SK_jT4_jjP12ihipStream_tbEUlT_E_NS1_11comp_targetILNS1_3genE9ELNS1_11target_archE1100ELNS1_3gpuE3ELNS1_3repE0EEENS1_52radix_sort_onesweep_histogram_config_static_selectorELNS0_4arch9wavefront6targetE1EEEvSI_,comdat
	.protected	_ZN7rocprim17ROCPRIM_400000_NS6detail17trampoline_kernelINS0_14default_configENS1_35radix_sort_onesweep_config_selectorItNS0_10empty_typeEEEZNS1_34radix_sort_onesweep_global_offsetsIS3_Lb0EN6thrust23THRUST_200600_302600_NS6detail15normal_iteratorINS9_10device_ptrItEEEEPS5_jNS0_19identity_decomposerEEE10hipError_tT1_T2_PT3_SK_jT4_jjP12ihipStream_tbEUlT_E_NS1_11comp_targetILNS1_3genE9ELNS1_11target_archE1100ELNS1_3gpuE3ELNS1_3repE0EEENS1_52radix_sort_onesweep_histogram_config_static_selectorELNS0_4arch9wavefront6targetE1EEEvSI_ ; -- Begin function _ZN7rocprim17ROCPRIM_400000_NS6detail17trampoline_kernelINS0_14default_configENS1_35radix_sort_onesweep_config_selectorItNS0_10empty_typeEEEZNS1_34radix_sort_onesweep_global_offsetsIS3_Lb0EN6thrust23THRUST_200600_302600_NS6detail15normal_iteratorINS9_10device_ptrItEEEEPS5_jNS0_19identity_decomposerEEE10hipError_tT1_T2_PT3_SK_jT4_jjP12ihipStream_tbEUlT_E_NS1_11comp_targetILNS1_3genE9ELNS1_11target_archE1100ELNS1_3gpuE3ELNS1_3repE0EEENS1_52radix_sort_onesweep_histogram_config_static_selectorELNS0_4arch9wavefront6targetE1EEEvSI_
	.globl	_ZN7rocprim17ROCPRIM_400000_NS6detail17trampoline_kernelINS0_14default_configENS1_35radix_sort_onesweep_config_selectorItNS0_10empty_typeEEEZNS1_34radix_sort_onesweep_global_offsetsIS3_Lb0EN6thrust23THRUST_200600_302600_NS6detail15normal_iteratorINS9_10device_ptrItEEEEPS5_jNS0_19identity_decomposerEEE10hipError_tT1_T2_PT3_SK_jT4_jjP12ihipStream_tbEUlT_E_NS1_11comp_targetILNS1_3genE9ELNS1_11target_archE1100ELNS1_3gpuE3ELNS1_3repE0EEENS1_52radix_sort_onesweep_histogram_config_static_selectorELNS0_4arch9wavefront6targetE1EEEvSI_
	.p2align	8
	.type	_ZN7rocprim17ROCPRIM_400000_NS6detail17trampoline_kernelINS0_14default_configENS1_35radix_sort_onesweep_config_selectorItNS0_10empty_typeEEEZNS1_34radix_sort_onesweep_global_offsetsIS3_Lb0EN6thrust23THRUST_200600_302600_NS6detail15normal_iteratorINS9_10device_ptrItEEEEPS5_jNS0_19identity_decomposerEEE10hipError_tT1_T2_PT3_SK_jT4_jjP12ihipStream_tbEUlT_E_NS1_11comp_targetILNS1_3genE9ELNS1_11target_archE1100ELNS1_3gpuE3ELNS1_3repE0EEENS1_52radix_sort_onesweep_histogram_config_static_selectorELNS0_4arch9wavefront6targetE1EEEvSI_,@function
_ZN7rocprim17ROCPRIM_400000_NS6detail17trampoline_kernelINS0_14default_configENS1_35radix_sort_onesweep_config_selectorItNS0_10empty_typeEEEZNS1_34radix_sort_onesweep_global_offsetsIS3_Lb0EN6thrust23THRUST_200600_302600_NS6detail15normal_iteratorINS9_10device_ptrItEEEEPS5_jNS0_19identity_decomposerEEE10hipError_tT1_T2_PT3_SK_jT4_jjP12ihipStream_tbEUlT_E_NS1_11comp_targetILNS1_3genE9ELNS1_11target_archE1100ELNS1_3gpuE3ELNS1_3repE0EEENS1_52radix_sort_onesweep_histogram_config_static_selectorELNS0_4arch9wavefront6targetE1EEEvSI_: ; @_ZN7rocprim17ROCPRIM_400000_NS6detail17trampoline_kernelINS0_14default_configENS1_35radix_sort_onesweep_config_selectorItNS0_10empty_typeEEEZNS1_34radix_sort_onesweep_global_offsetsIS3_Lb0EN6thrust23THRUST_200600_302600_NS6detail15normal_iteratorINS9_10device_ptrItEEEEPS5_jNS0_19identity_decomposerEEE10hipError_tT1_T2_PT3_SK_jT4_jjP12ihipStream_tbEUlT_E_NS1_11comp_targetILNS1_3genE9ELNS1_11target_archE1100ELNS1_3gpuE3ELNS1_3repE0EEENS1_52radix_sort_onesweep_histogram_config_static_selectorELNS0_4arch9wavefront6targetE1EEEvSI_
; %bb.0:
	.section	.rodata,"a",@progbits
	.p2align	6, 0x0
	.amdhsa_kernel _ZN7rocprim17ROCPRIM_400000_NS6detail17trampoline_kernelINS0_14default_configENS1_35radix_sort_onesweep_config_selectorItNS0_10empty_typeEEEZNS1_34radix_sort_onesweep_global_offsetsIS3_Lb0EN6thrust23THRUST_200600_302600_NS6detail15normal_iteratorINS9_10device_ptrItEEEEPS5_jNS0_19identity_decomposerEEE10hipError_tT1_T2_PT3_SK_jT4_jjP12ihipStream_tbEUlT_E_NS1_11comp_targetILNS1_3genE9ELNS1_11target_archE1100ELNS1_3gpuE3ELNS1_3repE0EEENS1_52radix_sort_onesweep_histogram_config_static_selectorELNS0_4arch9wavefront6targetE1EEEvSI_
		.amdhsa_group_segment_fixed_size 0
		.amdhsa_private_segment_fixed_size 0
		.amdhsa_kernarg_size 40
		.amdhsa_user_sgpr_count 2
		.amdhsa_user_sgpr_dispatch_ptr 0
		.amdhsa_user_sgpr_queue_ptr 0
		.amdhsa_user_sgpr_kernarg_segment_ptr 1
		.amdhsa_user_sgpr_dispatch_id 0
		.amdhsa_user_sgpr_kernarg_preload_length 0
		.amdhsa_user_sgpr_kernarg_preload_offset 0
		.amdhsa_user_sgpr_private_segment_size 0
		.amdhsa_uses_dynamic_stack 0
		.amdhsa_enable_private_segment 0
		.amdhsa_system_sgpr_workgroup_id_x 1
		.amdhsa_system_sgpr_workgroup_id_y 0
		.amdhsa_system_sgpr_workgroup_id_z 0
		.amdhsa_system_sgpr_workgroup_info 0
		.amdhsa_system_vgpr_workitem_id 0
		.amdhsa_next_free_vgpr 1
		.amdhsa_next_free_sgpr 0
		.amdhsa_accum_offset 4
		.amdhsa_reserve_vcc 0
		.amdhsa_float_round_mode_32 0
		.amdhsa_float_round_mode_16_64 0
		.amdhsa_float_denorm_mode_32 3
		.amdhsa_float_denorm_mode_16_64 3
		.amdhsa_dx10_clamp 1
		.amdhsa_ieee_mode 1
		.amdhsa_fp16_overflow 0
		.amdhsa_tg_split 0
		.amdhsa_exception_fp_ieee_invalid_op 0
		.amdhsa_exception_fp_denorm_src 0
		.amdhsa_exception_fp_ieee_div_zero 0
		.amdhsa_exception_fp_ieee_overflow 0
		.amdhsa_exception_fp_ieee_underflow 0
		.amdhsa_exception_fp_ieee_inexact 0
		.amdhsa_exception_int_div_zero 0
	.end_amdhsa_kernel
	.section	.text._ZN7rocprim17ROCPRIM_400000_NS6detail17trampoline_kernelINS0_14default_configENS1_35radix_sort_onesweep_config_selectorItNS0_10empty_typeEEEZNS1_34radix_sort_onesweep_global_offsetsIS3_Lb0EN6thrust23THRUST_200600_302600_NS6detail15normal_iteratorINS9_10device_ptrItEEEEPS5_jNS0_19identity_decomposerEEE10hipError_tT1_T2_PT3_SK_jT4_jjP12ihipStream_tbEUlT_E_NS1_11comp_targetILNS1_3genE9ELNS1_11target_archE1100ELNS1_3gpuE3ELNS1_3repE0EEENS1_52radix_sort_onesweep_histogram_config_static_selectorELNS0_4arch9wavefront6targetE1EEEvSI_,"axG",@progbits,_ZN7rocprim17ROCPRIM_400000_NS6detail17trampoline_kernelINS0_14default_configENS1_35radix_sort_onesweep_config_selectorItNS0_10empty_typeEEEZNS1_34radix_sort_onesweep_global_offsetsIS3_Lb0EN6thrust23THRUST_200600_302600_NS6detail15normal_iteratorINS9_10device_ptrItEEEEPS5_jNS0_19identity_decomposerEEE10hipError_tT1_T2_PT3_SK_jT4_jjP12ihipStream_tbEUlT_E_NS1_11comp_targetILNS1_3genE9ELNS1_11target_archE1100ELNS1_3gpuE3ELNS1_3repE0EEENS1_52radix_sort_onesweep_histogram_config_static_selectorELNS0_4arch9wavefront6targetE1EEEvSI_,comdat
.Lfunc_end1318:
	.size	_ZN7rocprim17ROCPRIM_400000_NS6detail17trampoline_kernelINS0_14default_configENS1_35radix_sort_onesweep_config_selectorItNS0_10empty_typeEEEZNS1_34radix_sort_onesweep_global_offsetsIS3_Lb0EN6thrust23THRUST_200600_302600_NS6detail15normal_iteratorINS9_10device_ptrItEEEEPS5_jNS0_19identity_decomposerEEE10hipError_tT1_T2_PT3_SK_jT4_jjP12ihipStream_tbEUlT_E_NS1_11comp_targetILNS1_3genE9ELNS1_11target_archE1100ELNS1_3gpuE3ELNS1_3repE0EEENS1_52radix_sort_onesweep_histogram_config_static_selectorELNS0_4arch9wavefront6targetE1EEEvSI_, .Lfunc_end1318-_ZN7rocprim17ROCPRIM_400000_NS6detail17trampoline_kernelINS0_14default_configENS1_35radix_sort_onesweep_config_selectorItNS0_10empty_typeEEEZNS1_34radix_sort_onesweep_global_offsetsIS3_Lb0EN6thrust23THRUST_200600_302600_NS6detail15normal_iteratorINS9_10device_ptrItEEEEPS5_jNS0_19identity_decomposerEEE10hipError_tT1_T2_PT3_SK_jT4_jjP12ihipStream_tbEUlT_E_NS1_11comp_targetILNS1_3genE9ELNS1_11target_archE1100ELNS1_3gpuE3ELNS1_3repE0EEENS1_52radix_sort_onesweep_histogram_config_static_selectorELNS0_4arch9wavefront6targetE1EEEvSI_
                                        ; -- End function
	.section	.AMDGPU.csdata,"",@progbits
; Kernel info:
; codeLenInByte = 0
; NumSgprs: 6
; NumVgprs: 0
; NumAgprs: 0
; TotalNumVgprs: 0
; ScratchSize: 0
; MemoryBound: 0
; FloatMode: 240
; IeeeMode: 1
; LDSByteSize: 0 bytes/workgroup (compile time only)
; SGPRBlocks: 0
; VGPRBlocks: 0
; NumSGPRsForWavesPerEU: 6
; NumVGPRsForWavesPerEU: 1
; AccumOffset: 4
; Occupancy: 8
; WaveLimiterHint : 0
; COMPUTE_PGM_RSRC2:SCRATCH_EN: 0
; COMPUTE_PGM_RSRC2:USER_SGPR: 2
; COMPUTE_PGM_RSRC2:TRAP_HANDLER: 0
; COMPUTE_PGM_RSRC2:TGID_X_EN: 1
; COMPUTE_PGM_RSRC2:TGID_Y_EN: 0
; COMPUTE_PGM_RSRC2:TGID_Z_EN: 0
; COMPUTE_PGM_RSRC2:TIDIG_COMP_CNT: 0
; COMPUTE_PGM_RSRC3_GFX90A:ACCUM_OFFSET: 0
; COMPUTE_PGM_RSRC3_GFX90A:TG_SPLIT: 0
	.section	.text._ZN7rocprim17ROCPRIM_400000_NS6detail17trampoline_kernelINS0_14default_configENS1_35radix_sort_onesweep_config_selectorItNS0_10empty_typeEEEZNS1_34radix_sort_onesweep_global_offsetsIS3_Lb0EN6thrust23THRUST_200600_302600_NS6detail15normal_iteratorINS9_10device_ptrItEEEEPS5_jNS0_19identity_decomposerEEE10hipError_tT1_T2_PT3_SK_jT4_jjP12ihipStream_tbEUlT_E_NS1_11comp_targetILNS1_3genE8ELNS1_11target_archE1030ELNS1_3gpuE2ELNS1_3repE0EEENS1_52radix_sort_onesweep_histogram_config_static_selectorELNS0_4arch9wavefront6targetE1EEEvSI_,"axG",@progbits,_ZN7rocprim17ROCPRIM_400000_NS6detail17trampoline_kernelINS0_14default_configENS1_35radix_sort_onesweep_config_selectorItNS0_10empty_typeEEEZNS1_34radix_sort_onesweep_global_offsetsIS3_Lb0EN6thrust23THRUST_200600_302600_NS6detail15normal_iteratorINS9_10device_ptrItEEEEPS5_jNS0_19identity_decomposerEEE10hipError_tT1_T2_PT3_SK_jT4_jjP12ihipStream_tbEUlT_E_NS1_11comp_targetILNS1_3genE8ELNS1_11target_archE1030ELNS1_3gpuE2ELNS1_3repE0EEENS1_52radix_sort_onesweep_histogram_config_static_selectorELNS0_4arch9wavefront6targetE1EEEvSI_,comdat
	.protected	_ZN7rocprim17ROCPRIM_400000_NS6detail17trampoline_kernelINS0_14default_configENS1_35radix_sort_onesweep_config_selectorItNS0_10empty_typeEEEZNS1_34radix_sort_onesweep_global_offsetsIS3_Lb0EN6thrust23THRUST_200600_302600_NS6detail15normal_iteratorINS9_10device_ptrItEEEEPS5_jNS0_19identity_decomposerEEE10hipError_tT1_T2_PT3_SK_jT4_jjP12ihipStream_tbEUlT_E_NS1_11comp_targetILNS1_3genE8ELNS1_11target_archE1030ELNS1_3gpuE2ELNS1_3repE0EEENS1_52radix_sort_onesweep_histogram_config_static_selectorELNS0_4arch9wavefront6targetE1EEEvSI_ ; -- Begin function _ZN7rocprim17ROCPRIM_400000_NS6detail17trampoline_kernelINS0_14default_configENS1_35radix_sort_onesweep_config_selectorItNS0_10empty_typeEEEZNS1_34radix_sort_onesweep_global_offsetsIS3_Lb0EN6thrust23THRUST_200600_302600_NS6detail15normal_iteratorINS9_10device_ptrItEEEEPS5_jNS0_19identity_decomposerEEE10hipError_tT1_T2_PT3_SK_jT4_jjP12ihipStream_tbEUlT_E_NS1_11comp_targetILNS1_3genE8ELNS1_11target_archE1030ELNS1_3gpuE2ELNS1_3repE0EEENS1_52radix_sort_onesweep_histogram_config_static_selectorELNS0_4arch9wavefront6targetE1EEEvSI_
	.globl	_ZN7rocprim17ROCPRIM_400000_NS6detail17trampoline_kernelINS0_14default_configENS1_35radix_sort_onesweep_config_selectorItNS0_10empty_typeEEEZNS1_34radix_sort_onesweep_global_offsetsIS3_Lb0EN6thrust23THRUST_200600_302600_NS6detail15normal_iteratorINS9_10device_ptrItEEEEPS5_jNS0_19identity_decomposerEEE10hipError_tT1_T2_PT3_SK_jT4_jjP12ihipStream_tbEUlT_E_NS1_11comp_targetILNS1_3genE8ELNS1_11target_archE1030ELNS1_3gpuE2ELNS1_3repE0EEENS1_52radix_sort_onesweep_histogram_config_static_selectorELNS0_4arch9wavefront6targetE1EEEvSI_
	.p2align	8
	.type	_ZN7rocprim17ROCPRIM_400000_NS6detail17trampoline_kernelINS0_14default_configENS1_35radix_sort_onesweep_config_selectorItNS0_10empty_typeEEEZNS1_34radix_sort_onesweep_global_offsetsIS3_Lb0EN6thrust23THRUST_200600_302600_NS6detail15normal_iteratorINS9_10device_ptrItEEEEPS5_jNS0_19identity_decomposerEEE10hipError_tT1_T2_PT3_SK_jT4_jjP12ihipStream_tbEUlT_E_NS1_11comp_targetILNS1_3genE8ELNS1_11target_archE1030ELNS1_3gpuE2ELNS1_3repE0EEENS1_52radix_sort_onesweep_histogram_config_static_selectorELNS0_4arch9wavefront6targetE1EEEvSI_,@function
_ZN7rocprim17ROCPRIM_400000_NS6detail17trampoline_kernelINS0_14default_configENS1_35radix_sort_onesweep_config_selectorItNS0_10empty_typeEEEZNS1_34radix_sort_onesweep_global_offsetsIS3_Lb0EN6thrust23THRUST_200600_302600_NS6detail15normal_iteratorINS9_10device_ptrItEEEEPS5_jNS0_19identity_decomposerEEE10hipError_tT1_T2_PT3_SK_jT4_jjP12ihipStream_tbEUlT_E_NS1_11comp_targetILNS1_3genE8ELNS1_11target_archE1030ELNS1_3gpuE2ELNS1_3repE0EEENS1_52radix_sort_onesweep_histogram_config_static_selectorELNS0_4arch9wavefront6targetE1EEEvSI_: ; @_ZN7rocprim17ROCPRIM_400000_NS6detail17trampoline_kernelINS0_14default_configENS1_35radix_sort_onesweep_config_selectorItNS0_10empty_typeEEEZNS1_34radix_sort_onesweep_global_offsetsIS3_Lb0EN6thrust23THRUST_200600_302600_NS6detail15normal_iteratorINS9_10device_ptrItEEEEPS5_jNS0_19identity_decomposerEEE10hipError_tT1_T2_PT3_SK_jT4_jjP12ihipStream_tbEUlT_E_NS1_11comp_targetILNS1_3genE8ELNS1_11target_archE1030ELNS1_3gpuE2ELNS1_3repE0EEENS1_52radix_sort_onesweep_histogram_config_static_selectorELNS0_4arch9wavefront6targetE1EEEvSI_
; %bb.0:
	.section	.rodata,"a",@progbits
	.p2align	6, 0x0
	.amdhsa_kernel _ZN7rocprim17ROCPRIM_400000_NS6detail17trampoline_kernelINS0_14default_configENS1_35radix_sort_onesweep_config_selectorItNS0_10empty_typeEEEZNS1_34radix_sort_onesweep_global_offsetsIS3_Lb0EN6thrust23THRUST_200600_302600_NS6detail15normal_iteratorINS9_10device_ptrItEEEEPS5_jNS0_19identity_decomposerEEE10hipError_tT1_T2_PT3_SK_jT4_jjP12ihipStream_tbEUlT_E_NS1_11comp_targetILNS1_3genE8ELNS1_11target_archE1030ELNS1_3gpuE2ELNS1_3repE0EEENS1_52radix_sort_onesweep_histogram_config_static_selectorELNS0_4arch9wavefront6targetE1EEEvSI_
		.amdhsa_group_segment_fixed_size 0
		.amdhsa_private_segment_fixed_size 0
		.amdhsa_kernarg_size 40
		.amdhsa_user_sgpr_count 2
		.amdhsa_user_sgpr_dispatch_ptr 0
		.amdhsa_user_sgpr_queue_ptr 0
		.amdhsa_user_sgpr_kernarg_segment_ptr 1
		.amdhsa_user_sgpr_dispatch_id 0
		.amdhsa_user_sgpr_kernarg_preload_length 0
		.amdhsa_user_sgpr_kernarg_preload_offset 0
		.amdhsa_user_sgpr_private_segment_size 0
		.amdhsa_uses_dynamic_stack 0
		.amdhsa_enable_private_segment 0
		.amdhsa_system_sgpr_workgroup_id_x 1
		.amdhsa_system_sgpr_workgroup_id_y 0
		.amdhsa_system_sgpr_workgroup_id_z 0
		.amdhsa_system_sgpr_workgroup_info 0
		.amdhsa_system_vgpr_workitem_id 0
		.amdhsa_next_free_vgpr 1
		.amdhsa_next_free_sgpr 0
		.amdhsa_accum_offset 4
		.amdhsa_reserve_vcc 0
		.amdhsa_float_round_mode_32 0
		.amdhsa_float_round_mode_16_64 0
		.amdhsa_float_denorm_mode_32 3
		.amdhsa_float_denorm_mode_16_64 3
		.amdhsa_dx10_clamp 1
		.amdhsa_ieee_mode 1
		.amdhsa_fp16_overflow 0
		.amdhsa_tg_split 0
		.amdhsa_exception_fp_ieee_invalid_op 0
		.amdhsa_exception_fp_denorm_src 0
		.amdhsa_exception_fp_ieee_div_zero 0
		.amdhsa_exception_fp_ieee_overflow 0
		.amdhsa_exception_fp_ieee_underflow 0
		.amdhsa_exception_fp_ieee_inexact 0
		.amdhsa_exception_int_div_zero 0
	.end_amdhsa_kernel
	.section	.text._ZN7rocprim17ROCPRIM_400000_NS6detail17trampoline_kernelINS0_14default_configENS1_35radix_sort_onesweep_config_selectorItNS0_10empty_typeEEEZNS1_34radix_sort_onesweep_global_offsetsIS3_Lb0EN6thrust23THRUST_200600_302600_NS6detail15normal_iteratorINS9_10device_ptrItEEEEPS5_jNS0_19identity_decomposerEEE10hipError_tT1_T2_PT3_SK_jT4_jjP12ihipStream_tbEUlT_E_NS1_11comp_targetILNS1_3genE8ELNS1_11target_archE1030ELNS1_3gpuE2ELNS1_3repE0EEENS1_52radix_sort_onesweep_histogram_config_static_selectorELNS0_4arch9wavefront6targetE1EEEvSI_,"axG",@progbits,_ZN7rocprim17ROCPRIM_400000_NS6detail17trampoline_kernelINS0_14default_configENS1_35radix_sort_onesweep_config_selectorItNS0_10empty_typeEEEZNS1_34radix_sort_onesweep_global_offsetsIS3_Lb0EN6thrust23THRUST_200600_302600_NS6detail15normal_iteratorINS9_10device_ptrItEEEEPS5_jNS0_19identity_decomposerEEE10hipError_tT1_T2_PT3_SK_jT4_jjP12ihipStream_tbEUlT_E_NS1_11comp_targetILNS1_3genE8ELNS1_11target_archE1030ELNS1_3gpuE2ELNS1_3repE0EEENS1_52radix_sort_onesweep_histogram_config_static_selectorELNS0_4arch9wavefront6targetE1EEEvSI_,comdat
.Lfunc_end1319:
	.size	_ZN7rocprim17ROCPRIM_400000_NS6detail17trampoline_kernelINS0_14default_configENS1_35radix_sort_onesweep_config_selectorItNS0_10empty_typeEEEZNS1_34radix_sort_onesweep_global_offsetsIS3_Lb0EN6thrust23THRUST_200600_302600_NS6detail15normal_iteratorINS9_10device_ptrItEEEEPS5_jNS0_19identity_decomposerEEE10hipError_tT1_T2_PT3_SK_jT4_jjP12ihipStream_tbEUlT_E_NS1_11comp_targetILNS1_3genE8ELNS1_11target_archE1030ELNS1_3gpuE2ELNS1_3repE0EEENS1_52radix_sort_onesweep_histogram_config_static_selectorELNS0_4arch9wavefront6targetE1EEEvSI_, .Lfunc_end1319-_ZN7rocprim17ROCPRIM_400000_NS6detail17trampoline_kernelINS0_14default_configENS1_35radix_sort_onesweep_config_selectorItNS0_10empty_typeEEEZNS1_34radix_sort_onesweep_global_offsetsIS3_Lb0EN6thrust23THRUST_200600_302600_NS6detail15normal_iteratorINS9_10device_ptrItEEEEPS5_jNS0_19identity_decomposerEEE10hipError_tT1_T2_PT3_SK_jT4_jjP12ihipStream_tbEUlT_E_NS1_11comp_targetILNS1_3genE8ELNS1_11target_archE1030ELNS1_3gpuE2ELNS1_3repE0EEENS1_52radix_sort_onesweep_histogram_config_static_selectorELNS0_4arch9wavefront6targetE1EEEvSI_
                                        ; -- End function
	.section	.AMDGPU.csdata,"",@progbits
; Kernel info:
; codeLenInByte = 0
; NumSgprs: 6
; NumVgprs: 0
; NumAgprs: 0
; TotalNumVgprs: 0
; ScratchSize: 0
; MemoryBound: 0
; FloatMode: 240
; IeeeMode: 1
; LDSByteSize: 0 bytes/workgroup (compile time only)
; SGPRBlocks: 0
; VGPRBlocks: 0
; NumSGPRsForWavesPerEU: 6
; NumVGPRsForWavesPerEU: 1
; AccumOffset: 4
; Occupancy: 8
; WaveLimiterHint : 0
; COMPUTE_PGM_RSRC2:SCRATCH_EN: 0
; COMPUTE_PGM_RSRC2:USER_SGPR: 2
; COMPUTE_PGM_RSRC2:TRAP_HANDLER: 0
; COMPUTE_PGM_RSRC2:TGID_X_EN: 1
; COMPUTE_PGM_RSRC2:TGID_Y_EN: 0
; COMPUTE_PGM_RSRC2:TGID_Z_EN: 0
; COMPUTE_PGM_RSRC2:TIDIG_COMP_CNT: 0
; COMPUTE_PGM_RSRC3_GFX90A:ACCUM_OFFSET: 0
; COMPUTE_PGM_RSRC3_GFX90A:TG_SPLIT: 0
	.section	.text._ZN7rocprim17ROCPRIM_400000_NS6detail17trampoline_kernelINS0_14default_configENS1_35radix_sort_onesweep_config_selectorItNS0_10empty_typeEEEZNS1_34radix_sort_onesweep_global_offsetsIS3_Lb0EN6thrust23THRUST_200600_302600_NS6detail15normal_iteratorINS9_10device_ptrItEEEEPS5_jNS0_19identity_decomposerEEE10hipError_tT1_T2_PT3_SK_jT4_jjP12ihipStream_tbEUlT_E0_NS1_11comp_targetILNS1_3genE0ELNS1_11target_archE4294967295ELNS1_3gpuE0ELNS1_3repE0EEENS1_52radix_sort_onesweep_histogram_config_static_selectorELNS0_4arch9wavefront6targetE1EEEvSI_,"axG",@progbits,_ZN7rocprim17ROCPRIM_400000_NS6detail17trampoline_kernelINS0_14default_configENS1_35radix_sort_onesweep_config_selectorItNS0_10empty_typeEEEZNS1_34radix_sort_onesweep_global_offsetsIS3_Lb0EN6thrust23THRUST_200600_302600_NS6detail15normal_iteratorINS9_10device_ptrItEEEEPS5_jNS0_19identity_decomposerEEE10hipError_tT1_T2_PT3_SK_jT4_jjP12ihipStream_tbEUlT_E0_NS1_11comp_targetILNS1_3genE0ELNS1_11target_archE4294967295ELNS1_3gpuE0ELNS1_3repE0EEENS1_52radix_sort_onesweep_histogram_config_static_selectorELNS0_4arch9wavefront6targetE1EEEvSI_,comdat
	.protected	_ZN7rocprim17ROCPRIM_400000_NS6detail17trampoline_kernelINS0_14default_configENS1_35radix_sort_onesweep_config_selectorItNS0_10empty_typeEEEZNS1_34radix_sort_onesweep_global_offsetsIS3_Lb0EN6thrust23THRUST_200600_302600_NS6detail15normal_iteratorINS9_10device_ptrItEEEEPS5_jNS0_19identity_decomposerEEE10hipError_tT1_T2_PT3_SK_jT4_jjP12ihipStream_tbEUlT_E0_NS1_11comp_targetILNS1_3genE0ELNS1_11target_archE4294967295ELNS1_3gpuE0ELNS1_3repE0EEENS1_52radix_sort_onesweep_histogram_config_static_selectorELNS0_4arch9wavefront6targetE1EEEvSI_ ; -- Begin function _ZN7rocprim17ROCPRIM_400000_NS6detail17trampoline_kernelINS0_14default_configENS1_35radix_sort_onesweep_config_selectorItNS0_10empty_typeEEEZNS1_34radix_sort_onesweep_global_offsetsIS3_Lb0EN6thrust23THRUST_200600_302600_NS6detail15normal_iteratorINS9_10device_ptrItEEEEPS5_jNS0_19identity_decomposerEEE10hipError_tT1_T2_PT3_SK_jT4_jjP12ihipStream_tbEUlT_E0_NS1_11comp_targetILNS1_3genE0ELNS1_11target_archE4294967295ELNS1_3gpuE0ELNS1_3repE0EEENS1_52radix_sort_onesweep_histogram_config_static_selectorELNS0_4arch9wavefront6targetE1EEEvSI_
	.globl	_ZN7rocprim17ROCPRIM_400000_NS6detail17trampoline_kernelINS0_14default_configENS1_35radix_sort_onesweep_config_selectorItNS0_10empty_typeEEEZNS1_34radix_sort_onesweep_global_offsetsIS3_Lb0EN6thrust23THRUST_200600_302600_NS6detail15normal_iteratorINS9_10device_ptrItEEEEPS5_jNS0_19identity_decomposerEEE10hipError_tT1_T2_PT3_SK_jT4_jjP12ihipStream_tbEUlT_E0_NS1_11comp_targetILNS1_3genE0ELNS1_11target_archE4294967295ELNS1_3gpuE0ELNS1_3repE0EEENS1_52radix_sort_onesweep_histogram_config_static_selectorELNS0_4arch9wavefront6targetE1EEEvSI_
	.p2align	8
	.type	_ZN7rocprim17ROCPRIM_400000_NS6detail17trampoline_kernelINS0_14default_configENS1_35radix_sort_onesweep_config_selectorItNS0_10empty_typeEEEZNS1_34radix_sort_onesweep_global_offsetsIS3_Lb0EN6thrust23THRUST_200600_302600_NS6detail15normal_iteratorINS9_10device_ptrItEEEEPS5_jNS0_19identity_decomposerEEE10hipError_tT1_T2_PT3_SK_jT4_jjP12ihipStream_tbEUlT_E0_NS1_11comp_targetILNS1_3genE0ELNS1_11target_archE4294967295ELNS1_3gpuE0ELNS1_3repE0EEENS1_52radix_sort_onesweep_histogram_config_static_selectorELNS0_4arch9wavefront6targetE1EEEvSI_,@function
_ZN7rocprim17ROCPRIM_400000_NS6detail17trampoline_kernelINS0_14default_configENS1_35radix_sort_onesweep_config_selectorItNS0_10empty_typeEEEZNS1_34radix_sort_onesweep_global_offsetsIS3_Lb0EN6thrust23THRUST_200600_302600_NS6detail15normal_iteratorINS9_10device_ptrItEEEEPS5_jNS0_19identity_decomposerEEE10hipError_tT1_T2_PT3_SK_jT4_jjP12ihipStream_tbEUlT_E0_NS1_11comp_targetILNS1_3genE0ELNS1_11target_archE4294967295ELNS1_3gpuE0ELNS1_3repE0EEENS1_52radix_sort_onesweep_histogram_config_static_selectorELNS0_4arch9wavefront6targetE1EEEvSI_: ; @_ZN7rocprim17ROCPRIM_400000_NS6detail17trampoline_kernelINS0_14default_configENS1_35radix_sort_onesweep_config_selectorItNS0_10empty_typeEEEZNS1_34radix_sort_onesweep_global_offsetsIS3_Lb0EN6thrust23THRUST_200600_302600_NS6detail15normal_iteratorINS9_10device_ptrItEEEEPS5_jNS0_19identity_decomposerEEE10hipError_tT1_T2_PT3_SK_jT4_jjP12ihipStream_tbEUlT_E0_NS1_11comp_targetILNS1_3genE0ELNS1_11target_archE4294967295ELNS1_3gpuE0ELNS1_3repE0EEENS1_52radix_sort_onesweep_histogram_config_static_selectorELNS0_4arch9wavefront6targetE1EEEvSI_
; %bb.0:
	.section	.rodata,"a",@progbits
	.p2align	6, 0x0
	.amdhsa_kernel _ZN7rocprim17ROCPRIM_400000_NS6detail17trampoline_kernelINS0_14default_configENS1_35radix_sort_onesweep_config_selectorItNS0_10empty_typeEEEZNS1_34radix_sort_onesweep_global_offsetsIS3_Lb0EN6thrust23THRUST_200600_302600_NS6detail15normal_iteratorINS9_10device_ptrItEEEEPS5_jNS0_19identity_decomposerEEE10hipError_tT1_T2_PT3_SK_jT4_jjP12ihipStream_tbEUlT_E0_NS1_11comp_targetILNS1_3genE0ELNS1_11target_archE4294967295ELNS1_3gpuE0ELNS1_3repE0EEENS1_52radix_sort_onesweep_histogram_config_static_selectorELNS0_4arch9wavefront6targetE1EEEvSI_
		.amdhsa_group_segment_fixed_size 0
		.amdhsa_private_segment_fixed_size 0
		.amdhsa_kernarg_size 8
		.amdhsa_user_sgpr_count 2
		.amdhsa_user_sgpr_dispatch_ptr 0
		.amdhsa_user_sgpr_queue_ptr 0
		.amdhsa_user_sgpr_kernarg_segment_ptr 1
		.amdhsa_user_sgpr_dispatch_id 0
		.amdhsa_user_sgpr_kernarg_preload_length 0
		.amdhsa_user_sgpr_kernarg_preload_offset 0
		.amdhsa_user_sgpr_private_segment_size 0
		.amdhsa_uses_dynamic_stack 0
		.amdhsa_enable_private_segment 0
		.amdhsa_system_sgpr_workgroup_id_x 1
		.amdhsa_system_sgpr_workgroup_id_y 0
		.amdhsa_system_sgpr_workgroup_id_z 0
		.amdhsa_system_sgpr_workgroup_info 0
		.amdhsa_system_vgpr_workitem_id 0
		.amdhsa_next_free_vgpr 1
		.amdhsa_next_free_sgpr 0
		.amdhsa_accum_offset 4
		.amdhsa_reserve_vcc 0
		.amdhsa_float_round_mode_32 0
		.amdhsa_float_round_mode_16_64 0
		.amdhsa_float_denorm_mode_32 3
		.amdhsa_float_denorm_mode_16_64 3
		.amdhsa_dx10_clamp 1
		.amdhsa_ieee_mode 1
		.amdhsa_fp16_overflow 0
		.amdhsa_tg_split 0
		.amdhsa_exception_fp_ieee_invalid_op 0
		.amdhsa_exception_fp_denorm_src 0
		.amdhsa_exception_fp_ieee_div_zero 0
		.amdhsa_exception_fp_ieee_overflow 0
		.amdhsa_exception_fp_ieee_underflow 0
		.amdhsa_exception_fp_ieee_inexact 0
		.amdhsa_exception_int_div_zero 0
	.end_amdhsa_kernel
	.section	.text._ZN7rocprim17ROCPRIM_400000_NS6detail17trampoline_kernelINS0_14default_configENS1_35radix_sort_onesweep_config_selectorItNS0_10empty_typeEEEZNS1_34radix_sort_onesweep_global_offsetsIS3_Lb0EN6thrust23THRUST_200600_302600_NS6detail15normal_iteratorINS9_10device_ptrItEEEEPS5_jNS0_19identity_decomposerEEE10hipError_tT1_T2_PT3_SK_jT4_jjP12ihipStream_tbEUlT_E0_NS1_11comp_targetILNS1_3genE0ELNS1_11target_archE4294967295ELNS1_3gpuE0ELNS1_3repE0EEENS1_52radix_sort_onesweep_histogram_config_static_selectorELNS0_4arch9wavefront6targetE1EEEvSI_,"axG",@progbits,_ZN7rocprim17ROCPRIM_400000_NS6detail17trampoline_kernelINS0_14default_configENS1_35radix_sort_onesweep_config_selectorItNS0_10empty_typeEEEZNS1_34radix_sort_onesweep_global_offsetsIS3_Lb0EN6thrust23THRUST_200600_302600_NS6detail15normal_iteratorINS9_10device_ptrItEEEEPS5_jNS0_19identity_decomposerEEE10hipError_tT1_T2_PT3_SK_jT4_jjP12ihipStream_tbEUlT_E0_NS1_11comp_targetILNS1_3genE0ELNS1_11target_archE4294967295ELNS1_3gpuE0ELNS1_3repE0EEENS1_52radix_sort_onesweep_histogram_config_static_selectorELNS0_4arch9wavefront6targetE1EEEvSI_,comdat
.Lfunc_end1320:
	.size	_ZN7rocprim17ROCPRIM_400000_NS6detail17trampoline_kernelINS0_14default_configENS1_35radix_sort_onesweep_config_selectorItNS0_10empty_typeEEEZNS1_34radix_sort_onesweep_global_offsetsIS3_Lb0EN6thrust23THRUST_200600_302600_NS6detail15normal_iteratorINS9_10device_ptrItEEEEPS5_jNS0_19identity_decomposerEEE10hipError_tT1_T2_PT3_SK_jT4_jjP12ihipStream_tbEUlT_E0_NS1_11comp_targetILNS1_3genE0ELNS1_11target_archE4294967295ELNS1_3gpuE0ELNS1_3repE0EEENS1_52radix_sort_onesweep_histogram_config_static_selectorELNS0_4arch9wavefront6targetE1EEEvSI_, .Lfunc_end1320-_ZN7rocprim17ROCPRIM_400000_NS6detail17trampoline_kernelINS0_14default_configENS1_35radix_sort_onesweep_config_selectorItNS0_10empty_typeEEEZNS1_34radix_sort_onesweep_global_offsetsIS3_Lb0EN6thrust23THRUST_200600_302600_NS6detail15normal_iteratorINS9_10device_ptrItEEEEPS5_jNS0_19identity_decomposerEEE10hipError_tT1_T2_PT3_SK_jT4_jjP12ihipStream_tbEUlT_E0_NS1_11comp_targetILNS1_3genE0ELNS1_11target_archE4294967295ELNS1_3gpuE0ELNS1_3repE0EEENS1_52radix_sort_onesweep_histogram_config_static_selectorELNS0_4arch9wavefront6targetE1EEEvSI_
                                        ; -- End function
	.section	.AMDGPU.csdata,"",@progbits
; Kernel info:
; codeLenInByte = 0
; NumSgprs: 6
; NumVgprs: 0
; NumAgprs: 0
; TotalNumVgprs: 0
; ScratchSize: 0
; MemoryBound: 0
; FloatMode: 240
; IeeeMode: 1
; LDSByteSize: 0 bytes/workgroup (compile time only)
; SGPRBlocks: 0
; VGPRBlocks: 0
; NumSGPRsForWavesPerEU: 6
; NumVGPRsForWavesPerEU: 1
; AccumOffset: 4
; Occupancy: 8
; WaveLimiterHint : 0
; COMPUTE_PGM_RSRC2:SCRATCH_EN: 0
; COMPUTE_PGM_RSRC2:USER_SGPR: 2
; COMPUTE_PGM_RSRC2:TRAP_HANDLER: 0
; COMPUTE_PGM_RSRC2:TGID_X_EN: 1
; COMPUTE_PGM_RSRC2:TGID_Y_EN: 0
; COMPUTE_PGM_RSRC2:TGID_Z_EN: 0
; COMPUTE_PGM_RSRC2:TIDIG_COMP_CNT: 0
; COMPUTE_PGM_RSRC3_GFX90A:ACCUM_OFFSET: 0
; COMPUTE_PGM_RSRC3_GFX90A:TG_SPLIT: 0
	.section	.text._ZN7rocprim17ROCPRIM_400000_NS6detail17trampoline_kernelINS0_14default_configENS1_35radix_sort_onesweep_config_selectorItNS0_10empty_typeEEEZNS1_34radix_sort_onesweep_global_offsetsIS3_Lb0EN6thrust23THRUST_200600_302600_NS6detail15normal_iteratorINS9_10device_ptrItEEEEPS5_jNS0_19identity_decomposerEEE10hipError_tT1_T2_PT3_SK_jT4_jjP12ihipStream_tbEUlT_E0_NS1_11comp_targetILNS1_3genE6ELNS1_11target_archE950ELNS1_3gpuE13ELNS1_3repE0EEENS1_52radix_sort_onesweep_histogram_config_static_selectorELNS0_4arch9wavefront6targetE1EEEvSI_,"axG",@progbits,_ZN7rocprim17ROCPRIM_400000_NS6detail17trampoline_kernelINS0_14default_configENS1_35radix_sort_onesweep_config_selectorItNS0_10empty_typeEEEZNS1_34radix_sort_onesweep_global_offsetsIS3_Lb0EN6thrust23THRUST_200600_302600_NS6detail15normal_iteratorINS9_10device_ptrItEEEEPS5_jNS0_19identity_decomposerEEE10hipError_tT1_T2_PT3_SK_jT4_jjP12ihipStream_tbEUlT_E0_NS1_11comp_targetILNS1_3genE6ELNS1_11target_archE950ELNS1_3gpuE13ELNS1_3repE0EEENS1_52radix_sort_onesweep_histogram_config_static_selectorELNS0_4arch9wavefront6targetE1EEEvSI_,comdat
	.protected	_ZN7rocprim17ROCPRIM_400000_NS6detail17trampoline_kernelINS0_14default_configENS1_35radix_sort_onesweep_config_selectorItNS0_10empty_typeEEEZNS1_34radix_sort_onesweep_global_offsetsIS3_Lb0EN6thrust23THRUST_200600_302600_NS6detail15normal_iteratorINS9_10device_ptrItEEEEPS5_jNS0_19identity_decomposerEEE10hipError_tT1_T2_PT3_SK_jT4_jjP12ihipStream_tbEUlT_E0_NS1_11comp_targetILNS1_3genE6ELNS1_11target_archE950ELNS1_3gpuE13ELNS1_3repE0EEENS1_52radix_sort_onesweep_histogram_config_static_selectorELNS0_4arch9wavefront6targetE1EEEvSI_ ; -- Begin function _ZN7rocprim17ROCPRIM_400000_NS6detail17trampoline_kernelINS0_14default_configENS1_35radix_sort_onesweep_config_selectorItNS0_10empty_typeEEEZNS1_34radix_sort_onesweep_global_offsetsIS3_Lb0EN6thrust23THRUST_200600_302600_NS6detail15normal_iteratorINS9_10device_ptrItEEEEPS5_jNS0_19identity_decomposerEEE10hipError_tT1_T2_PT3_SK_jT4_jjP12ihipStream_tbEUlT_E0_NS1_11comp_targetILNS1_3genE6ELNS1_11target_archE950ELNS1_3gpuE13ELNS1_3repE0EEENS1_52radix_sort_onesweep_histogram_config_static_selectorELNS0_4arch9wavefront6targetE1EEEvSI_
	.globl	_ZN7rocprim17ROCPRIM_400000_NS6detail17trampoline_kernelINS0_14default_configENS1_35radix_sort_onesweep_config_selectorItNS0_10empty_typeEEEZNS1_34radix_sort_onesweep_global_offsetsIS3_Lb0EN6thrust23THRUST_200600_302600_NS6detail15normal_iteratorINS9_10device_ptrItEEEEPS5_jNS0_19identity_decomposerEEE10hipError_tT1_T2_PT3_SK_jT4_jjP12ihipStream_tbEUlT_E0_NS1_11comp_targetILNS1_3genE6ELNS1_11target_archE950ELNS1_3gpuE13ELNS1_3repE0EEENS1_52radix_sort_onesweep_histogram_config_static_selectorELNS0_4arch9wavefront6targetE1EEEvSI_
	.p2align	8
	.type	_ZN7rocprim17ROCPRIM_400000_NS6detail17trampoline_kernelINS0_14default_configENS1_35radix_sort_onesweep_config_selectorItNS0_10empty_typeEEEZNS1_34radix_sort_onesweep_global_offsetsIS3_Lb0EN6thrust23THRUST_200600_302600_NS6detail15normal_iteratorINS9_10device_ptrItEEEEPS5_jNS0_19identity_decomposerEEE10hipError_tT1_T2_PT3_SK_jT4_jjP12ihipStream_tbEUlT_E0_NS1_11comp_targetILNS1_3genE6ELNS1_11target_archE950ELNS1_3gpuE13ELNS1_3repE0EEENS1_52radix_sort_onesweep_histogram_config_static_selectorELNS0_4arch9wavefront6targetE1EEEvSI_,@function
_ZN7rocprim17ROCPRIM_400000_NS6detail17trampoline_kernelINS0_14default_configENS1_35radix_sort_onesweep_config_selectorItNS0_10empty_typeEEEZNS1_34radix_sort_onesweep_global_offsetsIS3_Lb0EN6thrust23THRUST_200600_302600_NS6detail15normal_iteratorINS9_10device_ptrItEEEEPS5_jNS0_19identity_decomposerEEE10hipError_tT1_T2_PT3_SK_jT4_jjP12ihipStream_tbEUlT_E0_NS1_11comp_targetILNS1_3genE6ELNS1_11target_archE950ELNS1_3gpuE13ELNS1_3repE0EEENS1_52radix_sort_onesweep_histogram_config_static_selectorELNS0_4arch9wavefront6targetE1EEEvSI_: ; @_ZN7rocprim17ROCPRIM_400000_NS6detail17trampoline_kernelINS0_14default_configENS1_35radix_sort_onesweep_config_selectorItNS0_10empty_typeEEEZNS1_34radix_sort_onesweep_global_offsetsIS3_Lb0EN6thrust23THRUST_200600_302600_NS6detail15normal_iteratorINS9_10device_ptrItEEEEPS5_jNS0_19identity_decomposerEEE10hipError_tT1_T2_PT3_SK_jT4_jjP12ihipStream_tbEUlT_E0_NS1_11comp_targetILNS1_3genE6ELNS1_11target_archE950ELNS1_3gpuE13ELNS1_3repE0EEENS1_52radix_sort_onesweep_histogram_config_static_selectorELNS0_4arch9wavefront6targetE1EEEvSI_
; %bb.0:
	.section	.rodata,"a",@progbits
	.p2align	6, 0x0
	.amdhsa_kernel _ZN7rocprim17ROCPRIM_400000_NS6detail17trampoline_kernelINS0_14default_configENS1_35radix_sort_onesweep_config_selectorItNS0_10empty_typeEEEZNS1_34radix_sort_onesweep_global_offsetsIS3_Lb0EN6thrust23THRUST_200600_302600_NS6detail15normal_iteratorINS9_10device_ptrItEEEEPS5_jNS0_19identity_decomposerEEE10hipError_tT1_T2_PT3_SK_jT4_jjP12ihipStream_tbEUlT_E0_NS1_11comp_targetILNS1_3genE6ELNS1_11target_archE950ELNS1_3gpuE13ELNS1_3repE0EEENS1_52radix_sort_onesweep_histogram_config_static_selectorELNS0_4arch9wavefront6targetE1EEEvSI_
		.amdhsa_group_segment_fixed_size 0
		.amdhsa_private_segment_fixed_size 0
		.amdhsa_kernarg_size 8
		.amdhsa_user_sgpr_count 2
		.amdhsa_user_sgpr_dispatch_ptr 0
		.amdhsa_user_sgpr_queue_ptr 0
		.amdhsa_user_sgpr_kernarg_segment_ptr 1
		.amdhsa_user_sgpr_dispatch_id 0
		.amdhsa_user_sgpr_kernarg_preload_length 0
		.amdhsa_user_sgpr_kernarg_preload_offset 0
		.amdhsa_user_sgpr_private_segment_size 0
		.amdhsa_uses_dynamic_stack 0
		.amdhsa_enable_private_segment 0
		.amdhsa_system_sgpr_workgroup_id_x 1
		.amdhsa_system_sgpr_workgroup_id_y 0
		.amdhsa_system_sgpr_workgroup_id_z 0
		.amdhsa_system_sgpr_workgroup_info 0
		.amdhsa_system_vgpr_workitem_id 0
		.amdhsa_next_free_vgpr 1
		.amdhsa_next_free_sgpr 0
		.amdhsa_accum_offset 4
		.amdhsa_reserve_vcc 0
		.amdhsa_float_round_mode_32 0
		.amdhsa_float_round_mode_16_64 0
		.amdhsa_float_denorm_mode_32 3
		.amdhsa_float_denorm_mode_16_64 3
		.amdhsa_dx10_clamp 1
		.amdhsa_ieee_mode 1
		.amdhsa_fp16_overflow 0
		.amdhsa_tg_split 0
		.amdhsa_exception_fp_ieee_invalid_op 0
		.amdhsa_exception_fp_denorm_src 0
		.amdhsa_exception_fp_ieee_div_zero 0
		.amdhsa_exception_fp_ieee_overflow 0
		.amdhsa_exception_fp_ieee_underflow 0
		.amdhsa_exception_fp_ieee_inexact 0
		.amdhsa_exception_int_div_zero 0
	.end_amdhsa_kernel
	.section	.text._ZN7rocprim17ROCPRIM_400000_NS6detail17trampoline_kernelINS0_14default_configENS1_35radix_sort_onesweep_config_selectorItNS0_10empty_typeEEEZNS1_34radix_sort_onesweep_global_offsetsIS3_Lb0EN6thrust23THRUST_200600_302600_NS6detail15normal_iteratorINS9_10device_ptrItEEEEPS5_jNS0_19identity_decomposerEEE10hipError_tT1_T2_PT3_SK_jT4_jjP12ihipStream_tbEUlT_E0_NS1_11comp_targetILNS1_3genE6ELNS1_11target_archE950ELNS1_3gpuE13ELNS1_3repE0EEENS1_52radix_sort_onesweep_histogram_config_static_selectorELNS0_4arch9wavefront6targetE1EEEvSI_,"axG",@progbits,_ZN7rocprim17ROCPRIM_400000_NS6detail17trampoline_kernelINS0_14default_configENS1_35radix_sort_onesweep_config_selectorItNS0_10empty_typeEEEZNS1_34radix_sort_onesweep_global_offsetsIS3_Lb0EN6thrust23THRUST_200600_302600_NS6detail15normal_iteratorINS9_10device_ptrItEEEEPS5_jNS0_19identity_decomposerEEE10hipError_tT1_T2_PT3_SK_jT4_jjP12ihipStream_tbEUlT_E0_NS1_11comp_targetILNS1_3genE6ELNS1_11target_archE950ELNS1_3gpuE13ELNS1_3repE0EEENS1_52radix_sort_onesweep_histogram_config_static_selectorELNS0_4arch9wavefront6targetE1EEEvSI_,comdat
.Lfunc_end1321:
	.size	_ZN7rocprim17ROCPRIM_400000_NS6detail17trampoline_kernelINS0_14default_configENS1_35radix_sort_onesweep_config_selectorItNS0_10empty_typeEEEZNS1_34radix_sort_onesweep_global_offsetsIS3_Lb0EN6thrust23THRUST_200600_302600_NS6detail15normal_iteratorINS9_10device_ptrItEEEEPS5_jNS0_19identity_decomposerEEE10hipError_tT1_T2_PT3_SK_jT4_jjP12ihipStream_tbEUlT_E0_NS1_11comp_targetILNS1_3genE6ELNS1_11target_archE950ELNS1_3gpuE13ELNS1_3repE0EEENS1_52radix_sort_onesweep_histogram_config_static_selectorELNS0_4arch9wavefront6targetE1EEEvSI_, .Lfunc_end1321-_ZN7rocprim17ROCPRIM_400000_NS6detail17trampoline_kernelINS0_14default_configENS1_35radix_sort_onesweep_config_selectorItNS0_10empty_typeEEEZNS1_34radix_sort_onesweep_global_offsetsIS3_Lb0EN6thrust23THRUST_200600_302600_NS6detail15normal_iteratorINS9_10device_ptrItEEEEPS5_jNS0_19identity_decomposerEEE10hipError_tT1_T2_PT3_SK_jT4_jjP12ihipStream_tbEUlT_E0_NS1_11comp_targetILNS1_3genE6ELNS1_11target_archE950ELNS1_3gpuE13ELNS1_3repE0EEENS1_52radix_sort_onesweep_histogram_config_static_selectorELNS0_4arch9wavefront6targetE1EEEvSI_
                                        ; -- End function
	.section	.AMDGPU.csdata,"",@progbits
; Kernel info:
; codeLenInByte = 0
; NumSgprs: 6
; NumVgprs: 0
; NumAgprs: 0
; TotalNumVgprs: 0
; ScratchSize: 0
; MemoryBound: 0
; FloatMode: 240
; IeeeMode: 1
; LDSByteSize: 0 bytes/workgroup (compile time only)
; SGPRBlocks: 0
; VGPRBlocks: 0
; NumSGPRsForWavesPerEU: 6
; NumVGPRsForWavesPerEU: 1
; AccumOffset: 4
; Occupancy: 8
; WaveLimiterHint : 0
; COMPUTE_PGM_RSRC2:SCRATCH_EN: 0
; COMPUTE_PGM_RSRC2:USER_SGPR: 2
; COMPUTE_PGM_RSRC2:TRAP_HANDLER: 0
; COMPUTE_PGM_RSRC2:TGID_X_EN: 1
; COMPUTE_PGM_RSRC2:TGID_Y_EN: 0
; COMPUTE_PGM_RSRC2:TGID_Z_EN: 0
; COMPUTE_PGM_RSRC2:TIDIG_COMP_CNT: 0
; COMPUTE_PGM_RSRC3_GFX90A:ACCUM_OFFSET: 0
; COMPUTE_PGM_RSRC3_GFX90A:TG_SPLIT: 0
	.section	.text._ZN7rocprim17ROCPRIM_400000_NS6detail17trampoline_kernelINS0_14default_configENS1_35radix_sort_onesweep_config_selectorItNS0_10empty_typeEEEZNS1_34radix_sort_onesweep_global_offsetsIS3_Lb0EN6thrust23THRUST_200600_302600_NS6detail15normal_iteratorINS9_10device_ptrItEEEEPS5_jNS0_19identity_decomposerEEE10hipError_tT1_T2_PT3_SK_jT4_jjP12ihipStream_tbEUlT_E0_NS1_11comp_targetILNS1_3genE5ELNS1_11target_archE942ELNS1_3gpuE9ELNS1_3repE0EEENS1_52radix_sort_onesweep_histogram_config_static_selectorELNS0_4arch9wavefront6targetE1EEEvSI_,"axG",@progbits,_ZN7rocprim17ROCPRIM_400000_NS6detail17trampoline_kernelINS0_14default_configENS1_35radix_sort_onesweep_config_selectorItNS0_10empty_typeEEEZNS1_34radix_sort_onesweep_global_offsetsIS3_Lb0EN6thrust23THRUST_200600_302600_NS6detail15normal_iteratorINS9_10device_ptrItEEEEPS5_jNS0_19identity_decomposerEEE10hipError_tT1_T2_PT3_SK_jT4_jjP12ihipStream_tbEUlT_E0_NS1_11comp_targetILNS1_3genE5ELNS1_11target_archE942ELNS1_3gpuE9ELNS1_3repE0EEENS1_52radix_sort_onesweep_histogram_config_static_selectorELNS0_4arch9wavefront6targetE1EEEvSI_,comdat
	.protected	_ZN7rocprim17ROCPRIM_400000_NS6detail17trampoline_kernelINS0_14default_configENS1_35radix_sort_onesweep_config_selectorItNS0_10empty_typeEEEZNS1_34radix_sort_onesweep_global_offsetsIS3_Lb0EN6thrust23THRUST_200600_302600_NS6detail15normal_iteratorINS9_10device_ptrItEEEEPS5_jNS0_19identity_decomposerEEE10hipError_tT1_T2_PT3_SK_jT4_jjP12ihipStream_tbEUlT_E0_NS1_11comp_targetILNS1_3genE5ELNS1_11target_archE942ELNS1_3gpuE9ELNS1_3repE0EEENS1_52radix_sort_onesweep_histogram_config_static_selectorELNS0_4arch9wavefront6targetE1EEEvSI_ ; -- Begin function _ZN7rocprim17ROCPRIM_400000_NS6detail17trampoline_kernelINS0_14default_configENS1_35radix_sort_onesweep_config_selectorItNS0_10empty_typeEEEZNS1_34radix_sort_onesweep_global_offsetsIS3_Lb0EN6thrust23THRUST_200600_302600_NS6detail15normal_iteratorINS9_10device_ptrItEEEEPS5_jNS0_19identity_decomposerEEE10hipError_tT1_T2_PT3_SK_jT4_jjP12ihipStream_tbEUlT_E0_NS1_11comp_targetILNS1_3genE5ELNS1_11target_archE942ELNS1_3gpuE9ELNS1_3repE0EEENS1_52radix_sort_onesweep_histogram_config_static_selectorELNS0_4arch9wavefront6targetE1EEEvSI_
	.globl	_ZN7rocprim17ROCPRIM_400000_NS6detail17trampoline_kernelINS0_14default_configENS1_35radix_sort_onesweep_config_selectorItNS0_10empty_typeEEEZNS1_34radix_sort_onesweep_global_offsetsIS3_Lb0EN6thrust23THRUST_200600_302600_NS6detail15normal_iteratorINS9_10device_ptrItEEEEPS5_jNS0_19identity_decomposerEEE10hipError_tT1_T2_PT3_SK_jT4_jjP12ihipStream_tbEUlT_E0_NS1_11comp_targetILNS1_3genE5ELNS1_11target_archE942ELNS1_3gpuE9ELNS1_3repE0EEENS1_52radix_sort_onesweep_histogram_config_static_selectorELNS0_4arch9wavefront6targetE1EEEvSI_
	.p2align	8
	.type	_ZN7rocprim17ROCPRIM_400000_NS6detail17trampoline_kernelINS0_14default_configENS1_35radix_sort_onesweep_config_selectorItNS0_10empty_typeEEEZNS1_34radix_sort_onesweep_global_offsetsIS3_Lb0EN6thrust23THRUST_200600_302600_NS6detail15normal_iteratorINS9_10device_ptrItEEEEPS5_jNS0_19identity_decomposerEEE10hipError_tT1_T2_PT3_SK_jT4_jjP12ihipStream_tbEUlT_E0_NS1_11comp_targetILNS1_3genE5ELNS1_11target_archE942ELNS1_3gpuE9ELNS1_3repE0EEENS1_52radix_sort_onesweep_histogram_config_static_selectorELNS0_4arch9wavefront6targetE1EEEvSI_,@function
_ZN7rocprim17ROCPRIM_400000_NS6detail17trampoline_kernelINS0_14default_configENS1_35radix_sort_onesweep_config_selectorItNS0_10empty_typeEEEZNS1_34radix_sort_onesweep_global_offsetsIS3_Lb0EN6thrust23THRUST_200600_302600_NS6detail15normal_iteratorINS9_10device_ptrItEEEEPS5_jNS0_19identity_decomposerEEE10hipError_tT1_T2_PT3_SK_jT4_jjP12ihipStream_tbEUlT_E0_NS1_11comp_targetILNS1_3genE5ELNS1_11target_archE942ELNS1_3gpuE9ELNS1_3repE0EEENS1_52radix_sort_onesweep_histogram_config_static_selectorELNS0_4arch9wavefront6targetE1EEEvSI_: ; @_ZN7rocprim17ROCPRIM_400000_NS6detail17trampoline_kernelINS0_14default_configENS1_35radix_sort_onesweep_config_selectorItNS0_10empty_typeEEEZNS1_34radix_sort_onesweep_global_offsetsIS3_Lb0EN6thrust23THRUST_200600_302600_NS6detail15normal_iteratorINS9_10device_ptrItEEEEPS5_jNS0_19identity_decomposerEEE10hipError_tT1_T2_PT3_SK_jT4_jjP12ihipStream_tbEUlT_E0_NS1_11comp_targetILNS1_3genE5ELNS1_11target_archE942ELNS1_3gpuE9ELNS1_3repE0EEENS1_52radix_sort_onesweep_histogram_config_static_selectorELNS0_4arch9wavefront6targetE1EEEvSI_
; %bb.0:
	s_load_dwordx2 s[0:1], s[0:1], 0x0
	s_lshl_b32 s2, s2, 8
	s_mov_b32 s3, 0
	s_lshl_b64 s[2:3], s[2:3], 2
	v_lshlrev_b32_e32 v1, 2, v0
	s_waitcnt lgkmcnt(0)
	s_add_u32 s10, s0, s2
	s_movk_i32 s0, 0x100
	s_addc_u32 s11, s1, s3
	v_cmp_gt_u32_e32 vcc, s0, v0
                                        ; implicit-def: $vgpr3
	s_and_saveexec_b64 s[0:1], vcc
	s_cbranch_execz .LBB1322_2
; %bb.1:
	global_load_dword v3, v1, s[10:11]
.LBB1322_2:
	s_or_b64 exec, exec, s[0:1]
	v_mbcnt_lo_u32_b32 v2, -1, 0
	v_mbcnt_hi_u32_b32 v2, -1, v2
	v_and_b32_e32 v4, 15, v2
	s_waitcnt vmcnt(0)
	v_mov_b32_dpp v5, v3 row_shr:1 row_mask:0xf bank_mask:0xf
	v_cmp_eq_u32_e64 s[0:1], 0, v4
	v_cmp_lt_u32_e64 s[2:3], 1, v4
	v_cmp_lt_u32_e64 s[4:5], 3, v4
	v_cndmask_b32_e64 v5, v5, 0, s[0:1]
	v_add_u32_e32 v3, v5, v3
	v_cmp_lt_u32_e64 s[6:7], 7, v4
	v_cmp_lt_u32_e64 s[8:9], 31, v2
	v_mov_b32_dpp v5, v3 row_shr:2 row_mask:0xf bank_mask:0xf
	v_cndmask_b32_e64 v5, 0, v5, s[2:3]
	v_add_u32_e32 v3, v3, v5
	s_nop 1
	v_mov_b32_dpp v5, v3 row_shr:4 row_mask:0xf bank_mask:0xf
	v_cndmask_b32_e64 v5, 0, v5, s[4:5]
	v_add_u32_e32 v3, v3, v5
	s_nop 1
	v_mov_b32_dpp v5, v3 row_shr:8 row_mask:0xf bank_mask:0xf
	v_cndmask_b32_e64 v4, 0, v5, s[6:7]
	v_add_u32_e32 v3, v3, v4
	v_bfe_i32 v5, v2, 4, 1
	s_nop 0
	v_mov_b32_dpp v4, v3 row_bcast:15 row_mask:0xf bank_mask:0xf
	v_and_b32_e32 v4, v5, v4
	v_add_u32_e32 v3, v3, v4
	v_and_b32_e32 v5, 63, v0
	s_nop 0
	v_mov_b32_dpp v4, v3 row_bcast:31 row_mask:0xf bank_mask:0xf
	v_cndmask_b32_e64 v4, 0, v4, s[8:9]
	v_add_u32_e32 v3, v3, v4
	v_lshrrev_b32_e32 v4, 6, v0
	v_cmp_eq_u32_e64 s[8:9], 63, v5
	s_and_saveexec_b64 s[12:13], s[8:9]
	s_cbranch_execz .LBB1322_4
; %bb.3:
	v_lshlrev_b32_e32 v5, 2, v4
	ds_write_b32 v5, v3
.LBB1322_4:
	s_or_b64 exec, exec, s[12:13]
	v_cmp_gt_u32_e64 s[8:9], 16, v0
	s_waitcnt lgkmcnt(0)
	s_barrier
	s_and_saveexec_b64 s[12:13], s[8:9]
	s_cbranch_execz .LBB1322_6
; %bb.5:
	ds_read_b32 v5, v1
	s_waitcnt lgkmcnt(0)
	s_nop 0
	v_mov_b32_dpp v6, v5 row_shr:1 row_mask:0xf bank_mask:0xf
	v_cndmask_b32_e64 v6, v6, 0, s[0:1]
	v_add_u32_e32 v5, v6, v5
	s_nop 1
	v_mov_b32_dpp v6, v5 row_shr:2 row_mask:0xf bank_mask:0xf
	v_cndmask_b32_e64 v6, 0, v6, s[2:3]
	v_add_u32_e32 v5, v5, v6
	;; [unrolled: 4-line block ×4, first 2 shown]
	ds_write_b32 v1, v5
.LBB1322_6:
	s_or_b64 exec, exec, s[12:13]
	v_cmp_lt_u32_e64 s[0:1], 63, v0
	v_mov_b32_e32 v0, 0
	s_waitcnt lgkmcnt(0)
	s_barrier
	s_and_saveexec_b64 s[2:3], s[0:1]
	s_cbranch_execz .LBB1322_8
; %bb.7:
	v_lshl_add_u32 v0, v4, 2, -4
	ds_read_b32 v0, v0
.LBB1322_8:
	s_or_b64 exec, exec, s[2:3]
	v_add_u32_e32 v4, -1, v2
	v_and_b32_e32 v5, 64, v2
	v_cmp_lt_i32_e64 s[0:1], v4, v5
	s_waitcnt lgkmcnt(0)
	v_add_u32_e32 v3, v0, v3
	v_cndmask_b32_e64 v4, v4, v2, s[0:1]
	v_lshlrev_b32_e32 v4, 2, v4
	ds_bpermute_b32 v3, v4, v3
	s_and_saveexec_b64 s[0:1], vcc
	s_cbranch_execz .LBB1322_10
; %bb.9:
	v_cmp_eq_u32_e32 vcc, 0, v2
	s_waitcnt lgkmcnt(0)
	s_nop 0
	v_cndmask_b32_e32 v0, v3, v0, vcc
	global_store_dword v1, v0, s[10:11]
.LBB1322_10:
	s_endpgm
	.section	.rodata,"a",@progbits
	.p2align	6, 0x0
	.amdhsa_kernel _ZN7rocprim17ROCPRIM_400000_NS6detail17trampoline_kernelINS0_14default_configENS1_35radix_sort_onesweep_config_selectorItNS0_10empty_typeEEEZNS1_34radix_sort_onesweep_global_offsetsIS3_Lb0EN6thrust23THRUST_200600_302600_NS6detail15normal_iteratorINS9_10device_ptrItEEEEPS5_jNS0_19identity_decomposerEEE10hipError_tT1_T2_PT3_SK_jT4_jjP12ihipStream_tbEUlT_E0_NS1_11comp_targetILNS1_3genE5ELNS1_11target_archE942ELNS1_3gpuE9ELNS1_3repE0EEENS1_52radix_sort_onesweep_histogram_config_static_selectorELNS0_4arch9wavefront6targetE1EEEvSI_
		.amdhsa_group_segment_fixed_size 64
		.amdhsa_private_segment_fixed_size 0
		.amdhsa_kernarg_size 8
		.amdhsa_user_sgpr_count 2
		.amdhsa_user_sgpr_dispatch_ptr 0
		.amdhsa_user_sgpr_queue_ptr 0
		.amdhsa_user_sgpr_kernarg_segment_ptr 1
		.amdhsa_user_sgpr_dispatch_id 0
		.amdhsa_user_sgpr_kernarg_preload_length 0
		.amdhsa_user_sgpr_kernarg_preload_offset 0
		.amdhsa_user_sgpr_private_segment_size 0
		.amdhsa_uses_dynamic_stack 0
		.amdhsa_enable_private_segment 0
		.amdhsa_system_sgpr_workgroup_id_x 1
		.amdhsa_system_sgpr_workgroup_id_y 0
		.amdhsa_system_sgpr_workgroup_id_z 0
		.amdhsa_system_sgpr_workgroup_info 0
		.amdhsa_system_vgpr_workitem_id 0
		.amdhsa_next_free_vgpr 7
		.amdhsa_next_free_sgpr 14
		.amdhsa_accum_offset 8
		.amdhsa_reserve_vcc 1
		.amdhsa_float_round_mode_32 0
		.amdhsa_float_round_mode_16_64 0
		.amdhsa_float_denorm_mode_32 3
		.amdhsa_float_denorm_mode_16_64 3
		.amdhsa_dx10_clamp 1
		.amdhsa_ieee_mode 1
		.amdhsa_fp16_overflow 0
		.amdhsa_tg_split 0
		.amdhsa_exception_fp_ieee_invalid_op 0
		.amdhsa_exception_fp_denorm_src 0
		.amdhsa_exception_fp_ieee_div_zero 0
		.amdhsa_exception_fp_ieee_overflow 0
		.amdhsa_exception_fp_ieee_underflow 0
		.amdhsa_exception_fp_ieee_inexact 0
		.amdhsa_exception_int_div_zero 0
	.end_amdhsa_kernel
	.section	.text._ZN7rocprim17ROCPRIM_400000_NS6detail17trampoline_kernelINS0_14default_configENS1_35radix_sort_onesweep_config_selectorItNS0_10empty_typeEEEZNS1_34radix_sort_onesweep_global_offsetsIS3_Lb0EN6thrust23THRUST_200600_302600_NS6detail15normal_iteratorINS9_10device_ptrItEEEEPS5_jNS0_19identity_decomposerEEE10hipError_tT1_T2_PT3_SK_jT4_jjP12ihipStream_tbEUlT_E0_NS1_11comp_targetILNS1_3genE5ELNS1_11target_archE942ELNS1_3gpuE9ELNS1_3repE0EEENS1_52radix_sort_onesweep_histogram_config_static_selectorELNS0_4arch9wavefront6targetE1EEEvSI_,"axG",@progbits,_ZN7rocprim17ROCPRIM_400000_NS6detail17trampoline_kernelINS0_14default_configENS1_35radix_sort_onesweep_config_selectorItNS0_10empty_typeEEEZNS1_34radix_sort_onesweep_global_offsetsIS3_Lb0EN6thrust23THRUST_200600_302600_NS6detail15normal_iteratorINS9_10device_ptrItEEEEPS5_jNS0_19identity_decomposerEEE10hipError_tT1_T2_PT3_SK_jT4_jjP12ihipStream_tbEUlT_E0_NS1_11comp_targetILNS1_3genE5ELNS1_11target_archE942ELNS1_3gpuE9ELNS1_3repE0EEENS1_52radix_sort_onesweep_histogram_config_static_selectorELNS0_4arch9wavefront6targetE1EEEvSI_,comdat
.Lfunc_end1322:
	.size	_ZN7rocprim17ROCPRIM_400000_NS6detail17trampoline_kernelINS0_14default_configENS1_35radix_sort_onesweep_config_selectorItNS0_10empty_typeEEEZNS1_34radix_sort_onesweep_global_offsetsIS3_Lb0EN6thrust23THRUST_200600_302600_NS6detail15normal_iteratorINS9_10device_ptrItEEEEPS5_jNS0_19identity_decomposerEEE10hipError_tT1_T2_PT3_SK_jT4_jjP12ihipStream_tbEUlT_E0_NS1_11comp_targetILNS1_3genE5ELNS1_11target_archE942ELNS1_3gpuE9ELNS1_3repE0EEENS1_52radix_sort_onesweep_histogram_config_static_selectorELNS0_4arch9wavefront6targetE1EEEvSI_, .Lfunc_end1322-_ZN7rocprim17ROCPRIM_400000_NS6detail17trampoline_kernelINS0_14default_configENS1_35radix_sort_onesweep_config_selectorItNS0_10empty_typeEEEZNS1_34radix_sort_onesweep_global_offsetsIS3_Lb0EN6thrust23THRUST_200600_302600_NS6detail15normal_iteratorINS9_10device_ptrItEEEEPS5_jNS0_19identity_decomposerEEE10hipError_tT1_T2_PT3_SK_jT4_jjP12ihipStream_tbEUlT_E0_NS1_11comp_targetILNS1_3genE5ELNS1_11target_archE942ELNS1_3gpuE9ELNS1_3repE0EEENS1_52radix_sort_onesweep_histogram_config_static_selectorELNS0_4arch9wavefront6targetE1EEEvSI_
                                        ; -- End function
	.section	.AMDGPU.csdata,"",@progbits
; Kernel info:
; codeLenInByte = 580
; NumSgprs: 20
; NumVgprs: 7
; NumAgprs: 0
; TotalNumVgprs: 7
; ScratchSize: 0
; MemoryBound: 0
; FloatMode: 240
; IeeeMode: 1
; LDSByteSize: 64 bytes/workgroup (compile time only)
; SGPRBlocks: 2
; VGPRBlocks: 0
; NumSGPRsForWavesPerEU: 20
; NumVGPRsForWavesPerEU: 7
; AccumOffset: 8
; Occupancy: 8
; WaveLimiterHint : 0
; COMPUTE_PGM_RSRC2:SCRATCH_EN: 0
; COMPUTE_PGM_RSRC2:USER_SGPR: 2
; COMPUTE_PGM_RSRC2:TRAP_HANDLER: 0
; COMPUTE_PGM_RSRC2:TGID_X_EN: 1
; COMPUTE_PGM_RSRC2:TGID_Y_EN: 0
; COMPUTE_PGM_RSRC2:TGID_Z_EN: 0
; COMPUTE_PGM_RSRC2:TIDIG_COMP_CNT: 0
; COMPUTE_PGM_RSRC3_GFX90A:ACCUM_OFFSET: 1
; COMPUTE_PGM_RSRC3_GFX90A:TG_SPLIT: 0
	.section	.text._ZN7rocprim17ROCPRIM_400000_NS6detail17trampoline_kernelINS0_14default_configENS1_35radix_sort_onesweep_config_selectorItNS0_10empty_typeEEEZNS1_34radix_sort_onesweep_global_offsetsIS3_Lb0EN6thrust23THRUST_200600_302600_NS6detail15normal_iteratorINS9_10device_ptrItEEEEPS5_jNS0_19identity_decomposerEEE10hipError_tT1_T2_PT3_SK_jT4_jjP12ihipStream_tbEUlT_E0_NS1_11comp_targetILNS1_3genE2ELNS1_11target_archE906ELNS1_3gpuE6ELNS1_3repE0EEENS1_52radix_sort_onesweep_histogram_config_static_selectorELNS0_4arch9wavefront6targetE1EEEvSI_,"axG",@progbits,_ZN7rocprim17ROCPRIM_400000_NS6detail17trampoline_kernelINS0_14default_configENS1_35radix_sort_onesweep_config_selectorItNS0_10empty_typeEEEZNS1_34radix_sort_onesweep_global_offsetsIS3_Lb0EN6thrust23THRUST_200600_302600_NS6detail15normal_iteratorINS9_10device_ptrItEEEEPS5_jNS0_19identity_decomposerEEE10hipError_tT1_T2_PT3_SK_jT4_jjP12ihipStream_tbEUlT_E0_NS1_11comp_targetILNS1_3genE2ELNS1_11target_archE906ELNS1_3gpuE6ELNS1_3repE0EEENS1_52radix_sort_onesweep_histogram_config_static_selectorELNS0_4arch9wavefront6targetE1EEEvSI_,comdat
	.protected	_ZN7rocprim17ROCPRIM_400000_NS6detail17trampoline_kernelINS0_14default_configENS1_35radix_sort_onesweep_config_selectorItNS0_10empty_typeEEEZNS1_34radix_sort_onesweep_global_offsetsIS3_Lb0EN6thrust23THRUST_200600_302600_NS6detail15normal_iteratorINS9_10device_ptrItEEEEPS5_jNS0_19identity_decomposerEEE10hipError_tT1_T2_PT3_SK_jT4_jjP12ihipStream_tbEUlT_E0_NS1_11comp_targetILNS1_3genE2ELNS1_11target_archE906ELNS1_3gpuE6ELNS1_3repE0EEENS1_52radix_sort_onesweep_histogram_config_static_selectorELNS0_4arch9wavefront6targetE1EEEvSI_ ; -- Begin function _ZN7rocprim17ROCPRIM_400000_NS6detail17trampoline_kernelINS0_14default_configENS1_35radix_sort_onesweep_config_selectorItNS0_10empty_typeEEEZNS1_34radix_sort_onesweep_global_offsetsIS3_Lb0EN6thrust23THRUST_200600_302600_NS6detail15normal_iteratorINS9_10device_ptrItEEEEPS5_jNS0_19identity_decomposerEEE10hipError_tT1_T2_PT3_SK_jT4_jjP12ihipStream_tbEUlT_E0_NS1_11comp_targetILNS1_3genE2ELNS1_11target_archE906ELNS1_3gpuE6ELNS1_3repE0EEENS1_52radix_sort_onesweep_histogram_config_static_selectorELNS0_4arch9wavefront6targetE1EEEvSI_
	.globl	_ZN7rocprim17ROCPRIM_400000_NS6detail17trampoline_kernelINS0_14default_configENS1_35radix_sort_onesweep_config_selectorItNS0_10empty_typeEEEZNS1_34radix_sort_onesweep_global_offsetsIS3_Lb0EN6thrust23THRUST_200600_302600_NS6detail15normal_iteratorINS9_10device_ptrItEEEEPS5_jNS0_19identity_decomposerEEE10hipError_tT1_T2_PT3_SK_jT4_jjP12ihipStream_tbEUlT_E0_NS1_11comp_targetILNS1_3genE2ELNS1_11target_archE906ELNS1_3gpuE6ELNS1_3repE0EEENS1_52radix_sort_onesweep_histogram_config_static_selectorELNS0_4arch9wavefront6targetE1EEEvSI_
	.p2align	8
	.type	_ZN7rocprim17ROCPRIM_400000_NS6detail17trampoline_kernelINS0_14default_configENS1_35radix_sort_onesweep_config_selectorItNS0_10empty_typeEEEZNS1_34radix_sort_onesweep_global_offsetsIS3_Lb0EN6thrust23THRUST_200600_302600_NS6detail15normal_iteratorINS9_10device_ptrItEEEEPS5_jNS0_19identity_decomposerEEE10hipError_tT1_T2_PT3_SK_jT4_jjP12ihipStream_tbEUlT_E0_NS1_11comp_targetILNS1_3genE2ELNS1_11target_archE906ELNS1_3gpuE6ELNS1_3repE0EEENS1_52radix_sort_onesweep_histogram_config_static_selectorELNS0_4arch9wavefront6targetE1EEEvSI_,@function
_ZN7rocprim17ROCPRIM_400000_NS6detail17trampoline_kernelINS0_14default_configENS1_35radix_sort_onesweep_config_selectorItNS0_10empty_typeEEEZNS1_34radix_sort_onesweep_global_offsetsIS3_Lb0EN6thrust23THRUST_200600_302600_NS6detail15normal_iteratorINS9_10device_ptrItEEEEPS5_jNS0_19identity_decomposerEEE10hipError_tT1_T2_PT3_SK_jT4_jjP12ihipStream_tbEUlT_E0_NS1_11comp_targetILNS1_3genE2ELNS1_11target_archE906ELNS1_3gpuE6ELNS1_3repE0EEENS1_52radix_sort_onesweep_histogram_config_static_selectorELNS0_4arch9wavefront6targetE1EEEvSI_: ; @_ZN7rocprim17ROCPRIM_400000_NS6detail17trampoline_kernelINS0_14default_configENS1_35radix_sort_onesweep_config_selectorItNS0_10empty_typeEEEZNS1_34radix_sort_onesweep_global_offsetsIS3_Lb0EN6thrust23THRUST_200600_302600_NS6detail15normal_iteratorINS9_10device_ptrItEEEEPS5_jNS0_19identity_decomposerEEE10hipError_tT1_T2_PT3_SK_jT4_jjP12ihipStream_tbEUlT_E0_NS1_11comp_targetILNS1_3genE2ELNS1_11target_archE906ELNS1_3gpuE6ELNS1_3repE0EEENS1_52radix_sort_onesweep_histogram_config_static_selectorELNS0_4arch9wavefront6targetE1EEEvSI_
; %bb.0:
	.section	.rodata,"a",@progbits
	.p2align	6, 0x0
	.amdhsa_kernel _ZN7rocprim17ROCPRIM_400000_NS6detail17trampoline_kernelINS0_14default_configENS1_35radix_sort_onesweep_config_selectorItNS0_10empty_typeEEEZNS1_34radix_sort_onesweep_global_offsetsIS3_Lb0EN6thrust23THRUST_200600_302600_NS6detail15normal_iteratorINS9_10device_ptrItEEEEPS5_jNS0_19identity_decomposerEEE10hipError_tT1_T2_PT3_SK_jT4_jjP12ihipStream_tbEUlT_E0_NS1_11comp_targetILNS1_3genE2ELNS1_11target_archE906ELNS1_3gpuE6ELNS1_3repE0EEENS1_52radix_sort_onesweep_histogram_config_static_selectorELNS0_4arch9wavefront6targetE1EEEvSI_
		.amdhsa_group_segment_fixed_size 0
		.amdhsa_private_segment_fixed_size 0
		.amdhsa_kernarg_size 8
		.amdhsa_user_sgpr_count 2
		.amdhsa_user_sgpr_dispatch_ptr 0
		.amdhsa_user_sgpr_queue_ptr 0
		.amdhsa_user_sgpr_kernarg_segment_ptr 1
		.amdhsa_user_sgpr_dispatch_id 0
		.amdhsa_user_sgpr_kernarg_preload_length 0
		.amdhsa_user_sgpr_kernarg_preload_offset 0
		.amdhsa_user_sgpr_private_segment_size 0
		.amdhsa_uses_dynamic_stack 0
		.amdhsa_enable_private_segment 0
		.amdhsa_system_sgpr_workgroup_id_x 1
		.amdhsa_system_sgpr_workgroup_id_y 0
		.amdhsa_system_sgpr_workgroup_id_z 0
		.amdhsa_system_sgpr_workgroup_info 0
		.amdhsa_system_vgpr_workitem_id 0
		.amdhsa_next_free_vgpr 1
		.amdhsa_next_free_sgpr 0
		.amdhsa_accum_offset 4
		.amdhsa_reserve_vcc 0
		.amdhsa_float_round_mode_32 0
		.amdhsa_float_round_mode_16_64 0
		.amdhsa_float_denorm_mode_32 3
		.amdhsa_float_denorm_mode_16_64 3
		.amdhsa_dx10_clamp 1
		.amdhsa_ieee_mode 1
		.amdhsa_fp16_overflow 0
		.amdhsa_tg_split 0
		.amdhsa_exception_fp_ieee_invalid_op 0
		.amdhsa_exception_fp_denorm_src 0
		.amdhsa_exception_fp_ieee_div_zero 0
		.amdhsa_exception_fp_ieee_overflow 0
		.amdhsa_exception_fp_ieee_underflow 0
		.amdhsa_exception_fp_ieee_inexact 0
		.amdhsa_exception_int_div_zero 0
	.end_amdhsa_kernel
	.section	.text._ZN7rocprim17ROCPRIM_400000_NS6detail17trampoline_kernelINS0_14default_configENS1_35radix_sort_onesweep_config_selectorItNS0_10empty_typeEEEZNS1_34radix_sort_onesweep_global_offsetsIS3_Lb0EN6thrust23THRUST_200600_302600_NS6detail15normal_iteratorINS9_10device_ptrItEEEEPS5_jNS0_19identity_decomposerEEE10hipError_tT1_T2_PT3_SK_jT4_jjP12ihipStream_tbEUlT_E0_NS1_11comp_targetILNS1_3genE2ELNS1_11target_archE906ELNS1_3gpuE6ELNS1_3repE0EEENS1_52radix_sort_onesweep_histogram_config_static_selectorELNS0_4arch9wavefront6targetE1EEEvSI_,"axG",@progbits,_ZN7rocprim17ROCPRIM_400000_NS6detail17trampoline_kernelINS0_14default_configENS1_35radix_sort_onesweep_config_selectorItNS0_10empty_typeEEEZNS1_34radix_sort_onesweep_global_offsetsIS3_Lb0EN6thrust23THRUST_200600_302600_NS6detail15normal_iteratorINS9_10device_ptrItEEEEPS5_jNS0_19identity_decomposerEEE10hipError_tT1_T2_PT3_SK_jT4_jjP12ihipStream_tbEUlT_E0_NS1_11comp_targetILNS1_3genE2ELNS1_11target_archE906ELNS1_3gpuE6ELNS1_3repE0EEENS1_52radix_sort_onesweep_histogram_config_static_selectorELNS0_4arch9wavefront6targetE1EEEvSI_,comdat
.Lfunc_end1323:
	.size	_ZN7rocprim17ROCPRIM_400000_NS6detail17trampoline_kernelINS0_14default_configENS1_35radix_sort_onesweep_config_selectorItNS0_10empty_typeEEEZNS1_34radix_sort_onesweep_global_offsetsIS3_Lb0EN6thrust23THRUST_200600_302600_NS6detail15normal_iteratorINS9_10device_ptrItEEEEPS5_jNS0_19identity_decomposerEEE10hipError_tT1_T2_PT3_SK_jT4_jjP12ihipStream_tbEUlT_E0_NS1_11comp_targetILNS1_3genE2ELNS1_11target_archE906ELNS1_3gpuE6ELNS1_3repE0EEENS1_52radix_sort_onesweep_histogram_config_static_selectorELNS0_4arch9wavefront6targetE1EEEvSI_, .Lfunc_end1323-_ZN7rocprim17ROCPRIM_400000_NS6detail17trampoline_kernelINS0_14default_configENS1_35radix_sort_onesweep_config_selectorItNS0_10empty_typeEEEZNS1_34radix_sort_onesweep_global_offsetsIS3_Lb0EN6thrust23THRUST_200600_302600_NS6detail15normal_iteratorINS9_10device_ptrItEEEEPS5_jNS0_19identity_decomposerEEE10hipError_tT1_T2_PT3_SK_jT4_jjP12ihipStream_tbEUlT_E0_NS1_11comp_targetILNS1_3genE2ELNS1_11target_archE906ELNS1_3gpuE6ELNS1_3repE0EEENS1_52radix_sort_onesweep_histogram_config_static_selectorELNS0_4arch9wavefront6targetE1EEEvSI_
                                        ; -- End function
	.section	.AMDGPU.csdata,"",@progbits
; Kernel info:
; codeLenInByte = 0
; NumSgprs: 6
; NumVgprs: 0
; NumAgprs: 0
; TotalNumVgprs: 0
; ScratchSize: 0
; MemoryBound: 0
; FloatMode: 240
; IeeeMode: 1
; LDSByteSize: 0 bytes/workgroup (compile time only)
; SGPRBlocks: 0
; VGPRBlocks: 0
; NumSGPRsForWavesPerEU: 6
; NumVGPRsForWavesPerEU: 1
; AccumOffset: 4
; Occupancy: 8
; WaveLimiterHint : 0
; COMPUTE_PGM_RSRC2:SCRATCH_EN: 0
; COMPUTE_PGM_RSRC2:USER_SGPR: 2
; COMPUTE_PGM_RSRC2:TRAP_HANDLER: 0
; COMPUTE_PGM_RSRC2:TGID_X_EN: 1
; COMPUTE_PGM_RSRC2:TGID_Y_EN: 0
; COMPUTE_PGM_RSRC2:TGID_Z_EN: 0
; COMPUTE_PGM_RSRC2:TIDIG_COMP_CNT: 0
; COMPUTE_PGM_RSRC3_GFX90A:ACCUM_OFFSET: 0
; COMPUTE_PGM_RSRC3_GFX90A:TG_SPLIT: 0
	.section	.text._ZN7rocprim17ROCPRIM_400000_NS6detail17trampoline_kernelINS0_14default_configENS1_35radix_sort_onesweep_config_selectorItNS0_10empty_typeEEEZNS1_34radix_sort_onesweep_global_offsetsIS3_Lb0EN6thrust23THRUST_200600_302600_NS6detail15normal_iteratorINS9_10device_ptrItEEEEPS5_jNS0_19identity_decomposerEEE10hipError_tT1_T2_PT3_SK_jT4_jjP12ihipStream_tbEUlT_E0_NS1_11comp_targetILNS1_3genE4ELNS1_11target_archE910ELNS1_3gpuE8ELNS1_3repE0EEENS1_52radix_sort_onesweep_histogram_config_static_selectorELNS0_4arch9wavefront6targetE1EEEvSI_,"axG",@progbits,_ZN7rocprim17ROCPRIM_400000_NS6detail17trampoline_kernelINS0_14default_configENS1_35radix_sort_onesweep_config_selectorItNS0_10empty_typeEEEZNS1_34radix_sort_onesweep_global_offsetsIS3_Lb0EN6thrust23THRUST_200600_302600_NS6detail15normal_iteratorINS9_10device_ptrItEEEEPS5_jNS0_19identity_decomposerEEE10hipError_tT1_T2_PT3_SK_jT4_jjP12ihipStream_tbEUlT_E0_NS1_11comp_targetILNS1_3genE4ELNS1_11target_archE910ELNS1_3gpuE8ELNS1_3repE0EEENS1_52radix_sort_onesweep_histogram_config_static_selectorELNS0_4arch9wavefront6targetE1EEEvSI_,comdat
	.protected	_ZN7rocprim17ROCPRIM_400000_NS6detail17trampoline_kernelINS0_14default_configENS1_35radix_sort_onesweep_config_selectorItNS0_10empty_typeEEEZNS1_34radix_sort_onesweep_global_offsetsIS3_Lb0EN6thrust23THRUST_200600_302600_NS6detail15normal_iteratorINS9_10device_ptrItEEEEPS5_jNS0_19identity_decomposerEEE10hipError_tT1_T2_PT3_SK_jT4_jjP12ihipStream_tbEUlT_E0_NS1_11comp_targetILNS1_3genE4ELNS1_11target_archE910ELNS1_3gpuE8ELNS1_3repE0EEENS1_52radix_sort_onesweep_histogram_config_static_selectorELNS0_4arch9wavefront6targetE1EEEvSI_ ; -- Begin function _ZN7rocprim17ROCPRIM_400000_NS6detail17trampoline_kernelINS0_14default_configENS1_35radix_sort_onesweep_config_selectorItNS0_10empty_typeEEEZNS1_34radix_sort_onesweep_global_offsetsIS3_Lb0EN6thrust23THRUST_200600_302600_NS6detail15normal_iteratorINS9_10device_ptrItEEEEPS5_jNS0_19identity_decomposerEEE10hipError_tT1_T2_PT3_SK_jT4_jjP12ihipStream_tbEUlT_E0_NS1_11comp_targetILNS1_3genE4ELNS1_11target_archE910ELNS1_3gpuE8ELNS1_3repE0EEENS1_52radix_sort_onesweep_histogram_config_static_selectorELNS0_4arch9wavefront6targetE1EEEvSI_
	.globl	_ZN7rocprim17ROCPRIM_400000_NS6detail17trampoline_kernelINS0_14default_configENS1_35radix_sort_onesweep_config_selectorItNS0_10empty_typeEEEZNS1_34radix_sort_onesweep_global_offsetsIS3_Lb0EN6thrust23THRUST_200600_302600_NS6detail15normal_iteratorINS9_10device_ptrItEEEEPS5_jNS0_19identity_decomposerEEE10hipError_tT1_T2_PT3_SK_jT4_jjP12ihipStream_tbEUlT_E0_NS1_11comp_targetILNS1_3genE4ELNS1_11target_archE910ELNS1_3gpuE8ELNS1_3repE0EEENS1_52radix_sort_onesweep_histogram_config_static_selectorELNS0_4arch9wavefront6targetE1EEEvSI_
	.p2align	8
	.type	_ZN7rocprim17ROCPRIM_400000_NS6detail17trampoline_kernelINS0_14default_configENS1_35radix_sort_onesweep_config_selectorItNS0_10empty_typeEEEZNS1_34radix_sort_onesweep_global_offsetsIS3_Lb0EN6thrust23THRUST_200600_302600_NS6detail15normal_iteratorINS9_10device_ptrItEEEEPS5_jNS0_19identity_decomposerEEE10hipError_tT1_T2_PT3_SK_jT4_jjP12ihipStream_tbEUlT_E0_NS1_11comp_targetILNS1_3genE4ELNS1_11target_archE910ELNS1_3gpuE8ELNS1_3repE0EEENS1_52radix_sort_onesweep_histogram_config_static_selectorELNS0_4arch9wavefront6targetE1EEEvSI_,@function
_ZN7rocprim17ROCPRIM_400000_NS6detail17trampoline_kernelINS0_14default_configENS1_35radix_sort_onesweep_config_selectorItNS0_10empty_typeEEEZNS1_34radix_sort_onesweep_global_offsetsIS3_Lb0EN6thrust23THRUST_200600_302600_NS6detail15normal_iteratorINS9_10device_ptrItEEEEPS5_jNS0_19identity_decomposerEEE10hipError_tT1_T2_PT3_SK_jT4_jjP12ihipStream_tbEUlT_E0_NS1_11comp_targetILNS1_3genE4ELNS1_11target_archE910ELNS1_3gpuE8ELNS1_3repE0EEENS1_52radix_sort_onesweep_histogram_config_static_selectorELNS0_4arch9wavefront6targetE1EEEvSI_: ; @_ZN7rocprim17ROCPRIM_400000_NS6detail17trampoline_kernelINS0_14default_configENS1_35radix_sort_onesweep_config_selectorItNS0_10empty_typeEEEZNS1_34radix_sort_onesweep_global_offsetsIS3_Lb0EN6thrust23THRUST_200600_302600_NS6detail15normal_iteratorINS9_10device_ptrItEEEEPS5_jNS0_19identity_decomposerEEE10hipError_tT1_T2_PT3_SK_jT4_jjP12ihipStream_tbEUlT_E0_NS1_11comp_targetILNS1_3genE4ELNS1_11target_archE910ELNS1_3gpuE8ELNS1_3repE0EEENS1_52radix_sort_onesweep_histogram_config_static_selectorELNS0_4arch9wavefront6targetE1EEEvSI_
; %bb.0:
	.section	.rodata,"a",@progbits
	.p2align	6, 0x0
	.amdhsa_kernel _ZN7rocprim17ROCPRIM_400000_NS6detail17trampoline_kernelINS0_14default_configENS1_35radix_sort_onesweep_config_selectorItNS0_10empty_typeEEEZNS1_34radix_sort_onesweep_global_offsetsIS3_Lb0EN6thrust23THRUST_200600_302600_NS6detail15normal_iteratorINS9_10device_ptrItEEEEPS5_jNS0_19identity_decomposerEEE10hipError_tT1_T2_PT3_SK_jT4_jjP12ihipStream_tbEUlT_E0_NS1_11comp_targetILNS1_3genE4ELNS1_11target_archE910ELNS1_3gpuE8ELNS1_3repE0EEENS1_52radix_sort_onesweep_histogram_config_static_selectorELNS0_4arch9wavefront6targetE1EEEvSI_
		.amdhsa_group_segment_fixed_size 0
		.amdhsa_private_segment_fixed_size 0
		.amdhsa_kernarg_size 8
		.amdhsa_user_sgpr_count 2
		.amdhsa_user_sgpr_dispatch_ptr 0
		.amdhsa_user_sgpr_queue_ptr 0
		.amdhsa_user_sgpr_kernarg_segment_ptr 1
		.amdhsa_user_sgpr_dispatch_id 0
		.amdhsa_user_sgpr_kernarg_preload_length 0
		.amdhsa_user_sgpr_kernarg_preload_offset 0
		.amdhsa_user_sgpr_private_segment_size 0
		.amdhsa_uses_dynamic_stack 0
		.amdhsa_enable_private_segment 0
		.amdhsa_system_sgpr_workgroup_id_x 1
		.amdhsa_system_sgpr_workgroup_id_y 0
		.amdhsa_system_sgpr_workgroup_id_z 0
		.amdhsa_system_sgpr_workgroup_info 0
		.amdhsa_system_vgpr_workitem_id 0
		.amdhsa_next_free_vgpr 1
		.amdhsa_next_free_sgpr 0
		.amdhsa_accum_offset 4
		.amdhsa_reserve_vcc 0
		.amdhsa_float_round_mode_32 0
		.amdhsa_float_round_mode_16_64 0
		.amdhsa_float_denorm_mode_32 3
		.amdhsa_float_denorm_mode_16_64 3
		.amdhsa_dx10_clamp 1
		.amdhsa_ieee_mode 1
		.amdhsa_fp16_overflow 0
		.amdhsa_tg_split 0
		.amdhsa_exception_fp_ieee_invalid_op 0
		.amdhsa_exception_fp_denorm_src 0
		.amdhsa_exception_fp_ieee_div_zero 0
		.amdhsa_exception_fp_ieee_overflow 0
		.amdhsa_exception_fp_ieee_underflow 0
		.amdhsa_exception_fp_ieee_inexact 0
		.amdhsa_exception_int_div_zero 0
	.end_amdhsa_kernel
	.section	.text._ZN7rocprim17ROCPRIM_400000_NS6detail17trampoline_kernelINS0_14default_configENS1_35radix_sort_onesweep_config_selectorItNS0_10empty_typeEEEZNS1_34radix_sort_onesweep_global_offsetsIS3_Lb0EN6thrust23THRUST_200600_302600_NS6detail15normal_iteratorINS9_10device_ptrItEEEEPS5_jNS0_19identity_decomposerEEE10hipError_tT1_T2_PT3_SK_jT4_jjP12ihipStream_tbEUlT_E0_NS1_11comp_targetILNS1_3genE4ELNS1_11target_archE910ELNS1_3gpuE8ELNS1_3repE0EEENS1_52radix_sort_onesweep_histogram_config_static_selectorELNS0_4arch9wavefront6targetE1EEEvSI_,"axG",@progbits,_ZN7rocprim17ROCPRIM_400000_NS6detail17trampoline_kernelINS0_14default_configENS1_35radix_sort_onesweep_config_selectorItNS0_10empty_typeEEEZNS1_34radix_sort_onesweep_global_offsetsIS3_Lb0EN6thrust23THRUST_200600_302600_NS6detail15normal_iteratorINS9_10device_ptrItEEEEPS5_jNS0_19identity_decomposerEEE10hipError_tT1_T2_PT3_SK_jT4_jjP12ihipStream_tbEUlT_E0_NS1_11comp_targetILNS1_3genE4ELNS1_11target_archE910ELNS1_3gpuE8ELNS1_3repE0EEENS1_52radix_sort_onesweep_histogram_config_static_selectorELNS0_4arch9wavefront6targetE1EEEvSI_,comdat
.Lfunc_end1324:
	.size	_ZN7rocprim17ROCPRIM_400000_NS6detail17trampoline_kernelINS0_14default_configENS1_35radix_sort_onesweep_config_selectorItNS0_10empty_typeEEEZNS1_34radix_sort_onesweep_global_offsetsIS3_Lb0EN6thrust23THRUST_200600_302600_NS6detail15normal_iteratorINS9_10device_ptrItEEEEPS5_jNS0_19identity_decomposerEEE10hipError_tT1_T2_PT3_SK_jT4_jjP12ihipStream_tbEUlT_E0_NS1_11comp_targetILNS1_3genE4ELNS1_11target_archE910ELNS1_3gpuE8ELNS1_3repE0EEENS1_52radix_sort_onesweep_histogram_config_static_selectorELNS0_4arch9wavefront6targetE1EEEvSI_, .Lfunc_end1324-_ZN7rocprim17ROCPRIM_400000_NS6detail17trampoline_kernelINS0_14default_configENS1_35radix_sort_onesweep_config_selectorItNS0_10empty_typeEEEZNS1_34radix_sort_onesweep_global_offsetsIS3_Lb0EN6thrust23THRUST_200600_302600_NS6detail15normal_iteratorINS9_10device_ptrItEEEEPS5_jNS0_19identity_decomposerEEE10hipError_tT1_T2_PT3_SK_jT4_jjP12ihipStream_tbEUlT_E0_NS1_11comp_targetILNS1_3genE4ELNS1_11target_archE910ELNS1_3gpuE8ELNS1_3repE0EEENS1_52radix_sort_onesweep_histogram_config_static_selectorELNS0_4arch9wavefront6targetE1EEEvSI_
                                        ; -- End function
	.section	.AMDGPU.csdata,"",@progbits
; Kernel info:
; codeLenInByte = 0
; NumSgprs: 6
; NumVgprs: 0
; NumAgprs: 0
; TotalNumVgprs: 0
; ScratchSize: 0
; MemoryBound: 0
; FloatMode: 240
; IeeeMode: 1
; LDSByteSize: 0 bytes/workgroup (compile time only)
; SGPRBlocks: 0
; VGPRBlocks: 0
; NumSGPRsForWavesPerEU: 6
; NumVGPRsForWavesPerEU: 1
; AccumOffset: 4
; Occupancy: 8
; WaveLimiterHint : 0
; COMPUTE_PGM_RSRC2:SCRATCH_EN: 0
; COMPUTE_PGM_RSRC2:USER_SGPR: 2
; COMPUTE_PGM_RSRC2:TRAP_HANDLER: 0
; COMPUTE_PGM_RSRC2:TGID_X_EN: 1
; COMPUTE_PGM_RSRC2:TGID_Y_EN: 0
; COMPUTE_PGM_RSRC2:TGID_Z_EN: 0
; COMPUTE_PGM_RSRC2:TIDIG_COMP_CNT: 0
; COMPUTE_PGM_RSRC3_GFX90A:ACCUM_OFFSET: 0
; COMPUTE_PGM_RSRC3_GFX90A:TG_SPLIT: 0
	.section	.text._ZN7rocprim17ROCPRIM_400000_NS6detail17trampoline_kernelINS0_14default_configENS1_35radix_sort_onesweep_config_selectorItNS0_10empty_typeEEEZNS1_34radix_sort_onesweep_global_offsetsIS3_Lb0EN6thrust23THRUST_200600_302600_NS6detail15normal_iteratorINS9_10device_ptrItEEEEPS5_jNS0_19identity_decomposerEEE10hipError_tT1_T2_PT3_SK_jT4_jjP12ihipStream_tbEUlT_E0_NS1_11comp_targetILNS1_3genE3ELNS1_11target_archE908ELNS1_3gpuE7ELNS1_3repE0EEENS1_52radix_sort_onesweep_histogram_config_static_selectorELNS0_4arch9wavefront6targetE1EEEvSI_,"axG",@progbits,_ZN7rocprim17ROCPRIM_400000_NS6detail17trampoline_kernelINS0_14default_configENS1_35radix_sort_onesweep_config_selectorItNS0_10empty_typeEEEZNS1_34radix_sort_onesweep_global_offsetsIS3_Lb0EN6thrust23THRUST_200600_302600_NS6detail15normal_iteratorINS9_10device_ptrItEEEEPS5_jNS0_19identity_decomposerEEE10hipError_tT1_T2_PT3_SK_jT4_jjP12ihipStream_tbEUlT_E0_NS1_11comp_targetILNS1_3genE3ELNS1_11target_archE908ELNS1_3gpuE7ELNS1_3repE0EEENS1_52radix_sort_onesweep_histogram_config_static_selectorELNS0_4arch9wavefront6targetE1EEEvSI_,comdat
	.protected	_ZN7rocprim17ROCPRIM_400000_NS6detail17trampoline_kernelINS0_14default_configENS1_35radix_sort_onesweep_config_selectorItNS0_10empty_typeEEEZNS1_34radix_sort_onesweep_global_offsetsIS3_Lb0EN6thrust23THRUST_200600_302600_NS6detail15normal_iteratorINS9_10device_ptrItEEEEPS5_jNS0_19identity_decomposerEEE10hipError_tT1_T2_PT3_SK_jT4_jjP12ihipStream_tbEUlT_E0_NS1_11comp_targetILNS1_3genE3ELNS1_11target_archE908ELNS1_3gpuE7ELNS1_3repE0EEENS1_52radix_sort_onesweep_histogram_config_static_selectorELNS0_4arch9wavefront6targetE1EEEvSI_ ; -- Begin function _ZN7rocprim17ROCPRIM_400000_NS6detail17trampoline_kernelINS0_14default_configENS1_35radix_sort_onesweep_config_selectorItNS0_10empty_typeEEEZNS1_34radix_sort_onesweep_global_offsetsIS3_Lb0EN6thrust23THRUST_200600_302600_NS6detail15normal_iteratorINS9_10device_ptrItEEEEPS5_jNS0_19identity_decomposerEEE10hipError_tT1_T2_PT3_SK_jT4_jjP12ihipStream_tbEUlT_E0_NS1_11comp_targetILNS1_3genE3ELNS1_11target_archE908ELNS1_3gpuE7ELNS1_3repE0EEENS1_52radix_sort_onesweep_histogram_config_static_selectorELNS0_4arch9wavefront6targetE1EEEvSI_
	.globl	_ZN7rocprim17ROCPRIM_400000_NS6detail17trampoline_kernelINS0_14default_configENS1_35radix_sort_onesweep_config_selectorItNS0_10empty_typeEEEZNS1_34radix_sort_onesweep_global_offsetsIS3_Lb0EN6thrust23THRUST_200600_302600_NS6detail15normal_iteratorINS9_10device_ptrItEEEEPS5_jNS0_19identity_decomposerEEE10hipError_tT1_T2_PT3_SK_jT4_jjP12ihipStream_tbEUlT_E0_NS1_11comp_targetILNS1_3genE3ELNS1_11target_archE908ELNS1_3gpuE7ELNS1_3repE0EEENS1_52radix_sort_onesweep_histogram_config_static_selectorELNS0_4arch9wavefront6targetE1EEEvSI_
	.p2align	8
	.type	_ZN7rocprim17ROCPRIM_400000_NS6detail17trampoline_kernelINS0_14default_configENS1_35radix_sort_onesweep_config_selectorItNS0_10empty_typeEEEZNS1_34radix_sort_onesweep_global_offsetsIS3_Lb0EN6thrust23THRUST_200600_302600_NS6detail15normal_iteratorINS9_10device_ptrItEEEEPS5_jNS0_19identity_decomposerEEE10hipError_tT1_T2_PT3_SK_jT4_jjP12ihipStream_tbEUlT_E0_NS1_11comp_targetILNS1_3genE3ELNS1_11target_archE908ELNS1_3gpuE7ELNS1_3repE0EEENS1_52radix_sort_onesweep_histogram_config_static_selectorELNS0_4arch9wavefront6targetE1EEEvSI_,@function
_ZN7rocprim17ROCPRIM_400000_NS6detail17trampoline_kernelINS0_14default_configENS1_35radix_sort_onesweep_config_selectorItNS0_10empty_typeEEEZNS1_34radix_sort_onesweep_global_offsetsIS3_Lb0EN6thrust23THRUST_200600_302600_NS6detail15normal_iteratorINS9_10device_ptrItEEEEPS5_jNS0_19identity_decomposerEEE10hipError_tT1_T2_PT3_SK_jT4_jjP12ihipStream_tbEUlT_E0_NS1_11comp_targetILNS1_3genE3ELNS1_11target_archE908ELNS1_3gpuE7ELNS1_3repE0EEENS1_52radix_sort_onesweep_histogram_config_static_selectorELNS0_4arch9wavefront6targetE1EEEvSI_: ; @_ZN7rocprim17ROCPRIM_400000_NS6detail17trampoline_kernelINS0_14default_configENS1_35radix_sort_onesweep_config_selectorItNS0_10empty_typeEEEZNS1_34radix_sort_onesweep_global_offsetsIS3_Lb0EN6thrust23THRUST_200600_302600_NS6detail15normal_iteratorINS9_10device_ptrItEEEEPS5_jNS0_19identity_decomposerEEE10hipError_tT1_T2_PT3_SK_jT4_jjP12ihipStream_tbEUlT_E0_NS1_11comp_targetILNS1_3genE3ELNS1_11target_archE908ELNS1_3gpuE7ELNS1_3repE0EEENS1_52radix_sort_onesweep_histogram_config_static_selectorELNS0_4arch9wavefront6targetE1EEEvSI_
; %bb.0:
	.section	.rodata,"a",@progbits
	.p2align	6, 0x0
	.amdhsa_kernel _ZN7rocprim17ROCPRIM_400000_NS6detail17trampoline_kernelINS0_14default_configENS1_35radix_sort_onesweep_config_selectorItNS0_10empty_typeEEEZNS1_34radix_sort_onesweep_global_offsetsIS3_Lb0EN6thrust23THRUST_200600_302600_NS6detail15normal_iteratorINS9_10device_ptrItEEEEPS5_jNS0_19identity_decomposerEEE10hipError_tT1_T2_PT3_SK_jT4_jjP12ihipStream_tbEUlT_E0_NS1_11comp_targetILNS1_3genE3ELNS1_11target_archE908ELNS1_3gpuE7ELNS1_3repE0EEENS1_52radix_sort_onesweep_histogram_config_static_selectorELNS0_4arch9wavefront6targetE1EEEvSI_
		.amdhsa_group_segment_fixed_size 0
		.amdhsa_private_segment_fixed_size 0
		.amdhsa_kernarg_size 8
		.amdhsa_user_sgpr_count 2
		.amdhsa_user_sgpr_dispatch_ptr 0
		.amdhsa_user_sgpr_queue_ptr 0
		.amdhsa_user_sgpr_kernarg_segment_ptr 1
		.amdhsa_user_sgpr_dispatch_id 0
		.amdhsa_user_sgpr_kernarg_preload_length 0
		.amdhsa_user_sgpr_kernarg_preload_offset 0
		.amdhsa_user_sgpr_private_segment_size 0
		.amdhsa_uses_dynamic_stack 0
		.amdhsa_enable_private_segment 0
		.amdhsa_system_sgpr_workgroup_id_x 1
		.amdhsa_system_sgpr_workgroup_id_y 0
		.amdhsa_system_sgpr_workgroup_id_z 0
		.amdhsa_system_sgpr_workgroup_info 0
		.amdhsa_system_vgpr_workitem_id 0
		.amdhsa_next_free_vgpr 1
		.amdhsa_next_free_sgpr 0
		.amdhsa_accum_offset 4
		.amdhsa_reserve_vcc 0
		.amdhsa_float_round_mode_32 0
		.amdhsa_float_round_mode_16_64 0
		.amdhsa_float_denorm_mode_32 3
		.amdhsa_float_denorm_mode_16_64 3
		.amdhsa_dx10_clamp 1
		.amdhsa_ieee_mode 1
		.amdhsa_fp16_overflow 0
		.amdhsa_tg_split 0
		.amdhsa_exception_fp_ieee_invalid_op 0
		.amdhsa_exception_fp_denorm_src 0
		.amdhsa_exception_fp_ieee_div_zero 0
		.amdhsa_exception_fp_ieee_overflow 0
		.amdhsa_exception_fp_ieee_underflow 0
		.amdhsa_exception_fp_ieee_inexact 0
		.amdhsa_exception_int_div_zero 0
	.end_amdhsa_kernel
	.section	.text._ZN7rocprim17ROCPRIM_400000_NS6detail17trampoline_kernelINS0_14default_configENS1_35radix_sort_onesweep_config_selectorItNS0_10empty_typeEEEZNS1_34radix_sort_onesweep_global_offsetsIS3_Lb0EN6thrust23THRUST_200600_302600_NS6detail15normal_iteratorINS9_10device_ptrItEEEEPS5_jNS0_19identity_decomposerEEE10hipError_tT1_T2_PT3_SK_jT4_jjP12ihipStream_tbEUlT_E0_NS1_11comp_targetILNS1_3genE3ELNS1_11target_archE908ELNS1_3gpuE7ELNS1_3repE0EEENS1_52radix_sort_onesweep_histogram_config_static_selectorELNS0_4arch9wavefront6targetE1EEEvSI_,"axG",@progbits,_ZN7rocprim17ROCPRIM_400000_NS6detail17trampoline_kernelINS0_14default_configENS1_35radix_sort_onesweep_config_selectorItNS0_10empty_typeEEEZNS1_34radix_sort_onesweep_global_offsetsIS3_Lb0EN6thrust23THRUST_200600_302600_NS6detail15normal_iteratorINS9_10device_ptrItEEEEPS5_jNS0_19identity_decomposerEEE10hipError_tT1_T2_PT3_SK_jT4_jjP12ihipStream_tbEUlT_E0_NS1_11comp_targetILNS1_3genE3ELNS1_11target_archE908ELNS1_3gpuE7ELNS1_3repE0EEENS1_52radix_sort_onesweep_histogram_config_static_selectorELNS0_4arch9wavefront6targetE1EEEvSI_,comdat
.Lfunc_end1325:
	.size	_ZN7rocprim17ROCPRIM_400000_NS6detail17trampoline_kernelINS0_14default_configENS1_35radix_sort_onesweep_config_selectorItNS0_10empty_typeEEEZNS1_34radix_sort_onesweep_global_offsetsIS3_Lb0EN6thrust23THRUST_200600_302600_NS6detail15normal_iteratorINS9_10device_ptrItEEEEPS5_jNS0_19identity_decomposerEEE10hipError_tT1_T2_PT3_SK_jT4_jjP12ihipStream_tbEUlT_E0_NS1_11comp_targetILNS1_3genE3ELNS1_11target_archE908ELNS1_3gpuE7ELNS1_3repE0EEENS1_52radix_sort_onesweep_histogram_config_static_selectorELNS0_4arch9wavefront6targetE1EEEvSI_, .Lfunc_end1325-_ZN7rocprim17ROCPRIM_400000_NS6detail17trampoline_kernelINS0_14default_configENS1_35radix_sort_onesweep_config_selectorItNS0_10empty_typeEEEZNS1_34radix_sort_onesweep_global_offsetsIS3_Lb0EN6thrust23THRUST_200600_302600_NS6detail15normal_iteratorINS9_10device_ptrItEEEEPS5_jNS0_19identity_decomposerEEE10hipError_tT1_T2_PT3_SK_jT4_jjP12ihipStream_tbEUlT_E0_NS1_11comp_targetILNS1_3genE3ELNS1_11target_archE908ELNS1_3gpuE7ELNS1_3repE0EEENS1_52radix_sort_onesweep_histogram_config_static_selectorELNS0_4arch9wavefront6targetE1EEEvSI_
                                        ; -- End function
	.section	.AMDGPU.csdata,"",@progbits
; Kernel info:
; codeLenInByte = 0
; NumSgprs: 6
; NumVgprs: 0
; NumAgprs: 0
; TotalNumVgprs: 0
; ScratchSize: 0
; MemoryBound: 0
; FloatMode: 240
; IeeeMode: 1
; LDSByteSize: 0 bytes/workgroup (compile time only)
; SGPRBlocks: 0
; VGPRBlocks: 0
; NumSGPRsForWavesPerEU: 6
; NumVGPRsForWavesPerEU: 1
; AccumOffset: 4
; Occupancy: 8
; WaveLimiterHint : 0
; COMPUTE_PGM_RSRC2:SCRATCH_EN: 0
; COMPUTE_PGM_RSRC2:USER_SGPR: 2
; COMPUTE_PGM_RSRC2:TRAP_HANDLER: 0
; COMPUTE_PGM_RSRC2:TGID_X_EN: 1
; COMPUTE_PGM_RSRC2:TGID_Y_EN: 0
; COMPUTE_PGM_RSRC2:TGID_Z_EN: 0
; COMPUTE_PGM_RSRC2:TIDIG_COMP_CNT: 0
; COMPUTE_PGM_RSRC3_GFX90A:ACCUM_OFFSET: 0
; COMPUTE_PGM_RSRC3_GFX90A:TG_SPLIT: 0
	.section	.text._ZN7rocprim17ROCPRIM_400000_NS6detail17trampoline_kernelINS0_14default_configENS1_35radix_sort_onesweep_config_selectorItNS0_10empty_typeEEEZNS1_34radix_sort_onesweep_global_offsetsIS3_Lb0EN6thrust23THRUST_200600_302600_NS6detail15normal_iteratorINS9_10device_ptrItEEEEPS5_jNS0_19identity_decomposerEEE10hipError_tT1_T2_PT3_SK_jT4_jjP12ihipStream_tbEUlT_E0_NS1_11comp_targetILNS1_3genE10ELNS1_11target_archE1201ELNS1_3gpuE5ELNS1_3repE0EEENS1_52radix_sort_onesweep_histogram_config_static_selectorELNS0_4arch9wavefront6targetE1EEEvSI_,"axG",@progbits,_ZN7rocprim17ROCPRIM_400000_NS6detail17trampoline_kernelINS0_14default_configENS1_35radix_sort_onesweep_config_selectorItNS0_10empty_typeEEEZNS1_34radix_sort_onesweep_global_offsetsIS3_Lb0EN6thrust23THRUST_200600_302600_NS6detail15normal_iteratorINS9_10device_ptrItEEEEPS5_jNS0_19identity_decomposerEEE10hipError_tT1_T2_PT3_SK_jT4_jjP12ihipStream_tbEUlT_E0_NS1_11comp_targetILNS1_3genE10ELNS1_11target_archE1201ELNS1_3gpuE5ELNS1_3repE0EEENS1_52radix_sort_onesweep_histogram_config_static_selectorELNS0_4arch9wavefront6targetE1EEEvSI_,comdat
	.protected	_ZN7rocprim17ROCPRIM_400000_NS6detail17trampoline_kernelINS0_14default_configENS1_35radix_sort_onesweep_config_selectorItNS0_10empty_typeEEEZNS1_34radix_sort_onesweep_global_offsetsIS3_Lb0EN6thrust23THRUST_200600_302600_NS6detail15normal_iteratorINS9_10device_ptrItEEEEPS5_jNS0_19identity_decomposerEEE10hipError_tT1_T2_PT3_SK_jT4_jjP12ihipStream_tbEUlT_E0_NS1_11comp_targetILNS1_3genE10ELNS1_11target_archE1201ELNS1_3gpuE5ELNS1_3repE0EEENS1_52radix_sort_onesweep_histogram_config_static_selectorELNS0_4arch9wavefront6targetE1EEEvSI_ ; -- Begin function _ZN7rocprim17ROCPRIM_400000_NS6detail17trampoline_kernelINS0_14default_configENS1_35radix_sort_onesweep_config_selectorItNS0_10empty_typeEEEZNS1_34radix_sort_onesweep_global_offsetsIS3_Lb0EN6thrust23THRUST_200600_302600_NS6detail15normal_iteratorINS9_10device_ptrItEEEEPS5_jNS0_19identity_decomposerEEE10hipError_tT1_T2_PT3_SK_jT4_jjP12ihipStream_tbEUlT_E0_NS1_11comp_targetILNS1_3genE10ELNS1_11target_archE1201ELNS1_3gpuE5ELNS1_3repE0EEENS1_52radix_sort_onesweep_histogram_config_static_selectorELNS0_4arch9wavefront6targetE1EEEvSI_
	.globl	_ZN7rocprim17ROCPRIM_400000_NS6detail17trampoline_kernelINS0_14default_configENS1_35radix_sort_onesweep_config_selectorItNS0_10empty_typeEEEZNS1_34radix_sort_onesweep_global_offsetsIS3_Lb0EN6thrust23THRUST_200600_302600_NS6detail15normal_iteratorINS9_10device_ptrItEEEEPS5_jNS0_19identity_decomposerEEE10hipError_tT1_T2_PT3_SK_jT4_jjP12ihipStream_tbEUlT_E0_NS1_11comp_targetILNS1_3genE10ELNS1_11target_archE1201ELNS1_3gpuE5ELNS1_3repE0EEENS1_52radix_sort_onesweep_histogram_config_static_selectorELNS0_4arch9wavefront6targetE1EEEvSI_
	.p2align	8
	.type	_ZN7rocprim17ROCPRIM_400000_NS6detail17trampoline_kernelINS0_14default_configENS1_35radix_sort_onesweep_config_selectorItNS0_10empty_typeEEEZNS1_34radix_sort_onesweep_global_offsetsIS3_Lb0EN6thrust23THRUST_200600_302600_NS6detail15normal_iteratorINS9_10device_ptrItEEEEPS5_jNS0_19identity_decomposerEEE10hipError_tT1_T2_PT3_SK_jT4_jjP12ihipStream_tbEUlT_E0_NS1_11comp_targetILNS1_3genE10ELNS1_11target_archE1201ELNS1_3gpuE5ELNS1_3repE0EEENS1_52radix_sort_onesweep_histogram_config_static_selectorELNS0_4arch9wavefront6targetE1EEEvSI_,@function
_ZN7rocprim17ROCPRIM_400000_NS6detail17trampoline_kernelINS0_14default_configENS1_35radix_sort_onesweep_config_selectorItNS0_10empty_typeEEEZNS1_34radix_sort_onesweep_global_offsetsIS3_Lb0EN6thrust23THRUST_200600_302600_NS6detail15normal_iteratorINS9_10device_ptrItEEEEPS5_jNS0_19identity_decomposerEEE10hipError_tT1_T2_PT3_SK_jT4_jjP12ihipStream_tbEUlT_E0_NS1_11comp_targetILNS1_3genE10ELNS1_11target_archE1201ELNS1_3gpuE5ELNS1_3repE0EEENS1_52radix_sort_onesweep_histogram_config_static_selectorELNS0_4arch9wavefront6targetE1EEEvSI_: ; @_ZN7rocprim17ROCPRIM_400000_NS6detail17trampoline_kernelINS0_14default_configENS1_35radix_sort_onesweep_config_selectorItNS0_10empty_typeEEEZNS1_34radix_sort_onesweep_global_offsetsIS3_Lb0EN6thrust23THRUST_200600_302600_NS6detail15normal_iteratorINS9_10device_ptrItEEEEPS5_jNS0_19identity_decomposerEEE10hipError_tT1_T2_PT3_SK_jT4_jjP12ihipStream_tbEUlT_E0_NS1_11comp_targetILNS1_3genE10ELNS1_11target_archE1201ELNS1_3gpuE5ELNS1_3repE0EEENS1_52radix_sort_onesweep_histogram_config_static_selectorELNS0_4arch9wavefront6targetE1EEEvSI_
; %bb.0:
	.section	.rodata,"a",@progbits
	.p2align	6, 0x0
	.amdhsa_kernel _ZN7rocprim17ROCPRIM_400000_NS6detail17trampoline_kernelINS0_14default_configENS1_35radix_sort_onesweep_config_selectorItNS0_10empty_typeEEEZNS1_34radix_sort_onesweep_global_offsetsIS3_Lb0EN6thrust23THRUST_200600_302600_NS6detail15normal_iteratorINS9_10device_ptrItEEEEPS5_jNS0_19identity_decomposerEEE10hipError_tT1_T2_PT3_SK_jT4_jjP12ihipStream_tbEUlT_E0_NS1_11comp_targetILNS1_3genE10ELNS1_11target_archE1201ELNS1_3gpuE5ELNS1_3repE0EEENS1_52radix_sort_onesweep_histogram_config_static_selectorELNS0_4arch9wavefront6targetE1EEEvSI_
		.amdhsa_group_segment_fixed_size 0
		.amdhsa_private_segment_fixed_size 0
		.amdhsa_kernarg_size 8
		.amdhsa_user_sgpr_count 2
		.amdhsa_user_sgpr_dispatch_ptr 0
		.amdhsa_user_sgpr_queue_ptr 0
		.amdhsa_user_sgpr_kernarg_segment_ptr 1
		.amdhsa_user_sgpr_dispatch_id 0
		.amdhsa_user_sgpr_kernarg_preload_length 0
		.amdhsa_user_sgpr_kernarg_preload_offset 0
		.amdhsa_user_sgpr_private_segment_size 0
		.amdhsa_uses_dynamic_stack 0
		.amdhsa_enable_private_segment 0
		.amdhsa_system_sgpr_workgroup_id_x 1
		.amdhsa_system_sgpr_workgroup_id_y 0
		.amdhsa_system_sgpr_workgroup_id_z 0
		.amdhsa_system_sgpr_workgroup_info 0
		.amdhsa_system_vgpr_workitem_id 0
		.amdhsa_next_free_vgpr 1
		.amdhsa_next_free_sgpr 0
		.amdhsa_accum_offset 4
		.amdhsa_reserve_vcc 0
		.amdhsa_float_round_mode_32 0
		.amdhsa_float_round_mode_16_64 0
		.amdhsa_float_denorm_mode_32 3
		.amdhsa_float_denorm_mode_16_64 3
		.amdhsa_dx10_clamp 1
		.amdhsa_ieee_mode 1
		.amdhsa_fp16_overflow 0
		.amdhsa_tg_split 0
		.amdhsa_exception_fp_ieee_invalid_op 0
		.amdhsa_exception_fp_denorm_src 0
		.amdhsa_exception_fp_ieee_div_zero 0
		.amdhsa_exception_fp_ieee_overflow 0
		.amdhsa_exception_fp_ieee_underflow 0
		.amdhsa_exception_fp_ieee_inexact 0
		.amdhsa_exception_int_div_zero 0
	.end_amdhsa_kernel
	.section	.text._ZN7rocprim17ROCPRIM_400000_NS6detail17trampoline_kernelINS0_14default_configENS1_35radix_sort_onesweep_config_selectorItNS0_10empty_typeEEEZNS1_34radix_sort_onesweep_global_offsetsIS3_Lb0EN6thrust23THRUST_200600_302600_NS6detail15normal_iteratorINS9_10device_ptrItEEEEPS5_jNS0_19identity_decomposerEEE10hipError_tT1_T2_PT3_SK_jT4_jjP12ihipStream_tbEUlT_E0_NS1_11comp_targetILNS1_3genE10ELNS1_11target_archE1201ELNS1_3gpuE5ELNS1_3repE0EEENS1_52radix_sort_onesweep_histogram_config_static_selectorELNS0_4arch9wavefront6targetE1EEEvSI_,"axG",@progbits,_ZN7rocprim17ROCPRIM_400000_NS6detail17trampoline_kernelINS0_14default_configENS1_35radix_sort_onesweep_config_selectorItNS0_10empty_typeEEEZNS1_34radix_sort_onesweep_global_offsetsIS3_Lb0EN6thrust23THRUST_200600_302600_NS6detail15normal_iteratorINS9_10device_ptrItEEEEPS5_jNS0_19identity_decomposerEEE10hipError_tT1_T2_PT3_SK_jT4_jjP12ihipStream_tbEUlT_E0_NS1_11comp_targetILNS1_3genE10ELNS1_11target_archE1201ELNS1_3gpuE5ELNS1_3repE0EEENS1_52radix_sort_onesweep_histogram_config_static_selectorELNS0_4arch9wavefront6targetE1EEEvSI_,comdat
.Lfunc_end1326:
	.size	_ZN7rocprim17ROCPRIM_400000_NS6detail17trampoline_kernelINS0_14default_configENS1_35radix_sort_onesweep_config_selectorItNS0_10empty_typeEEEZNS1_34radix_sort_onesweep_global_offsetsIS3_Lb0EN6thrust23THRUST_200600_302600_NS6detail15normal_iteratorINS9_10device_ptrItEEEEPS5_jNS0_19identity_decomposerEEE10hipError_tT1_T2_PT3_SK_jT4_jjP12ihipStream_tbEUlT_E0_NS1_11comp_targetILNS1_3genE10ELNS1_11target_archE1201ELNS1_3gpuE5ELNS1_3repE0EEENS1_52radix_sort_onesweep_histogram_config_static_selectorELNS0_4arch9wavefront6targetE1EEEvSI_, .Lfunc_end1326-_ZN7rocprim17ROCPRIM_400000_NS6detail17trampoline_kernelINS0_14default_configENS1_35radix_sort_onesweep_config_selectorItNS0_10empty_typeEEEZNS1_34radix_sort_onesweep_global_offsetsIS3_Lb0EN6thrust23THRUST_200600_302600_NS6detail15normal_iteratorINS9_10device_ptrItEEEEPS5_jNS0_19identity_decomposerEEE10hipError_tT1_T2_PT3_SK_jT4_jjP12ihipStream_tbEUlT_E0_NS1_11comp_targetILNS1_3genE10ELNS1_11target_archE1201ELNS1_3gpuE5ELNS1_3repE0EEENS1_52radix_sort_onesweep_histogram_config_static_selectorELNS0_4arch9wavefront6targetE1EEEvSI_
                                        ; -- End function
	.section	.AMDGPU.csdata,"",@progbits
; Kernel info:
; codeLenInByte = 0
; NumSgprs: 6
; NumVgprs: 0
; NumAgprs: 0
; TotalNumVgprs: 0
; ScratchSize: 0
; MemoryBound: 0
; FloatMode: 240
; IeeeMode: 1
; LDSByteSize: 0 bytes/workgroup (compile time only)
; SGPRBlocks: 0
; VGPRBlocks: 0
; NumSGPRsForWavesPerEU: 6
; NumVGPRsForWavesPerEU: 1
; AccumOffset: 4
; Occupancy: 8
; WaveLimiterHint : 0
; COMPUTE_PGM_RSRC2:SCRATCH_EN: 0
; COMPUTE_PGM_RSRC2:USER_SGPR: 2
; COMPUTE_PGM_RSRC2:TRAP_HANDLER: 0
; COMPUTE_PGM_RSRC2:TGID_X_EN: 1
; COMPUTE_PGM_RSRC2:TGID_Y_EN: 0
; COMPUTE_PGM_RSRC2:TGID_Z_EN: 0
; COMPUTE_PGM_RSRC2:TIDIG_COMP_CNT: 0
; COMPUTE_PGM_RSRC3_GFX90A:ACCUM_OFFSET: 0
; COMPUTE_PGM_RSRC3_GFX90A:TG_SPLIT: 0
	.section	.text._ZN7rocprim17ROCPRIM_400000_NS6detail17trampoline_kernelINS0_14default_configENS1_35radix_sort_onesweep_config_selectorItNS0_10empty_typeEEEZNS1_34radix_sort_onesweep_global_offsetsIS3_Lb0EN6thrust23THRUST_200600_302600_NS6detail15normal_iteratorINS9_10device_ptrItEEEEPS5_jNS0_19identity_decomposerEEE10hipError_tT1_T2_PT3_SK_jT4_jjP12ihipStream_tbEUlT_E0_NS1_11comp_targetILNS1_3genE9ELNS1_11target_archE1100ELNS1_3gpuE3ELNS1_3repE0EEENS1_52radix_sort_onesweep_histogram_config_static_selectorELNS0_4arch9wavefront6targetE1EEEvSI_,"axG",@progbits,_ZN7rocprim17ROCPRIM_400000_NS6detail17trampoline_kernelINS0_14default_configENS1_35radix_sort_onesweep_config_selectorItNS0_10empty_typeEEEZNS1_34radix_sort_onesweep_global_offsetsIS3_Lb0EN6thrust23THRUST_200600_302600_NS6detail15normal_iteratorINS9_10device_ptrItEEEEPS5_jNS0_19identity_decomposerEEE10hipError_tT1_T2_PT3_SK_jT4_jjP12ihipStream_tbEUlT_E0_NS1_11comp_targetILNS1_3genE9ELNS1_11target_archE1100ELNS1_3gpuE3ELNS1_3repE0EEENS1_52radix_sort_onesweep_histogram_config_static_selectorELNS0_4arch9wavefront6targetE1EEEvSI_,comdat
	.protected	_ZN7rocprim17ROCPRIM_400000_NS6detail17trampoline_kernelINS0_14default_configENS1_35radix_sort_onesweep_config_selectorItNS0_10empty_typeEEEZNS1_34radix_sort_onesweep_global_offsetsIS3_Lb0EN6thrust23THRUST_200600_302600_NS6detail15normal_iteratorINS9_10device_ptrItEEEEPS5_jNS0_19identity_decomposerEEE10hipError_tT1_T2_PT3_SK_jT4_jjP12ihipStream_tbEUlT_E0_NS1_11comp_targetILNS1_3genE9ELNS1_11target_archE1100ELNS1_3gpuE3ELNS1_3repE0EEENS1_52radix_sort_onesweep_histogram_config_static_selectorELNS0_4arch9wavefront6targetE1EEEvSI_ ; -- Begin function _ZN7rocprim17ROCPRIM_400000_NS6detail17trampoline_kernelINS0_14default_configENS1_35radix_sort_onesweep_config_selectorItNS0_10empty_typeEEEZNS1_34radix_sort_onesweep_global_offsetsIS3_Lb0EN6thrust23THRUST_200600_302600_NS6detail15normal_iteratorINS9_10device_ptrItEEEEPS5_jNS0_19identity_decomposerEEE10hipError_tT1_T2_PT3_SK_jT4_jjP12ihipStream_tbEUlT_E0_NS1_11comp_targetILNS1_3genE9ELNS1_11target_archE1100ELNS1_3gpuE3ELNS1_3repE0EEENS1_52radix_sort_onesweep_histogram_config_static_selectorELNS0_4arch9wavefront6targetE1EEEvSI_
	.globl	_ZN7rocprim17ROCPRIM_400000_NS6detail17trampoline_kernelINS0_14default_configENS1_35radix_sort_onesweep_config_selectorItNS0_10empty_typeEEEZNS1_34radix_sort_onesweep_global_offsetsIS3_Lb0EN6thrust23THRUST_200600_302600_NS6detail15normal_iteratorINS9_10device_ptrItEEEEPS5_jNS0_19identity_decomposerEEE10hipError_tT1_T2_PT3_SK_jT4_jjP12ihipStream_tbEUlT_E0_NS1_11comp_targetILNS1_3genE9ELNS1_11target_archE1100ELNS1_3gpuE3ELNS1_3repE0EEENS1_52radix_sort_onesweep_histogram_config_static_selectorELNS0_4arch9wavefront6targetE1EEEvSI_
	.p2align	8
	.type	_ZN7rocprim17ROCPRIM_400000_NS6detail17trampoline_kernelINS0_14default_configENS1_35radix_sort_onesweep_config_selectorItNS0_10empty_typeEEEZNS1_34radix_sort_onesweep_global_offsetsIS3_Lb0EN6thrust23THRUST_200600_302600_NS6detail15normal_iteratorINS9_10device_ptrItEEEEPS5_jNS0_19identity_decomposerEEE10hipError_tT1_T2_PT3_SK_jT4_jjP12ihipStream_tbEUlT_E0_NS1_11comp_targetILNS1_3genE9ELNS1_11target_archE1100ELNS1_3gpuE3ELNS1_3repE0EEENS1_52radix_sort_onesweep_histogram_config_static_selectorELNS0_4arch9wavefront6targetE1EEEvSI_,@function
_ZN7rocprim17ROCPRIM_400000_NS6detail17trampoline_kernelINS0_14default_configENS1_35radix_sort_onesweep_config_selectorItNS0_10empty_typeEEEZNS1_34radix_sort_onesweep_global_offsetsIS3_Lb0EN6thrust23THRUST_200600_302600_NS6detail15normal_iteratorINS9_10device_ptrItEEEEPS5_jNS0_19identity_decomposerEEE10hipError_tT1_T2_PT3_SK_jT4_jjP12ihipStream_tbEUlT_E0_NS1_11comp_targetILNS1_3genE9ELNS1_11target_archE1100ELNS1_3gpuE3ELNS1_3repE0EEENS1_52radix_sort_onesweep_histogram_config_static_selectorELNS0_4arch9wavefront6targetE1EEEvSI_: ; @_ZN7rocprim17ROCPRIM_400000_NS6detail17trampoline_kernelINS0_14default_configENS1_35radix_sort_onesweep_config_selectorItNS0_10empty_typeEEEZNS1_34radix_sort_onesweep_global_offsetsIS3_Lb0EN6thrust23THRUST_200600_302600_NS6detail15normal_iteratorINS9_10device_ptrItEEEEPS5_jNS0_19identity_decomposerEEE10hipError_tT1_T2_PT3_SK_jT4_jjP12ihipStream_tbEUlT_E0_NS1_11comp_targetILNS1_3genE9ELNS1_11target_archE1100ELNS1_3gpuE3ELNS1_3repE0EEENS1_52radix_sort_onesweep_histogram_config_static_selectorELNS0_4arch9wavefront6targetE1EEEvSI_
; %bb.0:
	.section	.rodata,"a",@progbits
	.p2align	6, 0x0
	.amdhsa_kernel _ZN7rocprim17ROCPRIM_400000_NS6detail17trampoline_kernelINS0_14default_configENS1_35radix_sort_onesweep_config_selectorItNS0_10empty_typeEEEZNS1_34radix_sort_onesweep_global_offsetsIS3_Lb0EN6thrust23THRUST_200600_302600_NS6detail15normal_iteratorINS9_10device_ptrItEEEEPS5_jNS0_19identity_decomposerEEE10hipError_tT1_T2_PT3_SK_jT4_jjP12ihipStream_tbEUlT_E0_NS1_11comp_targetILNS1_3genE9ELNS1_11target_archE1100ELNS1_3gpuE3ELNS1_3repE0EEENS1_52radix_sort_onesweep_histogram_config_static_selectorELNS0_4arch9wavefront6targetE1EEEvSI_
		.amdhsa_group_segment_fixed_size 0
		.amdhsa_private_segment_fixed_size 0
		.amdhsa_kernarg_size 8
		.amdhsa_user_sgpr_count 2
		.amdhsa_user_sgpr_dispatch_ptr 0
		.amdhsa_user_sgpr_queue_ptr 0
		.amdhsa_user_sgpr_kernarg_segment_ptr 1
		.amdhsa_user_sgpr_dispatch_id 0
		.amdhsa_user_sgpr_kernarg_preload_length 0
		.amdhsa_user_sgpr_kernarg_preload_offset 0
		.amdhsa_user_sgpr_private_segment_size 0
		.amdhsa_uses_dynamic_stack 0
		.amdhsa_enable_private_segment 0
		.amdhsa_system_sgpr_workgroup_id_x 1
		.amdhsa_system_sgpr_workgroup_id_y 0
		.amdhsa_system_sgpr_workgroup_id_z 0
		.amdhsa_system_sgpr_workgroup_info 0
		.amdhsa_system_vgpr_workitem_id 0
		.amdhsa_next_free_vgpr 1
		.amdhsa_next_free_sgpr 0
		.amdhsa_accum_offset 4
		.amdhsa_reserve_vcc 0
		.amdhsa_float_round_mode_32 0
		.amdhsa_float_round_mode_16_64 0
		.amdhsa_float_denorm_mode_32 3
		.amdhsa_float_denorm_mode_16_64 3
		.amdhsa_dx10_clamp 1
		.amdhsa_ieee_mode 1
		.amdhsa_fp16_overflow 0
		.amdhsa_tg_split 0
		.amdhsa_exception_fp_ieee_invalid_op 0
		.amdhsa_exception_fp_denorm_src 0
		.amdhsa_exception_fp_ieee_div_zero 0
		.amdhsa_exception_fp_ieee_overflow 0
		.amdhsa_exception_fp_ieee_underflow 0
		.amdhsa_exception_fp_ieee_inexact 0
		.amdhsa_exception_int_div_zero 0
	.end_amdhsa_kernel
	.section	.text._ZN7rocprim17ROCPRIM_400000_NS6detail17trampoline_kernelINS0_14default_configENS1_35radix_sort_onesweep_config_selectorItNS0_10empty_typeEEEZNS1_34radix_sort_onesweep_global_offsetsIS3_Lb0EN6thrust23THRUST_200600_302600_NS6detail15normal_iteratorINS9_10device_ptrItEEEEPS5_jNS0_19identity_decomposerEEE10hipError_tT1_T2_PT3_SK_jT4_jjP12ihipStream_tbEUlT_E0_NS1_11comp_targetILNS1_3genE9ELNS1_11target_archE1100ELNS1_3gpuE3ELNS1_3repE0EEENS1_52radix_sort_onesweep_histogram_config_static_selectorELNS0_4arch9wavefront6targetE1EEEvSI_,"axG",@progbits,_ZN7rocprim17ROCPRIM_400000_NS6detail17trampoline_kernelINS0_14default_configENS1_35radix_sort_onesweep_config_selectorItNS0_10empty_typeEEEZNS1_34radix_sort_onesweep_global_offsetsIS3_Lb0EN6thrust23THRUST_200600_302600_NS6detail15normal_iteratorINS9_10device_ptrItEEEEPS5_jNS0_19identity_decomposerEEE10hipError_tT1_T2_PT3_SK_jT4_jjP12ihipStream_tbEUlT_E0_NS1_11comp_targetILNS1_3genE9ELNS1_11target_archE1100ELNS1_3gpuE3ELNS1_3repE0EEENS1_52radix_sort_onesweep_histogram_config_static_selectorELNS0_4arch9wavefront6targetE1EEEvSI_,comdat
.Lfunc_end1327:
	.size	_ZN7rocprim17ROCPRIM_400000_NS6detail17trampoline_kernelINS0_14default_configENS1_35radix_sort_onesweep_config_selectorItNS0_10empty_typeEEEZNS1_34radix_sort_onesweep_global_offsetsIS3_Lb0EN6thrust23THRUST_200600_302600_NS6detail15normal_iteratorINS9_10device_ptrItEEEEPS5_jNS0_19identity_decomposerEEE10hipError_tT1_T2_PT3_SK_jT4_jjP12ihipStream_tbEUlT_E0_NS1_11comp_targetILNS1_3genE9ELNS1_11target_archE1100ELNS1_3gpuE3ELNS1_3repE0EEENS1_52radix_sort_onesweep_histogram_config_static_selectorELNS0_4arch9wavefront6targetE1EEEvSI_, .Lfunc_end1327-_ZN7rocprim17ROCPRIM_400000_NS6detail17trampoline_kernelINS0_14default_configENS1_35radix_sort_onesweep_config_selectorItNS0_10empty_typeEEEZNS1_34radix_sort_onesweep_global_offsetsIS3_Lb0EN6thrust23THRUST_200600_302600_NS6detail15normal_iteratorINS9_10device_ptrItEEEEPS5_jNS0_19identity_decomposerEEE10hipError_tT1_T2_PT3_SK_jT4_jjP12ihipStream_tbEUlT_E0_NS1_11comp_targetILNS1_3genE9ELNS1_11target_archE1100ELNS1_3gpuE3ELNS1_3repE0EEENS1_52radix_sort_onesweep_histogram_config_static_selectorELNS0_4arch9wavefront6targetE1EEEvSI_
                                        ; -- End function
	.section	.AMDGPU.csdata,"",@progbits
; Kernel info:
; codeLenInByte = 0
; NumSgprs: 6
; NumVgprs: 0
; NumAgprs: 0
; TotalNumVgprs: 0
; ScratchSize: 0
; MemoryBound: 0
; FloatMode: 240
; IeeeMode: 1
; LDSByteSize: 0 bytes/workgroup (compile time only)
; SGPRBlocks: 0
; VGPRBlocks: 0
; NumSGPRsForWavesPerEU: 6
; NumVGPRsForWavesPerEU: 1
; AccumOffset: 4
; Occupancy: 8
; WaveLimiterHint : 0
; COMPUTE_PGM_RSRC2:SCRATCH_EN: 0
; COMPUTE_PGM_RSRC2:USER_SGPR: 2
; COMPUTE_PGM_RSRC2:TRAP_HANDLER: 0
; COMPUTE_PGM_RSRC2:TGID_X_EN: 1
; COMPUTE_PGM_RSRC2:TGID_Y_EN: 0
; COMPUTE_PGM_RSRC2:TGID_Z_EN: 0
; COMPUTE_PGM_RSRC2:TIDIG_COMP_CNT: 0
; COMPUTE_PGM_RSRC3_GFX90A:ACCUM_OFFSET: 0
; COMPUTE_PGM_RSRC3_GFX90A:TG_SPLIT: 0
	.section	.text._ZN7rocprim17ROCPRIM_400000_NS6detail17trampoline_kernelINS0_14default_configENS1_35radix_sort_onesweep_config_selectorItNS0_10empty_typeEEEZNS1_34radix_sort_onesweep_global_offsetsIS3_Lb0EN6thrust23THRUST_200600_302600_NS6detail15normal_iteratorINS9_10device_ptrItEEEEPS5_jNS0_19identity_decomposerEEE10hipError_tT1_T2_PT3_SK_jT4_jjP12ihipStream_tbEUlT_E0_NS1_11comp_targetILNS1_3genE8ELNS1_11target_archE1030ELNS1_3gpuE2ELNS1_3repE0EEENS1_52radix_sort_onesweep_histogram_config_static_selectorELNS0_4arch9wavefront6targetE1EEEvSI_,"axG",@progbits,_ZN7rocprim17ROCPRIM_400000_NS6detail17trampoline_kernelINS0_14default_configENS1_35radix_sort_onesweep_config_selectorItNS0_10empty_typeEEEZNS1_34radix_sort_onesweep_global_offsetsIS3_Lb0EN6thrust23THRUST_200600_302600_NS6detail15normal_iteratorINS9_10device_ptrItEEEEPS5_jNS0_19identity_decomposerEEE10hipError_tT1_T2_PT3_SK_jT4_jjP12ihipStream_tbEUlT_E0_NS1_11comp_targetILNS1_3genE8ELNS1_11target_archE1030ELNS1_3gpuE2ELNS1_3repE0EEENS1_52radix_sort_onesweep_histogram_config_static_selectorELNS0_4arch9wavefront6targetE1EEEvSI_,comdat
	.protected	_ZN7rocprim17ROCPRIM_400000_NS6detail17trampoline_kernelINS0_14default_configENS1_35radix_sort_onesweep_config_selectorItNS0_10empty_typeEEEZNS1_34radix_sort_onesweep_global_offsetsIS3_Lb0EN6thrust23THRUST_200600_302600_NS6detail15normal_iteratorINS9_10device_ptrItEEEEPS5_jNS0_19identity_decomposerEEE10hipError_tT1_T2_PT3_SK_jT4_jjP12ihipStream_tbEUlT_E0_NS1_11comp_targetILNS1_3genE8ELNS1_11target_archE1030ELNS1_3gpuE2ELNS1_3repE0EEENS1_52radix_sort_onesweep_histogram_config_static_selectorELNS0_4arch9wavefront6targetE1EEEvSI_ ; -- Begin function _ZN7rocprim17ROCPRIM_400000_NS6detail17trampoline_kernelINS0_14default_configENS1_35radix_sort_onesweep_config_selectorItNS0_10empty_typeEEEZNS1_34radix_sort_onesweep_global_offsetsIS3_Lb0EN6thrust23THRUST_200600_302600_NS6detail15normal_iteratorINS9_10device_ptrItEEEEPS5_jNS0_19identity_decomposerEEE10hipError_tT1_T2_PT3_SK_jT4_jjP12ihipStream_tbEUlT_E0_NS1_11comp_targetILNS1_3genE8ELNS1_11target_archE1030ELNS1_3gpuE2ELNS1_3repE0EEENS1_52radix_sort_onesweep_histogram_config_static_selectorELNS0_4arch9wavefront6targetE1EEEvSI_
	.globl	_ZN7rocprim17ROCPRIM_400000_NS6detail17trampoline_kernelINS0_14default_configENS1_35radix_sort_onesweep_config_selectorItNS0_10empty_typeEEEZNS1_34radix_sort_onesweep_global_offsetsIS3_Lb0EN6thrust23THRUST_200600_302600_NS6detail15normal_iteratorINS9_10device_ptrItEEEEPS5_jNS0_19identity_decomposerEEE10hipError_tT1_T2_PT3_SK_jT4_jjP12ihipStream_tbEUlT_E0_NS1_11comp_targetILNS1_3genE8ELNS1_11target_archE1030ELNS1_3gpuE2ELNS1_3repE0EEENS1_52radix_sort_onesweep_histogram_config_static_selectorELNS0_4arch9wavefront6targetE1EEEvSI_
	.p2align	8
	.type	_ZN7rocprim17ROCPRIM_400000_NS6detail17trampoline_kernelINS0_14default_configENS1_35radix_sort_onesweep_config_selectorItNS0_10empty_typeEEEZNS1_34radix_sort_onesweep_global_offsetsIS3_Lb0EN6thrust23THRUST_200600_302600_NS6detail15normal_iteratorINS9_10device_ptrItEEEEPS5_jNS0_19identity_decomposerEEE10hipError_tT1_T2_PT3_SK_jT4_jjP12ihipStream_tbEUlT_E0_NS1_11comp_targetILNS1_3genE8ELNS1_11target_archE1030ELNS1_3gpuE2ELNS1_3repE0EEENS1_52radix_sort_onesweep_histogram_config_static_selectorELNS0_4arch9wavefront6targetE1EEEvSI_,@function
_ZN7rocprim17ROCPRIM_400000_NS6detail17trampoline_kernelINS0_14default_configENS1_35radix_sort_onesweep_config_selectorItNS0_10empty_typeEEEZNS1_34radix_sort_onesweep_global_offsetsIS3_Lb0EN6thrust23THRUST_200600_302600_NS6detail15normal_iteratorINS9_10device_ptrItEEEEPS5_jNS0_19identity_decomposerEEE10hipError_tT1_T2_PT3_SK_jT4_jjP12ihipStream_tbEUlT_E0_NS1_11comp_targetILNS1_3genE8ELNS1_11target_archE1030ELNS1_3gpuE2ELNS1_3repE0EEENS1_52radix_sort_onesweep_histogram_config_static_selectorELNS0_4arch9wavefront6targetE1EEEvSI_: ; @_ZN7rocprim17ROCPRIM_400000_NS6detail17trampoline_kernelINS0_14default_configENS1_35radix_sort_onesweep_config_selectorItNS0_10empty_typeEEEZNS1_34radix_sort_onesweep_global_offsetsIS3_Lb0EN6thrust23THRUST_200600_302600_NS6detail15normal_iteratorINS9_10device_ptrItEEEEPS5_jNS0_19identity_decomposerEEE10hipError_tT1_T2_PT3_SK_jT4_jjP12ihipStream_tbEUlT_E0_NS1_11comp_targetILNS1_3genE8ELNS1_11target_archE1030ELNS1_3gpuE2ELNS1_3repE0EEENS1_52radix_sort_onesweep_histogram_config_static_selectorELNS0_4arch9wavefront6targetE1EEEvSI_
; %bb.0:
	.section	.rodata,"a",@progbits
	.p2align	6, 0x0
	.amdhsa_kernel _ZN7rocprim17ROCPRIM_400000_NS6detail17trampoline_kernelINS0_14default_configENS1_35radix_sort_onesweep_config_selectorItNS0_10empty_typeEEEZNS1_34radix_sort_onesweep_global_offsetsIS3_Lb0EN6thrust23THRUST_200600_302600_NS6detail15normal_iteratorINS9_10device_ptrItEEEEPS5_jNS0_19identity_decomposerEEE10hipError_tT1_T2_PT3_SK_jT4_jjP12ihipStream_tbEUlT_E0_NS1_11comp_targetILNS1_3genE8ELNS1_11target_archE1030ELNS1_3gpuE2ELNS1_3repE0EEENS1_52radix_sort_onesweep_histogram_config_static_selectorELNS0_4arch9wavefront6targetE1EEEvSI_
		.amdhsa_group_segment_fixed_size 0
		.amdhsa_private_segment_fixed_size 0
		.amdhsa_kernarg_size 8
		.amdhsa_user_sgpr_count 2
		.amdhsa_user_sgpr_dispatch_ptr 0
		.amdhsa_user_sgpr_queue_ptr 0
		.amdhsa_user_sgpr_kernarg_segment_ptr 1
		.amdhsa_user_sgpr_dispatch_id 0
		.amdhsa_user_sgpr_kernarg_preload_length 0
		.amdhsa_user_sgpr_kernarg_preload_offset 0
		.amdhsa_user_sgpr_private_segment_size 0
		.amdhsa_uses_dynamic_stack 0
		.amdhsa_enable_private_segment 0
		.amdhsa_system_sgpr_workgroup_id_x 1
		.amdhsa_system_sgpr_workgroup_id_y 0
		.amdhsa_system_sgpr_workgroup_id_z 0
		.amdhsa_system_sgpr_workgroup_info 0
		.amdhsa_system_vgpr_workitem_id 0
		.amdhsa_next_free_vgpr 1
		.amdhsa_next_free_sgpr 0
		.amdhsa_accum_offset 4
		.amdhsa_reserve_vcc 0
		.amdhsa_float_round_mode_32 0
		.amdhsa_float_round_mode_16_64 0
		.amdhsa_float_denorm_mode_32 3
		.amdhsa_float_denorm_mode_16_64 3
		.amdhsa_dx10_clamp 1
		.amdhsa_ieee_mode 1
		.amdhsa_fp16_overflow 0
		.amdhsa_tg_split 0
		.amdhsa_exception_fp_ieee_invalid_op 0
		.amdhsa_exception_fp_denorm_src 0
		.amdhsa_exception_fp_ieee_div_zero 0
		.amdhsa_exception_fp_ieee_overflow 0
		.amdhsa_exception_fp_ieee_underflow 0
		.amdhsa_exception_fp_ieee_inexact 0
		.amdhsa_exception_int_div_zero 0
	.end_amdhsa_kernel
	.section	.text._ZN7rocprim17ROCPRIM_400000_NS6detail17trampoline_kernelINS0_14default_configENS1_35radix_sort_onesweep_config_selectorItNS0_10empty_typeEEEZNS1_34radix_sort_onesweep_global_offsetsIS3_Lb0EN6thrust23THRUST_200600_302600_NS6detail15normal_iteratorINS9_10device_ptrItEEEEPS5_jNS0_19identity_decomposerEEE10hipError_tT1_T2_PT3_SK_jT4_jjP12ihipStream_tbEUlT_E0_NS1_11comp_targetILNS1_3genE8ELNS1_11target_archE1030ELNS1_3gpuE2ELNS1_3repE0EEENS1_52radix_sort_onesweep_histogram_config_static_selectorELNS0_4arch9wavefront6targetE1EEEvSI_,"axG",@progbits,_ZN7rocprim17ROCPRIM_400000_NS6detail17trampoline_kernelINS0_14default_configENS1_35radix_sort_onesweep_config_selectorItNS0_10empty_typeEEEZNS1_34radix_sort_onesweep_global_offsetsIS3_Lb0EN6thrust23THRUST_200600_302600_NS6detail15normal_iteratorINS9_10device_ptrItEEEEPS5_jNS0_19identity_decomposerEEE10hipError_tT1_T2_PT3_SK_jT4_jjP12ihipStream_tbEUlT_E0_NS1_11comp_targetILNS1_3genE8ELNS1_11target_archE1030ELNS1_3gpuE2ELNS1_3repE0EEENS1_52radix_sort_onesweep_histogram_config_static_selectorELNS0_4arch9wavefront6targetE1EEEvSI_,comdat
.Lfunc_end1328:
	.size	_ZN7rocprim17ROCPRIM_400000_NS6detail17trampoline_kernelINS0_14default_configENS1_35radix_sort_onesweep_config_selectorItNS0_10empty_typeEEEZNS1_34radix_sort_onesweep_global_offsetsIS3_Lb0EN6thrust23THRUST_200600_302600_NS6detail15normal_iteratorINS9_10device_ptrItEEEEPS5_jNS0_19identity_decomposerEEE10hipError_tT1_T2_PT3_SK_jT4_jjP12ihipStream_tbEUlT_E0_NS1_11comp_targetILNS1_3genE8ELNS1_11target_archE1030ELNS1_3gpuE2ELNS1_3repE0EEENS1_52radix_sort_onesweep_histogram_config_static_selectorELNS0_4arch9wavefront6targetE1EEEvSI_, .Lfunc_end1328-_ZN7rocprim17ROCPRIM_400000_NS6detail17trampoline_kernelINS0_14default_configENS1_35radix_sort_onesweep_config_selectorItNS0_10empty_typeEEEZNS1_34radix_sort_onesweep_global_offsetsIS3_Lb0EN6thrust23THRUST_200600_302600_NS6detail15normal_iteratorINS9_10device_ptrItEEEEPS5_jNS0_19identity_decomposerEEE10hipError_tT1_T2_PT3_SK_jT4_jjP12ihipStream_tbEUlT_E0_NS1_11comp_targetILNS1_3genE8ELNS1_11target_archE1030ELNS1_3gpuE2ELNS1_3repE0EEENS1_52radix_sort_onesweep_histogram_config_static_selectorELNS0_4arch9wavefront6targetE1EEEvSI_
                                        ; -- End function
	.section	.AMDGPU.csdata,"",@progbits
; Kernel info:
; codeLenInByte = 0
; NumSgprs: 6
; NumVgprs: 0
; NumAgprs: 0
; TotalNumVgprs: 0
; ScratchSize: 0
; MemoryBound: 0
; FloatMode: 240
; IeeeMode: 1
; LDSByteSize: 0 bytes/workgroup (compile time only)
; SGPRBlocks: 0
; VGPRBlocks: 0
; NumSGPRsForWavesPerEU: 6
; NumVGPRsForWavesPerEU: 1
; AccumOffset: 4
; Occupancy: 8
; WaveLimiterHint : 0
; COMPUTE_PGM_RSRC2:SCRATCH_EN: 0
; COMPUTE_PGM_RSRC2:USER_SGPR: 2
; COMPUTE_PGM_RSRC2:TRAP_HANDLER: 0
; COMPUTE_PGM_RSRC2:TGID_X_EN: 1
; COMPUTE_PGM_RSRC2:TGID_Y_EN: 0
; COMPUTE_PGM_RSRC2:TGID_Z_EN: 0
; COMPUTE_PGM_RSRC2:TIDIG_COMP_CNT: 0
; COMPUTE_PGM_RSRC3_GFX90A:ACCUM_OFFSET: 0
; COMPUTE_PGM_RSRC3_GFX90A:TG_SPLIT: 0
	.section	.text._ZN7rocprim17ROCPRIM_400000_NS6detail17trampoline_kernelINS0_14default_configENS1_25transform_config_selectorItLb0EEEZNS1_14transform_implILb0ES3_S5_N6thrust23THRUST_200600_302600_NS6detail15normal_iteratorINS8_10device_ptrItEEEEPtNS0_8identityItEEEE10hipError_tT2_T3_mT4_P12ihipStream_tbEUlT_E_NS1_11comp_targetILNS1_3genE0ELNS1_11target_archE4294967295ELNS1_3gpuE0ELNS1_3repE0EEENS1_30default_config_static_selectorELNS0_4arch9wavefront6targetE1EEEvT1_,"axG",@progbits,_ZN7rocprim17ROCPRIM_400000_NS6detail17trampoline_kernelINS0_14default_configENS1_25transform_config_selectorItLb0EEEZNS1_14transform_implILb0ES3_S5_N6thrust23THRUST_200600_302600_NS6detail15normal_iteratorINS8_10device_ptrItEEEEPtNS0_8identityItEEEE10hipError_tT2_T3_mT4_P12ihipStream_tbEUlT_E_NS1_11comp_targetILNS1_3genE0ELNS1_11target_archE4294967295ELNS1_3gpuE0ELNS1_3repE0EEENS1_30default_config_static_selectorELNS0_4arch9wavefront6targetE1EEEvT1_,comdat
	.protected	_ZN7rocprim17ROCPRIM_400000_NS6detail17trampoline_kernelINS0_14default_configENS1_25transform_config_selectorItLb0EEEZNS1_14transform_implILb0ES3_S5_N6thrust23THRUST_200600_302600_NS6detail15normal_iteratorINS8_10device_ptrItEEEEPtNS0_8identityItEEEE10hipError_tT2_T3_mT4_P12ihipStream_tbEUlT_E_NS1_11comp_targetILNS1_3genE0ELNS1_11target_archE4294967295ELNS1_3gpuE0ELNS1_3repE0EEENS1_30default_config_static_selectorELNS0_4arch9wavefront6targetE1EEEvT1_ ; -- Begin function _ZN7rocprim17ROCPRIM_400000_NS6detail17trampoline_kernelINS0_14default_configENS1_25transform_config_selectorItLb0EEEZNS1_14transform_implILb0ES3_S5_N6thrust23THRUST_200600_302600_NS6detail15normal_iteratorINS8_10device_ptrItEEEEPtNS0_8identityItEEEE10hipError_tT2_T3_mT4_P12ihipStream_tbEUlT_E_NS1_11comp_targetILNS1_3genE0ELNS1_11target_archE4294967295ELNS1_3gpuE0ELNS1_3repE0EEENS1_30default_config_static_selectorELNS0_4arch9wavefront6targetE1EEEvT1_
	.globl	_ZN7rocprim17ROCPRIM_400000_NS6detail17trampoline_kernelINS0_14default_configENS1_25transform_config_selectorItLb0EEEZNS1_14transform_implILb0ES3_S5_N6thrust23THRUST_200600_302600_NS6detail15normal_iteratorINS8_10device_ptrItEEEEPtNS0_8identityItEEEE10hipError_tT2_T3_mT4_P12ihipStream_tbEUlT_E_NS1_11comp_targetILNS1_3genE0ELNS1_11target_archE4294967295ELNS1_3gpuE0ELNS1_3repE0EEENS1_30default_config_static_selectorELNS0_4arch9wavefront6targetE1EEEvT1_
	.p2align	8
	.type	_ZN7rocprim17ROCPRIM_400000_NS6detail17trampoline_kernelINS0_14default_configENS1_25transform_config_selectorItLb0EEEZNS1_14transform_implILb0ES3_S5_N6thrust23THRUST_200600_302600_NS6detail15normal_iteratorINS8_10device_ptrItEEEEPtNS0_8identityItEEEE10hipError_tT2_T3_mT4_P12ihipStream_tbEUlT_E_NS1_11comp_targetILNS1_3genE0ELNS1_11target_archE4294967295ELNS1_3gpuE0ELNS1_3repE0EEENS1_30default_config_static_selectorELNS0_4arch9wavefront6targetE1EEEvT1_,@function
_ZN7rocprim17ROCPRIM_400000_NS6detail17trampoline_kernelINS0_14default_configENS1_25transform_config_selectorItLb0EEEZNS1_14transform_implILb0ES3_S5_N6thrust23THRUST_200600_302600_NS6detail15normal_iteratorINS8_10device_ptrItEEEEPtNS0_8identityItEEEE10hipError_tT2_T3_mT4_P12ihipStream_tbEUlT_E_NS1_11comp_targetILNS1_3genE0ELNS1_11target_archE4294967295ELNS1_3gpuE0ELNS1_3repE0EEENS1_30default_config_static_selectorELNS0_4arch9wavefront6targetE1EEEvT1_: ; @_ZN7rocprim17ROCPRIM_400000_NS6detail17trampoline_kernelINS0_14default_configENS1_25transform_config_selectorItLb0EEEZNS1_14transform_implILb0ES3_S5_N6thrust23THRUST_200600_302600_NS6detail15normal_iteratorINS8_10device_ptrItEEEEPtNS0_8identityItEEEE10hipError_tT2_T3_mT4_P12ihipStream_tbEUlT_E_NS1_11comp_targetILNS1_3genE0ELNS1_11target_archE4294967295ELNS1_3gpuE0ELNS1_3repE0EEENS1_30default_config_static_selectorELNS0_4arch9wavefront6targetE1EEEvT1_
; %bb.0:
	.section	.rodata,"a",@progbits
	.p2align	6, 0x0
	.amdhsa_kernel _ZN7rocprim17ROCPRIM_400000_NS6detail17trampoline_kernelINS0_14default_configENS1_25transform_config_selectorItLb0EEEZNS1_14transform_implILb0ES3_S5_N6thrust23THRUST_200600_302600_NS6detail15normal_iteratorINS8_10device_ptrItEEEEPtNS0_8identityItEEEE10hipError_tT2_T3_mT4_P12ihipStream_tbEUlT_E_NS1_11comp_targetILNS1_3genE0ELNS1_11target_archE4294967295ELNS1_3gpuE0ELNS1_3repE0EEENS1_30default_config_static_selectorELNS0_4arch9wavefront6targetE1EEEvT1_
		.amdhsa_group_segment_fixed_size 0
		.amdhsa_private_segment_fixed_size 0
		.amdhsa_kernarg_size 40
		.amdhsa_user_sgpr_count 2
		.amdhsa_user_sgpr_dispatch_ptr 0
		.amdhsa_user_sgpr_queue_ptr 0
		.amdhsa_user_sgpr_kernarg_segment_ptr 1
		.amdhsa_user_sgpr_dispatch_id 0
		.amdhsa_user_sgpr_kernarg_preload_length 0
		.amdhsa_user_sgpr_kernarg_preload_offset 0
		.amdhsa_user_sgpr_private_segment_size 0
		.amdhsa_uses_dynamic_stack 0
		.amdhsa_enable_private_segment 0
		.amdhsa_system_sgpr_workgroup_id_x 1
		.amdhsa_system_sgpr_workgroup_id_y 0
		.amdhsa_system_sgpr_workgroup_id_z 0
		.amdhsa_system_sgpr_workgroup_info 0
		.amdhsa_system_vgpr_workitem_id 0
		.amdhsa_next_free_vgpr 1
		.amdhsa_next_free_sgpr 0
		.amdhsa_accum_offset 4
		.amdhsa_reserve_vcc 0
		.amdhsa_float_round_mode_32 0
		.amdhsa_float_round_mode_16_64 0
		.amdhsa_float_denorm_mode_32 3
		.amdhsa_float_denorm_mode_16_64 3
		.amdhsa_dx10_clamp 1
		.amdhsa_ieee_mode 1
		.amdhsa_fp16_overflow 0
		.amdhsa_tg_split 0
		.amdhsa_exception_fp_ieee_invalid_op 0
		.amdhsa_exception_fp_denorm_src 0
		.amdhsa_exception_fp_ieee_div_zero 0
		.amdhsa_exception_fp_ieee_overflow 0
		.amdhsa_exception_fp_ieee_underflow 0
		.amdhsa_exception_fp_ieee_inexact 0
		.amdhsa_exception_int_div_zero 0
	.end_amdhsa_kernel
	.section	.text._ZN7rocprim17ROCPRIM_400000_NS6detail17trampoline_kernelINS0_14default_configENS1_25transform_config_selectorItLb0EEEZNS1_14transform_implILb0ES3_S5_N6thrust23THRUST_200600_302600_NS6detail15normal_iteratorINS8_10device_ptrItEEEEPtNS0_8identityItEEEE10hipError_tT2_T3_mT4_P12ihipStream_tbEUlT_E_NS1_11comp_targetILNS1_3genE0ELNS1_11target_archE4294967295ELNS1_3gpuE0ELNS1_3repE0EEENS1_30default_config_static_selectorELNS0_4arch9wavefront6targetE1EEEvT1_,"axG",@progbits,_ZN7rocprim17ROCPRIM_400000_NS6detail17trampoline_kernelINS0_14default_configENS1_25transform_config_selectorItLb0EEEZNS1_14transform_implILb0ES3_S5_N6thrust23THRUST_200600_302600_NS6detail15normal_iteratorINS8_10device_ptrItEEEEPtNS0_8identityItEEEE10hipError_tT2_T3_mT4_P12ihipStream_tbEUlT_E_NS1_11comp_targetILNS1_3genE0ELNS1_11target_archE4294967295ELNS1_3gpuE0ELNS1_3repE0EEENS1_30default_config_static_selectorELNS0_4arch9wavefront6targetE1EEEvT1_,comdat
.Lfunc_end1329:
	.size	_ZN7rocprim17ROCPRIM_400000_NS6detail17trampoline_kernelINS0_14default_configENS1_25transform_config_selectorItLb0EEEZNS1_14transform_implILb0ES3_S5_N6thrust23THRUST_200600_302600_NS6detail15normal_iteratorINS8_10device_ptrItEEEEPtNS0_8identityItEEEE10hipError_tT2_T3_mT4_P12ihipStream_tbEUlT_E_NS1_11comp_targetILNS1_3genE0ELNS1_11target_archE4294967295ELNS1_3gpuE0ELNS1_3repE0EEENS1_30default_config_static_selectorELNS0_4arch9wavefront6targetE1EEEvT1_, .Lfunc_end1329-_ZN7rocprim17ROCPRIM_400000_NS6detail17trampoline_kernelINS0_14default_configENS1_25transform_config_selectorItLb0EEEZNS1_14transform_implILb0ES3_S5_N6thrust23THRUST_200600_302600_NS6detail15normal_iteratorINS8_10device_ptrItEEEEPtNS0_8identityItEEEE10hipError_tT2_T3_mT4_P12ihipStream_tbEUlT_E_NS1_11comp_targetILNS1_3genE0ELNS1_11target_archE4294967295ELNS1_3gpuE0ELNS1_3repE0EEENS1_30default_config_static_selectorELNS0_4arch9wavefront6targetE1EEEvT1_
                                        ; -- End function
	.section	.AMDGPU.csdata,"",@progbits
; Kernel info:
; codeLenInByte = 0
; NumSgprs: 6
; NumVgprs: 0
; NumAgprs: 0
; TotalNumVgprs: 0
; ScratchSize: 0
; MemoryBound: 0
; FloatMode: 240
; IeeeMode: 1
; LDSByteSize: 0 bytes/workgroup (compile time only)
; SGPRBlocks: 0
; VGPRBlocks: 0
; NumSGPRsForWavesPerEU: 6
; NumVGPRsForWavesPerEU: 1
; AccumOffset: 4
; Occupancy: 8
; WaveLimiterHint : 0
; COMPUTE_PGM_RSRC2:SCRATCH_EN: 0
; COMPUTE_PGM_RSRC2:USER_SGPR: 2
; COMPUTE_PGM_RSRC2:TRAP_HANDLER: 0
; COMPUTE_PGM_RSRC2:TGID_X_EN: 1
; COMPUTE_PGM_RSRC2:TGID_Y_EN: 0
; COMPUTE_PGM_RSRC2:TGID_Z_EN: 0
; COMPUTE_PGM_RSRC2:TIDIG_COMP_CNT: 0
; COMPUTE_PGM_RSRC3_GFX90A:ACCUM_OFFSET: 0
; COMPUTE_PGM_RSRC3_GFX90A:TG_SPLIT: 0
	.section	.text._ZN7rocprim17ROCPRIM_400000_NS6detail17trampoline_kernelINS0_14default_configENS1_25transform_config_selectorItLb0EEEZNS1_14transform_implILb0ES3_S5_N6thrust23THRUST_200600_302600_NS6detail15normal_iteratorINS8_10device_ptrItEEEEPtNS0_8identityItEEEE10hipError_tT2_T3_mT4_P12ihipStream_tbEUlT_E_NS1_11comp_targetILNS1_3genE5ELNS1_11target_archE942ELNS1_3gpuE9ELNS1_3repE0EEENS1_30default_config_static_selectorELNS0_4arch9wavefront6targetE1EEEvT1_,"axG",@progbits,_ZN7rocprim17ROCPRIM_400000_NS6detail17trampoline_kernelINS0_14default_configENS1_25transform_config_selectorItLb0EEEZNS1_14transform_implILb0ES3_S5_N6thrust23THRUST_200600_302600_NS6detail15normal_iteratorINS8_10device_ptrItEEEEPtNS0_8identityItEEEE10hipError_tT2_T3_mT4_P12ihipStream_tbEUlT_E_NS1_11comp_targetILNS1_3genE5ELNS1_11target_archE942ELNS1_3gpuE9ELNS1_3repE0EEENS1_30default_config_static_selectorELNS0_4arch9wavefront6targetE1EEEvT1_,comdat
	.protected	_ZN7rocprim17ROCPRIM_400000_NS6detail17trampoline_kernelINS0_14default_configENS1_25transform_config_selectorItLb0EEEZNS1_14transform_implILb0ES3_S5_N6thrust23THRUST_200600_302600_NS6detail15normal_iteratorINS8_10device_ptrItEEEEPtNS0_8identityItEEEE10hipError_tT2_T3_mT4_P12ihipStream_tbEUlT_E_NS1_11comp_targetILNS1_3genE5ELNS1_11target_archE942ELNS1_3gpuE9ELNS1_3repE0EEENS1_30default_config_static_selectorELNS0_4arch9wavefront6targetE1EEEvT1_ ; -- Begin function _ZN7rocprim17ROCPRIM_400000_NS6detail17trampoline_kernelINS0_14default_configENS1_25transform_config_selectorItLb0EEEZNS1_14transform_implILb0ES3_S5_N6thrust23THRUST_200600_302600_NS6detail15normal_iteratorINS8_10device_ptrItEEEEPtNS0_8identityItEEEE10hipError_tT2_T3_mT4_P12ihipStream_tbEUlT_E_NS1_11comp_targetILNS1_3genE5ELNS1_11target_archE942ELNS1_3gpuE9ELNS1_3repE0EEENS1_30default_config_static_selectorELNS0_4arch9wavefront6targetE1EEEvT1_
	.globl	_ZN7rocprim17ROCPRIM_400000_NS6detail17trampoline_kernelINS0_14default_configENS1_25transform_config_selectorItLb0EEEZNS1_14transform_implILb0ES3_S5_N6thrust23THRUST_200600_302600_NS6detail15normal_iteratorINS8_10device_ptrItEEEEPtNS0_8identityItEEEE10hipError_tT2_T3_mT4_P12ihipStream_tbEUlT_E_NS1_11comp_targetILNS1_3genE5ELNS1_11target_archE942ELNS1_3gpuE9ELNS1_3repE0EEENS1_30default_config_static_selectorELNS0_4arch9wavefront6targetE1EEEvT1_
	.p2align	8
	.type	_ZN7rocprim17ROCPRIM_400000_NS6detail17trampoline_kernelINS0_14default_configENS1_25transform_config_selectorItLb0EEEZNS1_14transform_implILb0ES3_S5_N6thrust23THRUST_200600_302600_NS6detail15normal_iteratorINS8_10device_ptrItEEEEPtNS0_8identityItEEEE10hipError_tT2_T3_mT4_P12ihipStream_tbEUlT_E_NS1_11comp_targetILNS1_3genE5ELNS1_11target_archE942ELNS1_3gpuE9ELNS1_3repE0EEENS1_30default_config_static_selectorELNS0_4arch9wavefront6targetE1EEEvT1_,@function
_ZN7rocprim17ROCPRIM_400000_NS6detail17trampoline_kernelINS0_14default_configENS1_25transform_config_selectorItLb0EEEZNS1_14transform_implILb0ES3_S5_N6thrust23THRUST_200600_302600_NS6detail15normal_iteratorINS8_10device_ptrItEEEEPtNS0_8identityItEEEE10hipError_tT2_T3_mT4_P12ihipStream_tbEUlT_E_NS1_11comp_targetILNS1_3genE5ELNS1_11target_archE942ELNS1_3gpuE9ELNS1_3repE0EEENS1_30default_config_static_selectorELNS0_4arch9wavefront6targetE1EEEvT1_: ; @_ZN7rocprim17ROCPRIM_400000_NS6detail17trampoline_kernelINS0_14default_configENS1_25transform_config_selectorItLb0EEEZNS1_14transform_implILb0ES3_S5_N6thrust23THRUST_200600_302600_NS6detail15normal_iteratorINS8_10device_ptrItEEEEPtNS0_8identityItEEEE10hipError_tT2_T3_mT4_P12ihipStream_tbEUlT_E_NS1_11comp_targetILNS1_3genE5ELNS1_11target_archE942ELNS1_3gpuE9ELNS1_3repE0EEENS1_30default_config_static_selectorELNS0_4arch9wavefront6targetE1EEEvT1_
; %bb.0:
	s_load_dwordx8 s[4:11], s[0:1], 0x0
	s_load_dword s3, s[0:1], 0x28
	v_lshlrev_b32_e32 v6, 1, v0
	s_waitcnt lgkmcnt(0)
	s_lshl_b64 s[0:1], s[6:7], 1
	s_add_u32 s4, s4, s0
	s_addc_u32 s5, s5, s1
	s_add_u32 s22, s10, s0
	s_addc_u32 s23, s11, s1
	s_lshl_b32 s0, s2, 11
	s_mov_b32 s1, 0
	s_add_i32 s3, s3, -1
	s_lshl_b64 s[18:19], s[0:1], 1
	s_add_u32 s20, s4, s18
	s_addc_u32 s21, s5, s19
	s_cmp_lg_u32 s2, s3
	s_cbranch_scc0 .LBB1330_2
; %bb.1:
	v_mov_b32_e32 v7, 0
	v_lshl_add_u64 v[2:3], s[20:21], 0, v[6:7]
	flat_load_ushort v4, v[2:3]
	flat_load_ushort v5, v[2:3] offset:512
	flat_load_ushort v10, v[2:3] offset:1024
	;; [unrolled: 1-line block ×7, first 2 shown]
	s_add_u32 s4, s22, s18
	s_addc_u32 s5, s23, s19
	v_lshl_add_u64 v[8:9], s[4:5], 0, v[6:7]
	s_mov_b64 s[16:17], -1
	s_waitcnt vmcnt(0) lgkmcnt(0)
	global_store_short v6, v4, s[4:5]
	global_store_short v6, v5, s[4:5] offset:512
	global_store_short v6, v10, s[4:5] offset:1024
	;; [unrolled: 1-line block ×6, first 2 shown]
	s_cbranch_execz .LBB1330_3
	s_branch .LBB1330_34
.LBB1330_2:
	s_mov_b64 s[16:17], 0
                                        ; implicit-def: $vgpr1
                                        ; implicit-def: $vgpr8_vgpr9
.LBB1330_3:
	s_sub_i32 s14, s8, s0
	v_cmp_gt_u32_e32 vcc, s14, v0
                                        ; implicit-def: $vgpr2_vgpr3_vgpr4_vgpr5
	s_and_saveexec_b64 s[0:1], vcc
	s_cbranch_execz .LBB1330_5
; %bb.4:
	v_mov_b32_e32 v7, 0
	v_lshl_add_u64 v[2:3], s[20:21], 0, v[6:7]
	flat_load_ushort v2, v[2:3]
.LBB1330_5:
	s_or_b64 exec, exec, s[0:1]
	v_or_b32_e32 v1, 0x100, v0
	v_cmp_gt_u32_e64 s[0:1], s14, v1
	s_and_saveexec_b64 s[2:3], s[0:1]
	s_cbranch_execz .LBB1330_7
; %bb.6:
	v_mov_b32_e32 v7, 0
	v_lshl_add_u64 v[8:9], s[20:21], 0, v[6:7]
	flat_load_ushort v1, v[8:9] offset:512
	s_mov_b32 s4, 0x5040100
	s_waitcnt vmcnt(0) lgkmcnt(0)
	v_perm_b32 v2, v1, v2, s4
.LBB1330_7:
	s_or_b64 exec, exec, s[2:3]
	v_or_b32_e32 v1, 0x200, v0
	v_cmp_gt_u32_e64 s[2:3], s14, v1
	s_and_saveexec_b64 s[4:5], s[2:3]
	s_cbranch_execz .LBB1330_9
; %bb.8:
	v_mov_b32_e32 v7, 0
	v_lshl_add_u64 v[8:9], s[20:21], 0, v[6:7]
	flat_load_ushort v1, v[8:9] offset:1024
	s_mov_b32 s6, 0xffff
	s_waitcnt vmcnt(0) lgkmcnt(0)
	v_bfi_b32 v3, s6, v1, v3
.LBB1330_9:
	s_or_b64 exec, exec, s[4:5]
	v_or_b32_e32 v1, 0x300, v0
	v_cmp_gt_u32_e64 s[4:5], s14, v1
	s_and_saveexec_b64 s[6:7], s[4:5]
	s_cbranch_execz .LBB1330_11
; %bb.10:
	v_mov_b32_e32 v7, 0
	v_lshl_add_u64 v[8:9], s[20:21], 0, v[6:7]
	flat_load_ushort v1, v[8:9] offset:1536
	s_mov_b32 s8, 0x5040100
	s_waitcnt vmcnt(0) lgkmcnt(0)
	v_perm_b32 v3, v1, v3, s8
.LBB1330_11:
	s_or_b64 exec, exec, s[6:7]
	v_or_b32_e32 v1, 0x400, v0
	v_cmp_gt_u32_e64 s[6:7], s14, v1
	s_and_saveexec_b64 s[8:9], s[6:7]
	s_cbranch_execz .LBB1330_13
; %bb.12:
	v_mov_b32_e32 v7, 0
	v_lshl_add_u64 v[8:9], s[20:21], 0, v[6:7]
	flat_load_ushort v1, v[8:9] offset:2048
	s_mov_b32 s10, 0xffff
	s_waitcnt vmcnt(0) lgkmcnt(0)
	v_bfi_b32 v4, s10, v1, v4
.LBB1330_13:
	;; [unrolled: 26-line block ×3, first 2 shown]
	s_or_b64 exec, exec, s[12:13]
	v_or_b32_e32 v1, 0x700, v0
	v_cmp_gt_u32_e64 s[12:13], s14, v1
	v_cmp_le_u32_e64 s[14:15], s14, v1
	s_and_saveexec_b64 s[24:25], s[14:15]
	s_xor_b64 s[14:15], exec, s[24:25]
; %bb.18:
	v_mov_b32_e32 v1, 0
                                        ; implicit-def: $vgpr6
; %bb.19:
	s_andn2_saveexec_b64 s[14:15], s[14:15]
	s_cbranch_execz .LBB1330_21
; %bb.20:
	v_mov_b32_e32 v1, 0
	v_mov_b32_e32 v7, v1
	v_lshl_add_u64 v[6:7], s[20:21], 0, v[6:7]
	flat_load_ushort v6, v[6:7] offset:3584
	s_mov_b32 s20, 0x5040100
	s_waitcnt vmcnt(0) lgkmcnt(0)
	v_perm_b32 v5, v6, v5, s20
.LBB1330_21:
	s_or_b64 exec, exec, s[14:15]
	s_add_u32 s14, s22, s18
	s_addc_u32 s15, s23, s19
	v_lshl_add_u64 v[8:9], v[0:1], 1, s[14:15]
	s_and_saveexec_b64 s[14:15], vcc
	s_cbranch_execnz .LBB1330_37
; %bb.22:
	s_or_b64 exec, exec, s[14:15]
	s_and_saveexec_b64 s[14:15], s[0:1]
	s_cbranch_execnz .LBB1330_38
.LBB1330_23:
	s_or_b64 exec, exec, s[14:15]
	s_mov_b32 s14, 0xffff
	s_and_saveexec_b64 s[0:1], s[2:3]
	s_cbranch_execz .LBB1330_25
.LBB1330_24:
	global_store_short v[8:9], v3, off offset:1024
.LBB1330_25:
	s_or_b64 exec, exec, s[0:1]
	v_bfi_b32 v0, s14, v3, v3
	v_cndmask_b32_e64 v0, v0, v3, s[4:5]
	s_and_saveexec_b64 s[0:1], s[4:5]
	s_cbranch_execz .LBB1330_27
; %bb.26:
	global_store_short_d16_hi v[8:9], v0, off offset:1536
.LBB1330_27:
	s_or_b64 exec, exec, s[0:1]
	s_mov_b32 s2, 0xffff
	v_cndmask_b32_e64 v0, v4, v4, s[6:7]
	s_and_saveexec_b64 s[0:1], s[6:7]
	s_cbranch_execz .LBB1330_29
; %bb.28:
	global_store_short v[8:9], v0, off offset:2048
.LBB1330_29:
	s_or_b64 exec, exec, s[0:1]
	v_bfi_b32 v0, s2, v0, v4
	v_cndmask_b32_e64 v0, v0, v4, s[8:9]
	s_and_saveexec_b64 s[0:1], s[8:9]
	s_cbranch_execnz .LBB1330_39
; %bb.30:
	s_or_b64 exec, exec, s[0:1]
	s_and_saveexec_b64 s[0:1], s[10:11]
	s_cbranch_execnz .LBB1330_40
.LBB1330_31:
	s_or_b64 exec, exec, s[0:1]
                                        ; implicit-def: $vgpr1
	s_and_saveexec_b64 s[0:1], s[12:13]
.LBB1330_32:
	v_cndmask_b32_e64 v0, v5, v5, s[12:13]
	v_lshrrev_b32_e32 v1, 16, v0
	s_or_b64 s[16:17], s[16:17], exec
.LBB1330_33:
	s_or_b64 exec, exec, s[0:1]
.LBB1330_34:
	s_and_saveexec_b64 s[0:1], s[16:17]
	s_cbranch_execnz .LBB1330_36
; %bb.35:
	s_endpgm
.LBB1330_36:
	global_store_short v[8:9], v1, off offset:3584
	s_endpgm
.LBB1330_37:
	s_waitcnt vmcnt(0) lgkmcnt(0)
	global_store_short v[8:9], v2, off
	s_or_b64 exec, exec, s[14:15]
	s_and_saveexec_b64 s[14:15], s[0:1]
	s_cbranch_execz .LBB1330_23
.LBB1330_38:
	s_waitcnt vmcnt(0) lgkmcnt(0)
	global_store_short_d16_hi v[8:9], v2, off offset:512
	s_or_b64 exec, exec, s[14:15]
	s_mov_b32 s14, 0xffff
	s_and_saveexec_b64 s[0:1], s[2:3]
	s_cbranch_execnz .LBB1330_24
	s_branch .LBB1330_25
.LBB1330_39:
	global_store_short_d16_hi v[8:9], v0, off offset:2560
	s_or_b64 exec, exec, s[0:1]
	s_and_saveexec_b64 s[0:1], s[10:11]
	s_cbranch_execz .LBB1330_31
.LBB1330_40:
	v_cndmask_b32_e64 v0, v5, v5, s[10:11]
	global_store_short v[8:9], v0, off offset:3072
	s_or_b64 exec, exec, s[0:1]
                                        ; implicit-def: $vgpr1
	s_and_saveexec_b64 s[0:1], s[12:13]
	s_cbranch_execnz .LBB1330_32
	s_branch .LBB1330_33
	.section	.rodata,"a",@progbits
	.p2align	6, 0x0
	.amdhsa_kernel _ZN7rocprim17ROCPRIM_400000_NS6detail17trampoline_kernelINS0_14default_configENS1_25transform_config_selectorItLb0EEEZNS1_14transform_implILb0ES3_S5_N6thrust23THRUST_200600_302600_NS6detail15normal_iteratorINS8_10device_ptrItEEEEPtNS0_8identityItEEEE10hipError_tT2_T3_mT4_P12ihipStream_tbEUlT_E_NS1_11comp_targetILNS1_3genE5ELNS1_11target_archE942ELNS1_3gpuE9ELNS1_3repE0EEENS1_30default_config_static_selectorELNS0_4arch9wavefront6targetE1EEEvT1_
		.amdhsa_group_segment_fixed_size 0
		.amdhsa_private_segment_fixed_size 0
		.amdhsa_kernarg_size 296
		.amdhsa_user_sgpr_count 2
		.amdhsa_user_sgpr_dispatch_ptr 0
		.amdhsa_user_sgpr_queue_ptr 0
		.amdhsa_user_sgpr_kernarg_segment_ptr 1
		.amdhsa_user_sgpr_dispatch_id 0
		.amdhsa_user_sgpr_kernarg_preload_length 0
		.amdhsa_user_sgpr_kernarg_preload_offset 0
		.amdhsa_user_sgpr_private_segment_size 0
		.amdhsa_uses_dynamic_stack 0
		.amdhsa_enable_private_segment 0
		.amdhsa_system_sgpr_workgroup_id_x 1
		.amdhsa_system_sgpr_workgroup_id_y 0
		.amdhsa_system_sgpr_workgroup_id_z 0
		.amdhsa_system_sgpr_workgroup_info 0
		.amdhsa_system_vgpr_workitem_id 0
		.amdhsa_next_free_vgpr 15
		.amdhsa_next_free_sgpr 26
		.amdhsa_accum_offset 16
		.amdhsa_reserve_vcc 1
		.amdhsa_float_round_mode_32 0
		.amdhsa_float_round_mode_16_64 0
		.amdhsa_float_denorm_mode_32 3
		.amdhsa_float_denorm_mode_16_64 3
		.amdhsa_dx10_clamp 1
		.amdhsa_ieee_mode 1
		.amdhsa_fp16_overflow 0
		.amdhsa_tg_split 0
		.amdhsa_exception_fp_ieee_invalid_op 0
		.amdhsa_exception_fp_denorm_src 0
		.amdhsa_exception_fp_ieee_div_zero 0
		.amdhsa_exception_fp_ieee_overflow 0
		.amdhsa_exception_fp_ieee_underflow 0
		.amdhsa_exception_fp_ieee_inexact 0
		.amdhsa_exception_int_div_zero 0
	.end_amdhsa_kernel
	.section	.text._ZN7rocprim17ROCPRIM_400000_NS6detail17trampoline_kernelINS0_14default_configENS1_25transform_config_selectorItLb0EEEZNS1_14transform_implILb0ES3_S5_N6thrust23THRUST_200600_302600_NS6detail15normal_iteratorINS8_10device_ptrItEEEEPtNS0_8identityItEEEE10hipError_tT2_T3_mT4_P12ihipStream_tbEUlT_E_NS1_11comp_targetILNS1_3genE5ELNS1_11target_archE942ELNS1_3gpuE9ELNS1_3repE0EEENS1_30default_config_static_selectorELNS0_4arch9wavefront6targetE1EEEvT1_,"axG",@progbits,_ZN7rocprim17ROCPRIM_400000_NS6detail17trampoline_kernelINS0_14default_configENS1_25transform_config_selectorItLb0EEEZNS1_14transform_implILb0ES3_S5_N6thrust23THRUST_200600_302600_NS6detail15normal_iteratorINS8_10device_ptrItEEEEPtNS0_8identityItEEEE10hipError_tT2_T3_mT4_P12ihipStream_tbEUlT_E_NS1_11comp_targetILNS1_3genE5ELNS1_11target_archE942ELNS1_3gpuE9ELNS1_3repE0EEENS1_30default_config_static_selectorELNS0_4arch9wavefront6targetE1EEEvT1_,comdat
.Lfunc_end1330:
	.size	_ZN7rocprim17ROCPRIM_400000_NS6detail17trampoline_kernelINS0_14default_configENS1_25transform_config_selectorItLb0EEEZNS1_14transform_implILb0ES3_S5_N6thrust23THRUST_200600_302600_NS6detail15normal_iteratorINS8_10device_ptrItEEEEPtNS0_8identityItEEEE10hipError_tT2_T3_mT4_P12ihipStream_tbEUlT_E_NS1_11comp_targetILNS1_3genE5ELNS1_11target_archE942ELNS1_3gpuE9ELNS1_3repE0EEENS1_30default_config_static_selectorELNS0_4arch9wavefront6targetE1EEEvT1_, .Lfunc_end1330-_ZN7rocprim17ROCPRIM_400000_NS6detail17trampoline_kernelINS0_14default_configENS1_25transform_config_selectorItLb0EEEZNS1_14transform_implILb0ES3_S5_N6thrust23THRUST_200600_302600_NS6detail15normal_iteratorINS8_10device_ptrItEEEEPtNS0_8identityItEEEE10hipError_tT2_T3_mT4_P12ihipStream_tbEUlT_E_NS1_11comp_targetILNS1_3genE5ELNS1_11target_archE942ELNS1_3gpuE9ELNS1_3repE0EEENS1_30default_config_static_selectorELNS0_4arch9wavefront6targetE1EEEvT1_
                                        ; -- End function
	.section	.AMDGPU.csdata,"",@progbits
; Kernel info:
; codeLenInByte = 1124
; NumSgprs: 32
; NumVgprs: 15
; NumAgprs: 0
; TotalNumVgprs: 15
; ScratchSize: 0
; MemoryBound: 0
; FloatMode: 240
; IeeeMode: 1
; LDSByteSize: 0 bytes/workgroup (compile time only)
; SGPRBlocks: 3
; VGPRBlocks: 1
; NumSGPRsForWavesPerEU: 32
; NumVGPRsForWavesPerEU: 15
; AccumOffset: 16
; Occupancy: 8
; WaveLimiterHint : 1
; COMPUTE_PGM_RSRC2:SCRATCH_EN: 0
; COMPUTE_PGM_RSRC2:USER_SGPR: 2
; COMPUTE_PGM_RSRC2:TRAP_HANDLER: 0
; COMPUTE_PGM_RSRC2:TGID_X_EN: 1
; COMPUTE_PGM_RSRC2:TGID_Y_EN: 0
; COMPUTE_PGM_RSRC2:TGID_Z_EN: 0
; COMPUTE_PGM_RSRC2:TIDIG_COMP_CNT: 0
; COMPUTE_PGM_RSRC3_GFX90A:ACCUM_OFFSET: 3
; COMPUTE_PGM_RSRC3_GFX90A:TG_SPLIT: 0
	.section	.text._ZN7rocprim17ROCPRIM_400000_NS6detail17trampoline_kernelINS0_14default_configENS1_25transform_config_selectorItLb0EEEZNS1_14transform_implILb0ES3_S5_N6thrust23THRUST_200600_302600_NS6detail15normal_iteratorINS8_10device_ptrItEEEEPtNS0_8identityItEEEE10hipError_tT2_T3_mT4_P12ihipStream_tbEUlT_E_NS1_11comp_targetILNS1_3genE4ELNS1_11target_archE910ELNS1_3gpuE8ELNS1_3repE0EEENS1_30default_config_static_selectorELNS0_4arch9wavefront6targetE1EEEvT1_,"axG",@progbits,_ZN7rocprim17ROCPRIM_400000_NS6detail17trampoline_kernelINS0_14default_configENS1_25transform_config_selectorItLb0EEEZNS1_14transform_implILb0ES3_S5_N6thrust23THRUST_200600_302600_NS6detail15normal_iteratorINS8_10device_ptrItEEEEPtNS0_8identityItEEEE10hipError_tT2_T3_mT4_P12ihipStream_tbEUlT_E_NS1_11comp_targetILNS1_3genE4ELNS1_11target_archE910ELNS1_3gpuE8ELNS1_3repE0EEENS1_30default_config_static_selectorELNS0_4arch9wavefront6targetE1EEEvT1_,comdat
	.protected	_ZN7rocprim17ROCPRIM_400000_NS6detail17trampoline_kernelINS0_14default_configENS1_25transform_config_selectorItLb0EEEZNS1_14transform_implILb0ES3_S5_N6thrust23THRUST_200600_302600_NS6detail15normal_iteratorINS8_10device_ptrItEEEEPtNS0_8identityItEEEE10hipError_tT2_T3_mT4_P12ihipStream_tbEUlT_E_NS1_11comp_targetILNS1_3genE4ELNS1_11target_archE910ELNS1_3gpuE8ELNS1_3repE0EEENS1_30default_config_static_selectorELNS0_4arch9wavefront6targetE1EEEvT1_ ; -- Begin function _ZN7rocprim17ROCPRIM_400000_NS6detail17trampoline_kernelINS0_14default_configENS1_25transform_config_selectorItLb0EEEZNS1_14transform_implILb0ES3_S5_N6thrust23THRUST_200600_302600_NS6detail15normal_iteratorINS8_10device_ptrItEEEEPtNS0_8identityItEEEE10hipError_tT2_T3_mT4_P12ihipStream_tbEUlT_E_NS1_11comp_targetILNS1_3genE4ELNS1_11target_archE910ELNS1_3gpuE8ELNS1_3repE0EEENS1_30default_config_static_selectorELNS0_4arch9wavefront6targetE1EEEvT1_
	.globl	_ZN7rocprim17ROCPRIM_400000_NS6detail17trampoline_kernelINS0_14default_configENS1_25transform_config_selectorItLb0EEEZNS1_14transform_implILb0ES3_S5_N6thrust23THRUST_200600_302600_NS6detail15normal_iteratorINS8_10device_ptrItEEEEPtNS0_8identityItEEEE10hipError_tT2_T3_mT4_P12ihipStream_tbEUlT_E_NS1_11comp_targetILNS1_3genE4ELNS1_11target_archE910ELNS1_3gpuE8ELNS1_3repE0EEENS1_30default_config_static_selectorELNS0_4arch9wavefront6targetE1EEEvT1_
	.p2align	8
	.type	_ZN7rocprim17ROCPRIM_400000_NS6detail17trampoline_kernelINS0_14default_configENS1_25transform_config_selectorItLb0EEEZNS1_14transform_implILb0ES3_S5_N6thrust23THRUST_200600_302600_NS6detail15normal_iteratorINS8_10device_ptrItEEEEPtNS0_8identityItEEEE10hipError_tT2_T3_mT4_P12ihipStream_tbEUlT_E_NS1_11comp_targetILNS1_3genE4ELNS1_11target_archE910ELNS1_3gpuE8ELNS1_3repE0EEENS1_30default_config_static_selectorELNS0_4arch9wavefront6targetE1EEEvT1_,@function
_ZN7rocprim17ROCPRIM_400000_NS6detail17trampoline_kernelINS0_14default_configENS1_25transform_config_selectorItLb0EEEZNS1_14transform_implILb0ES3_S5_N6thrust23THRUST_200600_302600_NS6detail15normal_iteratorINS8_10device_ptrItEEEEPtNS0_8identityItEEEE10hipError_tT2_T3_mT4_P12ihipStream_tbEUlT_E_NS1_11comp_targetILNS1_3genE4ELNS1_11target_archE910ELNS1_3gpuE8ELNS1_3repE0EEENS1_30default_config_static_selectorELNS0_4arch9wavefront6targetE1EEEvT1_: ; @_ZN7rocprim17ROCPRIM_400000_NS6detail17trampoline_kernelINS0_14default_configENS1_25transform_config_selectorItLb0EEEZNS1_14transform_implILb0ES3_S5_N6thrust23THRUST_200600_302600_NS6detail15normal_iteratorINS8_10device_ptrItEEEEPtNS0_8identityItEEEE10hipError_tT2_T3_mT4_P12ihipStream_tbEUlT_E_NS1_11comp_targetILNS1_3genE4ELNS1_11target_archE910ELNS1_3gpuE8ELNS1_3repE0EEENS1_30default_config_static_selectorELNS0_4arch9wavefront6targetE1EEEvT1_
; %bb.0:
	.section	.rodata,"a",@progbits
	.p2align	6, 0x0
	.amdhsa_kernel _ZN7rocprim17ROCPRIM_400000_NS6detail17trampoline_kernelINS0_14default_configENS1_25transform_config_selectorItLb0EEEZNS1_14transform_implILb0ES3_S5_N6thrust23THRUST_200600_302600_NS6detail15normal_iteratorINS8_10device_ptrItEEEEPtNS0_8identityItEEEE10hipError_tT2_T3_mT4_P12ihipStream_tbEUlT_E_NS1_11comp_targetILNS1_3genE4ELNS1_11target_archE910ELNS1_3gpuE8ELNS1_3repE0EEENS1_30default_config_static_selectorELNS0_4arch9wavefront6targetE1EEEvT1_
		.amdhsa_group_segment_fixed_size 0
		.amdhsa_private_segment_fixed_size 0
		.amdhsa_kernarg_size 40
		.amdhsa_user_sgpr_count 2
		.amdhsa_user_sgpr_dispatch_ptr 0
		.amdhsa_user_sgpr_queue_ptr 0
		.amdhsa_user_sgpr_kernarg_segment_ptr 1
		.amdhsa_user_sgpr_dispatch_id 0
		.amdhsa_user_sgpr_kernarg_preload_length 0
		.amdhsa_user_sgpr_kernarg_preload_offset 0
		.amdhsa_user_sgpr_private_segment_size 0
		.amdhsa_uses_dynamic_stack 0
		.amdhsa_enable_private_segment 0
		.amdhsa_system_sgpr_workgroup_id_x 1
		.amdhsa_system_sgpr_workgroup_id_y 0
		.amdhsa_system_sgpr_workgroup_id_z 0
		.amdhsa_system_sgpr_workgroup_info 0
		.amdhsa_system_vgpr_workitem_id 0
		.amdhsa_next_free_vgpr 1
		.amdhsa_next_free_sgpr 0
		.amdhsa_accum_offset 4
		.amdhsa_reserve_vcc 0
		.amdhsa_float_round_mode_32 0
		.amdhsa_float_round_mode_16_64 0
		.amdhsa_float_denorm_mode_32 3
		.amdhsa_float_denorm_mode_16_64 3
		.amdhsa_dx10_clamp 1
		.amdhsa_ieee_mode 1
		.amdhsa_fp16_overflow 0
		.amdhsa_tg_split 0
		.amdhsa_exception_fp_ieee_invalid_op 0
		.amdhsa_exception_fp_denorm_src 0
		.amdhsa_exception_fp_ieee_div_zero 0
		.amdhsa_exception_fp_ieee_overflow 0
		.amdhsa_exception_fp_ieee_underflow 0
		.amdhsa_exception_fp_ieee_inexact 0
		.amdhsa_exception_int_div_zero 0
	.end_amdhsa_kernel
	.section	.text._ZN7rocprim17ROCPRIM_400000_NS6detail17trampoline_kernelINS0_14default_configENS1_25transform_config_selectorItLb0EEEZNS1_14transform_implILb0ES3_S5_N6thrust23THRUST_200600_302600_NS6detail15normal_iteratorINS8_10device_ptrItEEEEPtNS0_8identityItEEEE10hipError_tT2_T3_mT4_P12ihipStream_tbEUlT_E_NS1_11comp_targetILNS1_3genE4ELNS1_11target_archE910ELNS1_3gpuE8ELNS1_3repE0EEENS1_30default_config_static_selectorELNS0_4arch9wavefront6targetE1EEEvT1_,"axG",@progbits,_ZN7rocprim17ROCPRIM_400000_NS6detail17trampoline_kernelINS0_14default_configENS1_25transform_config_selectorItLb0EEEZNS1_14transform_implILb0ES3_S5_N6thrust23THRUST_200600_302600_NS6detail15normal_iteratorINS8_10device_ptrItEEEEPtNS0_8identityItEEEE10hipError_tT2_T3_mT4_P12ihipStream_tbEUlT_E_NS1_11comp_targetILNS1_3genE4ELNS1_11target_archE910ELNS1_3gpuE8ELNS1_3repE0EEENS1_30default_config_static_selectorELNS0_4arch9wavefront6targetE1EEEvT1_,comdat
.Lfunc_end1331:
	.size	_ZN7rocprim17ROCPRIM_400000_NS6detail17trampoline_kernelINS0_14default_configENS1_25transform_config_selectorItLb0EEEZNS1_14transform_implILb0ES3_S5_N6thrust23THRUST_200600_302600_NS6detail15normal_iteratorINS8_10device_ptrItEEEEPtNS0_8identityItEEEE10hipError_tT2_T3_mT4_P12ihipStream_tbEUlT_E_NS1_11comp_targetILNS1_3genE4ELNS1_11target_archE910ELNS1_3gpuE8ELNS1_3repE0EEENS1_30default_config_static_selectorELNS0_4arch9wavefront6targetE1EEEvT1_, .Lfunc_end1331-_ZN7rocprim17ROCPRIM_400000_NS6detail17trampoline_kernelINS0_14default_configENS1_25transform_config_selectorItLb0EEEZNS1_14transform_implILb0ES3_S5_N6thrust23THRUST_200600_302600_NS6detail15normal_iteratorINS8_10device_ptrItEEEEPtNS0_8identityItEEEE10hipError_tT2_T3_mT4_P12ihipStream_tbEUlT_E_NS1_11comp_targetILNS1_3genE4ELNS1_11target_archE910ELNS1_3gpuE8ELNS1_3repE0EEENS1_30default_config_static_selectorELNS0_4arch9wavefront6targetE1EEEvT1_
                                        ; -- End function
	.section	.AMDGPU.csdata,"",@progbits
; Kernel info:
; codeLenInByte = 0
; NumSgprs: 6
; NumVgprs: 0
; NumAgprs: 0
; TotalNumVgprs: 0
; ScratchSize: 0
; MemoryBound: 0
; FloatMode: 240
; IeeeMode: 1
; LDSByteSize: 0 bytes/workgroup (compile time only)
; SGPRBlocks: 0
; VGPRBlocks: 0
; NumSGPRsForWavesPerEU: 6
; NumVGPRsForWavesPerEU: 1
; AccumOffset: 4
; Occupancy: 8
; WaveLimiterHint : 0
; COMPUTE_PGM_RSRC2:SCRATCH_EN: 0
; COMPUTE_PGM_RSRC2:USER_SGPR: 2
; COMPUTE_PGM_RSRC2:TRAP_HANDLER: 0
; COMPUTE_PGM_RSRC2:TGID_X_EN: 1
; COMPUTE_PGM_RSRC2:TGID_Y_EN: 0
; COMPUTE_PGM_RSRC2:TGID_Z_EN: 0
; COMPUTE_PGM_RSRC2:TIDIG_COMP_CNT: 0
; COMPUTE_PGM_RSRC3_GFX90A:ACCUM_OFFSET: 0
; COMPUTE_PGM_RSRC3_GFX90A:TG_SPLIT: 0
	.section	.text._ZN7rocprim17ROCPRIM_400000_NS6detail17trampoline_kernelINS0_14default_configENS1_25transform_config_selectorItLb0EEEZNS1_14transform_implILb0ES3_S5_N6thrust23THRUST_200600_302600_NS6detail15normal_iteratorINS8_10device_ptrItEEEEPtNS0_8identityItEEEE10hipError_tT2_T3_mT4_P12ihipStream_tbEUlT_E_NS1_11comp_targetILNS1_3genE3ELNS1_11target_archE908ELNS1_3gpuE7ELNS1_3repE0EEENS1_30default_config_static_selectorELNS0_4arch9wavefront6targetE1EEEvT1_,"axG",@progbits,_ZN7rocprim17ROCPRIM_400000_NS6detail17trampoline_kernelINS0_14default_configENS1_25transform_config_selectorItLb0EEEZNS1_14transform_implILb0ES3_S5_N6thrust23THRUST_200600_302600_NS6detail15normal_iteratorINS8_10device_ptrItEEEEPtNS0_8identityItEEEE10hipError_tT2_T3_mT4_P12ihipStream_tbEUlT_E_NS1_11comp_targetILNS1_3genE3ELNS1_11target_archE908ELNS1_3gpuE7ELNS1_3repE0EEENS1_30default_config_static_selectorELNS0_4arch9wavefront6targetE1EEEvT1_,comdat
	.protected	_ZN7rocprim17ROCPRIM_400000_NS6detail17trampoline_kernelINS0_14default_configENS1_25transform_config_selectorItLb0EEEZNS1_14transform_implILb0ES3_S5_N6thrust23THRUST_200600_302600_NS6detail15normal_iteratorINS8_10device_ptrItEEEEPtNS0_8identityItEEEE10hipError_tT2_T3_mT4_P12ihipStream_tbEUlT_E_NS1_11comp_targetILNS1_3genE3ELNS1_11target_archE908ELNS1_3gpuE7ELNS1_3repE0EEENS1_30default_config_static_selectorELNS0_4arch9wavefront6targetE1EEEvT1_ ; -- Begin function _ZN7rocprim17ROCPRIM_400000_NS6detail17trampoline_kernelINS0_14default_configENS1_25transform_config_selectorItLb0EEEZNS1_14transform_implILb0ES3_S5_N6thrust23THRUST_200600_302600_NS6detail15normal_iteratorINS8_10device_ptrItEEEEPtNS0_8identityItEEEE10hipError_tT2_T3_mT4_P12ihipStream_tbEUlT_E_NS1_11comp_targetILNS1_3genE3ELNS1_11target_archE908ELNS1_3gpuE7ELNS1_3repE0EEENS1_30default_config_static_selectorELNS0_4arch9wavefront6targetE1EEEvT1_
	.globl	_ZN7rocprim17ROCPRIM_400000_NS6detail17trampoline_kernelINS0_14default_configENS1_25transform_config_selectorItLb0EEEZNS1_14transform_implILb0ES3_S5_N6thrust23THRUST_200600_302600_NS6detail15normal_iteratorINS8_10device_ptrItEEEEPtNS0_8identityItEEEE10hipError_tT2_T3_mT4_P12ihipStream_tbEUlT_E_NS1_11comp_targetILNS1_3genE3ELNS1_11target_archE908ELNS1_3gpuE7ELNS1_3repE0EEENS1_30default_config_static_selectorELNS0_4arch9wavefront6targetE1EEEvT1_
	.p2align	8
	.type	_ZN7rocprim17ROCPRIM_400000_NS6detail17trampoline_kernelINS0_14default_configENS1_25transform_config_selectorItLb0EEEZNS1_14transform_implILb0ES3_S5_N6thrust23THRUST_200600_302600_NS6detail15normal_iteratorINS8_10device_ptrItEEEEPtNS0_8identityItEEEE10hipError_tT2_T3_mT4_P12ihipStream_tbEUlT_E_NS1_11comp_targetILNS1_3genE3ELNS1_11target_archE908ELNS1_3gpuE7ELNS1_3repE0EEENS1_30default_config_static_selectorELNS0_4arch9wavefront6targetE1EEEvT1_,@function
_ZN7rocprim17ROCPRIM_400000_NS6detail17trampoline_kernelINS0_14default_configENS1_25transform_config_selectorItLb0EEEZNS1_14transform_implILb0ES3_S5_N6thrust23THRUST_200600_302600_NS6detail15normal_iteratorINS8_10device_ptrItEEEEPtNS0_8identityItEEEE10hipError_tT2_T3_mT4_P12ihipStream_tbEUlT_E_NS1_11comp_targetILNS1_3genE3ELNS1_11target_archE908ELNS1_3gpuE7ELNS1_3repE0EEENS1_30default_config_static_selectorELNS0_4arch9wavefront6targetE1EEEvT1_: ; @_ZN7rocprim17ROCPRIM_400000_NS6detail17trampoline_kernelINS0_14default_configENS1_25transform_config_selectorItLb0EEEZNS1_14transform_implILb0ES3_S5_N6thrust23THRUST_200600_302600_NS6detail15normal_iteratorINS8_10device_ptrItEEEEPtNS0_8identityItEEEE10hipError_tT2_T3_mT4_P12ihipStream_tbEUlT_E_NS1_11comp_targetILNS1_3genE3ELNS1_11target_archE908ELNS1_3gpuE7ELNS1_3repE0EEENS1_30default_config_static_selectorELNS0_4arch9wavefront6targetE1EEEvT1_
; %bb.0:
	.section	.rodata,"a",@progbits
	.p2align	6, 0x0
	.amdhsa_kernel _ZN7rocprim17ROCPRIM_400000_NS6detail17trampoline_kernelINS0_14default_configENS1_25transform_config_selectorItLb0EEEZNS1_14transform_implILb0ES3_S5_N6thrust23THRUST_200600_302600_NS6detail15normal_iteratorINS8_10device_ptrItEEEEPtNS0_8identityItEEEE10hipError_tT2_T3_mT4_P12ihipStream_tbEUlT_E_NS1_11comp_targetILNS1_3genE3ELNS1_11target_archE908ELNS1_3gpuE7ELNS1_3repE0EEENS1_30default_config_static_selectorELNS0_4arch9wavefront6targetE1EEEvT1_
		.amdhsa_group_segment_fixed_size 0
		.amdhsa_private_segment_fixed_size 0
		.amdhsa_kernarg_size 40
		.amdhsa_user_sgpr_count 2
		.amdhsa_user_sgpr_dispatch_ptr 0
		.amdhsa_user_sgpr_queue_ptr 0
		.amdhsa_user_sgpr_kernarg_segment_ptr 1
		.amdhsa_user_sgpr_dispatch_id 0
		.amdhsa_user_sgpr_kernarg_preload_length 0
		.amdhsa_user_sgpr_kernarg_preload_offset 0
		.amdhsa_user_sgpr_private_segment_size 0
		.amdhsa_uses_dynamic_stack 0
		.amdhsa_enable_private_segment 0
		.amdhsa_system_sgpr_workgroup_id_x 1
		.amdhsa_system_sgpr_workgroup_id_y 0
		.amdhsa_system_sgpr_workgroup_id_z 0
		.amdhsa_system_sgpr_workgroup_info 0
		.amdhsa_system_vgpr_workitem_id 0
		.amdhsa_next_free_vgpr 1
		.amdhsa_next_free_sgpr 0
		.amdhsa_accum_offset 4
		.amdhsa_reserve_vcc 0
		.amdhsa_float_round_mode_32 0
		.amdhsa_float_round_mode_16_64 0
		.amdhsa_float_denorm_mode_32 3
		.amdhsa_float_denorm_mode_16_64 3
		.amdhsa_dx10_clamp 1
		.amdhsa_ieee_mode 1
		.amdhsa_fp16_overflow 0
		.amdhsa_tg_split 0
		.amdhsa_exception_fp_ieee_invalid_op 0
		.amdhsa_exception_fp_denorm_src 0
		.amdhsa_exception_fp_ieee_div_zero 0
		.amdhsa_exception_fp_ieee_overflow 0
		.amdhsa_exception_fp_ieee_underflow 0
		.amdhsa_exception_fp_ieee_inexact 0
		.amdhsa_exception_int_div_zero 0
	.end_amdhsa_kernel
	.section	.text._ZN7rocprim17ROCPRIM_400000_NS6detail17trampoline_kernelINS0_14default_configENS1_25transform_config_selectorItLb0EEEZNS1_14transform_implILb0ES3_S5_N6thrust23THRUST_200600_302600_NS6detail15normal_iteratorINS8_10device_ptrItEEEEPtNS0_8identityItEEEE10hipError_tT2_T3_mT4_P12ihipStream_tbEUlT_E_NS1_11comp_targetILNS1_3genE3ELNS1_11target_archE908ELNS1_3gpuE7ELNS1_3repE0EEENS1_30default_config_static_selectorELNS0_4arch9wavefront6targetE1EEEvT1_,"axG",@progbits,_ZN7rocprim17ROCPRIM_400000_NS6detail17trampoline_kernelINS0_14default_configENS1_25transform_config_selectorItLb0EEEZNS1_14transform_implILb0ES3_S5_N6thrust23THRUST_200600_302600_NS6detail15normal_iteratorINS8_10device_ptrItEEEEPtNS0_8identityItEEEE10hipError_tT2_T3_mT4_P12ihipStream_tbEUlT_E_NS1_11comp_targetILNS1_3genE3ELNS1_11target_archE908ELNS1_3gpuE7ELNS1_3repE0EEENS1_30default_config_static_selectorELNS0_4arch9wavefront6targetE1EEEvT1_,comdat
.Lfunc_end1332:
	.size	_ZN7rocprim17ROCPRIM_400000_NS6detail17trampoline_kernelINS0_14default_configENS1_25transform_config_selectorItLb0EEEZNS1_14transform_implILb0ES3_S5_N6thrust23THRUST_200600_302600_NS6detail15normal_iteratorINS8_10device_ptrItEEEEPtNS0_8identityItEEEE10hipError_tT2_T3_mT4_P12ihipStream_tbEUlT_E_NS1_11comp_targetILNS1_3genE3ELNS1_11target_archE908ELNS1_3gpuE7ELNS1_3repE0EEENS1_30default_config_static_selectorELNS0_4arch9wavefront6targetE1EEEvT1_, .Lfunc_end1332-_ZN7rocprim17ROCPRIM_400000_NS6detail17trampoline_kernelINS0_14default_configENS1_25transform_config_selectorItLb0EEEZNS1_14transform_implILb0ES3_S5_N6thrust23THRUST_200600_302600_NS6detail15normal_iteratorINS8_10device_ptrItEEEEPtNS0_8identityItEEEE10hipError_tT2_T3_mT4_P12ihipStream_tbEUlT_E_NS1_11comp_targetILNS1_3genE3ELNS1_11target_archE908ELNS1_3gpuE7ELNS1_3repE0EEENS1_30default_config_static_selectorELNS0_4arch9wavefront6targetE1EEEvT1_
                                        ; -- End function
	.section	.AMDGPU.csdata,"",@progbits
; Kernel info:
; codeLenInByte = 0
; NumSgprs: 6
; NumVgprs: 0
; NumAgprs: 0
; TotalNumVgprs: 0
; ScratchSize: 0
; MemoryBound: 0
; FloatMode: 240
; IeeeMode: 1
; LDSByteSize: 0 bytes/workgroup (compile time only)
; SGPRBlocks: 0
; VGPRBlocks: 0
; NumSGPRsForWavesPerEU: 6
; NumVGPRsForWavesPerEU: 1
; AccumOffset: 4
; Occupancy: 8
; WaveLimiterHint : 0
; COMPUTE_PGM_RSRC2:SCRATCH_EN: 0
; COMPUTE_PGM_RSRC2:USER_SGPR: 2
; COMPUTE_PGM_RSRC2:TRAP_HANDLER: 0
; COMPUTE_PGM_RSRC2:TGID_X_EN: 1
; COMPUTE_PGM_RSRC2:TGID_Y_EN: 0
; COMPUTE_PGM_RSRC2:TGID_Z_EN: 0
; COMPUTE_PGM_RSRC2:TIDIG_COMP_CNT: 0
; COMPUTE_PGM_RSRC3_GFX90A:ACCUM_OFFSET: 0
; COMPUTE_PGM_RSRC3_GFX90A:TG_SPLIT: 0
	.section	.text._ZN7rocprim17ROCPRIM_400000_NS6detail17trampoline_kernelINS0_14default_configENS1_25transform_config_selectorItLb0EEEZNS1_14transform_implILb0ES3_S5_N6thrust23THRUST_200600_302600_NS6detail15normal_iteratorINS8_10device_ptrItEEEEPtNS0_8identityItEEEE10hipError_tT2_T3_mT4_P12ihipStream_tbEUlT_E_NS1_11comp_targetILNS1_3genE2ELNS1_11target_archE906ELNS1_3gpuE6ELNS1_3repE0EEENS1_30default_config_static_selectorELNS0_4arch9wavefront6targetE1EEEvT1_,"axG",@progbits,_ZN7rocprim17ROCPRIM_400000_NS6detail17trampoline_kernelINS0_14default_configENS1_25transform_config_selectorItLb0EEEZNS1_14transform_implILb0ES3_S5_N6thrust23THRUST_200600_302600_NS6detail15normal_iteratorINS8_10device_ptrItEEEEPtNS0_8identityItEEEE10hipError_tT2_T3_mT4_P12ihipStream_tbEUlT_E_NS1_11comp_targetILNS1_3genE2ELNS1_11target_archE906ELNS1_3gpuE6ELNS1_3repE0EEENS1_30default_config_static_selectorELNS0_4arch9wavefront6targetE1EEEvT1_,comdat
	.protected	_ZN7rocprim17ROCPRIM_400000_NS6detail17trampoline_kernelINS0_14default_configENS1_25transform_config_selectorItLb0EEEZNS1_14transform_implILb0ES3_S5_N6thrust23THRUST_200600_302600_NS6detail15normal_iteratorINS8_10device_ptrItEEEEPtNS0_8identityItEEEE10hipError_tT2_T3_mT4_P12ihipStream_tbEUlT_E_NS1_11comp_targetILNS1_3genE2ELNS1_11target_archE906ELNS1_3gpuE6ELNS1_3repE0EEENS1_30default_config_static_selectorELNS0_4arch9wavefront6targetE1EEEvT1_ ; -- Begin function _ZN7rocprim17ROCPRIM_400000_NS6detail17trampoline_kernelINS0_14default_configENS1_25transform_config_selectorItLb0EEEZNS1_14transform_implILb0ES3_S5_N6thrust23THRUST_200600_302600_NS6detail15normal_iteratorINS8_10device_ptrItEEEEPtNS0_8identityItEEEE10hipError_tT2_T3_mT4_P12ihipStream_tbEUlT_E_NS1_11comp_targetILNS1_3genE2ELNS1_11target_archE906ELNS1_3gpuE6ELNS1_3repE0EEENS1_30default_config_static_selectorELNS0_4arch9wavefront6targetE1EEEvT1_
	.globl	_ZN7rocprim17ROCPRIM_400000_NS6detail17trampoline_kernelINS0_14default_configENS1_25transform_config_selectorItLb0EEEZNS1_14transform_implILb0ES3_S5_N6thrust23THRUST_200600_302600_NS6detail15normal_iteratorINS8_10device_ptrItEEEEPtNS0_8identityItEEEE10hipError_tT2_T3_mT4_P12ihipStream_tbEUlT_E_NS1_11comp_targetILNS1_3genE2ELNS1_11target_archE906ELNS1_3gpuE6ELNS1_3repE0EEENS1_30default_config_static_selectorELNS0_4arch9wavefront6targetE1EEEvT1_
	.p2align	8
	.type	_ZN7rocprim17ROCPRIM_400000_NS6detail17trampoline_kernelINS0_14default_configENS1_25transform_config_selectorItLb0EEEZNS1_14transform_implILb0ES3_S5_N6thrust23THRUST_200600_302600_NS6detail15normal_iteratorINS8_10device_ptrItEEEEPtNS0_8identityItEEEE10hipError_tT2_T3_mT4_P12ihipStream_tbEUlT_E_NS1_11comp_targetILNS1_3genE2ELNS1_11target_archE906ELNS1_3gpuE6ELNS1_3repE0EEENS1_30default_config_static_selectorELNS0_4arch9wavefront6targetE1EEEvT1_,@function
_ZN7rocprim17ROCPRIM_400000_NS6detail17trampoline_kernelINS0_14default_configENS1_25transform_config_selectorItLb0EEEZNS1_14transform_implILb0ES3_S5_N6thrust23THRUST_200600_302600_NS6detail15normal_iteratorINS8_10device_ptrItEEEEPtNS0_8identityItEEEE10hipError_tT2_T3_mT4_P12ihipStream_tbEUlT_E_NS1_11comp_targetILNS1_3genE2ELNS1_11target_archE906ELNS1_3gpuE6ELNS1_3repE0EEENS1_30default_config_static_selectorELNS0_4arch9wavefront6targetE1EEEvT1_: ; @_ZN7rocprim17ROCPRIM_400000_NS6detail17trampoline_kernelINS0_14default_configENS1_25transform_config_selectorItLb0EEEZNS1_14transform_implILb0ES3_S5_N6thrust23THRUST_200600_302600_NS6detail15normal_iteratorINS8_10device_ptrItEEEEPtNS0_8identityItEEEE10hipError_tT2_T3_mT4_P12ihipStream_tbEUlT_E_NS1_11comp_targetILNS1_3genE2ELNS1_11target_archE906ELNS1_3gpuE6ELNS1_3repE0EEENS1_30default_config_static_selectorELNS0_4arch9wavefront6targetE1EEEvT1_
; %bb.0:
	.section	.rodata,"a",@progbits
	.p2align	6, 0x0
	.amdhsa_kernel _ZN7rocprim17ROCPRIM_400000_NS6detail17trampoline_kernelINS0_14default_configENS1_25transform_config_selectorItLb0EEEZNS1_14transform_implILb0ES3_S5_N6thrust23THRUST_200600_302600_NS6detail15normal_iteratorINS8_10device_ptrItEEEEPtNS0_8identityItEEEE10hipError_tT2_T3_mT4_P12ihipStream_tbEUlT_E_NS1_11comp_targetILNS1_3genE2ELNS1_11target_archE906ELNS1_3gpuE6ELNS1_3repE0EEENS1_30default_config_static_selectorELNS0_4arch9wavefront6targetE1EEEvT1_
		.amdhsa_group_segment_fixed_size 0
		.amdhsa_private_segment_fixed_size 0
		.amdhsa_kernarg_size 40
		.amdhsa_user_sgpr_count 2
		.amdhsa_user_sgpr_dispatch_ptr 0
		.amdhsa_user_sgpr_queue_ptr 0
		.amdhsa_user_sgpr_kernarg_segment_ptr 1
		.amdhsa_user_sgpr_dispatch_id 0
		.amdhsa_user_sgpr_kernarg_preload_length 0
		.amdhsa_user_sgpr_kernarg_preload_offset 0
		.amdhsa_user_sgpr_private_segment_size 0
		.amdhsa_uses_dynamic_stack 0
		.amdhsa_enable_private_segment 0
		.amdhsa_system_sgpr_workgroup_id_x 1
		.amdhsa_system_sgpr_workgroup_id_y 0
		.amdhsa_system_sgpr_workgroup_id_z 0
		.amdhsa_system_sgpr_workgroup_info 0
		.amdhsa_system_vgpr_workitem_id 0
		.amdhsa_next_free_vgpr 1
		.amdhsa_next_free_sgpr 0
		.amdhsa_accum_offset 4
		.amdhsa_reserve_vcc 0
		.amdhsa_float_round_mode_32 0
		.amdhsa_float_round_mode_16_64 0
		.amdhsa_float_denorm_mode_32 3
		.amdhsa_float_denorm_mode_16_64 3
		.amdhsa_dx10_clamp 1
		.amdhsa_ieee_mode 1
		.amdhsa_fp16_overflow 0
		.amdhsa_tg_split 0
		.amdhsa_exception_fp_ieee_invalid_op 0
		.amdhsa_exception_fp_denorm_src 0
		.amdhsa_exception_fp_ieee_div_zero 0
		.amdhsa_exception_fp_ieee_overflow 0
		.amdhsa_exception_fp_ieee_underflow 0
		.amdhsa_exception_fp_ieee_inexact 0
		.amdhsa_exception_int_div_zero 0
	.end_amdhsa_kernel
	.section	.text._ZN7rocprim17ROCPRIM_400000_NS6detail17trampoline_kernelINS0_14default_configENS1_25transform_config_selectorItLb0EEEZNS1_14transform_implILb0ES3_S5_N6thrust23THRUST_200600_302600_NS6detail15normal_iteratorINS8_10device_ptrItEEEEPtNS0_8identityItEEEE10hipError_tT2_T3_mT4_P12ihipStream_tbEUlT_E_NS1_11comp_targetILNS1_3genE2ELNS1_11target_archE906ELNS1_3gpuE6ELNS1_3repE0EEENS1_30default_config_static_selectorELNS0_4arch9wavefront6targetE1EEEvT1_,"axG",@progbits,_ZN7rocprim17ROCPRIM_400000_NS6detail17trampoline_kernelINS0_14default_configENS1_25transform_config_selectorItLb0EEEZNS1_14transform_implILb0ES3_S5_N6thrust23THRUST_200600_302600_NS6detail15normal_iteratorINS8_10device_ptrItEEEEPtNS0_8identityItEEEE10hipError_tT2_T3_mT4_P12ihipStream_tbEUlT_E_NS1_11comp_targetILNS1_3genE2ELNS1_11target_archE906ELNS1_3gpuE6ELNS1_3repE0EEENS1_30default_config_static_selectorELNS0_4arch9wavefront6targetE1EEEvT1_,comdat
.Lfunc_end1333:
	.size	_ZN7rocprim17ROCPRIM_400000_NS6detail17trampoline_kernelINS0_14default_configENS1_25transform_config_selectorItLb0EEEZNS1_14transform_implILb0ES3_S5_N6thrust23THRUST_200600_302600_NS6detail15normal_iteratorINS8_10device_ptrItEEEEPtNS0_8identityItEEEE10hipError_tT2_T3_mT4_P12ihipStream_tbEUlT_E_NS1_11comp_targetILNS1_3genE2ELNS1_11target_archE906ELNS1_3gpuE6ELNS1_3repE0EEENS1_30default_config_static_selectorELNS0_4arch9wavefront6targetE1EEEvT1_, .Lfunc_end1333-_ZN7rocprim17ROCPRIM_400000_NS6detail17trampoline_kernelINS0_14default_configENS1_25transform_config_selectorItLb0EEEZNS1_14transform_implILb0ES3_S5_N6thrust23THRUST_200600_302600_NS6detail15normal_iteratorINS8_10device_ptrItEEEEPtNS0_8identityItEEEE10hipError_tT2_T3_mT4_P12ihipStream_tbEUlT_E_NS1_11comp_targetILNS1_3genE2ELNS1_11target_archE906ELNS1_3gpuE6ELNS1_3repE0EEENS1_30default_config_static_selectorELNS0_4arch9wavefront6targetE1EEEvT1_
                                        ; -- End function
	.section	.AMDGPU.csdata,"",@progbits
; Kernel info:
; codeLenInByte = 0
; NumSgprs: 6
; NumVgprs: 0
; NumAgprs: 0
; TotalNumVgprs: 0
; ScratchSize: 0
; MemoryBound: 0
; FloatMode: 240
; IeeeMode: 1
; LDSByteSize: 0 bytes/workgroup (compile time only)
; SGPRBlocks: 0
; VGPRBlocks: 0
; NumSGPRsForWavesPerEU: 6
; NumVGPRsForWavesPerEU: 1
; AccumOffset: 4
; Occupancy: 8
; WaveLimiterHint : 0
; COMPUTE_PGM_RSRC2:SCRATCH_EN: 0
; COMPUTE_PGM_RSRC2:USER_SGPR: 2
; COMPUTE_PGM_RSRC2:TRAP_HANDLER: 0
; COMPUTE_PGM_RSRC2:TGID_X_EN: 1
; COMPUTE_PGM_RSRC2:TGID_Y_EN: 0
; COMPUTE_PGM_RSRC2:TGID_Z_EN: 0
; COMPUTE_PGM_RSRC2:TIDIG_COMP_CNT: 0
; COMPUTE_PGM_RSRC3_GFX90A:ACCUM_OFFSET: 0
; COMPUTE_PGM_RSRC3_GFX90A:TG_SPLIT: 0
	.section	.text._ZN7rocprim17ROCPRIM_400000_NS6detail17trampoline_kernelINS0_14default_configENS1_25transform_config_selectorItLb0EEEZNS1_14transform_implILb0ES3_S5_N6thrust23THRUST_200600_302600_NS6detail15normal_iteratorINS8_10device_ptrItEEEEPtNS0_8identityItEEEE10hipError_tT2_T3_mT4_P12ihipStream_tbEUlT_E_NS1_11comp_targetILNS1_3genE10ELNS1_11target_archE1201ELNS1_3gpuE5ELNS1_3repE0EEENS1_30default_config_static_selectorELNS0_4arch9wavefront6targetE1EEEvT1_,"axG",@progbits,_ZN7rocprim17ROCPRIM_400000_NS6detail17trampoline_kernelINS0_14default_configENS1_25transform_config_selectorItLb0EEEZNS1_14transform_implILb0ES3_S5_N6thrust23THRUST_200600_302600_NS6detail15normal_iteratorINS8_10device_ptrItEEEEPtNS0_8identityItEEEE10hipError_tT2_T3_mT4_P12ihipStream_tbEUlT_E_NS1_11comp_targetILNS1_3genE10ELNS1_11target_archE1201ELNS1_3gpuE5ELNS1_3repE0EEENS1_30default_config_static_selectorELNS0_4arch9wavefront6targetE1EEEvT1_,comdat
	.protected	_ZN7rocprim17ROCPRIM_400000_NS6detail17trampoline_kernelINS0_14default_configENS1_25transform_config_selectorItLb0EEEZNS1_14transform_implILb0ES3_S5_N6thrust23THRUST_200600_302600_NS6detail15normal_iteratorINS8_10device_ptrItEEEEPtNS0_8identityItEEEE10hipError_tT2_T3_mT4_P12ihipStream_tbEUlT_E_NS1_11comp_targetILNS1_3genE10ELNS1_11target_archE1201ELNS1_3gpuE5ELNS1_3repE0EEENS1_30default_config_static_selectorELNS0_4arch9wavefront6targetE1EEEvT1_ ; -- Begin function _ZN7rocprim17ROCPRIM_400000_NS6detail17trampoline_kernelINS0_14default_configENS1_25transform_config_selectorItLb0EEEZNS1_14transform_implILb0ES3_S5_N6thrust23THRUST_200600_302600_NS6detail15normal_iteratorINS8_10device_ptrItEEEEPtNS0_8identityItEEEE10hipError_tT2_T3_mT4_P12ihipStream_tbEUlT_E_NS1_11comp_targetILNS1_3genE10ELNS1_11target_archE1201ELNS1_3gpuE5ELNS1_3repE0EEENS1_30default_config_static_selectorELNS0_4arch9wavefront6targetE1EEEvT1_
	.globl	_ZN7rocprim17ROCPRIM_400000_NS6detail17trampoline_kernelINS0_14default_configENS1_25transform_config_selectorItLb0EEEZNS1_14transform_implILb0ES3_S5_N6thrust23THRUST_200600_302600_NS6detail15normal_iteratorINS8_10device_ptrItEEEEPtNS0_8identityItEEEE10hipError_tT2_T3_mT4_P12ihipStream_tbEUlT_E_NS1_11comp_targetILNS1_3genE10ELNS1_11target_archE1201ELNS1_3gpuE5ELNS1_3repE0EEENS1_30default_config_static_selectorELNS0_4arch9wavefront6targetE1EEEvT1_
	.p2align	8
	.type	_ZN7rocprim17ROCPRIM_400000_NS6detail17trampoline_kernelINS0_14default_configENS1_25transform_config_selectorItLb0EEEZNS1_14transform_implILb0ES3_S5_N6thrust23THRUST_200600_302600_NS6detail15normal_iteratorINS8_10device_ptrItEEEEPtNS0_8identityItEEEE10hipError_tT2_T3_mT4_P12ihipStream_tbEUlT_E_NS1_11comp_targetILNS1_3genE10ELNS1_11target_archE1201ELNS1_3gpuE5ELNS1_3repE0EEENS1_30default_config_static_selectorELNS0_4arch9wavefront6targetE1EEEvT1_,@function
_ZN7rocprim17ROCPRIM_400000_NS6detail17trampoline_kernelINS0_14default_configENS1_25transform_config_selectorItLb0EEEZNS1_14transform_implILb0ES3_S5_N6thrust23THRUST_200600_302600_NS6detail15normal_iteratorINS8_10device_ptrItEEEEPtNS0_8identityItEEEE10hipError_tT2_T3_mT4_P12ihipStream_tbEUlT_E_NS1_11comp_targetILNS1_3genE10ELNS1_11target_archE1201ELNS1_3gpuE5ELNS1_3repE0EEENS1_30default_config_static_selectorELNS0_4arch9wavefront6targetE1EEEvT1_: ; @_ZN7rocprim17ROCPRIM_400000_NS6detail17trampoline_kernelINS0_14default_configENS1_25transform_config_selectorItLb0EEEZNS1_14transform_implILb0ES3_S5_N6thrust23THRUST_200600_302600_NS6detail15normal_iteratorINS8_10device_ptrItEEEEPtNS0_8identityItEEEE10hipError_tT2_T3_mT4_P12ihipStream_tbEUlT_E_NS1_11comp_targetILNS1_3genE10ELNS1_11target_archE1201ELNS1_3gpuE5ELNS1_3repE0EEENS1_30default_config_static_selectorELNS0_4arch9wavefront6targetE1EEEvT1_
; %bb.0:
	.section	.rodata,"a",@progbits
	.p2align	6, 0x0
	.amdhsa_kernel _ZN7rocprim17ROCPRIM_400000_NS6detail17trampoline_kernelINS0_14default_configENS1_25transform_config_selectorItLb0EEEZNS1_14transform_implILb0ES3_S5_N6thrust23THRUST_200600_302600_NS6detail15normal_iteratorINS8_10device_ptrItEEEEPtNS0_8identityItEEEE10hipError_tT2_T3_mT4_P12ihipStream_tbEUlT_E_NS1_11comp_targetILNS1_3genE10ELNS1_11target_archE1201ELNS1_3gpuE5ELNS1_3repE0EEENS1_30default_config_static_selectorELNS0_4arch9wavefront6targetE1EEEvT1_
		.amdhsa_group_segment_fixed_size 0
		.amdhsa_private_segment_fixed_size 0
		.amdhsa_kernarg_size 40
		.amdhsa_user_sgpr_count 2
		.amdhsa_user_sgpr_dispatch_ptr 0
		.amdhsa_user_sgpr_queue_ptr 0
		.amdhsa_user_sgpr_kernarg_segment_ptr 1
		.amdhsa_user_sgpr_dispatch_id 0
		.amdhsa_user_sgpr_kernarg_preload_length 0
		.amdhsa_user_sgpr_kernarg_preload_offset 0
		.amdhsa_user_sgpr_private_segment_size 0
		.amdhsa_uses_dynamic_stack 0
		.amdhsa_enable_private_segment 0
		.amdhsa_system_sgpr_workgroup_id_x 1
		.amdhsa_system_sgpr_workgroup_id_y 0
		.amdhsa_system_sgpr_workgroup_id_z 0
		.amdhsa_system_sgpr_workgroup_info 0
		.amdhsa_system_vgpr_workitem_id 0
		.amdhsa_next_free_vgpr 1
		.amdhsa_next_free_sgpr 0
		.amdhsa_accum_offset 4
		.amdhsa_reserve_vcc 0
		.amdhsa_float_round_mode_32 0
		.amdhsa_float_round_mode_16_64 0
		.amdhsa_float_denorm_mode_32 3
		.amdhsa_float_denorm_mode_16_64 3
		.amdhsa_dx10_clamp 1
		.amdhsa_ieee_mode 1
		.amdhsa_fp16_overflow 0
		.amdhsa_tg_split 0
		.amdhsa_exception_fp_ieee_invalid_op 0
		.amdhsa_exception_fp_denorm_src 0
		.amdhsa_exception_fp_ieee_div_zero 0
		.amdhsa_exception_fp_ieee_overflow 0
		.amdhsa_exception_fp_ieee_underflow 0
		.amdhsa_exception_fp_ieee_inexact 0
		.amdhsa_exception_int_div_zero 0
	.end_amdhsa_kernel
	.section	.text._ZN7rocprim17ROCPRIM_400000_NS6detail17trampoline_kernelINS0_14default_configENS1_25transform_config_selectorItLb0EEEZNS1_14transform_implILb0ES3_S5_N6thrust23THRUST_200600_302600_NS6detail15normal_iteratorINS8_10device_ptrItEEEEPtNS0_8identityItEEEE10hipError_tT2_T3_mT4_P12ihipStream_tbEUlT_E_NS1_11comp_targetILNS1_3genE10ELNS1_11target_archE1201ELNS1_3gpuE5ELNS1_3repE0EEENS1_30default_config_static_selectorELNS0_4arch9wavefront6targetE1EEEvT1_,"axG",@progbits,_ZN7rocprim17ROCPRIM_400000_NS6detail17trampoline_kernelINS0_14default_configENS1_25transform_config_selectorItLb0EEEZNS1_14transform_implILb0ES3_S5_N6thrust23THRUST_200600_302600_NS6detail15normal_iteratorINS8_10device_ptrItEEEEPtNS0_8identityItEEEE10hipError_tT2_T3_mT4_P12ihipStream_tbEUlT_E_NS1_11comp_targetILNS1_3genE10ELNS1_11target_archE1201ELNS1_3gpuE5ELNS1_3repE0EEENS1_30default_config_static_selectorELNS0_4arch9wavefront6targetE1EEEvT1_,comdat
.Lfunc_end1334:
	.size	_ZN7rocprim17ROCPRIM_400000_NS6detail17trampoline_kernelINS0_14default_configENS1_25transform_config_selectorItLb0EEEZNS1_14transform_implILb0ES3_S5_N6thrust23THRUST_200600_302600_NS6detail15normal_iteratorINS8_10device_ptrItEEEEPtNS0_8identityItEEEE10hipError_tT2_T3_mT4_P12ihipStream_tbEUlT_E_NS1_11comp_targetILNS1_3genE10ELNS1_11target_archE1201ELNS1_3gpuE5ELNS1_3repE0EEENS1_30default_config_static_selectorELNS0_4arch9wavefront6targetE1EEEvT1_, .Lfunc_end1334-_ZN7rocprim17ROCPRIM_400000_NS6detail17trampoline_kernelINS0_14default_configENS1_25transform_config_selectorItLb0EEEZNS1_14transform_implILb0ES3_S5_N6thrust23THRUST_200600_302600_NS6detail15normal_iteratorINS8_10device_ptrItEEEEPtNS0_8identityItEEEE10hipError_tT2_T3_mT4_P12ihipStream_tbEUlT_E_NS1_11comp_targetILNS1_3genE10ELNS1_11target_archE1201ELNS1_3gpuE5ELNS1_3repE0EEENS1_30default_config_static_selectorELNS0_4arch9wavefront6targetE1EEEvT1_
                                        ; -- End function
	.section	.AMDGPU.csdata,"",@progbits
; Kernel info:
; codeLenInByte = 0
; NumSgprs: 6
; NumVgprs: 0
; NumAgprs: 0
; TotalNumVgprs: 0
; ScratchSize: 0
; MemoryBound: 0
; FloatMode: 240
; IeeeMode: 1
; LDSByteSize: 0 bytes/workgroup (compile time only)
; SGPRBlocks: 0
; VGPRBlocks: 0
; NumSGPRsForWavesPerEU: 6
; NumVGPRsForWavesPerEU: 1
; AccumOffset: 4
; Occupancy: 8
; WaveLimiterHint : 0
; COMPUTE_PGM_RSRC2:SCRATCH_EN: 0
; COMPUTE_PGM_RSRC2:USER_SGPR: 2
; COMPUTE_PGM_RSRC2:TRAP_HANDLER: 0
; COMPUTE_PGM_RSRC2:TGID_X_EN: 1
; COMPUTE_PGM_RSRC2:TGID_Y_EN: 0
; COMPUTE_PGM_RSRC2:TGID_Z_EN: 0
; COMPUTE_PGM_RSRC2:TIDIG_COMP_CNT: 0
; COMPUTE_PGM_RSRC3_GFX90A:ACCUM_OFFSET: 0
; COMPUTE_PGM_RSRC3_GFX90A:TG_SPLIT: 0
	.section	.text._ZN7rocprim17ROCPRIM_400000_NS6detail17trampoline_kernelINS0_14default_configENS1_25transform_config_selectorItLb0EEEZNS1_14transform_implILb0ES3_S5_N6thrust23THRUST_200600_302600_NS6detail15normal_iteratorINS8_10device_ptrItEEEEPtNS0_8identityItEEEE10hipError_tT2_T3_mT4_P12ihipStream_tbEUlT_E_NS1_11comp_targetILNS1_3genE10ELNS1_11target_archE1200ELNS1_3gpuE4ELNS1_3repE0EEENS1_30default_config_static_selectorELNS0_4arch9wavefront6targetE1EEEvT1_,"axG",@progbits,_ZN7rocprim17ROCPRIM_400000_NS6detail17trampoline_kernelINS0_14default_configENS1_25transform_config_selectorItLb0EEEZNS1_14transform_implILb0ES3_S5_N6thrust23THRUST_200600_302600_NS6detail15normal_iteratorINS8_10device_ptrItEEEEPtNS0_8identityItEEEE10hipError_tT2_T3_mT4_P12ihipStream_tbEUlT_E_NS1_11comp_targetILNS1_3genE10ELNS1_11target_archE1200ELNS1_3gpuE4ELNS1_3repE0EEENS1_30default_config_static_selectorELNS0_4arch9wavefront6targetE1EEEvT1_,comdat
	.protected	_ZN7rocprim17ROCPRIM_400000_NS6detail17trampoline_kernelINS0_14default_configENS1_25transform_config_selectorItLb0EEEZNS1_14transform_implILb0ES3_S5_N6thrust23THRUST_200600_302600_NS6detail15normal_iteratorINS8_10device_ptrItEEEEPtNS0_8identityItEEEE10hipError_tT2_T3_mT4_P12ihipStream_tbEUlT_E_NS1_11comp_targetILNS1_3genE10ELNS1_11target_archE1200ELNS1_3gpuE4ELNS1_3repE0EEENS1_30default_config_static_selectorELNS0_4arch9wavefront6targetE1EEEvT1_ ; -- Begin function _ZN7rocprim17ROCPRIM_400000_NS6detail17trampoline_kernelINS0_14default_configENS1_25transform_config_selectorItLb0EEEZNS1_14transform_implILb0ES3_S5_N6thrust23THRUST_200600_302600_NS6detail15normal_iteratorINS8_10device_ptrItEEEEPtNS0_8identityItEEEE10hipError_tT2_T3_mT4_P12ihipStream_tbEUlT_E_NS1_11comp_targetILNS1_3genE10ELNS1_11target_archE1200ELNS1_3gpuE4ELNS1_3repE0EEENS1_30default_config_static_selectorELNS0_4arch9wavefront6targetE1EEEvT1_
	.globl	_ZN7rocprim17ROCPRIM_400000_NS6detail17trampoline_kernelINS0_14default_configENS1_25transform_config_selectorItLb0EEEZNS1_14transform_implILb0ES3_S5_N6thrust23THRUST_200600_302600_NS6detail15normal_iteratorINS8_10device_ptrItEEEEPtNS0_8identityItEEEE10hipError_tT2_T3_mT4_P12ihipStream_tbEUlT_E_NS1_11comp_targetILNS1_3genE10ELNS1_11target_archE1200ELNS1_3gpuE4ELNS1_3repE0EEENS1_30default_config_static_selectorELNS0_4arch9wavefront6targetE1EEEvT1_
	.p2align	8
	.type	_ZN7rocprim17ROCPRIM_400000_NS6detail17trampoline_kernelINS0_14default_configENS1_25transform_config_selectorItLb0EEEZNS1_14transform_implILb0ES3_S5_N6thrust23THRUST_200600_302600_NS6detail15normal_iteratorINS8_10device_ptrItEEEEPtNS0_8identityItEEEE10hipError_tT2_T3_mT4_P12ihipStream_tbEUlT_E_NS1_11comp_targetILNS1_3genE10ELNS1_11target_archE1200ELNS1_3gpuE4ELNS1_3repE0EEENS1_30default_config_static_selectorELNS0_4arch9wavefront6targetE1EEEvT1_,@function
_ZN7rocprim17ROCPRIM_400000_NS6detail17trampoline_kernelINS0_14default_configENS1_25transform_config_selectorItLb0EEEZNS1_14transform_implILb0ES3_S5_N6thrust23THRUST_200600_302600_NS6detail15normal_iteratorINS8_10device_ptrItEEEEPtNS0_8identityItEEEE10hipError_tT2_T3_mT4_P12ihipStream_tbEUlT_E_NS1_11comp_targetILNS1_3genE10ELNS1_11target_archE1200ELNS1_3gpuE4ELNS1_3repE0EEENS1_30default_config_static_selectorELNS0_4arch9wavefront6targetE1EEEvT1_: ; @_ZN7rocprim17ROCPRIM_400000_NS6detail17trampoline_kernelINS0_14default_configENS1_25transform_config_selectorItLb0EEEZNS1_14transform_implILb0ES3_S5_N6thrust23THRUST_200600_302600_NS6detail15normal_iteratorINS8_10device_ptrItEEEEPtNS0_8identityItEEEE10hipError_tT2_T3_mT4_P12ihipStream_tbEUlT_E_NS1_11comp_targetILNS1_3genE10ELNS1_11target_archE1200ELNS1_3gpuE4ELNS1_3repE0EEENS1_30default_config_static_selectorELNS0_4arch9wavefront6targetE1EEEvT1_
; %bb.0:
	.section	.rodata,"a",@progbits
	.p2align	6, 0x0
	.amdhsa_kernel _ZN7rocprim17ROCPRIM_400000_NS6detail17trampoline_kernelINS0_14default_configENS1_25transform_config_selectorItLb0EEEZNS1_14transform_implILb0ES3_S5_N6thrust23THRUST_200600_302600_NS6detail15normal_iteratorINS8_10device_ptrItEEEEPtNS0_8identityItEEEE10hipError_tT2_T3_mT4_P12ihipStream_tbEUlT_E_NS1_11comp_targetILNS1_3genE10ELNS1_11target_archE1200ELNS1_3gpuE4ELNS1_3repE0EEENS1_30default_config_static_selectorELNS0_4arch9wavefront6targetE1EEEvT1_
		.amdhsa_group_segment_fixed_size 0
		.amdhsa_private_segment_fixed_size 0
		.amdhsa_kernarg_size 40
		.amdhsa_user_sgpr_count 2
		.amdhsa_user_sgpr_dispatch_ptr 0
		.amdhsa_user_sgpr_queue_ptr 0
		.amdhsa_user_sgpr_kernarg_segment_ptr 1
		.amdhsa_user_sgpr_dispatch_id 0
		.amdhsa_user_sgpr_kernarg_preload_length 0
		.amdhsa_user_sgpr_kernarg_preload_offset 0
		.amdhsa_user_sgpr_private_segment_size 0
		.amdhsa_uses_dynamic_stack 0
		.amdhsa_enable_private_segment 0
		.amdhsa_system_sgpr_workgroup_id_x 1
		.amdhsa_system_sgpr_workgroup_id_y 0
		.amdhsa_system_sgpr_workgroup_id_z 0
		.amdhsa_system_sgpr_workgroup_info 0
		.amdhsa_system_vgpr_workitem_id 0
		.amdhsa_next_free_vgpr 1
		.amdhsa_next_free_sgpr 0
		.amdhsa_accum_offset 4
		.amdhsa_reserve_vcc 0
		.amdhsa_float_round_mode_32 0
		.amdhsa_float_round_mode_16_64 0
		.amdhsa_float_denorm_mode_32 3
		.amdhsa_float_denorm_mode_16_64 3
		.amdhsa_dx10_clamp 1
		.amdhsa_ieee_mode 1
		.amdhsa_fp16_overflow 0
		.amdhsa_tg_split 0
		.amdhsa_exception_fp_ieee_invalid_op 0
		.amdhsa_exception_fp_denorm_src 0
		.amdhsa_exception_fp_ieee_div_zero 0
		.amdhsa_exception_fp_ieee_overflow 0
		.amdhsa_exception_fp_ieee_underflow 0
		.amdhsa_exception_fp_ieee_inexact 0
		.amdhsa_exception_int_div_zero 0
	.end_amdhsa_kernel
	.section	.text._ZN7rocprim17ROCPRIM_400000_NS6detail17trampoline_kernelINS0_14default_configENS1_25transform_config_selectorItLb0EEEZNS1_14transform_implILb0ES3_S5_N6thrust23THRUST_200600_302600_NS6detail15normal_iteratorINS8_10device_ptrItEEEEPtNS0_8identityItEEEE10hipError_tT2_T3_mT4_P12ihipStream_tbEUlT_E_NS1_11comp_targetILNS1_3genE10ELNS1_11target_archE1200ELNS1_3gpuE4ELNS1_3repE0EEENS1_30default_config_static_selectorELNS0_4arch9wavefront6targetE1EEEvT1_,"axG",@progbits,_ZN7rocprim17ROCPRIM_400000_NS6detail17trampoline_kernelINS0_14default_configENS1_25transform_config_selectorItLb0EEEZNS1_14transform_implILb0ES3_S5_N6thrust23THRUST_200600_302600_NS6detail15normal_iteratorINS8_10device_ptrItEEEEPtNS0_8identityItEEEE10hipError_tT2_T3_mT4_P12ihipStream_tbEUlT_E_NS1_11comp_targetILNS1_3genE10ELNS1_11target_archE1200ELNS1_3gpuE4ELNS1_3repE0EEENS1_30default_config_static_selectorELNS0_4arch9wavefront6targetE1EEEvT1_,comdat
.Lfunc_end1335:
	.size	_ZN7rocprim17ROCPRIM_400000_NS6detail17trampoline_kernelINS0_14default_configENS1_25transform_config_selectorItLb0EEEZNS1_14transform_implILb0ES3_S5_N6thrust23THRUST_200600_302600_NS6detail15normal_iteratorINS8_10device_ptrItEEEEPtNS0_8identityItEEEE10hipError_tT2_T3_mT4_P12ihipStream_tbEUlT_E_NS1_11comp_targetILNS1_3genE10ELNS1_11target_archE1200ELNS1_3gpuE4ELNS1_3repE0EEENS1_30default_config_static_selectorELNS0_4arch9wavefront6targetE1EEEvT1_, .Lfunc_end1335-_ZN7rocprim17ROCPRIM_400000_NS6detail17trampoline_kernelINS0_14default_configENS1_25transform_config_selectorItLb0EEEZNS1_14transform_implILb0ES3_S5_N6thrust23THRUST_200600_302600_NS6detail15normal_iteratorINS8_10device_ptrItEEEEPtNS0_8identityItEEEE10hipError_tT2_T3_mT4_P12ihipStream_tbEUlT_E_NS1_11comp_targetILNS1_3genE10ELNS1_11target_archE1200ELNS1_3gpuE4ELNS1_3repE0EEENS1_30default_config_static_selectorELNS0_4arch9wavefront6targetE1EEEvT1_
                                        ; -- End function
	.section	.AMDGPU.csdata,"",@progbits
; Kernel info:
; codeLenInByte = 0
; NumSgprs: 6
; NumVgprs: 0
; NumAgprs: 0
; TotalNumVgprs: 0
; ScratchSize: 0
; MemoryBound: 0
; FloatMode: 240
; IeeeMode: 1
; LDSByteSize: 0 bytes/workgroup (compile time only)
; SGPRBlocks: 0
; VGPRBlocks: 0
; NumSGPRsForWavesPerEU: 6
; NumVGPRsForWavesPerEU: 1
; AccumOffset: 4
; Occupancy: 8
; WaveLimiterHint : 0
; COMPUTE_PGM_RSRC2:SCRATCH_EN: 0
; COMPUTE_PGM_RSRC2:USER_SGPR: 2
; COMPUTE_PGM_RSRC2:TRAP_HANDLER: 0
; COMPUTE_PGM_RSRC2:TGID_X_EN: 1
; COMPUTE_PGM_RSRC2:TGID_Y_EN: 0
; COMPUTE_PGM_RSRC2:TGID_Z_EN: 0
; COMPUTE_PGM_RSRC2:TIDIG_COMP_CNT: 0
; COMPUTE_PGM_RSRC3_GFX90A:ACCUM_OFFSET: 0
; COMPUTE_PGM_RSRC3_GFX90A:TG_SPLIT: 0
	.section	.text._ZN7rocprim17ROCPRIM_400000_NS6detail17trampoline_kernelINS0_14default_configENS1_25transform_config_selectorItLb0EEEZNS1_14transform_implILb0ES3_S5_N6thrust23THRUST_200600_302600_NS6detail15normal_iteratorINS8_10device_ptrItEEEEPtNS0_8identityItEEEE10hipError_tT2_T3_mT4_P12ihipStream_tbEUlT_E_NS1_11comp_targetILNS1_3genE9ELNS1_11target_archE1100ELNS1_3gpuE3ELNS1_3repE0EEENS1_30default_config_static_selectorELNS0_4arch9wavefront6targetE1EEEvT1_,"axG",@progbits,_ZN7rocprim17ROCPRIM_400000_NS6detail17trampoline_kernelINS0_14default_configENS1_25transform_config_selectorItLb0EEEZNS1_14transform_implILb0ES3_S5_N6thrust23THRUST_200600_302600_NS6detail15normal_iteratorINS8_10device_ptrItEEEEPtNS0_8identityItEEEE10hipError_tT2_T3_mT4_P12ihipStream_tbEUlT_E_NS1_11comp_targetILNS1_3genE9ELNS1_11target_archE1100ELNS1_3gpuE3ELNS1_3repE0EEENS1_30default_config_static_selectorELNS0_4arch9wavefront6targetE1EEEvT1_,comdat
	.protected	_ZN7rocprim17ROCPRIM_400000_NS6detail17trampoline_kernelINS0_14default_configENS1_25transform_config_selectorItLb0EEEZNS1_14transform_implILb0ES3_S5_N6thrust23THRUST_200600_302600_NS6detail15normal_iteratorINS8_10device_ptrItEEEEPtNS0_8identityItEEEE10hipError_tT2_T3_mT4_P12ihipStream_tbEUlT_E_NS1_11comp_targetILNS1_3genE9ELNS1_11target_archE1100ELNS1_3gpuE3ELNS1_3repE0EEENS1_30default_config_static_selectorELNS0_4arch9wavefront6targetE1EEEvT1_ ; -- Begin function _ZN7rocprim17ROCPRIM_400000_NS6detail17trampoline_kernelINS0_14default_configENS1_25transform_config_selectorItLb0EEEZNS1_14transform_implILb0ES3_S5_N6thrust23THRUST_200600_302600_NS6detail15normal_iteratorINS8_10device_ptrItEEEEPtNS0_8identityItEEEE10hipError_tT2_T3_mT4_P12ihipStream_tbEUlT_E_NS1_11comp_targetILNS1_3genE9ELNS1_11target_archE1100ELNS1_3gpuE3ELNS1_3repE0EEENS1_30default_config_static_selectorELNS0_4arch9wavefront6targetE1EEEvT1_
	.globl	_ZN7rocprim17ROCPRIM_400000_NS6detail17trampoline_kernelINS0_14default_configENS1_25transform_config_selectorItLb0EEEZNS1_14transform_implILb0ES3_S5_N6thrust23THRUST_200600_302600_NS6detail15normal_iteratorINS8_10device_ptrItEEEEPtNS0_8identityItEEEE10hipError_tT2_T3_mT4_P12ihipStream_tbEUlT_E_NS1_11comp_targetILNS1_3genE9ELNS1_11target_archE1100ELNS1_3gpuE3ELNS1_3repE0EEENS1_30default_config_static_selectorELNS0_4arch9wavefront6targetE1EEEvT1_
	.p2align	8
	.type	_ZN7rocprim17ROCPRIM_400000_NS6detail17trampoline_kernelINS0_14default_configENS1_25transform_config_selectorItLb0EEEZNS1_14transform_implILb0ES3_S5_N6thrust23THRUST_200600_302600_NS6detail15normal_iteratorINS8_10device_ptrItEEEEPtNS0_8identityItEEEE10hipError_tT2_T3_mT4_P12ihipStream_tbEUlT_E_NS1_11comp_targetILNS1_3genE9ELNS1_11target_archE1100ELNS1_3gpuE3ELNS1_3repE0EEENS1_30default_config_static_selectorELNS0_4arch9wavefront6targetE1EEEvT1_,@function
_ZN7rocprim17ROCPRIM_400000_NS6detail17trampoline_kernelINS0_14default_configENS1_25transform_config_selectorItLb0EEEZNS1_14transform_implILb0ES3_S5_N6thrust23THRUST_200600_302600_NS6detail15normal_iteratorINS8_10device_ptrItEEEEPtNS0_8identityItEEEE10hipError_tT2_T3_mT4_P12ihipStream_tbEUlT_E_NS1_11comp_targetILNS1_3genE9ELNS1_11target_archE1100ELNS1_3gpuE3ELNS1_3repE0EEENS1_30default_config_static_selectorELNS0_4arch9wavefront6targetE1EEEvT1_: ; @_ZN7rocprim17ROCPRIM_400000_NS6detail17trampoline_kernelINS0_14default_configENS1_25transform_config_selectorItLb0EEEZNS1_14transform_implILb0ES3_S5_N6thrust23THRUST_200600_302600_NS6detail15normal_iteratorINS8_10device_ptrItEEEEPtNS0_8identityItEEEE10hipError_tT2_T3_mT4_P12ihipStream_tbEUlT_E_NS1_11comp_targetILNS1_3genE9ELNS1_11target_archE1100ELNS1_3gpuE3ELNS1_3repE0EEENS1_30default_config_static_selectorELNS0_4arch9wavefront6targetE1EEEvT1_
; %bb.0:
	.section	.rodata,"a",@progbits
	.p2align	6, 0x0
	.amdhsa_kernel _ZN7rocprim17ROCPRIM_400000_NS6detail17trampoline_kernelINS0_14default_configENS1_25transform_config_selectorItLb0EEEZNS1_14transform_implILb0ES3_S5_N6thrust23THRUST_200600_302600_NS6detail15normal_iteratorINS8_10device_ptrItEEEEPtNS0_8identityItEEEE10hipError_tT2_T3_mT4_P12ihipStream_tbEUlT_E_NS1_11comp_targetILNS1_3genE9ELNS1_11target_archE1100ELNS1_3gpuE3ELNS1_3repE0EEENS1_30default_config_static_selectorELNS0_4arch9wavefront6targetE1EEEvT1_
		.amdhsa_group_segment_fixed_size 0
		.amdhsa_private_segment_fixed_size 0
		.amdhsa_kernarg_size 40
		.amdhsa_user_sgpr_count 2
		.amdhsa_user_sgpr_dispatch_ptr 0
		.amdhsa_user_sgpr_queue_ptr 0
		.amdhsa_user_sgpr_kernarg_segment_ptr 1
		.amdhsa_user_sgpr_dispatch_id 0
		.amdhsa_user_sgpr_kernarg_preload_length 0
		.amdhsa_user_sgpr_kernarg_preload_offset 0
		.amdhsa_user_sgpr_private_segment_size 0
		.amdhsa_uses_dynamic_stack 0
		.amdhsa_enable_private_segment 0
		.amdhsa_system_sgpr_workgroup_id_x 1
		.amdhsa_system_sgpr_workgroup_id_y 0
		.amdhsa_system_sgpr_workgroup_id_z 0
		.amdhsa_system_sgpr_workgroup_info 0
		.amdhsa_system_vgpr_workitem_id 0
		.amdhsa_next_free_vgpr 1
		.amdhsa_next_free_sgpr 0
		.amdhsa_accum_offset 4
		.amdhsa_reserve_vcc 0
		.amdhsa_float_round_mode_32 0
		.amdhsa_float_round_mode_16_64 0
		.amdhsa_float_denorm_mode_32 3
		.amdhsa_float_denorm_mode_16_64 3
		.amdhsa_dx10_clamp 1
		.amdhsa_ieee_mode 1
		.amdhsa_fp16_overflow 0
		.amdhsa_tg_split 0
		.amdhsa_exception_fp_ieee_invalid_op 0
		.amdhsa_exception_fp_denorm_src 0
		.amdhsa_exception_fp_ieee_div_zero 0
		.amdhsa_exception_fp_ieee_overflow 0
		.amdhsa_exception_fp_ieee_underflow 0
		.amdhsa_exception_fp_ieee_inexact 0
		.amdhsa_exception_int_div_zero 0
	.end_amdhsa_kernel
	.section	.text._ZN7rocprim17ROCPRIM_400000_NS6detail17trampoline_kernelINS0_14default_configENS1_25transform_config_selectorItLb0EEEZNS1_14transform_implILb0ES3_S5_N6thrust23THRUST_200600_302600_NS6detail15normal_iteratorINS8_10device_ptrItEEEEPtNS0_8identityItEEEE10hipError_tT2_T3_mT4_P12ihipStream_tbEUlT_E_NS1_11comp_targetILNS1_3genE9ELNS1_11target_archE1100ELNS1_3gpuE3ELNS1_3repE0EEENS1_30default_config_static_selectorELNS0_4arch9wavefront6targetE1EEEvT1_,"axG",@progbits,_ZN7rocprim17ROCPRIM_400000_NS6detail17trampoline_kernelINS0_14default_configENS1_25transform_config_selectorItLb0EEEZNS1_14transform_implILb0ES3_S5_N6thrust23THRUST_200600_302600_NS6detail15normal_iteratorINS8_10device_ptrItEEEEPtNS0_8identityItEEEE10hipError_tT2_T3_mT4_P12ihipStream_tbEUlT_E_NS1_11comp_targetILNS1_3genE9ELNS1_11target_archE1100ELNS1_3gpuE3ELNS1_3repE0EEENS1_30default_config_static_selectorELNS0_4arch9wavefront6targetE1EEEvT1_,comdat
.Lfunc_end1336:
	.size	_ZN7rocprim17ROCPRIM_400000_NS6detail17trampoline_kernelINS0_14default_configENS1_25transform_config_selectorItLb0EEEZNS1_14transform_implILb0ES3_S5_N6thrust23THRUST_200600_302600_NS6detail15normal_iteratorINS8_10device_ptrItEEEEPtNS0_8identityItEEEE10hipError_tT2_T3_mT4_P12ihipStream_tbEUlT_E_NS1_11comp_targetILNS1_3genE9ELNS1_11target_archE1100ELNS1_3gpuE3ELNS1_3repE0EEENS1_30default_config_static_selectorELNS0_4arch9wavefront6targetE1EEEvT1_, .Lfunc_end1336-_ZN7rocprim17ROCPRIM_400000_NS6detail17trampoline_kernelINS0_14default_configENS1_25transform_config_selectorItLb0EEEZNS1_14transform_implILb0ES3_S5_N6thrust23THRUST_200600_302600_NS6detail15normal_iteratorINS8_10device_ptrItEEEEPtNS0_8identityItEEEE10hipError_tT2_T3_mT4_P12ihipStream_tbEUlT_E_NS1_11comp_targetILNS1_3genE9ELNS1_11target_archE1100ELNS1_3gpuE3ELNS1_3repE0EEENS1_30default_config_static_selectorELNS0_4arch9wavefront6targetE1EEEvT1_
                                        ; -- End function
	.section	.AMDGPU.csdata,"",@progbits
; Kernel info:
; codeLenInByte = 0
; NumSgprs: 6
; NumVgprs: 0
; NumAgprs: 0
; TotalNumVgprs: 0
; ScratchSize: 0
; MemoryBound: 0
; FloatMode: 240
; IeeeMode: 1
; LDSByteSize: 0 bytes/workgroup (compile time only)
; SGPRBlocks: 0
; VGPRBlocks: 0
; NumSGPRsForWavesPerEU: 6
; NumVGPRsForWavesPerEU: 1
; AccumOffset: 4
; Occupancy: 8
; WaveLimiterHint : 0
; COMPUTE_PGM_RSRC2:SCRATCH_EN: 0
; COMPUTE_PGM_RSRC2:USER_SGPR: 2
; COMPUTE_PGM_RSRC2:TRAP_HANDLER: 0
; COMPUTE_PGM_RSRC2:TGID_X_EN: 1
; COMPUTE_PGM_RSRC2:TGID_Y_EN: 0
; COMPUTE_PGM_RSRC2:TGID_Z_EN: 0
; COMPUTE_PGM_RSRC2:TIDIG_COMP_CNT: 0
; COMPUTE_PGM_RSRC3_GFX90A:ACCUM_OFFSET: 0
; COMPUTE_PGM_RSRC3_GFX90A:TG_SPLIT: 0
	.section	.text._ZN7rocprim17ROCPRIM_400000_NS6detail17trampoline_kernelINS0_14default_configENS1_25transform_config_selectorItLb0EEEZNS1_14transform_implILb0ES3_S5_N6thrust23THRUST_200600_302600_NS6detail15normal_iteratorINS8_10device_ptrItEEEEPtNS0_8identityItEEEE10hipError_tT2_T3_mT4_P12ihipStream_tbEUlT_E_NS1_11comp_targetILNS1_3genE8ELNS1_11target_archE1030ELNS1_3gpuE2ELNS1_3repE0EEENS1_30default_config_static_selectorELNS0_4arch9wavefront6targetE1EEEvT1_,"axG",@progbits,_ZN7rocprim17ROCPRIM_400000_NS6detail17trampoline_kernelINS0_14default_configENS1_25transform_config_selectorItLb0EEEZNS1_14transform_implILb0ES3_S5_N6thrust23THRUST_200600_302600_NS6detail15normal_iteratorINS8_10device_ptrItEEEEPtNS0_8identityItEEEE10hipError_tT2_T3_mT4_P12ihipStream_tbEUlT_E_NS1_11comp_targetILNS1_3genE8ELNS1_11target_archE1030ELNS1_3gpuE2ELNS1_3repE0EEENS1_30default_config_static_selectorELNS0_4arch9wavefront6targetE1EEEvT1_,comdat
	.protected	_ZN7rocprim17ROCPRIM_400000_NS6detail17trampoline_kernelINS0_14default_configENS1_25transform_config_selectorItLb0EEEZNS1_14transform_implILb0ES3_S5_N6thrust23THRUST_200600_302600_NS6detail15normal_iteratorINS8_10device_ptrItEEEEPtNS0_8identityItEEEE10hipError_tT2_T3_mT4_P12ihipStream_tbEUlT_E_NS1_11comp_targetILNS1_3genE8ELNS1_11target_archE1030ELNS1_3gpuE2ELNS1_3repE0EEENS1_30default_config_static_selectorELNS0_4arch9wavefront6targetE1EEEvT1_ ; -- Begin function _ZN7rocprim17ROCPRIM_400000_NS6detail17trampoline_kernelINS0_14default_configENS1_25transform_config_selectorItLb0EEEZNS1_14transform_implILb0ES3_S5_N6thrust23THRUST_200600_302600_NS6detail15normal_iteratorINS8_10device_ptrItEEEEPtNS0_8identityItEEEE10hipError_tT2_T3_mT4_P12ihipStream_tbEUlT_E_NS1_11comp_targetILNS1_3genE8ELNS1_11target_archE1030ELNS1_3gpuE2ELNS1_3repE0EEENS1_30default_config_static_selectorELNS0_4arch9wavefront6targetE1EEEvT1_
	.globl	_ZN7rocprim17ROCPRIM_400000_NS6detail17trampoline_kernelINS0_14default_configENS1_25transform_config_selectorItLb0EEEZNS1_14transform_implILb0ES3_S5_N6thrust23THRUST_200600_302600_NS6detail15normal_iteratorINS8_10device_ptrItEEEEPtNS0_8identityItEEEE10hipError_tT2_T3_mT4_P12ihipStream_tbEUlT_E_NS1_11comp_targetILNS1_3genE8ELNS1_11target_archE1030ELNS1_3gpuE2ELNS1_3repE0EEENS1_30default_config_static_selectorELNS0_4arch9wavefront6targetE1EEEvT1_
	.p2align	8
	.type	_ZN7rocprim17ROCPRIM_400000_NS6detail17trampoline_kernelINS0_14default_configENS1_25transform_config_selectorItLb0EEEZNS1_14transform_implILb0ES3_S5_N6thrust23THRUST_200600_302600_NS6detail15normal_iteratorINS8_10device_ptrItEEEEPtNS0_8identityItEEEE10hipError_tT2_T3_mT4_P12ihipStream_tbEUlT_E_NS1_11comp_targetILNS1_3genE8ELNS1_11target_archE1030ELNS1_3gpuE2ELNS1_3repE0EEENS1_30default_config_static_selectorELNS0_4arch9wavefront6targetE1EEEvT1_,@function
_ZN7rocprim17ROCPRIM_400000_NS6detail17trampoline_kernelINS0_14default_configENS1_25transform_config_selectorItLb0EEEZNS1_14transform_implILb0ES3_S5_N6thrust23THRUST_200600_302600_NS6detail15normal_iteratorINS8_10device_ptrItEEEEPtNS0_8identityItEEEE10hipError_tT2_T3_mT4_P12ihipStream_tbEUlT_E_NS1_11comp_targetILNS1_3genE8ELNS1_11target_archE1030ELNS1_3gpuE2ELNS1_3repE0EEENS1_30default_config_static_selectorELNS0_4arch9wavefront6targetE1EEEvT1_: ; @_ZN7rocprim17ROCPRIM_400000_NS6detail17trampoline_kernelINS0_14default_configENS1_25transform_config_selectorItLb0EEEZNS1_14transform_implILb0ES3_S5_N6thrust23THRUST_200600_302600_NS6detail15normal_iteratorINS8_10device_ptrItEEEEPtNS0_8identityItEEEE10hipError_tT2_T3_mT4_P12ihipStream_tbEUlT_E_NS1_11comp_targetILNS1_3genE8ELNS1_11target_archE1030ELNS1_3gpuE2ELNS1_3repE0EEENS1_30default_config_static_selectorELNS0_4arch9wavefront6targetE1EEEvT1_
; %bb.0:
	.section	.rodata,"a",@progbits
	.p2align	6, 0x0
	.amdhsa_kernel _ZN7rocprim17ROCPRIM_400000_NS6detail17trampoline_kernelINS0_14default_configENS1_25transform_config_selectorItLb0EEEZNS1_14transform_implILb0ES3_S5_N6thrust23THRUST_200600_302600_NS6detail15normal_iteratorINS8_10device_ptrItEEEEPtNS0_8identityItEEEE10hipError_tT2_T3_mT4_P12ihipStream_tbEUlT_E_NS1_11comp_targetILNS1_3genE8ELNS1_11target_archE1030ELNS1_3gpuE2ELNS1_3repE0EEENS1_30default_config_static_selectorELNS0_4arch9wavefront6targetE1EEEvT1_
		.amdhsa_group_segment_fixed_size 0
		.amdhsa_private_segment_fixed_size 0
		.amdhsa_kernarg_size 40
		.amdhsa_user_sgpr_count 2
		.amdhsa_user_sgpr_dispatch_ptr 0
		.amdhsa_user_sgpr_queue_ptr 0
		.amdhsa_user_sgpr_kernarg_segment_ptr 1
		.amdhsa_user_sgpr_dispatch_id 0
		.amdhsa_user_sgpr_kernarg_preload_length 0
		.amdhsa_user_sgpr_kernarg_preload_offset 0
		.amdhsa_user_sgpr_private_segment_size 0
		.amdhsa_uses_dynamic_stack 0
		.amdhsa_enable_private_segment 0
		.amdhsa_system_sgpr_workgroup_id_x 1
		.amdhsa_system_sgpr_workgroup_id_y 0
		.amdhsa_system_sgpr_workgroup_id_z 0
		.amdhsa_system_sgpr_workgroup_info 0
		.amdhsa_system_vgpr_workitem_id 0
		.amdhsa_next_free_vgpr 1
		.amdhsa_next_free_sgpr 0
		.amdhsa_accum_offset 4
		.amdhsa_reserve_vcc 0
		.amdhsa_float_round_mode_32 0
		.amdhsa_float_round_mode_16_64 0
		.amdhsa_float_denorm_mode_32 3
		.amdhsa_float_denorm_mode_16_64 3
		.amdhsa_dx10_clamp 1
		.amdhsa_ieee_mode 1
		.amdhsa_fp16_overflow 0
		.amdhsa_tg_split 0
		.amdhsa_exception_fp_ieee_invalid_op 0
		.amdhsa_exception_fp_denorm_src 0
		.amdhsa_exception_fp_ieee_div_zero 0
		.amdhsa_exception_fp_ieee_overflow 0
		.amdhsa_exception_fp_ieee_underflow 0
		.amdhsa_exception_fp_ieee_inexact 0
		.amdhsa_exception_int_div_zero 0
	.end_amdhsa_kernel
	.section	.text._ZN7rocprim17ROCPRIM_400000_NS6detail17trampoline_kernelINS0_14default_configENS1_25transform_config_selectorItLb0EEEZNS1_14transform_implILb0ES3_S5_N6thrust23THRUST_200600_302600_NS6detail15normal_iteratorINS8_10device_ptrItEEEEPtNS0_8identityItEEEE10hipError_tT2_T3_mT4_P12ihipStream_tbEUlT_E_NS1_11comp_targetILNS1_3genE8ELNS1_11target_archE1030ELNS1_3gpuE2ELNS1_3repE0EEENS1_30default_config_static_selectorELNS0_4arch9wavefront6targetE1EEEvT1_,"axG",@progbits,_ZN7rocprim17ROCPRIM_400000_NS6detail17trampoline_kernelINS0_14default_configENS1_25transform_config_selectorItLb0EEEZNS1_14transform_implILb0ES3_S5_N6thrust23THRUST_200600_302600_NS6detail15normal_iteratorINS8_10device_ptrItEEEEPtNS0_8identityItEEEE10hipError_tT2_T3_mT4_P12ihipStream_tbEUlT_E_NS1_11comp_targetILNS1_3genE8ELNS1_11target_archE1030ELNS1_3gpuE2ELNS1_3repE0EEENS1_30default_config_static_selectorELNS0_4arch9wavefront6targetE1EEEvT1_,comdat
.Lfunc_end1337:
	.size	_ZN7rocprim17ROCPRIM_400000_NS6detail17trampoline_kernelINS0_14default_configENS1_25transform_config_selectorItLb0EEEZNS1_14transform_implILb0ES3_S5_N6thrust23THRUST_200600_302600_NS6detail15normal_iteratorINS8_10device_ptrItEEEEPtNS0_8identityItEEEE10hipError_tT2_T3_mT4_P12ihipStream_tbEUlT_E_NS1_11comp_targetILNS1_3genE8ELNS1_11target_archE1030ELNS1_3gpuE2ELNS1_3repE0EEENS1_30default_config_static_selectorELNS0_4arch9wavefront6targetE1EEEvT1_, .Lfunc_end1337-_ZN7rocprim17ROCPRIM_400000_NS6detail17trampoline_kernelINS0_14default_configENS1_25transform_config_selectorItLb0EEEZNS1_14transform_implILb0ES3_S5_N6thrust23THRUST_200600_302600_NS6detail15normal_iteratorINS8_10device_ptrItEEEEPtNS0_8identityItEEEE10hipError_tT2_T3_mT4_P12ihipStream_tbEUlT_E_NS1_11comp_targetILNS1_3genE8ELNS1_11target_archE1030ELNS1_3gpuE2ELNS1_3repE0EEENS1_30default_config_static_selectorELNS0_4arch9wavefront6targetE1EEEvT1_
                                        ; -- End function
	.section	.AMDGPU.csdata,"",@progbits
; Kernel info:
; codeLenInByte = 0
; NumSgprs: 6
; NumVgprs: 0
; NumAgprs: 0
; TotalNumVgprs: 0
; ScratchSize: 0
; MemoryBound: 0
; FloatMode: 240
; IeeeMode: 1
; LDSByteSize: 0 bytes/workgroup (compile time only)
; SGPRBlocks: 0
; VGPRBlocks: 0
; NumSGPRsForWavesPerEU: 6
; NumVGPRsForWavesPerEU: 1
; AccumOffset: 4
; Occupancy: 8
; WaveLimiterHint : 0
; COMPUTE_PGM_RSRC2:SCRATCH_EN: 0
; COMPUTE_PGM_RSRC2:USER_SGPR: 2
; COMPUTE_PGM_RSRC2:TRAP_HANDLER: 0
; COMPUTE_PGM_RSRC2:TGID_X_EN: 1
; COMPUTE_PGM_RSRC2:TGID_Y_EN: 0
; COMPUTE_PGM_RSRC2:TGID_Z_EN: 0
; COMPUTE_PGM_RSRC2:TIDIG_COMP_CNT: 0
; COMPUTE_PGM_RSRC3_GFX90A:ACCUM_OFFSET: 0
; COMPUTE_PGM_RSRC3_GFX90A:TG_SPLIT: 0
	.section	.text._ZN7rocprim17ROCPRIM_400000_NS6detail17trampoline_kernelINS0_14default_configENS1_35radix_sort_onesweep_config_selectorItNS0_10empty_typeEEEZZNS1_29radix_sort_onesweep_iterationIS3_Lb0EN6thrust23THRUST_200600_302600_NS6detail15normal_iteratorINS9_10device_ptrItEEEESE_PS5_SF_jNS0_19identity_decomposerENS1_16block_id_wrapperIjLb1EEEEE10hipError_tT1_PNSt15iterator_traitsISK_E10value_typeET2_T3_PNSL_ISQ_E10value_typeET4_T5_PSV_SW_PNS1_23onesweep_lookback_stateEbbT6_jjT7_P12ihipStream_tbENKUlT_T0_SK_SP_E_clISE_SE_SF_SF_EEDaS13_S14_SK_SP_EUlS13_E_NS1_11comp_targetILNS1_3genE0ELNS1_11target_archE4294967295ELNS1_3gpuE0ELNS1_3repE0EEENS1_47radix_sort_onesweep_sort_config_static_selectorELNS0_4arch9wavefront6targetE1EEEvSK_,"axG",@progbits,_ZN7rocprim17ROCPRIM_400000_NS6detail17trampoline_kernelINS0_14default_configENS1_35radix_sort_onesweep_config_selectorItNS0_10empty_typeEEEZZNS1_29radix_sort_onesweep_iterationIS3_Lb0EN6thrust23THRUST_200600_302600_NS6detail15normal_iteratorINS9_10device_ptrItEEEESE_PS5_SF_jNS0_19identity_decomposerENS1_16block_id_wrapperIjLb1EEEEE10hipError_tT1_PNSt15iterator_traitsISK_E10value_typeET2_T3_PNSL_ISQ_E10value_typeET4_T5_PSV_SW_PNS1_23onesweep_lookback_stateEbbT6_jjT7_P12ihipStream_tbENKUlT_T0_SK_SP_E_clISE_SE_SF_SF_EEDaS13_S14_SK_SP_EUlS13_E_NS1_11comp_targetILNS1_3genE0ELNS1_11target_archE4294967295ELNS1_3gpuE0ELNS1_3repE0EEENS1_47radix_sort_onesweep_sort_config_static_selectorELNS0_4arch9wavefront6targetE1EEEvSK_,comdat
	.protected	_ZN7rocprim17ROCPRIM_400000_NS6detail17trampoline_kernelINS0_14default_configENS1_35radix_sort_onesweep_config_selectorItNS0_10empty_typeEEEZZNS1_29radix_sort_onesweep_iterationIS3_Lb0EN6thrust23THRUST_200600_302600_NS6detail15normal_iteratorINS9_10device_ptrItEEEESE_PS5_SF_jNS0_19identity_decomposerENS1_16block_id_wrapperIjLb1EEEEE10hipError_tT1_PNSt15iterator_traitsISK_E10value_typeET2_T3_PNSL_ISQ_E10value_typeET4_T5_PSV_SW_PNS1_23onesweep_lookback_stateEbbT6_jjT7_P12ihipStream_tbENKUlT_T0_SK_SP_E_clISE_SE_SF_SF_EEDaS13_S14_SK_SP_EUlS13_E_NS1_11comp_targetILNS1_3genE0ELNS1_11target_archE4294967295ELNS1_3gpuE0ELNS1_3repE0EEENS1_47radix_sort_onesweep_sort_config_static_selectorELNS0_4arch9wavefront6targetE1EEEvSK_ ; -- Begin function _ZN7rocprim17ROCPRIM_400000_NS6detail17trampoline_kernelINS0_14default_configENS1_35radix_sort_onesweep_config_selectorItNS0_10empty_typeEEEZZNS1_29radix_sort_onesweep_iterationIS3_Lb0EN6thrust23THRUST_200600_302600_NS6detail15normal_iteratorINS9_10device_ptrItEEEESE_PS5_SF_jNS0_19identity_decomposerENS1_16block_id_wrapperIjLb1EEEEE10hipError_tT1_PNSt15iterator_traitsISK_E10value_typeET2_T3_PNSL_ISQ_E10value_typeET4_T5_PSV_SW_PNS1_23onesweep_lookback_stateEbbT6_jjT7_P12ihipStream_tbENKUlT_T0_SK_SP_E_clISE_SE_SF_SF_EEDaS13_S14_SK_SP_EUlS13_E_NS1_11comp_targetILNS1_3genE0ELNS1_11target_archE4294967295ELNS1_3gpuE0ELNS1_3repE0EEENS1_47radix_sort_onesweep_sort_config_static_selectorELNS0_4arch9wavefront6targetE1EEEvSK_
	.globl	_ZN7rocprim17ROCPRIM_400000_NS6detail17trampoline_kernelINS0_14default_configENS1_35radix_sort_onesweep_config_selectorItNS0_10empty_typeEEEZZNS1_29radix_sort_onesweep_iterationIS3_Lb0EN6thrust23THRUST_200600_302600_NS6detail15normal_iteratorINS9_10device_ptrItEEEESE_PS5_SF_jNS0_19identity_decomposerENS1_16block_id_wrapperIjLb1EEEEE10hipError_tT1_PNSt15iterator_traitsISK_E10value_typeET2_T3_PNSL_ISQ_E10value_typeET4_T5_PSV_SW_PNS1_23onesweep_lookback_stateEbbT6_jjT7_P12ihipStream_tbENKUlT_T0_SK_SP_E_clISE_SE_SF_SF_EEDaS13_S14_SK_SP_EUlS13_E_NS1_11comp_targetILNS1_3genE0ELNS1_11target_archE4294967295ELNS1_3gpuE0ELNS1_3repE0EEENS1_47radix_sort_onesweep_sort_config_static_selectorELNS0_4arch9wavefront6targetE1EEEvSK_
	.p2align	8
	.type	_ZN7rocprim17ROCPRIM_400000_NS6detail17trampoline_kernelINS0_14default_configENS1_35radix_sort_onesweep_config_selectorItNS0_10empty_typeEEEZZNS1_29radix_sort_onesweep_iterationIS3_Lb0EN6thrust23THRUST_200600_302600_NS6detail15normal_iteratorINS9_10device_ptrItEEEESE_PS5_SF_jNS0_19identity_decomposerENS1_16block_id_wrapperIjLb1EEEEE10hipError_tT1_PNSt15iterator_traitsISK_E10value_typeET2_T3_PNSL_ISQ_E10value_typeET4_T5_PSV_SW_PNS1_23onesweep_lookback_stateEbbT6_jjT7_P12ihipStream_tbENKUlT_T0_SK_SP_E_clISE_SE_SF_SF_EEDaS13_S14_SK_SP_EUlS13_E_NS1_11comp_targetILNS1_3genE0ELNS1_11target_archE4294967295ELNS1_3gpuE0ELNS1_3repE0EEENS1_47radix_sort_onesweep_sort_config_static_selectorELNS0_4arch9wavefront6targetE1EEEvSK_,@function
_ZN7rocprim17ROCPRIM_400000_NS6detail17trampoline_kernelINS0_14default_configENS1_35radix_sort_onesweep_config_selectorItNS0_10empty_typeEEEZZNS1_29radix_sort_onesweep_iterationIS3_Lb0EN6thrust23THRUST_200600_302600_NS6detail15normal_iteratorINS9_10device_ptrItEEEESE_PS5_SF_jNS0_19identity_decomposerENS1_16block_id_wrapperIjLb1EEEEE10hipError_tT1_PNSt15iterator_traitsISK_E10value_typeET2_T3_PNSL_ISQ_E10value_typeET4_T5_PSV_SW_PNS1_23onesweep_lookback_stateEbbT6_jjT7_P12ihipStream_tbENKUlT_T0_SK_SP_E_clISE_SE_SF_SF_EEDaS13_S14_SK_SP_EUlS13_E_NS1_11comp_targetILNS1_3genE0ELNS1_11target_archE4294967295ELNS1_3gpuE0ELNS1_3repE0EEENS1_47radix_sort_onesweep_sort_config_static_selectorELNS0_4arch9wavefront6targetE1EEEvSK_: ; @_ZN7rocprim17ROCPRIM_400000_NS6detail17trampoline_kernelINS0_14default_configENS1_35radix_sort_onesweep_config_selectorItNS0_10empty_typeEEEZZNS1_29radix_sort_onesweep_iterationIS3_Lb0EN6thrust23THRUST_200600_302600_NS6detail15normal_iteratorINS9_10device_ptrItEEEESE_PS5_SF_jNS0_19identity_decomposerENS1_16block_id_wrapperIjLb1EEEEE10hipError_tT1_PNSt15iterator_traitsISK_E10value_typeET2_T3_PNSL_ISQ_E10value_typeET4_T5_PSV_SW_PNS1_23onesweep_lookback_stateEbbT6_jjT7_P12ihipStream_tbENKUlT_T0_SK_SP_E_clISE_SE_SF_SF_EEDaS13_S14_SK_SP_EUlS13_E_NS1_11comp_targetILNS1_3genE0ELNS1_11target_archE4294967295ELNS1_3gpuE0ELNS1_3repE0EEENS1_47radix_sort_onesweep_sort_config_static_selectorELNS0_4arch9wavefront6targetE1EEEvSK_
; %bb.0:
	.section	.rodata,"a",@progbits
	.p2align	6, 0x0
	.amdhsa_kernel _ZN7rocprim17ROCPRIM_400000_NS6detail17trampoline_kernelINS0_14default_configENS1_35radix_sort_onesweep_config_selectorItNS0_10empty_typeEEEZZNS1_29radix_sort_onesweep_iterationIS3_Lb0EN6thrust23THRUST_200600_302600_NS6detail15normal_iteratorINS9_10device_ptrItEEEESE_PS5_SF_jNS0_19identity_decomposerENS1_16block_id_wrapperIjLb1EEEEE10hipError_tT1_PNSt15iterator_traitsISK_E10value_typeET2_T3_PNSL_ISQ_E10value_typeET4_T5_PSV_SW_PNS1_23onesweep_lookback_stateEbbT6_jjT7_P12ihipStream_tbENKUlT_T0_SK_SP_E_clISE_SE_SF_SF_EEDaS13_S14_SK_SP_EUlS13_E_NS1_11comp_targetILNS1_3genE0ELNS1_11target_archE4294967295ELNS1_3gpuE0ELNS1_3repE0EEENS1_47radix_sort_onesweep_sort_config_static_selectorELNS0_4arch9wavefront6targetE1EEEvSK_
		.amdhsa_group_segment_fixed_size 0
		.amdhsa_private_segment_fixed_size 0
		.amdhsa_kernarg_size 88
		.amdhsa_user_sgpr_count 2
		.amdhsa_user_sgpr_dispatch_ptr 0
		.amdhsa_user_sgpr_queue_ptr 0
		.amdhsa_user_sgpr_kernarg_segment_ptr 1
		.amdhsa_user_sgpr_dispatch_id 0
		.amdhsa_user_sgpr_kernarg_preload_length 0
		.amdhsa_user_sgpr_kernarg_preload_offset 0
		.amdhsa_user_sgpr_private_segment_size 0
		.amdhsa_uses_dynamic_stack 0
		.amdhsa_enable_private_segment 0
		.amdhsa_system_sgpr_workgroup_id_x 1
		.amdhsa_system_sgpr_workgroup_id_y 0
		.amdhsa_system_sgpr_workgroup_id_z 0
		.amdhsa_system_sgpr_workgroup_info 0
		.amdhsa_system_vgpr_workitem_id 0
		.amdhsa_next_free_vgpr 1
		.amdhsa_next_free_sgpr 0
		.amdhsa_accum_offset 4
		.amdhsa_reserve_vcc 0
		.amdhsa_float_round_mode_32 0
		.amdhsa_float_round_mode_16_64 0
		.amdhsa_float_denorm_mode_32 3
		.amdhsa_float_denorm_mode_16_64 3
		.amdhsa_dx10_clamp 1
		.amdhsa_ieee_mode 1
		.amdhsa_fp16_overflow 0
		.amdhsa_tg_split 0
		.amdhsa_exception_fp_ieee_invalid_op 0
		.amdhsa_exception_fp_denorm_src 0
		.amdhsa_exception_fp_ieee_div_zero 0
		.amdhsa_exception_fp_ieee_overflow 0
		.amdhsa_exception_fp_ieee_underflow 0
		.amdhsa_exception_fp_ieee_inexact 0
		.amdhsa_exception_int_div_zero 0
	.end_amdhsa_kernel
	.section	.text._ZN7rocprim17ROCPRIM_400000_NS6detail17trampoline_kernelINS0_14default_configENS1_35radix_sort_onesweep_config_selectorItNS0_10empty_typeEEEZZNS1_29radix_sort_onesweep_iterationIS3_Lb0EN6thrust23THRUST_200600_302600_NS6detail15normal_iteratorINS9_10device_ptrItEEEESE_PS5_SF_jNS0_19identity_decomposerENS1_16block_id_wrapperIjLb1EEEEE10hipError_tT1_PNSt15iterator_traitsISK_E10value_typeET2_T3_PNSL_ISQ_E10value_typeET4_T5_PSV_SW_PNS1_23onesweep_lookback_stateEbbT6_jjT7_P12ihipStream_tbENKUlT_T0_SK_SP_E_clISE_SE_SF_SF_EEDaS13_S14_SK_SP_EUlS13_E_NS1_11comp_targetILNS1_3genE0ELNS1_11target_archE4294967295ELNS1_3gpuE0ELNS1_3repE0EEENS1_47radix_sort_onesweep_sort_config_static_selectorELNS0_4arch9wavefront6targetE1EEEvSK_,"axG",@progbits,_ZN7rocprim17ROCPRIM_400000_NS6detail17trampoline_kernelINS0_14default_configENS1_35radix_sort_onesweep_config_selectorItNS0_10empty_typeEEEZZNS1_29radix_sort_onesweep_iterationIS3_Lb0EN6thrust23THRUST_200600_302600_NS6detail15normal_iteratorINS9_10device_ptrItEEEESE_PS5_SF_jNS0_19identity_decomposerENS1_16block_id_wrapperIjLb1EEEEE10hipError_tT1_PNSt15iterator_traitsISK_E10value_typeET2_T3_PNSL_ISQ_E10value_typeET4_T5_PSV_SW_PNS1_23onesweep_lookback_stateEbbT6_jjT7_P12ihipStream_tbENKUlT_T0_SK_SP_E_clISE_SE_SF_SF_EEDaS13_S14_SK_SP_EUlS13_E_NS1_11comp_targetILNS1_3genE0ELNS1_11target_archE4294967295ELNS1_3gpuE0ELNS1_3repE0EEENS1_47radix_sort_onesweep_sort_config_static_selectorELNS0_4arch9wavefront6targetE1EEEvSK_,comdat
.Lfunc_end1338:
	.size	_ZN7rocprim17ROCPRIM_400000_NS6detail17trampoline_kernelINS0_14default_configENS1_35radix_sort_onesweep_config_selectorItNS0_10empty_typeEEEZZNS1_29radix_sort_onesweep_iterationIS3_Lb0EN6thrust23THRUST_200600_302600_NS6detail15normal_iteratorINS9_10device_ptrItEEEESE_PS5_SF_jNS0_19identity_decomposerENS1_16block_id_wrapperIjLb1EEEEE10hipError_tT1_PNSt15iterator_traitsISK_E10value_typeET2_T3_PNSL_ISQ_E10value_typeET4_T5_PSV_SW_PNS1_23onesweep_lookback_stateEbbT6_jjT7_P12ihipStream_tbENKUlT_T0_SK_SP_E_clISE_SE_SF_SF_EEDaS13_S14_SK_SP_EUlS13_E_NS1_11comp_targetILNS1_3genE0ELNS1_11target_archE4294967295ELNS1_3gpuE0ELNS1_3repE0EEENS1_47radix_sort_onesweep_sort_config_static_selectorELNS0_4arch9wavefront6targetE1EEEvSK_, .Lfunc_end1338-_ZN7rocprim17ROCPRIM_400000_NS6detail17trampoline_kernelINS0_14default_configENS1_35radix_sort_onesweep_config_selectorItNS0_10empty_typeEEEZZNS1_29radix_sort_onesweep_iterationIS3_Lb0EN6thrust23THRUST_200600_302600_NS6detail15normal_iteratorINS9_10device_ptrItEEEESE_PS5_SF_jNS0_19identity_decomposerENS1_16block_id_wrapperIjLb1EEEEE10hipError_tT1_PNSt15iterator_traitsISK_E10value_typeET2_T3_PNSL_ISQ_E10value_typeET4_T5_PSV_SW_PNS1_23onesweep_lookback_stateEbbT6_jjT7_P12ihipStream_tbENKUlT_T0_SK_SP_E_clISE_SE_SF_SF_EEDaS13_S14_SK_SP_EUlS13_E_NS1_11comp_targetILNS1_3genE0ELNS1_11target_archE4294967295ELNS1_3gpuE0ELNS1_3repE0EEENS1_47radix_sort_onesweep_sort_config_static_selectorELNS0_4arch9wavefront6targetE1EEEvSK_
                                        ; -- End function
	.section	.AMDGPU.csdata,"",@progbits
; Kernel info:
; codeLenInByte = 0
; NumSgprs: 6
; NumVgprs: 0
; NumAgprs: 0
; TotalNumVgprs: 0
; ScratchSize: 0
; MemoryBound: 0
; FloatMode: 240
; IeeeMode: 1
; LDSByteSize: 0 bytes/workgroup (compile time only)
; SGPRBlocks: 0
; VGPRBlocks: 0
; NumSGPRsForWavesPerEU: 6
; NumVGPRsForWavesPerEU: 1
; AccumOffset: 4
; Occupancy: 8
; WaveLimiterHint : 0
; COMPUTE_PGM_RSRC2:SCRATCH_EN: 0
; COMPUTE_PGM_RSRC2:USER_SGPR: 2
; COMPUTE_PGM_RSRC2:TRAP_HANDLER: 0
; COMPUTE_PGM_RSRC2:TGID_X_EN: 1
; COMPUTE_PGM_RSRC2:TGID_Y_EN: 0
; COMPUTE_PGM_RSRC2:TGID_Z_EN: 0
; COMPUTE_PGM_RSRC2:TIDIG_COMP_CNT: 0
; COMPUTE_PGM_RSRC3_GFX90A:ACCUM_OFFSET: 0
; COMPUTE_PGM_RSRC3_GFX90A:TG_SPLIT: 0
	.section	.text._ZN7rocprim17ROCPRIM_400000_NS6detail17trampoline_kernelINS0_14default_configENS1_35radix_sort_onesweep_config_selectorItNS0_10empty_typeEEEZZNS1_29radix_sort_onesweep_iterationIS3_Lb0EN6thrust23THRUST_200600_302600_NS6detail15normal_iteratorINS9_10device_ptrItEEEESE_PS5_SF_jNS0_19identity_decomposerENS1_16block_id_wrapperIjLb1EEEEE10hipError_tT1_PNSt15iterator_traitsISK_E10value_typeET2_T3_PNSL_ISQ_E10value_typeET4_T5_PSV_SW_PNS1_23onesweep_lookback_stateEbbT6_jjT7_P12ihipStream_tbENKUlT_T0_SK_SP_E_clISE_SE_SF_SF_EEDaS13_S14_SK_SP_EUlS13_E_NS1_11comp_targetILNS1_3genE6ELNS1_11target_archE950ELNS1_3gpuE13ELNS1_3repE0EEENS1_47radix_sort_onesweep_sort_config_static_selectorELNS0_4arch9wavefront6targetE1EEEvSK_,"axG",@progbits,_ZN7rocprim17ROCPRIM_400000_NS6detail17trampoline_kernelINS0_14default_configENS1_35radix_sort_onesweep_config_selectorItNS0_10empty_typeEEEZZNS1_29radix_sort_onesweep_iterationIS3_Lb0EN6thrust23THRUST_200600_302600_NS6detail15normal_iteratorINS9_10device_ptrItEEEESE_PS5_SF_jNS0_19identity_decomposerENS1_16block_id_wrapperIjLb1EEEEE10hipError_tT1_PNSt15iterator_traitsISK_E10value_typeET2_T3_PNSL_ISQ_E10value_typeET4_T5_PSV_SW_PNS1_23onesweep_lookback_stateEbbT6_jjT7_P12ihipStream_tbENKUlT_T0_SK_SP_E_clISE_SE_SF_SF_EEDaS13_S14_SK_SP_EUlS13_E_NS1_11comp_targetILNS1_3genE6ELNS1_11target_archE950ELNS1_3gpuE13ELNS1_3repE0EEENS1_47radix_sort_onesweep_sort_config_static_selectorELNS0_4arch9wavefront6targetE1EEEvSK_,comdat
	.protected	_ZN7rocprim17ROCPRIM_400000_NS6detail17trampoline_kernelINS0_14default_configENS1_35radix_sort_onesweep_config_selectorItNS0_10empty_typeEEEZZNS1_29radix_sort_onesweep_iterationIS3_Lb0EN6thrust23THRUST_200600_302600_NS6detail15normal_iteratorINS9_10device_ptrItEEEESE_PS5_SF_jNS0_19identity_decomposerENS1_16block_id_wrapperIjLb1EEEEE10hipError_tT1_PNSt15iterator_traitsISK_E10value_typeET2_T3_PNSL_ISQ_E10value_typeET4_T5_PSV_SW_PNS1_23onesweep_lookback_stateEbbT6_jjT7_P12ihipStream_tbENKUlT_T0_SK_SP_E_clISE_SE_SF_SF_EEDaS13_S14_SK_SP_EUlS13_E_NS1_11comp_targetILNS1_3genE6ELNS1_11target_archE950ELNS1_3gpuE13ELNS1_3repE0EEENS1_47radix_sort_onesweep_sort_config_static_selectorELNS0_4arch9wavefront6targetE1EEEvSK_ ; -- Begin function _ZN7rocprim17ROCPRIM_400000_NS6detail17trampoline_kernelINS0_14default_configENS1_35radix_sort_onesweep_config_selectorItNS0_10empty_typeEEEZZNS1_29radix_sort_onesweep_iterationIS3_Lb0EN6thrust23THRUST_200600_302600_NS6detail15normal_iteratorINS9_10device_ptrItEEEESE_PS5_SF_jNS0_19identity_decomposerENS1_16block_id_wrapperIjLb1EEEEE10hipError_tT1_PNSt15iterator_traitsISK_E10value_typeET2_T3_PNSL_ISQ_E10value_typeET4_T5_PSV_SW_PNS1_23onesweep_lookback_stateEbbT6_jjT7_P12ihipStream_tbENKUlT_T0_SK_SP_E_clISE_SE_SF_SF_EEDaS13_S14_SK_SP_EUlS13_E_NS1_11comp_targetILNS1_3genE6ELNS1_11target_archE950ELNS1_3gpuE13ELNS1_3repE0EEENS1_47radix_sort_onesweep_sort_config_static_selectorELNS0_4arch9wavefront6targetE1EEEvSK_
	.globl	_ZN7rocprim17ROCPRIM_400000_NS6detail17trampoline_kernelINS0_14default_configENS1_35radix_sort_onesweep_config_selectorItNS0_10empty_typeEEEZZNS1_29radix_sort_onesweep_iterationIS3_Lb0EN6thrust23THRUST_200600_302600_NS6detail15normal_iteratorINS9_10device_ptrItEEEESE_PS5_SF_jNS0_19identity_decomposerENS1_16block_id_wrapperIjLb1EEEEE10hipError_tT1_PNSt15iterator_traitsISK_E10value_typeET2_T3_PNSL_ISQ_E10value_typeET4_T5_PSV_SW_PNS1_23onesweep_lookback_stateEbbT6_jjT7_P12ihipStream_tbENKUlT_T0_SK_SP_E_clISE_SE_SF_SF_EEDaS13_S14_SK_SP_EUlS13_E_NS1_11comp_targetILNS1_3genE6ELNS1_11target_archE950ELNS1_3gpuE13ELNS1_3repE0EEENS1_47radix_sort_onesweep_sort_config_static_selectorELNS0_4arch9wavefront6targetE1EEEvSK_
	.p2align	8
	.type	_ZN7rocprim17ROCPRIM_400000_NS6detail17trampoline_kernelINS0_14default_configENS1_35radix_sort_onesweep_config_selectorItNS0_10empty_typeEEEZZNS1_29radix_sort_onesweep_iterationIS3_Lb0EN6thrust23THRUST_200600_302600_NS6detail15normal_iteratorINS9_10device_ptrItEEEESE_PS5_SF_jNS0_19identity_decomposerENS1_16block_id_wrapperIjLb1EEEEE10hipError_tT1_PNSt15iterator_traitsISK_E10value_typeET2_T3_PNSL_ISQ_E10value_typeET4_T5_PSV_SW_PNS1_23onesweep_lookback_stateEbbT6_jjT7_P12ihipStream_tbENKUlT_T0_SK_SP_E_clISE_SE_SF_SF_EEDaS13_S14_SK_SP_EUlS13_E_NS1_11comp_targetILNS1_3genE6ELNS1_11target_archE950ELNS1_3gpuE13ELNS1_3repE0EEENS1_47radix_sort_onesweep_sort_config_static_selectorELNS0_4arch9wavefront6targetE1EEEvSK_,@function
_ZN7rocprim17ROCPRIM_400000_NS6detail17trampoline_kernelINS0_14default_configENS1_35radix_sort_onesweep_config_selectorItNS0_10empty_typeEEEZZNS1_29radix_sort_onesweep_iterationIS3_Lb0EN6thrust23THRUST_200600_302600_NS6detail15normal_iteratorINS9_10device_ptrItEEEESE_PS5_SF_jNS0_19identity_decomposerENS1_16block_id_wrapperIjLb1EEEEE10hipError_tT1_PNSt15iterator_traitsISK_E10value_typeET2_T3_PNSL_ISQ_E10value_typeET4_T5_PSV_SW_PNS1_23onesweep_lookback_stateEbbT6_jjT7_P12ihipStream_tbENKUlT_T0_SK_SP_E_clISE_SE_SF_SF_EEDaS13_S14_SK_SP_EUlS13_E_NS1_11comp_targetILNS1_3genE6ELNS1_11target_archE950ELNS1_3gpuE13ELNS1_3repE0EEENS1_47radix_sort_onesweep_sort_config_static_selectorELNS0_4arch9wavefront6targetE1EEEvSK_: ; @_ZN7rocprim17ROCPRIM_400000_NS6detail17trampoline_kernelINS0_14default_configENS1_35radix_sort_onesweep_config_selectorItNS0_10empty_typeEEEZZNS1_29radix_sort_onesweep_iterationIS3_Lb0EN6thrust23THRUST_200600_302600_NS6detail15normal_iteratorINS9_10device_ptrItEEEESE_PS5_SF_jNS0_19identity_decomposerENS1_16block_id_wrapperIjLb1EEEEE10hipError_tT1_PNSt15iterator_traitsISK_E10value_typeET2_T3_PNSL_ISQ_E10value_typeET4_T5_PSV_SW_PNS1_23onesweep_lookback_stateEbbT6_jjT7_P12ihipStream_tbENKUlT_T0_SK_SP_E_clISE_SE_SF_SF_EEDaS13_S14_SK_SP_EUlS13_E_NS1_11comp_targetILNS1_3genE6ELNS1_11target_archE950ELNS1_3gpuE13ELNS1_3repE0EEENS1_47radix_sort_onesweep_sort_config_static_selectorELNS0_4arch9wavefront6targetE1EEEvSK_
; %bb.0:
	.section	.rodata,"a",@progbits
	.p2align	6, 0x0
	.amdhsa_kernel _ZN7rocprim17ROCPRIM_400000_NS6detail17trampoline_kernelINS0_14default_configENS1_35radix_sort_onesweep_config_selectorItNS0_10empty_typeEEEZZNS1_29radix_sort_onesweep_iterationIS3_Lb0EN6thrust23THRUST_200600_302600_NS6detail15normal_iteratorINS9_10device_ptrItEEEESE_PS5_SF_jNS0_19identity_decomposerENS1_16block_id_wrapperIjLb1EEEEE10hipError_tT1_PNSt15iterator_traitsISK_E10value_typeET2_T3_PNSL_ISQ_E10value_typeET4_T5_PSV_SW_PNS1_23onesweep_lookback_stateEbbT6_jjT7_P12ihipStream_tbENKUlT_T0_SK_SP_E_clISE_SE_SF_SF_EEDaS13_S14_SK_SP_EUlS13_E_NS1_11comp_targetILNS1_3genE6ELNS1_11target_archE950ELNS1_3gpuE13ELNS1_3repE0EEENS1_47radix_sort_onesweep_sort_config_static_selectorELNS0_4arch9wavefront6targetE1EEEvSK_
		.amdhsa_group_segment_fixed_size 0
		.amdhsa_private_segment_fixed_size 0
		.amdhsa_kernarg_size 88
		.amdhsa_user_sgpr_count 2
		.amdhsa_user_sgpr_dispatch_ptr 0
		.amdhsa_user_sgpr_queue_ptr 0
		.amdhsa_user_sgpr_kernarg_segment_ptr 1
		.amdhsa_user_sgpr_dispatch_id 0
		.amdhsa_user_sgpr_kernarg_preload_length 0
		.amdhsa_user_sgpr_kernarg_preload_offset 0
		.amdhsa_user_sgpr_private_segment_size 0
		.amdhsa_uses_dynamic_stack 0
		.amdhsa_enable_private_segment 0
		.amdhsa_system_sgpr_workgroup_id_x 1
		.amdhsa_system_sgpr_workgroup_id_y 0
		.amdhsa_system_sgpr_workgroup_id_z 0
		.amdhsa_system_sgpr_workgroup_info 0
		.amdhsa_system_vgpr_workitem_id 0
		.amdhsa_next_free_vgpr 1
		.amdhsa_next_free_sgpr 0
		.amdhsa_accum_offset 4
		.amdhsa_reserve_vcc 0
		.amdhsa_float_round_mode_32 0
		.amdhsa_float_round_mode_16_64 0
		.amdhsa_float_denorm_mode_32 3
		.amdhsa_float_denorm_mode_16_64 3
		.amdhsa_dx10_clamp 1
		.amdhsa_ieee_mode 1
		.amdhsa_fp16_overflow 0
		.amdhsa_tg_split 0
		.amdhsa_exception_fp_ieee_invalid_op 0
		.amdhsa_exception_fp_denorm_src 0
		.amdhsa_exception_fp_ieee_div_zero 0
		.amdhsa_exception_fp_ieee_overflow 0
		.amdhsa_exception_fp_ieee_underflow 0
		.amdhsa_exception_fp_ieee_inexact 0
		.amdhsa_exception_int_div_zero 0
	.end_amdhsa_kernel
	.section	.text._ZN7rocprim17ROCPRIM_400000_NS6detail17trampoline_kernelINS0_14default_configENS1_35radix_sort_onesweep_config_selectorItNS0_10empty_typeEEEZZNS1_29radix_sort_onesweep_iterationIS3_Lb0EN6thrust23THRUST_200600_302600_NS6detail15normal_iteratorINS9_10device_ptrItEEEESE_PS5_SF_jNS0_19identity_decomposerENS1_16block_id_wrapperIjLb1EEEEE10hipError_tT1_PNSt15iterator_traitsISK_E10value_typeET2_T3_PNSL_ISQ_E10value_typeET4_T5_PSV_SW_PNS1_23onesweep_lookback_stateEbbT6_jjT7_P12ihipStream_tbENKUlT_T0_SK_SP_E_clISE_SE_SF_SF_EEDaS13_S14_SK_SP_EUlS13_E_NS1_11comp_targetILNS1_3genE6ELNS1_11target_archE950ELNS1_3gpuE13ELNS1_3repE0EEENS1_47radix_sort_onesweep_sort_config_static_selectorELNS0_4arch9wavefront6targetE1EEEvSK_,"axG",@progbits,_ZN7rocprim17ROCPRIM_400000_NS6detail17trampoline_kernelINS0_14default_configENS1_35radix_sort_onesweep_config_selectorItNS0_10empty_typeEEEZZNS1_29radix_sort_onesweep_iterationIS3_Lb0EN6thrust23THRUST_200600_302600_NS6detail15normal_iteratorINS9_10device_ptrItEEEESE_PS5_SF_jNS0_19identity_decomposerENS1_16block_id_wrapperIjLb1EEEEE10hipError_tT1_PNSt15iterator_traitsISK_E10value_typeET2_T3_PNSL_ISQ_E10value_typeET4_T5_PSV_SW_PNS1_23onesweep_lookback_stateEbbT6_jjT7_P12ihipStream_tbENKUlT_T0_SK_SP_E_clISE_SE_SF_SF_EEDaS13_S14_SK_SP_EUlS13_E_NS1_11comp_targetILNS1_3genE6ELNS1_11target_archE950ELNS1_3gpuE13ELNS1_3repE0EEENS1_47radix_sort_onesweep_sort_config_static_selectorELNS0_4arch9wavefront6targetE1EEEvSK_,comdat
.Lfunc_end1339:
	.size	_ZN7rocprim17ROCPRIM_400000_NS6detail17trampoline_kernelINS0_14default_configENS1_35radix_sort_onesweep_config_selectorItNS0_10empty_typeEEEZZNS1_29radix_sort_onesweep_iterationIS3_Lb0EN6thrust23THRUST_200600_302600_NS6detail15normal_iteratorINS9_10device_ptrItEEEESE_PS5_SF_jNS0_19identity_decomposerENS1_16block_id_wrapperIjLb1EEEEE10hipError_tT1_PNSt15iterator_traitsISK_E10value_typeET2_T3_PNSL_ISQ_E10value_typeET4_T5_PSV_SW_PNS1_23onesweep_lookback_stateEbbT6_jjT7_P12ihipStream_tbENKUlT_T0_SK_SP_E_clISE_SE_SF_SF_EEDaS13_S14_SK_SP_EUlS13_E_NS1_11comp_targetILNS1_3genE6ELNS1_11target_archE950ELNS1_3gpuE13ELNS1_3repE0EEENS1_47radix_sort_onesweep_sort_config_static_selectorELNS0_4arch9wavefront6targetE1EEEvSK_, .Lfunc_end1339-_ZN7rocprim17ROCPRIM_400000_NS6detail17trampoline_kernelINS0_14default_configENS1_35radix_sort_onesweep_config_selectorItNS0_10empty_typeEEEZZNS1_29radix_sort_onesweep_iterationIS3_Lb0EN6thrust23THRUST_200600_302600_NS6detail15normal_iteratorINS9_10device_ptrItEEEESE_PS5_SF_jNS0_19identity_decomposerENS1_16block_id_wrapperIjLb1EEEEE10hipError_tT1_PNSt15iterator_traitsISK_E10value_typeET2_T3_PNSL_ISQ_E10value_typeET4_T5_PSV_SW_PNS1_23onesweep_lookback_stateEbbT6_jjT7_P12ihipStream_tbENKUlT_T0_SK_SP_E_clISE_SE_SF_SF_EEDaS13_S14_SK_SP_EUlS13_E_NS1_11comp_targetILNS1_3genE6ELNS1_11target_archE950ELNS1_3gpuE13ELNS1_3repE0EEENS1_47radix_sort_onesweep_sort_config_static_selectorELNS0_4arch9wavefront6targetE1EEEvSK_
                                        ; -- End function
	.section	.AMDGPU.csdata,"",@progbits
; Kernel info:
; codeLenInByte = 0
; NumSgprs: 6
; NumVgprs: 0
; NumAgprs: 0
; TotalNumVgprs: 0
; ScratchSize: 0
; MemoryBound: 0
; FloatMode: 240
; IeeeMode: 1
; LDSByteSize: 0 bytes/workgroup (compile time only)
; SGPRBlocks: 0
; VGPRBlocks: 0
; NumSGPRsForWavesPerEU: 6
; NumVGPRsForWavesPerEU: 1
; AccumOffset: 4
; Occupancy: 8
; WaveLimiterHint : 0
; COMPUTE_PGM_RSRC2:SCRATCH_EN: 0
; COMPUTE_PGM_RSRC2:USER_SGPR: 2
; COMPUTE_PGM_RSRC2:TRAP_HANDLER: 0
; COMPUTE_PGM_RSRC2:TGID_X_EN: 1
; COMPUTE_PGM_RSRC2:TGID_Y_EN: 0
; COMPUTE_PGM_RSRC2:TGID_Z_EN: 0
; COMPUTE_PGM_RSRC2:TIDIG_COMP_CNT: 0
; COMPUTE_PGM_RSRC3_GFX90A:ACCUM_OFFSET: 0
; COMPUTE_PGM_RSRC3_GFX90A:TG_SPLIT: 0
	.section	.text._ZN7rocprim17ROCPRIM_400000_NS6detail17trampoline_kernelINS0_14default_configENS1_35radix_sort_onesweep_config_selectorItNS0_10empty_typeEEEZZNS1_29radix_sort_onesweep_iterationIS3_Lb0EN6thrust23THRUST_200600_302600_NS6detail15normal_iteratorINS9_10device_ptrItEEEESE_PS5_SF_jNS0_19identity_decomposerENS1_16block_id_wrapperIjLb1EEEEE10hipError_tT1_PNSt15iterator_traitsISK_E10value_typeET2_T3_PNSL_ISQ_E10value_typeET4_T5_PSV_SW_PNS1_23onesweep_lookback_stateEbbT6_jjT7_P12ihipStream_tbENKUlT_T0_SK_SP_E_clISE_SE_SF_SF_EEDaS13_S14_SK_SP_EUlS13_E_NS1_11comp_targetILNS1_3genE5ELNS1_11target_archE942ELNS1_3gpuE9ELNS1_3repE0EEENS1_47radix_sort_onesweep_sort_config_static_selectorELNS0_4arch9wavefront6targetE1EEEvSK_,"axG",@progbits,_ZN7rocprim17ROCPRIM_400000_NS6detail17trampoline_kernelINS0_14default_configENS1_35radix_sort_onesweep_config_selectorItNS0_10empty_typeEEEZZNS1_29radix_sort_onesweep_iterationIS3_Lb0EN6thrust23THRUST_200600_302600_NS6detail15normal_iteratorINS9_10device_ptrItEEEESE_PS5_SF_jNS0_19identity_decomposerENS1_16block_id_wrapperIjLb1EEEEE10hipError_tT1_PNSt15iterator_traitsISK_E10value_typeET2_T3_PNSL_ISQ_E10value_typeET4_T5_PSV_SW_PNS1_23onesweep_lookback_stateEbbT6_jjT7_P12ihipStream_tbENKUlT_T0_SK_SP_E_clISE_SE_SF_SF_EEDaS13_S14_SK_SP_EUlS13_E_NS1_11comp_targetILNS1_3genE5ELNS1_11target_archE942ELNS1_3gpuE9ELNS1_3repE0EEENS1_47radix_sort_onesweep_sort_config_static_selectorELNS0_4arch9wavefront6targetE1EEEvSK_,comdat
	.protected	_ZN7rocprim17ROCPRIM_400000_NS6detail17trampoline_kernelINS0_14default_configENS1_35radix_sort_onesweep_config_selectorItNS0_10empty_typeEEEZZNS1_29radix_sort_onesweep_iterationIS3_Lb0EN6thrust23THRUST_200600_302600_NS6detail15normal_iteratorINS9_10device_ptrItEEEESE_PS5_SF_jNS0_19identity_decomposerENS1_16block_id_wrapperIjLb1EEEEE10hipError_tT1_PNSt15iterator_traitsISK_E10value_typeET2_T3_PNSL_ISQ_E10value_typeET4_T5_PSV_SW_PNS1_23onesweep_lookback_stateEbbT6_jjT7_P12ihipStream_tbENKUlT_T0_SK_SP_E_clISE_SE_SF_SF_EEDaS13_S14_SK_SP_EUlS13_E_NS1_11comp_targetILNS1_3genE5ELNS1_11target_archE942ELNS1_3gpuE9ELNS1_3repE0EEENS1_47radix_sort_onesweep_sort_config_static_selectorELNS0_4arch9wavefront6targetE1EEEvSK_ ; -- Begin function _ZN7rocprim17ROCPRIM_400000_NS6detail17trampoline_kernelINS0_14default_configENS1_35radix_sort_onesweep_config_selectorItNS0_10empty_typeEEEZZNS1_29radix_sort_onesweep_iterationIS3_Lb0EN6thrust23THRUST_200600_302600_NS6detail15normal_iteratorINS9_10device_ptrItEEEESE_PS5_SF_jNS0_19identity_decomposerENS1_16block_id_wrapperIjLb1EEEEE10hipError_tT1_PNSt15iterator_traitsISK_E10value_typeET2_T3_PNSL_ISQ_E10value_typeET4_T5_PSV_SW_PNS1_23onesweep_lookback_stateEbbT6_jjT7_P12ihipStream_tbENKUlT_T0_SK_SP_E_clISE_SE_SF_SF_EEDaS13_S14_SK_SP_EUlS13_E_NS1_11comp_targetILNS1_3genE5ELNS1_11target_archE942ELNS1_3gpuE9ELNS1_3repE0EEENS1_47radix_sort_onesweep_sort_config_static_selectorELNS0_4arch9wavefront6targetE1EEEvSK_
	.globl	_ZN7rocprim17ROCPRIM_400000_NS6detail17trampoline_kernelINS0_14default_configENS1_35radix_sort_onesweep_config_selectorItNS0_10empty_typeEEEZZNS1_29radix_sort_onesweep_iterationIS3_Lb0EN6thrust23THRUST_200600_302600_NS6detail15normal_iteratorINS9_10device_ptrItEEEESE_PS5_SF_jNS0_19identity_decomposerENS1_16block_id_wrapperIjLb1EEEEE10hipError_tT1_PNSt15iterator_traitsISK_E10value_typeET2_T3_PNSL_ISQ_E10value_typeET4_T5_PSV_SW_PNS1_23onesweep_lookback_stateEbbT6_jjT7_P12ihipStream_tbENKUlT_T0_SK_SP_E_clISE_SE_SF_SF_EEDaS13_S14_SK_SP_EUlS13_E_NS1_11comp_targetILNS1_3genE5ELNS1_11target_archE942ELNS1_3gpuE9ELNS1_3repE0EEENS1_47radix_sort_onesweep_sort_config_static_selectorELNS0_4arch9wavefront6targetE1EEEvSK_
	.p2align	8
	.type	_ZN7rocprim17ROCPRIM_400000_NS6detail17trampoline_kernelINS0_14default_configENS1_35radix_sort_onesweep_config_selectorItNS0_10empty_typeEEEZZNS1_29radix_sort_onesweep_iterationIS3_Lb0EN6thrust23THRUST_200600_302600_NS6detail15normal_iteratorINS9_10device_ptrItEEEESE_PS5_SF_jNS0_19identity_decomposerENS1_16block_id_wrapperIjLb1EEEEE10hipError_tT1_PNSt15iterator_traitsISK_E10value_typeET2_T3_PNSL_ISQ_E10value_typeET4_T5_PSV_SW_PNS1_23onesweep_lookback_stateEbbT6_jjT7_P12ihipStream_tbENKUlT_T0_SK_SP_E_clISE_SE_SF_SF_EEDaS13_S14_SK_SP_EUlS13_E_NS1_11comp_targetILNS1_3genE5ELNS1_11target_archE942ELNS1_3gpuE9ELNS1_3repE0EEENS1_47radix_sort_onesweep_sort_config_static_selectorELNS0_4arch9wavefront6targetE1EEEvSK_,@function
_ZN7rocprim17ROCPRIM_400000_NS6detail17trampoline_kernelINS0_14default_configENS1_35radix_sort_onesweep_config_selectorItNS0_10empty_typeEEEZZNS1_29radix_sort_onesweep_iterationIS3_Lb0EN6thrust23THRUST_200600_302600_NS6detail15normal_iteratorINS9_10device_ptrItEEEESE_PS5_SF_jNS0_19identity_decomposerENS1_16block_id_wrapperIjLb1EEEEE10hipError_tT1_PNSt15iterator_traitsISK_E10value_typeET2_T3_PNSL_ISQ_E10value_typeET4_T5_PSV_SW_PNS1_23onesweep_lookback_stateEbbT6_jjT7_P12ihipStream_tbENKUlT_T0_SK_SP_E_clISE_SE_SF_SF_EEDaS13_S14_SK_SP_EUlS13_E_NS1_11comp_targetILNS1_3genE5ELNS1_11target_archE942ELNS1_3gpuE9ELNS1_3repE0EEENS1_47radix_sort_onesweep_sort_config_static_selectorELNS0_4arch9wavefront6targetE1EEEvSK_: ; @_ZN7rocprim17ROCPRIM_400000_NS6detail17trampoline_kernelINS0_14default_configENS1_35radix_sort_onesweep_config_selectorItNS0_10empty_typeEEEZZNS1_29radix_sort_onesweep_iterationIS3_Lb0EN6thrust23THRUST_200600_302600_NS6detail15normal_iteratorINS9_10device_ptrItEEEESE_PS5_SF_jNS0_19identity_decomposerENS1_16block_id_wrapperIjLb1EEEEE10hipError_tT1_PNSt15iterator_traitsISK_E10value_typeET2_T3_PNSL_ISQ_E10value_typeET4_T5_PSV_SW_PNS1_23onesweep_lookback_stateEbbT6_jjT7_P12ihipStream_tbENKUlT_T0_SK_SP_E_clISE_SE_SF_SF_EEDaS13_S14_SK_SP_EUlS13_E_NS1_11comp_targetILNS1_3genE5ELNS1_11target_archE942ELNS1_3gpuE9ELNS1_3repE0EEENS1_47radix_sort_onesweep_sort_config_static_selectorELNS0_4arch9wavefront6targetE1EEEvSK_
; %bb.0:
	s_load_dwordx4 s[20:23], s[0:1], 0x28
	s_load_dwordx2 s[18:19], s[0:1], 0x38
	s_load_dwordx4 s[24:27], s[0:1], 0x44
	v_and_b32_e32 v2, 0x3ff, v0
	v_cmp_eq_u32_e64 s[10:11], 0, v2
	s_and_saveexec_b64 s[4:5], s[10:11]
	s_cbranch_execz .LBB1340_4
; %bb.1:
	s_mov_b64 s[8:9], exec
	v_mbcnt_lo_u32_b32 v1, s8, 0
	v_mbcnt_hi_u32_b32 v1, s9, v1
	v_cmp_eq_u32_e32 vcc, 0, v1
                                        ; implicit-def: $vgpr3
	s_and_saveexec_b64 s[6:7], vcc
	s_cbranch_execz .LBB1340_3
; %bb.2:
	s_load_dwordx2 s[12:13], s[0:1], 0x50
	s_bcnt1_i32_b64 s3, s[8:9]
	v_mov_b32_e32 v3, 0
	v_mov_b32_e32 v4, s3
	s_waitcnt lgkmcnt(0)
	global_atomic_add v3, v3, v4, s[12:13] sc0
.LBB1340_3:
	s_or_b64 exec, exec, s[6:7]
	s_waitcnt vmcnt(0)
	v_readfirstlane_b32 s3, v3
	v_mov_b32_e32 v3, 0
	s_nop 0
	v_add_u32_e32 v1, s3, v1
	ds_write_b32 v3, v1 offset:25600
.LBB1340_4:
	s_or_b64 exec, exec, s[4:5]
	v_mov_b32_e32 v5, 0
	s_load_dwordx4 s[28:31], s[0:1], 0x0
	s_load_dword s3, s[0:1], 0x20
	s_waitcnt lgkmcnt(0)
	s_barrier
	ds_read_b32 v1, v5 offset:25600
	s_waitcnt lgkmcnt(0)
	s_barrier
	v_readfirstlane_b32 s27, v1
	v_cmp_le_u32_e32 vcc, s26, v1
	s_mul_i32 s34, s27, 0x3000
	v_mbcnt_lo_u32_b32 v1, -1, 0
	s_cbranch_vccz .LBB1340_100
; %bb.5:
	s_mul_i32 s4, s26, 0xffffd000
	s_mov_b32 s35, 0
	s_add_i32 s3, s4, s3
	s_lshl_b64 s[4:5], s[34:35], 1
	v_mbcnt_hi_u32_b32 v13, -1, v1
	s_add_u32 s4, s28, s4
	v_and_b32_e32 v3, 63, v13
	v_and_b32_e32 v4, 0x3c0, v2
	s_addc_u32 s5, s29, s5
	v_mul_u32_u24_e32 v8, 12, v4
	v_lshlrev_b32_e32 v4, 1, v3
	v_lshl_add_u64 v[6:7], s[4:5], 0, v[4:5]
	v_lshlrev_b32_e32 v4, 1, v8
	v_lshl_add_u64 v[4:5], v[6:7], 0, v[4:5]
	v_or_b32_e32 v6, v3, v8
	v_cmp_gt_u32_e32 vcc, s3, v6
	v_mov_b32_e32 v3, -1
	v_mov_b32_e32 v8, -1
	s_and_saveexec_b64 s[4:5], vcc
	s_cbranch_execz .LBB1340_7
; %bb.6:
	global_load_ushort v8, v[4:5], off
.LBB1340_7:
	s_or_b64 exec, exec, s[4:5]
	v_or_b32_e32 v7, 64, v6
	v_cmp_gt_u32_e32 vcc, s3, v7
	s_and_saveexec_b64 s[4:5], vcc
	s_cbranch_execz .LBB1340_9
; %bb.8:
	global_load_ushort v3, v[4:5], off offset:128
.LBB1340_9:
	s_or_b64 exec, exec, s[4:5]
	v_or_b32_e32 v7, 0x80, v6
	v_cmp_gt_u32_e32 vcc, s3, v7
	v_mov_b32_e32 v9, -1
	v_mov_b32_e32 v10, -1
	s_and_saveexec_b64 s[4:5], vcc
	s_cbranch_execz .LBB1340_11
; %bb.10:
	global_load_ushort v10, v[4:5], off offset:256
.LBB1340_11:
	s_or_b64 exec, exec, s[4:5]
	v_or_b32_e32 v7, 0xc0, v6
	v_cmp_gt_u32_e32 vcc, s3, v7
	s_and_saveexec_b64 s[4:5], vcc
	s_cbranch_execz .LBB1340_13
; %bb.12:
	global_load_ushort v9, v[4:5], off offset:384
.LBB1340_13:
	s_or_b64 exec, exec, s[4:5]
	v_add_u32_e32 v7, 0x100, v6
	v_cmp_gt_u32_e32 vcc, s3, v7
	v_mov_b32_e32 v11, -1
	v_mov_b32_e32 v12, -1
	s_and_saveexec_b64 s[4:5], vcc
	s_cbranch_execz .LBB1340_15
; %bb.14:
	global_load_ushort v12, v[4:5], off offset:512
.LBB1340_15:
	s_or_b64 exec, exec, s[4:5]
	v_add_u32_e32 v7, 0x140, v6
	v_cmp_gt_u32_e32 vcc, s3, v7
	s_and_saveexec_b64 s[4:5], vcc
	s_cbranch_execz .LBB1340_17
; %bb.16:
	global_load_ushort v11, v[4:5], off offset:640
.LBB1340_17:
	s_or_b64 exec, exec, s[4:5]
	v_add_u32_e32 v7, 0x180, v6
	v_cmp_gt_u32_e32 vcc, s3, v7
	v_mov_b32_e32 v14, -1
	v_mov_b32_e32 v15, -1
	s_and_saveexec_b64 s[4:5], vcc
	s_cbranch_execz .LBB1340_19
; %bb.18:
	global_load_ushort v15, v[4:5], off offset:768
.LBB1340_19:
	s_or_b64 exec, exec, s[4:5]
	v_add_u32_e32 v7, 0x1c0, v6
	;; [unrolled: 18-line block ×4, first 2 shown]
	v_cmp_gt_u32_e32 vcc, s3, v6
	s_and_saveexec_b64 s[4:5], vcc
	s_cbranch_execz .LBB1340_29
; %bb.28:
	global_load_ushort v18, v[4:5], off offset:1408
.LBB1340_29:
	s_or_b64 exec, exec, s[4:5]
	s_load_dword s4, s[0:1], 0x64
	s_load_dword s26, s[0:1], 0x58
	s_add_u32 s5, s0, 0x58
	s_addc_u32 s6, s1, 0
	v_mov_b32_e32 v5, 0
	s_waitcnt lgkmcnt(0)
	s_lshr_b32 s7, s4, 16
	s_cmp_lt_u32 s2, s26
	s_cselect_b32 s4, 12, 18
	s_add_u32 s4, s5, s4
	s_addc_u32 s5, s6, 0
	global_load_ushort v21, v5, s[4:5]
	s_lshl_b32 s4, -1, s25
	s_waitcnt vmcnt(1)
	v_lshrrev_b32_sdwa v23, s24, v8 dst_sel:DWORD dst_unused:UNUSED_PAD src0_sel:DWORD src1_sel:WORD_0
	s_not_b32 s33, s4
	v_bfe_u32 v4, v0, 10, 10
	v_bfe_u32 v7, v0, 20, 10
	v_and_b32_e32 v33, s33, v23
	v_mul_u32_u24_e32 v6, 5, v2
	v_mad_u32_u24 v32, v7, s7, v4
	v_and_b32_e32 v4, 1, v33
	v_lshlrev_b32_e32 v7, 30, v33
	v_lshlrev_b32_e32 v20, 2, v6
	v_mov_b32_e32 v6, v5
	v_mov_b32_e32 v24, v5
	v_lshlrev_b32_e32 v23, 29, v33
	v_lshlrev_b32_e32 v25, 28, v33
	v_lshl_add_u64 v[34:35], v[4:5], 0, -1
	v_cmp_ne_u32_e32 vcc, 0, v4
	v_not_b32_e32 v4, v7
	v_mov_b32_e32 v22, v5
	v_mov_b32_e32 v26, v5
	v_lshlrev_b32_e32 v27, 27, v33
	v_cmp_gt_i64_e64 s[4:5], 0, v[6:7]
	v_not_b32_e32 v6, v23
	v_cmp_gt_i64_e64 s[8:9], 0, v[24:25]
	v_not_b32_e32 v7, v25
	v_xor_b32_e32 v25, vcc_hi, v35
	v_ashrrev_i32_e32 v4, 31, v4
	v_mov_b32_e32 v28, v5
	v_lshlrev_b32_e32 v29, 26, v33
	v_cmp_gt_i64_e64 s[6:7], 0, v[22:23]
	v_cmp_gt_i64_e64 s[12:13], 0, v[26:27]
	v_not_b32_e32 v22, v27
	v_xor_b32_e32 v26, vcc_lo, v34
	v_ashrrev_i32_e32 v6, 31, v6
	v_and_b32_e32 v25, exec_hi, v25
	v_xor_b32_e32 v27, s5, v4
	v_cmp_gt_i64_e64 s[14:15], 0, v[28:29]
	v_ashrrev_i32_e32 v7, 31, v7
	v_and_b32_e32 v26, exec_lo, v26
	v_xor_b32_e32 v4, s4, v4
	v_xor_b32_e32 v28, s7, v6
	v_and_b32_e32 v25, v25, v27
	v_mov_b32_e32 v30, v5
	v_lshlrev_b32_e32 v31, 25, v33
	v_not_b32_e32 v23, v29
	v_ashrrev_i32_e32 v22, 31, v22
	v_xor_b32_e32 v6, s6, v6
	v_xor_b32_e32 v29, s9, v7
	v_and_b32_e32 v4, v26, v4
	v_and_b32_e32 v25, v25, v28
	v_cmp_gt_i64_e64 s[16:17], 0, v[30:31]
	v_not_b32_e32 v24, v31
	v_ashrrev_i32_e32 v23, 31, v23
	v_xor_b32_e32 v30, s13, v22
	v_and_b32_e32 v4, v4, v6
	v_and_b32_e32 v6, v25, v29
	v_ashrrev_i32_e32 v24, 31, v24
	v_xor_b32_e32 v7, s8, v7
	v_xor_b32_e32 v31, s15, v23
	v_and_b32_e32 v6, v6, v30
	v_xor_b32_e32 v22, s12, v22
	v_xor_b32_e32 v34, s17, v24
	v_and_b32_e32 v4, v4, v7
	v_and_b32_e32 v6, v6, v31
	v_mul_u32_u24_e32 v36, 17, v33
	v_lshlrev_b32_e32 v33, 24, v33
	v_and_b32_e32 v4, v4, v22
	v_and_b32_e32 v22, v6, v34
	v_xor_b32_e32 v23, s14, v23
	v_xor_b32_e32 v24, s16, v24
	v_and_b32_e32 v4, v4, v23
	v_and_b32_e32 v4, v4, v24
	ds_write2_b32 v20, v5, v5 offset0:16 offset1:17
	ds_write2_b32 v20, v5, v5 offset0:18 offset1:19
	ds_write_b32 v20, v5 offset:80
	s_waitcnt lgkmcnt(0)
	s_barrier
	s_waitcnt lgkmcnt(0)
	; wave barrier
	s_waitcnt vmcnt(0)
	v_mad_u64_u32 v[6:7], s[4:5], v32, v21, v[2:3]
	v_lshrrev_b32_e32 v30, 6, v6
	v_mov_b32_e32 v32, v5
	v_not_b32_e32 v6, v33
	v_cmp_gt_i64_e32 vcc, 0, v[32:33]
	v_ashrrev_i32_e32 v6, 31, v6
	v_add_lshl_u32 v23, v30, v36, 2
	v_xor_b32_e32 v7, vcc_hi, v6
	v_xor_b32_e32 v6, vcc_lo, v6
	v_and_b32_e32 v6, v4, v6
	v_and_b32_e32 v7, v22, v7
	v_mbcnt_lo_u32_b32 v4, v6, 0
	v_mbcnt_hi_u32_b32 v21, v7, v4
	v_cmp_eq_u32_e32 vcc, 0, v21
	v_cmp_ne_u64_e64 s[4:5], 0, v[6:7]
	s_and_b64 s[6:7], s[4:5], vcc
	s_and_saveexec_b64 s[4:5], s[6:7]
	s_cbranch_execz .LBB1340_31
; %bb.30:
	v_bcnt_u32_b32 v4, v6, 0
	v_bcnt_u32_b32 v4, v7, v4
	ds_write_b32 v23, v4 offset:64
.LBB1340_31:
	s_or_b64 exec, exec, s[4:5]
	v_lshrrev_b32_sdwa v4, s24, v3 dst_sel:DWORD dst_unused:UNUSED_PAD src0_sel:DWORD src1_sel:WORD_0
	v_and_b32_e32 v25, s33, v4
	v_mul_u32_u24_e32 v4, 17, v25
	v_add_lshl_u32 v24, v30, v4, 2
	v_and_b32_e32 v4, 1, v25
	v_lshl_add_u64 v[6:7], v[4:5], 0, -1
	v_cmp_ne_u32_e32 vcc, 0, v4
	; wave barrier
	s_nop 1
	v_xor_b32_e32 v6, vcc_lo, v6
	v_xor_b32_e32 v4, vcc_hi, v7
	v_and_b32_e32 v26, exec_lo, v6
	v_lshlrev_b32_e32 v7, 30, v25
	v_mov_b32_e32 v6, v5
	v_cmp_gt_i64_e32 vcc, 0, v[6:7]
	v_not_b32_e32 v6, v7
	v_ashrrev_i32_e32 v6, 31, v6
	v_and_b32_e32 v4, exec_hi, v4
	v_xor_b32_e32 v7, vcc_hi, v6
	v_xor_b32_e32 v6, vcc_lo, v6
	v_and_b32_e32 v4, v4, v7
	v_and_b32_e32 v26, v26, v6
	v_lshlrev_b32_e32 v7, 29, v25
	v_mov_b32_e32 v6, v5
	v_cmp_gt_i64_e32 vcc, 0, v[6:7]
	v_not_b32_e32 v6, v7
	v_ashrrev_i32_e32 v6, 31, v6
	v_xor_b32_e32 v7, vcc_hi, v6
	v_xor_b32_e32 v6, vcc_lo, v6
	v_and_b32_e32 v4, v4, v7
	v_and_b32_e32 v26, v26, v6
	v_lshlrev_b32_e32 v7, 28, v25
	v_mov_b32_e32 v6, v5
	v_cmp_gt_i64_e32 vcc, 0, v[6:7]
	v_not_b32_e32 v6, v7
	v_ashrrev_i32_e32 v6, 31, v6
	v_xor_b32_e32 v7, vcc_hi, v6
	v_xor_b32_e32 v6, vcc_lo, v6
	v_and_b32_e32 v4, v4, v7
	v_and_b32_e32 v26, v26, v6
	v_lshlrev_b32_e32 v7, 27, v25
	v_mov_b32_e32 v6, v5
	v_cmp_gt_i64_e32 vcc, 0, v[6:7]
	v_not_b32_e32 v6, v7
	v_ashrrev_i32_e32 v6, 31, v6
	v_xor_b32_e32 v7, vcc_hi, v6
	v_xor_b32_e32 v6, vcc_lo, v6
	v_and_b32_e32 v4, v4, v7
	v_and_b32_e32 v26, v26, v6
	v_lshlrev_b32_e32 v7, 26, v25
	v_mov_b32_e32 v6, v5
	v_cmp_gt_i64_e32 vcc, 0, v[6:7]
	v_not_b32_e32 v6, v7
	v_ashrrev_i32_e32 v6, 31, v6
	v_xor_b32_e32 v7, vcc_hi, v6
	v_xor_b32_e32 v6, vcc_lo, v6
	v_and_b32_e32 v4, v4, v7
	v_and_b32_e32 v26, v26, v6
	v_lshlrev_b32_e32 v7, 25, v25
	v_mov_b32_e32 v6, v5
	v_cmp_gt_i64_e32 vcc, 0, v[6:7]
	v_not_b32_e32 v6, v7
	v_ashrrev_i32_e32 v6, 31, v6
	v_xor_b32_e32 v7, vcc_hi, v6
	v_xor_b32_e32 v6, vcc_lo, v6
	v_and_b32_e32 v4, v4, v7
	v_lshlrev_b32_e32 v7, 24, v25
	v_and_b32_e32 v26, v26, v6
	v_mov_b32_e32 v6, v5
	v_not_b32_e32 v5, v7
	v_cmp_gt_i64_e32 vcc, 0, v[6:7]
	v_ashrrev_i32_e32 v5, 31, v5
	ds_read_b32 v22, v24 offset:64
	v_xor_b32_e32 v6, vcc_hi, v5
	v_xor_b32_e32 v7, vcc_lo, v5
	v_and_b32_e32 v5, v4, v6
	v_and_b32_e32 v4, v26, v7
	v_mbcnt_lo_u32_b32 v6, v4, 0
	v_mbcnt_hi_u32_b32 v25, v5, v6
	v_cmp_eq_u32_e32 vcc, 0, v25
	v_cmp_ne_u64_e64 s[4:5], 0, v[4:5]
	s_and_b64 s[6:7], s[4:5], vcc
	; wave barrier
	s_and_saveexec_b64 s[4:5], s[6:7]
	s_cbranch_execz .LBB1340_33
; %bb.32:
	v_bcnt_u32_b32 v4, v4, 0
	v_bcnt_u32_b32 v4, v5, v4
	s_waitcnt lgkmcnt(0)
	v_add_u32_e32 v4, v22, v4
	ds_write_b32 v24, v4 offset:64
.LBB1340_33:
	s_or_b64 exec, exec, s[4:5]
	v_lshrrev_b32_sdwa v4, s24, v10 dst_sel:DWORD dst_unused:UNUSED_PAD src0_sel:DWORD src1_sel:WORD_0
	v_and_b32_e32 v28, s33, v4
	v_mul_u32_u24_e32 v4, 17, v28
	v_add_lshl_u32 v27, v30, v4, 2
	v_and_b32_e32 v4, 1, v28
	v_mov_b32_e32 v5, 0
	v_lshl_add_u64 v[6:7], v[4:5], 0, -1
	v_cmp_ne_u32_e32 vcc, 0, v4
	; wave barrier
	s_nop 1
	v_xor_b32_e32 v6, vcc_lo, v6
	v_xor_b32_e32 v4, vcc_hi, v7
	v_and_b32_e32 v29, exec_lo, v6
	v_lshlrev_b32_e32 v7, 30, v28
	v_mov_b32_e32 v6, v5
	v_cmp_gt_i64_e32 vcc, 0, v[6:7]
	v_not_b32_e32 v6, v7
	v_ashrrev_i32_e32 v6, 31, v6
	v_and_b32_e32 v4, exec_hi, v4
	v_xor_b32_e32 v7, vcc_hi, v6
	v_xor_b32_e32 v6, vcc_lo, v6
	v_and_b32_e32 v4, v4, v7
	v_and_b32_e32 v29, v29, v6
	v_lshlrev_b32_e32 v7, 29, v28
	v_mov_b32_e32 v6, v5
	v_cmp_gt_i64_e32 vcc, 0, v[6:7]
	v_not_b32_e32 v6, v7
	v_ashrrev_i32_e32 v6, 31, v6
	v_xor_b32_e32 v7, vcc_hi, v6
	v_xor_b32_e32 v6, vcc_lo, v6
	v_and_b32_e32 v4, v4, v7
	v_and_b32_e32 v29, v29, v6
	v_lshlrev_b32_e32 v7, 28, v28
	v_mov_b32_e32 v6, v5
	v_cmp_gt_i64_e32 vcc, 0, v[6:7]
	v_not_b32_e32 v6, v7
	v_ashrrev_i32_e32 v6, 31, v6
	;; [unrolled: 9-line block ×6, first 2 shown]
	v_xor_b32_e32 v7, vcc_hi, v6
	v_xor_b32_e32 v6, vcc_lo, v6
	ds_read_b32 v26, v27 offset:64
	v_and_b32_e32 v6, v29, v6
	v_and_b32_e32 v7, v4, v7
	v_mbcnt_lo_u32_b32 v4, v6, 0
	v_mbcnt_hi_u32_b32 v28, v7, v4
	v_cmp_eq_u32_e32 vcc, 0, v28
	v_cmp_ne_u64_e64 s[4:5], 0, v[6:7]
	s_and_b64 s[6:7], s[4:5], vcc
	; wave barrier
	s_and_saveexec_b64 s[4:5], s[6:7]
	s_cbranch_execz .LBB1340_35
; %bb.34:
	v_bcnt_u32_b32 v4, v6, 0
	v_bcnt_u32_b32 v4, v7, v4
	s_waitcnt lgkmcnt(0)
	v_add_u32_e32 v4, v26, v4
	ds_write_b32 v27, v4 offset:64
.LBB1340_35:
	s_or_b64 exec, exec, s[4:5]
	v_lshrrev_b32_sdwa v4, s24, v9 dst_sel:DWORD dst_unused:UNUSED_PAD src0_sel:DWORD src1_sel:WORD_0
	v_and_b32_e32 v32, s33, v4
	v_mul_u32_u24_e32 v4, 17, v32
	v_add_lshl_u32 v31, v30, v4, 2
	v_and_b32_e32 v4, 1, v32
	v_lshl_add_u64 v[6:7], v[4:5], 0, -1
	v_cmp_ne_u32_e32 vcc, 0, v4
	; wave barrier
	s_nop 1
	v_xor_b32_e32 v6, vcc_lo, v6
	v_xor_b32_e32 v4, vcc_hi, v7
	v_and_b32_e32 v33, exec_lo, v6
	v_lshlrev_b32_e32 v7, 30, v32
	v_mov_b32_e32 v6, v5
	v_cmp_gt_i64_e32 vcc, 0, v[6:7]
	v_not_b32_e32 v6, v7
	v_ashrrev_i32_e32 v6, 31, v6
	v_and_b32_e32 v4, exec_hi, v4
	v_xor_b32_e32 v7, vcc_hi, v6
	v_xor_b32_e32 v6, vcc_lo, v6
	v_and_b32_e32 v4, v4, v7
	v_and_b32_e32 v33, v33, v6
	v_lshlrev_b32_e32 v7, 29, v32
	v_mov_b32_e32 v6, v5
	v_cmp_gt_i64_e32 vcc, 0, v[6:7]
	v_not_b32_e32 v6, v7
	v_ashrrev_i32_e32 v6, 31, v6
	v_xor_b32_e32 v7, vcc_hi, v6
	v_xor_b32_e32 v6, vcc_lo, v6
	v_and_b32_e32 v4, v4, v7
	v_and_b32_e32 v33, v33, v6
	v_lshlrev_b32_e32 v7, 28, v32
	v_mov_b32_e32 v6, v5
	v_cmp_gt_i64_e32 vcc, 0, v[6:7]
	v_not_b32_e32 v6, v7
	v_ashrrev_i32_e32 v6, 31, v6
	;; [unrolled: 9-line block ×5, first 2 shown]
	v_xor_b32_e32 v7, vcc_hi, v6
	v_xor_b32_e32 v6, vcc_lo, v6
	v_and_b32_e32 v4, v4, v7
	v_lshlrev_b32_e32 v7, 24, v32
	v_and_b32_e32 v33, v33, v6
	v_mov_b32_e32 v6, v5
	v_not_b32_e32 v5, v7
	v_cmp_gt_i64_e32 vcc, 0, v[6:7]
	v_ashrrev_i32_e32 v5, 31, v5
	ds_read_b32 v29, v31 offset:64
	v_xor_b32_e32 v6, vcc_hi, v5
	v_xor_b32_e32 v7, vcc_lo, v5
	v_and_b32_e32 v5, v4, v6
	v_and_b32_e32 v4, v33, v7
	v_mbcnt_lo_u32_b32 v6, v4, 0
	v_mbcnt_hi_u32_b32 v32, v5, v6
	v_cmp_eq_u32_e32 vcc, 0, v32
	v_cmp_ne_u64_e64 s[4:5], 0, v[4:5]
	s_and_b64 s[6:7], s[4:5], vcc
	; wave barrier
	s_and_saveexec_b64 s[4:5], s[6:7]
	s_cbranch_execz .LBB1340_37
; %bb.36:
	v_bcnt_u32_b32 v4, v4, 0
	v_bcnt_u32_b32 v4, v5, v4
	s_waitcnt lgkmcnt(0)
	v_add_u32_e32 v4, v29, v4
	ds_write_b32 v31, v4 offset:64
.LBB1340_37:
	s_or_b64 exec, exec, s[4:5]
	v_lshrrev_b32_sdwa v4, s24, v12 dst_sel:DWORD dst_unused:UNUSED_PAD src0_sel:DWORD src1_sel:WORD_0
	v_and_b32_e32 v35, s33, v4
	v_mul_u32_u24_e32 v4, 17, v35
	v_add_lshl_u32 v34, v30, v4, 2
	v_and_b32_e32 v4, 1, v35
	v_mov_b32_e32 v5, 0
	v_lshl_add_u64 v[6:7], v[4:5], 0, -1
	v_cmp_ne_u32_e32 vcc, 0, v4
	; wave barrier
	s_nop 1
	v_xor_b32_e32 v6, vcc_lo, v6
	v_xor_b32_e32 v4, vcc_hi, v7
	v_and_b32_e32 v36, exec_lo, v6
	v_lshlrev_b32_e32 v7, 30, v35
	v_mov_b32_e32 v6, v5
	v_cmp_gt_i64_e32 vcc, 0, v[6:7]
	v_not_b32_e32 v6, v7
	v_ashrrev_i32_e32 v6, 31, v6
	v_and_b32_e32 v4, exec_hi, v4
	v_xor_b32_e32 v7, vcc_hi, v6
	v_xor_b32_e32 v6, vcc_lo, v6
	v_and_b32_e32 v4, v4, v7
	v_and_b32_e32 v36, v36, v6
	v_lshlrev_b32_e32 v7, 29, v35
	v_mov_b32_e32 v6, v5
	v_cmp_gt_i64_e32 vcc, 0, v[6:7]
	v_not_b32_e32 v6, v7
	v_ashrrev_i32_e32 v6, 31, v6
	v_xor_b32_e32 v7, vcc_hi, v6
	v_xor_b32_e32 v6, vcc_lo, v6
	v_and_b32_e32 v4, v4, v7
	v_and_b32_e32 v36, v36, v6
	v_lshlrev_b32_e32 v7, 28, v35
	v_mov_b32_e32 v6, v5
	v_cmp_gt_i64_e32 vcc, 0, v[6:7]
	v_not_b32_e32 v6, v7
	v_ashrrev_i32_e32 v6, 31, v6
	;; [unrolled: 9-line block ×6, first 2 shown]
	v_xor_b32_e32 v7, vcc_hi, v6
	v_xor_b32_e32 v6, vcc_lo, v6
	ds_read_b32 v33, v34 offset:64
	v_and_b32_e32 v6, v36, v6
	v_and_b32_e32 v7, v4, v7
	v_mbcnt_lo_u32_b32 v4, v6, 0
	v_mbcnt_hi_u32_b32 v35, v7, v4
	v_cmp_eq_u32_e32 vcc, 0, v35
	v_cmp_ne_u64_e64 s[4:5], 0, v[6:7]
	s_and_b64 s[6:7], s[4:5], vcc
	; wave barrier
	s_and_saveexec_b64 s[4:5], s[6:7]
	s_cbranch_execz .LBB1340_39
; %bb.38:
	v_bcnt_u32_b32 v4, v6, 0
	v_bcnt_u32_b32 v4, v7, v4
	s_waitcnt lgkmcnt(0)
	v_add_u32_e32 v4, v33, v4
	ds_write_b32 v34, v4 offset:64
.LBB1340_39:
	s_or_b64 exec, exec, s[4:5]
	v_lshrrev_b32_sdwa v4, s24, v11 dst_sel:DWORD dst_unused:UNUSED_PAD src0_sel:DWORD src1_sel:WORD_0
	v_and_b32_e32 v38, s33, v4
	v_mul_u32_u24_e32 v4, 17, v38
	v_add_lshl_u32 v37, v30, v4, 2
	v_and_b32_e32 v4, 1, v38
	v_lshl_add_u64 v[6:7], v[4:5], 0, -1
	v_cmp_ne_u32_e32 vcc, 0, v4
	; wave barrier
	s_nop 1
	v_xor_b32_e32 v6, vcc_lo, v6
	v_xor_b32_e32 v4, vcc_hi, v7
	v_and_b32_e32 v39, exec_lo, v6
	v_lshlrev_b32_e32 v7, 30, v38
	v_mov_b32_e32 v6, v5
	v_cmp_gt_i64_e32 vcc, 0, v[6:7]
	v_not_b32_e32 v6, v7
	v_ashrrev_i32_e32 v6, 31, v6
	v_and_b32_e32 v4, exec_hi, v4
	v_xor_b32_e32 v7, vcc_hi, v6
	v_xor_b32_e32 v6, vcc_lo, v6
	v_and_b32_e32 v4, v4, v7
	v_and_b32_e32 v39, v39, v6
	v_lshlrev_b32_e32 v7, 29, v38
	v_mov_b32_e32 v6, v5
	v_cmp_gt_i64_e32 vcc, 0, v[6:7]
	v_not_b32_e32 v6, v7
	v_ashrrev_i32_e32 v6, 31, v6
	v_xor_b32_e32 v7, vcc_hi, v6
	v_xor_b32_e32 v6, vcc_lo, v6
	v_and_b32_e32 v4, v4, v7
	v_and_b32_e32 v39, v39, v6
	v_lshlrev_b32_e32 v7, 28, v38
	v_mov_b32_e32 v6, v5
	v_cmp_gt_i64_e32 vcc, 0, v[6:7]
	v_not_b32_e32 v6, v7
	v_ashrrev_i32_e32 v6, 31, v6
	;; [unrolled: 9-line block ×5, first 2 shown]
	v_xor_b32_e32 v7, vcc_hi, v6
	v_xor_b32_e32 v6, vcc_lo, v6
	v_and_b32_e32 v4, v4, v7
	v_lshlrev_b32_e32 v7, 24, v38
	v_and_b32_e32 v39, v39, v6
	v_mov_b32_e32 v6, v5
	v_not_b32_e32 v5, v7
	v_cmp_gt_i64_e32 vcc, 0, v[6:7]
	v_ashrrev_i32_e32 v5, 31, v5
	ds_read_b32 v36, v37 offset:64
	v_xor_b32_e32 v6, vcc_hi, v5
	v_xor_b32_e32 v7, vcc_lo, v5
	v_and_b32_e32 v5, v4, v6
	v_and_b32_e32 v4, v39, v7
	v_mbcnt_lo_u32_b32 v6, v4, 0
	v_mbcnt_hi_u32_b32 v38, v5, v6
	v_cmp_eq_u32_e32 vcc, 0, v38
	v_cmp_ne_u64_e64 s[4:5], 0, v[4:5]
	s_and_b64 s[6:7], s[4:5], vcc
	; wave barrier
	s_and_saveexec_b64 s[4:5], s[6:7]
	s_cbranch_execz .LBB1340_41
; %bb.40:
	v_bcnt_u32_b32 v4, v4, 0
	v_bcnt_u32_b32 v4, v5, v4
	s_waitcnt lgkmcnt(0)
	v_add_u32_e32 v4, v36, v4
	ds_write_b32 v37, v4 offset:64
.LBB1340_41:
	s_or_b64 exec, exec, s[4:5]
	v_lshrrev_b32_sdwa v4, s24, v15 dst_sel:DWORD dst_unused:UNUSED_PAD src0_sel:DWORD src1_sel:WORD_0
	v_and_b32_e32 v41, s33, v4
	v_mul_u32_u24_e32 v4, 17, v41
	v_add_lshl_u32 v40, v30, v4, 2
	v_and_b32_e32 v4, 1, v41
	v_mov_b32_e32 v5, 0
	v_lshl_add_u64 v[6:7], v[4:5], 0, -1
	v_cmp_ne_u32_e32 vcc, 0, v4
	; wave barrier
	s_nop 1
	v_xor_b32_e32 v6, vcc_lo, v6
	v_xor_b32_e32 v4, vcc_hi, v7
	v_and_b32_e32 v42, exec_lo, v6
	v_lshlrev_b32_e32 v7, 30, v41
	v_mov_b32_e32 v6, v5
	v_cmp_gt_i64_e32 vcc, 0, v[6:7]
	v_not_b32_e32 v6, v7
	v_ashrrev_i32_e32 v6, 31, v6
	v_and_b32_e32 v4, exec_hi, v4
	v_xor_b32_e32 v7, vcc_hi, v6
	v_xor_b32_e32 v6, vcc_lo, v6
	v_and_b32_e32 v4, v4, v7
	v_and_b32_e32 v42, v42, v6
	v_lshlrev_b32_e32 v7, 29, v41
	v_mov_b32_e32 v6, v5
	v_cmp_gt_i64_e32 vcc, 0, v[6:7]
	v_not_b32_e32 v6, v7
	v_ashrrev_i32_e32 v6, 31, v6
	v_xor_b32_e32 v7, vcc_hi, v6
	v_xor_b32_e32 v6, vcc_lo, v6
	v_and_b32_e32 v4, v4, v7
	v_and_b32_e32 v42, v42, v6
	v_lshlrev_b32_e32 v7, 28, v41
	v_mov_b32_e32 v6, v5
	v_cmp_gt_i64_e32 vcc, 0, v[6:7]
	v_not_b32_e32 v6, v7
	v_ashrrev_i32_e32 v6, 31, v6
	v_xor_b32_e32 v7, vcc_hi, v6
	v_xor_b32_e32 v6, vcc_lo, v6
	v_and_b32_e32 v4, v4, v7
	v_and_b32_e32 v42, v42, v6
	v_lshlrev_b32_e32 v7, 27, v41
	v_mov_b32_e32 v6, v5
	v_cmp_gt_i64_e32 vcc, 0, v[6:7]
	v_not_b32_e32 v6, v7
	v_ashrrev_i32_e32 v6, 31, v6
	v_xor_b32_e32 v7, vcc_hi, v6
	v_xor_b32_e32 v6, vcc_lo, v6
	v_and_b32_e32 v4, v4, v7
	v_and_b32_e32 v42, v42, v6
	v_lshlrev_b32_e32 v7, 26, v41
	v_mov_b32_e32 v6, v5
	v_cmp_gt_i64_e32 vcc, 0, v[6:7]
	v_not_b32_e32 v6, v7
	v_ashrrev_i32_e32 v6, 31, v6
	v_xor_b32_e32 v7, vcc_hi, v6
	v_xor_b32_e32 v6, vcc_lo, v6
	v_and_b32_e32 v4, v4, v7
	v_and_b32_e32 v42, v42, v6
	v_lshlrev_b32_e32 v7, 25, v41
	v_mov_b32_e32 v6, v5
	v_cmp_gt_i64_e32 vcc, 0, v[6:7]
	v_not_b32_e32 v6, v7
	v_ashrrev_i32_e32 v6, 31, v6
	v_xor_b32_e32 v7, vcc_hi, v6
	v_xor_b32_e32 v6, vcc_lo, v6
	v_and_b32_e32 v4, v4, v7
	v_and_b32_e32 v42, v42, v6
	v_lshlrev_b32_e32 v7, 24, v41
	v_mov_b32_e32 v6, v5
	v_cmp_gt_i64_e32 vcc, 0, v[6:7]
	v_not_b32_e32 v6, v7
	v_ashrrev_i32_e32 v6, 31, v6
	v_xor_b32_e32 v7, vcc_hi, v6
	v_xor_b32_e32 v6, vcc_lo, v6
	ds_read_b32 v39, v40 offset:64
	v_and_b32_e32 v6, v42, v6
	v_and_b32_e32 v7, v4, v7
	v_mbcnt_lo_u32_b32 v4, v6, 0
	v_mbcnt_hi_u32_b32 v41, v7, v4
	v_cmp_eq_u32_e32 vcc, 0, v41
	v_cmp_ne_u64_e64 s[4:5], 0, v[6:7]
	s_and_b64 s[6:7], s[4:5], vcc
	; wave barrier
	s_and_saveexec_b64 s[4:5], s[6:7]
	s_cbranch_execz .LBB1340_43
; %bb.42:
	v_bcnt_u32_b32 v4, v6, 0
	v_bcnt_u32_b32 v4, v7, v4
	s_waitcnt lgkmcnt(0)
	v_add_u32_e32 v4, v39, v4
	ds_write_b32 v40, v4 offset:64
.LBB1340_43:
	s_or_b64 exec, exec, s[4:5]
	v_lshrrev_b32_sdwa v4, s24, v14 dst_sel:DWORD dst_unused:UNUSED_PAD src0_sel:DWORD src1_sel:WORD_0
	v_and_b32_e32 v44, s33, v4
	v_mul_u32_u24_e32 v4, 17, v44
	v_add_lshl_u32 v43, v30, v4, 2
	v_and_b32_e32 v4, 1, v44
	v_lshl_add_u64 v[6:7], v[4:5], 0, -1
	v_cmp_ne_u32_e32 vcc, 0, v4
	; wave barrier
	s_nop 1
	v_xor_b32_e32 v6, vcc_lo, v6
	v_xor_b32_e32 v4, vcc_hi, v7
	v_and_b32_e32 v45, exec_lo, v6
	v_lshlrev_b32_e32 v7, 30, v44
	v_mov_b32_e32 v6, v5
	v_cmp_gt_i64_e32 vcc, 0, v[6:7]
	v_not_b32_e32 v6, v7
	v_ashrrev_i32_e32 v6, 31, v6
	v_and_b32_e32 v4, exec_hi, v4
	v_xor_b32_e32 v7, vcc_hi, v6
	v_xor_b32_e32 v6, vcc_lo, v6
	v_and_b32_e32 v4, v4, v7
	v_and_b32_e32 v45, v45, v6
	v_lshlrev_b32_e32 v7, 29, v44
	v_mov_b32_e32 v6, v5
	v_cmp_gt_i64_e32 vcc, 0, v[6:7]
	v_not_b32_e32 v6, v7
	v_ashrrev_i32_e32 v6, 31, v6
	v_xor_b32_e32 v7, vcc_hi, v6
	v_xor_b32_e32 v6, vcc_lo, v6
	v_and_b32_e32 v4, v4, v7
	v_and_b32_e32 v45, v45, v6
	v_lshlrev_b32_e32 v7, 28, v44
	v_mov_b32_e32 v6, v5
	v_cmp_gt_i64_e32 vcc, 0, v[6:7]
	v_not_b32_e32 v6, v7
	v_ashrrev_i32_e32 v6, 31, v6
	;; [unrolled: 9-line block ×5, first 2 shown]
	v_xor_b32_e32 v7, vcc_hi, v6
	v_xor_b32_e32 v6, vcc_lo, v6
	v_and_b32_e32 v4, v4, v7
	v_lshlrev_b32_e32 v7, 24, v44
	v_and_b32_e32 v45, v45, v6
	v_mov_b32_e32 v6, v5
	v_not_b32_e32 v5, v7
	v_cmp_gt_i64_e32 vcc, 0, v[6:7]
	v_ashrrev_i32_e32 v5, 31, v5
	ds_read_b32 v42, v43 offset:64
	v_xor_b32_e32 v6, vcc_hi, v5
	v_xor_b32_e32 v7, vcc_lo, v5
	v_and_b32_e32 v5, v4, v6
	v_and_b32_e32 v4, v45, v7
	v_mbcnt_lo_u32_b32 v6, v4, 0
	v_mbcnt_hi_u32_b32 v44, v5, v6
	v_cmp_eq_u32_e32 vcc, 0, v44
	v_cmp_ne_u64_e64 s[4:5], 0, v[4:5]
	s_and_b64 s[6:7], s[4:5], vcc
	; wave barrier
	s_and_saveexec_b64 s[4:5], s[6:7]
	s_cbranch_execz .LBB1340_45
; %bb.44:
	v_bcnt_u32_b32 v4, v4, 0
	v_bcnt_u32_b32 v4, v5, v4
	s_waitcnt lgkmcnt(0)
	v_add_u32_e32 v4, v42, v4
	ds_write_b32 v43, v4 offset:64
.LBB1340_45:
	s_or_b64 exec, exec, s[4:5]
	v_lshrrev_b32_sdwa v4, s24, v17 dst_sel:DWORD dst_unused:UNUSED_PAD src0_sel:DWORD src1_sel:WORD_0
	v_and_b32_e32 v47, s33, v4
	v_mul_u32_u24_e32 v4, 17, v47
	v_add_lshl_u32 v46, v30, v4, 2
	v_and_b32_e32 v4, 1, v47
	v_mov_b32_e32 v5, 0
	v_lshl_add_u64 v[6:7], v[4:5], 0, -1
	v_cmp_ne_u32_e32 vcc, 0, v4
	; wave barrier
	s_nop 1
	v_xor_b32_e32 v6, vcc_lo, v6
	v_xor_b32_e32 v4, vcc_hi, v7
	v_and_b32_e32 v48, exec_lo, v6
	v_lshlrev_b32_e32 v7, 30, v47
	v_mov_b32_e32 v6, v5
	v_cmp_gt_i64_e32 vcc, 0, v[6:7]
	v_not_b32_e32 v6, v7
	v_ashrrev_i32_e32 v6, 31, v6
	v_and_b32_e32 v4, exec_hi, v4
	v_xor_b32_e32 v7, vcc_hi, v6
	v_xor_b32_e32 v6, vcc_lo, v6
	v_and_b32_e32 v4, v4, v7
	v_and_b32_e32 v48, v48, v6
	v_lshlrev_b32_e32 v7, 29, v47
	v_mov_b32_e32 v6, v5
	v_cmp_gt_i64_e32 vcc, 0, v[6:7]
	v_not_b32_e32 v6, v7
	v_ashrrev_i32_e32 v6, 31, v6
	v_xor_b32_e32 v7, vcc_hi, v6
	v_xor_b32_e32 v6, vcc_lo, v6
	v_and_b32_e32 v4, v4, v7
	v_and_b32_e32 v48, v48, v6
	v_lshlrev_b32_e32 v7, 28, v47
	v_mov_b32_e32 v6, v5
	v_cmp_gt_i64_e32 vcc, 0, v[6:7]
	v_not_b32_e32 v6, v7
	v_ashrrev_i32_e32 v6, 31, v6
	;; [unrolled: 9-line block ×6, first 2 shown]
	v_xor_b32_e32 v7, vcc_hi, v6
	v_xor_b32_e32 v6, vcc_lo, v6
	ds_read_b32 v45, v46 offset:64
	v_and_b32_e32 v6, v48, v6
	v_and_b32_e32 v7, v4, v7
	v_mbcnt_lo_u32_b32 v4, v6, 0
	v_mbcnt_hi_u32_b32 v47, v7, v4
	v_cmp_eq_u32_e32 vcc, 0, v47
	v_cmp_ne_u64_e64 s[4:5], 0, v[6:7]
	s_and_b64 s[6:7], s[4:5], vcc
	; wave barrier
	s_and_saveexec_b64 s[4:5], s[6:7]
	s_cbranch_execz .LBB1340_47
; %bb.46:
	v_bcnt_u32_b32 v4, v6, 0
	v_bcnt_u32_b32 v4, v7, v4
	s_waitcnt lgkmcnt(0)
	v_add_u32_e32 v4, v45, v4
	ds_write_b32 v46, v4 offset:64
.LBB1340_47:
	s_or_b64 exec, exec, s[4:5]
	v_lshrrev_b32_sdwa v4, s24, v16 dst_sel:DWORD dst_unused:UNUSED_PAD src0_sel:DWORD src1_sel:WORD_0
	v_and_b32_e32 v50, s33, v4
	v_mul_u32_u24_e32 v4, 17, v50
	v_add_lshl_u32 v49, v30, v4, 2
	v_and_b32_e32 v4, 1, v50
	v_lshl_add_u64 v[6:7], v[4:5], 0, -1
	v_cmp_ne_u32_e32 vcc, 0, v4
	; wave barrier
	s_nop 1
	v_xor_b32_e32 v6, vcc_lo, v6
	v_xor_b32_e32 v4, vcc_hi, v7
	v_and_b32_e32 v51, exec_lo, v6
	v_lshlrev_b32_e32 v7, 30, v50
	v_mov_b32_e32 v6, v5
	v_cmp_gt_i64_e32 vcc, 0, v[6:7]
	v_not_b32_e32 v6, v7
	v_ashrrev_i32_e32 v6, 31, v6
	v_and_b32_e32 v4, exec_hi, v4
	v_xor_b32_e32 v7, vcc_hi, v6
	v_xor_b32_e32 v6, vcc_lo, v6
	v_and_b32_e32 v4, v4, v7
	v_and_b32_e32 v51, v51, v6
	v_lshlrev_b32_e32 v7, 29, v50
	v_mov_b32_e32 v6, v5
	v_cmp_gt_i64_e32 vcc, 0, v[6:7]
	v_not_b32_e32 v6, v7
	v_ashrrev_i32_e32 v6, 31, v6
	v_xor_b32_e32 v7, vcc_hi, v6
	v_xor_b32_e32 v6, vcc_lo, v6
	v_and_b32_e32 v4, v4, v7
	v_and_b32_e32 v51, v51, v6
	v_lshlrev_b32_e32 v7, 28, v50
	v_mov_b32_e32 v6, v5
	v_cmp_gt_i64_e32 vcc, 0, v[6:7]
	v_not_b32_e32 v6, v7
	v_ashrrev_i32_e32 v6, 31, v6
	;; [unrolled: 9-line block ×5, first 2 shown]
	v_xor_b32_e32 v7, vcc_hi, v6
	v_xor_b32_e32 v6, vcc_lo, v6
	v_and_b32_e32 v4, v4, v7
	v_lshlrev_b32_e32 v7, 24, v50
	v_and_b32_e32 v51, v51, v6
	v_mov_b32_e32 v6, v5
	v_not_b32_e32 v5, v7
	v_cmp_gt_i64_e32 vcc, 0, v[6:7]
	v_ashrrev_i32_e32 v5, 31, v5
	ds_read_b32 v48, v49 offset:64
	v_xor_b32_e32 v6, vcc_hi, v5
	v_xor_b32_e32 v7, vcc_lo, v5
	v_and_b32_e32 v5, v4, v6
	v_and_b32_e32 v4, v51, v7
	v_mbcnt_lo_u32_b32 v6, v4, 0
	v_mbcnt_hi_u32_b32 v50, v5, v6
	v_cmp_eq_u32_e32 vcc, 0, v50
	v_cmp_ne_u64_e64 s[4:5], 0, v[4:5]
	s_and_b64 s[6:7], s[4:5], vcc
	; wave barrier
	s_and_saveexec_b64 s[4:5], s[6:7]
	s_cbranch_execz .LBB1340_49
; %bb.48:
	v_bcnt_u32_b32 v4, v4, 0
	v_bcnt_u32_b32 v4, v5, v4
	s_waitcnt lgkmcnt(0)
	v_add_u32_e32 v4, v48, v4
	ds_write_b32 v49, v4 offset:64
.LBB1340_49:
	s_or_b64 exec, exec, s[4:5]
	v_lshrrev_b32_sdwa v4, s24, v19 dst_sel:DWORD dst_unused:UNUSED_PAD src0_sel:DWORD src1_sel:WORD_0
	v_and_b32_e32 v53, s33, v4
	v_mul_u32_u24_e32 v4, 17, v53
	v_add_lshl_u32 v52, v30, v4, 2
	v_and_b32_e32 v4, 1, v53
	v_mov_b32_e32 v5, 0
	v_lshl_add_u64 v[6:7], v[4:5], 0, -1
	v_cmp_ne_u32_e32 vcc, 0, v4
	; wave barrier
	s_nop 1
	v_xor_b32_e32 v6, vcc_lo, v6
	v_xor_b32_e32 v4, vcc_hi, v7
	v_and_b32_e32 v54, exec_lo, v6
	v_lshlrev_b32_e32 v7, 30, v53
	v_mov_b32_e32 v6, v5
	v_cmp_gt_i64_e32 vcc, 0, v[6:7]
	v_not_b32_e32 v6, v7
	v_ashrrev_i32_e32 v6, 31, v6
	v_and_b32_e32 v4, exec_hi, v4
	v_xor_b32_e32 v7, vcc_hi, v6
	v_xor_b32_e32 v6, vcc_lo, v6
	v_and_b32_e32 v4, v4, v7
	v_and_b32_e32 v54, v54, v6
	v_lshlrev_b32_e32 v7, 29, v53
	v_mov_b32_e32 v6, v5
	v_cmp_gt_i64_e32 vcc, 0, v[6:7]
	v_not_b32_e32 v6, v7
	v_ashrrev_i32_e32 v6, 31, v6
	v_xor_b32_e32 v7, vcc_hi, v6
	v_xor_b32_e32 v6, vcc_lo, v6
	v_and_b32_e32 v4, v4, v7
	v_and_b32_e32 v54, v54, v6
	v_lshlrev_b32_e32 v7, 28, v53
	v_mov_b32_e32 v6, v5
	v_cmp_gt_i64_e32 vcc, 0, v[6:7]
	v_not_b32_e32 v6, v7
	v_ashrrev_i32_e32 v6, 31, v6
	;; [unrolled: 9-line block ×6, first 2 shown]
	v_xor_b32_e32 v7, vcc_hi, v6
	v_xor_b32_e32 v6, vcc_lo, v6
	ds_read_b32 v51, v52 offset:64
	v_and_b32_e32 v6, v54, v6
	v_and_b32_e32 v7, v4, v7
	v_mbcnt_lo_u32_b32 v4, v6, 0
	v_mbcnt_hi_u32_b32 v53, v7, v4
	v_cmp_eq_u32_e32 vcc, 0, v53
	v_cmp_ne_u64_e64 s[4:5], 0, v[6:7]
	s_and_b64 s[6:7], s[4:5], vcc
	; wave barrier
	s_and_saveexec_b64 s[4:5], s[6:7]
	s_cbranch_execz .LBB1340_51
; %bb.50:
	v_bcnt_u32_b32 v4, v6, 0
	v_bcnt_u32_b32 v4, v7, v4
	s_waitcnt lgkmcnt(0)
	v_add_u32_e32 v4, v51, v4
	ds_write_b32 v52, v4 offset:64
.LBB1340_51:
	s_or_b64 exec, exec, s[4:5]
	v_lshrrev_b32_sdwa v4, s24, v18 dst_sel:DWORD dst_unused:UNUSED_PAD src0_sel:DWORD src1_sel:WORD_0
	v_and_b32_e32 v56, s33, v4
	v_mul_u32_u24_e32 v4, 17, v56
	v_add_lshl_u32 v54, v30, v4, 2
	v_and_b32_e32 v4, 1, v56
	v_lshl_add_u64 v[6:7], v[4:5], 0, -1
	v_cmp_ne_u32_e32 vcc, 0, v4
	; wave barrier
	s_nop 1
	v_xor_b32_e32 v6, vcc_lo, v6
	v_xor_b32_e32 v4, vcc_hi, v7
	v_and_b32_e32 v57, exec_lo, v6
	v_lshlrev_b32_e32 v7, 30, v56
	v_mov_b32_e32 v6, v5
	v_cmp_gt_i64_e32 vcc, 0, v[6:7]
	v_not_b32_e32 v6, v7
	v_ashrrev_i32_e32 v6, 31, v6
	v_and_b32_e32 v4, exec_hi, v4
	v_xor_b32_e32 v7, vcc_hi, v6
	v_xor_b32_e32 v6, vcc_lo, v6
	v_and_b32_e32 v4, v4, v7
	v_and_b32_e32 v57, v57, v6
	v_lshlrev_b32_e32 v7, 29, v56
	v_mov_b32_e32 v6, v5
	v_cmp_gt_i64_e32 vcc, 0, v[6:7]
	v_not_b32_e32 v6, v7
	v_ashrrev_i32_e32 v6, 31, v6
	v_xor_b32_e32 v7, vcc_hi, v6
	v_xor_b32_e32 v6, vcc_lo, v6
	v_and_b32_e32 v4, v4, v7
	v_and_b32_e32 v57, v57, v6
	v_lshlrev_b32_e32 v7, 28, v56
	v_mov_b32_e32 v6, v5
	v_cmp_gt_i64_e32 vcc, 0, v[6:7]
	v_not_b32_e32 v6, v7
	v_ashrrev_i32_e32 v6, 31, v6
	;; [unrolled: 9-line block ×5, first 2 shown]
	v_xor_b32_e32 v7, vcc_hi, v6
	v_xor_b32_e32 v6, vcc_lo, v6
	v_and_b32_e32 v4, v4, v7
	v_lshlrev_b32_e32 v7, 24, v56
	v_and_b32_e32 v57, v57, v6
	v_mov_b32_e32 v6, v5
	v_not_b32_e32 v5, v7
	v_cmp_gt_i64_e32 vcc, 0, v[6:7]
	v_ashrrev_i32_e32 v5, 31, v5
	ds_read_b32 v30, v54 offset:64
	v_xor_b32_e32 v6, vcc_hi, v5
	v_xor_b32_e32 v7, vcc_lo, v5
	v_and_b32_e32 v5, v4, v6
	v_and_b32_e32 v4, v57, v7
	v_mbcnt_lo_u32_b32 v6, v4, 0
	v_mbcnt_hi_u32_b32 v56, v5, v6
	v_cmp_eq_u32_e32 vcc, 0, v56
	v_cmp_ne_u64_e64 s[4:5], 0, v[4:5]
	v_add_u32_e32 v55, 64, v20
	s_and_b64 s[6:7], s[4:5], vcc
	; wave barrier
	s_and_saveexec_b64 s[4:5], s[6:7]
	s_cbranch_execz .LBB1340_53
; %bb.52:
	v_bcnt_u32_b32 v4, v4, 0
	v_bcnt_u32_b32 v4, v5, v4
	s_waitcnt lgkmcnt(0)
	v_add_u32_e32 v4, v30, v4
	ds_write_b32 v54, v4 offset:64
.LBB1340_53:
	s_or_b64 exec, exec, s[4:5]
	; wave barrier
	s_waitcnt lgkmcnt(0)
	s_barrier
	ds_read2_b32 v[6:7], v20 offset0:16 offset1:17
	ds_read2_b32 v[4:5], v55 offset0:2 offset1:3
	ds_read_b32 v57, v55 offset:16
	v_cmp_lt_u32_e64 s[12:13], 31, v13
	s_waitcnt lgkmcnt(1)
	v_add3_u32 v58, v7, v6, v4
	s_waitcnt lgkmcnt(0)
	v_add3_u32 v57, v58, v5, v57
	v_and_b32_e32 v58, 15, v13
	v_cmp_eq_u32_e32 vcc, 0, v58
	v_mov_b32_dpp v59, v57 row_shr:1 row_mask:0xf bank_mask:0xf
	v_cmp_lt_u32_e64 s[4:5], 1, v58
	v_cndmask_b32_e64 v59, v59, 0, vcc
	v_add_u32_e32 v57, v59, v57
	v_cmp_lt_u32_e64 s[6:7], 3, v58
	v_cmp_lt_u32_e64 s[8:9], 7, v58
	v_mov_b32_dpp v59, v57 row_shr:2 row_mask:0xf bank_mask:0xf
	v_cndmask_b32_e64 v59, 0, v59, s[4:5]
	v_add_u32_e32 v57, v57, v59
	s_nop 1
	v_mov_b32_dpp v59, v57 row_shr:4 row_mask:0xf bank_mask:0xf
	v_cndmask_b32_e64 v59, 0, v59, s[6:7]
	v_add_u32_e32 v57, v57, v59
	s_nop 1
	v_mov_b32_dpp v59, v57 row_shr:8 row_mask:0xf bank_mask:0xf
	v_cndmask_b32_e64 v58, 0, v59, s[8:9]
	v_add_u32_e32 v57, v57, v58
	v_bfe_i32 v59, v13, 4, 1
	s_nop 0
	v_mov_b32_dpp v58, v57 row_bcast:15 row_mask:0xf bank_mask:0xf
	v_and_b32_e32 v58, v59, v58
	v_add_u32_e32 v57, v57, v58
	v_and_b32_e32 v59, 63, v2
	s_nop 0
	v_mov_b32_dpp v58, v57 row_bcast:31 row_mask:0xf bank_mask:0xf
	v_cndmask_b32_e64 v58, 0, v58, s[12:13]
	v_add_u32_e32 v57, v57, v58
	v_lshrrev_b32_e32 v58, 6, v2
	v_cmp_eq_u32_e64 s[12:13], 63, v59
	s_and_saveexec_b64 s[14:15], s[12:13]
	s_cbranch_execz .LBB1340_55
; %bb.54:
	v_lshlrev_b32_e32 v59, 2, v58
	ds_write_b32 v59, v57
.LBB1340_55:
	s_or_b64 exec, exec, s[14:15]
	v_cmp_gt_u32_e64 s[12:13], 16, v2
	s_waitcnt lgkmcnt(0)
	s_barrier
	s_and_saveexec_b64 s[14:15], s[12:13]
	s_cbranch_execz .LBB1340_57
; %bb.56:
	v_lshlrev_b32_e32 v59, 2, v2
	ds_read_b32 v60, v59
	s_waitcnt lgkmcnt(0)
	s_nop 0
	v_mov_b32_dpp v61, v60 row_shr:1 row_mask:0xf bank_mask:0xf
	v_cndmask_b32_e64 v61, v61, 0, vcc
	v_add_u32_e32 v60, v61, v60
	s_nop 1
	v_mov_b32_dpp v61, v60 row_shr:2 row_mask:0xf bank_mask:0xf
	v_cndmask_b32_e64 v61, 0, v61, s[4:5]
	v_add_u32_e32 v60, v60, v61
	s_nop 1
	v_mov_b32_dpp v61, v60 row_shr:4 row_mask:0xf bank_mask:0xf
	v_cndmask_b32_e64 v61, 0, v61, s[6:7]
	;; [unrolled: 4-line block ×3, first 2 shown]
	v_add_u32_e32 v60, v60, v61
	ds_write_b32 v59, v60
.LBB1340_57:
	s_or_b64 exec, exec, s[14:15]
	v_cmp_lt_u32_e32 vcc, 63, v2
	v_mov_b32_e32 v59, 0
	s_waitcnt lgkmcnt(0)
	s_barrier
	s_and_saveexec_b64 s[4:5], vcc
	s_cbranch_execz .LBB1340_59
; %bb.58:
	v_lshl_add_u32 v58, v58, 2, -4
	ds_read_b32 v59, v58
.LBB1340_59:
	s_or_b64 exec, exec, s[4:5]
	v_add_u32_e32 v58, -1, v13
	v_and_b32_e32 v60, 64, v13
	v_cmp_lt_i32_e32 vcc, v58, v60
	s_waitcnt lgkmcnt(0)
	v_add_u32_e32 v57, v59, v57
	s_movk_i32 s4, 0x100
	v_cndmask_b32_e32 v58, v58, v13, vcc
	v_lshlrev_b32_e32 v58, 2, v58
	ds_bpermute_b32 v57, v58, v57
	v_cmp_eq_u32_e32 vcc, 0, v13
	s_waitcnt lgkmcnt(0)
	s_nop 0
	v_cndmask_b32_e32 v13, v57, v59, vcc
	v_cndmask_b32_e64 v13, v13, 0, s[10:11]
	v_add_u32_e32 v6, v13, v6
	v_add_u32_e32 v7, v6, v7
	;; [unrolled: 1-line block ×4, first 2 shown]
	ds_write2_b32 v20, v13, v6 offset0:16 offset1:17
	ds_write2_b32 v55, v7, v4 offset0:2 offset1:3
	ds_write_b32 v55, v5 offset:16
	s_waitcnt lgkmcnt(0)
	s_barrier
	ds_read_b32 v59, v23 offset:64
	ds_read_b32 v58, v24 offset:64
	;; [unrolled: 1-line block ×12, first 2 shown]
	v_cmp_gt_u32_e32 vcc, s4, v2
                                        ; implicit-def: $vgpr13
                                        ; implicit-def: $vgpr20
	s_and_saveexec_b64 s[6:7], vcc
	s_cbranch_execz .LBB1340_63
; %bb.60:
	v_mul_u32_u24_e32 v13, 17, v2
	v_lshlrev_b32_e32 v34, 2, v13
	ds_read_b32 v13, v34 offset:64
	s_movk_i32 s4, 0xff
	v_cmp_ne_u32_e64 s[4:5], s4, v2
	v_mov_b32_e32 v20, 0x3000
	s_and_saveexec_b64 s[8:9], s[4:5]
	s_cbranch_execz .LBB1340_62
; %bb.61:
	ds_read_b32 v20, v34 offset:132
.LBB1340_62:
	s_or_b64 exec, exec, s[8:9]
	s_waitcnt lgkmcnt(0)
	v_sub_u32_e32 v20, v20, v13
.LBB1340_63:
	s_or_b64 exec, exec, s[6:7]
	v_add_u32_e32 v22, v25, v22
	s_waitcnt lgkmcnt(11)
	v_add_lshl_u32 v21, v59, v21, 1
	v_add_u32_e32 v26, v28, v26
	s_waitcnt lgkmcnt(0)
	s_barrier
	ds_write_b16 v21, v8 offset:1024
	v_add_lshl_u32 v8, v22, v58, 1
	v_add_u32_e32 v29, v32, v29
	ds_write_b16 v8, v3 offset:1024
	v_add_lshl_u32 v3, v26, v57, 1
	v_add_u32_e32 v33, v35, v33
	;; [unrolled: 3-line block ×9, first 2 shown]
	ds_write_b16 v3, v16 offset:1024
	v_add_lshl_u32 v3, v34, v5, 1
	ds_write_b16 v3, v19 offset:1024
	v_add_lshl_u32 v3, v30, v4, 1
	ds_write_b16 v3, v18 offset:1024
	s_and_saveexec_b64 s[6:7], vcc
	s_cbranch_execz .LBB1340_73
; %bb.64:
	v_lshl_or_b32 v6, s27, 8, v2
	v_mov_b32_e32 v7, 0
	v_lshl_add_u64 v[4:5], v[6:7], 2, s[18:19]
	v_or_b32_e32 v3, 2.0, v20
	global_store_dword v[4:5], v3, off sc1
	s_mov_b64 s[8:9], 0
	s_brev_b32 s16, 1
	s_mov_b32 s17, s27
	v_mov_b32_e32 v3, 0
                                        ; implicit-def: $sgpr4_sgpr5
	s_branch .LBB1340_66
.LBB1340_65:                            ;   in Loop: Header=BB1340_66 Depth=1
	s_or_b64 exec, exec, s[12:13]
	v_and_b32_e32 v8, 0x3fffffff, v10
	v_add_u32_e32 v3, v8, v3
	v_cmp_eq_u32_e64 s[4:5], s16, v6
	s_and_b64 s[12:13], exec, s[4:5]
	s_or_b64 s[8:9], s[12:13], s[8:9]
	s_andn2_b64 exec, exec, s[8:9]
	s_cbranch_execz .LBB1340_72
.LBB1340_66:                            ; =>This Loop Header: Depth=1
                                        ;     Child Loop BB1340_69 Depth 2
	s_or_b64 s[4:5], s[4:5], exec
	s_cmp_eq_u32 s17, 0
	s_cbranch_scc1 .LBB1340_71
; %bb.67:                               ;   in Loop: Header=BB1340_66 Depth=1
	s_add_i32 s17, s17, -1
	v_lshl_or_b32 v6, s17, 8, v2
	v_lshl_add_u64 v[8:9], v[6:7], 2, s[18:19]
	global_load_dword v10, v[8:9], off sc1
	s_waitcnt vmcnt(0)
	v_and_b32_e32 v6, -2.0, v10
	v_cmp_eq_u32_e64 s[4:5], 0, v6
	s_and_saveexec_b64 s[12:13], s[4:5]
	s_cbranch_execz .LBB1340_65
; %bb.68:                               ;   in Loop: Header=BB1340_66 Depth=1
	s_mov_b64 s[14:15], 0
.LBB1340_69:                            ;   Parent Loop BB1340_66 Depth=1
                                        ; =>  This Inner Loop Header: Depth=2
	global_load_dword v10, v[8:9], off sc1
	s_waitcnt vmcnt(0)
	v_and_b32_e32 v6, -2.0, v10
	v_cmp_ne_u32_e64 s[4:5], 0, v6
	s_or_b64 s[14:15], s[4:5], s[14:15]
	s_andn2_b64 exec, exec, s[14:15]
	s_cbranch_execnz .LBB1340_69
; %bb.70:                               ;   in Loop: Header=BB1340_66 Depth=1
	s_or_b64 exec, exec, s[14:15]
	s_branch .LBB1340_65
.LBB1340_71:                            ;   in Loop: Header=BB1340_66 Depth=1
                                        ; implicit-def: $sgpr17
	s_and_b64 s[12:13], exec, s[4:5]
	s_or_b64 s[8:9], s[12:13], s[8:9]
	s_andn2_b64 exec, exec, s[8:9]
	s_cbranch_execnz .LBB1340_66
.LBB1340_72:
	s_or_b64 exec, exec, s[8:9]
	v_add_u32_e32 v6, v3, v20
	v_or_b32_e32 v6, 0x80000000, v6
	global_store_dword v[4:5], v6, off sc1
	v_lshlrev_b32_e32 v4, 2, v2
	global_load_dword v5, v4, s[20:21]
	v_sub_u32_e32 v3, v3, v13
	s_waitcnt vmcnt(0)
	v_add_u32_e32 v3, v3, v5
	ds_write_b32 v4, v3
.LBB1340_73:
	s_or_b64 exec, exec, s[6:7]
	v_cmp_gt_u32_e64 s[4:5], s3, v2
	s_waitcnt lgkmcnt(0)
	s_barrier
	s_and_saveexec_b64 s[6:7], s[4:5]
	s_cbranch_execz .LBB1340_75
; %bb.74:
	v_lshlrev_b32_e32 v3, 1, v2
	ds_read_u16 v3, v3 offset:1024
	v_mov_b32_e32 v5, 0
	s_waitcnt lgkmcnt(0)
	v_lshrrev_b32_sdwa v4, s24, v3 dst_sel:DWORD dst_unused:UNUSED_PAD src0_sel:DWORD src1_sel:WORD_0
	v_and_b32_e32 v4, s33, v4
	v_lshlrev_b32_e32 v4, 2, v4
	ds_read_b32 v4, v4
	s_waitcnt lgkmcnt(0)
	v_add_u32_e32 v4, v4, v2
	v_lshl_add_u64 v[4:5], v[4:5], 1, s[30:31]
	global_store_short v[4:5], v3, off
.LBB1340_75:
	s_or_b64 exec, exec, s[6:7]
	v_or_b32_e32 v3, 0x400, v2
	v_cmp_gt_u32_e64 s[4:5], s3, v3
	s_and_saveexec_b64 s[6:7], s[4:5]
	s_cbranch_execz .LBB1340_77
; %bb.76:
	v_lshlrev_b32_e32 v4, 1, v2
	ds_read_u16 v6, v4 offset:3072
	v_mov_b32_e32 v5, 0
	s_waitcnt lgkmcnt(0)
	v_lshrrev_b32_sdwa v4, s24, v6 dst_sel:DWORD dst_unused:UNUSED_PAD src0_sel:DWORD src1_sel:WORD_0
	v_and_b32_e32 v4, s33, v4
	v_lshlrev_b32_e32 v4, 2, v4
	ds_read_b32 v4, v4
	s_waitcnt lgkmcnt(0)
	v_add_u32_e32 v4, v4, v3
	v_lshl_add_u64 v[4:5], v[4:5], 1, s[30:31]
	global_store_short v[4:5], v6, off
.LBB1340_77:
	s_or_b64 exec, exec, s[6:7]
	v_or_b32_e32 v3, 0x800, v2
	v_cmp_gt_u32_e64 s[4:5], s3, v3
	;; [unrolled: 19-line block ×11, first 2 shown]
	s_and_saveexec_b64 s[6:7], s[4:5]
	s_cbranch_execz .LBB1340_97
; %bb.96:
	v_lshlrev_b32_e32 v4, 1, v2
	ds_read_u16 v6, v4 offset:23552
	v_mov_b32_e32 v5, 0
	s_waitcnt lgkmcnt(0)
	v_lshrrev_b32_sdwa v4, s24, v6 dst_sel:DWORD dst_unused:UNUSED_PAD src0_sel:DWORD src1_sel:WORD_0
	v_and_b32_e32 v4, s33, v4
	v_lshlrev_b32_e32 v4, 2, v4
	ds_read_b32 v4, v4
	s_waitcnt lgkmcnt(0)
	v_add_u32_e32 v4, v4, v3
	v_lshl_add_u64 v[4:5], v[4:5], 1, s[30:31]
	global_store_short v[4:5], v6, off
.LBB1340_97:
	s_or_b64 exec, exec, s[6:7]
	s_add_i32 s26, s26, -1
	s_cmp_eq_u32 s26, s27
	s_cselect_b64 s[4:5], -1, 0
	s_and_b64 s[6:7], vcc, s[4:5]
	s_mov_b64 s[4:5], 0
	s_mov_b64 s[8:9], 0
                                        ; implicit-def: $vgpr4
	s_and_saveexec_b64 s[12:13], s[6:7]
	s_xor_b64 s[6:7], exec, s[12:13]
; %bb.98:
	s_mov_b64 s[8:9], exec
	v_add_u32_e32 v4, v13, v20
	v_mov_b32_e32 v3, 0
; %bb.99:
	s_or_b64 exec, exec, s[6:7]
	s_and_b64 vcc, exec, s[4:5]
	s_cbranch_vccnz .LBB1340_101
	s_branch .LBB1340_150
.LBB1340_100:
	s_mov_b64 s[8:9], 0
                                        ; implicit-def: $vgpr4
	s_cbranch_execz .LBB1340_150
.LBB1340_101:
	s_mov_b32 s35, 0
	s_lshl_b64 s[4:5], s[34:35], 1
	v_mbcnt_hi_u32_b32 v6, -1, v1
	s_add_u32 s4, s28, s4
	v_and_b32_e32 v1, 63, v6
	v_and_b32_e32 v3, 0x3c0, v2
	s_addc_u32 s5, s29, s5
	v_mov_b32_e32 v5, 0
	v_mul_u32_u24_e32 v3, 12, v3
	v_lshlrev_b32_e32 v4, 1, v1
	v_lshl_add_u64 v[8:9], s[4:5], 0, v[4:5]
	v_lshlrev_b32_e32 v4, 1, v3
	v_lshl_add_u64 v[20:21], v[8:9], 0, v[4:5]
	global_load_ushort v3, v[20:21], off
	s_load_dword s3, s[0:1], 0x64
	s_load_dword s14, s[0:1], 0x58
	s_add_u32 s0, s0, 0x58
	s_addc_u32 s1, s1, 0
	v_bfe_u32 v1, v0, 10, 10
	s_waitcnt lgkmcnt(0)
	s_lshr_b32 s3, s3, 16
	s_cmp_lt_u32 s2, s14
	s_cselect_b32 s2, 12, 18
	s_add_u32 s0, s0, s2
	s_addc_u32 s1, s1, 0
	global_load_ushort v19, v5, s[0:1]
	v_bfe_u32 v4, v0, 20, 10
	v_mul_u32_u24_e32 v0, 5, v2
	v_lshlrev_b32_e32 v18, 2, v0
	ds_write2_b32 v18, v5, v5 offset0:16 offset1:17
	ds_write2_b32 v18, v5, v5 offset0:18 offset1:19
	ds_write_b32 v18, v5 offset:80
	global_load_ushort v17, v[20:21], off offset:128
	global_load_ushort v16, v[20:21], off offset:256
	;; [unrolled: 1-line block ×11, first 2 shown]
	s_lshl_b32 s0, -1, s25
	v_mad_u32_u24 v28, v4, s3, v1
	s_not_b32 s15, s0
	v_mov_b32_e32 v0, v5
	v_mov_b32_e32 v22, v5
	;; [unrolled: 1-line block ×4, first 2 shown]
	s_waitcnt lgkmcnt(0)
	s_barrier
	s_waitcnt lgkmcnt(0)
	; wave barrier
	s_waitcnt vmcnt(12)
	v_lshrrev_b32_sdwa v1, s24, v3 dst_sel:DWORD dst_unused:UNUSED_PAD src0_sel:DWORD src1_sel:WORD_0
	v_and_b32_e32 v29, s15, v1
	v_and_b32_e32 v4, 1, v29
	v_lshlrev_b32_e32 v1, 30, v29
	v_lshlrev_b32_e32 v23, 29, v29
	v_lshl_add_u64 v[20:21], v[4:5], 0, -1
	v_cmp_ne_u32_e32 vcc, 0, v4
	v_cmp_gt_i64_e64 s[0:1], 0, v[0:1]
	v_not_b32_e32 v4, v1
	v_lshlrev_b32_e32 v25, 28, v29
	s_waitcnt vmcnt(11)
	v_mad_u64_u32 v[0:1], s[12:13], v28, v19, v[2:3]
	v_lshlrev_b32_e32 v27, 27, v29
	v_cmp_gt_i64_e64 s[2:3], 0, v[22:23]
	v_not_b32_e32 v22, v23
	v_xor_b32_e32 v1, vcc_hi, v21
	v_xor_b32_e32 v19, vcc_lo, v20
	v_ashrrev_i32_e32 v4, 31, v4
	v_cmp_gt_i64_e64 s[4:5], 0, v[24:25]
	v_not_b32_e32 v23, v25
	v_cmp_gt_i64_e64 s[6:7], 0, v[26:27]
	v_not_b32_e32 v24, v27
	v_ashrrev_i32_e32 v20, 31, v22
	v_lshrrev_b32_e32 v27, 6, v0
	v_and_b32_e32 v0, exec_hi, v1
	v_and_b32_e32 v1, exec_lo, v19
	v_xor_b32_e32 v19, s1, v4
	v_xor_b32_e32 v4, s0, v4
	v_ashrrev_i32_e32 v21, 31, v23
	v_ashrrev_i32_e32 v22, 31, v24
	v_xor_b32_e32 v23, s3, v20
	v_xor_b32_e32 v24, s2, v20
	v_and_b32_e32 v0, v0, v19
	v_and_b32_e32 v1, v1, v4
	v_xor_b32_e32 v25, s5, v21
	v_xor_b32_e32 v21, s4, v21
	v_and_b32_e32 v0, v0, v23
	v_and_b32_e32 v1, v1, v24
	v_xor_b32_e32 v26, s7, v22
	v_and_b32_e32 v0, v0, v25
	v_and_b32_e32 v1, v1, v21
	v_xor_b32_e32 v4, s6, v22
	v_and_b32_e32 v19, v0, v26
	v_and_b32_e32 v4, v1, v4
	v_lshlrev_b32_e32 v1, 26, v29
	v_mov_b32_e32 v0, v5
	v_cmp_gt_i64_e32 vcc, 0, v[0:1]
	v_not_b32_e32 v0, v1
	v_ashrrev_i32_e32 v0, 31, v0
	v_xor_b32_e32 v1, vcc_hi, v0
	v_xor_b32_e32 v0, vcc_lo, v0
	v_and_b32_e32 v19, v19, v1
	v_and_b32_e32 v4, v4, v0
	v_lshlrev_b32_e32 v1, 25, v29
	v_mov_b32_e32 v0, v5
	v_cmp_gt_i64_e32 vcc, 0, v[0:1]
	v_not_b32_e32 v0, v1
	v_ashrrev_i32_e32 v0, 31, v0
	v_xor_b32_e32 v1, vcc_hi, v0
	v_xor_b32_e32 v0, vcc_lo, v0
	v_and_b32_e32 v19, v19, v1
	v_and_b32_e32 v4, v4, v0
	;; [unrolled: 9-line block ×3, first 2 shown]
	v_mbcnt_lo_u32_b32 v4, v0, 0
	v_mbcnt_hi_u32_b32 v19, v1, v4
	v_mul_u32_u24_e32 v30, 17, v29
	v_cmp_eq_u32_e32 vcc, 0, v19
	v_cmp_ne_u64_e64 s[0:1], 0, v[0:1]
	v_add_lshl_u32 v20, v27, v30, 2
	s_and_b64 s[2:3], s[0:1], vcc
	s_and_saveexec_b64 s[0:1], s[2:3]
	s_cbranch_execz .LBB1340_103
; %bb.102:
	v_bcnt_u32_b32 v0, v0, 0
	v_bcnt_u32_b32 v0, v1, v0
	ds_write_b32 v20, v0 offset:64
.LBB1340_103:
	s_or_b64 exec, exec, s[0:1]
	s_waitcnt vmcnt(10)
	v_lshrrev_b32_sdwa v0, s24, v17 dst_sel:DWORD dst_unused:UNUSED_PAD src0_sel:DWORD src1_sel:WORD_0
	v_and_b32_e32 v23, s15, v0
	v_mul_u32_u24_e32 v0, 17, v23
	v_and_b32_e32 v4, 1, v23
	v_add_lshl_u32 v22, v27, v0, 2
	v_lshl_add_u64 v[0:1], v[4:5], 0, -1
	v_cmp_ne_u32_e32 vcc, 0, v4
	; wave barrier
	s_nop 1
	v_xor_b32_e32 v1, vcc_hi, v1
	v_xor_b32_e32 v0, vcc_lo, v0
	v_and_b32_e32 v4, exec_hi, v1
	v_and_b32_e32 v24, exec_lo, v0
	v_lshlrev_b32_e32 v1, 30, v23
	v_mov_b32_e32 v0, v5
	v_cmp_gt_i64_e32 vcc, 0, v[0:1]
	v_not_b32_e32 v0, v1
	v_ashrrev_i32_e32 v0, 31, v0
	v_xor_b32_e32 v1, vcc_hi, v0
	v_xor_b32_e32 v0, vcc_lo, v0
	v_and_b32_e32 v4, v4, v1
	v_and_b32_e32 v24, v24, v0
	v_lshlrev_b32_e32 v1, 29, v23
	v_mov_b32_e32 v0, v5
	v_cmp_gt_i64_e32 vcc, 0, v[0:1]
	v_not_b32_e32 v0, v1
	v_ashrrev_i32_e32 v0, 31, v0
	v_xor_b32_e32 v1, vcc_hi, v0
	v_xor_b32_e32 v0, vcc_lo, v0
	v_and_b32_e32 v4, v4, v1
	v_and_b32_e32 v24, v24, v0
	v_lshlrev_b32_e32 v1, 28, v23
	v_mov_b32_e32 v0, v5
	v_cmp_gt_i64_e32 vcc, 0, v[0:1]
	v_not_b32_e32 v0, v1
	v_ashrrev_i32_e32 v0, 31, v0
	v_xor_b32_e32 v1, vcc_hi, v0
	v_xor_b32_e32 v0, vcc_lo, v0
	v_and_b32_e32 v4, v4, v1
	v_and_b32_e32 v24, v24, v0
	v_lshlrev_b32_e32 v1, 27, v23
	v_mov_b32_e32 v0, v5
	v_cmp_gt_i64_e32 vcc, 0, v[0:1]
	v_not_b32_e32 v0, v1
	v_ashrrev_i32_e32 v0, 31, v0
	v_xor_b32_e32 v1, vcc_hi, v0
	v_xor_b32_e32 v0, vcc_lo, v0
	v_and_b32_e32 v4, v4, v1
	v_and_b32_e32 v24, v24, v0
	v_lshlrev_b32_e32 v1, 26, v23
	v_mov_b32_e32 v0, v5
	v_cmp_gt_i64_e32 vcc, 0, v[0:1]
	v_not_b32_e32 v0, v1
	v_ashrrev_i32_e32 v0, 31, v0
	v_xor_b32_e32 v1, vcc_hi, v0
	v_xor_b32_e32 v0, vcc_lo, v0
	v_and_b32_e32 v4, v4, v1
	v_and_b32_e32 v24, v24, v0
	v_lshlrev_b32_e32 v1, 25, v23
	v_mov_b32_e32 v0, v5
	v_cmp_gt_i64_e32 vcc, 0, v[0:1]
	v_not_b32_e32 v0, v1
	v_ashrrev_i32_e32 v0, 31, v0
	v_xor_b32_e32 v1, vcc_hi, v0
	v_xor_b32_e32 v0, vcc_lo, v0
	v_and_b32_e32 v4, v4, v1
	v_and_b32_e32 v24, v24, v0
	v_lshlrev_b32_e32 v1, 24, v23
	v_mov_b32_e32 v0, v5
	v_cmp_gt_i64_e32 vcc, 0, v[0:1]
	v_not_b32_e32 v0, v1
	v_ashrrev_i32_e32 v0, 31, v0
	v_xor_b32_e32 v1, vcc_hi, v0
	v_xor_b32_e32 v0, vcc_lo, v0
	ds_read_b32 v21, v22 offset:64
	v_and_b32_e32 v0, v24, v0
	v_and_b32_e32 v1, v4, v1
	v_mbcnt_lo_u32_b32 v4, v0, 0
	v_mbcnt_hi_u32_b32 v23, v1, v4
	v_cmp_eq_u32_e32 vcc, 0, v23
	v_cmp_ne_u64_e64 s[0:1], 0, v[0:1]
	s_and_b64 s[2:3], s[0:1], vcc
	; wave barrier
	s_and_saveexec_b64 s[0:1], s[2:3]
	s_cbranch_execz .LBB1340_105
; %bb.104:
	v_bcnt_u32_b32 v0, v0, 0
	v_bcnt_u32_b32 v0, v1, v0
	s_waitcnt lgkmcnt(0)
	v_add_u32_e32 v0, v21, v0
	ds_write_b32 v22, v0 offset:64
.LBB1340_105:
	s_or_b64 exec, exec, s[0:1]
	s_waitcnt vmcnt(9)
	v_lshrrev_b32_sdwa v0, s24, v16 dst_sel:DWORD dst_unused:UNUSED_PAD src0_sel:DWORD src1_sel:WORD_0
	v_and_b32_e32 v26, s15, v0
	v_mul_u32_u24_e32 v0, 17, v26
	v_add_lshl_u32 v25, v27, v0, 2
	v_and_b32_e32 v0, 1, v26
	v_mov_b32_e32 v1, 0
	v_lshl_add_u64 v[4:5], v[0:1], 0, -1
	v_cmp_ne_u32_e32 vcc, 0, v0
	; wave barrier
	s_nop 1
	v_xor_b32_e32 v4, vcc_lo, v4
	v_xor_b32_e32 v0, vcc_hi, v5
	v_and_b32_e32 v28, exec_lo, v4
	v_lshlrev_b32_e32 v5, 30, v26
	v_mov_b32_e32 v4, v1
	v_cmp_gt_i64_e32 vcc, 0, v[4:5]
	v_not_b32_e32 v4, v5
	v_ashrrev_i32_e32 v4, 31, v4
	v_and_b32_e32 v0, exec_hi, v0
	v_xor_b32_e32 v5, vcc_hi, v4
	v_xor_b32_e32 v4, vcc_lo, v4
	v_and_b32_e32 v0, v0, v5
	v_and_b32_e32 v28, v28, v4
	v_lshlrev_b32_e32 v5, 29, v26
	v_mov_b32_e32 v4, v1
	v_cmp_gt_i64_e32 vcc, 0, v[4:5]
	v_not_b32_e32 v4, v5
	v_ashrrev_i32_e32 v4, 31, v4
	v_xor_b32_e32 v5, vcc_hi, v4
	v_xor_b32_e32 v4, vcc_lo, v4
	v_and_b32_e32 v0, v0, v5
	v_and_b32_e32 v28, v28, v4
	v_lshlrev_b32_e32 v5, 28, v26
	v_mov_b32_e32 v4, v1
	v_cmp_gt_i64_e32 vcc, 0, v[4:5]
	v_not_b32_e32 v4, v5
	v_ashrrev_i32_e32 v4, 31, v4
	;; [unrolled: 9-line block ×6, first 2 shown]
	v_xor_b32_e32 v5, vcc_hi, v4
	v_xor_b32_e32 v4, vcc_lo, v4
	ds_read_b32 v24, v25 offset:64
	v_and_b32_e32 v4, v28, v4
	v_and_b32_e32 v5, v0, v5
	v_mbcnt_lo_u32_b32 v0, v4, 0
	v_mbcnt_hi_u32_b32 v26, v5, v0
	v_cmp_eq_u32_e32 vcc, 0, v26
	v_cmp_ne_u64_e64 s[0:1], 0, v[4:5]
	s_and_b64 s[2:3], s[0:1], vcc
	; wave barrier
	s_and_saveexec_b64 s[0:1], s[2:3]
	s_cbranch_execz .LBB1340_107
; %bb.106:
	v_bcnt_u32_b32 v0, v4, 0
	v_bcnt_u32_b32 v0, v5, v0
	s_waitcnt lgkmcnt(0)
	v_add_u32_e32 v0, v24, v0
	ds_write_b32 v25, v0 offset:64
.LBB1340_107:
	s_or_b64 exec, exec, s[0:1]
	s_waitcnt vmcnt(8)
	v_lshrrev_b32_sdwa v0, s24, v15 dst_sel:DWORD dst_unused:UNUSED_PAD src0_sel:DWORD src1_sel:WORD_0
	v_and_b32_e32 v30, s15, v0
	v_mul_u32_u24_e32 v0, 17, v30
	v_add_lshl_u32 v29, v27, v0, 2
	v_and_b32_e32 v0, 1, v30
	v_lshl_add_u64 v[4:5], v[0:1], 0, -1
	v_cmp_ne_u32_e32 vcc, 0, v0
	; wave barrier
	s_nop 1
	v_xor_b32_e32 v4, vcc_lo, v4
	v_xor_b32_e32 v0, vcc_hi, v5
	v_and_b32_e32 v31, exec_lo, v4
	v_lshlrev_b32_e32 v5, 30, v30
	v_mov_b32_e32 v4, v1
	v_cmp_gt_i64_e32 vcc, 0, v[4:5]
	v_not_b32_e32 v4, v5
	v_ashrrev_i32_e32 v4, 31, v4
	v_and_b32_e32 v0, exec_hi, v0
	v_xor_b32_e32 v5, vcc_hi, v4
	v_xor_b32_e32 v4, vcc_lo, v4
	v_and_b32_e32 v0, v0, v5
	v_and_b32_e32 v31, v31, v4
	v_lshlrev_b32_e32 v5, 29, v30
	v_mov_b32_e32 v4, v1
	v_cmp_gt_i64_e32 vcc, 0, v[4:5]
	v_not_b32_e32 v4, v5
	v_ashrrev_i32_e32 v4, 31, v4
	v_xor_b32_e32 v5, vcc_hi, v4
	v_xor_b32_e32 v4, vcc_lo, v4
	v_and_b32_e32 v0, v0, v5
	v_and_b32_e32 v31, v31, v4
	v_lshlrev_b32_e32 v5, 28, v30
	v_mov_b32_e32 v4, v1
	v_cmp_gt_i64_e32 vcc, 0, v[4:5]
	v_not_b32_e32 v4, v5
	v_ashrrev_i32_e32 v4, 31, v4
	;; [unrolled: 9-line block ×5, first 2 shown]
	v_xor_b32_e32 v5, vcc_hi, v4
	v_xor_b32_e32 v4, vcc_lo, v4
	v_and_b32_e32 v0, v0, v5
	v_lshlrev_b32_e32 v5, 24, v30
	v_and_b32_e32 v31, v31, v4
	v_mov_b32_e32 v4, v1
	v_not_b32_e32 v1, v5
	v_cmp_gt_i64_e32 vcc, 0, v[4:5]
	v_ashrrev_i32_e32 v1, 31, v1
	ds_read_b32 v28, v29 offset:64
	v_xor_b32_e32 v4, vcc_hi, v1
	v_xor_b32_e32 v5, vcc_lo, v1
	v_and_b32_e32 v1, v0, v4
	v_and_b32_e32 v0, v31, v5
	v_mbcnt_lo_u32_b32 v4, v0, 0
	v_mbcnt_hi_u32_b32 v30, v1, v4
	v_cmp_eq_u32_e32 vcc, 0, v30
	v_cmp_ne_u64_e64 s[0:1], 0, v[0:1]
	s_and_b64 s[2:3], s[0:1], vcc
	; wave barrier
	s_and_saveexec_b64 s[0:1], s[2:3]
	s_cbranch_execz .LBB1340_109
; %bb.108:
	v_bcnt_u32_b32 v0, v0, 0
	v_bcnt_u32_b32 v0, v1, v0
	s_waitcnt lgkmcnt(0)
	v_add_u32_e32 v0, v28, v0
	ds_write_b32 v29, v0 offset:64
.LBB1340_109:
	s_or_b64 exec, exec, s[0:1]
	s_waitcnt vmcnt(7)
	v_lshrrev_b32_sdwa v0, s24, v14 dst_sel:DWORD dst_unused:UNUSED_PAD src0_sel:DWORD src1_sel:WORD_0
	v_and_b32_e32 v33, s15, v0
	v_mul_u32_u24_e32 v0, 17, v33
	v_add_lshl_u32 v32, v27, v0, 2
	v_and_b32_e32 v0, 1, v33
	v_mov_b32_e32 v1, 0
	v_lshl_add_u64 v[4:5], v[0:1], 0, -1
	v_cmp_ne_u32_e32 vcc, 0, v0
	; wave barrier
	s_nop 1
	v_xor_b32_e32 v4, vcc_lo, v4
	v_xor_b32_e32 v0, vcc_hi, v5
	v_and_b32_e32 v34, exec_lo, v4
	v_lshlrev_b32_e32 v5, 30, v33
	v_mov_b32_e32 v4, v1
	v_cmp_gt_i64_e32 vcc, 0, v[4:5]
	v_not_b32_e32 v4, v5
	v_ashrrev_i32_e32 v4, 31, v4
	v_and_b32_e32 v0, exec_hi, v0
	v_xor_b32_e32 v5, vcc_hi, v4
	v_xor_b32_e32 v4, vcc_lo, v4
	v_and_b32_e32 v0, v0, v5
	v_and_b32_e32 v34, v34, v4
	v_lshlrev_b32_e32 v5, 29, v33
	v_mov_b32_e32 v4, v1
	v_cmp_gt_i64_e32 vcc, 0, v[4:5]
	v_not_b32_e32 v4, v5
	v_ashrrev_i32_e32 v4, 31, v4
	v_xor_b32_e32 v5, vcc_hi, v4
	v_xor_b32_e32 v4, vcc_lo, v4
	v_and_b32_e32 v0, v0, v5
	v_and_b32_e32 v34, v34, v4
	v_lshlrev_b32_e32 v5, 28, v33
	v_mov_b32_e32 v4, v1
	v_cmp_gt_i64_e32 vcc, 0, v[4:5]
	v_not_b32_e32 v4, v5
	v_ashrrev_i32_e32 v4, 31, v4
	;; [unrolled: 9-line block ×6, first 2 shown]
	v_xor_b32_e32 v5, vcc_hi, v4
	v_xor_b32_e32 v4, vcc_lo, v4
	ds_read_b32 v31, v32 offset:64
	v_and_b32_e32 v4, v34, v4
	v_and_b32_e32 v5, v0, v5
	v_mbcnt_lo_u32_b32 v0, v4, 0
	v_mbcnt_hi_u32_b32 v33, v5, v0
	v_cmp_eq_u32_e32 vcc, 0, v33
	v_cmp_ne_u64_e64 s[0:1], 0, v[4:5]
	s_and_b64 s[2:3], s[0:1], vcc
	; wave barrier
	s_and_saveexec_b64 s[0:1], s[2:3]
	s_cbranch_execz .LBB1340_111
; %bb.110:
	v_bcnt_u32_b32 v0, v4, 0
	v_bcnt_u32_b32 v0, v5, v0
	s_waitcnt lgkmcnt(0)
	v_add_u32_e32 v0, v31, v0
	ds_write_b32 v32, v0 offset:64
.LBB1340_111:
	s_or_b64 exec, exec, s[0:1]
	s_waitcnt vmcnt(6)
	v_lshrrev_b32_sdwa v0, s24, v13 dst_sel:DWORD dst_unused:UNUSED_PAD src0_sel:DWORD src1_sel:WORD_0
	v_and_b32_e32 v36, s15, v0
	v_mul_u32_u24_e32 v0, 17, v36
	v_add_lshl_u32 v35, v27, v0, 2
	v_and_b32_e32 v0, 1, v36
	v_lshl_add_u64 v[4:5], v[0:1], 0, -1
	v_cmp_ne_u32_e32 vcc, 0, v0
	; wave barrier
	s_nop 1
	v_xor_b32_e32 v4, vcc_lo, v4
	v_xor_b32_e32 v0, vcc_hi, v5
	v_and_b32_e32 v37, exec_lo, v4
	v_lshlrev_b32_e32 v5, 30, v36
	v_mov_b32_e32 v4, v1
	v_cmp_gt_i64_e32 vcc, 0, v[4:5]
	v_not_b32_e32 v4, v5
	v_ashrrev_i32_e32 v4, 31, v4
	v_and_b32_e32 v0, exec_hi, v0
	v_xor_b32_e32 v5, vcc_hi, v4
	v_xor_b32_e32 v4, vcc_lo, v4
	v_and_b32_e32 v0, v0, v5
	v_and_b32_e32 v37, v37, v4
	v_lshlrev_b32_e32 v5, 29, v36
	v_mov_b32_e32 v4, v1
	v_cmp_gt_i64_e32 vcc, 0, v[4:5]
	v_not_b32_e32 v4, v5
	v_ashrrev_i32_e32 v4, 31, v4
	v_xor_b32_e32 v5, vcc_hi, v4
	v_xor_b32_e32 v4, vcc_lo, v4
	v_and_b32_e32 v0, v0, v5
	v_and_b32_e32 v37, v37, v4
	v_lshlrev_b32_e32 v5, 28, v36
	v_mov_b32_e32 v4, v1
	v_cmp_gt_i64_e32 vcc, 0, v[4:5]
	v_not_b32_e32 v4, v5
	v_ashrrev_i32_e32 v4, 31, v4
	;; [unrolled: 9-line block ×5, first 2 shown]
	v_xor_b32_e32 v5, vcc_hi, v4
	v_xor_b32_e32 v4, vcc_lo, v4
	v_and_b32_e32 v0, v0, v5
	v_lshlrev_b32_e32 v5, 24, v36
	v_and_b32_e32 v37, v37, v4
	v_mov_b32_e32 v4, v1
	v_not_b32_e32 v1, v5
	v_cmp_gt_i64_e32 vcc, 0, v[4:5]
	v_ashrrev_i32_e32 v1, 31, v1
	ds_read_b32 v34, v35 offset:64
	v_xor_b32_e32 v4, vcc_hi, v1
	v_xor_b32_e32 v5, vcc_lo, v1
	v_and_b32_e32 v1, v0, v4
	v_and_b32_e32 v0, v37, v5
	v_mbcnt_lo_u32_b32 v4, v0, 0
	v_mbcnt_hi_u32_b32 v36, v1, v4
	v_cmp_eq_u32_e32 vcc, 0, v36
	v_cmp_ne_u64_e64 s[0:1], 0, v[0:1]
	s_and_b64 s[2:3], s[0:1], vcc
	; wave barrier
	s_and_saveexec_b64 s[0:1], s[2:3]
	s_cbranch_execz .LBB1340_113
; %bb.112:
	v_bcnt_u32_b32 v0, v0, 0
	v_bcnt_u32_b32 v0, v1, v0
	s_waitcnt lgkmcnt(0)
	v_add_u32_e32 v0, v34, v0
	ds_write_b32 v35, v0 offset:64
.LBB1340_113:
	s_or_b64 exec, exec, s[0:1]
	s_waitcnt vmcnt(5)
	v_lshrrev_b32_sdwa v0, s24, v12 dst_sel:DWORD dst_unused:UNUSED_PAD src0_sel:DWORD src1_sel:WORD_0
	v_and_b32_e32 v39, s15, v0
	v_mul_u32_u24_e32 v0, 17, v39
	v_add_lshl_u32 v38, v27, v0, 2
	v_and_b32_e32 v0, 1, v39
	v_mov_b32_e32 v1, 0
	v_lshl_add_u64 v[4:5], v[0:1], 0, -1
	v_cmp_ne_u32_e32 vcc, 0, v0
	; wave barrier
	s_nop 1
	v_xor_b32_e32 v4, vcc_lo, v4
	v_xor_b32_e32 v0, vcc_hi, v5
	v_and_b32_e32 v40, exec_lo, v4
	v_lshlrev_b32_e32 v5, 30, v39
	v_mov_b32_e32 v4, v1
	v_cmp_gt_i64_e32 vcc, 0, v[4:5]
	v_not_b32_e32 v4, v5
	v_ashrrev_i32_e32 v4, 31, v4
	v_and_b32_e32 v0, exec_hi, v0
	v_xor_b32_e32 v5, vcc_hi, v4
	v_xor_b32_e32 v4, vcc_lo, v4
	v_and_b32_e32 v0, v0, v5
	v_and_b32_e32 v40, v40, v4
	v_lshlrev_b32_e32 v5, 29, v39
	v_mov_b32_e32 v4, v1
	v_cmp_gt_i64_e32 vcc, 0, v[4:5]
	v_not_b32_e32 v4, v5
	v_ashrrev_i32_e32 v4, 31, v4
	v_xor_b32_e32 v5, vcc_hi, v4
	v_xor_b32_e32 v4, vcc_lo, v4
	v_and_b32_e32 v0, v0, v5
	v_and_b32_e32 v40, v40, v4
	v_lshlrev_b32_e32 v5, 28, v39
	v_mov_b32_e32 v4, v1
	v_cmp_gt_i64_e32 vcc, 0, v[4:5]
	v_not_b32_e32 v4, v5
	v_ashrrev_i32_e32 v4, 31, v4
	;; [unrolled: 9-line block ×6, first 2 shown]
	v_xor_b32_e32 v5, vcc_hi, v4
	v_xor_b32_e32 v4, vcc_lo, v4
	ds_read_b32 v37, v38 offset:64
	v_and_b32_e32 v4, v40, v4
	v_and_b32_e32 v5, v0, v5
	v_mbcnt_lo_u32_b32 v0, v4, 0
	v_mbcnt_hi_u32_b32 v39, v5, v0
	v_cmp_eq_u32_e32 vcc, 0, v39
	v_cmp_ne_u64_e64 s[0:1], 0, v[4:5]
	s_and_b64 s[2:3], s[0:1], vcc
	; wave barrier
	s_and_saveexec_b64 s[0:1], s[2:3]
	s_cbranch_execz .LBB1340_115
; %bb.114:
	v_bcnt_u32_b32 v0, v4, 0
	v_bcnt_u32_b32 v0, v5, v0
	s_waitcnt lgkmcnt(0)
	v_add_u32_e32 v0, v37, v0
	ds_write_b32 v38, v0 offset:64
.LBB1340_115:
	s_or_b64 exec, exec, s[0:1]
	s_waitcnt vmcnt(4)
	v_lshrrev_b32_sdwa v0, s24, v11 dst_sel:DWORD dst_unused:UNUSED_PAD src0_sel:DWORD src1_sel:WORD_0
	v_and_b32_e32 v42, s15, v0
	v_mul_u32_u24_e32 v0, 17, v42
	v_add_lshl_u32 v41, v27, v0, 2
	v_and_b32_e32 v0, 1, v42
	v_lshl_add_u64 v[4:5], v[0:1], 0, -1
	v_cmp_ne_u32_e32 vcc, 0, v0
	; wave barrier
	s_nop 1
	v_xor_b32_e32 v4, vcc_lo, v4
	v_xor_b32_e32 v0, vcc_hi, v5
	v_and_b32_e32 v43, exec_lo, v4
	v_lshlrev_b32_e32 v5, 30, v42
	v_mov_b32_e32 v4, v1
	v_cmp_gt_i64_e32 vcc, 0, v[4:5]
	v_not_b32_e32 v4, v5
	v_ashrrev_i32_e32 v4, 31, v4
	v_and_b32_e32 v0, exec_hi, v0
	v_xor_b32_e32 v5, vcc_hi, v4
	v_xor_b32_e32 v4, vcc_lo, v4
	v_and_b32_e32 v0, v0, v5
	v_and_b32_e32 v43, v43, v4
	v_lshlrev_b32_e32 v5, 29, v42
	v_mov_b32_e32 v4, v1
	v_cmp_gt_i64_e32 vcc, 0, v[4:5]
	v_not_b32_e32 v4, v5
	v_ashrrev_i32_e32 v4, 31, v4
	v_xor_b32_e32 v5, vcc_hi, v4
	v_xor_b32_e32 v4, vcc_lo, v4
	v_and_b32_e32 v0, v0, v5
	v_and_b32_e32 v43, v43, v4
	v_lshlrev_b32_e32 v5, 28, v42
	v_mov_b32_e32 v4, v1
	v_cmp_gt_i64_e32 vcc, 0, v[4:5]
	v_not_b32_e32 v4, v5
	v_ashrrev_i32_e32 v4, 31, v4
	;; [unrolled: 9-line block ×5, first 2 shown]
	v_xor_b32_e32 v5, vcc_hi, v4
	v_xor_b32_e32 v4, vcc_lo, v4
	v_and_b32_e32 v0, v0, v5
	v_lshlrev_b32_e32 v5, 24, v42
	v_and_b32_e32 v43, v43, v4
	v_mov_b32_e32 v4, v1
	v_not_b32_e32 v1, v5
	v_cmp_gt_i64_e32 vcc, 0, v[4:5]
	v_ashrrev_i32_e32 v1, 31, v1
	ds_read_b32 v40, v41 offset:64
	v_xor_b32_e32 v4, vcc_hi, v1
	v_xor_b32_e32 v5, vcc_lo, v1
	v_and_b32_e32 v1, v0, v4
	v_and_b32_e32 v0, v43, v5
	v_mbcnt_lo_u32_b32 v4, v0, 0
	v_mbcnt_hi_u32_b32 v42, v1, v4
	v_cmp_eq_u32_e32 vcc, 0, v42
	v_cmp_ne_u64_e64 s[0:1], 0, v[0:1]
	s_and_b64 s[2:3], s[0:1], vcc
	; wave barrier
	s_and_saveexec_b64 s[0:1], s[2:3]
	s_cbranch_execz .LBB1340_117
; %bb.116:
	v_bcnt_u32_b32 v0, v0, 0
	v_bcnt_u32_b32 v0, v1, v0
	s_waitcnt lgkmcnt(0)
	v_add_u32_e32 v0, v40, v0
	ds_write_b32 v41, v0 offset:64
.LBB1340_117:
	s_or_b64 exec, exec, s[0:1]
	s_waitcnt vmcnt(3)
	v_lshrrev_b32_sdwa v0, s24, v10 dst_sel:DWORD dst_unused:UNUSED_PAD src0_sel:DWORD src1_sel:WORD_0
	v_and_b32_e32 v45, s15, v0
	v_mul_u32_u24_e32 v0, 17, v45
	v_add_lshl_u32 v44, v27, v0, 2
	v_and_b32_e32 v0, 1, v45
	v_mov_b32_e32 v1, 0
	v_lshl_add_u64 v[4:5], v[0:1], 0, -1
	v_cmp_ne_u32_e32 vcc, 0, v0
	; wave barrier
	s_nop 1
	v_xor_b32_e32 v4, vcc_lo, v4
	v_xor_b32_e32 v0, vcc_hi, v5
	v_and_b32_e32 v46, exec_lo, v4
	v_lshlrev_b32_e32 v5, 30, v45
	v_mov_b32_e32 v4, v1
	v_cmp_gt_i64_e32 vcc, 0, v[4:5]
	v_not_b32_e32 v4, v5
	v_ashrrev_i32_e32 v4, 31, v4
	v_and_b32_e32 v0, exec_hi, v0
	v_xor_b32_e32 v5, vcc_hi, v4
	v_xor_b32_e32 v4, vcc_lo, v4
	v_and_b32_e32 v0, v0, v5
	v_and_b32_e32 v46, v46, v4
	v_lshlrev_b32_e32 v5, 29, v45
	v_mov_b32_e32 v4, v1
	v_cmp_gt_i64_e32 vcc, 0, v[4:5]
	v_not_b32_e32 v4, v5
	v_ashrrev_i32_e32 v4, 31, v4
	v_xor_b32_e32 v5, vcc_hi, v4
	v_xor_b32_e32 v4, vcc_lo, v4
	v_and_b32_e32 v0, v0, v5
	v_and_b32_e32 v46, v46, v4
	v_lshlrev_b32_e32 v5, 28, v45
	v_mov_b32_e32 v4, v1
	v_cmp_gt_i64_e32 vcc, 0, v[4:5]
	v_not_b32_e32 v4, v5
	v_ashrrev_i32_e32 v4, 31, v4
	;; [unrolled: 9-line block ×6, first 2 shown]
	v_xor_b32_e32 v5, vcc_hi, v4
	v_xor_b32_e32 v4, vcc_lo, v4
	ds_read_b32 v43, v44 offset:64
	v_and_b32_e32 v4, v46, v4
	v_and_b32_e32 v5, v0, v5
	v_mbcnt_lo_u32_b32 v0, v4, 0
	v_mbcnt_hi_u32_b32 v45, v5, v0
	v_cmp_eq_u32_e32 vcc, 0, v45
	v_cmp_ne_u64_e64 s[0:1], 0, v[4:5]
	s_and_b64 s[2:3], s[0:1], vcc
	; wave barrier
	s_and_saveexec_b64 s[0:1], s[2:3]
	s_cbranch_execz .LBB1340_119
; %bb.118:
	v_bcnt_u32_b32 v0, v4, 0
	v_bcnt_u32_b32 v0, v5, v0
	s_waitcnt lgkmcnt(0)
	v_add_u32_e32 v0, v43, v0
	ds_write_b32 v44, v0 offset:64
.LBB1340_119:
	s_or_b64 exec, exec, s[0:1]
	s_waitcnt vmcnt(2)
	v_lshrrev_b32_sdwa v0, s24, v9 dst_sel:DWORD dst_unused:UNUSED_PAD src0_sel:DWORD src1_sel:WORD_0
	v_and_b32_e32 v48, s15, v0
	v_mul_u32_u24_e32 v0, 17, v48
	v_add_lshl_u32 v47, v27, v0, 2
	v_and_b32_e32 v0, 1, v48
	v_lshl_add_u64 v[4:5], v[0:1], 0, -1
	v_cmp_ne_u32_e32 vcc, 0, v0
	; wave barrier
	s_nop 1
	v_xor_b32_e32 v4, vcc_lo, v4
	v_xor_b32_e32 v0, vcc_hi, v5
	v_and_b32_e32 v49, exec_lo, v4
	v_lshlrev_b32_e32 v5, 30, v48
	v_mov_b32_e32 v4, v1
	v_cmp_gt_i64_e32 vcc, 0, v[4:5]
	v_not_b32_e32 v4, v5
	v_ashrrev_i32_e32 v4, 31, v4
	v_and_b32_e32 v0, exec_hi, v0
	v_xor_b32_e32 v5, vcc_hi, v4
	v_xor_b32_e32 v4, vcc_lo, v4
	v_and_b32_e32 v0, v0, v5
	v_and_b32_e32 v49, v49, v4
	v_lshlrev_b32_e32 v5, 29, v48
	v_mov_b32_e32 v4, v1
	v_cmp_gt_i64_e32 vcc, 0, v[4:5]
	v_not_b32_e32 v4, v5
	v_ashrrev_i32_e32 v4, 31, v4
	v_xor_b32_e32 v5, vcc_hi, v4
	v_xor_b32_e32 v4, vcc_lo, v4
	v_and_b32_e32 v0, v0, v5
	v_and_b32_e32 v49, v49, v4
	v_lshlrev_b32_e32 v5, 28, v48
	v_mov_b32_e32 v4, v1
	v_cmp_gt_i64_e32 vcc, 0, v[4:5]
	v_not_b32_e32 v4, v5
	v_ashrrev_i32_e32 v4, 31, v4
	v_xor_b32_e32 v5, vcc_hi, v4
	v_xor_b32_e32 v4, vcc_lo, v4
	v_and_b32_e32 v0, v0, v5
	v_and_b32_e32 v49, v49, v4
	v_lshlrev_b32_e32 v5, 27, v48
	v_mov_b32_e32 v4, v1
	v_cmp_gt_i64_e32 vcc, 0, v[4:5]
	v_not_b32_e32 v4, v5
	v_ashrrev_i32_e32 v4, 31, v4
	v_xor_b32_e32 v5, vcc_hi, v4
	v_xor_b32_e32 v4, vcc_lo, v4
	v_and_b32_e32 v0, v0, v5
	v_and_b32_e32 v49, v49, v4
	v_lshlrev_b32_e32 v5, 26, v48
	v_mov_b32_e32 v4, v1
	v_cmp_gt_i64_e32 vcc, 0, v[4:5]
	v_not_b32_e32 v4, v5
	v_ashrrev_i32_e32 v4, 31, v4
	v_xor_b32_e32 v5, vcc_hi, v4
	v_xor_b32_e32 v4, vcc_lo, v4
	v_and_b32_e32 v0, v0, v5
	v_and_b32_e32 v49, v49, v4
	v_lshlrev_b32_e32 v5, 25, v48
	v_mov_b32_e32 v4, v1
	v_cmp_gt_i64_e32 vcc, 0, v[4:5]
	v_not_b32_e32 v4, v5
	v_ashrrev_i32_e32 v4, 31, v4
	v_xor_b32_e32 v5, vcc_hi, v4
	v_xor_b32_e32 v4, vcc_lo, v4
	v_and_b32_e32 v0, v0, v5
	v_lshlrev_b32_e32 v5, 24, v48
	v_and_b32_e32 v49, v49, v4
	v_mov_b32_e32 v4, v1
	v_not_b32_e32 v1, v5
	v_cmp_gt_i64_e32 vcc, 0, v[4:5]
	v_ashrrev_i32_e32 v1, 31, v1
	ds_read_b32 v46, v47 offset:64
	v_xor_b32_e32 v4, vcc_hi, v1
	v_xor_b32_e32 v5, vcc_lo, v1
	v_and_b32_e32 v1, v0, v4
	v_and_b32_e32 v0, v49, v5
	v_mbcnt_lo_u32_b32 v4, v0, 0
	v_mbcnt_hi_u32_b32 v48, v1, v4
	v_cmp_eq_u32_e32 vcc, 0, v48
	v_cmp_ne_u64_e64 s[0:1], 0, v[0:1]
	s_and_b64 s[2:3], s[0:1], vcc
	; wave barrier
	s_and_saveexec_b64 s[0:1], s[2:3]
	s_cbranch_execz .LBB1340_121
; %bb.120:
	v_bcnt_u32_b32 v0, v0, 0
	v_bcnt_u32_b32 v0, v1, v0
	s_waitcnt lgkmcnt(0)
	v_add_u32_e32 v0, v46, v0
	ds_write_b32 v47, v0 offset:64
.LBB1340_121:
	s_or_b64 exec, exec, s[0:1]
	s_waitcnt vmcnt(1)
	v_lshrrev_b32_sdwa v0, s24, v8 dst_sel:DWORD dst_unused:UNUSED_PAD src0_sel:DWORD src1_sel:WORD_0
	v_and_b32_e32 v51, s15, v0
	v_mul_u32_u24_e32 v0, 17, v51
	v_add_lshl_u32 v50, v27, v0, 2
	v_and_b32_e32 v0, 1, v51
	v_mov_b32_e32 v1, 0
	v_lshl_add_u64 v[4:5], v[0:1], 0, -1
	v_cmp_ne_u32_e32 vcc, 0, v0
	; wave barrier
	s_nop 1
	v_xor_b32_e32 v4, vcc_lo, v4
	v_xor_b32_e32 v0, vcc_hi, v5
	v_and_b32_e32 v52, exec_lo, v4
	v_lshlrev_b32_e32 v5, 30, v51
	v_mov_b32_e32 v4, v1
	v_cmp_gt_i64_e32 vcc, 0, v[4:5]
	v_not_b32_e32 v4, v5
	v_ashrrev_i32_e32 v4, 31, v4
	v_and_b32_e32 v0, exec_hi, v0
	v_xor_b32_e32 v5, vcc_hi, v4
	v_xor_b32_e32 v4, vcc_lo, v4
	v_and_b32_e32 v0, v0, v5
	v_and_b32_e32 v52, v52, v4
	v_lshlrev_b32_e32 v5, 29, v51
	v_mov_b32_e32 v4, v1
	v_cmp_gt_i64_e32 vcc, 0, v[4:5]
	v_not_b32_e32 v4, v5
	v_ashrrev_i32_e32 v4, 31, v4
	v_xor_b32_e32 v5, vcc_hi, v4
	v_xor_b32_e32 v4, vcc_lo, v4
	v_and_b32_e32 v0, v0, v5
	v_and_b32_e32 v52, v52, v4
	v_lshlrev_b32_e32 v5, 28, v51
	v_mov_b32_e32 v4, v1
	v_cmp_gt_i64_e32 vcc, 0, v[4:5]
	v_not_b32_e32 v4, v5
	v_ashrrev_i32_e32 v4, 31, v4
	;; [unrolled: 9-line block ×6, first 2 shown]
	v_xor_b32_e32 v5, vcc_hi, v4
	v_xor_b32_e32 v4, vcc_lo, v4
	ds_read_b32 v49, v50 offset:64
	v_and_b32_e32 v4, v52, v4
	v_and_b32_e32 v5, v0, v5
	v_mbcnt_lo_u32_b32 v0, v4, 0
	v_mbcnt_hi_u32_b32 v51, v5, v0
	v_cmp_eq_u32_e32 vcc, 0, v51
	v_cmp_ne_u64_e64 s[0:1], 0, v[4:5]
	s_and_b64 s[2:3], s[0:1], vcc
	; wave barrier
	s_and_saveexec_b64 s[0:1], s[2:3]
	s_cbranch_execz .LBB1340_123
; %bb.122:
	v_bcnt_u32_b32 v0, v4, 0
	v_bcnt_u32_b32 v0, v5, v0
	s_waitcnt lgkmcnt(0)
	v_add_u32_e32 v0, v49, v0
	ds_write_b32 v50, v0 offset:64
.LBB1340_123:
	s_or_b64 exec, exec, s[0:1]
	s_waitcnt vmcnt(0)
	v_lshrrev_b32_sdwa v0, s24, v7 dst_sel:DWORD dst_unused:UNUSED_PAD src0_sel:DWORD src1_sel:WORD_0
	v_and_b32_e32 v55, s15, v0
	v_mul_u32_u24_e32 v0, 17, v55
	v_add_lshl_u32 v53, v27, v0, 2
	v_and_b32_e32 v0, 1, v55
	v_lshl_add_u64 v[4:5], v[0:1], 0, -1
	v_cmp_ne_u32_e32 vcc, 0, v0
	; wave barrier
	s_nop 1
	v_xor_b32_e32 v4, vcc_lo, v4
	v_xor_b32_e32 v0, vcc_hi, v5
	v_and_b32_e32 v27, exec_lo, v4
	v_lshlrev_b32_e32 v5, 30, v55
	v_mov_b32_e32 v4, v1
	v_cmp_gt_i64_e32 vcc, 0, v[4:5]
	v_not_b32_e32 v4, v5
	v_ashrrev_i32_e32 v4, 31, v4
	v_and_b32_e32 v0, exec_hi, v0
	v_xor_b32_e32 v5, vcc_hi, v4
	v_xor_b32_e32 v4, vcc_lo, v4
	v_and_b32_e32 v0, v0, v5
	v_and_b32_e32 v27, v27, v4
	v_lshlrev_b32_e32 v5, 29, v55
	v_mov_b32_e32 v4, v1
	v_cmp_gt_i64_e32 vcc, 0, v[4:5]
	v_not_b32_e32 v4, v5
	v_ashrrev_i32_e32 v4, 31, v4
	v_xor_b32_e32 v5, vcc_hi, v4
	v_xor_b32_e32 v4, vcc_lo, v4
	v_and_b32_e32 v0, v0, v5
	v_and_b32_e32 v27, v27, v4
	v_lshlrev_b32_e32 v5, 28, v55
	v_mov_b32_e32 v4, v1
	v_cmp_gt_i64_e32 vcc, 0, v[4:5]
	v_not_b32_e32 v4, v5
	v_ashrrev_i32_e32 v4, 31, v4
	v_xor_b32_e32 v5, vcc_hi, v4
	v_xor_b32_e32 v4, vcc_lo, v4
	v_and_b32_e32 v0, v0, v5
	v_and_b32_e32 v27, v27, v4
	v_lshlrev_b32_e32 v5, 27, v55
	v_mov_b32_e32 v4, v1
	v_cmp_gt_i64_e32 vcc, 0, v[4:5]
	v_not_b32_e32 v4, v5
	v_ashrrev_i32_e32 v4, 31, v4
	v_xor_b32_e32 v5, vcc_hi, v4
	v_xor_b32_e32 v4, vcc_lo, v4
	v_and_b32_e32 v0, v0, v5
	v_and_b32_e32 v27, v27, v4
	v_lshlrev_b32_e32 v5, 26, v55
	v_mov_b32_e32 v4, v1
	v_cmp_gt_i64_e32 vcc, 0, v[4:5]
	v_not_b32_e32 v4, v5
	v_ashrrev_i32_e32 v4, 31, v4
	v_xor_b32_e32 v5, vcc_hi, v4
	v_xor_b32_e32 v4, vcc_lo, v4
	v_and_b32_e32 v0, v0, v5
	v_and_b32_e32 v27, v27, v4
	v_lshlrev_b32_e32 v5, 25, v55
	v_mov_b32_e32 v4, v1
	v_cmp_gt_i64_e32 vcc, 0, v[4:5]
	v_not_b32_e32 v4, v5
	v_ashrrev_i32_e32 v4, 31, v4
	v_xor_b32_e32 v5, vcc_hi, v4
	v_xor_b32_e32 v4, vcc_lo, v4
	v_and_b32_e32 v0, v0, v5
	v_lshlrev_b32_e32 v5, 24, v55
	v_and_b32_e32 v27, v27, v4
	v_mov_b32_e32 v4, v1
	v_not_b32_e32 v1, v5
	v_cmp_gt_i64_e32 vcc, 0, v[4:5]
	v_ashrrev_i32_e32 v1, 31, v1
	ds_read_b32 v52, v53 offset:64
	v_xor_b32_e32 v4, vcc_hi, v1
	v_xor_b32_e32 v5, vcc_lo, v1
	v_and_b32_e32 v1, v0, v4
	v_and_b32_e32 v0, v27, v5
	v_mbcnt_lo_u32_b32 v4, v0, 0
	v_mbcnt_hi_u32_b32 v55, v1, v4
	v_cmp_eq_u32_e32 vcc, 0, v55
	v_cmp_ne_u64_e64 s[0:1], 0, v[0:1]
	v_add_u32_e32 v54, 64, v18
	s_and_b64 s[2:3], s[0:1], vcc
	; wave barrier
	s_and_saveexec_b64 s[0:1], s[2:3]
	s_cbranch_execz .LBB1340_125
; %bb.124:
	v_bcnt_u32_b32 v0, v0, 0
	v_bcnt_u32_b32 v0, v1, v0
	s_waitcnt lgkmcnt(0)
	v_add_u32_e32 v0, v52, v0
	ds_write_b32 v53, v0 offset:64
.LBB1340_125:
	s_or_b64 exec, exec, s[0:1]
	; wave barrier
	s_waitcnt lgkmcnt(0)
	s_barrier
	ds_read2_b32 v[4:5], v18 offset0:16 offset1:17
	ds_read2_b32 v[0:1], v54 offset0:2 offset1:3
	ds_read_b32 v27, v54 offset:16
	v_cmp_lt_u32_e64 s[2:3], 31, v6
	s_waitcnt lgkmcnt(1)
	v_add3_u32 v56, v5, v4, v0
	s_waitcnt lgkmcnt(0)
	v_add3_u32 v27, v56, v1, v27
	v_and_b32_e32 v56, 15, v6
	v_cmp_eq_u32_e32 vcc, 0, v56
	v_mov_b32_dpp v57, v27 row_shr:1 row_mask:0xf bank_mask:0xf
	v_cmp_lt_u32_e64 s[0:1], 1, v56
	v_cndmask_b32_e64 v57, v57, 0, vcc
	v_add_u32_e32 v27, v57, v27
	v_cmp_lt_u32_e64 s[4:5], 3, v56
	v_cmp_lt_u32_e64 s[6:7], 7, v56
	v_mov_b32_dpp v57, v27 row_shr:2 row_mask:0xf bank_mask:0xf
	v_cndmask_b32_e64 v57, 0, v57, s[0:1]
	v_add_u32_e32 v27, v27, v57
	s_nop 1
	v_mov_b32_dpp v57, v27 row_shr:4 row_mask:0xf bank_mask:0xf
	v_cndmask_b32_e64 v57, 0, v57, s[4:5]
	v_add_u32_e32 v27, v27, v57
	s_nop 1
	v_mov_b32_dpp v57, v27 row_shr:8 row_mask:0xf bank_mask:0xf
	v_cndmask_b32_e64 v56, 0, v57, s[6:7]
	v_add_u32_e32 v27, v27, v56
	v_bfe_i32 v57, v6, 4, 1
	s_nop 0
	v_mov_b32_dpp v56, v27 row_bcast:15 row_mask:0xf bank_mask:0xf
	v_and_b32_e32 v56, v57, v56
	v_add_u32_e32 v27, v27, v56
	v_lshrrev_b32_e32 v57, 6, v2
	s_nop 0
	v_mov_b32_dpp v56, v27 row_bcast:31 row_mask:0xf bank_mask:0xf
	v_cndmask_b32_e64 v56, 0, v56, s[2:3]
	v_add_u32_e32 v56, v27, v56
	v_and_b32_e32 v27, 63, v2
	v_cmp_eq_u32_e64 s[2:3], 63, v27
	s_and_saveexec_b64 s[12:13], s[2:3]
	s_cbranch_execz .LBB1340_127
; %bb.126:
	v_lshlrev_b32_e32 v27, 2, v57
	ds_write_b32 v27, v56
.LBB1340_127:
	s_or_b64 exec, exec, s[12:13]
	v_cmp_gt_u32_e64 s[2:3], 16, v2
	v_lshlrev_b32_e32 v27, 2, v2
	s_waitcnt lgkmcnt(0)
	s_barrier
	s_and_saveexec_b64 s[12:13], s[2:3]
	s_cbranch_execz .LBB1340_129
; %bb.128:
	ds_read_b32 v58, v27
	s_waitcnt lgkmcnt(0)
	s_nop 0
	v_mov_b32_dpp v59, v58 row_shr:1 row_mask:0xf bank_mask:0xf
	v_cndmask_b32_e64 v59, v59, 0, vcc
	v_add_u32_e32 v58, v59, v58
	s_nop 1
	v_mov_b32_dpp v59, v58 row_shr:2 row_mask:0xf bank_mask:0xf
	v_cndmask_b32_e64 v59, 0, v59, s[0:1]
	v_add_u32_e32 v58, v58, v59
	s_nop 1
	v_mov_b32_dpp v59, v58 row_shr:4 row_mask:0xf bank_mask:0xf
	v_cndmask_b32_e64 v59, 0, v59, s[4:5]
	;; [unrolled: 4-line block ×3, first 2 shown]
	v_add_u32_e32 v58, v58, v59
	ds_write_b32 v27, v58
.LBB1340_129:
	s_or_b64 exec, exec, s[12:13]
	v_cmp_lt_u32_e32 vcc, 63, v2
	v_mov_b32_e32 v58, 0
	s_waitcnt lgkmcnt(0)
	s_barrier
	s_and_saveexec_b64 s[0:1], vcc
	s_cbranch_execz .LBB1340_131
; %bb.130:
	v_lshl_add_u32 v57, v57, 2, -4
	ds_read_b32 v58, v57
.LBB1340_131:
	s_or_b64 exec, exec, s[0:1]
	v_add_u32_e32 v57, -1, v6
	v_and_b32_e32 v59, 64, v6
	v_cmp_lt_i32_e32 vcc, v57, v59
	s_waitcnt lgkmcnt(0)
	v_add_u32_e32 v56, v58, v56
	s_movk_i32 s2, 0xff
	v_cndmask_b32_e32 v57, v57, v6, vcc
	v_lshlrev_b32_e32 v57, 2, v57
	ds_bpermute_b32 v56, v57, v56
	v_cmp_eq_u32_e32 vcc, 0, v6
	s_movk_i32 s3, 0x100
	v_cmp_lt_u32_e64 s[0:1], s2, v2
	s_waitcnt lgkmcnt(0)
	v_cndmask_b32_e32 v6, v56, v58, vcc
	v_cndmask_b32_e64 v6, v6, 0, s[10:11]
	v_add_u32_e32 v4, v6, v4
	v_add_u32_e32 v5, v4, v5
	;; [unrolled: 1-line block ×4, first 2 shown]
	ds_write2_b32 v18, v6, v4 offset0:16 offset1:17
	ds_write2_b32 v54, v5, v0 offset0:2 offset1:3
	ds_write_b32 v54, v1 offset:16
	s_waitcnt lgkmcnt(0)
	s_barrier
	ds_read_b32 v58, v20 offset:64
	ds_read_b32 v57, v22 offset:64
	;; [unrolled: 1-line block ×12, first 2 shown]
	v_cmp_gt_u32_e32 vcc, s3, v2
                                        ; implicit-def: $vgpr18
                                        ; implicit-def: $vgpr20
	s_and_saveexec_b64 s[4:5], vcc
	s_cbranch_execz .LBB1340_135
; %bb.132:
	v_mul_u32_u24_e32 v18, 17, v2
	v_lshlrev_b32_e32 v32, 2, v18
	ds_read_b32 v18, v32 offset:64
	v_cmp_ne_u32_e64 s[2:3], s2, v2
	v_mov_b32_e32 v20, 0x3000
	s_and_saveexec_b64 s[6:7], s[2:3]
	s_cbranch_execz .LBB1340_134
; %bb.133:
	ds_read_b32 v20, v32 offset:132
.LBB1340_134:
	s_or_b64 exec, exec, s[6:7]
	s_waitcnt lgkmcnt(0)
	v_sub_u32_e32 v20, v20, v18
.LBB1340_135:
	s_or_b64 exec, exec, s[4:5]
	v_add_u32_e32 v21, v23, v21
	s_waitcnt lgkmcnt(11)
	v_add_lshl_u32 v19, v58, v19, 1
	v_add_u32_e32 v24, v26, v24
	s_waitcnt lgkmcnt(0)
	s_barrier
	ds_write_b16 v19, v3 offset:1024
	v_add_lshl_u32 v3, v21, v57, 1
	v_add_u32_e32 v28, v30, v28
	ds_write_b16 v3, v17 offset:1024
	v_add_lshl_u32 v3, v24, v56, 1
	v_add_u32_e32 v31, v33, v31
	;; [unrolled: 3-line block ×7, first 2 shown]
	v_add_u32_e32 v35, v51, v49
	v_add_u32_e32 v38, v48, v46
	ds_write_b16 v3, v11 offset:1024
	v_add_lshl_u32 v3, v41, v5, 1
	ds_write_b16 v3, v10 offset:1024
	v_add_lshl_u32 v3, v38, v4, 1
	v_add_lshl_u32 v1, v35, v1, 1
	;; [unrolled: 1-line block ×3, first 2 shown]
	ds_write_b16 v3, v9 offset:1024
	ds_write_b16 v1, v8 offset:1024
	;; [unrolled: 1-line block ×3, first 2 shown]
	s_and_saveexec_b64 s[2:3], s[0:1]
	s_xor_b64 s[0:1], exec, s[2:3]
; %bb.136:
	v_mov_b32_e32 v3, 0
                                        ; implicit-def: $vgpr27
; %bb.137:
	s_andn2_saveexec_b64 s[2:3], s[0:1]
	s_cbranch_execz .LBB1340_147
; %bb.138:
	v_lshl_or_b32 v4, s27, 8, v2
	v_mov_b32_e32 v5, 0
	v_lshl_add_u64 v[0:1], v[4:5], 2, s[18:19]
	v_or_b32_e32 v3, 2.0, v20
	s_mov_b64 s[4:5], 0
	s_brev_b32 s12, 1
	s_mov_b32 s13, s27
	v_mov_b32_e32 v8, 0
	global_store_dword v[0:1], v3, off sc1
                                        ; implicit-def: $sgpr0_sgpr1
	s_branch .LBB1340_141
.LBB1340_139:                           ;   in Loop: Header=BB1340_141 Depth=1
	s_or_b64 exec, exec, s[10:11]
.LBB1340_140:                           ;   in Loop: Header=BB1340_141 Depth=1
	s_or_b64 exec, exec, s[6:7]
	v_and_b32_e32 v4, 0x3fffffff, v4
	v_add_u32_e32 v8, v4, v8
	v_cmp_eq_u32_e64 s[0:1], s12, v3
	s_and_b64 s[6:7], exec, s[0:1]
	s_or_b64 s[4:5], s[6:7], s[4:5]
	s_andn2_b64 exec, exec, s[4:5]
	s_cbranch_execz .LBB1340_146
.LBB1340_141:                           ; =>This Loop Header: Depth=1
                                        ;     Child Loop BB1340_144 Depth 2
	s_or_b64 s[0:1], s[0:1], exec
	s_cmp_eq_u32 s13, 0
	s_cbranch_scc1 .LBB1340_145
; %bb.142:                              ;   in Loop: Header=BB1340_141 Depth=1
	s_add_i32 s13, s13, -1
	v_lshl_or_b32 v4, s13, 8, v2
	v_lshl_add_u64 v[6:7], v[4:5], 2, s[18:19]
	global_load_dword v4, v[6:7], off sc1
	s_waitcnt vmcnt(0)
	v_and_b32_e32 v3, -2.0, v4
	v_cmp_eq_u32_e64 s[0:1], 0, v3
	s_and_saveexec_b64 s[6:7], s[0:1]
	s_cbranch_execz .LBB1340_140
; %bb.143:                              ;   in Loop: Header=BB1340_141 Depth=1
	s_mov_b64 s[10:11], 0
.LBB1340_144:                           ;   Parent Loop BB1340_141 Depth=1
                                        ; =>  This Inner Loop Header: Depth=2
	global_load_dword v4, v[6:7], off sc1
	s_waitcnt vmcnt(0)
	v_and_b32_e32 v3, -2.0, v4
	v_cmp_ne_u32_e64 s[0:1], 0, v3
	s_or_b64 s[10:11], s[0:1], s[10:11]
	s_andn2_b64 exec, exec, s[10:11]
	s_cbranch_execnz .LBB1340_144
	s_branch .LBB1340_139
.LBB1340_145:                           ;   in Loop: Header=BB1340_141 Depth=1
                                        ; implicit-def: $sgpr13
	s_and_b64 s[6:7], exec, s[0:1]
	s_or_b64 s[4:5], s[6:7], s[4:5]
	s_andn2_b64 exec, exec, s[4:5]
	s_cbranch_execnz .LBB1340_141
.LBB1340_146:
	s_or_b64 exec, exec, s[4:5]
	v_add_u32_e32 v3, v8, v20
	v_or_b32_e32 v3, 0x80000000, v3
	global_store_dword v[0:1], v3, off sc1
	global_load_dword v0, v27, s[20:21]
	v_sub_u32_e32 v1, v8, v18
	v_mov_b32_e32 v3, 0
	s_waitcnt vmcnt(0)
	v_add_u32_e32 v0, v1, v0
	ds_write_b32 v27, v0
.LBB1340_147:
	s_or_b64 exec, exec, s[2:3]
	v_lshlrev_b32_e32 v0, 1, v2
	s_waitcnt lgkmcnt(0)
	s_barrier
	v_lshlrev_b32_e32 v1, 1, v2
	ds_read_u16 v6, v0 offset:1024
	ds_read_u16 v7, v1 offset:3072
	;; [unrolled: 1-line block ×7, first 2 shown]
	s_waitcnt lgkmcnt(6)
	v_lshrrev_b32_sdwa v0, s24, v6 dst_sel:DWORD dst_unused:UNUSED_PAD src0_sel:DWORD src1_sel:WORD_0
	s_waitcnt lgkmcnt(4)
	v_lshrrev_b32_sdwa v5, s24, v8 dst_sel:DWORD dst_unused:UNUSED_PAD src0_sel:DWORD src1_sel:WORD_0
	v_and_b32_e32 v0, s15, v0
	v_lshrrev_b32_sdwa v4, s24, v7 dst_sel:DWORD dst_unused:UNUSED_PAD src0_sel:DWORD src1_sel:WORD_0
	v_and_b32_e32 v5, s15, v5
	v_lshlrev_b32_e32 v0, 2, v0
	v_and_b32_e32 v4, s15, v4
	v_lshlrev_b32_e32 v5, 2, v5
	v_lshlrev_b32_e32 v4, 2, v4
	ds_read_b32 v13, v5
	ds_read_b32 v0, v0
	ds_read_u16 v14, v1 offset:5120
	ds_read_u16 v15, v1 offset:9216
	;; [unrolled: 1-line block ×4, first 2 shown]
	ds_read_b32 v19, v4
	ds_read_u16 v21, v1 offset:21504
	s_waitcnt lgkmcnt(6)
	v_add_u32_e32 v0, v0, v2
	v_mov_b32_e32 v1, 0
	s_movk_i32 s0, 0x400
	v_lshl_add_u64 v[4:5], v[0:1], 1, s[30:31]
	s_waitcnt lgkmcnt(1)
	v_add3_u32 v0, v19, v2, s0
	global_store_short v[4:5], v6, off
	v_lshl_add_u64 v[4:5], v[0:1], 1, s[30:31]
	global_store_short v[4:5], v7, off
	v_lshrrev_b32_sdwa v0, s24, v14 dst_sel:DWORD dst_unused:UNUSED_PAD src0_sel:DWORD src1_sel:WORD_0
	v_lshrrev_b32_sdwa v6, s24, v16 dst_sel:DWORD dst_unused:UNUSED_PAD src0_sel:DWORD src1_sel:WORD_0
	;; [unrolled: 1-line block ×5, first 2 shown]
	s_waitcnt lgkmcnt(0)
	v_lshrrev_b32_sdwa v23, s24, v21 dst_sel:DWORD dst_unused:UNUSED_PAD src0_sel:DWORD src1_sel:WORD_0
	v_and_b32_e32 v0, s15, v0
	v_lshrrev_b32_sdwa v4, s24, v15 dst_sel:DWORD dst_unused:UNUSED_PAD src0_sel:DWORD src1_sel:WORD_0
	v_lshrrev_b32_sdwa v5, s24, v9 dst_sel:DWORD dst_unused:UNUSED_PAD src0_sel:DWORD src1_sel:WORD_0
	v_and_b32_e32 v6, s15, v6
	v_and_b32_e32 v7, s15, v7
	;; [unrolled: 1-line block ×5, first 2 shown]
	v_lshlrev_b32_e32 v0, 2, v0
	v_and_b32_e32 v4, s15, v4
	v_and_b32_e32 v5, s15, v5
	v_lshlrev_b32_e32 v6, 2, v6
	v_lshlrev_b32_e32 v7, 2, v7
	;; [unrolled: 1-line block ×5, first 2 shown]
	s_movk_i32 s0, 0x800
	v_lshlrev_b32_e32 v4, 2, v4
	v_lshlrev_b32_e32 v5, 2, v5
	ds_read_b32 v0, v0
	ds_read_b32 v24, v4
	;; [unrolled: 1-line block ×8, first 2 shown]
	s_waitcnt lgkmcnt(7)
	v_add3_u32 v0, v0, v2, s0
	s_movk_i32 s0, 0xc00
	v_lshl_add_u64 v[4:5], v[0:1], 1, s[30:31]
	v_add3_u32 v0, v13, v2, s0
	s_movk_i32 s0, 0x1000
	global_store_short v[4:5], v14, off
	v_lshl_add_u64 v[4:5], v[0:1], 1, s[30:31]
	s_waitcnt lgkmcnt(6)
	v_add3_u32 v0, v24, v2, s0
	s_movk_i32 s0, 0x1400
	global_store_short v[4:5], v8, off
	v_lshl_add_u64 v[4:5], v[0:1], 1, s[30:31]
	s_waitcnt lgkmcnt(5)
	;; [unrolled: 5-line block ×6, first 2 shown]
	v_add3_u32 v0, v22, v2, s0
	global_store_short v[4:5], v17, off
	v_lshl_add_u64 v[4:5], v[0:1], 1, s[30:31]
	v_lshrrev_b32_sdwa v0, s24, v12 dst_sel:DWORD dst_unused:UNUSED_PAD src0_sel:DWORD src1_sel:WORD_0
	v_and_b32_e32 v0, s15, v0
	v_lshlrev_b32_e32 v0, 2, v0
	ds_read_b32 v6, v0
	s_movk_i32 s0, 0x2800
	s_add_i32 s14, s14, -1
	s_waitcnt lgkmcnt(1)
	v_add3_u32 v0, v23, v2, s0
	s_movk_i32 s0, 0x2c00
	s_cmp_eq_u32 s14, s27
	global_store_short v[4:5], v11, off
	v_lshl_add_u64 v[4:5], v[0:1], 1, s[30:31]
	s_waitcnt lgkmcnt(0)
	v_add3_u32 v0, v6, v2, s0
	s_cselect_b64 s[0:1], -1, 0
	v_lshl_add_u64 v[0:1], v[0:1], 1, s[30:31]
	s_and_b64 s[2:3], vcc, s[0:1]
	global_store_short v[4:5], v21, off
	global_store_short v[0:1], v12, off
                                        ; implicit-def: $vgpr4
	s_and_saveexec_b64 s[0:1], s[2:3]
; %bb.148:
	v_add_u32_e32 v4, v18, v20
	s_or_b64 s[8:9], s[8:9], exec
; %bb.149:
	s_or_b64 exec, exec, s[0:1]
.LBB1340_150:
	s_and_saveexec_b64 s[0:1], s[8:9]
	s_cbranch_execnz .LBB1340_152
; %bb.151:
	s_endpgm
.LBB1340_152:
	v_lshlrev_b32_e32 v0, 2, v2
	ds_read_b32 v5, v0
	v_mov_b32_e32 v0, s22
	v_mov_b32_e32 v1, s23
	v_lshl_add_u64 v[0:1], v[2:3], 2, v[0:1]
	s_waitcnt lgkmcnt(0)
	v_add_u32_e32 v2, v5, v4
	global_store_dword v[0:1], v2, off
	s_endpgm
	.section	.rodata,"a",@progbits
	.p2align	6, 0x0
	.amdhsa_kernel _ZN7rocprim17ROCPRIM_400000_NS6detail17trampoline_kernelINS0_14default_configENS1_35radix_sort_onesweep_config_selectorItNS0_10empty_typeEEEZZNS1_29radix_sort_onesweep_iterationIS3_Lb0EN6thrust23THRUST_200600_302600_NS6detail15normal_iteratorINS9_10device_ptrItEEEESE_PS5_SF_jNS0_19identity_decomposerENS1_16block_id_wrapperIjLb1EEEEE10hipError_tT1_PNSt15iterator_traitsISK_E10value_typeET2_T3_PNSL_ISQ_E10value_typeET4_T5_PSV_SW_PNS1_23onesweep_lookback_stateEbbT6_jjT7_P12ihipStream_tbENKUlT_T0_SK_SP_E_clISE_SE_SF_SF_EEDaS13_S14_SK_SP_EUlS13_E_NS1_11comp_targetILNS1_3genE5ELNS1_11target_archE942ELNS1_3gpuE9ELNS1_3repE0EEENS1_47radix_sort_onesweep_sort_config_static_selectorELNS0_4arch9wavefront6targetE1EEEvSK_
		.amdhsa_group_segment_fixed_size 25608
		.amdhsa_private_segment_fixed_size 0
		.amdhsa_kernarg_size 344
		.amdhsa_user_sgpr_count 2
		.amdhsa_user_sgpr_dispatch_ptr 0
		.amdhsa_user_sgpr_queue_ptr 0
		.amdhsa_user_sgpr_kernarg_segment_ptr 1
		.amdhsa_user_sgpr_dispatch_id 0
		.amdhsa_user_sgpr_kernarg_preload_length 0
		.amdhsa_user_sgpr_kernarg_preload_offset 0
		.amdhsa_user_sgpr_private_segment_size 0
		.amdhsa_uses_dynamic_stack 0
		.amdhsa_enable_private_segment 0
		.amdhsa_system_sgpr_workgroup_id_x 1
		.amdhsa_system_sgpr_workgroup_id_y 0
		.amdhsa_system_sgpr_workgroup_id_z 0
		.amdhsa_system_sgpr_workgroup_info 0
		.amdhsa_system_vgpr_workitem_id 2
		.amdhsa_next_free_vgpr 62
		.amdhsa_next_free_sgpr 36
		.amdhsa_accum_offset 64
		.amdhsa_reserve_vcc 1
		.amdhsa_float_round_mode_32 0
		.amdhsa_float_round_mode_16_64 0
		.amdhsa_float_denorm_mode_32 3
		.amdhsa_float_denorm_mode_16_64 3
		.amdhsa_dx10_clamp 1
		.amdhsa_ieee_mode 1
		.amdhsa_fp16_overflow 0
		.amdhsa_tg_split 0
		.amdhsa_exception_fp_ieee_invalid_op 0
		.amdhsa_exception_fp_denorm_src 0
		.amdhsa_exception_fp_ieee_div_zero 0
		.amdhsa_exception_fp_ieee_overflow 0
		.amdhsa_exception_fp_ieee_underflow 0
		.amdhsa_exception_fp_ieee_inexact 0
		.amdhsa_exception_int_div_zero 0
	.end_amdhsa_kernel
	.section	.text._ZN7rocprim17ROCPRIM_400000_NS6detail17trampoline_kernelINS0_14default_configENS1_35radix_sort_onesweep_config_selectorItNS0_10empty_typeEEEZZNS1_29radix_sort_onesweep_iterationIS3_Lb0EN6thrust23THRUST_200600_302600_NS6detail15normal_iteratorINS9_10device_ptrItEEEESE_PS5_SF_jNS0_19identity_decomposerENS1_16block_id_wrapperIjLb1EEEEE10hipError_tT1_PNSt15iterator_traitsISK_E10value_typeET2_T3_PNSL_ISQ_E10value_typeET4_T5_PSV_SW_PNS1_23onesweep_lookback_stateEbbT6_jjT7_P12ihipStream_tbENKUlT_T0_SK_SP_E_clISE_SE_SF_SF_EEDaS13_S14_SK_SP_EUlS13_E_NS1_11comp_targetILNS1_3genE5ELNS1_11target_archE942ELNS1_3gpuE9ELNS1_3repE0EEENS1_47radix_sort_onesweep_sort_config_static_selectorELNS0_4arch9wavefront6targetE1EEEvSK_,"axG",@progbits,_ZN7rocprim17ROCPRIM_400000_NS6detail17trampoline_kernelINS0_14default_configENS1_35radix_sort_onesweep_config_selectorItNS0_10empty_typeEEEZZNS1_29radix_sort_onesweep_iterationIS3_Lb0EN6thrust23THRUST_200600_302600_NS6detail15normal_iteratorINS9_10device_ptrItEEEESE_PS5_SF_jNS0_19identity_decomposerENS1_16block_id_wrapperIjLb1EEEEE10hipError_tT1_PNSt15iterator_traitsISK_E10value_typeET2_T3_PNSL_ISQ_E10value_typeET4_T5_PSV_SW_PNS1_23onesweep_lookback_stateEbbT6_jjT7_P12ihipStream_tbENKUlT_T0_SK_SP_E_clISE_SE_SF_SF_EEDaS13_S14_SK_SP_EUlS13_E_NS1_11comp_targetILNS1_3genE5ELNS1_11target_archE942ELNS1_3gpuE9ELNS1_3repE0EEENS1_47radix_sort_onesweep_sort_config_static_selectorELNS0_4arch9wavefront6targetE1EEEvSK_,comdat
.Lfunc_end1340:
	.size	_ZN7rocprim17ROCPRIM_400000_NS6detail17trampoline_kernelINS0_14default_configENS1_35radix_sort_onesweep_config_selectorItNS0_10empty_typeEEEZZNS1_29radix_sort_onesweep_iterationIS3_Lb0EN6thrust23THRUST_200600_302600_NS6detail15normal_iteratorINS9_10device_ptrItEEEESE_PS5_SF_jNS0_19identity_decomposerENS1_16block_id_wrapperIjLb1EEEEE10hipError_tT1_PNSt15iterator_traitsISK_E10value_typeET2_T3_PNSL_ISQ_E10value_typeET4_T5_PSV_SW_PNS1_23onesweep_lookback_stateEbbT6_jjT7_P12ihipStream_tbENKUlT_T0_SK_SP_E_clISE_SE_SF_SF_EEDaS13_S14_SK_SP_EUlS13_E_NS1_11comp_targetILNS1_3genE5ELNS1_11target_archE942ELNS1_3gpuE9ELNS1_3repE0EEENS1_47radix_sort_onesweep_sort_config_static_selectorELNS0_4arch9wavefront6targetE1EEEvSK_, .Lfunc_end1340-_ZN7rocprim17ROCPRIM_400000_NS6detail17trampoline_kernelINS0_14default_configENS1_35radix_sort_onesweep_config_selectorItNS0_10empty_typeEEEZZNS1_29radix_sort_onesweep_iterationIS3_Lb0EN6thrust23THRUST_200600_302600_NS6detail15normal_iteratorINS9_10device_ptrItEEEESE_PS5_SF_jNS0_19identity_decomposerENS1_16block_id_wrapperIjLb1EEEEE10hipError_tT1_PNSt15iterator_traitsISK_E10value_typeET2_T3_PNSL_ISQ_E10value_typeET4_T5_PSV_SW_PNS1_23onesweep_lookback_stateEbbT6_jjT7_P12ihipStream_tbENKUlT_T0_SK_SP_E_clISE_SE_SF_SF_EEDaS13_S14_SK_SP_EUlS13_E_NS1_11comp_targetILNS1_3genE5ELNS1_11target_archE942ELNS1_3gpuE9ELNS1_3repE0EEENS1_47radix_sort_onesweep_sort_config_static_selectorELNS0_4arch9wavefront6targetE1EEEvSK_
                                        ; -- End function
	.section	.AMDGPU.csdata,"",@progbits
; Kernel info:
; codeLenInByte = 15496
; NumSgprs: 42
; NumVgprs: 62
; NumAgprs: 0
; TotalNumVgprs: 62
; ScratchSize: 0
; MemoryBound: 0
; FloatMode: 240
; IeeeMode: 1
; LDSByteSize: 25608 bytes/workgroup (compile time only)
; SGPRBlocks: 5
; VGPRBlocks: 7
; NumSGPRsForWavesPerEU: 42
; NumVGPRsForWavesPerEU: 62
; AccumOffset: 64
; Occupancy: 8
; WaveLimiterHint : 1
; COMPUTE_PGM_RSRC2:SCRATCH_EN: 0
; COMPUTE_PGM_RSRC2:USER_SGPR: 2
; COMPUTE_PGM_RSRC2:TRAP_HANDLER: 0
; COMPUTE_PGM_RSRC2:TGID_X_EN: 1
; COMPUTE_PGM_RSRC2:TGID_Y_EN: 0
; COMPUTE_PGM_RSRC2:TGID_Z_EN: 0
; COMPUTE_PGM_RSRC2:TIDIG_COMP_CNT: 2
; COMPUTE_PGM_RSRC3_GFX90A:ACCUM_OFFSET: 15
; COMPUTE_PGM_RSRC3_GFX90A:TG_SPLIT: 0
	.section	.text._ZN7rocprim17ROCPRIM_400000_NS6detail17trampoline_kernelINS0_14default_configENS1_35radix_sort_onesweep_config_selectorItNS0_10empty_typeEEEZZNS1_29radix_sort_onesweep_iterationIS3_Lb0EN6thrust23THRUST_200600_302600_NS6detail15normal_iteratorINS9_10device_ptrItEEEESE_PS5_SF_jNS0_19identity_decomposerENS1_16block_id_wrapperIjLb1EEEEE10hipError_tT1_PNSt15iterator_traitsISK_E10value_typeET2_T3_PNSL_ISQ_E10value_typeET4_T5_PSV_SW_PNS1_23onesweep_lookback_stateEbbT6_jjT7_P12ihipStream_tbENKUlT_T0_SK_SP_E_clISE_SE_SF_SF_EEDaS13_S14_SK_SP_EUlS13_E_NS1_11comp_targetILNS1_3genE2ELNS1_11target_archE906ELNS1_3gpuE6ELNS1_3repE0EEENS1_47radix_sort_onesweep_sort_config_static_selectorELNS0_4arch9wavefront6targetE1EEEvSK_,"axG",@progbits,_ZN7rocprim17ROCPRIM_400000_NS6detail17trampoline_kernelINS0_14default_configENS1_35radix_sort_onesweep_config_selectorItNS0_10empty_typeEEEZZNS1_29radix_sort_onesweep_iterationIS3_Lb0EN6thrust23THRUST_200600_302600_NS6detail15normal_iteratorINS9_10device_ptrItEEEESE_PS5_SF_jNS0_19identity_decomposerENS1_16block_id_wrapperIjLb1EEEEE10hipError_tT1_PNSt15iterator_traitsISK_E10value_typeET2_T3_PNSL_ISQ_E10value_typeET4_T5_PSV_SW_PNS1_23onesweep_lookback_stateEbbT6_jjT7_P12ihipStream_tbENKUlT_T0_SK_SP_E_clISE_SE_SF_SF_EEDaS13_S14_SK_SP_EUlS13_E_NS1_11comp_targetILNS1_3genE2ELNS1_11target_archE906ELNS1_3gpuE6ELNS1_3repE0EEENS1_47radix_sort_onesweep_sort_config_static_selectorELNS0_4arch9wavefront6targetE1EEEvSK_,comdat
	.protected	_ZN7rocprim17ROCPRIM_400000_NS6detail17trampoline_kernelINS0_14default_configENS1_35radix_sort_onesweep_config_selectorItNS0_10empty_typeEEEZZNS1_29radix_sort_onesweep_iterationIS3_Lb0EN6thrust23THRUST_200600_302600_NS6detail15normal_iteratorINS9_10device_ptrItEEEESE_PS5_SF_jNS0_19identity_decomposerENS1_16block_id_wrapperIjLb1EEEEE10hipError_tT1_PNSt15iterator_traitsISK_E10value_typeET2_T3_PNSL_ISQ_E10value_typeET4_T5_PSV_SW_PNS1_23onesweep_lookback_stateEbbT6_jjT7_P12ihipStream_tbENKUlT_T0_SK_SP_E_clISE_SE_SF_SF_EEDaS13_S14_SK_SP_EUlS13_E_NS1_11comp_targetILNS1_3genE2ELNS1_11target_archE906ELNS1_3gpuE6ELNS1_3repE0EEENS1_47radix_sort_onesweep_sort_config_static_selectorELNS0_4arch9wavefront6targetE1EEEvSK_ ; -- Begin function _ZN7rocprim17ROCPRIM_400000_NS6detail17trampoline_kernelINS0_14default_configENS1_35radix_sort_onesweep_config_selectorItNS0_10empty_typeEEEZZNS1_29radix_sort_onesweep_iterationIS3_Lb0EN6thrust23THRUST_200600_302600_NS6detail15normal_iteratorINS9_10device_ptrItEEEESE_PS5_SF_jNS0_19identity_decomposerENS1_16block_id_wrapperIjLb1EEEEE10hipError_tT1_PNSt15iterator_traitsISK_E10value_typeET2_T3_PNSL_ISQ_E10value_typeET4_T5_PSV_SW_PNS1_23onesweep_lookback_stateEbbT6_jjT7_P12ihipStream_tbENKUlT_T0_SK_SP_E_clISE_SE_SF_SF_EEDaS13_S14_SK_SP_EUlS13_E_NS1_11comp_targetILNS1_3genE2ELNS1_11target_archE906ELNS1_3gpuE6ELNS1_3repE0EEENS1_47radix_sort_onesweep_sort_config_static_selectorELNS0_4arch9wavefront6targetE1EEEvSK_
	.globl	_ZN7rocprim17ROCPRIM_400000_NS6detail17trampoline_kernelINS0_14default_configENS1_35radix_sort_onesweep_config_selectorItNS0_10empty_typeEEEZZNS1_29radix_sort_onesweep_iterationIS3_Lb0EN6thrust23THRUST_200600_302600_NS6detail15normal_iteratorINS9_10device_ptrItEEEESE_PS5_SF_jNS0_19identity_decomposerENS1_16block_id_wrapperIjLb1EEEEE10hipError_tT1_PNSt15iterator_traitsISK_E10value_typeET2_T3_PNSL_ISQ_E10value_typeET4_T5_PSV_SW_PNS1_23onesweep_lookback_stateEbbT6_jjT7_P12ihipStream_tbENKUlT_T0_SK_SP_E_clISE_SE_SF_SF_EEDaS13_S14_SK_SP_EUlS13_E_NS1_11comp_targetILNS1_3genE2ELNS1_11target_archE906ELNS1_3gpuE6ELNS1_3repE0EEENS1_47radix_sort_onesweep_sort_config_static_selectorELNS0_4arch9wavefront6targetE1EEEvSK_
	.p2align	8
	.type	_ZN7rocprim17ROCPRIM_400000_NS6detail17trampoline_kernelINS0_14default_configENS1_35radix_sort_onesweep_config_selectorItNS0_10empty_typeEEEZZNS1_29radix_sort_onesweep_iterationIS3_Lb0EN6thrust23THRUST_200600_302600_NS6detail15normal_iteratorINS9_10device_ptrItEEEESE_PS5_SF_jNS0_19identity_decomposerENS1_16block_id_wrapperIjLb1EEEEE10hipError_tT1_PNSt15iterator_traitsISK_E10value_typeET2_T3_PNSL_ISQ_E10value_typeET4_T5_PSV_SW_PNS1_23onesweep_lookback_stateEbbT6_jjT7_P12ihipStream_tbENKUlT_T0_SK_SP_E_clISE_SE_SF_SF_EEDaS13_S14_SK_SP_EUlS13_E_NS1_11comp_targetILNS1_3genE2ELNS1_11target_archE906ELNS1_3gpuE6ELNS1_3repE0EEENS1_47radix_sort_onesweep_sort_config_static_selectorELNS0_4arch9wavefront6targetE1EEEvSK_,@function
_ZN7rocprim17ROCPRIM_400000_NS6detail17trampoline_kernelINS0_14default_configENS1_35radix_sort_onesweep_config_selectorItNS0_10empty_typeEEEZZNS1_29radix_sort_onesweep_iterationIS3_Lb0EN6thrust23THRUST_200600_302600_NS6detail15normal_iteratorINS9_10device_ptrItEEEESE_PS5_SF_jNS0_19identity_decomposerENS1_16block_id_wrapperIjLb1EEEEE10hipError_tT1_PNSt15iterator_traitsISK_E10value_typeET2_T3_PNSL_ISQ_E10value_typeET4_T5_PSV_SW_PNS1_23onesweep_lookback_stateEbbT6_jjT7_P12ihipStream_tbENKUlT_T0_SK_SP_E_clISE_SE_SF_SF_EEDaS13_S14_SK_SP_EUlS13_E_NS1_11comp_targetILNS1_3genE2ELNS1_11target_archE906ELNS1_3gpuE6ELNS1_3repE0EEENS1_47radix_sort_onesweep_sort_config_static_selectorELNS0_4arch9wavefront6targetE1EEEvSK_: ; @_ZN7rocprim17ROCPRIM_400000_NS6detail17trampoline_kernelINS0_14default_configENS1_35radix_sort_onesweep_config_selectorItNS0_10empty_typeEEEZZNS1_29radix_sort_onesweep_iterationIS3_Lb0EN6thrust23THRUST_200600_302600_NS6detail15normal_iteratorINS9_10device_ptrItEEEESE_PS5_SF_jNS0_19identity_decomposerENS1_16block_id_wrapperIjLb1EEEEE10hipError_tT1_PNSt15iterator_traitsISK_E10value_typeET2_T3_PNSL_ISQ_E10value_typeET4_T5_PSV_SW_PNS1_23onesweep_lookback_stateEbbT6_jjT7_P12ihipStream_tbENKUlT_T0_SK_SP_E_clISE_SE_SF_SF_EEDaS13_S14_SK_SP_EUlS13_E_NS1_11comp_targetILNS1_3genE2ELNS1_11target_archE906ELNS1_3gpuE6ELNS1_3repE0EEENS1_47radix_sort_onesweep_sort_config_static_selectorELNS0_4arch9wavefront6targetE1EEEvSK_
; %bb.0:
	.section	.rodata,"a",@progbits
	.p2align	6, 0x0
	.amdhsa_kernel _ZN7rocprim17ROCPRIM_400000_NS6detail17trampoline_kernelINS0_14default_configENS1_35radix_sort_onesweep_config_selectorItNS0_10empty_typeEEEZZNS1_29radix_sort_onesweep_iterationIS3_Lb0EN6thrust23THRUST_200600_302600_NS6detail15normal_iteratorINS9_10device_ptrItEEEESE_PS5_SF_jNS0_19identity_decomposerENS1_16block_id_wrapperIjLb1EEEEE10hipError_tT1_PNSt15iterator_traitsISK_E10value_typeET2_T3_PNSL_ISQ_E10value_typeET4_T5_PSV_SW_PNS1_23onesweep_lookback_stateEbbT6_jjT7_P12ihipStream_tbENKUlT_T0_SK_SP_E_clISE_SE_SF_SF_EEDaS13_S14_SK_SP_EUlS13_E_NS1_11comp_targetILNS1_3genE2ELNS1_11target_archE906ELNS1_3gpuE6ELNS1_3repE0EEENS1_47radix_sort_onesweep_sort_config_static_selectorELNS0_4arch9wavefront6targetE1EEEvSK_
		.amdhsa_group_segment_fixed_size 0
		.amdhsa_private_segment_fixed_size 0
		.amdhsa_kernarg_size 88
		.amdhsa_user_sgpr_count 2
		.amdhsa_user_sgpr_dispatch_ptr 0
		.amdhsa_user_sgpr_queue_ptr 0
		.amdhsa_user_sgpr_kernarg_segment_ptr 1
		.amdhsa_user_sgpr_dispatch_id 0
		.amdhsa_user_sgpr_kernarg_preload_length 0
		.amdhsa_user_sgpr_kernarg_preload_offset 0
		.amdhsa_user_sgpr_private_segment_size 0
		.amdhsa_uses_dynamic_stack 0
		.amdhsa_enable_private_segment 0
		.amdhsa_system_sgpr_workgroup_id_x 1
		.amdhsa_system_sgpr_workgroup_id_y 0
		.amdhsa_system_sgpr_workgroup_id_z 0
		.amdhsa_system_sgpr_workgroup_info 0
		.amdhsa_system_vgpr_workitem_id 0
		.amdhsa_next_free_vgpr 1
		.amdhsa_next_free_sgpr 0
		.amdhsa_accum_offset 4
		.amdhsa_reserve_vcc 0
		.amdhsa_float_round_mode_32 0
		.amdhsa_float_round_mode_16_64 0
		.amdhsa_float_denorm_mode_32 3
		.amdhsa_float_denorm_mode_16_64 3
		.amdhsa_dx10_clamp 1
		.amdhsa_ieee_mode 1
		.amdhsa_fp16_overflow 0
		.amdhsa_tg_split 0
		.amdhsa_exception_fp_ieee_invalid_op 0
		.amdhsa_exception_fp_denorm_src 0
		.amdhsa_exception_fp_ieee_div_zero 0
		.amdhsa_exception_fp_ieee_overflow 0
		.amdhsa_exception_fp_ieee_underflow 0
		.amdhsa_exception_fp_ieee_inexact 0
		.amdhsa_exception_int_div_zero 0
	.end_amdhsa_kernel
	.section	.text._ZN7rocprim17ROCPRIM_400000_NS6detail17trampoline_kernelINS0_14default_configENS1_35radix_sort_onesweep_config_selectorItNS0_10empty_typeEEEZZNS1_29radix_sort_onesweep_iterationIS3_Lb0EN6thrust23THRUST_200600_302600_NS6detail15normal_iteratorINS9_10device_ptrItEEEESE_PS5_SF_jNS0_19identity_decomposerENS1_16block_id_wrapperIjLb1EEEEE10hipError_tT1_PNSt15iterator_traitsISK_E10value_typeET2_T3_PNSL_ISQ_E10value_typeET4_T5_PSV_SW_PNS1_23onesweep_lookback_stateEbbT6_jjT7_P12ihipStream_tbENKUlT_T0_SK_SP_E_clISE_SE_SF_SF_EEDaS13_S14_SK_SP_EUlS13_E_NS1_11comp_targetILNS1_3genE2ELNS1_11target_archE906ELNS1_3gpuE6ELNS1_3repE0EEENS1_47radix_sort_onesweep_sort_config_static_selectorELNS0_4arch9wavefront6targetE1EEEvSK_,"axG",@progbits,_ZN7rocprim17ROCPRIM_400000_NS6detail17trampoline_kernelINS0_14default_configENS1_35radix_sort_onesweep_config_selectorItNS0_10empty_typeEEEZZNS1_29radix_sort_onesweep_iterationIS3_Lb0EN6thrust23THRUST_200600_302600_NS6detail15normal_iteratorINS9_10device_ptrItEEEESE_PS5_SF_jNS0_19identity_decomposerENS1_16block_id_wrapperIjLb1EEEEE10hipError_tT1_PNSt15iterator_traitsISK_E10value_typeET2_T3_PNSL_ISQ_E10value_typeET4_T5_PSV_SW_PNS1_23onesweep_lookback_stateEbbT6_jjT7_P12ihipStream_tbENKUlT_T0_SK_SP_E_clISE_SE_SF_SF_EEDaS13_S14_SK_SP_EUlS13_E_NS1_11comp_targetILNS1_3genE2ELNS1_11target_archE906ELNS1_3gpuE6ELNS1_3repE0EEENS1_47radix_sort_onesweep_sort_config_static_selectorELNS0_4arch9wavefront6targetE1EEEvSK_,comdat
.Lfunc_end1341:
	.size	_ZN7rocprim17ROCPRIM_400000_NS6detail17trampoline_kernelINS0_14default_configENS1_35radix_sort_onesweep_config_selectorItNS0_10empty_typeEEEZZNS1_29radix_sort_onesweep_iterationIS3_Lb0EN6thrust23THRUST_200600_302600_NS6detail15normal_iteratorINS9_10device_ptrItEEEESE_PS5_SF_jNS0_19identity_decomposerENS1_16block_id_wrapperIjLb1EEEEE10hipError_tT1_PNSt15iterator_traitsISK_E10value_typeET2_T3_PNSL_ISQ_E10value_typeET4_T5_PSV_SW_PNS1_23onesweep_lookback_stateEbbT6_jjT7_P12ihipStream_tbENKUlT_T0_SK_SP_E_clISE_SE_SF_SF_EEDaS13_S14_SK_SP_EUlS13_E_NS1_11comp_targetILNS1_3genE2ELNS1_11target_archE906ELNS1_3gpuE6ELNS1_3repE0EEENS1_47radix_sort_onesweep_sort_config_static_selectorELNS0_4arch9wavefront6targetE1EEEvSK_, .Lfunc_end1341-_ZN7rocprim17ROCPRIM_400000_NS6detail17trampoline_kernelINS0_14default_configENS1_35radix_sort_onesweep_config_selectorItNS0_10empty_typeEEEZZNS1_29radix_sort_onesweep_iterationIS3_Lb0EN6thrust23THRUST_200600_302600_NS6detail15normal_iteratorINS9_10device_ptrItEEEESE_PS5_SF_jNS0_19identity_decomposerENS1_16block_id_wrapperIjLb1EEEEE10hipError_tT1_PNSt15iterator_traitsISK_E10value_typeET2_T3_PNSL_ISQ_E10value_typeET4_T5_PSV_SW_PNS1_23onesweep_lookback_stateEbbT6_jjT7_P12ihipStream_tbENKUlT_T0_SK_SP_E_clISE_SE_SF_SF_EEDaS13_S14_SK_SP_EUlS13_E_NS1_11comp_targetILNS1_3genE2ELNS1_11target_archE906ELNS1_3gpuE6ELNS1_3repE0EEENS1_47radix_sort_onesweep_sort_config_static_selectorELNS0_4arch9wavefront6targetE1EEEvSK_
                                        ; -- End function
	.section	.AMDGPU.csdata,"",@progbits
; Kernel info:
; codeLenInByte = 0
; NumSgprs: 6
; NumVgprs: 0
; NumAgprs: 0
; TotalNumVgprs: 0
; ScratchSize: 0
; MemoryBound: 0
; FloatMode: 240
; IeeeMode: 1
; LDSByteSize: 0 bytes/workgroup (compile time only)
; SGPRBlocks: 0
; VGPRBlocks: 0
; NumSGPRsForWavesPerEU: 6
; NumVGPRsForWavesPerEU: 1
; AccumOffset: 4
; Occupancy: 8
; WaveLimiterHint : 0
; COMPUTE_PGM_RSRC2:SCRATCH_EN: 0
; COMPUTE_PGM_RSRC2:USER_SGPR: 2
; COMPUTE_PGM_RSRC2:TRAP_HANDLER: 0
; COMPUTE_PGM_RSRC2:TGID_X_EN: 1
; COMPUTE_PGM_RSRC2:TGID_Y_EN: 0
; COMPUTE_PGM_RSRC2:TGID_Z_EN: 0
; COMPUTE_PGM_RSRC2:TIDIG_COMP_CNT: 0
; COMPUTE_PGM_RSRC3_GFX90A:ACCUM_OFFSET: 0
; COMPUTE_PGM_RSRC3_GFX90A:TG_SPLIT: 0
	.section	.text._ZN7rocprim17ROCPRIM_400000_NS6detail17trampoline_kernelINS0_14default_configENS1_35radix_sort_onesweep_config_selectorItNS0_10empty_typeEEEZZNS1_29radix_sort_onesweep_iterationIS3_Lb0EN6thrust23THRUST_200600_302600_NS6detail15normal_iteratorINS9_10device_ptrItEEEESE_PS5_SF_jNS0_19identity_decomposerENS1_16block_id_wrapperIjLb1EEEEE10hipError_tT1_PNSt15iterator_traitsISK_E10value_typeET2_T3_PNSL_ISQ_E10value_typeET4_T5_PSV_SW_PNS1_23onesweep_lookback_stateEbbT6_jjT7_P12ihipStream_tbENKUlT_T0_SK_SP_E_clISE_SE_SF_SF_EEDaS13_S14_SK_SP_EUlS13_E_NS1_11comp_targetILNS1_3genE4ELNS1_11target_archE910ELNS1_3gpuE8ELNS1_3repE0EEENS1_47radix_sort_onesweep_sort_config_static_selectorELNS0_4arch9wavefront6targetE1EEEvSK_,"axG",@progbits,_ZN7rocprim17ROCPRIM_400000_NS6detail17trampoline_kernelINS0_14default_configENS1_35radix_sort_onesweep_config_selectorItNS0_10empty_typeEEEZZNS1_29radix_sort_onesweep_iterationIS3_Lb0EN6thrust23THRUST_200600_302600_NS6detail15normal_iteratorINS9_10device_ptrItEEEESE_PS5_SF_jNS0_19identity_decomposerENS1_16block_id_wrapperIjLb1EEEEE10hipError_tT1_PNSt15iterator_traitsISK_E10value_typeET2_T3_PNSL_ISQ_E10value_typeET4_T5_PSV_SW_PNS1_23onesweep_lookback_stateEbbT6_jjT7_P12ihipStream_tbENKUlT_T0_SK_SP_E_clISE_SE_SF_SF_EEDaS13_S14_SK_SP_EUlS13_E_NS1_11comp_targetILNS1_3genE4ELNS1_11target_archE910ELNS1_3gpuE8ELNS1_3repE0EEENS1_47radix_sort_onesweep_sort_config_static_selectorELNS0_4arch9wavefront6targetE1EEEvSK_,comdat
	.protected	_ZN7rocprim17ROCPRIM_400000_NS6detail17trampoline_kernelINS0_14default_configENS1_35radix_sort_onesweep_config_selectorItNS0_10empty_typeEEEZZNS1_29radix_sort_onesweep_iterationIS3_Lb0EN6thrust23THRUST_200600_302600_NS6detail15normal_iteratorINS9_10device_ptrItEEEESE_PS5_SF_jNS0_19identity_decomposerENS1_16block_id_wrapperIjLb1EEEEE10hipError_tT1_PNSt15iterator_traitsISK_E10value_typeET2_T3_PNSL_ISQ_E10value_typeET4_T5_PSV_SW_PNS1_23onesweep_lookback_stateEbbT6_jjT7_P12ihipStream_tbENKUlT_T0_SK_SP_E_clISE_SE_SF_SF_EEDaS13_S14_SK_SP_EUlS13_E_NS1_11comp_targetILNS1_3genE4ELNS1_11target_archE910ELNS1_3gpuE8ELNS1_3repE0EEENS1_47radix_sort_onesweep_sort_config_static_selectorELNS0_4arch9wavefront6targetE1EEEvSK_ ; -- Begin function _ZN7rocprim17ROCPRIM_400000_NS6detail17trampoline_kernelINS0_14default_configENS1_35radix_sort_onesweep_config_selectorItNS0_10empty_typeEEEZZNS1_29radix_sort_onesweep_iterationIS3_Lb0EN6thrust23THRUST_200600_302600_NS6detail15normal_iteratorINS9_10device_ptrItEEEESE_PS5_SF_jNS0_19identity_decomposerENS1_16block_id_wrapperIjLb1EEEEE10hipError_tT1_PNSt15iterator_traitsISK_E10value_typeET2_T3_PNSL_ISQ_E10value_typeET4_T5_PSV_SW_PNS1_23onesweep_lookback_stateEbbT6_jjT7_P12ihipStream_tbENKUlT_T0_SK_SP_E_clISE_SE_SF_SF_EEDaS13_S14_SK_SP_EUlS13_E_NS1_11comp_targetILNS1_3genE4ELNS1_11target_archE910ELNS1_3gpuE8ELNS1_3repE0EEENS1_47radix_sort_onesweep_sort_config_static_selectorELNS0_4arch9wavefront6targetE1EEEvSK_
	.globl	_ZN7rocprim17ROCPRIM_400000_NS6detail17trampoline_kernelINS0_14default_configENS1_35radix_sort_onesweep_config_selectorItNS0_10empty_typeEEEZZNS1_29radix_sort_onesweep_iterationIS3_Lb0EN6thrust23THRUST_200600_302600_NS6detail15normal_iteratorINS9_10device_ptrItEEEESE_PS5_SF_jNS0_19identity_decomposerENS1_16block_id_wrapperIjLb1EEEEE10hipError_tT1_PNSt15iterator_traitsISK_E10value_typeET2_T3_PNSL_ISQ_E10value_typeET4_T5_PSV_SW_PNS1_23onesweep_lookback_stateEbbT6_jjT7_P12ihipStream_tbENKUlT_T0_SK_SP_E_clISE_SE_SF_SF_EEDaS13_S14_SK_SP_EUlS13_E_NS1_11comp_targetILNS1_3genE4ELNS1_11target_archE910ELNS1_3gpuE8ELNS1_3repE0EEENS1_47radix_sort_onesweep_sort_config_static_selectorELNS0_4arch9wavefront6targetE1EEEvSK_
	.p2align	8
	.type	_ZN7rocprim17ROCPRIM_400000_NS6detail17trampoline_kernelINS0_14default_configENS1_35radix_sort_onesweep_config_selectorItNS0_10empty_typeEEEZZNS1_29radix_sort_onesweep_iterationIS3_Lb0EN6thrust23THRUST_200600_302600_NS6detail15normal_iteratorINS9_10device_ptrItEEEESE_PS5_SF_jNS0_19identity_decomposerENS1_16block_id_wrapperIjLb1EEEEE10hipError_tT1_PNSt15iterator_traitsISK_E10value_typeET2_T3_PNSL_ISQ_E10value_typeET4_T5_PSV_SW_PNS1_23onesweep_lookback_stateEbbT6_jjT7_P12ihipStream_tbENKUlT_T0_SK_SP_E_clISE_SE_SF_SF_EEDaS13_S14_SK_SP_EUlS13_E_NS1_11comp_targetILNS1_3genE4ELNS1_11target_archE910ELNS1_3gpuE8ELNS1_3repE0EEENS1_47radix_sort_onesweep_sort_config_static_selectorELNS0_4arch9wavefront6targetE1EEEvSK_,@function
_ZN7rocprim17ROCPRIM_400000_NS6detail17trampoline_kernelINS0_14default_configENS1_35radix_sort_onesweep_config_selectorItNS0_10empty_typeEEEZZNS1_29radix_sort_onesweep_iterationIS3_Lb0EN6thrust23THRUST_200600_302600_NS6detail15normal_iteratorINS9_10device_ptrItEEEESE_PS5_SF_jNS0_19identity_decomposerENS1_16block_id_wrapperIjLb1EEEEE10hipError_tT1_PNSt15iterator_traitsISK_E10value_typeET2_T3_PNSL_ISQ_E10value_typeET4_T5_PSV_SW_PNS1_23onesweep_lookback_stateEbbT6_jjT7_P12ihipStream_tbENKUlT_T0_SK_SP_E_clISE_SE_SF_SF_EEDaS13_S14_SK_SP_EUlS13_E_NS1_11comp_targetILNS1_3genE4ELNS1_11target_archE910ELNS1_3gpuE8ELNS1_3repE0EEENS1_47radix_sort_onesweep_sort_config_static_selectorELNS0_4arch9wavefront6targetE1EEEvSK_: ; @_ZN7rocprim17ROCPRIM_400000_NS6detail17trampoline_kernelINS0_14default_configENS1_35radix_sort_onesweep_config_selectorItNS0_10empty_typeEEEZZNS1_29radix_sort_onesweep_iterationIS3_Lb0EN6thrust23THRUST_200600_302600_NS6detail15normal_iteratorINS9_10device_ptrItEEEESE_PS5_SF_jNS0_19identity_decomposerENS1_16block_id_wrapperIjLb1EEEEE10hipError_tT1_PNSt15iterator_traitsISK_E10value_typeET2_T3_PNSL_ISQ_E10value_typeET4_T5_PSV_SW_PNS1_23onesweep_lookback_stateEbbT6_jjT7_P12ihipStream_tbENKUlT_T0_SK_SP_E_clISE_SE_SF_SF_EEDaS13_S14_SK_SP_EUlS13_E_NS1_11comp_targetILNS1_3genE4ELNS1_11target_archE910ELNS1_3gpuE8ELNS1_3repE0EEENS1_47radix_sort_onesweep_sort_config_static_selectorELNS0_4arch9wavefront6targetE1EEEvSK_
; %bb.0:
	.section	.rodata,"a",@progbits
	.p2align	6, 0x0
	.amdhsa_kernel _ZN7rocprim17ROCPRIM_400000_NS6detail17trampoline_kernelINS0_14default_configENS1_35radix_sort_onesweep_config_selectorItNS0_10empty_typeEEEZZNS1_29radix_sort_onesweep_iterationIS3_Lb0EN6thrust23THRUST_200600_302600_NS6detail15normal_iteratorINS9_10device_ptrItEEEESE_PS5_SF_jNS0_19identity_decomposerENS1_16block_id_wrapperIjLb1EEEEE10hipError_tT1_PNSt15iterator_traitsISK_E10value_typeET2_T3_PNSL_ISQ_E10value_typeET4_T5_PSV_SW_PNS1_23onesweep_lookback_stateEbbT6_jjT7_P12ihipStream_tbENKUlT_T0_SK_SP_E_clISE_SE_SF_SF_EEDaS13_S14_SK_SP_EUlS13_E_NS1_11comp_targetILNS1_3genE4ELNS1_11target_archE910ELNS1_3gpuE8ELNS1_3repE0EEENS1_47radix_sort_onesweep_sort_config_static_selectorELNS0_4arch9wavefront6targetE1EEEvSK_
		.amdhsa_group_segment_fixed_size 0
		.amdhsa_private_segment_fixed_size 0
		.amdhsa_kernarg_size 88
		.amdhsa_user_sgpr_count 2
		.amdhsa_user_sgpr_dispatch_ptr 0
		.amdhsa_user_sgpr_queue_ptr 0
		.amdhsa_user_sgpr_kernarg_segment_ptr 1
		.amdhsa_user_sgpr_dispatch_id 0
		.amdhsa_user_sgpr_kernarg_preload_length 0
		.amdhsa_user_sgpr_kernarg_preload_offset 0
		.amdhsa_user_sgpr_private_segment_size 0
		.amdhsa_uses_dynamic_stack 0
		.amdhsa_enable_private_segment 0
		.amdhsa_system_sgpr_workgroup_id_x 1
		.amdhsa_system_sgpr_workgroup_id_y 0
		.amdhsa_system_sgpr_workgroup_id_z 0
		.amdhsa_system_sgpr_workgroup_info 0
		.amdhsa_system_vgpr_workitem_id 0
		.amdhsa_next_free_vgpr 1
		.amdhsa_next_free_sgpr 0
		.amdhsa_accum_offset 4
		.amdhsa_reserve_vcc 0
		.amdhsa_float_round_mode_32 0
		.amdhsa_float_round_mode_16_64 0
		.amdhsa_float_denorm_mode_32 3
		.amdhsa_float_denorm_mode_16_64 3
		.amdhsa_dx10_clamp 1
		.amdhsa_ieee_mode 1
		.amdhsa_fp16_overflow 0
		.amdhsa_tg_split 0
		.amdhsa_exception_fp_ieee_invalid_op 0
		.amdhsa_exception_fp_denorm_src 0
		.amdhsa_exception_fp_ieee_div_zero 0
		.amdhsa_exception_fp_ieee_overflow 0
		.amdhsa_exception_fp_ieee_underflow 0
		.amdhsa_exception_fp_ieee_inexact 0
		.amdhsa_exception_int_div_zero 0
	.end_amdhsa_kernel
	.section	.text._ZN7rocprim17ROCPRIM_400000_NS6detail17trampoline_kernelINS0_14default_configENS1_35radix_sort_onesweep_config_selectorItNS0_10empty_typeEEEZZNS1_29radix_sort_onesweep_iterationIS3_Lb0EN6thrust23THRUST_200600_302600_NS6detail15normal_iteratorINS9_10device_ptrItEEEESE_PS5_SF_jNS0_19identity_decomposerENS1_16block_id_wrapperIjLb1EEEEE10hipError_tT1_PNSt15iterator_traitsISK_E10value_typeET2_T3_PNSL_ISQ_E10value_typeET4_T5_PSV_SW_PNS1_23onesweep_lookback_stateEbbT6_jjT7_P12ihipStream_tbENKUlT_T0_SK_SP_E_clISE_SE_SF_SF_EEDaS13_S14_SK_SP_EUlS13_E_NS1_11comp_targetILNS1_3genE4ELNS1_11target_archE910ELNS1_3gpuE8ELNS1_3repE0EEENS1_47radix_sort_onesweep_sort_config_static_selectorELNS0_4arch9wavefront6targetE1EEEvSK_,"axG",@progbits,_ZN7rocprim17ROCPRIM_400000_NS6detail17trampoline_kernelINS0_14default_configENS1_35radix_sort_onesweep_config_selectorItNS0_10empty_typeEEEZZNS1_29radix_sort_onesweep_iterationIS3_Lb0EN6thrust23THRUST_200600_302600_NS6detail15normal_iteratorINS9_10device_ptrItEEEESE_PS5_SF_jNS0_19identity_decomposerENS1_16block_id_wrapperIjLb1EEEEE10hipError_tT1_PNSt15iterator_traitsISK_E10value_typeET2_T3_PNSL_ISQ_E10value_typeET4_T5_PSV_SW_PNS1_23onesweep_lookback_stateEbbT6_jjT7_P12ihipStream_tbENKUlT_T0_SK_SP_E_clISE_SE_SF_SF_EEDaS13_S14_SK_SP_EUlS13_E_NS1_11comp_targetILNS1_3genE4ELNS1_11target_archE910ELNS1_3gpuE8ELNS1_3repE0EEENS1_47radix_sort_onesweep_sort_config_static_selectorELNS0_4arch9wavefront6targetE1EEEvSK_,comdat
.Lfunc_end1342:
	.size	_ZN7rocprim17ROCPRIM_400000_NS6detail17trampoline_kernelINS0_14default_configENS1_35radix_sort_onesweep_config_selectorItNS0_10empty_typeEEEZZNS1_29radix_sort_onesweep_iterationIS3_Lb0EN6thrust23THRUST_200600_302600_NS6detail15normal_iteratorINS9_10device_ptrItEEEESE_PS5_SF_jNS0_19identity_decomposerENS1_16block_id_wrapperIjLb1EEEEE10hipError_tT1_PNSt15iterator_traitsISK_E10value_typeET2_T3_PNSL_ISQ_E10value_typeET4_T5_PSV_SW_PNS1_23onesweep_lookback_stateEbbT6_jjT7_P12ihipStream_tbENKUlT_T0_SK_SP_E_clISE_SE_SF_SF_EEDaS13_S14_SK_SP_EUlS13_E_NS1_11comp_targetILNS1_3genE4ELNS1_11target_archE910ELNS1_3gpuE8ELNS1_3repE0EEENS1_47radix_sort_onesweep_sort_config_static_selectorELNS0_4arch9wavefront6targetE1EEEvSK_, .Lfunc_end1342-_ZN7rocprim17ROCPRIM_400000_NS6detail17trampoline_kernelINS0_14default_configENS1_35radix_sort_onesweep_config_selectorItNS0_10empty_typeEEEZZNS1_29radix_sort_onesweep_iterationIS3_Lb0EN6thrust23THRUST_200600_302600_NS6detail15normal_iteratorINS9_10device_ptrItEEEESE_PS5_SF_jNS0_19identity_decomposerENS1_16block_id_wrapperIjLb1EEEEE10hipError_tT1_PNSt15iterator_traitsISK_E10value_typeET2_T3_PNSL_ISQ_E10value_typeET4_T5_PSV_SW_PNS1_23onesweep_lookback_stateEbbT6_jjT7_P12ihipStream_tbENKUlT_T0_SK_SP_E_clISE_SE_SF_SF_EEDaS13_S14_SK_SP_EUlS13_E_NS1_11comp_targetILNS1_3genE4ELNS1_11target_archE910ELNS1_3gpuE8ELNS1_3repE0EEENS1_47radix_sort_onesweep_sort_config_static_selectorELNS0_4arch9wavefront6targetE1EEEvSK_
                                        ; -- End function
	.section	.AMDGPU.csdata,"",@progbits
; Kernel info:
; codeLenInByte = 0
; NumSgprs: 6
; NumVgprs: 0
; NumAgprs: 0
; TotalNumVgprs: 0
; ScratchSize: 0
; MemoryBound: 0
; FloatMode: 240
; IeeeMode: 1
; LDSByteSize: 0 bytes/workgroup (compile time only)
; SGPRBlocks: 0
; VGPRBlocks: 0
; NumSGPRsForWavesPerEU: 6
; NumVGPRsForWavesPerEU: 1
; AccumOffset: 4
; Occupancy: 8
; WaveLimiterHint : 0
; COMPUTE_PGM_RSRC2:SCRATCH_EN: 0
; COMPUTE_PGM_RSRC2:USER_SGPR: 2
; COMPUTE_PGM_RSRC2:TRAP_HANDLER: 0
; COMPUTE_PGM_RSRC2:TGID_X_EN: 1
; COMPUTE_PGM_RSRC2:TGID_Y_EN: 0
; COMPUTE_PGM_RSRC2:TGID_Z_EN: 0
; COMPUTE_PGM_RSRC2:TIDIG_COMP_CNT: 0
; COMPUTE_PGM_RSRC3_GFX90A:ACCUM_OFFSET: 0
; COMPUTE_PGM_RSRC3_GFX90A:TG_SPLIT: 0
	.section	.text._ZN7rocprim17ROCPRIM_400000_NS6detail17trampoline_kernelINS0_14default_configENS1_35radix_sort_onesweep_config_selectorItNS0_10empty_typeEEEZZNS1_29radix_sort_onesweep_iterationIS3_Lb0EN6thrust23THRUST_200600_302600_NS6detail15normal_iteratorINS9_10device_ptrItEEEESE_PS5_SF_jNS0_19identity_decomposerENS1_16block_id_wrapperIjLb1EEEEE10hipError_tT1_PNSt15iterator_traitsISK_E10value_typeET2_T3_PNSL_ISQ_E10value_typeET4_T5_PSV_SW_PNS1_23onesweep_lookback_stateEbbT6_jjT7_P12ihipStream_tbENKUlT_T0_SK_SP_E_clISE_SE_SF_SF_EEDaS13_S14_SK_SP_EUlS13_E_NS1_11comp_targetILNS1_3genE3ELNS1_11target_archE908ELNS1_3gpuE7ELNS1_3repE0EEENS1_47radix_sort_onesweep_sort_config_static_selectorELNS0_4arch9wavefront6targetE1EEEvSK_,"axG",@progbits,_ZN7rocprim17ROCPRIM_400000_NS6detail17trampoline_kernelINS0_14default_configENS1_35radix_sort_onesweep_config_selectorItNS0_10empty_typeEEEZZNS1_29radix_sort_onesweep_iterationIS3_Lb0EN6thrust23THRUST_200600_302600_NS6detail15normal_iteratorINS9_10device_ptrItEEEESE_PS5_SF_jNS0_19identity_decomposerENS1_16block_id_wrapperIjLb1EEEEE10hipError_tT1_PNSt15iterator_traitsISK_E10value_typeET2_T3_PNSL_ISQ_E10value_typeET4_T5_PSV_SW_PNS1_23onesweep_lookback_stateEbbT6_jjT7_P12ihipStream_tbENKUlT_T0_SK_SP_E_clISE_SE_SF_SF_EEDaS13_S14_SK_SP_EUlS13_E_NS1_11comp_targetILNS1_3genE3ELNS1_11target_archE908ELNS1_3gpuE7ELNS1_3repE0EEENS1_47radix_sort_onesweep_sort_config_static_selectorELNS0_4arch9wavefront6targetE1EEEvSK_,comdat
	.protected	_ZN7rocprim17ROCPRIM_400000_NS6detail17trampoline_kernelINS0_14default_configENS1_35radix_sort_onesweep_config_selectorItNS0_10empty_typeEEEZZNS1_29radix_sort_onesweep_iterationIS3_Lb0EN6thrust23THRUST_200600_302600_NS6detail15normal_iteratorINS9_10device_ptrItEEEESE_PS5_SF_jNS0_19identity_decomposerENS1_16block_id_wrapperIjLb1EEEEE10hipError_tT1_PNSt15iterator_traitsISK_E10value_typeET2_T3_PNSL_ISQ_E10value_typeET4_T5_PSV_SW_PNS1_23onesweep_lookback_stateEbbT6_jjT7_P12ihipStream_tbENKUlT_T0_SK_SP_E_clISE_SE_SF_SF_EEDaS13_S14_SK_SP_EUlS13_E_NS1_11comp_targetILNS1_3genE3ELNS1_11target_archE908ELNS1_3gpuE7ELNS1_3repE0EEENS1_47radix_sort_onesweep_sort_config_static_selectorELNS0_4arch9wavefront6targetE1EEEvSK_ ; -- Begin function _ZN7rocprim17ROCPRIM_400000_NS6detail17trampoline_kernelINS0_14default_configENS1_35radix_sort_onesweep_config_selectorItNS0_10empty_typeEEEZZNS1_29radix_sort_onesweep_iterationIS3_Lb0EN6thrust23THRUST_200600_302600_NS6detail15normal_iteratorINS9_10device_ptrItEEEESE_PS5_SF_jNS0_19identity_decomposerENS1_16block_id_wrapperIjLb1EEEEE10hipError_tT1_PNSt15iterator_traitsISK_E10value_typeET2_T3_PNSL_ISQ_E10value_typeET4_T5_PSV_SW_PNS1_23onesweep_lookback_stateEbbT6_jjT7_P12ihipStream_tbENKUlT_T0_SK_SP_E_clISE_SE_SF_SF_EEDaS13_S14_SK_SP_EUlS13_E_NS1_11comp_targetILNS1_3genE3ELNS1_11target_archE908ELNS1_3gpuE7ELNS1_3repE0EEENS1_47radix_sort_onesweep_sort_config_static_selectorELNS0_4arch9wavefront6targetE1EEEvSK_
	.globl	_ZN7rocprim17ROCPRIM_400000_NS6detail17trampoline_kernelINS0_14default_configENS1_35radix_sort_onesweep_config_selectorItNS0_10empty_typeEEEZZNS1_29radix_sort_onesweep_iterationIS3_Lb0EN6thrust23THRUST_200600_302600_NS6detail15normal_iteratorINS9_10device_ptrItEEEESE_PS5_SF_jNS0_19identity_decomposerENS1_16block_id_wrapperIjLb1EEEEE10hipError_tT1_PNSt15iterator_traitsISK_E10value_typeET2_T3_PNSL_ISQ_E10value_typeET4_T5_PSV_SW_PNS1_23onesweep_lookback_stateEbbT6_jjT7_P12ihipStream_tbENKUlT_T0_SK_SP_E_clISE_SE_SF_SF_EEDaS13_S14_SK_SP_EUlS13_E_NS1_11comp_targetILNS1_3genE3ELNS1_11target_archE908ELNS1_3gpuE7ELNS1_3repE0EEENS1_47radix_sort_onesweep_sort_config_static_selectorELNS0_4arch9wavefront6targetE1EEEvSK_
	.p2align	8
	.type	_ZN7rocprim17ROCPRIM_400000_NS6detail17trampoline_kernelINS0_14default_configENS1_35radix_sort_onesweep_config_selectorItNS0_10empty_typeEEEZZNS1_29radix_sort_onesweep_iterationIS3_Lb0EN6thrust23THRUST_200600_302600_NS6detail15normal_iteratorINS9_10device_ptrItEEEESE_PS5_SF_jNS0_19identity_decomposerENS1_16block_id_wrapperIjLb1EEEEE10hipError_tT1_PNSt15iterator_traitsISK_E10value_typeET2_T3_PNSL_ISQ_E10value_typeET4_T5_PSV_SW_PNS1_23onesweep_lookback_stateEbbT6_jjT7_P12ihipStream_tbENKUlT_T0_SK_SP_E_clISE_SE_SF_SF_EEDaS13_S14_SK_SP_EUlS13_E_NS1_11comp_targetILNS1_3genE3ELNS1_11target_archE908ELNS1_3gpuE7ELNS1_3repE0EEENS1_47radix_sort_onesweep_sort_config_static_selectorELNS0_4arch9wavefront6targetE1EEEvSK_,@function
_ZN7rocprim17ROCPRIM_400000_NS6detail17trampoline_kernelINS0_14default_configENS1_35radix_sort_onesweep_config_selectorItNS0_10empty_typeEEEZZNS1_29radix_sort_onesweep_iterationIS3_Lb0EN6thrust23THRUST_200600_302600_NS6detail15normal_iteratorINS9_10device_ptrItEEEESE_PS5_SF_jNS0_19identity_decomposerENS1_16block_id_wrapperIjLb1EEEEE10hipError_tT1_PNSt15iterator_traitsISK_E10value_typeET2_T3_PNSL_ISQ_E10value_typeET4_T5_PSV_SW_PNS1_23onesweep_lookback_stateEbbT6_jjT7_P12ihipStream_tbENKUlT_T0_SK_SP_E_clISE_SE_SF_SF_EEDaS13_S14_SK_SP_EUlS13_E_NS1_11comp_targetILNS1_3genE3ELNS1_11target_archE908ELNS1_3gpuE7ELNS1_3repE0EEENS1_47radix_sort_onesweep_sort_config_static_selectorELNS0_4arch9wavefront6targetE1EEEvSK_: ; @_ZN7rocprim17ROCPRIM_400000_NS6detail17trampoline_kernelINS0_14default_configENS1_35radix_sort_onesweep_config_selectorItNS0_10empty_typeEEEZZNS1_29radix_sort_onesweep_iterationIS3_Lb0EN6thrust23THRUST_200600_302600_NS6detail15normal_iteratorINS9_10device_ptrItEEEESE_PS5_SF_jNS0_19identity_decomposerENS1_16block_id_wrapperIjLb1EEEEE10hipError_tT1_PNSt15iterator_traitsISK_E10value_typeET2_T3_PNSL_ISQ_E10value_typeET4_T5_PSV_SW_PNS1_23onesweep_lookback_stateEbbT6_jjT7_P12ihipStream_tbENKUlT_T0_SK_SP_E_clISE_SE_SF_SF_EEDaS13_S14_SK_SP_EUlS13_E_NS1_11comp_targetILNS1_3genE3ELNS1_11target_archE908ELNS1_3gpuE7ELNS1_3repE0EEENS1_47radix_sort_onesweep_sort_config_static_selectorELNS0_4arch9wavefront6targetE1EEEvSK_
; %bb.0:
	.section	.rodata,"a",@progbits
	.p2align	6, 0x0
	.amdhsa_kernel _ZN7rocprim17ROCPRIM_400000_NS6detail17trampoline_kernelINS0_14default_configENS1_35radix_sort_onesweep_config_selectorItNS0_10empty_typeEEEZZNS1_29radix_sort_onesweep_iterationIS3_Lb0EN6thrust23THRUST_200600_302600_NS6detail15normal_iteratorINS9_10device_ptrItEEEESE_PS5_SF_jNS0_19identity_decomposerENS1_16block_id_wrapperIjLb1EEEEE10hipError_tT1_PNSt15iterator_traitsISK_E10value_typeET2_T3_PNSL_ISQ_E10value_typeET4_T5_PSV_SW_PNS1_23onesweep_lookback_stateEbbT6_jjT7_P12ihipStream_tbENKUlT_T0_SK_SP_E_clISE_SE_SF_SF_EEDaS13_S14_SK_SP_EUlS13_E_NS1_11comp_targetILNS1_3genE3ELNS1_11target_archE908ELNS1_3gpuE7ELNS1_3repE0EEENS1_47radix_sort_onesweep_sort_config_static_selectorELNS0_4arch9wavefront6targetE1EEEvSK_
		.amdhsa_group_segment_fixed_size 0
		.amdhsa_private_segment_fixed_size 0
		.amdhsa_kernarg_size 88
		.amdhsa_user_sgpr_count 2
		.amdhsa_user_sgpr_dispatch_ptr 0
		.amdhsa_user_sgpr_queue_ptr 0
		.amdhsa_user_sgpr_kernarg_segment_ptr 1
		.amdhsa_user_sgpr_dispatch_id 0
		.amdhsa_user_sgpr_kernarg_preload_length 0
		.amdhsa_user_sgpr_kernarg_preload_offset 0
		.amdhsa_user_sgpr_private_segment_size 0
		.amdhsa_uses_dynamic_stack 0
		.amdhsa_enable_private_segment 0
		.amdhsa_system_sgpr_workgroup_id_x 1
		.amdhsa_system_sgpr_workgroup_id_y 0
		.amdhsa_system_sgpr_workgroup_id_z 0
		.amdhsa_system_sgpr_workgroup_info 0
		.amdhsa_system_vgpr_workitem_id 0
		.amdhsa_next_free_vgpr 1
		.amdhsa_next_free_sgpr 0
		.amdhsa_accum_offset 4
		.amdhsa_reserve_vcc 0
		.amdhsa_float_round_mode_32 0
		.amdhsa_float_round_mode_16_64 0
		.amdhsa_float_denorm_mode_32 3
		.amdhsa_float_denorm_mode_16_64 3
		.amdhsa_dx10_clamp 1
		.amdhsa_ieee_mode 1
		.amdhsa_fp16_overflow 0
		.amdhsa_tg_split 0
		.amdhsa_exception_fp_ieee_invalid_op 0
		.amdhsa_exception_fp_denorm_src 0
		.amdhsa_exception_fp_ieee_div_zero 0
		.amdhsa_exception_fp_ieee_overflow 0
		.amdhsa_exception_fp_ieee_underflow 0
		.amdhsa_exception_fp_ieee_inexact 0
		.amdhsa_exception_int_div_zero 0
	.end_amdhsa_kernel
	.section	.text._ZN7rocprim17ROCPRIM_400000_NS6detail17trampoline_kernelINS0_14default_configENS1_35radix_sort_onesweep_config_selectorItNS0_10empty_typeEEEZZNS1_29radix_sort_onesweep_iterationIS3_Lb0EN6thrust23THRUST_200600_302600_NS6detail15normal_iteratorINS9_10device_ptrItEEEESE_PS5_SF_jNS0_19identity_decomposerENS1_16block_id_wrapperIjLb1EEEEE10hipError_tT1_PNSt15iterator_traitsISK_E10value_typeET2_T3_PNSL_ISQ_E10value_typeET4_T5_PSV_SW_PNS1_23onesweep_lookback_stateEbbT6_jjT7_P12ihipStream_tbENKUlT_T0_SK_SP_E_clISE_SE_SF_SF_EEDaS13_S14_SK_SP_EUlS13_E_NS1_11comp_targetILNS1_3genE3ELNS1_11target_archE908ELNS1_3gpuE7ELNS1_3repE0EEENS1_47radix_sort_onesweep_sort_config_static_selectorELNS0_4arch9wavefront6targetE1EEEvSK_,"axG",@progbits,_ZN7rocprim17ROCPRIM_400000_NS6detail17trampoline_kernelINS0_14default_configENS1_35radix_sort_onesweep_config_selectorItNS0_10empty_typeEEEZZNS1_29radix_sort_onesweep_iterationIS3_Lb0EN6thrust23THRUST_200600_302600_NS6detail15normal_iteratorINS9_10device_ptrItEEEESE_PS5_SF_jNS0_19identity_decomposerENS1_16block_id_wrapperIjLb1EEEEE10hipError_tT1_PNSt15iterator_traitsISK_E10value_typeET2_T3_PNSL_ISQ_E10value_typeET4_T5_PSV_SW_PNS1_23onesweep_lookback_stateEbbT6_jjT7_P12ihipStream_tbENKUlT_T0_SK_SP_E_clISE_SE_SF_SF_EEDaS13_S14_SK_SP_EUlS13_E_NS1_11comp_targetILNS1_3genE3ELNS1_11target_archE908ELNS1_3gpuE7ELNS1_3repE0EEENS1_47radix_sort_onesweep_sort_config_static_selectorELNS0_4arch9wavefront6targetE1EEEvSK_,comdat
.Lfunc_end1343:
	.size	_ZN7rocprim17ROCPRIM_400000_NS6detail17trampoline_kernelINS0_14default_configENS1_35radix_sort_onesweep_config_selectorItNS0_10empty_typeEEEZZNS1_29radix_sort_onesweep_iterationIS3_Lb0EN6thrust23THRUST_200600_302600_NS6detail15normal_iteratorINS9_10device_ptrItEEEESE_PS5_SF_jNS0_19identity_decomposerENS1_16block_id_wrapperIjLb1EEEEE10hipError_tT1_PNSt15iterator_traitsISK_E10value_typeET2_T3_PNSL_ISQ_E10value_typeET4_T5_PSV_SW_PNS1_23onesweep_lookback_stateEbbT6_jjT7_P12ihipStream_tbENKUlT_T0_SK_SP_E_clISE_SE_SF_SF_EEDaS13_S14_SK_SP_EUlS13_E_NS1_11comp_targetILNS1_3genE3ELNS1_11target_archE908ELNS1_3gpuE7ELNS1_3repE0EEENS1_47radix_sort_onesweep_sort_config_static_selectorELNS0_4arch9wavefront6targetE1EEEvSK_, .Lfunc_end1343-_ZN7rocprim17ROCPRIM_400000_NS6detail17trampoline_kernelINS0_14default_configENS1_35radix_sort_onesweep_config_selectorItNS0_10empty_typeEEEZZNS1_29radix_sort_onesweep_iterationIS3_Lb0EN6thrust23THRUST_200600_302600_NS6detail15normal_iteratorINS9_10device_ptrItEEEESE_PS5_SF_jNS0_19identity_decomposerENS1_16block_id_wrapperIjLb1EEEEE10hipError_tT1_PNSt15iterator_traitsISK_E10value_typeET2_T3_PNSL_ISQ_E10value_typeET4_T5_PSV_SW_PNS1_23onesweep_lookback_stateEbbT6_jjT7_P12ihipStream_tbENKUlT_T0_SK_SP_E_clISE_SE_SF_SF_EEDaS13_S14_SK_SP_EUlS13_E_NS1_11comp_targetILNS1_3genE3ELNS1_11target_archE908ELNS1_3gpuE7ELNS1_3repE0EEENS1_47radix_sort_onesweep_sort_config_static_selectorELNS0_4arch9wavefront6targetE1EEEvSK_
                                        ; -- End function
	.section	.AMDGPU.csdata,"",@progbits
; Kernel info:
; codeLenInByte = 0
; NumSgprs: 6
; NumVgprs: 0
; NumAgprs: 0
; TotalNumVgprs: 0
; ScratchSize: 0
; MemoryBound: 0
; FloatMode: 240
; IeeeMode: 1
; LDSByteSize: 0 bytes/workgroup (compile time only)
; SGPRBlocks: 0
; VGPRBlocks: 0
; NumSGPRsForWavesPerEU: 6
; NumVGPRsForWavesPerEU: 1
; AccumOffset: 4
; Occupancy: 8
; WaveLimiterHint : 0
; COMPUTE_PGM_RSRC2:SCRATCH_EN: 0
; COMPUTE_PGM_RSRC2:USER_SGPR: 2
; COMPUTE_PGM_RSRC2:TRAP_HANDLER: 0
; COMPUTE_PGM_RSRC2:TGID_X_EN: 1
; COMPUTE_PGM_RSRC2:TGID_Y_EN: 0
; COMPUTE_PGM_RSRC2:TGID_Z_EN: 0
; COMPUTE_PGM_RSRC2:TIDIG_COMP_CNT: 0
; COMPUTE_PGM_RSRC3_GFX90A:ACCUM_OFFSET: 0
; COMPUTE_PGM_RSRC3_GFX90A:TG_SPLIT: 0
	.section	.text._ZN7rocprim17ROCPRIM_400000_NS6detail17trampoline_kernelINS0_14default_configENS1_35radix_sort_onesweep_config_selectorItNS0_10empty_typeEEEZZNS1_29radix_sort_onesweep_iterationIS3_Lb0EN6thrust23THRUST_200600_302600_NS6detail15normal_iteratorINS9_10device_ptrItEEEESE_PS5_SF_jNS0_19identity_decomposerENS1_16block_id_wrapperIjLb1EEEEE10hipError_tT1_PNSt15iterator_traitsISK_E10value_typeET2_T3_PNSL_ISQ_E10value_typeET4_T5_PSV_SW_PNS1_23onesweep_lookback_stateEbbT6_jjT7_P12ihipStream_tbENKUlT_T0_SK_SP_E_clISE_SE_SF_SF_EEDaS13_S14_SK_SP_EUlS13_E_NS1_11comp_targetILNS1_3genE10ELNS1_11target_archE1201ELNS1_3gpuE5ELNS1_3repE0EEENS1_47radix_sort_onesweep_sort_config_static_selectorELNS0_4arch9wavefront6targetE1EEEvSK_,"axG",@progbits,_ZN7rocprim17ROCPRIM_400000_NS6detail17trampoline_kernelINS0_14default_configENS1_35radix_sort_onesweep_config_selectorItNS0_10empty_typeEEEZZNS1_29radix_sort_onesweep_iterationIS3_Lb0EN6thrust23THRUST_200600_302600_NS6detail15normal_iteratorINS9_10device_ptrItEEEESE_PS5_SF_jNS0_19identity_decomposerENS1_16block_id_wrapperIjLb1EEEEE10hipError_tT1_PNSt15iterator_traitsISK_E10value_typeET2_T3_PNSL_ISQ_E10value_typeET4_T5_PSV_SW_PNS1_23onesweep_lookback_stateEbbT6_jjT7_P12ihipStream_tbENKUlT_T0_SK_SP_E_clISE_SE_SF_SF_EEDaS13_S14_SK_SP_EUlS13_E_NS1_11comp_targetILNS1_3genE10ELNS1_11target_archE1201ELNS1_3gpuE5ELNS1_3repE0EEENS1_47radix_sort_onesweep_sort_config_static_selectorELNS0_4arch9wavefront6targetE1EEEvSK_,comdat
	.protected	_ZN7rocprim17ROCPRIM_400000_NS6detail17trampoline_kernelINS0_14default_configENS1_35radix_sort_onesweep_config_selectorItNS0_10empty_typeEEEZZNS1_29radix_sort_onesweep_iterationIS3_Lb0EN6thrust23THRUST_200600_302600_NS6detail15normal_iteratorINS9_10device_ptrItEEEESE_PS5_SF_jNS0_19identity_decomposerENS1_16block_id_wrapperIjLb1EEEEE10hipError_tT1_PNSt15iterator_traitsISK_E10value_typeET2_T3_PNSL_ISQ_E10value_typeET4_T5_PSV_SW_PNS1_23onesweep_lookback_stateEbbT6_jjT7_P12ihipStream_tbENKUlT_T0_SK_SP_E_clISE_SE_SF_SF_EEDaS13_S14_SK_SP_EUlS13_E_NS1_11comp_targetILNS1_3genE10ELNS1_11target_archE1201ELNS1_3gpuE5ELNS1_3repE0EEENS1_47radix_sort_onesweep_sort_config_static_selectorELNS0_4arch9wavefront6targetE1EEEvSK_ ; -- Begin function _ZN7rocprim17ROCPRIM_400000_NS6detail17trampoline_kernelINS0_14default_configENS1_35radix_sort_onesweep_config_selectorItNS0_10empty_typeEEEZZNS1_29radix_sort_onesweep_iterationIS3_Lb0EN6thrust23THRUST_200600_302600_NS6detail15normal_iteratorINS9_10device_ptrItEEEESE_PS5_SF_jNS0_19identity_decomposerENS1_16block_id_wrapperIjLb1EEEEE10hipError_tT1_PNSt15iterator_traitsISK_E10value_typeET2_T3_PNSL_ISQ_E10value_typeET4_T5_PSV_SW_PNS1_23onesweep_lookback_stateEbbT6_jjT7_P12ihipStream_tbENKUlT_T0_SK_SP_E_clISE_SE_SF_SF_EEDaS13_S14_SK_SP_EUlS13_E_NS1_11comp_targetILNS1_3genE10ELNS1_11target_archE1201ELNS1_3gpuE5ELNS1_3repE0EEENS1_47radix_sort_onesweep_sort_config_static_selectorELNS0_4arch9wavefront6targetE1EEEvSK_
	.globl	_ZN7rocprim17ROCPRIM_400000_NS6detail17trampoline_kernelINS0_14default_configENS1_35radix_sort_onesweep_config_selectorItNS0_10empty_typeEEEZZNS1_29radix_sort_onesweep_iterationIS3_Lb0EN6thrust23THRUST_200600_302600_NS6detail15normal_iteratorINS9_10device_ptrItEEEESE_PS5_SF_jNS0_19identity_decomposerENS1_16block_id_wrapperIjLb1EEEEE10hipError_tT1_PNSt15iterator_traitsISK_E10value_typeET2_T3_PNSL_ISQ_E10value_typeET4_T5_PSV_SW_PNS1_23onesweep_lookback_stateEbbT6_jjT7_P12ihipStream_tbENKUlT_T0_SK_SP_E_clISE_SE_SF_SF_EEDaS13_S14_SK_SP_EUlS13_E_NS1_11comp_targetILNS1_3genE10ELNS1_11target_archE1201ELNS1_3gpuE5ELNS1_3repE0EEENS1_47radix_sort_onesweep_sort_config_static_selectorELNS0_4arch9wavefront6targetE1EEEvSK_
	.p2align	8
	.type	_ZN7rocprim17ROCPRIM_400000_NS6detail17trampoline_kernelINS0_14default_configENS1_35radix_sort_onesweep_config_selectorItNS0_10empty_typeEEEZZNS1_29radix_sort_onesweep_iterationIS3_Lb0EN6thrust23THRUST_200600_302600_NS6detail15normal_iteratorINS9_10device_ptrItEEEESE_PS5_SF_jNS0_19identity_decomposerENS1_16block_id_wrapperIjLb1EEEEE10hipError_tT1_PNSt15iterator_traitsISK_E10value_typeET2_T3_PNSL_ISQ_E10value_typeET4_T5_PSV_SW_PNS1_23onesweep_lookback_stateEbbT6_jjT7_P12ihipStream_tbENKUlT_T0_SK_SP_E_clISE_SE_SF_SF_EEDaS13_S14_SK_SP_EUlS13_E_NS1_11comp_targetILNS1_3genE10ELNS1_11target_archE1201ELNS1_3gpuE5ELNS1_3repE0EEENS1_47radix_sort_onesweep_sort_config_static_selectorELNS0_4arch9wavefront6targetE1EEEvSK_,@function
_ZN7rocprim17ROCPRIM_400000_NS6detail17trampoline_kernelINS0_14default_configENS1_35radix_sort_onesweep_config_selectorItNS0_10empty_typeEEEZZNS1_29radix_sort_onesweep_iterationIS3_Lb0EN6thrust23THRUST_200600_302600_NS6detail15normal_iteratorINS9_10device_ptrItEEEESE_PS5_SF_jNS0_19identity_decomposerENS1_16block_id_wrapperIjLb1EEEEE10hipError_tT1_PNSt15iterator_traitsISK_E10value_typeET2_T3_PNSL_ISQ_E10value_typeET4_T5_PSV_SW_PNS1_23onesweep_lookback_stateEbbT6_jjT7_P12ihipStream_tbENKUlT_T0_SK_SP_E_clISE_SE_SF_SF_EEDaS13_S14_SK_SP_EUlS13_E_NS1_11comp_targetILNS1_3genE10ELNS1_11target_archE1201ELNS1_3gpuE5ELNS1_3repE0EEENS1_47radix_sort_onesweep_sort_config_static_selectorELNS0_4arch9wavefront6targetE1EEEvSK_: ; @_ZN7rocprim17ROCPRIM_400000_NS6detail17trampoline_kernelINS0_14default_configENS1_35radix_sort_onesweep_config_selectorItNS0_10empty_typeEEEZZNS1_29radix_sort_onesweep_iterationIS3_Lb0EN6thrust23THRUST_200600_302600_NS6detail15normal_iteratorINS9_10device_ptrItEEEESE_PS5_SF_jNS0_19identity_decomposerENS1_16block_id_wrapperIjLb1EEEEE10hipError_tT1_PNSt15iterator_traitsISK_E10value_typeET2_T3_PNSL_ISQ_E10value_typeET4_T5_PSV_SW_PNS1_23onesweep_lookback_stateEbbT6_jjT7_P12ihipStream_tbENKUlT_T0_SK_SP_E_clISE_SE_SF_SF_EEDaS13_S14_SK_SP_EUlS13_E_NS1_11comp_targetILNS1_3genE10ELNS1_11target_archE1201ELNS1_3gpuE5ELNS1_3repE0EEENS1_47radix_sort_onesweep_sort_config_static_selectorELNS0_4arch9wavefront6targetE1EEEvSK_
; %bb.0:
	.section	.rodata,"a",@progbits
	.p2align	6, 0x0
	.amdhsa_kernel _ZN7rocprim17ROCPRIM_400000_NS6detail17trampoline_kernelINS0_14default_configENS1_35radix_sort_onesweep_config_selectorItNS0_10empty_typeEEEZZNS1_29radix_sort_onesweep_iterationIS3_Lb0EN6thrust23THRUST_200600_302600_NS6detail15normal_iteratorINS9_10device_ptrItEEEESE_PS5_SF_jNS0_19identity_decomposerENS1_16block_id_wrapperIjLb1EEEEE10hipError_tT1_PNSt15iterator_traitsISK_E10value_typeET2_T3_PNSL_ISQ_E10value_typeET4_T5_PSV_SW_PNS1_23onesweep_lookback_stateEbbT6_jjT7_P12ihipStream_tbENKUlT_T0_SK_SP_E_clISE_SE_SF_SF_EEDaS13_S14_SK_SP_EUlS13_E_NS1_11comp_targetILNS1_3genE10ELNS1_11target_archE1201ELNS1_3gpuE5ELNS1_3repE0EEENS1_47radix_sort_onesweep_sort_config_static_selectorELNS0_4arch9wavefront6targetE1EEEvSK_
		.amdhsa_group_segment_fixed_size 0
		.amdhsa_private_segment_fixed_size 0
		.amdhsa_kernarg_size 88
		.amdhsa_user_sgpr_count 2
		.amdhsa_user_sgpr_dispatch_ptr 0
		.amdhsa_user_sgpr_queue_ptr 0
		.amdhsa_user_sgpr_kernarg_segment_ptr 1
		.amdhsa_user_sgpr_dispatch_id 0
		.amdhsa_user_sgpr_kernarg_preload_length 0
		.amdhsa_user_sgpr_kernarg_preload_offset 0
		.amdhsa_user_sgpr_private_segment_size 0
		.amdhsa_uses_dynamic_stack 0
		.amdhsa_enable_private_segment 0
		.amdhsa_system_sgpr_workgroup_id_x 1
		.amdhsa_system_sgpr_workgroup_id_y 0
		.amdhsa_system_sgpr_workgroup_id_z 0
		.amdhsa_system_sgpr_workgroup_info 0
		.amdhsa_system_vgpr_workitem_id 0
		.amdhsa_next_free_vgpr 1
		.amdhsa_next_free_sgpr 0
		.amdhsa_accum_offset 4
		.amdhsa_reserve_vcc 0
		.amdhsa_float_round_mode_32 0
		.amdhsa_float_round_mode_16_64 0
		.amdhsa_float_denorm_mode_32 3
		.amdhsa_float_denorm_mode_16_64 3
		.amdhsa_dx10_clamp 1
		.amdhsa_ieee_mode 1
		.amdhsa_fp16_overflow 0
		.amdhsa_tg_split 0
		.amdhsa_exception_fp_ieee_invalid_op 0
		.amdhsa_exception_fp_denorm_src 0
		.amdhsa_exception_fp_ieee_div_zero 0
		.amdhsa_exception_fp_ieee_overflow 0
		.amdhsa_exception_fp_ieee_underflow 0
		.amdhsa_exception_fp_ieee_inexact 0
		.amdhsa_exception_int_div_zero 0
	.end_amdhsa_kernel
	.section	.text._ZN7rocprim17ROCPRIM_400000_NS6detail17trampoline_kernelINS0_14default_configENS1_35radix_sort_onesweep_config_selectorItNS0_10empty_typeEEEZZNS1_29radix_sort_onesweep_iterationIS3_Lb0EN6thrust23THRUST_200600_302600_NS6detail15normal_iteratorINS9_10device_ptrItEEEESE_PS5_SF_jNS0_19identity_decomposerENS1_16block_id_wrapperIjLb1EEEEE10hipError_tT1_PNSt15iterator_traitsISK_E10value_typeET2_T3_PNSL_ISQ_E10value_typeET4_T5_PSV_SW_PNS1_23onesweep_lookback_stateEbbT6_jjT7_P12ihipStream_tbENKUlT_T0_SK_SP_E_clISE_SE_SF_SF_EEDaS13_S14_SK_SP_EUlS13_E_NS1_11comp_targetILNS1_3genE10ELNS1_11target_archE1201ELNS1_3gpuE5ELNS1_3repE0EEENS1_47radix_sort_onesweep_sort_config_static_selectorELNS0_4arch9wavefront6targetE1EEEvSK_,"axG",@progbits,_ZN7rocprim17ROCPRIM_400000_NS6detail17trampoline_kernelINS0_14default_configENS1_35radix_sort_onesweep_config_selectorItNS0_10empty_typeEEEZZNS1_29radix_sort_onesweep_iterationIS3_Lb0EN6thrust23THRUST_200600_302600_NS6detail15normal_iteratorINS9_10device_ptrItEEEESE_PS5_SF_jNS0_19identity_decomposerENS1_16block_id_wrapperIjLb1EEEEE10hipError_tT1_PNSt15iterator_traitsISK_E10value_typeET2_T3_PNSL_ISQ_E10value_typeET4_T5_PSV_SW_PNS1_23onesweep_lookback_stateEbbT6_jjT7_P12ihipStream_tbENKUlT_T0_SK_SP_E_clISE_SE_SF_SF_EEDaS13_S14_SK_SP_EUlS13_E_NS1_11comp_targetILNS1_3genE10ELNS1_11target_archE1201ELNS1_3gpuE5ELNS1_3repE0EEENS1_47radix_sort_onesweep_sort_config_static_selectorELNS0_4arch9wavefront6targetE1EEEvSK_,comdat
.Lfunc_end1344:
	.size	_ZN7rocprim17ROCPRIM_400000_NS6detail17trampoline_kernelINS0_14default_configENS1_35radix_sort_onesweep_config_selectorItNS0_10empty_typeEEEZZNS1_29radix_sort_onesweep_iterationIS3_Lb0EN6thrust23THRUST_200600_302600_NS6detail15normal_iteratorINS9_10device_ptrItEEEESE_PS5_SF_jNS0_19identity_decomposerENS1_16block_id_wrapperIjLb1EEEEE10hipError_tT1_PNSt15iterator_traitsISK_E10value_typeET2_T3_PNSL_ISQ_E10value_typeET4_T5_PSV_SW_PNS1_23onesweep_lookback_stateEbbT6_jjT7_P12ihipStream_tbENKUlT_T0_SK_SP_E_clISE_SE_SF_SF_EEDaS13_S14_SK_SP_EUlS13_E_NS1_11comp_targetILNS1_3genE10ELNS1_11target_archE1201ELNS1_3gpuE5ELNS1_3repE0EEENS1_47radix_sort_onesweep_sort_config_static_selectorELNS0_4arch9wavefront6targetE1EEEvSK_, .Lfunc_end1344-_ZN7rocprim17ROCPRIM_400000_NS6detail17trampoline_kernelINS0_14default_configENS1_35radix_sort_onesweep_config_selectorItNS0_10empty_typeEEEZZNS1_29radix_sort_onesweep_iterationIS3_Lb0EN6thrust23THRUST_200600_302600_NS6detail15normal_iteratorINS9_10device_ptrItEEEESE_PS5_SF_jNS0_19identity_decomposerENS1_16block_id_wrapperIjLb1EEEEE10hipError_tT1_PNSt15iterator_traitsISK_E10value_typeET2_T3_PNSL_ISQ_E10value_typeET4_T5_PSV_SW_PNS1_23onesweep_lookback_stateEbbT6_jjT7_P12ihipStream_tbENKUlT_T0_SK_SP_E_clISE_SE_SF_SF_EEDaS13_S14_SK_SP_EUlS13_E_NS1_11comp_targetILNS1_3genE10ELNS1_11target_archE1201ELNS1_3gpuE5ELNS1_3repE0EEENS1_47radix_sort_onesweep_sort_config_static_selectorELNS0_4arch9wavefront6targetE1EEEvSK_
                                        ; -- End function
	.section	.AMDGPU.csdata,"",@progbits
; Kernel info:
; codeLenInByte = 0
; NumSgprs: 6
; NumVgprs: 0
; NumAgprs: 0
; TotalNumVgprs: 0
; ScratchSize: 0
; MemoryBound: 0
; FloatMode: 240
; IeeeMode: 1
; LDSByteSize: 0 bytes/workgroup (compile time only)
; SGPRBlocks: 0
; VGPRBlocks: 0
; NumSGPRsForWavesPerEU: 6
; NumVGPRsForWavesPerEU: 1
; AccumOffset: 4
; Occupancy: 8
; WaveLimiterHint : 0
; COMPUTE_PGM_RSRC2:SCRATCH_EN: 0
; COMPUTE_PGM_RSRC2:USER_SGPR: 2
; COMPUTE_PGM_RSRC2:TRAP_HANDLER: 0
; COMPUTE_PGM_RSRC2:TGID_X_EN: 1
; COMPUTE_PGM_RSRC2:TGID_Y_EN: 0
; COMPUTE_PGM_RSRC2:TGID_Z_EN: 0
; COMPUTE_PGM_RSRC2:TIDIG_COMP_CNT: 0
; COMPUTE_PGM_RSRC3_GFX90A:ACCUM_OFFSET: 0
; COMPUTE_PGM_RSRC3_GFX90A:TG_SPLIT: 0
	.section	.text._ZN7rocprim17ROCPRIM_400000_NS6detail17trampoline_kernelINS0_14default_configENS1_35radix_sort_onesweep_config_selectorItNS0_10empty_typeEEEZZNS1_29radix_sort_onesweep_iterationIS3_Lb0EN6thrust23THRUST_200600_302600_NS6detail15normal_iteratorINS9_10device_ptrItEEEESE_PS5_SF_jNS0_19identity_decomposerENS1_16block_id_wrapperIjLb1EEEEE10hipError_tT1_PNSt15iterator_traitsISK_E10value_typeET2_T3_PNSL_ISQ_E10value_typeET4_T5_PSV_SW_PNS1_23onesweep_lookback_stateEbbT6_jjT7_P12ihipStream_tbENKUlT_T0_SK_SP_E_clISE_SE_SF_SF_EEDaS13_S14_SK_SP_EUlS13_E_NS1_11comp_targetILNS1_3genE9ELNS1_11target_archE1100ELNS1_3gpuE3ELNS1_3repE0EEENS1_47radix_sort_onesweep_sort_config_static_selectorELNS0_4arch9wavefront6targetE1EEEvSK_,"axG",@progbits,_ZN7rocprim17ROCPRIM_400000_NS6detail17trampoline_kernelINS0_14default_configENS1_35radix_sort_onesweep_config_selectorItNS0_10empty_typeEEEZZNS1_29radix_sort_onesweep_iterationIS3_Lb0EN6thrust23THRUST_200600_302600_NS6detail15normal_iteratorINS9_10device_ptrItEEEESE_PS5_SF_jNS0_19identity_decomposerENS1_16block_id_wrapperIjLb1EEEEE10hipError_tT1_PNSt15iterator_traitsISK_E10value_typeET2_T3_PNSL_ISQ_E10value_typeET4_T5_PSV_SW_PNS1_23onesweep_lookback_stateEbbT6_jjT7_P12ihipStream_tbENKUlT_T0_SK_SP_E_clISE_SE_SF_SF_EEDaS13_S14_SK_SP_EUlS13_E_NS1_11comp_targetILNS1_3genE9ELNS1_11target_archE1100ELNS1_3gpuE3ELNS1_3repE0EEENS1_47radix_sort_onesweep_sort_config_static_selectorELNS0_4arch9wavefront6targetE1EEEvSK_,comdat
	.protected	_ZN7rocprim17ROCPRIM_400000_NS6detail17trampoline_kernelINS0_14default_configENS1_35radix_sort_onesweep_config_selectorItNS0_10empty_typeEEEZZNS1_29radix_sort_onesweep_iterationIS3_Lb0EN6thrust23THRUST_200600_302600_NS6detail15normal_iteratorINS9_10device_ptrItEEEESE_PS5_SF_jNS0_19identity_decomposerENS1_16block_id_wrapperIjLb1EEEEE10hipError_tT1_PNSt15iterator_traitsISK_E10value_typeET2_T3_PNSL_ISQ_E10value_typeET4_T5_PSV_SW_PNS1_23onesweep_lookback_stateEbbT6_jjT7_P12ihipStream_tbENKUlT_T0_SK_SP_E_clISE_SE_SF_SF_EEDaS13_S14_SK_SP_EUlS13_E_NS1_11comp_targetILNS1_3genE9ELNS1_11target_archE1100ELNS1_3gpuE3ELNS1_3repE0EEENS1_47radix_sort_onesweep_sort_config_static_selectorELNS0_4arch9wavefront6targetE1EEEvSK_ ; -- Begin function _ZN7rocprim17ROCPRIM_400000_NS6detail17trampoline_kernelINS0_14default_configENS1_35radix_sort_onesweep_config_selectorItNS0_10empty_typeEEEZZNS1_29radix_sort_onesweep_iterationIS3_Lb0EN6thrust23THRUST_200600_302600_NS6detail15normal_iteratorINS9_10device_ptrItEEEESE_PS5_SF_jNS0_19identity_decomposerENS1_16block_id_wrapperIjLb1EEEEE10hipError_tT1_PNSt15iterator_traitsISK_E10value_typeET2_T3_PNSL_ISQ_E10value_typeET4_T5_PSV_SW_PNS1_23onesweep_lookback_stateEbbT6_jjT7_P12ihipStream_tbENKUlT_T0_SK_SP_E_clISE_SE_SF_SF_EEDaS13_S14_SK_SP_EUlS13_E_NS1_11comp_targetILNS1_3genE9ELNS1_11target_archE1100ELNS1_3gpuE3ELNS1_3repE0EEENS1_47radix_sort_onesweep_sort_config_static_selectorELNS0_4arch9wavefront6targetE1EEEvSK_
	.globl	_ZN7rocprim17ROCPRIM_400000_NS6detail17trampoline_kernelINS0_14default_configENS1_35radix_sort_onesweep_config_selectorItNS0_10empty_typeEEEZZNS1_29radix_sort_onesweep_iterationIS3_Lb0EN6thrust23THRUST_200600_302600_NS6detail15normal_iteratorINS9_10device_ptrItEEEESE_PS5_SF_jNS0_19identity_decomposerENS1_16block_id_wrapperIjLb1EEEEE10hipError_tT1_PNSt15iterator_traitsISK_E10value_typeET2_T3_PNSL_ISQ_E10value_typeET4_T5_PSV_SW_PNS1_23onesweep_lookback_stateEbbT6_jjT7_P12ihipStream_tbENKUlT_T0_SK_SP_E_clISE_SE_SF_SF_EEDaS13_S14_SK_SP_EUlS13_E_NS1_11comp_targetILNS1_3genE9ELNS1_11target_archE1100ELNS1_3gpuE3ELNS1_3repE0EEENS1_47radix_sort_onesweep_sort_config_static_selectorELNS0_4arch9wavefront6targetE1EEEvSK_
	.p2align	8
	.type	_ZN7rocprim17ROCPRIM_400000_NS6detail17trampoline_kernelINS0_14default_configENS1_35radix_sort_onesweep_config_selectorItNS0_10empty_typeEEEZZNS1_29radix_sort_onesweep_iterationIS3_Lb0EN6thrust23THRUST_200600_302600_NS6detail15normal_iteratorINS9_10device_ptrItEEEESE_PS5_SF_jNS0_19identity_decomposerENS1_16block_id_wrapperIjLb1EEEEE10hipError_tT1_PNSt15iterator_traitsISK_E10value_typeET2_T3_PNSL_ISQ_E10value_typeET4_T5_PSV_SW_PNS1_23onesweep_lookback_stateEbbT6_jjT7_P12ihipStream_tbENKUlT_T0_SK_SP_E_clISE_SE_SF_SF_EEDaS13_S14_SK_SP_EUlS13_E_NS1_11comp_targetILNS1_3genE9ELNS1_11target_archE1100ELNS1_3gpuE3ELNS1_3repE0EEENS1_47radix_sort_onesweep_sort_config_static_selectorELNS0_4arch9wavefront6targetE1EEEvSK_,@function
_ZN7rocprim17ROCPRIM_400000_NS6detail17trampoline_kernelINS0_14default_configENS1_35radix_sort_onesweep_config_selectorItNS0_10empty_typeEEEZZNS1_29radix_sort_onesweep_iterationIS3_Lb0EN6thrust23THRUST_200600_302600_NS6detail15normal_iteratorINS9_10device_ptrItEEEESE_PS5_SF_jNS0_19identity_decomposerENS1_16block_id_wrapperIjLb1EEEEE10hipError_tT1_PNSt15iterator_traitsISK_E10value_typeET2_T3_PNSL_ISQ_E10value_typeET4_T5_PSV_SW_PNS1_23onesweep_lookback_stateEbbT6_jjT7_P12ihipStream_tbENKUlT_T0_SK_SP_E_clISE_SE_SF_SF_EEDaS13_S14_SK_SP_EUlS13_E_NS1_11comp_targetILNS1_3genE9ELNS1_11target_archE1100ELNS1_3gpuE3ELNS1_3repE0EEENS1_47radix_sort_onesweep_sort_config_static_selectorELNS0_4arch9wavefront6targetE1EEEvSK_: ; @_ZN7rocprim17ROCPRIM_400000_NS6detail17trampoline_kernelINS0_14default_configENS1_35radix_sort_onesweep_config_selectorItNS0_10empty_typeEEEZZNS1_29radix_sort_onesweep_iterationIS3_Lb0EN6thrust23THRUST_200600_302600_NS6detail15normal_iteratorINS9_10device_ptrItEEEESE_PS5_SF_jNS0_19identity_decomposerENS1_16block_id_wrapperIjLb1EEEEE10hipError_tT1_PNSt15iterator_traitsISK_E10value_typeET2_T3_PNSL_ISQ_E10value_typeET4_T5_PSV_SW_PNS1_23onesweep_lookback_stateEbbT6_jjT7_P12ihipStream_tbENKUlT_T0_SK_SP_E_clISE_SE_SF_SF_EEDaS13_S14_SK_SP_EUlS13_E_NS1_11comp_targetILNS1_3genE9ELNS1_11target_archE1100ELNS1_3gpuE3ELNS1_3repE0EEENS1_47radix_sort_onesweep_sort_config_static_selectorELNS0_4arch9wavefront6targetE1EEEvSK_
; %bb.0:
	.section	.rodata,"a",@progbits
	.p2align	6, 0x0
	.amdhsa_kernel _ZN7rocprim17ROCPRIM_400000_NS6detail17trampoline_kernelINS0_14default_configENS1_35radix_sort_onesweep_config_selectorItNS0_10empty_typeEEEZZNS1_29radix_sort_onesweep_iterationIS3_Lb0EN6thrust23THRUST_200600_302600_NS6detail15normal_iteratorINS9_10device_ptrItEEEESE_PS5_SF_jNS0_19identity_decomposerENS1_16block_id_wrapperIjLb1EEEEE10hipError_tT1_PNSt15iterator_traitsISK_E10value_typeET2_T3_PNSL_ISQ_E10value_typeET4_T5_PSV_SW_PNS1_23onesweep_lookback_stateEbbT6_jjT7_P12ihipStream_tbENKUlT_T0_SK_SP_E_clISE_SE_SF_SF_EEDaS13_S14_SK_SP_EUlS13_E_NS1_11comp_targetILNS1_3genE9ELNS1_11target_archE1100ELNS1_3gpuE3ELNS1_3repE0EEENS1_47radix_sort_onesweep_sort_config_static_selectorELNS0_4arch9wavefront6targetE1EEEvSK_
		.amdhsa_group_segment_fixed_size 0
		.amdhsa_private_segment_fixed_size 0
		.amdhsa_kernarg_size 88
		.amdhsa_user_sgpr_count 2
		.amdhsa_user_sgpr_dispatch_ptr 0
		.amdhsa_user_sgpr_queue_ptr 0
		.amdhsa_user_sgpr_kernarg_segment_ptr 1
		.amdhsa_user_sgpr_dispatch_id 0
		.amdhsa_user_sgpr_kernarg_preload_length 0
		.amdhsa_user_sgpr_kernarg_preload_offset 0
		.amdhsa_user_sgpr_private_segment_size 0
		.amdhsa_uses_dynamic_stack 0
		.amdhsa_enable_private_segment 0
		.amdhsa_system_sgpr_workgroup_id_x 1
		.amdhsa_system_sgpr_workgroup_id_y 0
		.amdhsa_system_sgpr_workgroup_id_z 0
		.amdhsa_system_sgpr_workgroup_info 0
		.amdhsa_system_vgpr_workitem_id 0
		.amdhsa_next_free_vgpr 1
		.amdhsa_next_free_sgpr 0
		.amdhsa_accum_offset 4
		.amdhsa_reserve_vcc 0
		.amdhsa_float_round_mode_32 0
		.amdhsa_float_round_mode_16_64 0
		.amdhsa_float_denorm_mode_32 3
		.amdhsa_float_denorm_mode_16_64 3
		.amdhsa_dx10_clamp 1
		.amdhsa_ieee_mode 1
		.amdhsa_fp16_overflow 0
		.amdhsa_tg_split 0
		.amdhsa_exception_fp_ieee_invalid_op 0
		.amdhsa_exception_fp_denorm_src 0
		.amdhsa_exception_fp_ieee_div_zero 0
		.amdhsa_exception_fp_ieee_overflow 0
		.amdhsa_exception_fp_ieee_underflow 0
		.amdhsa_exception_fp_ieee_inexact 0
		.amdhsa_exception_int_div_zero 0
	.end_amdhsa_kernel
	.section	.text._ZN7rocprim17ROCPRIM_400000_NS6detail17trampoline_kernelINS0_14default_configENS1_35radix_sort_onesweep_config_selectorItNS0_10empty_typeEEEZZNS1_29radix_sort_onesweep_iterationIS3_Lb0EN6thrust23THRUST_200600_302600_NS6detail15normal_iteratorINS9_10device_ptrItEEEESE_PS5_SF_jNS0_19identity_decomposerENS1_16block_id_wrapperIjLb1EEEEE10hipError_tT1_PNSt15iterator_traitsISK_E10value_typeET2_T3_PNSL_ISQ_E10value_typeET4_T5_PSV_SW_PNS1_23onesweep_lookback_stateEbbT6_jjT7_P12ihipStream_tbENKUlT_T0_SK_SP_E_clISE_SE_SF_SF_EEDaS13_S14_SK_SP_EUlS13_E_NS1_11comp_targetILNS1_3genE9ELNS1_11target_archE1100ELNS1_3gpuE3ELNS1_3repE0EEENS1_47radix_sort_onesweep_sort_config_static_selectorELNS0_4arch9wavefront6targetE1EEEvSK_,"axG",@progbits,_ZN7rocprim17ROCPRIM_400000_NS6detail17trampoline_kernelINS0_14default_configENS1_35radix_sort_onesweep_config_selectorItNS0_10empty_typeEEEZZNS1_29radix_sort_onesweep_iterationIS3_Lb0EN6thrust23THRUST_200600_302600_NS6detail15normal_iteratorINS9_10device_ptrItEEEESE_PS5_SF_jNS0_19identity_decomposerENS1_16block_id_wrapperIjLb1EEEEE10hipError_tT1_PNSt15iterator_traitsISK_E10value_typeET2_T3_PNSL_ISQ_E10value_typeET4_T5_PSV_SW_PNS1_23onesweep_lookback_stateEbbT6_jjT7_P12ihipStream_tbENKUlT_T0_SK_SP_E_clISE_SE_SF_SF_EEDaS13_S14_SK_SP_EUlS13_E_NS1_11comp_targetILNS1_3genE9ELNS1_11target_archE1100ELNS1_3gpuE3ELNS1_3repE0EEENS1_47radix_sort_onesweep_sort_config_static_selectorELNS0_4arch9wavefront6targetE1EEEvSK_,comdat
.Lfunc_end1345:
	.size	_ZN7rocprim17ROCPRIM_400000_NS6detail17trampoline_kernelINS0_14default_configENS1_35radix_sort_onesweep_config_selectorItNS0_10empty_typeEEEZZNS1_29radix_sort_onesweep_iterationIS3_Lb0EN6thrust23THRUST_200600_302600_NS6detail15normal_iteratorINS9_10device_ptrItEEEESE_PS5_SF_jNS0_19identity_decomposerENS1_16block_id_wrapperIjLb1EEEEE10hipError_tT1_PNSt15iterator_traitsISK_E10value_typeET2_T3_PNSL_ISQ_E10value_typeET4_T5_PSV_SW_PNS1_23onesweep_lookback_stateEbbT6_jjT7_P12ihipStream_tbENKUlT_T0_SK_SP_E_clISE_SE_SF_SF_EEDaS13_S14_SK_SP_EUlS13_E_NS1_11comp_targetILNS1_3genE9ELNS1_11target_archE1100ELNS1_3gpuE3ELNS1_3repE0EEENS1_47radix_sort_onesweep_sort_config_static_selectorELNS0_4arch9wavefront6targetE1EEEvSK_, .Lfunc_end1345-_ZN7rocprim17ROCPRIM_400000_NS6detail17trampoline_kernelINS0_14default_configENS1_35radix_sort_onesweep_config_selectorItNS0_10empty_typeEEEZZNS1_29radix_sort_onesweep_iterationIS3_Lb0EN6thrust23THRUST_200600_302600_NS6detail15normal_iteratorINS9_10device_ptrItEEEESE_PS5_SF_jNS0_19identity_decomposerENS1_16block_id_wrapperIjLb1EEEEE10hipError_tT1_PNSt15iterator_traitsISK_E10value_typeET2_T3_PNSL_ISQ_E10value_typeET4_T5_PSV_SW_PNS1_23onesweep_lookback_stateEbbT6_jjT7_P12ihipStream_tbENKUlT_T0_SK_SP_E_clISE_SE_SF_SF_EEDaS13_S14_SK_SP_EUlS13_E_NS1_11comp_targetILNS1_3genE9ELNS1_11target_archE1100ELNS1_3gpuE3ELNS1_3repE0EEENS1_47radix_sort_onesweep_sort_config_static_selectorELNS0_4arch9wavefront6targetE1EEEvSK_
                                        ; -- End function
	.section	.AMDGPU.csdata,"",@progbits
; Kernel info:
; codeLenInByte = 0
; NumSgprs: 6
; NumVgprs: 0
; NumAgprs: 0
; TotalNumVgprs: 0
; ScratchSize: 0
; MemoryBound: 0
; FloatMode: 240
; IeeeMode: 1
; LDSByteSize: 0 bytes/workgroup (compile time only)
; SGPRBlocks: 0
; VGPRBlocks: 0
; NumSGPRsForWavesPerEU: 6
; NumVGPRsForWavesPerEU: 1
; AccumOffset: 4
; Occupancy: 8
; WaveLimiterHint : 0
; COMPUTE_PGM_RSRC2:SCRATCH_EN: 0
; COMPUTE_PGM_RSRC2:USER_SGPR: 2
; COMPUTE_PGM_RSRC2:TRAP_HANDLER: 0
; COMPUTE_PGM_RSRC2:TGID_X_EN: 1
; COMPUTE_PGM_RSRC2:TGID_Y_EN: 0
; COMPUTE_PGM_RSRC2:TGID_Z_EN: 0
; COMPUTE_PGM_RSRC2:TIDIG_COMP_CNT: 0
; COMPUTE_PGM_RSRC3_GFX90A:ACCUM_OFFSET: 0
; COMPUTE_PGM_RSRC3_GFX90A:TG_SPLIT: 0
	.section	.text._ZN7rocprim17ROCPRIM_400000_NS6detail17trampoline_kernelINS0_14default_configENS1_35radix_sort_onesweep_config_selectorItNS0_10empty_typeEEEZZNS1_29radix_sort_onesweep_iterationIS3_Lb0EN6thrust23THRUST_200600_302600_NS6detail15normal_iteratorINS9_10device_ptrItEEEESE_PS5_SF_jNS0_19identity_decomposerENS1_16block_id_wrapperIjLb1EEEEE10hipError_tT1_PNSt15iterator_traitsISK_E10value_typeET2_T3_PNSL_ISQ_E10value_typeET4_T5_PSV_SW_PNS1_23onesweep_lookback_stateEbbT6_jjT7_P12ihipStream_tbENKUlT_T0_SK_SP_E_clISE_SE_SF_SF_EEDaS13_S14_SK_SP_EUlS13_E_NS1_11comp_targetILNS1_3genE8ELNS1_11target_archE1030ELNS1_3gpuE2ELNS1_3repE0EEENS1_47radix_sort_onesweep_sort_config_static_selectorELNS0_4arch9wavefront6targetE1EEEvSK_,"axG",@progbits,_ZN7rocprim17ROCPRIM_400000_NS6detail17trampoline_kernelINS0_14default_configENS1_35radix_sort_onesweep_config_selectorItNS0_10empty_typeEEEZZNS1_29radix_sort_onesweep_iterationIS3_Lb0EN6thrust23THRUST_200600_302600_NS6detail15normal_iteratorINS9_10device_ptrItEEEESE_PS5_SF_jNS0_19identity_decomposerENS1_16block_id_wrapperIjLb1EEEEE10hipError_tT1_PNSt15iterator_traitsISK_E10value_typeET2_T3_PNSL_ISQ_E10value_typeET4_T5_PSV_SW_PNS1_23onesweep_lookback_stateEbbT6_jjT7_P12ihipStream_tbENKUlT_T0_SK_SP_E_clISE_SE_SF_SF_EEDaS13_S14_SK_SP_EUlS13_E_NS1_11comp_targetILNS1_3genE8ELNS1_11target_archE1030ELNS1_3gpuE2ELNS1_3repE0EEENS1_47radix_sort_onesweep_sort_config_static_selectorELNS0_4arch9wavefront6targetE1EEEvSK_,comdat
	.protected	_ZN7rocprim17ROCPRIM_400000_NS6detail17trampoline_kernelINS0_14default_configENS1_35radix_sort_onesweep_config_selectorItNS0_10empty_typeEEEZZNS1_29radix_sort_onesweep_iterationIS3_Lb0EN6thrust23THRUST_200600_302600_NS6detail15normal_iteratorINS9_10device_ptrItEEEESE_PS5_SF_jNS0_19identity_decomposerENS1_16block_id_wrapperIjLb1EEEEE10hipError_tT1_PNSt15iterator_traitsISK_E10value_typeET2_T3_PNSL_ISQ_E10value_typeET4_T5_PSV_SW_PNS1_23onesweep_lookback_stateEbbT6_jjT7_P12ihipStream_tbENKUlT_T0_SK_SP_E_clISE_SE_SF_SF_EEDaS13_S14_SK_SP_EUlS13_E_NS1_11comp_targetILNS1_3genE8ELNS1_11target_archE1030ELNS1_3gpuE2ELNS1_3repE0EEENS1_47radix_sort_onesweep_sort_config_static_selectorELNS0_4arch9wavefront6targetE1EEEvSK_ ; -- Begin function _ZN7rocprim17ROCPRIM_400000_NS6detail17trampoline_kernelINS0_14default_configENS1_35radix_sort_onesweep_config_selectorItNS0_10empty_typeEEEZZNS1_29radix_sort_onesweep_iterationIS3_Lb0EN6thrust23THRUST_200600_302600_NS6detail15normal_iteratorINS9_10device_ptrItEEEESE_PS5_SF_jNS0_19identity_decomposerENS1_16block_id_wrapperIjLb1EEEEE10hipError_tT1_PNSt15iterator_traitsISK_E10value_typeET2_T3_PNSL_ISQ_E10value_typeET4_T5_PSV_SW_PNS1_23onesweep_lookback_stateEbbT6_jjT7_P12ihipStream_tbENKUlT_T0_SK_SP_E_clISE_SE_SF_SF_EEDaS13_S14_SK_SP_EUlS13_E_NS1_11comp_targetILNS1_3genE8ELNS1_11target_archE1030ELNS1_3gpuE2ELNS1_3repE0EEENS1_47radix_sort_onesweep_sort_config_static_selectorELNS0_4arch9wavefront6targetE1EEEvSK_
	.globl	_ZN7rocprim17ROCPRIM_400000_NS6detail17trampoline_kernelINS0_14default_configENS1_35radix_sort_onesweep_config_selectorItNS0_10empty_typeEEEZZNS1_29radix_sort_onesweep_iterationIS3_Lb0EN6thrust23THRUST_200600_302600_NS6detail15normal_iteratorINS9_10device_ptrItEEEESE_PS5_SF_jNS0_19identity_decomposerENS1_16block_id_wrapperIjLb1EEEEE10hipError_tT1_PNSt15iterator_traitsISK_E10value_typeET2_T3_PNSL_ISQ_E10value_typeET4_T5_PSV_SW_PNS1_23onesweep_lookback_stateEbbT6_jjT7_P12ihipStream_tbENKUlT_T0_SK_SP_E_clISE_SE_SF_SF_EEDaS13_S14_SK_SP_EUlS13_E_NS1_11comp_targetILNS1_3genE8ELNS1_11target_archE1030ELNS1_3gpuE2ELNS1_3repE0EEENS1_47radix_sort_onesweep_sort_config_static_selectorELNS0_4arch9wavefront6targetE1EEEvSK_
	.p2align	8
	.type	_ZN7rocprim17ROCPRIM_400000_NS6detail17trampoline_kernelINS0_14default_configENS1_35radix_sort_onesweep_config_selectorItNS0_10empty_typeEEEZZNS1_29radix_sort_onesweep_iterationIS3_Lb0EN6thrust23THRUST_200600_302600_NS6detail15normal_iteratorINS9_10device_ptrItEEEESE_PS5_SF_jNS0_19identity_decomposerENS1_16block_id_wrapperIjLb1EEEEE10hipError_tT1_PNSt15iterator_traitsISK_E10value_typeET2_T3_PNSL_ISQ_E10value_typeET4_T5_PSV_SW_PNS1_23onesweep_lookback_stateEbbT6_jjT7_P12ihipStream_tbENKUlT_T0_SK_SP_E_clISE_SE_SF_SF_EEDaS13_S14_SK_SP_EUlS13_E_NS1_11comp_targetILNS1_3genE8ELNS1_11target_archE1030ELNS1_3gpuE2ELNS1_3repE0EEENS1_47radix_sort_onesweep_sort_config_static_selectorELNS0_4arch9wavefront6targetE1EEEvSK_,@function
_ZN7rocprim17ROCPRIM_400000_NS6detail17trampoline_kernelINS0_14default_configENS1_35radix_sort_onesweep_config_selectorItNS0_10empty_typeEEEZZNS1_29radix_sort_onesweep_iterationIS3_Lb0EN6thrust23THRUST_200600_302600_NS6detail15normal_iteratorINS9_10device_ptrItEEEESE_PS5_SF_jNS0_19identity_decomposerENS1_16block_id_wrapperIjLb1EEEEE10hipError_tT1_PNSt15iterator_traitsISK_E10value_typeET2_T3_PNSL_ISQ_E10value_typeET4_T5_PSV_SW_PNS1_23onesweep_lookback_stateEbbT6_jjT7_P12ihipStream_tbENKUlT_T0_SK_SP_E_clISE_SE_SF_SF_EEDaS13_S14_SK_SP_EUlS13_E_NS1_11comp_targetILNS1_3genE8ELNS1_11target_archE1030ELNS1_3gpuE2ELNS1_3repE0EEENS1_47radix_sort_onesweep_sort_config_static_selectorELNS0_4arch9wavefront6targetE1EEEvSK_: ; @_ZN7rocprim17ROCPRIM_400000_NS6detail17trampoline_kernelINS0_14default_configENS1_35radix_sort_onesweep_config_selectorItNS0_10empty_typeEEEZZNS1_29radix_sort_onesweep_iterationIS3_Lb0EN6thrust23THRUST_200600_302600_NS6detail15normal_iteratorINS9_10device_ptrItEEEESE_PS5_SF_jNS0_19identity_decomposerENS1_16block_id_wrapperIjLb1EEEEE10hipError_tT1_PNSt15iterator_traitsISK_E10value_typeET2_T3_PNSL_ISQ_E10value_typeET4_T5_PSV_SW_PNS1_23onesweep_lookback_stateEbbT6_jjT7_P12ihipStream_tbENKUlT_T0_SK_SP_E_clISE_SE_SF_SF_EEDaS13_S14_SK_SP_EUlS13_E_NS1_11comp_targetILNS1_3genE8ELNS1_11target_archE1030ELNS1_3gpuE2ELNS1_3repE0EEENS1_47radix_sort_onesweep_sort_config_static_selectorELNS0_4arch9wavefront6targetE1EEEvSK_
; %bb.0:
	.section	.rodata,"a",@progbits
	.p2align	6, 0x0
	.amdhsa_kernel _ZN7rocprim17ROCPRIM_400000_NS6detail17trampoline_kernelINS0_14default_configENS1_35radix_sort_onesweep_config_selectorItNS0_10empty_typeEEEZZNS1_29radix_sort_onesweep_iterationIS3_Lb0EN6thrust23THRUST_200600_302600_NS6detail15normal_iteratorINS9_10device_ptrItEEEESE_PS5_SF_jNS0_19identity_decomposerENS1_16block_id_wrapperIjLb1EEEEE10hipError_tT1_PNSt15iterator_traitsISK_E10value_typeET2_T3_PNSL_ISQ_E10value_typeET4_T5_PSV_SW_PNS1_23onesweep_lookback_stateEbbT6_jjT7_P12ihipStream_tbENKUlT_T0_SK_SP_E_clISE_SE_SF_SF_EEDaS13_S14_SK_SP_EUlS13_E_NS1_11comp_targetILNS1_3genE8ELNS1_11target_archE1030ELNS1_3gpuE2ELNS1_3repE0EEENS1_47radix_sort_onesweep_sort_config_static_selectorELNS0_4arch9wavefront6targetE1EEEvSK_
		.amdhsa_group_segment_fixed_size 0
		.amdhsa_private_segment_fixed_size 0
		.amdhsa_kernarg_size 88
		.amdhsa_user_sgpr_count 2
		.amdhsa_user_sgpr_dispatch_ptr 0
		.amdhsa_user_sgpr_queue_ptr 0
		.amdhsa_user_sgpr_kernarg_segment_ptr 1
		.amdhsa_user_sgpr_dispatch_id 0
		.amdhsa_user_sgpr_kernarg_preload_length 0
		.amdhsa_user_sgpr_kernarg_preload_offset 0
		.amdhsa_user_sgpr_private_segment_size 0
		.amdhsa_uses_dynamic_stack 0
		.amdhsa_enable_private_segment 0
		.amdhsa_system_sgpr_workgroup_id_x 1
		.amdhsa_system_sgpr_workgroup_id_y 0
		.amdhsa_system_sgpr_workgroup_id_z 0
		.amdhsa_system_sgpr_workgroup_info 0
		.amdhsa_system_vgpr_workitem_id 0
		.amdhsa_next_free_vgpr 1
		.amdhsa_next_free_sgpr 0
		.amdhsa_accum_offset 4
		.amdhsa_reserve_vcc 0
		.amdhsa_float_round_mode_32 0
		.amdhsa_float_round_mode_16_64 0
		.amdhsa_float_denorm_mode_32 3
		.amdhsa_float_denorm_mode_16_64 3
		.amdhsa_dx10_clamp 1
		.amdhsa_ieee_mode 1
		.amdhsa_fp16_overflow 0
		.amdhsa_tg_split 0
		.amdhsa_exception_fp_ieee_invalid_op 0
		.amdhsa_exception_fp_denorm_src 0
		.amdhsa_exception_fp_ieee_div_zero 0
		.amdhsa_exception_fp_ieee_overflow 0
		.amdhsa_exception_fp_ieee_underflow 0
		.amdhsa_exception_fp_ieee_inexact 0
		.amdhsa_exception_int_div_zero 0
	.end_amdhsa_kernel
	.section	.text._ZN7rocprim17ROCPRIM_400000_NS6detail17trampoline_kernelINS0_14default_configENS1_35radix_sort_onesweep_config_selectorItNS0_10empty_typeEEEZZNS1_29radix_sort_onesweep_iterationIS3_Lb0EN6thrust23THRUST_200600_302600_NS6detail15normal_iteratorINS9_10device_ptrItEEEESE_PS5_SF_jNS0_19identity_decomposerENS1_16block_id_wrapperIjLb1EEEEE10hipError_tT1_PNSt15iterator_traitsISK_E10value_typeET2_T3_PNSL_ISQ_E10value_typeET4_T5_PSV_SW_PNS1_23onesweep_lookback_stateEbbT6_jjT7_P12ihipStream_tbENKUlT_T0_SK_SP_E_clISE_SE_SF_SF_EEDaS13_S14_SK_SP_EUlS13_E_NS1_11comp_targetILNS1_3genE8ELNS1_11target_archE1030ELNS1_3gpuE2ELNS1_3repE0EEENS1_47radix_sort_onesweep_sort_config_static_selectorELNS0_4arch9wavefront6targetE1EEEvSK_,"axG",@progbits,_ZN7rocprim17ROCPRIM_400000_NS6detail17trampoline_kernelINS0_14default_configENS1_35radix_sort_onesweep_config_selectorItNS0_10empty_typeEEEZZNS1_29radix_sort_onesweep_iterationIS3_Lb0EN6thrust23THRUST_200600_302600_NS6detail15normal_iteratorINS9_10device_ptrItEEEESE_PS5_SF_jNS0_19identity_decomposerENS1_16block_id_wrapperIjLb1EEEEE10hipError_tT1_PNSt15iterator_traitsISK_E10value_typeET2_T3_PNSL_ISQ_E10value_typeET4_T5_PSV_SW_PNS1_23onesweep_lookback_stateEbbT6_jjT7_P12ihipStream_tbENKUlT_T0_SK_SP_E_clISE_SE_SF_SF_EEDaS13_S14_SK_SP_EUlS13_E_NS1_11comp_targetILNS1_3genE8ELNS1_11target_archE1030ELNS1_3gpuE2ELNS1_3repE0EEENS1_47radix_sort_onesweep_sort_config_static_selectorELNS0_4arch9wavefront6targetE1EEEvSK_,comdat
.Lfunc_end1346:
	.size	_ZN7rocprim17ROCPRIM_400000_NS6detail17trampoline_kernelINS0_14default_configENS1_35radix_sort_onesweep_config_selectorItNS0_10empty_typeEEEZZNS1_29radix_sort_onesweep_iterationIS3_Lb0EN6thrust23THRUST_200600_302600_NS6detail15normal_iteratorINS9_10device_ptrItEEEESE_PS5_SF_jNS0_19identity_decomposerENS1_16block_id_wrapperIjLb1EEEEE10hipError_tT1_PNSt15iterator_traitsISK_E10value_typeET2_T3_PNSL_ISQ_E10value_typeET4_T5_PSV_SW_PNS1_23onesweep_lookback_stateEbbT6_jjT7_P12ihipStream_tbENKUlT_T0_SK_SP_E_clISE_SE_SF_SF_EEDaS13_S14_SK_SP_EUlS13_E_NS1_11comp_targetILNS1_3genE8ELNS1_11target_archE1030ELNS1_3gpuE2ELNS1_3repE0EEENS1_47radix_sort_onesweep_sort_config_static_selectorELNS0_4arch9wavefront6targetE1EEEvSK_, .Lfunc_end1346-_ZN7rocprim17ROCPRIM_400000_NS6detail17trampoline_kernelINS0_14default_configENS1_35radix_sort_onesweep_config_selectorItNS0_10empty_typeEEEZZNS1_29radix_sort_onesweep_iterationIS3_Lb0EN6thrust23THRUST_200600_302600_NS6detail15normal_iteratorINS9_10device_ptrItEEEESE_PS5_SF_jNS0_19identity_decomposerENS1_16block_id_wrapperIjLb1EEEEE10hipError_tT1_PNSt15iterator_traitsISK_E10value_typeET2_T3_PNSL_ISQ_E10value_typeET4_T5_PSV_SW_PNS1_23onesweep_lookback_stateEbbT6_jjT7_P12ihipStream_tbENKUlT_T0_SK_SP_E_clISE_SE_SF_SF_EEDaS13_S14_SK_SP_EUlS13_E_NS1_11comp_targetILNS1_3genE8ELNS1_11target_archE1030ELNS1_3gpuE2ELNS1_3repE0EEENS1_47radix_sort_onesweep_sort_config_static_selectorELNS0_4arch9wavefront6targetE1EEEvSK_
                                        ; -- End function
	.section	.AMDGPU.csdata,"",@progbits
; Kernel info:
; codeLenInByte = 0
; NumSgprs: 6
; NumVgprs: 0
; NumAgprs: 0
; TotalNumVgprs: 0
; ScratchSize: 0
; MemoryBound: 0
; FloatMode: 240
; IeeeMode: 1
; LDSByteSize: 0 bytes/workgroup (compile time only)
; SGPRBlocks: 0
; VGPRBlocks: 0
; NumSGPRsForWavesPerEU: 6
; NumVGPRsForWavesPerEU: 1
; AccumOffset: 4
; Occupancy: 8
; WaveLimiterHint : 0
; COMPUTE_PGM_RSRC2:SCRATCH_EN: 0
; COMPUTE_PGM_RSRC2:USER_SGPR: 2
; COMPUTE_PGM_RSRC2:TRAP_HANDLER: 0
; COMPUTE_PGM_RSRC2:TGID_X_EN: 1
; COMPUTE_PGM_RSRC2:TGID_Y_EN: 0
; COMPUTE_PGM_RSRC2:TGID_Z_EN: 0
; COMPUTE_PGM_RSRC2:TIDIG_COMP_CNT: 0
; COMPUTE_PGM_RSRC3_GFX90A:ACCUM_OFFSET: 0
; COMPUTE_PGM_RSRC3_GFX90A:TG_SPLIT: 0
	.section	.text._ZN7rocprim17ROCPRIM_400000_NS6detail17trampoline_kernelINS0_14default_configENS1_35radix_sort_onesweep_config_selectorItNS0_10empty_typeEEEZZNS1_29radix_sort_onesweep_iterationIS3_Lb0EN6thrust23THRUST_200600_302600_NS6detail15normal_iteratorINS9_10device_ptrItEEEESE_PS5_SF_jNS0_19identity_decomposerENS1_16block_id_wrapperIjLb1EEEEE10hipError_tT1_PNSt15iterator_traitsISK_E10value_typeET2_T3_PNSL_ISQ_E10value_typeET4_T5_PSV_SW_PNS1_23onesweep_lookback_stateEbbT6_jjT7_P12ihipStream_tbENKUlT_T0_SK_SP_E_clISE_PtSF_SF_EEDaS13_S14_SK_SP_EUlS13_E_NS1_11comp_targetILNS1_3genE0ELNS1_11target_archE4294967295ELNS1_3gpuE0ELNS1_3repE0EEENS1_47radix_sort_onesweep_sort_config_static_selectorELNS0_4arch9wavefront6targetE1EEEvSK_,"axG",@progbits,_ZN7rocprim17ROCPRIM_400000_NS6detail17trampoline_kernelINS0_14default_configENS1_35radix_sort_onesweep_config_selectorItNS0_10empty_typeEEEZZNS1_29radix_sort_onesweep_iterationIS3_Lb0EN6thrust23THRUST_200600_302600_NS6detail15normal_iteratorINS9_10device_ptrItEEEESE_PS5_SF_jNS0_19identity_decomposerENS1_16block_id_wrapperIjLb1EEEEE10hipError_tT1_PNSt15iterator_traitsISK_E10value_typeET2_T3_PNSL_ISQ_E10value_typeET4_T5_PSV_SW_PNS1_23onesweep_lookback_stateEbbT6_jjT7_P12ihipStream_tbENKUlT_T0_SK_SP_E_clISE_PtSF_SF_EEDaS13_S14_SK_SP_EUlS13_E_NS1_11comp_targetILNS1_3genE0ELNS1_11target_archE4294967295ELNS1_3gpuE0ELNS1_3repE0EEENS1_47radix_sort_onesweep_sort_config_static_selectorELNS0_4arch9wavefront6targetE1EEEvSK_,comdat
	.protected	_ZN7rocprim17ROCPRIM_400000_NS6detail17trampoline_kernelINS0_14default_configENS1_35radix_sort_onesweep_config_selectorItNS0_10empty_typeEEEZZNS1_29radix_sort_onesweep_iterationIS3_Lb0EN6thrust23THRUST_200600_302600_NS6detail15normal_iteratorINS9_10device_ptrItEEEESE_PS5_SF_jNS0_19identity_decomposerENS1_16block_id_wrapperIjLb1EEEEE10hipError_tT1_PNSt15iterator_traitsISK_E10value_typeET2_T3_PNSL_ISQ_E10value_typeET4_T5_PSV_SW_PNS1_23onesweep_lookback_stateEbbT6_jjT7_P12ihipStream_tbENKUlT_T0_SK_SP_E_clISE_PtSF_SF_EEDaS13_S14_SK_SP_EUlS13_E_NS1_11comp_targetILNS1_3genE0ELNS1_11target_archE4294967295ELNS1_3gpuE0ELNS1_3repE0EEENS1_47radix_sort_onesweep_sort_config_static_selectorELNS0_4arch9wavefront6targetE1EEEvSK_ ; -- Begin function _ZN7rocprim17ROCPRIM_400000_NS6detail17trampoline_kernelINS0_14default_configENS1_35radix_sort_onesweep_config_selectorItNS0_10empty_typeEEEZZNS1_29radix_sort_onesweep_iterationIS3_Lb0EN6thrust23THRUST_200600_302600_NS6detail15normal_iteratorINS9_10device_ptrItEEEESE_PS5_SF_jNS0_19identity_decomposerENS1_16block_id_wrapperIjLb1EEEEE10hipError_tT1_PNSt15iterator_traitsISK_E10value_typeET2_T3_PNSL_ISQ_E10value_typeET4_T5_PSV_SW_PNS1_23onesweep_lookback_stateEbbT6_jjT7_P12ihipStream_tbENKUlT_T0_SK_SP_E_clISE_PtSF_SF_EEDaS13_S14_SK_SP_EUlS13_E_NS1_11comp_targetILNS1_3genE0ELNS1_11target_archE4294967295ELNS1_3gpuE0ELNS1_3repE0EEENS1_47radix_sort_onesweep_sort_config_static_selectorELNS0_4arch9wavefront6targetE1EEEvSK_
	.globl	_ZN7rocprim17ROCPRIM_400000_NS6detail17trampoline_kernelINS0_14default_configENS1_35radix_sort_onesweep_config_selectorItNS0_10empty_typeEEEZZNS1_29radix_sort_onesweep_iterationIS3_Lb0EN6thrust23THRUST_200600_302600_NS6detail15normal_iteratorINS9_10device_ptrItEEEESE_PS5_SF_jNS0_19identity_decomposerENS1_16block_id_wrapperIjLb1EEEEE10hipError_tT1_PNSt15iterator_traitsISK_E10value_typeET2_T3_PNSL_ISQ_E10value_typeET4_T5_PSV_SW_PNS1_23onesweep_lookback_stateEbbT6_jjT7_P12ihipStream_tbENKUlT_T0_SK_SP_E_clISE_PtSF_SF_EEDaS13_S14_SK_SP_EUlS13_E_NS1_11comp_targetILNS1_3genE0ELNS1_11target_archE4294967295ELNS1_3gpuE0ELNS1_3repE0EEENS1_47radix_sort_onesweep_sort_config_static_selectorELNS0_4arch9wavefront6targetE1EEEvSK_
	.p2align	8
	.type	_ZN7rocprim17ROCPRIM_400000_NS6detail17trampoline_kernelINS0_14default_configENS1_35radix_sort_onesweep_config_selectorItNS0_10empty_typeEEEZZNS1_29radix_sort_onesweep_iterationIS3_Lb0EN6thrust23THRUST_200600_302600_NS6detail15normal_iteratorINS9_10device_ptrItEEEESE_PS5_SF_jNS0_19identity_decomposerENS1_16block_id_wrapperIjLb1EEEEE10hipError_tT1_PNSt15iterator_traitsISK_E10value_typeET2_T3_PNSL_ISQ_E10value_typeET4_T5_PSV_SW_PNS1_23onesweep_lookback_stateEbbT6_jjT7_P12ihipStream_tbENKUlT_T0_SK_SP_E_clISE_PtSF_SF_EEDaS13_S14_SK_SP_EUlS13_E_NS1_11comp_targetILNS1_3genE0ELNS1_11target_archE4294967295ELNS1_3gpuE0ELNS1_3repE0EEENS1_47radix_sort_onesweep_sort_config_static_selectorELNS0_4arch9wavefront6targetE1EEEvSK_,@function
_ZN7rocprim17ROCPRIM_400000_NS6detail17trampoline_kernelINS0_14default_configENS1_35radix_sort_onesweep_config_selectorItNS0_10empty_typeEEEZZNS1_29radix_sort_onesweep_iterationIS3_Lb0EN6thrust23THRUST_200600_302600_NS6detail15normal_iteratorINS9_10device_ptrItEEEESE_PS5_SF_jNS0_19identity_decomposerENS1_16block_id_wrapperIjLb1EEEEE10hipError_tT1_PNSt15iterator_traitsISK_E10value_typeET2_T3_PNSL_ISQ_E10value_typeET4_T5_PSV_SW_PNS1_23onesweep_lookback_stateEbbT6_jjT7_P12ihipStream_tbENKUlT_T0_SK_SP_E_clISE_PtSF_SF_EEDaS13_S14_SK_SP_EUlS13_E_NS1_11comp_targetILNS1_3genE0ELNS1_11target_archE4294967295ELNS1_3gpuE0ELNS1_3repE0EEENS1_47radix_sort_onesweep_sort_config_static_selectorELNS0_4arch9wavefront6targetE1EEEvSK_: ; @_ZN7rocprim17ROCPRIM_400000_NS6detail17trampoline_kernelINS0_14default_configENS1_35radix_sort_onesweep_config_selectorItNS0_10empty_typeEEEZZNS1_29radix_sort_onesweep_iterationIS3_Lb0EN6thrust23THRUST_200600_302600_NS6detail15normal_iteratorINS9_10device_ptrItEEEESE_PS5_SF_jNS0_19identity_decomposerENS1_16block_id_wrapperIjLb1EEEEE10hipError_tT1_PNSt15iterator_traitsISK_E10value_typeET2_T3_PNSL_ISQ_E10value_typeET4_T5_PSV_SW_PNS1_23onesweep_lookback_stateEbbT6_jjT7_P12ihipStream_tbENKUlT_T0_SK_SP_E_clISE_PtSF_SF_EEDaS13_S14_SK_SP_EUlS13_E_NS1_11comp_targetILNS1_3genE0ELNS1_11target_archE4294967295ELNS1_3gpuE0ELNS1_3repE0EEENS1_47radix_sort_onesweep_sort_config_static_selectorELNS0_4arch9wavefront6targetE1EEEvSK_
; %bb.0:
	.section	.rodata,"a",@progbits
	.p2align	6, 0x0
	.amdhsa_kernel _ZN7rocprim17ROCPRIM_400000_NS6detail17trampoline_kernelINS0_14default_configENS1_35radix_sort_onesweep_config_selectorItNS0_10empty_typeEEEZZNS1_29radix_sort_onesweep_iterationIS3_Lb0EN6thrust23THRUST_200600_302600_NS6detail15normal_iteratorINS9_10device_ptrItEEEESE_PS5_SF_jNS0_19identity_decomposerENS1_16block_id_wrapperIjLb1EEEEE10hipError_tT1_PNSt15iterator_traitsISK_E10value_typeET2_T3_PNSL_ISQ_E10value_typeET4_T5_PSV_SW_PNS1_23onesweep_lookback_stateEbbT6_jjT7_P12ihipStream_tbENKUlT_T0_SK_SP_E_clISE_PtSF_SF_EEDaS13_S14_SK_SP_EUlS13_E_NS1_11comp_targetILNS1_3genE0ELNS1_11target_archE4294967295ELNS1_3gpuE0ELNS1_3repE0EEENS1_47radix_sort_onesweep_sort_config_static_selectorELNS0_4arch9wavefront6targetE1EEEvSK_
		.amdhsa_group_segment_fixed_size 0
		.amdhsa_private_segment_fixed_size 0
		.amdhsa_kernarg_size 88
		.amdhsa_user_sgpr_count 2
		.amdhsa_user_sgpr_dispatch_ptr 0
		.amdhsa_user_sgpr_queue_ptr 0
		.amdhsa_user_sgpr_kernarg_segment_ptr 1
		.amdhsa_user_sgpr_dispatch_id 0
		.amdhsa_user_sgpr_kernarg_preload_length 0
		.amdhsa_user_sgpr_kernarg_preload_offset 0
		.amdhsa_user_sgpr_private_segment_size 0
		.amdhsa_uses_dynamic_stack 0
		.amdhsa_enable_private_segment 0
		.amdhsa_system_sgpr_workgroup_id_x 1
		.amdhsa_system_sgpr_workgroup_id_y 0
		.amdhsa_system_sgpr_workgroup_id_z 0
		.amdhsa_system_sgpr_workgroup_info 0
		.amdhsa_system_vgpr_workitem_id 0
		.amdhsa_next_free_vgpr 1
		.amdhsa_next_free_sgpr 0
		.amdhsa_accum_offset 4
		.amdhsa_reserve_vcc 0
		.amdhsa_float_round_mode_32 0
		.amdhsa_float_round_mode_16_64 0
		.amdhsa_float_denorm_mode_32 3
		.amdhsa_float_denorm_mode_16_64 3
		.amdhsa_dx10_clamp 1
		.amdhsa_ieee_mode 1
		.amdhsa_fp16_overflow 0
		.amdhsa_tg_split 0
		.amdhsa_exception_fp_ieee_invalid_op 0
		.amdhsa_exception_fp_denorm_src 0
		.amdhsa_exception_fp_ieee_div_zero 0
		.amdhsa_exception_fp_ieee_overflow 0
		.amdhsa_exception_fp_ieee_underflow 0
		.amdhsa_exception_fp_ieee_inexact 0
		.amdhsa_exception_int_div_zero 0
	.end_amdhsa_kernel
	.section	.text._ZN7rocprim17ROCPRIM_400000_NS6detail17trampoline_kernelINS0_14default_configENS1_35radix_sort_onesweep_config_selectorItNS0_10empty_typeEEEZZNS1_29radix_sort_onesweep_iterationIS3_Lb0EN6thrust23THRUST_200600_302600_NS6detail15normal_iteratorINS9_10device_ptrItEEEESE_PS5_SF_jNS0_19identity_decomposerENS1_16block_id_wrapperIjLb1EEEEE10hipError_tT1_PNSt15iterator_traitsISK_E10value_typeET2_T3_PNSL_ISQ_E10value_typeET4_T5_PSV_SW_PNS1_23onesweep_lookback_stateEbbT6_jjT7_P12ihipStream_tbENKUlT_T0_SK_SP_E_clISE_PtSF_SF_EEDaS13_S14_SK_SP_EUlS13_E_NS1_11comp_targetILNS1_3genE0ELNS1_11target_archE4294967295ELNS1_3gpuE0ELNS1_3repE0EEENS1_47radix_sort_onesweep_sort_config_static_selectorELNS0_4arch9wavefront6targetE1EEEvSK_,"axG",@progbits,_ZN7rocprim17ROCPRIM_400000_NS6detail17trampoline_kernelINS0_14default_configENS1_35radix_sort_onesweep_config_selectorItNS0_10empty_typeEEEZZNS1_29radix_sort_onesweep_iterationIS3_Lb0EN6thrust23THRUST_200600_302600_NS6detail15normal_iteratorINS9_10device_ptrItEEEESE_PS5_SF_jNS0_19identity_decomposerENS1_16block_id_wrapperIjLb1EEEEE10hipError_tT1_PNSt15iterator_traitsISK_E10value_typeET2_T3_PNSL_ISQ_E10value_typeET4_T5_PSV_SW_PNS1_23onesweep_lookback_stateEbbT6_jjT7_P12ihipStream_tbENKUlT_T0_SK_SP_E_clISE_PtSF_SF_EEDaS13_S14_SK_SP_EUlS13_E_NS1_11comp_targetILNS1_3genE0ELNS1_11target_archE4294967295ELNS1_3gpuE0ELNS1_3repE0EEENS1_47radix_sort_onesweep_sort_config_static_selectorELNS0_4arch9wavefront6targetE1EEEvSK_,comdat
.Lfunc_end1347:
	.size	_ZN7rocprim17ROCPRIM_400000_NS6detail17trampoline_kernelINS0_14default_configENS1_35radix_sort_onesweep_config_selectorItNS0_10empty_typeEEEZZNS1_29radix_sort_onesweep_iterationIS3_Lb0EN6thrust23THRUST_200600_302600_NS6detail15normal_iteratorINS9_10device_ptrItEEEESE_PS5_SF_jNS0_19identity_decomposerENS1_16block_id_wrapperIjLb1EEEEE10hipError_tT1_PNSt15iterator_traitsISK_E10value_typeET2_T3_PNSL_ISQ_E10value_typeET4_T5_PSV_SW_PNS1_23onesweep_lookback_stateEbbT6_jjT7_P12ihipStream_tbENKUlT_T0_SK_SP_E_clISE_PtSF_SF_EEDaS13_S14_SK_SP_EUlS13_E_NS1_11comp_targetILNS1_3genE0ELNS1_11target_archE4294967295ELNS1_3gpuE0ELNS1_3repE0EEENS1_47radix_sort_onesweep_sort_config_static_selectorELNS0_4arch9wavefront6targetE1EEEvSK_, .Lfunc_end1347-_ZN7rocprim17ROCPRIM_400000_NS6detail17trampoline_kernelINS0_14default_configENS1_35radix_sort_onesweep_config_selectorItNS0_10empty_typeEEEZZNS1_29radix_sort_onesweep_iterationIS3_Lb0EN6thrust23THRUST_200600_302600_NS6detail15normal_iteratorINS9_10device_ptrItEEEESE_PS5_SF_jNS0_19identity_decomposerENS1_16block_id_wrapperIjLb1EEEEE10hipError_tT1_PNSt15iterator_traitsISK_E10value_typeET2_T3_PNSL_ISQ_E10value_typeET4_T5_PSV_SW_PNS1_23onesweep_lookback_stateEbbT6_jjT7_P12ihipStream_tbENKUlT_T0_SK_SP_E_clISE_PtSF_SF_EEDaS13_S14_SK_SP_EUlS13_E_NS1_11comp_targetILNS1_3genE0ELNS1_11target_archE4294967295ELNS1_3gpuE0ELNS1_3repE0EEENS1_47radix_sort_onesweep_sort_config_static_selectorELNS0_4arch9wavefront6targetE1EEEvSK_
                                        ; -- End function
	.section	.AMDGPU.csdata,"",@progbits
; Kernel info:
; codeLenInByte = 0
; NumSgprs: 6
; NumVgprs: 0
; NumAgprs: 0
; TotalNumVgprs: 0
; ScratchSize: 0
; MemoryBound: 0
; FloatMode: 240
; IeeeMode: 1
; LDSByteSize: 0 bytes/workgroup (compile time only)
; SGPRBlocks: 0
; VGPRBlocks: 0
; NumSGPRsForWavesPerEU: 6
; NumVGPRsForWavesPerEU: 1
; AccumOffset: 4
; Occupancy: 8
; WaveLimiterHint : 0
; COMPUTE_PGM_RSRC2:SCRATCH_EN: 0
; COMPUTE_PGM_RSRC2:USER_SGPR: 2
; COMPUTE_PGM_RSRC2:TRAP_HANDLER: 0
; COMPUTE_PGM_RSRC2:TGID_X_EN: 1
; COMPUTE_PGM_RSRC2:TGID_Y_EN: 0
; COMPUTE_PGM_RSRC2:TGID_Z_EN: 0
; COMPUTE_PGM_RSRC2:TIDIG_COMP_CNT: 0
; COMPUTE_PGM_RSRC3_GFX90A:ACCUM_OFFSET: 0
; COMPUTE_PGM_RSRC3_GFX90A:TG_SPLIT: 0
	.section	.text._ZN7rocprim17ROCPRIM_400000_NS6detail17trampoline_kernelINS0_14default_configENS1_35radix_sort_onesweep_config_selectorItNS0_10empty_typeEEEZZNS1_29radix_sort_onesweep_iterationIS3_Lb0EN6thrust23THRUST_200600_302600_NS6detail15normal_iteratorINS9_10device_ptrItEEEESE_PS5_SF_jNS0_19identity_decomposerENS1_16block_id_wrapperIjLb1EEEEE10hipError_tT1_PNSt15iterator_traitsISK_E10value_typeET2_T3_PNSL_ISQ_E10value_typeET4_T5_PSV_SW_PNS1_23onesweep_lookback_stateEbbT6_jjT7_P12ihipStream_tbENKUlT_T0_SK_SP_E_clISE_PtSF_SF_EEDaS13_S14_SK_SP_EUlS13_E_NS1_11comp_targetILNS1_3genE6ELNS1_11target_archE950ELNS1_3gpuE13ELNS1_3repE0EEENS1_47radix_sort_onesweep_sort_config_static_selectorELNS0_4arch9wavefront6targetE1EEEvSK_,"axG",@progbits,_ZN7rocprim17ROCPRIM_400000_NS6detail17trampoline_kernelINS0_14default_configENS1_35radix_sort_onesweep_config_selectorItNS0_10empty_typeEEEZZNS1_29radix_sort_onesweep_iterationIS3_Lb0EN6thrust23THRUST_200600_302600_NS6detail15normal_iteratorINS9_10device_ptrItEEEESE_PS5_SF_jNS0_19identity_decomposerENS1_16block_id_wrapperIjLb1EEEEE10hipError_tT1_PNSt15iterator_traitsISK_E10value_typeET2_T3_PNSL_ISQ_E10value_typeET4_T5_PSV_SW_PNS1_23onesweep_lookback_stateEbbT6_jjT7_P12ihipStream_tbENKUlT_T0_SK_SP_E_clISE_PtSF_SF_EEDaS13_S14_SK_SP_EUlS13_E_NS1_11comp_targetILNS1_3genE6ELNS1_11target_archE950ELNS1_3gpuE13ELNS1_3repE0EEENS1_47radix_sort_onesweep_sort_config_static_selectorELNS0_4arch9wavefront6targetE1EEEvSK_,comdat
	.protected	_ZN7rocprim17ROCPRIM_400000_NS6detail17trampoline_kernelINS0_14default_configENS1_35radix_sort_onesweep_config_selectorItNS0_10empty_typeEEEZZNS1_29radix_sort_onesweep_iterationIS3_Lb0EN6thrust23THRUST_200600_302600_NS6detail15normal_iteratorINS9_10device_ptrItEEEESE_PS5_SF_jNS0_19identity_decomposerENS1_16block_id_wrapperIjLb1EEEEE10hipError_tT1_PNSt15iterator_traitsISK_E10value_typeET2_T3_PNSL_ISQ_E10value_typeET4_T5_PSV_SW_PNS1_23onesweep_lookback_stateEbbT6_jjT7_P12ihipStream_tbENKUlT_T0_SK_SP_E_clISE_PtSF_SF_EEDaS13_S14_SK_SP_EUlS13_E_NS1_11comp_targetILNS1_3genE6ELNS1_11target_archE950ELNS1_3gpuE13ELNS1_3repE0EEENS1_47radix_sort_onesweep_sort_config_static_selectorELNS0_4arch9wavefront6targetE1EEEvSK_ ; -- Begin function _ZN7rocprim17ROCPRIM_400000_NS6detail17trampoline_kernelINS0_14default_configENS1_35radix_sort_onesweep_config_selectorItNS0_10empty_typeEEEZZNS1_29radix_sort_onesweep_iterationIS3_Lb0EN6thrust23THRUST_200600_302600_NS6detail15normal_iteratorINS9_10device_ptrItEEEESE_PS5_SF_jNS0_19identity_decomposerENS1_16block_id_wrapperIjLb1EEEEE10hipError_tT1_PNSt15iterator_traitsISK_E10value_typeET2_T3_PNSL_ISQ_E10value_typeET4_T5_PSV_SW_PNS1_23onesweep_lookback_stateEbbT6_jjT7_P12ihipStream_tbENKUlT_T0_SK_SP_E_clISE_PtSF_SF_EEDaS13_S14_SK_SP_EUlS13_E_NS1_11comp_targetILNS1_3genE6ELNS1_11target_archE950ELNS1_3gpuE13ELNS1_3repE0EEENS1_47radix_sort_onesweep_sort_config_static_selectorELNS0_4arch9wavefront6targetE1EEEvSK_
	.globl	_ZN7rocprim17ROCPRIM_400000_NS6detail17trampoline_kernelINS0_14default_configENS1_35radix_sort_onesweep_config_selectorItNS0_10empty_typeEEEZZNS1_29radix_sort_onesweep_iterationIS3_Lb0EN6thrust23THRUST_200600_302600_NS6detail15normal_iteratorINS9_10device_ptrItEEEESE_PS5_SF_jNS0_19identity_decomposerENS1_16block_id_wrapperIjLb1EEEEE10hipError_tT1_PNSt15iterator_traitsISK_E10value_typeET2_T3_PNSL_ISQ_E10value_typeET4_T5_PSV_SW_PNS1_23onesweep_lookback_stateEbbT6_jjT7_P12ihipStream_tbENKUlT_T0_SK_SP_E_clISE_PtSF_SF_EEDaS13_S14_SK_SP_EUlS13_E_NS1_11comp_targetILNS1_3genE6ELNS1_11target_archE950ELNS1_3gpuE13ELNS1_3repE0EEENS1_47radix_sort_onesweep_sort_config_static_selectorELNS0_4arch9wavefront6targetE1EEEvSK_
	.p2align	8
	.type	_ZN7rocprim17ROCPRIM_400000_NS6detail17trampoline_kernelINS0_14default_configENS1_35radix_sort_onesweep_config_selectorItNS0_10empty_typeEEEZZNS1_29radix_sort_onesweep_iterationIS3_Lb0EN6thrust23THRUST_200600_302600_NS6detail15normal_iteratorINS9_10device_ptrItEEEESE_PS5_SF_jNS0_19identity_decomposerENS1_16block_id_wrapperIjLb1EEEEE10hipError_tT1_PNSt15iterator_traitsISK_E10value_typeET2_T3_PNSL_ISQ_E10value_typeET4_T5_PSV_SW_PNS1_23onesweep_lookback_stateEbbT6_jjT7_P12ihipStream_tbENKUlT_T0_SK_SP_E_clISE_PtSF_SF_EEDaS13_S14_SK_SP_EUlS13_E_NS1_11comp_targetILNS1_3genE6ELNS1_11target_archE950ELNS1_3gpuE13ELNS1_3repE0EEENS1_47radix_sort_onesweep_sort_config_static_selectorELNS0_4arch9wavefront6targetE1EEEvSK_,@function
_ZN7rocprim17ROCPRIM_400000_NS6detail17trampoline_kernelINS0_14default_configENS1_35radix_sort_onesweep_config_selectorItNS0_10empty_typeEEEZZNS1_29radix_sort_onesweep_iterationIS3_Lb0EN6thrust23THRUST_200600_302600_NS6detail15normal_iteratorINS9_10device_ptrItEEEESE_PS5_SF_jNS0_19identity_decomposerENS1_16block_id_wrapperIjLb1EEEEE10hipError_tT1_PNSt15iterator_traitsISK_E10value_typeET2_T3_PNSL_ISQ_E10value_typeET4_T5_PSV_SW_PNS1_23onesweep_lookback_stateEbbT6_jjT7_P12ihipStream_tbENKUlT_T0_SK_SP_E_clISE_PtSF_SF_EEDaS13_S14_SK_SP_EUlS13_E_NS1_11comp_targetILNS1_3genE6ELNS1_11target_archE950ELNS1_3gpuE13ELNS1_3repE0EEENS1_47radix_sort_onesweep_sort_config_static_selectorELNS0_4arch9wavefront6targetE1EEEvSK_: ; @_ZN7rocprim17ROCPRIM_400000_NS6detail17trampoline_kernelINS0_14default_configENS1_35radix_sort_onesweep_config_selectorItNS0_10empty_typeEEEZZNS1_29radix_sort_onesweep_iterationIS3_Lb0EN6thrust23THRUST_200600_302600_NS6detail15normal_iteratorINS9_10device_ptrItEEEESE_PS5_SF_jNS0_19identity_decomposerENS1_16block_id_wrapperIjLb1EEEEE10hipError_tT1_PNSt15iterator_traitsISK_E10value_typeET2_T3_PNSL_ISQ_E10value_typeET4_T5_PSV_SW_PNS1_23onesweep_lookback_stateEbbT6_jjT7_P12ihipStream_tbENKUlT_T0_SK_SP_E_clISE_PtSF_SF_EEDaS13_S14_SK_SP_EUlS13_E_NS1_11comp_targetILNS1_3genE6ELNS1_11target_archE950ELNS1_3gpuE13ELNS1_3repE0EEENS1_47radix_sort_onesweep_sort_config_static_selectorELNS0_4arch9wavefront6targetE1EEEvSK_
; %bb.0:
	.section	.rodata,"a",@progbits
	.p2align	6, 0x0
	.amdhsa_kernel _ZN7rocprim17ROCPRIM_400000_NS6detail17trampoline_kernelINS0_14default_configENS1_35radix_sort_onesweep_config_selectorItNS0_10empty_typeEEEZZNS1_29radix_sort_onesweep_iterationIS3_Lb0EN6thrust23THRUST_200600_302600_NS6detail15normal_iteratorINS9_10device_ptrItEEEESE_PS5_SF_jNS0_19identity_decomposerENS1_16block_id_wrapperIjLb1EEEEE10hipError_tT1_PNSt15iterator_traitsISK_E10value_typeET2_T3_PNSL_ISQ_E10value_typeET4_T5_PSV_SW_PNS1_23onesweep_lookback_stateEbbT6_jjT7_P12ihipStream_tbENKUlT_T0_SK_SP_E_clISE_PtSF_SF_EEDaS13_S14_SK_SP_EUlS13_E_NS1_11comp_targetILNS1_3genE6ELNS1_11target_archE950ELNS1_3gpuE13ELNS1_3repE0EEENS1_47radix_sort_onesweep_sort_config_static_selectorELNS0_4arch9wavefront6targetE1EEEvSK_
		.amdhsa_group_segment_fixed_size 0
		.amdhsa_private_segment_fixed_size 0
		.amdhsa_kernarg_size 88
		.amdhsa_user_sgpr_count 2
		.amdhsa_user_sgpr_dispatch_ptr 0
		.amdhsa_user_sgpr_queue_ptr 0
		.amdhsa_user_sgpr_kernarg_segment_ptr 1
		.amdhsa_user_sgpr_dispatch_id 0
		.amdhsa_user_sgpr_kernarg_preload_length 0
		.amdhsa_user_sgpr_kernarg_preload_offset 0
		.amdhsa_user_sgpr_private_segment_size 0
		.amdhsa_uses_dynamic_stack 0
		.amdhsa_enable_private_segment 0
		.amdhsa_system_sgpr_workgroup_id_x 1
		.amdhsa_system_sgpr_workgroup_id_y 0
		.amdhsa_system_sgpr_workgroup_id_z 0
		.amdhsa_system_sgpr_workgroup_info 0
		.amdhsa_system_vgpr_workitem_id 0
		.amdhsa_next_free_vgpr 1
		.amdhsa_next_free_sgpr 0
		.amdhsa_accum_offset 4
		.amdhsa_reserve_vcc 0
		.amdhsa_float_round_mode_32 0
		.amdhsa_float_round_mode_16_64 0
		.amdhsa_float_denorm_mode_32 3
		.amdhsa_float_denorm_mode_16_64 3
		.amdhsa_dx10_clamp 1
		.amdhsa_ieee_mode 1
		.amdhsa_fp16_overflow 0
		.amdhsa_tg_split 0
		.amdhsa_exception_fp_ieee_invalid_op 0
		.amdhsa_exception_fp_denorm_src 0
		.amdhsa_exception_fp_ieee_div_zero 0
		.amdhsa_exception_fp_ieee_overflow 0
		.amdhsa_exception_fp_ieee_underflow 0
		.amdhsa_exception_fp_ieee_inexact 0
		.amdhsa_exception_int_div_zero 0
	.end_amdhsa_kernel
	.section	.text._ZN7rocprim17ROCPRIM_400000_NS6detail17trampoline_kernelINS0_14default_configENS1_35radix_sort_onesweep_config_selectorItNS0_10empty_typeEEEZZNS1_29radix_sort_onesweep_iterationIS3_Lb0EN6thrust23THRUST_200600_302600_NS6detail15normal_iteratorINS9_10device_ptrItEEEESE_PS5_SF_jNS0_19identity_decomposerENS1_16block_id_wrapperIjLb1EEEEE10hipError_tT1_PNSt15iterator_traitsISK_E10value_typeET2_T3_PNSL_ISQ_E10value_typeET4_T5_PSV_SW_PNS1_23onesweep_lookback_stateEbbT6_jjT7_P12ihipStream_tbENKUlT_T0_SK_SP_E_clISE_PtSF_SF_EEDaS13_S14_SK_SP_EUlS13_E_NS1_11comp_targetILNS1_3genE6ELNS1_11target_archE950ELNS1_3gpuE13ELNS1_3repE0EEENS1_47radix_sort_onesweep_sort_config_static_selectorELNS0_4arch9wavefront6targetE1EEEvSK_,"axG",@progbits,_ZN7rocprim17ROCPRIM_400000_NS6detail17trampoline_kernelINS0_14default_configENS1_35radix_sort_onesweep_config_selectorItNS0_10empty_typeEEEZZNS1_29radix_sort_onesweep_iterationIS3_Lb0EN6thrust23THRUST_200600_302600_NS6detail15normal_iteratorINS9_10device_ptrItEEEESE_PS5_SF_jNS0_19identity_decomposerENS1_16block_id_wrapperIjLb1EEEEE10hipError_tT1_PNSt15iterator_traitsISK_E10value_typeET2_T3_PNSL_ISQ_E10value_typeET4_T5_PSV_SW_PNS1_23onesweep_lookback_stateEbbT6_jjT7_P12ihipStream_tbENKUlT_T0_SK_SP_E_clISE_PtSF_SF_EEDaS13_S14_SK_SP_EUlS13_E_NS1_11comp_targetILNS1_3genE6ELNS1_11target_archE950ELNS1_3gpuE13ELNS1_3repE0EEENS1_47radix_sort_onesweep_sort_config_static_selectorELNS0_4arch9wavefront6targetE1EEEvSK_,comdat
.Lfunc_end1348:
	.size	_ZN7rocprim17ROCPRIM_400000_NS6detail17trampoline_kernelINS0_14default_configENS1_35radix_sort_onesweep_config_selectorItNS0_10empty_typeEEEZZNS1_29radix_sort_onesweep_iterationIS3_Lb0EN6thrust23THRUST_200600_302600_NS6detail15normal_iteratorINS9_10device_ptrItEEEESE_PS5_SF_jNS0_19identity_decomposerENS1_16block_id_wrapperIjLb1EEEEE10hipError_tT1_PNSt15iterator_traitsISK_E10value_typeET2_T3_PNSL_ISQ_E10value_typeET4_T5_PSV_SW_PNS1_23onesweep_lookback_stateEbbT6_jjT7_P12ihipStream_tbENKUlT_T0_SK_SP_E_clISE_PtSF_SF_EEDaS13_S14_SK_SP_EUlS13_E_NS1_11comp_targetILNS1_3genE6ELNS1_11target_archE950ELNS1_3gpuE13ELNS1_3repE0EEENS1_47radix_sort_onesweep_sort_config_static_selectorELNS0_4arch9wavefront6targetE1EEEvSK_, .Lfunc_end1348-_ZN7rocprim17ROCPRIM_400000_NS6detail17trampoline_kernelINS0_14default_configENS1_35radix_sort_onesweep_config_selectorItNS0_10empty_typeEEEZZNS1_29radix_sort_onesweep_iterationIS3_Lb0EN6thrust23THRUST_200600_302600_NS6detail15normal_iteratorINS9_10device_ptrItEEEESE_PS5_SF_jNS0_19identity_decomposerENS1_16block_id_wrapperIjLb1EEEEE10hipError_tT1_PNSt15iterator_traitsISK_E10value_typeET2_T3_PNSL_ISQ_E10value_typeET4_T5_PSV_SW_PNS1_23onesweep_lookback_stateEbbT6_jjT7_P12ihipStream_tbENKUlT_T0_SK_SP_E_clISE_PtSF_SF_EEDaS13_S14_SK_SP_EUlS13_E_NS1_11comp_targetILNS1_3genE6ELNS1_11target_archE950ELNS1_3gpuE13ELNS1_3repE0EEENS1_47radix_sort_onesweep_sort_config_static_selectorELNS0_4arch9wavefront6targetE1EEEvSK_
                                        ; -- End function
	.section	.AMDGPU.csdata,"",@progbits
; Kernel info:
; codeLenInByte = 0
; NumSgprs: 6
; NumVgprs: 0
; NumAgprs: 0
; TotalNumVgprs: 0
; ScratchSize: 0
; MemoryBound: 0
; FloatMode: 240
; IeeeMode: 1
; LDSByteSize: 0 bytes/workgroup (compile time only)
; SGPRBlocks: 0
; VGPRBlocks: 0
; NumSGPRsForWavesPerEU: 6
; NumVGPRsForWavesPerEU: 1
; AccumOffset: 4
; Occupancy: 8
; WaveLimiterHint : 0
; COMPUTE_PGM_RSRC2:SCRATCH_EN: 0
; COMPUTE_PGM_RSRC2:USER_SGPR: 2
; COMPUTE_PGM_RSRC2:TRAP_HANDLER: 0
; COMPUTE_PGM_RSRC2:TGID_X_EN: 1
; COMPUTE_PGM_RSRC2:TGID_Y_EN: 0
; COMPUTE_PGM_RSRC2:TGID_Z_EN: 0
; COMPUTE_PGM_RSRC2:TIDIG_COMP_CNT: 0
; COMPUTE_PGM_RSRC3_GFX90A:ACCUM_OFFSET: 0
; COMPUTE_PGM_RSRC3_GFX90A:TG_SPLIT: 0
	.section	.text._ZN7rocprim17ROCPRIM_400000_NS6detail17trampoline_kernelINS0_14default_configENS1_35radix_sort_onesweep_config_selectorItNS0_10empty_typeEEEZZNS1_29radix_sort_onesweep_iterationIS3_Lb0EN6thrust23THRUST_200600_302600_NS6detail15normal_iteratorINS9_10device_ptrItEEEESE_PS5_SF_jNS0_19identity_decomposerENS1_16block_id_wrapperIjLb1EEEEE10hipError_tT1_PNSt15iterator_traitsISK_E10value_typeET2_T3_PNSL_ISQ_E10value_typeET4_T5_PSV_SW_PNS1_23onesweep_lookback_stateEbbT6_jjT7_P12ihipStream_tbENKUlT_T0_SK_SP_E_clISE_PtSF_SF_EEDaS13_S14_SK_SP_EUlS13_E_NS1_11comp_targetILNS1_3genE5ELNS1_11target_archE942ELNS1_3gpuE9ELNS1_3repE0EEENS1_47radix_sort_onesweep_sort_config_static_selectorELNS0_4arch9wavefront6targetE1EEEvSK_,"axG",@progbits,_ZN7rocprim17ROCPRIM_400000_NS6detail17trampoline_kernelINS0_14default_configENS1_35radix_sort_onesweep_config_selectorItNS0_10empty_typeEEEZZNS1_29radix_sort_onesweep_iterationIS3_Lb0EN6thrust23THRUST_200600_302600_NS6detail15normal_iteratorINS9_10device_ptrItEEEESE_PS5_SF_jNS0_19identity_decomposerENS1_16block_id_wrapperIjLb1EEEEE10hipError_tT1_PNSt15iterator_traitsISK_E10value_typeET2_T3_PNSL_ISQ_E10value_typeET4_T5_PSV_SW_PNS1_23onesweep_lookback_stateEbbT6_jjT7_P12ihipStream_tbENKUlT_T0_SK_SP_E_clISE_PtSF_SF_EEDaS13_S14_SK_SP_EUlS13_E_NS1_11comp_targetILNS1_3genE5ELNS1_11target_archE942ELNS1_3gpuE9ELNS1_3repE0EEENS1_47radix_sort_onesweep_sort_config_static_selectorELNS0_4arch9wavefront6targetE1EEEvSK_,comdat
	.protected	_ZN7rocprim17ROCPRIM_400000_NS6detail17trampoline_kernelINS0_14default_configENS1_35radix_sort_onesweep_config_selectorItNS0_10empty_typeEEEZZNS1_29radix_sort_onesweep_iterationIS3_Lb0EN6thrust23THRUST_200600_302600_NS6detail15normal_iteratorINS9_10device_ptrItEEEESE_PS5_SF_jNS0_19identity_decomposerENS1_16block_id_wrapperIjLb1EEEEE10hipError_tT1_PNSt15iterator_traitsISK_E10value_typeET2_T3_PNSL_ISQ_E10value_typeET4_T5_PSV_SW_PNS1_23onesweep_lookback_stateEbbT6_jjT7_P12ihipStream_tbENKUlT_T0_SK_SP_E_clISE_PtSF_SF_EEDaS13_S14_SK_SP_EUlS13_E_NS1_11comp_targetILNS1_3genE5ELNS1_11target_archE942ELNS1_3gpuE9ELNS1_3repE0EEENS1_47radix_sort_onesweep_sort_config_static_selectorELNS0_4arch9wavefront6targetE1EEEvSK_ ; -- Begin function _ZN7rocprim17ROCPRIM_400000_NS6detail17trampoline_kernelINS0_14default_configENS1_35radix_sort_onesweep_config_selectorItNS0_10empty_typeEEEZZNS1_29radix_sort_onesweep_iterationIS3_Lb0EN6thrust23THRUST_200600_302600_NS6detail15normal_iteratorINS9_10device_ptrItEEEESE_PS5_SF_jNS0_19identity_decomposerENS1_16block_id_wrapperIjLb1EEEEE10hipError_tT1_PNSt15iterator_traitsISK_E10value_typeET2_T3_PNSL_ISQ_E10value_typeET4_T5_PSV_SW_PNS1_23onesweep_lookback_stateEbbT6_jjT7_P12ihipStream_tbENKUlT_T0_SK_SP_E_clISE_PtSF_SF_EEDaS13_S14_SK_SP_EUlS13_E_NS1_11comp_targetILNS1_3genE5ELNS1_11target_archE942ELNS1_3gpuE9ELNS1_3repE0EEENS1_47radix_sort_onesweep_sort_config_static_selectorELNS0_4arch9wavefront6targetE1EEEvSK_
	.globl	_ZN7rocprim17ROCPRIM_400000_NS6detail17trampoline_kernelINS0_14default_configENS1_35radix_sort_onesweep_config_selectorItNS0_10empty_typeEEEZZNS1_29radix_sort_onesweep_iterationIS3_Lb0EN6thrust23THRUST_200600_302600_NS6detail15normal_iteratorINS9_10device_ptrItEEEESE_PS5_SF_jNS0_19identity_decomposerENS1_16block_id_wrapperIjLb1EEEEE10hipError_tT1_PNSt15iterator_traitsISK_E10value_typeET2_T3_PNSL_ISQ_E10value_typeET4_T5_PSV_SW_PNS1_23onesweep_lookback_stateEbbT6_jjT7_P12ihipStream_tbENKUlT_T0_SK_SP_E_clISE_PtSF_SF_EEDaS13_S14_SK_SP_EUlS13_E_NS1_11comp_targetILNS1_3genE5ELNS1_11target_archE942ELNS1_3gpuE9ELNS1_3repE0EEENS1_47radix_sort_onesweep_sort_config_static_selectorELNS0_4arch9wavefront6targetE1EEEvSK_
	.p2align	8
	.type	_ZN7rocprim17ROCPRIM_400000_NS6detail17trampoline_kernelINS0_14default_configENS1_35radix_sort_onesweep_config_selectorItNS0_10empty_typeEEEZZNS1_29radix_sort_onesweep_iterationIS3_Lb0EN6thrust23THRUST_200600_302600_NS6detail15normal_iteratorINS9_10device_ptrItEEEESE_PS5_SF_jNS0_19identity_decomposerENS1_16block_id_wrapperIjLb1EEEEE10hipError_tT1_PNSt15iterator_traitsISK_E10value_typeET2_T3_PNSL_ISQ_E10value_typeET4_T5_PSV_SW_PNS1_23onesweep_lookback_stateEbbT6_jjT7_P12ihipStream_tbENKUlT_T0_SK_SP_E_clISE_PtSF_SF_EEDaS13_S14_SK_SP_EUlS13_E_NS1_11comp_targetILNS1_3genE5ELNS1_11target_archE942ELNS1_3gpuE9ELNS1_3repE0EEENS1_47radix_sort_onesweep_sort_config_static_selectorELNS0_4arch9wavefront6targetE1EEEvSK_,@function
_ZN7rocprim17ROCPRIM_400000_NS6detail17trampoline_kernelINS0_14default_configENS1_35radix_sort_onesweep_config_selectorItNS0_10empty_typeEEEZZNS1_29radix_sort_onesweep_iterationIS3_Lb0EN6thrust23THRUST_200600_302600_NS6detail15normal_iteratorINS9_10device_ptrItEEEESE_PS5_SF_jNS0_19identity_decomposerENS1_16block_id_wrapperIjLb1EEEEE10hipError_tT1_PNSt15iterator_traitsISK_E10value_typeET2_T3_PNSL_ISQ_E10value_typeET4_T5_PSV_SW_PNS1_23onesweep_lookback_stateEbbT6_jjT7_P12ihipStream_tbENKUlT_T0_SK_SP_E_clISE_PtSF_SF_EEDaS13_S14_SK_SP_EUlS13_E_NS1_11comp_targetILNS1_3genE5ELNS1_11target_archE942ELNS1_3gpuE9ELNS1_3repE0EEENS1_47radix_sort_onesweep_sort_config_static_selectorELNS0_4arch9wavefront6targetE1EEEvSK_: ; @_ZN7rocprim17ROCPRIM_400000_NS6detail17trampoline_kernelINS0_14default_configENS1_35radix_sort_onesweep_config_selectorItNS0_10empty_typeEEEZZNS1_29radix_sort_onesweep_iterationIS3_Lb0EN6thrust23THRUST_200600_302600_NS6detail15normal_iteratorINS9_10device_ptrItEEEESE_PS5_SF_jNS0_19identity_decomposerENS1_16block_id_wrapperIjLb1EEEEE10hipError_tT1_PNSt15iterator_traitsISK_E10value_typeET2_T3_PNSL_ISQ_E10value_typeET4_T5_PSV_SW_PNS1_23onesweep_lookback_stateEbbT6_jjT7_P12ihipStream_tbENKUlT_T0_SK_SP_E_clISE_PtSF_SF_EEDaS13_S14_SK_SP_EUlS13_E_NS1_11comp_targetILNS1_3genE5ELNS1_11target_archE942ELNS1_3gpuE9ELNS1_3repE0EEENS1_47radix_sort_onesweep_sort_config_static_selectorELNS0_4arch9wavefront6targetE1EEEvSK_
; %bb.0:
	s_load_dwordx4 s[20:23], s[0:1], 0x28
	s_load_dwordx2 s[18:19], s[0:1], 0x38
	s_load_dwordx4 s[24:27], s[0:1], 0x44
	v_and_b32_e32 v2, 0x3ff, v0
	v_cmp_eq_u32_e64 s[10:11], 0, v2
	s_and_saveexec_b64 s[4:5], s[10:11]
	s_cbranch_execz .LBB1349_4
; %bb.1:
	s_mov_b64 s[8:9], exec
	v_mbcnt_lo_u32_b32 v1, s8, 0
	v_mbcnt_hi_u32_b32 v1, s9, v1
	v_cmp_eq_u32_e32 vcc, 0, v1
                                        ; implicit-def: $vgpr3
	s_and_saveexec_b64 s[6:7], vcc
	s_cbranch_execz .LBB1349_3
; %bb.2:
	s_load_dwordx2 s[12:13], s[0:1], 0x50
	s_bcnt1_i32_b64 s3, s[8:9]
	v_mov_b32_e32 v3, 0
	v_mov_b32_e32 v4, s3
	s_waitcnt lgkmcnt(0)
	global_atomic_add v3, v3, v4, s[12:13] sc0
.LBB1349_3:
	s_or_b64 exec, exec, s[6:7]
	s_waitcnt vmcnt(0)
	v_readfirstlane_b32 s3, v3
	v_mov_b32_e32 v3, 0
	s_nop 0
	v_add_u32_e32 v1, s3, v1
	ds_write_b32 v3, v1 offset:25600
.LBB1349_4:
	s_or_b64 exec, exec, s[4:5]
	v_mov_b32_e32 v5, 0
	s_load_dwordx4 s[28:31], s[0:1], 0x0
	s_load_dword s3, s[0:1], 0x20
	s_waitcnt lgkmcnt(0)
	s_barrier
	ds_read_b32 v1, v5 offset:25600
	s_waitcnt lgkmcnt(0)
	s_barrier
	v_readfirstlane_b32 s27, v1
	v_cmp_le_u32_e32 vcc, s26, v1
	s_mul_i32 s34, s27, 0x3000
	v_mbcnt_lo_u32_b32 v1, -1, 0
	s_cbranch_vccz .LBB1349_100
; %bb.5:
	s_mul_i32 s4, s26, 0xffffd000
	s_mov_b32 s35, 0
	s_add_i32 s3, s4, s3
	s_lshl_b64 s[4:5], s[34:35], 1
	v_mbcnt_hi_u32_b32 v13, -1, v1
	s_add_u32 s4, s28, s4
	v_and_b32_e32 v3, 63, v13
	v_and_b32_e32 v4, 0x3c0, v2
	s_addc_u32 s5, s29, s5
	v_mul_u32_u24_e32 v8, 12, v4
	v_lshlrev_b32_e32 v4, 1, v3
	v_lshl_add_u64 v[6:7], s[4:5], 0, v[4:5]
	v_lshlrev_b32_e32 v4, 1, v8
	v_lshl_add_u64 v[4:5], v[6:7], 0, v[4:5]
	v_or_b32_e32 v6, v3, v8
	v_cmp_gt_u32_e32 vcc, s3, v6
	v_mov_b32_e32 v3, -1
	v_mov_b32_e32 v8, -1
	s_and_saveexec_b64 s[4:5], vcc
	s_cbranch_execz .LBB1349_7
; %bb.6:
	global_load_ushort v8, v[4:5], off
.LBB1349_7:
	s_or_b64 exec, exec, s[4:5]
	v_or_b32_e32 v7, 64, v6
	v_cmp_gt_u32_e32 vcc, s3, v7
	s_and_saveexec_b64 s[4:5], vcc
	s_cbranch_execz .LBB1349_9
; %bb.8:
	global_load_ushort v3, v[4:5], off offset:128
.LBB1349_9:
	s_or_b64 exec, exec, s[4:5]
	v_or_b32_e32 v7, 0x80, v6
	v_cmp_gt_u32_e32 vcc, s3, v7
	v_mov_b32_e32 v9, -1
	v_mov_b32_e32 v10, -1
	s_and_saveexec_b64 s[4:5], vcc
	s_cbranch_execz .LBB1349_11
; %bb.10:
	global_load_ushort v10, v[4:5], off offset:256
.LBB1349_11:
	s_or_b64 exec, exec, s[4:5]
	v_or_b32_e32 v7, 0xc0, v6
	v_cmp_gt_u32_e32 vcc, s3, v7
	s_and_saveexec_b64 s[4:5], vcc
	s_cbranch_execz .LBB1349_13
; %bb.12:
	global_load_ushort v9, v[4:5], off offset:384
.LBB1349_13:
	s_or_b64 exec, exec, s[4:5]
	v_add_u32_e32 v7, 0x100, v6
	v_cmp_gt_u32_e32 vcc, s3, v7
	v_mov_b32_e32 v11, -1
	v_mov_b32_e32 v12, -1
	s_and_saveexec_b64 s[4:5], vcc
	s_cbranch_execz .LBB1349_15
; %bb.14:
	global_load_ushort v12, v[4:5], off offset:512
.LBB1349_15:
	s_or_b64 exec, exec, s[4:5]
	v_add_u32_e32 v7, 0x140, v6
	v_cmp_gt_u32_e32 vcc, s3, v7
	s_and_saveexec_b64 s[4:5], vcc
	s_cbranch_execz .LBB1349_17
; %bb.16:
	global_load_ushort v11, v[4:5], off offset:640
.LBB1349_17:
	s_or_b64 exec, exec, s[4:5]
	v_add_u32_e32 v7, 0x180, v6
	v_cmp_gt_u32_e32 vcc, s3, v7
	v_mov_b32_e32 v14, -1
	v_mov_b32_e32 v15, -1
	s_and_saveexec_b64 s[4:5], vcc
	s_cbranch_execz .LBB1349_19
; %bb.18:
	global_load_ushort v15, v[4:5], off offset:768
.LBB1349_19:
	s_or_b64 exec, exec, s[4:5]
	v_add_u32_e32 v7, 0x1c0, v6
	v_cmp_gt_u32_e32 vcc, s3, v7
	s_and_saveexec_b64 s[4:5], vcc
	s_cbranch_execz .LBB1349_21
; %bb.20:
	global_load_ushort v14, v[4:5], off offset:896
.LBB1349_21:
	s_or_b64 exec, exec, s[4:5]
	v_add_u32_e32 v7, 0x200, v6
	v_cmp_gt_u32_e32 vcc, s3, v7
	v_mov_b32_e32 v16, -1
	v_mov_b32_e32 v17, -1
	s_and_saveexec_b64 s[4:5], vcc
	s_cbranch_execz .LBB1349_23
; %bb.22:
	global_load_ushort v17, v[4:5], off offset:1024
.LBB1349_23:
	s_or_b64 exec, exec, s[4:5]
	v_add_u32_e32 v7, 0x240, v6
	v_cmp_gt_u32_e32 vcc, s3, v7
	s_and_saveexec_b64 s[4:5], vcc
	s_cbranch_execz .LBB1349_25
; %bb.24:
	global_load_ushort v16, v[4:5], off offset:1152
.LBB1349_25:
	s_or_b64 exec, exec, s[4:5]
	v_add_u32_e32 v7, 0x280, v6
	v_cmp_gt_u32_e32 vcc, s3, v7
	v_mov_b32_e32 v18, -1
	v_mov_b32_e32 v19, -1
	s_and_saveexec_b64 s[4:5], vcc
	s_cbranch_execz .LBB1349_27
; %bb.26:
	global_load_ushort v19, v[4:5], off offset:1280
.LBB1349_27:
	s_or_b64 exec, exec, s[4:5]
	v_add_u32_e32 v6, 0x2c0, v6
	v_cmp_gt_u32_e32 vcc, s3, v6
	s_and_saveexec_b64 s[4:5], vcc
	s_cbranch_execz .LBB1349_29
; %bb.28:
	global_load_ushort v18, v[4:5], off offset:1408
.LBB1349_29:
	s_or_b64 exec, exec, s[4:5]
	s_load_dword s4, s[0:1], 0x64
	s_load_dword s26, s[0:1], 0x58
	s_add_u32 s5, s0, 0x58
	s_addc_u32 s6, s1, 0
	v_mov_b32_e32 v5, 0
	s_waitcnt lgkmcnt(0)
	s_lshr_b32 s7, s4, 16
	s_cmp_lt_u32 s2, s26
	s_cselect_b32 s4, 12, 18
	s_add_u32 s4, s5, s4
	s_addc_u32 s5, s6, 0
	global_load_ushort v21, v5, s[4:5]
	s_lshl_b32 s4, -1, s25
	s_waitcnt vmcnt(1)
	v_lshrrev_b32_sdwa v23, s24, v8 dst_sel:DWORD dst_unused:UNUSED_PAD src0_sel:DWORD src1_sel:WORD_0
	s_not_b32 s33, s4
	v_bfe_u32 v4, v0, 10, 10
	v_bfe_u32 v7, v0, 20, 10
	v_and_b32_e32 v33, s33, v23
	v_mul_u32_u24_e32 v6, 5, v2
	v_mad_u32_u24 v32, v7, s7, v4
	v_and_b32_e32 v4, 1, v33
	v_lshlrev_b32_e32 v7, 30, v33
	v_lshlrev_b32_e32 v20, 2, v6
	v_mov_b32_e32 v6, v5
	v_mov_b32_e32 v24, v5
	v_lshlrev_b32_e32 v23, 29, v33
	v_lshlrev_b32_e32 v25, 28, v33
	v_lshl_add_u64 v[34:35], v[4:5], 0, -1
	v_cmp_ne_u32_e32 vcc, 0, v4
	v_not_b32_e32 v4, v7
	v_mov_b32_e32 v22, v5
	v_mov_b32_e32 v26, v5
	v_lshlrev_b32_e32 v27, 27, v33
	v_cmp_gt_i64_e64 s[4:5], 0, v[6:7]
	v_not_b32_e32 v6, v23
	v_cmp_gt_i64_e64 s[8:9], 0, v[24:25]
	v_not_b32_e32 v7, v25
	v_xor_b32_e32 v25, vcc_hi, v35
	v_ashrrev_i32_e32 v4, 31, v4
	v_mov_b32_e32 v28, v5
	v_lshlrev_b32_e32 v29, 26, v33
	v_cmp_gt_i64_e64 s[6:7], 0, v[22:23]
	v_cmp_gt_i64_e64 s[12:13], 0, v[26:27]
	v_not_b32_e32 v22, v27
	v_xor_b32_e32 v26, vcc_lo, v34
	v_ashrrev_i32_e32 v6, 31, v6
	v_and_b32_e32 v25, exec_hi, v25
	v_xor_b32_e32 v27, s5, v4
	v_cmp_gt_i64_e64 s[14:15], 0, v[28:29]
	v_ashrrev_i32_e32 v7, 31, v7
	v_and_b32_e32 v26, exec_lo, v26
	v_xor_b32_e32 v4, s4, v4
	v_xor_b32_e32 v28, s7, v6
	v_and_b32_e32 v25, v25, v27
	v_mov_b32_e32 v30, v5
	v_lshlrev_b32_e32 v31, 25, v33
	v_not_b32_e32 v23, v29
	v_ashrrev_i32_e32 v22, 31, v22
	v_xor_b32_e32 v6, s6, v6
	v_xor_b32_e32 v29, s9, v7
	v_and_b32_e32 v4, v26, v4
	v_and_b32_e32 v25, v25, v28
	v_cmp_gt_i64_e64 s[16:17], 0, v[30:31]
	v_not_b32_e32 v24, v31
	v_ashrrev_i32_e32 v23, 31, v23
	v_xor_b32_e32 v30, s13, v22
	v_and_b32_e32 v4, v4, v6
	v_and_b32_e32 v6, v25, v29
	v_ashrrev_i32_e32 v24, 31, v24
	v_xor_b32_e32 v7, s8, v7
	v_xor_b32_e32 v31, s15, v23
	v_and_b32_e32 v6, v6, v30
	v_xor_b32_e32 v22, s12, v22
	v_xor_b32_e32 v34, s17, v24
	v_and_b32_e32 v4, v4, v7
	v_and_b32_e32 v6, v6, v31
	v_mul_u32_u24_e32 v36, 17, v33
	v_lshlrev_b32_e32 v33, 24, v33
	v_and_b32_e32 v4, v4, v22
	v_and_b32_e32 v22, v6, v34
	v_xor_b32_e32 v23, s14, v23
	v_xor_b32_e32 v24, s16, v24
	v_and_b32_e32 v4, v4, v23
	v_and_b32_e32 v4, v4, v24
	ds_write2_b32 v20, v5, v5 offset0:16 offset1:17
	ds_write2_b32 v20, v5, v5 offset0:18 offset1:19
	ds_write_b32 v20, v5 offset:80
	s_waitcnt lgkmcnt(0)
	s_barrier
	s_waitcnt lgkmcnt(0)
	; wave barrier
	s_waitcnt vmcnt(0)
	v_mad_u64_u32 v[6:7], s[4:5], v32, v21, v[2:3]
	v_lshrrev_b32_e32 v30, 6, v6
	v_mov_b32_e32 v32, v5
	v_not_b32_e32 v6, v33
	v_cmp_gt_i64_e32 vcc, 0, v[32:33]
	v_ashrrev_i32_e32 v6, 31, v6
	v_add_lshl_u32 v23, v30, v36, 2
	v_xor_b32_e32 v7, vcc_hi, v6
	v_xor_b32_e32 v6, vcc_lo, v6
	v_and_b32_e32 v6, v4, v6
	v_and_b32_e32 v7, v22, v7
	v_mbcnt_lo_u32_b32 v4, v6, 0
	v_mbcnt_hi_u32_b32 v21, v7, v4
	v_cmp_eq_u32_e32 vcc, 0, v21
	v_cmp_ne_u64_e64 s[4:5], 0, v[6:7]
	s_and_b64 s[6:7], s[4:5], vcc
	s_and_saveexec_b64 s[4:5], s[6:7]
	s_cbranch_execz .LBB1349_31
; %bb.30:
	v_bcnt_u32_b32 v4, v6, 0
	v_bcnt_u32_b32 v4, v7, v4
	ds_write_b32 v23, v4 offset:64
.LBB1349_31:
	s_or_b64 exec, exec, s[4:5]
	v_lshrrev_b32_sdwa v4, s24, v3 dst_sel:DWORD dst_unused:UNUSED_PAD src0_sel:DWORD src1_sel:WORD_0
	v_and_b32_e32 v25, s33, v4
	v_mul_u32_u24_e32 v4, 17, v25
	v_add_lshl_u32 v24, v30, v4, 2
	v_and_b32_e32 v4, 1, v25
	v_lshl_add_u64 v[6:7], v[4:5], 0, -1
	v_cmp_ne_u32_e32 vcc, 0, v4
	; wave barrier
	s_nop 1
	v_xor_b32_e32 v6, vcc_lo, v6
	v_xor_b32_e32 v4, vcc_hi, v7
	v_and_b32_e32 v26, exec_lo, v6
	v_lshlrev_b32_e32 v7, 30, v25
	v_mov_b32_e32 v6, v5
	v_cmp_gt_i64_e32 vcc, 0, v[6:7]
	v_not_b32_e32 v6, v7
	v_ashrrev_i32_e32 v6, 31, v6
	v_and_b32_e32 v4, exec_hi, v4
	v_xor_b32_e32 v7, vcc_hi, v6
	v_xor_b32_e32 v6, vcc_lo, v6
	v_and_b32_e32 v4, v4, v7
	v_and_b32_e32 v26, v26, v6
	v_lshlrev_b32_e32 v7, 29, v25
	v_mov_b32_e32 v6, v5
	v_cmp_gt_i64_e32 vcc, 0, v[6:7]
	v_not_b32_e32 v6, v7
	v_ashrrev_i32_e32 v6, 31, v6
	v_xor_b32_e32 v7, vcc_hi, v6
	v_xor_b32_e32 v6, vcc_lo, v6
	v_and_b32_e32 v4, v4, v7
	v_and_b32_e32 v26, v26, v6
	v_lshlrev_b32_e32 v7, 28, v25
	v_mov_b32_e32 v6, v5
	v_cmp_gt_i64_e32 vcc, 0, v[6:7]
	v_not_b32_e32 v6, v7
	v_ashrrev_i32_e32 v6, 31, v6
	;; [unrolled: 9-line block ×5, first 2 shown]
	v_xor_b32_e32 v7, vcc_hi, v6
	v_xor_b32_e32 v6, vcc_lo, v6
	v_and_b32_e32 v4, v4, v7
	v_lshlrev_b32_e32 v7, 24, v25
	v_and_b32_e32 v26, v26, v6
	v_mov_b32_e32 v6, v5
	v_not_b32_e32 v5, v7
	v_cmp_gt_i64_e32 vcc, 0, v[6:7]
	v_ashrrev_i32_e32 v5, 31, v5
	ds_read_b32 v22, v24 offset:64
	v_xor_b32_e32 v6, vcc_hi, v5
	v_xor_b32_e32 v7, vcc_lo, v5
	v_and_b32_e32 v5, v4, v6
	v_and_b32_e32 v4, v26, v7
	v_mbcnt_lo_u32_b32 v6, v4, 0
	v_mbcnt_hi_u32_b32 v25, v5, v6
	v_cmp_eq_u32_e32 vcc, 0, v25
	v_cmp_ne_u64_e64 s[4:5], 0, v[4:5]
	s_and_b64 s[6:7], s[4:5], vcc
	; wave barrier
	s_and_saveexec_b64 s[4:5], s[6:7]
	s_cbranch_execz .LBB1349_33
; %bb.32:
	v_bcnt_u32_b32 v4, v4, 0
	v_bcnt_u32_b32 v4, v5, v4
	s_waitcnt lgkmcnt(0)
	v_add_u32_e32 v4, v22, v4
	ds_write_b32 v24, v4 offset:64
.LBB1349_33:
	s_or_b64 exec, exec, s[4:5]
	v_lshrrev_b32_sdwa v4, s24, v10 dst_sel:DWORD dst_unused:UNUSED_PAD src0_sel:DWORD src1_sel:WORD_0
	v_and_b32_e32 v28, s33, v4
	v_mul_u32_u24_e32 v4, 17, v28
	v_add_lshl_u32 v27, v30, v4, 2
	v_and_b32_e32 v4, 1, v28
	v_mov_b32_e32 v5, 0
	v_lshl_add_u64 v[6:7], v[4:5], 0, -1
	v_cmp_ne_u32_e32 vcc, 0, v4
	; wave barrier
	s_nop 1
	v_xor_b32_e32 v6, vcc_lo, v6
	v_xor_b32_e32 v4, vcc_hi, v7
	v_and_b32_e32 v29, exec_lo, v6
	v_lshlrev_b32_e32 v7, 30, v28
	v_mov_b32_e32 v6, v5
	v_cmp_gt_i64_e32 vcc, 0, v[6:7]
	v_not_b32_e32 v6, v7
	v_ashrrev_i32_e32 v6, 31, v6
	v_and_b32_e32 v4, exec_hi, v4
	v_xor_b32_e32 v7, vcc_hi, v6
	v_xor_b32_e32 v6, vcc_lo, v6
	v_and_b32_e32 v4, v4, v7
	v_and_b32_e32 v29, v29, v6
	v_lshlrev_b32_e32 v7, 29, v28
	v_mov_b32_e32 v6, v5
	v_cmp_gt_i64_e32 vcc, 0, v[6:7]
	v_not_b32_e32 v6, v7
	v_ashrrev_i32_e32 v6, 31, v6
	v_xor_b32_e32 v7, vcc_hi, v6
	v_xor_b32_e32 v6, vcc_lo, v6
	v_and_b32_e32 v4, v4, v7
	v_and_b32_e32 v29, v29, v6
	v_lshlrev_b32_e32 v7, 28, v28
	v_mov_b32_e32 v6, v5
	v_cmp_gt_i64_e32 vcc, 0, v[6:7]
	v_not_b32_e32 v6, v7
	v_ashrrev_i32_e32 v6, 31, v6
	;; [unrolled: 9-line block ×6, first 2 shown]
	v_xor_b32_e32 v7, vcc_hi, v6
	v_xor_b32_e32 v6, vcc_lo, v6
	ds_read_b32 v26, v27 offset:64
	v_and_b32_e32 v6, v29, v6
	v_and_b32_e32 v7, v4, v7
	v_mbcnt_lo_u32_b32 v4, v6, 0
	v_mbcnt_hi_u32_b32 v28, v7, v4
	v_cmp_eq_u32_e32 vcc, 0, v28
	v_cmp_ne_u64_e64 s[4:5], 0, v[6:7]
	s_and_b64 s[6:7], s[4:5], vcc
	; wave barrier
	s_and_saveexec_b64 s[4:5], s[6:7]
	s_cbranch_execz .LBB1349_35
; %bb.34:
	v_bcnt_u32_b32 v4, v6, 0
	v_bcnt_u32_b32 v4, v7, v4
	s_waitcnt lgkmcnt(0)
	v_add_u32_e32 v4, v26, v4
	ds_write_b32 v27, v4 offset:64
.LBB1349_35:
	s_or_b64 exec, exec, s[4:5]
	v_lshrrev_b32_sdwa v4, s24, v9 dst_sel:DWORD dst_unused:UNUSED_PAD src0_sel:DWORD src1_sel:WORD_0
	v_and_b32_e32 v32, s33, v4
	v_mul_u32_u24_e32 v4, 17, v32
	v_add_lshl_u32 v31, v30, v4, 2
	v_and_b32_e32 v4, 1, v32
	v_lshl_add_u64 v[6:7], v[4:5], 0, -1
	v_cmp_ne_u32_e32 vcc, 0, v4
	; wave barrier
	s_nop 1
	v_xor_b32_e32 v6, vcc_lo, v6
	v_xor_b32_e32 v4, vcc_hi, v7
	v_and_b32_e32 v33, exec_lo, v6
	v_lshlrev_b32_e32 v7, 30, v32
	v_mov_b32_e32 v6, v5
	v_cmp_gt_i64_e32 vcc, 0, v[6:7]
	v_not_b32_e32 v6, v7
	v_ashrrev_i32_e32 v6, 31, v6
	v_and_b32_e32 v4, exec_hi, v4
	v_xor_b32_e32 v7, vcc_hi, v6
	v_xor_b32_e32 v6, vcc_lo, v6
	v_and_b32_e32 v4, v4, v7
	v_and_b32_e32 v33, v33, v6
	v_lshlrev_b32_e32 v7, 29, v32
	v_mov_b32_e32 v6, v5
	v_cmp_gt_i64_e32 vcc, 0, v[6:7]
	v_not_b32_e32 v6, v7
	v_ashrrev_i32_e32 v6, 31, v6
	v_xor_b32_e32 v7, vcc_hi, v6
	v_xor_b32_e32 v6, vcc_lo, v6
	v_and_b32_e32 v4, v4, v7
	v_and_b32_e32 v33, v33, v6
	v_lshlrev_b32_e32 v7, 28, v32
	v_mov_b32_e32 v6, v5
	v_cmp_gt_i64_e32 vcc, 0, v[6:7]
	v_not_b32_e32 v6, v7
	v_ashrrev_i32_e32 v6, 31, v6
	;; [unrolled: 9-line block ×5, first 2 shown]
	v_xor_b32_e32 v7, vcc_hi, v6
	v_xor_b32_e32 v6, vcc_lo, v6
	v_and_b32_e32 v4, v4, v7
	v_lshlrev_b32_e32 v7, 24, v32
	v_and_b32_e32 v33, v33, v6
	v_mov_b32_e32 v6, v5
	v_not_b32_e32 v5, v7
	v_cmp_gt_i64_e32 vcc, 0, v[6:7]
	v_ashrrev_i32_e32 v5, 31, v5
	ds_read_b32 v29, v31 offset:64
	v_xor_b32_e32 v6, vcc_hi, v5
	v_xor_b32_e32 v7, vcc_lo, v5
	v_and_b32_e32 v5, v4, v6
	v_and_b32_e32 v4, v33, v7
	v_mbcnt_lo_u32_b32 v6, v4, 0
	v_mbcnt_hi_u32_b32 v32, v5, v6
	v_cmp_eq_u32_e32 vcc, 0, v32
	v_cmp_ne_u64_e64 s[4:5], 0, v[4:5]
	s_and_b64 s[6:7], s[4:5], vcc
	; wave barrier
	s_and_saveexec_b64 s[4:5], s[6:7]
	s_cbranch_execz .LBB1349_37
; %bb.36:
	v_bcnt_u32_b32 v4, v4, 0
	v_bcnt_u32_b32 v4, v5, v4
	s_waitcnt lgkmcnt(0)
	v_add_u32_e32 v4, v29, v4
	ds_write_b32 v31, v4 offset:64
.LBB1349_37:
	s_or_b64 exec, exec, s[4:5]
	v_lshrrev_b32_sdwa v4, s24, v12 dst_sel:DWORD dst_unused:UNUSED_PAD src0_sel:DWORD src1_sel:WORD_0
	v_and_b32_e32 v35, s33, v4
	v_mul_u32_u24_e32 v4, 17, v35
	v_add_lshl_u32 v34, v30, v4, 2
	v_and_b32_e32 v4, 1, v35
	v_mov_b32_e32 v5, 0
	v_lshl_add_u64 v[6:7], v[4:5], 0, -1
	v_cmp_ne_u32_e32 vcc, 0, v4
	; wave barrier
	s_nop 1
	v_xor_b32_e32 v6, vcc_lo, v6
	v_xor_b32_e32 v4, vcc_hi, v7
	v_and_b32_e32 v36, exec_lo, v6
	v_lshlrev_b32_e32 v7, 30, v35
	v_mov_b32_e32 v6, v5
	v_cmp_gt_i64_e32 vcc, 0, v[6:7]
	v_not_b32_e32 v6, v7
	v_ashrrev_i32_e32 v6, 31, v6
	v_and_b32_e32 v4, exec_hi, v4
	v_xor_b32_e32 v7, vcc_hi, v6
	v_xor_b32_e32 v6, vcc_lo, v6
	v_and_b32_e32 v4, v4, v7
	v_and_b32_e32 v36, v36, v6
	v_lshlrev_b32_e32 v7, 29, v35
	v_mov_b32_e32 v6, v5
	v_cmp_gt_i64_e32 vcc, 0, v[6:7]
	v_not_b32_e32 v6, v7
	v_ashrrev_i32_e32 v6, 31, v6
	v_xor_b32_e32 v7, vcc_hi, v6
	v_xor_b32_e32 v6, vcc_lo, v6
	v_and_b32_e32 v4, v4, v7
	v_and_b32_e32 v36, v36, v6
	v_lshlrev_b32_e32 v7, 28, v35
	v_mov_b32_e32 v6, v5
	v_cmp_gt_i64_e32 vcc, 0, v[6:7]
	v_not_b32_e32 v6, v7
	v_ashrrev_i32_e32 v6, 31, v6
	;; [unrolled: 9-line block ×6, first 2 shown]
	v_xor_b32_e32 v7, vcc_hi, v6
	v_xor_b32_e32 v6, vcc_lo, v6
	ds_read_b32 v33, v34 offset:64
	v_and_b32_e32 v6, v36, v6
	v_and_b32_e32 v7, v4, v7
	v_mbcnt_lo_u32_b32 v4, v6, 0
	v_mbcnt_hi_u32_b32 v35, v7, v4
	v_cmp_eq_u32_e32 vcc, 0, v35
	v_cmp_ne_u64_e64 s[4:5], 0, v[6:7]
	s_and_b64 s[6:7], s[4:5], vcc
	; wave barrier
	s_and_saveexec_b64 s[4:5], s[6:7]
	s_cbranch_execz .LBB1349_39
; %bb.38:
	v_bcnt_u32_b32 v4, v6, 0
	v_bcnt_u32_b32 v4, v7, v4
	s_waitcnt lgkmcnt(0)
	v_add_u32_e32 v4, v33, v4
	ds_write_b32 v34, v4 offset:64
.LBB1349_39:
	s_or_b64 exec, exec, s[4:5]
	v_lshrrev_b32_sdwa v4, s24, v11 dst_sel:DWORD dst_unused:UNUSED_PAD src0_sel:DWORD src1_sel:WORD_0
	v_and_b32_e32 v38, s33, v4
	v_mul_u32_u24_e32 v4, 17, v38
	v_add_lshl_u32 v37, v30, v4, 2
	v_and_b32_e32 v4, 1, v38
	v_lshl_add_u64 v[6:7], v[4:5], 0, -1
	v_cmp_ne_u32_e32 vcc, 0, v4
	; wave barrier
	s_nop 1
	v_xor_b32_e32 v6, vcc_lo, v6
	v_xor_b32_e32 v4, vcc_hi, v7
	v_and_b32_e32 v39, exec_lo, v6
	v_lshlrev_b32_e32 v7, 30, v38
	v_mov_b32_e32 v6, v5
	v_cmp_gt_i64_e32 vcc, 0, v[6:7]
	v_not_b32_e32 v6, v7
	v_ashrrev_i32_e32 v6, 31, v6
	v_and_b32_e32 v4, exec_hi, v4
	v_xor_b32_e32 v7, vcc_hi, v6
	v_xor_b32_e32 v6, vcc_lo, v6
	v_and_b32_e32 v4, v4, v7
	v_and_b32_e32 v39, v39, v6
	v_lshlrev_b32_e32 v7, 29, v38
	v_mov_b32_e32 v6, v5
	v_cmp_gt_i64_e32 vcc, 0, v[6:7]
	v_not_b32_e32 v6, v7
	v_ashrrev_i32_e32 v6, 31, v6
	v_xor_b32_e32 v7, vcc_hi, v6
	v_xor_b32_e32 v6, vcc_lo, v6
	v_and_b32_e32 v4, v4, v7
	v_and_b32_e32 v39, v39, v6
	v_lshlrev_b32_e32 v7, 28, v38
	v_mov_b32_e32 v6, v5
	v_cmp_gt_i64_e32 vcc, 0, v[6:7]
	v_not_b32_e32 v6, v7
	v_ashrrev_i32_e32 v6, 31, v6
	;; [unrolled: 9-line block ×5, first 2 shown]
	v_xor_b32_e32 v7, vcc_hi, v6
	v_xor_b32_e32 v6, vcc_lo, v6
	v_and_b32_e32 v4, v4, v7
	v_lshlrev_b32_e32 v7, 24, v38
	v_and_b32_e32 v39, v39, v6
	v_mov_b32_e32 v6, v5
	v_not_b32_e32 v5, v7
	v_cmp_gt_i64_e32 vcc, 0, v[6:7]
	v_ashrrev_i32_e32 v5, 31, v5
	ds_read_b32 v36, v37 offset:64
	v_xor_b32_e32 v6, vcc_hi, v5
	v_xor_b32_e32 v7, vcc_lo, v5
	v_and_b32_e32 v5, v4, v6
	v_and_b32_e32 v4, v39, v7
	v_mbcnt_lo_u32_b32 v6, v4, 0
	v_mbcnt_hi_u32_b32 v38, v5, v6
	v_cmp_eq_u32_e32 vcc, 0, v38
	v_cmp_ne_u64_e64 s[4:5], 0, v[4:5]
	s_and_b64 s[6:7], s[4:5], vcc
	; wave barrier
	s_and_saveexec_b64 s[4:5], s[6:7]
	s_cbranch_execz .LBB1349_41
; %bb.40:
	v_bcnt_u32_b32 v4, v4, 0
	v_bcnt_u32_b32 v4, v5, v4
	s_waitcnt lgkmcnt(0)
	v_add_u32_e32 v4, v36, v4
	ds_write_b32 v37, v4 offset:64
.LBB1349_41:
	s_or_b64 exec, exec, s[4:5]
	v_lshrrev_b32_sdwa v4, s24, v15 dst_sel:DWORD dst_unused:UNUSED_PAD src0_sel:DWORD src1_sel:WORD_0
	v_and_b32_e32 v41, s33, v4
	v_mul_u32_u24_e32 v4, 17, v41
	v_add_lshl_u32 v40, v30, v4, 2
	v_and_b32_e32 v4, 1, v41
	v_mov_b32_e32 v5, 0
	v_lshl_add_u64 v[6:7], v[4:5], 0, -1
	v_cmp_ne_u32_e32 vcc, 0, v4
	; wave barrier
	s_nop 1
	v_xor_b32_e32 v6, vcc_lo, v6
	v_xor_b32_e32 v4, vcc_hi, v7
	v_and_b32_e32 v42, exec_lo, v6
	v_lshlrev_b32_e32 v7, 30, v41
	v_mov_b32_e32 v6, v5
	v_cmp_gt_i64_e32 vcc, 0, v[6:7]
	v_not_b32_e32 v6, v7
	v_ashrrev_i32_e32 v6, 31, v6
	v_and_b32_e32 v4, exec_hi, v4
	v_xor_b32_e32 v7, vcc_hi, v6
	v_xor_b32_e32 v6, vcc_lo, v6
	v_and_b32_e32 v4, v4, v7
	v_and_b32_e32 v42, v42, v6
	v_lshlrev_b32_e32 v7, 29, v41
	v_mov_b32_e32 v6, v5
	v_cmp_gt_i64_e32 vcc, 0, v[6:7]
	v_not_b32_e32 v6, v7
	v_ashrrev_i32_e32 v6, 31, v6
	v_xor_b32_e32 v7, vcc_hi, v6
	v_xor_b32_e32 v6, vcc_lo, v6
	v_and_b32_e32 v4, v4, v7
	v_and_b32_e32 v42, v42, v6
	v_lshlrev_b32_e32 v7, 28, v41
	v_mov_b32_e32 v6, v5
	v_cmp_gt_i64_e32 vcc, 0, v[6:7]
	v_not_b32_e32 v6, v7
	v_ashrrev_i32_e32 v6, 31, v6
	;; [unrolled: 9-line block ×6, first 2 shown]
	v_xor_b32_e32 v7, vcc_hi, v6
	v_xor_b32_e32 v6, vcc_lo, v6
	ds_read_b32 v39, v40 offset:64
	v_and_b32_e32 v6, v42, v6
	v_and_b32_e32 v7, v4, v7
	v_mbcnt_lo_u32_b32 v4, v6, 0
	v_mbcnt_hi_u32_b32 v41, v7, v4
	v_cmp_eq_u32_e32 vcc, 0, v41
	v_cmp_ne_u64_e64 s[4:5], 0, v[6:7]
	s_and_b64 s[6:7], s[4:5], vcc
	; wave barrier
	s_and_saveexec_b64 s[4:5], s[6:7]
	s_cbranch_execz .LBB1349_43
; %bb.42:
	v_bcnt_u32_b32 v4, v6, 0
	v_bcnt_u32_b32 v4, v7, v4
	s_waitcnt lgkmcnt(0)
	v_add_u32_e32 v4, v39, v4
	ds_write_b32 v40, v4 offset:64
.LBB1349_43:
	s_or_b64 exec, exec, s[4:5]
	v_lshrrev_b32_sdwa v4, s24, v14 dst_sel:DWORD dst_unused:UNUSED_PAD src0_sel:DWORD src1_sel:WORD_0
	v_and_b32_e32 v44, s33, v4
	v_mul_u32_u24_e32 v4, 17, v44
	v_add_lshl_u32 v43, v30, v4, 2
	v_and_b32_e32 v4, 1, v44
	v_lshl_add_u64 v[6:7], v[4:5], 0, -1
	v_cmp_ne_u32_e32 vcc, 0, v4
	; wave barrier
	s_nop 1
	v_xor_b32_e32 v6, vcc_lo, v6
	v_xor_b32_e32 v4, vcc_hi, v7
	v_and_b32_e32 v45, exec_lo, v6
	v_lshlrev_b32_e32 v7, 30, v44
	v_mov_b32_e32 v6, v5
	v_cmp_gt_i64_e32 vcc, 0, v[6:7]
	v_not_b32_e32 v6, v7
	v_ashrrev_i32_e32 v6, 31, v6
	v_and_b32_e32 v4, exec_hi, v4
	v_xor_b32_e32 v7, vcc_hi, v6
	v_xor_b32_e32 v6, vcc_lo, v6
	v_and_b32_e32 v4, v4, v7
	v_and_b32_e32 v45, v45, v6
	v_lshlrev_b32_e32 v7, 29, v44
	v_mov_b32_e32 v6, v5
	v_cmp_gt_i64_e32 vcc, 0, v[6:7]
	v_not_b32_e32 v6, v7
	v_ashrrev_i32_e32 v6, 31, v6
	v_xor_b32_e32 v7, vcc_hi, v6
	v_xor_b32_e32 v6, vcc_lo, v6
	v_and_b32_e32 v4, v4, v7
	v_and_b32_e32 v45, v45, v6
	v_lshlrev_b32_e32 v7, 28, v44
	v_mov_b32_e32 v6, v5
	v_cmp_gt_i64_e32 vcc, 0, v[6:7]
	v_not_b32_e32 v6, v7
	v_ashrrev_i32_e32 v6, 31, v6
	;; [unrolled: 9-line block ×5, first 2 shown]
	v_xor_b32_e32 v7, vcc_hi, v6
	v_xor_b32_e32 v6, vcc_lo, v6
	v_and_b32_e32 v4, v4, v7
	v_lshlrev_b32_e32 v7, 24, v44
	v_and_b32_e32 v45, v45, v6
	v_mov_b32_e32 v6, v5
	v_not_b32_e32 v5, v7
	v_cmp_gt_i64_e32 vcc, 0, v[6:7]
	v_ashrrev_i32_e32 v5, 31, v5
	ds_read_b32 v42, v43 offset:64
	v_xor_b32_e32 v6, vcc_hi, v5
	v_xor_b32_e32 v7, vcc_lo, v5
	v_and_b32_e32 v5, v4, v6
	v_and_b32_e32 v4, v45, v7
	v_mbcnt_lo_u32_b32 v6, v4, 0
	v_mbcnt_hi_u32_b32 v44, v5, v6
	v_cmp_eq_u32_e32 vcc, 0, v44
	v_cmp_ne_u64_e64 s[4:5], 0, v[4:5]
	s_and_b64 s[6:7], s[4:5], vcc
	; wave barrier
	s_and_saveexec_b64 s[4:5], s[6:7]
	s_cbranch_execz .LBB1349_45
; %bb.44:
	v_bcnt_u32_b32 v4, v4, 0
	v_bcnt_u32_b32 v4, v5, v4
	s_waitcnt lgkmcnt(0)
	v_add_u32_e32 v4, v42, v4
	ds_write_b32 v43, v4 offset:64
.LBB1349_45:
	s_or_b64 exec, exec, s[4:5]
	v_lshrrev_b32_sdwa v4, s24, v17 dst_sel:DWORD dst_unused:UNUSED_PAD src0_sel:DWORD src1_sel:WORD_0
	v_and_b32_e32 v47, s33, v4
	v_mul_u32_u24_e32 v4, 17, v47
	v_add_lshl_u32 v46, v30, v4, 2
	v_and_b32_e32 v4, 1, v47
	v_mov_b32_e32 v5, 0
	v_lshl_add_u64 v[6:7], v[4:5], 0, -1
	v_cmp_ne_u32_e32 vcc, 0, v4
	; wave barrier
	s_nop 1
	v_xor_b32_e32 v6, vcc_lo, v6
	v_xor_b32_e32 v4, vcc_hi, v7
	v_and_b32_e32 v48, exec_lo, v6
	v_lshlrev_b32_e32 v7, 30, v47
	v_mov_b32_e32 v6, v5
	v_cmp_gt_i64_e32 vcc, 0, v[6:7]
	v_not_b32_e32 v6, v7
	v_ashrrev_i32_e32 v6, 31, v6
	v_and_b32_e32 v4, exec_hi, v4
	v_xor_b32_e32 v7, vcc_hi, v6
	v_xor_b32_e32 v6, vcc_lo, v6
	v_and_b32_e32 v4, v4, v7
	v_and_b32_e32 v48, v48, v6
	v_lshlrev_b32_e32 v7, 29, v47
	v_mov_b32_e32 v6, v5
	v_cmp_gt_i64_e32 vcc, 0, v[6:7]
	v_not_b32_e32 v6, v7
	v_ashrrev_i32_e32 v6, 31, v6
	v_xor_b32_e32 v7, vcc_hi, v6
	v_xor_b32_e32 v6, vcc_lo, v6
	v_and_b32_e32 v4, v4, v7
	v_and_b32_e32 v48, v48, v6
	v_lshlrev_b32_e32 v7, 28, v47
	v_mov_b32_e32 v6, v5
	v_cmp_gt_i64_e32 vcc, 0, v[6:7]
	v_not_b32_e32 v6, v7
	v_ashrrev_i32_e32 v6, 31, v6
	;; [unrolled: 9-line block ×6, first 2 shown]
	v_xor_b32_e32 v7, vcc_hi, v6
	v_xor_b32_e32 v6, vcc_lo, v6
	ds_read_b32 v45, v46 offset:64
	v_and_b32_e32 v6, v48, v6
	v_and_b32_e32 v7, v4, v7
	v_mbcnt_lo_u32_b32 v4, v6, 0
	v_mbcnt_hi_u32_b32 v47, v7, v4
	v_cmp_eq_u32_e32 vcc, 0, v47
	v_cmp_ne_u64_e64 s[4:5], 0, v[6:7]
	s_and_b64 s[6:7], s[4:5], vcc
	; wave barrier
	s_and_saveexec_b64 s[4:5], s[6:7]
	s_cbranch_execz .LBB1349_47
; %bb.46:
	v_bcnt_u32_b32 v4, v6, 0
	v_bcnt_u32_b32 v4, v7, v4
	s_waitcnt lgkmcnt(0)
	v_add_u32_e32 v4, v45, v4
	ds_write_b32 v46, v4 offset:64
.LBB1349_47:
	s_or_b64 exec, exec, s[4:5]
	v_lshrrev_b32_sdwa v4, s24, v16 dst_sel:DWORD dst_unused:UNUSED_PAD src0_sel:DWORD src1_sel:WORD_0
	v_and_b32_e32 v50, s33, v4
	v_mul_u32_u24_e32 v4, 17, v50
	v_add_lshl_u32 v49, v30, v4, 2
	v_and_b32_e32 v4, 1, v50
	v_lshl_add_u64 v[6:7], v[4:5], 0, -1
	v_cmp_ne_u32_e32 vcc, 0, v4
	; wave barrier
	s_nop 1
	v_xor_b32_e32 v6, vcc_lo, v6
	v_xor_b32_e32 v4, vcc_hi, v7
	v_and_b32_e32 v51, exec_lo, v6
	v_lshlrev_b32_e32 v7, 30, v50
	v_mov_b32_e32 v6, v5
	v_cmp_gt_i64_e32 vcc, 0, v[6:7]
	v_not_b32_e32 v6, v7
	v_ashrrev_i32_e32 v6, 31, v6
	v_and_b32_e32 v4, exec_hi, v4
	v_xor_b32_e32 v7, vcc_hi, v6
	v_xor_b32_e32 v6, vcc_lo, v6
	v_and_b32_e32 v4, v4, v7
	v_and_b32_e32 v51, v51, v6
	v_lshlrev_b32_e32 v7, 29, v50
	v_mov_b32_e32 v6, v5
	v_cmp_gt_i64_e32 vcc, 0, v[6:7]
	v_not_b32_e32 v6, v7
	v_ashrrev_i32_e32 v6, 31, v6
	v_xor_b32_e32 v7, vcc_hi, v6
	v_xor_b32_e32 v6, vcc_lo, v6
	v_and_b32_e32 v4, v4, v7
	v_and_b32_e32 v51, v51, v6
	v_lshlrev_b32_e32 v7, 28, v50
	v_mov_b32_e32 v6, v5
	v_cmp_gt_i64_e32 vcc, 0, v[6:7]
	v_not_b32_e32 v6, v7
	v_ashrrev_i32_e32 v6, 31, v6
	;; [unrolled: 9-line block ×5, first 2 shown]
	v_xor_b32_e32 v7, vcc_hi, v6
	v_xor_b32_e32 v6, vcc_lo, v6
	v_and_b32_e32 v4, v4, v7
	v_lshlrev_b32_e32 v7, 24, v50
	v_and_b32_e32 v51, v51, v6
	v_mov_b32_e32 v6, v5
	v_not_b32_e32 v5, v7
	v_cmp_gt_i64_e32 vcc, 0, v[6:7]
	v_ashrrev_i32_e32 v5, 31, v5
	ds_read_b32 v48, v49 offset:64
	v_xor_b32_e32 v6, vcc_hi, v5
	v_xor_b32_e32 v7, vcc_lo, v5
	v_and_b32_e32 v5, v4, v6
	v_and_b32_e32 v4, v51, v7
	v_mbcnt_lo_u32_b32 v6, v4, 0
	v_mbcnt_hi_u32_b32 v50, v5, v6
	v_cmp_eq_u32_e32 vcc, 0, v50
	v_cmp_ne_u64_e64 s[4:5], 0, v[4:5]
	s_and_b64 s[6:7], s[4:5], vcc
	; wave barrier
	s_and_saveexec_b64 s[4:5], s[6:7]
	s_cbranch_execz .LBB1349_49
; %bb.48:
	v_bcnt_u32_b32 v4, v4, 0
	v_bcnt_u32_b32 v4, v5, v4
	s_waitcnt lgkmcnt(0)
	v_add_u32_e32 v4, v48, v4
	ds_write_b32 v49, v4 offset:64
.LBB1349_49:
	s_or_b64 exec, exec, s[4:5]
	v_lshrrev_b32_sdwa v4, s24, v19 dst_sel:DWORD dst_unused:UNUSED_PAD src0_sel:DWORD src1_sel:WORD_0
	v_and_b32_e32 v53, s33, v4
	v_mul_u32_u24_e32 v4, 17, v53
	v_add_lshl_u32 v52, v30, v4, 2
	v_and_b32_e32 v4, 1, v53
	v_mov_b32_e32 v5, 0
	v_lshl_add_u64 v[6:7], v[4:5], 0, -1
	v_cmp_ne_u32_e32 vcc, 0, v4
	; wave barrier
	s_nop 1
	v_xor_b32_e32 v6, vcc_lo, v6
	v_xor_b32_e32 v4, vcc_hi, v7
	v_and_b32_e32 v54, exec_lo, v6
	v_lshlrev_b32_e32 v7, 30, v53
	v_mov_b32_e32 v6, v5
	v_cmp_gt_i64_e32 vcc, 0, v[6:7]
	v_not_b32_e32 v6, v7
	v_ashrrev_i32_e32 v6, 31, v6
	v_and_b32_e32 v4, exec_hi, v4
	v_xor_b32_e32 v7, vcc_hi, v6
	v_xor_b32_e32 v6, vcc_lo, v6
	v_and_b32_e32 v4, v4, v7
	v_and_b32_e32 v54, v54, v6
	v_lshlrev_b32_e32 v7, 29, v53
	v_mov_b32_e32 v6, v5
	v_cmp_gt_i64_e32 vcc, 0, v[6:7]
	v_not_b32_e32 v6, v7
	v_ashrrev_i32_e32 v6, 31, v6
	v_xor_b32_e32 v7, vcc_hi, v6
	v_xor_b32_e32 v6, vcc_lo, v6
	v_and_b32_e32 v4, v4, v7
	v_and_b32_e32 v54, v54, v6
	v_lshlrev_b32_e32 v7, 28, v53
	v_mov_b32_e32 v6, v5
	v_cmp_gt_i64_e32 vcc, 0, v[6:7]
	v_not_b32_e32 v6, v7
	v_ashrrev_i32_e32 v6, 31, v6
	;; [unrolled: 9-line block ×6, first 2 shown]
	v_xor_b32_e32 v7, vcc_hi, v6
	v_xor_b32_e32 v6, vcc_lo, v6
	ds_read_b32 v51, v52 offset:64
	v_and_b32_e32 v6, v54, v6
	v_and_b32_e32 v7, v4, v7
	v_mbcnt_lo_u32_b32 v4, v6, 0
	v_mbcnt_hi_u32_b32 v53, v7, v4
	v_cmp_eq_u32_e32 vcc, 0, v53
	v_cmp_ne_u64_e64 s[4:5], 0, v[6:7]
	s_and_b64 s[6:7], s[4:5], vcc
	; wave barrier
	s_and_saveexec_b64 s[4:5], s[6:7]
	s_cbranch_execz .LBB1349_51
; %bb.50:
	v_bcnt_u32_b32 v4, v6, 0
	v_bcnt_u32_b32 v4, v7, v4
	s_waitcnt lgkmcnt(0)
	v_add_u32_e32 v4, v51, v4
	ds_write_b32 v52, v4 offset:64
.LBB1349_51:
	s_or_b64 exec, exec, s[4:5]
	v_lshrrev_b32_sdwa v4, s24, v18 dst_sel:DWORD dst_unused:UNUSED_PAD src0_sel:DWORD src1_sel:WORD_0
	v_and_b32_e32 v56, s33, v4
	v_mul_u32_u24_e32 v4, 17, v56
	v_add_lshl_u32 v54, v30, v4, 2
	v_and_b32_e32 v4, 1, v56
	v_lshl_add_u64 v[6:7], v[4:5], 0, -1
	v_cmp_ne_u32_e32 vcc, 0, v4
	; wave barrier
	s_nop 1
	v_xor_b32_e32 v6, vcc_lo, v6
	v_xor_b32_e32 v4, vcc_hi, v7
	v_and_b32_e32 v57, exec_lo, v6
	v_lshlrev_b32_e32 v7, 30, v56
	v_mov_b32_e32 v6, v5
	v_cmp_gt_i64_e32 vcc, 0, v[6:7]
	v_not_b32_e32 v6, v7
	v_ashrrev_i32_e32 v6, 31, v6
	v_and_b32_e32 v4, exec_hi, v4
	v_xor_b32_e32 v7, vcc_hi, v6
	v_xor_b32_e32 v6, vcc_lo, v6
	v_and_b32_e32 v4, v4, v7
	v_and_b32_e32 v57, v57, v6
	v_lshlrev_b32_e32 v7, 29, v56
	v_mov_b32_e32 v6, v5
	v_cmp_gt_i64_e32 vcc, 0, v[6:7]
	v_not_b32_e32 v6, v7
	v_ashrrev_i32_e32 v6, 31, v6
	v_xor_b32_e32 v7, vcc_hi, v6
	v_xor_b32_e32 v6, vcc_lo, v6
	v_and_b32_e32 v4, v4, v7
	v_and_b32_e32 v57, v57, v6
	v_lshlrev_b32_e32 v7, 28, v56
	v_mov_b32_e32 v6, v5
	v_cmp_gt_i64_e32 vcc, 0, v[6:7]
	v_not_b32_e32 v6, v7
	v_ashrrev_i32_e32 v6, 31, v6
	;; [unrolled: 9-line block ×5, first 2 shown]
	v_xor_b32_e32 v7, vcc_hi, v6
	v_xor_b32_e32 v6, vcc_lo, v6
	v_and_b32_e32 v4, v4, v7
	v_lshlrev_b32_e32 v7, 24, v56
	v_and_b32_e32 v57, v57, v6
	v_mov_b32_e32 v6, v5
	v_not_b32_e32 v5, v7
	v_cmp_gt_i64_e32 vcc, 0, v[6:7]
	v_ashrrev_i32_e32 v5, 31, v5
	ds_read_b32 v30, v54 offset:64
	v_xor_b32_e32 v6, vcc_hi, v5
	v_xor_b32_e32 v7, vcc_lo, v5
	v_and_b32_e32 v5, v4, v6
	v_and_b32_e32 v4, v57, v7
	v_mbcnt_lo_u32_b32 v6, v4, 0
	v_mbcnt_hi_u32_b32 v56, v5, v6
	v_cmp_eq_u32_e32 vcc, 0, v56
	v_cmp_ne_u64_e64 s[4:5], 0, v[4:5]
	v_add_u32_e32 v55, 64, v20
	s_and_b64 s[6:7], s[4:5], vcc
	; wave barrier
	s_and_saveexec_b64 s[4:5], s[6:7]
	s_cbranch_execz .LBB1349_53
; %bb.52:
	v_bcnt_u32_b32 v4, v4, 0
	v_bcnt_u32_b32 v4, v5, v4
	s_waitcnt lgkmcnt(0)
	v_add_u32_e32 v4, v30, v4
	ds_write_b32 v54, v4 offset:64
.LBB1349_53:
	s_or_b64 exec, exec, s[4:5]
	; wave barrier
	s_waitcnt lgkmcnt(0)
	s_barrier
	ds_read2_b32 v[6:7], v20 offset0:16 offset1:17
	ds_read2_b32 v[4:5], v55 offset0:2 offset1:3
	ds_read_b32 v57, v55 offset:16
	v_cmp_lt_u32_e64 s[12:13], 31, v13
	s_waitcnt lgkmcnt(1)
	v_add3_u32 v58, v7, v6, v4
	s_waitcnt lgkmcnt(0)
	v_add3_u32 v57, v58, v5, v57
	v_and_b32_e32 v58, 15, v13
	v_cmp_eq_u32_e32 vcc, 0, v58
	v_mov_b32_dpp v59, v57 row_shr:1 row_mask:0xf bank_mask:0xf
	v_cmp_lt_u32_e64 s[4:5], 1, v58
	v_cndmask_b32_e64 v59, v59, 0, vcc
	v_add_u32_e32 v57, v59, v57
	v_cmp_lt_u32_e64 s[6:7], 3, v58
	v_cmp_lt_u32_e64 s[8:9], 7, v58
	v_mov_b32_dpp v59, v57 row_shr:2 row_mask:0xf bank_mask:0xf
	v_cndmask_b32_e64 v59, 0, v59, s[4:5]
	v_add_u32_e32 v57, v57, v59
	s_nop 1
	v_mov_b32_dpp v59, v57 row_shr:4 row_mask:0xf bank_mask:0xf
	v_cndmask_b32_e64 v59, 0, v59, s[6:7]
	v_add_u32_e32 v57, v57, v59
	s_nop 1
	v_mov_b32_dpp v59, v57 row_shr:8 row_mask:0xf bank_mask:0xf
	v_cndmask_b32_e64 v58, 0, v59, s[8:9]
	v_add_u32_e32 v57, v57, v58
	v_bfe_i32 v59, v13, 4, 1
	s_nop 0
	v_mov_b32_dpp v58, v57 row_bcast:15 row_mask:0xf bank_mask:0xf
	v_and_b32_e32 v58, v59, v58
	v_add_u32_e32 v57, v57, v58
	v_and_b32_e32 v59, 63, v2
	s_nop 0
	v_mov_b32_dpp v58, v57 row_bcast:31 row_mask:0xf bank_mask:0xf
	v_cndmask_b32_e64 v58, 0, v58, s[12:13]
	v_add_u32_e32 v57, v57, v58
	v_lshrrev_b32_e32 v58, 6, v2
	v_cmp_eq_u32_e64 s[12:13], 63, v59
	s_and_saveexec_b64 s[14:15], s[12:13]
	s_cbranch_execz .LBB1349_55
; %bb.54:
	v_lshlrev_b32_e32 v59, 2, v58
	ds_write_b32 v59, v57
.LBB1349_55:
	s_or_b64 exec, exec, s[14:15]
	v_cmp_gt_u32_e64 s[12:13], 16, v2
	s_waitcnt lgkmcnt(0)
	s_barrier
	s_and_saveexec_b64 s[14:15], s[12:13]
	s_cbranch_execz .LBB1349_57
; %bb.56:
	v_lshlrev_b32_e32 v59, 2, v2
	ds_read_b32 v60, v59
	s_waitcnt lgkmcnt(0)
	s_nop 0
	v_mov_b32_dpp v61, v60 row_shr:1 row_mask:0xf bank_mask:0xf
	v_cndmask_b32_e64 v61, v61, 0, vcc
	v_add_u32_e32 v60, v61, v60
	s_nop 1
	v_mov_b32_dpp v61, v60 row_shr:2 row_mask:0xf bank_mask:0xf
	v_cndmask_b32_e64 v61, 0, v61, s[4:5]
	v_add_u32_e32 v60, v60, v61
	s_nop 1
	v_mov_b32_dpp v61, v60 row_shr:4 row_mask:0xf bank_mask:0xf
	v_cndmask_b32_e64 v61, 0, v61, s[6:7]
	;; [unrolled: 4-line block ×3, first 2 shown]
	v_add_u32_e32 v60, v60, v61
	ds_write_b32 v59, v60
.LBB1349_57:
	s_or_b64 exec, exec, s[14:15]
	v_cmp_lt_u32_e32 vcc, 63, v2
	v_mov_b32_e32 v59, 0
	s_waitcnt lgkmcnt(0)
	s_barrier
	s_and_saveexec_b64 s[4:5], vcc
	s_cbranch_execz .LBB1349_59
; %bb.58:
	v_lshl_add_u32 v58, v58, 2, -4
	ds_read_b32 v59, v58
.LBB1349_59:
	s_or_b64 exec, exec, s[4:5]
	v_add_u32_e32 v58, -1, v13
	v_and_b32_e32 v60, 64, v13
	v_cmp_lt_i32_e32 vcc, v58, v60
	s_waitcnt lgkmcnt(0)
	v_add_u32_e32 v57, v59, v57
	s_movk_i32 s4, 0x100
	v_cndmask_b32_e32 v58, v58, v13, vcc
	v_lshlrev_b32_e32 v58, 2, v58
	ds_bpermute_b32 v57, v58, v57
	v_cmp_eq_u32_e32 vcc, 0, v13
	s_waitcnt lgkmcnt(0)
	s_nop 0
	v_cndmask_b32_e32 v13, v57, v59, vcc
	v_cndmask_b32_e64 v13, v13, 0, s[10:11]
	v_add_u32_e32 v6, v13, v6
	v_add_u32_e32 v7, v6, v7
	;; [unrolled: 1-line block ×4, first 2 shown]
	ds_write2_b32 v20, v13, v6 offset0:16 offset1:17
	ds_write2_b32 v55, v7, v4 offset0:2 offset1:3
	ds_write_b32 v55, v5 offset:16
	s_waitcnt lgkmcnt(0)
	s_barrier
	ds_read_b32 v59, v23 offset:64
	ds_read_b32 v58, v24 offset:64
	;; [unrolled: 1-line block ×12, first 2 shown]
	v_cmp_gt_u32_e32 vcc, s4, v2
                                        ; implicit-def: $vgpr13
                                        ; implicit-def: $vgpr20
	s_and_saveexec_b64 s[6:7], vcc
	s_cbranch_execz .LBB1349_63
; %bb.60:
	v_mul_u32_u24_e32 v13, 17, v2
	v_lshlrev_b32_e32 v34, 2, v13
	ds_read_b32 v13, v34 offset:64
	s_movk_i32 s4, 0xff
	v_cmp_ne_u32_e64 s[4:5], s4, v2
	v_mov_b32_e32 v20, 0x3000
	s_and_saveexec_b64 s[8:9], s[4:5]
	s_cbranch_execz .LBB1349_62
; %bb.61:
	ds_read_b32 v20, v34 offset:132
.LBB1349_62:
	s_or_b64 exec, exec, s[8:9]
	s_waitcnt lgkmcnt(0)
	v_sub_u32_e32 v20, v20, v13
.LBB1349_63:
	s_or_b64 exec, exec, s[6:7]
	v_add_u32_e32 v22, v25, v22
	s_waitcnt lgkmcnt(11)
	v_add_lshl_u32 v21, v59, v21, 1
	v_add_u32_e32 v26, v28, v26
	s_waitcnt lgkmcnt(0)
	s_barrier
	ds_write_b16 v21, v8 offset:1024
	v_add_lshl_u32 v8, v22, v58, 1
	v_add_u32_e32 v29, v32, v29
	ds_write_b16 v8, v3 offset:1024
	v_add_lshl_u32 v3, v26, v57, 1
	v_add_u32_e32 v33, v35, v33
	;; [unrolled: 3-line block ×9, first 2 shown]
	ds_write_b16 v3, v16 offset:1024
	v_add_lshl_u32 v3, v34, v5, 1
	ds_write_b16 v3, v19 offset:1024
	v_add_lshl_u32 v3, v30, v4, 1
	ds_write_b16 v3, v18 offset:1024
	s_and_saveexec_b64 s[6:7], vcc
	s_cbranch_execz .LBB1349_73
; %bb.64:
	v_lshl_or_b32 v6, s27, 8, v2
	v_mov_b32_e32 v7, 0
	v_lshl_add_u64 v[4:5], v[6:7], 2, s[18:19]
	v_or_b32_e32 v3, 2.0, v20
	global_store_dword v[4:5], v3, off sc1
	s_mov_b64 s[8:9], 0
	s_brev_b32 s16, 1
	s_mov_b32 s17, s27
	v_mov_b32_e32 v3, 0
                                        ; implicit-def: $sgpr4_sgpr5
	s_branch .LBB1349_66
.LBB1349_65:                            ;   in Loop: Header=BB1349_66 Depth=1
	s_or_b64 exec, exec, s[12:13]
	v_and_b32_e32 v8, 0x3fffffff, v10
	v_add_u32_e32 v3, v8, v3
	v_cmp_eq_u32_e64 s[4:5], s16, v6
	s_and_b64 s[12:13], exec, s[4:5]
	s_or_b64 s[8:9], s[12:13], s[8:9]
	s_andn2_b64 exec, exec, s[8:9]
	s_cbranch_execz .LBB1349_72
.LBB1349_66:                            ; =>This Loop Header: Depth=1
                                        ;     Child Loop BB1349_69 Depth 2
	s_or_b64 s[4:5], s[4:5], exec
	s_cmp_eq_u32 s17, 0
	s_cbranch_scc1 .LBB1349_71
; %bb.67:                               ;   in Loop: Header=BB1349_66 Depth=1
	s_add_i32 s17, s17, -1
	v_lshl_or_b32 v6, s17, 8, v2
	v_lshl_add_u64 v[8:9], v[6:7], 2, s[18:19]
	global_load_dword v10, v[8:9], off sc1
	s_waitcnt vmcnt(0)
	v_and_b32_e32 v6, -2.0, v10
	v_cmp_eq_u32_e64 s[4:5], 0, v6
	s_and_saveexec_b64 s[12:13], s[4:5]
	s_cbranch_execz .LBB1349_65
; %bb.68:                               ;   in Loop: Header=BB1349_66 Depth=1
	s_mov_b64 s[14:15], 0
.LBB1349_69:                            ;   Parent Loop BB1349_66 Depth=1
                                        ; =>  This Inner Loop Header: Depth=2
	global_load_dword v10, v[8:9], off sc1
	s_waitcnt vmcnt(0)
	v_and_b32_e32 v6, -2.0, v10
	v_cmp_ne_u32_e64 s[4:5], 0, v6
	s_or_b64 s[14:15], s[4:5], s[14:15]
	s_andn2_b64 exec, exec, s[14:15]
	s_cbranch_execnz .LBB1349_69
; %bb.70:                               ;   in Loop: Header=BB1349_66 Depth=1
	s_or_b64 exec, exec, s[14:15]
	s_branch .LBB1349_65
.LBB1349_71:                            ;   in Loop: Header=BB1349_66 Depth=1
                                        ; implicit-def: $sgpr17
	s_and_b64 s[12:13], exec, s[4:5]
	s_or_b64 s[8:9], s[12:13], s[8:9]
	s_andn2_b64 exec, exec, s[8:9]
	s_cbranch_execnz .LBB1349_66
.LBB1349_72:
	s_or_b64 exec, exec, s[8:9]
	v_add_u32_e32 v6, v3, v20
	v_or_b32_e32 v6, 0x80000000, v6
	global_store_dword v[4:5], v6, off sc1
	v_lshlrev_b32_e32 v4, 2, v2
	global_load_dword v5, v4, s[20:21]
	v_sub_u32_e32 v3, v3, v13
	s_waitcnt vmcnt(0)
	v_add_u32_e32 v3, v3, v5
	ds_write_b32 v4, v3
.LBB1349_73:
	s_or_b64 exec, exec, s[6:7]
	v_cmp_gt_u32_e64 s[4:5], s3, v2
	s_waitcnt lgkmcnt(0)
	s_barrier
	s_and_saveexec_b64 s[6:7], s[4:5]
	s_cbranch_execz .LBB1349_75
; %bb.74:
	v_lshlrev_b32_e32 v3, 1, v2
	ds_read_u16 v3, v3 offset:1024
	v_mov_b32_e32 v5, 0
	s_waitcnt lgkmcnt(0)
	v_lshrrev_b32_sdwa v4, s24, v3 dst_sel:DWORD dst_unused:UNUSED_PAD src0_sel:DWORD src1_sel:WORD_0
	v_and_b32_e32 v4, s33, v4
	v_lshlrev_b32_e32 v4, 2, v4
	ds_read_b32 v4, v4
	s_waitcnt lgkmcnt(0)
	v_add_u32_e32 v4, v4, v2
	v_lshl_add_u64 v[4:5], v[4:5], 1, s[30:31]
	global_store_short v[4:5], v3, off
.LBB1349_75:
	s_or_b64 exec, exec, s[6:7]
	v_or_b32_e32 v3, 0x400, v2
	v_cmp_gt_u32_e64 s[4:5], s3, v3
	s_and_saveexec_b64 s[6:7], s[4:5]
	s_cbranch_execz .LBB1349_77
; %bb.76:
	v_lshlrev_b32_e32 v4, 1, v2
	ds_read_u16 v6, v4 offset:3072
	v_mov_b32_e32 v5, 0
	s_waitcnt lgkmcnt(0)
	v_lshrrev_b32_sdwa v4, s24, v6 dst_sel:DWORD dst_unused:UNUSED_PAD src0_sel:DWORD src1_sel:WORD_0
	v_and_b32_e32 v4, s33, v4
	v_lshlrev_b32_e32 v4, 2, v4
	ds_read_b32 v4, v4
	s_waitcnt lgkmcnt(0)
	v_add_u32_e32 v4, v4, v3
	v_lshl_add_u64 v[4:5], v[4:5], 1, s[30:31]
	global_store_short v[4:5], v6, off
.LBB1349_77:
	s_or_b64 exec, exec, s[6:7]
	v_or_b32_e32 v3, 0x800, v2
	v_cmp_gt_u32_e64 s[4:5], s3, v3
	s_and_saveexec_b64 s[6:7], s[4:5]
	s_cbranch_execz .LBB1349_79
; %bb.78:
	v_lshlrev_b32_e32 v4, 1, v2
	ds_read_u16 v6, v4 offset:5120
	v_mov_b32_e32 v5, 0
	s_waitcnt lgkmcnt(0)
	v_lshrrev_b32_sdwa v4, s24, v6 dst_sel:DWORD dst_unused:UNUSED_PAD src0_sel:DWORD src1_sel:WORD_0
	v_and_b32_e32 v4, s33, v4
	v_lshlrev_b32_e32 v4, 2, v4
	ds_read_b32 v4, v4
	s_waitcnt lgkmcnt(0)
	v_add_u32_e32 v4, v4, v3
	v_lshl_add_u64 v[4:5], v[4:5], 1, s[30:31]
	global_store_short v[4:5], v6, off
.LBB1349_79:
	s_or_b64 exec, exec, s[6:7]
	v_or_b32_e32 v3, 0xc00, v2
	v_cmp_gt_u32_e64 s[4:5], s3, v3
	s_and_saveexec_b64 s[6:7], s[4:5]
	s_cbranch_execz .LBB1349_81
; %bb.80:
	v_lshlrev_b32_e32 v4, 1, v2
	ds_read_u16 v6, v4 offset:7168
	v_mov_b32_e32 v5, 0
	s_waitcnt lgkmcnt(0)
	v_lshrrev_b32_sdwa v4, s24, v6 dst_sel:DWORD dst_unused:UNUSED_PAD src0_sel:DWORD src1_sel:WORD_0
	v_and_b32_e32 v4, s33, v4
	v_lshlrev_b32_e32 v4, 2, v4
	ds_read_b32 v4, v4
	s_waitcnt lgkmcnt(0)
	v_add_u32_e32 v4, v4, v3
	v_lshl_add_u64 v[4:5], v[4:5], 1, s[30:31]
	global_store_short v[4:5], v6, off
.LBB1349_81:
	s_or_b64 exec, exec, s[6:7]
	v_or_b32_e32 v3, 0x1000, v2
	v_cmp_gt_u32_e64 s[4:5], s3, v3
	s_and_saveexec_b64 s[6:7], s[4:5]
	s_cbranch_execz .LBB1349_83
; %bb.82:
	v_lshlrev_b32_e32 v4, 1, v2
	ds_read_u16 v6, v4 offset:9216
	v_mov_b32_e32 v5, 0
	s_waitcnt lgkmcnt(0)
	v_lshrrev_b32_sdwa v4, s24, v6 dst_sel:DWORD dst_unused:UNUSED_PAD src0_sel:DWORD src1_sel:WORD_0
	v_and_b32_e32 v4, s33, v4
	v_lshlrev_b32_e32 v4, 2, v4
	ds_read_b32 v4, v4
	s_waitcnt lgkmcnt(0)
	v_add_u32_e32 v4, v4, v3
	v_lshl_add_u64 v[4:5], v[4:5], 1, s[30:31]
	global_store_short v[4:5], v6, off
.LBB1349_83:
	s_or_b64 exec, exec, s[6:7]
	v_or_b32_e32 v3, 0x1400, v2
	v_cmp_gt_u32_e64 s[4:5], s3, v3
	s_and_saveexec_b64 s[6:7], s[4:5]
	s_cbranch_execz .LBB1349_85
; %bb.84:
	v_lshlrev_b32_e32 v4, 1, v2
	ds_read_u16 v6, v4 offset:11264
	v_mov_b32_e32 v5, 0
	s_waitcnt lgkmcnt(0)
	v_lshrrev_b32_sdwa v4, s24, v6 dst_sel:DWORD dst_unused:UNUSED_PAD src0_sel:DWORD src1_sel:WORD_0
	v_and_b32_e32 v4, s33, v4
	v_lshlrev_b32_e32 v4, 2, v4
	ds_read_b32 v4, v4
	s_waitcnt lgkmcnt(0)
	v_add_u32_e32 v4, v4, v3
	v_lshl_add_u64 v[4:5], v[4:5], 1, s[30:31]
	global_store_short v[4:5], v6, off
.LBB1349_85:
	s_or_b64 exec, exec, s[6:7]
	v_or_b32_e32 v3, 0x1800, v2
	v_cmp_gt_u32_e64 s[4:5], s3, v3
	s_and_saveexec_b64 s[6:7], s[4:5]
	s_cbranch_execz .LBB1349_87
; %bb.86:
	v_lshlrev_b32_e32 v4, 1, v2
	ds_read_u16 v6, v4 offset:13312
	v_mov_b32_e32 v5, 0
	s_waitcnt lgkmcnt(0)
	v_lshrrev_b32_sdwa v4, s24, v6 dst_sel:DWORD dst_unused:UNUSED_PAD src0_sel:DWORD src1_sel:WORD_0
	v_and_b32_e32 v4, s33, v4
	v_lshlrev_b32_e32 v4, 2, v4
	ds_read_b32 v4, v4
	s_waitcnt lgkmcnt(0)
	v_add_u32_e32 v4, v4, v3
	v_lshl_add_u64 v[4:5], v[4:5], 1, s[30:31]
	global_store_short v[4:5], v6, off
.LBB1349_87:
	s_or_b64 exec, exec, s[6:7]
	v_or_b32_e32 v3, 0x1c00, v2
	v_cmp_gt_u32_e64 s[4:5], s3, v3
	s_and_saveexec_b64 s[6:7], s[4:5]
	s_cbranch_execz .LBB1349_89
; %bb.88:
	v_lshlrev_b32_e32 v4, 1, v2
	ds_read_u16 v6, v4 offset:15360
	v_mov_b32_e32 v5, 0
	s_waitcnt lgkmcnt(0)
	v_lshrrev_b32_sdwa v4, s24, v6 dst_sel:DWORD dst_unused:UNUSED_PAD src0_sel:DWORD src1_sel:WORD_0
	v_and_b32_e32 v4, s33, v4
	v_lshlrev_b32_e32 v4, 2, v4
	ds_read_b32 v4, v4
	s_waitcnt lgkmcnt(0)
	v_add_u32_e32 v4, v4, v3
	v_lshl_add_u64 v[4:5], v[4:5], 1, s[30:31]
	global_store_short v[4:5], v6, off
.LBB1349_89:
	s_or_b64 exec, exec, s[6:7]
	v_or_b32_e32 v3, 0x2000, v2
	v_cmp_gt_u32_e64 s[4:5], s3, v3
	s_and_saveexec_b64 s[6:7], s[4:5]
	s_cbranch_execz .LBB1349_91
; %bb.90:
	v_lshlrev_b32_e32 v4, 1, v2
	ds_read_u16 v6, v4 offset:17408
	v_mov_b32_e32 v5, 0
	s_waitcnt lgkmcnt(0)
	v_lshrrev_b32_sdwa v4, s24, v6 dst_sel:DWORD dst_unused:UNUSED_PAD src0_sel:DWORD src1_sel:WORD_0
	v_and_b32_e32 v4, s33, v4
	v_lshlrev_b32_e32 v4, 2, v4
	ds_read_b32 v4, v4
	s_waitcnt lgkmcnt(0)
	v_add_u32_e32 v4, v4, v3
	v_lshl_add_u64 v[4:5], v[4:5], 1, s[30:31]
	global_store_short v[4:5], v6, off
.LBB1349_91:
	s_or_b64 exec, exec, s[6:7]
	v_or_b32_e32 v3, 0x2400, v2
	v_cmp_gt_u32_e64 s[4:5], s3, v3
	s_and_saveexec_b64 s[6:7], s[4:5]
	s_cbranch_execz .LBB1349_93
; %bb.92:
	v_lshlrev_b32_e32 v4, 1, v2
	ds_read_u16 v6, v4 offset:19456
	v_mov_b32_e32 v5, 0
	s_waitcnt lgkmcnt(0)
	v_lshrrev_b32_sdwa v4, s24, v6 dst_sel:DWORD dst_unused:UNUSED_PAD src0_sel:DWORD src1_sel:WORD_0
	v_and_b32_e32 v4, s33, v4
	v_lshlrev_b32_e32 v4, 2, v4
	ds_read_b32 v4, v4
	s_waitcnt lgkmcnt(0)
	v_add_u32_e32 v4, v4, v3
	v_lshl_add_u64 v[4:5], v[4:5], 1, s[30:31]
	global_store_short v[4:5], v6, off
.LBB1349_93:
	s_or_b64 exec, exec, s[6:7]
	v_or_b32_e32 v3, 0x2800, v2
	v_cmp_gt_u32_e64 s[4:5], s3, v3
	s_and_saveexec_b64 s[6:7], s[4:5]
	s_cbranch_execz .LBB1349_95
; %bb.94:
	v_lshlrev_b32_e32 v4, 1, v2
	ds_read_u16 v6, v4 offset:21504
	v_mov_b32_e32 v5, 0
	s_waitcnt lgkmcnt(0)
	v_lshrrev_b32_sdwa v4, s24, v6 dst_sel:DWORD dst_unused:UNUSED_PAD src0_sel:DWORD src1_sel:WORD_0
	v_and_b32_e32 v4, s33, v4
	v_lshlrev_b32_e32 v4, 2, v4
	ds_read_b32 v4, v4
	s_waitcnt lgkmcnt(0)
	v_add_u32_e32 v4, v4, v3
	v_lshl_add_u64 v[4:5], v[4:5], 1, s[30:31]
	global_store_short v[4:5], v6, off
.LBB1349_95:
	s_or_b64 exec, exec, s[6:7]
	v_or_b32_e32 v3, 0x2c00, v2
	v_cmp_gt_u32_e64 s[4:5], s3, v3
	s_and_saveexec_b64 s[6:7], s[4:5]
	s_cbranch_execz .LBB1349_97
; %bb.96:
	v_lshlrev_b32_e32 v4, 1, v2
	ds_read_u16 v6, v4 offset:23552
	v_mov_b32_e32 v5, 0
	s_waitcnt lgkmcnt(0)
	v_lshrrev_b32_sdwa v4, s24, v6 dst_sel:DWORD dst_unused:UNUSED_PAD src0_sel:DWORD src1_sel:WORD_0
	v_and_b32_e32 v4, s33, v4
	v_lshlrev_b32_e32 v4, 2, v4
	ds_read_b32 v4, v4
	s_waitcnt lgkmcnt(0)
	v_add_u32_e32 v4, v4, v3
	v_lshl_add_u64 v[4:5], v[4:5], 1, s[30:31]
	global_store_short v[4:5], v6, off
.LBB1349_97:
	s_or_b64 exec, exec, s[6:7]
	s_add_i32 s26, s26, -1
	s_cmp_eq_u32 s26, s27
	s_cselect_b64 s[4:5], -1, 0
	s_and_b64 s[6:7], vcc, s[4:5]
	s_mov_b64 s[4:5], 0
	s_mov_b64 s[8:9], 0
                                        ; implicit-def: $vgpr4
	s_and_saveexec_b64 s[12:13], s[6:7]
	s_xor_b64 s[6:7], exec, s[12:13]
; %bb.98:
	s_mov_b64 s[8:9], exec
	v_add_u32_e32 v4, v13, v20
	v_mov_b32_e32 v3, 0
; %bb.99:
	s_or_b64 exec, exec, s[6:7]
	s_and_b64 vcc, exec, s[4:5]
	s_cbranch_vccnz .LBB1349_101
	s_branch .LBB1349_150
.LBB1349_100:
	s_mov_b64 s[8:9], 0
                                        ; implicit-def: $vgpr4
	s_cbranch_execz .LBB1349_150
.LBB1349_101:
	s_mov_b32 s35, 0
	s_lshl_b64 s[4:5], s[34:35], 1
	v_mbcnt_hi_u32_b32 v6, -1, v1
	s_add_u32 s4, s28, s4
	v_and_b32_e32 v1, 63, v6
	v_and_b32_e32 v3, 0x3c0, v2
	s_addc_u32 s5, s29, s5
	v_mov_b32_e32 v5, 0
	v_mul_u32_u24_e32 v3, 12, v3
	v_lshlrev_b32_e32 v4, 1, v1
	v_lshl_add_u64 v[8:9], s[4:5], 0, v[4:5]
	v_lshlrev_b32_e32 v4, 1, v3
	v_lshl_add_u64 v[20:21], v[8:9], 0, v[4:5]
	global_load_ushort v3, v[20:21], off
	s_load_dword s3, s[0:1], 0x64
	s_load_dword s14, s[0:1], 0x58
	s_add_u32 s0, s0, 0x58
	s_addc_u32 s1, s1, 0
	v_bfe_u32 v1, v0, 10, 10
	s_waitcnt lgkmcnt(0)
	s_lshr_b32 s3, s3, 16
	s_cmp_lt_u32 s2, s14
	s_cselect_b32 s2, 12, 18
	s_add_u32 s0, s0, s2
	s_addc_u32 s1, s1, 0
	global_load_ushort v19, v5, s[0:1]
	v_bfe_u32 v4, v0, 20, 10
	v_mul_u32_u24_e32 v0, 5, v2
	v_lshlrev_b32_e32 v18, 2, v0
	ds_write2_b32 v18, v5, v5 offset0:16 offset1:17
	ds_write2_b32 v18, v5, v5 offset0:18 offset1:19
	ds_write_b32 v18, v5 offset:80
	global_load_ushort v17, v[20:21], off offset:128
	global_load_ushort v16, v[20:21], off offset:256
	;; [unrolled: 1-line block ×11, first 2 shown]
	s_lshl_b32 s0, -1, s25
	v_mad_u32_u24 v28, v4, s3, v1
	s_not_b32 s15, s0
	v_mov_b32_e32 v0, v5
	v_mov_b32_e32 v22, v5
	;; [unrolled: 1-line block ×4, first 2 shown]
	s_waitcnt lgkmcnt(0)
	s_barrier
	s_waitcnt lgkmcnt(0)
	; wave barrier
	s_waitcnt vmcnt(12)
	v_lshrrev_b32_sdwa v1, s24, v3 dst_sel:DWORD dst_unused:UNUSED_PAD src0_sel:DWORD src1_sel:WORD_0
	v_and_b32_e32 v29, s15, v1
	v_and_b32_e32 v4, 1, v29
	v_lshlrev_b32_e32 v1, 30, v29
	v_lshlrev_b32_e32 v23, 29, v29
	v_lshl_add_u64 v[20:21], v[4:5], 0, -1
	v_cmp_ne_u32_e32 vcc, 0, v4
	v_cmp_gt_i64_e64 s[0:1], 0, v[0:1]
	v_not_b32_e32 v4, v1
	v_lshlrev_b32_e32 v25, 28, v29
	s_waitcnt vmcnt(11)
	v_mad_u64_u32 v[0:1], s[12:13], v28, v19, v[2:3]
	v_lshlrev_b32_e32 v27, 27, v29
	v_cmp_gt_i64_e64 s[2:3], 0, v[22:23]
	v_not_b32_e32 v22, v23
	v_xor_b32_e32 v1, vcc_hi, v21
	v_xor_b32_e32 v19, vcc_lo, v20
	v_ashrrev_i32_e32 v4, 31, v4
	v_cmp_gt_i64_e64 s[4:5], 0, v[24:25]
	v_not_b32_e32 v23, v25
	v_cmp_gt_i64_e64 s[6:7], 0, v[26:27]
	v_not_b32_e32 v24, v27
	v_ashrrev_i32_e32 v20, 31, v22
	v_lshrrev_b32_e32 v27, 6, v0
	v_and_b32_e32 v0, exec_hi, v1
	v_and_b32_e32 v1, exec_lo, v19
	v_xor_b32_e32 v19, s1, v4
	v_xor_b32_e32 v4, s0, v4
	v_ashrrev_i32_e32 v21, 31, v23
	v_ashrrev_i32_e32 v22, 31, v24
	v_xor_b32_e32 v23, s3, v20
	v_xor_b32_e32 v24, s2, v20
	v_and_b32_e32 v0, v0, v19
	v_and_b32_e32 v1, v1, v4
	v_xor_b32_e32 v25, s5, v21
	v_xor_b32_e32 v21, s4, v21
	v_and_b32_e32 v0, v0, v23
	v_and_b32_e32 v1, v1, v24
	v_xor_b32_e32 v26, s7, v22
	v_and_b32_e32 v0, v0, v25
	v_and_b32_e32 v1, v1, v21
	;; [unrolled: 3-line block ×3, first 2 shown]
	v_lshlrev_b32_e32 v1, 26, v29
	v_mov_b32_e32 v0, v5
	v_cmp_gt_i64_e32 vcc, 0, v[0:1]
	v_not_b32_e32 v0, v1
	v_ashrrev_i32_e32 v0, 31, v0
	v_xor_b32_e32 v1, vcc_hi, v0
	v_xor_b32_e32 v0, vcc_lo, v0
	v_and_b32_e32 v19, v19, v1
	v_and_b32_e32 v4, v4, v0
	v_lshlrev_b32_e32 v1, 25, v29
	v_mov_b32_e32 v0, v5
	v_cmp_gt_i64_e32 vcc, 0, v[0:1]
	v_not_b32_e32 v0, v1
	v_ashrrev_i32_e32 v0, 31, v0
	v_xor_b32_e32 v1, vcc_hi, v0
	v_xor_b32_e32 v0, vcc_lo, v0
	v_and_b32_e32 v19, v19, v1
	v_and_b32_e32 v4, v4, v0
	;; [unrolled: 9-line block ×3, first 2 shown]
	v_mbcnt_lo_u32_b32 v4, v0, 0
	v_mbcnt_hi_u32_b32 v19, v1, v4
	v_mul_u32_u24_e32 v30, 17, v29
	v_cmp_eq_u32_e32 vcc, 0, v19
	v_cmp_ne_u64_e64 s[0:1], 0, v[0:1]
	v_add_lshl_u32 v20, v27, v30, 2
	s_and_b64 s[2:3], s[0:1], vcc
	s_and_saveexec_b64 s[0:1], s[2:3]
	s_cbranch_execz .LBB1349_103
; %bb.102:
	v_bcnt_u32_b32 v0, v0, 0
	v_bcnt_u32_b32 v0, v1, v0
	ds_write_b32 v20, v0 offset:64
.LBB1349_103:
	s_or_b64 exec, exec, s[0:1]
	s_waitcnt vmcnt(10)
	v_lshrrev_b32_sdwa v0, s24, v17 dst_sel:DWORD dst_unused:UNUSED_PAD src0_sel:DWORD src1_sel:WORD_0
	v_and_b32_e32 v23, s15, v0
	v_mul_u32_u24_e32 v0, 17, v23
	v_and_b32_e32 v4, 1, v23
	v_add_lshl_u32 v22, v27, v0, 2
	v_lshl_add_u64 v[0:1], v[4:5], 0, -1
	v_cmp_ne_u32_e32 vcc, 0, v4
	; wave barrier
	s_nop 1
	v_xor_b32_e32 v1, vcc_hi, v1
	v_xor_b32_e32 v0, vcc_lo, v0
	v_and_b32_e32 v4, exec_hi, v1
	v_and_b32_e32 v24, exec_lo, v0
	v_lshlrev_b32_e32 v1, 30, v23
	v_mov_b32_e32 v0, v5
	v_cmp_gt_i64_e32 vcc, 0, v[0:1]
	v_not_b32_e32 v0, v1
	v_ashrrev_i32_e32 v0, 31, v0
	v_xor_b32_e32 v1, vcc_hi, v0
	v_xor_b32_e32 v0, vcc_lo, v0
	v_and_b32_e32 v4, v4, v1
	v_and_b32_e32 v24, v24, v0
	v_lshlrev_b32_e32 v1, 29, v23
	v_mov_b32_e32 v0, v5
	v_cmp_gt_i64_e32 vcc, 0, v[0:1]
	v_not_b32_e32 v0, v1
	v_ashrrev_i32_e32 v0, 31, v0
	v_xor_b32_e32 v1, vcc_hi, v0
	v_xor_b32_e32 v0, vcc_lo, v0
	v_and_b32_e32 v4, v4, v1
	v_and_b32_e32 v24, v24, v0
	;; [unrolled: 9-line block ×6, first 2 shown]
	v_lshlrev_b32_e32 v1, 24, v23
	v_mov_b32_e32 v0, v5
	v_cmp_gt_i64_e32 vcc, 0, v[0:1]
	v_not_b32_e32 v0, v1
	v_ashrrev_i32_e32 v0, 31, v0
	v_xor_b32_e32 v1, vcc_hi, v0
	v_xor_b32_e32 v0, vcc_lo, v0
	ds_read_b32 v21, v22 offset:64
	v_and_b32_e32 v0, v24, v0
	v_and_b32_e32 v1, v4, v1
	v_mbcnt_lo_u32_b32 v4, v0, 0
	v_mbcnt_hi_u32_b32 v23, v1, v4
	v_cmp_eq_u32_e32 vcc, 0, v23
	v_cmp_ne_u64_e64 s[0:1], 0, v[0:1]
	s_and_b64 s[2:3], s[0:1], vcc
	; wave barrier
	s_and_saveexec_b64 s[0:1], s[2:3]
	s_cbranch_execz .LBB1349_105
; %bb.104:
	v_bcnt_u32_b32 v0, v0, 0
	v_bcnt_u32_b32 v0, v1, v0
	s_waitcnt lgkmcnt(0)
	v_add_u32_e32 v0, v21, v0
	ds_write_b32 v22, v0 offset:64
.LBB1349_105:
	s_or_b64 exec, exec, s[0:1]
	s_waitcnt vmcnt(9)
	v_lshrrev_b32_sdwa v0, s24, v16 dst_sel:DWORD dst_unused:UNUSED_PAD src0_sel:DWORD src1_sel:WORD_0
	v_and_b32_e32 v26, s15, v0
	v_mul_u32_u24_e32 v0, 17, v26
	v_add_lshl_u32 v25, v27, v0, 2
	v_and_b32_e32 v0, 1, v26
	v_mov_b32_e32 v1, 0
	v_lshl_add_u64 v[4:5], v[0:1], 0, -1
	v_cmp_ne_u32_e32 vcc, 0, v0
	; wave barrier
	s_nop 1
	v_xor_b32_e32 v4, vcc_lo, v4
	v_xor_b32_e32 v0, vcc_hi, v5
	v_and_b32_e32 v28, exec_lo, v4
	v_lshlrev_b32_e32 v5, 30, v26
	v_mov_b32_e32 v4, v1
	v_cmp_gt_i64_e32 vcc, 0, v[4:5]
	v_not_b32_e32 v4, v5
	v_ashrrev_i32_e32 v4, 31, v4
	v_and_b32_e32 v0, exec_hi, v0
	v_xor_b32_e32 v5, vcc_hi, v4
	v_xor_b32_e32 v4, vcc_lo, v4
	v_and_b32_e32 v0, v0, v5
	v_and_b32_e32 v28, v28, v4
	v_lshlrev_b32_e32 v5, 29, v26
	v_mov_b32_e32 v4, v1
	v_cmp_gt_i64_e32 vcc, 0, v[4:5]
	v_not_b32_e32 v4, v5
	v_ashrrev_i32_e32 v4, 31, v4
	v_xor_b32_e32 v5, vcc_hi, v4
	v_xor_b32_e32 v4, vcc_lo, v4
	v_and_b32_e32 v0, v0, v5
	v_and_b32_e32 v28, v28, v4
	v_lshlrev_b32_e32 v5, 28, v26
	v_mov_b32_e32 v4, v1
	v_cmp_gt_i64_e32 vcc, 0, v[4:5]
	v_not_b32_e32 v4, v5
	v_ashrrev_i32_e32 v4, 31, v4
	;; [unrolled: 9-line block ×6, first 2 shown]
	v_xor_b32_e32 v5, vcc_hi, v4
	v_xor_b32_e32 v4, vcc_lo, v4
	ds_read_b32 v24, v25 offset:64
	v_and_b32_e32 v4, v28, v4
	v_and_b32_e32 v5, v0, v5
	v_mbcnt_lo_u32_b32 v0, v4, 0
	v_mbcnt_hi_u32_b32 v26, v5, v0
	v_cmp_eq_u32_e32 vcc, 0, v26
	v_cmp_ne_u64_e64 s[0:1], 0, v[4:5]
	s_and_b64 s[2:3], s[0:1], vcc
	; wave barrier
	s_and_saveexec_b64 s[0:1], s[2:3]
	s_cbranch_execz .LBB1349_107
; %bb.106:
	v_bcnt_u32_b32 v0, v4, 0
	v_bcnt_u32_b32 v0, v5, v0
	s_waitcnt lgkmcnt(0)
	v_add_u32_e32 v0, v24, v0
	ds_write_b32 v25, v0 offset:64
.LBB1349_107:
	s_or_b64 exec, exec, s[0:1]
	s_waitcnt vmcnt(8)
	v_lshrrev_b32_sdwa v0, s24, v15 dst_sel:DWORD dst_unused:UNUSED_PAD src0_sel:DWORD src1_sel:WORD_0
	v_and_b32_e32 v30, s15, v0
	v_mul_u32_u24_e32 v0, 17, v30
	v_add_lshl_u32 v29, v27, v0, 2
	v_and_b32_e32 v0, 1, v30
	v_lshl_add_u64 v[4:5], v[0:1], 0, -1
	v_cmp_ne_u32_e32 vcc, 0, v0
	; wave barrier
	s_nop 1
	v_xor_b32_e32 v4, vcc_lo, v4
	v_xor_b32_e32 v0, vcc_hi, v5
	v_and_b32_e32 v31, exec_lo, v4
	v_lshlrev_b32_e32 v5, 30, v30
	v_mov_b32_e32 v4, v1
	v_cmp_gt_i64_e32 vcc, 0, v[4:5]
	v_not_b32_e32 v4, v5
	v_ashrrev_i32_e32 v4, 31, v4
	v_and_b32_e32 v0, exec_hi, v0
	v_xor_b32_e32 v5, vcc_hi, v4
	v_xor_b32_e32 v4, vcc_lo, v4
	v_and_b32_e32 v0, v0, v5
	v_and_b32_e32 v31, v31, v4
	v_lshlrev_b32_e32 v5, 29, v30
	v_mov_b32_e32 v4, v1
	v_cmp_gt_i64_e32 vcc, 0, v[4:5]
	v_not_b32_e32 v4, v5
	v_ashrrev_i32_e32 v4, 31, v4
	v_xor_b32_e32 v5, vcc_hi, v4
	v_xor_b32_e32 v4, vcc_lo, v4
	v_and_b32_e32 v0, v0, v5
	v_and_b32_e32 v31, v31, v4
	v_lshlrev_b32_e32 v5, 28, v30
	v_mov_b32_e32 v4, v1
	v_cmp_gt_i64_e32 vcc, 0, v[4:5]
	v_not_b32_e32 v4, v5
	v_ashrrev_i32_e32 v4, 31, v4
	;; [unrolled: 9-line block ×5, first 2 shown]
	v_xor_b32_e32 v5, vcc_hi, v4
	v_xor_b32_e32 v4, vcc_lo, v4
	v_and_b32_e32 v0, v0, v5
	v_lshlrev_b32_e32 v5, 24, v30
	v_and_b32_e32 v31, v31, v4
	v_mov_b32_e32 v4, v1
	v_not_b32_e32 v1, v5
	v_cmp_gt_i64_e32 vcc, 0, v[4:5]
	v_ashrrev_i32_e32 v1, 31, v1
	ds_read_b32 v28, v29 offset:64
	v_xor_b32_e32 v4, vcc_hi, v1
	v_xor_b32_e32 v5, vcc_lo, v1
	v_and_b32_e32 v1, v0, v4
	v_and_b32_e32 v0, v31, v5
	v_mbcnt_lo_u32_b32 v4, v0, 0
	v_mbcnt_hi_u32_b32 v30, v1, v4
	v_cmp_eq_u32_e32 vcc, 0, v30
	v_cmp_ne_u64_e64 s[0:1], 0, v[0:1]
	s_and_b64 s[2:3], s[0:1], vcc
	; wave barrier
	s_and_saveexec_b64 s[0:1], s[2:3]
	s_cbranch_execz .LBB1349_109
; %bb.108:
	v_bcnt_u32_b32 v0, v0, 0
	v_bcnt_u32_b32 v0, v1, v0
	s_waitcnt lgkmcnt(0)
	v_add_u32_e32 v0, v28, v0
	ds_write_b32 v29, v0 offset:64
.LBB1349_109:
	s_or_b64 exec, exec, s[0:1]
	s_waitcnt vmcnt(7)
	v_lshrrev_b32_sdwa v0, s24, v14 dst_sel:DWORD dst_unused:UNUSED_PAD src0_sel:DWORD src1_sel:WORD_0
	v_and_b32_e32 v33, s15, v0
	v_mul_u32_u24_e32 v0, 17, v33
	v_add_lshl_u32 v32, v27, v0, 2
	v_and_b32_e32 v0, 1, v33
	v_mov_b32_e32 v1, 0
	v_lshl_add_u64 v[4:5], v[0:1], 0, -1
	v_cmp_ne_u32_e32 vcc, 0, v0
	; wave barrier
	s_nop 1
	v_xor_b32_e32 v4, vcc_lo, v4
	v_xor_b32_e32 v0, vcc_hi, v5
	v_and_b32_e32 v34, exec_lo, v4
	v_lshlrev_b32_e32 v5, 30, v33
	v_mov_b32_e32 v4, v1
	v_cmp_gt_i64_e32 vcc, 0, v[4:5]
	v_not_b32_e32 v4, v5
	v_ashrrev_i32_e32 v4, 31, v4
	v_and_b32_e32 v0, exec_hi, v0
	v_xor_b32_e32 v5, vcc_hi, v4
	v_xor_b32_e32 v4, vcc_lo, v4
	v_and_b32_e32 v0, v0, v5
	v_and_b32_e32 v34, v34, v4
	v_lshlrev_b32_e32 v5, 29, v33
	v_mov_b32_e32 v4, v1
	v_cmp_gt_i64_e32 vcc, 0, v[4:5]
	v_not_b32_e32 v4, v5
	v_ashrrev_i32_e32 v4, 31, v4
	v_xor_b32_e32 v5, vcc_hi, v4
	v_xor_b32_e32 v4, vcc_lo, v4
	v_and_b32_e32 v0, v0, v5
	v_and_b32_e32 v34, v34, v4
	v_lshlrev_b32_e32 v5, 28, v33
	v_mov_b32_e32 v4, v1
	v_cmp_gt_i64_e32 vcc, 0, v[4:5]
	v_not_b32_e32 v4, v5
	v_ashrrev_i32_e32 v4, 31, v4
	;; [unrolled: 9-line block ×6, first 2 shown]
	v_xor_b32_e32 v5, vcc_hi, v4
	v_xor_b32_e32 v4, vcc_lo, v4
	ds_read_b32 v31, v32 offset:64
	v_and_b32_e32 v4, v34, v4
	v_and_b32_e32 v5, v0, v5
	v_mbcnt_lo_u32_b32 v0, v4, 0
	v_mbcnt_hi_u32_b32 v33, v5, v0
	v_cmp_eq_u32_e32 vcc, 0, v33
	v_cmp_ne_u64_e64 s[0:1], 0, v[4:5]
	s_and_b64 s[2:3], s[0:1], vcc
	; wave barrier
	s_and_saveexec_b64 s[0:1], s[2:3]
	s_cbranch_execz .LBB1349_111
; %bb.110:
	v_bcnt_u32_b32 v0, v4, 0
	v_bcnt_u32_b32 v0, v5, v0
	s_waitcnt lgkmcnt(0)
	v_add_u32_e32 v0, v31, v0
	ds_write_b32 v32, v0 offset:64
.LBB1349_111:
	s_or_b64 exec, exec, s[0:1]
	s_waitcnt vmcnt(6)
	v_lshrrev_b32_sdwa v0, s24, v13 dst_sel:DWORD dst_unused:UNUSED_PAD src0_sel:DWORD src1_sel:WORD_0
	v_and_b32_e32 v36, s15, v0
	v_mul_u32_u24_e32 v0, 17, v36
	v_add_lshl_u32 v35, v27, v0, 2
	v_and_b32_e32 v0, 1, v36
	v_lshl_add_u64 v[4:5], v[0:1], 0, -1
	v_cmp_ne_u32_e32 vcc, 0, v0
	; wave barrier
	s_nop 1
	v_xor_b32_e32 v4, vcc_lo, v4
	v_xor_b32_e32 v0, vcc_hi, v5
	v_and_b32_e32 v37, exec_lo, v4
	v_lshlrev_b32_e32 v5, 30, v36
	v_mov_b32_e32 v4, v1
	v_cmp_gt_i64_e32 vcc, 0, v[4:5]
	v_not_b32_e32 v4, v5
	v_ashrrev_i32_e32 v4, 31, v4
	v_and_b32_e32 v0, exec_hi, v0
	v_xor_b32_e32 v5, vcc_hi, v4
	v_xor_b32_e32 v4, vcc_lo, v4
	v_and_b32_e32 v0, v0, v5
	v_and_b32_e32 v37, v37, v4
	v_lshlrev_b32_e32 v5, 29, v36
	v_mov_b32_e32 v4, v1
	v_cmp_gt_i64_e32 vcc, 0, v[4:5]
	v_not_b32_e32 v4, v5
	v_ashrrev_i32_e32 v4, 31, v4
	v_xor_b32_e32 v5, vcc_hi, v4
	v_xor_b32_e32 v4, vcc_lo, v4
	v_and_b32_e32 v0, v0, v5
	v_and_b32_e32 v37, v37, v4
	v_lshlrev_b32_e32 v5, 28, v36
	v_mov_b32_e32 v4, v1
	v_cmp_gt_i64_e32 vcc, 0, v[4:5]
	v_not_b32_e32 v4, v5
	v_ashrrev_i32_e32 v4, 31, v4
	;; [unrolled: 9-line block ×5, first 2 shown]
	v_xor_b32_e32 v5, vcc_hi, v4
	v_xor_b32_e32 v4, vcc_lo, v4
	v_and_b32_e32 v0, v0, v5
	v_lshlrev_b32_e32 v5, 24, v36
	v_and_b32_e32 v37, v37, v4
	v_mov_b32_e32 v4, v1
	v_not_b32_e32 v1, v5
	v_cmp_gt_i64_e32 vcc, 0, v[4:5]
	v_ashrrev_i32_e32 v1, 31, v1
	ds_read_b32 v34, v35 offset:64
	v_xor_b32_e32 v4, vcc_hi, v1
	v_xor_b32_e32 v5, vcc_lo, v1
	v_and_b32_e32 v1, v0, v4
	v_and_b32_e32 v0, v37, v5
	v_mbcnt_lo_u32_b32 v4, v0, 0
	v_mbcnt_hi_u32_b32 v36, v1, v4
	v_cmp_eq_u32_e32 vcc, 0, v36
	v_cmp_ne_u64_e64 s[0:1], 0, v[0:1]
	s_and_b64 s[2:3], s[0:1], vcc
	; wave barrier
	s_and_saveexec_b64 s[0:1], s[2:3]
	s_cbranch_execz .LBB1349_113
; %bb.112:
	v_bcnt_u32_b32 v0, v0, 0
	v_bcnt_u32_b32 v0, v1, v0
	s_waitcnt lgkmcnt(0)
	v_add_u32_e32 v0, v34, v0
	ds_write_b32 v35, v0 offset:64
.LBB1349_113:
	s_or_b64 exec, exec, s[0:1]
	s_waitcnt vmcnt(5)
	v_lshrrev_b32_sdwa v0, s24, v12 dst_sel:DWORD dst_unused:UNUSED_PAD src0_sel:DWORD src1_sel:WORD_0
	v_and_b32_e32 v39, s15, v0
	v_mul_u32_u24_e32 v0, 17, v39
	v_add_lshl_u32 v38, v27, v0, 2
	v_and_b32_e32 v0, 1, v39
	v_mov_b32_e32 v1, 0
	v_lshl_add_u64 v[4:5], v[0:1], 0, -1
	v_cmp_ne_u32_e32 vcc, 0, v0
	; wave barrier
	s_nop 1
	v_xor_b32_e32 v4, vcc_lo, v4
	v_xor_b32_e32 v0, vcc_hi, v5
	v_and_b32_e32 v40, exec_lo, v4
	v_lshlrev_b32_e32 v5, 30, v39
	v_mov_b32_e32 v4, v1
	v_cmp_gt_i64_e32 vcc, 0, v[4:5]
	v_not_b32_e32 v4, v5
	v_ashrrev_i32_e32 v4, 31, v4
	v_and_b32_e32 v0, exec_hi, v0
	v_xor_b32_e32 v5, vcc_hi, v4
	v_xor_b32_e32 v4, vcc_lo, v4
	v_and_b32_e32 v0, v0, v5
	v_and_b32_e32 v40, v40, v4
	v_lshlrev_b32_e32 v5, 29, v39
	v_mov_b32_e32 v4, v1
	v_cmp_gt_i64_e32 vcc, 0, v[4:5]
	v_not_b32_e32 v4, v5
	v_ashrrev_i32_e32 v4, 31, v4
	v_xor_b32_e32 v5, vcc_hi, v4
	v_xor_b32_e32 v4, vcc_lo, v4
	v_and_b32_e32 v0, v0, v5
	v_and_b32_e32 v40, v40, v4
	v_lshlrev_b32_e32 v5, 28, v39
	v_mov_b32_e32 v4, v1
	v_cmp_gt_i64_e32 vcc, 0, v[4:5]
	v_not_b32_e32 v4, v5
	v_ashrrev_i32_e32 v4, 31, v4
	;; [unrolled: 9-line block ×6, first 2 shown]
	v_xor_b32_e32 v5, vcc_hi, v4
	v_xor_b32_e32 v4, vcc_lo, v4
	ds_read_b32 v37, v38 offset:64
	v_and_b32_e32 v4, v40, v4
	v_and_b32_e32 v5, v0, v5
	v_mbcnt_lo_u32_b32 v0, v4, 0
	v_mbcnt_hi_u32_b32 v39, v5, v0
	v_cmp_eq_u32_e32 vcc, 0, v39
	v_cmp_ne_u64_e64 s[0:1], 0, v[4:5]
	s_and_b64 s[2:3], s[0:1], vcc
	; wave barrier
	s_and_saveexec_b64 s[0:1], s[2:3]
	s_cbranch_execz .LBB1349_115
; %bb.114:
	v_bcnt_u32_b32 v0, v4, 0
	v_bcnt_u32_b32 v0, v5, v0
	s_waitcnt lgkmcnt(0)
	v_add_u32_e32 v0, v37, v0
	ds_write_b32 v38, v0 offset:64
.LBB1349_115:
	s_or_b64 exec, exec, s[0:1]
	s_waitcnt vmcnt(4)
	v_lshrrev_b32_sdwa v0, s24, v11 dst_sel:DWORD dst_unused:UNUSED_PAD src0_sel:DWORD src1_sel:WORD_0
	v_and_b32_e32 v42, s15, v0
	v_mul_u32_u24_e32 v0, 17, v42
	v_add_lshl_u32 v41, v27, v0, 2
	v_and_b32_e32 v0, 1, v42
	v_lshl_add_u64 v[4:5], v[0:1], 0, -1
	v_cmp_ne_u32_e32 vcc, 0, v0
	; wave barrier
	s_nop 1
	v_xor_b32_e32 v4, vcc_lo, v4
	v_xor_b32_e32 v0, vcc_hi, v5
	v_and_b32_e32 v43, exec_lo, v4
	v_lshlrev_b32_e32 v5, 30, v42
	v_mov_b32_e32 v4, v1
	v_cmp_gt_i64_e32 vcc, 0, v[4:5]
	v_not_b32_e32 v4, v5
	v_ashrrev_i32_e32 v4, 31, v4
	v_and_b32_e32 v0, exec_hi, v0
	v_xor_b32_e32 v5, vcc_hi, v4
	v_xor_b32_e32 v4, vcc_lo, v4
	v_and_b32_e32 v0, v0, v5
	v_and_b32_e32 v43, v43, v4
	v_lshlrev_b32_e32 v5, 29, v42
	v_mov_b32_e32 v4, v1
	v_cmp_gt_i64_e32 vcc, 0, v[4:5]
	v_not_b32_e32 v4, v5
	v_ashrrev_i32_e32 v4, 31, v4
	v_xor_b32_e32 v5, vcc_hi, v4
	v_xor_b32_e32 v4, vcc_lo, v4
	v_and_b32_e32 v0, v0, v5
	v_and_b32_e32 v43, v43, v4
	v_lshlrev_b32_e32 v5, 28, v42
	v_mov_b32_e32 v4, v1
	v_cmp_gt_i64_e32 vcc, 0, v[4:5]
	v_not_b32_e32 v4, v5
	v_ashrrev_i32_e32 v4, 31, v4
	;; [unrolled: 9-line block ×5, first 2 shown]
	v_xor_b32_e32 v5, vcc_hi, v4
	v_xor_b32_e32 v4, vcc_lo, v4
	v_and_b32_e32 v0, v0, v5
	v_lshlrev_b32_e32 v5, 24, v42
	v_and_b32_e32 v43, v43, v4
	v_mov_b32_e32 v4, v1
	v_not_b32_e32 v1, v5
	v_cmp_gt_i64_e32 vcc, 0, v[4:5]
	v_ashrrev_i32_e32 v1, 31, v1
	ds_read_b32 v40, v41 offset:64
	v_xor_b32_e32 v4, vcc_hi, v1
	v_xor_b32_e32 v5, vcc_lo, v1
	v_and_b32_e32 v1, v0, v4
	v_and_b32_e32 v0, v43, v5
	v_mbcnt_lo_u32_b32 v4, v0, 0
	v_mbcnt_hi_u32_b32 v42, v1, v4
	v_cmp_eq_u32_e32 vcc, 0, v42
	v_cmp_ne_u64_e64 s[0:1], 0, v[0:1]
	s_and_b64 s[2:3], s[0:1], vcc
	; wave barrier
	s_and_saveexec_b64 s[0:1], s[2:3]
	s_cbranch_execz .LBB1349_117
; %bb.116:
	v_bcnt_u32_b32 v0, v0, 0
	v_bcnt_u32_b32 v0, v1, v0
	s_waitcnt lgkmcnt(0)
	v_add_u32_e32 v0, v40, v0
	ds_write_b32 v41, v0 offset:64
.LBB1349_117:
	s_or_b64 exec, exec, s[0:1]
	s_waitcnt vmcnt(3)
	v_lshrrev_b32_sdwa v0, s24, v10 dst_sel:DWORD dst_unused:UNUSED_PAD src0_sel:DWORD src1_sel:WORD_0
	v_and_b32_e32 v45, s15, v0
	v_mul_u32_u24_e32 v0, 17, v45
	v_add_lshl_u32 v44, v27, v0, 2
	v_and_b32_e32 v0, 1, v45
	v_mov_b32_e32 v1, 0
	v_lshl_add_u64 v[4:5], v[0:1], 0, -1
	v_cmp_ne_u32_e32 vcc, 0, v0
	; wave barrier
	s_nop 1
	v_xor_b32_e32 v4, vcc_lo, v4
	v_xor_b32_e32 v0, vcc_hi, v5
	v_and_b32_e32 v46, exec_lo, v4
	v_lshlrev_b32_e32 v5, 30, v45
	v_mov_b32_e32 v4, v1
	v_cmp_gt_i64_e32 vcc, 0, v[4:5]
	v_not_b32_e32 v4, v5
	v_ashrrev_i32_e32 v4, 31, v4
	v_and_b32_e32 v0, exec_hi, v0
	v_xor_b32_e32 v5, vcc_hi, v4
	v_xor_b32_e32 v4, vcc_lo, v4
	v_and_b32_e32 v0, v0, v5
	v_and_b32_e32 v46, v46, v4
	v_lshlrev_b32_e32 v5, 29, v45
	v_mov_b32_e32 v4, v1
	v_cmp_gt_i64_e32 vcc, 0, v[4:5]
	v_not_b32_e32 v4, v5
	v_ashrrev_i32_e32 v4, 31, v4
	v_xor_b32_e32 v5, vcc_hi, v4
	v_xor_b32_e32 v4, vcc_lo, v4
	v_and_b32_e32 v0, v0, v5
	v_and_b32_e32 v46, v46, v4
	v_lshlrev_b32_e32 v5, 28, v45
	v_mov_b32_e32 v4, v1
	v_cmp_gt_i64_e32 vcc, 0, v[4:5]
	v_not_b32_e32 v4, v5
	v_ashrrev_i32_e32 v4, 31, v4
	;; [unrolled: 9-line block ×6, first 2 shown]
	v_xor_b32_e32 v5, vcc_hi, v4
	v_xor_b32_e32 v4, vcc_lo, v4
	ds_read_b32 v43, v44 offset:64
	v_and_b32_e32 v4, v46, v4
	v_and_b32_e32 v5, v0, v5
	v_mbcnt_lo_u32_b32 v0, v4, 0
	v_mbcnt_hi_u32_b32 v45, v5, v0
	v_cmp_eq_u32_e32 vcc, 0, v45
	v_cmp_ne_u64_e64 s[0:1], 0, v[4:5]
	s_and_b64 s[2:3], s[0:1], vcc
	; wave barrier
	s_and_saveexec_b64 s[0:1], s[2:3]
	s_cbranch_execz .LBB1349_119
; %bb.118:
	v_bcnt_u32_b32 v0, v4, 0
	v_bcnt_u32_b32 v0, v5, v0
	s_waitcnt lgkmcnt(0)
	v_add_u32_e32 v0, v43, v0
	ds_write_b32 v44, v0 offset:64
.LBB1349_119:
	s_or_b64 exec, exec, s[0:1]
	s_waitcnt vmcnt(2)
	v_lshrrev_b32_sdwa v0, s24, v9 dst_sel:DWORD dst_unused:UNUSED_PAD src0_sel:DWORD src1_sel:WORD_0
	v_and_b32_e32 v48, s15, v0
	v_mul_u32_u24_e32 v0, 17, v48
	v_add_lshl_u32 v47, v27, v0, 2
	v_and_b32_e32 v0, 1, v48
	v_lshl_add_u64 v[4:5], v[0:1], 0, -1
	v_cmp_ne_u32_e32 vcc, 0, v0
	; wave barrier
	s_nop 1
	v_xor_b32_e32 v4, vcc_lo, v4
	v_xor_b32_e32 v0, vcc_hi, v5
	v_and_b32_e32 v49, exec_lo, v4
	v_lshlrev_b32_e32 v5, 30, v48
	v_mov_b32_e32 v4, v1
	v_cmp_gt_i64_e32 vcc, 0, v[4:5]
	v_not_b32_e32 v4, v5
	v_ashrrev_i32_e32 v4, 31, v4
	v_and_b32_e32 v0, exec_hi, v0
	v_xor_b32_e32 v5, vcc_hi, v4
	v_xor_b32_e32 v4, vcc_lo, v4
	v_and_b32_e32 v0, v0, v5
	v_and_b32_e32 v49, v49, v4
	v_lshlrev_b32_e32 v5, 29, v48
	v_mov_b32_e32 v4, v1
	v_cmp_gt_i64_e32 vcc, 0, v[4:5]
	v_not_b32_e32 v4, v5
	v_ashrrev_i32_e32 v4, 31, v4
	v_xor_b32_e32 v5, vcc_hi, v4
	v_xor_b32_e32 v4, vcc_lo, v4
	v_and_b32_e32 v0, v0, v5
	v_and_b32_e32 v49, v49, v4
	v_lshlrev_b32_e32 v5, 28, v48
	v_mov_b32_e32 v4, v1
	v_cmp_gt_i64_e32 vcc, 0, v[4:5]
	v_not_b32_e32 v4, v5
	v_ashrrev_i32_e32 v4, 31, v4
	;; [unrolled: 9-line block ×5, first 2 shown]
	v_xor_b32_e32 v5, vcc_hi, v4
	v_xor_b32_e32 v4, vcc_lo, v4
	v_and_b32_e32 v0, v0, v5
	v_lshlrev_b32_e32 v5, 24, v48
	v_and_b32_e32 v49, v49, v4
	v_mov_b32_e32 v4, v1
	v_not_b32_e32 v1, v5
	v_cmp_gt_i64_e32 vcc, 0, v[4:5]
	v_ashrrev_i32_e32 v1, 31, v1
	ds_read_b32 v46, v47 offset:64
	v_xor_b32_e32 v4, vcc_hi, v1
	v_xor_b32_e32 v5, vcc_lo, v1
	v_and_b32_e32 v1, v0, v4
	v_and_b32_e32 v0, v49, v5
	v_mbcnt_lo_u32_b32 v4, v0, 0
	v_mbcnt_hi_u32_b32 v48, v1, v4
	v_cmp_eq_u32_e32 vcc, 0, v48
	v_cmp_ne_u64_e64 s[0:1], 0, v[0:1]
	s_and_b64 s[2:3], s[0:1], vcc
	; wave barrier
	s_and_saveexec_b64 s[0:1], s[2:3]
	s_cbranch_execz .LBB1349_121
; %bb.120:
	v_bcnt_u32_b32 v0, v0, 0
	v_bcnt_u32_b32 v0, v1, v0
	s_waitcnt lgkmcnt(0)
	v_add_u32_e32 v0, v46, v0
	ds_write_b32 v47, v0 offset:64
.LBB1349_121:
	s_or_b64 exec, exec, s[0:1]
	s_waitcnt vmcnt(1)
	v_lshrrev_b32_sdwa v0, s24, v8 dst_sel:DWORD dst_unused:UNUSED_PAD src0_sel:DWORD src1_sel:WORD_0
	v_and_b32_e32 v51, s15, v0
	v_mul_u32_u24_e32 v0, 17, v51
	v_add_lshl_u32 v50, v27, v0, 2
	v_and_b32_e32 v0, 1, v51
	v_mov_b32_e32 v1, 0
	v_lshl_add_u64 v[4:5], v[0:1], 0, -1
	v_cmp_ne_u32_e32 vcc, 0, v0
	; wave barrier
	s_nop 1
	v_xor_b32_e32 v4, vcc_lo, v4
	v_xor_b32_e32 v0, vcc_hi, v5
	v_and_b32_e32 v52, exec_lo, v4
	v_lshlrev_b32_e32 v5, 30, v51
	v_mov_b32_e32 v4, v1
	v_cmp_gt_i64_e32 vcc, 0, v[4:5]
	v_not_b32_e32 v4, v5
	v_ashrrev_i32_e32 v4, 31, v4
	v_and_b32_e32 v0, exec_hi, v0
	v_xor_b32_e32 v5, vcc_hi, v4
	v_xor_b32_e32 v4, vcc_lo, v4
	v_and_b32_e32 v0, v0, v5
	v_and_b32_e32 v52, v52, v4
	v_lshlrev_b32_e32 v5, 29, v51
	v_mov_b32_e32 v4, v1
	v_cmp_gt_i64_e32 vcc, 0, v[4:5]
	v_not_b32_e32 v4, v5
	v_ashrrev_i32_e32 v4, 31, v4
	v_xor_b32_e32 v5, vcc_hi, v4
	v_xor_b32_e32 v4, vcc_lo, v4
	v_and_b32_e32 v0, v0, v5
	v_and_b32_e32 v52, v52, v4
	v_lshlrev_b32_e32 v5, 28, v51
	v_mov_b32_e32 v4, v1
	v_cmp_gt_i64_e32 vcc, 0, v[4:5]
	v_not_b32_e32 v4, v5
	v_ashrrev_i32_e32 v4, 31, v4
	;; [unrolled: 9-line block ×6, first 2 shown]
	v_xor_b32_e32 v5, vcc_hi, v4
	v_xor_b32_e32 v4, vcc_lo, v4
	ds_read_b32 v49, v50 offset:64
	v_and_b32_e32 v4, v52, v4
	v_and_b32_e32 v5, v0, v5
	v_mbcnt_lo_u32_b32 v0, v4, 0
	v_mbcnt_hi_u32_b32 v51, v5, v0
	v_cmp_eq_u32_e32 vcc, 0, v51
	v_cmp_ne_u64_e64 s[0:1], 0, v[4:5]
	s_and_b64 s[2:3], s[0:1], vcc
	; wave barrier
	s_and_saveexec_b64 s[0:1], s[2:3]
	s_cbranch_execz .LBB1349_123
; %bb.122:
	v_bcnt_u32_b32 v0, v4, 0
	v_bcnt_u32_b32 v0, v5, v0
	s_waitcnt lgkmcnt(0)
	v_add_u32_e32 v0, v49, v0
	ds_write_b32 v50, v0 offset:64
.LBB1349_123:
	s_or_b64 exec, exec, s[0:1]
	s_waitcnt vmcnt(0)
	v_lshrrev_b32_sdwa v0, s24, v7 dst_sel:DWORD dst_unused:UNUSED_PAD src0_sel:DWORD src1_sel:WORD_0
	v_and_b32_e32 v55, s15, v0
	v_mul_u32_u24_e32 v0, 17, v55
	v_add_lshl_u32 v53, v27, v0, 2
	v_and_b32_e32 v0, 1, v55
	v_lshl_add_u64 v[4:5], v[0:1], 0, -1
	v_cmp_ne_u32_e32 vcc, 0, v0
	; wave barrier
	s_nop 1
	v_xor_b32_e32 v4, vcc_lo, v4
	v_xor_b32_e32 v0, vcc_hi, v5
	v_and_b32_e32 v27, exec_lo, v4
	v_lshlrev_b32_e32 v5, 30, v55
	v_mov_b32_e32 v4, v1
	v_cmp_gt_i64_e32 vcc, 0, v[4:5]
	v_not_b32_e32 v4, v5
	v_ashrrev_i32_e32 v4, 31, v4
	v_and_b32_e32 v0, exec_hi, v0
	v_xor_b32_e32 v5, vcc_hi, v4
	v_xor_b32_e32 v4, vcc_lo, v4
	v_and_b32_e32 v0, v0, v5
	v_and_b32_e32 v27, v27, v4
	v_lshlrev_b32_e32 v5, 29, v55
	v_mov_b32_e32 v4, v1
	v_cmp_gt_i64_e32 vcc, 0, v[4:5]
	v_not_b32_e32 v4, v5
	v_ashrrev_i32_e32 v4, 31, v4
	v_xor_b32_e32 v5, vcc_hi, v4
	v_xor_b32_e32 v4, vcc_lo, v4
	v_and_b32_e32 v0, v0, v5
	v_and_b32_e32 v27, v27, v4
	v_lshlrev_b32_e32 v5, 28, v55
	v_mov_b32_e32 v4, v1
	v_cmp_gt_i64_e32 vcc, 0, v[4:5]
	v_not_b32_e32 v4, v5
	v_ashrrev_i32_e32 v4, 31, v4
	;; [unrolled: 9-line block ×5, first 2 shown]
	v_xor_b32_e32 v5, vcc_hi, v4
	v_xor_b32_e32 v4, vcc_lo, v4
	v_and_b32_e32 v0, v0, v5
	v_lshlrev_b32_e32 v5, 24, v55
	v_and_b32_e32 v27, v27, v4
	v_mov_b32_e32 v4, v1
	v_not_b32_e32 v1, v5
	v_cmp_gt_i64_e32 vcc, 0, v[4:5]
	v_ashrrev_i32_e32 v1, 31, v1
	ds_read_b32 v52, v53 offset:64
	v_xor_b32_e32 v4, vcc_hi, v1
	v_xor_b32_e32 v5, vcc_lo, v1
	v_and_b32_e32 v1, v0, v4
	v_and_b32_e32 v0, v27, v5
	v_mbcnt_lo_u32_b32 v4, v0, 0
	v_mbcnt_hi_u32_b32 v55, v1, v4
	v_cmp_eq_u32_e32 vcc, 0, v55
	v_cmp_ne_u64_e64 s[0:1], 0, v[0:1]
	v_add_u32_e32 v54, 64, v18
	s_and_b64 s[2:3], s[0:1], vcc
	; wave barrier
	s_and_saveexec_b64 s[0:1], s[2:3]
	s_cbranch_execz .LBB1349_125
; %bb.124:
	v_bcnt_u32_b32 v0, v0, 0
	v_bcnt_u32_b32 v0, v1, v0
	s_waitcnt lgkmcnt(0)
	v_add_u32_e32 v0, v52, v0
	ds_write_b32 v53, v0 offset:64
.LBB1349_125:
	s_or_b64 exec, exec, s[0:1]
	; wave barrier
	s_waitcnt lgkmcnt(0)
	s_barrier
	ds_read2_b32 v[4:5], v18 offset0:16 offset1:17
	ds_read2_b32 v[0:1], v54 offset0:2 offset1:3
	ds_read_b32 v27, v54 offset:16
	v_cmp_lt_u32_e64 s[2:3], 31, v6
	s_waitcnt lgkmcnt(1)
	v_add3_u32 v56, v5, v4, v0
	s_waitcnt lgkmcnt(0)
	v_add3_u32 v27, v56, v1, v27
	v_and_b32_e32 v56, 15, v6
	v_cmp_eq_u32_e32 vcc, 0, v56
	v_mov_b32_dpp v57, v27 row_shr:1 row_mask:0xf bank_mask:0xf
	v_cmp_lt_u32_e64 s[0:1], 1, v56
	v_cndmask_b32_e64 v57, v57, 0, vcc
	v_add_u32_e32 v27, v57, v27
	v_cmp_lt_u32_e64 s[4:5], 3, v56
	v_cmp_lt_u32_e64 s[6:7], 7, v56
	v_mov_b32_dpp v57, v27 row_shr:2 row_mask:0xf bank_mask:0xf
	v_cndmask_b32_e64 v57, 0, v57, s[0:1]
	v_add_u32_e32 v27, v27, v57
	s_nop 1
	v_mov_b32_dpp v57, v27 row_shr:4 row_mask:0xf bank_mask:0xf
	v_cndmask_b32_e64 v57, 0, v57, s[4:5]
	v_add_u32_e32 v27, v27, v57
	s_nop 1
	v_mov_b32_dpp v57, v27 row_shr:8 row_mask:0xf bank_mask:0xf
	v_cndmask_b32_e64 v56, 0, v57, s[6:7]
	v_add_u32_e32 v27, v27, v56
	v_bfe_i32 v57, v6, 4, 1
	s_nop 0
	v_mov_b32_dpp v56, v27 row_bcast:15 row_mask:0xf bank_mask:0xf
	v_and_b32_e32 v56, v57, v56
	v_add_u32_e32 v27, v27, v56
	v_lshrrev_b32_e32 v57, 6, v2
	s_nop 0
	v_mov_b32_dpp v56, v27 row_bcast:31 row_mask:0xf bank_mask:0xf
	v_cndmask_b32_e64 v56, 0, v56, s[2:3]
	v_add_u32_e32 v56, v27, v56
	v_and_b32_e32 v27, 63, v2
	v_cmp_eq_u32_e64 s[2:3], 63, v27
	s_and_saveexec_b64 s[12:13], s[2:3]
	s_cbranch_execz .LBB1349_127
; %bb.126:
	v_lshlrev_b32_e32 v27, 2, v57
	ds_write_b32 v27, v56
.LBB1349_127:
	s_or_b64 exec, exec, s[12:13]
	v_cmp_gt_u32_e64 s[2:3], 16, v2
	v_lshlrev_b32_e32 v27, 2, v2
	s_waitcnt lgkmcnt(0)
	s_barrier
	s_and_saveexec_b64 s[12:13], s[2:3]
	s_cbranch_execz .LBB1349_129
; %bb.128:
	ds_read_b32 v58, v27
	s_waitcnt lgkmcnt(0)
	s_nop 0
	v_mov_b32_dpp v59, v58 row_shr:1 row_mask:0xf bank_mask:0xf
	v_cndmask_b32_e64 v59, v59, 0, vcc
	v_add_u32_e32 v58, v59, v58
	s_nop 1
	v_mov_b32_dpp v59, v58 row_shr:2 row_mask:0xf bank_mask:0xf
	v_cndmask_b32_e64 v59, 0, v59, s[0:1]
	v_add_u32_e32 v58, v58, v59
	s_nop 1
	v_mov_b32_dpp v59, v58 row_shr:4 row_mask:0xf bank_mask:0xf
	v_cndmask_b32_e64 v59, 0, v59, s[4:5]
	;; [unrolled: 4-line block ×3, first 2 shown]
	v_add_u32_e32 v58, v58, v59
	ds_write_b32 v27, v58
.LBB1349_129:
	s_or_b64 exec, exec, s[12:13]
	v_cmp_lt_u32_e32 vcc, 63, v2
	v_mov_b32_e32 v58, 0
	s_waitcnt lgkmcnt(0)
	s_barrier
	s_and_saveexec_b64 s[0:1], vcc
	s_cbranch_execz .LBB1349_131
; %bb.130:
	v_lshl_add_u32 v57, v57, 2, -4
	ds_read_b32 v58, v57
.LBB1349_131:
	s_or_b64 exec, exec, s[0:1]
	v_add_u32_e32 v57, -1, v6
	v_and_b32_e32 v59, 64, v6
	v_cmp_lt_i32_e32 vcc, v57, v59
	s_waitcnt lgkmcnt(0)
	v_add_u32_e32 v56, v58, v56
	s_movk_i32 s2, 0xff
	v_cndmask_b32_e32 v57, v57, v6, vcc
	v_lshlrev_b32_e32 v57, 2, v57
	ds_bpermute_b32 v56, v57, v56
	v_cmp_eq_u32_e32 vcc, 0, v6
	s_movk_i32 s3, 0x100
	v_cmp_lt_u32_e64 s[0:1], s2, v2
	s_waitcnt lgkmcnt(0)
	v_cndmask_b32_e32 v6, v56, v58, vcc
	v_cndmask_b32_e64 v6, v6, 0, s[10:11]
	v_add_u32_e32 v4, v6, v4
	v_add_u32_e32 v5, v4, v5
	;; [unrolled: 1-line block ×4, first 2 shown]
	ds_write2_b32 v18, v6, v4 offset0:16 offset1:17
	ds_write2_b32 v54, v5, v0 offset0:2 offset1:3
	ds_write_b32 v54, v1 offset:16
	s_waitcnt lgkmcnt(0)
	s_barrier
	ds_read_b32 v58, v20 offset:64
	ds_read_b32 v57, v22 offset:64
	;; [unrolled: 1-line block ×12, first 2 shown]
	v_cmp_gt_u32_e32 vcc, s3, v2
                                        ; implicit-def: $vgpr18
                                        ; implicit-def: $vgpr20
	s_and_saveexec_b64 s[4:5], vcc
	s_cbranch_execz .LBB1349_135
; %bb.132:
	v_mul_u32_u24_e32 v18, 17, v2
	v_lshlrev_b32_e32 v32, 2, v18
	ds_read_b32 v18, v32 offset:64
	v_cmp_ne_u32_e64 s[2:3], s2, v2
	v_mov_b32_e32 v20, 0x3000
	s_and_saveexec_b64 s[6:7], s[2:3]
	s_cbranch_execz .LBB1349_134
; %bb.133:
	ds_read_b32 v20, v32 offset:132
.LBB1349_134:
	s_or_b64 exec, exec, s[6:7]
	s_waitcnt lgkmcnt(0)
	v_sub_u32_e32 v20, v20, v18
.LBB1349_135:
	s_or_b64 exec, exec, s[4:5]
	v_add_u32_e32 v21, v23, v21
	s_waitcnt lgkmcnt(11)
	v_add_lshl_u32 v19, v58, v19, 1
	v_add_u32_e32 v24, v26, v24
	s_waitcnt lgkmcnt(0)
	s_barrier
	ds_write_b16 v19, v3 offset:1024
	v_add_lshl_u32 v3, v21, v57, 1
	v_add_u32_e32 v28, v30, v28
	ds_write_b16 v3, v17 offset:1024
	v_add_lshl_u32 v3, v24, v56, 1
	v_add_u32_e32 v31, v33, v31
	;; [unrolled: 3-line block ×7, first 2 shown]
	v_add_u32_e32 v35, v51, v49
	v_add_u32_e32 v38, v48, v46
	ds_write_b16 v3, v11 offset:1024
	v_add_lshl_u32 v3, v41, v5, 1
	ds_write_b16 v3, v10 offset:1024
	v_add_lshl_u32 v3, v38, v4, 1
	v_add_lshl_u32 v1, v35, v1, 1
	v_add_lshl_u32 v0, v32, v0, 1
	ds_write_b16 v3, v9 offset:1024
	ds_write_b16 v1, v8 offset:1024
	;; [unrolled: 1-line block ×3, first 2 shown]
	s_and_saveexec_b64 s[2:3], s[0:1]
	s_xor_b64 s[0:1], exec, s[2:3]
; %bb.136:
	v_mov_b32_e32 v3, 0
                                        ; implicit-def: $vgpr27
; %bb.137:
	s_andn2_saveexec_b64 s[2:3], s[0:1]
	s_cbranch_execz .LBB1349_147
; %bb.138:
	v_lshl_or_b32 v4, s27, 8, v2
	v_mov_b32_e32 v5, 0
	v_lshl_add_u64 v[0:1], v[4:5], 2, s[18:19]
	v_or_b32_e32 v3, 2.0, v20
	s_mov_b64 s[4:5], 0
	s_brev_b32 s12, 1
	s_mov_b32 s13, s27
	v_mov_b32_e32 v8, 0
	global_store_dword v[0:1], v3, off sc1
                                        ; implicit-def: $sgpr0_sgpr1
	s_branch .LBB1349_141
.LBB1349_139:                           ;   in Loop: Header=BB1349_141 Depth=1
	s_or_b64 exec, exec, s[10:11]
.LBB1349_140:                           ;   in Loop: Header=BB1349_141 Depth=1
	s_or_b64 exec, exec, s[6:7]
	v_and_b32_e32 v4, 0x3fffffff, v4
	v_add_u32_e32 v8, v4, v8
	v_cmp_eq_u32_e64 s[0:1], s12, v3
	s_and_b64 s[6:7], exec, s[0:1]
	s_or_b64 s[4:5], s[6:7], s[4:5]
	s_andn2_b64 exec, exec, s[4:5]
	s_cbranch_execz .LBB1349_146
.LBB1349_141:                           ; =>This Loop Header: Depth=1
                                        ;     Child Loop BB1349_144 Depth 2
	s_or_b64 s[0:1], s[0:1], exec
	s_cmp_eq_u32 s13, 0
	s_cbranch_scc1 .LBB1349_145
; %bb.142:                              ;   in Loop: Header=BB1349_141 Depth=1
	s_add_i32 s13, s13, -1
	v_lshl_or_b32 v4, s13, 8, v2
	v_lshl_add_u64 v[6:7], v[4:5], 2, s[18:19]
	global_load_dword v4, v[6:7], off sc1
	s_waitcnt vmcnt(0)
	v_and_b32_e32 v3, -2.0, v4
	v_cmp_eq_u32_e64 s[0:1], 0, v3
	s_and_saveexec_b64 s[6:7], s[0:1]
	s_cbranch_execz .LBB1349_140
; %bb.143:                              ;   in Loop: Header=BB1349_141 Depth=1
	s_mov_b64 s[10:11], 0
.LBB1349_144:                           ;   Parent Loop BB1349_141 Depth=1
                                        ; =>  This Inner Loop Header: Depth=2
	global_load_dword v4, v[6:7], off sc1
	s_waitcnt vmcnt(0)
	v_and_b32_e32 v3, -2.0, v4
	v_cmp_ne_u32_e64 s[0:1], 0, v3
	s_or_b64 s[10:11], s[0:1], s[10:11]
	s_andn2_b64 exec, exec, s[10:11]
	s_cbranch_execnz .LBB1349_144
	s_branch .LBB1349_139
.LBB1349_145:                           ;   in Loop: Header=BB1349_141 Depth=1
                                        ; implicit-def: $sgpr13
	s_and_b64 s[6:7], exec, s[0:1]
	s_or_b64 s[4:5], s[6:7], s[4:5]
	s_andn2_b64 exec, exec, s[4:5]
	s_cbranch_execnz .LBB1349_141
.LBB1349_146:
	s_or_b64 exec, exec, s[4:5]
	v_add_u32_e32 v3, v8, v20
	v_or_b32_e32 v3, 0x80000000, v3
	global_store_dword v[0:1], v3, off sc1
	global_load_dword v0, v27, s[20:21]
	v_sub_u32_e32 v1, v8, v18
	v_mov_b32_e32 v3, 0
	s_waitcnt vmcnt(0)
	v_add_u32_e32 v0, v1, v0
	ds_write_b32 v27, v0
.LBB1349_147:
	s_or_b64 exec, exec, s[2:3]
	v_lshlrev_b32_e32 v0, 1, v2
	s_waitcnt lgkmcnt(0)
	s_barrier
	v_lshlrev_b32_e32 v1, 1, v2
	ds_read_u16 v6, v0 offset:1024
	ds_read_u16 v7, v1 offset:3072
	;; [unrolled: 1-line block ×7, first 2 shown]
	s_waitcnt lgkmcnt(6)
	v_lshrrev_b32_sdwa v0, s24, v6 dst_sel:DWORD dst_unused:UNUSED_PAD src0_sel:DWORD src1_sel:WORD_0
	s_waitcnt lgkmcnt(4)
	v_lshrrev_b32_sdwa v5, s24, v8 dst_sel:DWORD dst_unused:UNUSED_PAD src0_sel:DWORD src1_sel:WORD_0
	v_and_b32_e32 v0, s15, v0
	v_lshrrev_b32_sdwa v4, s24, v7 dst_sel:DWORD dst_unused:UNUSED_PAD src0_sel:DWORD src1_sel:WORD_0
	v_and_b32_e32 v5, s15, v5
	v_lshlrev_b32_e32 v0, 2, v0
	v_and_b32_e32 v4, s15, v4
	v_lshlrev_b32_e32 v5, 2, v5
	v_lshlrev_b32_e32 v4, 2, v4
	ds_read_b32 v13, v5
	ds_read_b32 v0, v0
	ds_read_u16 v14, v1 offset:5120
	ds_read_u16 v15, v1 offset:9216
	;; [unrolled: 1-line block ×4, first 2 shown]
	ds_read_b32 v19, v4
	ds_read_u16 v21, v1 offset:21504
	s_waitcnt lgkmcnt(6)
	v_add_u32_e32 v0, v0, v2
	v_mov_b32_e32 v1, 0
	s_movk_i32 s0, 0x400
	v_lshl_add_u64 v[4:5], v[0:1], 1, s[30:31]
	s_waitcnt lgkmcnt(1)
	v_add3_u32 v0, v19, v2, s0
	global_store_short v[4:5], v6, off
	v_lshl_add_u64 v[4:5], v[0:1], 1, s[30:31]
	global_store_short v[4:5], v7, off
	v_lshrrev_b32_sdwa v0, s24, v14 dst_sel:DWORD dst_unused:UNUSED_PAD src0_sel:DWORD src1_sel:WORD_0
	v_lshrrev_b32_sdwa v6, s24, v16 dst_sel:DWORD dst_unused:UNUSED_PAD src0_sel:DWORD src1_sel:WORD_0
	;; [unrolled: 1-line block ×5, first 2 shown]
	s_waitcnt lgkmcnt(0)
	v_lshrrev_b32_sdwa v23, s24, v21 dst_sel:DWORD dst_unused:UNUSED_PAD src0_sel:DWORD src1_sel:WORD_0
	v_and_b32_e32 v0, s15, v0
	v_lshrrev_b32_sdwa v4, s24, v15 dst_sel:DWORD dst_unused:UNUSED_PAD src0_sel:DWORD src1_sel:WORD_0
	v_lshrrev_b32_sdwa v5, s24, v9 dst_sel:DWORD dst_unused:UNUSED_PAD src0_sel:DWORD src1_sel:WORD_0
	v_and_b32_e32 v6, s15, v6
	v_and_b32_e32 v7, s15, v7
	;; [unrolled: 1-line block ×5, first 2 shown]
	v_lshlrev_b32_e32 v0, 2, v0
	v_and_b32_e32 v4, s15, v4
	v_and_b32_e32 v5, s15, v5
	v_lshlrev_b32_e32 v6, 2, v6
	v_lshlrev_b32_e32 v7, 2, v7
	;; [unrolled: 1-line block ×5, first 2 shown]
	s_movk_i32 s0, 0x800
	v_lshlrev_b32_e32 v4, 2, v4
	v_lshlrev_b32_e32 v5, 2, v5
	ds_read_b32 v0, v0
	ds_read_b32 v24, v4
	ds_read_b32 v25, v5
	ds_read_b32 v6, v6
	ds_read_b32 v7, v7
	ds_read_b32 v19, v19
	ds_read_b32 v22, v22
	ds_read_b32 v23, v23
	s_waitcnt lgkmcnt(7)
	v_add3_u32 v0, v0, v2, s0
	s_movk_i32 s0, 0xc00
	v_lshl_add_u64 v[4:5], v[0:1], 1, s[30:31]
	v_add3_u32 v0, v13, v2, s0
	s_movk_i32 s0, 0x1000
	global_store_short v[4:5], v14, off
	v_lshl_add_u64 v[4:5], v[0:1], 1, s[30:31]
	s_waitcnt lgkmcnt(6)
	v_add3_u32 v0, v24, v2, s0
	s_movk_i32 s0, 0x1400
	global_store_short v[4:5], v8, off
	v_lshl_add_u64 v[4:5], v[0:1], 1, s[30:31]
	s_waitcnt lgkmcnt(5)
	;; [unrolled: 5-line block ×6, first 2 shown]
	v_add3_u32 v0, v22, v2, s0
	global_store_short v[4:5], v17, off
	v_lshl_add_u64 v[4:5], v[0:1], 1, s[30:31]
	v_lshrrev_b32_sdwa v0, s24, v12 dst_sel:DWORD dst_unused:UNUSED_PAD src0_sel:DWORD src1_sel:WORD_0
	v_and_b32_e32 v0, s15, v0
	v_lshlrev_b32_e32 v0, 2, v0
	ds_read_b32 v6, v0
	s_movk_i32 s0, 0x2800
	s_add_i32 s14, s14, -1
	s_waitcnt lgkmcnt(1)
	v_add3_u32 v0, v23, v2, s0
	s_movk_i32 s0, 0x2c00
	s_cmp_eq_u32 s14, s27
	global_store_short v[4:5], v11, off
	v_lshl_add_u64 v[4:5], v[0:1], 1, s[30:31]
	s_waitcnt lgkmcnt(0)
	v_add3_u32 v0, v6, v2, s0
	s_cselect_b64 s[0:1], -1, 0
	v_lshl_add_u64 v[0:1], v[0:1], 1, s[30:31]
	s_and_b64 s[2:3], vcc, s[0:1]
	global_store_short v[4:5], v21, off
	global_store_short v[0:1], v12, off
                                        ; implicit-def: $vgpr4
	s_and_saveexec_b64 s[0:1], s[2:3]
; %bb.148:
	v_add_u32_e32 v4, v18, v20
	s_or_b64 s[8:9], s[8:9], exec
; %bb.149:
	s_or_b64 exec, exec, s[0:1]
.LBB1349_150:
	s_and_saveexec_b64 s[0:1], s[8:9]
	s_cbranch_execnz .LBB1349_152
; %bb.151:
	s_endpgm
.LBB1349_152:
	v_lshlrev_b32_e32 v0, 2, v2
	ds_read_b32 v5, v0
	v_mov_b32_e32 v0, s22
	v_mov_b32_e32 v1, s23
	v_lshl_add_u64 v[0:1], v[2:3], 2, v[0:1]
	s_waitcnt lgkmcnt(0)
	v_add_u32_e32 v2, v5, v4
	global_store_dword v[0:1], v2, off
	s_endpgm
	.section	.rodata,"a",@progbits
	.p2align	6, 0x0
	.amdhsa_kernel _ZN7rocprim17ROCPRIM_400000_NS6detail17trampoline_kernelINS0_14default_configENS1_35radix_sort_onesweep_config_selectorItNS0_10empty_typeEEEZZNS1_29radix_sort_onesweep_iterationIS3_Lb0EN6thrust23THRUST_200600_302600_NS6detail15normal_iteratorINS9_10device_ptrItEEEESE_PS5_SF_jNS0_19identity_decomposerENS1_16block_id_wrapperIjLb1EEEEE10hipError_tT1_PNSt15iterator_traitsISK_E10value_typeET2_T3_PNSL_ISQ_E10value_typeET4_T5_PSV_SW_PNS1_23onesweep_lookback_stateEbbT6_jjT7_P12ihipStream_tbENKUlT_T0_SK_SP_E_clISE_PtSF_SF_EEDaS13_S14_SK_SP_EUlS13_E_NS1_11comp_targetILNS1_3genE5ELNS1_11target_archE942ELNS1_3gpuE9ELNS1_3repE0EEENS1_47radix_sort_onesweep_sort_config_static_selectorELNS0_4arch9wavefront6targetE1EEEvSK_
		.amdhsa_group_segment_fixed_size 25608
		.amdhsa_private_segment_fixed_size 0
		.amdhsa_kernarg_size 344
		.amdhsa_user_sgpr_count 2
		.amdhsa_user_sgpr_dispatch_ptr 0
		.amdhsa_user_sgpr_queue_ptr 0
		.amdhsa_user_sgpr_kernarg_segment_ptr 1
		.amdhsa_user_sgpr_dispatch_id 0
		.amdhsa_user_sgpr_kernarg_preload_length 0
		.amdhsa_user_sgpr_kernarg_preload_offset 0
		.amdhsa_user_sgpr_private_segment_size 0
		.amdhsa_uses_dynamic_stack 0
		.amdhsa_enable_private_segment 0
		.amdhsa_system_sgpr_workgroup_id_x 1
		.amdhsa_system_sgpr_workgroup_id_y 0
		.amdhsa_system_sgpr_workgroup_id_z 0
		.amdhsa_system_sgpr_workgroup_info 0
		.amdhsa_system_vgpr_workitem_id 2
		.amdhsa_next_free_vgpr 62
		.amdhsa_next_free_sgpr 36
		.amdhsa_accum_offset 64
		.amdhsa_reserve_vcc 1
		.amdhsa_float_round_mode_32 0
		.amdhsa_float_round_mode_16_64 0
		.amdhsa_float_denorm_mode_32 3
		.amdhsa_float_denorm_mode_16_64 3
		.amdhsa_dx10_clamp 1
		.amdhsa_ieee_mode 1
		.amdhsa_fp16_overflow 0
		.amdhsa_tg_split 0
		.amdhsa_exception_fp_ieee_invalid_op 0
		.amdhsa_exception_fp_denorm_src 0
		.amdhsa_exception_fp_ieee_div_zero 0
		.amdhsa_exception_fp_ieee_overflow 0
		.amdhsa_exception_fp_ieee_underflow 0
		.amdhsa_exception_fp_ieee_inexact 0
		.amdhsa_exception_int_div_zero 0
	.end_amdhsa_kernel
	.section	.text._ZN7rocprim17ROCPRIM_400000_NS6detail17trampoline_kernelINS0_14default_configENS1_35radix_sort_onesweep_config_selectorItNS0_10empty_typeEEEZZNS1_29radix_sort_onesweep_iterationIS3_Lb0EN6thrust23THRUST_200600_302600_NS6detail15normal_iteratorINS9_10device_ptrItEEEESE_PS5_SF_jNS0_19identity_decomposerENS1_16block_id_wrapperIjLb1EEEEE10hipError_tT1_PNSt15iterator_traitsISK_E10value_typeET2_T3_PNSL_ISQ_E10value_typeET4_T5_PSV_SW_PNS1_23onesweep_lookback_stateEbbT6_jjT7_P12ihipStream_tbENKUlT_T0_SK_SP_E_clISE_PtSF_SF_EEDaS13_S14_SK_SP_EUlS13_E_NS1_11comp_targetILNS1_3genE5ELNS1_11target_archE942ELNS1_3gpuE9ELNS1_3repE0EEENS1_47radix_sort_onesweep_sort_config_static_selectorELNS0_4arch9wavefront6targetE1EEEvSK_,"axG",@progbits,_ZN7rocprim17ROCPRIM_400000_NS6detail17trampoline_kernelINS0_14default_configENS1_35radix_sort_onesweep_config_selectorItNS0_10empty_typeEEEZZNS1_29radix_sort_onesweep_iterationIS3_Lb0EN6thrust23THRUST_200600_302600_NS6detail15normal_iteratorINS9_10device_ptrItEEEESE_PS5_SF_jNS0_19identity_decomposerENS1_16block_id_wrapperIjLb1EEEEE10hipError_tT1_PNSt15iterator_traitsISK_E10value_typeET2_T3_PNSL_ISQ_E10value_typeET4_T5_PSV_SW_PNS1_23onesweep_lookback_stateEbbT6_jjT7_P12ihipStream_tbENKUlT_T0_SK_SP_E_clISE_PtSF_SF_EEDaS13_S14_SK_SP_EUlS13_E_NS1_11comp_targetILNS1_3genE5ELNS1_11target_archE942ELNS1_3gpuE9ELNS1_3repE0EEENS1_47radix_sort_onesweep_sort_config_static_selectorELNS0_4arch9wavefront6targetE1EEEvSK_,comdat
.Lfunc_end1349:
	.size	_ZN7rocprim17ROCPRIM_400000_NS6detail17trampoline_kernelINS0_14default_configENS1_35radix_sort_onesweep_config_selectorItNS0_10empty_typeEEEZZNS1_29radix_sort_onesweep_iterationIS3_Lb0EN6thrust23THRUST_200600_302600_NS6detail15normal_iteratorINS9_10device_ptrItEEEESE_PS5_SF_jNS0_19identity_decomposerENS1_16block_id_wrapperIjLb1EEEEE10hipError_tT1_PNSt15iterator_traitsISK_E10value_typeET2_T3_PNSL_ISQ_E10value_typeET4_T5_PSV_SW_PNS1_23onesweep_lookback_stateEbbT6_jjT7_P12ihipStream_tbENKUlT_T0_SK_SP_E_clISE_PtSF_SF_EEDaS13_S14_SK_SP_EUlS13_E_NS1_11comp_targetILNS1_3genE5ELNS1_11target_archE942ELNS1_3gpuE9ELNS1_3repE0EEENS1_47radix_sort_onesweep_sort_config_static_selectorELNS0_4arch9wavefront6targetE1EEEvSK_, .Lfunc_end1349-_ZN7rocprim17ROCPRIM_400000_NS6detail17trampoline_kernelINS0_14default_configENS1_35radix_sort_onesweep_config_selectorItNS0_10empty_typeEEEZZNS1_29radix_sort_onesweep_iterationIS3_Lb0EN6thrust23THRUST_200600_302600_NS6detail15normal_iteratorINS9_10device_ptrItEEEESE_PS5_SF_jNS0_19identity_decomposerENS1_16block_id_wrapperIjLb1EEEEE10hipError_tT1_PNSt15iterator_traitsISK_E10value_typeET2_T3_PNSL_ISQ_E10value_typeET4_T5_PSV_SW_PNS1_23onesweep_lookback_stateEbbT6_jjT7_P12ihipStream_tbENKUlT_T0_SK_SP_E_clISE_PtSF_SF_EEDaS13_S14_SK_SP_EUlS13_E_NS1_11comp_targetILNS1_3genE5ELNS1_11target_archE942ELNS1_3gpuE9ELNS1_3repE0EEENS1_47radix_sort_onesweep_sort_config_static_selectorELNS0_4arch9wavefront6targetE1EEEvSK_
                                        ; -- End function
	.section	.AMDGPU.csdata,"",@progbits
; Kernel info:
; codeLenInByte = 15496
; NumSgprs: 42
; NumVgprs: 62
; NumAgprs: 0
; TotalNumVgprs: 62
; ScratchSize: 0
; MemoryBound: 0
; FloatMode: 240
; IeeeMode: 1
; LDSByteSize: 25608 bytes/workgroup (compile time only)
; SGPRBlocks: 5
; VGPRBlocks: 7
; NumSGPRsForWavesPerEU: 42
; NumVGPRsForWavesPerEU: 62
; AccumOffset: 64
; Occupancy: 8
; WaveLimiterHint : 1
; COMPUTE_PGM_RSRC2:SCRATCH_EN: 0
; COMPUTE_PGM_RSRC2:USER_SGPR: 2
; COMPUTE_PGM_RSRC2:TRAP_HANDLER: 0
; COMPUTE_PGM_RSRC2:TGID_X_EN: 1
; COMPUTE_PGM_RSRC2:TGID_Y_EN: 0
; COMPUTE_PGM_RSRC2:TGID_Z_EN: 0
; COMPUTE_PGM_RSRC2:TIDIG_COMP_CNT: 2
; COMPUTE_PGM_RSRC3_GFX90A:ACCUM_OFFSET: 15
; COMPUTE_PGM_RSRC3_GFX90A:TG_SPLIT: 0
	.section	.text._ZN7rocprim17ROCPRIM_400000_NS6detail17trampoline_kernelINS0_14default_configENS1_35radix_sort_onesweep_config_selectorItNS0_10empty_typeEEEZZNS1_29radix_sort_onesweep_iterationIS3_Lb0EN6thrust23THRUST_200600_302600_NS6detail15normal_iteratorINS9_10device_ptrItEEEESE_PS5_SF_jNS0_19identity_decomposerENS1_16block_id_wrapperIjLb1EEEEE10hipError_tT1_PNSt15iterator_traitsISK_E10value_typeET2_T3_PNSL_ISQ_E10value_typeET4_T5_PSV_SW_PNS1_23onesweep_lookback_stateEbbT6_jjT7_P12ihipStream_tbENKUlT_T0_SK_SP_E_clISE_PtSF_SF_EEDaS13_S14_SK_SP_EUlS13_E_NS1_11comp_targetILNS1_3genE2ELNS1_11target_archE906ELNS1_3gpuE6ELNS1_3repE0EEENS1_47radix_sort_onesweep_sort_config_static_selectorELNS0_4arch9wavefront6targetE1EEEvSK_,"axG",@progbits,_ZN7rocprim17ROCPRIM_400000_NS6detail17trampoline_kernelINS0_14default_configENS1_35radix_sort_onesweep_config_selectorItNS0_10empty_typeEEEZZNS1_29radix_sort_onesweep_iterationIS3_Lb0EN6thrust23THRUST_200600_302600_NS6detail15normal_iteratorINS9_10device_ptrItEEEESE_PS5_SF_jNS0_19identity_decomposerENS1_16block_id_wrapperIjLb1EEEEE10hipError_tT1_PNSt15iterator_traitsISK_E10value_typeET2_T3_PNSL_ISQ_E10value_typeET4_T5_PSV_SW_PNS1_23onesweep_lookback_stateEbbT6_jjT7_P12ihipStream_tbENKUlT_T0_SK_SP_E_clISE_PtSF_SF_EEDaS13_S14_SK_SP_EUlS13_E_NS1_11comp_targetILNS1_3genE2ELNS1_11target_archE906ELNS1_3gpuE6ELNS1_3repE0EEENS1_47radix_sort_onesweep_sort_config_static_selectorELNS0_4arch9wavefront6targetE1EEEvSK_,comdat
	.protected	_ZN7rocprim17ROCPRIM_400000_NS6detail17trampoline_kernelINS0_14default_configENS1_35radix_sort_onesweep_config_selectorItNS0_10empty_typeEEEZZNS1_29radix_sort_onesweep_iterationIS3_Lb0EN6thrust23THRUST_200600_302600_NS6detail15normal_iteratorINS9_10device_ptrItEEEESE_PS5_SF_jNS0_19identity_decomposerENS1_16block_id_wrapperIjLb1EEEEE10hipError_tT1_PNSt15iterator_traitsISK_E10value_typeET2_T3_PNSL_ISQ_E10value_typeET4_T5_PSV_SW_PNS1_23onesweep_lookback_stateEbbT6_jjT7_P12ihipStream_tbENKUlT_T0_SK_SP_E_clISE_PtSF_SF_EEDaS13_S14_SK_SP_EUlS13_E_NS1_11comp_targetILNS1_3genE2ELNS1_11target_archE906ELNS1_3gpuE6ELNS1_3repE0EEENS1_47radix_sort_onesweep_sort_config_static_selectorELNS0_4arch9wavefront6targetE1EEEvSK_ ; -- Begin function _ZN7rocprim17ROCPRIM_400000_NS6detail17trampoline_kernelINS0_14default_configENS1_35radix_sort_onesweep_config_selectorItNS0_10empty_typeEEEZZNS1_29radix_sort_onesweep_iterationIS3_Lb0EN6thrust23THRUST_200600_302600_NS6detail15normal_iteratorINS9_10device_ptrItEEEESE_PS5_SF_jNS0_19identity_decomposerENS1_16block_id_wrapperIjLb1EEEEE10hipError_tT1_PNSt15iterator_traitsISK_E10value_typeET2_T3_PNSL_ISQ_E10value_typeET4_T5_PSV_SW_PNS1_23onesweep_lookback_stateEbbT6_jjT7_P12ihipStream_tbENKUlT_T0_SK_SP_E_clISE_PtSF_SF_EEDaS13_S14_SK_SP_EUlS13_E_NS1_11comp_targetILNS1_3genE2ELNS1_11target_archE906ELNS1_3gpuE6ELNS1_3repE0EEENS1_47radix_sort_onesweep_sort_config_static_selectorELNS0_4arch9wavefront6targetE1EEEvSK_
	.globl	_ZN7rocprim17ROCPRIM_400000_NS6detail17trampoline_kernelINS0_14default_configENS1_35radix_sort_onesweep_config_selectorItNS0_10empty_typeEEEZZNS1_29radix_sort_onesweep_iterationIS3_Lb0EN6thrust23THRUST_200600_302600_NS6detail15normal_iteratorINS9_10device_ptrItEEEESE_PS5_SF_jNS0_19identity_decomposerENS1_16block_id_wrapperIjLb1EEEEE10hipError_tT1_PNSt15iterator_traitsISK_E10value_typeET2_T3_PNSL_ISQ_E10value_typeET4_T5_PSV_SW_PNS1_23onesweep_lookback_stateEbbT6_jjT7_P12ihipStream_tbENKUlT_T0_SK_SP_E_clISE_PtSF_SF_EEDaS13_S14_SK_SP_EUlS13_E_NS1_11comp_targetILNS1_3genE2ELNS1_11target_archE906ELNS1_3gpuE6ELNS1_3repE0EEENS1_47radix_sort_onesweep_sort_config_static_selectorELNS0_4arch9wavefront6targetE1EEEvSK_
	.p2align	8
	.type	_ZN7rocprim17ROCPRIM_400000_NS6detail17trampoline_kernelINS0_14default_configENS1_35radix_sort_onesweep_config_selectorItNS0_10empty_typeEEEZZNS1_29radix_sort_onesweep_iterationIS3_Lb0EN6thrust23THRUST_200600_302600_NS6detail15normal_iteratorINS9_10device_ptrItEEEESE_PS5_SF_jNS0_19identity_decomposerENS1_16block_id_wrapperIjLb1EEEEE10hipError_tT1_PNSt15iterator_traitsISK_E10value_typeET2_T3_PNSL_ISQ_E10value_typeET4_T5_PSV_SW_PNS1_23onesweep_lookback_stateEbbT6_jjT7_P12ihipStream_tbENKUlT_T0_SK_SP_E_clISE_PtSF_SF_EEDaS13_S14_SK_SP_EUlS13_E_NS1_11comp_targetILNS1_3genE2ELNS1_11target_archE906ELNS1_3gpuE6ELNS1_3repE0EEENS1_47radix_sort_onesweep_sort_config_static_selectorELNS0_4arch9wavefront6targetE1EEEvSK_,@function
_ZN7rocprim17ROCPRIM_400000_NS6detail17trampoline_kernelINS0_14default_configENS1_35radix_sort_onesweep_config_selectorItNS0_10empty_typeEEEZZNS1_29radix_sort_onesweep_iterationIS3_Lb0EN6thrust23THRUST_200600_302600_NS6detail15normal_iteratorINS9_10device_ptrItEEEESE_PS5_SF_jNS0_19identity_decomposerENS1_16block_id_wrapperIjLb1EEEEE10hipError_tT1_PNSt15iterator_traitsISK_E10value_typeET2_T3_PNSL_ISQ_E10value_typeET4_T5_PSV_SW_PNS1_23onesweep_lookback_stateEbbT6_jjT7_P12ihipStream_tbENKUlT_T0_SK_SP_E_clISE_PtSF_SF_EEDaS13_S14_SK_SP_EUlS13_E_NS1_11comp_targetILNS1_3genE2ELNS1_11target_archE906ELNS1_3gpuE6ELNS1_3repE0EEENS1_47radix_sort_onesweep_sort_config_static_selectorELNS0_4arch9wavefront6targetE1EEEvSK_: ; @_ZN7rocprim17ROCPRIM_400000_NS6detail17trampoline_kernelINS0_14default_configENS1_35radix_sort_onesweep_config_selectorItNS0_10empty_typeEEEZZNS1_29radix_sort_onesweep_iterationIS3_Lb0EN6thrust23THRUST_200600_302600_NS6detail15normal_iteratorINS9_10device_ptrItEEEESE_PS5_SF_jNS0_19identity_decomposerENS1_16block_id_wrapperIjLb1EEEEE10hipError_tT1_PNSt15iterator_traitsISK_E10value_typeET2_T3_PNSL_ISQ_E10value_typeET4_T5_PSV_SW_PNS1_23onesweep_lookback_stateEbbT6_jjT7_P12ihipStream_tbENKUlT_T0_SK_SP_E_clISE_PtSF_SF_EEDaS13_S14_SK_SP_EUlS13_E_NS1_11comp_targetILNS1_3genE2ELNS1_11target_archE906ELNS1_3gpuE6ELNS1_3repE0EEENS1_47radix_sort_onesweep_sort_config_static_selectorELNS0_4arch9wavefront6targetE1EEEvSK_
; %bb.0:
	.section	.rodata,"a",@progbits
	.p2align	6, 0x0
	.amdhsa_kernel _ZN7rocprim17ROCPRIM_400000_NS6detail17trampoline_kernelINS0_14default_configENS1_35radix_sort_onesweep_config_selectorItNS0_10empty_typeEEEZZNS1_29radix_sort_onesweep_iterationIS3_Lb0EN6thrust23THRUST_200600_302600_NS6detail15normal_iteratorINS9_10device_ptrItEEEESE_PS5_SF_jNS0_19identity_decomposerENS1_16block_id_wrapperIjLb1EEEEE10hipError_tT1_PNSt15iterator_traitsISK_E10value_typeET2_T3_PNSL_ISQ_E10value_typeET4_T5_PSV_SW_PNS1_23onesweep_lookback_stateEbbT6_jjT7_P12ihipStream_tbENKUlT_T0_SK_SP_E_clISE_PtSF_SF_EEDaS13_S14_SK_SP_EUlS13_E_NS1_11comp_targetILNS1_3genE2ELNS1_11target_archE906ELNS1_3gpuE6ELNS1_3repE0EEENS1_47radix_sort_onesweep_sort_config_static_selectorELNS0_4arch9wavefront6targetE1EEEvSK_
		.amdhsa_group_segment_fixed_size 0
		.amdhsa_private_segment_fixed_size 0
		.amdhsa_kernarg_size 88
		.amdhsa_user_sgpr_count 2
		.amdhsa_user_sgpr_dispatch_ptr 0
		.amdhsa_user_sgpr_queue_ptr 0
		.amdhsa_user_sgpr_kernarg_segment_ptr 1
		.amdhsa_user_sgpr_dispatch_id 0
		.amdhsa_user_sgpr_kernarg_preload_length 0
		.amdhsa_user_sgpr_kernarg_preload_offset 0
		.amdhsa_user_sgpr_private_segment_size 0
		.amdhsa_uses_dynamic_stack 0
		.amdhsa_enable_private_segment 0
		.amdhsa_system_sgpr_workgroup_id_x 1
		.amdhsa_system_sgpr_workgroup_id_y 0
		.amdhsa_system_sgpr_workgroup_id_z 0
		.amdhsa_system_sgpr_workgroup_info 0
		.amdhsa_system_vgpr_workitem_id 0
		.amdhsa_next_free_vgpr 1
		.amdhsa_next_free_sgpr 0
		.amdhsa_accum_offset 4
		.amdhsa_reserve_vcc 0
		.amdhsa_float_round_mode_32 0
		.amdhsa_float_round_mode_16_64 0
		.amdhsa_float_denorm_mode_32 3
		.amdhsa_float_denorm_mode_16_64 3
		.amdhsa_dx10_clamp 1
		.amdhsa_ieee_mode 1
		.amdhsa_fp16_overflow 0
		.amdhsa_tg_split 0
		.amdhsa_exception_fp_ieee_invalid_op 0
		.amdhsa_exception_fp_denorm_src 0
		.amdhsa_exception_fp_ieee_div_zero 0
		.amdhsa_exception_fp_ieee_overflow 0
		.amdhsa_exception_fp_ieee_underflow 0
		.amdhsa_exception_fp_ieee_inexact 0
		.amdhsa_exception_int_div_zero 0
	.end_amdhsa_kernel
	.section	.text._ZN7rocprim17ROCPRIM_400000_NS6detail17trampoline_kernelINS0_14default_configENS1_35radix_sort_onesweep_config_selectorItNS0_10empty_typeEEEZZNS1_29radix_sort_onesweep_iterationIS3_Lb0EN6thrust23THRUST_200600_302600_NS6detail15normal_iteratorINS9_10device_ptrItEEEESE_PS5_SF_jNS0_19identity_decomposerENS1_16block_id_wrapperIjLb1EEEEE10hipError_tT1_PNSt15iterator_traitsISK_E10value_typeET2_T3_PNSL_ISQ_E10value_typeET4_T5_PSV_SW_PNS1_23onesweep_lookback_stateEbbT6_jjT7_P12ihipStream_tbENKUlT_T0_SK_SP_E_clISE_PtSF_SF_EEDaS13_S14_SK_SP_EUlS13_E_NS1_11comp_targetILNS1_3genE2ELNS1_11target_archE906ELNS1_3gpuE6ELNS1_3repE0EEENS1_47radix_sort_onesweep_sort_config_static_selectorELNS0_4arch9wavefront6targetE1EEEvSK_,"axG",@progbits,_ZN7rocprim17ROCPRIM_400000_NS6detail17trampoline_kernelINS0_14default_configENS1_35radix_sort_onesweep_config_selectorItNS0_10empty_typeEEEZZNS1_29radix_sort_onesweep_iterationIS3_Lb0EN6thrust23THRUST_200600_302600_NS6detail15normal_iteratorINS9_10device_ptrItEEEESE_PS5_SF_jNS0_19identity_decomposerENS1_16block_id_wrapperIjLb1EEEEE10hipError_tT1_PNSt15iterator_traitsISK_E10value_typeET2_T3_PNSL_ISQ_E10value_typeET4_T5_PSV_SW_PNS1_23onesweep_lookback_stateEbbT6_jjT7_P12ihipStream_tbENKUlT_T0_SK_SP_E_clISE_PtSF_SF_EEDaS13_S14_SK_SP_EUlS13_E_NS1_11comp_targetILNS1_3genE2ELNS1_11target_archE906ELNS1_3gpuE6ELNS1_3repE0EEENS1_47radix_sort_onesweep_sort_config_static_selectorELNS0_4arch9wavefront6targetE1EEEvSK_,comdat
.Lfunc_end1350:
	.size	_ZN7rocprim17ROCPRIM_400000_NS6detail17trampoline_kernelINS0_14default_configENS1_35radix_sort_onesweep_config_selectorItNS0_10empty_typeEEEZZNS1_29radix_sort_onesweep_iterationIS3_Lb0EN6thrust23THRUST_200600_302600_NS6detail15normal_iteratorINS9_10device_ptrItEEEESE_PS5_SF_jNS0_19identity_decomposerENS1_16block_id_wrapperIjLb1EEEEE10hipError_tT1_PNSt15iterator_traitsISK_E10value_typeET2_T3_PNSL_ISQ_E10value_typeET4_T5_PSV_SW_PNS1_23onesweep_lookback_stateEbbT6_jjT7_P12ihipStream_tbENKUlT_T0_SK_SP_E_clISE_PtSF_SF_EEDaS13_S14_SK_SP_EUlS13_E_NS1_11comp_targetILNS1_3genE2ELNS1_11target_archE906ELNS1_3gpuE6ELNS1_3repE0EEENS1_47radix_sort_onesweep_sort_config_static_selectorELNS0_4arch9wavefront6targetE1EEEvSK_, .Lfunc_end1350-_ZN7rocprim17ROCPRIM_400000_NS6detail17trampoline_kernelINS0_14default_configENS1_35radix_sort_onesweep_config_selectorItNS0_10empty_typeEEEZZNS1_29radix_sort_onesweep_iterationIS3_Lb0EN6thrust23THRUST_200600_302600_NS6detail15normal_iteratorINS9_10device_ptrItEEEESE_PS5_SF_jNS0_19identity_decomposerENS1_16block_id_wrapperIjLb1EEEEE10hipError_tT1_PNSt15iterator_traitsISK_E10value_typeET2_T3_PNSL_ISQ_E10value_typeET4_T5_PSV_SW_PNS1_23onesweep_lookback_stateEbbT6_jjT7_P12ihipStream_tbENKUlT_T0_SK_SP_E_clISE_PtSF_SF_EEDaS13_S14_SK_SP_EUlS13_E_NS1_11comp_targetILNS1_3genE2ELNS1_11target_archE906ELNS1_3gpuE6ELNS1_3repE0EEENS1_47radix_sort_onesweep_sort_config_static_selectorELNS0_4arch9wavefront6targetE1EEEvSK_
                                        ; -- End function
	.section	.AMDGPU.csdata,"",@progbits
; Kernel info:
; codeLenInByte = 0
; NumSgprs: 6
; NumVgprs: 0
; NumAgprs: 0
; TotalNumVgprs: 0
; ScratchSize: 0
; MemoryBound: 0
; FloatMode: 240
; IeeeMode: 1
; LDSByteSize: 0 bytes/workgroup (compile time only)
; SGPRBlocks: 0
; VGPRBlocks: 0
; NumSGPRsForWavesPerEU: 6
; NumVGPRsForWavesPerEU: 1
; AccumOffset: 4
; Occupancy: 8
; WaveLimiterHint : 0
; COMPUTE_PGM_RSRC2:SCRATCH_EN: 0
; COMPUTE_PGM_RSRC2:USER_SGPR: 2
; COMPUTE_PGM_RSRC2:TRAP_HANDLER: 0
; COMPUTE_PGM_RSRC2:TGID_X_EN: 1
; COMPUTE_PGM_RSRC2:TGID_Y_EN: 0
; COMPUTE_PGM_RSRC2:TGID_Z_EN: 0
; COMPUTE_PGM_RSRC2:TIDIG_COMP_CNT: 0
; COMPUTE_PGM_RSRC3_GFX90A:ACCUM_OFFSET: 0
; COMPUTE_PGM_RSRC3_GFX90A:TG_SPLIT: 0
	.section	.text._ZN7rocprim17ROCPRIM_400000_NS6detail17trampoline_kernelINS0_14default_configENS1_35radix_sort_onesweep_config_selectorItNS0_10empty_typeEEEZZNS1_29radix_sort_onesweep_iterationIS3_Lb0EN6thrust23THRUST_200600_302600_NS6detail15normal_iteratorINS9_10device_ptrItEEEESE_PS5_SF_jNS0_19identity_decomposerENS1_16block_id_wrapperIjLb1EEEEE10hipError_tT1_PNSt15iterator_traitsISK_E10value_typeET2_T3_PNSL_ISQ_E10value_typeET4_T5_PSV_SW_PNS1_23onesweep_lookback_stateEbbT6_jjT7_P12ihipStream_tbENKUlT_T0_SK_SP_E_clISE_PtSF_SF_EEDaS13_S14_SK_SP_EUlS13_E_NS1_11comp_targetILNS1_3genE4ELNS1_11target_archE910ELNS1_3gpuE8ELNS1_3repE0EEENS1_47radix_sort_onesweep_sort_config_static_selectorELNS0_4arch9wavefront6targetE1EEEvSK_,"axG",@progbits,_ZN7rocprim17ROCPRIM_400000_NS6detail17trampoline_kernelINS0_14default_configENS1_35radix_sort_onesweep_config_selectorItNS0_10empty_typeEEEZZNS1_29radix_sort_onesweep_iterationIS3_Lb0EN6thrust23THRUST_200600_302600_NS6detail15normal_iteratorINS9_10device_ptrItEEEESE_PS5_SF_jNS0_19identity_decomposerENS1_16block_id_wrapperIjLb1EEEEE10hipError_tT1_PNSt15iterator_traitsISK_E10value_typeET2_T3_PNSL_ISQ_E10value_typeET4_T5_PSV_SW_PNS1_23onesweep_lookback_stateEbbT6_jjT7_P12ihipStream_tbENKUlT_T0_SK_SP_E_clISE_PtSF_SF_EEDaS13_S14_SK_SP_EUlS13_E_NS1_11comp_targetILNS1_3genE4ELNS1_11target_archE910ELNS1_3gpuE8ELNS1_3repE0EEENS1_47radix_sort_onesweep_sort_config_static_selectorELNS0_4arch9wavefront6targetE1EEEvSK_,comdat
	.protected	_ZN7rocprim17ROCPRIM_400000_NS6detail17trampoline_kernelINS0_14default_configENS1_35radix_sort_onesweep_config_selectorItNS0_10empty_typeEEEZZNS1_29radix_sort_onesweep_iterationIS3_Lb0EN6thrust23THRUST_200600_302600_NS6detail15normal_iteratorINS9_10device_ptrItEEEESE_PS5_SF_jNS0_19identity_decomposerENS1_16block_id_wrapperIjLb1EEEEE10hipError_tT1_PNSt15iterator_traitsISK_E10value_typeET2_T3_PNSL_ISQ_E10value_typeET4_T5_PSV_SW_PNS1_23onesweep_lookback_stateEbbT6_jjT7_P12ihipStream_tbENKUlT_T0_SK_SP_E_clISE_PtSF_SF_EEDaS13_S14_SK_SP_EUlS13_E_NS1_11comp_targetILNS1_3genE4ELNS1_11target_archE910ELNS1_3gpuE8ELNS1_3repE0EEENS1_47radix_sort_onesweep_sort_config_static_selectorELNS0_4arch9wavefront6targetE1EEEvSK_ ; -- Begin function _ZN7rocprim17ROCPRIM_400000_NS6detail17trampoline_kernelINS0_14default_configENS1_35radix_sort_onesweep_config_selectorItNS0_10empty_typeEEEZZNS1_29radix_sort_onesweep_iterationIS3_Lb0EN6thrust23THRUST_200600_302600_NS6detail15normal_iteratorINS9_10device_ptrItEEEESE_PS5_SF_jNS0_19identity_decomposerENS1_16block_id_wrapperIjLb1EEEEE10hipError_tT1_PNSt15iterator_traitsISK_E10value_typeET2_T3_PNSL_ISQ_E10value_typeET4_T5_PSV_SW_PNS1_23onesweep_lookback_stateEbbT6_jjT7_P12ihipStream_tbENKUlT_T0_SK_SP_E_clISE_PtSF_SF_EEDaS13_S14_SK_SP_EUlS13_E_NS1_11comp_targetILNS1_3genE4ELNS1_11target_archE910ELNS1_3gpuE8ELNS1_3repE0EEENS1_47radix_sort_onesweep_sort_config_static_selectorELNS0_4arch9wavefront6targetE1EEEvSK_
	.globl	_ZN7rocprim17ROCPRIM_400000_NS6detail17trampoline_kernelINS0_14default_configENS1_35radix_sort_onesweep_config_selectorItNS0_10empty_typeEEEZZNS1_29radix_sort_onesweep_iterationIS3_Lb0EN6thrust23THRUST_200600_302600_NS6detail15normal_iteratorINS9_10device_ptrItEEEESE_PS5_SF_jNS0_19identity_decomposerENS1_16block_id_wrapperIjLb1EEEEE10hipError_tT1_PNSt15iterator_traitsISK_E10value_typeET2_T3_PNSL_ISQ_E10value_typeET4_T5_PSV_SW_PNS1_23onesweep_lookback_stateEbbT6_jjT7_P12ihipStream_tbENKUlT_T0_SK_SP_E_clISE_PtSF_SF_EEDaS13_S14_SK_SP_EUlS13_E_NS1_11comp_targetILNS1_3genE4ELNS1_11target_archE910ELNS1_3gpuE8ELNS1_3repE0EEENS1_47radix_sort_onesweep_sort_config_static_selectorELNS0_4arch9wavefront6targetE1EEEvSK_
	.p2align	8
	.type	_ZN7rocprim17ROCPRIM_400000_NS6detail17trampoline_kernelINS0_14default_configENS1_35radix_sort_onesweep_config_selectorItNS0_10empty_typeEEEZZNS1_29radix_sort_onesweep_iterationIS3_Lb0EN6thrust23THRUST_200600_302600_NS6detail15normal_iteratorINS9_10device_ptrItEEEESE_PS5_SF_jNS0_19identity_decomposerENS1_16block_id_wrapperIjLb1EEEEE10hipError_tT1_PNSt15iterator_traitsISK_E10value_typeET2_T3_PNSL_ISQ_E10value_typeET4_T5_PSV_SW_PNS1_23onesweep_lookback_stateEbbT6_jjT7_P12ihipStream_tbENKUlT_T0_SK_SP_E_clISE_PtSF_SF_EEDaS13_S14_SK_SP_EUlS13_E_NS1_11comp_targetILNS1_3genE4ELNS1_11target_archE910ELNS1_3gpuE8ELNS1_3repE0EEENS1_47radix_sort_onesweep_sort_config_static_selectorELNS0_4arch9wavefront6targetE1EEEvSK_,@function
_ZN7rocprim17ROCPRIM_400000_NS6detail17trampoline_kernelINS0_14default_configENS1_35radix_sort_onesweep_config_selectorItNS0_10empty_typeEEEZZNS1_29radix_sort_onesweep_iterationIS3_Lb0EN6thrust23THRUST_200600_302600_NS6detail15normal_iteratorINS9_10device_ptrItEEEESE_PS5_SF_jNS0_19identity_decomposerENS1_16block_id_wrapperIjLb1EEEEE10hipError_tT1_PNSt15iterator_traitsISK_E10value_typeET2_T3_PNSL_ISQ_E10value_typeET4_T5_PSV_SW_PNS1_23onesweep_lookback_stateEbbT6_jjT7_P12ihipStream_tbENKUlT_T0_SK_SP_E_clISE_PtSF_SF_EEDaS13_S14_SK_SP_EUlS13_E_NS1_11comp_targetILNS1_3genE4ELNS1_11target_archE910ELNS1_3gpuE8ELNS1_3repE0EEENS1_47radix_sort_onesweep_sort_config_static_selectorELNS0_4arch9wavefront6targetE1EEEvSK_: ; @_ZN7rocprim17ROCPRIM_400000_NS6detail17trampoline_kernelINS0_14default_configENS1_35radix_sort_onesweep_config_selectorItNS0_10empty_typeEEEZZNS1_29radix_sort_onesweep_iterationIS3_Lb0EN6thrust23THRUST_200600_302600_NS6detail15normal_iteratorINS9_10device_ptrItEEEESE_PS5_SF_jNS0_19identity_decomposerENS1_16block_id_wrapperIjLb1EEEEE10hipError_tT1_PNSt15iterator_traitsISK_E10value_typeET2_T3_PNSL_ISQ_E10value_typeET4_T5_PSV_SW_PNS1_23onesweep_lookback_stateEbbT6_jjT7_P12ihipStream_tbENKUlT_T0_SK_SP_E_clISE_PtSF_SF_EEDaS13_S14_SK_SP_EUlS13_E_NS1_11comp_targetILNS1_3genE4ELNS1_11target_archE910ELNS1_3gpuE8ELNS1_3repE0EEENS1_47radix_sort_onesweep_sort_config_static_selectorELNS0_4arch9wavefront6targetE1EEEvSK_
; %bb.0:
	.section	.rodata,"a",@progbits
	.p2align	6, 0x0
	.amdhsa_kernel _ZN7rocprim17ROCPRIM_400000_NS6detail17trampoline_kernelINS0_14default_configENS1_35radix_sort_onesweep_config_selectorItNS0_10empty_typeEEEZZNS1_29radix_sort_onesweep_iterationIS3_Lb0EN6thrust23THRUST_200600_302600_NS6detail15normal_iteratorINS9_10device_ptrItEEEESE_PS5_SF_jNS0_19identity_decomposerENS1_16block_id_wrapperIjLb1EEEEE10hipError_tT1_PNSt15iterator_traitsISK_E10value_typeET2_T3_PNSL_ISQ_E10value_typeET4_T5_PSV_SW_PNS1_23onesweep_lookback_stateEbbT6_jjT7_P12ihipStream_tbENKUlT_T0_SK_SP_E_clISE_PtSF_SF_EEDaS13_S14_SK_SP_EUlS13_E_NS1_11comp_targetILNS1_3genE4ELNS1_11target_archE910ELNS1_3gpuE8ELNS1_3repE0EEENS1_47radix_sort_onesweep_sort_config_static_selectorELNS0_4arch9wavefront6targetE1EEEvSK_
		.amdhsa_group_segment_fixed_size 0
		.amdhsa_private_segment_fixed_size 0
		.amdhsa_kernarg_size 88
		.amdhsa_user_sgpr_count 2
		.amdhsa_user_sgpr_dispatch_ptr 0
		.amdhsa_user_sgpr_queue_ptr 0
		.amdhsa_user_sgpr_kernarg_segment_ptr 1
		.amdhsa_user_sgpr_dispatch_id 0
		.amdhsa_user_sgpr_kernarg_preload_length 0
		.amdhsa_user_sgpr_kernarg_preload_offset 0
		.amdhsa_user_sgpr_private_segment_size 0
		.amdhsa_uses_dynamic_stack 0
		.amdhsa_enable_private_segment 0
		.amdhsa_system_sgpr_workgroup_id_x 1
		.amdhsa_system_sgpr_workgroup_id_y 0
		.amdhsa_system_sgpr_workgroup_id_z 0
		.amdhsa_system_sgpr_workgroup_info 0
		.amdhsa_system_vgpr_workitem_id 0
		.amdhsa_next_free_vgpr 1
		.amdhsa_next_free_sgpr 0
		.amdhsa_accum_offset 4
		.amdhsa_reserve_vcc 0
		.amdhsa_float_round_mode_32 0
		.amdhsa_float_round_mode_16_64 0
		.amdhsa_float_denorm_mode_32 3
		.amdhsa_float_denorm_mode_16_64 3
		.amdhsa_dx10_clamp 1
		.amdhsa_ieee_mode 1
		.amdhsa_fp16_overflow 0
		.amdhsa_tg_split 0
		.amdhsa_exception_fp_ieee_invalid_op 0
		.amdhsa_exception_fp_denorm_src 0
		.amdhsa_exception_fp_ieee_div_zero 0
		.amdhsa_exception_fp_ieee_overflow 0
		.amdhsa_exception_fp_ieee_underflow 0
		.amdhsa_exception_fp_ieee_inexact 0
		.amdhsa_exception_int_div_zero 0
	.end_amdhsa_kernel
	.section	.text._ZN7rocprim17ROCPRIM_400000_NS6detail17trampoline_kernelINS0_14default_configENS1_35radix_sort_onesweep_config_selectorItNS0_10empty_typeEEEZZNS1_29radix_sort_onesweep_iterationIS3_Lb0EN6thrust23THRUST_200600_302600_NS6detail15normal_iteratorINS9_10device_ptrItEEEESE_PS5_SF_jNS0_19identity_decomposerENS1_16block_id_wrapperIjLb1EEEEE10hipError_tT1_PNSt15iterator_traitsISK_E10value_typeET2_T3_PNSL_ISQ_E10value_typeET4_T5_PSV_SW_PNS1_23onesweep_lookback_stateEbbT6_jjT7_P12ihipStream_tbENKUlT_T0_SK_SP_E_clISE_PtSF_SF_EEDaS13_S14_SK_SP_EUlS13_E_NS1_11comp_targetILNS1_3genE4ELNS1_11target_archE910ELNS1_3gpuE8ELNS1_3repE0EEENS1_47radix_sort_onesweep_sort_config_static_selectorELNS0_4arch9wavefront6targetE1EEEvSK_,"axG",@progbits,_ZN7rocprim17ROCPRIM_400000_NS6detail17trampoline_kernelINS0_14default_configENS1_35radix_sort_onesweep_config_selectorItNS0_10empty_typeEEEZZNS1_29radix_sort_onesweep_iterationIS3_Lb0EN6thrust23THRUST_200600_302600_NS6detail15normal_iteratorINS9_10device_ptrItEEEESE_PS5_SF_jNS0_19identity_decomposerENS1_16block_id_wrapperIjLb1EEEEE10hipError_tT1_PNSt15iterator_traitsISK_E10value_typeET2_T3_PNSL_ISQ_E10value_typeET4_T5_PSV_SW_PNS1_23onesweep_lookback_stateEbbT6_jjT7_P12ihipStream_tbENKUlT_T0_SK_SP_E_clISE_PtSF_SF_EEDaS13_S14_SK_SP_EUlS13_E_NS1_11comp_targetILNS1_3genE4ELNS1_11target_archE910ELNS1_3gpuE8ELNS1_3repE0EEENS1_47radix_sort_onesweep_sort_config_static_selectorELNS0_4arch9wavefront6targetE1EEEvSK_,comdat
.Lfunc_end1351:
	.size	_ZN7rocprim17ROCPRIM_400000_NS6detail17trampoline_kernelINS0_14default_configENS1_35radix_sort_onesweep_config_selectorItNS0_10empty_typeEEEZZNS1_29radix_sort_onesweep_iterationIS3_Lb0EN6thrust23THRUST_200600_302600_NS6detail15normal_iteratorINS9_10device_ptrItEEEESE_PS5_SF_jNS0_19identity_decomposerENS1_16block_id_wrapperIjLb1EEEEE10hipError_tT1_PNSt15iterator_traitsISK_E10value_typeET2_T3_PNSL_ISQ_E10value_typeET4_T5_PSV_SW_PNS1_23onesweep_lookback_stateEbbT6_jjT7_P12ihipStream_tbENKUlT_T0_SK_SP_E_clISE_PtSF_SF_EEDaS13_S14_SK_SP_EUlS13_E_NS1_11comp_targetILNS1_3genE4ELNS1_11target_archE910ELNS1_3gpuE8ELNS1_3repE0EEENS1_47radix_sort_onesweep_sort_config_static_selectorELNS0_4arch9wavefront6targetE1EEEvSK_, .Lfunc_end1351-_ZN7rocprim17ROCPRIM_400000_NS6detail17trampoline_kernelINS0_14default_configENS1_35radix_sort_onesweep_config_selectorItNS0_10empty_typeEEEZZNS1_29radix_sort_onesweep_iterationIS3_Lb0EN6thrust23THRUST_200600_302600_NS6detail15normal_iteratorINS9_10device_ptrItEEEESE_PS5_SF_jNS0_19identity_decomposerENS1_16block_id_wrapperIjLb1EEEEE10hipError_tT1_PNSt15iterator_traitsISK_E10value_typeET2_T3_PNSL_ISQ_E10value_typeET4_T5_PSV_SW_PNS1_23onesweep_lookback_stateEbbT6_jjT7_P12ihipStream_tbENKUlT_T0_SK_SP_E_clISE_PtSF_SF_EEDaS13_S14_SK_SP_EUlS13_E_NS1_11comp_targetILNS1_3genE4ELNS1_11target_archE910ELNS1_3gpuE8ELNS1_3repE0EEENS1_47radix_sort_onesweep_sort_config_static_selectorELNS0_4arch9wavefront6targetE1EEEvSK_
                                        ; -- End function
	.section	.AMDGPU.csdata,"",@progbits
; Kernel info:
; codeLenInByte = 0
; NumSgprs: 6
; NumVgprs: 0
; NumAgprs: 0
; TotalNumVgprs: 0
; ScratchSize: 0
; MemoryBound: 0
; FloatMode: 240
; IeeeMode: 1
; LDSByteSize: 0 bytes/workgroup (compile time only)
; SGPRBlocks: 0
; VGPRBlocks: 0
; NumSGPRsForWavesPerEU: 6
; NumVGPRsForWavesPerEU: 1
; AccumOffset: 4
; Occupancy: 8
; WaveLimiterHint : 0
; COMPUTE_PGM_RSRC2:SCRATCH_EN: 0
; COMPUTE_PGM_RSRC2:USER_SGPR: 2
; COMPUTE_PGM_RSRC2:TRAP_HANDLER: 0
; COMPUTE_PGM_RSRC2:TGID_X_EN: 1
; COMPUTE_PGM_RSRC2:TGID_Y_EN: 0
; COMPUTE_PGM_RSRC2:TGID_Z_EN: 0
; COMPUTE_PGM_RSRC2:TIDIG_COMP_CNT: 0
; COMPUTE_PGM_RSRC3_GFX90A:ACCUM_OFFSET: 0
; COMPUTE_PGM_RSRC3_GFX90A:TG_SPLIT: 0
	.section	.text._ZN7rocprim17ROCPRIM_400000_NS6detail17trampoline_kernelINS0_14default_configENS1_35radix_sort_onesweep_config_selectorItNS0_10empty_typeEEEZZNS1_29radix_sort_onesweep_iterationIS3_Lb0EN6thrust23THRUST_200600_302600_NS6detail15normal_iteratorINS9_10device_ptrItEEEESE_PS5_SF_jNS0_19identity_decomposerENS1_16block_id_wrapperIjLb1EEEEE10hipError_tT1_PNSt15iterator_traitsISK_E10value_typeET2_T3_PNSL_ISQ_E10value_typeET4_T5_PSV_SW_PNS1_23onesweep_lookback_stateEbbT6_jjT7_P12ihipStream_tbENKUlT_T0_SK_SP_E_clISE_PtSF_SF_EEDaS13_S14_SK_SP_EUlS13_E_NS1_11comp_targetILNS1_3genE3ELNS1_11target_archE908ELNS1_3gpuE7ELNS1_3repE0EEENS1_47radix_sort_onesweep_sort_config_static_selectorELNS0_4arch9wavefront6targetE1EEEvSK_,"axG",@progbits,_ZN7rocprim17ROCPRIM_400000_NS6detail17trampoline_kernelINS0_14default_configENS1_35radix_sort_onesweep_config_selectorItNS0_10empty_typeEEEZZNS1_29radix_sort_onesweep_iterationIS3_Lb0EN6thrust23THRUST_200600_302600_NS6detail15normal_iteratorINS9_10device_ptrItEEEESE_PS5_SF_jNS0_19identity_decomposerENS1_16block_id_wrapperIjLb1EEEEE10hipError_tT1_PNSt15iterator_traitsISK_E10value_typeET2_T3_PNSL_ISQ_E10value_typeET4_T5_PSV_SW_PNS1_23onesweep_lookback_stateEbbT6_jjT7_P12ihipStream_tbENKUlT_T0_SK_SP_E_clISE_PtSF_SF_EEDaS13_S14_SK_SP_EUlS13_E_NS1_11comp_targetILNS1_3genE3ELNS1_11target_archE908ELNS1_3gpuE7ELNS1_3repE0EEENS1_47radix_sort_onesweep_sort_config_static_selectorELNS0_4arch9wavefront6targetE1EEEvSK_,comdat
	.protected	_ZN7rocprim17ROCPRIM_400000_NS6detail17trampoline_kernelINS0_14default_configENS1_35radix_sort_onesweep_config_selectorItNS0_10empty_typeEEEZZNS1_29radix_sort_onesweep_iterationIS3_Lb0EN6thrust23THRUST_200600_302600_NS6detail15normal_iteratorINS9_10device_ptrItEEEESE_PS5_SF_jNS0_19identity_decomposerENS1_16block_id_wrapperIjLb1EEEEE10hipError_tT1_PNSt15iterator_traitsISK_E10value_typeET2_T3_PNSL_ISQ_E10value_typeET4_T5_PSV_SW_PNS1_23onesweep_lookback_stateEbbT6_jjT7_P12ihipStream_tbENKUlT_T0_SK_SP_E_clISE_PtSF_SF_EEDaS13_S14_SK_SP_EUlS13_E_NS1_11comp_targetILNS1_3genE3ELNS1_11target_archE908ELNS1_3gpuE7ELNS1_3repE0EEENS1_47radix_sort_onesweep_sort_config_static_selectorELNS0_4arch9wavefront6targetE1EEEvSK_ ; -- Begin function _ZN7rocprim17ROCPRIM_400000_NS6detail17trampoline_kernelINS0_14default_configENS1_35radix_sort_onesweep_config_selectorItNS0_10empty_typeEEEZZNS1_29radix_sort_onesweep_iterationIS3_Lb0EN6thrust23THRUST_200600_302600_NS6detail15normal_iteratorINS9_10device_ptrItEEEESE_PS5_SF_jNS0_19identity_decomposerENS1_16block_id_wrapperIjLb1EEEEE10hipError_tT1_PNSt15iterator_traitsISK_E10value_typeET2_T3_PNSL_ISQ_E10value_typeET4_T5_PSV_SW_PNS1_23onesweep_lookback_stateEbbT6_jjT7_P12ihipStream_tbENKUlT_T0_SK_SP_E_clISE_PtSF_SF_EEDaS13_S14_SK_SP_EUlS13_E_NS1_11comp_targetILNS1_3genE3ELNS1_11target_archE908ELNS1_3gpuE7ELNS1_3repE0EEENS1_47radix_sort_onesweep_sort_config_static_selectorELNS0_4arch9wavefront6targetE1EEEvSK_
	.globl	_ZN7rocprim17ROCPRIM_400000_NS6detail17trampoline_kernelINS0_14default_configENS1_35radix_sort_onesweep_config_selectorItNS0_10empty_typeEEEZZNS1_29radix_sort_onesweep_iterationIS3_Lb0EN6thrust23THRUST_200600_302600_NS6detail15normal_iteratorINS9_10device_ptrItEEEESE_PS5_SF_jNS0_19identity_decomposerENS1_16block_id_wrapperIjLb1EEEEE10hipError_tT1_PNSt15iterator_traitsISK_E10value_typeET2_T3_PNSL_ISQ_E10value_typeET4_T5_PSV_SW_PNS1_23onesweep_lookback_stateEbbT6_jjT7_P12ihipStream_tbENKUlT_T0_SK_SP_E_clISE_PtSF_SF_EEDaS13_S14_SK_SP_EUlS13_E_NS1_11comp_targetILNS1_3genE3ELNS1_11target_archE908ELNS1_3gpuE7ELNS1_3repE0EEENS1_47radix_sort_onesweep_sort_config_static_selectorELNS0_4arch9wavefront6targetE1EEEvSK_
	.p2align	8
	.type	_ZN7rocprim17ROCPRIM_400000_NS6detail17trampoline_kernelINS0_14default_configENS1_35radix_sort_onesweep_config_selectorItNS0_10empty_typeEEEZZNS1_29radix_sort_onesweep_iterationIS3_Lb0EN6thrust23THRUST_200600_302600_NS6detail15normal_iteratorINS9_10device_ptrItEEEESE_PS5_SF_jNS0_19identity_decomposerENS1_16block_id_wrapperIjLb1EEEEE10hipError_tT1_PNSt15iterator_traitsISK_E10value_typeET2_T3_PNSL_ISQ_E10value_typeET4_T5_PSV_SW_PNS1_23onesweep_lookback_stateEbbT6_jjT7_P12ihipStream_tbENKUlT_T0_SK_SP_E_clISE_PtSF_SF_EEDaS13_S14_SK_SP_EUlS13_E_NS1_11comp_targetILNS1_3genE3ELNS1_11target_archE908ELNS1_3gpuE7ELNS1_3repE0EEENS1_47radix_sort_onesweep_sort_config_static_selectorELNS0_4arch9wavefront6targetE1EEEvSK_,@function
_ZN7rocprim17ROCPRIM_400000_NS6detail17trampoline_kernelINS0_14default_configENS1_35radix_sort_onesweep_config_selectorItNS0_10empty_typeEEEZZNS1_29radix_sort_onesweep_iterationIS3_Lb0EN6thrust23THRUST_200600_302600_NS6detail15normal_iteratorINS9_10device_ptrItEEEESE_PS5_SF_jNS0_19identity_decomposerENS1_16block_id_wrapperIjLb1EEEEE10hipError_tT1_PNSt15iterator_traitsISK_E10value_typeET2_T3_PNSL_ISQ_E10value_typeET4_T5_PSV_SW_PNS1_23onesweep_lookback_stateEbbT6_jjT7_P12ihipStream_tbENKUlT_T0_SK_SP_E_clISE_PtSF_SF_EEDaS13_S14_SK_SP_EUlS13_E_NS1_11comp_targetILNS1_3genE3ELNS1_11target_archE908ELNS1_3gpuE7ELNS1_3repE0EEENS1_47radix_sort_onesweep_sort_config_static_selectorELNS0_4arch9wavefront6targetE1EEEvSK_: ; @_ZN7rocprim17ROCPRIM_400000_NS6detail17trampoline_kernelINS0_14default_configENS1_35radix_sort_onesweep_config_selectorItNS0_10empty_typeEEEZZNS1_29radix_sort_onesweep_iterationIS3_Lb0EN6thrust23THRUST_200600_302600_NS6detail15normal_iteratorINS9_10device_ptrItEEEESE_PS5_SF_jNS0_19identity_decomposerENS1_16block_id_wrapperIjLb1EEEEE10hipError_tT1_PNSt15iterator_traitsISK_E10value_typeET2_T3_PNSL_ISQ_E10value_typeET4_T5_PSV_SW_PNS1_23onesweep_lookback_stateEbbT6_jjT7_P12ihipStream_tbENKUlT_T0_SK_SP_E_clISE_PtSF_SF_EEDaS13_S14_SK_SP_EUlS13_E_NS1_11comp_targetILNS1_3genE3ELNS1_11target_archE908ELNS1_3gpuE7ELNS1_3repE0EEENS1_47radix_sort_onesweep_sort_config_static_selectorELNS0_4arch9wavefront6targetE1EEEvSK_
; %bb.0:
	.section	.rodata,"a",@progbits
	.p2align	6, 0x0
	.amdhsa_kernel _ZN7rocprim17ROCPRIM_400000_NS6detail17trampoline_kernelINS0_14default_configENS1_35radix_sort_onesweep_config_selectorItNS0_10empty_typeEEEZZNS1_29radix_sort_onesweep_iterationIS3_Lb0EN6thrust23THRUST_200600_302600_NS6detail15normal_iteratorINS9_10device_ptrItEEEESE_PS5_SF_jNS0_19identity_decomposerENS1_16block_id_wrapperIjLb1EEEEE10hipError_tT1_PNSt15iterator_traitsISK_E10value_typeET2_T3_PNSL_ISQ_E10value_typeET4_T5_PSV_SW_PNS1_23onesweep_lookback_stateEbbT6_jjT7_P12ihipStream_tbENKUlT_T0_SK_SP_E_clISE_PtSF_SF_EEDaS13_S14_SK_SP_EUlS13_E_NS1_11comp_targetILNS1_3genE3ELNS1_11target_archE908ELNS1_3gpuE7ELNS1_3repE0EEENS1_47radix_sort_onesweep_sort_config_static_selectorELNS0_4arch9wavefront6targetE1EEEvSK_
		.amdhsa_group_segment_fixed_size 0
		.amdhsa_private_segment_fixed_size 0
		.amdhsa_kernarg_size 88
		.amdhsa_user_sgpr_count 2
		.amdhsa_user_sgpr_dispatch_ptr 0
		.amdhsa_user_sgpr_queue_ptr 0
		.amdhsa_user_sgpr_kernarg_segment_ptr 1
		.amdhsa_user_sgpr_dispatch_id 0
		.amdhsa_user_sgpr_kernarg_preload_length 0
		.amdhsa_user_sgpr_kernarg_preload_offset 0
		.amdhsa_user_sgpr_private_segment_size 0
		.amdhsa_uses_dynamic_stack 0
		.amdhsa_enable_private_segment 0
		.amdhsa_system_sgpr_workgroup_id_x 1
		.amdhsa_system_sgpr_workgroup_id_y 0
		.amdhsa_system_sgpr_workgroup_id_z 0
		.amdhsa_system_sgpr_workgroup_info 0
		.amdhsa_system_vgpr_workitem_id 0
		.amdhsa_next_free_vgpr 1
		.amdhsa_next_free_sgpr 0
		.amdhsa_accum_offset 4
		.amdhsa_reserve_vcc 0
		.amdhsa_float_round_mode_32 0
		.amdhsa_float_round_mode_16_64 0
		.amdhsa_float_denorm_mode_32 3
		.amdhsa_float_denorm_mode_16_64 3
		.amdhsa_dx10_clamp 1
		.amdhsa_ieee_mode 1
		.amdhsa_fp16_overflow 0
		.amdhsa_tg_split 0
		.amdhsa_exception_fp_ieee_invalid_op 0
		.amdhsa_exception_fp_denorm_src 0
		.amdhsa_exception_fp_ieee_div_zero 0
		.amdhsa_exception_fp_ieee_overflow 0
		.amdhsa_exception_fp_ieee_underflow 0
		.amdhsa_exception_fp_ieee_inexact 0
		.amdhsa_exception_int_div_zero 0
	.end_amdhsa_kernel
	.section	.text._ZN7rocprim17ROCPRIM_400000_NS6detail17trampoline_kernelINS0_14default_configENS1_35radix_sort_onesweep_config_selectorItNS0_10empty_typeEEEZZNS1_29radix_sort_onesweep_iterationIS3_Lb0EN6thrust23THRUST_200600_302600_NS6detail15normal_iteratorINS9_10device_ptrItEEEESE_PS5_SF_jNS0_19identity_decomposerENS1_16block_id_wrapperIjLb1EEEEE10hipError_tT1_PNSt15iterator_traitsISK_E10value_typeET2_T3_PNSL_ISQ_E10value_typeET4_T5_PSV_SW_PNS1_23onesweep_lookback_stateEbbT6_jjT7_P12ihipStream_tbENKUlT_T0_SK_SP_E_clISE_PtSF_SF_EEDaS13_S14_SK_SP_EUlS13_E_NS1_11comp_targetILNS1_3genE3ELNS1_11target_archE908ELNS1_3gpuE7ELNS1_3repE0EEENS1_47radix_sort_onesweep_sort_config_static_selectorELNS0_4arch9wavefront6targetE1EEEvSK_,"axG",@progbits,_ZN7rocprim17ROCPRIM_400000_NS6detail17trampoline_kernelINS0_14default_configENS1_35radix_sort_onesweep_config_selectorItNS0_10empty_typeEEEZZNS1_29radix_sort_onesweep_iterationIS3_Lb0EN6thrust23THRUST_200600_302600_NS6detail15normal_iteratorINS9_10device_ptrItEEEESE_PS5_SF_jNS0_19identity_decomposerENS1_16block_id_wrapperIjLb1EEEEE10hipError_tT1_PNSt15iterator_traitsISK_E10value_typeET2_T3_PNSL_ISQ_E10value_typeET4_T5_PSV_SW_PNS1_23onesweep_lookback_stateEbbT6_jjT7_P12ihipStream_tbENKUlT_T0_SK_SP_E_clISE_PtSF_SF_EEDaS13_S14_SK_SP_EUlS13_E_NS1_11comp_targetILNS1_3genE3ELNS1_11target_archE908ELNS1_3gpuE7ELNS1_3repE0EEENS1_47radix_sort_onesweep_sort_config_static_selectorELNS0_4arch9wavefront6targetE1EEEvSK_,comdat
.Lfunc_end1352:
	.size	_ZN7rocprim17ROCPRIM_400000_NS6detail17trampoline_kernelINS0_14default_configENS1_35radix_sort_onesweep_config_selectorItNS0_10empty_typeEEEZZNS1_29radix_sort_onesweep_iterationIS3_Lb0EN6thrust23THRUST_200600_302600_NS6detail15normal_iteratorINS9_10device_ptrItEEEESE_PS5_SF_jNS0_19identity_decomposerENS1_16block_id_wrapperIjLb1EEEEE10hipError_tT1_PNSt15iterator_traitsISK_E10value_typeET2_T3_PNSL_ISQ_E10value_typeET4_T5_PSV_SW_PNS1_23onesweep_lookback_stateEbbT6_jjT7_P12ihipStream_tbENKUlT_T0_SK_SP_E_clISE_PtSF_SF_EEDaS13_S14_SK_SP_EUlS13_E_NS1_11comp_targetILNS1_3genE3ELNS1_11target_archE908ELNS1_3gpuE7ELNS1_3repE0EEENS1_47radix_sort_onesweep_sort_config_static_selectorELNS0_4arch9wavefront6targetE1EEEvSK_, .Lfunc_end1352-_ZN7rocprim17ROCPRIM_400000_NS6detail17trampoline_kernelINS0_14default_configENS1_35radix_sort_onesweep_config_selectorItNS0_10empty_typeEEEZZNS1_29radix_sort_onesweep_iterationIS3_Lb0EN6thrust23THRUST_200600_302600_NS6detail15normal_iteratorINS9_10device_ptrItEEEESE_PS5_SF_jNS0_19identity_decomposerENS1_16block_id_wrapperIjLb1EEEEE10hipError_tT1_PNSt15iterator_traitsISK_E10value_typeET2_T3_PNSL_ISQ_E10value_typeET4_T5_PSV_SW_PNS1_23onesweep_lookback_stateEbbT6_jjT7_P12ihipStream_tbENKUlT_T0_SK_SP_E_clISE_PtSF_SF_EEDaS13_S14_SK_SP_EUlS13_E_NS1_11comp_targetILNS1_3genE3ELNS1_11target_archE908ELNS1_3gpuE7ELNS1_3repE0EEENS1_47radix_sort_onesweep_sort_config_static_selectorELNS0_4arch9wavefront6targetE1EEEvSK_
                                        ; -- End function
	.section	.AMDGPU.csdata,"",@progbits
; Kernel info:
; codeLenInByte = 0
; NumSgprs: 6
; NumVgprs: 0
; NumAgprs: 0
; TotalNumVgprs: 0
; ScratchSize: 0
; MemoryBound: 0
; FloatMode: 240
; IeeeMode: 1
; LDSByteSize: 0 bytes/workgroup (compile time only)
; SGPRBlocks: 0
; VGPRBlocks: 0
; NumSGPRsForWavesPerEU: 6
; NumVGPRsForWavesPerEU: 1
; AccumOffset: 4
; Occupancy: 8
; WaveLimiterHint : 0
; COMPUTE_PGM_RSRC2:SCRATCH_EN: 0
; COMPUTE_PGM_RSRC2:USER_SGPR: 2
; COMPUTE_PGM_RSRC2:TRAP_HANDLER: 0
; COMPUTE_PGM_RSRC2:TGID_X_EN: 1
; COMPUTE_PGM_RSRC2:TGID_Y_EN: 0
; COMPUTE_PGM_RSRC2:TGID_Z_EN: 0
; COMPUTE_PGM_RSRC2:TIDIG_COMP_CNT: 0
; COMPUTE_PGM_RSRC3_GFX90A:ACCUM_OFFSET: 0
; COMPUTE_PGM_RSRC3_GFX90A:TG_SPLIT: 0
	.section	.text._ZN7rocprim17ROCPRIM_400000_NS6detail17trampoline_kernelINS0_14default_configENS1_35radix_sort_onesweep_config_selectorItNS0_10empty_typeEEEZZNS1_29radix_sort_onesweep_iterationIS3_Lb0EN6thrust23THRUST_200600_302600_NS6detail15normal_iteratorINS9_10device_ptrItEEEESE_PS5_SF_jNS0_19identity_decomposerENS1_16block_id_wrapperIjLb1EEEEE10hipError_tT1_PNSt15iterator_traitsISK_E10value_typeET2_T3_PNSL_ISQ_E10value_typeET4_T5_PSV_SW_PNS1_23onesweep_lookback_stateEbbT6_jjT7_P12ihipStream_tbENKUlT_T0_SK_SP_E_clISE_PtSF_SF_EEDaS13_S14_SK_SP_EUlS13_E_NS1_11comp_targetILNS1_3genE10ELNS1_11target_archE1201ELNS1_3gpuE5ELNS1_3repE0EEENS1_47radix_sort_onesweep_sort_config_static_selectorELNS0_4arch9wavefront6targetE1EEEvSK_,"axG",@progbits,_ZN7rocprim17ROCPRIM_400000_NS6detail17trampoline_kernelINS0_14default_configENS1_35radix_sort_onesweep_config_selectorItNS0_10empty_typeEEEZZNS1_29radix_sort_onesweep_iterationIS3_Lb0EN6thrust23THRUST_200600_302600_NS6detail15normal_iteratorINS9_10device_ptrItEEEESE_PS5_SF_jNS0_19identity_decomposerENS1_16block_id_wrapperIjLb1EEEEE10hipError_tT1_PNSt15iterator_traitsISK_E10value_typeET2_T3_PNSL_ISQ_E10value_typeET4_T5_PSV_SW_PNS1_23onesweep_lookback_stateEbbT6_jjT7_P12ihipStream_tbENKUlT_T0_SK_SP_E_clISE_PtSF_SF_EEDaS13_S14_SK_SP_EUlS13_E_NS1_11comp_targetILNS1_3genE10ELNS1_11target_archE1201ELNS1_3gpuE5ELNS1_3repE0EEENS1_47radix_sort_onesweep_sort_config_static_selectorELNS0_4arch9wavefront6targetE1EEEvSK_,comdat
	.protected	_ZN7rocprim17ROCPRIM_400000_NS6detail17trampoline_kernelINS0_14default_configENS1_35radix_sort_onesweep_config_selectorItNS0_10empty_typeEEEZZNS1_29radix_sort_onesweep_iterationIS3_Lb0EN6thrust23THRUST_200600_302600_NS6detail15normal_iteratorINS9_10device_ptrItEEEESE_PS5_SF_jNS0_19identity_decomposerENS1_16block_id_wrapperIjLb1EEEEE10hipError_tT1_PNSt15iterator_traitsISK_E10value_typeET2_T3_PNSL_ISQ_E10value_typeET4_T5_PSV_SW_PNS1_23onesweep_lookback_stateEbbT6_jjT7_P12ihipStream_tbENKUlT_T0_SK_SP_E_clISE_PtSF_SF_EEDaS13_S14_SK_SP_EUlS13_E_NS1_11comp_targetILNS1_3genE10ELNS1_11target_archE1201ELNS1_3gpuE5ELNS1_3repE0EEENS1_47radix_sort_onesweep_sort_config_static_selectorELNS0_4arch9wavefront6targetE1EEEvSK_ ; -- Begin function _ZN7rocprim17ROCPRIM_400000_NS6detail17trampoline_kernelINS0_14default_configENS1_35radix_sort_onesweep_config_selectorItNS0_10empty_typeEEEZZNS1_29radix_sort_onesweep_iterationIS3_Lb0EN6thrust23THRUST_200600_302600_NS6detail15normal_iteratorINS9_10device_ptrItEEEESE_PS5_SF_jNS0_19identity_decomposerENS1_16block_id_wrapperIjLb1EEEEE10hipError_tT1_PNSt15iterator_traitsISK_E10value_typeET2_T3_PNSL_ISQ_E10value_typeET4_T5_PSV_SW_PNS1_23onesweep_lookback_stateEbbT6_jjT7_P12ihipStream_tbENKUlT_T0_SK_SP_E_clISE_PtSF_SF_EEDaS13_S14_SK_SP_EUlS13_E_NS1_11comp_targetILNS1_3genE10ELNS1_11target_archE1201ELNS1_3gpuE5ELNS1_3repE0EEENS1_47radix_sort_onesweep_sort_config_static_selectorELNS0_4arch9wavefront6targetE1EEEvSK_
	.globl	_ZN7rocprim17ROCPRIM_400000_NS6detail17trampoline_kernelINS0_14default_configENS1_35radix_sort_onesweep_config_selectorItNS0_10empty_typeEEEZZNS1_29radix_sort_onesweep_iterationIS3_Lb0EN6thrust23THRUST_200600_302600_NS6detail15normal_iteratorINS9_10device_ptrItEEEESE_PS5_SF_jNS0_19identity_decomposerENS1_16block_id_wrapperIjLb1EEEEE10hipError_tT1_PNSt15iterator_traitsISK_E10value_typeET2_T3_PNSL_ISQ_E10value_typeET4_T5_PSV_SW_PNS1_23onesweep_lookback_stateEbbT6_jjT7_P12ihipStream_tbENKUlT_T0_SK_SP_E_clISE_PtSF_SF_EEDaS13_S14_SK_SP_EUlS13_E_NS1_11comp_targetILNS1_3genE10ELNS1_11target_archE1201ELNS1_3gpuE5ELNS1_3repE0EEENS1_47radix_sort_onesweep_sort_config_static_selectorELNS0_4arch9wavefront6targetE1EEEvSK_
	.p2align	8
	.type	_ZN7rocprim17ROCPRIM_400000_NS6detail17trampoline_kernelINS0_14default_configENS1_35radix_sort_onesweep_config_selectorItNS0_10empty_typeEEEZZNS1_29radix_sort_onesweep_iterationIS3_Lb0EN6thrust23THRUST_200600_302600_NS6detail15normal_iteratorINS9_10device_ptrItEEEESE_PS5_SF_jNS0_19identity_decomposerENS1_16block_id_wrapperIjLb1EEEEE10hipError_tT1_PNSt15iterator_traitsISK_E10value_typeET2_T3_PNSL_ISQ_E10value_typeET4_T5_PSV_SW_PNS1_23onesweep_lookback_stateEbbT6_jjT7_P12ihipStream_tbENKUlT_T0_SK_SP_E_clISE_PtSF_SF_EEDaS13_S14_SK_SP_EUlS13_E_NS1_11comp_targetILNS1_3genE10ELNS1_11target_archE1201ELNS1_3gpuE5ELNS1_3repE0EEENS1_47radix_sort_onesweep_sort_config_static_selectorELNS0_4arch9wavefront6targetE1EEEvSK_,@function
_ZN7rocprim17ROCPRIM_400000_NS6detail17trampoline_kernelINS0_14default_configENS1_35radix_sort_onesweep_config_selectorItNS0_10empty_typeEEEZZNS1_29radix_sort_onesweep_iterationIS3_Lb0EN6thrust23THRUST_200600_302600_NS6detail15normal_iteratorINS9_10device_ptrItEEEESE_PS5_SF_jNS0_19identity_decomposerENS1_16block_id_wrapperIjLb1EEEEE10hipError_tT1_PNSt15iterator_traitsISK_E10value_typeET2_T3_PNSL_ISQ_E10value_typeET4_T5_PSV_SW_PNS1_23onesweep_lookback_stateEbbT6_jjT7_P12ihipStream_tbENKUlT_T0_SK_SP_E_clISE_PtSF_SF_EEDaS13_S14_SK_SP_EUlS13_E_NS1_11comp_targetILNS1_3genE10ELNS1_11target_archE1201ELNS1_3gpuE5ELNS1_3repE0EEENS1_47radix_sort_onesweep_sort_config_static_selectorELNS0_4arch9wavefront6targetE1EEEvSK_: ; @_ZN7rocprim17ROCPRIM_400000_NS6detail17trampoline_kernelINS0_14default_configENS1_35radix_sort_onesweep_config_selectorItNS0_10empty_typeEEEZZNS1_29radix_sort_onesweep_iterationIS3_Lb0EN6thrust23THRUST_200600_302600_NS6detail15normal_iteratorINS9_10device_ptrItEEEESE_PS5_SF_jNS0_19identity_decomposerENS1_16block_id_wrapperIjLb1EEEEE10hipError_tT1_PNSt15iterator_traitsISK_E10value_typeET2_T3_PNSL_ISQ_E10value_typeET4_T5_PSV_SW_PNS1_23onesweep_lookback_stateEbbT6_jjT7_P12ihipStream_tbENKUlT_T0_SK_SP_E_clISE_PtSF_SF_EEDaS13_S14_SK_SP_EUlS13_E_NS1_11comp_targetILNS1_3genE10ELNS1_11target_archE1201ELNS1_3gpuE5ELNS1_3repE0EEENS1_47radix_sort_onesweep_sort_config_static_selectorELNS0_4arch9wavefront6targetE1EEEvSK_
; %bb.0:
	.section	.rodata,"a",@progbits
	.p2align	6, 0x0
	.amdhsa_kernel _ZN7rocprim17ROCPRIM_400000_NS6detail17trampoline_kernelINS0_14default_configENS1_35radix_sort_onesweep_config_selectorItNS0_10empty_typeEEEZZNS1_29radix_sort_onesweep_iterationIS3_Lb0EN6thrust23THRUST_200600_302600_NS6detail15normal_iteratorINS9_10device_ptrItEEEESE_PS5_SF_jNS0_19identity_decomposerENS1_16block_id_wrapperIjLb1EEEEE10hipError_tT1_PNSt15iterator_traitsISK_E10value_typeET2_T3_PNSL_ISQ_E10value_typeET4_T5_PSV_SW_PNS1_23onesweep_lookback_stateEbbT6_jjT7_P12ihipStream_tbENKUlT_T0_SK_SP_E_clISE_PtSF_SF_EEDaS13_S14_SK_SP_EUlS13_E_NS1_11comp_targetILNS1_3genE10ELNS1_11target_archE1201ELNS1_3gpuE5ELNS1_3repE0EEENS1_47radix_sort_onesweep_sort_config_static_selectorELNS0_4arch9wavefront6targetE1EEEvSK_
		.amdhsa_group_segment_fixed_size 0
		.amdhsa_private_segment_fixed_size 0
		.amdhsa_kernarg_size 88
		.amdhsa_user_sgpr_count 2
		.amdhsa_user_sgpr_dispatch_ptr 0
		.amdhsa_user_sgpr_queue_ptr 0
		.amdhsa_user_sgpr_kernarg_segment_ptr 1
		.amdhsa_user_sgpr_dispatch_id 0
		.amdhsa_user_sgpr_kernarg_preload_length 0
		.amdhsa_user_sgpr_kernarg_preload_offset 0
		.amdhsa_user_sgpr_private_segment_size 0
		.amdhsa_uses_dynamic_stack 0
		.amdhsa_enable_private_segment 0
		.amdhsa_system_sgpr_workgroup_id_x 1
		.amdhsa_system_sgpr_workgroup_id_y 0
		.amdhsa_system_sgpr_workgroup_id_z 0
		.amdhsa_system_sgpr_workgroup_info 0
		.amdhsa_system_vgpr_workitem_id 0
		.amdhsa_next_free_vgpr 1
		.amdhsa_next_free_sgpr 0
		.amdhsa_accum_offset 4
		.amdhsa_reserve_vcc 0
		.amdhsa_float_round_mode_32 0
		.amdhsa_float_round_mode_16_64 0
		.amdhsa_float_denorm_mode_32 3
		.amdhsa_float_denorm_mode_16_64 3
		.amdhsa_dx10_clamp 1
		.amdhsa_ieee_mode 1
		.amdhsa_fp16_overflow 0
		.amdhsa_tg_split 0
		.amdhsa_exception_fp_ieee_invalid_op 0
		.amdhsa_exception_fp_denorm_src 0
		.amdhsa_exception_fp_ieee_div_zero 0
		.amdhsa_exception_fp_ieee_overflow 0
		.amdhsa_exception_fp_ieee_underflow 0
		.amdhsa_exception_fp_ieee_inexact 0
		.amdhsa_exception_int_div_zero 0
	.end_amdhsa_kernel
	.section	.text._ZN7rocprim17ROCPRIM_400000_NS6detail17trampoline_kernelINS0_14default_configENS1_35radix_sort_onesweep_config_selectorItNS0_10empty_typeEEEZZNS1_29radix_sort_onesweep_iterationIS3_Lb0EN6thrust23THRUST_200600_302600_NS6detail15normal_iteratorINS9_10device_ptrItEEEESE_PS5_SF_jNS0_19identity_decomposerENS1_16block_id_wrapperIjLb1EEEEE10hipError_tT1_PNSt15iterator_traitsISK_E10value_typeET2_T3_PNSL_ISQ_E10value_typeET4_T5_PSV_SW_PNS1_23onesweep_lookback_stateEbbT6_jjT7_P12ihipStream_tbENKUlT_T0_SK_SP_E_clISE_PtSF_SF_EEDaS13_S14_SK_SP_EUlS13_E_NS1_11comp_targetILNS1_3genE10ELNS1_11target_archE1201ELNS1_3gpuE5ELNS1_3repE0EEENS1_47radix_sort_onesweep_sort_config_static_selectorELNS0_4arch9wavefront6targetE1EEEvSK_,"axG",@progbits,_ZN7rocprim17ROCPRIM_400000_NS6detail17trampoline_kernelINS0_14default_configENS1_35radix_sort_onesweep_config_selectorItNS0_10empty_typeEEEZZNS1_29radix_sort_onesweep_iterationIS3_Lb0EN6thrust23THRUST_200600_302600_NS6detail15normal_iteratorINS9_10device_ptrItEEEESE_PS5_SF_jNS0_19identity_decomposerENS1_16block_id_wrapperIjLb1EEEEE10hipError_tT1_PNSt15iterator_traitsISK_E10value_typeET2_T3_PNSL_ISQ_E10value_typeET4_T5_PSV_SW_PNS1_23onesweep_lookback_stateEbbT6_jjT7_P12ihipStream_tbENKUlT_T0_SK_SP_E_clISE_PtSF_SF_EEDaS13_S14_SK_SP_EUlS13_E_NS1_11comp_targetILNS1_3genE10ELNS1_11target_archE1201ELNS1_3gpuE5ELNS1_3repE0EEENS1_47radix_sort_onesweep_sort_config_static_selectorELNS0_4arch9wavefront6targetE1EEEvSK_,comdat
.Lfunc_end1353:
	.size	_ZN7rocprim17ROCPRIM_400000_NS6detail17trampoline_kernelINS0_14default_configENS1_35radix_sort_onesweep_config_selectorItNS0_10empty_typeEEEZZNS1_29radix_sort_onesweep_iterationIS3_Lb0EN6thrust23THRUST_200600_302600_NS6detail15normal_iteratorINS9_10device_ptrItEEEESE_PS5_SF_jNS0_19identity_decomposerENS1_16block_id_wrapperIjLb1EEEEE10hipError_tT1_PNSt15iterator_traitsISK_E10value_typeET2_T3_PNSL_ISQ_E10value_typeET4_T5_PSV_SW_PNS1_23onesweep_lookback_stateEbbT6_jjT7_P12ihipStream_tbENKUlT_T0_SK_SP_E_clISE_PtSF_SF_EEDaS13_S14_SK_SP_EUlS13_E_NS1_11comp_targetILNS1_3genE10ELNS1_11target_archE1201ELNS1_3gpuE5ELNS1_3repE0EEENS1_47radix_sort_onesweep_sort_config_static_selectorELNS0_4arch9wavefront6targetE1EEEvSK_, .Lfunc_end1353-_ZN7rocprim17ROCPRIM_400000_NS6detail17trampoline_kernelINS0_14default_configENS1_35radix_sort_onesweep_config_selectorItNS0_10empty_typeEEEZZNS1_29radix_sort_onesweep_iterationIS3_Lb0EN6thrust23THRUST_200600_302600_NS6detail15normal_iteratorINS9_10device_ptrItEEEESE_PS5_SF_jNS0_19identity_decomposerENS1_16block_id_wrapperIjLb1EEEEE10hipError_tT1_PNSt15iterator_traitsISK_E10value_typeET2_T3_PNSL_ISQ_E10value_typeET4_T5_PSV_SW_PNS1_23onesweep_lookback_stateEbbT6_jjT7_P12ihipStream_tbENKUlT_T0_SK_SP_E_clISE_PtSF_SF_EEDaS13_S14_SK_SP_EUlS13_E_NS1_11comp_targetILNS1_3genE10ELNS1_11target_archE1201ELNS1_3gpuE5ELNS1_3repE0EEENS1_47radix_sort_onesweep_sort_config_static_selectorELNS0_4arch9wavefront6targetE1EEEvSK_
                                        ; -- End function
	.section	.AMDGPU.csdata,"",@progbits
; Kernel info:
; codeLenInByte = 0
; NumSgprs: 6
; NumVgprs: 0
; NumAgprs: 0
; TotalNumVgprs: 0
; ScratchSize: 0
; MemoryBound: 0
; FloatMode: 240
; IeeeMode: 1
; LDSByteSize: 0 bytes/workgroup (compile time only)
; SGPRBlocks: 0
; VGPRBlocks: 0
; NumSGPRsForWavesPerEU: 6
; NumVGPRsForWavesPerEU: 1
; AccumOffset: 4
; Occupancy: 8
; WaveLimiterHint : 0
; COMPUTE_PGM_RSRC2:SCRATCH_EN: 0
; COMPUTE_PGM_RSRC2:USER_SGPR: 2
; COMPUTE_PGM_RSRC2:TRAP_HANDLER: 0
; COMPUTE_PGM_RSRC2:TGID_X_EN: 1
; COMPUTE_PGM_RSRC2:TGID_Y_EN: 0
; COMPUTE_PGM_RSRC2:TGID_Z_EN: 0
; COMPUTE_PGM_RSRC2:TIDIG_COMP_CNT: 0
; COMPUTE_PGM_RSRC3_GFX90A:ACCUM_OFFSET: 0
; COMPUTE_PGM_RSRC3_GFX90A:TG_SPLIT: 0
	.section	.text._ZN7rocprim17ROCPRIM_400000_NS6detail17trampoline_kernelINS0_14default_configENS1_35radix_sort_onesweep_config_selectorItNS0_10empty_typeEEEZZNS1_29radix_sort_onesweep_iterationIS3_Lb0EN6thrust23THRUST_200600_302600_NS6detail15normal_iteratorINS9_10device_ptrItEEEESE_PS5_SF_jNS0_19identity_decomposerENS1_16block_id_wrapperIjLb1EEEEE10hipError_tT1_PNSt15iterator_traitsISK_E10value_typeET2_T3_PNSL_ISQ_E10value_typeET4_T5_PSV_SW_PNS1_23onesweep_lookback_stateEbbT6_jjT7_P12ihipStream_tbENKUlT_T0_SK_SP_E_clISE_PtSF_SF_EEDaS13_S14_SK_SP_EUlS13_E_NS1_11comp_targetILNS1_3genE9ELNS1_11target_archE1100ELNS1_3gpuE3ELNS1_3repE0EEENS1_47radix_sort_onesweep_sort_config_static_selectorELNS0_4arch9wavefront6targetE1EEEvSK_,"axG",@progbits,_ZN7rocprim17ROCPRIM_400000_NS6detail17trampoline_kernelINS0_14default_configENS1_35radix_sort_onesweep_config_selectorItNS0_10empty_typeEEEZZNS1_29radix_sort_onesweep_iterationIS3_Lb0EN6thrust23THRUST_200600_302600_NS6detail15normal_iteratorINS9_10device_ptrItEEEESE_PS5_SF_jNS0_19identity_decomposerENS1_16block_id_wrapperIjLb1EEEEE10hipError_tT1_PNSt15iterator_traitsISK_E10value_typeET2_T3_PNSL_ISQ_E10value_typeET4_T5_PSV_SW_PNS1_23onesweep_lookback_stateEbbT6_jjT7_P12ihipStream_tbENKUlT_T0_SK_SP_E_clISE_PtSF_SF_EEDaS13_S14_SK_SP_EUlS13_E_NS1_11comp_targetILNS1_3genE9ELNS1_11target_archE1100ELNS1_3gpuE3ELNS1_3repE0EEENS1_47radix_sort_onesweep_sort_config_static_selectorELNS0_4arch9wavefront6targetE1EEEvSK_,comdat
	.protected	_ZN7rocprim17ROCPRIM_400000_NS6detail17trampoline_kernelINS0_14default_configENS1_35radix_sort_onesweep_config_selectorItNS0_10empty_typeEEEZZNS1_29radix_sort_onesweep_iterationIS3_Lb0EN6thrust23THRUST_200600_302600_NS6detail15normal_iteratorINS9_10device_ptrItEEEESE_PS5_SF_jNS0_19identity_decomposerENS1_16block_id_wrapperIjLb1EEEEE10hipError_tT1_PNSt15iterator_traitsISK_E10value_typeET2_T3_PNSL_ISQ_E10value_typeET4_T5_PSV_SW_PNS1_23onesweep_lookback_stateEbbT6_jjT7_P12ihipStream_tbENKUlT_T0_SK_SP_E_clISE_PtSF_SF_EEDaS13_S14_SK_SP_EUlS13_E_NS1_11comp_targetILNS1_3genE9ELNS1_11target_archE1100ELNS1_3gpuE3ELNS1_3repE0EEENS1_47radix_sort_onesweep_sort_config_static_selectorELNS0_4arch9wavefront6targetE1EEEvSK_ ; -- Begin function _ZN7rocprim17ROCPRIM_400000_NS6detail17trampoline_kernelINS0_14default_configENS1_35radix_sort_onesweep_config_selectorItNS0_10empty_typeEEEZZNS1_29radix_sort_onesweep_iterationIS3_Lb0EN6thrust23THRUST_200600_302600_NS6detail15normal_iteratorINS9_10device_ptrItEEEESE_PS5_SF_jNS0_19identity_decomposerENS1_16block_id_wrapperIjLb1EEEEE10hipError_tT1_PNSt15iterator_traitsISK_E10value_typeET2_T3_PNSL_ISQ_E10value_typeET4_T5_PSV_SW_PNS1_23onesweep_lookback_stateEbbT6_jjT7_P12ihipStream_tbENKUlT_T0_SK_SP_E_clISE_PtSF_SF_EEDaS13_S14_SK_SP_EUlS13_E_NS1_11comp_targetILNS1_3genE9ELNS1_11target_archE1100ELNS1_3gpuE3ELNS1_3repE0EEENS1_47radix_sort_onesweep_sort_config_static_selectorELNS0_4arch9wavefront6targetE1EEEvSK_
	.globl	_ZN7rocprim17ROCPRIM_400000_NS6detail17trampoline_kernelINS0_14default_configENS1_35radix_sort_onesweep_config_selectorItNS0_10empty_typeEEEZZNS1_29radix_sort_onesweep_iterationIS3_Lb0EN6thrust23THRUST_200600_302600_NS6detail15normal_iteratorINS9_10device_ptrItEEEESE_PS5_SF_jNS0_19identity_decomposerENS1_16block_id_wrapperIjLb1EEEEE10hipError_tT1_PNSt15iterator_traitsISK_E10value_typeET2_T3_PNSL_ISQ_E10value_typeET4_T5_PSV_SW_PNS1_23onesweep_lookback_stateEbbT6_jjT7_P12ihipStream_tbENKUlT_T0_SK_SP_E_clISE_PtSF_SF_EEDaS13_S14_SK_SP_EUlS13_E_NS1_11comp_targetILNS1_3genE9ELNS1_11target_archE1100ELNS1_3gpuE3ELNS1_3repE0EEENS1_47radix_sort_onesweep_sort_config_static_selectorELNS0_4arch9wavefront6targetE1EEEvSK_
	.p2align	8
	.type	_ZN7rocprim17ROCPRIM_400000_NS6detail17trampoline_kernelINS0_14default_configENS1_35radix_sort_onesweep_config_selectorItNS0_10empty_typeEEEZZNS1_29radix_sort_onesweep_iterationIS3_Lb0EN6thrust23THRUST_200600_302600_NS6detail15normal_iteratorINS9_10device_ptrItEEEESE_PS5_SF_jNS0_19identity_decomposerENS1_16block_id_wrapperIjLb1EEEEE10hipError_tT1_PNSt15iterator_traitsISK_E10value_typeET2_T3_PNSL_ISQ_E10value_typeET4_T5_PSV_SW_PNS1_23onesweep_lookback_stateEbbT6_jjT7_P12ihipStream_tbENKUlT_T0_SK_SP_E_clISE_PtSF_SF_EEDaS13_S14_SK_SP_EUlS13_E_NS1_11comp_targetILNS1_3genE9ELNS1_11target_archE1100ELNS1_3gpuE3ELNS1_3repE0EEENS1_47radix_sort_onesweep_sort_config_static_selectorELNS0_4arch9wavefront6targetE1EEEvSK_,@function
_ZN7rocprim17ROCPRIM_400000_NS6detail17trampoline_kernelINS0_14default_configENS1_35radix_sort_onesweep_config_selectorItNS0_10empty_typeEEEZZNS1_29radix_sort_onesweep_iterationIS3_Lb0EN6thrust23THRUST_200600_302600_NS6detail15normal_iteratorINS9_10device_ptrItEEEESE_PS5_SF_jNS0_19identity_decomposerENS1_16block_id_wrapperIjLb1EEEEE10hipError_tT1_PNSt15iterator_traitsISK_E10value_typeET2_T3_PNSL_ISQ_E10value_typeET4_T5_PSV_SW_PNS1_23onesweep_lookback_stateEbbT6_jjT7_P12ihipStream_tbENKUlT_T0_SK_SP_E_clISE_PtSF_SF_EEDaS13_S14_SK_SP_EUlS13_E_NS1_11comp_targetILNS1_3genE9ELNS1_11target_archE1100ELNS1_3gpuE3ELNS1_3repE0EEENS1_47radix_sort_onesweep_sort_config_static_selectorELNS0_4arch9wavefront6targetE1EEEvSK_: ; @_ZN7rocprim17ROCPRIM_400000_NS6detail17trampoline_kernelINS0_14default_configENS1_35radix_sort_onesweep_config_selectorItNS0_10empty_typeEEEZZNS1_29radix_sort_onesweep_iterationIS3_Lb0EN6thrust23THRUST_200600_302600_NS6detail15normal_iteratorINS9_10device_ptrItEEEESE_PS5_SF_jNS0_19identity_decomposerENS1_16block_id_wrapperIjLb1EEEEE10hipError_tT1_PNSt15iterator_traitsISK_E10value_typeET2_T3_PNSL_ISQ_E10value_typeET4_T5_PSV_SW_PNS1_23onesweep_lookback_stateEbbT6_jjT7_P12ihipStream_tbENKUlT_T0_SK_SP_E_clISE_PtSF_SF_EEDaS13_S14_SK_SP_EUlS13_E_NS1_11comp_targetILNS1_3genE9ELNS1_11target_archE1100ELNS1_3gpuE3ELNS1_3repE0EEENS1_47radix_sort_onesweep_sort_config_static_selectorELNS0_4arch9wavefront6targetE1EEEvSK_
; %bb.0:
	.section	.rodata,"a",@progbits
	.p2align	6, 0x0
	.amdhsa_kernel _ZN7rocprim17ROCPRIM_400000_NS6detail17trampoline_kernelINS0_14default_configENS1_35radix_sort_onesweep_config_selectorItNS0_10empty_typeEEEZZNS1_29radix_sort_onesweep_iterationIS3_Lb0EN6thrust23THRUST_200600_302600_NS6detail15normal_iteratorINS9_10device_ptrItEEEESE_PS5_SF_jNS0_19identity_decomposerENS1_16block_id_wrapperIjLb1EEEEE10hipError_tT1_PNSt15iterator_traitsISK_E10value_typeET2_T3_PNSL_ISQ_E10value_typeET4_T5_PSV_SW_PNS1_23onesweep_lookback_stateEbbT6_jjT7_P12ihipStream_tbENKUlT_T0_SK_SP_E_clISE_PtSF_SF_EEDaS13_S14_SK_SP_EUlS13_E_NS1_11comp_targetILNS1_3genE9ELNS1_11target_archE1100ELNS1_3gpuE3ELNS1_3repE0EEENS1_47radix_sort_onesweep_sort_config_static_selectorELNS0_4arch9wavefront6targetE1EEEvSK_
		.amdhsa_group_segment_fixed_size 0
		.amdhsa_private_segment_fixed_size 0
		.amdhsa_kernarg_size 88
		.amdhsa_user_sgpr_count 2
		.amdhsa_user_sgpr_dispatch_ptr 0
		.amdhsa_user_sgpr_queue_ptr 0
		.amdhsa_user_sgpr_kernarg_segment_ptr 1
		.amdhsa_user_sgpr_dispatch_id 0
		.amdhsa_user_sgpr_kernarg_preload_length 0
		.amdhsa_user_sgpr_kernarg_preload_offset 0
		.amdhsa_user_sgpr_private_segment_size 0
		.amdhsa_uses_dynamic_stack 0
		.amdhsa_enable_private_segment 0
		.amdhsa_system_sgpr_workgroup_id_x 1
		.amdhsa_system_sgpr_workgroup_id_y 0
		.amdhsa_system_sgpr_workgroup_id_z 0
		.amdhsa_system_sgpr_workgroup_info 0
		.amdhsa_system_vgpr_workitem_id 0
		.amdhsa_next_free_vgpr 1
		.amdhsa_next_free_sgpr 0
		.amdhsa_accum_offset 4
		.amdhsa_reserve_vcc 0
		.amdhsa_float_round_mode_32 0
		.amdhsa_float_round_mode_16_64 0
		.amdhsa_float_denorm_mode_32 3
		.amdhsa_float_denorm_mode_16_64 3
		.amdhsa_dx10_clamp 1
		.amdhsa_ieee_mode 1
		.amdhsa_fp16_overflow 0
		.amdhsa_tg_split 0
		.amdhsa_exception_fp_ieee_invalid_op 0
		.amdhsa_exception_fp_denorm_src 0
		.amdhsa_exception_fp_ieee_div_zero 0
		.amdhsa_exception_fp_ieee_overflow 0
		.amdhsa_exception_fp_ieee_underflow 0
		.amdhsa_exception_fp_ieee_inexact 0
		.amdhsa_exception_int_div_zero 0
	.end_amdhsa_kernel
	.section	.text._ZN7rocprim17ROCPRIM_400000_NS6detail17trampoline_kernelINS0_14default_configENS1_35radix_sort_onesweep_config_selectorItNS0_10empty_typeEEEZZNS1_29radix_sort_onesweep_iterationIS3_Lb0EN6thrust23THRUST_200600_302600_NS6detail15normal_iteratorINS9_10device_ptrItEEEESE_PS5_SF_jNS0_19identity_decomposerENS1_16block_id_wrapperIjLb1EEEEE10hipError_tT1_PNSt15iterator_traitsISK_E10value_typeET2_T3_PNSL_ISQ_E10value_typeET4_T5_PSV_SW_PNS1_23onesweep_lookback_stateEbbT6_jjT7_P12ihipStream_tbENKUlT_T0_SK_SP_E_clISE_PtSF_SF_EEDaS13_S14_SK_SP_EUlS13_E_NS1_11comp_targetILNS1_3genE9ELNS1_11target_archE1100ELNS1_3gpuE3ELNS1_3repE0EEENS1_47radix_sort_onesweep_sort_config_static_selectorELNS0_4arch9wavefront6targetE1EEEvSK_,"axG",@progbits,_ZN7rocprim17ROCPRIM_400000_NS6detail17trampoline_kernelINS0_14default_configENS1_35radix_sort_onesweep_config_selectorItNS0_10empty_typeEEEZZNS1_29radix_sort_onesweep_iterationIS3_Lb0EN6thrust23THRUST_200600_302600_NS6detail15normal_iteratorINS9_10device_ptrItEEEESE_PS5_SF_jNS0_19identity_decomposerENS1_16block_id_wrapperIjLb1EEEEE10hipError_tT1_PNSt15iterator_traitsISK_E10value_typeET2_T3_PNSL_ISQ_E10value_typeET4_T5_PSV_SW_PNS1_23onesweep_lookback_stateEbbT6_jjT7_P12ihipStream_tbENKUlT_T0_SK_SP_E_clISE_PtSF_SF_EEDaS13_S14_SK_SP_EUlS13_E_NS1_11comp_targetILNS1_3genE9ELNS1_11target_archE1100ELNS1_3gpuE3ELNS1_3repE0EEENS1_47radix_sort_onesweep_sort_config_static_selectorELNS0_4arch9wavefront6targetE1EEEvSK_,comdat
.Lfunc_end1354:
	.size	_ZN7rocprim17ROCPRIM_400000_NS6detail17trampoline_kernelINS0_14default_configENS1_35radix_sort_onesweep_config_selectorItNS0_10empty_typeEEEZZNS1_29radix_sort_onesweep_iterationIS3_Lb0EN6thrust23THRUST_200600_302600_NS6detail15normal_iteratorINS9_10device_ptrItEEEESE_PS5_SF_jNS0_19identity_decomposerENS1_16block_id_wrapperIjLb1EEEEE10hipError_tT1_PNSt15iterator_traitsISK_E10value_typeET2_T3_PNSL_ISQ_E10value_typeET4_T5_PSV_SW_PNS1_23onesweep_lookback_stateEbbT6_jjT7_P12ihipStream_tbENKUlT_T0_SK_SP_E_clISE_PtSF_SF_EEDaS13_S14_SK_SP_EUlS13_E_NS1_11comp_targetILNS1_3genE9ELNS1_11target_archE1100ELNS1_3gpuE3ELNS1_3repE0EEENS1_47radix_sort_onesweep_sort_config_static_selectorELNS0_4arch9wavefront6targetE1EEEvSK_, .Lfunc_end1354-_ZN7rocprim17ROCPRIM_400000_NS6detail17trampoline_kernelINS0_14default_configENS1_35radix_sort_onesweep_config_selectorItNS0_10empty_typeEEEZZNS1_29radix_sort_onesweep_iterationIS3_Lb0EN6thrust23THRUST_200600_302600_NS6detail15normal_iteratorINS9_10device_ptrItEEEESE_PS5_SF_jNS0_19identity_decomposerENS1_16block_id_wrapperIjLb1EEEEE10hipError_tT1_PNSt15iterator_traitsISK_E10value_typeET2_T3_PNSL_ISQ_E10value_typeET4_T5_PSV_SW_PNS1_23onesweep_lookback_stateEbbT6_jjT7_P12ihipStream_tbENKUlT_T0_SK_SP_E_clISE_PtSF_SF_EEDaS13_S14_SK_SP_EUlS13_E_NS1_11comp_targetILNS1_3genE9ELNS1_11target_archE1100ELNS1_3gpuE3ELNS1_3repE0EEENS1_47radix_sort_onesweep_sort_config_static_selectorELNS0_4arch9wavefront6targetE1EEEvSK_
                                        ; -- End function
	.section	.AMDGPU.csdata,"",@progbits
; Kernel info:
; codeLenInByte = 0
; NumSgprs: 6
; NumVgprs: 0
; NumAgprs: 0
; TotalNumVgprs: 0
; ScratchSize: 0
; MemoryBound: 0
; FloatMode: 240
; IeeeMode: 1
; LDSByteSize: 0 bytes/workgroup (compile time only)
; SGPRBlocks: 0
; VGPRBlocks: 0
; NumSGPRsForWavesPerEU: 6
; NumVGPRsForWavesPerEU: 1
; AccumOffset: 4
; Occupancy: 8
; WaveLimiterHint : 0
; COMPUTE_PGM_RSRC2:SCRATCH_EN: 0
; COMPUTE_PGM_RSRC2:USER_SGPR: 2
; COMPUTE_PGM_RSRC2:TRAP_HANDLER: 0
; COMPUTE_PGM_RSRC2:TGID_X_EN: 1
; COMPUTE_PGM_RSRC2:TGID_Y_EN: 0
; COMPUTE_PGM_RSRC2:TGID_Z_EN: 0
; COMPUTE_PGM_RSRC2:TIDIG_COMP_CNT: 0
; COMPUTE_PGM_RSRC3_GFX90A:ACCUM_OFFSET: 0
; COMPUTE_PGM_RSRC3_GFX90A:TG_SPLIT: 0
	.section	.text._ZN7rocprim17ROCPRIM_400000_NS6detail17trampoline_kernelINS0_14default_configENS1_35radix_sort_onesweep_config_selectorItNS0_10empty_typeEEEZZNS1_29radix_sort_onesweep_iterationIS3_Lb0EN6thrust23THRUST_200600_302600_NS6detail15normal_iteratorINS9_10device_ptrItEEEESE_PS5_SF_jNS0_19identity_decomposerENS1_16block_id_wrapperIjLb1EEEEE10hipError_tT1_PNSt15iterator_traitsISK_E10value_typeET2_T3_PNSL_ISQ_E10value_typeET4_T5_PSV_SW_PNS1_23onesweep_lookback_stateEbbT6_jjT7_P12ihipStream_tbENKUlT_T0_SK_SP_E_clISE_PtSF_SF_EEDaS13_S14_SK_SP_EUlS13_E_NS1_11comp_targetILNS1_3genE8ELNS1_11target_archE1030ELNS1_3gpuE2ELNS1_3repE0EEENS1_47radix_sort_onesweep_sort_config_static_selectorELNS0_4arch9wavefront6targetE1EEEvSK_,"axG",@progbits,_ZN7rocprim17ROCPRIM_400000_NS6detail17trampoline_kernelINS0_14default_configENS1_35radix_sort_onesweep_config_selectorItNS0_10empty_typeEEEZZNS1_29radix_sort_onesweep_iterationIS3_Lb0EN6thrust23THRUST_200600_302600_NS6detail15normal_iteratorINS9_10device_ptrItEEEESE_PS5_SF_jNS0_19identity_decomposerENS1_16block_id_wrapperIjLb1EEEEE10hipError_tT1_PNSt15iterator_traitsISK_E10value_typeET2_T3_PNSL_ISQ_E10value_typeET4_T5_PSV_SW_PNS1_23onesweep_lookback_stateEbbT6_jjT7_P12ihipStream_tbENKUlT_T0_SK_SP_E_clISE_PtSF_SF_EEDaS13_S14_SK_SP_EUlS13_E_NS1_11comp_targetILNS1_3genE8ELNS1_11target_archE1030ELNS1_3gpuE2ELNS1_3repE0EEENS1_47radix_sort_onesweep_sort_config_static_selectorELNS0_4arch9wavefront6targetE1EEEvSK_,comdat
	.protected	_ZN7rocprim17ROCPRIM_400000_NS6detail17trampoline_kernelINS0_14default_configENS1_35radix_sort_onesweep_config_selectorItNS0_10empty_typeEEEZZNS1_29radix_sort_onesweep_iterationIS3_Lb0EN6thrust23THRUST_200600_302600_NS6detail15normal_iteratorINS9_10device_ptrItEEEESE_PS5_SF_jNS0_19identity_decomposerENS1_16block_id_wrapperIjLb1EEEEE10hipError_tT1_PNSt15iterator_traitsISK_E10value_typeET2_T3_PNSL_ISQ_E10value_typeET4_T5_PSV_SW_PNS1_23onesweep_lookback_stateEbbT6_jjT7_P12ihipStream_tbENKUlT_T0_SK_SP_E_clISE_PtSF_SF_EEDaS13_S14_SK_SP_EUlS13_E_NS1_11comp_targetILNS1_3genE8ELNS1_11target_archE1030ELNS1_3gpuE2ELNS1_3repE0EEENS1_47radix_sort_onesweep_sort_config_static_selectorELNS0_4arch9wavefront6targetE1EEEvSK_ ; -- Begin function _ZN7rocprim17ROCPRIM_400000_NS6detail17trampoline_kernelINS0_14default_configENS1_35radix_sort_onesweep_config_selectorItNS0_10empty_typeEEEZZNS1_29radix_sort_onesweep_iterationIS3_Lb0EN6thrust23THRUST_200600_302600_NS6detail15normal_iteratorINS9_10device_ptrItEEEESE_PS5_SF_jNS0_19identity_decomposerENS1_16block_id_wrapperIjLb1EEEEE10hipError_tT1_PNSt15iterator_traitsISK_E10value_typeET2_T3_PNSL_ISQ_E10value_typeET4_T5_PSV_SW_PNS1_23onesweep_lookback_stateEbbT6_jjT7_P12ihipStream_tbENKUlT_T0_SK_SP_E_clISE_PtSF_SF_EEDaS13_S14_SK_SP_EUlS13_E_NS1_11comp_targetILNS1_3genE8ELNS1_11target_archE1030ELNS1_3gpuE2ELNS1_3repE0EEENS1_47radix_sort_onesweep_sort_config_static_selectorELNS0_4arch9wavefront6targetE1EEEvSK_
	.globl	_ZN7rocprim17ROCPRIM_400000_NS6detail17trampoline_kernelINS0_14default_configENS1_35radix_sort_onesweep_config_selectorItNS0_10empty_typeEEEZZNS1_29radix_sort_onesweep_iterationIS3_Lb0EN6thrust23THRUST_200600_302600_NS6detail15normal_iteratorINS9_10device_ptrItEEEESE_PS5_SF_jNS0_19identity_decomposerENS1_16block_id_wrapperIjLb1EEEEE10hipError_tT1_PNSt15iterator_traitsISK_E10value_typeET2_T3_PNSL_ISQ_E10value_typeET4_T5_PSV_SW_PNS1_23onesweep_lookback_stateEbbT6_jjT7_P12ihipStream_tbENKUlT_T0_SK_SP_E_clISE_PtSF_SF_EEDaS13_S14_SK_SP_EUlS13_E_NS1_11comp_targetILNS1_3genE8ELNS1_11target_archE1030ELNS1_3gpuE2ELNS1_3repE0EEENS1_47radix_sort_onesweep_sort_config_static_selectorELNS0_4arch9wavefront6targetE1EEEvSK_
	.p2align	8
	.type	_ZN7rocprim17ROCPRIM_400000_NS6detail17trampoline_kernelINS0_14default_configENS1_35radix_sort_onesweep_config_selectorItNS0_10empty_typeEEEZZNS1_29radix_sort_onesweep_iterationIS3_Lb0EN6thrust23THRUST_200600_302600_NS6detail15normal_iteratorINS9_10device_ptrItEEEESE_PS5_SF_jNS0_19identity_decomposerENS1_16block_id_wrapperIjLb1EEEEE10hipError_tT1_PNSt15iterator_traitsISK_E10value_typeET2_T3_PNSL_ISQ_E10value_typeET4_T5_PSV_SW_PNS1_23onesweep_lookback_stateEbbT6_jjT7_P12ihipStream_tbENKUlT_T0_SK_SP_E_clISE_PtSF_SF_EEDaS13_S14_SK_SP_EUlS13_E_NS1_11comp_targetILNS1_3genE8ELNS1_11target_archE1030ELNS1_3gpuE2ELNS1_3repE0EEENS1_47radix_sort_onesweep_sort_config_static_selectorELNS0_4arch9wavefront6targetE1EEEvSK_,@function
_ZN7rocprim17ROCPRIM_400000_NS6detail17trampoline_kernelINS0_14default_configENS1_35radix_sort_onesweep_config_selectorItNS0_10empty_typeEEEZZNS1_29radix_sort_onesweep_iterationIS3_Lb0EN6thrust23THRUST_200600_302600_NS6detail15normal_iteratorINS9_10device_ptrItEEEESE_PS5_SF_jNS0_19identity_decomposerENS1_16block_id_wrapperIjLb1EEEEE10hipError_tT1_PNSt15iterator_traitsISK_E10value_typeET2_T3_PNSL_ISQ_E10value_typeET4_T5_PSV_SW_PNS1_23onesweep_lookback_stateEbbT6_jjT7_P12ihipStream_tbENKUlT_T0_SK_SP_E_clISE_PtSF_SF_EEDaS13_S14_SK_SP_EUlS13_E_NS1_11comp_targetILNS1_3genE8ELNS1_11target_archE1030ELNS1_3gpuE2ELNS1_3repE0EEENS1_47radix_sort_onesweep_sort_config_static_selectorELNS0_4arch9wavefront6targetE1EEEvSK_: ; @_ZN7rocprim17ROCPRIM_400000_NS6detail17trampoline_kernelINS0_14default_configENS1_35radix_sort_onesweep_config_selectorItNS0_10empty_typeEEEZZNS1_29radix_sort_onesweep_iterationIS3_Lb0EN6thrust23THRUST_200600_302600_NS6detail15normal_iteratorINS9_10device_ptrItEEEESE_PS5_SF_jNS0_19identity_decomposerENS1_16block_id_wrapperIjLb1EEEEE10hipError_tT1_PNSt15iterator_traitsISK_E10value_typeET2_T3_PNSL_ISQ_E10value_typeET4_T5_PSV_SW_PNS1_23onesweep_lookback_stateEbbT6_jjT7_P12ihipStream_tbENKUlT_T0_SK_SP_E_clISE_PtSF_SF_EEDaS13_S14_SK_SP_EUlS13_E_NS1_11comp_targetILNS1_3genE8ELNS1_11target_archE1030ELNS1_3gpuE2ELNS1_3repE0EEENS1_47radix_sort_onesweep_sort_config_static_selectorELNS0_4arch9wavefront6targetE1EEEvSK_
; %bb.0:
	.section	.rodata,"a",@progbits
	.p2align	6, 0x0
	.amdhsa_kernel _ZN7rocprim17ROCPRIM_400000_NS6detail17trampoline_kernelINS0_14default_configENS1_35radix_sort_onesweep_config_selectorItNS0_10empty_typeEEEZZNS1_29radix_sort_onesweep_iterationIS3_Lb0EN6thrust23THRUST_200600_302600_NS6detail15normal_iteratorINS9_10device_ptrItEEEESE_PS5_SF_jNS0_19identity_decomposerENS1_16block_id_wrapperIjLb1EEEEE10hipError_tT1_PNSt15iterator_traitsISK_E10value_typeET2_T3_PNSL_ISQ_E10value_typeET4_T5_PSV_SW_PNS1_23onesweep_lookback_stateEbbT6_jjT7_P12ihipStream_tbENKUlT_T0_SK_SP_E_clISE_PtSF_SF_EEDaS13_S14_SK_SP_EUlS13_E_NS1_11comp_targetILNS1_3genE8ELNS1_11target_archE1030ELNS1_3gpuE2ELNS1_3repE0EEENS1_47radix_sort_onesweep_sort_config_static_selectorELNS0_4arch9wavefront6targetE1EEEvSK_
		.amdhsa_group_segment_fixed_size 0
		.amdhsa_private_segment_fixed_size 0
		.amdhsa_kernarg_size 88
		.amdhsa_user_sgpr_count 2
		.amdhsa_user_sgpr_dispatch_ptr 0
		.amdhsa_user_sgpr_queue_ptr 0
		.amdhsa_user_sgpr_kernarg_segment_ptr 1
		.amdhsa_user_sgpr_dispatch_id 0
		.amdhsa_user_sgpr_kernarg_preload_length 0
		.amdhsa_user_sgpr_kernarg_preload_offset 0
		.amdhsa_user_sgpr_private_segment_size 0
		.amdhsa_uses_dynamic_stack 0
		.amdhsa_enable_private_segment 0
		.amdhsa_system_sgpr_workgroup_id_x 1
		.amdhsa_system_sgpr_workgroup_id_y 0
		.amdhsa_system_sgpr_workgroup_id_z 0
		.amdhsa_system_sgpr_workgroup_info 0
		.amdhsa_system_vgpr_workitem_id 0
		.amdhsa_next_free_vgpr 1
		.amdhsa_next_free_sgpr 0
		.amdhsa_accum_offset 4
		.amdhsa_reserve_vcc 0
		.amdhsa_float_round_mode_32 0
		.amdhsa_float_round_mode_16_64 0
		.amdhsa_float_denorm_mode_32 3
		.amdhsa_float_denorm_mode_16_64 3
		.amdhsa_dx10_clamp 1
		.amdhsa_ieee_mode 1
		.amdhsa_fp16_overflow 0
		.amdhsa_tg_split 0
		.amdhsa_exception_fp_ieee_invalid_op 0
		.amdhsa_exception_fp_denorm_src 0
		.amdhsa_exception_fp_ieee_div_zero 0
		.amdhsa_exception_fp_ieee_overflow 0
		.amdhsa_exception_fp_ieee_underflow 0
		.amdhsa_exception_fp_ieee_inexact 0
		.amdhsa_exception_int_div_zero 0
	.end_amdhsa_kernel
	.section	.text._ZN7rocprim17ROCPRIM_400000_NS6detail17trampoline_kernelINS0_14default_configENS1_35radix_sort_onesweep_config_selectorItNS0_10empty_typeEEEZZNS1_29radix_sort_onesweep_iterationIS3_Lb0EN6thrust23THRUST_200600_302600_NS6detail15normal_iteratorINS9_10device_ptrItEEEESE_PS5_SF_jNS0_19identity_decomposerENS1_16block_id_wrapperIjLb1EEEEE10hipError_tT1_PNSt15iterator_traitsISK_E10value_typeET2_T3_PNSL_ISQ_E10value_typeET4_T5_PSV_SW_PNS1_23onesweep_lookback_stateEbbT6_jjT7_P12ihipStream_tbENKUlT_T0_SK_SP_E_clISE_PtSF_SF_EEDaS13_S14_SK_SP_EUlS13_E_NS1_11comp_targetILNS1_3genE8ELNS1_11target_archE1030ELNS1_3gpuE2ELNS1_3repE0EEENS1_47radix_sort_onesweep_sort_config_static_selectorELNS0_4arch9wavefront6targetE1EEEvSK_,"axG",@progbits,_ZN7rocprim17ROCPRIM_400000_NS6detail17trampoline_kernelINS0_14default_configENS1_35radix_sort_onesweep_config_selectorItNS0_10empty_typeEEEZZNS1_29radix_sort_onesweep_iterationIS3_Lb0EN6thrust23THRUST_200600_302600_NS6detail15normal_iteratorINS9_10device_ptrItEEEESE_PS5_SF_jNS0_19identity_decomposerENS1_16block_id_wrapperIjLb1EEEEE10hipError_tT1_PNSt15iterator_traitsISK_E10value_typeET2_T3_PNSL_ISQ_E10value_typeET4_T5_PSV_SW_PNS1_23onesweep_lookback_stateEbbT6_jjT7_P12ihipStream_tbENKUlT_T0_SK_SP_E_clISE_PtSF_SF_EEDaS13_S14_SK_SP_EUlS13_E_NS1_11comp_targetILNS1_3genE8ELNS1_11target_archE1030ELNS1_3gpuE2ELNS1_3repE0EEENS1_47radix_sort_onesweep_sort_config_static_selectorELNS0_4arch9wavefront6targetE1EEEvSK_,comdat
.Lfunc_end1355:
	.size	_ZN7rocprim17ROCPRIM_400000_NS6detail17trampoline_kernelINS0_14default_configENS1_35radix_sort_onesweep_config_selectorItNS0_10empty_typeEEEZZNS1_29radix_sort_onesweep_iterationIS3_Lb0EN6thrust23THRUST_200600_302600_NS6detail15normal_iteratorINS9_10device_ptrItEEEESE_PS5_SF_jNS0_19identity_decomposerENS1_16block_id_wrapperIjLb1EEEEE10hipError_tT1_PNSt15iterator_traitsISK_E10value_typeET2_T3_PNSL_ISQ_E10value_typeET4_T5_PSV_SW_PNS1_23onesweep_lookback_stateEbbT6_jjT7_P12ihipStream_tbENKUlT_T0_SK_SP_E_clISE_PtSF_SF_EEDaS13_S14_SK_SP_EUlS13_E_NS1_11comp_targetILNS1_3genE8ELNS1_11target_archE1030ELNS1_3gpuE2ELNS1_3repE0EEENS1_47radix_sort_onesweep_sort_config_static_selectorELNS0_4arch9wavefront6targetE1EEEvSK_, .Lfunc_end1355-_ZN7rocprim17ROCPRIM_400000_NS6detail17trampoline_kernelINS0_14default_configENS1_35radix_sort_onesweep_config_selectorItNS0_10empty_typeEEEZZNS1_29radix_sort_onesweep_iterationIS3_Lb0EN6thrust23THRUST_200600_302600_NS6detail15normal_iteratorINS9_10device_ptrItEEEESE_PS5_SF_jNS0_19identity_decomposerENS1_16block_id_wrapperIjLb1EEEEE10hipError_tT1_PNSt15iterator_traitsISK_E10value_typeET2_T3_PNSL_ISQ_E10value_typeET4_T5_PSV_SW_PNS1_23onesweep_lookback_stateEbbT6_jjT7_P12ihipStream_tbENKUlT_T0_SK_SP_E_clISE_PtSF_SF_EEDaS13_S14_SK_SP_EUlS13_E_NS1_11comp_targetILNS1_3genE8ELNS1_11target_archE1030ELNS1_3gpuE2ELNS1_3repE0EEENS1_47radix_sort_onesweep_sort_config_static_selectorELNS0_4arch9wavefront6targetE1EEEvSK_
                                        ; -- End function
	.section	.AMDGPU.csdata,"",@progbits
; Kernel info:
; codeLenInByte = 0
; NumSgprs: 6
; NumVgprs: 0
; NumAgprs: 0
; TotalNumVgprs: 0
; ScratchSize: 0
; MemoryBound: 0
; FloatMode: 240
; IeeeMode: 1
; LDSByteSize: 0 bytes/workgroup (compile time only)
; SGPRBlocks: 0
; VGPRBlocks: 0
; NumSGPRsForWavesPerEU: 6
; NumVGPRsForWavesPerEU: 1
; AccumOffset: 4
; Occupancy: 8
; WaveLimiterHint : 0
; COMPUTE_PGM_RSRC2:SCRATCH_EN: 0
; COMPUTE_PGM_RSRC2:USER_SGPR: 2
; COMPUTE_PGM_RSRC2:TRAP_HANDLER: 0
; COMPUTE_PGM_RSRC2:TGID_X_EN: 1
; COMPUTE_PGM_RSRC2:TGID_Y_EN: 0
; COMPUTE_PGM_RSRC2:TGID_Z_EN: 0
; COMPUTE_PGM_RSRC2:TIDIG_COMP_CNT: 0
; COMPUTE_PGM_RSRC3_GFX90A:ACCUM_OFFSET: 0
; COMPUTE_PGM_RSRC3_GFX90A:TG_SPLIT: 0
	.section	.text._ZN7rocprim17ROCPRIM_400000_NS6detail17trampoline_kernelINS0_14default_configENS1_35radix_sort_onesweep_config_selectorItNS0_10empty_typeEEEZZNS1_29radix_sort_onesweep_iterationIS3_Lb0EN6thrust23THRUST_200600_302600_NS6detail15normal_iteratorINS9_10device_ptrItEEEESE_PS5_SF_jNS0_19identity_decomposerENS1_16block_id_wrapperIjLb1EEEEE10hipError_tT1_PNSt15iterator_traitsISK_E10value_typeET2_T3_PNSL_ISQ_E10value_typeET4_T5_PSV_SW_PNS1_23onesweep_lookback_stateEbbT6_jjT7_P12ihipStream_tbENKUlT_T0_SK_SP_E_clIPtSE_SF_SF_EEDaS13_S14_SK_SP_EUlS13_E_NS1_11comp_targetILNS1_3genE0ELNS1_11target_archE4294967295ELNS1_3gpuE0ELNS1_3repE0EEENS1_47radix_sort_onesweep_sort_config_static_selectorELNS0_4arch9wavefront6targetE1EEEvSK_,"axG",@progbits,_ZN7rocprim17ROCPRIM_400000_NS6detail17trampoline_kernelINS0_14default_configENS1_35radix_sort_onesweep_config_selectorItNS0_10empty_typeEEEZZNS1_29radix_sort_onesweep_iterationIS3_Lb0EN6thrust23THRUST_200600_302600_NS6detail15normal_iteratorINS9_10device_ptrItEEEESE_PS5_SF_jNS0_19identity_decomposerENS1_16block_id_wrapperIjLb1EEEEE10hipError_tT1_PNSt15iterator_traitsISK_E10value_typeET2_T3_PNSL_ISQ_E10value_typeET4_T5_PSV_SW_PNS1_23onesweep_lookback_stateEbbT6_jjT7_P12ihipStream_tbENKUlT_T0_SK_SP_E_clIPtSE_SF_SF_EEDaS13_S14_SK_SP_EUlS13_E_NS1_11comp_targetILNS1_3genE0ELNS1_11target_archE4294967295ELNS1_3gpuE0ELNS1_3repE0EEENS1_47radix_sort_onesweep_sort_config_static_selectorELNS0_4arch9wavefront6targetE1EEEvSK_,comdat
	.protected	_ZN7rocprim17ROCPRIM_400000_NS6detail17trampoline_kernelINS0_14default_configENS1_35radix_sort_onesweep_config_selectorItNS0_10empty_typeEEEZZNS1_29radix_sort_onesweep_iterationIS3_Lb0EN6thrust23THRUST_200600_302600_NS6detail15normal_iteratorINS9_10device_ptrItEEEESE_PS5_SF_jNS0_19identity_decomposerENS1_16block_id_wrapperIjLb1EEEEE10hipError_tT1_PNSt15iterator_traitsISK_E10value_typeET2_T3_PNSL_ISQ_E10value_typeET4_T5_PSV_SW_PNS1_23onesweep_lookback_stateEbbT6_jjT7_P12ihipStream_tbENKUlT_T0_SK_SP_E_clIPtSE_SF_SF_EEDaS13_S14_SK_SP_EUlS13_E_NS1_11comp_targetILNS1_3genE0ELNS1_11target_archE4294967295ELNS1_3gpuE0ELNS1_3repE0EEENS1_47radix_sort_onesweep_sort_config_static_selectorELNS0_4arch9wavefront6targetE1EEEvSK_ ; -- Begin function _ZN7rocprim17ROCPRIM_400000_NS6detail17trampoline_kernelINS0_14default_configENS1_35radix_sort_onesweep_config_selectorItNS0_10empty_typeEEEZZNS1_29radix_sort_onesweep_iterationIS3_Lb0EN6thrust23THRUST_200600_302600_NS6detail15normal_iteratorINS9_10device_ptrItEEEESE_PS5_SF_jNS0_19identity_decomposerENS1_16block_id_wrapperIjLb1EEEEE10hipError_tT1_PNSt15iterator_traitsISK_E10value_typeET2_T3_PNSL_ISQ_E10value_typeET4_T5_PSV_SW_PNS1_23onesweep_lookback_stateEbbT6_jjT7_P12ihipStream_tbENKUlT_T0_SK_SP_E_clIPtSE_SF_SF_EEDaS13_S14_SK_SP_EUlS13_E_NS1_11comp_targetILNS1_3genE0ELNS1_11target_archE4294967295ELNS1_3gpuE0ELNS1_3repE0EEENS1_47radix_sort_onesweep_sort_config_static_selectorELNS0_4arch9wavefront6targetE1EEEvSK_
	.globl	_ZN7rocprim17ROCPRIM_400000_NS6detail17trampoline_kernelINS0_14default_configENS1_35radix_sort_onesweep_config_selectorItNS0_10empty_typeEEEZZNS1_29radix_sort_onesweep_iterationIS3_Lb0EN6thrust23THRUST_200600_302600_NS6detail15normal_iteratorINS9_10device_ptrItEEEESE_PS5_SF_jNS0_19identity_decomposerENS1_16block_id_wrapperIjLb1EEEEE10hipError_tT1_PNSt15iterator_traitsISK_E10value_typeET2_T3_PNSL_ISQ_E10value_typeET4_T5_PSV_SW_PNS1_23onesweep_lookback_stateEbbT6_jjT7_P12ihipStream_tbENKUlT_T0_SK_SP_E_clIPtSE_SF_SF_EEDaS13_S14_SK_SP_EUlS13_E_NS1_11comp_targetILNS1_3genE0ELNS1_11target_archE4294967295ELNS1_3gpuE0ELNS1_3repE0EEENS1_47radix_sort_onesweep_sort_config_static_selectorELNS0_4arch9wavefront6targetE1EEEvSK_
	.p2align	8
	.type	_ZN7rocprim17ROCPRIM_400000_NS6detail17trampoline_kernelINS0_14default_configENS1_35radix_sort_onesweep_config_selectorItNS0_10empty_typeEEEZZNS1_29radix_sort_onesweep_iterationIS3_Lb0EN6thrust23THRUST_200600_302600_NS6detail15normal_iteratorINS9_10device_ptrItEEEESE_PS5_SF_jNS0_19identity_decomposerENS1_16block_id_wrapperIjLb1EEEEE10hipError_tT1_PNSt15iterator_traitsISK_E10value_typeET2_T3_PNSL_ISQ_E10value_typeET4_T5_PSV_SW_PNS1_23onesweep_lookback_stateEbbT6_jjT7_P12ihipStream_tbENKUlT_T0_SK_SP_E_clIPtSE_SF_SF_EEDaS13_S14_SK_SP_EUlS13_E_NS1_11comp_targetILNS1_3genE0ELNS1_11target_archE4294967295ELNS1_3gpuE0ELNS1_3repE0EEENS1_47radix_sort_onesweep_sort_config_static_selectorELNS0_4arch9wavefront6targetE1EEEvSK_,@function
_ZN7rocprim17ROCPRIM_400000_NS6detail17trampoline_kernelINS0_14default_configENS1_35radix_sort_onesweep_config_selectorItNS0_10empty_typeEEEZZNS1_29radix_sort_onesweep_iterationIS3_Lb0EN6thrust23THRUST_200600_302600_NS6detail15normal_iteratorINS9_10device_ptrItEEEESE_PS5_SF_jNS0_19identity_decomposerENS1_16block_id_wrapperIjLb1EEEEE10hipError_tT1_PNSt15iterator_traitsISK_E10value_typeET2_T3_PNSL_ISQ_E10value_typeET4_T5_PSV_SW_PNS1_23onesweep_lookback_stateEbbT6_jjT7_P12ihipStream_tbENKUlT_T0_SK_SP_E_clIPtSE_SF_SF_EEDaS13_S14_SK_SP_EUlS13_E_NS1_11comp_targetILNS1_3genE0ELNS1_11target_archE4294967295ELNS1_3gpuE0ELNS1_3repE0EEENS1_47radix_sort_onesweep_sort_config_static_selectorELNS0_4arch9wavefront6targetE1EEEvSK_: ; @_ZN7rocprim17ROCPRIM_400000_NS6detail17trampoline_kernelINS0_14default_configENS1_35radix_sort_onesweep_config_selectorItNS0_10empty_typeEEEZZNS1_29radix_sort_onesweep_iterationIS3_Lb0EN6thrust23THRUST_200600_302600_NS6detail15normal_iteratorINS9_10device_ptrItEEEESE_PS5_SF_jNS0_19identity_decomposerENS1_16block_id_wrapperIjLb1EEEEE10hipError_tT1_PNSt15iterator_traitsISK_E10value_typeET2_T3_PNSL_ISQ_E10value_typeET4_T5_PSV_SW_PNS1_23onesweep_lookback_stateEbbT6_jjT7_P12ihipStream_tbENKUlT_T0_SK_SP_E_clIPtSE_SF_SF_EEDaS13_S14_SK_SP_EUlS13_E_NS1_11comp_targetILNS1_3genE0ELNS1_11target_archE4294967295ELNS1_3gpuE0ELNS1_3repE0EEENS1_47radix_sort_onesweep_sort_config_static_selectorELNS0_4arch9wavefront6targetE1EEEvSK_
; %bb.0:
	.section	.rodata,"a",@progbits
	.p2align	6, 0x0
	.amdhsa_kernel _ZN7rocprim17ROCPRIM_400000_NS6detail17trampoline_kernelINS0_14default_configENS1_35radix_sort_onesweep_config_selectorItNS0_10empty_typeEEEZZNS1_29radix_sort_onesweep_iterationIS3_Lb0EN6thrust23THRUST_200600_302600_NS6detail15normal_iteratorINS9_10device_ptrItEEEESE_PS5_SF_jNS0_19identity_decomposerENS1_16block_id_wrapperIjLb1EEEEE10hipError_tT1_PNSt15iterator_traitsISK_E10value_typeET2_T3_PNSL_ISQ_E10value_typeET4_T5_PSV_SW_PNS1_23onesweep_lookback_stateEbbT6_jjT7_P12ihipStream_tbENKUlT_T0_SK_SP_E_clIPtSE_SF_SF_EEDaS13_S14_SK_SP_EUlS13_E_NS1_11comp_targetILNS1_3genE0ELNS1_11target_archE4294967295ELNS1_3gpuE0ELNS1_3repE0EEENS1_47radix_sort_onesweep_sort_config_static_selectorELNS0_4arch9wavefront6targetE1EEEvSK_
		.amdhsa_group_segment_fixed_size 0
		.amdhsa_private_segment_fixed_size 0
		.amdhsa_kernarg_size 88
		.amdhsa_user_sgpr_count 2
		.amdhsa_user_sgpr_dispatch_ptr 0
		.amdhsa_user_sgpr_queue_ptr 0
		.amdhsa_user_sgpr_kernarg_segment_ptr 1
		.amdhsa_user_sgpr_dispatch_id 0
		.amdhsa_user_sgpr_kernarg_preload_length 0
		.amdhsa_user_sgpr_kernarg_preload_offset 0
		.amdhsa_user_sgpr_private_segment_size 0
		.amdhsa_uses_dynamic_stack 0
		.amdhsa_enable_private_segment 0
		.amdhsa_system_sgpr_workgroup_id_x 1
		.amdhsa_system_sgpr_workgroup_id_y 0
		.amdhsa_system_sgpr_workgroup_id_z 0
		.amdhsa_system_sgpr_workgroup_info 0
		.amdhsa_system_vgpr_workitem_id 0
		.amdhsa_next_free_vgpr 1
		.amdhsa_next_free_sgpr 0
		.amdhsa_accum_offset 4
		.amdhsa_reserve_vcc 0
		.amdhsa_float_round_mode_32 0
		.amdhsa_float_round_mode_16_64 0
		.amdhsa_float_denorm_mode_32 3
		.amdhsa_float_denorm_mode_16_64 3
		.amdhsa_dx10_clamp 1
		.amdhsa_ieee_mode 1
		.amdhsa_fp16_overflow 0
		.amdhsa_tg_split 0
		.amdhsa_exception_fp_ieee_invalid_op 0
		.amdhsa_exception_fp_denorm_src 0
		.amdhsa_exception_fp_ieee_div_zero 0
		.amdhsa_exception_fp_ieee_overflow 0
		.amdhsa_exception_fp_ieee_underflow 0
		.amdhsa_exception_fp_ieee_inexact 0
		.amdhsa_exception_int_div_zero 0
	.end_amdhsa_kernel
	.section	.text._ZN7rocprim17ROCPRIM_400000_NS6detail17trampoline_kernelINS0_14default_configENS1_35radix_sort_onesweep_config_selectorItNS0_10empty_typeEEEZZNS1_29radix_sort_onesweep_iterationIS3_Lb0EN6thrust23THRUST_200600_302600_NS6detail15normal_iteratorINS9_10device_ptrItEEEESE_PS5_SF_jNS0_19identity_decomposerENS1_16block_id_wrapperIjLb1EEEEE10hipError_tT1_PNSt15iterator_traitsISK_E10value_typeET2_T3_PNSL_ISQ_E10value_typeET4_T5_PSV_SW_PNS1_23onesweep_lookback_stateEbbT6_jjT7_P12ihipStream_tbENKUlT_T0_SK_SP_E_clIPtSE_SF_SF_EEDaS13_S14_SK_SP_EUlS13_E_NS1_11comp_targetILNS1_3genE0ELNS1_11target_archE4294967295ELNS1_3gpuE0ELNS1_3repE0EEENS1_47radix_sort_onesweep_sort_config_static_selectorELNS0_4arch9wavefront6targetE1EEEvSK_,"axG",@progbits,_ZN7rocprim17ROCPRIM_400000_NS6detail17trampoline_kernelINS0_14default_configENS1_35radix_sort_onesweep_config_selectorItNS0_10empty_typeEEEZZNS1_29radix_sort_onesweep_iterationIS3_Lb0EN6thrust23THRUST_200600_302600_NS6detail15normal_iteratorINS9_10device_ptrItEEEESE_PS5_SF_jNS0_19identity_decomposerENS1_16block_id_wrapperIjLb1EEEEE10hipError_tT1_PNSt15iterator_traitsISK_E10value_typeET2_T3_PNSL_ISQ_E10value_typeET4_T5_PSV_SW_PNS1_23onesweep_lookback_stateEbbT6_jjT7_P12ihipStream_tbENKUlT_T0_SK_SP_E_clIPtSE_SF_SF_EEDaS13_S14_SK_SP_EUlS13_E_NS1_11comp_targetILNS1_3genE0ELNS1_11target_archE4294967295ELNS1_3gpuE0ELNS1_3repE0EEENS1_47radix_sort_onesweep_sort_config_static_selectorELNS0_4arch9wavefront6targetE1EEEvSK_,comdat
.Lfunc_end1356:
	.size	_ZN7rocprim17ROCPRIM_400000_NS6detail17trampoline_kernelINS0_14default_configENS1_35radix_sort_onesweep_config_selectorItNS0_10empty_typeEEEZZNS1_29radix_sort_onesweep_iterationIS3_Lb0EN6thrust23THRUST_200600_302600_NS6detail15normal_iteratorINS9_10device_ptrItEEEESE_PS5_SF_jNS0_19identity_decomposerENS1_16block_id_wrapperIjLb1EEEEE10hipError_tT1_PNSt15iterator_traitsISK_E10value_typeET2_T3_PNSL_ISQ_E10value_typeET4_T5_PSV_SW_PNS1_23onesweep_lookback_stateEbbT6_jjT7_P12ihipStream_tbENKUlT_T0_SK_SP_E_clIPtSE_SF_SF_EEDaS13_S14_SK_SP_EUlS13_E_NS1_11comp_targetILNS1_3genE0ELNS1_11target_archE4294967295ELNS1_3gpuE0ELNS1_3repE0EEENS1_47radix_sort_onesweep_sort_config_static_selectorELNS0_4arch9wavefront6targetE1EEEvSK_, .Lfunc_end1356-_ZN7rocprim17ROCPRIM_400000_NS6detail17trampoline_kernelINS0_14default_configENS1_35radix_sort_onesweep_config_selectorItNS0_10empty_typeEEEZZNS1_29radix_sort_onesweep_iterationIS3_Lb0EN6thrust23THRUST_200600_302600_NS6detail15normal_iteratorINS9_10device_ptrItEEEESE_PS5_SF_jNS0_19identity_decomposerENS1_16block_id_wrapperIjLb1EEEEE10hipError_tT1_PNSt15iterator_traitsISK_E10value_typeET2_T3_PNSL_ISQ_E10value_typeET4_T5_PSV_SW_PNS1_23onesweep_lookback_stateEbbT6_jjT7_P12ihipStream_tbENKUlT_T0_SK_SP_E_clIPtSE_SF_SF_EEDaS13_S14_SK_SP_EUlS13_E_NS1_11comp_targetILNS1_3genE0ELNS1_11target_archE4294967295ELNS1_3gpuE0ELNS1_3repE0EEENS1_47radix_sort_onesweep_sort_config_static_selectorELNS0_4arch9wavefront6targetE1EEEvSK_
                                        ; -- End function
	.section	.AMDGPU.csdata,"",@progbits
; Kernel info:
; codeLenInByte = 0
; NumSgprs: 6
; NumVgprs: 0
; NumAgprs: 0
; TotalNumVgprs: 0
; ScratchSize: 0
; MemoryBound: 0
; FloatMode: 240
; IeeeMode: 1
; LDSByteSize: 0 bytes/workgroup (compile time only)
; SGPRBlocks: 0
; VGPRBlocks: 0
; NumSGPRsForWavesPerEU: 6
; NumVGPRsForWavesPerEU: 1
; AccumOffset: 4
; Occupancy: 8
; WaveLimiterHint : 0
; COMPUTE_PGM_RSRC2:SCRATCH_EN: 0
; COMPUTE_PGM_RSRC2:USER_SGPR: 2
; COMPUTE_PGM_RSRC2:TRAP_HANDLER: 0
; COMPUTE_PGM_RSRC2:TGID_X_EN: 1
; COMPUTE_PGM_RSRC2:TGID_Y_EN: 0
; COMPUTE_PGM_RSRC2:TGID_Z_EN: 0
; COMPUTE_PGM_RSRC2:TIDIG_COMP_CNT: 0
; COMPUTE_PGM_RSRC3_GFX90A:ACCUM_OFFSET: 0
; COMPUTE_PGM_RSRC3_GFX90A:TG_SPLIT: 0
	.section	.text._ZN7rocprim17ROCPRIM_400000_NS6detail17trampoline_kernelINS0_14default_configENS1_35radix_sort_onesweep_config_selectorItNS0_10empty_typeEEEZZNS1_29radix_sort_onesweep_iterationIS3_Lb0EN6thrust23THRUST_200600_302600_NS6detail15normal_iteratorINS9_10device_ptrItEEEESE_PS5_SF_jNS0_19identity_decomposerENS1_16block_id_wrapperIjLb1EEEEE10hipError_tT1_PNSt15iterator_traitsISK_E10value_typeET2_T3_PNSL_ISQ_E10value_typeET4_T5_PSV_SW_PNS1_23onesweep_lookback_stateEbbT6_jjT7_P12ihipStream_tbENKUlT_T0_SK_SP_E_clIPtSE_SF_SF_EEDaS13_S14_SK_SP_EUlS13_E_NS1_11comp_targetILNS1_3genE6ELNS1_11target_archE950ELNS1_3gpuE13ELNS1_3repE0EEENS1_47radix_sort_onesweep_sort_config_static_selectorELNS0_4arch9wavefront6targetE1EEEvSK_,"axG",@progbits,_ZN7rocprim17ROCPRIM_400000_NS6detail17trampoline_kernelINS0_14default_configENS1_35radix_sort_onesweep_config_selectorItNS0_10empty_typeEEEZZNS1_29radix_sort_onesweep_iterationIS3_Lb0EN6thrust23THRUST_200600_302600_NS6detail15normal_iteratorINS9_10device_ptrItEEEESE_PS5_SF_jNS0_19identity_decomposerENS1_16block_id_wrapperIjLb1EEEEE10hipError_tT1_PNSt15iterator_traitsISK_E10value_typeET2_T3_PNSL_ISQ_E10value_typeET4_T5_PSV_SW_PNS1_23onesweep_lookback_stateEbbT6_jjT7_P12ihipStream_tbENKUlT_T0_SK_SP_E_clIPtSE_SF_SF_EEDaS13_S14_SK_SP_EUlS13_E_NS1_11comp_targetILNS1_3genE6ELNS1_11target_archE950ELNS1_3gpuE13ELNS1_3repE0EEENS1_47radix_sort_onesweep_sort_config_static_selectorELNS0_4arch9wavefront6targetE1EEEvSK_,comdat
	.protected	_ZN7rocprim17ROCPRIM_400000_NS6detail17trampoline_kernelINS0_14default_configENS1_35radix_sort_onesweep_config_selectorItNS0_10empty_typeEEEZZNS1_29radix_sort_onesweep_iterationIS3_Lb0EN6thrust23THRUST_200600_302600_NS6detail15normal_iteratorINS9_10device_ptrItEEEESE_PS5_SF_jNS0_19identity_decomposerENS1_16block_id_wrapperIjLb1EEEEE10hipError_tT1_PNSt15iterator_traitsISK_E10value_typeET2_T3_PNSL_ISQ_E10value_typeET4_T5_PSV_SW_PNS1_23onesweep_lookback_stateEbbT6_jjT7_P12ihipStream_tbENKUlT_T0_SK_SP_E_clIPtSE_SF_SF_EEDaS13_S14_SK_SP_EUlS13_E_NS1_11comp_targetILNS1_3genE6ELNS1_11target_archE950ELNS1_3gpuE13ELNS1_3repE0EEENS1_47radix_sort_onesweep_sort_config_static_selectorELNS0_4arch9wavefront6targetE1EEEvSK_ ; -- Begin function _ZN7rocprim17ROCPRIM_400000_NS6detail17trampoline_kernelINS0_14default_configENS1_35radix_sort_onesweep_config_selectorItNS0_10empty_typeEEEZZNS1_29radix_sort_onesweep_iterationIS3_Lb0EN6thrust23THRUST_200600_302600_NS6detail15normal_iteratorINS9_10device_ptrItEEEESE_PS5_SF_jNS0_19identity_decomposerENS1_16block_id_wrapperIjLb1EEEEE10hipError_tT1_PNSt15iterator_traitsISK_E10value_typeET2_T3_PNSL_ISQ_E10value_typeET4_T5_PSV_SW_PNS1_23onesweep_lookback_stateEbbT6_jjT7_P12ihipStream_tbENKUlT_T0_SK_SP_E_clIPtSE_SF_SF_EEDaS13_S14_SK_SP_EUlS13_E_NS1_11comp_targetILNS1_3genE6ELNS1_11target_archE950ELNS1_3gpuE13ELNS1_3repE0EEENS1_47radix_sort_onesweep_sort_config_static_selectorELNS0_4arch9wavefront6targetE1EEEvSK_
	.globl	_ZN7rocprim17ROCPRIM_400000_NS6detail17trampoline_kernelINS0_14default_configENS1_35radix_sort_onesweep_config_selectorItNS0_10empty_typeEEEZZNS1_29radix_sort_onesweep_iterationIS3_Lb0EN6thrust23THRUST_200600_302600_NS6detail15normal_iteratorINS9_10device_ptrItEEEESE_PS5_SF_jNS0_19identity_decomposerENS1_16block_id_wrapperIjLb1EEEEE10hipError_tT1_PNSt15iterator_traitsISK_E10value_typeET2_T3_PNSL_ISQ_E10value_typeET4_T5_PSV_SW_PNS1_23onesweep_lookback_stateEbbT6_jjT7_P12ihipStream_tbENKUlT_T0_SK_SP_E_clIPtSE_SF_SF_EEDaS13_S14_SK_SP_EUlS13_E_NS1_11comp_targetILNS1_3genE6ELNS1_11target_archE950ELNS1_3gpuE13ELNS1_3repE0EEENS1_47radix_sort_onesweep_sort_config_static_selectorELNS0_4arch9wavefront6targetE1EEEvSK_
	.p2align	8
	.type	_ZN7rocprim17ROCPRIM_400000_NS6detail17trampoline_kernelINS0_14default_configENS1_35radix_sort_onesweep_config_selectorItNS0_10empty_typeEEEZZNS1_29radix_sort_onesweep_iterationIS3_Lb0EN6thrust23THRUST_200600_302600_NS6detail15normal_iteratorINS9_10device_ptrItEEEESE_PS5_SF_jNS0_19identity_decomposerENS1_16block_id_wrapperIjLb1EEEEE10hipError_tT1_PNSt15iterator_traitsISK_E10value_typeET2_T3_PNSL_ISQ_E10value_typeET4_T5_PSV_SW_PNS1_23onesweep_lookback_stateEbbT6_jjT7_P12ihipStream_tbENKUlT_T0_SK_SP_E_clIPtSE_SF_SF_EEDaS13_S14_SK_SP_EUlS13_E_NS1_11comp_targetILNS1_3genE6ELNS1_11target_archE950ELNS1_3gpuE13ELNS1_3repE0EEENS1_47radix_sort_onesweep_sort_config_static_selectorELNS0_4arch9wavefront6targetE1EEEvSK_,@function
_ZN7rocprim17ROCPRIM_400000_NS6detail17trampoline_kernelINS0_14default_configENS1_35radix_sort_onesweep_config_selectorItNS0_10empty_typeEEEZZNS1_29radix_sort_onesweep_iterationIS3_Lb0EN6thrust23THRUST_200600_302600_NS6detail15normal_iteratorINS9_10device_ptrItEEEESE_PS5_SF_jNS0_19identity_decomposerENS1_16block_id_wrapperIjLb1EEEEE10hipError_tT1_PNSt15iterator_traitsISK_E10value_typeET2_T3_PNSL_ISQ_E10value_typeET4_T5_PSV_SW_PNS1_23onesweep_lookback_stateEbbT6_jjT7_P12ihipStream_tbENKUlT_T0_SK_SP_E_clIPtSE_SF_SF_EEDaS13_S14_SK_SP_EUlS13_E_NS1_11comp_targetILNS1_3genE6ELNS1_11target_archE950ELNS1_3gpuE13ELNS1_3repE0EEENS1_47radix_sort_onesweep_sort_config_static_selectorELNS0_4arch9wavefront6targetE1EEEvSK_: ; @_ZN7rocprim17ROCPRIM_400000_NS6detail17trampoline_kernelINS0_14default_configENS1_35radix_sort_onesweep_config_selectorItNS0_10empty_typeEEEZZNS1_29radix_sort_onesweep_iterationIS3_Lb0EN6thrust23THRUST_200600_302600_NS6detail15normal_iteratorINS9_10device_ptrItEEEESE_PS5_SF_jNS0_19identity_decomposerENS1_16block_id_wrapperIjLb1EEEEE10hipError_tT1_PNSt15iterator_traitsISK_E10value_typeET2_T3_PNSL_ISQ_E10value_typeET4_T5_PSV_SW_PNS1_23onesweep_lookback_stateEbbT6_jjT7_P12ihipStream_tbENKUlT_T0_SK_SP_E_clIPtSE_SF_SF_EEDaS13_S14_SK_SP_EUlS13_E_NS1_11comp_targetILNS1_3genE6ELNS1_11target_archE950ELNS1_3gpuE13ELNS1_3repE0EEENS1_47radix_sort_onesweep_sort_config_static_selectorELNS0_4arch9wavefront6targetE1EEEvSK_
; %bb.0:
	.section	.rodata,"a",@progbits
	.p2align	6, 0x0
	.amdhsa_kernel _ZN7rocprim17ROCPRIM_400000_NS6detail17trampoline_kernelINS0_14default_configENS1_35radix_sort_onesweep_config_selectorItNS0_10empty_typeEEEZZNS1_29radix_sort_onesweep_iterationIS3_Lb0EN6thrust23THRUST_200600_302600_NS6detail15normal_iteratorINS9_10device_ptrItEEEESE_PS5_SF_jNS0_19identity_decomposerENS1_16block_id_wrapperIjLb1EEEEE10hipError_tT1_PNSt15iterator_traitsISK_E10value_typeET2_T3_PNSL_ISQ_E10value_typeET4_T5_PSV_SW_PNS1_23onesweep_lookback_stateEbbT6_jjT7_P12ihipStream_tbENKUlT_T0_SK_SP_E_clIPtSE_SF_SF_EEDaS13_S14_SK_SP_EUlS13_E_NS1_11comp_targetILNS1_3genE6ELNS1_11target_archE950ELNS1_3gpuE13ELNS1_3repE0EEENS1_47radix_sort_onesweep_sort_config_static_selectorELNS0_4arch9wavefront6targetE1EEEvSK_
		.amdhsa_group_segment_fixed_size 0
		.amdhsa_private_segment_fixed_size 0
		.amdhsa_kernarg_size 88
		.amdhsa_user_sgpr_count 2
		.amdhsa_user_sgpr_dispatch_ptr 0
		.amdhsa_user_sgpr_queue_ptr 0
		.amdhsa_user_sgpr_kernarg_segment_ptr 1
		.amdhsa_user_sgpr_dispatch_id 0
		.amdhsa_user_sgpr_kernarg_preload_length 0
		.amdhsa_user_sgpr_kernarg_preload_offset 0
		.amdhsa_user_sgpr_private_segment_size 0
		.amdhsa_uses_dynamic_stack 0
		.amdhsa_enable_private_segment 0
		.amdhsa_system_sgpr_workgroup_id_x 1
		.amdhsa_system_sgpr_workgroup_id_y 0
		.amdhsa_system_sgpr_workgroup_id_z 0
		.amdhsa_system_sgpr_workgroup_info 0
		.amdhsa_system_vgpr_workitem_id 0
		.amdhsa_next_free_vgpr 1
		.amdhsa_next_free_sgpr 0
		.amdhsa_accum_offset 4
		.amdhsa_reserve_vcc 0
		.amdhsa_float_round_mode_32 0
		.amdhsa_float_round_mode_16_64 0
		.amdhsa_float_denorm_mode_32 3
		.amdhsa_float_denorm_mode_16_64 3
		.amdhsa_dx10_clamp 1
		.amdhsa_ieee_mode 1
		.amdhsa_fp16_overflow 0
		.amdhsa_tg_split 0
		.amdhsa_exception_fp_ieee_invalid_op 0
		.amdhsa_exception_fp_denorm_src 0
		.amdhsa_exception_fp_ieee_div_zero 0
		.amdhsa_exception_fp_ieee_overflow 0
		.amdhsa_exception_fp_ieee_underflow 0
		.amdhsa_exception_fp_ieee_inexact 0
		.amdhsa_exception_int_div_zero 0
	.end_amdhsa_kernel
	.section	.text._ZN7rocprim17ROCPRIM_400000_NS6detail17trampoline_kernelINS0_14default_configENS1_35radix_sort_onesweep_config_selectorItNS0_10empty_typeEEEZZNS1_29radix_sort_onesweep_iterationIS3_Lb0EN6thrust23THRUST_200600_302600_NS6detail15normal_iteratorINS9_10device_ptrItEEEESE_PS5_SF_jNS0_19identity_decomposerENS1_16block_id_wrapperIjLb1EEEEE10hipError_tT1_PNSt15iterator_traitsISK_E10value_typeET2_T3_PNSL_ISQ_E10value_typeET4_T5_PSV_SW_PNS1_23onesweep_lookback_stateEbbT6_jjT7_P12ihipStream_tbENKUlT_T0_SK_SP_E_clIPtSE_SF_SF_EEDaS13_S14_SK_SP_EUlS13_E_NS1_11comp_targetILNS1_3genE6ELNS1_11target_archE950ELNS1_3gpuE13ELNS1_3repE0EEENS1_47radix_sort_onesweep_sort_config_static_selectorELNS0_4arch9wavefront6targetE1EEEvSK_,"axG",@progbits,_ZN7rocprim17ROCPRIM_400000_NS6detail17trampoline_kernelINS0_14default_configENS1_35radix_sort_onesweep_config_selectorItNS0_10empty_typeEEEZZNS1_29radix_sort_onesweep_iterationIS3_Lb0EN6thrust23THRUST_200600_302600_NS6detail15normal_iteratorINS9_10device_ptrItEEEESE_PS5_SF_jNS0_19identity_decomposerENS1_16block_id_wrapperIjLb1EEEEE10hipError_tT1_PNSt15iterator_traitsISK_E10value_typeET2_T3_PNSL_ISQ_E10value_typeET4_T5_PSV_SW_PNS1_23onesweep_lookback_stateEbbT6_jjT7_P12ihipStream_tbENKUlT_T0_SK_SP_E_clIPtSE_SF_SF_EEDaS13_S14_SK_SP_EUlS13_E_NS1_11comp_targetILNS1_3genE6ELNS1_11target_archE950ELNS1_3gpuE13ELNS1_3repE0EEENS1_47radix_sort_onesweep_sort_config_static_selectorELNS0_4arch9wavefront6targetE1EEEvSK_,comdat
.Lfunc_end1357:
	.size	_ZN7rocprim17ROCPRIM_400000_NS6detail17trampoline_kernelINS0_14default_configENS1_35radix_sort_onesweep_config_selectorItNS0_10empty_typeEEEZZNS1_29radix_sort_onesweep_iterationIS3_Lb0EN6thrust23THRUST_200600_302600_NS6detail15normal_iteratorINS9_10device_ptrItEEEESE_PS5_SF_jNS0_19identity_decomposerENS1_16block_id_wrapperIjLb1EEEEE10hipError_tT1_PNSt15iterator_traitsISK_E10value_typeET2_T3_PNSL_ISQ_E10value_typeET4_T5_PSV_SW_PNS1_23onesweep_lookback_stateEbbT6_jjT7_P12ihipStream_tbENKUlT_T0_SK_SP_E_clIPtSE_SF_SF_EEDaS13_S14_SK_SP_EUlS13_E_NS1_11comp_targetILNS1_3genE6ELNS1_11target_archE950ELNS1_3gpuE13ELNS1_3repE0EEENS1_47radix_sort_onesweep_sort_config_static_selectorELNS0_4arch9wavefront6targetE1EEEvSK_, .Lfunc_end1357-_ZN7rocprim17ROCPRIM_400000_NS6detail17trampoline_kernelINS0_14default_configENS1_35radix_sort_onesweep_config_selectorItNS0_10empty_typeEEEZZNS1_29radix_sort_onesweep_iterationIS3_Lb0EN6thrust23THRUST_200600_302600_NS6detail15normal_iteratorINS9_10device_ptrItEEEESE_PS5_SF_jNS0_19identity_decomposerENS1_16block_id_wrapperIjLb1EEEEE10hipError_tT1_PNSt15iterator_traitsISK_E10value_typeET2_T3_PNSL_ISQ_E10value_typeET4_T5_PSV_SW_PNS1_23onesweep_lookback_stateEbbT6_jjT7_P12ihipStream_tbENKUlT_T0_SK_SP_E_clIPtSE_SF_SF_EEDaS13_S14_SK_SP_EUlS13_E_NS1_11comp_targetILNS1_3genE6ELNS1_11target_archE950ELNS1_3gpuE13ELNS1_3repE0EEENS1_47radix_sort_onesweep_sort_config_static_selectorELNS0_4arch9wavefront6targetE1EEEvSK_
                                        ; -- End function
	.section	.AMDGPU.csdata,"",@progbits
; Kernel info:
; codeLenInByte = 0
; NumSgprs: 6
; NumVgprs: 0
; NumAgprs: 0
; TotalNumVgprs: 0
; ScratchSize: 0
; MemoryBound: 0
; FloatMode: 240
; IeeeMode: 1
; LDSByteSize: 0 bytes/workgroup (compile time only)
; SGPRBlocks: 0
; VGPRBlocks: 0
; NumSGPRsForWavesPerEU: 6
; NumVGPRsForWavesPerEU: 1
; AccumOffset: 4
; Occupancy: 8
; WaveLimiterHint : 0
; COMPUTE_PGM_RSRC2:SCRATCH_EN: 0
; COMPUTE_PGM_RSRC2:USER_SGPR: 2
; COMPUTE_PGM_RSRC2:TRAP_HANDLER: 0
; COMPUTE_PGM_RSRC2:TGID_X_EN: 1
; COMPUTE_PGM_RSRC2:TGID_Y_EN: 0
; COMPUTE_PGM_RSRC2:TGID_Z_EN: 0
; COMPUTE_PGM_RSRC2:TIDIG_COMP_CNT: 0
; COMPUTE_PGM_RSRC3_GFX90A:ACCUM_OFFSET: 0
; COMPUTE_PGM_RSRC3_GFX90A:TG_SPLIT: 0
	.section	.text._ZN7rocprim17ROCPRIM_400000_NS6detail17trampoline_kernelINS0_14default_configENS1_35radix_sort_onesweep_config_selectorItNS0_10empty_typeEEEZZNS1_29radix_sort_onesweep_iterationIS3_Lb0EN6thrust23THRUST_200600_302600_NS6detail15normal_iteratorINS9_10device_ptrItEEEESE_PS5_SF_jNS0_19identity_decomposerENS1_16block_id_wrapperIjLb1EEEEE10hipError_tT1_PNSt15iterator_traitsISK_E10value_typeET2_T3_PNSL_ISQ_E10value_typeET4_T5_PSV_SW_PNS1_23onesweep_lookback_stateEbbT6_jjT7_P12ihipStream_tbENKUlT_T0_SK_SP_E_clIPtSE_SF_SF_EEDaS13_S14_SK_SP_EUlS13_E_NS1_11comp_targetILNS1_3genE5ELNS1_11target_archE942ELNS1_3gpuE9ELNS1_3repE0EEENS1_47radix_sort_onesweep_sort_config_static_selectorELNS0_4arch9wavefront6targetE1EEEvSK_,"axG",@progbits,_ZN7rocprim17ROCPRIM_400000_NS6detail17trampoline_kernelINS0_14default_configENS1_35radix_sort_onesweep_config_selectorItNS0_10empty_typeEEEZZNS1_29radix_sort_onesweep_iterationIS3_Lb0EN6thrust23THRUST_200600_302600_NS6detail15normal_iteratorINS9_10device_ptrItEEEESE_PS5_SF_jNS0_19identity_decomposerENS1_16block_id_wrapperIjLb1EEEEE10hipError_tT1_PNSt15iterator_traitsISK_E10value_typeET2_T3_PNSL_ISQ_E10value_typeET4_T5_PSV_SW_PNS1_23onesweep_lookback_stateEbbT6_jjT7_P12ihipStream_tbENKUlT_T0_SK_SP_E_clIPtSE_SF_SF_EEDaS13_S14_SK_SP_EUlS13_E_NS1_11comp_targetILNS1_3genE5ELNS1_11target_archE942ELNS1_3gpuE9ELNS1_3repE0EEENS1_47radix_sort_onesweep_sort_config_static_selectorELNS0_4arch9wavefront6targetE1EEEvSK_,comdat
	.protected	_ZN7rocprim17ROCPRIM_400000_NS6detail17trampoline_kernelINS0_14default_configENS1_35radix_sort_onesweep_config_selectorItNS0_10empty_typeEEEZZNS1_29radix_sort_onesweep_iterationIS3_Lb0EN6thrust23THRUST_200600_302600_NS6detail15normal_iteratorINS9_10device_ptrItEEEESE_PS5_SF_jNS0_19identity_decomposerENS1_16block_id_wrapperIjLb1EEEEE10hipError_tT1_PNSt15iterator_traitsISK_E10value_typeET2_T3_PNSL_ISQ_E10value_typeET4_T5_PSV_SW_PNS1_23onesweep_lookback_stateEbbT6_jjT7_P12ihipStream_tbENKUlT_T0_SK_SP_E_clIPtSE_SF_SF_EEDaS13_S14_SK_SP_EUlS13_E_NS1_11comp_targetILNS1_3genE5ELNS1_11target_archE942ELNS1_3gpuE9ELNS1_3repE0EEENS1_47radix_sort_onesweep_sort_config_static_selectorELNS0_4arch9wavefront6targetE1EEEvSK_ ; -- Begin function _ZN7rocprim17ROCPRIM_400000_NS6detail17trampoline_kernelINS0_14default_configENS1_35radix_sort_onesweep_config_selectorItNS0_10empty_typeEEEZZNS1_29radix_sort_onesweep_iterationIS3_Lb0EN6thrust23THRUST_200600_302600_NS6detail15normal_iteratorINS9_10device_ptrItEEEESE_PS5_SF_jNS0_19identity_decomposerENS1_16block_id_wrapperIjLb1EEEEE10hipError_tT1_PNSt15iterator_traitsISK_E10value_typeET2_T3_PNSL_ISQ_E10value_typeET4_T5_PSV_SW_PNS1_23onesweep_lookback_stateEbbT6_jjT7_P12ihipStream_tbENKUlT_T0_SK_SP_E_clIPtSE_SF_SF_EEDaS13_S14_SK_SP_EUlS13_E_NS1_11comp_targetILNS1_3genE5ELNS1_11target_archE942ELNS1_3gpuE9ELNS1_3repE0EEENS1_47radix_sort_onesweep_sort_config_static_selectorELNS0_4arch9wavefront6targetE1EEEvSK_
	.globl	_ZN7rocprim17ROCPRIM_400000_NS6detail17trampoline_kernelINS0_14default_configENS1_35radix_sort_onesweep_config_selectorItNS0_10empty_typeEEEZZNS1_29radix_sort_onesweep_iterationIS3_Lb0EN6thrust23THRUST_200600_302600_NS6detail15normal_iteratorINS9_10device_ptrItEEEESE_PS5_SF_jNS0_19identity_decomposerENS1_16block_id_wrapperIjLb1EEEEE10hipError_tT1_PNSt15iterator_traitsISK_E10value_typeET2_T3_PNSL_ISQ_E10value_typeET4_T5_PSV_SW_PNS1_23onesweep_lookback_stateEbbT6_jjT7_P12ihipStream_tbENKUlT_T0_SK_SP_E_clIPtSE_SF_SF_EEDaS13_S14_SK_SP_EUlS13_E_NS1_11comp_targetILNS1_3genE5ELNS1_11target_archE942ELNS1_3gpuE9ELNS1_3repE0EEENS1_47radix_sort_onesweep_sort_config_static_selectorELNS0_4arch9wavefront6targetE1EEEvSK_
	.p2align	8
	.type	_ZN7rocprim17ROCPRIM_400000_NS6detail17trampoline_kernelINS0_14default_configENS1_35radix_sort_onesweep_config_selectorItNS0_10empty_typeEEEZZNS1_29radix_sort_onesweep_iterationIS3_Lb0EN6thrust23THRUST_200600_302600_NS6detail15normal_iteratorINS9_10device_ptrItEEEESE_PS5_SF_jNS0_19identity_decomposerENS1_16block_id_wrapperIjLb1EEEEE10hipError_tT1_PNSt15iterator_traitsISK_E10value_typeET2_T3_PNSL_ISQ_E10value_typeET4_T5_PSV_SW_PNS1_23onesweep_lookback_stateEbbT6_jjT7_P12ihipStream_tbENKUlT_T0_SK_SP_E_clIPtSE_SF_SF_EEDaS13_S14_SK_SP_EUlS13_E_NS1_11comp_targetILNS1_3genE5ELNS1_11target_archE942ELNS1_3gpuE9ELNS1_3repE0EEENS1_47radix_sort_onesweep_sort_config_static_selectorELNS0_4arch9wavefront6targetE1EEEvSK_,@function
_ZN7rocprim17ROCPRIM_400000_NS6detail17trampoline_kernelINS0_14default_configENS1_35radix_sort_onesweep_config_selectorItNS0_10empty_typeEEEZZNS1_29radix_sort_onesweep_iterationIS3_Lb0EN6thrust23THRUST_200600_302600_NS6detail15normal_iteratorINS9_10device_ptrItEEEESE_PS5_SF_jNS0_19identity_decomposerENS1_16block_id_wrapperIjLb1EEEEE10hipError_tT1_PNSt15iterator_traitsISK_E10value_typeET2_T3_PNSL_ISQ_E10value_typeET4_T5_PSV_SW_PNS1_23onesweep_lookback_stateEbbT6_jjT7_P12ihipStream_tbENKUlT_T0_SK_SP_E_clIPtSE_SF_SF_EEDaS13_S14_SK_SP_EUlS13_E_NS1_11comp_targetILNS1_3genE5ELNS1_11target_archE942ELNS1_3gpuE9ELNS1_3repE0EEENS1_47radix_sort_onesweep_sort_config_static_selectorELNS0_4arch9wavefront6targetE1EEEvSK_: ; @_ZN7rocprim17ROCPRIM_400000_NS6detail17trampoline_kernelINS0_14default_configENS1_35radix_sort_onesweep_config_selectorItNS0_10empty_typeEEEZZNS1_29radix_sort_onesweep_iterationIS3_Lb0EN6thrust23THRUST_200600_302600_NS6detail15normal_iteratorINS9_10device_ptrItEEEESE_PS5_SF_jNS0_19identity_decomposerENS1_16block_id_wrapperIjLb1EEEEE10hipError_tT1_PNSt15iterator_traitsISK_E10value_typeET2_T3_PNSL_ISQ_E10value_typeET4_T5_PSV_SW_PNS1_23onesweep_lookback_stateEbbT6_jjT7_P12ihipStream_tbENKUlT_T0_SK_SP_E_clIPtSE_SF_SF_EEDaS13_S14_SK_SP_EUlS13_E_NS1_11comp_targetILNS1_3genE5ELNS1_11target_archE942ELNS1_3gpuE9ELNS1_3repE0EEENS1_47radix_sort_onesweep_sort_config_static_selectorELNS0_4arch9wavefront6targetE1EEEvSK_
; %bb.0:
	s_load_dwordx4 s[20:23], s[0:1], 0x28
	s_load_dwordx2 s[18:19], s[0:1], 0x38
	s_load_dwordx4 s[24:27], s[0:1], 0x44
	v_and_b32_e32 v2, 0x3ff, v0
	v_cmp_eq_u32_e64 s[10:11], 0, v2
	s_and_saveexec_b64 s[4:5], s[10:11]
	s_cbranch_execz .LBB1358_4
; %bb.1:
	s_mov_b64 s[8:9], exec
	v_mbcnt_lo_u32_b32 v1, s8, 0
	v_mbcnt_hi_u32_b32 v1, s9, v1
	v_cmp_eq_u32_e32 vcc, 0, v1
                                        ; implicit-def: $vgpr3
	s_and_saveexec_b64 s[6:7], vcc
	s_cbranch_execz .LBB1358_3
; %bb.2:
	s_load_dwordx2 s[12:13], s[0:1], 0x50
	s_bcnt1_i32_b64 s3, s[8:9]
	v_mov_b32_e32 v3, 0
	v_mov_b32_e32 v4, s3
	s_waitcnt lgkmcnt(0)
	global_atomic_add v3, v3, v4, s[12:13] sc0
.LBB1358_3:
	s_or_b64 exec, exec, s[6:7]
	s_waitcnt vmcnt(0)
	v_readfirstlane_b32 s3, v3
	v_mov_b32_e32 v3, 0
	s_nop 0
	v_add_u32_e32 v1, s3, v1
	ds_write_b32 v3, v1 offset:25600
.LBB1358_4:
	s_or_b64 exec, exec, s[4:5]
	v_mov_b32_e32 v5, 0
	s_load_dwordx4 s[28:31], s[0:1], 0x0
	s_load_dword s3, s[0:1], 0x20
	s_waitcnt lgkmcnt(0)
	s_barrier
	ds_read_b32 v1, v5 offset:25600
	s_waitcnt lgkmcnt(0)
	s_barrier
	v_readfirstlane_b32 s27, v1
	v_cmp_le_u32_e32 vcc, s26, v1
	s_mul_i32 s34, s27, 0x3000
	v_mbcnt_lo_u32_b32 v1, -1, 0
	s_cbranch_vccz .LBB1358_100
; %bb.5:
	s_mul_i32 s4, s26, 0xffffd000
	s_mov_b32 s35, 0
	s_add_i32 s3, s4, s3
	s_lshl_b64 s[4:5], s[34:35], 1
	v_mbcnt_hi_u32_b32 v13, -1, v1
	s_add_u32 s4, s28, s4
	v_and_b32_e32 v3, 63, v13
	v_and_b32_e32 v4, 0x3c0, v2
	s_addc_u32 s5, s29, s5
	v_mul_u32_u24_e32 v8, 12, v4
	v_lshlrev_b32_e32 v4, 1, v3
	v_lshl_add_u64 v[6:7], s[4:5], 0, v[4:5]
	v_lshlrev_b32_e32 v4, 1, v8
	v_lshl_add_u64 v[4:5], v[6:7], 0, v[4:5]
	v_or_b32_e32 v6, v3, v8
	v_cmp_gt_u32_e32 vcc, s3, v6
	v_mov_b32_e32 v3, -1
	v_mov_b32_e32 v8, -1
	s_and_saveexec_b64 s[4:5], vcc
	s_cbranch_execz .LBB1358_7
; %bb.6:
	global_load_ushort v8, v[4:5], off
.LBB1358_7:
	s_or_b64 exec, exec, s[4:5]
	v_or_b32_e32 v7, 64, v6
	v_cmp_gt_u32_e32 vcc, s3, v7
	s_and_saveexec_b64 s[4:5], vcc
	s_cbranch_execz .LBB1358_9
; %bb.8:
	global_load_ushort v3, v[4:5], off offset:128
.LBB1358_9:
	s_or_b64 exec, exec, s[4:5]
	v_or_b32_e32 v7, 0x80, v6
	v_cmp_gt_u32_e32 vcc, s3, v7
	v_mov_b32_e32 v9, -1
	v_mov_b32_e32 v10, -1
	s_and_saveexec_b64 s[4:5], vcc
	s_cbranch_execz .LBB1358_11
; %bb.10:
	global_load_ushort v10, v[4:5], off offset:256
.LBB1358_11:
	s_or_b64 exec, exec, s[4:5]
	v_or_b32_e32 v7, 0xc0, v6
	v_cmp_gt_u32_e32 vcc, s3, v7
	s_and_saveexec_b64 s[4:5], vcc
	s_cbranch_execz .LBB1358_13
; %bb.12:
	global_load_ushort v9, v[4:5], off offset:384
.LBB1358_13:
	s_or_b64 exec, exec, s[4:5]
	v_add_u32_e32 v7, 0x100, v6
	v_cmp_gt_u32_e32 vcc, s3, v7
	v_mov_b32_e32 v11, -1
	v_mov_b32_e32 v12, -1
	s_and_saveexec_b64 s[4:5], vcc
	s_cbranch_execz .LBB1358_15
; %bb.14:
	global_load_ushort v12, v[4:5], off offset:512
.LBB1358_15:
	s_or_b64 exec, exec, s[4:5]
	v_add_u32_e32 v7, 0x140, v6
	v_cmp_gt_u32_e32 vcc, s3, v7
	s_and_saveexec_b64 s[4:5], vcc
	s_cbranch_execz .LBB1358_17
; %bb.16:
	global_load_ushort v11, v[4:5], off offset:640
.LBB1358_17:
	s_or_b64 exec, exec, s[4:5]
	v_add_u32_e32 v7, 0x180, v6
	v_cmp_gt_u32_e32 vcc, s3, v7
	v_mov_b32_e32 v14, -1
	v_mov_b32_e32 v15, -1
	s_and_saveexec_b64 s[4:5], vcc
	s_cbranch_execz .LBB1358_19
; %bb.18:
	global_load_ushort v15, v[4:5], off offset:768
.LBB1358_19:
	s_or_b64 exec, exec, s[4:5]
	v_add_u32_e32 v7, 0x1c0, v6
	;; [unrolled: 18-line block ×4, first 2 shown]
	v_cmp_gt_u32_e32 vcc, s3, v6
	s_and_saveexec_b64 s[4:5], vcc
	s_cbranch_execz .LBB1358_29
; %bb.28:
	global_load_ushort v18, v[4:5], off offset:1408
.LBB1358_29:
	s_or_b64 exec, exec, s[4:5]
	s_load_dword s4, s[0:1], 0x64
	s_load_dword s26, s[0:1], 0x58
	s_add_u32 s5, s0, 0x58
	s_addc_u32 s6, s1, 0
	v_mov_b32_e32 v5, 0
	s_waitcnt lgkmcnt(0)
	s_lshr_b32 s7, s4, 16
	s_cmp_lt_u32 s2, s26
	s_cselect_b32 s4, 12, 18
	s_add_u32 s4, s5, s4
	s_addc_u32 s5, s6, 0
	global_load_ushort v21, v5, s[4:5]
	s_lshl_b32 s4, -1, s25
	s_waitcnt vmcnt(1)
	v_lshrrev_b32_sdwa v23, s24, v8 dst_sel:DWORD dst_unused:UNUSED_PAD src0_sel:DWORD src1_sel:WORD_0
	s_not_b32 s33, s4
	v_bfe_u32 v4, v0, 10, 10
	v_bfe_u32 v7, v0, 20, 10
	v_and_b32_e32 v33, s33, v23
	v_mul_u32_u24_e32 v6, 5, v2
	v_mad_u32_u24 v32, v7, s7, v4
	v_and_b32_e32 v4, 1, v33
	v_lshlrev_b32_e32 v7, 30, v33
	v_lshlrev_b32_e32 v20, 2, v6
	v_mov_b32_e32 v6, v5
	v_mov_b32_e32 v24, v5
	v_lshlrev_b32_e32 v23, 29, v33
	v_lshlrev_b32_e32 v25, 28, v33
	v_lshl_add_u64 v[34:35], v[4:5], 0, -1
	v_cmp_ne_u32_e32 vcc, 0, v4
	v_not_b32_e32 v4, v7
	v_mov_b32_e32 v22, v5
	v_mov_b32_e32 v26, v5
	v_lshlrev_b32_e32 v27, 27, v33
	v_cmp_gt_i64_e64 s[4:5], 0, v[6:7]
	v_not_b32_e32 v6, v23
	v_cmp_gt_i64_e64 s[8:9], 0, v[24:25]
	v_not_b32_e32 v7, v25
	v_xor_b32_e32 v25, vcc_hi, v35
	v_ashrrev_i32_e32 v4, 31, v4
	v_mov_b32_e32 v28, v5
	v_lshlrev_b32_e32 v29, 26, v33
	v_cmp_gt_i64_e64 s[6:7], 0, v[22:23]
	v_cmp_gt_i64_e64 s[12:13], 0, v[26:27]
	v_not_b32_e32 v22, v27
	v_xor_b32_e32 v26, vcc_lo, v34
	v_ashrrev_i32_e32 v6, 31, v6
	v_and_b32_e32 v25, exec_hi, v25
	v_xor_b32_e32 v27, s5, v4
	v_cmp_gt_i64_e64 s[14:15], 0, v[28:29]
	v_ashrrev_i32_e32 v7, 31, v7
	v_and_b32_e32 v26, exec_lo, v26
	v_xor_b32_e32 v4, s4, v4
	v_xor_b32_e32 v28, s7, v6
	v_and_b32_e32 v25, v25, v27
	v_mov_b32_e32 v30, v5
	v_lshlrev_b32_e32 v31, 25, v33
	v_not_b32_e32 v23, v29
	v_ashrrev_i32_e32 v22, 31, v22
	v_xor_b32_e32 v6, s6, v6
	v_xor_b32_e32 v29, s9, v7
	v_and_b32_e32 v4, v26, v4
	v_and_b32_e32 v25, v25, v28
	v_cmp_gt_i64_e64 s[16:17], 0, v[30:31]
	v_not_b32_e32 v24, v31
	v_ashrrev_i32_e32 v23, 31, v23
	v_xor_b32_e32 v30, s13, v22
	v_and_b32_e32 v4, v4, v6
	v_and_b32_e32 v6, v25, v29
	v_ashrrev_i32_e32 v24, 31, v24
	v_xor_b32_e32 v7, s8, v7
	v_xor_b32_e32 v31, s15, v23
	v_and_b32_e32 v6, v6, v30
	v_xor_b32_e32 v22, s12, v22
	v_xor_b32_e32 v34, s17, v24
	v_and_b32_e32 v4, v4, v7
	v_and_b32_e32 v6, v6, v31
	v_mul_u32_u24_e32 v36, 17, v33
	v_lshlrev_b32_e32 v33, 24, v33
	v_and_b32_e32 v4, v4, v22
	v_and_b32_e32 v22, v6, v34
	v_xor_b32_e32 v23, s14, v23
	v_xor_b32_e32 v24, s16, v24
	v_and_b32_e32 v4, v4, v23
	v_and_b32_e32 v4, v4, v24
	ds_write2_b32 v20, v5, v5 offset0:16 offset1:17
	ds_write2_b32 v20, v5, v5 offset0:18 offset1:19
	ds_write_b32 v20, v5 offset:80
	s_waitcnt lgkmcnt(0)
	s_barrier
	s_waitcnt lgkmcnt(0)
	; wave barrier
	s_waitcnt vmcnt(0)
	v_mad_u64_u32 v[6:7], s[4:5], v32, v21, v[2:3]
	v_lshrrev_b32_e32 v30, 6, v6
	v_mov_b32_e32 v32, v5
	v_not_b32_e32 v6, v33
	v_cmp_gt_i64_e32 vcc, 0, v[32:33]
	v_ashrrev_i32_e32 v6, 31, v6
	v_add_lshl_u32 v23, v30, v36, 2
	v_xor_b32_e32 v7, vcc_hi, v6
	v_xor_b32_e32 v6, vcc_lo, v6
	v_and_b32_e32 v6, v4, v6
	v_and_b32_e32 v7, v22, v7
	v_mbcnt_lo_u32_b32 v4, v6, 0
	v_mbcnt_hi_u32_b32 v21, v7, v4
	v_cmp_eq_u32_e32 vcc, 0, v21
	v_cmp_ne_u64_e64 s[4:5], 0, v[6:7]
	s_and_b64 s[6:7], s[4:5], vcc
	s_and_saveexec_b64 s[4:5], s[6:7]
	s_cbranch_execz .LBB1358_31
; %bb.30:
	v_bcnt_u32_b32 v4, v6, 0
	v_bcnt_u32_b32 v4, v7, v4
	ds_write_b32 v23, v4 offset:64
.LBB1358_31:
	s_or_b64 exec, exec, s[4:5]
	v_lshrrev_b32_sdwa v4, s24, v3 dst_sel:DWORD dst_unused:UNUSED_PAD src0_sel:DWORD src1_sel:WORD_0
	v_and_b32_e32 v25, s33, v4
	v_mul_u32_u24_e32 v4, 17, v25
	v_add_lshl_u32 v24, v30, v4, 2
	v_and_b32_e32 v4, 1, v25
	v_lshl_add_u64 v[6:7], v[4:5], 0, -1
	v_cmp_ne_u32_e32 vcc, 0, v4
	; wave barrier
	s_nop 1
	v_xor_b32_e32 v6, vcc_lo, v6
	v_xor_b32_e32 v4, vcc_hi, v7
	v_and_b32_e32 v26, exec_lo, v6
	v_lshlrev_b32_e32 v7, 30, v25
	v_mov_b32_e32 v6, v5
	v_cmp_gt_i64_e32 vcc, 0, v[6:7]
	v_not_b32_e32 v6, v7
	v_ashrrev_i32_e32 v6, 31, v6
	v_and_b32_e32 v4, exec_hi, v4
	v_xor_b32_e32 v7, vcc_hi, v6
	v_xor_b32_e32 v6, vcc_lo, v6
	v_and_b32_e32 v4, v4, v7
	v_and_b32_e32 v26, v26, v6
	v_lshlrev_b32_e32 v7, 29, v25
	v_mov_b32_e32 v6, v5
	v_cmp_gt_i64_e32 vcc, 0, v[6:7]
	v_not_b32_e32 v6, v7
	v_ashrrev_i32_e32 v6, 31, v6
	v_xor_b32_e32 v7, vcc_hi, v6
	v_xor_b32_e32 v6, vcc_lo, v6
	v_and_b32_e32 v4, v4, v7
	v_and_b32_e32 v26, v26, v6
	v_lshlrev_b32_e32 v7, 28, v25
	v_mov_b32_e32 v6, v5
	v_cmp_gt_i64_e32 vcc, 0, v[6:7]
	v_not_b32_e32 v6, v7
	v_ashrrev_i32_e32 v6, 31, v6
	;; [unrolled: 9-line block ×5, first 2 shown]
	v_xor_b32_e32 v7, vcc_hi, v6
	v_xor_b32_e32 v6, vcc_lo, v6
	v_and_b32_e32 v4, v4, v7
	v_lshlrev_b32_e32 v7, 24, v25
	v_and_b32_e32 v26, v26, v6
	v_mov_b32_e32 v6, v5
	v_not_b32_e32 v5, v7
	v_cmp_gt_i64_e32 vcc, 0, v[6:7]
	v_ashrrev_i32_e32 v5, 31, v5
	ds_read_b32 v22, v24 offset:64
	v_xor_b32_e32 v6, vcc_hi, v5
	v_xor_b32_e32 v7, vcc_lo, v5
	v_and_b32_e32 v5, v4, v6
	v_and_b32_e32 v4, v26, v7
	v_mbcnt_lo_u32_b32 v6, v4, 0
	v_mbcnt_hi_u32_b32 v25, v5, v6
	v_cmp_eq_u32_e32 vcc, 0, v25
	v_cmp_ne_u64_e64 s[4:5], 0, v[4:5]
	s_and_b64 s[6:7], s[4:5], vcc
	; wave barrier
	s_and_saveexec_b64 s[4:5], s[6:7]
	s_cbranch_execz .LBB1358_33
; %bb.32:
	v_bcnt_u32_b32 v4, v4, 0
	v_bcnt_u32_b32 v4, v5, v4
	s_waitcnt lgkmcnt(0)
	v_add_u32_e32 v4, v22, v4
	ds_write_b32 v24, v4 offset:64
.LBB1358_33:
	s_or_b64 exec, exec, s[4:5]
	v_lshrrev_b32_sdwa v4, s24, v10 dst_sel:DWORD dst_unused:UNUSED_PAD src0_sel:DWORD src1_sel:WORD_0
	v_and_b32_e32 v28, s33, v4
	v_mul_u32_u24_e32 v4, 17, v28
	v_add_lshl_u32 v27, v30, v4, 2
	v_and_b32_e32 v4, 1, v28
	v_mov_b32_e32 v5, 0
	v_lshl_add_u64 v[6:7], v[4:5], 0, -1
	v_cmp_ne_u32_e32 vcc, 0, v4
	; wave barrier
	s_nop 1
	v_xor_b32_e32 v6, vcc_lo, v6
	v_xor_b32_e32 v4, vcc_hi, v7
	v_and_b32_e32 v29, exec_lo, v6
	v_lshlrev_b32_e32 v7, 30, v28
	v_mov_b32_e32 v6, v5
	v_cmp_gt_i64_e32 vcc, 0, v[6:7]
	v_not_b32_e32 v6, v7
	v_ashrrev_i32_e32 v6, 31, v6
	v_and_b32_e32 v4, exec_hi, v4
	v_xor_b32_e32 v7, vcc_hi, v6
	v_xor_b32_e32 v6, vcc_lo, v6
	v_and_b32_e32 v4, v4, v7
	v_and_b32_e32 v29, v29, v6
	v_lshlrev_b32_e32 v7, 29, v28
	v_mov_b32_e32 v6, v5
	v_cmp_gt_i64_e32 vcc, 0, v[6:7]
	v_not_b32_e32 v6, v7
	v_ashrrev_i32_e32 v6, 31, v6
	v_xor_b32_e32 v7, vcc_hi, v6
	v_xor_b32_e32 v6, vcc_lo, v6
	v_and_b32_e32 v4, v4, v7
	v_and_b32_e32 v29, v29, v6
	v_lshlrev_b32_e32 v7, 28, v28
	v_mov_b32_e32 v6, v5
	v_cmp_gt_i64_e32 vcc, 0, v[6:7]
	v_not_b32_e32 v6, v7
	v_ashrrev_i32_e32 v6, 31, v6
	;; [unrolled: 9-line block ×6, first 2 shown]
	v_xor_b32_e32 v7, vcc_hi, v6
	v_xor_b32_e32 v6, vcc_lo, v6
	ds_read_b32 v26, v27 offset:64
	v_and_b32_e32 v6, v29, v6
	v_and_b32_e32 v7, v4, v7
	v_mbcnt_lo_u32_b32 v4, v6, 0
	v_mbcnt_hi_u32_b32 v28, v7, v4
	v_cmp_eq_u32_e32 vcc, 0, v28
	v_cmp_ne_u64_e64 s[4:5], 0, v[6:7]
	s_and_b64 s[6:7], s[4:5], vcc
	; wave barrier
	s_and_saveexec_b64 s[4:5], s[6:7]
	s_cbranch_execz .LBB1358_35
; %bb.34:
	v_bcnt_u32_b32 v4, v6, 0
	v_bcnt_u32_b32 v4, v7, v4
	s_waitcnt lgkmcnt(0)
	v_add_u32_e32 v4, v26, v4
	ds_write_b32 v27, v4 offset:64
.LBB1358_35:
	s_or_b64 exec, exec, s[4:5]
	v_lshrrev_b32_sdwa v4, s24, v9 dst_sel:DWORD dst_unused:UNUSED_PAD src0_sel:DWORD src1_sel:WORD_0
	v_and_b32_e32 v32, s33, v4
	v_mul_u32_u24_e32 v4, 17, v32
	v_add_lshl_u32 v31, v30, v4, 2
	v_and_b32_e32 v4, 1, v32
	v_lshl_add_u64 v[6:7], v[4:5], 0, -1
	v_cmp_ne_u32_e32 vcc, 0, v4
	; wave barrier
	s_nop 1
	v_xor_b32_e32 v6, vcc_lo, v6
	v_xor_b32_e32 v4, vcc_hi, v7
	v_and_b32_e32 v33, exec_lo, v6
	v_lshlrev_b32_e32 v7, 30, v32
	v_mov_b32_e32 v6, v5
	v_cmp_gt_i64_e32 vcc, 0, v[6:7]
	v_not_b32_e32 v6, v7
	v_ashrrev_i32_e32 v6, 31, v6
	v_and_b32_e32 v4, exec_hi, v4
	v_xor_b32_e32 v7, vcc_hi, v6
	v_xor_b32_e32 v6, vcc_lo, v6
	v_and_b32_e32 v4, v4, v7
	v_and_b32_e32 v33, v33, v6
	v_lshlrev_b32_e32 v7, 29, v32
	v_mov_b32_e32 v6, v5
	v_cmp_gt_i64_e32 vcc, 0, v[6:7]
	v_not_b32_e32 v6, v7
	v_ashrrev_i32_e32 v6, 31, v6
	v_xor_b32_e32 v7, vcc_hi, v6
	v_xor_b32_e32 v6, vcc_lo, v6
	v_and_b32_e32 v4, v4, v7
	v_and_b32_e32 v33, v33, v6
	v_lshlrev_b32_e32 v7, 28, v32
	v_mov_b32_e32 v6, v5
	v_cmp_gt_i64_e32 vcc, 0, v[6:7]
	v_not_b32_e32 v6, v7
	v_ashrrev_i32_e32 v6, 31, v6
	;; [unrolled: 9-line block ×5, first 2 shown]
	v_xor_b32_e32 v7, vcc_hi, v6
	v_xor_b32_e32 v6, vcc_lo, v6
	v_and_b32_e32 v4, v4, v7
	v_lshlrev_b32_e32 v7, 24, v32
	v_and_b32_e32 v33, v33, v6
	v_mov_b32_e32 v6, v5
	v_not_b32_e32 v5, v7
	v_cmp_gt_i64_e32 vcc, 0, v[6:7]
	v_ashrrev_i32_e32 v5, 31, v5
	ds_read_b32 v29, v31 offset:64
	v_xor_b32_e32 v6, vcc_hi, v5
	v_xor_b32_e32 v7, vcc_lo, v5
	v_and_b32_e32 v5, v4, v6
	v_and_b32_e32 v4, v33, v7
	v_mbcnt_lo_u32_b32 v6, v4, 0
	v_mbcnt_hi_u32_b32 v32, v5, v6
	v_cmp_eq_u32_e32 vcc, 0, v32
	v_cmp_ne_u64_e64 s[4:5], 0, v[4:5]
	s_and_b64 s[6:7], s[4:5], vcc
	; wave barrier
	s_and_saveexec_b64 s[4:5], s[6:7]
	s_cbranch_execz .LBB1358_37
; %bb.36:
	v_bcnt_u32_b32 v4, v4, 0
	v_bcnt_u32_b32 v4, v5, v4
	s_waitcnt lgkmcnt(0)
	v_add_u32_e32 v4, v29, v4
	ds_write_b32 v31, v4 offset:64
.LBB1358_37:
	s_or_b64 exec, exec, s[4:5]
	v_lshrrev_b32_sdwa v4, s24, v12 dst_sel:DWORD dst_unused:UNUSED_PAD src0_sel:DWORD src1_sel:WORD_0
	v_and_b32_e32 v35, s33, v4
	v_mul_u32_u24_e32 v4, 17, v35
	v_add_lshl_u32 v34, v30, v4, 2
	v_and_b32_e32 v4, 1, v35
	v_mov_b32_e32 v5, 0
	v_lshl_add_u64 v[6:7], v[4:5], 0, -1
	v_cmp_ne_u32_e32 vcc, 0, v4
	; wave barrier
	s_nop 1
	v_xor_b32_e32 v6, vcc_lo, v6
	v_xor_b32_e32 v4, vcc_hi, v7
	v_and_b32_e32 v36, exec_lo, v6
	v_lshlrev_b32_e32 v7, 30, v35
	v_mov_b32_e32 v6, v5
	v_cmp_gt_i64_e32 vcc, 0, v[6:7]
	v_not_b32_e32 v6, v7
	v_ashrrev_i32_e32 v6, 31, v6
	v_and_b32_e32 v4, exec_hi, v4
	v_xor_b32_e32 v7, vcc_hi, v6
	v_xor_b32_e32 v6, vcc_lo, v6
	v_and_b32_e32 v4, v4, v7
	v_and_b32_e32 v36, v36, v6
	v_lshlrev_b32_e32 v7, 29, v35
	v_mov_b32_e32 v6, v5
	v_cmp_gt_i64_e32 vcc, 0, v[6:7]
	v_not_b32_e32 v6, v7
	v_ashrrev_i32_e32 v6, 31, v6
	v_xor_b32_e32 v7, vcc_hi, v6
	v_xor_b32_e32 v6, vcc_lo, v6
	v_and_b32_e32 v4, v4, v7
	v_and_b32_e32 v36, v36, v6
	v_lshlrev_b32_e32 v7, 28, v35
	v_mov_b32_e32 v6, v5
	v_cmp_gt_i64_e32 vcc, 0, v[6:7]
	v_not_b32_e32 v6, v7
	v_ashrrev_i32_e32 v6, 31, v6
	;; [unrolled: 9-line block ×6, first 2 shown]
	v_xor_b32_e32 v7, vcc_hi, v6
	v_xor_b32_e32 v6, vcc_lo, v6
	ds_read_b32 v33, v34 offset:64
	v_and_b32_e32 v6, v36, v6
	v_and_b32_e32 v7, v4, v7
	v_mbcnt_lo_u32_b32 v4, v6, 0
	v_mbcnt_hi_u32_b32 v35, v7, v4
	v_cmp_eq_u32_e32 vcc, 0, v35
	v_cmp_ne_u64_e64 s[4:5], 0, v[6:7]
	s_and_b64 s[6:7], s[4:5], vcc
	; wave barrier
	s_and_saveexec_b64 s[4:5], s[6:7]
	s_cbranch_execz .LBB1358_39
; %bb.38:
	v_bcnt_u32_b32 v4, v6, 0
	v_bcnt_u32_b32 v4, v7, v4
	s_waitcnt lgkmcnt(0)
	v_add_u32_e32 v4, v33, v4
	ds_write_b32 v34, v4 offset:64
.LBB1358_39:
	s_or_b64 exec, exec, s[4:5]
	v_lshrrev_b32_sdwa v4, s24, v11 dst_sel:DWORD dst_unused:UNUSED_PAD src0_sel:DWORD src1_sel:WORD_0
	v_and_b32_e32 v38, s33, v4
	v_mul_u32_u24_e32 v4, 17, v38
	v_add_lshl_u32 v37, v30, v4, 2
	v_and_b32_e32 v4, 1, v38
	v_lshl_add_u64 v[6:7], v[4:5], 0, -1
	v_cmp_ne_u32_e32 vcc, 0, v4
	; wave barrier
	s_nop 1
	v_xor_b32_e32 v6, vcc_lo, v6
	v_xor_b32_e32 v4, vcc_hi, v7
	v_and_b32_e32 v39, exec_lo, v6
	v_lshlrev_b32_e32 v7, 30, v38
	v_mov_b32_e32 v6, v5
	v_cmp_gt_i64_e32 vcc, 0, v[6:7]
	v_not_b32_e32 v6, v7
	v_ashrrev_i32_e32 v6, 31, v6
	v_and_b32_e32 v4, exec_hi, v4
	v_xor_b32_e32 v7, vcc_hi, v6
	v_xor_b32_e32 v6, vcc_lo, v6
	v_and_b32_e32 v4, v4, v7
	v_and_b32_e32 v39, v39, v6
	v_lshlrev_b32_e32 v7, 29, v38
	v_mov_b32_e32 v6, v5
	v_cmp_gt_i64_e32 vcc, 0, v[6:7]
	v_not_b32_e32 v6, v7
	v_ashrrev_i32_e32 v6, 31, v6
	v_xor_b32_e32 v7, vcc_hi, v6
	v_xor_b32_e32 v6, vcc_lo, v6
	v_and_b32_e32 v4, v4, v7
	v_and_b32_e32 v39, v39, v6
	v_lshlrev_b32_e32 v7, 28, v38
	v_mov_b32_e32 v6, v5
	v_cmp_gt_i64_e32 vcc, 0, v[6:7]
	v_not_b32_e32 v6, v7
	v_ashrrev_i32_e32 v6, 31, v6
	;; [unrolled: 9-line block ×5, first 2 shown]
	v_xor_b32_e32 v7, vcc_hi, v6
	v_xor_b32_e32 v6, vcc_lo, v6
	v_and_b32_e32 v4, v4, v7
	v_lshlrev_b32_e32 v7, 24, v38
	v_and_b32_e32 v39, v39, v6
	v_mov_b32_e32 v6, v5
	v_not_b32_e32 v5, v7
	v_cmp_gt_i64_e32 vcc, 0, v[6:7]
	v_ashrrev_i32_e32 v5, 31, v5
	ds_read_b32 v36, v37 offset:64
	v_xor_b32_e32 v6, vcc_hi, v5
	v_xor_b32_e32 v7, vcc_lo, v5
	v_and_b32_e32 v5, v4, v6
	v_and_b32_e32 v4, v39, v7
	v_mbcnt_lo_u32_b32 v6, v4, 0
	v_mbcnt_hi_u32_b32 v38, v5, v6
	v_cmp_eq_u32_e32 vcc, 0, v38
	v_cmp_ne_u64_e64 s[4:5], 0, v[4:5]
	s_and_b64 s[6:7], s[4:5], vcc
	; wave barrier
	s_and_saveexec_b64 s[4:5], s[6:7]
	s_cbranch_execz .LBB1358_41
; %bb.40:
	v_bcnt_u32_b32 v4, v4, 0
	v_bcnt_u32_b32 v4, v5, v4
	s_waitcnt lgkmcnt(0)
	v_add_u32_e32 v4, v36, v4
	ds_write_b32 v37, v4 offset:64
.LBB1358_41:
	s_or_b64 exec, exec, s[4:5]
	v_lshrrev_b32_sdwa v4, s24, v15 dst_sel:DWORD dst_unused:UNUSED_PAD src0_sel:DWORD src1_sel:WORD_0
	v_and_b32_e32 v41, s33, v4
	v_mul_u32_u24_e32 v4, 17, v41
	v_add_lshl_u32 v40, v30, v4, 2
	v_and_b32_e32 v4, 1, v41
	v_mov_b32_e32 v5, 0
	v_lshl_add_u64 v[6:7], v[4:5], 0, -1
	v_cmp_ne_u32_e32 vcc, 0, v4
	; wave barrier
	s_nop 1
	v_xor_b32_e32 v6, vcc_lo, v6
	v_xor_b32_e32 v4, vcc_hi, v7
	v_and_b32_e32 v42, exec_lo, v6
	v_lshlrev_b32_e32 v7, 30, v41
	v_mov_b32_e32 v6, v5
	v_cmp_gt_i64_e32 vcc, 0, v[6:7]
	v_not_b32_e32 v6, v7
	v_ashrrev_i32_e32 v6, 31, v6
	v_and_b32_e32 v4, exec_hi, v4
	v_xor_b32_e32 v7, vcc_hi, v6
	v_xor_b32_e32 v6, vcc_lo, v6
	v_and_b32_e32 v4, v4, v7
	v_and_b32_e32 v42, v42, v6
	v_lshlrev_b32_e32 v7, 29, v41
	v_mov_b32_e32 v6, v5
	v_cmp_gt_i64_e32 vcc, 0, v[6:7]
	v_not_b32_e32 v6, v7
	v_ashrrev_i32_e32 v6, 31, v6
	v_xor_b32_e32 v7, vcc_hi, v6
	v_xor_b32_e32 v6, vcc_lo, v6
	v_and_b32_e32 v4, v4, v7
	v_and_b32_e32 v42, v42, v6
	v_lshlrev_b32_e32 v7, 28, v41
	v_mov_b32_e32 v6, v5
	v_cmp_gt_i64_e32 vcc, 0, v[6:7]
	v_not_b32_e32 v6, v7
	v_ashrrev_i32_e32 v6, 31, v6
	;; [unrolled: 9-line block ×6, first 2 shown]
	v_xor_b32_e32 v7, vcc_hi, v6
	v_xor_b32_e32 v6, vcc_lo, v6
	ds_read_b32 v39, v40 offset:64
	v_and_b32_e32 v6, v42, v6
	v_and_b32_e32 v7, v4, v7
	v_mbcnt_lo_u32_b32 v4, v6, 0
	v_mbcnt_hi_u32_b32 v41, v7, v4
	v_cmp_eq_u32_e32 vcc, 0, v41
	v_cmp_ne_u64_e64 s[4:5], 0, v[6:7]
	s_and_b64 s[6:7], s[4:5], vcc
	; wave barrier
	s_and_saveexec_b64 s[4:5], s[6:7]
	s_cbranch_execz .LBB1358_43
; %bb.42:
	v_bcnt_u32_b32 v4, v6, 0
	v_bcnt_u32_b32 v4, v7, v4
	s_waitcnt lgkmcnt(0)
	v_add_u32_e32 v4, v39, v4
	ds_write_b32 v40, v4 offset:64
.LBB1358_43:
	s_or_b64 exec, exec, s[4:5]
	v_lshrrev_b32_sdwa v4, s24, v14 dst_sel:DWORD dst_unused:UNUSED_PAD src0_sel:DWORD src1_sel:WORD_0
	v_and_b32_e32 v44, s33, v4
	v_mul_u32_u24_e32 v4, 17, v44
	v_add_lshl_u32 v43, v30, v4, 2
	v_and_b32_e32 v4, 1, v44
	v_lshl_add_u64 v[6:7], v[4:5], 0, -1
	v_cmp_ne_u32_e32 vcc, 0, v4
	; wave barrier
	s_nop 1
	v_xor_b32_e32 v6, vcc_lo, v6
	v_xor_b32_e32 v4, vcc_hi, v7
	v_and_b32_e32 v45, exec_lo, v6
	v_lshlrev_b32_e32 v7, 30, v44
	v_mov_b32_e32 v6, v5
	v_cmp_gt_i64_e32 vcc, 0, v[6:7]
	v_not_b32_e32 v6, v7
	v_ashrrev_i32_e32 v6, 31, v6
	v_and_b32_e32 v4, exec_hi, v4
	v_xor_b32_e32 v7, vcc_hi, v6
	v_xor_b32_e32 v6, vcc_lo, v6
	v_and_b32_e32 v4, v4, v7
	v_and_b32_e32 v45, v45, v6
	v_lshlrev_b32_e32 v7, 29, v44
	v_mov_b32_e32 v6, v5
	v_cmp_gt_i64_e32 vcc, 0, v[6:7]
	v_not_b32_e32 v6, v7
	v_ashrrev_i32_e32 v6, 31, v6
	v_xor_b32_e32 v7, vcc_hi, v6
	v_xor_b32_e32 v6, vcc_lo, v6
	v_and_b32_e32 v4, v4, v7
	v_and_b32_e32 v45, v45, v6
	v_lshlrev_b32_e32 v7, 28, v44
	v_mov_b32_e32 v6, v5
	v_cmp_gt_i64_e32 vcc, 0, v[6:7]
	v_not_b32_e32 v6, v7
	v_ashrrev_i32_e32 v6, 31, v6
	;; [unrolled: 9-line block ×5, first 2 shown]
	v_xor_b32_e32 v7, vcc_hi, v6
	v_xor_b32_e32 v6, vcc_lo, v6
	v_and_b32_e32 v4, v4, v7
	v_lshlrev_b32_e32 v7, 24, v44
	v_and_b32_e32 v45, v45, v6
	v_mov_b32_e32 v6, v5
	v_not_b32_e32 v5, v7
	v_cmp_gt_i64_e32 vcc, 0, v[6:7]
	v_ashrrev_i32_e32 v5, 31, v5
	ds_read_b32 v42, v43 offset:64
	v_xor_b32_e32 v6, vcc_hi, v5
	v_xor_b32_e32 v7, vcc_lo, v5
	v_and_b32_e32 v5, v4, v6
	v_and_b32_e32 v4, v45, v7
	v_mbcnt_lo_u32_b32 v6, v4, 0
	v_mbcnt_hi_u32_b32 v44, v5, v6
	v_cmp_eq_u32_e32 vcc, 0, v44
	v_cmp_ne_u64_e64 s[4:5], 0, v[4:5]
	s_and_b64 s[6:7], s[4:5], vcc
	; wave barrier
	s_and_saveexec_b64 s[4:5], s[6:7]
	s_cbranch_execz .LBB1358_45
; %bb.44:
	v_bcnt_u32_b32 v4, v4, 0
	v_bcnt_u32_b32 v4, v5, v4
	s_waitcnt lgkmcnt(0)
	v_add_u32_e32 v4, v42, v4
	ds_write_b32 v43, v4 offset:64
.LBB1358_45:
	s_or_b64 exec, exec, s[4:5]
	v_lshrrev_b32_sdwa v4, s24, v17 dst_sel:DWORD dst_unused:UNUSED_PAD src0_sel:DWORD src1_sel:WORD_0
	v_and_b32_e32 v47, s33, v4
	v_mul_u32_u24_e32 v4, 17, v47
	v_add_lshl_u32 v46, v30, v4, 2
	v_and_b32_e32 v4, 1, v47
	v_mov_b32_e32 v5, 0
	v_lshl_add_u64 v[6:7], v[4:5], 0, -1
	v_cmp_ne_u32_e32 vcc, 0, v4
	; wave barrier
	s_nop 1
	v_xor_b32_e32 v6, vcc_lo, v6
	v_xor_b32_e32 v4, vcc_hi, v7
	v_and_b32_e32 v48, exec_lo, v6
	v_lshlrev_b32_e32 v7, 30, v47
	v_mov_b32_e32 v6, v5
	v_cmp_gt_i64_e32 vcc, 0, v[6:7]
	v_not_b32_e32 v6, v7
	v_ashrrev_i32_e32 v6, 31, v6
	v_and_b32_e32 v4, exec_hi, v4
	v_xor_b32_e32 v7, vcc_hi, v6
	v_xor_b32_e32 v6, vcc_lo, v6
	v_and_b32_e32 v4, v4, v7
	v_and_b32_e32 v48, v48, v6
	v_lshlrev_b32_e32 v7, 29, v47
	v_mov_b32_e32 v6, v5
	v_cmp_gt_i64_e32 vcc, 0, v[6:7]
	v_not_b32_e32 v6, v7
	v_ashrrev_i32_e32 v6, 31, v6
	v_xor_b32_e32 v7, vcc_hi, v6
	v_xor_b32_e32 v6, vcc_lo, v6
	v_and_b32_e32 v4, v4, v7
	v_and_b32_e32 v48, v48, v6
	v_lshlrev_b32_e32 v7, 28, v47
	v_mov_b32_e32 v6, v5
	v_cmp_gt_i64_e32 vcc, 0, v[6:7]
	v_not_b32_e32 v6, v7
	v_ashrrev_i32_e32 v6, 31, v6
	;; [unrolled: 9-line block ×6, first 2 shown]
	v_xor_b32_e32 v7, vcc_hi, v6
	v_xor_b32_e32 v6, vcc_lo, v6
	ds_read_b32 v45, v46 offset:64
	v_and_b32_e32 v6, v48, v6
	v_and_b32_e32 v7, v4, v7
	v_mbcnt_lo_u32_b32 v4, v6, 0
	v_mbcnt_hi_u32_b32 v47, v7, v4
	v_cmp_eq_u32_e32 vcc, 0, v47
	v_cmp_ne_u64_e64 s[4:5], 0, v[6:7]
	s_and_b64 s[6:7], s[4:5], vcc
	; wave barrier
	s_and_saveexec_b64 s[4:5], s[6:7]
	s_cbranch_execz .LBB1358_47
; %bb.46:
	v_bcnt_u32_b32 v4, v6, 0
	v_bcnt_u32_b32 v4, v7, v4
	s_waitcnt lgkmcnt(0)
	v_add_u32_e32 v4, v45, v4
	ds_write_b32 v46, v4 offset:64
.LBB1358_47:
	s_or_b64 exec, exec, s[4:5]
	v_lshrrev_b32_sdwa v4, s24, v16 dst_sel:DWORD dst_unused:UNUSED_PAD src0_sel:DWORD src1_sel:WORD_0
	v_and_b32_e32 v50, s33, v4
	v_mul_u32_u24_e32 v4, 17, v50
	v_add_lshl_u32 v49, v30, v4, 2
	v_and_b32_e32 v4, 1, v50
	v_lshl_add_u64 v[6:7], v[4:5], 0, -1
	v_cmp_ne_u32_e32 vcc, 0, v4
	; wave barrier
	s_nop 1
	v_xor_b32_e32 v6, vcc_lo, v6
	v_xor_b32_e32 v4, vcc_hi, v7
	v_and_b32_e32 v51, exec_lo, v6
	v_lshlrev_b32_e32 v7, 30, v50
	v_mov_b32_e32 v6, v5
	v_cmp_gt_i64_e32 vcc, 0, v[6:7]
	v_not_b32_e32 v6, v7
	v_ashrrev_i32_e32 v6, 31, v6
	v_and_b32_e32 v4, exec_hi, v4
	v_xor_b32_e32 v7, vcc_hi, v6
	v_xor_b32_e32 v6, vcc_lo, v6
	v_and_b32_e32 v4, v4, v7
	v_and_b32_e32 v51, v51, v6
	v_lshlrev_b32_e32 v7, 29, v50
	v_mov_b32_e32 v6, v5
	v_cmp_gt_i64_e32 vcc, 0, v[6:7]
	v_not_b32_e32 v6, v7
	v_ashrrev_i32_e32 v6, 31, v6
	v_xor_b32_e32 v7, vcc_hi, v6
	v_xor_b32_e32 v6, vcc_lo, v6
	v_and_b32_e32 v4, v4, v7
	v_and_b32_e32 v51, v51, v6
	v_lshlrev_b32_e32 v7, 28, v50
	v_mov_b32_e32 v6, v5
	v_cmp_gt_i64_e32 vcc, 0, v[6:7]
	v_not_b32_e32 v6, v7
	v_ashrrev_i32_e32 v6, 31, v6
	;; [unrolled: 9-line block ×5, first 2 shown]
	v_xor_b32_e32 v7, vcc_hi, v6
	v_xor_b32_e32 v6, vcc_lo, v6
	v_and_b32_e32 v4, v4, v7
	v_lshlrev_b32_e32 v7, 24, v50
	v_and_b32_e32 v51, v51, v6
	v_mov_b32_e32 v6, v5
	v_not_b32_e32 v5, v7
	v_cmp_gt_i64_e32 vcc, 0, v[6:7]
	v_ashrrev_i32_e32 v5, 31, v5
	ds_read_b32 v48, v49 offset:64
	v_xor_b32_e32 v6, vcc_hi, v5
	v_xor_b32_e32 v7, vcc_lo, v5
	v_and_b32_e32 v5, v4, v6
	v_and_b32_e32 v4, v51, v7
	v_mbcnt_lo_u32_b32 v6, v4, 0
	v_mbcnt_hi_u32_b32 v50, v5, v6
	v_cmp_eq_u32_e32 vcc, 0, v50
	v_cmp_ne_u64_e64 s[4:5], 0, v[4:5]
	s_and_b64 s[6:7], s[4:5], vcc
	; wave barrier
	s_and_saveexec_b64 s[4:5], s[6:7]
	s_cbranch_execz .LBB1358_49
; %bb.48:
	v_bcnt_u32_b32 v4, v4, 0
	v_bcnt_u32_b32 v4, v5, v4
	s_waitcnt lgkmcnt(0)
	v_add_u32_e32 v4, v48, v4
	ds_write_b32 v49, v4 offset:64
.LBB1358_49:
	s_or_b64 exec, exec, s[4:5]
	v_lshrrev_b32_sdwa v4, s24, v19 dst_sel:DWORD dst_unused:UNUSED_PAD src0_sel:DWORD src1_sel:WORD_0
	v_and_b32_e32 v53, s33, v4
	v_mul_u32_u24_e32 v4, 17, v53
	v_add_lshl_u32 v52, v30, v4, 2
	v_and_b32_e32 v4, 1, v53
	v_mov_b32_e32 v5, 0
	v_lshl_add_u64 v[6:7], v[4:5], 0, -1
	v_cmp_ne_u32_e32 vcc, 0, v4
	; wave barrier
	s_nop 1
	v_xor_b32_e32 v6, vcc_lo, v6
	v_xor_b32_e32 v4, vcc_hi, v7
	v_and_b32_e32 v54, exec_lo, v6
	v_lshlrev_b32_e32 v7, 30, v53
	v_mov_b32_e32 v6, v5
	v_cmp_gt_i64_e32 vcc, 0, v[6:7]
	v_not_b32_e32 v6, v7
	v_ashrrev_i32_e32 v6, 31, v6
	v_and_b32_e32 v4, exec_hi, v4
	v_xor_b32_e32 v7, vcc_hi, v6
	v_xor_b32_e32 v6, vcc_lo, v6
	v_and_b32_e32 v4, v4, v7
	v_and_b32_e32 v54, v54, v6
	v_lshlrev_b32_e32 v7, 29, v53
	v_mov_b32_e32 v6, v5
	v_cmp_gt_i64_e32 vcc, 0, v[6:7]
	v_not_b32_e32 v6, v7
	v_ashrrev_i32_e32 v6, 31, v6
	v_xor_b32_e32 v7, vcc_hi, v6
	v_xor_b32_e32 v6, vcc_lo, v6
	v_and_b32_e32 v4, v4, v7
	v_and_b32_e32 v54, v54, v6
	v_lshlrev_b32_e32 v7, 28, v53
	v_mov_b32_e32 v6, v5
	v_cmp_gt_i64_e32 vcc, 0, v[6:7]
	v_not_b32_e32 v6, v7
	v_ashrrev_i32_e32 v6, 31, v6
	;; [unrolled: 9-line block ×6, first 2 shown]
	v_xor_b32_e32 v7, vcc_hi, v6
	v_xor_b32_e32 v6, vcc_lo, v6
	ds_read_b32 v51, v52 offset:64
	v_and_b32_e32 v6, v54, v6
	v_and_b32_e32 v7, v4, v7
	v_mbcnt_lo_u32_b32 v4, v6, 0
	v_mbcnt_hi_u32_b32 v53, v7, v4
	v_cmp_eq_u32_e32 vcc, 0, v53
	v_cmp_ne_u64_e64 s[4:5], 0, v[6:7]
	s_and_b64 s[6:7], s[4:5], vcc
	; wave barrier
	s_and_saveexec_b64 s[4:5], s[6:7]
	s_cbranch_execz .LBB1358_51
; %bb.50:
	v_bcnt_u32_b32 v4, v6, 0
	v_bcnt_u32_b32 v4, v7, v4
	s_waitcnt lgkmcnt(0)
	v_add_u32_e32 v4, v51, v4
	ds_write_b32 v52, v4 offset:64
.LBB1358_51:
	s_or_b64 exec, exec, s[4:5]
	v_lshrrev_b32_sdwa v4, s24, v18 dst_sel:DWORD dst_unused:UNUSED_PAD src0_sel:DWORD src1_sel:WORD_0
	v_and_b32_e32 v56, s33, v4
	v_mul_u32_u24_e32 v4, 17, v56
	v_add_lshl_u32 v54, v30, v4, 2
	v_and_b32_e32 v4, 1, v56
	v_lshl_add_u64 v[6:7], v[4:5], 0, -1
	v_cmp_ne_u32_e32 vcc, 0, v4
	; wave barrier
	s_nop 1
	v_xor_b32_e32 v6, vcc_lo, v6
	v_xor_b32_e32 v4, vcc_hi, v7
	v_and_b32_e32 v57, exec_lo, v6
	v_lshlrev_b32_e32 v7, 30, v56
	v_mov_b32_e32 v6, v5
	v_cmp_gt_i64_e32 vcc, 0, v[6:7]
	v_not_b32_e32 v6, v7
	v_ashrrev_i32_e32 v6, 31, v6
	v_and_b32_e32 v4, exec_hi, v4
	v_xor_b32_e32 v7, vcc_hi, v6
	v_xor_b32_e32 v6, vcc_lo, v6
	v_and_b32_e32 v4, v4, v7
	v_and_b32_e32 v57, v57, v6
	v_lshlrev_b32_e32 v7, 29, v56
	v_mov_b32_e32 v6, v5
	v_cmp_gt_i64_e32 vcc, 0, v[6:7]
	v_not_b32_e32 v6, v7
	v_ashrrev_i32_e32 v6, 31, v6
	v_xor_b32_e32 v7, vcc_hi, v6
	v_xor_b32_e32 v6, vcc_lo, v6
	v_and_b32_e32 v4, v4, v7
	v_and_b32_e32 v57, v57, v6
	v_lshlrev_b32_e32 v7, 28, v56
	v_mov_b32_e32 v6, v5
	v_cmp_gt_i64_e32 vcc, 0, v[6:7]
	v_not_b32_e32 v6, v7
	v_ashrrev_i32_e32 v6, 31, v6
	;; [unrolled: 9-line block ×5, first 2 shown]
	v_xor_b32_e32 v7, vcc_hi, v6
	v_xor_b32_e32 v6, vcc_lo, v6
	v_and_b32_e32 v4, v4, v7
	v_lshlrev_b32_e32 v7, 24, v56
	v_and_b32_e32 v57, v57, v6
	v_mov_b32_e32 v6, v5
	v_not_b32_e32 v5, v7
	v_cmp_gt_i64_e32 vcc, 0, v[6:7]
	v_ashrrev_i32_e32 v5, 31, v5
	ds_read_b32 v30, v54 offset:64
	v_xor_b32_e32 v6, vcc_hi, v5
	v_xor_b32_e32 v7, vcc_lo, v5
	v_and_b32_e32 v5, v4, v6
	v_and_b32_e32 v4, v57, v7
	v_mbcnt_lo_u32_b32 v6, v4, 0
	v_mbcnt_hi_u32_b32 v56, v5, v6
	v_cmp_eq_u32_e32 vcc, 0, v56
	v_cmp_ne_u64_e64 s[4:5], 0, v[4:5]
	v_add_u32_e32 v55, 64, v20
	s_and_b64 s[6:7], s[4:5], vcc
	; wave barrier
	s_and_saveexec_b64 s[4:5], s[6:7]
	s_cbranch_execz .LBB1358_53
; %bb.52:
	v_bcnt_u32_b32 v4, v4, 0
	v_bcnt_u32_b32 v4, v5, v4
	s_waitcnt lgkmcnt(0)
	v_add_u32_e32 v4, v30, v4
	ds_write_b32 v54, v4 offset:64
.LBB1358_53:
	s_or_b64 exec, exec, s[4:5]
	; wave barrier
	s_waitcnt lgkmcnt(0)
	s_barrier
	ds_read2_b32 v[6:7], v20 offset0:16 offset1:17
	ds_read2_b32 v[4:5], v55 offset0:2 offset1:3
	ds_read_b32 v57, v55 offset:16
	v_cmp_lt_u32_e64 s[12:13], 31, v13
	s_waitcnt lgkmcnt(1)
	v_add3_u32 v58, v7, v6, v4
	s_waitcnt lgkmcnt(0)
	v_add3_u32 v57, v58, v5, v57
	v_and_b32_e32 v58, 15, v13
	v_cmp_eq_u32_e32 vcc, 0, v58
	v_mov_b32_dpp v59, v57 row_shr:1 row_mask:0xf bank_mask:0xf
	v_cmp_lt_u32_e64 s[4:5], 1, v58
	v_cndmask_b32_e64 v59, v59, 0, vcc
	v_add_u32_e32 v57, v59, v57
	v_cmp_lt_u32_e64 s[6:7], 3, v58
	v_cmp_lt_u32_e64 s[8:9], 7, v58
	v_mov_b32_dpp v59, v57 row_shr:2 row_mask:0xf bank_mask:0xf
	v_cndmask_b32_e64 v59, 0, v59, s[4:5]
	v_add_u32_e32 v57, v57, v59
	s_nop 1
	v_mov_b32_dpp v59, v57 row_shr:4 row_mask:0xf bank_mask:0xf
	v_cndmask_b32_e64 v59, 0, v59, s[6:7]
	v_add_u32_e32 v57, v57, v59
	s_nop 1
	v_mov_b32_dpp v59, v57 row_shr:8 row_mask:0xf bank_mask:0xf
	v_cndmask_b32_e64 v58, 0, v59, s[8:9]
	v_add_u32_e32 v57, v57, v58
	v_bfe_i32 v59, v13, 4, 1
	s_nop 0
	v_mov_b32_dpp v58, v57 row_bcast:15 row_mask:0xf bank_mask:0xf
	v_and_b32_e32 v58, v59, v58
	v_add_u32_e32 v57, v57, v58
	v_and_b32_e32 v59, 63, v2
	s_nop 0
	v_mov_b32_dpp v58, v57 row_bcast:31 row_mask:0xf bank_mask:0xf
	v_cndmask_b32_e64 v58, 0, v58, s[12:13]
	v_add_u32_e32 v57, v57, v58
	v_lshrrev_b32_e32 v58, 6, v2
	v_cmp_eq_u32_e64 s[12:13], 63, v59
	s_and_saveexec_b64 s[14:15], s[12:13]
	s_cbranch_execz .LBB1358_55
; %bb.54:
	v_lshlrev_b32_e32 v59, 2, v58
	ds_write_b32 v59, v57
.LBB1358_55:
	s_or_b64 exec, exec, s[14:15]
	v_cmp_gt_u32_e64 s[12:13], 16, v2
	s_waitcnt lgkmcnt(0)
	s_barrier
	s_and_saveexec_b64 s[14:15], s[12:13]
	s_cbranch_execz .LBB1358_57
; %bb.56:
	v_lshlrev_b32_e32 v59, 2, v2
	ds_read_b32 v60, v59
	s_waitcnt lgkmcnt(0)
	s_nop 0
	v_mov_b32_dpp v61, v60 row_shr:1 row_mask:0xf bank_mask:0xf
	v_cndmask_b32_e64 v61, v61, 0, vcc
	v_add_u32_e32 v60, v61, v60
	s_nop 1
	v_mov_b32_dpp v61, v60 row_shr:2 row_mask:0xf bank_mask:0xf
	v_cndmask_b32_e64 v61, 0, v61, s[4:5]
	v_add_u32_e32 v60, v60, v61
	s_nop 1
	v_mov_b32_dpp v61, v60 row_shr:4 row_mask:0xf bank_mask:0xf
	v_cndmask_b32_e64 v61, 0, v61, s[6:7]
	;; [unrolled: 4-line block ×3, first 2 shown]
	v_add_u32_e32 v60, v60, v61
	ds_write_b32 v59, v60
.LBB1358_57:
	s_or_b64 exec, exec, s[14:15]
	v_cmp_lt_u32_e32 vcc, 63, v2
	v_mov_b32_e32 v59, 0
	s_waitcnt lgkmcnt(0)
	s_barrier
	s_and_saveexec_b64 s[4:5], vcc
	s_cbranch_execz .LBB1358_59
; %bb.58:
	v_lshl_add_u32 v58, v58, 2, -4
	ds_read_b32 v59, v58
.LBB1358_59:
	s_or_b64 exec, exec, s[4:5]
	v_add_u32_e32 v58, -1, v13
	v_and_b32_e32 v60, 64, v13
	v_cmp_lt_i32_e32 vcc, v58, v60
	s_waitcnt lgkmcnt(0)
	v_add_u32_e32 v57, v59, v57
	s_movk_i32 s4, 0x100
	v_cndmask_b32_e32 v58, v58, v13, vcc
	v_lshlrev_b32_e32 v58, 2, v58
	ds_bpermute_b32 v57, v58, v57
	v_cmp_eq_u32_e32 vcc, 0, v13
	s_waitcnt lgkmcnt(0)
	s_nop 0
	v_cndmask_b32_e32 v13, v57, v59, vcc
	v_cndmask_b32_e64 v13, v13, 0, s[10:11]
	v_add_u32_e32 v6, v13, v6
	v_add_u32_e32 v7, v6, v7
	;; [unrolled: 1-line block ×4, first 2 shown]
	ds_write2_b32 v20, v13, v6 offset0:16 offset1:17
	ds_write2_b32 v55, v7, v4 offset0:2 offset1:3
	ds_write_b32 v55, v5 offset:16
	s_waitcnt lgkmcnt(0)
	s_barrier
	ds_read_b32 v59, v23 offset:64
	ds_read_b32 v58, v24 offset:64
	;; [unrolled: 1-line block ×12, first 2 shown]
	v_cmp_gt_u32_e32 vcc, s4, v2
                                        ; implicit-def: $vgpr13
                                        ; implicit-def: $vgpr20
	s_and_saveexec_b64 s[6:7], vcc
	s_cbranch_execz .LBB1358_63
; %bb.60:
	v_mul_u32_u24_e32 v13, 17, v2
	v_lshlrev_b32_e32 v34, 2, v13
	ds_read_b32 v13, v34 offset:64
	s_movk_i32 s4, 0xff
	v_cmp_ne_u32_e64 s[4:5], s4, v2
	v_mov_b32_e32 v20, 0x3000
	s_and_saveexec_b64 s[8:9], s[4:5]
	s_cbranch_execz .LBB1358_62
; %bb.61:
	ds_read_b32 v20, v34 offset:132
.LBB1358_62:
	s_or_b64 exec, exec, s[8:9]
	s_waitcnt lgkmcnt(0)
	v_sub_u32_e32 v20, v20, v13
.LBB1358_63:
	s_or_b64 exec, exec, s[6:7]
	v_add_u32_e32 v22, v25, v22
	s_waitcnt lgkmcnt(11)
	v_add_lshl_u32 v21, v59, v21, 1
	v_add_u32_e32 v26, v28, v26
	s_waitcnt lgkmcnt(0)
	s_barrier
	ds_write_b16 v21, v8 offset:1024
	v_add_lshl_u32 v8, v22, v58, 1
	v_add_u32_e32 v29, v32, v29
	ds_write_b16 v8, v3 offset:1024
	v_add_lshl_u32 v3, v26, v57, 1
	v_add_u32_e32 v33, v35, v33
	;; [unrolled: 3-line block ×9, first 2 shown]
	ds_write_b16 v3, v16 offset:1024
	v_add_lshl_u32 v3, v34, v5, 1
	ds_write_b16 v3, v19 offset:1024
	v_add_lshl_u32 v3, v30, v4, 1
	ds_write_b16 v3, v18 offset:1024
	s_and_saveexec_b64 s[6:7], vcc
	s_cbranch_execz .LBB1358_73
; %bb.64:
	v_lshl_or_b32 v6, s27, 8, v2
	v_mov_b32_e32 v7, 0
	v_lshl_add_u64 v[4:5], v[6:7], 2, s[18:19]
	v_or_b32_e32 v3, 2.0, v20
	global_store_dword v[4:5], v3, off sc1
	s_mov_b64 s[8:9], 0
	s_brev_b32 s16, 1
	s_mov_b32 s17, s27
	v_mov_b32_e32 v3, 0
                                        ; implicit-def: $sgpr4_sgpr5
	s_branch .LBB1358_66
.LBB1358_65:                            ;   in Loop: Header=BB1358_66 Depth=1
	s_or_b64 exec, exec, s[12:13]
	v_and_b32_e32 v8, 0x3fffffff, v10
	v_add_u32_e32 v3, v8, v3
	v_cmp_eq_u32_e64 s[4:5], s16, v6
	s_and_b64 s[12:13], exec, s[4:5]
	s_or_b64 s[8:9], s[12:13], s[8:9]
	s_andn2_b64 exec, exec, s[8:9]
	s_cbranch_execz .LBB1358_72
.LBB1358_66:                            ; =>This Loop Header: Depth=1
                                        ;     Child Loop BB1358_69 Depth 2
	s_or_b64 s[4:5], s[4:5], exec
	s_cmp_eq_u32 s17, 0
	s_cbranch_scc1 .LBB1358_71
; %bb.67:                               ;   in Loop: Header=BB1358_66 Depth=1
	s_add_i32 s17, s17, -1
	v_lshl_or_b32 v6, s17, 8, v2
	v_lshl_add_u64 v[8:9], v[6:7], 2, s[18:19]
	global_load_dword v10, v[8:9], off sc1
	s_waitcnt vmcnt(0)
	v_and_b32_e32 v6, -2.0, v10
	v_cmp_eq_u32_e64 s[4:5], 0, v6
	s_and_saveexec_b64 s[12:13], s[4:5]
	s_cbranch_execz .LBB1358_65
; %bb.68:                               ;   in Loop: Header=BB1358_66 Depth=1
	s_mov_b64 s[14:15], 0
.LBB1358_69:                            ;   Parent Loop BB1358_66 Depth=1
                                        ; =>  This Inner Loop Header: Depth=2
	global_load_dword v10, v[8:9], off sc1
	s_waitcnt vmcnt(0)
	v_and_b32_e32 v6, -2.0, v10
	v_cmp_ne_u32_e64 s[4:5], 0, v6
	s_or_b64 s[14:15], s[4:5], s[14:15]
	s_andn2_b64 exec, exec, s[14:15]
	s_cbranch_execnz .LBB1358_69
; %bb.70:                               ;   in Loop: Header=BB1358_66 Depth=1
	s_or_b64 exec, exec, s[14:15]
	s_branch .LBB1358_65
.LBB1358_71:                            ;   in Loop: Header=BB1358_66 Depth=1
                                        ; implicit-def: $sgpr17
	s_and_b64 s[12:13], exec, s[4:5]
	s_or_b64 s[8:9], s[12:13], s[8:9]
	s_andn2_b64 exec, exec, s[8:9]
	s_cbranch_execnz .LBB1358_66
.LBB1358_72:
	s_or_b64 exec, exec, s[8:9]
	v_add_u32_e32 v6, v3, v20
	v_or_b32_e32 v6, 0x80000000, v6
	global_store_dword v[4:5], v6, off sc1
	v_lshlrev_b32_e32 v4, 2, v2
	global_load_dword v5, v4, s[20:21]
	v_sub_u32_e32 v3, v3, v13
	s_waitcnt vmcnt(0)
	v_add_u32_e32 v3, v3, v5
	ds_write_b32 v4, v3
.LBB1358_73:
	s_or_b64 exec, exec, s[6:7]
	v_cmp_gt_u32_e64 s[4:5], s3, v2
	s_waitcnt lgkmcnt(0)
	s_barrier
	s_and_saveexec_b64 s[6:7], s[4:5]
	s_cbranch_execz .LBB1358_75
; %bb.74:
	v_lshlrev_b32_e32 v3, 1, v2
	ds_read_u16 v3, v3 offset:1024
	v_mov_b32_e32 v5, 0
	s_waitcnt lgkmcnt(0)
	v_lshrrev_b32_sdwa v4, s24, v3 dst_sel:DWORD dst_unused:UNUSED_PAD src0_sel:DWORD src1_sel:WORD_0
	v_and_b32_e32 v4, s33, v4
	v_lshlrev_b32_e32 v4, 2, v4
	ds_read_b32 v4, v4
	s_waitcnt lgkmcnt(0)
	v_add_u32_e32 v4, v4, v2
	v_lshl_add_u64 v[4:5], v[4:5], 1, s[30:31]
	global_store_short v[4:5], v3, off
.LBB1358_75:
	s_or_b64 exec, exec, s[6:7]
	v_or_b32_e32 v3, 0x400, v2
	v_cmp_gt_u32_e64 s[4:5], s3, v3
	s_and_saveexec_b64 s[6:7], s[4:5]
	s_cbranch_execz .LBB1358_77
; %bb.76:
	v_lshlrev_b32_e32 v4, 1, v2
	ds_read_u16 v6, v4 offset:3072
	v_mov_b32_e32 v5, 0
	s_waitcnt lgkmcnt(0)
	v_lshrrev_b32_sdwa v4, s24, v6 dst_sel:DWORD dst_unused:UNUSED_PAD src0_sel:DWORD src1_sel:WORD_0
	v_and_b32_e32 v4, s33, v4
	v_lshlrev_b32_e32 v4, 2, v4
	ds_read_b32 v4, v4
	s_waitcnt lgkmcnt(0)
	v_add_u32_e32 v4, v4, v3
	v_lshl_add_u64 v[4:5], v[4:5], 1, s[30:31]
	global_store_short v[4:5], v6, off
.LBB1358_77:
	s_or_b64 exec, exec, s[6:7]
	v_or_b32_e32 v3, 0x800, v2
	v_cmp_gt_u32_e64 s[4:5], s3, v3
	;; [unrolled: 19-line block ×11, first 2 shown]
	s_and_saveexec_b64 s[6:7], s[4:5]
	s_cbranch_execz .LBB1358_97
; %bb.96:
	v_lshlrev_b32_e32 v4, 1, v2
	ds_read_u16 v6, v4 offset:23552
	v_mov_b32_e32 v5, 0
	s_waitcnt lgkmcnt(0)
	v_lshrrev_b32_sdwa v4, s24, v6 dst_sel:DWORD dst_unused:UNUSED_PAD src0_sel:DWORD src1_sel:WORD_0
	v_and_b32_e32 v4, s33, v4
	v_lshlrev_b32_e32 v4, 2, v4
	ds_read_b32 v4, v4
	s_waitcnt lgkmcnt(0)
	v_add_u32_e32 v4, v4, v3
	v_lshl_add_u64 v[4:5], v[4:5], 1, s[30:31]
	global_store_short v[4:5], v6, off
.LBB1358_97:
	s_or_b64 exec, exec, s[6:7]
	s_add_i32 s26, s26, -1
	s_cmp_eq_u32 s26, s27
	s_cselect_b64 s[4:5], -1, 0
	s_and_b64 s[6:7], vcc, s[4:5]
	s_mov_b64 s[4:5], 0
	s_mov_b64 s[8:9], 0
                                        ; implicit-def: $vgpr4
	s_and_saveexec_b64 s[12:13], s[6:7]
	s_xor_b64 s[6:7], exec, s[12:13]
; %bb.98:
	s_mov_b64 s[8:9], exec
	v_add_u32_e32 v4, v13, v20
	v_mov_b32_e32 v3, 0
; %bb.99:
	s_or_b64 exec, exec, s[6:7]
	s_and_b64 vcc, exec, s[4:5]
	s_cbranch_vccnz .LBB1358_101
	s_branch .LBB1358_150
.LBB1358_100:
	s_mov_b64 s[8:9], 0
                                        ; implicit-def: $vgpr4
	s_cbranch_execz .LBB1358_150
.LBB1358_101:
	s_mov_b32 s35, 0
	s_lshl_b64 s[4:5], s[34:35], 1
	v_mbcnt_hi_u32_b32 v6, -1, v1
	s_add_u32 s4, s28, s4
	v_and_b32_e32 v1, 63, v6
	v_and_b32_e32 v3, 0x3c0, v2
	s_addc_u32 s5, s29, s5
	v_mov_b32_e32 v5, 0
	v_mul_u32_u24_e32 v3, 12, v3
	v_lshlrev_b32_e32 v4, 1, v1
	v_lshl_add_u64 v[8:9], s[4:5], 0, v[4:5]
	v_lshlrev_b32_e32 v4, 1, v3
	v_lshl_add_u64 v[20:21], v[8:9], 0, v[4:5]
	global_load_ushort v3, v[20:21], off
	s_load_dword s3, s[0:1], 0x64
	s_load_dword s14, s[0:1], 0x58
	s_add_u32 s0, s0, 0x58
	s_addc_u32 s1, s1, 0
	v_bfe_u32 v1, v0, 10, 10
	s_waitcnt lgkmcnt(0)
	s_lshr_b32 s3, s3, 16
	s_cmp_lt_u32 s2, s14
	s_cselect_b32 s2, 12, 18
	s_add_u32 s0, s0, s2
	s_addc_u32 s1, s1, 0
	global_load_ushort v19, v5, s[0:1]
	v_bfe_u32 v4, v0, 20, 10
	v_mul_u32_u24_e32 v0, 5, v2
	v_lshlrev_b32_e32 v18, 2, v0
	ds_write2_b32 v18, v5, v5 offset0:16 offset1:17
	ds_write2_b32 v18, v5, v5 offset0:18 offset1:19
	ds_write_b32 v18, v5 offset:80
	global_load_ushort v17, v[20:21], off offset:128
	global_load_ushort v16, v[20:21], off offset:256
	global_load_ushort v15, v[20:21], off offset:384
	global_load_ushort v14, v[20:21], off offset:512
	global_load_ushort v13, v[20:21], off offset:640
	global_load_ushort v12, v[20:21], off offset:768
	global_load_ushort v11, v[20:21], off offset:896
	global_load_ushort v10, v[20:21], off offset:1024
	global_load_ushort v9, v[20:21], off offset:1152
	global_load_ushort v8, v[20:21], off offset:1280
	global_load_ushort v7, v[20:21], off offset:1408
	s_lshl_b32 s0, -1, s25
	v_mad_u32_u24 v28, v4, s3, v1
	s_not_b32 s15, s0
	v_mov_b32_e32 v0, v5
	v_mov_b32_e32 v22, v5
	;; [unrolled: 1-line block ×4, first 2 shown]
	s_waitcnt lgkmcnt(0)
	s_barrier
	s_waitcnt lgkmcnt(0)
	; wave barrier
	s_waitcnt vmcnt(12)
	v_lshrrev_b32_sdwa v1, s24, v3 dst_sel:DWORD dst_unused:UNUSED_PAD src0_sel:DWORD src1_sel:WORD_0
	v_and_b32_e32 v29, s15, v1
	v_and_b32_e32 v4, 1, v29
	v_lshlrev_b32_e32 v1, 30, v29
	v_lshlrev_b32_e32 v23, 29, v29
	v_lshl_add_u64 v[20:21], v[4:5], 0, -1
	v_cmp_ne_u32_e32 vcc, 0, v4
	v_cmp_gt_i64_e64 s[0:1], 0, v[0:1]
	v_not_b32_e32 v4, v1
	v_lshlrev_b32_e32 v25, 28, v29
	s_waitcnt vmcnt(11)
	v_mad_u64_u32 v[0:1], s[12:13], v28, v19, v[2:3]
	v_lshlrev_b32_e32 v27, 27, v29
	v_cmp_gt_i64_e64 s[2:3], 0, v[22:23]
	v_not_b32_e32 v22, v23
	v_xor_b32_e32 v1, vcc_hi, v21
	v_xor_b32_e32 v19, vcc_lo, v20
	v_ashrrev_i32_e32 v4, 31, v4
	v_cmp_gt_i64_e64 s[4:5], 0, v[24:25]
	v_not_b32_e32 v23, v25
	v_cmp_gt_i64_e64 s[6:7], 0, v[26:27]
	v_not_b32_e32 v24, v27
	v_ashrrev_i32_e32 v20, 31, v22
	v_lshrrev_b32_e32 v27, 6, v0
	v_and_b32_e32 v0, exec_hi, v1
	v_and_b32_e32 v1, exec_lo, v19
	v_xor_b32_e32 v19, s1, v4
	v_xor_b32_e32 v4, s0, v4
	v_ashrrev_i32_e32 v21, 31, v23
	v_ashrrev_i32_e32 v22, 31, v24
	v_xor_b32_e32 v23, s3, v20
	v_xor_b32_e32 v24, s2, v20
	v_and_b32_e32 v0, v0, v19
	v_and_b32_e32 v1, v1, v4
	v_xor_b32_e32 v25, s5, v21
	v_xor_b32_e32 v21, s4, v21
	v_and_b32_e32 v0, v0, v23
	v_and_b32_e32 v1, v1, v24
	v_xor_b32_e32 v26, s7, v22
	v_and_b32_e32 v0, v0, v25
	v_and_b32_e32 v1, v1, v21
	;; [unrolled: 3-line block ×3, first 2 shown]
	v_lshlrev_b32_e32 v1, 26, v29
	v_mov_b32_e32 v0, v5
	v_cmp_gt_i64_e32 vcc, 0, v[0:1]
	v_not_b32_e32 v0, v1
	v_ashrrev_i32_e32 v0, 31, v0
	v_xor_b32_e32 v1, vcc_hi, v0
	v_xor_b32_e32 v0, vcc_lo, v0
	v_and_b32_e32 v19, v19, v1
	v_and_b32_e32 v4, v4, v0
	v_lshlrev_b32_e32 v1, 25, v29
	v_mov_b32_e32 v0, v5
	v_cmp_gt_i64_e32 vcc, 0, v[0:1]
	v_not_b32_e32 v0, v1
	v_ashrrev_i32_e32 v0, 31, v0
	v_xor_b32_e32 v1, vcc_hi, v0
	v_xor_b32_e32 v0, vcc_lo, v0
	v_and_b32_e32 v19, v19, v1
	v_and_b32_e32 v4, v4, v0
	;; [unrolled: 9-line block ×3, first 2 shown]
	v_mbcnt_lo_u32_b32 v4, v0, 0
	v_mbcnt_hi_u32_b32 v19, v1, v4
	v_mul_u32_u24_e32 v30, 17, v29
	v_cmp_eq_u32_e32 vcc, 0, v19
	v_cmp_ne_u64_e64 s[0:1], 0, v[0:1]
	v_add_lshl_u32 v20, v27, v30, 2
	s_and_b64 s[2:3], s[0:1], vcc
	s_and_saveexec_b64 s[0:1], s[2:3]
	s_cbranch_execz .LBB1358_103
; %bb.102:
	v_bcnt_u32_b32 v0, v0, 0
	v_bcnt_u32_b32 v0, v1, v0
	ds_write_b32 v20, v0 offset:64
.LBB1358_103:
	s_or_b64 exec, exec, s[0:1]
	s_waitcnt vmcnt(10)
	v_lshrrev_b32_sdwa v0, s24, v17 dst_sel:DWORD dst_unused:UNUSED_PAD src0_sel:DWORD src1_sel:WORD_0
	v_and_b32_e32 v23, s15, v0
	v_mul_u32_u24_e32 v0, 17, v23
	v_and_b32_e32 v4, 1, v23
	v_add_lshl_u32 v22, v27, v0, 2
	v_lshl_add_u64 v[0:1], v[4:5], 0, -1
	v_cmp_ne_u32_e32 vcc, 0, v4
	; wave barrier
	s_nop 1
	v_xor_b32_e32 v1, vcc_hi, v1
	v_xor_b32_e32 v0, vcc_lo, v0
	v_and_b32_e32 v4, exec_hi, v1
	v_and_b32_e32 v24, exec_lo, v0
	v_lshlrev_b32_e32 v1, 30, v23
	v_mov_b32_e32 v0, v5
	v_cmp_gt_i64_e32 vcc, 0, v[0:1]
	v_not_b32_e32 v0, v1
	v_ashrrev_i32_e32 v0, 31, v0
	v_xor_b32_e32 v1, vcc_hi, v0
	v_xor_b32_e32 v0, vcc_lo, v0
	v_and_b32_e32 v4, v4, v1
	v_and_b32_e32 v24, v24, v0
	v_lshlrev_b32_e32 v1, 29, v23
	v_mov_b32_e32 v0, v5
	v_cmp_gt_i64_e32 vcc, 0, v[0:1]
	v_not_b32_e32 v0, v1
	v_ashrrev_i32_e32 v0, 31, v0
	v_xor_b32_e32 v1, vcc_hi, v0
	v_xor_b32_e32 v0, vcc_lo, v0
	v_and_b32_e32 v4, v4, v1
	v_and_b32_e32 v24, v24, v0
	;; [unrolled: 9-line block ×6, first 2 shown]
	v_lshlrev_b32_e32 v1, 24, v23
	v_mov_b32_e32 v0, v5
	v_cmp_gt_i64_e32 vcc, 0, v[0:1]
	v_not_b32_e32 v0, v1
	v_ashrrev_i32_e32 v0, 31, v0
	v_xor_b32_e32 v1, vcc_hi, v0
	v_xor_b32_e32 v0, vcc_lo, v0
	ds_read_b32 v21, v22 offset:64
	v_and_b32_e32 v0, v24, v0
	v_and_b32_e32 v1, v4, v1
	v_mbcnt_lo_u32_b32 v4, v0, 0
	v_mbcnt_hi_u32_b32 v23, v1, v4
	v_cmp_eq_u32_e32 vcc, 0, v23
	v_cmp_ne_u64_e64 s[0:1], 0, v[0:1]
	s_and_b64 s[2:3], s[0:1], vcc
	; wave barrier
	s_and_saveexec_b64 s[0:1], s[2:3]
	s_cbranch_execz .LBB1358_105
; %bb.104:
	v_bcnt_u32_b32 v0, v0, 0
	v_bcnt_u32_b32 v0, v1, v0
	s_waitcnt lgkmcnt(0)
	v_add_u32_e32 v0, v21, v0
	ds_write_b32 v22, v0 offset:64
.LBB1358_105:
	s_or_b64 exec, exec, s[0:1]
	s_waitcnt vmcnt(9)
	v_lshrrev_b32_sdwa v0, s24, v16 dst_sel:DWORD dst_unused:UNUSED_PAD src0_sel:DWORD src1_sel:WORD_0
	v_and_b32_e32 v26, s15, v0
	v_mul_u32_u24_e32 v0, 17, v26
	v_add_lshl_u32 v25, v27, v0, 2
	v_and_b32_e32 v0, 1, v26
	v_mov_b32_e32 v1, 0
	v_lshl_add_u64 v[4:5], v[0:1], 0, -1
	v_cmp_ne_u32_e32 vcc, 0, v0
	; wave barrier
	s_nop 1
	v_xor_b32_e32 v4, vcc_lo, v4
	v_xor_b32_e32 v0, vcc_hi, v5
	v_and_b32_e32 v28, exec_lo, v4
	v_lshlrev_b32_e32 v5, 30, v26
	v_mov_b32_e32 v4, v1
	v_cmp_gt_i64_e32 vcc, 0, v[4:5]
	v_not_b32_e32 v4, v5
	v_ashrrev_i32_e32 v4, 31, v4
	v_and_b32_e32 v0, exec_hi, v0
	v_xor_b32_e32 v5, vcc_hi, v4
	v_xor_b32_e32 v4, vcc_lo, v4
	v_and_b32_e32 v0, v0, v5
	v_and_b32_e32 v28, v28, v4
	v_lshlrev_b32_e32 v5, 29, v26
	v_mov_b32_e32 v4, v1
	v_cmp_gt_i64_e32 vcc, 0, v[4:5]
	v_not_b32_e32 v4, v5
	v_ashrrev_i32_e32 v4, 31, v4
	v_xor_b32_e32 v5, vcc_hi, v4
	v_xor_b32_e32 v4, vcc_lo, v4
	v_and_b32_e32 v0, v0, v5
	v_and_b32_e32 v28, v28, v4
	v_lshlrev_b32_e32 v5, 28, v26
	v_mov_b32_e32 v4, v1
	v_cmp_gt_i64_e32 vcc, 0, v[4:5]
	v_not_b32_e32 v4, v5
	v_ashrrev_i32_e32 v4, 31, v4
	;; [unrolled: 9-line block ×6, first 2 shown]
	v_xor_b32_e32 v5, vcc_hi, v4
	v_xor_b32_e32 v4, vcc_lo, v4
	ds_read_b32 v24, v25 offset:64
	v_and_b32_e32 v4, v28, v4
	v_and_b32_e32 v5, v0, v5
	v_mbcnt_lo_u32_b32 v0, v4, 0
	v_mbcnt_hi_u32_b32 v26, v5, v0
	v_cmp_eq_u32_e32 vcc, 0, v26
	v_cmp_ne_u64_e64 s[0:1], 0, v[4:5]
	s_and_b64 s[2:3], s[0:1], vcc
	; wave barrier
	s_and_saveexec_b64 s[0:1], s[2:3]
	s_cbranch_execz .LBB1358_107
; %bb.106:
	v_bcnt_u32_b32 v0, v4, 0
	v_bcnt_u32_b32 v0, v5, v0
	s_waitcnt lgkmcnt(0)
	v_add_u32_e32 v0, v24, v0
	ds_write_b32 v25, v0 offset:64
.LBB1358_107:
	s_or_b64 exec, exec, s[0:1]
	s_waitcnt vmcnt(8)
	v_lshrrev_b32_sdwa v0, s24, v15 dst_sel:DWORD dst_unused:UNUSED_PAD src0_sel:DWORD src1_sel:WORD_0
	v_and_b32_e32 v30, s15, v0
	v_mul_u32_u24_e32 v0, 17, v30
	v_add_lshl_u32 v29, v27, v0, 2
	v_and_b32_e32 v0, 1, v30
	v_lshl_add_u64 v[4:5], v[0:1], 0, -1
	v_cmp_ne_u32_e32 vcc, 0, v0
	; wave barrier
	s_nop 1
	v_xor_b32_e32 v4, vcc_lo, v4
	v_xor_b32_e32 v0, vcc_hi, v5
	v_and_b32_e32 v31, exec_lo, v4
	v_lshlrev_b32_e32 v5, 30, v30
	v_mov_b32_e32 v4, v1
	v_cmp_gt_i64_e32 vcc, 0, v[4:5]
	v_not_b32_e32 v4, v5
	v_ashrrev_i32_e32 v4, 31, v4
	v_and_b32_e32 v0, exec_hi, v0
	v_xor_b32_e32 v5, vcc_hi, v4
	v_xor_b32_e32 v4, vcc_lo, v4
	v_and_b32_e32 v0, v0, v5
	v_and_b32_e32 v31, v31, v4
	v_lshlrev_b32_e32 v5, 29, v30
	v_mov_b32_e32 v4, v1
	v_cmp_gt_i64_e32 vcc, 0, v[4:5]
	v_not_b32_e32 v4, v5
	v_ashrrev_i32_e32 v4, 31, v4
	v_xor_b32_e32 v5, vcc_hi, v4
	v_xor_b32_e32 v4, vcc_lo, v4
	v_and_b32_e32 v0, v0, v5
	v_and_b32_e32 v31, v31, v4
	v_lshlrev_b32_e32 v5, 28, v30
	v_mov_b32_e32 v4, v1
	v_cmp_gt_i64_e32 vcc, 0, v[4:5]
	v_not_b32_e32 v4, v5
	v_ashrrev_i32_e32 v4, 31, v4
	;; [unrolled: 9-line block ×5, first 2 shown]
	v_xor_b32_e32 v5, vcc_hi, v4
	v_xor_b32_e32 v4, vcc_lo, v4
	v_and_b32_e32 v0, v0, v5
	v_lshlrev_b32_e32 v5, 24, v30
	v_and_b32_e32 v31, v31, v4
	v_mov_b32_e32 v4, v1
	v_not_b32_e32 v1, v5
	v_cmp_gt_i64_e32 vcc, 0, v[4:5]
	v_ashrrev_i32_e32 v1, 31, v1
	ds_read_b32 v28, v29 offset:64
	v_xor_b32_e32 v4, vcc_hi, v1
	v_xor_b32_e32 v5, vcc_lo, v1
	v_and_b32_e32 v1, v0, v4
	v_and_b32_e32 v0, v31, v5
	v_mbcnt_lo_u32_b32 v4, v0, 0
	v_mbcnt_hi_u32_b32 v30, v1, v4
	v_cmp_eq_u32_e32 vcc, 0, v30
	v_cmp_ne_u64_e64 s[0:1], 0, v[0:1]
	s_and_b64 s[2:3], s[0:1], vcc
	; wave barrier
	s_and_saveexec_b64 s[0:1], s[2:3]
	s_cbranch_execz .LBB1358_109
; %bb.108:
	v_bcnt_u32_b32 v0, v0, 0
	v_bcnt_u32_b32 v0, v1, v0
	s_waitcnt lgkmcnt(0)
	v_add_u32_e32 v0, v28, v0
	ds_write_b32 v29, v0 offset:64
.LBB1358_109:
	s_or_b64 exec, exec, s[0:1]
	s_waitcnt vmcnt(7)
	v_lshrrev_b32_sdwa v0, s24, v14 dst_sel:DWORD dst_unused:UNUSED_PAD src0_sel:DWORD src1_sel:WORD_0
	v_and_b32_e32 v33, s15, v0
	v_mul_u32_u24_e32 v0, 17, v33
	v_add_lshl_u32 v32, v27, v0, 2
	v_and_b32_e32 v0, 1, v33
	v_mov_b32_e32 v1, 0
	v_lshl_add_u64 v[4:5], v[0:1], 0, -1
	v_cmp_ne_u32_e32 vcc, 0, v0
	; wave barrier
	s_nop 1
	v_xor_b32_e32 v4, vcc_lo, v4
	v_xor_b32_e32 v0, vcc_hi, v5
	v_and_b32_e32 v34, exec_lo, v4
	v_lshlrev_b32_e32 v5, 30, v33
	v_mov_b32_e32 v4, v1
	v_cmp_gt_i64_e32 vcc, 0, v[4:5]
	v_not_b32_e32 v4, v5
	v_ashrrev_i32_e32 v4, 31, v4
	v_and_b32_e32 v0, exec_hi, v0
	v_xor_b32_e32 v5, vcc_hi, v4
	v_xor_b32_e32 v4, vcc_lo, v4
	v_and_b32_e32 v0, v0, v5
	v_and_b32_e32 v34, v34, v4
	v_lshlrev_b32_e32 v5, 29, v33
	v_mov_b32_e32 v4, v1
	v_cmp_gt_i64_e32 vcc, 0, v[4:5]
	v_not_b32_e32 v4, v5
	v_ashrrev_i32_e32 v4, 31, v4
	v_xor_b32_e32 v5, vcc_hi, v4
	v_xor_b32_e32 v4, vcc_lo, v4
	v_and_b32_e32 v0, v0, v5
	v_and_b32_e32 v34, v34, v4
	v_lshlrev_b32_e32 v5, 28, v33
	v_mov_b32_e32 v4, v1
	v_cmp_gt_i64_e32 vcc, 0, v[4:5]
	v_not_b32_e32 v4, v5
	v_ashrrev_i32_e32 v4, 31, v4
	;; [unrolled: 9-line block ×6, first 2 shown]
	v_xor_b32_e32 v5, vcc_hi, v4
	v_xor_b32_e32 v4, vcc_lo, v4
	ds_read_b32 v31, v32 offset:64
	v_and_b32_e32 v4, v34, v4
	v_and_b32_e32 v5, v0, v5
	v_mbcnt_lo_u32_b32 v0, v4, 0
	v_mbcnt_hi_u32_b32 v33, v5, v0
	v_cmp_eq_u32_e32 vcc, 0, v33
	v_cmp_ne_u64_e64 s[0:1], 0, v[4:5]
	s_and_b64 s[2:3], s[0:1], vcc
	; wave barrier
	s_and_saveexec_b64 s[0:1], s[2:3]
	s_cbranch_execz .LBB1358_111
; %bb.110:
	v_bcnt_u32_b32 v0, v4, 0
	v_bcnt_u32_b32 v0, v5, v0
	s_waitcnt lgkmcnt(0)
	v_add_u32_e32 v0, v31, v0
	ds_write_b32 v32, v0 offset:64
.LBB1358_111:
	s_or_b64 exec, exec, s[0:1]
	s_waitcnt vmcnt(6)
	v_lshrrev_b32_sdwa v0, s24, v13 dst_sel:DWORD dst_unused:UNUSED_PAD src0_sel:DWORD src1_sel:WORD_0
	v_and_b32_e32 v36, s15, v0
	v_mul_u32_u24_e32 v0, 17, v36
	v_add_lshl_u32 v35, v27, v0, 2
	v_and_b32_e32 v0, 1, v36
	v_lshl_add_u64 v[4:5], v[0:1], 0, -1
	v_cmp_ne_u32_e32 vcc, 0, v0
	; wave barrier
	s_nop 1
	v_xor_b32_e32 v4, vcc_lo, v4
	v_xor_b32_e32 v0, vcc_hi, v5
	v_and_b32_e32 v37, exec_lo, v4
	v_lshlrev_b32_e32 v5, 30, v36
	v_mov_b32_e32 v4, v1
	v_cmp_gt_i64_e32 vcc, 0, v[4:5]
	v_not_b32_e32 v4, v5
	v_ashrrev_i32_e32 v4, 31, v4
	v_and_b32_e32 v0, exec_hi, v0
	v_xor_b32_e32 v5, vcc_hi, v4
	v_xor_b32_e32 v4, vcc_lo, v4
	v_and_b32_e32 v0, v0, v5
	v_and_b32_e32 v37, v37, v4
	v_lshlrev_b32_e32 v5, 29, v36
	v_mov_b32_e32 v4, v1
	v_cmp_gt_i64_e32 vcc, 0, v[4:5]
	v_not_b32_e32 v4, v5
	v_ashrrev_i32_e32 v4, 31, v4
	v_xor_b32_e32 v5, vcc_hi, v4
	v_xor_b32_e32 v4, vcc_lo, v4
	v_and_b32_e32 v0, v0, v5
	v_and_b32_e32 v37, v37, v4
	v_lshlrev_b32_e32 v5, 28, v36
	v_mov_b32_e32 v4, v1
	v_cmp_gt_i64_e32 vcc, 0, v[4:5]
	v_not_b32_e32 v4, v5
	v_ashrrev_i32_e32 v4, 31, v4
	;; [unrolled: 9-line block ×5, first 2 shown]
	v_xor_b32_e32 v5, vcc_hi, v4
	v_xor_b32_e32 v4, vcc_lo, v4
	v_and_b32_e32 v0, v0, v5
	v_lshlrev_b32_e32 v5, 24, v36
	v_and_b32_e32 v37, v37, v4
	v_mov_b32_e32 v4, v1
	v_not_b32_e32 v1, v5
	v_cmp_gt_i64_e32 vcc, 0, v[4:5]
	v_ashrrev_i32_e32 v1, 31, v1
	ds_read_b32 v34, v35 offset:64
	v_xor_b32_e32 v4, vcc_hi, v1
	v_xor_b32_e32 v5, vcc_lo, v1
	v_and_b32_e32 v1, v0, v4
	v_and_b32_e32 v0, v37, v5
	v_mbcnt_lo_u32_b32 v4, v0, 0
	v_mbcnt_hi_u32_b32 v36, v1, v4
	v_cmp_eq_u32_e32 vcc, 0, v36
	v_cmp_ne_u64_e64 s[0:1], 0, v[0:1]
	s_and_b64 s[2:3], s[0:1], vcc
	; wave barrier
	s_and_saveexec_b64 s[0:1], s[2:3]
	s_cbranch_execz .LBB1358_113
; %bb.112:
	v_bcnt_u32_b32 v0, v0, 0
	v_bcnt_u32_b32 v0, v1, v0
	s_waitcnt lgkmcnt(0)
	v_add_u32_e32 v0, v34, v0
	ds_write_b32 v35, v0 offset:64
.LBB1358_113:
	s_or_b64 exec, exec, s[0:1]
	s_waitcnt vmcnt(5)
	v_lshrrev_b32_sdwa v0, s24, v12 dst_sel:DWORD dst_unused:UNUSED_PAD src0_sel:DWORD src1_sel:WORD_0
	v_and_b32_e32 v39, s15, v0
	v_mul_u32_u24_e32 v0, 17, v39
	v_add_lshl_u32 v38, v27, v0, 2
	v_and_b32_e32 v0, 1, v39
	v_mov_b32_e32 v1, 0
	v_lshl_add_u64 v[4:5], v[0:1], 0, -1
	v_cmp_ne_u32_e32 vcc, 0, v0
	; wave barrier
	s_nop 1
	v_xor_b32_e32 v4, vcc_lo, v4
	v_xor_b32_e32 v0, vcc_hi, v5
	v_and_b32_e32 v40, exec_lo, v4
	v_lshlrev_b32_e32 v5, 30, v39
	v_mov_b32_e32 v4, v1
	v_cmp_gt_i64_e32 vcc, 0, v[4:5]
	v_not_b32_e32 v4, v5
	v_ashrrev_i32_e32 v4, 31, v4
	v_and_b32_e32 v0, exec_hi, v0
	v_xor_b32_e32 v5, vcc_hi, v4
	v_xor_b32_e32 v4, vcc_lo, v4
	v_and_b32_e32 v0, v0, v5
	v_and_b32_e32 v40, v40, v4
	v_lshlrev_b32_e32 v5, 29, v39
	v_mov_b32_e32 v4, v1
	v_cmp_gt_i64_e32 vcc, 0, v[4:5]
	v_not_b32_e32 v4, v5
	v_ashrrev_i32_e32 v4, 31, v4
	v_xor_b32_e32 v5, vcc_hi, v4
	v_xor_b32_e32 v4, vcc_lo, v4
	v_and_b32_e32 v0, v0, v5
	v_and_b32_e32 v40, v40, v4
	v_lshlrev_b32_e32 v5, 28, v39
	v_mov_b32_e32 v4, v1
	v_cmp_gt_i64_e32 vcc, 0, v[4:5]
	v_not_b32_e32 v4, v5
	v_ashrrev_i32_e32 v4, 31, v4
	;; [unrolled: 9-line block ×6, first 2 shown]
	v_xor_b32_e32 v5, vcc_hi, v4
	v_xor_b32_e32 v4, vcc_lo, v4
	ds_read_b32 v37, v38 offset:64
	v_and_b32_e32 v4, v40, v4
	v_and_b32_e32 v5, v0, v5
	v_mbcnt_lo_u32_b32 v0, v4, 0
	v_mbcnt_hi_u32_b32 v39, v5, v0
	v_cmp_eq_u32_e32 vcc, 0, v39
	v_cmp_ne_u64_e64 s[0:1], 0, v[4:5]
	s_and_b64 s[2:3], s[0:1], vcc
	; wave barrier
	s_and_saveexec_b64 s[0:1], s[2:3]
	s_cbranch_execz .LBB1358_115
; %bb.114:
	v_bcnt_u32_b32 v0, v4, 0
	v_bcnt_u32_b32 v0, v5, v0
	s_waitcnt lgkmcnt(0)
	v_add_u32_e32 v0, v37, v0
	ds_write_b32 v38, v0 offset:64
.LBB1358_115:
	s_or_b64 exec, exec, s[0:1]
	s_waitcnt vmcnt(4)
	v_lshrrev_b32_sdwa v0, s24, v11 dst_sel:DWORD dst_unused:UNUSED_PAD src0_sel:DWORD src1_sel:WORD_0
	v_and_b32_e32 v42, s15, v0
	v_mul_u32_u24_e32 v0, 17, v42
	v_add_lshl_u32 v41, v27, v0, 2
	v_and_b32_e32 v0, 1, v42
	v_lshl_add_u64 v[4:5], v[0:1], 0, -1
	v_cmp_ne_u32_e32 vcc, 0, v0
	; wave barrier
	s_nop 1
	v_xor_b32_e32 v4, vcc_lo, v4
	v_xor_b32_e32 v0, vcc_hi, v5
	v_and_b32_e32 v43, exec_lo, v4
	v_lshlrev_b32_e32 v5, 30, v42
	v_mov_b32_e32 v4, v1
	v_cmp_gt_i64_e32 vcc, 0, v[4:5]
	v_not_b32_e32 v4, v5
	v_ashrrev_i32_e32 v4, 31, v4
	v_and_b32_e32 v0, exec_hi, v0
	v_xor_b32_e32 v5, vcc_hi, v4
	v_xor_b32_e32 v4, vcc_lo, v4
	v_and_b32_e32 v0, v0, v5
	v_and_b32_e32 v43, v43, v4
	v_lshlrev_b32_e32 v5, 29, v42
	v_mov_b32_e32 v4, v1
	v_cmp_gt_i64_e32 vcc, 0, v[4:5]
	v_not_b32_e32 v4, v5
	v_ashrrev_i32_e32 v4, 31, v4
	v_xor_b32_e32 v5, vcc_hi, v4
	v_xor_b32_e32 v4, vcc_lo, v4
	v_and_b32_e32 v0, v0, v5
	v_and_b32_e32 v43, v43, v4
	v_lshlrev_b32_e32 v5, 28, v42
	v_mov_b32_e32 v4, v1
	v_cmp_gt_i64_e32 vcc, 0, v[4:5]
	v_not_b32_e32 v4, v5
	v_ashrrev_i32_e32 v4, 31, v4
	;; [unrolled: 9-line block ×5, first 2 shown]
	v_xor_b32_e32 v5, vcc_hi, v4
	v_xor_b32_e32 v4, vcc_lo, v4
	v_and_b32_e32 v0, v0, v5
	v_lshlrev_b32_e32 v5, 24, v42
	v_and_b32_e32 v43, v43, v4
	v_mov_b32_e32 v4, v1
	v_not_b32_e32 v1, v5
	v_cmp_gt_i64_e32 vcc, 0, v[4:5]
	v_ashrrev_i32_e32 v1, 31, v1
	ds_read_b32 v40, v41 offset:64
	v_xor_b32_e32 v4, vcc_hi, v1
	v_xor_b32_e32 v5, vcc_lo, v1
	v_and_b32_e32 v1, v0, v4
	v_and_b32_e32 v0, v43, v5
	v_mbcnt_lo_u32_b32 v4, v0, 0
	v_mbcnt_hi_u32_b32 v42, v1, v4
	v_cmp_eq_u32_e32 vcc, 0, v42
	v_cmp_ne_u64_e64 s[0:1], 0, v[0:1]
	s_and_b64 s[2:3], s[0:1], vcc
	; wave barrier
	s_and_saveexec_b64 s[0:1], s[2:3]
	s_cbranch_execz .LBB1358_117
; %bb.116:
	v_bcnt_u32_b32 v0, v0, 0
	v_bcnt_u32_b32 v0, v1, v0
	s_waitcnt lgkmcnt(0)
	v_add_u32_e32 v0, v40, v0
	ds_write_b32 v41, v0 offset:64
.LBB1358_117:
	s_or_b64 exec, exec, s[0:1]
	s_waitcnt vmcnt(3)
	v_lshrrev_b32_sdwa v0, s24, v10 dst_sel:DWORD dst_unused:UNUSED_PAD src0_sel:DWORD src1_sel:WORD_0
	v_and_b32_e32 v45, s15, v0
	v_mul_u32_u24_e32 v0, 17, v45
	v_add_lshl_u32 v44, v27, v0, 2
	v_and_b32_e32 v0, 1, v45
	v_mov_b32_e32 v1, 0
	v_lshl_add_u64 v[4:5], v[0:1], 0, -1
	v_cmp_ne_u32_e32 vcc, 0, v0
	; wave barrier
	s_nop 1
	v_xor_b32_e32 v4, vcc_lo, v4
	v_xor_b32_e32 v0, vcc_hi, v5
	v_and_b32_e32 v46, exec_lo, v4
	v_lshlrev_b32_e32 v5, 30, v45
	v_mov_b32_e32 v4, v1
	v_cmp_gt_i64_e32 vcc, 0, v[4:5]
	v_not_b32_e32 v4, v5
	v_ashrrev_i32_e32 v4, 31, v4
	v_and_b32_e32 v0, exec_hi, v0
	v_xor_b32_e32 v5, vcc_hi, v4
	v_xor_b32_e32 v4, vcc_lo, v4
	v_and_b32_e32 v0, v0, v5
	v_and_b32_e32 v46, v46, v4
	v_lshlrev_b32_e32 v5, 29, v45
	v_mov_b32_e32 v4, v1
	v_cmp_gt_i64_e32 vcc, 0, v[4:5]
	v_not_b32_e32 v4, v5
	v_ashrrev_i32_e32 v4, 31, v4
	v_xor_b32_e32 v5, vcc_hi, v4
	v_xor_b32_e32 v4, vcc_lo, v4
	v_and_b32_e32 v0, v0, v5
	v_and_b32_e32 v46, v46, v4
	v_lshlrev_b32_e32 v5, 28, v45
	v_mov_b32_e32 v4, v1
	v_cmp_gt_i64_e32 vcc, 0, v[4:5]
	v_not_b32_e32 v4, v5
	v_ashrrev_i32_e32 v4, 31, v4
	v_xor_b32_e32 v5, vcc_hi, v4
	v_xor_b32_e32 v4, vcc_lo, v4
	v_and_b32_e32 v0, v0, v5
	v_and_b32_e32 v46, v46, v4
	v_lshlrev_b32_e32 v5, 27, v45
	v_mov_b32_e32 v4, v1
	v_cmp_gt_i64_e32 vcc, 0, v[4:5]
	v_not_b32_e32 v4, v5
	v_ashrrev_i32_e32 v4, 31, v4
	v_xor_b32_e32 v5, vcc_hi, v4
	v_xor_b32_e32 v4, vcc_lo, v4
	v_and_b32_e32 v0, v0, v5
	v_and_b32_e32 v46, v46, v4
	v_lshlrev_b32_e32 v5, 26, v45
	v_mov_b32_e32 v4, v1
	v_cmp_gt_i64_e32 vcc, 0, v[4:5]
	v_not_b32_e32 v4, v5
	v_ashrrev_i32_e32 v4, 31, v4
	v_xor_b32_e32 v5, vcc_hi, v4
	v_xor_b32_e32 v4, vcc_lo, v4
	v_and_b32_e32 v0, v0, v5
	v_and_b32_e32 v46, v46, v4
	v_lshlrev_b32_e32 v5, 25, v45
	v_mov_b32_e32 v4, v1
	v_cmp_gt_i64_e32 vcc, 0, v[4:5]
	v_not_b32_e32 v4, v5
	v_ashrrev_i32_e32 v4, 31, v4
	v_xor_b32_e32 v5, vcc_hi, v4
	v_xor_b32_e32 v4, vcc_lo, v4
	v_and_b32_e32 v0, v0, v5
	v_and_b32_e32 v46, v46, v4
	v_lshlrev_b32_e32 v5, 24, v45
	v_mov_b32_e32 v4, v1
	v_cmp_gt_i64_e32 vcc, 0, v[4:5]
	v_not_b32_e32 v4, v5
	v_ashrrev_i32_e32 v4, 31, v4
	v_xor_b32_e32 v5, vcc_hi, v4
	v_xor_b32_e32 v4, vcc_lo, v4
	ds_read_b32 v43, v44 offset:64
	v_and_b32_e32 v4, v46, v4
	v_and_b32_e32 v5, v0, v5
	v_mbcnt_lo_u32_b32 v0, v4, 0
	v_mbcnt_hi_u32_b32 v45, v5, v0
	v_cmp_eq_u32_e32 vcc, 0, v45
	v_cmp_ne_u64_e64 s[0:1], 0, v[4:5]
	s_and_b64 s[2:3], s[0:1], vcc
	; wave barrier
	s_and_saveexec_b64 s[0:1], s[2:3]
	s_cbranch_execz .LBB1358_119
; %bb.118:
	v_bcnt_u32_b32 v0, v4, 0
	v_bcnt_u32_b32 v0, v5, v0
	s_waitcnt lgkmcnt(0)
	v_add_u32_e32 v0, v43, v0
	ds_write_b32 v44, v0 offset:64
.LBB1358_119:
	s_or_b64 exec, exec, s[0:1]
	s_waitcnt vmcnt(2)
	v_lshrrev_b32_sdwa v0, s24, v9 dst_sel:DWORD dst_unused:UNUSED_PAD src0_sel:DWORD src1_sel:WORD_0
	v_and_b32_e32 v48, s15, v0
	v_mul_u32_u24_e32 v0, 17, v48
	v_add_lshl_u32 v47, v27, v0, 2
	v_and_b32_e32 v0, 1, v48
	v_lshl_add_u64 v[4:5], v[0:1], 0, -1
	v_cmp_ne_u32_e32 vcc, 0, v0
	; wave barrier
	s_nop 1
	v_xor_b32_e32 v4, vcc_lo, v4
	v_xor_b32_e32 v0, vcc_hi, v5
	v_and_b32_e32 v49, exec_lo, v4
	v_lshlrev_b32_e32 v5, 30, v48
	v_mov_b32_e32 v4, v1
	v_cmp_gt_i64_e32 vcc, 0, v[4:5]
	v_not_b32_e32 v4, v5
	v_ashrrev_i32_e32 v4, 31, v4
	v_and_b32_e32 v0, exec_hi, v0
	v_xor_b32_e32 v5, vcc_hi, v4
	v_xor_b32_e32 v4, vcc_lo, v4
	v_and_b32_e32 v0, v0, v5
	v_and_b32_e32 v49, v49, v4
	v_lshlrev_b32_e32 v5, 29, v48
	v_mov_b32_e32 v4, v1
	v_cmp_gt_i64_e32 vcc, 0, v[4:5]
	v_not_b32_e32 v4, v5
	v_ashrrev_i32_e32 v4, 31, v4
	v_xor_b32_e32 v5, vcc_hi, v4
	v_xor_b32_e32 v4, vcc_lo, v4
	v_and_b32_e32 v0, v0, v5
	v_and_b32_e32 v49, v49, v4
	v_lshlrev_b32_e32 v5, 28, v48
	v_mov_b32_e32 v4, v1
	v_cmp_gt_i64_e32 vcc, 0, v[4:5]
	v_not_b32_e32 v4, v5
	v_ashrrev_i32_e32 v4, 31, v4
	;; [unrolled: 9-line block ×5, first 2 shown]
	v_xor_b32_e32 v5, vcc_hi, v4
	v_xor_b32_e32 v4, vcc_lo, v4
	v_and_b32_e32 v0, v0, v5
	v_lshlrev_b32_e32 v5, 24, v48
	v_and_b32_e32 v49, v49, v4
	v_mov_b32_e32 v4, v1
	v_not_b32_e32 v1, v5
	v_cmp_gt_i64_e32 vcc, 0, v[4:5]
	v_ashrrev_i32_e32 v1, 31, v1
	ds_read_b32 v46, v47 offset:64
	v_xor_b32_e32 v4, vcc_hi, v1
	v_xor_b32_e32 v5, vcc_lo, v1
	v_and_b32_e32 v1, v0, v4
	v_and_b32_e32 v0, v49, v5
	v_mbcnt_lo_u32_b32 v4, v0, 0
	v_mbcnt_hi_u32_b32 v48, v1, v4
	v_cmp_eq_u32_e32 vcc, 0, v48
	v_cmp_ne_u64_e64 s[0:1], 0, v[0:1]
	s_and_b64 s[2:3], s[0:1], vcc
	; wave barrier
	s_and_saveexec_b64 s[0:1], s[2:3]
	s_cbranch_execz .LBB1358_121
; %bb.120:
	v_bcnt_u32_b32 v0, v0, 0
	v_bcnt_u32_b32 v0, v1, v0
	s_waitcnt lgkmcnt(0)
	v_add_u32_e32 v0, v46, v0
	ds_write_b32 v47, v0 offset:64
.LBB1358_121:
	s_or_b64 exec, exec, s[0:1]
	s_waitcnt vmcnt(1)
	v_lshrrev_b32_sdwa v0, s24, v8 dst_sel:DWORD dst_unused:UNUSED_PAD src0_sel:DWORD src1_sel:WORD_0
	v_and_b32_e32 v51, s15, v0
	v_mul_u32_u24_e32 v0, 17, v51
	v_add_lshl_u32 v50, v27, v0, 2
	v_and_b32_e32 v0, 1, v51
	v_mov_b32_e32 v1, 0
	v_lshl_add_u64 v[4:5], v[0:1], 0, -1
	v_cmp_ne_u32_e32 vcc, 0, v0
	; wave barrier
	s_nop 1
	v_xor_b32_e32 v4, vcc_lo, v4
	v_xor_b32_e32 v0, vcc_hi, v5
	v_and_b32_e32 v52, exec_lo, v4
	v_lshlrev_b32_e32 v5, 30, v51
	v_mov_b32_e32 v4, v1
	v_cmp_gt_i64_e32 vcc, 0, v[4:5]
	v_not_b32_e32 v4, v5
	v_ashrrev_i32_e32 v4, 31, v4
	v_and_b32_e32 v0, exec_hi, v0
	v_xor_b32_e32 v5, vcc_hi, v4
	v_xor_b32_e32 v4, vcc_lo, v4
	v_and_b32_e32 v0, v0, v5
	v_and_b32_e32 v52, v52, v4
	v_lshlrev_b32_e32 v5, 29, v51
	v_mov_b32_e32 v4, v1
	v_cmp_gt_i64_e32 vcc, 0, v[4:5]
	v_not_b32_e32 v4, v5
	v_ashrrev_i32_e32 v4, 31, v4
	v_xor_b32_e32 v5, vcc_hi, v4
	v_xor_b32_e32 v4, vcc_lo, v4
	v_and_b32_e32 v0, v0, v5
	v_and_b32_e32 v52, v52, v4
	v_lshlrev_b32_e32 v5, 28, v51
	v_mov_b32_e32 v4, v1
	v_cmp_gt_i64_e32 vcc, 0, v[4:5]
	v_not_b32_e32 v4, v5
	v_ashrrev_i32_e32 v4, 31, v4
	;; [unrolled: 9-line block ×6, first 2 shown]
	v_xor_b32_e32 v5, vcc_hi, v4
	v_xor_b32_e32 v4, vcc_lo, v4
	ds_read_b32 v49, v50 offset:64
	v_and_b32_e32 v4, v52, v4
	v_and_b32_e32 v5, v0, v5
	v_mbcnt_lo_u32_b32 v0, v4, 0
	v_mbcnt_hi_u32_b32 v51, v5, v0
	v_cmp_eq_u32_e32 vcc, 0, v51
	v_cmp_ne_u64_e64 s[0:1], 0, v[4:5]
	s_and_b64 s[2:3], s[0:1], vcc
	; wave barrier
	s_and_saveexec_b64 s[0:1], s[2:3]
	s_cbranch_execz .LBB1358_123
; %bb.122:
	v_bcnt_u32_b32 v0, v4, 0
	v_bcnt_u32_b32 v0, v5, v0
	s_waitcnt lgkmcnt(0)
	v_add_u32_e32 v0, v49, v0
	ds_write_b32 v50, v0 offset:64
.LBB1358_123:
	s_or_b64 exec, exec, s[0:1]
	s_waitcnt vmcnt(0)
	v_lshrrev_b32_sdwa v0, s24, v7 dst_sel:DWORD dst_unused:UNUSED_PAD src0_sel:DWORD src1_sel:WORD_0
	v_and_b32_e32 v55, s15, v0
	v_mul_u32_u24_e32 v0, 17, v55
	v_add_lshl_u32 v53, v27, v0, 2
	v_and_b32_e32 v0, 1, v55
	v_lshl_add_u64 v[4:5], v[0:1], 0, -1
	v_cmp_ne_u32_e32 vcc, 0, v0
	; wave barrier
	s_nop 1
	v_xor_b32_e32 v4, vcc_lo, v4
	v_xor_b32_e32 v0, vcc_hi, v5
	v_and_b32_e32 v27, exec_lo, v4
	v_lshlrev_b32_e32 v5, 30, v55
	v_mov_b32_e32 v4, v1
	v_cmp_gt_i64_e32 vcc, 0, v[4:5]
	v_not_b32_e32 v4, v5
	v_ashrrev_i32_e32 v4, 31, v4
	v_and_b32_e32 v0, exec_hi, v0
	v_xor_b32_e32 v5, vcc_hi, v4
	v_xor_b32_e32 v4, vcc_lo, v4
	v_and_b32_e32 v0, v0, v5
	v_and_b32_e32 v27, v27, v4
	v_lshlrev_b32_e32 v5, 29, v55
	v_mov_b32_e32 v4, v1
	v_cmp_gt_i64_e32 vcc, 0, v[4:5]
	v_not_b32_e32 v4, v5
	v_ashrrev_i32_e32 v4, 31, v4
	v_xor_b32_e32 v5, vcc_hi, v4
	v_xor_b32_e32 v4, vcc_lo, v4
	v_and_b32_e32 v0, v0, v5
	v_and_b32_e32 v27, v27, v4
	v_lshlrev_b32_e32 v5, 28, v55
	v_mov_b32_e32 v4, v1
	v_cmp_gt_i64_e32 vcc, 0, v[4:5]
	v_not_b32_e32 v4, v5
	v_ashrrev_i32_e32 v4, 31, v4
	;; [unrolled: 9-line block ×5, first 2 shown]
	v_xor_b32_e32 v5, vcc_hi, v4
	v_xor_b32_e32 v4, vcc_lo, v4
	v_and_b32_e32 v0, v0, v5
	v_lshlrev_b32_e32 v5, 24, v55
	v_and_b32_e32 v27, v27, v4
	v_mov_b32_e32 v4, v1
	v_not_b32_e32 v1, v5
	v_cmp_gt_i64_e32 vcc, 0, v[4:5]
	v_ashrrev_i32_e32 v1, 31, v1
	ds_read_b32 v52, v53 offset:64
	v_xor_b32_e32 v4, vcc_hi, v1
	v_xor_b32_e32 v5, vcc_lo, v1
	v_and_b32_e32 v1, v0, v4
	v_and_b32_e32 v0, v27, v5
	v_mbcnt_lo_u32_b32 v4, v0, 0
	v_mbcnt_hi_u32_b32 v55, v1, v4
	v_cmp_eq_u32_e32 vcc, 0, v55
	v_cmp_ne_u64_e64 s[0:1], 0, v[0:1]
	v_add_u32_e32 v54, 64, v18
	s_and_b64 s[2:3], s[0:1], vcc
	; wave barrier
	s_and_saveexec_b64 s[0:1], s[2:3]
	s_cbranch_execz .LBB1358_125
; %bb.124:
	v_bcnt_u32_b32 v0, v0, 0
	v_bcnt_u32_b32 v0, v1, v0
	s_waitcnt lgkmcnt(0)
	v_add_u32_e32 v0, v52, v0
	ds_write_b32 v53, v0 offset:64
.LBB1358_125:
	s_or_b64 exec, exec, s[0:1]
	; wave barrier
	s_waitcnt lgkmcnt(0)
	s_barrier
	ds_read2_b32 v[4:5], v18 offset0:16 offset1:17
	ds_read2_b32 v[0:1], v54 offset0:2 offset1:3
	ds_read_b32 v27, v54 offset:16
	v_cmp_lt_u32_e64 s[2:3], 31, v6
	s_waitcnt lgkmcnt(1)
	v_add3_u32 v56, v5, v4, v0
	s_waitcnt lgkmcnt(0)
	v_add3_u32 v27, v56, v1, v27
	v_and_b32_e32 v56, 15, v6
	v_cmp_eq_u32_e32 vcc, 0, v56
	v_mov_b32_dpp v57, v27 row_shr:1 row_mask:0xf bank_mask:0xf
	v_cmp_lt_u32_e64 s[0:1], 1, v56
	v_cndmask_b32_e64 v57, v57, 0, vcc
	v_add_u32_e32 v27, v57, v27
	v_cmp_lt_u32_e64 s[4:5], 3, v56
	v_cmp_lt_u32_e64 s[6:7], 7, v56
	v_mov_b32_dpp v57, v27 row_shr:2 row_mask:0xf bank_mask:0xf
	v_cndmask_b32_e64 v57, 0, v57, s[0:1]
	v_add_u32_e32 v27, v27, v57
	s_nop 1
	v_mov_b32_dpp v57, v27 row_shr:4 row_mask:0xf bank_mask:0xf
	v_cndmask_b32_e64 v57, 0, v57, s[4:5]
	v_add_u32_e32 v27, v27, v57
	s_nop 1
	v_mov_b32_dpp v57, v27 row_shr:8 row_mask:0xf bank_mask:0xf
	v_cndmask_b32_e64 v56, 0, v57, s[6:7]
	v_add_u32_e32 v27, v27, v56
	v_bfe_i32 v57, v6, 4, 1
	s_nop 0
	v_mov_b32_dpp v56, v27 row_bcast:15 row_mask:0xf bank_mask:0xf
	v_and_b32_e32 v56, v57, v56
	v_add_u32_e32 v27, v27, v56
	v_lshrrev_b32_e32 v57, 6, v2
	s_nop 0
	v_mov_b32_dpp v56, v27 row_bcast:31 row_mask:0xf bank_mask:0xf
	v_cndmask_b32_e64 v56, 0, v56, s[2:3]
	v_add_u32_e32 v56, v27, v56
	v_and_b32_e32 v27, 63, v2
	v_cmp_eq_u32_e64 s[2:3], 63, v27
	s_and_saveexec_b64 s[12:13], s[2:3]
	s_cbranch_execz .LBB1358_127
; %bb.126:
	v_lshlrev_b32_e32 v27, 2, v57
	ds_write_b32 v27, v56
.LBB1358_127:
	s_or_b64 exec, exec, s[12:13]
	v_cmp_gt_u32_e64 s[2:3], 16, v2
	v_lshlrev_b32_e32 v27, 2, v2
	s_waitcnt lgkmcnt(0)
	s_barrier
	s_and_saveexec_b64 s[12:13], s[2:3]
	s_cbranch_execz .LBB1358_129
; %bb.128:
	ds_read_b32 v58, v27
	s_waitcnt lgkmcnt(0)
	s_nop 0
	v_mov_b32_dpp v59, v58 row_shr:1 row_mask:0xf bank_mask:0xf
	v_cndmask_b32_e64 v59, v59, 0, vcc
	v_add_u32_e32 v58, v59, v58
	s_nop 1
	v_mov_b32_dpp v59, v58 row_shr:2 row_mask:0xf bank_mask:0xf
	v_cndmask_b32_e64 v59, 0, v59, s[0:1]
	v_add_u32_e32 v58, v58, v59
	s_nop 1
	v_mov_b32_dpp v59, v58 row_shr:4 row_mask:0xf bank_mask:0xf
	v_cndmask_b32_e64 v59, 0, v59, s[4:5]
	;; [unrolled: 4-line block ×3, first 2 shown]
	v_add_u32_e32 v58, v58, v59
	ds_write_b32 v27, v58
.LBB1358_129:
	s_or_b64 exec, exec, s[12:13]
	v_cmp_lt_u32_e32 vcc, 63, v2
	v_mov_b32_e32 v58, 0
	s_waitcnt lgkmcnt(0)
	s_barrier
	s_and_saveexec_b64 s[0:1], vcc
	s_cbranch_execz .LBB1358_131
; %bb.130:
	v_lshl_add_u32 v57, v57, 2, -4
	ds_read_b32 v58, v57
.LBB1358_131:
	s_or_b64 exec, exec, s[0:1]
	v_add_u32_e32 v57, -1, v6
	v_and_b32_e32 v59, 64, v6
	v_cmp_lt_i32_e32 vcc, v57, v59
	s_waitcnt lgkmcnt(0)
	v_add_u32_e32 v56, v58, v56
	s_movk_i32 s2, 0xff
	v_cndmask_b32_e32 v57, v57, v6, vcc
	v_lshlrev_b32_e32 v57, 2, v57
	ds_bpermute_b32 v56, v57, v56
	v_cmp_eq_u32_e32 vcc, 0, v6
	s_movk_i32 s3, 0x100
	v_cmp_lt_u32_e64 s[0:1], s2, v2
	s_waitcnt lgkmcnt(0)
	v_cndmask_b32_e32 v6, v56, v58, vcc
	v_cndmask_b32_e64 v6, v6, 0, s[10:11]
	v_add_u32_e32 v4, v6, v4
	v_add_u32_e32 v5, v4, v5
	;; [unrolled: 1-line block ×4, first 2 shown]
	ds_write2_b32 v18, v6, v4 offset0:16 offset1:17
	ds_write2_b32 v54, v5, v0 offset0:2 offset1:3
	ds_write_b32 v54, v1 offset:16
	s_waitcnt lgkmcnt(0)
	s_barrier
	ds_read_b32 v58, v20 offset:64
	ds_read_b32 v57, v22 offset:64
	;; [unrolled: 1-line block ×12, first 2 shown]
	v_cmp_gt_u32_e32 vcc, s3, v2
                                        ; implicit-def: $vgpr18
                                        ; implicit-def: $vgpr20
	s_and_saveexec_b64 s[4:5], vcc
	s_cbranch_execz .LBB1358_135
; %bb.132:
	v_mul_u32_u24_e32 v18, 17, v2
	v_lshlrev_b32_e32 v32, 2, v18
	ds_read_b32 v18, v32 offset:64
	v_cmp_ne_u32_e64 s[2:3], s2, v2
	v_mov_b32_e32 v20, 0x3000
	s_and_saveexec_b64 s[6:7], s[2:3]
	s_cbranch_execz .LBB1358_134
; %bb.133:
	ds_read_b32 v20, v32 offset:132
.LBB1358_134:
	s_or_b64 exec, exec, s[6:7]
	s_waitcnt lgkmcnt(0)
	v_sub_u32_e32 v20, v20, v18
.LBB1358_135:
	s_or_b64 exec, exec, s[4:5]
	v_add_u32_e32 v21, v23, v21
	s_waitcnt lgkmcnt(11)
	v_add_lshl_u32 v19, v58, v19, 1
	v_add_u32_e32 v24, v26, v24
	s_waitcnt lgkmcnt(0)
	s_barrier
	ds_write_b16 v19, v3 offset:1024
	v_add_lshl_u32 v3, v21, v57, 1
	v_add_u32_e32 v28, v30, v28
	ds_write_b16 v3, v17 offset:1024
	v_add_lshl_u32 v3, v24, v56, 1
	v_add_u32_e32 v31, v33, v31
	;; [unrolled: 3-line block ×7, first 2 shown]
	v_add_u32_e32 v35, v51, v49
	v_add_u32_e32 v38, v48, v46
	ds_write_b16 v3, v11 offset:1024
	v_add_lshl_u32 v3, v41, v5, 1
	ds_write_b16 v3, v10 offset:1024
	v_add_lshl_u32 v3, v38, v4, 1
	v_add_lshl_u32 v1, v35, v1, 1
	;; [unrolled: 1-line block ×3, first 2 shown]
	ds_write_b16 v3, v9 offset:1024
	ds_write_b16 v1, v8 offset:1024
	ds_write_b16 v0, v7 offset:1024
	s_and_saveexec_b64 s[2:3], s[0:1]
	s_xor_b64 s[0:1], exec, s[2:3]
; %bb.136:
	v_mov_b32_e32 v3, 0
                                        ; implicit-def: $vgpr27
; %bb.137:
	s_andn2_saveexec_b64 s[2:3], s[0:1]
	s_cbranch_execz .LBB1358_147
; %bb.138:
	v_lshl_or_b32 v4, s27, 8, v2
	v_mov_b32_e32 v5, 0
	v_lshl_add_u64 v[0:1], v[4:5], 2, s[18:19]
	v_or_b32_e32 v3, 2.0, v20
	s_mov_b64 s[4:5], 0
	s_brev_b32 s12, 1
	s_mov_b32 s13, s27
	v_mov_b32_e32 v8, 0
	global_store_dword v[0:1], v3, off sc1
                                        ; implicit-def: $sgpr0_sgpr1
	s_branch .LBB1358_141
.LBB1358_139:                           ;   in Loop: Header=BB1358_141 Depth=1
	s_or_b64 exec, exec, s[10:11]
.LBB1358_140:                           ;   in Loop: Header=BB1358_141 Depth=1
	s_or_b64 exec, exec, s[6:7]
	v_and_b32_e32 v4, 0x3fffffff, v4
	v_add_u32_e32 v8, v4, v8
	v_cmp_eq_u32_e64 s[0:1], s12, v3
	s_and_b64 s[6:7], exec, s[0:1]
	s_or_b64 s[4:5], s[6:7], s[4:5]
	s_andn2_b64 exec, exec, s[4:5]
	s_cbranch_execz .LBB1358_146
.LBB1358_141:                           ; =>This Loop Header: Depth=1
                                        ;     Child Loop BB1358_144 Depth 2
	s_or_b64 s[0:1], s[0:1], exec
	s_cmp_eq_u32 s13, 0
	s_cbranch_scc1 .LBB1358_145
; %bb.142:                              ;   in Loop: Header=BB1358_141 Depth=1
	s_add_i32 s13, s13, -1
	v_lshl_or_b32 v4, s13, 8, v2
	v_lshl_add_u64 v[6:7], v[4:5], 2, s[18:19]
	global_load_dword v4, v[6:7], off sc1
	s_waitcnt vmcnt(0)
	v_and_b32_e32 v3, -2.0, v4
	v_cmp_eq_u32_e64 s[0:1], 0, v3
	s_and_saveexec_b64 s[6:7], s[0:1]
	s_cbranch_execz .LBB1358_140
; %bb.143:                              ;   in Loop: Header=BB1358_141 Depth=1
	s_mov_b64 s[10:11], 0
.LBB1358_144:                           ;   Parent Loop BB1358_141 Depth=1
                                        ; =>  This Inner Loop Header: Depth=2
	global_load_dword v4, v[6:7], off sc1
	s_waitcnt vmcnt(0)
	v_and_b32_e32 v3, -2.0, v4
	v_cmp_ne_u32_e64 s[0:1], 0, v3
	s_or_b64 s[10:11], s[0:1], s[10:11]
	s_andn2_b64 exec, exec, s[10:11]
	s_cbranch_execnz .LBB1358_144
	s_branch .LBB1358_139
.LBB1358_145:                           ;   in Loop: Header=BB1358_141 Depth=1
                                        ; implicit-def: $sgpr13
	s_and_b64 s[6:7], exec, s[0:1]
	s_or_b64 s[4:5], s[6:7], s[4:5]
	s_andn2_b64 exec, exec, s[4:5]
	s_cbranch_execnz .LBB1358_141
.LBB1358_146:
	s_or_b64 exec, exec, s[4:5]
	v_add_u32_e32 v3, v8, v20
	v_or_b32_e32 v3, 0x80000000, v3
	global_store_dword v[0:1], v3, off sc1
	global_load_dword v0, v27, s[20:21]
	v_sub_u32_e32 v1, v8, v18
	v_mov_b32_e32 v3, 0
	s_waitcnt vmcnt(0)
	v_add_u32_e32 v0, v1, v0
	ds_write_b32 v27, v0
.LBB1358_147:
	s_or_b64 exec, exec, s[2:3]
	v_lshlrev_b32_e32 v0, 1, v2
	s_waitcnt lgkmcnt(0)
	s_barrier
	v_lshlrev_b32_e32 v1, 1, v2
	ds_read_u16 v6, v0 offset:1024
	ds_read_u16 v7, v1 offset:3072
	;; [unrolled: 1-line block ×7, first 2 shown]
	s_waitcnt lgkmcnt(6)
	v_lshrrev_b32_sdwa v0, s24, v6 dst_sel:DWORD dst_unused:UNUSED_PAD src0_sel:DWORD src1_sel:WORD_0
	s_waitcnt lgkmcnt(4)
	v_lshrrev_b32_sdwa v5, s24, v8 dst_sel:DWORD dst_unused:UNUSED_PAD src0_sel:DWORD src1_sel:WORD_0
	v_and_b32_e32 v0, s15, v0
	v_lshrrev_b32_sdwa v4, s24, v7 dst_sel:DWORD dst_unused:UNUSED_PAD src0_sel:DWORD src1_sel:WORD_0
	v_and_b32_e32 v5, s15, v5
	v_lshlrev_b32_e32 v0, 2, v0
	v_and_b32_e32 v4, s15, v4
	v_lshlrev_b32_e32 v5, 2, v5
	v_lshlrev_b32_e32 v4, 2, v4
	ds_read_b32 v13, v5
	ds_read_b32 v0, v0
	ds_read_u16 v14, v1 offset:5120
	ds_read_u16 v15, v1 offset:9216
	;; [unrolled: 1-line block ×4, first 2 shown]
	ds_read_b32 v19, v4
	ds_read_u16 v21, v1 offset:21504
	s_waitcnt lgkmcnt(6)
	v_add_u32_e32 v0, v0, v2
	v_mov_b32_e32 v1, 0
	s_movk_i32 s0, 0x400
	v_lshl_add_u64 v[4:5], v[0:1], 1, s[30:31]
	s_waitcnt lgkmcnt(1)
	v_add3_u32 v0, v19, v2, s0
	global_store_short v[4:5], v6, off
	v_lshl_add_u64 v[4:5], v[0:1], 1, s[30:31]
	global_store_short v[4:5], v7, off
	v_lshrrev_b32_sdwa v0, s24, v14 dst_sel:DWORD dst_unused:UNUSED_PAD src0_sel:DWORD src1_sel:WORD_0
	v_lshrrev_b32_sdwa v6, s24, v16 dst_sel:DWORD dst_unused:UNUSED_PAD src0_sel:DWORD src1_sel:WORD_0
	;; [unrolled: 1-line block ×5, first 2 shown]
	s_waitcnt lgkmcnt(0)
	v_lshrrev_b32_sdwa v23, s24, v21 dst_sel:DWORD dst_unused:UNUSED_PAD src0_sel:DWORD src1_sel:WORD_0
	v_and_b32_e32 v0, s15, v0
	v_lshrrev_b32_sdwa v4, s24, v15 dst_sel:DWORD dst_unused:UNUSED_PAD src0_sel:DWORD src1_sel:WORD_0
	v_lshrrev_b32_sdwa v5, s24, v9 dst_sel:DWORD dst_unused:UNUSED_PAD src0_sel:DWORD src1_sel:WORD_0
	v_and_b32_e32 v6, s15, v6
	v_and_b32_e32 v7, s15, v7
	;; [unrolled: 1-line block ×5, first 2 shown]
	v_lshlrev_b32_e32 v0, 2, v0
	v_and_b32_e32 v4, s15, v4
	v_and_b32_e32 v5, s15, v5
	v_lshlrev_b32_e32 v6, 2, v6
	v_lshlrev_b32_e32 v7, 2, v7
	;; [unrolled: 1-line block ×5, first 2 shown]
	s_movk_i32 s0, 0x800
	v_lshlrev_b32_e32 v4, 2, v4
	v_lshlrev_b32_e32 v5, 2, v5
	ds_read_b32 v0, v0
	ds_read_b32 v24, v4
	;; [unrolled: 1-line block ×8, first 2 shown]
	s_waitcnt lgkmcnt(7)
	v_add3_u32 v0, v0, v2, s0
	s_movk_i32 s0, 0xc00
	v_lshl_add_u64 v[4:5], v[0:1], 1, s[30:31]
	v_add3_u32 v0, v13, v2, s0
	s_movk_i32 s0, 0x1000
	global_store_short v[4:5], v14, off
	v_lshl_add_u64 v[4:5], v[0:1], 1, s[30:31]
	s_waitcnt lgkmcnt(6)
	v_add3_u32 v0, v24, v2, s0
	s_movk_i32 s0, 0x1400
	global_store_short v[4:5], v8, off
	v_lshl_add_u64 v[4:5], v[0:1], 1, s[30:31]
	s_waitcnt lgkmcnt(5)
	;; [unrolled: 5-line block ×6, first 2 shown]
	v_add3_u32 v0, v22, v2, s0
	global_store_short v[4:5], v17, off
	v_lshl_add_u64 v[4:5], v[0:1], 1, s[30:31]
	v_lshrrev_b32_sdwa v0, s24, v12 dst_sel:DWORD dst_unused:UNUSED_PAD src0_sel:DWORD src1_sel:WORD_0
	v_and_b32_e32 v0, s15, v0
	v_lshlrev_b32_e32 v0, 2, v0
	ds_read_b32 v6, v0
	s_movk_i32 s0, 0x2800
	s_add_i32 s14, s14, -1
	s_waitcnt lgkmcnt(1)
	v_add3_u32 v0, v23, v2, s0
	s_movk_i32 s0, 0x2c00
	s_cmp_eq_u32 s14, s27
	global_store_short v[4:5], v11, off
	v_lshl_add_u64 v[4:5], v[0:1], 1, s[30:31]
	s_waitcnt lgkmcnt(0)
	v_add3_u32 v0, v6, v2, s0
	s_cselect_b64 s[0:1], -1, 0
	v_lshl_add_u64 v[0:1], v[0:1], 1, s[30:31]
	s_and_b64 s[2:3], vcc, s[0:1]
	global_store_short v[4:5], v21, off
	global_store_short v[0:1], v12, off
                                        ; implicit-def: $vgpr4
	s_and_saveexec_b64 s[0:1], s[2:3]
; %bb.148:
	v_add_u32_e32 v4, v18, v20
	s_or_b64 s[8:9], s[8:9], exec
; %bb.149:
	s_or_b64 exec, exec, s[0:1]
.LBB1358_150:
	s_and_saveexec_b64 s[0:1], s[8:9]
	s_cbranch_execnz .LBB1358_152
; %bb.151:
	s_endpgm
.LBB1358_152:
	v_lshlrev_b32_e32 v0, 2, v2
	ds_read_b32 v5, v0
	v_mov_b32_e32 v0, s22
	v_mov_b32_e32 v1, s23
	v_lshl_add_u64 v[0:1], v[2:3], 2, v[0:1]
	s_waitcnt lgkmcnt(0)
	v_add_u32_e32 v2, v5, v4
	global_store_dword v[0:1], v2, off
	s_endpgm
	.section	.rodata,"a",@progbits
	.p2align	6, 0x0
	.amdhsa_kernel _ZN7rocprim17ROCPRIM_400000_NS6detail17trampoline_kernelINS0_14default_configENS1_35radix_sort_onesweep_config_selectorItNS0_10empty_typeEEEZZNS1_29radix_sort_onesweep_iterationIS3_Lb0EN6thrust23THRUST_200600_302600_NS6detail15normal_iteratorINS9_10device_ptrItEEEESE_PS5_SF_jNS0_19identity_decomposerENS1_16block_id_wrapperIjLb1EEEEE10hipError_tT1_PNSt15iterator_traitsISK_E10value_typeET2_T3_PNSL_ISQ_E10value_typeET4_T5_PSV_SW_PNS1_23onesweep_lookback_stateEbbT6_jjT7_P12ihipStream_tbENKUlT_T0_SK_SP_E_clIPtSE_SF_SF_EEDaS13_S14_SK_SP_EUlS13_E_NS1_11comp_targetILNS1_3genE5ELNS1_11target_archE942ELNS1_3gpuE9ELNS1_3repE0EEENS1_47radix_sort_onesweep_sort_config_static_selectorELNS0_4arch9wavefront6targetE1EEEvSK_
		.amdhsa_group_segment_fixed_size 25608
		.amdhsa_private_segment_fixed_size 0
		.amdhsa_kernarg_size 344
		.amdhsa_user_sgpr_count 2
		.amdhsa_user_sgpr_dispatch_ptr 0
		.amdhsa_user_sgpr_queue_ptr 0
		.amdhsa_user_sgpr_kernarg_segment_ptr 1
		.amdhsa_user_sgpr_dispatch_id 0
		.amdhsa_user_sgpr_kernarg_preload_length 0
		.amdhsa_user_sgpr_kernarg_preload_offset 0
		.amdhsa_user_sgpr_private_segment_size 0
		.amdhsa_uses_dynamic_stack 0
		.amdhsa_enable_private_segment 0
		.amdhsa_system_sgpr_workgroup_id_x 1
		.amdhsa_system_sgpr_workgroup_id_y 0
		.amdhsa_system_sgpr_workgroup_id_z 0
		.amdhsa_system_sgpr_workgroup_info 0
		.amdhsa_system_vgpr_workitem_id 2
		.amdhsa_next_free_vgpr 62
		.amdhsa_next_free_sgpr 36
		.amdhsa_accum_offset 64
		.amdhsa_reserve_vcc 1
		.amdhsa_float_round_mode_32 0
		.amdhsa_float_round_mode_16_64 0
		.amdhsa_float_denorm_mode_32 3
		.amdhsa_float_denorm_mode_16_64 3
		.amdhsa_dx10_clamp 1
		.amdhsa_ieee_mode 1
		.amdhsa_fp16_overflow 0
		.amdhsa_tg_split 0
		.amdhsa_exception_fp_ieee_invalid_op 0
		.amdhsa_exception_fp_denorm_src 0
		.amdhsa_exception_fp_ieee_div_zero 0
		.amdhsa_exception_fp_ieee_overflow 0
		.amdhsa_exception_fp_ieee_underflow 0
		.amdhsa_exception_fp_ieee_inexact 0
		.amdhsa_exception_int_div_zero 0
	.end_amdhsa_kernel
	.section	.text._ZN7rocprim17ROCPRIM_400000_NS6detail17trampoline_kernelINS0_14default_configENS1_35radix_sort_onesweep_config_selectorItNS0_10empty_typeEEEZZNS1_29radix_sort_onesweep_iterationIS3_Lb0EN6thrust23THRUST_200600_302600_NS6detail15normal_iteratorINS9_10device_ptrItEEEESE_PS5_SF_jNS0_19identity_decomposerENS1_16block_id_wrapperIjLb1EEEEE10hipError_tT1_PNSt15iterator_traitsISK_E10value_typeET2_T3_PNSL_ISQ_E10value_typeET4_T5_PSV_SW_PNS1_23onesweep_lookback_stateEbbT6_jjT7_P12ihipStream_tbENKUlT_T0_SK_SP_E_clIPtSE_SF_SF_EEDaS13_S14_SK_SP_EUlS13_E_NS1_11comp_targetILNS1_3genE5ELNS1_11target_archE942ELNS1_3gpuE9ELNS1_3repE0EEENS1_47radix_sort_onesweep_sort_config_static_selectorELNS0_4arch9wavefront6targetE1EEEvSK_,"axG",@progbits,_ZN7rocprim17ROCPRIM_400000_NS6detail17trampoline_kernelINS0_14default_configENS1_35radix_sort_onesweep_config_selectorItNS0_10empty_typeEEEZZNS1_29radix_sort_onesweep_iterationIS3_Lb0EN6thrust23THRUST_200600_302600_NS6detail15normal_iteratorINS9_10device_ptrItEEEESE_PS5_SF_jNS0_19identity_decomposerENS1_16block_id_wrapperIjLb1EEEEE10hipError_tT1_PNSt15iterator_traitsISK_E10value_typeET2_T3_PNSL_ISQ_E10value_typeET4_T5_PSV_SW_PNS1_23onesweep_lookback_stateEbbT6_jjT7_P12ihipStream_tbENKUlT_T0_SK_SP_E_clIPtSE_SF_SF_EEDaS13_S14_SK_SP_EUlS13_E_NS1_11comp_targetILNS1_3genE5ELNS1_11target_archE942ELNS1_3gpuE9ELNS1_3repE0EEENS1_47radix_sort_onesweep_sort_config_static_selectorELNS0_4arch9wavefront6targetE1EEEvSK_,comdat
.Lfunc_end1358:
	.size	_ZN7rocprim17ROCPRIM_400000_NS6detail17trampoline_kernelINS0_14default_configENS1_35radix_sort_onesweep_config_selectorItNS0_10empty_typeEEEZZNS1_29radix_sort_onesweep_iterationIS3_Lb0EN6thrust23THRUST_200600_302600_NS6detail15normal_iteratorINS9_10device_ptrItEEEESE_PS5_SF_jNS0_19identity_decomposerENS1_16block_id_wrapperIjLb1EEEEE10hipError_tT1_PNSt15iterator_traitsISK_E10value_typeET2_T3_PNSL_ISQ_E10value_typeET4_T5_PSV_SW_PNS1_23onesweep_lookback_stateEbbT6_jjT7_P12ihipStream_tbENKUlT_T0_SK_SP_E_clIPtSE_SF_SF_EEDaS13_S14_SK_SP_EUlS13_E_NS1_11comp_targetILNS1_3genE5ELNS1_11target_archE942ELNS1_3gpuE9ELNS1_3repE0EEENS1_47radix_sort_onesweep_sort_config_static_selectorELNS0_4arch9wavefront6targetE1EEEvSK_, .Lfunc_end1358-_ZN7rocprim17ROCPRIM_400000_NS6detail17trampoline_kernelINS0_14default_configENS1_35radix_sort_onesweep_config_selectorItNS0_10empty_typeEEEZZNS1_29radix_sort_onesweep_iterationIS3_Lb0EN6thrust23THRUST_200600_302600_NS6detail15normal_iteratorINS9_10device_ptrItEEEESE_PS5_SF_jNS0_19identity_decomposerENS1_16block_id_wrapperIjLb1EEEEE10hipError_tT1_PNSt15iterator_traitsISK_E10value_typeET2_T3_PNSL_ISQ_E10value_typeET4_T5_PSV_SW_PNS1_23onesweep_lookback_stateEbbT6_jjT7_P12ihipStream_tbENKUlT_T0_SK_SP_E_clIPtSE_SF_SF_EEDaS13_S14_SK_SP_EUlS13_E_NS1_11comp_targetILNS1_3genE5ELNS1_11target_archE942ELNS1_3gpuE9ELNS1_3repE0EEENS1_47radix_sort_onesweep_sort_config_static_selectorELNS0_4arch9wavefront6targetE1EEEvSK_
                                        ; -- End function
	.section	.AMDGPU.csdata,"",@progbits
; Kernel info:
; codeLenInByte = 15496
; NumSgprs: 42
; NumVgprs: 62
; NumAgprs: 0
; TotalNumVgprs: 62
; ScratchSize: 0
; MemoryBound: 0
; FloatMode: 240
; IeeeMode: 1
; LDSByteSize: 25608 bytes/workgroup (compile time only)
; SGPRBlocks: 5
; VGPRBlocks: 7
; NumSGPRsForWavesPerEU: 42
; NumVGPRsForWavesPerEU: 62
; AccumOffset: 64
; Occupancy: 8
; WaveLimiterHint : 1
; COMPUTE_PGM_RSRC2:SCRATCH_EN: 0
; COMPUTE_PGM_RSRC2:USER_SGPR: 2
; COMPUTE_PGM_RSRC2:TRAP_HANDLER: 0
; COMPUTE_PGM_RSRC2:TGID_X_EN: 1
; COMPUTE_PGM_RSRC2:TGID_Y_EN: 0
; COMPUTE_PGM_RSRC2:TGID_Z_EN: 0
; COMPUTE_PGM_RSRC2:TIDIG_COMP_CNT: 2
; COMPUTE_PGM_RSRC3_GFX90A:ACCUM_OFFSET: 15
; COMPUTE_PGM_RSRC3_GFX90A:TG_SPLIT: 0
	.section	.text._ZN7rocprim17ROCPRIM_400000_NS6detail17trampoline_kernelINS0_14default_configENS1_35radix_sort_onesweep_config_selectorItNS0_10empty_typeEEEZZNS1_29radix_sort_onesweep_iterationIS3_Lb0EN6thrust23THRUST_200600_302600_NS6detail15normal_iteratorINS9_10device_ptrItEEEESE_PS5_SF_jNS0_19identity_decomposerENS1_16block_id_wrapperIjLb1EEEEE10hipError_tT1_PNSt15iterator_traitsISK_E10value_typeET2_T3_PNSL_ISQ_E10value_typeET4_T5_PSV_SW_PNS1_23onesweep_lookback_stateEbbT6_jjT7_P12ihipStream_tbENKUlT_T0_SK_SP_E_clIPtSE_SF_SF_EEDaS13_S14_SK_SP_EUlS13_E_NS1_11comp_targetILNS1_3genE2ELNS1_11target_archE906ELNS1_3gpuE6ELNS1_3repE0EEENS1_47radix_sort_onesweep_sort_config_static_selectorELNS0_4arch9wavefront6targetE1EEEvSK_,"axG",@progbits,_ZN7rocprim17ROCPRIM_400000_NS6detail17trampoline_kernelINS0_14default_configENS1_35radix_sort_onesweep_config_selectorItNS0_10empty_typeEEEZZNS1_29radix_sort_onesweep_iterationIS3_Lb0EN6thrust23THRUST_200600_302600_NS6detail15normal_iteratorINS9_10device_ptrItEEEESE_PS5_SF_jNS0_19identity_decomposerENS1_16block_id_wrapperIjLb1EEEEE10hipError_tT1_PNSt15iterator_traitsISK_E10value_typeET2_T3_PNSL_ISQ_E10value_typeET4_T5_PSV_SW_PNS1_23onesweep_lookback_stateEbbT6_jjT7_P12ihipStream_tbENKUlT_T0_SK_SP_E_clIPtSE_SF_SF_EEDaS13_S14_SK_SP_EUlS13_E_NS1_11comp_targetILNS1_3genE2ELNS1_11target_archE906ELNS1_3gpuE6ELNS1_3repE0EEENS1_47radix_sort_onesweep_sort_config_static_selectorELNS0_4arch9wavefront6targetE1EEEvSK_,comdat
	.protected	_ZN7rocprim17ROCPRIM_400000_NS6detail17trampoline_kernelINS0_14default_configENS1_35radix_sort_onesweep_config_selectorItNS0_10empty_typeEEEZZNS1_29radix_sort_onesweep_iterationIS3_Lb0EN6thrust23THRUST_200600_302600_NS6detail15normal_iteratorINS9_10device_ptrItEEEESE_PS5_SF_jNS0_19identity_decomposerENS1_16block_id_wrapperIjLb1EEEEE10hipError_tT1_PNSt15iterator_traitsISK_E10value_typeET2_T3_PNSL_ISQ_E10value_typeET4_T5_PSV_SW_PNS1_23onesweep_lookback_stateEbbT6_jjT7_P12ihipStream_tbENKUlT_T0_SK_SP_E_clIPtSE_SF_SF_EEDaS13_S14_SK_SP_EUlS13_E_NS1_11comp_targetILNS1_3genE2ELNS1_11target_archE906ELNS1_3gpuE6ELNS1_3repE0EEENS1_47radix_sort_onesweep_sort_config_static_selectorELNS0_4arch9wavefront6targetE1EEEvSK_ ; -- Begin function _ZN7rocprim17ROCPRIM_400000_NS6detail17trampoline_kernelINS0_14default_configENS1_35radix_sort_onesweep_config_selectorItNS0_10empty_typeEEEZZNS1_29radix_sort_onesweep_iterationIS3_Lb0EN6thrust23THRUST_200600_302600_NS6detail15normal_iteratorINS9_10device_ptrItEEEESE_PS5_SF_jNS0_19identity_decomposerENS1_16block_id_wrapperIjLb1EEEEE10hipError_tT1_PNSt15iterator_traitsISK_E10value_typeET2_T3_PNSL_ISQ_E10value_typeET4_T5_PSV_SW_PNS1_23onesweep_lookback_stateEbbT6_jjT7_P12ihipStream_tbENKUlT_T0_SK_SP_E_clIPtSE_SF_SF_EEDaS13_S14_SK_SP_EUlS13_E_NS1_11comp_targetILNS1_3genE2ELNS1_11target_archE906ELNS1_3gpuE6ELNS1_3repE0EEENS1_47radix_sort_onesweep_sort_config_static_selectorELNS0_4arch9wavefront6targetE1EEEvSK_
	.globl	_ZN7rocprim17ROCPRIM_400000_NS6detail17trampoline_kernelINS0_14default_configENS1_35radix_sort_onesweep_config_selectorItNS0_10empty_typeEEEZZNS1_29radix_sort_onesweep_iterationIS3_Lb0EN6thrust23THRUST_200600_302600_NS6detail15normal_iteratorINS9_10device_ptrItEEEESE_PS5_SF_jNS0_19identity_decomposerENS1_16block_id_wrapperIjLb1EEEEE10hipError_tT1_PNSt15iterator_traitsISK_E10value_typeET2_T3_PNSL_ISQ_E10value_typeET4_T5_PSV_SW_PNS1_23onesweep_lookback_stateEbbT6_jjT7_P12ihipStream_tbENKUlT_T0_SK_SP_E_clIPtSE_SF_SF_EEDaS13_S14_SK_SP_EUlS13_E_NS1_11comp_targetILNS1_3genE2ELNS1_11target_archE906ELNS1_3gpuE6ELNS1_3repE0EEENS1_47radix_sort_onesweep_sort_config_static_selectorELNS0_4arch9wavefront6targetE1EEEvSK_
	.p2align	8
	.type	_ZN7rocprim17ROCPRIM_400000_NS6detail17trampoline_kernelINS0_14default_configENS1_35radix_sort_onesweep_config_selectorItNS0_10empty_typeEEEZZNS1_29radix_sort_onesweep_iterationIS3_Lb0EN6thrust23THRUST_200600_302600_NS6detail15normal_iteratorINS9_10device_ptrItEEEESE_PS5_SF_jNS0_19identity_decomposerENS1_16block_id_wrapperIjLb1EEEEE10hipError_tT1_PNSt15iterator_traitsISK_E10value_typeET2_T3_PNSL_ISQ_E10value_typeET4_T5_PSV_SW_PNS1_23onesweep_lookback_stateEbbT6_jjT7_P12ihipStream_tbENKUlT_T0_SK_SP_E_clIPtSE_SF_SF_EEDaS13_S14_SK_SP_EUlS13_E_NS1_11comp_targetILNS1_3genE2ELNS1_11target_archE906ELNS1_3gpuE6ELNS1_3repE0EEENS1_47radix_sort_onesweep_sort_config_static_selectorELNS0_4arch9wavefront6targetE1EEEvSK_,@function
_ZN7rocprim17ROCPRIM_400000_NS6detail17trampoline_kernelINS0_14default_configENS1_35radix_sort_onesweep_config_selectorItNS0_10empty_typeEEEZZNS1_29radix_sort_onesweep_iterationIS3_Lb0EN6thrust23THRUST_200600_302600_NS6detail15normal_iteratorINS9_10device_ptrItEEEESE_PS5_SF_jNS0_19identity_decomposerENS1_16block_id_wrapperIjLb1EEEEE10hipError_tT1_PNSt15iterator_traitsISK_E10value_typeET2_T3_PNSL_ISQ_E10value_typeET4_T5_PSV_SW_PNS1_23onesweep_lookback_stateEbbT6_jjT7_P12ihipStream_tbENKUlT_T0_SK_SP_E_clIPtSE_SF_SF_EEDaS13_S14_SK_SP_EUlS13_E_NS1_11comp_targetILNS1_3genE2ELNS1_11target_archE906ELNS1_3gpuE6ELNS1_3repE0EEENS1_47radix_sort_onesweep_sort_config_static_selectorELNS0_4arch9wavefront6targetE1EEEvSK_: ; @_ZN7rocprim17ROCPRIM_400000_NS6detail17trampoline_kernelINS0_14default_configENS1_35radix_sort_onesweep_config_selectorItNS0_10empty_typeEEEZZNS1_29radix_sort_onesweep_iterationIS3_Lb0EN6thrust23THRUST_200600_302600_NS6detail15normal_iteratorINS9_10device_ptrItEEEESE_PS5_SF_jNS0_19identity_decomposerENS1_16block_id_wrapperIjLb1EEEEE10hipError_tT1_PNSt15iterator_traitsISK_E10value_typeET2_T3_PNSL_ISQ_E10value_typeET4_T5_PSV_SW_PNS1_23onesweep_lookback_stateEbbT6_jjT7_P12ihipStream_tbENKUlT_T0_SK_SP_E_clIPtSE_SF_SF_EEDaS13_S14_SK_SP_EUlS13_E_NS1_11comp_targetILNS1_3genE2ELNS1_11target_archE906ELNS1_3gpuE6ELNS1_3repE0EEENS1_47radix_sort_onesweep_sort_config_static_selectorELNS0_4arch9wavefront6targetE1EEEvSK_
; %bb.0:
	.section	.rodata,"a",@progbits
	.p2align	6, 0x0
	.amdhsa_kernel _ZN7rocprim17ROCPRIM_400000_NS6detail17trampoline_kernelINS0_14default_configENS1_35radix_sort_onesweep_config_selectorItNS0_10empty_typeEEEZZNS1_29radix_sort_onesweep_iterationIS3_Lb0EN6thrust23THRUST_200600_302600_NS6detail15normal_iteratorINS9_10device_ptrItEEEESE_PS5_SF_jNS0_19identity_decomposerENS1_16block_id_wrapperIjLb1EEEEE10hipError_tT1_PNSt15iterator_traitsISK_E10value_typeET2_T3_PNSL_ISQ_E10value_typeET4_T5_PSV_SW_PNS1_23onesweep_lookback_stateEbbT6_jjT7_P12ihipStream_tbENKUlT_T0_SK_SP_E_clIPtSE_SF_SF_EEDaS13_S14_SK_SP_EUlS13_E_NS1_11comp_targetILNS1_3genE2ELNS1_11target_archE906ELNS1_3gpuE6ELNS1_3repE0EEENS1_47radix_sort_onesweep_sort_config_static_selectorELNS0_4arch9wavefront6targetE1EEEvSK_
		.amdhsa_group_segment_fixed_size 0
		.amdhsa_private_segment_fixed_size 0
		.amdhsa_kernarg_size 88
		.amdhsa_user_sgpr_count 2
		.amdhsa_user_sgpr_dispatch_ptr 0
		.amdhsa_user_sgpr_queue_ptr 0
		.amdhsa_user_sgpr_kernarg_segment_ptr 1
		.amdhsa_user_sgpr_dispatch_id 0
		.amdhsa_user_sgpr_kernarg_preload_length 0
		.amdhsa_user_sgpr_kernarg_preload_offset 0
		.amdhsa_user_sgpr_private_segment_size 0
		.amdhsa_uses_dynamic_stack 0
		.amdhsa_enable_private_segment 0
		.amdhsa_system_sgpr_workgroup_id_x 1
		.amdhsa_system_sgpr_workgroup_id_y 0
		.amdhsa_system_sgpr_workgroup_id_z 0
		.amdhsa_system_sgpr_workgroup_info 0
		.amdhsa_system_vgpr_workitem_id 0
		.amdhsa_next_free_vgpr 1
		.amdhsa_next_free_sgpr 0
		.amdhsa_accum_offset 4
		.amdhsa_reserve_vcc 0
		.amdhsa_float_round_mode_32 0
		.amdhsa_float_round_mode_16_64 0
		.amdhsa_float_denorm_mode_32 3
		.amdhsa_float_denorm_mode_16_64 3
		.amdhsa_dx10_clamp 1
		.amdhsa_ieee_mode 1
		.amdhsa_fp16_overflow 0
		.amdhsa_tg_split 0
		.amdhsa_exception_fp_ieee_invalid_op 0
		.amdhsa_exception_fp_denorm_src 0
		.amdhsa_exception_fp_ieee_div_zero 0
		.amdhsa_exception_fp_ieee_overflow 0
		.amdhsa_exception_fp_ieee_underflow 0
		.amdhsa_exception_fp_ieee_inexact 0
		.amdhsa_exception_int_div_zero 0
	.end_amdhsa_kernel
	.section	.text._ZN7rocprim17ROCPRIM_400000_NS6detail17trampoline_kernelINS0_14default_configENS1_35radix_sort_onesweep_config_selectorItNS0_10empty_typeEEEZZNS1_29radix_sort_onesweep_iterationIS3_Lb0EN6thrust23THRUST_200600_302600_NS6detail15normal_iteratorINS9_10device_ptrItEEEESE_PS5_SF_jNS0_19identity_decomposerENS1_16block_id_wrapperIjLb1EEEEE10hipError_tT1_PNSt15iterator_traitsISK_E10value_typeET2_T3_PNSL_ISQ_E10value_typeET4_T5_PSV_SW_PNS1_23onesweep_lookback_stateEbbT6_jjT7_P12ihipStream_tbENKUlT_T0_SK_SP_E_clIPtSE_SF_SF_EEDaS13_S14_SK_SP_EUlS13_E_NS1_11comp_targetILNS1_3genE2ELNS1_11target_archE906ELNS1_3gpuE6ELNS1_3repE0EEENS1_47radix_sort_onesweep_sort_config_static_selectorELNS0_4arch9wavefront6targetE1EEEvSK_,"axG",@progbits,_ZN7rocprim17ROCPRIM_400000_NS6detail17trampoline_kernelINS0_14default_configENS1_35radix_sort_onesweep_config_selectorItNS0_10empty_typeEEEZZNS1_29radix_sort_onesweep_iterationIS3_Lb0EN6thrust23THRUST_200600_302600_NS6detail15normal_iteratorINS9_10device_ptrItEEEESE_PS5_SF_jNS0_19identity_decomposerENS1_16block_id_wrapperIjLb1EEEEE10hipError_tT1_PNSt15iterator_traitsISK_E10value_typeET2_T3_PNSL_ISQ_E10value_typeET4_T5_PSV_SW_PNS1_23onesweep_lookback_stateEbbT6_jjT7_P12ihipStream_tbENKUlT_T0_SK_SP_E_clIPtSE_SF_SF_EEDaS13_S14_SK_SP_EUlS13_E_NS1_11comp_targetILNS1_3genE2ELNS1_11target_archE906ELNS1_3gpuE6ELNS1_3repE0EEENS1_47radix_sort_onesweep_sort_config_static_selectorELNS0_4arch9wavefront6targetE1EEEvSK_,comdat
.Lfunc_end1359:
	.size	_ZN7rocprim17ROCPRIM_400000_NS6detail17trampoline_kernelINS0_14default_configENS1_35radix_sort_onesweep_config_selectorItNS0_10empty_typeEEEZZNS1_29radix_sort_onesweep_iterationIS3_Lb0EN6thrust23THRUST_200600_302600_NS6detail15normal_iteratorINS9_10device_ptrItEEEESE_PS5_SF_jNS0_19identity_decomposerENS1_16block_id_wrapperIjLb1EEEEE10hipError_tT1_PNSt15iterator_traitsISK_E10value_typeET2_T3_PNSL_ISQ_E10value_typeET4_T5_PSV_SW_PNS1_23onesweep_lookback_stateEbbT6_jjT7_P12ihipStream_tbENKUlT_T0_SK_SP_E_clIPtSE_SF_SF_EEDaS13_S14_SK_SP_EUlS13_E_NS1_11comp_targetILNS1_3genE2ELNS1_11target_archE906ELNS1_3gpuE6ELNS1_3repE0EEENS1_47radix_sort_onesweep_sort_config_static_selectorELNS0_4arch9wavefront6targetE1EEEvSK_, .Lfunc_end1359-_ZN7rocprim17ROCPRIM_400000_NS6detail17trampoline_kernelINS0_14default_configENS1_35radix_sort_onesweep_config_selectorItNS0_10empty_typeEEEZZNS1_29radix_sort_onesweep_iterationIS3_Lb0EN6thrust23THRUST_200600_302600_NS6detail15normal_iteratorINS9_10device_ptrItEEEESE_PS5_SF_jNS0_19identity_decomposerENS1_16block_id_wrapperIjLb1EEEEE10hipError_tT1_PNSt15iterator_traitsISK_E10value_typeET2_T3_PNSL_ISQ_E10value_typeET4_T5_PSV_SW_PNS1_23onesweep_lookback_stateEbbT6_jjT7_P12ihipStream_tbENKUlT_T0_SK_SP_E_clIPtSE_SF_SF_EEDaS13_S14_SK_SP_EUlS13_E_NS1_11comp_targetILNS1_3genE2ELNS1_11target_archE906ELNS1_3gpuE6ELNS1_3repE0EEENS1_47radix_sort_onesweep_sort_config_static_selectorELNS0_4arch9wavefront6targetE1EEEvSK_
                                        ; -- End function
	.section	.AMDGPU.csdata,"",@progbits
; Kernel info:
; codeLenInByte = 0
; NumSgprs: 6
; NumVgprs: 0
; NumAgprs: 0
; TotalNumVgprs: 0
; ScratchSize: 0
; MemoryBound: 0
; FloatMode: 240
; IeeeMode: 1
; LDSByteSize: 0 bytes/workgroup (compile time only)
; SGPRBlocks: 0
; VGPRBlocks: 0
; NumSGPRsForWavesPerEU: 6
; NumVGPRsForWavesPerEU: 1
; AccumOffset: 4
; Occupancy: 8
; WaveLimiterHint : 0
; COMPUTE_PGM_RSRC2:SCRATCH_EN: 0
; COMPUTE_PGM_RSRC2:USER_SGPR: 2
; COMPUTE_PGM_RSRC2:TRAP_HANDLER: 0
; COMPUTE_PGM_RSRC2:TGID_X_EN: 1
; COMPUTE_PGM_RSRC2:TGID_Y_EN: 0
; COMPUTE_PGM_RSRC2:TGID_Z_EN: 0
; COMPUTE_PGM_RSRC2:TIDIG_COMP_CNT: 0
; COMPUTE_PGM_RSRC3_GFX90A:ACCUM_OFFSET: 0
; COMPUTE_PGM_RSRC3_GFX90A:TG_SPLIT: 0
	.section	.text._ZN7rocprim17ROCPRIM_400000_NS6detail17trampoline_kernelINS0_14default_configENS1_35radix_sort_onesweep_config_selectorItNS0_10empty_typeEEEZZNS1_29radix_sort_onesweep_iterationIS3_Lb0EN6thrust23THRUST_200600_302600_NS6detail15normal_iteratorINS9_10device_ptrItEEEESE_PS5_SF_jNS0_19identity_decomposerENS1_16block_id_wrapperIjLb1EEEEE10hipError_tT1_PNSt15iterator_traitsISK_E10value_typeET2_T3_PNSL_ISQ_E10value_typeET4_T5_PSV_SW_PNS1_23onesweep_lookback_stateEbbT6_jjT7_P12ihipStream_tbENKUlT_T0_SK_SP_E_clIPtSE_SF_SF_EEDaS13_S14_SK_SP_EUlS13_E_NS1_11comp_targetILNS1_3genE4ELNS1_11target_archE910ELNS1_3gpuE8ELNS1_3repE0EEENS1_47radix_sort_onesweep_sort_config_static_selectorELNS0_4arch9wavefront6targetE1EEEvSK_,"axG",@progbits,_ZN7rocprim17ROCPRIM_400000_NS6detail17trampoline_kernelINS0_14default_configENS1_35radix_sort_onesweep_config_selectorItNS0_10empty_typeEEEZZNS1_29radix_sort_onesweep_iterationIS3_Lb0EN6thrust23THRUST_200600_302600_NS6detail15normal_iteratorINS9_10device_ptrItEEEESE_PS5_SF_jNS0_19identity_decomposerENS1_16block_id_wrapperIjLb1EEEEE10hipError_tT1_PNSt15iterator_traitsISK_E10value_typeET2_T3_PNSL_ISQ_E10value_typeET4_T5_PSV_SW_PNS1_23onesweep_lookback_stateEbbT6_jjT7_P12ihipStream_tbENKUlT_T0_SK_SP_E_clIPtSE_SF_SF_EEDaS13_S14_SK_SP_EUlS13_E_NS1_11comp_targetILNS1_3genE4ELNS1_11target_archE910ELNS1_3gpuE8ELNS1_3repE0EEENS1_47radix_sort_onesweep_sort_config_static_selectorELNS0_4arch9wavefront6targetE1EEEvSK_,comdat
	.protected	_ZN7rocprim17ROCPRIM_400000_NS6detail17trampoline_kernelINS0_14default_configENS1_35radix_sort_onesweep_config_selectorItNS0_10empty_typeEEEZZNS1_29radix_sort_onesweep_iterationIS3_Lb0EN6thrust23THRUST_200600_302600_NS6detail15normal_iteratorINS9_10device_ptrItEEEESE_PS5_SF_jNS0_19identity_decomposerENS1_16block_id_wrapperIjLb1EEEEE10hipError_tT1_PNSt15iterator_traitsISK_E10value_typeET2_T3_PNSL_ISQ_E10value_typeET4_T5_PSV_SW_PNS1_23onesweep_lookback_stateEbbT6_jjT7_P12ihipStream_tbENKUlT_T0_SK_SP_E_clIPtSE_SF_SF_EEDaS13_S14_SK_SP_EUlS13_E_NS1_11comp_targetILNS1_3genE4ELNS1_11target_archE910ELNS1_3gpuE8ELNS1_3repE0EEENS1_47radix_sort_onesweep_sort_config_static_selectorELNS0_4arch9wavefront6targetE1EEEvSK_ ; -- Begin function _ZN7rocprim17ROCPRIM_400000_NS6detail17trampoline_kernelINS0_14default_configENS1_35radix_sort_onesweep_config_selectorItNS0_10empty_typeEEEZZNS1_29radix_sort_onesweep_iterationIS3_Lb0EN6thrust23THRUST_200600_302600_NS6detail15normal_iteratorINS9_10device_ptrItEEEESE_PS5_SF_jNS0_19identity_decomposerENS1_16block_id_wrapperIjLb1EEEEE10hipError_tT1_PNSt15iterator_traitsISK_E10value_typeET2_T3_PNSL_ISQ_E10value_typeET4_T5_PSV_SW_PNS1_23onesweep_lookback_stateEbbT6_jjT7_P12ihipStream_tbENKUlT_T0_SK_SP_E_clIPtSE_SF_SF_EEDaS13_S14_SK_SP_EUlS13_E_NS1_11comp_targetILNS1_3genE4ELNS1_11target_archE910ELNS1_3gpuE8ELNS1_3repE0EEENS1_47radix_sort_onesweep_sort_config_static_selectorELNS0_4arch9wavefront6targetE1EEEvSK_
	.globl	_ZN7rocprim17ROCPRIM_400000_NS6detail17trampoline_kernelINS0_14default_configENS1_35radix_sort_onesweep_config_selectorItNS0_10empty_typeEEEZZNS1_29radix_sort_onesweep_iterationIS3_Lb0EN6thrust23THRUST_200600_302600_NS6detail15normal_iteratorINS9_10device_ptrItEEEESE_PS5_SF_jNS0_19identity_decomposerENS1_16block_id_wrapperIjLb1EEEEE10hipError_tT1_PNSt15iterator_traitsISK_E10value_typeET2_T3_PNSL_ISQ_E10value_typeET4_T5_PSV_SW_PNS1_23onesweep_lookback_stateEbbT6_jjT7_P12ihipStream_tbENKUlT_T0_SK_SP_E_clIPtSE_SF_SF_EEDaS13_S14_SK_SP_EUlS13_E_NS1_11comp_targetILNS1_3genE4ELNS1_11target_archE910ELNS1_3gpuE8ELNS1_3repE0EEENS1_47radix_sort_onesweep_sort_config_static_selectorELNS0_4arch9wavefront6targetE1EEEvSK_
	.p2align	8
	.type	_ZN7rocprim17ROCPRIM_400000_NS6detail17trampoline_kernelINS0_14default_configENS1_35radix_sort_onesweep_config_selectorItNS0_10empty_typeEEEZZNS1_29radix_sort_onesweep_iterationIS3_Lb0EN6thrust23THRUST_200600_302600_NS6detail15normal_iteratorINS9_10device_ptrItEEEESE_PS5_SF_jNS0_19identity_decomposerENS1_16block_id_wrapperIjLb1EEEEE10hipError_tT1_PNSt15iterator_traitsISK_E10value_typeET2_T3_PNSL_ISQ_E10value_typeET4_T5_PSV_SW_PNS1_23onesweep_lookback_stateEbbT6_jjT7_P12ihipStream_tbENKUlT_T0_SK_SP_E_clIPtSE_SF_SF_EEDaS13_S14_SK_SP_EUlS13_E_NS1_11comp_targetILNS1_3genE4ELNS1_11target_archE910ELNS1_3gpuE8ELNS1_3repE0EEENS1_47radix_sort_onesweep_sort_config_static_selectorELNS0_4arch9wavefront6targetE1EEEvSK_,@function
_ZN7rocprim17ROCPRIM_400000_NS6detail17trampoline_kernelINS0_14default_configENS1_35radix_sort_onesweep_config_selectorItNS0_10empty_typeEEEZZNS1_29radix_sort_onesweep_iterationIS3_Lb0EN6thrust23THRUST_200600_302600_NS6detail15normal_iteratorINS9_10device_ptrItEEEESE_PS5_SF_jNS0_19identity_decomposerENS1_16block_id_wrapperIjLb1EEEEE10hipError_tT1_PNSt15iterator_traitsISK_E10value_typeET2_T3_PNSL_ISQ_E10value_typeET4_T5_PSV_SW_PNS1_23onesweep_lookback_stateEbbT6_jjT7_P12ihipStream_tbENKUlT_T0_SK_SP_E_clIPtSE_SF_SF_EEDaS13_S14_SK_SP_EUlS13_E_NS1_11comp_targetILNS1_3genE4ELNS1_11target_archE910ELNS1_3gpuE8ELNS1_3repE0EEENS1_47radix_sort_onesweep_sort_config_static_selectorELNS0_4arch9wavefront6targetE1EEEvSK_: ; @_ZN7rocprim17ROCPRIM_400000_NS6detail17trampoline_kernelINS0_14default_configENS1_35radix_sort_onesweep_config_selectorItNS0_10empty_typeEEEZZNS1_29radix_sort_onesweep_iterationIS3_Lb0EN6thrust23THRUST_200600_302600_NS6detail15normal_iteratorINS9_10device_ptrItEEEESE_PS5_SF_jNS0_19identity_decomposerENS1_16block_id_wrapperIjLb1EEEEE10hipError_tT1_PNSt15iterator_traitsISK_E10value_typeET2_T3_PNSL_ISQ_E10value_typeET4_T5_PSV_SW_PNS1_23onesweep_lookback_stateEbbT6_jjT7_P12ihipStream_tbENKUlT_T0_SK_SP_E_clIPtSE_SF_SF_EEDaS13_S14_SK_SP_EUlS13_E_NS1_11comp_targetILNS1_3genE4ELNS1_11target_archE910ELNS1_3gpuE8ELNS1_3repE0EEENS1_47radix_sort_onesweep_sort_config_static_selectorELNS0_4arch9wavefront6targetE1EEEvSK_
; %bb.0:
	.section	.rodata,"a",@progbits
	.p2align	6, 0x0
	.amdhsa_kernel _ZN7rocprim17ROCPRIM_400000_NS6detail17trampoline_kernelINS0_14default_configENS1_35radix_sort_onesweep_config_selectorItNS0_10empty_typeEEEZZNS1_29radix_sort_onesweep_iterationIS3_Lb0EN6thrust23THRUST_200600_302600_NS6detail15normal_iteratorINS9_10device_ptrItEEEESE_PS5_SF_jNS0_19identity_decomposerENS1_16block_id_wrapperIjLb1EEEEE10hipError_tT1_PNSt15iterator_traitsISK_E10value_typeET2_T3_PNSL_ISQ_E10value_typeET4_T5_PSV_SW_PNS1_23onesweep_lookback_stateEbbT6_jjT7_P12ihipStream_tbENKUlT_T0_SK_SP_E_clIPtSE_SF_SF_EEDaS13_S14_SK_SP_EUlS13_E_NS1_11comp_targetILNS1_3genE4ELNS1_11target_archE910ELNS1_3gpuE8ELNS1_3repE0EEENS1_47radix_sort_onesweep_sort_config_static_selectorELNS0_4arch9wavefront6targetE1EEEvSK_
		.amdhsa_group_segment_fixed_size 0
		.amdhsa_private_segment_fixed_size 0
		.amdhsa_kernarg_size 88
		.amdhsa_user_sgpr_count 2
		.amdhsa_user_sgpr_dispatch_ptr 0
		.amdhsa_user_sgpr_queue_ptr 0
		.amdhsa_user_sgpr_kernarg_segment_ptr 1
		.amdhsa_user_sgpr_dispatch_id 0
		.amdhsa_user_sgpr_kernarg_preload_length 0
		.amdhsa_user_sgpr_kernarg_preload_offset 0
		.amdhsa_user_sgpr_private_segment_size 0
		.amdhsa_uses_dynamic_stack 0
		.amdhsa_enable_private_segment 0
		.amdhsa_system_sgpr_workgroup_id_x 1
		.amdhsa_system_sgpr_workgroup_id_y 0
		.amdhsa_system_sgpr_workgroup_id_z 0
		.amdhsa_system_sgpr_workgroup_info 0
		.amdhsa_system_vgpr_workitem_id 0
		.amdhsa_next_free_vgpr 1
		.amdhsa_next_free_sgpr 0
		.amdhsa_accum_offset 4
		.amdhsa_reserve_vcc 0
		.amdhsa_float_round_mode_32 0
		.amdhsa_float_round_mode_16_64 0
		.amdhsa_float_denorm_mode_32 3
		.amdhsa_float_denorm_mode_16_64 3
		.amdhsa_dx10_clamp 1
		.amdhsa_ieee_mode 1
		.amdhsa_fp16_overflow 0
		.amdhsa_tg_split 0
		.amdhsa_exception_fp_ieee_invalid_op 0
		.amdhsa_exception_fp_denorm_src 0
		.amdhsa_exception_fp_ieee_div_zero 0
		.amdhsa_exception_fp_ieee_overflow 0
		.amdhsa_exception_fp_ieee_underflow 0
		.amdhsa_exception_fp_ieee_inexact 0
		.amdhsa_exception_int_div_zero 0
	.end_amdhsa_kernel
	.section	.text._ZN7rocprim17ROCPRIM_400000_NS6detail17trampoline_kernelINS0_14default_configENS1_35radix_sort_onesweep_config_selectorItNS0_10empty_typeEEEZZNS1_29radix_sort_onesweep_iterationIS3_Lb0EN6thrust23THRUST_200600_302600_NS6detail15normal_iteratorINS9_10device_ptrItEEEESE_PS5_SF_jNS0_19identity_decomposerENS1_16block_id_wrapperIjLb1EEEEE10hipError_tT1_PNSt15iterator_traitsISK_E10value_typeET2_T3_PNSL_ISQ_E10value_typeET4_T5_PSV_SW_PNS1_23onesweep_lookback_stateEbbT6_jjT7_P12ihipStream_tbENKUlT_T0_SK_SP_E_clIPtSE_SF_SF_EEDaS13_S14_SK_SP_EUlS13_E_NS1_11comp_targetILNS1_3genE4ELNS1_11target_archE910ELNS1_3gpuE8ELNS1_3repE0EEENS1_47radix_sort_onesweep_sort_config_static_selectorELNS0_4arch9wavefront6targetE1EEEvSK_,"axG",@progbits,_ZN7rocprim17ROCPRIM_400000_NS6detail17trampoline_kernelINS0_14default_configENS1_35radix_sort_onesweep_config_selectorItNS0_10empty_typeEEEZZNS1_29radix_sort_onesweep_iterationIS3_Lb0EN6thrust23THRUST_200600_302600_NS6detail15normal_iteratorINS9_10device_ptrItEEEESE_PS5_SF_jNS0_19identity_decomposerENS1_16block_id_wrapperIjLb1EEEEE10hipError_tT1_PNSt15iterator_traitsISK_E10value_typeET2_T3_PNSL_ISQ_E10value_typeET4_T5_PSV_SW_PNS1_23onesweep_lookback_stateEbbT6_jjT7_P12ihipStream_tbENKUlT_T0_SK_SP_E_clIPtSE_SF_SF_EEDaS13_S14_SK_SP_EUlS13_E_NS1_11comp_targetILNS1_3genE4ELNS1_11target_archE910ELNS1_3gpuE8ELNS1_3repE0EEENS1_47radix_sort_onesweep_sort_config_static_selectorELNS0_4arch9wavefront6targetE1EEEvSK_,comdat
.Lfunc_end1360:
	.size	_ZN7rocprim17ROCPRIM_400000_NS6detail17trampoline_kernelINS0_14default_configENS1_35radix_sort_onesweep_config_selectorItNS0_10empty_typeEEEZZNS1_29radix_sort_onesweep_iterationIS3_Lb0EN6thrust23THRUST_200600_302600_NS6detail15normal_iteratorINS9_10device_ptrItEEEESE_PS5_SF_jNS0_19identity_decomposerENS1_16block_id_wrapperIjLb1EEEEE10hipError_tT1_PNSt15iterator_traitsISK_E10value_typeET2_T3_PNSL_ISQ_E10value_typeET4_T5_PSV_SW_PNS1_23onesweep_lookback_stateEbbT6_jjT7_P12ihipStream_tbENKUlT_T0_SK_SP_E_clIPtSE_SF_SF_EEDaS13_S14_SK_SP_EUlS13_E_NS1_11comp_targetILNS1_3genE4ELNS1_11target_archE910ELNS1_3gpuE8ELNS1_3repE0EEENS1_47radix_sort_onesweep_sort_config_static_selectorELNS0_4arch9wavefront6targetE1EEEvSK_, .Lfunc_end1360-_ZN7rocprim17ROCPRIM_400000_NS6detail17trampoline_kernelINS0_14default_configENS1_35radix_sort_onesweep_config_selectorItNS0_10empty_typeEEEZZNS1_29radix_sort_onesweep_iterationIS3_Lb0EN6thrust23THRUST_200600_302600_NS6detail15normal_iteratorINS9_10device_ptrItEEEESE_PS5_SF_jNS0_19identity_decomposerENS1_16block_id_wrapperIjLb1EEEEE10hipError_tT1_PNSt15iterator_traitsISK_E10value_typeET2_T3_PNSL_ISQ_E10value_typeET4_T5_PSV_SW_PNS1_23onesweep_lookback_stateEbbT6_jjT7_P12ihipStream_tbENKUlT_T0_SK_SP_E_clIPtSE_SF_SF_EEDaS13_S14_SK_SP_EUlS13_E_NS1_11comp_targetILNS1_3genE4ELNS1_11target_archE910ELNS1_3gpuE8ELNS1_3repE0EEENS1_47radix_sort_onesweep_sort_config_static_selectorELNS0_4arch9wavefront6targetE1EEEvSK_
                                        ; -- End function
	.section	.AMDGPU.csdata,"",@progbits
; Kernel info:
; codeLenInByte = 0
; NumSgprs: 6
; NumVgprs: 0
; NumAgprs: 0
; TotalNumVgprs: 0
; ScratchSize: 0
; MemoryBound: 0
; FloatMode: 240
; IeeeMode: 1
; LDSByteSize: 0 bytes/workgroup (compile time only)
; SGPRBlocks: 0
; VGPRBlocks: 0
; NumSGPRsForWavesPerEU: 6
; NumVGPRsForWavesPerEU: 1
; AccumOffset: 4
; Occupancy: 8
; WaveLimiterHint : 0
; COMPUTE_PGM_RSRC2:SCRATCH_EN: 0
; COMPUTE_PGM_RSRC2:USER_SGPR: 2
; COMPUTE_PGM_RSRC2:TRAP_HANDLER: 0
; COMPUTE_PGM_RSRC2:TGID_X_EN: 1
; COMPUTE_PGM_RSRC2:TGID_Y_EN: 0
; COMPUTE_PGM_RSRC2:TGID_Z_EN: 0
; COMPUTE_PGM_RSRC2:TIDIG_COMP_CNT: 0
; COMPUTE_PGM_RSRC3_GFX90A:ACCUM_OFFSET: 0
; COMPUTE_PGM_RSRC3_GFX90A:TG_SPLIT: 0
	.section	.text._ZN7rocprim17ROCPRIM_400000_NS6detail17trampoline_kernelINS0_14default_configENS1_35radix_sort_onesweep_config_selectorItNS0_10empty_typeEEEZZNS1_29radix_sort_onesweep_iterationIS3_Lb0EN6thrust23THRUST_200600_302600_NS6detail15normal_iteratorINS9_10device_ptrItEEEESE_PS5_SF_jNS0_19identity_decomposerENS1_16block_id_wrapperIjLb1EEEEE10hipError_tT1_PNSt15iterator_traitsISK_E10value_typeET2_T3_PNSL_ISQ_E10value_typeET4_T5_PSV_SW_PNS1_23onesweep_lookback_stateEbbT6_jjT7_P12ihipStream_tbENKUlT_T0_SK_SP_E_clIPtSE_SF_SF_EEDaS13_S14_SK_SP_EUlS13_E_NS1_11comp_targetILNS1_3genE3ELNS1_11target_archE908ELNS1_3gpuE7ELNS1_3repE0EEENS1_47radix_sort_onesweep_sort_config_static_selectorELNS0_4arch9wavefront6targetE1EEEvSK_,"axG",@progbits,_ZN7rocprim17ROCPRIM_400000_NS6detail17trampoline_kernelINS0_14default_configENS1_35radix_sort_onesweep_config_selectorItNS0_10empty_typeEEEZZNS1_29radix_sort_onesweep_iterationIS3_Lb0EN6thrust23THRUST_200600_302600_NS6detail15normal_iteratorINS9_10device_ptrItEEEESE_PS5_SF_jNS0_19identity_decomposerENS1_16block_id_wrapperIjLb1EEEEE10hipError_tT1_PNSt15iterator_traitsISK_E10value_typeET2_T3_PNSL_ISQ_E10value_typeET4_T5_PSV_SW_PNS1_23onesweep_lookback_stateEbbT6_jjT7_P12ihipStream_tbENKUlT_T0_SK_SP_E_clIPtSE_SF_SF_EEDaS13_S14_SK_SP_EUlS13_E_NS1_11comp_targetILNS1_3genE3ELNS1_11target_archE908ELNS1_3gpuE7ELNS1_3repE0EEENS1_47radix_sort_onesweep_sort_config_static_selectorELNS0_4arch9wavefront6targetE1EEEvSK_,comdat
	.protected	_ZN7rocprim17ROCPRIM_400000_NS6detail17trampoline_kernelINS0_14default_configENS1_35radix_sort_onesweep_config_selectorItNS0_10empty_typeEEEZZNS1_29radix_sort_onesweep_iterationIS3_Lb0EN6thrust23THRUST_200600_302600_NS6detail15normal_iteratorINS9_10device_ptrItEEEESE_PS5_SF_jNS0_19identity_decomposerENS1_16block_id_wrapperIjLb1EEEEE10hipError_tT1_PNSt15iterator_traitsISK_E10value_typeET2_T3_PNSL_ISQ_E10value_typeET4_T5_PSV_SW_PNS1_23onesweep_lookback_stateEbbT6_jjT7_P12ihipStream_tbENKUlT_T0_SK_SP_E_clIPtSE_SF_SF_EEDaS13_S14_SK_SP_EUlS13_E_NS1_11comp_targetILNS1_3genE3ELNS1_11target_archE908ELNS1_3gpuE7ELNS1_3repE0EEENS1_47radix_sort_onesweep_sort_config_static_selectorELNS0_4arch9wavefront6targetE1EEEvSK_ ; -- Begin function _ZN7rocprim17ROCPRIM_400000_NS6detail17trampoline_kernelINS0_14default_configENS1_35radix_sort_onesweep_config_selectorItNS0_10empty_typeEEEZZNS1_29radix_sort_onesweep_iterationIS3_Lb0EN6thrust23THRUST_200600_302600_NS6detail15normal_iteratorINS9_10device_ptrItEEEESE_PS5_SF_jNS0_19identity_decomposerENS1_16block_id_wrapperIjLb1EEEEE10hipError_tT1_PNSt15iterator_traitsISK_E10value_typeET2_T3_PNSL_ISQ_E10value_typeET4_T5_PSV_SW_PNS1_23onesweep_lookback_stateEbbT6_jjT7_P12ihipStream_tbENKUlT_T0_SK_SP_E_clIPtSE_SF_SF_EEDaS13_S14_SK_SP_EUlS13_E_NS1_11comp_targetILNS1_3genE3ELNS1_11target_archE908ELNS1_3gpuE7ELNS1_3repE0EEENS1_47radix_sort_onesweep_sort_config_static_selectorELNS0_4arch9wavefront6targetE1EEEvSK_
	.globl	_ZN7rocprim17ROCPRIM_400000_NS6detail17trampoline_kernelINS0_14default_configENS1_35radix_sort_onesweep_config_selectorItNS0_10empty_typeEEEZZNS1_29radix_sort_onesweep_iterationIS3_Lb0EN6thrust23THRUST_200600_302600_NS6detail15normal_iteratorINS9_10device_ptrItEEEESE_PS5_SF_jNS0_19identity_decomposerENS1_16block_id_wrapperIjLb1EEEEE10hipError_tT1_PNSt15iterator_traitsISK_E10value_typeET2_T3_PNSL_ISQ_E10value_typeET4_T5_PSV_SW_PNS1_23onesweep_lookback_stateEbbT6_jjT7_P12ihipStream_tbENKUlT_T0_SK_SP_E_clIPtSE_SF_SF_EEDaS13_S14_SK_SP_EUlS13_E_NS1_11comp_targetILNS1_3genE3ELNS1_11target_archE908ELNS1_3gpuE7ELNS1_3repE0EEENS1_47radix_sort_onesweep_sort_config_static_selectorELNS0_4arch9wavefront6targetE1EEEvSK_
	.p2align	8
	.type	_ZN7rocprim17ROCPRIM_400000_NS6detail17trampoline_kernelINS0_14default_configENS1_35radix_sort_onesweep_config_selectorItNS0_10empty_typeEEEZZNS1_29radix_sort_onesweep_iterationIS3_Lb0EN6thrust23THRUST_200600_302600_NS6detail15normal_iteratorINS9_10device_ptrItEEEESE_PS5_SF_jNS0_19identity_decomposerENS1_16block_id_wrapperIjLb1EEEEE10hipError_tT1_PNSt15iterator_traitsISK_E10value_typeET2_T3_PNSL_ISQ_E10value_typeET4_T5_PSV_SW_PNS1_23onesweep_lookback_stateEbbT6_jjT7_P12ihipStream_tbENKUlT_T0_SK_SP_E_clIPtSE_SF_SF_EEDaS13_S14_SK_SP_EUlS13_E_NS1_11comp_targetILNS1_3genE3ELNS1_11target_archE908ELNS1_3gpuE7ELNS1_3repE0EEENS1_47radix_sort_onesweep_sort_config_static_selectorELNS0_4arch9wavefront6targetE1EEEvSK_,@function
_ZN7rocprim17ROCPRIM_400000_NS6detail17trampoline_kernelINS0_14default_configENS1_35radix_sort_onesweep_config_selectorItNS0_10empty_typeEEEZZNS1_29radix_sort_onesweep_iterationIS3_Lb0EN6thrust23THRUST_200600_302600_NS6detail15normal_iteratorINS9_10device_ptrItEEEESE_PS5_SF_jNS0_19identity_decomposerENS1_16block_id_wrapperIjLb1EEEEE10hipError_tT1_PNSt15iterator_traitsISK_E10value_typeET2_T3_PNSL_ISQ_E10value_typeET4_T5_PSV_SW_PNS1_23onesweep_lookback_stateEbbT6_jjT7_P12ihipStream_tbENKUlT_T0_SK_SP_E_clIPtSE_SF_SF_EEDaS13_S14_SK_SP_EUlS13_E_NS1_11comp_targetILNS1_3genE3ELNS1_11target_archE908ELNS1_3gpuE7ELNS1_3repE0EEENS1_47radix_sort_onesweep_sort_config_static_selectorELNS0_4arch9wavefront6targetE1EEEvSK_: ; @_ZN7rocprim17ROCPRIM_400000_NS6detail17trampoline_kernelINS0_14default_configENS1_35radix_sort_onesweep_config_selectorItNS0_10empty_typeEEEZZNS1_29radix_sort_onesweep_iterationIS3_Lb0EN6thrust23THRUST_200600_302600_NS6detail15normal_iteratorINS9_10device_ptrItEEEESE_PS5_SF_jNS0_19identity_decomposerENS1_16block_id_wrapperIjLb1EEEEE10hipError_tT1_PNSt15iterator_traitsISK_E10value_typeET2_T3_PNSL_ISQ_E10value_typeET4_T5_PSV_SW_PNS1_23onesweep_lookback_stateEbbT6_jjT7_P12ihipStream_tbENKUlT_T0_SK_SP_E_clIPtSE_SF_SF_EEDaS13_S14_SK_SP_EUlS13_E_NS1_11comp_targetILNS1_3genE3ELNS1_11target_archE908ELNS1_3gpuE7ELNS1_3repE0EEENS1_47radix_sort_onesweep_sort_config_static_selectorELNS0_4arch9wavefront6targetE1EEEvSK_
; %bb.0:
	.section	.rodata,"a",@progbits
	.p2align	6, 0x0
	.amdhsa_kernel _ZN7rocprim17ROCPRIM_400000_NS6detail17trampoline_kernelINS0_14default_configENS1_35radix_sort_onesweep_config_selectorItNS0_10empty_typeEEEZZNS1_29radix_sort_onesweep_iterationIS3_Lb0EN6thrust23THRUST_200600_302600_NS6detail15normal_iteratorINS9_10device_ptrItEEEESE_PS5_SF_jNS0_19identity_decomposerENS1_16block_id_wrapperIjLb1EEEEE10hipError_tT1_PNSt15iterator_traitsISK_E10value_typeET2_T3_PNSL_ISQ_E10value_typeET4_T5_PSV_SW_PNS1_23onesweep_lookback_stateEbbT6_jjT7_P12ihipStream_tbENKUlT_T0_SK_SP_E_clIPtSE_SF_SF_EEDaS13_S14_SK_SP_EUlS13_E_NS1_11comp_targetILNS1_3genE3ELNS1_11target_archE908ELNS1_3gpuE7ELNS1_3repE0EEENS1_47radix_sort_onesweep_sort_config_static_selectorELNS0_4arch9wavefront6targetE1EEEvSK_
		.amdhsa_group_segment_fixed_size 0
		.amdhsa_private_segment_fixed_size 0
		.amdhsa_kernarg_size 88
		.amdhsa_user_sgpr_count 2
		.amdhsa_user_sgpr_dispatch_ptr 0
		.amdhsa_user_sgpr_queue_ptr 0
		.amdhsa_user_sgpr_kernarg_segment_ptr 1
		.amdhsa_user_sgpr_dispatch_id 0
		.amdhsa_user_sgpr_kernarg_preload_length 0
		.amdhsa_user_sgpr_kernarg_preload_offset 0
		.amdhsa_user_sgpr_private_segment_size 0
		.amdhsa_uses_dynamic_stack 0
		.amdhsa_enable_private_segment 0
		.amdhsa_system_sgpr_workgroup_id_x 1
		.amdhsa_system_sgpr_workgroup_id_y 0
		.amdhsa_system_sgpr_workgroup_id_z 0
		.amdhsa_system_sgpr_workgroup_info 0
		.amdhsa_system_vgpr_workitem_id 0
		.amdhsa_next_free_vgpr 1
		.amdhsa_next_free_sgpr 0
		.amdhsa_accum_offset 4
		.amdhsa_reserve_vcc 0
		.amdhsa_float_round_mode_32 0
		.amdhsa_float_round_mode_16_64 0
		.amdhsa_float_denorm_mode_32 3
		.amdhsa_float_denorm_mode_16_64 3
		.amdhsa_dx10_clamp 1
		.amdhsa_ieee_mode 1
		.amdhsa_fp16_overflow 0
		.amdhsa_tg_split 0
		.amdhsa_exception_fp_ieee_invalid_op 0
		.amdhsa_exception_fp_denorm_src 0
		.amdhsa_exception_fp_ieee_div_zero 0
		.amdhsa_exception_fp_ieee_overflow 0
		.amdhsa_exception_fp_ieee_underflow 0
		.amdhsa_exception_fp_ieee_inexact 0
		.amdhsa_exception_int_div_zero 0
	.end_amdhsa_kernel
	.section	.text._ZN7rocprim17ROCPRIM_400000_NS6detail17trampoline_kernelINS0_14default_configENS1_35radix_sort_onesweep_config_selectorItNS0_10empty_typeEEEZZNS1_29radix_sort_onesweep_iterationIS3_Lb0EN6thrust23THRUST_200600_302600_NS6detail15normal_iteratorINS9_10device_ptrItEEEESE_PS5_SF_jNS0_19identity_decomposerENS1_16block_id_wrapperIjLb1EEEEE10hipError_tT1_PNSt15iterator_traitsISK_E10value_typeET2_T3_PNSL_ISQ_E10value_typeET4_T5_PSV_SW_PNS1_23onesweep_lookback_stateEbbT6_jjT7_P12ihipStream_tbENKUlT_T0_SK_SP_E_clIPtSE_SF_SF_EEDaS13_S14_SK_SP_EUlS13_E_NS1_11comp_targetILNS1_3genE3ELNS1_11target_archE908ELNS1_3gpuE7ELNS1_3repE0EEENS1_47radix_sort_onesweep_sort_config_static_selectorELNS0_4arch9wavefront6targetE1EEEvSK_,"axG",@progbits,_ZN7rocprim17ROCPRIM_400000_NS6detail17trampoline_kernelINS0_14default_configENS1_35radix_sort_onesweep_config_selectorItNS0_10empty_typeEEEZZNS1_29radix_sort_onesweep_iterationIS3_Lb0EN6thrust23THRUST_200600_302600_NS6detail15normal_iteratorINS9_10device_ptrItEEEESE_PS5_SF_jNS0_19identity_decomposerENS1_16block_id_wrapperIjLb1EEEEE10hipError_tT1_PNSt15iterator_traitsISK_E10value_typeET2_T3_PNSL_ISQ_E10value_typeET4_T5_PSV_SW_PNS1_23onesweep_lookback_stateEbbT6_jjT7_P12ihipStream_tbENKUlT_T0_SK_SP_E_clIPtSE_SF_SF_EEDaS13_S14_SK_SP_EUlS13_E_NS1_11comp_targetILNS1_3genE3ELNS1_11target_archE908ELNS1_3gpuE7ELNS1_3repE0EEENS1_47radix_sort_onesweep_sort_config_static_selectorELNS0_4arch9wavefront6targetE1EEEvSK_,comdat
.Lfunc_end1361:
	.size	_ZN7rocprim17ROCPRIM_400000_NS6detail17trampoline_kernelINS0_14default_configENS1_35radix_sort_onesweep_config_selectorItNS0_10empty_typeEEEZZNS1_29radix_sort_onesweep_iterationIS3_Lb0EN6thrust23THRUST_200600_302600_NS6detail15normal_iteratorINS9_10device_ptrItEEEESE_PS5_SF_jNS0_19identity_decomposerENS1_16block_id_wrapperIjLb1EEEEE10hipError_tT1_PNSt15iterator_traitsISK_E10value_typeET2_T3_PNSL_ISQ_E10value_typeET4_T5_PSV_SW_PNS1_23onesweep_lookback_stateEbbT6_jjT7_P12ihipStream_tbENKUlT_T0_SK_SP_E_clIPtSE_SF_SF_EEDaS13_S14_SK_SP_EUlS13_E_NS1_11comp_targetILNS1_3genE3ELNS1_11target_archE908ELNS1_3gpuE7ELNS1_3repE0EEENS1_47radix_sort_onesweep_sort_config_static_selectorELNS0_4arch9wavefront6targetE1EEEvSK_, .Lfunc_end1361-_ZN7rocprim17ROCPRIM_400000_NS6detail17trampoline_kernelINS0_14default_configENS1_35radix_sort_onesweep_config_selectorItNS0_10empty_typeEEEZZNS1_29radix_sort_onesweep_iterationIS3_Lb0EN6thrust23THRUST_200600_302600_NS6detail15normal_iteratorINS9_10device_ptrItEEEESE_PS5_SF_jNS0_19identity_decomposerENS1_16block_id_wrapperIjLb1EEEEE10hipError_tT1_PNSt15iterator_traitsISK_E10value_typeET2_T3_PNSL_ISQ_E10value_typeET4_T5_PSV_SW_PNS1_23onesweep_lookback_stateEbbT6_jjT7_P12ihipStream_tbENKUlT_T0_SK_SP_E_clIPtSE_SF_SF_EEDaS13_S14_SK_SP_EUlS13_E_NS1_11comp_targetILNS1_3genE3ELNS1_11target_archE908ELNS1_3gpuE7ELNS1_3repE0EEENS1_47radix_sort_onesweep_sort_config_static_selectorELNS0_4arch9wavefront6targetE1EEEvSK_
                                        ; -- End function
	.section	.AMDGPU.csdata,"",@progbits
; Kernel info:
; codeLenInByte = 0
; NumSgprs: 6
; NumVgprs: 0
; NumAgprs: 0
; TotalNumVgprs: 0
; ScratchSize: 0
; MemoryBound: 0
; FloatMode: 240
; IeeeMode: 1
; LDSByteSize: 0 bytes/workgroup (compile time only)
; SGPRBlocks: 0
; VGPRBlocks: 0
; NumSGPRsForWavesPerEU: 6
; NumVGPRsForWavesPerEU: 1
; AccumOffset: 4
; Occupancy: 8
; WaveLimiterHint : 0
; COMPUTE_PGM_RSRC2:SCRATCH_EN: 0
; COMPUTE_PGM_RSRC2:USER_SGPR: 2
; COMPUTE_PGM_RSRC2:TRAP_HANDLER: 0
; COMPUTE_PGM_RSRC2:TGID_X_EN: 1
; COMPUTE_PGM_RSRC2:TGID_Y_EN: 0
; COMPUTE_PGM_RSRC2:TGID_Z_EN: 0
; COMPUTE_PGM_RSRC2:TIDIG_COMP_CNT: 0
; COMPUTE_PGM_RSRC3_GFX90A:ACCUM_OFFSET: 0
; COMPUTE_PGM_RSRC3_GFX90A:TG_SPLIT: 0
	.section	.text._ZN7rocprim17ROCPRIM_400000_NS6detail17trampoline_kernelINS0_14default_configENS1_35radix_sort_onesweep_config_selectorItNS0_10empty_typeEEEZZNS1_29radix_sort_onesweep_iterationIS3_Lb0EN6thrust23THRUST_200600_302600_NS6detail15normal_iteratorINS9_10device_ptrItEEEESE_PS5_SF_jNS0_19identity_decomposerENS1_16block_id_wrapperIjLb1EEEEE10hipError_tT1_PNSt15iterator_traitsISK_E10value_typeET2_T3_PNSL_ISQ_E10value_typeET4_T5_PSV_SW_PNS1_23onesweep_lookback_stateEbbT6_jjT7_P12ihipStream_tbENKUlT_T0_SK_SP_E_clIPtSE_SF_SF_EEDaS13_S14_SK_SP_EUlS13_E_NS1_11comp_targetILNS1_3genE10ELNS1_11target_archE1201ELNS1_3gpuE5ELNS1_3repE0EEENS1_47radix_sort_onesweep_sort_config_static_selectorELNS0_4arch9wavefront6targetE1EEEvSK_,"axG",@progbits,_ZN7rocprim17ROCPRIM_400000_NS6detail17trampoline_kernelINS0_14default_configENS1_35radix_sort_onesweep_config_selectorItNS0_10empty_typeEEEZZNS1_29radix_sort_onesweep_iterationIS3_Lb0EN6thrust23THRUST_200600_302600_NS6detail15normal_iteratorINS9_10device_ptrItEEEESE_PS5_SF_jNS0_19identity_decomposerENS1_16block_id_wrapperIjLb1EEEEE10hipError_tT1_PNSt15iterator_traitsISK_E10value_typeET2_T3_PNSL_ISQ_E10value_typeET4_T5_PSV_SW_PNS1_23onesweep_lookback_stateEbbT6_jjT7_P12ihipStream_tbENKUlT_T0_SK_SP_E_clIPtSE_SF_SF_EEDaS13_S14_SK_SP_EUlS13_E_NS1_11comp_targetILNS1_3genE10ELNS1_11target_archE1201ELNS1_3gpuE5ELNS1_3repE0EEENS1_47radix_sort_onesweep_sort_config_static_selectorELNS0_4arch9wavefront6targetE1EEEvSK_,comdat
	.protected	_ZN7rocprim17ROCPRIM_400000_NS6detail17trampoline_kernelINS0_14default_configENS1_35radix_sort_onesweep_config_selectorItNS0_10empty_typeEEEZZNS1_29radix_sort_onesweep_iterationIS3_Lb0EN6thrust23THRUST_200600_302600_NS6detail15normal_iteratorINS9_10device_ptrItEEEESE_PS5_SF_jNS0_19identity_decomposerENS1_16block_id_wrapperIjLb1EEEEE10hipError_tT1_PNSt15iterator_traitsISK_E10value_typeET2_T3_PNSL_ISQ_E10value_typeET4_T5_PSV_SW_PNS1_23onesweep_lookback_stateEbbT6_jjT7_P12ihipStream_tbENKUlT_T0_SK_SP_E_clIPtSE_SF_SF_EEDaS13_S14_SK_SP_EUlS13_E_NS1_11comp_targetILNS1_3genE10ELNS1_11target_archE1201ELNS1_3gpuE5ELNS1_3repE0EEENS1_47radix_sort_onesweep_sort_config_static_selectorELNS0_4arch9wavefront6targetE1EEEvSK_ ; -- Begin function _ZN7rocprim17ROCPRIM_400000_NS6detail17trampoline_kernelINS0_14default_configENS1_35radix_sort_onesweep_config_selectorItNS0_10empty_typeEEEZZNS1_29radix_sort_onesweep_iterationIS3_Lb0EN6thrust23THRUST_200600_302600_NS6detail15normal_iteratorINS9_10device_ptrItEEEESE_PS5_SF_jNS0_19identity_decomposerENS1_16block_id_wrapperIjLb1EEEEE10hipError_tT1_PNSt15iterator_traitsISK_E10value_typeET2_T3_PNSL_ISQ_E10value_typeET4_T5_PSV_SW_PNS1_23onesweep_lookback_stateEbbT6_jjT7_P12ihipStream_tbENKUlT_T0_SK_SP_E_clIPtSE_SF_SF_EEDaS13_S14_SK_SP_EUlS13_E_NS1_11comp_targetILNS1_3genE10ELNS1_11target_archE1201ELNS1_3gpuE5ELNS1_3repE0EEENS1_47radix_sort_onesweep_sort_config_static_selectorELNS0_4arch9wavefront6targetE1EEEvSK_
	.globl	_ZN7rocprim17ROCPRIM_400000_NS6detail17trampoline_kernelINS0_14default_configENS1_35radix_sort_onesweep_config_selectorItNS0_10empty_typeEEEZZNS1_29radix_sort_onesweep_iterationIS3_Lb0EN6thrust23THRUST_200600_302600_NS6detail15normal_iteratorINS9_10device_ptrItEEEESE_PS5_SF_jNS0_19identity_decomposerENS1_16block_id_wrapperIjLb1EEEEE10hipError_tT1_PNSt15iterator_traitsISK_E10value_typeET2_T3_PNSL_ISQ_E10value_typeET4_T5_PSV_SW_PNS1_23onesweep_lookback_stateEbbT6_jjT7_P12ihipStream_tbENKUlT_T0_SK_SP_E_clIPtSE_SF_SF_EEDaS13_S14_SK_SP_EUlS13_E_NS1_11comp_targetILNS1_3genE10ELNS1_11target_archE1201ELNS1_3gpuE5ELNS1_3repE0EEENS1_47radix_sort_onesweep_sort_config_static_selectorELNS0_4arch9wavefront6targetE1EEEvSK_
	.p2align	8
	.type	_ZN7rocprim17ROCPRIM_400000_NS6detail17trampoline_kernelINS0_14default_configENS1_35radix_sort_onesweep_config_selectorItNS0_10empty_typeEEEZZNS1_29radix_sort_onesweep_iterationIS3_Lb0EN6thrust23THRUST_200600_302600_NS6detail15normal_iteratorINS9_10device_ptrItEEEESE_PS5_SF_jNS0_19identity_decomposerENS1_16block_id_wrapperIjLb1EEEEE10hipError_tT1_PNSt15iterator_traitsISK_E10value_typeET2_T3_PNSL_ISQ_E10value_typeET4_T5_PSV_SW_PNS1_23onesweep_lookback_stateEbbT6_jjT7_P12ihipStream_tbENKUlT_T0_SK_SP_E_clIPtSE_SF_SF_EEDaS13_S14_SK_SP_EUlS13_E_NS1_11comp_targetILNS1_3genE10ELNS1_11target_archE1201ELNS1_3gpuE5ELNS1_3repE0EEENS1_47radix_sort_onesweep_sort_config_static_selectorELNS0_4arch9wavefront6targetE1EEEvSK_,@function
_ZN7rocprim17ROCPRIM_400000_NS6detail17trampoline_kernelINS0_14default_configENS1_35radix_sort_onesweep_config_selectorItNS0_10empty_typeEEEZZNS1_29radix_sort_onesweep_iterationIS3_Lb0EN6thrust23THRUST_200600_302600_NS6detail15normal_iteratorINS9_10device_ptrItEEEESE_PS5_SF_jNS0_19identity_decomposerENS1_16block_id_wrapperIjLb1EEEEE10hipError_tT1_PNSt15iterator_traitsISK_E10value_typeET2_T3_PNSL_ISQ_E10value_typeET4_T5_PSV_SW_PNS1_23onesweep_lookback_stateEbbT6_jjT7_P12ihipStream_tbENKUlT_T0_SK_SP_E_clIPtSE_SF_SF_EEDaS13_S14_SK_SP_EUlS13_E_NS1_11comp_targetILNS1_3genE10ELNS1_11target_archE1201ELNS1_3gpuE5ELNS1_3repE0EEENS1_47radix_sort_onesweep_sort_config_static_selectorELNS0_4arch9wavefront6targetE1EEEvSK_: ; @_ZN7rocprim17ROCPRIM_400000_NS6detail17trampoline_kernelINS0_14default_configENS1_35radix_sort_onesweep_config_selectorItNS0_10empty_typeEEEZZNS1_29radix_sort_onesweep_iterationIS3_Lb0EN6thrust23THRUST_200600_302600_NS6detail15normal_iteratorINS9_10device_ptrItEEEESE_PS5_SF_jNS0_19identity_decomposerENS1_16block_id_wrapperIjLb1EEEEE10hipError_tT1_PNSt15iterator_traitsISK_E10value_typeET2_T3_PNSL_ISQ_E10value_typeET4_T5_PSV_SW_PNS1_23onesweep_lookback_stateEbbT6_jjT7_P12ihipStream_tbENKUlT_T0_SK_SP_E_clIPtSE_SF_SF_EEDaS13_S14_SK_SP_EUlS13_E_NS1_11comp_targetILNS1_3genE10ELNS1_11target_archE1201ELNS1_3gpuE5ELNS1_3repE0EEENS1_47radix_sort_onesweep_sort_config_static_selectorELNS0_4arch9wavefront6targetE1EEEvSK_
; %bb.0:
	.section	.rodata,"a",@progbits
	.p2align	6, 0x0
	.amdhsa_kernel _ZN7rocprim17ROCPRIM_400000_NS6detail17trampoline_kernelINS0_14default_configENS1_35radix_sort_onesweep_config_selectorItNS0_10empty_typeEEEZZNS1_29radix_sort_onesweep_iterationIS3_Lb0EN6thrust23THRUST_200600_302600_NS6detail15normal_iteratorINS9_10device_ptrItEEEESE_PS5_SF_jNS0_19identity_decomposerENS1_16block_id_wrapperIjLb1EEEEE10hipError_tT1_PNSt15iterator_traitsISK_E10value_typeET2_T3_PNSL_ISQ_E10value_typeET4_T5_PSV_SW_PNS1_23onesweep_lookback_stateEbbT6_jjT7_P12ihipStream_tbENKUlT_T0_SK_SP_E_clIPtSE_SF_SF_EEDaS13_S14_SK_SP_EUlS13_E_NS1_11comp_targetILNS1_3genE10ELNS1_11target_archE1201ELNS1_3gpuE5ELNS1_3repE0EEENS1_47radix_sort_onesweep_sort_config_static_selectorELNS0_4arch9wavefront6targetE1EEEvSK_
		.amdhsa_group_segment_fixed_size 0
		.amdhsa_private_segment_fixed_size 0
		.amdhsa_kernarg_size 88
		.amdhsa_user_sgpr_count 2
		.amdhsa_user_sgpr_dispatch_ptr 0
		.amdhsa_user_sgpr_queue_ptr 0
		.amdhsa_user_sgpr_kernarg_segment_ptr 1
		.amdhsa_user_sgpr_dispatch_id 0
		.amdhsa_user_sgpr_kernarg_preload_length 0
		.amdhsa_user_sgpr_kernarg_preload_offset 0
		.amdhsa_user_sgpr_private_segment_size 0
		.amdhsa_uses_dynamic_stack 0
		.amdhsa_enable_private_segment 0
		.amdhsa_system_sgpr_workgroup_id_x 1
		.amdhsa_system_sgpr_workgroup_id_y 0
		.amdhsa_system_sgpr_workgroup_id_z 0
		.amdhsa_system_sgpr_workgroup_info 0
		.amdhsa_system_vgpr_workitem_id 0
		.amdhsa_next_free_vgpr 1
		.amdhsa_next_free_sgpr 0
		.amdhsa_accum_offset 4
		.amdhsa_reserve_vcc 0
		.amdhsa_float_round_mode_32 0
		.amdhsa_float_round_mode_16_64 0
		.amdhsa_float_denorm_mode_32 3
		.amdhsa_float_denorm_mode_16_64 3
		.amdhsa_dx10_clamp 1
		.amdhsa_ieee_mode 1
		.amdhsa_fp16_overflow 0
		.amdhsa_tg_split 0
		.amdhsa_exception_fp_ieee_invalid_op 0
		.amdhsa_exception_fp_denorm_src 0
		.amdhsa_exception_fp_ieee_div_zero 0
		.amdhsa_exception_fp_ieee_overflow 0
		.amdhsa_exception_fp_ieee_underflow 0
		.amdhsa_exception_fp_ieee_inexact 0
		.amdhsa_exception_int_div_zero 0
	.end_amdhsa_kernel
	.section	.text._ZN7rocprim17ROCPRIM_400000_NS6detail17trampoline_kernelINS0_14default_configENS1_35radix_sort_onesweep_config_selectorItNS0_10empty_typeEEEZZNS1_29radix_sort_onesweep_iterationIS3_Lb0EN6thrust23THRUST_200600_302600_NS6detail15normal_iteratorINS9_10device_ptrItEEEESE_PS5_SF_jNS0_19identity_decomposerENS1_16block_id_wrapperIjLb1EEEEE10hipError_tT1_PNSt15iterator_traitsISK_E10value_typeET2_T3_PNSL_ISQ_E10value_typeET4_T5_PSV_SW_PNS1_23onesweep_lookback_stateEbbT6_jjT7_P12ihipStream_tbENKUlT_T0_SK_SP_E_clIPtSE_SF_SF_EEDaS13_S14_SK_SP_EUlS13_E_NS1_11comp_targetILNS1_3genE10ELNS1_11target_archE1201ELNS1_3gpuE5ELNS1_3repE0EEENS1_47radix_sort_onesweep_sort_config_static_selectorELNS0_4arch9wavefront6targetE1EEEvSK_,"axG",@progbits,_ZN7rocprim17ROCPRIM_400000_NS6detail17trampoline_kernelINS0_14default_configENS1_35radix_sort_onesweep_config_selectorItNS0_10empty_typeEEEZZNS1_29radix_sort_onesweep_iterationIS3_Lb0EN6thrust23THRUST_200600_302600_NS6detail15normal_iteratorINS9_10device_ptrItEEEESE_PS5_SF_jNS0_19identity_decomposerENS1_16block_id_wrapperIjLb1EEEEE10hipError_tT1_PNSt15iterator_traitsISK_E10value_typeET2_T3_PNSL_ISQ_E10value_typeET4_T5_PSV_SW_PNS1_23onesweep_lookback_stateEbbT6_jjT7_P12ihipStream_tbENKUlT_T0_SK_SP_E_clIPtSE_SF_SF_EEDaS13_S14_SK_SP_EUlS13_E_NS1_11comp_targetILNS1_3genE10ELNS1_11target_archE1201ELNS1_3gpuE5ELNS1_3repE0EEENS1_47radix_sort_onesweep_sort_config_static_selectorELNS0_4arch9wavefront6targetE1EEEvSK_,comdat
.Lfunc_end1362:
	.size	_ZN7rocprim17ROCPRIM_400000_NS6detail17trampoline_kernelINS0_14default_configENS1_35radix_sort_onesweep_config_selectorItNS0_10empty_typeEEEZZNS1_29radix_sort_onesweep_iterationIS3_Lb0EN6thrust23THRUST_200600_302600_NS6detail15normal_iteratorINS9_10device_ptrItEEEESE_PS5_SF_jNS0_19identity_decomposerENS1_16block_id_wrapperIjLb1EEEEE10hipError_tT1_PNSt15iterator_traitsISK_E10value_typeET2_T3_PNSL_ISQ_E10value_typeET4_T5_PSV_SW_PNS1_23onesweep_lookback_stateEbbT6_jjT7_P12ihipStream_tbENKUlT_T0_SK_SP_E_clIPtSE_SF_SF_EEDaS13_S14_SK_SP_EUlS13_E_NS1_11comp_targetILNS1_3genE10ELNS1_11target_archE1201ELNS1_3gpuE5ELNS1_3repE0EEENS1_47radix_sort_onesweep_sort_config_static_selectorELNS0_4arch9wavefront6targetE1EEEvSK_, .Lfunc_end1362-_ZN7rocprim17ROCPRIM_400000_NS6detail17trampoline_kernelINS0_14default_configENS1_35radix_sort_onesweep_config_selectorItNS0_10empty_typeEEEZZNS1_29radix_sort_onesweep_iterationIS3_Lb0EN6thrust23THRUST_200600_302600_NS6detail15normal_iteratorINS9_10device_ptrItEEEESE_PS5_SF_jNS0_19identity_decomposerENS1_16block_id_wrapperIjLb1EEEEE10hipError_tT1_PNSt15iterator_traitsISK_E10value_typeET2_T3_PNSL_ISQ_E10value_typeET4_T5_PSV_SW_PNS1_23onesweep_lookback_stateEbbT6_jjT7_P12ihipStream_tbENKUlT_T0_SK_SP_E_clIPtSE_SF_SF_EEDaS13_S14_SK_SP_EUlS13_E_NS1_11comp_targetILNS1_3genE10ELNS1_11target_archE1201ELNS1_3gpuE5ELNS1_3repE0EEENS1_47radix_sort_onesweep_sort_config_static_selectorELNS0_4arch9wavefront6targetE1EEEvSK_
                                        ; -- End function
	.section	.AMDGPU.csdata,"",@progbits
; Kernel info:
; codeLenInByte = 0
; NumSgprs: 6
; NumVgprs: 0
; NumAgprs: 0
; TotalNumVgprs: 0
; ScratchSize: 0
; MemoryBound: 0
; FloatMode: 240
; IeeeMode: 1
; LDSByteSize: 0 bytes/workgroup (compile time only)
; SGPRBlocks: 0
; VGPRBlocks: 0
; NumSGPRsForWavesPerEU: 6
; NumVGPRsForWavesPerEU: 1
; AccumOffset: 4
; Occupancy: 8
; WaveLimiterHint : 0
; COMPUTE_PGM_RSRC2:SCRATCH_EN: 0
; COMPUTE_PGM_RSRC2:USER_SGPR: 2
; COMPUTE_PGM_RSRC2:TRAP_HANDLER: 0
; COMPUTE_PGM_RSRC2:TGID_X_EN: 1
; COMPUTE_PGM_RSRC2:TGID_Y_EN: 0
; COMPUTE_PGM_RSRC2:TGID_Z_EN: 0
; COMPUTE_PGM_RSRC2:TIDIG_COMP_CNT: 0
; COMPUTE_PGM_RSRC3_GFX90A:ACCUM_OFFSET: 0
; COMPUTE_PGM_RSRC3_GFX90A:TG_SPLIT: 0
	.section	.text._ZN7rocprim17ROCPRIM_400000_NS6detail17trampoline_kernelINS0_14default_configENS1_35radix_sort_onesweep_config_selectorItNS0_10empty_typeEEEZZNS1_29radix_sort_onesweep_iterationIS3_Lb0EN6thrust23THRUST_200600_302600_NS6detail15normal_iteratorINS9_10device_ptrItEEEESE_PS5_SF_jNS0_19identity_decomposerENS1_16block_id_wrapperIjLb1EEEEE10hipError_tT1_PNSt15iterator_traitsISK_E10value_typeET2_T3_PNSL_ISQ_E10value_typeET4_T5_PSV_SW_PNS1_23onesweep_lookback_stateEbbT6_jjT7_P12ihipStream_tbENKUlT_T0_SK_SP_E_clIPtSE_SF_SF_EEDaS13_S14_SK_SP_EUlS13_E_NS1_11comp_targetILNS1_3genE9ELNS1_11target_archE1100ELNS1_3gpuE3ELNS1_3repE0EEENS1_47radix_sort_onesweep_sort_config_static_selectorELNS0_4arch9wavefront6targetE1EEEvSK_,"axG",@progbits,_ZN7rocprim17ROCPRIM_400000_NS6detail17trampoline_kernelINS0_14default_configENS1_35radix_sort_onesweep_config_selectorItNS0_10empty_typeEEEZZNS1_29radix_sort_onesweep_iterationIS3_Lb0EN6thrust23THRUST_200600_302600_NS6detail15normal_iteratorINS9_10device_ptrItEEEESE_PS5_SF_jNS0_19identity_decomposerENS1_16block_id_wrapperIjLb1EEEEE10hipError_tT1_PNSt15iterator_traitsISK_E10value_typeET2_T3_PNSL_ISQ_E10value_typeET4_T5_PSV_SW_PNS1_23onesweep_lookback_stateEbbT6_jjT7_P12ihipStream_tbENKUlT_T0_SK_SP_E_clIPtSE_SF_SF_EEDaS13_S14_SK_SP_EUlS13_E_NS1_11comp_targetILNS1_3genE9ELNS1_11target_archE1100ELNS1_3gpuE3ELNS1_3repE0EEENS1_47radix_sort_onesweep_sort_config_static_selectorELNS0_4arch9wavefront6targetE1EEEvSK_,comdat
	.protected	_ZN7rocprim17ROCPRIM_400000_NS6detail17trampoline_kernelINS0_14default_configENS1_35radix_sort_onesweep_config_selectorItNS0_10empty_typeEEEZZNS1_29radix_sort_onesweep_iterationIS3_Lb0EN6thrust23THRUST_200600_302600_NS6detail15normal_iteratorINS9_10device_ptrItEEEESE_PS5_SF_jNS0_19identity_decomposerENS1_16block_id_wrapperIjLb1EEEEE10hipError_tT1_PNSt15iterator_traitsISK_E10value_typeET2_T3_PNSL_ISQ_E10value_typeET4_T5_PSV_SW_PNS1_23onesweep_lookback_stateEbbT6_jjT7_P12ihipStream_tbENKUlT_T0_SK_SP_E_clIPtSE_SF_SF_EEDaS13_S14_SK_SP_EUlS13_E_NS1_11comp_targetILNS1_3genE9ELNS1_11target_archE1100ELNS1_3gpuE3ELNS1_3repE0EEENS1_47radix_sort_onesweep_sort_config_static_selectorELNS0_4arch9wavefront6targetE1EEEvSK_ ; -- Begin function _ZN7rocprim17ROCPRIM_400000_NS6detail17trampoline_kernelINS0_14default_configENS1_35radix_sort_onesweep_config_selectorItNS0_10empty_typeEEEZZNS1_29radix_sort_onesweep_iterationIS3_Lb0EN6thrust23THRUST_200600_302600_NS6detail15normal_iteratorINS9_10device_ptrItEEEESE_PS5_SF_jNS0_19identity_decomposerENS1_16block_id_wrapperIjLb1EEEEE10hipError_tT1_PNSt15iterator_traitsISK_E10value_typeET2_T3_PNSL_ISQ_E10value_typeET4_T5_PSV_SW_PNS1_23onesweep_lookback_stateEbbT6_jjT7_P12ihipStream_tbENKUlT_T0_SK_SP_E_clIPtSE_SF_SF_EEDaS13_S14_SK_SP_EUlS13_E_NS1_11comp_targetILNS1_3genE9ELNS1_11target_archE1100ELNS1_3gpuE3ELNS1_3repE0EEENS1_47radix_sort_onesweep_sort_config_static_selectorELNS0_4arch9wavefront6targetE1EEEvSK_
	.globl	_ZN7rocprim17ROCPRIM_400000_NS6detail17trampoline_kernelINS0_14default_configENS1_35radix_sort_onesweep_config_selectorItNS0_10empty_typeEEEZZNS1_29radix_sort_onesweep_iterationIS3_Lb0EN6thrust23THRUST_200600_302600_NS6detail15normal_iteratorINS9_10device_ptrItEEEESE_PS5_SF_jNS0_19identity_decomposerENS1_16block_id_wrapperIjLb1EEEEE10hipError_tT1_PNSt15iterator_traitsISK_E10value_typeET2_T3_PNSL_ISQ_E10value_typeET4_T5_PSV_SW_PNS1_23onesweep_lookback_stateEbbT6_jjT7_P12ihipStream_tbENKUlT_T0_SK_SP_E_clIPtSE_SF_SF_EEDaS13_S14_SK_SP_EUlS13_E_NS1_11comp_targetILNS1_3genE9ELNS1_11target_archE1100ELNS1_3gpuE3ELNS1_3repE0EEENS1_47radix_sort_onesweep_sort_config_static_selectorELNS0_4arch9wavefront6targetE1EEEvSK_
	.p2align	8
	.type	_ZN7rocprim17ROCPRIM_400000_NS6detail17trampoline_kernelINS0_14default_configENS1_35radix_sort_onesweep_config_selectorItNS0_10empty_typeEEEZZNS1_29radix_sort_onesweep_iterationIS3_Lb0EN6thrust23THRUST_200600_302600_NS6detail15normal_iteratorINS9_10device_ptrItEEEESE_PS5_SF_jNS0_19identity_decomposerENS1_16block_id_wrapperIjLb1EEEEE10hipError_tT1_PNSt15iterator_traitsISK_E10value_typeET2_T3_PNSL_ISQ_E10value_typeET4_T5_PSV_SW_PNS1_23onesweep_lookback_stateEbbT6_jjT7_P12ihipStream_tbENKUlT_T0_SK_SP_E_clIPtSE_SF_SF_EEDaS13_S14_SK_SP_EUlS13_E_NS1_11comp_targetILNS1_3genE9ELNS1_11target_archE1100ELNS1_3gpuE3ELNS1_3repE0EEENS1_47radix_sort_onesweep_sort_config_static_selectorELNS0_4arch9wavefront6targetE1EEEvSK_,@function
_ZN7rocprim17ROCPRIM_400000_NS6detail17trampoline_kernelINS0_14default_configENS1_35radix_sort_onesweep_config_selectorItNS0_10empty_typeEEEZZNS1_29radix_sort_onesweep_iterationIS3_Lb0EN6thrust23THRUST_200600_302600_NS6detail15normal_iteratorINS9_10device_ptrItEEEESE_PS5_SF_jNS0_19identity_decomposerENS1_16block_id_wrapperIjLb1EEEEE10hipError_tT1_PNSt15iterator_traitsISK_E10value_typeET2_T3_PNSL_ISQ_E10value_typeET4_T5_PSV_SW_PNS1_23onesweep_lookback_stateEbbT6_jjT7_P12ihipStream_tbENKUlT_T0_SK_SP_E_clIPtSE_SF_SF_EEDaS13_S14_SK_SP_EUlS13_E_NS1_11comp_targetILNS1_3genE9ELNS1_11target_archE1100ELNS1_3gpuE3ELNS1_3repE0EEENS1_47radix_sort_onesweep_sort_config_static_selectorELNS0_4arch9wavefront6targetE1EEEvSK_: ; @_ZN7rocprim17ROCPRIM_400000_NS6detail17trampoline_kernelINS0_14default_configENS1_35radix_sort_onesweep_config_selectorItNS0_10empty_typeEEEZZNS1_29radix_sort_onesweep_iterationIS3_Lb0EN6thrust23THRUST_200600_302600_NS6detail15normal_iteratorINS9_10device_ptrItEEEESE_PS5_SF_jNS0_19identity_decomposerENS1_16block_id_wrapperIjLb1EEEEE10hipError_tT1_PNSt15iterator_traitsISK_E10value_typeET2_T3_PNSL_ISQ_E10value_typeET4_T5_PSV_SW_PNS1_23onesweep_lookback_stateEbbT6_jjT7_P12ihipStream_tbENKUlT_T0_SK_SP_E_clIPtSE_SF_SF_EEDaS13_S14_SK_SP_EUlS13_E_NS1_11comp_targetILNS1_3genE9ELNS1_11target_archE1100ELNS1_3gpuE3ELNS1_3repE0EEENS1_47radix_sort_onesweep_sort_config_static_selectorELNS0_4arch9wavefront6targetE1EEEvSK_
; %bb.0:
	.section	.rodata,"a",@progbits
	.p2align	6, 0x0
	.amdhsa_kernel _ZN7rocprim17ROCPRIM_400000_NS6detail17trampoline_kernelINS0_14default_configENS1_35radix_sort_onesweep_config_selectorItNS0_10empty_typeEEEZZNS1_29radix_sort_onesweep_iterationIS3_Lb0EN6thrust23THRUST_200600_302600_NS6detail15normal_iteratorINS9_10device_ptrItEEEESE_PS5_SF_jNS0_19identity_decomposerENS1_16block_id_wrapperIjLb1EEEEE10hipError_tT1_PNSt15iterator_traitsISK_E10value_typeET2_T3_PNSL_ISQ_E10value_typeET4_T5_PSV_SW_PNS1_23onesweep_lookback_stateEbbT6_jjT7_P12ihipStream_tbENKUlT_T0_SK_SP_E_clIPtSE_SF_SF_EEDaS13_S14_SK_SP_EUlS13_E_NS1_11comp_targetILNS1_3genE9ELNS1_11target_archE1100ELNS1_3gpuE3ELNS1_3repE0EEENS1_47radix_sort_onesweep_sort_config_static_selectorELNS0_4arch9wavefront6targetE1EEEvSK_
		.amdhsa_group_segment_fixed_size 0
		.amdhsa_private_segment_fixed_size 0
		.amdhsa_kernarg_size 88
		.amdhsa_user_sgpr_count 2
		.amdhsa_user_sgpr_dispatch_ptr 0
		.amdhsa_user_sgpr_queue_ptr 0
		.amdhsa_user_sgpr_kernarg_segment_ptr 1
		.amdhsa_user_sgpr_dispatch_id 0
		.amdhsa_user_sgpr_kernarg_preload_length 0
		.amdhsa_user_sgpr_kernarg_preload_offset 0
		.amdhsa_user_sgpr_private_segment_size 0
		.amdhsa_uses_dynamic_stack 0
		.amdhsa_enable_private_segment 0
		.amdhsa_system_sgpr_workgroup_id_x 1
		.amdhsa_system_sgpr_workgroup_id_y 0
		.amdhsa_system_sgpr_workgroup_id_z 0
		.amdhsa_system_sgpr_workgroup_info 0
		.amdhsa_system_vgpr_workitem_id 0
		.amdhsa_next_free_vgpr 1
		.amdhsa_next_free_sgpr 0
		.amdhsa_accum_offset 4
		.amdhsa_reserve_vcc 0
		.amdhsa_float_round_mode_32 0
		.amdhsa_float_round_mode_16_64 0
		.amdhsa_float_denorm_mode_32 3
		.amdhsa_float_denorm_mode_16_64 3
		.amdhsa_dx10_clamp 1
		.amdhsa_ieee_mode 1
		.amdhsa_fp16_overflow 0
		.amdhsa_tg_split 0
		.amdhsa_exception_fp_ieee_invalid_op 0
		.amdhsa_exception_fp_denorm_src 0
		.amdhsa_exception_fp_ieee_div_zero 0
		.amdhsa_exception_fp_ieee_overflow 0
		.amdhsa_exception_fp_ieee_underflow 0
		.amdhsa_exception_fp_ieee_inexact 0
		.amdhsa_exception_int_div_zero 0
	.end_amdhsa_kernel
	.section	.text._ZN7rocprim17ROCPRIM_400000_NS6detail17trampoline_kernelINS0_14default_configENS1_35radix_sort_onesweep_config_selectorItNS0_10empty_typeEEEZZNS1_29radix_sort_onesweep_iterationIS3_Lb0EN6thrust23THRUST_200600_302600_NS6detail15normal_iteratorINS9_10device_ptrItEEEESE_PS5_SF_jNS0_19identity_decomposerENS1_16block_id_wrapperIjLb1EEEEE10hipError_tT1_PNSt15iterator_traitsISK_E10value_typeET2_T3_PNSL_ISQ_E10value_typeET4_T5_PSV_SW_PNS1_23onesweep_lookback_stateEbbT6_jjT7_P12ihipStream_tbENKUlT_T0_SK_SP_E_clIPtSE_SF_SF_EEDaS13_S14_SK_SP_EUlS13_E_NS1_11comp_targetILNS1_3genE9ELNS1_11target_archE1100ELNS1_3gpuE3ELNS1_3repE0EEENS1_47radix_sort_onesweep_sort_config_static_selectorELNS0_4arch9wavefront6targetE1EEEvSK_,"axG",@progbits,_ZN7rocprim17ROCPRIM_400000_NS6detail17trampoline_kernelINS0_14default_configENS1_35radix_sort_onesweep_config_selectorItNS0_10empty_typeEEEZZNS1_29radix_sort_onesweep_iterationIS3_Lb0EN6thrust23THRUST_200600_302600_NS6detail15normal_iteratorINS9_10device_ptrItEEEESE_PS5_SF_jNS0_19identity_decomposerENS1_16block_id_wrapperIjLb1EEEEE10hipError_tT1_PNSt15iterator_traitsISK_E10value_typeET2_T3_PNSL_ISQ_E10value_typeET4_T5_PSV_SW_PNS1_23onesweep_lookback_stateEbbT6_jjT7_P12ihipStream_tbENKUlT_T0_SK_SP_E_clIPtSE_SF_SF_EEDaS13_S14_SK_SP_EUlS13_E_NS1_11comp_targetILNS1_3genE9ELNS1_11target_archE1100ELNS1_3gpuE3ELNS1_3repE0EEENS1_47radix_sort_onesweep_sort_config_static_selectorELNS0_4arch9wavefront6targetE1EEEvSK_,comdat
.Lfunc_end1363:
	.size	_ZN7rocprim17ROCPRIM_400000_NS6detail17trampoline_kernelINS0_14default_configENS1_35radix_sort_onesweep_config_selectorItNS0_10empty_typeEEEZZNS1_29radix_sort_onesweep_iterationIS3_Lb0EN6thrust23THRUST_200600_302600_NS6detail15normal_iteratorINS9_10device_ptrItEEEESE_PS5_SF_jNS0_19identity_decomposerENS1_16block_id_wrapperIjLb1EEEEE10hipError_tT1_PNSt15iterator_traitsISK_E10value_typeET2_T3_PNSL_ISQ_E10value_typeET4_T5_PSV_SW_PNS1_23onesweep_lookback_stateEbbT6_jjT7_P12ihipStream_tbENKUlT_T0_SK_SP_E_clIPtSE_SF_SF_EEDaS13_S14_SK_SP_EUlS13_E_NS1_11comp_targetILNS1_3genE9ELNS1_11target_archE1100ELNS1_3gpuE3ELNS1_3repE0EEENS1_47radix_sort_onesweep_sort_config_static_selectorELNS0_4arch9wavefront6targetE1EEEvSK_, .Lfunc_end1363-_ZN7rocprim17ROCPRIM_400000_NS6detail17trampoline_kernelINS0_14default_configENS1_35radix_sort_onesweep_config_selectorItNS0_10empty_typeEEEZZNS1_29radix_sort_onesweep_iterationIS3_Lb0EN6thrust23THRUST_200600_302600_NS6detail15normal_iteratorINS9_10device_ptrItEEEESE_PS5_SF_jNS0_19identity_decomposerENS1_16block_id_wrapperIjLb1EEEEE10hipError_tT1_PNSt15iterator_traitsISK_E10value_typeET2_T3_PNSL_ISQ_E10value_typeET4_T5_PSV_SW_PNS1_23onesweep_lookback_stateEbbT6_jjT7_P12ihipStream_tbENKUlT_T0_SK_SP_E_clIPtSE_SF_SF_EEDaS13_S14_SK_SP_EUlS13_E_NS1_11comp_targetILNS1_3genE9ELNS1_11target_archE1100ELNS1_3gpuE3ELNS1_3repE0EEENS1_47radix_sort_onesweep_sort_config_static_selectorELNS0_4arch9wavefront6targetE1EEEvSK_
                                        ; -- End function
	.section	.AMDGPU.csdata,"",@progbits
; Kernel info:
; codeLenInByte = 0
; NumSgprs: 6
; NumVgprs: 0
; NumAgprs: 0
; TotalNumVgprs: 0
; ScratchSize: 0
; MemoryBound: 0
; FloatMode: 240
; IeeeMode: 1
; LDSByteSize: 0 bytes/workgroup (compile time only)
; SGPRBlocks: 0
; VGPRBlocks: 0
; NumSGPRsForWavesPerEU: 6
; NumVGPRsForWavesPerEU: 1
; AccumOffset: 4
; Occupancy: 8
; WaveLimiterHint : 0
; COMPUTE_PGM_RSRC2:SCRATCH_EN: 0
; COMPUTE_PGM_RSRC2:USER_SGPR: 2
; COMPUTE_PGM_RSRC2:TRAP_HANDLER: 0
; COMPUTE_PGM_RSRC2:TGID_X_EN: 1
; COMPUTE_PGM_RSRC2:TGID_Y_EN: 0
; COMPUTE_PGM_RSRC2:TGID_Z_EN: 0
; COMPUTE_PGM_RSRC2:TIDIG_COMP_CNT: 0
; COMPUTE_PGM_RSRC3_GFX90A:ACCUM_OFFSET: 0
; COMPUTE_PGM_RSRC3_GFX90A:TG_SPLIT: 0
	.section	.text._ZN7rocprim17ROCPRIM_400000_NS6detail17trampoline_kernelINS0_14default_configENS1_35radix_sort_onesweep_config_selectorItNS0_10empty_typeEEEZZNS1_29radix_sort_onesweep_iterationIS3_Lb0EN6thrust23THRUST_200600_302600_NS6detail15normal_iteratorINS9_10device_ptrItEEEESE_PS5_SF_jNS0_19identity_decomposerENS1_16block_id_wrapperIjLb1EEEEE10hipError_tT1_PNSt15iterator_traitsISK_E10value_typeET2_T3_PNSL_ISQ_E10value_typeET4_T5_PSV_SW_PNS1_23onesweep_lookback_stateEbbT6_jjT7_P12ihipStream_tbENKUlT_T0_SK_SP_E_clIPtSE_SF_SF_EEDaS13_S14_SK_SP_EUlS13_E_NS1_11comp_targetILNS1_3genE8ELNS1_11target_archE1030ELNS1_3gpuE2ELNS1_3repE0EEENS1_47radix_sort_onesweep_sort_config_static_selectorELNS0_4arch9wavefront6targetE1EEEvSK_,"axG",@progbits,_ZN7rocprim17ROCPRIM_400000_NS6detail17trampoline_kernelINS0_14default_configENS1_35radix_sort_onesweep_config_selectorItNS0_10empty_typeEEEZZNS1_29radix_sort_onesweep_iterationIS3_Lb0EN6thrust23THRUST_200600_302600_NS6detail15normal_iteratorINS9_10device_ptrItEEEESE_PS5_SF_jNS0_19identity_decomposerENS1_16block_id_wrapperIjLb1EEEEE10hipError_tT1_PNSt15iterator_traitsISK_E10value_typeET2_T3_PNSL_ISQ_E10value_typeET4_T5_PSV_SW_PNS1_23onesweep_lookback_stateEbbT6_jjT7_P12ihipStream_tbENKUlT_T0_SK_SP_E_clIPtSE_SF_SF_EEDaS13_S14_SK_SP_EUlS13_E_NS1_11comp_targetILNS1_3genE8ELNS1_11target_archE1030ELNS1_3gpuE2ELNS1_3repE0EEENS1_47radix_sort_onesweep_sort_config_static_selectorELNS0_4arch9wavefront6targetE1EEEvSK_,comdat
	.protected	_ZN7rocprim17ROCPRIM_400000_NS6detail17trampoline_kernelINS0_14default_configENS1_35radix_sort_onesweep_config_selectorItNS0_10empty_typeEEEZZNS1_29radix_sort_onesweep_iterationIS3_Lb0EN6thrust23THRUST_200600_302600_NS6detail15normal_iteratorINS9_10device_ptrItEEEESE_PS5_SF_jNS0_19identity_decomposerENS1_16block_id_wrapperIjLb1EEEEE10hipError_tT1_PNSt15iterator_traitsISK_E10value_typeET2_T3_PNSL_ISQ_E10value_typeET4_T5_PSV_SW_PNS1_23onesweep_lookback_stateEbbT6_jjT7_P12ihipStream_tbENKUlT_T0_SK_SP_E_clIPtSE_SF_SF_EEDaS13_S14_SK_SP_EUlS13_E_NS1_11comp_targetILNS1_3genE8ELNS1_11target_archE1030ELNS1_3gpuE2ELNS1_3repE0EEENS1_47radix_sort_onesweep_sort_config_static_selectorELNS0_4arch9wavefront6targetE1EEEvSK_ ; -- Begin function _ZN7rocprim17ROCPRIM_400000_NS6detail17trampoline_kernelINS0_14default_configENS1_35radix_sort_onesweep_config_selectorItNS0_10empty_typeEEEZZNS1_29radix_sort_onesweep_iterationIS3_Lb0EN6thrust23THRUST_200600_302600_NS6detail15normal_iteratorINS9_10device_ptrItEEEESE_PS5_SF_jNS0_19identity_decomposerENS1_16block_id_wrapperIjLb1EEEEE10hipError_tT1_PNSt15iterator_traitsISK_E10value_typeET2_T3_PNSL_ISQ_E10value_typeET4_T5_PSV_SW_PNS1_23onesweep_lookback_stateEbbT6_jjT7_P12ihipStream_tbENKUlT_T0_SK_SP_E_clIPtSE_SF_SF_EEDaS13_S14_SK_SP_EUlS13_E_NS1_11comp_targetILNS1_3genE8ELNS1_11target_archE1030ELNS1_3gpuE2ELNS1_3repE0EEENS1_47radix_sort_onesweep_sort_config_static_selectorELNS0_4arch9wavefront6targetE1EEEvSK_
	.globl	_ZN7rocprim17ROCPRIM_400000_NS6detail17trampoline_kernelINS0_14default_configENS1_35radix_sort_onesweep_config_selectorItNS0_10empty_typeEEEZZNS1_29radix_sort_onesweep_iterationIS3_Lb0EN6thrust23THRUST_200600_302600_NS6detail15normal_iteratorINS9_10device_ptrItEEEESE_PS5_SF_jNS0_19identity_decomposerENS1_16block_id_wrapperIjLb1EEEEE10hipError_tT1_PNSt15iterator_traitsISK_E10value_typeET2_T3_PNSL_ISQ_E10value_typeET4_T5_PSV_SW_PNS1_23onesweep_lookback_stateEbbT6_jjT7_P12ihipStream_tbENKUlT_T0_SK_SP_E_clIPtSE_SF_SF_EEDaS13_S14_SK_SP_EUlS13_E_NS1_11comp_targetILNS1_3genE8ELNS1_11target_archE1030ELNS1_3gpuE2ELNS1_3repE0EEENS1_47radix_sort_onesweep_sort_config_static_selectorELNS0_4arch9wavefront6targetE1EEEvSK_
	.p2align	8
	.type	_ZN7rocprim17ROCPRIM_400000_NS6detail17trampoline_kernelINS0_14default_configENS1_35radix_sort_onesweep_config_selectorItNS0_10empty_typeEEEZZNS1_29radix_sort_onesweep_iterationIS3_Lb0EN6thrust23THRUST_200600_302600_NS6detail15normal_iteratorINS9_10device_ptrItEEEESE_PS5_SF_jNS0_19identity_decomposerENS1_16block_id_wrapperIjLb1EEEEE10hipError_tT1_PNSt15iterator_traitsISK_E10value_typeET2_T3_PNSL_ISQ_E10value_typeET4_T5_PSV_SW_PNS1_23onesweep_lookback_stateEbbT6_jjT7_P12ihipStream_tbENKUlT_T0_SK_SP_E_clIPtSE_SF_SF_EEDaS13_S14_SK_SP_EUlS13_E_NS1_11comp_targetILNS1_3genE8ELNS1_11target_archE1030ELNS1_3gpuE2ELNS1_3repE0EEENS1_47radix_sort_onesweep_sort_config_static_selectorELNS0_4arch9wavefront6targetE1EEEvSK_,@function
_ZN7rocprim17ROCPRIM_400000_NS6detail17trampoline_kernelINS0_14default_configENS1_35radix_sort_onesweep_config_selectorItNS0_10empty_typeEEEZZNS1_29radix_sort_onesweep_iterationIS3_Lb0EN6thrust23THRUST_200600_302600_NS6detail15normal_iteratorINS9_10device_ptrItEEEESE_PS5_SF_jNS0_19identity_decomposerENS1_16block_id_wrapperIjLb1EEEEE10hipError_tT1_PNSt15iterator_traitsISK_E10value_typeET2_T3_PNSL_ISQ_E10value_typeET4_T5_PSV_SW_PNS1_23onesweep_lookback_stateEbbT6_jjT7_P12ihipStream_tbENKUlT_T0_SK_SP_E_clIPtSE_SF_SF_EEDaS13_S14_SK_SP_EUlS13_E_NS1_11comp_targetILNS1_3genE8ELNS1_11target_archE1030ELNS1_3gpuE2ELNS1_3repE0EEENS1_47radix_sort_onesweep_sort_config_static_selectorELNS0_4arch9wavefront6targetE1EEEvSK_: ; @_ZN7rocprim17ROCPRIM_400000_NS6detail17trampoline_kernelINS0_14default_configENS1_35radix_sort_onesweep_config_selectorItNS0_10empty_typeEEEZZNS1_29radix_sort_onesweep_iterationIS3_Lb0EN6thrust23THRUST_200600_302600_NS6detail15normal_iteratorINS9_10device_ptrItEEEESE_PS5_SF_jNS0_19identity_decomposerENS1_16block_id_wrapperIjLb1EEEEE10hipError_tT1_PNSt15iterator_traitsISK_E10value_typeET2_T3_PNSL_ISQ_E10value_typeET4_T5_PSV_SW_PNS1_23onesweep_lookback_stateEbbT6_jjT7_P12ihipStream_tbENKUlT_T0_SK_SP_E_clIPtSE_SF_SF_EEDaS13_S14_SK_SP_EUlS13_E_NS1_11comp_targetILNS1_3genE8ELNS1_11target_archE1030ELNS1_3gpuE2ELNS1_3repE0EEENS1_47radix_sort_onesweep_sort_config_static_selectorELNS0_4arch9wavefront6targetE1EEEvSK_
; %bb.0:
	.section	.rodata,"a",@progbits
	.p2align	6, 0x0
	.amdhsa_kernel _ZN7rocprim17ROCPRIM_400000_NS6detail17trampoline_kernelINS0_14default_configENS1_35radix_sort_onesweep_config_selectorItNS0_10empty_typeEEEZZNS1_29radix_sort_onesweep_iterationIS3_Lb0EN6thrust23THRUST_200600_302600_NS6detail15normal_iteratorINS9_10device_ptrItEEEESE_PS5_SF_jNS0_19identity_decomposerENS1_16block_id_wrapperIjLb1EEEEE10hipError_tT1_PNSt15iterator_traitsISK_E10value_typeET2_T3_PNSL_ISQ_E10value_typeET4_T5_PSV_SW_PNS1_23onesweep_lookback_stateEbbT6_jjT7_P12ihipStream_tbENKUlT_T0_SK_SP_E_clIPtSE_SF_SF_EEDaS13_S14_SK_SP_EUlS13_E_NS1_11comp_targetILNS1_3genE8ELNS1_11target_archE1030ELNS1_3gpuE2ELNS1_3repE0EEENS1_47radix_sort_onesweep_sort_config_static_selectorELNS0_4arch9wavefront6targetE1EEEvSK_
		.amdhsa_group_segment_fixed_size 0
		.amdhsa_private_segment_fixed_size 0
		.amdhsa_kernarg_size 88
		.amdhsa_user_sgpr_count 2
		.amdhsa_user_sgpr_dispatch_ptr 0
		.amdhsa_user_sgpr_queue_ptr 0
		.amdhsa_user_sgpr_kernarg_segment_ptr 1
		.amdhsa_user_sgpr_dispatch_id 0
		.amdhsa_user_sgpr_kernarg_preload_length 0
		.amdhsa_user_sgpr_kernarg_preload_offset 0
		.amdhsa_user_sgpr_private_segment_size 0
		.amdhsa_uses_dynamic_stack 0
		.amdhsa_enable_private_segment 0
		.amdhsa_system_sgpr_workgroup_id_x 1
		.amdhsa_system_sgpr_workgroup_id_y 0
		.amdhsa_system_sgpr_workgroup_id_z 0
		.amdhsa_system_sgpr_workgroup_info 0
		.amdhsa_system_vgpr_workitem_id 0
		.amdhsa_next_free_vgpr 1
		.amdhsa_next_free_sgpr 0
		.amdhsa_accum_offset 4
		.amdhsa_reserve_vcc 0
		.amdhsa_float_round_mode_32 0
		.amdhsa_float_round_mode_16_64 0
		.amdhsa_float_denorm_mode_32 3
		.amdhsa_float_denorm_mode_16_64 3
		.amdhsa_dx10_clamp 1
		.amdhsa_ieee_mode 1
		.amdhsa_fp16_overflow 0
		.amdhsa_tg_split 0
		.amdhsa_exception_fp_ieee_invalid_op 0
		.amdhsa_exception_fp_denorm_src 0
		.amdhsa_exception_fp_ieee_div_zero 0
		.amdhsa_exception_fp_ieee_overflow 0
		.amdhsa_exception_fp_ieee_underflow 0
		.amdhsa_exception_fp_ieee_inexact 0
		.amdhsa_exception_int_div_zero 0
	.end_amdhsa_kernel
	.section	.text._ZN7rocprim17ROCPRIM_400000_NS6detail17trampoline_kernelINS0_14default_configENS1_35radix_sort_onesweep_config_selectorItNS0_10empty_typeEEEZZNS1_29radix_sort_onesweep_iterationIS3_Lb0EN6thrust23THRUST_200600_302600_NS6detail15normal_iteratorINS9_10device_ptrItEEEESE_PS5_SF_jNS0_19identity_decomposerENS1_16block_id_wrapperIjLb1EEEEE10hipError_tT1_PNSt15iterator_traitsISK_E10value_typeET2_T3_PNSL_ISQ_E10value_typeET4_T5_PSV_SW_PNS1_23onesweep_lookback_stateEbbT6_jjT7_P12ihipStream_tbENKUlT_T0_SK_SP_E_clIPtSE_SF_SF_EEDaS13_S14_SK_SP_EUlS13_E_NS1_11comp_targetILNS1_3genE8ELNS1_11target_archE1030ELNS1_3gpuE2ELNS1_3repE0EEENS1_47radix_sort_onesweep_sort_config_static_selectorELNS0_4arch9wavefront6targetE1EEEvSK_,"axG",@progbits,_ZN7rocprim17ROCPRIM_400000_NS6detail17trampoline_kernelINS0_14default_configENS1_35radix_sort_onesweep_config_selectorItNS0_10empty_typeEEEZZNS1_29radix_sort_onesweep_iterationIS3_Lb0EN6thrust23THRUST_200600_302600_NS6detail15normal_iteratorINS9_10device_ptrItEEEESE_PS5_SF_jNS0_19identity_decomposerENS1_16block_id_wrapperIjLb1EEEEE10hipError_tT1_PNSt15iterator_traitsISK_E10value_typeET2_T3_PNSL_ISQ_E10value_typeET4_T5_PSV_SW_PNS1_23onesweep_lookback_stateEbbT6_jjT7_P12ihipStream_tbENKUlT_T0_SK_SP_E_clIPtSE_SF_SF_EEDaS13_S14_SK_SP_EUlS13_E_NS1_11comp_targetILNS1_3genE8ELNS1_11target_archE1030ELNS1_3gpuE2ELNS1_3repE0EEENS1_47radix_sort_onesweep_sort_config_static_selectorELNS0_4arch9wavefront6targetE1EEEvSK_,comdat
.Lfunc_end1364:
	.size	_ZN7rocprim17ROCPRIM_400000_NS6detail17trampoline_kernelINS0_14default_configENS1_35radix_sort_onesweep_config_selectorItNS0_10empty_typeEEEZZNS1_29radix_sort_onesweep_iterationIS3_Lb0EN6thrust23THRUST_200600_302600_NS6detail15normal_iteratorINS9_10device_ptrItEEEESE_PS5_SF_jNS0_19identity_decomposerENS1_16block_id_wrapperIjLb1EEEEE10hipError_tT1_PNSt15iterator_traitsISK_E10value_typeET2_T3_PNSL_ISQ_E10value_typeET4_T5_PSV_SW_PNS1_23onesweep_lookback_stateEbbT6_jjT7_P12ihipStream_tbENKUlT_T0_SK_SP_E_clIPtSE_SF_SF_EEDaS13_S14_SK_SP_EUlS13_E_NS1_11comp_targetILNS1_3genE8ELNS1_11target_archE1030ELNS1_3gpuE2ELNS1_3repE0EEENS1_47radix_sort_onesweep_sort_config_static_selectorELNS0_4arch9wavefront6targetE1EEEvSK_, .Lfunc_end1364-_ZN7rocprim17ROCPRIM_400000_NS6detail17trampoline_kernelINS0_14default_configENS1_35radix_sort_onesweep_config_selectorItNS0_10empty_typeEEEZZNS1_29radix_sort_onesweep_iterationIS3_Lb0EN6thrust23THRUST_200600_302600_NS6detail15normal_iteratorINS9_10device_ptrItEEEESE_PS5_SF_jNS0_19identity_decomposerENS1_16block_id_wrapperIjLb1EEEEE10hipError_tT1_PNSt15iterator_traitsISK_E10value_typeET2_T3_PNSL_ISQ_E10value_typeET4_T5_PSV_SW_PNS1_23onesweep_lookback_stateEbbT6_jjT7_P12ihipStream_tbENKUlT_T0_SK_SP_E_clIPtSE_SF_SF_EEDaS13_S14_SK_SP_EUlS13_E_NS1_11comp_targetILNS1_3genE8ELNS1_11target_archE1030ELNS1_3gpuE2ELNS1_3repE0EEENS1_47radix_sort_onesweep_sort_config_static_selectorELNS0_4arch9wavefront6targetE1EEEvSK_
                                        ; -- End function
	.section	.AMDGPU.csdata,"",@progbits
; Kernel info:
; codeLenInByte = 0
; NumSgprs: 6
; NumVgprs: 0
; NumAgprs: 0
; TotalNumVgprs: 0
; ScratchSize: 0
; MemoryBound: 0
; FloatMode: 240
; IeeeMode: 1
; LDSByteSize: 0 bytes/workgroup (compile time only)
; SGPRBlocks: 0
; VGPRBlocks: 0
; NumSGPRsForWavesPerEU: 6
; NumVGPRsForWavesPerEU: 1
; AccumOffset: 4
; Occupancy: 8
; WaveLimiterHint : 0
; COMPUTE_PGM_RSRC2:SCRATCH_EN: 0
; COMPUTE_PGM_RSRC2:USER_SGPR: 2
; COMPUTE_PGM_RSRC2:TRAP_HANDLER: 0
; COMPUTE_PGM_RSRC2:TGID_X_EN: 1
; COMPUTE_PGM_RSRC2:TGID_Y_EN: 0
; COMPUTE_PGM_RSRC2:TGID_Z_EN: 0
; COMPUTE_PGM_RSRC2:TIDIG_COMP_CNT: 0
; COMPUTE_PGM_RSRC3_GFX90A:ACCUM_OFFSET: 0
; COMPUTE_PGM_RSRC3_GFX90A:TG_SPLIT: 0
	.section	.text._ZN7rocprim17ROCPRIM_400000_NS6detail17trampoline_kernelINS0_14default_configENS1_35radix_sort_onesweep_config_selectorItNS0_10empty_typeEEEZZNS1_29radix_sort_onesweep_iterationIS3_Lb0EN6thrust23THRUST_200600_302600_NS6detail15normal_iteratorINS9_10device_ptrItEEEESE_PS5_SF_jNS0_19identity_decomposerENS1_16block_id_wrapperIjLb0EEEEE10hipError_tT1_PNSt15iterator_traitsISK_E10value_typeET2_T3_PNSL_ISQ_E10value_typeET4_T5_PSV_SW_PNS1_23onesweep_lookback_stateEbbT6_jjT7_P12ihipStream_tbENKUlT_T0_SK_SP_E_clISE_SE_SF_SF_EEDaS13_S14_SK_SP_EUlS13_E_NS1_11comp_targetILNS1_3genE0ELNS1_11target_archE4294967295ELNS1_3gpuE0ELNS1_3repE0EEENS1_47radix_sort_onesweep_sort_config_static_selectorELNS0_4arch9wavefront6targetE1EEEvSK_,"axG",@progbits,_ZN7rocprim17ROCPRIM_400000_NS6detail17trampoline_kernelINS0_14default_configENS1_35radix_sort_onesweep_config_selectorItNS0_10empty_typeEEEZZNS1_29radix_sort_onesweep_iterationIS3_Lb0EN6thrust23THRUST_200600_302600_NS6detail15normal_iteratorINS9_10device_ptrItEEEESE_PS5_SF_jNS0_19identity_decomposerENS1_16block_id_wrapperIjLb0EEEEE10hipError_tT1_PNSt15iterator_traitsISK_E10value_typeET2_T3_PNSL_ISQ_E10value_typeET4_T5_PSV_SW_PNS1_23onesweep_lookback_stateEbbT6_jjT7_P12ihipStream_tbENKUlT_T0_SK_SP_E_clISE_SE_SF_SF_EEDaS13_S14_SK_SP_EUlS13_E_NS1_11comp_targetILNS1_3genE0ELNS1_11target_archE4294967295ELNS1_3gpuE0ELNS1_3repE0EEENS1_47radix_sort_onesweep_sort_config_static_selectorELNS0_4arch9wavefront6targetE1EEEvSK_,comdat
	.protected	_ZN7rocprim17ROCPRIM_400000_NS6detail17trampoline_kernelINS0_14default_configENS1_35radix_sort_onesweep_config_selectorItNS0_10empty_typeEEEZZNS1_29radix_sort_onesweep_iterationIS3_Lb0EN6thrust23THRUST_200600_302600_NS6detail15normal_iteratorINS9_10device_ptrItEEEESE_PS5_SF_jNS0_19identity_decomposerENS1_16block_id_wrapperIjLb0EEEEE10hipError_tT1_PNSt15iterator_traitsISK_E10value_typeET2_T3_PNSL_ISQ_E10value_typeET4_T5_PSV_SW_PNS1_23onesweep_lookback_stateEbbT6_jjT7_P12ihipStream_tbENKUlT_T0_SK_SP_E_clISE_SE_SF_SF_EEDaS13_S14_SK_SP_EUlS13_E_NS1_11comp_targetILNS1_3genE0ELNS1_11target_archE4294967295ELNS1_3gpuE0ELNS1_3repE0EEENS1_47radix_sort_onesweep_sort_config_static_selectorELNS0_4arch9wavefront6targetE1EEEvSK_ ; -- Begin function _ZN7rocprim17ROCPRIM_400000_NS6detail17trampoline_kernelINS0_14default_configENS1_35radix_sort_onesweep_config_selectorItNS0_10empty_typeEEEZZNS1_29radix_sort_onesweep_iterationIS3_Lb0EN6thrust23THRUST_200600_302600_NS6detail15normal_iteratorINS9_10device_ptrItEEEESE_PS5_SF_jNS0_19identity_decomposerENS1_16block_id_wrapperIjLb0EEEEE10hipError_tT1_PNSt15iterator_traitsISK_E10value_typeET2_T3_PNSL_ISQ_E10value_typeET4_T5_PSV_SW_PNS1_23onesweep_lookback_stateEbbT6_jjT7_P12ihipStream_tbENKUlT_T0_SK_SP_E_clISE_SE_SF_SF_EEDaS13_S14_SK_SP_EUlS13_E_NS1_11comp_targetILNS1_3genE0ELNS1_11target_archE4294967295ELNS1_3gpuE0ELNS1_3repE0EEENS1_47radix_sort_onesweep_sort_config_static_selectorELNS0_4arch9wavefront6targetE1EEEvSK_
	.globl	_ZN7rocprim17ROCPRIM_400000_NS6detail17trampoline_kernelINS0_14default_configENS1_35radix_sort_onesweep_config_selectorItNS0_10empty_typeEEEZZNS1_29radix_sort_onesweep_iterationIS3_Lb0EN6thrust23THRUST_200600_302600_NS6detail15normal_iteratorINS9_10device_ptrItEEEESE_PS5_SF_jNS0_19identity_decomposerENS1_16block_id_wrapperIjLb0EEEEE10hipError_tT1_PNSt15iterator_traitsISK_E10value_typeET2_T3_PNSL_ISQ_E10value_typeET4_T5_PSV_SW_PNS1_23onesweep_lookback_stateEbbT6_jjT7_P12ihipStream_tbENKUlT_T0_SK_SP_E_clISE_SE_SF_SF_EEDaS13_S14_SK_SP_EUlS13_E_NS1_11comp_targetILNS1_3genE0ELNS1_11target_archE4294967295ELNS1_3gpuE0ELNS1_3repE0EEENS1_47radix_sort_onesweep_sort_config_static_selectorELNS0_4arch9wavefront6targetE1EEEvSK_
	.p2align	8
	.type	_ZN7rocprim17ROCPRIM_400000_NS6detail17trampoline_kernelINS0_14default_configENS1_35radix_sort_onesweep_config_selectorItNS0_10empty_typeEEEZZNS1_29radix_sort_onesweep_iterationIS3_Lb0EN6thrust23THRUST_200600_302600_NS6detail15normal_iteratorINS9_10device_ptrItEEEESE_PS5_SF_jNS0_19identity_decomposerENS1_16block_id_wrapperIjLb0EEEEE10hipError_tT1_PNSt15iterator_traitsISK_E10value_typeET2_T3_PNSL_ISQ_E10value_typeET4_T5_PSV_SW_PNS1_23onesweep_lookback_stateEbbT6_jjT7_P12ihipStream_tbENKUlT_T0_SK_SP_E_clISE_SE_SF_SF_EEDaS13_S14_SK_SP_EUlS13_E_NS1_11comp_targetILNS1_3genE0ELNS1_11target_archE4294967295ELNS1_3gpuE0ELNS1_3repE0EEENS1_47radix_sort_onesweep_sort_config_static_selectorELNS0_4arch9wavefront6targetE1EEEvSK_,@function
_ZN7rocprim17ROCPRIM_400000_NS6detail17trampoline_kernelINS0_14default_configENS1_35radix_sort_onesweep_config_selectorItNS0_10empty_typeEEEZZNS1_29radix_sort_onesweep_iterationIS3_Lb0EN6thrust23THRUST_200600_302600_NS6detail15normal_iteratorINS9_10device_ptrItEEEESE_PS5_SF_jNS0_19identity_decomposerENS1_16block_id_wrapperIjLb0EEEEE10hipError_tT1_PNSt15iterator_traitsISK_E10value_typeET2_T3_PNSL_ISQ_E10value_typeET4_T5_PSV_SW_PNS1_23onesweep_lookback_stateEbbT6_jjT7_P12ihipStream_tbENKUlT_T0_SK_SP_E_clISE_SE_SF_SF_EEDaS13_S14_SK_SP_EUlS13_E_NS1_11comp_targetILNS1_3genE0ELNS1_11target_archE4294967295ELNS1_3gpuE0ELNS1_3repE0EEENS1_47radix_sort_onesweep_sort_config_static_selectorELNS0_4arch9wavefront6targetE1EEEvSK_: ; @_ZN7rocprim17ROCPRIM_400000_NS6detail17trampoline_kernelINS0_14default_configENS1_35radix_sort_onesweep_config_selectorItNS0_10empty_typeEEEZZNS1_29radix_sort_onesweep_iterationIS3_Lb0EN6thrust23THRUST_200600_302600_NS6detail15normal_iteratorINS9_10device_ptrItEEEESE_PS5_SF_jNS0_19identity_decomposerENS1_16block_id_wrapperIjLb0EEEEE10hipError_tT1_PNSt15iterator_traitsISK_E10value_typeET2_T3_PNSL_ISQ_E10value_typeET4_T5_PSV_SW_PNS1_23onesweep_lookback_stateEbbT6_jjT7_P12ihipStream_tbENKUlT_T0_SK_SP_E_clISE_SE_SF_SF_EEDaS13_S14_SK_SP_EUlS13_E_NS1_11comp_targetILNS1_3genE0ELNS1_11target_archE4294967295ELNS1_3gpuE0ELNS1_3repE0EEENS1_47radix_sort_onesweep_sort_config_static_selectorELNS0_4arch9wavefront6targetE1EEEvSK_
; %bb.0:
	.section	.rodata,"a",@progbits
	.p2align	6, 0x0
	.amdhsa_kernel _ZN7rocprim17ROCPRIM_400000_NS6detail17trampoline_kernelINS0_14default_configENS1_35radix_sort_onesweep_config_selectorItNS0_10empty_typeEEEZZNS1_29radix_sort_onesweep_iterationIS3_Lb0EN6thrust23THRUST_200600_302600_NS6detail15normal_iteratorINS9_10device_ptrItEEEESE_PS5_SF_jNS0_19identity_decomposerENS1_16block_id_wrapperIjLb0EEEEE10hipError_tT1_PNSt15iterator_traitsISK_E10value_typeET2_T3_PNSL_ISQ_E10value_typeET4_T5_PSV_SW_PNS1_23onesweep_lookback_stateEbbT6_jjT7_P12ihipStream_tbENKUlT_T0_SK_SP_E_clISE_SE_SF_SF_EEDaS13_S14_SK_SP_EUlS13_E_NS1_11comp_targetILNS1_3genE0ELNS1_11target_archE4294967295ELNS1_3gpuE0ELNS1_3repE0EEENS1_47radix_sort_onesweep_sort_config_static_selectorELNS0_4arch9wavefront6targetE1EEEvSK_
		.amdhsa_group_segment_fixed_size 0
		.amdhsa_private_segment_fixed_size 0
		.amdhsa_kernarg_size 88
		.amdhsa_user_sgpr_count 2
		.amdhsa_user_sgpr_dispatch_ptr 0
		.amdhsa_user_sgpr_queue_ptr 0
		.amdhsa_user_sgpr_kernarg_segment_ptr 1
		.amdhsa_user_sgpr_dispatch_id 0
		.amdhsa_user_sgpr_kernarg_preload_length 0
		.amdhsa_user_sgpr_kernarg_preload_offset 0
		.amdhsa_user_sgpr_private_segment_size 0
		.amdhsa_uses_dynamic_stack 0
		.amdhsa_enable_private_segment 0
		.amdhsa_system_sgpr_workgroup_id_x 1
		.amdhsa_system_sgpr_workgroup_id_y 0
		.amdhsa_system_sgpr_workgroup_id_z 0
		.amdhsa_system_sgpr_workgroup_info 0
		.amdhsa_system_vgpr_workitem_id 0
		.amdhsa_next_free_vgpr 1
		.amdhsa_next_free_sgpr 0
		.amdhsa_accum_offset 4
		.amdhsa_reserve_vcc 0
		.amdhsa_float_round_mode_32 0
		.amdhsa_float_round_mode_16_64 0
		.amdhsa_float_denorm_mode_32 3
		.amdhsa_float_denorm_mode_16_64 3
		.amdhsa_dx10_clamp 1
		.amdhsa_ieee_mode 1
		.amdhsa_fp16_overflow 0
		.amdhsa_tg_split 0
		.amdhsa_exception_fp_ieee_invalid_op 0
		.amdhsa_exception_fp_denorm_src 0
		.amdhsa_exception_fp_ieee_div_zero 0
		.amdhsa_exception_fp_ieee_overflow 0
		.amdhsa_exception_fp_ieee_underflow 0
		.amdhsa_exception_fp_ieee_inexact 0
		.amdhsa_exception_int_div_zero 0
	.end_amdhsa_kernel
	.section	.text._ZN7rocprim17ROCPRIM_400000_NS6detail17trampoline_kernelINS0_14default_configENS1_35radix_sort_onesweep_config_selectorItNS0_10empty_typeEEEZZNS1_29radix_sort_onesweep_iterationIS3_Lb0EN6thrust23THRUST_200600_302600_NS6detail15normal_iteratorINS9_10device_ptrItEEEESE_PS5_SF_jNS0_19identity_decomposerENS1_16block_id_wrapperIjLb0EEEEE10hipError_tT1_PNSt15iterator_traitsISK_E10value_typeET2_T3_PNSL_ISQ_E10value_typeET4_T5_PSV_SW_PNS1_23onesweep_lookback_stateEbbT6_jjT7_P12ihipStream_tbENKUlT_T0_SK_SP_E_clISE_SE_SF_SF_EEDaS13_S14_SK_SP_EUlS13_E_NS1_11comp_targetILNS1_3genE0ELNS1_11target_archE4294967295ELNS1_3gpuE0ELNS1_3repE0EEENS1_47radix_sort_onesweep_sort_config_static_selectorELNS0_4arch9wavefront6targetE1EEEvSK_,"axG",@progbits,_ZN7rocprim17ROCPRIM_400000_NS6detail17trampoline_kernelINS0_14default_configENS1_35radix_sort_onesweep_config_selectorItNS0_10empty_typeEEEZZNS1_29radix_sort_onesweep_iterationIS3_Lb0EN6thrust23THRUST_200600_302600_NS6detail15normal_iteratorINS9_10device_ptrItEEEESE_PS5_SF_jNS0_19identity_decomposerENS1_16block_id_wrapperIjLb0EEEEE10hipError_tT1_PNSt15iterator_traitsISK_E10value_typeET2_T3_PNSL_ISQ_E10value_typeET4_T5_PSV_SW_PNS1_23onesweep_lookback_stateEbbT6_jjT7_P12ihipStream_tbENKUlT_T0_SK_SP_E_clISE_SE_SF_SF_EEDaS13_S14_SK_SP_EUlS13_E_NS1_11comp_targetILNS1_3genE0ELNS1_11target_archE4294967295ELNS1_3gpuE0ELNS1_3repE0EEENS1_47radix_sort_onesweep_sort_config_static_selectorELNS0_4arch9wavefront6targetE1EEEvSK_,comdat
.Lfunc_end1365:
	.size	_ZN7rocprim17ROCPRIM_400000_NS6detail17trampoline_kernelINS0_14default_configENS1_35radix_sort_onesweep_config_selectorItNS0_10empty_typeEEEZZNS1_29radix_sort_onesweep_iterationIS3_Lb0EN6thrust23THRUST_200600_302600_NS6detail15normal_iteratorINS9_10device_ptrItEEEESE_PS5_SF_jNS0_19identity_decomposerENS1_16block_id_wrapperIjLb0EEEEE10hipError_tT1_PNSt15iterator_traitsISK_E10value_typeET2_T3_PNSL_ISQ_E10value_typeET4_T5_PSV_SW_PNS1_23onesweep_lookback_stateEbbT6_jjT7_P12ihipStream_tbENKUlT_T0_SK_SP_E_clISE_SE_SF_SF_EEDaS13_S14_SK_SP_EUlS13_E_NS1_11comp_targetILNS1_3genE0ELNS1_11target_archE4294967295ELNS1_3gpuE0ELNS1_3repE0EEENS1_47radix_sort_onesweep_sort_config_static_selectorELNS0_4arch9wavefront6targetE1EEEvSK_, .Lfunc_end1365-_ZN7rocprim17ROCPRIM_400000_NS6detail17trampoline_kernelINS0_14default_configENS1_35radix_sort_onesweep_config_selectorItNS0_10empty_typeEEEZZNS1_29radix_sort_onesweep_iterationIS3_Lb0EN6thrust23THRUST_200600_302600_NS6detail15normal_iteratorINS9_10device_ptrItEEEESE_PS5_SF_jNS0_19identity_decomposerENS1_16block_id_wrapperIjLb0EEEEE10hipError_tT1_PNSt15iterator_traitsISK_E10value_typeET2_T3_PNSL_ISQ_E10value_typeET4_T5_PSV_SW_PNS1_23onesweep_lookback_stateEbbT6_jjT7_P12ihipStream_tbENKUlT_T0_SK_SP_E_clISE_SE_SF_SF_EEDaS13_S14_SK_SP_EUlS13_E_NS1_11comp_targetILNS1_3genE0ELNS1_11target_archE4294967295ELNS1_3gpuE0ELNS1_3repE0EEENS1_47radix_sort_onesweep_sort_config_static_selectorELNS0_4arch9wavefront6targetE1EEEvSK_
                                        ; -- End function
	.section	.AMDGPU.csdata,"",@progbits
; Kernel info:
; codeLenInByte = 0
; NumSgprs: 6
; NumVgprs: 0
; NumAgprs: 0
; TotalNumVgprs: 0
; ScratchSize: 0
; MemoryBound: 0
; FloatMode: 240
; IeeeMode: 1
; LDSByteSize: 0 bytes/workgroup (compile time only)
; SGPRBlocks: 0
; VGPRBlocks: 0
; NumSGPRsForWavesPerEU: 6
; NumVGPRsForWavesPerEU: 1
; AccumOffset: 4
; Occupancy: 8
; WaveLimiterHint : 0
; COMPUTE_PGM_RSRC2:SCRATCH_EN: 0
; COMPUTE_PGM_RSRC2:USER_SGPR: 2
; COMPUTE_PGM_RSRC2:TRAP_HANDLER: 0
; COMPUTE_PGM_RSRC2:TGID_X_EN: 1
; COMPUTE_PGM_RSRC2:TGID_Y_EN: 0
; COMPUTE_PGM_RSRC2:TGID_Z_EN: 0
; COMPUTE_PGM_RSRC2:TIDIG_COMP_CNT: 0
; COMPUTE_PGM_RSRC3_GFX90A:ACCUM_OFFSET: 0
; COMPUTE_PGM_RSRC3_GFX90A:TG_SPLIT: 0
	.section	.text._ZN7rocprim17ROCPRIM_400000_NS6detail17trampoline_kernelINS0_14default_configENS1_35radix_sort_onesweep_config_selectorItNS0_10empty_typeEEEZZNS1_29radix_sort_onesweep_iterationIS3_Lb0EN6thrust23THRUST_200600_302600_NS6detail15normal_iteratorINS9_10device_ptrItEEEESE_PS5_SF_jNS0_19identity_decomposerENS1_16block_id_wrapperIjLb0EEEEE10hipError_tT1_PNSt15iterator_traitsISK_E10value_typeET2_T3_PNSL_ISQ_E10value_typeET4_T5_PSV_SW_PNS1_23onesweep_lookback_stateEbbT6_jjT7_P12ihipStream_tbENKUlT_T0_SK_SP_E_clISE_SE_SF_SF_EEDaS13_S14_SK_SP_EUlS13_E_NS1_11comp_targetILNS1_3genE6ELNS1_11target_archE950ELNS1_3gpuE13ELNS1_3repE0EEENS1_47radix_sort_onesweep_sort_config_static_selectorELNS0_4arch9wavefront6targetE1EEEvSK_,"axG",@progbits,_ZN7rocprim17ROCPRIM_400000_NS6detail17trampoline_kernelINS0_14default_configENS1_35radix_sort_onesweep_config_selectorItNS0_10empty_typeEEEZZNS1_29radix_sort_onesweep_iterationIS3_Lb0EN6thrust23THRUST_200600_302600_NS6detail15normal_iteratorINS9_10device_ptrItEEEESE_PS5_SF_jNS0_19identity_decomposerENS1_16block_id_wrapperIjLb0EEEEE10hipError_tT1_PNSt15iterator_traitsISK_E10value_typeET2_T3_PNSL_ISQ_E10value_typeET4_T5_PSV_SW_PNS1_23onesweep_lookback_stateEbbT6_jjT7_P12ihipStream_tbENKUlT_T0_SK_SP_E_clISE_SE_SF_SF_EEDaS13_S14_SK_SP_EUlS13_E_NS1_11comp_targetILNS1_3genE6ELNS1_11target_archE950ELNS1_3gpuE13ELNS1_3repE0EEENS1_47radix_sort_onesweep_sort_config_static_selectorELNS0_4arch9wavefront6targetE1EEEvSK_,comdat
	.protected	_ZN7rocprim17ROCPRIM_400000_NS6detail17trampoline_kernelINS0_14default_configENS1_35radix_sort_onesweep_config_selectorItNS0_10empty_typeEEEZZNS1_29radix_sort_onesweep_iterationIS3_Lb0EN6thrust23THRUST_200600_302600_NS6detail15normal_iteratorINS9_10device_ptrItEEEESE_PS5_SF_jNS0_19identity_decomposerENS1_16block_id_wrapperIjLb0EEEEE10hipError_tT1_PNSt15iterator_traitsISK_E10value_typeET2_T3_PNSL_ISQ_E10value_typeET4_T5_PSV_SW_PNS1_23onesweep_lookback_stateEbbT6_jjT7_P12ihipStream_tbENKUlT_T0_SK_SP_E_clISE_SE_SF_SF_EEDaS13_S14_SK_SP_EUlS13_E_NS1_11comp_targetILNS1_3genE6ELNS1_11target_archE950ELNS1_3gpuE13ELNS1_3repE0EEENS1_47radix_sort_onesweep_sort_config_static_selectorELNS0_4arch9wavefront6targetE1EEEvSK_ ; -- Begin function _ZN7rocprim17ROCPRIM_400000_NS6detail17trampoline_kernelINS0_14default_configENS1_35radix_sort_onesweep_config_selectorItNS0_10empty_typeEEEZZNS1_29radix_sort_onesweep_iterationIS3_Lb0EN6thrust23THRUST_200600_302600_NS6detail15normal_iteratorINS9_10device_ptrItEEEESE_PS5_SF_jNS0_19identity_decomposerENS1_16block_id_wrapperIjLb0EEEEE10hipError_tT1_PNSt15iterator_traitsISK_E10value_typeET2_T3_PNSL_ISQ_E10value_typeET4_T5_PSV_SW_PNS1_23onesweep_lookback_stateEbbT6_jjT7_P12ihipStream_tbENKUlT_T0_SK_SP_E_clISE_SE_SF_SF_EEDaS13_S14_SK_SP_EUlS13_E_NS1_11comp_targetILNS1_3genE6ELNS1_11target_archE950ELNS1_3gpuE13ELNS1_3repE0EEENS1_47radix_sort_onesweep_sort_config_static_selectorELNS0_4arch9wavefront6targetE1EEEvSK_
	.globl	_ZN7rocprim17ROCPRIM_400000_NS6detail17trampoline_kernelINS0_14default_configENS1_35radix_sort_onesweep_config_selectorItNS0_10empty_typeEEEZZNS1_29radix_sort_onesweep_iterationIS3_Lb0EN6thrust23THRUST_200600_302600_NS6detail15normal_iteratorINS9_10device_ptrItEEEESE_PS5_SF_jNS0_19identity_decomposerENS1_16block_id_wrapperIjLb0EEEEE10hipError_tT1_PNSt15iterator_traitsISK_E10value_typeET2_T3_PNSL_ISQ_E10value_typeET4_T5_PSV_SW_PNS1_23onesweep_lookback_stateEbbT6_jjT7_P12ihipStream_tbENKUlT_T0_SK_SP_E_clISE_SE_SF_SF_EEDaS13_S14_SK_SP_EUlS13_E_NS1_11comp_targetILNS1_3genE6ELNS1_11target_archE950ELNS1_3gpuE13ELNS1_3repE0EEENS1_47radix_sort_onesweep_sort_config_static_selectorELNS0_4arch9wavefront6targetE1EEEvSK_
	.p2align	8
	.type	_ZN7rocprim17ROCPRIM_400000_NS6detail17trampoline_kernelINS0_14default_configENS1_35radix_sort_onesweep_config_selectorItNS0_10empty_typeEEEZZNS1_29radix_sort_onesweep_iterationIS3_Lb0EN6thrust23THRUST_200600_302600_NS6detail15normal_iteratorINS9_10device_ptrItEEEESE_PS5_SF_jNS0_19identity_decomposerENS1_16block_id_wrapperIjLb0EEEEE10hipError_tT1_PNSt15iterator_traitsISK_E10value_typeET2_T3_PNSL_ISQ_E10value_typeET4_T5_PSV_SW_PNS1_23onesweep_lookback_stateEbbT6_jjT7_P12ihipStream_tbENKUlT_T0_SK_SP_E_clISE_SE_SF_SF_EEDaS13_S14_SK_SP_EUlS13_E_NS1_11comp_targetILNS1_3genE6ELNS1_11target_archE950ELNS1_3gpuE13ELNS1_3repE0EEENS1_47radix_sort_onesweep_sort_config_static_selectorELNS0_4arch9wavefront6targetE1EEEvSK_,@function
_ZN7rocprim17ROCPRIM_400000_NS6detail17trampoline_kernelINS0_14default_configENS1_35radix_sort_onesweep_config_selectorItNS0_10empty_typeEEEZZNS1_29radix_sort_onesweep_iterationIS3_Lb0EN6thrust23THRUST_200600_302600_NS6detail15normal_iteratorINS9_10device_ptrItEEEESE_PS5_SF_jNS0_19identity_decomposerENS1_16block_id_wrapperIjLb0EEEEE10hipError_tT1_PNSt15iterator_traitsISK_E10value_typeET2_T3_PNSL_ISQ_E10value_typeET4_T5_PSV_SW_PNS1_23onesweep_lookback_stateEbbT6_jjT7_P12ihipStream_tbENKUlT_T0_SK_SP_E_clISE_SE_SF_SF_EEDaS13_S14_SK_SP_EUlS13_E_NS1_11comp_targetILNS1_3genE6ELNS1_11target_archE950ELNS1_3gpuE13ELNS1_3repE0EEENS1_47radix_sort_onesweep_sort_config_static_selectorELNS0_4arch9wavefront6targetE1EEEvSK_: ; @_ZN7rocprim17ROCPRIM_400000_NS6detail17trampoline_kernelINS0_14default_configENS1_35radix_sort_onesweep_config_selectorItNS0_10empty_typeEEEZZNS1_29radix_sort_onesweep_iterationIS3_Lb0EN6thrust23THRUST_200600_302600_NS6detail15normal_iteratorINS9_10device_ptrItEEEESE_PS5_SF_jNS0_19identity_decomposerENS1_16block_id_wrapperIjLb0EEEEE10hipError_tT1_PNSt15iterator_traitsISK_E10value_typeET2_T3_PNSL_ISQ_E10value_typeET4_T5_PSV_SW_PNS1_23onesweep_lookback_stateEbbT6_jjT7_P12ihipStream_tbENKUlT_T0_SK_SP_E_clISE_SE_SF_SF_EEDaS13_S14_SK_SP_EUlS13_E_NS1_11comp_targetILNS1_3genE6ELNS1_11target_archE950ELNS1_3gpuE13ELNS1_3repE0EEENS1_47radix_sort_onesweep_sort_config_static_selectorELNS0_4arch9wavefront6targetE1EEEvSK_
; %bb.0:
	.section	.rodata,"a",@progbits
	.p2align	6, 0x0
	.amdhsa_kernel _ZN7rocprim17ROCPRIM_400000_NS6detail17trampoline_kernelINS0_14default_configENS1_35radix_sort_onesweep_config_selectorItNS0_10empty_typeEEEZZNS1_29radix_sort_onesweep_iterationIS3_Lb0EN6thrust23THRUST_200600_302600_NS6detail15normal_iteratorINS9_10device_ptrItEEEESE_PS5_SF_jNS0_19identity_decomposerENS1_16block_id_wrapperIjLb0EEEEE10hipError_tT1_PNSt15iterator_traitsISK_E10value_typeET2_T3_PNSL_ISQ_E10value_typeET4_T5_PSV_SW_PNS1_23onesweep_lookback_stateEbbT6_jjT7_P12ihipStream_tbENKUlT_T0_SK_SP_E_clISE_SE_SF_SF_EEDaS13_S14_SK_SP_EUlS13_E_NS1_11comp_targetILNS1_3genE6ELNS1_11target_archE950ELNS1_3gpuE13ELNS1_3repE0EEENS1_47radix_sort_onesweep_sort_config_static_selectorELNS0_4arch9wavefront6targetE1EEEvSK_
		.amdhsa_group_segment_fixed_size 0
		.amdhsa_private_segment_fixed_size 0
		.amdhsa_kernarg_size 88
		.amdhsa_user_sgpr_count 2
		.amdhsa_user_sgpr_dispatch_ptr 0
		.amdhsa_user_sgpr_queue_ptr 0
		.amdhsa_user_sgpr_kernarg_segment_ptr 1
		.amdhsa_user_sgpr_dispatch_id 0
		.amdhsa_user_sgpr_kernarg_preload_length 0
		.amdhsa_user_sgpr_kernarg_preload_offset 0
		.amdhsa_user_sgpr_private_segment_size 0
		.amdhsa_uses_dynamic_stack 0
		.amdhsa_enable_private_segment 0
		.amdhsa_system_sgpr_workgroup_id_x 1
		.amdhsa_system_sgpr_workgroup_id_y 0
		.amdhsa_system_sgpr_workgroup_id_z 0
		.amdhsa_system_sgpr_workgroup_info 0
		.amdhsa_system_vgpr_workitem_id 0
		.amdhsa_next_free_vgpr 1
		.amdhsa_next_free_sgpr 0
		.amdhsa_accum_offset 4
		.amdhsa_reserve_vcc 0
		.amdhsa_float_round_mode_32 0
		.amdhsa_float_round_mode_16_64 0
		.amdhsa_float_denorm_mode_32 3
		.amdhsa_float_denorm_mode_16_64 3
		.amdhsa_dx10_clamp 1
		.amdhsa_ieee_mode 1
		.amdhsa_fp16_overflow 0
		.amdhsa_tg_split 0
		.amdhsa_exception_fp_ieee_invalid_op 0
		.amdhsa_exception_fp_denorm_src 0
		.amdhsa_exception_fp_ieee_div_zero 0
		.amdhsa_exception_fp_ieee_overflow 0
		.amdhsa_exception_fp_ieee_underflow 0
		.amdhsa_exception_fp_ieee_inexact 0
		.amdhsa_exception_int_div_zero 0
	.end_amdhsa_kernel
	.section	.text._ZN7rocprim17ROCPRIM_400000_NS6detail17trampoline_kernelINS0_14default_configENS1_35radix_sort_onesweep_config_selectorItNS0_10empty_typeEEEZZNS1_29radix_sort_onesweep_iterationIS3_Lb0EN6thrust23THRUST_200600_302600_NS6detail15normal_iteratorINS9_10device_ptrItEEEESE_PS5_SF_jNS0_19identity_decomposerENS1_16block_id_wrapperIjLb0EEEEE10hipError_tT1_PNSt15iterator_traitsISK_E10value_typeET2_T3_PNSL_ISQ_E10value_typeET4_T5_PSV_SW_PNS1_23onesweep_lookback_stateEbbT6_jjT7_P12ihipStream_tbENKUlT_T0_SK_SP_E_clISE_SE_SF_SF_EEDaS13_S14_SK_SP_EUlS13_E_NS1_11comp_targetILNS1_3genE6ELNS1_11target_archE950ELNS1_3gpuE13ELNS1_3repE0EEENS1_47radix_sort_onesweep_sort_config_static_selectorELNS0_4arch9wavefront6targetE1EEEvSK_,"axG",@progbits,_ZN7rocprim17ROCPRIM_400000_NS6detail17trampoline_kernelINS0_14default_configENS1_35radix_sort_onesweep_config_selectorItNS0_10empty_typeEEEZZNS1_29radix_sort_onesweep_iterationIS3_Lb0EN6thrust23THRUST_200600_302600_NS6detail15normal_iteratorINS9_10device_ptrItEEEESE_PS5_SF_jNS0_19identity_decomposerENS1_16block_id_wrapperIjLb0EEEEE10hipError_tT1_PNSt15iterator_traitsISK_E10value_typeET2_T3_PNSL_ISQ_E10value_typeET4_T5_PSV_SW_PNS1_23onesweep_lookback_stateEbbT6_jjT7_P12ihipStream_tbENKUlT_T0_SK_SP_E_clISE_SE_SF_SF_EEDaS13_S14_SK_SP_EUlS13_E_NS1_11comp_targetILNS1_3genE6ELNS1_11target_archE950ELNS1_3gpuE13ELNS1_3repE0EEENS1_47radix_sort_onesweep_sort_config_static_selectorELNS0_4arch9wavefront6targetE1EEEvSK_,comdat
.Lfunc_end1366:
	.size	_ZN7rocprim17ROCPRIM_400000_NS6detail17trampoline_kernelINS0_14default_configENS1_35radix_sort_onesweep_config_selectorItNS0_10empty_typeEEEZZNS1_29radix_sort_onesweep_iterationIS3_Lb0EN6thrust23THRUST_200600_302600_NS6detail15normal_iteratorINS9_10device_ptrItEEEESE_PS5_SF_jNS0_19identity_decomposerENS1_16block_id_wrapperIjLb0EEEEE10hipError_tT1_PNSt15iterator_traitsISK_E10value_typeET2_T3_PNSL_ISQ_E10value_typeET4_T5_PSV_SW_PNS1_23onesweep_lookback_stateEbbT6_jjT7_P12ihipStream_tbENKUlT_T0_SK_SP_E_clISE_SE_SF_SF_EEDaS13_S14_SK_SP_EUlS13_E_NS1_11comp_targetILNS1_3genE6ELNS1_11target_archE950ELNS1_3gpuE13ELNS1_3repE0EEENS1_47radix_sort_onesweep_sort_config_static_selectorELNS0_4arch9wavefront6targetE1EEEvSK_, .Lfunc_end1366-_ZN7rocprim17ROCPRIM_400000_NS6detail17trampoline_kernelINS0_14default_configENS1_35radix_sort_onesweep_config_selectorItNS0_10empty_typeEEEZZNS1_29radix_sort_onesweep_iterationIS3_Lb0EN6thrust23THRUST_200600_302600_NS6detail15normal_iteratorINS9_10device_ptrItEEEESE_PS5_SF_jNS0_19identity_decomposerENS1_16block_id_wrapperIjLb0EEEEE10hipError_tT1_PNSt15iterator_traitsISK_E10value_typeET2_T3_PNSL_ISQ_E10value_typeET4_T5_PSV_SW_PNS1_23onesweep_lookback_stateEbbT6_jjT7_P12ihipStream_tbENKUlT_T0_SK_SP_E_clISE_SE_SF_SF_EEDaS13_S14_SK_SP_EUlS13_E_NS1_11comp_targetILNS1_3genE6ELNS1_11target_archE950ELNS1_3gpuE13ELNS1_3repE0EEENS1_47radix_sort_onesweep_sort_config_static_selectorELNS0_4arch9wavefront6targetE1EEEvSK_
                                        ; -- End function
	.section	.AMDGPU.csdata,"",@progbits
; Kernel info:
; codeLenInByte = 0
; NumSgprs: 6
; NumVgprs: 0
; NumAgprs: 0
; TotalNumVgprs: 0
; ScratchSize: 0
; MemoryBound: 0
; FloatMode: 240
; IeeeMode: 1
; LDSByteSize: 0 bytes/workgroup (compile time only)
; SGPRBlocks: 0
; VGPRBlocks: 0
; NumSGPRsForWavesPerEU: 6
; NumVGPRsForWavesPerEU: 1
; AccumOffset: 4
; Occupancy: 8
; WaveLimiterHint : 0
; COMPUTE_PGM_RSRC2:SCRATCH_EN: 0
; COMPUTE_PGM_RSRC2:USER_SGPR: 2
; COMPUTE_PGM_RSRC2:TRAP_HANDLER: 0
; COMPUTE_PGM_RSRC2:TGID_X_EN: 1
; COMPUTE_PGM_RSRC2:TGID_Y_EN: 0
; COMPUTE_PGM_RSRC2:TGID_Z_EN: 0
; COMPUTE_PGM_RSRC2:TIDIG_COMP_CNT: 0
; COMPUTE_PGM_RSRC3_GFX90A:ACCUM_OFFSET: 0
; COMPUTE_PGM_RSRC3_GFX90A:TG_SPLIT: 0
	.section	.text._ZN7rocprim17ROCPRIM_400000_NS6detail17trampoline_kernelINS0_14default_configENS1_35radix_sort_onesweep_config_selectorItNS0_10empty_typeEEEZZNS1_29radix_sort_onesweep_iterationIS3_Lb0EN6thrust23THRUST_200600_302600_NS6detail15normal_iteratorINS9_10device_ptrItEEEESE_PS5_SF_jNS0_19identity_decomposerENS1_16block_id_wrapperIjLb0EEEEE10hipError_tT1_PNSt15iterator_traitsISK_E10value_typeET2_T3_PNSL_ISQ_E10value_typeET4_T5_PSV_SW_PNS1_23onesweep_lookback_stateEbbT6_jjT7_P12ihipStream_tbENKUlT_T0_SK_SP_E_clISE_SE_SF_SF_EEDaS13_S14_SK_SP_EUlS13_E_NS1_11comp_targetILNS1_3genE5ELNS1_11target_archE942ELNS1_3gpuE9ELNS1_3repE0EEENS1_47radix_sort_onesweep_sort_config_static_selectorELNS0_4arch9wavefront6targetE1EEEvSK_,"axG",@progbits,_ZN7rocprim17ROCPRIM_400000_NS6detail17trampoline_kernelINS0_14default_configENS1_35radix_sort_onesweep_config_selectorItNS0_10empty_typeEEEZZNS1_29radix_sort_onesweep_iterationIS3_Lb0EN6thrust23THRUST_200600_302600_NS6detail15normal_iteratorINS9_10device_ptrItEEEESE_PS5_SF_jNS0_19identity_decomposerENS1_16block_id_wrapperIjLb0EEEEE10hipError_tT1_PNSt15iterator_traitsISK_E10value_typeET2_T3_PNSL_ISQ_E10value_typeET4_T5_PSV_SW_PNS1_23onesweep_lookback_stateEbbT6_jjT7_P12ihipStream_tbENKUlT_T0_SK_SP_E_clISE_SE_SF_SF_EEDaS13_S14_SK_SP_EUlS13_E_NS1_11comp_targetILNS1_3genE5ELNS1_11target_archE942ELNS1_3gpuE9ELNS1_3repE0EEENS1_47radix_sort_onesweep_sort_config_static_selectorELNS0_4arch9wavefront6targetE1EEEvSK_,comdat
	.protected	_ZN7rocprim17ROCPRIM_400000_NS6detail17trampoline_kernelINS0_14default_configENS1_35radix_sort_onesweep_config_selectorItNS0_10empty_typeEEEZZNS1_29radix_sort_onesweep_iterationIS3_Lb0EN6thrust23THRUST_200600_302600_NS6detail15normal_iteratorINS9_10device_ptrItEEEESE_PS5_SF_jNS0_19identity_decomposerENS1_16block_id_wrapperIjLb0EEEEE10hipError_tT1_PNSt15iterator_traitsISK_E10value_typeET2_T3_PNSL_ISQ_E10value_typeET4_T5_PSV_SW_PNS1_23onesweep_lookback_stateEbbT6_jjT7_P12ihipStream_tbENKUlT_T0_SK_SP_E_clISE_SE_SF_SF_EEDaS13_S14_SK_SP_EUlS13_E_NS1_11comp_targetILNS1_3genE5ELNS1_11target_archE942ELNS1_3gpuE9ELNS1_3repE0EEENS1_47radix_sort_onesweep_sort_config_static_selectorELNS0_4arch9wavefront6targetE1EEEvSK_ ; -- Begin function _ZN7rocprim17ROCPRIM_400000_NS6detail17trampoline_kernelINS0_14default_configENS1_35radix_sort_onesweep_config_selectorItNS0_10empty_typeEEEZZNS1_29radix_sort_onesweep_iterationIS3_Lb0EN6thrust23THRUST_200600_302600_NS6detail15normal_iteratorINS9_10device_ptrItEEEESE_PS5_SF_jNS0_19identity_decomposerENS1_16block_id_wrapperIjLb0EEEEE10hipError_tT1_PNSt15iterator_traitsISK_E10value_typeET2_T3_PNSL_ISQ_E10value_typeET4_T5_PSV_SW_PNS1_23onesweep_lookback_stateEbbT6_jjT7_P12ihipStream_tbENKUlT_T0_SK_SP_E_clISE_SE_SF_SF_EEDaS13_S14_SK_SP_EUlS13_E_NS1_11comp_targetILNS1_3genE5ELNS1_11target_archE942ELNS1_3gpuE9ELNS1_3repE0EEENS1_47radix_sort_onesweep_sort_config_static_selectorELNS0_4arch9wavefront6targetE1EEEvSK_
	.globl	_ZN7rocprim17ROCPRIM_400000_NS6detail17trampoline_kernelINS0_14default_configENS1_35radix_sort_onesweep_config_selectorItNS0_10empty_typeEEEZZNS1_29radix_sort_onesweep_iterationIS3_Lb0EN6thrust23THRUST_200600_302600_NS6detail15normal_iteratorINS9_10device_ptrItEEEESE_PS5_SF_jNS0_19identity_decomposerENS1_16block_id_wrapperIjLb0EEEEE10hipError_tT1_PNSt15iterator_traitsISK_E10value_typeET2_T3_PNSL_ISQ_E10value_typeET4_T5_PSV_SW_PNS1_23onesweep_lookback_stateEbbT6_jjT7_P12ihipStream_tbENKUlT_T0_SK_SP_E_clISE_SE_SF_SF_EEDaS13_S14_SK_SP_EUlS13_E_NS1_11comp_targetILNS1_3genE5ELNS1_11target_archE942ELNS1_3gpuE9ELNS1_3repE0EEENS1_47radix_sort_onesweep_sort_config_static_selectorELNS0_4arch9wavefront6targetE1EEEvSK_
	.p2align	8
	.type	_ZN7rocprim17ROCPRIM_400000_NS6detail17trampoline_kernelINS0_14default_configENS1_35radix_sort_onesweep_config_selectorItNS0_10empty_typeEEEZZNS1_29radix_sort_onesweep_iterationIS3_Lb0EN6thrust23THRUST_200600_302600_NS6detail15normal_iteratorINS9_10device_ptrItEEEESE_PS5_SF_jNS0_19identity_decomposerENS1_16block_id_wrapperIjLb0EEEEE10hipError_tT1_PNSt15iterator_traitsISK_E10value_typeET2_T3_PNSL_ISQ_E10value_typeET4_T5_PSV_SW_PNS1_23onesweep_lookback_stateEbbT6_jjT7_P12ihipStream_tbENKUlT_T0_SK_SP_E_clISE_SE_SF_SF_EEDaS13_S14_SK_SP_EUlS13_E_NS1_11comp_targetILNS1_3genE5ELNS1_11target_archE942ELNS1_3gpuE9ELNS1_3repE0EEENS1_47radix_sort_onesweep_sort_config_static_selectorELNS0_4arch9wavefront6targetE1EEEvSK_,@function
_ZN7rocprim17ROCPRIM_400000_NS6detail17trampoline_kernelINS0_14default_configENS1_35radix_sort_onesweep_config_selectorItNS0_10empty_typeEEEZZNS1_29radix_sort_onesweep_iterationIS3_Lb0EN6thrust23THRUST_200600_302600_NS6detail15normal_iteratorINS9_10device_ptrItEEEESE_PS5_SF_jNS0_19identity_decomposerENS1_16block_id_wrapperIjLb0EEEEE10hipError_tT1_PNSt15iterator_traitsISK_E10value_typeET2_T3_PNSL_ISQ_E10value_typeET4_T5_PSV_SW_PNS1_23onesweep_lookback_stateEbbT6_jjT7_P12ihipStream_tbENKUlT_T0_SK_SP_E_clISE_SE_SF_SF_EEDaS13_S14_SK_SP_EUlS13_E_NS1_11comp_targetILNS1_3genE5ELNS1_11target_archE942ELNS1_3gpuE9ELNS1_3repE0EEENS1_47radix_sort_onesweep_sort_config_static_selectorELNS0_4arch9wavefront6targetE1EEEvSK_: ; @_ZN7rocprim17ROCPRIM_400000_NS6detail17trampoline_kernelINS0_14default_configENS1_35radix_sort_onesweep_config_selectorItNS0_10empty_typeEEEZZNS1_29radix_sort_onesweep_iterationIS3_Lb0EN6thrust23THRUST_200600_302600_NS6detail15normal_iteratorINS9_10device_ptrItEEEESE_PS5_SF_jNS0_19identity_decomposerENS1_16block_id_wrapperIjLb0EEEEE10hipError_tT1_PNSt15iterator_traitsISK_E10value_typeET2_T3_PNSL_ISQ_E10value_typeET4_T5_PSV_SW_PNS1_23onesweep_lookback_stateEbbT6_jjT7_P12ihipStream_tbENKUlT_T0_SK_SP_E_clISE_SE_SF_SF_EEDaS13_S14_SK_SP_EUlS13_E_NS1_11comp_targetILNS1_3genE5ELNS1_11target_archE942ELNS1_3gpuE9ELNS1_3repE0EEENS1_47radix_sort_onesweep_sort_config_static_selectorELNS0_4arch9wavefront6targetE1EEEvSK_
; %bb.0:
	s_load_dwordx4 s[24:27], s[0:1], 0x44
	s_load_dwordx2 s[28:29], s[0:1], 0x38
	s_load_dwordx4 s[20:23], s[0:1], 0x0
	s_load_dwordx4 s[16:19], s[0:1], 0x28
	s_mul_i32 s30, s2, 0x3000
	s_waitcnt lgkmcnt(0)
	s_cmp_ge_u32 s2, s26
	v_mbcnt_lo_u32_b32 v1, -1, 0
	s_cbranch_scc0 .LBB1367_96
; %bb.1:
	s_load_dword s3, s[0:1], 0x20
	s_mul_i32 s6, s26, 0xffffd000
	s_mov_b32 s31, 0
	v_and_b32_e32 v2, 0x3ff, v0
	s_lshl_b64 s[4:5], s[30:31], 1
	s_waitcnt lgkmcnt(0)
	s_add_i32 s3, s3, s6
	v_mbcnt_hi_u32_b32 v13, -1, v1
	s_add_u32 s4, s20, s4
	v_and_b32_e32 v3, 63, v13
	v_and_b32_e32 v4, 0x3c0, v2
	s_addc_u32 s5, s21, s5
	v_mul_u32_u24_e32 v8, 12, v4
	v_lshlrev_b32_e32 v4, 1, v3
	v_mov_b32_e32 v5, 0
	v_lshl_add_u64 v[6:7], s[4:5], 0, v[4:5]
	v_lshlrev_b32_e32 v4, 1, v8
	v_lshl_add_u64 v[4:5], v[6:7], 0, v[4:5]
	v_or_b32_e32 v6, v3, v8
	v_cmp_gt_u32_e32 vcc, s3, v6
	v_mov_b32_e32 v3, -1
	v_mov_b32_e32 v8, -1
	s_and_saveexec_b64 s[4:5], vcc
	s_cbranch_execz .LBB1367_3
; %bb.2:
	global_load_ushort v8, v[4:5], off
.LBB1367_3:
	s_or_b64 exec, exec, s[4:5]
	v_or_b32_e32 v7, 64, v6
	v_cmp_gt_u32_e32 vcc, s3, v7
	s_and_saveexec_b64 s[4:5], vcc
	s_cbranch_execz .LBB1367_5
; %bb.4:
	global_load_ushort v3, v[4:5], off offset:128
.LBB1367_5:
	s_or_b64 exec, exec, s[4:5]
	v_or_b32_e32 v7, 0x80, v6
	v_cmp_gt_u32_e32 vcc, s3, v7
	v_mov_b32_e32 v9, -1
	v_mov_b32_e32 v10, -1
	s_and_saveexec_b64 s[4:5], vcc
	s_cbranch_execz .LBB1367_7
; %bb.6:
	global_load_ushort v10, v[4:5], off offset:256
.LBB1367_7:
	s_or_b64 exec, exec, s[4:5]
	v_or_b32_e32 v7, 0xc0, v6
	v_cmp_gt_u32_e32 vcc, s3, v7
	s_and_saveexec_b64 s[4:5], vcc
	s_cbranch_execz .LBB1367_9
; %bb.8:
	global_load_ushort v9, v[4:5], off offset:384
.LBB1367_9:
	s_or_b64 exec, exec, s[4:5]
	v_add_u32_e32 v7, 0x100, v6
	v_cmp_gt_u32_e32 vcc, s3, v7
	v_mov_b32_e32 v11, -1
	v_mov_b32_e32 v12, -1
	s_and_saveexec_b64 s[4:5], vcc
	s_cbranch_execz .LBB1367_11
; %bb.10:
	global_load_ushort v12, v[4:5], off offset:512
.LBB1367_11:
	s_or_b64 exec, exec, s[4:5]
	v_add_u32_e32 v7, 0x140, v6
	v_cmp_gt_u32_e32 vcc, s3, v7
	s_and_saveexec_b64 s[4:5], vcc
	s_cbranch_execz .LBB1367_13
; %bb.12:
	global_load_ushort v11, v[4:5], off offset:640
.LBB1367_13:
	s_or_b64 exec, exec, s[4:5]
	v_add_u32_e32 v7, 0x180, v6
	v_cmp_gt_u32_e32 vcc, s3, v7
	v_mov_b32_e32 v14, -1
	v_mov_b32_e32 v15, -1
	s_and_saveexec_b64 s[4:5], vcc
	s_cbranch_execz .LBB1367_15
; %bb.14:
	global_load_ushort v15, v[4:5], off offset:768
.LBB1367_15:
	s_or_b64 exec, exec, s[4:5]
	v_add_u32_e32 v7, 0x1c0, v6
	;; [unrolled: 18-line block ×4, first 2 shown]
	v_cmp_gt_u32_e32 vcc, s3, v6
	s_and_saveexec_b64 s[4:5], vcc
	s_cbranch_execz .LBB1367_25
; %bb.24:
	global_load_ushort v18, v[4:5], off offset:1408
.LBB1367_25:
	s_or_b64 exec, exec, s[4:5]
	s_load_dword s4, s[0:1], 0x64
	s_load_dword s26, s[0:1], 0x58
	s_add_u32 s5, s0, 0x58
	s_addc_u32 s6, s1, 0
	v_mov_b32_e32 v5, 0
	s_waitcnt lgkmcnt(0)
	s_lshr_b32 s7, s4, 16
	s_cmp_lt_u32 s2, s26
	s_cselect_b32 s4, 12, 18
	s_add_u32 s4, s5, s4
	s_addc_u32 s5, s6, 0
	global_load_ushort v21, v5, s[4:5]
	s_lshl_b32 s4, -1, s25
	s_waitcnt vmcnt(1)
	v_lshrrev_b32_sdwa v23, s24, v8 dst_sel:DWORD dst_unused:UNUSED_PAD src0_sel:DWORD src1_sel:WORD_0
	s_not_b32 s27, s4
	v_bfe_u32 v4, v0, 10, 10
	v_bfe_u32 v7, v0, 20, 10
	v_and_b32_e32 v33, s27, v23
	v_mul_u32_u24_e32 v6, 5, v2
	v_mad_u32_u24 v32, v7, s7, v4
	v_and_b32_e32 v4, 1, v33
	v_lshlrev_b32_e32 v7, 30, v33
	v_lshlrev_b32_e32 v20, 2, v6
	v_mov_b32_e32 v6, v5
	v_mov_b32_e32 v24, v5
	v_lshlrev_b32_e32 v23, 29, v33
	v_lshlrev_b32_e32 v25, 28, v33
	v_lshl_add_u64 v[34:35], v[4:5], 0, -1
	v_cmp_ne_u32_e32 vcc, 0, v4
	v_not_b32_e32 v4, v7
	v_mov_b32_e32 v22, v5
	v_mov_b32_e32 v26, v5
	v_lshlrev_b32_e32 v27, 27, v33
	v_cmp_gt_i64_e64 s[4:5], 0, v[6:7]
	v_not_b32_e32 v6, v23
	v_cmp_gt_i64_e64 s[8:9], 0, v[24:25]
	v_not_b32_e32 v7, v25
	v_xor_b32_e32 v25, vcc_hi, v35
	v_ashrrev_i32_e32 v4, 31, v4
	v_mov_b32_e32 v28, v5
	v_lshlrev_b32_e32 v29, 26, v33
	v_cmp_gt_i64_e64 s[6:7], 0, v[22:23]
	v_cmp_gt_i64_e64 s[10:11], 0, v[26:27]
	v_not_b32_e32 v22, v27
	v_xor_b32_e32 v26, vcc_lo, v34
	v_ashrrev_i32_e32 v6, 31, v6
	v_and_b32_e32 v25, exec_hi, v25
	v_xor_b32_e32 v27, s5, v4
	v_cmp_gt_i64_e64 s[12:13], 0, v[28:29]
	v_ashrrev_i32_e32 v7, 31, v7
	v_and_b32_e32 v26, exec_lo, v26
	v_xor_b32_e32 v4, s4, v4
	v_xor_b32_e32 v28, s7, v6
	v_and_b32_e32 v25, v25, v27
	v_mov_b32_e32 v30, v5
	v_lshlrev_b32_e32 v31, 25, v33
	v_not_b32_e32 v23, v29
	v_ashrrev_i32_e32 v22, 31, v22
	v_xor_b32_e32 v6, s6, v6
	v_xor_b32_e32 v29, s9, v7
	v_and_b32_e32 v4, v26, v4
	v_and_b32_e32 v25, v25, v28
	v_cmp_gt_i64_e64 s[14:15], 0, v[30:31]
	v_not_b32_e32 v24, v31
	v_ashrrev_i32_e32 v23, 31, v23
	v_xor_b32_e32 v30, s11, v22
	v_and_b32_e32 v4, v4, v6
	v_and_b32_e32 v6, v25, v29
	v_ashrrev_i32_e32 v24, 31, v24
	v_xor_b32_e32 v7, s8, v7
	v_xor_b32_e32 v31, s13, v23
	v_and_b32_e32 v6, v6, v30
	v_xor_b32_e32 v22, s10, v22
	v_xor_b32_e32 v34, s15, v24
	v_and_b32_e32 v4, v4, v7
	v_and_b32_e32 v6, v6, v31
	v_mul_u32_u24_e32 v36, 17, v33
	v_lshlrev_b32_e32 v33, 24, v33
	v_and_b32_e32 v4, v4, v22
	v_and_b32_e32 v22, v6, v34
	v_xor_b32_e32 v23, s12, v23
	v_xor_b32_e32 v24, s14, v24
	v_and_b32_e32 v4, v4, v23
	v_and_b32_e32 v4, v4, v24
	ds_write2_b32 v20, v5, v5 offset0:16 offset1:17
	ds_write2_b32 v20, v5, v5 offset0:18 offset1:19
	ds_write_b32 v20, v5 offset:80
	s_waitcnt lgkmcnt(0)
	s_barrier
	s_waitcnt lgkmcnt(0)
	; wave barrier
	s_waitcnt vmcnt(0)
	v_mad_u64_u32 v[6:7], s[4:5], v32, v21, v[2:3]
	v_lshrrev_b32_e32 v30, 6, v6
	v_mov_b32_e32 v32, v5
	v_not_b32_e32 v6, v33
	v_cmp_gt_i64_e32 vcc, 0, v[32:33]
	v_ashrrev_i32_e32 v6, 31, v6
	v_add_lshl_u32 v23, v30, v36, 2
	v_xor_b32_e32 v7, vcc_hi, v6
	v_xor_b32_e32 v6, vcc_lo, v6
	v_and_b32_e32 v6, v4, v6
	v_and_b32_e32 v7, v22, v7
	v_mbcnt_lo_u32_b32 v4, v6, 0
	v_mbcnt_hi_u32_b32 v21, v7, v4
	v_cmp_eq_u32_e32 vcc, 0, v21
	v_cmp_ne_u64_e64 s[4:5], 0, v[6:7]
	s_and_b64 s[6:7], s[4:5], vcc
	s_and_saveexec_b64 s[4:5], s[6:7]
	s_cbranch_execz .LBB1367_27
; %bb.26:
	v_bcnt_u32_b32 v4, v6, 0
	v_bcnt_u32_b32 v4, v7, v4
	ds_write_b32 v23, v4 offset:64
.LBB1367_27:
	s_or_b64 exec, exec, s[4:5]
	v_lshrrev_b32_sdwa v4, s24, v3 dst_sel:DWORD dst_unused:UNUSED_PAD src0_sel:DWORD src1_sel:WORD_0
	v_and_b32_e32 v25, s27, v4
	v_mul_u32_u24_e32 v4, 17, v25
	v_add_lshl_u32 v24, v30, v4, 2
	v_and_b32_e32 v4, 1, v25
	v_lshl_add_u64 v[6:7], v[4:5], 0, -1
	v_cmp_ne_u32_e32 vcc, 0, v4
	; wave barrier
	s_nop 1
	v_xor_b32_e32 v6, vcc_lo, v6
	v_xor_b32_e32 v4, vcc_hi, v7
	v_and_b32_e32 v26, exec_lo, v6
	v_lshlrev_b32_e32 v7, 30, v25
	v_mov_b32_e32 v6, v5
	v_cmp_gt_i64_e32 vcc, 0, v[6:7]
	v_not_b32_e32 v6, v7
	v_ashrrev_i32_e32 v6, 31, v6
	v_and_b32_e32 v4, exec_hi, v4
	v_xor_b32_e32 v7, vcc_hi, v6
	v_xor_b32_e32 v6, vcc_lo, v6
	v_and_b32_e32 v4, v4, v7
	v_and_b32_e32 v26, v26, v6
	v_lshlrev_b32_e32 v7, 29, v25
	v_mov_b32_e32 v6, v5
	v_cmp_gt_i64_e32 vcc, 0, v[6:7]
	v_not_b32_e32 v6, v7
	v_ashrrev_i32_e32 v6, 31, v6
	v_xor_b32_e32 v7, vcc_hi, v6
	v_xor_b32_e32 v6, vcc_lo, v6
	v_and_b32_e32 v4, v4, v7
	v_and_b32_e32 v26, v26, v6
	v_lshlrev_b32_e32 v7, 28, v25
	v_mov_b32_e32 v6, v5
	v_cmp_gt_i64_e32 vcc, 0, v[6:7]
	v_not_b32_e32 v6, v7
	v_ashrrev_i32_e32 v6, 31, v6
	;; [unrolled: 9-line block ×5, first 2 shown]
	v_xor_b32_e32 v7, vcc_hi, v6
	v_xor_b32_e32 v6, vcc_lo, v6
	v_and_b32_e32 v4, v4, v7
	v_lshlrev_b32_e32 v7, 24, v25
	v_and_b32_e32 v26, v26, v6
	v_mov_b32_e32 v6, v5
	v_not_b32_e32 v5, v7
	v_cmp_gt_i64_e32 vcc, 0, v[6:7]
	v_ashrrev_i32_e32 v5, 31, v5
	ds_read_b32 v22, v24 offset:64
	v_xor_b32_e32 v6, vcc_hi, v5
	v_xor_b32_e32 v7, vcc_lo, v5
	v_and_b32_e32 v5, v4, v6
	v_and_b32_e32 v4, v26, v7
	v_mbcnt_lo_u32_b32 v6, v4, 0
	v_mbcnt_hi_u32_b32 v25, v5, v6
	v_cmp_eq_u32_e32 vcc, 0, v25
	v_cmp_ne_u64_e64 s[4:5], 0, v[4:5]
	s_and_b64 s[6:7], s[4:5], vcc
	; wave barrier
	s_and_saveexec_b64 s[4:5], s[6:7]
	s_cbranch_execz .LBB1367_29
; %bb.28:
	v_bcnt_u32_b32 v4, v4, 0
	v_bcnt_u32_b32 v4, v5, v4
	s_waitcnt lgkmcnt(0)
	v_add_u32_e32 v4, v22, v4
	ds_write_b32 v24, v4 offset:64
.LBB1367_29:
	s_or_b64 exec, exec, s[4:5]
	v_lshrrev_b32_sdwa v4, s24, v10 dst_sel:DWORD dst_unused:UNUSED_PAD src0_sel:DWORD src1_sel:WORD_0
	v_and_b32_e32 v28, s27, v4
	v_mul_u32_u24_e32 v4, 17, v28
	v_add_lshl_u32 v27, v30, v4, 2
	v_and_b32_e32 v4, 1, v28
	v_mov_b32_e32 v5, 0
	v_lshl_add_u64 v[6:7], v[4:5], 0, -1
	v_cmp_ne_u32_e32 vcc, 0, v4
	; wave barrier
	s_nop 1
	v_xor_b32_e32 v6, vcc_lo, v6
	v_xor_b32_e32 v4, vcc_hi, v7
	v_and_b32_e32 v29, exec_lo, v6
	v_lshlrev_b32_e32 v7, 30, v28
	v_mov_b32_e32 v6, v5
	v_cmp_gt_i64_e32 vcc, 0, v[6:7]
	v_not_b32_e32 v6, v7
	v_ashrrev_i32_e32 v6, 31, v6
	v_and_b32_e32 v4, exec_hi, v4
	v_xor_b32_e32 v7, vcc_hi, v6
	v_xor_b32_e32 v6, vcc_lo, v6
	v_and_b32_e32 v4, v4, v7
	v_and_b32_e32 v29, v29, v6
	v_lshlrev_b32_e32 v7, 29, v28
	v_mov_b32_e32 v6, v5
	v_cmp_gt_i64_e32 vcc, 0, v[6:7]
	v_not_b32_e32 v6, v7
	v_ashrrev_i32_e32 v6, 31, v6
	v_xor_b32_e32 v7, vcc_hi, v6
	v_xor_b32_e32 v6, vcc_lo, v6
	v_and_b32_e32 v4, v4, v7
	v_and_b32_e32 v29, v29, v6
	v_lshlrev_b32_e32 v7, 28, v28
	v_mov_b32_e32 v6, v5
	v_cmp_gt_i64_e32 vcc, 0, v[6:7]
	v_not_b32_e32 v6, v7
	v_ashrrev_i32_e32 v6, 31, v6
	;; [unrolled: 9-line block ×6, first 2 shown]
	v_xor_b32_e32 v7, vcc_hi, v6
	v_xor_b32_e32 v6, vcc_lo, v6
	ds_read_b32 v26, v27 offset:64
	v_and_b32_e32 v6, v29, v6
	v_and_b32_e32 v7, v4, v7
	v_mbcnt_lo_u32_b32 v4, v6, 0
	v_mbcnt_hi_u32_b32 v28, v7, v4
	v_cmp_eq_u32_e32 vcc, 0, v28
	v_cmp_ne_u64_e64 s[4:5], 0, v[6:7]
	s_and_b64 s[6:7], s[4:5], vcc
	; wave barrier
	s_and_saveexec_b64 s[4:5], s[6:7]
	s_cbranch_execz .LBB1367_31
; %bb.30:
	v_bcnt_u32_b32 v4, v6, 0
	v_bcnt_u32_b32 v4, v7, v4
	s_waitcnt lgkmcnt(0)
	v_add_u32_e32 v4, v26, v4
	ds_write_b32 v27, v4 offset:64
.LBB1367_31:
	s_or_b64 exec, exec, s[4:5]
	v_lshrrev_b32_sdwa v4, s24, v9 dst_sel:DWORD dst_unused:UNUSED_PAD src0_sel:DWORD src1_sel:WORD_0
	v_and_b32_e32 v32, s27, v4
	v_mul_u32_u24_e32 v4, 17, v32
	v_add_lshl_u32 v31, v30, v4, 2
	v_and_b32_e32 v4, 1, v32
	v_lshl_add_u64 v[6:7], v[4:5], 0, -1
	v_cmp_ne_u32_e32 vcc, 0, v4
	; wave barrier
	s_nop 1
	v_xor_b32_e32 v6, vcc_lo, v6
	v_xor_b32_e32 v4, vcc_hi, v7
	v_and_b32_e32 v33, exec_lo, v6
	v_lshlrev_b32_e32 v7, 30, v32
	v_mov_b32_e32 v6, v5
	v_cmp_gt_i64_e32 vcc, 0, v[6:7]
	v_not_b32_e32 v6, v7
	v_ashrrev_i32_e32 v6, 31, v6
	v_and_b32_e32 v4, exec_hi, v4
	v_xor_b32_e32 v7, vcc_hi, v6
	v_xor_b32_e32 v6, vcc_lo, v6
	v_and_b32_e32 v4, v4, v7
	v_and_b32_e32 v33, v33, v6
	v_lshlrev_b32_e32 v7, 29, v32
	v_mov_b32_e32 v6, v5
	v_cmp_gt_i64_e32 vcc, 0, v[6:7]
	v_not_b32_e32 v6, v7
	v_ashrrev_i32_e32 v6, 31, v6
	v_xor_b32_e32 v7, vcc_hi, v6
	v_xor_b32_e32 v6, vcc_lo, v6
	v_and_b32_e32 v4, v4, v7
	v_and_b32_e32 v33, v33, v6
	v_lshlrev_b32_e32 v7, 28, v32
	v_mov_b32_e32 v6, v5
	v_cmp_gt_i64_e32 vcc, 0, v[6:7]
	v_not_b32_e32 v6, v7
	v_ashrrev_i32_e32 v6, 31, v6
	;; [unrolled: 9-line block ×5, first 2 shown]
	v_xor_b32_e32 v7, vcc_hi, v6
	v_xor_b32_e32 v6, vcc_lo, v6
	v_and_b32_e32 v4, v4, v7
	v_lshlrev_b32_e32 v7, 24, v32
	v_and_b32_e32 v33, v33, v6
	v_mov_b32_e32 v6, v5
	v_not_b32_e32 v5, v7
	v_cmp_gt_i64_e32 vcc, 0, v[6:7]
	v_ashrrev_i32_e32 v5, 31, v5
	ds_read_b32 v29, v31 offset:64
	v_xor_b32_e32 v6, vcc_hi, v5
	v_xor_b32_e32 v7, vcc_lo, v5
	v_and_b32_e32 v5, v4, v6
	v_and_b32_e32 v4, v33, v7
	v_mbcnt_lo_u32_b32 v6, v4, 0
	v_mbcnt_hi_u32_b32 v32, v5, v6
	v_cmp_eq_u32_e32 vcc, 0, v32
	v_cmp_ne_u64_e64 s[4:5], 0, v[4:5]
	s_and_b64 s[6:7], s[4:5], vcc
	; wave barrier
	s_and_saveexec_b64 s[4:5], s[6:7]
	s_cbranch_execz .LBB1367_33
; %bb.32:
	v_bcnt_u32_b32 v4, v4, 0
	v_bcnt_u32_b32 v4, v5, v4
	s_waitcnt lgkmcnt(0)
	v_add_u32_e32 v4, v29, v4
	ds_write_b32 v31, v4 offset:64
.LBB1367_33:
	s_or_b64 exec, exec, s[4:5]
	v_lshrrev_b32_sdwa v4, s24, v12 dst_sel:DWORD dst_unused:UNUSED_PAD src0_sel:DWORD src1_sel:WORD_0
	v_and_b32_e32 v35, s27, v4
	v_mul_u32_u24_e32 v4, 17, v35
	v_add_lshl_u32 v34, v30, v4, 2
	v_and_b32_e32 v4, 1, v35
	v_mov_b32_e32 v5, 0
	v_lshl_add_u64 v[6:7], v[4:5], 0, -1
	v_cmp_ne_u32_e32 vcc, 0, v4
	; wave barrier
	s_nop 1
	v_xor_b32_e32 v6, vcc_lo, v6
	v_xor_b32_e32 v4, vcc_hi, v7
	v_and_b32_e32 v36, exec_lo, v6
	v_lshlrev_b32_e32 v7, 30, v35
	v_mov_b32_e32 v6, v5
	v_cmp_gt_i64_e32 vcc, 0, v[6:7]
	v_not_b32_e32 v6, v7
	v_ashrrev_i32_e32 v6, 31, v6
	v_and_b32_e32 v4, exec_hi, v4
	v_xor_b32_e32 v7, vcc_hi, v6
	v_xor_b32_e32 v6, vcc_lo, v6
	v_and_b32_e32 v4, v4, v7
	v_and_b32_e32 v36, v36, v6
	v_lshlrev_b32_e32 v7, 29, v35
	v_mov_b32_e32 v6, v5
	v_cmp_gt_i64_e32 vcc, 0, v[6:7]
	v_not_b32_e32 v6, v7
	v_ashrrev_i32_e32 v6, 31, v6
	v_xor_b32_e32 v7, vcc_hi, v6
	v_xor_b32_e32 v6, vcc_lo, v6
	v_and_b32_e32 v4, v4, v7
	v_and_b32_e32 v36, v36, v6
	v_lshlrev_b32_e32 v7, 28, v35
	v_mov_b32_e32 v6, v5
	v_cmp_gt_i64_e32 vcc, 0, v[6:7]
	v_not_b32_e32 v6, v7
	v_ashrrev_i32_e32 v6, 31, v6
	;; [unrolled: 9-line block ×6, first 2 shown]
	v_xor_b32_e32 v7, vcc_hi, v6
	v_xor_b32_e32 v6, vcc_lo, v6
	ds_read_b32 v33, v34 offset:64
	v_and_b32_e32 v6, v36, v6
	v_and_b32_e32 v7, v4, v7
	v_mbcnt_lo_u32_b32 v4, v6, 0
	v_mbcnt_hi_u32_b32 v35, v7, v4
	v_cmp_eq_u32_e32 vcc, 0, v35
	v_cmp_ne_u64_e64 s[4:5], 0, v[6:7]
	s_and_b64 s[6:7], s[4:5], vcc
	; wave barrier
	s_and_saveexec_b64 s[4:5], s[6:7]
	s_cbranch_execz .LBB1367_35
; %bb.34:
	v_bcnt_u32_b32 v4, v6, 0
	v_bcnt_u32_b32 v4, v7, v4
	s_waitcnt lgkmcnt(0)
	v_add_u32_e32 v4, v33, v4
	ds_write_b32 v34, v4 offset:64
.LBB1367_35:
	s_or_b64 exec, exec, s[4:5]
	v_lshrrev_b32_sdwa v4, s24, v11 dst_sel:DWORD dst_unused:UNUSED_PAD src0_sel:DWORD src1_sel:WORD_0
	v_and_b32_e32 v38, s27, v4
	v_mul_u32_u24_e32 v4, 17, v38
	v_add_lshl_u32 v37, v30, v4, 2
	v_and_b32_e32 v4, 1, v38
	v_lshl_add_u64 v[6:7], v[4:5], 0, -1
	v_cmp_ne_u32_e32 vcc, 0, v4
	; wave barrier
	s_nop 1
	v_xor_b32_e32 v6, vcc_lo, v6
	v_xor_b32_e32 v4, vcc_hi, v7
	v_and_b32_e32 v39, exec_lo, v6
	v_lshlrev_b32_e32 v7, 30, v38
	v_mov_b32_e32 v6, v5
	v_cmp_gt_i64_e32 vcc, 0, v[6:7]
	v_not_b32_e32 v6, v7
	v_ashrrev_i32_e32 v6, 31, v6
	v_and_b32_e32 v4, exec_hi, v4
	v_xor_b32_e32 v7, vcc_hi, v6
	v_xor_b32_e32 v6, vcc_lo, v6
	v_and_b32_e32 v4, v4, v7
	v_and_b32_e32 v39, v39, v6
	v_lshlrev_b32_e32 v7, 29, v38
	v_mov_b32_e32 v6, v5
	v_cmp_gt_i64_e32 vcc, 0, v[6:7]
	v_not_b32_e32 v6, v7
	v_ashrrev_i32_e32 v6, 31, v6
	v_xor_b32_e32 v7, vcc_hi, v6
	v_xor_b32_e32 v6, vcc_lo, v6
	v_and_b32_e32 v4, v4, v7
	v_and_b32_e32 v39, v39, v6
	v_lshlrev_b32_e32 v7, 28, v38
	v_mov_b32_e32 v6, v5
	v_cmp_gt_i64_e32 vcc, 0, v[6:7]
	v_not_b32_e32 v6, v7
	v_ashrrev_i32_e32 v6, 31, v6
	;; [unrolled: 9-line block ×5, first 2 shown]
	v_xor_b32_e32 v7, vcc_hi, v6
	v_xor_b32_e32 v6, vcc_lo, v6
	v_and_b32_e32 v4, v4, v7
	v_lshlrev_b32_e32 v7, 24, v38
	v_and_b32_e32 v39, v39, v6
	v_mov_b32_e32 v6, v5
	v_not_b32_e32 v5, v7
	v_cmp_gt_i64_e32 vcc, 0, v[6:7]
	v_ashrrev_i32_e32 v5, 31, v5
	ds_read_b32 v36, v37 offset:64
	v_xor_b32_e32 v6, vcc_hi, v5
	v_xor_b32_e32 v7, vcc_lo, v5
	v_and_b32_e32 v5, v4, v6
	v_and_b32_e32 v4, v39, v7
	v_mbcnt_lo_u32_b32 v6, v4, 0
	v_mbcnt_hi_u32_b32 v38, v5, v6
	v_cmp_eq_u32_e32 vcc, 0, v38
	v_cmp_ne_u64_e64 s[4:5], 0, v[4:5]
	s_and_b64 s[6:7], s[4:5], vcc
	; wave barrier
	s_and_saveexec_b64 s[4:5], s[6:7]
	s_cbranch_execz .LBB1367_37
; %bb.36:
	v_bcnt_u32_b32 v4, v4, 0
	v_bcnt_u32_b32 v4, v5, v4
	s_waitcnt lgkmcnt(0)
	v_add_u32_e32 v4, v36, v4
	ds_write_b32 v37, v4 offset:64
.LBB1367_37:
	s_or_b64 exec, exec, s[4:5]
	v_lshrrev_b32_sdwa v4, s24, v15 dst_sel:DWORD dst_unused:UNUSED_PAD src0_sel:DWORD src1_sel:WORD_0
	v_and_b32_e32 v41, s27, v4
	v_mul_u32_u24_e32 v4, 17, v41
	v_add_lshl_u32 v40, v30, v4, 2
	v_and_b32_e32 v4, 1, v41
	v_mov_b32_e32 v5, 0
	v_lshl_add_u64 v[6:7], v[4:5], 0, -1
	v_cmp_ne_u32_e32 vcc, 0, v4
	; wave barrier
	s_nop 1
	v_xor_b32_e32 v6, vcc_lo, v6
	v_xor_b32_e32 v4, vcc_hi, v7
	v_and_b32_e32 v42, exec_lo, v6
	v_lshlrev_b32_e32 v7, 30, v41
	v_mov_b32_e32 v6, v5
	v_cmp_gt_i64_e32 vcc, 0, v[6:7]
	v_not_b32_e32 v6, v7
	v_ashrrev_i32_e32 v6, 31, v6
	v_and_b32_e32 v4, exec_hi, v4
	v_xor_b32_e32 v7, vcc_hi, v6
	v_xor_b32_e32 v6, vcc_lo, v6
	v_and_b32_e32 v4, v4, v7
	v_and_b32_e32 v42, v42, v6
	v_lshlrev_b32_e32 v7, 29, v41
	v_mov_b32_e32 v6, v5
	v_cmp_gt_i64_e32 vcc, 0, v[6:7]
	v_not_b32_e32 v6, v7
	v_ashrrev_i32_e32 v6, 31, v6
	v_xor_b32_e32 v7, vcc_hi, v6
	v_xor_b32_e32 v6, vcc_lo, v6
	v_and_b32_e32 v4, v4, v7
	v_and_b32_e32 v42, v42, v6
	v_lshlrev_b32_e32 v7, 28, v41
	v_mov_b32_e32 v6, v5
	v_cmp_gt_i64_e32 vcc, 0, v[6:7]
	v_not_b32_e32 v6, v7
	v_ashrrev_i32_e32 v6, 31, v6
	;; [unrolled: 9-line block ×6, first 2 shown]
	v_xor_b32_e32 v7, vcc_hi, v6
	v_xor_b32_e32 v6, vcc_lo, v6
	ds_read_b32 v39, v40 offset:64
	v_and_b32_e32 v6, v42, v6
	v_and_b32_e32 v7, v4, v7
	v_mbcnt_lo_u32_b32 v4, v6, 0
	v_mbcnt_hi_u32_b32 v41, v7, v4
	v_cmp_eq_u32_e32 vcc, 0, v41
	v_cmp_ne_u64_e64 s[4:5], 0, v[6:7]
	s_and_b64 s[6:7], s[4:5], vcc
	; wave barrier
	s_and_saveexec_b64 s[4:5], s[6:7]
	s_cbranch_execz .LBB1367_39
; %bb.38:
	v_bcnt_u32_b32 v4, v6, 0
	v_bcnt_u32_b32 v4, v7, v4
	s_waitcnt lgkmcnt(0)
	v_add_u32_e32 v4, v39, v4
	ds_write_b32 v40, v4 offset:64
.LBB1367_39:
	s_or_b64 exec, exec, s[4:5]
	v_lshrrev_b32_sdwa v4, s24, v14 dst_sel:DWORD dst_unused:UNUSED_PAD src0_sel:DWORD src1_sel:WORD_0
	v_and_b32_e32 v44, s27, v4
	v_mul_u32_u24_e32 v4, 17, v44
	v_add_lshl_u32 v43, v30, v4, 2
	v_and_b32_e32 v4, 1, v44
	v_lshl_add_u64 v[6:7], v[4:5], 0, -1
	v_cmp_ne_u32_e32 vcc, 0, v4
	; wave barrier
	s_nop 1
	v_xor_b32_e32 v6, vcc_lo, v6
	v_xor_b32_e32 v4, vcc_hi, v7
	v_and_b32_e32 v45, exec_lo, v6
	v_lshlrev_b32_e32 v7, 30, v44
	v_mov_b32_e32 v6, v5
	v_cmp_gt_i64_e32 vcc, 0, v[6:7]
	v_not_b32_e32 v6, v7
	v_ashrrev_i32_e32 v6, 31, v6
	v_and_b32_e32 v4, exec_hi, v4
	v_xor_b32_e32 v7, vcc_hi, v6
	v_xor_b32_e32 v6, vcc_lo, v6
	v_and_b32_e32 v4, v4, v7
	v_and_b32_e32 v45, v45, v6
	v_lshlrev_b32_e32 v7, 29, v44
	v_mov_b32_e32 v6, v5
	v_cmp_gt_i64_e32 vcc, 0, v[6:7]
	v_not_b32_e32 v6, v7
	v_ashrrev_i32_e32 v6, 31, v6
	v_xor_b32_e32 v7, vcc_hi, v6
	v_xor_b32_e32 v6, vcc_lo, v6
	v_and_b32_e32 v4, v4, v7
	v_and_b32_e32 v45, v45, v6
	v_lshlrev_b32_e32 v7, 28, v44
	v_mov_b32_e32 v6, v5
	v_cmp_gt_i64_e32 vcc, 0, v[6:7]
	v_not_b32_e32 v6, v7
	v_ashrrev_i32_e32 v6, 31, v6
	;; [unrolled: 9-line block ×5, first 2 shown]
	v_xor_b32_e32 v7, vcc_hi, v6
	v_xor_b32_e32 v6, vcc_lo, v6
	v_and_b32_e32 v4, v4, v7
	v_lshlrev_b32_e32 v7, 24, v44
	v_and_b32_e32 v45, v45, v6
	v_mov_b32_e32 v6, v5
	v_not_b32_e32 v5, v7
	v_cmp_gt_i64_e32 vcc, 0, v[6:7]
	v_ashrrev_i32_e32 v5, 31, v5
	ds_read_b32 v42, v43 offset:64
	v_xor_b32_e32 v6, vcc_hi, v5
	v_xor_b32_e32 v7, vcc_lo, v5
	v_and_b32_e32 v5, v4, v6
	v_and_b32_e32 v4, v45, v7
	v_mbcnt_lo_u32_b32 v6, v4, 0
	v_mbcnt_hi_u32_b32 v44, v5, v6
	v_cmp_eq_u32_e32 vcc, 0, v44
	v_cmp_ne_u64_e64 s[4:5], 0, v[4:5]
	s_and_b64 s[6:7], s[4:5], vcc
	; wave barrier
	s_and_saveexec_b64 s[4:5], s[6:7]
	s_cbranch_execz .LBB1367_41
; %bb.40:
	v_bcnt_u32_b32 v4, v4, 0
	v_bcnt_u32_b32 v4, v5, v4
	s_waitcnt lgkmcnt(0)
	v_add_u32_e32 v4, v42, v4
	ds_write_b32 v43, v4 offset:64
.LBB1367_41:
	s_or_b64 exec, exec, s[4:5]
	v_lshrrev_b32_sdwa v4, s24, v17 dst_sel:DWORD dst_unused:UNUSED_PAD src0_sel:DWORD src1_sel:WORD_0
	v_and_b32_e32 v47, s27, v4
	v_mul_u32_u24_e32 v4, 17, v47
	v_add_lshl_u32 v46, v30, v4, 2
	v_and_b32_e32 v4, 1, v47
	v_mov_b32_e32 v5, 0
	v_lshl_add_u64 v[6:7], v[4:5], 0, -1
	v_cmp_ne_u32_e32 vcc, 0, v4
	; wave barrier
	s_nop 1
	v_xor_b32_e32 v6, vcc_lo, v6
	v_xor_b32_e32 v4, vcc_hi, v7
	v_and_b32_e32 v48, exec_lo, v6
	v_lshlrev_b32_e32 v7, 30, v47
	v_mov_b32_e32 v6, v5
	v_cmp_gt_i64_e32 vcc, 0, v[6:7]
	v_not_b32_e32 v6, v7
	v_ashrrev_i32_e32 v6, 31, v6
	v_and_b32_e32 v4, exec_hi, v4
	v_xor_b32_e32 v7, vcc_hi, v6
	v_xor_b32_e32 v6, vcc_lo, v6
	v_and_b32_e32 v4, v4, v7
	v_and_b32_e32 v48, v48, v6
	v_lshlrev_b32_e32 v7, 29, v47
	v_mov_b32_e32 v6, v5
	v_cmp_gt_i64_e32 vcc, 0, v[6:7]
	v_not_b32_e32 v6, v7
	v_ashrrev_i32_e32 v6, 31, v6
	v_xor_b32_e32 v7, vcc_hi, v6
	v_xor_b32_e32 v6, vcc_lo, v6
	v_and_b32_e32 v4, v4, v7
	v_and_b32_e32 v48, v48, v6
	v_lshlrev_b32_e32 v7, 28, v47
	v_mov_b32_e32 v6, v5
	v_cmp_gt_i64_e32 vcc, 0, v[6:7]
	v_not_b32_e32 v6, v7
	v_ashrrev_i32_e32 v6, 31, v6
	;; [unrolled: 9-line block ×6, first 2 shown]
	v_xor_b32_e32 v7, vcc_hi, v6
	v_xor_b32_e32 v6, vcc_lo, v6
	ds_read_b32 v45, v46 offset:64
	v_and_b32_e32 v6, v48, v6
	v_and_b32_e32 v7, v4, v7
	v_mbcnt_lo_u32_b32 v4, v6, 0
	v_mbcnt_hi_u32_b32 v47, v7, v4
	v_cmp_eq_u32_e32 vcc, 0, v47
	v_cmp_ne_u64_e64 s[4:5], 0, v[6:7]
	s_and_b64 s[6:7], s[4:5], vcc
	; wave barrier
	s_and_saveexec_b64 s[4:5], s[6:7]
	s_cbranch_execz .LBB1367_43
; %bb.42:
	v_bcnt_u32_b32 v4, v6, 0
	v_bcnt_u32_b32 v4, v7, v4
	s_waitcnt lgkmcnt(0)
	v_add_u32_e32 v4, v45, v4
	ds_write_b32 v46, v4 offset:64
.LBB1367_43:
	s_or_b64 exec, exec, s[4:5]
	v_lshrrev_b32_sdwa v4, s24, v16 dst_sel:DWORD dst_unused:UNUSED_PAD src0_sel:DWORD src1_sel:WORD_0
	v_and_b32_e32 v50, s27, v4
	v_mul_u32_u24_e32 v4, 17, v50
	v_add_lshl_u32 v49, v30, v4, 2
	v_and_b32_e32 v4, 1, v50
	v_lshl_add_u64 v[6:7], v[4:5], 0, -1
	v_cmp_ne_u32_e32 vcc, 0, v4
	; wave barrier
	s_nop 1
	v_xor_b32_e32 v6, vcc_lo, v6
	v_xor_b32_e32 v4, vcc_hi, v7
	v_and_b32_e32 v51, exec_lo, v6
	v_lshlrev_b32_e32 v7, 30, v50
	v_mov_b32_e32 v6, v5
	v_cmp_gt_i64_e32 vcc, 0, v[6:7]
	v_not_b32_e32 v6, v7
	v_ashrrev_i32_e32 v6, 31, v6
	v_and_b32_e32 v4, exec_hi, v4
	v_xor_b32_e32 v7, vcc_hi, v6
	v_xor_b32_e32 v6, vcc_lo, v6
	v_and_b32_e32 v4, v4, v7
	v_and_b32_e32 v51, v51, v6
	v_lshlrev_b32_e32 v7, 29, v50
	v_mov_b32_e32 v6, v5
	v_cmp_gt_i64_e32 vcc, 0, v[6:7]
	v_not_b32_e32 v6, v7
	v_ashrrev_i32_e32 v6, 31, v6
	v_xor_b32_e32 v7, vcc_hi, v6
	v_xor_b32_e32 v6, vcc_lo, v6
	v_and_b32_e32 v4, v4, v7
	v_and_b32_e32 v51, v51, v6
	v_lshlrev_b32_e32 v7, 28, v50
	v_mov_b32_e32 v6, v5
	v_cmp_gt_i64_e32 vcc, 0, v[6:7]
	v_not_b32_e32 v6, v7
	v_ashrrev_i32_e32 v6, 31, v6
	;; [unrolled: 9-line block ×5, first 2 shown]
	v_xor_b32_e32 v7, vcc_hi, v6
	v_xor_b32_e32 v6, vcc_lo, v6
	v_and_b32_e32 v4, v4, v7
	v_lshlrev_b32_e32 v7, 24, v50
	v_and_b32_e32 v51, v51, v6
	v_mov_b32_e32 v6, v5
	v_not_b32_e32 v5, v7
	v_cmp_gt_i64_e32 vcc, 0, v[6:7]
	v_ashrrev_i32_e32 v5, 31, v5
	ds_read_b32 v48, v49 offset:64
	v_xor_b32_e32 v6, vcc_hi, v5
	v_xor_b32_e32 v7, vcc_lo, v5
	v_and_b32_e32 v5, v4, v6
	v_and_b32_e32 v4, v51, v7
	v_mbcnt_lo_u32_b32 v6, v4, 0
	v_mbcnt_hi_u32_b32 v50, v5, v6
	v_cmp_eq_u32_e32 vcc, 0, v50
	v_cmp_ne_u64_e64 s[4:5], 0, v[4:5]
	s_and_b64 s[6:7], s[4:5], vcc
	; wave barrier
	s_and_saveexec_b64 s[4:5], s[6:7]
	s_cbranch_execz .LBB1367_45
; %bb.44:
	v_bcnt_u32_b32 v4, v4, 0
	v_bcnt_u32_b32 v4, v5, v4
	s_waitcnt lgkmcnt(0)
	v_add_u32_e32 v4, v48, v4
	ds_write_b32 v49, v4 offset:64
.LBB1367_45:
	s_or_b64 exec, exec, s[4:5]
	v_lshrrev_b32_sdwa v4, s24, v19 dst_sel:DWORD dst_unused:UNUSED_PAD src0_sel:DWORD src1_sel:WORD_0
	v_and_b32_e32 v53, s27, v4
	v_mul_u32_u24_e32 v4, 17, v53
	v_add_lshl_u32 v52, v30, v4, 2
	v_and_b32_e32 v4, 1, v53
	v_mov_b32_e32 v5, 0
	v_lshl_add_u64 v[6:7], v[4:5], 0, -1
	v_cmp_ne_u32_e32 vcc, 0, v4
	; wave barrier
	s_nop 1
	v_xor_b32_e32 v6, vcc_lo, v6
	v_xor_b32_e32 v4, vcc_hi, v7
	v_and_b32_e32 v54, exec_lo, v6
	v_lshlrev_b32_e32 v7, 30, v53
	v_mov_b32_e32 v6, v5
	v_cmp_gt_i64_e32 vcc, 0, v[6:7]
	v_not_b32_e32 v6, v7
	v_ashrrev_i32_e32 v6, 31, v6
	v_and_b32_e32 v4, exec_hi, v4
	v_xor_b32_e32 v7, vcc_hi, v6
	v_xor_b32_e32 v6, vcc_lo, v6
	v_and_b32_e32 v4, v4, v7
	v_and_b32_e32 v54, v54, v6
	v_lshlrev_b32_e32 v7, 29, v53
	v_mov_b32_e32 v6, v5
	v_cmp_gt_i64_e32 vcc, 0, v[6:7]
	v_not_b32_e32 v6, v7
	v_ashrrev_i32_e32 v6, 31, v6
	v_xor_b32_e32 v7, vcc_hi, v6
	v_xor_b32_e32 v6, vcc_lo, v6
	v_and_b32_e32 v4, v4, v7
	v_and_b32_e32 v54, v54, v6
	v_lshlrev_b32_e32 v7, 28, v53
	v_mov_b32_e32 v6, v5
	v_cmp_gt_i64_e32 vcc, 0, v[6:7]
	v_not_b32_e32 v6, v7
	v_ashrrev_i32_e32 v6, 31, v6
	;; [unrolled: 9-line block ×6, first 2 shown]
	v_xor_b32_e32 v7, vcc_hi, v6
	v_xor_b32_e32 v6, vcc_lo, v6
	ds_read_b32 v51, v52 offset:64
	v_and_b32_e32 v6, v54, v6
	v_and_b32_e32 v7, v4, v7
	v_mbcnt_lo_u32_b32 v4, v6, 0
	v_mbcnt_hi_u32_b32 v53, v7, v4
	v_cmp_eq_u32_e32 vcc, 0, v53
	v_cmp_ne_u64_e64 s[4:5], 0, v[6:7]
	s_and_b64 s[6:7], s[4:5], vcc
	; wave barrier
	s_and_saveexec_b64 s[4:5], s[6:7]
	s_cbranch_execz .LBB1367_47
; %bb.46:
	v_bcnt_u32_b32 v4, v6, 0
	v_bcnt_u32_b32 v4, v7, v4
	s_waitcnt lgkmcnt(0)
	v_add_u32_e32 v4, v51, v4
	ds_write_b32 v52, v4 offset:64
.LBB1367_47:
	s_or_b64 exec, exec, s[4:5]
	v_lshrrev_b32_sdwa v4, s24, v18 dst_sel:DWORD dst_unused:UNUSED_PAD src0_sel:DWORD src1_sel:WORD_0
	v_and_b32_e32 v54, s27, v4
	v_mul_u32_u24_e32 v4, 17, v54
	v_add_lshl_u32 v55, v30, v4, 2
	v_and_b32_e32 v4, 1, v54
	v_lshl_add_u64 v[6:7], v[4:5], 0, -1
	v_cmp_ne_u32_e32 vcc, 0, v4
	; wave barrier
	s_nop 1
	v_xor_b32_e32 v6, vcc_lo, v6
	v_xor_b32_e32 v4, vcc_hi, v7
	v_and_b32_e32 v57, exec_lo, v6
	v_lshlrev_b32_e32 v7, 30, v54
	v_mov_b32_e32 v6, v5
	v_cmp_gt_i64_e32 vcc, 0, v[6:7]
	v_not_b32_e32 v6, v7
	v_ashrrev_i32_e32 v6, 31, v6
	v_and_b32_e32 v4, exec_hi, v4
	v_xor_b32_e32 v7, vcc_hi, v6
	v_xor_b32_e32 v6, vcc_lo, v6
	v_and_b32_e32 v4, v4, v7
	v_and_b32_e32 v57, v57, v6
	v_lshlrev_b32_e32 v7, 29, v54
	v_mov_b32_e32 v6, v5
	v_cmp_gt_i64_e32 vcc, 0, v[6:7]
	v_not_b32_e32 v6, v7
	v_ashrrev_i32_e32 v6, 31, v6
	v_xor_b32_e32 v7, vcc_hi, v6
	v_xor_b32_e32 v6, vcc_lo, v6
	v_and_b32_e32 v4, v4, v7
	v_and_b32_e32 v57, v57, v6
	v_lshlrev_b32_e32 v7, 28, v54
	v_mov_b32_e32 v6, v5
	v_cmp_gt_i64_e32 vcc, 0, v[6:7]
	v_not_b32_e32 v6, v7
	v_ashrrev_i32_e32 v6, 31, v6
	;; [unrolled: 9-line block ×5, first 2 shown]
	v_xor_b32_e32 v7, vcc_hi, v6
	v_xor_b32_e32 v6, vcc_lo, v6
	v_and_b32_e32 v4, v4, v7
	v_lshlrev_b32_e32 v7, 24, v54
	v_and_b32_e32 v57, v57, v6
	v_mov_b32_e32 v6, v5
	v_not_b32_e32 v5, v7
	v_cmp_gt_i64_e32 vcc, 0, v[6:7]
	v_ashrrev_i32_e32 v5, 31, v5
	ds_read_b32 v30, v55 offset:64
	v_xor_b32_e32 v6, vcc_hi, v5
	v_xor_b32_e32 v7, vcc_lo, v5
	v_and_b32_e32 v5, v4, v6
	v_and_b32_e32 v4, v57, v7
	v_mbcnt_lo_u32_b32 v6, v4, 0
	v_mbcnt_hi_u32_b32 v57, v5, v6
	v_cmp_eq_u32_e32 vcc, 0, v57
	v_cmp_ne_u64_e64 s[4:5], 0, v[4:5]
	v_add_u32_e32 v56, 64, v20
	s_and_b64 s[6:7], s[4:5], vcc
	; wave barrier
	s_and_saveexec_b64 s[4:5], s[6:7]
	s_cbranch_execz .LBB1367_49
; %bb.48:
	v_bcnt_u32_b32 v4, v4, 0
	v_bcnt_u32_b32 v4, v5, v4
	s_waitcnt lgkmcnt(0)
	v_add_u32_e32 v4, v30, v4
	ds_write_b32 v55, v4 offset:64
.LBB1367_49:
	s_or_b64 exec, exec, s[4:5]
	; wave barrier
	s_waitcnt lgkmcnt(0)
	s_barrier
	ds_read2_b32 v[6:7], v20 offset0:16 offset1:17
	ds_read2_b32 v[4:5], v56 offset0:2 offset1:3
	ds_read_b32 v54, v56 offset:16
	v_cmp_lt_u32_e64 s[10:11], 31, v13
	s_waitcnt lgkmcnt(1)
	v_add3_u32 v58, v7, v6, v4
	s_waitcnt lgkmcnt(0)
	v_add3_u32 v54, v58, v5, v54
	v_and_b32_e32 v58, 15, v13
	v_cmp_eq_u32_e32 vcc, 0, v58
	v_mov_b32_dpp v59, v54 row_shr:1 row_mask:0xf bank_mask:0xf
	v_cmp_lt_u32_e64 s[8:9], 1, v58
	v_cndmask_b32_e64 v59, v59, 0, vcc
	v_add_u32_e32 v54, v59, v54
	v_cmp_lt_u32_e64 s[4:5], 3, v58
	v_cmp_lt_u32_e64 s[6:7], 7, v58
	v_mov_b32_dpp v59, v54 row_shr:2 row_mask:0xf bank_mask:0xf
	v_cndmask_b32_e64 v59, 0, v59, s[8:9]
	v_add_u32_e32 v54, v54, v59
	s_nop 1
	v_mov_b32_dpp v59, v54 row_shr:4 row_mask:0xf bank_mask:0xf
	v_cndmask_b32_e64 v59, 0, v59, s[4:5]
	v_add_u32_e32 v54, v54, v59
	s_nop 1
	v_mov_b32_dpp v59, v54 row_shr:8 row_mask:0xf bank_mask:0xf
	v_cndmask_b32_e64 v58, 0, v59, s[6:7]
	v_add_u32_e32 v54, v54, v58
	v_bfe_i32 v59, v13, 4, 1
	s_nop 0
	v_mov_b32_dpp v58, v54 row_bcast:15 row_mask:0xf bank_mask:0xf
	v_and_b32_e32 v58, v59, v58
	v_add_u32_e32 v54, v54, v58
	v_lshrrev_b32_e32 v59, 6, v2
	s_nop 0
	v_mov_b32_dpp v58, v54 row_bcast:31 row_mask:0xf bank_mask:0xf
	v_cndmask_b32_e64 v58, 0, v58, s[10:11]
	v_add_u32_e32 v58, v54, v58
	v_and_b32_e32 v54, 63, v2
	v_cmp_eq_u32_e64 s[10:11], 63, v54
	s_and_saveexec_b64 s[12:13], s[10:11]
	s_cbranch_execz .LBB1367_51
; %bb.50:
	v_lshlrev_b32_e32 v54, 2, v59
	ds_write_b32 v54, v58
.LBB1367_51:
	s_or_b64 exec, exec, s[12:13]
	v_cmp_gt_u32_e64 s[10:11], 16, v2
	v_lshlrev_b32_e32 v54, 2, v2
	s_waitcnt lgkmcnt(0)
	s_barrier
	s_and_saveexec_b64 s[12:13], s[10:11]
	s_cbranch_execz .LBB1367_53
; %bb.52:
	ds_read_b32 v60, v54
	s_waitcnt lgkmcnt(0)
	s_nop 0
	v_mov_b32_dpp v61, v60 row_shr:1 row_mask:0xf bank_mask:0xf
	v_cndmask_b32_e64 v61, v61, 0, vcc
	v_add_u32_e32 v60, v61, v60
	s_nop 1
	v_mov_b32_dpp v61, v60 row_shr:2 row_mask:0xf bank_mask:0xf
	v_cndmask_b32_e64 v61, 0, v61, s[8:9]
	v_add_u32_e32 v60, v60, v61
	s_nop 1
	v_mov_b32_dpp v61, v60 row_shr:4 row_mask:0xf bank_mask:0xf
	v_cndmask_b32_e64 v61, 0, v61, s[4:5]
	;; [unrolled: 4-line block ×3, first 2 shown]
	v_add_u32_e32 v60, v60, v61
	ds_write_b32 v54, v60
.LBB1367_53:
	s_or_b64 exec, exec, s[12:13]
	v_cmp_lt_u32_e32 vcc, 63, v2
	v_mov_b32_e32 v60, 0
	s_waitcnt lgkmcnt(0)
	s_barrier
	s_and_saveexec_b64 s[4:5], vcc
	s_cbranch_execz .LBB1367_55
; %bb.54:
	v_lshl_add_u32 v59, v59, 2, -4
	ds_read_b32 v60, v59
.LBB1367_55:
	s_or_b64 exec, exec, s[4:5]
	v_add_u32_e32 v59, -1, v13
	v_and_b32_e32 v61, 64, v13
	v_cmp_lt_i32_e32 vcc, v59, v61
	s_waitcnt lgkmcnt(0)
	v_add_u32_e32 v58, v60, v58
	s_movk_i32 s4, 0x100
	v_cndmask_b32_e32 v59, v59, v13, vcc
	v_lshlrev_b32_e32 v59, 2, v59
	ds_bpermute_b32 v58, v59, v58
	v_cmp_eq_u32_e32 vcc, 0, v13
	s_waitcnt lgkmcnt(0)
	s_nop 0
	v_cndmask_b32_e32 v13, v58, v60, vcc
	v_cmp_ne_u32_e32 vcc, 0, v2
	s_nop 1
	v_cndmask_b32_e32 v13, 0, v13, vcc
	v_add_u32_e32 v6, v13, v6
	v_add_u32_e32 v7, v6, v7
	;; [unrolled: 1-line block ×4, first 2 shown]
	ds_write2_b32 v20, v13, v6 offset0:16 offset1:17
	ds_write2_b32 v56, v7, v4 offset0:2 offset1:3
	ds_write_b32 v56, v5 offset:16
	s_waitcnt lgkmcnt(0)
	s_barrier
	ds_read_b32 v60, v23 offset:64
	ds_read_b32 v59, v24 offset:64
	;; [unrolled: 1-line block ×12, first 2 shown]
	v_cmp_gt_u32_e32 vcc, s4, v2
                                        ; implicit-def: $vgpr13
                                        ; implicit-def: $vgpr20
	s_and_saveexec_b64 s[6:7], vcc
	s_cbranch_execz .LBB1367_59
; %bb.56:
	v_mul_u32_u24_e32 v13, 17, v2
	v_lshlrev_b32_e32 v34, 2, v13
	ds_read_b32 v13, v34 offset:64
	s_movk_i32 s4, 0xff
	v_cmp_ne_u32_e64 s[4:5], s4, v2
	v_mov_b32_e32 v20, 0x3000
	s_and_saveexec_b64 s[8:9], s[4:5]
	s_cbranch_execz .LBB1367_58
; %bb.57:
	ds_read_b32 v20, v34 offset:132
.LBB1367_58:
	s_or_b64 exec, exec, s[8:9]
	s_waitcnt lgkmcnt(0)
	v_sub_u32_e32 v20, v20, v13
.LBB1367_59:
	s_or_b64 exec, exec, s[6:7]
	v_add_u32_e32 v22, v25, v22
	s_waitcnt lgkmcnt(11)
	v_add_lshl_u32 v21, v60, v21, 1
	v_add_u32_e32 v26, v28, v26
	s_waitcnt lgkmcnt(0)
	s_barrier
	ds_write_b16 v21, v8 offset:1024
	v_add_lshl_u32 v8, v22, v59, 1
	v_add_u32_e32 v29, v32, v29
	ds_write_b16 v8, v3 offset:1024
	v_add_lshl_u32 v3, v26, v58, 1
	v_add_u32_e32 v33, v35, v33
	;; [unrolled: 3-line block ×9, first 2 shown]
	ds_write_b16 v3, v16 offset:1024
	v_add_lshl_u32 v3, v34, v5, 1
	ds_write_b16 v3, v19 offset:1024
	v_add_lshl_u32 v3, v30, v4, 1
	ds_write_b16 v3, v18 offset:1024
	s_and_saveexec_b64 s[6:7], vcc
	s_cbranch_execz .LBB1367_69
; %bb.60:
	v_lshl_or_b32 v6, s2, 8, v2
	v_mov_b32_e32 v7, 0
	v_lshl_add_u64 v[4:5], v[6:7], 2, s[28:29]
	v_or_b32_e32 v3, 2.0, v20
	global_store_dword v[4:5], v3, off sc1
	s_mov_b64 s[8:9], 0
	s_brev_b32 s14, 1
	s_mov_b32 s15, s2
	v_mov_b32_e32 v3, 0
                                        ; implicit-def: $sgpr4_sgpr5
	s_branch .LBB1367_62
.LBB1367_61:                            ;   in Loop: Header=BB1367_62 Depth=1
	s_or_b64 exec, exec, s[10:11]
	v_and_b32_e32 v8, 0x3fffffff, v10
	v_add_u32_e32 v3, v8, v3
	v_cmp_eq_u32_e64 s[4:5], s14, v6
	s_and_b64 s[10:11], exec, s[4:5]
	s_or_b64 s[8:9], s[10:11], s[8:9]
	s_andn2_b64 exec, exec, s[8:9]
	s_cbranch_execz .LBB1367_68
.LBB1367_62:                            ; =>This Loop Header: Depth=1
                                        ;     Child Loop BB1367_65 Depth 2
	s_or_b64 s[4:5], s[4:5], exec
	s_cmp_eq_u32 s15, 0
	s_cbranch_scc1 .LBB1367_67
; %bb.63:                               ;   in Loop: Header=BB1367_62 Depth=1
	s_add_i32 s15, s15, -1
	v_lshl_or_b32 v6, s15, 8, v2
	v_lshl_add_u64 v[8:9], v[6:7], 2, s[28:29]
	global_load_dword v10, v[8:9], off sc1
	s_waitcnt vmcnt(0)
	v_and_b32_e32 v6, -2.0, v10
	v_cmp_eq_u32_e64 s[4:5], 0, v6
	s_and_saveexec_b64 s[10:11], s[4:5]
	s_cbranch_execz .LBB1367_61
; %bb.64:                               ;   in Loop: Header=BB1367_62 Depth=1
	s_mov_b64 s[12:13], 0
.LBB1367_65:                            ;   Parent Loop BB1367_62 Depth=1
                                        ; =>  This Inner Loop Header: Depth=2
	global_load_dword v10, v[8:9], off sc1
	s_waitcnt vmcnt(0)
	v_and_b32_e32 v6, -2.0, v10
	v_cmp_ne_u32_e64 s[4:5], 0, v6
	s_or_b64 s[12:13], s[4:5], s[12:13]
	s_andn2_b64 exec, exec, s[12:13]
	s_cbranch_execnz .LBB1367_65
; %bb.66:                               ;   in Loop: Header=BB1367_62 Depth=1
	s_or_b64 exec, exec, s[12:13]
	s_branch .LBB1367_61
.LBB1367_67:                            ;   in Loop: Header=BB1367_62 Depth=1
                                        ; implicit-def: $sgpr15
	s_and_b64 s[10:11], exec, s[4:5]
	s_or_b64 s[8:9], s[10:11], s[8:9]
	s_andn2_b64 exec, exec, s[8:9]
	s_cbranch_execnz .LBB1367_62
.LBB1367_68:
	s_or_b64 exec, exec, s[8:9]
	v_add_u32_e32 v6, v3, v20
	v_or_b32_e32 v6, 0x80000000, v6
	global_store_dword v[4:5], v6, off sc1
	global_load_dword v4, v54, s[16:17]
	v_sub_u32_e32 v3, v3, v13
	s_waitcnt vmcnt(0)
	v_add_u32_e32 v3, v3, v4
	ds_write_b32 v54, v3
.LBB1367_69:
	s_or_b64 exec, exec, s[6:7]
	v_cmp_gt_u32_e64 s[4:5], s3, v2
	v_lshlrev_b32_e32 v3, 1, v2
	s_waitcnt lgkmcnt(0)
	s_barrier
	s_and_saveexec_b64 s[6:7], s[4:5]
	s_cbranch_execz .LBB1367_71
; %bb.70:
	ds_read_u16 v6, v3 offset:1024
	v_mov_b32_e32 v5, 0
	s_waitcnt lgkmcnt(0)
	v_lshrrev_b32_sdwa v4, s24, v6 dst_sel:DWORD dst_unused:UNUSED_PAD src0_sel:DWORD src1_sel:WORD_0
	v_and_b32_e32 v4, s27, v4
	v_lshlrev_b32_e32 v4, 2, v4
	ds_read_b32 v4, v4
	s_waitcnt lgkmcnt(0)
	v_add_u32_e32 v4, v4, v2
	v_lshl_add_u64 v[4:5], v[4:5], 1, s[22:23]
	global_store_short v[4:5], v6, off
.LBB1367_71:
	s_or_b64 exec, exec, s[6:7]
	v_or_b32_e32 v4, 0x400, v2
	v_cmp_gt_u32_e64 s[4:5], s3, v4
	s_and_saveexec_b64 s[6:7], s[4:5]
	s_cbranch_execz .LBB1367_73
; %bb.72:
	ds_read_u16 v6, v3 offset:3072
	s_waitcnt lgkmcnt(0)
	v_lshrrev_b32_sdwa v5, s24, v6 dst_sel:DWORD dst_unused:UNUSED_PAD src0_sel:DWORD src1_sel:WORD_0
	v_and_b32_e32 v5, s27, v5
	v_lshlrev_b32_e32 v5, 2, v5
	ds_read_b32 v5, v5
	s_waitcnt lgkmcnt(0)
	v_add_u32_e32 v4, v5, v4
	v_mov_b32_e32 v5, 0
	v_lshl_add_u64 v[4:5], v[4:5], 1, s[22:23]
	global_store_short v[4:5], v6, off
.LBB1367_73:
	s_or_b64 exec, exec, s[6:7]
	v_or_b32_e32 v4, 0x800, v2
	v_cmp_gt_u32_e64 s[4:5], s3, v4
	s_and_saveexec_b64 s[6:7], s[4:5]
	s_cbranch_execz .LBB1367_75
; %bb.74:
	ds_read_u16 v6, v3 offset:5120
	s_waitcnt lgkmcnt(0)
	v_lshrrev_b32_sdwa v5, s24, v6 dst_sel:DWORD dst_unused:UNUSED_PAD src0_sel:DWORD src1_sel:WORD_0
	v_and_b32_e32 v5, s27, v5
	v_lshlrev_b32_e32 v5, 2, v5
	ds_read_b32 v5, v5
	s_waitcnt lgkmcnt(0)
	v_add_u32_e32 v4, v5, v4
	v_mov_b32_e32 v5, 0
	v_lshl_add_u64 v[4:5], v[4:5], 1, s[22:23]
	global_store_short v[4:5], v6, off
.LBB1367_75:
	s_or_b64 exec, exec, s[6:7]
	v_or_b32_e32 v4, 0xc00, v2
	v_cmp_gt_u32_e64 s[4:5], s3, v4
	s_and_saveexec_b64 s[6:7], s[4:5]
	s_cbranch_execz .LBB1367_77
; %bb.76:
	ds_read_u16 v6, v3 offset:7168
	s_waitcnt lgkmcnt(0)
	v_lshrrev_b32_sdwa v5, s24, v6 dst_sel:DWORD dst_unused:UNUSED_PAD src0_sel:DWORD src1_sel:WORD_0
	v_and_b32_e32 v5, s27, v5
	v_lshlrev_b32_e32 v5, 2, v5
	ds_read_b32 v5, v5
	s_waitcnt lgkmcnt(0)
	v_add_u32_e32 v4, v5, v4
	v_mov_b32_e32 v5, 0
	v_lshl_add_u64 v[4:5], v[4:5], 1, s[22:23]
	global_store_short v[4:5], v6, off
.LBB1367_77:
	s_or_b64 exec, exec, s[6:7]
	v_or_b32_e32 v4, 0x1000, v2
	v_cmp_gt_u32_e64 s[4:5], s3, v4
	s_and_saveexec_b64 s[6:7], s[4:5]
	s_cbranch_execz .LBB1367_79
; %bb.78:
	ds_read_u16 v6, v3 offset:9216
	s_waitcnt lgkmcnt(0)
	v_lshrrev_b32_sdwa v5, s24, v6 dst_sel:DWORD dst_unused:UNUSED_PAD src0_sel:DWORD src1_sel:WORD_0
	v_and_b32_e32 v5, s27, v5
	v_lshlrev_b32_e32 v5, 2, v5
	ds_read_b32 v5, v5
	s_waitcnt lgkmcnt(0)
	v_add_u32_e32 v4, v5, v4
	v_mov_b32_e32 v5, 0
	v_lshl_add_u64 v[4:5], v[4:5], 1, s[22:23]
	global_store_short v[4:5], v6, off
.LBB1367_79:
	s_or_b64 exec, exec, s[6:7]
	v_or_b32_e32 v4, 0x1400, v2
	v_cmp_gt_u32_e64 s[4:5], s3, v4
	s_and_saveexec_b64 s[6:7], s[4:5]
	s_cbranch_execz .LBB1367_81
; %bb.80:
	ds_read_u16 v6, v3 offset:11264
	s_waitcnt lgkmcnt(0)
	v_lshrrev_b32_sdwa v5, s24, v6 dst_sel:DWORD dst_unused:UNUSED_PAD src0_sel:DWORD src1_sel:WORD_0
	v_and_b32_e32 v5, s27, v5
	v_lshlrev_b32_e32 v5, 2, v5
	ds_read_b32 v5, v5
	s_waitcnt lgkmcnt(0)
	v_add_u32_e32 v4, v5, v4
	v_mov_b32_e32 v5, 0
	v_lshl_add_u64 v[4:5], v[4:5], 1, s[22:23]
	global_store_short v[4:5], v6, off
.LBB1367_81:
	s_or_b64 exec, exec, s[6:7]
	v_or_b32_e32 v4, 0x1800, v2
	v_cmp_gt_u32_e64 s[4:5], s3, v4
	s_and_saveexec_b64 s[6:7], s[4:5]
	s_cbranch_execz .LBB1367_83
; %bb.82:
	ds_read_u16 v6, v3 offset:13312
	s_waitcnt lgkmcnt(0)
	v_lshrrev_b32_sdwa v5, s24, v6 dst_sel:DWORD dst_unused:UNUSED_PAD src0_sel:DWORD src1_sel:WORD_0
	v_and_b32_e32 v5, s27, v5
	v_lshlrev_b32_e32 v5, 2, v5
	ds_read_b32 v5, v5
	s_waitcnt lgkmcnt(0)
	v_add_u32_e32 v4, v5, v4
	v_mov_b32_e32 v5, 0
	v_lshl_add_u64 v[4:5], v[4:5], 1, s[22:23]
	global_store_short v[4:5], v6, off
.LBB1367_83:
	s_or_b64 exec, exec, s[6:7]
	v_or_b32_e32 v4, 0x1c00, v2
	v_cmp_gt_u32_e64 s[4:5], s3, v4
	s_and_saveexec_b64 s[6:7], s[4:5]
	s_cbranch_execz .LBB1367_85
; %bb.84:
	ds_read_u16 v6, v3 offset:15360
	s_waitcnt lgkmcnt(0)
	v_lshrrev_b32_sdwa v5, s24, v6 dst_sel:DWORD dst_unused:UNUSED_PAD src0_sel:DWORD src1_sel:WORD_0
	v_and_b32_e32 v5, s27, v5
	v_lshlrev_b32_e32 v5, 2, v5
	ds_read_b32 v5, v5
	s_waitcnt lgkmcnt(0)
	v_add_u32_e32 v4, v5, v4
	v_mov_b32_e32 v5, 0
	v_lshl_add_u64 v[4:5], v[4:5], 1, s[22:23]
	global_store_short v[4:5], v6, off
.LBB1367_85:
	s_or_b64 exec, exec, s[6:7]
	v_or_b32_e32 v4, 0x2000, v2
	v_cmp_gt_u32_e64 s[4:5], s3, v4
	s_and_saveexec_b64 s[6:7], s[4:5]
	s_cbranch_execz .LBB1367_87
; %bb.86:
	ds_read_u16 v6, v3 offset:17408
	s_waitcnt lgkmcnt(0)
	v_lshrrev_b32_sdwa v5, s24, v6 dst_sel:DWORD dst_unused:UNUSED_PAD src0_sel:DWORD src1_sel:WORD_0
	v_and_b32_e32 v5, s27, v5
	v_lshlrev_b32_e32 v5, 2, v5
	ds_read_b32 v5, v5
	s_waitcnt lgkmcnt(0)
	v_add_u32_e32 v4, v5, v4
	v_mov_b32_e32 v5, 0
	v_lshl_add_u64 v[4:5], v[4:5], 1, s[22:23]
	global_store_short v[4:5], v6, off
.LBB1367_87:
	s_or_b64 exec, exec, s[6:7]
	v_or_b32_e32 v4, 0x2400, v2
	v_cmp_gt_u32_e64 s[4:5], s3, v4
	s_and_saveexec_b64 s[6:7], s[4:5]
	s_cbranch_execz .LBB1367_89
; %bb.88:
	ds_read_u16 v6, v3 offset:19456
	s_waitcnt lgkmcnt(0)
	v_lshrrev_b32_sdwa v5, s24, v6 dst_sel:DWORD dst_unused:UNUSED_PAD src0_sel:DWORD src1_sel:WORD_0
	v_and_b32_e32 v5, s27, v5
	v_lshlrev_b32_e32 v5, 2, v5
	ds_read_b32 v5, v5
	s_waitcnt lgkmcnt(0)
	v_add_u32_e32 v4, v5, v4
	v_mov_b32_e32 v5, 0
	v_lshl_add_u64 v[4:5], v[4:5], 1, s[22:23]
	global_store_short v[4:5], v6, off
.LBB1367_89:
	s_or_b64 exec, exec, s[6:7]
	v_or_b32_e32 v4, 0x2800, v2
	v_cmp_gt_u32_e64 s[4:5], s3, v4
	s_and_saveexec_b64 s[6:7], s[4:5]
	s_cbranch_execz .LBB1367_91
; %bb.90:
	ds_read_u16 v6, v3 offset:21504
	s_waitcnt lgkmcnt(0)
	v_lshrrev_b32_sdwa v5, s24, v6 dst_sel:DWORD dst_unused:UNUSED_PAD src0_sel:DWORD src1_sel:WORD_0
	v_and_b32_e32 v5, s27, v5
	v_lshlrev_b32_e32 v5, 2, v5
	ds_read_b32 v5, v5
	s_waitcnt lgkmcnt(0)
	v_add_u32_e32 v4, v5, v4
	v_mov_b32_e32 v5, 0
	v_lshl_add_u64 v[4:5], v[4:5], 1, s[22:23]
	global_store_short v[4:5], v6, off
.LBB1367_91:
	s_or_b64 exec, exec, s[6:7]
	v_or_b32_e32 v4, 0x2c00, v2
	v_cmp_gt_u32_e64 s[4:5], s3, v4
	s_and_saveexec_b64 s[6:7], s[4:5]
	s_cbranch_execz .LBB1367_93
; %bb.92:
	ds_read_u16 v3, v3 offset:23552
	s_waitcnt lgkmcnt(0)
	v_lshrrev_b32_sdwa v5, s24, v3 dst_sel:DWORD dst_unused:UNUSED_PAD src0_sel:DWORD src1_sel:WORD_0
	v_and_b32_e32 v5, s27, v5
	v_lshlrev_b32_e32 v5, 2, v5
	ds_read_b32 v5, v5
	s_waitcnt lgkmcnt(0)
	v_add_u32_e32 v4, v5, v4
	v_mov_b32_e32 v5, 0
	v_lshl_add_u64 v[4:5], v[4:5], 1, s[22:23]
	global_store_short v[4:5], v3, off
.LBB1367_93:
	s_or_b64 exec, exec, s[6:7]
	s_add_i32 s26, s26, -1
	s_cmp_eq_u32 s26, s2
	s_cselect_b64 s[4:5], -1, 0
	s_and_b64 s[6:7], vcc, s[4:5]
	s_mov_b64 s[4:5], 0
	s_mov_b64 s[10:11], 0
                                        ; implicit-def: $vgpr4
	s_and_saveexec_b64 s[8:9], s[6:7]
	s_xor_b64 s[6:7], exec, s[8:9]
; %bb.94:
	s_mov_b64 s[10:11], exec
	v_add_u32_e32 v4, v13, v20
	v_mov_b32_e32 v3, 0
; %bb.95:
	s_or_b64 exec, exec, s[6:7]
	s_and_b64 vcc, exec, s[4:5]
	s_cbranch_vccnz .LBB1367_97
	s_branch .LBB1367_146
.LBB1367_96:
	s_mov_b64 s[10:11], 0
                                        ; implicit-def: $vgpr4
                                        ; implicit-def: $vgpr2_vgpr3
	s_cbranch_execz .LBB1367_146
.LBB1367_97:
	s_mov_b32 s31, 0
	v_and_b32_e32 v2, 0x3ff, v0
	s_lshl_b64 s[4:5], s[30:31], 1
	v_mbcnt_hi_u32_b32 v6, -1, v1
	s_add_u32 s4, s20, s4
	v_and_b32_e32 v1, 63, v6
	v_and_b32_e32 v3, 0x3c0, v2
	s_addc_u32 s5, s21, s5
	v_mov_b32_e32 v5, 0
	v_mul_u32_u24_e32 v3, 12, v3
	v_lshlrev_b32_e32 v4, 1, v1
	v_lshl_add_u64 v[8:9], s[4:5], 0, v[4:5]
	v_lshlrev_b32_e32 v4, 1, v3
	v_lshl_add_u64 v[20:21], v[8:9], 0, v[4:5]
	global_load_ushort v3, v[20:21], off
	s_load_dword s4, s[0:1], 0x64
	s_load_dword s3, s[0:1], 0x58
	s_add_u32 s0, s0, 0x58
	s_addc_u32 s1, s1, 0
	v_mul_u32_u24_e32 v7, 5, v2
	s_waitcnt lgkmcnt(0)
	s_lshr_b32 s4, s4, 16
	s_cmp_lt_u32 s2, s3
	s_cselect_b32 s5, 12, 18
	s_add_u32 s0, s0, s5
	s_addc_u32 s1, s1, 0
	global_load_ushort v19, v5, s[0:1]
	v_lshlrev_b32_e32 v18, 2, v7
	ds_write2_b32 v18, v5, v5 offset0:16 offset1:17
	ds_write2_b32 v18, v5, v5 offset0:18 offset1:19
	ds_write_b32 v18, v5 offset:80
	global_load_ushort v17, v[20:21], off offset:128
	global_load_ushort v16, v[20:21], off offset:256
	;; [unrolled: 1-line block ×11, first 2 shown]
	v_bfe_u32 v1, v0, 10, 10
	v_bfe_u32 v4, v0, 20, 10
	s_lshl_b32 s0, -1, s25
	v_mad_u32_u24 v28, v4, s4, v1
	s_not_b32 s14, s0
	v_mov_b32_e32 v0, v5
	v_mov_b32_e32 v22, v5
	;; [unrolled: 1-line block ×4, first 2 shown]
	s_waitcnt lgkmcnt(0)
	s_barrier
	s_waitcnt lgkmcnt(0)
	; wave barrier
	s_waitcnt vmcnt(12)
	v_lshrrev_b32_sdwa v1, s24, v3 dst_sel:DWORD dst_unused:UNUSED_PAD src0_sel:DWORD src1_sel:WORD_0
	v_and_b32_e32 v29, s14, v1
	v_and_b32_e32 v4, 1, v29
	v_lshlrev_b32_e32 v1, 30, v29
	v_lshlrev_b32_e32 v23, 29, v29
	v_lshl_add_u64 v[20:21], v[4:5], 0, -1
	v_cmp_ne_u32_e32 vcc, 0, v4
	v_cmp_gt_i64_e64 s[0:1], 0, v[0:1]
	v_not_b32_e32 v4, v1
	v_lshlrev_b32_e32 v25, 28, v29
	s_waitcnt vmcnt(11)
	v_mad_u64_u32 v[0:1], s[12:13], v28, v19, v[2:3]
	v_lshlrev_b32_e32 v27, 27, v29
	v_cmp_gt_i64_e64 s[4:5], 0, v[22:23]
	v_not_b32_e32 v22, v23
	v_xor_b32_e32 v1, vcc_hi, v21
	v_xor_b32_e32 v19, vcc_lo, v20
	v_ashrrev_i32_e32 v4, 31, v4
	v_cmp_gt_i64_e64 s[6:7], 0, v[24:25]
	v_not_b32_e32 v23, v25
	v_cmp_gt_i64_e64 s[8:9], 0, v[26:27]
	v_not_b32_e32 v24, v27
	v_ashrrev_i32_e32 v20, 31, v22
	v_lshrrev_b32_e32 v27, 6, v0
	v_and_b32_e32 v0, exec_hi, v1
	v_and_b32_e32 v1, exec_lo, v19
	v_xor_b32_e32 v19, s1, v4
	v_xor_b32_e32 v4, s0, v4
	v_ashrrev_i32_e32 v21, 31, v23
	v_ashrrev_i32_e32 v22, 31, v24
	v_xor_b32_e32 v23, s5, v20
	v_xor_b32_e32 v24, s4, v20
	v_and_b32_e32 v0, v0, v19
	v_and_b32_e32 v1, v1, v4
	v_xor_b32_e32 v25, s7, v21
	v_xor_b32_e32 v21, s6, v21
	v_and_b32_e32 v0, v0, v23
	v_and_b32_e32 v1, v1, v24
	v_and_b32_e32 v0, v0, v25
	v_and_b32_e32 v1, v1, v21
	v_xor_b32_e32 v4, s9, v22
	v_xor_b32_e32 v19, s8, v22
	v_and_b32_e32 v4, v0, v4
	v_and_b32_e32 v19, v1, v19
	v_lshlrev_b32_e32 v1, 26, v29
	v_mov_b32_e32 v0, v5
	v_cmp_gt_i64_e32 vcc, 0, v[0:1]
	v_not_b32_e32 v0, v1
	v_ashrrev_i32_e32 v0, 31, v0
	v_xor_b32_e32 v1, vcc_hi, v0
	v_xor_b32_e32 v0, vcc_lo, v0
	v_and_b32_e32 v4, v4, v1
	v_and_b32_e32 v19, v19, v0
	v_lshlrev_b32_e32 v1, 25, v29
	v_mov_b32_e32 v0, v5
	v_cmp_gt_i64_e32 vcc, 0, v[0:1]
	v_not_b32_e32 v0, v1
	v_ashrrev_i32_e32 v0, 31, v0
	v_xor_b32_e32 v1, vcc_hi, v0
	v_xor_b32_e32 v0, vcc_lo, v0
	v_and_b32_e32 v4, v4, v1
	v_and_b32_e32 v19, v19, v0
	v_lshlrev_b32_e32 v1, 24, v29
	v_mov_b32_e32 v0, v5
	v_cmp_gt_i64_e32 vcc, 0, v[0:1]
	v_not_b32_e32 v0, v1
	v_ashrrev_i32_e32 v0, 31, v0
	v_xor_b32_e32 v1, vcc_hi, v0
	v_xor_b32_e32 v0, vcc_lo, v0
	v_and_b32_e32 v0, v19, v0
	v_and_b32_e32 v1, v4, v1
	v_mbcnt_lo_u32_b32 v4, v0, 0
	v_mbcnt_hi_u32_b32 v19, v1, v4
	v_mul_u32_u24_e32 v30, 17, v29
	v_cmp_eq_u32_e32 vcc, 0, v19
	v_cmp_ne_u64_e64 s[0:1], 0, v[0:1]
	v_add_lshl_u32 v20, v27, v30, 2
	s_and_b64 s[4:5], s[0:1], vcc
	s_and_saveexec_b64 s[0:1], s[4:5]
	s_cbranch_execz .LBB1367_99
; %bb.98:
	v_bcnt_u32_b32 v0, v0, 0
	v_bcnt_u32_b32 v0, v1, v0
	ds_write_b32 v20, v0 offset:64
.LBB1367_99:
	s_or_b64 exec, exec, s[0:1]
	s_waitcnt vmcnt(10)
	v_lshrrev_b32_sdwa v0, s24, v17 dst_sel:DWORD dst_unused:UNUSED_PAD src0_sel:DWORD src1_sel:WORD_0
	v_and_b32_e32 v23, s14, v0
	v_mul_u32_u24_e32 v0, 17, v23
	v_and_b32_e32 v4, 1, v23
	v_add_lshl_u32 v22, v27, v0, 2
	v_lshl_add_u64 v[0:1], v[4:5], 0, -1
	v_cmp_ne_u32_e32 vcc, 0, v4
	; wave barrier
	s_nop 1
	v_xor_b32_e32 v1, vcc_hi, v1
	v_xor_b32_e32 v0, vcc_lo, v0
	v_and_b32_e32 v4, exec_hi, v1
	v_and_b32_e32 v24, exec_lo, v0
	v_lshlrev_b32_e32 v1, 30, v23
	v_mov_b32_e32 v0, v5
	v_cmp_gt_i64_e32 vcc, 0, v[0:1]
	v_not_b32_e32 v0, v1
	v_ashrrev_i32_e32 v0, 31, v0
	v_xor_b32_e32 v1, vcc_hi, v0
	v_xor_b32_e32 v0, vcc_lo, v0
	v_and_b32_e32 v4, v4, v1
	v_and_b32_e32 v24, v24, v0
	v_lshlrev_b32_e32 v1, 29, v23
	v_mov_b32_e32 v0, v5
	v_cmp_gt_i64_e32 vcc, 0, v[0:1]
	v_not_b32_e32 v0, v1
	v_ashrrev_i32_e32 v0, 31, v0
	v_xor_b32_e32 v1, vcc_hi, v0
	v_xor_b32_e32 v0, vcc_lo, v0
	v_and_b32_e32 v4, v4, v1
	v_and_b32_e32 v24, v24, v0
	v_lshlrev_b32_e32 v1, 28, v23
	v_mov_b32_e32 v0, v5
	v_cmp_gt_i64_e32 vcc, 0, v[0:1]
	v_not_b32_e32 v0, v1
	v_ashrrev_i32_e32 v0, 31, v0
	v_xor_b32_e32 v1, vcc_hi, v0
	v_xor_b32_e32 v0, vcc_lo, v0
	v_and_b32_e32 v4, v4, v1
	v_and_b32_e32 v24, v24, v0
	v_lshlrev_b32_e32 v1, 27, v23
	v_mov_b32_e32 v0, v5
	v_cmp_gt_i64_e32 vcc, 0, v[0:1]
	v_not_b32_e32 v0, v1
	v_ashrrev_i32_e32 v0, 31, v0
	v_xor_b32_e32 v1, vcc_hi, v0
	v_xor_b32_e32 v0, vcc_lo, v0
	v_and_b32_e32 v4, v4, v1
	v_and_b32_e32 v24, v24, v0
	v_lshlrev_b32_e32 v1, 26, v23
	v_mov_b32_e32 v0, v5
	v_cmp_gt_i64_e32 vcc, 0, v[0:1]
	v_not_b32_e32 v0, v1
	v_ashrrev_i32_e32 v0, 31, v0
	v_xor_b32_e32 v1, vcc_hi, v0
	v_xor_b32_e32 v0, vcc_lo, v0
	v_and_b32_e32 v4, v4, v1
	v_and_b32_e32 v24, v24, v0
	v_lshlrev_b32_e32 v1, 25, v23
	v_mov_b32_e32 v0, v5
	v_cmp_gt_i64_e32 vcc, 0, v[0:1]
	v_not_b32_e32 v0, v1
	v_ashrrev_i32_e32 v0, 31, v0
	v_xor_b32_e32 v1, vcc_hi, v0
	v_xor_b32_e32 v0, vcc_lo, v0
	v_and_b32_e32 v4, v4, v1
	v_and_b32_e32 v24, v24, v0
	v_lshlrev_b32_e32 v1, 24, v23
	v_mov_b32_e32 v0, v5
	v_cmp_gt_i64_e32 vcc, 0, v[0:1]
	v_not_b32_e32 v0, v1
	v_ashrrev_i32_e32 v0, 31, v0
	v_xor_b32_e32 v1, vcc_hi, v0
	v_xor_b32_e32 v0, vcc_lo, v0
	ds_read_b32 v21, v22 offset:64
	v_and_b32_e32 v0, v24, v0
	v_and_b32_e32 v1, v4, v1
	v_mbcnt_lo_u32_b32 v4, v0, 0
	v_mbcnt_hi_u32_b32 v23, v1, v4
	v_cmp_eq_u32_e32 vcc, 0, v23
	v_cmp_ne_u64_e64 s[0:1], 0, v[0:1]
	s_and_b64 s[4:5], s[0:1], vcc
	; wave barrier
	s_and_saveexec_b64 s[0:1], s[4:5]
	s_cbranch_execz .LBB1367_101
; %bb.100:
	v_bcnt_u32_b32 v0, v0, 0
	v_bcnt_u32_b32 v0, v1, v0
	s_waitcnt lgkmcnt(0)
	v_add_u32_e32 v0, v21, v0
	ds_write_b32 v22, v0 offset:64
.LBB1367_101:
	s_or_b64 exec, exec, s[0:1]
	s_waitcnt vmcnt(9)
	v_lshrrev_b32_sdwa v0, s24, v16 dst_sel:DWORD dst_unused:UNUSED_PAD src0_sel:DWORD src1_sel:WORD_0
	v_and_b32_e32 v26, s14, v0
	v_mul_u32_u24_e32 v0, 17, v26
	v_add_lshl_u32 v25, v27, v0, 2
	v_and_b32_e32 v0, 1, v26
	v_mov_b32_e32 v1, 0
	v_lshl_add_u64 v[4:5], v[0:1], 0, -1
	v_cmp_ne_u32_e32 vcc, 0, v0
	; wave barrier
	s_nop 1
	v_xor_b32_e32 v4, vcc_lo, v4
	v_xor_b32_e32 v0, vcc_hi, v5
	v_and_b32_e32 v28, exec_lo, v4
	v_lshlrev_b32_e32 v5, 30, v26
	v_mov_b32_e32 v4, v1
	v_cmp_gt_i64_e32 vcc, 0, v[4:5]
	v_not_b32_e32 v4, v5
	v_ashrrev_i32_e32 v4, 31, v4
	v_and_b32_e32 v0, exec_hi, v0
	v_xor_b32_e32 v5, vcc_hi, v4
	v_xor_b32_e32 v4, vcc_lo, v4
	v_and_b32_e32 v0, v0, v5
	v_and_b32_e32 v28, v28, v4
	v_lshlrev_b32_e32 v5, 29, v26
	v_mov_b32_e32 v4, v1
	v_cmp_gt_i64_e32 vcc, 0, v[4:5]
	v_not_b32_e32 v4, v5
	v_ashrrev_i32_e32 v4, 31, v4
	v_xor_b32_e32 v5, vcc_hi, v4
	v_xor_b32_e32 v4, vcc_lo, v4
	v_and_b32_e32 v0, v0, v5
	v_and_b32_e32 v28, v28, v4
	v_lshlrev_b32_e32 v5, 28, v26
	v_mov_b32_e32 v4, v1
	v_cmp_gt_i64_e32 vcc, 0, v[4:5]
	v_not_b32_e32 v4, v5
	v_ashrrev_i32_e32 v4, 31, v4
	;; [unrolled: 9-line block ×6, first 2 shown]
	v_xor_b32_e32 v5, vcc_hi, v4
	v_xor_b32_e32 v4, vcc_lo, v4
	ds_read_b32 v24, v25 offset:64
	v_and_b32_e32 v4, v28, v4
	v_and_b32_e32 v5, v0, v5
	v_mbcnt_lo_u32_b32 v0, v4, 0
	v_mbcnt_hi_u32_b32 v26, v5, v0
	v_cmp_eq_u32_e32 vcc, 0, v26
	v_cmp_ne_u64_e64 s[0:1], 0, v[4:5]
	s_and_b64 s[4:5], s[0:1], vcc
	; wave barrier
	s_and_saveexec_b64 s[0:1], s[4:5]
	s_cbranch_execz .LBB1367_103
; %bb.102:
	v_bcnt_u32_b32 v0, v4, 0
	v_bcnt_u32_b32 v0, v5, v0
	s_waitcnt lgkmcnt(0)
	v_add_u32_e32 v0, v24, v0
	ds_write_b32 v25, v0 offset:64
.LBB1367_103:
	s_or_b64 exec, exec, s[0:1]
	s_waitcnt vmcnt(8)
	v_lshrrev_b32_sdwa v0, s24, v15 dst_sel:DWORD dst_unused:UNUSED_PAD src0_sel:DWORD src1_sel:WORD_0
	v_and_b32_e32 v30, s14, v0
	v_mul_u32_u24_e32 v0, 17, v30
	v_add_lshl_u32 v29, v27, v0, 2
	v_and_b32_e32 v0, 1, v30
	v_lshl_add_u64 v[4:5], v[0:1], 0, -1
	v_cmp_ne_u32_e32 vcc, 0, v0
	; wave barrier
	s_nop 1
	v_xor_b32_e32 v4, vcc_lo, v4
	v_xor_b32_e32 v0, vcc_hi, v5
	v_and_b32_e32 v31, exec_lo, v4
	v_lshlrev_b32_e32 v5, 30, v30
	v_mov_b32_e32 v4, v1
	v_cmp_gt_i64_e32 vcc, 0, v[4:5]
	v_not_b32_e32 v4, v5
	v_ashrrev_i32_e32 v4, 31, v4
	v_and_b32_e32 v0, exec_hi, v0
	v_xor_b32_e32 v5, vcc_hi, v4
	v_xor_b32_e32 v4, vcc_lo, v4
	v_and_b32_e32 v0, v0, v5
	v_and_b32_e32 v31, v31, v4
	v_lshlrev_b32_e32 v5, 29, v30
	v_mov_b32_e32 v4, v1
	v_cmp_gt_i64_e32 vcc, 0, v[4:5]
	v_not_b32_e32 v4, v5
	v_ashrrev_i32_e32 v4, 31, v4
	v_xor_b32_e32 v5, vcc_hi, v4
	v_xor_b32_e32 v4, vcc_lo, v4
	v_and_b32_e32 v0, v0, v5
	v_and_b32_e32 v31, v31, v4
	v_lshlrev_b32_e32 v5, 28, v30
	v_mov_b32_e32 v4, v1
	v_cmp_gt_i64_e32 vcc, 0, v[4:5]
	v_not_b32_e32 v4, v5
	v_ashrrev_i32_e32 v4, 31, v4
	;; [unrolled: 9-line block ×5, first 2 shown]
	v_xor_b32_e32 v5, vcc_hi, v4
	v_xor_b32_e32 v4, vcc_lo, v4
	v_and_b32_e32 v0, v0, v5
	v_lshlrev_b32_e32 v5, 24, v30
	v_and_b32_e32 v31, v31, v4
	v_mov_b32_e32 v4, v1
	v_not_b32_e32 v1, v5
	v_cmp_gt_i64_e32 vcc, 0, v[4:5]
	v_ashrrev_i32_e32 v1, 31, v1
	ds_read_b32 v28, v29 offset:64
	v_xor_b32_e32 v4, vcc_hi, v1
	v_xor_b32_e32 v5, vcc_lo, v1
	v_and_b32_e32 v1, v0, v4
	v_and_b32_e32 v0, v31, v5
	v_mbcnt_lo_u32_b32 v4, v0, 0
	v_mbcnt_hi_u32_b32 v30, v1, v4
	v_cmp_eq_u32_e32 vcc, 0, v30
	v_cmp_ne_u64_e64 s[0:1], 0, v[0:1]
	s_and_b64 s[4:5], s[0:1], vcc
	; wave barrier
	s_and_saveexec_b64 s[0:1], s[4:5]
	s_cbranch_execz .LBB1367_105
; %bb.104:
	v_bcnt_u32_b32 v0, v0, 0
	v_bcnt_u32_b32 v0, v1, v0
	s_waitcnt lgkmcnt(0)
	v_add_u32_e32 v0, v28, v0
	ds_write_b32 v29, v0 offset:64
.LBB1367_105:
	s_or_b64 exec, exec, s[0:1]
	s_waitcnt vmcnt(7)
	v_lshrrev_b32_sdwa v0, s24, v14 dst_sel:DWORD dst_unused:UNUSED_PAD src0_sel:DWORD src1_sel:WORD_0
	v_and_b32_e32 v33, s14, v0
	v_mul_u32_u24_e32 v0, 17, v33
	v_add_lshl_u32 v32, v27, v0, 2
	v_and_b32_e32 v0, 1, v33
	v_mov_b32_e32 v1, 0
	v_lshl_add_u64 v[4:5], v[0:1], 0, -1
	v_cmp_ne_u32_e32 vcc, 0, v0
	; wave barrier
	s_nop 1
	v_xor_b32_e32 v4, vcc_lo, v4
	v_xor_b32_e32 v0, vcc_hi, v5
	v_and_b32_e32 v34, exec_lo, v4
	v_lshlrev_b32_e32 v5, 30, v33
	v_mov_b32_e32 v4, v1
	v_cmp_gt_i64_e32 vcc, 0, v[4:5]
	v_not_b32_e32 v4, v5
	v_ashrrev_i32_e32 v4, 31, v4
	v_and_b32_e32 v0, exec_hi, v0
	v_xor_b32_e32 v5, vcc_hi, v4
	v_xor_b32_e32 v4, vcc_lo, v4
	v_and_b32_e32 v0, v0, v5
	v_and_b32_e32 v34, v34, v4
	v_lshlrev_b32_e32 v5, 29, v33
	v_mov_b32_e32 v4, v1
	v_cmp_gt_i64_e32 vcc, 0, v[4:5]
	v_not_b32_e32 v4, v5
	v_ashrrev_i32_e32 v4, 31, v4
	v_xor_b32_e32 v5, vcc_hi, v4
	v_xor_b32_e32 v4, vcc_lo, v4
	v_and_b32_e32 v0, v0, v5
	v_and_b32_e32 v34, v34, v4
	v_lshlrev_b32_e32 v5, 28, v33
	v_mov_b32_e32 v4, v1
	v_cmp_gt_i64_e32 vcc, 0, v[4:5]
	v_not_b32_e32 v4, v5
	v_ashrrev_i32_e32 v4, 31, v4
	;; [unrolled: 9-line block ×6, first 2 shown]
	v_xor_b32_e32 v5, vcc_hi, v4
	v_xor_b32_e32 v4, vcc_lo, v4
	ds_read_b32 v31, v32 offset:64
	v_and_b32_e32 v4, v34, v4
	v_and_b32_e32 v5, v0, v5
	v_mbcnt_lo_u32_b32 v0, v4, 0
	v_mbcnt_hi_u32_b32 v33, v5, v0
	v_cmp_eq_u32_e32 vcc, 0, v33
	v_cmp_ne_u64_e64 s[0:1], 0, v[4:5]
	s_and_b64 s[4:5], s[0:1], vcc
	; wave barrier
	s_and_saveexec_b64 s[0:1], s[4:5]
	s_cbranch_execz .LBB1367_107
; %bb.106:
	v_bcnt_u32_b32 v0, v4, 0
	v_bcnt_u32_b32 v0, v5, v0
	s_waitcnt lgkmcnt(0)
	v_add_u32_e32 v0, v31, v0
	ds_write_b32 v32, v0 offset:64
.LBB1367_107:
	s_or_b64 exec, exec, s[0:1]
	s_waitcnt vmcnt(6)
	v_lshrrev_b32_sdwa v0, s24, v13 dst_sel:DWORD dst_unused:UNUSED_PAD src0_sel:DWORD src1_sel:WORD_0
	v_and_b32_e32 v36, s14, v0
	v_mul_u32_u24_e32 v0, 17, v36
	v_add_lshl_u32 v35, v27, v0, 2
	v_and_b32_e32 v0, 1, v36
	v_lshl_add_u64 v[4:5], v[0:1], 0, -1
	v_cmp_ne_u32_e32 vcc, 0, v0
	; wave barrier
	s_nop 1
	v_xor_b32_e32 v4, vcc_lo, v4
	v_xor_b32_e32 v0, vcc_hi, v5
	v_and_b32_e32 v37, exec_lo, v4
	v_lshlrev_b32_e32 v5, 30, v36
	v_mov_b32_e32 v4, v1
	v_cmp_gt_i64_e32 vcc, 0, v[4:5]
	v_not_b32_e32 v4, v5
	v_ashrrev_i32_e32 v4, 31, v4
	v_and_b32_e32 v0, exec_hi, v0
	v_xor_b32_e32 v5, vcc_hi, v4
	v_xor_b32_e32 v4, vcc_lo, v4
	v_and_b32_e32 v0, v0, v5
	v_and_b32_e32 v37, v37, v4
	v_lshlrev_b32_e32 v5, 29, v36
	v_mov_b32_e32 v4, v1
	v_cmp_gt_i64_e32 vcc, 0, v[4:5]
	v_not_b32_e32 v4, v5
	v_ashrrev_i32_e32 v4, 31, v4
	v_xor_b32_e32 v5, vcc_hi, v4
	v_xor_b32_e32 v4, vcc_lo, v4
	v_and_b32_e32 v0, v0, v5
	v_and_b32_e32 v37, v37, v4
	v_lshlrev_b32_e32 v5, 28, v36
	v_mov_b32_e32 v4, v1
	v_cmp_gt_i64_e32 vcc, 0, v[4:5]
	v_not_b32_e32 v4, v5
	v_ashrrev_i32_e32 v4, 31, v4
	;; [unrolled: 9-line block ×5, first 2 shown]
	v_xor_b32_e32 v5, vcc_hi, v4
	v_xor_b32_e32 v4, vcc_lo, v4
	v_and_b32_e32 v0, v0, v5
	v_lshlrev_b32_e32 v5, 24, v36
	v_and_b32_e32 v37, v37, v4
	v_mov_b32_e32 v4, v1
	v_not_b32_e32 v1, v5
	v_cmp_gt_i64_e32 vcc, 0, v[4:5]
	v_ashrrev_i32_e32 v1, 31, v1
	ds_read_b32 v34, v35 offset:64
	v_xor_b32_e32 v4, vcc_hi, v1
	v_xor_b32_e32 v5, vcc_lo, v1
	v_and_b32_e32 v1, v0, v4
	v_and_b32_e32 v0, v37, v5
	v_mbcnt_lo_u32_b32 v4, v0, 0
	v_mbcnt_hi_u32_b32 v36, v1, v4
	v_cmp_eq_u32_e32 vcc, 0, v36
	v_cmp_ne_u64_e64 s[0:1], 0, v[0:1]
	s_and_b64 s[4:5], s[0:1], vcc
	; wave barrier
	s_and_saveexec_b64 s[0:1], s[4:5]
	s_cbranch_execz .LBB1367_109
; %bb.108:
	v_bcnt_u32_b32 v0, v0, 0
	v_bcnt_u32_b32 v0, v1, v0
	s_waitcnt lgkmcnt(0)
	v_add_u32_e32 v0, v34, v0
	ds_write_b32 v35, v0 offset:64
.LBB1367_109:
	s_or_b64 exec, exec, s[0:1]
	s_waitcnt vmcnt(5)
	v_lshrrev_b32_sdwa v0, s24, v12 dst_sel:DWORD dst_unused:UNUSED_PAD src0_sel:DWORD src1_sel:WORD_0
	v_and_b32_e32 v39, s14, v0
	v_mul_u32_u24_e32 v0, 17, v39
	v_add_lshl_u32 v38, v27, v0, 2
	v_and_b32_e32 v0, 1, v39
	v_mov_b32_e32 v1, 0
	v_lshl_add_u64 v[4:5], v[0:1], 0, -1
	v_cmp_ne_u32_e32 vcc, 0, v0
	; wave barrier
	s_nop 1
	v_xor_b32_e32 v4, vcc_lo, v4
	v_xor_b32_e32 v0, vcc_hi, v5
	v_and_b32_e32 v40, exec_lo, v4
	v_lshlrev_b32_e32 v5, 30, v39
	v_mov_b32_e32 v4, v1
	v_cmp_gt_i64_e32 vcc, 0, v[4:5]
	v_not_b32_e32 v4, v5
	v_ashrrev_i32_e32 v4, 31, v4
	v_and_b32_e32 v0, exec_hi, v0
	v_xor_b32_e32 v5, vcc_hi, v4
	v_xor_b32_e32 v4, vcc_lo, v4
	v_and_b32_e32 v0, v0, v5
	v_and_b32_e32 v40, v40, v4
	v_lshlrev_b32_e32 v5, 29, v39
	v_mov_b32_e32 v4, v1
	v_cmp_gt_i64_e32 vcc, 0, v[4:5]
	v_not_b32_e32 v4, v5
	v_ashrrev_i32_e32 v4, 31, v4
	v_xor_b32_e32 v5, vcc_hi, v4
	v_xor_b32_e32 v4, vcc_lo, v4
	v_and_b32_e32 v0, v0, v5
	v_and_b32_e32 v40, v40, v4
	v_lshlrev_b32_e32 v5, 28, v39
	v_mov_b32_e32 v4, v1
	v_cmp_gt_i64_e32 vcc, 0, v[4:5]
	v_not_b32_e32 v4, v5
	v_ashrrev_i32_e32 v4, 31, v4
	;; [unrolled: 9-line block ×6, first 2 shown]
	v_xor_b32_e32 v5, vcc_hi, v4
	v_xor_b32_e32 v4, vcc_lo, v4
	ds_read_b32 v37, v38 offset:64
	v_and_b32_e32 v4, v40, v4
	v_and_b32_e32 v5, v0, v5
	v_mbcnt_lo_u32_b32 v0, v4, 0
	v_mbcnt_hi_u32_b32 v39, v5, v0
	v_cmp_eq_u32_e32 vcc, 0, v39
	v_cmp_ne_u64_e64 s[0:1], 0, v[4:5]
	s_and_b64 s[4:5], s[0:1], vcc
	; wave barrier
	s_and_saveexec_b64 s[0:1], s[4:5]
	s_cbranch_execz .LBB1367_111
; %bb.110:
	v_bcnt_u32_b32 v0, v4, 0
	v_bcnt_u32_b32 v0, v5, v0
	s_waitcnt lgkmcnt(0)
	v_add_u32_e32 v0, v37, v0
	ds_write_b32 v38, v0 offset:64
.LBB1367_111:
	s_or_b64 exec, exec, s[0:1]
	s_waitcnt vmcnt(4)
	v_lshrrev_b32_sdwa v0, s24, v11 dst_sel:DWORD dst_unused:UNUSED_PAD src0_sel:DWORD src1_sel:WORD_0
	v_and_b32_e32 v42, s14, v0
	v_mul_u32_u24_e32 v0, 17, v42
	v_add_lshl_u32 v41, v27, v0, 2
	v_and_b32_e32 v0, 1, v42
	v_lshl_add_u64 v[4:5], v[0:1], 0, -1
	v_cmp_ne_u32_e32 vcc, 0, v0
	; wave barrier
	s_nop 1
	v_xor_b32_e32 v4, vcc_lo, v4
	v_xor_b32_e32 v0, vcc_hi, v5
	v_and_b32_e32 v43, exec_lo, v4
	v_lshlrev_b32_e32 v5, 30, v42
	v_mov_b32_e32 v4, v1
	v_cmp_gt_i64_e32 vcc, 0, v[4:5]
	v_not_b32_e32 v4, v5
	v_ashrrev_i32_e32 v4, 31, v4
	v_and_b32_e32 v0, exec_hi, v0
	v_xor_b32_e32 v5, vcc_hi, v4
	v_xor_b32_e32 v4, vcc_lo, v4
	v_and_b32_e32 v0, v0, v5
	v_and_b32_e32 v43, v43, v4
	v_lshlrev_b32_e32 v5, 29, v42
	v_mov_b32_e32 v4, v1
	v_cmp_gt_i64_e32 vcc, 0, v[4:5]
	v_not_b32_e32 v4, v5
	v_ashrrev_i32_e32 v4, 31, v4
	v_xor_b32_e32 v5, vcc_hi, v4
	v_xor_b32_e32 v4, vcc_lo, v4
	v_and_b32_e32 v0, v0, v5
	v_and_b32_e32 v43, v43, v4
	v_lshlrev_b32_e32 v5, 28, v42
	v_mov_b32_e32 v4, v1
	v_cmp_gt_i64_e32 vcc, 0, v[4:5]
	v_not_b32_e32 v4, v5
	v_ashrrev_i32_e32 v4, 31, v4
	;; [unrolled: 9-line block ×5, first 2 shown]
	v_xor_b32_e32 v5, vcc_hi, v4
	v_xor_b32_e32 v4, vcc_lo, v4
	v_and_b32_e32 v0, v0, v5
	v_lshlrev_b32_e32 v5, 24, v42
	v_and_b32_e32 v43, v43, v4
	v_mov_b32_e32 v4, v1
	v_not_b32_e32 v1, v5
	v_cmp_gt_i64_e32 vcc, 0, v[4:5]
	v_ashrrev_i32_e32 v1, 31, v1
	ds_read_b32 v40, v41 offset:64
	v_xor_b32_e32 v4, vcc_hi, v1
	v_xor_b32_e32 v5, vcc_lo, v1
	v_and_b32_e32 v1, v0, v4
	v_and_b32_e32 v0, v43, v5
	v_mbcnt_lo_u32_b32 v4, v0, 0
	v_mbcnt_hi_u32_b32 v42, v1, v4
	v_cmp_eq_u32_e32 vcc, 0, v42
	v_cmp_ne_u64_e64 s[0:1], 0, v[0:1]
	s_and_b64 s[4:5], s[0:1], vcc
	; wave barrier
	s_and_saveexec_b64 s[0:1], s[4:5]
	s_cbranch_execz .LBB1367_113
; %bb.112:
	v_bcnt_u32_b32 v0, v0, 0
	v_bcnt_u32_b32 v0, v1, v0
	s_waitcnt lgkmcnt(0)
	v_add_u32_e32 v0, v40, v0
	ds_write_b32 v41, v0 offset:64
.LBB1367_113:
	s_or_b64 exec, exec, s[0:1]
	s_waitcnt vmcnt(3)
	v_lshrrev_b32_sdwa v0, s24, v10 dst_sel:DWORD dst_unused:UNUSED_PAD src0_sel:DWORD src1_sel:WORD_0
	v_and_b32_e32 v45, s14, v0
	v_mul_u32_u24_e32 v0, 17, v45
	v_add_lshl_u32 v44, v27, v0, 2
	v_and_b32_e32 v0, 1, v45
	v_mov_b32_e32 v1, 0
	v_lshl_add_u64 v[4:5], v[0:1], 0, -1
	v_cmp_ne_u32_e32 vcc, 0, v0
	; wave barrier
	s_nop 1
	v_xor_b32_e32 v4, vcc_lo, v4
	v_xor_b32_e32 v0, vcc_hi, v5
	v_and_b32_e32 v46, exec_lo, v4
	v_lshlrev_b32_e32 v5, 30, v45
	v_mov_b32_e32 v4, v1
	v_cmp_gt_i64_e32 vcc, 0, v[4:5]
	v_not_b32_e32 v4, v5
	v_ashrrev_i32_e32 v4, 31, v4
	v_and_b32_e32 v0, exec_hi, v0
	v_xor_b32_e32 v5, vcc_hi, v4
	v_xor_b32_e32 v4, vcc_lo, v4
	v_and_b32_e32 v0, v0, v5
	v_and_b32_e32 v46, v46, v4
	v_lshlrev_b32_e32 v5, 29, v45
	v_mov_b32_e32 v4, v1
	v_cmp_gt_i64_e32 vcc, 0, v[4:5]
	v_not_b32_e32 v4, v5
	v_ashrrev_i32_e32 v4, 31, v4
	v_xor_b32_e32 v5, vcc_hi, v4
	v_xor_b32_e32 v4, vcc_lo, v4
	v_and_b32_e32 v0, v0, v5
	v_and_b32_e32 v46, v46, v4
	v_lshlrev_b32_e32 v5, 28, v45
	v_mov_b32_e32 v4, v1
	v_cmp_gt_i64_e32 vcc, 0, v[4:5]
	v_not_b32_e32 v4, v5
	v_ashrrev_i32_e32 v4, 31, v4
	;; [unrolled: 9-line block ×6, first 2 shown]
	v_xor_b32_e32 v5, vcc_hi, v4
	v_xor_b32_e32 v4, vcc_lo, v4
	ds_read_b32 v43, v44 offset:64
	v_and_b32_e32 v4, v46, v4
	v_and_b32_e32 v5, v0, v5
	v_mbcnt_lo_u32_b32 v0, v4, 0
	v_mbcnt_hi_u32_b32 v45, v5, v0
	v_cmp_eq_u32_e32 vcc, 0, v45
	v_cmp_ne_u64_e64 s[0:1], 0, v[4:5]
	s_and_b64 s[4:5], s[0:1], vcc
	; wave barrier
	s_and_saveexec_b64 s[0:1], s[4:5]
	s_cbranch_execz .LBB1367_115
; %bb.114:
	v_bcnt_u32_b32 v0, v4, 0
	v_bcnt_u32_b32 v0, v5, v0
	s_waitcnt lgkmcnt(0)
	v_add_u32_e32 v0, v43, v0
	ds_write_b32 v44, v0 offset:64
.LBB1367_115:
	s_or_b64 exec, exec, s[0:1]
	s_waitcnt vmcnt(2)
	v_lshrrev_b32_sdwa v0, s24, v9 dst_sel:DWORD dst_unused:UNUSED_PAD src0_sel:DWORD src1_sel:WORD_0
	v_and_b32_e32 v48, s14, v0
	v_mul_u32_u24_e32 v0, 17, v48
	v_add_lshl_u32 v47, v27, v0, 2
	v_and_b32_e32 v0, 1, v48
	v_lshl_add_u64 v[4:5], v[0:1], 0, -1
	v_cmp_ne_u32_e32 vcc, 0, v0
	; wave barrier
	s_nop 1
	v_xor_b32_e32 v4, vcc_lo, v4
	v_xor_b32_e32 v0, vcc_hi, v5
	v_and_b32_e32 v49, exec_lo, v4
	v_lshlrev_b32_e32 v5, 30, v48
	v_mov_b32_e32 v4, v1
	v_cmp_gt_i64_e32 vcc, 0, v[4:5]
	v_not_b32_e32 v4, v5
	v_ashrrev_i32_e32 v4, 31, v4
	v_and_b32_e32 v0, exec_hi, v0
	v_xor_b32_e32 v5, vcc_hi, v4
	v_xor_b32_e32 v4, vcc_lo, v4
	v_and_b32_e32 v0, v0, v5
	v_and_b32_e32 v49, v49, v4
	v_lshlrev_b32_e32 v5, 29, v48
	v_mov_b32_e32 v4, v1
	v_cmp_gt_i64_e32 vcc, 0, v[4:5]
	v_not_b32_e32 v4, v5
	v_ashrrev_i32_e32 v4, 31, v4
	v_xor_b32_e32 v5, vcc_hi, v4
	v_xor_b32_e32 v4, vcc_lo, v4
	v_and_b32_e32 v0, v0, v5
	v_and_b32_e32 v49, v49, v4
	v_lshlrev_b32_e32 v5, 28, v48
	v_mov_b32_e32 v4, v1
	v_cmp_gt_i64_e32 vcc, 0, v[4:5]
	v_not_b32_e32 v4, v5
	v_ashrrev_i32_e32 v4, 31, v4
	;; [unrolled: 9-line block ×5, first 2 shown]
	v_xor_b32_e32 v5, vcc_hi, v4
	v_xor_b32_e32 v4, vcc_lo, v4
	v_and_b32_e32 v0, v0, v5
	v_lshlrev_b32_e32 v5, 24, v48
	v_and_b32_e32 v49, v49, v4
	v_mov_b32_e32 v4, v1
	v_not_b32_e32 v1, v5
	v_cmp_gt_i64_e32 vcc, 0, v[4:5]
	v_ashrrev_i32_e32 v1, 31, v1
	ds_read_b32 v46, v47 offset:64
	v_xor_b32_e32 v4, vcc_hi, v1
	v_xor_b32_e32 v5, vcc_lo, v1
	v_and_b32_e32 v1, v0, v4
	v_and_b32_e32 v0, v49, v5
	v_mbcnt_lo_u32_b32 v4, v0, 0
	v_mbcnt_hi_u32_b32 v48, v1, v4
	v_cmp_eq_u32_e32 vcc, 0, v48
	v_cmp_ne_u64_e64 s[0:1], 0, v[0:1]
	s_and_b64 s[4:5], s[0:1], vcc
	; wave barrier
	s_and_saveexec_b64 s[0:1], s[4:5]
	s_cbranch_execz .LBB1367_117
; %bb.116:
	v_bcnt_u32_b32 v0, v0, 0
	v_bcnt_u32_b32 v0, v1, v0
	s_waitcnt lgkmcnt(0)
	v_add_u32_e32 v0, v46, v0
	ds_write_b32 v47, v0 offset:64
.LBB1367_117:
	s_or_b64 exec, exec, s[0:1]
	s_waitcnt vmcnt(1)
	v_lshrrev_b32_sdwa v0, s24, v8 dst_sel:DWORD dst_unused:UNUSED_PAD src0_sel:DWORD src1_sel:WORD_0
	v_and_b32_e32 v51, s14, v0
	v_mul_u32_u24_e32 v0, 17, v51
	v_add_lshl_u32 v50, v27, v0, 2
	v_and_b32_e32 v0, 1, v51
	v_mov_b32_e32 v1, 0
	v_lshl_add_u64 v[4:5], v[0:1], 0, -1
	v_cmp_ne_u32_e32 vcc, 0, v0
	; wave barrier
	s_nop 1
	v_xor_b32_e32 v4, vcc_lo, v4
	v_xor_b32_e32 v0, vcc_hi, v5
	v_and_b32_e32 v52, exec_lo, v4
	v_lshlrev_b32_e32 v5, 30, v51
	v_mov_b32_e32 v4, v1
	v_cmp_gt_i64_e32 vcc, 0, v[4:5]
	v_not_b32_e32 v4, v5
	v_ashrrev_i32_e32 v4, 31, v4
	v_and_b32_e32 v0, exec_hi, v0
	v_xor_b32_e32 v5, vcc_hi, v4
	v_xor_b32_e32 v4, vcc_lo, v4
	v_and_b32_e32 v0, v0, v5
	v_and_b32_e32 v52, v52, v4
	v_lshlrev_b32_e32 v5, 29, v51
	v_mov_b32_e32 v4, v1
	v_cmp_gt_i64_e32 vcc, 0, v[4:5]
	v_not_b32_e32 v4, v5
	v_ashrrev_i32_e32 v4, 31, v4
	v_xor_b32_e32 v5, vcc_hi, v4
	v_xor_b32_e32 v4, vcc_lo, v4
	v_and_b32_e32 v0, v0, v5
	v_and_b32_e32 v52, v52, v4
	v_lshlrev_b32_e32 v5, 28, v51
	v_mov_b32_e32 v4, v1
	v_cmp_gt_i64_e32 vcc, 0, v[4:5]
	v_not_b32_e32 v4, v5
	v_ashrrev_i32_e32 v4, 31, v4
	;; [unrolled: 9-line block ×6, first 2 shown]
	v_xor_b32_e32 v5, vcc_hi, v4
	v_xor_b32_e32 v4, vcc_lo, v4
	ds_read_b32 v49, v50 offset:64
	v_and_b32_e32 v4, v52, v4
	v_and_b32_e32 v5, v0, v5
	v_mbcnt_lo_u32_b32 v0, v4, 0
	v_mbcnt_hi_u32_b32 v51, v5, v0
	v_cmp_eq_u32_e32 vcc, 0, v51
	v_cmp_ne_u64_e64 s[0:1], 0, v[4:5]
	s_and_b64 s[4:5], s[0:1], vcc
	; wave barrier
	s_and_saveexec_b64 s[0:1], s[4:5]
	s_cbranch_execz .LBB1367_119
; %bb.118:
	v_bcnt_u32_b32 v0, v4, 0
	v_bcnt_u32_b32 v0, v5, v0
	s_waitcnt lgkmcnt(0)
	v_add_u32_e32 v0, v49, v0
	ds_write_b32 v50, v0 offset:64
.LBB1367_119:
	s_or_b64 exec, exec, s[0:1]
	s_waitcnt vmcnt(0)
	v_lshrrev_b32_sdwa v0, s24, v7 dst_sel:DWORD dst_unused:UNUSED_PAD src0_sel:DWORD src1_sel:WORD_0
	v_and_b32_e32 v55, s14, v0
	v_mul_u32_u24_e32 v0, 17, v55
	v_add_lshl_u32 v53, v27, v0, 2
	v_and_b32_e32 v0, 1, v55
	v_lshl_add_u64 v[4:5], v[0:1], 0, -1
	v_cmp_ne_u32_e32 vcc, 0, v0
	; wave barrier
	s_nop 1
	v_xor_b32_e32 v4, vcc_lo, v4
	v_xor_b32_e32 v0, vcc_hi, v5
	v_and_b32_e32 v27, exec_lo, v4
	v_lshlrev_b32_e32 v5, 30, v55
	v_mov_b32_e32 v4, v1
	v_cmp_gt_i64_e32 vcc, 0, v[4:5]
	v_not_b32_e32 v4, v5
	v_ashrrev_i32_e32 v4, 31, v4
	v_and_b32_e32 v0, exec_hi, v0
	v_xor_b32_e32 v5, vcc_hi, v4
	v_xor_b32_e32 v4, vcc_lo, v4
	v_and_b32_e32 v0, v0, v5
	v_and_b32_e32 v27, v27, v4
	v_lshlrev_b32_e32 v5, 29, v55
	v_mov_b32_e32 v4, v1
	v_cmp_gt_i64_e32 vcc, 0, v[4:5]
	v_not_b32_e32 v4, v5
	v_ashrrev_i32_e32 v4, 31, v4
	v_xor_b32_e32 v5, vcc_hi, v4
	v_xor_b32_e32 v4, vcc_lo, v4
	v_and_b32_e32 v0, v0, v5
	v_and_b32_e32 v27, v27, v4
	v_lshlrev_b32_e32 v5, 28, v55
	v_mov_b32_e32 v4, v1
	v_cmp_gt_i64_e32 vcc, 0, v[4:5]
	v_not_b32_e32 v4, v5
	v_ashrrev_i32_e32 v4, 31, v4
	;; [unrolled: 9-line block ×5, first 2 shown]
	v_xor_b32_e32 v5, vcc_hi, v4
	v_xor_b32_e32 v4, vcc_lo, v4
	v_and_b32_e32 v0, v0, v5
	v_lshlrev_b32_e32 v5, 24, v55
	v_and_b32_e32 v27, v27, v4
	v_mov_b32_e32 v4, v1
	v_not_b32_e32 v1, v5
	v_cmp_gt_i64_e32 vcc, 0, v[4:5]
	v_ashrrev_i32_e32 v1, 31, v1
	ds_read_b32 v52, v53 offset:64
	v_xor_b32_e32 v4, vcc_hi, v1
	v_xor_b32_e32 v5, vcc_lo, v1
	v_and_b32_e32 v1, v0, v4
	v_and_b32_e32 v0, v27, v5
	v_mbcnt_lo_u32_b32 v4, v0, 0
	v_mbcnt_hi_u32_b32 v55, v1, v4
	v_cmp_eq_u32_e32 vcc, 0, v55
	v_cmp_ne_u64_e64 s[0:1], 0, v[0:1]
	v_add_u32_e32 v54, 64, v18
	s_and_b64 s[4:5], s[0:1], vcc
	; wave barrier
	s_and_saveexec_b64 s[0:1], s[4:5]
	s_cbranch_execz .LBB1367_121
; %bb.120:
	v_bcnt_u32_b32 v0, v0, 0
	v_bcnt_u32_b32 v0, v1, v0
	s_waitcnt lgkmcnt(0)
	v_add_u32_e32 v0, v52, v0
	ds_write_b32 v53, v0 offset:64
.LBB1367_121:
	s_or_b64 exec, exec, s[0:1]
	; wave barrier
	s_waitcnt lgkmcnt(0)
	s_barrier
	ds_read2_b32 v[4:5], v18 offset0:16 offset1:17
	ds_read2_b32 v[0:1], v54 offset0:2 offset1:3
	ds_read_b32 v27, v54 offset:16
	v_cmp_lt_u32_e64 s[8:9], 31, v6
	s_waitcnt lgkmcnt(1)
	v_add3_u32 v56, v5, v4, v0
	s_waitcnt lgkmcnt(0)
	v_add3_u32 v27, v56, v1, v27
	v_and_b32_e32 v56, 15, v6
	v_cmp_eq_u32_e32 vcc, 0, v56
	v_mov_b32_dpp v57, v27 row_shr:1 row_mask:0xf bank_mask:0xf
	v_cmp_lt_u32_e64 s[0:1], 1, v56
	v_cndmask_b32_e64 v57, v57, 0, vcc
	v_add_u32_e32 v27, v57, v27
	v_cmp_lt_u32_e64 s[6:7], 3, v56
	v_cmp_lt_u32_e64 s[4:5], 7, v56
	v_mov_b32_dpp v57, v27 row_shr:2 row_mask:0xf bank_mask:0xf
	v_cndmask_b32_e64 v57, 0, v57, s[0:1]
	v_add_u32_e32 v27, v27, v57
	s_nop 1
	v_mov_b32_dpp v57, v27 row_shr:4 row_mask:0xf bank_mask:0xf
	v_cndmask_b32_e64 v57, 0, v57, s[6:7]
	v_add_u32_e32 v27, v27, v57
	s_nop 1
	v_mov_b32_dpp v57, v27 row_shr:8 row_mask:0xf bank_mask:0xf
	v_cndmask_b32_e64 v56, 0, v57, s[4:5]
	v_add_u32_e32 v27, v27, v56
	v_bfe_i32 v57, v6, 4, 1
	s_nop 0
	v_mov_b32_dpp v56, v27 row_bcast:15 row_mask:0xf bank_mask:0xf
	v_and_b32_e32 v56, v57, v56
	v_add_u32_e32 v27, v27, v56
	v_lshrrev_b32_e32 v57, 6, v2
	s_nop 0
	v_mov_b32_dpp v56, v27 row_bcast:31 row_mask:0xf bank_mask:0xf
	v_cndmask_b32_e64 v56, 0, v56, s[8:9]
	v_add_u32_e32 v56, v27, v56
	v_and_b32_e32 v27, 63, v2
	v_cmp_eq_u32_e64 s[8:9], 63, v27
	s_and_saveexec_b64 s[12:13], s[8:9]
	s_cbranch_execz .LBB1367_123
; %bb.122:
	v_lshlrev_b32_e32 v27, 2, v57
	ds_write_b32 v27, v56
.LBB1367_123:
	s_or_b64 exec, exec, s[12:13]
	v_cmp_gt_u32_e64 s[8:9], 16, v2
	v_lshlrev_b32_e32 v27, 2, v2
	s_waitcnt lgkmcnt(0)
	s_barrier
	s_and_saveexec_b64 s[12:13], s[8:9]
	s_cbranch_execz .LBB1367_125
; %bb.124:
	ds_read_b32 v58, v27
	s_waitcnt lgkmcnt(0)
	s_nop 0
	v_mov_b32_dpp v59, v58 row_shr:1 row_mask:0xf bank_mask:0xf
	v_cndmask_b32_e64 v59, v59, 0, vcc
	v_add_u32_e32 v58, v59, v58
	s_nop 1
	v_mov_b32_dpp v59, v58 row_shr:2 row_mask:0xf bank_mask:0xf
	v_cndmask_b32_e64 v59, 0, v59, s[0:1]
	v_add_u32_e32 v58, v58, v59
	s_nop 1
	v_mov_b32_dpp v59, v58 row_shr:4 row_mask:0xf bank_mask:0xf
	v_cndmask_b32_e64 v59, 0, v59, s[6:7]
	;; [unrolled: 4-line block ×3, first 2 shown]
	v_add_u32_e32 v58, v58, v59
	ds_write_b32 v27, v58
.LBB1367_125:
	s_or_b64 exec, exec, s[12:13]
	v_cmp_lt_u32_e32 vcc, 63, v2
	v_mov_b32_e32 v58, 0
	s_waitcnt lgkmcnt(0)
	s_barrier
	s_and_saveexec_b64 s[0:1], vcc
	s_cbranch_execz .LBB1367_127
; %bb.126:
	v_lshl_add_u32 v57, v57, 2, -4
	ds_read_b32 v58, v57
.LBB1367_127:
	s_or_b64 exec, exec, s[0:1]
	v_add_u32_e32 v57, -1, v6
	v_and_b32_e32 v59, 64, v6
	v_cmp_lt_i32_e32 vcc, v57, v59
	s_waitcnt lgkmcnt(0)
	v_add_u32_e32 v56, v58, v56
	s_movk_i32 s4, 0xff
	v_cndmask_b32_e32 v57, v57, v6, vcc
	v_lshlrev_b32_e32 v57, 2, v57
	ds_bpermute_b32 v56, v57, v56
	v_cmp_eq_u32_e32 vcc, 0, v6
	s_movk_i32 s5, 0x100
	v_cmp_lt_u32_e64 s[0:1], s4, v2
	s_waitcnt lgkmcnt(0)
	v_cndmask_b32_e32 v6, v56, v58, vcc
	v_cmp_ne_u32_e32 vcc, 0, v2
	s_nop 1
	v_cndmask_b32_e32 v6, 0, v6, vcc
	v_add_u32_e32 v4, v6, v4
	v_add_u32_e32 v5, v4, v5
	;; [unrolled: 1-line block ×4, first 2 shown]
	ds_write2_b32 v18, v6, v4 offset0:16 offset1:17
	ds_write2_b32 v54, v5, v0 offset0:2 offset1:3
	ds_write_b32 v54, v1 offset:16
	s_waitcnt lgkmcnt(0)
	s_barrier
	ds_read_b32 v58, v20 offset:64
	ds_read_b32 v57, v22 offset:64
	;; [unrolled: 1-line block ×12, first 2 shown]
	v_cmp_gt_u32_e32 vcc, s5, v2
                                        ; implicit-def: $vgpr18
                                        ; implicit-def: $vgpr20
	s_and_saveexec_b64 s[6:7], vcc
	s_cbranch_execz .LBB1367_131
; %bb.128:
	v_mul_u32_u24_e32 v18, 17, v2
	v_lshlrev_b32_e32 v32, 2, v18
	ds_read_b32 v18, v32 offset:64
	v_cmp_ne_u32_e64 s[4:5], s4, v2
	v_mov_b32_e32 v20, 0x3000
	s_and_saveexec_b64 s[8:9], s[4:5]
	s_cbranch_execz .LBB1367_130
; %bb.129:
	ds_read_b32 v20, v32 offset:132
.LBB1367_130:
	s_or_b64 exec, exec, s[8:9]
	s_waitcnt lgkmcnt(0)
	v_sub_u32_e32 v20, v20, v18
.LBB1367_131:
	s_or_b64 exec, exec, s[6:7]
	v_add_u32_e32 v21, v23, v21
	s_waitcnt lgkmcnt(11)
	v_add_lshl_u32 v19, v58, v19, 1
	v_add_u32_e32 v24, v26, v24
	s_waitcnt lgkmcnt(0)
	s_barrier
	ds_write_b16 v19, v3 offset:1024
	v_add_lshl_u32 v3, v21, v57, 1
	v_add_u32_e32 v28, v30, v28
	ds_write_b16 v3, v17 offset:1024
	v_add_lshl_u32 v3, v24, v56, 1
	v_add_u32_e32 v31, v33, v31
	;; [unrolled: 3-line block ×7, first 2 shown]
	v_add_u32_e32 v35, v51, v49
	v_add_u32_e32 v38, v48, v46
	ds_write_b16 v3, v11 offset:1024
	v_add_lshl_u32 v3, v41, v5, 1
	ds_write_b16 v3, v10 offset:1024
	v_add_lshl_u32 v3, v38, v4, 1
	v_add_lshl_u32 v1, v35, v1, 1
	;; [unrolled: 1-line block ×3, first 2 shown]
	ds_write_b16 v3, v9 offset:1024
	ds_write_b16 v1, v8 offset:1024
	;; [unrolled: 1-line block ×3, first 2 shown]
	s_and_saveexec_b64 s[4:5], s[0:1]
	s_xor_b64 s[0:1], exec, s[4:5]
; %bb.132:
	v_mov_b32_e32 v3, 0
                                        ; implicit-def: $vgpr27
; %bb.133:
	s_andn2_saveexec_b64 s[4:5], s[0:1]
	s_cbranch_execz .LBB1367_143
; %bb.134:
	v_lshl_or_b32 v4, s2, 8, v2
	v_mov_b32_e32 v5, 0
	v_lshl_add_u64 v[0:1], v[4:5], 2, s[28:29]
	v_or_b32_e32 v3, 2.0, v20
	s_mov_b64 s[6:7], 0
	s_brev_b32 s15, 1
	s_mov_b32 s20, s2
	v_mov_b32_e32 v8, 0
	global_store_dword v[0:1], v3, off sc1
                                        ; implicit-def: $sgpr0_sgpr1
	s_branch .LBB1367_137
.LBB1367_135:                           ;   in Loop: Header=BB1367_137 Depth=1
	s_or_b64 exec, exec, s[12:13]
.LBB1367_136:                           ;   in Loop: Header=BB1367_137 Depth=1
	s_or_b64 exec, exec, s[8:9]
	v_and_b32_e32 v4, 0x3fffffff, v4
	v_add_u32_e32 v8, v4, v8
	v_cmp_eq_u32_e64 s[0:1], s15, v3
	s_and_b64 s[8:9], exec, s[0:1]
	s_or_b64 s[6:7], s[8:9], s[6:7]
	s_andn2_b64 exec, exec, s[6:7]
	s_cbranch_execz .LBB1367_142
.LBB1367_137:                           ; =>This Loop Header: Depth=1
                                        ;     Child Loop BB1367_140 Depth 2
	s_or_b64 s[0:1], s[0:1], exec
	s_cmp_eq_u32 s20, 0
	s_cbranch_scc1 .LBB1367_141
; %bb.138:                              ;   in Loop: Header=BB1367_137 Depth=1
	s_add_i32 s20, s20, -1
	v_lshl_or_b32 v4, s20, 8, v2
	v_lshl_add_u64 v[6:7], v[4:5], 2, s[28:29]
	global_load_dword v4, v[6:7], off sc1
	s_waitcnt vmcnt(0)
	v_and_b32_e32 v3, -2.0, v4
	v_cmp_eq_u32_e64 s[0:1], 0, v3
	s_and_saveexec_b64 s[8:9], s[0:1]
	s_cbranch_execz .LBB1367_136
; %bb.139:                              ;   in Loop: Header=BB1367_137 Depth=1
	s_mov_b64 s[12:13], 0
.LBB1367_140:                           ;   Parent Loop BB1367_137 Depth=1
                                        ; =>  This Inner Loop Header: Depth=2
	global_load_dword v4, v[6:7], off sc1
	s_waitcnt vmcnt(0)
	v_and_b32_e32 v3, -2.0, v4
	v_cmp_ne_u32_e64 s[0:1], 0, v3
	s_or_b64 s[12:13], s[0:1], s[12:13]
	s_andn2_b64 exec, exec, s[12:13]
	s_cbranch_execnz .LBB1367_140
	s_branch .LBB1367_135
.LBB1367_141:                           ;   in Loop: Header=BB1367_137 Depth=1
                                        ; implicit-def: $sgpr20
	s_and_b64 s[8:9], exec, s[0:1]
	s_or_b64 s[6:7], s[8:9], s[6:7]
	s_andn2_b64 exec, exec, s[6:7]
	s_cbranch_execnz .LBB1367_137
.LBB1367_142:
	s_or_b64 exec, exec, s[6:7]
	v_add_u32_e32 v3, v8, v20
	v_or_b32_e32 v3, 0x80000000, v3
	global_store_dword v[0:1], v3, off sc1
	global_load_dword v0, v27, s[16:17]
	v_sub_u32_e32 v1, v8, v18
	v_mov_b32_e32 v3, 0
	s_waitcnt vmcnt(0)
	v_add_u32_e32 v0, v1, v0
	ds_write_b32 v27, v0
.LBB1367_143:
	s_or_b64 exec, exec, s[4:5]
	v_lshlrev_b32_e32 v0, 1, v2
	s_waitcnt lgkmcnt(0)
	s_barrier
	v_lshlrev_b32_e32 v1, 1, v2
	ds_read_u16 v6, v0 offset:1024
	ds_read_u16 v7, v1 offset:3072
	;; [unrolled: 1-line block ×7, first 2 shown]
	s_waitcnt lgkmcnt(6)
	v_lshrrev_b32_sdwa v0, s24, v6 dst_sel:DWORD dst_unused:UNUSED_PAD src0_sel:DWORD src1_sel:WORD_0
	s_waitcnt lgkmcnt(4)
	v_lshrrev_b32_sdwa v5, s24, v8 dst_sel:DWORD dst_unused:UNUSED_PAD src0_sel:DWORD src1_sel:WORD_0
	v_and_b32_e32 v0, s14, v0
	v_lshrrev_b32_sdwa v4, s24, v7 dst_sel:DWORD dst_unused:UNUSED_PAD src0_sel:DWORD src1_sel:WORD_0
	v_and_b32_e32 v5, s14, v5
	v_lshlrev_b32_e32 v0, 2, v0
	v_and_b32_e32 v4, s14, v4
	v_lshlrev_b32_e32 v5, 2, v5
	v_lshlrev_b32_e32 v4, 2, v4
	ds_read_b32 v13, v5
	ds_read_b32 v0, v0
	ds_read_u16 v14, v1 offset:5120
	ds_read_u16 v15, v1 offset:9216
	;; [unrolled: 1-line block ×4, first 2 shown]
	ds_read_b32 v19, v4
	ds_read_u16 v21, v1 offset:21504
	s_waitcnt lgkmcnt(6)
	v_add_u32_e32 v0, v0, v2
	v_mov_b32_e32 v1, 0
	s_movk_i32 s0, 0x400
	v_lshl_add_u64 v[4:5], v[0:1], 1, s[22:23]
	s_waitcnt lgkmcnt(1)
	v_add3_u32 v0, v19, v2, s0
	global_store_short v[4:5], v6, off
	v_lshl_add_u64 v[4:5], v[0:1], 1, s[22:23]
	global_store_short v[4:5], v7, off
	v_lshrrev_b32_sdwa v0, s24, v14 dst_sel:DWORD dst_unused:UNUSED_PAD src0_sel:DWORD src1_sel:WORD_0
	v_lshrrev_b32_sdwa v6, s24, v16 dst_sel:DWORD dst_unused:UNUSED_PAD src0_sel:DWORD src1_sel:WORD_0
	;; [unrolled: 1-line block ×5, first 2 shown]
	s_waitcnt lgkmcnt(0)
	v_lshrrev_b32_sdwa v23, s24, v21 dst_sel:DWORD dst_unused:UNUSED_PAD src0_sel:DWORD src1_sel:WORD_0
	v_and_b32_e32 v0, s14, v0
	v_lshrrev_b32_sdwa v4, s24, v15 dst_sel:DWORD dst_unused:UNUSED_PAD src0_sel:DWORD src1_sel:WORD_0
	v_lshrrev_b32_sdwa v5, s24, v9 dst_sel:DWORD dst_unused:UNUSED_PAD src0_sel:DWORD src1_sel:WORD_0
	v_and_b32_e32 v6, s14, v6
	v_and_b32_e32 v7, s14, v7
	;; [unrolled: 1-line block ×5, first 2 shown]
	v_lshlrev_b32_e32 v0, 2, v0
	v_and_b32_e32 v4, s14, v4
	v_and_b32_e32 v5, s14, v5
	v_lshlrev_b32_e32 v6, 2, v6
	v_lshlrev_b32_e32 v7, 2, v7
	;; [unrolled: 1-line block ×5, first 2 shown]
	s_movk_i32 s0, 0x800
	v_lshlrev_b32_e32 v4, 2, v4
	v_lshlrev_b32_e32 v5, 2, v5
	ds_read_b32 v0, v0
	ds_read_b32 v24, v4
	;; [unrolled: 1-line block ×8, first 2 shown]
	s_waitcnt lgkmcnt(7)
	v_add3_u32 v0, v0, v2, s0
	s_movk_i32 s0, 0xc00
	v_lshl_add_u64 v[4:5], v[0:1], 1, s[22:23]
	v_add3_u32 v0, v13, v2, s0
	s_movk_i32 s0, 0x1000
	global_store_short v[4:5], v14, off
	v_lshl_add_u64 v[4:5], v[0:1], 1, s[22:23]
	s_waitcnt lgkmcnt(6)
	v_add3_u32 v0, v24, v2, s0
	s_movk_i32 s0, 0x1400
	global_store_short v[4:5], v8, off
	v_lshl_add_u64 v[4:5], v[0:1], 1, s[22:23]
	s_waitcnt lgkmcnt(5)
	;; [unrolled: 5-line block ×6, first 2 shown]
	v_add3_u32 v0, v22, v2, s0
	global_store_short v[4:5], v17, off
	v_lshl_add_u64 v[4:5], v[0:1], 1, s[22:23]
	v_lshrrev_b32_sdwa v0, s24, v12 dst_sel:DWORD dst_unused:UNUSED_PAD src0_sel:DWORD src1_sel:WORD_0
	v_and_b32_e32 v0, s14, v0
	v_lshlrev_b32_e32 v0, 2, v0
	ds_read_b32 v6, v0
	s_movk_i32 s0, 0x2800
	s_add_i32 s3, s3, -1
	s_waitcnt lgkmcnt(1)
	v_add3_u32 v0, v23, v2, s0
	s_movk_i32 s0, 0x2c00
	s_cmp_eq_u32 s3, s2
	global_store_short v[4:5], v11, off
	v_lshl_add_u64 v[4:5], v[0:1], 1, s[22:23]
	s_waitcnt lgkmcnt(0)
	v_add3_u32 v0, v6, v2, s0
	s_cselect_b64 s[0:1], -1, 0
	v_lshl_add_u64 v[0:1], v[0:1], 1, s[22:23]
	s_and_b64 s[2:3], vcc, s[0:1]
	global_store_short v[4:5], v21, off
	global_store_short v[0:1], v12, off
                                        ; implicit-def: $vgpr4
	s_and_saveexec_b64 s[0:1], s[2:3]
; %bb.144:
	v_add_u32_e32 v4, v18, v20
	s_or_b64 s[10:11], s[10:11], exec
; %bb.145:
	s_or_b64 exec, exec, s[0:1]
.LBB1367_146:
	s_and_saveexec_b64 s[0:1], s[10:11]
	s_cbranch_execnz .LBB1367_148
; %bb.147:
	s_endpgm
.LBB1367_148:
	v_lshlrev_b32_e32 v0, 2, v2
	ds_read_b32 v5, v0
	v_mov_b32_e32 v0, s18
	v_mov_b32_e32 v1, s19
	v_lshl_add_u64 v[0:1], v[2:3], 2, v[0:1]
	s_waitcnt lgkmcnt(0)
	v_add_u32_e32 v2, v5, v4
	global_store_dword v[0:1], v2, off
	s_endpgm
	.section	.rodata,"a",@progbits
	.p2align	6, 0x0
	.amdhsa_kernel _ZN7rocprim17ROCPRIM_400000_NS6detail17trampoline_kernelINS0_14default_configENS1_35radix_sort_onesweep_config_selectorItNS0_10empty_typeEEEZZNS1_29radix_sort_onesweep_iterationIS3_Lb0EN6thrust23THRUST_200600_302600_NS6detail15normal_iteratorINS9_10device_ptrItEEEESE_PS5_SF_jNS0_19identity_decomposerENS1_16block_id_wrapperIjLb0EEEEE10hipError_tT1_PNSt15iterator_traitsISK_E10value_typeET2_T3_PNSL_ISQ_E10value_typeET4_T5_PSV_SW_PNS1_23onesweep_lookback_stateEbbT6_jjT7_P12ihipStream_tbENKUlT_T0_SK_SP_E_clISE_SE_SF_SF_EEDaS13_S14_SK_SP_EUlS13_E_NS1_11comp_targetILNS1_3genE5ELNS1_11target_archE942ELNS1_3gpuE9ELNS1_3repE0EEENS1_47radix_sort_onesweep_sort_config_static_selectorELNS0_4arch9wavefront6targetE1EEEvSK_
		.amdhsa_group_segment_fixed_size 25608
		.amdhsa_private_segment_fixed_size 0
		.amdhsa_kernarg_size 344
		.amdhsa_user_sgpr_count 2
		.amdhsa_user_sgpr_dispatch_ptr 0
		.amdhsa_user_sgpr_queue_ptr 0
		.amdhsa_user_sgpr_kernarg_segment_ptr 1
		.amdhsa_user_sgpr_dispatch_id 0
		.amdhsa_user_sgpr_kernarg_preload_length 0
		.amdhsa_user_sgpr_kernarg_preload_offset 0
		.amdhsa_user_sgpr_private_segment_size 0
		.amdhsa_uses_dynamic_stack 0
		.amdhsa_enable_private_segment 0
		.amdhsa_system_sgpr_workgroup_id_x 1
		.amdhsa_system_sgpr_workgroup_id_y 0
		.amdhsa_system_sgpr_workgroup_id_z 0
		.amdhsa_system_sgpr_workgroup_info 0
		.amdhsa_system_vgpr_workitem_id 2
		.amdhsa_next_free_vgpr 62
		.amdhsa_next_free_sgpr 32
		.amdhsa_accum_offset 64
		.amdhsa_reserve_vcc 1
		.amdhsa_float_round_mode_32 0
		.amdhsa_float_round_mode_16_64 0
		.amdhsa_float_denorm_mode_32 3
		.amdhsa_float_denorm_mode_16_64 3
		.amdhsa_dx10_clamp 1
		.amdhsa_ieee_mode 1
		.amdhsa_fp16_overflow 0
		.amdhsa_tg_split 0
		.amdhsa_exception_fp_ieee_invalid_op 0
		.amdhsa_exception_fp_denorm_src 0
		.amdhsa_exception_fp_ieee_div_zero 0
		.amdhsa_exception_fp_ieee_overflow 0
		.amdhsa_exception_fp_ieee_underflow 0
		.amdhsa_exception_fp_ieee_inexact 0
		.amdhsa_exception_int_div_zero 0
	.end_amdhsa_kernel
	.section	.text._ZN7rocprim17ROCPRIM_400000_NS6detail17trampoline_kernelINS0_14default_configENS1_35radix_sort_onesweep_config_selectorItNS0_10empty_typeEEEZZNS1_29radix_sort_onesweep_iterationIS3_Lb0EN6thrust23THRUST_200600_302600_NS6detail15normal_iteratorINS9_10device_ptrItEEEESE_PS5_SF_jNS0_19identity_decomposerENS1_16block_id_wrapperIjLb0EEEEE10hipError_tT1_PNSt15iterator_traitsISK_E10value_typeET2_T3_PNSL_ISQ_E10value_typeET4_T5_PSV_SW_PNS1_23onesweep_lookback_stateEbbT6_jjT7_P12ihipStream_tbENKUlT_T0_SK_SP_E_clISE_SE_SF_SF_EEDaS13_S14_SK_SP_EUlS13_E_NS1_11comp_targetILNS1_3genE5ELNS1_11target_archE942ELNS1_3gpuE9ELNS1_3repE0EEENS1_47radix_sort_onesweep_sort_config_static_selectorELNS0_4arch9wavefront6targetE1EEEvSK_,"axG",@progbits,_ZN7rocprim17ROCPRIM_400000_NS6detail17trampoline_kernelINS0_14default_configENS1_35radix_sort_onesweep_config_selectorItNS0_10empty_typeEEEZZNS1_29radix_sort_onesweep_iterationIS3_Lb0EN6thrust23THRUST_200600_302600_NS6detail15normal_iteratorINS9_10device_ptrItEEEESE_PS5_SF_jNS0_19identity_decomposerENS1_16block_id_wrapperIjLb0EEEEE10hipError_tT1_PNSt15iterator_traitsISK_E10value_typeET2_T3_PNSL_ISQ_E10value_typeET4_T5_PSV_SW_PNS1_23onesweep_lookback_stateEbbT6_jjT7_P12ihipStream_tbENKUlT_T0_SK_SP_E_clISE_SE_SF_SF_EEDaS13_S14_SK_SP_EUlS13_E_NS1_11comp_targetILNS1_3genE5ELNS1_11target_archE942ELNS1_3gpuE9ELNS1_3repE0EEENS1_47radix_sort_onesweep_sort_config_static_selectorELNS0_4arch9wavefront6targetE1EEEvSK_,comdat
.Lfunc_end1367:
	.size	_ZN7rocprim17ROCPRIM_400000_NS6detail17trampoline_kernelINS0_14default_configENS1_35radix_sort_onesweep_config_selectorItNS0_10empty_typeEEEZZNS1_29radix_sort_onesweep_iterationIS3_Lb0EN6thrust23THRUST_200600_302600_NS6detail15normal_iteratorINS9_10device_ptrItEEEESE_PS5_SF_jNS0_19identity_decomposerENS1_16block_id_wrapperIjLb0EEEEE10hipError_tT1_PNSt15iterator_traitsISK_E10value_typeET2_T3_PNSL_ISQ_E10value_typeET4_T5_PSV_SW_PNS1_23onesweep_lookback_stateEbbT6_jjT7_P12ihipStream_tbENKUlT_T0_SK_SP_E_clISE_SE_SF_SF_EEDaS13_S14_SK_SP_EUlS13_E_NS1_11comp_targetILNS1_3genE5ELNS1_11target_archE942ELNS1_3gpuE9ELNS1_3repE0EEENS1_47radix_sort_onesweep_sort_config_static_selectorELNS0_4arch9wavefront6targetE1EEEvSK_, .Lfunc_end1367-_ZN7rocprim17ROCPRIM_400000_NS6detail17trampoline_kernelINS0_14default_configENS1_35radix_sort_onesweep_config_selectorItNS0_10empty_typeEEEZZNS1_29radix_sort_onesweep_iterationIS3_Lb0EN6thrust23THRUST_200600_302600_NS6detail15normal_iteratorINS9_10device_ptrItEEEESE_PS5_SF_jNS0_19identity_decomposerENS1_16block_id_wrapperIjLb0EEEEE10hipError_tT1_PNSt15iterator_traitsISK_E10value_typeET2_T3_PNSL_ISQ_E10value_typeET4_T5_PSV_SW_PNS1_23onesweep_lookback_stateEbbT6_jjT7_P12ihipStream_tbENKUlT_T0_SK_SP_E_clISE_SE_SF_SF_EEDaS13_S14_SK_SP_EUlS13_E_NS1_11comp_targetILNS1_3genE5ELNS1_11target_archE942ELNS1_3gpuE9ELNS1_3repE0EEENS1_47radix_sort_onesweep_sort_config_static_selectorELNS0_4arch9wavefront6targetE1EEEvSK_
                                        ; -- End function
	.section	.AMDGPU.csdata,"",@progbits
; Kernel info:
; codeLenInByte = 15328
; NumSgprs: 38
; NumVgprs: 62
; NumAgprs: 0
; TotalNumVgprs: 62
; ScratchSize: 0
; MemoryBound: 0
; FloatMode: 240
; IeeeMode: 1
; LDSByteSize: 25608 bytes/workgroup (compile time only)
; SGPRBlocks: 4
; VGPRBlocks: 7
; NumSGPRsForWavesPerEU: 38
; NumVGPRsForWavesPerEU: 62
; AccumOffset: 64
; Occupancy: 8
; WaveLimiterHint : 1
; COMPUTE_PGM_RSRC2:SCRATCH_EN: 0
; COMPUTE_PGM_RSRC2:USER_SGPR: 2
; COMPUTE_PGM_RSRC2:TRAP_HANDLER: 0
; COMPUTE_PGM_RSRC2:TGID_X_EN: 1
; COMPUTE_PGM_RSRC2:TGID_Y_EN: 0
; COMPUTE_PGM_RSRC2:TGID_Z_EN: 0
; COMPUTE_PGM_RSRC2:TIDIG_COMP_CNT: 2
; COMPUTE_PGM_RSRC3_GFX90A:ACCUM_OFFSET: 15
; COMPUTE_PGM_RSRC3_GFX90A:TG_SPLIT: 0
	.section	.text._ZN7rocprim17ROCPRIM_400000_NS6detail17trampoline_kernelINS0_14default_configENS1_35radix_sort_onesweep_config_selectorItNS0_10empty_typeEEEZZNS1_29radix_sort_onesweep_iterationIS3_Lb0EN6thrust23THRUST_200600_302600_NS6detail15normal_iteratorINS9_10device_ptrItEEEESE_PS5_SF_jNS0_19identity_decomposerENS1_16block_id_wrapperIjLb0EEEEE10hipError_tT1_PNSt15iterator_traitsISK_E10value_typeET2_T3_PNSL_ISQ_E10value_typeET4_T5_PSV_SW_PNS1_23onesweep_lookback_stateEbbT6_jjT7_P12ihipStream_tbENKUlT_T0_SK_SP_E_clISE_SE_SF_SF_EEDaS13_S14_SK_SP_EUlS13_E_NS1_11comp_targetILNS1_3genE2ELNS1_11target_archE906ELNS1_3gpuE6ELNS1_3repE0EEENS1_47radix_sort_onesweep_sort_config_static_selectorELNS0_4arch9wavefront6targetE1EEEvSK_,"axG",@progbits,_ZN7rocprim17ROCPRIM_400000_NS6detail17trampoline_kernelINS0_14default_configENS1_35radix_sort_onesweep_config_selectorItNS0_10empty_typeEEEZZNS1_29radix_sort_onesweep_iterationIS3_Lb0EN6thrust23THRUST_200600_302600_NS6detail15normal_iteratorINS9_10device_ptrItEEEESE_PS5_SF_jNS0_19identity_decomposerENS1_16block_id_wrapperIjLb0EEEEE10hipError_tT1_PNSt15iterator_traitsISK_E10value_typeET2_T3_PNSL_ISQ_E10value_typeET4_T5_PSV_SW_PNS1_23onesweep_lookback_stateEbbT6_jjT7_P12ihipStream_tbENKUlT_T0_SK_SP_E_clISE_SE_SF_SF_EEDaS13_S14_SK_SP_EUlS13_E_NS1_11comp_targetILNS1_3genE2ELNS1_11target_archE906ELNS1_3gpuE6ELNS1_3repE0EEENS1_47radix_sort_onesweep_sort_config_static_selectorELNS0_4arch9wavefront6targetE1EEEvSK_,comdat
	.protected	_ZN7rocprim17ROCPRIM_400000_NS6detail17trampoline_kernelINS0_14default_configENS1_35radix_sort_onesweep_config_selectorItNS0_10empty_typeEEEZZNS1_29radix_sort_onesweep_iterationIS3_Lb0EN6thrust23THRUST_200600_302600_NS6detail15normal_iteratorINS9_10device_ptrItEEEESE_PS5_SF_jNS0_19identity_decomposerENS1_16block_id_wrapperIjLb0EEEEE10hipError_tT1_PNSt15iterator_traitsISK_E10value_typeET2_T3_PNSL_ISQ_E10value_typeET4_T5_PSV_SW_PNS1_23onesweep_lookback_stateEbbT6_jjT7_P12ihipStream_tbENKUlT_T0_SK_SP_E_clISE_SE_SF_SF_EEDaS13_S14_SK_SP_EUlS13_E_NS1_11comp_targetILNS1_3genE2ELNS1_11target_archE906ELNS1_3gpuE6ELNS1_3repE0EEENS1_47radix_sort_onesweep_sort_config_static_selectorELNS0_4arch9wavefront6targetE1EEEvSK_ ; -- Begin function _ZN7rocprim17ROCPRIM_400000_NS6detail17trampoline_kernelINS0_14default_configENS1_35radix_sort_onesweep_config_selectorItNS0_10empty_typeEEEZZNS1_29radix_sort_onesweep_iterationIS3_Lb0EN6thrust23THRUST_200600_302600_NS6detail15normal_iteratorINS9_10device_ptrItEEEESE_PS5_SF_jNS0_19identity_decomposerENS1_16block_id_wrapperIjLb0EEEEE10hipError_tT1_PNSt15iterator_traitsISK_E10value_typeET2_T3_PNSL_ISQ_E10value_typeET4_T5_PSV_SW_PNS1_23onesweep_lookback_stateEbbT6_jjT7_P12ihipStream_tbENKUlT_T0_SK_SP_E_clISE_SE_SF_SF_EEDaS13_S14_SK_SP_EUlS13_E_NS1_11comp_targetILNS1_3genE2ELNS1_11target_archE906ELNS1_3gpuE6ELNS1_3repE0EEENS1_47radix_sort_onesweep_sort_config_static_selectorELNS0_4arch9wavefront6targetE1EEEvSK_
	.globl	_ZN7rocprim17ROCPRIM_400000_NS6detail17trampoline_kernelINS0_14default_configENS1_35radix_sort_onesweep_config_selectorItNS0_10empty_typeEEEZZNS1_29radix_sort_onesweep_iterationIS3_Lb0EN6thrust23THRUST_200600_302600_NS6detail15normal_iteratorINS9_10device_ptrItEEEESE_PS5_SF_jNS0_19identity_decomposerENS1_16block_id_wrapperIjLb0EEEEE10hipError_tT1_PNSt15iterator_traitsISK_E10value_typeET2_T3_PNSL_ISQ_E10value_typeET4_T5_PSV_SW_PNS1_23onesweep_lookback_stateEbbT6_jjT7_P12ihipStream_tbENKUlT_T0_SK_SP_E_clISE_SE_SF_SF_EEDaS13_S14_SK_SP_EUlS13_E_NS1_11comp_targetILNS1_3genE2ELNS1_11target_archE906ELNS1_3gpuE6ELNS1_3repE0EEENS1_47radix_sort_onesweep_sort_config_static_selectorELNS0_4arch9wavefront6targetE1EEEvSK_
	.p2align	8
	.type	_ZN7rocprim17ROCPRIM_400000_NS6detail17trampoline_kernelINS0_14default_configENS1_35radix_sort_onesweep_config_selectorItNS0_10empty_typeEEEZZNS1_29radix_sort_onesweep_iterationIS3_Lb0EN6thrust23THRUST_200600_302600_NS6detail15normal_iteratorINS9_10device_ptrItEEEESE_PS5_SF_jNS0_19identity_decomposerENS1_16block_id_wrapperIjLb0EEEEE10hipError_tT1_PNSt15iterator_traitsISK_E10value_typeET2_T3_PNSL_ISQ_E10value_typeET4_T5_PSV_SW_PNS1_23onesweep_lookback_stateEbbT6_jjT7_P12ihipStream_tbENKUlT_T0_SK_SP_E_clISE_SE_SF_SF_EEDaS13_S14_SK_SP_EUlS13_E_NS1_11comp_targetILNS1_3genE2ELNS1_11target_archE906ELNS1_3gpuE6ELNS1_3repE0EEENS1_47radix_sort_onesweep_sort_config_static_selectorELNS0_4arch9wavefront6targetE1EEEvSK_,@function
_ZN7rocprim17ROCPRIM_400000_NS6detail17trampoline_kernelINS0_14default_configENS1_35radix_sort_onesweep_config_selectorItNS0_10empty_typeEEEZZNS1_29radix_sort_onesweep_iterationIS3_Lb0EN6thrust23THRUST_200600_302600_NS6detail15normal_iteratorINS9_10device_ptrItEEEESE_PS5_SF_jNS0_19identity_decomposerENS1_16block_id_wrapperIjLb0EEEEE10hipError_tT1_PNSt15iterator_traitsISK_E10value_typeET2_T3_PNSL_ISQ_E10value_typeET4_T5_PSV_SW_PNS1_23onesweep_lookback_stateEbbT6_jjT7_P12ihipStream_tbENKUlT_T0_SK_SP_E_clISE_SE_SF_SF_EEDaS13_S14_SK_SP_EUlS13_E_NS1_11comp_targetILNS1_3genE2ELNS1_11target_archE906ELNS1_3gpuE6ELNS1_3repE0EEENS1_47radix_sort_onesweep_sort_config_static_selectorELNS0_4arch9wavefront6targetE1EEEvSK_: ; @_ZN7rocprim17ROCPRIM_400000_NS6detail17trampoline_kernelINS0_14default_configENS1_35radix_sort_onesweep_config_selectorItNS0_10empty_typeEEEZZNS1_29radix_sort_onesweep_iterationIS3_Lb0EN6thrust23THRUST_200600_302600_NS6detail15normal_iteratorINS9_10device_ptrItEEEESE_PS5_SF_jNS0_19identity_decomposerENS1_16block_id_wrapperIjLb0EEEEE10hipError_tT1_PNSt15iterator_traitsISK_E10value_typeET2_T3_PNSL_ISQ_E10value_typeET4_T5_PSV_SW_PNS1_23onesweep_lookback_stateEbbT6_jjT7_P12ihipStream_tbENKUlT_T0_SK_SP_E_clISE_SE_SF_SF_EEDaS13_S14_SK_SP_EUlS13_E_NS1_11comp_targetILNS1_3genE2ELNS1_11target_archE906ELNS1_3gpuE6ELNS1_3repE0EEENS1_47radix_sort_onesweep_sort_config_static_selectorELNS0_4arch9wavefront6targetE1EEEvSK_
; %bb.0:
	.section	.rodata,"a",@progbits
	.p2align	6, 0x0
	.amdhsa_kernel _ZN7rocprim17ROCPRIM_400000_NS6detail17trampoline_kernelINS0_14default_configENS1_35radix_sort_onesweep_config_selectorItNS0_10empty_typeEEEZZNS1_29radix_sort_onesweep_iterationIS3_Lb0EN6thrust23THRUST_200600_302600_NS6detail15normal_iteratorINS9_10device_ptrItEEEESE_PS5_SF_jNS0_19identity_decomposerENS1_16block_id_wrapperIjLb0EEEEE10hipError_tT1_PNSt15iterator_traitsISK_E10value_typeET2_T3_PNSL_ISQ_E10value_typeET4_T5_PSV_SW_PNS1_23onesweep_lookback_stateEbbT6_jjT7_P12ihipStream_tbENKUlT_T0_SK_SP_E_clISE_SE_SF_SF_EEDaS13_S14_SK_SP_EUlS13_E_NS1_11comp_targetILNS1_3genE2ELNS1_11target_archE906ELNS1_3gpuE6ELNS1_3repE0EEENS1_47radix_sort_onesweep_sort_config_static_selectorELNS0_4arch9wavefront6targetE1EEEvSK_
		.amdhsa_group_segment_fixed_size 0
		.amdhsa_private_segment_fixed_size 0
		.amdhsa_kernarg_size 88
		.amdhsa_user_sgpr_count 2
		.amdhsa_user_sgpr_dispatch_ptr 0
		.amdhsa_user_sgpr_queue_ptr 0
		.amdhsa_user_sgpr_kernarg_segment_ptr 1
		.amdhsa_user_sgpr_dispatch_id 0
		.amdhsa_user_sgpr_kernarg_preload_length 0
		.amdhsa_user_sgpr_kernarg_preload_offset 0
		.amdhsa_user_sgpr_private_segment_size 0
		.amdhsa_uses_dynamic_stack 0
		.amdhsa_enable_private_segment 0
		.amdhsa_system_sgpr_workgroup_id_x 1
		.amdhsa_system_sgpr_workgroup_id_y 0
		.amdhsa_system_sgpr_workgroup_id_z 0
		.amdhsa_system_sgpr_workgroup_info 0
		.amdhsa_system_vgpr_workitem_id 0
		.amdhsa_next_free_vgpr 1
		.amdhsa_next_free_sgpr 0
		.amdhsa_accum_offset 4
		.amdhsa_reserve_vcc 0
		.amdhsa_float_round_mode_32 0
		.amdhsa_float_round_mode_16_64 0
		.amdhsa_float_denorm_mode_32 3
		.amdhsa_float_denorm_mode_16_64 3
		.amdhsa_dx10_clamp 1
		.amdhsa_ieee_mode 1
		.amdhsa_fp16_overflow 0
		.amdhsa_tg_split 0
		.amdhsa_exception_fp_ieee_invalid_op 0
		.amdhsa_exception_fp_denorm_src 0
		.amdhsa_exception_fp_ieee_div_zero 0
		.amdhsa_exception_fp_ieee_overflow 0
		.amdhsa_exception_fp_ieee_underflow 0
		.amdhsa_exception_fp_ieee_inexact 0
		.amdhsa_exception_int_div_zero 0
	.end_amdhsa_kernel
	.section	.text._ZN7rocprim17ROCPRIM_400000_NS6detail17trampoline_kernelINS0_14default_configENS1_35radix_sort_onesweep_config_selectorItNS0_10empty_typeEEEZZNS1_29radix_sort_onesweep_iterationIS3_Lb0EN6thrust23THRUST_200600_302600_NS6detail15normal_iteratorINS9_10device_ptrItEEEESE_PS5_SF_jNS0_19identity_decomposerENS1_16block_id_wrapperIjLb0EEEEE10hipError_tT1_PNSt15iterator_traitsISK_E10value_typeET2_T3_PNSL_ISQ_E10value_typeET4_T5_PSV_SW_PNS1_23onesweep_lookback_stateEbbT6_jjT7_P12ihipStream_tbENKUlT_T0_SK_SP_E_clISE_SE_SF_SF_EEDaS13_S14_SK_SP_EUlS13_E_NS1_11comp_targetILNS1_3genE2ELNS1_11target_archE906ELNS1_3gpuE6ELNS1_3repE0EEENS1_47radix_sort_onesweep_sort_config_static_selectorELNS0_4arch9wavefront6targetE1EEEvSK_,"axG",@progbits,_ZN7rocprim17ROCPRIM_400000_NS6detail17trampoline_kernelINS0_14default_configENS1_35radix_sort_onesweep_config_selectorItNS0_10empty_typeEEEZZNS1_29radix_sort_onesweep_iterationIS3_Lb0EN6thrust23THRUST_200600_302600_NS6detail15normal_iteratorINS9_10device_ptrItEEEESE_PS5_SF_jNS0_19identity_decomposerENS1_16block_id_wrapperIjLb0EEEEE10hipError_tT1_PNSt15iterator_traitsISK_E10value_typeET2_T3_PNSL_ISQ_E10value_typeET4_T5_PSV_SW_PNS1_23onesweep_lookback_stateEbbT6_jjT7_P12ihipStream_tbENKUlT_T0_SK_SP_E_clISE_SE_SF_SF_EEDaS13_S14_SK_SP_EUlS13_E_NS1_11comp_targetILNS1_3genE2ELNS1_11target_archE906ELNS1_3gpuE6ELNS1_3repE0EEENS1_47radix_sort_onesweep_sort_config_static_selectorELNS0_4arch9wavefront6targetE1EEEvSK_,comdat
.Lfunc_end1368:
	.size	_ZN7rocprim17ROCPRIM_400000_NS6detail17trampoline_kernelINS0_14default_configENS1_35radix_sort_onesweep_config_selectorItNS0_10empty_typeEEEZZNS1_29radix_sort_onesweep_iterationIS3_Lb0EN6thrust23THRUST_200600_302600_NS6detail15normal_iteratorINS9_10device_ptrItEEEESE_PS5_SF_jNS0_19identity_decomposerENS1_16block_id_wrapperIjLb0EEEEE10hipError_tT1_PNSt15iterator_traitsISK_E10value_typeET2_T3_PNSL_ISQ_E10value_typeET4_T5_PSV_SW_PNS1_23onesweep_lookback_stateEbbT6_jjT7_P12ihipStream_tbENKUlT_T0_SK_SP_E_clISE_SE_SF_SF_EEDaS13_S14_SK_SP_EUlS13_E_NS1_11comp_targetILNS1_3genE2ELNS1_11target_archE906ELNS1_3gpuE6ELNS1_3repE0EEENS1_47radix_sort_onesweep_sort_config_static_selectorELNS0_4arch9wavefront6targetE1EEEvSK_, .Lfunc_end1368-_ZN7rocprim17ROCPRIM_400000_NS6detail17trampoline_kernelINS0_14default_configENS1_35radix_sort_onesweep_config_selectorItNS0_10empty_typeEEEZZNS1_29radix_sort_onesweep_iterationIS3_Lb0EN6thrust23THRUST_200600_302600_NS6detail15normal_iteratorINS9_10device_ptrItEEEESE_PS5_SF_jNS0_19identity_decomposerENS1_16block_id_wrapperIjLb0EEEEE10hipError_tT1_PNSt15iterator_traitsISK_E10value_typeET2_T3_PNSL_ISQ_E10value_typeET4_T5_PSV_SW_PNS1_23onesweep_lookback_stateEbbT6_jjT7_P12ihipStream_tbENKUlT_T0_SK_SP_E_clISE_SE_SF_SF_EEDaS13_S14_SK_SP_EUlS13_E_NS1_11comp_targetILNS1_3genE2ELNS1_11target_archE906ELNS1_3gpuE6ELNS1_3repE0EEENS1_47radix_sort_onesweep_sort_config_static_selectorELNS0_4arch9wavefront6targetE1EEEvSK_
                                        ; -- End function
	.section	.AMDGPU.csdata,"",@progbits
; Kernel info:
; codeLenInByte = 0
; NumSgprs: 6
; NumVgprs: 0
; NumAgprs: 0
; TotalNumVgprs: 0
; ScratchSize: 0
; MemoryBound: 0
; FloatMode: 240
; IeeeMode: 1
; LDSByteSize: 0 bytes/workgroup (compile time only)
; SGPRBlocks: 0
; VGPRBlocks: 0
; NumSGPRsForWavesPerEU: 6
; NumVGPRsForWavesPerEU: 1
; AccumOffset: 4
; Occupancy: 8
; WaveLimiterHint : 0
; COMPUTE_PGM_RSRC2:SCRATCH_EN: 0
; COMPUTE_PGM_RSRC2:USER_SGPR: 2
; COMPUTE_PGM_RSRC2:TRAP_HANDLER: 0
; COMPUTE_PGM_RSRC2:TGID_X_EN: 1
; COMPUTE_PGM_RSRC2:TGID_Y_EN: 0
; COMPUTE_PGM_RSRC2:TGID_Z_EN: 0
; COMPUTE_PGM_RSRC2:TIDIG_COMP_CNT: 0
; COMPUTE_PGM_RSRC3_GFX90A:ACCUM_OFFSET: 0
; COMPUTE_PGM_RSRC3_GFX90A:TG_SPLIT: 0
	.section	.text._ZN7rocprim17ROCPRIM_400000_NS6detail17trampoline_kernelINS0_14default_configENS1_35radix_sort_onesweep_config_selectorItNS0_10empty_typeEEEZZNS1_29radix_sort_onesweep_iterationIS3_Lb0EN6thrust23THRUST_200600_302600_NS6detail15normal_iteratorINS9_10device_ptrItEEEESE_PS5_SF_jNS0_19identity_decomposerENS1_16block_id_wrapperIjLb0EEEEE10hipError_tT1_PNSt15iterator_traitsISK_E10value_typeET2_T3_PNSL_ISQ_E10value_typeET4_T5_PSV_SW_PNS1_23onesweep_lookback_stateEbbT6_jjT7_P12ihipStream_tbENKUlT_T0_SK_SP_E_clISE_SE_SF_SF_EEDaS13_S14_SK_SP_EUlS13_E_NS1_11comp_targetILNS1_3genE4ELNS1_11target_archE910ELNS1_3gpuE8ELNS1_3repE0EEENS1_47radix_sort_onesweep_sort_config_static_selectorELNS0_4arch9wavefront6targetE1EEEvSK_,"axG",@progbits,_ZN7rocprim17ROCPRIM_400000_NS6detail17trampoline_kernelINS0_14default_configENS1_35radix_sort_onesweep_config_selectorItNS0_10empty_typeEEEZZNS1_29radix_sort_onesweep_iterationIS3_Lb0EN6thrust23THRUST_200600_302600_NS6detail15normal_iteratorINS9_10device_ptrItEEEESE_PS5_SF_jNS0_19identity_decomposerENS1_16block_id_wrapperIjLb0EEEEE10hipError_tT1_PNSt15iterator_traitsISK_E10value_typeET2_T3_PNSL_ISQ_E10value_typeET4_T5_PSV_SW_PNS1_23onesweep_lookback_stateEbbT6_jjT7_P12ihipStream_tbENKUlT_T0_SK_SP_E_clISE_SE_SF_SF_EEDaS13_S14_SK_SP_EUlS13_E_NS1_11comp_targetILNS1_3genE4ELNS1_11target_archE910ELNS1_3gpuE8ELNS1_3repE0EEENS1_47radix_sort_onesweep_sort_config_static_selectorELNS0_4arch9wavefront6targetE1EEEvSK_,comdat
	.protected	_ZN7rocprim17ROCPRIM_400000_NS6detail17trampoline_kernelINS0_14default_configENS1_35radix_sort_onesweep_config_selectorItNS0_10empty_typeEEEZZNS1_29radix_sort_onesweep_iterationIS3_Lb0EN6thrust23THRUST_200600_302600_NS6detail15normal_iteratorINS9_10device_ptrItEEEESE_PS5_SF_jNS0_19identity_decomposerENS1_16block_id_wrapperIjLb0EEEEE10hipError_tT1_PNSt15iterator_traitsISK_E10value_typeET2_T3_PNSL_ISQ_E10value_typeET4_T5_PSV_SW_PNS1_23onesweep_lookback_stateEbbT6_jjT7_P12ihipStream_tbENKUlT_T0_SK_SP_E_clISE_SE_SF_SF_EEDaS13_S14_SK_SP_EUlS13_E_NS1_11comp_targetILNS1_3genE4ELNS1_11target_archE910ELNS1_3gpuE8ELNS1_3repE0EEENS1_47radix_sort_onesweep_sort_config_static_selectorELNS0_4arch9wavefront6targetE1EEEvSK_ ; -- Begin function _ZN7rocprim17ROCPRIM_400000_NS6detail17trampoline_kernelINS0_14default_configENS1_35radix_sort_onesweep_config_selectorItNS0_10empty_typeEEEZZNS1_29radix_sort_onesweep_iterationIS3_Lb0EN6thrust23THRUST_200600_302600_NS6detail15normal_iteratorINS9_10device_ptrItEEEESE_PS5_SF_jNS0_19identity_decomposerENS1_16block_id_wrapperIjLb0EEEEE10hipError_tT1_PNSt15iterator_traitsISK_E10value_typeET2_T3_PNSL_ISQ_E10value_typeET4_T5_PSV_SW_PNS1_23onesweep_lookback_stateEbbT6_jjT7_P12ihipStream_tbENKUlT_T0_SK_SP_E_clISE_SE_SF_SF_EEDaS13_S14_SK_SP_EUlS13_E_NS1_11comp_targetILNS1_3genE4ELNS1_11target_archE910ELNS1_3gpuE8ELNS1_3repE0EEENS1_47radix_sort_onesweep_sort_config_static_selectorELNS0_4arch9wavefront6targetE1EEEvSK_
	.globl	_ZN7rocprim17ROCPRIM_400000_NS6detail17trampoline_kernelINS0_14default_configENS1_35radix_sort_onesweep_config_selectorItNS0_10empty_typeEEEZZNS1_29radix_sort_onesweep_iterationIS3_Lb0EN6thrust23THRUST_200600_302600_NS6detail15normal_iteratorINS9_10device_ptrItEEEESE_PS5_SF_jNS0_19identity_decomposerENS1_16block_id_wrapperIjLb0EEEEE10hipError_tT1_PNSt15iterator_traitsISK_E10value_typeET2_T3_PNSL_ISQ_E10value_typeET4_T5_PSV_SW_PNS1_23onesweep_lookback_stateEbbT6_jjT7_P12ihipStream_tbENKUlT_T0_SK_SP_E_clISE_SE_SF_SF_EEDaS13_S14_SK_SP_EUlS13_E_NS1_11comp_targetILNS1_3genE4ELNS1_11target_archE910ELNS1_3gpuE8ELNS1_3repE0EEENS1_47radix_sort_onesweep_sort_config_static_selectorELNS0_4arch9wavefront6targetE1EEEvSK_
	.p2align	8
	.type	_ZN7rocprim17ROCPRIM_400000_NS6detail17trampoline_kernelINS0_14default_configENS1_35radix_sort_onesweep_config_selectorItNS0_10empty_typeEEEZZNS1_29radix_sort_onesweep_iterationIS3_Lb0EN6thrust23THRUST_200600_302600_NS6detail15normal_iteratorINS9_10device_ptrItEEEESE_PS5_SF_jNS0_19identity_decomposerENS1_16block_id_wrapperIjLb0EEEEE10hipError_tT1_PNSt15iterator_traitsISK_E10value_typeET2_T3_PNSL_ISQ_E10value_typeET4_T5_PSV_SW_PNS1_23onesweep_lookback_stateEbbT6_jjT7_P12ihipStream_tbENKUlT_T0_SK_SP_E_clISE_SE_SF_SF_EEDaS13_S14_SK_SP_EUlS13_E_NS1_11comp_targetILNS1_3genE4ELNS1_11target_archE910ELNS1_3gpuE8ELNS1_3repE0EEENS1_47radix_sort_onesweep_sort_config_static_selectorELNS0_4arch9wavefront6targetE1EEEvSK_,@function
_ZN7rocprim17ROCPRIM_400000_NS6detail17trampoline_kernelINS0_14default_configENS1_35radix_sort_onesweep_config_selectorItNS0_10empty_typeEEEZZNS1_29radix_sort_onesweep_iterationIS3_Lb0EN6thrust23THRUST_200600_302600_NS6detail15normal_iteratorINS9_10device_ptrItEEEESE_PS5_SF_jNS0_19identity_decomposerENS1_16block_id_wrapperIjLb0EEEEE10hipError_tT1_PNSt15iterator_traitsISK_E10value_typeET2_T3_PNSL_ISQ_E10value_typeET4_T5_PSV_SW_PNS1_23onesweep_lookback_stateEbbT6_jjT7_P12ihipStream_tbENKUlT_T0_SK_SP_E_clISE_SE_SF_SF_EEDaS13_S14_SK_SP_EUlS13_E_NS1_11comp_targetILNS1_3genE4ELNS1_11target_archE910ELNS1_3gpuE8ELNS1_3repE0EEENS1_47radix_sort_onesweep_sort_config_static_selectorELNS0_4arch9wavefront6targetE1EEEvSK_: ; @_ZN7rocprim17ROCPRIM_400000_NS6detail17trampoline_kernelINS0_14default_configENS1_35radix_sort_onesweep_config_selectorItNS0_10empty_typeEEEZZNS1_29radix_sort_onesweep_iterationIS3_Lb0EN6thrust23THRUST_200600_302600_NS6detail15normal_iteratorINS9_10device_ptrItEEEESE_PS5_SF_jNS0_19identity_decomposerENS1_16block_id_wrapperIjLb0EEEEE10hipError_tT1_PNSt15iterator_traitsISK_E10value_typeET2_T3_PNSL_ISQ_E10value_typeET4_T5_PSV_SW_PNS1_23onesweep_lookback_stateEbbT6_jjT7_P12ihipStream_tbENKUlT_T0_SK_SP_E_clISE_SE_SF_SF_EEDaS13_S14_SK_SP_EUlS13_E_NS1_11comp_targetILNS1_3genE4ELNS1_11target_archE910ELNS1_3gpuE8ELNS1_3repE0EEENS1_47radix_sort_onesweep_sort_config_static_selectorELNS0_4arch9wavefront6targetE1EEEvSK_
; %bb.0:
	.section	.rodata,"a",@progbits
	.p2align	6, 0x0
	.amdhsa_kernel _ZN7rocprim17ROCPRIM_400000_NS6detail17trampoline_kernelINS0_14default_configENS1_35radix_sort_onesweep_config_selectorItNS0_10empty_typeEEEZZNS1_29radix_sort_onesweep_iterationIS3_Lb0EN6thrust23THRUST_200600_302600_NS6detail15normal_iteratorINS9_10device_ptrItEEEESE_PS5_SF_jNS0_19identity_decomposerENS1_16block_id_wrapperIjLb0EEEEE10hipError_tT1_PNSt15iterator_traitsISK_E10value_typeET2_T3_PNSL_ISQ_E10value_typeET4_T5_PSV_SW_PNS1_23onesweep_lookback_stateEbbT6_jjT7_P12ihipStream_tbENKUlT_T0_SK_SP_E_clISE_SE_SF_SF_EEDaS13_S14_SK_SP_EUlS13_E_NS1_11comp_targetILNS1_3genE4ELNS1_11target_archE910ELNS1_3gpuE8ELNS1_3repE0EEENS1_47radix_sort_onesweep_sort_config_static_selectorELNS0_4arch9wavefront6targetE1EEEvSK_
		.amdhsa_group_segment_fixed_size 0
		.amdhsa_private_segment_fixed_size 0
		.amdhsa_kernarg_size 88
		.amdhsa_user_sgpr_count 2
		.amdhsa_user_sgpr_dispatch_ptr 0
		.amdhsa_user_sgpr_queue_ptr 0
		.amdhsa_user_sgpr_kernarg_segment_ptr 1
		.amdhsa_user_sgpr_dispatch_id 0
		.amdhsa_user_sgpr_kernarg_preload_length 0
		.amdhsa_user_sgpr_kernarg_preload_offset 0
		.amdhsa_user_sgpr_private_segment_size 0
		.amdhsa_uses_dynamic_stack 0
		.amdhsa_enable_private_segment 0
		.amdhsa_system_sgpr_workgroup_id_x 1
		.amdhsa_system_sgpr_workgroup_id_y 0
		.amdhsa_system_sgpr_workgroup_id_z 0
		.amdhsa_system_sgpr_workgroup_info 0
		.amdhsa_system_vgpr_workitem_id 0
		.amdhsa_next_free_vgpr 1
		.amdhsa_next_free_sgpr 0
		.amdhsa_accum_offset 4
		.amdhsa_reserve_vcc 0
		.amdhsa_float_round_mode_32 0
		.amdhsa_float_round_mode_16_64 0
		.amdhsa_float_denorm_mode_32 3
		.amdhsa_float_denorm_mode_16_64 3
		.amdhsa_dx10_clamp 1
		.amdhsa_ieee_mode 1
		.amdhsa_fp16_overflow 0
		.amdhsa_tg_split 0
		.amdhsa_exception_fp_ieee_invalid_op 0
		.amdhsa_exception_fp_denorm_src 0
		.amdhsa_exception_fp_ieee_div_zero 0
		.amdhsa_exception_fp_ieee_overflow 0
		.amdhsa_exception_fp_ieee_underflow 0
		.amdhsa_exception_fp_ieee_inexact 0
		.amdhsa_exception_int_div_zero 0
	.end_amdhsa_kernel
	.section	.text._ZN7rocprim17ROCPRIM_400000_NS6detail17trampoline_kernelINS0_14default_configENS1_35radix_sort_onesweep_config_selectorItNS0_10empty_typeEEEZZNS1_29radix_sort_onesweep_iterationIS3_Lb0EN6thrust23THRUST_200600_302600_NS6detail15normal_iteratorINS9_10device_ptrItEEEESE_PS5_SF_jNS0_19identity_decomposerENS1_16block_id_wrapperIjLb0EEEEE10hipError_tT1_PNSt15iterator_traitsISK_E10value_typeET2_T3_PNSL_ISQ_E10value_typeET4_T5_PSV_SW_PNS1_23onesweep_lookback_stateEbbT6_jjT7_P12ihipStream_tbENKUlT_T0_SK_SP_E_clISE_SE_SF_SF_EEDaS13_S14_SK_SP_EUlS13_E_NS1_11comp_targetILNS1_3genE4ELNS1_11target_archE910ELNS1_3gpuE8ELNS1_3repE0EEENS1_47radix_sort_onesweep_sort_config_static_selectorELNS0_4arch9wavefront6targetE1EEEvSK_,"axG",@progbits,_ZN7rocprim17ROCPRIM_400000_NS6detail17trampoline_kernelINS0_14default_configENS1_35radix_sort_onesweep_config_selectorItNS0_10empty_typeEEEZZNS1_29radix_sort_onesweep_iterationIS3_Lb0EN6thrust23THRUST_200600_302600_NS6detail15normal_iteratorINS9_10device_ptrItEEEESE_PS5_SF_jNS0_19identity_decomposerENS1_16block_id_wrapperIjLb0EEEEE10hipError_tT1_PNSt15iterator_traitsISK_E10value_typeET2_T3_PNSL_ISQ_E10value_typeET4_T5_PSV_SW_PNS1_23onesweep_lookback_stateEbbT6_jjT7_P12ihipStream_tbENKUlT_T0_SK_SP_E_clISE_SE_SF_SF_EEDaS13_S14_SK_SP_EUlS13_E_NS1_11comp_targetILNS1_3genE4ELNS1_11target_archE910ELNS1_3gpuE8ELNS1_3repE0EEENS1_47radix_sort_onesweep_sort_config_static_selectorELNS0_4arch9wavefront6targetE1EEEvSK_,comdat
.Lfunc_end1369:
	.size	_ZN7rocprim17ROCPRIM_400000_NS6detail17trampoline_kernelINS0_14default_configENS1_35radix_sort_onesweep_config_selectorItNS0_10empty_typeEEEZZNS1_29radix_sort_onesweep_iterationIS3_Lb0EN6thrust23THRUST_200600_302600_NS6detail15normal_iteratorINS9_10device_ptrItEEEESE_PS5_SF_jNS0_19identity_decomposerENS1_16block_id_wrapperIjLb0EEEEE10hipError_tT1_PNSt15iterator_traitsISK_E10value_typeET2_T3_PNSL_ISQ_E10value_typeET4_T5_PSV_SW_PNS1_23onesweep_lookback_stateEbbT6_jjT7_P12ihipStream_tbENKUlT_T0_SK_SP_E_clISE_SE_SF_SF_EEDaS13_S14_SK_SP_EUlS13_E_NS1_11comp_targetILNS1_3genE4ELNS1_11target_archE910ELNS1_3gpuE8ELNS1_3repE0EEENS1_47radix_sort_onesweep_sort_config_static_selectorELNS0_4arch9wavefront6targetE1EEEvSK_, .Lfunc_end1369-_ZN7rocprim17ROCPRIM_400000_NS6detail17trampoline_kernelINS0_14default_configENS1_35radix_sort_onesweep_config_selectorItNS0_10empty_typeEEEZZNS1_29radix_sort_onesweep_iterationIS3_Lb0EN6thrust23THRUST_200600_302600_NS6detail15normal_iteratorINS9_10device_ptrItEEEESE_PS5_SF_jNS0_19identity_decomposerENS1_16block_id_wrapperIjLb0EEEEE10hipError_tT1_PNSt15iterator_traitsISK_E10value_typeET2_T3_PNSL_ISQ_E10value_typeET4_T5_PSV_SW_PNS1_23onesweep_lookback_stateEbbT6_jjT7_P12ihipStream_tbENKUlT_T0_SK_SP_E_clISE_SE_SF_SF_EEDaS13_S14_SK_SP_EUlS13_E_NS1_11comp_targetILNS1_3genE4ELNS1_11target_archE910ELNS1_3gpuE8ELNS1_3repE0EEENS1_47radix_sort_onesweep_sort_config_static_selectorELNS0_4arch9wavefront6targetE1EEEvSK_
                                        ; -- End function
	.section	.AMDGPU.csdata,"",@progbits
; Kernel info:
; codeLenInByte = 0
; NumSgprs: 6
; NumVgprs: 0
; NumAgprs: 0
; TotalNumVgprs: 0
; ScratchSize: 0
; MemoryBound: 0
; FloatMode: 240
; IeeeMode: 1
; LDSByteSize: 0 bytes/workgroup (compile time only)
; SGPRBlocks: 0
; VGPRBlocks: 0
; NumSGPRsForWavesPerEU: 6
; NumVGPRsForWavesPerEU: 1
; AccumOffset: 4
; Occupancy: 8
; WaveLimiterHint : 0
; COMPUTE_PGM_RSRC2:SCRATCH_EN: 0
; COMPUTE_PGM_RSRC2:USER_SGPR: 2
; COMPUTE_PGM_RSRC2:TRAP_HANDLER: 0
; COMPUTE_PGM_RSRC2:TGID_X_EN: 1
; COMPUTE_PGM_RSRC2:TGID_Y_EN: 0
; COMPUTE_PGM_RSRC2:TGID_Z_EN: 0
; COMPUTE_PGM_RSRC2:TIDIG_COMP_CNT: 0
; COMPUTE_PGM_RSRC3_GFX90A:ACCUM_OFFSET: 0
; COMPUTE_PGM_RSRC3_GFX90A:TG_SPLIT: 0
	.section	.text._ZN7rocprim17ROCPRIM_400000_NS6detail17trampoline_kernelINS0_14default_configENS1_35radix_sort_onesweep_config_selectorItNS0_10empty_typeEEEZZNS1_29radix_sort_onesweep_iterationIS3_Lb0EN6thrust23THRUST_200600_302600_NS6detail15normal_iteratorINS9_10device_ptrItEEEESE_PS5_SF_jNS0_19identity_decomposerENS1_16block_id_wrapperIjLb0EEEEE10hipError_tT1_PNSt15iterator_traitsISK_E10value_typeET2_T3_PNSL_ISQ_E10value_typeET4_T5_PSV_SW_PNS1_23onesweep_lookback_stateEbbT6_jjT7_P12ihipStream_tbENKUlT_T0_SK_SP_E_clISE_SE_SF_SF_EEDaS13_S14_SK_SP_EUlS13_E_NS1_11comp_targetILNS1_3genE3ELNS1_11target_archE908ELNS1_3gpuE7ELNS1_3repE0EEENS1_47radix_sort_onesweep_sort_config_static_selectorELNS0_4arch9wavefront6targetE1EEEvSK_,"axG",@progbits,_ZN7rocprim17ROCPRIM_400000_NS6detail17trampoline_kernelINS0_14default_configENS1_35radix_sort_onesweep_config_selectorItNS0_10empty_typeEEEZZNS1_29radix_sort_onesweep_iterationIS3_Lb0EN6thrust23THRUST_200600_302600_NS6detail15normal_iteratorINS9_10device_ptrItEEEESE_PS5_SF_jNS0_19identity_decomposerENS1_16block_id_wrapperIjLb0EEEEE10hipError_tT1_PNSt15iterator_traitsISK_E10value_typeET2_T3_PNSL_ISQ_E10value_typeET4_T5_PSV_SW_PNS1_23onesweep_lookback_stateEbbT6_jjT7_P12ihipStream_tbENKUlT_T0_SK_SP_E_clISE_SE_SF_SF_EEDaS13_S14_SK_SP_EUlS13_E_NS1_11comp_targetILNS1_3genE3ELNS1_11target_archE908ELNS1_3gpuE7ELNS1_3repE0EEENS1_47radix_sort_onesweep_sort_config_static_selectorELNS0_4arch9wavefront6targetE1EEEvSK_,comdat
	.protected	_ZN7rocprim17ROCPRIM_400000_NS6detail17trampoline_kernelINS0_14default_configENS1_35radix_sort_onesweep_config_selectorItNS0_10empty_typeEEEZZNS1_29radix_sort_onesweep_iterationIS3_Lb0EN6thrust23THRUST_200600_302600_NS6detail15normal_iteratorINS9_10device_ptrItEEEESE_PS5_SF_jNS0_19identity_decomposerENS1_16block_id_wrapperIjLb0EEEEE10hipError_tT1_PNSt15iterator_traitsISK_E10value_typeET2_T3_PNSL_ISQ_E10value_typeET4_T5_PSV_SW_PNS1_23onesweep_lookback_stateEbbT6_jjT7_P12ihipStream_tbENKUlT_T0_SK_SP_E_clISE_SE_SF_SF_EEDaS13_S14_SK_SP_EUlS13_E_NS1_11comp_targetILNS1_3genE3ELNS1_11target_archE908ELNS1_3gpuE7ELNS1_3repE0EEENS1_47radix_sort_onesweep_sort_config_static_selectorELNS0_4arch9wavefront6targetE1EEEvSK_ ; -- Begin function _ZN7rocprim17ROCPRIM_400000_NS6detail17trampoline_kernelINS0_14default_configENS1_35radix_sort_onesweep_config_selectorItNS0_10empty_typeEEEZZNS1_29radix_sort_onesweep_iterationIS3_Lb0EN6thrust23THRUST_200600_302600_NS6detail15normal_iteratorINS9_10device_ptrItEEEESE_PS5_SF_jNS0_19identity_decomposerENS1_16block_id_wrapperIjLb0EEEEE10hipError_tT1_PNSt15iterator_traitsISK_E10value_typeET2_T3_PNSL_ISQ_E10value_typeET4_T5_PSV_SW_PNS1_23onesweep_lookback_stateEbbT6_jjT7_P12ihipStream_tbENKUlT_T0_SK_SP_E_clISE_SE_SF_SF_EEDaS13_S14_SK_SP_EUlS13_E_NS1_11comp_targetILNS1_3genE3ELNS1_11target_archE908ELNS1_3gpuE7ELNS1_3repE0EEENS1_47radix_sort_onesweep_sort_config_static_selectorELNS0_4arch9wavefront6targetE1EEEvSK_
	.globl	_ZN7rocprim17ROCPRIM_400000_NS6detail17trampoline_kernelINS0_14default_configENS1_35radix_sort_onesweep_config_selectorItNS0_10empty_typeEEEZZNS1_29radix_sort_onesweep_iterationIS3_Lb0EN6thrust23THRUST_200600_302600_NS6detail15normal_iteratorINS9_10device_ptrItEEEESE_PS5_SF_jNS0_19identity_decomposerENS1_16block_id_wrapperIjLb0EEEEE10hipError_tT1_PNSt15iterator_traitsISK_E10value_typeET2_T3_PNSL_ISQ_E10value_typeET4_T5_PSV_SW_PNS1_23onesweep_lookback_stateEbbT6_jjT7_P12ihipStream_tbENKUlT_T0_SK_SP_E_clISE_SE_SF_SF_EEDaS13_S14_SK_SP_EUlS13_E_NS1_11comp_targetILNS1_3genE3ELNS1_11target_archE908ELNS1_3gpuE7ELNS1_3repE0EEENS1_47radix_sort_onesweep_sort_config_static_selectorELNS0_4arch9wavefront6targetE1EEEvSK_
	.p2align	8
	.type	_ZN7rocprim17ROCPRIM_400000_NS6detail17trampoline_kernelINS0_14default_configENS1_35radix_sort_onesweep_config_selectorItNS0_10empty_typeEEEZZNS1_29radix_sort_onesweep_iterationIS3_Lb0EN6thrust23THRUST_200600_302600_NS6detail15normal_iteratorINS9_10device_ptrItEEEESE_PS5_SF_jNS0_19identity_decomposerENS1_16block_id_wrapperIjLb0EEEEE10hipError_tT1_PNSt15iterator_traitsISK_E10value_typeET2_T3_PNSL_ISQ_E10value_typeET4_T5_PSV_SW_PNS1_23onesweep_lookback_stateEbbT6_jjT7_P12ihipStream_tbENKUlT_T0_SK_SP_E_clISE_SE_SF_SF_EEDaS13_S14_SK_SP_EUlS13_E_NS1_11comp_targetILNS1_3genE3ELNS1_11target_archE908ELNS1_3gpuE7ELNS1_3repE0EEENS1_47radix_sort_onesweep_sort_config_static_selectorELNS0_4arch9wavefront6targetE1EEEvSK_,@function
_ZN7rocprim17ROCPRIM_400000_NS6detail17trampoline_kernelINS0_14default_configENS1_35radix_sort_onesweep_config_selectorItNS0_10empty_typeEEEZZNS1_29radix_sort_onesweep_iterationIS3_Lb0EN6thrust23THRUST_200600_302600_NS6detail15normal_iteratorINS9_10device_ptrItEEEESE_PS5_SF_jNS0_19identity_decomposerENS1_16block_id_wrapperIjLb0EEEEE10hipError_tT1_PNSt15iterator_traitsISK_E10value_typeET2_T3_PNSL_ISQ_E10value_typeET4_T5_PSV_SW_PNS1_23onesweep_lookback_stateEbbT6_jjT7_P12ihipStream_tbENKUlT_T0_SK_SP_E_clISE_SE_SF_SF_EEDaS13_S14_SK_SP_EUlS13_E_NS1_11comp_targetILNS1_3genE3ELNS1_11target_archE908ELNS1_3gpuE7ELNS1_3repE0EEENS1_47radix_sort_onesweep_sort_config_static_selectorELNS0_4arch9wavefront6targetE1EEEvSK_: ; @_ZN7rocprim17ROCPRIM_400000_NS6detail17trampoline_kernelINS0_14default_configENS1_35radix_sort_onesweep_config_selectorItNS0_10empty_typeEEEZZNS1_29radix_sort_onesweep_iterationIS3_Lb0EN6thrust23THRUST_200600_302600_NS6detail15normal_iteratorINS9_10device_ptrItEEEESE_PS5_SF_jNS0_19identity_decomposerENS1_16block_id_wrapperIjLb0EEEEE10hipError_tT1_PNSt15iterator_traitsISK_E10value_typeET2_T3_PNSL_ISQ_E10value_typeET4_T5_PSV_SW_PNS1_23onesweep_lookback_stateEbbT6_jjT7_P12ihipStream_tbENKUlT_T0_SK_SP_E_clISE_SE_SF_SF_EEDaS13_S14_SK_SP_EUlS13_E_NS1_11comp_targetILNS1_3genE3ELNS1_11target_archE908ELNS1_3gpuE7ELNS1_3repE0EEENS1_47radix_sort_onesweep_sort_config_static_selectorELNS0_4arch9wavefront6targetE1EEEvSK_
; %bb.0:
	.section	.rodata,"a",@progbits
	.p2align	6, 0x0
	.amdhsa_kernel _ZN7rocprim17ROCPRIM_400000_NS6detail17trampoline_kernelINS0_14default_configENS1_35radix_sort_onesweep_config_selectorItNS0_10empty_typeEEEZZNS1_29radix_sort_onesweep_iterationIS3_Lb0EN6thrust23THRUST_200600_302600_NS6detail15normal_iteratorINS9_10device_ptrItEEEESE_PS5_SF_jNS0_19identity_decomposerENS1_16block_id_wrapperIjLb0EEEEE10hipError_tT1_PNSt15iterator_traitsISK_E10value_typeET2_T3_PNSL_ISQ_E10value_typeET4_T5_PSV_SW_PNS1_23onesweep_lookback_stateEbbT6_jjT7_P12ihipStream_tbENKUlT_T0_SK_SP_E_clISE_SE_SF_SF_EEDaS13_S14_SK_SP_EUlS13_E_NS1_11comp_targetILNS1_3genE3ELNS1_11target_archE908ELNS1_3gpuE7ELNS1_3repE0EEENS1_47radix_sort_onesweep_sort_config_static_selectorELNS0_4arch9wavefront6targetE1EEEvSK_
		.amdhsa_group_segment_fixed_size 0
		.amdhsa_private_segment_fixed_size 0
		.amdhsa_kernarg_size 88
		.amdhsa_user_sgpr_count 2
		.amdhsa_user_sgpr_dispatch_ptr 0
		.amdhsa_user_sgpr_queue_ptr 0
		.amdhsa_user_sgpr_kernarg_segment_ptr 1
		.amdhsa_user_sgpr_dispatch_id 0
		.amdhsa_user_sgpr_kernarg_preload_length 0
		.amdhsa_user_sgpr_kernarg_preload_offset 0
		.amdhsa_user_sgpr_private_segment_size 0
		.amdhsa_uses_dynamic_stack 0
		.amdhsa_enable_private_segment 0
		.amdhsa_system_sgpr_workgroup_id_x 1
		.amdhsa_system_sgpr_workgroup_id_y 0
		.amdhsa_system_sgpr_workgroup_id_z 0
		.amdhsa_system_sgpr_workgroup_info 0
		.amdhsa_system_vgpr_workitem_id 0
		.amdhsa_next_free_vgpr 1
		.amdhsa_next_free_sgpr 0
		.amdhsa_accum_offset 4
		.amdhsa_reserve_vcc 0
		.amdhsa_float_round_mode_32 0
		.amdhsa_float_round_mode_16_64 0
		.amdhsa_float_denorm_mode_32 3
		.amdhsa_float_denorm_mode_16_64 3
		.amdhsa_dx10_clamp 1
		.amdhsa_ieee_mode 1
		.amdhsa_fp16_overflow 0
		.amdhsa_tg_split 0
		.amdhsa_exception_fp_ieee_invalid_op 0
		.amdhsa_exception_fp_denorm_src 0
		.amdhsa_exception_fp_ieee_div_zero 0
		.amdhsa_exception_fp_ieee_overflow 0
		.amdhsa_exception_fp_ieee_underflow 0
		.amdhsa_exception_fp_ieee_inexact 0
		.amdhsa_exception_int_div_zero 0
	.end_amdhsa_kernel
	.section	.text._ZN7rocprim17ROCPRIM_400000_NS6detail17trampoline_kernelINS0_14default_configENS1_35radix_sort_onesweep_config_selectorItNS0_10empty_typeEEEZZNS1_29radix_sort_onesweep_iterationIS3_Lb0EN6thrust23THRUST_200600_302600_NS6detail15normal_iteratorINS9_10device_ptrItEEEESE_PS5_SF_jNS0_19identity_decomposerENS1_16block_id_wrapperIjLb0EEEEE10hipError_tT1_PNSt15iterator_traitsISK_E10value_typeET2_T3_PNSL_ISQ_E10value_typeET4_T5_PSV_SW_PNS1_23onesweep_lookback_stateEbbT6_jjT7_P12ihipStream_tbENKUlT_T0_SK_SP_E_clISE_SE_SF_SF_EEDaS13_S14_SK_SP_EUlS13_E_NS1_11comp_targetILNS1_3genE3ELNS1_11target_archE908ELNS1_3gpuE7ELNS1_3repE0EEENS1_47radix_sort_onesweep_sort_config_static_selectorELNS0_4arch9wavefront6targetE1EEEvSK_,"axG",@progbits,_ZN7rocprim17ROCPRIM_400000_NS6detail17trampoline_kernelINS0_14default_configENS1_35radix_sort_onesweep_config_selectorItNS0_10empty_typeEEEZZNS1_29radix_sort_onesweep_iterationIS3_Lb0EN6thrust23THRUST_200600_302600_NS6detail15normal_iteratorINS9_10device_ptrItEEEESE_PS5_SF_jNS0_19identity_decomposerENS1_16block_id_wrapperIjLb0EEEEE10hipError_tT1_PNSt15iterator_traitsISK_E10value_typeET2_T3_PNSL_ISQ_E10value_typeET4_T5_PSV_SW_PNS1_23onesweep_lookback_stateEbbT6_jjT7_P12ihipStream_tbENKUlT_T0_SK_SP_E_clISE_SE_SF_SF_EEDaS13_S14_SK_SP_EUlS13_E_NS1_11comp_targetILNS1_3genE3ELNS1_11target_archE908ELNS1_3gpuE7ELNS1_3repE0EEENS1_47radix_sort_onesweep_sort_config_static_selectorELNS0_4arch9wavefront6targetE1EEEvSK_,comdat
.Lfunc_end1370:
	.size	_ZN7rocprim17ROCPRIM_400000_NS6detail17trampoline_kernelINS0_14default_configENS1_35radix_sort_onesweep_config_selectorItNS0_10empty_typeEEEZZNS1_29radix_sort_onesweep_iterationIS3_Lb0EN6thrust23THRUST_200600_302600_NS6detail15normal_iteratorINS9_10device_ptrItEEEESE_PS5_SF_jNS0_19identity_decomposerENS1_16block_id_wrapperIjLb0EEEEE10hipError_tT1_PNSt15iterator_traitsISK_E10value_typeET2_T3_PNSL_ISQ_E10value_typeET4_T5_PSV_SW_PNS1_23onesweep_lookback_stateEbbT6_jjT7_P12ihipStream_tbENKUlT_T0_SK_SP_E_clISE_SE_SF_SF_EEDaS13_S14_SK_SP_EUlS13_E_NS1_11comp_targetILNS1_3genE3ELNS1_11target_archE908ELNS1_3gpuE7ELNS1_3repE0EEENS1_47radix_sort_onesweep_sort_config_static_selectorELNS0_4arch9wavefront6targetE1EEEvSK_, .Lfunc_end1370-_ZN7rocprim17ROCPRIM_400000_NS6detail17trampoline_kernelINS0_14default_configENS1_35radix_sort_onesweep_config_selectorItNS0_10empty_typeEEEZZNS1_29radix_sort_onesweep_iterationIS3_Lb0EN6thrust23THRUST_200600_302600_NS6detail15normal_iteratorINS9_10device_ptrItEEEESE_PS5_SF_jNS0_19identity_decomposerENS1_16block_id_wrapperIjLb0EEEEE10hipError_tT1_PNSt15iterator_traitsISK_E10value_typeET2_T3_PNSL_ISQ_E10value_typeET4_T5_PSV_SW_PNS1_23onesweep_lookback_stateEbbT6_jjT7_P12ihipStream_tbENKUlT_T0_SK_SP_E_clISE_SE_SF_SF_EEDaS13_S14_SK_SP_EUlS13_E_NS1_11comp_targetILNS1_3genE3ELNS1_11target_archE908ELNS1_3gpuE7ELNS1_3repE0EEENS1_47radix_sort_onesweep_sort_config_static_selectorELNS0_4arch9wavefront6targetE1EEEvSK_
                                        ; -- End function
	.section	.AMDGPU.csdata,"",@progbits
; Kernel info:
; codeLenInByte = 0
; NumSgprs: 6
; NumVgprs: 0
; NumAgprs: 0
; TotalNumVgprs: 0
; ScratchSize: 0
; MemoryBound: 0
; FloatMode: 240
; IeeeMode: 1
; LDSByteSize: 0 bytes/workgroup (compile time only)
; SGPRBlocks: 0
; VGPRBlocks: 0
; NumSGPRsForWavesPerEU: 6
; NumVGPRsForWavesPerEU: 1
; AccumOffset: 4
; Occupancy: 8
; WaveLimiterHint : 0
; COMPUTE_PGM_RSRC2:SCRATCH_EN: 0
; COMPUTE_PGM_RSRC2:USER_SGPR: 2
; COMPUTE_PGM_RSRC2:TRAP_HANDLER: 0
; COMPUTE_PGM_RSRC2:TGID_X_EN: 1
; COMPUTE_PGM_RSRC2:TGID_Y_EN: 0
; COMPUTE_PGM_RSRC2:TGID_Z_EN: 0
; COMPUTE_PGM_RSRC2:TIDIG_COMP_CNT: 0
; COMPUTE_PGM_RSRC3_GFX90A:ACCUM_OFFSET: 0
; COMPUTE_PGM_RSRC3_GFX90A:TG_SPLIT: 0
	.section	.text._ZN7rocprim17ROCPRIM_400000_NS6detail17trampoline_kernelINS0_14default_configENS1_35radix_sort_onesweep_config_selectorItNS0_10empty_typeEEEZZNS1_29radix_sort_onesweep_iterationIS3_Lb0EN6thrust23THRUST_200600_302600_NS6detail15normal_iteratorINS9_10device_ptrItEEEESE_PS5_SF_jNS0_19identity_decomposerENS1_16block_id_wrapperIjLb0EEEEE10hipError_tT1_PNSt15iterator_traitsISK_E10value_typeET2_T3_PNSL_ISQ_E10value_typeET4_T5_PSV_SW_PNS1_23onesweep_lookback_stateEbbT6_jjT7_P12ihipStream_tbENKUlT_T0_SK_SP_E_clISE_SE_SF_SF_EEDaS13_S14_SK_SP_EUlS13_E_NS1_11comp_targetILNS1_3genE10ELNS1_11target_archE1201ELNS1_3gpuE5ELNS1_3repE0EEENS1_47radix_sort_onesweep_sort_config_static_selectorELNS0_4arch9wavefront6targetE1EEEvSK_,"axG",@progbits,_ZN7rocprim17ROCPRIM_400000_NS6detail17trampoline_kernelINS0_14default_configENS1_35radix_sort_onesweep_config_selectorItNS0_10empty_typeEEEZZNS1_29radix_sort_onesweep_iterationIS3_Lb0EN6thrust23THRUST_200600_302600_NS6detail15normal_iteratorINS9_10device_ptrItEEEESE_PS5_SF_jNS0_19identity_decomposerENS1_16block_id_wrapperIjLb0EEEEE10hipError_tT1_PNSt15iterator_traitsISK_E10value_typeET2_T3_PNSL_ISQ_E10value_typeET4_T5_PSV_SW_PNS1_23onesweep_lookback_stateEbbT6_jjT7_P12ihipStream_tbENKUlT_T0_SK_SP_E_clISE_SE_SF_SF_EEDaS13_S14_SK_SP_EUlS13_E_NS1_11comp_targetILNS1_3genE10ELNS1_11target_archE1201ELNS1_3gpuE5ELNS1_3repE0EEENS1_47radix_sort_onesweep_sort_config_static_selectorELNS0_4arch9wavefront6targetE1EEEvSK_,comdat
	.protected	_ZN7rocprim17ROCPRIM_400000_NS6detail17trampoline_kernelINS0_14default_configENS1_35radix_sort_onesweep_config_selectorItNS0_10empty_typeEEEZZNS1_29radix_sort_onesweep_iterationIS3_Lb0EN6thrust23THRUST_200600_302600_NS6detail15normal_iteratorINS9_10device_ptrItEEEESE_PS5_SF_jNS0_19identity_decomposerENS1_16block_id_wrapperIjLb0EEEEE10hipError_tT1_PNSt15iterator_traitsISK_E10value_typeET2_T3_PNSL_ISQ_E10value_typeET4_T5_PSV_SW_PNS1_23onesweep_lookback_stateEbbT6_jjT7_P12ihipStream_tbENKUlT_T0_SK_SP_E_clISE_SE_SF_SF_EEDaS13_S14_SK_SP_EUlS13_E_NS1_11comp_targetILNS1_3genE10ELNS1_11target_archE1201ELNS1_3gpuE5ELNS1_3repE0EEENS1_47radix_sort_onesweep_sort_config_static_selectorELNS0_4arch9wavefront6targetE1EEEvSK_ ; -- Begin function _ZN7rocprim17ROCPRIM_400000_NS6detail17trampoline_kernelINS0_14default_configENS1_35radix_sort_onesweep_config_selectorItNS0_10empty_typeEEEZZNS1_29radix_sort_onesweep_iterationIS3_Lb0EN6thrust23THRUST_200600_302600_NS6detail15normal_iteratorINS9_10device_ptrItEEEESE_PS5_SF_jNS0_19identity_decomposerENS1_16block_id_wrapperIjLb0EEEEE10hipError_tT1_PNSt15iterator_traitsISK_E10value_typeET2_T3_PNSL_ISQ_E10value_typeET4_T5_PSV_SW_PNS1_23onesweep_lookback_stateEbbT6_jjT7_P12ihipStream_tbENKUlT_T0_SK_SP_E_clISE_SE_SF_SF_EEDaS13_S14_SK_SP_EUlS13_E_NS1_11comp_targetILNS1_3genE10ELNS1_11target_archE1201ELNS1_3gpuE5ELNS1_3repE0EEENS1_47radix_sort_onesweep_sort_config_static_selectorELNS0_4arch9wavefront6targetE1EEEvSK_
	.globl	_ZN7rocprim17ROCPRIM_400000_NS6detail17trampoline_kernelINS0_14default_configENS1_35radix_sort_onesweep_config_selectorItNS0_10empty_typeEEEZZNS1_29radix_sort_onesweep_iterationIS3_Lb0EN6thrust23THRUST_200600_302600_NS6detail15normal_iteratorINS9_10device_ptrItEEEESE_PS5_SF_jNS0_19identity_decomposerENS1_16block_id_wrapperIjLb0EEEEE10hipError_tT1_PNSt15iterator_traitsISK_E10value_typeET2_T3_PNSL_ISQ_E10value_typeET4_T5_PSV_SW_PNS1_23onesweep_lookback_stateEbbT6_jjT7_P12ihipStream_tbENKUlT_T0_SK_SP_E_clISE_SE_SF_SF_EEDaS13_S14_SK_SP_EUlS13_E_NS1_11comp_targetILNS1_3genE10ELNS1_11target_archE1201ELNS1_3gpuE5ELNS1_3repE0EEENS1_47radix_sort_onesweep_sort_config_static_selectorELNS0_4arch9wavefront6targetE1EEEvSK_
	.p2align	8
	.type	_ZN7rocprim17ROCPRIM_400000_NS6detail17trampoline_kernelINS0_14default_configENS1_35radix_sort_onesweep_config_selectorItNS0_10empty_typeEEEZZNS1_29radix_sort_onesweep_iterationIS3_Lb0EN6thrust23THRUST_200600_302600_NS6detail15normal_iteratorINS9_10device_ptrItEEEESE_PS5_SF_jNS0_19identity_decomposerENS1_16block_id_wrapperIjLb0EEEEE10hipError_tT1_PNSt15iterator_traitsISK_E10value_typeET2_T3_PNSL_ISQ_E10value_typeET4_T5_PSV_SW_PNS1_23onesweep_lookback_stateEbbT6_jjT7_P12ihipStream_tbENKUlT_T0_SK_SP_E_clISE_SE_SF_SF_EEDaS13_S14_SK_SP_EUlS13_E_NS1_11comp_targetILNS1_3genE10ELNS1_11target_archE1201ELNS1_3gpuE5ELNS1_3repE0EEENS1_47radix_sort_onesweep_sort_config_static_selectorELNS0_4arch9wavefront6targetE1EEEvSK_,@function
_ZN7rocprim17ROCPRIM_400000_NS6detail17trampoline_kernelINS0_14default_configENS1_35radix_sort_onesweep_config_selectorItNS0_10empty_typeEEEZZNS1_29radix_sort_onesweep_iterationIS3_Lb0EN6thrust23THRUST_200600_302600_NS6detail15normal_iteratorINS9_10device_ptrItEEEESE_PS5_SF_jNS0_19identity_decomposerENS1_16block_id_wrapperIjLb0EEEEE10hipError_tT1_PNSt15iterator_traitsISK_E10value_typeET2_T3_PNSL_ISQ_E10value_typeET4_T5_PSV_SW_PNS1_23onesweep_lookback_stateEbbT6_jjT7_P12ihipStream_tbENKUlT_T0_SK_SP_E_clISE_SE_SF_SF_EEDaS13_S14_SK_SP_EUlS13_E_NS1_11comp_targetILNS1_3genE10ELNS1_11target_archE1201ELNS1_3gpuE5ELNS1_3repE0EEENS1_47radix_sort_onesweep_sort_config_static_selectorELNS0_4arch9wavefront6targetE1EEEvSK_: ; @_ZN7rocprim17ROCPRIM_400000_NS6detail17trampoline_kernelINS0_14default_configENS1_35radix_sort_onesweep_config_selectorItNS0_10empty_typeEEEZZNS1_29radix_sort_onesweep_iterationIS3_Lb0EN6thrust23THRUST_200600_302600_NS6detail15normal_iteratorINS9_10device_ptrItEEEESE_PS5_SF_jNS0_19identity_decomposerENS1_16block_id_wrapperIjLb0EEEEE10hipError_tT1_PNSt15iterator_traitsISK_E10value_typeET2_T3_PNSL_ISQ_E10value_typeET4_T5_PSV_SW_PNS1_23onesweep_lookback_stateEbbT6_jjT7_P12ihipStream_tbENKUlT_T0_SK_SP_E_clISE_SE_SF_SF_EEDaS13_S14_SK_SP_EUlS13_E_NS1_11comp_targetILNS1_3genE10ELNS1_11target_archE1201ELNS1_3gpuE5ELNS1_3repE0EEENS1_47radix_sort_onesweep_sort_config_static_selectorELNS0_4arch9wavefront6targetE1EEEvSK_
; %bb.0:
	.section	.rodata,"a",@progbits
	.p2align	6, 0x0
	.amdhsa_kernel _ZN7rocprim17ROCPRIM_400000_NS6detail17trampoline_kernelINS0_14default_configENS1_35radix_sort_onesweep_config_selectorItNS0_10empty_typeEEEZZNS1_29radix_sort_onesweep_iterationIS3_Lb0EN6thrust23THRUST_200600_302600_NS6detail15normal_iteratorINS9_10device_ptrItEEEESE_PS5_SF_jNS0_19identity_decomposerENS1_16block_id_wrapperIjLb0EEEEE10hipError_tT1_PNSt15iterator_traitsISK_E10value_typeET2_T3_PNSL_ISQ_E10value_typeET4_T5_PSV_SW_PNS1_23onesweep_lookback_stateEbbT6_jjT7_P12ihipStream_tbENKUlT_T0_SK_SP_E_clISE_SE_SF_SF_EEDaS13_S14_SK_SP_EUlS13_E_NS1_11comp_targetILNS1_3genE10ELNS1_11target_archE1201ELNS1_3gpuE5ELNS1_3repE0EEENS1_47radix_sort_onesweep_sort_config_static_selectorELNS0_4arch9wavefront6targetE1EEEvSK_
		.amdhsa_group_segment_fixed_size 0
		.amdhsa_private_segment_fixed_size 0
		.amdhsa_kernarg_size 88
		.amdhsa_user_sgpr_count 2
		.amdhsa_user_sgpr_dispatch_ptr 0
		.amdhsa_user_sgpr_queue_ptr 0
		.amdhsa_user_sgpr_kernarg_segment_ptr 1
		.amdhsa_user_sgpr_dispatch_id 0
		.amdhsa_user_sgpr_kernarg_preload_length 0
		.amdhsa_user_sgpr_kernarg_preload_offset 0
		.amdhsa_user_sgpr_private_segment_size 0
		.amdhsa_uses_dynamic_stack 0
		.amdhsa_enable_private_segment 0
		.amdhsa_system_sgpr_workgroup_id_x 1
		.amdhsa_system_sgpr_workgroup_id_y 0
		.amdhsa_system_sgpr_workgroup_id_z 0
		.amdhsa_system_sgpr_workgroup_info 0
		.amdhsa_system_vgpr_workitem_id 0
		.amdhsa_next_free_vgpr 1
		.amdhsa_next_free_sgpr 0
		.amdhsa_accum_offset 4
		.amdhsa_reserve_vcc 0
		.amdhsa_float_round_mode_32 0
		.amdhsa_float_round_mode_16_64 0
		.amdhsa_float_denorm_mode_32 3
		.amdhsa_float_denorm_mode_16_64 3
		.amdhsa_dx10_clamp 1
		.amdhsa_ieee_mode 1
		.amdhsa_fp16_overflow 0
		.amdhsa_tg_split 0
		.amdhsa_exception_fp_ieee_invalid_op 0
		.amdhsa_exception_fp_denorm_src 0
		.amdhsa_exception_fp_ieee_div_zero 0
		.amdhsa_exception_fp_ieee_overflow 0
		.amdhsa_exception_fp_ieee_underflow 0
		.amdhsa_exception_fp_ieee_inexact 0
		.amdhsa_exception_int_div_zero 0
	.end_amdhsa_kernel
	.section	.text._ZN7rocprim17ROCPRIM_400000_NS6detail17trampoline_kernelINS0_14default_configENS1_35radix_sort_onesweep_config_selectorItNS0_10empty_typeEEEZZNS1_29radix_sort_onesweep_iterationIS3_Lb0EN6thrust23THRUST_200600_302600_NS6detail15normal_iteratorINS9_10device_ptrItEEEESE_PS5_SF_jNS0_19identity_decomposerENS1_16block_id_wrapperIjLb0EEEEE10hipError_tT1_PNSt15iterator_traitsISK_E10value_typeET2_T3_PNSL_ISQ_E10value_typeET4_T5_PSV_SW_PNS1_23onesweep_lookback_stateEbbT6_jjT7_P12ihipStream_tbENKUlT_T0_SK_SP_E_clISE_SE_SF_SF_EEDaS13_S14_SK_SP_EUlS13_E_NS1_11comp_targetILNS1_3genE10ELNS1_11target_archE1201ELNS1_3gpuE5ELNS1_3repE0EEENS1_47radix_sort_onesweep_sort_config_static_selectorELNS0_4arch9wavefront6targetE1EEEvSK_,"axG",@progbits,_ZN7rocprim17ROCPRIM_400000_NS6detail17trampoline_kernelINS0_14default_configENS1_35radix_sort_onesweep_config_selectorItNS0_10empty_typeEEEZZNS1_29radix_sort_onesweep_iterationIS3_Lb0EN6thrust23THRUST_200600_302600_NS6detail15normal_iteratorINS9_10device_ptrItEEEESE_PS5_SF_jNS0_19identity_decomposerENS1_16block_id_wrapperIjLb0EEEEE10hipError_tT1_PNSt15iterator_traitsISK_E10value_typeET2_T3_PNSL_ISQ_E10value_typeET4_T5_PSV_SW_PNS1_23onesweep_lookback_stateEbbT6_jjT7_P12ihipStream_tbENKUlT_T0_SK_SP_E_clISE_SE_SF_SF_EEDaS13_S14_SK_SP_EUlS13_E_NS1_11comp_targetILNS1_3genE10ELNS1_11target_archE1201ELNS1_3gpuE5ELNS1_3repE0EEENS1_47radix_sort_onesweep_sort_config_static_selectorELNS0_4arch9wavefront6targetE1EEEvSK_,comdat
.Lfunc_end1371:
	.size	_ZN7rocprim17ROCPRIM_400000_NS6detail17trampoline_kernelINS0_14default_configENS1_35radix_sort_onesweep_config_selectorItNS0_10empty_typeEEEZZNS1_29radix_sort_onesweep_iterationIS3_Lb0EN6thrust23THRUST_200600_302600_NS6detail15normal_iteratorINS9_10device_ptrItEEEESE_PS5_SF_jNS0_19identity_decomposerENS1_16block_id_wrapperIjLb0EEEEE10hipError_tT1_PNSt15iterator_traitsISK_E10value_typeET2_T3_PNSL_ISQ_E10value_typeET4_T5_PSV_SW_PNS1_23onesweep_lookback_stateEbbT6_jjT7_P12ihipStream_tbENKUlT_T0_SK_SP_E_clISE_SE_SF_SF_EEDaS13_S14_SK_SP_EUlS13_E_NS1_11comp_targetILNS1_3genE10ELNS1_11target_archE1201ELNS1_3gpuE5ELNS1_3repE0EEENS1_47radix_sort_onesweep_sort_config_static_selectorELNS0_4arch9wavefront6targetE1EEEvSK_, .Lfunc_end1371-_ZN7rocprim17ROCPRIM_400000_NS6detail17trampoline_kernelINS0_14default_configENS1_35radix_sort_onesweep_config_selectorItNS0_10empty_typeEEEZZNS1_29radix_sort_onesweep_iterationIS3_Lb0EN6thrust23THRUST_200600_302600_NS6detail15normal_iteratorINS9_10device_ptrItEEEESE_PS5_SF_jNS0_19identity_decomposerENS1_16block_id_wrapperIjLb0EEEEE10hipError_tT1_PNSt15iterator_traitsISK_E10value_typeET2_T3_PNSL_ISQ_E10value_typeET4_T5_PSV_SW_PNS1_23onesweep_lookback_stateEbbT6_jjT7_P12ihipStream_tbENKUlT_T0_SK_SP_E_clISE_SE_SF_SF_EEDaS13_S14_SK_SP_EUlS13_E_NS1_11comp_targetILNS1_3genE10ELNS1_11target_archE1201ELNS1_3gpuE5ELNS1_3repE0EEENS1_47radix_sort_onesweep_sort_config_static_selectorELNS0_4arch9wavefront6targetE1EEEvSK_
                                        ; -- End function
	.section	.AMDGPU.csdata,"",@progbits
; Kernel info:
; codeLenInByte = 0
; NumSgprs: 6
; NumVgprs: 0
; NumAgprs: 0
; TotalNumVgprs: 0
; ScratchSize: 0
; MemoryBound: 0
; FloatMode: 240
; IeeeMode: 1
; LDSByteSize: 0 bytes/workgroup (compile time only)
; SGPRBlocks: 0
; VGPRBlocks: 0
; NumSGPRsForWavesPerEU: 6
; NumVGPRsForWavesPerEU: 1
; AccumOffset: 4
; Occupancy: 8
; WaveLimiterHint : 0
; COMPUTE_PGM_RSRC2:SCRATCH_EN: 0
; COMPUTE_PGM_RSRC2:USER_SGPR: 2
; COMPUTE_PGM_RSRC2:TRAP_HANDLER: 0
; COMPUTE_PGM_RSRC2:TGID_X_EN: 1
; COMPUTE_PGM_RSRC2:TGID_Y_EN: 0
; COMPUTE_PGM_RSRC2:TGID_Z_EN: 0
; COMPUTE_PGM_RSRC2:TIDIG_COMP_CNT: 0
; COMPUTE_PGM_RSRC3_GFX90A:ACCUM_OFFSET: 0
; COMPUTE_PGM_RSRC3_GFX90A:TG_SPLIT: 0
	.section	.text._ZN7rocprim17ROCPRIM_400000_NS6detail17trampoline_kernelINS0_14default_configENS1_35radix_sort_onesweep_config_selectorItNS0_10empty_typeEEEZZNS1_29radix_sort_onesweep_iterationIS3_Lb0EN6thrust23THRUST_200600_302600_NS6detail15normal_iteratorINS9_10device_ptrItEEEESE_PS5_SF_jNS0_19identity_decomposerENS1_16block_id_wrapperIjLb0EEEEE10hipError_tT1_PNSt15iterator_traitsISK_E10value_typeET2_T3_PNSL_ISQ_E10value_typeET4_T5_PSV_SW_PNS1_23onesweep_lookback_stateEbbT6_jjT7_P12ihipStream_tbENKUlT_T0_SK_SP_E_clISE_SE_SF_SF_EEDaS13_S14_SK_SP_EUlS13_E_NS1_11comp_targetILNS1_3genE9ELNS1_11target_archE1100ELNS1_3gpuE3ELNS1_3repE0EEENS1_47radix_sort_onesweep_sort_config_static_selectorELNS0_4arch9wavefront6targetE1EEEvSK_,"axG",@progbits,_ZN7rocprim17ROCPRIM_400000_NS6detail17trampoline_kernelINS0_14default_configENS1_35radix_sort_onesweep_config_selectorItNS0_10empty_typeEEEZZNS1_29radix_sort_onesweep_iterationIS3_Lb0EN6thrust23THRUST_200600_302600_NS6detail15normal_iteratorINS9_10device_ptrItEEEESE_PS5_SF_jNS0_19identity_decomposerENS1_16block_id_wrapperIjLb0EEEEE10hipError_tT1_PNSt15iterator_traitsISK_E10value_typeET2_T3_PNSL_ISQ_E10value_typeET4_T5_PSV_SW_PNS1_23onesweep_lookback_stateEbbT6_jjT7_P12ihipStream_tbENKUlT_T0_SK_SP_E_clISE_SE_SF_SF_EEDaS13_S14_SK_SP_EUlS13_E_NS1_11comp_targetILNS1_3genE9ELNS1_11target_archE1100ELNS1_3gpuE3ELNS1_3repE0EEENS1_47radix_sort_onesweep_sort_config_static_selectorELNS0_4arch9wavefront6targetE1EEEvSK_,comdat
	.protected	_ZN7rocprim17ROCPRIM_400000_NS6detail17trampoline_kernelINS0_14default_configENS1_35radix_sort_onesweep_config_selectorItNS0_10empty_typeEEEZZNS1_29radix_sort_onesweep_iterationIS3_Lb0EN6thrust23THRUST_200600_302600_NS6detail15normal_iteratorINS9_10device_ptrItEEEESE_PS5_SF_jNS0_19identity_decomposerENS1_16block_id_wrapperIjLb0EEEEE10hipError_tT1_PNSt15iterator_traitsISK_E10value_typeET2_T3_PNSL_ISQ_E10value_typeET4_T5_PSV_SW_PNS1_23onesweep_lookback_stateEbbT6_jjT7_P12ihipStream_tbENKUlT_T0_SK_SP_E_clISE_SE_SF_SF_EEDaS13_S14_SK_SP_EUlS13_E_NS1_11comp_targetILNS1_3genE9ELNS1_11target_archE1100ELNS1_3gpuE3ELNS1_3repE0EEENS1_47radix_sort_onesweep_sort_config_static_selectorELNS0_4arch9wavefront6targetE1EEEvSK_ ; -- Begin function _ZN7rocprim17ROCPRIM_400000_NS6detail17trampoline_kernelINS0_14default_configENS1_35radix_sort_onesweep_config_selectorItNS0_10empty_typeEEEZZNS1_29radix_sort_onesweep_iterationIS3_Lb0EN6thrust23THRUST_200600_302600_NS6detail15normal_iteratorINS9_10device_ptrItEEEESE_PS5_SF_jNS0_19identity_decomposerENS1_16block_id_wrapperIjLb0EEEEE10hipError_tT1_PNSt15iterator_traitsISK_E10value_typeET2_T3_PNSL_ISQ_E10value_typeET4_T5_PSV_SW_PNS1_23onesweep_lookback_stateEbbT6_jjT7_P12ihipStream_tbENKUlT_T0_SK_SP_E_clISE_SE_SF_SF_EEDaS13_S14_SK_SP_EUlS13_E_NS1_11comp_targetILNS1_3genE9ELNS1_11target_archE1100ELNS1_3gpuE3ELNS1_3repE0EEENS1_47radix_sort_onesweep_sort_config_static_selectorELNS0_4arch9wavefront6targetE1EEEvSK_
	.globl	_ZN7rocprim17ROCPRIM_400000_NS6detail17trampoline_kernelINS0_14default_configENS1_35radix_sort_onesweep_config_selectorItNS0_10empty_typeEEEZZNS1_29radix_sort_onesweep_iterationIS3_Lb0EN6thrust23THRUST_200600_302600_NS6detail15normal_iteratorINS9_10device_ptrItEEEESE_PS5_SF_jNS0_19identity_decomposerENS1_16block_id_wrapperIjLb0EEEEE10hipError_tT1_PNSt15iterator_traitsISK_E10value_typeET2_T3_PNSL_ISQ_E10value_typeET4_T5_PSV_SW_PNS1_23onesweep_lookback_stateEbbT6_jjT7_P12ihipStream_tbENKUlT_T0_SK_SP_E_clISE_SE_SF_SF_EEDaS13_S14_SK_SP_EUlS13_E_NS1_11comp_targetILNS1_3genE9ELNS1_11target_archE1100ELNS1_3gpuE3ELNS1_3repE0EEENS1_47radix_sort_onesweep_sort_config_static_selectorELNS0_4arch9wavefront6targetE1EEEvSK_
	.p2align	8
	.type	_ZN7rocprim17ROCPRIM_400000_NS6detail17trampoline_kernelINS0_14default_configENS1_35radix_sort_onesweep_config_selectorItNS0_10empty_typeEEEZZNS1_29radix_sort_onesweep_iterationIS3_Lb0EN6thrust23THRUST_200600_302600_NS6detail15normal_iteratorINS9_10device_ptrItEEEESE_PS5_SF_jNS0_19identity_decomposerENS1_16block_id_wrapperIjLb0EEEEE10hipError_tT1_PNSt15iterator_traitsISK_E10value_typeET2_T3_PNSL_ISQ_E10value_typeET4_T5_PSV_SW_PNS1_23onesweep_lookback_stateEbbT6_jjT7_P12ihipStream_tbENKUlT_T0_SK_SP_E_clISE_SE_SF_SF_EEDaS13_S14_SK_SP_EUlS13_E_NS1_11comp_targetILNS1_3genE9ELNS1_11target_archE1100ELNS1_3gpuE3ELNS1_3repE0EEENS1_47radix_sort_onesweep_sort_config_static_selectorELNS0_4arch9wavefront6targetE1EEEvSK_,@function
_ZN7rocprim17ROCPRIM_400000_NS6detail17trampoline_kernelINS0_14default_configENS1_35radix_sort_onesweep_config_selectorItNS0_10empty_typeEEEZZNS1_29radix_sort_onesweep_iterationIS3_Lb0EN6thrust23THRUST_200600_302600_NS6detail15normal_iteratorINS9_10device_ptrItEEEESE_PS5_SF_jNS0_19identity_decomposerENS1_16block_id_wrapperIjLb0EEEEE10hipError_tT1_PNSt15iterator_traitsISK_E10value_typeET2_T3_PNSL_ISQ_E10value_typeET4_T5_PSV_SW_PNS1_23onesweep_lookback_stateEbbT6_jjT7_P12ihipStream_tbENKUlT_T0_SK_SP_E_clISE_SE_SF_SF_EEDaS13_S14_SK_SP_EUlS13_E_NS1_11comp_targetILNS1_3genE9ELNS1_11target_archE1100ELNS1_3gpuE3ELNS1_3repE0EEENS1_47radix_sort_onesweep_sort_config_static_selectorELNS0_4arch9wavefront6targetE1EEEvSK_: ; @_ZN7rocprim17ROCPRIM_400000_NS6detail17trampoline_kernelINS0_14default_configENS1_35radix_sort_onesweep_config_selectorItNS0_10empty_typeEEEZZNS1_29radix_sort_onesweep_iterationIS3_Lb0EN6thrust23THRUST_200600_302600_NS6detail15normal_iteratorINS9_10device_ptrItEEEESE_PS5_SF_jNS0_19identity_decomposerENS1_16block_id_wrapperIjLb0EEEEE10hipError_tT1_PNSt15iterator_traitsISK_E10value_typeET2_T3_PNSL_ISQ_E10value_typeET4_T5_PSV_SW_PNS1_23onesweep_lookback_stateEbbT6_jjT7_P12ihipStream_tbENKUlT_T0_SK_SP_E_clISE_SE_SF_SF_EEDaS13_S14_SK_SP_EUlS13_E_NS1_11comp_targetILNS1_3genE9ELNS1_11target_archE1100ELNS1_3gpuE3ELNS1_3repE0EEENS1_47radix_sort_onesweep_sort_config_static_selectorELNS0_4arch9wavefront6targetE1EEEvSK_
; %bb.0:
	.section	.rodata,"a",@progbits
	.p2align	6, 0x0
	.amdhsa_kernel _ZN7rocprim17ROCPRIM_400000_NS6detail17trampoline_kernelINS0_14default_configENS1_35radix_sort_onesweep_config_selectorItNS0_10empty_typeEEEZZNS1_29radix_sort_onesweep_iterationIS3_Lb0EN6thrust23THRUST_200600_302600_NS6detail15normal_iteratorINS9_10device_ptrItEEEESE_PS5_SF_jNS0_19identity_decomposerENS1_16block_id_wrapperIjLb0EEEEE10hipError_tT1_PNSt15iterator_traitsISK_E10value_typeET2_T3_PNSL_ISQ_E10value_typeET4_T5_PSV_SW_PNS1_23onesweep_lookback_stateEbbT6_jjT7_P12ihipStream_tbENKUlT_T0_SK_SP_E_clISE_SE_SF_SF_EEDaS13_S14_SK_SP_EUlS13_E_NS1_11comp_targetILNS1_3genE9ELNS1_11target_archE1100ELNS1_3gpuE3ELNS1_3repE0EEENS1_47radix_sort_onesweep_sort_config_static_selectorELNS0_4arch9wavefront6targetE1EEEvSK_
		.amdhsa_group_segment_fixed_size 0
		.amdhsa_private_segment_fixed_size 0
		.amdhsa_kernarg_size 88
		.amdhsa_user_sgpr_count 2
		.amdhsa_user_sgpr_dispatch_ptr 0
		.amdhsa_user_sgpr_queue_ptr 0
		.amdhsa_user_sgpr_kernarg_segment_ptr 1
		.amdhsa_user_sgpr_dispatch_id 0
		.amdhsa_user_sgpr_kernarg_preload_length 0
		.amdhsa_user_sgpr_kernarg_preload_offset 0
		.amdhsa_user_sgpr_private_segment_size 0
		.amdhsa_uses_dynamic_stack 0
		.amdhsa_enable_private_segment 0
		.amdhsa_system_sgpr_workgroup_id_x 1
		.amdhsa_system_sgpr_workgroup_id_y 0
		.amdhsa_system_sgpr_workgroup_id_z 0
		.amdhsa_system_sgpr_workgroup_info 0
		.amdhsa_system_vgpr_workitem_id 0
		.amdhsa_next_free_vgpr 1
		.amdhsa_next_free_sgpr 0
		.amdhsa_accum_offset 4
		.amdhsa_reserve_vcc 0
		.amdhsa_float_round_mode_32 0
		.amdhsa_float_round_mode_16_64 0
		.amdhsa_float_denorm_mode_32 3
		.amdhsa_float_denorm_mode_16_64 3
		.amdhsa_dx10_clamp 1
		.amdhsa_ieee_mode 1
		.amdhsa_fp16_overflow 0
		.amdhsa_tg_split 0
		.amdhsa_exception_fp_ieee_invalid_op 0
		.amdhsa_exception_fp_denorm_src 0
		.amdhsa_exception_fp_ieee_div_zero 0
		.amdhsa_exception_fp_ieee_overflow 0
		.amdhsa_exception_fp_ieee_underflow 0
		.amdhsa_exception_fp_ieee_inexact 0
		.amdhsa_exception_int_div_zero 0
	.end_amdhsa_kernel
	.section	.text._ZN7rocprim17ROCPRIM_400000_NS6detail17trampoline_kernelINS0_14default_configENS1_35radix_sort_onesweep_config_selectorItNS0_10empty_typeEEEZZNS1_29radix_sort_onesweep_iterationIS3_Lb0EN6thrust23THRUST_200600_302600_NS6detail15normal_iteratorINS9_10device_ptrItEEEESE_PS5_SF_jNS0_19identity_decomposerENS1_16block_id_wrapperIjLb0EEEEE10hipError_tT1_PNSt15iterator_traitsISK_E10value_typeET2_T3_PNSL_ISQ_E10value_typeET4_T5_PSV_SW_PNS1_23onesweep_lookback_stateEbbT6_jjT7_P12ihipStream_tbENKUlT_T0_SK_SP_E_clISE_SE_SF_SF_EEDaS13_S14_SK_SP_EUlS13_E_NS1_11comp_targetILNS1_3genE9ELNS1_11target_archE1100ELNS1_3gpuE3ELNS1_3repE0EEENS1_47radix_sort_onesweep_sort_config_static_selectorELNS0_4arch9wavefront6targetE1EEEvSK_,"axG",@progbits,_ZN7rocprim17ROCPRIM_400000_NS6detail17trampoline_kernelINS0_14default_configENS1_35radix_sort_onesweep_config_selectorItNS0_10empty_typeEEEZZNS1_29radix_sort_onesweep_iterationIS3_Lb0EN6thrust23THRUST_200600_302600_NS6detail15normal_iteratorINS9_10device_ptrItEEEESE_PS5_SF_jNS0_19identity_decomposerENS1_16block_id_wrapperIjLb0EEEEE10hipError_tT1_PNSt15iterator_traitsISK_E10value_typeET2_T3_PNSL_ISQ_E10value_typeET4_T5_PSV_SW_PNS1_23onesweep_lookback_stateEbbT6_jjT7_P12ihipStream_tbENKUlT_T0_SK_SP_E_clISE_SE_SF_SF_EEDaS13_S14_SK_SP_EUlS13_E_NS1_11comp_targetILNS1_3genE9ELNS1_11target_archE1100ELNS1_3gpuE3ELNS1_3repE0EEENS1_47radix_sort_onesweep_sort_config_static_selectorELNS0_4arch9wavefront6targetE1EEEvSK_,comdat
.Lfunc_end1372:
	.size	_ZN7rocprim17ROCPRIM_400000_NS6detail17trampoline_kernelINS0_14default_configENS1_35radix_sort_onesweep_config_selectorItNS0_10empty_typeEEEZZNS1_29radix_sort_onesweep_iterationIS3_Lb0EN6thrust23THRUST_200600_302600_NS6detail15normal_iteratorINS9_10device_ptrItEEEESE_PS5_SF_jNS0_19identity_decomposerENS1_16block_id_wrapperIjLb0EEEEE10hipError_tT1_PNSt15iterator_traitsISK_E10value_typeET2_T3_PNSL_ISQ_E10value_typeET4_T5_PSV_SW_PNS1_23onesweep_lookback_stateEbbT6_jjT7_P12ihipStream_tbENKUlT_T0_SK_SP_E_clISE_SE_SF_SF_EEDaS13_S14_SK_SP_EUlS13_E_NS1_11comp_targetILNS1_3genE9ELNS1_11target_archE1100ELNS1_3gpuE3ELNS1_3repE0EEENS1_47radix_sort_onesweep_sort_config_static_selectorELNS0_4arch9wavefront6targetE1EEEvSK_, .Lfunc_end1372-_ZN7rocprim17ROCPRIM_400000_NS6detail17trampoline_kernelINS0_14default_configENS1_35radix_sort_onesweep_config_selectorItNS0_10empty_typeEEEZZNS1_29radix_sort_onesweep_iterationIS3_Lb0EN6thrust23THRUST_200600_302600_NS6detail15normal_iteratorINS9_10device_ptrItEEEESE_PS5_SF_jNS0_19identity_decomposerENS1_16block_id_wrapperIjLb0EEEEE10hipError_tT1_PNSt15iterator_traitsISK_E10value_typeET2_T3_PNSL_ISQ_E10value_typeET4_T5_PSV_SW_PNS1_23onesweep_lookback_stateEbbT6_jjT7_P12ihipStream_tbENKUlT_T0_SK_SP_E_clISE_SE_SF_SF_EEDaS13_S14_SK_SP_EUlS13_E_NS1_11comp_targetILNS1_3genE9ELNS1_11target_archE1100ELNS1_3gpuE3ELNS1_3repE0EEENS1_47radix_sort_onesweep_sort_config_static_selectorELNS0_4arch9wavefront6targetE1EEEvSK_
                                        ; -- End function
	.section	.AMDGPU.csdata,"",@progbits
; Kernel info:
; codeLenInByte = 0
; NumSgprs: 6
; NumVgprs: 0
; NumAgprs: 0
; TotalNumVgprs: 0
; ScratchSize: 0
; MemoryBound: 0
; FloatMode: 240
; IeeeMode: 1
; LDSByteSize: 0 bytes/workgroup (compile time only)
; SGPRBlocks: 0
; VGPRBlocks: 0
; NumSGPRsForWavesPerEU: 6
; NumVGPRsForWavesPerEU: 1
; AccumOffset: 4
; Occupancy: 8
; WaveLimiterHint : 0
; COMPUTE_PGM_RSRC2:SCRATCH_EN: 0
; COMPUTE_PGM_RSRC2:USER_SGPR: 2
; COMPUTE_PGM_RSRC2:TRAP_HANDLER: 0
; COMPUTE_PGM_RSRC2:TGID_X_EN: 1
; COMPUTE_PGM_RSRC2:TGID_Y_EN: 0
; COMPUTE_PGM_RSRC2:TGID_Z_EN: 0
; COMPUTE_PGM_RSRC2:TIDIG_COMP_CNT: 0
; COMPUTE_PGM_RSRC3_GFX90A:ACCUM_OFFSET: 0
; COMPUTE_PGM_RSRC3_GFX90A:TG_SPLIT: 0
	.section	.text._ZN7rocprim17ROCPRIM_400000_NS6detail17trampoline_kernelINS0_14default_configENS1_35radix_sort_onesweep_config_selectorItNS0_10empty_typeEEEZZNS1_29radix_sort_onesweep_iterationIS3_Lb0EN6thrust23THRUST_200600_302600_NS6detail15normal_iteratorINS9_10device_ptrItEEEESE_PS5_SF_jNS0_19identity_decomposerENS1_16block_id_wrapperIjLb0EEEEE10hipError_tT1_PNSt15iterator_traitsISK_E10value_typeET2_T3_PNSL_ISQ_E10value_typeET4_T5_PSV_SW_PNS1_23onesweep_lookback_stateEbbT6_jjT7_P12ihipStream_tbENKUlT_T0_SK_SP_E_clISE_SE_SF_SF_EEDaS13_S14_SK_SP_EUlS13_E_NS1_11comp_targetILNS1_3genE8ELNS1_11target_archE1030ELNS1_3gpuE2ELNS1_3repE0EEENS1_47radix_sort_onesweep_sort_config_static_selectorELNS0_4arch9wavefront6targetE1EEEvSK_,"axG",@progbits,_ZN7rocprim17ROCPRIM_400000_NS6detail17trampoline_kernelINS0_14default_configENS1_35radix_sort_onesweep_config_selectorItNS0_10empty_typeEEEZZNS1_29radix_sort_onesweep_iterationIS3_Lb0EN6thrust23THRUST_200600_302600_NS6detail15normal_iteratorINS9_10device_ptrItEEEESE_PS5_SF_jNS0_19identity_decomposerENS1_16block_id_wrapperIjLb0EEEEE10hipError_tT1_PNSt15iterator_traitsISK_E10value_typeET2_T3_PNSL_ISQ_E10value_typeET4_T5_PSV_SW_PNS1_23onesweep_lookback_stateEbbT6_jjT7_P12ihipStream_tbENKUlT_T0_SK_SP_E_clISE_SE_SF_SF_EEDaS13_S14_SK_SP_EUlS13_E_NS1_11comp_targetILNS1_3genE8ELNS1_11target_archE1030ELNS1_3gpuE2ELNS1_3repE0EEENS1_47radix_sort_onesweep_sort_config_static_selectorELNS0_4arch9wavefront6targetE1EEEvSK_,comdat
	.protected	_ZN7rocprim17ROCPRIM_400000_NS6detail17trampoline_kernelINS0_14default_configENS1_35radix_sort_onesweep_config_selectorItNS0_10empty_typeEEEZZNS1_29radix_sort_onesweep_iterationIS3_Lb0EN6thrust23THRUST_200600_302600_NS6detail15normal_iteratorINS9_10device_ptrItEEEESE_PS5_SF_jNS0_19identity_decomposerENS1_16block_id_wrapperIjLb0EEEEE10hipError_tT1_PNSt15iterator_traitsISK_E10value_typeET2_T3_PNSL_ISQ_E10value_typeET4_T5_PSV_SW_PNS1_23onesweep_lookback_stateEbbT6_jjT7_P12ihipStream_tbENKUlT_T0_SK_SP_E_clISE_SE_SF_SF_EEDaS13_S14_SK_SP_EUlS13_E_NS1_11comp_targetILNS1_3genE8ELNS1_11target_archE1030ELNS1_3gpuE2ELNS1_3repE0EEENS1_47radix_sort_onesweep_sort_config_static_selectorELNS0_4arch9wavefront6targetE1EEEvSK_ ; -- Begin function _ZN7rocprim17ROCPRIM_400000_NS6detail17trampoline_kernelINS0_14default_configENS1_35radix_sort_onesweep_config_selectorItNS0_10empty_typeEEEZZNS1_29radix_sort_onesweep_iterationIS3_Lb0EN6thrust23THRUST_200600_302600_NS6detail15normal_iteratorINS9_10device_ptrItEEEESE_PS5_SF_jNS0_19identity_decomposerENS1_16block_id_wrapperIjLb0EEEEE10hipError_tT1_PNSt15iterator_traitsISK_E10value_typeET2_T3_PNSL_ISQ_E10value_typeET4_T5_PSV_SW_PNS1_23onesweep_lookback_stateEbbT6_jjT7_P12ihipStream_tbENKUlT_T0_SK_SP_E_clISE_SE_SF_SF_EEDaS13_S14_SK_SP_EUlS13_E_NS1_11comp_targetILNS1_3genE8ELNS1_11target_archE1030ELNS1_3gpuE2ELNS1_3repE0EEENS1_47radix_sort_onesweep_sort_config_static_selectorELNS0_4arch9wavefront6targetE1EEEvSK_
	.globl	_ZN7rocprim17ROCPRIM_400000_NS6detail17trampoline_kernelINS0_14default_configENS1_35radix_sort_onesweep_config_selectorItNS0_10empty_typeEEEZZNS1_29radix_sort_onesweep_iterationIS3_Lb0EN6thrust23THRUST_200600_302600_NS6detail15normal_iteratorINS9_10device_ptrItEEEESE_PS5_SF_jNS0_19identity_decomposerENS1_16block_id_wrapperIjLb0EEEEE10hipError_tT1_PNSt15iterator_traitsISK_E10value_typeET2_T3_PNSL_ISQ_E10value_typeET4_T5_PSV_SW_PNS1_23onesweep_lookback_stateEbbT6_jjT7_P12ihipStream_tbENKUlT_T0_SK_SP_E_clISE_SE_SF_SF_EEDaS13_S14_SK_SP_EUlS13_E_NS1_11comp_targetILNS1_3genE8ELNS1_11target_archE1030ELNS1_3gpuE2ELNS1_3repE0EEENS1_47radix_sort_onesweep_sort_config_static_selectorELNS0_4arch9wavefront6targetE1EEEvSK_
	.p2align	8
	.type	_ZN7rocprim17ROCPRIM_400000_NS6detail17trampoline_kernelINS0_14default_configENS1_35radix_sort_onesweep_config_selectorItNS0_10empty_typeEEEZZNS1_29radix_sort_onesweep_iterationIS3_Lb0EN6thrust23THRUST_200600_302600_NS6detail15normal_iteratorINS9_10device_ptrItEEEESE_PS5_SF_jNS0_19identity_decomposerENS1_16block_id_wrapperIjLb0EEEEE10hipError_tT1_PNSt15iterator_traitsISK_E10value_typeET2_T3_PNSL_ISQ_E10value_typeET4_T5_PSV_SW_PNS1_23onesweep_lookback_stateEbbT6_jjT7_P12ihipStream_tbENKUlT_T0_SK_SP_E_clISE_SE_SF_SF_EEDaS13_S14_SK_SP_EUlS13_E_NS1_11comp_targetILNS1_3genE8ELNS1_11target_archE1030ELNS1_3gpuE2ELNS1_3repE0EEENS1_47radix_sort_onesweep_sort_config_static_selectorELNS0_4arch9wavefront6targetE1EEEvSK_,@function
_ZN7rocprim17ROCPRIM_400000_NS6detail17trampoline_kernelINS0_14default_configENS1_35radix_sort_onesweep_config_selectorItNS0_10empty_typeEEEZZNS1_29radix_sort_onesweep_iterationIS3_Lb0EN6thrust23THRUST_200600_302600_NS6detail15normal_iteratorINS9_10device_ptrItEEEESE_PS5_SF_jNS0_19identity_decomposerENS1_16block_id_wrapperIjLb0EEEEE10hipError_tT1_PNSt15iterator_traitsISK_E10value_typeET2_T3_PNSL_ISQ_E10value_typeET4_T5_PSV_SW_PNS1_23onesweep_lookback_stateEbbT6_jjT7_P12ihipStream_tbENKUlT_T0_SK_SP_E_clISE_SE_SF_SF_EEDaS13_S14_SK_SP_EUlS13_E_NS1_11comp_targetILNS1_3genE8ELNS1_11target_archE1030ELNS1_3gpuE2ELNS1_3repE0EEENS1_47radix_sort_onesweep_sort_config_static_selectorELNS0_4arch9wavefront6targetE1EEEvSK_: ; @_ZN7rocprim17ROCPRIM_400000_NS6detail17trampoline_kernelINS0_14default_configENS1_35radix_sort_onesweep_config_selectorItNS0_10empty_typeEEEZZNS1_29radix_sort_onesweep_iterationIS3_Lb0EN6thrust23THRUST_200600_302600_NS6detail15normal_iteratorINS9_10device_ptrItEEEESE_PS5_SF_jNS0_19identity_decomposerENS1_16block_id_wrapperIjLb0EEEEE10hipError_tT1_PNSt15iterator_traitsISK_E10value_typeET2_T3_PNSL_ISQ_E10value_typeET4_T5_PSV_SW_PNS1_23onesweep_lookback_stateEbbT6_jjT7_P12ihipStream_tbENKUlT_T0_SK_SP_E_clISE_SE_SF_SF_EEDaS13_S14_SK_SP_EUlS13_E_NS1_11comp_targetILNS1_3genE8ELNS1_11target_archE1030ELNS1_3gpuE2ELNS1_3repE0EEENS1_47radix_sort_onesweep_sort_config_static_selectorELNS0_4arch9wavefront6targetE1EEEvSK_
; %bb.0:
	.section	.rodata,"a",@progbits
	.p2align	6, 0x0
	.amdhsa_kernel _ZN7rocprim17ROCPRIM_400000_NS6detail17trampoline_kernelINS0_14default_configENS1_35radix_sort_onesweep_config_selectorItNS0_10empty_typeEEEZZNS1_29radix_sort_onesweep_iterationIS3_Lb0EN6thrust23THRUST_200600_302600_NS6detail15normal_iteratorINS9_10device_ptrItEEEESE_PS5_SF_jNS0_19identity_decomposerENS1_16block_id_wrapperIjLb0EEEEE10hipError_tT1_PNSt15iterator_traitsISK_E10value_typeET2_T3_PNSL_ISQ_E10value_typeET4_T5_PSV_SW_PNS1_23onesweep_lookback_stateEbbT6_jjT7_P12ihipStream_tbENKUlT_T0_SK_SP_E_clISE_SE_SF_SF_EEDaS13_S14_SK_SP_EUlS13_E_NS1_11comp_targetILNS1_3genE8ELNS1_11target_archE1030ELNS1_3gpuE2ELNS1_3repE0EEENS1_47radix_sort_onesweep_sort_config_static_selectorELNS0_4arch9wavefront6targetE1EEEvSK_
		.amdhsa_group_segment_fixed_size 0
		.amdhsa_private_segment_fixed_size 0
		.amdhsa_kernarg_size 88
		.amdhsa_user_sgpr_count 2
		.amdhsa_user_sgpr_dispatch_ptr 0
		.amdhsa_user_sgpr_queue_ptr 0
		.amdhsa_user_sgpr_kernarg_segment_ptr 1
		.amdhsa_user_sgpr_dispatch_id 0
		.amdhsa_user_sgpr_kernarg_preload_length 0
		.amdhsa_user_sgpr_kernarg_preload_offset 0
		.amdhsa_user_sgpr_private_segment_size 0
		.amdhsa_uses_dynamic_stack 0
		.amdhsa_enable_private_segment 0
		.amdhsa_system_sgpr_workgroup_id_x 1
		.amdhsa_system_sgpr_workgroup_id_y 0
		.amdhsa_system_sgpr_workgroup_id_z 0
		.amdhsa_system_sgpr_workgroup_info 0
		.amdhsa_system_vgpr_workitem_id 0
		.amdhsa_next_free_vgpr 1
		.amdhsa_next_free_sgpr 0
		.amdhsa_accum_offset 4
		.amdhsa_reserve_vcc 0
		.amdhsa_float_round_mode_32 0
		.amdhsa_float_round_mode_16_64 0
		.amdhsa_float_denorm_mode_32 3
		.amdhsa_float_denorm_mode_16_64 3
		.amdhsa_dx10_clamp 1
		.amdhsa_ieee_mode 1
		.amdhsa_fp16_overflow 0
		.amdhsa_tg_split 0
		.amdhsa_exception_fp_ieee_invalid_op 0
		.amdhsa_exception_fp_denorm_src 0
		.amdhsa_exception_fp_ieee_div_zero 0
		.amdhsa_exception_fp_ieee_overflow 0
		.amdhsa_exception_fp_ieee_underflow 0
		.amdhsa_exception_fp_ieee_inexact 0
		.amdhsa_exception_int_div_zero 0
	.end_amdhsa_kernel
	.section	.text._ZN7rocprim17ROCPRIM_400000_NS6detail17trampoline_kernelINS0_14default_configENS1_35radix_sort_onesweep_config_selectorItNS0_10empty_typeEEEZZNS1_29radix_sort_onesweep_iterationIS3_Lb0EN6thrust23THRUST_200600_302600_NS6detail15normal_iteratorINS9_10device_ptrItEEEESE_PS5_SF_jNS0_19identity_decomposerENS1_16block_id_wrapperIjLb0EEEEE10hipError_tT1_PNSt15iterator_traitsISK_E10value_typeET2_T3_PNSL_ISQ_E10value_typeET4_T5_PSV_SW_PNS1_23onesweep_lookback_stateEbbT6_jjT7_P12ihipStream_tbENKUlT_T0_SK_SP_E_clISE_SE_SF_SF_EEDaS13_S14_SK_SP_EUlS13_E_NS1_11comp_targetILNS1_3genE8ELNS1_11target_archE1030ELNS1_3gpuE2ELNS1_3repE0EEENS1_47radix_sort_onesweep_sort_config_static_selectorELNS0_4arch9wavefront6targetE1EEEvSK_,"axG",@progbits,_ZN7rocprim17ROCPRIM_400000_NS6detail17trampoline_kernelINS0_14default_configENS1_35radix_sort_onesweep_config_selectorItNS0_10empty_typeEEEZZNS1_29radix_sort_onesweep_iterationIS3_Lb0EN6thrust23THRUST_200600_302600_NS6detail15normal_iteratorINS9_10device_ptrItEEEESE_PS5_SF_jNS0_19identity_decomposerENS1_16block_id_wrapperIjLb0EEEEE10hipError_tT1_PNSt15iterator_traitsISK_E10value_typeET2_T3_PNSL_ISQ_E10value_typeET4_T5_PSV_SW_PNS1_23onesweep_lookback_stateEbbT6_jjT7_P12ihipStream_tbENKUlT_T0_SK_SP_E_clISE_SE_SF_SF_EEDaS13_S14_SK_SP_EUlS13_E_NS1_11comp_targetILNS1_3genE8ELNS1_11target_archE1030ELNS1_3gpuE2ELNS1_3repE0EEENS1_47radix_sort_onesweep_sort_config_static_selectorELNS0_4arch9wavefront6targetE1EEEvSK_,comdat
.Lfunc_end1373:
	.size	_ZN7rocprim17ROCPRIM_400000_NS6detail17trampoline_kernelINS0_14default_configENS1_35radix_sort_onesweep_config_selectorItNS0_10empty_typeEEEZZNS1_29radix_sort_onesweep_iterationIS3_Lb0EN6thrust23THRUST_200600_302600_NS6detail15normal_iteratorINS9_10device_ptrItEEEESE_PS5_SF_jNS0_19identity_decomposerENS1_16block_id_wrapperIjLb0EEEEE10hipError_tT1_PNSt15iterator_traitsISK_E10value_typeET2_T3_PNSL_ISQ_E10value_typeET4_T5_PSV_SW_PNS1_23onesweep_lookback_stateEbbT6_jjT7_P12ihipStream_tbENKUlT_T0_SK_SP_E_clISE_SE_SF_SF_EEDaS13_S14_SK_SP_EUlS13_E_NS1_11comp_targetILNS1_3genE8ELNS1_11target_archE1030ELNS1_3gpuE2ELNS1_3repE0EEENS1_47radix_sort_onesweep_sort_config_static_selectorELNS0_4arch9wavefront6targetE1EEEvSK_, .Lfunc_end1373-_ZN7rocprim17ROCPRIM_400000_NS6detail17trampoline_kernelINS0_14default_configENS1_35radix_sort_onesweep_config_selectorItNS0_10empty_typeEEEZZNS1_29radix_sort_onesweep_iterationIS3_Lb0EN6thrust23THRUST_200600_302600_NS6detail15normal_iteratorINS9_10device_ptrItEEEESE_PS5_SF_jNS0_19identity_decomposerENS1_16block_id_wrapperIjLb0EEEEE10hipError_tT1_PNSt15iterator_traitsISK_E10value_typeET2_T3_PNSL_ISQ_E10value_typeET4_T5_PSV_SW_PNS1_23onesweep_lookback_stateEbbT6_jjT7_P12ihipStream_tbENKUlT_T0_SK_SP_E_clISE_SE_SF_SF_EEDaS13_S14_SK_SP_EUlS13_E_NS1_11comp_targetILNS1_3genE8ELNS1_11target_archE1030ELNS1_3gpuE2ELNS1_3repE0EEENS1_47radix_sort_onesweep_sort_config_static_selectorELNS0_4arch9wavefront6targetE1EEEvSK_
                                        ; -- End function
	.section	.AMDGPU.csdata,"",@progbits
; Kernel info:
; codeLenInByte = 0
; NumSgprs: 6
; NumVgprs: 0
; NumAgprs: 0
; TotalNumVgprs: 0
; ScratchSize: 0
; MemoryBound: 0
; FloatMode: 240
; IeeeMode: 1
; LDSByteSize: 0 bytes/workgroup (compile time only)
; SGPRBlocks: 0
; VGPRBlocks: 0
; NumSGPRsForWavesPerEU: 6
; NumVGPRsForWavesPerEU: 1
; AccumOffset: 4
; Occupancy: 8
; WaveLimiterHint : 0
; COMPUTE_PGM_RSRC2:SCRATCH_EN: 0
; COMPUTE_PGM_RSRC2:USER_SGPR: 2
; COMPUTE_PGM_RSRC2:TRAP_HANDLER: 0
; COMPUTE_PGM_RSRC2:TGID_X_EN: 1
; COMPUTE_PGM_RSRC2:TGID_Y_EN: 0
; COMPUTE_PGM_RSRC2:TGID_Z_EN: 0
; COMPUTE_PGM_RSRC2:TIDIG_COMP_CNT: 0
; COMPUTE_PGM_RSRC3_GFX90A:ACCUM_OFFSET: 0
; COMPUTE_PGM_RSRC3_GFX90A:TG_SPLIT: 0
	.section	.text._ZN7rocprim17ROCPRIM_400000_NS6detail17trampoline_kernelINS0_14default_configENS1_35radix_sort_onesweep_config_selectorItNS0_10empty_typeEEEZZNS1_29radix_sort_onesweep_iterationIS3_Lb0EN6thrust23THRUST_200600_302600_NS6detail15normal_iteratorINS9_10device_ptrItEEEESE_PS5_SF_jNS0_19identity_decomposerENS1_16block_id_wrapperIjLb0EEEEE10hipError_tT1_PNSt15iterator_traitsISK_E10value_typeET2_T3_PNSL_ISQ_E10value_typeET4_T5_PSV_SW_PNS1_23onesweep_lookback_stateEbbT6_jjT7_P12ihipStream_tbENKUlT_T0_SK_SP_E_clISE_PtSF_SF_EEDaS13_S14_SK_SP_EUlS13_E_NS1_11comp_targetILNS1_3genE0ELNS1_11target_archE4294967295ELNS1_3gpuE0ELNS1_3repE0EEENS1_47radix_sort_onesweep_sort_config_static_selectorELNS0_4arch9wavefront6targetE1EEEvSK_,"axG",@progbits,_ZN7rocprim17ROCPRIM_400000_NS6detail17trampoline_kernelINS0_14default_configENS1_35radix_sort_onesweep_config_selectorItNS0_10empty_typeEEEZZNS1_29radix_sort_onesweep_iterationIS3_Lb0EN6thrust23THRUST_200600_302600_NS6detail15normal_iteratorINS9_10device_ptrItEEEESE_PS5_SF_jNS0_19identity_decomposerENS1_16block_id_wrapperIjLb0EEEEE10hipError_tT1_PNSt15iterator_traitsISK_E10value_typeET2_T3_PNSL_ISQ_E10value_typeET4_T5_PSV_SW_PNS1_23onesweep_lookback_stateEbbT6_jjT7_P12ihipStream_tbENKUlT_T0_SK_SP_E_clISE_PtSF_SF_EEDaS13_S14_SK_SP_EUlS13_E_NS1_11comp_targetILNS1_3genE0ELNS1_11target_archE4294967295ELNS1_3gpuE0ELNS1_3repE0EEENS1_47radix_sort_onesweep_sort_config_static_selectorELNS0_4arch9wavefront6targetE1EEEvSK_,comdat
	.protected	_ZN7rocprim17ROCPRIM_400000_NS6detail17trampoline_kernelINS0_14default_configENS1_35radix_sort_onesweep_config_selectorItNS0_10empty_typeEEEZZNS1_29radix_sort_onesweep_iterationIS3_Lb0EN6thrust23THRUST_200600_302600_NS6detail15normal_iteratorINS9_10device_ptrItEEEESE_PS5_SF_jNS0_19identity_decomposerENS1_16block_id_wrapperIjLb0EEEEE10hipError_tT1_PNSt15iterator_traitsISK_E10value_typeET2_T3_PNSL_ISQ_E10value_typeET4_T5_PSV_SW_PNS1_23onesweep_lookback_stateEbbT6_jjT7_P12ihipStream_tbENKUlT_T0_SK_SP_E_clISE_PtSF_SF_EEDaS13_S14_SK_SP_EUlS13_E_NS1_11comp_targetILNS1_3genE0ELNS1_11target_archE4294967295ELNS1_3gpuE0ELNS1_3repE0EEENS1_47radix_sort_onesweep_sort_config_static_selectorELNS0_4arch9wavefront6targetE1EEEvSK_ ; -- Begin function _ZN7rocprim17ROCPRIM_400000_NS6detail17trampoline_kernelINS0_14default_configENS1_35radix_sort_onesweep_config_selectorItNS0_10empty_typeEEEZZNS1_29radix_sort_onesweep_iterationIS3_Lb0EN6thrust23THRUST_200600_302600_NS6detail15normal_iteratorINS9_10device_ptrItEEEESE_PS5_SF_jNS0_19identity_decomposerENS1_16block_id_wrapperIjLb0EEEEE10hipError_tT1_PNSt15iterator_traitsISK_E10value_typeET2_T3_PNSL_ISQ_E10value_typeET4_T5_PSV_SW_PNS1_23onesweep_lookback_stateEbbT6_jjT7_P12ihipStream_tbENKUlT_T0_SK_SP_E_clISE_PtSF_SF_EEDaS13_S14_SK_SP_EUlS13_E_NS1_11comp_targetILNS1_3genE0ELNS1_11target_archE4294967295ELNS1_3gpuE0ELNS1_3repE0EEENS1_47radix_sort_onesweep_sort_config_static_selectorELNS0_4arch9wavefront6targetE1EEEvSK_
	.globl	_ZN7rocprim17ROCPRIM_400000_NS6detail17trampoline_kernelINS0_14default_configENS1_35radix_sort_onesweep_config_selectorItNS0_10empty_typeEEEZZNS1_29radix_sort_onesweep_iterationIS3_Lb0EN6thrust23THRUST_200600_302600_NS6detail15normal_iteratorINS9_10device_ptrItEEEESE_PS5_SF_jNS0_19identity_decomposerENS1_16block_id_wrapperIjLb0EEEEE10hipError_tT1_PNSt15iterator_traitsISK_E10value_typeET2_T3_PNSL_ISQ_E10value_typeET4_T5_PSV_SW_PNS1_23onesweep_lookback_stateEbbT6_jjT7_P12ihipStream_tbENKUlT_T0_SK_SP_E_clISE_PtSF_SF_EEDaS13_S14_SK_SP_EUlS13_E_NS1_11comp_targetILNS1_3genE0ELNS1_11target_archE4294967295ELNS1_3gpuE0ELNS1_3repE0EEENS1_47radix_sort_onesweep_sort_config_static_selectorELNS0_4arch9wavefront6targetE1EEEvSK_
	.p2align	8
	.type	_ZN7rocprim17ROCPRIM_400000_NS6detail17trampoline_kernelINS0_14default_configENS1_35radix_sort_onesweep_config_selectorItNS0_10empty_typeEEEZZNS1_29radix_sort_onesweep_iterationIS3_Lb0EN6thrust23THRUST_200600_302600_NS6detail15normal_iteratorINS9_10device_ptrItEEEESE_PS5_SF_jNS0_19identity_decomposerENS1_16block_id_wrapperIjLb0EEEEE10hipError_tT1_PNSt15iterator_traitsISK_E10value_typeET2_T3_PNSL_ISQ_E10value_typeET4_T5_PSV_SW_PNS1_23onesweep_lookback_stateEbbT6_jjT7_P12ihipStream_tbENKUlT_T0_SK_SP_E_clISE_PtSF_SF_EEDaS13_S14_SK_SP_EUlS13_E_NS1_11comp_targetILNS1_3genE0ELNS1_11target_archE4294967295ELNS1_3gpuE0ELNS1_3repE0EEENS1_47radix_sort_onesweep_sort_config_static_selectorELNS0_4arch9wavefront6targetE1EEEvSK_,@function
_ZN7rocprim17ROCPRIM_400000_NS6detail17trampoline_kernelINS0_14default_configENS1_35radix_sort_onesweep_config_selectorItNS0_10empty_typeEEEZZNS1_29radix_sort_onesweep_iterationIS3_Lb0EN6thrust23THRUST_200600_302600_NS6detail15normal_iteratorINS9_10device_ptrItEEEESE_PS5_SF_jNS0_19identity_decomposerENS1_16block_id_wrapperIjLb0EEEEE10hipError_tT1_PNSt15iterator_traitsISK_E10value_typeET2_T3_PNSL_ISQ_E10value_typeET4_T5_PSV_SW_PNS1_23onesweep_lookback_stateEbbT6_jjT7_P12ihipStream_tbENKUlT_T0_SK_SP_E_clISE_PtSF_SF_EEDaS13_S14_SK_SP_EUlS13_E_NS1_11comp_targetILNS1_3genE0ELNS1_11target_archE4294967295ELNS1_3gpuE0ELNS1_3repE0EEENS1_47radix_sort_onesweep_sort_config_static_selectorELNS0_4arch9wavefront6targetE1EEEvSK_: ; @_ZN7rocprim17ROCPRIM_400000_NS6detail17trampoline_kernelINS0_14default_configENS1_35radix_sort_onesweep_config_selectorItNS0_10empty_typeEEEZZNS1_29radix_sort_onesweep_iterationIS3_Lb0EN6thrust23THRUST_200600_302600_NS6detail15normal_iteratorINS9_10device_ptrItEEEESE_PS5_SF_jNS0_19identity_decomposerENS1_16block_id_wrapperIjLb0EEEEE10hipError_tT1_PNSt15iterator_traitsISK_E10value_typeET2_T3_PNSL_ISQ_E10value_typeET4_T5_PSV_SW_PNS1_23onesweep_lookback_stateEbbT6_jjT7_P12ihipStream_tbENKUlT_T0_SK_SP_E_clISE_PtSF_SF_EEDaS13_S14_SK_SP_EUlS13_E_NS1_11comp_targetILNS1_3genE0ELNS1_11target_archE4294967295ELNS1_3gpuE0ELNS1_3repE0EEENS1_47radix_sort_onesweep_sort_config_static_selectorELNS0_4arch9wavefront6targetE1EEEvSK_
; %bb.0:
	.section	.rodata,"a",@progbits
	.p2align	6, 0x0
	.amdhsa_kernel _ZN7rocprim17ROCPRIM_400000_NS6detail17trampoline_kernelINS0_14default_configENS1_35radix_sort_onesweep_config_selectorItNS0_10empty_typeEEEZZNS1_29radix_sort_onesweep_iterationIS3_Lb0EN6thrust23THRUST_200600_302600_NS6detail15normal_iteratorINS9_10device_ptrItEEEESE_PS5_SF_jNS0_19identity_decomposerENS1_16block_id_wrapperIjLb0EEEEE10hipError_tT1_PNSt15iterator_traitsISK_E10value_typeET2_T3_PNSL_ISQ_E10value_typeET4_T5_PSV_SW_PNS1_23onesweep_lookback_stateEbbT6_jjT7_P12ihipStream_tbENKUlT_T0_SK_SP_E_clISE_PtSF_SF_EEDaS13_S14_SK_SP_EUlS13_E_NS1_11comp_targetILNS1_3genE0ELNS1_11target_archE4294967295ELNS1_3gpuE0ELNS1_3repE0EEENS1_47radix_sort_onesweep_sort_config_static_selectorELNS0_4arch9wavefront6targetE1EEEvSK_
		.amdhsa_group_segment_fixed_size 0
		.amdhsa_private_segment_fixed_size 0
		.amdhsa_kernarg_size 88
		.amdhsa_user_sgpr_count 2
		.amdhsa_user_sgpr_dispatch_ptr 0
		.amdhsa_user_sgpr_queue_ptr 0
		.amdhsa_user_sgpr_kernarg_segment_ptr 1
		.amdhsa_user_sgpr_dispatch_id 0
		.amdhsa_user_sgpr_kernarg_preload_length 0
		.amdhsa_user_sgpr_kernarg_preload_offset 0
		.amdhsa_user_sgpr_private_segment_size 0
		.amdhsa_uses_dynamic_stack 0
		.amdhsa_enable_private_segment 0
		.amdhsa_system_sgpr_workgroup_id_x 1
		.amdhsa_system_sgpr_workgroup_id_y 0
		.amdhsa_system_sgpr_workgroup_id_z 0
		.amdhsa_system_sgpr_workgroup_info 0
		.amdhsa_system_vgpr_workitem_id 0
		.amdhsa_next_free_vgpr 1
		.amdhsa_next_free_sgpr 0
		.amdhsa_accum_offset 4
		.amdhsa_reserve_vcc 0
		.amdhsa_float_round_mode_32 0
		.amdhsa_float_round_mode_16_64 0
		.amdhsa_float_denorm_mode_32 3
		.amdhsa_float_denorm_mode_16_64 3
		.amdhsa_dx10_clamp 1
		.amdhsa_ieee_mode 1
		.amdhsa_fp16_overflow 0
		.amdhsa_tg_split 0
		.amdhsa_exception_fp_ieee_invalid_op 0
		.amdhsa_exception_fp_denorm_src 0
		.amdhsa_exception_fp_ieee_div_zero 0
		.amdhsa_exception_fp_ieee_overflow 0
		.amdhsa_exception_fp_ieee_underflow 0
		.amdhsa_exception_fp_ieee_inexact 0
		.amdhsa_exception_int_div_zero 0
	.end_amdhsa_kernel
	.section	.text._ZN7rocprim17ROCPRIM_400000_NS6detail17trampoline_kernelINS0_14default_configENS1_35radix_sort_onesweep_config_selectorItNS0_10empty_typeEEEZZNS1_29radix_sort_onesweep_iterationIS3_Lb0EN6thrust23THRUST_200600_302600_NS6detail15normal_iteratorINS9_10device_ptrItEEEESE_PS5_SF_jNS0_19identity_decomposerENS1_16block_id_wrapperIjLb0EEEEE10hipError_tT1_PNSt15iterator_traitsISK_E10value_typeET2_T3_PNSL_ISQ_E10value_typeET4_T5_PSV_SW_PNS1_23onesweep_lookback_stateEbbT6_jjT7_P12ihipStream_tbENKUlT_T0_SK_SP_E_clISE_PtSF_SF_EEDaS13_S14_SK_SP_EUlS13_E_NS1_11comp_targetILNS1_3genE0ELNS1_11target_archE4294967295ELNS1_3gpuE0ELNS1_3repE0EEENS1_47radix_sort_onesweep_sort_config_static_selectorELNS0_4arch9wavefront6targetE1EEEvSK_,"axG",@progbits,_ZN7rocprim17ROCPRIM_400000_NS6detail17trampoline_kernelINS0_14default_configENS1_35radix_sort_onesweep_config_selectorItNS0_10empty_typeEEEZZNS1_29radix_sort_onesweep_iterationIS3_Lb0EN6thrust23THRUST_200600_302600_NS6detail15normal_iteratorINS9_10device_ptrItEEEESE_PS5_SF_jNS0_19identity_decomposerENS1_16block_id_wrapperIjLb0EEEEE10hipError_tT1_PNSt15iterator_traitsISK_E10value_typeET2_T3_PNSL_ISQ_E10value_typeET4_T5_PSV_SW_PNS1_23onesweep_lookback_stateEbbT6_jjT7_P12ihipStream_tbENKUlT_T0_SK_SP_E_clISE_PtSF_SF_EEDaS13_S14_SK_SP_EUlS13_E_NS1_11comp_targetILNS1_3genE0ELNS1_11target_archE4294967295ELNS1_3gpuE0ELNS1_3repE0EEENS1_47radix_sort_onesweep_sort_config_static_selectorELNS0_4arch9wavefront6targetE1EEEvSK_,comdat
.Lfunc_end1374:
	.size	_ZN7rocprim17ROCPRIM_400000_NS6detail17trampoline_kernelINS0_14default_configENS1_35radix_sort_onesweep_config_selectorItNS0_10empty_typeEEEZZNS1_29radix_sort_onesweep_iterationIS3_Lb0EN6thrust23THRUST_200600_302600_NS6detail15normal_iteratorINS9_10device_ptrItEEEESE_PS5_SF_jNS0_19identity_decomposerENS1_16block_id_wrapperIjLb0EEEEE10hipError_tT1_PNSt15iterator_traitsISK_E10value_typeET2_T3_PNSL_ISQ_E10value_typeET4_T5_PSV_SW_PNS1_23onesweep_lookback_stateEbbT6_jjT7_P12ihipStream_tbENKUlT_T0_SK_SP_E_clISE_PtSF_SF_EEDaS13_S14_SK_SP_EUlS13_E_NS1_11comp_targetILNS1_3genE0ELNS1_11target_archE4294967295ELNS1_3gpuE0ELNS1_3repE0EEENS1_47radix_sort_onesweep_sort_config_static_selectorELNS0_4arch9wavefront6targetE1EEEvSK_, .Lfunc_end1374-_ZN7rocprim17ROCPRIM_400000_NS6detail17trampoline_kernelINS0_14default_configENS1_35radix_sort_onesweep_config_selectorItNS0_10empty_typeEEEZZNS1_29radix_sort_onesweep_iterationIS3_Lb0EN6thrust23THRUST_200600_302600_NS6detail15normal_iteratorINS9_10device_ptrItEEEESE_PS5_SF_jNS0_19identity_decomposerENS1_16block_id_wrapperIjLb0EEEEE10hipError_tT1_PNSt15iterator_traitsISK_E10value_typeET2_T3_PNSL_ISQ_E10value_typeET4_T5_PSV_SW_PNS1_23onesweep_lookback_stateEbbT6_jjT7_P12ihipStream_tbENKUlT_T0_SK_SP_E_clISE_PtSF_SF_EEDaS13_S14_SK_SP_EUlS13_E_NS1_11comp_targetILNS1_3genE0ELNS1_11target_archE4294967295ELNS1_3gpuE0ELNS1_3repE0EEENS1_47radix_sort_onesweep_sort_config_static_selectorELNS0_4arch9wavefront6targetE1EEEvSK_
                                        ; -- End function
	.section	.AMDGPU.csdata,"",@progbits
; Kernel info:
; codeLenInByte = 0
; NumSgprs: 6
; NumVgprs: 0
; NumAgprs: 0
; TotalNumVgprs: 0
; ScratchSize: 0
; MemoryBound: 0
; FloatMode: 240
; IeeeMode: 1
; LDSByteSize: 0 bytes/workgroup (compile time only)
; SGPRBlocks: 0
; VGPRBlocks: 0
; NumSGPRsForWavesPerEU: 6
; NumVGPRsForWavesPerEU: 1
; AccumOffset: 4
; Occupancy: 8
; WaveLimiterHint : 0
; COMPUTE_PGM_RSRC2:SCRATCH_EN: 0
; COMPUTE_PGM_RSRC2:USER_SGPR: 2
; COMPUTE_PGM_RSRC2:TRAP_HANDLER: 0
; COMPUTE_PGM_RSRC2:TGID_X_EN: 1
; COMPUTE_PGM_RSRC2:TGID_Y_EN: 0
; COMPUTE_PGM_RSRC2:TGID_Z_EN: 0
; COMPUTE_PGM_RSRC2:TIDIG_COMP_CNT: 0
; COMPUTE_PGM_RSRC3_GFX90A:ACCUM_OFFSET: 0
; COMPUTE_PGM_RSRC3_GFX90A:TG_SPLIT: 0
	.section	.text._ZN7rocprim17ROCPRIM_400000_NS6detail17trampoline_kernelINS0_14default_configENS1_35radix_sort_onesweep_config_selectorItNS0_10empty_typeEEEZZNS1_29radix_sort_onesweep_iterationIS3_Lb0EN6thrust23THRUST_200600_302600_NS6detail15normal_iteratorINS9_10device_ptrItEEEESE_PS5_SF_jNS0_19identity_decomposerENS1_16block_id_wrapperIjLb0EEEEE10hipError_tT1_PNSt15iterator_traitsISK_E10value_typeET2_T3_PNSL_ISQ_E10value_typeET4_T5_PSV_SW_PNS1_23onesweep_lookback_stateEbbT6_jjT7_P12ihipStream_tbENKUlT_T0_SK_SP_E_clISE_PtSF_SF_EEDaS13_S14_SK_SP_EUlS13_E_NS1_11comp_targetILNS1_3genE6ELNS1_11target_archE950ELNS1_3gpuE13ELNS1_3repE0EEENS1_47radix_sort_onesweep_sort_config_static_selectorELNS0_4arch9wavefront6targetE1EEEvSK_,"axG",@progbits,_ZN7rocprim17ROCPRIM_400000_NS6detail17trampoline_kernelINS0_14default_configENS1_35radix_sort_onesweep_config_selectorItNS0_10empty_typeEEEZZNS1_29radix_sort_onesweep_iterationIS3_Lb0EN6thrust23THRUST_200600_302600_NS6detail15normal_iteratorINS9_10device_ptrItEEEESE_PS5_SF_jNS0_19identity_decomposerENS1_16block_id_wrapperIjLb0EEEEE10hipError_tT1_PNSt15iterator_traitsISK_E10value_typeET2_T3_PNSL_ISQ_E10value_typeET4_T5_PSV_SW_PNS1_23onesweep_lookback_stateEbbT6_jjT7_P12ihipStream_tbENKUlT_T0_SK_SP_E_clISE_PtSF_SF_EEDaS13_S14_SK_SP_EUlS13_E_NS1_11comp_targetILNS1_3genE6ELNS1_11target_archE950ELNS1_3gpuE13ELNS1_3repE0EEENS1_47radix_sort_onesweep_sort_config_static_selectorELNS0_4arch9wavefront6targetE1EEEvSK_,comdat
	.protected	_ZN7rocprim17ROCPRIM_400000_NS6detail17trampoline_kernelINS0_14default_configENS1_35radix_sort_onesweep_config_selectorItNS0_10empty_typeEEEZZNS1_29radix_sort_onesweep_iterationIS3_Lb0EN6thrust23THRUST_200600_302600_NS6detail15normal_iteratorINS9_10device_ptrItEEEESE_PS5_SF_jNS0_19identity_decomposerENS1_16block_id_wrapperIjLb0EEEEE10hipError_tT1_PNSt15iterator_traitsISK_E10value_typeET2_T3_PNSL_ISQ_E10value_typeET4_T5_PSV_SW_PNS1_23onesweep_lookback_stateEbbT6_jjT7_P12ihipStream_tbENKUlT_T0_SK_SP_E_clISE_PtSF_SF_EEDaS13_S14_SK_SP_EUlS13_E_NS1_11comp_targetILNS1_3genE6ELNS1_11target_archE950ELNS1_3gpuE13ELNS1_3repE0EEENS1_47radix_sort_onesweep_sort_config_static_selectorELNS0_4arch9wavefront6targetE1EEEvSK_ ; -- Begin function _ZN7rocprim17ROCPRIM_400000_NS6detail17trampoline_kernelINS0_14default_configENS1_35radix_sort_onesweep_config_selectorItNS0_10empty_typeEEEZZNS1_29radix_sort_onesweep_iterationIS3_Lb0EN6thrust23THRUST_200600_302600_NS6detail15normal_iteratorINS9_10device_ptrItEEEESE_PS5_SF_jNS0_19identity_decomposerENS1_16block_id_wrapperIjLb0EEEEE10hipError_tT1_PNSt15iterator_traitsISK_E10value_typeET2_T3_PNSL_ISQ_E10value_typeET4_T5_PSV_SW_PNS1_23onesweep_lookback_stateEbbT6_jjT7_P12ihipStream_tbENKUlT_T0_SK_SP_E_clISE_PtSF_SF_EEDaS13_S14_SK_SP_EUlS13_E_NS1_11comp_targetILNS1_3genE6ELNS1_11target_archE950ELNS1_3gpuE13ELNS1_3repE0EEENS1_47radix_sort_onesweep_sort_config_static_selectorELNS0_4arch9wavefront6targetE1EEEvSK_
	.globl	_ZN7rocprim17ROCPRIM_400000_NS6detail17trampoline_kernelINS0_14default_configENS1_35radix_sort_onesweep_config_selectorItNS0_10empty_typeEEEZZNS1_29radix_sort_onesweep_iterationIS3_Lb0EN6thrust23THRUST_200600_302600_NS6detail15normal_iteratorINS9_10device_ptrItEEEESE_PS5_SF_jNS0_19identity_decomposerENS1_16block_id_wrapperIjLb0EEEEE10hipError_tT1_PNSt15iterator_traitsISK_E10value_typeET2_T3_PNSL_ISQ_E10value_typeET4_T5_PSV_SW_PNS1_23onesweep_lookback_stateEbbT6_jjT7_P12ihipStream_tbENKUlT_T0_SK_SP_E_clISE_PtSF_SF_EEDaS13_S14_SK_SP_EUlS13_E_NS1_11comp_targetILNS1_3genE6ELNS1_11target_archE950ELNS1_3gpuE13ELNS1_3repE0EEENS1_47radix_sort_onesweep_sort_config_static_selectorELNS0_4arch9wavefront6targetE1EEEvSK_
	.p2align	8
	.type	_ZN7rocprim17ROCPRIM_400000_NS6detail17trampoline_kernelINS0_14default_configENS1_35radix_sort_onesweep_config_selectorItNS0_10empty_typeEEEZZNS1_29radix_sort_onesweep_iterationIS3_Lb0EN6thrust23THRUST_200600_302600_NS6detail15normal_iteratorINS9_10device_ptrItEEEESE_PS5_SF_jNS0_19identity_decomposerENS1_16block_id_wrapperIjLb0EEEEE10hipError_tT1_PNSt15iterator_traitsISK_E10value_typeET2_T3_PNSL_ISQ_E10value_typeET4_T5_PSV_SW_PNS1_23onesweep_lookback_stateEbbT6_jjT7_P12ihipStream_tbENKUlT_T0_SK_SP_E_clISE_PtSF_SF_EEDaS13_S14_SK_SP_EUlS13_E_NS1_11comp_targetILNS1_3genE6ELNS1_11target_archE950ELNS1_3gpuE13ELNS1_3repE0EEENS1_47radix_sort_onesweep_sort_config_static_selectorELNS0_4arch9wavefront6targetE1EEEvSK_,@function
_ZN7rocprim17ROCPRIM_400000_NS6detail17trampoline_kernelINS0_14default_configENS1_35radix_sort_onesweep_config_selectorItNS0_10empty_typeEEEZZNS1_29radix_sort_onesweep_iterationIS3_Lb0EN6thrust23THRUST_200600_302600_NS6detail15normal_iteratorINS9_10device_ptrItEEEESE_PS5_SF_jNS0_19identity_decomposerENS1_16block_id_wrapperIjLb0EEEEE10hipError_tT1_PNSt15iterator_traitsISK_E10value_typeET2_T3_PNSL_ISQ_E10value_typeET4_T5_PSV_SW_PNS1_23onesweep_lookback_stateEbbT6_jjT7_P12ihipStream_tbENKUlT_T0_SK_SP_E_clISE_PtSF_SF_EEDaS13_S14_SK_SP_EUlS13_E_NS1_11comp_targetILNS1_3genE6ELNS1_11target_archE950ELNS1_3gpuE13ELNS1_3repE0EEENS1_47radix_sort_onesweep_sort_config_static_selectorELNS0_4arch9wavefront6targetE1EEEvSK_: ; @_ZN7rocprim17ROCPRIM_400000_NS6detail17trampoline_kernelINS0_14default_configENS1_35radix_sort_onesweep_config_selectorItNS0_10empty_typeEEEZZNS1_29radix_sort_onesweep_iterationIS3_Lb0EN6thrust23THRUST_200600_302600_NS6detail15normal_iteratorINS9_10device_ptrItEEEESE_PS5_SF_jNS0_19identity_decomposerENS1_16block_id_wrapperIjLb0EEEEE10hipError_tT1_PNSt15iterator_traitsISK_E10value_typeET2_T3_PNSL_ISQ_E10value_typeET4_T5_PSV_SW_PNS1_23onesweep_lookback_stateEbbT6_jjT7_P12ihipStream_tbENKUlT_T0_SK_SP_E_clISE_PtSF_SF_EEDaS13_S14_SK_SP_EUlS13_E_NS1_11comp_targetILNS1_3genE6ELNS1_11target_archE950ELNS1_3gpuE13ELNS1_3repE0EEENS1_47radix_sort_onesweep_sort_config_static_selectorELNS0_4arch9wavefront6targetE1EEEvSK_
; %bb.0:
	.section	.rodata,"a",@progbits
	.p2align	6, 0x0
	.amdhsa_kernel _ZN7rocprim17ROCPRIM_400000_NS6detail17trampoline_kernelINS0_14default_configENS1_35radix_sort_onesweep_config_selectorItNS0_10empty_typeEEEZZNS1_29radix_sort_onesweep_iterationIS3_Lb0EN6thrust23THRUST_200600_302600_NS6detail15normal_iteratorINS9_10device_ptrItEEEESE_PS5_SF_jNS0_19identity_decomposerENS1_16block_id_wrapperIjLb0EEEEE10hipError_tT1_PNSt15iterator_traitsISK_E10value_typeET2_T3_PNSL_ISQ_E10value_typeET4_T5_PSV_SW_PNS1_23onesweep_lookback_stateEbbT6_jjT7_P12ihipStream_tbENKUlT_T0_SK_SP_E_clISE_PtSF_SF_EEDaS13_S14_SK_SP_EUlS13_E_NS1_11comp_targetILNS1_3genE6ELNS1_11target_archE950ELNS1_3gpuE13ELNS1_3repE0EEENS1_47radix_sort_onesweep_sort_config_static_selectorELNS0_4arch9wavefront6targetE1EEEvSK_
		.amdhsa_group_segment_fixed_size 0
		.amdhsa_private_segment_fixed_size 0
		.amdhsa_kernarg_size 88
		.amdhsa_user_sgpr_count 2
		.amdhsa_user_sgpr_dispatch_ptr 0
		.amdhsa_user_sgpr_queue_ptr 0
		.amdhsa_user_sgpr_kernarg_segment_ptr 1
		.amdhsa_user_sgpr_dispatch_id 0
		.amdhsa_user_sgpr_kernarg_preload_length 0
		.amdhsa_user_sgpr_kernarg_preload_offset 0
		.amdhsa_user_sgpr_private_segment_size 0
		.amdhsa_uses_dynamic_stack 0
		.amdhsa_enable_private_segment 0
		.amdhsa_system_sgpr_workgroup_id_x 1
		.amdhsa_system_sgpr_workgroup_id_y 0
		.amdhsa_system_sgpr_workgroup_id_z 0
		.amdhsa_system_sgpr_workgroup_info 0
		.amdhsa_system_vgpr_workitem_id 0
		.amdhsa_next_free_vgpr 1
		.amdhsa_next_free_sgpr 0
		.amdhsa_accum_offset 4
		.amdhsa_reserve_vcc 0
		.amdhsa_float_round_mode_32 0
		.amdhsa_float_round_mode_16_64 0
		.amdhsa_float_denorm_mode_32 3
		.amdhsa_float_denorm_mode_16_64 3
		.amdhsa_dx10_clamp 1
		.amdhsa_ieee_mode 1
		.amdhsa_fp16_overflow 0
		.amdhsa_tg_split 0
		.amdhsa_exception_fp_ieee_invalid_op 0
		.amdhsa_exception_fp_denorm_src 0
		.amdhsa_exception_fp_ieee_div_zero 0
		.amdhsa_exception_fp_ieee_overflow 0
		.amdhsa_exception_fp_ieee_underflow 0
		.amdhsa_exception_fp_ieee_inexact 0
		.amdhsa_exception_int_div_zero 0
	.end_amdhsa_kernel
	.section	.text._ZN7rocprim17ROCPRIM_400000_NS6detail17trampoline_kernelINS0_14default_configENS1_35radix_sort_onesweep_config_selectorItNS0_10empty_typeEEEZZNS1_29radix_sort_onesweep_iterationIS3_Lb0EN6thrust23THRUST_200600_302600_NS6detail15normal_iteratorINS9_10device_ptrItEEEESE_PS5_SF_jNS0_19identity_decomposerENS1_16block_id_wrapperIjLb0EEEEE10hipError_tT1_PNSt15iterator_traitsISK_E10value_typeET2_T3_PNSL_ISQ_E10value_typeET4_T5_PSV_SW_PNS1_23onesweep_lookback_stateEbbT6_jjT7_P12ihipStream_tbENKUlT_T0_SK_SP_E_clISE_PtSF_SF_EEDaS13_S14_SK_SP_EUlS13_E_NS1_11comp_targetILNS1_3genE6ELNS1_11target_archE950ELNS1_3gpuE13ELNS1_3repE0EEENS1_47radix_sort_onesweep_sort_config_static_selectorELNS0_4arch9wavefront6targetE1EEEvSK_,"axG",@progbits,_ZN7rocprim17ROCPRIM_400000_NS6detail17trampoline_kernelINS0_14default_configENS1_35radix_sort_onesweep_config_selectorItNS0_10empty_typeEEEZZNS1_29radix_sort_onesweep_iterationIS3_Lb0EN6thrust23THRUST_200600_302600_NS6detail15normal_iteratorINS9_10device_ptrItEEEESE_PS5_SF_jNS0_19identity_decomposerENS1_16block_id_wrapperIjLb0EEEEE10hipError_tT1_PNSt15iterator_traitsISK_E10value_typeET2_T3_PNSL_ISQ_E10value_typeET4_T5_PSV_SW_PNS1_23onesweep_lookback_stateEbbT6_jjT7_P12ihipStream_tbENKUlT_T0_SK_SP_E_clISE_PtSF_SF_EEDaS13_S14_SK_SP_EUlS13_E_NS1_11comp_targetILNS1_3genE6ELNS1_11target_archE950ELNS1_3gpuE13ELNS1_3repE0EEENS1_47radix_sort_onesweep_sort_config_static_selectorELNS0_4arch9wavefront6targetE1EEEvSK_,comdat
.Lfunc_end1375:
	.size	_ZN7rocprim17ROCPRIM_400000_NS6detail17trampoline_kernelINS0_14default_configENS1_35radix_sort_onesweep_config_selectorItNS0_10empty_typeEEEZZNS1_29radix_sort_onesweep_iterationIS3_Lb0EN6thrust23THRUST_200600_302600_NS6detail15normal_iteratorINS9_10device_ptrItEEEESE_PS5_SF_jNS0_19identity_decomposerENS1_16block_id_wrapperIjLb0EEEEE10hipError_tT1_PNSt15iterator_traitsISK_E10value_typeET2_T3_PNSL_ISQ_E10value_typeET4_T5_PSV_SW_PNS1_23onesweep_lookback_stateEbbT6_jjT7_P12ihipStream_tbENKUlT_T0_SK_SP_E_clISE_PtSF_SF_EEDaS13_S14_SK_SP_EUlS13_E_NS1_11comp_targetILNS1_3genE6ELNS1_11target_archE950ELNS1_3gpuE13ELNS1_3repE0EEENS1_47radix_sort_onesweep_sort_config_static_selectorELNS0_4arch9wavefront6targetE1EEEvSK_, .Lfunc_end1375-_ZN7rocprim17ROCPRIM_400000_NS6detail17trampoline_kernelINS0_14default_configENS1_35radix_sort_onesweep_config_selectorItNS0_10empty_typeEEEZZNS1_29radix_sort_onesweep_iterationIS3_Lb0EN6thrust23THRUST_200600_302600_NS6detail15normal_iteratorINS9_10device_ptrItEEEESE_PS5_SF_jNS0_19identity_decomposerENS1_16block_id_wrapperIjLb0EEEEE10hipError_tT1_PNSt15iterator_traitsISK_E10value_typeET2_T3_PNSL_ISQ_E10value_typeET4_T5_PSV_SW_PNS1_23onesweep_lookback_stateEbbT6_jjT7_P12ihipStream_tbENKUlT_T0_SK_SP_E_clISE_PtSF_SF_EEDaS13_S14_SK_SP_EUlS13_E_NS1_11comp_targetILNS1_3genE6ELNS1_11target_archE950ELNS1_3gpuE13ELNS1_3repE0EEENS1_47radix_sort_onesweep_sort_config_static_selectorELNS0_4arch9wavefront6targetE1EEEvSK_
                                        ; -- End function
	.section	.AMDGPU.csdata,"",@progbits
; Kernel info:
; codeLenInByte = 0
; NumSgprs: 6
; NumVgprs: 0
; NumAgprs: 0
; TotalNumVgprs: 0
; ScratchSize: 0
; MemoryBound: 0
; FloatMode: 240
; IeeeMode: 1
; LDSByteSize: 0 bytes/workgroup (compile time only)
; SGPRBlocks: 0
; VGPRBlocks: 0
; NumSGPRsForWavesPerEU: 6
; NumVGPRsForWavesPerEU: 1
; AccumOffset: 4
; Occupancy: 8
; WaveLimiterHint : 0
; COMPUTE_PGM_RSRC2:SCRATCH_EN: 0
; COMPUTE_PGM_RSRC2:USER_SGPR: 2
; COMPUTE_PGM_RSRC2:TRAP_HANDLER: 0
; COMPUTE_PGM_RSRC2:TGID_X_EN: 1
; COMPUTE_PGM_RSRC2:TGID_Y_EN: 0
; COMPUTE_PGM_RSRC2:TGID_Z_EN: 0
; COMPUTE_PGM_RSRC2:TIDIG_COMP_CNT: 0
; COMPUTE_PGM_RSRC3_GFX90A:ACCUM_OFFSET: 0
; COMPUTE_PGM_RSRC3_GFX90A:TG_SPLIT: 0
	.section	.text._ZN7rocprim17ROCPRIM_400000_NS6detail17trampoline_kernelINS0_14default_configENS1_35radix_sort_onesweep_config_selectorItNS0_10empty_typeEEEZZNS1_29radix_sort_onesweep_iterationIS3_Lb0EN6thrust23THRUST_200600_302600_NS6detail15normal_iteratorINS9_10device_ptrItEEEESE_PS5_SF_jNS0_19identity_decomposerENS1_16block_id_wrapperIjLb0EEEEE10hipError_tT1_PNSt15iterator_traitsISK_E10value_typeET2_T3_PNSL_ISQ_E10value_typeET4_T5_PSV_SW_PNS1_23onesweep_lookback_stateEbbT6_jjT7_P12ihipStream_tbENKUlT_T0_SK_SP_E_clISE_PtSF_SF_EEDaS13_S14_SK_SP_EUlS13_E_NS1_11comp_targetILNS1_3genE5ELNS1_11target_archE942ELNS1_3gpuE9ELNS1_3repE0EEENS1_47radix_sort_onesweep_sort_config_static_selectorELNS0_4arch9wavefront6targetE1EEEvSK_,"axG",@progbits,_ZN7rocprim17ROCPRIM_400000_NS6detail17trampoline_kernelINS0_14default_configENS1_35radix_sort_onesweep_config_selectorItNS0_10empty_typeEEEZZNS1_29radix_sort_onesweep_iterationIS3_Lb0EN6thrust23THRUST_200600_302600_NS6detail15normal_iteratorINS9_10device_ptrItEEEESE_PS5_SF_jNS0_19identity_decomposerENS1_16block_id_wrapperIjLb0EEEEE10hipError_tT1_PNSt15iterator_traitsISK_E10value_typeET2_T3_PNSL_ISQ_E10value_typeET4_T5_PSV_SW_PNS1_23onesweep_lookback_stateEbbT6_jjT7_P12ihipStream_tbENKUlT_T0_SK_SP_E_clISE_PtSF_SF_EEDaS13_S14_SK_SP_EUlS13_E_NS1_11comp_targetILNS1_3genE5ELNS1_11target_archE942ELNS1_3gpuE9ELNS1_3repE0EEENS1_47radix_sort_onesweep_sort_config_static_selectorELNS0_4arch9wavefront6targetE1EEEvSK_,comdat
	.protected	_ZN7rocprim17ROCPRIM_400000_NS6detail17trampoline_kernelINS0_14default_configENS1_35radix_sort_onesweep_config_selectorItNS0_10empty_typeEEEZZNS1_29radix_sort_onesweep_iterationIS3_Lb0EN6thrust23THRUST_200600_302600_NS6detail15normal_iteratorINS9_10device_ptrItEEEESE_PS5_SF_jNS0_19identity_decomposerENS1_16block_id_wrapperIjLb0EEEEE10hipError_tT1_PNSt15iterator_traitsISK_E10value_typeET2_T3_PNSL_ISQ_E10value_typeET4_T5_PSV_SW_PNS1_23onesweep_lookback_stateEbbT6_jjT7_P12ihipStream_tbENKUlT_T0_SK_SP_E_clISE_PtSF_SF_EEDaS13_S14_SK_SP_EUlS13_E_NS1_11comp_targetILNS1_3genE5ELNS1_11target_archE942ELNS1_3gpuE9ELNS1_3repE0EEENS1_47radix_sort_onesweep_sort_config_static_selectorELNS0_4arch9wavefront6targetE1EEEvSK_ ; -- Begin function _ZN7rocprim17ROCPRIM_400000_NS6detail17trampoline_kernelINS0_14default_configENS1_35radix_sort_onesweep_config_selectorItNS0_10empty_typeEEEZZNS1_29radix_sort_onesweep_iterationIS3_Lb0EN6thrust23THRUST_200600_302600_NS6detail15normal_iteratorINS9_10device_ptrItEEEESE_PS5_SF_jNS0_19identity_decomposerENS1_16block_id_wrapperIjLb0EEEEE10hipError_tT1_PNSt15iterator_traitsISK_E10value_typeET2_T3_PNSL_ISQ_E10value_typeET4_T5_PSV_SW_PNS1_23onesweep_lookback_stateEbbT6_jjT7_P12ihipStream_tbENKUlT_T0_SK_SP_E_clISE_PtSF_SF_EEDaS13_S14_SK_SP_EUlS13_E_NS1_11comp_targetILNS1_3genE5ELNS1_11target_archE942ELNS1_3gpuE9ELNS1_3repE0EEENS1_47radix_sort_onesweep_sort_config_static_selectorELNS0_4arch9wavefront6targetE1EEEvSK_
	.globl	_ZN7rocprim17ROCPRIM_400000_NS6detail17trampoline_kernelINS0_14default_configENS1_35radix_sort_onesweep_config_selectorItNS0_10empty_typeEEEZZNS1_29radix_sort_onesweep_iterationIS3_Lb0EN6thrust23THRUST_200600_302600_NS6detail15normal_iteratorINS9_10device_ptrItEEEESE_PS5_SF_jNS0_19identity_decomposerENS1_16block_id_wrapperIjLb0EEEEE10hipError_tT1_PNSt15iterator_traitsISK_E10value_typeET2_T3_PNSL_ISQ_E10value_typeET4_T5_PSV_SW_PNS1_23onesweep_lookback_stateEbbT6_jjT7_P12ihipStream_tbENKUlT_T0_SK_SP_E_clISE_PtSF_SF_EEDaS13_S14_SK_SP_EUlS13_E_NS1_11comp_targetILNS1_3genE5ELNS1_11target_archE942ELNS1_3gpuE9ELNS1_3repE0EEENS1_47radix_sort_onesweep_sort_config_static_selectorELNS0_4arch9wavefront6targetE1EEEvSK_
	.p2align	8
	.type	_ZN7rocprim17ROCPRIM_400000_NS6detail17trampoline_kernelINS0_14default_configENS1_35radix_sort_onesweep_config_selectorItNS0_10empty_typeEEEZZNS1_29radix_sort_onesweep_iterationIS3_Lb0EN6thrust23THRUST_200600_302600_NS6detail15normal_iteratorINS9_10device_ptrItEEEESE_PS5_SF_jNS0_19identity_decomposerENS1_16block_id_wrapperIjLb0EEEEE10hipError_tT1_PNSt15iterator_traitsISK_E10value_typeET2_T3_PNSL_ISQ_E10value_typeET4_T5_PSV_SW_PNS1_23onesweep_lookback_stateEbbT6_jjT7_P12ihipStream_tbENKUlT_T0_SK_SP_E_clISE_PtSF_SF_EEDaS13_S14_SK_SP_EUlS13_E_NS1_11comp_targetILNS1_3genE5ELNS1_11target_archE942ELNS1_3gpuE9ELNS1_3repE0EEENS1_47radix_sort_onesweep_sort_config_static_selectorELNS0_4arch9wavefront6targetE1EEEvSK_,@function
_ZN7rocprim17ROCPRIM_400000_NS6detail17trampoline_kernelINS0_14default_configENS1_35radix_sort_onesweep_config_selectorItNS0_10empty_typeEEEZZNS1_29radix_sort_onesweep_iterationIS3_Lb0EN6thrust23THRUST_200600_302600_NS6detail15normal_iteratorINS9_10device_ptrItEEEESE_PS5_SF_jNS0_19identity_decomposerENS1_16block_id_wrapperIjLb0EEEEE10hipError_tT1_PNSt15iterator_traitsISK_E10value_typeET2_T3_PNSL_ISQ_E10value_typeET4_T5_PSV_SW_PNS1_23onesweep_lookback_stateEbbT6_jjT7_P12ihipStream_tbENKUlT_T0_SK_SP_E_clISE_PtSF_SF_EEDaS13_S14_SK_SP_EUlS13_E_NS1_11comp_targetILNS1_3genE5ELNS1_11target_archE942ELNS1_3gpuE9ELNS1_3repE0EEENS1_47radix_sort_onesweep_sort_config_static_selectorELNS0_4arch9wavefront6targetE1EEEvSK_: ; @_ZN7rocprim17ROCPRIM_400000_NS6detail17trampoline_kernelINS0_14default_configENS1_35radix_sort_onesweep_config_selectorItNS0_10empty_typeEEEZZNS1_29radix_sort_onesweep_iterationIS3_Lb0EN6thrust23THRUST_200600_302600_NS6detail15normal_iteratorINS9_10device_ptrItEEEESE_PS5_SF_jNS0_19identity_decomposerENS1_16block_id_wrapperIjLb0EEEEE10hipError_tT1_PNSt15iterator_traitsISK_E10value_typeET2_T3_PNSL_ISQ_E10value_typeET4_T5_PSV_SW_PNS1_23onesweep_lookback_stateEbbT6_jjT7_P12ihipStream_tbENKUlT_T0_SK_SP_E_clISE_PtSF_SF_EEDaS13_S14_SK_SP_EUlS13_E_NS1_11comp_targetILNS1_3genE5ELNS1_11target_archE942ELNS1_3gpuE9ELNS1_3repE0EEENS1_47radix_sort_onesweep_sort_config_static_selectorELNS0_4arch9wavefront6targetE1EEEvSK_
; %bb.0:
	s_load_dwordx4 s[24:27], s[0:1], 0x44
	s_load_dwordx2 s[28:29], s[0:1], 0x38
	s_load_dwordx4 s[20:23], s[0:1], 0x0
	s_load_dwordx4 s[16:19], s[0:1], 0x28
	s_mul_i32 s30, s2, 0x3000
	s_waitcnt lgkmcnt(0)
	s_cmp_ge_u32 s2, s26
	v_mbcnt_lo_u32_b32 v1, -1, 0
	s_cbranch_scc0 .LBB1376_96
; %bb.1:
	s_load_dword s3, s[0:1], 0x20
	s_mul_i32 s6, s26, 0xffffd000
	s_mov_b32 s31, 0
	v_and_b32_e32 v2, 0x3ff, v0
	s_lshl_b64 s[4:5], s[30:31], 1
	s_waitcnt lgkmcnt(0)
	s_add_i32 s3, s3, s6
	v_mbcnt_hi_u32_b32 v13, -1, v1
	s_add_u32 s4, s20, s4
	v_and_b32_e32 v3, 63, v13
	v_and_b32_e32 v4, 0x3c0, v2
	s_addc_u32 s5, s21, s5
	v_mul_u32_u24_e32 v8, 12, v4
	v_lshlrev_b32_e32 v4, 1, v3
	v_mov_b32_e32 v5, 0
	v_lshl_add_u64 v[6:7], s[4:5], 0, v[4:5]
	v_lshlrev_b32_e32 v4, 1, v8
	v_lshl_add_u64 v[4:5], v[6:7], 0, v[4:5]
	v_or_b32_e32 v6, v3, v8
	v_cmp_gt_u32_e32 vcc, s3, v6
	v_mov_b32_e32 v3, -1
	v_mov_b32_e32 v8, -1
	s_and_saveexec_b64 s[4:5], vcc
	s_cbranch_execz .LBB1376_3
; %bb.2:
	global_load_ushort v8, v[4:5], off
.LBB1376_3:
	s_or_b64 exec, exec, s[4:5]
	v_or_b32_e32 v7, 64, v6
	v_cmp_gt_u32_e32 vcc, s3, v7
	s_and_saveexec_b64 s[4:5], vcc
	s_cbranch_execz .LBB1376_5
; %bb.4:
	global_load_ushort v3, v[4:5], off offset:128
.LBB1376_5:
	s_or_b64 exec, exec, s[4:5]
	v_or_b32_e32 v7, 0x80, v6
	v_cmp_gt_u32_e32 vcc, s3, v7
	v_mov_b32_e32 v9, -1
	v_mov_b32_e32 v10, -1
	s_and_saveexec_b64 s[4:5], vcc
	s_cbranch_execz .LBB1376_7
; %bb.6:
	global_load_ushort v10, v[4:5], off offset:256
.LBB1376_7:
	s_or_b64 exec, exec, s[4:5]
	v_or_b32_e32 v7, 0xc0, v6
	v_cmp_gt_u32_e32 vcc, s3, v7
	s_and_saveexec_b64 s[4:5], vcc
	s_cbranch_execz .LBB1376_9
; %bb.8:
	global_load_ushort v9, v[4:5], off offset:384
.LBB1376_9:
	s_or_b64 exec, exec, s[4:5]
	v_add_u32_e32 v7, 0x100, v6
	v_cmp_gt_u32_e32 vcc, s3, v7
	v_mov_b32_e32 v11, -1
	v_mov_b32_e32 v12, -1
	s_and_saveexec_b64 s[4:5], vcc
	s_cbranch_execz .LBB1376_11
; %bb.10:
	global_load_ushort v12, v[4:5], off offset:512
.LBB1376_11:
	s_or_b64 exec, exec, s[4:5]
	v_add_u32_e32 v7, 0x140, v6
	v_cmp_gt_u32_e32 vcc, s3, v7
	s_and_saveexec_b64 s[4:5], vcc
	s_cbranch_execz .LBB1376_13
; %bb.12:
	global_load_ushort v11, v[4:5], off offset:640
.LBB1376_13:
	s_or_b64 exec, exec, s[4:5]
	v_add_u32_e32 v7, 0x180, v6
	v_cmp_gt_u32_e32 vcc, s3, v7
	v_mov_b32_e32 v14, -1
	v_mov_b32_e32 v15, -1
	s_and_saveexec_b64 s[4:5], vcc
	s_cbranch_execz .LBB1376_15
; %bb.14:
	global_load_ushort v15, v[4:5], off offset:768
.LBB1376_15:
	s_or_b64 exec, exec, s[4:5]
	v_add_u32_e32 v7, 0x1c0, v6
	;; [unrolled: 18-line block ×4, first 2 shown]
	v_cmp_gt_u32_e32 vcc, s3, v6
	s_and_saveexec_b64 s[4:5], vcc
	s_cbranch_execz .LBB1376_25
; %bb.24:
	global_load_ushort v18, v[4:5], off offset:1408
.LBB1376_25:
	s_or_b64 exec, exec, s[4:5]
	s_load_dword s4, s[0:1], 0x64
	s_load_dword s26, s[0:1], 0x58
	s_add_u32 s5, s0, 0x58
	s_addc_u32 s6, s1, 0
	v_mov_b32_e32 v5, 0
	s_waitcnt lgkmcnt(0)
	s_lshr_b32 s7, s4, 16
	s_cmp_lt_u32 s2, s26
	s_cselect_b32 s4, 12, 18
	s_add_u32 s4, s5, s4
	s_addc_u32 s5, s6, 0
	global_load_ushort v21, v5, s[4:5]
	s_lshl_b32 s4, -1, s25
	s_waitcnt vmcnt(1)
	v_lshrrev_b32_sdwa v23, s24, v8 dst_sel:DWORD dst_unused:UNUSED_PAD src0_sel:DWORD src1_sel:WORD_0
	s_not_b32 s27, s4
	v_bfe_u32 v4, v0, 10, 10
	v_bfe_u32 v7, v0, 20, 10
	v_and_b32_e32 v33, s27, v23
	v_mul_u32_u24_e32 v6, 5, v2
	v_mad_u32_u24 v32, v7, s7, v4
	v_and_b32_e32 v4, 1, v33
	v_lshlrev_b32_e32 v7, 30, v33
	v_lshlrev_b32_e32 v20, 2, v6
	v_mov_b32_e32 v6, v5
	v_mov_b32_e32 v24, v5
	v_lshlrev_b32_e32 v23, 29, v33
	v_lshlrev_b32_e32 v25, 28, v33
	v_lshl_add_u64 v[34:35], v[4:5], 0, -1
	v_cmp_ne_u32_e32 vcc, 0, v4
	v_not_b32_e32 v4, v7
	v_mov_b32_e32 v22, v5
	v_mov_b32_e32 v26, v5
	v_lshlrev_b32_e32 v27, 27, v33
	v_cmp_gt_i64_e64 s[4:5], 0, v[6:7]
	v_not_b32_e32 v6, v23
	v_cmp_gt_i64_e64 s[8:9], 0, v[24:25]
	v_not_b32_e32 v7, v25
	v_xor_b32_e32 v25, vcc_hi, v35
	v_ashrrev_i32_e32 v4, 31, v4
	v_mov_b32_e32 v28, v5
	v_lshlrev_b32_e32 v29, 26, v33
	v_cmp_gt_i64_e64 s[6:7], 0, v[22:23]
	v_cmp_gt_i64_e64 s[10:11], 0, v[26:27]
	v_not_b32_e32 v22, v27
	v_xor_b32_e32 v26, vcc_lo, v34
	v_ashrrev_i32_e32 v6, 31, v6
	v_and_b32_e32 v25, exec_hi, v25
	v_xor_b32_e32 v27, s5, v4
	v_cmp_gt_i64_e64 s[12:13], 0, v[28:29]
	v_ashrrev_i32_e32 v7, 31, v7
	v_and_b32_e32 v26, exec_lo, v26
	v_xor_b32_e32 v4, s4, v4
	v_xor_b32_e32 v28, s7, v6
	v_and_b32_e32 v25, v25, v27
	v_mov_b32_e32 v30, v5
	v_lshlrev_b32_e32 v31, 25, v33
	v_not_b32_e32 v23, v29
	v_ashrrev_i32_e32 v22, 31, v22
	v_xor_b32_e32 v6, s6, v6
	v_xor_b32_e32 v29, s9, v7
	v_and_b32_e32 v4, v26, v4
	v_and_b32_e32 v25, v25, v28
	v_cmp_gt_i64_e64 s[14:15], 0, v[30:31]
	v_not_b32_e32 v24, v31
	v_ashrrev_i32_e32 v23, 31, v23
	v_xor_b32_e32 v30, s11, v22
	v_and_b32_e32 v4, v4, v6
	v_and_b32_e32 v6, v25, v29
	v_ashrrev_i32_e32 v24, 31, v24
	v_xor_b32_e32 v7, s8, v7
	v_xor_b32_e32 v31, s13, v23
	v_and_b32_e32 v6, v6, v30
	v_xor_b32_e32 v22, s10, v22
	v_xor_b32_e32 v34, s15, v24
	v_and_b32_e32 v4, v4, v7
	v_and_b32_e32 v6, v6, v31
	v_mul_u32_u24_e32 v36, 17, v33
	v_lshlrev_b32_e32 v33, 24, v33
	v_and_b32_e32 v4, v4, v22
	v_and_b32_e32 v22, v6, v34
	v_xor_b32_e32 v23, s12, v23
	v_xor_b32_e32 v24, s14, v24
	v_and_b32_e32 v4, v4, v23
	v_and_b32_e32 v4, v4, v24
	ds_write2_b32 v20, v5, v5 offset0:16 offset1:17
	ds_write2_b32 v20, v5, v5 offset0:18 offset1:19
	ds_write_b32 v20, v5 offset:80
	s_waitcnt lgkmcnt(0)
	s_barrier
	s_waitcnt lgkmcnt(0)
	; wave barrier
	s_waitcnt vmcnt(0)
	v_mad_u64_u32 v[6:7], s[4:5], v32, v21, v[2:3]
	v_lshrrev_b32_e32 v30, 6, v6
	v_mov_b32_e32 v32, v5
	v_not_b32_e32 v6, v33
	v_cmp_gt_i64_e32 vcc, 0, v[32:33]
	v_ashrrev_i32_e32 v6, 31, v6
	v_add_lshl_u32 v23, v30, v36, 2
	v_xor_b32_e32 v7, vcc_hi, v6
	v_xor_b32_e32 v6, vcc_lo, v6
	v_and_b32_e32 v6, v4, v6
	v_and_b32_e32 v7, v22, v7
	v_mbcnt_lo_u32_b32 v4, v6, 0
	v_mbcnt_hi_u32_b32 v21, v7, v4
	v_cmp_eq_u32_e32 vcc, 0, v21
	v_cmp_ne_u64_e64 s[4:5], 0, v[6:7]
	s_and_b64 s[6:7], s[4:5], vcc
	s_and_saveexec_b64 s[4:5], s[6:7]
	s_cbranch_execz .LBB1376_27
; %bb.26:
	v_bcnt_u32_b32 v4, v6, 0
	v_bcnt_u32_b32 v4, v7, v4
	ds_write_b32 v23, v4 offset:64
.LBB1376_27:
	s_or_b64 exec, exec, s[4:5]
	v_lshrrev_b32_sdwa v4, s24, v3 dst_sel:DWORD dst_unused:UNUSED_PAD src0_sel:DWORD src1_sel:WORD_0
	v_and_b32_e32 v25, s27, v4
	v_mul_u32_u24_e32 v4, 17, v25
	v_add_lshl_u32 v24, v30, v4, 2
	v_and_b32_e32 v4, 1, v25
	v_lshl_add_u64 v[6:7], v[4:5], 0, -1
	v_cmp_ne_u32_e32 vcc, 0, v4
	; wave barrier
	s_nop 1
	v_xor_b32_e32 v6, vcc_lo, v6
	v_xor_b32_e32 v4, vcc_hi, v7
	v_and_b32_e32 v26, exec_lo, v6
	v_lshlrev_b32_e32 v7, 30, v25
	v_mov_b32_e32 v6, v5
	v_cmp_gt_i64_e32 vcc, 0, v[6:7]
	v_not_b32_e32 v6, v7
	v_ashrrev_i32_e32 v6, 31, v6
	v_and_b32_e32 v4, exec_hi, v4
	v_xor_b32_e32 v7, vcc_hi, v6
	v_xor_b32_e32 v6, vcc_lo, v6
	v_and_b32_e32 v4, v4, v7
	v_and_b32_e32 v26, v26, v6
	v_lshlrev_b32_e32 v7, 29, v25
	v_mov_b32_e32 v6, v5
	v_cmp_gt_i64_e32 vcc, 0, v[6:7]
	v_not_b32_e32 v6, v7
	v_ashrrev_i32_e32 v6, 31, v6
	v_xor_b32_e32 v7, vcc_hi, v6
	v_xor_b32_e32 v6, vcc_lo, v6
	v_and_b32_e32 v4, v4, v7
	v_and_b32_e32 v26, v26, v6
	v_lshlrev_b32_e32 v7, 28, v25
	v_mov_b32_e32 v6, v5
	v_cmp_gt_i64_e32 vcc, 0, v[6:7]
	v_not_b32_e32 v6, v7
	v_ashrrev_i32_e32 v6, 31, v6
	;; [unrolled: 9-line block ×5, first 2 shown]
	v_xor_b32_e32 v7, vcc_hi, v6
	v_xor_b32_e32 v6, vcc_lo, v6
	v_and_b32_e32 v4, v4, v7
	v_lshlrev_b32_e32 v7, 24, v25
	v_and_b32_e32 v26, v26, v6
	v_mov_b32_e32 v6, v5
	v_not_b32_e32 v5, v7
	v_cmp_gt_i64_e32 vcc, 0, v[6:7]
	v_ashrrev_i32_e32 v5, 31, v5
	ds_read_b32 v22, v24 offset:64
	v_xor_b32_e32 v6, vcc_hi, v5
	v_xor_b32_e32 v7, vcc_lo, v5
	v_and_b32_e32 v5, v4, v6
	v_and_b32_e32 v4, v26, v7
	v_mbcnt_lo_u32_b32 v6, v4, 0
	v_mbcnt_hi_u32_b32 v25, v5, v6
	v_cmp_eq_u32_e32 vcc, 0, v25
	v_cmp_ne_u64_e64 s[4:5], 0, v[4:5]
	s_and_b64 s[6:7], s[4:5], vcc
	; wave barrier
	s_and_saveexec_b64 s[4:5], s[6:7]
	s_cbranch_execz .LBB1376_29
; %bb.28:
	v_bcnt_u32_b32 v4, v4, 0
	v_bcnt_u32_b32 v4, v5, v4
	s_waitcnt lgkmcnt(0)
	v_add_u32_e32 v4, v22, v4
	ds_write_b32 v24, v4 offset:64
.LBB1376_29:
	s_or_b64 exec, exec, s[4:5]
	v_lshrrev_b32_sdwa v4, s24, v10 dst_sel:DWORD dst_unused:UNUSED_PAD src0_sel:DWORD src1_sel:WORD_0
	v_and_b32_e32 v28, s27, v4
	v_mul_u32_u24_e32 v4, 17, v28
	v_add_lshl_u32 v27, v30, v4, 2
	v_and_b32_e32 v4, 1, v28
	v_mov_b32_e32 v5, 0
	v_lshl_add_u64 v[6:7], v[4:5], 0, -1
	v_cmp_ne_u32_e32 vcc, 0, v4
	; wave barrier
	s_nop 1
	v_xor_b32_e32 v6, vcc_lo, v6
	v_xor_b32_e32 v4, vcc_hi, v7
	v_and_b32_e32 v29, exec_lo, v6
	v_lshlrev_b32_e32 v7, 30, v28
	v_mov_b32_e32 v6, v5
	v_cmp_gt_i64_e32 vcc, 0, v[6:7]
	v_not_b32_e32 v6, v7
	v_ashrrev_i32_e32 v6, 31, v6
	v_and_b32_e32 v4, exec_hi, v4
	v_xor_b32_e32 v7, vcc_hi, v6
	v_xor_b32_e32 v6, vcc_lo, v6
	v_and_b32_e32 v4, v4, v7
	v_and_b32_e32 v29, v29, v6
	v_lshlrev_b32_e32 v7, 29, v28
	v_mov_b32_e32 v6, v5
	v_cmp_gt_i64_e32 vcc, 0, v[6:7]
	v_not_b32_e32 v6, v7
	v_ashrrev_i32_e32 v6, 31, v6
	v_xor_b32_e32 v7, vcc_hi, v6
	v_xor_b32_e32 v6, vcc_lo, v6
	v_and_b32_e32 v4, v4, v7
	v_and_b32_e32 v29, v29, v6
	v_lshlrev_b32_e32 v7, 28, v28
	v_mov_b32_e32 v6, v5
	v_cmp_gt_i64_e32 vcc, 0, v[6:7]
	v_not_b32_e32 v6, v7
	v_ashrrev_i32_e32 v6, 31, v6
	;; [unrolled: 9-line block ×6, first 2 shown]
	v_xor_b32_e32 v7, vcc_hi, v6
	v_xor_b32_e32 v6, vcc_lo, v6
	ds_read_b32 v26, v27 offset:64
	v_and_b32_e32 v6, v29, v6
	v_and_b32_e32 v7, v4, v7
	v_mbcnt_lo_u32_b32 v4, v6, 0
	v_mbcnt_hi_u32_b32 v28, v7, v4
	v_cmp_eq_u32_e32 vcc, 0, v28
	v_cmp_ne_u64_e64 s[4:5], 0, v[6:7]
	s_and_b64 s[6:7], s[4:5], vcc
	; wave barrier
	s_and_saveexec_b64 s[4:5], s[6:7]
	s_cbranch_execz .LBB1376_31
; %bb.30:
	v_bcnt_u32_b32 v4, v6, 0
	v_bcnt_u32_b32 v4, v7, v4
	s_waitcnt lgkmcnt(0)
	v_add_u32_e32 v4, v26, v4
	ds_write_b32 v27, v4 offset:64
.LBB1376_31:
	s_or_b64 exec, exec, s[4:5]
	v_lshrrev_b32_sdwa v4, s24, v9 dst_sel:DWORD dst_unused:UNUSED_PAD src0_sel:DWORD src1_sel:WORD_0
	v_and_b32_e32 v32, s27, v4
	v_mul_u32_u24_e32 v4, 17, v32
	v_add_lshl_u32 v31, v30, v4, 2
	v_and_b32_e32 v4, 1, v32
	v_lshl_add_u64 v[6:7], v[4:5], 0, -1
	v_cmp_ne_u32_e32 vcc, 0, v4
	; wave barrier
	s_nop 1
	v_xor_b32_e32 v6, vcc_lo, v6
	v_xor_b32_e32 v4, vcc_hi, v7
	v_and_b32_e32 v33, exec_lo, v6
	v_lshlrev_b32_e32 v7, 30, v32
	v_mov_b32_e32 v6, v5
	v_cmp_gt_i64_e32 vcc, 0, v[6:7]
	v_not_b32_e32 v6, v7
	v_ashrrev_i32_e32 v6, 31, v6
	v_and_b32_e32 v4, exec_hi, v4
	v_xor_b32_e32 v7, vcc_hi, v6
	v_xor_b32_e32 v6, vcc_lo, v6
	v_and_b32_e32 v4, v4, v7
	v_and_b32_e32 v33, v33, v6
	v_lshlrev_b32_e32 v7, 29, v32
	v_mov_b32_e32 v6, v5
	v_cmp_gt_i64_e32 vcc, 0, v[6:7]
	v_not_b32_e32 v6, v7
	v_ashrrev_i32_e32 v6, 31, v6
	v_xor_b32_e32 v7, vcc_hi, v6
	v_xor_b32_e32 v6, vcc_lo, v6
	v_and_b32_e32 v4, v4, v7
	v_and_b32_e32 v33, v33, v6
	v_lshlrev_b32_e32 v7, 28, v32
	v_mov_b32_e32 v6, v5
	v_cmp_gt_i64_e32 vcc, 0, v[6:7]
	v_not_b32_e32 v6, v7
	v_ashrrev_i32_e32 v6, 31, v6
	;; [unrolled: 9-line block ×5, first 2 shown]
	v_xor_b32_e32 v7, vcc_hi, v6
	v_xor_b32_e32 v6, vcc_lo, v6
	v_and_b32_e32 v4, v4, v7
	v_lshlrev_b32_e32 v7, 24, v32
	v_and_b32_e32 v33, v33, v6
	v_mov_b32_e32 v6, v5
	v_not_b32_e32 v5, v7
	v_cmp_gt_i64_e32 vcc, 0, v[6:7]
	v_ashrrev_i32_e32 v5, 31, v5
	ds_read_b32 v29, v31 offset:64
	v_xor_b32_e32 v6, vcc_hi, v5
	v_xor_b32_e32 v7, vcc_lo, v5
	v_and_b32_e32 v5, v4, v6
	v_and_b32_e32 v4, v33, v7
	v_mbcnt_lo_u32_b32 v6, v4, 0
	v_mbcnt_hi_u32_b32 v32, v5, v6
	v_cmp_eq_u32_e32 vcc, 0, v32
	v_cmp_ne_u64_e64 s[4:5], 0, v[4:5]
	s_and_b64 s[6:7], s[4:5], vcc
	; wave barrier
	s_and_saveexec_b64 s[4:5], s[6:7]
	s_cbranch_execz .LBB1376_33
; %bb.32:
	v_bcnt_u32_b32 v4, v4, 0
	v_bcnt_u32_b32 v4, v5, v4
	s_waitcnt lgkmcnt(0)
	v_add_u32_e32 v4, v29, v4
	ds_write_b32 v31, v4 offset:64
.LBB1376_33:
	s_or_b64 exec, exec, s[4:5]
	v_lshrrev_b32_sdwa v4, s24, v12 dst_sel:DWORD dst_unused:UNUSED_PAD src0_sel:DWORD src1_sel:WORD_0
	v_and_b32_e32 v35, s27, v4
	v_mul_u32_u24_e32 v4, 17, v35
	v_add_lshl_u32 v34, v30, v4, 2
	v_and_b32_e32 v4, 1, v35
	v_mov_b32_e32 v5, 0
	v_lshl_add_u64 v[6:7], v[4:5], 0, -1
	v_cmp_ne_u32_e32 vcc, 0, v4
	; wave barrier
	s_nop 1
	v_xor_b32_e32 v6, vcc_lo, v6
	v_xor_b32_e32 v4, vcc_hi, v7
	v_and_b32_e32 v36, exec_lo, v6
	v_lshlrev_b32_e32 v7, 30, v35
	v_mov_b32_e32 v6, v5
	v_cmp_gt_i64_e32 vcc, 0, v[6:7]
	v_not_b32_e32 v6, v7
	v_ashrrev_i32_e32 v6, 31, v6
	v_and_b32_e32 v4, exec_hi, v4
	v_xor_b32_e32 v7, vcc_hi, v6
	v_xor_b32_e32 v6, vcc_lo, v6
	v_and_b32_e32 v4, v4, v7
	v_and_b32_e32 v36, v36, v6
	v_lshlrev_b32_e32 v7, 29, v35
	v_mov_b32_e32 v6, v5
	v_cmp_gt_i64_e32 vcc, 0, v[6:7]
	v_not_b32_e32 v6, v7
	v_ashrrev_i32_e32 v6, 31, v6
	v_xor_b32_e32 v7, vcc_hi, v6
	v_xor_b32_e32 v6, vcc_lo, v6
	v_and_b32_e32 v4, v4, v7
	v_and_b32_e32 v36, v36, v6
	v_lshlrev_b32_e32 v7, 28, v35
	v_mov_b32_e32 v6, v5
	v_cmp_gt_i64_e32 vcc, 0, v[6:7]
	v_not_b32_e32 v6, v7
	v_ashrrev_i32_e32 v6, 31, v6
	;; [unrolled: 9-line block ×6, first 2 shown]
	v_xor_b32_e32 v7, vcc_hi, v6
	v_xor_b32_e32 v6, vcc_lo, v6
	ds_read_b32 v33, v34 offset:64
	v_and_b32_e32 v6, v36, v6
	v_and_b32_e32 v7, v4, v7
	v_mbcnt_lo_u32_b32 v4, v6, 0
	v_mbcnt_hi_u32_b32 v35, v7, v4
	v_cmp_eq_u32_e32 vcc, 0, v35
	v_cmp_ne_u64_e64 s[4:5], 0, v[6:7]
	s_and_b64 s[6:7], s[4:5], vcc
	; wave barrier
	s_and_saveexec_b64 s[4:5], s[6:7]
	s_cbranch_execz .LBB1376_35
; %bb.34:
	v_bcnt_u32_b32 v4, v6, 0
	v_bcnt_u32_b32 v4, v7, v4
	s_waitcnt lgkmcnt(0)
	v_add_u32_e32 v4, v33, v4
	ds_write_b32 v34, v4 offset:64
.LBB1376_35:
	s_or_b64 exec, exec, s[4:5]
	v_lshrrev_b32_sdwa v4, s24, v11 dst_sel:DWORD dst_unused:UNUSED_PAD src0_sel:DWORD src1_sel:WORD_0
	v_and_b32_e32 v38, s27, v4
	v_mul_u32_u24_e32 v4, 17, v38
	v_add_lshl_u32 v37, v30, v4, 2
	v_and_b32_e32 v4, 1, v38
	v_lshl_add_u64 v[6:7], v[4:5], 0, -1
	v_cmp_ne_u32_e32 vcc, 0, v4
	; wave barrier
	s_nop 1
	v_xor_b32_e32 v6, vcc_lo, v6
	v_xor_b32_e32 v4, vcc_hi, v7
	v_and_b32_e32 v39, exec_lo, v6
	v_lshlrev_b32_e32 v7, 30, v38
	v_mov_b32_e32 v6, v5
	v_cmp_gt_i64_e32 vcc, 0, v[6:7]
	v_not_b32_e32 v6, v7
	v_ashrrev_i32_e32 v6, 31, v6
	v_and_b32_e32 v4, exec_hi, v4
	v_xor_b32_e32 v7, vcc_hi, v6
	v_xor_b32_e32 v6, vcc_lo, v6
	v_and_b32_e32 v4, v4, v7
	v_and_b32_e32 v39, v39, v6
	v_lshlrev_b32_e32 v7, 29, v38
	v_mov_b32_e32 v6, v5
	v_cmp_gt_i64_e32 vcc, 0, v[6:7]
	v_not_b32_e32 v6, v7
	v_ashrrev_i32_e32 v6, 31, v6
	v_xor_b32_e32 v7, vcc_hi, v6
	v_xor_b32_e32 v6, vcc_lo, v6
	v_and_b32_e32 v4, v4, v7
	v_and_b32_e32 v39, v39, v6
	v_lshlrev_b32_e32 v7, 28, v38
	v_mov_b32_e32 v6, v5
	v_cmp_gt_i64_e32 vcc, 0, v[6:7]
	v_not_b32_e32 v6, v7
	v_ashrrev_i32_e32 v6, 31, v6
	;; [unrolled: 9-line block ×5, first 2 shown]
	v_xor_b32_e32 v7, vcc_hi, v6
	v_xor_b32_e32 v6, vcc_lo, v6
	v_and_b32_e32 v4, v4, v7
	v_lshlrev_b32_e32 v7, 24, v38
	v_and_b32_e32 v39, v39, v6
	v_mov_b32_e32 v6, v5
	v_not_b32_e32 v5, v7
	v_cmp_gt_i64_e32 vcc, 0, v[6:7]
	v_ashrrev_i32_e32 v5, 31, v5
	ds_read_b32 v36, v37 offset:64
	v_xor_b32_e32 v6, vcc_hi, v5
	v_xor_b32_e32 v7, vcc_lo, v5
	v_and_b32_e32 v5, v4, v6
	v_and_b32_e32 v4, v39, v7
	v_mbcnt_lo_u32_b32 v6, v4, 0
	v_mbcnt_hi_u32_b32 v38, v5, v6
	v_cmp_eq_u32_e32 vcc, 0, v38
	v_cmp_ne_u64_e64 s[4:5], 0, v[4:5]
	s_and_b64 s[6:7], s[4:5], vcc
	; wave barrier
	s_and_saveexec_b64 s[4:5], s[6:7]
	s_cbranch_execz .LBB1376_37
; %bb.36:
	v_bcnt_u32_b32 v4, v4, 0
	v_bcnt_u32_b32 v4, v5, v4
	s_waitcnt lgkmcnt(0)
	v_add_u32_e32 v4, v36, v4
	ds_write_b32 v37, v4 offset:64
.LBB1376_37:
	s_or_b64 exec, exec, s[4:5]
	v_lshrrev_b32_sdwa v4, s24, v15 dst_sel:DWORD dst_unused:UNUSED_PAD src0_sel:DWORD src1_sel:WORD_0
	v_and_b32_e32 v41, s27, v4
	v_mul_u32_u24_e32 v4, 17, v41
	v_add_lshl_u32 v40, v30, v4, 2
	v_and_b32_e32 v4, 1, v41
	v_mov_b32_e32 v5, 0
	v_lshl_add_u64 v[6:7], v[4:5], 0, -1
	v_cmp_ne_u32_e32 vcc, 0, v4
	; wave barrier
	s_nop 1
	v_xor_b32_e32 v6, vcc_lo, v6
	v_xor_b32_e32 v4, vcc_hi, v7
	v_and_b32_e32 v42, exec_lo, v6
	v_lshlrev_b32_e32 v7, 30, v41
	v_mov_b32_e32 v6, v5
	v_cmp_gt_i64_e32 vcc, 0, v[6:7]
	v_not_b32_e32 v6, v7
	v_ashrrev_i32_e32 v6, 31, v6
	v_and_b32_e32 v4, exec_hi, v4
	v_xor_b32_e32 v7, vcc_hi, v6
	v_xor_b32_e32 v6, vcc_lo, v6
	v_and_b32_e32 v4, v4, v7
	v_and_b32_e32 v42, v42, v6
	v_lshlrev_b32_e32 v7, 29, v41
	v_mov_b32_e32 v6, v5
	v_cmp_gt_i64_e32 vcc, 0, v[6:7]
	v_not_b32_e32 v6, v7
	v_ashrrev_i32_e32 v6, 31, v6
	v_xor_b32_e32 v7, vcc_hi, v6
	v_xor_b32_e32 v6, vcc_lo, v6
	v_and_b32_e32 v4, v4, v7
	v_and_b32_e32 v42, v42, v6
	v_lshlrev_b32_e32 v7, 28, v41
	v_mov_b32_e32 v6, v5
	v_cmp_gt_i64_e32 vcc, 0, v[6:7]
	v_not_b32_e32 v6, v7
	v_ashrrev_i32_e32 v6, 31, v6
	;; [unrolled: 9-line block ×6, first 2 shown]
	v_xor_b32_e32 v7, vcc_hi, v6
	v_xor_b32_e32 v6, vcc_lo, v6
	ds_read_b32 v39, v40 offset:64
	v_and_b32_e32 v6, v42, v6
	v_and_b32_e32 v7, v4, v7
	v_mbcnt_lo_u32_b32 v4, v6, 0
	v_mbcnt_hi_u32_b32 v41, v7, v4
	v_cmp_eq_u32_e32 vcc, 0, v41
	v_cmp_ne_u64_e64 s[4:5], 0, v[6:7]
	s_and_b64 s[6:7], s[4:5], vcc
	; wave barrier
	s_and_saveexec_b64 s[4:5], s[6:7]
	s_cbranch_execz .LBB1376_39
; %bb.38:
	v_bcnt_u32_b32 v4, v6, 0
	v_bcnt_u32_b32 v4, v7, v4
	s_waitcnt lgkmcnt(0)
	v_add_u32_e32 v4, v39, v4
	ds_write_b32 v40, v4 offset:64
.LBB1376_39:
	s_or_b64 exec, exec, s[4:5]
	v_lshrrev_b32_sdwa v4, s24, v14 dst_sel:DWORD dst_unused:UNUSED_PAD src0_sel:DWORD src1_sel:WORD_0
	v_and_b32_e32 v44, s27, v4
	v_mul_u32_u24_e32 v4, 17, v44
	v_add_lshl_u32 v43, v30, v4, 2
	v_and_b32_e32 v4, 1, v44
	v_lshl_add_u64 v[6:7], v[4:5], 0, -1
	v_cmp_ne_u32_e32 vcc, 0, v4
	; wave barrier
	s_nop 1
	v_xor_b32_e32 v6, vcc_lo, v6
	v_xor_b32_e32 v4, vcc_hi, v7
	v_and_b32_e32 v45, exec_lo, v6
	v_lshlrev_b32_e32 v7, 30, v44
	v_mov_b32_e32 v6, v5
	v_cmp_gt_i64_e32 vcc, 0, v[6:7]
	v_not_b32_e32 v6, v7
	v_ashrrev_i32_e32 v6, 31, v6
	v_and_b32_e32 v4, exec_hi, v4
	v_xor_b32_e32 v7, vcc_hi, v6
	v_xor_b32_e32 v6, vcc_lo, v6
	v_and_b32_e32 v4, v4, v7
	v_and_b32_e32 v45, v45, v6
	v_lshlrev_b32_e32 v7, 29, v44
	v_mov_b32_e32 v6, v5
	v_cmp_gt_i64_e32 vcc, 0, v[6:7]
	v_not_b32_e32 v6, v7
	v_ashrrev_i32_e32 v6, 31, v6
	v_xor_b32_e32 v7, vcc_hi, v6
	v_xor_b32_e32 v6, vcc_lo, v6
	v_and_b32_e32 v4, v4, v7
	v_and_b32_e32 v45, v45, v6
	v_lshlrev_b32_e32 v7, 28, v44
	v_mov_b32_e32 v6, v5
	v_cmp_gt_i64_e32 vcc, 0, v[6:7]
	v_not_b32_e32 v6, v7
	v_ashrrev_i32_e32 v6, 31, v6
	;; [unrolled: 9-line block ×5, first 2 shown]
	v_xor_b32_e32 v7, vcc_hi, v6
	v_xor_b32_e32 v6, vcc_lo, v6
	v_and_b32_e32 v4, v4, v7
	v_lshlrev_b32_e32 v7, 24, v44
	v_and_b32_e32 v45, v45, v6
	v_mov_b32_e32 v6, v5
	v_not_b32_e32 v5, v7
	v_cmp_gt_i64_e32 vcc, 0, v[6:7]
	v_ashrrev_i32_e32 v5, 31, v5
	ds_read_b32 v42, v43 offset:64
	v_xor_b32_e32 v6, vcc_hi, v5
	v_xor_b32_e32 v7, vcc_lo, v5
	v_and_b32_e32 v5, v4, v6
	v_and_b32_e32 v4, v45, v7
	v_mbcnt_lo_u32_b32 v6, v4, 0
	v_mbcnt_hi_u32_b32 v44, v5, v6
	v_cmp_eq_u32_e32 vcc, 0, v44
	v_cmp_ne_u64_e64 s[4:5], 0, v[4:5]
	s_and_b64 s[6:7], s[4:5], vcc
	; wave barrier
	s_and_saveexec_b64 s[4:5], s[6:7]
	s_cbranch_execz .LBB1376_41
; %bb.40:
	v_bcnt_u32_b32 v4, v4, 0
	v_bcnt_u32_b32 v4, v5, v4
	s_waitcnt lgkmcnt(0)
	v_add_u32_e32 v4, v42, v4
	ds_write_b32 v43, v4 offset:64
.LBB1376_41:
	s_or_b64 exec, exec, s[4:5]
	v_lshrrev_b32_sdwa v4, s24, v17 dst_sel:DWORD dst_unused:UNUSED_PAD src0_sel:DWORD src1_sel:WORD_0
	v_and_b32_e32 v47, s27, v4
	v_mul_u32_u24_e32 v4, 17, v47
	v_add_lshl_u32 v46, v30, v4, 2
	v_and_b32_e32 v4, 1, v47
	v_mov_b32_e32 v5, 0
	v_lshl_add_u64 v[6:7], v[4:5], 0, -1
	v_cmp_ne_u32_e32 vcc, 0, v4
	; wave barrier
	s_nop 1
	v_xor_b32_e32 v6, vcc_lo, v6
	v_xor_b32_e32 v4, vcc_hi, v7
	v_and_b32_e32 v48, exec_lo, v6
	v_lshlrev_b32_e32 v7, 30, v47
	v_mov_b32_e32 v6, v5
	v_cmp_gt_i64_e32 vcc, 0, v[6:7]
	v_not_b32_e32 v6, v7
	v_ashrrev_i32_e32 v6, 31, v6
	v_and_b32_e32 v4, exec_hi, v4
	v_xor_b32_e32 v7, vcc_hi, v6
	v_xor_b32_e32 v6, vcc_lo, v6
	v_and_b32_e32 v4, v4, v7
	v_and_b32_e32 v48, v48, v6
	v_lshlrev_b32_e32 v7, 29, v47
	v_mov_b32_e32 v6, v5
	v_cmp_gt_i64_e32 vcc, 0, v[6:7]
	v_not_b32_e32 v6, v7
	v_ashrrev_i32_e32 v6, 31, v6
	v_xor_b32_e32 v7, vcc_hi, v6
	v_xor_b32_e32 v6, vcc_lo, v6
	v_and_b32_e32 v4, v4, v7
	v_and_b32_e32 v48, v48, v6
	v_lshlrev_b32_e32 v7, 28, v47
	v_mov_b32_e32 v6, v5
	v_cmp_gt_i64_e32 vcc, 0, v[6:7]
	v_not_b32_e32 v6, v7
	v_ashrrev_i32_e32 v6, 31, v6
	;; [unrolled: 9-line block ×6, first 2 shown]
	v_xor_b32_e32 v7, vcc_hi, v6
	v_xor_b32_e32 v6, vcc_lo, v6
	ds_read_b32 v45, v46 offset:64
	v_and_b32_e32 v6, v48, v6
	v_and_b32_e32 v7, v4, v7
	v_mbcnt_lo_u32_b32 v4, v6, 0
	v_mbcnt_hi_u32_b32 v47, v7, v4
	v_cmp_eq_u32_e32 vcc, 0, v47
	v_cmp_ne_u64_e64 s[4:5], 0, v[6:7]
	s_and_b64 s[6:7], s[4:5], vcc
	; wave barrier
	s_and_saveexec_b64 s[4:5], s[6:7]
	s_cbranch_execz .LBB1376_43
; %bb.42:
	v_bcnt_u32_b32 v4, v6, 0
	v_bcnt_u32_b32 v4, v7, v4
	s_waitcnt lgkmcnt(0)
	v_add_u32_e32 v4, v45, v4
	ds_write_b32 v46, v4 offset:64
.LBB1376_43:
	s_or_b64 exec, exec, s[4:5]
	v_lshrrev_b32_sdwa v4, s24, v16 dst_sel:DWORD dst_unused:UNUSED_PAD src0_sel:DWORD src1_sel:WORD_0
	v_and_b32_e32 v50, s27, v4
	v_mul_u32_u24_e32 v4, 17, v50
	v_add_lshl_u32 v49, v30, v4, 2
	v_and_b32_e32 v4, 1, v50
	v_lshl_add_u64 v[6:7], v[4:5], 0, -1
	v_cmp_ne_u32_e32 vcc, 0, v4
	; wave barrier
	s_nop 1
	v_xor_b32_e32 v6, vcc_lo, v6
	v_xor_b32_e32 v4, vcc_hi, v7
	v_and_b32_e32 v51, exec_lo, v6
	v_lshlrev_b32_e32 v7, 30, v50
	v_mov_b32_e32 v6, v5
	v_cmp_gt_i64_e32 vcc, 0, v[6:7]
	v_not_b32_e32 v6, v7
	v_ashrrev_i32_e32 v6, 31, v6
	v_and_b32_e32 v4, exec_hi, v4
	v_xor_b32_e32 v7, vcc_hi, v6
	v_xor_b32_e32 v6, vcc_lo, v6
	v_and_b32_e32 v4, v4, v7
	v_and_b32_e32 v51, v51, v6
	v_lshlrev_b32_e32 v7, 29, v50
	v_mov_b32_e32 v6, v5
	v_cmp_gt_i64_e32 vcc, 0, v[6:7]
	v_not_b32_e32 v6, v7
	v_ashrrev_i32_e32 v6, 31, v6
	v_xor_b32_e32 v7, vcc_hi, v6
	v_xor_b32_e32 v6, vcc_lo, v6
	v_and_b32_e32 v4, v4, v7
	v_and_b32_e32 v51, v51, v6
	v_lshlrev_b32_e32 v7, 28, v50
	v_mov_b32_e32 v6, v5
	v_cmp_gt_i64_e32 vcc, 0, v[6:7]
	v_not_b32_e32 v6, v7
	v_ashrrev_i32_e32 v6, 31, v6
	;; [unrolled: 9-line block ×5, first 2 shown]
	v_xor_b32_e32 v7, vcc_hi, v6
	v_xor_b32_e32 v6, vcc_lo, v6
	v_and_b32_e32 v4, v4, v7
	v_lshlrev_b32_e32 v7, 24, v50
	v_and_b32_e32 v51, v51, v6
	v_mov_b32_e32 v6, v5
	v_not_b32_e32 v5, v7
	v_cmp_gt_i64_e32 vcc, 0, v[6:7]
	v_ashrrev_i32_e32 v5, 31, v5
	ds_read_b32 v48, v49 offset:64
	v_xor_b32_e32 v6, vcc_hi, v5
	v_xor_b32_e32 v7, vcc_lo, v5
	v_and_b32_e32 v5, v4, v6
	v_and_b32_e32 v4, v51, v7
	v_mbcnt_lo_u32_b32 v6, v4, 0
	v_mbcnt_hi_u32_b32 v50, v5, v6
	v_cmp_eq_u32_e32 vcc, 0, v50
	v_cmp_ne_u64_e64 s[4:5], 0, v[4:5]
	s_and_b64 s[6:7], s[4:5], vcc
	; wave barrier
	s_and_saveexec_b64 s[4:5], s[6:7]
	s_cbranch_execz .LBB1376_45
; %bb.44:
	v_bcnt_u32_b32 v4, v4, 0
	v_bcnt_u32_b32 v4, v5, v4
	s_waitcnt lgkmcnt(0)
	v_add_u32_e32 v4, v48, v4
	ds_write_b32 v49, v4 offset:64
.LBB1376_45:
	s_or_b64 exec, exec, s[4:5]
	v_lshrrev_b32_sdwa v4, s24, v19 dst_sel:DWORD dst_unused:UNUSED_PAD src0_sel:DWORD src1_sel:WORD_0
	v_and_b32_e32 v53, s27, v4
	v_mul_u32_u24_e32 v4, 17, v53
	v_add_lshl_u32 v52, v30, v4, 2
	v_and_b32_e32 v4, 1, v53
	v_mov_b32_e32 v5, 0
	v_lshl_add_u64 v[6:7], v[4:5], 0, -1
	v_cmp_ne_u32_e32 vcc, 0, v4
	; wave barrier
	s_nop 1
	v_xor_b32_e32 v6, vcc_lo, v6
	v_xor_b32_e32 v4, vcc_hi, v7
	v_and_b32_e32 v54, exec_lo, v6
	v_lshlrev_b32_e32 v7, 30, v53
	v_mov_b32_e32 v6, v5
	v_cmp_gt_i64_e32 vcc, 0, v[6:7]
	v_not_b32_e32 v6, v7
	v_ashrrev_i32_e32 v6, 31, v6
	v_and_b32_e32 v4, exec_hi, v4
	v_xor_b32_e32 v7, vcc_hi, v6
	v_xor_b32_e32 v6, vcc_lo, v6
	v_and_b32_e32 v4, v4, v7
	v_and_b32_e32 v54, v54, v6
	v_lshlrev_b32_e32 v7, 29, v53
	v_mov_b32_e32 v6, v5
	v_cmp_gt_i64_e32 vcc, 0, v[6:7]
	v_not_b32_e32 v6, v7
	v_ashrrev_i32_e32 v6, 31, v6
	v_xor_b32_e32 v7, vcc_hi, v6
	v_xor_b32_e32 v6, vcc_lo, v6
	v_and_b32_e32 v4, v4, v7
	v_and_b32_e32 v54, v54, v6
	v_lshlrev_b32_e32 v7, 28, v53
	v_mov_b32_e32 v6, v5
	v_cmp_gt_i64_e32 vcc, 0, v[6:7]
	v_not_b32_e32 v6, v7
	v_ashrrev_i32_e32 v6, 31, v6
	;; [unrolled: 9-line block ×6, first 2 shown]
	v_xor_b32_e32 v7, vcc_hi, v6
	v_xor_b32_e32 v6, vcc_lo, v6
	ds_read_b32 v51, v52 offset:64
	v_and_b32_e32 v6, v54, v6
	v_and_b32_e32 v7, v4, v7
	v_mbcnt_lo_u32_b32 v4, v6, 0
	v_mbcnt_hi_u32_b32 v53, v7, v4
	v_cmp_eq_u32_e32 vcc, 0, v53
	v_cmp_ne_u64_e64 s[4:5], 0, v[6:7]
	s_and_b64 s[6:7], s[4:5], vcc
	; wave barrier
	s_and_saveexec_b64 s[4:5], s[6:7]
	s_cbranch_execz .LBB1376_47
; %bb.46:
	v_bcnt_u32_b32 v4, v6, 0
	v_bcnt_u32_b32 v4, v7, v4
	s_waitcnt lgkmcnt(0)
	v_add_u32_e32 v4, v51, v4
	ds_write_b32 v52, v4 offset:64
.LBB1376_47:
	s_or_b64 exec, exec, s[4:5]
	v_lshrrev_b32_sdwa v4, s24, v18 dst_sel:DWORD dst_unused:UNUSED_PAD src0_sel:DWORD src1_sel:WORD_0
	v_and_b32_e32 v54, s27, v4
	v_mul_u32_u24_e32 v4, 17, v54
	v_add_lshl_u32 v55, v30, v4, 2
	v_and_b32_e32 v4, 1, v54
	v_lshl_add_u64 v[6:7], v[4:5], 0, -1
	v_cmp_ne_u32_e32 vcc, 0, v4
	; wave barrier
	s_nop 1
	v_xor_b32_e32 v6, vcc_lo, v6
	v_xor_b32_e32 v4, vcc_hi, v7
	v_and_b32_e32 v57, exec_lo, v6
	v_lshlrev_b32_e32 v7, 30, v54
	v_mov_b32_e32 v6, v5
	v_cmp_gt_i64_e32 vcc, 0, v[6:7]
	v_not_b32_e32 v6, v7
	v_ashrrev_i32_e32 v6, 31, v6
	v_and_b32_e32 v4, exec_hi, v4
	v_xor_b32_e32 v7, vcc_hi, v6
	v_xor_b32_e32 v6, vcc_lo, v6
	v_and_b32_e32 v4, v4, v7
	v_and_b32_e32 v57, v57, v6
	v_lshlrev_b32_e32 v7, 29, v54
	v_mov_b32_e32 v6, v5
	v_cmp_gt_i64_e32 vcc, 0, v[6:7]
	v_not_b32_e32 v6, v7
	v_ashrrev_i32_e32 v6, 31, v6
	v_xor_b32_e32 v7, vcc_hi, v6
	v_xor_b32_e32 v6, vcc_lo, v6
	v_and_b32_e32 v4, v4, v7
	v_and_b32_e32 v57, v57, v6
	v_lshlrev_b32_e32 v7, 28, v54
	v_mov_b32_e32 v6, v5
	v_cmp_gt_i64_e32 vcc, 0, v[6:7]
	v_not_b32_e32 v6, v7
	v_ashrrev_i32_e32 v6, 31, v6
	;; [unrolled: 9-line block ×5, first 2 shown]
	v_xor_b32_e32 v7, vcc_hi, v6
	v_xor_b32_e32 v6, vcc_lo, v6
	v_and_b32_e32 v4, v4, v7
	v_lshlrev_b32_e32 v7, 24, v54
	v_and_b32_e32 v57, v57, v6
	v_mov_b32_e32 v6, v5
	v_not_b32_e32 v5, v7
	v_cmp_gt_i64_e32 vcc, 0, v[6:7]
	v_ashrrev_i32_e32 v5, 31, v5
	ds_read_b32 v30, v55 offset:64
	v_xor_b32_e32 v6, vcc_hi, v5
	v_xor_b32_e32 v7, vcc_lo, v5
	v_and_b32_e32 v5, v4, v6
	v_and_b32_e32 v4, v57, v7
	v_mbcnt_lo_u32_b32 v6, v4, 0
	v_mbcnt_hi_u32_b32 v57, v5, v6
	v_cmp_eq_u32_e32 vcc, 0, v57
	v_cmp_ne_u64_e64 s[4:5], 0, v[4:5]
	v_add_u32_e32 v56, 64, v20
	s_and_b64 s[6:7], s[4:5], vcc
	; wave barrier
	s_and_saveexec_b64 s[4:5], s[6:7]
	s_cbranch_execz .LBB1376_49
; %bb.48:
	v_bcnt_u32_b32 v4, v4, 0
	v_bcnt_u32_b32 v4, v5, v4
	s_waitcnt lgkmcnt(0)
	v_add_u32_e32 v4, v30, v4
	ds_write_b32 v55, v4 offset:64
.LBB1376_49:
	s_or_b64 exec, exec, s[4:5]
	; wave barrier
	s_waitcnt lgkmcnt(0)
	s_barrier
	ds_read2_b32 v[6:7], v20 offset0:16 offset1:17
	ds_read2_b32 v[4:5], v56 offset0:2 offset1:3
	ds_read_b32 v54, v56 offset:16
	v_cmp_lt_u32_e64 s[10:11], 31, v13
	s_waitcnt lgkmcnt(1)
	v_add3_u32 v58, v7, v6, v4
	s_waitcnt lgkmcnt(0)
	v_add3_u32 v54, v58, v5, v54
	v_and_b32_e32 v58, 15, v13
	v_cmp_eq_u32_e32 vcc, 0, v58
	v_mov_b32_dpp v59, v54 row_shr:1 row_mask:0xf bank_mask:0xf
	v_cmp_lt_u32_e64 s[8:9], 1, v58
	v_cndmask_b32_e64 v59, v59, 0, vcc
	v_add_u32_e32 v54, v59, v54
	v_cmp_lt_u32_e64 s[4:5], 3, v58
	v_cmp_lt_u32_e64 s[6:7], 7, v58
	v_mov_b32_dpp v59, v54 row_shr:2 row_mask:0xf bank_mask:0xf
	v_cndmask_b32_e64 v59, 0, v59, s[8:9]
	v_add_u32_e32 v54, v54, v59
	s_nop 1
	v_mov_b32_dpp v59, v54 row_shr:4 row_mask:0xf bank_mask:0xf
	v_cndmask_b32_e64 v59, 0, v59, s[4:5]
	v_add_u32_e32 v54, v54, v59
	s_nop 1
	v_mov_b32_dpp v59, v54 row_shr:8 row_mask:0xf bank_mask:0xf
	v_cndmask_b32_e64 v58, 0, v59, s[6:7]
	v_add_u32_e32 v54, v54, v58
	v_bfe_i32 v59, v13, 4, 1
	s_nop 0
	v_mov_b32_dpp v58, v54 row_bcast:15 row_mask:0xf bank_mask:0xf
	v_and_b32_e32 v58, v59, v58
	v_add_u32_e32 v54, v54, v58
	v_lshrrev_b32_e32 v59, 6, v2
	s_nop 0
	v_mov_b32_dpp v58, v54 row_bcast:31 row_mask:0xf bank_mask:0xf
	v_cndmask_b32_e64 v58, 0, v58, s[10:11]
	v_add_u32_e32 v58, v54, v58
	v_and_b32_e32 v54, 63, v2
	v_cmp_eq_u32_e64 s[10:11], 63, v54
	s_and_saveexec_b64 s[12:13], s[10:11]
	s_cbranch_execz .LBB1376_51
; %bb.50:
	v_lshlrev_b32_e32 v54, 2, v59
	ds_write_b32 v54, v58
.LBB1376_51:
	s_or_b64 exec, exec, s[12:13]
	v_cmp_gt_u32_e64 s[10:11], 16, v2
	v_lshlrev_b32_e32 v54, 2, v2
	s_waitcnt lgkmcnt(0)
	s_barrier
	s_and_saveexec_b64 s[12:13], s[10:11]
	s_cbranch_execz .LBB1376_53
; %bb.52:
	ds_read_b32 v60, v54
	s_waitcnt lgkmcnt(0)
	s_nop 0
	v_mov_b32_dpp v61, v60 row_shr:1 row_mask:0xf bank_mask:0xf
	v_cndmask_b32_e64 v61, v61, 0, vcc
	v_add_u32_e32 v60, v61, v60
	s_nop 1
	v_mov_b32_dpp v61, v60 row_shr:2 row_mask:0xf bank_mask:0xf
	v_cndmask_b32_e64 v61, 0, v61, s[8:9]
	v_add_u32_e32 v60, v60, v61
	s_nop 1
	v_mov_b32_dpp v61, v60 row_shr:4 row_mask:0xf bank_mask:0xf
	v_cndmask_b32_e64 v61, 0, v61, s[4:5]
	;; [unrolled: 4-line block ×3, first 2 shown]
	v_add_u32_e32 v60, v60, v61
	ds_write_b32 v54, v60
.LBB1376_53:
	s_or_b64 exec, exec, s[12:13]
	v_cmp_lt_u32_e32 vcc, 63, v2
	v_mov_b32_e32 v60, 0
	s_waitcnt lgkmcnt(0)
	s_barrier
	s_and_saveexec_b64 s[4:5], vcc
	s_cbranch_execz .LBB1376_55
; %bb.54:
	v_lshl_add_u32 v59, v59, 2, -4
	ds_read_b32 v60, v59
.LBB1376_55:
	s_or_b64 exec, exec, s[4:5]
	v_add_u32_e32 v59, -1, v13
	v_and_b32_e32 v61, 64, v13
	v_cmp_lt_i32_e32 vcc, v59, v61
	s_waitcnt lgkmcnt(0)
	v_add_u32_e32 v58, v60, v58
	s_movk_i32 s4, 0x100
	v_cndmask_b32_e32 v59, v59, v13, vcc
	v_lshlrev_b32_e32 v59, 2, v59
	ds_bpermute_b32 v58, v59, v58
	v_cmp_eq_u32_e32 vcc, 0, v13
	s_waitcnt lgkmcnt(0)
	s_nop 0
	v_cndmask_b32_e32 v13, v58, v60, vcc
	v_cmp_ne_u32_e32 vcc, 0, v2
	s_nop 1
	v_cndmask_b32_e32 v13, 0, v13, vcc
	v_add_u32_e32 v6, v13, v6
	v_add_u32_e32 v7, v6, v7
	v_add_u32_e32 v4, v7, v4
	v_add_u32_e32 v5, v4, v5
	ds_write2_b32 v20, v13, v6 offset0:16 offset1:17
	ds_write2_b32 v56, v7, v4 offset0:2 offset1:3
	ds_write_b32 v56, v5 offset:16
	s_waitcnt lgkmcnt(0)
	s_barrier
	ds_read_b32 v60, v23 offset:64
	ds_read_b32 v59, v24 offset:64
	;; [unrolled: 1-line block ×12, first 2 shown]
	v_cmp_gt_u32_e32 vcc, s4, v2
                                        ; implicit-def: $vgpr13
                                        ; implicit-def: $vgpr20
	s_and_saveexec_b64 s[6:7], vcc
	s_cbranch_execz .LBB1376_59
; %bb.56:
	v_mul_u32_u24_e32 v13, 17, v2
	v_lshlrev_b32_e32 v34, 2, v13
	ds_read_b32 v13, v34 offset:64
	s_movk_i32 s4, 0xff
	v_cmp_ne_u32_e64 s[4:5], s4, v2
	v_mov_b32_e32 v20, 0x3000
	s_and_saveexec_b64 s[8:9], s[4:5]
	s_cbranch_execz .LBB1376_58
; %bb.57:
	ds_read_b32 v20, v34 offset:132
.LBB1376_58:
	s_or_b64 exec, exec, s[8:9]
	s_waitcnt lgkmcnt(0)
	v_sub_u32_e32 v20, v20, v13
.LBB1376_59:
	s_or_b64 exec, exec, s[6:7]
	v_add_u32_e32 v22, v25, v22
	s_waitcnt lgkmcnt(11)
	v_add_lshl_u32 v21, v60, v21, 1
	v_add_u32_e32 v26, v28, v26
	s_waitcnt lgkmcnt(0)
	s_barrier
	ds_write_b16 v21, v8 offset:1024
	v_add_lshl_u32 v8, v22, v59, 1
	v_add_u32_e32 v29, v32, v29
	ds_write_b16 v8, v3 offset:1024
	v_add_lshl_u32 v3, v26, v58, 1
	v_add_u32_e32 v33, v35, v33
	;; [unrolled: 3-line block ×9, first 2 shown]
	ds_write_b16 v3, v16 offset:1024
	v_add_lshl_u32 v3, v34, v5, 1
	ds_write_b16 v3, v19 offset:1024
	v_add_lshl_u32 v3, v30, v4, 1
	ds_write_b16 v3, v18 offset:1024
	s_and_saveexec_b64 s[6:7], vcc
	s_cbranch_execz .LBB1376_69
; %bb.60:
	v_lshl_or_b32 v6, s2, 8, v2
	v_mov_b32_e32 v7, 0
	v_lshl_add_u64 v[4:5], v[6:7], 2, s[28:29]
	v_or_b32_e32 v3, 2.0, v20
	global_store_dword v[4:5], v3, off sc1
	s_mov_b64 s[8:9], 0
	s_brev_b32 s14, 1
	s_mov_b32 s15, s2
	v_mov_b32_e32 v3, 0
                                        ; implicit-def: $sgpr4_sgpr5
	s_branch .LBB1376_62
.LBB1376_61:                            ;   in Loop: Header=BB1376_62 Depth=1
	s_or_b64 exec, exec, s[10:11]
	v_and_b32_e32 v8, 0x3fffffff, v10
	v_add_u32_e32 v3, v8, v3
	v_cmp_eq_u32_e64 s[4:5], s14, v6
	s_and_b64 s[10:11], exec, s[4:5]
	s_or_b64 s[8:9], s[10:11], s[8:9]
	s_andn2_b64 exec, exec, s[8:9]
	s_cbranch_execz .LBB1376_68
.LBB1376_62:                            ; =>This Loop Header: Depth=1
                                        ;     Child Loop BB1376_65 Depth 2
	s_or_b64 s[4:5], s[4:5], exec
	s_cmp_eq_u32 s15, 0
	s_cbranch_scc1 .LBB1376_67
; %bb.63:                               ;   in Loop: Header=BB1376_62 Depth=1
	s_add_i32 s15, s15, -1
	v_lshl_or_b32 v6, s15, 8, v2
	v_lshl_add_u64 v[8:9], v[6:7], 2, s[28:29]
	global_load_dword v10, v[8:9], off sc1
	s_waitcnt vmcnt(0)
	v_and_b32_e32 v6, -2.0, v10
	v_cmp_eq_u32_e64 s[4:5], 0, v6
	s_and_saveexec_b64 s[10:11], s[4:5]
	s_cbranch_execz .LBB1376_61
; %bb.64:                               ;   in Loop: Header=BB1376_62 Depth=1
	s_mov_b64 s[12:13], 0
.LBB1376_65:                            ;   Parent Loop BB1376_62 Depth=1
                                        ; =>  This Inner Loop Header: Depth=2
	global_load_dword v10, v[8:9], off sc1
	s_waitcnt vmcnt(0)
	v_and_b32_e32 v6, -2.0, v10
	v_cmp_ne_u32_e64 s[4:5], 0, v6
	s_or_b64 s[12:13], s[4:5], s[12:13]
	s_andn2_b64 exec, exec, s[12:13]
	s_cbranch_execnz .LBB1376_65
; %bb.66:                               ;   in Loop: Header=BB1376_62 Depth=1
	s_or_b64 exec, exec, s[12:13]
	s_branch .LBB1376_61
.LBB1376_67:                            ;   in Loop: Header=BB1376_62 Depth=1
                                        ; implicit-def: $sgpr15
	s_and_b64 s[10:11], exec, s[4:5]
	s_or_b64 s[8:9], s[10:11], s[8:9]
	s_andn2_b64 exec, exec, s[8:9]
	s_cbranch_execnz .LBB1376_62
.LBB1376_68:
	s_or_b64 exec, exec, s[8:9]
	v_add_u32_e32 v6, v3, v20
	v_or_b32_e32 v6, 0x80000000, v6
	global_store_dword v[4:5], v6, off sc1
	global_load_dword v4, v54, s[16:17]
	v_sub_u32_e32 v3, v3, v13
	s_waitcnt vmcnt(0)
	v_add_u32_e32 v3, v3, v4
	ds_write_b32 v54, v3
.LBB1376_69:
	s_or_b64 exec, exec, s[6:7]
	v_cmp_gt_u32_e64 s[4:5], s3, v2
	v_lshlrev_b32_e32 v3, 1, v2
	s_waitcnt lgkmcnt(0)
	s_barrier
	s_and_saveexec_b64 s[6:7], s[4:5]
	s_cbranch_execz .LBB1376_71
; %bb.70:
	ds_read_u16 v6, v3 offset:1024
	v_mov_b32_e32 v5, 0
	s_waitcnt lgkmcnt(0)
	v_lshrrev_b32_sdwa v4, s24, v6 dst_sel:DWORD dst_unused:UNUSED_PAD src0_sel:DWORD src1_sel:WORD_0
	v_and_b32_e32 v4, s27, v4
	v_lshlrev_b32_e32 v4, 2, v4
	ds_read_b32 v4, v4
	s_waitcnt lgkmcnt(0)
	v_add_u32_e32 v4, v4, v2
	v_lshl_add_u64 v[4:5], v[4:5], 1, s[22:23]
	global_store_short v[4:5], v6, off
.LBB1376_71:
	s_or_b64 exec, exec, s[6:7]
	v_or_b32_e32 v4, 0x400, v2
	v_cmp_gt_u32_e64 s[4:5], s3, v4
	s_and_saveexec_b64 s[6:7], s[4:5]
	s_cbranch_execz .LBB1376_73
; %bb.72:
	ds_read_u16 v6, v3 offset:3072
	s_waitcnt lgkmcnt(0)
	v_lshrrev_b32_sdwa v5, s24, v6 dst_sel:DWORD dst_unused:UNUSED_PAD src0_sel:DWORD src1_sel:WORD_0
	v_and_b32_e32 v5, s27, v5
	v_lshlrev_b32_e32 v5, 2, v5
	ds_read_b32 v5, v5
	s_waitcnt lgkmcnt(0)
	v_add_u32_e32 v4, v5, v4
	v_mov_b32_e32 v5, 0
	v_lshl_add_u64 v[4:5], v[4:5], 1, s[22:23]
	global_store_short v[4:5], v6, off
.LBB1376_73:
	s_or_b64 exec, exec, s[6:7]
	v_or_b32_e32 v4, 0x800, v2
	v_cmp_gt_u32_e64 s[4:5], s3, v4
	s_and_saveexec_b64 s[6:7], s[4:5]
	s_cbranch_execz .LBB1376_75
; %bb.74:
	ds_read_u16 v6, v3 offset:5120
	s_waitcnt lgkmcnt(0)
	v_lshrrev_b32_sdwa v5, s24, v6 dst_sel:DWORD dst_unused:UNUSED_PAD src0_sel:DWORD src1_sel:WORD_0
	v_and_b32_e32 v5, s27, v5
	v_lshlrev_b32_e32 v5, 2, v5
	ds_read_b32 v5, v5
	s_waitcnt lgkmcnt(0)
	v_add_u32_e32 v4, v5, v4
	v_mov_b32_e32 v5, 0
	v_lshl_add_u64 v[4:5], v[4:5], 1, s[22:23]
	global_store_short v[4:5], v6, off
.LBB1376_75:
	;; [unrolled: 18-line block ×11, first 2 shown]
	s_or_b64 exec, exec, s[6:7]
	s_add_i32 s26, s26, -1
	s_cmp_eq_u32 s26, s2
	s_cselect_b64 s[4:5], -1, 0
	s_and_b64 s[6:7], vcc, s[4:5]
	s_mov_b64 s[4:5], 0
	s_mov_b64 s[10:11], 0
                                        ; implicit-def: $vgpr4
	s_and_saveexec_b64 s[8:9], s[6:7]
	s_xor_b64 s[6:7], exec, s[8:9]
; %bb.94:
	s_mov_b64 s[10:11], exec
	v_add_u32_e32 v4, v13, v20
	v_mov_b32_e32 v3, 0
; %bb.95:
	s_or_b64 exec, exec, s[6:7]
	s_and_b64 vcc, exec, s[4:5]
	s_cbranch_vccnz .LBB1376_97
	s_branch .LBB1376_146
.LBB1376_96:
	s_mov_b64 s[10:11], 0
                                        ; implicit-def: $vgpr4
                                        ; implicit-def: $vgpr2_vgpr3
	s_cbranch_execz .LBB1376_146
.LBB1376_97:
	s_mov_b32 s31, 0
	v_and_b32_e32 v2, 0x3ff, v0
	s_lshl_b64 s[4:5], s[30:31], 1
	v_mbcnt_hi_u32_b32 v6, -1, v1
	s_add_u32 s4, s20, s4
	v_and_b32_e32 v1, 63, v6
	v_and_b32_e32 v3, 0x3c0, v2
	s_addc_u32 s5, s21, s5
	v_mov_b32_e32 v5, 0
	v_mul_u32_u24_e32 v3, 12, v3
	v_lshlrev_b32_e32 v4, 1, v1
	v_lshl_add_u64 v[8:9], s[4:5], 0, v[4:5]
	v_lshlrev_b32_e32 v4, 1, v3
	v_lshl_add_u64 v[20:21], v[8:9], 0, v[4:5]
	global_load_ushort v3, v[20:21], off
	s_load_dword s4, s[0:1], 0x64
	s_load_dword s3, s[0:1], 0x58
	s_add_u32 s0, s0, 0x58
	s_addc_u32 s1, s1, 0
	v_mul_u32_u24_e32 v7, 5, v2
	s_waitcnt lgkmcnt(0)
	s_lshr_b32 s4, s4, 16
	s_cmp_lt_u32 s2, s3
	s_cselect_b32 s5, 12, 18
	s_add_u32 s0, s0, s5
	s_addc_u32 s1, s1, 0
	global_load_ushort v19, v5, s[0:1]
	v_lshlrev_b32_e32 v18, 2, v7
	ds_write2_b32 v18, v5, v5 offset0:16 offset1:17
	ds_write2_b32 v18, v5, v5 offset0:18 offset1:19
	ds_write_b32 v18, v5 offset:80
	global_load_ushort v17, v[20:21], off offset:128
	global_load_ushort v16, v[20:21], off offset:256
	;; [unrolled: 1-line block ×11, first 2 shown]
	v_bfe_u32 v1, v0, 10, 10
	v_bfe_u32 v4, v0, 20, 10
	s_lshl_b32 s0, -1, s25
	v_mad_u32_u24 v28, v4, s4, v1
	s_not_b32 s14, s0
	v_mov_b32_e32 v0, v5
	v_mov_b32_e32 v22, v5
	;; [unrolled: 1-line block ×4, first 2 shown]
	s_waitcnt lgkmcnt(0)
	s_barrier
	s_waitcnt lgkmcnt(0)
	; wave barrier
	s_waitcnt vmcnt(12)
	v_lshrrev_b32_sdwa v1, s24, v3 dst_sel:DWORD dst_unused:UNUSED_PAD src0_sel:DWORD src1_sel:WORD_0
	v_and_b32_e32 v29, s14, v1
	v_and_b32_e32 v4, 1, v29
	v_lshlrev_b32_e32 v1, 30, v29
	v_lshlrev_b32_e32 v23, 29, v29
	v_lshl_add_u64 v[20:21], v[4:5], 0, -1
	v_cmp_ne_u32_e32 vcc, 0, v4
	v_cmp_gt_i64_e64 s[0:1], 0, v[0:1]
	v_not_b32_e32 v4, v1
	v_lshlrev_b32_e32 v25, 28, v29
	s_waitcnt vmcnt(11)
	v_mad_u64_u32 v[0:1], s[12:13], v28, v19, v[2:3]
	v_lshlrev_b32_e32 v27, 27, v29
	v_cmp_gt_i64_e64 s[4:5], 0, v[22:23]
	v_not_b32_e32 v22, v23
	v_xor_b32_e32 v1, vcc_hi, v21
	v_xor_b32_e32 v19, vcc_lo, v20
	v_ashrrev_i32_e32 v4, 31, v4
	v_cmp_gt_i64_e64 s[6:7], 0, v[24:25]
	v_not_b32_e32 v23, v25
	v_cmp_gt_i64_e64 s[8:9], 0, v[26:27]
	v_not_b32_e32 v24, v27
	v_ashrrev_i32_e32 v20, 31, v22
	v_lshrrev_b32_e32 v27, 6, v0
	v_and_b32_e32 v0, exec_hi, v1
	v_and_b32_e32 v1, exec_lo, v19
	v_xor_b32_e32 v19, s1, v4
	v_xor_b32_e32 v4, s0, v4
	v_ashrrev_i32_e32 v21, 31, v23
	v_ashrrev_i32_e32 v22, 31, v24
	v_xor_b32_e32 v23, s5, v20
	v_xor_b32_e32 v24, s4, v20
	v_and_b32_e32 v0, v0, v19
	v_and_b32_e32 v1, v1, v4
	v_xor_b32_e32 v25, s7, v21
	v_xor_b32_e32 v21, s6, v21
	v_and_b32_e32 v0, v0, v23
	v_and_b32_e32 v1, v1, v24
	v_and_b32_e32 v0, v0, v25
	v_and_b32_e32 v1, v1, v21
	v_xor_b32_e32 v4, s9, v22
	v_xor_b32_e32 v19, s8, v22
	v_and_b32_e32 v4, v0, v4
	v_and_b32_e32 v19, v1, v19
	v_lshlrev_b32_e32 v1, 26, v29
	v_mov_b32_e32 v0, v5
	v_cmp_gt_i64_e32 vcc, 0, v[0:1]
	v_not_b32_e32 v0, v1
	v_ashrrev_i32_e32 v0, 31, v0
	v_xor_b32_e32 v1, vcc_hi, v0
	v_xor_b32_e32 v0, vcc_lo, v0
	v_and_b32_e32 v4, v4, v1
	v_and_b32_e32 v19, v19, v0
	v_lshlrev_b32_e32 v1, 25, v29
	v_mov_b32_e32 v0, v5
	v_cmp_gt_i64_e32 vcc, 0, v[0:1]
	v_not_b32_e32 v0, v1
	v_ashrrev_i32_e32 v0, 31, v0
	v_xor_b32_e32 v1, vcc_hi, v0
	v_xor_b32_e32 v0, vcc_lo, v0
	;; [unrolled: 9-line block ×3, first 2 shown]
	v_and_b32_e32 v0, v19, v0
	v_and_b32_e32 v1, v4, v1
	v_mbcnt_lo_u32_b32 v4, v0, 0
	v_mbcnt_hi_u32_b32 v19, v1, v4
	v_mul_u32_u24_e32 v30, 17, v29
	v_cmp_eq_u32_e32 vcc, 0, v19
	v_cmp_ne_u64_e64 s[0:1], 0, v[0:1]
	v_add_lshl_u32 v20, v27, v30, 2
	s_and_b64 s[4:5], s[0:1], vcc
	s_and_saveexec_b64 s[0:1], s[4:5]
	s_cbranch_execz .LBB1376_99
; %bb.98:
	v_bcnt_u32_b32 v0, v0, 0
	v_bcnt_u32_b32 v0, v1, v0
	ds_write_b32 v20, v0 offset:64
.LBB1376_99:
	s_or_b64 exec, exec, s[0:1]
	s_waitcnt vmcnt(10)
	v_lshrrev_b32_sdwa v0, s24, v17 dst_sel:DWORD dst_unused:UNUSED_PAD src0_sel:DWORD src1_sel:WORD_0
	v_and_b32_e32 v23, s14, v0
	v_mul_u32_u24_e32 v0, 17, v23
	v_and_b32_e32 v4, 1, v23
	v_add_lshl_u32 v22, v27, v0, 2
	v_lshl_add_u64 v[0:1], v[4:5], 0, -1
	v_cmp_ne_u32_e32 vcc, 0, v4
	; wave barrier
	s_nop 1
	v_xor_b32_e32 v1, vcc_hi, v1
	v_xor_b32_e32 v0, vcc_lo, v0
	v_and_b32_e32 v4, exec_hi, v1
	v_and_b32_e32 v24, exec_lo, v0
	v_lshlrev_b32_e32 v1, 30, v23
	v_mov_b32_e32 v0, v5
	v_cmp_gt_i64_e32 vcc, 0, v[0:1]
	v_not_b32_e32 v0, v1
	v_ashrrev_i32_e32 v0, 31, v0
	v_xor_b32_e32 v1, vcc_hi, v0
	v_xor_b32_e32 v0, vcc_lo, v0
	v_and_b32_e32 v4, v4, v1
	v_and_b32_e32 v24, v24, v0
	v_lshlrev_b32_e32 v1, 29, v23
	v_mov_b32_e32 v0, v5
	v_cmp_gt_i64_e32 vcc, 0, v[0:1]
	v_not_b32_e32 v0, v1
	v_ashrrev_i32_e32 v0, 31, v0
	v_xor_b32_e32 v1, vcc_hi, v0
	v_xor_b32_e32 v0, vcc_lo, v0
	v_and_b32_e32 v4, v4, v1
	v_and_b32_e32 v24, v24, v0
	;; [unrolled: 9-line block ×6, first 2 shown]
	v_lshlrev_b32_e32 v1, 24, v23
	v_mov_b32_e32 v0, v5
	v_cmp_gt_i64_e32 vcc, 0, v[0:1]
	v_not_b32_e32 v0, v1
	v_ashrrev_i32_e32 v0, 31, v0
	v_xor_b32_e32 v1, vcc_hi, v0
	v_xor_b32_e32 v0, vcc_lo, v0
	ds_read_b32 v21, v22 offset:64
	v_and_b32_e32 v0, v24, v0
	v_and_b32_e32 v1, v4, v1
	v_mbcnt_lo_u32_b32 v4, v0, 0
	v_mbcnt_hi_u32_b32 v23, v1, v4
	v_cmp_eq_u32_e32 vcc, 0, v23
	v_cmp_ne_u64_e64 s[0:1], 0, v[0:1]
	s_and_b64 s[4:5], s[0:1], vcc
	; wave barrier
	s_and_saveexec_b64 s[0:1], s[4:5]
	s_cbranch_execz .LBB1376_101
; %bb.100:
	v_bcnt_u32_b32 v0, v0, 0
	v_bcnt_u32_b32 v0, v1, v0
	s_waitcnt lgkmcnt(0)
	v_add_u32_e32 v0, v21, v0
	ds_write_b32 v22, v0 offset:64
.LBB1376_101:
	s_or_b64 exec, exec, s[0:1]
	s_waitcnt vmcnt(9)
	v_lshrrev_b32_sdwa v0, s24, v16 dst_sel:DWORD dst_unused:UNUSED_PAD src0_sel:DWORD src1_sel:WORD_0
	v_and_b32_e32 v26, s14, v0
	v_mul_u32_u24_e32 v0, 17, v26
	v_add_lshl_u32 v25, v27, v0, 2
	v_and_b32_e32 v0, 1, v26
	v_mov_b32_e32 v1, 0
	v_lshl_add_u64 v[4:5], v[0:1], 0, -1
	v_cmp_ne_u32_e32 vcc, 0, v0
	; wave barrier
	s_nop 1
	v_xor_b32_e32 v4, vcc_lo, v4
	v_xor_b32_e32 v0, vcc_hi, v5
	v_and_b32_e32 v28, exec_lo, v4
	v_lshlrev_b32_e32 v5, 30, v26
	v_mov_b32_e32 v4, v1
	v_cmp_gt_i64_e32 vcc, 0, v[4:5]
	v_not_b32_e32 v4, v5
	v_ashrrev_i32_e32 v4, 31, v4
	v_and_b32_e32 v0, exec_hi, v0
	v_xor_b32_e32 v5, vcc_hi, v4
	v_xor_b32_e32 v4, vcc_lo, v4
	v_and_b32_e32 v0, v0, v5
	v_and_b32_e32 v28, v28, v4
	v_lshlrev_b32_e32 v5, 29, v26
	v_mov_b32_e32 v4, v1
	v_cmp_gt_i64_e32 vcc, 0, v[4:5]
	v_not_b32_e32 v4, v5
	v_ashrrev_i32_e32 v4, 31, v4
	v_xor_b32_e32 v5, vcc_hi, v4
	v_xor_b32_e32 v4, vcc_lo, v4
	v_and_b32_e32 v0, v0, v5
	v_and_b32_e32 v28, v28, v4
	v_lshlrev_b32_e32 v5, 28, v26
	v_mov_b32_e32 v4, v1
	v_cmp_gt_i64_e32 vcc, 0, v[4:5]
	v_not_b32_e32 v4, v5
	v_ashrrev_i32_e32 v4, 31, v4
	;; [unrolled: 9-line block ×6, first 2 shown]
	v_xor_b32_e32 v5, vcc_hi, v4
	v_xor_b32_e32 v4, vcc_lo, v4
	ds_read_b32 v24, v25 offset:64
	v_and_b32_e32 v4, v28, v4
	v_and_b32_e32 v5, v0, v5
	v_mbcnt_lo_u32_b32 v0, v4, 0
	v_mbcnt_hi_u32_b32 v26, v5, v0
	v_cmp_eq_u32_e32 vcc, 0, v26
	v_cmp_ne_u64_e64 s[0:1], 0, v[4:5]
	s_and_b64 s[4:5], s[0:1], vcc
	; wave barrier
	s_and_saveexec_b64 s[0:1], s[4:5]
	s_cbranch_execz .LBB1376_103
; %bb.102:
	v_bcnt_u32_b32 v0, v4, 0
	v_bcnt_u32_b32 v0, v5, v0
	s_waitcnt lgkmcnt(0)
	v_add_u32_e32 v0, v24, v0
	ds_write_b32 v25, v0 offset:64
.LBB1376_103:
	s_or_b64 exec, exec, s[0:1]
	s_waitcnt vmcnt(8)
	v_lshrrev_b32_sdwa v0, s24, v15 dst_sel:DWORD dst_unused:UNUSED_PAD src0_sel:DWORD src1_sel:WORD_0
	v_and_b32_e32 v30, s14, v0
	v_mul_u32_u24_e32 v0, 17, v30
	v_add_lshl_u32 v29, v27, v0, 2
	v_and_b32_e32 v0, 1, v30
	v_lshl_add_u64 v[4:5], v[0:1], 0, -1
	v_cmp_ne_u32_e32 vcc, 0, v0
	; wave barrier
	s_nop 1
	v_xor_b32_e32 v4, vcc_lo, v4
	v_xor_b32_e32 v0, vcc_hi, v5
	v_and_b32_e32 v31, exec_lo, v4
	v_lshlrev_b32_e32 v5, 30, v30
	v_mov_b32_e32 v4, v1
	v_cmp_gt_i64_e32 vcc, 0, v[4:5]
	v_not_b32_e32 v4, v5
	v_ashrrev_i32_e32 v4, 31, v4
	v_and_b32_e32 v0, exec_hi, v0
	v_xor_b32_e32 v5, vcc_hi, v4
	v_xor_b32_e32 v4, vcc_lo, v4
	v_and_b32_e32 v0, v0, v5
	v_and_b32_e32 v31, v31, v4
	v_lshlrev_b32_e32 v5, 29, v30
	v_mov_b32_e32 v4, v1
	v_cmp_gt_i64_e32 vcc, 0, v[4:5]
	v_not_b32_e32 v4, v5
	v_ashrrev_i32_e32 v4, 31, v4
	v_xor_b32_e32 v5, vcc_hi, v4
	v_xor_b32_e32 v4, vcc_lo, v4
	v_and_b32_e32 v0, v0, v5
	v_and_b32_e32 v31, v31, v4
	v_lshlrev_b32_e32 v5, 28, v30
	v_mov_b32_e32 v4, v1
	v_cmp_gt_i64_e32 vcc, 0, v[4:5]
	v_not_b32_e32 v4, v5
	v_ashrrev_i32_e32 v4, 31, v4
	;; [unrolled: 9-line block ×5, first 2 shown]
	v_xor_b32_e32 v5, vcc_hi, v4
	v_xor_b32_e32 v4, vcc_lo, v4
	v_and_b32_e32 v0, v0, v5
	v_lshlrev_b32_e32 v5, 24, v30
	v_and_b32_e32 v31, v31, v4
	v_mov_b32_e32 v4, v1
	v_not_b32_e32 v1, v5
	v_cmp_gt_i64_e32 vcc, 0, v[4:5]
	v_ashrrev_i32_e32 v1, 31, v1
	ds_read_b32 v28, v29 offset:64
	v_xor_b32_e32 v4, vcc_hi, v1
	v_xor_b32_e32 v5, vcc_lo, v1
	v_and_b32_e32 v1, v0, v4
	v_and_b32_e32 v0, v31, v5
	v_mbcnt_lo_u32_b32 v4, v0, 0
	v_mbcnt_hi_u32_b32 v30, v1, v4
	v_cmp_eq_u32_e32 vcc, 0, v30
	v_cmp_ne_u64_e64 s[0:1], 0, v[0:1]
	s_and_b64 s[4:5], s[0:1], vcc
	; wave barrier
	s_and_saveexec_b64 s[0:1], s[4:5]
	s_cbranch_execz .LBB1376_105
; %bb.104:
	v_bcnt_u32_b32 v0, v0, 0
	v_bcnt_u32_b32 v0, v1, v0
	s_waitcnt lgkmcnt(0)
	v_add_u32_e32 v0, v28, v0
	ds_write_b32 v29, v0 offset:64
.LBB1376_105:
	s_or_b64 exec, exec, s[0:1]
	s_waitcnt vmcnt(7)
	v_lshrrev_b32_sdwa v0, s24, v14 dst_sel:DWORD dst_unused:UNUSED_PAD src0_sel:DWORD src1_sel:WORD_0
	v_and_b32_e32 v33, s14, v0
	v_mul_u32_u24_e32 v0, 17, v33
	v_add_lshl_u32 v32, v27, v0, 2
	v_and_b32_e32 v0, 1, v33
	v_mov_b32_e32 v1, 0
	v_lshl_add_u64 v[4:5], v[0:1], 0, -1
	v_cmp_ne_u32_e32 vcc, 0, v0
	; wave barrier
	s_nop 1
	v_xor_b32_e32 v4, vcc_lo, v4
	v_xor_b32_e32 v0, vcc_hi, v5
	v_and_b32_e32 v34, exec_lo, v4
	v_lshlrev_b32_e32 v5, 30, v33
	v_mov_b32_e32 v4, v1
	v_cmp_gt_i64_e32 vcc, 0, v[4:5]
	v_not_b32_e32 v4, v5
	v_ashrrev_i32_e32 v4, 31, v4
	v_and_b32_e32 v0, exec_hi, v0
	v_xor_b32_e32 v5, vcc_hi, v4
	v_xor_b32_e32 v4, vcc_lo, v4
	v_and_b32_e32 v0, v0, v5
	v_and_b32_e32 v34, v34, v4
	v_lshlrev_b32_e32 v5, 29, v33
	v_mov_b32_e32 v4, v1
	v_cmp_gt_i64_e32 vcc, 0, v[4:5]
	v_not_b32_e32 v4, v5
	v_ashrrev_i32_e32 v4, 31, v4
	v_xor_b32_e32 v5, vcc_hi, v4
	v_xor_b32_e32 v4, vcc_lo, v4
	v_and_b32_e32 v0, v0, v5
	v_and_b32_e32 v34, v34, v4
	v_lshlrev_b32_e32 v5, 28, v33
	v_mov_b32_e32 v4, v1
	v_cmp_gt_i64_e32 vcc, 0, v[4:5]
	v_not_b32_e32 v4, v5
	v_ashrrev_i32_e32 v4, 31, v4
	;; [unrolled: 9-line block ×6, first 2 shown]
	v_xor_b32_e32 v5, vcc_hi, v4
	v_xor_b32_e32 v4, vcc_lo, v4
	ds_read_b32 v31, v32 offset:64
	v_and_b32_e32 v4, v34, v4
	v_and_b32_e32 v5, v0, v5
	v_mbcnt_lo_u32_b32 v0, v4, 0
	v_mbcnt_hi_u32_b32 v33, v5, v0
	v_cmp_eq_u32_e32 vcc, 0, v33
	v_cmp_ne_u64_e64 s[0:1], 0, v[4:5]
	s_and_b64 s[4:5], s[0:1], vcc
	; wave barrier
	s_and_saveexec_b64 s[0:1], s[4:5]
	s_cbranch_execz .LBB1376_107
; %bb.106:
	v_bcnt_u32_b32 v0, v4, 0
	v_bcnt_u32_b32 v0, v5, v0
	s_waitcnt lgkmcnt(0)
	v_add_u32_e32 v0, v31, v0
	ds_write_b32 v32, v0 offset:64
.LBB1376_107:
	s_or_b64 exec, exec, s[0:1]
	s_waitcnt vmcnt(6)
	v_lshrrev_b32_sdwa v0, s24, v13 dst_sel:DWORD dst_unused:UNUSED_PAD src0_sel:DWORD src1_sel:WORD_0
	v_and_b32_e32 v36, s14, v0
	v_mul_u32_u24_e32 v0, 17, v36
	v_add_lshl_u32 v35, v27, v0, 2
	v_and_b32_e32 v0, 1, v36
	v_lshl_add_u64 v[4:5], v[0:1], 0, -1
	v_cmp_ne_u32_e32 vcc, 0, v0
	; wave barrier
	s_nop 1
	v_xor_b32_e32 v4, vcc_lo, v4
	v_xor_b32_e32 v0, vcc_hi, v5
	v_and_b32_e32 v37, exec_lo, v4
	v_lshlrev_b32_e32 v5, 30, v36
	v_mov_b32_e32 v4, v1
	v_cmp_gt_i64_e32 vcc, 0, v[4:5]
	v_not_b32_e32 v4, v5
	v_ashrrev_i32_e32 v4, 31, v4
	v_and_b32_e32 v0, exec_hi, v0
	v_xor_b32_e32 v5, vcc_hi, v4
	v_xor_b32_e32 v4, vcc_lo, v4
	v_and_b32_e32 v0, v0, v5
	v_and_b32_e32 v37, v37, v4
	v_lshlrev_b32_e32 v5, 29, v36
	v_mov_b32_e32 v4, v1
	v_cmp_gt_i64_e32 vcc, 0, v[4:5]
	v_not_b32_e32 v4, v5
	v_ashrrev_i32_e32 v4, 31, v4
	v_xor_b32_e32 v5, vcc_hi, v4
	v_xor_b32_e32 v4, vcc_lo, v4
	v_and_b32_e32 v0, v0, v5
	v_and_b32_e32 v37, v37, v4
	v_lshlrev_b32_e32 v5, 28, v36
	v_mov_b32_e32 v4, v1
	v_cmp_gt_i64_e32 vcc, 0, v[4:5]
	v_not_b32_e32 v4, v5
	v_ashrrev_i32_e32 v4, 31, v4
	;; [unrolled: 9-line block ×5, first 2 shown]
	v_xor_b32_e32 v5, vcc_hi, v4
	v_xor_b32_e32 v4, vcc_lo, v4
	v_and_b32_e32 v0, v0, v5
	v_lshlrev_b32_e32 v5, 24, v36
	v_and_b32_e32 v37, v37, v4
	v_mov_b32_e32 v4, v1
	v_not_b32_e32 v1, v5
	v_cmp_gt_i64_e32 vcc, 0, v[4:5]
	v_ashrrev_i32_e32 v1, 31, v1
	ds_read_b32 v34, v35 offset:64
	v_xor_b32_e32 v4, vcc_hi, v1
	v_xor_b32_e32 v5, vcc_lo, v1
	v_and_b32_e32 v1, v0, v4
	v_and_b32_e32 v0, v37, v5
	v_mbcnt_lo_u32_b32 v4, v0, 0
	v_mbcnt_hi_u32_b32 v36, v1, v4
	v_cmp_eq_u32_e32 vcc, 0, v36
	v_cmp_ne_u64_e64 s[0:1], 0, v[0:1]
	s_and_b64 s[4:5], s[0:1], vcc
	; wave barrier
	s_and_saveexec_b64 s[0:1], s[4:5]
	s_cbranch_execz .LBB1376_109
; %bb.108:
	v_bcnt_u32_b32 v0, v0, 0
	v_bcnt_u32_b32 v0, v1, v0
	s_waitcnt lgkmcnt(0)
	v_add_u32_e32 v0, v34, v0
	ds_write_b32 v35, v0 offset:64
.LBB1376_109:
	s_or_b64 exec, exec, s[0:1]
	s_waitcnt vmcnt(5)
	v_lshrrev_b32_sdwa v0, s24, v12 dst_sel:DWORD dst_unused:UNUSED_PAD src0_sel:DWORD src1_sel:WORD_0
	v_and_b32_e32 v39, s14, v0
	v_mul_u32_u24_e32 v0, 17, v39
	v_add_lshl_u32 v38, v27, v0, 2
	v_and_b32_e32 v0, 1, v39
	v_mov_b32_e32 v1, 0
	v_lshl_add_u64 v[4:5], v[0:1], 0, -1
	v_cmp_ne_u32_e32 vcc, 0, v0
	; wave barrier
	s_nop 1
	v_xor_b32_e32 v4, vcc_lo, v4
	v_xor_b32_e32 v0, vcc_hi, v5
	v_and_b32_e32 v40, exec_lo, v4
	v_lshlrev_b32_e32 v5, 30, v39
	v_mov_b32_e32 v4, v1
	v_cmp_gt_i64_e32 vcc, 0, v[4:5]
	v_not_b32_e32 v4, v5
	v_ashrrev_i32_e32 v4, 31, v4
	v_and_b32_e32 v0, exec_hi, v0
	v_xor_b32_e32 v5, vcc_hi, v4
	v_xor_b32_e32 v4, vcc_lo, v4
	v_and_b32_e32 v0, v0, v5
	v_and_b32_e32 v40, v40, v4
	v_lshlrev_b32_e32 v5, 29, v39
	v_mov_b32_e32 v4, v1
	v_cmp_gt_i64_e32 vcc, 0, v[4:5]
	v_not_b32_e32 v4, v5
	v_ashrrev_i32_e32 v4, 31, v4
	v_xor_b32_e32 v5, vcc_hi, v4
	v_xor_b32_e32 v4, vcc_lo, v4
	v_and_b32_e32 v0, v0, v5
	v_and_b32_e32 v40, v40, v4
	v_lshlrev_b32_e32 v5, 28, v39
	v_mov_b32_e32 v4, v1
	v_cmp_gt_i64_e32 vcc, 0, v[4:5]
	v_not_b32_e32 v4, v5
	v_ashrrev_i32_e32 v4, 31, v4
	;; [unrolled: 9-line block ×6, first 2 shown]
	v_xor_b32_e32 v5, vcc_hi, v4
	v_xor_b32_e32 v4, vcc_lo, v4
	ds_read_b32 v37, v38 offset:64
	v_and_b32_e32 v4, v40, v4
	v_and_b32_e32 v5, v0, v5
	v_mbcnt_lo_u32_b32 v0, v4, 0
	v_mbcnt_hi_u32_b32 v39, v5, v0
	v_cmp_eq_u32_e32 vcc, 0, v39
	v_cmp_ne_u64_e64 s[0:1], 0, v[4:5]
	s_and_b64 s[4:5], s[0:1], vcc
	; wave barrier
	s_and_saveexec_b64 s[0:1], s[4:5]
	s_cbranch_execz .LBB1376_111
; %bb.110:
	v_bcnt_u32_b32 v0, v4, 0
	v_bcnt_u32_b32 v0, v5, v0
	s_waitcnt lgkmcnt(0)
	v_add_u32_e32 v0, v37, v0
	ds_write_b32 v38, v0 offset:64
.LBB1376_111:
	s_or_b64 exec, exec, s[0:1]
	s_waitcnt vmcnt(4)
	v_lshrrev_b32_sdwa v0, s24, v11 dst_sel:DWORD dst_unused:UNUSED_PAD src0_sel:DWORD src1_sel:WORD_0
	v_and_b32_e32 v42, s14, v0
	v_mul_u32_u24_e32 v0, 17, v42
	v_add_lshl_u32 v41, v27, v0, 2
	v_and_b32_e32 v0, 1, v42
	v_lshl_add_u64 v[4:5], v[0:1], 0, -1
	v_cmp_ne_u32_e32 vcc, 0, v0
	; wave barrier
	s_nop 1
	v_xor_b32_e32 v4, vcc_lo, v4
	v_xor_b32_e32 v0, vcc_hi, v5
	v_and_b32_e32 v43, exec_lo, v4
	v_lshlrev_b32_e32 v5, 30, v42
	v_mov_b32_e32 v4, v1
	v_cmp_gt_i64_e32 vcc, 0, v[4:5]
	v_not_b32_e32 v4, v5
	v_ashrrev_i32_e32 v4, 31, v4
	v_and_b32_e32 v0, exec_hi, v0
	v_xor_b32_e32 v5, vcc_hi, v4
	v_xor_b32_e32 v4, vcc_lo, v4
	v_and_b32_e32 v0, v0, v5
	v_and_b32_e32 v43, v43, v4
	v_lshlrev_b32_e32 v5, 29, v42
	v_mov_b32_e32 v4, v1
	v_cmp_gt_i64_e32 vcc, 0, v[4:5]
	v_not_b32_e32 v4, v5
	v_ashrrev_i32_e32 v4, 31, v4
	v_xor_b32_e32 v5, vcc_hi, v4
	v_xor_b32_e32 v4, vcc_lo, v4
	v_and_b32_e32 v0, v0, v5
	v_and_b32_e32 v43, v43, v4
	v_lshlrev_b32_e32 v5, 28, v42
	v_mov_b32_e32 v4, v1
	v_cmp_gt_i64_e32 vcc, 0, v[4:5]
	v_not_b32_e32 v4, v5
	v_ashrrev_i32_e32 v4, 31, v4
	;; [unrolled: 9-line block ×5, first 2 shown]
	v_xor_b32_e32 v5, vcc_hi, v4
	v_xor_b32_e32 v4, vcc_lo, v4
	v_and_b32_e32 v0, v0, v5
	v_lshlrev_b32_e32 v5, 24, v42
	v_and_b32_e32 v43, v43, v4
	v_mov_b32_e32 v4, v1
	v_not_b32_e32 v1, v5
	v_cmp_gt_i64_e32 vcc, 0, v[4:5]
	v_ashrrev_i32_e32 v1, 31, v1
	ds_read_b32 v40, v41 offset:64
	v_xor_b32_e32 v4, vcc_hi, v1
	v_xor_b32_e32 v5, vcc_lo, v1
	v_and_b32_e32 v1, v0, v4
	v_and_b32_e32 v0, v43, v5
	v_mbcnt_lo_u32_b32 v4, v0, 0
	v_mbcnt_hi_u32_b32 v42, v1, v4
	v_cmp_eq_u32_e32 vcc, 0, v42
	v_cmp_ne_u64_e64 s[0:1], 0, v[0:1]
	s_and_b64 s[4:5], s[0:1], vcc
	; wave barrier
	s_and_saveexec_b64 s[0:1], s[4:5]
	s_cbranch_execz .LBB1376_113
; %bb.112:
	v_bcnt_u32_b32 v0, v0, 0
	v_bcnt_u32_b32 v0, v1, v0
	s_waitcnt lgkmcnt(0)
	v_add_u32_e32 v0, v40, v0
	ds_write_b32 v41, v0 offset:64
.LBB1376_113:
	s_or_b64 exec, exec, s[0:1]
	s_waitcnt vmcnt(3)
	v_lshrrev_b32_sdwa v0, s24, v10 dst_sel:DWORD dst_unused:UNUSED_PAD src0_sel:DWORD src1_sel:WORD_0
	v_and_b32_e32 v45, s14, v0
	v_mul_u32_u24_e32 v0, 17, v45
	v_add_lshl_u32 v44, v27, v0, 2
	v_and_b32_e32 v0, 1, v45
	v_mov_b32_e32 v1, 0
	v_lshl_add_u64 v[4:5], v[0:1], 0, -1
	v_cmp_ne_u32_e32 vcc, 0, v0
	; wave barrier
	s_nop 1
	v_xor_b32_e32 v4, vcc_lo, v4
	v_xor_b32_e32 v0, vcc_hi, v5
	v_and_b32_e32 v46, exec_lo, v4
	v_lshlrev_b32_e32 v5, 30, v45
	v_mov_b32_e32 v4, v1
	v_cmp_gt_i64_e32 vcc, 0, v[4:5]
	v_not_b32_e32 v4, v5
	v_ashrrev_i32_e32 v4, 31, v4
	v_and_b32_e32 v0, exec_hi, v0
	v_xor_b32_e32 v5, vcc_hi, v4
	v_xor_b32_e32 v4, vcc_lo, v4
	v_and_b32_e32 v0, v0, v5
	v_and_b32_e32 v46, v46, v4
	v_lshlrev_b32_e32 v5, 29, v45
	v_mov_b32_e32 v4, v1
	v_cmp_gt_i64_e32 vcc, 0, v[4:5]
	v_not_b32_e32 v4, v5
	v_ashrrev_i32_e32 v4, 31, v4
	v_xor_b32_e32 v5, vcc_hi, v4
	v_xor_b32_e32 v4, vcc_lo, v4
	v_and_b32_e32 v0, v0, v5
	v_and_b32_e32 v46, v46, v4
	v_lshlrev_b32_e32 v5, 28, v45
	v_mov_b32_e32 v4, v1
	v_cmp_gt_i64_e32 vcc, 0, v[4:5]
	v_not_b32_e32 v4, v5
	v_ashrrev_i32_e32 v4, 31, v4
	;; [unrolled: 9-line block ×6, first 2 shown]
	v_xor_b32_e32 v5, vcc_hi, v4
	v_xor_b32_e32 v4, vcc_lo, v4
	ds_read_b32 v43, v44 offset:64
	v_and_b32_e32 v4, v46, v4
	v_and_b32_e32 v5, v0, v5
	v_mbcnt_lo_u32_b32 v0, v4, 0
	v_mbcnt_hi_u32_b32 v45, v5, v0
	v_cmp_eq_u32_e32 vcc, 0, v45
	v_cmp_ne_u64_e64 s[0:1], 0, v[4:5]
	s_and_b64 s[4:5], s[0:1], vcc
	; wave barrier
	s_and_saveexec_b64 s[0:1], s[4:5]
	s_cbranch_execz .LBB1376_115
; %bb.114:
	v_bcnt_u32_b32 v0, v4, 0
	v_bcnt_u32_b32 v0, v5, v0
	s_waitcnt lgkmcnt(0)
	v_add_u32_e32 v0, v43, v0
	ds_write_b32 v44, v0 offset:64
.LBB1376_115:
	s_or_b64 exec, exec, s[0:1]
	s_waitcnt vmcnt(2)
	v_lshrrev_b32_sdwa v0, s24, v9 dst_sel:DWORD dst_unused:UNUSED_PAD src0_sel:DWORD src1_sel:WORD_0
	v_and_b32_e32 v48, s14, v0
	v_mul_u32_u24_e32 v0, 17, v48
	v_add_lshl_u32 v47, v27, v0, 2
	v_and_b32_e32 v0, 1, v48
	v_lshl_add_u64 v[4:5], v[0:1], 0, -1
	v_cmp_ne_u32_e32 vcc, 0, v0
	; wave barrier
	s_nop 1
	v_xor_b32_e32 v4, vcc_lo, v4
	v_xor_b32_e32 v0, vcc_hi, v5
	v_and_b32_e32 v49, exec_lo, v4
	v_lshlrev_b32_e32 v5, 30, v48
	v_mov_b32_e32 v4, v1
	v_cmp_gt_i64_e32 vcc, 0, v[4:5]
	v_not_b32_e32 v4, v5
	v_ashrrev_i32_e32 v4, 31, v4
	v_and_b32_e32 v0, exec_hi, v0
	v_xor_b32_e32 v5, vcc_hi, v4
	v_xor_b32_e32 v4, vcc_lo, v4
	v_and_b32_e32 v0, v0, v5
	v_and_b32_e32 v49, v49, v4
	v_lshlrev_b32_e32 v5, 29, v48
	v_mov_b32_e32 v4, v1
	v_cmp_gt_i64_e32 vcc, 0, v[4:5]
	v_not_b32_e32 v4, v5
	v_ashrrev_i32_e32 v4, 31, v4
	v_xor_b32_e32 v5, vcc_hi, v4
	v_xor_b32_e32 v4, vcc_lo, v4
	v_and_b32_e32 v0, v0, v5
	v_and_b32_e32 v49, v49, v4
	v_lshlrev_b32_e32 v5, 28, v48
	v_mov_b32_e32 v4, v1
	v_cmp_gt_i64_e32 vcc, 0, v[4:5]
	v_not_b32_e32 v4, v5
	v_ashrrev_i32_e32 v4, 31, v4
	;; [unrolled: 9-line block ×5, first 2 shown]
	v_xor_b32_e32 v5, vcc_hi, v4
	v_xor_b32_e32 v4, vcc_lo, v4
	v_and_b32_e32 v0, v0, v5
	v_lshlrev_b32_e32 v5, 24, v48
	v_and_b32_e32 v49, v49, v4
	v_mov_b32_e32 v4, v1
	v_not_b32_e32 v1, v5
	v_cmp_gt_i64_e32 vcc, 0, v[4:5]
	v_ashrrev_i32_e32 v1, 31, v1
	ds_read_b32 v46, v47 offset:64
	v_xor_b32_e32 v4, vcc_hi, v1
	v_xor_b32_e32 v5, vcc_lo, v1
	v_and_b32_e32 v1, v0, v4
	v_and_b32_e32 v0, v49, v5
	v_mbcnt_lo_u32_b32 v4, v0, 0
	v_mbcnt_hi_u32_b32 v48, v1, v4
	v_cmp_eq_u32_e32 vcc, 0, v48
	v_cmp_ne_u64_e64 s[0:1], 0, v[0:1]
	s_and_b64 s[4:5], s[0:1], vcc
	; wave barrier
	s_and_saveexec_b64 s[0:1], s[4:5]
	s_cbranch_execz .LBB1376_117
; %bb.116:
	v_bcnt_u32_b32 v0, v0, 0
	v_bcnt_u32_b32 v0, v1, v0
	s_waitcnt lgkmcnt(0)
	v_add_u32_e32 v0, v46, v0
	ds_write_b32 v47, v0 offset:64
.LBB1376_117:
	s_or_b64 exec, exec, s[0:1]
	s_waitcnt vmcnt(1)
	v_lshrrev_b32_sdwa v0, s24, v8 dst_sel:DWORD dst_unused:UNUSED_PAD src0_sel:DWORD src1_sel:WORD_0
	v_and_b32_e32 v51, s14, v0
	v_mul_u32_u24_e32 v0, 17, v51
	v_add_lshl_u32 v50, v27, v0, 2
	v_and_b32_e32 v0, 1, v51
	v_mov_b32_e32 v1, 0
	v_lshl_add_u64 v[4:5], v[0:1], 0, -1
	v_cmp_ne_u32_e32 vcc, 0, v0
	; wave barrier
	s_nop 1
	v_xor_b32_e32 v4, vcc_lo, v4
	v_xor_b32_e32 v0, vcc_hi, v5
	v_and_b32_e32 v52, exec_lo, v4
	v_lshlrev_b32_e32 v5, 30, v51
	v_mov_b32_e32 v4, v1
	v_cmp_gt_i64_e32 vcc, 0, v[4:5]
	v_not_b32_e32 v4, v5
	v_ashrrev_i32_e32 v4, 31, v4
	v_and_b32_e32 v0, exec_hi, v0
	v_xor_b32_e32 v5, vcc_hi, v4
	v_xor_b32_e32 v4, vcc_lo, v4
	v_and_b32_e32 v0, v0, v5
	v_and_b32_e32 v52, v52, v4
	v_lshlrev_b32_e32 v5, 29, v51
	v_mov_b32_e32 v4, v1
	v_cmp_gt_i64_e32 vcc, 0, v[4:5]
	v_not_b32_e32 v4, v5
	v_ashrrev_i32_e32 v4, 31, v4
	v_xor_b32_e32 v5, vcc_hi, v4
	v_xor_b32_e32 v4, vcc_lo, v4
	v_and_b32_e32 v0, v0, v5
	v_and_b32_e32 v52, v52, v4
	v_lshlrev_b32_e32 v5, 28, v51
	v_mov_b32_e32 v4, v1
	v_cmp_gt_i64_e32 vcc, 0, v[4:5]
	v_not_b32_e32 v4, v5
	v_ashrrev_i32_e32 v4, 31, v4
	;; [unrolled: 9-line block ×6, first 2 shown]
	v_xor_b32_e32 v5, vcc_hi, v4
	v_xor_b32_e32 v4, vcc_lo, v4
	ds_read_b32 v49, v50 offset:64
	v_and_b32_e32 v4, v52, v4
	v_and_b32_e32 v5, v0, v5
	v_mbcnt_lo_u32_b32 v0, v4, 0
	v_mbcnt_hi_u32_b32 v51, v5, v0
	v_cmp_eq_u32_e32 vcc, 0, v51
	v_cmp_ne_u64_e64 s[0:1], 0, v[4:5]
	s_and_b64 s[4:5], s[0:1], vcc
	; wave barrier
	s_and_saveexec_b64 s[0:1], s[4:5]
	s_cbranch_execz .LBB1376_119
; %bb.118:
	v_bcnt_u32_b32 v0, v4, 0
	v_bcnt_u32_b32 v0, v5, v0
	s_waitcnt lgkmcnt(0)
	v_add_u32_e32 v0, v49, v0
	ds_write_b32 v50, v0 offset:64
.LBB1376_119:
	s_or_b64 exec, exec, s[0:1]
	s_waitcnt vmcnt(0)
	v_lshrrev_b32_sdwa v0, s24, v7 dst_sel:DWORD dst_unused:UNUSED_PAD src0_sel:DWORD src1_sel:WORD_0
	v_and_b32_e32 v55, s14, v0
	v_mul_u32_u24_e32 v0, 17, v55
	v_add_lshl_u32 v53, v27, v0, 2
	v_and_b32_e32 v0, 1, v55
	v_lshl_add_u64 v[4:5], v[0:1], 0, -1
	v_cmp_ne_u32_e32 vcc, 0, v0
	; wave barrier
	s_nop 1
	v_xor_b32_e32 v4, vcc_lo, v4
	v_xor_b32_e32 v0, vcc_hi, v5
	v_and_b32_e32 v27, exec_lo, v4
	v_lshlrev_b32_e32 v5, 30, v55
	v_mov_b32_e32 v4, v1
	v_cmp_gt_i64_e32 vcc, 0, v[4:5]
	v_not_b32_e32 v4, v5
	v_ashrrev_i32_e32 v4, 31, v4
	v_and_b32_e32 v0, exec_hi, v0
	v_xor_b32_e32 v5, vcc_hi, v4
	v_xor_b32_e32 v4, vcc_lo, v4
	v_and_b32_e32 v0, v0, v5
	v_and_b32_e32 v27, v27, v4
	v_lshlrev_b32_e32 v5, 29, v55
	v_mov_b32_e32 v4, v1
	v_cmp_gt_i64_e32 vcc, 0, v[4:5]
	v_not_b32_e32 v4, v5
	v_ashrrev_i32_e32 v4, 31, v4
	v_xor_b32_e32 v5, vcc_hi, v4
	v_xor_b32_e32 v4, vcc_lo, v4
	v_and_b32_e32 v0, v0, v5
	v_and_b32_e32 v27, v27, v4
	v_lshlrev_b32_e32 v5, 28, v55
	v_mov_b32_e32 v4, v1
	v_cmp_gt_i64_e32 vcc, 0, v[4:5]
	v_not_b32_e32 v4, v5
	v_ashrrev_i32_e32 v4, 31, v4
	;; [unrolled: 9-line block ×5, first 2 shown]
	v_xor_b32_e32 v5, vcc_hi, v4
	v_xor_b32_e32 v4, vcc_lo, v4
	v_and_b32_e32 v0, v0, v5
	v_lshlrev_b32_e32 v5, 24, v55
	v_and_b32_e32 v27, v27, v4
	v_mov_b32_e32 v4, v1
	v_not_b32_e32 v1, v5
	v_cmp_gt_i64_e32 vcc, 0, v[4:5]
	v_ashrrev_i32_e32 v1, 31, v1
	ds_read_b32 v52, v53 offset:64
	v_xor_b32_e32 v4, vcc_hi, v1
	v_xor_b32_e32 v5, vcc_lo, v1
	v_and_b32_e32 v1, v0, v4
	v_and_b32_e32 v0, v27, v5
	v_mbcnt_lo_u32_b32 v4, v0, 0
	v_mbcnt_hi_u32_b32 v55, v1, v4
	v_cmp_eq_u32_e32 vcc, 0, v55
	v_cmp_ne_u64_e64 s[0:1], 0, v[0:1]
	v_add_u32_e32 v54, 64, v18
	s_and_b64 s[4:5], s[0:1], vcc
	; wave barrier
	s_and_saveexec_b64 s[0:1], s[4:5]
	s_cbranch_execz .LBB1376_121
; %bb.120:
	v_bcnt_u32_b32 v0, v0, 0
	v_bcnt_u32_b32 v0, v1, v0
	s_waitcnt lgkmcnt(0)
	v_add_u32_e32 v0, v52, v0
	ds_write_b32 v53, v0 offset:64
.LBB1376_121:
	s_or_b64 exec, exec, s[0:1]
	; wave barrier
	s_waitcnt lgkmcnt(0)
	s_barrier
	ds_read2_b32 v[4:5], v18 offset0:16 offset1:17
	ds_read2_b32 v[0:1], v54 offset0:2 offset1:3
	ds_read_b32 v27, v54 offset:16
	v_cmp_lt_u32_e64 s[8:9], 31, v6
	s_waitcnt lgkmcnt(1)
	v_add3_u32 v56, v5, v4, v0
	s_waitcnt lgkmcnt(0)
	v_add3_u32 v27, v56, v1, v27
	v_and_b32_e32 v56, 15, v6
	v_cmp_eq_u32_e32 vcc, 0, v56
	v_mov_b32_dpp v57, v27 row_shr:1 row_mask:0xf bank_mask:0xf
	v_cmp_lt_u32_e64 s[0:1], 1, v56
	v_cndmask_b32_e64 v57, v57, 0, vcc
	v_add_u32_e32 v27, v57, v27
	v_cmp_lt_u32_e64 s[6:7], 3, v56
	v_cmp_lt_u32_e64 s[4:5], 7, v56
	v_mov_b32_dpp v57, v27 row_shr:2 row_mask:0xf bank_mask:0xf
	v_cndmask_b32_e64 v57, 0, v57, s[0:1]
	v_add_u32_e32 v27, v27, v57
	s_nop 1
	v_mov_b32_dpp v57, v27 row_shr:4 row_mask:0xf bank_mask:0xf
	v_cndmask_b32_e64 v57, 0, v57, s[6:7]
	v_add_u32_e32 v27, v27, v57
	s_nop 1
	v_mov_b32_dpp v57, v27 row_shr:8 row_mask:0xf bank_mask:0xf
	v_cndmask_b32_e64 v56, 0, v57, s[4:5]
	v_add_u32_e32 v27, v27, v56
	v_bfe_i32 v57, v6, 4, 1
	s_nop 0
	v_mov_b32_dpp v56, v27 row_bcast:15 row_mask:0xf bank_mask:0xf
	v_and_b32_e32 v56, v57, v56
	v_add_u32_e32 v27, v27, v56
	v_lshrrev_b32_e32 v57, 6, v2
	s_nop 0
	v_mov_b32_dpp v56, v27 row_bcast:31 row_mask:0xf bank_mask:0xf
	v_cndmask_b32_e64 v56, 0, v56, s[8:9]
	v_add_u32_e32 v56, v27, v56
	v_and_b32_e32 v27, 63, v2
	v_cmp_eq_u32_e64 s[8:9], 63, v27
	s_and_saveexec_b64 s[12:13], s[8:9]
	s_cbranch_execz .LBB1376_123
; %bb.122:
	v_lshlrev_b32_e32 v27, 2, v57
	ds_write_b32 v27, v56
.LBB1376_123:
	s_or_b64 exec, exec, s[12:13]
	v_cmp_gt_u32_e64 s[8:9], 16, v2
	v_lshlrev_b32_e32 v27, 2, v2
	s_waitcnt lgkmcnt(0)
	s_barrier
	s_and_saveexec_b64 s[12:13], s[8:9]
	s_cbranch_execz .LBB1376_125
; %bb.124:
	ds_read_b32 v58, v27
	s_waitcnt lgkmcnt(0)
	s_nop 0
	v_mov_b32_dpp v59, v58 row_shr:1 row_mask:0xf bank_mask:0xf
	v_cndmask_b32_e64 v59, v59, 0, vcc
	v_add_u32_e32 v58, v59, v58
	s_nop 1
	v_mov_b32_dpp v59, v58 row_shr:2 row_mask:0xf bank_mask:0xf
	v_cndmask_b32_e64 v59, 0, v59, s[0:1]
	v_add_u32_e32 v58, v58, v59
	s_nop 1
	v_mov_b32_dpp v59, v58 row_shr:4 row_mask:0xf bank_mask:0xf
	v_cndmask_b32_e64 v59, 0, v59, s[6:7]
	;; [unrolled: 4-line block ×3, first 2 shown]
	v_add_u32_e32 v58, v58, v59
	ds_write_b32 v27, v58
.LBB1376_125:
	s_or_b64 exec, exec, s[12:13]
	v_cmp_lt_u32_e32 vcc, 63, v2
	v_mov_b32_e32 v58, 0
	s_waitcnt lgkmcnt(0)
	s_barrier
	s_and_saveexec_b64 s[0:1], vcc
	s_cbranch_execz .LBB1376_127
; %bb.126:
	v_lshl_add_u32 v57, v57, 2, -4
	ds_read_b32 v58, v57
.LBB1376_127:
	s_or_b64 exec, exec, s[0:1]
	v_add_u32_e32 v57, -1, v6
	v_and_b32_e32 v59, 64, v6
	v_cmp_lt_i32_e32 vcc, v57, v59
	s_waitcnt lgkmcnt(0)
	v_add_u32_e32 v56, v58, v56
	s_movk_i32 s4, 0xff
	v_cndmask_b32_e32 v57, v57, v6, vcc
	v_lshlrev_b32_e32 v57, 2, v57
	ds_bpermute_b32 v56, v57, v56
	v_cmp_eq_u32_e32 vcc, 0, v6
	s_movk_i32 s5, 0x100
	v_cmp_lt_u32_e64 s[0:1], s4, v2
	s_waitcnt lgkmcnt(0)
	v_cndmask_b32_e32 v6, v56, v58, vcc
	v_cmp_ne_u32_e32 vcc, 0, v2
	s_nop 1
	v_cndmask_b32_e32 v6, 0, v6, vcc
	v_add_u32_e32 v4, v6, v4
	v_add_u32_e32 v5, v4, v5
	;; [unrolled: 1-line block ×4, first 2 shown]
	ds_write2_b32 v18, v6, v4 offset0:16 offset1:17
	ds_write2_b32 v54, v5, v0 offset0:2 offset1:3
	ds_write_b32 v54, v1 offset:16
	s_waitcnt lgkmcnt(0)
	s_barrier
	ds_read_b32 v58, v20 offset:64
	ds_read_b32 v57, v22 offset:64
	;; [unrolled: 1-line block ×12, first 2 shown]
	v_cmp_gt_u32_e32 vcc, s5, v2
                                        ; implicit-def: $vgpr18
                                        ; implicit-def: $vgpr20
	s_and_saveexec_b64 s[6:7], vcc
	s_cbranch_execz .LBB1376_131
; %bb.128:
	v_mul_u32_u24_e32 v18, 17, v2
	v_lshlrev_b32_e32 v32, 2, v18
	ds_read_b32 v18, v32 offset:64
	v_cmp_ne_u32_e64 s[4:5], s4, v2
	v_mov_b32_e32 v20, 0x3000
	s_and_saveexec_b64 s[8:9], s[4:5]
	s_cbranch_execz .LBB1376_130
; %bb.129:
	ds_read_b32 v20, v32 offset:132
.LBB1376_130:
	s_or_b64 exec, exec, s[8:9]
	s_waitcnt lgkmcnt(0)
	v_sub_u32_e32 v20, v20, v18
.LBB1376_131:
	s_or_b64 exec, exec, s[6:7]
	v_add_u32_e32 v21, v23, v21
	s_waitcnt lgkmcnt(11)
	v_add_lshl_u32 v19, v58, v19, 1
	v_add_u32_e32 v24, v26, v24
	s_waitcnt lgkmcnt(0)
	s_barrier
	ds_write_b16 v19, v3 offset:1024
	v_add_lshl_u32 v3, v21, v57, 1
	v_add_u32_e32 v28, v30, v28
	ds_write_b16 v3, v17 offset:1024
	v_add_lshl_u32 v3, v24, v56, 1
	v_add_u32_e32 v31, v33, v31
	;; [unrolled: 3-line block ×7, first 2 shown]
	v_add_u32_e32 v35, v51, v49
	v_add_u32_e32 v38, v48, v46
	ds_write_b16 v3, v11 offset:1024
	v_add_lshl_u32 v3, v41, v5, 1
	ds_write_b16 v3, v10 offset:1024
	v_add_lshl_u32 v3, v38, v4, 1
	v_add_lshl_u32 v1, v35, v1, 1
	;; [unrolled: 1-line block ×3, first 2 shown]
	ds_write_b16 v3, v9 offset:1024
	ds_write_b16 v1, v8 offset:1024
	;; [unrolled: 1-line block ×3, first 2 shown]
	s_and_saveexec_b64 s[4:5], s[0:1]
	s_xor_b64 s[0:1], exec, s[4:5]
; %bb.132:
	v_mov_b32_e32 v3, 0
                                        ; implicit-def: $vgpr27
; %bb.133:
	s_andn2_saveexec_b64 s[4:5], s[0:1]
	s_cbranch_execz .LBB1376_143
; %bb.134:
	v_lshl_or_b32 v4, s2, 8, v2
	v_mov_b32_e32 v5, 0
	v_lshl_add_u64 v[0:1], v[4:5], 2, s[28:29]
	v_or_b32_e32 v3, 2.0, v20
	s_mov_b64 s[6:7], 0
	s_brev_b32 s15, 1
	s_mov_b32 s20, s2
	v_mov_b32_e32 v8, 0
	global_store_dword v[0:1], v3, off sc1
                                        ; implicit-def: $sgpr0_sgpr1
	s_branch .LBB1376_137
.LBB1376_135:                           ;   in Loop: Header=BB1376_137 Depth=1
	s_or_b64 exec, exec, s[12:13]
.LBB1376_136:                           ;   in Loop: Header=BB1376_137 Depth=1
	s_or_b64 exec, exec, s[8:9]
	v_and_b32_e32 v4, 0x3fffffff, v4
	v_add_u32_e32 v8, v4, v8
	v_cmp_eq_u32_e64 s[0:1], s15, v3
	s_and_b64 s[8:9], exec, s[0:1]
	s_or_b64 s[6:7], s[8:9], s[6:7]
	s_andn2_b64 exec, exec, s[6:7]
	s_cbranch_execz .LBB1376_142
.LBB1376_137:                           ; =>This Loop Header: Depth=1
                                        ;     Child Loop BB1376_140 Depth 2
	s_or_b64 s[0:1], s[0:1], exec
	s_cmp_eq_u32 s20, 0
	s_cbranch_scc1 .LBB1376_141
; %bb.138:                              ;   in Loop: Header=BB1376_137 Depth=1
	s_add_i32 s20, s20, -1
	v_lshl_or_b32 v4, s20, 8, v2
	v_lshl_add_u64 v[6:7], v[4:5], 2, s[28:29]
	global_load_dword v4, v[6:7], off sc1
	s_waitcnt vmcnt(0)
	v_and_b32_e32 v3, -2.0, v4
	v_cmp_eq_u32_e64 s[0:1], 0, v3
	s_and_saveexec_b64 s[8:9], s[0:1]
	s_cbranch_execz .LBB1376_136
; %bb.139:                              ;   in Loop: Header=BB1376_137 Depth=1
	s_mov_b64 s[12:13], 0
.LBB1376_140:                           ;   Parent Loop BB1376_137 Depth=1
                                        ; =>  This Inner Loop Header: Depth=2
	global_load_dword v4, v[6:7], off sc1
	s_waitcnt vmcnt(0)
	v_and_b32_e32 v3, -2.0, v4
	v_cmp_ne_u32_e64 s[0:1], 0, v3
	s_or_b64 s[12:13], s[0:1], s[12:13]
	s_andn2_b64 exec, exec, s[12:13]
	s_cbranch_execnz .LBB1376_140
	s_branch .LBB1376_135
.LBB1376_141:                           ;   in Loop: Header=BB1376_137 Depth=1
                                        ; implicit-def: $sgpr20
	s_and_b64 s[8:9], exec, s[0:1]
	s_or_b64 s[6:7], s[8:9], s[6:7]
	s_andn2_b64 exec, exec, s[6:7]
	s_cbranch_execnz .LBB1376_137
.LBB1376_142:
	s_or_b64 exec, exec, s[6:7]
	v_add_u32_e32 v3, v8, v20
	v_or_b32_e32 v3, 0x80000000, v3
	global_store_dword v[0:1], v3, off sc1
	global_load_dword v0, v27, s[16:17]
	v_sub_u32_e32 v1, v8, v18
	v_mov_b32_e32 v3, 0
	s_waitcnt vmcnt(0)
	v_add_u32_e32 v0, v1, v0
	ds_write_b32 v27, v0
.LBB1376_143:
	s_or_b64 exec, exec, s[4:5]
	v_lshlrev_b32_e32 v0, 1, v2
	s_waitcnt lgkmcnt(0)
	s_barrier
	v_lshlrev_b32_e32 v1, 1, v2
	ds_read_u16 v6, v0 offset:1024
	ds_read_u16 v7, v1 offset:3072
	;; [unrolled: 1-line block ×7, first 2 shown]
	s_waitcnt lgkmcnt(6)
	v_lshrrev_b32_sdwa v0, s24, v6 dst_sel:DWORD dst_unused:UNUSED_PAD src0_sel:DWORD src1_sel:WORD_0
	s_waitcnt lgkmcnt(4)
	v_lshrrev_b32_sdwa v5, s24, v8 dst_sel:DWORD dst_unused:UNUSED_PAD src0_sel:DWORD src1_sel:WORD_0
	v_and_b32_e32 v0, s14, v0
	v_lshrrev_b32_sdwa v4, s24, v7 dst_sel:DWORD dst_unused:UNUSED_PAD src0_sel:DWORD src1_sel:WORD_0
	v_and_b32_e32 v5, s14, v5
	v_lshlrev_b32_e32 v0, 2, v0
	v_and_b32_e32 v4, s14, v4
	v_lshlrev_b32_e32 v5, 2, v5
	v_lshlrev_b32_e32 v4, 2, v4
	ds_read_b32 v13, v5
	ds_read_b32 v0, v0
	ds_read_u16 v14, v1 offset:5120
	ds_read_u16 v15, v1 offset:9216
	;; [unrolled: 1-line block ×4, first 2 shown]
	ds_read_b32 v19, v4
	ds_read_u16 v21, v1 offset:21504
	s_waitcnt lgkmcnt(6)
	v_add_u32_e32 v0, v0, v2
	v_mov_b32_e32 v1, 0
	s_movk_i32 s0, 0x400
	v_lshl_add_u64 v[4:5], v[0:1], 1, s[22:23]
	s_waitcnt lgkmcnt(1)
	v_add3_u32 v0, v19, v2, s0
	global_store_short v[4:5], v6, off
	v_lshl_add_u64 v[4:5], v[0:1], 1, s[22:23]
	global_store_short v[4:5], v7, off
	v_lshrrev_b32_sdwa v0, s24, v14 dst_sel:DWORD dst_unused:UNUSED_PAD src0_sel:DWORD src1_sel:WORD_0
	v_lshrrev_b32_sdwa v6, s24, v16 dst_sel:DWORD dst_unused:UNUSED_PAD src0_sel:DWORD src1_sel:WORD_0
	;; [unrolled: 1-line block ×5, first 2 shown]
	s_waitcnt lgkmcnt(0)
	v_lshrrev_b32_sdwa v23, s24, v21 dst_sel:DWORD dst_unused:UNUSED_PAD src0_sel:DWORD src1_sel:WORD_0
	v_and_b32_e32 v0, s14, v0
	v_lshrrev_b32_sdwa v4, s24, v15 dst_sel:DWORD dst_unused:UNUSED_PAD src0_sel:DWORD src1_sel:WORD_0
	v_lshrrev_b32_sdwa v5, s24, v9 dst_sel:DWORD dst_unused:UNUSED_PAD src0_sel:DWORD src1_sel:WORD_0
	v_and_b32_e32 v6, s14, v6
	v_and_b32_e32 v7, s14, v7
	;; [unrolled: 1-line block ×5, first 2 shown]
	v_lshlrev_b32_e32 v0, 2, v0
	v_and_b32_e32 v4, s14, v4
	v_and_b32_e32 v5, s14, v5
	v_lshlrev_b32_e32 v6, 2, v6
	v_lshlrev_b32_e32 v7, 2, v7
	;; [unrolled: 1-line block ×5, first 2 shown]
	s_movk_i32 s0, 0x800
	v_lshlrev_b32_e32 v4, 2, v4
	v_lshlrev_b32_e32 v5, 2, v5
	ds_read_b32 v0, v0
	ds_read_b32 v24, v4
	;; [unrolled: 1-line block ×8, first 2 shown]
	s_waitcnt lgkmcnt(7)
	v_add3_u32 v0, v0, v2, s0
	s_movk_i32 s0, 0xc00
	v_lshl_add_u64 v[4:5], v[0:1], 1, s[22:23]
	v_add3_u32 v0, v13, v2, s0
	s_movk_i32 s0, 0x1000
	global_store_short v[4:5], v14, off
	v_lshl_add_u64 v[4:5], v[0:1], 1, s[22:23]
	s_waitcnt lgkmcnt(6)
	v_add3_u32 v0, v24, v2, s0
	s_movk_i32 s0, 0x1400
	global_store_short v[4:5], v8, off
	v_lshl_add_u64 v[4:5], v[0:1], 1, s[22:23]
	s_waitcnt lgkmcnt(5)
	;; [unrolled: 5-line block ×6, first 2 shown]
	v_add3_u32 v0, v22, v2, s0
	global_store_short v[4:5], v17, off
	v_lshl_add_u64 v[4:5], v[0:1], 1, s[22:23]
	v_lshrrev_b32_sdwa v0, s24, v12 dst_sel:DWORD dst_unused:UNUSED_PAD src0_sel:DWORD src1_sel:WORD_0
	v_and_b32_e32 v0, s14, v0
	v_lshlrev_b32_e32 v0, 2, v0
	ds_read_b32 v6, v0
	s_movk_i32 s0, 0x2800
	s_add_i32 s3, s3, -1
	s_waitcnt lgkmcnt(1)
	v_add3_u32 v0, v23, v2, s0
	s_movk_i32 s0, 0x2c00
	s_cmp_eq_u32 s3, s2
	global_store_short v[4:5], v11, off
	v_lshl_add_u64 v[4:5], v[0:1], 1, s[22:23]
	s_waitcnt lgkmcnt(0)
	v_add3_u32 v0, v6, v2, s0
	s_cselect_b64 s[0:1], -1, 0
	v_lshl_add_u64 v[0:1], v[0:1], 1, s[22:23]
	s_and_b64 s[2:3], vcc, s[0:1]
	global_store_short v[4:5], v21, off
	global_store_short v[0:1], v12, off
                                        ; implicit-def: $vgpr4
	s_and_saveexec_b64 s[0:1], s[2:3]
; %bb.144:
	v_add_u32_e32 v4, v18, v20
	s_or_b64 s[10:11], s[10:11], exec
; %bb.145:
	s_or_b64 exec, exec, s[0:1]
.LBB1376_146:
	s_and_saveexec_b64 s[0:1], s[10:11]
	s_cbranch_execnz .LBB1376_148
; %bb.147:
	s_endpgm
.LBB1376_148:
	v_lshlrev_b32_e32 v0, 2, v2
	ds_read_b32 v5, v0
	v_mov_b32_e32 v0, s18
	v_mov_b32_e32 v1, s19
	v_lshl_add_u64 v[0:1], v[2:3], 2, v[0:1]
	s_waitcnt lgkmcnt(0)
	v_add_u32_e32 v2, v5, v4
	global_store_dword v[0:1], v2, off
	s_endpgm
	.section	.rodata,"a",@progbits
	.p2align	6, 0x0
	.amdhsa_kernel _ZN7rocprim17ROCPRIM_400000_NS6detail17trampoline_kernelINS0_14default_configENS1_35radix_sort_onesweep_config_selectorItNS0_10empty_typeEEEZZNS1_29radix_sort_onesweep_iterationIS3_Lb0EN6thrust23THRUST_200600_302600_NS6detail15normal_iteratorINS9_10device_ptrItEEEESE_PS5_SF_jNS0_19identity_decomposerENS1_16block_id_wrapperIjLb0EEEEE10hipError_tT1_PNSt15iterator_traitsISK_E10value_typeET2_T3_PNSL_ISQ_E10value_typeET4_T5_PSV_SW_PNS1_23onesweep_lookback_stateEbbT6_jjT7_P12ihipStream_tbENKUlT_T0_SK_SP_E_clISE_PtSF_SF_EEDaS13_S14_SK_SP_EUlS13_E_NS1_11comp_targetILNS1_3genE5ELNS1_11target_archE942ELNS1_3gpuE9ELNS1_3repE0EEENS1_47radix_sort_onesweep_sort_config_static_selectorELNS0_4arch9wavefront6targetE1EEEvSK_
		.amdhsa_group_segment_fixed_size 25608
		.amdhsa_private_segment_fixed_size 0
		.amdhsa_kernarg_size 344
		.amdhsa_user_sgpr_count 2
		.amdhsa_user_sgpr_dispatch_ptr 0
		.amdhsa_user_sgpr_queue_ptr 0
		.amdhsa_user_sgpr_kernarg_segment_ptr 1
		.amdhsa_user_sgpr_dispatch_id 0
		.amdhsa_user_sgpr_kernarg_preload_length 0
		.amdhsa_user_sgpr_kernarg_preload_offset 0
		.amdhsa_user_sgpr_private_segment_size 0
		.amdhsa_uses_dynamic_stack 0
		.amdhsa_enable_private_segment 0
		.amdhsa_system_sgpr_workgroup_id_x 1
		.amdhsa_system_sgpr_workgroup_id_y 0
		.amdhsa_system_sgpr_workgroup_id_z 0
		.amdhsa_system_sgpr_workgroup_info 0
		.amdhsa_system_vgpr_workitem_id 2
		.amdhsa_next_free_vgpr 62
		.amdhsa_next_free_sgpr 32
		.amdhsa_accum_offset 64
		.amdhsa_reserve_vcc 1
		.amdhsa_float_round_mode_32 0
		.amdhsa_float_round_mode_16_64 0
		.amdhsa_float_denorm_mode_32 3
		.amdhsa_float_denorm_mode_16_64 3
		.amdhsa_dx10_clamp 1
		.amdhsa_ieee_mode 1
		.amdhsa_fp16_overflow 0
		.amdhsa_tg_split 0
		.amdhsa_exception_fp_ieee_invalid_op 0
		.amdhsa_exception_fp_denorm_src 0
		.amdhsa_exception_fp_ieee_div_zero 0
		.amdhsa_exception_fp_ieee_overflow 0
		.amdhsa_exception_fp_ieee_underflow 0
		.amdhsa_exception_fp_ieee_inexact 0
		.amdhsa_exception_int_div_zero 0
	.end_amdhsa_kernel
	.section	.text._ZN7rocprim17ROCPRIM_400000_NS6detail17trampoline_kernelINS0_14default_configENS1_35radix_sort_onesweep_config_selectorItNS0_10empty_typeEEEZZNS1_29radix_sort_onesweep_iterationIS3_Lb0EN6thrust23THRUST_200600_302600_NS6detail15normal_iteratorINS9_10device_ptrItEEEESE_PS5_SF_jNS0_19identity_decomposerENS1_16block_id_wrapperIjLb0EEEEE10hipError_tT1_PNSt15iterator_traitsISK_E10value_typeET2_T3_PNSL_ISQ_E10value_typeET4_T5_PSV_SW_PNS1_23onesweep_lookback_stateEbbT6_jjT7_P12ihipStream_tbENKUlT_T0_SK_SP_E_clISE_PtSF_SF_EEDaS13_S14_SK_SP_EUlS13_E_NS1_11comp_targetILNS1_3genE5ELNS1_11target_archE942ELNS1_3gpuE9ELNS1_3repE0EEENS1_47radix_sort_onesweep_sort_config_static_selectorELNS0_4arch9wavefront6targetE1EEEvSK_,"axG",@progbits,_ZN7rocprim17ROCPRIM_400000_NS6detail17trampoline_kernelINS0_14default_configENS1_35radix_sort_onesweep_config_selectorItNS0_10empty_typeEEEZZNS1_29radix_sort_onesweep_iterationIS3_Lb0EN6thrust23THRUST_200600_302600_NS6detail15normal_iteratorINS9_10device_ptrItEEEESE_PS5_SF_jNS0_19identity_decomposerENS1_16block_id_wrapperIjLb0EEEEE10hipError_tT1_PNSt15iterator_traitsISK_E10value_typeET2_T3_PNSL_ISQ_E10value_typeET4_T5_PSV_SW_PNS1_23onesweep_lookback_stateEbbT6_jjT7_P12ihipStream_tbENKUlT_T0_SK_SP_E_clISE_PtSF_SF_EEDaS13_S14_SK_SP_EUlS13_E_NS1_11comp_targetILNS1_3genE5ELNS1_11target_archE942ELNS1_3gpuE9ELNS1_3repE0EEENS1_47radix_sort_onesweep_sort_config_static_selectorELNS0_4arch9wavefront6targetE1EEEvSK_,comdat
.Lfunc_end1376:
	.size	_ZN7rocprim17ROCPRIM_400000_NS6detail17trampoline_kernelINS0_14default_configENS1_35radix_sort_onesweep_config_selectorItNS0_10empty_typeEEEZZNS1_29radix_sort_onesweep_iterationIS3_Lb0EN6thrust23THRUST_200600_302600_NS6detail15normal_iteratorINS9_10device_ptrItEEEESE_PS5_SF_jNS0_19identity_decomposerENS1_16block_id_wrapperIjLb0EEEEE10hipError_tT1_PNSt15iterator_traitsISK_E10value_typeET2_T3_PNSL_ISQ_E10value_typeET4_T5_PSV_SW_PNS1_23onesweep_lookback_stateEbbT6_jjT7_P12ihipStream_tbENKUlT_T0_SK_SP_E_clISE_PtSF_SF_EEDaS13_S14_SK_SP_EUlS13_E_NS1_11comp_targetILNS1_3genE5ELNS1_11target_archE942ELNS1_3gpuE9ELNS1_3repE0EEENS1_47radix_sort_onesweep_sort_config_static_selectorELNS0_4arch9wavefront6targetE1EEEvSK_, .Lfunc_end1376-_ZN7rocprim17ROCPRIM_400000_NS6detail17trampoline_kernelINS0_14default_configENS1_35radix_sort_onesweep_config_selectorItNS0_10empty_typeEEEZZNS1_29radix_sort_onesweep_iterationIS3_Lb0EN6thrust23THRUST_200600_302600_NS6detail15normal_iteratorINS9_10device_ptrItEEEESE_PS5_SF_jNS0_19identity_decomposerENS1_16block_id_wrapperIjLb0EEEEE10hipError_tT1_PNSt15iterator_traitsISK_E10value_typeET2_T3_PNSL_ISQ_E10value_typeET4_T5_PSV_SW_PNS1_23onesweep_lookback_stateEbbT6_jjT7_P12ihipStream_tbENKUlT_T0_SK_SP_E_clISE_PtSF_SF_EEDaS13_S14_SK_SP_EUlS13_E_NS1_11comp_targetILNS1_3genE5ELNS1_11target_archE942ELNS1_3gpuE9ELNS1_3repE0EEENS1_47radix_sort_onesweep_sort_config_static_selectorELNS0_4arch9wavefront6targetE1EEEvSK_
                                        ; -- End function
	.section	.AMDGPU.csdata,"",@progbits
; Kernel info:
; codeLenInByte = 15328
; NumSgprs: 38
; NumVgprs: 62
; NumAgprs: 0
; TotalNumVgprs: 62
; ScratchSize: 0
; MemoryBound: 0
; FloatMode: 240
; IeeeMode: 1
; LDSByteSize: 25608 bytes/workgroup (compile time only)
; SGPRBlocks: 4
; VGPRBlocks: 7
; NumSGPRsForWavesPerEU: 38
; NumVGPRsForWavesPerEU: 62
; AccumOffset: 64
; Occupancy: 8
; WaveLimiterHint : 1
; COMPUTE_PGM_RSRC2:SCRATCH_EN: 0
; COMPUTE_PGM_RSRC2:USER_SGPR: 2
; COMPUTE_PGM_RSRC2:TRAP_HANDLER: 0
; COMPUTE_PGM_RSRC2:TGID_X_EN: 1
; COMPUTE_PGM_RSRC2:TGID_Y_EN: 0
; COMPUTE_PGM_RSRC2:TGID_Z_EN: 0
; COMPUTE_PGM_RSRC2:TIDIG_COMP_CNT: 2
; COMPUTE_PGM_RSRC3_GFX90A:ACCUM_OFFSET: 15
; COMPUTE_PGM_RSRC3_GFX90A:TG_SPLIT: 0
	.section	.text._ZN7rocprim17ROCPRIM_400000_NS6detail17trampoline_kernelINS0_14default_configENS1_35radix_sort_onesweep_config_selectorItNS0_10empty_typeEEEZZNS1_29radix_sort_onesweep_iterationIS3_Lb0EN6thrust23THRUST_200600_302600_NS6detail15normal_iteratorINS9_10device_ptrItEEEESE_PS5_SF_jNS0_19identity_decomposerENS1_16block_id_wrapperIjLb0EEEEE10hipError_tT1_PNSt15iterator_traitsISK_E10value_typeET2_T3_PNSL_ISQ_E10value_typeET4_T5_PSV_SW_PNS1_23onesweep_lookback_stateEbbT6_jjT7_P12ihipStream_tbENKUlT_T0_SK_SP_E_clISE_PtSF_SF_EEDaS13_S14_SK_SP_EUlS13_E_NS1_11comp_targetILNS1_3genE2ELNS1_11target_archE906ELNS1_3gpuE6ELNS1_3repE0EEENS1_47radix_sort_onesweep_sort_config_static_selectorELNS0_4arch9wavefront6targetE1EEEvSK_,"axG",@progbits,_ZN7rocprim17ROCPRIM_400000_NS6detail17trampoline_kernelINS0_14default_configENS1_35radix_sort_onesweep_config_selectorItNS0_10empty_typeEEEZZNS1_29radix_sort_onesweep_iterationIS3_Lb0EN6thrust23THRUST_200600_302600_NS6detail15normal_iteratorINS9_10device_ptrItEEEESE_PS5_SF_jNS0_19identity_decomposerENS1_16block_id_wrapperIjLb0EEEEE10hipError_tT1_PNSt15iterator_traitsISK_E10value_typeET2_T3_PNSL_ISQ_E10value_typeET4_T5_PSV_SW_PNS1_23onesweep_lookback_stateEbbT6_jjT7_P12ihipStream_tbENKUlT_T0_SK_SP_E_clISE_PtSF_SF_EEDaS13_S14_SK_SP_EUlS13_E_NS1_11comp_targetILNS1_3genE2ELNS1_11target_archE906ELNS1_3gpuE6ELNS1_3repE0EEENS1_47radix_sort_onesweep_sort_config_static_selectorELNS0_4arch9wavefront6targetE1EEEvSK_,comdat
	.protected	_ZN7rocprim17ROCPRIM_400000_NS6detail17trampoline_kernelINS0_14default_configENS1_35radix_sort_onesweep_config_selectorItNS0_10empty_typeEEEZZNS1_29radix_sort_onesweep_iterationIS3_Lb0EN6thrust23THRUST_200600_302600_NS6detail15normal_iteratorINS9_10device_ptrItEEEESE_PS5_SF_jNS0_19identity_decomposerENS1_16block_id_wrapperIjLb0EEEEE10hipError_tT1_PNSt15iterator_traitsISK_E10value_typeET2_T3_PNSL_ISQ_E10value_typeET4_T5_PSV_SW_PNS1_23onesweep_lookback_stateEbbT6_jjT7_P12ihipStream_tbENKUlT_T0_SK_SP_E_clISE_PtSF_SF_EEDaS13_S14_SK_SP_EUlS13_E_NS1_11comp_targetILNS1_3genE2ELNS1_11target_archE906ELNS1_3gpuE6ELNS1_3repE0EEENS1_47radix_sort_onesweep_sort_config_static_selectorELNS0_4arch9wavefront6targetE1EEEvSK_ ; -- Begin function _ZN7rocprim17ROCPRIM_400000_NS6detail17trampoline_kernelINS0_14default_configENS1_35radix_sort_onesweep_config_selectorItNS0_10empty_typeEEEZZNS1_29radix_sort_onesweep_iterationIS3_Lb0EN6thrust23THRUST_200600_302600_NS6detail15normal_iteratorINS9_10device_ptrItEEEESE_PS5_SF_jNS0_19identity_decomposerENS1_16block_id_wrapperIjLb0EEEEE10hipError_tT1_PNSt15iterator_traitsISK_E10value_typeET2_T3_PNSL_ISQ_E10value_typeET4_T5_PSV_SW_PNS1_23onesweep_lookback_stateEbbT6_jjT7_P12ihipStream_tbENKUlT_T0_SK_SP_E_clISE_PtSF_SF_EEDaS13_S14_SK_SP_EUlS13_E_NS1_11comp_targetILNS1_3genE2ELNS1_11target_archE906ELNS1_3gpuE6ELNS1_3repE0EEENS1_47radix_sort_onesweep_sort_config_static_selectorELNS0_4arch9wavefront6targetE1EEEvSK_
	.globl	_ZN7rocprim17ROCPRIM_400000_NS6detail17trampoline_kernelINS0_14default_configENS1_35radix_sort_onesweep_config_selectorItNS0_10empty_typeEEEZZNS1_29radix_sort_onesweep_iterationIS3_Lb0EN6thrust23THRUST_200600_302600_NS6detail15normal_iteratorINS9_10device_ptrItEEEESE_PS5_SF_jNS0_19identity_decomposerENS1_16block_id_wrapperIjLb0EEEEE10hipError_tT1_PNSt15iterator_traitsISK_E10value_typeET2_T3_PNSL_ISQ_E10value_typeET4_T5_PSV_SW_PNS1_23onesweep_lookback_stateEbbT6_jjT7_P12ihipStream_tbENKUlT_T0_SK_SP_E_clISE_PtSF_SF_EEDaS13_S14_SK_SP_EUlS13_E_NS1_11comp_targetILNS1_3genE2ELNS1_11target_archE906ELNS1_3gpuE6ELNS1_3repE0EEENS1_47radix_sort_onesweep_sort_config_static_selectorELNS0_4arch9wavefront6targetE1EEEvSK_
	.p2align	8
	.type	_ZN7rocprim17ROCPRIM_400000_NS6detail17trampoline_kernelINS0_14default_configENS1_35radix_sort_onesweep_config_selectorItNS0_10empty_typeEEEZZNS1_29radix_sort_onesweep_iterationIS3_Lb0EN6thrust23THRUST_200600_302600_NS6detail15normal_iteratorINS9_10device_ptrItEEEESE_PS5_SF_jNS0_19identity_decomposerENS1_16block_id_wrapperIjLb0EEEEE10hipError_tT1_PNSt15iterator_traitsISK_E10value_typeET2_T3_PNSL_ISQ_E10value_typeET4_T5_PSV_SW_PNS1_23onesweep_lookback_stateEbbT6_jjT7_P12ihipStream_tbENKUlT_T0_SK_SP_E_clISE_PtSF_SF_EEDaS13_S14_SK_SP_EUlS13_E_NS1_11comp_targetILNS1_3genE2ELNS1_11target_archE906ELNS1_3gpuE6ELNS1_3repE0EEENS1_47radix_sort_onesweep_sort_config_static_selectorELNS0_4arch9wavefront6targetE1EEEvSK_,@function
_ZN7rocprim17ROCPRIM_400000_NS6detail17trampoline_kernelINS0_14default_configENS1_35radix_sort_onesweep_config_selectorItNS0_10empty_typeEEEZZNS1_29radix_sort_onesweep_iterationIS3_Lb0EN6thrust23THRUST_200600_302600_NS6detail15normal_iteratorINS9_10device_ptrItEEEESE_PS5_SF_jNS0_19identity_decomposerENS1_16block_id_wrapperIjLb0EEEEE10hipError_tT1_PNSt15iterator_traitsISK_E10value_typeET2_T3_PNSL_ISQ_E10value_typeET4_T5_PSV_SW_PNS1_23onesweep_lookback_stateEbbT6_jjT7_P12ihipStream_tbENKUlT_T0_SK_SP_E_clISE_PtSF_SF_EEDaS13_S14_SK_SP_EUlS13_E_NS1_11comp_targetILNS1_3genE2ELNS1_11target_archE906ELNS1_3gpuE6ELNS1_3repE0EEENS1_47radix_sort_onesweep_sort_config_static_selectorELNS0_4arch9wavefront6targetE1EEEvSK_: ; @_ZN7rocprim17ROCPRIM_400000_NS6detail17trampoline_kernelINS0_14default_configENS1_35radix_sort_onesweep_config_selectorItNS0_10empty_typeEEEZZNS1_29radix_sort_onesweep_iterationIS3_Lb0EN6thrust23THRUST_200600_302600_NS6detail15normal_iteratorINS9_10device_ptrItEEEESE_PS5_SF_jNS0_19identity_decomposerENS1_16block_id_wrapperIjLb0EEEEE10hipError_tT1_PNSt15iterator_traitsISK_E10value_typeET2_T3_PNSL_ISQ_E10value_typeET4_T5_PSV_SW_PNS1_23onesweep_lookback_stateEbbT6_jjT7_P12ihipStream_tbENKUlT_T0_SK_SP_E_clISE_PtSF_SF_EEDaS13_S14_SK_SP_EUlS13_E_NS1_11comp_targetILNS1_3genE2ELNS1_11target_archE906ELNS1_3gpuE6ELNS1_3repE0EEENS1_47radix_sort_onesweep_sort_config_static_selectorELNS0_4arch9wavefront6targetE1EEEvSK_
; %bb.0:
	.section	.rodata,"a",@progbits
	.p2align	6, 0x0
	.amdhsa_kernel _ZN7rocprim17ROCPRIM_400000_NS6detail17trampoline_kernelINS0_14default_configENS1_35radix_sort_onesweep_config_selectorItNS0_10empty_typeEEEZZNS1_29radix_sort_onesweep_iterationIS3_Lb0EN6thrust23THRUST_200600_302600_NS6detail15normal_iteratorINS9_10device_ptrItEEEESE_PS5_SF_jNS0_19identity_decomposerENS1_16block_id_wrapperIjLb0EEEEE10hipError_tT1_PNSt15iterator_traitsISK_E10value_typeET2_T3_PNSL_ISQ_E10value_typeET4_T5_PSV_SW_PNS1_23onesweep_lookback_stateEbbT6_jjT7_P12ihipStream_tbENKUlT_T0_SK_SP_E_clISE_PtSF_SF_EEDaS13_S14_SK_SP_EUlS13_E_NS1_11comp_targetILNS1_3genE2ELNS1_11target_archE906ELNS1_3gpuE6ELNS1_3repE0EEENS1_47radix_sort_onesweep_sort_config_static_selectorELNS0_4arch9wavefront6targetE1EEEvSK_
		.amdhsa_group_segment_fixed_size 0
		.amdhsa_private_segment_fixed_size 0
		.amdhsa_kernarg_size 88
		.amdhsa_user_sgpr_count 2
		.amdhsa_user_sgpr_dispatch_ptr 0
		.amdhsa_user_sgpr_queue_ptr 0
		.amdhsa_user_sgpr_kernarg_segment_ptr 1
		.amdhsa_user_sgpr_dispatch_id 0
		.amdhsa_user_sgpr_kernarg_preload_length 0
		.amdhsa_user_sgpr_kernarg_preload_offset 0
		.amdhsa_user_sgpr_private_segment_size 0
		.amdhsa_uses_dynamic_stack 0
		.amdhsa_enable_private_segment 0
		.amdhsa_system_sgpr_workgroup_id_x 1
		.amdhsa_system_sgpr_workgroup_id_y 0
		.amdhsa_system_sgpr_workgroup_id_z 0
		.amdhsa_system_sgpr_workgroup_info 0
		.amdhsa_system_vgpr_workitem_id 0
		.amdhsa_next_free_vgpr 1
		.amdhsa_next_free_sgpr 0
		.amdhsa_accum_offset 4
		.amdhsa_reserve_vcc 0
		.amdhsa_float_round_mode_32 0
		.amdhsa_float_round_mode_16_64 0
		.amdhsa_float_denorm_mode_32 3
		.amdhsa_float_denorm_mode_16_64 3
		.amdhsa_dx10_clamp 1
		.amdhsa_ieee_mode 1
		.amdhsa_fp16_overflow 0
		.amdhsa_tg_split 0
		.amdhsa_exception_fp_ieee_invalid_op 0
		.amdhsa_exception_fp_denorm_src 0
		.amdhsa_exception_fp_ieee_div_zero 0
		.amdhsa_exception_fp_ieee_overflow 0
		.amdhsa_exception_fp_ieee_underflow 0
		.amdhsa_exception_fp_ieee_inexact 0
		.amdhsa_exception_int_div_zero 0
	.end_amdhsa_kernel
	.section	.text._ZN7rocprim17ROCPRIM_400000_NS6detail17trampoline_kernelINS0_14default_configENS1_35radix_sort_onesweep_config_selectorItNS0_10empty_typeEEEZZNS1_29radix_sort_onesweep_iterationIS3_Lb0EN6thrust23THRUST_200600_302600_NS6detail15normal_iteratorINS9_10device_ptrItEEEESE_PS5_SF_jNS0_19identity_decomposerENS1_16block_id_wrapperIjLb0EEEEE10hipError_tT1_PNSt15iterator_traitsISK_E10value_typeET2_T3_PNSL_ISQ_E10value_typeET4_T5_PSV_SW_PNS1_23onesweep_lookback_stateEbbT6_jjT7_P12ihipStream_tbENKUlT_T0_SK_SP_E_clISE_PtSF_SF_EEDaS13_S14_SK_SP_EUlS13_E_NS1_11comp_targetILNS1_3genE2ELNS1_11target_archE906ELNS1_3gpuE6ELNS1_3repE0EEENS1_47radix_sort_onesweep_sort_config_static_selectorELNS0_4arch9wavefront6targetE1EEEvSK_,"axG",@progbits,_ZN7rocprim17ROCPRIM_400000_NS6detail17trampoline_kernelINS0_14default_configENS1_35radix_sort_onesweep_config_selectorItNS0_10empty_typeEEEZZNS1_29radix_sort_onesweep_iterationIS3_Lb0EN6thrust23THRUST_200600_302600_NS6detail15normal_iteratorINS9_10device_ptrItEEEESE_PS5_SF_jNS0_19identity_decomposerENS1_16block_id_wrapperIjLb0EEEEE10hipError_tT1_PNSt15iterator_traitsISK_E10value_typeET2_T3_PNSL_ISQ_E10value_typeET4_T5_PSV_SW_PNS1_23onesweep_lookback_stateEbbT6_jjT7_P12ihipStream_tbENKUlT_T0_SK_SP_E_clISE_PtSF_SF_EEDaS13_S14_SK_SP_EUlS13_E_NS1_11comp_targetILNS1_3genE2ELNS1_11target_archE906ELNS1_3gpuE6ELNS1_3repE0EEENS1_47radix_sort_onesweep_sort_config_static_selectorELNS0_4arch9wavefront6targetE1EEEvSK_,comdat
.Lfunc_end1377:
	.size	_ZN7rocprim17ROCPRIM_400000_NS6detail17trampoline_kernelINS0_14default_configENS1_35radix_sort_onesweep_config_selectorItNS0_10empty_typeEEEZZNS1_29radix_sort_onesweep_iterationIS3_Lb0EN6thrust23THRUST_200600_302600_NS6detail15normal_iteratorINS9_10device_ptrItEEEESE_PS5_SF_jNS0_19identity_decomposerENS1_16block_id_wrapperIjLb0EEEEE10hipError_tT1_PNSt15iterator_traitsISK_E10value_typeET2_T3_PNSL_ISQ_E10value_typeET4_T5_PSV_SW_PNS1_23onesweep_lookback_stateEbbT6_jjT7_P12ihipStream_tbENKUlT_T0_SK_SP_E_clISE_PtSF_SF_EEDaS13_S14_SK_SP_EUlS13_E_NS1_11comp_targetILNS1_3genE2ELNS1_11target_archE906ELNS1_3gpuE6ELNS1_3repE0EEENS1_47radix_sort_onesweep_sort_config_static_selectorELNS0_4arch9wavefront6targetE1EEEvSK_, .Lfunc_end1377-_ZN7rocprim17ROCPRIM_400000_NS6detail17trampoline_kernelINS0_14default_configENS1_35radix_sort_onesweep_config_selectorItNS0_10empty_typeEEEZZNS1_29radix_sort_onesweep_iterationIS3_Lb0EN6thrust23THRUST_200600_302600_NS6detail15normal_iteratorINS9_10device_ptrItEEEESE_PS5_SF_jNS0_19identity_decomposerENS1_16block_id_wrapperIjLb0EEEEE10hipError_tT1_PNSt15iterator_traitsISK_E10value_typeET2_T3_PNSL_ISQ_E10value_typeET4_T5_PSV_SW_PNS1_23onesweep_lookback_stateEbbT6_jjT7_P12ihipStream_tbENKUlT_T0_SK_SP_E_clISE_PtSF_SF_EEDaS13_S14_SK_SP_EUlS13_E_NS1_11comp_targetILNS1_3genE2ELNS1_11target_archE906ELNS1_3gpuE6ELNS1_3repE0EEENS1_47radix_sort_onesweep_sort_config_static_selectorELNS0_4arch9wavefront6targetE1EEEvSK_
                                        ; -- End function
	.section	.AMDGPU.csdata,"",@progbits
; Kernel info:
; codeLenInByte = 0
; NumSgprs: 6
; NumVgprs: 0
; NumAgprs: 0
; TotalNumVgprs: 0
; ScratchSize: 0
; MemoryBound: 0
; FloatMode: 240
; IeeeMode: 1
; LDSByteSize: 0 bytes/workgroup (compile time only)
; SGPRBlocks: 0
; VGPRBlocks: 0
; NumSGPRsForWavesPerEU: 6
; NumVGPRsForWavesPerEU: 1
; AccumOffset: 4
; Occupancy: 8
; WaveLimiterHint : 0
; COMPUTE_PGM_RSRC2:SCRATCH_EN: 0
; COMPUTE_PGM_RSRC2:USER_SGPR: 2
; COMPUTE_PGM_RSRC2:TRAP_HANDLER: 0
; COMPUTE_PGM_RSRC2:TGID_X_EN: 1
; COMPUTE_PGM_RSRC2:TGID_Y_EN: 0
; COMPUTE_PGM_RSRC2:TGID_Z_EN: 0
; COMPUTE_PGM_RSRC2:TIDIG_COMP_CNT: 0
; COMPUTE_PGM_RSRC3_GFX90A:ACCUM_OFFSET: 0
; COMPUTE_PGM_RSRC3_GFX90A:TG_SPLIT: 0
	.section	.text._ZN7rocprim17ROCPRIM_400000_NS6detail17trampoline_kernelINS0_14default_configENS1_35radix_sort_onesweep_config_selectorItNS0_10empty_typeEEEZZNS1_29radix_sort_onesweep_iterationIS3_Lb0EN6thrust23THRUST_200600_302600_NS6detail15normal_iteratorINS9_10device_ptrItEEEESE_PS5_SF_jNS0_19identity_decomposerENS1_16block_id_wrapperIjLb0EEEEE10hipError_tT1_PNSt15iterator_traitsISK_E10value_typeET2_T3_PNSL_ISQ_E10value_typeET4_T5_PSV_SW_PNS1_23onesweep_lookback_stateEbbT6_jjT7_P12ihipStream_tbENKUlT_T0_SK_SP_E_clISE_PtSF_SF_EEDaS13_S14_SK_SP_EUlS13_E_NS1_11comp_targetILNS1_3genE4ELNS1_11target_archE910ELNS1_3gpuE8ELNS1_3repE0EEENS1_47radix_sort_onesweep_sort_config_static_selectorELNS0_4arch9wavefront6targetE1EEEvSK_,"axG",@progbits,_ZN7rocprim17ROCPRIM_400000_NS6detail17trampoline_kernelINS0_14default_configENS1_35radix_sort_onesweep_config_selectorItNS0_10empty_typeEEEZZNS1_29radix_sort_onesweep_iterationIS3_Lb0EN6thrust23THRUST_200600_302600_NS6detail15normal_iteratorINS9_10device_ptrItEEEESE_PS5_SF_jNS0_19identity_decomposerENS1_16block_id_wrapperIjLb0EEEEE10hipError_tT1_PNSt15iterator_traitsISK_E10value_typeET2_T3_PNSL_ISQ_E10value_typeET4_T5_PSV_SW_PNS1_23onesweep_lookback_stateEbbT6_jjT7_P12ihipStream_tbENKUlT_T0_SK_SP_E_clISE_PtSF_SF_EEDaS13_S14_SK_SP_EUlS13_E_NS1_11comp_targetILNS1_3genE4ELNS1_11target_archE910ELNS1_3gpuE8ELNS1_3repE0EEENS1_47radix_sort_onesweep_sort_config_static_selectorELNS0_4arch9wavefront6targetE1EEEvSK_,comdat
	.protected	_ZN7rocprim17ROCPRIM_400000_NS6detail17trampoline_kernelINS0_14default_configENS1_35radix_sort_onesweep_config_selectorItNS0_10empty_typeEEEZZNS1_29radix_sort_onesweep_iterationIS3_Lb0EN6thrust23THRUST_200600_302600_NS6detail15normal_iteratorINS9_10device_ptrItEEEESE_PS5_SF_jNS0_19identity_decomposerENS1_16block_id_wrapperIjLb0EEEEE10hipError_tT1_PNSt15iterator_traitsISK_E10value_typeET2_T3_PNSL_ISQ_E10value_typeET4_T5_PSV_SW_PNS1_23onesweep_lookback_stateEbbT6_jjT7_P12ihipStream_tbENKUlT_T0_SK_SP_E_clISE_PtSF_SF_EEDaS13_S14_SK_SP_EUlS13_E_NS1_11comp_targetILNS1_3genE4ELNS1_11target_archE910ELNS1_3gpuE8ELNS1_3repE0EEENS1_47radix_sort_onesweep_sort_config_static_selectorELNS0_4arch9wavefront6targetE1EEEvSK_ ; -- Begin function _ZN7rocprim17ROCPRIM_400000_NS6detail17trampoline_kernelINS0_14default_configENS1_35radix_sort_onesweep_config_selectorItNS0_10empty_typeEEEZZNS1_29radix_sort_onesweep_iterationIS3_Lb0EN6thrust23THRUST_200600_302600_NS6detail15normal_iteratorINS9_10device_ptrItEEEESE_PS5_SF_jNS0_19identity_decomposerENS1_16block_id_wrapperIjLb0EEEEE10hipError_tT1_PNSt15iterator_traitsISK_E10value_typeET2_T3_PNSL_ISQ_E10value_typeET4_T5_PSV_SW_PNS1_23onesweep_lookback_stateEbbT6_jjT7_P12ihipStream_tbENKUlT_T0_SK_SP_E_clISE_PtSF_SF_EEDaS13_S14_SK_SP_EUlS13_E_NS1_11comp_targetILNS1_3genE4ELNS1_11target_archE910ELNS1_3gpuE8ELNS1_3repE0EEENS1_47radix_sort_onesweep_sort_config_static_selectorELNS0_4arch9wavefront6targetE1EEEvSK_
	.globl	_ZN7rocprim17ROCPRIM_400000_NS6detail17trampoline_kernelINS0_14default_configENS1_35radix_sort_onesweep_config_selectorItNS0_10empty_typeEEEZZNS1_29radix_sort_onesweep_iterationIS3_Lb0EN6thrust23THRUST_200600_302600_NS6detail15normal_iteratorINS9_10device_ptrItEEEESE_PS5_SF_jNS0_19identity_decomposerENS1_16block_id_wrapperIjLb0EEEEE10hipError_tT1_PNSt15iterator_traitsISK_E10value_typeET2_T3_PNSL_ISQ_E10value_typeET4_T5_PSV_SW_PNS1_23onesweep_lookback_stateEbbT6_jjT7_P12ihipStream_tbENKUlT_T0_SK_SP_E_clISE_PtSF_SF_EEDaS13_S14_SK_SP_EUlS13_E_NS1_11comp_targetILNS1_3genE4ELNS1_11target_archE910ELNS1_3gpuE8ELNS1_3repE0EEENS1_47radix_sort_onesweep_sort_config_static_selectorELNS0_4arch9wavefront6targetE1EEEvSK_
	.p2align	8
	.type	_ZN7rocprim17ROCPRIM_400000_NS6detail17trampoline_kernelINS0_14default_configENS1_35radix_sort_onesweep_config_selectorItNS0_10empty_typeEEEZZNS1_29radix_sort_onesweep_iterationIS3_Lb0EN6thrust23THRUST_200600_302600_NS6detail15normal_iteratorINS9_10device_ptrItEEEESE_PS5_SF_jNS0_19identity_decomposerENS1_16block_id_wrapperIjLb0EEEEE10hipError_tT1_PNSt15iterator_traitsISK_E10value_typeET2_T3_PNSL_ISQ_E10value_typeET4_T5_PSV_SW_PNS1_23onesweep_lookback_stateEbbT6_jjT7_P12ihipStream_tbENKUlT_T0_SK_SP_E_clISE_PtSF_SF_EEDaS13_S14_SK_SP_EUlS13_E_NS1_11comp_targetILNS1_3genE4ELNS1_11target_archE910ELNS1_3gpuE8ELNS1_3repE0EEENS1_47radix_sort_onesweep_sort_config_static_selectorELNS0_4arch9wavefront6targetE1EEEvSK_,@function
_ZN7rocprim17ROCPRIM_400000_NS6detail17trampoline_kernelINS0_14default_configENS1_35radix_sort_onesweep_config_selectorItNS0_10empty_typeEEEZZNS1_29radix_sort_onesweep_iterationIS3_Lb0EN6thrust23THRUST_200600_302600_NS6detail15normal_iteratorINS9_10device_ptrItEEEESE_PS5_SF_jNS0_19identity_decomposerENS1_16block_id_wrapperIjLb0EEEEE10hipError_tT1_PNSt15iterator_traitsISK_E10value_typeET2_T3_PNSL_ISQ_E10value_typeET4_T5_PSV_SW_PNS1_23onesweep_lookback_stateEbbT6_jjT7_P12ihipStream_tbENKUlT_T0_SK_SP_E_clISE_PtSF_SF_EEDaS13_S14_SK_SP_EUlS13_E_NS1_11comp_targetILNS1_3genE4ELNS1_11target_archE910ELNS1_3gpuE8ELNS1_3repE0EEENS1_47radix_sort_onesweep_sort_config_static_selectorELNS0_4arch9wavefront6targetE1EEEvSK_: ; @_ZN7rocprim17ROCPRIM_400000_NS6detail17trampoline_kernelINS0_14default_configENS1_35radix_sort_onesweep_config_selectorItNS0_10empty_typeEEEZZNS1_29radix_sort_onesweep_iterationIS3_Lb0EN6thrust23THRUST_200600_302600_NS6detail15normal_iteratorINS9_10device_ptrItEEEESE_PS5_SF_jNS0_19identity_decomposerENS1_16block_id_wrapperIjLb0EEEEE10hipError_tT1_PNSt15iterator_traitsISK_E10value_typeET2_T3_PNSL_ISQ_E10value_typeET4_T5_PSV_SW_PNS1_23onesweep_lookback_stateEbbT6_jjT7_P12ihipStream_tbENKUlT_T0_SK_SP_E_clISE_PtSF_SF_EEDaS13_S14_SK_SP_EUlS13_E_NS1_11comp_targetILNS1_3genE4ELNS1_11target_archE910ELNS1_3gpuE8ELNS1_3repE0EEENS1_47radix_sort_onesweep_sort_config_static_selectorELNS0_4arch9wavefront6targetE1EEEvSK_
; %bb.0:
	.section	.rodata,"a",@progbits
	.p2align	6, 0x0
	.amdhsa_kernel _ZN7rocprim17ROCPRIM_400000_NS6detail17trampoline_kernelINS0_14default_configENS1_35radix_sort_onesweep_config_selectorItNS0_10empty_typeEEEZZNS1_29radix_sort_onesweep_iterationIS3_Lb0EN6thrust23THRUST_200600_302600_NS6detail15normal_iteratorINS9_10device_ptrItEEEESE_PS5_SF_jNS0_19identity_decomposerENS1_16block_id_wrapperIjLb0EEEEE10hipError_tT1_PNSt15iterator_traitsISK_E10value_typeET2_T3_PNSL_ISQ_E10value_typeET4_T5_PSV_SW_PNS1_23onesweep_lookback_stateEbbT6_jjT7_P12ihipStream_tbENKUlT_T0_SK_SP_E_clISE_PtSF_SF_EEDaS13_S14_SK_SP_EUlS13_E_NS1_11comp_targetILNS1_3genE4ELNS1_11target_archE910ELNS1_3gpuE8ELNS1_3repE0EEENS1_47radix_sort_onesweep_sort_config_static_selectorELNS0_4arch9wavefront6targetE1EEEvSK_
		.amdhsa_group_segment_fixed_size 0
		.amdhsa_private_segment_fixed_size 0
		.amdhsa_kernarg_size 88
		.amdhsa_user_sgpr_count 2
		.amdhsa_user_sgpr_dispatch_ptr 0
		.amdhsa_user_sgpr_queue_ptr 0
		.amdhsa_user_sgpr_kernarg_segment_ptr 1
		.amdhsa_user_sgpr_dispatch_id 0
		.amdhsa_user_sgpr_kernarg_preload_length 0
		.amdhsa_user_sgpr_kernarg_preload_offset 0
		.amdhsa_user_sgpr_private_segment_size 0
		.amdhsa_uses_dynamic_stack 0
		.amdhsa_enable_private_segment 0
		.amdhsa_system_sgpr_workgroup_id_x 1
		.amdhsa_system_sgpr_workgroup_id_y 0
		.amdhsa_system_sgpr_workgroup_id_z 0
		.amdhsa_system_sgpr_workgroup_info 0
		.amdhsa_system_vgpr_workitem_id 0
		.amdhsa_next_free_vgpr 1
		.amdhsa_next_free_sgpr 0
		.amdhsa_accum_offset 4
		.amdhsa_reserve_vcc 0
		.amdhsa_float_round_mode_32 0
		.amdhsa_float_round_mode_16_64 0
		.amdhsa_float_denorm_mode_32 3
		.amdhsa_float_denorm_mode_16_64 3
		.amdhsa_dx10_clamp 1
		.amdhsa_ieee_mode 1
		.amdhsa_fp16_overflow 0
		.amdhsa_tg_split 0
		.amdhsa_exception_fp_ieee_invalid_op 0
		.amdhsa_exception_fp_denorm_src 0
		.amdhsa_exception_fp_ieee_div_zero 0
		.amdhsa_exception_fp_ieee_overflow 0
		.amdhsa_exception_fp_ieee_underflow 0
		.amdhsa_exception_fp_ieee_inexact 0
		.amdhsa_exception_int_div_zero 0
	.end_amdhsa_kernel
	.section	.text._ZN7rocprim17ROCPRIM_400000_NS6detail17trampoline_kernelINS0_14default_configENS1_35radix_sort_onesweep_config_selectorItNS0_10empty_typeEEEZZNS1_29radix_sort_onesweep_iterationIS3_Lb0EN6thrust23THRUST_200600_302600_NS6detail15normal_iteratorINS9_10device_ptrItEEEESE_PS5_SF_jNS0_19identity_decomposerENS1_16block_id_wrapperIjLb0EEEEE10hipError_tT1_PNSt15iterator_traitsISK_E10value_typeET2_T3_PNSL_ISQ_E10value_typeET4_T5_PSV_SW_PNS1_23onesweep_lookback_stateEbbT6_jjT7_P12ihipStream_tbENKUlT_T0_SK_SP_E_clISE_PtSF_SF_EEDaS13_S14_SK_SP_EUlS13_E_NS1_11comp_targetILNS1_3genE4ELNS1_11target_archE910ELNS1_3gpuE8ELNS1_3repE0EEENS1_47radix_sort_onesweep_sort_config_static_selectorELNS0_4arch9wavefront6targetE1EEEvSK_,"axG",@progbits,_ZN7rocprim17ROCPRIM_400000_NS6detail17trampoline_kernelINS0_14default_configENS1_35radix_sort_onesweep_config_selectorItNS0_10empty_typeEEEZZNS1_29radix_sort_onesweep_iterationIS3_Lb0EN6thrust23THRUST_200600_302600_NS6detail15normal_iteratorINS9_10device_ptrItEEEESE_PS5_SF_jNS0_19identity_decomposerENS1_16block_id_wrapperIjLb0EEEEE10hipError_tT1_PNSt15iterator_traitsISK_E10value_typeET2_T3_PNSL_ISQ_E10value_typeET4_T5_PSV_SW_PNS1_23onesweep_lookback_stateEbbT6_jjT7_P12ihipStream_tbENKUlT_T0_SK_SP_E_clISE_PtSF_SF_EEDaS13_S14_SK_SP_EUlS13_E_NS1_11comp_targetILNS1_3genE4ELNS1_11target_archE910ELNS1_3gpuE8ELNS1_3repE0EEENS1_47radix_sort_onesweep_sort_config_static_selectorELNS0_4arch9wavefront6targetE1EEEvSK_,comdat
.Lfunc_end1378:
	.size	_ZN7rocprim17ROCPRIM_400000_NS6detail17trampoline_kernelINS0_14default_configENS1_35radix_sort_onesweep_config_selectorItNS0_10empty_typeEEEZZNS1_29radix_sort_onesweep_iterationIS3_Lb0EN6thrust23THRUST_200600_302600_NS6detail15normal_iteratorINS9_10device_ptrItEEEESE_PS5_SF_jNS0_19identity_decomposerENS1_16block_id_wrapperIjLb0EEEEE10hipError_tT1_PNSt15iterator_traitsISK_E10value_typeET2_T3_PNSL_ISQ_E10value_typeET4_T5_PSV_SW_PNS1_23onesweep_lookback_stateEbbT6_jjT7_P12ihipStream_tbENKUlT_T0_SK_SP_E_clISE_PtSF_SF_EEDaS13_S14_SK_SP_EUlS13_E_NS1_11comp_targetILNS1_3genE4ELNS1_11target_archE910ELNS1_3gpuE8ELNS1_3repE0EEENS1_47radix_sort_onesweep_sort_config_static_selectorELNS0_4arch9wavefront6targetE1EEEvSK_, .Lfunc_end1378-_ZN7rocprim17ROCPRIM_400000_NS6detail17trampoline_kernelINS0_14default_configENS1_35radix_sort_onesweep_config_selectorItNS0_10empty_typeEEEZZNS1_29radix_sort_onesweep_iterationIS3_Lb0EN6thrust23THRUST_200600_302600_NS6detail15normal_iteratorINS9_10device_ptrItEEEESE_PS5_SF_jNS0_19identity_decomposerENS1_16block_id_wrapperIjLb0EEEEE10hipError_tT1_PNSt15iterator_traitsISK_E10value_typeET2_T3_PNSL_ISQ_E10value_typeET4_T5_PSV_SW_PNS1_23onesweep_lookback_stateEbbT6_jjT7_P12ihipStream_tbENKUlT_T0_SK_SP_E_clISE_PtSF_SF_EEDaS13_S14_SK_SP_EUlS13_E_NS1_11comp_targetILNS1_3genE4ELNS1_11target_archE910ELNS1_3gpuE8ELNS1_3repE0EEENS1_47radix_sort_onesweep_sort_config_static_selectorELNS0_4arch9wavefront6targetE1EEEvSK_
                                        ; -- End function
	.section	.AMDGPU.csdata,"",@progbits
; Kernel info:
; codeLenInByte = 0
; NumSgprs: 6
; NumVgprs: 0
; NumAgprs: 0
; TotalNumVgprs: 0
; ScratchSize: 0
; MemoryBound: 0
; FloatMode: 240
; IeeeMode: 1
; LDSByteSize: 0 bytes/workgroup (compile time only)
; SGPRBlocks: 0
; VGPRBlocks: 0
; NumSGPRsForWavesPerEU: 6
; NumVGPRsForWavesPerEU: 1
; AccumOffset: 4
; Occupancy: 8
; WaveLimiterHint : 0
; COMPUTE_PGM_RSRC2:SCRATCH_EN: 0
; COMPUTE_PGM_RSRC2:USER_SGPR: 2
; COMPUTE_PGM_RSRC2:TRAP_HANDLER: 0
; COMPUTE_PGM_RSRC2:TGID_X_EN: 1
; COMPUTE_PGM_RSRC2:TGID_Y_EN: 0
; COMPUTE_PGM_RSRC2:TGID_Z_EN: 0
; COMPUTE_PGM_RSRC2:TIDIG_COMP_CNT: 0
; COMPUTE_PGM_RSRC3_GFX90A:ACCUM_OFFSET: 0
; COMPUTE_PGM_RSRC3_GFX90A:TG_SPLIT: 0
	.section	.text._ZN7rocprim17ROCPRIM_400000_NS6detail17trampoline_kernelINS0_14default_configENS1_35radix_sort_onesweep_config_selectorItNS0_10empty_typeEEEZZNS1_29radix_sort_onesweep_iterationIS3_Lb0EN6thrust23THRUST_200600_302600_NS6detail15normal_iteratorINS9_10device_ptrItEEEESE_PS5_SF_jNS0_19identity_decomposerENS1_16block_id_wrapperIjLb0EEEEE10hipError_tT1_PNSt15iterator_traitsISK_E10value_typeET2_T3_PNSL_ISQ_E10value_typeET4_T5_PSV_SW_PNS1_23onesweep_lookback_stateEbbT6_jjT7_P12ihipStream_tbENKUlT_T0_SK_SP_E_clISE_PtSF_SF_EEDaS13_S14_SK_SP_EUlS13_E_NS1_11comp_targetILNS1_3genE3ELNS1_11target_archE908ELNS1_3gpuE7ELNS1_3repE0EEENS1_47radix_sort_onesweep_sort_config_static_selectorELNS0_4arch9wavefront6targetE1EEEvSK_,"axG",@progbits,_ZN7rocprim17ROCPRIM_400000_NS6detail17trampoline_kernelINS0_14default_configENS1_35radix_sort_onesweep_config_selectorItNS0_10empty_typeEEEZZNS1_29radix_sort_onesweep_iterationIS3_Lb0EN6thrust23THRUST_200600_302600_NS6detail15normal_iteratorINS9_10device_ptrItEEEESE_PS5_SF_jNS0_19identity_decomposerENS1_16block_id_wrapperIjLb0EEEEE10hipError_tT1_PNSt15iterator_traitsISK_E10value_typeET2_T3_PNSL_ISQ_E10value_typeET4_T5_PSV_SW_PNS1_23onesweep_lookback_stateEbbT6_jjT7_P12ihipStream_tbENKUlT_T0_SK_SP_E_clISE_PtSF_SF_EEDaS13_S14_SK_SP_EUlS13_E_NS1_11comp_targetILNS1_3genE3ELNS1_11target_archE908ELNS1_3gpuE7ELNS1_3repE0EEENS1_47radix_sort_onesweep_sort_config_static_selectorELNS0_4arch9wavefront6targetE1EEEvSK_,comdat
	.protected	_ZN7rocprim17ROCPRIM_400000_NS6detail17trampoline_kernelINS0_14default_configENS1_35radix_sort_onesweep_config_selectorItNS0_10empty_typeEEEZZNS1_29radix_sort_onesweep_iterationIS3_Lb0EN6thrust23THRUST_200600_302600_NS6detail15normal_iteratorINS9_10device_ptrItEEEESE_PS5_SF_jNS0_19identity_decomposerENS1_16block_id_wrapperIjLb0EEEEE10hipError_tT1_PNSt15iterator_traitsISK_E10value_typeET2_T3_PNSL_ISQ_E10value_typeET4_T5_PSV_SW_PNS1_23onesweep_lookback_stateEbbT6_jjT7_P12ihipStream_tbENKUlT_T0_SK_SP_E_clISE_PtSF_SF_EEDaS13_S14_SK_SP_EUlS13_E_NS1_11comp_targetILNS1_3genE3ELNS1_11target_archE908ELNS1_3gpuE7ELNS1_3repE0EEENS1_47radix_sort_onesweep_sort_config_static_selectorELNS0_4arch9wavefront6targetE1EEEvSK_ ; -- Begin function _ZN7rocprim17ROCPRIM_400000_NS6detail17trampoline_kernelINS0_14default_configENS1_35radix_sort_onesweep_config_selectorItNS0_10empty_typeEEEZZNS1_29radix_sort_onesweep_iterationIS3_Lb0EN6thrust23THRUST_200600_302600_NS6detail15normal_iteratorINS9_10device_ptrItEEEESE_PS5_SF_jNS0_19identity_decomposerENS1_16block_id_wrapperIjLb0EEEEE10hipError_tT1_PNSt15iterator_traitsISK_E10value_typeET2_T3_PNSL_ISQ_E10value_typeET4_T5_PSV_SW_PNS1_23onesweep_lookback_stateEbbT6_jjT7_P12ihipStream_tbENKUlT_T0_SK_SP_E_clISE_PtSF_SF_EEDaS13_S14_SK_SP_EUlS13_E_NS1_11comp_targetILNS1_3genE3ELNS1_11target_archE908ELNS1_3gpuE7ELNS1_3repE0EEENS1_47radix_sort_onesweep_sort_config_static_selectorELNS0_4arch9wavefront6targetE1EEEvSK_
	.globl	_ZN7rocprim17ROCPRIM_400000_NS6detail17trampoline_kernelINS0_14default_configENS1_35radix_sort_onesweep_config_selectorItNS0_10empty_typeEEEZZNS1_29radix_sort_onesweep_iterationIS3_Lb0EN6thrust23THRUST_200600_302600_NS6detail15normal_iteratorINS9_10device_ptrItEEEESE_PS5_SF_jNS0_19identity_decomposerENS1_16block_id_wrapperIjLb0EEEEE10hipError_tT1_PNSt15iterator_traitsISK_E10value_typeET2_T3_PNSL_ISQ_E10value_typeET4_T5_PSV_SW_PNS1_23onesweep_lookback_stateEbbT6_jjT7_P12ihipStream_tbENKUlT_T0_SK_SP_E_clISE_PtSF_SF_EEDaS13_S14_SK_SP_EUlS13_E_NS1_11comp_targetILNS1_3genE3ELNS1_11target_archE908ELNS1_3gpuE7ELNS1_3repE0EEENS1_47radix_sort_onesweep_sort_config_static_selectorELNS0_4arch9wavefront6targetE1EEEvSK_
	.p2align	8
	.type	_ZN7rocprim17ROCPRIM_400000_NS6detail17trampoline_kernelINS0_14default_configENS1_35radix_sort_onesweep_config_selectorItNS0_10empty_typeEEEZZNS1_29radix_sort_onesweep_iterationIS3_Lb0EN6thrust23THRUST_200600_302600_NS6detail15normal_iteratorINS9_10device_ptrItEEEESE_PS5_SF_jNS0_19identity_decomposerENS1_16block_id_wrapperIjLb0EEEEE10hipError_tT1_PNSt15iterator_traitsISK_E10value_typeET2_T3_PNSL_ISQ_E10value_typeET4_T5_PSV_SW_PNS1_23onesweep_lookback_stateEbbT6_jjT7_P12ihipStream_tbENKUlT_T0_SK_SP_E_clISE_PtSF_SF_EEDaS13_S14_SK_SP_EUlS13_E_NS1_11comp_targetILNS1_3genE3ELNS1_11target_archE908ELNS1_3gpuE7ELNS1_3repE0EEENS1_47radix_sort_onesweep_sort_config_static_selectorELNS0_4arch9wavefront6targetE1EEEvSK_,@function
_ZN7rocprim17ROCPRIM_400000_NS6detail17trampoline_kernelINS0_14default_configENS1_35radix_sort_onesweep_config_selectorItNS0_10empty_typeEEEZZNS1_29radix_sort_onesweep_iterationIS3_Lb0EN6thrust23THRUST_200600_302600_NS6detail15normal_iteratorINS9_10device_ptrItEEEESE_PS5_SF_jNS0_19identity_decomposerENS1_16block_id_wrapperIjLb0EEEEE10hipError_tT1_PNSt15iterator_traitsISK_E10value_typeET2_T3_PNSL_ISQ_E10value_typeET4_T5_PSV_SW_PNS1_23onesweep_lookback_stateEbbT6_jjT7_P12ihipStream_tbENKUlT_T0_SK_SP_E_clISE_PtSF_SF_EEDaS13_S14_SK_SP_EUlS13_E_NS1_11comp_targetILNS1_3genE3ELNS1_11target_archE908ELNS1_3gpuE7ELNS1_3repE0EEENS1_47radix_sort_onesweep_sort_config_static_selectorELNS0_4arch9wavefront6targetE1EEEvSK_: ; @_ZN7rocprim17ROCPRIM_400000_NS6detail17trampoline_kernelINS0_14default_configENS1_35radix_sort_onesweep_config_selectorItNS0_10empty_typeEEEZZNS1_29radix_sort_onesweep_iterationIS3_Lb0EN6thrust23THRUST_200600_302600_NS6detail15normal_iteratorINS9_10device_ptrItEEEESE_PS5_SF_jNS0_19identity_decomposerENS1_16block_id_wrapperIjLb0EEEEE10hipError_tT1_PNSt15iterator_traitsISK_E10value_typeET2_T3_PNSL_ISQ_E10value_typeET4_T5_PSV_SW_PNS1_23onesweep_lookback_stateEbbT6_jjT7_P12ihipStream_tbENKUlT_T0_SK_SP_E_clISE_PtSF_SF_EEDaS13_S14_SK_SP_EUlS13_E_NS1_11comp_targetILNS1_3genE3ELNS1_11target_archE908ELNS1_3gpuE7ELNS1_3repE0EEENS1_47radix_sort_onesweep_sort_config_static_selectorELNS0_4arch9wavefront6targetE1EEEvSK_
; %bb.0:
	.section	.rodata,"a",@progbits
	.p2align	6, 0x0
	.amdhsa_kernel _ZN7rocprim17ROCPRIM_400000_NS6detail17trampoline_kernelINS0_14default_configENS1_35radix_sort_onesweep_config_selectorItNS0_10empty_typeEEEZZNS1_29radix_sort_onesweep_iterationIS3_Lb0EN6thrust23THRUST_200600_302600_NS6detail15normal_iteratorINS9_10device_ptrItEEEESE_PS5_SF_jNS0_19identity_decomposerENS1_16block_id_wrapperIjLb0EEEEE10hipError_tT1_PNSt15iterator_traitsISK_E10value_typeET2_T3_PNSL_ISQ_E10value_typeET4_T5_PSV_SW_PNS1_23onesweep_lookback_stateEbbT6_jjT7_P12ihipStream_tbENKUlT_T0_SK_SP_E_clISE_PtSF_SF_EEDaS13_S14_SK_SP_EUlS13_E_NS1_11comp_targetILNS1_3genE3ELNS1_11target_archE908ELNS1_3gpuE7ELNS1_3repE0EEENS1_47radix_sort_onesweep_sort_config_static_selectorELNS0_4arch9wavefront6targetE1EEEvSK_
		.amdhsa_group_segment_fixed_size 0
		.amdhsa_private_segment_fixed_size 0
		.amdhsa_kernarg_size 88
		.amdhsa_user_sgpr_count 2
		.amdhsa_user_sgpr_dispatch_ptr 0
		.amdhsa_user_sgpr_queue_ptr 0
		.amdhsa_user_sgpr_kernarg_segment_ptr 1
		.amdhsa_user_sgpr_dispatch_id 0
		.amdhsa_user_sgpr_kernarg_preload_length 0
		.amdhsa_user_sgpr_kernarg_preload_offset 0
		.amdhsa_user_sgpr_private_segment_size 0
		.amdhsa_uses_dynamic_stack 0
		.amdhsa_enable_private_segment 0
		.amdhsa_system_sgpr_workgroup_id_x 1
		.amdhsa_system_sgpr_workgroup_id_y 0
		.amdhsa_system_sgpr_workgroup_id_z 0
		.amdhsa_system_sgpr_workgroup_info 0
		.amdhsa_system_vgpr_workitem_id 0
		.amdhsa_next_free_vgpr 1
		.amdhsa_next_free_sgpr 0
		.amdhsa_accum_offset 4
		.amdhsa_reserve_vcc 0
		.amdhsa_float_round_mode_32 0
		.amdhsa_float_round_mode_16_64 0
		.amdhsa_float_denorm_mode_32 3
		.amdhsa_float_denorm_mode_16_64 3
		.amdhsa_dx10_clamp 1
		.amdhsa_ieee_mode 1
		.amdhsa_fp16_overflow 0
		.amdhsa_tg_split 0
		.amdhsa_exception_fp_ieee_invalid_op 0
		.amdhsa_exception_fp_denorm_src 0
		.amdhsa_exception_fp_ieee_div_zero 0
		.amdhsa_exception_fp_ieee_overflow 0
		.amdhsa_exception_fp_ieee_underflow 0
		.amdhsa_exception_fp_ieee_inexact 0
		.amdhsa_exception_int_div_zero 0
	.end_amdhsa_kernel
	.section	.text._ZN7rocprim17ROCPRIM_400000_NS6detail17trampoline_kernelINS0_14default_configENS1_35radix_sort_onesweep_config_selectorItNS0_10empty_typeEEEZZNS1_29radix_sort_onesweep_iterationIS3_Lb0EN6thrust23THRUST_200600_302600_NS6detail15normal_iteratorINS9_10device_ptrItEEEESE_PS5_SF_jNS0_19identity_decomposerENS1_16block_id_wrapperIjLb0EEEEE10hipError_tT1_PNSt15iterator_traitsISK_E10value_typeET2_T3_PNSL_ISQ_E10value_typeET4_T5_PSV_SW_PNS1_23onesweep_lookback_stateEbbT6_jjT7_P12ihipStream_tbENKUlT_T0_SK_SP_E_clISE_PtSF_SF_EEDaS13_S14_SK_SP_EUlS13_E_NS1_11comp_targetILNS1_3genE3ELNS1_11target_archE908ELNS1_3gpuE7ELNS1_3repE0EEENS1_47radix_sort_onesweep_sort_config_static_selectorELNS0_4arch9wavefront6targetE1EEEvSK_,"axG",@progbits,_ZN7rocprim17ROCPRIM_400000_NS6detail17trampoline_kernelINS0_14default_configENS1_35radix_sort_onesweep_config_selectorItNS0_10empty_typeEEEZZNS1_29radix_sort_onesweep_iterationIS3_Lb0EN6thrust23THRUST_200600_302600_NS6detail15normal_iteratorINS9_10device_ptrItEEEESE_PS5_SF_jNS0_19identity_decomposerENS1_16block_id_wrapperIjLb0EEEEE10hipError_tT1_PNSt15iterator_traitsISK_E10value_typeET2_T3_PNSL_ISQ_E10value_typeET4_T5_PSV_SW_PNS1_23onesweep_lookback_stateEbbT6_jjT7_P12ihipStream_tbENKUlT_T0_SK_SP_E_clISE_PtSF_SF_EEDaS13_S14_SK_SP_EUlS13_E_NS1_11comp_targetILNS1_3genE3ELNS1_11target_archE908ELNS1_3gpuE7ELNS1_3repE0EEENS1_47radix_sort_onesweep_sort_config_static_selectorELNS0_4arch9wavefront6targetE1EEEvSK_,comdat
.Lfunc_end1379:
	.size	_ZN7rocprim17ROCPRIM_400000_NS6detail17trampoline_kernelINS0_14default_configENS1_35radix_sort_onesweep_config_selectorItNS0_10empty_typeEEEZZNS1_29radix_sort_onesweep_iterationIS3_Lb0EN6thrust23THRUST_200600_302600_NS6detail15normal_iteratorINS9_10device_ptrItEEEESE_PS5_SF_jNS0_19identity_decomposerENS1_16block_id_wrapperIjLb0EEEEE10hipError_tT1_PNSt15iterator_traitsISK_E10value_typeET2_T3_PNSL_ISQ_E10value_typeET4_T5_PSV_SW_PNS1_23onesweep_lookback_stateEbbT6_jjT7_P12ihipStream_tbENKUlT_T0_SK_SP_E_clISE_PtSF_SF_EEDaS13_S14_SK_SP_EUlS13_E_NS1_11comp_targetILNS1_3genE3ELNS1_11target_archE908ELNS1_3gpuE7ELNS1_3repE0EEENS1_47radix_sort_onesweep_sort_config_static_selectorELNS0_4arch9wavefront6targetE1EEEvSK_, .Lfunc_end1379-_ZN7rocprim17ROCPRIM_400000_NS6detail17trampoline_kernelINS0_14default_configENS1_35radix_sort_onesweep_config_selectorItNS0_10empty_typeEEEZZNS1_29radix_sort_onesweep_iterationIS3_Lb0EN6thrust23THRUST_200600_302600_NS6detail15normal_iteratorINS9_10device_ptrItEEEESE_PS5_SF_jNS0_19identity_decomposerENS1_16block_id_wrapperIjLb0EEEEE10hipError_tT1_PNSt15iterator_traitsISK_E10value_typeET2_T3_PNSL_ISQ_E10value_typeET4_T5_PSV_SW_PNS1_23onesweep_lookback_stateEbbT6_jjT7_P12ihipStream_tbENKUlT_T0_SK_SP_E_clISE_PtSF_SF_EEDaS13_S14_SK_SP_EUlS13_E_NS1_11comp_targetILNS1_3genE3ELNS1_11target_archE908ELNS1_3gpuE7ELNS1_3repE0EEENS1_47radix_sort_onesweep_sort_config_static_selectorELNS0_4arch9wavefront6targetE1EEEvSK_
                                        ; -- End function
	.section	.AMDGPU.csdata,"",@progbits
; Kernel info:
; codeLenInByte = 0
; NumSgprs: 6
; NumVgprs: 0
; NumAgprs: 0
; TotalNumVgprs: 0
; ScratchSize: 0
; MemoryBound: 0
; FloatMode: 240
; IeeeMode: 1
; LDSByteSize: 0 bytes/workgroup (compile time only)
; SGPRBlocks: 0
; VGPRBlocks: 0
; NumSGPRsForWavesPerEU: 6
; NumVGPRsForWavesPerEU: 1
; AccumOffset: 4
; Occupancy: 8
; WaveLimiterHint : 0
; COMPUTE_PGM_RSRC2:SCRATCH_EN: 0
; COMPUTE_PGM_RSRC2:USER_SGPR: 2
; COMPUTE_PGM_RSRC2:TRAP_HANDLER: 0
; COMPUTE_PGM_RSRC2:TGID_X_EN: 1
; COMPUTE_PGM_RSRC2:TGID_Y_EN: 0
; COMPUTE_PGM_RSRC2:TGID_Z_EN: 0
; COMPUTE_PGM_RSRC2:TIDIG_COMP_CNT: 0
; COMPUTE_PGM_RSRC3_GFX90A:ACCUM_OFFSET: 0
; COMPUTE_PGM_RSRC3_GFX90A:TG_SPLIT: 0
	.section	.text._ZN7rocprim17ROCPRIM_400000_NS6detail17trampoline_kernelINS0_14default_configENS1_35radix_sort_onesweep_config_selectorItNS0_10empty_typeEEEZZNS1_29radix_sort_onesweep_iterationIS3_Lb0EN6thrust23THRUST_200600_302600_NS6detail15normal_iteratorINS9_10device_ptrItEEEESE_PS5_SF_jNS0_19identity_decomposerENS1_16block_id_wrapperIjLb0EEEEE10hipError_tT1_PNSt15iterator_traitsISK_E10value_typeET2_T3_PNSL_ISQ_E10value_typeET4_T5_PSV_SW_PNS1_23onesweep_lookback_stateEbbT6_jjT7_P12ihipStream_tbENKUlT_T0_SK_SP_E_clISE_PtSF_SF_EEDaS13_S14_SK_SP_EUlS13_E_NS1_11comp_targetILNS1_3genE10ELNS1_11target_archE1201ELNS1_3gpuE5ELNS1_3repE0EEENS1_47radix_sort_onesweep_sort_config_static_selectorELNS0_4arch9wavefront6targetE1EEEvSK_,"axG",@progbits,_ZN7rocprim17ROCPRIM_400000_NS6detail17trampoline_kernelINS0_14default_configENS1_35radix_sort_onesweep_config_selectorItNS0_10empty_typeEEEZZNS1_29radix_sort_onesweep_iterationIS3_Lb0EN6thrust23THRUST_200600_302600_NS6detail15normal_iteratorINS9_10device_ptrItEEEESE_PS5_SF_jNS0_19identity_decomposerENS1_16block_id_wrapperIjLb0EEEEE10hipError_tT1_PNSt15iterator_traitsISK_E10value_typeET2_T3_PNSL_ISQ_E10value_typeET4_T5_PSV_SW_PNS1_23onesweep_lookback_stateEbbT6_jjT7_P12ihipStream_tbENKUlT_T0_SK_SP_E_clISE_PtSF_SF_EEDaS13_S14_SK_SP_EUlS13_E_NS1_11comp_targetILNS1_3genE10ELNS1_11target_archE1201ELNS1_3gpuE5ELNS1_3repE0EEENS1_47radix_sort_onesweep_sort_config_static_selectorELNS0_4arch9wavefront6targetE1EEEvSK_,comdat
	.protected	_ZN7rocprim17ROCPRIM_400000_NS6detail17trampoline_kernelINS0_14default_configENS1_35radix_sort_onesweep_config_selectorItNS0_10empty_typeEEEZZNS1_29radix_sort_onesweep_iterationIS3_Lb0EN6thrust23THRUST_200600_302600_NS6detail15normal_iteratorINS9_10device_ptrItEEEESE_PS5_SF_jNS0_19identity_decomposerENS1_16block_id_wrapperIjLb0EEEEE10hipError_tT1_PNSt15iterator_traitsISK_E10value_typeET2_T3_PNSL_ISQ_E10value_typeET4_T5_PSV_SW_PNS1_23onesweep_lookback_stateEbbT6_jjT7_P12ihipStream_tbENKUlT_T0_SK_SP_E_clISE_PtSF_SF_EEDaS13_S14_SK_SP_EUlS13_E_NS1_11comp_targetILNS1_3genE10ELNS1_11target_archE1201ELNS1_3gpuE5ELNS1_3repE0EEENS1_47radix_sort_onesweep_sort_config_static_selectorELNS0_4arch9wavefront6targetE1EEEvSK_ ; -- Begin function _ZN7rocprim17ROCPRIM_400000_NS6detail17trampoline_kernelINS0_14default_configENS1_35radix_sort_onesweep_config_selectorItNS0_10empty_typeEEEZZNS1_29radix_sort_onesweep_iterationIS3_Lb0EN6thrust23THRUST_200600_302600_NS6detail15normal_iteratorINS9_10device_ptrItEEEESE_PS5_SF_jNS0_19identity_decomposerENS1_16block_id_wrapperIjLb0EEEEE10hipError_tT1_PNSt15iterator_traitsISK_E10value_typeET2_T3_PNSL_ISQ_E10value_typeET4_T5_PSV_SW_PNS1_23onesweep_lookback_stateEbbT6_jjT7_P12ihipStream_tbENKUlT_T0_SK_SP_E_clISE_PtSF_SF_EEDaS13_S14_SK_SP_EUlS13_E_NS1_11comp_targetILNS1_3genE10ELNS1_11target_archE1201ELNS1_3gpuE5ELNS1_3repE0EEENS1_47radix_sort_onesweep_sort_config_static_selectorELNS0_4arch9wavefront6targetE1EEEvSK_
	.globl	_ZN7rocprim17ROCPRIM_400000_NS6detail17trampoline_kernelINS0_14default_configENS1_35radix_sort_onesweep_config_selectorItNS0_10empty_typeEEEZZNS1_29radix_sort_onesweep_iterationIS3_Lb0EN6thrust23THRUST_200600_302600_NS6detail15normal_iteratorINS9_10device_ptrItEEEESE_PS5_SF_jNS0_19identity_decomposerENS1_16block_id_wrapperIjLb0EEEEE10hipError_tT1_PNSt15iterator_traitsISK_E10value_typeET2_T3_PNSL_ISQ_E10value_typeET4_T5_PSV_SW_PNS1_23onesweep_lookback_stateEbbT6_jjT7_P12ihipStream_tbENKUlT_T0_SK_SP_E_clISE_PtSF_SF_EEDaS13_S14_SK_SP_EUlS13_E_NS1_11comp_targetILNS1_3genE10ELNS1_11target_archE1201ELNS1_3gpuE5ELNS1_3repE0EEENS1_47radix_sort_onesweep_sort_config_static_selectorELNS0_4arch9wavefront6targetE1EEEvSK_
	.p2align	8
	.type	_ZN7rocprim17ROCPRIM_400000_NS6detail17trampoline_kernelINS0_14default_configENS1_35radix_sort_onesweep_config_selectorItNS0_10empty_typeEEEZZNS1_29radix_sort_onesweep_iterationIS3_Lb0EN6thrust23THRUST_200600_302600_NS6detail15normal_iteratorINS9_10device_ptrItEEEESE_PS5_SF_jNS0_19identity_decomposerENS1_16block_id_wrapperIjLb0EEEEE10hipError_tT1_PNSt15iterator_traitsISK_E10value_typeET2_T3_PNSL_ISQ_E10value_typeET4_T5_PSV_SW_PNS1_23onesweep_lookback_stateEbbT6_jjT7_P12ihipStream_tbENKUlT_T0_SK_SP_E_clISE_PtSF_SF_EEDaS13_S14_SK_SP_EUlS13_E_NS1_11comp_targetILNS1_3genE10ELNS1_11target_archE1201ELNS1_3gpuE5ELNS1_3repE0EEENS1_47radix_sort_onesweep_sort_config_static_selectorELNS0_4arch9wavefront6targetE1EEEvSK_,@function
_ZN7rocprim17ROCPRIM_400000_NS6detail17trampoline_kernelINS0_14default_configENS1_35radix_sort_onesweep_config_selectorItNS0_10empty_typeEEEZZNS1_29radix_sort_onesweep_iterationIS3_Lb0EN6thrust23THRUST_200600_302600_NS6detail15normal_iteratorINS9_10device_ptrItEEEESE_PS5_SF_jNS0_19identity_decomposerENS1_16block_id_wrapperIjLb0EEEEE10hipError_tT1_PNSt15iterator_traitsISK_E10value_typeET2_T3_PNSL_ISQ_E10value_typeET4_T5_PSV_SW_PNS1_23onesweep_lookback_stateEbbT6_jjT7_P12ihipStream_tbENKUlT_T0_SK_SP_E_clISE_PtSF_SF_EEDaS13_S14_SK_SP_EUlS13_E_NS1_11comp_targetILNS1_3genE10ELNS1_11target_archE1201ELNS1_3gpuE5ELNS1_3repE0EEENS1_47radix_sort_onesweep_sort_config_static_selectorELNS0_4arch9wavefront6targetE1EEEvSK_: ; @_ZN7rocprim17ROCPRIM_400000_NS6detail17trampoline_kernelINS0_14default_configENS1_35radix_sort_onesweep_config_selectorItNS0_10empty_typeEEEZZNS1_29radix_sort_onesweep_iterationIS3_Lb0EN6thrust23THRUST_200600_302600_NS6detail15normal_iteratorINS9_10device_ptrItEEEESE_PS5_SF_jNS0_19identity_decomposerENS1_16block_id_wrapperIjLb0EEEEE10hipError_tT1_PNSt15iterator_traitsISK_E10value_typeET2_T3_PNSL_ISQ_E10value_typeET4_T5_PSV_SW_PNS1_23onesweep_lookback_stateEbbT6_jjT7_P12ihipStream_tbENKUlT_T0_SK_SP_E_clISE_PtSF_SF_EEDaS13_S14_SK_SP_EUlS13_E_NS1_11comp_targetILNS1_3genE10ELNS1_11target_archE1201ELNS1_3gpuE5ELNS1_3repE0EEENS1_47radix_sort_onesweep_sort_config_static_selectorELNS0_4arch9wavefront6targetE1EEEvSK_
; %bb.0:
	.section	.rodata,"a",@progbits
	.p2align	6, 0x0
	.amdhsa_kernel _ZN7rocprim17ROCPRIM_400000_NS6detail17trampoline_kernelINS0_14default_configENS1_35radix_sort_onesweep_config_selectorItNS0_10empty_typeEEEZZNS1_29radix_sort_onesweep_iterationIS3_Lb0EN6thrust23THRUST_200600_302600_NS6detail15normal_iteratorINS9_10device_ptrItEEEESE_PS5_SF_jNS0_19identity_decomposerENS1_16block_id_wrapperIjLb0EEEEE10hipError_tT1_PNSt15iterator_traitsISK_E10value_typeET2_T3_PNSL_ISQ_E10value_typeET4_T5_PSV_SW_PNS1_23onesweep_lookback_stateEbbT6_jjT7_P12ihipStream_tbENKUlT_T0_SK_SP_E_clISE_PtSF_SF_EEDaS13_S14_SK_SP_EUlS13_E_NS1_11comp_targetILNS1_3genE10ELNS1_11target_archE1201ELNS1_3gpuE5ELNS1_3repE0EEENS1_47radix_sort_onesweep_sort_config_static_selectorELNS0_4arch9wavefront6targetE1EEEvSK_
		.amdhsa_group_segment_fixed_size 0
		.amdhsa_private_segment_fixed_size 0
		.amdhsa_kernarg_size 88
		.amdhsa_user_sgpr_count 2
		.amdhsa_user_sgpr_dispatch_ptr 0
		.amdhsa_user_sgpr_queue_ptr 0
		.amdhsa_user_sgpr_kernarg_segment_ptr 1
		.amdhsa_user_sgpr_dispatch_id 0
		.amdhsa_user_sgpr_kernarg_preload_length 0
		.amdhsa_user_sgpr_kernarg_preload_offset 0
		.amdhsa_user_sgpr_private_segment_size 0
		.amdhsa_uses_dynamic_stack 0
		.amdhsa_enable_private_segment 0
		.amdhsa_system_sgpr_workgroup_id_x 1
		.amdhsa_system_sgpr_workgroup_id_y 0
		.amdhsa_system_sgpr_workgroup_id_z 0
		.amdhsa_system_sgpr_workgroup_info 0
		.amdhsa_system_vgpr_workitem_id 0
		.amdhsa_next_free_vgpr 1
		.amdhsa_next_free_sgpr 0
		.amdhsa_accum_offset 4
		.amdhsa_reserve_vcc 0
		.amdhsa_float_round_mode_32 0
		.amdhsa_float_round_mode_16_64 0
		.amdhsa_float_denorm_mode_32 3
		.amdhsa_float_denorm_mode_16_64 3
		.amdhsa_dx10_clamp 1
		.amdhsa_ieee_mode 1
		.amdhsa_fp16_overflow 0
		.amdhsa_tg_split 0
		.amdhsa_exception_fp_ieee_invalid_op 0
		.amdhsa_exception_fp_denorm_src 0
		.amdhsa_exception_fp_ieee_div_zero 0
		.amdhsa_exception_fp_ieee_overflow 0
		.amdhsa_exception_fp_ieee_underflow 0
		.amdhsa_exception_fp_ieee_inexact 0
		.amdhsa_exception_int_div_zero 0
	.end_amdhsa_kernel
	.section	.text._ZN7rocprim17ROCPRIM_400000_NS6detail17trampoline_kernelINS0_14default_configENS1_35radix_sort_onesweep_config_selectorItNS0_10empty_typeEEEZZNS1_29radix_sort_onesweep_iterationIS3_Lb0EN6thrust23THRUST_200600_302600_NS6detail15normal_iteratorINS9_10device_ptrItEEEESE_PS5_SF_jNS0_19identity_decomposerENS1_16block_id_wrapperIjLb0EEEEE10hipError_tT1_PNSt15iterator_traitsISK_E10value_typeET2_T3_PNSL_ISQ_E10value_typeET4_T5_PSV_SW_PNS1_23onesweep_lookback_stateEbbT6_jjT7_P12ihipStream_tbENKUlT_T0_SK_SP_E_clISE_PtSF_SF_EEDaS13_S14_SK_SP_EUlS13_E_NS1_11comp_targetILNS1_3genE10ELNS1_11target_archE1201ELNS1_3gpuE5ELNS1_3repE0EEENS1_47radix_sort_onesweep_sort_config_static_selectorELNS0_4arch9wavefront6targetE1EEEvSK_,"axG",@progbits,_ZN7rocprim17ROCPRIM_400000_NS6detail17trampoline_kernelINS0_14default_configENS1_35radix_sort_onesweep_config_selectorItNS0_10empty_typeEEEZZNS1_29radix_sort_onesweep_iterationIS3_Lb0EN6thrust23THRUST_200600_302600_NS6detail15normal_iteratorINS9_10device_ptrItEEEESE_PS5_SF_jNS0_19identity_decomposerENS1_16block_id_wrapperIjLb0EEEEE10hipError_tT1_PNSt15iterator_traitsISK_E10value_typeET2_T3_PNSL_ISQ_E10value_typeET4_T5_PSV_SW_PNS1_23onesweep_lookback_stateEbbT6_jjT7_P12ihipStream_tbENKUlT_T0_SK_SP_E_clISE_PtSF_SF_EEDaS13_S14_SK_SP_EUlS13_E_NS1_11comp_targetILNS1_3genE10ELNS1_11target_archE1201ELNS1_3gpuE5ELNS1_3repE0EEENS1_47radix_sort_onesweep_sort_config_static_selectorELNS0_4arch9wavefront6targetE1EEEvSK_,comdat
.Lfunc_end1380:
	.size	_ZN7rocprim17ROCPRIM_400000_NS6detail17trampoline_kernelINS0_14default_configENS1_35radix_sort_onesweep_config_selectorItNS0_10empty_typeEEEZZNS1_29radix_sort_onesweep_iterationIS3_Lb0EN6thrust23THRUST_200600_302600_NS6detail15normal_iteratorINS9_10device_ptrItEEEESE_PS5_SF_jNS0_19identity_decomposerENS1_16block_id_wrapperIjLb0EEEEE10hipError_tT1_PNSt15iterator_traitsISK_E10value_typeET2_T3_PNSL_ISQ_E10value_typeET4_T5_PSV_SW_PNS1_23onesweep_lookback_stateEbbT6_jjT7_P12ihipStream_tbENKUlT_T0_SK_SP_E_clISE_PtSF_SF_EEDaS13_S14_SK_SP_EUlS13_E_NS1_11comp_targetILNS1_3genE10ELNS1_11target_archE1201ELNS1_3gpuE5ELNS1_3repE0EEENS1_47radix_sort_onesweep_sort_config_static_selectorELNS0_4arch9wavefront6targetE1EEEvSK_, .Lfunc_end1380-_ZN7rocprim17ROCPRIM_400000_NS6detail17trampoline_kernelINS0_14default_configENS1_35radix_sort_onesweep_config_selectorItNS0_10empty_typeEEEZZNS1_29radix_sort_onesweep_iterationIS3_Lb0EN6thrust23THRUST_200600_302600_NS6detail15normal_iteratorINS9_10device_ptrItEEEESE_PS5_SF_jNS0_19identity_decomposerENS1_16block_id_wrapperIjLb0EEEEE10hipError_tT1_PNSt15iterator_traitsISK_E10value_typeET2_T3_PNSL_ISQ_E10value_typeET4_T5_PSV_SW_PNS1_23onesweep_lookback_stateEbbT6_jjT7_P12ihipStream_tbENKUlT_T0_SK_SP_E_clISE_PtSF_SF_EEDaS13_S14_SK_SP_EUlS13_E_NS1_11comp_targetILNS1_3genE10ELNS1_11target_archE1201ELNS1_3gpuE5ELNS1_3repE0EEENS1_47radix_sort_onesweep_sort_config_static_selectorELNS0_4arch9wavefront6targetE1EEEvSK_
                                        ; -- End function
	.section	.AMDGPU.csdata,"",@progbits
; Kernel info:
; codeLenInByte = 0
; NumSgprs: 6
; NumVgprs: 0
; NumAgprs: 0
; TotalNumVgprs: 0
; ScratchSize: 0
; MemoryBound: 0
; FloatMode: 240
; IeeeMode: 1
; LDSByteSize: 0 bytes/workgroup (compile time only)
; SGPRBlocks: 0
; VGPRBlocks: 0
; NumSGPRsForWavesPerEU: 6
; NumVGPRsForWavesPerEU: 1
; AccumOffset: 4
; Occupancy: 8
; WaveLimiterHint : 0
; COMPUTE_PGM_RSRC2:SCRATCH_EN: 0
; COMPUTE_PGM_RSRC2:USER_SGPR: 2
; COMPUTE_PGM_RSRC2:TRAP_HANDLER: 0
; COMPUTE_PGM_RSRC2:TGID_X_EN: 1
; COMPUTE_PGM_RSRC2:TGID_Y_EN: 0
; COMPUTE_PGM_RSRC2:TGID_Z_EN: 0
; COMPUTE_PGM_RSRC2:TIDIG_COMP_CNT: 0
; COMPUTE_PGM_RSRC3_GFX90A:ACCUM_OFFSET: 0
; COMPUTE_PGM_RSRC3_GFX90A:TG_SPLIT: 0
	.section	.text._ZN7rocprim17ROCPRIM_400000_NS6detail17trampoline_kernelINS0_14default_configENS1_35radix_sort_onesweep_config_selectorItNS0_10empty_typeEEEZZNS1_29radix_sort_onesweep_iterationIS3_Lb0EN6thrust23THRUST_200600_302600_NS6detail15normal_iteratorINS9_10device_ptrItEEEESE_PS5_SF_jNS0_19identity_decomposerENS1_16block_id_wrapperIjLb0EEEEE10hipError_tT1_PNSt15iterator_traitsISK_E10value_typeET2_T3_PNSL_ISQ_E10value_typeET4_T5_PSV_SW_PNS1_23onesweep_lookback_stateEbbT6_jjT7_P12ihipStream_tbENKUlT_T0_SK_SP_E_clISE_PtSF_SF_EEDaS13_S14_SK_SP_EUlS13_E_NS1_11comp_targetILNS1_3genE9ELNS1_11target_archE1100ELNS1_3gpuE3ELNS1_3repE0EEENS1_47radix_sort_onesweep_sort_config_static_selectorELNS0_4arch9wavefront6targetE1EEEvSK_,"axG",@progbits,_ZN7rocprim17ROCPRIM_400000_NS6detail17trampoline_kernelINS0_14default_configENS1_35radix_sort_onesweep_config_selectorItNS0_10empty_typeEEEZZNS1_29radix_sort_onesweep_iterationIS3_Lb0EN6thrust23THRUST_200600_302600_NS6detail15normal_iteratorINS9_10device_ptrItEEEESE_PS5_SF_jNS0_19identity_decomposerENS1_16block_id_wrapperIjLb0EEEEE10hipError_tT1_PNSt15iterator_traitsISK_E10value_typeET2_T3_PNSL_ISQ_E10value_typeET4_T5_PSV_SW_PNS1_23onesweep_lookback_stateEbbT6_jjT7_P12ihipStream_tbENKUlT_T0_SK_SP_E_clISE_PtSF_SF_EEDaS13_S14_SK_SP_EUlS13_E_NS1_11comp_targetILNS1_3genE9ELNS1_11target_archE1100ELNS1_3gpuE3ELNS1_3repE0EEENS1_47radix_sort_onesweep_sort_config_static_selectorELNS0_4arch9wavefront6targetE1EEEvSK_,comdat
	.protected	_ZN7rocprim17ROCPRIM_400000_NS6detail17trampoline_kernelINS0_14default_configENS1_35radix_sort_onesweep_config_selectorItNS0_10empty_typeEEEZZNS1_29radix_sort_onesweep_iterationIS3_Lb0EN6thrust23THRUST_200600_302600_NS6detail15normal_iteratorINS9_10device_ptrItEEEESE_PS5_SF_jNS0_19identity_decomposerENS1_16block_id_wrapperIjLb0EEEEE10hipError_tT1_PNSt15iterator_traitsISK_E10value_typeET2_T3_PNSL_ISQ_E10value_typeET4_T5_PSV_SW_PNS1_23onesweep_lookback_stateEbbT6_jjT7_P12ihipStream_tbENKUlT_T0_SK_SP_E_clISE_PtSF_SF_EEDaS13_S14_SK_SP_EUlS13_E_NS1_11comp_targetILNS1_3genE9ELNS1_11target_archE1100ELNS1_3gpuE3ELNS1_3repE0EEENS1_47radix_sort_onesweep_sort_config_static_selectorELNS0_4arch9wavefront6targetE1EEEvSK_ ; -- Begin function _ZN7rocprim17ROCPRIM_400000_NS6detail17trampoline_kernelINS0_14default_configENS1_35radix_sort_onesweep_config_selectorItNS0_10empty_typeEEEZZNS1_29radix_sort_onesweep_iterationIS3_Lb0EN6thrust23THRUST_200600_302600_NS6detail15normal_iteratorINS9_10device_ptrItEEEESE_PS5_SF_jNS0_19identity_decomposerENS1_16block_id_wrapperIjLb0EEEEE10hipError_tT1_PNSt15iterator_traitsISK_E10value_typeET2_T3_PNSL_ISQ_E10value_typeET4_T5_PSV_SW_PNS1_23onesweep_lookback_stateEbbT6_jjT7_P12ihipStream_tbENKUlT_T0_SK_SP_E_clISE_PtSF_SF_EEDaS13_S14_SK_SP_EUlS13_E_NS1_11comp_targetILNS1_3genE9ELNS1_11target_archE1100ELNS1_3gpuE3ELNS1_3repE0EEENS1_47radix_sort_onesweep_sort_config_static_selectorELNS0_4arch9wavefront6targetE1EEEvSK_
	.globl	_ZN7rocprim17ROCPRIM_400000_NS6detail17trampoline_kernelINS0_14default_configENS1_35radix_sort_onesweep_config_selectorItNS0_10empty_typeEEEZZNS1_29radix_sort_onesweep_iterationIS3_Lb0EN6thrust23THRUST_200600_302600_NS6detail15normal_iteratorINS9_10device_ptrItEEEESE_PS5_SF_jNS0_19identity_decomposerENS1_16block_id_wrapperIjLb0EEEEE10hipError_tT1_PNSt15iterator_traitsISK_E10value_typeET2_T3_PNSL_ISQ_E10value_typeET4_T5_PSV_SW_PNS1_23onesweep_lookback_stateEbbT6_jjT7_P12ihipStream_tbENKUlT_T0_SK_SP_E_clISE_PtSF_SF_EEDaS13_S14_SK_SP_EUlS13_E_NS1_11comp_targetILNS1_3genE9ELNS1_11target_archE1100ELNS1_3gpuE3ELNS1_3repE0EEENS1_47radix_sort_onesweep_sort_config_static_selectorELNS0_4arch9wavefront6targetE1EEEvSK_
	.p2align	8
	.type	_ZN7rocprim17ROCPRIM_400000_NS6detail17trampoline_kernelINS0_14default_configENS1_35radix_sort_onesweep_config_selectorItNS0_10empty_typeEEEZZNS1_29radix_sort_onesweep_iterationIS3_Lb0EN6thrust23THRUST_200600_302600_NS6detail15normal_iteratorINS9_10device_ptrItEEEESE_PS5_SF_jNS0_19identity_decomposerENS1_16block_id_wrapperIjLb0EEEEE10hipError_tT1_PNSt15iterator_traitsISK_E10value_typeET2_T3_PNSL_ISQ_E10value_typeET4_T5_PSV_SW_PNS1_23onesweep_lookback_stateEbbT6_jjT7_P12ihipStream_tbENKUlT_T0_SK_SP_E_clISE_PtSF_SF_EEDaS13_S14_SK_SP_EUlS13_E_NS1_11comp_targetILNS1_3genE9ELNS1_11target_archE1100ELNS1_3gpuE3ELNS1_3repE0EEENS1_47radix_sort_onesweep_sort_config_static_selectorELNS0_4arch9wavefront6targetE1EEEvSK_,@function
_ZN7rocprim17ROCPRIM_400000_NS6detail17trampoline_kernelINS0_14default_configENS1_35radix_sort_onesweep_config_selectorItNS0_10empty_typeEEEZZNS1_29radix_sort_onesweep_iterationIS3_Lb0EN6thrust23THRUST_200600_302600_NS6detail15normal_iteratorINS9_10device_ptrItEEEESE_PS5_SF_jNS0_19identity_decomposerENS1_16block_id_wrapperIjLb0EEEEE10hipError_tT1_PNSt15iterator_traitsISK_E10value_typeET2_T3_PNSL_ISQ_E10value_typeET4_T5_PSV_SW_PNS1_23onesweep_lookback_stateEbbT6_jjT7_P12ihipStream_tbENKUlT_T0_SK_SP_E_clISE_PtSF_SF_EEDaS13_S14_SK_SP_EUlS13_E_NS1_11comp_targetILNS1_3genE9ELNS1_11target_archE1100ELNS1_3gpuE3ELNS1_3repE0EEENS1_47radix_sort_onesweep_sort_config_static_selectorELNS0_4arch9wavefront6targetE1EEEvSK_: ; @_ZN7rocprim17ROCPRIM_400000_NS6detail17trampoline_kernelINS0_14default_configENS1_35radix_sort_onesweep_config_selectorItNS0_10empty_typeEEEZZNS1_29radix_sort_onesweep_iterationIS3_Lb0EN6thrust23THRUST_200600_302600_NS6detail15normal_iteratorINS9_10device_ptrItEEEESE_PS5_SF_jNS0_19identity_decomposerENS1_16block_id_wrapperIjLb0EEEEE10hipError_tT1_PNSt15iterator_traitsISK_E10value_typeET2_T3_PNSL_ISQ_E10value_typeET4_T5_PSV_SW_PNS1_23onesweep_lookback_stateEbbT6_jjT7_P12ihipStream_tbENKUlT_T0_SK_SP_E_clISE_PtSF_SF_EEDaS13_S14_SK_SP_EUlS13_E_NS1_11comp_targetILNS1_3genE9ELNS1_11target_archE1100ELNS1_3gpuE3ELNS1_3repE0EEENS1_47radix_sort_onesweep_sort_config_static_selectorELNS0_4arch9wavefront6targetE1EEEvSK_
; %bb.0:
	.section	.rodata,"a",@progbits
	.p2align	6, 0x0
	.amdhsa_kernel _ZN7rocprim17ROCPRIM_400000_NS6detail17trampoline_kernelINS0_14default_configENS1_35radix_sort_onesweep_config_selectorItNS0_10empty_typeEEEZZNS1_29radix_sort_onesweep_iterationIS3_Lb0EN6thrust23THRUST_200600_302600_NS6detail15normal_iteratorINS9_10device_ptrItEEEESE_PS5_SF_jNS0_19identity_decomposerENS1_16block_id_wrapperIjLb0EEEEE10hipError_tT1_PNSt15iterator_traitsISK_E10value_typeET2_T3_PNSL_ISQ_E10value_typeET4_T5_PSV_SW_PNS1_23onesweep_lookback_stateEbbT6_jjT7_P12ihipStream_tbENKUlT_T0_SK_SP_E_clISE_PtSF_SF_EEDaS13_S14_SK_SP_EUlS13_E_NS1_11comp_targetILNS1_3genE9ELNS1_11target_archE1100ELNS1_3gpuE3ELNS1_3repE0EEENS1_47radix_sort_onesweep_sort_config_static_selectorELNS0_4arch9wavefront6targetE1EEEvSK_
		.amdhsa_group_segment_fixed_size 0
		.amdhsa_private_segment_fixed_size 0
		.amdhsa_kernarg_size 88
		.amdhsa_user_sgpr_count 2
		.amdhsa_user_sgpr_dispatch_ptr 0
		.amdhsa_user_sgpr_queue_ptr 0
		.amdhsa_user_sgpr_kernarg_segment_ptr 1
		.amdhsa_user_sgpr_dispatch_id 0
		.amdhsa_user_sgpr_kernarg_preload_length 0
		.amdhsa_user_sgpr_kernarg_preload_offset 0
		.amdhsa_user_sgpr_private_segment_size 0
		.amdhsa_uses_dynamic_stack 0
		.amdhsa_enable_private_segment 0
		.amdhsa_system_sgpr_workgroup_id_x 1
		.amdhsa_system_sgpr_workgroup_id_y 0
		.amdhsa_system_sgpr_workgroup_id_z 0
		.amdhsa_system_sgpr_workgroup_info 0
		.amdhsa_system_vgpr_workitem_id 0
		.amdhsa_next_free_vgpr 1
		.amdhsa_next_free_sgpr 0
		.amdhsa_accum_offset 4
		.amdhsa_reserve_vcc 0
		.amdhsa_float_round_mode_32 0
		.amdhsa_float_round_mode_16_64 0
		.amdhsa_float_denorm_mode_32 3
		.amdhsa_float_denorm_mode_16_64 3
		.amdhsa_dx10_clamp 1
		.amdhsa_ieee_mode 1
		.amdhsa_fp16_overflow 0
		.amdhsa_tg_split 0
		.amdhsa_exception_fp_ieee_invalid_op 0
		.amdhsa_exception_fp_denorm_src 0
		.amdhsa_exception_fp_ieee_div_zero 0
		.amdhsa_exception_fp_ieee_overflow 0
		.amdhsa_exception_fp_ieee_underflow 0
		.amdhsa_exception_fp_ieee_inexact 0
		.amdhsa_exception_int_div_zero 0
	.end_amdhsa_kernel
	.section	.text._ZN7rocprim17ROCPRIM_400000_NS6detail17trampoline_kernelINS0_14default_configENS1_35radix_sort_onesweep_config_selectorItNS0_10empty_typeEEEZZNS1_29radix_sort_onesweep_iterationIS3_Lb0EN6thrust23THRUST_200600_302600_NS6detail15normal_iteratorINS9_10device_ptrItEEEESE_PS5_SF_jNS0_19identity_decomposerENS1_16block_id_wrapperIjLb0EEEEE10hipError_tT1_PNSt15iterator_traitsISK_E10value_typeET2_T3_PNSL_ISQ_E10value_typeET4_T5_PSV_SW_PNS1_23onesweep_lookback_stateEbbT6_jjT7_P12ihipStream_tbENKUlT_T0_SK_SP_E_clISE_PtSF_SF_EEDaS13_S14_SK_SP_EUlS13_E_NS1_11comp_targetILNS1_3genE9ELNS1_11target_archE1100ELNS1_3gpuE3ELNS1_3repE0EEENS1_47radix_sort_onesweep_sort_config_static_selectorELNS0_4arch9wavefront6targetE1EEEvSK_,"axG",@progbits,_ZN7rocprim17ROCPRIM_400000_NS6detail17trampoline_kernelINS0_14default_configENS1_35radix_sort_onesweep_config_selectorItNS0_10empty_typeEEEZZNS1_29radix_sort_onesweep_iterationIS3_Lb0EN6thrust23THRUST_200600_302600_NS6detail15normal_iteratorINS9_10device_ptrItEEEESE_PS5_SF_jNS0_19identity_decomposerENS1_16block_id_wrapperIjLb0EEEEE10hipError_tT1_PNSt15iterator_traitsISK_E10value_typeET2_T3_PNSL_ISQ_E10value_typeET4_T5_PSV_SW_PNS1_23onesweep_lookback_stateEbbT6_jjT7_P12ihipStream_tbENKUlT_T0_SK_SP_E_clISE_PtSF_SF_EEDaS13_S14_SK_SP_EUlS13_E_NS1_11comp_targetILNS1_3genE9ELNS1_11target_archE1100ELNS1_3gpuE3ELNS1_3repE0EEENS1_47radix_sort_onesweep_sort_config_static_selectorELNS0_4arch9wavefront6targetE1EEEvSK_,comdat
.Lfunc_end1381:
	.size	_ZN7rocprim17ROCPRIM_400000_NS6detail17trampoline_kernelINS0_14default_configENS1_35radix_sort_onesweep_config_selectorItNS0_10empty_typeEEEZZNS1_29radix_sort_onesweep_iterationIS3_Lb0EN6thrust23THRUST_200600_302600_NS6detail15normal_iteratorINS9_10device_ptrItEEEESE_PS5_SF_jNS0_19identity_decomposerENS1_16block_id_wrapperIjLb0EEEEE10hipError_tT1_PNSt15iterator_traitsISK_E10value_typeET2_T3_PNSL_ISQ_E10value_typeET4_T5_PSV_SW_PNS1_23onesweep_lookback_stateEbbT6_jjT7_P12ihipStream_tbENKUlT_T0_SK_SP_E_clISE_PtSF_SF_EEDaS13_S14_SK_SP_EUlS13_E_NS1_11comp_targetILNS1_3genE9ELNS1_11target_archE1100ELNS1_3gpuE3ELNS1_3repE0EEENS1_47radix_sort_onesweep_sort_config_static_selectorELNS0_4arch9wavefront6targetE1EEEvSK_, .Lfunc_end1381-_ZN7rocprim17ROCPRIM_400000_NS6detail17trampoline_kernelINS0_14default_configENS1_35radix_sort_onesweep_config_selectorItNS0_10empty_typeEEEZZNS1_29radix_sort_onesweep_iterationIS3_Lb0EN6thrust23THRUST_200600_302600_NS6detail15normal_iteratorINS9_10device_ptrItEEEESE_PS5_SF_jNS0_19identity_decomposerENS1_16block_id_wrapperIjLb0EEEEE10hipError_tT1_PNSt15iterator_traitsISK_E10value_typeET2_T3_PNSL_ISQ_E10value_typeET4_T5_PSV_SW_PNS1_23onesweep_lookback_stateEbbT6_jjT7_P12ihipStream_tbENKUlT_T0_SK_SP_E_clISE_PtSF_SF_EEDaS13_S14_SK_SP_EUlS13_E_NS1_11comp_targetILNS1_3genE9ELNS1_11target_archE1100ELNS1_3gpuE3ELNS1_3repE0EEENS1_47radix_sort_onesweep_sort_config_static_selectorELNS0_4arch9wavefront6targetE1EEEvSK_
                                        ; -- End function
	.section	.AMDGPU.csdata,"",@progbits
; Kernel info:
; codeLenInByte = 0
; NumSgprs: 6
; NumVgprs: 0
; NumAgprs: 0
; TotalNumVgprs: 0
; ScratchSize: 0
; MemoryBound: 0
; FloatMode: 240
; IeeeMode: 1
; LDSByteSize: 0 bytes/workgroup (compile time only)
; SGPRBlocks: 0
; VGPRBlocks: 0
; NumSGPRsForWavesPerEU: 6
; NumVGPRsForWavesPerEU: 1
; AccumOffset: 4
; Occupancy: 8
; WaveLimiterHint : 0
; COMPUTE_PGM_RSRC2:SCRATCH_EN: 0
; COMPUTE_PGM_RSRC2:USER_SGPR: 2
; COMPUTE_PGM_RSRC2:TRAP_HANDLER: 0
; COMPUTE_PGM_RSRC2:TGID_X_EN: 1
; COMPUTE_PGM_RSRC2:TGID_Y_EN: 0
; COMPUTE_PGM_RSRC2:TGID_Z_EN: 0
; COMPUTE_PGM_RSRC2:TIDIG_COMP_CNT: 0
; COMPUTE_PGM_RSRC3_GFX90A:ACCUM_OFFSET: 0
; COMPUTE_PGM_RSRC3_GFX90A:TG_SPLIT: 0
	.section	.text._ZN7rocprim17ROCPRIM_400000_NS6detail17trampoline_kernelINS0_14default_configENS1_35radix_sort_onesweep_config_selectorItNS0_10empty_typeEEEZZNS1_29radix_sort_onesweep_iterationIS3_Lb0EN6thrust23THRUST_200600_302600_NS6detail15normal_iteratorINS9_10device_ptrItEEEESE_PS5_SF_jNS0_19identity_decomposerENS1_16block_id_wrapperIjLb0EEEEE10hipError_tT1_PNSt15iterator_traitsISK_E10value_typeET2_T3_PNSL_ISQ_E10value_typeET4_T5_PSV_SW_PNS1_23onesweep_lookback_stateEbbT6_jjT7_P12ihipStream_tbENKUlT_T0_SK_SP_E_clISE_PtSF_SF_EEDaS13_S14_SK_SP_EUlS13_E_NS1_11comp_targetILNS1_3genE8ELNS1_11target_archE1030ELNS1_3gpuE2ELNS1_3repE0EEENS1_47radix_sort_onesweep_sort_config_static_selectorELNS0_4arch9wavefront6targetE1EEEvSK_,"axG",@progbits,_ZN7rocprim17ROCPRIM_400000_NS6detail17trampoline_kernelINS0_14default_configENS1_35radix_sort_onesweep_config_selectorItNS0_10empty_typeEEEZZNS1_29radix_sort_onesweep_iterationIS3_Lb0EN6thrust23THRUST_200600_302600_NS6detail15normal_iteratorINS9_10device_ptrItEEEESE_PS5_SF_jNS0_19identity_decomposerENS1_16block_id_wrapperIjLb0EEEEE10hipError_tT1_PNSt15iterator_traitsISK_E10value_typeET2_T3_PNSL_ISQ_E10value_typeET4_T5_PSV_SW_PNS1_23onesweep_lookback_stateEbbT6_jjT7_P12ihipStream_tbENKUlT_T0_SK_SP_E_clISE_PtSF_SF_EEDaS13_S14_SK_SP_EUlS13_E_NS1_11comp_targetILNS1_3genE8ELNS1_11target_archE1030ELNS1_3gpuE2ELNS1_3repE0EEENS1_47radix_sort_onesweep_sort_config_static_selectorELNS0_4arch9wavefront6targetE1EEEvSK_,comdat
	.protected	_ZN7rocprim17ROCPRIM_400000_NS6detail17trampoline_kernelINS0_14default_configENS1_35radix_sort_onesweep_config_selectorItNS0_10empty_typeEEEZZNS1_29radix_sort_onesweep_iterationIS3_Lb0EN6thrust23THRUST_200600_302600_NS6detail15normal_iteratorINS9_10device_ptrItEEEESE_PS5_SF_jNS0_19identity_decomposerENS1_16block_id_wrapperIjLb0EEEEE10hipError_tT1_PNSt15iterator_traitsISK_E10value_typeET2_T3_PNSL_ISQ_E10value_typeET4_T5_PSV_SW_PNS1_23onesweep_lookback_stateEbbT6_jjT7_P12ihipStream_tbENKUlT_T0_SK_SP_E_clISE_PtSF_SF_EEDaS13_S14_SK_SP_EUlS13_E_NS1_11comp_targetILNS1_3genE8ELNS1_11target_archE1030ELNS1_3gpuE2ELNS1_3repE0EEENS1_47radix_sort_onesweep_sort_config_static_selectorELNS0_4arch9wavefront6targetE1EEEvSK_ ; -- Begin function _ZN7rocprim17ROCPRIM_400000_NS6detail17trampoline_kernelINS0_14default_configENS1_35radix_sort_onesweep_config_selectorItNS0_10empty_typeEEEZZNS1_29radix_sort_onesweep_iterationIS3_Lb0EN6thrust23THRUST_200600_302600_NS6detail15normal_iteratorINS9_10device_ptrItEEEESE_PS5_SF_jNS0_19identity_decomposerENS1_16block_id_wrapperIjLb0EEEEE10hipError_tT1_PNSt15iterator_traitsISK_E10value_typeET2_T3_PNSL_ISQ_E10value_typeET4_T5_PSV_SW_PNS1_23onesweep_lookback_stateEbbT6_jjT7_P12ihipStream_tbENKUlT_T0_SK_SP_E_clISE_PtSF_SF_EEDaS13_S14_SK_SP_EUlS13_E_NS1_11comp_targetILNS1_3genE8ELNS1_11target_archE1030ELNS1_3gpuE2ELNS1_3repE0EEENS1_47radix_sort_onesweep_sort_config_static_selectorELNS0_4arch9wavefront6targetE1EEEvSK_
	.globl	_ZN7rocprim17ROCPRIM_400000_NS6detail17trampoline_kernelINS0_14default_configENS1_35radix_sort_onesweep_config_selectorItNS0_10empty_typeEEEZZNS1_29radix_sort_onesweep_iterationIS3_Lb0EN6thrust23THRUST_200600_302600_NS6detail15normal_iteratorINS9_10device_ptrItEEEESE_PS5_SF_jNS0_19identity_decomposerENS1_16block_id_wrapperIjLb0EEEEE10hipError_tT1_PNSt15iterator_traitsISK_E10value_typeET2_T3_PNSL_ISQ_E10value_typeET4_T5_PSV_SW_PNS1_23onesweep_lookback_stateEbbT6_jjT7_P12ihipStream_tbENKUlT_T0_SK_SP_E_clISE_PtSF_SF_EEDaS13_S14_SK_SP_EUlS13_E_NS1_11comp_targetILNS1_3genE8ELNS1_11target_archE1030ELNS1_3gpuE2ELNS1_3repE0EEENS1_47radix_sort_onesweep_sort_config_static_selectorELNS0_4arch9wavefront6targetE1EEEvSK_
	.p2align	8
	.type	_ZN7rocprim17ROCPRIM_400000_NS6detail17trampoline_kernelINS0_14default_configENS1_35radix_sort_onesweep_config_selectorItNS0_10empty_typeEEEZZNS1_29radix_sort_onesweep_iterationIS3_Lb0EN6thrust23THRUST_200600_302600_NS6detail15normal_iteratorINS9_10device_ptrItEEEESE_PS5_SF_jNS0_19identity_decomposerENS1_16block_id_wrapperIjLb0EEEEE10hipError_tT1_PNSt15iterator_traitsISK_E10value_typeET2_T3_PNSL_ISQ_E10value_typeET4_T5_PSV_SW_PNS1_23onesweep_lookback_stateEbbT6_jjT7_P12ihipStream_tbENKUlT_T0_SK_SP_E_clISE_PtSF_SF_EEDaS13_S14_SK_SP_EUlS13_E_NS1_11comp_targetILNS1_3genE8ELNS1_11target_archE1030ELNS1_3gpuE2ELNS1_3repE0EEENS1_47radix_sort_onesweep_sort_config_static_selectorELNS0_4arch9wavefront6targetE1EEEvSK_,@function
_ZN7rocprim17ROCPRIM_400000_NS6detail17trampoline_kernelINS0_14default_configENS1_35radix_sort_onesweep_config_selectorItNS0_10empty_typeEEEZZNS1_29radix_sort_onesweep_iterationIS3_Lb0EN6thrust23THRUST_200600_302600_NS6detail15normal_iteratorINS9_10device_ptrItEEEESE_PS5_SF_jNS0_19identity_decomposerENS1_16block_id_wrapperIjLb0EEEEE10hipError_tT1_PNSt15iterator_traitsISK_E10value_typeET2_T3_PNSL_ISQ_E10value_typeET4_T5_PSV_SW_PNS1_23onesweep_lookback_stateEbbT6_jjT7_P12ihipStream_tbENKUlT_T0_SK_SP_E_clISE_PtSF_SF_EEDaS13_S14_SK_SP_EUlS13_E_NS1_11comp_targetILNS1_3genE8ELNS1_11target_archE1030ELNS1_3gpuE2ELNS1_3repE0EEENS1_47radix_sort_onesweep_sort_config_static_selectorELNS0_4arch9wavefront6targetE1EEEvSK_: ; @_ZN7rocprim17ROCPRIM_400000_NS6detail17trampoline_kernelINS0_14default_configENS1_35radix_sort_onesweep_config_selectorItNS0_10empty_typeEEEZZNS1_29radix_sort_onesweep_iterationIS3_Lb0EN6thrust23THRUST_200600_302600_NS6detail15normal_iteratorINS9_10device_ptrItEEEESE_PS5_SF_jNS0_19identity_decomposerENS1_16block_id_wrapperIjLb0EEEEE10hipError_tT1_PNSt15iterator_traitsISK_E10value_typeET2_T3_PNSL_ISQ_E10value_typeET4_T5_PSV_SW_PNS1_23onesweep_lookback_stateEbbT6_jjT7_P12ihipStream_tbENKUlT_T0_SK_SP_E_clISE_PtSF_SF_EEDaS13_S14_SK_SP_EUlS13_E_NS1_11comp_targetILNS1_3genE8ELNS1_11target_archE1030ELNS1_3gpuE2ELNS1_3repE0EEENS1_47radix_sort_onesweep_sort_config_static_selectorELNS0_4arch9wavefront6targetE1EEEvSK_
; %bb.0:
	.section	.rodata,"a",@progbits
	.p2align	6, 0x0
	.amdhsa_kernel _ZN7rocprim17ROCPRIM_400000_NS6detail17trampoline_kernelINS0_14default_configENS1_35radix_sort_onesweep_config_selectorItNS0_10empty_typeEEEZZNS1_29radix_sort_onesweep_iterationIS3_Lb0EN6thrust23THRUST_200600_302600_NS6detail15normal_iteratorINS9_10device_ptrItEEEESE_PS5_SF_jNS0_19identity_decomposerENS1_16block_id_wrapperIjLb0EEEEE10hipError_tT1_PNSt15iterator_traitsISK_E10value_typeET2_T3_PNSL_ISQ_E10value_typeET4_T5_PSV_SW_PNS1_23onesweep_lookback_stateEbbT6_jjT7_P12ihipStream_tbENKUlT_T0_SK_SP_E_clISE_PtSF_SF_EEDaS13_S14_SK_SP_EUlS13_E_NS1_11comp_targetILNS1_3genE8ELNS1_11target_archE1030ELNS1_3gpuE2ELNS1_3repE0EEENS1_47radix_sort_onesweep_sort_config_static_selectorELNS0_4arch9wavefront6targetE1EEEvSK_
		.amdhsa_group_segment_fixed_size 0
		.amdhsa_private_segment_fixed_size 0
		.amdhsa_kernarg_size 88
		.amdhsa_user_sgpr_count 2
		.amdhsa_user_sgpr_dispatch_ptr 0
		.amdhsa_user_sgpr_queue_ptr 0
		.amdhsa_user_sgpr_kernarg_segment_ptr 1
		.amdhsa_user_sgpr_dispatch_id 0
		.amdhsa_user_sgpr_kernarg_preload_length 0
		.amdhsa_user_sgpr_kernarg_preload_offset 0
		.amdhsa_user_sgpr_private_segment_size 0
		.amdhsa_uses_dynamic_stack 0
		.amdhsa_enable_private_segment 0
		.amdhsa_system_sgpr_workgroup_id_x 1
		.amdhsa_system_sgpr_workgroup_id_y 0
		.amdhsa_system_sgpr_workgroup_id_z 0
		.amdhsa_system_sgpr_workgroup_info 0
		.amdhsa_system_vgpr_workitem_id 0
		.amdhsa_next_free_vgpr 1
		.amdhsa_next_free_sgpr 0
		.amdhsa_accum_offset 4
		.amdhsa_reserve_vcc 0
		.amdhsa_float_round_mode_32 0
		.amdhsa_float_round_mode_16_64 0
		.amdhsa_float_denorm_mode_32 3
		.amdhsa_float_denorm_mode_16_64 3
		.amdhsa_dx10_clamp 1
		.amdhsa_ieee_mode 1
		.amdhsa_fp16_overflow 0
		.amdhsa_tg_split 0
		.amdhsa_exception_fp_ieee_invalid_op 0
		.amdhsa_exception_fp_denorm_src 0
		.amdhsa_exception_fp_ieee_div_zero 0
		.amdhsa_exception_fp_ieee_overflow 0
		.amdhsa_exception_fp_ieee_underflow 0
		.amdhsa_exception_fp_ieee_inexact 0
		.amdhsa_exception_int_div_zero 0
	.end_amdhsa_kernel
	.section	.text._ZN7rocprim17ROCPRIM_400000_NS6detail17trampoline_kernelINS0_14default_configENS1_35radix_sort_onesweep_config_selectorItNS0_10empty_typeEEEZZNS1_29radix_sort_onesweep_iterationIS3_Lb0EN6thrust23THRUST_200600_302600_NS6detail15normal_iteratorINS9_10device_ptrItEEEESE_PS5_SF_jNS0_19identity_decomposerENS1_16block_id_wrapperIjLb0EEEEE10hipError_tT1_PNSt15iterator_traitsISK_E10value_typeET2_T3_PNSL_ISQ_E10value_typeET4_T5_PSV_SW_PNS1_23onesweep_lookback_stateEbbT6_jjT7_P12ihipStream_tbENKUlT_T0_SK_SP_E_clISE_PtSF_SF_EEDaS13_S14_SK_SP_EUlS13_E_NS1_11comp_targetILNS1_3genE8ELNS1_11target_archE1030ELNS1_3gpuE2ELNS1_3repE0EEENS1_47radix_sort_onesweep_sort_config_static_selectorELNS0_4arch9wavefront6targetE1EEEvSK_,"axG",@progbits,_ZN7rocprim17ROCPRIM_400000_NS6detail17trampoline_kernelINS0_14default_configENS1_35radix_sort_onesweep_config_selectorItNS0_10empty_typeEEEZZNS1_29radix_sort_onesweep_iterationIS3_Lb0EN6thrust23THRUST_200600_302600_NS6detail15normal_iteratorINS9_10device_ptrItEEEESE_PS5_SF_jNS0_19identity_decomposerENS1_16block_id_wrapperIjLb0EEEEE10hipError_tT1_PNSt15iterator_traitsISK_E10value_typeET2_T3_PNSL_ISQ_E10value_typeET4_T5_PSV_SW_PNS1_23onesweep_lookback_stateEbbT6_jjT7_P12ihipStream_tbENKUlT_T0_SK_SP_E_clISE_PtSF_SF_EEDaS13_S14_SK_SP_EUlS13_E_NS1_11comp_targetILNS1_3genE8ELNS1_11target_archE1030ELNS1_3gpuE2ELNS1_3repE0EEENS1_47radix_sort_onesweep_sort_config_static_selectorELNS0_4arch9wavefront6targetE1EEEvSK_,comdat
.Lfunc_end1382:
	.size	_ZN7rocprim17ROCPRIM_400000_NS6detail17trampoline_kernelINS0_14default_configENS1_35radix_sort_onesweep_config_selectorItNS0_10empty_typeEEEZZNS1_29radix_sort_onesweep_iterationIS3_Lb0EN6thrust23THRUST_200600_302600_NS6detail15normal_iteratorINS9_10device_ptrItEEEESE_PS5_SF_jNS0_19identity_decomposerENS1_16block_id_wrapperIjLb0EEEEE10hipError_tT1_PNSt15iterator_traitsISK_E10value_typeET2_T3_PNSL_ISQ_E10value_typeET4_T5_PSV_SW_PNS1_23onesweep_lookback_stateEbbT6_jjT7_P12ihipStream_tbENKUlT_T0_SK_SP_E_clISE_PtSF_SF_EEDaS13_S14_SK_SP_EUlS13_E_NS1_11comp_targetILNS1_3genE8ELNS1_11target_archE1030ELNS1_3gpuE2ELNS1_3repE0EEENS1_47radix_sort_onesweep_sort_config_static_selectorELNS0_4arch9wavefront6targetE1EEEvSK_, .Lfunc_end1382-_ZN7rocprim17ROCPRIM_400000_NS6detail17trampoline_kernelINS0_14default_configENS1_35radix_sort_onesweep_config_selectorItNS0_10empty_typeEEEZZNS1_29radix_sort_onesweep_iterationIS3_Lb0EN6thrust23THRUST_200600_302600_NS6detail15normal_iteratorINS9_10device_ptrItEEEESE_PS5_SF_jNS0_19identity_decomposerENS1_16block_id_wrapperIjLb0EEEEE10hipError_tT1_PNSt15iterator_traitsISK_E10value_typeET2_T3_PNSL_ISQ_E10value_typeET4_T5_PSV_SW_PNS1_23onesweep_lookback_stateEbbT6_jjT7_P12ihipStream_tbENKUlT_T0_SK_SP_E_clISE_PtSF_SF_EEDaS13_S14_SK_SP_EUlS13_E_NS1_11comp_targetILNS1_3genE8ELNS1_11target_archE1030ELNS1_3gpuE2ELNS1_3repE0EEENS1_47radix_sort_onesweep_sort_config_static_selectorELNS0_4arch9wavefront6targetE1EEEvSK_
                                        ; -- End function
	.section	.AMDGPU.csdata,"",@progbits
; Kernel info:
; codeLenInByte = 0
; NumSgprs: 6
; NumVgprs: 0
; NumAgprs: 0
; TotalNumVgprs: 0
; ScratchSize: 0
; MemoryBound: 0
; FloatMode: 240
; IeeeMode: 1
; LDSByteSize: 0 bytes/workgroup (compile time only)
; SGPRBlocks: 0
; VGPRBlocks: 0
; NumSGPRsForWavesPerEU: 6
; NumVGPRsForWavesPerEU: 1
; AccumOffset: 4
; Occupancy: 8
; WaveLimiterHint : 0
; COMPUTE_PGM_RSRC2:SCRATCH_EN: 0
; COMPUTE_PGM_RSRC2:USER_SGPR: 2
; COMPUTE_PGM_RSRC2:TRAP_HANDLER: 0
; COMPUTE_PGM_RSRC2:TGID_X_EN: 1
; COMPUTE_PGM_RSRC2:TGID_Y_EN: 0
; COMPUTE_PGM_RSRC2:TGID_Z_EN: 0
; COMPUTE_PGM_RSRC2:TIDIG_COMP_CNT: 0
; COMPUTE_PGM_RSRC3_GFX90A:ACCUM_OFFSET: 0
; COMPUTE_PGM_RSRC3_GFX90A:TG_SPLIT: 0
	.section	.text._ZN7rocprim17ROCPRIM_400000_NS6detail17trampoline_kernelINS0_14default_configENS1_35radix_sort_onesweep_config_selectorItNS0_10empty_typeEEEZZNS1_29radix_sort_onesweep_iterationIS3_Lb0EN6thrust23THRUST_200600_302600_NS6detail15normal_iteratorINS9_10device_ptrItEEEESE_PS5_SF_jNS0_19identity_decomposerENS1_16block_id_wrapperIjLb0EEEEE10hipError_tT1_PNSt15iterator_traitsISK_E10value_typeET2_T3_PNSL_ISQ_E10value_typeET4_T5_PSV_SW_PNS1_23onesweep_lookback_stateEbbT6_jjT7_P12ihipStream_tbENKUlT_T0_SK_SP_E_clIPtSE_SF_SF_EEDaS13_S14_SK_SP_EUlS13_E_NS1_11comp_targetILNS1_3genE0ELNS1_11target_archE4294967295ELNS1_3gpuE0ELNS1_3repE0EEENS1_47radix_sort_onesweep_sort_config_static_selectorELNS0_4arch9wavefront6targetE1EEEvSK_,"axG",@progbits,_ZN7rocprim17ROCPRIM_400000_NS6detail17trampoline_kernelINS0_14default_configENS1_35radix_sort_onesweep_config_selectorItNS0_10empty_typeEEEZZNS1_29radix_sort_onesweep_iterationIS3_Lb0EN6thrust23THRUST_200600_302600_NS6detail15normal_iteratorINS9_10device_ptrItEEEESE_PS5_SF_jNS0_19identity_decomposerENS1_16block_id_wrapperIjLb0EEEEE10hipError_tT1_PNSt15iterator_traitsISK_E10value_typeET2_T3_PNSL_ISQ_E10value_typeET4_T5_PSV_SW_PNS1_23onesweep_lookback_stateEbbT6_jjT7_P12ihipStream_tbENKUlT_T0_SK_SP_E_clIPtSE_SF_SF_EEDaS13_S14_SK_SP_EUlS13_E_NS1_11comp_targetILNS1_3genE0ELNS1_11target_archE4294967295ELNS1_3gpuE0ELNS1_3repE0EEENS1_47radix_sort_onesweep_sort_config_static_selectorELNS0_4arch9wavefront6targetE1EEEvSK_,comdat
	.protected	_ZN7rocprim17ROCPRIM_400000_NS6detail17trampoline_kernelINS0_14default_configENS1_35radix_sort_onesweep_config_selectorItNS0_10empty_typeEEEZZNS1_29radix_sort_onesweep_iterationIS3_Lb0EN6thrust23THRUST_200600_302600_NS6detail15normal_iteratorINS9_10device_ptrItEEEESE_PS5_SF_jNS0_19identity_decomposerENS1_16block_id_wrapperIjLb0EEEEE10hipError_tT1_PNSt15iterator_traitsISK_E10value_typeET2_T3_PNSL_ISQ_E10value_typeET4_T5_PSV_SW_PNS1_23onesweep_lookback_stateEbbT6_jjT7_P12ihipStream_tbENKUlT_T0_SK_SP_E_clIPtSE_SF_SF_EEDaS13_S14_SK_SP_EUlS13_E_NS1_11comp_targetILNS1_3genE0ELNS1_11target_archE4294967295ELNS1_3gpuE0ELNS1_3repE0EEENS1_47radix_sort_onesweep_sort_config_static_selectorELNS0_4arch9wavefront6targetE1EEEvSK_ ; -- Begin function _ZN7rocprim17ROCPRIM_400000_NS6detail17trampoline_kernelINS0_14default_configENS1_35radix_sort_onesweep_config_selectorItNS0_10empty_typeEEEZZNS1_29radix_sort_onesweep_iterationIS3_Lb0EN6thrust23THRUST_200600_302600_NS6detail15normal_iteratorINS9_10device_ptrItEEEESE_PS5_SF_jNS0_19identity_decomposerENS1_16block_id_wrapperIjLb0EEEEE10hipError_tT1_PNSt15iterator_traitsISK_E10value_typeET2_T3_PNSL_ISQ_E10value_typeET4_T5_PSV_SW_PNS1_23onesweep_lookback_stateEbbT6_jjT7_P12ihipStream_tbENKUlT_T0_SK_SP_E_clIPtSE_SF_SF_EEDaS13_S14_SK_SP_EUlS13_E_NS1_11comp_targetILNS1_3genE0ELNS1_11target_archE4294967295ELNS1_3gpuE0ELNS1_3repE0EEENS1_47radix_sort_onesweep_sort_config_static_selectorELNS0_4arch9wavefront6targetE1EEEvSK_
	.globl	_ZN7rocprim17ROCPRIM_400000_NS6detail17trampoline_kernelINS0_14default_configENS1_35radix_sort_onesweep_config_selectorItNS0_10empty_typeEEEZZNS1_29radix_sort_onesweep_iterationIS3_Lb0EN6thrust23THRUST_200600_302600_NS6detail15normal_iteratorINS9_10device_ptrItEEEESE_PS5_SF_jNS0_19identity_decomposerENS1_16block_id_wrapperIjLb0EEEEE10hipError_tT1_PNSt15iterator_traitsISK_E10value_typeET2_T3_PNSL_ISQ_E10value_typeET4_T5_PSV_SW_PNS1_23onesweep_lookback_stateEbbT6_jjT7_P12ihipStream_tbENKUlT_T0_SK_SP_E_clIPtSE_SF_SF_EEDaS13_S14_SK_SP_EUlS13_E_NS1_11comp_targetILNS1_3genE0ELNS1_11target_archE4294967295ELNS1_3gpuE0ELNS1_3repE0EEENS1_47radix_sort_onesweep_sort_config_static_selectorELNS0_4arch9wavefront6targetE1EEEvSK_
	.p2align	8
	.type	_ZN7rocprim17ROCPRIM_400000_NS6detail17trampoline_kernelINS0_14default_configENS1_35radix_sort_onesweep_config_selectorItNS0_10empty_typeEEEZZNS1_29radix_sort_onesweep_iterationIS3_Lb0EN6thrust23THRUST_200600_302600_NS6detail15normal_iteratorINS9_10device_ptrItEEEESE_PS5_SF_jNS0_19identity_decomposerENS1_16block_id_wrapperIjLb0EEEEE10hipError_tT1_PNSt15iterator_traitsISK_E10value_typeET2_T3_PNSL_ISQ_E10value_typeET4_T5_PSV_SW_PNS1_23onesweep_lookback_stateEbbT6_jjT7_P12ihipStream_tbENKUlT_T0_SK_SP_E_clIPtSE_SF_SF_EEDaS13_S14_SK_SP_EUlS13_E_NS1_11comp_targetILNS1_3genE0ELNS1_11target_archE4294967295ELNS1_3gpuE0ELNS1_3repE0EEENS1_47radix_sort_onesweep_sort_config_static_selectorELNS0_4arch9wavefront6targetE1EEEvSK_,@function
_ZN7rocprim17ROCPRIM_400000_NS6detail17trampoline_kernelINS0_14default_configENS1_35radix_sort_onesweep_config_selectorItNS0_10empty_typeEEEZZNS1_29radix_sort_onesweep_iterationIS3_Lb0EN6thrust23THRUST_200600_302600_NS6detail15normal_iteratorINS9_10device_ptrItEEEESE_PS5_SF_jNS0_19identity_decomposerENS1_16block_id_wrapperIjLb0EEEEE10hipError_tT1_PNSt15iterator_traitsISK_E10value_typeET2_T3_PNSL_ISQ_E10value_typeET4_T5_PSV_SW_PNS1_23onesweep_lookback_stateEbbT6_jjT7_P12ihipStream_tbENKUlT_T0_SK_SP_E_clIPtSE_SF_SF_EEDaS13_S14_SK_SP_EUlS13_E_NS1_11comp_targetILNS1_3genE0ELNS1_11target_archE4294967295ELNS1_3gpuE0ELNS1_3repE0EEENS1_47radix_sort_onesweep_sort_config_static_selectorELNS0_4arch9wavefront6targetE1EEEvSK_: ; @_ZN7rocprim17ROCPRIM_400000_NS6detail17trampoline_kernelINS0_14default_configENS1_35radix_sort_onesweep_config_selectorItNS0_10empty_typeEEEZZNS1_29radix_sort_onesweep_iterationIS3_Lb0EN6thrust23THRUST_200600_302600_NS6detail15normal_iteratorINS9_10device_ptrItEEEESE_PS5_SF_jNS0_19identity_decomposerENS1_16block_id_wrapperIjLb0EEEEE10hipError_tT1_PNSt15iterator_traitsISK_E10value_typeET2_T3_PNSL_ISQ_E10value_typeET4_T5_PSV_SW_PNS1_23onesweep_lookback_stateEbbT6_jjT7_P12ihipStream_tbENKUlT_T0_SK_SP_E_clIPtSE_SF_SF_EEDaS13_S14_SK_SP_EUlS13_E_NS1_11comp_targetILNS1_3genE0ELNS1_11target_archE4294967295ELNS1_3gpuE0ELNS1_3repE0EEENS1_47radix_sort_onesweep_sort_config_static_selectorELNS0_4arch9wavefront6targetE1EEEvSK_
; %bb.0:
	.section	.rodata,"a",@progbits
	.p2align	6, 0x0
	.amdhsa_kernel _ZN7rocprim17ROCPRIM_400000_NS6detail17trampoline_kernelINS0_14default_configENS1_35radix_sort_onesweep_config_selectorItNS0_10empty_typeEEEZZNS1_29radix_sort_onesweep_iterationIS3_Lb0EN6thrust23THRUST_200600_302600_NS6detail15normal_iteratorINS9_10device_ptrItEEEESE_PS5_SF_jNS0_19identity_decomposerENS1_16block_id_wrapperIjLb0EEEEE10hipError_tT1_PNSt15iterator_traitsISK_E10value_typeET2_T3_PNSL_ISQ_E10value_typeET4_T5_PSV_SW_PNS1_23onesweep_lookback_stateEbbT6_jjT7_P12ihipStream_tbENKUlT_T0_SK_SP_E_clIPtSE_SF_SF_EEDaS13_S14_SK_SP_EUlS13_E_NS1_11comp_targetILNS1_3genE0ELNS1_11target_archE4294967295ELNS1_3gpuE0ELNS1_3repE0EEENS1_47radix_sort_onesweep_sort_config_static_selectorELNS0_4arch9wavefront6targetE1EEEvSK_
		.amdhsa_group_segment_fixed_size 0
		.amdhsa_private_segment_fixed_size 0
		.amdhsa_kernarg_size 88
		.amdhsa_user_sgpr_count 2
		.amdhsa_user_sgpr_dispatch_ptr 0
		.amdhsa_user_sgpr_queue_ptr 0
		.amdhsa_user_sgpr_kernarg_segment_ptr 1
		.amdhsa_user_sgpr_dispatch_id 0
		.amdhsa_user_sgpr_kernarg_preload_length 0
		.amdhsa_user_sgpr_kernarg_preload_offset 0
		.amdhsa_user_sgpr_private_segment_size 0
		.amdhsa_uses_dynamic_stack 0
		.amdhsa_enable_private_segment 0
		.amdhsa_system_sgpr_workgroup_id_x 1
		.amdhsa_system_sgpr_workgroup_id_y 0
		.amdhsa_system_sgpr_workgroup_id_z 0
		.amdhsa_system_sgpr_workgroup_info 0
		.amdhsa_system_vgpr_workitem_id 0
		.amdhsa_next_free_vgpr 1
		.amdhsa_next_free_sgpr 0
		.amdhsa_accum_offset 4
		.amdhsa_reserve_vcc 0
		.amdhsa_float_round_mode_32 0
		.amdhsa_float_round_mode_16_64 0
		.amdhsa_float_denorm_mode_32 3
		.amdhsa_float_denorm_mode_16_64 3
		.amdhsa_dx10_clamp 1
		.amdhsa_ieee_mode 1
		.amdhsa_fp16_overflow 0
		.amdhsa_tg_split 0
		.amdhsa_exception_fp_ieee_invalid_op 0
		.amdhsa_exception_fp_denorm_src 0
		.amdhsa_exception_fp_ieee_div_zero 0
		.amdhsa_exception_fp_ieee_overflow 0
		.amdhsa_exception_fp_ieee_underflow 0
		.amdhsa_exception_fp_ieee_inexact 0
		.amdhsa_exception_int_div_zero 0
	.end_amdhsa_kernel
	.section	.text._ZN7rocprim17ROCPRIM_400000_NS6detail17trampoline_kernelINS0_14default_configENS1_35radix_sort_onesweep_config_selectorItNS0_10empty_typeEEEZZNS1_29radix_sort_onesweep_iterationIS3_Lb0EN6thrust23THRUST_200600_302600_NS6detail15normal_iteratorINS9_10device_ptrItEEEESE_PS5_SF_jNS0_19identity_decomposerENS1_16block_id_wrapperIjLb0EEEEE10hipError_tT1_PNSt15iterator_traitsISK_E10value_typeET2_T3_PNSL_ISQ_E10value_typeET4_T5_PSV_SW_PNS1_23onesweep_lookback_stateEbbT6_jjT7_P12ihipStream_tbENKUlT_T0_SK_SP_E_clIPtSE_SF_SF_EEDaS13_S14_SK_SP_EUlS13_E_NS1_11comp_targetILNS1_3genE0ELNS1_11target_archE4294967295ELNS1_3gpuE0ELNS1_3repE0EEENS1_47radix_sort_onesweep_sort_config_static_selectorELNS0_4arch9wavefront6targetE1EEEvSK_,"axG",@progbits,_ZN7rocprim17ROCPRIM_400000_NS6detail17trampoline_kernelINS0_14default_configENS1_35radix_sort_onesweep_config_selectorItNS0_10empty_typeEEEZZNS1_29radix_sort_onesweep_iterationIS3_Lb0EN6thrust23THRUST_200600_302600_NS6detail15normal_iteratorINS9_10device_ptrItEEEESE_PS5_SF_jNS0_19identity_decomposerENS1_16block_id_wrapperIjLb0EEEEE10hipError_tT1_PNSt15iterator_traitsISK_E10value_typeET2_T3_PNSL_ISQ_E10value_typeET4_T5_PSV_SW_PNS1_23onesweep_lookback_stateEbbT6_jjT7_P12ihipStream_tbENKUlT_T0_SK_SP_E_clIPtSE_SF_SF_EEDaS13_S14_SK_SP_EUlS13_E_NS1_11comp_targetILNS1_3genE0ELNS1_11target_archE4294967295ELNS1_3gpuE0ELNS1_3repE0EEENS1_47radix_sort_onesweep_sort_config_static_selectorELNS0_4arch9wavefront6targetE1EEEvSK_,comdat
.Lfunc_end1383:
	.size	_ZN7rocprim17ROCPRIM_400000_NS6detail17trampoline_kernelINS0_14default_configENS1_35radix_sort_onesweep_config_selectorItNS0_10empty_typeEEEZZNS1_29radix_sort_onesweep_iterationIS3_Lb0EN6thrust23THRUST_200600_302600_NS6detail15normal_iteratorINS9_10device_ptrItEEEESE_PS5_SF_jNS0_19identity_decomposerENS1_16block_id_wrapperIjLb0EEEEE10hipError_tT1_PNSt15iterator_traitsISK_E10value_typeET2_T3_PNSL_ISQ_E10value_typeET4_T5_PSV_SW_PNS1_23onesweep_lookback_stateEbbT6_jjT7_P12ihipStream_tbENKUlT_T0_SK_SP_E_clIPtSE_SF_SF_EEDaS13_S14_SK_SP_EUlS13_E_NS1_11comp_targetILNS1_3genE0ELNS1_11target_archE4294967295ELNS1_3gpuE0ELNS1_3repE0EEENS1_47radix_sort_onesweep_sort_config_static_selectorELNS0_4arch9wavefront6targetE1EEEvSK_, .Lfunc_end1383-_ZN7rocprim17ROCPRIM_400000_NS6detail17trampoline_kernelINS0_14default_configENS1_35radix_sort_onesweep_config_selectorItNS0_10empty_typeEEEZZNS1_29radix_sort_onesweep_iterationIS3_Lb0EN6thrust23THRUST_200600_302600_NS6detail15normal_iteratorINS9_10device_ptrItEEEESE_PS5_SF_jNS0_19identity_decomposerENS1_16block_id_wrapperIjLb0EEEEE10hipError_tT1_PNSt15iterator_traitsISK_E10value_typeET2_T3_PNSL_ISQ_E10value_typeET4_T5_PSV_SW_PNS1_23onesweep_lookback_stateEbbT6_jjT7_P12ihipStream_tbENKUlT_T0_SK_SP_E_clIPtSE_SF_SF_EEDaS13_S14_SK_SP_EUlS13_E_NS1_11comp_targetILNS1_3genE0ELNS1_11target_archE4294967295ELNS1_3gpuE0ELNS1_3repE0EEENS1_47radix_sort_onesweep_sort_config_static_selectorELNS0_4arch9wavefront6targetE1EEEvSK_
                                        ; -- End function
	.section	.AMDGPU.csdata,"",@progbits
; Kernel info:
; codeLenInByte = 0
; NumSgprs: 6
; NumVgprs: 0
; NumAgprs: 0
; TotalNumVgprs: 0
; ScratchSize: 0
; MemoryBound: 0
; FloatMode: 240
; IeeeMode: 1
; LDSByteSize: 0 bytes/workgroup (compile time only)
; SGPRBlocks: 0
; VGPRBlocks: 0
; NumSGPRsForWavesPerEU: 6
; NumVGPRsForWavesPerEU: 1
; AccumOffset: 4
; Occupancy: 8
; WaveLimiterHint : 0
; COMPUTE_PGM_RSRC2:SCRATCH_EN: 0
; COMPUTE_PGM_RSRC2:USER_SGPR: 2
; COMPUTE_PGM_RSRC2:TRAP_HANDLER: 0
; COMPUTE_PGM_RSRC2:TGID_X_EN: 1
; COMPUTE_PGM_RSRC2:TGID_Y_EN: 0
; COMPUTE_PGM_RSRC2:TGID_Z_EN: 0
; COMPUTE_PGM_RSRC2:TIDIG_COMP_CNT: 0
; COMPUTE_PGM_RSRC3_GFX90A:ACCUM_OFFSET: 0
; COMPUTE_PGM_RSRC3_GFX90A:TG_SPLIT: 0
	.section	.text._ZN7rocprim17ROCPRIM_400000_NS6detail17trampoline_kernelINS0_14default_configENS1_35radix_sort_onesweep_config_selectorItNS0_10empty_typeEEEZZNS1_29radix_sort_onesweep_iterationIS3_Lb0EN6thrust23THRUST_200600_302600_NS6detail15normal_iteratorINS9_10device_ptrItEEEESE_PS5_SF_jNS0_19identity_decomposerENS1_16block_id_wrapperIjLb0EEEEE10hipError_tT1_PNSt15iterator_traitsISK_E10value_typeET2_T3_PNSL_ISQ_E10value_typeET4_T5_PSV_SW_PNS1_23onesweep_lookback_stateEbbT6_jjT7_P12ihipStream_tbENKUlT_T0_SK_SP_E_clIPtSE_SF_SF_EEDaS13_S14_SK_SP_EUlS13_E_NS1_11comp_targetILNS1_3genE6ELNS1_11target_archE950ELNS1_3gpuE13ELNS1_3repE0EEENS1_47radix_sort_onesweep_sort_config_static_selectorELNS0_4arch9wavefront6targetE1EEEvSK_,"axG",@progbits,_ZN7rocprim17ROCPRIM_400000_NS6detail17trampoline_kernelINS0_14default_configENS1_35radix_sort_onesweep_config_selectorItNS0_10empty_typeEEEZZNS1_29radix_sort_onesweep_iterationIS3_Lb0EN6thrust23THRUST_200600_302600_NS6detail15normal_iteratorINS9_10device_ptrItEEEESE_PS5_SF_jNS0_19identity_decomposerENS1_16block_id_wrapperIjLb0EEEEE10hipError_tT1_PNSt15iterator_traitsISK_E10value_typeET2_T3_PNSL_ISQ_E10value_typeET4_T5_PSV_SW_PNS1_23onesweep_lookback_stateEbbT6_jjT7_P12ihipStream_tbENKUlT_T0_SK_SP_E_clIPtSE_SF_SF_EEDaS13_S14_SK_SP_EUlS13_E_NS1_11comp_targetILNS1_3genE6ELNS1_11target_archE950ELNS1_3gpuE13ELNS1_3repE0EEENS1_47radix_sort_onesweep_sort_config_static_selectorELNS0_4arch9wavefront6targetE1EEEvSK_,comdat
	.protected	_ZN7rocprim17ROCPRIM_400000_NS6detail17trampoline_kernelINS0_14default_configENS1_35radix_sort_onesweep_config_selectorItNS0_10empty_typeEEEZZNS1_29radix_sort_onesweep_iterationIS3_Lb0EN6thrust23THRUST_200600_302600_NS6detail15normal_iteratorINS9_10device_ptrItEEEESE_PS5_SF_jNS0_19identity_decomposerENS1_16block_id_wrapperIjLb0EEEEE10hipError_tT1_PNSt15iterator_traitsISK_E10value_typeET2_T3_PNSL_ISQ_E10value_typeET4_T5_PSV_SW_PNS1_23onesweep_lookback_stateEbbT6_jjT7_P12ihipStream_tbENKUlT_T0_SK_SP_E_clIPtSE_SF_SF_EEDaS13_S14_SK_SP_EUlS13_E_NS1_11comp_targetILNS1_3genE6ELNS1_11target_archE950ELNS1_3gpuE13ELNS1_3repE0EEENS1_47radix_sort_onesweep_sort_config_static_selectorELNS0_4arch9wavefront6targetE1EEEvSK_ ; -- Begin function _ZN7rocprim17ROCPRIM_400000_NS6detail17trampoline_kernelINS0_14default_configENS1_35radix_sort_onesweep_config_selectorItNS0_10empty_typeEEEZZNS1_29radix_sort_onesweep_iterationIS3_Lb0EN6thrust23THRUST_200600_302600_NS6detail15normal_iteratorINS9_10device_ptrItEEEESE_PS5_SF_jNS0_19identity_decomposerENS1_16block_id_wrapperIjLb0EEEEE10hipError_tT1_PNSt15iterator_traitsISK_E10value_typeET2_T3_PNSL_ISQ_E10value_typeET4_T5_PSV_SW_PNS1_23onesweep_lookback_stateEbbT6_jjT7_P12ihipStream_tbENKUlT_T0_SK_SP_E_clIPtSE_SF_SF_EEDaS13_S14_SK_SP_EUlS13_E_NS1_11comp_targetILNS1_3genE6ELNS1_11target_archE950ELNS1_3gpuE13ELNS1_3repE0EEENS1_47radix_sort_onesweep_sort_config_static_selectorELNS0_4arch9wavefront6targetE1EEEvSK_
	.globl	_ZN7rocprim17ROCPRIM_400000_NS6detail17trampoline_kernelINS0_14default_configENS1_35radix_sort_onesweep_config_selectorItNS0_10empty_typeEEEZZNS1_29radix_sort_onesweep_iterationIS3_Lb0EN6thrust23THRUST_200600_302600_NS6detail15normal_iteratorINS9_10device_ptrItEEEESE_PS5_SF_jNS0_19identity_decomposerENS1_16block_id_wrapperIjLb0EEEEE10hipError_tT1_PNSt15iterator_traitsISK_E10value_typeET2_T3_PNSL_ISQ_E10value_typeET4_T5_PSV_SW_PNS1_23onesweep_lookback_stateEbbT6_jjT7_P12ihipStream_tbENKUlT_T0_SK_SP_E_clIPtSE_SF_SF_EEDaS13_S14_SK_SP_EUlS13_E_NS1_11comp_targetILNS1_3genE6ELNS1_11target_archE950ELNS1_3gpuE13ELNS1_3repE0EEENS1_47radix_sort_onesweep_sort_config_static_selectorELNS0_4arch9wavefront6targetE1EEEvSK_
	.p2align	8
	.type	_ZN7rocprim17ROCPRIM_400000_NS6detail17trampoline_kernelINS0_14default_configENS1_35radix_sort_onesweep_config_selectorItNS0_10empty_typeEEEZZNS1_29radix_sort_onesweep_iterationIS3_Lb0EN6thrust23THRUST_200600_302600_NS6detail15normal_iteratorINS9_10device_ptrItEEEESE_PS5_SF_jNS0_19identity_decomposerENS1_16block_id_wrapperIjLb0EEEEE10hipError_tT1_PNSt15iterator_traitsISK_E10value_typeET2_T3_PNSL_ISQ_E10value_typeET4_T5_PSV_SW_PNS1_23onesweep_lookback_stateEbbT6_jjT7_P12ihipStream_tbENKUlT_T0_SK_SP_E_clIPtSE_SF_SF_EEDaS13_S14_SK_SP_EUlS13_E_NS1_11comp_targetILNS1_3genE6ELNS1_11target_archE950ELNS1_3gpuE13ELNS1_3repE0EEENS1_47radix_sort_onesweep_sort_config_static_selectorELNS0_4arch9wavefront6targetE1EEEvSK_,@function
_ZN7rocprim17ROCPRIM_400000_NS6detail17trampoline_kernelINS0_14default_configENS1_35radix_sort_onesweep_config_selectorItNS0_10empty_typeEEEZZNS1_29radix_sort_onesweep_iterationIS3_Lb0EN6thrust23THRUST_200600_302600_NS6detail15normal_iteratorINS9_10device_ptrItEEEESE_PS5_SF_jNS0_19identity_decomposerENS1_16block_id_wrapperIjLb0EEEEE10hipError_tT1_PNSt15iterator_traitsISK_E10value_typeET2_T3_PNSL_ISQ_E10value_typeET4_T5_PSV_SW_PNS1_23onesweep_lookback_stateEbbT6_jjT7_P12ihipStream_tbENKUlT_T0_SK_SP_E_clIPtSE_SF_SF_EEDaS13_S14_SK_SP_EUlS13_E_NS1_11comp_targetILNS1_3genE6ELNS1_11target_archE950ELNS1_3gpuE13ELNS1_3repE0EEENS1_47radix_sort_onesweep_sort_config_static_selectorELNS0_4arch9wavefront6targetE1EEEvSK_: ; @_ZN7rocprim17ROCPRIM_400000_NS6detail17trampoline_kernelINS0_14default_configENS1_35radix_sort_onesweep_config_selectorItNS0_10empty_typeEEEZZNS1_29radix_sort_onesweep_iterationIS3_Lb0EN6thrust23THRUST_200600_302600_NS6detail15normal_iteratorINS9_10device_ptrItEEEESE_PS5_SF_jNS0_19identity_decomposerENS1_16block_id_wrapperIjLb0EEEEE10hipError_tT1_PNSt15iterator_traitsISK_E10value_typeET2_T3_PNSL_ISQ_E10value_typeET4_T5_PSV_SW_PNS1_23onesweep_lookback_stateEbbT6_jjT7_P12ihipStream_tbENKUlT_T0_SK_SP_E_clIPtSE_SF_SF_EEDaS13_S14_SK_SP_EUlS13_E_NS1_11comp_targetILNS1_3genE6ELNS1_11target_archE950ELNS1_3gpuE13ELNS1_3repE0EEENS1_47radix_sort_onesweep_sort_config_static_selectorELNS0_4arch9wavefront6targetE1EEEvSK_
; %bb.0:
	.section	.rodata,"a",@progbits
	.p2align	6, 0x0
	.amdhsa_kernel _ZN7rocprim17ROCPRIM_400000_NS6detail17trampoline_kernelINS0_14default_configENS1_35radix_sort_onesweep_config_selectorItNS0_10empty_typeEEEZZNS1_29radix_sort_onesweep_iterationIS3_Lb0EN6thrust23THRUST_200600_302600_NS6detail15normal_iteratorINS9_10device_ptrItEEEESE_PS5_SF_jNS0_19identity_decomposerENS1_16block_id_wrapperIjLb0EEEEE10hipError_tT1_PNSt15iterator_traitsISK_E10value_typeET2_T3_PNSL_ISQ_E10value_typeET4_T5_PSV_SW_PNS1_23onesweep_lookback_stateEbbT6_jjT7_P12ihipStream_tbENKUlT_T0_SK_SP_E_clIPtSE_SF_SF_EEDaS13_S14_SK_SP_EUlS13_E_NS1_11comp_targetILNS1_3genE6ELNS1_11target_archE950ELNS1_3gpuE13ELNS1_3repE0EEENS1_47radix_sort_onesweep_sort_config_static_selectorELNS0_4arch9wavefront6targetE1EEEvSK_
		.amdhsa_group_segment_fixed_size 0
		.amdhsa_private_segment_fixed_size 0
		.amdhsa_kernarg_size 88
		.amdhsa_user_sgpr_count 2
		.amdhsa_user_sgpr_dispatch_ptr 0
		.amdhsa_user_sgpr_queue_ptr 0
		.amdhsa_user_sgpr_kernarg_segment_ptr 1
		.amdhsa_user_sgpr_dispatch_id 0
		.amdhsa_user_sgpr_kernarg_preload_length 0
		.amdhsa_user_sgpr_kernarg_preload_offset 0
		.amdhsa_user_sgpr_private_segment_size 0
		.amdhsa_uses_dynamic_stack 0
		.amdhsa_enable_private_segment 0
		.amdhsa_system_sgpr_workgroup_id_x 1
		.amdhsa_system_sgpr_workgroup_id_y 0
		.amdhsa_system_sgpr_workgroup_id_z 0
		.amdhsa_system_sgpr_workgroup_info 0
		.amdhsa_system_vgpr_workitem_id 0
		.amdhsa_next_free_vgpr 1
		.amdhsa_next_free_sgpr 0
		.amdhsa_accum_offset 4
		.amdhsa_reserve_vcc 0
		.amdhsa_float_round_mode_32 0
		.amdhsa_float_round_mode_16_64 0
		.amdhsa_float_denorm_mode_32 3
		.amdhsa_float_denorm_mode_16_64 3
		.amdhsa_dx10_clamp 1
		.amdhsa_ieee_mode 1
		.amdhsa_fp16_overflow 0
		.amdhsa_tg_split 0
		.amdhsa_exception_fp_ieee_invalid_op 0
		.amdhsa_exception_fp_denorm_src 0
		.amdhsa_exception_fp_ieee_div_zero 0
		.amdhsa_exception_fp_ieee_overflow 0
		.amdhsa_exception_fp_ieee_underflow 0
		.amdhsa_exception_fp_ieee_inexact 0
		.amdhsa_exception_int_div_zero 0
	.end_amdhsa_kernel
	.section	.text._ZN7rocprim17ROCPRIM_400000_NS6detail17trampoline_kernelINS0_14default_configENS1_35radix_sort_onesweep_config_selectorItNS0_10empty_typeEEEZZNS1_29radix_sort_onesweep_iterationIS3_Lb0EN6thrust23THRUST_200600_302600_NS6detail15normal_iteratorINS9_10device_ptrItEEEESE_PS5_SF_jNS0_19identity_decomposerENS1_16block_id_wrapperIjLb0EEEEE10hipError_tT1_PNSt15iterator_traitsISK_E10value_typeET2_T3_PNSL_ISQ_E10value_typeET4_T5_PSV_SW_PNS1_23onesweep_lookback_stateEbbT6_jjT7_P12ihipStream_tbENKUlT_T0_SK_SP_E_clIPtSE_SF_SF_EEDaS13_S14_SK_SP_EUlS13_E_NS1_11comp_targetILNS1_3genE6ELNS1_11target_archE950ELNS1_3gpuE13ELNS1_3repE0EEENS1_47radix_sort_onesweep_sort_config_static_selectorELNS0_4arch9wavefront6targetE1EEEvSK_,"axG",@progbits,_ZN7rocprim17ROCPRIM_400000_NS6detail17trampoline_kernelINS0_14default_configENS1_35radix_sort_onesweep_config_selectorItNS0_10empty_typeEEEZZNS1_29radix_sort_onesweep_iterationIS3_Lb0EN6thrust23THRUST_200600_302600_NS6detail15normal_iteratorINS9_10device_ptrItEEEESE_PS5_SF_jNS0_19identity_decomposerENS1_16block_id_wrapperIjLb0EEEEE10hipError_tT1_PNSt15iterator_traitsISK_E10value_typeET2_T3_PNSL_ISQ_E10value_typeET4_T5_PSV_SW_PNS1_23onesweep_lookback_stateEbbT6_jjT7_P12ihipStream_tbENKUlT_T0_SK_SP_E_clIPtSE_SF_SF_EEDaS13_S14_SK_SP_EUlS13_E_NS1_11comp_targetILNS1_3genE6ELNS1_11target_archE950ELNS1_3gpuE13ELNS1_3repE0EEENS1_47radix_sort_onesweep_sort_config_static_selectorELNS0_4arch9wavefront6targetE1EEEvSK_,comdat
.Lfunc_end1384:
	.size	_ZN7rocprim17ROCPRIM_400000_NS6detail17trampoline_kernelINS0_14default_configENS1_35radix_sort_onesweep_config_selectorItNS0_10empty_typeEEEZZNS1_29radix_sort_onesweep_iterationIS3_Lb0EN6thrust23THRUST_200600_302600_NS6detail15normal_iteratorINS9_10device_ptrItEEEESE_PS5_SF_jNS0_19identity_decomposerENS1_16block_id_wrapperIjLb0EEEEE10hipError_tT1_PNSt15iterator_traitsISK_E10value_typeET2_T3_PNSL_ISQ_E10value_typeET4_T5_PSV_SW_PNS1_23onesweep_lookback_stateEbbT6_jjT7_P12ihipStream_tbENKUlT_T0_SK_SP_E_clIPtSE_SF_SF_EEDaS13_S14_SK_SP_EUlS13_E_NS1_11comp_targetILNS1_3genE6ELNS1_11target_archE950ELNS1_3gpuE13ELNS1_3repE0EEENS1_47radix_sort_onesweep_sort_config_static_selectorELNS0_4arch9wavefront6targetE1EEEvSK_, .Lfunc_end1384-_ZN7rocprim17ROCPRIM_400000_NS6detail17trampoline_kernelINS0_14default_configENS1_35radix_sort_onesweep_config_selectorItNS0_10empty_typeEEEZZNS1_29radix_sort_onesweep_iterationIS3_Lb0EN6thrust23THRUST_200600_302600_NS6detail15normal_iteratorINS9_10device_ptrItEEEESE_PS5_SF_jNS0_19identity_decomposerENS1_16block_id_wrapperIjLb0EEEEE10hipError_tT1_PNSt15iterator_traitsISK_E10value_typeET2_T3_PNSL_ISQ_E10value_typeET4_T5_PSV_SW_PNS1_23onesweep_lookback_stateEbbT6_jjT7_P12ihipStream_tbENKUlT_T0_SK_SP_E_clIPtSE_SF_SF_EEDaS13_S14_SK_SP_EUlS13_E_NS1_11comp_targetILNS1_3genE6ELNS1_11target_archE950ELNS1_3gpuE13ELNS1_3repE0EEENS1_47radix_sort_onesweep_sort_config_static_selectorELNS0_4arch9wavefront6targetE1EEEvSK_
                                        ; -- End function
	.section	.AMDGPU.csdata,"",@progbits
; Kernel info:
; codeLenInByte = 0
; NumSgprs: 6
; NumVgprs: 0
; NumAgprs: 0
; TotalNumVgprs: 0
; ScratchSize: 0
; MemoryBound: 0
; FloatMode: 240
; IeeeMode: 1
; LDSByteSize: 0 bytes/workgroup (compile time only)
; SGPRBlocks: 0
; VGPRBlocks: 0
; NumSGPRsForWavesPerEU: 6
; NumVGPRsForWavesPerEU: 1
; AccumOffset: 4
; Occupancy: 8
; WaveLimiterHint : 0
; COMPUTE_PGM_RSRC2:SCRATCH_EN: 0
; COMPUTE_PGM_RSRC2:USER_SGPR: 2
; COMPUTE_PGM_RSRC2:TRAP_HANDLER: 0
; COMPUTE_PGM_RSRC2:TGID_X_EN: 1
; COMPUTE_PGM_RSRC2:TGID_Y_EN: 0
; COMPUTE_PGM_RSRC2:TGID_Z_EN: 0
; COMPUTE_PGM_RSRC2:TIDIG_COMP_CNT: 0
; COMPUTE_PGM_RSRC3_GFX90A:ACCUM_OFFSET: 0
; COMPUTE_PGM_RSRC3_GFX90A:TG_SPLIT: 0
	.section	.text._ZN7rocprim17ROCPRIM_400000_NS6detail17trampoline_kernelINS0_14default_configENS1_35radix_sort_onesweep_config_selectorItNS0_10empty_typeEEEZZNS1_29radix_sort_onesweep_iterationIS3_Lb0EN6thrust23THRUST_200600_302600_NS6detail15normal_iteratorINS9_10device_ptrItEEEESE_PS5_SF_jNS0_19identity_decomposerENS1_16block_id_wrapperIjLb0EEEEE10hipError_tT1_PNSt15iterator_traitsISK_E10value_typeET2_T3_PNSL_ISQ_E10value_typeET4_T5_PSV_SW_PNS1_23onesweep_lookback_stateEbbT6_jjT7_P12ihipStream_tbENKUlT_T0_SK_SP_E_clIPtSE_SF_SF_EEDaS13_S14_SK_SP_EUlS13_E_NS1_11comp_targetILNS1_3genE5ELNS1_11target_archE942ELNS1_3gpuE9ELNS1_3repE0EEENS1_47radix_sort_onesweep_sort_config_static_selectorELNS0_4arch9wavefront6targetE1EEEvSK_,"axG",@progbits,_ZN7rocprim17ROCPRIM_400000_NS6detail17trampoline_kernelINS0_14default_configENS1_35radix_sort_onesweep_config_selectorItNS0_10empty_typeEEEZZNS1_29radix_sort_onesweep_iterationIS3_Lb0EN6thrust23THRUST_200600_302600_NS6detail15normal_iteratorINS9_10device_ptrItEEEESE_PS5_SF_jNS0_19identity_decomposerENS1_16block_id_wrapperIjLb0EEEEE10hipError_tT1_PNSt15iterator_traitsISK_E10value_typeET2_T3_PNSL_ISQ_E10value_typeET4_T5_PSV_SW_PNS1_23onesweep_lookback_stateEbbT6_jjT7_P12ihipStream_tbENKUlT_T0_SK_SP_E_clIPtSE_SF_SF_EEDaS13_S14_SK_SP_EUlS13_E_NS1_11comp_targetILNS1_3genE5ELNS1_11target_archE942ELNS1_3gpuE9ELNS1_3repE0EEENS1_47radix_sort_onesweep_sort_config_static_selectorELNS0_4arch9wavefront6targetE1EEEvSK_,comdat
	.protected	_ZN7rocprim17ROCPRIM_400000_NS6detail17trampoline_kernelINS0_14default_configENS1_35radix_sort_onesweep_config_selectorItNS0_10empty_typeEEEZZNS1_29radix_sort_onesweep_iterationIS3_Lb0EN6thrust23THRUST_200600_302600_NS6detail15normal_iteratorINS9_10device_ptrItEEEESE_PS5_SF_jNS0_19identity_decomposerENS1_16block_id_wrapperIjLb0EEEEE10hipError_tT1_PNSt15iterator_traitsISK_E10value_typeET2_T3_PNSL_ISQ_E10value_typeET4_T5_PSV_SW_PNS1_23onesweep_lookback_stateEbbT6_jjT7_P12ihipStream_tbENKUlT_T0_SK_SP_E_clIPtSE_SF_SF_EEDaS13_S14_SK_SP_EUlS13_E_NS1_11comp_targetILNS1_3genE5ELNS1_11target_archE942ELNS1_3gpuE9ELNS1_3repE0EEENS1_47radix_sort_onesweep_sort_config_static_selectorELNS0_4arch9wavefront6targetE1EEEvSK_ ; -- Begin function _ZN7rocprim17ROCPRIM_400000_NS6detail17trampoline_kernelINS0_14default_configENS1_35radix_sort_onesweep_config_selectorItNS0_10empty_typeEEEZZNS1_29radix_sort_onesweep_iterationIS3_Lb0EN6thrust23THRUST_200600_302600_NS6detail15normal_iteratorINS9_10device_ptrItEEEESE_PS5_SF_jNS0_19identity_decomposerENS1_16block_id_wrapperIjLb0EEEEE10hipError_tT1_PNSt15iterator_traitsISK_E10value_typeET2_T3_PNSL_ISQ_E10value_typeET4_T5_PSV_SW_PNS1_23onesweep_lookback_stateEbbT6_jjT7_P12ihipStream_tbENKUlT_T0_SK_SP_E_clIPtSE_SF_SF_EEDaS13_S14_SK_SP_EUlS13_E_NS1_11comp_targetILNS1_3genE5ELNS1_11target_archE942ELNS1_3gpuE9ELNS1_3repE0EEENS1_47radix_sort_onesweep_sort_config_static_selectorELNS0_4arch9wavefront6targetE1EEEvSK_
	.globl	_ZN7rocprim17ROCPRIM_400000_NS6detail17trampoline_kernelINS0_14default_configENS1_35radix_sort_onesweep_config_selectorItNS0_10empty_typeEEEZZNS1_29radix_sort_onesweep_iterationIS3_Lb0EN6thrust23THRUST_200600_302600_NS6detail15normal_iteratorINS9_10device_ptrItEEEESE_PS5_SF_jNS0_19identity_decomposerENS1_16block_id_wrapperIjLb0EEEEE10hipError_tT1_PNSt15iterator_traitsISK_E10value_typeET2_T3_PNSL_ISQ_E10value_typeET4_T5_PSV_SW_PNS1_23onesweep_lookback_stateEbbT6_jjT7_P12ihipStream_tbENKUlT_T0_SK_SP_E_clIPtSE_SF_SF_EEDaS13_S14_SK_SP_EUlS13_E_NS1_11comp_targetILNS1_3genE5ELNS1_11target_archE942ELNS1_3gpuE9ELNS1_3repE0EEENS1_47radix_sort_onesweep_sort_config_static_selectorELNS0_4arch9wavefront6targetE1EEEvSK_
	.p2align	8
	.type	_ZN7rocprim17ROCPRIM_400000_NS6detail17trampoline_kernelINS0_14default_configENS1_35radix_sort_onesweep_config_selectorItNS0_10empty_typeEEEZZNS1_29radix_sort_onesweep_iterationIS3_Lb0EN6thrust23THRUST_200600_302600_NS6detail15normal_iteratorINS9_10device_ptrItEEEESE_PS5_SF_jNS0_19identity_decomposerENS1_16block_id_wrapperIjLb0EEEEE10hipError_tT1_PNSt15iterator_traitsISK_E10value_typeET2_T3_PNSL_ISQ_E10value_typeET4_T5_PSV_SW_PNS1_23onesweep_lookback_stateEbbT6_jjT7_P12ihipStream_tbENKUlT_T0_SK_SP_E_clIPtSE_SF_SF_EEDaS13_S14_SK_SP_EUlS13_E_NS1_11comp_targetILNS1_3genE5ELNS1_11target_archE942ELNS1_3gpuE9ELNS1_3repE0EEENS1_47radix_sort_onesweep_sort_config_static_selectorELNS0_4arch9wavefront6targetE1EEEvSK_,@function
_ZN7rocprim17ROCPRIM_400000_NS6detail17trampoline_kernelINS0_14default_configENS1_35radix_sort_onesweep_config_selectorItNS0_10empty_typeEEEZZNS1_29radix_sort_onesweep_iterationIS3_Lb0EN6thrust23THRUST_200600_302600_NS6detail15normal_iteratorINS9_10device_ptrItEEEESE_PS5_SF_jNS0_19identity_decomposerENS1_16block_id_wrapperIjLb0EEEEE10hipError_tT1_PNSt15iterator_traitsISK_E10value_typeET2_T3_PNSL_ISQ_E10value_typeET4_T5_PSV_SW_PNS1_23onesweep_lookback_stateEbbT6_jjT7_P12ihipStream_tbENKUlT_T0_SK_SP_E_clIPtSE_SF_SF_EEDaS13_S14_SK_SP_EUlS13_E_NS1_11comp_targetILNS1_3genE5ELNS1_11target_archE942ELNS1_3gpuE9ELNS1_3repE0EEENS1_47radix_sort_onesweep_sort_config_static_selectorELNS0_4arch9wavefront6targetE1EEEvSK_: ; @_ZN7rocprim17ROCPRIM_400000_NS6detail17trampoline_kernelINS0_14default_configENS1_35radix_sort_onesweep_config_selectorItNS0_10empty_typeEEEZZNS1_29radix_sort_onesweep_iterationIS3_Lb0EN6thrust23THRUST_200600_302600_NS6detail15normal_iteratorINS9_10device_ptrItEEEESE_PS5_SF_jNS0_19identity_decomposerENS1_16block_id_wrapperIjLb0EEEEE10hipError_tT1_PNSt15iterator_traitsISK_E10value_typeET2_T3_PNSL_ISQ_E10value_typeET4_T5_PSV_SW_PNS1_23onesweep_lookback_stateEbbT6_jjT7_P12ihipStream_tbENKUlT_T0_SK_SP_E_clIPtSE_SF_SF_EEDaS13_S14_SK_SP_EUlS13_E_NS1_11comp_targetILNS1_3genE5ELNS1_11target_archE942ELNS1_3gpuE9ELNS1_3repE0EEENS1_47radix_sort_onesweep_sort_config_static_selectorELNS0_4arch9wavefront6targetE1EEEvSK_
; %bb.0:
	s_load_dwordx4 s[24:27], s[0:1], 0x44
	s_load_dwordx2 s[28:29], s[0:1], 0x38
	s_load_dwordx4 s[20:23], s[0:1], 0x0
	s_load_dwordx4 s[16:19], s[0:1], 0x28
	s_mul_i32 s30, s2, 0x3000
	s_waitcnt lgkmcnt(0)
	s_cmp_ge_u32 s2, s26
	v_mbcnt_lo_u32_b32 v1, -1, 0
	s_cbranch_scc0 .LBB1385_96
; %bb.1:
	s_load_dword s3, s[0:1], 0x20
	s_mul_i32 s6, s26, 0xffffd000
	s_mov_b32 s31, 0
	v_and_b32_e32 v2, 0x3ff, v0
	s_lshl_b64 s[4:5], s[30:31], 1
	s_waitcnt lgkmcnt(0)
	s_add_i32 s3, s3, s6
	v_mbcnt_hi_u32_b32 v13, -1, v1
	s_add_u32 s4, s20, s4
	v_and_b32_e32 v3, 63, v13
	v_and_b32_e32 v4, 0x3c0, v2
	s_addc_u32 s5, s21, s5
	v_mul_u32_u24_e32 v8, 12, v4
	v_lshlrev_b32_e32 v4, 1, v3
	v_mov_b32_e32 v5, 0
	v_lshl_add_u64 v[6:7], s[4:5], 0, v[4:5]
	v_lshlrev_b32_e32 v4, 1, v8
	v_lshl_add_u64 v[4:5], v[6:7], 0, v[4:5]
	v_or_b32_e32 v6, v3, v8
	v_cmp_gt_u32_e32 vcc, s3, v6
	v_mov_b32_e32 v3, -1
	v_mov_b32_e32 v8, -1
	s_and_saveexec_b64 s[4:5], vcc
	s_cbranch_execz .LBB1385_3
; %bb.2:
	global_load_ushort v8, v[4:5], off
.LBB1385_3:
	s_or_b64 exec, exec, s[4:5]
	v_or_b32_e32 v7, 64, v6
	v_cmp_gt_u32_e32 vcc, s3, v7
	s_and_saveexec_b64 s[4:5], vcc
	s_cbranch_execz .LBB1385_5
; %bb.4:
	global_load_ushort v3, v[4:5], off offset:128
.LBB1385_5:
	s_or_b64 exec, exec, s[4:5]
	v_or_b32_e32 v7, 0x80, v6
	v_cmp_gt_u32_e32 vcc, s3, v7
	v_mov_b32_e32 v9, -1
	v_mov_b32_e32 v10, -1
	s_and_saveexec_b64 s[4:5], vcc
	s_cbranch_execz .LBB1385_7
; %bb.6:
	global_load_ushort v10, v[4:5], off offset:256
.LBB1385_7:
	s_or_b64 exec, exec, s[4:5]
	v_or_b32_e32 v7, 0xc0, v6
	v_cmp_gt_u32_e32 vcc, s3, v7
	s_and_saveexec_b64 s[4:5], vcc
	s_cbranch_execz .LBB1385_9
; %bb.8:
	global_load_ushort v9, v[4:5], off offset:384
.LBB1385_9:
	s_or_b64 exec, exec, s[4:5]
	v_add_u32_e32 v7, 0x100, v6
	v_cmp_gt_u32_e32 vcc, s3, v7
	v_mov_b32_e32 v11, -1
	v_mov_b32_e32 v12, -1
	s_and_saveexec_b64 s[4:5], vcc
	s_cbranch_execz .LBB1385_11
; %bb.10:
	global_load_ushort v12, v[4:5], off offset:512
.LBB1385_11:
	s_or_b64 exec, exec, s[4:5]
	v_add_u32_e32 v7, 0x140, v6
	v_cmp_gt_u32_e32 vcc, s3, v7
	s_and_saveexec_b64 s[4:5], vcc
	s_cbranch_execz .LBB1385_13
; %bb.12:
	global_load_ushort v11, v[4:5], off offset:640
.LBB1385_13:
	s_or_b64 exec, exec, s[4:5]
	v_add_u32_e32 v7, 0x180, v6
	v_cmp_gt_u32_e32 vcc, s3, v7
	v_mov_b32_e32 v14, -1
	v_mov_b32_e32 v15, -1
	s_and_saveexec_b64 s[4:5], vcc
	s_cbranch_execz .LBB1385_15
; %bb.14:
	global_load_ushort v15, v[4:5], off offset:768
.LBB1385_15:
	s_or_b64 exec, exec, s[4:5]
	v_add_u32_e32 v7, 0x1c0, v6
	;; [unrolled: 18-line block ×4, first 2 shown]
	v_cmp_gt_u32_e32 vcc, s3, v6
	s_and_saveexec_b64 s[4:5], vcc
	s_cbranch_execz .LBB1385_25
; %bb.24:
	global_load_ushort v18, v[4:5], off offset:1408
.LBB1385_25:
	s_or_b64 exec, exec, s[4:5]
	s_load_dword s4, s[0:1], 0x64
	s_load_dword s26, s[0:1], 0x58
	s_add_u32 s5, s0, 0x58
	s_addc_u32 s6, s1, 0
	v_mov_b32_e32 v5, 0
	s_waitcnt lgkmcnt(0)
	s_lshr_b32 s7, s4, 16
	s_cmp_lt_u32 s2, s26
	s_cselect_b32 s4, 12, 18
	s_add_u32 s4, s5, s4
	s_addc_u32 s5, s6, 0
	global_load_ushort v21, v5, s[4:5]
	s_lshl_b32 s4, -1, s25
	s_waitcnt vmcnt(1)
	v_lshrrev_b32_sdwa v23, s24, v8 dst_sel:DWORD dst_unused:UNUSED_PAD src0_sel:DWORD src1_sel:WORD_0
	s_not_b32 s27, s4
	v_bfe_u32 v4, v0, 10, 10
	v_bfe_u32 v7, v0, 20, 10
	v_and_b32_e32 v33, s27, v23
	v_mul_u32_u24_e32 v6, 5, v2
	v_mad_u32_u24 v32, v7, s7, v4
	v_and_b32_e32 v4, 1, v33
	v_lshlrev_b32_e32 v7, 30, v33
	v_lshlrev_b32_e32 v20, 2, v6
	v_mov_b32_e32 v6, v5
	v_mov_b32_e32 v24, v5
	v_lshlrev_b32_e32 v23, 29, v33
	v_lshlrev_b32_e32 v25, 28, v33
	v_lshl_add_u64 v[34:35], v[4:5], 0, -1
	v_cmp_ne_u32_e32 vcc, 0, v4
	v_not_b32_e32 v4, v7
	v_mov_b32_e32 v22, v5
	v_mov_b32_e32 v26, v5
	v_lshlrev_b32_e32 v27, 27, v33
	v_cmp_gt_i64_e64 s[4:5], 0, v[6:7]
	v_not_b32_e32 v6, v23
	v_cmp_gt_i64_e64 s[8:9], 0, v[24:25]
	v_not_b32_e32 v7, v25
	v_xor_b32_e32 v25, vcc_hi, v35
	v_ashrrev_i32_e32 v4, 31, v4
	v_mov_b32_e32 v28, v5
	v_lshlrev_b32_e32 v29, 26, v33
	v_cmp_gt_i64_e64 s[6:7], 0, v[22:23]
	v_cmp_gt_i64_e64 s[10:11], 0, v[26:27]
	v_not_b32_e32 v22, v27
	v_xor_b32_e32 v26, vcc_lo, v34
	v_ashrrev_i32_e32 v6, 31, v6
	v_and_b32_e32 v25, exec_hi, v25
	v_xor_b32_e32 v27, s5, v4
	v_cmp_gt_i64_e64 s[12:13], 0, v[28:29]
	v_ashrrev_i32_e32 v7, 31, v7
	v_and_b32_e32 v26, exec_lo, v26
	v_xor_b32_e32 v4, s4, v4
	v_xor_b32_e32 v28, s7, v6
	v_and_b32_e32 v25, v25, v27
	v_mov_b32_e32 v30, v5
	v_lshlrev_b32_e32 v31, 25, v33
	v_not_b32_e32 v23, v29
	v_ashrrev_i32_e32 v22, 31, v22
	v_xor_b32_e32 v6, s6, v6
	v_xor_b32_e32 v29, s9, v7
	v_and_b32_e32 v4, v26, v4
	v_and_b32_e32 v25, v25, v28
	v_cmp_gt_i64_e64 s[14:15], 0, v[30:31]
	v_not_b32_e32 v24, v31
	v_ashrrev_i32_e32 v23, 31, v23
	v_xor_b32_e32 v30, s11, v22
	v_and_b32_e32 v4, v4, v6
	v_and_b32_e32 v6, v25, v29
	v_ashrrev_i32_e32 v24, 31, v24
	v_xor_b32_e32 v7, s8, v7
	v_xor_b32_e32 v31, s13, v23
	v_and_b32_e32 v6, v6, v30
	v_xor_b32_e32 v22, s10, v22
	v_xor_b32_e32 v34, s15, v24
	v_and_b32_e32 v4, v4, v7
	v_and_b32_e32 v6, v6, v31
	v_mul_u32_u24_e32 v36, 17, v33
	v_lshlrev_b32_e32 v33, 24, v33
	v_and_b32_e32 v4, v4, v22
	v_and_b32_e32 v22, v6, v34
	v_xor_b32_e32 v23, s12, v23
	v_xor_b32_e32 v24, s14, v24
	v_and_b32_e32 v4, v4, v23
	v_and_b32_e32 v4, v4, v24
	ds_write2_b32 v20, v5, v5 offset0:16 offset1:17
	ds_write2_b32 v20, v5, v5 offset0:18 offset1:19
	ds_write_b32 v20, v5 offset:80
	s_waitcnt lgkmcnt(0)
	s_barrier
	s_waitcnt lgkmcnt(0)
	; wave barrier
	s_waitcnt vmcnt(0)
	v_mad_u64_u32 v[6:7], s[4:5], v32, v21, v[2:3]
	v_lshrrev_b32_e32 v30, 6, v6
	v_mov_b32_e32 v32, v5
	v_not_b32_e32 v6, v33
	v_cmp_gt_i64_e32 vcc, 0, v[32:33]
	v_ashrrev_i32_e32 v6, 31, v6
	v_add_lshl_u32 v23, v30, v36, 2
	v_xor_b32_e32 v7, vcc_hi, v6
	v_xor_b32_e32 v6, vcc_lo, v6
	v_and_b32_e32 v6, v4, v6
	v_and_b32_e32 v7, v22, v7
	v_mbcnt_lo_u32_b32 v4, v6, 0
	v_mbcnt_hi_u32_b32 v21, v7, v4
	v_cmp_eq_u32_e32 vcc, 0, v21
	v_cmp_ne_u64_e64 s[4:5], 0, v[6:7]
	s_and_b64 s[6:7], s[4:5], vcc
	s_and_saveexec_b64 s[4:5], s[6:7]
	s_cbranch_execz .LBB1385_27
; %bb.26:
	v_bcnt_u32_b32 v4, v6, 0
	v_bcnt_u32_b32 v4, v7, v4
	ds_write_b32 v23, v4 offset:64
.LBB1385_27:
	s_or_b64 exec, exec, s[4:5]
	v_lshrrev_b32_sdwa v4, s24, v3 dst_sel:DWORD dst_unused:UNUSED_PAD src0_sel:DWORD src1_sel:WORD_0
	v_and_b32_e32 v25, s27, v4
	v_mul_u32_u24_e32 v4, 17, v25
	v_add_lshl_u32 v24, v30, v4, 2
	v_and_b32_e32 v4, 1, v25
	v_lshl_add_u64 v[6:7], v[4:5], 0, -1
	v_cmp_ne_u32_e32 vcc, 0, v4
	; wave barrier
	s_nop 1
	v_xor_b32_e32 v6, vcc_lo, v6
	v_xor_b32_e32 v4, vcc_hi, v7
	v_and_b32_e32 v26, exec_lo, v6
	v_lshlrev_b32_e32 v7, 30, v25
	v_mov_b32_e32 v6, v5
	v_cmp_gt_i64_e32 vcc, 0, v[6:7]
	v_not_b32_e32 v6, v7
	v_ashrrev_i32_e32 v6, 31, v6
	v_and_b32_e32 v4, exec_hi, v4
	v_xor_b32_e32 v7, vcc_hi, v6
	v_xor_b32_e32 v6, vcc_lo, v6
	v_and_b32_e32 v4, v4, v7
	v_and_b32_e32 v26, v26, v6
	v_lshlrev_b32_e32 v7, 29, v25
	v_mov_b32_e32 v6, v5
	v_cmp_gt_i64_e32 vcc, 0, v[6:7]
	v_not_b32_e32 v6, v7
	v_ashrrev_i32_e32 v6, 31, v6
	v_xor_b32_e32 v7, vcc_hi, v6
	v_xor_b32_e32 v6, vcc_lo, v6
	v_and_b32_e32 v4, v4, v7
	v_and_b32_e32 v26, v26, v6
	v_lshlrev_b32_e32 v7, 28, v25
	v_mov_b32_e32 v6, v5
	v_cmp_gt_i64_e32 vcc, 0, v[6:7]
	v_not_b32_e32 v6, v7
	v_ashrrev_i32_e32 v6, 31, v6
	v_xor_b32_e32 v7, vcc_hi, v6
	v_xor_b32_e32 v6, vcc_lo, v6
	v_and_b32_e32 v4, v4, v7
	v_and_b32_e32 v26, v26, v6
	v_lshlrev_b32_e32 v7, 27, v25
	v_mov_b32_e32 v6, v5
	v_cmp_gt_i64_e32 vcc, 0, v[6:7]
	v_not_b32_e32 v6, v7
	v_ashrrev_i32_e32 v6, 31, v6
	v_xor_b32_e32 v7, vcc_hi, v6
	v_xor_b32_e32 v6, vcc_lo, v6
	v_and_b32_e32 v4, v4, v7
	v_and_b32_e32 v26, v26, v6
	v_lshlrev_b32_e32 v7, 26, v25
	v_mov_b32_e32 v6, v5
	v_cmp_gt_i64_e32 vcc, 0, v[6:7]
	v_not_b32_e32 v6, v7
	v_ashrrev_i32_e32 v6, 31, v6
	v_xor_b32_e32 v7, vcc_hi, v6
	v_xor_b32_e32 v6, vcc_lo, v6
	v_and_b32_e32 v4, v4, v7
	v_and_b32_e32 v26, v26, v6
	v_lshlrev_b32_e32 v7, 25, v25
	v_mov_b32_e32 v6, v5
	v_cmp_gt_i64_e32 vcc, 0, v[6:7]
	v_not_b32_e32 v6, v7
	v_ashrrev_i32_e32 v6, 31, v6
	v_xor_b32_e32 v7, vcc_hi, v6
	v_xor_b32_e32 v6, vcc_lo, v6
	v_and_b32_e32 v4, v4, v7
	v_lshlrev_b32_e32 v7, 24, v25
	v_and_b32_e32 v26, v26, v6
	v_mov_b32_e32 v6, v5
	v_not_b32_e32 v5, v7
	v_cmp_gt_i64_e32 vcc, 0, v[6:7]
	v_ashrrev_i32_e32 v5, 31, v5
	ds_read_b32 v22, v24 offset:64
	v_xor_b32_e32 v6, vcc_hi, v5
	v_xor_b32_e32 v7, vcc_lo, v5
	v_and_b32_e32 v5, v4, v6
	v_and_b32_e32 v4, v26, v7
	v_mbcnt_lo_u32_b32 v6, v4, 0
	v_mbcnt_hi_u32_b32 v25, v5, v6
	v_cmp_eq_u32_e32 vcc, 0, v25
	v_cmp_ne_u64_e64 s[4:5], 0, v[4:5]
	s_and_b64 s[6:7], s[4:5], vcc
	; wave barrier
	s_and_saveexec_b64 s[4:5], s[6:7]
	s_cbranch_execz .LBB1385_29
; %bb.28:
	v_bcnt_u32_b32 v4, v4, 0
	v_bcnt_u32_b32 v4, v5, v4
	s_waitcnt lgkmcnt(0)
	v_add_u32_e32 v4, v22, v4
	ds_write_b32 v24, v4 offset:64
.LBB1385_29:
	s_or_b64 exec, exec, s[4:5]
	v_lshrrev_b32_sdwa v4, s24, v10 dst_sel:DWORD dst_unused:UNUSED_PAD src0_sel:DWORD src1_sel:WORD_0
	v_and_b32_e32 v28, s27, v4
	v_mul_u32_u24_e32 v4, 17, v28
	v_add_lshl_u32 v27, v30, v4, 2
	v_and_b32_e32 v4, 1, v28
	v_mov_b32_e32 v5, 0
	v_lshl_add_u64 v[6:7], v[4:5], 0, -1
	v_cmp_ne_u32_e32 vcc, 0, v4
	; wave barrier
	s_nop 1
	v_xor_b32_e32 v6, vcc_lo, v6
	v_xor_b32_e32 v4, vcc_hi, v7
	v_and_b32_e32 v29, exec_lo, v6
	v_lshlrev_b32_e32 v7, 30, v28
	v_mov_b32_e32 v6, v5
	v_cmp_gt_i64_e32 vcc, 0, v[6:7]
	v_not_b32_e32 v6, v7
	v_ashrrev_i32_e32 v6, 31, v6
	v_and_b32_e32 v4, exec_hi, v4
	v_xor_b32_e32 v7, vcc_hi, v6
	v_xor_b32_e32 v6, vcc_lo, v6
	v_and_b32_e32 v4, v4, v7
	v_and_b32_e32 v29, v29, v6
	v_lshlrev_b32_e32 v7, 29, v28
	v_mov_b32_e32 v6, v5
	v_cmp_gt_i64_e32 vcc, 0, v[6:7]
	v_not_b32_e32 v6, v7
	v_ashrrev_i32_e32 v6, 31, v6
	v_xor_b32_e32 v7, vcc_hi, v6
	v_xor_b32_e32 v6, vcc_lo, v6
	v_and_b32_e32 v4, v4, v7
	v_and_b32_e32 v29, v29, v6
	v_lshlrev_b32_e32 v7, 28, v28
	v_mov_b32_e32 v6, v5
	v_cmp_gt_i64_e32 vcc, 0, v[6:7]
	v_not_b32_e32 v6, v7
	v_ashrrev_i32_e32 v6, 31, v6
	;; [unrolled: 9-line block ×6, first 2 shown]
	v_xor_b32_e32 v7, vcc_hi, v6
	v_xor_b32_e32 v6, vcc_lo, v6
	ds_read_b32 v26, v27 offset:64
	v_and_b32_e32 v6, v29, v6
	v_and_b32_e32 v7, v4, v7
	v_mbcnt_lo_u32_b32 v4, v6, 0
	v_mbcnt_hi_u32_b32 v28, v7, v4
	v_cmp_eq_u32_e32 vcc, 0, v28
	v_cmp_ne_u64_e64 s[4:5], 0, v[6:7]
	s_and_b64 s[6:7], s[4:5], vcc
	; wave barrier
	s_and_saveexec_b64 s[4:5], s[6:7]
	s_cbranch_execz .LBB1385_31
; %bb.30:
	v_bcnt_u32_b32 v4, v6, 0
	v_bcnt_u32_b32 v4, v7, v4
	s_waitcnt lgkmcnt(0)
	v_add_u32_e32 v4, v26, v4
	ds_write_b32 v27, v4 offset:64
.LBB1385_31:
	s_or_b64 exec, exec, s[4:5]
	v_lshrrev_b32_sdwa v4, s24, v9 dst_sel:DWORD dst_unused:UNUSED_PAD src0_sel:DWORD src1_sel:WORD_0
	v_and_b32_e32 v32, s27, v4
	v_mul_u32_u24_e32 v4, 17, v32
	v_add_lshl_u32 v31, v30, v4, 2
	v_and_b32_e32 v4, 1, v32
	v_lshl_add_u64 v[6:7], v[4:5], 0, -1
	v_cmp_ne_u32_e32 vcc, 0, v4
	; wave barrier
	s_nop 1
	v_xor_b32_e32 v6, vcc_lo, v6
	v_xor_b32_e32 v4, vcc_hi, v7
	v_and_b32_e32 v33, exec_lo, v6
	v_lshlrev_b32_e32 v7, 30, v32
	v_mov_b32_e32 v6, v5
	v_cmp_gt_i64_e32 vcc, 0, v[6:7]
	v_not_b32_e32 v6, v7
	v_ashrrev_i32_e32 v6, 31, v6
	v_and_b32_e32 v4, exec_hi, v4
	v_xor_b32_e32 v7, vcc_hi, v6
	v_xor_b32_e32 v6, vcc_lo, v6
	v_and_b32_e32 v4, v4, v7
	v_and_b32_e32 v33, v33, v6
	v_lshlrev_b32_e32 v7, 29, v32
	v_mov_b32_e32 v6, v5
	v_cmp_gt_i64_e32 vcc, 0, v[6:7]
	v_not_b32_e32 v6, v7
	v_ashrrev_i32_e32 v6, 31, v6
	v_xor_b32_e32 v7, vcc_hi, v6
	v_xor_b32_e32 v6, vcc_lo, v6
	v_and_b32_e32 v4, v4, v7
	v_and_b32_e32 v33, v33, v6
	v_lshlrev_b32_e32 v7, 28, v32
	v_mov_b32_e32 v6, v5
	v_cmp_gt_i64_e32 vcc, 0, v[6:7]
	v_not_b32_e32 v6, v7
	v_ashrrev_i32_e32 v6, 31, v6
	;; [unrolled: 9-line block ×5, first 2 shown]
	v_xor_b32_e32 v7, vcc_hi, v6
	v_xor_b32_e32 v6, vcc_lo, v6
	v_and_b32_e32 v4, v4, v7
	v_lshlrev_b32_e32 v7, 24, v32
	v_and_b32_e32 v33, v33, v6
	v_mov_b32_e32 v6, v5
	v_not_b32_e32 v5, v7
	v_cmp_gt_i64_e32 vcc, 0, v[6:7]
	v_ashrrev_i32_e32 v5, 31, v5
	ds_read_b32 v29, v31 offset:64
	v_xor_b32_e32 v6, vcc_hi, v5
	v_xor_b32_e32 v7, vcc_lo, v5
	v_and_b32_e32 v5, v4, v6
	v_and_b32_e32 v4, v33, v7
	v_mbcnt_lo_u32_b32 v6, v4, 0
	v_mbcnt_hi_u32_b32 v32, v5, v6
	v_cmp_eq_u32_e32 vcc, 0, v32
	v_cmp_ne_u64_e64 s[4:5], 0, v[4:5]
	s_and_b64 s[6:7], s[4:5], vcc
	; wave barrier
	s_and_saveexec_b64 s[4:5], s[6:7]
	s_cbranch_execz .LBB1385_33
; %bb.32:
	v_bcnt_u32_b32 v4, v4, 0
	v_bcnt_u32_b32 v4, v5, v4
	s_waitcnt lgkmcnt(0)
	v_add_u32_e32 v4, v29, v4
	ds_write_b32 v31, v4 offset:64
.LBB1385_33:
	s_or_b64 exec, exec, s[4:5]
	v_lshrrev_b32_sdwa v4, s24, v12 dst_sel:DWORD dst_unused:UNUSED_PAD src0_sel:DWORD src1_sel:WORD_0
	v_and_b32_e32 v35, s27, v4
	v_mul_u32_u24_e32 v4, 17, v35
	v_add_lshl_u32 v34, v30, v4, 2
	v_and_b32_e32 v4, 1, v35
	v_mov_b32_e32 v5, 0
	v_lshl_add_u64 v[6:7], v[4:5], 0, -1
	v_cmp_ne_u32_e32 vcc, 0, v4
	; wave barrier
	s_nop 1
	v_xor_b32_e32 v6, vcc_lo, v6
	v_xor_b32_e32 v4, vcc_hi, v7
	v_and_b32_e32 v36, exec_lo, v6
	v_lshlrev_b32_e32 v7, 30, v35
	v_mov_b32_e32 v6, v5
	v_cmp_gt_i64_e32 vcc, 0, v[6:7]
	v_not_b32_e32 v6, v7
	v_ashrrev_i32_e32 v6, 31, v6
	v_and_b32_e32 v4, exec_hi, v4
	v_xor_b32_e32 v7, vcc_hi, v6
	v_xor_b32_e32 v6, vcc_lo, v6
	v_and_b32_e32 v4, v4, v7
	v_and_b32_e32 v36, v36, v6
	v_lshlrev_b32_e32 v7, 29, v35
	v_mov_b32_e32 v6, v5
	v_cmp_gt_i64_e32 vcc, 0, v[6:7]
	v_not_b32_e32 v6, v7
	v_ashrrev_i32_e32 v6, 31, v6
	v_xor_b32_e32 v7, vcc_hi, v6
	v_xor_b32_e32 v6, vcc_lo, v6
	v_and_b32_e32 v4, v4, v7
	v_and_b32_e32 v36, v36, v6
	v_lshlrev_b32_e32 v7, 28, v35
	v_mov_b32_e32 v6, v5
	v_cmp_gt_i64_e32 vcc, 0, v[6:7]
	v_not_b32_e32 v6, v7
	v_ashrrev_i32_e32 v6, 31, v6
	;; [unrolled: 9-line block ×6, first 2 shown]
	v_xor_b32_e32 v7, vcc_hi, v6
	v_xor_b32_e32 v6, vcc_lo, v6
	ds_read_b32 v33, v34 offset:64
	v_and_b32_e32 v6, v36, v6
	v_and_b32_e32 v7, v4, v7
	v_mbcnt_lo_u32_b32 v4, v6, 0
	v_mbcnt_hi_u32_b32 v35, v7, v4
	v_cmp_eq_u32_e32 vcc, 0, v35
	v_cmp_ne_u64_e64 s[4:5], 0, v[6:7]
	s_and_b64 s[6:7], s[4:5], vcc
	; wave barrier
	s_and_saveexec_b64 s[4:5], s[6:7]
	s_cbranch_execz .LBB1385_35
; %bb.34:
	v_bcnt_u32_b32 v4, v6, 0
	v_bcnt_u32_b32 v4, v7, v4
	s_waitcnt lgkmcnt(0)
	v_add_u32_e32 v4, v33, v4
	ds_write_b32 v34, v4 offset:64
.LBB1385_35:
	s_or_b64 exec, exec, s[4:5]
	v_lshrrev_b32_sdwa v4, s24, v11 dst_sel:DWORD dst_unused:UNUSED_PAD src0_sel:DWORD src1_sel:WORD_0
	v_and_b32_e32 v38, s27, v4
	v_mul_u32_u24_e32 v4, 17, v38
	v_add_lshl_u32 v37, v30, v4, 2
	v_and_b32_e32 v4, 1, v38
	v_lshl_add_u64 v[6:7], v[4:5], 0, -1
	v_cmp_ne_u32_e32 vcc, 0, v4
	; wave barrier
	s_nop 1
	v_xor_b32_e32 v6, vcc_lo, v6
	v_xor_b32_e32 v4, vcc_hi, v7
	v_and_b32_e32 v39, exec_lo, v6
	v_lshlrev_b32_e32 v7, 30, v38
	v_mov_b32_e32 v6, v5
	v_cmp_gt_i64_e32 vcc, 0, v[6:7]
	v_not_b32_e32 v6, v7
	v_ashrrev_i32_e32 v6, 31, v6
	v_and_b32_e32 v4, exec_hi, v4
	v_xor_b32_e32 v7, vcc_hi, v6
	v_xor_b32_e32 v6, vcc_lo, v6
	v_and_b32_e32 v4, v4, v7
	v_and_b32_e32 v39, v39, v6
	v_lshlrev_b32_e32 v7, 29, v38
	v_mov_b32_e32 v6, v5
	v_cmp_gt_i64_e32 vcc, 0, v[6:7]
	v_not_b32_e32 v6, v7
	v_ashrrev_i32_e32 v6, 31, v6
	v_xor_b32_e32 v7, vcc_hi, v6
	v_xor_b32_e32 v6, vcc_lo, v6
	v_and_b32_e32 v4, v4, v7
	v_and_b32_e32 v39, v39, v6
	v_lshlrev_b32_e32 v7, 28, v38
	v_mov_b32_e32 v6, v5
	v_cmp_gt_i64_e32 vcc, 0, v[6:7]
	v_not_b32_e32 v6, v7
	v_ashrrev_i32_e32 v6, 31, v6
	;; [unrolled: 9-line block ×5, first 2 shown]
	v_xor_b32_e32 v7, vcc_hi, v6
	v_xor_b32_e32 v6, vcc_lo, v6
	v_and_b32_e32 v4, v4, v7
	v_lshlrev_b32_e32 v7, 24, v38
	v_and_b32_e32 v39, v39, v6
	v_mov_b32_e32 v6, v5
	v_not_b32_e32 v5, v7
	v_cmp_gt_i64_e32 vcc, 0, v[6:7]
	v_ashrrev_i32_e32 v5, 31, v5
	ds_read_b32 v36, v37 offset:64
	v_xor_b32_e32 v6, vcc_hi, v5
	v_xor_b32_e32 v7, vcc_lo, v5
	v_and_b32_e32 v5, v4, v6
	v_and_b32_e32 v4, v39, v7
	v_mbcnt_lo_u32_b32 v6, v4, 0
	v_mbcnt_hi_u32_b32 v38, v5, v6
	v_cmp_eq_u32_e32 vcc, 0, v38
	v_cmp_ne_u64_e64 s[4:5], 0, v[4:5]
	s_and_b64 s[6:7], s[4:5], vcc
	; wave barrier
	s_and_saveexec_b64 s[4:5], s[6:7]
	s_cbranch_execz .LBB1385_37
; %bb.36:
	v_bcnt_u32_b32 v4, v4, 0
	v_bcnt_u32_b32 v4, v5, v4
	s_waitcnt lgkmcnt(0)
	v_add_u32_e32 v4, v36, v4
	ds_write_b32 v37, v4 offset:64
.LBB1385_37:
	s_or_b64 exec, exec, s[4:5]
	v_lshrrev_b32_sdwa v4, s24, v15 dst_sel:DWORD dst_unused:UNUSED_PAD src0_sel:DWORD src1_sel:WORD_0
	v_and_b32_e32 v41, s27, v4
	v_mul_u32_u24_e32 v4, 17, v41
	v_add_lshl_u32 v40, v30, v4, 2
	v_and_b32_e32 v4, 1, v41
	v_mov_b32_e32 v5, 0
	v_lshl_add_u64 v[6:7], v[4:5], 0, -1
	v_cmp_ne_u32_e32 vcc, 0, v4
	; wave barrier
	s_nop 1
	v_xor_b32_e32 v6, vcc_lo, v6
	v_xor_b32_e32 v4, vcc_hi, v7
	v_and_b32_e32 v42, exec_lo, v6
	v_lshlrev_b32_e32 v7, 30, v41
	v_mov_b32_e32 v6, v5
	v_cmp_gt_i64_e32 vcc, 0, v[6:7]
	v_not_b32_e32 v6, v7
	v_ashrrev_i32_e32 v6, 31, v6
	v_and_b32_e32 v4, exec_hi, v4
	v_xor_b32_e32 v7, vcc_hi, v6
	v_xor_b32_e32 v6, vcc_lo, v6
	v_and_b32_e32 v4, v4, v7
	v_and_b32_e32 v42, v42, v6
	v_lshlrev_b32_e32 v7, 29, v41
	v_mov_b32_e32 v6, v5
	v_cmp_gt_i64_e32 vcc, 0, v[6:7]
	v_not_b32_e32 v6, v7
	v_ashrrev_i32_e32 v6, 31, v6
	v_xor_b32_e32 v7, vcc_hi, v6
	v_xor_b32_e32 v6, vcc_lo, v6
	v_and_b32_e32 v4, v4, v7
	v_and_b32_e32 v42, v42, v6
	v_lshlrev_b32_e32 v7, 28, v41
	v_mov_b32_e32 v6, v5
	v_cmp_gt_i64_e32 vcc, 0, v[6:7]
	v_not_b32_e32 v6, v7
	v_ashrrev_i32_e32 v6, 31, v6
	;; [unrolled: 9-line block ×6, first 2 shown]
	v_xor_b32_e32 v7, vcc_hi, v6
	v_xor_b32_e32 v6, vcc_lo, v6
	ds_read_b32 v39, v40 offset:64
	v_and_b32_e32 v6, v42, v6
	v_and_b32_e32 v7, v4, v7
	v_mbcnt_lo_u32_b32 v4, v6, 0
	v_mbcnt_hi_u32_b32 v41, v7, v4
	v_cmp_eq_u32_e32 vcc, 0, v41
	v_cmp_ne_u64_e64 s[4:5], 0, v[6:7]
	s_and_b64 s[6:7], s[4:5], vcc
	; wave barrier
	s_and_saveexec_b64 s[4:5], s[6:7]
	s_cbranch_execz .LBB1385_39
; %bb.38:
	v_bcnt_u32_b32 v4, v6, 0
	v_bcnt_u32_b32 v4, v7, v4
	s_waitcnt lgkmcnt(0)
	v_add_u32_e32 v4, v39, v4
	ds_write_b32 v40, v4 offset:64
.LBB1385_39:
	s_or_b64 exec, exec, s[4:5]
	v_lshrrev_b32_sdwa v4, s24, v14 dst_sel:DWORD dst_unused:UNUSED_PAD src0_sel:DWORD src1_sel:WORD_0
	v_and_b32_e32 v44, s27, v4
	v_mul_u32_u24_e32 v4, 17, v44
	v_add_lshl_u32 v43, v30, v4, 2
	v_and_b32_e32 v4, 1, v44
	v_lshl_add_u64 v[6:7], v[4:5], 0, -1
	v_cmp_ne_u32_e32 vcc, 0, v4
	; wave barrier
	s_nop 1
	v_xor_b32_e32 v6, vcc_lo, v6
	v_xor_b32_e32 v4, vcc_hi, v7
	v_and_b32_e32 v45, exec_lo, v6
	v_lshlrev_b32_e32 v7, 30, v44
	v_mov_b32_e32 v6, v5
	v_cmp_gt_i64_e32 vcc, 0, v[6:7]
	v_not_b32_e32 v6, v7
	v_ashrrev_i32_e32 v6, 31, v6
	v_and_b32_e32 v4, exec_hi, v4
	v_xor_b32_e32 v7, vcc_hi, v6
	v_xor_b32_e32 v6, vcc_lo, v6
	v_and_b32_e32 v4, v4, v7
	v_and_b32_e32 v45, v45, v6
	v_lshlrev_b32_e32 v7, 29, v44
	v_mov_b32_e32 v6, v5
	v_cmp_gt_i64_e32 vcc, 0, v[6:7]
	v_not_b32_e32 v6, v7
	v_ashrrev_i32_e32 v6, 31, v6
	v_xor_b32_e32 v7, vcc_hi, v6
	v_xor_b32_e32 v6, vcc_lo, v6
	v_and_b32_e32 v4, v4, v7
	v_and_b32_e32 v45, v45, v6
	v_lshlrev_b32_e32 v7, 28, v44
	v_mov_b32_e32 v6, v5
	v_cmp_gt_i64_e32 vcc, 0, v[6:7]
	v_not_b32_e32 v6, v7
	v_ashrrev_i32_e32 v6, 31, v6
	;; [unrolled: 9-line block ×5, first 2 shown]
	v_xor_b32_e32 v7, vcc_hi, v6
	v_xor_b32_e32 v6, vcc_lo, v6
	v_and_b32_e32 v4, v4, v7
	v_lshlrev_b32_e32 v7, 24, v44
	v_and_b32_e32 v45, v45, v6
	v_mov_b32_e32 v6, v5
	v_not_b32_e32 v5, v7
	v_cmp_gt_i64_e32 vcc, 0, v[6:7]
	v_ashrrev_i32_e32 v5, 31, v5
	ds_read_b32 v42, v43 offset:64
	v_xor_b32_e32 v6, vcc_hi, v5
	v_xor_b32_e32 v7, vcc_lo, v5
	v_and_b32_e32 v5, v4, v6
	v_and_b32_e32 v4, v45, v7
	v_mbcnt_lo_u32_b32 v6, v4, 0
	v_mbcnt_hi_u32_b32 v44, v5, v6
	v_cmp_eq_u32_e32 vcc, 0, v44
	v_cmp_ne_u64_e64 s[4:5], 0, v[4:5]
	s_and_b64 s[6:7], s[4:5], vcc
	; wave barrier
	s_and_saveexec_b64 s[4:5], s[6:7]
	s_cbranch_execz .LBB1385_41
; %bb.40:
	v_bcnt_u32_b32 v4, v4, 0
	v_bcnt_u32_b32 v4, v5, v4
	s_waitcnt lgkmcnt(0)
	v_add_u32_e32 v4, v42, v4
	ds_write_b32 v43, v4 offset:64
.LBB1385_41:
	s_or_b64 exec, exec, s[4:5]
	v_lshrrev_b32_sdwa v4, s24, v17 dst_sel:DWORD dst_unused:UNUSED_PAD src0_sel:DWORD src1_sel:WORD_0
	v_and_b32_e32 v47, s27, v4
	v_mul_u32_u24_e32 v4, 17, v47
	v_add_lshl_u32 v46, v30, v4, 2
	v_and_b32_e32 v4, 1, v47
	v_mov_b32_e32 v5, 0
	v_lshl_add_u64 v[6:7], v[4:5], 0, -1
	v_cmp_ne_u32_e32 vcc, 0, v4
	; wave barrier
	s_nop 1
	v_xor_b32_e32 v6, vcc_lo, v6
	v_xor_b32_e32 v4, vcc_hi, v7
	v_and_b32_e32 v48, exec_lo, v6
	v_lshlrev_b32_e32 v7, 30, v47
	v_mov_b32_e32 v6, v5
	v_cmp_gt_i64_e32 vcc, 0, v[6:7]
	v_not_b32_e32 v6, v7
	v_ashrrev_i32_e32 v6, 31, v6
	v_and_b32_e32 v4, exec_hi, v4
	v_xor_b32_e32 v7, vcc_hi, v6
	v_xor_b32_e32 v6, vcc_lo, v6
	v_and_b32_e32 v4, v4, v7
	v_and_b32_e32 v48, v48, v6
	v_lshlrev_b32_e32 v7, 29, v47
	v_mov_b32_e32 v6, v5
	v_cmp_gt_i64_e32 vcc, 0, v[6:7]
	v_not_b32_e32 v6, v7
	v_ashrrev_i32_e32 v6, 31, v6
	v_xor_b32_e32 v7, vcc_hi, v6
	v_xor_b32_e32 v6, vcc_lo, v6
	v_and_b32_e32 v4, v4, v7
	v_and_b32_e32 v48, v48, v6
	v_lshlrev_b32_e32 v7, 28, v47
	v_mov_b32_e32 v6, v5
	v_cmp_gt_i64_e32 vcc, 0, v[6:7]
	v_not_b32_e32 v6, v7
	v_ashrrev_i32_e32 v6, 31, v6
	;; [unrolled: 9-line block ×6, first 2 shown]
	v_xor_b32_e32 v7, vcc_hi, v6
	v_xor_b32_e32 v6, vcc_lo, v6
	ds_read_b32 v45, v46 offset:64
	v_and_b32_e32 v6, v48, v6
	v_and_b32_e32 v7, v4, v7
	v_mbcnt_lo_u32_b32 v4, v6, 0
	v_mbcnt_hi_u32_b32 v47, v7, v4
	v_cmp_eq_u32_e32 vcc, 0, v47
	v_cmp_ne_u64_e64 s[4:5], 0, v[6:7]
	s_and_b64 s[6:7], s[4:5], vcc
	; wave barrier
	s_and_saveexec_b64 s[4:5], s[6:7]
	s_cbranch_execz .LBB1385_43
; %bb.42:
	v_bcnt_u32_b32 v4, v6, 0
	v_bcnt_u32_b32 v4, v7, v4
	s_waitcnt lgkmcnt(0)
	v_add_u32_e32 v4, v45, v4
	ds_write_b32 v46, v4 offset:64
.LBB1385_43:
	s_or_b64 exec, exec, s[4:5]
	v_lshrrev_b32_sdwa v4, s24, v16 dst_sel:DWORD dst_unused:UNUSED_PAD src0_sel:DWORD src1_sel:WORD_0
	v_and_b32_e32 v50, s27, v4
	v_mul_u32_u24_e32 v4, 17, v50
	v_add_lshl_u32 v49, v30, v4, 2
	v_and_b32_e32 v4, 1, v50
	v_lshl_add_u64 v[6:7], v[4:5], 0, -1
	v_cmp_ne_u32_e32 vcc, 0, v4
	; wave barrier
	s_nop 1
	v_xor_b32_e32 v6, vcc_lo, v6
	v_xor_b32_e32 v4, vcc_hi, v7
	v_and_b32_e32 v51, exec_lo, v6
	v_lshlrev_b32_e32 v7, 30, v50
	v_mov_b32_e32 v6, v5
	v_cmp_gt_i64_e32 vcc, 0, v[6:7]
	v_not_b32_e32 v6, v7
	v_ashrrev_i32_e32 v6, 31, v6
	v_and_b32_e32 v4, exec_hi, v4
	v_xor_b32_e32 v7, vcc_hi, v6
	v_xor_b32_e32 v6, vcc_lo, v6
	v_and_b32_e32 v4, v4, v7
	v_and_b32_e32 v51, v51, v6
	v_lshlrev_b32_e32 v7, 29, v50
	v_mov_b32_e32 v6, v5
	v_cmp_gt_i64_e32 vcc, 0, v[6:7]
	v_not_b32_e32 v6, v7
	v_ashrrev_i32_e32 v6, 31, v6
	v_xor_b32_e32 v7, vcc_hi, v6
	v_xor_b32_e32 v6, vcc_lo, v6
	v_and_b32_e32 v4, v4, v7
	v_and_b32_e32 v51, v51, v6
	v_lshlrev_b32_e32 v7, 28, v50
	v_mov_b32_e32 v6, v5
	v_cmp_gt_i64_e32 vcc, 0, v[6:7]
	v_not_b32_e32 v6, v7
	v_ashrrev_i32_e32 v6, 31, v6
	;; [unrolled: 9-line block ×5, first 2 shown]
	v_xor_b32_e32 v7, vcc_hi, v6
	v_xor_b32_e32 v6, vcc_lo, v6
	v_and_b32_e32 v4, v4, v7
	v_lshlrev_b32_e32 v7, 24, v50
	v_and_b32_e32 v51, v51, v6
	v_mov_b32_e32 v6, v5
	v_not_b32_e32 v5, v7
	v_cmp_gt_i64_e32 vcc, 0, v[6:7]
	v_ashrrev_i32_e32 v5, 31, v5
	ds_read_b32 v48, v49 offset:64
	v_xor_b32_e32 v6, vcc_hi, v5
	v_xor_b32_e32 v7, vcc_lo, v5
	v_and_b32_e32 v5, v4, v6
	v_and_b32_e32 v4, v51, v7
	v_mbcnt_lo_u32_b32 v6, v4, 0
	v_mbcnt_hi_u32_b32 v50, v5, v6
	v_cmp_eq_u32_e32 vcc, 0, v50
	v_cmp_ne_u64_e64 s[4:5], 0, v[4:5]
	s_and_b64 s[6:7], s[4:5], vcc
	; wave barrier
	s_and_saveexec_b64 s[4:5], s[6:7]
	s_cbranch_execz .LBB1385_45
; %bb.44:
	v_bcnt_u32_b32 v4, v4, 0
	v_bcnt_u32_b32 v4, v5, v4
	s_waitcnt lgkmcnt(0)
	v_add_u32_e32 v4, v48, v4
	ds_write_b32 v49, v4 offset:64
.LBB1385_45:
	s_or_b64 exec, exec, s[4:5]
	v_lshrrev_b32_sdwa v4, s24, v19 dst_sel:DWORD dst_unused:UNUSED_PAD src0_sel:DWORD src1_sel:WORD_0
	v_and_b32_e32 v53, s27, v4
	v_mul_u32_u24_e32 v4, 17, v53
	v_add_lshl_u32 v52, v30, v4, 2
	v_and_b32_e32 v4, 1, v53
	v_mov_b32_e32 v5, 0
	v_lshl_add_u64 v[6:7], v[4:5], 0, -1
	v_cmp_ne_u32_e32 vcc, 0, v4
	; wave barrier
	s_nop 1
	v_xor_b32_e32 v6, vcc_lo, v6
	v_xor_b32_e32 v4, vcc_hi, v7
	v_and_b32_e32 v54, exec_lo, v6
	v_lshlrev_b32_e32 v7, 30, v53
	v_mov_b32_e32 v6, v5
	v_cmp_gt_i64_e32 vcc, 0, v[6:7]
	v_not_b32_e32 v6, v7
	v_ashrrev_i32_e32 v6, 31, v6
	v_and_b32_e32 v4, exec_hi, v4
	v_xor_b32_e32 v7, vcc_hi, v6
	v_xor_b32_e32 v6, vcc_lo, v6
	v_and_b32_e32 v4, v4, v7
	v_and_b32_e32 v54, v54, v6
	v_lshlrev_b32_e32 v7, 29, v53
	v_mov_b32_e32 v6, v5
	v_cmp_gt_i64_e32 vcc, 0, v[6:7]
	v_not_b32_e32 v6, v7
	v_ashrrev_i32_e32 v6, 31, v6
	v_xor_b32_e32 v7, vcc_hi, v6
	v_xor_b32_e32 v6, vcc_lo, v6
	v_and_b32_e32 v4, v4, v7
	v_and_b32_e32 v54, v54, v6
	v_lshlrev_b32_e32 v7, 28, v53
	v_mov_b32_e32 v6, v5
	v_cmp_gt_i64_e32 vcc, 0, v[6:7]
	v_not_b32_e32 v6, v7
	v_ashrrev_i32_e32 v6, 31, v6
	;; [unrolled: 9-line block ×6, first 2 shown]
	v_xor_b32_e32 v7, vcc_hi, v6
	v_xor_b32_e32 v6, vcc_lo, v6
	ds_read_b32 v51, v52 offset:64
	v_and_b32_e32 v6, v54, v6
	v_and_b32_e32 v7, v4, v7
	v_mbcnt_lo_u32_b32 v4, v6, 0
	v_mbcnt_hi_u32_b32 v53, v7, v4
	v_cmp_eq_u32_e32 vcc, 0, v53
	v_cmp_ne_u64_e64 s[4:5], 0, v[6:7]
	s_and_b64 s[6:7], s[4:5], vcc
	; wave barrier
	s_and_saveexec_b64 s[4:5], s[6:7]
	s_cbranch_execz .LBB1385_47
; %bb.46:
	v_bcnt_u32_b32 v4, v6, 0
	v_bcnt_u32_b32 v4, v7, v4
	s_waitcnt lgkmcnt(0)
	v_add_u32_e32 v4, v51, v4
	ds_write_b32 v52, v4 offset:64
.LBB1385_47:
	s_or_b64 exec, exec, s[4:5]
	v_lshrrev_b32_sdwa v4, s24, v18 dst_sel:DWORD dst_unused:UNUSED_PAD src0_sel:DWORD src1_sel:WORD_0
	v_and_b32_e32 v54, s27, v4
	v_mul_u32_u24_e32 v4, 17, v54
	v_add_lshl_u32 v55, v30, v4, 2
	v_and_b32_e32 v4, 1, v54
	v_lshl_add_u64 v[6:7], v[4:5], 0, -1
	v_cmp_ne_u32_e32 vcc, 0, v4
	; wave barrier
	s_nop 1
	v_xor_b32_e32 v6, vcc_lo, v6
	v_xor_b32_e32 v4, vcc_hi, v7
	v_and_b32_e32 v57, exec_lo, v6
	v_lshlrev_b32_e32 v7, 30, v54
	v_mov_b32_e32 v6, v5
	v_cmp_gt_i64_e32 vcc, 0, v[6:7]
	v_not_b32_e32 v6, v7
	v_ashrrev_i32_e32 v6, 31, v6
	v_and_b32_e32 v4, exec_hi, v4
	v_xor_b32_e32 v7, vcc_hi, v6
	v_xor_b32_e32 v6, vcc_lo, v6
	v_and_b32_e32 v4, v4, v7
	v_and_b32_e32 v57, v57, v6
	v_lshlrev_b32_e32 v7, 29, v54
	v_mov_b32_e32 v6, v5
	v_cmp_gt_i64_e32 vcc, 0, v[6:7]
	v_not_b32_e32 v6, v7
	v_ashrrev_i32_e32 v6, 31, v6
	v_xor_b32_e32 v7, vcc_hi, v6
	v_xor_b32_e32 v6, vcc_lo, v6
	v_and_b32_e32 v4, v4, v7
	v_and_b32_e32 v57, v57, v6
	v_lshlrev_b32_e32 v7, 28, v54
	v_mov_b32_e32 v6, v5
	v_cmp_gt_i64_e32 vcc, 0, v[6:7]
	v_not_b32_e32 v6, v7
	v_ashrrev_i32_e32 v6, 31, v6
	;; [unrolled: 9-line block ×5, first 2 shown]
	v_xor_b32_e32 v7, vcc_hi, v6
	v_xor_b32_e32 v6, vcc_lo, v6
	v_and_b32_e32 v4, v4, v7
	v_lshlrev_b32_e32 v7, 24, v54
	v_and_b32_e32 v57, v57, v6
	v_mov_b32_e32 v6, v5
	v_not_b32_e32 v5, v7
	v_cmp_gt_i64_e32 vcc, 0, v[6:7]
	v_ashrrev_i32_e32 v5, 31, v5
	ds_read_b32 v30, v55 offset:64
	v_xor_b32_e32 v6, vcc_hi, v5
	v_xor_b32_e32 v7, vcc_lo, v5
	v_and_b32_e32 v5, v4, v6
	v_and_b32_e32 v4, v57, v7
	v_mbcnt_lo_u32_b32 v6, v4, 0
	v_mbcnt_hi_u32_b32 v57, v5, v6
	v_cmp_eq_u32_e32 vcc, 0, v57
	v_cmp_ne_u64_e64 s[4:5], 0, v[4:5]
	v_add_u32_e32 v56, 64, v20
	s_and_b64 s[6:7], s[4:5], vcc
	; wave barrier
	s_and_saveexec_b64 s[4:5], s[6:7]
	s_cbranch_execz .LBB1385_49
; %bb.48:
	v_bcnt_u32_b32 v4, v4, 0
	v_bcnt_u32_b32 v4, v5, v4
	s_waitcnt lgkmcnt(0)
	v_add_u32_e32 v4, v30, v4
	ds_write_b32 v55, v4 offset:64
.LBB1385_49:
	s_or_b64 exec, exec, s[4:5]
	; wave barrier
	s_waitcnt lgkmcnt(0)
	s_barrier
	ds_read2_b32 v[6:7], v20 offset0:16 offset1:17
	ds_read2_b32 v[4:5], v56 offset0:2 offset1:3
	ds_read_b32 v54, v56 offset:16
	v_cmp_lt_u32_e64 s[10:11], 31, v13
	s_waitcnt lgkmcnt(1)
	v_add3_u32 v58, v7, v6, v4
	s_waitcnt lgkmcnt(0)
	v_add3_u32 v54, v58, v5, v54
	v_and_b32_e32 v58, 15, v13
	v_cmp_eq_u32_e32 vcc, 0, v58
	v_mov_b32_dpp v59, v54 row_shr:1 row_mask:0xf bank_mask:0xf
	v_cmp_lt_u32_e64 s[8:9], 1, v58
	v_cndmask_b32_e64 v59, v59, 0, vcc
	v_add_u32_e32 v54, v59, v54
	v_cmp_lt_u32_e64 s[4:5], 3, v58
	v_cmp_lt_u32_e64 s[6:7], 7, v58
	v_mov_b32_dpp v59, v54 row_shr:2 row_mask:0xf bank_mask:0xf
	v_cndmask_b32_e64 v59, 0, v59, s[8:9]
	v_add_u32_e32 v54, v54, v59
	s_nop 1
	v_mov_b32_dpp v59, v54 row_shr:4 row_mask:0xf bank_mask:0xf
	v_cndmask_b32_e64 v59, 0, v59, s[4:5]
	v_add_u32_e32 v54, v54, v59
	s_nop 1
	v_mov_b32_dpp v59, v54 row_shr:8 row_mask:0xf bank_mask:0xf
	v_cndmask_b32_e64 v58, 0, v59, s[6:7]
	v_add_u32_e32 v54, v54, v58
	v_bfe_i32 v59, v13, 4, 1
	s_nop 0
	v_mov_b32_dpp v58, v54 row_bcast:15 row_mask:0xf bank_mask:0xf
	v_and_b32_e32 v58, v59, v58
	v_add_u32_e32 v54, v54, v58
	v_lshrrev_b32_e32 v59, 6, v2
	s_nop 0
	v_mov_b32_dpp v58, v54 row_bcast:31 row_mask:0xf bank_mask:0xf
	v_cndmask_b32_e64 v58, 0, v58, s[10:11]
	v_add_u32_e32 v58, v54, v58
	v_and_b32_e32 v54, 63, v2
	v_cmp_eq_u32_e64 s[10:11], 63, v54
	s_and_saveexec_b64 s[12:13], s[10:11]
	s_cbranch_execz .LBB1385_51
; %bb.50:
	v_lshlrev_b32_e32 v54, 2, v59
	ds_write_b32 v54, v58
.LBB1385_51:
	s_or_b64 exec, exec, s[12:13]
	v_cmp_gt_u32_e64 s[10:11], 16, v2
	v_lshlrev_b32_e32 v54, 2, v2
	s_waitcnt lgkmcnt(0)
	s_barrier
	s_and_saveexec_b64 s[12:13], s[10:11]
	s_cbranch_execz .LBB1385_53
; %bb.52:
	ds_read_b32 v60, v54
	s_waitcnt lgkmcnt(0)
	s_nop 0
	v_mov_b32_dpp v61, v60 row_shr:1 row_mask:0xf bank_mask:0xf
	v_cndmask_b32_e64 v61, v61, 0, vcc
	v_add_u32_e32 v60, v61, v60
	s_nop 1
	v_mov_b32_dpp v61, v60 row_shr:2 row_mask:0xf bank_mask:0xf
	v_cndmask_b32_e64 v61, 0, v61, s[8:9]
	v_add_u32_e32 v60, v60, v61
	s_nop 1
	v_mov_b32_dpp v61, v60 row_shr:4 row_mask:0xf bank_mask:0xf
	v_cndmask_b32_e64 v61, 0, v61, s[4:5]
	;; [unrolled: 4-line block ×3, first 2 shown]
	v_add_u32_e32 v60, v60, v61
	ds_write_b32 v54, v60
.LBB1385_53:
	s_or_b64 exec, exec, s[12:13]
	v_cmp_lt_u32_e32 vcc, 63, v2
	v_mov_b32_e32 v60, 0
	s_waitcnt lgkmcnt(0)
	s_barrier
	s_and_saveexec_b64 s[4:5], vcc
	s_cbranch_execz .LBB1385_55
; %bb.54:
	v_lshl_add_u32 v59, v59, 2, -4
	ds_read_b32 v60, v59
.LBB1385_55:
	s_or_b64 exec, exec, s[4:5]
	v_add_u32_e32 v59, -1, v13
	v_and_b32_e32 v61, 64, v13
	v_cmp_lt_i32_e32 vcc, v59, v61
	s_waitcnt lgkmcnt(0)
	v_add_u32_e32 v58, v60, v58
	s_movk_i32 s4, 0x100
	v_cndmask_b32_e32 v59, v59, v13, vcc
	v_lshlrev_b32_e32 v59, 2, v59
	ds_bpermute_b32 v58, v59, v58
	v_cmp_eq_u32_e32 vcc, 0, v13
	s_waitcnt lgkmcnt(0)
	s_nop 0
	v_cndmask_b32_e32 v13, v58, v60, vcc
	v_cmp_ne_u32_e32 vcc, 0, v2
	s_nop 1
	v_cndmask_b32_e32 v13, 0, v13, vcc
	v_add_u32_e32 v6, v13, v6
	v_add_u32_e32 v7, v6, v7
	;; [unrolled: 1-line block ×4, first 2 shown]
	ds_write2_b32 v20, v13, v6 offset0:16 offset1:17
	ds_write2_b32 v56, v7, v4 offset0:2 offset1:3
	ds_write_b32 v56, v5 offset:16
	s_waitcnt lgkmcnt(0)
	s_barrier
	ds_read_b32 v60, v23 offset:64
	ds_read_b32 v59, v24 offset:64
	;; [unrolled: 1-line block ×12, first 2 shown]
	v_cmp_gt_u32_e32 vcc, s4, v2
                                        ; implicit-def: $vgpr13
                                        ; implicit-def: $vgpr20
	s_and_saveexec_b64 s[6:7], vcc
	s_cbranch_execz .LBB1385_59
; %bb.56:
	v_mul_u32_u24_e32 v13, 17, v2
	v_lshlrev_b32_e32 v34, 2, v13
	ds_read_b32 v13, v34 offset:64
	s_movk_i32 s4, 0xff
	v_cmp_ne_u32_e64 s[4:5], s4, v2
	v_mov_b32_e32 v20, 0x3000
	s_and_saveexec_b64 s[8:9], s[4:5]
	s_cbranch_execz .LBB1385_58
; %bb.57:
	ds_read_b32 v20, v34 offset:132
.LBB1385_58:
	s_or_b64 exec, exec, s[8:9]
	s_waitcnt lgkmcnt(0)
	v_sub_u32_e32 v20, v20, v13
.LBB1385_59:
	s_or_b64 exec, exec, s[6:7]
	v_add_u32_e32 v22, v25, v22
	s_waitcnt lgkmcnt(11)
	v_add_lshl_u32 v21, v60, v21, 1
	v_add_u32_e32 v26, v28, v26
	s_waitcnt lgkmcnt(0)
	s_barrier
	ds_write_b16 v21, v8 offset:1024
	v_add_lshl_u32 v8, v22, v59, 1
	v_add_u32_e32 v29, v32, v29
	ds_write_b16 v8, v3 offset:1024
	v_add_lshl_u32 v3, v26, v58, 1
	v_add_u32_e32 v33, v35, v33
	;; [unrolled: 3-line block ×9, first 2 shown]
	ds_write_b16 v3, v16 offset:1024
	v_add_lshl_u32 v3, v34, v5, 1
	ds_write_b16 v3, v19 offset:1024
	v_add_lshl_u32 v3, v30, v4, 1
	ds_write_b16 v3, v18 offset:1024
	s_and_saveexec_b64 s[6:7], vcc
	s_cbranch_execz .LBB1385_69
; %bb.60:
	v_lshl_or_b32 v6, s2, 8, v2
	v_mov_b32_e32 v7, 0
	v_lshl_add_u64 v[4:5], v[6:7], 2, s[28:29]
	v_or_b32_e32 v3, 2.0, v20
	global_store_dword v[4:5], v3, off sc1
	s_mov_b64 s[8:9], 0
	s_brev_b32 s14, 1
	s_mov_b32 s15, s2
	v_mov_b32_e32 v3, 0
                                        ; implicit-def: $sgpr4_sgpr5
	s_branch .LBB1385_62
.LBB1385_61:                            ;   in Loop: Header=BB1385_62 Depth=1
	s_or_b64 exec, exec, s[10:11]
	v_and_b32_e32 v8, 0x3fffffff, v10
	v_add_u32_e32 v3, v8, v3
	v_cmp_eq_u32_e64 s[4:5], s14, v6
	s_and_b64 s[10:11], exec, s[4:5]
	s_or_b64 s[8:9], s[10:11], s[8:9]
	s_andn2_b64 exec, exec, s[8:9]
	s_cbranch_execz .LBB1385_68
.LBB1385_62:                            ; =>This Loop Header: Depth=1
                                        ;     Child Loop BB1385_65 Depth 2
	s_or_b64 s[4:5], s[4:5], exec
	s_cmp_eq_u32 s15, 0
	s_cbranch_scc1 .LBB1385_67
; %bb.63:                               ;   in Loop: Header=BB1385_62 Depth=1
	s_add_i32 s15, s15, -1
	v_lshl_or_b32 v6, s15, 8, v2
	v_lshl_add_u64 v[8:9], v[6:7], 2, s[28:29]
	global_load_dword v10, v[8:9], off sc1
	s_waitcnt vmcnt(0)
	v_and_b32_e32 v6, -2.0, v10
	v_cmp_eq_u32_e64 s[4:5], 0, v6
	s_and_saveexec_b64 s[10:11], s[4:5]
	s_cbranch_execz .LBB1385_61
; %bb.64:                               ;   in Loop: Header=BB1385_62 Depth=1
	s_mov_b64 s[12:13], 0
.LBB1385_65:                            ;   Parent Loop BB1385_62 Depth=1
                                        ; =>  This Inner Loop Header: Depth=2
	global_load_dword v10, v[8:9], off sc1
	s_waitcnt vmcnt(0)
	v_and_b32_e32 v6, -2.0, v10
	v_cmp_ne_u32_e64 s[4:5], 0, v6
	s_or_b64 s[12:13], s[4:5], s[12:13]
	s_andn2_b64 exec, exec, s[12:13]
	s_cbranch_execnz .LBB1385_65
; %bb.66:                               ;   in Loop: Header=BB1385_62 Depth=1
	s_or_b64 exec, exec, s[12:13]
	s_branch .LBB1385_61
.LBB1385_67:                            ;   in Loop: Header=BB1385_62 Depth=1
                                        ; implicit-def: $sgpr15
	s_and_b64 s[10:11], exec, s[4:5]
	s_or_b64 s[8:9], s[10:11], s[8:9]
	s_andn2_b64 exec, exec, s[8:9]
	s_cbranch_execnz .LBB1385_62
.LBB1385_68:
	s_or_b64 exec, exec, s[8:9]
	v_add_u32_e32 v6, v3, v20
	v_or_b32_e32 v6, 0x80000000, v6
	global_store_dword v[4:5], v6, off sc1
	global_load_dword v4, v54, s[16:17]
	v_sub_u32_e32 v3, v3, v13
	s_waitcnt vmcnt(0)
	v_add_u32_e32 v3, v3, v4
	ds_write_b32 v54, v3
.LBB1385_69:
	s_or_b64 exec, exec, s[6:7]
	v_cmp_gt_u32_e64 s[4:5], s3, v2
	v_lshlrev_b32_e32 v3, 1, v2
	s_waitcnt lgkmcnt(0)
	s_barrier
	s_and_saveexec_b64 s[6:7], s[4:5]
	s_cbranch_execz .LBB1385_71
; %bb.70:
	ds_read_u16 v6, v3 offset:1024
	v_mov_b32_e32 v5, 0
	s_waitcnt lgkmcnt(0)
	v_lshrrev_b32_sdwa v4, s24, v6 dst_sel:DWORD dst_unused:UNUSED_PAD src0_sel:DWORD src1_sel:WORD_0
	v_and_b32_e32 v4, s27, v4
	v_lshlrev_b32_e32 v4, 2, v4
	ds_read_b32 v4, v4
	s_waitcnt lgkmcnt(0)
	v_add_u32_e32 v4, v4, v2
	v_lshl_add_u64 v[4:5], v[4:5], 1, s[22:23]
	global_store_short v[4:5], v6, off
.LBB1385_71:
	s_or_b64 exec, exec, s[6:7]
	v_or_b32_e32 v4, 0x400, v2
	v_cmp_gt_u32_e64 s[4:5], s3, v4
	s_and_saveexec_b64 s[6:7], s[4:5]
	s_cbranch_execz .LBB1385_73
; %bb.72:
	ds_read_u16 v6, v3 offset:3072
	s_waitcnt lgkmcnt(0)
	v_lshrrev_b32_sdwa v5, s24, v6 dst_sel:DWORD dst_unused:UNUSED_PAD src0_sel:DWORD src1_sel:WORD_0
	v_and_b32_e32 v5, s27, v5
	v_lshlrev_b32_e32 v5, 2, v5
	ds_read_b32 v5, v5
	s_waitcnt lgkmcnt(0)
	v_add_u32_e32 v4, v5, v4
	v_mov_b32_e32 v5, 0
	v_lshl_add_u64 v[4:5], v[4:5], 1, s[22:23]
	global_store_short v[4:5], v6, off
.LBB1385_73:
	s_or_b64 exec, exec, s[6:7]
	v_or_b32_e32 v4, 0x800, v2
	v_cmp_gt_u32_e64 s[4:5], s3, v4
	s_and_saveexec_b64 s[6:7], s[4:5]
	s_cbranch_execz .LBB1385_75
; %bb.74:
	ds_read_u16 v6, v3 offset:5120
	s_waitcnt lgkmcnt(0)
	v_lshrrev_b32_sdwa v5, s24, v6 dst_sel:DWORD dst_unused:UNUSED_PAD src0_sel:DWORD src1_sel:WORD_0
	v_and_b32_e32 v5, s27, v5
	v_lshlrev_b32_e32 v5, 2, v5
	ds_read_b32 v5, v5
	s_waitcnt lgkmcnt(0)
	v_add_u32_e32 v4, v5, v4
	v_mov_b32_e32 v5, 0
	v_lshl_add_u64 v[4:5], v[4:5], 1, s[22:23]
	global_store_short v[4:5], v6, off
.LBB1385_75:
	;; [unrolled: 18-line block ×11, first 2 shown]
	s_or_b64 exec, exec, s[6:7]
	s_add_i32 s26, s26, -1
	s_cmp_eq_u32 s26, s2
	s_cselect_b64 s[4:5], -1, 0
	s_and_b64 s[6:7], vcc, s[4:5]
	s_mov_b64 s[4:5], 0
	s_mov_b64 s[10:11], 0
                                        ; implicit-def: $vgpr4
	s_and_saveexec_b64 s[8:9], s[6:7]
	s_xor_b64 s[6:7], exec, s[8:9]
; %bb.94:
	s_mov_b64 s[10:11], exec
	v_add_u32_e32 v4, v13, v20
	v_mov_b32_e32 v3, 0
; %bb.95:
	s_or_b64 exec, exec, s[6:7]
	s_and_b64 vcc, exec, s[4:5]
	s_cbranch_vccnz .LBB1385_97
	s_branch .LBB1385_146
.LBB1385_96:
	s_mov_b64 s[10:11], 0
                                        ; implicit-def: $vgpr4
                                        ; implicit-def: $vgpr2_vgpr3
	s_cbranch_execz .LBB1385_146
.LBB1385_97:
	s_mov_b32 s31, 0
	v_and_b32_e32 v2, 0x3ff, v0
	s_lshl_b64 s[4:5], s[30:31], 1
	v_mbcnt_hi_u32_b32 v6, -1, v1
	s_add_u32 s4, s20, s4
	v_and_b32_e32 v1, 63, v6
	v_and_b32_e32 v3, 0x3c0, v2
	s_addc_u32 s5, s21, s5
	v_mov_b32_e32 v5, 0
	v_mul_u32_u24_e32 v3, 12, v3
	v_lshlrev_b32_e32 v4, 1, v1
	v_lshl_add_u64 v[8:9], s[4:5], 0, v[4:5]
	v_lshlrev_b32_e32 v4, 1, v3
	v_lshl_add_u64 v[20:21], v[8:9], 0, v[4:5]
	global_load_ushort v3, v[20:21], off
	s_load_dword s4, s[0:1], 0x64
	s_load_dword s3, s[0:1], 0x58
	s_add_u32 s0, s0, 0x58
	s_addc_u32 s1, s1, 0
	v_mul_u32_u24_e32 v7, 5, v2
	s_waitcnt lgkmcnt(0)
	s_lshr_b32 s4, s4, 16
	s_cmp_lt_u32 s2, s3
	s_cselect_b32 s5, 12, 18
	s_add_u32 s0, s0, s5
	s_addc_u32 s1, s1, 0
	global_load_ushort v19, v5, s[0:1]
	v_lshlrev_b32_e32 v18, 2, v7
	ds_write2_b32 v18, v5, v5 offset0:16 offset1:17
	ds_write2_b32 v18, v5, v5 offset0:18 offset1:19
	ds_write_b32 v18, v5 offset:80
	global_load_ushort v17, v[20:21], off offset:128
	global_load_ushort v16, v[20:21], off offset:256
	;; [unrolled: 1-line block ×11, first 2 shown]
	v_bfe_u32 v1, v0, 10, 10
	v_bfe_u32 v4, v0, 20, 10
	s_lshl_b32 s0, -1, s25
	v_mad_u32_u24 v28, v4, s4, v1
	s_not_b32 s14, s0
	v_mov_b32_e32 v0, v5
	v_mov_b32_e32 v22, v5
	;; [unrolled: 1-line block ×4, first 2 shown]
	s_waitcnt lgkmcnt(0)
	s_barrier
	s_waitcnt lgkmcnt(0)
	; wave barrier
	s_waitcnt vmcnt(12)
	v_lshrrev_b32_sdwa v1, s24, v3 dst_sel:DWORD dst_unused:UNUSED_PAD src0_sel:DWORD src1_sel:WORD_0
	v_and_b32_e32 v29, s14, v1
	v_and_b32_e32 v4, 1, v29
	v_lshlrev_b32_e32 v1, 30, v29
	v_lshlrev_b32_e32 v23, 29, v29
	v_lshl_add_u64 v[20:21], v[4:5], 0, -1
	v_cmp_ne_u32_e32 vcc, 0, v4
	v_cmp_gt_i64_e64 s[0:1], 0, v[0:1]
	v_not_b32_e32 v4, v1
	v_lshlrev_b32_e32 v25, 28, v29
	s_waitcnt vmcnt(11)
	v_mad_u64_u32 v[0:1], s[12:13], v28, v19, v[2:3]
	v_lshlrev_b32_e32 v27, 27, v29
	v_cmp_gt_i64_e64 s[4:5], 0, v[22:23]
	v_not_b32_e32 v22, v23
	v_xor_b32_e32 v1, vcc_hi, v21
	v_xor_b32_e32 v19, vcc_lo, v20
	v_ashrrev_i32_e32 v4, 31, v4
	v_cmp_gt_i64_e64 s[6:7], 0, v[24:25]
	v_not_b32_e32 v23, v25
	v_cmp_gt_i64_e64 s[8:9], 0, v[26:27]
	v_not_b32_e32 v24, v27
	v_ashrrev_i32_e32 v20, 31, v22
	v_lshrrev_b32_e32 v27, 6, v0
	v_and_b32_e32 v0, exec_hi, v1
	v_and_b32_e32 v1, exec_lo, v19
	v_xor_b32_e32 v19, s1, v4
	v_xor_b32_e32 v4, s0, v4
	v_ashrrev_i32_e32 v21, 31, v23
	v_ashrrev_i32_e32 v22, 31, v24
	v_xor_b32_e32 v23, s5, v20
	v_xor_b32_e32 v24, s4, v20
	v_and_b32_e32 v0, v0, v19
	v_and_b32_e32 v1, v1, v4
	v_xor_b32_e32 v25, s7, v21
	v_xor_b32_e32 v21, s6, v21
	v_and_b32_e32 v0, v0, v23
	v_and_b32_e32 v1, v1, v24
	;; [unrolled: 1-line block ×4, first 2 shown]
	v_xor_b32_e32 v4, s9, v22
	v_xor_b32_e32 v19, s8, v22
	v_and_b32_e32 v4, v0, v4
	v_and_b32_e32 v19, v1, v19
	v_lshlrev_b32_e32 v1, 26, v29
	v_mov_b32_e32 v0, v5
	v_cmp_gt_i64_e32 vcc, 0, v[0:1]
	v_not_b32_e32 v0, v1
	v_ashrrev_i32_e32 v0, 31, v0
	v_xor_b32_e32 v1, vcc_hi, v0
	v_xor_b32_e32 v0, vcc_lo, v0
	v_and_b32_e32 v4, v4, v1
	v_and_b32_e32 v19, v19, v0
	v_lshlrev_b32_e32 v1, 25, v29
	v_mov_b32_e32 v0, v5
	v_cmp_gt_i64_e32 vcc, 0, v[0:1]
	v_not_b32_e32 v0, v1
	v_ashrrev_i32_e32 v0, 31, v0
	v_xor_b32_e32 v1, vcc_hi, v0
	v_xor_b32_e32 v0, vcc_lo, v0
	;; [unrolled: 9-line block ×3, first 2 shown]
	v_and_b32_e32 v0, v19, v0
	v_and_b32_e32 v1, v4, v1
	v_mbcnt_lo_u32_b32 v4, v0, 0
	v_mbcnt_hi_u32_b32 v19, v1, v4
	v_mul_u32_u24_e32 v30, 17, v29
	v_cmp_eq_u32_e32 vcc, 0, v19
	v_cmp_ne_u64_e64 s[0:1], 0, v[0:1]
	v_add_lshl_u32 v20, v27, v30, 2
	s_and_b64 s[4:5], s[0:1], vcc
	s_and_saveexec_b64 s[0:1], s[4:5]
	s_cbranch_execz .LBB1385_99
; %bb.98:
	v_bcnt_u32_b32 v0, v0, 0
	v_bcnt_u32_b32 v0, v1, v0
	ds_write_b32 v20, v0 offset:64
.LBB1385_99:
	s_or_b64 exec, exec, s[0:1]
	s_waitcnt vmcnt(10)
	v_lshrrev_b32_sdwa v0, s24, v17 dst_sel:DWORD dst_unused:UNUSED_PAD src0_sel:DWORD src1_sel:WORD_0
	v_and_b32_e32 v23, s14, v0
	v_mul_u32_u24_e32 v0, 17, v23
	v_and_b32_e32 v4, 1, v23
	v_add_lshl_u32 v22, v27, v0, 2
	v_lshl_add_u64 v[0:1], v[4:5], 0, -1
	v_cmp_ne_u32_e32 vcc, 0, v4
	; wave barrier
	s_nop 1
	v_xor_b32_e32 v1, vcc_hi, v1
	v_xor_b32_e32 v0, vcc_lo, v0
	v_and_b32_e32 v4, exec_hi, v1
	v_and_b32_e32 v24, exec_lo, v0
	v_lshlrev_b32_e32 v1, 30, v23
	v_mov_b32_e32 v0, v5
	v_cmp_gt_i64_e32 vcc, 0, v[0:1]
	v_not_b32_e32 v0, v1
	v_ashrrev_i32_e32 v0, 31, v0
	v_xor_b32_e32 v1, vcc_hi, v0
	v_xor_b32_e32 v0, vcc_lo, v0
	v_and_b32_e32 v4, v4, v1
	v_and_b32_e32 v24, v24, v0
	v_lshlrev_b32_e32 v1, 29, v23
	v_mov_b32_e32 v0, v5
	v_cmp_gt_i64_e32 vcc, 0, v[0:1]
	v_not_b32_e32 v0, v1
	v_ashrrev_i32_e32 v0, 31, v0
	v_xor_b32_e32 v1, vcc_hi, v0
	v_xor_b32_e32 v0, vcc_lo, v0
	v_and_b32_e32 v4, v4, v1
	v_and_b32_e32 v24, v24, v0
	;; [unrolled: 9-line block ×6, first 2 shown]
	v_lshlrev_b32_e32 v1, 24, v23
	v_mov_b32_e32 v0, v5
	v_cmp_gt_i64_e32 vcc, 0, v[0:1]
	v_not_b32_e32 v0, v1
	v_ashrrev_i32_e32 v0, 31, v0
	v_xor_b32_e32 v1, vcc_hi, v0
	v_xor_b32_e32 v0, vcc_lo, v0
	ds_read_b32 v21, v22 offset:64
	v_and_b32_e32 v0, v24, v0
	v_and_b32_e32 v1, v4, v1
	v_mbcnt_lo_u32_b32 v4, v0, 0
	v_mbcnt_hi_u32_b32 v23, v1, v4
	v_cmp_eq_u32_e32 vcc, 0, v23
	v_cmp_ne_u64_e64 s[0:1], 0, v[0:1]
	s_and_b64 s[4:5], s[0:1], vcc
	; wave barrier
	s_and_saveexec_b64 s[0:1], s[4:5]
	s_cbranch_execz .LBB1385_101
; %bb.100:
	v_bcnt_u32_b32 v0, v0, 0
	v_bcnt_u32_b32 v0, v1, v0
	s_waitcnt lgkmcnt(0)
	v_add_u32_e32 v0, v21, v0
	ds_write_b32 v22, v0 offset:64
.LBB1385_101:
	s_or_b64 exec, exec, s[0:1]
	s_waitcnt vmcnt(9)
	v_lshrrev_b32_sdwa v0, s24, v16 dst_sel:DWORD dst_unused:UNUSED_PAD src0_sel:DWORD src1_sel:WORD_0
	v_and_b32_e32 v26, s14, v0
	v_mul_u32_u24_e32 v0, 17, v26
	v_add_lshl_u32 v25, v27, v0, 2
	v_and_b32_e32 v0, 1, v26
	v_mov_b32_e32 v1, 0
	v_lshl_add_u64 v[4:5], v[0:1], 0, -1
	v_cmp_ne_u32_e32 vcc, 0, v0
	; wave barrier
	s_nop 1
	v_xor_b32_e32 v4, vcc_lo, v4
	v_xor_b32_e32 v0, vcc_hi, v5
	v_and_b32_e32 v28, exec_lo, v4
	v_lshlrev_b32_e32 v5, 30, v26
	v_mov_b32_e32 v4, v1
	v_cmp_gt_i64_e32 vcc, 0, v[4:5]
	v_not_b32_e32 v4, v5
	v_ashrrev_i32_e32 v4, 31, v4
	v_and_b32_e32 v0, exec_hi, v0
	v_xor_b32_e32 v5, vcc_hi, v4
	v_xor_b32_e32 v4, vcc_lo, v4
	v_and_b32_e32 v0, v0, v5
	v_and_b32_e32 v28, v28, v4
	v_lshlrev_b32_e32 v5, 29, v26
	v_mov_b32_e32 v4, v1
	v_cmp_gt_i64_e32 vcc, 0, v[4:5]
	v_not_b32_e32 v4, v5
	v_ashrrev_i32_e32 v4, 31, v4
	v_xor_b32_e32 v5, vcc_hi, v4
	v_xor_b32_e32 v4, vcc_lo, v4
	v_and_b32_e32 v0, v0, v5
	v_and_b32_e32 v28, v28, v4
	v_lshlrev_b32_e32 v5, 28, v26
	v_mov_b32_e32 v4, v1
	v_cmp_gt_i64_e32 vcc, 0, v[4:5]
	v_not_b32_e32 v4, v5
	v_ashrrev_i32_e32 v4, 31, v4
	;; [unrolled: 9-line block ×6, first 2 shown]
	v_xor_b32_e32 v5, vcc_hi, v4
	v_xor_b32_e32 v4, vcc_lo, v4
	ds_read_b32 v24, v25 offset:64
	v_and_b32_e32 v4, v28, v4
	v_and_b32_e32 v5, v0, v5
	v_mbcnt_lo_u32_b32 v0, v4, 0
	v_mbcnt_hi_u32_b32 v26, v5, v0
	v_cmp_eq_u32_e32 vcc, 0, v26
	v_cmp_ne_u64_e64 s[0:1], 0, v[4:5]
	s_and_b64 s[4:5], s[0:1], vcc
	; wave barrier
	s_and_saveexec_b64 s[0:1], s[4:5]
	s_cbranch_execz .LBB1385_103
; %bb.102:
	v_bcnt_u32_b32 v0, v4, 0
	v_bcnt_u32_b32 v0, v5, v0
	s_waitcnt lgkmcnt(0)
	v_add_u32_e32 v0, v24, v0
	ds_write_b32 v25, v0 offset:64
.LBB1385_103:
	s_or_b64 exec, exec, s[0:1]
	s_waitcnt vmcnt(8)
	v_lshrrev_b32_sdwa v0, s24, v15 dst_sel:DWORD dst_unused:UNUSED_PAD src0_sel:DWORD src1_sel:WORD_0
	v_and_b32_e32 v30, s14, v0
	v_mul_u32_u24_e32 v0, 17, v30
	v_add_lshl_u32 v29, v27, v0, 2
	v_and_b32_e32 v0, 1, v30
	v_lshl_add_u64 v[4:5], v[0:1], 0, -1
	v_cmp_ne_u32_e32 vcc, 0, v0
	; wave barrier
	s_nop 1
	v_xor_b32_e32 v4, vcc_lo, v4
	v_xor_b32_e32 v0, vcc_hi, v5
	v_and_b32_e32 v31, exec_lo, v4
	v_lshlrev_b32_e32 v5, 30, v30
	v_mov_b32_e32 v4, v1
	v_cmp_gt_i64_e32 vcc, 0, v[4:5]
	v_not_b32_e32 v4, v5
	v_ashrrev_i32_e32 v4, 31, v4
	v_and_b32_e32 v0, exec_hi, v0
	v_xor_b32_e32 v5, vcc_hi, v4
	v_xor_b32_e32 v4, vcc_lo, v4
	v_and_b32_e32 v0, v0, v5
	v_and_b32_e32 v31, v31, v4
	v_lshlrev_b32_e32 v5, 29, v30
	v_mov_b32_e32 v4, v1
	v_cmp_gt_i64_e32 vcc, 0, v[4:5]
	v_not_b32_e32 v4, v5
	v_ashrrev_i32_e32 v4, 31, v4
	v_xor_b32_e32 v5, vcc_hi, v4
	v_xor_b32_e32 v4, vcc_lo, v4
	v_and_b32_e32 v0, v0, v5
	v_and_b32_e32 v31, v31, v4
	v_lshlrev_b32_e32 v5, 28, v30
	v_mov_b32_e32 v4, v1
	v_cmp_gt_i64_e32 vcc, 0, v[4:5]
	v_not_b32_e32 v4, v5
	v_ashrrev_i32_e32 v4, 31, v4
	;; [unrolled: 9-line block ×5, first 2 shown]
	v_xor_b32_e32 v5, vcc_hi, v4
	v_xor_b32_e32 v4, vcc_lo, v4
	v_and_b32_e32 v0, v0, v5
	v_lshlrev_b32_e32 v5, 24, v30
	v_and_b32_e32 v31, v31, v4
	v_mov_b32_e32 v4, v1
	v_not_b32_e32 v1, v5
	v_cmp_gt_i64_e32 vcc, 0, v[4:5]
	v_ashrrev_i32_e32 v1, 31, v1
	ds_read_b32 v28, v29 offset:64
	v_xor_b32_e32 v4, vcc_hi, v1
	v_xor_b32_e32 v5, vcc_lo, v1
	v_and_b32_e32 v1, v0, v4
	v_and_b32_e32 v0, v31, v5
	v_mbcnt_lo_u32_b32 v4, v0, 0
	v_mbcnt_hi_u32_b32 v30, v1, v4
	v_cmp_eq_u32_e32 vcc, 0, v30
	v_cmp_ne_u64_e64 s[0:1], 0, v[0:1]
	s_and_b64 s[4:5], s[0:1], vcc
	; wave barrier
	s_and_saveexec_b64 s[0:1], s[4:5]
	s_cbranch_execz .LBB1385_105
; %bb.104:
	v_bcnt_u32_b32 v0, v0, 0
	v_bcnt_u32_b32 v0, v1, v0
	s_waitcnt lgkmcnt(0)
	v_add_u32_e32 v0, v28, v0
	ds_write_b32 v29, v0 offset:64
.LBB1385_105:
	s_or_b64 exec, exec, s[0:1]
	s_waitcnt vmcnt(7)
	v_lshrrev_b32_sdwa v0, s24, v14 dst_sel:DWORD dst_unused:UNUSED_PAD src0_sel:DWORD src1_sel:WORD_0
	v_and_b32_e32 v33, s14, v0
	v_mul_u32_u24_e32 v0, 17, v33
	v_add_lshl_u32 v32, v27, v0, 2
	v_and_b32_e32 v0, 1, v33
	v_mov_b32_e32 v1, 0
	v_lshl_add_u64 v[4:5], v[0:1], 0, -1
	v_cmp_ne_u32_e32 vcc, 0, v0
	; wave barrier
	s_nop 1
	v_xor_b32_e32 v4, vcc_lo, v4
	v_xor_b32_e32 v0, vcc_hi, v5
	v_and_b32_e32 v34, exec_lo, v4
	v_lshlrev_b32_e32 v5, 30, v33
	v_mov_b32_e32 v4, v1
	v_cmp_gt_i64_e32 vcc, 0, v[4:5]
	v_not_b32_e32 v4, v5
	v_ashrrev_i32_e32 v4, 31, v4
	v_and_b32_e32 v0, exec_hi, v0
	v_xor_b32_e32 v5, vcc_hi, v4
	v_xor_b32_e32 v4, vcc_lo, v4
	v_and_b32_e32 v0, v0, v5
	v_and_b32_e32 v34, v34, v4
	v_lshlrev_b32_e32 v5, 29, v33
	v_mov_b32_e32 v4, v1
	v_cmp_gt_i64_e32 vcc, 0, v[4:5]
	v_not_b32_e32 v4, v5
	v_ashrrev_i32_e32 v4, 31, v4
	v_xor_b32_e32 v5, vcc_hi, v4
	v_xor_b32_e32 v4, vcc_lo, v4
	v_and_b32_e32 v0, v0, v5
	v_and_b32_e32 v34, v34, v4
	v_lshlrev_b32_e32 v5, 28, v33
	v_mov_b32_e32 v4, v1
	v_cmp_gt_i64_e32 vcc, 0, v[4:5]
	v_not_b32_e32 v4, v5
	v_ashrrev_i32_e32 v4, 31, v4
	;; [unrolled: 9-line block ×6, first 2 shown]
	v_xor_b32_e32 v5, vcc_hi, v4
	v_xor_b32_e32 v4, vcc_lo, v4
	ds_read_b32 v31, v32 offset:64
	v_and_b32_e32 v4, v34, v4
	v_and_b32_e32 v5, v0, v5
	v_mbcnt_lo_u32_b32 v0, v4, 0
	v_mbcnt_hi_u32_b32 v33, v5, v0
	v_cmp_eq_u32_e32 vcc, 0, v33
	v_cmp_ne_u64_e64 s[0:1], 0, v[4:5]
	s_and_b64 s[4:5], s[0:1], vcc
	; wave barrier
	s_and_saveexec_b64 s[0:1], s[4:5]
	s_cbranch_execz .LBB1385_107
; %bb.106:
	v_bcnt_u32_b32 v0, v4, 0
	v_bcnt_u32_b32 v0, v5, v0
	s_waitcnt lgkmcnt(0)
	v_add_u32_e32 v0, v31, v0
	ds_write_b32 v32, v0 offset:64
.LBB1385_107:
	s_or_b64 exec, exec, s[0:1]
	s_waitcnt vmcnt(6)
	v_lshrrev_b32_sdwa v0, s24, v13 dst_sel:DWORD dst_unused:UNUSED_PAD src0_sel:DWORD src1_sel:WORD_0
	v_and_b32_e32 v36, s14, v0
	v_mul_u32_u24_e32 v0, 17, v36
	v_add_lshl_u32 v35, v27, v0, 2
	v_and_b32_e32 v0, 1, v36
	v_lshl_add_u64 v[4:5], v[0:1], 0, -1
	v_cmp_ne_u32_e32 vcc, 0, v0
	; wave barrier
	s_nop 1
	v_xor_b32_e32 v4, vcc_lo, v4
	v_xor_b32_e32 v0, vcc_hi, v5
	v_and_b32_e32 v37, exec_lo, v4
	v_lshlrev_b32_e32 v5, 30, v36
	v_mov_b32_e32 v4, v1
	v_cmp_gt_i64_e32 vcc, 0, v[4:5]
	v_not_b32_e32 v4, v5
	v_ashrrev_i32_e32 v4, 31, v4
	v_and_b32_e32 v0, exec_hi, v0
	v_xor_b32_e32 v5, vcc_hi, v4
	v_xor_b32_e32 v4, vcc_lo, v4
	v_and_b32_e32 v0, v0, v5
	v_and_b32_e32 v37, v37, v4
	v_lshlrev_b32_e32 v5, 29, v36
	v_mov_b32_e32 v4, v1
	v_cmp_gt_i64_e32 vcc, 0, v[4:5]
	v_not_b32_e32 v4, v5
	v_ashrrev_i32_e32 v4, 31, v4
	v_xor_b32_e32 v5, vcc_hi, v4
	v_xor_b32_e32 v4, vcc_lo, v4
	v_and_b32_e32 v0, v0, v5
	v_and_b32_e32 v37, v37, v4
	v_lshlrev_b32_e32 v5, 28, v36
	v_mov_b32_e32 v4, v1
	v_cmp_gt_i64_e32 vcc, 0, v[4:5]
	v_not_b32_e32 v4, v5
	v_ashrrev_i32_e32 v4, 31, v4
	v_xor_b32_e32 v5, vcc_hi, v4
	v_xor_b32_e32 v4, vcc_lo, v4
	v_and_b32_e32 v0, v0, v5
	v_and_b32_e32 v37, v37, v4
	v_lshlrev_b32_e32 v5, 27, v36
	v_mov_b32_e32 v4, v1
	v_cmp_gt_i64_e32 vcc, 0, v[4:5]
	v_not_b32_e32 v4, v5
	v_ashrrev_i32_e32 v4, 31, v4
	v_xor_b32_e32 v5, vcc_hi, v4
	v_xor_b32_e32 v4, vcc_lo, v4
	v_and_b32_e32 v0, v0, v5
	v_and_b32_e32 v37, v37, v4
	v_lshlrev_b32_e32 v5, 26, v36
	v_mov_b32_e32 v4, v1
	v_cmp_gt_i64_e32 vcc, 0, v[4:5]
	v_not_b32_e32 v4, v5
	v_ashrrev_i32_e32 v4, 31, v4
	v_xor_b32_e32 v5, vcc_hi, v4
	v_xor_b32_e32 v4, vcc_lo, v4
	v_and_b32_e32 v0, v0, v5
	v_and_b32_e32 v37, v37, v4
	v_lshlrev_b32_e32 v5, 25, v36
	v_mov_b32_e32 v4, v1
	v_cmp_gt_i64_e32 vcc, 0, v[4:5]
	v_not_b32_e32 v4, v5
	v_ashrrev_i32_e32 v4, 31, v4
	v_xor_b32_e32 v5, vcc_hi, v4
	v_xor_b32_e32 v4, vcc_lo, v4
	v_and_b32_e32 v0, v0, v5
	v_lshlrev_b32_e32 v5, 24, v36
	v_and_b32_e32 v37, v37, v4
	v_mov_b32_e32 v4, v1
	v_not_b32_e32 v1, v5
	v_cmp_gt_i64_e32 vcc, 0, v[4:5]
	v_ashrrev_i32_e32 v1, 31, v1
	ds_read_b32 v34, v35 offset:64
	v_xor_b32_e32 v4, vcc_hi, v1
	v_xor_b32_e32 v5, vcc_lo, v1
	v_and_b32_e32 v1, v0, v4
	v_and_b32_e32 v0, v37, v5
	v_mbcnt_lo_u32_b32 v4, v0, 0
	v_mbcnt_hi_u32_b32 v36, v1, v4
	v_cmp_eq_u32_e32 vcc, 0, v36
	v_cmp_ne_u64_e64 s[0:1], 0, v[0:1]
	s_and_b64 s[4:5], s[0:1], vcc
	; wave barrier
	s_and_saveexec_b64 s[0:1], s[4:5]
	s_cbranch_execz .LBB1385_109
; %bb.108:
	v_bcnt_u32_b32 v0, v0, 0
	v_bcnt_u32_b32 v0, v1, v0
	s_waitcnt lgkmcnt(0)
	v_add_u32_e32 v0, v34, v0
	ds_write_b32 v35, v0 offset:64
.LBB1385_109:
	s_or_b64 exec, exec, s[0:1]
	s_waitcnt vmcnt(5)
	v_lshrrev_b32_sdwa v0, s24, v12 dst_sel:DWORD dst_unused:UNUSED_PAD src0_sel:DWORD src1_sel:WORD_0
	v_and_b32_e32 v39, s14, v0
	v_mul_u32_u24_e32 v0, 17, v39
	v_add_lshl_u32 v38, v27, v0, 2
	v_and_b32_e32 v0, 1, v39
	v_mov_b32_e32 v1, 0
	v_lshl_add_u64 v[4:5], v[0:1], 0, -1
	v_cmp_ne_u32_e32 vcc, 0, v0
	; wave barrier
	s_nop 1
	v_xor_b32_e32 v4, vcc_lo, v4
	v_xor_b32_e32 v0, vcc_hi, v5
	v_and_b32_e32 v40, exec_lo, v4
	v_lshlrev_b32_e32 v5, 30, v39
	v_mov_b32_e32 v4, v1
	v_cmp_gt_i64_e32 vcc, 0, v[4:5]
	v_not_b32_e32 v4, v5
	v_ashrrev_i32_e32 v4, 31, v4
	v_and_b32_e32 v0, exec_hi, v0
	v_xor_b32_e32 v5, vcc_hi, v4
	v_xor_b32_e32 v4, vcc_lo, v4
	v_and_b32_e32 v0, v0, v5
	v_and_b32_e32 v40, v40, v4
	v_lshlrev_b32_e32 v5, 29, v39
	v_mov_b32_e32 v4, v1
	v_cmp_gt_i64_e32 vcc, 0, v[4:5]
	v_not_b32_e32 v4, v5
	v_ashrrev_i32_e32 v4, 31, v4
	v_xor_b32_e32 v5, vcc_hi, v4
	v_xor_b32_e32 v4, vcc_lo, v4
	v_and_b32_e32 v0, v0, v5
	v_and_b32_e32 v40, v40, v4
	v_lshlrev_b32_e32 v5, 28, v39
	v_mov_b32_e32 v4, v1
	v_cmp_gt_i64_e32 vcc, 0, v[4:5]
	v_not_b32_e32 v4, v5
	v_ashrrev_i32_e32 v4, 31, v4
	;; [unrolled: 9-line block ×6, first 2 shown]
	v_xor_b32_e32 v5, vcc_hi, v4
	v_xor_b32_e32 v4, vcc_lo, v4
	ds_read_b32 v37, v38 offset:64
	v_and_b32_e32 v4, v40, v4
	v_and_b32_e32 v5, v0, v5
	v_mbcnt_lo_u32_b32 v0, v4, 0
	v_mbcnt_hi_u32_b32 v39, v5, v0
	v_cmp_eq_u32_e32 vcc, 0, v39
	v_cmp_ne_u64_e64 s[0:1], 0, v[4:5]
	s_and_b64 s[4:5], s[0:1], vcc
	; wave barrier
	s_and_saveexec_b64 s[0:1], s[4:5]
	s_cbranch_execz .LBB1385_111
; %bb.110:
	v_bcnt_u32_b32 v0, v4, 0
	v_bcnt_u32_b32 v0, v5, v0
	s_waitcnt lgkmcnt(0)
	v_add_u32_e32 v0, v37, v0
	ds_write_b32 v38, v0 offset:64
.LBB1385_111:
	s_or_b64 exec, exec, s[0:1]
	s_waitcnt vmcnt(4)
	v_lshrrev_b32_sdwa v0, s24, v11 dst_sel:DWORD dst_unused:UNUSED_PAD src0_sel:DWORD src1_sel:WORD_0
	v_and_b32_e32 v42, s14, v0
	v_mul_u32_u24_e32 v0, 17, v42
	v_add_lshl_u32 v41, v27, v0, 2
	v_and_b32_e32 v0, 1, v42
	v_lshl_add_u64 v[4:5], v[0:1], 0, -1
	v_cmp_ne_u32_e32 vcc, 0, v0
	; wave barrier
	s_nop 1
	v_xor_b32_e32 v4, vcc_lo, v4
	v_xor_b32_e32 v0, vcc_hi, v5
	v_and_b32_e32 v43, exec_lo, v4
	v_lshlrev_b32_e32 v5, 30, v42
	v_mov_b32_e32 v4, v1
	v_cmp_gt_i64_e32 vcc, 0, v[4:5]
	v_not_b32_e32 v4, v5
	v_ashrrev_i32_e32 v4, 31, v4
	v_and_b32_e32 v0, exec_hi, v0
	v_xor_b32_e32 v5, vcc_hi, v4
	v_xor_b32_e32 v4, vcc_lo, v4
	v_and_b32_e32 v0, v0, v5
	v_and_b32_e32 v43, v43, v4
	v_lshlrev_b32_e32 v5, 29, v42
	v_mov_b32_e32 v4, v1
	v_cmp_gt_i64_e32 vcc, 0, v[4:5]
	v_not_b32_e32 v4, v5
	v_ashrrev_i32_e32 v4, 31, v4
	v_xor_b32_e32 v5, vcc_hi, v4
	v_xor_b32_e32 v4, vcc_lo, v4
	v_and_b32_e32 v0, v0, v5
	v_and_b32_e32 v43, v43, v4
	v_lshlrev_b32_e32 v5, 28, v42
	v_mov_b32_e32 v4, v1
	v_cmp_gt_i64_e32 vcc, 0, v[4:5]
	v_not_b32_e32 v4, v5
	v_ashrrev_i32_e32 v4, 31, v4
	v_xor_b32_e32 v5, vcc_hi, v4
	v_xor_b32_e32 v4, vcc_lo, v4
	v_and_b32_e32 v0, v0, v5
	v_and_b32_e32 v43, v43, v4
	v_lshlrev_b32_e32 v5, 27, v42
	v_mov_b32_e32 v4, v1
	v_cmp_gt_i64_e32 vcc, 0, v[4:5]
	v_not_b32_e32 v4, v5
	v_ashrrev_i32_e32 v4, 31, v4
	v_xor_b32_e32 v5, vcc_hi, v4
	v_xor_b32_e32 v4, vcc_lo, v4
	v_and_b32_e32 v0, v0, v5
	v_and_b32_e32 v43, v43, v4
	v_lshlrev_b32_e32 v5, 26, v42
	v_mov_b32_e32 v4, v1
	v_cmp_gt_i64_e32 vcc, 0, v[4:5]
	v_not_b32_e32 v4, v5
	v_ashrrev_i32_e32 v4, 31, v4
	v_xor_b32_e32 v5, vcc_hi, v4
	v_xor_b32_e32 v4, vcc_lo, v4
	v_and_b32_e32 v0, v0, v5
	v_and_b32_e32 v43, v43, v4
	v_lshlrev_b32_e32 v5, 25, v42
	v_mov_b32_e32 v4, v1
	v_cmp_gt_i64_e32 vcc, 0, v[4:5]
	v_not_b32_e32 v4, v5
	v_ashrrev_i32_e32 v4, 31, v4
	v_xor_b32_e32 v5, vcc_hi, v4
	v_xor_b32_e32 v4, vcc_lo, v4
	v_and_b32_e32 v0, v0, v5
	v_lshlrev_b32_e32 v5, 24, v42
	v_and_b32_e32 v43, v43, v4
	v_mov_b32_e32 v4, v1
	v_not_b32_e32 v1, v5
	v_cmp_gt_i64_e32 vcc, 0, v[4:5]
	v_ashrrev_i32_e32 v1, 31, v1
	ds_read_b32 v40, v41 offset:64
	v_xor_b32_e32 v4, vcc_hi, v1
	v_xor_b32_e32 v5, vcc_lo, v1
	v_and_b32_e32 v1, v0, v4
	v_and_b32_e32 v0, v43, v5
	v_mbcnt_lo_u32_b32 v4, v0, 0
	v_mbcnt_hi_u32_b32 v42, v1, v4
	v_cmp_eq_u32_e32 vcc, 0, v42
	v_cmp_ne_u64_e64 s[0:1], 0, v[0:1]
	s_and_b64 s[4:5], s[0:1], vcc
	; wave barrier
	s_and_saveexec_b64 s[0:1], s[4:5]
	s_cbranch_execz .LBB1385_113
; %bb.112:
	v_bcnt_u32_b32 v0, v0, 0
	v_bcnt_u32_b32 v0, v1, v0
	s_waitcnt lgkmcnt(0)
	v_add_u32_e32 v0, v40, v0
	ds_write_b32 v41, v0 offset:64
.LBB1385_113:
	s_or_b64 exec, exec, s[0:1]
	s_waitcnt vmcnt(3)
	v_lshrrev_b32_sdwa v0, s24, v10 dst_sel:DWORD dst_unused:UNUSED_PAD src0_sel:DWORD src1_sel:WORD_0
	v_and_b32_e32 v45, s14, v0
	v_mul_u32_u24_e32 v0, 17, v45
	v_add_lshl_u32 v44, v27, v0, 2
	v_and_b32_e32 v0, 1, v45
	v_mov_b32_e32 v1, 0
	v_lshl_add_u64 v[4:5], v[0:1], 0, -1
	v_cmp_ne_u32_e32 vcc, 0, v0
	; wave barrier
	s_nop 1
	v_xor_b32_e32 v4, vcc_lo, v4
	v_xor_b32_e32 v0, vcc_hi, v5
	v_and_b32_e32 v46, exec_lo, v4
	v_lshlrev_b32_e32 v5, 30, v45
	v_mov_b32_e32 v4, v1
	v_cmp_gt_i64_e32 vcc, 0, v[4:5]
	v_not_b32_e32 v4, v5
	v_ashrrev_i32_e32 v4, 31, v4
	v_and_b32_e32 v0, exec_hi, v0
	v_xor_b32_e32 v5, vcc_hi, v4
	v_xor_b32_e32 v4, vcc_lo, v4
	v_and_b32_e32 v0, v0, v5
	v_and_b32_e32 v46, v46, v4
	v_lshlrev_b32_e32 v5, 29, v45
	v_mov_b32_e32 v4, v1
	v_cmp_gt_i64_e32 vcc, 0, v[4:5]
	v_not_b32_e32 v4, v5
	v_ashrrev_i32_e32 v4, 31, v4
	v_xor_b32_e32 v5, vcc_hi, v4
	v_xor_b32_e32 v4, vcc_lo, v4
	v_and_b32_e32 v0, v0, v5
	v_and_b32_e32 v46, v46, v4
	v_lshlrev_b32_e32 v5, 28, v45
	v_mov_b32_e32 v4, v1
	v_cmp_gt_i64_e32 vcc, 0, v[4:5]
	v_not_b32_e32 v4, v5
	v_ashrrev_i32_e32 v4, 31, v4
	;; [unrolled: 9-line block ×6, first 2 shown]
	v_xor_b32_e32 v5, vcc_hi, v4
	v_xor_b32_e32 v4, vcc_lo, v4
	ds_read_b32 v43, v44 offset:64
	v_and_b32_e32 v4, v46, v4
	v_and_b32_e32 v5, v0, v5
	v_mbcnt_lo_u32_b32 v0, v4, 0
	v_mbcnt_hi_u32_b32 v45, v5, v0
	v_cmp_eq_u32_e32 vcc, 0, v45
	v_cmp_ne_u64_e64 s[0:1], 0, v[4:5]
	s_and_b64 s[4:5], s[0:1], vcc
	; wave barrier
	s_and_saveexec_b64 s[0:1], s[4:5]
	s_cbranch_execz .LBB1385_115
; %bb.114:
	v_bcnt_u32_b32 v0, v4, 0
	v_bcnt_u32_b32 v0, v5, v0
	s_waitcnt lgkmcnt(0)
	v_add_u32_e32 v0, v43, v0
	ds_write_b32 v44, v0 offset:64
.LBB1385_115:
	s_or_b64 exec, exec, s[0:1]
	s_waitcnt vmcnt(2)
	v_lshrrev_b32_sdwa v0, s24, v9 dst_sel:DWORD dst_unused:UNUSED_PAD src0_sel:DWORD src1_sel:WORD_0
	v_and_b32_e32 v48, s14, v0
	v_mul_u32_u24_e32 v0, 17, v48
	v_add_lshl_u32 v47, v27, v0, 2
	v_and_b32_e32 v0, 1, v48
	v_lshl_add_u64 v[4:5], v[0:1], 0, -1
	v_cmp_ne_u32_e32 vcc, 0, v0
	; wave barrier
	s_nop 1
	v_xor_b32_e32 v4, vcc_lo, v4
	v_xor_b32_e32 v0, vcc_hi, v5
	v_and_b32_e32 v49, exec_lo, v4
	v_lshlrev_b32_e32 v5, 30, v48
	v_mov_b32_e32 v4, v1
	v_cmp_gt_i64_e32 vcc, 0, v[4:5]
	v_not_b32_e32 v4, v5
	v_ashrrev_i32_e32 v4, 31, v4
	v_and_b32_e32 v0, exec_hi, v0
	v_xor_b32_e32 v5, vcc_hi, v4
	v_xor_b32_e32 v4, vcc_lo, v4
	v_and_b32_e32 v0, v0, v5
	v_and_b32_e32 v49, v49, v4
	v_lshlrev_b32_e32 v5, 29, v48
	v_mov_b32_e32 v4, v1
	v_cmp_gt_i64_e32 vcc, 0, v[4:5]
	v_not_b32_e32 v4, v5
	v_ashrrev_i32_e32 v4, 31, v4
	v_xor_b32_e32 v5, vcc_hi, v4
	v_xor_b32_e32 v4, vcc_lo, v4
	v_and_b32_e32 v0, v0, v5
	v_and_b32_e32 v49, v49, v4
	v_lshlrev_b32_e32 v5, 28, v48
	v_mov_b32_e32 v4, v1
	v_cmp_gt_i64_e32 vcc, 0, v[4:5]
	v_not_b32_e32 v4, v5
	v_ashrrev_i32_e32 v4, 31, v4
	;; [unrolled: 9-line block ×5, first 2 shown]
	v_xor_b32_e32 v5, vcc_hi, v4
	v_xor_b32_e32 v4, vcc_lo, v4
	v_and_b32_e32 v0, v0, v5
	v_lshlrev_b32_e32 v5, 24, v48
	v_and_b32_e32 v49, v49, v4
	v_mov_b32_e32 v4, v1
	v_not_b32_e32 v1, v5
	v_cmp_gt_i64_e32 vcc, 0, v[4:5]
	v_ashrrev_i32_e32 v1, 31, v1
	ds_read_b32 v46, v47 offset:64
	v_xor_b32_e32 v4, vcc_hi, v1
	v_xor_b32_e32 v5, vcc_lo, v1
	v_and_b32_e32 v1, v0, v4
	v_and_b32_e32 v0, v49, v5
	v_mbcnt_lo_u32_b32 v4, v0, 0
	v_mbcnt_hi_u32_b32 v48, v1, v4
	v_cmp_eq_u32_e32 vcc, 0, v48
	v_cmp_ne_u64_e64 s[0:1], 0, v[0:1]
	s_and_b64 s[4:5], s[0:1], vcc
	; wave barrier
	s_and_saveexec_b64 s[0:1], s[4:5]
	s_cbranch_execz .LBB1385_117
; %bb.116:
	v_bcnt_u32_b32 v0, v0, 0
	v_bcnt_u32_b32 v0, v1, v0
	s_waitcnt lgkmcnt(0)
	v_add_u32_e32 v0, v46, v0
	ds_write_b32 v47, v0 offset:64
.LBB1385_117:
	s_or_b64 exec, exec, s[0:1]
	s_waitcnt vmcnt(1)
	v_lshrrev_b32_sdwa v0, s24, v8 dst_sel:DWORD dst_unused:UNUSED_PAD src0_sel:DWORD src1_sel:WORD_0
	v_and_b32_e32 v51, s14, v0
	v_mul_u32_u24_e32 v0, 17, v51
	v_add_lshl_u32 v50, v27, v0, 2
	v_and_b32_e32 v0, 1, v51
	v_mov_b32_e32 v1, 0
	v_lshl_add_u64 v[4:5], v[0:1], 0, -1
	v_cmp_ne_u32_e32 vcc, 0, v0
	; wave barrier
	s_nop 1
	v_xor_b32_e32 v4, vcc_lo, v4
	v_xor_b32_e32 v0, vcc_hi, v5
	v_and_b32_e32 v52, exec_lo, v4
	v_lshlrev_b32_e32 v5, 30, v51
	v_mov_b32_e32 v4, v1
	v_cmp_gt_i64_e32 vcc, 0, v[4:5]
	v_not_b32_e32 v4, v5
	v_ashrrev_i32_e32 v4, 31, v4
	v_and_b32_e32 v0, exec_hi, v0
	v_xor_b32_e32 v5, vcc_hi, v4
	v_xor_b32_e32 v4, vcc_lo, v4
	v_and_b32_e32 v0, v0, v5
	v_and_b32_e32 v52, v52, v4
	v_lshlrev_b32_e32 v5, 29, v51
	v_mov_b32_e32 v4, v1
	v_cmp_gt_i64_e32 vcc, 0, v[4:5]
	v_not_b32_e32 v4, v5
	v_ashrrev_i32_e32 v4, 31, v4
	v_xor_b32_e32 v5, vcc_hi, v4
	v_xor_b32_e32 v4, vcc_lo, v4
	v_and_b32_e32 v0, v0, v5
	v_and_b32_e32 v52, v52, v4
	v_lshlrev_b32_e32 v5, 28, v51
	v_mov_b32_e32 v4, v1
	v_cmp_gt_i64_e32 vcc, 0, v[4:5]
	v_not_b32_e32 v4, v5
	v_ashrrev_i32_e32 v4, 31, v4
	;; [unrolled: 9-line block ×6, first 2 shown]
	v_xor_b32_e32 v5, vcc_hi, v4
	v_xor_b32_e32 v4, vcc_lo, v4
	ds_read_b32 v49, v50 offset:64
	v_and_b32_e32 v4, v52, v4
	v_and_b32_e32 v5, v0, v5
	v_mbcnt_lo_u32_b32 v0, v4, 0
	v_mbcnt_hi_u32_b32 v51, v5, v0
	v_cmp_eq_u32_e32 vcc, 0, v51
	v_cmp_ne_u64_e64 s[0:1], 0, v[4:5]
	s_and_b64 s[4:5], s[0:1], vcc
	; wave barrier
	s_and_saveexec_b64 s[0:1], s[4:5]
	s_cbranch_execz .LBB1385_119
; %bb.118:
	v_bcnt_u32_b32 v0, v4, 0
	v_bcnt_u32_b32 v0, v5, v0
	s_waitcnt lgkmcnt(0)
	v_add_u32_e32 v0, v49, v0
	ds_write_b32 v50, v0 offset:64
.LBB1385_119:
	s_or_b64 exec, exec, s[0:1]
	s_waitcnt vmcnt(0)
	v_lshrrev_b32_sdwa v0, s24, v7 dst_sel:DWORD dst_unused:UNUSED_PAD src0_sel:DWORD src1_sel:WORD_0
	v_and_b32_e32 v55, s14, v0
	v_mul_u32_u24_e32 v0, 17, v55
	v_add_lshl_u32 v53, v27, v0, 2
	v_and_b32_e32 v0, 1, v55
	v_lshl_add_u64 v[4:5], v[0:1], 0, -1
	v_cmp_ne_u32_e32 vcc, 0, v0
	; wave barrier
	s_nop 1
	v_xor_b32_e32 v4, vcc_lo, v4
	v_xor_b32_e32 v0, vcc_hi, v5
	v_and_b32_e32 v27, exec_lo, v4
	v_lshlrev_b32_e32 v5, 30, v55
	v_mov_b32_e32 v4, v1
	v_cmp_gt_i64_e32 vcc, 0, v[4:5]
	v_not_b32_e32 v4, v5
	v_ashrrev_i32_e32 v4, 31, v4
	v_and_b32_e32 v0, exec_hi, v0
	v_xor_b32_e32 v5, vcc_hi, v4
	v_xor_b32_e32 v4, vcc_lo, v4
	v_and_b32_e32 v0, v0, v5
	v_and_b32_e32 v27, v27, v4
	v_lshlrev_b32_e32 v5, 29, v55
	v_mov_b32_e32 v4, v1
	v_cmp_gt_i64_e32 vcc, 0, v[4:5]
	v_not_b32_e32 v4, v5
	v_ashrrev_i32_e32 v4, 31, v4
	v_xor_b32_e32 v5, vcc_hi, v4
	v_xor_b32_e32 v4, vcc_lo, v4
	v_and_b32_e32 v0, v0, v5
	v_and_b32_e32 v27, v27, v4
	v_lshlrev_b32_e32 v5, 28, v55
	v_mov_b32_e32 v4, v1
	v_cmp_gt_i64_e32 vcc, 0, v[4:5]
	v_not_b32_e32 v4, v5
	v_ashrrev_i32_e32 v4, 31, v4
	;; [unrolled: 9-line block ×5, first 2 shown]
	v_xor_b32_e32 v5, vcc_hi, v4
	v_xor_b32_e32 v4, vcc_lo, v4
	v_and_b32_e32 v0, v0, v5
	v_lshlrev_b32_e32 v5, 24, v55
	v_and_b32_e32 v27, v27, v4
	v_mov_b32_e32 v4, v1
	v_not_b32_e32 v1, v5
	v_cmp_gt_i64_e32 vcc, 0, v[4:5]
	v_ashrrev_i32_e32 v1, 31, v1
	ds_read_b32 v52, v53 offset:64
	v_xor_b32_e32 v4, vcc_hi, v1
	v_xor_b32_e32 v5, vcc_lo, v1
	v_and_b32_e32 v1, v0, v4
	v_and_b32_e32 v0, v27, v5
	v_mbcnt_lo_u32_b32 v4, v0, 0
	v_mbcnt_hi_u32_b32 v55, v1, v4
	v_cmp_eq_u32_e32 vcc, 0, v55
	v_cmp_ne_u64_e64 s[0:1], 0, v[0:1]
	v_add_u32_e32 v54, 64, v18
	s_and_b64 s[4:5], s[0:1], vcc
	; wave barrier
	s_and_saveexec_b64 s[0:1], s[4:5]
	s_cbranch_execz .LBB1385_121
; %bb.120:
	v_bcnt_u32_b32 v0, v0, 0
	v_bcnt_u32_b32 v0, v1, v0
	s_waitcnt lgkmcnt(0)
	v_add_u32_e32 v0, v52, v0
	ds_write_b32 v53, v0 offset:64
.LBB1385_121:
	s_or_b64 exec, exec, s[0:1]
	; wave barrier
	s_waitcnt lgkmcnt(0)
	s_barrier
	ds_read2_b32 v[4:5], v18 offset0:16 offset1:17
	ds_read2_b32 v[0:1], v54 offset0:2 offset1:3
	ds_read_b32 v27, v54 offset:16
	v_cmp_lt_u32_e64 s[8:9], 31, v6
	s_waitcnt lgkmcnt(1)
	v_add3_u32 v56, v5, v4, v0
	s_waitcnt lgkmcnt(0)
	v_add3_u32 v27, v56, v1, v27
	v_and_b32_e32 v56, 15, v6
	v_cmp_eq_u32_e32 vcc, 0, v56
	v_mov_b32_dpp v57, v27 row_shr:1 row_mask:0xf bank_mask:0xf
	v_cmp_lt_u32_e64 s[0:1], 1, v56
	v_cndmask_b32_e64 v57, v57, 0, vcc
	v_add_u32_e32 v27, v57, v27
	v_cmp_lt_u32_e64 s[6:7], 3, v56
	v_cmp_lt_u32_e64 s[4:5], 7, v56
	v_mov_b32_dpp v57, v27 row_shr:2 row_mask:0xf bank_mask:0xf
	v_cndmask_b32_e64 v57, 0, v57, s[0:1]
	v_add_u32_e32 v27, v27, v57
	s_nop 1
	v_mov_b32_dpp v57, v27 row_shr:4 row_mask:0xf bank_mask:0xf
	v_cndmask_b32_e64 v57, 0, v57, s[6:7]
	v_add_u32_e32 v27, v27, v57
	s_nop 1
	v_mov_b32_dpp v57, v27 row_shr:8 row_mask:0xf bank_mask:0xf
	v_cndmask_b32_e64 v56, 0, v57, s[4:5]
	v_add_u32_e32 v27, v27, v56
	v_bfe_i32 v57, v6, 4, 1
	s_nop 0
	v_mov_b32_dpp v56, v27 row_bcast:15 row_mask:0xf bank_mask:0xf
	v_and_b32_e32 v56, v57, v56
	v_add_u32_e32 v27, v27, v56
	v_lshrrev_b32_e32 v57, 6, v2
	s_nop 0
	v_mov_b32_dpp v56, v27 row_bcast:31 row_mask:0xf bank_mask:0xf
	v_cndmask_b32_e64 v56, 0, v56, s[8:9]
	v_add_u32_e32 v56, v27, v56
	v_and_b32_e32 v27, 63, v2
	v_cmp_eq_u32_e64 s[8:9], 63, v27
	s_and_saveexec_b64 s[12:13], s[8:9]
	s_cbranch_execz .LBB1385_123
; %bb.122:
	v_lshlrev_b32_e32 v27, 2, v57
	ds_write_b32 v27, v56
.LBB1385_123:
	s_or_b64 exec, exec, s[12:13]
	v_cmp_gt_u32_e64 s[8:9], 16, v2
	v_lshlrev_b32_e32 v27, 2, v2
	s_waitcnt lgkmcnt(0)
	s_barrier
	s_and_saveexec_b64 s[12:13], s[8:9]
	s_cbranch_execz .LBB1385_125
; %bb.124:
	ds_read_b32 v58, v27
	s_waitcnt lgkmcnt(0)
	s_nop 0
	v_mov_b32_dpp v59, v58 row_shr:1 row_mask:0xf bank_mask:0xf
	v_cndmask_b32_e64 v59, v59, 0, vcc
	v_add_u32_e32 v58, v59, v58
	s_nop 1
	v_mov_b32_dpp v59, v58 row_shr:2 row_mask:0xf bank_mask:0xf
	v_cndmask_b32_e64 v59, 0, v59, s[0:1]
	v_add_u32_e32 v58, v58, v59
	s_nop 1
	v_mov_b32_dpp v59, v58 row_shr:4 row_mask:0xf bank_mask:0xf
	v_cndmask_b32_e64 v59, 0, v59, s[6:7]
	;; [unrolled: 4-line block ×3, first 2 shown]
	v_add_u32_e32 v58, v58, v59
	ds_write_b32 v27, v58
.LBB1385_125:
	s_or_b64 exec, exec, s[12:13]
	v_cmp_lt_u32_e32 vcc, 63, v2
	v_mov_b32_e32 v58, 0
	s_waitcnt lgkmcnt(0)
	s_barrier
	s_and_saveexec_b64 s[0:1], vcc
	s_cbranch_execz .LBB1385_127
; %bb.126:
	v_lshl_add_u32 v57, v57, 2, -4
	ds_read_b32 v58, v57
.LBB1385_127:
	s_or_b64 exec, exec, s[0:1]
	v_add_u32_e32 v57, -1, v6
	v_and_b32_e32 v59, 64, v6
	v_cmp_lt_i32_e32 vcc, v57, v59
	s_waitcnt lgkmcnt(0)
	v_add_u32_e32 v56, v58, v56
	s_movk_i32 s4, 0xff
	v_cndmask_b32_e32 v57, v57, v6, vcc
	v_lshlrev_b32_e32 v57, 2, v57
	ds_bpermute_b32 v56, v57, v56
	v_cmp_eq_u32_e32 vcc, 0, v6
	s_movk_i32 s5, 0x100
	v_cmp_lt_u32_e64 s[0:1], s4, v2
	s_waitcnt lgkmcnt(0)
	v_cndmask_b32_e32 v6, v56, v58, vcc
	v_cmp_ne_u32_e32 vcc, 0, v2
	s_nop 1
	v_cndmask_b32_e32 v6, 0, v6, vcc
	v_add_u32_e32 v4, v6, v4
	v_add_u32_e32 v5, v4, v5
	v_add_u32_e32 v0, v5, v0
	v_add_u32_e32 v1, v0, v1
	ds_write2_b32 v18, v6, v4 offset0:16 offset1:17
	ds_write2_b32 v54, v5, v0 offset0:2 offset1:3
	ds_write_b32 v54, v1 offset:16
	s_waitcnt lgkmcnt(0)
	s_barrier
	ds_read_b32 v58, v20 offset:64
	ds_read_b32 v57, v22 offset:64
	;; [unrolled: 1-line block ×12, first 2 shown]
	v_cmp_gt_u32_e32 vcc, s5, v2
                                        ; implicit-def: $vgpr18
                                        ; implicit-def: $vgpr20
	s_and_saveexec_b64 s[6:7], vcc
	s_cbranch_execz .LBB1385_131
; %bb.128:
	v_mul_u32_u24_e32 v18, 17, v2
	v_lshlrev_b32_e32 v32, 2, v18
	ds_read_b32 v18, v32 offset:64
	v_cmp_ne_u32_e64 s[4:5], s4, v2
	v_mov_b32_e32 v20, 0x3000
	s_and_saveexec_b64 s[8:9], s[4:5]
	s_cbranch_execz .LBB1385_130
; %bb.129:
	ds_read_b32 v20, v32 offset:132
.LBB1385_130:
	s_or_b64 exec, exec, s[8:9]
	s_waitcnt lgkmcnt(0)
	v_sub_u32_e32 v20, v20, v18
.LBB1385_131:
	s_or_b64 exec, exec, s[6:7]
	v_add_u32_e32 v21, v23, v21
	s_waitcnt lgkmcnt(11)
	v_add_lshl_u32 v19, v58, v19, 1
	v_add_u32_e32 v24, v26, v24
	s_waitcnt lgkmcnt(0)
	s_barrier
	ds_write_b16 v19, v3 offset:1024
	v_add_lshl_u32 v3, v21, v57, 1
	v_add_u32_e32 v28, v30, v28
	ds_write_b16 v3, v17 offset:1024
	v_add_lshl_u32 v3, v24, v56, 1
	v_add_u32_e32 v31, v33, v31
	;; [unrolled: 3-line block ×7, first 2 shown]
	v_add_u32_e32 v35, v51, v49
	v_add_u32_e32 v38, v48, v46
	ds_write_b16 v3, v11 offset:1024
	v_add_lshl_u32 v3, v41, v5, 1
	ds_write_b16 v3, v10 offset:1024
	v_add_lshl_u32 v3, v38, v4, 1
	v_add_lshl_u32 v1, v35, v1, 1
	;; [unrolled: 1-line block ×3, first 2 shown]
	ds_write_b16 v3, v9 offset:1024
	ds_write_b16 v1, v8 offset:1024
	;; [unrolled: 1-line block ×3, first 2 shown]
	s_and_saveexec_b64 s[4:5], s[0:1]
	s_xor_b64 s[0:1], exec, s[4:5]
; %bb.132:
	v_mov_b32_e32 v3, 0
                                        ; implicit-def: $vgpr27
; %bb.133:
	s_andn2_saveexec_b64 s[4:5], s[0:1]
	s_cbranch_execz .LBB1385_143
; %bb.134:
	v_lshl_or_b32 v4, s2, 8, v2
	v_mov_b32_e32 v5, 0
	v_lshl_add_u64 v[0:1], v[4:5], 2, s[28:29]
	v_or_b32_e32 v3, 2.0, v20
	s_mov_b64 s[6:7], 0
	s_brev_b32 s15, 1
	s_mov_b32 s20, s2
	v_mov_b32_e32 v8, 0
	global_store_dword v[0:1], v3, off sc1
                                        ; implicit-def: $sgpr0_sgpr1
	s_branch .LBB1385_137
.LBB1385_135:                           ;   in Loop: Header=BB1385_137 Depth=1
	s_or_b64 exec, exec, s[12:13]
.LBB1385_136:                           ;   in Loop: Header=BB1385_137 Depth=1
	s_or_b64 exec, exec, s[8:9]
	v_and_b32_e32 v4, 0x3fffffff, v4
	v_add_u32_e32 v8, v4, v8
	v_cmp_eq_u32_e64 s[0:1], s15, v3
	s_and_b64 s[8:9], exec, s[0:1]
	s_or_b64 s[6:7], s[8:9], s[6:7]
	s_andn2_b64 exec, exec, s[6:7]
	s_cbranch_execz .LBB1385_142
.LBB1385_137:                           ; =>This Loop Header: Depth=1
                                        ;     Child Loop BB1385_140 Depth 2
	s_or_b64 s[0:1], s[0:1], exec
	s_cmp_eq_u32 s20, 0
	s_cbranch_scc1 .LBB1385_141
; %bb.138:                              ;   in Loop: Header=BB1385_137 Depth=1
	s_add_i32 s20, s20, -1
	v_lshl_or_b32 v4, s20, 8, v2
	v_lshl_add_u64 v[6:7], v[4:5], 2, s[28:29]
	global_load_dword v4, v[6:7], off sc1
	s_waitcnt vmcnt(0)
	v_and_b32_e32 v3, -2.0, v4
	v_cmp_eq_u32_e64 s[0:1], 0, v3
	s_and_saveexec_b64 s[8:9], s[0:1]
	s_cbranch_execz .LBB1385_136
; %bb.139:                              ;   in Loop: Header=BB1385_137 Depth=1
	s_mov_b64 s[12:13], 0
.LBB1385_140:                           ;   Parent Loop BB1385_137 Depth=1
                                        ; =>  This Inner Loop Header: Depth=2
	global_load_dword v4, v[6:7], off sc1
	s_waitcnt vmcnt(0)
	v_and_b32_e32 v3, -2.0, v4
	v_cmp_ne_u32_e64 s[0:1], 0, v3
	s_or_b64 s[12:13], s[0:1], s[12:13]
	s_andn2_b64 exec, exec, s[12:13]
	s_cbranch_execnz .LBB1385_140
	s_branch .LBB1385_135
.LBB1385_141:                           ;   in Loop: Header=BB1385_137 Depth=1
                                        ; implicit-def: $sgpr20
	s_and_b64 s[8:9], exec, s[0:1]
	s_or_b64 s[6:7], s[8:9], s[6:7]
	s_andn2_b64 exec, exec, s[6:7]
	s_cbranch_execnz .LBB1385_137
.LBB1385_142:
	s_or_b64 exec, exec, s[6:7]
	v_add_u32_e32 v3, v8, v20
	v_or_b32_e32 v3, 0x80000000, v3
	global_store_dword v[0:1], v3, off sc1
	global_load_dword v0, v27, s[16:17]
	v_sub_u32_e32 v1, v8, v18
	v_mov_b32_e32 v3, 0
	s_waitcnt vmcnt(0)
	v_add_u32_e32 v0, v1, v0
	ds_write_b32 v27, v0
.LBB1385_143:
	s_or_b64 exec, exec, s[4:5]
	v_lshlrev_b32_e32 v0, 1, v2
	s_waitcnt lgkmcnt(0)
	s_barrier
	v_lshlrev_b32_e32 v1, 1, v2
	ds_read_u16 v6, v0 offset:1024
	ds_read_u16 v7, v1 offset:3072
	;; [unrolled: 1-line block ×7, first 2 shown]
	s_waitcnt lgkmcnt(6)
	v_lshrrev_b32_sdwa v0, s24, v6 dst_sel:DWORD dst_unused:UNUSED_PAD src0_sel:DWORD src1_sel:WORD_0
	s_waitcnt lgkmcnt(4)
	v_lshrrev_b32_sdwa v5, s24, v8 dst_sel:DWORD dst_unused:UNUSED_PAD src0_sel:DWORD src1_sel:WORD_0
	v_and_b32_e32 v0, s14, v0
	v_lshrrev_b32_sdwa v4, s24, v7 dst_sel:DWORD dst_unused:UNUSED_PAD src0_sel:DWORD src1_sel:WORD_0
	v_and_b32_e32 v5, s14, v5
	v_lshlrev_b32_e32 v0, 2, v0
	v_and_b32_e32 v4, s14, v4
	v_lshlrev_b32_e32 v5, 2, v5
	v_lshlrev_b32_e32 v4, 2, v4
	ds_read_b32 v13, v5
	ds_read_b32 v0, v0
	ds_read_u16 v14, v1 offset:5120
	ds_read_u16 v15, v1 offset:9216
	;; [unrolled: 1-line block ×4, first 2 shown]
	ds_read_b32 v19, v4
	ds_read_u16 v21, v1 offset:21504
	s_waitcnt lgkmcnt(6)
	v_add_u32_e32 v0, v0, v2
	v_mov_b32_e32 v1, 0
	s_movk_i32 s0, 0x400
	v_lshl_add_u64 v[4:5], v[0:1], 1, s[22:23]
	s_waitcnt lgkmcnt(1)
	v_add3_u32 v0, v19, v2, s0
	global_store_short v[4:5], v6, off
	v_lshl_add_u64 v[4:5], v[0:1], 1, s[22:23]
	global_store_short v[4:5], v7, off
	v_lshrrev_b32_sdwa v0, s24, v14 dst_sel:DWORD dst_unused:UNUSED_PAD src0_sel:DWORD src1_sel:WORD_0
	v_lshrrev_b32_sdwa v6, s24, v16 dst_sel:DWORD dst_unused:UNUSED_PAD src0_sel:DWORD src1_sel:WORD_0
	v_lshrrev_b32_sdwa v7, s24, v10 dst_sel:DWORD dst_unused:UNUSED_PAD src0_sel:DWORD src1_sel:WORD_0
	v_lshrrev_b32_sdwa v19, s24, v17 dst_sel:DWORD dst_unused:UNUSED_PAD src0_sel:DWORD src1_sel:WORD_0
	v_lshrrev_b32_sdwa v22, s24, v11 dst_sel:DWORD dst_unused:UNUSED_PAD src0_sel:DWORD src1_sel:WORD_0
	s_waitcnt lgkmcnt(0)
	v_lshrrev_b32_sdwa v23, s24, v21 dst_sel:DWORD dst_unused:UNUSED_PAD src0_sel:DWORD src1_sel:WORD_0
	v_and_b32_e32 v0, s14, v0
	v_lshrrev_b32_sdwa v4, s24, v15 dst_sel:DWORD dst_unused:UNUSED_PAD src0_sel:DWORD src1_sel:WORD_0
	v_lshrrev_b32_sdwa v5, s24, v9 dst_sel:DWORD dst_unused:UNUSED_PAD src0_sel:DWORD src1_sel:WORD_0
	v_and_b32_e32 v6, s14, v6
	v_and_b32_e32 v7, s14, v7
	;; [unrolled: 1-line block ×5, first 2 shown]
	v_lshlrev_b32_e32 v0, 2, v0
	v_and_b32_e32 v4, s14, v4
	v_and_b32_e32 v5, s14, v5
	v_lshlrev_b32_e32 v6, 2, v6
	v_lshlrev_b32_e32 v7, 2, v7
	;; [unrolled: 1-line block ×5, first 2 shown]
	s_movk_i32 s0, 0x800
	v_lshlrev_b32_e32 v4, 2, v4
	v_lshlrev_b32_e32 v5, 2, v5
	ds_read_b32 v0, v0
	ds_read_b32 v24, v4
	;; [unrolled: 1-line block ×8, first 2 shown]
	s_waitcnt lgkmcnt(7)
	v_add3_u32 v0, v0, v2, s0
	s_movk_i32 s0, 0xc00
	v_lshl_add_u64 v[4:5], v[0:1], 1, s[22:23]
	v_add3_u32 v0, v13, v2, s0
	s_movk_i32 s0, 0x1000
	global_store_short v[4:5], v14, off
	v_lshl_add_u64 v[4:5], v[0:1], 1, s[22:23]
	s_waitcnt lgkmcnt(6)
	v_add3_u32 v0, v24, v2, s0
	s_movk_i32 s0, 0x1400
	global_store_short v[4:5], v8, off
	v_lshl_add_u64 v[4:5], v[0:1], 1, s[22:23]
	s_waitcnt lgkmcnt(5)
	;; [unrolled: 5-line block ×6, first 2 shown]
	v_add3_u32 v0, v22, v2, s0
	global_store_short v[4:5], v17, off
	v_lshl_add_u64 v[4:5], v[0:1], 1, s[22:23]
	v_lshrrev_b32_sdwa v0, s24, v12 dst_sel:DWORD dst_unused:UNUSED_PAD src0_sel:DWORD src1_sel:WORD_0
	v_and_b32_e32 v0, s14, v0
	v_lshlrev_b32_e32 v0, 2, v0
	ds_read_b32 v6, v0
	s_movk_i32 s0, 0x2800
	s_add_i32 s3, s3, -1
	s_waitcnt lgkmcnt(1)
	v_add3_u32 v0, v23, v2, s0
	s_movk_i32 s0, 0x2c00
	s_cmp_eq_u32 s3, s2
	global_store_short v[4:5], v11, off
	v_lshl_add_u64 v[4:5], v[0:1], 1, s[22:23]
	s_waitcnt lgkmcnt(0)
	v_add3_u32 v0, v6, v2, s0
	s_cselect_b64 s[0:1], -1, 0
	v_lshl_add_u64 v[0:1], v[0:1], 1, s[22:23]
	s_and_b64 s[2:3], vcc, s[0:1]
	global_store_short v[4:5], v21, off
	global_store_short v[0:1], v12, off
                                        ; implicit-def: $vgpr4
	s_and_saveexec_b64 s[0:1], s[2:3]
; %bb.144:
	v_add_u32_e32 v4, v18, v20
	s_or_b64 s[10:11], s[10:11], exec
; %bb.145:
	s_or_b64 exec, exec, s[0:1]
.LBB1385_146:
	s_and_saveexec_b64 s[0:1], s[10:11]
	s_cbranch_execnz .LBB1385_148
; %bb.147:
	s_endpgm
.LBB1385_148:
	v_lshlrev_b32_e32 v0, 2, v2
	ds_read_b32 v5, v0
	v_mov_b32_e32 v0, s18
	v_mov_b32_e32 v1, s19
	v_lshl_add_u64 v[0:1], v[2:3], 2, v[0:1]
	s_waitcnt lgkmcnt(0)
	v_add_u32_e32 v2, v5, v4
	global_store_dword v[0:1], v2, off
	s_endpgm
	.section	.rodata,"a",@progbits
	.p2align	6, 0x0
	.amdhsa_kernel _ZN7rocprim17ROCPRIM_400000_NS6detail17trampoline_kernelINS0_14default_configENS1_35radix_sort_onesweep_config_selectorItNS0_10empty_typeEEEZZNS1_29radix_sort_onesweep_iterationIS3_Lb0EN6thrust23THRUST_200600_302600_NS6detail15normal_iteratorINS9_10device_ptrItEEEESE_PS5_SF_jNS0_19identity_decomposerENS1_16block_id_wrapperIjLb0EEEEE10hipError_tT1_PNSt15iterator_traitsISK_E10value_typeET2_T3_PNSL_ISQ_E10value_typeET4_T5_PSV_SW_PNS1_23onesweep_lookback_stateEbbT6_jjT7_P12ihipStream_tbENKUlT_T0_SK_SP_E_clIPtSE_SF_SF_EEDaS13_S14_SK_SP_EUlS13_E_NS1_11comp_targetILNS1_3genE5ELNS1_11target_archE942ELNS1_3gpuE9ELNS1_3repE0EEENS1_47radix_sort_onesweep_sort_config_static_selectorELNS0_4arch9wavefront6targetE1EEEvSK_
		.amdhsa_group_segment_fixed_size 25608
		.amdhsa_private_segment_fixed_size 0
		.amdhsa_kernarg_size 344
		.amdhsa_user_sgpr_count 2
		.amdhsa_user_sgpr_dispatch_ptr 0
		.amdhsa_user_sgpr_queue_ptr 0
		.amdhsa_user_sgpr_kernarg_segment_ptr 1
		.amdhsa_user_sgpr_dispatch_id 0
		.amdhsa_user_sgpr_kernarg_preload_length 0
		.amdhsa_user_sgpr_kernarg_preload_offset 0
		.amdhsa_user_sgpr_private_segment_size 0
		.amdhsa_uses_dynamic_stack 0
		.amdhsa_enable_private_segment 0
		.amdhsa_system_sgpr_workgroup_id_x 1
		.amdhsa_system_sgpr_workgroup_id_y 0
		.amdhsa_system_sgpr_workgroup_id_z 0
		.amdhsa_system_sgpr_workgroup_info 0
		.amdhsa_system_vgpr_workitem_id 2
		.amdhsa_next_free_vgpr 62
		.amdhsa_next_free_sgpr 32
		.amdhsa_accum_offset 64
		.amdhsa_reserve_vcc 1
		.amdhsa_float_round_mode_32 0
		.amdhsa_float_round_mode_16_64 0
		.amdhsa_float_denorm_mode_32 3
		.amdhsa_float_denorm_mode_16_64 3
		.amdhsa_dx10_clamp 1
		.amdhsa_ieee_mode 1
		.amdhsa_fp16_overflow 0
		.amdhsa_tg_split 0
		.amdhsa_exception_fp_ieee_invalid_op 0
		.amdhsa_exception_fp_denorm_src 0
		.amdhsa_exception_fp_ieee_div_zero 0
		.amdhsa_exception_fp_ieee_overflow 0
		.amdhsa_exception_fp_ieee_underflow 0
		.amdhsa_exception_fp_ieee_inexact 0
		.amdhsa_exception_int_div_zero 0
	.end_amdhsa_kernel
	.section	.text._ZN7rocprim17ROCPRIM_400000_NS6detail17trampoline_kernelINS0_14default_configENS1_35radix_sort_onesweep_config_selectorItNS0_10empty_typeEEEZZNS1_29radix_sort_onesweep_iterationIS3_Lb0EN6thrust23THRUST_200600_302600_NS6detail15normal_iteratorINS9_10device_ptrItEEEESE_PS5_SF_jNS0_19identity_decomposerENS1_16block_id_wrapperIjLb0EEEEE10hipError_tT1_PNSt15iterator_traitsISK_E10value_typeET2_T3_PNSL_ISQ_E10value_typeET4_T5_PSV_SW_PNS1_23onesweep_lookback_stateEbbT6_jjT7_P12ihipStream_tbENKUlT_T0_SK_SP_E_clIPtSE_SF_SF_EEDaS13_S14_SK_SP_EUlS13_E_NS1_11comp_targetILNS1_3genE5ELNS1_11target_archE942ELNS1_3gpuE9ELNS1_3repE0EEENS1_47radix_sort_onesweep_sort_config_static_selectorELNS0_4arch9wavefront6targetE1EEEvSK_,"axG",@progbits,_ZN7rocprim17ROCPRIM_400000_NS6detail17trampoline_kernelINS0_14default_configENS1_35radix_sort_onesweep_config_selectorItNS0_10empty_typeEEEZZNS1_29radix_sort_onesweep_iterationIS3_Lb0EN6thrust23THRUST_200600_302600_NS6detail15normal_iteratorINS9_10device_ptrItEEEESE_PS5_SF_jNS0_19identity_decomposerENS1_16block_id_wrapperIjLb0EEEEE10hipError_tT1_PNSt15iterator_traitsISK_E10value_typeET2_T3_PNSL_ISQ_E10value_typeET4_T5_PSV_SW_PNS1_23onesweep_lookback_stateEbbT6_jjT7_P12ihipStream_tbENKUlT_T0_SK_SP_E_clIPtSE_SF_SF_EEDaS13_S14_SK_SP_EUlS13_E_NS1_11comp_targetILNS1_3genE5ELNS1_11target_archE942ELNS1_3gpuE9ELNS1_3repE0EEENS1_47radix_sort_onesweep_sort_config_static_selectorELNS0_4arch9wavefront6targetE1EEEvSK_,comdat
.Lfunc_end1385:
	.size	_ZN7rocprim17ROCPRIM_400000_NS6detail17trampoline_kernelINS0_14default_configENS1_35radix_sort_onesweep_config_selectorItNS0_10empty_typeEEEZZNS1_29radix_sort_onesweep_iterationIS3_Lb0EN6thrust23THRUST_200600_302600_NS6detail15normal_iteratorINS9_10device_ptrItEEEESE_PS5_SF_jNS0_19identity_decomposerENS1_16block_id_wrapperIjLb0EEEEE10hipError_tT1_PNSt15iterator_traitsISK_E10value_typeET2_T3_PNSL_ISQ_E10value_typeET4_T5_PSV_SW_PNS1_23onesweep_lookback_stateEbbT6_jjT7_P12ihipStream_tbENKUlT_T0_SK_SP_E_clIPtSE_SF_SF_EEDaS13_S14_SK_SP_EUlS13_E_NS1_11comp_targetILNS1_3genE5ELNS1_11target_archE942ELNS1_3gpuE9ELNS1_3repE0EEENS1_47radix_sort_onesweep_sort_config_static_selectorELNS0_4arch9wavefront6targetE1EEEvSK_, .Lfunc_end1385-_ZN7rocprim17ROCPRIM_400000_NS6detail17trampoline_kernelINS0_14default_configENS1_35radix_sort_onesweep_config_selectorItNS0_10empty_typeEEEZZNS1_29radix_sort_onesweep_iterationIS3_Lb0EN6thrust23THRUST_200600_302600_NS6detail15normal_iteratorINS9_10device_ptrItEEEESE_PS5_SF_jNS0_19identity_decomposerENS1_16block_id_wrapperIjLb0EEEEE10hipError_tT1_PNSt15iterator_traitsISK_E10value_typeET2_T3_PNSL_ISQ_E10value_typeET4_T5_PSV_SW_PNS1_23onesweep_lookback_stateEbbT6_jjT7_P12ihipStream_tbENKUlT_T0_SK_SP_E_clIPtSE_SF_SF_EEDaS13_S14_SK_SP_EUlS13_E_NS1_11comp_targetILNS1_3genE5ELNS1_11target_archE942ELNS1_3gpuE9ELNS1_3repE0EEENS1_47radix_sort_onesweep_sort_config_static_selectorELNS0_4arch9wavefront6targetE1EEEvSK_
                                        ; -- End function
	.section	.AMDGPU.csdata,"",@progbits
; Kernel info:
; codeLenInByte = 15328
; NumSgprs: 38
; NumVgprs: 62
; NumAgprs: 0
; TotalNumVgprs: 62
; ScratchSize: 0
; MemoryBound: 0
; FloatMode: 240
; IeeeMode: 1
; LDSByteSize: 25608 bytes/workgroup (compile time only)
; SGPRBlocks: 4
; VGPRBlocks: 7
; NumSGPRsForWavesPerEU: 38
; NumVGPRsForWavesPerEU: 62
; AccumOffset: 64
; Occupancy: 8
; WaveLimiterHint : 1
; COMPUTE_PGM_RSRC2:SCRATCH_EN: 0
; COMPUTE_PGM_RSRC2:USER_SGPR: 2
; COMPUTE_PGM_RSRC2:TRAP_HANDLER: 0
; COMPUTE_PGM_RSRC2:TGID_X_EN: 1
; COMPUTE_PGM_RSRC2:TGID_Y_EN: 0
; COMPUTE_PGM_RSRC2:TGID_Z_EN: 0
; COMPUTE_PGM_RSRC2:TIDIG_COMP_CNT: 2
; COMPUTE_PGM_RSRC3_GFX90A:ACCUM_OFFSET: 15
; COMPUTE_PGM_RSRC3_GFX90A:TG_SPLIT: 0
	.section	.text._ZN7rocprim17ROCPRIM_400000_NS6detail17trampoline_kernelINS0_14default_configENS1_35radix_sort_onesweep_config_selectorItNS0_10empty_typeEEEZZNS1_29radix_sort_onesweep_iterationIS3_Lb0EN6thrust23THRUST_200600_302600_NS6detail15normal_iteratorINS9_10device_ptrItEEEESE_PS5_SF_jNS0_19identity_decomposerENS1_16block_id_wrapperIjLb0EEEEE10hipError_tT1_PNSt15iterator_traitsISK_E10value_typeET2_T3_PNSL_ISQ_E10value_typeET4_T5_PSV_SW_PNS1_23onesweep_lookback_stateEbbT6_jjT7_P12ihipStream_tbENKUlT_T0_SK_SP_E_clIPtSE_SF_SF_EEDaS13_S14_SK_SP_EUlS13_E_NS1_11comp_targetILNS1_3genE2ELNS1_11target_archE906ELNS1_3gpuE6ELNS1_3repE0EEENS1_47radix_sort_onesweep_sort_config_static_selectorELNS0_4arch9wavefront6targetE1EEEvSK_,"axG",@progbits,_ZN7rocprim17ROCPRIM_400000_NS6detail17trampoline_kernelINS0_14default_configENS1_35radix_sort_onesweep_config_selectorItNS0_10empty_typeEEEZZNS1_29radix_sort_onesweep_iterationIS3_Lb0EN6thrust23THRUST_200600_302600_NS6detail15normal_iteratorINS9_10device_ptrItEEEESE_PS5_SF_jNS0_19identity_decomposerENS1_16block_id_wrapperIjLb0EEEEE10hipError_tT1_PNSt15iterator_traitsISK_E10value_typeET2_T3_PNSL_ISQ_E10value_typeET4_T5_PSV_SW_PNS1_23onesweep_lookback_stateEbbT6_jjT7_P12ihipStream_tbENKUlT_T0_SK_SP_E_clIPtSE_SF_SF_EEDaS13_S14_SK_SP_EUlS13_E_NS1_11comp_targetILNS1_3genE2ELNS1_11target_archE906ELNS1_3gpuE6ELNS1_3repE0EEENS1_47radix_sort_onesweep_sort_config_static_selectorELNS0_4arch9wavefront6targetE1EEEvSK_,comdat
	.protected	_ZN7rocprim17ROCPRIM_400000_NS6detail17trampoline_kernelINS0_14default_configENS1_35radix_sort_onesweep_config_selectorItNS0_10empty_typeEEEZZNS1_29radix_sort_onesweep_iterationIS3_Lb0EN6thrust23THRUST_200600_302600_NS6detail15normal_iteratorINS9_10device_ptrItEEEESE_PS5_SF_jNS0_19identity_decomposerENS1_16block_id_wrapperIjLb0EEEEE10hipError_tT1_PNSt15iterator_traitsISK_E10value_typeET2_T3_PNSL_ISQ_E10value_typeET4_T5_PSV_SW_PNS1_23onesweep_lookback_stateEbbT6_jjT7_P12ihipStream_tbENKUlT_T0_SK_SP_E_clIPtSE_SF_SF_EEDaS13_S14_SK_SP_EUlS13_E_NS1_11comp_targetILNS1_3genE2ELNS1_11target_archE906ELNS1_3gpuE6ELNS1_3repE0EEENS1_47radix_sort_onesweep_sort_config_static_selectorELNS0_4arch9wavefront6targetE1EEEvSK_ ; -- Begin function _ZN7rocprim17ROCPRIM_400000_NS6detail17trampoline_kernelINS0_14default_configENS1_35radix_sort_onesweep_config_selectorItNS0_10empty_typeEEEZZNS1_29radix_sort_onesweep_iterationIS3_Lb0EN6thrust23THRUST_200600_302600_NS6detail15normal_iteratorINS9_10device_ptrItEEEESE_PS5_SF_jNS0_19identity_decomposerENS1_16block_id_wrapperIjLb0EEEEE10hipError_tT1_PNSt15iterator_traitsISK_E10value_typeET2_T3_PNSL_ISQ_E10value_typeET4_T5_PSV_SW_PNS1_23onesweep_lookback_stateEbbT6_jjT7_P12ihipStream_tbENKUlT_T0_SK_SP_E_clIPtSE_SF_SF_EEDaS13_S14_SK_SP_EUlS13_E_NS1_11comp_targetILNS1_3genE2ELNS1_11target_archE906ELNS1_3gpuE6ELNS1_3repE0EEENS1_47radix_sort_onesweep_sort_config_static_selectorELNS0_4arch9wavefront6targetE1EEEvSK_
	.globl	_ZN7rocprim17ROCPRIM_400000_NS6detail17trampoline_kernelINS0_14default_configENS1_35radix_sort_onesweep_config_selectorItNS0_10empty_typeEEEZZNS1_29radix_sort_onesweep_iterationIS3_Lb0EN6thrust23THRUST_200600_302600_NS6detail15normal_iteratorINS9_10device_ptrItEEEESE_PS5_SF_jNS0_19identity_decomposerENS1_16block_id_wrapperIjLb0EEEEE10hipError_tT1_PNSt15iterator_traitsISK_E10value_typeET2_T3_PNSL_ISQ_E10value_typeET4_T5_PSV_SW_PNS1_23onesweep_lookback_stateEbbT6_jjT7_P12ihipStream_tbENKUlT_T0_SK_SP_E_clIPtSE_SF_SF_EEDaS13_S14_SK_SP_EUlS13_E_NS1_11comp_targetILNS1_3genE2ELNS1_11target_archE906ELNS1_3gpuE6ELNS1_3repE0EEENS1_47radix_sort_onesweep_sort_config_static_selectorELNS0_4arch9wavefront6targetE1EEEvSK_
	.p2align	8
	.type	_ZN7rocprim17ROCPRIM_400000_NS6detail17trampoline_kernelINS0_14default_configENS1_35radix_sort_onesweep_config_selectorItNS0_10empty_typeEEEZZNS1_29radix_sort_onesweep_iterationIS3_Lb0EN6thrust23THRUST_200600_302600_NS6detail15normal_iteratorINS9_10device_ptrItEEEESE_PS5_SF_jNS0_19identity_decomposerENS1_16block_id_wrapperIjLb0EEEEE10hipError_tT1_PNSt15iterator_traitsISK_E10value_typeET2_T3_PNSL_ISQ_E10value_typeET4_T5_PSV_SW_PNS1_23onesweep_lookback_stateEbbT6_jjT7_P12ihipStream_tbENKUlT_T0_SK_SP_E_clIPtSE_SF_SF_EEDaS13_S14_SK_SP_EUlS13_E_NS1_11comp_targetILNS1_3genE2ELNS1_11target_archE906ELNS1_3gpuE6ELNS1_3repE0EEENS1_47radix_sort_onesweep_sort_config_static_selectorELNS0_4arch9wavefront6targetE1EEEvSK_,@function
_ZN7rocprim17ROCPRIM_400000_NS6detail17trampoline_kernelINS0_14default_configENS1_35radix_sort_onesweep_config_selectorItNS0_10empty_typeEEEZZNS1_29radix_sort_onesweep_iterationIS3_Lb0EN6thrust23THRUST_200600_302600_NS6detail15normal_iteratorINS9_10device_ptrItEEEESE_PS5_SF_jNS0_19identity_decomposerENS1_16block_id_wrapperIjLb0EEEEE10hipError_tT1_PNSt15iterator_traitsISK_E10value_typeET2_T3_PNSL_ISQ_E10value_typeET4_T5_PSV_SW_PNS1_23onesweep_lookback_stateEbbT6_jjT7_P12ihipStream_tbENKUlT_T0_SK_SP_E_clIPtSE_SF_SF_EEDaS13_S14_SK_SP_EUlS13_E_NS1_11comp_targetILNS1_3genE2ELNS1_11target_archE906ELNS1_3gpuE6ELNS1_3repE0EEENS1_47radix_sort_onesweep_sort_config_static_selectorELNS0_4arch9wavefront6targetE1EEEvSK_: ; @_ZN7rocprim17ROCPRIM_400000_NS6detail17trampoline_kernelINS0_14default_configENS1_35radix_sort_onesweep_config_selectorItNS0_10empty_typeEEEZZNS1_29radix_sort_onesweep_iterationIS3_Lb0EN6thrust23THRUST_200600_302600_NS6detail15normal_iteratorINS9_10device_ptrItEEEESE_PS5_SF_jNS0_19identity_decomposerENS1_16block_id_wrapperIjLb0EEEEE10hipError_tT1_PNSt15iterator_traitsISK_E10value_typeET2_T3_PNSL_ISQ_E10value_typeET4_T5_PSV_SW_PNS1_23onesweep_lookback_stateEbbT6_jjT7_P12ihipStream_tbENKUlT_T0_SK_SP_E_clIPtSE_SF_SF_EEDaS13_S14_SK_SP_EUlS13_E_NS1_11comp_targetILNS1_3genE2ELNS1_11target_archE906ELNS1_3gpuE6ELNS1_3repE0EEENS1_47radix_sort_onesweep_sort_config_static_selectorELNS0_4arch9wavefront6targetE1EEEvSK_
; %bb.0:
	.section	.rodata,"a",@progbits
	.p2align	6, 0x0
	.amdhsa_kernel _ZN7rocprim17ROCPRIM_400000_NS6detail17trampoline_kernelINS0_14default_configENS1_35radix_sort_onesweep_config_selectorItNS0_10empty_typeEEEZZNS1_29radix_sort_onesweep_iterationIS3_Lb0EN6thrust23THRUST_200600_302600_NS6detail15normal_iteratorINS9_10device_ptrItEEEESE_PS5_SF_jNS0_19identity_decomposerENS1_16block_id_wrapperIjLb0EEEEE10hipError_tT1_PNSt15iterator_traitsISK_E10value_typeET2_T3_PNSL_ISQ_E10value_typeET4_T5_PSV_SW_PNS1_23onesweep_lookback_stateEbbT6_jjT7_P12ihipStream_tbENKUlT_T0_SK_SP_E_clIPtSE_SF_SF_EEDaS13_S14_SK_SP_EUlS13_E_NS1_11comp_targetILNS1_3genE2ELNS1_11target_archE906ELNS1_3gpuE6ELNS1_3repE0EEENS1_47radix_sort_onesweep_sort_config_static_selectorELNS0_4arch9wavefront6targetE1EEEvSK_
		.amdhsa_group_segment_fixed_size 0
		.amdhsa_private_segment_fixed_size 0
		.amdhsa_kernarg_size 88
		.amdhsa_user_sgpr_count 2
		.amdhsa_user_sgpr_dispatch_ptr 0
		.amdhsa_user_sgpr_queue_ptr 0
		.amdhsa_user_sgpr_kernarg_segment_ptr 1
		.amdhsa_user_sgpr_dispatch_id 0
		.amdhsa_user_sgpr_kernarg_preload_length 0
		.amdhsa_user_sgpr_kernarg_preload_offset 0
		.amdhsa_user_sgpr_private_segment_size 0
		.amdhsa_uses_dynamic_stack 0
		.amdhsa_enable_private_segment 0
		.amdhsa_system_sgpr_workgroup_id_x 1
		.amdhsa_system_sgpr_workgroup_id_y 0
		.amdhsa_system_sgpr_workgroup_id_z 0
		.amdhsa_system_sgpr_workgroup_info 0
		.amdhsa_system_vgpr_workitem_id 0
		.amdhsa_next_free_vgpr 1
		.amdhsa_next_free_sgpr 0
		.amdhsa_accum_offset 4
		.amdhsa_reserve_vcc 0
		.amdhsa_float_round_mode_32 0
		.amdhsa_float_round_mode_16_64 0
		.amdhsa_float_denorm_mode_32 3
		.amdhsa_float_denorm_mode_16_64 3
		.amdhsa_dx10_clamp 1
		.amdhsa_ieee_mode 1
		.amdhsa_fp16_overflow 0
		.amdhsa_tg_split 0
		.amdhsa_exception_fp_ieee_invalid_op 0
		.amdhsa_exception_fp_denorm_src 0
		.amdhsa_exception_fp_ieee_div_zero 0
		.amdhsa_exception_fp_ieee_overflow 0
		.amdhsa_exception_fp_ieee_underflow 0
		.amdhsa_exception_fp_ieee_inexact 0
		.amdhsa_exception_int_div_zero 0
	.end_amdhsa_kernel
	.section	.text._ZN7rocprim17ROCPRIM_400000_NS6detail17trampoline_kernelINS0_14default_configENS1_35radix_sort_onesweep_config_selectorItNS0_10empty_typeEEEZZNS1_29radix_sort_onesweep_iterationIS3_Lb0EN6thrust23THRUST_200600_302600_NS6detail15normal_iteratorINS9_10device_ptrItEEEESE_PS5_SF_jNS0_19identity_decomposerENS1_16block_id_wrapperIjLb0EEEEE10hipError_tT1_PNSt15iterator_traitsISK_E10value_typeET2_T3_PNSL_ISQ_E10value_typeET4_T5_PSV_SW_PNS1_23onesweep_lookback_stateEbbT6_jjT7_P12ihipStream_tbENKUlT_T0_SK_SP_E_clIPtSE_SF_SF_EEDaS13_S14_SK_SP_EUlS13_E_NS1_11comp_targetILNS1_3genE2ELNS1_11target_archE906ELNS1_3gpuE6ELNS1_3repE0EEENS1_47radix_sort_onesweep_sort_config_static_selectorELNS0_4arch9wavefront6targetE1EEEvSK_,"axG",@progbits,_ZN7rocprim17ROCPRIM_400000_NS6detail17trampoline_kernelINS0_14default_configENS1_35radix_sort_onesweep_config_selectorItNS0_10empty_typeEEEZZNS1_29radix_sort_onesweep_iterationIS3_Lb0EN6thrust23THRUST_200600_302600_NS6detail15normal_iteratorINS9_10device_ptrItEEEESE_PS5_SF_jNS0_19identity_decomposerENS1_16block_id_wrapperIjLb0EEEEE10hipError_tT1_PNSt15iterator_traitsISK_E10value_typeET2_T3_PNSL_ISQ_E10value_typeET4_T5_PSV_SW_PNS1_23onesweep_lookback_stateEbbT6_jjT7_P12ihipStream_tbENKUlT_T0_SK_SP_E_clIPtSE_SF_SF_EEDaS13_S14_SK_SP_EUlS13_E_NS1_11comp_targetILNS1_3genE2ELNS1_11target_archE906ELNS1_3gpuE6ELNS1_3repE0EEENS1_47radix_sort_onesweep_sort_config_static_selectorELNS0_4arch9wavefront6targetE1EEEvSK_,comdat
.Lfunc_end1386:
	.size	_ZN7rocprim17ROCPRIM_400000_NS6detail17trampoline_kernelINS0_14default_configENS1_35radix_sort_onesweep_config_selectorItNS0_10empty_typeEEEZZNS1_29radix_sort_onesweep_iterationIS3_Lb0EN6thrust23THRUST_200600_302600_NS6detail15normal_iteratorINS9_10device_ptrItEEEESE_PS5_SF_jNS0_19identity_decomposerENS1_16block_id_wrapperIjLb0EEEEE10hipError_tT1_PNSt15iterator_traitsISK_E10value_typeET2_T3_PNSL_ISQ_E10value_typeET4_T5_PSV_SW_PNS1_23onesweep_lookback_stateEbbT6_jjT7_P12ihipStream_tbENKUlT_T0_SK_SP_E_clIPtSE_SF_SF_EEDaS13_S14_SK_SP_EUlS13_E_NS1_11comp_targetILNS1_3genE2ELNS1_11target_archE906ELNS1_3gpuE6ELNS1_3repE0EEENS1_47radix_sort_onesweep_sort_config_static_selectorELNS0_4arch9wavefront6targetE1EEEvSK_, .Lfunc_end1386-_ZN7rocprim17ROCPRIM_400000_NS6detail17trampoline_kernelINS0_14default_configENS1_35radix_sort_onesweep_config_selectorItNS0_10empty_typeEEEZZNS1_29radix_sort_onesweep_iterationIS3_Lb0EN6thrust23THRUST_200600_302600_NS6detail15normal_iteratorINS9_10device_ptrItEEEESE_PS5_SF_jNS0_19identity_decomposerENS1_16block_id_wrapperIjLb0EEEEE10hipError_tT1_PNSt15iterator_traitsISK_E10value_typeET2_T3_PNSL_ISQ_E10value_typeET4_T5_PSV_SW_PNS1_23onesweep_lookback_stateEbbT6_jjT7_P12ihipStream_tbENKUlT_T0_SK_SP_E_clIPtSE_SF_SF_EEDaS13_S14_SK_SP_EUlS13_E_NS1_11comp_targetILNS1_3genE2ELNS1_11target_archE906ELNS1_3gpuE6ELNS1_3repE0EEENS1_47radix_sort_onesweep_sort_config_static_selectorELNS0_4arch9wavefront6targetE1EEEvSK_
                                        ; -- End function
	.section	.AMDGPU.csdata,"",@progbits
; Kernel info:
; codeLenInByte = 0
; NumSgprs: 6
; NumVgprs: 0
; NumAgprs: 0
; TotalNumVgprs: 0
; ScratchSize: 0
; MemoryBound: 0
; FloatMode: 240
; IeeeMode: 1
; LDSByteSize: 0 bytes/workgroup (compile time only)
; SGPRBlocks: 0
; VGPRBlocks: 0
; NumSGPRsForWavesPerEU: 6
; NumVGPRsForWavesPerEU: 1
; AccumOffset: 4
; Occupancy: 8
; WaveLimiterHint : 0
; COMPUTE_PGM_RSRC2:SCRATCH_EN: 0
; COMPUTE_PGM_RSRC2:USER_SGPR: 2
; COMPUTE_PGM_RSRC2:TRAP_HANDLER: 0
; COMPUTE_PGM_RSRC2:TGID_X_EN: 1
; COMPUTE_PGM_RSRC2:TGID_Y_EN: 0
; COMPUTE_PGM_RSRC2:TGID_Z_EN: 0
; COMPUTE_PGM_RSRC2:TIDIG_COMP_CNT: 0
; COMPUTE_PGM_RSRC3_GFX90A:ACCUM_OFFSET: 0
; COMPUTE_PGM_RSRC3_GFX90A:TG_SPLIT: 0
	.section	.text._ZN7rocprim17ROCPRIM_400000_NS6detail17trampoline_kernelINS0_14default_configENS1_35radix_sort_onesweep_config_selectorItNS0_10empty_typeEEEZZNS1_29radix_sort_onesweep_iterationIS3_Lb0EN6thrust23THRUST_200600_302600_NS6detail15normal_iteratorINS9_10device_ptrItEEEESE_PS5_SF_jNS0_19identity_decomposerENS1_16block_id_wrapperIjLb0EEEEE10hipError_tT1_PNSt15iterator_traitsISK_E10value_typeET2_T3_PNSL_ISQ_E10value_typeET4_T5_PSV_SW_PNS1_23onesweep_lookback_stateEbbT6_jjT7_P12ihipStream_tbENKUlT_T0_SK_SP_E_clIPtSE_SF_SF_EEDaS13_S14_SK_SP_EUlS13_E_NS1_11comp_targetILNS1_3genE4ELNS1_11target_archE910ELNS1_3gpuE8ELNS1_3repE0EEENS1_47radix_sort_onesweep_sort_config_static_selectorELNS0_4arch9wavefront6targetE1EEEvSK_,"axG",@progbits,_ZN7rocprim17ROCPRIM_400000_NS6detail17trampoline_kernelINS0_14default_configENS1_35radix_sort_onesweep_config_selectorItNS0_10empty_typeEEEZZNS1_29radix_sort_onesweep_iterationIS3_Lb0EN6thrust23THRUST_200600_302600_NS6detail15normal_iteratorINS9_10device_ptrItEEEESE_PS5_SF_jNS0_19identity_decomposerENS1_16block_id_wrapperIjLb0EEEEE10hipError_tT1_PNSt15iterator_traitsISK_E10value_typeET2_T3_PNSL_ISQ_E10value_typeET4_T5_PSV_SW_PNS1_23onesweep_lookback_stateEbbT6_jjT7_P12ihipStream_tbENKUlT_T0_SK_SP_E_clIPtSE_SF_SF_EEDaS13_S14_SK_SP_EUlS13_E_NS1_11comp_targetILNS1_3genE4ELNS1_11target_archE910ELNS1_3gpuE8ELNS1_3repE0EEENS1_47radix_sort_onesweep_sort_config_static_selectorELNS0_4arch9wavefront6targetE1EEEvSK_,comdat
	.protected	_ZN7rocprim17ROCPRIM_400000_NS6detail17trampoline_kernelINS0_14default_configENS1_35radix_sort_onesweep_config_selectorItNS0_10empty_typeEEEZZNS1_29radix_sort_onesweep_iterationIS3_Lb0EN6thrust23THRUST_200600_302600_NS6detail15normal_iteratorINS9_10device_ptrItEEEESE_PS5_SF_jNS0_19identity_decomposerENS1_16block_id_wrapperIjLb0EEEEE10hipError_tT1_PNSt15iterator_traitsISK_E10value_typeET2_T3_PNSL_ISQ_E10value_typeET4_T5_PSV_SW_PNS1_23onesweep_lookback_stateEbbT6_jjT7_P12ihipStream_tbENKUlT_T0_SK_SP_E_clIPtSE_SF_SF_EEDaS13_S14_SK_SP_EUlS13_E_NS1_11comp_targetILNS1_3genE4ELNS1_11target_archE910ELNS1_3gpuE8ELNS1_3repE0EEENS1_47radix_sort_onesweep_sort_config_static_selectorELNS0_4arch9wavefront6targetE1EEEvSK_ ; -- Begin function _ZN7rocprim17ROCPRIM_400000_NS6detail17trampoline_kernelINS0_14default_configENS1_35radix_sort_onesweep_config_selectorItNS0_10empty_typeEEEZZNS1_29radix_sort_onesweep_iterationIS3_Lb0EN6thrust23THRUST_200600_302600_NS6detail15normal_iteratorINS9_10device_ptrItEEEESE_PS5_SF_jNS0_19identity_decomposerENS1_16block_id_wrapperIjLb0EEEEE10hipError_tT1_PNSt15iterator_traitsISK_E10value_typeET2_T3_PNSL_ISQ_E10value_typeET4_T5_PSV_SW_PNS1_23onesweep_lookback_stateEbbT6_jjT7_P12ihipStream_tbENKUlT_T0_SK_SP_E_clIPtSE_SF_SF_EEDaS13_S14_SK_SP_EUlS13_E_NS1_11comp_targetILNS1_3genE4ELNS1_11target_archE910ELNS1_3gpuE8ELNS1_3repE0EEENS1_47radix_sort_onesweep_sort_config_static_selectorELNS0_4arch9wavefront6targetE1EEEvSK_
	.globl	_ZN7rocprim17ROCPRIM_400000_NS6detail17trampoline_kernelINS0_14default_configENS1_35radix_sort_onesweep_config_selectorItNS0_10empty_typeEEEZZNS1_29radix_sort_onesweep_iterationIS3_Lb0EN6thrust23THRUST_200600_302600_NS6detail15normal_iteratorINS9_10device_ptrItEEEESE_PS5_SF_jNS0_19identity_decomposerENS1_16block_id_wrapperIjLb0EEEEE10hipError_tT1_PNSt15iterator_traitsISK_E10value_typeET2_T3_PNSL_ISQ_E10value_typeET4_T5_PSV_SW_PNS1_23onesweep_lookback_stateEbbT6_jjT7_P12ihipStream_tbENKUlT_T0_SK_SP_E_clIPtSE_SF_SF_EEDaS13_S14_SK_SP_EUlS13_E_NS1_11comp_targetILNS1_3genE4ELNS1_11target_archE910ELNS1_3gpuE8ELNS1_3repE0EEENS1_47radix_sort_onesweep_sort_config_static_selectorELNS0_4arch9wavefront6targetE1EEEvSK_
	.p2align	8
	.type	_ZN7rocprim17ROCPRIM_400000_NS6detail17trampoline_kernelINS0_14default_configENS1_35radix_sort_onesweep_config_selectorItNS0_10empty_typeEEEZZNS1_29radix_sort_onesweep_iterationIS3_Lb0EN6thrust23THRUST_200600_302600_NS6detail15normal_iteratorINS9_10device_ptrItEEEESE_PS5_SF_jNS0_19identity_decomposerENS1_16block_id_wrapperIjLb0EEEEE10hipError_tT1_PNSt15iterator_traitsISK_E10value_typeET2_T3_PNSL_ISQ_E10value_typeET4_T5_PSV_SW_PNS1_23onesweep_lookback_stateEbbT6_jjT7_P12ihipStream_tbENKUlT_T0_SK_SP_E_clIPtSE_SF_SF_EEDaS13_S14_SK_SP_EUlS13_E_NS1_11comp_targetILNS1_3genE4ELNS1_11target_archE910ELNS1_3gpuE8ELNS1_3repE0EEENS1_47radix_sort_onesweep_sort_config_static_selectorELNS0_4arch9wavefront6targetE1EEEvSK_,@function
_ZN7rocprim17ROCPRIM_400000_NS6detail17trampoline_kernelINS0_14default_configENS1_35radix_sort_onesweep_config_selectorItNS0_10empty_typeEEEZZNS1_29radix_sort_onesweep_iterationIS3_Lb0EN6thrust23THRUST_200600_302600_NS6detail15normal_iteratorINS9_10device_ptrItEEEESE_PS5_SF_jNS0_19identity_decomposerENS1_16block_id_wrapperIjLb0EEEEE10hipError_tT1_PNSt15iterator_traitsISK_E10value_typeET2_T3_PNSL_ISQ_E10value_typeET4_T5_PSV_SW_PNS1_23onesweep_lookback_stateEbbT6_jjT7_P12ihipStream_tbENKUlT_T0_SK_SP_E_clIPtSE_SF_SF_EEDaS13_S14_SK_SP_EUlS13_E_NS1_11comp_targetILNS1_3genE4ELNS1_11target_archE910ELNS1_3gpuE8ELNS1_3repE0EEENS1_47radix_sort_onesweep_sort_config_static_selectorELNS0_4arch9wavefront6targetE1EEEvSK_: ; @_ZN7rocprim17ROCPRIM_400000_NS6detail17trampoline_kernelINS0_14default_configENS1_35radix_sort_onesweep_config_selectorItNS0_10empty_typeEEEZZNS1_29radix_sort_onesweep_iterationIS3_Lb0EN6thrust23THRUST_200600_302600_NS6detail15normal_iteratorINS9_10device_ptrItEEEESE_PS5_SF_jNS0_19identity_decomposerENS1_16block_id_wrapperIjLb0EEEEE10hipError_tT1_PNSt15iterator_traitsISK_E10value_typeET2_T3_PNSL_ISQ_E10value_typeET4_T5_PSV_SW_PNS1_23onesweep_lookback_stateEbbT6_jjT7_P12ihipStream_tbENKUlT_T0_SK_SP_E_clIPtSE_SF_SF_EEDaS13_S14_SK_SP_EUlS13_E_NS1_11comp_targetILNS1_3genE4ELNS1_11target_archE910ELNS1_3gpuE8ELNS1_3repE0EEENS1_47radix_sort_onesweep_sort_config_static_selectorELNS0_4arch9wavefront6targetE1EEEvSK_
; %bb.0:
	.section	.rodata,"a",@progbits
	.p2align	6, 0x0
	.amdhsa_kernel _ZN7rocprim17ROCPRIM_400000_NS6detail17trampoline_kernelINS0_14default_configENS1_35radix_sort_onesweep_config_selectorItNS0_10empty_typeEEEZZNS1_29radix_sort_onesweep_iterationIS3_Lb0EN6thrust23THRUST_200600_302600_NS6detail15normal_iteratorINS9_10device_ptrItEEEESE_PS5_SF_jNS0_19identity_decomposerENS1_16block_id_wrapperIjLb0EEEEE10hipError_tT1_PNSt15iterator_traitsISK_E10value_typeET2_T3_PNSL_ISQ_E10value_typeET4_T5_PSV_SW_PNS1_23onesweep_lookback_stateEbbT6_jjT7_P12ihipStream_tbENKUlT_T0_SK_SP_E_clIPtSE_SF_SF_EEDaS13_S14_SK_SP_EUlS13_E_NS1_11comp_targetILNS1_3genE4ELNS1_11target_archE910ELNS1_3gpuE8ELNS1_3repE0EEENS1_47radix_sort_onesweep_sort_config_static_selectorELNS0_4arch9wavefront6targetE1EEEvSK_
		.amdhsa_group_segment_fixed_size 0
		.amdhsa_private_segment_fixed_size 0
		.amdhsa_kernarg_size 88
		.amdhsa_user_sgpr_count 2
		.amdhsa_user_sgpr_dispatch_ptr 0
		.amdhsa_user_sgpr_queue_ptr 0
		.amdhsa_user_sgpr_kernarg_segment_ptr 1
		.amdhsa_user_sgpr_dispatch_id 0
		.amdhsa_user_sgpr_kernarg_preload_length 0
		.amdhsa_user_sgpr_kernarg_preload_offset 0
		.amdhsa_user_sgpr_private_segment_size 0
		.amdhsa_uses_dynamic_stack 0
		.amdhsa_enable_private_segment 0
		.amdhsa_system_sgpr_workgroup_id_x 1
		.amdhsa_system_sgpr_workgroup_id_y 0
		.amdhsa_system_sgpr_workgroup_id_z 0
		.amdhsa_system_sgpr_workgroup_info 0
		.amdhsa_system_vgpr_workitem_id 0
		.amdhsa_next_free_vgpr 1
		.amdhsa_next_free_sgpr 0
		.amdhsa_accum_offset 4
		.amdhsa_reserve_vcc 0
		.amdhsa_float_round_mode_32 0
		.amdhsa_float_round_mode_16_64 0
		.amdhsa_float_denorm_mode_32 3
		.amdhsa_float_denorm_mode_16_64 3
		.amdhsa_dx10_clamp 1
		.amdhsa_ieee_mode 1
		.amdhsa_fp16_overflow 0
		.amdhsa_tg_split 0
		.amdhsa_exception_fp_ieee_invalid_op 0
		.amdhsa_exception_fp_denorm_src 0
		.amdhsa_exception_fp_ieee_div_zero 0
		.amdhsa_exception_fp_ieee_overflow 0
		.amdhsa_exception_fp_ieee_underflow 0
		.amdhsa_exception_fp_ieee_inexact 0
		.amdhsa_exception_int_div_zero 0
	.end_amdhsa_kernel
	.section	.text._ZN7rocprim17ROCPRIM_400000_NS6detail17trampoline_kernelINS0_14default_configENS1_35radix_sort_onesweep_config_selectorItNS0_10empty_typeEEEZZNS1_29radix_sort_onesweep_iterationIS3_Lb0EN6thrust23THRUST_200600_302600_NS6detail15normal_iteratorINS9_10device_ptrItEEEESE_PS5_SF_jNS0_19identity_decomposerENS1_16block_id_wrapperIjLb0EEEEE10hipError_tT1_PNSt15iterator_traitsISK_E10value_typeET2_T3_PNSL_ISQ_E10value_typeET4_T5_PSV_SW_PNS1_23onesweep_lookback_stateEbbT6_jjT7_P12ihipStream_tbENKUlT_T0_SK_SP_E_clIPtSE_SF_SF_EEDaS13_S14_SK_SP_EUlS13_E_NS1_11comp_targetILNS1_3genE4ELNS1_11target_archE910ELNS1_3gpuE8ELNS1_3repE0EEENS1_47radix_sort_onesweep_sort_config_static_selectorELNS0_4arch9wavefront6targetE1EEEvSK_,"axG",@progbits,_ZN7rocprim17ROCPRIM_400000_NS6detail17trampoline_kernelINS0_14default_configENS1_35radix_sort_onesweep_config_selectorItNS0_10empty_typeEEEZZNS1_29radix_sort_onesweep_iterationIS3_Lb0EN6thrust23THRUST_200600_302600_NS6detail15normal_iteratorINS9_10device_ptrItEEEESE_PS5_SF_jNS0_19identity_decomposerENS1_16block_id_wrapperIjLb0EEEEE10hipError_tT1_PNSt15iterator_traitsISK_E10value_typeET2_T3_PNSL_ISQ_E10value_typeET4_T5_PSV_SW_PNS1_23onesweep_lookback_stateEbbT6_jjT7_P12ihipStream_tbENKUlT_T0_SK_SP_E_clIPtSE_SF_SF_EEDaS13_S14_SK_SP_EUlS13_E_NS1_11comp_targetILNS1_3genE4ELNS1_11target_archE910ELNS1_3gpuE8ELNS1_3repE0EEENS1_47radix_sort_onesweep_sort_config_static_selectorELNS0_4arch9wavefront6targetE1EEEvSK_,comdat
.Lfunc_end1387:
	.size	_ZN7rocprim17ROCPRIM_400000_NS6detail17trampoline_kernelINS0_14default_configENS1_35radix_sort_onesweep_config_selectorItNS0_10empty_typeEEEZZNS1_29radix_sort_onesweep_iterationIS3_Lb0EN6thrust23THRUST_200600_302600_NS6detail15normal_iteratorINS9_10device_ptrItEEEESE_PS5_SF_jNS0_19identity_decomposerENS1_16block_id_wrapperIjLb0EEEEE10hipError_tT1_PNSt15iterator_traitsISK_E10value_typeET2_T3_PNSL_ISQ_E10value_typeET4_T5_PSV_SW_PNS1_23onesweep_lookback_stateEbbT6_jjT7_P12ihipStream_tbENKUlT_T0_SK_SP_E_clIPtSE_SF_SF_EEDaS13_S14_SK_SP_EUlS13_E_NS1_11comp_targetILNS1_3genE4ELNS1_11target_archE910ELNS1_3gpuE8ELNS1_3repE0EEENS1_47radix_sort_onesweep_sort_config_static_selectorELNS0_4arch9wavefront6targetE1EEEvSK_, .Lfunc_end1387-_ZN7rocprim17ROCPRIM_400000_NS6detail17trampoline_kernelINS0_14default_configENS1_35radix_sort_onesweep_config_selectorItNS0_10empty_typeEEEZZNS1_29radix_sort_onesweep_iterationIS3_Lb0EN6thrust23THRUST_200600_302600_NS6detail15normal_iteratorINS9_10device_ptrItEEEESE_PS5_SF_jNS0_19identity_decomposerENS1_16block_id_wrapperIjLb0EEEEE10hipError_tT1_PNSt15iterator_traitsISK_E10value_typeET2_T3_PNSL_ISQ_E10value_typeET4_T5_PSV_SW_PNS1_23onesweep_lookback_stateEbbT6_jjT7_P12ihipStream_tbENKUlT_T0_SK_SP_E_clIPtSE_SF_SF_EEDaS13_S14_SK_SP_EUlS13_E_NS1_11comp_targetILNS1_3genE4ELNS1_11target_archE910ELNS1_3gpuE8ELNS1_3repE0EEENS1_47radix_sort_onesweep_sort_config_static_selectorELNS0_4arch9wavefront6targetE1EEEvSK_
                                        ; -- End function
	.section	.AMDGPU.csdata,"",@progbits
; Kernel info:
; codeLenInByte = 0
; NumSgprs: 6
; NumVgprs: 0
; NumAgprs: 0
; TotalNumVgprs: 0
; ScratchSize: 0
; MemoryBound: 0
; FloatMode: 240
; IeeeMode: 1
; LDSByteSize: 0 bytes/workgroup (compile time only)
; SGPRBlocks: 0
; VGPRBlocks: 0
; NumSGPRsForWavesPerEU: 6
; NumVGPRsForWavesPerEU: 1
; AccumOffset: 4
; Occupancy: 8
; WaveLimiterHint : 0
; COMPUTE_PGM_RSRC2:SCRATCH_EN: 0
; COMPUTE_PGM_RSRC2:USER_SGPR: 2
; COMPUTE_PGM_RSRC2:TRAP_HANDLER: 0
; COMPUTE_PGM_RSRC2:TGID_X_EN: 1
; COMPUTE_PGM_RSRC2:TGID_Y_EN: 0
; COMPUTE_PGM_RSRC2:TGID_Z_EN: 0
; COMPUTE_PGM_RSRC2:TIDIG_COMP_CNT: 0
; COMPUTE_PGM_RSRC3_GFX90A:ACCUM_OFFSET: 0
; COMPUTE_PGM_RSRC3_GFX90A:TG_SPLIT: 0
	.section	.text._ZN7rocprim17ROCPRIM_400000_NS6detail17trampoline_kernelINS0_14default_configENS1_35radix_sort_onesweep_config_selectorItNS0_10empty_typeEEEZZNS1_29radix_sort_onesweep_iterationIS3_Lb0EN6thrust23THRUST_200600_302600_NS6detail15normal_iteratorINS9_10device_ptrItEEEESE_PS5_SF_jNS0_19identity_decomposerENS1_16block_id_wrapperIjLb0EEEEE10hipError_tT1_PNSt15iterator_traitsISK_E10value_typeET2_T3_PNSL_ISQ_E10value_typeET4_T5_PSV_SW_PNS1_23onesweep_lookback_stateEbbT6_jjT7_P12ihipStream_tbENKUlT_T0_SK_SP_E_clIPtSE_SF_SF_EEDaS13_S14_SK_SP_EUlS13_E_NS1_11comp_targetILNS1_3genE3ELNS1_11target_archE908ELNS1_3gpuE7ELNS1_3repE0EEENS1_47radix_sort_onesweep_sort_config_static_selectorELNS0_4arch9wavefront6targetE1EEEvSK_,"axG",@progbits,_ZN7rocprim17ROCPRIM_400000_NS6detail17trampoline_kernelINS0_14default_configENS1_35radix_sort_onesweep_config_selectorItNS0_10empty_typeEEEZZNS1_29radix_sort_onesweep_iterationIS3_Lb0EN6thrust23THRUST_200600_302600_NS6detail15normal_iteratorINS9_10device_ptrItEEEESE_PS5_SF_jNS0_19identity_decomposerENS1_16block_id_wrapperIjLb0EEEEE10hipError_tT1_PNSt15iterator_traitsISK_E10value_typeET2_T3_PNSL_ISQ_E10value_typeET4_T5_PSV_SW_PNS1_23onesweep_lookback_stateEbbT6_jjT7_P12ihipStream_tbENKUlT_T0_SK_SP_E_clIPtSE_SF_SF_EEDaS13_S14_SK_SP_EUlS13_E_NS1_11comp_targetILNS1_3genE3ELNS1_11target_archE908ELNS1_3gpuE7ELNS1_3repE0EEENS1_47radix_sort_onesweep_sort_config_static_selectorELNS0_4arch9wavefront6targetE1EEEvSK_,comdat
	.protected	_ZN7rocprim17ROCPRIM_400000_NS6detail17trampoline_kernelINS0_14default_configENS1_35radix_sort_onesweep_config_selectorItNS0_10empty_typeEEEZZNS1_29radix_sort_onesweep_iterationIS3_Lb0EN6thrust23THRUST_200600_302600_NS6detail15normal_iteratorINS9_10device_ptrItEEEESE_PS5_SF_jNS0_19identity_decomposerENS1_16block_id_wrapperIjLb0EEEEE10hipError_tT1_PNSt15iterator_traitsISK_E10value_typeET2_T3_PNSL_ISQ_E10value_typeET4_T5_PSV_SW_PNS1_23onesweep_lookback_stateEbbT6_jjT7_P12ihipStream_tbENKUlT_T0_SK_SP_E_clIPtSE_SF_SF_EEDaS13_S14_SK_SP_EUlS13_E_NS1_11comp_targetILNS1_3genE3ELNS1_11target_archE908ELNS1_3gpuE7ELNS1_3repE0EEENS1_47radix_sort_onesweep_sort_config_static_selectorELNS0_4arch9wavefront6targetE1EEEvSK_ ; -- Begin function _ZN7rocprim17ROCPRIM_400000_NS6detail17trampoline_kernelINS0_14default_configENS1_35radix_sort_onesweep_config_selectorItNS0_10empty_typeEEEZZNS1_29radix_sort_onesweep_iterationIS3_Lb0EN6thrust23THRUST_200600_302600_NS6detail15normal_iteratorINS9_10device_ptrItEEEESE_PS5_SF_jNS0_19identity_decomposerENS1_16block_id_wrapperIjLb0EEEEE10hipError_tT1_PNSt15iterator_traitsISK_E10value_typeET2_T3_PNSL_ISQ_E10value_typeET4_T5_PSV_SW_PNS1_23onesweep_lookback_stateEbbT6_jjT7_P12ihipStream_tbENKUlT_T0_SK_SP_E_clIPtSE_SF_SF_EEDaS13_S14_SK_SP_EUlS13_E_NS1_11comp_targetILNS1_3genE3ELNS1_11target_archE908ELNS1_3gpuE7ELNS1_3repE0EEENS1_47radix_sort_onesweep_sort_config_static_selectorELNS0_4arch9wavefront6targetE1EEEvSK_
	.globl	_ZN7rocprim17ROCPRIM_400000_NS6detail17trampoline_kernelINS0_14default_configENS1_35radix_sort_onesweep_config_selectorItNS0_10empty_typeEEEZZNS1_29radix_sort_onesweep_iterationIS3_Lb0EN6thrust23THRUST_200600_302600_NS6detail15normal_iteratorINS9_10device_ptrItEEEESE_PS5_SF_jNS0_19identity_decomposerENS1_16block_id_wrapperIjLb0EEEEE10hipError_tT1_PNSt15iterator_traitsISK_E10value_typeET2_T3_PNSL_ISQ_E10value_typeET4_T5_PSV_SW_PNS1_23onesweep_lookback_stateEbbT6_jjT7_P12ihipStream_tbENKUlT_T0_SK_SP_E_clIPtSE_SF_SF_EEDaS13_S14_SK_SP_EUlS13_E_NS1_11comp_targetILNS1_3genE3ELNS1_11target_archE908ELNS1_3gpuE7ELNS1_3repE0EEENS1_47radix_sort_onesweep_sort_config_static_selectorELNS0_4arch9wavefront6targetE1EEEvSK_
	.p2align	8
	.type	_ZN7rocprim17ROCPRIM_400000_NS6detail17trampoline_kernelINS0_14default_configENS1_35radix_sort_onesweep_config_selectorItNS0_10empty_typeEEEZZNS1_29radix_sort_onesweep_iterationIS3_Lb0EN6thrust23THRUST_200600_302600_NS6detail15normal_iteratorINS9_10device_ptrItEEEESE_PS5_SF_jNS0_19identity_decomposerENS1_16block_id_wrapperIjLb0EEEEE10hipError_tT1_PNSt15iterator_traitsISK_E10value_typeET2_T3_PNSL_ISQ_E10value_typeET4_T5_PSV_SW_PNS1_23onesweep_lookback_stateEbbT6_jjT7_P12ihipStream_tbENKUlT_T0_SK_SP_E_clIPtSE_SF_SF_EEDaS13_S14_SK_SP_EUlS13_E_NS1_11comp_targetILNS1_3genE3ELNS1_11target_archE908ELNS1_3gpuE7ELNS1_3repE0EEENS1_47radix_sort_onesweep_sort_config_static_selectorELNS0_4arch9wavefront6targetE1EEEvSK_,@function
_ZN7rocprim17ROCPRIM_400000_NS6detail17trampoline_kernelINS0_14default_configENS1_35radix_sort_onesweep_config_selectorItNS0_10empty_typeEEEZZNS1_29radix_sort_onesweep_iterationIS3_Lb0EN6thrust23THRUST_200600_302600_NS6detail15normal_iteratorINS9_10device_ptrItEEEESE_PS5_SF_jNS0_19identity_decomposerENS1_16block_id_wrapperIjLb0EEEEE10hipError_tT1_PNSt15iterator_traitsISK_E10value_typeET2_T3_PNSL_ISQ_E10value_typeET4_T5_PSV_SW_PNS1_23onesweep_lookback_stateEbbT6_jjT7_P12ihipStream_tbENKUlT_T0_SK_SP_E_clIPtSE_SF_SF_EEDaS13_S14_SK_SP_EUlS13_E_NS1_11comp_targetILNS1_3genE3ELNS1_11target_archE908ELNS1_3gpuE7ELNS1_3repE0EEENS1_47radix_sort_onesweep_sort_config_static_selectorELNS0_4arch9wavefront6targetE1EEEvSK_: ; @_ZN7rocprim17ROCPRIM_400000_NS6detail17trampoline_kernelINS0_14default_configENS1_35radix_sort_onesweep_config_selectorItNS0_10empty_typeEEEZZNS1_29radix_sort_onesweep_iterationIS3_Lb0EN6thrust23THRUST_200600_302600_NS6detail15normal_iteratorINS9_10device_ptrItEEEESE_PS5_SF_jNS0_19identity_decomposerENS1_16block_id_wrapperIjLb0EEEEE10hipError_tT1_PNSt15iterator_traitsISK_E10value_typeET2_T3_PNSL_ISQ_E10value_typeET4_T5_PSV_SW_PNS1_23onesweep_lookback_stateEbbT6_jjT7_P12ihipStream_tbENKUlT_T0_SK_SP_E_clIPtSE_SF_SF_EEDaS13_S14_SK_SP_EUlS13_E_NS1_11comp_targetILNS1_3genE3ELNS1_11target_archE908ELNS1_3gpuE7ELNS1_3repE0EEENS1_47radix_sort_onesweep_sort_config_static_selectorELNS0_4arch9wavefront6targetE1EEEvSK_
; %bb.0:
	.section	.rodata,"a",@progbits
	.p2align	6, 0x0
	.amdhsa_kernel _ZN7rocprim17ROCPRIM_400000_NS6detail17trampoline_kernelINS0_14default_configENS1_35radix_sort_onesweep_config_selectorItNS0_10empty_typeEEEZZNS1_29radix_sort_onesweep_iterationIS3_Lb0EN6thrust23THRUST_200600_302600_NS6detail15normal_iteratorINS9_10device_ptrItEEEESE_PS5_SF_jNS0_19identity_decomposerENS1_16block_id_wrapperIjLb0EEEEE10hipError_tT1_PNSt15iterator_traitsISK_E10value_typeET2_T3_PNSL_ISQ_E10value_typeET4_T5_PSV_SW_PNS1_23onesweep_lookback_stateEbbT6_jjT7_P12ihipStream_tbENKUlT_T0_SK_SP_E_clIPtSE_SF_SF_EEDaS13_S14_SK_SP_EUlS13_E_NS1_11comp_targetILNS1_3genE3ELNS1_11target_archE908ELNS1_3gpuE7ELNS1_3repE0EEENS1_47radix_sort_onesweep_sort_config_static_selectorELNS0_4arch9wavefront6targetE1EEEvSK_
		.amdhsa_group_segment_fixed_size 0
		.amdhsa_private_segment_fixed_size 0
		.amdhsa_kernarg_size 88
		.amdhsa_user_sgpr_count 2
		.amdhsa_user_sgpr_dispatch_ptr 0
		.amdhsa_user_sgpr_queue_ptr 0
		.amdhsa_user_sgpr_kernarg_segment_ptr 1
		.amdhsa_user_sgpr_dispatch_id 0
		.amdhsa_user_sgpr_kernarg_preload_length 0
		.amdhsa_user_sgpr_kernarg_preload_offset 0
		.amdhsa_user_sgpr_private_segment_size 0
		.amdhsa_uses_dynamic_stack 0
		.amdhsa_enable_private_segment 0
		.amdhsa_system_sgpr_workgroup_id_x 1
		.amdhsa_system_sgpr_workgroup_id_y 0
		.amdhsa_system_sgpr_workgroup_id_z 0
		.amdhsa_system_sgpr_workgroup_info 0
		.amdhsa_system_vgpr_workitem_id 0
		.amdhsa_next_free_vgpr 1
		.amdhsa_next_free_sgpr 0
		.amdhsa_accum_offset 4
		.amdhsa_reserve_vcc 0
		.amdhsa_float_round_mode_32 0
		.amdhsa_float_round_mode_16_64 0
		.amdhsa_float_denorm_mode_32 3
		.amdhsa_float_denorm_mode_16_64 3
		.amdhsa_dx10_clamp 1
		.amdhsa_ieee_mode 1
		.amdhsa_fp16_overflow 0
		.amdhsa_tg_split 0
		.amdhsa_exception_fp_ieee_invalid_op 0
		.amdhsa_exception_fp_denorm_src 0
		.amdhsa_exception_fp_ieee_div_zero 0
		.amdhsa_exception_fp_ieee_overflow 0
		.amdhsa_exception_fp_ieee_underflow 0
		.amdhsa_exception_fp_ieee_inexact 0
		.amdhsa_exception_int_div_zero 0
	.end_amdhsa_kernel
	.section	.text._ZN7rocprim17ROCPRIM_400000_NS6detail17trampoline_kernelINS0_14default_configENS1_35radix_sort_onesweep_config_selectorItNS0_10empty_typeEEEZZNS1_29radix_sort_onesweep_iterationIS3_Lb0EN6thrust23THRUST_200600_302600_NS6detail15normal_iteratorINS9_10device_ptrItEEEESE_PS5_SF_jNS0_19identity_decomposerENS1_16block_id_wrapperIjLb0EEEEE10hipError_tT1_PNSt15iterator_traitsISK_E10value_typeET2_T3_PNSL_ISQ_E10value_typeET4_T5_PSV_SW_PNS1_23onesweep_lookback_stateEbbT6_jjT7_P12ihipStream_tbENKUlT_T0_SK_SP_E_clIPtSE_SF_SF_EEDaS13_S14_SK_SP_EUlS13_E_NS1_11comp_targetILNS1_3genE3ELNS1_11target_archE908ELNS1_3gpuE7ELNS1_3repE0EEENS1_47radix_sort_onesweep_sort_config_static_selectorELNS0_4arch9wavefront6targetE1EEEvSK_,"axG",@progbits,_ZN7rocprim17ROCPRIM_400000_NS6detail17trampoline_kernelINS0_14default_configENS1_35radix_sort_onesweep_config_selectorItNS0_10empty_typeEEEZZNS1_29radix_sort_onesweep_iterationIS3_Lb0EN6thrust23THRUST_200600_302600_NS6detail15normal_iteratorINS9_10device_ptrItEEEESE_PS5_SF_jNS0_19identity_decomposerENS1_16block_id_wrapperIjLb0EEEEE10hipError_tT1_PNSt15iterator_traitsISK_E10value_typeET2_T3_PNSL_ISQ_E10value_typeET4_T5_PSV_SW_PNS1_23onesweep_lookback_stateEbbT6_jjT7_P12ihipStream_tbENKUlT_T0_SK_SP_E_clIPtSE_SF_SF_EEDaS13_S14_SK_SP_EUlS13_E_NS1_11comp_targetILNS1_3genE3ELNS1_11target_archE908ELNS1_3gpuE7ELNS1_3repE0EEENS1_47radix_sort_onesweep_sort_config_static_selectorELNS0_4arch9wavefront6targetE1EEEvSK_,comdat
.Lfunc_end1388:
	.size	_ZN7rocprim17ROCPRIM_400000_NS6detail17trampoline_kernelINS0_14default_configENS1_35radix_sort_onesweep_config_selectorItNS0_10empty_typeEEEZZNS1_29radix_sort_onesweep_iterationIS3_Lb0EN6thrust23THRUST_200600_302600_NS6detail15normal_iteratorINS9_10device_ptrItEEEESE_PS5_SF_jNS0_19identity_decomposerENS1_16block_id_wrapperIjLb0EEEEE10hipError_tT1_PNSt15iterator_traitsISK_E10value_typeET2_T3_PNSL_ISQ_E10value_typeET4_T5_PSV_SW_PNS1_23onesweep_lookback_stateEbbT6_jjT7_P12ihipStream_tbENKUlT_T0_SK_SP_E_clIPtSE_SF_SF_EEDaS13_S14_SK_SP_EUlS13_E_NS1_11comp_targetILNS1_3genE3ELNS1_11target_archE908ELNS1_3gpuE7ELNS1_3repE0EEENS1_47radix_sort_onesweep_sort_config_static_selectorELNS0_4arch9wavefront6targetE1EEEvSK_, .Lfunc_end1388-_ZN7rocprim17ROCPRIM_400000_NS6detail17trampoline_kernelINS0_14default_configENS1_35radix_sort_onesweep_config_selectorItNS0_10empty_typeEEEZZNS1_29radix_sort_onesweep_iterationIS3_Lb0EN6thrust23THRUST_200600_302600_NS6detail15normal_iteratorINS9_10device_ptrItEEEESE_PS5_SF_jNS0_19identity_decomposerENS1_16block_id_wrapperIjLb0EEEEE10hipError_tT1_PNSt15iterator_traitsISK_E10value_typeET2_T3_PNSL_ISQ_E10value_typeET4_T5_PSV_SW_PNS1_23onesweep_lookback_stateEbbT6_jjT7_P12ihipStream_tbENKUlT_T0_SK_SP_E_clIPtSE_SF_SF_EEDaS13_S14_SK_SP_EUlS13_E_NS1_11comp_targetILNS1_3genE3ELNS1_11target_archE908ELNS1_3gpuE7ELNS1_3repE0EEENS1_47radix_sort_onesweep_sort_config_static_selectorELNS0_4arch9wavefront6targetE1EEEvSK_
                                        ; -- End function
	.section	.AMDGPU.csdata,"",@progbits
; Kernel info:
; codeLenInByte = 0
; NumSgprs: 6
; NumVgprs: 0
; NumAgprs: 0
; TotalNumVgprs: 0
; ScratchSize: 0
; MemoryBound: 0
; FloatMode: 240
; IeeeMode: 1
; LDSByteSize: 0 bytes/workgroup (compile time only)
; SGPRBlocks: 0
; VGPRBlocks: 0
; NumSGPRsForWavesPerEU: 6
; NumVGPRsForWavesPerEU: 1
; AccumOffset: 4
; Occupancy: 8
; WaveLimiterHint : 0
; COMPUTE_PGM_RSRC2:SCRATCH_EN: 0
; COMPUTE_PGM_RSRC2:USER_SGPR: 2
; COMPUTE_PGM_RSRC2:TRAP_HANDLER: 0
; COMPUTE_PGM_RSRC2:TGID_X_EN: 1
; COMPUTE_PGM_RSRC2:TGID_Y_EN: 0
; COMPUTE_PGM_RSRC2:TGID_Z_EN: 0
; COMPUTE_PGM_RSRC2:TIDIG_COMP_CNT: 0
; COMPUTE_PGM_RSRC3_GFX90A:ACCUM_OFFSET: 0
; COMPUTE_PGM_RSRC3_GFX90A:TG_SPLIT: 0
	.section	.text._ZN7rocprim17ROCPRIM_400000_NS6detail17trampoline_kernelINS0_14default_configENS1_35radix_sort_onesweep_config_selectorItNS0_10empty_typeEEEZZNS1_29radix_sort_onesweep_iterationIS3_Lb0EN6thrust23THRUST_200600_302600_NS6detail15normal_iteratorINS9_10device_ptrItEEEESE_PS5_SF_jNS0_19identity_decomposerENS1_16block_id_wrapperIjLb0EEEEE10hipError_tT1_PNSt15iterator_traitsISK_E10value_typeET2_T3_PNSL_ISQ_E10value_typeET4_T5_PSV_SW_PNS1_23onesweep_lookback_stateEbbT6_jjT7_P12ihipStream_tbENKUlT_T0_SK_SP_E_clIPtSE_SF_SF_EEDaS13_S14_SK_SP_EUlS13_E_NS1_11comp_targetILNS1_3genE10ELNS1_11target_archE1201ELNS1_3gpuE5ELNS1_3repE0EEENS1_47radix_sort_onesweep_sort_config_static_selectorELNS0_4arch9wavefront6targetE1EEEvSK_,"axG",@progbits,_ZN7rocprim17ROCPRIM_400000_NS6detail17trampoline_kernelINS0_14default_configENS1_35radix_sort_onesweep_config_selectorItNS0_10empty_typeEEEZZNS1_29radix_sort_onesweep_iterationIS3_Lb0EN6thrust23THRUST_200600_302600_NS6detail15normal_iteratorINS9_10device_ptrItEEEESE_PS5_SF_jNS0_19identity_decomposerENS1_16block_id_wrapperIjLb0EEEEE10hipError_tT1_PNSt15iterator_traitsISK_E10value_typeET2_T3_PNSL_ISQ_E10value_typeET4_T5_PSV_SW_PNS1_23onesweep_lookback_stateEbbT6_jjT7_P12ihipStream_tbENKUlT_T0_SK_SP_E_clIPtSE_SF_SF_EEDaS13_S14_SK_SP_EUlS13_E_NS1_11comp_targetILNS1_3genE10ELNS1_11target_archE1201ELNS1_3gpuE5ELNS1_3repE0EEENS1_47radix_sort_onesweep_sort_config_static_selectorELNS0_4arch9wavefront6targetE1EEEvSK_,comdat
	.protected	_ZN7rocprim17ROCPRIM_400000_NS6detail17trampoline_kernelINS0_14default_configENS1_35radix_sort_onesweep_config_selectorItNS0_10empty_typeEEEZZNS1_29radix_sort_onesweep_iterationIS3_Lb0EN6thrust23THRUST_200600_302600_NS6detail15normal_iteratorINS9_10device_ptrItEEEESE_PS5_SF_jNS0_19identity_decomposerENS1_16block_id_wrapperIjLb0EEEEE10hipError_tT1_PNSt15iterator_traitsISK_E10value_typeET2_T3_PNSL_ISQ_E10value_typeET4_T5_PSV_SW_PNS1_23onesweep_lookback_stateEbbT6_jjT7_P12ihipStream_tbENKUlT_T0_SK_SP_E_clIPtSE_SF_SF_EEDaS13_S14_SK_SP_EUlS13_E_NS1_11comp_targetILNS1_3genE10ELNS1_11target_archE1201ELNS1_3gpuE5ELNS1_3repE0EEENS1_47radix_sort_onesweep_sort_config_static_selectorELNS0_4arch9wavefront6targetE1EEEvSK_ ; -- Begin function _ZN7rocprim17ROCPRIM_400000_NS6detail17trampoline_kernelINS0_14default_configENS1_35radix_sort_onesweep_config_selectorItNS0_10empty_typeEEEZZNS1_29radix_sort_onesweep_iterationIS3_Lb0EN6thrust23THRUST_200600_302600_NS6detail15normal_iteratorINS9_10device_ptrItEEEESE_PS5_SF_jNS0_19identity_decomposerENS1_16block_id_wrapperIjLb0EEEEE10hipError_tT1_PNSt15iterator_traitsISK_E10value_typeET2_T3_PNSL_ISQ_E10value_typeET4_T5_PSV_SW_PNS1_23onesweep_lookback_stateEbbT6_jjT7_P12ihipStream_tbENKUlT_T0_SK_SP_E_clIPtSE_SF_SF_EEDaS13_S14_SK_SP_EUlS13_E_NS1_11comp_targetILNS1_3genE10ELNS1_11target_archE1201ELNS1_3gpuE5ELNS1_3repE0EEENS1_47radix_sort_onesweep_sort_config_static_selectorELNS0_4arch9wavefront6targetE1EEEvSK_
	.globl	_ZN7rocprim17ROCPRIM_400000_NS6detail17trampoline_kernelINS0_14default_configENS1_35radix_sort_onesweep_config_selectorItNS0_10empty_typeEEEZZNS1_29radix_sort_onesweep_iterationIS3_Lb0EN6thrust23THRUST_200600_302600_NS6detail15normal_iteratorINS9_10device_ptrItEEEESE_PS5_SF_jNS0_19identity_decomposerENS1_16block_id_wrapperIjLb0EEEEE10hipError_tT1_PNSt15iterator_traitsISK_E10value_typeET2_T3_PNSL_ISQ_E10value_typeET4_T5_PSV_SW_PNS1_23onesweep_lookback_stateEbbT6_jjT7_P12ihipStream_tbENKUlT_T0_SK_SP_E_clIPtSE_SF_SF_EEDaS13_S14_SK_SP_EUlS13_E_NS1_11comp_targetILNS1_3genE10ELNS1_11target_archE1201ELNS1_3gpuE5ELNS1_3repE0EEENS1_47radix_sort_onesweep_sort_config_static_selectorELNS0_4arch9wavefront6targetE1EEEvSK_
	.p2align	8
	.type	_ZN7rocprim17ROCPRIM_400000_NS6detail17trampoline_kernelINS0_14default_configENS1_35radix_sort_onesweep_config_selectorItNS0_10empty_typeEEEZZNS1_29radix_sort_onesweep_iterationIS3_Lb0EN6thrust23THRUST_200600_302600_NS6detail15normal_iteratorINS9_10device_ptrItEEEESE_PS5_SF_jNS0_19identity_decomposerENS1_16block_id_wrapperIjLb0EEEEE10hipError_tT1_PNSt15iterator_traitsISK_E10value_typeET2_T3_PNSL_ISQ_E10value_typeET4_T5_PSV_SW_PNS1_23onesweep_lookback_stateEbbT6_jjT7_P12ihipStream_tbENKUlT_T0_SK_SP_E_clIPtSE_SF_SF_EEDaS13_S14_SK_SP_EUlS13_E_NS1_11comp_targetILNS1_3genE10ELNS1_11target_archE1201ELNS1_3gpuE5ELNS1_3repE0EEENS1_47radix_sort_onesweep_sort_config_static_selectorELNS0_4arch9wavefront6targetE1EEEvSK_,@function
_ZN7rocprim17ROCPRIM_400000_NS6detail17trampoline_kernelINS0_14default_configENS1_35radix_sort_onesweep_config_selectorItNS0_10empty_typeEEEZZNS1_29radix_sort_onesweep_iterationIS3_Lb0EN6thrust23THRUST_200600_302600_NS6detail15normal_iteratorINS9_10device_ptrItEEEESE_PS5_SF_jNS0_19identity_decomposerENS1_16block_id_wrapperIjLb0EEEEE10hipError_tT1_PNSt15iterator_traitsISK_E10value_typeET2_T3_PNSL_ISQ_E10value_typeET4_T5_PSV_SW_PNS1_23onesweep_lookback_stateEbbT6_jjT7_P12ihipStream_tbENKUlT_T0_SK_SP_E_clIPtSE_SF_SF_EEDaS13_S14_SK_SP_EUlS13_E_NS1_11comp_targetILNS1_3genE10ELNS1_11target_archE1201ELNS1_3gpuE5ELNS1_3repE0EEENS1_47radix_sort_onesweep_sort_config_static_selectorELNS0_4arch9wavefront6targetE1EEEvSK_: ; @_ZN7rocprim17ROCPRIM_400000_NS6detail17trampoline_kernelINS0_14default_configENS1_35radix_sort_onesweep_config_selectorItNS0_10empty_typeEEEZZNS1_29radix_sort_onesweep_iterationIS3_Lb0EN6thrust23THRUST_200600_302600_NS6detail15normal_iteratorINS9_10device_ptrItEEEESE_PS5_SF_jNS0_19identity_decomposerENS1_16block_id_wrapperIjLb0EEEEE10hipError_tT1_PNSt15iterator_traitsISK_E10value_typeET2_T3_PNSL_ISQ_E10value_typeET4_T5_PSV_SW_PNS1_23onesweep_lookback_stateEbbT6_jjT7_P12ihipStream_tbENKUlT_T0_SK_SP_E_clIPtSE_SF_SF_EEDaS13_S14_SK_SP_EUlS13_E_NS1_11comp_targetILNS1_3genE10ELNS1_11target_archE1201ELNS1_3gpuE5ELNS1_3repE0EEENS1_47radix_sort_onesweep_sort_config_static_selectorELNS0_4arch9wavefront6targetE1EEEvSK_
; %bb.0:
	.section	.rodata,"a",@progbits
	.p2align	6, 0x0
	.amdhsa_kernel _ZN7rocprim17ROCPRIM_400000_NS6detail17trampoline_kernelINS0_14default_configENS1_35radix_sort_onesweep_config_selectorItNS0_10empty_typeEEEZZNS1_29radix_sort_onesweep_iterationIS3_Lb0EN6thrust23THRUST_200600_302600_NS6detail15normal_iteratorINS9_10device_ptrItEEEESE_PS5_SF_jNS0_19identity_decomposerENS1_16block_id_wrapperIjLb0EEEEE10hipError_tT1_PNSt15iterator_traitsISK_E10value_typeET2_T3_PNSL_ISQ_E10value_typeET4_T5_PSV_SW_PNS1_23onesweep_lookback_stateEbbT6_jjT7_P12ihipStream_tbENKUlT_T0_SK_SP_E_clIPtSE_SF_SF_EEDaS13_S14_SK_SP_EUlS13_E_NS1_11comp_targetILNS1_3genE10ELNS1_11target_archE1201ELNS1_3gpuE5ELNS1_3repE0EEENS1_47radix_sort_onesweep_sort_config_static_selectorELNS0_4arch9wavefront6targetE1EEEvSK_
		.amdhsa_group_segment_fixed_size 0
		.amdhsa_private_segment_fixed_size 0
		.amdhsa_kernarg_size 88
		.amdhsa_user_sgpr_count 2
		.amdhsa_user_sgpr_dispatch_ptr 0
		.amdhsa_user_sgpr_queue_ptr 0
		.amdhsa_user_sgpr_kernarg_segment_ptr 1
		.amdhsa_user_sgpr_dispatch_id 0
		.amdhsa_user_sgpr_kernarg_preload_length 0
		.amdhsa_user_sgpr_kernarg_preload_offset 0
		.amdhsa_user_sgpr_private_segment_size 0
		.amdhsa_uses_dynamic_stack 0
		.amdhsa_enable_private_segment 0
		.amdhsa_system_sgpr_workgroup_id_x 1
		.amdhsa_system_sgpr_workgroup_id_y 0
		.amdhsa_system_sgpr_workgroup_id_z 0
		.amdhsa_system_sgpr_workgroup_info 0
		.amdhsa_system_vgpr_workitem_id 0
		.amdhsa_next_free_vgpr 1
		.amdhsa_next_free_sgpr 0
		.amdhsa_accum_offset 4
		.amdhsa_reserve_vcc 0
		.amdhsa_float_round_mode_32 0
		.amdhsa_float_round_mode_16_64 0
		.amdhsa_float_denorm_mode_32 3
		.amdhsa_float_denorm_mode_16_64 3
		.amdhsa_dx10_clamp 1
		.amdhsa_ieee_mode 1
		.amdhsa_fp16_overflow 0
		.amdhsa_tg_split 0
		.amdhsa_exception_fp_ieee_invalid_op 0
		.amdhsa_exception_fp_denorm_src 0
		.amdhsa_exception_fp_ieee_div_zero 0
		.amdhsa_exception_fp_ieee_overflow 0
		.amdhsa_exception_fp_ieee_underflow 0
		.amdhsa_exception_fp_ieee_inexact 0
		.amdhsa_exception_int_div_zero 0
	.end_amdhsa_kernel
	.section	.text._ZN7rocprim17ROCPRIM_400000_NS6detail17trampoline_kernelINS0_14default_configENS1_35radix_sort_onesweep_config_selectorItNS0_10empty_typeEEEZZNS1_29radix_sort_onesweep_iterationIS3_Lb0EN6thrust23THRUST_200600_302600_NS6detail15normal_iteratorINS9_10device_ptrItEEEESE_PS5_SF_jNS0_19identity_decomposerENS1_16block_id_wrapperIjLb0EEEEE10hipError_tT1_PNSt15iterator_traitsISK_E10value_typeET2_T3_PNSL_ISQ_E10value_typeET4_T5_PSV_SW_PNS1_23onesweep_lookback_stateEbbT6_jjT7_P12ihipStream_tbENKUlT_T0_SK_SP_E_clIPtSE_SF_SF_EEDaS13_S14_SK_SP_EUlS13_E_NS1_11comp_targetILNS1_3genE10ELNS1_11target_archE1201ELNS1_3gpuE5ELNS1_3repE0EEENS1_47radix_sort_onesweep_sort_config_static_selectorELNS0_4arch9wavefront6targetE1EEEvSK_,"axG",@progbits,_ZN7rocprim17ROCPRIM_400000_NS6detail17trampoline_kernelINS0_14default_configENS1_35radix_sort_onesweep_config_selectorItNS0_10empty_typeEEEZZNS1_29radix_sort_onesweep_iterationIS3_Lb0EN6thrust23THRUST_200600_302600_NS6detail15normal_iteratorINS9_10device_ptrItEEEESE_PS5_SF_jNS0_19identity_decomposerENS1_16block_id_wrapperIjLb0EEEEE10hipError_tT1_PNSt15iterator_traitsISK_E10value_typeET2_T3_PNSL_ISQ_E10value_typeET4_T5_PSV_SW_PNS1_23onesweep_lookback_stateEbbT6_jjT7_P12ihipStream_tbENKUlT_T0_SK_SP_E_clIPtSE_SF_SF_EEDaS13_S14_SK_SP_EUlS13_E_NS1_11comp_targetILNS1_3genE10ELNS1_11target_archE1201ELNS1_3gpuE5ELNS1_3repE0EEENS1_47radix_sort_onesweep_sort_config_static_selectorELNS0_4arch9wavefront6targetE1EEEvSK_,comdat
.Lfunc_end1389:
	.size	_ZN7rocprim17ROCPRIM_400000_NS6detail17trampoline_kernelINS0_14default_configENS1_35radix_sort_onesweep_config_selectorItNS0_10empty_typeEEEZZNS1_29radix_sort_onesweep_iterationIS3_Lb0EN6thrust23THRUST_200600_302600_NS6detail15normal_iteratorINS9_10device_ptrItEEEESE_PS5_SF_jNS0_19identity_decomposerENS1_16block_id_wrapperIjLb0EEEEE10hipError_tT1_PNSt15iterator_traitsISK_E10value_typeET2_T3_PNSL_ISQ_E10value_typeET4_T5_PSV_SW_PNS1_23onesweep_lookback_stateEbbT6_jjT7_P12ihipStream_tbENKUlT_T0_SK_SP_E_clIPtSE_SF_SF_EEDaS13_S14_SK_SP_EUlS13_E_NS1_11comp_targetILNS1_3genE10ELNS1_11target_archE1201ELNS1_3gpuE5ELNS1_3repE0EEENS1_47radix_sort_onesweep_sort_config_static_selectorELNS0_4arch9wavefront6targetE1EEEvSK_, .Lfunc_end1389-_ZN7rocprim17ROCPRIM_400000_NS6detail17trampoline_kernelINS0_14default_configENS1_35radix_sort_onesweep_config_selectorItNS0_10empty_typeEEEZZNS1_29radix_sort_onesweep_iterationIS3_Lb0EN6thrust23THRUST_200600_302600_NS6detail15normal_iteratorINS9_10device_ptrItEEEESE_PS5_SF_jNS0_19identity_decomposerENS1_16block_id_wrapperIjLb0EEEEE10hipError_tT1_PNSt15iterator_traitsISK_E10value_typeET2_T3_PNSL_ISQ_E10value_typeET4_T5_PSV_SW_PNS1_23onesweep_lookback_stateEbbT6_jjT7_P12ihipStream_tbENKUlT_T0_SK_SP_E_clIPtSE_SF_SF_EEDaS13_S14_SK_SP_EUlS13_E_NS1_11comp_targetILNS1_3genE10ELNS1_11target_archE1201ELNS1_3gpuE5ELNS1_3repE0EEENS1_47radix_sort_onesweep_sort_config_static_selectorELNS0_4arch9wavefront6targetE1EEEvSK_
                                        ; -- End function
	.section	.AMDGPU.csdata,"",@progbits
; Kernel info:
; codeLenInByte = 0
; NumSgprs: 6
; NumVgprs: 0
; NumAgprs: 0
; TotalNumVgprs: 0
; ScratchSize: 0
; MemoryBound: 0
; FloatMode: 240
; IeeeMode: 1
; LDSByteSize: 0 bytes/workgroup (compile time only)
; SGPRBlocks: 0
; VGPRBlocks: 0
; NumSGPRsForWavesPerEU: 6
; NumVGPRsForWavesPerEU: 1
; AccumOffset: 4
; Occupancy: 8
; WaveLimiterHint : 0
; COMPUTE_PGM_RSRC2:SCRATCH_EN: 0
; COMPUTE_PGM_RSRC2:USER_SGPR: 2
; COMPUTE_PGM_RSRC2:TRAP_HANDLER: 0
; COMPUTE_PGM_RSRC2:TGID_X_EN: 1
; COMPUTE_PGM_RSRC2:TGID_Y_EN: 0
; COMPUTE_PGM_RSRC2:TGID_Z_EN: 0
; COMPUTE_PGM_RSRC2:TIDIG_COMP_CNT: 0
; COMPUTE_PGM_RSRC3_GFX90A:ACCUM_OFFSET: 0
; COMPUTE_PGM_RSRC3_GFX90A:TG_SPLIT: 0
	.section	.text._ZN7rocprim17ROCPRIM_400000_NS6detail17trampoline_kernelINS0_14default_configENS1_35radix_sort_onesweep_config_selectorItNS0_10empty_typeEEEZZNS1_29radix_sort_onesweep_iterationIS3_Lb0EN6thrust23THRUST_200600_302600_NS6detail15normal_iteratorINS9_10device_ptrItEEEESE_PS5_SF_jNS0_19identity_decomposerENS1_16block_id_wrapperIjLb0EEEEE10hipError_tT1_PNSt15iterator_traitsISK_E10value_typeET2_T3_PNSL_ISQ_E10value_typeET4_T5_PSV_SW_PNS1_23onesweep_lookback_stateEbbT6_jjT7_P12ihipStream_tbENKUlT_T0_SK_SP_E_clIPtSE_SF_SF_EEDaS13_S14_SK_SP_EUlS13_E_NS1_11comp_targetILNS1_3genE9ELNS1_11target_archE1100ELNS1_3gpuE3ELNS1_3repE0EEENS1_47radix_sort_onesweep_sort_config_static_selectorELNS0_4arch9wavefront6targetE1EEEvSK_,"axG",@progbits,_ZN7rocprim17ROCPRIM_400000_NS6detail17trampoline_kernelINS0_14default_configENS1_35radix_sort_onesweep_config_selectorItNS0_10empty_typeEEEZZNS1_29radix_sort_onesweep_iterationIS3_Lb0EN6thrust23THRUST_200600_302600_NS6detail15normal_iteratorINS9_10device_ptrItEEEESE_PS5_SF_jNS0_19identity_decomposerENS1_16block_id_wrapperIjLb0EEEEE10hipError_tT1_PNSt15iterator_traitsISK_E10value_typeET2_T3_PNSL_ISQ_E10value_typeET4_T5_PSV_SW_PNS1_23onesweep_lookback_stateEbbT6_jjT7_P12ihipStream_tbENKUlT_T0_SK_SP_E_clIPtSE_SF_SF_EEDaS13_S14_SK_SP_EUlS13_E_NS1_11comp_targetILNS1_3genE9ELNS1_11target_archE1100ELNS1_3gpuE3ELNS1_3repE0EEENS1_47radix_sort_onesweep_sort_config_static_selectorELNS0_4arch9wavefront6targetE1EEEvSK_,comdat
	.protected	_ZN7rocprim17ROCPRIM_400000_NS6detail17trampoline_kernelINS0_14default_configENS1_35radix_sort_onesweep_config_selectorItNS0_10empty_typeEEEZZNS1_29radix_sort_onesweep_iterationIS3_Lb0EN6thrust23THRUST_200600_302600_NS6detail15normal_iteratorINS9_10device_ptrItEEEESE_PS5_SF_jNS0_19identity_decomposerENS1_16block_id_wrapperIjLb0EEEEE10hipError_tT1_PNSt15iterator_traitsISK_E10value_typeET2_T3_PNSL_ISQ_E10value_typeET4_T5_PSV_SW_PNS1_23onesweep_lookback_stateEbbT6_jjT7_P12ihipStream_tbENKUlT_T0_SK_SP_E_clIPtSE_SF_SF_EEDaS13_S14_SK_SP_EUlS13_E_NS1_11comp_targetILNS1_3genE9ELNS1_11target_archE1100ELNS1_3gpuE3ELNS1_3repE0EEENS1_47radix_sort_onesweep_sort_config_static_selectorELNS0_4arch9wavefront6targetE1EEEvSK_ ; -- Begin function _ZN7rocprim17ROCPRIM_400000_NS6detail17trampoline_kernelINS0_14default_configENS1_35radix_sort_onesweep_config_selectorItNS0_10empty_typeEEEZZNS1_29radix_sort_onesweep_iterationIS3_Lb0EN6thrust23THRUST_200600_302600_NS6detail15normal_iteratorINS9_10device_ptrItEEEESE_PS5_SF_jNS0_19identity_decomposerENS1_16block_id_wrapperIjLb0EEEEE10hipError_tT1_PNSt15iterator_traitsISK_E10value_typeET2_T3_PNSL_ISQ_E10value_typeET4_T5_PSV_SW_PNS1_23onesweep_lookback_stateEbbT6_jjT7_P12ihipStream_tbENKUlT_T0_SK_SP_E_clIPtSE_SF_SF_EEDaS13_S14_SK_SP_EUlS13_E_NS1_11comp_targetILNS1_3genE9ELNS1_11target_archE1100ELNS1_3gpuE3ELNS1_3repE0EEENS1_47radix_sort_onesweep_sort_config_static_selectorELNS0_4arch9wavefront6targetE1EEEvSK_
	.globl	_ZN7rocprim17ROCPRIM_400000_NS6detail17trampoline_kernelINS0_14default_configENS1_35radix_sort_onesweep_config_selectorItNS0_10empty_typeEEEZZNS1_29radix_sort_onesweep_iterationIS3_Lb0EN6thrust23THRUST_200600_302600_NS6detail15normal_iteratorINS9_10device_ptrItEEEESE_PS5_SF_jNS0_19identity_decomposerENS1_16block_id_wrapperIjLb0EEEEE10hipError_tT1_PNSt15iterator_traitsISK_E10value_typeET2_T3_PNSL_ISQ_E10value_typeET4_T5_PSV_SW_PNS1_23onesweep_lookback_stateEbbT6_jjT7_P12ihipStream_tbENKUlT_T0_SK_SP_E_clIPtSE_SF_SF_EEDaS13_S14_SK_SP_EUlS13_E_NS1_11comp_targetILNS1_3genE9ELNS1_11target_archE1100ELNS1_3gpuE3ELNS1_3repE0EEENS1_47radix_sort_onesweep_sort_config_static_selectorELNS0_4arch9wavefront6targetE1EEEvSK_
	.p2align	8
	.type	_ZN7rocprim17ROCPRIM_400000_NS6detail17trampoline_kernelINS0_14default_configENS1_35radix_sort_onesweep_config_selectorItNS0_10empty_typeEEEZZNS1_29radix_sort_onesweep_iterationIS3_Lb0EN6thrust23THRUST_200600_302600_NS6detail15normal_iteratorINS9_10device_ptrItEEEESE_PS5_SF_jNS0_19identity_decomposerENS1_16block_id_wrapperIjLb0EEEEE10hipError_tT1_PNSt15iterator_traitsISK_E10value_typeET2_T3_PNSL_ISQ_E10value_typeET4_T5_PSV_SW_PNS1_23onesweep_lookback_stateEbbT6_jjT7_P12ihipStream_tbENKUlT_T0_SK_SP_E_clIPtSE_SF_SF_EEDaS13_S14_SK_SP_EUlS13_E_NS1_11comp_targetILNS1_3genE9ELNS1_11target_archE1100ELNS1_3gpuE3ELNS1_3repE0EEENS1_47radix_sort_onesweep_sort_config_static_selectorELNS0_4arch9wavefront6targetE1EEEvSK_,@function
_ZN7rocprim17ROCPRIM_400000_NS6detail17trampoline_kernelINS0_14default_configENS1_35radix_sort_onesweep_config_selectorItNS0_10empty_typeEEEZZNS1_29radix_sort_onesweep_iterationIS3_Lb0EN6thrust23THRUST_200600_302600_NS6detail15normal_iteratorINS9_10device_ptrItEEEESE_PS5_SF_jNS0_19identity_decomposerENS1_16block_id_wrapperIjLb0EEEEE10hipError_tT1_PNSt15iterator_traitsISK_E10value_typeET2_T3_PNSL_ISQ_E10value_typeET4_T5_PSV_SW_PNS1_23onesweep_lookback_stateEbbT6_jjT7_P12ihipStream_tbENKUlT_T0_SK_SP_E_clIPtSE_SF_SF_EEDaS13_S14_SK_SP_EUlS13_E_NS1_11comp_targetILNS1_3genE9ELNS1_11target_archE1100ELNS1_3gpuE3ELNS1_3repE0EEENS1_47radix_sort_onesweep_sort_config_static_selectorELNS0_4arch9wavefront6targetE1EEEvSK_: ; @_ZN7rocprim17ROCPRIM_400000_NS6detail17trampoline_kernelINS0_14default_configENS1_35radix_sort_onesweep_config_selectorItNS0_10empty_typeEEEZZNS1_29radix_sort_onesweep_iterationIS3_Lb0EN6thrust23THRUST_200600_302600_NS6detail15normal_iteratorINS9_10device_ptrItEEEESE_PS5_SF_jNS0_19identity_decomposerENS1_16block_id_wrapperIjLb0EEEEE10hipError_tT1_PNSt15iterator_traitsISK_E10value_typeET2_T3_PNSL_ISQ_E10value_typeET4_T5_PSV_SW_PNS1_23onesweep_lookback_stateEbbT6_jjT7_P12ihipStream_tbENKUlT_T0_SK_SP_E_clIPtSE_SF_SF_EEDaS13_S14_SK_SP_EUlS13_E_NS1_11comp_targetILNS1_3genE9ELNS1_11target_archE1100ELNS1_3gpuE3ELNS1_3repE0EEENS1_47radix_sort_onesweep_sort_config_static_selectorELNS0_4arch9wavefront6targetE1EEEvSK_
; %bb.0:
	.section	.rodata,"a",@progbits
	.p2align	6, 0x0
	.amdhsa_kernel _ZN7rocprim17ROCPRIM_400000_NS6detail17trampoline_kernelINS0_14default_configENS1_35radix_sort_onesweep_config_selectorItNS0_10empty_typeEEEZZNS1_29radix_sort_onesweep_iterationIS3_Lb0EN6thrust23THRUST_200600_302600_NS6detail15normal_iteratorINS9_10device_ptrItEEEESE_PS5_SF_jNS0_19identity_decomposerENS1_16block_id_wrapperIjLb0EEEEE10hipError_tT1_PNSt15iterator_traitsISK_E10value_typeET2_T3_PNSL_ISQ_E10value_typeET4_T5_PSV_SW_PNS1_23onesweep_lookback_stateEbbT6_jjT7_P12ihipStream_tbENKUlT_T0_SK_SP_E_clIPtSE_SF_SF_EEDaS13_S14_SK_SP_EUlS13_E_NS1_11comp_targetILNS1_3genE9ELNS1_11target_archE1100ELNS1_3gpuE3ELNS1_3repE0EEENS1_47radix_sort_onesweep_sort_config_static_selectorELNS0_4arch9wavefront6targetE1EEEvSK_
		.amdhsa_group_segment_fixed_size 0
		.amdhsa_private_segment_fixed_size 0
		.amdhsa_kernarg_size 88
		.amdhsa_user_sgpr_count 2
		.amdhsa_user_sgpr_dispatch_ptr 0
		.amdhsa_user_sgpr_queue_ptr 0
		.amdhsa_user_sgpr_kernarg_segment_ptr 1
		.amdhsa_user_sgpr_dispatch_id 0
		.amdhsa_user_sgpr_kernarg_preload_length 0
		.amdhsa_user_sgpr_kernarg_preload_offset 0
		.amdhsa_user_sgpr_private_segment_size 0
		.amdhsa_uses_dynamic_stack 0
		.amdhsa_enable_private_segment 0
		.amdhsa_system_sgpr_workgroup_id_x 1
		.amdhsa_system_sgpr_workgroup_id_y 0
		.amdhsa_system_sgpr_workgroup_id_z 0
		.amdhsa_system_sgpr_workgroup_info 0
		.amdhsa_system_vgpr_workitem_id 0
		.amdhsa_next_free_vgpr 1
		.amdhsa_next_free_sgpr 0
		.amdhsa_accum_offset 4
		.amdhsa_reserve_vcc 0
		.amdhsa_float_round_mode_32 0
		.amdhsa_float_round_mode_16_64 0
		.amdhsa_float_denorm_mode_32 3
		.amdhsa_float_denorm_mode_16_64 3
		.amdhsa_dx10_clamp 1
		.amdhsa_ieee_mode 1
		.amdhsa_fp16_overflow 0
		.amdhsa_tg_split 0
		.amdhsa_exception_fp_ieee_invalid_op 0
		.amdhsa_exception_fp_denorm_src 0
		.amdhsa_exception_fp_ieee_div_zero 0
		.amdhsa_exception_fp_ieee_overflow 0
		.amdhsa_exception_fp_ieee_underflow 0
		.amdhsa_exception_fp_ieee_inexact 0
		.amdhsa_exception_int_div_zero 0
	.end_amdhsa_kernel
	.section	.text._ZN7rocprim17ROCPRIM_400000_NS6detail17trampoline_kernelINS0_14default_configENS1_35radix_sort_onesweep_config_selectorItNS0_10empty_typeEEEZZNS1_29radix_sort_onesweep_iterationIS3_Lb0EN6thrust23THRUST_200600_302600_NS6detail15normal_iteratorINS9_10device_ptrItEEEESE_PS5_SF_jNS0_19identity_decomposerENS1_16block_id_wrapperIjLb0EEEEE10hipError_tT1_PNSt15iterator_traitsISK_E10value_typeET2_T3_PNSL_ISQ_E10value_typeET4_T5_PSV_SW_PNS1_23onesweep_lookback_stateEbbT6_jjT7_P12ihipStream_tbENKUlT_T0_SK_SP_E_clIPtSE_SF_SF_EEDaS13_S14_SK_SP_EUlS13_E_NS1_11comp_targetILNS1_3genE9ELNS1_11target_archE1100ELNS1_3gpuE3ELNS1_3repE0EEENS1_47radix_sort_onesweep_sort_config_static_selectorELNS0_4arch9wavefront6targetE1EEEvSK_,"axG",@progbits,_ZN7rocprim17ROCPRIM_400000_NS6detail17trampoline_kernelINS0_14default_configENS1_35radix_sort_onesweep_config_selectorItNS0_10empty_typeEEEZZNS1_29radix_sort_onesweep_iterationIS3_Lb0EN6thrust23THRUST_200600_302600_NS6detail15normal_iteratorINS9_10device_ptrItEEEESE_PS5_SF_jNS0_19identity_decomposerENS1_16block_id_wrapperIjLb0EEEEE10hipError_tT1_PNSt15iterator_traitsISK_E10value_typeET2_T3_PNSL_ISQ_E10value_typeET4_T5_PSV_SW_PNS1_23onesweep_lookback_stateEbbT6_jjT7_P12ihipStream_tbENKUlT_T0_SK_SP_E_clIPtSE_SF_SF_EEDaS13_S14_SK_SP_EUlS13_E_NS1_11comp_targetILNS1_3genE9ELNS1_11target_archE1100ELNS1_3gpuE3ELNS1_3repE0EEENS1_47radix_sort_onesweep_sort_config_static_selectorELNS0_4arch9wavefront6targetE1EEEvSK_,comdat
.Lfunc_end1390:
	.size	_ZN7rocprim17ROCPRIM_400000_NS6detail17trampoline_kernelINS0_14default_configENS1_35radix_sort_onesweep_config_selectorItNS0_10empty_typeEEEZZNS1_29radix_sort_onesweep_iterationIS3_Lb0EN6thrust23THRUST_200600_302600_NS6detail15normal_iteratorINS9_10device_ptrItEEEESE_PS5_SF_jNS0_19identity_decomposerENS1_16block_id_wrapperIjLb0EEEEE10hipError_tT1_PNSt15iterator_traitsISK_E10value_typeET2_T3_PNSL_ISQ_E10value_typeET4_T5_PSV_SW_PNS1_23onesweep_lookback_stateEbbT6_jjT7_P12ihipStream_tbENKUlT_T0_SK_SP_E_clIPtSE_SF_SF_EEDaS13_S14_SK_SP_EUlS13_E_NS1_11comp_targetILNS1_3genE9ELNS1_11target_archE1100ELNS1_3gpuE3ELNS1_3repE0EEENS1_47radix_sort_onesweep_sort_config_static_selectorELNS0_4arch9wavefront6targetE1EEEvSK_, .Lfunc_end1390-_ZN7rocprim17ROCPRIM_400000_NS6detail17trampoline_kernelINS0_14default_configENS1_35radix_sort_onesweep_config_selectorItNS0_10empty_typeEEEZZNS1_29radix_sort_onesweep_iterationIS3_Lb0EN6thrust23THRUST_200600_302600_NS6detail15normal_iteratorINS9_10device_ptrItEEEESE_PS5_SF_jNS0_19identity_decomposerENS1_16block_id_wrapperIjLb0EEEEE10hipError_tT1_PNSt15iterator_traitsISK_E10value_typeET2_T3_PNSL_ISQ_E10value_typeET4_T5_PSV_SW_PNS1_23onesweep_lookback_stateEbbT6_jjT7_P12ihipStream_tbENKUlT_T0_SK_SP_E_clIPtSE_SF_SF_EEDaS13_S14_SK_SP_EUlS13_E_NS1_11comp_targetILNS1_3genE9ELNS1_11target_archE1100ELNS1_3gpuE3ELNS1_3repE0EEENS1_47radix_sort_onesweep_sort_config_static_selectorELNS0_4arch9wavefront6targetE1EEEvSK_
                                        ; -- End function
	.section	.AMDGPU.csdata,"",@progbits
; Kernel info:
; codeLenInByte = 0
; NumSgprs: 6
; NumVgprs: 0
; NumAgprs: 0
; TotalNumVgprs: 0
; ScratchSize: 0
; MemoryBound: 0
; FloatMode: 240
; IeeeMode: 1
; LDSByteSize: 0 bytes/workgroup (compile time only)
; SGPRBlocks: 0
; VGPRBlocks: 0
; NumSGPRsForWavesPerEU: 6
; NumVGPRsForWavesPerEU: 1
; AccumOffset: 4
; Occupancy: 8
; WaveLimiterHint : 0
; COMPUTE_PGM_RSRC2:SCRATCH_EN: 0
; COMPUTE_PGM_RSRC2:USER_SGPR: 2
; COMPUTE_PGM_RSRC2:TRAP_HANDLER: 0
; COMPUTE_PGM_RSRC2:TGID_X_EN: 1
; COMPUTE_PGM_RSRC2:TGID_Y_EN: 0
; COMPUTE_PGM_RSRC2:TGID_Z_EN: 0
; COMPUTE_PGM_RSRC2:TIDIG_COMP_CNT: 0
; COMPUTE_PGM_RSRC3_GFX90A:ACCUM_OFFSET: 0
; COMPUTE_PGM_RSRC3_GFX90A:TG_SPLIT: 0
	.section	.text._ZN7rocprim17ROCPRIM_400000_NS6detail17trampoline_kernelINS0_14default_configENS1_35radix_sort_onesweep_config_selectorItNS0_10empty_typeEEEZZNS1_29radix_sort_onesweep_iterationIS3_Lb0EN6thrust23THRUST_200600_302600_NS6detail15normal_iteratorINS9_10device_ptrItEEEESE_PS5_SF_jNS0_19identity_decomposerENS1_16block_id_wrapperIjLb0EEEEE10hipError_tT1_PNSt15iterator_traitsISK_E10value_typeET2_T3_PNSL_ISQ_E10value_typeET4_T5_PSV_SW_PNS1_23onesweep_lookback_stateEbbT6_jjT7_P12ihipStream_tbENKUlT_T0_SK_SP_E_clIPtSE_SF_SF_EEDaS13_S14_SK_SP_EUlS13_E_NS1_11comp_targetILNS1_3genE8ELNS1_11target_archE1030ELNS1_3gpuE2ELNS1_3repE0EEENS1_47radix_sort_onesweep_sort_config_static_selectorELNS0_4arch9wavefront6targetE1EEEvSK_,"axG",@progbits,_ZN7rocprim17ROCPRIM_400000_NS6detail17trampoline_kernelINS0_14default_configENS1_35radix_sort_onesweep_config_selectorItNS0_10empty_typeEEEZZNS1_29radix_sort_onesweep_iterationIS3_Lb0EN6thrust23THRUST_200600_302600_NS6detail15normal_iteratorINS9_10device_ptrItEEEESE_PS5_SF_jNS0_19identity_decomposerENS1_16block_id_wrapperIjLb0EEEEE10hipError_tT1_PNSt15iterator_traitsISK_E10value_typeET2_T3_PNSL_ISQ_E10value_typeET4_T5_PSV_SW_PNS1_23onesweep_lookback_stateEbbT6_jjT7_P12ihipStream_tbENKUlT_T0_SK_SP_E_clIPtSE_SF_SF_EEDaS13_S14_SK_SP_EUlS13_E_NS1_11comp_targetILNS1_3genE8ELNS1_11target_archE1030ELNS1_3gpuE2ELNS1_3repE0EEENS1_47radix_sort_onesweep_sort_config_static_selectorELNS0_4arch9wavefront6targetE1EEEvSK_,comdat
	.protected	_ZN7rocprim17ROCPRIM_400000_NS6detail17trampoline_kernelINS0_14default_configENS1_35radix_sort_onesweep_config_selectorItNS0_10empty_typeEEEZZNS1_29radix_sort_onesweep_iterationIS3_Lb0EN6thrust23THRUST_200600_302600_NS6detail15normal_iteratorINS9_10device_ptrItEEEESE_PS5_SF_jNS0_19identity_decomposerENS1_16block_id_wrapperIjLb0EEEEE10hipError_tT1_PNSt15iterator_traitsISK_E10value_typeET2_T3_PNSL_ISQ_E10value_typeET4_T5_PSV_SW_PNS1_23onesweep_lookback_stateEbbT6_jjT7_P12ihipStream_tbENKUlT_T0_SK_SP_E_clIPtSE_SF_SF_EEDaS13_S14_SK_SP_EUlS13_E_NS1_11comp_targetILNS1_3genE8ELNS1_11target_archE1030ELNS1_3gpuE2ELNS1_3repE0EEENS1_47radix_sort_onesweep_sort_config_static_selectorELNS0_4arch9wavefront6targetE1EEEvSK_ ; -- Begin function _ZN7rocprim17ROCPRIM_400000_NS6detail17trampoline_kernelINS0_14default_configENS1_35radix_sort_onesweep_config_selectorItNS0_10empty_typeEEEZZNS1_29radix_sort_onesweep_iterationIS3_Lb0EN6thrust23THRUST_200600_302600_NS6detail15normal_iteratorINS9_10device_ptrItEEEESE_PS5_SF_jNS0_19identity_decomposerENS1_16block_id_wrapperIjLb0EEEEE10hipError_tT1_PNSt15iterator_traitsISK_E10value_typeET2_T3_PNSL_ISQ_E10value_typeET4_T5_PSV_SW_PNS1_23onesweep_lookback_stateEbbT6_jjT7_P12ihipStream_tbENKUlT_T0_SK_SP_E_clIPtSE_SF_SF_EEDaS13_S14_SK_SP_EUlS13_E_NS1_11comp_targetILNS1_3genE8ELNS1_11target_archE1030ELNS1_3gpuE2ELNS1_3repE0EEENS1_47radix_sort_onesweep_sort_config_static_selectorELNS0_4arch9wavefront6targetE1EEEvSK_
	.globl	_ZN7rocprim17ROCPRIM_400000_NS6detail17trampoline_kernelINS0_14default_configENS1_35radix_sort_onesweep_config_selectorItNS0_10empty_typeEEEZZNS1_29radix_sort_onesweep_iterationIS3_Lb0EN6thrust23THRUST_200600_302600_NS6detail15normal_iteratorINS9_10device_ptrItEEEESE_PS5_SF_jNS0_19identity_decomposerENS1_16block_id_wrapperIjLb0EEEEE10hipError_tT1_PNSt15iterator_traitsISK_E10value_typeET2_T3_PNSL_ISQ_E10value_typeET4_T5_PSV_SW_PNS1_23onesweep_lookback_stateEbbT6_jjT7_P12ihipStream_tbENKUlT_T0_SK_SP_E_clIPtSE_SF_SF_EEDaS13_S14_SK_SP_EUlS13_E_NS1_11comp_targetILNS1_3genE8ELNS1_11target_archE1030ELNS1_3gpuE2ELNS1_3repE0EEENS1_47radix_sort_onesweep_sort_config_static_selectorELNS0_4arch9wavefront6targetE1EEEvSK_
	.p2align	8
	.type	_ZN7rocprim17ROCPRIM_400000_NS6detail17trampoline_kernelINS0_14default_configENS1_35radix_sort_onesweep_config_selectorItNS0_10empty_typeEEEZZNS1_29radix_sort_onesweep_iterationIS3_Lb0EN6thrust23THRUST_200600_302600_NS6detail15normal_iteratorINS9_10device_ptrItEEEESE_PS5_SF_jNS0_19identity_decomposerENS1_16block_id_wrapperIjLb0EEEEE10hipError_tT1_PNSt15iterator_traitsISK_E10value_typeET2_T3_PNSL_ISQ_E10value_typeET4_T5_PSV_SW_PNS1_23onesweep_lookback_stateEbbT6_jjT7_P12ihipStream_tbENKUlT_T0_SK_SP_E_clIPtSE_SF_SF_EEDaS13_S14_SK_SP_EUlS13_E_NS1_11comp_targetILNS1_3genE8ELNS1_11target_archE1030ELNS1_3gpuE2ELNS1_3repE0EEENS1_47radix_sort_onesweep_sort_config_static_selectorELNS0_4arch9wavefront6targetE1EEEvSK_,@function
_ZN7rocprim17ROCPRIM_400000_NS6detail17trampoline_kernelINS0_14default_configENS1_35radix_sort_onesweep_config_selectorItNS0_10empty_typeEEEZZNS1_29radix_sort_onesweep_iterationIS3_Lb0EN6thrust23THRUST_200600_302600_NS6detail15normal_iteratorINS9_10device_ptrItEEEESE_PS5_SF_jNS0_19identity_decomposerENS1_16block_id_wrapperIjLb0EEEEE10hipError_tT1_PNSt15iterator_traitsISK_E10value_typeET2_T3_PNSL_ISQ_E10value_typeET4_T5_PSV_SW_PNS1_23onesweep_lookback_stateEbbT6_jjT7_P12ihipStream_tbENKUlT_T0_SK_SP_E_clIPtSE_SF_SF_EEDaS13_S14_SK_SP_EUlS13_E_NS1_11comp_targetILNS1_3genE8ELNS1_11target_archE1030ELNS1_3gpuE2ELNS1_3repE0EEENS1_47radix_sort_onesweep_sort_config_static_selectorELNS0_4arch9wavefront6targetE1EEEvSK_: ; @_ZN7rocprim17ROCPRIM_400000_NS6detail17trampoline_kernelINS0_14default_configENS1_35radix_sort_onesweep_config_selectorItNS0_10empty_typeEEEZZNS1_29radix_sort_onesweep_iterationIS3_Lb0EN6thrust23THRUST_200600_302600_NS6detail15normal_iteratorINS9_10device_ptrItEEEESE_PS5_SF_jNS0_19identity_decomposerENS1_16block_id_wrapperIjLb0EEEEE10hipError_tT1_PNSt15iterator_traitsISK_E10value_typeET2_T3_PNSL_ISQ_E10value_typeET4_T5_PSV_SW_PNS1_23onesweep_lookback_stateEbbT6_jjT7_P12ihipStream_tbENKUlT_T0_SK_SP_E_clIPtSE_SF_SF_EEDaS13_S14_SK_SP_EUlS13_E_NS1_11comp_targetILNS1_3genE8ELNS1_11target_archE1030ELNS1_3gpuE2ELNS1_3repE0EEENS1_47radix_sort_onesweep_sort_config_static_selectorELNS0_4arch9wavefront6targetE1EEEvSK_
; %bb.0:
	.section	.rodata,"a",@progbits
	.p2align	6, 0x0
	.amdhsa_kernel _ZN7rocprim17ROCPRIM_400000_NS6detail17trampoline_kernelINS0_14default_configENS1_35radix_sort_onesweep_config_selectorItNS0_10empty_typeEEEZZNS1_29radix_sort_onesweep_iterationIS3_Lb0EN6thrust23THRUST_200600_302600_NS6detail15normal_iteratorINS9_10device_ptrItEEEESE_PS5_SF_jNS0_19identity_decomposerENS1_16block_id_wrapperIjLb0EEEEE10hipError_tT1_PNSt15iterator_traitsISK_E10value_typeET2_T3_PNSL_ISQ_E10value_typeET4_T5_PSV_SW_PNS1_23onesweep_lookback_stateEbbT6_jjT7_P12ihipStream_tbENKUlT_T0_SK_SP_E_clIPtSE_SF_SF_EEDaS13_S14_SK_SP_EUlS13_E_NS1_11comp_targetILNS1_3genE8ELNS1_11target_archE1030ELNS1_3gpuE2ELNS1_3repE0EEENS1_47radix_sort_onesweep_sort_config_static_selectorELNS0_4arch9wavefront6targetE1EEEvSK_
		.amdhsa_group_segment_fixed_size 0
		.amdhsa_private_segment_fixed_size 0
		.amdhsa_kernarg_size 88
		.amdhsa_user_sgpr_count 2
		.amdhsa_user_sgpr_dispatch_ptr 0
		.amdhsa_user_sgpr_queue_ptr 0
		.amdhsa_user_sgpr_kernarg_segment_ptr 1
		.amdhsa_user_sgpr_dispatch_id 0
		.amdhsa_user_sgpr_kernarg_preload_length 0
		.amdhsa_user_sgpr_kernarg_preload_offset 0
		.amdhsa_user_sgpr_private_segment_size 0
		.amdhsa_uses_dynamic_stack 0
		.amdhsa_enable_private_segment 0
		.amdhsa_system_sgpr_workgroup_id_x 1
		.amdhsa_system_sgpr_workgroup_id_y 0
		.amdhsa_system_sgpr_workgroup_id_z 0
		.amdhsa_system_sgpr_workgroup_info 0
		.amdhsa_system_vgpr_workitem_id 0
		.amdhsa_next_free_vgpr 1
		.amdhsa_next_free_sgpr 0
		.amdhsa_accum_offset 4
		.amdhsa_reserve_vcc 0
		.amdhsa_float_round_mode_32 0
		.amdhsa_float_round_mode_16_64 0
		.amdhsa_float_denorm_mode_32 3
		.amdhsa_float_denorm_mode_16_64 3
		.amdhsa_dx10_clamp 1
		.amdhsa_ieee_mode 1
		.amdhsa_fp16_overflow 0
		.amdhsa_tg_split 0
		.amdhsa_exception_fp_ieee_invalid_op 0
		.amdhsa_exception_fp_denorm_src 0
		.amdhsa_exception_fp_ieee_div_zero 0
		.amdhsa_exception_fp_ieee_overflow 0
		.amdhsa_exception_fp_ieee_underflow 0
		.amdhsa_exception_fp_ieee_inexact 0
		.amdhsa_exception_int_div_zero 0
	.end_amdhsa_kernel
	.section	.text._ZN7rocprim17ROCPRIM_400000_NS6detail17trampoline_kernelINS0_14default_configENS1_35radix_sort_onesweep_config_selectorItNS0_10empty_typeEEEZZNS1_29radix_sort_onesweep_iterationIS3_Lb0EN6thrust23THRUST_200600_302600_NS6detail15normal_iteratorINS9_10device_ptrItEEEESE_PS5_SF_jNS0_19identity_decomposerENS1_16block_id_wrapperIjLb0EEEEE10hipError_tT1_PNSt15iterator_traitsISK_E10value_typeET2_T3_PNSL_ISQ_E10value_typeET4_T5_PSV_SW_PNS1_23onesweep_lookback_stateEbbT6_jjT7_P12ihipStream_tbENKUlT_T0_SK_SP_E_clIPtSE_SF_SF_EEDaS13_S14_SK_SP_EUlS13_E_NS1_11comp_targetILNS1_3genE8ELNS1_11target_archE1030ELNS1_3gpuE2ELNS1_3repE0EEENS1_47radix_sort_onesweep_sort_config_static_selectorELNS0_4arch9wavefront6targetE1EEEvSK_,"axG",@progbits,_ZN7rocprim17ROCPRIM_400000_NS6detail17trampoline_kernelINS0_14default_configENS1_35radix_sort_onesweep_config_selectorItNS0_10empty_typeEEEZZNS1_29radix_sort_onesweep_iterationIS3_Lb0EN6thrust23THRUST_200600_302600_NS6detail15normal_iteratorINS9_10device_ptrItEEEESE_PS5_SF_jNS0_19identity_decomposerENS1_16block_id_wrapperIjLb0EEEEE10hipError_tT1_PNSt15iterator_traitsISK_E10value_typeET2_T3_PNSL_ISQ_E10value_typeET4_T5_PSV_SW_PNS1_23onesweep_lookback_stateEbbT6_jjT7_P12ihipStream_tbENKUlT_T0_SK_SP_E_clIPtSE_SF_SF_EEDaS13_S14_SK_SP_EUlS13_E_NS1_11comp_targetILNS1_3genE8ELNS1_11target_archE1030ELNS1_3gpuE2ELNS1_3repE0EEENS1_47radix_sort_onesweep_sort_config_static_selectorELNS0_4arch9wavefront6targetE1EEEvSK_,comdat
.Lfunc_end1391:
	.size	_ZN7rocprim17ROCPRIM_400000_NS6detail17trampoline_kernelINS0_14default_configENS1_35radix_sort_onesweep_config_selectorItNS0_10empty_typeEEEZZNS1_29radix_sort_onesweep_iterationIS3_Lb0EN6thrust23THRUST_200600_302600_NS6detail15normal_iteratorINS9_10device_ptrItEEEESE_PS5_SF_jNS0_19identity_decomposerENS1_16block_id_wrapperIjLb0EEEEE10hipError_tT1_PNSt15iterator_traitsISK_E10value_typeET2_T3_PNSL_ISQ_E10value_typeET4_T5_PSV_SW_PNS1_23onesweep_lookback_stateEbbT6_jjT7_P12ihipStream_tbENKUlT_T0_SK_SP_E_clIPtSE_SF_SF_EEDaS13_S14_SK_SP_EUlS13_E_NS1_11comp_targetILNS1_3genE8ELNS1_11target_archE1030ELNS1_3gpuE2ELNS1_3repE0EEENS1_47radix_sort_onesweep_sort_config_static_selectorELNS0_4arch9wavefront6targetE1EEEvSK_, .Lfunc_end1391-_ZN7rocprim17ROCPRIM_400000_NS6detail17trampoline_kernelINS0_14default_configENS1_35radix_sort_onesweep_config_selectorItNS0_10empty_typeEEEZZNS1_29radix_sort_onesweep_iterationIS3_Lb0EN6thrust23THRUST_200600_302600_NS6detail15normal_iteratorINS9_10device_ptrItEEEESE_PS5_SF_jNS0_19identity_decomposerENS1_16block_id_wrapperIjLb0EEEEE10hipError_tT1_PNSt15iterator_traitsISK_E10value_typeET2_T3_PNSL_ISQ_E10value_typeET4_T5_PSV_SW_PNS1_23onesweep_lookback_stateEbbT6_jjT7_P12ihipStream_tbENKUlT_T0_SK_SP_E_clIPtSE_SF_SF_EEDaS13_S14_SK_SP_EUlS13_E_NS1_11comp_targetILNS1_3genE8ELNS1_11target_archE1030ELNS1_3gpuE2ELNS1_3repE0EEENS1_47radix_sort_onesweep_sort_config_static_selectorELNS0_4arch9wavefront6targetE1EEEvSK_
                                        ; -- End function
	.section	.AMDGPU.csdata,"",@progbits
; Kernel info:
; codeLenInByte = 0
; NumSgprs: 6
; NumVgprs: 0
; NumAgprs: 0
; TotalNumVgprs: 0
; ScratchSize: 0
; MemoryBound: 0
; FloatMode: 240
; IeeeMode: 1
; LDSByteSize: 0 bytes/workgroup (compile time only)
; SGPRBlocks: 0
; VGPRBlocks: 0
; NumSGPRsForWavesPerEU: 6
; NumVGPRsForWavesPerEU: 1
; AccumOffset: 4
; Occupancy: 8
; WaveLimiterHint : 0
; COMPUTE_PGM_RSRC2:SCRATCH_EN: 0
; COMPUTE_PGM_RSRC2:USER_SGPR: 2
; COMPUTE_PGM_RSRC2:TRAP_HANDLER: 0
; COMPUTE_PGM_RSRC2:TGID_X_EN: 1
; COMPUTE_PGM_RSRC2:TGID_Y_EN: 0
; COMPUTE_PGM_RSRC2:TGID_Z_EN: 0
; COMPUTE_PGM_RSRC2:TIDIG_COMP_CNT: 0
; COMPUTE_PGM_RSRC3_GFX90A:ACCUM_OFFSET: 0
; COMPUTE_PGM_RSRC3_GFX90A:TG_SPLIT: 0
	.section	.text._ZN7rocprim17ROCPRIM_400000_NS6detail17trampoline_kernelINS0_13kernel_configILj256ELj4ELj4294967295EEENS1_37radix_sort_block_sort_config_selectorIxNS0_10empty_typeEEEZNS1_21radix_sort_block_sortIS4_Lb0EN6thrust23THRUST_200600_302600_NS6detail15normal_iteratorINSA_10device_ptrIxEEEESF_PS6_SG_NS0_19identity_decomposerEEE10hipError_tT1_T2_T3_T4_jRjT5_jjP12ihipStream_tbEUlT_E_NS1_11comp_targetILNS1_3genE0ELNS1_11target_archE4294967295ELNS1_3gpuE0ELNS1_3repE0EEENS1_44radix_sort_block_sort_config_static_selectorELNS0_4arch9wavefront6targetE1EEEvSJ_,"axG",@progbits,_ZN7rocprim17ROCPRIM_400000_NS6detail17trampoline_kernelINS0_13kernel_configILj256ELj4ELj4294967295EEENS1_37radix_sort_block_sort_config_selectorIxNS0_10empty_typeEEEZNS1_21radix_sort_block_sortIS4_Lb0EN6thrust23THRUST_200600_302600_NS6detail15normal_iteratorINSA_10device_ptrIxEEEESF_PS6_SG_NS0_19identity_decomposerEEE10hipError_tT1_T2_T3_T4_jRjT5_jjP12ihipStream_tbEUlT_E_NS1_11comp_targetILNS1_3genE0ELNS1_11target_archE4294967295ELNS1_3gpuE0ELNS1_3repE0EEENS1_44radix_sort_block_sort_config_static_selectorELNS0_4arch9wavefront6targetE1EEEvSJ_,comdat
	.protected	_ZN7rocprim17ROCPRIM_400000_NS6detail17trampoline_kernelINS0_13kernel_configILj256ELj4ELj4294967295EEENS1_37radix_sort_block_sort_config_selectorIxNS0_10empty_typeEEEZNS1_21radix_sort_block_sortIS4_Lb0EN6thrust23THRUST_200600_302600_NS6detail15normal_iteratorINSA_10device_ptrIxEEEESF_PS6_SG_NS0_19identity_decomposerEEE10hipError_tT1_T2_T3_T4_jRjT5_jjP12ihipStream_tbEUlT_E_NS1_11comp_targetILNS1_3genE0ELNS1_11target_archE4294967295ELNS1_3gpuE0ELNS1_3repE0EEENS1_44radix_sort_block_sort_config_static_selectorELNS0_4arch9wavefront6targetE1EEEvSJ_ ; -- Begin function _ZN7rocprim17ROCPRIM_400000_NS6detail17trampoline_kernelINS0_13kernel_configILj256ELj4ELj4294967295EEENS1_37radix_sort_block_sort_config_selectorIxNS0_10empty_typeEEEZNS1_21radix_sort_block_sortIS4_Lb0EN6thrust23THRUST_200600_302600_NS6detail15normal_iteratorINSA_10device_ptrIxEEEESF_PS6_SG_NS0_19identity_decomposerEEE10hipError_tT1_T2_T3_T4_jRjT5_jjP12ihipStream_tbEUlT_E_NS1_11comp_targetILNS1_3genE0ELNS1_11target_archE4294967295ELNS1_3gpuE0ELNS1_3repE0EEENS1_44radix_sort_block_sort_config_static_selectorELNS0_4arch9wavefront6targetE1EEEvSJ_
	.globl	_ZN7rocprim17ROCPRIM_400000_NS6detail17trampoline_kernelINS0_13kernel_configILj256ELj4ELj4294967295EEENS1_37radix_sort_block_sort_config_selectorIxNS0_10empty_typeEEEZNS1_21radix_sort_block_sortIS4_Lb0EN6thrust23THRUST_200600_302600_NS6detail15normal_iteratorINSA_10device_ptrIxEEEESF_PS6_SG_NS0_19identity_decomposerEEE10hipError_tT1_T2_T3_T4_jRjT5_jjP12ihipStream_tbEUlT_E_NS1_11comp_targetILNS1_3genE0ELNS1_11target_archE4294967295ELNS1_3gpuE0ELNS1_3repE0EEENS1_44radix_sort_block_sort_config_static_selectorELNS0_4arch9wavefront6targetE1EEEvSJ_
	.p2align	8
	.type	_ZN7rocprim17ROCPRIM_400000_NS6detail17trampoline_kernelINS0_13kernel_configILj256ELj4ELj4294967295EEENS1_37radix_sort_block_sort_config_selectorIxNS0_10empty_typeEEEZNS1_21radix_sort_block_sortIS4_Lb0EN6thrust23THRUST_200600_302600_NS6detail15normal_iteratorINSA_10device_ptrIxEEEESF_PS6_SG_NS0_19identity_decomposerEEE10hipError_tT1_T2_T3_T4_jRjT5_jjP12ihipStream_tbEUlT_E_NS1_11comp_targetILNS1_3genE0ELNS1_11target_archE4294967295ELNS1_3gpuE0ELNS1_3repE0EEENS1_44radix_sort_block_sort_config_static_selectorELNS0_4arch9wavefront6targetE1EEEvSJ_,@function
_ZN7rocprim17ROCPRIM_400000_NS6detail17trampoline_kernelINS0_13kernel_configILj256ELj4ELj4294967295EEENS1_37radix_sort_block_sort_config_selectorIxNS0_10empty_typeEEEZNS1_21radix_sort_block_sortIS4_Lb0EN6thrust23THRUST_200600_302600_NS6detail15normal_iteratorINSA_10device_ptrIxEEEESF_PS6_SG_NS0_19identity_decomposerEEE10hipError_tT1_T2_T3_T4_jRjT5_jjP12ihipStream_tbEUlT_E_NS1_11comp_targetILNS1_3genE0ELNS1_11target_archE4294967295ELNS1_3gpuE0ELNS1_3repE0EEENS1_44radix_sort_block_sort_config_static_selectorELNS0_4arch9wavefront6targetE1EEEvSJ_: ; @_ZN7rocprim17ROCPRIM_400000_NS6detail17trampoline_kernelINS0_13kernel_configILj256ELj4ELj4294967295EEENS1_37radix_sort_block_sort_config_selectorIxNS0_10empty_typeEEEZNS1_21radix_sort_block_sortIS4_Lb0EN6thrust23THRUST_200600_302600_NS6detail15normal_iteratorINSA_10device_ptrIxEEEESF_PS6_SG_NS0_19identity_decomposerEEE10hipError_tT1_T2_T3_T4_jRjT5_jjP12ihipStream_tbEUlT_E_NS1_11comp_targetILNS1_3genE0ELNS1_11target_archE4294967295ELNS1_3gpuE0ELNS1_3repE0EEENS1_44radix_sort_block_sort_config_static_selectorELNS0_4arch9wavefront6targetE1EEEvSJ_
; %bb.0:
	.section	.rodata,"a",@progbits
	.p2align	6, 0x0
	.amdhsa_kernel _ZN7rocprim17ROCPRIM_400000_NS6detail17trampoline_kernelINS0_13kernel_configILj256ELj4ELj4294967295EEENS1_37radix_sort_block_sort_config_selectorIxNS0_10empty_typeEEEZNS1_21radix_sort_block_sortIS4_Lb0EN6thrust23THRUST_200600_302600_NS6detail15normal_iteratorINSA_10device_ptrIxEEEESF_PS6_SG_NS0_19identity_decomposerEEE10hipError_tT1_T2_T3_T4_jRjT5_jjP12ihipStream_tbEUlT_E_NS1_11comp_targetILNS1_3genE0ELNS1_11target_archE4294967295ELNS1_3gpuE0ELNS1_3repE0EEENS1_44radix_sort_block_sort_config_static_selectorELNS0_4arch9wavefront6targetE1EEEvSJ_
		.amdhsa_group_segment_fixed_size 0
		.amdhsa_private_segment_fixed_size 0
		.amdhsa_kernarg_size 48
		.amdhsa_user_sgpr_count 2
		.amdhsa_user_sgpr_dispatch_ptr 0
		.amdhsa_user_sgpr_queue_ptr 0
		.amdhsa_user_sgpr_kernarg_segment_ptr 1
		.amdhsa_user_sgpr_dispatch_id 0
		.amdhsa_user_sgpr_kernarg_preload_length 0
		.amdhsa_user_sgpr_kernarg_preload_offset 0
		.amdhsa_user_sgpr_private_segment_size 0
		.amdhsa_uses_dynamic_stack 0
		.amdhsa_enable_private_segment 0
		.amdhsa_system_sgpr_workgroup_id_x 1
		.amdhsa_system_sgpr_workgroup_id_y 0
		.amdhsa_system_sgpr_workgroup_id_z 0
		.amdhsa_system_sgpr_workgroup_info 0
		.amdhsa_system_vgpr_workitem_id 0
		.amdhsa_next_free_vgpr 1
		.amdhsa_next_free_sgpr 0
		.amdhsa_accum_offset 4
		.amdhsa_reserve_vcc 0
		.amdhsa_float_round_mode_32 0
		.amdhsa_float_round_mode_16_64 0
		.amdhsa_float_denorm_mode_32 3
		.amdhsa_float_denorm_mode_16_64 3
		.amdhsa_dx10_clamp 1
		.amdhsa_ieee_mode 1
		.amdhsa_fp16_overflow 0
		.amdhsa_tg_split 0
		.amdhsa_exception_fp_ieee_invalid_op 0
		.amdhsa_exception_fp_denorm_src 0
		.amdhsa_exception_fp_ieee_div_zero 0
		.amdhsa_exception_fp_ieee_overflow 0
		.amdhsa_exception_fp_ieee_underflow 0
		.amdhsa_exception_fp_ieee_inexact 0
		.amdhsa_exception_int_div_zero 0
	.end_amdhsa_kernel
	.section	.text._ZN7rocprim17ROCPRIM_400000_NS6detail17trampoline_kernelINS0_13kernel_configILj256ELj4ELj4294967295EEENS1_37radix_sort_block_sort_config_selectorIxNS0_10empty_typeEEEZNS1_21radix_sort_block_sortIS4_Lb0EN6thrust23THRUST_200600_302600_NS6detail15normal_iteratorINSA_10device_ptrIxEEEESF_PS6_SG_NS0_19identity_decomposerEEE10hipError_tT1_T2_T3_T4_jRjT5_jjP12ihipStream_tbEUlT_E_NS1_11comp_targetILNS1_3genE0ELNS1_11target_archE4294967295ELNS1_3gpuE0ELNS1_3repE0EEENS1_44radix_sort_block_sort_config_static_selectorELNS0_4arch9wavefront6targetE1EEEvSJ_,"axG",@progbits,_ZN7rocprim17ROCPRIM_400000_NS6detail17trampoline_kernelINS0_13kernel_configILj256ELj4ELj4294967295EEENS1_37radix_sort_block_sort_config_selectorIxNS0_10empty_typeEEEZNS1_21radix_sort_block_sortIS4_Lb0EN6thrust23THRUST_200600_302600_NS6detail15normal_iteratorINSA_10device_ptrIxEEEESF_PS6_SG_NS0_19identity_decomposerEEE10hipError_tT1_T2_T3_T4_jRjT5_jjP12ihipStream_tbEUlT_E_NS1_11comp_targetILNS1_3genE0ELNS1_11target_archE4294967295ELNS1_3gpuE0ELNS1_3repE0EEENS1_44radix_sort_block_sort_config_static_selectorELNS0_4arch9wavefront6targetE1EEEvSJ_,comdat
.Lfunc_end1392:
	.size	_ZN7rocprim17ROCPRIM_400000_NS6detail17trampoline_kernelINS0_13kernel_configILj256ELj4ELj4294967295EEENS1_37radix_sort_block_sort_config_selectorIxNS0_10empty_typeEEEZNS1_21radix_sort_block_sortIS4_Lb0EN6thrust23THRUST_200600_302600_NS6detail15normal_iteratorINSA_10device_ptrIxEEEESF_PS6_SG_NS0_19identity_decomposerEEE10hipError_tT1_T2_T3_T4_jRjT5_jjP12ihipStream_tbEUlT_E_NS1_11comp_targetILNS1_3genE0ELNS1_11target_archE4294967295ELNS1_3gpuE0ELNS1_3repE0EEENS1_44radix_sort_block_sort_config_static_selectorELNS0_4arch9wavefront6targetE1EEEvSJ_, .Lfunc_end1392-_ZN7rocprim17ROCPRIM_400000_NS6detail17trampoline_kernelINS0_13kernel_configILj256ELj4ELj4294967295EEENS1_37radix_sort_block_sort_config_selectorIxNS0_10empty_typeEEEZNS1_21radix_sort_block_sortIS4_Lb0EN6thrust23THRUST_200600_302600_NS6detail15normal_iteratorINSA_10device_ptrIxEEEESF_PS6_SG_NS0_19identity_decomposerEEE10hipError_tT1_T2_T3_T4_jRjT5_jjP12ihipStream_tbEUlT_E_NS1_11comp_targetILNS1_3genE0ELNS1_11target_archE4294967295ELNS1_3gpuE0ELNS1_3repE0EEENS1_44radix_sort_block_sort_config_static_selectorELNS0_4arch9wavefront6targetE1EEEvSJ_
                                        ; -- End function
	.section	.AMDGPU.csdata,"",@progbits
; Kernel info:
; codeLenInByte = 0
; NumSgprs: 6
; NumVgprs: 0
; NumAgprs: 0
; TotalNumVgprs: 0
; ScratchSize: 0
; MemoryBound: 0
; FloatMode: 240
; IeeeMode: 1
; LDSByteSize: 0 bytes/workgroup (compile time only)
; SGPRBlocks: 0
; VGPRBlocks: 0
; NumSGPRsForWavesPerEU: 6
; NumVGPRsForWavesPerEU: 1
; AccumOffset: 4
; Occupancy: 8
; WaveLimiterHint : 0
; COMPUTE_PGM_RSRC2:SCRATCH_EN: 0
; COMPUTE_PGM_RSRC2:USER_SGPR: 2
; COMPUTE_PGM_RSRC2:TRAP_HANDLER: 0
; COMPUTE_PGM_RSRC2:TGID_X_EN: 1
; COMPUTE_PGM_RSRC2:TGID_Y_EN: 0
; COMPUTE_PGM_RSRC2:TGID_Z_EN: 0
; COMPUTE_PGM_RSRC2:TIDIG_COMP_CNT: 0
; COMPUTE_PGM_RSRC3_GFX90A:ACCUM_OFFSET: 0
; COMPUTE_PGM_RSRC3_GFX90A:TG_SPLIT: 0
	.section	.text._ZN7rocprim17ROCPRIM_400000_NS6detail17trampoline_kernelINS0_13kernel_configILj256ELj4ELj4294967295EEENS1_37radix_sort_block_sort_config_selectorIxNS0_10empty_typeEEEZNS1_21radix_sort_block_sortIS4_Lb0EN6thrust23THRUST_200600_302600_NS6detail15normal_iteratorINSA_10device_ptrIxEEEESF_PS6_SG_NS0_19identity_decomposerEEE10hipError_tT1_T2_T3_T4_jRjT5_jjP12ihipStream_tbEUlT_E_NS1_11comp_targetILNS1_3genE5ELNS1_11target_archE942ELNS1_3gpuE9ELNS1_3repE0EEENS1_44radix_sort_block_sort_config_static_selectorELNS0_4arch9wavefront6targetE1EEEvSJ_,"axG",@progbits,_ZN7rocprim17ROCPRIM_400000_NS6detail17trampoline_kernelINS0_13kernel_configILj256ELj4ELj4294967295EEENS1_37radix_sort_block_sort_config_selectorIxNS0_10empty_typeEEEZNS1_21radix_sort_block_sortIS4_Lb0EN6thrust23THRUST_200600_302600_NS6detail15normal_iteratorINSA_10device_ptrIxEEEESF_PS6_SG_NS0_19identity_decomposerEEE10hipError_tT1_T2_T3_T4_jRjT5_jjP12ihipStream_tbEUlT_E_NS1_11comp_targetILNS1_3genE5ELNS1_11target_archE942ELNS1_3gpuE9ELNS1_3repE0EEENS1_44radix_sort_block_sort_config_static_selectorELNS0_4arch9wavefront6targetE1EEEvSJ_,comdat
	.protected	_ZN7rocprim17ROCPRIM_400000_NS6detail17trampoline_kernelINS0_13kernel_configILj256ELj4ELj4294967295EEENS1_37radix_sort_block_sort_config_selectorIxNS0_10empty_typeEEEZNS1_21radix_sort_block_sortIS4_Lb0EN6thrust23THRUST_200600_302600_NS6detail15normal_iteratorINSA_10device_ptrIxEEEESF_PS6_SG_NS0_19identity_decomposerEEE10hipError_tT1_T2_T3_T4_jRjT5_jjP12ihipStream_tbEUlT_E_NS1_11comp_targetILNS1_3genE5ELNS1_11target_archE942ELNS1_3gpuE9ELNS1_3repE0EEENS1_44radix_sort_block_sort_config_static_selectorELNS0_4arch9wavefront6targetE1EEEvSJ_ ; -- Begin function _ZN7rocprim17ROCPRIM_400000_NS6detail17trampoline_kernelINS0_13kernel_configILj256ELj4ELj4294967295EEENS1_37radix_sort_block_sort_config_selectorIxNS0_10empty_typeEEEZNS1_21radix_sort_block_sortIS4_Lb0EN6thrust23THRUST_200600_302600_NS6detail15normal_iteratorINSA_10device_ptrIxEEEESF_PS6_SG_NS0_19identity_decomposerEEE10hipError_tT1_T2_T3_T4_jRjT5_jjP12ihipStream_tbEUlT_E_NS1_11comp_targetILNS1_3genE5ELNS1_11target_archE942ELNS1_3gpuE9ELNS1_3repE0EEENS1_44radix_sort_block_sort_config_static_selectorELNS0_4arch9wavefront6targetE1EEEvSJ_
	.globl	_ZN7rocprim17ROCPRIM_400000_NS6detail17trampoline_kernelINS0_13kernel_configILj256ELj4ELj4294967295EEENS1_37radix_sort_block_sort_config_selectorIxNS0_10empty_typeEEEZNS1_21radix_sort_block_sortIS4_Lb0EN6thrust23THRUST_200600_302600_NS6detail15normal_iteratorINSA_10device_ptrIxEEEESF_PS6_SG_NS0_19identity_decomposerEEE10hipError_tT1_T2_T3_T4_jRjT5_jjP12ihipStream_tbEUlT_E_NS1_11comp_targetILNS1_3genE5ELNS1_11target_archE942ELNS1_3gpuE9ELNS1_3repE0EEENS1_44radix_sort_block_sort_config_static_selectorELNS0_4arch9wavefront6targetE1EEEvSJ_
	.p2align	8
	.type	_ZN7rocprim17ROCPRIM_400000_NS6detail17trampoline_kernelINS0_13kernel_configILj256ELj4ELj4294967295EEENS1_37radix_sort_block_sort_config_selectorIxNS0_10empty_typeEEEZNS1_21radix_sort_block_sortIS4_Lb0EN6thrust23THRUST_200600_302600_NS6detail15normal_iteratorINSA_10device_ptrIxEEEESF_PS6_SG_NS0_19identity_decomposerEEE10hipError_tT1_T2_T3_T4_jRjT5_jjP12ihipStream_tbEUlT_E_NS1_11comp_targetILNS1_3genE5ELNS1_11target_archE942ELNS1_3gpuE9ELNS1_3repE0EEENS1_44radix_sort_block_sort_config_static_selectorELNS0_4arch9wavefront6targetE1EEEvSJ_,@function
_ZN7rocprim17ROCPRIM_400000_NS6detail17trampoline_kernelINS0_13kernel_configILj256ELj4ELj4294967295EEENS1_37radix_sort_block_sort_config_selectorIxNS0_10empty_typeEEEZNS1_21radix_sort_block_sortIS4_Lb0EN6thrust23THRUST_200600_302600_NS6detail15normal_iteratorINSA_10device_ptrIxEEEESF_PS6_SG_NS0_19identity_decomposerEEE10hipError_tT1_T2_T3_T4_jRjT5_jjP12ihipStream_tbEUlT_E_NS1_11comp_targetILNS1_3genE5ELNS1_11target_archE942ELNS1_3gpuE9ELNS1_3repE0EEENS1_44radix_sort_block_sort_config_static_selectorELNS0_4arch9wavefront6targetE1EEEvSJ_: ; @_ZN7rocprim17ROCPRIM_400000_NS6detail17trampoline_kernelINS0_13kernel_configILj256ELj4ELj4294967295EEENS1_37radix_sort_block_sort_config_selectorIxNS0_10empty_typeEEEZNS1_21radix_sort_block_sortIS4_Lb0EN6thrust23THRUST_200600_302600_NS6detail15normal_iteratorINSA_10device_ptrIxEEEESF_PS6_SG_NS0_19identity_decomposerEEE10hipError_tT1_T2_T3_T4_jRjT5_jjP12ihipStream_tbEUlT_E_NS1_11comp_targetILNS1_3genE5ELNS1_11target_archE942ELNS1_3gpuE9ELNS1_3repE0EEENS1_44radix_sort_block_sort_config_static_selectorELNS0_4arch9wavefront6targetE1EEEvSJ_
; %bb.0:
	s_load_dword s6, s[0:1], 0x20
	s_load_dwordx4 s[28:31], s[0:1], 0x0
	s_lshl_b32 s4, s2, 10
	s_mov_b32 s5, 0
	v_mbcnt_lo_u32_b32 v1, -1, 0
	s_waitcnt lgkmcnt(0)
	s_lshr_b32 s3, s6, 10
	s_cmp_lg_u32 s2, s3
	v_and_b32_e32 v10, 0x3ff, v0
	s_cselect_b64 s[34:35], -1, 0
	s_lshl_b64 s[36:37], s[4:5], 3
	v_mbcnt_hi_u32_b32 v1, -1, v1
	s_add_u32 s8, s28, s36
	v_and_b32_e32 v14, 63, v1
	v_lshlrev_b32_e32 v11, 2, v10
	s_addc_u32 s9, s29, s37
	v_and_b32_e32 v16, 0x300, v11
	v_lshlrev_b32_e32 v2, 3, v14
	v_mov_b32_e32 v3, 0
	v_lshl_add_u64 v[4:5], s[8:9], 0, v[2:3]
	v_lshlrev_b32_e32 v2, 3, v16
	s_cmp_eq_u32 s2, s3
	v_lshl_add_u64 v[12:13], v[4:5], 0, v[2:3]
	v_or_b32_e32 v15, v14, v16
	s_cbranch_scc1 .LBB1393_2
; %bb.1:
	global_load_dwordx2 v[2:3], v[12:13], off
	global_load_dwordx2 v[4:5], v[12:13], off offset:512
	global_load_dwordx2 v[6:7], v[12:13], off offset:1024
	;; [unrolled: 1-line block ×3, first 2 shown]
	v_or_b32_e32 v18, v14, v16
	v_or_b32_e32 v14, 64, v18
	v_or_b32_e32 v16, 0x80, v18
	v_or_b32_e32 v17, 0xc0, v18
	s_load_dwordx2 s[28:29], s[0:1], 0x28
	s_sub_i32 s33, s6, s4
	s_cbranch_execz .LBB1393_3
	s_branch .LBB1393_12
.LBB1393_2:
                                        ; implicit-def: $vgpr2_vgpr3_vgpr4_vgpr5_vgpr6_vgpr7_vgpr8_vgpr9
                                        ; implicit-def: $vgpr18
                                        ; implicit-def: $vgpr14
                                        ; implicit-def: $vgpr16
                                        ; implicit-def: $vgpr17
	s_load_dwordx2 s[28:29], s[0:1], 0x28
	s_sub_i32 s33, s6, s4
.LBB1393_3:
	s_brev_b32 s5, -2
	s_mov_b32 s4, -1
	s_mov_b32 s6, s4
	s_mov_b32 s7, s5
	;; [unrolled: 1-line block ×6, first 2 shown]
	s_waitcnt vmcnt(0)
	v_mov_b64_e32 v[2:3], s[4:5]
	v_cmp_gt_u32_e32 vcc, s33, v15
	v_mov_b64_e32 v[4:5], s[6:7]
	v_mov_b64_e32 v[6:7], s[8:9]
	;; [unrolled: 1-line block ×3, first 2 shown]
	s_and_saveexec_b64 s[2:3], vcc
	s_cbranch_execz .LBB1393_5
; %bb.4:
	global_load_dwordx2 v[2:3], v[12:13], off
	v_mov_b32_e32 v4, -1
	v_bfrev_b32_e32 v5, -2
	v_mov_b32_e32 v6, v4
	v_mov_b32_e32 v7, v5
	;; [unrolled: 1-line block ×4, first 2 shown]
.LBB1393_5:
	s_or_b64 exec, exec, s[2:3]
	v_or_b32_e32 v14, 64, v15
	v_cmp_gt_u32_e32 vcc, s33, v14
	s_and_saveexec_b64 s[2:3], vcc
	s_cbranch_execz .LBB1393_7
; %bb.6:
	global_load_dwordx2 v[4:5], v[12:13], off offset:512
.LBB1393_7:
	s_or_b64 exec, exec, s[2:3]
	v_or_b32_e32 v16, 0x80, v15
	v_cmp_gt_u32_e32 vcc, s33, v16
	s_and_saveexec_b64 s[2:3], vcc
	s_cbranch_execz .LBB1393_9
; %bb.8:
	global_load_dwordx2 v[6:7], v[12:13], off offset:1024
.LBB1393_9:
	;; [unrolled: 8-line block ×3, first 2 shown]
	s_or_b64 exec, exec, s[2:3]
	v_mov_b32_e32 v18, v15
.LBB1393_12:
	s_load_dword s2, s[0:1], 0x3c
	s_waitcnt lgkmcnt(0)
	s_add_i32 s38, s29, s28
	s_getpc_b64 s[0:1]
	s_add_u32 s0, s0, _ZN7rocprim17ROCPRIM_400000_NS16block_radix_sortIxLj256ELj4ENS0_10empty_typeELj1ELj1ELj0ELNS0_26block_radix_rank_algorithmE1ELNS0_18block_padding_hintE2ELNS0_4arch9wavefront6targetE1EE19radix_bits_per_passE@rel32@lo+4
	s_addc_u32 s1, s1, _ZN7rocprim17ROCPRIM_400000_NS16block_radix_sortIxLj256ELj4ENS0_10empty_typeELj1ELj1ELj0ELNS0_26block_radix_rank_algorithmE1ELNS0_18block_padding_hintE2ELNS0_4arch9wavefront6targetE1EE19radix_bits_per_passE@rel32@hi+12
	s_load_dword s39, s[0:1], 0x0
	v_bfe_u32 v12, v0, 10, 10
	s_lshr_b32 s0, s2, 16
	v_bfe_u32 v0, v0, 20, 10
	s_and_b32 s1, s2, 0xffff
	v_mad_u32_u24 v0, v0, s0, v12
	v_mad_u64_u32 v[12:13], s[0:1], v0, s1, v[10:11]
	v_and_b32_e32 v0, 15, v1
	v_cmp_eq_u32_e64 s[0:1], 0, v0
	v_cmp_lt_u32_e64 s[2:3], 1, v0
	v_cmp_lt_u32_e64 s[4:5], 3, v0
	;; [unrolled: 1-line block ×3, first 2 shown]
	v_and_b32_e32 v0, 16, v1
	v_cmp_eq_u32_e64 s[8:9], 0, v0
	v_and_b32_e32 v0, 0x3c0, v10
	v_min_u32_e32 v0, 0xc0, v0
	v_or_b32_e32 v0, 63, v0
	v_lshrrev_b32_e32 v26, 6, v12
	v_cmp_eq_u32_e64 s[12:13], v0, v10
	v_add_u32_e32 v0, -1, v1
	v_and_b32_e32 v12, 64, v1
	v_cmp_lt_i32_e32 vcc, v0, v12
	s_mov_b32 s26, 0
	v_lshlrev_b32_e32 v11, 2, v11
	v_cndmask_b32_e32 v0, v0, v1, vcc
	v_lshlrev_b32_e32 v27, 2, v0
	v_lshrrev_b32_e32 v0, 4, v10
	v_cmp_lt_u32_e64 s[10:11], 31, v1
	v_cmp_eq_u32_e64 s[18:19], 0, v1
	v_and_b32_e32 v28, 60, v0
	v_mul_i32_i24_e32 v0, -12, v10
	v_and_b32_e32 v1, 3, v1
	s_mov_b32 s27, s26
	s_mov_b32 s40, s26
	;; [unrolled: 1-line block ×3, first 2 shown]
	s_waitcnt vmcnt(0)
	v_xor_b32_e32 v3, 0x80000000, v3
	v_xor_b32_e32 v5, 0x80000000, v5
	;; [unrolled: 1-line block ×4, first 2 shown]
	v_cmp_gt_u32_e64 s[14:15], 4, v10
	v_cmp_lt_u32_e64 s[16:17], 63, v10
	v_cmp_eq_u32_e64 s[20:21], 0, v10
	v_cmp_eq_u32_e64 s[22:23], 0, v1
	v_cmp_lt_u32_e64 s[24:25], 1, v1
	v_add_u32_e32 v29, -4, v28
	v_lshlrev_b32_e32 v30, 3, v18
	v_lshlrev_b32_e32 v31, 3, v14
	v_lshlrev_b32_e32 v32, 3, v16
	v_lshlrev_b32_e32 v33, 3, v17
	v_mov_b64_e32 v[12:13], s[26:27]
	v_mov_b64_e32 v[14:15], s[40:41]
	v_add_u32_e32 v34, v11, v0
	v_mov_b32_e32 v17, 0
	s_branch .LBB1393_14
.LBB1393_13:                            ;   in Loop: Header=BB1393_14 Depth=1
	s_barrier
	ds_write_b64 v0, v[24:25]
	ds_write_b64 v1, v[22:23]
	;; [unrolled: 1-line block ×4, first 2 shown]
	s_waitcnt lgkmcnt(0)
	s_barrier
	ds_read_b64 v[2:3], v30
	ds_read_b64 v[4:5], v31
	;; [unrolled: 1-line block ×4, first 2 shown]
	s_add_i32 s29, s29, -8
	s_waitcnt lgkmcnt(0)
	s_barrier
	s_cbranch_execz .LBB1393_30
.LBB1393_14:                            ; =>This Inner Loop Header: Depth=1
	s_waitcnt lgkmcnt(0)
	s_min_u32 s26, s39, s29
	v_mov_b64_e32 v[24:25], v[2:3]
	s_lshl_b32 s26, -1, s26
	s_not_b32 s40, s26
	v_lshrrev_b64 v[0:1], s28, v[24:25]
	v_and_b32_e32 v2, s40, v0
	v_lshl_add_u32 v0, v2, 2, v26
	v_and_b32_e32 v16, 1, v2
	v_mov_b64_e32 v[22:23], v[4:5]
	v_lshl_add_u32 v4, v0, 2, 16
	v_lshl_add_u64 v[0:1], v[16:17], 0, -1
	v_cmp_ne_u32_e32 vcc, 0, v16
	v_mov_b64_e32 v[18:19], v[8:9]
	v_mov_b64_e32 v[20:21], v[6:7]
	v_xor_b32_e32 v1, vcc_hi, v1
	v_xor_b32_e32 v0, vcc_lo, v0
	v_and_b32_e32 v3, exec_hi, v1
	v_and_b32_e32 v5, exec_lo, v0
	v_lshlrev_b32_e32 v1, 30, v2
	v_mov_b32_e32 v0, v17
	v_cmp_gt_i64_e32 vcc, 0, v[0:1]
	v_not_b32_e32 v0, v1
	v_ashrrev_i32_e32 v0, 31, v0
	v_xor_b32_e32 v1, vcc_hi, v0
	v_xor_b32_e32 v0, vcc_lo, v0
	v_and_b32_e32 v3, v3, v1
	v_and_b32_e32 v5, v5, v0
	v_lshlrev_b32_e32 v1, 29, v2
	v_mov_b32_e32 v0, v17
	v_cmp_gt_i64_e32 vcc, 0, v[0:1]
	v_not_b32_e32 v0, v1
	v_ashrrev_i32_e32 v0, 31, v0
	v_xor_b32_e32 v1, vcc_hi, v0
	v_xor_b32_e32 v0, vcc_lo, v0
	v_and_b32_e32 v3, v3, v1
	v_and_b32_e32 v5, v5, v0
	;; [unrolled: 9-line block ×7, first 2 shown]
	v_mbcnt_lo_u32_b32 v2, v0, 0
	v_mbcnt_hi_u32_b32 v5, v1, v2
	v_cmp_eq_u32_e32 vcc, 0, v5
	v_cmp_ne_u64_e64 s[26:27], 0, v[0:1]
	s_and_b64 s[42:43], s[26:27], vcc
	ds_write2_b64 v11, v[12:13], v[14:15] offset0:2 offset1:3
	s_waitcnt lgkmcnt(0)
	s_barrier
	s_waitcnt lgkmcnt(0)
	; wave barrier
	s_and_saveexec_b64 s[26:27], s[42:43]
	s_cbranch_execz .LBB1393_16
; %bb.15:                               ;   in Loop: Header=BB1393_14 Depth=1
	v_bcnt_u32_b32 v0, v0, 0
	v_bcnt_u32_b32 v0, v1, v0
	ds_write_b32 v4, v0
.LBB1393_16:                            ;   in Loop: Header=BB1393_14 Depth=1
	s_or_b64 exec, exec, s[26:27]
	v_lshrrev_b64 v[0:1], s28, v[22:23]
	v_and_b32_e32 v2, s40, v0
	v_lshlrev_b32_e32 v0, 2, v2
	v_add_lshl_u32 v0, v0, v26, 2
	v_and_b32_e32 v16, 1, v2
	; wave barrier
	v_add_u32_e32 v7, 16, v0
	ds_read_b32 v6, v0 offset:16
	v_lshl_add_u64 v[0:1], v[16:17], 0, -1
	v_cmp_ne_u32_e32 vcc, 0, v16
	; wave barrier
	s_nop 1
	v_xor_b32_e32 v1, vcc_hi, v1
	v_xor_b32_e32 v0, vcc_lo, v0
	v_and_b32_e32 v3, exec_hi, v1
	v_and_b32_e32 v8, exec_lo, v0
	v_lshlrev_b32_e32 v1, 30, v2
	v_mov_b32_e32 v0, v17
	v_cmp_gt_i64_e32 vcc, 0, v[0:1]
	v_not_b32_e32 v0, v1
	v_ashrrev_i32_e32 v0, 31, v0
	v_xor_b32_e32 v1, vcc_hi, v0
	v_xor_b32_e32 v0, vcc_lo, v0
	v_and_b32_e32 v3, v3, v1
	v_and_b32_e32 v8, v8, v0
	v_lshlrev_b32_e32 v1, 29, v2
	v_mov_b32_e32 v0, v17
	v_cmp_gt_i64_e32 vcc, 0, v[0:1]
	v_not_b32_e32 v0, v1
	v_ashrrev_i32_e32 v0, 31, v0
	v_xor_b32_e32 v1, vcc_hi, v0
	v_xor_b32_e32 v0, vcc_lo, v0
	v_and_b32_e32 v3, v3, v1
	v_and_b32_e32 v8, v8, v0
	;; [unrolled: 9-line block ×7, first 2 shown]
	v_mbcnt_lo_u32_b32 v2, v0, 0
	v_mbcnt_hi_u32_b32 v8, v1, v2
	v_cmp_eq_u32_e32 vcc, 0, v8
	v_cmp_ne_u64_e64 s[26:27], 0, v[0:1]
	s_and_b64 s[42:43], s[26:27], vcc
	s_and_saveexec_b64 s[26:27], s[42:43]
	s_cbranch_execz .LBB1393_18
; %bb.17:                               ;   in Loop: Header=BB1393_14 Depth=1
	v_bcnt_u32_b32 v0, v0, 0
	v_bcnt_u32_b32 v0, v1, v0
	s_waitcnt lgkmcnt(0)
	v_add_u32_e32 v0, v6, v0
	ds_write_b32 v7, v0
.LBB1393_18:                            ;   in Loop: Header=BB1393_14 Depth=1
	s_or_b64 exec, exec, s[26:27]
	v_lshrrev_b64 v[0:1], s28, v[20:21]
	v_and_b32_e32 v2, s40, v0
	v_lshlrev_b32_e32 v0, 2, v2
	v_add_lshl_u32 v0, v0, v26, 2
	v_and_b32_e32 v16, 1, v2
	; wave barrier
	v_add_u32_e32 v35, 16, v0
	ds_read_b32 v9, v0 offset:16
	v_lshl_add_u64 v[0:1], v[16:17], 0, -1
	v_cmp_ne_u32_e32 vcc, 0, v16
	; wave barrier
	s_nop 1
	v_xor_b32_e32 v1, vcc_hi, v1
	v_xor_b32_e32 v0, vcc_lo, v0
	v_and_b32_e32 v3, exec_hi, v1
	v_and_b32_e32 v16, exec_lo, v0
	v_lshlrev_b32_e32 v1, 30, v2
	v_mov_b32_e32 v0, v17
	v_cmp_gt_i64_e32 vcc, 0, v[0:1]
	v_not_b32_e32 v0, v1
	v_ashrrev_i32_e32 v0, 31, v0
	v_xor_b32_e32 v1, vcc_hi, v0
	v_xor_b32_e32 v0, vcc_lo, v0
	v_and_b32_e32 v3, v3, v1
	v_and_b32_e32 v16, v16, v0
	v_lshlrev_b32_e32 v1, 29, v2
	v_mov_b32_e32 v0, v17
	v_cmp_gt_i64_e32 vcc, 0, v[0:1]
	v_not_b32_e32 v0, v1
	v_ashrrev_i32_e32 v0, 31, v0
	v_xor_b32_e32 v1, vcc_hi, v0
	v_xor_b32_e32 v0, vcc_lo, v0
	v_and_b32_e32 v3, v3, v1
	v_and_b32_e32 v16, v16, v0
	;; [unrolled: 9-line block ×7, first 2 shown]
	v_mbcnt_lo_u32_b32 v2, v0, 0
	v_mbcnt_hi_u32_b32 v36, v1, v2
	v_cmp_eq_u32_e32 vcc, 0, v36
	v_cmp_ne_u64_e64 s[26:27], 0, v[0:1]
	s_and_b64 s[42:43], s[26:27], vcc
	s_and_saveexec_b64 s[26:27], s[42:43]
	s_cbranch_execz .LBB1393_20
; %bb.19:                               ;   in Loop: Header=BB1393_14 Depth=1
	v_bcnt_u32_b32 v0, v0, 0
	v_bcnt_u32_b32 v0, v1, v0
	s_waitcnt lgkmcnt(0)
	v_add_u32_e32 v0, v9, v0
	ds_write_b32 v35, v0
.LBB1393_20:                            ;   in Loop: Header=BB1393_14 Depth=1
	s_or_b64 exec, exec, s[26:27]
	v_lshrrev_b64 v[0:1], s28, v[18:19]
	v_and_b32_e32 v2, s40, v0
	v_lshlrev_b32_e32 v0, 2, v2
	v_add_lshl_u32 v0, v0, v26, 2
	v_and_b32_e32 v16, 1, v2
	; wave barrier
	v_add_u32_e32 v38, 16, v0
	ds_read_b32 v37, v0 offset:16
	v_lshl_add_u64 v[0:1], v[16:17], 0, -1
	v_cmp_ne_u32_e32 vcc, 0, v16
	; wave barrier
	s_nop 1
	v_xor_b32_e32 v1, vcc_hi, v1
	v_xor_b32_e32 v0, vcc_lo, v0
	v_and_b32_e32 v3, exec_hi, v1
	v_and_b32_e32 v16, exec_lo, v0
	v_lshlrev_b32_e32 v1, 30, v2
	v_mov_b32_e32 v0, v17
	v_cmp_gt_i64_e32 vcc, 0, v[0:1]
	v_not_b32_e32 v0, v1
	v_ashrrev_i32_e32 v0, 31, v0
	v_xor_b32_e32 v1, vcc_hi, v0
	v_xor_b32_e32 v0, vcc_lo, v0
	v_and_b32_e32 v3, v3, v1
	v_and_b32_e32 v16, v16, v0
	v_lshlrev_b32_e32 v1, 29, v2
	v_mov_b32_e32 v0, v17
	v_cmp_gt_i64_e32 vcc, 0, v[0:1]
	v_not_b32_e32 v0, v1
	v_ashrrev_i32_e32 v0, 31, v0
	v_xor_b32_e32 v1, vcc_hi, v0
	v_xor_b32_e32 v0, vcc_lo, v0
	v_and_b32_e32 v3, v3, v1
	v_and_b32_e32 v16, v16, v0
	;; [unrolled: 9-line block ×7, first 2 shown]
	v_mbcnt_lo_u32_b32 v2, v0, 0
	v_mbcnt_hi_u32_b32 v16, v1, v2
	v_cmp_eq_u32_e32 vcc, 0, v16
	v_cmp_ne_u64_e64 s[26:27], 0, v[0:1]
	s_and_b64 s[40:41], s[26:27], vcc
	s_and_saveexec_b64 s[26:27], s[40:41]
	s_cbranch_execz .LBB1393_22
; %bb.21:                               ;   in Loop: Header=BB1393_14 Depth=1
	v_bcnt_u32_b32 v0, v0, 0
	v_bcnt_u32_b32 v0, v1, v0
	s_waitcnt lgkmcnt(0)
	v_add_u32_e32 v0, v37, v0
	ds_write_b32 v38, v0
.LBB1393_22:                            ;   in Loop: Header=BB1393_14 Depth=1
	s_or_b64 exec, exec, s[26:27]
	; wave barrier
	s_waitcnt lgkmcnt(0)
	s_barrier
	ds_read2_b64 v[0:3], v11 offset0:2 offset1:3
	s_waitcnt lgkmcnt(0)
	v_add_u32_e32 v39, v1, v0
	v_add3_u32 v3, v39, v2, v3
	s_nop 1
	v_mov_b32_dpp v39, v3 row_shr:1 row_mask:0xf bank_mask:0xf
	v_cndmask_b32_e64 v39, v39, 0, s[0:1]
	v_add_u32_e32 v3, v39, v3
	s_nop 1
	v_mov_b32_dpp v39, v3 row_shr:2 row_mask:0xf bank_mask:0xf
	v_cndmask_b32_e64 v39, 0, v39, s[2:3]
	v_add_u32_e32 v3, v3, v39
	s_nop 1
	v_mov_b32_dpp v39, v3 row_shr:4 row_mask:0xf bank_mask:0xf
	v_cndmask_b32_e64 v39, 0, v39, s[4:5]
	v_add_u32_e32 v3, v3, v39
	s_nop 1
	v_mov_b32_dpp v39, v3 row_shr:8 row_mask:0xf bank_mask:0xf
	v_cndmask_b32_e64 v39, 0, v39, s[6:7]
	v_add_u32_e32 v3, v3, v39
	s_nop 1
	v_mov_b32_dpp v39, v3 row_bcast:15 row_mask:0xf bank_mask:0xf
	v_cndmask_b32_e64 v39, v39, 0, s[8:9]
	v_add_u32_e32 v3, v3, v39
	s_nop 1
	v_mov_b32_dpp v39, v3 row_bcast:31 row_mask:0xf bank_mask:0xf
	v_cndmask_b32_e64 v39, 0, v39, s[10:11]
	v_add_u32_e32 v3, v3, v39
	s_and_saveexec_b64 s[26:27], s[12:13]
	s_cbranch_execz .LBB1393_24
; %bb.23:                               ;   in Loop: Header=BB1393_14 Depth=1
	ds_write_b32 v28, v3
.LBB1393_24:                            ;   in Loop: Header=BB1393_14 Depth=1
	s_or_b64 exec, exec, s[26:27]
	s_waitcnt lgkmcnt(0)
	s_barrier
	s_and_saveexec_b64 s[26:27], s[14:15]
	s_cbranch_execz .LBB1393_26
; %bb.25:                               ;   in Loop: Header=BB1393_14 Depth=1
	ds_read_b32 v39, v34
	s_waitcnt lgkmcnt(0)
	s_nop 0
	v_mov_b32_dpp v40, v39 row_shr:1 row_mask:0xf bank_mask:0xf
	v_cndmask_b32_e64 v40, v40, 0, s[22:23]
	v_add_u32_e32 v39, v40, v39
	s_nop 1
	v_mov_b32_dpp v40, v39 row_shr:2 row_mask:0xf bank_mask:0xf
	v_cndmask_b32_e64 v40, 0, v40, s[24:25]
	v_add_u32_e32 v39, v39, v40
	ds_write_b32 v34, v39
.LBB1393_26:                            ;   in Loop: Header=BB1393_14 Depth=1
	s_or_b64 exec, exec, s[26:27]
	v_mov_b32_e32 v39, 0
	s_waitcnt lgkmcnt(0)
	s_barrier
	s_and_saveexec_b64 s[26:27], s[16:17]
	s_cbranch_execz .LBB1393_28
; %bb.27:                               ;   in Loop: Header=BB1393_14 Depth=1
	ds_read_b32 v39, v29
.LBB1393_28:                            ;   in Loop: Header=BB1393_14 Depth=1
	s_or_b64 exec, exec, s[26:27]
	s_waitcnt lgkmcnt(0)
	v_add_u32_e32 v3, v39, v3
	ds_bpermute_b32 v3, v27, v3
	s_add_i32 s28, s28, 8
	s_cmp_ge_u32 s28, s38
	s_waitcnt lgkmcnt(0)
	v_cndmask_b32_e64 v3, v3, v39, s[18:19]
	v_cndmask_b32_e64 v40, v3, 0, s[20:21]
	v_add_u32_e32 v41, v40, v0
	v_add_u32_e32 v0, v41, v1
	;; [unrolled: 1-line block ×3, first 2 shown]
	ds_write2_b64 v11, v[40:41], v[0:1] offset0:2 offset1:3
	s_waitcnt lgkmcnt(0)
	s_barrier
	ds_read_b32 v0, v4
	ds_read_b32 v1, v7
	;; [unrolled: 1-line block ×4, first 2 shown]
	v_lshlrev_b32_e32 v4, 3, v5
	s_waitcnt lgkmcnt(3)
	v_lshl_add_u32 v0, v0, 3, v4
	v_lshlrev_b32_e32 v4, 3, v8
	v_lshlrev_b32_e32 v5, 3, v6
	s_waitcnt lgkmcnt(2)
	v_lshlrev_b32_e32 v1, 3, v1
	v_add3_u32 v1, v4, v5, v1
	v_lshlrev_b32_e32 v4, 3, v36
	v_lshlrev_b32_e32 v5, 3, v9
	s_waitcnt lgkmcnt(1)
	v_lshlrev_b32_e32 v2, 3, v2
	v_add3_u32 v35, v4, v5, v2
	;; [unrolled: 5-line block ×3, first 2 shown]
	s_cbranch_scc0 .LBB1393_13
; %bb.29:
                                        ; implicit-def: $vgpr8_vgpr9
                                        ; implicit-def: $sgpr28
.LBB1393_30:
	v_lshlrev_b32_e32 v8, 3, v10
	s_barrier
	ds_write_b64 v0, v[24:25]
	ds_write_b64 v1, v[22:23]
	;; [unrolled: 1-line block ×4, first 2 shown]
	s_waitcnt lgkmcnt(0)
	s_barrier
	ds_read2st64_b64 v[4:7], v8 offset1:4
	ds_read2st64_b64 v[0:3], v8 offset0:8 offset1:12
	s_add_u32 s0, s30, s36
	s_addc_u32 s1, s31, s37
	v_mov_b32_e32 v9, 0
	s_waitcnt lgkmcnt(1)
	v_xor_b32_e32 v5, 0x80000000, v5
	v_xor_b32_e32 v7, 0x80000000, v7
	s_waitcnt lgkmcnt(0)
	v_xor_b32_e32 v1, 0x80000000, v1
	s_andn2_b64 vcc, exec, s[34:35]
	v_lshl_add_u64 v[8:9], s[0:1], 0, v[8:9]
	s_cbranch_vccnz .LBB1393_32
; %bb.31:
	v_add_co_u32_e32 v12, vcc, 0x1000, v8
	s_nop 1
	v_addc_co_u32_e32 v13, vcc, 0, v9, vcc
	s_mov_b64 s[0:1], -1
	global_store_dwordx2 v[8:9], v[4:5], off
	global_store_dwordx2 v[8:9], v[6:7], off offset:2048
	global_store_dwordx2 v[12:13], v[0:1], off
	s_cbranch_execz .LBB1393_33
	s_branch .LBB1393_40
.LBB1393_32:
	s_mov_b64 s[0:1], 0
.LBB1393_33:
	v_cmp_gt_u32_e32 vcc, s33, v10
	s_and_saveexec_b64 s[0:1], vcc
	s_cbranch_execz .LBB1393_35
; %bb.34:
	global_store_dwordx2 v[8:9], v[4:5], off
.LBB1393_35:
	s_or_b64 exec, exec, s[0:1]
	v_add_u32_e32 v4, 0x100, v10
	v_cmp_gt_u32_e32 vcc, s33, v4
	s_and_saveexec_b64 s[0:1], vcc
	s_cbranch_execz .LBB1393_37
; %bb.36:
	global_store_dwordx2 v[8:9], v[6:7], off offset:2048
.LBB1393_37:
	s_or_b64 exec, exec, s[0:1]
	v_add_u32_e32 v4, 0x200, v10
	v_cmp_gt_u32_e32 vcc, s33, v4
	s_and_saveexec_b64 s[0:1], vcc
	s_cbranch_execz .LBB1393_39
; %bb.38:
	v_add_co_u32_e32 v4, vcc, 0x1000, v8
	s_nop 1
	v_addc_co_u32_e32 v5, vcc, 0, v9, vcc
	global_store_dwordx2 v[4:5], v[0:1], off
.LBB1393_39:
	s_or_b64 exec, exec, s[0:1]
	v_add_u32_e32 v0, 0x300, v10
	v_cmp_gt_u32_e64 s[0:1], s33, v0
.LBB1393_40:
	s_and_saveexec_b64 s[2:3], s[0:1]
	s_cbranch_execnz .LBB1393_42
; %bb.41:
	s_endpgm
.LBB1393_42:
	v_add_co_u32_e32 v0, vcc, 0x1000, v8
	v_xor_b32_e32 v3, 0x80000000, v3
	s_nop 0
	v_addc_co_u32_e32 v1, vcc, 0, v9, vcc
	global_store_dwordx2 v[0:1], v[2:3], off offset:2048
	s_endpgm
	.section	.rodata,"a",@progbits
	.p2align	6, 0x0
	.amdhsa_kernel _ZN7rocprim17ROCPRIM_400000_NS6detail17trampoline_kernelINS0_13kernel_configILj256ELj4ELj4294967295EEENS1_37radix_sort_block_sort_config_selectorIxNS0_10empty_typeEEEZNS1_21radix_sort_block_sortIS4_Lb0EN6thrust23THRUST_200600_302600_NS6detail15normal_iteratorINSA_10device_ptrIxEEEESF_PS6_SG_NS0_19identity_decomposerEEE10hipError_tT1_T2_T3_T4_jRjT5_jjP12ihipStream_tbEUlT_E_NS1_11comp_targetILNS1_3genE5ELNS1_11target_archE942ELNS1_3gpuE9ELNS1_3repE0EEENS1_44radix_sort_block_sort_config_static_selectorELNS0_4arch9wavefront6targetE1EEEvSJ_
		.amdhsa_group_segment_fixed_size 8192
		.amdhsa_private_segment_fixed_size 0
		.amdhsa_kernarg_size 304
		.amdhsa_user_sgpr_count 2
		.amdhsa_user_sgpr_dispatch_ptr 0
		.amdhsa_user_sgpr_queue_ptr 0
		.amdhsa_user_sgpr_kernarg_segment_ptr 1
		.amdhsa_user_sgpr_dispatch_id 0
		.amdhsa_user_sgpr_kernarg_preload_length 0
		.amdhsa_user_sgpr_kernarg_preload_offset 0
		.amdhsa_user_sgpr_private_segment_size 0
		.amdhsa_uses_dynamic_stack 0
		.amdhsa_enable_private_segment 0
		.amdhsa_system_sgpr_workgroup_id_x 1
		.amdhsa_system_sgpr_workgroup_id_y 0
		.amdhsa_system_sgpr_workgroup_id_z 0
		.amdhsa_system_sgpr_workgroup_info 0
		.amdhsa_system_vgpr_workitem_id 2
		.amdhsa_next_free_vgpr 42
		.amdhsa_next_free_sgpr 44
		.amdhsa_accum_offset 44
		.amdhsa_reserve_vcc 1
		.amdhsa_float_round_mode_32 0
		.amdhsa_float_round_mode_16_64 0
		.amdhsa_float_denorm_mode_32 3
		.amdhsa_float_denorm_mode_16_64 3
		.amdhsa_dx10_clamp 1
		.amdhsa_ieee_mode 1
		.amdhsa_fp16_overflow 0
		.amdhsa_tg_split 0
		.amdhsa_exception_fp_ieee_invalid_op 0
		.amdhsa_exception_fp_denorm_src 0
		.amdhsa_exception_fp_ieee_div_zero 0
		.amdhsa_exception_fp_ieee_overflow 0
		.amdhsa_exception_fp_ieee_underflow 0
		.amdhsa_exception_fp_ieee_inexact 0
		.amdhsa_exception_int_div_zero 0
	.end_amdhsa_kernel
	.section	.text._ZN7rocprim17ROCPRIM_400000_NS6detail17trampoline_kernelINS0_13kernel_configILj256ELj4ELj4294967295EEENS1_37radix_sort_block_sort_config_selectorIxNS0_10empty_typeEEEZNS1_21radix_sort_block_sortIS4_Lb0EN6thrust23THRUST_200600_302600_NS6detail15normal_iteratorINSA_10device_ptrIxEEEESF_PS6_SG_NS0_19identity_decomposerEEE10hipError_tT1_T2_T3_T4_jRjT5_jjP12ihipStream_tbEUlT_E_NS1_11comp_targetILNS1_3genE5ELNS1_11target_archE942ELNS1_3gpuE9ELNS1_3repE0EEENS1_44radix_sort_block_sort_config_static_selectorELNS0_4arch9wavefront6targetE1EEEvSJ_,"axG",@progbits,_ZN7rocprim17ROCPRIM_400000_NS6detail17trampoline_kernelINS0_13kernel_configILj256ELj4ELj4294967295EEENS1_37radix_sort_block_sort_config_selectorIxNS0_10empty_typeEEEZNS1_21radix_sort_block_sortIS4_Lb0EN6thrust23THRUST_200600_302600_NS6detail15normal_iteratorINSA_10device_ptrIxEEEESF_PS6_SG_NS0_19identity_decomposerEEE10hipError_tT1_T2_T3_T4_jRjT5_jjP12ihipStream_tbEUlT_E_NS1_11comp_targetILNS1_3genE5ELNS1_11target_archE942ELNS1_3gpuE9ELNS1_3repE0EEENS1_44radix_sort_block_sort_config_static_selectorELNS0_4arch9wavefront6targetE1EEEvSJ_,comdat
.Lfunc_end1393:
	.size	_ZN7rocprim17ROCPRIM_400000_NS6detail17trampoline_kernelINS0_13kernel_configILj256ELj4ELj4294967295EEENS1_37radix_sort_block_sort_config_selectorIxNS0_10empty_typeEEEZNS1_21radix_sort_block_sortIS4_Lb0EN6thrust23THRUST_200600_302600_NS6detail15normal_iteratorINSA_10device_ptrIxEEEESF_PS6_SG_NS0_19identity_decomposerEEE10hipError_tT1_T2_T3_T4_jRjT5_jjP12ihipStream_tbEUlT_E_NS1_11comp_targetILNS1_3genE5ELNS1_11target_archE942ELNS1_3gpuE9ELNS1_3repE0EEENS1_44radix_sort_block_sort_config_static_selectorELNS0_4arch9wavefront6targetE1EEEvSJ_, .Lfunc_end1393-_ZN7rocprim17ROCPRIM_400000_NS6detail17trampoline_kernelINS0_13kernel_configILj256ELj4ELj4294967295EEENS1_37radix_sort_block_sort_config_selectorIxNS0_10empty_typeEEEZNS1_21radix_sort_block_sortIS4_Lb0EN6thrust23THRUST_200600_302600_NS6detail15normal_iteratorINSA_10device_ptrIxEEEESF_PS6_SG_NS0_19identity_decomposerEEE10hipError_tT1_T2_T3_T4_jRjT5_jjP12ihipStream_tbEUlT_E_NS1_11comp_targetILNS1_3genE5ELNS1_11target_archE942ELNS1_3gpuE9ELNS1_3repE0EEENS1_44radix_sort_block_sort_config_static_selectorELNS0_4arch9wavefront6targetE1EEEvSJ_
                                        ; -- End function
	.section	.AMDGPU.csdata,"",@progbits
; Kernel info:
; codeLenInByte = 3356
; NumSgprs: 50
; NumVgprs: 42
; NumAgprs: 0
; TotalNumVgprs: 42
; ScratchSize: 0
; MemoryBound: 1
; FloatMode: 240
; IeeeMode: 1
; LDSByteSize: 8192 bytes/workgroup (compile time only)
; SGPRBlocks: 6
; VGPRBlocks: 5
; NumSGPRsForWavesPerEU: 50
; NumVGPRsForWavesPerEU: 42
; AccumOffset: 44
; Occupancy: 8
; WaveLimiterHint : 1
; COMPUTE_PGM_RSRC2:SCRATCH_EN: 0
; COMPUTE_PGM_RSRC2:USER_SGPR: 2
; COMPUTE_PGM_RSRC2:TRAP_HANDLER: 0
; COMPUTE_PGM_RSRC2:TGID_X_EN: 1
; COMPUTE_PGM_RSRC2:TGID_Y_EN: 0
; COMPUTE_PGM_RSRC2:TGID_Z_EN: 0
; COMPUTE_PGM_RSRC2:TIDIG_COMP_CNT: 2
; COMPUTE_PGM_RSRC3_GFX90A:ACCUM_OFFSET: 10
; COMPUTE_PGM_RSRC3_GFX90A:TG_SPLIT: 0
	.section	.text._ZN7rocprim17ROCPRIM_400000_NS6detail17trampoline_kernelINS0_13kernel_configILj256ELj4ELj4294967295EEENS1_37radix_sort_block_sort_config_selectorIxNS0_10empty_typeEEEZNS1_21radix_sort_block_sortIS4_Lb0EN6thrust23THRUST_200600_302600_NS6detail15normal_iteratorINSA_10device_ptrIxEEEESF_PS6_SG_NS0_19identity_decomposerEEE10hipError_tT1_T2_T3_T4_jRjT5_jjP12ihipStream_tbEUlT_E_NS1_11comp_targetILNS1_3genE4ELNS1_11target_archE910ELNS1_3gpuE8ELNS1_3repE0EEENS1_44radix_sort_block_sort_config_static_selectorELNS0_4arch9wavefront6targetE1EEEvSJ_,"axG",@progbits,_ZN7rocprim17ROCPRIM_400000_NS6detail17trampoline_kernelINS0_13kernel_configILj256ELj4ELj4294967295EEENS1_37radix_sort_block_sort_config_selectorIxNS0_10empty_typeEEEZNS1_21radix_sort_block_sortIS4_Lb0EN6thrust23THRUST_200600_302600_NS6detail15normal_iteratorINSA_10device_ptrIxEEEESF_PS6_SG_NS0_19identity_decomposerEEE10hipError_tT1_T2_T3_T4_jRjT5_jjP12ihipStream_tbEUlT_E_NS1_11comp_targetILNS1_3genE4ELNS1_11target_archE910ELNS1_3gpuE8ELNS1_3repE0EEENS1_44radix_sort_block_sort_config_static_selectorELNS0_4arch9wavefront6targetE1EEEvSJ_,comdat
	.protected	_ZN7rocprim17ROCPRIM_400000_NS6detail17trampoline_kernelINS0_13kernel_configILj256ELj4ELj4294967295EEENS1_37radix_sort_block_sort_config_selectorIxNS0_10empty_typeEEEZNS1_21radix_sort_block_sortIS4_Lb0EN6thrust23THRUST_200600_302600_NS6detail15normal_iteratorINSA_10device_ptrIxEEEESF_PS6_SG_NS0_19identity_decomposerEEE10hipError_tT1_T2_T3_T4_jRjT5_jjP12ihipStream_tbEUlT_E_NS1_11comp_targetILNS1_3genE4ELNS1_11target_archE910ELNS1_3gpuE8ELNS1_3repE0EEENS1_44radix_sort_block_sort_config_static_selectorELNS0_4arch9wavefront6targetE1EEEvSJ_ ; -- Begin function _ZN7rocprim17ROCPRIM_400000_NS6detail17trampoline_kernelINS0_13kernel_configILj256ELj4ELj4294967295EEENS1_37radix_sort_block_sort_config_selectorIxNS0_10empty_typeEEEZNS1_21radix_sort_block_sortIS4_Lb0EN6thrust23THRUST_200600_302600_NS6detail15normal_iteratorINSA_10device_ptrIxEEEESF_PS6_SG_NS0_19identity_decomposerEEE10hipError_tT1_T2_T3_T4_jRjT5_jjP12ihipStream_tbEUlT_E_NS1_11comp_targetILNS1_3genE4ELNS1_11target_archE910ELNS1_3gpuE8ELNS1_3repE0EEENS1_44radix_sort_block_sort_config_static_selectorELNS0_4arch9wavefront6targetE1EEEvSJ_
	.globl	_ZN7rocprim17ROCPRIM_400000_NS6detail17trampoline_kernelINS0_13kernel_configILj256ELj4ELj4294967295EEENS1_37radix_sort_block_sort_config_selectorIxNS0_10empty_typeEEEZNS1_21radix_sort_block_sortIS4_Lb0EN6thrust23THRUST_200600_302600_NS6detail15normal_iteratorINSA_10device_ptrIxEEEESF_PS6_SG_NS0_19identity_decomposerEEE10hipError_tT1_T2_T3_T4_jRjT5_jjP12ihipStream_tbEUlT_E_NS1_11comp_targetILNS1_3genE4ELNS1_11target_archE910ELNS1_3gpuE8ELNS1_3repE0EEENS1_44radix_sort_block_sort_config_static_selectorELNS0_4arch9wavefront6targetE1EEEvSJ_
	.p2align	8
	.type	_ZN7rocprim17ROCPRIM_400000_NS6detail17trampoline_kernelINS0_13kernel_configILj256ELj4ELj4294967295EEENS1_37radix_sort_block_sort_config_selectorIxNS0_10empty_typeEEEZNS1_21radix_sort_block_sortIS4_Lb0EN6thrust23THRUST_200600_302600_NS6detail15normal_iteratorINSA_10device_ptrIxEEEESF_PS6_SG_NS0_19identity_decomposerEEE10hipError_tT1_T2_T3_T4_jRjT5_jjP12ihipStream_tbEUlT_E_NS1_11comp_targetILNS1_3genE4ELNS1_11target_archE910ELNS1_3gpuE8ELNS1_3repE0EEENS1_44radix_sort_block_sort_config_static_selectorELNS0_4arch9wavefront6targetE1EEEvSJ_,@function
_ZN7rocprim17ROCPRIM_400000_NS6detail17trampoline_kernelINS0_13kernel_configILj256ELj4ELj4294967295EEENS1_37radix_sort_block_sort_config_selectorIxNS0_10empty_typeEEEZNS1_21radix_sort_block_sortIS4_Lb0EN6thrust23THRUST_200600_302600_NS6detail15normal_iteratorINSA_10device_ptrIxEEEESF_PS6_SG_NS0_19identity_decomposerEEE10hipError_tT1_T2_T3_T4_jRjT5_jjP12ihipStream_tbEUlT_E_NS1_11comp_targetILNS1_3genE4ELNS1_11target_archE910ELNS1_3gpuE8ELNS1_3repE0EEENS1_44radix_sort_block_sort_config_static_selectorELNS0_4arch9wavefront6targetE1EEEvSJ_: ; @_ZN7rocprim17ROCPRIM_400000_NS6detail17trampoline_kernelINS0_13kernel_configILj256ELj4ELj4294967295EEENS1_37radix_sort_block_sort_config_selectorIxNS0_10empty_typeEEEZNS1_21radix_sort_block_sortIS4_Lb0EN6thrust23THRUST_200600_302600_NS6detail15normal_iteratorINSA_10device_ptrIxEEEESF_PS6_SG_NS0_19identity_decomposerEEE10hipError_tT1_T2_T3_T4_jRjT5_jjP12ihipStream_tbEUlT_E_NS1_11comp_targetILNS1_3genE4ELNS1_11target_archE910ELNS1_3gpuE8ELNS1_3repE0EEENS1_44radix_sort_block_sort_config_static_selectorELNS0_4arch9wavefront6targetE1EEEvSJ_
; %bb.0:
	.section	.rodata,"a",@progbits
	.p2align	6, 0x0
	.amdhsa_kernel _ZN7rocprim17ROCPRIM_400000_NS6detail17trampoline_kernelINS0_13kernel_configILj256ELj4ELj4294967295EEENS1_37radix_sort_block_sort_config_selectorIxNS0_10empty_typeEEEZNS1_21radix_sort_block_sortIS4_Lb0EN6thrust23THRUST_200600_302600_NS6detail15normal_iteratorINSA_10device_ptrIxEEEESF_PS6_SG_NS0_19identity_decomposerEEE10hipError_tT1_T2_T3_T4_jRjT5_jjP12ihipStream_tbEUlT_E_NS1_11comp_targetILNS1_3genE4ELNS1_11target_archE910ELNS1_3gpuE8ELNS1_3repE0EEENS1_44radix_sort_block_sort_config_static_selectorELNS0_4arch9wavefront6targetE1EEEvSJ_
		.amdhsa_group_segment_fixed_size 0
		.amdhsa_private_segment_fixed_size 0
		.amdhsa_kernarg_size 48
		.amdhsa_user_sgpr_count 2
		.amdhsa_user_sgpr_dispatch_ptr 0
		.amdhsa_user_sgpr_queue_ptr 0
		.amdhsa_user_sgpr_kernarg_segment_ptr 1
		.amdhsa_user_sgpr_dispatch_id 0
		.amdhsa_user_sgpr_kernarg_preload_length 0
		.amdhsa_user_sgpr_kernarg_preload_offset 0
		.amdhsa_user_sgpr_private_segment_size 0
		.amdhsa_uses_dynamic_stack 0
		.amdhsa_enable_private_segment 0
		.amdhsa_system_sgpr_workgroup_id_x 1
		.amdhsa_system_sgpr_workgroup_id_y 0
		.amdhsa_system_sgpr_workgroup_id_z 0
		.amdhsa_system_sgpr_workgroup_info 0
		.amdhsa_system_vgpr_workitem_id 0
		.amdhsa_next_free_vgpr 1
		.amdhsa_next_free_sgpr 0
		.amdhsa_accum_offset 4
		.amdhsa_reserve_vcc 0
		.amdhsa_float_round_mode_32 0
		.amdhsa_float_round_mode_16_64 0
		.amdhsa_float_denorm_mode_32 3
		.amdhsa_float_denorm_mode_16_64 3
		.amdhsa_dx10_clamp 1
		.amdhsa_ieee_mode 1
		.amdhsa_fp16_overflow 0
		.amdhsa_tg_split 0
		.amdhsa_exception_fp_ieee_invalid_op 0
		.amdhsa_exception_fp_denorm_src 0
		.amdhsa_exception_fp_ieee_div_zero 0
		.amdhsa_exception_fp_ieee_overflow 0
		.amdhsa_exception_fp_ieee_underflow 0
		.amdhsa_exception_fp_ieee_inexact 0
		.amdhsa_exception_int_div_zero 0
	.end_amdhsa_kernel
	.section	.text._ZN7rocprim17ROCPRIM_400000_NS6detail17trampoline_kernelINS0_13kernel_configILj256ELj4ELj4294967295EEENS1_37radix_sort_block_sort_config_selectorIxNS0_10empty_typeEEEZNS1_21radix_sort_block_sortIS4_Lb0EN6thrust23THRUST_200600_302600_NS6detail15normal_iteratorINSA_10device_ptrIxEEEESF_PS6_SG_NS0_19identity_decomposerEEE10hipError_tT1_T2_T3_T4_jRjT5_jjP12ihipStream_tbEUlT_E_NS1_11comp_targetILNS1_3genE4ELNS1_11target_archE910ELNS1_3gpuE8ELNS1_3repE0EEENS1_44radix_sort_block_sort_config_static_selectorELNS0_4arch9wavefront6targetE1EEEvSJ_,"axG",@progbits,_ZN7rocprim17ROCPRIM_400000_NS6detail17trampoline_kernelINS0_13kernel_configILj256ELj4ELj4294967295EEENS1_37radix_sort_block_sort_config_selectorIxNS0_10empty_typeEEEZNS1_21radix_sort_block_sortIS4_Lb0EN6thrust23THRUST_200600_302600_NS6detail15normal_iteratorINSA_10device_ptrIxEEEESF_PS6_SG_NS0_19identity_decomposerEEE10hipError_tT1_T2_T3_T4_jRjT5_jjP12ihipStream_tbEUlT_E_NS1_11comp_targetILNS1_3genE4ELNS1_11target_archE910ELNS1_3gpuE8ELNS1_3repE0EEENS1_44radix_sort_block_sort_config_static_selectorELNS0_4arch9wavefront6targetE1EEEvSJ_,comdat
.Lfunc_end1394:
	.size	_ZN7rocprim17ROCPRIM_400000_NS6detail17trampoline_kernelINS0_13kernel_configILj256ELj4ELj4294967295EEENS1_37radix_sort_block_sort_config_selectorIxNS0_10empty_typeEEEZNS1_21radix_sort_block_sortIS4_Lb0EN6thrust23THRUST_200600_302600_NS6detail15normal_iteratorINSA_10device_ptrIxEEEESF_PS6_SG_NS0_19identity_decomposerEEE10hipError_tT1_T2_T3_T4_jRjT5_jjP12ihipStream_tbEUlT_E_NS1_11comp_targetILNS1_3genE4ELNS1_11target_archE910ELNS1_3gpuE8ELNS1_3repE0EEENS1_44radix_sort_block_sort_config_static_selectorELNS0_4arch9wavefront6targetE1EEEvSJ_, .Lfunc_end1394-_ZN7rocprim17ROCPRIM_400000_NS6detail17trampoline_kernelINS0_13kernel_configILj256ELj4ELj4294967295EEENS1_37radix_sort_block_sort_config_selectorIxNS0_10empty_typeEEEZNS1_21radix_sort_block_sortIS4_Lb0EN6thrust23THRUST_200600_302600_NS6detail15normal_iteratorINSA_10device_ptrIxEEEESF_PS6_SG_NS0_19identity_decomposerEEE10hipError_tT1_T2_T3_T4_jRjT5_jjP12ihipStream_tbEUlT_E_NS1_11comp_targetILNS1_3genE4ELNS1_11target_archE910ELNS1_3gpuE8ELNS1_3repE0EEENS1_44radix_sort_block_sort_config_static_selectorELNS0_4arch9wavefront6targetE1EEEvSJ_
                                        ; -- End function
	.section	.AMDGPU.csdata,"",@progbits
; Kernel info:
; codeLenInByte = 0
; NumSgprs: 6
; NumVgprs: 0
; NumAgprs: 0
; TotalNumVgprs: 0
; ScratchSize: 0
; MemoryBound: 0
; FloatMode: 240
; IeeeMode: 1
; LDSByteSize: 0 bytes/workgroup (compile time only)
; SGPRBlocks: 0
; VGPRBlocks: 0
; NumSGPRsForWavesPerEU: 6
; NumVGPRsForWavesPerEU: 1
; AccumOffset: 4
; Occupancy: 8
; WaveLimiterHint : 0
; COMPUTE_PGM_RSRC2:SCRATCH_EN: 0
; COMPUTE_PGM_RSRC2:USER_SGPR: 2
; COMPUTE_PGM_RSRC2:TRAP_HANDLER: 0
; COMPUTE_PGM_RSRC2:TGID_X_EN: 1
; COMPUTE_PGM_RSRC2:TGID_Y_EN: 0
; COMPUTE_PGM_RSRC2:TGID_Z_EN: 0
; COMPUTE_PGM_RSRC2:TIDIG_COMP_CNT: 0
; COMPUTE_PGM_RSRC3_GFX90A:ACCUM_OFFSET: 0
; COMPUTE_PGM_RSRC3_GFX90A:TG_SPLIT: 0
	.section	.text._ZN7rocprim17ROCPRIM_400000_NS6detail17trampoline_kernelINS0_13kernel_configILj256ELj4ELj4294967295EEENS1_37radix_sort_block_sort_config_selectorIxNS0_10empty_typeEEEZNS1_21radix_sort_block_sortIS4_Lb0EN6thrust23THRUST_200600_302600_NS6detail15normal_iteratorINSA_10device_ptrIxEEEESF_PS6_SG_NS0_19identity_decomposerEEE10hipError_tT1_T2_T3_T4_jRjT5_jjP12ihipStream_tbEUlT_E_NS1_11comp_targetILNS1_3genE3ELNS1_11target_archE908ELNS1_3gpuE7ELNS1_3repE0EEENS1_44radix_sort_block_sort_config_static_selectorELNS0_4arch9wavefront6targetE1EEEvSJ_,"axG",@progbits,_ZN7rocprim17ROCPRIM_400000_NS6detail17trampoline_kernelINS0_13kernel_configILj256ELj4ELj4294967295EEENS1_37radix_sort_block_sort_config_selectorIxNS0_10empty_typeEEEZNS1_21radix_sort_block_sortIS4_Lb0EN6thrust23THRUST_200600_302600_NS6detail15normal_iteratorINSA_10device_ptrIxEEEESF_PS6_SG_NS0_19identity_decomposerEEE10hipError_tT1_T2_T3_T4_jRjT5_jjP12ihipStream_tbEUlT_E_NS1_11comp_targetILNS1_3genE3ELNS1_11target_archE908ELNS1_3gpuE7ELNS1_3repE0EEENS1_44radix_sort_block_sort_config_static_selectorELNS0_4arch9wavefront6targetE1EEEvSJ_,comdat
	.protected	_ZN7rocprim17ROCPRIM_400000_NS6detail17trampoline_kernelINS0_13kernel_configILj256ELj4ELj4294967295EEENS1_37radix_sort_block_sort_config_selectorIxNS0_10empty_typeEEEZNS1_21radix_sort_block_sortIS4_Lb0EN6thrust23THRUST_200600_302600_NS6detail15normal_iteratorINSA_10device_ptrIxEEEESF_PS6_SG_NS0_19identity_decomposerEEE10hipError_tT1_T2_T3_T4_jRjT5_jjP12ihipStream_tbEUlT_E_NS1_11comp_targetILNS1_3genE3ELNS1_11target_archE908ELNS1_3gpuE7ELNS1_3repE0EEENS1_44radix_sort_block_sort_config_static_selectorELNS0_4arch9wavefront6targetE1EEEvSJ_ ; -- Begin function _ZN7rocprim17ROCPRIM_400000_NS6detail17trampoline_kernelINS0_13kernel_configILj256ELj4ELj4294967295EEENS1_37radix_sort_block_sort_config_selectorIxNS0_10empty_typeEEEZNS1_21radix_sort_block_sortIS4_Lb0EN6thrust23THRUST_200600_302600_NS6detail15normal_iteratorINSA_10device_ptrIxEEEESF_PS6_SG_NS0_19identity_decomposerEEE10hipError_tT1_T2_T3_T4_jRjT5_jjP12ihipStream_tbEUlT_E_NS1_11comp_targetILNS1_3genE3ELNS1_11target_archE908ELNS1_3gpuE7ELNS1_3repE0EEENS1_44radix_sort_block_sort_config_static_selectorELNS0_4arch9wavefront6targetE1EEEvSJ_
	.globl	_ZN7rocprim17ROCPRIM_400000_NS6detail17trampoline_kernelINS0_13kernel_configILj256ELj4ELj4294967295EEENS1_37radix_sort_block_sort_config_selectorIxNS0_10empty_typeEEEZNS1_21radix_sort_block_sortIS4_Lb0EN6thrust23THRUST_200600_302600_NS6detail15normal_iteratorINSA_10device_ptrIxEEEESF_PS6_SG_NS0_19identity_decomposerEEE10hipError_tT1_T2_T3_T4_jRjT5_jjP12ihipStream_tbEUlT_E_NS1_11comp_targetILNS1_3genE3ELNS1_11target_archE908ELNS1_3gpuE7ELNS1_3repE0EEENS1_44radix_sort_block_sort_config_static_selectorELNS0_4arch9wavefront6targetE1EEEvSJ_
	.p2align	8
	.type	_ZN7rocprim17ROCPRIM_400000_NS6detail17trampoline_kernelINS0_13kernel_configILj256ELj4ELj4294967295EEENS1_37radix_sort_block_sort_config_selectorIxNS0_10empty_typeEEEZNS1_21radix_sort_block_sortIS4_Lb0EN6thrust23THRUST_200600_302600_NS6detail15normal_iteratorINSA_10device_ptrIxEEEESF_PS6_SG_NS0_19identity_decomposerEEE10hipError_tT1_T2_T3_T4_jRjT5_jjP12ihipStream_tbEUlT_E_NS1_11comp_targetILNS1_3genE3ELNS1_11target_archE908ELNS1_3gpuE7ELNS1_3repE0EEENS1_44radix_sort_block_sort_config_static_selectorELNS0_4arch9wavefront6targetE1EEEvSJ_,@function
_ZN7rocprim17ROCPRIM_400000_NS6detail17trampoline_kernelINS0_13kernel_configILj256ELj4ELj4294967295EEENS1_37radix_sort_block_sort_config_selectorIxNS0_10empty_typeEEEZNS1_21radix_sort_block_sortIS4_Lb0EN6thrust23THRUST_200600_302600_NS6detail15normal_iteratorINSA_10device_ptrIxEEEESF_PS6_SG_NS0_19identity_decomposerEEE10hipError_tT1_T2_T3_T4_jRjT5_jjP12ihipStream_tbEUlT_E_NS1_11comp_targetILNS1_3genE3ELNS1_11target_archE908ELNS1_3gpuE7ELNS1_3repE0EEENS1_44radix_sort_block_sort_config_static_selectorELNS0_4arch9wavefront6targetE1EEEvSJ_: ; @_ZN7rocprim17ROCPRIM_400000_NS6detail17trampoline_kernelINS0_13kernel_configILj256ELj4ELj4294967295EEENS1_37radix_sort_block_sort_config_selectorIxNS0_10empty_typeEEEZNS1_21radix_sort_block_sortIS4_Lb0EN6thrust23THRUST_200600_302600_NS6detail15normal_iteratorINSA_10device_ptrIxEEEESF_PS6_SG_NS0_19identity_decomposerEEE10hipError_tT1_T2_T3_T4_jRjT5_jjP12ihipStream_tbEUlT_E_NS1_11comp_targetILNS1_3genE3ELNS1_11target_archE908ELNS1_3gpuE7ELNS1_3repE0EEENS1_44radix_sort_block_sort_config_static_selectorELNS0_4arch9wavefront6targetE1EEEvSJ_
; %bb.0:
	.section	.rodata,"a",@progbits
	.p2align	6, 0x0
	.amdhsa_kernel _ZN7rocprim17ROCPRIM_400000_NS6detail17trampoline_kernelINS0_13kernel_configILj256ELj4ELj4294967295EEENS1_37radix_sort_block_sort_config_selectorIxNS0_10empty_typeEEEZNS1_21radix_sort_block_sortIS4_Lb0EN6thrust23THRUST_200600_302600_NS6detail15normal_iteratorINSA_10device_ptrIxEEEESF_PS6_SG_NS0_19identity_decomposerEEE10hipError_tT1_T2_T3_T4_jRjT5_jjP12ihipStream_tbEUlT_E_NS1_11comp_targetILNS1_3genE3ELNS1_11target_archE908ELNS1_3gpuE7ELNS1_3repE0EEENS1_44radix_sort_block_sort_config_static_selectorELNS0_4arch9wavefront6targetE1EEEvSJ_
		.amdhsa_group_segment_fixed_size 0
		.amdhsa_private_segment_fixed_size 0
		.amdhsa_kernarg_size 48
		.amdhsa_user_sgpr_count 2
		.amdhsa_user_sgpr_dispatch_ptr 0
		.amdhsa_user_sgpr_queue_ptr 0
		.amdhsa_user_sgpr_kernarg_segment_ptr 1
		.amdhsa_user_sgpr_dispatch_id 0
		.amdhsa_user_sgpr_kernarg_preload_length 0
		.amdhsa_user_sgpr_kernarg_preload_offset 0
		.amdhsa_user_sgpr_private_segment_size 0
		.amdhsa_uses_dynamic_stack 0
		.amdhsa_enable_private_segment 0
		.amdhsa_system_sgpr_workgroup_id_x 1
		.amdhsa_system_sgpr_workgroup_id_y 0
		.amdhsa_system_sgpr_workgroup_id_z 0
		.amdhsa_system_sgpr_workgroup_info 0
		.amdhsa_system_vgpr_workitem_id 0
		.amdhsa_next_free_vgpr 1
		.amdhsa_next_free_sgpr 0
		.amdhsa_accum_offset 4
		.amdhsa_reserve_vcc 0
		.amdhsa_float_round_mode_32 0
		.amdhsa_float_round_mode_16_64 0
		.amdhsa_float_denorm_mode_32 3
		.amdhsa_float_denorm_mode_16_64 3
		.amdhsa_dx10_clamp 1
		.amdhsa_ieee_mode 1
		.amdhsa_fp16_overflow 0
		.amdhsa_tg_split 0
		.amdhsa_exception_fp_ieee_invalid_op 0
		.amdhsa_exception_fp_denorm_src 0
		.amdhsa_exception_fp_ieee_div_zero 0
		.amdhsa_exception_fp_ieee_overflow 0
		.amdhsa_exception_fp_ieee_underflow 0
		.amdhsa_exception_fp_ieee_inexact 0
		.amdhsa_exception_int_div_zero 0
	.end_amdhsa_kernel
	.section	.text._ZN7rocprim17ROCPRIM_400000_NS6detail17trampoline_kernelINS0_13kernel_configILj256ELj4ELj4294967295EEENS1_37radix_sort_block_sort_config_selectorIxNS0_10empty_typeEEEZNS1_21radix_sort_block_sortIS4_Lb0EN6thrust23THRUST_200600_302600_NS6detail15normal_iteratorINSA_10device_ptrIxEEEESF_PS6_SG_NS0_19identity_decomposerEEE10hipError_tT1_T2_T3_T4_jRjT5_jjP12ihipStream_tbEUlT_E_NS1_11comp_targetILNS1_3genE3ELNS1_11target_archE908ELNS1_3gpuE7ELNS1_3repE0EEENS1_44radix_sort_block_sort_config_static_selectorELNS0_4arch9wavefront6targetE1EEEvSJ_,"axG",@progbits,_ZN7rocprim17ROCPRIM_400000_NS6detail17trampoline_kernelINS0_13kernel_configILj256ELj4ELj4294967295EEENS1_37radix_sort_block_sort_config_selectorIxNS0_10empty_typeEEEZNS1_21radix_sort_block_sortIS4_Lb0EN6thrust23THRUST_200600_302600_NS6detail15normal_iteratorINSA_10device_ptrIxEEEESF_PS6_SG_NS0_19identity_decomposerEEE10hipError_tT1_T2_T3_T4_jRjT5_jjP12ihipStream_tbEUlT_E_NS1_11comp_targetILNS1_3genE3ELNS1_11target_archE908ELNS1_3gpuE7ELNS1_3repE0EEENS1_44radix_sort_block_sort_config_static_selectorELNS0_4arch9wavefront6targetE1EEEvSJ_,comdat
.Lfunc_end1395:
	.size	_ZN7rocprim17ROCPRIM_400000_NS6detail17trampoline_kernelINS0_13kernel_configILj256ELj4ELj4294967295EEENS1_37radix_sort_block_sort_config_selectorIxNS0_10empty_typeEEEZNS1_21radix_sort_block_sortIS4_Lb0EN6thrust23THRUST_200600_302600_NS6detail15normal_iteratorINSA_10device_ptrIxEEEESF_PS6_SG_NS0_19identity_decomposerEEE10hipError_tT1_T2_T3_T4_jRjT5_jjP12ihipStream_tbEUlT_E_NS1_11comp_targetILNS1_3genE3ELNS1_11target_archE908ELNS1_3gpuE7ELNS1_3repE0EEENS1_44radix_sort_block_sort_config_static_selectorELNS0_4arch9wavefront6targetE1EEEvSJ_, .Lfunc_end1395-_ZN7rocprim17ROCPRIM_400000_NS6detail17trampoline_kernelINS0_13kernel_configILj256ELj4ELj4294967295EEENS1_37radix_sort_block_sort_config_selectorIxNS0_10empty_typeEEEZNS1_21radix_sort_block_sortIS4_Lb0EN6thrust23THRUST_200600_302600_NS6detail15normal_iteratorINSA_10device_ptrIxEEEESF_PS6_SG_NS0_19identity_decomposerEEE10hipError_tT1_T2_T3_T4_jRjT5_jjP12ihipStream_tbEUlT_E_NS1_11comp_targetILNS1_3genE3ELNS1_11target_archE908ELNS1_3gpuE7ELNS1_3repE0EEENS1_44radix_sort_block_sort_config_static_selectorELNS0_4arch9wavefront6targetE1EEEvSJ_
                                        ; -- End function
	.section	.AMDGPU.csdata,"",@progbits
; Kernel info:
; codeLenInByte = 0
; NumSgprs: 6
; NumVgprs: 0
; NumAgprs: 0
; TotalNumVgprs: 0
; ScratchSize: 0
; MemoryBound: 0
; FloatMode: 240
; IeeeMode: 1
; LDSByteSize: 0 bytes/workgroup (compile time only)
; SGPRBlocks: 0
; VGPRBlocks: 0
; NumSGPRsForWavesPerEU: 6
; NumVGPRsForWavesPerEU: 1
; AccumOffset: 4
; Occupancy: 8
; WaveLimiterHint : 0
; COMPUTE_PGM_RSRC2:SCRATCH_EN: 0
; COMPUTE_PGM_RSRC2:USER_SGPR: 2
; COMPUTE_PGM_RSRC2:TRAP_HANDLER: 0
; COMPUTE_PGM_RSRC2:TGID_X_EN: 1
; COMPUTE_PGM_RSRC2:TGID_Y_EN: 0
; COMPUTE_PGM_RSRC2:TGID_Z_EN: 0
; COMPUTE_PGM_RSRC2:TIDIG_COMP_CNT: 0
; COMPUTE_PGM_RSRC3_GFX90A:ACCUM_OFFSET: 0
; COMPUTE_PGM_RSRC3_GFX90A:TG_SPLIT: 0
	.section	.text._ZN7rocprim17ROCPRIM_400000_NS6detail17trampoline_kernelINS0_13kernel_configILj256ELj4ELj4294967295EEENS1_37radix_sort_block_sort_config_selectorIxNS0_10empty_typeEEEZNS1_21radix_sort_block_sortIS4_Lb0EN6thrust23THRUST_200600_302600_NS6detail15normal_iteratorINSA_10device_ptrIxEEEESF_PS6_SG_NS0_19identity_decomposerEEE10hipError_tT1_T2_T3_T4_jRjT5_jjP12ihipStream_tbEUlT_E_NS1_11comp_targetILNS1_3genE2ELNS1_11target_archE906ELNS1_3gpuE6ELNS1_3repE0EEENS1_44radix_sort_block_sort_config_static_selectorELNS0_4arch9wavefront6targetE1EEEvSJ_,"axG",@progbits,_ZN7rocprim17ROCPRIM_400000_NS6detail17trampoline_kernelINS0_13kernel_configILj256ELj4ELj4294967295EEENS1_37radix_sort_block_sort_config_selectorIxNS0_10empty_typeEEEZNS1_21radix_sort_block_sortIS4_Lb0EN6thrust23THRUST_200600_302600_NS6detail15normal_iteratorINSA_10device_ptrIxEEEESF_PS6_SG_NS0_19identity_decomposerEEE10hipError_tT1_T2_T3_T4_jRjT5_jjP12ihipStream_tbEUlT_E_NS1_11comp_targetILNS1_3genE2ELNS1_11target_archE906ELNS1_3gpuE6ELNS1_3repE0EEENS1_44radix_sort_block_sort_config_static_selectorELNS0_4arch9wavefront6targetE1EEEvSJ_,comdat
	.protected	_ZN7rocprim17ROCPRIM_400000_NS6detail17trampoline_kernelINS0_13kernel_configILj256ELj4ELj4294967295EEENS1_37radix_sort_block_sort_config_selectorIxNS0_10empty_typeEEEZNS1_21radix_sort_block_sortIS4_Lb0EN6thrust23THRUST_200600_302600_NS6detail15normal_iteratorINSA_10device_ptrIxEEEESF_PS6_SG_NS0_19identity_decomposerEEE10hipError_tT1_T2_T3_T4_jRjT5_jjP12ihipStream_tbEUlT_E_NS1_11comp_targetILNS1_3genE2ELNS1_11target_archE906ELNS1_3gpuE6ELNS1_3repE0EEENS1_44radix_sort_block_sort_config_static_selectorELNS0_4arch9wavefront6targetE1EEEvSJ_ ; -- Begin function _ZN7rocprim17ROCPRIM_400000_NS6detail17trampoline_kernelINS0_13kernel_configILj256ELj4ELj4294967295EEENS1_37radix_sort_block_sort_config_selectorIxNS0_10empty_typeEEEZNS1_21radix_sort_block_sortIS4_Lb0EN6thrust23THRUST_200600_302600_NS6detail15normal_iteratorINSA_10device_ptrIxEEEESF_PS6_SG_NS0_19identity_decomposerEEE10hipError_tT1_T2_T3_T4_jRjT5_jjP12ihipStream_tbEUlT_E_NS1_11comp_targetILNS1_3genE2ELNS1_11target_archE906ELNS1_3gpuE6ELNS1_3repE0EEENS1_44radix_sort_block_sort_config_static_selectorELNS0_4arch9wavefront6targetE1EEEvSJ_
	.globl	_ZN7rocprim17ROCPRIM_400000_NS6detail17trampoline_kernelINS0_13kernel_configILj256ELj4ELj4294967295EEENS1_37radix_sort_block_sort_config_selectorIxNS0_10empty_typeEEEZNS1_21radix_sort_block_sortIS4_Lb0EN6thrust23THRUST_200600_302600_NS6detail15normal_iteratorINSA_10device_ptrIxEEEESF_PS6_SG_NS0_19identity_decomposerEEE10hipError_tT1_T2_T3_T4_jRjT5_jjP12ihipStream_tbEUlT_E_NS1_11comp_targetILNS1_3genE2ELNS1_11target_archE906ELNS1_3gpuE6ELNS1_3repE0EEENS1_44radix_sort_block_sort_config_static_selectorELNS0_4arch9wavefront6targetE1EEEvSJ_
	.p2align	8
	.type	_ZN7rocprim17ROCPRIM_400000_NS6detail17trampoline_kernelINS0_13kernel_configILj256ELj4ELj4294967295EEENS1_37radix_sort_block_sort_config_selectorIxNS0_10empty_typeEEEZNS1_21radix_sort_block_sortIS4_Lb0EN6thrust23THRUST_200600_302600_NS6detail15normal_iteratorINSA_10device_ptrIxEEEESF_PS6_SG_NS0_19identity_decomposerEEE10hipError_tT1_T2_T3_T4_jRjT5_jjP12ihipStream_tbEUlT_E_NS1_11comp_targetILNS1_3genE2ELNS1_11target_archE906ELNS1_3gpuE6ELNS1_3repE0EEENS1_44radix_sort_block_sort_config_static_selectorELNS0_4arch9wavefront6targetE1EEEvSJ_,@function
_ZN7rocprim17ROCPRIM_400000_NS6detail17trampoline_kernelINS0_13kernel_configILj256ELj4ELj4294967295EEENS1_37radix_sort_block_sort_config_selectorIxNS0_10empty_typeEEEZNS1_21radix_sort_block_sortIS4_Lb0EN6thrust23THRUST_200600_302600_NS6detail15normal_iteratorINSA_10device_ptrIxEEEESF_PS6_SG_NS0_19identity_decomposerEEE10hipError_tT1_T2_T3_T4_jRjT5_jjP12ihipStream_tbEUlT_E_NS1_11comp_targetILNS1_3genE2ELNS1_11target_archE906ELNS1_3gpuE6ELNS1_3repE0EEENS1_44radix_sort_block_sort_config_static_selectorELNS0_4arch9wavefront6targetE1EEEvSJ_: ; @_ZN7rocprim17ROCPRIM_400000_NS6detail17trampoline_kernelINS0_13kernel_configILj256ELj4ELj4294967295EEENS1_37radix_sort_block_sort_config_selectorIxNS0_10empty_typeEEEZNS1_21radix_sort_block_sortIS4_Lb0EN6thrust23THRUST_200600_302600_NS6detail15normal_iteratorINSA_10device_ptrIxEEEESF_PS6_SG_NS0_19identity_decomposerEEE10hipError_tT1_T2_T3_T4_jRjT5_jjP12ihipStream_tbEUlT_E_NS1_11comp_targetILNS1_3genE2ELNS1_11target_archE906ELNS1_3gpuE6ELNS1_3repE0EEENS1_44radix_sort_block_sort_config_static_selectorELNS0_4arch9wavefront6targetE1EEEvSJ_
; %bb.0:
	.section	.rodata,"a",@progbits
	.p2align	6, 0x0
	.amdhsa_kernel _ZN7rocprim17ROCPRIM_400000_NS6detail17trampoline_kernelINS0_13kernel_configILj256ELj4ELj4294967295EEENS1_37radix_sort_block_sort_config_selectorIxNS0_10empty_typeEEEZNS1_21radix_sort_block_sortIS4_Lb0EN6thrust23THRUST_200600_302600_NS6detail15normal_iteratorINSA_10device_ptrIxEEEESF_PS6_SG_NS0_19identity_decomposerEEE10hipError_tT1_T2_T3_T4_jRjT5_jjP12ihipStream_tbEUlT_E_NS1_11comp_targetILNS1_3genE2ELNS1_11target_archE906ELNS1_3gpuE6ELNS1_3repE0EEENS1_44radix_sort_block_sort_config_static_selectorELNS0_4arch9wavefront6targetE1EEEvSJ_
		.amdhsa_group_segment_fixed_size 0
		.amdhsa_private_segment_fixed_size 0
		.amdhsa_kernarg_size 48
		.amdhsa_user_sgpr_count 2
		.amdhsa_user_sgpr_dispatch_ptr 0
		.amdhsa_user_sgpr_queue_ptr 0
		.amdhsa_user_sgpr_kernarg_segment_ptr 1
		.amdhsa_user_sgpr_dispatch_id 0
		.amdhsa_user_sgpr_kernarg_preload_length 0
		.amdhsa_user_sgpr_kernarg_preload_offset 0
		.amdhsa_user_sgpr_private_segment_size 0
		.amdhsa_uses_dynamic_stack 0
		.amdhsa_enable_private_segment 0
		.amdhsa_system_sgpr_workgroup_id_x 1
		.amdhsa_system_sgpr_workgroup_id_y 0
		.amdhsa_system_sgpr_workgroup_id_z 0
		.amdhsa_system_sgpr_workgroup_info 0
		.amdhsa_system_vgpr_workitem_id 0
		.amdhsa_next_free_vgpr 1
		.amdhsa_next_free_sgpr 0
		.amdhsa_accum_offset 4
		.amdhsa_reserve_vcc 0
		.amdhsa_float_round_mode_32 0
		.amdhsa_float_round_mode_16_64 0
		.amdhsa_float_denorm_mode_32 3
		.amdhsa_float_denorm_mode_16_64 3
		.amdhsa_dx10_clamp 1
		.amdhsa_ieee_mode 1
		.amdhsa_fp16_overflow 0
		.amdhsa_tg_split 0
		.amdhsa_exception_fp_ieee_invalid_op 0
		.amdhsa_exception_fp_denorm_src 0
		.amdhsa_exception_fp_ieee_div_zero 0
		.amdhsa_exception_fp_ieee_overflow 0
		.amdhsa_exception_fp_ieee_underflow 0
		.amdhsa_exception_fp_ieee_inexact 0
		.amdhsa_exception_int_div_zero 0
	.end_amdhsa_kernel
	.section	.text._ZN7rocprim17ROCPRIM_400000_NS6detail17trampoline_kernelINS0_13kernel_configILj256ELj4ELj4294967295EEENS1_37radix_sort_block_sort_config_selectorIxNS0_10empty_typeEEEZNS1_21radix_sort_block_sortIS4_Lb0EN6thrust23THRUST_200600_302600_NS6detail15normal_iteratorINSA_10device_ptrIxEEEESF_PS6_SG_NS0_19identity_decomposerEEE10hipError_tT1_T2_T3_T4_jRjT5_jjP12ihipStream_tbEUlT_E_NS1_11comp_targetILNS1_3genE2ELNS1_11target_archE906ELNS1_3gpuE6ELNS1_3repE0EEENS1_44radix_sort_block_sort_config_static_selectorELNS0_4arch9wavefront6targetE1EEEvSJ_,"axG",@progbits,_ZN7rocprim17ROCPRIM_400000_NS6detail17trampoline_kernelINS0_13kernel_configILj256ELj4ELj4294967295EEENS1_37radix_sort_block_sort_config_selectorIxNS0_10empty_typeEEEZNS1_21radix_sort_block_sortIS4_Lb0EN6thrust23THRUST_200600_302600_NS6detail15normal_iteratorINSA_10device_ptrIxEEEESF_PS6_SG_NS0_19identity_decomposerEEE10hipError_tT1_T2_T3_T4_jRjT5_jjP12ihipStream_tbEUlT_E_NS1_11comp_targetILNS1_3genE2ELNS1_11target_archE906ELNS1_3gpuE6ELNS1_3repE0EEENS1_44radix_sort_block_sort_config_static_selectorELNS0_4arch9wavefront6targetE1EEEvSJ_,comdat
.Lfunc_end1396:
	.size	_ZN7rocprim17ROCPRIM_400000_NS6detail17trampoline_kernelINS0_13kernel_configILj256ELj4ELj4294967295EEENS1_37radix_sort_block_sort_config_selectorIxNS0_10empty_typeEEEZNS1_21radix_sort_block_sortIS4_Lb0EN6thrust23THRUST_200600_302600_NS6detail15normal_iteratorINSA_10device_ptrIxEEEESF_PS6_SG_NS0_19identity_decomposerEEE10hipError_tT1_T2_T3_T4_jRjT5_jjP12ihipStream_tbEUlT_E_NS1_11comp_targetILNS1_3genE2ELNS1_11target_archE906ELNS1_3gpuE6ELNS1_3repE0EEENS1_44radix_sort_block_sort_config_static_selectorELNS0_4arch9wavefront6targetE1EEEvSJ_, .Lfunc_end1396-_ZN7rocprim17ROCPRIM_400000_NS6detail17trampoline_kernelINS0_13kernel_configILj256ELj4ELj4294967295EEENS1_37radix_sort_block_sort_config_selectorIxNS0_10empty_typeEEEZNS1_21radix_sort_block_sortIS4_Lb0EN6thrust23THRUST_200600_302600_NS6detail15normal_iteratorINSA_10device_ptrIxEEEESF_PS6_SG_NS0_19identity_decomposerEEE10hipError_tT1_T2_T3_T4_jRjT5_jjP12ihipStream_tbEUlT_E_NS1_11comp_targetILNS1_3genE2ELNS1_11target_archE906ELNS1_3gpuE6ELNS1_3repE0EEENS1_44radix_sort_block_sort_config_static_selectorELNS0_4arch9wavefront6targetE1EEEvSJ_
                                        ; -- End function
	.section	.AMDGPU.csdata,"",@progbits
; Kernel info:
; codeLenInByte = 0
; NumSgprs: 6
; NumVgprs: 0
; NumAgprs: 0
; TotalNumVgprs: 0
; ScratchSize: 0
; MemoryBound: 0
; FloatMode: 240
; IeeeMode: 1
; LDSByteSize: 0 bytes/workgroup (compile time only)
; SGPRBlocks: 0
; VGPRBlocks: 0
; NumSGPRsForWavesPerEU: 6
; NumVGPRsForWavesPerEU: 1
; AccumOffset: 4
; Occupancy: 8
; WaveLimiterHint : 0
; COMPUTE_PGM_RSRC2:SCRATCH_EN: 0
; COMPUTE_PGM_RSRC2:USER_SGPR: 2
; COMPUTE_PGM_RSRC2:TRAP_HANDLER: 0
; COMPUTE_PGM_RSRC2:TGID_X_EN: 1
; COMPUTE_PGM_RSRC2:TGID_Y_EN: 0
; COMPUTE_PGM_RSRC2:TGID_Z_EN: 0
; COMPUTE_PGM_RSRC2:TIDIG_COMP_CNT: 0
; COMPUTE_PGM_RSRC3_GFX90A:ACCUM_OFFSET: 0
; COMPUTE_PGM_RSRC3_GFX90A:TG_SPLIT: 0
	.section	.text._ZN7rocprim17ROCPRIM_400000_NS6detail17trampoline_kernelINS0_13kernel_configILj256ELj4ELj4294967295EEENS1_37radix_sort_block_sort_config_selectorIxNS0_10empty_typeEEEZNS1_21radix_sort_block_sortIS4_Lb0EN6thrust23THRUST_200600_302600_NS6detail15normal_iteratorINSA_10device_ptrIxEEEESF_PS6_SG_NS0_19identity_decomposerEEE10hipError_tT1_T2_T3_T4_jRjT5_jjP12ihipStream_tbEUlT_E_NS1_11comp_targetILNS1_3genE10ELNS1_11target_archE1201ELNS1_3gpuE5ELNS1_3repE0EEENS1_44radix_sort_block_sort_config_static_selectorELNS0_4arch9wavefront6targetE1EEEvSJ_,"axG",@progbits,_ZN7rocprim17ROCPRIM_400000_NS6detail17trampoline_kernelINS0_13kernel_configILj256ELj4ELj4294967295EEENS1_37radix_sort_block_sort_config_selectorIxNS0_10empty_typeEEEZNS1_21radix_sort_block_sortIS4_Lb0EN6thrust23THRUST_200600_302600_NS6detail15normal_iteratorINSA_10device_ptrIxEEEESF_PS6_SG_NS0_19identity_decomposerEEE10hipError_tT1_T2_T3_T4_jRjT5_jjP12ihipStream_tbEUlT_E_NS1_11comp_targetILNS1_3genE10ELNS1_11target_archE1201ELNS1_3gpuE5ELNS1_3repE0EEENS1_44radix_sort_block_sort_config_static_selectorELNS0_4arch9wavefront6targetE1EEEvSJ_,comdat
	.protected	_ZN7rocprim17ROCPRIM_400000_NS6detail17trampoline_kernelINS0_13kernel_configILj256ELj4ELj4294967295EEENS1_37radix_sort_block_sort_config_selectorIxNS0_10empty_typeEEEZNS1_21radix_sort_block_sortIS4_Lb0EN6thrust23THRUST_200600_302600_NS6detail15normal_iteratorINSA_10device_ptrIxEEEESF_PS6_SG_NS0_19identity_decomposerEEE10hipError_tT1_T2_T3_T4_jRjT5_jjP12ihipStream_tbEUlT_E_NS1_11comp_targetILNS1_3genE10ELNS1_11target_archE1201ELNS1_3gpuE5ELNS1_3repE0EEENS1_44radix_sort_block_sort_config_static_selectorELNS0_4arch9wavefront6targetE1EEEvSJ_ ; -- Begin function _ZN7rocprim17ROCPRIM_400000_NS6detail17trampoline_kernelINS0_13kernel_configILj256ELj4ELj4294967295EEENS1_37radix_sort_block_sort_config_selectorIxNS0_10empty_typeEEEZNS1_21radix_sort_block_sortIS4_Lb0EN6thrust23THRUST_200600_302600_NS6detail15normal_iteratorINSA_10device_ptrIxEEEESF_PS6_SG_NS0_19identity_decomposerEEE10hipError_tT1_T2_T3_T4_jRjT5_jjP12ihipStream_tbEUlT_E_NS1_11comp_targetILNS1_3genE10ELNS1_11target_archE1201ELNS1_3gpuE5ELNS1_3repE0EEENS1_44radix_sort_block_sort_config_static_selectorELNS0_4arch9wavefront6targetE1EEEvSJ_
	.globl	_ZN7rocprim17ROCPRIM_400000_NS6detail17trampoline_kernelINS0_13kernel_configILj256ELj4ELj4294967295EEENS1_37radix_sort_block_sort_config_selectorIxNS0_10empty_typeEEEZNS1_21radix_sort_block_sortIS4_Lb0EN6thrust23THRUST_200600_302600_NS6detail15normal_iteratorINSA_10device_ptrIxEEEESF_PS6_SG_NS0_19identity_decomposerEEE10hipError_tT1_T2_T3_T4_jRjT5_jjP12ihipStream_tbEUlT_E_NS1_11comp_targetILNS1_3genE10ELNS1_11target_archE1201ELNS1_3gpuE5ELNS1_3repE0EEENS1_44radix_sort_block_sort_config_static_selectorELNS0_4arch9wavefront6targetE1EEEvSJ_
	.p2align	8
	.type	_ZN7rocprim17ROCPRIM_400000_NS6detail17trampoline_kernelINS0_13kernel_configILj256ELj4ELj4294967295EEENS1_37radix_sort_block_sort_config_selectorIxNS0_10empty_typeEEEZNS1_21radix_sort_block_sortIS4_Lb0EN6thrust23THRUST_200600_302600_NS6detail15normal_iteratorINSA_10device_ptrIxEEEESF_PS6_SG_NS0_19identity_decomposerEEE10hipError_tT1_T2_T3_T4_jRjT5_jjP12ihipStream_tbEUlT_E_NS1_11comp_targetILNS1_3genE10ELNS1_11target_archE1201ELNS1_3gpuE5ELNS1_3repE0EEENS1_44radix_sort_block_sort_config_static_selectorELNS0_4arch9wavefront6targetE1EEEvSJ_,@function
_ZN7rocprim17ROCPRIM_400000_NS6detail17trampoline_kernelINS0_13kernel_configILj256ELj4ELj4294967295EEENS1_37radix_sort_block_sort_config_selectorIxNS0_10empty_typeEEEZNS1_21radix_sort_block_sortIS4_Lb0EN6thrust23THRUST_200600_302600_NS6detail15normal_iteratorINSA_10device_ptrIxEEEESF_PS6_SG_NS0_19identity_decomposerEEE10hipError_tT1_T2_T3_T4_jRjT5_jjP12ihipStream_tbEUlT_E_NS1_11comp_targetILNS1_3genE10ELNS1_11target_archE1201ELNS1_3gpuE5ELNS1_3repE0EEENS1_44radix_sort_block_sort_config_static_selectorELNS0_4arch9wavefront6targetE1EEEvSJ_: ; @_ZN7rocprim17ROCPRIM_400000_NS6detail17trampoline_kernelINS0_13kernel_configILj256ELj4ELj4294967295EEENS1_37radix_sort_block_sort_config_selectorIxNS0_10empty_typeEEEZNS1_21radix_sort_block_sortIS4_Lb0EN6thrust23THRUST_200600_302600_NS6detail15normal_iteratorINSA_10device_ptrIxEEEESF_PS6_SG_NS0_19identity_decomposerEEE10hipError_tT1_T2_T3_T4_jRjT5_jjP12ihipStream_tbEUlT_E_NS1_11comp_targetILNS1_3genE10ELNS1_11target_archE1201ELNS1_3gpuE5ELNS1_3repE0EEENS1_44radix_sort_block_sort_config_static_selectorELNS0_4arch9wavefront6targetE1EEEvSJ_
; %bb.0:
	.section	.rodata,"a",@progbits
	.p2align	6, 0x0
	.amdhsa_kernel _ZN7rocprim17ROCPRIM_400000_NS6detail17trampoline_kernelINS0_13kernel_configILj256ELj4ELj4294967295EEENS1_37radix_sort_block_sort_config_selectorIxNS0_10empty_typeEEEZNS1_21radix_sort_block_sortIS4_Lb0EN6thrust23THRUST_200600_302600_NS6detail15normal_iteratorINSA_10device_ptrIxEEEESF_PS6_SG_NS0_19identity_decomposerEEE10hipError_tT1_T2_T3_T4_jRjT5_jjP12ihipStream_tbEUlT_E_NS1_11comp_targetILNS1_3genE10ELNS1_11target_archE1201ELNS1_3gpuE5ELNS1_3repE0EEENS1_44radix_sort_block_sort_config_static_selectorELNS0_4arch9wavefront6targetE1EEEvSJ_
		.amdhsa_group_segment_fixed_size 0
		.amdhsa_private_segment_fixed_size 0
		.amdhsa_kernarg_size 48
		.amdhsa_user_sgpr_count 2
		.amdhsa_user_sgpr_dispatch_ptr 0
		.amdhsa_user_sgpr_queue_ptr 0
		.amdhsa_user_sgpr_kernarg_segment_ptr 1
		.amdhsa_user_sgpr_dispatch_id 0
		.amdhsa_user_sgpr_kernarg_preload_length 0
		.amdhsa_user_sgpr_kernarg_preload_offset 0
		.amdhsa_user_sgpr_private_segment_size 0
		.amdhsa_uses_dynamic_stack 0
		.amdhsa_enable_private_segment 0
		.amdhsa_system_sgpr_workgroup_id_x 1
		.amdhsa_system_sgpr_workgroup_id_y 0
		.amdhsa_system_sgpr_workgroup_id_z 0
		.amdhsa_system_sgpr_workgroup_info 0
		.amdhsa_system_vgpr_workitem_id 0
		.amdhsa_next_free_vgpr 1
		.amdhsa_next_free_sgpr 0
		.amdhsa_accum_offset 4
		.amdhsa_reserve_vcc 0
		.amdhsa_float_round_mode_32 0
		.amdhsa_float_round_mode_16_64 0
		.amdhsa_float_denorm_mode_32 3
		.amdhsa_float_denorm_mode_16_64 3
		.amdhsa_dx10_clamp 1
		.amdhsa_ieee_mode 1
		.amdhsa_fp16_overflow 0
		.amdhsa_tg_split 0
		.amdhsa_exception_fp_ieee_invalid_op 0
		.amdhsa_exception_fp_denorm_src 0
		.amdhsa_exception_fp_ieee_div_zero 0
		.amdhsa_exception_fp_ieee_overflow 0
		.amdhsa_exception_fp_ieee_underflow 0
		.amdhsa_exception_fp_ieee_inexact 0
		.amdhsa_exception_int_div_zero 0
	.end_amdhsa_kernel
	.section	.text._ZN7rocprim17ROCPRIM_400000_NS6detail17trampoline_kernelINS0_13kernel_configILj256ELj4ELj4294967295EEENS1_37radix_sort_block_sort_config_selectorIxNS0_10empty_typeEEEZNS1_21radix_sort_block_sortIS4_Lb0EN6thrust23THRUST_200600_302600_NS6detail15normal_iteratorINSA_10device_ptrIxEEEESF_PS6_SG_NS0_19identity_decomposerEEE10hipError_tT1_T2_T3_T4_jRjT5_jjP12ihipStream_tbEUlT_E_NS1_11comp_targetILNS1_3genE10ELNS1_11target_archE1201ELNS1_3gpuE5ELNS1_3repE0EEENS1_44radix_sort_block_sort_config_static_selectorELNS0_4arch9wavefront6targetE1EEEvSJ_,"axG",@progbits,_ZN7rocprim17ROCPRIM_400000_NS6detail17trampoline_kernelINS0_13kernel_configILj256ELj4ELj4294967295EEENS1_37radix_sort_block_sort_config_selectorIxNS0_10empty_typeEEEZNS1_21radix_sort_block_sortIS4_Lb0EN6thrust23THRUST_200600_302600_NS6detail15normal_iteratorINSA_10device_ptrIxEEEESF_PS6_SG_NS0_19identity_decomposerEEE10hipError_tT1_T2_T3_T4_jRjT5_jjP12ihipStream_tbEUlT_E_NS1_11comp_targetILNS1_3genE10ELNS1_11target_archE1201ELNS1_3gpuE5ELNS1_3repE0EEENS1_44radix_sort_block_sort_config_static_selectorELNS0_4arch9wavefront6targetE1EEEvSJ_,comdat
.Lfunc_end1397:
	.size	_ZN7rocprim17ROCPRIM_400000_NS6detail17trampoline_kernelINS0_13kernel_configILj256ELj4ELj4294967295EEENS1_37radix_sort_block_sort_config_selectorIxNS0_10empty_typeEEEZNS1_21radix_sort_block_sortIS4_Lb0EN6thrust23THRUST_200600_302600_NS6detail15normal_iteratorINSA_10device_ptrIxEEEESF_PS6_SG_NS0_19identity_decomposerEEE10hipError_tT1_T2_T3_T4_jRjT5_jjP12ihipStream_tbEUlT_E_NS1_11comp_targetILNS1_3genE10ELNS1_11target_archE1201ELNS1_3gpuE5ELNS1_3repE0EEENS1_44radix_sort_block_sort_config_static_selectorELNS0_4arch9wavefront6targetE1EEEvSJ_, .Lfunc_end1397-_ZN7rocprim17ROCPRIM_400000_NS6detail17trampoline_kernelINS0_13kernel_configILj256ELj4ELj4294967295EEENS1_37radix_sort_block_sort_config_selectorIxNS0_10empty_typeEEEZNS1_21radix_sort_block_sortIS4_Lb0EN6thrust23THRUST_200600_302600_NS6detail15normal_iteratorINSA_10device_ptrIxEEEESF_PS6_SG_NS0_19identity_decomposerEEE10hipError_tT1_T2_T3_T4_jRjT5_jjP12ihipStream_tbEUlT_E_NS1_11comp_targetILNS1_3genE10ELNS1_11target_archE1201ELNS1_3gpuE5ELNS1_3repE0EEENS1_44radix_sort_block_sort_config_static_selectorELNS0_4arch9wavefront6targetE1EEEvSJ_
                                        ; -- End function
	.section	.AMDGPU.csdata,"",@progbits
; Kernel info:
; codeLenInByte = 0
; NumSgprs: 6
; NumVgprs: 0
; NumAgprs: 0
; TotalNumVgprs: 0
; ScratchSize: 0
; MemoryBound: 0
; FloatMode: 240
; IeeeMode: 1
; LDSByteSize: 0 bytes/workgroup (compile time only)
; SGPRBlocks: 0
; VGPRBlocks: 0
; NumSGPRsForWavesPerEU: 6
; NumVGPRsForWavesPerEU: 1
; AccumOffset: 4
; Occupancy: 8
; WaveLimiterHint : 0
; COMPUTE_PGM_RSRC2:SCRATCH_EN: 0
; COMPUTE_PGM_RSRC2:USER_SGPR: 2
; COMPUTE_PGM_RSRC2:TRAP_HANDLER: 0
; COMPUTE_PGM_RSRC2:TGID_X_EN: 1
; COMPUTE_PGM_RSRC2:TGID_Y_EN: 0
; COMPUTE_PGM_RSRC2:TGID_Z_EN: 0
; COMPUTE_PGM_RSRC2:TIDIG_COMP_CNT: 0
; COMPUTE_PGM_RSRC3_GFX90A:ACCUM_OFFSET: 0
; COMPUTE_PGM_RSRC3_GFX90A:TG_SPLIT: 0
	.section	.text._ZN7rocprim17ROCPRIM_400000_NS6detail17trampoline_kernelINS0_13kernel_configILj256ELj4ELj4294967295EEENS1_37radix_sort_block_sort_config_selectorIxNS0_10empty_typeEEEZNS1_21radix_sort_block_sortIS4_Lb0EN6thrust23THRUST_200600_302600_NS6detail15normal_iteratorINSA_10device_ptrIxEEEESF_PS6_SG_NS0_19identity_decomposerEEE10hipError_tT1_T2_T3_T4_jRjT5_jjP12ihipStream_tbEUlT_E_NS1_11comp_targetILNS1_3genE10ELNS1_11target_archE1200ELNS1_3gpuE4ELNS1_3repE0EEENS1_44radix_sort_block_sort_config_static_selectorELNS0_4arch9wavefront6targetE1EEEvSJ_,"axG",@progbits,_ZN7rocprim17ROCPRIM_400000_NS6detail17trampoline_kernelINS0_13kernel_configILj256ELj4ELj4294967295EEENS1_37radix_sort_block_sort_config_selectorIxNS0_10empty_typeEEEZNS1_21radix_sort_block_sortIS4_Lb0EN6thrust23THRUST_200600_302600_NS6detail15normal_iteratorINSA_10device_ptrIxEEEESF_PS6_SG_NS0_19identity_decomposerEEE10hipError_tT1_T2_T3_T4_jRjT5_jjP12ihipStream_tbEUlT_E_NS1_11comp_targetILNS1_3genE10ELNS1_11target_archE1200ELNS1_3gpuE4ELNS1_3repE0EEENS1_44radix_sort_block_sort_config_static_selectorELNS0_4arch9wavefront6targetE1EEEvSJ_,comdat
	.protected	_ZN7rocprim17ROCPRIM_400000_NS6detail17trampoline_kernelINS0_13kernel_configILj256ELj4ELj4294967295EEENS1_37radix_sort_block_sort_config_selectorIxNS0_10empty_typeEEEZNS1_21radix_sort_block_sortIS4_Lb0EN6thrust23THRUST_200600_302600_NS6detail15normal_iteratorINSA_10device_ptrIxEEEESF_PS6_SG_NS0_19identity_decomposerEEE10hipError_tT1_T2_T3_T4_jRjT5_jjP12ihipStream_tbEUlT_E_NS1_11comp_targetILNS1_3genE10ELNS1_11target_archE1200ELNS1_3gpuE4ELNS1_3repE0EEENS1_44radix_sort_block_sort_config_static_selectorELNS0_4arch9wavefront6targetE1EEEvSJ_ ; -- Begin function _ZN7rocprim17ROCPRIM_400000_NS6detail17trampoline_kernelINS0_13kernel_configILj256ELj4ELj4294967295EEENS1_37radix_sort_block_sort_config_selectorIxNS0_10empty_typeEEEZNS1_21radix_sort_block_sortIS4_Lb0EN6thrust23THRUST_200600_302600_NS6detail15normal_iteratorINSA_10device_ptrIxEEEESF_PS6_SG_NS0_19identity_decomposerEEE10hipError_tT1_T2_T3_T4_jRjT5_jjP12ihipStream_tbEUlT_E_NS1_11comp_targetILNS1_3genE10ELNS1_11target_archE1200ELNS1_3gpuE4ELNS1_3repE0EEENS1_44radix_sort_block_sort_config_static_selectorELNS0_4arch9wavefront6targetE1EEEvSJ_
	.globl	_ZN7rocprim17ROCPRIM_400000_NS6detail17trampoline_kernelINS0_13kernel_configILj256ELj4ELj4294967295EEENS1_37radix_sort_block_sort_config_selectorIxNS0_10empty_typeEEEZNS1_21radix_sort_block_sortIS4_Lb0EN6thrust23THRUST_200600_302600_NS6detail15normal_iteratorINSA_10device_ptrIxEEEESF_PS6_SG_NS0_19identity_decomposerEEE10hipError_tT1_T2_T3_T4_jRjT5_jjP12ihipStream_tbEUlT_E_NS1_11comp_targetILNS1_3genE10ELNS1_11target_archE1200ELNS1_3gpuE4ELNS1_3repE0EEENS1_44radix_sort_block_sort_config_static_selectorELNS0_4arch9wavefront6targetE1EEEvSJ_
	.p2align	8
	.type	_ZN7rocprim17ROCPRIM_400000_NS6detail17trampoline_kernelINS0_13kernel_configILj256ELj4ELj4294967295EEENS1_37radix_sort_block_sort_config_selectorIxNS0_10empty_typeEEEZNS1_21radix_sort_block_sortIS4_Lb0EN6thrust23THRUST_200600_302600_NS6detail15normal_iteratorINSA_10device_ptrIxEEEESF_PS6_SG_NS0_19identity_decomposerEEE10hipError_tT1_T2_T3_T4_jRjT5_jjP12ihipStream_tbEUlT_E_NS1_11comp_targetILNS1_3genE10ELNS1_11target_archE1200ELNS1_3gpuE4ELNS1_3repE0EEENS1_44radix_sort_block_sort_config_static_selectorELNS0_4arch9wavefront6targetE1EEEvSJ_,@function
_ZN7rocprim17ROCPRIM_400000_NS6detail17trampoline_kernelINS0_13kernel_configILj256ELj4ELj4294967295EEENS1_37radix_sort_block_sort_config_selectorIxNS0_10empty_typeEEEZNS1_21radix_sort_block_sortIS4_Lb0EN6thrust23THRUST_200600_302600_NS6detail15normal_iteratorINSA_10device_ptrIxEEEESF_PS6_SG_NS0_19identity_decomposerEEE10hipError_tT1_T2_T3_T4_jRjT5_jjP12ihipStream_tbEUlT_E_NS1_11comp_targetILNS1_3genE10ELNS1_11target_archE1200ELNS1_3gpuE4ELNS1_3repE0EEENS1_44radix_sort_block_sort_config_static_selectorELNS0_4arch9wavefront6targetE1EEEvSJ_: ; @_ZN7rocprim17ROCPRIM_400000_NS6detail17trampoline_kernelINS0_13kernel_configILj256ELj4ELj4294967295EEENS1_37radix_sort_block_sort_config_selectorIxNS0_10empty_typeEEEZNS1_21radix_sort_block_sortIS4_Lb0EN6thrust23THRUST_200600_302600_NS6detail15normal_iteratorINSA_10device_ptrIxEEEESF_PS6_SG_NS0_19identity_decomposerEEE10hipError_tT1_T2_T3_T4_jRjT5_jjP12ihipStream_tbEUlT_E_NS1_11comp_targetILNS1_3genE10ELNS1_11target_archE1200ELNS1_3gpuE4ELNS1_3repE0EEENS1_44radix_sort_block_sort_config_static_selectorELNS0_4arch9wavefront6targetE1EEEvSJ_
; %bb.0:
	.section	.rodata,"a",@progbits
	.p2align	6, 0x0
	.amdhsa_kernel _ZN7rocprim17ROCPRIM_400000_NS6detail17trampoline_kernelINS0_13kernel_configILj256ELj4ELj4294967295EEENS1_37radix_sort_block_sort_config_selectorIxNS0_10empty_typeEEEZNS1_21radix_sort_block_sortIS4_Lb0EN6thrust23THRUST_200600_302600_NS6detail15normal_iteratorINSA_10device_ptrIxEEEESF_PS6_SG_NS0_19identity_decomposerEEE10hipError_tT1_T2_T3_T4_jRjT5_jjP12ihipStream_tbEUlT_E_NS1_11comp_targetILNS1_3genE10ELNS1_11target_archE1200ELNS1_3gpuE4ELNS1_3repE0EEENS1_44radix_sort_block_sort_config_static_selectorELNS0_4arch9wavefront6targetE1EEEvSJ_
		.amdhsa_group_segment_fixed_size 0
		.amdhsa_private_segment_fixed_size 0
		.amdhsa_kernarg_size 48
		.amdhsa_user_sgpr_count 2
		.amdhsa_user_sgpr_dispatch_ptr 0
		.amdhsa_user_sgpr_queue_ptr 0
		.amdhsa_user_sgpr_kernarg_segment_ptr 1
		.amdhsa_user_sgpr_dispatch_id 0
		.amdhsa_user_sgpr_kernarg_preload_length 0
		.amdhsa_user_sgpr_kernarg_preload_offset 0
		.amdhsa_user_sgpr_private_segment_size 0
		.amdhsa_uses_dynamic_stack 0
		.amdhsa_enable_private_segment 0
		.amdhsa_system_sgpr_workgroup_id_x 1
		.amdhsa_system_sgpr_workgroup_id_y 0
		.amdhsa_system_sgpr_workgroup_id_z 0
		.amdhsa_system_sgpr_workgroup_info 0
		.amdhsa_system_vgpr_workitem_id 0
		.amdhsa_next_free_vgpr 1
		.amdhsa_next_free_sgpr 0
		.amdhsa_accum_offset 4
		.amdhsa_reserve_vcc 0
		.amdhsa_float_round_mode_32 0
		.amdhsa_float_round_mode_16_64 0
		.amdhsa_float_denorm_mode_32 3
		.amdhsa_float_denorm_mode_16_64 3
		.amdhsa_dx10_clamp 1
		.amdhsa_ieee_mode 1
		.amdhsa_fp16_overflow 0
		.amdhsa_tg_split 0
		.amdhsa_exception_fp_ieee_invalid_op 0
		.amdhsa_exception_fp_denorm_src 0
		.amdhsa_exception_fp_ieee_div_zero 0
		.amdhsa_exception_fp_ieee_overflow 0
		.amdhsa_exception_fp_ieee_underflow 0
		.amdhsa_exception_fp_ieee_inexact 0
		.amdhsa_exception_int_div_zero 0
	.end_amdhsa_kernel
	.section	.text._ZN7rocprim17ROCPRIM_400000_NS6detail17trampoline_kernelINS0_13kernel_configILj256ELj4ELj4294967295EEENS1_37radix_sort_block_sort_config_selectorIxNS0_10empty_typeEEEZNS1_21radix_sort_block_sortIS4_Lb0EN6thrust23THRUST_200600_302600_NS6detail15normal_iteratorINSA_10device_ptrIxEEEESF_PS6_SG_NS0_19identity_decomposerEEE10hipError_tT1_T2_T3_T4_jRjT5_jjP12ihipStream_tbEUlT_E_NS1_11comp_targetILNS1_3genE10ELNS1_11target_archE1200ELNS1_3gpuE4ELNS1_3repE0EEENS1_44radix_sort_block_sort_config_static_selectorELNS0_4arch9wavefront6targetE1EEEvSJ_,"axG",@progbits,_ZN7rocprim17ROCPRIM_400000_NS6detail17trampoline_kernelINS0_13kernel_configILj256ELj4ELj4294967295EEENS1_37radix_sort_block_sort_config_selectorIxNS0_10empty_typeEEEZNS1_21radix_sort_block_sortIS4_Lb0EN6thrust23THRUST_200600_302600_NS6detail15normal_iteratorINSA_10device_ptrIxEEEESF_PS6_SG_NS0_19identity_decomposerEEE10hipError_tT1_T2_T3_T4_jRjT5_jjP12ihipStream_tbEUlT_E_NS1_11comp_targetILNS1_3genE10ELNS1_11target_archE1200ELNS1_3gpuE4ELNS1_3repE0EEENS1_44radix_sort_block_sort_config_static_selectorELNS0_4arch9wavefront6targetE1EEEvSJ_,comdat
.Lfunc_end1398:
	.size	_ZN7rocprim17ROCPRIM_400000_NS6detail17trampoline_kernelINS0_13kernel_configILj256ELj4ELj4294967295EEENS1_37radix_sort_block_sort_config_selectorIxNS0_10empty_typeEEEZNS1_21radix_sort_block_sortIS4_Lb0EN6thrust23THRUST_200600_302600_NS6detail15normal_iteratorINSA_10device_ptrIxEEEESF_PS6_SG_NS0_19identity_decomposerEEE10hipError_tT1_T2_T3_T4_jRjT5_jjP12ihipStream_tbEUlT_E_NS1_11comp_targetILNS1_3genE10ELNS1_11target_archE1200ELNS1_3gpuE4ELNS1_3repE0EEENS1_44radix_sort_block_sort_config_static_selectorELNS0_4arch9wavefront6targetE1EEEvSJ_, .Lfunc_end1398-_ZN7rocprim17ROCPRIM_400000_NS6detail17trampoline_kernelINS0_13kernel_configILj256ELj4ELj4294967295EEENS1_37radix_sort_block_sort_config_selectorIxNS0_10empty_typeEEEZNS1_21radix_sort_block_sortIS4_Lb0EN6thrust23THRUST_200600_302600_NS6detail15normal_iteratorINSA_10device_ptrIxEEEESF_PS6_SG_NS0_19identity_decomposerEEE10hipError_tT1_T2_T3_T4_jRjT5_jjP12ihipStream_tbEUlT_E_NS1_11comp_targetILNS1_3genE10ELNS1_11target_archE1200ELNS1_3gpuE4ELNS1_3repE0EEENS1_44radix_sort_block_sort_config_static_selectorELNS0_4arch9wavefront6targetE1EEEvSJ_
                                        ; -- End function
	.section	.AMDGPU.csdata,"",@progbits
; Kernel info:
; codeLenInByte = 0
; NumSgprs: 6
; NumVgprs: 0
; NumAgprs: 0
; TotalNumVgprs: 0
; ScratchSize: 0
; MemoryBound: 0
; FloatMode: 240
; IeeeMode: 1
; LDSByteSize: 0 bytes/workgroup (compile time only)
; SGPRBlocks: 0
; VGPRBlocks: 0
; NumSGPRsForWavesPerEU: 6
; NumVGPRsForWavesPerEU: 1
; AccumOffset: 4
; Occupancy: 8
; WaveLimiterHint : 0
; COMPUTE_PGM_RSRC2:SCRATCH_EN: 0
; COMPUTE_PGM_RSRC2:USER_SGPR: 2
; COMPUTE_PGM_RSRC2:TRAP_HANDLER: 0
; COMPUTE_PGM_RSRC2:TGID_X_EN: 1
; COMPUTE_PGM_RSRC2:TGID_Y_EN: 0
; COMPUTE_PGM_RSRC2:TGID_Z_EN: 0
; COMPUTE_PGM_RSRC2:TIDIG_COMP_CNT: 0
; COMPUTE_PGM_RSRC3_GFX90A:ACCUM_OFFSET: 0
; COMPUTE_PGM_RSRC3_GFX90A:TG_SPLIT: 0
	.section	.text._ZN7rocprim17ROCPRIM_400000_NS6detail17trampoline_kernelINS0_13kernel_configILj256ELj4ELj4294967295EEENS1_37radix_sort_block_sort_config_selectorIxNS0_10empty_typeEEEZNS1_21radix_sort_block_sortIS4_Lb0EN6thrust23THRUST_200600_302600_NS6detail15normal_iteratorINSA_10device_ptrIxEEEESF_PS6_SG_NS0_19identity_decomposerEEE10hipError_tT1_T2_T3_T4_jRjT5_jjP12ihipStream_tbEUlT_E_NS1_11comp_targetILNS1_3genE9ELNS1_11target_archE1100ELNS1_3gpuE3ELNS1_3repE0EEENS1_44radix_sort_block_sort_config_static_selectorELNS0_4arch9wavefront6targetE1EEEvSJ_,"axG",@progbits,_ZN7rocprim17ROCPRIM_400000_NS6detail17trampoline_kernelINS0_13kernel_configILj256ELj4ELj4294967295EEENS1_37radix_sort_block_sort_config_selectorIxNS0_10empty_typeEEEZNS1_21radix_sort_block_sortIS4_Lb0EN6thrust23THRUST_200600_302600_NS6detail15normal_iteratorINSA_10device_ptrIxEEEESF_PS6_SG_NS0_19identity_decomposerEEE10hipError_tT1_T2_T3_T4_jRjT5_jjP12ihipStream_tbEUlT_E_NS1_11comp_targetILNS1_3genE9ELNS1_11target_archE1100ELNS1_3gpuE3ELNS1_3repE0EEENS1_44radix_sort_block_sort_config_static_selectorELNS0_4arch9wavefront6targetE1EEEvSJ_,comdat
	.protected	_ZN7rocprim17ROCPRIM_400000_NS6detail17trampoline_kernelINS0_13kernel_configILj256ELj4ELj4294967295EEENS1_37radix_sort_block_sort_config_selectorIxNS0_10empty_typeEEEZNS1_21radix_sort_block_sortIS4_Lb0EN6thrust23THRUST_200600_302600_NS6detail15normal_iteratorINSA_10device_ptrIxEEEESF_PS6_SG_NS0_19identity_decomposerEEE10hipError_tT1_T2_T3_T4_jRjT5_jjP12ihipStream_tbEUlT_E_NS1_11comp_targetILNS1_3genE9ELNS1_11target_archE1100ELNS1_3gpuE3ELNS1_3repE0EEENS1_44radix_sort_block_sort_config_static_selectorELNS0_4arch9wavefront6targetE1EEEvSJ_ ; -- Begin function _ZN7rocprim17ROCPRIM_400000_NS6detail17trampoline_kernelINS0_13kernel_configILj256ELj4ELj4294967295EEENS1_37radix_sort_block_sort_config_selectorIxNS0_10empty_typeEEEZNS1_21radix_sort_block_sortIS4_Lb0EN6thrust23THRUST_200600_302600_NS6detail15normal_iteratorINSA_10device_ptrIxEEEESF_PS6_SG_NS0_19identity_decomposerEEE10hipError_tT1_T2_T3_T4_jRjT5_jjP12ihipStream_tbEUlT_E_NS1_11comp_targetILNS1_3genE9ELNS1_11target_archE1100ELNS1_3gpuE3ELNS1_3repE0EEENS1_44radix_sort_block_sort_config_static_selectorELNS0_4arch9wavefront6targetE1EEEvSJ_
	.globl	_ZN7rocprim17ROCPRIM_400000_NS6detail17trampoline_kernelINS0_13kernel_configILj256ELj4ELj4294967295EEENS1_37radix_sort_block_sort_config_selectorIxNS0_10empty_typeEEEZNS1_21radix_sort_block_sortIS4_Lb0EN6thrust23THRUST_200600_302600_NS6detail15normal_iteratorINSA_10device_ptrIxEEEESF_PS6_SG_NS0_19identity_decomposerEEE10hipError_tT1_T2_T3_T4_jRjT5_jjP12ihipStream_tbEUlT_E_NS1_11comp_targetILNS1_3genE9ELNS1_11target_archE1100ELNS1_3gpuE3ELNS1_3repE0EEENS1_44radix_sort_block_sort_config_static_selectorELNS0_4arch9wavefront6targetE1EEEvSJ_
	.p2align	8
	.type	_ZN7rocprim17ROCPRIM_400000_NS6detail17trampoline_kernelINS0_13kernel_configILj256ELj4ELj4294967295EEENS1_37radix_sort_block_sort_config_selectorIxNS0_10empty_typeEEEZNS1_21radix_sort_block_sortIS4_Lb0EN6thrust23THRUST_200600_302600_NS6detail15normal_iteratorINSA_10device_ptrIxEEEESF_PS6_SG_NS0_19identity_decomposerEEE10hipError_tT1_T2_T3_T4_jRjT5_jjP12ihipStream_tbEUlT_E_NS1_11comp_targetILNS1_3genE9ELNS1_11target_archE1100ELNS1_3gpuE3ELNS1_3repE0EEENS1_44radix_sort_block_sort_config_static_selectorELNS0_4arch9wavefront6targetE1EEEvSJ_,@function
_ZN7rocprim17ROCPRIM_400000_NS6detail17trampoline_kernelINS0_13kernel_configILj256ELj4ELj4294967295EEENS1_37radix_sort_block_sort_config_selectorIxNS0_10empty_typeEEEZNS1_21radix_sort_block_sortIS4_Lb0EN6thrust23THRUST_200600_302600_NS6detail15normal_iteratorINSA_10device_ptrIxEEEESF_PS6_SG_NS0_19identity_decomposerEEE10hipError_tT1_T2_T3_T4_jRjT5_jjP12ihipStream_tbEUlT_E_NS1_11comp_targetILNS1_3genE9ELNS1_11target_archE1100ELNS1_3gpuE3ELNS1_3repE0EEENS1_44radix_sort_block_sort_config_static_selectorELNS0_4arch9wavefront6targetE1EEEvSJ_: ; @_ZN7rocprim17ROCPRIM_400000_NS6detail17trampoline_kernelINS0_13kernel_configILj256ELj4ELj4294967295EEENS1_37radix_sort_block_sort_config_selectorIxNS0_10empty_typeEEEZNS1_21radix_sort_block_sortIS4_Lb0EN6thrust23THRUST_200600_302600_NS6detail15normal_iteratorINSA_10device_ptrIxEEEESF_PS6_SG_NS0_19identity_decomposerEEE10hipError_tT1_T2_T3_T4_jRjT5_jjP12ihipStream_tbEUlT_E_NS1_11comp_targetILNS1_3genE9ELNS1_11target_archE1100ELNS1_3gpuE3ELNS1_3repE0EEENS1_44radix_sort_block_sort_config_static_selectorELNS0_4arch9wavefront6targetE1EEEvSJ_
; %bb.0:
	.section	.rodata,"a",@progbits
	.p2align	6, 0x0
	.amdhsa_kernel _ZN7rocprim17ROCPRIM_400000_NS6detail17trampoline_kernelINS0_13kernel_configILj256ELj4ELj4294967295EEENS1_37radix_sort_block_sort_config_selectorIxNS0_10empty_typeEEEZNS1_21radix_sort_block_sortIS4_Lb0EN6thrust23THRUST_200600_302600_NS6detail15normal_iteratorINSA_10device_ptrIxEEEESF_PS6_SG_NS0_19identity_decomposerEEE10hipError_tT1_T2_T3_T4_jRjT5_jjP12ihipStream_tbEUlT_E_NS1_11comp_targetILNS1_3genE9ELNS1_11target_archE1100ELNS1_3gpuE3ELNS1_3repE0EEENS1_44radix_sort_block_sort_config_static_selectorELNS0_4arch9wavefront6targetE1EEEvSJ_
		.amdhsa_group_segment_fixed_size 0
		.amdhsa_private_segment_fixed_size 0
		.amdhsa_kernarg_size 48
		.amdhsa_user_sgpr_count 2
		.amdhsa_user_sgpr_dispatch_ptr 0
		.amdhsa_user_sgpr_queue_ptr 0
		.amdhsa_user_sgpr_kernarg_segment_ptr 1
		.amdhsa_user_sgpr_dispatch_id 0
		.amdhsa_user_sgpr_kernarg_preload_length 0
		.amdhsa_user_sgpr_kernarg_preload_offset 0
		.amdhsa_user_sgpr_private_segment_size 0
		.amdhsa_uses_dynamic_stack 0
		.amdhsa_enable_private_segment 0
		.amdhsa_system_sgpr_workgroup_id_x 1
		.amdhsa_system_sgpr_workgroup_id_y 0
		.amdhsa_system_sgpr_workgroup_id_z 0
		.amdhsa_system_sgpr_workgroup_info 0
		.amdhsa_system_vgpr_workitem_id 0
		.amdhsa_next_free_vgpr 1
		.amdhsa_next_free_sgpr 0
		.amdhsa_accum_offset 4
		.amdhsa_reserve_vcc 0
		.amdhsa_float_round_mode_32 0
		.amdhsa_float_round_mode_16_64 0
		.amdhsa_float_denorm_mode_32 3
		.amdhsa_float_denorm_mode_16_64 3
		.amdhsa_dx10_clamp 1
		.amdhsa_ieee_mode 1
		.amdhsa_fp16_overflow 0
		.amdhsa_tg_split 0
		.amdhsa_exception_fp_ieee_invalid_op 0
		.amdhsa_exception_fp_denorm_src 0
		.amdhsa_exception_fp_ieee_div_zero 0
		.amdhsa_exception_fp_ieee_overflow 0
		.amdhsa_exception_fp_ieee_underflow 0
		.amdhsa_exception_fp_ieee_inexact 0
		.amdhsa_exception_int_div_zero 0
	.end_amdhsa_kernel
	.section	.text._ZN7rocprim17ROCPRIM_400000_NS6detail17trampoline_kernelINS0_13kernel_configILj256ELj4ELj4294967295EEENS1_37radix_sort_block_sort_config_selectorIxNS0_10empty_typeEEEZNS1_21radix_sort_block_sortIS4_Lb0EN6thrust23THRUST_200600_302600_NS6detail15normal_iteratorINSA_10device_ptrIxEEEESF_PS6_SG_NS0_19identity_decomposerEEE10hipError_tT1_T2_T3_T4_jRjT5_jjP12ihipStream_tbEUlT_E_NS1_11comp_targetILNS1_3genE9ELNS1_11target_archE1100ELNS1_3gpuE3ELNS1_3repE0EEENS1_44radix_sort_block_sort_config_static_selectorELNS0_4arch9wavefront6targetE1EEEvSJ_,"axG",@progbits,_ZN7rocprim17ROCPRIM_400000_NS6detail17trampoline_kernelINS0_13kernel_configILj256ELj4ELj4294967295EEENS1_37radix_sort_block_sort_config_selectorIxNS0_10empty_typeEEEZNS1_21radix_sort_block_sortIS4_Lb0EN6thrust23THRUST_200600_302600_NS6detail15normal_iteratorINSA_10device_ptrIxEEEESF_PS6_SG_NS0_19identity_decomposerEEE10hipError_tT1_T2_T3_T4_jRjT5_jjP12ihipStream_tbEUlT_E_NS1_11comp_targetILNS1_3genE9ELNS1_11target_archE1100ELNS1_3gpuE3ELNS1_3repE0EEENS1_44radix_sort_block_sort_config_static_selectorELNS0_4arch9wavefront6targetE1EEEvSJ_,comdat
.Lfunc_end1399:
	.size	_ZN7rocprim17ROCPRIM_400000_NS6detail17trampoline_kernelINS0_13kernel_configILj256ELj4ELj4294967295EEENS1_37radix_sort_block_sort_config_selectorIxNS0_10empty_typeEEEZNS1_21radix_sort_block_sortIS4_Lb0EN6thrust23THRUST_200600_302600_NS6detail15normal_iteratorINSA_10device_ptrIxEEEESF_PS6_SG_NS0_19identity_decomposerEEE10hipError_tT1_T2_T3_T4_jRjT5_jjP12ihipStream_tbEUlT_E_NS1_11comp_targetILNS1_3genE9ELNS1_11target_archE1100ELNS1_3gpuE3ELNS1_3repE0EEENS1_44radix_sort_block_sort_config_static_selectorELNS0_4arch9wavefront6targetE1EEEvSJ_, .Lfunc_end1399-_ZN7rocprim17ROCPRIM_400000_NS6detail17trampoline_kernelINS0_13kernel_configILj256ELj4ELj4294967295EEENS1_37radix_sort_block_sort_config_selectorIxNS0_10empty_typeEEEZNS1_21radix_sort_block_sortIS4_Lb0EN6thrust23THRUST_200600_302600_NS6detail15normal_iteratorINSA_10device_ptrIxEEEESF_PS6_SG_NS0_19identity_decomposerEEE10hipError_tT1_T2_T3_T4_jRjT5_jjP12ihipStream_tbEUlT_E_NS1_11comp_targetILNS1_3genE9ELNS1_11target_archE1100ELNS1_3gpuE3ELNS1_3repE0EEENS1_44radix_sort_block_sort_config_static_selectorELNS0_4arch9wavefront6targetE1EEEvSJ_
                                        ; -- End function
	.section	.AMDGPU.csdata,"",@progbits
; Kernel info:
; codeLenInByte = 0
; NumSgprs: 6
; NumVgprs: 0
; NumAgprs: 0
; TotalNumVgprs: 0
; ScratchSize: 0
; MemoryBound: 0
; FloatMode: 240
; IeeeMode: 1
; LDSByteSize: 0 bytes/workgroup (compile time only)
; SGPRBlocks: 0
; VGPRBlocks: 0
; NumSGPRsForWavesPerEU: 6
; NumVGPRsForWavesPerEU: 1
; AccumOffset: 4
; Occupancy: 8
; WaveLimiterHint : 0
; COMPUTE_PGM_RSRC2:SCRATCH_EN: 0
; COMPUTE_PGM_RSRC2:USER_SGPR: 2
; COMPUTE_PGM_RSRC2:TRAP_HANDLER: 0
; COMPUTE_PGM_RSRC2:TGID_X_EN: 1
; COMPUTE_PGM_RSRC2:TGID_Y_EN: 0
; COMPUTE_PGM_RSRC2:TGID_Z_EN: 0
; COMPUTE_PGM_RSRC2:TIDIG_COMP_CNT: 0
; COMPUTE_PGM_RSRC3_GFX90A:ACCUM_OFFSET: 0
; COMPUTE_PGM_RSRC3_GFX90A:TG_SPLIT: 0
	.section	.text._ZN7rocprim17ROCPRIM_400000_NS6detail17trampoline_kernelINS0_13kernel_configILj256ELj4ELj4294967295EEENS1_37radix_sort_block_sort_config_selectorIxNS0_10empty_typeEEEZNS1_21radix_sort_block_sortIS4_Lb0EN6thrust23THRUST_200600_302600_NS6detail15normal_iteratorINSA_10device_ptrIxEEEESF_PS6_SG_NS0_19identity_decomposerEEE10hipError_tT1_T2_T3_T4_jRjT5_jjP12ihipStream_tbEUlT_E_NS1_11comp_targetILNS1_3genE8ELNS1_11target_archE1030ELNS1_3gpuE2ELNS1_3repE0EEENS1_44radix_sort_block_sort_config_static_selectorELNS0_4arch9wavefront6targetE1EEEvSJ_,"axG",@progbits,_ZN7rocprim17ROCPRIM_400000_NS6detail17trampoline_kernelINS0_13kernel_configILj256ELj4ELj4294967295EEENS1_37radix_sort_block_sort_config_selectorIxNS0_10empty_typeEEEZNS1_21radix_sort_block_sortIS4_Lb0EN6thrust23THRUST_200600_302600_NS6detail15normal_iteratorINSA_10device_ptrIxEEEESF_PS6_SG_NS0_19identity_decomposerEEE10hipError_tT1_T2_T3_T4_jRjT5_jjP12ihipStream_tbEUlT_E_NS1_11comp_targetILNS1_3genE8ELNS1_11target_archE1030ELNS1_3gpuE2ELNS1_3repE0EEENS1_44radix_sort_block_sort_config_static_selectorELNS0_4arch9wavefront6targetE1EEEvSJ_,comdat
	.protected	_ZN7rocprim17ROCPRIM_400000_NS6detail17trampoline_kernelINS0_13kernel_configILj256ELj4ELj4294967295EEENS1_37radix_sort_block_sort_config_selectorIxNS0_10empty_typeEEEZNS1_21radix_sort_block_sortIS4_Lb0EN6thrust23THRUST_200600_302600_NS6detail15normal_iteratorINSA_10device_ptrIxEEEESF_PS6_SG_NS0_19identity_decomposerEEE10hipError_tT1_T2_T3_T4_jRjT5_jjP12ihipStream_tbEUlT_E_NS1_11comp_targetILNS1_3genE8ELNS1_11target_archE1030ELNS1_3gpuE2ELNS1_3repE0EEENS1_44radix_sort_block_sort_config_static_selectorELNS0_4arch9wavefront6targetE1EEEvSJ_ ; -- Begin function _ZN7rocprim17ROCPRIM_400000_NS6detail17trampoline_kernelINS0_13kernel_configILj256ELj4ELj4294967295EEENS1_37radix_sort_block_sort_config_selectorIxNS0_10empty_typeEEEZNS1_21radix_sort_block_sortIS4_Lb0EN6thrust23THRUST_200600_302600_NS6detail15normal_iteratorINSA_10device_ptrIxEEEESF_PS6_SG_NS0_19identity_decomposerEEE10hipError_tT1_T2_T3_T4_jRjT5_jjP12ihipStream_tbEUlT_E_NS1_11comp_targetILNS1_3genE8ELNS1_11target_archE1030ELNS1_3gpuE2ELNS1_3repE0EEENS1_44radix_sort_block_sort_config_static_selectorELNS0_4arch9wavefront6targetE1EEEvSJ_
	.globl	_ZN7rocprim17ROCPRIM_400000_NS6detail17trampoline_kernelINS0_13kernel_configILj256ELj4ELj4294967295EEENS1_37radix_sort_block_sort_config_selectorIxNS0_10empty_typeEEEZNS1_21radix_sort_block_sortIS4_Lb0EN6thrust23THRUST_200600_302600_NS6detail15normal_iteratorINSA_10device_ptrIxEEEESF_PS6_SG_NS0_19identity_decomposerEEE10hipError_tT1_T2_T3_T4_jRjT5_jjP12ihipStream_tbEUlT_E_NS1_11comp_targetILNS1_3genE8ELNS1_11target_archE1030ELNS1_3gpuE2ELNS1_3repE0EEENS1_44radix_sort_block_sort_config_static_selectorELNS0_4arch9wavefront6targetE1EEEvSJ_
	.p2align	8
	.type	_ZN7rocprim17ROCPRIM_400000_NS6detail17trampoline_kernelINS0_13kernel_configILj256ELj4ELj4294967295EEENS1_37radix_sort_block_sort_config_selectorIxNS0_10empty_typeEEEZNS1_21radix_sort_block_sortIS4_Lb0EN6thrust23THRUST_200600_302600_NS6detail15normal_iteratorINSA_10device_ptrIxEEEESF_PS6_SG_NS0_19identity_decomposerEEE10hipError_tT1_T2_T3_T4_jRjT5_jjP12ihipStream_tbEUlT_E_NS1_11comp_targetILNS1_3genE8ELNS1_11target_archE1030ELNS1_3gpuE2ELNS1_3repE0EEENS1_44radix_sort_block_sort_config_static_selectorELNS0_4arch9wavefront6targetE1EEEvSJ_,@function
_ZN7rocprim17ROCPRIM_400000_NS6detail17trampoline_kernelINS0_13kernel_configILj256ELj4ELj4294967295EEENS1_37radix_sort_block_sort_config_selectorIxNS0_10empty_typeEEEZNS1_21radix_sort_block_sortIS4_Lb0EN6thrust23THRUST_200600_302600_NS6detail15normal_iteratorINSA_10device_ptrIxEEEESF_PS6_SG_NS0_19identity_decomposerEEE10hipError_tT1_T2_T3_T4_jRjT5_jjP12ihipStream_tbEUlT_E_NS1_11comp_targetILNS1_3genE8ELNS1_11target_archE1030ELNS1_3gpuE2ELNS1_3repE0EEENS1_44radix_sort_block_sort_config_static_selectorELNS0_4arch9wavefront6targetE1EEEvSJ_: ; @_ZN7rocprim17ROCPRIM_400000_NS6detail17trampoline_kernelINS0_13kernel_configILj256ELj4ELj4294967295EEENS1_37radix_sort_block_sort_config_selectorIxNS0_10empty_typeEEEZNS1_21radix_sort_block_sortIS4_Lb0EN6thrust23THRUST_200600_302600_NS6detail15normal_iteratorINSA_10device_ptrIxEEEESF_PS6_SG_NS0_19identity_decomposerEEE10hipError_tT1_T2_T3_T4_jRjT5_jjP12ihipStream_tbEUlT_E_NS1_11comp_targetILNS1_3genE8ELNS1_11target_archE1030ELNS1_3gpuE2ELNS1_3repE0EEENS1_44radix_sort_block_sort_config_static_selectorELNS0_4arch9wavefront6targetE1EEEvSJ_
; %bb.0:
	.section	.rodata,"a",@progbits
	.p2align	6, 0x0
	.amdhsa_kernel _ZN7rocprim17ROCPRIM_400000_NS6detail17trampoline_kernelINS0_13kernel_configILj256ELj4ELj4294967295EEENS1_37radix_sort_block_sort_config_selectorIxNS0_10empty_typeEEEZNS1_21radix_sort_block_sortIS4_Lb0EN6thrust23THRUST_200600_302600_NS6detail15normal_iteratorINSA_10device_ptrIxEEEESF_PS6_SG_NS0_19identity_decomposerEEE10hipError_tT1_T2_T3_T4_jRjT5_jjP12ihipStream_tbEUlT_E_NS1_11comp_targetILNS1_3genE8ELNS1_11target_archE1030ELNS1_3gpuE2ELNS1_3repE0EEENS1_44radix_sort_block_sort_config_static_selectorELNS0_4arch9wavefront6targetE1EEEvSJ_
		.amdhsa_group_segment_fixed_size 0
		.amdhsa_private_segment_fixed_size 0
		.amdhsa_kernarg_size 48
		.amdhsa_user_sgpr_count 2
		.amdhsa_user_sgpr_dispatch_ptr 0
		.amdhsa_user_sgpr_queue_ptr 0
		.amdhsa_user_sgpr_kernarg_segment_ptr 1
		.amdhsa_user_sgpr_dispatch_id 0
		.amdhsa_user_sgpr_kernarg_preload_length 0
		.amdhsa_user_sgpr_kernarg_preload_offset 0
		.amdhsa_user_sgpr_private_segment_size 0
		.amdhsa_uses_dynamic_stack 0
		.amdhsa_enable_private_segment 0
		.amdhsa_system_sgpr_workgroup_id_x 1
		.amdhsa_system_sgpr_workgroup_id_y 0
		.amdhsa_system_sgpr_workgroup_id_z 0
		.amdhsa_system_sgpr_workgroup_info 0
		.amdhsa_system_vgpr_workitem_id 0
		.amdhsa_next_free_vgpr 1
		.amdhsa_next_free_sgpr 0
		.amdhsa_accum_offset 4
		.amdhsa_reserve_vcc 0
		.amdhsa_float_round_mode_32 0
		.amdhsa_float_round_mode_16_64 0
		.amdhsa_float_denorm_mode_32 3
		.amdhsa_float_denorm_mode_16_64 3
		.amdhsa_dx10_clamp 1
		.amdhsa_ieee_mode 1
		.amdhsa_fp16_overflow 0
		.amdhsa_tg_split 0
		.amdhsa_exception_fp_ieee_invalid_op 0
		.amdhsa_exception_fp_denorm_src 0
		.amdhsa_exception_fp_ieee_div_zero 0
		.amdhsa_exception_fp_ieee_overflow 0
		.amdhsa_exception_fp_ieee_underflow 0
		.amdhsa_exception_fp_ieee_inexact 0
		.amdhsa_exception_int_div_zero 0
	.end_amdhsa_kernel
	.section	.text._ZN7rocprim17ROCPRIM_400000_NS6detail17trampoline_kernelINS0_13kernel_configILj256ELj4ELj4294967295EEENS1_37radix_sort_block_sort_config_selectorIxNS0_10empty_typeEEEZNS1_21radix_sort_block_sortIS4_Lb0EN6thrust23THRUST_200600_302600_NS6detail15normal_iteratorINSA_10device_ptrIxEEEESF_PS6_SG_NS0_19identity_decomposerEEE10hipError_tT1_T2_T3_T4_jRjT5_jjP12ihipStream_tbEUlT_E_NS1_11comp_targetILNS1_3genE8ELNS1_11target_archE1030ELNS1_3gpuE2ELNS1_3repE0EEENS1_44radix_sort_block_sort_config_static_selectorELNS0_4arch9wavefront6targetE1EEEvSJ_,"axG",@progbits,_ZN7rocprim17ROCPRIM_400000_NS6detail17trampoline_kernelINS0_13kernel_configILj256ELj4ELj4294967295EEENS1_37radix_sort_block_sort_config_selectorIxNS0_10empty_typeEEEZNS1_21radix_sort_block_sortIS4_Lb0EN6thrust23THRUST_200600_302600_NS6detail15normal_iteratorINSA_10device_ptrIxEEEESF_PS6_SG_NS0_19identity_decomposerEEE10hipError_tT1_T2_T3_T4_jRjT5_jjP12ihipStream_tbEUlT_E_NS1_11comp_targetILNS1_3genE8ELNS1_11target_archE1030ELNS1_3gpuE2ELNS1_3repE0EEENS1_44radix_sort_block_sort_config_static_selectorELNS0_4arch9wavefront6targetE1EEEvSJ_,comdat
.Lfunc_end1400:
	.size	_ZN7rocprim17ROCPRIM_400000_NS6detail17trampoline_kernelINS0_13kernel_configILj256ELj4ELj4294967295EEENS1_37radix_sort_block_sort_config_selectorIxNS0_10empty_typeEEEZNS1_21radix_sort_block_sortIS4_Lb0EN6thrust23THRUST_200600_302600_NS6detail15normal_iteratorINSA_10device_ptrIxEEEESF_PS6_SG_NS0_19identity_decomposerEEE10hipError_tT1_T2_T3_T4_jRjT5_jjP12ihipStream_tbEUlT_E_NS1_11comp_targetILNS1_3genE8ELNS1_11target_archE1030ELNS1_3gpuE2ELNS1_3repE0EEENS1_44radix_sort_block_sort_config_static_selectorELNS0_4arch9wavefront6targetE1EEEvSJ_, .Lfunc_end1400-_ZN7rocprim17ROCPRIM_400000_NS6detail17trampoline_kernelINS0_13kernel_configILj256ELj4ELj4294967295EEENS1_37radix_sort_block_sort_config_selectorIxNS0_10empty_typeEEEZNS1_21radix_sort_block_sortIS4_Lb0EN6thrust23THRUST_200600_302600_NS6detail15normal_iteratorINSA_10device_ptrIxEEEESF_PS6_SG_NS0_19identity_decomposerEEE10hipError_tT1_T2_T3_T4_jRjT5_jjP12ihipStream_tbEUlT_E_NS1_11comp_targetILNS1_3genE8ELNS1_11target_archE1030ELNS1_3gpuE2ELNS1_3repE0EEENS1_44radix_sort_block_sort_config_static_selectorELNS0_4arch9wavefront6targetE1EEEvSJ_
                                        ; -- End function
	.section	.AMDGPU.csdata,"",@progbits
; Kernel info:
; codeLenInByte = 0
; NumSgprs: 6
; NumVgprs: 0
; NumAgprs: 0
; TotalNumVgprs: 0
; ScratchSize: 0
; MemoryBound: 0
; FloatMode: 240
; IeeeMode: 1
; LDSByteSize: 0 bytes/workgroup (compile time only)
; SGPRBlocks: 0
; VGPRBlocks: 0
; NumSGPRsForWavesPerEU: 6
; NumVGPRsForWavesPerEU: 1
; AccumOffset: 4
; Occupancy: 8
; WaveLimiterHint : 0
; COMPUTE_PGM_RSRC2:SCRATCH_EN: 0
; COMPUTE_PGM_RSRC2:USER_SGPR: 2
; COMPUTE_PGM_RSRC2:TRAP_HANDLER: 0
; COMPUTE_PGM_RSRC2:TGID_X_EN: 1
; COMPUTE_PGM_RSRC2:TGID_Y_EN: 0
; COMPUTE_PGM_RSRC2:TGID_Z_EN: 0
; COMPUTE_PGM_RSRC2:TIDIG_COMP_CNT: 0
; COMPUTE_PGM_RSRC3_GFX90A:ACCUM_OFFSET: 0
; COMPUTE_PGM_RSRC3_GFX90A:TG_SPLIT: 0
	.section	.text._ZN7rocprim17ROCPRIM_400000_NS6detail44device_merge_sort_compile_time_verifier_archINS1_11comp_targetILNS1_3genE0ELNS1_11target_archE4294967295ELNS1_3gpuE0ELNS1_3repE0EEES8_NS1_28merge_sort_block_sort_configILj256ELj4ELNS0_20block_sort_algorithmE0EEENS0_14default_configENS1_37merge_sort_block_sort_config_selectorIxNS0_10empty_typeEEENS1_38merge_sort_block_merge_config_selectorIxSE_EEEEvv,"axG",@progbits,_ZN7rocprim17ROCPRIM_400000_NS6detail44device_merge_sort_compile_time_verifier_archINS1_11comp_targetILNS1_3genE0ELNS1_11target_archE4294967295ELNS1_3gpuE0ELNS1_3repE0EEES8_NS1_28merge_sort_block_sort_configILj256ELj4ELNS0_20block_sort_algorithmE0EEENS0_14default_configENS1_37merge_sort_block_sort_config_selectorIxNS0_10empty_typeEEENS1_38merge_sort_block_merge_config_selectorIxSE_EEEEvv,comdat
	.protected	_ZN7rocprim17ROCPRIM_400000_NS6detail44device_merge_sort_compile_time_verifier_archINS1_11comp_targetILNS1_3genE0ELNS1_11target_archE4294967295ELNS1_3gpuE0ELNS1_3repE0EEES8_NS1_28merge_sort_block_sort_configILj256ELj4ELNS0_20block_sort_algorithmE0EEENS0_14default_configENS1_37merge_sort_block_sort_config_selectorIxNS0_10empty_typeEEENS1_38merge_sort_block_merge_config_selectorIxSE_EEEEvv ; -- Begin function _ZN7rocprim17ROCPRIM_400000_NS6detail44device_merge_sort_compile_time_verifier_archINS1_11comp_targetILNS1_3genE0ELNS1_11target_archE4294967295ELNS1_3gpuE0ELNS1_3repE0EEES8_NS1_28merge_sort_block_sort_configILj256ELj4ELNS0_20block_sort_algorithmE0EEENS0_14default_configENS1_37merge_sort_block_sort_config_selectorIxNS0_10empty_typeEEENS1_38merge_sort_block_merge_config_selectorIxSE_EEEEvv
	.globl	_ZN7rocprim17ROCPRIM_400000_NS6detail44device_merge_sort_compile_time_verifier_archINS1_11comp_targetILNS1_3genE0ELNS1_11target_archE4294967295ELNS1_3gpuE0ELNS1_3repE0EEES8_NS1_28merge_sort_block_sort_configILj256ELj4ELNS0_20block_sort_algorithmE0EEENS0_14default_configENS1_37merge_sort_block_sort_config_selectorIxNS0_10empty_typeEEENS1_38merge_sort_block_merge_config_selectorIxSE_EEEEvv
	.p2align	8
	.type	_ZN7rocprim17ROCPRIM_400000_NS6detail44device_merge_sort_compile_time_verifier_archINS1_11comp_targetILNS1_3genE0ELNS1_11target_archE4294967295ELNS1_3gpuE0ELNS1_3repE0EEES8_NS1_28merge_sort_block_sort_configILj256ELj4ELNS0_20block_sort_algorithmE0EEENS0_14default_configENS1_37merge_sort_block_sort_config_selectorIxNS0_10empty_typeEEENS1_38merge_sort_block_merge_config_selectorIxSE_EEEEvv,@function
_ZN7rocprim17ROCPRIM_400000_NS6detail44device_merge_sort_compile_time_verifier_archINS1_11comp_targetILNS1_3genE0ELNS1_11target_archE4294967295ELNS1_3gpuE0ELNS1_3repE0EEES8_NS1_28merge_sort_block_sort_configILj256ELj4ELNS0_20block_sort_algorithmE0EEENS0_14default_configENS1_37merge_sort_block_sort_config_selectorIxNS0_10empty_typeEEENS1_38merge_sort_block_merge_config_selectorIxSE_EEEEvv: ; @_ZN7rocprim17ROCPRIM_400000_NS6detail44device_merge_sort_compile_time_verifier_archINS1_11comp_targetILNS1_3genE0ELNS1_11target_archE4294967295ELNS1_3gpuE0ELNS1_3repE0EEES8_NS1_28merge_sort_block_sort_configILj256ELj4ELNS0_20block_sort_algorithmE0EEENS0_14default_configENS1_37merge_sort_block_sort_config_selectorIxNS0_10empty_typeEEENS1_38merge_sort_block_merge_config_selectorIxSE_EEEEvv
; %bb.0:
	s_endpgm
	.section	.rodata,"a",@progbits
	.p2align	6, 0x0
	.amdhsa_kernel _ZN7rocprim17ROCPRIM_400000_NS6detail44device_merge_sort_compile_time_verifier_archINS1_11comp_targetILNS1_3genE0ELNS1_11target_archE4294967295ELNS1_3gpuE0ELNS1_3repE0EEES8_NS1_28merge_sort_block_sort_configILj256ELj4ELNS0_20block_sort_algorithmE0EEENS0_14default_configENS1_37merge_sort_block_sort_config_selectorIxNS0_10empty_typeEEENS1_38merge_sort_block_merge_config_selectorIxSE_EEEEvv
		.amdhsa_group_segment_fixed_size 0
		.amdhsa_private_segment_fixed_size 0
		.amdhsa_kernarg_size 0
		.amdhsa_user_sgpr_count 0
		.amdhsa_user_sgpr_dispatch_ptr 0
		.amdhsa_user_sgpr_queue_ptr 0
		.amdhsa_user_sgpr_kernarg_segment_ptr 0
		.amdhsa_user_sgpr_dispatch_id 0
		.amdhsa_user_sgpr_kernarg_preload_length 0
		.amdhsa_user_sgpr_kernarg_preload_offset 0
		.amdhsa_user_sgpr_private_segment_size 0
		.amdhsa_uses_dynamic_stack 0
		.amdhsa_enable_private_segment 0
		.amdhsa_system_sgpr_workgroup_id_x 1
		.amdhsa_system_sgpr_workgroup_id_y 0
		.amdhsa_system_sgpr_workgroup_id_z 0
		.amdhsa_system_sgpr_workgroup_info 0
		.amdhsa_system_vgpr_workitem_id 0
		.amdhsa_next_free_vgpr 1
		.amdhsa_next_free_sgpr 0
		.amdhsa_accum_offset 4
		.amdhsa_reserve_vcc 0
		.amdhsa_float_round_mode_32 0
		.amdhsa_float_round_mode_16_64 0
		.amdhsa_float_denorm_mode_32 3
		.amdhsa_float_denorm_mode_16_64 3
		.amdhsa_dx10_clamp 1
		.amdhsa_ieee_mode 1
		.amdhsa_fp16_overflow 0
		.amdhsa_tg_split 0
		.amdhsa_exception_fp_ieee_invalid_op 0
		.amdhsa_exception_fp_denorm_src 0
		.amdhsa_exception_fp_ieee_div_zero 0
		.amdhsa_exception_fp_ieee_overflow 0
		.amdhsa_exception_fp_ieee_underflow 0
		.amdhsa_exception_fp_ieee_inexact 0
		.amdhsa_exception_int_div_zero 0
	.end_amdhsa_kernel
	.section	.text._ZN7rocprim17ROCPRIM_400000_NS6detail44device_merge_sort_compile_time_verifier_archINS1_11comp_targetILNS1_3genE0ELNS1_11target_archE4294967295ELNS1_3gpuE0ELNS1_3repE0EEES8_NS1_28merge_sort_block_sort_configILj256ELj4ELNS0_20block_sort_algorithmE0EEENS0_14default_configENS1_37merge_sort_block_sort_config_selectorIxNS0_10empty_typeEEENS1_38merge_sort_block_merge_config_selectorIxSE_EEEEvv,"axG",@progbits,_ZN7rocprim17ROCPRIM_400000_NS6detail44device_merge_sort_compile_time_verifier_archINS1_11comp_targetILNS1_3genE0ELNS1_11target_archE4294967295ELNS1_3gpuE0ELNS1_3repE0EEES8_NS1_28merge_sort_block_sort_configILj256ELj4ELNS0_20block_sort_algorithmE0EEENS0_14default_configENS1_37merge_sort_block_sort_config_selectorIxNS0_10empty_typeEEENS1_38merge_sort_block_merge_config_selectorIxSE_EEEEvv,comdat
.Lfunc_end1401:
	.size	_ZN7rocprim17ROCPRIM_400000_NS6detail44device_merge_sort_compile_time_verifier_archINS1_11comp_targetILNS1_3genE0ELNS1_11target_archE4294967295ELNS1_3gpuE0ELNS1_3repE0EEES8_NS1_28merge_sort_block_sort_configILj256ELj4ELNS0_20block_sort_algorithmE0EEENS0_14default_configENS1_37merge_sort_block_sort_config_selectorIxNS0_10empty_typeEEENS1_38merge_sort_block_merge_config_selectorIxSE_EEEEvv, .Lfunc_end1401-_ZN7rocprim17ROCPRIM_400000_NS6detail44device_merge_sort_compile_time_verifier_archINS1_11comp_targetILNS1_3genE0ELNS1_11target_archE4294967295ELNS1_3gpuE0ELNS1_3repE0EEES8_NS1_28merge_sort_block_sort_configILj256ELj4ELNS0_20block_sort_algorithmE0EEENS0_14default_configENS1_37merge_sort_block_sort_config_selectorIxNS0_10empty_typeEEENS1_38merge_sort_block_merge_config_selectorIxSE_EEEEvv
                                        ; -- End function
	.section	.AMDGPU.csdata,"",@progbits
; Kernel info:
; codeLenInByte = 4
; NumSgprs: 6
; NumVgprs: 0
; NumAgprs: 0
; TotalNumVgprs: 0
; ScratchSize: 0
; MemoryBound: 0
; FloatMode: 240
; IeeeMode: 1
; LDSByteSize: 0 bytes/workgroup (compile time only)
; SGPRBlocks: 0
; VGPRBlocks: 0
; NumSGPRsForWavesPerEU: 6
; NumVGPRsForWavesPerEU: 1
; AccumOffset: 4
; Occupancy: 8
; WaveLimiterHint : 0
; COMPUTE_PGM_RSRC2:SCRATCH_EN: 0
; COMPUTE_PGM_RSRC2:USER_SGPR: 0
; COMPUTE_PGM_RSRC2:TRAP_HANDLER: 0
; COMPUTE_PGM_RSRC2:TGID_X_EN: 1
; COMPUTE_PGM_RSRC2:TGID_Y_EN: 0
; COMPUTE_PGM_RSRC2:TGID_Z_EN: 0
; COMPUTE_PGM_RSRC2:TIDIG_COMP_CNT: 0
; COMPUTE_PGM_RSRC3_GFX90A:ACCUM_OFFSET: 0
; COMPUTE_PGM_RSRC3_GFX90A:TG_SPLIT: 0
	.section	.text._ZN7rocprim17ROCPRIM_400000_NS6detail44device_merge_sort_compile_time_verifier_archINS1_11comp_targetILNS1_3genE5ELNS1_11target_archE942ELNS1_3gpuE9ELNS1_3repE0EEES8_NS1_28merge_sort_block_sort_configILj256ELj4ELNS0_20block_sort_algorithmE0EEENS0_14default_configENS1_37merge_sort_block_sort_config_selectorIxNS0_10empty_typeEEENS1_38merge_sort_block_merge_config_selectorIxSE_EEEEvv,"axG",@progbits,_ZN7rocprim17ROCPRIM_400000_NS6detail44device_merge_sort_compile_time_verifier_archINS1_11comp_targetILNS1_3genE5ELNS1_11target_archE942ELNS1_3gpuE9ELNS1_3repE0EEES8_NS1_28merge_sort_block_sort_configILj256ELj4ELNS0_20block_sort_algorithmE0EEENS0_14default_configENS1_37merge_sort_block_sort_config_selectorIxNS0_10empty_typeEEENS1_38merge_sort_block_merge_config_selectorIxSE_EEEEvv,comdat
	.protected	_ZN7rocprim17ROCPRIM_400000_NS6detail44device_merge_sort_compile_time_verifier_archINS1_11comp_targetILNS1_3genE5ELNS1_11target_archE942ELNS1_3gpuE9ELNS1_3repE0EEES8_NS1_28merge_sort_block_sort_configILj256ELj4ELNS0_20block_sort_algorithmE0EEENS0_14default_configENS1_37merge_sort_block_sort_config_selectorIxNS0_10empty_typeEEENS1_38merge_sort_block_merge_config_selectorIxSE_EEEEvv ; -- Begin function _ZN7rocprim17ROCPRIM_400000_NS6detail44device_merge_sort_compile_time_verifier_archINS1_11comp_targetILNS1_3genE5ELNS1_11target_archE942ELNS1_3gpuE9ELNS1_3repE0EEES8_NS1_28merge_sort_block_sort_configILj256ELj4ELNS0_20block_sort_algorithmE0EEENS0_14default_configENS1_37merge_sort_block_sort_config_selectorIxNS0_10empty_typeEEENS1_38merge_sort_block_merge_config_selectorIxSE_EEEEvv
	.globl	_ZN7rocprim17ROCPRIM_400000_NS6detail44device_merge_sort_compile_time_verifier_archINS1_11comp_targetILNS1_3genE5ELNS1_11target_archE942ELNS1_3gpuE9ELNS1_3repE0EEES8_NS1_28merge_sort_block_sort_configILj256ELj4ELNS0_20block_sort_algorithmE0EEENS0_14default_configENS1_37merge_sort_block_sort_config_selectorIxNS0_10empty_typeEEENS1_38merge_sort_block_merge_config_selectorIxSE_EEEEvv
	.p2align	8
	.type	_ZN7rocprim17ROCPRIM_400000_NS6detail44device_merge_sort_compile_time_verifier_archINS1_11comp_targetILNS1_3genE5ELNS1_11target_archE942ELNS1_3gpuE9ELNS1_3repE0EEES8_NS1_28merge_sort_block_sort_configILj256ELj4ELNS0_20block_sort_algorithmE0EEENS0_14default_configENS1_37merge_sort_block_sort_config_selectorIxNS0_10empty_typeEEENS1_38merge_sort_block_merge_config_selectorIxSE_EEEEvv,@function
_ZN7rocprim17ROCPRIM_400000_NS6detail44device_merge_sort_compile_time_verifier_archINS1_11comp_targetILNS1_3genE5ELNS1_11target_archE942ELNS1_3gpuE9ELNS1_3repE0EEES8_NS1_28merge_sort_block_sort_configILj256ELj4ELNS0_20block_sort_algorithmE0EEENS0_14default_configENS1_37merge_sort_block_sort_config_selectorIxNS0_10empty_typeEEENS1_38merge_sort_block_merge_config_selectorIxSE_EEEEvv: ; @_ZN7rocprim17ROCPRIM_400000_NS6detail44device_merge_sort_compile_time_verifier_archINS1_11comp_targetILNS1_3genE5ELNS1_11target_archE942ELNS1_3gpuE9ELNS1_3repE0EEES8_NS1_28merge_sort_block_sort_configILj256ELj4ELNS0_20block_sort_algorithmE0EEENS0_14default_configENS1_37merge_sort_block_sort_config_selectorIxNS0_10empty_typeEEENS1_38merge_sort_block_merge_config_selectorIxSE_EEEEvv
; %bb.0:
	s_endpgm
	.section	.rodata,"a",@progbits
	.p2align	6, 0x0
	.amdhsa_kernel _ZN7rocprim17ROCPRIM_400000_NS6detail44device_merge_sort_compile_time_verifier_archINS1_11comp_targetILNS1_3genE5ELNS1_11target_archE942ELNS1_3gpuE9ELNS1_3repE0EEES8_NS1_28merge_sort_block_sort_configILj256ELj4ELNS0_20block_sort_algorithmE0EEENS0_14default_configENS1_37merge_sort_block_sort_config_selectorIxNS0_10empty_typeEEENS1_38merge_sort_block_merge_config_selectorIxSE_EEEEvv
		.amdhsa_group_segment_fixed_size 0
		.amdhsa_private_segment_fixed_size 0
		.amdhsa_kernarg_size 0
		.amdhsa_user_sgpr_count 0
		.amdhsa_user_sgpr_dispatch_ptr 0
		.amdhsa_user_sgpr_queue_ptr 0
		.amdhsa_user_sgpr_kernarg_segment_ptr 0
		.amdhsa_user_sgpr_dispatch_id 0
		.amdhsa_user_sgpr_kernarg_preload_length 0
		.amdhsa_user_sgpr_kernarg_preload_offset 0
		.amdhsa_user_sgpr_private_segment_size 0
		.amdhsa_uses_dynamic_stack 0
		.amdhsa_enable_private_segment 0
		.amdhsa_system_sgpr_workgroup_id_x 1
		.amdhsa_system_sgpr_workgroup_id_y 0
		.amdhsa_system_sgpr_workgroup_id_z 0
		.amdhsa_system_sgpr_workgroup_info 0
		.amdhsa_system_vgpr_workitem_id 0
		.amdhsa_next_free_vgpr 1
		.amdhsa_next_free_sgpr 0
		.amdhsa_accum_offset 4
		.amdhsa_reserve_vcc 0
		.amdhsa_float_round_mode_32 0
		.amdhsa_float_round_mode_16_64 0
		.amdhsa_float_denorm_mode_32 3
		.amdhsa_float_denorm_mode_16_64 3
		.amdhsa_dx10_clamp 1
		.amdhsa_ieee_mode 1
		.amdhsa_fp16_overflow 0
		.amdhsa_tg_split 0
		.amdhsa_exception_fp_ieee_invalid_op 0
		.amdhsa_exception_fp_denorm_src 0
		.amdhsa_exception_fp_ieee_div_zero 0
		.amdhsa_exception_fp_ieee_overflow 0
		.amdhsa_exception_fp_ieee_underflow 0
		.amdhsa_exception_fp_ieee_inexact 0
		.amdhsa_exception_int_div_zero 0
	.end_amdhsa_kernel
	.section	.text._ZN7rocprim17ROCPRIM_400000_NS6detail44device_merge_sort_compile_time_verifier_archINS1_11comp_targetILNS1_3genE5ELNS1_11target_archE942ELNS1_3gpuE9ELNS1_3repE0EEES8_NS1_28merge_sort_block_sort_configILj256ELj4ELNS0_20block_sort_algorithmE0EEENS0_14default_configENS1_37merge_sort_block_sort_config_selectorIxNS0_10empty_typeEEENS1_38merge_sort_block_merge_config_selectorIxSE_EEEEvv,"axG",@progbits,_ZN7rocprim17ROCPRIM_400000_NS6detail44device_merge_sort_compile_time_verifier_archINS1_11comp_targetILNS1_3genE5ELNS1_11target_archE942ELNS1_3gpuE9ELNS1_3repE0EEES8_NS1_28merge_sort_block_sort_configILj256ELj4ELNS0_20block_sort_algorithmE0EEENS0_14default_configENS1_37merge_sort_block_sort_config_selectorIxNS0_10empty_typeEEENS1_38merge_sort_block_merge_config_selectorIxSE_EEEEvv,comdat
.Lfunc_end1402:
	.size	_ZN7rocprim17ROCPRIM_400000_NS6detail44device_merge_sort_compile_time_verifier_archINS1_11comp_targetILNS1_3genE5ELNS1_11target_archE942ELNS1_3gpuE9ELNS1_3repE0EEES8_NS1_28merge_sort_block_sort_configILj256ELj4ELNS0_20block_sort_algorithmE0EEENS0_14default_configENS1_37merge_sort_block_sort_config_selectorIxNS0_10empty_typeEEENS1_38merge_sort_block_merge_config_selectorIxSE_EEEEvv, .Lfunc_end1402-_ZN7rocprim17ROCPRIM_400000_NS6detail44device_merge_sort_compile_time_verifier_archINS1_11comp_targetILNS1_3genE5ELNS1_11target_archE942ELNS1_3gpuE9ELNS1_3repE0EEES8_NS1_28merge_sort_block_sort_configILj256ELj4ELNS0_20block_sort_algorithmE0EEENS0_14default_configENS1_37merge_sort_block_sort_config_selectorIxNS0_10empty_typeEEENS1_38merge_sort_block_merge_config_selectorIxSE_EEEEvv
                                        ; -- End function
	.section	.AMDGPU.csdata,"",@progbits
; Kernel info:
; codeLenInByte = 4
; NumSgprs: 6
; NumVgprs: 0
; NumAgprs: 0
; TotalNumVgprs: 0
; ScratchSize: 0
; MemoryBound: 0
; FloatMode: 240
; IeeeMode: 1
; LDSByteSize: 0 bytes/workgroup (compile time only)
; SGPRBlocks: 0
; VGPRBlocks: 0
; NumSGPRsForWavesPerEU: 6
; NumVGPRsForWavesPerEU: 1
; AccumOffset: 4
; Occupancy: 8
; WaveLimiterHint : 0
; COMPUTE_PGM_RSRC2:SCRATCH_EN: 0
; COMPUTE_PGM_RSRC2:USER_SGPR: 0
; COMPUTE_PGM_RSRC2:TRAP_HANDLER: 0
; COMPUTE_PGM_RSRC2:TGID_X_EN: 1
; COMPUTE_PGM_RSRC2:TGID_Y_EN: 0
; COMPUTE_PGM_RSRC2:TGID_Z_EN: 0
; COMPUTE_PGM_RSRC2:TIDIG_COMP_CNT: 0
; COMPUTE_PGM_RSRC3_GFX90A:ACCUM_OFFSET: 0
; COMPUTE_PGM_RSRC3_GFX90A:TG_SPLIT: 0
	.section	.text._ZN7rocprim17ROCPRIM_400000_NS6detail44device_merge_sort_compile_time_verifier_archINS1_11comp_targetILNS1_3genE4ELNS1_11target_archE910ELNS1_3gpuE8ELNS1_3repE0EEES8_NS1_28merge_sort_block_sort_configILj256ELj4ELNS0_20block_sort_algorithmE0EEENS0_14default_configENS1_37merge_sort_block_sort_config_selectorIxNS0_10empty_typeEEENS1_38merge_sort_block_merge_config_selectorIxSE_EEEEvv,"axG",@progbits,_ZN7rocprim17ROCPRIM_400000_NS6detail44device_merge_sort_compile_time_verifier_archINS1_11comp_targetILNS1_3genE4ELNS1_11target_archE910ELNS1_3gpuE8ELNS1_3repE0EEES8_NS1_28merge_sort_block_sort_configILj256ELj4ELNS0_20block_sort_algorithmE0EEENS0_14default_configENS1_37merge_sort_block_sort_config_selectorIxNS0_10empty_typeEEENS1_38merge_sort_block_merge_config_selectorIxSE_EEEEvv,comdat
	.protected	_ZN7rocprim17ROCPRIM_400000_NS6detail44device_merge_sort_compile_time_verifier_archINS1_11comp_targetILNS1_3genE4ELNS1_11target_archE910ELNS1_3gpuE8ELNS1_3repE0EEES8_NS1_28merge_sort_block_sort_configILj256ELj4ELNS0_20block_sort_algorithmE0EEENS0_14default_configENS1_37merge_sort_block_sort_config_selectorIxNS0_10empty_typeEEENS1_38merge_sort_block_merge_config_selectorIxSE_EEEEvv ; -- Begin function _ZN7rocprim17ROCPRIM_400000_NS6detail44device_merge_sort_compile_time_verifier_archINS1_11comp_targetILNS1_3genE4ELNS1_11target_archE910ELNS1_3gpuE8ELNS1_3repE0EEES8_NS1_28merge_sort_block_sort_configILj256ELj4ELNS0_20block_sort_algorithmE0EEENS0_14default_configENS1_37merge_sort_block_sort_config_selectorIxNS0_10empty_typeEEENS1_38merge_sort_block_merge_config_selectorIxSE_EEEEvv
	.globl	_ZN7rocprim17ROCPRIM_400000_NS6detail44device_merge_sort_compile_time_verifier_archINS1_11comp_targetILNS1_3genE4ELNS1_11target_archE910ELNS1_3gpuE8ELNS1_3repE0EEES8_NS1_28merge_sort_block_sort_configILj256ELj4ELNS0_20block_sort_algorithmE0EEENS0_14default_configENS1_37merge_sort_block_sort_config_selectorIxNS0_10empty_typeEEENS1_38merge_sort_block_merge_config_selectorIxSE_EEEEvv
	.p2align	8
	.type	_ZN7rocprim17ROCPRIM_400000_NS6detail44device_merge_sort_compile_time_verifier_archINS1_11comp_targetILNS1_3genE4ELNS1_11target_archE910ELNS1_3gpuE8ELNS1_3repE0EEES8_NS1_28merge_sort_block_sort_configILj256ELj4ELNS0_20block_sort_algorithmE0EEENS0_14default_configENS1_37merge_sort_block_sort_config_selectorIxNS0_10empty_typeEEENS1_38merge_sort_block_merge_config_selectorIxSE_EEEEvv,@function
_ZN7rocprim17ROCPRIM_400000_NS6detail44device_merge_sort_compile_time_verifier_archINS1_11comp_targetILNS1_3genE4ELNS1_11target_archE910ELNS1_3gpuE8ELNS1_3repE0EEES8_NS1_28merge_sort_block_sort_configILj256ELj4ELNS0_20block_sort_algorithmE0EEENS0_14default_configENS1_37merge_sort_block_sort_config_selectorIxNS0_10empty_typeEEENS1_38merge_sort_block_merge_config_selectorIxSE_EEEEvv: ; @_ZN7rocprim17ROCPRIM_400000_NS6detail44device_merge_sort_compile_time_verifier_archINS1_11comp_targetILNS1_3genE4ELNS1_11target_archE910ELNS1_3gpuE8ELNS1_3repE0EEES8_NS1_28merge_sort_block_sort_configILj256ELj4ELNS0_20block_sort_algorithmE0EEENS0_14default_configENS1_37merge_sort_block_sort_config_selectorIxNS0_10empty_typeEEENS1_38merge_sort_block_merge_config_selectorIxSE_EEEEvv
; %bb.0:
	s_endpgm
	.section	.rodata,"a",@progbits
	.p2align	6, 0x0
	.amdhsa_kernel _ZN7rocprim17ROCPRIM_400000_NS6detail44device_merge_sort_compile_time_verifier_archINS1_11comp_targetILNS1_3genE4ELNS1_11target_archE910ELNS1_3gpuE8ELNS1_3repE0EEES8_NS1_28merge_sort_block_sort_configILj256ELj4ELNS0_20block_sort_algorithmE0EEENS0_14default_configENS1_37merge_sort_block_sort_config_selectorIxNS0_10empty_typeEEENS1_38merge_sort_block_merge_config_selectorIxSE_EEEEvv
		.amdhsa_group_segment_fixed_size 0
		.amdhsa_private_segment_fixed_size 0
		.amdhsa_kernarg_size 0
		.amdhsa_user_sgpr_count 0
		.amdhsa_user_sgpr_dispatch_ptr 0
		.amdhsa_user_sgpr_queue_ptr 0
		.amdhsa_user_sgpr_kernarg_segment_ptr 0
		.amdhsa_user_sgpr_dispatch_id 0
		.amdhsa_user_sgpr_kernarg_preload_length 0
		.amdhsa_user_sgpr_kernarg_preload_offset 0
		.amdhsa_user_sgpr_private_segment_size 0
		.amdhsa_uses_dynamic_stack 0
		.amdhsa_enable_private_segment 0
		.amdhsa_system_sgpr_workgroup_id_x 1
		.amdhsa_system_sgpr_workgroup_id_y 0
		.amdhsa_system_sgpr_workgroup_id_z 0
		.amdhsa_system_sgpr_workgroup_info 0
		.amdhsa_system_vgpr_workitem_id 0
		.amdhsa_next_free_vgpr 1
		.amdhsa_next_free_sgpr 0
		.amdhsa_accum_offset 4
		.amdhsa_reserve_vcc 0
		.amdhsa_float_round_mode_32 0
		.amdhsa_float_round_mode_16_64 0
		.amdhsa_float_denorm_mode_32 3
		.amdhsa_float_denorm_mode_16_64 3
		.amdhsa_dx10_clamp 1
		.amdhsa_ieee_mode 1
		.amdhsa_fp16_overflow 0
		.amdhsa_tg_split 0
		.amdhsa_exception_fp_ieee_invalid_op 0
		.amdhsa_exception_fp_denorm_src 0
		.amdhsa_exception_fp_ieee_div_zero 0
		.amdhsa_exception_fp_ieee_overflow 0
		.amdhsa_exception_fp_ieee_underflow 0
		.amdhsa_exception_fp_ieee_inexact 0
		.amdhsa_exception_int_div_zero 0
	.end_amdhsa_kernel
	.section	.text._ZN7rocprim17ROCPRIM_400000_NS6detail44device_merge_sort_compile_time_verifier_archINS1_11comp_targetILNS1_3genE4ELNS1_11target_archE910ELNS1_3gpuE8ELNS1_3repE0EEES8_NS1_28merge_sort_block_sort_configILj256ELj4ELNS0_20block_sort_algorithmE0EEENS0_14default_configENS1_37merge_sort_block_sort_config_selectorIxNS0_10empty_typeEEENS1_38merge_sort_block_merge_config_selectorIxSE_EEEEvv,"axG",@progbits,_ZN7rocprim17ROCPRIM_400000_NS6detail44device_merge_sort_compile_time_verifier_archINS1_11comp_targetILNS1_3genE4ELNS1_11target_archE910ELNS1_3gpuE8ELNS1_3repE0EEES8_NS1_28merge_sort_block_sort_configILj256ELj4ELNS0_20block_sort_algorithmE0EEENS0_14default_configENS1_37merge_sort_block_sort_config_selectorIxNS0_10empty_typeEEENS1_38merge_sort_block_merge_config_selectorIxSE_EEEEvv,comdat
.Lfunc_end1403:
	.size	_ZN7rocprim17ROCPRIM_400000_NS6detail44device_merge_sort_compile_time_verifier_archINS1_11comp_targetILNS1_3genE4ELNS1_11target_archE910ELNS1_3gpuE8ELNS1_3repE0EEES8_NS1_28merge_sort_block_sort_configILj256ELj4ELNS0_20block_sort_algorithmE0EEENS0_14default_configENS1_37merge_sort_block_sort_config_selectorIxNS0_10empty_typeEEENS1_38merge_sort_block_merge_config_selectorIxSE_EEEEvv, .Lfunc_end1403-_ZN7rocprim17ROCPRIM_400000_NS6detail44device_merge_sort_compile_time_verifier_archINS1_11comp_targetILNS1_3genE4ELNS1_11target_archE910ELNS1_3gpuE8ELNS1_3repE0EEES8_NS1_28merge_sort_block_sort_configILj256ELj4ELNS0_20block_sort_algorithmE0EEENS0_14default_configENS1_37merge_sort_block_sort_config_selectorIxNS0_10empty_typeEEENS1_38merge_sort_block_merge_config_selectorIxSE_EEEEvv
                                        ; -- End function
	.section	.AMDGPU.csdata,"",@progbits
; Kernel info:
; codeLenInByte = 4
; NumSgprs: 6
; NumVgprs: 0
; NumAgprs: 0
; TotalNumVgprs: 0
; ScratchSize: 0
; MemoryBound: 0
; FloatMode: 240
; IeeeMode: 1
; LDSByteSize: 0 bytes/workgroup (compile time only)
; SGPRBlocks: 0
; VGPRBlocks: 0
; NumSGPRsForWavesPerEU: 6
; NumVGPRsForWavesPerEU: 1
; AccumOffset: 4
; Occupancy: 8
; WaveLimiterHint : 0
; COMPUTE_PGM_RSRC2:SCRATCH_EN: 0
; COMPUTE_PGM_RSRC2:USER_SGPR: 0
; COMPUTE_PGM_RSRC2:TRAP_HANDLER: 0
; COMPUTE_PGM_RSRC2:TGID_X_EN: 1
; COMPUTE_PGM_RSRC2:TGID_Y_EN: 0
; COMPUTE_PGM_RSRC2:TGID_Z_EN: 0
; COMPUTE_PGM_RSRC2:TIDIG_COMP_CNT: 0
; COMPUTE_PGM_RSRC3_GFX90A:ACCUM_OFFSET: 0
; COMPUTE_PGM_RSRC3_GFX90A:TG_SPLIT: 0
	.section	.text._ZN7rocprim17ROCPRIM_400000_NS6detail44device_merge_sort_compile_time_verifier_archINS1_11comp_targetILNS1_3genE3ELNS1_11target_archE908ELNS1_3gpuE7ELNS1_3repE0EEES8_NS1_28merge_sort_block_sort_configILj256ELj4ELNS0_20block_sort_algorithmE0EEENS0_14default_configENS1_37merge_sort_block_sort_config_selectorIxNS0_10empty_typeEEENS1_38merge_sort_block_merge_config_selectorIxSE_EEEEvv,"axG",@progbits,_ZN7rocprim17ROCPRIM_400000_NS6detail44device_merge_sort_compile_time_verifier_archINS1_11comp_targetILNS1_3genE3ELNS1_11target_archE908ELNS1_3gpuE7ELNS1_3repE0EEES8_NS1_28merge_sort_block_sort_configILj256ELj4ELNS0_20block_sort_algorithmE0EEENS0_14default_configENS1_37merge_sort_block_sort_config_selectorIxNS0_10empty_typeEEENS1_38merge_sort_block_merge_config_selectorIxSE_EEEEvv,comdat
	.protected	_ZN7rocprim17ROCPRIM_400000_NS6detail44device_merge_sort_compile_time_verifier_archINS1_11comp_targetILNS1_3genE3ELNS1_11target_archE908ELNS1_3gpuE7ELNS1_3repE0EEES8_NS1_28merge_sort_block_sort_configILj256ELj4ELNS0_20block_sort_algorithmE0EEENS0_14default_configENS1_37merge_sort_block_sort_config_selectorIxNS0_10empty_typeEEENS1_38merge_sort_block_merge_config_selectorIxSE_EEEEvv ; -- Begin function _ZN7rocprim17ROCPRIM_400000_NS6detail44device_merge_sort_compile_time_verifier_archINS1_11comp_targetILNS1_3genE3ELNS1_11target_archE908ELNS1_3gpuE7ELNS1_3repE0EEES8_NS1_28merge_sort_block_sort_configILj256ELj4ELNS0_20block_sort_algorithmE0EEENS0_14default_configENS1_37merge_sort_block_sort_config_selectorIxNS0_10empty_typeEEENS1_38merge_sort_block_merge_config_selectorIxSE_EEEEvv
	.globl	_ZN7rocprim17ROCPRIM_400000_NS6detail44device_merge_sort_compile_time_verifier_archINS1_11comp_targetILNS1_3genE3ELNS1_11target_archE908ELNS1_3gpuE7ELNS1_3repE0EEES8_NS1_28merge_sort_block_sort_configILj256ELj4ELNS0_20block_sort_algorithmE0EEENS0_14default_configENS1_37merge_sort_block_sort_config_selectorIxNS0_10empty_typeEEENS1_38merge_sort_block_merge_config_selectorIxSE_EEEEvv
	.p2align	8
	.type	_ZN7rocprim17ROCPRIM_400000_NS6detail44device_merge_sort_compile_time_verifier_archINS1_11comp_targetILNS1_3genE3ELNS1_11target_archE908ELNS1_3gpuE7ELNS1_3repE0EEES8_NS1_28merge_sort_block_sort_configILj256ELj4ELNS0_20block_sort_algorithmE0EEENS0_14default_configENS1_37merge_sort_block_sort_config_selectorIxNS0_10empty_typeEEENS1_38merge_sort_block_merge_config_selectorIxSE_EEEEvv,@function
_ZN7rocprim17ROCPRIM_400000_NS6detail44device_merge_sort_compile_time_verifier_archINS1_11comp_targetILNS1_3genE3ELNS1_11target_archE908ELNS1_3gpuE7ELNS1_3repE0EEES8_NS1_28merge_sort_block_sort_configILj256ELj4ELNS0_20block_sort_algorithmE0EEENS0_14default_configENS1_37merge_sort_block_sort_config_selectorIxNS0_10empty_typeEEENS1_38merge_sort_block_merge_config_selectorIxSE_EEEEvv: ; @_ZN7rocprim17ROCPRIM_400000_NS6detail44device_merge_sort_compile_time_verifier_archINS1_11comp_targetILNS1_3genE3ELNS1_11target_archE908ELNS1_3gpuE7ELNS1_3repE0EEES8_NS1_28merge_sort_block_sort_configILj256ELj4ELNS0_20block_sort_algorithmE0EEENS0_14default_configENS1_37merge_sort_block_sort_config_selectorIxNS0_10empty_typeEEENS1_38merge_sort_block_merge_config_selectorIxSE_EEEEvv
; %bb.0:
	s_endpgm
	.section	.rodata,"a",@progbits
	.p2align	6, 0x0
	.amdhsa_kernel _ZN7rocprim17ROCPRIM_400000_NS6detail44device_merge_sort_compile_time_verifier_archINS1_11comp_targetILNS1_3genE3ELNS1_11target_archE908ELNS1_3gpuE7ELNS1_3repE0EEES8_NS1_28merge_sort_block_sort_configILj256ELj4ELNS0_20block_sort_algorithmE0EEENS0_14default_configENS1_37merge_sort_block_sort_config_selectorIxNS0_10empty_typeEEENS1_38merge_sort_block_merge_config_selectorIxSE_EEEEvv
		.amdhsa_group_segment_fixed_size 0
		.amdhsa_private_segment_fixed_size 0
		.amdhsa_kernarg_size 0
		.amdhsa_user_sgpr_count 0
		.amdhsa_user_sgpr_dispatch_ptr 0
		.amdhsa_user_sgpr_queue_ptr 0
		.amdhsa_user_sgpr_kernarg_segment_ptr 0
		.amdhsa_user_sgpr_dispatch_id 0
		.amdhsa_user_sgpr_kernarg_preload_length 0
		.amdhsa_user_sgpr_kernarg_preload_offset 0
		.amdhsa_user_sgpr_private_segment_size 0
		.amdhsa_uses_dynamic_stack 0
		.amdhsa_enable_private_segment 0
		.amdhsa_system_sgpr_workgroup_id_x 1
		.amdhsa_system_sgpr_workgroup_id_y 0
		.amdhsa_system_sgpr_workgroup_id_z 0
		.amdhsa_system_sgpr_workgroup_info 0
		.amdhsa_system_vgpr_workitem_id 0
		.amdhsa_next_free_vgpr 1
		.amdhsa_next_free_sgpr 0
		.amdhsa_accum_offset 4
		.amdhsa_reserve_vcc 0
		.amdhsa_float_round_mode_32 0
		.amdhsa_float_round_mode_16_64 0
		.amdhsa_float_denorm_mode_32 3
		.amdhsa_float_denorm_mode_16_64 3
		.amdhsa_dx10_clamp 1
		.amdhsa_ieee_mode 1
		.amdhsa_fp16_overflow 0
		.amdhsa_tg_split 0
		.amdhsa_exception_fp_ieee_invalid_op 0
		.amdhsa_exception_fp_denorm_src 0
		.amdhsa_exception_fp_ieee_div_zero 0
		.amdhsa_exception_fp_ieee_overflow 0
		.amdhsa_exception_fp_ieee_underflow 0
		.amdhsa_exception_fp_ieee_inexact 0
		.amdhsa_exception_int_div_zero 0
	.end_amdhsa_kernel
	.section	.text._ZN7rocprim17ROCPRIM_400000_NS6detail44device_merge_sort_compile_time_verifier_archINS1_11comp_targetILNS1_3genE3ELNS1_11target_archE908ELNS1_3gpuE7ELNS1_3repE0EEES8_NS1_28merge_sort_block_sort_configILj256ELj4ELNS0_20block_sort_algorithmE0EEENS0_14default_configENS1_37merge_sort_block_sort_config_selectorIxNS0_10empty_typeEEENS1_38merge_sort_block_merge_config_selectorIxSE_EEEEvv,"axG",@progbits,_ZN7rocprim17ROCPRIM_400000_NS6detail44device_merge_sort_compile_time_verifier_archINS1_11comp_targetILNS1_3genE3ELNS1_11target_archE908ELNS1_3gpuE7ELNS1_3repE0EEES8_NS1_28merge_sort_block_sort_configILj256ELj4ELNS0_20block_sort_algorithmE0EEENS0_14default_configENS1_37merge_sort_block_sort_config_selectorIxNS0_10empty_typeEEENS1_38merge_sort_block_merge_config_selectorIxSE_EEEEvv,comdat
.Lfunc_end1404:
	.size	_ZN7rocprim17ROCPRIM_400000_NS6detail44device_merge_sort_compile_time_verifier_archINS1_11comp_targetILNS1_3genE3ELNS1_11target_archE908ELNS1_3gpuE7ELNS1_3repE0EEES8_NS1_28merge_sort_block_sort_configILj256ELj4ELNS0_20block_sort_algorithmE0EEENS0_14default_configENS1_37merge_sort_block_sort_config_selectorIxNS0_10empty_typeEEENS1_38merge_sort_block_merge_config_selectorIxSE_EEEEvv, .Lfunc_end1404-_ZN7rocprim17ROCPRIM_400000_NS6detail44device_merge_sort_compile_time_verifier_archINS1_11comp_targetILNS1_3genE3ELNS1_11target_archE908ELNS1_3gpuE7ELNS1_3repE0EEES8_NS1_28merge_sort_block_sort_configILj256ELj4ELNS0_20block_sort_algorithmE0EEENS0_14default_configENS1_37merge_sort_block_sort_config_selectorIxNS0_10empty_typeEEENS1_38merge_sort_block_merge_config_selectorIxSE_EEEEvv
                                        ; -- End function
	.section	.AMDGPU.csdata,"",@progbits
; Kernel info:
; codeLenInByte = 4
; NumSgprs: 6
; NumVgprs: 0
; NumAgprs: 0
; TotalNumVgprs: 0
; ScratchSize: 0
; MemoryBound: 0
; FloatMode: 240
; IeeeMode: 1
; LDSByteSize: 0 bytes/workgroup (compile time only)
; SGPRBlocks: 0
; VGPRBlocks: 0
; NumSGPRsForWavesPerEU: 6
; NumVGPRsForWavesPerEU: 1
; AccumOffset: 4
; Occupancy: 8
; WaveLimiterHint : 0
; COMPUTE_PGM_RSRC2:SCRATCH_EN: 0
; COMPUTE_PGM_RSRC2:USER_SGPR: 0
; COMPUTE_PGM_RSRC2:TRAP_HANDLER: 0
; COMPUTE_PGM_RSRC2:TGID_X_EN: 1
; COMPUTE_PGM_RSRC2:TGID_Y_EN: 0
; COMPUTE_PGM_RSRC2:TGID_Z_EN: 0
; COMPUTE_PGM_RSRC2:TIDIG_COMP_CNT: 0
; COMPUTE_PGM_RSRC3_GFX90A:ACCUM_OFFSET: 0
; COMPUTE_PGM_RSRC3_GFX90A:TG_SPLIT: 0
	.section	.text._ZN7rocprim17ROCPRIM_400000_NS6detail44device_merge_sort_compile_time_verifier_archINS1_11comp_targetILNS1_3genE2ELNS1_11target_archE906ELNS1_3gpuE6ELNS1_3repE0EEES8_NS1_28merge_sort_block_sort_configILj256ELj4ELNS0_20block_sort_algorithmE0EEENS0_14default_configENS1_37merge_sort_block_sort_config_selectorIxNS0_10empty_typeEEENS1_38merge_sort_block_merge_config_selectorIxSE_EEEEvv,"axG",@progbits,_ZN7rocprim17ROCPRIM_400000_NS6detail44device_merge_sort_compile_time_verifier_archINS1_11comp_targetILNS1_3genE2ELNS1_11target_archE906ELNS1_3gpuE6ELNS1_3repE0EEES8_NS1_28merge_sort_block_sort_configILj256ELj4ELNS0_20block_sort_algorithmE0EEENS0_14default_configENS1_37merge_sort_block_sort_config_selectorIxNS0_10empty_typeEEENS1_38merge_sort_block_merge_config_selectorIxSE_EEEEvv,comdat
	.protected	_ZN7rocprim17ROCPRIM_400000_NS6detail44device_merge_sort_compile_time_verifier_archINS1_11comp_targetILNS1_3genE2ELNS1_11target_archE906ELNS1_3gpuE6ELNS1_3repE0EEES8_NS1_28merge_sort_block_sort_configILj256ELj4ELNS0_20block_sort_algorithmE0EEENS0_14default_configENS1_37merge_sort_block_sort_config_selectorIxNS0_10empty_typeEEENS1_38merge_sort_block_merge_config_selectorIxSE_EEEEvv ; -- Begin function _ZN7rocprim17ROCPRIM_400000_NS6detail44device_merge_sort_compile_time_verifier_archINS1_11comp_targetILNS1_3genE2ELNS1_11target_archE906ELNS1_3gpuE6ELNS1_3repE0EEES8_NS1_28merge_sort_block_sort_configILj256ELj4ELNS0_20block_sort_algorithmE0EEENS0_14default_configENS1_37merge_sort_block_sort_config_selectorIxNS0_10empty_typeEEENS1_38merge_sort_block_merge_config_selectorIxSE_EEEEvv
	.globl	_ZN7rocprim17ROCPRIM_400000_NS6detail44device_merge_sort_compile_time_verifier_archINS1_11comp_targetILNS1_3genE2ELNS1_11target_archE906ELNS1_3gpuE6ELNS1_3repE0EEES8_NS1_28merge_sort_block_sort_configILj256ELj4ELNS0_20block_sort_algorithmE0EEENS0_14default_configENS1_37merge_sort_block_sort_config_selectorIxNS0_10empty_typeEEENS1_38merge_sort_block_merge_config_selectorIxSE_EEEEvv
	.p2align	8
	.type	_ZN7rocprim17ROCPRIM_400000_NS6detail44device_merge_sort_compile_time_verifier_archINS1_11comp_targetILNS1_3genE2ELNS1_11target_archE906ELNS1_3gpuE6ELNS1_3repE0EEES8_NS1_28merge_sort_block_sort_configILj256ELj4ELNS0_20block_sort_algorithmE0EEENS0_14default_configENS1_37merge_sort_block_sort_config_selectorIxNS0_10empty_typeEEENS1_38merge_sort_block_merge_config_selectorIxSE_EEEEvv,@function
_ZN7rocprim17ROCPRIM_400000_NS6detail44device_merge_sort_compile_time_verifier_archINS1_11comp_targetILNS1_3genE2ELNS1_11target_archE906ELNS1_3gpuE6ELNS1_3repE0EEES8_NS1_28merge_sort_block_sort_configILj256ELj4ELNS0_20block_sort_algorithmE0EEENS0_14default_configENS1_37merge_sort_block_sort_config_selectorIxNS0_10empty_typeEEENS1_38merge_sort_block_merge_config_selectorIxSE_EEEEvv: ; @_ZN7rocprim17ROCPRIM_400000_NS6detail44device_merge_sort_compile_time_verifier_archINS1_11comp_targetILNS1_3genE2ELNS1_11target_archE906ELNS1_3gpuE6ELNS1_3repE0EEES8_NS1_28merge_sort_block_sort_configILj256ELj4ELNS0_20block_sort_algorithmE0EEENS0_14default_configENS1_37merge_sort_block_sort_config_selectorIxNS0_10empty_typeEEENS1_38merge_sort_block_merge_config_selectorIxSE_EEEEvv
; %bb.0:
	s_endpgm
	.section	.rodata,"a",@progbits
	.p2align	6, 0x0
	.amdhsa_kernel _ZN7rocprim17ROCPRIM_400000_NS6detail44device_merge_sort_compile_time_verifier_archINS1_11comp_targetILNS1_3genE2ELNS1_11target_archE906ELNS1_3gpuE6ELNS1_3repE0EEES8_NS1_28merge_sort_block_sort_configILj256ELj4ELNS0_20block_sort_algorithmE0EEENS0_14default_configENS1_37merge_sort_block_sort_config_selectorIxNS0_10empty_typeEEENS1_38merge_sort_block_merge_config_selectorIxSE_EEEEvv
		.amdhsa_group_segment_fixed_size 0
		.amdhsa_private_segment_fixed_size 0
		.amdhsa_kernarg_size 0
		.amdhsa_user_sgpr_count 0
		.amdhsa_user_sgpr_dispatch_ptr 0
		.amdhsa_user_sgpr_queue_ptr 0
		.amdhsa_user_sgpr_kernarg_segment_ptr 0
		.amdhsa_user_sgpr_dispatch_id 0
		.amdhsa_user_sgpr_kernarg_preload_length 0
		.amdhsa_user_sgpr_kernarg_preload_offset 0
		.amdhsa_user_sgpr_private_segment_size 0
		.amdhsa_uses_dynamic_stack 0
		.amdhsa_enable_private_segment 0
		.amdhsa_system_sgpr_workgroup_id_x 1
		.amdhsa_system_sgpr_workgroup_id_y 0
		.amdhsa_system_sgpr_workgroup_id_z 0
		.amdhsa_system_sgpr_workgroup_info 0
		.amdhsa_system_vgpr_workitem_id 0
		.amdhsa_next_free_vgpr 1
		.amdhsa_next_free_sgpr 0
		.amdhsa_accum_offset 4
		.amdhsa_reserve_vcc 0
		.amdhsa_float_round_mode_32 0
		.amdhsa_float_round_mode_16_64 0
		.amdhsa_float_denorm_mode_32 3
		.amdhsa_float_denorm_mode_16_64 3
		.amdhsa_dx10_clamp 1
		.amdhsa_ieee_mode 1
		.amdhsa_fp16_overflow 0
		.amdhsa_tg_split 0
		.amdhsa_exception_fp_ieee_invalid_op 0
		.amdhsa_exception_fp_denorm_src 0
		.amdhsa_exception_fp_ieee_div_zero 0
		.amdhsa_exception_fp_ieee_overflow 0
		.amdhsa_exception_fp_ieee_underflow 0
		.amdhsa_exception_fp_ieee_inexact 0
		.amdhsa_exception_int_div_zero 0
	.end_amdhsa_kernel
	.section	.text._ZN7rocprim17ROCPRIM_400000_NS6detail44device_merge_sort_compile_time_verifier_archINS1_11comp_targetILNS1_3genE2ELNS1_11target_archE906ELNS1_3gpuE6ELNS1_3repE0EEES8_NS1_28merge_sort_block_sort_configILj256ELj4ELNS0_20block_sort_algorithmE0EEENS0_14default_configENS1_37merge_sort_block_sort_config_selectorIxNS0_10empty_typeEEENS1_38merge_sort_block_merge_config_selectorIxSE_EEEEvv,"axG",@progbits,_ZN7rocprim17ROCPRIM_400000_NS6detail44device_merge_sort_compile_time_verifier_archINS1_11comp_targetILNS1_3genE2ELNS1_11target_archE906ELNS1_3gpuE6ELNS1_3repE0EEES8_NS1_28merge_sort_block_sort_configILj256ELj4ELNS0_20block_sort_algorithmE0EEENS0_14default_configENS1_37merge_sort_block_sort_config_selectorIxNS0_10empty_typeEEENS1_38merge_sort_block_merge_config_selectorIxSE_EEEEvv,comdat
.Lfunc_end1405:
	.size	_ZN7rocprim17ROCPRIM_400000_NS6detail44device_merge_sort_compile_time_verifier_archINS1_11comp_targetILNS1_3genE2ELNS1_11target_archE906ELNS1_3gpuE6ELNS1_3repE0EEES8_NS1_28merge_sort_block_sort_configILj256ELj4ELNS0_20block_sort_algorithmE0EEENS0_14default_configENS1_37merge_sort_block_sort_config_selectorIxNS0_10empty_typeEEENS1_38merge_sort_block_merge_config_selectorIxSE_EEEEvv, .Lfunc_end1405-_ZN7rocprim17ROCPRIM_400000_NS6detail44device_merge_sort_compile_time_verifier_archINS1_11comp_targetILNS1_3genE2ELNS1_11target_archE906ELNS1_3gpuE6ELNS1_3repE0EEES8_NS1_28merge_sort_block_sort_configILj256ELj4ELNS0_20block_sort_algorithmE0EEENS0_14default_configENS1_37merge_sort_block_sort_config_selectorIxNS0_10empty_typeEEENS1_38merge_sort_block_merge_config_selectorIxSE_EEEEvv
                                        ; -- End function
	.section	.AMDGPU.csdata,"",@progbits
; Kernel info:
; codeLenInByte = 4
; NumSgprs: 6
; NumVgprs: 0
; NumAgprs: 0
; TotalNumVgprs: 0
; ScratchSize: 0
; MemoryBound: 0
; FloatMode: 240
; IeeeMode: 1
; LDSByteSize: 0 bytes/workgroup (compile time only)
; SGPRBlocks: 0
; VGPRBlocks: 0
; NumSGPRsForWavesPerEU: 6
; NumVGPRsForWavesPerEU: 1
; AccumOffset: 4
; Occupancy: 8
; WaveLimiterHint : 0
; COMPUTE_PGM_RSRC2:SCRATCH_EN: 0
; COMPUTE_PGM_RSRC2:USER_SGPR: 0
; COMPUTE_PGM_RSRC2:TRAP_HANDLER: 0
; COMPUTE_PGM_RSRC2:TGID_X_EN: 1
; COMPUTE_PGM_RSRC2:TGID_Y_EN: 0
; COMPUTE_PGM_RSRC2:TGID_Z_EN: 0
; COMPUTE_PGM_RSRC2:TIDIG_COMP_CNT: 0
; COMPUTE_PGM_RSRC3_GFX90A:ACCUM_OFFSET: 0
; COMPUTE_PGM_RSRC3_GFX90A:TG_SPLIT: 0
	.section	.text._ZN7rocprim17ROCPRIM_400000_NS6detail44device_merge_sort_compile_time_verifier_archINS1_11comp_targetILNS1_3genE10ELNS1_11target_archE1201ELNS1_3gpuE5ELNS1_3repE0EEES8_NS1_28merge_sort_block_sort_configILj256ELj4ELNS0_20block_sort_algorithmE0EEENS0_14default_configENS1_37merge_sort_block_sort_config_selectorIxNS0_10empty_typeEEENS1_38merge_sort_block_merge_config_selectorIxSE_EEEEvv,"axG",@progbits,_ZN7rocprim17ROCPRIM_400000_NS6detail44device_merge_sort_compile_time_verifier_archINS1_11comp_targetILNS1_3genE10ELNS1_11target_archE1201ELNS1_3gpuE5ELNS1_3repE0EEES8_NS1_28merge_sort_block_sort_configILj256ELj4ELNS0_20block_sort_algorithmE0EEENS0_14default_configENS1_37merge_sort_block_sort_config_selectorIxNS0_10empty_typeEEENS1_38merge_sort_block_merge_config_selectorIxSE_EEEEvv,comdat
	.protected	_ZN7rocprim17ROCPRIM_400000_NS6detail44device_merge_sort_compile_time_verifier_archINS1_11comp_targetILNS1_3genE10ELNS1_11target_archE1201ELNS1_3gpuE5ELNS1_3repE0EEES8_NS1_28merge_sort_block_sort_configILj256ELj4ELNS0_20block_sort_algorithmE0EEENS0_14default_configENS1_37merge_sort_block_sort_config_selectorIxNS0_10empty_typeEEENS1_38merge_sort_block_merge_config_selectorIxSE_EEEEvv ; -- Begin function _ZN7rocprim17ROCPRIM_400000_NS6detail44device_merge_sort_compile_time_verifier_archINS1_11comp_targetILNS1_3genE10ELNS1_11target_archE1201ELNS1_3gpuE5ELNS1_3repE0EEES8_NS1_28merge_sort_block_sort_configILj256ELj4ELNS0_20block_sort_algorithmE0EEENS0_14default_configENS1_37merge_sort_block_sort_config_selectorIxNS0_10empty_typeEEENS1_38merge_sort_block_merge_config_selectorIxSE_EEEEvv
	.globl	_ZN7rocprim17ROCPRIM_400000_NS6detail44device_merge_sort_compile_time_verifier_archINS1_11comp_targetILNS1_3genE10ELNS1_11target_archE1201ELNS1_3gpuE5ELNS1_3repE0EEES8_NS1_28merge_sort_block_sort_configILj256ELj4ELNS0_20block_sort_algorithmE0EEENS0_14default_configENS1_37merge_sort_block_sort_config_selectorIxNS0_10empty_typeEEENS1_38merge_sort_block_merge_config_selectorIxSE_EEEEvv
	.p2align	8
	.type	_ZN7rocprim17ROCPRIM_400000_NS6detail44device_merge_sort_compile_time_verifier_archINS1_11comp_targetILNS1_3genE10ELNS1_11target_archE1201ELNS1_3gpuE5ELNS1_3repE0EEES8_NS1_28merge_sort_block_sort_configILj256ELj4ELNS0_20block_sort_algorithmE0EEENS0_14default_configENS1_37merge_sort_block_sort_config_selectorIxNS0_10empty_typeEEENS1_38merge_sort_block_merge_config_selectorIxSE_EEEEvv,@function
_ZN7rocprim17ROCPRIM_400000_NS6detail44device_merge_sort_compile_time_verifier_archINS1_11comp_targetILNS1_3genE10ELNS1_11target_archE1201ELNS1_3gpuE5ELNS1_3repE0EEES8_NS1_28merge_sort_block_sort_configILj256ELj4ELNS0_20block_sort_algorithmE0EEENS0_14default_configENS1_37merge_sort_block_sort_config_selectorIxNS0_10empty_typeEEENS1_38merge_sort_block_merge_config_selectorIxSE_EEEEvv: ; @_ZN7rocprim17ROCPRIM_400000_NS6detail44device_merge_sort_compile_time_verifier_archINS1_11comp_targetILNS1_3genE10ELNS1_11target_archE1201ELNS1_3gpuE5ELNS1_3repE0EEES8_NS1_28merge_sort_block_sort_configILj256ELj4ELNS0_20block_sort_algorithmE0EEENS0_14default_configENS1_37merge_sort_block_sort_config_selectorIxNS0_10empty_typeEEENS1_38merge_sort_block_merge_config_selectorIxSE_EEEEvv
; %bb.0:
	s_endpgm
	.section	.rodata,"a",@progbits
	.p2align	6, 0x0
	.amdhsa_kernel _ZN7rocprim17ROCPRIM_400000_NS6detail44device_merge_sort_compile_time_verifier_archINS1_11comp_targetILNS1_3genE10ELNS1_11target_archE1201ELNS1_3gpuE5ELNS1_3repE0EEES8_NS1_28merge_sort_block_sort_configILj256ELj4ELNS0_20block_sort_algorithmE0EEENS0_14default_configENS1_37merge_sort_block_sort_config_selectorIxNS0_10empty_typeEEENS1_38merge_sort_block_merge_config_selectorIxSE_EEEEvv
		.amdhsa_group_segment_fixed_size 0
		.amdhsa_private_segment_fixed_size 0
		.amdhsa_kernarg_size 0
		.amdhsa_user_sgpr_count 0
		.amdhsa_user_sgpr_dispatch_ptr 0
		.amdhsa_user_sgpr_queue_ptr 0
		.amdhsa_user_sgpr_kernarg_segment_ptr 0
		.amdhsa_user_sgpr_dispatch_id 0
		.amdhsa_user_sgpr_kernarg_preload_length 0
		.amdhsa_user_sgpr_kernarg_preload_offset 0
		.amdhsa_user_sgpr_private_segment_size 0
		.amdhsa_uses_dynamic_stack 0
		.amdhsa_enable_private_segment 0
		.amdhsa_system_sgpr_workgroup_id_x 1
		.amdhsa_system_sgpr_workgroup_id_y 0
		.amdhsa_system_sgpr_workgroup_id_z 0
		.amdhsa_system_sgpr_workgroup_info 0
		.amdhsa_system_vgpr_workitem_id 0
		.amdhsa_next_free_vgpr 1
		.amdhsa_next_free_sgpr 0
		.amdhsa_accum_offset 4
		.amdhsa_reserve_vcc 0
		.amdhsa_float_round_mode_32 0
		.amdhsa_float_round_mode_16_64 0
		.amdhsa_float_denorm_mode_32 3
		.amdhsa_float_denorm_mode_16_64 3
		.amdhsa_dx10_clamp 1
		.amdhsa_ieee_mode 1
		.amdhsa_fp16_overflow 0
		.amdhsa_tg_split 0
		.amdhsa_exception_fp_ieee_invalid_op 0
		.amdhsa_exception_fp_denorm_src 0
		.amdhsa_exception_fp_ieee_div_zero 0
		.amdhsa_exception_fp_ieee_overflow 0
		.amdhsa_exception_fp_ieee_underflow 0
		.amdhsa_exception_fp_ieee_inexact 0
		.amdhsa_exception_int_div_zero 0
	.end_amdhsa_kernel
	.section	.text._ZN7rocprim17ROCPRIM_400000_NS6detail44device_merge_sort_compile_time_verifier_archINS1_11comp_targetILNS1_3genE10ELNS1_11target_archE1201ELNS1_3gpuE5ELNS1_3repE0EEES8_NS1_28merge_sort_block_sort_configILj256ELj4ELNS0_20block_sort_algorithmE0EEENS0_14default_configENS1_37merge_sort_block_sort_config_selectorIxNS0_10empty_typeEEENS1_38merge_sort_block_merge_config_selectorIxSE_EEEEvv,"axG",@progbits,_ZN7rocprim17ROCPRIM_400000_NS6detail44device_merge_sort_compile_time_verifier_archINS1_11comp_targetILNS1_3genE10ELNS1_11target_archE1201ELNS1_3gpuE5ELNS1_3repE0EEES8_NS1_28merge_sort_block_sort_configILj256ELj4ELNS0_20block_sort_algorithmE0EEENS0_14default_configENS1_37merge_sort_block_sort_config_selectorIxNS0_10empty_typeEEENS1_38merge_sort_block_merge_config_selectorIxSE_EEEEvv,comdat
.Lfunc_end1406:
	.size	_ZN7rocprim17ROCPRIM_400000_NS6detail44device_merge_sort_compile_time_verifier_archINS1_11comp_targetILNS1_3genE10ELNS1_11target_archE1201ELNS1_3gpuE5ELNS1_3repE0EEES8_NS1_28merge_sort_block_sort_configILj256ELj4ELNS0_20block_sort_algorithmE0EEENS0_14default_configENS1_37merge_sort_block_sort_config_selectorIxNS0_10empty_typeEEENS1_38merge_sort_block_merge_config_selectorIxSE_EEEEvv, .Lfunc_end1406-_ZN7rocprim17ROCPRIM_400000_NS6detail44device_merge_sort_compile_time_verifier_archINS1_11comp_targetILNS1_3genE10ELNS1_11target_archE1201ELNS1_3gpuE5ELNS1_3repE0EEES8_NS1_28merge_sort_block_sort_configILj256ELj4ELNS0_20block_sort_algorithmE0EEENS0_14default_configENS1_37merge_sort_block_sort_config_selectorIxNS0_10empty_typeEEENS1_38merge_sort_block_merge_config_selectorIxSE_EEEEvv
                                        ; -- End function
	.section	.AMDGPU.csdata,"",@progbits
; Kernel info:
; codeLenInByte = 4
; NumSgprs: 6
; NumVgprs: 0
; NumAgprs: 0
; TotalNumVgprs: 0
; ScratchSize: 0
; MemoryBound: 0
; FloatMode: 240
; IeeeMode: 1
; LDSByteSize: 0 bytes/workgroup (compile time only)
; SGPRBlocks: 0
; VGPRBlocks: 0
; NumSGPRsForWavesPerEU: 6
; NumVGPRsForWavesPerEU: 1
; AccumOffset: 4
; Occupancy: 8
; WaveLimiterHint : 0
; COMPUTE_PGM_RSRC2:SCRATCH_EN: 0
; COMPUTE_PGM_RSRC2:USER_SGPR: 0
; COMPUTE_PGM_RSRC2:TRAP_HANDLER: 0
; COMPUTE_PGM_RSRC2:TGID_X_EN: 1
; COMPUTE_PGM_RSRC2:TGID_Y_EN: 0
; COMPUTE_PGM_RSRC2:TGID_Z_EN: 0
; COMPUTE_PGM_RSRC2:TIDIG_COMP_CNT: 0
; COMPUTE_PGM_RSRC3_GFX90A:ACCUM_OFFSET: 0
; COMPUTE_PGM_RSRC3_GFX90A:TG_SPLIT: 0
	.section	.text._ZN7rocprim17ROCPRIM_400000_NS6detail44device_merge_sort_compile_time_verifier_archINS1_11comp_targetILNS1_3genE10ELNS1_11target_archE1200ELNS1_3gpuE4ELNS1_3repE0EEENS3_ILS4_10ELS5_1201ELS6_5ELS7_0EEENS1_28merge_sort_block_sort_configILj256ELj4ELNS0_20block_sort_algorithmE0EEENS0_14default_configENS1_37merge_sort_block_sort_config_selectorIxNS0_10empty_typeEEENS1_38merge_sort_block_merge_config_selectorIxSF_EEEEvv,"axG",@progbits,_ZN7rocprim17ROCPRIM_400000_NS6detail44device_merge_sort_compile_time_verifier_archINS1_11comp_targetILNS1_3genE10ELNS1_11target_archE1200ELNS1_3gpuE4ELNS1_3repE0EEENS3_ILS4_10ELS5_1201ELS6_5ELS7_0EEENS1_28merge_sort_block_sort_configILj256ELj4ELNS0_20block_sort_algorithmE0EEENS0_14default_configENS1_37merge_sort_block_sort_config_selectorIxNS0_10empty_typeEEENS1_38merge_sort_block_merge_config_selectorIxSF_EEEEvv,comdat
	.protected	_ZN7rocprim17ROCPRIM_400000_NS6detail44device_merge_sort_compile_time_verifier_archINS1_11comp_targetILNS1_3genE10ELNS1_11target_archE1200ELNS1_3gpuE4ELNS1_3repE0EEENS3_ILS4_10ELS5_1201ELS6_5ELS7_0EEENS1_28merge_sort_block_sort_configILj256ELj4ELNS0_20block_sort_algorithmE0EEENS0_14default_configENS1_37merge_sort_block_sort_config_selectorIxNS0_10empty_typeEEENS1_38merge_sort_block_merge_config_selectorIxSF_EEEEvv ; -- Begin function _ZN7rocprim17ROCPRIM_400000_NS6detail44device_merge_sort_compile_time_verifier_archINS1_11comp_targetILNS1_3genE10ELNS1_11target_archE1200ELNS1_3gpuE4ELNS1_3repE0EEENS3_ILS4_10ELS5_1201ELS6_5ELS7_0EEENS1_28merge_sort_block_sort_configILj256ELj4ELNS0_20block_sort_algorithmE0EEENS0_14default_configENS1_37merge_sort_block_sort_config_selectorIxNS0_10empty_typeEEENS1_38merge_sort_block_merge_config_selectorIxSF_EEEEvv
	.globl	_ZN7rocprim17ROCPRIM_400000_NS6detail44device_merge_sort_compile_time_verifier_archINS1_11comp_targetILNS1_3genE10ELNS1_11target_archE1200ELNS1_3gpuE4ELNS1_3repE0EEENS3_ILS4_10ELS5_1201ELS6_5ELS7_0EEENS1_28merge_sort_block_sort_configILj256ELj4ELNS0_20block_sort_algorithmE0EEENS0_14default_configENS1_37merge_sort_block_sort_config_selectorIxNS0_10empty_typeEEENS1_38merge_sort_block_merge_config_selectorIxSF_EEEEvv
	.p2align	8
	.type	_ZN7rocprim17ROCPRIM_400000_NS6detail44device_merge_sort_compile_time_verifier_archINS1_11comp_targetILNS1_3genE10ELNS1_11target_archE1200ELNS1_3gpuE4ELNS1_3repE0EEENS3_ILS4_10ELS5_1201ELS6_5ELS7_0EEENS1_28merge_sort_block_sort_configILj256ELj4ELNS0_20block_sort_algorithmE0EEENS0_14default_configENS1_37merge_sort_block_sort_config_selectorIxNS0_10empty_typeEEENS1_38merge_sort_block_merge_config_selectorIxSF_EEEEvv,@function
_ZN7rocprim17ROCPRIM_400000_NS6detail44device_merge_sort_compile_time_verifier_archINS1_11comp_targetILNS1_3genE10ELNS1_11target_archE1200ELNS1_3gpuE4ELNS1_3repE0EEENS3_ILS4_10ELS5_1201ELS6_5ELS7_0EEENS1_28merge_sort_block_sort_configILj256ELj4ELNS0_20block_sort_algorithmE0EEENS0_14default_configENS1_37merge_sort_block_sort_config_selectorIxNS0_10empty_typeEEENS1_38merge_sort_block_merge_config_selectorIxSF_EEEEvv: ; @_ZN7rocprim17ROCPRIM_400000_NS6detail44device_merge_sort_compile_time_verifier_archINS1_11comp_targetILNS1_3genE10ELNS1_11target_archE1200ELNS1_3gpuE4ELNS1_3repE0EEENS3_ILS4_10ELS5_1201ELS6_5ELS7_0EEENS1_28merge_sort_block_sort_configILj256ELj4ELNS0_20block_sort_algorithmE0EEENS0_14default_configENS1_37merge_sort_block_sort_config_selectorIxNS0_10empty_typeEEENS1_38merge_sort_block_merge_config_selectorIxSF_EEEEvv
; %bb.0:
	s_endpgm
	.section	.rodata,"a",@progbits
	.p2align	6, 0x0
	.amdhsa_kernel _ZN7rocprim17ROCPRIM_400000_NS6detail44device_merge_sort_compile_time_verifier_archINS1_11comp_targetILNS1_3genE10ELNS1_11target_archE1200ELNS1_3gpuE4ELNS1_3repE0EEENS3_ILS4_10ELS5_1201ELS6_5ELS7_0EEENS1_28merge_sort_block_sort_configILj256ELj4ELNS0_20block_sort_algorithmE0EEENS0_14default_configENS1_37merge_sort_block_sort_config_selectorIxNS0_10empty_typeEEENS1_38merge_sort_block_merge_config_selectorIxSF_EEEEvv
		.amdhsa_group_segment_fixed_size 0
		.amdhsa_private_segment_fixed_size 0
		.amdhsa_kernarg_size 0
		.amdhsa_user_sgpr_count 0
		.amdhsa_user_sgpr_dispatch_ptr 0
		.amdhsa_user_sgpr_queue_ptr 0
		.amdhsa_user_sgpr_kernarg_segment_ptr 0
		.amdhsa_user_sgpr_dispatch_id 0
		.amdhsa_user_sgpr_kernarg_preload_length 0
		.amdhsa_user_sgpr_kernarg_preload_offset 0
		.amdhsa_user_sgpr_private_segment_size 0
		.amdhsa_uses_dynamic_stack 0
		.amdhsa_enable_private_segment 0
		.amdhsa_system_sgpr_workgroup_id_x 1
		.amdhsa_system_sgpr_workgroup_id_y 0
		.amdhsa_system_sgpr_workgroup_id_z 0
		.amdhsa_system_sgpr_workgroup_info 0
		.amdhsa_system_vgpr_workitem_id 0
		.amdhsa_next_free_vgpr 1
		.amdhsa_next_free_sgpr 0
		.amdhsa_accum_offset 4
		.amdhsa_reserve_vcc 0
		.amdhsa_float_round_mode_32 0
		.amdhsa_float_round_mode_16_64 0
		.amdhsa_float_denorm_mode_32 3
		.amdhsa_float_denorm_mode_16_64 3
		.amdhsa_dx10_clamp 1
		.amdhsa_ieee_mode 1
		.amdhsa_fp16_overflow 0
		.amdhsa_tg_split 0
		.amdhsa_exception_fp_ieee_invalid_op 0
		.amdhsa_exception_fp_denorm_src 0
		.amdhsa_exception_fp_ieee_div_zero 0
		.amdhsa_exception_fp_ieee_overflow 0
		.amdhsa_exception_fp_ieee_underflow 0
		.amdhsa_exception_fp_ieee_inexact 0
		.amdhsa_exception_int_div_zero 0
	.end_amdhsa_kernel
	.section	.text._ZN7rocprim17ROCPRIM_400000_NS6detail44device_merge_sort_compile_time_verifier_archINS1_11comp_targetILNS1_3genE10ELNS1_11target_archE1200ELNS1_3gpuE4ELNS1_3repE0EEENS3_ILS4_10ELS5_1201ELS6_5ELS7_0EEENS1_28merge_sort_block_sort_configILj256ELj4ELNS0_20block_sort_algorithmE0EEENS0_14default_configENS1_37merge_sort_block_sort_config_selectorIxNS0_10empty_typeEEENS1_38merge_sort_block_merge_config_selectorIxSF_EEEEvv,"axG",@progbits,_ZN7rocprim17ROCPRIM_400000_NS6detail44device_merge_sort_compile_time_verifier_archINS1_11comp_targetILNS1_3genE10ELNS1_11target_archE1200ELNS1_3gpuE4ELNS1_3repE0EEENS3_ILS4_10ELS5_1201ELS6_5ELS7_0EEENS1_28merge_sort_block_sort_configILj256ELj4ELNS0_20block_sort_algorithmE0EEENS0_14default_configENS1_37merge_sort_block_sort_config_selectorIxNS0_10empty_typeEEENS1_38merge_sort_block_merge_config_selectorIxSF_EEEEvv,comdat
.Lfunc_end1407:
	.size	_ZN7rocprim17ROCPRIM_400000_NS6detail44device_merge_sort_compile_time_verifier_archINS1_11comp_targetILNS1_3genE10ELNS1_11target_archE1200ELNS1_3gpuE4ELNS1_3repE0EEENS3_ILS4_10ELS5_1201ELS6_5ELS7_0EEENS1_28merge_sort_block_sort_configILj256ELj4ELNS0_20block_sort_algorithmE0EEENS0_14default_configENS1_37merge_sort_block_sort_config_selectorIxNS0_10empty_typeEEENS1_38merge_sort_block_merge_config_selectorIxSF_EEEEvv, .Lfunc_end1407-_ZN7rocprim17ROCPRIM_400000_NS6detail44device_merge_sort_compile_time_verifier_archINS1_11comp_targetILNS1_3genE10ELNS1_11target_archE1200ELNS1_3gpuE4ELNS1_3repE0EEENS3_ILS4_10ELS5_1201ELS6_5ELS7_0EEENS1_28merge_sort_block_sort_configILj256ELj4ELNS0_20block_sort_algorithmE0EEENS0_14default_configENS1_37merge_sort_block_sort_config_selectorIxNS0_10empty_typeEEENS1_38merge_sort_block_merge_config_selectorIxSF_EEEEvv
                                        ; -- End function
	.section	.AMDGPU.csdata,"",@progbits
; Kernel info:
; codeLenInByte = 4
; NumSgprs: 6
; NumVgprs: 0
; NumAgprs: 0
; TotalNumVgprs: 0
; ScratchSize: 0
; MemoryBound: 0
; FloatMode: 240
; IeeeMode: 1
; LDSByteSize: 0 bytes/workgroup (compile time only)
; SGPRBlocks: 0
; VGPRBlocks: 0
; NumSGPRsForWavesPerEU: 6
; NumVGPRsForWavesPerEU: 1
; AccumOffset: 4
; Occupancy: 8
; WaveLimiterHint : 0
; COMPUTE_PGM_RSRC2:SCRATCH_EN: 0
; COMPUTE_PGM_RSRC2:USER_SGPR: 0
; COMPUTE_PGM_RSRC2:TRAP_HANDLER: 0
; COMPUTE_PGM_RSRC2:TGID_X_EN: 1
; COMPUTE_PGM_RSRC2:TGID_Y_EN: 0
; COMPUTE_PGM_RSRC2:TGID_Z_EN: 0
; COMPUTE_PGM_RSRC2:TIDIG_COMP_CNT: 0
; COMPUTE_PGM_RSRC3_GFX90A:ACCUM_OFFSET: 0
; COMPUTE_PGM_RSRC3_GFX90A:TG_SPLIT: 0
	.section	.text._ZN7rocprim17ROCPRIM_400000_NS6detail44device_merge_sort_compile_time_verifier_archINS1_11comp_targetILNS1_3genE9ELNS1_11target_archE1100ELNS1_3gpuE3ELNS1_3repE0EEES8_NS1_28merge_sort_block_sort_configILj256ELj4ELNS0_20block_sort_algorithmE0EEENS0_14default_configENS1_37merge_sort_block_sort_config_selectorIxNS0_10empty_typeEEENS1_38merge_sort_block_merge_config_selectorIxSE_EEEEvv,"axG",@progbits,_ZN7rocprim17ROCPRIM_400000_NS6detail44device_merge_sort_compile_time_verifier_archINS1_11comp_targetILNS1_3genE9ELNS1_11target_archE1100ELNS1_3gpuE3ELNS1_3repE0EEES8_NS1_28merge_sort_block_sort_configILj256ELj4ELNS0_20block_sort_algorithmE0EEENS0_14default_configENS1_37merge_sort_block_sort_config_selectorIxNS0_10empty_typeEEENS1_38merge_sort_block_merge_config_selectorIxSE_EEEEvv,comdat
	.protected	_ZN7rocprim17ROCPRIM_400000_NS6detail44device_merge_sort_compile_time_verifier_archINS1_11comp_targetILNS1_3genE9ELNS1_11target_archE1100ELNS1_3gpuE3ELNS1_3repE0EEES8_NS1_28merge_sort_block_sort_configILj256ELj4ELNS0_20block_sort_algorithmE0EEENS0_14default_configENS1_37merge_sort_block_sort_config_selectorIxNS0_10empty_typeEEENS1_38merge_sort_block_merge_config_selectorIxSE_EEEEvv ; -- Begin function _ZN7rocprim17ROCPRIM_400000_NS6detail44device_merge_sort_compile_time_verifier_archINS1_11comp_targetILNS1_3genE9ELNS1_11target_archE1100ELNS1_3gpuE3ELNS1_3repE0EEES8_NS1_28merge_sort_block_sort_configILj256ELj4ELNS0_20block_sort_algorithmE0EEENS0_14default_configENS1_37merge_sort_block_sort_config_selectorIxNS0_10empty_typeEEENS1_38merge_sort_block_merge_config_selectorIxSE_EEEEvv
	.globl	_ZN7rocprim17ROCPRIM_400000_NS6detail44device_merge_sort_compile_time_verifier_archINS1_11comp_targetILNS1_3genE9ELNS1_11target_archE1100ELNS1_3gpuE3ELNS1_3repE0EEES8_NS1_28merge_sort_block_sort_configILj256ELj4ELNS0_20block_sort_algorithmE0EEENS0_14default_configENS1_37merge_sort_block_sort_config_selectorIxNS0_10empty_typeEEENS1_38merge_sort_block_merge_config_selectorIxSE_EEEEvv
	.p2align	8
	.type	_ZN7rocprim17ROCPRIM_400000_NS6detail44device_merge_sort_compile_time_verifier_archINS1_11comp_targetILNS1_3genE9ELNS1_11target_archE1100ELNS1_3gpuE3ELNS1_3repE0EEES8_NS1_28merge_sort_block_sort_configILj256ELj4ELNS0_20block_sort_algorithmE0EEENS0_14default_configENS1_37merge_sort_block_sort_config_selectorIxNS0_10empty_typeEEENS1_38merge_sort_block_merge_config_selectorIxSE_EEEEvv,@function
_ZN7rocprim17ROCPRIM_400000_NS6detail44device_merge_sort_compile_time_verifier_archINS1_11comp_targetILNS1_3genE9ELNS1_11target_archE1100ELNS1_3gpuE3ELNS1_3repE0EEES8_NS1_28merge_sort_block_sort_configILj256ELj4ELNS0_20block_sort_algorithmE0EEENS0_14default_configENS1_37merge_sort_block_sort_config_selectorIxNS0_10empty_typeEEENS1_38merge_sort_block_merge_config_selectorIxSE_EEEEvv: ; @_ZN7rocprim17ROCPRIM_400000_NS6detail44device_merge_sort_compile_time_verifier_archINS1_11comp_targetILNS1_3genE9ELNS1_11target_archE1100ELNS1_3gpuE3ELNS1_3repE0EEES8_NS1_28merge_sort_block_sort_configILj256ELj4ELNS0_20block_sort_algorithmE0EEENS0_14default_configENS1_37merge_sort_block_sort_config_selectorIxNS0_10empty_typeEEENS1_38merge_sort_block_merge_config_selectorIxSE_EEEEvv
; %bb.0:
	s_endpgm
	.section	.rodata,"a",@progbits
	.p2align	6, 0x0
	.amdhsa_kernel _ZN7rocprim17ROCPRIM_400000_NS6detail44device_merge_sort_compile_time_verifier_archINS1_11comp_targetILNS1_3genE9ELNS1_11target_archE1100ELNS1_3gpuE3ELNS1_3repE0EEES8_NS1_28merge_sort_block_sort_configILj256ELj4ELNS0_20block_sort_algorithmE0EEENS0_14default_configENS1_37merge_sort_block_sort_config_selectorIxNS0_10empty_typeEEENS1_38merge_sort_block_merge_config_selectorIxSE_EEEEvv
		.amdhsa_group_segment_fixed_size 0
		.amdhsa_private_segment_fixed_size 0
		.amdhsa_kernarg_size 0
		.amdhsa_user_sgpr_count 0
		.amdhsa_user_sgpr_dispatch_ptr 0
		.amdhsa_user_sgpr_queue_ptr 0
		.amdhsa_user_sgpr_kernarg_segment_ptr 0
		.amdhsa_user_sgpr_dispatch_id 0
		.amdhsa_user_sgpr_kernarg_preload_length 0
		.amdhsa_user_sgpr_kernarg_preload_offset 0
		.amdhsa_user_sgpr_private_segment_size 0
		.amdhsa_uses_dynamic_stack 0
		.amdhsa_enable_private_segment 0
		.amdhsa_system_sgpr_workgroup_id_x 1
		.amdhsa_system_sgpr_workgroup_id_y 0
		.amdhsa_system_sgpr_workgroup_id_z 0
		.amdhsa_system_sgpr_workgroup_info 0
		.amdhsa_system_vgpr_workitem_id 0
		.amdhsa_next_free_vgpr 1
		.amdhsa_next_free_sgpr 0
		.amdhsa_accum_offset 4
		.amdhsa_reserve_vcc 0
		.amdhsa_float_round_mode_32 0
		.amdhsa_float_round_mode_16_64 0
		.amdhsa_float_denorm_mode_32 3
		.amdhsa_float_denorm_mode_16_64 3
		.amdhsa_dx10_clamp 1
		.amdhsa_ieee_mode 1
		.amdhsa_fp16_overflow 0
		.amdhsa_tg_split 0
		.amdhsa_exception_fp_ieee_invalid_op 0
		.amdhsa_exception_fp_denorm_src 0
		.amdhsa_exception_fp_ieee_div_zero 0
		.amdhsa_exception_fp_ieee_overflow 0
		.amdhsa_exception_fp_ieee_underflow 0
		.amdhsa_exception_fp_ieee_inexact 0
		.amdhsa_exception_int_div_zero 0
	.end_amdhsa_kernel
	.section	.text._ZN7rocprim17ROCPRIM_400000_NS6detail44device_merge_sort_compile_time_verifier_archINS1_11comp_targetILNS1_3genE9ELNS1_11target_archE1100ELNS1_3gpuE3ELNS1_3repE0EEES8_NS1_28merge_sort_block_sort_configILj256ELj4ELNS0_20block_sort_algorithmE0EEENS0_14default_configENS1_37merge_sort_block_sort_config_selectorIxNS0_10empty_typeEEENS1_38merge_sort_block_merge_config_selectorIxSE_EEEEvv,"axG",@progbits,_ZN7rocprim17ROCPRIM_400000_NS6detail44device_merge_sort_compile_time_verifier_archINS1_11comp_targetILNS1_3genE9ELNS1_11target_archE1100ELNS1_3gpuE3ELNS1_3repE0EEES8_NS1_28merge_sort_block_sort_configILj256ELj4ELNS0_20block_sort_algorithmE0EEENS0_14default_configENS1_37merge_sort_block_sort_config_selectorIxNS0_10empty_typeEEENS1_38merge_sort_block_merge_config_selectorIxSE_EEEEvv,comdat
.Lfunc_end1408:
	.size	_ZN7rocprim17ROCPRIM_400000_NS6detail44device_merge_sort_compile_time_verifier_archINS1_11comp_targetILNS1_3genE9ELNS1_11target_archE1100ELNS1_3gpuE3ELNS1_3repE0EEES8_NS1_28merge_sort_block_sort_configILj256ELj4ELNS0_20block_sort_algorithmE0EEENS0_14default_configENS1_37merge_sort_block_sort_config_selectorIxNS0_10empty_typeEEENS1_38merge_sort_block_merge_config_selectorIxSE_EEEEvv, .Lfunc_end1408-_ZN7rocprim17ROCPRIM_400000_NS6detail44device_merge_sort_compile_time_verifier_archINS1_11comp_targetILNS1_3genE9ELNS1_11target_archE1100ELNS1_3gpuE3ELNS1_3repE0EEES8_NS1_28merge_sort_block_sort_configILj256ELj4ELNS0_20block_sort_algorithmE0EEENS0_14default_configENS1_37merge_sort_block_sort_config_selectorIxNS0_10empty_typeEEENS1_38merge_sort_block_merge_config_selectorIxSE_EEEEvv
                                        ; -- End function
	.section	.AMDGPU.csdata,"",@progbits
; Kernel info:
; codeLenInByte = 4
; NumSgprs: 6
; NumVgprs: 0
; NumAgprs: 0
; TotalNumVgprs: 0
; ScratchSize: 0
; MemoryBound: 0
; FloatMode: 240
; IeeeMode: 1
; LDSByteSize: 0 bytes/workgroup (compile time only)
; SGPRBlocks: 0
; VGPRBlocks: 0
; NumSGPRsForWavesPerEU: 6
; NumVGPRsForWavesPerEU: 1
; AccumOffset: 4
; Occupancy: 8
; WaveLimiterHint : 0
; COMPUTE_PGM_RSRC2:SCRATCH_EN: 0
; COMPUTE_PGM_RSRC2:USER_SGPR: 0
; COMPUTE_PGM_RSRC2:TRAP_HANDLER: 0
; COMPUTE_PGM_RSRC2:TGID_X_EN: 1
; COMPUTE_PGM_RSRC2:TGID_Y_EN: 0
; COMPUTE_PGM_RSRC2:TGID_Z_EN: 0
; COMPUTE_PGM_RSRC2:TIDIG_COMP_CNT: 0
; COMPUTE_PGM_RSRC3_GFX90A:ACCUM_OFFSET: 0
; COMPUTE_PGM_RSRC3_GFX90A:TG_SPLIT: 0
	.section	.text._ZN7rocprim17ROCPRIM_400000_NS6detail44device_merge_sort_compile_time_verifier_archINS1_11comp_targetILNS1_3genE8ELNS1_11target_archE1030ELNS1_3gpuE2ELNS1_3repE0EEES8_NS1_28merge_sort_block_sort_configILj256ELj4ELNS0_20block_sort_algorithmE0EEENS0_14default_configENS1_37merge_sort_block_sort_config_selectorIxNS0_10empty_typeEEENS1_38merge_sort_block_merge_config_selectorIxSE_EEEEvv,"axG",@progbits,_ZN7rocprim17ROCPRIM_400000_NS6detail44device_merge_sort_compile_time_verifier_archINS1_11comp_targetILNS1_3genE8ELNS1_11target_archE1030ELNS1_3gpuE2ELNS1_3repE0EEES8_NS1_28merge_sort_block_sort_configILj256ELj4ELNS0_20block_sort_algorithmE0EEENS0_14default_configENS1_37merge_sort_block_sort_config_selectorIxNS0_10empty_typeEEENS1_38merge_sort_block_merge_config_selectorIxSE_EEEEvv,comdat
	.protected	_ZN7rocprim17ROCPRIM_400000_NS6detail44device_merge_sort_compile_time_verifier_archINS1_11comp_targetILNS1_3genE8ELNS1_11target_archE1030ELNS1_3gpuE2ELNS1_3repE0EEES8_NS1_28merge_sort_block_sort_configILj256ELj4ELNS0_20block_sort_algorithmE0EEENS0_14default_configENS1_37merge_sort_block_sort_config_selectorIxNS0_10empty_typeEEENS1_38merge_sort_block_merge_config_selectorIxSE_EEEEvv ; -- Begin function _ZN7rocprim17ROCPRIM_400000_NS6detail44device_merge_sort_compile_time_verifier_archINS1_11comp_targetILNS1_3genE8ELNS1_11target_archE1030ELNS1_3gpuE2ELNS1_3repE0EEES8_NS1_28merge_sort_block_sort_configILj256ELj4ELNS0_20block_sort_algorithmE0EEENS0_14default_configENS1_37merge_sort_block_sort_config_selectorIxNS0_10empty_typeEEENS1_38merge_sort_block_merge_config_selectorIxSE_EEEEvv
	.globl	_ZN7rocprim17ROCPRIM_400000_NS6detail44device_merge_sort_compile_time_verifier_archINS1_11comp_targetILNS1_3genE8ELNS1_11target_archE1030ELNS1_3gpuE2ELNS1_3repE0EEES8_NS1_28merge_sort_block_sort_configILj256ELj4ELNS0_20block_sort_algorithmE0EEENS0_14default_configENS1_37merge_sort_block_sort_config_selectorIxNS0_10empty_typeEEENS1_38merge_sort_block_merge_config_selectorIxSE_EEEEvv
	.p2align	8
	.type	_ZN7rocprim17ROCPRIM_400000_NS6detail44device_merge_sort_compile_time_verifier_archINS1_11comp_targetILNS1_3genE8ELNS1_11target_archE1030ELNS1_3gpuE2ELNS1_3repE0EEES8_NS1_28merge_sort_block_sort_configILj256ELj4ELNS0_20block_sort_algorithmE0EEENS0_14default_configENS1_37merge_sort_block_sort_config_selectorIxNS0_10empty_typeEEENS1_38merge_sort_block_merge_config_selectorIxSE_EEEEvv,@function
_ZN7rocprim17ROCPRIM_400000_NS6detail44device_merge_sort_compile_time_verifier_archINS1_11comp_targetILNS1_3genE8ELNS1_11target_archE1030ELNS1_3gpuE2ELNS1_3repE0EEES8_NS1_28merge_sort_block_sort_configILj256ELj4ELNS0_20block_sort_algorithmE0EEENS0_14default_configENS1_37merge_sort_block_sort_config_selectorIxNS0_10empty_typeEEENS1_38merge_sort_block_merge_config_selectorIxSE_EEEEvv: ; @_ZN7rocprim17ROCPRIM_400000_NS6detail44device_merge_sort_compile_time_verifier_archINS1_11comp_targetILNS1_3genE8ELNS1_11target_archE1030ELNS1_3gpuE2ELNS1_3repE0EEES8_NS1_28merge_sort_block_sort_configILj256ELj4ELNS0_20block_sort_algorithmE0EEENS0_14default_configENS1_37merge_sort_block_sort_config_selectorIxNS0_10empty_typeEEENS1_38merge_sort_block_merge_config_selectorIxSE_EEEEvv
; %bb.0:
	s_endpgm
	.section	.rodata,"a",@progbits
	.p2align	6, 0x0
	.amdhsa_kernel _ZN7rocprim17ROCPRIM_400000_NS6detail44device_merge_sort_compile_time_verifier_archINS1_11comp_targetILNS1_3genE8ELNS1_11target_archE1030ELNS1_3gpuE2ELNS1_3repE0EEES8_NS1_28merge_sort_block_sort_configILj256ELj4ELNS0_20block_sort_algorithmE0EEENS0_14default_configENS1_37merge_sort_block_sort_config_selectorIxNS0_10empty_typeEEENS1_38merge_sort_block_merge_config_selectorIxSE_EEEEvv
		.amdhsa_group_segment_fixed_size 0
		.amdhsa_private_segment_fixed_size 0
		.amdhsa_kernarg_size 0
		.amdhsa_user_sgpr_count 0
		.amdhsa_user_sgpr_dispatch_ptr 0
		.amdhsa_user_sgpr_queue_ptr 0
		.amdhsa_user_sgpr_kernarg_segment_ptr 0
		.amdhsa_user_sgpr_dispatch_id 0
		.amdhsa_user_sgpr_kernarg_preload_length 0
		.amdhsa_user_sgpr_kernarg_preload_offset 0
		.amdhsa_user_sgpr_private_segment_size 0
		.amdhsa_uses_dynamic_stack 0
		.amdhsa_enable_private_segment 0
		.amdhsa_system_sgpr_workgroup_id_x 1
		.amdhsa_system_sgpr_workgroup_id_y 0
		.amdhsa_system_sgpr_workgroup_id_z 0
		.amdhsa_system_sgpr_workgroup_info 0
		.amdhsa_system_vgpr_workitem_id 0
		.amdhsa_next_free_vgpr 1
		.amdhsa_next_free_sgpr 0
		.amdhsa_accum_offset 4
		.amdhsa_reserve_vcc 0
		.amdhsa_float_round_mode_32 0
		.amdhsa_float_round_mode_16_64 0
		.amdhsa_float_denorm_mode_32 3
		.amdhsa_float_denorm_mode_16_64 3
		.amdhsa_dx10_clamp 1
		.amdhsa_ieee_mode 1
		.amdhsa_fp16_overflow 0
		.amdhsa_tg_split 0
		.amdhsa_exception_fp_ieee_invalid_op 0
		.amdhsa_exception_fp_denorm_src 0
		.amdhsa_exception_fp_ieee_div_zero 0
		.amdhsa_exception_fp_ieee_overflow 0
		.amdhsa_exception_fp_ieee_underflow 0
		.amdhsa_exception_fp_ieee_inexact 0
		.amdhsa_exception_int_div_zero 0
	.end_amdhsa_kernel
	.section	.text._ZN7rocprim17ROCPRIM_400000_NS6detail44device_merge_sort_compile_time_verifier_archINS1_11comp_targetILNS1_3genE8ELNS1_11target_archE1030ELNS1_3gpuE2ELNS1_3repE0EEES8_NS1_28merge_sort_block_sort_configILj256ELj4ELNS0_20block_sort_algorithmE0EEENS0_14default_configENS1_37merge_sort_block_sort_config_selectorIxNS0_10empty_typeEEENS1_38merge_sort_block_merge_config_selectorIxSE_EEEEvv,"axG",@progbits,_ZN7rocprim17ROCPRIM_400000_NS6detail44device_merge_sort_compile_time_verifier_archINS1_11comp_targetILNS1_3genE8ELNS1_11target_archE1030ELNS1_3gpuE2ELNS1_3repE0EEES8_NS1_28merge_sort_block_sort_configILj256ELj4ELNS0_20block_sort_algorithmE0EEENS0_14default_configENS1_37merge_sort_block_sort_config_selectorIxNS0_10empty_typeEEENS1_38merge_sort_block_merge_config_selectorIxSE_EEEEvv,comdat
.Lfunc_end1409:
	.size	_ZN7rocprim17ROCPRIM_400000_NS6detail44device_merge_sort_compile_time_verifier_archINS1_11comp_targetILNS1_3genE8ELNS1_11target_archE1030ELNS1_3gpuE2ELNS1_3repE0EEES8_NS1_28merge_sort_block_sort_configILj256ELj4ELNS0_20block_sort_algorithmE0EEENS0_14default_configENS1_37merge_sort_block_sort_config_selectorIxNS0_10empty_typeEEENS1_38merge_sort_block_merge_config_selectorIxSE_EEEEvv, .Lfunc_end1409-_ZN7rocprim17ROCPRIM_400000_NS6detail44device_merge_sort_compile_time_verifier_archINS1_11comp_targetILNS1_3genE8ELNS1_11target_archE1030ELNS1_3gpuE2ELNS1_3repE0EEES8_NS1_28merge_sort_block_sort_configILj256ELj4ELNS0_20block_sort_algorithmE0EEENS0_14default_configENS1_37merge_sort_block_sort_config_selectorIxNS0_10empty_typeEEENS1_38merge_sort_block_merge_config_selectorIxSE_EEEEvv
                                        ; -- End function
	.section	.AMDGPU.csdata,"",@progbits
; Kernel info:
; codeLenInByte = 4
; NumSgprs: 6
; NumVgprs: 0
; NumAgprs: 0
; TotalNumVgprs: 0
; ScratchSize: 0
; MemoryBound: 0
; FloatMode: 240
; IeeeMode: 1
; LDSByteSize: 0 bytes/workgroup (compile time only)
; SGPRBlocks: 0
; VGPRBlocks: 0
; NumSGPRsForWavesPerEU: 6
; NumVGPRsForWavesPerEU: 1
; AccumOffset: 4
; Occupancy: 8
; WaveLimiterHint : 0
; COMPUTE_PGM_RSRC2:SCRATCH_EN: 0
; COMPUTE_PGM_RSRC2:USER_SGPR: 0
; COMPUTE_PGM_RSRC2:TRAP_HANDLER: 0
; COMPUTE_PGM_RSRC2:TGID_X_EN: 1
; COMPUTE_PGM_RSRC2:TGID_Y_EN: 0
; COMPUTE_PGM_RSRC2:TGID_Z_EN: 0
; COMPUTE_PGM_RSRC2:TIDIG_COMP_CNT: 0
; COMPUTE_PGM_RSRC3_GFX90A:ACCUM_OFFSET: 0
; COMPUTE_PGM_RSRC3_GFX90A:TG_SPLIT: 0
	.section	.text._ZN7rocprim17ROCPRIM_400000_NS6detail17trampoline_kernelINS0_14default_configENS1_38merge_sort_block_merge_config_selectorIxNS0_10empty_typeEEEZZNS1_27merge_sort_block_merge_implIS3_N6thrust23THRUST_200600_302600_NS6detail15normal_iteratorINS9_10device_ptrIxEEEEPS5_jNS1_19radix_merge_compareILb0ELb0ExNS0_19identity_decomposerEEEEE10hipError_tT0_T1_T2_jT3_P12ihipStream_tbPNSt15iterator_traitsISK_E10value_typeEPNSQ_ISL_E10value_typeEPSM_NS1_7vsmem_tEENKUlT_SK_SL_SM_E_clIPxSE_SF_SF_EESJ_SZ_SK_SL_SM_EUlSZ_E_NS1_11comp_targetILNS1_3genE0ELNS1_11target_archE4294967295ELNS1_3gpuE0ELNS1_3repE0EEENS1_48merge_mergepath_partition_config_static_selectorELNS0_4arch9wavefront6targetE1EEEvSL_,"axG",@progbits,_ZN7rocprim17ROCPRIM_400000_NS6detail17trampoline_kernelINS0_14default_configENS1_38merge_sort_block_merge_config_selectorIxNS0_10empty_typeEEEZZNS1_27merge_sort_block_merge_implIS3_N6thrust23THRUST_200600_302600_NS6detail15normal_iteratorINS9_10device_ptrIxEEEEPS5_jNS1_19radix_merge_compareILb0ELb0ExNS0_19identity_decomposerEEEEE10hipError_tT0_T1_T2_jT3_P12ihipStream_tbPNSt15iterator_traitsISK_E10value_typeEPNSQ_ISL_E10value_typeEPSM_NS1_7vsmem_tEENKUlT_SK_SL_SM_E_clIPxSE_SF_SF_EESJ_SZ_SK_SL_SM_EUlSZ_E_NS1_11comp_targetILNS1_3genE0ELNS1_11target_archE4294967295ELNS1_3gpuE0ELNS1_3repE0EEENS1_48merge_mergepath_partition_config_static_selectorELNS0_4arch9wavefront6targetE1EEEvSL_,comdat
	.protected	_ZN7rocprim17ROCPRIM_400000_NS6detail17trampoline_kernelINS0_14default_configENS1_38merge_sort_block_merge_config_selectorIxNS0_10empty_typeEEEZZNS1_27merge_sort_block_merge_implIS3_N6thrust23THRUST_200600_302600_NS6detail15normal_iteratorINS9_10device_ptrIxEEEEPS5_jNS1_19radix_merge_compareILb0ELb0ExNS0_19identity_decomposerEEEEE10hipError_tT0_T1_T2_jT3_P12ihipStream_tbPNSt15iterator_traitsISK_E10value_typeEPNSQ_ISL_E10value_typeEPSM_NS1_7vsmem_tEENKUlT_SK_SL_SM_E_clIPxSE_SF_SF_EESJ_SZ_SK_SL_SM_EUlSZ_E_NS1_11comp_targetILNS1_3genE0ELNS1_11target_archE4294967295ELNS1_3gpuE0ELNS1_3repE0EEENS1_48merge_mergepath_partition_config_static_selectorELNS0_4arch9wavefront6targetE1EEEvSL_ ; -- Begin function _ZN7rocprim17ROCPRIM_400000_NS6detail17trampoline_kernelINS0_14default_configENS1_38merge_sort_block_merge_config_selectorIxNS0_10empty_typeEEEZZNS1_27merge_sort_block_merge_implIS3_N6thrust23THRUST_200600_302600_NS6detail15normal_iteratorINS9_10device_ptrIxEEEEPS5_jNS1_19radix_merge_compareILb0ELb0ExNS0_19identity_decomposerEEEEE10hipError_tT0_T1_T2_jT3_P12ihipStream_tbPNSt15iterator_traitsISK_E10value_typeEPNSQ_ISL_E10value_typeEPSM_NS1_7vsmem_tEENKUlT_SK_SL_SM_E_clIPxSE_SF_SF_EESJ_SZ_SK_SL_SM_EUlSZ_E_NS1_11comp_targetILNS1_3genE0ELNS1_11target_archE4294967295ELNS1_3gpuE0ELNS1_3repE0EEENS1_48merge_mergepath_partition_config_static_selectorELNS0_4arch9wavefront6targetE1EEEvSL_
	.globl	_ZN7rocprim17ROCPRIM_400000_NS6detail17trampoline_kernelINS0_14default_configENS1_38merge_sort_block_merge_config_selectorIxNS0_10empty_typeEEEZZNS1_27merge_sort_block_merge_implIS3_N6thrust23THRUST_200600_302600_NS6detail15normal_iteratorINS9_10device_ptrIxEEEEPS5_jNS1_19radix_merge_compareILb0ELb0ExNS0_19identity_decomposerEEEEE10hipError_tT0_T1_T2_jT3_P12ihipStream_tbPNSt15iterator_traitsISK_E10value_typeEPNSQ_ISL_E10value_typeEPSM_NS1_7vsmem_tEENKUlT_SK_SL_SM_E_clIPxSE_SF_SF_EESJ_SZ_SK_SL_SM_EUlSZ_E_NS1_11comp_targetILNS1_3genE0ELNS1_11target_archE4294967295ELNS1_3gpuE0ELNS1_3repE0EEENS1_48merge_mergepath_partition_config_static_selectorELNS0_4arch9wavefront6targetE1EEEvSL_
	.p2align	8
	.type	_ZN7rocprim17ROCPRIM_400000_NS6detail17trampoline_kernelINS0_14default_configENS1_38merge_sort_block_merge_config_selectorIxNS0_10empty_typeEEEZZNS1_27merge_sort_block_merge_implIS3_N6thrust23THRUST_200600_302600_NS6detail15normal_iteratorINS9_10device_ptrIxEEEEPS5_jNS1_19radix_merge_compareILb0ELb0ExNS0_19identity_decomposerEEEEE10hipError_tT0_T1_T2_jT3_P12ihipStream_tbPNSt15iterator_traitsISK_E10value_typeEPNSQ_ISL_E10value_typeEPSM_NS1_7vsmem_tEENKUlT_SK_SL_SM_E_clIPxSE_SF_SF_EESJ_SZ_SK_SL_SM_EUlSZ_E_NS1_11comp_targetILNS1_3genE0ELNS1_11target_archE4294967295ELNS1_3gpuE0ELNS1_3repE0EEENS1_48merge_mergepath_partition_config_static_selectorELNS0_4arch9wavefront6targetE1EEEvSL_,@function
_ZN7rocprim17ROCPRIM_400000_NS6detail17trampoline_kernelINS0_14default_configENS1_38merge_sort_block_merge_config_selectorIxNS0_10empty_typeEEEZZNS1_27merge_sort_block_merge_implIS3_N6thrust23THRUST_200600_302600_NS6detail15normal_iteratorINS9_10device_ptrIxEEEEPS5_jNS1_19radix_merge_compareILb0ELb0ExNS0_19identity_decomposerEEEEE10hipError_tT0_T1_T2_jT3_P12ihipStream_tbPNSt15iterator_traitsISK_E10value_typeEPNSQ_ISL_E10value_typeEPSM_NS1_7vsmem_tEENKUlT_SK_SL_SM_E_clIPxSE_SF_SF_EESJ_SZ_SK_SL_SM_EUlSZ_E_NS1_11comp_targetILNS1_3genE0ELNS1_11target_archE4294967295ELNS1_3gpuE0ELNS1_3repE0EEENS1_48merge_mergepath_partition_config_static_selectorELNS0_4arch9wavefront6targetE1EEEvSL_: ; @_ZN7rocprim17ROCPRIM_400000_NS6detail17trampoline_kernelINS0_14default_configENS1_38merge_sort_block_merge_config_selectorIxNS0_10empty_typeEEEZZNS1_27merge_sort_block_merge_implIS3_N6thrust23THRUST_200600_302600_NS6detail15normal_iteratorINS9_10device_ptrIxEEEEPS5_jNS1_19radix_merge_compareILb0ELb0ExNS0_19identity_decomposerEEEEE10hipError_tT0_T1_T2_jT3_P12ihipStream_tbPNSt15iterator_traitsISK_E10value_typeEPNSQ_ISL_E10value_typeEPSM_NS1_7vsmem_tEENKUlT_SK_SL_SM_E_clIPxSE_SF_SF_EESJ_SZ_SK_SL_SM_EUlSZ_E_NS1_11comp_targetILNS1_3genE0ELNS1_11target_archE4294967295ELNS1_3gpuE0ELNS1_3repE0EEENS1_48merge_mergepath_partition_config_static_selectorELNS0_4arch9wavefront6targetE1EEEvSL_
; %bb.0:
	.section	.rodata,"a",@progbits
	.p2align	6, 0x0
	.amdhsa_kernel _ZN7rocprim17ROCPRIM_400000_NS6detail17trampoline_kernelINS0_14default_configENS1_38merge_sort_block_merge_config_selectorIxNS0_10empty_typeEEEZZNS1_27merge_sort_block_merge_implIS3_N6thrust23THRUST_200600_302600_NS6detail15normal_iteratorINS9_10device_ptrIxEEEEPS5_jNS1_19radix_merge_compareILb0ELb0ExNS0_19identity_decomposerEEEEE10hipError_tT0_T1_T2_jT3_P12ihipStream_tbPNSt15iterator_traitsISK_E10value_typeEPNSQ_ISL_E10value_typeEPSM_NS1_7vsmem_tEENKUlT_SK_SL_SM_E_clIPxSE_SF_SF_EESJ_SZ_SK_SL_SM_EUlSZ_E_NS1_11comp_targetILNS1_3genE0ELNS1_11target_archE4294967295ELNS1_3gpuE0ELNS1_3repE0EEENS1_48merge_mergepath_partition_config_static_selectorELNS0_4arch9wavefront6targetE1EEEvSL_
		.amdhsa_group_segment_fixed_size 0
		.amdhsa_private_segment_fixed_size 0
		.amdhsa_kernarg_size 40
		.amdhsa_user_sgpr_count 2
		.amdhsa_user_sgpr_dispatch_ptr 0
		.amdhsa_user_sgpr_queue_ptr 0
		.amdhsa_user_sgpr_kernarg_segment_ptr 1
		.amdhsa_user_sgpr_dispatch_id 0
		.amdhsa_user_sgpr_kernarg_preload_length 0
		.amdhsa_user_sgpr_kernarg_preload_offset 0
		.amdhsa_user_sgpr_private_segment_size 0
		.amdhsa_uses_dynamic_stack 0
		.amdhsa_enable_private_segment 0
		.amdhsa_system_sgpr_workgroup_id_x 1
		.amdhsa_system_sgpr_workgroup_id_y 0
		.amdhsa_system_sgpr_workgroup_id_z 0
		.amdhsa_system_sgpr_workgroup_info 0
		.amdhsa_system_vgpr_workitem_id 0
		.amdhsa_next_free_vgpr 1
		.amdhsa_next_free_sgpr 0
		.amdhsa_accum_offset 4
		.amdhsa_reserve_vcc 0
		.amdhsa_float_round_mode_32 0
		.amdhsa_float_round_mode_16_64 0
		.amdhsa_float_denorm_mode_32 3
		.amdhsa_float_denorm_mode_16_64 3
		.amdhsa_dx10_clamp 1
		.amdhsa_ieee_mode 1
		.amdhsa_fp16_overflow 0
		.amdhsa_tg_split 0
		.amdhsa_exception_fp_ieee_invalid_op 0
		.amdhsa_exception_fp_denorm_src 0
		.amdhsa_exception_fp_ieee_div_zero 0
		.amdhsa_exception_fp_ieee_overflow 0
		.amdhsa_exception_fp_ieee_underflow 0
		.amdhsa_exception_fp_ieee_inexact 0
		.amdhsa_exception_int_div_zero 0
	.end_amdhsa_kernel
	.section	.text._ZN7rocprim17ROCPRIM_400000_NS6detail17trampoline_kernelINS0_14default_configENS1_38merge_sort_block_merge_config_selectorIxNS0_10empty_typeEEEZZNS1_27merge_sort_block_merge_implIS3_N6thrust23THRUST_200600_302600_NS6detail15normal_iteratorINS9_10device_ptrIxEEEEPS5_jNS1_19radix_merge_compareILb0ELb0ExNS0_19identity_decomposerEEEEE10hipError_tT0_T1_T2_jT3_P12ihipStream_tbPNSt15iterator_traitsISK_E10value_typeEPNSQ_ISL_E10value_typeEPSM_NS1_7vsmem_tEENKUlT_SK_SL_SM_E_clIPxSE_SF_SF_EESJ_SZ_SK_SL_SM_EUlSZ_E_NS1_11comp_targetILNS1_3genE0ELNS1_11target_archE4294967295ELNS1_3gpuE0ELNS1_3repE0EEENS1_48merge_mergepath_partition_config_static_selectorELNS0_4arch9wavefront6targetE1EEEvSL_,"axG",@progbits,_ZN7rocprim17ROCPRIM_400000_NS6detail17trampoline_kernelINS0_14default_configENS1_38merge_sort_block_merge_config_selectorIxNS0_10empty_typeEEEZZNS1_27merge_sort_block_merge_implIS3_N6thrust23THRUST_200600_302600_NS6detail15normal_iteratorINS9_10device_ptrIxEEEEPS5_jNS1_19radix_merge_compareILb0ELb0ExNS0_19identity_decomposerEEEEE10hipError_tT0_T1_T2_jT3_P12ihipStream_tbPNSt15iterator_traitsISK_E10value_typeEPNSQ_ISL_E10value_typeEPSM_NS1_7vsmem_tEENKUlT_SK_SL_SM_E_clIPxSE_SF_SF_EESJ_SZ_SK_SL_SM_EUlSZ_E_NS1_11comp_targetILNS1_3genE0ELNS1_11target_archE4294967295ELNS1_3gpuE0ELNS1_3repE0EEENS1_48merge_mergepath_partition_config_static_selectorELNS0_4arch9wavefront6targetE1EEEvSL_,comdat
.Lfunc_end1410:
	.size	_ZN7rocprim17ROCPRIM_400000_NS6detail17trampoline_kernelINS0_14default_configENS1_38merge_sort_block_merge_config_selectorIxNS0_10empty_typeEEEZZNS1_27merge_sort_block_merge_implIS3_N6thrust23THRUST_200600_302600_NS6detail15normal_iteratorINS9_10device_ptrIxEEEEPS5_jNS1_19radix_merge_compareILb0ELb0ExNS0_19identity_decomposerEEEEE10hipError_tT0_T1_T2_jT3_P12ihipStream_tbPNSt15iterator_traitsISK_E10value_typeEPNSQ_ISL_E10value_typeEPSM_NS1_7vsmem_tEENKUlT_SK_SL_SM_E_clIPxSE_SF_SF_EESJ_SZ_SK_SL_SM_EUlSZ_E_NS1_11comp_targetILNS1_3genE0ELNS1_11target_archE4294967295ELNS1_3gpuE0ELNS1_3repE0EEENS1_48merge_mergepath_partition_config_static_selectorELNS0_4arch9wavefront6targetE1EEEvSL_, .Lfunc_end1410-_ZN7rocprim17ROCPRIM_400000_NS6detail17trampoline_kernelINS0_14default_configENS1_38merge_sort_block_merge_config_selectorIxNS0_10empty_typeEEEZZNS1_27merge_sort_block_merge_implIS3_N6thrust23THRUST_200600_302600_NS6detail15normal_iteratorINS9_10device_ptrIxEEEEPS5_jNS1_19radix_merge_compareILb0ELb0ExNS0_19identity_decomposerEEEEE10hipError_tT0_T1_T2_jT3_P12ihipStream_tbPNSt15iterator_traitsISK_E10value_typeEPNSQ_ISL_E10value_typeEPSM_NS1_7vsmem_tEENKUlT_SK_SL_SM_E_clIPxSE_SF_SF_EESJ_SZ_SK_SL_SM_EUlSZ_E_NS1_11comp_targetILNS1_3genE0ELNS1_11target_archE4294967295ELNS1_3gpuE0ELNS1_3repE0EEENS1_48merge_mergepath_partition_config_static_selectorELNS0_4arch9wavefront6targetE1EEEvSL_
                                        ; -- End function
	.section	.AMDGPU.csdata,"",@progbits
; Kernel info:
; codeLenInByte = 0
; NumSgprs: 6
; NumVgprs: 0
; NumAgprs: 0
; TotalNumVgprs: 0
; ScratchSize: 0
; MemoryBound: 0
; FloatMode: 240
; IeeeMode: 1
; LDSByteSize: 0 bytes/workgroup (compile time only)
; SGPRBlocks: 0
; VGPRBlocks: 0
; NumSGPRsForWavesPerEU: 6
; NumVGPRsForWavesPerEU: 1
; AccumOffset: 4
; Occupancy: 8
; WaveLimiterHint : 0
; COMPUTE_PGM_RSRC2:SCRATCH_EN: 0
; COMPUTE_PGM_RSRC2:USER_SGPR: 2
; COMPUTE_PGM_RSRC2:TRAP_HANDLER: 0
; COMPUTE_PGM_RSRC2:TGID_X_EN: 1
; COMPUTE_PGM_RSRC2:TGID_Y_EN: 0
; COMPUTE_PGM_RSRC2:TGID_Z_EN: 0
; COMPUTE_PGM_RSRC2:TIDIG_COMP_CNT: 0
; COMPUTE_PGM_RSRC3_GFX90A:ACCUM_OFFSET: 0
; COMPUTE_PGM_RSRC3_GFX90A:TG_SPLIT: 0
	.section	.text._ZN7rocprim17ROCPRIM_400000_NS6detail17trampoline_kernelINS0_14default_configENS1_38merge_sort_block_merge_config_selectorIxNS0_10empty_typeEEEZZNS1_27merge_sort_block_merge_implIS3_N6thrust23THRUST_200600_302600_NS6detail15normal_iteratorINS9_10device_ptrIxEEEEPS5_jNS1_19radix_merge_compareILb0ELb0ExNS0_19identity_decomposerEEEEE10hipError_tT0_T1_T2_jT3_P12ihipStream_tbPNSt15iterator_traitsISK_E10value_typeEPNSQ_ISL_E10value_typeEPSM_NS1_7vsmem_tEENKUlT_SK_SL_SM_E_clIPxSE_SF_SF_EESJ_SZ_SK_SL_SM_EUlSZ_E_NS1_11comp_targetILNS1_3genE10ELNS1_11target_archE1201ELNS1_3gpuE5ELNS1_3repE0EEENS1_48merge_mergepath_partition_config_static_selectorELNS0_4arch9wavefront6targetE1EEEvSL_,"axG",@progbits,_ZN7rocprim17ROCPRIM_400000_NS6detail17trampoline_kernelINS0_14default_configENS1_38merge_sort_block_merge_config_selectorIxNS0_10empty_typeEEEZZNS1_27merge_sort_block_merge_implIS3_N6thrust23THRUST_200600_302600_NS6detail15normal_iteratorINS9_10device_ptrIxEEEEPS5_jNS1_19radix_merge_compareILb0ELb0ExNS0_19identity_decomposerEEEEE10hipError_tT0_T1_T2_jT3_P12ihipStream_tbPNSt15iterator_traitsISK_E10value_typeEPNSQ_ISL_E10value_typeEPSM_NS1_7vsmem_tEENKUlT_SK_SL_SM_E_clIPxSE_SF_SF_EESJ_SZ_SK_SL_SM_EUlSZ_E_NS1_11comp_targetILNS1_3genE10ELNS1_11target_archE1201ELNS1_3gpuE5ELNS1_3repE0EEENS1_48merge_mergepath_partition_config_static_selectorELNS0_4arch9wavefront6targetE1EEEvSL_,comdat
	.protected	_ZN7rocprim17ROCPRIM_400000_NS6detail17trampoline_kernelINS0_14default_configENS1_38merge_sort_block_merge_config_selectorIxNS0_10empty_typeEEEZZNS1_27merge_sort_block_merge_implIS3_N6thrust23THRUST_200600_302600_NS6detail15normal_iteratorINS9_10device_ptrIxEEEEPS5_jNS1_19radix_merge_compareILb0ELb0ExNS0_19identity_decomposerEEEEE10hipError_tT0_T1_T2_jT3_P12ihipStream_tbPNSt15iterator_traitsISK_E10value_typeEPNSQ_ISL_E10value_typeEPSM_NS1_7vsmem_tEENKUlT_SK_SL_SM_E_clIPxSE_SF_SF_EESJ_SZ_SK_SL_SM_EUlSZ_E_NS1_11comp_targetILNS1_3genE10ELNS1_11target_archE1201ELNS1_3gpuE5ELNS1_3repE0EEENS1_48merge_mergepath_partition_config_static_selectorELNS0_4arch9wavefront6targetE1EEEvSL_ ; -- Begin function _ZN7rocprim17ROCPRIM_400000_NS6detail17trampoline_kernelINS0_14default_configENS1_38merge_sort_block_merge_config_selectorIxNS0_10empty_typeEEEZZNS1_27merge_sort_block_merge_implIS3_N6thrust23THRUST_200600_302600_NS6detail15normal_iteratorINS9_10device_ptrIxEEEEPS5_jNS1_19radix_merge_compareILb0ELb0ExNS0_19identity_decomposerEEEEE10hipError_tT0_T1_T2_jT3_P12ihipStream_tbPNSt15iterator_traitsISK_E10value_typeEPNSQ_ISL_E10value_typeEPSM_NS1_7vsmem_tEENKUlT_SK_SL_SM_E_clIPxSE_SF_SF_EESJ_SZ_SK_SL_SM_EUlSZ_E_NS1_11comp_targetILNS1_3genE10ELNS1_11target_archE1201ELNS1_3gpuE5ELNS1_3repE0EEENS1_48merge_mergepath_partition_config_static_selectorELNS0_4arch9wavefront6targetE1EEEvSL_
	.globl	_ZN7rocprim17ROCPRIM_400000_NS6detail17trampoline_kernelINS0_14default_configENS1_38merge_sort_block_merge_config_selectorIxNS0_10empty_typeEEEZZNS1_27merge_sort_block_merge_implIS3_N6thrust23THRUST_200600_302600_NS6detail15normal_iteratorINS9_10device_ptrIxEEEEPS5_jNS1_19radix_merge_compareILb0ELb0ExNS0_19identity_decomposerEEEEE10hipError_tT0_T1_T2_jT3_P12ihipStream_tbPNSt15iterator_traitsISK_E10value_typeEPNSQ_ISL_E10value_typeEPSM_NS1_7vsmem_tEENKUlT_SK_SL_SM_E_clIPxSE_SF_SF_EESJ_SZ_SK_SL_SM_EUlSZ_E_NS1_11comp_targetILNS1_3genE10ELNS1_11target_archE1201ELNS1_3gpuE5ELNS1_3repE0EEENS1_48merge_mergepath_partition_config_static_selectorELNS0_4arch9wavefront6targetE1EEEvSL_
	.p2align	8
	.type	_ZN7rocprim17ROCPRIM_400000_NS6detail17trampoline_kernelINS0_14default_configENS1_38merge_sort_block_merge_config_selectorIxNS0_10empty_typeEEEZZNS1_27merge_sort_block_merge_implIS3_N6thrust23THRUST_200600_302600_NS6detail15normal_iteratorINS9_10device_ptrIxEEEEPS5_jNS1_19radix_merge_compareILb0ELb0ExNS0_19identity_decomposerEEEEE10hipError_tT0_T1_T2_jT3_P12ihipStream_tbPNSt15iterator_traitsISK_E10value_typeEPNSQ_ISL_E10value_typeEPSM_NS1_7vsmem_tEENKUlT_SK_SL_SM_E_clIPxSE_SF_SF_EESJ_SZ_SK_SL_SM_EUlSZ_E_NS1_11comp_targetILNS1_3genE10ELNS1_11target_archE1201ELNS1_3gpuE5ELNS1_3repE0EEENS1_48merge_mergepath_partition_config_static_selectorELNS0_4arch9wavefront6targetE1EEEvSL_,@function
_ZN7rocprim17ROCPRIM_400000_NS6detail17trampoline_kernelINS0_14default_configENS1_38merge_sort_block_merge_config_selectorIxNS0_10empty_typeEEEZZNS1_27merge_sort_block_merge_implIS3_N6thrust23THRUST_200600_302600_NS6detail15normal_iteratorINS9_10device_ptrIxEEEEPS5_jNS1_19radix_merge_compareILb0ELb0ExNS0_19identity_decomposerEEEEE10hipError_tT0_T1_T2_jT3_P12ihipStream_tbPNSt15iterator_traitsISK_E10value_typeEPNSQ_ISL_E10value_typeEPSM_NS1_7vsmem_tEENKUlT_SK_SL_SM_E_clIPxSE_SF_SF_EESJ_SZ_SK_SL_SM_EUlSZ_E_NS1_11comp_targetILNS1_3genE10ELNS1_11target_archE1201ELNS1_3gpuE5ELNS1_3repE0EEENS1_48merge_mergepath_partition_config_static_selectorELNS0_4arch9wavefront6targetE1EEEvSL_: ; @_ZN7rocprim17ROCPRIM_400000_NS6detail17trampoline_kernelINS0_14default_configENS1_38merge_sort_block_merge_config_selectorIxNS0_10empty_typeEEEZZNS1_27merge_sort_block_merge_implIS3_N6thrust23THRUST_200600_302600_NS6detail15normal_iteratorINS9_10device_ptrIxEEEEPS5_jNS1_19radix_merge_compareILb0ELb0ExNS0_19identity_decomposerEEEEE10hipError_tT0_T1_T2_jT3_P12ihipStream_tbPNSt15iterator_traitsISK_E10value_typeEPNSQ_ISL_E10value_typeEPSM_NS1_7vsmem_tEENKUlT_SK_SL_SM_E_clIPxSE_SF_SF_EESJ_SZ_SK_SL_SM_EUlSZ_E_NS1_11comp_targetILNS1_3genE10ELNS1_11target_archE1201ELNS1_3gpuE5ELNS1_3repE0EEENS1_48merge_mergepath_partition_config_static_selectorELNS0_4arch9wavefront6targetE1EEEvSL_
; %bb.0:
	.section	.rodata,"a",@progbits
	.p2align	6, 0x0
	.amdhsa_kernel _ZN7rocprim17ROCPRIM_400000_NS6detail17trampoline_kernelINS0_14default_configENS1_38merge_sort_block_merge_config_selectorIxNS0_10empty_typeEEEZZNS1_27merge_sort_block_merge_implIS3_N6thrust23THRUST_200600_302600_NS6detail15normal_iteratorINS9_10device_ptrIxEEEEPS5_jNS1_19radix_merge_compareILb0ELb0ExNS0_19identity_decomposerEEEEE10hipError_tT0_T1_T2_jT3_P12ihipStream_tbPNSt15iterator_traitsISK_E10value_typeEPNSQ_ISL_E10value_typeEPSM_NS1_7vsmem_tEENKUlT_SK_SL_SM_E_clIPxSE_SF_SF_EESJ_SZ_SK_SL_SM_EUlSZ_E_NS1_11comp_targetILNS1_3genE10ELNS1_11target_archE1201ELNS1_3gpuE5ELNS1_3repE0EEENS1_48merge_mergepath_partition_config_static_selectorELNS0_4arch9wavefront6targetE1EEEvSL_
		.amdhsa_group_segment_fixed_size 0
		.amdhsa_private_segment_fixed_size 0
		.amdhsa_kernarg_size 40
		.amdhsa_user_sgpr_count 2
		.amdhsa_user_sgpr_dispatch_ptr 0
		.amdhsa_user_sgpr_queue_ptr 0
		.amdhsa_user_sgpr_kernarg_segment_ptr 1
		.amdhsa_user_sgpr_dispatch_id 0
		.amdhsa_user_sgpr_kernarg_preload_length 0
		.amdhsa_user_sgpr_kernarg_preload_offset 0
		.amdhsa_user_sgpr_private_segment_size 0
		.amdhsa_uses_dynamic_stack 0
		.amdhsa_enable_private_segment 0
		.amdhsa_system_sgpr_workgroup_id_x 1
		.amdhsa_system_sgpr_workgroup_id_y 0
		.amdhsa_system_sgpr_workgroup_id_z 0
		.amdhsa_system_sgpr_workgroup_info 0
		.amdhsa_system_vgpr_workitem_id 0
		.amdhsa_next_free_vgpr 1
		.amdhsa_next_free_sgpr 0
		.amdhsa_accum_offset 4
		.amdhsa_reserve_vcc 0
		.amdhsa_float_round_mode_32 0
		.amdhsa_float_round_mode_16_64 0
		.amdhsa_float_denorm_mode_32 3
		.amdhsa_float_denorm_mode_16_64 3
		.amdhsa_dx10_clamp 1
		.amdhsa_ieee_mode 1
		.amdhsa_fp16_overflow 0
		.amdhsa_tg_split 0
		.amdhsa_exception_fp_ieee_invalid_op 0
		.amdhsa_exception_fp_denorm_src 0
		.amdhsa_exception_fp_ieee_div_zero 0
		.amdhsa_exception_fp_ieee_overflow 0
		.amdhsa_exception_fp_ieee_underflow 0
		.amdhsa_exception_fp_ieee_inexact 0
		.amdhsa_exception_int_div_zero 0
	.end_amdhsa_kernel
	.section	.text._ZN7rocprim17ROCPRIM_400000_NS6detail17trampoline_kernelINS0_14default_configENS1_38merge_sort_block_merge_config_selectorIxNS0_10empty_typeEEEZZNS1_27merge_sort_block_merge_implIS3_N6thrust23THRUST_200600_302600_NS6detail15normal_iteratorINS9_10device_ptrIxEEEEPS5_jNS1_19radix_merge_compareILb0ELb0ExNS0_19identity_decomposerEEEEE10hipError_tT0_T1_T2_jT3_P12ihipStream_tbPNSt15iterator_traitsISK_E10value_typeEPNSQ_ISL_E10value_typeEPSM_NS1_7vsmem_tEENKUlT_SK_SL_SM_E_clIPxSE_SF_SF_EESJ_SZ_SK_SL_SM_EUlSZ_E_NS1_11comp_targetILNS1_3genE10ELNS1_11target_archE1201ELNS1_3gpuE5ELNS1_3repE0EEENS1_48merge_mergepath_partition_config_static_selectorELNS0_4arch9wavefront6targetE1EEEvSL_,"axG",@progbits,_ZN7rocprim17ROCPRIM_400000_NS6detail17trampoline_kernelINS0_14default_configENS1_38merge_sort_block_merge_config_selectorIxNS0_10empty_typeEEEZZNS1_27merge_sort_block_merge_implIS3_N6thrust23THRUST_200600_302600_NS6detail15normal_iteratorINS9_10device_ptrIxEEEEPS5_jNS1_19radix_merge_compareILb0ELb0ExNS0_19identity_decomposerEEEEE10hipError_tT0_T1_T2_jT3_P12ihipStream_tbPNSt15iterator_traitsISK_E10value_typeEPNSQ_ISL_E10value_typeEPSM_NS1_7vsmem_tEENKUlT_SK_SL_SM_E_clIPxSE_SF_SF_EESJ_SZ_SK_SL_SM_EUlSZ_E_NS1_11comp_targetILNS1_3genE10ELNS1_11target_archE1201ELNS1_3gpuE5ELNS1_3repE0EEENS1_48merge_mergepath_partition_config_static_selectorELNS0_4arch9wavefront6targetE1EEEvSL_,comdat
.Lfunc_end1411:
	.size	_ZN7rocprim17ROCPRIM_400000_NS6detail17trampoline_kernelINS0_14default_configENS1_38merge_sort_block_merge_config_selectorIxNS0_10empty_typeEEEZZNS1_27merge_sort_block_merge_implIS3_N6thrust23THRUST_200600_302600_NS6detail15normal_iteratorINS9_10device_ptrIxEEEEPS5_jNS1_19radix_merge_compareILb0ELb0ExNS0_19identity_decomposerEEEEE10hipError_tT0_T1_T2_jT3_P12ihipStream_tbPNSt15iterator_traitsISK_E10value_typeEPNSQ_ISL_E10value_typeEPSM_NS1_7vsmem_tEENKUlT_SK_SL_SM_E_clIPxSE_SF_SF_EESJ_SZ_SK_SL_SM_EUlSZ_E_NS1_11comp_targetILNS1_3genE10ELNS1_11target_archE1201ELNS1_3gpuE5ELNS1_3repE0EEENS1_48merge_mergepath_partition_config_static_selectorELNS0_4arch9wavefront6targetE1EEEvSL_, .Lfunc_end1411-_ZN7rocprim17ROCPRIM_400000_NS6detail17trampoline_kernelINS0_14default_configENS1_38merge_sort_block_merge_config_selectorIxNS0_10empty_typeEEEZZNS1_27merge_sort_block_merge_implIS3_N6thrust23THRUST_200600_302600_NS6detail15normal_iteratorINS9_10device_ptrIxEEEEPS5_jNS1_19radix_merge_compareILb0ELb0ExNS0_19identity_decomposerEEEEE10hipError_tT0_T1_T2_jT3_P12ihipStream_tbPNSt15iterator_traitsISK_E10value_typeEPNSQ_ISL_E10value_typeEPSM_NS1_7vsmem_tEENKUlT_SK_SL_SM_E_clIPxSE_SF_SF_EESJ_SZ_SK_SL_SM_EUlSZ_E_NS1_11comp_targetILNS1_3genE10ELNS1_11target_archE1201ELNS1_3gpuE5ELNS1_3repE0EEENS1_48merge_mergepath_partition_config_static_selectorELNS0_4arch9wavefront6targetE1EEEvSL_
                                        ; -- End function
	.section	.AMDGPU.csdata,"",@progbits
; Kernel info:
; codeLenInByte = 0
; NumSgprs: 6
; NumVgprs: 0
; NumAgprs: 0
; TotalNumVgprs: 0
; ScratchSize: 0
; MemoryBound: 0
; FloatMode: 240
; IeeeMode: 1
; LDSByteSize: 0 bytes/workgroup (compile time only)
; SGPRBlocks: 0
; VGPRBlocks: 0
; NumSGPRsForWavesPerEU: 6
; NumVGPRsForWavesPerEU: 1
; AccumOffset: 4
; Occupancy: 8
; WaveLimiterHint : 0
; COMPUTE_PGM_RSRC2:SCRATCH_EN: 0
; COMPUTE_PGM_RSRC2:USER_SGPR: 2
; COMPUTE_PGM_RSRC2:TRAP_HANDLER: 0
; COMPUTE_PGM_RSRC2:TGID_X_EN: 1
; COMPUTE_PGM_RSRC2:TGID_Y_EN: 0
; COMPUTE_PGM_RSRC2:TGID_Z_EN: 0
; COMPUTE_PGM_RSRC2:TIDIG_COMP_CNT: 0
; COMPUTE_PGM_RSRC3_GFX90A:ACCUM_OFFSET: 0
; COMPUTE_PGM_RSRC3_GFX90A:TG_SPLIT: 0
	.section	.text._ZN7rocprim17ROCPRIM_400000_NS6detail17trampoline_kernelINS0_14default_configENS1_38merge_sort_block_merge_config_selectorIxNS0_10empty_typeEEEZZNS1_27merge_sort_block_merge_implIS3_N6thrust23THRUST_200600_302600_NS6detail15normal_iteratorINS9_10device_ptrIxEEEEPS5_jNS1_19radix_merge_compareILb0ELb0ExNS0_19identity_decomposerEEEEE10hipError_tT0_T1_T2_jT3_P12ihipStream_tbPNSt15iterator_traitsISK_E10value_typeEPNSQ_ISL_E10value_typeEPSM_NS1_7vsmem_tEENKUlT_SK_SL_SM_E_clIPxSE_SF_SF_EESJ_SZ_SK_SL_SM_EUlSZ_E_NS1_11comp_targetILNS1_3genE5ELNS1_11target_archE942ELNS1_3gpuE9ELNS1_3repE0EEENS1_48merge_mergepath_partition_config_static_selectorELNS0_4arch9wavefront6targetE1EEEvSL_,"axG",@progbits,_ZN7rocprim17ROCPRIM_400000_NS6detail17trampoline_kernelINS0_14default_configENS1_38merge_sort_block_merge_config_selectorIxNS0_10empty_typeEEEZZNS1_27merge_sort_block_merge_implIS3_N6thrust23THRUST_200600_302600_NS6detail15normal_iteratorINS9_10device_ptrIxEEEEPS5_jNS1_19radix_merge_compareILb0ELb0ExNS0_19identity_decomposerEEEEE10hipError_tT0_T1_T2_jT3_P12ihipStream_tbPNSt15iterator_traitsISK_E10value_typeEPNSQ_ISL_E10value_typeEPSM_NS1_7vsmem_tEENKUlT_SK_SL_SM_E_clIPxSE_SF_SF_EESJ_SZ_SK_SL_SM_EUlSZ_E_NS1_11comp_targetILNS1_3genE5ELNS1_11target_archE942ELNS1_3gpuE9ELNS1_3repE0EEENS1_48merge_mergepath_partition_config_static_selectorELNS0_4arch9wavefront6targetE1EEEvSL_,comdat
	.protected	_ZN7rocprim17ROCPRIM_400000_NS6detail17trampoline_kernelINS0_14default_configENS1_38merge_sort_block_merge_config_selectorIxNS0_10empty_typeEEEZZNS1_27merge_sort_block_merge_implIS3_N6thrust23THRUST_200600_302600_NS6detail15normal_iteratorINS9_10device_ptrIxEEEEPS5_jNS1_19radix_merge_compareILb0ELb0ExNS0_19identity_decomposerEEEEE10hipError_tT0_T1_T2_jT3_P12ihipStream_tbPNSt15iterator_traitsISK_E10value_typeEPNSQ_ISL_E10value_typeEPSM_NS1_7vsmem_tEENKUlT_SK_SL_SM_E_clIPxSE_SF_SF_EESJ_SZ_SK_SL_SM_EUlSZ_E_NS1_11comp_targetILNS1_3genE5ELNS1_11target_archE942ELNS1_3gpuE9ELNS1_3repE0EEENS1_48merge_mergepath_partition_config_static_selectorELNS0_4arch9wavefront6targetE1EEEvSL_ ; -- Begin function _ZN7rocprim17ROCPRIM_400000_NS6detail17trampoline_kernelINS0_14default_configENS1_38merge_sort_block_merge_config_selectorIxNS0_10empty_typeEEEZZNS1_27merge_sort_block_merge_implIS3_N6thrust23THRUST_200600_302600_NS6detail15normal_iteratorINS9_10device_ptrIxEEEEPS5_jNS1_19radix_merge_compareILb0ELb0ExNS0_19identity_decomposerEEEEE10hipError_tT0_T1_T2_jT3_P12ihipStream_tbPNSt15iterator_traitsISK_E10value_typeEPNSQ_ISL_E10value_typeEPSM_NS1_7vsmem_tEENKUlT_SK_SL_SM_E_clIPxSE_SF_SF_EESJ_SZ_SK_SL_SM_EUlSZ_E_NS1_11comp_targetILNS1_3genE5ELNS1_11target_archE942ELNS1_3gpuE9ELNS1_3repE0EEENS1_48merge_mergepath_partition_config_static_selectorELNS0_4arch9wavefront6targetE1EEEvSL_
	.globl	_ZN7rocprim17ROCPRIM_400000_NS6detail17trampoline_kernelINS0_14default_configENS1_38merge_sort_block_merge_config_selectorIxNS0_10empty_typeEEEZZNS1_27merge_sort_block_merge_implIS3_N6thrust23THRUST_200600_302600_NS6detail15normal_iteratorINS9_10device_ptrIxEEEEPS5_jNS1_19radix_merge_compareILb0ELb0ExNS0_19identity_decomposerEEEEE10hipError_tT0_T1_T2_jT3_P12ihipStream_tbPNSt15iterator_traitsISK_E10value_typeEPNSQ_ISL_E10value_typeEPSM_NS1_7vsmem_tEENKUlT_SK_SL_SM_E_clIPxSE_SF_SF_EESJ_SZ_SK_SL_SM_EUlSZ_E_NS1_11comp_targetILNS1_3genE5ELNS1_11target_archE942ELNS1_3gpuE9ELNS1_3repE0EEENS1_48merge_mergepath_partition_config_static_selectorELNS0_4arch9wavefront6targetE1EEEvSL_
	.p2align	8
	.type	_ZN7rocprim17ROCPRIM_400000_NS6detail17trampoline_kernelINS0_14default_configENS1_38merge_sort_block_merge_config_selectorIxNS0_10empty_typeEEEZZNS1_27merge_sort_block_merge_implIS3_N6thrust23THRUST_200600_302600_NS6detail15normal_iteratorINS9_10device_ptrIxEEEEPS5_jNS1_19radix_merge_compareILb0ELb0ExNS0_19identity_decomposerEEEEE10hipError_tT0_T1_T2_jT3_P12ihipStream_tbPNSt15iterator_traitsISK_E10value_typeEPNSQ_ISL_E10value_typeEPSM_NS1_7vsmem_tEENKUlT_SK_SL_SM_E_clIPxSE_SF_SF_EESJ_SZ_SK_SL_SM_EUlSZ_E_NS1_11comp_targetILNS1_3genE5ELNS1_11target_archE942ELNS1_3gpuE9ELNS1_3repE0EEENS1_48merge_mergepath_partition_config_static_selectorELNS0_4arch9wavefront6targetE1EEEvSL_,@function
_ZN7rocprim17ROCPRIM_400000_NS6detail17trampoline_kernelINS0_14default_configENS1_38merge_sort_block_merge_config_selectorIxNS0_10empty_typeEEEZZNS1_27merge_sort_block_merge_implIS3_N6thrust23THRUST_200600_302600_NS6detail15normal_iteratorINS9_10device_ptrIxEEEEPS5_jNS1_19radix_merge_compareILb0ELb0ExNS0_19identity_decomposerEEEEE10hipError_tT0_T1_T2_jT3_P12ihipStream_tbPNSt15iterator_traitsISK_E10value_typeEPNSQ_ISL_E10value_typeEPSM_NS1_7vsmem_tEENKUlT_SK_SL_SM_E_clIPxSE_SF_SF_EESJ_SZ_SK_SL_SM_EUlSZ_E_NS1_11comp_targetILNS1_3genE5ELNS1_11target_archE942ELNS1_3gpuE9ELNS1_3repE0EEENS1_48merge_mergepath_partition_config_static_selectorELNS0_4arch9wavefront6targetE1EEEvSL_: ; @_ZN7rocprim17ROCPRIM_400000_NS6detail17trampoline_kernelINS0_14default_configENS1_38merge_sort_block_merge_config_selectorIxNS0_10empty_typeEEEZZNS1_27merge_sort_block_merge_implIS3_N6thrust23THRUST_200600_302600_NS6detail15normal_iteratorINS9_10device_ptrIxEEEEPS5_jNS1_19radix_merge_compareILb0ELb0ExNS0_19identity_decomposerEEEEE10hipError_tT0_T1_T2_jT3_P12ihipStream_tbPNSt15iterator_traitsISK_E10value_typeEPNSQ_ISL_E10value_typeEPSM_NS1_7vsmem_tEENKUlT_SK_SL_SM_E_clIPxSE_SF_SF_EESJ_SZ_SK_SL_SM_EUlSZ_E_NS1_11comp_targetILNS1_3genE5ELNS1_11target_archE942ELNS1_3gpuE9ELNS1_3repE0EEENS1_48merge_mergepath_partition_config_static_selectorELNS0_4arch9wavefront6targetE1EEEvSL_
; %bb.0:
	s_load_dword s3, s[0:1], 0x0
	v_lshl_or_b32 v0, s2, 7, v0
	s_waitcnt lgkmcnt(0)
	v_cmp_gt_u32_e32 vcc, s3, v0
	s_and_saveexec_b64 s[2:3], vcc
	s_cbranch_execz .LBB1412_6
; %bb.1:
	s_load_dwordx2 s[4:5], s[0:1], 0x4
	s_load_dwordx2 s[2:3], s[0:1], 0x20
	s_waitcnt lgkmcnt(0)
	s_lshr_b32 s6, s4, 9
	s_and_b32 s6, s6, 0x7ffffe
	s_add_i32 s7, s6, -1
	s_sub_i32 s6, 0, s6
	v_and_b32_e32 v1, s6, v0
	v_lshlrev_b32_e32 v1, 10, v1
	v_min_u32_e32 v2, s5, v1
	v_add_u32_e32 v1, s4, v1
	v_min_u32_e32 v4, s5, v1
	v_add_u32_e32 v1, s4, v4
	v_and_b32_e32 v3, s7, v0
	v_min_u32_e32 v1, s5, v1
	v_sub_u32_e32 v5, v1, v2
	v_lshlrev_b32_e32 v3, 10, v3
	v_min_u32_e32 v10, v5, v3
	v_sub_u32_e32 v3, v4, v2
	v_sub_u32_e32 v1, v1, v4
	v_sub_u32_e64 v1, v10, v1 clamp
	v_min_u32_e32 v11, v10, v3
	v_cmp_lt_u32_e32 vcc, v1, v11
	s_and_saveexec_b64 s[4:5], vcc
	s_cbranch_execz .LBB1412_5
; %bb.2:
	s_load_dwordx2 s[0:1], s[0:1], 0x10
	v_mov_b32_e32 v5, 0
	v_mov_b32_e32 v3, v5
	s_waitcnt lgkmcnt(0)
	v_lshl_add_u64 v[6:7], v[2:3], 3, s[0:1]
	v_lshl_add_u64 v[8:9], v[4:5], 3, s[0:1]
	s_mov_b64 s[0:1], 0
.LBB1412_3:                             ; =>This Inner Loop Header: Depth=1
	v_add_u32_e32 v3, v11, v1
	v_lshrrev_b32_e32 v4, 1, v3
	v_mov_b32_e32 v13, v5
	v_xad_u32 v12, v4, -1, v10
	v_lshl_add_u64 v[14:15], v[4:5], 3, v[6:7]
	v_lshl_add_u64 v[12:13], v[12:13], 3, v[8:9]
	global_load_dwordx2 v[16:17], v[14:15], off
	global_load_dwordx2 v[18:19], v[12:13], off
	v_add_u32_e32 v3, 1, v4
	s_waitcnt vmcnt(0)
	v_cmp_gt_i64_e32 vcc, v[16:17], v[18:19]
	s_nop 1
	v_cndmask_b32_e32 v11, v11, v4, vcc
	v_cndmask_b32_e32 v1, v3, v1, vcc
	v_cmp_ge_u32_e32 vcc, v1, v11
	s_or_b64 s[0:1], vcc, s[0:1]
	s_andn2_b64 exec, exec, s[0:1]
	s_cbranch_execnz .LBB1412_3
; %bb.4:
	s_or_b64 exec, exec, s[0:1]
.LBB1412_5:
	s_or_b64 exec, exec, s[4:5]
	v_add_u32_e32 v2, v1, v2
	v_mov_b32_e32 v1, 0
	v_lshl_add_u64 v[0:1], v[0:1], 2, s[2:3]
	global_store_dword v[0:1], v2, off
.LBB1412_6:
	s_endpgm
	.section	.rodata,"a",@progbits
	.p2align	6, 0x0
	.amdhsa_kernel _ZN7rocprim17ROCPRIM_400000_NS6detail17trampoline_kernelINS0_14default_configENS1_38merge_sort_block_merge_config_selectorIxNS0_10empty_typeEEEZZNS1_27merge_sort_block_merge_implIS3_N6thrust23THRUST_200600_302600_NS6detail15normal_iteratorINS9_10device_ptrIxEEEEPS5_jNS1_19radix_merge_compareILb0ELb0ExNS0_19identity_decomposerEEEEE10hipError_tT0_T1_T2_jT3_P12ihipStream_tbPNSt15iterator_traitsISK_E10value_typeEPNSQ_ISL_E10value_typeEPSM_NS1_7vsmem_tEENKUlT_SK_SL_SM_E_clIPxSE_SF_SF_EESJ_SZ_SK_SL_SM_EUlSZ_E_NS1_11comp_targetILNS1_3genE5ELNS1_11target_archE942ELNS1_3gpuE9ELNS1_3repE0EEENS1_48merge_mergepath_partition_config_static_selectorELNS0_4arch9wavefront6targetE1EEEvSL_
		.amdhsa_group_segment_fixed_size 0
		.amdhsa_private_segment_fixed_size 0
		.amdhsa_kernarg_size 40
		.amdhsa_user_sgpr_count 2
		.amdhsa_user_sgpr_dispatch_ptr 0
		.amdhsa_user_sgpr_queue_ptr 0
		.amdhsa_user_sgpr_kernarg_segment_ptr 1
		.amdhsa_user_sgpr_dispatch_id 0
		.amdhsa_user_sgpr_kernarg_preload_length 0
		.amdhsa_user_sgpr_kernarg_preload_offset 0
		.amdhsa_user_sgpr_private_segment_size 0
		.amdhsa_uses_dynamic_stack 0
		.amdhsa_enable_private_segment 0
		.amdhsa_system_sgpr_workgroup_id_x 1
		.amdhsa_system_sgpr_workgroup_id_y 0
		.amdhsa_system_sgpr_workgroup_id_z 0
		.amdhsa_system_sgpr_workgroup_info 0
		.amdhsa_system_vgpr_workitem_id 0
		.amdhsa_next_free_vgpr 20
		.amdhsa_next_free_sgpr 8
		.amdhsa_accum_offset 20
		.amdhsa_reserve_vcc 1
		.amdhsa_float_round_mode_32 0
		.amdhsa_float_round_mode_16_64 0
		.amdhsa_float_denorm_mode_32 3
		.amdhsa_float_denorm_mode_16_64 3
		.amdhsa_dx10_clamp 1
		.amdhsa_ieee_mode 1
		.amdhsa_fp16_overflow 0
		.amdhsa_tg_split 0
		.amdhsa_exception_fp_ieee_invalid_op 0
		.amdhsa_exception_fp_denorm_src 0
		.amdhsa_exception_fp_ieee_div_zero 0
		.amdhsa_exception_fp_ieee_overflow 0
		.amdhsa_exception_fp_ieee_underflow 0
		.amdhsa_exception_fp_ieee_inexact 0
		.amdhsa_exception_int_div_zero 0
	.end_amdhsa_kernel
	.section	.text._ZN7rocprim17ROCPRIM_400000_NS6detail17trampoline_kernelINS0_14default_configENS1_38merge_sort_block_merge_config_selectorIxNS0_10empty_typeEEEZZNS1_27merge_sort_block_merge_implIS3_N6thrust23THRUST_200600_302600_NS6detail15normal_iteratorINS9_10device_ptrIxEEEEPS5_jNS1_19radix_merge_compareILb0ELb0ExNS0_19identity_decomposerEEEEE10hipError_tT0_T1_T2_jT3_P12ihipStream_tbPNSt15iterator_traitsISK_E10value_typeEPNSQ_ISL_E10value_typeEPSM_NS1_7vsmem_tEENKUlT_SK_SL_SM_E_clIPxSE_SF_SF_EESJ_SZ_SK_SL_SM_EUlSZ_E_NS1_11comp_targetILNS1_3genE5ELNS1_11target_archE942ELNS1_3gpuE9ELNS1_3repE0EEENS1_48merge_mergepath_partition_config_static_selectorELNS0_4arch9wavefront6targetE1EEEvSL_,"axG",@progbits,_ZN7rocprim17ROCPRIM_400000_NS6detail17trampoline_kernelINS0_14default_configENS1_38merge_sort_block_merge_config_selectorIxNS0_10empty_typeEEEZZNS1_27merge_sort_block_merge_implIS3_N6thrust23THRUST_200600_302600_NS6detail15normal_iteratorINS9_10device_ptrIxEEEEPS5_jNS1_19radix_merge_compareILb0ELb0ExNS0_19identity_decomposerEEEEE10hipError_tT0_T1_T2_jT3_P12ihipStream_tbPNSt15iterator_traitsISK_E10value_typeEPNSQ_ISL_E10value_typeEPSM_NS1_7vsmem_tEENKUlT_SK_SL_SM_E_clIPxSE_SF_SF_EESJ_SZ_SK_SL_SM_EUlSZ_E_NS1_11comp_targetILNS1_3genE5ELNS1_11target_archE942ELNS1_3gpuE9ELNS1_3repE0EEENS1_48merge_mergepath_partition_config_static_selectorELNS0_4arch9wavefront6targetE1EEEvSL_,comdat
.Lfunc_end1412:
	.size	_ZN7rocprim17ROCPRIM_400000_NS6detail17trampoline_kernelINS0_14default_configENS1_38merge_sort_block_merge_config_selectorIxNS0_10empty_typeEEEZZNS1_27merge_sort_block_merge_implIS3_N6thrust23THRUST_200600_302600_NS6detail15normal_iteratorINS9_10device_ptrIxEEEEPS5_jNS1_19radix_merge_compareILb0ELb0ExNS0_19identity_decomposerEEEEE10hipError_tT0_T1_T2_jT3_P12ihipStream_tbPNSt15iterator_traitsISK_E10value_typeEPNSQ_ISL_E10value_typeEPSM_NS1_7vsmem_tEENKUlT_SK_SL_SM_E_clIPxSE_SF_SF_EESJ_SZ_SK_SL_SM_EUlSZ_E_NS1_11comp_targetILNS1_3genE5ELNS1_11target_archE942ELNS1_3gpuE9ELNS1_3repE0EEENS1_48merge_mergepath_partition_config_static_selectorELNS0_4arch9wavefront6targetE1EEEvSL_, .Lfunc_end1412-_ZN7rocprim17ROCPRIM_400000_NS6detail17trampoline_kernelINS0_14default_configENS1_38merge_sort_block_merge_config_selectorIxNS0_10empty_typeEEEZZNS1_27merge_sort_block_merge_implIS3_N6thrust23THRUST_200600_302600_NS6detail15normal_iteratorINS9_10device_ptrIxEEEEPS5_jNS1_19radix_merge_compareILb0ELb0ExNS0_19identity_decomposerEEEEE10hipError_tT0_T1_T2_jT3_P12ihipStream_tbPNSt15iterator_traitsISK_E10value_typeEPNSQ_ISL_E10value_typeEPSM_NS1_7vsmem_tEENKUlT_SK_SL_SM_E_clIPxSE_SF_SF_EESJ_SZ_SK_SL_SM_EUlSZ_E_NS1_11comp_targetILNS1_3genE5ELNS1_11target_archE942ELNS1_3gpuE9ELNS1_3repE0EEENS1_48merge_mergepath_partition_config_static_selectorELNS0_4arch9wavefront6targetE1EEEvSL_
                                        ; -- End function
	.section	.AMDGPU.csdata,"",@progbits
; Kernel info:
; codeLenInByte = 316
; NumSgprs: 14
; NumVgprs: 20
; NumAgprs: 0
; TotalNumVgprs: 20
; ScratchSize: 0
; MemoryBound: 0
; FloatMode: 240
; IeeeMode: 1
; LDSByteSize: 0 bytes/workgroup (compile time only)
; SGPRBlocks: 1
; VGPRBlocks: 2
; NumSGPRsForWavesPerEU: 14
; NumVGPRsForWavesPerEU: 20
; AccumOffset: 20
; Occupancy: 8
; WaveLimiterHint : 0
; COMPUTE_PGM_RSRC2:SCRATCH_EN: 0
; COMPUTE_PGM_RSRC2:USER_SGPR: 2
; COMPUTE_PGM_RSRC2:TRAP_HANDLER: 0
; COMPUTE_PGM_RSRC2:TGID_X_EN: 1
; COMPUTE_PGM_RSRC2:TGID_Y_EN: 0
; COMPUTE_PGM_RSRC2:TGID_Z_EN: 0
; COMPUTE_PGM_RSRC2:TIDIG_COMP_CNT: 0
; COMPUTE_PGM_RSRC3_GFX90A:ACCUM_OFFSET: 4
; COMPUTE_PGM_RSRC3_GFX90A:TG_SPLIT: 0
	.section	.text._ZN7rocprim17ROCPRIM_400000_NS6detail17trampoline_kernelINS0_14default_configENS1_38merge_sort_block_merge_config_selectorIxNS0_10empty_typeEEEZZNS1_27merge_sort_block_merge_implIS3_N6thrust23THRUST_200600_302600_NS6detail15normal_iteratorINS9_10device_ptrIxEEEEPS5_jNS1_19radix_merge_compareILb0ELb0ExNS0_19identity_decomposerEEEEE10hipError_tT0_T1_T2_jT3_P12ihipStream_tbPNSt15iterator_traitsISK_E10value_typeEPNSQ_ISL_E10value_typeEPSM_NS1_7vsmem_tEENKUlT_SK_SL_SM_E_clIPxSE_SF_SF_EESJ_SZ_SK_SL_SM_EUlSZ_E_NS1_11comp_targetILNS1_3genE4ELNS1_11target_archE910ELNS1_3gpuE8ELNS1_3repE0EEENS1_48merge_mergepath_partition_config_static_selectorELNS0_4arch9wavefront6targetE1EEEvSL_,"axG",@progbits,_ZN7rocprim17ROCPRIM_400000_NS6detail17trampoline_kernelINS0_14default_configENS1_38merge_sort_block_merge_config_selectorIxNS0_10empty_typeEEEZZNS1_27merge_sort_block_merge_implIS3_N6thrust23THRUST_200600_302600_NS6detail15normal_iteratorINS9_10device_ptrIxEEEEPS5_jNS1_19radix_merge_compareILb0ELb0ExNS0_19identity_decomposerEEEEE10hipError_tT0_T1_T2_jT3_P12ihipStream_tbPNSt15iterator_traitsISK_E10value_typeEPNSQ_ISL_E10value_typeEPSM_NS1_7vsmem_tEENKUlT_SK_SL_SM_E_clIPxSE_SF_SF_EESJ_SZ_SK_SL_SM_EUlSZ_E_NS1_11comp_targetILNS1_3genE4ELNS1_11target_archE910ELNS1_3gpuE8ELNS1_3repE0EEENS1_48merge_mergepath_partition_config_static_selectorELNS0_4arch9wavefront6targetE1EEEvSL_,comdat
	.protected	_ZN7rocprim17ROCPRIM_400000_NS6detail17trampoline_kernelINS0_14default_configENS1_38merge_sort_block_merge_config_selectorIxNS0_10empty_typeEEEZZNS1_27merge_sort_block_merge_implIS3_N6thrust23THRUST_200600_302600_NS6detail15normal_iteratorINS9_10device_ptrIxEEEEPS5_jNS1_19radix_merge_compareILb0ELb0ExNS0_19identity_decomposerEEEEE10hipError_tT0_T1_T2_jT3_P12ihipStream_tbPNSt15iterator_traitsISK_E10value_typeEPNSQ_ISL_E10value_typeEPSM_NS1_7vsmem_tEENKUlT_SK_SL_SM_E_clIPxSE_SF_SF_EESJ_SZ_SK_SL_SM_EUlSZ_E_NS1_11comp_targetILNS1_3genE4ELNS1_11target_archE910ELNS1_3gpuE8ELNS1_3repE0EEENS1_48merge_mergepath_partition_config_static_selectorELNS0_4arch9wavefront6targetE1EEEvSL_ ; -- Begin function _ZN7rocprim17ROCPRIM_400000_NS6detail17trampoline_kernelINS0_14default_configENS1_38merge_sort_block_merge_config_selectorIxNS0_10empty_typeEEEZZNS1_27merge_sort_block_merge_implIS3_N6thrust23THRUST_200600_302600_NS6detail15normal_iteratorINS9_10device_ptrIxEEEEPS5_jNS1_19radix_merge_compareILb0ELb0ExNS0_19identity_decomposerEEEEE10hipError_tT0_T1_T2_jT3_P12ihipStream_tbPNSt15iterator_traitsISK_E10value_typeEPNSQ_ISL_E10value_typeEPSM_NS1_7vsmem_tEENKUlT_SK_SL_SM_E_clIPxSE_SF_SF_EESJ_SZ_SK_SL_SM_EUlSZ_E_NS1_11comp_targetILNS1_3genE4ELNS1_11target_archE910ELNS1_3gpuE8ELNS1_3repE0EEENS1_48merge_mergepath_partition_config_static_selectorELNS0_4arch9wavefront6targetE1EEEvSL_
	.globl	_ZN7rocprim17ROCPRIM_400000_NS6detail17trampoline_kernelINS0_14default_configENS1_38merge_sort_block_merge_config_selectorIxNS0_10empty_typeEEEZZNS1_27merge_sort_block_merge_implIS3_N6thrust23THRUST_200600_302600_NS6detail15normal_iteratorINS9_10device_ptrIxEEEEPS5_jNS1_19radix_merge_compareILb0ELb0ExNS0_19identity_decomposerEEEEE10hipError_tT0_T1_T2_jT3_P12ihipStream_tbPNSt15iterator_traitsISK_E10value_typeEPNSQ_ISL_E10value_typeEPSM_NS1_7vsmem_tEENKUlT_SK_SL_SM_E_clIPxSE_SF_SF_EESJ_SZ_SK_SL_SM_EUlSZ_E_NS1_11comp_targetILNS1_3genE4ELNS1_11target_archE910ELNS1_3gpuE8ELNS1_3repE0EEENS1_48merge_mergepath_partition_config_static_selectorELNS0_4arch9wavefront6targetE1EEEvSL_
	.p2align	8
	.type	_ZN7rocprim17ROCPRIM_400000_NS6detail17trampoline_kernelINS0_14default_configENS1_38merge_sort_block_merge_config_selectorIxNS0_10empty_typeEEEZZNS1_27merge_sort_block_merge_implIS3_N6thrust23THRUST_200600_302600_NS6detail15normal_iteratorINS9_10device_ptrIxEEEEPS5_jNS1_19radix_merge_compareILb0ELb0ExNS0_19identity_decomposerEEEEE10hipError_tT0_T1_T2_jT3_P12ihipStream_tbPNSt15iterator_traitsISK_E10value_typeEPNSQ_ISL_E10value_typeEPSM_NS1_7vsmem_tEENKUlT_SK_SL_SM_E_clIPxSE_SF_SF_EESJ_SZ_SK_SL_SM_EUlSZ_E_NS1_11comp_targetILNS1_3genE4ELNS1_11target_archE910ELNS1_3gpuE8ELNS1_3repE0EEENS1_48merge_mergepath_partition_config_static_selectorELNS0_4arch9wavefront6targetE1EEEvSL_,@function
_ZN7rocprim17ROCPRIM_400000_NS6detail17trampoline_kernelINS0_14default_configENS1_38merge_sort_block_merge_config_selectorIxNS0_10empty_typeEEEZZNS1_27merge_sort_block_merge_implIS3_N6thrust23THRUST_200600_302600_NS6detail15normal_iteratorINS9_10device_ptrIxEEEEPS5_jNS1_19radix_merge_compareILb0ELb0ExNS0_19identity_decomposerEEEEE10hipError_tT0_T1_T2_jT3_P12ihipStream_tbPNSt15iterator_traitsISK_E10value_typeEPNSQ_ISL_E10value_typeEPSM_NS1_7vsmem_tEENKUlT_SK_SL_SM_E_clIPxSE_SF_SF_EESJ_SZ_SK_SL_SM_EUlSZ_E_NS1_11comp_targetILNS1_3genE4ELNS1_11target_archE910ELNS1_3gpuE8ELNS1_3repE0EEENS1_48merge_mergepath_partition_config_static_selectorELNS0_4arch9wavefront6targetE1EEEvSL_: ; @_ZN7rocprim17ROCPRIM_400000_NS6detail17trampoline_kernelINS0_14default_configENS1_38merge_sort_block_merge_config_selectorIxNS0_10empty_typeEEEZZNS1_27merge_sort_block_merge_implIS3_N6thrust23THRUST_200600_302600_NS6detail15normal_iteratorINS9_10device_ptrIxEEEEPS5_jNS1_19radix_merge_compareILb0ELb0ExNS0_19identity_decomposerEEEEE10hipError_tT0_T1_T2_jT3_P12ihipStream_tbPNSt15iterator_traitsISK_E10value_typeEPNSQ_ISL_E10value_typeEPSM_NS1_7vsmem_tEENKUlT_SK_SL_SM_E_clIPxSE_SF_SF_EESJ_SZ_SK_SL_SM_EUlSZ_E_NS1_11comp_targetILNS1_3genE4ELNS1_11target_archE910ELNS1_3gpuE8ELNS1_3repE0EEENS1_48merge_mergepath_partition_config_static_selectorELNS0_4arch9wavefront6targetE1EEEvSL_
; %bb.0:
	.section	.rodata,"a",@progbits
	.p2align	6, 0x0
	.amdhsa_kernel _ZN7rocprim17ROCPRIM_400000_NS6detail17trampoline_kernelINS0_14default_configENS1_38merge_sort_block_merge_config_selectorIxNS0_10empty_typeEEEZZNS1_27merge_sort_block_merge_implIS3_N6thrust23THRUST_200600_302600_NS6detail15normal_iteratorINS9_10device_ptrIxEEEEPS5_jNS1_19radix_merge_compareILb0ELb0ExNS0_19identity_decomposerEEEEE10hipError_tT0_T1_T2_jT3_P12ihipStream_tbPNSt15iterator_traitsISK_E10value_typeEPNSQ_ISL_E10value_typeEPSM_NS1_7vsmem_tEENKUlT_SK_SL_SM_E_clIPxSE_SF_SF_EESJ_SZ_SK_SL_SM_EUlSZ_E_NS1_11comp_targetILNS1_3genE4ELNS1_11target_archE910ELNS1_3gpuE8ELNS1_3repE0EEENS1_48merge_mergepath_partition_config_static_selectorELNS0_4arch9wavefront6targetE1EEEvSL_
		.amdhsa_group_segment_fixed_size 0
		.amdhsa_private_segment_fixed_size 0
		.amdhsa_kernarg_size 40
		.amdhsa_user_sgpr_count 2
		.amdhsa_user_sgpr_dispatch_ptr 0
		.amdhsa_user_sgpr_queue_ptr 0
		.amdhsa_user_sgpr_kernarg_segment_ptr 1
		.amdhsa_user_sgpr_dispatch_id 0
		.amdhsa_user_sgpr_kernarg_preload_length 0
		.amdhsa_user_sgpr_kernarg_preload_offset 0
		.amdhsa_user_sgpr_private_segment_size 0
		.amdhsa_uses_dynamic_stack 0
		.amdhsa_enable_private_segment 0
		.amdhsa_system_sgpr_workgroup_id_x 1
		.amdhsa_system_sgpr_workgroup_id_y 0
		.amdhsa_system_sgpr_workgroup_id_z 0
		.amdhsa_system_sgpr_workgroup_info 0
		.amdhsa_system_vgpr_workitem_id 0
		.amdhsa_next_free_vgpr 1
		.amdhsa_next_free_sgpr 0
		.amdhsa_accum_offset 4
		.amdhsa_reserve_vcc 0
		.amdhsa_float_round_mode_32 0
		.amdhsa_float_round_mode_16_64 0
		.amdhsa_float_denorm_mode_32 3
		.amdhsa_float_denorm_mode_16_64 3
		.amdhsa_dx10_clamp 1
		.amdhsa_ieee_mode 1
		.amdhsa_fp16_overflow 0
		.amdhsa_tg_split 0
		.amdhsa_exception_fp_ieee_invalid_op 0
		.amdhsa_exception_fp_denorm_src 0
		.amdhsa_exception_fp_ieee_div_zero 0
		.amdhsa_exception_fp_ieee_overflow 0
		.amdhsa_exception_fp_ieee_underflow 0
		.amdhsa_exception_fp_ieee_inexact 0
		.amdhsa_exception_int_div_zero 0
	.end_amdhsa_kernel
	.section	.text._ZN7rocprim17ROCPRIM_400000_NS6detail17trampoline_kernelINS0_14default_configENS1_38merge_sort_block_merge_config_selectorIxNS0_10empty_typeEEEZZNS1_27merge_sort_block_merge_implIS3_N6thrust23THRUST_200600_302600_NS6detail15normal_iteratorINS9_10device_ptrIxEEEEPS5_jNS1_19radix_merge_compareILb0ELb0ExNS0_19identity_decomposerEEEEE10hipError_tT0_T1_T2_jT3_P12ihipStream_tbPNSt15iterator_traitsISK_E10value_typeEPNSQ_ISL_E10value_typeEPSM_NS1_7vsmem_tEENKUlT_SK_SL_SM_E_clIPxSE_SF_SF_EESJ_SZ_SK_SL_SM_EUlSZ_E_NS1_11comp_targetILNS1_3genE4ELNS1_11target_archE910ELNS1_3gpuE8ELNS1_3repE0EEENS1_48merge_mergepath_partition_config_static_selectorELNS0_4arch9wavefront6targetE1EEEvSL_,"axG",@progbits,_ZN7rocprim17ROCPRIM_400000_NS6detail17trampoline_kernelINS0_14default_configENS1_38merge_sort_block_merge_config_selectorIxNS0_10empty_typeEEEZZNS1_27merge_sort_block_merge_implIS3_N6thrust23THRUST_200600_302600_NS6detail15normal_iteratorINS9_10device_ptrIxEEEEPS5_jNS1_19radix_merge_compareILb0ELb0ExNS0_19identity_decomposerEEEEE10hipError_tT0_T1_T2_jT3_P12ihipStream_tbPNSt15iterator_traitsISK_E10value_typeEPNSQ_ISL_E10value_typeEPSM_NS1_7vsmem_tEENKUlT_SK_SL_SM_E_clIPxSE_SF_SF_EESJ_SZ_SK_SL_SM_EUlSZ_E_NS1_11comp_targetILNS1_3genE4ELNS1_11target_archE910ELNS1_3gpuE8ELNS1_3repE0EEENS1_48merge_mergepath_partition_config_static_selectorELNS0_4arch9wavefront6targetE1EEEvSL_,comdat
.Lfunc_end1413:
	.size	_ZN7rocprim17ROCPRIM_400000_NS6detail17trampoline_kernelINS0_14default_configENS1_38merge_sort_block_merge_config_selectorIxNS0_10empty_typeEEEZZNS1_27merge_sort_block_merge_implIS3_N6thrust23THRUST_200600_302600_NS6detail15normal_iteratorINS9_10device_ptrIxEEEEPS5_jNS1_19radix_merge_compareILb0ELb0ExNS0_19identity_decomposerEEEEE10hipError_tT0_T1_T2_jT3_P12ihipStream_tbPNSt15iterator_traitsISK_E10value_typeEPNSQ_ISL_E10value_typeEPSM_NS1_7vsmem_tEENKUlT_SK_SL_SM_E_clIPxSE_SF_SF_EESJ_SZ_SK_SL_SM_EUlSZ_E_NS1_11comp_targetILNS1_3genE4ELNS1_11target_archE910ELNS1_3gpuE8ELNS1_3repE0EEENS1_48merge_mergepath_partition_config_static_selectorELNS0_4arch9wavefront6targetE1EEEvSL_, .Lfunc_end1413-_ZN7rocprim17ROCPRIM_400000_NS6detail17trampoline_kernelINS0_14default_configENS1_38merge_sort_block_merge_config_selectorIxNS0_10empty_typeEEEZZNS1_27merge_sort_block_merge_implIS3_N6thrust23THRUST_200600_302600_NS6detail15normal_iteratorINS9_10device_ptrIxEEEEPS5_jNS1_19radix_merge_compareILb0ELb0ExNS0_19identity_decomposerEEEEE10hipError_tT0_T1_T2_jT3_P12ihipStream_tbPNSt15iterator_traitsISK_E10value_typeEPNSQ_ISL_E10value_typeEPSM_NS1_7vsmem_tEENKUlT_SK_SL_SM_E_clIPxSE_SF_SF_EESJ_SZ_SK_SL_SM_EUlSZ_E_NS1_11comp_targetILNS1_3genE4ELNS1_11target_archE910ELNS1_3gpuE8ELNS1_3repE0EEENS1_48merge_mergepath_partition_config_static_selectorELNS0_4arch9wavefront6targetE1EEEvSL_
                                        ; -- End function
	.section	.AMDGPU.csdata,"",@progbits
; Kernel info:
; codeLenInByte = 0
; NumSgprs: 6
; NumVgprs: 0
; NumAgprs: 0
; TotalNumVgprs: 0
; ScratchSize: 0
; MemoryBound: 0
; FloatMode: 240
; IeeeMode: 1
; LDSByteSize: 0 bytes/workgroup (compile time only)
; SGPRBlocks: 0
; VGPRBlocks: 0
; NumSGPRsForWavesPerEU: 6
; NumVGPRsForWavesPerEU: 1
; AccumOffset: 4
; Occupancy: 8
; WaveLimiterHint : 0
; COMPUTE_PGM_RSRC2:SCRATCH_EN: 0
; COMPUTE_PGM_RSRC2:USER_SGPR: 2
; COMPUTE_PGM_RSRC2:TRAP_HANDLER: 0
; COMPUTE_PGM_RSRC2:TGID_X_EN: 1
; COMPUTE_PGM_RSRC2:TGID_Y_EN: 0
; COMPUTE_PGM_RSRC2:TGID_Z_EN: 0
; COMPUTE_PGM_RSRC2:TIDIG_COMP_CNT: 0
; COMPUTE_PGM_RSRC3_GFX90A:ACCUM_OFFSET: 0
; COMPUTE_PGM_RSRC3_GFX90A:TG_SPLIT: 0
	.section	.text._ZN7rocprim17ROCPRIM_400000_NS6detail17trampoline_kernelINS0_14default_configENS1_38merge_sort_block_merge_config_selectorIxNS0_10empty_typeEEEZZNS1_27merge_sort_block_merge_implIS3_N6thrust23THRUST_200600_302600_NS6detail15normal_iteratorINS9_10device_ptrIxEEEEPS5_jNS1_19radix_merge_compareILb0ELb0ExNS0_19identity_decomposerEEEEE10hipError_tT0_T1_T2_jT3_P12ihipStream_tbPNSt15iterator_traitsISK_E10value_typeEPNSQ_ISL_E10value_typeEPSM_NS1_7vsmem_tEENKUlT_SK_SL_SM_E_clIPxSE_SF_SF_EESJ_SZ_SK_SL_SM_EUlSZ_E_NS1_11comp_targetILNS1_3genE3ELNS1_11target_archE908ELNS1_3gpuE7ELNS1_3repE0EEENS1_48merge_mergepath_partition_config_static_selectorELNS0_4arch9wavefront6targetE1EEEvSL_,"axG",@progbits,_ZN7rocprim17ROCPRIM_400000_NS6detail17trampoline_kernelINS0_14default_configENS1_38merge_sort_block_merge_config_selectorIxNS0_10empty_typeEEEZZNS1_27merge_sort_block_merge_implIS3_N6thrust23THRUST_200600_302600_NS6detail15normal_iteratorINS9_10device_ptrIxEEEEPS5_jNS1_19radix_merge_compareILb0ELb0ExNS0_19identity_decomposerEEEEE10hipError_tT0_T1_T2_jT3_P12ihipStream_tbPNSt15iterator_traitsISK_E10value_typeEPNSQ_ISL_E10value_typeEPSM_NS1_7vsmem_tEENKUlT_SK_SL_SM_E_clIPxSE_SF_SF_EESJ_SZ_SK_SL_SM_EUlSZ_E_NS1_11comp_targetILNS1_3genE3ELNS1_11target_archE908ELNS1_3gpuE7ELNS1_3repE0EEENS1_48merge_mergepath_partition_config_static_selectorELNS0_4arch9wavefront6targetE1EEEvSL_,comdat
	.protected	_ZN7rocprim17ROCPRIM_400000_NS6detail17trampoline_kernelINS0_14default_configENS1_38merge_sort_block_merge_config_selectorIxNS0_10empty_typeEEEZZNS1_27merge_sort_block_merge_implIS3_N6thrust23THRUST_200600_302600_NS6detail15normal_iteratorINS9_10device_ptrIxEEEEPS5_jNS1_19radix_merge_compareILb0ELb0ExNS0_19identity_decomposerEEEEE10hipError_tT0_T1_T2_jT3_P12ihipStream_tbPNSt15iterator_traitsISK_E10value_typeEPNSQ_ISL_E10value_typeEPSM_NS1_7vsmem_tEENKUlT_SK_SL_SM_E_clIPxSE_SF_SF_EESJ_SZ_SK_SL_SM_EUlSZ_E_NS1_11comp_targetILNS1_3genE3ELNS1_11target_archE908ELNS1_3gpuE7ELNS1_3repE0EEENS1_48merge_mergepath_partition_config_static_selectorELNS0_4arch9wavefront6targetE1EEEvSL_ ; -- Begin function _ZN7rocprim17ROCPRIM_400000_NS6detail17trampoline_kernelINS0_14default_configENS1_38merge_sort_block_merge_config_selectorIxNS0_10empty_typeEEEZZNS1_27merge_sort_block_merge_implIS3_N6thrust23THRUST_200600_302600_NS6detail15normal_iteratorINS9_10device_ptrIxEEEEPS5_jNS1_19radix_merge_compareILb0ELb0ExNS0_19identity_decomposerEEEEE10hipError_tT0_T1_T2_jT3_P12ihipStream_tbPNSt15iterator_traitsISK_E10value_typeEPNSQ_ISL_E10value_typeEPSM_NS1_7vsmem_tEENKUlT_SK_SL_SM_E_clIPxSE_SF_SF_EESJ_SZ_SK_SL_SM_EUlSZ_E_NS1_11comp_targetILNS1_3genE3ELNS1_11target_archE908ELNS1_3gpuE7ELNS1_3repE0EEENS1_48merge_mergepath_partition_config_static_selectorELNS0_4arch9wavefront6targetE1EEEvSL_
	.globl	_ZN7rocprim17ROCPRIM_400000_NS6detail17trampoline_kernelINS0_14default_configENS1_38merge_sort_block_merge_config_selectorIxNS0_10empty_typeEEEZZNS1_27merge_sort_block_merge_implIS3_N6thrust23THRUST_200600_302600_NS6detail15normal_iteratorINS9_10device_ptrIxEEEEPS5_jNS1_19radix_merge_compareILb0ELb0ExNS0_19identity_decomposerEEEEE10hipError_tT0_T1_T2_jT3_P12ihipStream_tbPNSt15iterator_traitsISK_E10value_typeEPNSQ_ISL_E10value_typeEPSM_NS1_7vsmem_tEENKUlT_SK_SL_SM_E_clIPxSE_SF_SF_EESJ_SZ_SK_SL_SM_EUlSZ_E_NS1_11comp_targetILNS1_3genE3ELNS1_11target_archE908ELNS1_3gpuE7ELNS1_3repE0EEENS1_48merge_mergepath_partition_config_static_selectorELNS0_4arch9wavefront6targetE1EEEvSL_
	.p2align	8
	.type	_ZN7rocprim17ROCPRIM_400000_NS6detail17trampoline_kernelINS0_14default_configENS1_38merge_sort_block_merge_config_selectorIxNS0_10empty_typeEEEZZNS1_27merge_sort_block_merge_implIS3_N6thrust23THRUST_200600_302600_NS6detail15normal_iteratorINS9_10device_ptrIxEEEEPS5_jNS1_19radix_merge_compareILb0ELb0ExNS0_19identity_decomposerEEEEE10hipError_tT0_T1_T2_jT3_P12ihipStream_tbPNSt15iterator_traitsISK_E10value_typeEPNSQ_ISL_E10value_typeEPSM_NS1_7vsmem_tEENKUlT_SK_SL_SM_E_clIPxSE_SF_SF_EESJ_SZ_SK_SL_SM_EUlSZ_E_NS1_11comp_targetILNS1_3genE3ELNS1_11target_archE908ELNS1_3gpuE7ELNS1_3repE0EEENS1_48merge_mergepath_partition_config_static_selectorELNS0_4arch9wavefront6targetE1EEEvSL_,@function
_ZN7rocprim17ROCPRIM_400000_NS6detail17trampoline_kernelINS0_14default_configENS1_38merge_sort_block_merge_config_selectorIxNS0_10empty_typeEEEZZNS1_27merge_sort_block_merge_implIS3_N6thrust23THRUST_200600_302600_NS6detail15normal_iteratorINS9_10device_ptrIxEEEEPS5_jNS1_19radix_merge_compareILb0ELb0ExNS0_19identity_decomposerEEEEE10hipError_tT0_T1_T2_jT3_P12ihipStream_tbPNSt15iterator_traitsISK_E10value_typeEPNSQ_ISL_E10value_typeEPSM_NS1_7vsmem_tEENKUlT_SK_SL_SM_E_clIPxSE_SF_SF_EESJ_SZ_SK_SL_SM_EUlSZ_E_NS1_11comp_targetILNS1_3genE3ELNS1_11target_archE908ELNS1_3gpuE7ELNS1_3repE0EEENS1_48merge_mergepath_partition_config_static_selectorELNS0_4arch9wavefront6targetE1EEEvSL_: ; @_ZN7rocprim17ROCPRIM_400000_NS6detail17trampoline_kernelINS0_14default_configENS1_38merge_sort_block_merge_config_selectorIxNS0_10empty_typeEEEZZNS1_27merge_sort_block_merge_implIS3_N6thrust23THRUST_200600_302600_NS6detail15normal_iteratorINS9_10device_ptrIxEEEEPS5_jNS1_19radix_merge_compareILb0ELb0ExNS0_19identity_decomposerEEEEE10hipError_tT0_T1_T2_jT3_P12ihipStream_tbPNSt15iterator_traitsISK_E10value_typeEPNSQ_ISL_E10value_typeEPSM_NS1_7vsmem_tEENKUlT_SK_SL_SM_E_clIPxSE_SF_SF_EESJ_SZ_SK_SL_SM_EUlSZ_E_NS1_11comp_targetILNS1_3genE3ELNS1_11target_archE908ELNS1_3gpuE7ELNS1_3repE0EEENS1_48merge_mergepath_partition_config_static_selectorELNS0_4arch9wavefront6targetE1EEEvSL_
; %bb.0:
	.section	.rodata,"a",@progbits
	.p2align	6, 0x0
	.amdhsa_kernel _ZN7rocprim17ROCPRIM_400000_NS6detail17trampoline_kernelINS0_14default_configENS1_38merge_sort_block_merge_config_selectorIxNS0_10empty_typeEEEZZNS1_27merge_sort_block_merge_implIS3_N6thrust23THRUST_200600_302600_NS6detail15normal_iteratorINS9_10device_ptrIxEEEEPS5_jNS1_19radix_merge_compareILb0ELb0ExNS0_19identity_decomposerEEEEE10hipError_tT0_T1_T2_jT3_P12ihipStream_tbPNSt15iterator_traitsISK_E10value_typeEPNSQ_ISL_E10value_typeEPSM_NS1_7vsmem_tEENKUlT_SK_SL_SM_E_clIPxSE_SF_SF_EESJ_SZ_SK_SL_SM_EUlSZ_E_NS1_11comp_targetILNS1_3genE3ELNS1_11target_archE908ELNS1_3gpuE7ELNS1_3repE0EEENS1_48merge_mergepath_partition_config_static_selectorELNS0_4arch9wavefront6targetE1EEEvSL_
		.amdhsa_group_segment_fixed_size 0
		.amdhsa_private_segment_fixed_size 0
		.amdhsa_kernarg_size 40
		.amdhsa_user_sgpr_count 2
		.amdhsa_user_sgpr_dispatch_ptr 0
		.amdhsa_user_sgpr_queue_ptr 0
		.amdhsa_user_sgpr_kernarg_segment_ptr 1
		.amdhsa_user_sgpr_dispatch_id 0
		.amdhsa_user_sgpr_kernarg_preload_length 0
		.amdhsa_user_sgpr_kernarg_preload_offset 0
		.amdhsa_user_sgpr_private_segment_size 0
		.amdhsa_uses_dynamic_stack 0
		.amdhsa_enable_private_segment 0
		.amdhsa_system_sgpr_workgroup_id_x 1
		.amdhsa_system_sgpr_workgroup_id_y 0
		.amdhsa_system_sgpr_workgroup_id_z 0
		.amdhsa_system_sgpr_workgroup_info 0
		.amdhsa_system_vgpr_workitem_id 0
		.amdhsa_next_free_vgpr 1
		.amdhsa_next_free_sgpr 0
		.amdhsa_accum_offset 4
		.amdhsa_reserve_vcc 0
		.amdhsa_float_round_mode_32 0
		.amdhsa_float_round_mode_16_64 0
		.amdhsa_float_denorm_mode_32 3
		.amdhsa_float_denorm_mode_16_64 3
		.amdhsa_dx10_clamp 1
		.amdhsa_ieee_mode 1
		.amdhsa_fp16_overflow 0
		.amdhsa_tg_split 0
		.amdhsa_exception_fp_ieee_invalid_op 0
		.amdhsa_exception_fp_denorm_src 0
		.amdhsa_exception_fp_ieee_div_zero 0
		.amdhsa_exception_fp_ieee_overflow 0
		.amdhsa_exception_fp_ieee_underflow 0
		.amdhsa_exception_fp_ieee_inexact 0
		.amdhsa_exception_int_div_zero 0
	.end_amdhsa_kernel
	.section	.text._ZN7rocprim17ROCPRIM_400000_NS6detail17trampoline_kernelINS0_14default_configENS1_38merge_sort_block_merge_config_selectorIxNS0_10empty_typeEEEZZNS1_27merge_sort_block_merge_implIS3_N6thrust23THRUST_200600_302600_NS6detail15normal_iteratorINS9_10device_ptrIxEEEEPS5_jNS1_19radix_merge_compareILb0ELb0ExNS0_19identity_decomposerEEEEE10hipError_tT0_T1_T2_jT3_P12ihipStream_tbPNSt15iterator_traitsISK_E10value_typeEPNSQ_ISL_E10value_typeEPSM_NS1_7vsmem_tEENKUlT_SK_SL_SM_E_clIPxSE_SF_SF_EESJ_SZ_SK_SL_SM_EUlSZ_E_NS1_11comp_targetILNS1_3genE3ELNS1_11target_archE908ELNS1_3gpuE7ELNS1_3repE0EEENS1_48merge_mergepath_partition_config_static_selectorELNS0_4arch9wavefront6targetE1EEEvSL_,"axG",@progbits,_ZN7rocprim17ROCPRIM_400000_NS6detail17trampoline_kernelINS0_14default_configENS1_38merge_sort_block_merge_config_selectorIxNS0_10empty_typeEEEZZNS1_27merge_sort_block_merge_implIS3_N6thrust23THRUST_200600_302600_NS6detail15normal_iteratorINS9_10device_ptrIxEEEEPS5_jNS1_19radix_merge_compareILb0ELb0ExNS0_19identity_decomposerEEEEE10hipError_tT0_T1_T2_jT3_P12ihipStream_tbPNSt15iterator_traitsISK_E10value_typeEPNSQ_ISL_E10value_typeEPSM_NS1_7vsmem_tEENKUlT_SK_SL_SM_E_clIPxSE_SF_SF_EESJ_SZ_SK_SL_SM_EUlSZ_E_NS1_11comp_targetILNS1_3genE3ELNS1_11target_archE908ELNS1_3gpuE7ELNS1_3repE0EEENS1_48merge_mergepath_partition_config_static_selectorELNS0_4arch9wavefront6targetE1EEEvSL_,comdat
.Lfunc_end1414:
	.size	_ZN7rocprim17ROCPRIM_400000_NS6detail17trampoline_kernelINS0_14default_configENS1_38merge_sort_block_merge_config_selectorIxNS0_10empty_typeEEEZZNS1_27merge_sort_block_merge_implIS3_N6thrust23THRUST_200600_302600_NS6detail15normal_iteratorINS9_10device_ptrIxEEEEPS5_jNS1_19radix_merge_compareILb0ELb0ExNS0_19identity_decomposerEEEEE10hipError_tT0_T1_T2_jT3_P12ihipStream_tbPNSt15iterator_traitsISK_E10value_typeEPNSQ_ISL_E10value_typeEPSM_NS1_7vsmem_tEENKUlT_SK_SL_SM_E_clIPxSE_SF_SF_EESJ_SZ_SK_SL_SM_EUlSZ_E_NS1_11comp_targetILNS1_3genE3ELNS1_11target_archE908ELNS1_3gpuE7ELNS1_3repE0EEENS1_48merge_mergepath_partition_config_static_selectorELNS0_4arch9wavefront6targetE1EEEvSL_, .Lfunc_end1414-_ZN7rocprim17ROCPRIM_400000_NS6detail17trampoline_kernelINS0_14default_configENS1_38merge_sort_block_merge_config_selectorIxNS0_10empty_typeEEEZZNS1_27merge_sort_block_merge_implIS3_N6thrust23THRUST_200600_302600_NS6detail15normal_iteratorINS9_10device_ptrIxEEEEPS5_jNS1_19radix_merge_compareILb0ELb0ExNS0_19identity_decomposerEEEEE10hipError_tT0_T1_T2_jT3_P12ihipStream_tbPNSt15iterator_traitsISK_E10value_typeEPNSQ_ISL_E10value_typeEPSM_NS1_7vsmem_tEENKUlT_SK_SL_SM_E_clIPxSE_SF_SF_EESJ_SZ_SK_SL_SM_EUlSZ_E_NS1_11comp_targetILNS1_3genE3ELNS1_11target_archE908ELNS1_3gpuE7ELNS1_3repE0EEENS1_48merge_mergepath_partition_config_static_selectorELNS0_4arch9wavefront6targetE1EEEvSL_
                                        ; -- End function
	.section	.AMDGPU.csdata,"",@progbits
; Kernel info:
; codeLenInByte = 0
; NumSgprs: 6
; NumVgprs: 0
; NumAgprs: 0
; TotalNumVgprs: 0
; ScratchSize: 0
; MemoryBound: 0
; FloatMode: 240
; IeeeMode: 1
; LDSByteSize: 0 bytes/workgroup (compile time only)
; SGPRBlocks: 0
; VGPRBlocks: 0
; NumSGPRsForWavesPerEU: 6
; NumVGPRsForWavesPerEU: 1
; AccumOffset: 4
; Occupancy: 8
; WaveLimiterHint : 0
; COMPUTE_PGM_RSRC2:SCRATCH_EN: 0
; COMPUTE_PGM_RSRC2:USER_SGPR: 2
; COMPUTE_PGM_RSRC2:TRAP_HANDLER: 0
; COMPUTE_PGM_RSRC2:TGID_X_EN: 1
; COMPUTE_PGM_RSRC2:TGID_Y_EN: 0
; COMPUTE_PGM_RSRC2:TGID_Z_EN: 0
; COMPUTE_PGM_RSRC2:TIDIG_COMP_CNT: 0
; COMPUTE_PGM_RSRC3_GFX90A:ACCUM_OFFSET: 0
; COMPUTE_PGM_RSRC3_GFX90A:TG_SPLIT: 0
	.section	.text._ZN7rocprim17ROCPRIM_400000_NS6detail17trampoline_kernelINS0_14default_configENS1_38merge_sort_block_merge_config_selectorIxNS0_10empty_typeEEEZZNS1_27merge_sort_block_merge_implIS3_N6thrust23THRUST_200600_302600_NS6detail15normal_iteratorINS9_10device_ptrIxEEEEPS5_jNS1_19radix_merge_compareILb0ELb0ExNS0_19identity_decomposerEEEEE10hipError_tT0_T1_T2_jT3_P12ihipStream_tbPNSt15iterator_traitsISK_E10value_typeEPNSQ_ISL_E10value_typeEPSM_NS1_7vsmem_tEENKUlT_SK_SL_SM_E_clIPxSE_SF_SF_EESJ_SZ_SK_SL_SM_EUlSZ_E_NS1_11comp_targetILNS1_3genE2ELNS1_11target_archE906ELNS1_3gpuE6ELNS1_3repE0EEENS1_48merge_mergepath_partition_config_static_selectorELNS0_4arch9wavefront6targetE1EEEvSL_,"axG",@progbits,_ZN7rocprim17ROCPRIM_400000_NS6detail17trampoline_kernelINS0_14default_configENS1_38merge_sort_block_merge_config_selectorIxNS0_10empty_typeEEEZZNS1_27merge_sort_block_merge_implIS3_N6thrust23THRUST_200600_302600_NS6detail15normal_iteratorINS9_10device_ptrIxEEEEPS5_jNS1_19radix_merge_compareILb0ELb0ExNS0_19identity_decomposerEEEEE10hipError_tT0_T1_T2_jT3_P12ihipStream_tbPNSt15iterator_traitsISK_E10value_typeEPNSQ_ISL_E10value_typeEPSM_NS1_7vsmem_tEENKUlT_SK_SL_SM_E_clIPxSE_SF_SF_EESJ_SZ_SK_SL_SM_EUlSZ_E_NS1_11comp_targetILNS1_3genE2ELNS1_11target_archE906ELNS1_3gpuE6ELNS1_3repE0EEENS1_48merge_mergepath_partition_config_static_selectorELNS0_4arch9wavefront6targetE1EEEvSL_,comdat
	.protected	_ZN7rocprim17ROCPRIM_400000_NS6detail17trampoline_kernelINS0_14default_configENS1_38merge_sort_block_merge_config_selectorIxNS0_10empty_typeEEEZZNS1_27merge_sort_block_merge_implIS3_N6thrust23THRUST_200600_302600_NS6detail15normal_iteratorINS9_10device_ptrIxEEEEPS5_jNS1_19radix_merge_compareILb0ELb0ExNS0_19identity_decomposerEEEEE10hipError_tT0_T1_T2_jT3_P12ihipStream_tbPNSt15iterator_traitsISK_E10value_typeEPNSQ_ISL_E10value_typeEPSM_NS1_7vsmem_tEENKUlT_SK_SL_SM_E_clIPxSE_SF_SF_EESJ_SZ_SK_SL_SM_EUlSZ_E_NS1_11comp_targetILNS1_3genE2ELNS1_11target_archE906ELNS1_3gpuE6ELNS1_3repE0EEENS1_48merge_mergepath_partition_config_static_selectorELNS0_4arch9wavefront6targetE1EEEvSL_ ; -- Begin function _ZN7rocprim17ROCPRIM_400000_NS6detail17trampoline_kernelINS0_14default_configENS1_38merge_sort_block_merge_config_selectorIxNS0_10empty_typeEEEZZNS1_27merge_sort_block_merge_implIS3_N6thrust23THRUST_200600_302600_NS6detail15normal_iteratorINS9_10device_ptrIxEEEEPS5_jNS1_19radix_merge_compareILb0ELb0ExNS0_19identity_decomposerEEEEE10hipError_tT0_T1_T2_jT3_P12ihipStream_tbPNSt15iterator_traitsISK_E10value_typeEPNSQ_ISL_E10value_typeEPSM_NS1_7vsmem_tEENKUlT_SK_SL_SM_E_clIPxSE_SF_SF_EESJ_SZ_SK_SL_SM_EUlSZ_E_NS1_11comp_targetILNS1_3genE2ELNS1_11target_archE906ELNS1_3gpuE6ELNS1_3repE0EEENS1_48merge_mergepath_partition_config_static_selectorELNS0_4arch9wavefront6targetE1EEEvSL_
	.globl	_ZN7rocprim17ROCPRIM_400000_NS6detail17trampoline_kernelINS0_14default_configENS1_38merge_sort_block_merge_config_selectorIxNS0_10empty_typeEEEZZNS1_27merge_sort_block_merge_implIS3_N6thrust23THRUST_200600_302600_NS6detail15normal_iteratorINS9_10device_ptrIxEEEEPS5_jNS1_19radix_merge_compareILb0ELb0ExNS0_19identity_decomposerEEEEE10hipError_tT0_T1_T2_jT3_P12ihipStream_tbPNSt15iterator_traitsISK_E10value_typeEPNSQ_ISL_E10value_typeEPSM_NS1_7vsmem_tEENKUlT_SK_SL_SM_E_clIPxSE_SF_SF_EESJ_SZ_SK_SL_SM_EUlSZ_E_NS1_11comp_targetILNS1_3genE2ELNS1_11target_archE906ELNS1_3gpuE6ELNS1_3repE0EEENS1_48merge_mergepath_partition_config_static_selectorELNS0_4arch9wavefront6targetE1EEEvSL_
	.p2align	8
	.type	_ZN7rocprim17ROCPRIM_400000_NS6detail17trampoline_kernelINS0_14default_configENS1_38merge_sort_block_merge_config_selectorIxNS0_10empty_typeEEEZZNS1_27merge_sort_block_merge_implIS3_N6thrust23THRUST_200600_302600_NS6detail15normal_iteratorINS9_10device_ptrIxEEEEPS5_jNS1_19radix_merge_compareILb0ELb0ExNS0_19identity_decomposerEEEEE10hipError_tT0_T1_T2_jT3_P12ihipStream_tbPNSt15iterator_traitsISK_E10value_typeEPNSQ_ISL_E10value_typeEPSM_NS1_7vsmem_tEENKUlT_SK_SL_SM_E_clIPxSE_SF_SF_EESJ_SZ_SK_SL_SM_EUlSZ_E_NS1_11comp_targetILNS1_3genE2ELNS1_11target_archE906ELNS1_3gpuE6ELNS1_3repE0EEENS1_48merge_mergepath_partition_config_static_selectorELNS0_4arch9wavefront6targetE1EEEvSL_,@function
_ZN7rocprim17ROCPRIM_400000_NS6detail17trampoline_kernelINS0_14default_configENS1_38merge_sort_block_merge_config_selectorIxNS0_10empty_typeEEEZZNS1_27merge_sort_block_merge_implIS3_N6thrust23THRUST_200600_302600_NS6detail15normal_iteratorINS9_10device_ptrIxEEEEPS5_jNS1_19radix_merge_compareILb0ELb0ExNS0_19identity_decomposerEEEEE10hipError_tT0_T1_T2_jT3_P12ihipStream_tbPNSt15iterator_traitsISK_E10value_typeEPNSQ_ISL_E10value_typeEPSM_NS1_7vsmem_tEENKUlT_SK_SL_SM_E_clIPxSE_SF_SF_EESJ_SZ_SK_SL_SM_EUlSZ_E_NS1_11comp_targetILNS1_3genE2ELNS1_11target_archE906ELNS1_3gpuE6ELNS1_3repE0EEENS1_48merge_mergepath_partition_config_static_selectorELNS0_4arch9wavefront6targetE1EEEvSL_: ; @_ZN7rocprim17ROCPRIM_400000_NS6detail17trampoline_kernelINS0_14default_configENS1_38merge_sort_block_merge_config_selectorIxNS0_10empty_typeEEEZZNS1_27merge_sort_block_merge_implIS3_N6thrust23THRUST_200600_302600_NS6detail15normal_iteratorINS9_10device_ptrIxEEEEPS5_jNS1_19radix_merge_compareILb0ELb0ExNS0_19identity_decomposerEEEEE10hipError_tT0_T1_T2_jT3_P12ihipStream_tbPNSt15iterator_traitsISK_E10value_typeEPNSQ_ISL_E10value_typeEPSM_NS1_7vsmem_tEENKUlT_SK_SL_SM_E_clIPxSE_SF_SF_EESJ_SZ_SK_SL_SM_EUlSZ_E_NS1_11comp_targetILNS1_3genE2ELNS1_11target_archE906ELNS1_3gpuE6ELNS1_3repE0EEENS1_48merge_mergepath_partition_config_static_selectorELNS0_4arch9wavefront6targetE1EEEvSL_
; %bb.0:
	.section	.rodata,"a",@progbits
	.p2align	6, 0x0
	.amdhsa_kernel _ZN7rocprim17ROCPRIM_400000_NS6detail17trampoline_kernelINS0_14default_configENS1_38merge_sort_block_merge_config_selectorIxNS0_10empty_typeEEEZZNS1_27merge_sort_block_merge_implIS3_N6thrust23THRUST_200600_302600_NS6detail15normal_iteratorINS9_10device_ptrIxEEEEPS5_jNS1_19radix_merge_compareILb0ELb0ExNS0_19identity_decomposerEEEEE10hipError_tT0_T1_T2_jT3_P12ihipStream_tbPNSt15iterator_traitsISK_E10value_typeEPNSQ_ISL_E10value_typeEPSM_NS1_7vsmem_tEENKUlT_SK_SL_SM_E_clIPxSE_SF_SF_EESJ_SZ_SK_SL_SM_EUlSZ_E_NS1_11comp_targetILNS1_3genE2ELNS1_11target_archE906ELNS1_3gpuE6ELNS1_3repE0EEENS1_48merge_mergepath_partition_config_static_selectorELNS0_4arch9wavefront6targetE1EEEvSL_
		.amdhsa_group_segment_fixed_size 0
		.amdhsa_private_segment_fixed_size 0
		.amdhsa_kernarg_size 40
		.amdhsa_user_sgpr_count 2
		.amdhsa_user_sgpr_dispatch_ptr 0
		.amdhsa_user_sgpr_queue_ptr 0
		.amdhsa_user_sgpr_kernarg_segment_ptr 1
		.amdhsa_user_sgpr_dispatch_id 0
		.amdhsa_user_sgpr_kernarg_preload_length 0
		.amdhsa_user_sgpr_kernarg_preload_offset 0
		.amdhsa_user_sgpr_private_segment_size 0
		.amdhsa_uses_dynamic_stack 0
		.amdhsa_enable_private_segment 0
		.amdhsa_system_sgpr_workgroup_id_x 1
		.amdhsa_system_sgpr_workgroup_id_y 0
		.amdhsa_system_sgpr_workgroup_id_z 0
		.amdhsa_system_sgpr_workgroup_info 0
		.amdhsa_system_vgpr_workitem_id 0
		.amdhsa_next_free_vgpr 1
		.amdhsa_next_free_sgpr 0
		.amdhsa_accum_offset 4
		.amdhsa_reserve_vcc 0
		.amdhsa_float_round_mode_32 0
		.amdhsa_float_round_mode_16_64 0
		.amdhsa_float_denorm_mode_32 3
		.amdhsa_float_denorm_mode_16_64 3
		.amdhsa_dx10_clamp 1
		.amdhsa_ieee_mode 1
		.amdhsa_fp16_overflow 0
		.amdhsa_tg_split 0
		.amdhsa_exception_fp_ieee_invalid_op 0
		.amdhsa_exception_fp_denorm_src 0
		.amdhsa_exception_fp_ieee_div_zero 0
		.amdhsa_exception_fp_ieee_overflow 0
		.amdhsa_exception_fp_ieee_underflow 0
		.amdhsa_exception_fp_ieee_inexact 0
		.amdhsa_exception_int_div_zero 0
	.end_amdhsa_kernel
	.section	.text._ZN7rocprim17ROCPRIM_400000_NS6detail17trampoline_kernelINS0_14default_configENS1_38merge_sort_block_merge_config_selectorIxNS0_10empty_typeEEEZZNS1_27merge_sort_block_merge_implIS3_N6thrust23THRUST_200600_302600_NS6detail15normal_iteratorINS9_10device_ptrIxEEEEPS5_jNS1_19radix_merge_compareILb0ELb0ExNS0_19identity_decomposerEEEEE10hipError_tT0_T1_T2_jT3_P12ihipStream_tbPNSt15iterator_traitsISK_E10value_typeEPNSQ_ISL_E10value_typeEPSM_NS1_7vsmem_tEENKUlT_SK_SL_SM_E_clIPxSE_SF_SF_EESJ_SZ_SK_SL_SM_EUlSZ_E_NS1_11comp_targetILNS1_3genE2ELNS1_11target_archE906ELNS1_3gpuE6ELNS1_3repE0EEENS1_48merge_mergepath_partition_config_static_selectorELNS0_4arch9wavefront6targetE1EEEvSL_,"axG",@progbits,_ZN7rocprim17ROCPRIM_400000_NS6detail17trampoline_kernelINS0_14default_configENS1_38merge_sort_block_merge_config_selectorIxNS0_10empty_typeEEEZZNS1_27merge_sort_block_merge_implIS3_N6thrust23THRUST_200600_302600_NS6detail15normal_iteratorINS9_10device_ptrIxEEEEPS5_jNS1_19radix_merge_compareILb0ELb0ExNS0_19identity_decomposerEEEEE10hipError_tT0_T1_T2_jT3_P12ihipStream_tbPNSt15iterator_traitsISK_E10value_typeEPNSQ_ISL_E10value_typeEPSM_NS1_7vsmem_tEENKUlT_SK_SL_SM_E_clIPxSE_SF_SF_EESJ_SZ_SK_SL_SM_EUlSZ_E_NS1_11comp_targetILNS1_3genE2ELNS1_11target_archE906ELNS1_3gpuE6ELNS1_3repE0EEENS1_48merge_mergepath_partition_config_static_selectorELNS0_4arch9wavefront6targetE1EEEvSL_,comdat
.Lfunc_end1415:
	.size	_ZN7rocprim17ROCPRIM_400000_NS6detail17trampoline_kernelINS0_14default_configENS1_38merge_sort_block_merge_config_selectorIxNS0_10empty_typeEEEZZNS1_27merge_sort_block_merge_implIS3_N6thrust23THRUST_200600_302600_NS6detail15normal_iteratorINS9_10device_ptrIxEEEEPS5_jNS1_19radix_merge_compareILb0ELb0ExNS0_19identity_decomposerEEEEE10hipError_tT0_T1_T2_jT3_P12ihipStream_tbPNSt15iterator_traitsISK_E10value_typeEPNSQ_ISL_E10value_typeEPSM_NS1_7vsmem_tEENKUlT_SK_SL_SM_E_clIPxSE_SF_SF_EESJ_SZ_SK_SL_SM_EUlSZ_E_NS1_11comp_targetILNS1_3genE2ELNS1_11target_archE906ELNS1_3gpuE6ELNS1_3repE0EEENS1_48merge_mergepath_partition_config_static_selectorELNS0_4arch9wavefront6targetE1EEEvSL_, .Lfunc_end1415-_ZN7rocprim17ROCPRIM_400000_NS6detail17trampoline_kernelINS0_14default_configENS1_38merge_sort_block_merge_config_selectorIxNS0_10empty_typeEEEZZNS1_27merge_sort_block_merge_implIS3_N6thrust23THRUST_200600_302600_NS6detail15normal_iteratorINS9_10device_ptrIxEEEEPS5_jNS1_19radix_merge_compareILb0ELb0ExNS0_19identity_decomposerEEEEE10hipError_tT0_T1_T2_jT3_P12ihipStream_tbPNSt15iterator_traitsISK_E10value_typeEPNSQ_ISL_E10value_typeEPSM_NS1_7vsmem_tEENKUlT_SK_SL_SM_E_clIPxSE_SF_SF_EESJ_SZ_SK_SL_SM_EUlSZ_E_NS1_11comp_targetILNS1_3genE2ELNS1_11target_archE906ELNS1_3gpuE6ELNS1_3repE0EEENS1_48merge_mergepath_partition_config_static_selectorELNS0_4arch9wavefront6targetE1EEEvSL_
                                        ; -- End function
	.section	.AMDGPU.csdata,"",@progbits
; Kernel info:
; codeLenInByte = 0
; NumSgprs: 6
; NumVgprs: 0
; NumAgprs: 0
; TotalNumVgprs: 0
; ScratchSize: 0
; MemoryBound: 0
; FloatMode: 240
; IeeeMode: 1
; LDSByteSize: 0 bytes/workgroup (compile time only)
; SGPRBlocks: 0
; VGPRBlocks: 0
; NumSGPRsForWavesPerEU: 6
; NumVGPRsForWavesPerEU: 1
; AccumOffset: 4
; Occupancy: 8
; WaveLimiterHint : 0
; COMPUTE_PGM_RSRC2:SCRATCH_EN: 0
; COMPUTE_PGM_RSRC2:USER_SGPR: 2
; COMPUTE_PGM_RSRC2:TRAP_HANDLER: 0
; COMPUTE_PGM_RSRC2:TGID_X_EN: 1
; COMPUTE_PGM_RSRC2:TGID_Y_EN: 0
; COMPUTE_PGM_RSRC2:TGID_Z_EN: 0
; COMPUTE_PGM_RSRC2:TIDIG_COMP_CNT: 0
; COMPUTE_PGM_RSRC3_GFX90A:ACCUM_OFFSET: 0
; COMPUTE_PGM_RSRC3_GFX90A:TG_SPLIT: 0
	.section	.text._ZN7rocprim17ROCPRIM_400000_NS6detail17trampoline_kernelINS0_14default_configENS1_38merge_sort_block_merge_config_selectorIxNS0_10empty_typeEEEZZNS1_27merge_sort_block_merge_implIS3_N6thrust23THRUST_200600_302600_NS6detail15normal_iteratorINS9_10device_ptrIxEEEEPS5_jNS1_19radix_merge_compareILb0ELb0ExNS0_19identity_decomposerEEEEE10hipError_tT0_T1_T2_jT3_P12ihipStream_tbPNSt15iterator_traitsISK_E10value_typeEPNSQ_ISL_E10value_typeEPSM_NS1_7vsmem_tEENKUlT_SK_SL_SM_E_clIPxSE_SF_SF_EESJ_SZ_SK_SL_SM_EUlSZ_E_NS1_11comp_targetILNS1_3genE9ELNS1_11target_archE1100ELNS1_3gpuE3ELNS1_3repE0EEENS1_48merge_mergepath_partition_config_static_selectorELNS0_4arch9wavefront6targetE1EEEvSL_,"axG",@progbits,_ZN7rocprim17ROCPRIM_400000_NS6detail17trampoline_kernelINS0_14default_configENS1_38merge_sort_block_merge_config_selectorIxNS0_10empty_typeEEEZZNS1_27merge_sort_block_merge_implIS3_N6thrust23THRUST_200600_302600_NS6detail15normal_iteratorINS9_10device_ptrIxEEEEPS5_jNS1_19radix_merge_compareILb0ELb0ExNS0_19identity_decomposerEEEEE10hipError_tT0_T1_T2_jT3_P12ihipStream_tbPNSt15iterator_traitsISK_E10value_typeEPNSQ_ISL_E10value_typeEPSM_NS1_7vsmem_tEENKUlT_SK_SL_SM_E_clIPxSE_SF_SF_EESJ_SZ_SK_SL_SM_EUlSZ_E_NS1_11comp_targetILNS1_3genE9ELNS1_11target_archE1100ELNS1_3gpuE3ELNS1_3repE0EEENS1_48merge_mergepath_partition_config_static_selectorELNS0_4arch9wavefront6targetE1EEEvSL_,comdat
	.protected	_ZN7rocprim17ROCPRIM_400000_NS6detail17trampoline_kernelINS0_14default_configENS1_38merge_sort_block_merge_config_selectorIxNS0_10empty_typeEEEZZNS1_27merge_sort_block_merge_implIS3_N6thrust23THRUST_200600_302600_NS6detail15normal_iteratorINS9_10device_ptrIxEEEEPS5_jNS1_19radix_merge_compareILb0ELb0ExNS0_19identity_decomposerEEEEE10hipError_tT0_T1_T2_jT3_P12ihipStream_tbPNSt15iterator_traitsISK_E10value_typeEPNSQ_ISL_E10value_typeEPSM_NS1_7vsmem_tEENKUlT_SK_SL_SM_E_clIPxSE_SF_SF_EESJ_SZ_SK_SL_SM_EUlSZ_E_NS1_11comp_targetILNS1_3genE9ELNS1_11target_archE1100ELNS1_3gpuE3ELNS1_3repE0EEENS1_48merge_mergepath_partition_config_static_selectorELNS0_4arch9wavefront6targetE1EEEvSL_ ; -- Begin function _ZN7rocprim17ROCPRIM_400000_NS6detail17trampoline_kernelINS0_14default_configENS1_38merge_sort_block_merge_config_selectorIxNS0_10empty_typeEEEZZNS1_27merge_sort_block_merge_implIS3_N6thrust23THRUST_200600_302600_NS6detail15normal_iteratorINS9_10device_ptrIxEEEEPS5_jNS1_19radix_merge_compareILb0ELb0ExNS0_19identity_decomposerEEEEE10hipError_tT0_T1_T2_jT3_P12ihipStream_tbPNSt15iterator_traitsISK_E10value_typeEPNSQ_ISL_E10value_typeEPSM_NS1_7vsmem_tEENKUlT_SK_SL_SM_E_clIPxSE_SF_SF_EESJ_SZ_SK_SL_SM_EUlSZ_E_NS1_11comp_targetILNS1_3genE9ELNS1_11target_archE1100ELNS1_3gpuE3ELNS1_3repE0EEENS1_48merge_mergepath_partition_config_static_selectorELNS0_4arch9wavefront6targetE1EEEvSL_
	.globl	_ZN7rocprim17ROCPRIM_400000_NS6detail17trampoline_kernelINS0_14default_configENS1_38merge_sort_block_merge_config_selectorIxNS0_10empty_typeEEEZZNS1_27merge_sort_block_merge_implIS3_N6thrust23THRUST_200600_302600_NS6detail15normal_iteratorINS9_10device_ptrIxEEEEPS5_jNS1_19radix_merge_compareILb0ELb0ExNS0_19identity_decomposerEEEEE10hipError_tT0_T1_T2_jT3_P12ihipStream_tbPNSt15iterator_traitsISK_E10value_typeEPNSQ_ISL_E10value_typeEPSM_NS1_7vsmem_tEENKUlT_SK_SL_SM_E_clIPxSE_SF_SF_EESJ_SZ_SK_SL_SM_EUlSZ_E_NS1_11comp_targetILNS1_3genE9ELNS1_11target_archE1100ELNS1_3gpuE3ELNS1_3repE0EEENS1_48merge_mergepath_partition_config_static_selectorELNS0_4arch9wavefront6targetE1EEEvSL_
	.p2align	8
	.type	_ZN7rocprim17ROCPRIM_400000_NS6detail17trampoline_kernelINS0_14default_configENS1_38merge_sort_block_merge_config_selectorIxNS0_10empty_typeEEEZZNS1_27merge_sort_block_merge_implIS3_N6thrust23THRUST_200600_302600_NS6detail15normal_iteratorINS9_10device_ptrIxEEEEPS5_jNS1_19radix_merge_compareILb0ELb0ExNS0_19identity_decomposerEEEEE10hipError_tT0_T1_T2_jT3_P12ihipStream_tbPNSt15iterator_traitsISK_E10value_typeEPNSQ_ISL_E10value_typeEPSM_NS1_7vsmem_tEENKUlT_SK_SL_SM_E_clIPxSE_SF_SF_EESJ_SZ_SK_SL_SM_EUlSZ_E_NS1_11comp_targetILNS1_3genE9ELNS1_11target_archE1100ELNS1_3gpuE3ELNS1_3repE0EEENS1_48merge_mergepath_partition_config_static_selectorELNS0_4arch9wavefront6targetE1EEEvSL_,@function
_ZN7rocprim17ROCPRIM_400000_NS6detail17trampoline_kernelINS0_14default_configENS1_38merge_sort_block_merge_config_selectorIxNS0_10empty_typeEEEZZNS1_27merge_sort_block_merge_implIS3_N6thrust23THRUST_200600_302600_NS6detail15normal_iteratorINS9_10device_ptrIxEEEEPS5_jNS1_19radix_merge_compareILb0ELb0ExNS0_19identity_decomposerEEEEE10hipError_tT0_T1_T2_jT3_P12ihipStream_tbPNSt15iterator_traitsISK_E10value_typeEPNSQ_ISL_E10value_typeEPSM_NS1_7vsmem_tEENKUlT_SK_SL_SM_E_clIPxSE_SF_SF_EESJ_SZ_SK_SL_SM_EUlSZ_E_NS1_11comp_targetILNS1_3genE9ELNS1_11target_archE1100ELNS1_3gpuE3ELNS1_3repE0EEENS1_48merge_mergepath_partition_config_static_selectorELNS0_4arch9wavefront6targetE1EEEvSL_: ; @_ZN7rocprim17ROCPRIM_400000_NS6detail17trampoline_kernelINS0_14default_configENS1_38merge_sort_block_merge_config_selectorIxNS0_10empty_typeEEEZZNS1_27merge_sort_block_merge_implIS3_N6thrust23THRUST_200600_302600_NS6detail15normal_iteratorINS9_10device_ptrIxEEEEPS5_jNS1_19radix_merge_compareILb0ELb0ExNS0_19identity_decomposerEEEEE10hipError_tT0_T1_T2_jT3_P12ihipStream_tbPNSt15iterator_traitsISK_E10value_typeEPNSQ_ISL_E10value_typeEPSM_NS1_7vsmem_tEENKUlT_SK_SL_SM_E_clIPxSE_SF_SF_EESJ_SZ_SK_SL_SM_EUlSZ_E_NS1_11comp_targetILNS1_3genE9ELNS1_11target_archE1100ELNS1_3gpuE3ELNS1_3repE0EEENS1_48merge_mergepath_partition_config_static_selectorELNS0_4arch9wavefront6targetE1EEEvSL_
; %bb.0:
	.section	.rodata,"a",@progbits
	.p2align	6, 0x0
	.amdhsa_kernel _ZN7rocprim17ROCPRIM_400000_NS6detail17trampoline_kernelINS0_14default_configENS1_38merge_sort_block_merge_config_selectorIxNS0_10empty_typeEEEZZNS1_27merge_sort_block_merge_implIS3_N6thrust23THRUST_200600_302600_NS6detail15normal_iteratorINS9_10device_ptrIxEEEEPS5_jNS1_19radix_merge_compareILb0ELb0ExNS0_19identity_decomposerEEEEE10hipError_tT0_T1_T2_jT3_P12ihipStream_tbPNSt15iterator_traitsISK_E10value_typeEPNSQ_ISL_E10value_typeEPSM_NS1_7vsmem_tEENKUlT_SK_SL_SM_E_clIPxSE_SF_SF_EESJ_SZ_SK_SL_SM_EUlSZ_E_NS1_11comp_targetILNS1_3genE9ELNS1_11target_archE1100ELNS1_3gpuE3ELNS1_3repE0EEENS1_48merge_mergepath_partition_config_static_selectorELNS0_4arch9wavefront6targetE1EEEvSL_
		.amdhsa_group_segment_fixed_size 0
		.amdhsa_private_segment_fixed_size 0
		.amdhsa_kernarg_size 40
		.amdhsa_user_sgpr_count 2
		.amdhsa_user_sgpr_dispatch_ptr 0
		.amdhsa_user_sgpr_queue_ptr 0
		.amdhsa_user_sgpr_kernarg_segment_ptr 1
		.amdhsa_user_sgpr_dispatch_id 0
		.amdhsa_user_sgpr_kernarg_preload_length 0
		.amdhsa_user_sgpr_kernarg_preload_offset 0
		.amdhsa_user_sgpr_private_segment_size 0
		.amdhsa_uses_dynamic_stack 0
		.amdhsa_enable_private_segment 0
		.amdhsa_system_sgpr_workgroup_id_x 1
		.amdhsa_system_sgpr_workgroup_id_y 0
		.amdhsa_system_sgpr_workgroup_id_z 0
		.amdhsa_system_sgpr_workgroup_info 0
		.amdhsa_system_vgpr_workitem_id 0
		.amdhsa_next_free_vgpr 1
		.amdhsa_next_free_sgpr 0
		.amdhsa_accum_offset 4
		.amdhsa_reserve_vcc 0
		.amdhsa_float_round_mode_32 0
		.amdhsa_float_round_mode_16_64 0
		.amdhsa_float_denorm_mode_32 3
		.amdhsa_float_denorm_mode_16_64 3
		.amdhsa_dx10_clamp 1
		.amdhsa_ieee_mode 1
		.amdhsa_fp16_overflow 0
		.amdhsa_tg_split 0
		.amdhsa_exception_fp_ieee_invalid_op 0
		.amdhsa_exception_fp_denorm_src 0
		.amdhsa_exception_fp_ieee_div_zero 0
		.amdhsa_exception_fp_ieee_overflow 0
		.amdhsa_exception_fp_ieee_underflow 0
		.amdhsa_exception_fp_ieee_inexact 0
		.amdhsa_exception_int_div_zero 0
	.end_amdhsa_kernel
	.section	.text._ZN7rocprim17ROCPRIM_400000_NS6detail17trampoline_kernelINS0_14default_configENS1_38merge_sort_block_merge_config_selectorIxNS0_10empty_typeEEEZZNS1_27merge_sort_block_merge_implIS3_N6thrust23THRUST_200600_302600_NS6detail15normal_iteratorINS9_10device_ptrIxEEEEPS5_jNS1_19radix_merge_compareILb0ELb0ExNS0_19identity_decomposerEEEEE10hipError_tT0_T1_T2_jT3_P12ihipStream_tbPNSt15iterator_traitsISK_E10value_typeEPNSQ_ISL_E10value_typeEPSM_NS1_7vsmem_tEENKUlT_SK_SL_SM_E_clIPxSE_SF_SF_EESJ_SZ_SK_SL_SM_EUlSZ_E_NS1_11comp_targetILNS1_3genE9ELNS1_11target_archE1100ELNS1_3gpuE3ELNS1_3repE0EEENS1_48merge_mergepath_partition_config_static_selectorELNS0_4arch9wavefront6targetE1EEEvSL_,"axG",@progbits,_ZN7rocprim17ROCPRIM_400000_NS6detail17trampoline_kernelINS0_14default_configENS1_38merge_sort_block_merge_config_selectorIxNS0_10empty_typeEEEZZNS1_27merge_sort_block_merge_implIS3_N6thrust23THRUST_200600_302600_NS6detail15normal_iteratorINS9_10device_ptrIxEEEEPS5_jNS1_19radix_merge_compareILb0ELb0ExNS0_19identity_decomposerEEEEE10hipError_tT0_T1_T2_jT3_P12ihipStream_tbPNSt15iterator_traitsISK_E10value_typeEPNSQ_ISL_E10value_typeEPSM_NS1_7vsmem_tEENKUlT_SK_SL_SM_E_clIPxSE_SF_SF_EESJ_SZ_SK_SL_SM_EUlSZ_E_NS1_11comp_targetILNS1_3genE9ELNS1_11target_archE1100ELNS1_3gpuE3ELNS1_3repE0EEENS1_48merge_mergepath_partition_config_static_selectorELNS0_4arch9wavefront6targetE1EEEvSL_,comdat
.Lfunc_end1416:
	.size	_ZN7rocprim17ROCPRIM_400000_NS6detail17trampoline_kernelINS0_14default_configENS1_38merge_sort_block_merge_config_selectorIxNS0_10empty_typeEEEZZNS1_27merge_sort_block_merge_implIS3_N6thrust23THRUST_200600_302600_NS6detail15normal_iteratorINS9_10device_ptrIxEEEEPS5_jNS1_19radix_merge_compareILb0ELb0ExNS0_19identity_decomposerEEEEE10hipError_tT0_T1_T2_jT3_P12ihipStream_tbPNSt15iterator_traitsISK_E10value_typeEPNSQ_ISL_E10value_typeEPSM_NS1_7vsmem_tEENKUlT_SK_SL_SM_E_clIPxSE_SF_SF_EESJ_SZ_SK_SL_SM_EUlSZ_E_NS1_11comp_targetILNS1_3genE9ELNS1_11target_archE1100ELNS1_3gpuE3ELNS1_3repE0EEENS1_48merge_mergepath_partition_config_static_selectorELNS0_4arch9wavefront6targetE1EEEvSL_, .Lfunc_end1416-_ZN7rocprim17ROCPRIM_400000_NS6detail17trampoline_kernelINS0_14default_configENS1_38merge_sort_block_merge_config_selectorIxNS0_10empty_typeEEEZZNS1_27merge_sort_block_merge_implIS3_N6thrust23THRUST_200600_302600_NS6detail15normal_iteratorINS9_10device_ptrIxEEEEPS5_jNS1_19radix_merge_compareILb0ELb0ExNS0_19identity_decomposerEEEEE10hipError_tT0_T1_T2_jT3_P12ihipStream_tbPNSt15iterator_traitsISK_E10value_typeEPNSQ_ISL_E10value_typeEPSM_NS1_7vsmem_tEENKUlT_SK_SL_SM_E_clIPxSE_SF_SF_EESJ_SZ_SK_SL_SM_EUlSZ_E_NS1_11comp_targetILNS1_3genE9ELNS1_11target_archE1100ELNS1_3gpuE3ELNS1_3repE0EEENS1_48merge_mergepath_partition_config_static_selectorELNS0_4arch9wavefront6targetE1EEEvSL_
                                        ; -- End function
	.section	.AMDGPU.csdata,"",@progbits
; Kernel info:
; codeLenInByte = 0
; NumSgprs: 6
; NumVgprs: 0
; NumAgprs: 0
; TotalNumVgprs: 0
; ScratchSize: 0
; MemoryBound: 0
; FloatMode: 240
; IeeeMode: 1
; LDSByteSize: 0 bytes/workgroup (compile time only)
; SGPRBlocks: 0
; VGPRBlocks: 0
; NumSGPRsForWavesPerEU: 6
; NumVGPRsForWavesPerEU: 1
; AccumOffset: 4
; Occupancy: 8
; WaveLimiterHint : 0
; COMPUTE_PGM_RSRC2:SCRATCH_EN: 0
; COMPUTE_PGM_RSRC2:USER_SGPR: 2
; COMPUTE_PGM_RSRC2:TRAP_HANDLER: 0
; COMPUTE_PGM_RSRC2:TGID_X_EN: 1
; COMPUTE_PGM_RSRC2:TGID_Y_EN: 0
; COMPUTE_PGM_RSRC2:TGID_Z_EN: 0
; COMPUTE_PGM_RSRC2:TIDIG_COMP_CNT: 0
; COMPUTE_PGM_RSRC3_GFX90A:ACCUM_OFFSET: 0
; COMPUTE_PGM_RSRC3_GFX90A:TG_SPLIT: 0
	.section	.text._ZN7rocprim17ROCPRIM_400000_NS6detail17trampoline_kernelINS0_14default_configENS1_38merge_sort_block_merge_config_selectorIxNS0_10empty_typeEEEZZNS1_27merge_sort_block_merge_implIS3_N6thrust23THRUST_200600_302600_NS6detail15normal_iteratorINS9_10device_ptrIxEEEEPS5_jNS1_19radix_merge_compareILb0ELb0ExNS0_19identity_decomposerEEEEE10hipError_tT0_T1_T2_jT3_P12ihipStream_tbPNSt15iterator_traitsISK_E10value_typeEPNSQ_ISL_E10value_typeEPSM_NS1_7vsmem_tEENKUlT_SK_SL_SM_E_clIPxSE_SF_SF_EESJ_SZ_SK_SL_SM_EUlSZ_E_NS1_11comp_targetILNS1_3genE8ELNS1_11target_archE1030ELNS1_3gpuE2ELNS1_3repE0EEENS1_48merge_mergepath_partition_config_static_selectorELNS0_4arch9wavefront6targetE1EEEvSL_,"axG",@progbits,_ZN7rocprim17ROCPRIM_400000_NS6detail17trampoline_kernelINS0_14default_configENS1_38merge_sort_block_merge_config_selectorIxNS0_10empty_typeEEEZZNS1_27merge_sort_block_merge_implIS3_N6thrust23THRUST_200600_302600_NS6detail15normal_iteratorINS9_10device_ptrIxEEEEPS5_jNS1_19radix_merge_compareILb0ELb0ExNS0_19identity_decomposerEEEEE10hipError_tT0_T1_T2_jT3_P12ihipStream_tbPNSt15iterator_traitsISK_E10value_typeEPNSQ_ISL_E10value_typeEPSM_NS1_7vsmem_tEENKUlT_SK_SL_SM_E_clIPxSE_SF_SF_EESJ_SZ_SK_SL_SM_EUlSZ_E_NS1_11comp_targetILNS1_3genE8ELNS1_11target_archE1030ELNS1_3gpuE2ELNS1_3repE0EEENS1_48merge_mergepath_partition_config_static_selectorELNS0_4arch9wavefront6targetE1EEEvSL_,comdat
	.protected	_ZN7rocprim17ROCPRIM_400000_NS6detail17trampoline_kernelINS0_14default_configENS1_38merge_sort_block_merge_config_selectorIxNS0_10empty_typeEEEZZNS1_27merge_sort_block_merge_implIS3_N6thrust23THRUST_200600_302600_NS6detail15normal_iteratorINS9_10device_ptrIxEEEEPS5_jNS1_19radix_merge_compareILb0ELb0ExNS0_19identity_decomposerEEEEE10hipError_tT0_T1_T2_jT3_P12ihipStream_tbPNSt15iterator_traitsISK_E10value_typeEPNSQ_ISL_E10value_typeEPSM_NS1_7vsmem_tEENKUlT_SK_SL_SM_E_clIPxSE_SF_SF_EESJ_SZ_SK_SL_SM_EUlSZ_E_NS1_11comp_targetILNS1_3genE8ELNS1_11target_archE1030ELNS1_3gpuE2ELNS1_3repE0EEENS1_48merge_mergepath_partition_config_static_selectorELNS0_4arch9wavefront6targetE1EEEvSL_ ; -- Begin function _ZN7rocprim17ROCPRIM_400000_NS6detail17trampoline_kernelINS0_14default_configENS1_38merge_sort_block_merge_config_selectorIxNS0_10empty_typeEEEZZNS1_27merge_sort_block_merge_implIS3_N6thrust23THRUST_200600_302600_NS6detail15normal_iteratorINS9_10device_ptrIxEEEEPS5_jNS1_19radix_merge_compareILb0ELb0ExNS0_19identity_decomposerEEEEE10hipError_tT0_T1_T2_jT3_P12ihipStream_tbPNSt15iterator_traitsISK_E10value_typeEPNSQ_ISL_E10value_typeEPSM_NS1_7vsmem_tEENKUlT_SK_SL_SM_E_clIPxSE_SF_SF_EESJ_SZ_SK_SL_SM_EUlSZ_E_NS1_11comp_targetILNS1_3genE8ELNS1_11target_archE1030ELNS1_3gpuE2ELNS1_3repE0EEENS1_48merge_mergepath_partition_config_static_selectorELNS0_4arch9wavefront6targetE1EEEvSL_
	.globl	_ZN7rocprim17ROCPRIM_400000_NS6detail17trampoline_kernelINS0_14default_configENS1_38merge_sort_block_merge_config_selectorIxNS0_10empty_typeEEEZZNS1_27merge_sort_block_merge_implIS3_N6thrust23THRUST_200600_302600_NS6detail15normal_iteratorINS9_10device_ptrIxEEEEPS5_jNS1_19radix_merge_compareILb0ELb0ExNS0_19identity_decomposerEEEEE10hipError_tT0_T1_T2_jT3_P12ihipStream_tbPNSt15iterator_traitsISK_E10value_typeEPNSQ_ISL_E10value_typeEPSM_NS1_7vsmem_tEENKUlT_SK_SL_SM_E_clIPxSE_SF_SF_EESJ_SZ_SK_SL_SM_EUlSZ_E_NS1_11comp_targetILNS1_3genE8ELNS1_11target_archE1030ELNS1_3gpuE2ELNS1_3repE0EEENS1_48merge_mergepath_partition_config_static_selectorELNS0_4arch9wavefront6targetE1EEEvSL_
	.p2align	8
	.type	_ZN7rocprim17ROCPRIM_400000_NS6detail17trampoline_kernelINS0_14default_configENS1_38merge_sort_block_merge_config_selectorIxNS0_10empty_typeEEEZZNS1_27merge_sort_block_merge_implIS3_N6thrust23THRUST_200600_302600_NS6detail15normal_iteratorINS9_10device_ptrIxEEEEPS5_jNS1_19radix_merge_compareILb0ELb0ExNS0_19identity_decomposerEEEEE10hipError_tT0_T1_T2_jT3_P12ihipStream_tbPNSt15iterator_traitsISK_E10value_typeEPNSQ_ISL_E10value_typeEPSM_NS1_7vsmem_tEENKUlT_SK_SL_SM_E_clIPxSE_SF_SF_EESJ_SZ_SK_SL_SM_EUlSZ_E_NS1_11comp_targetILNS1_3genE8ELNS1_11target_archE1030ELNS1_3gpuE2ELNS1_3repE0EEENS1_48merge_mergepath_partition_config_static_selectorELNS0_4arch9wavefront6targetE1EEEvSL_,@function
_ZN7rocprim17ROCPRIM_400000_NS6detail17trampoline_kernelINS0_14default_configENS1_38merge_sort_block_merge_config_selectorIxNS0_10empty_typeEEEZZNS1_27merge_sort_block_merge_implIS3_N6thrust23THRUST_200600_302600_NS6detail15normal_iteratorINS9_10device_ptrIxEEEEPS5_jNS1_19radix_merge_compareILb0ELb0ExNS0_19identity_decomposerEEEEE10hipError_tT0_T1_T2_jT3_P12ihipStream_tbPNSt15iterator_traitsISK_E10value_typeEPNSQ_ISL_E10value_typeEPSM_NS1_7vsmem_tEENKUlT_SK_SL_SM_E_clIPxSE_SF_SF_EESJ_SZ_SK_SL_SM_EUlSZ_E_NS1_11comp_targetILNS1_3genE8ELNS1_11target_archE1030ELNS1_3gpuE2ELNS1_3repE0EEENS1_48merge_mergepath_partition_config_static_selectorELNS0_4arch9wavefront6targetE1EEEvSL_: ; @_ZN7rocprim17ROCPRIM_400000_NS6detail17trampoline_kernelINS0_14default_configENS1_38merge_sort_block_merge_config_selectorIxNS0_10empty_typeEEEZZNS1_27merge_sort_block_merge_implIS3_N6thrust23THRUST_200600_302600_NS6detail15normal_iteratorINS9_10device_ptrIxEEEEPS5_jNS1_19radix_merge_compareILb0ELb0ExNS0_19identity_decomposerEEEEE10hipError_tT0_T1_T2_jT3_P12ihipStream_tbPNSt15iterator_traitsISK_E10value_typeEPNSQ_ISL_E10value_typeEPSM_NS1_7vsmem_tEENKUlT_SK_SL_SM_E_clIPxSE_SF_SF_EESJ_SZ_SK_SL_SM_EUlSZ_E_NS1_11comp_targetILNS1_3genE8ELNS1_11target_archE1030ELNS1_3gpuE2ELNS1_3repE0EEENS1_48merge_mergepath_partition_config_static_selectorELNS0_4arch9wavefront6targetE1EEEvSL_
; %bb.0:
	.section	.rodata,"a",@progbits
	.p2align	6, 0x0
	.amdhsa_kernel _ZN7rocprim17ROCPRIM_400000_NS6detail17trampoline_kernelINS0_14default_configENS1_38merge_sort_block_merge_config_selectorIxNS0_10empty_typeEEEZZNS1_27merge_sort_block_merge_implIS3_N6thrust23THRUST_200600_302600_NS6detail15normal_iteratorINS9_10device_ptrIxEEEEPS5_jNS1_19radix_merge_compareILb0ELb0ExNS0_19identity_decomposerEEEEE10hipError_tT0_T1_T2_jT3_P12ihipStream_tbPNSt15iterator_traitsISK_E10value_typeEPNSQ_ISL_E10value_typeEPSM_NS1_7vsmem_tEENKUlT_SK_SL_SM_E_clIPxSE_SF_SF_EESJ_SZ_SK_SL_SM_EUlSZ_E_NS1_11comp_targetILNS1_3genE8ELNS1_11target_archE1030ELNS1_3gpuE2ELNS1_3repE0EEENS1_48merge_mergepath_partition_config_static_selectorELNS0_4arch9wavefront6targetE1EEEvSL_
		.amdhsa_group_segment_fixed_size 0
		.amdhsa_private_segment_fixed_size 0
		.amdhsa_kernarg_size 40
		.amdhsa_user_sgpr_count 2
		.amdhsa_user_sgpr_dispatch_ptr 0
		.amdhsa_user_sgpr_queue_ptr 0
		.amdhsa_user_sgpr_kernarg_segment_ptr 1
		.amdhsa_user_sgpr_dispatch_id 0
		.amdhsa_user_sgpr_kernarg_preload_length 0
		.amdhsa_user_sgpr_kernarg_preload_offset 0
		.amdhsa_user_sgpr_private_segment_size 0
		.amdhsa_uses_dynamic_stack 0
		.amdhsa_enable_private_segment 0
		.amdhsa_system_sgpr_workgroup_id_x 1
		.amdhsa_system_sgpr_workgroup_id_y 0
		.amdhsa_system_sgpr_workgroup_id_z 0
		.amdhsa_system_sgpr_workgroup_info 0
		.amdhsa_system_vgpr_workitem_id 0
		.amdhsa_next_free_vgpr 1
		.amdhsa_next_free_sgpr 0
		.amdhsa_accum_offset 4
		.amdhsa_reserve_vcc 0
		.amdhsa_float_round_mode_32 0
		.amdhsa_float_round_mode_16_64 0
		.amdhsa_float_denorm_mode_32 3
		.amdhsa_float_denorm_mode_16_64 3
		.amdhsa_dx10_clamp 1
		.amdhsa_ieee_mode 1
		.amdhsa_fp16_overflow 0
		.amdhsa_tg_split 0
		.amdhsa_exception_fp_ieee_invalid_op 0
		.amdhsa_exception_fp_denorm_src 0
		.amdhsa_exception_fp_ieee_div_zero 0
		.amdhsa_exception_fp_ieee_overflow 0
		.amdhsa_exception_fp_ieee_underflow 0
		.amdhsa_exception_fp_ieee_inexact 0
		.amdhsa_exception_int_div_zero 0
	.end_amdhsa_kernel
	.section	.text._ZN7rocprim17ROCPRIM_400000_NS6detail17trampoline_kernelINS0_14default_configENS1_38merge_sort_block_merge_config_selectorIxNS0_10empty_typeEEEZZNS1_27merge_sort_block_merge_implIS3_N6thrust23THRUST_200600_302600_NS6detail15normal_iteratorINS9_10device_ptrIxEEEEPS5_jNS1_19radix_merge_compareILb0ELb0ExNS0_19identity_decomposerEEEEE10hipError_tT0_T1_T2_jT3_P12ihipStream_tbPNSt15iterator_traitsISK_E10value_typeEPNSQ_ISL_E10value_typeEPSM_NS1_7vsmem_tEENKUlT_SK_SL_SM_E_clIPxSE_SF_SF_EESJ_SZ_SK_SL_SM_EUlSZ_E_NS1_11comp_targetILNS1_3genE8ELNS1_11target_archE1030ELNS1_3gpuE2ELNS1_3repE0EEENS1_48merge_mergepath_partition_config_static_selectorELNS0_4arch9wavefront6targetE1EEEvSL_,"axG",@progbits,_ZN7rocprim17ROCPRIM_400000_NS6detail17trampoline_kernelINS0_14default_configENS1_38merge_sort_block_merge_config_selectorIxNS0_10empty_typeEEEZZNS1_27merge_sort_block_merge_implIS3_N6thrust23THRUST_200600_302600_NS6detail15normal_iteratorINS9_10device_ptrIxEEEEPS5_jNS1_19radix_merge_compareILb0ELb0ExNS0_19identity_decomposerEEEEE10hipError_tT0_T1_T2_jT3_P12ihipStream_tbPNSt15iterator_traitsISK_E10value_typeEPNSQ_ISL_E10value_typeEPSM_NS1_7vsmem_tEENKUlT_SK_SL_SM_E_clIPxSE_SF_SF_EESJ_SZ_SK_SL_SM_EUlSZ_E_NS1_11comp_targetILNS1_3genE8ELNS1_11target_archE1030ELNS1_3gpuE2ELNS1_3repE0EEENS1_48merge_mergepath_partition_config_static_selectorELNS0_4arch9wavefront6targetE1EEEvSL_,comdat
.Lfunc_end1417:
	.size	_ZN7rocprim17ROCPRIM_400000_NS6detail17trampoline_kernelINS0_14default_configENS1_38merge_sort_block_merge_config_selectorIxNS0_10empty_typeEEEZZNS1_27merge_sort_block_merge_implIS3_N6thrust23THRUST_200600_302600_NS6detail15normal_iteratorINS9_10device_ptrIxEEEEPS5_jNS1_19radix_merge_compareILb0ELb0ExNS0_19identity_decomposerEEEEE10hipError_tT0_T1_T2_jT3_P12ihipStream_tbPNSt15iterator_traitsISK_E10value_typeEPNSQ_ISL_E10value_typeEPSM_NS1_7vsmem_tEENKUlT_SK_SL_SM_E_clIPxSE_SF_SF_EESJ_SZ_SK_SL_SM_EUlSZ_E_NS1_11comp_targetILNS1_3genE8ELNS1_11target_archE1030ELNS1_3gpuE2ELNS1_3repE0EEENS1_48merge_mergepath_partition_config_static_selectorELNS0_4arch9wavefront6targetE1EEEvSL_, .Lfunc_end1417-_ZN7rocprim17ROCPRIM_400000_NS6detail17trampoline_kernelINS0_14default_configENS1_38merge_sort_block_merge_config_selectorIxNS0_10empty_typeEEEZZNS1_27merge_sort_block_merge_implIS3_N6thrust23THRUST_200600_302600_NS6detail15normal_iteratorINS9_10device_ptrIxEEEEPS5_jNS1_19radix_merge_compareILb0ELb0ExNS0_19identity_decomposerEEEEE10hipError_tT0_T1_T2_jT3_P12ihipStream_tbPNSt15iterator_traitsISK_E10value_typeEPNSQ_ISL_E10value_typeEPSM_NS1_7vsmem_tEENKUlT_SK_SL_SM_E_clIPxSE_SF_SF_EESJ_SZ_SK_SL_SM_EUlSZ_E_NS1_11comp_targetILNS1_3genE8ELNS1_11target_archE1030ELNS1_3gpuE2ELNS1_3repE0EEENS1_48merge_mergepath_partition_config_static_selectorELNS0_4arch9wavefront6targetE1EEEvSL_
                                        ; -- End function
	.section	.AMDGPU.csdata,"",@progbits
; Kernel info:
; codeLenInByte = 0
; NumSgprs: 6
; NumVgprs: 0
; NumAgprs: 0
; TotalNumVgprs: 0
; ScratchSize: 0
; MemoryBound: 0
; FloatMode: 240
; IeeeMode: 1
; LDSByteSize: 0 bytes/workgroup (compile time only)
; SGPRBlocks: 0
; VGPRBlocks: 0
; NumSGPRsForWavesPerEU: 6
; NumVGPRsForWavesPerEU: 1
; AccumOffset: 4
; Occupancy: 8
; WaveLimiterHint : 0
; COMPUTE_PGM_RSRC2:SCRATCH_EN: 0
; COMPUTE_PGM_RSRC2:USER_SGPR: 2
; COMPUTE_PGM_RSRC2:TRAP_HANDLER: 0
; COMPUTE_PGM_RSRC2:TGID_X_EN: 1
; COMPUTE_PGM_RSRC2:TGID_Y_EN: 0
; COMPUTE_PGM_RSRC2:TGID_Z_EN: 0
; COMPUTE_PGM_RSRC2:TIDIG_COMP_CNT: 0
; COMPUTE_PGM_RSRC3_GFX90A:ACCUM_OFFSET: 0
; COMPUTE_PGM_RSRC3_GFX90A:TG_SPLIT: 0
	.section	.text._ZN7rocprim17ROCPRIM_400000_NS6detail17trampoline_kernelINS0_14default_configENS1_38merge_sort_block_merge_config_selectorIxNS0_10empty_typeEEEZZNS1_27merge_sort_block_merge_implIS3_N6thrust23THRUST_200600_302600_NS6detail15normal_iteratorINS9_10device_ptrIxEEEEPS5_jNS1_19radix_merge_compareILb0ELb0ExNS0_19identity_decomposerEEEEE10hipError_tT0_T1_T2_jT3_P12ihipStream_tbPNSt15iterator_traitsISK_E10value_typeEPNSQ_ISL_E10value_typeEPSM_NS1_7vsmem_tEENKUlT_SK_SL_SM_E_clIPxSE_SF_SF_EESJ_SZ_SK_SL_SM_EUlSZ_E0_NS1_11comp_targetILNS1_3genE0ELNS1_11target_archE4294967295ELNS1_3gpuE0ELNS1_3repE0EEENS1_38merge_mergepath_config_static_selectorELNS0_4arch9wavefront6targetE1EEEvSL_,"axG",@progbits,_ZN7rocprim17ROCPRIM_400000_NS6detail17trampoline_kernelINS0_14default_configENS1_38merge_sort_block_merge_config_selectorIxNS0_10empty_typeEEEZZNS1_27merge_sort_block_merge_implIS3_N6thrust23THRUST_200600_302600_NS6detail15normal_iteratorINS9_10device_ptrIxEEEEPS5_jNS1_19radix_merge_compareILb0ELb0ExNS0_19identity_decomposerEEEEE10hipError_tT0_T1_T2_jT3_P12ihipStream_tbPNSt15iterator_traitsISK_E10value_typeEPNSQ_ISL_E10value_typeEPSM_NS1_7vsmem_tEENKUlT_SK_SL_SM_E_clIPxSE_SF_SF_EESJ_SZ_SK_SL_SM_EUlSZ_E0_NS1_11comp_targetILNS1_3genE0ELNS1_11target_archE4294967295ELNS1_3gpuE0ELNS1_3repE0EEENS1_38merge_mergepath_config_static_selectorELNS0_4arch9wavefront6targetE1EEEvSL_,comdat
	.protected	_ZN7rocprim17ROCPRIM_400000_NS6detail17trampoline_kernelINS0_14default_configENS1_38merge_sort_block_merge_config_selectorIxNS0_10empty_typeEEEZZNS1_27merge_sort_block_merge_implIS3_N6thrust23THRUST_200600_302600_NS6detail15normal_iteratorINS9_10device_ptrIxEEEEPS5_jNS1_19radix_merge_compareILb0ELb0ExNS0_19identity_decomposerEEEEE10hipError_tT0_T1_T2_jT3_P12ihipStream_tbPNSt15iterator_traitsISK_E10value_typeEPNSQ_ISL_E10value_typeEPSM_NS1_7vsmem_tEENKUlT_SK_SL_SM_E_clIPxSE_SF_SF_EESJ_SZ_SK_SL_SM_EUlSZ_E0_NS1_11comp_targetILNS1_3genE0ELNS1_11target_archE4294967295ELNS1_3gpuE0ELNS1_3repE0EEENS1_38merge_mergepath_config_static_selectorELNS0_4arch9wavefront6targetE1EEEvSL_ ; -- Begin function _ZN7rocprim17ROCPRIM_400000_NS6detail17trampoline_kernelINS0_14default_configENS1_38merge_sort_block_merge_config_selectorIxNS0_10empty_typeEEEZZNS1_27merge_sort_block_merge_implIS3_N6thrust23THRUST_200600_302600_NS6detail15normal_iteratorINS9_10device_ptrIxEEEEPS5_jNS1_19radix_merge_compareILb0ELb0ExNS0_19identity_decomposerEEEEE10hipError_tT0_T1_T2_jT3_P12ihipStream_tbPNSt15iterator_traitsISK_E10value_typeEPNSQ_ISL_E10value_typeEPSM_NS1_7vsmem_tEENKUlT_SK_SL_SM_E_clIPxSE_SF_SF_EESJ_SZ_SK_SL_SM_EUlSZ_E0_NS1_11comp_targetILNS1_3genE0ELNS1_11target_archE4294967295ELNS1_3gpuE0ELNS1_3repE0EEENS1_38merge_mergepath_config_static_selectorELNS0_4arch9wavefront6targetE1EEEvSL_
	.globl	_ZN7rocprim17ROCPRIM_400000_NS6detail17trampoline_kernelINS0_14default_configENS1_38merge_sort_block_merge_config_selectorIxNS0_10empty_typeEEEZZNS1_27merge_sort_block_merge_implIS3_N6thrust23THRUST_200600_302600_NS6detail15normal_iteratorINS9_10device_ptrIxEEEEPS5_jNS1_19radix_merge_compareILb0ELb0ExNS0_19identity_decomposerEEEEE10hipError_tT0_T1_T2_jT3_P12ihipStream_tbPNSt15iterator_traitsISK_E10value_typeEPNSQ_ISL_E10value_typeEPSM_NS1_7vsmem_tEENKUlT_SK_SL_SM_E_clIPxSE_SF_SF_EESJ_SZ_SK_SL_SM_EUlSZ_E0_NS1_11comp_targetILNS1_3genE0ELNS1_11target_archE4294967295ELNS1_3gpuE0ELNS1_3repE0EEENS1_38merge_mergepath_config_static_selectorELNS0_4arch9wavefront6targetE1EEEvSL_
	.p2align	8
	.type	_ZN7rocprim17ROCPRIM_400000_NS6detail17trampoline_kernelINS0_14default_configENS1_38merge_sort_block_merge_config_selectorIxNS0_10empty_typeEEEZZNS1_27merge_sort_block_merge_implIS3_N6thrust23THRUST_200600_302600_NS6detail15normal_iteratorINS9_10device_ptrIxEEEEPS5_jNS1_19radix_merge_compareILb0ELb0ExNS0_19identity_decomposerEEEEE10hipError_tT0_T1_T2_jT3_P12ihipStream_tbPNSt15iterator_traitsISK_E10value_typeEPNSQ_ISL_E10value_typeEPSM_NS1_7vsmem_tEENKUlT_SK_SL_SM_E_clIPxSE_SF_SF_EESJ_SZ_SK_SL_SM_EUlSZ_E0_NS1_11comp_targetILNS1_3genE0ELNS1_11target_archE4294967295ELNS1_3gpuE0ELNS1_3repE0EEENS1_38merge_mergepath_config_static_selectorELNS0_4arch9wavefront6targetE1EEEvSL_,@function
_ZN7rocprim17ROCPRIM_400000_NS6detail17trampoline_kernelINS0_14default_configENS1_38merge_sort_block_merge_config_selectorIxNS0_10empty_typeEEEZZNS1_27merge_sort_block_merge_implIS3_N6thrust23THRUST_200600_302600_NS6detail15normal_iteratorINS9_10device_ptrIxEEEEPS5_jNS1_19radix_merge_compareILb0ELb0ExNS0_19identity_decomposerEEEEE10hipError_tT0_T1_T2_jT3_P12ihipStream_tbPNSt15iterator_traitsISK_E10value_typeEPNSQ_ISL_E10value_typeEPSM_NS1_7vsmem_tEENKUlT_SK_SL_SM_E_clIPxSE_SF_SF_EESJ_SZ_SK_SL_SM_EUlSZ_E0_NS1_11comp_targetILNS1_3genE0ELNS1_11target_archE4294967295ELNS1_3gpuE0ELNS1_3repE0EEENS1_38merge_mergepath_config_static_selectorELNS0_4arch9wavefront6targetE1EEEvSL_: ; @_ZN7rocprim17ROCPRIM_400000_NS6detail17trampoline_kernelINS0_14default_configENS1_38merge_sort_block_merge_config_selectorIxNS0_10empty_typeEEEZZNS1_27merge_sort_block_merge_implIS3_N6thrust23THRUST_200600_302600_NS6detail15normal_iteratorINS9_10device_ptrIxEEEEPS5_jNS1_19radix_merge_compareILb0ELb0ExNS0_19identity_decomposerEEEEE10hipError_tT0_T1_T2_jT3_P12ihipStream_tbPNSt15iterator_traitsISK_E10value_typeEPNSQ_ISL_E10value_typeEPSM_NS1_7vsmem_tEENKUlT_SK_SL_SM_E_clIPxSE_SF_SF_EESJ_SZ_SK_SL_SM_EUlSZ_E0_NS1_11comp_targetILNS1_3genE0ELNS1_11target_archE4294967295ELNS1_3gpuE0ELNS1_3repE0EEENS1_38merge_mergepath_config_static_selectorELNS0_4arch9wavefront6targetE1EEEvSL_
; %bb.0:
	.section	.rodata,"a",@progbits
	.p2align	6, 0x0
	.amdhsa_kernel _ZN7rocprim17ROCPRIM_400000_NS6detail17trampoline_kernelINS0_14default_configENS1_38merge_sort_block_merge_config_selectorIxNS0_10empty_typeEEEZZNS1_27merge_sort_block_merge_implIS3_N6thrust23THRUST_200600_302600_NS6detail15normal_iteratorINS9_10device_ptrIxEEEEPS5_jNS1_19radix_merge_compareILb0ELb0ExNS0_19identity_decomposerEEEEE10hipError_tT0_T1_T2_jT3_P12ihipStream_tbPNSt15iterator_traitsISK_E10value_typeEPNSQ_ISL_E10value_typeEPSM_NS1_7vsmem_tEENKUlT_SK_SL_SM_E_clIPxSE_SF_SF_EESJ_SZ_SK_SL_SM_EUlSZ_E0_NS1_11comp_targetILNS1_3genE0ELNS1_11target_archE4294967295ELNS1_3gpuE0ELNS1_3repE0EEENS1_38merge_mergepath_config_static_selectorELNS0_4arch9wavefront6targetE1EEEvSL_
		.amdhsa_group_segment_fixed_size 0
		.amdhsa_private_segment_fixed_size 0
		.amdhsa_kernarg_size 64
		.amdhsa_user_sgpr_count 2
		.amdhsa_user_sgpr_dispatch_ptr 0
		.amdhsa_user_sgpr_queue_ptr 0
		.amdhsa_user_sgpr_kernarg_segment_ptr 1
		.amdhsa_user_sgpr_dispatch_id 0
		.amdhsa_user_sgpr_kernarg_preload_length 0
		.amdhsa_user_sgpr_kernarg_preload_offset 0
		.amdhsa_user_sgpr_private_segment_size 0
		.amdhsa_uses_dynamic_stack 0
		.amdhsa_enable_private_segment 0
		.amdhsa_system_sgpr_workgroup_id_x 1
		.amdhsa_system_sgpr_workgroup_id_y 0
		.amdhsa_system_sgpr_workgroup_id_z 0
		.amdhsa_system_sgpr_workgroup_info 0
		.amdhsa_system_vgpr_workitem_id 0
		.amdhsa_next_free_vgpr 1
		.amdhsa_next_free_sgpr 0
		.amdhsa_accum_offset 4
		.amdhsa_reserve_vcc 0
		.amdhsa_float_round_mode_32 0
		.amdhsa_float_round_mode_16_64 0
		.amdhsa_float_denorm_mode_32 3
		.amdhsa_float_denorm_mode_16_64 3
		.amdhsa_dx10_clamp 1
		.amdhsa_ieee_mode 1
		.amdhsa_fp16_overflow 0
		.amdhsa_tg_split 0
		.amdhsa_exception_fp_ieee_invalid_op 0
		.amdhsa_exception_fp_denorm_src 0
		.amdhsa_exception_fp_ieee_div_zero 0
		.amdhsa_exception_fp_ieee_overflow 0
		.amdhsa_exception_fp_ieee_underflow 0
		.amdhsa_exception_fp_ieee_inexact 0
		.amdhsa_exception_int_div_zero 0
	.end_amdhsa_kernel
	.section	.text._ZN7rocprim17ROCPRIM_400000_NS6detail17trampoline_kernelINS0_14default_configENS1_38merge_sort_block_merge_config_selectorIxNS0_10empty_typeEEEZZNS1_27merge_sort_block_merge_implIS3_N6thrust23THRUST_200600_302600_NS6detail15normal_iteratorINS9_10device_ptrIxEEEEPS5_jNS1_19radix_merge_compareILb0ELb0ExNS0_19identity_decomposerEEEEE10hipError_tT0_T1_T2_jT3_P12ihipStream_tbPNSt15iterator_traitsISK_E10value_typeEPNSQ_ISL_E10value_typeEPSM_NS1_7vsmem_tEENKUlT_SK_SL_SM_E_clIPxSE_SF_SF_EESJ_SZ_SK_SL_SM_EUlSZ_E0_NS1_11comp_targetILNS1_3genE0ELNS1_11target_archE4294967295ELNS1_3gpuE0ELNS1_3repE0EEENS1_38merge_mergepath_config_static_selectorELNS0_4arch9wavefront6targetE1EEEvSL_,"axG",@progbits,_ZN7rocprim17ROCPRIM_400000_NS6detail17trampoline_kernelINS0_14default_configENS1_38merge_sort_block_merge_config_selectorIxNS0_10empty_typeEEEZZNS1_27merge_sort_block_merge_implIS3_N6thrust23THRUST_200600_302600_NS6detail15normal_iteratorINS9_10device_ptrIxEEEEPS5_jNS1_19radix_merge_compareILb0ELb0ExNS0_19identity_decomposerEEEEE10hipError_tT0_T1_T2_jT3_P12ihipStream_tbPNSt15iterator_traitsISK_E10value_typeEPNSQ_ISL_E10value_typeEPSM_NS1_7vsmem_tEENKUlT_SK_SL_SM_E_clIPxSE_SF_SF_EESJ_SZ_SK_SL_SM_EUlSZ_E0_NS1_11comp_targetILNS1_3genE0ELNS1_11target_archE4294967295ELNS1_3gpuE0ELNS1_3repE0EEENS1_38merge_mergepath_config_static_selectorELNS0_4arch9wavefront6targetE1EEEvSL_,comdat
.Lfunc_end1418:
	.size	_ZN7rocprim17ROCPRIM_400000_NS6detail17trampoline_kernelINS0_14default_configENS1_38merge_sort_block_merge_config_selectorIxNS0_10empty_typeEEEZZNS1_27merge_sort_block_merge_implIS3_N6thrust23THRUST_200600_302600_NS6detail15normal_iteratorINS9_10device_ptrIxEEEEPS5_jNS1_19radix_merge_compareILb0ELb0ExNS0_19identity_decomposerEEEEE10hipError_tT0_T1_T2_jT3_P12ihipStream_tbPNSt15iterator_traitsISK_E10value_typeEPNSQ_ISL_E10value_typeEPSM_NS1_7vsmem_tEENKUlT_SK_SL_SM_E_clIPxSE_SF_SF_EESJ_SZ_SK_SL_SM_EUlSZ_E0_NS1_11comp_targetILNS1_3genE0ELNS1_11target_archE4294967295ELNS1_3gpuE0ELNS1_3repE0EEENS1_38merge_mergepath_config_static_selectorELNS0_4arch9wavefront6targetE1EEEvSL_, .Lfunc_end1418-_ZN7rocprim17ROCPRIM_400000_NS6detail17trampoline_kernelINS0_14default_configENS1_38merge_sort_block_merge_config_selectorIxNS0_10empty_typeEEEZZNS1_27merge_sort_block_merge_implIS3_N6thrust23THRUST_200600_302600_NS6detail15normal_iteratorINS9_10device_ptrIxEEEEPS5_jNS1_19radix_merge_compareILb0ELb0ExNS0_19identity_decomposerEEEEE10hipError_tT0_T1_T2_jT3_P12ihipStream_tbPNSt15iterator_traitsISK_E10value_typeEPNSQ_ISL_E10value_typeEPSM_NS1_7vsmem_tEENKUlT_SK_SL_SM_E_clIPxSE_SF_SF_EESJ_SZ_SK_SL_SM_EUlSZ_E0_NS1_11comp_targetILNS1_3genE0ELNS1_11target_archE4294967295ELNS1_3gpuE0ELNS1_3repE0EEENS1_38merge_mergepath_config_static_selectorELNS0_4arch9wavefront6targetE1EEEvSL_
                                        ; -- End function
	.section	.AMDGPU.csdata,"",@progbits
; Kernel info:
; codeLenInByte = 0
; NumSgprs: 6
; NumVgprs: 0
; NumAgprs: 0
; TotalNumVgprs: 0
; ScratchSize: 0
; MemoryBound: 0
; FloatMode: 240
; IeeeMode: 1
; LDSByteSize: 0 bytes/workgroup (compile time only)
; SGPRBlocks: 0
; VGPRBlocks: 0
; NumSGPRsForWavesPerEU: 6
; NumVGPRsForWavesPerEU: 1
; AccumOffset: 4
; Occupancy: 8
; WaveLimiterHint : 0
; COMPUTE_PGM_RSRC2:SCRATCH_EN: 0
; COMPUTE_PGM_RSRC2:USER_SGPR: 2
; COMPUTE_PGM_RSRC2:TRAP_HANDLER: 0
; COMPUTE_PGM_RSRC2:TGID_X_EN: 1
; COMPUTE_PGM_RSRC2:TGID_Y_EN: 0
; COMPUTE_PGM_RSRC2:TGID_Z_EN: 0
; COMPUTE_PGM_RSRC2:TIDIG_COMP_CNT: 0
; COMPUTE_PGM_RSRC3_GFX90A:ACCUM_OFFSET: 0
; COMPUTE_PGM_RSRC3_GFX90A:TG_SPLIT: 0
	.section	.text._ZN7rocprim17ROCPRIM_400000_NS6detail17trampoline_kernelINS0_14default_configENS1_38merge_sort_block_merge_config_selectorIxNS0_10empty_typeEEEZZNS1_27merge_sort_block_merge_implIS3_N6thrust23THRUST_200600_302600_NS6detail15normal_iteratorINS9_10device_ptrIxEEEEPS5_jNS1_19radix_merge_compareILb0ELb0ExNS0_19identity_decomposerEEEEE10hipError_tT0_T1_T2_jT3_P12ihipStream_tbPNSt15iterator_traitsISK_E10value_typeEPNSQ_ISL_E10value_typeEPSM_NS1_7vsmem_tEENKUlT_SK_SL_SM_E_clIPxSE_SF_SF_EESJ_SZ_SK_SL_SM_EUlSZ_E0_NS1_11comp_targetILNS1_3genE10ELNS1_11target_archE1201ELNS1_3gpuE5ELNS1_3repE0EEENS1_38merge_mergepath_config_static_selectorELNS0_4arch9wavefront6targetE1EEEvSL_,"axG",@progbits,_ZN7rocprim17ROCPRIM_400000_NS6detail17trampoline_kernelINS0_14default_configENS1_38merge_sort_block_merge_config_selectorIxNS0_10empty_typeEEEZZNS1_27merge_sort_block_merge_implIS3_N6thrust23THRUST_200600_302600_NS6detail15normal_iteratorINS9_10device_ptrIxEEEEPS5_jNS1_19radix_merge_compareILb0ELb0ExNS0_19identity_decomposerEEEEE10hipError_tT0_T1_T2_jT3_P12ihipStream_tbPNSt15iterator_traitsISK_E10value_typeEPNSQ_ISL_E10value_typeEPSM_NS1_7vsmem_tEENKUlT_SK_SL_SM_E_clIPxSE_SF_SF_EESJ_SZ_SK_SL_SM_EUlSZ_E0_NS1_11comp_targetILNS1_3genE10ELNS1_11target_archE1201ELNS1_3gpuE5ELNS1_3repE0EEENS1_38merge_mergepath_config_static_selectorELNS0_4arch9wavefront6targetE1EEEvSL_,comdat
	.protected	_ZN7rocprim17ROCPRIM_400000_NS6detail17trampoline_kernelINS0_14default_configENS1_38merge_sort_block_merge_config_selectorIxNS0_10empty_typeEEEZZNS1_27merge_sort_block_merge_implIS3_N6thrust23THRUST_200600_302600_NS6detail15normal_iteratorINS9_10device_ptrIxEEEEPS5_jNS1_19radix_merge_compareILb0ELb0ExNS0_19identity_decomposerEEEEE10hipError_tT0_T1_T2_jT3_P12ihipStream_tbPNSt15iterator_traitsISK_E10value_typeEPNSQ_ISL_E10value_typeEPSM_NS1_7vsmem_tEENKUlT_SK_SL_SM_E_clIPxSE_SF_SF_EESJ_SZ_SK_SL_SM_EUlSZ_E0_NS1_11comp_targetILNS1_3genE10ELNS1_11target_archE1201ELNS1_3gpuE5ELNS1_3repE0EEENS1_38merge_mergepath_config_static_selectorELNS0_4arch9wavefront6targetE1EEEvSL_ ; -- Begin function _ZN7rocprim17ROCPRIM_400000_NS6detail17trampoline_kernelINS0_14default_configENS1_38merge_sort_block_merge_config_selectorIxNS0_10empty_typeEEEZZNS1_27merge_sort_block_merge_implIS3_N6thrust23THRUST_200600_302600_NS6detail15normal_iteratorINS9_10device_ptrIxEEEEPS5_jNS1_19radix_merge_compareILb0ELb0ExNS0_19identity_decomposerEEEEE10hipError_tT0_T1_T2_jT3_P12ihipStream_tbPNSt15iterator_traitsISK_E10value_typeEPNSQ_ISL_E10value_typeEPSM_NS1_7vsmem_tEENKUlT_SK_SL_SM_E_clIPxSE_SF_SF_EESJ_SZ_SK_SL_SM_EUlSZ_E0_NS1_11comp_targetILNS1_3genE10ELNS1_11target_archE1201ELNS1_3gpuE5ELNS1_3repE0EEENS1_38merge_mergepath_config_static_selectorELNS0_4arch9wavefront6targetE1EEEvSL_
	.globl	_ZN7rocprim17ROCPRIM_400000_NS6detail17trampoline_kernelINS0_14default_configENS1_38merge_sort_block_merge_config_selectorIxNS0_10empty_typeEEEZZNS1_27merge_sort_block_merge_implIS3_N6thrust23THRUST_200600_302600_NS6detail15normal_iteratorINS9_10device_ptrIxEEEEPS5_jNS1_19radix_merge_compareILb0ELb0ExNS0_19identity_decomposerEEEEE10hipError_tT0_T1_T2_jT3_P12ihipStream_tbPNSt15iterator_traitsISK_E10value_typeEPNSQ_ISL_E10value_typeEPSM_NS1_7vsmem_tEENKUlT_SK_SL_SM_E_clIPxSE_SF_SF_EESJ_SZ_SK_SL_SM_EUlSZ_E0_NS1_11comp_targetILNS1_3genE10ELNS1_11target_archE1201ELNS1_3gpuE5ELNS1_3repE0EEENS1_38merge_mergepath_config_static_selectorELNS0_4arch9wavefront6targetE1EEEvSL_
	.p2align	8
	.type	_ZN7rocprim17ROCPRIM_400000_NS6detail17trampoline_kernelINS0_14default_configENS1_38merge_sort_block_merge_config_selectorIxNS0_10empty_typeEEEZZNS1_27merge_sort_block_merge_implIS3_N6thrust23THRUST_200600_302600_NS6detail15normal_iteratorINS9_10device_ptrIxEEEEPS5_jNS1_19radix_merge_compareILb0ELb0ExNS0_19identity_decomposerEEEEE10hipError_tT0_T1_T2_jT3_P12ihipStream_tbPNSt15iterator_traitsISK_E10value_typeEPNSQ_ISL_E10value_typeEPSM_NS1_7vsmem_tEENKUlT_SK_SL_SM_E_clIPxSE_SF_SF_EESJ_SZ_SK_SL_SM_EUlSZ_E0_NS1_11comp_targetILNS1_3genE10ELNS1_11target_archE1201ELNS1_3gpuE5ELNS1_3repE0EEENS1_38merge_mergepath_config_static_selectorELNS0_4arch9wavefront6targetE1EEEvSL_,@function
_ZN7rocprim17ROCPRIM_400000_NS6detail17trampoline_kernelINS0_14default_configENS1_38merge_sort_block_merge_config_selectorIxNS0_10empty_typeEEEZZNS1_27merge_sort_block_merge_implIS3_N6thrust23THRUST_200600_302600_NS6detail15normal_iteratorINS9_10device_ptrIxEEEEPS5_jNS1_19radix_merge_compareILb0ELb0ExNS0_19identity_decomposerEEEEE10hipError_tT0_T1_T2_jT3_P12ihipStream_tbPNSt15iterator_traitsISK_E10value_typeEPNSQ_ISL_E10value_typeEPSM_NS1_7vsmem_tEENKUlT_SK_SL_SM_E_clIPxSE_SF_SF_EESJ_SZ_SK_SL_SM_EUlSZ_E0_NS1_11comp_targetILNS1_3genE10ELNS1_11target_archE1201ELNS1_3gpuE5ELNS1_3repE0EEENS1_38merge_mergepath_config_static_selectorELNS0_4arch9wavefront6targetE1EEEvSL_: ; @_ZN7rocprim17ROCPRIM_400000_NS6detail17trampoline_kernelINS0_14default_configENS1_38merge_sort_block_merge_config_selectorIxNS0_10empty_typeEEEZZNS1_27merge_sort_block_merge_implIS3_N6thrust23THRUST_200600_302600_NS6detail15normal_iteratorINS9_10device_ptrIxEEEEPS5_jNS1_19radix_merge_compareILb0ELb0ExNS0_19identity_decomposerEEEEE10hipError_tT0_T1_T2_jT3_P12ihipStream_tbPNSt15iterator_traitsISK_E10value_typeEPNSQ_ISL_E10value_typeEPSM_NS1_7vsmem_tEENKUlT_SK_SL_SM_E_clIPxSE_SF_SF_EESJ_SZ_SK_SL_SM_EUlSZ_E0_NS1_11comp_targetILNS1_3genE10ELNS1_11target_archE1201ELNS1_3gpuE5ELNS1_3repE0EEENS1_38merge_mergepath_config_static_selectorELNS0_4arch9wavefront6targetE1EEEvSL_
; %bb.0:
	.section	.rodata,"a",@progbits
	.p2align	6, 0x0
	.amdhsa_kernel _ZN7rocprim17ROCPRIM_400000_NS6detail17trampoline_kernelINS0_14default_configENS1_38merge_sort_block_merge_config_selectorIxNS0_10empty_typeEEEZZNS1_27merge_sort_block_merge_implIS3_N6thrust23THRUST_200600_302600_NS6detail15normal_iteratorINS9_10device_ptrIxEEEEPS5_jNS1_19radix_merge_compareILb0ELb0ExNS0_19identity_decomposerEEEEE10hipError_tT0_T1_T2_jT3_P12ihipStream_tbPNSt15iterator_traitsISK_E10value_typeEPNSQ_ISL_E10value_typeEPSM_NS1_7vsmem_tEENKUlT_SK_SL_SM_E_clIPxSE_SF_SF_EESJ_SZ_SK_SL_SM_EUlSZ_E0_NS1_11comp_targetILNS1_3genE10ELNS1_11target_archE1201ELNS1_3gpuE5ELNS1_3repE0EEENS1_38merge_mergepath_config_static_selectorELNS0_4arch9wavefront6targetE1EEEvSL_
		.amdhsa_group_segment_fixed_size 0
		.amdhsa_private_segment_fixed_size 0
		.amdhsa_kernarg_size 64
		.amdhsa_user_sgpr_count 2
		.amdhsa_user_sgpr_dispatch_ptr 0
		.amdhsa_user_sgpr_queue_ptr 0
		.amdhsa_user_sgpr_kernarg_segment_ptr 1
		.amdhsa_user_sgpr_dispatch_id 0
		.amdhsa_user_sgpr_kernarg_preload_length 0
		.amdhsa_user_sgpr_kernarg_preload_offset 0
		.amdhsa_user_sgpr_private_segment_size 0
		.amdhsa_uses_dynamic_stack 0
		.amdhsa_enable_private_segment 0
		.amdhsa_system_sgpr_workgroup_id_x 1
		.amdhsa_system_sgpr_workgroup_id_y 0
		.amdhsa_system_sgpr_workgroup_id_z 0
		.amdhsa_system_sgpr_workgroup_info 0
		.amdhsa_system_vgpr_workitem_id 0
		.amdhsa_next_free_vgpr 1
		.amdhsa_next_free_sgpr 0
		.amdhsa_accum_offset 4
		.amdhsa_reserve_vcc 0
		.amdhsa_float_round_mode_32 0
		.amdhsa_float_round_mode_16_64 0
		.amdhsa_float_denorm_mode_32 3
		.amdhsa_float_denorm_mode_16_64 3
		.amdhsa_dx10_clamp 1
		.amdhsa_ieee_mode 1
		.amdhsa_fp16_overflow 0
		.amdhsa_tg_split 0
		.amdhsa_exception_fp_ieee_invalid_op 0
		.amdhsa_exception_fp_denorm_src 0
		.amdhsa_exception_fp_ieee_div_zero 0
		.amdhsa_exception_fp_ieee_overflow 0
		.amdhsa_exception_fp_ieee_underflow 0
		.amdhsa_exception_fp_ieee_inexact 0
		.amdhsa_exception_int_div_zero 0
	.end_amdhsa_kernel
	.section	.text._ZN7rocprim17ROCPRIM_400000_NS6detail17trampoline_kernelINS0_14default_configENS1_38merge_sort_block_merge_config_selectorIxNS0_10empty_typeEEEZZNS1_27merge_sort_block_merge_implIS3_N6thrust23THRUST_200600_302600_NS6detail15normal_iteratorINS9_10device_ptrIxEEEEPS5_jNS1_19radix_merge_compareILb0ELb0ExNS0_19identity_decomposerEEEEE10hipError_tT0_T1_T2_jT3_P12ihipStream_tbPNSt15iterator_traitsISK_E10value_typeEPNSQ_ISL_E10value_typeEPSM_NS1_7vsmem_tEENKUlT_SK_SL_SM_E_clIPxSE_SF_SF_EESJ_SZ_SK_SL_SM_EUlSZ_E0_NS1_11comp_targetILNS1_3genE10ELNS1_11target_archE1201ELNS1_3gpuE5ELNS1_3repE0EEENS1_38merge_mergepath_config_static_selectorELNS0_4arch9wavefront6targetE1EEEvSL_,"axG",@progbits,_ZN7rocprim17ROCPRIM_400000_NS6detail17trampoline_kernelINS0_14default_configENS1_38merge_sort_block_merge_config_selectorIxNS0_10empty_typeEEEZZNS1_27merge_sort_block_merge_implIS3_N6thrust23THRUST_200600_302600_NS6detail15normal_iteratorINS9_10device_ptrIxEEEEPS5_jNS1_19radix_merge_compareILb0ELb0ExNS0_19identity_decomposerEEEEE10hipError_tT0_T1_T2_jT3_P12ihipStream_tbPNSt15iterator_traitsISK_E10value_typeEPNSQ_ISL_E10value_typeEPSM_NS1_7vsmem_tEENKUlT_SK_SL_SM_E_clIPxSE_SF_SF_EESJ_SZ_SK_SL_SM_EUlSZ_E0_NS1_11comp_targetILNS1_3genE10ELNS1_11target_archE1201ELNS1_3gpuE5ELNS1_3repE0EEENS1_38merge_mergepath_config_static_selectorELNS0_4arch9wavefront6targetE1EEEvSL_,comdat
.Lfunc_end1419:
	.size	_ZN7rocprim17ROCPRIM_400000_NS6detail17trampoline_kernelINS0_14default_configENS1_38merge_sort_block_merge_config_selectorIxNS0_10empty_typeEEEZZNS1_27merge_sort_block_merge_implIS3_N6thrust23THRUST_200600_302600_NS6detail15normal_iteratorINS9_10device_ptrIxEEEEPS5_jNS1_19radix_merge_compareILb0ELb0ExNS0_19identity_decomposerEEEEE10hipError_tT0_T1_T2_jT3_P12ihipStream_tbPNSt15iterator_traitsISK_E10value_typeEPNSQ_ISL_E10value_typeEPSM_NS1_7vsmem_tEENKUlT_SK_SL_SM_E_clIPxSE_SF_SF_EESJ_SZ_SK_SL_SM_EUlSZ_E0_NS1_11comp_targetILNS1_3genE10ELNS1_11target_archE1201ELNS1_3gpuE5ELNS1_3repE0EEENS1_38merge_mergepath_config_static_selectorELNS0_4arch9wavefront6targetE1EEEvSL_, .Lfunc_end1419-_ZN7rocprim17ROCPRIM_400000_NS6detail17trampoline_kernelINS0_14default_configENS1_38merge_sort_block_merge_config_selectorIxNS0_10empty_typeEEEZZNS1_27merge_sort_block_merge_implIS3_N6thrust23THRUST_200600_302600_NS6detail15normal_iteratorINS9_10device_ptrIxEEEEPS5_jNS1_19radix_merge_compareILb0ELb0ExNS0_19identity_decomposerEEEEE10hipError_tT0_T1_T2_jT3_P12ihipStream_tbPNSt15iterator_traitsISK_E10value_typeEPNSQ_ISL_E10value_typeEPSM_NS1_7vsmem_tEENKUlT_SK_SL_SM_E_clIPxSE_SF_SF_EESJ_SZ_SK_SL_SM_EUlSZ_E0_NS1_11comp_targetILNS1_3genE10ELNS1_11target_archE1201ELNS1_3gpuE5ELNS1_3repE0EEENS1_38merge_mergepath_config_static_selectorELNS0_4arch9wavefront6targetE1EEEvSL_
                                        ; -- End function
	.section	.AMDGPU.csdata,"",@progbits
; Kernel info:
; codeLenInByte = 0
; NumSgprs: 6
; NumVgprs: 0
; NumAgprs: 0
; TotalNumVgprs: 0
; ScratchSize: 0
; MemoryBound: 0
; FloatMode: 240
; IeeeMode: 1
; LDSByteSize: 0 bytes/workgroup (compile time only)
; SGPRBlocks: 0
; VGPRBlocks: 0
; NumSGPRsForWavesPerEU: 6
; NumVGPRsForWavesPerEU: 1
; AccumOffset: 4
; Occupancy: 8
; WaveLimiterHint : 0
; COMPUTE_PGM_RSRC2:SCRATCH_EN: 0
; COMPUTE_PGM_RSRC2:USER_SGPR: 2
; COMPUTE_PGM_RSRC2:TRAP_HANDLER: 0
; COMPUTE_PGM_RSRC2:TGID_X_EN: 1
; COMPUTE_PGM_RSRC2:TGID_Y_EN: 0
; COMPUTE_PGM_RSRC2:TGID_Z_EN: 0
; COMPUTE_PGM_RSRC2:TIDIG_COMP_CNT: 0
; COMPUTE_PGM_RSRC3_GFX90A:ACCUM_OFFSET: 0
; COMPUTE_PGM_RSRC3_GFX90A:TG_SPLIT: 0
	.section	.text._ZN7rocprim17ROCPRIM_400000_NS6detail17trampoline_kernelINS0_14default_configENS1_38merge_sort_block_merge_config_selectorIxNS0_10empty_typeEEEZZNS1_27merge_sort_block_merge_implIS3_N6thrust23THRUST_200600_302600_NS6detail15normal_iteratorINS9_10device_ptrIxEEEEPS5_jNS1_19radix_merge_compareILb0ELb0ExNS0_19identity_decomposerEEEEE10hipError_tT0_T1_T2_jT3_P12ihipStream_tbPNSt15iterator_traitsISK_E10value_typeEPNSQ_ISL_E10value_typeEPSM_NS1_7vsmem_tEENKUlT_SK_SL_SM_E_clIPxSE_SF_SF_EESJ_SZ_SK_SL_SM_EUlSZ_E0_NS1_11comp_targetILNS1_3genE5ELNS1_11target_archE942ELNS1_3gpuE9ELNS1_3repE0EEENS1_38merge_mergepath_config_static_selectorELNS0_4arch9wavefront6targetE1EEEvSL_,"axG",@progbits,_ZN7rocprim17ROCPRIM_400000_NS6detail17trampoline_kernelINS0_14default_configENS1_38merge_sort_block_merge_config_selectorIxNS0_10empty_typeEEEZZNS1_27merge_sort_block_merge_implIS3_N6thrust23THRUST_200600_302600_NS6detail15normal_iteratorINS9_10device_ptrIxEEEEPS5_jNS1_19radix_merge_compareILb0ELb0ExNS0_19identity_decomposerEEEEE10hipError_tT0_T1_T2_jT3_P12ihipStream_tbPNSt15iterator_traitsISK_E10value_typeEPNSQ_ISL_E10value_typeEPSM_NS1_7vsmem_tEENKUlT_SK_SL_SM_E_clIPxSE_SF_SF_EESJ_SZ_SK_SL_SM_EUlSZ_E0_NS1_11comp_targetILNS1_3genE5ELNS1_11target_archE942ELNS1_3gpuE9ELNS1_3repE0EEENS1_38merge_mergepath_config_static_selectorELNS0_4arch9wavefront6targetE1EEEvSL_,comdat
	.protected	_ZN7rocprim17ROCPRIM_400000_NS6detail17trampoline_kernelINS0_14default_configENS1_38merge_sort_block_merge_config_selectorIxNS0_10empty_typeEEEZZNS1_27merge_sort_block_merge_implIS3_N6thrust23THRUST_200600_302600_NS6detail15normal_iteratorINS9_10device_ptrIxEEEEPS5_jNS1_19radix_merge_compareILb0ELb0ExNS0_19identity_decomposerEEEEE10hipError_tT0_T1_T2_jT3_P12ihipStream_tbPNSt15iterator_traitsISK_E10value_typeEPNSQ_ISL_E10value_typeEPSM_NS1_7vsmem_tEENKUlT_SK_SL_SM_E_clIPxSE_SF_SF_EESJ_SZ_SK_SL_SM_EUlSZ_E0_NS1_11comp_targetILNS1_3genE5ELNS1_11target_archE942ELNS1_3gpuE9ELNS1_3repE0EEENS1_38merge_mergepath_config_static_selectorELNS0_4arch9wavefront6targetE1EEEvSL_ ; -- Begin function _ZN7rocprim17ROCPRIM_400000_NS6detail17trampoline_kernelINS0_14default_configENS1_38merge_sort_block_merge_config_selectorIxNS0_10empty_typeEEEZZNS1_27merge_sort_block_merge_implIS3_N6thrust23THRUST_200600_302600_NS6detail15normal_iteratorINS9_10device_ptrIxEEEEPS5_jNS1_19radix_merge_compareILb0ELb0ExNS0_19identity_decomposerEEEEE10hipError_tT0_T1_T2_jT3_P12ihipStream_tbPNSt15iterator_traitsISK_E10value_typeEPNSQ_ISL_E10value_typeEPSM_NS1_7vsmem_tEENKUlT_SK_SL_SM_E_clIPxSE_SF_SF_EESJ_SZ_SK_SL_SM_EUlSZ_E0_NS1_11comp_targetILNS1_3genE5ELNS1_11target_archE942ELNS1_3gpuE9ELNS1_3repE0EEENS1_38merge_mergepath_config_static_selectorELNS0_4arch9wavefront6targetE1EEEvSL_
	.globl	_ZN7rocprim17ROCPRIM_400000_NS6detail17trampoline_kernelINS0_14default_configENS1_38merge_sort_block_merge_config_selectorIxNS0_10empty_typeEEEZZNS1_27merge_sort_block_merge_implIS3_N6thrust23THRUST_200600_302600_NS6detail15normal_iteratorINS9_10device_ptrIxEEEEPS5_jNS1_19radix_merge_compareILb0ELb0ExNS0_19identity_decomposerEEEEE10hipError_tT0_T1_T2_jT3_P12ihipStream_tbPNSt15iterator_traitsISK_E10value_typeEPNSQ_ISL_E10value_typeEPSM_NS1_7vsmem_tEENKUlT_SK_SL_SM_E_clIPxSE_SF_SF_EESJ_SZ_SK_SL_SM_EUlSZ_E0_NS1_11comp_targetILNS1_3genE5ELNS1_11target_archE942ELNS1_3gpuE9ELNS1_3repE0EEENS1_38merge_mergepath_config_static_selectorELNS0_4arch9wavefront6targetE1EEEvSL_
	.p2align	8
	.type	_ZN7rocprim17ROCPRIM_400000_NS6detail17trampoline_kernelINS0_14default_configENS1_38merge_sort_block_merge_config_selectorIxNS0_10empty_typeEEEZZNS1_27merge_sort_block_merge_implIS3_N6thrust23THRUST_200600_302600_NS6detail15normal_iteratorINS9_10device_ptrIxEEEEPS5_jNS1_19radix_merge_compareILb0ELb0ExNS0_19identity_decomposerEEEEE10hipError_tT0_T1_T2_jT3_P12ihipStream_tbPNSt15iterator_traitsISK_E10value_typeEPNSQ_ISL_E10value_typeEPSM_NS1_7vsmem_tEENKUlT_SK_SL_SM_E_clIPxSE_SF_SF_EESJ_SZ_SK_SL_SM_EUlSZ_E0_NS1_11comp_targetILNS1_3genE5ELNS1_11target_archE942ELNS1_3gpuE9ELNS1_3repE0EEENS1_38merge_mergepath_config_static_selectorELNS0_4arch9wavefront6targetE1EEEvSL_,@function
_ZN7rocprim17ROCPRIM_400000_NS6detail17trampoline_kernelINS0_14default_configENS1_38merge_sort_block_merge_config_selectorIxNS0_10empty_typeEEEZZNS1_27merge_sort_block_merge_implIS3_N6thrust23THRUST_200600_302600_NS6detail15normal_iteratorINS9_10device_ptrIxEEEEPS5_jNS1_19radix_merge_compareILb0ELb0ExNS0_19identity_decomposerEEEEE10hipError_tT0_T1_T2_jT3_P12ihipStream_tbPNSt15iterator_traitsISK_E10value_typeEPNSQ_ISL_E10value_typeEPSM_NS1_7vsmem_tEENKUlT_SK_SL_SM_E_clIPxSE_SF_SF_EESJ_SZ_SK_SL_SM_EUlSZ_E0_NS1_11comp_targetILNS1_3genE5ELNS1_11target_archE942ELNS1_3gpuE9ELNS1_3repE0EEENS1_38merge_mergepath_config_static_selectorELNS0_4arch9wavefront6targetE1EEEvSL_: ; @_ZN7rocprim17ROCPRIM_400000_NS6detail17trampoline_kernelINS0_14default_configENS1_38merge_sort_block_merge_config_selectorIxNS0_10empty_typeEEEZZNS1_27merge_sort_block_merge_implIS3_N6thrust23THRUST_200600_302600_NS6detail15normal_iteratorINS9_10device_ptrIxEEEEPS5_jNS1_19radix_merge_compareILb0ELb0ExNS0_19identity_decomposerEEEEE10hipError_tT0_T1_T2_jT3_P12ihipStream_tbPNSt15iterator_traitsISK_E10value_typeEPNSQ_ISL_E10value_typeEPSM_NS1_7vsmem_tEENKUlT_SK_SL_SM_E_clIPxSE_SF_SF_EESJ_SZ_SK_SL_SM_EUlSZ_E0_NS1_11comp_targetILNS1_3genE5ELNS1_11target_archE942ELNS1_3gpuE9ELNS1_3repE0EEENS1_38merge_mergepath_config_static_selectorELNS0_4arch9wavefront6targetE1EEEvSL_
; %bb.0:
	s_load_dwordx2 s[18:19], s[0:1], 0x40
	s_load_dword s5, s[0:1], 0x30
	s_add_u32 s8, s0, 64
	s_addc_u32 s9, s1, 0
	s_waitcnt lgkmcnt(0)
	s_mul_i32 s4, s19, s4
	s_add_i32 s3, s4, s3
	s_mul_i32 s3, s3, s18
	s_add_i32 s16, s3, s2
	s_cmp_ge_u32 s16, s5
	s_cbranch_scc1 .LBB1420_43
; %bb.1:
	s_load_dwordx2 s[10:11], s[0:1], 0x28
	s_load_dwordx2 s[4:5], s[0:1], 0x38
	;; [unrolled: 1-line block ×3, first 2 shown]
	s_mov_b32 s17, 0
	v_mov_b32_e32 v19, 0
	s_waitcnt lgkmcnt(0)
	s_lshr_b32 s22, s10, 10
	s_cmp_lg_u32 s16, s22
	s_cselect_b64 s[14:15], -1, 0
	s_lshl_b64 s[12:13], s[16:17], 2
	s_add_u32 s4, s4, s12
	s_addc_u32 s5, s5, s13
	s_lshr_b32 s3, s11, 9
	s_and_b32 s3, s3, 0x7ffffe
	s_load_dwordx2 s[4:5], s[4:5], 0x0
	s_sub_i32 s3, 0, s3
	s_and_b32 s13, s16, s3
	s_lshl_b32 s19, s13, 10
	s_lshl_b32 s12, s16, 10
	s_lshl_b32 s13, s13, 11
	s_sub_i32 s20, s12, s19
	s_add_i32 s13, s13, s11
	s_add_i32 s21, s13, s20
	s_waitcnt lgkmcnt(0)
	s_sub_i32 s20, s21, s4
	s_sub_i32 s21, s21, s5
	;; [unrolled: 1-line block ×3, first 2 shown]
	s_min_u32 s20, s10, s20
	s_addk_i32 s21, 0x400
	s_or_b32 s3, s16, s3
	s_min_u32 s19, s10, s13
	s_add_i32 s13, s13, s11
	s_cmp_eq_u32 s3, -1
	s_cselect_b32 s3, s13, s21
	s_cselect_b32 s5, s19, s5
	s_min_u32 s3, s3, s10
	s_sub_i32 s11, s5, s4
	s_mov_b32 s5, s17
	s_sub_i32 s19, s3, s20
	s_lshl_b64 s[4:5], s[4:5], 3
	s_add_u32 s4, s6, s4
	s_mov_b32 s21, s17
	s_addc_u32 s5, s7, s5
	s_lshl_b64 s[20:21], s[20:21], 3
	s_add_u32 s6, s6, s20
	s_addc_u32 s7, s7, s21
	s_cmp_lt_u32 s2, s18
	s_cselect_b32 s2, 12, 18
	global_load_dword v1, v19, s[8:9] offset:14
	s_add_u32 s2, s8, s2
	s_addc_u32 s3, s9, 0
	global_load_ushort v2, v19, s[2:3]
	s_cmp_eq_u32 s16, s22
	v_lshlrev_b32_e32 v18, 3, v0
	s_waitcnt vmcnt(1)
	v_lshrrev_b32_e32 v3, 16, v1
	v_and_b32_e32 v1, 0xffff, v1
	v_mul_lo_u32 v1, v1, v3
	s_waitcnt vmcnt(0)
	v_mul_lo_u32 v1, v1, v2
	v_add_u32_e32 v22, v1, v0
	v_add_u32_e32 v20, v22, v1
	s_cbranch_scc1 .LBB1420_3
; %bb.2:
	v_subrev_u32_e32 v4, s11, v0
	v_mov_b32_e32 v5, v19
	v_lshl_add_u64 v[2:3], s[4:5], 0, v[18:19]
	v_lshl_add_u64 v[4:5], v[4:5], 3, s[6:7]
	v_cmp_gt_u32_e32 vcc, s11, v0
	v_mov_b32_e32 v23, v19
	v_subrev_u32_e32 v6, s11, v22
	v_mov_b32_e32 v7, v19
	v_cndmask_b32_e32 v3, v5, v3, vcc
	v_cndmask_b32_e32 v2, v4, v2, vcc
	v_lshl_add_u64 v[4:5], v[22:23], 3, s[4:5]
	v_lshl_add_u64 v[6:7], v[6:7], 3, s[6:7]
	v_cmp_gt_u32_e32 vcc, s11, v22
	v_mov_b32_e32 v21, v19
	v_subrev_u32_e32 v8, s11, v20
	v_mov_b32_e32 v9, v19
	v_add_u32_e32 v10, v20, v1
	v_cndmask_b32_e32 v5, v7, v5, vcc
	v_cndmask_b32_e32 v4, v6, v4, vcc
	v_lshl_add_u64 v[6:7], v[20:21], 3, s[4:5]
	v_lshl_add_u64 v[8:9], v[8:9], 3, s[6:7]
	v_cmp_gt_u32_e32 vcc, s11, v20
	v_mov_b32_e32 v11, v19
	v_subrev_u32_e32 v12, s11, v10
	v_mov_b32_e32 v13, v19
	v_cndmask_b32_e32 v7, v9, v7, vcc
	v_cndmask_b32_e32 v6, v8, v6, vcc
	v_lshl_add_u64 v[8:9], v[10:11], 3, s[4:5]
	v_lshl_add_u64 v[12:13], v[12:13], 3, s[6:7]
	v_cmp_gt_u32_e32 vcc, s11, v10
	v_mov_b32_e32 v15, v19
	v_mov_b32_e32 v17, v19
	v_cndmask_b32_e32 v8, v12, v8, vcc
	v_add_u32_e32 v12, v10, v1
	v_cndmask_b32_e32 v9, v13, v9, vcc
	v_mov_b32_e32 v13, v19
	v_subrev_u32_e32 v14, s11, v12
	v_lshl_add_u64 v[10:11], v[12:13], 3, s[4:5]
	v_lshl_add_u64 v[14:15], v[14:15], 3, s[6:7]
	v_cmp_gt_u32_e32 vcc, s11, v12
	v_mov_b32_e32 v25, v19
	v_mov_b32_e32 v27, v19
	v_cndmask_b32_e32 v10, v14, v10, vcc
	v_add_u32_e32 v14, v12, v1
	v_cndmask_b32_e32 v11, v15, v11, vcc
	v_mov_b32_e32 v15, v19
	v_subrev_u32_e32 v16, s11, v14
	v_lshl_add_u64 v[12:13], v[14:15], 3, s[4:5]
	v_lshl_add_u64 v[16:17], v[16:17], 3, s[6:7]
	v_cmp_gt_u32_e32 vcc, s11, v14
	global_load_dwordx2 v[2:3], v[2:3], off
	s_add_i32 s13, s19, s11
	v_cndmask_b32_e32 v13, v17, v13, vcc
	v_cndmask_b32_e32 v12, v16, v12, vcc
	v_add_u32_e32 v16, v14, v1
	v_mov_b32_e32 v17, v19
	v_lshl_add_u64 v[14:15], v[16:17], 3, s[4:5]
	v_subrev_u32_e32 v24, s11, v16
	v_cmp_gt_u32_e32 vcc, s11, v16
	v_add_u32_e32 v16, v16, v1
	v_lshl_add_u64 v[24:25], v[24:25], 3, s[6:7]
	v_subrev_u32_e32 v26, s11, v16
	v_cndmask_b32_e32 v15, v25, v15, vcc
	v_cndmask_b32_e32 v14, v24, v14, vcc
	v_lshl_add_u64 v[24:25], v[16:17], 3, s[4:5]
	v_lshl_add_u64 v[26:27], v[26:27], 3, s[6:7]
	v_cmp_gt_u32_e32 vcc, s11, v16
	global_load_dwordx2 v[4:5], v[4:5], off
	s_nop 0
	v_cndmask_b32_e32 v17, v27, v25, vcc
	v_cndmask_b32_e32 v16, v26, v24, vcc
	global_load_dwordx2 v[6:7], v[6:7], off
	s_nop 0
	global_load_dwordx2 v[8:9], v[8:9], off
	s_nop 0
	;; [unrolled: 2-line block ×5, first 2 shown]
	global_load_dwordx2 v[16:17], v[16:17], off
	s_load_dwordx2 s[16:17], s[0:1], 0x10
	s_cbranch_execz .LBB1420_4
	s_branch .LBB1420_19
.LBB1420_3:
                                        ; implicit-def: $vgpr2_vgpr3_vgpr4_vgpr5_vgpr6_vgpr7_vgpr8_vgpr9_vgpr10_vgpr11_vgpr12_vgpr13_vgpr14_vgpr15_vgpr16_vgpr17
                                        ; implicit-def: $sgpr13
	s_load_dwordx2 s[16:17], s[0:1], 0x10
.LBB1420_4:
	s_add_i32 s13, s19, s11
	v_cmp_gt_u32_e32 vcc, s13, v0
                                        ; implicit-def: $vgpr2_vgpr3_vgpr4_vgpr5_vgpr6_vgpr7_vgpr8_vgpr9_vgpr10_vgpr11_vgpr12_vgpr13_vgpr14_vgpr15_vgpr16_vgpr17
	s_and_saveexec_b64 s[0:1], vcc
	s_cbranch_execnz .LBB1420_44
; %bb.5:
	s_or_b64 exec, exec, s[0:1]
	v_cmp_gt_u32_e32 vcc, s13, v22
	s_and_saveexec_b64 s[0:1], vcc
	s_cbranch_execnz .LBB1420_45
.LBB1420_6:
	s_or_b64 exec, exec, s[0:1]
	v_cmp_gt_u32_e32 vcc, s13, v20
	s_and_saveexec_b64 s[0:1], vcc
	s_cbranch_execz .LBB1420_8
.LBB1420_7:
	v_mov_b32_e32 v21, 0
	v_subrev_u32_e32 v22, s11, v20
	v_mov_b32_e32 v23, v21
	s_waitcnt vmcnt(5)
	v_lshl_add_u64 v[6:7], v[20:21], 3, s[4:5]
	v_lshl_add_u64 v[22:23], v[22:23], 3, s[6:7]
	v_cmp_gt_u32_e32 vcc, s11, v20
	s_nop 1
	v_cndmask_b32_e32 v7, v23, v7, vcc
	v_cndmask_b32_e32 v6, v22, v6, vcc
	global_load_dwordx2 v[6:7], v[6:7], off
.LBB1420_8:
	s_or_b64 exec, exec, s[0:1]
	v_add_u32_e32 v20, v20, v1
	v_cmp_gt_u32_e32 vcc, s13, v20
	s_and_saveexec_b64 s[0:1], vcc
	s_cbranch_execz .LBB1420_10
; %bb.9:
	v_mov_b32_e32 v21, 0
	v_subrev_u32_e32 v22, s11, v20
	v_mov_b32_e32 v23, v21
	s_waitcnt vmcnt(4)
	v_lshl_add_u64 v[8:9], v[20:21], 3, s[4:5]
	v_lshl_add_u64 v[22:23], v[22:23], 3, s[6:7]
	v_cmp_gt_u32_e32 vcc, s11, v20
	s_nop 1
	v_cndmask_b32_e32 v9, v23, v9, vcc
	v_cndmask_b32_e32 v8, v22, v8, vcc
	global_load_dwordx2 v[8:9], v[8:9], off
.LBB1420_10:
	s_or_b64 exec, exec, s[0:1]
	v_add_u32_e32 v20, v20, v1
	v_cmp_gt_u32_e32 vcc, s13, v20
	s_and_saveexec_b64 s[0:1], vcc
	s_cbranch_execz .LBB1420_12
; %bb.11:
	v_mov_b32_e32 v21, 0
	v_subrev_u32_e32 v22, s11, v20
	v_mov_b32_e32 v23, v21
	s_waitcnt vmcnt(3)
	v_lshl_add_u64 v[10:11], v[20:21], 3, s[4:5]
	v_lshl_add_u64 v[22:23], v[22:23], 3, s[6:7]
	v_cmp_gt_u32_e32 vcc, s11, v20
	s_nop 1
	v_cndmask_b32_e32 v11, v23, v11, vcc
	v_cndmask_b32_e32 v10, v22, v10, vcc
	global_load_dwordx2 v[10:11], v[10:11], off
.LBB1420_12:
	;; [unrolled: 18-line block ×4, first 2 shown]
	s_or_b64 exec, exec, s[0:1]
	v_add_u32_e32 v20, v20, v1
	v_cmp_gt_u32_e32 vcc, s13, v20
	s_and_saveexec_b64 s[0:1], vcc
	s_cbranch_execz .LBB1420_18
; %bb.17:
	v_mov_b32_e32 v21, 0
	s_waitcnt vmcnt(0)
	v_lshl_add_u64 v[16:17], v[20:21], 3, s[4:5]
	v_cmp_gt_u32_e32 vcc, s11, v20
	v_subrev_u32_e32 v20, s11, v20
	v_lshl_add_u64 v[20:21], v[20:21], 3, s[6:7]
	v_cndmask_b32_e32 v17, v21, v17, vcc
	v_cndmask_b32_e32 v16, v20, v16, vcc
	global_load_dwordx2 v[16:17], v[16:17], off
.LBB1420_18:
	s_or_b64 exec, exec, s[0:1]
.LBB1420_19:
	v_min_u32_e32 v19, s13, v18
	v_sub_u32_e64 v1, v19, s19 clamp
	v_min_u32_e32 v20, s11, v19
	v_cmp_lt_u32_e32 vcc, v1, v20
	s_waitcnt vmcnt(0)
	ds_write2st64_b64 v18, v[2:3], v[4:5] offset1:2
	ds_write2st64_b64 v18, v[6:7], v[8:9] offset0:4 offset1:6
	ds_write2st64_b64 v18, v[10:11], v[12:13] offset0:8 offset1:10
	;; [unrolled: 1-line block ×3, first 2 shown]
	s_waitcnt lgkmcnt(0)
	s_barrier
	s_and_saveexec_b64 s[0:1], vcc
	s_cbranch_execz .LBB1420_23
; %bb.20:
	v_lshlrev_b32_e32 v21, 3, v19
	v_lshl_add_u32 v21, s11, 3, v21
	s_mov_b64 s[2:3], 0
.LBB1420_21:                            ; =>This Inner Loop Header: Depth=1
	v_add_u32_e32 v22, v20, v1
	v_lshrrev_b32_e32 v26, 1, v22
	v_not_b32_e32 v22, v26
	v_lshlrev_b32_e32 v23, 3, v26
	v_lshl_add_u32 v24, v22, 3, v21
	ds_read_b64 v[22:23], v23
	ds_read_b64 v[24:25], v24
	v_add_u32_e32 v27, 1, v26
	s_waitcnt lgkmcnt(0)
	v_cmp_gt_i64_e32 vcc, v[22:23], v[24:25]
	s_nop 1
	v_cndmask_b32_e32 v20, v20, v26, vcc
	v_cndmask_b32_e32 v1, v27, v1, vcc
	v_cmp_ge_u32_e32 vcc, v1, v20
	s_or_b64 s[2:3], vcc, s[2:3]
	s_andn2_b64 exec, exec, s[2:3]
	s_cbranch_execnz .LBB1420_21
; %bb.22:
	s_or_b64 exec, exec, s[2:3]
.LBB1420_23:
	s_or_b64 exec, exec, s[0:1]
	v_sub_u32_e32 v19, v19, v1
	v_add_u32_e32 v19, s11, v19
	v_cmp_ge_u32_e32 vcc, s11, v1
	v_cmp_ge_u32_e64 s[0:1], s13, v19
	s_or_b64 s[0:1], vcc, s[0:1]
	s_and_saveexec_b64 s[18:19], s[0:1]
	s_cbranch_execz .LBB1420_29
; %bb.24:
	v_cmp_gt_u32_e32 vcc, s11, v1
                                        ; implicit-def: $vgpr2_vgpr3
	s_and_saveexec_b64 s[0:1], vcc
	s_cbranch_execz .LBB1420_26
; %bb.25:
	v_lshlrev_b32_e32 v2, 3, v1
	ds_read_b64 v[2:3], v2
.LBB1420_26:
	s_or_b64 exec, exec, s[0:1]
	v_cmp_le_u32_e64 s[0:1], s13, v19
	v_cmp_gt_u32_e64 s[2:3], s13, v19
                                        ; implicit-def: $vgpr4_vgpr5
	s_and_saveexec_b64 s[4:5], s[2:3]
	s_cbranch_execz .LBB1420_28
; %bb.27:
	v_lshlrev_b32_e32 v4, 3, v19
	ds_read_b64 v[4:5], v4
.LBB1420_28:
	s_or_b64 exec, exec, s[4:5]
	s_waitcnt lgkmcnt(0)
	v_cmp_le_i64_e64 s[2:3], v[2:3], v[4:5]
	s_and_b64 s[2:3], vcc, s[2:3]
	s_or_b64 vcc, s[0:1], s[2:3]
	v_mov_b32_e32 v28, s13
	v_mov_b32_e32 v29, s11
	v_cndmask_b32_e32 v6, v19, v1, vcc
	v_cndmask_b32_e32 v7, v28, v29, vcc
	v_add_u32_e32 v10, 1, v6
	v_add_u32_e32 v6, -1, v7
	v_min_u32_e32 v6, v10, v6
	v_lshlrev_b32_e32 v6, 3, v6
	ds_read_b64 v[6:7], v6
	v_cndmask_b32_e32 v1, v1, v10, vcc
	v_cndmask_b32_e32 v14, v10, v19, vcc
	v_cmp_gt_u32_e64 s[2:3], s11, v1
	v_cmp_le_u32_e64 s[0:1], s13, v14
	s_waitcnt lgkmcnt(0)
	v_cndmask_b32_e32 v9, v7, v5, vcc
	v_cndmask_b32_e32 v8, v6, v4, vcc
	;; [unrolled: 1-line block ×4, first 2 shown]
	v_cmp_le_i64_e64 s[4:5], v[6:7], v[8:9]
	s_and_b64 s[2:3], s[2:3], s[4:5]
	s_or_b64 s[0:1], s[0:1], s[2:3]
	v_cndmask_b32_e64 v10, v14, v1, s[0:1]
	v_cndmask_b32_e64 v11, v28, v29, s[0:1]
	v_add_u32_e32 v15, 1, v10
	v_add_u32_e32 v10, -1, v11
	v_min_u32_e32 v10, v15, v10
	v_lshlrev_b32_e32 v10, 3, v10
	ds_read_b64 v[10:11], v10
	v_cndmask_b32_e64 v1, v1, v15, s[0:1]
	v_cndmask_b32_e64 v19, v15, v14, s[0:1]
	v_cmp_gt_u32_e64 s[4:5], s11, v1
	v_cmp_le_u32_e64 s[2:3], s13, v19
	s_waitcnt lgkmcnt(0)
	v_cndmask_b32_e64 v13, v11, v9, s[0:1]
	v_cndmask_b32_e64 v12, v10, v8, s[0:1]
	;; [unrolled: 1-line block ×4, first 2 shown]
	v_cmp_le_i64_e64 s[6:7], v[10:11], v[12:13]
	s_and_b64 s[4:5], s[4:5], s[6:7]
	s_or_b64 s[2:3], s[2:3], s[4:5]
	v_cndmask_b32_e64 v14, v19, v1, s[2:3]
	v_cndmask_b32_e64 v15, v28, v29, s[2:3]
	v_add_u32_e32 v20, 1, v14
	v_add_u32_e32 v14, -1, v15
	v_min_u32_e32 v14, v20, v14
	v_lshlrev_b32_e32 v14, 3, v14
	ds_read_b64 v[14:15], v14
	v_cndmask_b32_e64 v1, v1, v20, s[2:3]
	v_cndmask_b32_e64 v19, v20, v19, s[2:3]
	v_cmp_gt_u32_e64 s[6:7], s11, v1
	v_cmp_le_u32_e64 s[4:5], s13, v19
	s_waitcnt lgkmcnt(0)
	v_cndmask_b32_e64 v17, v15, v13, s[2:3]
	v_cndmask_b32_e64 v16, v14, v12, s[2:3]
	v_cndmask_b32_e64 v15, v11, v15, s[2:3]
	v_cndmask_b32_e64 v14, v10, v14, s[2:3]
	v_cmp_le_i64_e64 s[8:9], v[14:15], v[16:17]
	s_and_b64 s[6:7], s[6:7], s[8:9]
	s_or_b64 s[4:5], s[4:5], s[6:7]
	v_cndmask_b32_e64 v20, v19, v1, s[4:5]
	v_cndmask_b32_e64 v21, v28, v29, s[4:5]
	v_add_u32_e32 v24, 1, v20
	v_add_u32_e32 v20, -1, v21
	v_min_u32_e32 v20, v24, v20
	v_lshlrev_b32_e32 v20, 3, v20
	ds_read_b64 v[20:21], v20
	v_cndmask_b32_e64 v1, v1, v24, s[4:5]
	v_cndmask_b32_e64 v19, v24, v19, s[4:5]
	v_cmp_gt_u32_e64 s[6:7], s11, v1
	v_cndmask_b32_e32 v3, v5, v3, vcc
	s_waitcnt lgkmcnt(0)
	v_cndmask_b32_e64 v23, v21, v17, s[4:5]
	v_cndmask_b32_e64 v22, v20, v16, s[4:5]
	;; [unrolled: 1-line block ×4, first 2 shown]
	v_cmp_le_i64_e64 s[8:9], v[20:21], v[22:23]
	v_cndmask_b32_e32 v2, v4, v2, vcc
	v_cmp_le_u32_e32 vcc, s13, v19
	s_and_b64 s[6:7], s[6:7], s[8:9]
	s_or_b64 vcc, vcc, s[6:7]
	v_cndmask_b32_e32 v4, v19, v1, vcc
	v_cndmask_b32_e32 v5, v28, v29, vcc
	v_add_u32_e32 v26, 1, v4
	v_add_u32_e32 v4, -1, v5
	v_min_u32_e32 v4, v26, v4
	v_lshlrev_b32_e32 v4, 3, v4
	ds_read_b64 v[24:25], v4
	v_cndmask_b32_e64 v5, v9, v7, s[0:1]
	v_cndmask_b32_e64 v4, v8, v6, s[0:1]
	;; [unrolled: 1-line block ×4, first 2 shown]
	s_waitcnt lgkmcnt(0)
	v_cndmask_b32_e32 v13, v25, v23, vcc
	v_cndmask_b32_e32 v12, v24, v22, vcc
	v_cndmask_b32_e32 v25, v21, v25, vcc
	v_cndmask_b32_e32 v24, v20, v24, vcc
	v_cndmask_b32_e32 v1, v1, v26, vcc
	v_cndmask_b32_e32 v19, v26, v19, vcc
	v_cmp_gt_u32_e64 s[2:3], s11, v1
	v_cmp_le_i64_e64 s[6:7], v[24:25], v[12:13]
	v_cmp_le_u32_e64 s[0:1], s13, v19
	s_and_b64 s[2:3], s[2:3], s[6:7]
	s_or_b64 s[0:1], s[0:1], s[2:3]
	v_cndmask_b32_e64 v8, v19, v1, s[0:1]
	v_cndmask_b32_e64 v9, v28, v29, s[0:1]
	v_add_u32_e32 v30, 1, v8
	v_add_u32_e32 v8, -1, v9
	v_min_u32_e32 v8, v30, v8
	v_lshlrev_b32_e32 v8, 3, v8
	ds_read_b64 v[26:27], v8
	v_cndmask_b32_e64 v9, v17, v15, s[4:5]
	v_cndmask_b32_e64 v8, v16, v14, s[4:5]
	v_cndmask_b32_e32 v11, v23, v21, vcc
	v_cndmask_b32_e32 v10, v22, v20, vcc
	s_waitcnt lgkmcnt(0)
	v_cndmask_b32_e64 v17, v27, v13, s[0:1]
	v_cndmask_b32_e64 v16, v26, v12, s[0:1]
	v_cndmask_b32_e64 v21, v25, v27, s[0:1]
	v_cndmask_b32_e64 v20, v24, v26, s[0:1]
	v_cndmask_b32_e64 v1, v1, v30, s[0:1]
	v_cndmask_b32_e64 v19, v30, v19, s[0:1]
	v_cmp_gt_u32_e64 s[2:3], s11, v1
	v_cmp_le_i64_e64 s[4:5], v[20:21], v[16:17]
	v_cmp_le_u32_e32 vcc, s13, v19
	s_and_b64 s[2:3], s[2:3], s[4:5]
	s_or_b64 vcc, vcc, s[2:3]
	v_cndmask_b32_e32 v14, v19, v1, vcc
	v_cndmask_b32_e32 v15, v28, v29, vcc
	v_add_u32_e32 v26, 1, v14
	v_add_u32_e32 v14, -1, v15
	v_min_u32_e32 v14, v26, v14
	v_lshlrev_b32_e32 v14, 3, v14
	ds_read_b64 v[22:23], v14
	v_cndmask_b32_e32 v15, v17, v21, vcc
	v_cndmask_b32_e32 v14, v16, v20, vcc
	;; [unrolled: 1-line block ×3, first 2 shown]
	v_cndmask_b32_e64 v13, v13, v25, s[0:1]
	s_waitcnt lgkmcnt(0)
	v_cndmask_b32_e32 v17, v23, v17, vcc
	v_cndmask_b32_e32 v16, v22, v16, vcc
	;; [unrolled: 1-line block ×4, first 2 shown]
	v_cndmask_b32_e64 v12, v12, v24, s[0:1]
	v_cndmask_b32_e32 v19, v26, v19, vcc
	v_cmp_gt_u32_e64 s[0:1], s11, v1
	v_cmp_le_i64_e64 s[2:3], v[20:21], v[16:17]
	v_cmp_le_u32_e32 vcc, s13, v19
	s_and_b64 s[0:1], s[0:1], s[2:3]
	s_or_b64 vcc, vcc, s[0:1]
	v_cndmask_b32_e32 v17, v17, v21, vcc
	v_cndmask_b32_e32 v16, v16, v20, vcc
.LBB1420_29:
	s_or_b64 exec, exec, s[18:19]
	v_lshrrev_b32_e32 v1, 2, v0
	v_lshlrev_b32_e32 v19, 3, v18
	v_lshl_add_u32 v19, v1, 3, v19
	v_and_b32_e32 v1, 24, v1
	v_or_b32_e32 v25, 0x80, v0
	v_add_u32_e32 v26, v18, v1
	v_lshrrev_b32_e32 v1, 2, v25
	v_and_b32_e32 v1, 56, v1
	v_or_b32_e32 v24, 0x100, v0
	s_barrier
	s_barrier
	ds_write2_b64 v19, v[2:3], v[4:5] offset1:1
	ds_write2_b64 v19, v[6:7], v[8:9] offset0:2 offset1:3
	ds_write2_b64 v19, v[10:11], v[12:13] offset0:4 offset1:5
	ds_write2_b64 v19, v[14:15], v[16:17] offset0:6 offset1:7
	v_add_u32_e32 v6, v18, v1
	v_lshrrev_b32_e32 v1, 2, v24
	v_and_b32_e32 v1, 0x58, v1
	v_or_b32_e32 v23, 0x180, v0
	v_add_u32_e32 v7, v18, v1
	v_lshrrev_b32_e32 v1, 2, v23
	v_and_b32_e32 v1, 0x78, v1
	v_or_b32_e32 v22, 0x200, v0
	;; [unrolled: 4-line block ×4, first 2 shown]
	v_add_u32_e32 v27, v18, v1
	v_lshrrev_b32_e32 v1, 2, v20
	s_mov_b32 s13, 0
	v_and_b32_e32 v1, 0xd8, v1
	s_lshl_b64 s[0:1], s[12:13], 3
	v_add_u32_e32 v28, v18, v1
	v_or_b32_e32 v1, 0x380, v0
	s_add_u32 s0, s16, s0
	v_lshrrev_b32_e32 v2, 2, v1
	s_addc_u32 s1, s17, s1
	v_and_b32_e32 v2, 0xf8, v2
	v_mov_b32_e32 v19, 0
	v_add_u32_e32 v29, v18, v2
	v_lshl_add_u64 v[2:3], s[0:1], 0, v[18:19]
	s_and_b64 vcc, exec, s[14:15]
	s_waitcnt lgkmcnt(0)
	s_cbranch_vccz .LBB1420_31
; %bb.30:
	s_barrier
	ds_read_b64 v[10:11], v26
	ds_read_b64 v[12:13], v6 offset:1024
	ds_read_b64 v[14:15], v7 offset:2048
	;; [unrolled: 1-line block ×7, first 2 shown]
	s_waitcnt lgkmcnt(7)
	global_store_dwordx2 v[2:3], v[10:11], off
	s_waitcnt lgkmcnt(6)
	global_store_dwordx2 v[2:3], v[12:13], off offset:1024
	s_waitcnt lgkmcnt(5)
	global_store_dwordx2 v[2:3], v[14:15], off offset:2048
	;; [unrolled: 2-line block ×3, first 2 shown]
	v_add_co_u32_e32 v10, vcc, 0x1000, v2
	s_nop 1
	v_addc_co_u32_e32 v11, vcc, 0, v3, vcc
	s_waitcnt lgkmcnt(3)
	global_store_dwordx2 v[10:11], v[18:19], off
	s_waitcnt lgkmcnt(2)
	global_store_dwordx2 v[10:11], v[30:31], off offset:1024
	s_waitcnt lgkmcnt(1)
	global_store_dwordx2 v[10:11], v[32:33], off offset:2048
	s_mov_b64 s[0:1], -1
	s_cbranch_execz .LBB1420_32
	s_branch .LBB1420_41
.LBB1420_31:
	s_mov_b64 s[0:1], 0
                                        ; implicit-def: $vgpr4_vgpr5
.LBB1420_32:
	s_barrier
	s_waitcnt lgkmcnt(0)
	ds_read_b64 v[16:17], v6 offset:1024
	ds_read_b64 v[14:15], v7 offset:2048
	;; [unrolled: 1-line block ×7, first 2 shown]
	s_sub_i32 s2, s10, s12
	v_cmp_gt_u32_e32 vcc, s2, v0
	s_and_saveexec_b64 s[0:1], vcc
	s_cbranch_execnz .LBB1420_46
; %bb.33:
	s_or_b64 exec, exec, s[0:1]
	v_cmp_gt_u32_e32 vcc, s2, v25
	s_and_saveexec_b64 s[0:1], vcc
	s_cbranch_execnz .LBB1420_47
.LBB1420_34:
	s_or_b64 exec, exec, s[0:1]
	v_cmp_gt_u32_e32 vcc, s2, v24
	s_and_saveexec_b64 s[0:1], vcc
	s_cbranch_execnz .LBB1420_48
.LBB1420_35:
	s_or_b64 exec, exec, s[0:1]
	v_cmp_gt_u32_e32 vcc, s2, v23
	s_and_saveexec_b64 s[0:1], vcc
	s_cbranch_execnz .LBB1420_49
.LBB1420_36:
	s_or_b64 exec, exec, s[0:1]
	v_cmp_gt_u32_e32 vcc, s2, v22
	s_and_saveexec_b64 s[0:1], vcc
	s_cbranch_execnz .LBB1420_50
.LBB1420_37:
	s_or_b64 exec, exec, s[0:1]
	v_cmp_gt_u32_e32 vcc, s2, v21
	s_and_saveexec_b64 s[0:1], vcc
	s_cbranch_execnz .LBB1420_51
.LBB1420_38:
	s_or_b64 exec, exec, s[0:1]
	v_cmp_gt_u32_e32 vcc, s2, v20
	s_and_saveexec_b64 s[0:1], vcc
	s_cbranch_execz .LBB1420_40
.LBB1420_39:
	s_waitcnt lgkmcnt(2)
	v_add_co_u32_e32 v8, vcc, 0x1000, v2
	s_nop 1
	v_addc_co_u32_e32 v9, vcc, 0, v3, vcc
	s_waitcnt lgkmcnt(1)
	global_store_dwordx2 v[8:9], v[6:7], off offset:2048
.LBB1420_40:
	s_or_b64 exec, exec, s[0:1]
	v_cmp_gt_u32_e64 s[0:1], s2, v1
.LBB1420_41:
	s_and_saveexec_b64 s[2:3], s[0:1]
	s_cbranch_execz .LBB1420_43
; %bb.42:
	v_add_co_u32_e32 v0, vcc, 0x1000, v2
	s_nop 1
	v_addc_co_u32_e32 v1, vcc, 0, v3, vcc
	s_waitcnt lgkmcnt(0)
	global_store_dwordx2 v[0:1], v[4:5], off offset:3072
.LBB1420_43:
	s_endpgm
.LBB1420_44:
	v_mov_b32_e32 v19, 0
	s_waitcnt vmcnt(6)
	v_subrev_u32_e32 v4, s11, v0
	v_mov_b32_e32 v5, v19
	v_lshl_add_u64 v[2:3], s[4:5], 0, v[18:19]
	v_lshl_add_u64 v[4:5], v[4:5], 3, s[6:7]
	v_cmp_gt_u32_e32 vcc, s11, v0
	s_nop 1
	v_cndmask_b32_e32 v3, v5, v3, vcc
	v_cndmask_b32_e32 v2, v4, v2, vcc
	global_load_dwordx2 v[2:3], v[2:3], off
	s_or_b64 exec, exec, s[0:1]
	v_cmp_gt_u32_e32 vcc, s13, v22
	s_and_saveexec_b64 s[0:1], vcc
	s_cbranch_execz .LBB1420_6
.LBB1420_45:
	v_mov_b32_e32 v23, 0
	s_waitcnt vmcnt(6)
	v_lshl_add_u64 v[4:5], v[22:23], 3, s[4:5]
	v_cmp_gt_u32_e32 vcc, s11, v22
	v_subrev_u32_e32 v22, s11, v22
	v_lshl_add_u64 v[22:23], v[22:23], 3, s[6:7]
	v_cndmask_b32_e32 v5, v23, v5, vcc
	v_cndmask_b32_e32 v4, v22, v4, vcc
	global_load_dwordx2 v[4:5], v[4:5], off
	s_or_b64 exec, exec, s[0:1]
	v_cmp_gt_u32_e32 vcc, s13, v20
	s_and_saveexec_b64 s[0:1], vcc
	s_cbranch_execnz .LBB1420_7
	s_branch .LBB1420_8
.LBB1420_46:
	ds_read_b64 v[18:19], v26
	s_waitcnt lgkmcnt(0)
	global_store_dwordx2 v[2:3], v[18:19], off
	s_or_b64 exec, exec, s[0:1]
	v_cmp_gt_u32_e32 vcc, s2, v25
	s_and_saveexec_b64 s[0:1], vcc
	s_cbranch_execz .LBB1420_34
.LBB1420_47:
	s_waitcnt lgkmcnt(6)
	global_store_dwordx2 v[2:3], v[16:17], off offset:1024
	s_or_b64 exec, exec, s[0:1]
	v_cmp_gt_u32_e32 vcc, s2, v24
	s_and_saveexec_b64 s[0:1], vcc
	s_cbranch_execz .LBB1420_35
.LBB1420_48:
	s_waitcnt lgkmcnt(5)
	global_store_dwordx2 v[2:3], v[14:15], off offset:2048
	s_or_b64 exec, exec, s[0:1]
	v_cmp_gt_u32_e32 vcc, s2, v23
	s_and_saveexec_b64 s[0:1], vcc
	s_cbranch_execz .LBB1420_36
.LBB1420_49:
	s_waitcnt lgkmcnt(4)
	global_store_dwordx2 v[2:3], v[12:13], off offset:3072
	s_or_b64 exec, exec, s[0:1]
	v_cmp_gt_u32_e32 vcc, s2, v22
	s_and_saveexec_b64 s[0:1], vcc
	s_cbranch_execz .LBB1420_37
.LBB1420_50:
	s_waitcnt lgkmcnt(4)
	v_add_co_u32_e32 v12, vcc, 0x1000, v2
	s_nop 1
	v_addc_co_u32_e32 v13, vcc, 0, v3, vcc
	s_waitcnt lgkmcnt(3)
	global_store_dwordx2 v[12:13], v[10:11], off
	s_or_b64 exec, exec, s[0:1]
	v_cmp_gt_u32_e32 vcc, s2, v21
	s_and_saveexec_b64 s[0:1], vcc
	s_cbranch_execz .LBB1420_38
.LBB1420_51:
	s_waitcnt lgkmcnt(3)
	v_add_co_u32_e32 v10, vcc, 0x1000, v2
	s_nop 1
	v_addc_co_u32_e32 v11, vcc, 0, v3, vcc
	s_waitcnt lgkmcnt(2)
	global_store_dwordx2 v[10:11], v[8:9], off offset:1024
	s_or_b64 exec, exec, s[0:1]
	v_cmp_gt_u32_e32 vcc, s2, v20
	s_and_saveexec_b64 s[0:1], vcc
	s_cbranch_execnz .LBB1420_39
	s_branch .LBB1420_40
	.section	.rodata,"a",@progbits
	.p2align	6, 0x0
	.amdhsa_kernel _ZN7rocprim17ROCPRIM_400000_NS6detail17trampoline_kernelINS0_14default_configENS1_38merge_sort_block_merge_config_selectorIxNS0_10empty_typeEEEZZNS1_27merge_sort_block_merge_implIS3_N6thrust23THRUST_200600_302600_NS6detail15normal_iteratorINS9_10device_ptrIxEEEEPS5_jNS1_19radix_merge_compareILb0ELb0ExNS0_19identity_decomposerEEEEE10hipError_tT0_T1_T2_jT3_P12ihipStream_tbPNSt15iterator_traitsISK_E10value_typeEPNSQ_ISL_E10value_typeEPSM_NS1_7vsmem_tEENKUlT_SK_SL_SM_E_clIPxSE_SF_SF_EESJ_SZ_SK_SL_SM_EUlSZ_E0_NS1_11comp_targetILNS1_3genE5ELNS1_11target_archE942ELNS1_3gpuE9ELNS1_3repE0EEENS1_38merge_mergepath_config_static_selectorELNS0_4arch9wavefront6targetE1EEEvSL_
		.amdhsa_group_segment_fixed_size 8448
		.amdhsa_private_segment_fixed_size 0
		.amdhsa_kernarg_size 320
		.amdhsa_user_sgpr_count 2
		.amdhsa_user_sgpr_dispatch_ptr 0
		.amdhsa_user_sgpr_queue_ptr 0
		.amdhsa_user_sgpr_kernarg_segment_ptr 1
		.amdhsa_user_sgpr_dispatch_id 0
		.amdhsa_user_sgpr_kernarg_preload_length 0
		.amdhsa_user_sgpr_kernarg_preload_offset 0
		.amdhsa_user_sgpr_private_segment_size 0
		.amdhsa_uses_dynamic_stack 0
		.amdhsa_enable_private_segment 0
		.amdhsa_system_sgpr_workgroup_id_x 1
		.amdhsa_system_sgpr_workgroup_id_y 1
		.amdhsa_system_sgpr_workgroup_id_z 1
		.amdhsa_system_sgpr_workgroup_info 0
		.amdhsa_system_vgpr_workitem_id 0
		.amdhsa_next_free_vgpr 34
		.amdhsa_next_free_sgpr 23
		.amdhsa_accum_offset 36
		.amdhsa_reserve_vcc 1
		.amdhsa_float_round_mode_32 0
		.amdhsa_float_round_mode_16_64 0
		.amdhsa_float_denorm_mode_32 3
		.amdhsa_float_denorm_mode_16_64 3
		.amdhsa_dx10_clamp 1
		.amdhsa_ieee_mode 1
		.amdhsa_fp16_overflow 0
		.amdhsa_tg_split 0
		.amdhsa_exception_fp_ieee_invalid_op 0
		.amdhsa_exception_fp_denorm_src 0
		.amdhsa_exception_fp_ieee_div_zero 0
		.amdhsa_exception_fp_ieee_overflow 0
		.amdhsa_exception_fp_ieee_underflow 0
		.amdhsa_exception_fp_ieee_inexact 0
		.amdhsa_exception_int_div_zero 0
	.end_amdhsa_kernel
	.section	.text._ZN7rocprim17ROCPRIM_400000_NS6detail17trampoline_kernelINS0_14default_configENS1_38merge_sort_block_merge_config_selectorIxNS0_10empty_typeEEEZZNS1_27merge_sort_block_merge_implIS3_N6thrust23THRUST_200600_302600_NS6detail15normal_iteratorINS9_10device_ptrIxEEEEPS5_jNS1_19radix_merge_compareILb0ELb0ExNS0_19identity_decomposerEEEEE10hipError_tT0_T1_T2_jT3_P12ihipStream_tbPNSt15iterator_traitsISK_E10value_typeEPNSQ_ISL_E10value_typeEPSM_NS1_7vsmem_tEENKUlT_SK_SL_SM_E_clIPxSE_SF_SF_EESJ_SZ_SK_SL_SM_EUlSZ_E0_NS1_11comp_targetILNS1_3genE5ELNS1_11target_archE942ELNS1_3gpuE9ELNS1_3repE0EEENS1_38merge_mergepath_config_static_selectorELNS0_4arch9wavefront6targetE1EEEvSL_,"axG",@progbits,_ZN7rocprim17ROCPRIM_400000_NS6detail17trampoline_kernelINS0_14default_configENS1_38merge_sort_block_merge_config_selectorIxNS0_10empty_typeEEEZZNS1_27merge_sort_block_merge_implIS3_N6thrust23THRUST_200600_302600_NS6detail15normal_iteratorINS9_10device_ptrIxEEEEPS5_jNS1_19radix_merge_compareILb0ELb0ExNS0_19identity_decomposerEEEEE10hipError_tT0_T1_T2_jT3_P12ihipStream_tbPNSt15iterator_traitsISK_E10value_typeEPNSQ_ISL_E10value_typeEPSM_NS1_7vsmem_tEENKUlT_SK_SL_SM_E_clIPxSE_SF_SF_EESJ_SZ_SK_SL_SM_EUlSZ_E0_NS1_11comp_targetILNS1_3genE5ELNS1_11target_archE942ELNS1_3gpuE9ELNS1_3repE0EEENS1_38merge_mergepath_config_static_selectorELNS0_4arch9wavefront6targetE1EEEvSL_,comdat
.Lfunc_end1420:
	.size	_ZN7rocprim17ROCPRIM_400000_NS6detail17trampoline_kernelINS0_14default_configENS1_38merge_sort_block_merge_config_selectorIxNS0_10empty_typeEEEZZNS1_27merge_sort_block_merge_implIS3_N6thrust23THRUST_200600_302600_NS6detail15normal_iteratorINS9_10device_ptrIxEEEEPS5_jNS1_19radix_merge_compareILb0ELb0ExNS0_19identity_decomposerEEEEE10hipError_tT0_T1_T2_jT3_P12ihipStream_tbPNSt15iterator_traitsISK_E10value_typeEPNSQ_ISL_E10value_typeEPSM_NS1_7vsmem_tEENKUlT_SK_SL_SM_E_clIPxSE_SF_SF_EESJ_SZ_SK_SL_SM_EUlSZ_E0_NS1_11comp_targetILNS1_3genE5ELNS1_11target_archE942ELNS1_3gpuE9ELNS1_3repE0EEENS1_38merge_mergepath_config_static_selectorELNS0_4arch9wavefront6targetE1EEEvSL_, .Lfunc_end1420-_ZN7rocprim17ROCPRIM_400000_NS6detail17trampoline_kernelINS0_14default_configENS1_38merge_sort_block_merge_config_selectorIxNS0_10empty_typeEEEZZNS1_27merge_sort_block_merge_implIS3_N6thrust23THRUST_200600_302600_NS6detail15normal_iteratorINS9_10device_ptrIxEEEEPS5_jNS1_19radix_merge_compareILb0ELb0ExNS0_19identity_decomposerEEEEE10hipError_tT0_T1_T2_jT3_P12ihipStream_tbPNSt15iterator_traitsISK_E10value_typeEPNSQ_ISL_E10value_typeEPSM_NS1_7vsmem_tEENKUlT_SK_SL_SM_E_clIPxSE_SF_SF_EESJ_SZ_SK_SL_SM_EUlSZ_E0_NS1_11comp_targetILNS1_3genE5ELNS1_11target_archE942ELNS1_3gpuE9ELNS1_3repE0EEENS1_38merge_mergepath_config_static_selectorELNS0_4arch9wavefront6targetE1EEEvSL_
                                        ; -- End function
	.section	.AMDGPU.csdata,"",@progbits
; Kernel info:
; codeLenInByte = 3508
; NumSgprs: 29
; NumVgprs: 34
; NumAgprs: 0
; TotalNumVgprs: 34
; ScratchSize: 0
; MemoryBound: 0
; FloatMode: 240
; IeeeMode: 1
; LDSByteSize: 8448 bytes/workgroup (compile time only)
; SGPRBlocks: 3
; VGPRBlocks: 4
; NumSGPRsForWavesPerEU: 29
; NumVGPRsForWavesPerEU: 34
; AccumOffset: 36
; Occupancy: 4
; WaveLimiterHint : 1
; COMPUTE_PGM_RSRC2:SCRATCH_EN: 0
; COMPUTE_PGM_RSRC2:USER_SGPR: 2
; COMPUTE_PGM_RSRC2:TRAP_HANDLER: 0
; COMPUTE_PGM_RSRC2:TGID_X_EN: 1
; COMPUTE_PGM_RSRC2:TGID_Y_EN: 1
; COMPUTE_PGM_RSRC2:TGID_Z_EN: 1
; COMPUTE_PGM_RSRC2:TIDIG_COMP_CNT: 0
; COMPUTE_PGM_RSRC3_GFX90A:ACCUM_OFFSET: 8
; COMPUTE_PGM_RSRC3_GFX90A:TG_SPLIT: 0
	.section	.text._ZN7rocprim17ROCPRIM_400000_NS6detail17trampoline_kernelINS0_14default_configENS1_38merge_sort_block_merge_config_selectorIxNS0_10empty_typeEEEZZNS1_27merge_sort_block_merge_implIS3_N6thrust23THRUST_200600_302600_NS6detail15normal_iteratorINS9_10device_ptrIxEEEEPS5_jNS1_19radix_merge_compareILb0ELb0ExNS0_19identity_decomposerEEEEE10hipError_tT0_T1_T2_jT3_P12ihipStream_tbPNSt15iterator_traitsISK_E10value_typeEPNSQ_ISL_E10value_typeEPSM_NS1_7vsmem_tEENKUlT_SK_SL_SM_E_clIPxSE_SF_SF_EESJ_SZ_SK_SL_SM_EUlSZ_E0_NS1_11comp_targetILNS1_3genE4ELNS1_11target_archE910ELNS1_3gpuE8ELNS1_3repE0EEENS1_38merge_mergepath_config_static_selectorELNS0_4arch9wavefront6targetE1EEEvSL_,"axG",@progbits,_ZN7rocprim17ROCPRIM_400000_NS6detail17trampoline_kernelINS0_14default_configENS1_38merge_sort_block_merge_config_selectorIxNS0_10empty_typeEEEZZNS1_27merge_sort_block_merge_implIS3_N6thrust23THRUST_200600_302600_NS6detail15normal_iteratorINS9_10device_ptrIxEEEEPS5_jNS1_19radix_merge_compareILb0ELb0ExNS0_19identity_decomposerEEEEE10hipError_tT0_T1_T2_jT3_P12ihipStream_tbPNSt15iterator_traitsISK_E10value_typeEPNSQ_ISL_E10value_typeEPSM_NS1_7vsmem_tEENKUlT_SK_SL_SM_E_clIPxSE_SF_SF_EESJ_SZ_SK_SL_SM_EUlSZ_E0_NS1_11comp_targetILNS1_3genE4ELNS1_11target_archE910ELNS1_3gpuE8ELNS1_3repE0EEENS1_38merge_mergepath_config_static_selectorELNS0_4arch9wavefront6targetE1EEEvSL_,comdat
	.protected	_ZN7rocprim17ROCPRIM_400000_NS6detail17trampoline_kernelINS0_14default_configENS1_38merge_sort_block_merge_config_selectorIxNS0_10empty_typeEEEZZNS1_27merge_sort_block_merge_implIS3_N6thrust23THRUST_200600_302600_NS6detail15normal_iteratorINS9_10device_ptrIxEEEEPS5_jNS1_19radix_merge_compareILb0ELb0ExNS0_19identity_decomposerEEEEE10hipError_tT0_T1_T2_jT3_P12ihipStream_tbPNSt15iterator_traitsISK_E10value_typeEPNSQ_ISL_E10value_typeEPSM_NS1_7vsmem_tEENKUlT_SK_SL_SM_E_clIPxSE_SF_SF_EESJ_SZ_SK_SL_SM_EUlSZ_E0_NS1_11comp_targetILNS1_3genE4ELNS1_11target_archE910ELNS1_3gpuE8ELNS1_3repE0EEENS1_38merge_mergepath_config_static_selectorELNS0_4arch9wavefront6targetE1EEEvSL_ ; -- Begin function _ZN7rocprim17ROCPRIM_400000_NS6detail17trampoline_kernelINS0_14default_configENS1_38merge_sort_block_merge_config_selectorIxNS0_10empty_typeEEEZZNS1_27merge_sort_block_merge_implIS3_N6thrust23THRUST_200600_302600_NS6detail15normal_iteratorINS9_10device_ptrIxEEEEPS5_jNS1_19radix_merge_compareILb0ELb0ExNS0_19identity_decomposerEEEEE10hipError_tT0_T1_T2_jT3_P12ihipStream_tbPNSt15iterator_traitsISK_E10value_typeEPNSQ_ISL_E10value_typeEPSM_NS1_7vsmem_tEENKUlT_SK_SL_SM_E_clIPxSE_SF_SF_EESJ_SZ_SK_SL_SM_EUlSZ_E0_NS1_11comp_targetILNS1_3genE4ELNS1_11target_archE910ELNS1_3gpuE8ELNS1_3repE0EEENS1_38merge_mergepath_config_static_selectorELNS0_4arch9wavefront6targetE1EEEvSL_
	.globl	_ZN7rocprim17ROCPRIM_400000_NS6detail17trampoline_kernelINS0_14default_configENS1_38merge_sort_block_merge_config_selectorIxNS0_10empty_typeEEEZZNS1_27merge_sort_block_merge_implIS3_N6thrust23THRUST_200600_302600_NS6detail15normal_iteratorINS9_10device_ptrIxEEEEPS5_jNS1_19radix_merge_compareILb0ELb0ExNS0_19identity_decomposerEEEEE10hipError_tT0_T1_T2_jT3_P12ihipStream_tbPNSt15iterator_traitsISK_E10value_typeEPNSQ_ISL_E10value_typeEPSM_NS1_7vsmem_tEENKUlT_SK_SL_SM_E_clIPxSE_SF_SF_EESJ_SZ_SK_SL_SM_EUlSZ_E0_NS1_11comp_targetILNS1_3genE4ELNS1_11target_archE910ELNS1_3gpuE8ELNS1_3repE0EEENS1_38merge_mergepath_config_static_selectorELNS0_4arch9wavefront6targetE1EEEvSL_
	.p2align	8
	.type	_ZN7rocprim17ROCPRIM_400000_NS6detail17trampoline_kernelINS0_14default_configENS1_38merge_sort_block_merge_config_selectorIxNS0_10empty_typeEEEZZNS1_27merge_sort_block_merge_implIS3_N6thrust23THRUST_200600_302600_NS6detail15normal_iteratorINS9_10device_ptrIxEEEEPS5_jNS1_19radix_merge_compareILb0ELb0ExNS0_19identity_decomposerEEEEE10hipError_tT0_T1_T2_jT3_P12ihipStream_tbPNSt15iterator_traitsISK_E10value_typeEPNSQ_ISL_E10value_typeEPSM_NS1_7vsmem_tEENKUlT_SK_SL_SM_E_clIPxSE_SF_SF_EESJ_SZ_SK_SL_SM_EUlSZ_E0_NS1_11comp_targetILNS1_3genE4ELNS1_11target_archE910ELNS1_3gpuE8ELNS1_3repE0EEENS1_38merge_mergepath_config_static_selectorELNS0_4arch9wavefront6targetE1EEEvSL_,@function
_ZN7rocprim17ROCPRIM_400000_NS6detail17trampoline_kernelINS0_14default_configENS1_38merge_sort_block_merge_config_selectorIxNS0_10empty_typeEEEZZNS1_27merge_sort_block_merge_implIS3_N6thrust23THRUST_200600_302600_NS6detail15normal_iteratorINS9_10device_ptrIxEEEEPS5_jNS1_19radix_merge_compareILb0ELb0ExNS0_19identity_decomposerEEEEE10hipError_tT0_T1_T2_jT3_P12ihipStream_tbPNSt15iterator_traitsISK_E10value_typeEPNSQ_ISL_E10value_typeEPSM_NS1_7vsmem_tEENKUlT_SK_SL_SM_E_clIPxSE_SF_SF_EESJ_SZ_SK_SL_SM_EUlSZ_E0_NS1_11comp_targetILNS1_3genE4ELNS1_11target_archE910ELNS1_3gpuE8ELNS1_3repE0EEENS1_38merge_mergepath_config_static_selectorELNS0_4arch9wavefront6targetE1EEEvSL_: ; @_ZN7rocprim17ROCPRIM_400000_NS6detail17trampoline_kernelINS0_14default_configENS1_38merge_sort_block_merge_config_selectorIxNS0_10empty_typeEEEZZNS1_27merge_sort_block_merge_implIS3_N6thrust23THRUST_200600_302600_NS6detail15normal_iteratorINS9_10device_ptrIxEEEEPS5_jNS1_19radix_merge_compareILb0ELb0ExNS0_19identity_decomposerEEEEE10hipError_tT0_T1_T2_jT3_P12ihipStream_tbPNSt15iterator_traitsISK_E10value_typeEPNSQ_ISL_E10value_typeEPSM_NS1_7vsmem_tEENKUlT_SK_SL_SM_E_clIPxSE_SF_SF_EESJ_SZ_SK_SL_SM_EUlSZ_E0_NS1_11comp_targetILNS1_3genE4ELNS1_11target_archE910ELNS1_3gpuE8ELNS1_3repE0EEENS1_38merge_mergepath_config_static_selectorELNS0_4arch9wavefront6targetE1EEEvSL_
; %bb.0:
	.section	.rodata,"a",@progbits
	.p2align	6, 0x0
	.amdhsa_kernel _ZN7rocprim17ROCPRIM_400000_NS6detail17trampoline_kernelINS0_14default_configENS1_38merge_sort_block_merge_config_selectorIxNS0_10empty_typeEEEZZNS1_27merge_sort_block_merge_implIS3_N6thrust23THRUST_200600_302600_NS6detail15normal_iteratorINS9_10device_ptrIxEEEEPS5_jNS1_19radix_merge_compareILb0ELb0ExNS0_19identity_decomposerEEEEE10hipError_tT0_T1_T2_jT3_P12ihipStream_tbPNSt15iterator_traitsISK_E10value_typeEPNSQ_ISL_E10value_typeEPSM_NS1_7vsmem_tEENKUlT_SK_SL_SM_E_clIPxSE_SF_SF_EESJ_SZ_SK_SL_SM_EUlSZ_E0_NS1_11comp_targetILNS1_3genE4ELNS1_11target_archE910ELNS1_3gpuE8ELNS1_3repE0EEENS1_38merge_mergepath_config_static_selectorELNS0_4arch9wavefront6targetE1EEEvSL_
		.amdhsa_group_segment_fixed_size 0
		.amdhsa_private_segment_fixed_size 0
		.amdhsa_kernarg_size 64
		.amdhsa_user_sgpr_count 2
		.amdhsa_user_sgpr_dispatch_ptr 0
		.amdhsa_user_sgpr_queue_ptr 0
		.amdhsa_user_sgpr_kernarg_segment_ptr 1
		.amdhsa_user_sgpr_dispatch_id 0
		.amdhsa_user_sgpr_kernarg_preload_length 0
		.amdhsa_user_sgpr_kernarg_preload_offset 0
		.amdhsa_user_sgpr_private_segment_size 0
		.amdhsa_uses_dynamic_stack 0
		.amdhsa_enable_private_segment 0
		.amdhsa_system_sgpr_workgroup_id_x 1
		.amdhsa_system_sgpr_workgroup_id_y 0
		.amdhsa_system_sgpr_workgroup_id_z 0
		.amdhsa_system_sgpr_workgroup_info 0
		.amdhsa_system_vgpr_workitem_id 0
		.amdhsa_next_free_vgpr 1
		.amdhsa_next_free_sgpr 0
		.amdhsa_accum_offset 4
		.amdhsa_reserve_vcc 0
		.amdhsa_float_round_mode_32 0
		.amdhsa_float_round_mode_16_64 0
		.amdhsa_float_denorm_mode_32 3
		.amdhsa_float_denorm_mode_16_64 3
		.amdhsa_dx10_clamp 1
		.amdhsa_ieee_mode 1
		.amdhsa_fp16_overflow 0
		.amdhsa_tg_split 0
		.amdhsa_exception_fp_ieee_invalid_op 0
		.amdhsa_exception_fp_denorm_src 0
		.amdhsa_exception_fp_ieee_div_zero 0
		.amdhsa_exception_fp_ieee_overflow 0
		.amdhsa_exception_fp_ieee_underflow 0
		.amdhsa_exception_fp_ieee_inexact 0
		.amdhsa_exception_int_div_zero 0
	.end_amdhsa_kernel
	.section	.text._ZN7rocprim17ROCPRIM_400000_NS6detail17trampoline_kernelINS0_14default_configENS1_38merge_sort_block_merge_config_selectorIxNS0_10empty_typeEEEZZNS1_27merge_sort_block_merge_implIS3_N6thrust23THRUST_200600_302600_NS6detail15normal_iteratorINS9_10device_ptrIxEEEEPS5_jNS1_19radix_merge_compareILb0ELb0ExNS0_19identity_decomposerEEEEE10hipError_tT0_T1_T2_jT3_P12ihipStream_tbPNSt15iterator_traitsISK_E10value_typeEPNSQ_ISL_E10value_typeEPSM_NS1_7vsmem_tEENKUlT_SK_SL_SM_E_clIPxSE_SF_SF_EESJ_SZ_SK_SL_SM_EUlSZ_E0_NS1_11comp_targetILNS1_3genE4ELNS1_11target_archE910ELNS1_3gpuE8ELNS1_3repE0EEENS1_38merge_mergepath_config_static_selectorELNS0_4arch9wavefront6targetE1EEEvSL_,"axG",@progbits,_ZN7rocprim17ROCPRIM_400000_NS6detail17trampoline_kernelINS0_14default_configENS1_38merge_sort_block_merge_config_selectorIxNS0_10empty_typeEEEZZNS1_27merge_sort_block_merge_implIS3_N6thrust23THRUST_200600_302600_NS6detail15normal_iteratorINS9_10device_ptrIxEEEEPS5_jNS1_19radix_merge_compareILb0ELb0ExNS0_19identity_decomposerEEEEE10hipError_tT0_T1_T2_jT3_P12ihipStream_tbPNSt15iterator_traitsISK_E10value_typeEPNSQ_ISL_E10value_typeEPSM_NS1_7vsmem_tEENKUlT_SK_SL_SM_E_clIPxSE_SF_SF_EESJ_SZ_SK_SL_SM_EUlSZ_E0_NS1_11comp_targetILNS1_3genE4ELNS1_11target_archE910ELNS1_3gpuE8ELNS1_3repE0EEENS1_38merge_mergepath_config_static_selectorELNS0_4arch9wavefront6targetE1EEEvSL_,comdat
.Lfunc_end1421:
	.size	_ZN7rocprim17ROCPRIM_400000_NS6detail17trampoline_kernelINS0_14default_configENS1_38merge_sort_block_merge_config_selectorIxNS0_10empty_typeEEEZZNS1_27merge_sort_block_merge_implIS3_N6thrust23THRUST_200600_302600_NS6detail15normal_iteratorINS9_10device_ptrIxEEEEPS5_jNS1_19radix_merge_compareILb0ELb0ExNS0_19identity_decomposerEEEEE10hipError_tT0_T1_T2_jT3_P12ihipStream_tbPNSt15iterator_traitsISK_E10value_typeEPNSQ_ISL_E10value_typeEPSM_NS1_7vsmem_tEENKUlT_SK_SL_SM_E_clIPxSE_SF_SF_EESJ_SZ_SK_SL_SM_EUlSZ_E0_NS1_11comp_targetILNS1_3genE4ELNS1_11target_archE910ELNS1_3gpuE8ELNS1_3repE0EEENS1_38merge_mergepath_config_static_selectorELNS0_4arch9wavefront6targetE1EEEvSL_, .Lfunc_end1421-_ZN7rocprim17ROCPRIM_400000_NS6detail17trampoline_kernelINS0_14default_configENS1_38merge_sort_block_merge_config_selectorIxNS0_10empty_typeEEEZZNS1_27merge_sort_block_merge_implIS3_N6thrust23THRUST_200600_302600_NS6detail15normal_iteratorINS9_10device_ptrIxEEEEPS5_jNS1_19radix_merge_compareILb0ELb0ExNS0_19identity_decomposerEEEEE10hipError_tT0_T1_T2_jT3_P12ihipStream_tbPNSt15iterator_traitsISK_E10value_typeEPNSQ_ISL_E10value_typeEPSM_NS1_7vsmem_tEENKUlT_SK_SL_SM_E_clIPxSE_SF_SF_EESJ_SZ_SK_SL_SM_EUlSZ_E0_NS1_11comp_targetILNS1_3genE4ELNS1_11target_archE910ELNS1_3gpuE8ELNS1_3repE0EEENS1_38merge_mergepath_config_static_selectorELNS0_4arch9wavefront6targetE1EEEvSL_
                                        ; -- End function
	.section	.AMDGPU.csdata,"",@progbits
; Kernel info:
; codeLenInByte = 0
; NumSgprs: 6
; NumVgprs: 0
; NumAgprs: 0
; TotalNumVgprs: 0
; ScratchSize: 0
; MemoryBound: 0
; FloatMode: 240
; IeeeMode: 1
; LDSByteSize: 0 bytes/workgroup (compile time only)
; SGPRBlocks: 0
; VGPRBlocks: 0
; NumSGPRsForWavesPerEU: 6
; NumVGPRsForWavesPerEU: 1
; AccumOffset: 4
; Occupancy: 8
; WaveLimiterHint : 0
; COMPUTE_PGM_RSRC2:SCRATCH_EN: 0
; COMPUTE_PGM_RSRC2:USER_SGPR: 2
; COMPUTE_PGM_RSRC2:TRAP_HANDLER: 0
; COMPUTE_PGM_RSRC2:TGID_X_EN: 1
; COMPUTE_PGM_RSRC2:TGID_Y_EN: 0
; COMPUTE_PGM_RSRC2:TGID_Z_EN: 0
; COMPUTE_PGM_RSRC2:TIDIG_COMP_CNT: 0
; COMPUTE_PGM_RSRC3_GFX90A:ACCUM_OFFSET: 0
; COMPUTE_PGM_RSRC3_GFX90A:TG_SPLIT: 0
	.section	.text._ZN7rocprim17ROCPRIM_400000_NS6detail17trampoline_kernelINS0_14default_configENS1_38merge_sort_block_merge_config_selectorIxNS0_10empty_typeEEEZZNS1_27merge_sort_block_merge_implIS3_N6thrust23THRUST_200600_302600_NS6detail15normal_iteratorINS9_10device_ptrIxEEEEPS5_jNS1_19radix_merge_compareILb0ELb0ExNS0_19identity_decomposerEEEEE10hipError_tT0_T1_T2_jT3_P12ihipStream_tbPNSt15iterator_traitsISK_E10value_typeEPNSQ_ISL_E10value_typeEPSM_NS1_7vsmem_tEENKUlT_SK_SL_SM_E_clIPxSE_SF_SF_EESJ_SZ_SK_SL_SM_EUlSZ_E0_NS1_11comp_targetILNS1_3genE3ELNS1_11target_archE908ELNS1_3gpuE7ELNS1_3repE0EEENS1_38merge_mergepath_config_static_selectorELNS0_4arch9wavefront6targetE1EEEvSL_,"axG",@progbits,_ZN7rocprim17ROCPRIM_400000_NS6detail17trampoline_kernelINS0_14default_configENS1_38merge_sort_block_merge_config_selectorIxNS0_10empty_typeEEEZZNS1_27merge_sort_block_merge_implIS3_N6thrust23THRUST_200600_302600_NS6detail15normal_iteratorINS9_10device_ptrIxEEEEPS5_jNS1_19radix_merge_compareILb0ELb0ExNS0_19identity_decomposerEEEEE10hipError_tT0_T1_T2_jT3_P12ihipStream_tbPNSt15iterator_traitsISK_E10value_typeEPNSQ_ISL_E10value_typeEPSM_NS1_7vsmem_tEENKUlT_SK_SL_SM_E_clIPxSE_SF_SF_EESJ_SZ_SK_SL_SM_EUlSZ_E0_NS1_11comp_targetILNS1_3genE3ELNS1_11target_archE908ELNS1_3gpuE7ELNS1_3repE0EEENS1_38merge_mergepath_config_static_selectorELNS0_4arch9wavefront6targetE1EEEvSL_,comdat
	.protected	_ZN7rocprim17ROCPRIM_400000_NS6detail17trampoline_kernelINS0_14default_configENS1_38merge_sort_block_merge_config_selectorIxNS0_10empty_typeEEEZZNS1_27merge_sort_block_merge_implIS3_N6thrust23THRUST_200600_302600_NS6detail15normal_iteratorINS9_10device_ptrIxEEEEPS5_jNS1_19radix_merge_compareILb0ELb0ExNS0_19identity_decomposerEEEEE10hipError_tT0_T1_T2_jT3_P12ihipStream_tbPNSt15iterator_traitsISK_E10value_typeEPNSQ_ISL_E10value_typeEPSM_NS1_7vsmem_tEENKUlT_SK_SL_SM_E_clIPxSE_SF_SF_EESJ_SZ_SK_SL_SM_EUlSZ_E0_NS1_11comp_targetILNS1_3genE3ELNS1_11target_archE908ELNS1_3gpuE7ELNS1_3repE0EEENS1_38merge_mergepath_config_static_selectorELNS0_4arch9wavefront6targetE1EEEvSL_ ; -- Begin function _ZN7rocprim17ROCPRIM_400000_NS6detail17trampoline_kernelINS0_14default_configENS1_38merge_sort_block_merge_config_selectorIxNS0_10empty_typeEEEZZNS1_27merge_sort_block_merge_implIS3_N6thrust23THRUST_200600_302600_NS6detail15normal_iteratorINS9_10device_ptrIxEEEEPS5_jNS1_19radix_merge_compareILb0ELb0ExNS0_19identity_decomposerEEEEE10hipError_tT0_T1_T2_jT3_P12ihipStream_tbPNSt15iterator_traitsISK_E10value_typeEPNSQ_ISL_E10value_typeEPSM_NS1_7vsmem_tEENKUlT_SK_SL_SM_E_clIPxSE_SF_SF_EESJ_SZ_SK_SL_SM_EUlSZ_E0_NS1_11comp_targetILNS1_3genE3ELNS1_11target_archE908ELNS1_3gpuE7ELNS1_3repE0EEENS1_38merge_mergepath_config_static_selectorELNS0_4arch9wavefront6targetE1EEEvSL_
	.globl	_ZN7rocprim17ROCPRIM_400000_NS6detail17trampoline_kernelINS0_14default_configENS1_38merge_sort_block_merge_config_selectorIxNS0_10empty_typeEEEZZNS1_27merge_sort_block_merge_implIS3_N6thrust23THRUST_200600_302600_NS6detail15normal_iteratorINS9_10device_ptrIxEEEEPS5_jNS1_19radix_merge_compareILb0ELb0ExNS0_19identity_decomposerEEEEE10hipError_tT0_T1_T2_jT3_P12ihipStream_tbPNSt15iterator_traitsISK_E10value_typeEPNSQ_ISL_E10value_typeEPSM_NS1_7vsmem_tEENKUlT_SK_SL_SM_E_clIPxSE_SF_SF_EESJ_SZ_SK_SL_SM_EUlSZ_E0_NS1_11comp_targetILNS1_3genE3ELNS1_11target_archE908ELNS1_3gpuE7ELNS1_3repE0EEENS1_38merge_mergepath_config_static_selectorELNS0_4arch9wavefront6targetE1EEEvSL_
	.p2align	8
	.type	_ZN7rocprim17ROCPRIM_400000_NS6detail17trampoline_kernelINS0_14default_configENS1_38merge_sort_block_merge_config_selectorIxNS0_10empty_typeEEEZZNS1_27merge_sort_block_merge_implIS3_N6thrust23THRUST_200600_302600_NS6detail15normal_iteratorINS9_10device_ptrIxEEEEPS5_jNS1_19radix_merge_compareILb0ELb0ExNS0_19identity_decomposerEEEEE10hipError_tT0_T1_T2_jT3_P12ihipStream_tbPNSt15iterator_traitsISK_E10value_typeEPNSQ_ISL_E10value_typeEPSM_NS1_7vsmem_tEENKUlT_SK_SL_SM_E_clIPxSE_SF_SF_EESJ_SZ_SK_SL_SM_EUlSZ_E0_NS1_11comp_targetILNS1_3genE3ELNS1_11target_archE908ELNS1_3gpuE7ELNS1_3repE0EEENS1_38merge_mergepath_config_static_selectorELNS0_4arch9wavefront6targetE1EEEvSL_,@function
_ZN7rocprim17ROCPRIM_400000_NS6detail17trampoline_kernelINS0_14default_configENS1_38merge_sort_block_merge_config_selectorIxNS0_10empty_typeEEEZZNS1_27merge_sort_block_merge_implIS3_N6thrust23THRUST_200600_302600_NS6detail15normal_iteratorINS9_10device_ptrIxEEEEPS5_jNS1_19radix_merge_compareILb0ELb0ExNS0_19identity_decomposerEEEEE10hipError_tT0_T1_T2_jT3_P12ihipStream_tbPNSt15iterator_traitsISK_E10value_typeEPNSQ_ISL_E10value_typeEPSM_NS1_7vsmem_tEENKUlT_SK_SL_SM_E_clIPxSE_SF_SF_EESJ_SZ_SK_SL_SM_EUlSZ_E0_NS1_11comp_targetILNS1_3genE3ELNS1_11target_archE908ELNS1_3gpuE7ELNS1_3repE0EEENS1_38merge_mergepath_config_static_selectorELNS0_4arch9wavefront6targetE1EEEvSL_: ; @_ZN7rocprim17ROCPRIM_400000_NS6detail17trampoline_kernelINS0_14default_configENS1_38merge_sort_block_merge_config_selectorIxNS0_10empty_typeEEEZZNS1_27merge_sort_block_merge_implIS3_N6thrust23THRUST_200600_302600_NS6detail15normal_iteratorINS9_10device_ptrIxEEEEPS5_jNS1_19radix_merge_compareILb0ELb0ExNS0_19identity_decomposerEEEEE10hipError_tT0_T1_T2_jT3_P12ihipStream_tbPNSt15iterator_traitsISK_E10value_typeEPNSQ_ISL_E10value_typeEPSM_NS1_7vsmem_tEENKUlT_SK_SL_SM_E_clIPxSE_SF_SF_EESJ_SZ_SK_SL_SM_EUlSZ_E0_NS1_11comp_targetILNS1_3genE3ELNS1_11target_archE908ELNS1_3gpuE7ELNS1_3repE0EEENS1_38merge_mergepath_config_static_selectorELNS0_4arch9wavefront6targetE1EEEvSL_
; %bb.0:
	.section	.rodata,"a",@progbits
	.p2align	6, 0x0
	.amdhsa_kernel _ZN7rocprim17ROCPRIM_400000_NS6detail17trampoline_kernelINS0_14default_configENS1_38merge_sort_block_merge_config_selectorIxNS0_10empty_typeEEEZZNS1_27merge_sort_block_merge_implIS3_N6thrust23THRUST_200600_302600_NS6detail15normal_iteratorINS9_10device_ptrIxEEEEPS5_jNS1_19radix_merge_compareILb0ELb0ExNS0_19identity_decomposerEEEEE10hipError_tT0_T1_T2_jT3_P12ihipStream_tbPNSt15iterator_traitsISK_E10value_typeEPNSQ_ISL_E10value_typeEPSM_NS1_7vsmem_tEENKUlT_SK_SL_SM_E_clIPxSE_SF_SF_EESJ_SZ_SK_SL_SM_EUlSZ_E0_NS1_11comp_targetILNS1_3genE3ELNS1_11target_archE908ELNS1_3gpuE7ELNS1_3repE0EEENS1_38merge_mergepath_config_static_selectorELNS0_4arch9wavefront6targetE1EEEvSL_
		.amdhsa_group_segment_fixed_size 0
		.amdhsa_private_segment_fixed_size 0
		.amdhsa_kernarg_size 64
		.amdhsa_user_sgpr_count 2
		.amdhsa_user_sgpr_dispatch_ptr 0
		.amdhsa_user_sgpr_queue_ptr 0
		.amdhsa_user_sgpr_kernarg_segment_ptr 1
		.amdhsa_user_sgpr_dispatch_id 0
		.amdhsa_user_sgpr_kernarg_preload_length 0
		.amdhsa_user_sgpr_kernarg_preload_offset 0
		.amdhsa_user_sgpr_private_segment_size 0
		.amdhsa_uses_dynamic_stack 0
		.amdhsa_enable_private_segment 0
		.amdhsa_system_sgpr_workgroup_id_x 1
		.amdhsa_system_sgpr_workgroup_id_y 0
		.amdhsa_system_sgpr_workgroup_id_z 0
		.amdhsa_system_sgpr_workgroup_info 0
		.amdhsa_system_vgpr_workitem_id 0
		.amdhsa_next_free_vgpr 1
		.amdhsa_next_free_sgpr 0
		.amdhsa_accum_offset 4
		.amdhsa_reserve_vcc 0
		.amdhsa_float_round_mode_32 0
		.amdhsa_float_round_mode_16_64 0
		.amdhsa_float_denorm_mode_32 3
		.amdhsa_float_denorm_mode_16_64 3
		.amdhsa_dx10_clamp 1
		.amdhsa_ieee_mode 1
		.amdhsa_fp16_overflow 0
		.amdhsa_tg_split 0
		.amdhsa_exception_fp_ieee_invalid_op 0
		.amdhsa_exception_fp_denorm_src 0
		.amdhsa_exception_fp_ieee_div_zero 0
		.amdhsa_exception_fp_ieee_overflow 0
		.amdhsa_exception_fp_ieee_underflow 0
		.amdhsa_exception_fp_ieee_inexact 0
		.amdhsa_exception_int_div_zero 0
	.end_amdhsa_kernel
	.section	.text._ZN7rocprim17ROCPRIM_400000_NS6detail17trampoline_kernelINS0_14default_configENS1_38merge_sort_block_merge_config_selectorIxNS0_10empty_typeEEEZZNS1_27merge_sort_block_merge_implIS3_N6thrust23THRUST_200600_302600_NS6detail15normal_iteratorINS9_10device_ptrIxEEEEPS5_jNS1_19radix_merge_compareILb0ELb0ExNS0_19identity_decomposerEEEEE10hipError_tT0_T1_T2_jT3_P12ihipStream_tbPNSt15iterator_traitsISK_E10value_typeEPNSQ_ISL_E10value_typeEPSM_NS1_7vsmem_tEENKUlT_SK_SL_SM_E_clIPxSE_SF_SF_EESJ_SZ_SK_SL_SM_EUlSZ_E0_NS1_11comp_targetILNS1_3genE3ELNS1_11target_archE908ELNS1_3gpuE7ELNS1_3repE0EEENS1_38merge_mergepath_config_static_selectorELNS0_4arch9wavefront6targetE1EEEvSL_,"axG",@progbits,_ZN7rocprim17ROCPRIM_400000_NS6detail17trampoline_kernelINS0_14default_configENS1_38merge_sort_block_merge_config_selectorIxNS0_10empty_typeEEEZZNS1_27merge_sort_block_merge_implIS3_N6thrust23THRUST_200600_302600_NS6detail15normal_iteratorINS9_10device_ptrIxEEEEPS5_jNS1_19radix_merge_compareILb0ELb0ExNS0_19identity_decomposerEEEEE10hipError_tT0_T1_T2_jT3_P12ihipStream_tbPNSt15iterator_traitsISK_E10value_typeEPNSQ_ISL_E10value_typeEPSM_NS1_7vsmem_tEENKUlT_SK_SL_SM_E_clIPxSE_SF_SF_EESJ_SZ_SK_SL_SM_EUlSZ_E0_NS1_11comp_targetILNS1_3genE3ELNS1_11target_archE908ELNS1_3gpuE7ELNS1_3repE0EEENS1_38merge_mergepath_config_static_selectorELNS0_4arch9wavefront6targetE1EEEvSL_,comdat
.Lfunc_end1422:
	.size	_ZN7rocprim17ROCPRIM_400000_NS6detail17trampoline_kernelINS0_14default_configENS1_38merge_sort_block_merge_config_selectorIxNS0_10empty_typeEEEZZNS1_27merge_sort_block_merge_implIS3_N6thrust23THRUST_200600_302600_NS6detail15normal_iteratorINS9_10device_ptrIxEEEEPS5_jNS1_19radix_merge_compareILb0ELb0ExNS0_19identity_decomposerEEEEE10hipError_tT0_T1_T2_jT3_P12ihipStream_tbPNSt15iterator_traitsISK_E10value_typeEPNSQ_ISL_E10value_typeEPSM_NS1_7vsmem_tEENKUlT_SK_SL_SM_E_clIPxSE_SF_SF_EESJ_SZ_SK_SL_SM_EUlSZ_E0_NS1_11comp_targetILNS1_3genE3ELNS1_11target_archE908ELNS1_3gpuE7ELNS1_3repE0EEENS1_38merge_mergepath_config_static_selectorELNS0_4arch9wavefront6targetE1EEEvSL_, .Lfunc_end1422-_ZN7rocprim17ROCPRIM_400000_NS6detail17trampoline_kernelINS0_14default_configENS1_38merge_sort_block_merge_config_selectorIxNS0_10empty_typeEEEZZNS1_27merge_sort_block_merge_implIS3_N6thrust23THRUST_200600_302600_NS6detail15normal_iteratorINS9_10device_ptrIxEEEEPS5_jNS1_19radix_merge_compareILb0ELb0ExNS0_19identity_decomposerEEEEE10hipError_tT0_T1_T2_jT3_P12ihipStream_tbPNSt15iterator_traitsISK_E10value_typeEPNSQ_ISL_E10value_typeEPSM_NS1_7vsmem_tEENKUlT_SK_SL_SM_E_clIPxSE_SF_SF_EESJ_SZ_SK_SL_SM_EUlSZ_E0_NS1_11comp_targetILNS1_3genE3ELNS1_11target_archE908ELNS1_3gpuE7ELNS1_3repE0EEENS1_38merge_mergepath_config_static_selectorELNS0_4arch9wavefront6targetE1EEEvSL_
                                        ; -- End function
	.section	.AMDGPU.csdata,"",@progbits
; Kernel info:
; codeLenInByte = 0
; NumSgprs: 6
; NumVgprs: 0
; NumAgprs: 0
; TotalNumVgprs: 0
; ScratchSize: 0
; MemoryBound: 0
; FloatMode: 240
; IeeeMode: 1
; LDSByteSize: 0 bytes/workgroup (compile time only)
; SGPRBlocks: 0
; VGPRBlocks: 0
; NumSGPRsForWavesPerEU: 6
; NumVGPRsForWavesPerEU: 1
; AccumOffset: 4
; Occupancy: 8
; WaveLimiterHint : 0
; COMPUTE_PGM_RSRC2:SCRATCH_EN: 0
; COMPUTE_PGM_RSRC2:USER_SGPR: 2
; COMPUTE_PGM_RSRC2:TRAP_HANDLER: 0
; COMPUTE_PGM_RSRC2:TGID_X_EN: 1
; COMPUTE_PGM_RSRC2:TGID_Y_EN: 0
; COMPUTE_PGM_RSRC2:TGID_Z_EN: 0
; COMPUTE_PGM_RSRC2:TIDIG_COMP_CNT: 0
; COMPUTE_PGM_RSRC3_GFX90A:ACCUM_OFFSET: 0
; COMPUTE_PGM_RSRC3_GFX90A:TG_SPLIT: 0
	.section	.text._ZN7rocprim17ROCPRIM_400000_NS6detail17trampoline_kernelINS0_14default_configENS1_38merge_sort_block_merge_config_selectorIxNS0_10empty_typeEEEZZNS1_27merge_sort_block_merge_implIS3_N6thrust23THRUST_200600_302600_NS6detail15normal_iteratorINS9_10device_ptrIxEEEEPS5_jNS1_19radix_merge_compareILb0ELb0ExNS0_19identity_decomposerEEEEE10hipError_tT0_T1_T2_jT3_P12ihipStream_tbPNSt15iterator_traitsISK_E10value_typeEPNSQ_ISL_E10value_typeEPSM_NS1_7vsmem_tEENKUlT_SK_SL_SM_E_clIPxSE_SF_SF_EESJ_SZ_SK_SL_SM_EUlSZ_E0_NS1_11comp_targetILNS1_3genE2ELNS1_11target_archE906ELNS1_3gpuE6ELNS1_3repE0EEENS1_38merge_mergepath_config_static_selectorELNS0_4arch9wavefront6targetE1EEEvSL_,"axG",@progbits,_ZN7rocprim17ROCPRIM_400000_NS6detail17trampoline_kernelINS0_14default_configENS1_38merge_sort_block_merge_config_selectorIxNS0_10empty_typeEEEZZNS1_27merge_sort_block_merge_implIS3_N6thrust23THRUST_200600_302600_NS6detail15normal_iteratorINS9_10device_ptrIxEEEEPS5_jNS1_19radix_merge_compareILb0ELb0ExNS0_19identity_decomposerEEEEE10hipError_tT0_T1_T2_jT3_P12ihipStream_tbPNSt15iterator_traitsISK_E10value_typeEPNSQ_ISL_E10value_typeEPSM_NS1_7vsmem_tEENKUlT_SK_SL_SM_E_clIPxSE_SF_SF_EESJ_SZ_SK_SL_SM_EUlSZ_E0_NS1_11comp_targetILNS1_3genE2ELNS1_11target_archE906ELNS1_3gpuE6ELNS1_3repE0EEENS1_38merge_mergepath_config_static_selectorELNS0_4arch9wavefront6targetE1EEEvSL_,comdat
	.protected	_ZN7rocprim17ROCPRIM_400000_NS6detail17trampoline_kernelINS0_14default_configENS1_38merge_sort_block_merge_config_selectorIxNS0_10empty_typeEEEZZNS1_27merge_sort_block_merge_implIS3_N6thrust23THRUST_200600_302600_NS6detail15normal_iteratorINS9_10device_ptrIxEEEEPS5_jNS1_19radix_merge_compareILb0ELb0ExNS0_19identity_decomposerEEEEE10hipError_tT0_T1_T2_jT3_P12ihipStream_tbPNSt15iterator_traitsISK_E10value_typeEPNSQ_ISL_E10value_typeEPSM_NS1_7vsmem_tEENKUlT_SK_SL_SM_E_clIPxSE_SF_SF_EESJ_SZ_SK_SL_SM_EUlSZ_E0_NS1_11comp_targetILNS1_3genE2ELNS1_11target_archE906ELNS1_3gpuE6ELNS1_3repE0EEENS1_38merge_mergepath_config_static_selectorELNS0_4arch9wavefront6targetE1EEEvSL_ ; -- Begin function _ZN7rocprim17ROCPRIM_400000_NS6detail17trampoline_kernelINS0_14default_configENS1_38merge_sort_block_merge_config_selectorIxNS0_10empty_typeEEEZZNS1_27merge_sort_block_merge_implIS3_N6thrust23THRUST_200600_302600_NS6detail15normal_iteratorINS9_10device_ptrIxEEEEPS5_jNS1_19radix_merge_compareILb0ELb0ExNS0_19identity_decomposerEEEEE10hipError_tT0_T1_T2_jT3_P12ihipStream_tbPNSt15iterator_traitsISK_E10value_typeEPNSQ_ISL_E10value_typeEPSM_NS1_7vsmem_tEENKUlT_SK_SL_SM_E_clIPxSE_SF_SF_EESJ_SZ_SK_SL_SM_EUlSZ_E0_NS1_11comp_targetILNS1_3genE2ELNS1_11target_archE906ELNS1_3gpuE6ELNS1_3repE0EEENS1_38merge_mergepath_config_static_selectorELNS0_4arch9wavefront6targetE1EEEvSL_
	.globl	_ZN7rocprim17ROCPRIM_400000_NS6detail17trampoline_kernelINS0_14default_configENS1_38merge_sort_block_merge_config_selectorIxNS0_10empty_typeEEEZZNS1_27merge_sort_block_merge_implIS3_N6thrust23THRUST_200600_302600_NS6detail15normal_iteratorINS9_10device_ptrIxEEEEPS5_jNS1_19radix_merge_compareILb0ELb0ExNS0_19identity_decomposerEEEEE10hipError_tT0_T1_T2_jT3_P12ihipStream_tbPNSt15iterator_traitsISK_E10value_typeEPNSQ_ISL_E10value_typeEPSM_NS1_7vsmem_tEENKUlT_SK_SL_SM_E_clIPxSE_SF_SF_EESJ_SZ_SK_SL_SM_EUlSZ_E0_NS1_11comp_targetILNS1_3genE2ELNS1_11target_archE906ELNS1_3gpuE6ELNS1_3repE0EEENS1_38merge_mergepath_config_static_selectorELNS0_4arch9wavefront6targetE1EEEvSL_
	.p2align	8
	.type	_ZN7rocprim17ROCPRIM_400000_NS6detail17trampoline_kernelINS0_14default_configENS1_38merge_sort_block_merge_config_selectorIxNS0_10empty_typeEEEZZNS1_27merge_sort_block_merge_implIS3_N6thrust23THRUST_200600_302600_NS6detail15normal_iteratorINS9_10device_ptrIxEEEEPS5_jNS1_19radix_merge_compareILb0ELb0ExNS0_19identity_decomposerEEEEE10hipError_tT0_T1_T2_jT3_P12ihipStream_tbPNSt15iterator_traitsISK_E10value_typeEPNSQ_ISL_E10value_typeEPSM_NS1_7vsmem_tEENKUlT_SK_SL_SM_E_clIPxSE_SF_SF_EESJ_SZ_SK_SL_SM_EUlSZ_E0_NS1_11comp_targetILNS1_3genE2ELNS1_11target_archE906ELNS1_3gpuE6ELNS1_3repE0EEENS1_38merge_mergepath_config_static_selectorELNS0_4arch9wavefront6targetE1EEEvSL_,@function
_ZN7rocprim17ROCPRIM_400000_NS6detail17trampoline_kernelINS0_14default_configENS1_38merge_sort_block_merge_config_selectorIxNS0_10empty_typeEEEZZNS1_27merge_sort_block_merge_implIS3_N6thrust23THRUST_200600_302600_NS6detail15normal_iteratorINS9_10device_ptrIxEEEEPS5_jNS1_19radix_merge_compareILb0ELb0ExNS0_19identity_decomposerEEEEE10hipError_tT0_T1_T2_jT3_P12ihipStream_tbPNSt15iterator_traitsISK_E10value_typeEPNSQ_ISL_E10value_typeEPSM_NS1_7vsmem_tEENKUlT_SK_SL_SM_E_clIPxSE_SF_SF_EESJ_SZ_SK_SL_SM_EUlSZ_E0_NS1_11comp_targetILNS1_3genE2ELNS1_11target_archE906ELNS1_3gpuE6ELNS1_3repE0EEENS1_38merge_mergepath_config_static_selectorELNS0_4arch9wavefront6targetE1EEEvSL_: ; @_ZN7rocprim17ROCPRIM_400000_NS6detail17trampoline_kernelINS0_14default_configENS1_38merge_sort_block_merge_config_selectorIxNS0_10empty_typeEEEZZNS1_27merge_sort_block_merge_implIS3_N6thrust23THRUST_200600_302600_NS6detail15normal_iteratorINS9_10device_ptrIxEEEEPS5_jNS1_19radix_merge_compareILb0ELb0ExNS0_19identity_decomposerEEEEE10hipError_tT0_T1_T2_jT3_P12ihipStream_tbPNSt15iterator_traitsISK_E10value_typeEPNSQ_ISL_E10value_typeEPSM_NS1_7vsmem_tEENKUlT_SK_SL_SM_E_clIPxSE_SF_SF_EESJ_SZ_SK_SL_SM_EUlSZ_E0_NS1_11comp_targetILNS1_3genE2ELNS1_11target_archE906ELNS1_3gpuE6ELNS1_3repE0EEENS1_38merge_mergepath_config_static_selectorELNS0_4arch9wavefront6targetE1EEEvSL_
; %bb.0:
	.section	.rodata,"a",@progbits
	.p2align	6, 0x0
	.amdhsa_kernel _ZN7rocprim17ROCPRIM_400000_NS6detail17trampoline_kernelINS0_14default_configENS1_38merge_sort_block_merge_config_selectorIxNS0_10empty_typeEEEZZNS1_27merge_sort_block_merge_implIS3_N6thrust23THRUST_200600_302600_NS6detail15normal_iteratorINS9_10device_ptrIxEEEEPS5_jNS1_19radix_merge_compareILb0ELb0ExNS0_19identity_decomposerEEEEE10hipError_tT0_T1_T2_jT3_P12ihipStream_tbPNSt15iterator_traitsISK_E10value_typeEPNSQ_ISL_E10value_typeEPSM_NS1_7vsmem_tEENKUlT_SK_SL_SM_E_clIPxSE_SF_SF_EESJ_SZ_SK_SL_SM_EUlSZ_E0_NS1_11comp_targetILNS1_3genE2ELNS1_11target_archE906ELNS1_3gpuE6ELNS1_3repE0EEENS1_38merge_mergepath_config_static_selectorELNS0_4arch9wavefront6targetE1EEEvSL_
		.amdhsa_group_segment_fixed_size 0
		.amdhsa_private_segment_fixed_size 0
		.amdhsa_kernarg_size 64
		.amdhsa_user_sgpr_count 2
		.amdhsa_user_sgpr_dispatch_ptr 0
		.amdhsa_user_sgpr_queue_ptr 0
		.amdhsa_user_sgpr_kernarg_segment_ptr 1
		.amdhsa_user_sgpr_dispatch_id 0
		.amdhsa_user_sgpr_kernarg_preload_length 0
		.amdhsa_user_sgpr_kernarg_preload_offset 0
		.amdhsa_user_sgpr_private_segment_size 0
		.amdhsa_uses_dynamic_stack 0
		.amdhsa_enable_private_segment 0
		.amdhsa_system_sgpr_workgroup_id_x 1
		.amdhsa_system_sgpr_workgroup_id_y 0
		.amdhsa_system_sgpr_workgroup_id_z 0
		.amdhsa_system_sgpr_workgroup_info 0
		.amdhsa_system_vgpr_workitem_id 0
		.amdhsa_next_free_vgpr 1
		.amdhsa_next_free_sgpr 0
		.amdhsa_accum_offset 4
		.amdhsa_reserve_vcc 0
		.amdhsa_float_round_mode_32 0
		.amdhsa_float_round_mode_16_64 0
		.amdhsa_float_denorm_mode_32 3
		.amdhsa_float_denorm_mode_16_64 3
		.amdhsa_dx10_clamp 1
		.amdhsa_ieee_mode 1
		.amdhsa_fp16_overflow 0
		.amdhsa_tg_split 0
		.amdhsa_exception_fp_ieee_invalid_op 0
		.amdhsa_exception_fp_denorm_src 0
		.amdhsa_exception_fp_ieee_div_zero 0
		.amdhsa_exception_fp_ieee_overflow 0
		.amdhsa_exception_fp_ieee_underflow 0
		.amdhsa_exception_fp_ieee_inexact 0
		.amdhsa_exception_int_div_zero 0
	.end_amdhsa_kernel
	.section	.text._ZN7rocprim17ROCPRIM_400000_NS6detail17trampoline_kernelINS0_14default_configENS1_38merge_sort_block_merge_config_selectorIxNS0_10empty_typeEEEZZNS1_27merge_sort_block_merge_implIS3_N6thrust23THRUST_200600_302600_NS6detail15normal_iteratorINS9_10device_ptrIxEEEEPS5_jNS1_19radix_merge_compareILb0ELb0ExNS0_19identity_decomposerEEEEE10hipError_tT0_T1_T2_jT3_P12ihipStream_tbPNSt15iterator_traitsISK_E10value_typeEPNSQ_ISL_E10value_typeEPSM_NS1_7vsmem_tEENKUlT_SK_SL_SM_E_clIPxSE_SF_SF_EESJ_SZ_SK_SL_SM_EUlSZ_E0_NS1_11comp_targetILNS1_3genE2ELNS1_11target_archE906ELNS1_3gpuE6ELNS1_3repE0EEENS1_38merge_mergepath_config_static_selectorELNS0_4arch9wavefront6targetE1EEEvSL_,"axG",@progbits,_ZN7rocprim17ROCPRIM_400000_NS6detail17trampoline_kernelINS0_14default_configENS1_38merge_sort_block_merge_config_selectorIxNS0_10empty_typeEEEZZNS1_27merge_sort_block_merge_implIS3_N6thrust23THRUST_200600_302600_NS6detail15normal_iteratorINS9_10device_ptrIxEEEEPS5_jNS1_19radix_merge_compareILb0ELb0ExNS0_19identity_decomposerEEEEE10hipError_tT0_T1_T2_jT3_P12ihipStream_tbPNSt15iterator_traitsISK_E10value_typeEPNSQ_ISL_E10value_typeEPSM_NS1_7vsmem_tEENKUlT_SK_SL_SM_E_clIPxSE_SF_SF_EESJ_SZ_SK_SL_SM_EUlSZ_E0_NS1_11comp_targetILNS1_3genE2ELNS1_11target_archE906ELNS1_3gpuE6ELNS1_3repE0EEENS1_38merge_mergepath_config_static_selectorELNS0_4arch9wavefront6targetE1EEEvSL_,comdat
.Lfunc_end1423:
	.size	_ZN7rocprim17ROCPRIM_400000_NS6detail17trampoline_kernelINS0_14default_configENS1_38merge_sort_block_merge_config_selectorIxNS0_10empty_typeEEEZZNS1_27merge_sort_block_merge_implIS3_N6thrust23THRUST_200600_302600_NS6detail15normal_iteratorINS9_10device_ptrIxEEEEPS5_jNS1_19radix_merge_compareILb0ELb0ExNS0_19identity_decomposerEEEEE10hipError_tT0_T1_T2_jT3_P12ihipStream_tbPNSt15iterator_traitsISK_E10value_typeEPNSQ_ISL_E10value_typeEPSM_NS1_7vsmem_tEENKUlT_SK_SL_SM_E_clIPxSE_SF_SF_EESJ_SZ_SK_SL_SM_EUlSZ_E0_NS1_11comp_targetILNS1_3genE2ELNS1_11target_archE906ELNS1_3gpuE6ELNS1_3repE0EEENS1_38merge_mergepath_config_static_selectorELNS0_4arch9wavefront6targetE1EEEvSL_, .Lfunc_end1423-_ZN7rocprim17ROCPRIM_400000_NS6detail17trampoline_kernelINS0_14default_configENS1_38merge_sort_block_merge_config_selectorIxNS0_10empty_typeEEEZZNS1_27merge_sort_block_merge_implIS3_N6thrust23THRUST_200600_302600_NS6detail15normal_iteratorINS9_10device_ptrIxEEEEPS5_jNS1_19radix_merge_compareILb0ELb0ExNS0_19identity_decomposerEEEEE10hipError_tT0_T1_T2_jT3_P12ihipStream_tbPNSt15iterator_traitsISK_E10value_typeEPNSQ_ISL_E10value_typeEPSM_NS1_7vsmem_tEENKUlT_SK_SL_SM_E_clIPxSE_SF_SF_EESJ_SZ_SK_SL_SM_EUlSZ_E0_NS1_11comp_targetILNS1_3genE2ELNS1_11target_archE906ELNS1_3gpuE6ELNS1_3repE0EEENS1_38merge_mergepath_config_static_selectorELNS0_4arch9wavefront6targetE1EEEvSL_
                                        ; -- End function
	.section	.AMDGPU.csdata,"",@progbits
; Kernel info:
; codeLenInByte = 0
; NumSgprs: 6
; NumVgprs: 0
; NumAgprs: 0
; TotalNumVgprs: 0
; ScratchSize: 0
; MemoryBound: 0
; FloatMode: 240
; IeeeMode: 1
; LDSByteSize: 0 bytes/workgroup (compile time only)
; SGPRBlocks: 0
; VGPRBlocks: 0
; NumSGPRsForWavesPerEU: 6
; NumVGPRsForWavesPerEU: 1
; AccumOffset: 4
; Occupancy: 8
; WaveLimiterHint : 0
; COMPUTE_PGM_RSRC2:SCRATCH_EN: 0
; COMPUTE_PGM_RSRC2:USER_SGPR: 2
; COMPUTE_PGM_RSRC2:TRAP_HANDLER: 0
; COMPUTE_PGM_RSRC2:TGID_X_EN: 1
; COMPUTE_PGM_RSRC2:TGID_Y_EN: 0
; COMPUTE_PGM_RSRC2:TGID_Z_EN: 0
; COMPUTE_PGM_RSRC2:TIDIG_COMP_CNT: 0
; COMPUTE_PGM_RSRC3_GFX90A:ACCUM_OFFSET: 0
; COMPUTE_PGM_RSRC3_GFX90A:TG_SPLIT: 0
	.section	.text._ZN7rocprim17ROCPRIM_400000_NS6detail17trampoline_kernelINS0_14default_configENS1_38merge_sort_block_merge_config_selectorIxNS0_10empty_typeEEEZZNS1_27merge_sort_block_merge_implIS3_N6thrust23THRUST_200600_302600_NS6detail15normal_iteratorINS9_10device_ptrIxEEEEPS5_jNS1_19radix_merge_compareILb0ELb0ExNS0_19identity_decomposerEEEEE10hipError_tT0_T1_T2_jT3_P12ihipStream_tbPNSt15iterator_traitsISK_E10value_typeEPNSQ_ISL_E10value_typeEPSM_NS1_7vsmem_tEENKUlT_SK_SL_SM_E_clIPxSE_SF_SF_EESJ_SZ_SK_SL_SM_EUlSZ_E0_NS1_11comp_targetILNS1_3genE9ELNS1_11target_archE1100ELNS1_3gpuE3ELNS1_3repE0EEENS1_38merge_mergepath_config_static_selectorELNS0_4arch9wavefront6targetE1EEEvSL_,"axG",@progbits,_ZN7rocprim17ROCPRIM_400000_NS6detail17trampoline_kernelINS0_14default_configENS1_38merge_sort_block_merge_config_selectorIxNS0_10empty_typeEEEZZNS1_27merge_sort_block_merge_implIS3_N6thrust23THRUST_200600_302600_NS6detail15normal_iteratorINS9_10device_ptrIxEEEEPS5_jNS1_19radix_merge_compareILb0ELb0ExNS0_19identity_decomposerEEEEE10hipError_tT0_T1_T2_jT3_P12ihipStream_tbPNSt15iterator_traitsISK_E10value_typeEPNSQ_ISL_E10value_typeEPSM_NS1_7vsmem_tEENKUlT_SK_SL_SM_E_clIPxSE_SF_SF_EESJ_SZ_SK_SL_SM_EUlSZ_E0_NS1_11comp_targetILNS1_3genE9ELNS1_11target_archE1100ELNS1_3gpuE3ELNS1_3repE0EEENS1_38merge_mergepath_config_static_selectorELNS0_4arch9wavefront6targetE1EEEvSL_,comdat
	.protected	_ZN7rocprim17ROCPRIM_400000_NS6detail17trampoline_kernelINS0_14default_configENS1_38merge_sort_block_merge_config_selectorIxNS0_10empty_typeEEEZZNS1_27merge_sort_block_merge_implIS3_N6thrust23THRUST_200600_302600_NS6detail15normal_iteratorINS9_10device_ptrIxEEEEPS5_jNS1_19radix_merge_compareILb0ELb0ExNS0_19identity_decomposerEEEEE10hipError_tT0_T1_T2_jT3_P12ihipStream_tbPNSt15iterator_traitsISK_E10value_typeEPNSQ_ISL_E10value_typeEPSM_NS1_7vsmem_tEENKUlT_SK_SL_SM_E_clIPxSE_SF_SF_EESJ_SZ_SK_SL_SM_EUlSZ_E0_NS1_11comp_targetILNS1_3genE9ELNS1_11target_archE1100ELNS1_3gpuE3ELNS1_3repE0EEENS1_38merge_mergepath_config_static_selectorELNS0_4arch9wavefront6targetE1EEEvSL_ ; -- Begin function _ZN7rocprim17ROCPRIM_400000_NS6detail17trampoline_kernelINS0_14default_configENS1_38merge_sort_block_merge_config_selectorIxNS0_10empty_typeEEEZZNS1_27merge_sort_block_merge_implIS3_N6thrust23THRUST_200600_302600_NS6detail15normal_iteratorINS9_10device_ptrIxEEEEPS5_jNS1_19radix_merge_compareILb0ELb0ExNS0_19identity_decomposerEEEEE10hipError_tT0_T1_T2_jT3_P12ihipStream_tbPNSt15iterator_traitsISK_E10value_typeEPNSQ_ISL_E10value_typeEPSM_NS1_7vsmem_tEENKUlT_SK_SL_SM_E_clIPxSE_SF_SF_EESJ_SZ_SK_SL_SM_EUlSZ_E0_NS1_11comp_targetILNS1_3genE9ELNS1_11target_archE1100ELNS1_3gpuE3ELNS1_3repE0EEENS1_38merge_mergepath_config_static_selectorELNS0_4arch9wavefront6targetE1EEEvSL_
	.globl	_ZN7rocprim17ROCPRIM_400000_NS6detail17trampoline_kernelINS0_14default_configENS1_38merge_sort_block_merge_config_selectorIxNS0_10empty_typeEEEZZNS1_27merge_sort_block_merge_implIS3_N6thrust23THRUST_200600_302600_NS6detail15normal_iteratorINS9_10device_ptrIxEEEEPS5_jNS1_19radix_merge_compareILb0ELb0ExNS0_19identity_decomposerEEEEE10hipError_tT0_T1_T2_jT3_P12ihipStream_tbPNSt15iterator_traitsISK_E10value_typeEPNSQ_ISL_E10value_typeEPSM_NS1_7vsmem_tEENKUlT_SK_SL_SM_E_clIPxSE_SF_SF_EESJ_SZ_SK_SL_SM_EUlSZ_E0_NS1_11comp_targetILNS1_3genE9ELNS1_11target_archE1100ELNS1_3gpuE3ELNS1_3repE0EEENS1_38merge_mergepath_config_static_selectorELNS0_4arch9wavefront6targetE1EEEvSL_
	.p2align	8
	.type	_ZN7rocprim17ROCPRIM_400000_NS6detail17trampoline_kernelINS0_14default_configENS1_38merge_sort_block_merge_config_selectorIxNS0_10empty_typeEEEZZNS1_27merge_sort_block_merge_implIS3_N6thrust23THRUST_200600_302600_NS6detail15normal_iteratorINS9_10device_ptrIxEEEEPS5_jNS1_19radix_merge_compareILb0ELb0ExNS0_19identity_decomposerEEEEE10hipError_tT0_T1_T2_jT3_P12ihipStream_tbPNSt15iterator_traitsISK_E10value_typeEPNSQ_ISL_E10value_typeEPSM_NS1_7vsmem_tEENKUlT_SK_SL_SM_E_clIPxSE_SF_SF_EESJ_SZ_SK_SL_SM_EUlSZ_E0_NS1_11comp_targetILNS1_3genE9ELNS1_11target_archE1100ELNS1_3gpuE3ELNS1_3repE0EEENS1_38merge_mergepath_config_static_selectorELNS0_4arch9wavefront6targetE1EEEvSL_,@function
_ZN7rocprim17ROCPRIM_400000_NS6detail17trampoline_kernelINS0_14default_configENS1_38merge_sort_block_merge_config_selectorIxNS0_10empty_typeEEEZZNS1_27merge_sort_block_merge_implIS3_N6thrust23THRUST_200600_302600_NS6detail15normal_iteratorINS9_10device_ptrIxEEEEPS5_jNS1_19radix_merge_compareILb0ELb0ExNS0_19identity_decomposerEEEEE10hipError_tT0_T1_T2_jT3_P12ihipStream_tbPNSt15iterator_traitsISK_E10value_typeEPNSQ_ISL_E10value_typeEPSM_NS1_7vsmem_tEENKUlT_SK_SL_SM_E_clIPxSE_SF_SF_EESJ_SZ_SK_SL_SM_EUlSZ_E0_NS1_11comp_targetILNS1_3genE9ELNS1_11target_archE1100ELNS1_3gpuE3ELNS1_3repE0EEENS1_38merge_mergepath_config_static_selectorELNS0_4arch9wavefront6targetE1EEEvSL_: ; @_ZN7rocprim17ROCPRIM_400000_NS6detail17trampoline_kernelINS0_14default_configENS1_38merge_sort_block_merge_config_selectorIxNS0_10empty_typeEEEZZNS1_27merge_sort_block_merge_implIS3_N6thrust23THRUST_200600_302600_NS6detail15normal_iteratorINS9_10device_ptrIxEEEEPS5_jNS1_19radix_merge_compareILb0ELb0ExNS0_19identity_decomposerEEEEE10hipError_tT0_T1_T2_jT3_P12ihipStream_tbPNSt15iterator_traitsISK_E10value_typeEPNSQ_ISL_E10value_typeEPSM_NS1_7vsmem_tEENKUlT_SK_SL_SM_E_clIPxSE_SF_SF_EESJ_SZ_SK_SL_SM_EUlSZ_E0_NS1_11comp_targetILNS1_3genE9ELNS1_11target_archE1100ELNS1_3gpuE3ELNS1_3repE0EEENS1_38merge_mergepath_config_static_selectorELNS0_4arch9wavefront6targetE1EEEvSL_
; %bb.0:
	.section	.rodata,"a",@progbits
	.p2align	6, 0x0
	.amdhsa_kernel _ZN7rocprim17ROCPRIM_400000_NS6detail17trampoline_kernelINS0_14default_configENS1_38merge_sort_block_merge_config_selectorIxNS0_10empty_typeEEEZZNS1_27merge_sort_block_merge_implIS3_N6thrust23THRUST_200600_302600_NS6detail15normal_iteratorINS9_10device_ptrIxEEEEPS5_jNS1_19radix_merge_compareILb0ELb0ExNS0_19identity_decomposerEEEEE10hipError_tT0_T1_T2_jT3_P12ihipStream_tbPNSt15iterator_traitsISK_E10value_typeEPNSQ_ISL_E10value_typeEPSM_NS1_7vsmem_tEENKUlT_SK_SL_SM_E_clIPxSE_SF_SF_EESJ_SZ_SK_SL_SM_EUlSZ_E0_NS1_11comp_targetILNS1_3genE9ELNS1_11target_archE1100ELNS1_3gpuE3ELNS1_3repE0EEENS1_38merge_mergepath_config_static_selectorELNS0_4arch9wavefront6targetE1EEEvSL_
		.amdhsa_group_segment_fixed_size 0
		.amdhsa_private_segment_fixed_size 0
		.amdhsa_kernarg_size 64
		.amdhsa_user_sgpr_count 2
		.amdhsa_user_sgpr_dispatch_ptr 0
		.amdhsa_user_sgpr_queue_ptr 0
		.amdhsa_user_sgpr_kernarg_segment_ptr 1
		.amdhsa_user_sgpr_dispatch_id 0
		.amdhsa_user_sgpr_kernarg_preload_length 0
		.amdhsa_user_sgpr_kernarg_preload_offset 0
		.amdhsa_user_sgpr_private_segment_size 0
		.amdhsa_uses_dynamic_stack 0
		.amdhsa_enable_private_segment 0
		.amdhsa_system_sgpr_workgroup_id_x 1
		.amdhsa_system_sgpr_workgroup_id_y 0
		.amdhsa_system_sgpr_workgroup_id_z 0
		.amdhsa_system_sgpr_workgroup_info 0
		.amdhsa_system_vgpr_workitem_id 0
		.amdhsa_next_free_vgpr 1
		.amdhsa_next_free_sgpr 0
		.amdhsa_accum_offset 4
		.amdhsa_reserve_vcc 0
		.amdhsa_float_round_mode_32 0
		.amdhsa_float_round_mode_16_64 0
		.amdhsa_float_denorm_mode_32 3
		.amdhsa_float_denorm_mode_16_64 3
		.amdhsa_dx10_clamp 1
		.amdhsa_ieee_mode 1
		.amdhsa_fp16_overflow 0
		.amdhsa_tg_split 0
		.amdhsa_exception_fp_ieee_invalid_op 0
		.amdhsa_exception_fp_denorm_src 0
		.amdhsa_exception_fp_ieee_div_zero 0
		.amdhsa_exception_fp_ieee_overflow 0
		.amdhsa_exception_fp_ieee_underflow 0
		.amdhsa_exception_fp_ieee_inexact 0
		.amdhsa_exception_int_div_zero 0
	.end_amdhsa_kernel
	.section	.text._ZN7rocprim17ROCPRIM_400000_NS6detail17trampoline_kernelINS0_14default_configENS1_38merge_sort_block_merge_config_selectorIxNS0_10empty_typeEEEZZNS1_27merge_sort_block_merge_implIS3_N6thrust23THRUST_200600_302600_NS6detail15normal_iteratorINS9_10device_ptrIxEEEEPS5_jNS1_19radix_merge_compareILb0ELb0ExNS0_19identity_decomposerEEEEE10hipError_tT0_T1_T2_jT3_P12ihipStream_tbPNSt15iterator_traitsISK_E10value_typeEPNSQ_ISL_E10value_typeEPSM_NS1_7vsmem_tEENKUlT_SK_SL_SM_E_clIPxSE_SF_SF_EESJ_SZ_SK_SL_SM_EUlSZ_E0_NS1_11comp_targetILNS1_3genE9ELNS1_11target_archE1100ELNS1_3gpuE3ELNS1_3repE0EEENS1_38merge_mergepath_config_static_selectorELNS0_4arch9wavefront6targetE1EEEvSL_,"axG",@progbits,_ZN7rocprim17ROCPRIM_400000_NS6detail17trampoline_kernelINS0_14default_configENS1_38merge_sort_block_merge_config_selectorIxNS0_10empty_typeEEEZZNS1_27merge_sort_block_merge_implIS3_N6thrust23THRUST_200600_302600_NS6detail15normal_iteratorINS9_10device_ptrIxEEEEPS5_jNS1_19radix_merge_compareILb0ELb0ExNS0_19identity_decomposerEEEEE10hipError_tT0_T1_T2_jT3_P12ihipStream_tbPNSt15iterator_traitsISK_E10value_typeEPNSQ_ISL_E10value_typeEPSM_NS1_7vsmem_tEENKUlT_SK_SL_SM_E_clIPxSE_SF_SF_EESJ_SZ_SK_SL_SM_EUlSZ_E0_NS1_11comp_targetILNS1_3genE9ELNS1_11target_archE1100ELNS1_3gpuE3ELNS1_3repE0EEENS1_38merge_mergepath_config_static_selectorELNS0_4arch9wavefront6targetE1EEEvSL_,comdat
.Lfunc_end1424:
	.size	_ZN7rocprim17ROCPRIM_400000_NS6detail17trampoline_kernelINS0_14default_configENS1_38merge_sort_block_merge_config_selectorIxNS0_10empty_typeEEEZZNS1_27merge_sort_block_merge_implIS3_N6thrust23THRUST_200600_302600_NS6detail15normal_iteratorINS9_10device_ptrIxEEEEPS5_jNS1_19radix_merge_compareILb0ELb0ExNS0_19identity_decomposerEEEEE10hipError_tT0_T1_T2_jT3_P12ihipStream_tbPNSt15iterator_traitsISK_E10value_typeEPNSQ_ISL_E10value_typeEPSM_NS1_7vsmem_tEENKUlT_SK_SL_SM_E_clIPxSE_SF_SF_EESJ_SZ_SK_SL_SM_EUlSZ_E0_NS1_11comp_targetILNS1_3genE9ELNS1_11target_archE1100ELNS1_3gpuE3ELNS1_3repE0EEENS1_38merge_mergepath_config_static_selectorELNS0_4arch9wavefront6targetE1EEEvSL_, .Lfunc_end1424-_ZN7rocprim17ROCPRIM_400000_NS6detail17trampoline_kernelINS0_14default_configENS1_38merge_sort_block_merge_config_selectorIxNS0_10empty_typeEEEZZNS1_27merge_sort_block_merge_implIS3_N6thrust23THRUST_200600_302600_NS6detail15normal_iteratorINS9_10device_ptrIxEEEEPS5_jNS1_19radix_merge_compareILb0ELb0ExNS0_19identity_decomposerEEEEE10hipError_tT0_T1_T2_jT3_P12ihipStream_tbPNSt15iterator_traitsISK_E10value_typeEPNSQ_ISL_E10value_typeEPSM_NS1_7vsmem_tEENKUlT_SK_SL_SM_E_clIPxSE_SF_SF_EESJ_SZ_SK_SL_SM_EUlSZ_E0_NS1_11comp_targetILNS1_3genE9ELNS1_11target_archE1100ELNS1_3gpuE3ELNS1_3repE0EEENS1_38merge_mergepath_config_static_selectorELNS0_4arch9wavefront6targetE1EEEvSL_
                                        ; -- End function
	.section	.AMDGPU.csdata,"",@progbits
; Kernel info:
; codeLenInByte = 0
; NumSgprs: 6
; NumVgprs: 0
; NumAgprs: 0
; TotalNumVgprs: 0
; ScratchSize: 0
; MemoryBound: 0
; FloatMode: 240
; IeeeMode: 1
; LDSByteSize: 0 bytes/workgroup (compile time only)
; SGPRBlocks: 0
; VGPRBlocks: 0
; NumSGPRsForWavesPerEU: 6
; NumVGPRsForWavesPerEU: 1
; AccumOffset: 4
; Occupancy: 8
; WaveLimiterHint : 0
; COMPUTE_PGM_RSRC2:SCRATCH_EN: 0
; COMPUTE_PGM_RSRC2:USER_SGPR: 2
; COMPUTE_PGM_RSRC2:TRAP_HANDLER: 0
; COMPUTE_PGM_RSRC2:TGID_X_EN: 1
; COMPUTE_PGM_RSRC2:TGID_Y_EN: 0
; COMPUTE_PGM_RSRC2:TGID_Z_EN: 0
; COMPUTE_PGM_RSRC2:TIDIG_COMP_CNT: 0
; COMPUTE_PGM_RSRC3_GFX90A:ACCUM_OFFSET: 0
; COMPUTE_PGM_RSRC3_GFX90A:TG_SPLIT: 0
	.section	.text._ZN7rocprim17ROCPRIM_400000_NS6detail17trampoline_kernelINS0_14default_configENS1_38merge_sort_block_merge_config_selectorIxNS0_10empty_typeEEEZZNS1_27merge_sort_block_merge_implIS3_N6thrust23THRUST_200600_302600_NS6detail15normal_iteratorINS9_10device_ptrIxEEEEPS5_jNS1_19radix_merge_compareILb0ELb0ExNS0_19identity_decomposerEEEEE10hipError_tT0_T1_T2_jT3_P12ihipStream_tbPNSt15iterator_traitsISK_E10value_typeEPNSQ_ISL_E10value_typeEPSM_NS1_7vsmem_tEENKUlT_SK_SL_SM_E_clIPxSE_SF_SF_EESJ_SZ_SK_SL_SM_EUlSZ_E0_NS1_11comp_targetILNS1_3genE8ELNS1_11target_archE1030ELNS1_3gpuE2ELNS1_3repE0EEENS1_38merge_mergepath_config_static_selectorELNS0_4arch9wavefront6targetE1EEEvSL_,"axG",@progbits,_ZN7rocprim17ROCPRIM_400000_NS6detail17trampoline_kernelINS0_14default_configENS1_38merge_sort_block_merge_config_selectorIxNS0_10empty_typeEEEZZNS1_27merge_sort_block_merge_implIS3_N6thrust23THRUST_200600_302600_NS6detail15normal_iteratorINS9_10device_ptrIxEEEEPS5_jNS1_19radix_merge_compareILb0ELb0ExNS0_19identity_decomposerEEEEE10hipError_tT0_T1_T2_jT3_P12ihipStream_tbPNSt15iterator_traitsISK_E10value_typeEPNSQ_ISL_E10value_typeEPSM_NS1_7vsmem_tEENKUlT_SK_SL_SM_E_clIPxSE_SF_SF_EESJ_SZ_SK_SL_SM_EUlSZ_E0_NS1_11comp_targetILNS1_3genE8ELNS1_11target_archE1030ELNS1_3gpuE2ELNS1_3repE0EEENS1_38merge_mergepath_config_static_selectorELNS0_4arch9wavefront6targetE1EEEvSL_,comdat
	.protected	_ZN7rocprim17ROCPRIM_400000_NS6detail17trampoline_kernelINS0_14default_configENS1_38merge_sort_block_merge_config_selectorIxNS0_10empty_typeEEEZZNS1_27merge_sort_block_merge_implIS3_N6thrust23THRUST_200600_302600_NS6detail15normal_iteratorINS9_10device_ptrIxEEEEPS5_jNS1_19radix_merge_compareILb0ELb0ExNS0_19identity_decomposerEEEEE10hipError_tT0_T1_T2_jT3_P12ihipStream_tbPNSt15iterator_traitsISK_E10value_typeEPNSQ_ISL_E10value_typeEPSM_NS1_7vsmem_tEENKUlT_SK_SL_SM_E_clIPxSE_SF_SF_EESJ_SZ_SK_SL_SM_EUlSZ_E0_NS1_11comp_targetILNS1_3genE8ELNS1_11target_archE1030ELNS1_3gpuE2ELNS1_3repE0EEENS1_38merge_mergepath_config_static_selectorELNS0_4arch9wavefront6targetE1EEEvSL_ ; -- Begin function _ZN7rocprim17ROCPRIM_400000_NS6detail17trampoline_kernelINS0_14default_configENS1_38merge_sort_block_merge_config_selectorIxNS0_10empty_typeEEEZZNS1_27merge_sort_block_merge_implIS3_N6thrust23THRUST_200600_302600_NS6detail15normal_iteratorINS9_10device_ptrIxEEEEPS5_jNS1_19radix_merge_compareILb0ELb0ExNS0_19identity_decomposerEEEEE10hipError_tT0_T1_T2_jT3_P12ihipStream_tbPNSt15iterator_traitsISK_E10value_typeEPNSQ_ISL_E10value_typeEPSM_NS1_7vsmem_tEENKUlT_SK_SL_SM_E_clIPxSE_SF_SF_EESJ_SZ_SK_SL_SM_EUlSZ_E0_NS1_11comp_targetILNS1_3genE8ELNS1_11target_archE1030ELNS1_3gpuE2ELNS1_3repE0EEENS1_38merge_mergepath_config_static_selectorELNS0_4arch9wavefront6targetE1EEEvSL_
	.globl	_ZN7rocprim17ROCPRIM_400000_NS6detail17trampoline_kernelINS0_14default_configENS1_38merge_sort_block_merge_config_selectorIxNS0_10empty_typeEEEZZNS1_27merge_sort_block_merge_implIS3_N6thrust23THRUST_200600_302600_NS6detail15normal_iteratorINS9_10device_ptrIxEEEEPS5_jNS1_19radix_merge_compareILb0ELb0ExNS0_19identity_decomposerEEEEE10hipError_tT0_T1_T2_jT3_P12ihipStream_tbPNSt15iterator_traitsISK_E10value_typeEPNSQ_ISL_E10value_typeEPSM_NS1_7vsmem_tEENKUlT_SK_SL_SM_E_clIPxSE_SF_SF_EESJ_SZ_SK_SL_SM_EUlSZ_E0_NS1_11comp_targetILNS1_3genE8ELNS1_11target_archE1030ELNS1_3gpuE2ELNS1_3repE0EEENS1_38merge_mergepath_config_static_selectorELNS0_4arch9wavefront6targetE1EEEvSL_
	.p2align	8
	.type	_ZN7rocprim17ROCPRIM_400000_NS6detail17trampoline_kernelINS0_14default_configENS1_38merge_sort_block_merge_config_selectorIxNS0_10empty_typeEEEZZNS1_27merge_sort_block_merge_implIS3_N6thrust23THRUST_200600_302600_NS6detail15normal_iteratorINS9_10device_ptrIxEEEEPS5_jNS1_19radix_merge_compareILb0ELb0ExNS0_19identity_decomposerEEEEE10hipError_tT0_T1_T2_jT3_P12ihipStream_tbPNSt15iterator_traitsISK_E10value_typeEPNSQ_ISL_E10value_typeEPSM_NS1_7vsmem_tEENKUlT_SK_SL_SM_E_clIPxSE_SF_SF_EESJ_SZ_SK_SL_SM_EUlSZ_E0_NS1_11comp_targetILNS1_3genE8ELNS1_11target_archE1030ELNS1_3gpuE2ELNS1_3repE0EEENS1_38merge_mergepath_config_static_selectorELNS0_4arch9wavefront6targetE1EEEvSL_,@function
_ZN7rocprim17ROCPRIM_400000_NS6detail17trampoline_kernelINS0_14default_configENS1_38merge_sort_block_merge_config_selectorIxNS0_10empty_typeEEEZZNS1_27merge_sort_block_merge_implIS3_N6thrust23THRUST_200600_302600_NS6detail15normal_iteratorINS9_10device_ptrIxEEEEPS5_jNS1_19radix_merge_compareILb0ELb0ExNS0_19identity_decomposerEEEEE10hipError_tT0_T1_T2_jT3_P12ihipStream_tbPNSt15iterator_traitsISK_E10value_typeEPNSQ_ISL_E10value_typeEPSM_NS1_7vsmem_tEENKUlT_SK_SL_SM_E_clIPxSE_SF_SF_EESJ_SZ_SK_SL_SM_EUlSZ_E0_NS1_11comp_targetILNS1_3genE8ELNS1_11target_archE1030ELNS1_3gpuE2ELNS1_3repE0EEENS1_38merge_mergepath_config_static_selectorELNS0_4arch9wavefront6targetE1EEEvSL_: ; @_ZN7rocprim17ROCPRIM_400000_NS6detail17trampoline_kernelINS0_14default_configENS1_38merge_sort_block_merge_config_selectorIxNS0_10empty_typeEEEZZNS1_27merge_sort_block_merge_implIS3_N6thrust23THRUST_200600_302600_NS6detail15normal_iteratorINS9_10device_ptrIxEEEEPS5_jNS1_19radix_merge_compareILb0ELb0ExNS0_19identity_decomposerEEEEE10hipError_tT0_T1_T2_jT3_P12ihipStream_tbPNSt15iterator_traitsISK_E10value_typeEPNSQ_ISL_E10value_typeEPSM_NS1_7vsmem_tEENKUlT_SK_SL_SM_E_clIPxSE_SF_SF_EESJ_SZ_SK_SL_SM_EUlSZ_E0_NS1_11comp_targetILNS1_3genE8ELNS1_11target_archE1030ELNS1_3gpuE2ELNS1_3repE0EEENS1_38merge_mergepath_config_static_selectorELNS0_4arch9wavefront6targetE1EEEvSL_
; %bb.0:
	.section	.rodata,"a",@progbits
	.p2align	6, 0x0
	.amdhsa_kernel _ZN7rocprim17ROCPRIM_400000_NS6detail17trampoline_kernelINS0_14default_configENS1_38merge_sort_block_merge_config_selectorIxNS0_10empty_typeEEEZZNS1_27merge_sort_block_merge_implIS3_N6thrust23THRUST_200600_302600_NS6detail15normal_iteratorINS9_10device_ptrIxEEEEPS5_jNS1_19radix_merge_compareILb0ELb0ExNS0_19identity_decomposerEEEEE10hipError_tT0_T1_T2_jT3_P12ihipStream_tbPNSt15iterator_traitsISK_E10value_typeEPNSQ_ISL_E10value_typeEPSM_NS1_7vsmem_tEENKUlT_SK_SL_SM_E_clIPxSE_SF_SF_EESJ_SZ_SK_SL_SM_EUlSZ_E0_NS1_11comp_targetILNS1_3genE8ELNS1_11target_archE1030ELNS1_3gpuE2ELNS1_3repE0EEENS1_38merge_mergepath_config_static_selectorELNS0_4arch9wavefront6targetE1EEEvSL_
		.amdhsa_group_segment_fixed_size 0
		.amdhsa_private_segment_fixed_size 0
		.amdhsa_kernarg_size 64
		.amdhsa_user_sgpr_count 2
		.amdhsa_user_sgpr_dispatch_ptr 0
		.amdhsa_user_sgpr_queue_ptr 0
		.amdhsa_user_sgpr_kernarg_segment_ptr 1
		.amdhsa_user_sgpr_dispatch_id 0
		.amdhsa_user_sgpr_kernarg_preload_length 0
		.amdhsa_user_sgpr_kernarg_preload_offset 0
		.amdhsa_user_sgpr_private_segment_size 0
		.amdhsa_uses_dynamic_stack 0
		.amdhsa_enable_private_segment 0
		.amdhsa_system_sgpr_workgroup_id_x 1
		.amdhsa_system_sgpr_workgroup_id_y 0
		.amdhsa_system_sgpr_workgroup_id_z 0
		.amdhsa_system_sgpr_workgroup_info 0
		.amdhsa_system_vgpr_workitem_id 0
		.amdhsa_next_free_vgpr 1
		.amdhsa_next_free_sgpr 0
		.amdhsa_accum_offset 4
		.amdhsa_reserve_vcc 0
		.amdhsa_float_round_mode_32 0
		.amdhsa_float_round_mode_16_64 0
		.amdhsa_float_denorm_mode_32 3
		.amdhsa_float_denorm_mode_16_64 3
		.amdhsa_dx10_clamp 1
		.amdhsa_ieee_mode 1
		.amdhsa_fp16_overflow 0
		.amdhsa_tg_split 0
		.amdhsa_exception_fp_ieee_invalid_op 0
		.amdhsa_exception_fp_denorm_src 0
		.amdhsa_exception_fp_ieee_div_zero 0
		.amdhsa_exception_fp_ieee_overflow 0
		.amdhsa_exception_fp_ieee_underflow 0
		.amdhsa_exception_fp_ieee_inexact 0
		.amdhsa_exception_int_div_zero 0
	.end_amdhsa_kernel
	.section	.text._ZN7rocprim17ROCPRIM_400000_NS6detail17trampoline_kernelINS0_14default_configENS1_38merge_sort_block_merge_config_selectorIxNS0_10empty_typeEEEZZNS1_27merge_sort_block_merge_implIS3_N6thrust23THRUST_200600_302600_NS6detail15normal_iteratorINS9_10device_ptrIxEEEEPS5_jNS1_19radix_merge_compareILb0ELb0ExNS0_19identity_decomposerEEEEE10hipError_tT0_T1_T2_jT3_P12ihipStream_tbPNSt15iterator_traitsISK_E10value_typeEPNSQ_ISL_E10value_typeEPSM_NS1_7vsmem_tEENKUlT_SK_SL_SM_E_clIPxSE_SF_SF_EESJ_SZ_SK_SL_SM_EUlSZ_E0_NS1_11comp_targetILNS1_3genE8ELNS1_11target_archE1030ELNS1_3gpuE2ELNS1_3repE0EEENS1_38merge_mergepath_config_static_selectorELNS0_4arch9wavefront6targetE1EEEvSL_,"axG",@progbits,_ZN7rocprim17ROCPRIM_400000_NS6detail17trampoline_kernelINS0_14default_configENS1_38merge_sort_block_merge_config_selectorIxNS0_10empty_typeEEEZZNS1_27merge_sort_block_merge_implIS3_N6thrust23THRUST_200600_302600_NS6detail15normal_iteratorINS9_10device_ptrIxEEEEPS5_jNS1_19radix_merge_compareILb0ELb0ExNS0_19identity_decomposerEEEEE10hipError_tT0_T1_T2_jT3_P12ihipStream_tbPNSt15iterator_traitsISK_E10value_typeEPNSQ_ISL_E10value_typeEPSM_NS1_7vsmem_tEENKUlT_SK_SL_SM_E_clIPxSE_SF_SF_EESJ_SZ_SK_SL_SM_EUlSZ_E0_NS1_11comp_targetILNS1_3genE8ELNS1_11target_archE1030ELNS1_3gpuE2ELNS1_3repE0EEENS1_38merge_mergepath_config_static_selectorELNS0_4arch9wavefront6targetE1EEEvSL_,comdat
.Lfunc_end1425:
	.size	_ZN7rocprim17ROCPRIM_400000_NS6detail17trampoline_kernelINS0_14default_configENS1_38merge_sort_block_merge_config_selectorIxNS0_10empty_typeEEEZZNS1_27merge_sort_block_merge_implIS3_N6thrust23THRUST_200600_302600_NS6detail15normal_iteratorINS9_10device_ptrIxEEEEPS5_jNS1_19radix_merge_compareILb0ELb0ExNS0_19identity_decomposerEEEEE10hipError_tT0_T1_T2_jT3_P12ihipStream_tbPNSt15iterator_traitsISK_E10value_typeEPNSQ_ISL_E10value_typeEPSM_NS1_7vsmem_tEENKUlT_SK_SL_SM_E_clIPxSE_SF_SF_EESJ_SZ_SK_SL_SM_EUlSZ_E0_NS1_11comp_targetILNS1_3genE8ELNS1_11target_archE1030ELNS1_3gpuE2ELNS1_3repE0EEENS1_38merge_mergepath_config_static_selectorELNS0_4arch9wavefront6targetE1EEEvSL_, .Lfunc_end1425-_ZN7rocprim17ROCPRIM_400000_NS6detail17trampoline_kernelINS0_14default_configENS1_38merge_sort_block_merge_config_selectorIxNS0_10empty_typeEEEZZNS1_27merge_sort_block_merge_implIS3_N6thrust23THRUST_200600_302600_NS6detail15normal_iteratorINS9_10device_ptrIxEEEEPS5_jNS1_19radix_merge_compareILb0ELb0ExNS0_19identity_decomposerEEEEE10hipError_tT0_T1_T2_jT3_P12ihipStream_tbPNSt15iterator_traitsISK_E10value_typeEPNSQ_ISL_E10value_typeEPSM_NS1_7vsmem_tEENKUlT_SK_SL_SM_E_clIPxSE_SF_SF_EESJ_SZ_SK_SL_SM_EUlSZ_E0_NS1_11comp_targetILNS1_3genE8ELNS1_11target_archE1030ELNS1_3gpuE2ELNS1_3repE0EEENS1_38merge_mergepath_config_static_selectorELNS0_4arch9wavefront6targetE1EEEvSL_
                                        ; -- End function
	.section	.AMDGPU.csdata,"",@progbits
; Kernel info:
; codeLenInByte = 0
; NumSgprs: 6
; NumVgprs: 0
; NumAgprs: 0
; TotalNumVgprs: 0
; ScratchSize: 0
; MemoryBound: 0
; FloatMode: 240
; IeeeMode: 1
; LDSByteSize: 0 bytes/workgroup (compile time only)
; SGPRBlocks: 0
; VGPRBlocks: 0
; NumSGPRsForWavesPerEU: 6
; NumVGPRsForWavesPerEU: 1
; AccumOffset: 4
; Occupancy: 8
; WaveLimiterHint : 0
; COMPUTE_PGM_RSRC2:SCRATCH_EN: 0
; COMPUTE_PGM_RSRC2:USER_SGPR: 2
; COMPUTE_PGM_RSRC2:TRAP_HANDLER: 0
; COMPUTE_PGM_RSRC2:TGID_X_EN: 1
; COMPUTE_PGM_RSRC2:TGID_Y_EN: 0
; COMPUTE_PGM_RSRC2:TGID_Z_EN: 0
; COMPUTE_PGM_RSRC2:TIDIG_COMP_CNT: 0
; COMPUTE_PGM_RSRC3_GFX90A:ACCUM_OFFSET: 0
; COMPUTE_PGM_RSRC3_GFX90A:TG_SPLIT: 0
	.section	.text._ZN7rocprim17ROCPRIM_400000_NS6detail17trampoline_kernelINS0_14default_configENS1_38merge_sort_block_merge_config_selectorIxNS0_10empty_typeEEEZZNS1_27merge_sort_block_merge_implIS3_N6thrust23THRUST_200600_302600_NS6detail15normal_iteratorINS9_10device_ptrIxEEEEPS5_jNS1_19radix_merge_compareILb0ELb0ExNS0_19identity_decomposerEEEEE10hipError_tT0_T1_T2_jT3_P12ihipStream_tbPNSt15iterator_traitsISK_E10value_typeEPNSQ_ISL_E10value_typeEPSM_NS1_7vsmem_tEENKUlT_SK_SL_SM_E_clIPxSE_SF_SF_EESJ_SZ_SK_SL_SM_EUlSZ_E1_NS1_11comp_targetILNS1_3genE0ELNS1_11target_archE4294967295ELNS1_3gpuE0ELNS1_3repE0EEENS1_36merge_oddeven_config_static_selectorELNS0_4arch9wavefront6targetE1EEEvSL_,"axG",@progbits,_ZN7rocprim17ROCPRIM_400000_NS6detail17trampoline_kernelINS0_14default_configENS1_38merge_sort_block_merge_config_selectorIxNS0_10empty_typeEEEZZNS1_27merge_sort_block_merge_implIS3_N6thrust23THRUST_200600_302600_NS6detail15normal_iteratorINS9_10device_ptrIxEEEEPS5_jNS1_19radix_merge_compareILb0ELb0ExNS0_19identity_decomposerEEEEE10hipError_tT0_T1_T2_jT3_P12ihipStream_tbPNSt15iterator_traitsISK_E10value_typeEPNSQ_ISL_E10value_typeEPSM_NS1_7vsmem_tEENKUlT_SK_SL_SM_E_clIPxSE_SF_SF_EESJ_SZ_SK_SL_SM_EUlSZ_E1_NS1_11comp_targetILNS1_3genE0ELNS1_11target_archE4294967295ELNS1_3gpuE0ELNS1_3repE0EEENS1_36merge_oddeven_config_static_selectorELNS0_4arch9wavefront6targetE1EEEvSL_,comdat
	.protected	_ZN7rocprim17ROCPRIM_400000_NS6detail17trampoline_kernelINS0_14default_configENS1_38merge_sort_block_merge_config_selectorIxNS0_10empty_typeEEEZZNS1_27merge_sort_block_merge_implIS3_N6thrust23THRUST_200600_302600_NS6detail15normal_iteratorINS9_10device_ptrIxEEEEPS5_jNS1_19radix_merge_compareILb0ELb0ExNS0_19identity_decomposerEEEEE10hipError_tT0_T1_T2_jT3_P12ihipStream_tbPNSt15iterator_traitsISK_E10value_typeEPNSQ_ISL_E10value_typeEPSM_NS1_7vsmem_tEENKUlT_SK_SL_SM_E_clIPxSE_SF_SF_EESJ_SZ_SK_SL_SM_EUlSZ_E1_NS1_11comp_targetILNS1_3genE0ELNS1_11target_archE4294967295ELNS1_3gpuE0ELNS1_3repE0EEENS1_36merge_oddeven_config_static_selectorELNS0_4arch9wavefront6targetE1EEEvSL_ ; -- Begin function _ZN7rocprim17ROCPRIM_400000_NS6detail17trampoline_kernelINS0_14default_configENS1_38merge_sort_block_merge_config_selectorIxNS0_10empty_typeEEEZZNS1_27merge_sort_block_merge_implIS3_N6thrust23THRUST_200600_302600_NS6detail15normal_iteratorINS9_10device_ptrIxEEEEPS5_jNS1_19radix_merge_compareILb0ELb0ExNS0_19identity_decomposerEEEEE10hipError_tT0_T1_T2_jT3_P12ihipStream_tbPNSt15iterator_traitsISK_E10value_typeEPNSQ_ISL_E10value_typeEPSM_NS1_7vsmem_tEENKUlT_SK_SL_SM_E_clIPxSE_SF_SF_EESJ_SZ_SK_SL_SM_EUlSZ_E1_NS1_11comp_targetILNS1_3genE0ELNS1_11target_archE4294967295ELNS1_3gpuE0ELNS1_3repE0EEENS1_36merge_oddeven_config_static_selectorELNS0_4arch9wavefront6targetE1EEEvSL_
	.globl	_ZN7rocprim17ROCPRIM_400000_NS6detail17trampoline_kernelINS0_14default_configENS1_38merge_sort_block_merge_config_selectorIxNS0_10empty_typeEEEZZNS1_27merge_sort_block_merge_implIS3_N6thrust23THRUST_200600_302600_NS6detail15normal_iteratorINS9_10device_ptrIxEEEEPS5_jNS1_19radix_merge_compareILb0ELb0ExNS0_19identity_decomposerEEEEE10hipError_tT0_T1_T2_jT3_P12ihipStream_tbPNSt15iterator_traitsISK_E10value_typeEPNSQ_ISL_E10value_typeEPSM_NS1_7vsmem_tEENKUlT_SK_SL_SM_E_clIPxSE_SF_SF_EESJ_SZ_SK_SL_SM_EUlSZ_E1_NS1_11comp_targetILNS1_3genE0ELNS1_11target_archE4294967295ELNS1_3gpuE0ELNS1_3repE0EEENS1_36merge_oddeven_config_static_selectorELNS0_4arch9wavefront6targetE1EEEvSL_
	.p2align	8
	.type	_ZN7rocprim17ROCPRIM_400000_NS6detail17trampoline_kernelINS0_14default_configENS1_38merge_sort_block_merge_config_selectorIxNS0_10empty_typeEEEZZNS1_27merge_sort_block_merge_implIS3_N6thrust23THRUST_200600_302600_NS6detail15normal_iteratorINS9_10device_ptrIxEEEEPS5_jNS1_19radix_merge_compareILb0ELb0ExNS0_19identity_decomposerEEEEE10hipError_tT0_T1_T2_jT3_P12ihipStream_tbPNSt15iterator_traitsISK_E10value_typeEPNSQ_ISL_E10value_typeEPSM_NS1_7vsmem_tEENKUlT_SK_SL_SM_E_clIPxSE_SF_SF_EESJ_SZ_SK_SL_SM_EUlSZ_E1_NS1_11comp_targetILNS1_3genE0ELNS1_11target_archE4294967295ELNS1_3gpuE0ELNS1_3repE0EEENS1_36merge_oddeven_config_static_selectorELNS0_4arch9wavefront6targetE1EEEvSL_,@function
_ZN7rocprim17ROCPRIM_400000_NS6detail17trampoline_kernelINS0_14default_configENS1_38merge_sort_block_merge_config_selectorIxNS0_10empty_typeEEEZZNS1_27merge_sort_block_merge_implIS3_N6thrust23THRUST_200600_302600_NS6detail15normal_iteratorINS9_10device_ptrIxEEEEPS5_jNS1_19radix_merge_compareILb0ELb0ExNS0_19identity_decomposerEEEEE10hipError_tT0_T1_T2_jT3_P12ihipStream_tbPNSt15iterator_traitsISK_E10value_typeEPNSQ_ISL_E10value_typeEPSM_NS1_7vsmem_tEENKUlT_SK_SL_SM_E_clIPxSE_SF_SF_EESJ_SZ_SK_SL_SM_EUlSZ_E1_NS1_11comp_targetILNS1_3genE0ELNS1_11target_archE4294967295ELNS1_3gpuE0ELNS1_3repE0EEENS1_36merge_oddeven_config_static_selectorELNS0_4arch9wavefront6targetE1EEEvSL_: ; @_ZN7rocprim17ROCPRIM_400000_NS6detail17trampoline_kernelINS0_14default_configENS1_38merge_sort_block_merge_config_selectorIxNS0_10empty_typeEEEZZNS1_27merge_sort_block_merge_implIS3_N6thrust23THRUST_200600_302600_NS6detail15normal_iteratorINS9_10device_ptrIxEEEEPS5_jNS1_19radix_merge_compareILb0ELb0ExNS0_19identity_decomposerEEEEE10hipError_tT0_T1_T2_jT3_P12ihipStream_tbPNSt15iterator_traitsISK_E10value_typeEPNSQ_ISL_E10value_typeEPSM_NS1_7vsmem_tEENKUlT_SK_SL_SM_E_clIPxSE_SF_SF_EESJ_SZ_SK_SL_SM_EUlSZ_E1_NS1_11comp_targetILNS1_3genE0ELNS1_11target_archE4294967295ELNS1_3gpuE0ELNS1_3repE0EEENS1_36merge_oddeven_config_static_selectorELNS0_4arch9wavefront6targetE1EEEvSL_
; %bb.0:
	.section	.rodata,"a",@progbits
	.p2align	6, 0x0
	.amdhsa_kernel _ZN7rocprim17ROCPRIM_400000_NS6detail17trampoline_kernelINS0_14default_configENS1_38merge_sort_block_merge_config_selectorIxNS0_10empty_typeEEEZZNS1_27merge_sort_block_merge_implIS3_N6thrust23THRUST_200600_302600_NS6detail15normal_iteratorINS9_10device_ptrIxEEEEPS5_jNS1_19radix_merge_compareILb0ELb0ExNS0_19identity_decomposerEEEEE10hipError_tT0_T1_T2_jT3_P12ihipStream_tbPNSt15iterator_traitsISK_E10value_typeEPNSQ_ISL_E10value_typeEPSM_NS1_7vsmem_tEENKUlT_SK_SL_SM_E_clIPxSE_SF_SF_EESJ_SZ_SK_SL_SM_EUlSZ_E1_NS1_11comp_targetILNS1_3genE0ELNS1_11target_archE4294967295ELNS1_3gpuE0ELNS1_3repE0EEENS1_36merge_oddeven_config_static_selectorELNS0_4arch9wavefront6targetE1EEEvSL_
		.amdhsa_group_segment_fixed_size 0
		.amdhsa_private_segment_fixed_size 0
		.amdhsa_kernarg_size 48
		.amdhsa_user_sgpr_count 2
		.amdhsa_user_sgpr_dispatch_ptr 0
		.amdhsa_user_sgpr_queue_ptr 0
		.amdhsa_user_sgpr_kernarg_segment_ptr 1
		.amdhsa_user_sgpr_dispatch_id 0
		.amdhsa_user_sgpr_kernarg_preload_length 0
		.amdhsa_user_sgpr_kernarg_preload_offset 0
		.amdhsa_user_sgpr_private_segment_size 0
		.amdhsa_uses_dynamic_stack 0
		.amdhsa_enable_private_segment 0
		.amdhsa_system_sgpr_workgroup_id_x 1
		.amdhsa_system_sgpr_workgroup_id_y 0
		.amdhsa_system_sgpr_workgroup_id_z 0
		.amdhsa_system_sgpr_workgroup_info 0
		.amdhsa_system_vgpr_workitem_id 0
		.amdhsa_next_free_vgpr 1
		.amdhsa_next_free_sgpr 0
		.amdhsa_accum_offset 4
		.amdhsa_reserve_vcc 0
		.amdhsa_float_round_mode_32 0
		.amdhsa_float_round_mode_16_64 0
		.amdhsa_float_denorm_mode_32 3
		.amdhsa_float_denorm_mode_16_64 3
		.amdhsa_dx10_clamp 1
		.amdhsa_ieee_mode 1
		.amdhsa_fp16_overflow 0
		.amdhsa_tg_split 0
		.amdhsa_exception_fp_ieee_invalid_op 0
		.amdhsa_exception_fp_denorm_src 0
		.amdhsa_exception_fp_ieee_div_zero 0
		.amdhsa_exception_fp_ieee_overflow 0
		.amdhsa_exception_fp_ieee_underflow 0
		.amdhsa_exception_fp_ieee_inexact 0
		.amdhsa_exception_int_div_zero 0
	.end_amdhsa_kernel
	.section	.text._ZN7rocprim17ROCPRIM_400000_NS6detail17trampoline_kernelINS0_14default_configENS1_38merge_sort_block_merge_config_selectorIxNS0_10empty_typeEEEZZNS1_27merge_sort_block_merge_implIS3_N6thrust23THRUST_200600_302600_NS6detail15normal_iteratorINS9_10device_ptrIxEEEEPS5_jNS1_19radix_merge_compareILb0ELb0ExNS0_19identity_decomposerEEEEE10hipError_tT0_T1_T2_jT3_P12ihipStream_tbPNSt15iterator_traitsISK_E10value_typeEPNSQ_ISL_E10value_typeEPSM_NS1_7vsmem_tEENKUlT_SK_SL_SM_E_clIPxSE_SF_SF_EESJ_SZ_SK_SL_SM_EUlSZ_E1_NS1_11comp_targetILNS1_3genE0ELNS1_11target_archE4294967295ELNS1_3gpuE0ELNS1_3repE0EEENS1_36merge_oddeven_config_static_selectorELNS0_4arch9wavefront6targetE1EEEvSL_,"axG",@progbits,_ZN7rocprim17ROCPRIM_400000_NS6detail17trampoline_kernelINS0_14default_configENS1_38merge_sort_block_merge_config_selectorIxNS0_10empty_typeEEEZZNS1_27merge_sort_block_merge_implIS3_N6thrust23THRUST_200600_302600_NS6detail15normal_iteratorINS9_10device_ptrIxEEEEPS5_jNS1_19radix_merge_compareILb0ELb0ExNS0_19identity_decomposerEEEEE10hipError_tT0_T1_T2_jT3_P12ihipStream_tbPNSt15iterator_traitsISK_E10value_typeEPNSQ_ISL_E10value_typeEPSM_NS1_7vsmem_tEENKUlT_SK_SL_SM_E_clIPxSE_SF_SF_EESJ_SZ_SK_SL_SM_EUlSZ_E1_NS1_11comp_targetILNS1_3genE0ELNS1_11target_archE4294967295ELNS1_3gpuE0ELNS1_3repE0EEENS1_36merge_oddeven_config_static_selectorELNS0_4arch9wavefront6targetE1EEEvSL_,comdat
.Lfunc_end1426:
	.size	_ZN7rocprim17ROCPRIM_400000_NS6detail17trampoline_kernelINS0_14default_configENS1_38merge_sort_block_merge_config_selectorIxNS0_10empty_typeEEEZZNS1_27merge_sort_block_merge_implIS3_N6thrust23THRUST_200600_302600_NS6detail15normal_iteratorINS9_10device_ptrIxEEEEPS5_jNS1_19radix_merge_compareILb0ELb0ExNS0_19identity_decomposerEEEEE10hipError_tT0_T1_T2_jT3_P12ihipStream_tbPNSt15iterator_traitsISK_E10value_typeEPNSQ_ISL_E10value_typeEPSM_NS1_7vsmem_tEENKUlT_SK_SL_SM_E_clIPxSE_SF_SF_EESJ_SZ_SK_SL_SM_EUlSZ_E1_NS1_11comp_targetILNS1_3genE0ELNS1_11target_archE4294967295ELNS1_3gpuE0ELNS1_3repE0EEENS1_36merge_oddeven_config_static_selectorELNS0_4arch9wavefront6targetE1EEEvSL_, .Lfunc_end1426-_ZN7rocprim17ROCPRIM_400000_NS6detail17trampoline_kernelINS0_14default_configENS1_38merge_sort_block_merge_config_selectorIxNS0_10empty_typeEEEZZNS1_27merge_sort_block_merge_implIS3_N6thrust23THRUST_200600_302600_NS6detail15normal_iteratorINS9_10device_ptrIxEEEEPS5_jNS1_19radix_merge_compareILb0ELb0ExNS0_19identity_decomposerEEEEE10hipError_tT0_T1_T2_jT3_P12ihipStream_tbPNSt15iterator_traitsISK_E10value_typeEPNSQ_ISL_E10value_typeEPSM_NS1_7vsmem_tEENKUlT_SK_SL_SM_E_clIPxSE_SF_SF_EESJ_SZ_SK_SL_SM_EUlSZ_E1_NS1_11comp_targetILNS1_3genE0ELNS1_11target_archE4294967295ELNS1_3gpuE0ELNS1_3repE0EEENS1_36merge_oddeven_config_static_selectorELNS0_4arch9wavefront6targetE1EEEvSL_
                                        ; -- End function
	.section	.AMDGPU.csdata,"",@progbits
; Kernel info:
; codeLenInByte = 0
; NumSgprs: 6
; NumVgprs: 0
; NumAgprs: 0
; TotalNumVgprs: 0
; ScratchSize: 0
; MemoryBound: 0
; FloatMode: 240
; IeeeMode: 1
; LDSByteSize: 0 bytes/workgroup (compile time only)
; SGPRBlocks: 0
; VGPRBlocks: 0
; NumSGPRsForWavesPerEU: 6
; NumVGPRsForWavesPerEU: 1
; AccumOffset: 4
; Occupancy: 8
; WaveLimiterHint : 0
; COMPUTE_PGM_RSRC2:SCRATCH_EN: 0
; COMPUTE_PGM_RSRC2:USER_SGPR: 2
; COMPUTE_PGM_RSRC2:TRAP_HANDLER: 0
; COMPUTE_PGM_RSRC2:TGID_X_EN: 1
; COMPUTE_PGM_RSRC2:TGID_Y_EN: 0
; COMPUTE_PGM_RSRC2:TGID_Z_EN: 0
; COMPUTE_PGM_RSRC2:TIDIG_COMP_CNT: 0
; COMPUTE_PGM_RSRC3_GFX90A:ACCUM_OFFSET: 0
; COMPUTE_PGM_RSRC3_GFX90A:TG_SPLIT: 0
	.section	.text._ZN7rocprim17ROCPRIM_400000_NS6detail17trampoline_kernelINS0_14default_configENS1_38merge_sort_block_merge_config_selectorIxNS0_10empty_typeEEEZZNS1_27merge_sort_block_merge_implIS3_N6thrust23THRUST_200600_302600_NS6detail15normal_iteratorINS9_10device_ptrIxEEEEPS5_jNS1_19radix_merge_compareILb0ELb0ExNS0_19identity_decomposerEEEEE10hipError_tT0_T1_T2_jT3_P12ihipStream_tbPNSt15iterator_traitsISK_E10value_typeEPNSQ_ISL_E10value_typeEPSM_NS1_7vsmem_tEENKUlT_SK_SL_SM_E_clIPxSE_SF_SF_EESJ_SZ_SK_SL_SM_EUlSZ_E1_NS1_11comp_targetILNS1_3genE10ELNS1_11target_archE1201ELNS1_3gpuE5ELNS1_3repE0EEENS1_36merge_oddeven_config_static_selectorELNS0_4arch9wavefront6targetE1EEEvSL_,"axG",@progbits,_ZN7rocprim17ROCPRIM_400000_NS6detail17trampoline_kernelINS0_14default_configENS1_38merge_sort_block_merge_config_selectorIxNS0_10empty_typeEEEZZNS1_27merge_sort_block_merge_implIS3_N6thrust23THRUST_200600_302600_NS6detail15normal_iteratorINS9_10device_ptrIxEEEEPS5_jNS1_19radix_merge_compareILb0ELb0ExNS0_19identity_decomposerEEEEE10hipError_tT0_T1_T2_jT3_P12ihipStream_tbPNSt15iterator_traitsISK_E10value_typeEPNSQ_ISL_E10value_typeEPSM_NS1_7vsmem_tEENKUlT_SK_SL_SM_E_clIPxSE_SF_SF_EESJ_SZ_SK_SL_SM_EUlSZ_E1_NS1_11comp_targetILNS1_3genE10ELNS1_11target_archE1201ELNS1_3gpuE5ELNS1_3repE0EEENS1_36merge_oddeven_config_static_selectorELNS0_4arch9wavefront6targetE1EEEvSL_,comdat
	.protected	_ZN7rocprim17ROCPRIM_400000_NS6detail17trampoline_kernelINS0_14default_configENS1_38merge_sort_block_merge_config_selectorIxNS0_10empty_typeEEEZZNS1_27merge_sort_block_merge_implIS3_N6thrust23THRUST_200600_302600_NS6detail15normal_iteratorINS9_10device_ptrIxEEEEPS5_jNS1_19radix_merge_compareILb0ELb0ExNS0_19identity_decomposerEEEEE10hipError_tT0_T1_T2_jT3_P12ihipStream_tbPNSt15iterator_traitsISK_E10value_typeEPNSQ_ISL_E10value_typeEPSM_NS1_7vsmem_tEENKUlT_SK_SL_SM_E_clIPxSE_SF_SF_EESJ_SZ_SK_SL_SM_EUlSZ_E1_NS1_11comp_targetILNS1_3genE10ELNS1_11target_archE1201ELNS1_3gpuE5ELNS1_3repE0EEENS1_36merge_oddeven_config_static_selectorELNS0_4arch9wavefront6targetE1EEEvSL_ ; -- Begin function _ZN7rocprim17ROCPRIM_400000_NS6detail17trampoline_kernelINS0_14default_configENS1_38merge_sort_block_merge_config_selectorIxNS0_10empty_typeEEEZZNS1_27merge_sort_block_merge_implIS3_N6thrust23THRUST_200600_302600_NS6detail15normal_iteratorINS9_10device_ptrIxEEEEPS5_jNS1_19radix_merge_compareILb0ELb0ExNS0_19identity_decomposerEEEEE10hipError_tT0_T1_T2_jT3_P12ihipStream_tbPNSt15iterator_traitsISK_E10value_typeEPNSQ_ISL_E10value_typeEPSM_NS1_7vsmem_tEENKUlT_SK_SL_SM_E_clIPxSE_SF_SF_EESJ_SZ_SK_SL_SM_EUlSZ_E1_NS1_11comp_targetILNS1_3genE10ELNS1_11target_archE1201ELNS1_3gpuE5ELNS1_3repE0EEENS1_36merge_oddeven_config_static_selectorELNS0_4arch9wavefront6targetE1EEEvSL_
	.globl	_ZN7rocprim17ROCPRIM_400000_NS6detail17trampoline_kernelINS0_14default_configENS1_38merge_sort_block_merge_config_selectorIxNS0_10empty_typeEEEZZNS1_27merge_sort_block_merge_implIS3_N6thrust23THRUST_200600_302600_NS6detail15normal_iteratorINS9_10device_ptrIxEEEEPS5_jNS1_19radix_merge_compareILb0ELb0ExNS0_19identity_decomposerEEEEE10hipError_tT0_T1_T2_jT3_P12ihipStream_tbPNSt15iterator_traitsISK_E10value_typeEPNSQ_ISL_E10value_typeEPSM_NS1_7vsmem_tEENKUlT_SK_SL_SM_E_clIPxSE_SF_SF_EESJ_SZ_SK_SL_SM_EUlSZ_E1_NS1_11comp_targetILNS1_3genE10ELNS1_11target_archE1201ELNS1_3gpuE5ELNS1_3repE0EEENS1_36merge_oddeven_config_static_selectorELNS0_4arch9wavefront6targetE1EEEvSL_
	.p2align	8
	.type	_ZN7rocprim17ROCPRIM_400000_NS6detail17trampoline_kernelINS0_14default_configENS1_38merge_sort_block_merge_config_selectorIxNS0_10empty_typeEEEZZNS1_27merge_sort_block_merge_implIS3_N6thrust23THRUST_200600_302600_NS6detail15normal_iteratorINS9_10device_ptrIxEEEEPS5_jNS1_19radix_merge_compareILb0ELb0ExNS0_19identity_decomposerEEEEE10hipError_tT0_T1_T2_jT3_P12ihipStream_tbPNSt15iterator_traitsISK_E10value_typeEPNSQ_ISL_E10value_typeEPSM_NS1_7vsmem_tEENKUlT_SK_SL_SM_E_clIPxSE_SF_SF_EESJ_SZ_SK_SL_SM_EUlSZ_E1_NS1_11comp_targetILNS1_3genE10ELNS1_11target_archE1201ELNS1_3gpuE5ELNS1_3repE0EEENS1_36merge_oddeven_config_static_selectorELNS0_4arch9wavefront6targetE1EEEvSL_,@function
_ZN7rocprim17ROCPRIM_400000_NS6detail17trampoline_kernelINS0_14default_configENS1_38merge_sort_block_merge_config_selectorIxNS0_10empty_typeEEEZZNS1_27merge_sort_block_merge_implIS3_N6thrust23THRUST_200600_302600_NS6detail15normal_iteratorINS9_10device_ptrIxEEEEPS5_jNS1_19radix_merge_compareILb0ELb0ExNS0_19identity_decomposerEEEEE10hipError_tT0_T1_T2_jT3_P12ihipStream_tbPNSt15iterator_traitsISK_E10value_typeEPNSQ_ISL_E10value_typeEPSM_NS1_7vsmem_tEENKUlT_SK_SL_SM_E_clIPxSE_SF_SF_EESJ_SZ_SK_SL_SM_EUlSZ_E1_NS1_11comp_targetILNS1_3genE10ELNS1_11target_archE1201ELNS1_3gpuE5ELNS1_3repE0EEENS1_36merge_oddeven_config_static_selectorELNS0_4arch9wavefront6targetE1EEEvSL_: ; @_ZN7rocprim17ROCPRIM_400000_NS6detail17trampoline_kernelINS0_14default_configENS1_38merge_sort_block_merge_config_selectorIxNS0_10empty_typeEEEZZNS1_27merge_sort_block_merge_implIS3_N6thrust23THRUST_200600_302600_NS6detail15normal_iteratorINS9_10device_ptrIxEEEEPS5_jNS1_19radix_merge_compareILb0ELb0ExNS0_19identity_decomposerEEEEE10hipError_tT0_T1_T2_jT3_P12ihipStream_tbPNSt15iterator_traitsISK_E10value_typeEPNSQ_ISL_E10value_typeEPSM_NS1_7vsmem_tEENKUlT_SK_SL_SM_E_clIPxSE_SF_SF_EESJ_SZ_SK_SL_SM_EUlSZ_E1_NS1_11comp_targetILNS1_3genE10ELNS1_11target_archE1201ELNS1_3gpuE5ELNS1_3repE0EEENS1_36merge_oddeven_config_static_selectorELNS0_4arch9wavefront6targetE1EEEvSL_
; %bb.0:
	.section	.rodata,"a",@progbits
	.p2align	6, 0x0
	.amdhsa_kernel _ZN7rocprim17ROCPRIM_400000_NS6detail17trampoline_kernelINS0_14default_configENS1_38merge_sort_block_merge_config_selectorIxNS0_10empty_typeEEEZZNS1_27merge_sort_block_merge_implIS3_N6thrust23THRUST_200600_302600_NS6detail15normal_iteratorINS9_10device_ptrIxEEEEPS5_jNS1_19radix_merge_compareILb0ELb0ExNS0_19identity_decomposerEEEEE10hipError_tT0_T1_T2_jT3_P12ihipStream_tbPNSt15iterator_traitsISK_E10value_typeEPNSQ_ISL_E10value_typeEPSM_NS1_7vsmem_tEENKUlT_SK_SL_SM_E_clIPxSE_SF_SF_EESJ_SZ_SK_SL_SM_EUlSZ_E1_NS1_11comp_targetILNS1_3genE10ELNS1_11target_archE1201ELNS1_3gpuE5ELNS1_3repE0EEENS1_36merge_oddeven_config_static_selectorELNS0_4arch9wavefront6targetE1EEEvSL_
		.amdhsa_group_segment_fixed_size 0
		.amdhsa_private_segment_fixed_size 0
		.amdhsa_kernarg_size 48
		.amdhsa_user_sgpr_count 2
		.amdhsa_user_sgpr_dispatch_ptr 0
		.amdhsa_user_sgpr_queue_ptr 0
		.amdhsa_user_sgpr_kernarg_segment_ptr 1
		.amdhsa_user_sgpr_dispatch_id 0
		.amdhsa_user_sgpr_kernarg_preload_length 0
		.amdhsa_user_sgpr_kernarg_preload_offset 0
		.amdhsa_user_sgpr_private_segment_size 0
		.amdhsa_uses_dynamic_stack 0
		.amdhsa_enable_private_segment 0
		.amdhsa_system_sgpr_workgroup_id_x 1
		.amdhsa_system_sgpr_workgroup_id_y 0
		.amdhsa_system_sgpr_workgroup_id_z 0
		.amdhsa_system_sgpr_workgroup_info 0
		.amdhsa_system_vgpr_workitem_id 0
		.amdhsa_next_free_vgpr 1
		.amdhsa_next_free_sgpr 0
		.amdhsa_accum_offset 4
		.amdhsa_reserve_vcc 0
		.amdhsa_float_round_mode_32 0
		.amdhsa_float_round_mode_16_64 0
		.amdhsa_float_denorm_mode_32 3
		.amdhsa_float_denorm_mode_16_64 3
		.amdhsa_dx10_clamp 1
		.amdhsa_ieee_mode 1
		.amdhsa_fp16_overflow 0
		.amdhsa_tg_split 0
		.amdhsa_exception_fp_ieee_invalid_op 0
		.amdhsa_exception_fp_denorm_src 0
		.amdhsa_exception_fp_ieee_div_zero 0
		.amdhsa_exception_fp_ieee_overflow 0
		.amdhsa_exception_fp_ieee_underflow 0
		.amdhsa_exception_fp_ieee_inexact 0
		.amdhsa_exception_int_div_zero 0
	.end_amdhsa_kernel
	.section	.text._ZN7rocprim17ROCPRIM_400000_NS6detail17trampoline_kernelINS0_14default_configENS1_38merge_sort_block_merge_config_selectorIxNS0_10empty_typeEEEZZNS1_27merge_sort_block_merge_implIS3_N6thrust23THRUST_200600_302600_NS6detail15normal_iteratorINS9_10device_ptrIxEEEEPS5_jNS1_19radix_merge_compareILb0ELb0ExNS0_19identity_decomposerEEEEE10hipError_tT0_T1_T2_jT3_P12ihipStream_tbPNSt15iterator_traitsISK_E10value_typeEPNSQ_ISL_E10value_typeEPSM_NS1_7vsmem_tEENKUlT_SK_SL_SM_E_clIPxSE_SF_SF_EESJ_SZ_SK_SL_SM_EUlSZ_E1_NS1_11comp_targetILNS1_3genE10ELNS1_11target_archE1201ELNS1_3gpuE5ELNS1_3repE0EEENS1_36merge_oddeven_config_static_selectorELNS0_4arch9wavefront6targetE1EEEvSL_,"axG",@progbits,_ZN7rocprim17ROCPRIM_400000_NS6detail17trampoline_kernelINS0_14default_configENS1_38merge_sort_block_merge_config_selectorIxNS0_10empty_typeEEEZZNS1_27merge_sort_block_merge_implIS3_N6thrust23THRUST_200600_302600_NS6detail15normal_iteratorINS9_10device_ptrIxEEEEPS5_jNS1_19radix_merge_compareILb0ELb0ExNS0_19identity_decomposerEEEEE10hipError_tT0_T1_T2_jT3_P12ihipStream_tbPNSt15iterator_traitsISK_E10value_typeEPNSQ_ISL_E10value_typeEPSM_NS1_7vsmem_tEENKUlT_SK_SL_SM_E_clIPxSE_SF_SF_EESJ_SZ_SK_SL_SM_EUlSZ_E1_NS1_11comp_targetILNS1_3genE10ELNS1_11target_archE1201ELNS1_3gpuE5ELNS1_3repE0EEENS1_36merge_oddeven_config_static_selectorELNS0_4arch9wavefront6targetE1EEEvSL_,comdat
.Lfunc_end1427:
	.size	_ZN7rocprim17ROCPRIM_400000_NS6detail17trampoline_kernelINS0_14default_configENS1_38merge_sort_block_merge_config_selectorIxNS0_10empty_typeEEEZZNS1_27merge_sort_block_merge_implIS3_N6thrust23THRUST_200600_302600_NS6detail15normal_iteratorINS9_10device_ptrIxEEEEPS5_jNS1_19radix_merge_compareILb0ELb0ExNS0_19identity_decomposerEEEEE10hipError_tT0_T1_T2_jT3_P12ihipStream_tbPNSt15iterator_traitsISK_E10value_typeEPNSQ_ISL_E10value_typeEPSM_NS1_7vsmem_tEENKUlT_SK_SL_SM_E_clIPxSE_SF_SF_EESJ_SZ_SK_SL_SM_EUlSZ_E1_NS1_11comp_targetILNS1_3genE10ELNS1_11target_archE1201ELNS1_3gpuE5ELNS1_3repE0EEENS1_36merge_oddeven_config_static_selectorELNS0_4arch9wavefront6targetE1EEEvSL_, .Lfunc_end1427-_ZN7rocprim17ROCPRIM_400000_NS6detail17trampoline_kernelINS0_14default_configENS1_38merge_sort_block_merge_config_selectorIxNS0_10empty_typeEEEZZNS1_27merge_sort_block_merge_implIS3_N6thrust23THRUST_200600_302600_NS6detail15normal_iteratorINS9_10device_ptrIxEEEEPS5_jNS1_19radix_merge_compareILb0ELb0ExNS0_19identity_decomposerEEEEE10hipError_tT0_T1_T2_jT3_P12ihipStream_tbPNSt15iterator_traitsISK_E10value_typeEPNSQ_ISL_E10value_typeEPSM_NS1_7vsmem_tEENKUlT_SK_SL_SM_E_clIPxSE_SF_SF_EESJ_SZ_SK_SL_SM_EUlSZ_E1_NS1_11comp_targetILNS1_3genE10ELNS1_11target_archE1201ELNS1_3gpuE5ELNS1_3repE0EEENS1_36merge_oddeven_config_static_selectorELNS0_4arch9wavefront6targetE1EEEvSL_
                                        ; -- End function
	.section	.AMDGPU.csdata,"",@progbits
; Kernel info:
; codeLenInByte = 0
; NumSgprs: 6
; NumVgprs: 0
; NumAgprs: 0
; TotalNumVgprs: 0
; ScratchSize: 0
; MemoryBound: 0
; FloatMode: 240
; IeeeMode: 1
; LDSByteSize: 0 bytes/workgroup (compile time only)
; SGPRBlocks: 0
; VGPRBlocks: 0
; NumSGPRsForWavesPerEU: 6
; NumVGPRsForWavesPerEU: 1
; AccumOffset: 4
; Occupancy: 8
; WaveLimiterHint : 0
; COMPUTE_PGM_RSRC2:SCRATCH_EN: 0
; COMPUTE_PGM_RSRC2:USER_SGPR: 2
; COMPUTE_PGM_RSRC2:TRAP_HANDLER: 0
; COMPUTE_PGM_RSRC2:TGID_X_EN: 1
; COMPUTE_PGM_RSRC2:TGID_Y_EN: 0
; COMPUTE_PGM_RSRC2:TGID_Z_EN: 0
; COMPUTE_PGM_RSRC2:TIDIG_COMP_CNT: 0
; COMPUTE_PGM_RSRC3_GFX90A:ACCUM_OFFSET: 0
; COMPUTE_PGM_RSRC3_GFX90A:TG_SPLIT: 0
	.section	.text._ZN7rocprim17ROCPRIM_400000_NS6detail17trampoline_kernelINS0_14default_configENS1_38merge_sort_block_merge_config_selectorIxNS0_10empty_typeEEEZZNS1_27merge_sort_block_merge_implIS3_N6thrust23THRUST_200600_302600_NS6detail15normal_iteratorINS9_10device_ptrIxEEEEPS5_jNS1_19radix_merge_compareILb0ELb0ExNS0_19identity_decomposerEEEEE10hipError_tT0_T1_T2_jT3_P12ihipStream_tbPNSt15iterator_traitsISK_E10value_typeEPNSQ_ISL_E10value_typeEPSM_NS1_7vsmem_tEENKUlT_SK_SL_SM_E_clIPxSE_SF_SF_EESJ_SZ_SK_SL_SM_EUlSZ_E1_NS1_11comp_targetILNS1_3genE5ELNS1_11target_archE942ELNS1_3gpuE9ELNS1_3repE0EEENS1_36merge_oddeven_config_static_selectorELNS0_4arch9wavefront6targetE1EEEvSL_,"axG",@progbits,_ZN7rocprim17ROCPRIM_400000_NS6detail17trampoline_kernelINS0_14default_configENS1_38merge_sort_block_merge_config_selectorIxNS0_10empty_typeEEEZZNS1_27merge_sort_block_merge_implIS3_N6thrust23THRUST_200600_302600_NS6detail15normal_iteratorINS9_10device_ptrIxEEEEPS5_jNS1_19radix_merge_compareILb0ELb0ExNS0_19identity_decomposerEEEEE10hipError_tT0_T1_T2_jT3_P12ihipStream_tbPNSt15iterator_traitsISK_E10value_typeEPNSQ_ISL_E10value_typeEPSM_NS1_7vsmem_tEENKUlT_SK_SL_SM_E_clIPxSE_SF_SF_EESJ_SZ_SK_SL_SM_EUlSZ_E1_NS1_11comp_targetILNS1_3genE5ELNS1_11target_archE942ELNS1_3gpuE9ELNS1_3repE0EEENS1_36merge_oddeven_config_static_selectorELNS0_4arch9wavefront6targetE1EEEvSL_,comdat
	.protected	_ZN7rocprim17ROCPRIM_400000_NS6detail17trampoline_kernelINS0_14default_configENS1_38merge_sort_block_merge_config_selectorIxNS0_10empty_typeEEEZZNS1_27merge_sort_block_merge_implIS3_N6thrust23THRUST_200600_302600_NS6detail15normal_iteratorINS9_10device_ptrIxEEEEPS5_jNS1_19radix_merge_compareILb0ELb0ExNS0_19identity_decomposerEEEEE10hipError_tT0_T1_T2_jT3_P12ihipStream_tbPNSt15iterator_traitsISK_E10value_typeEPNSQ_ISL_E10value_typeEPSM_NS1_7vsmem_tEENKUlT_SK_SL_SM_E_clIPxSE_SF_SF_EESJ_SZ_SK_SL_SM_EUlSZ_E1_NS1_11comp_targetILNS1_3genE5ELNS1_11target_archE942ELNS1_3gpuE9ELNS1_3repE0EEENS1_36merge_oddeven_config_static_selectorELNS0_4arch9wavefront6targetE1EEEvSL_ ; -- Begin function _ZN7rocprim17ROCPRIM_400000_NS6detail17trampoline_kernelINS0_14default_configENS1_38merge_sort_block_merge_config_selectorIxNS0_10empty_typeEEEZZNS1_27merge_sort_block_merge_implIS3_N6thrust23THRUST_200600_302600_NS6detail15normal_iteratorINS9_10device_ptrIxEEEEPS5_jNS1_19radix_merge_compareILb0ELb0ExNS0_19identity_decomposerEEEEE10hipError_tT0_T1_T2_jT3_P12ihipStream_tbPNSt15iterator_traitsISK_E10value_typeEPNSQ_ISL_E10value_typeEPSM_NS1_7vsmem_tEENKUlT_SK_SL_SM_E_clIPxSE_SF_SF_EESJ_SZ_SK_SL_SM_EUlSZ_E1_NS1_11comp_targetILNS1_3genE5ELNS1_11target_archE942ELNS1_3gpuE9ELNS1_3repE0EEENS1_36merge_oddeven_config_static_selectorELNS0_4arch9wavefront6targetE1EEEvSL_
	.globl	_ZN7rocprim17ROCPRIM_400000_NS6detail17trampoline_kernelINS0_14default_configENS1_38merge_sort_block_merge_config_selectorIxNS0_10empty_typeEEEZZNS1_27merge_sort_block_merge_implIS3_N6thrust23THRUST_200600_302600_NS6detail15normal_iteratorINS9_10device_ptrIxEEEEPS5_jNS1_19radix_merge_compareILb0ELb0ExNS0_19identity_decomposerEEEEE10hipError_tT0_T1_T2_jT3_P12ihipStream_tbPNSt15iterator_traitsISK_E10value_typeEPNSQ_ISL_E10value_typeEPSM_NS1_7vsmem_tEENKUlT_SK_SL_SM_E_clIPxSE_SF_SF_EESJ_SZ_SK_SL_SM_EUlSZ_E1_NS1_11comp_targetILNS1_3genE5ELNS1_11target_archE942ELNS1_3gpuE9ELNS1_3repE0EEENS1_36merge_oddeven_config_static_selectorELNS0_4arch9wavefront6targetE1EEEvSL_
	.p2align	8
	.type	_ZN7rocprim17ROCPRIM_400000_NS6detail17trampoline_kernelINS0_14default_configENS1_38merge_sort_block_merge_config_selectorIxNS0_10empty_typeEEEZZNS1_27merge_sort_block_merge_implIS3_N6thrust23THRUST_200600_302600_NS6detail15normal_iteratorINS9_10device_ptrIxEEEEPS5_jNS1_19radix_merge_compareILb0ELb0ExNS0_19identity_decomposerEEEEE10hipError_tT0_T1_T2_jT3_P12ihipStream_tbPNSt15iterator_traitsISK_E10value_typeEPNSQ_ISL_E10value_typeEPSM_NS1_7vsmem_tEENKUlT_SK_SL_SM_E_clIPxSE_SF_SF_EESJ_SZ_SK_SL_SM_EUlSZ_E1_NS1_11comp_targetILNS1_3genE5ELNS1_11target_archE942ELNS1_3gpuE9ELNS1_3repE0EEENS1_36merge_oddeven_config_static_selectorELNS0_4arch9wavefront6targetE1EEEvSL_,@function
_ZN7rocprim17ROCPRIM_400000_NS6detail17trampoline_kernelINS0_14default_configENS1_38merge_sort_block_merge_config_selectorIxNS0_10empty_typeEEEZZNS1_27merge_sort_block_merge_implIS3_N6thrust23THRUST_200600_302600_NS6detail15normal_iteratorINS9_10device_ptrIxEEEEPS5_jNS1_19radix_merge_compareILb0ELb0ExNS0_19identity_decomposerEEEEE10hipError_tT0_T1_T2_jT3_P12ihipStream_tbPNSt15iterator_traitsISK_E10value_typeEPNSQ_ISL_E10value_typeEPSM_NS1_7vsmem_tEENKUlT_SK_SL_SM_E_clIPxSE_SF_SF_EESJ_SZ_SK_SL_SM_EUlSZ_E1_NS1_11comp_targetILNS1_3genE5ELNS1_11target_archE942ELNS1_3gpuE9ELNS1_3repE0EEENS1_36merge_oddeven_config_static_selectorELNS0_4arch9wavefront6targetE1EEEvSL_: ; @_ZN7rocprim17ROCPRIM_400000_NS6detail17trampoline_kernelINS0_14default_configENS1_38merge_sort_block_merge_config_selectorIxNS0_10empty_typeEEEZZNS1_27merge_sort_block_merge_implIS3_N6thrust23THRUST_200600_302600_NS6detail15normal_iteratorINS9_10device_ptrIxEEEEPS5_jNS1_19radix_merge_compareILb0ELb0ExNS0_19identity_decomposerEEEEE10hipError_tT0_T1_T2_jT3_P12ihipStream_tbPNSt15iterator_traitsISK_E10value_typeEPNSQ_ISL_E10value_typeEPSM_NS1_7vsmem_tEENKUlT_SK_SL_SM_E_clIPxSE_SF_SF_EESJ_SZ_SK_SL_SM_EUlSZ_E1_NS1_11comp_targetILNS1_3genE5ELNS1_11target_archE942ELNS1_3gpuE9ELNS1_3repE0EEENS1_36merge_oddeven_config_static_selectorELNS0_4arch9wavefront6targetE1EEEvSL_
; %bb.0:
	s_load_dword s16, s[0:1], 0x20
	s_waitcnt lgkmcnt(0)
	s_lshr_b32 s3, s16, 8
	s_cmp_lg_u32 s2, s3
	s_cselect_b64 s[12:13], -1, 0
	s_cmp_eq_u32 s2, s3
	s_cselect_b64 s[6:7], -1, 0
	s_lshl_b32 s14, s2, 8
	s_sub_i32 s3, s16, s14
	v_cmp_gt_u32_e64 s[4:5], s3, v0
	s_or_b64 s[8:9], s[12:13], s[4:5]
	s_and_saveexec_b64 s[10:11], s[8:9]
	s_cbranch_execz .LBB1428_20
; %bb.1:
	s_load_dwordx4 s[8:11], s[0:1], 0x0
	s_load_dword s17, s[0:1], 0x24
	s_mov_b32 s15, 0
	s_lshl_b64 s[0:1], s[14:15], 3
	v_lshlrev_b32_e32 v1, 3, v0
	s_waitcnt lgkmcnt(0)
	s_add_u32 s0, s8, s0
	s_addc_u32 s1, s9, s1
	global_load_dwordx2 v[2:3], v1, s[0:1]
	s_lshr_b32 s0, s17, 8
	s_sub_i32 s1, 0, s0
	s_and_b32 s1, s2, s1
	s_and_b32 s0, s1, s0
	s_lshl_b32 s18, s1, 8
	s_sub_i32 s15, 0, s17
	s_cmp_eq_u32 s0, 0
	s_cselect_b64 s[0:1], -1, 0
	s_and_b64 s[2:3], s[0:1], exec
	s_cselect_b32 s15, s17, s15
	s_add_i32 s15, s15, s18
	s_cmp_lt_u32 s15, s16
	v_add_u32_e32 v0, s14, v0
	s_cbranch_scc1 .LBB1428_3
; %bb.2:
	v_cmp_gt_u32_e32 vcc, s16, v0
	s_or_b64 s[2:3], vcc, s[12:13]
	s_and_b64 s[2:3], s[2:3], exec
	s_cbranch_execz .LBB1428_4
	s_branch .LBB1428_18
.LBB1428_3:
	s_mov_b64 s[2:3], 0
.LBB1428_4:
	s_min_u32 s12, s15, s16
	s_min_u32 s14, s18, s12
	s_add_i32 s18, s18, s12
	s_add_i32 s13, s12, s17
	v_subrev_u32_e32 v0, s18, v0
	s_min_u32 s13, s13, s16
	v_add_u32_e32 v4, s14, v0
	s_and_b64 vcc, exec, s[6:7]
	s_cbranch_vccz .LBB1428_12
; %bb.5:
                                        ; implicit-def: $vgpr0
	s_and_saveexec_b64 s[6:7], s[4:5]
	s_cbranch_execz .LBB1428_11
; %bb.6:
	s_cmp_ge_u32 s15, s13
	v_mov_b32_e32 v5, s12
	s_cbranch_scc1 .LBB1428_10
; %bb.7:
	s_mov_b64 s[4:5], 0
	v_mov_b32_e32 v6, s13
	v_mov_b32_e32 v5, s12
	;; [unrolled: 1-line block ×3, first 2 shown]
.LBB1428_8:                             ; =>This Inner Loop Header: Depth=1
	v_add_u32_e32 v0, v5, v6
	v_lshrrev_b32_e32 v0, 1, v0
	v_lshl_add_u64 v[8:9], v[0:1], 3, s[8:9]
	global_load_dwordx2 v[8:9], v[8:9], off
	v_add_u32_e32 v7, 1, v0
	s_waitcnt vmcnt(0)
	v_cmp_gt_i64_e32 vcc, v[2:3], v[8:9]
	s_nop 1
	v_cndmask_b32_e64 v10, 0, 1, vcc
	v_cmp_le_i64_e32 vcc, v[8:9], v[2:3]
	s_nop 1
	v_cndmask_b32_e64 v8, 0, 1, vcc
	v_cndmask_b32_e64 v8, v8, v10, s[0:1]
	v_and_b32_e32 v8, 1, v8
	v_cmp_eq_u32_e32 vcc, 1, v8
	s_nop 1
	v_cndmask_b32_e32 v6, v0, v6, vcc
	v_cndmask_b32_e32 v5, v5, v7, vcc
	v_cmp_ge_u32_e32 vcc, v5, v6
	s_or_b64 s[4:5], vcc, s[4:5]
	s_andn2_b64 exec, exec, s[4:5]
	s_cbranch_execnz .LBB1428_8
; %bb.9:
	s_or_b64 exec, exec, s[4:5]
.LBB1428_10:
	v_add_u32_e32 v0, v5, v4
	s_or_b64 s[2:3], s[2:3], exec
.LBB1428_11:
	s_or_b64 exec, exec, s[6:7]
	s_branch .LBB1428_18
.LBB1428_12:
                                        ; implicit-def: $vgpr0
	s_cbranch_execz .LBB1428_18
; %bb.13:
	s_cmp_ge_u32 s15, s13
	v_mov_b32_e32 v5, s12
	s_cbranch_scc1 .LBB1428_17
; %bb.14:
	s_mov_b64 s[2:3], 0
	v_mov_b32_e32 v6, s13
	v_mov_b32_e32 v5, s12
	;; [unrolled: 1-line block ×3, first 2 shown]
.LBB1428_15:                            ; =>This Inner Loop Header: Depth=1
	v_add_u32_e32 v0, v5, v6
	v_lshrrev_b32_e32 v0, 1, v0
	v_lshl_add_u64 v[8:9], v[0:1], 3, s[8:9]
	global_load_dwordx2 v[8:9], v[8:9], off
	v_add_u32_e32 v7, 1, v0
	s_waitcnt vmcnt(0)
	v_cmp_gt_i64_e32 vcc, v[2:3], v[8:9]
	s_nop 1
	v_cndmask_b32_e64 v10, 0, 1, vcc
	v_cmp_le_i64_e32 vcc, v[8:9], v[2:3]
	s_nop 1
	v_cndmask_b32_e64 v8, 0, 1, vcc
	v_cndmask_b32_e64 v8, v8, v10, s[0:1]
	v_and_b32_e32 v8, 1, v8
	v_cmp_eq_u32_e32 vcc, 1, v8
	s_nop 1
	v_cndmask_b32_e32 v6, v0, v6, vcc
	v_cndmask_b32_e32 v5, v5, v7, vcc
	v_cmp_ge_u32_e32 vcc, v5, v6
	s_or_b64 s[2:3], vcc, s[2:3]
	s_andn2_b64 exec, exec, s[2:3]
	s_cbranch_execnz .LBB1428_15
; %bb.16:
	s_or_b64 exec, exec, s[2:3]
.LBB1428_17:
	v_add_u32_e32 v0, v5, v4
	s_mov_b64 s[2:3], -1
.LBB1428_18:
	s_and_b64 exec, exec, s[2:3]
	s_cbranch_execz .LBB1428_20
; %bb.19:
	v_mov_b32_e32 v4, s10
	v_mov_b32_e32 v5, s11
	;; [unrolled: 1-line block ×3, first 2 shown]
	v_lshl_add_u64 v[0:1], v[0:1], 3, v[4:5]
	s_waitcnt vmcnt(0)
	global_store_dwordx2 v[0:1], v[2:3], off
.LBB1428_20:
	s_endpgm
	.section	.rodata,"a",@progbits
	.p2align	6, 0x0
	.amdhsa_kernel _ZN7rocprim17ROCPRIM_400000_NS6detail17trampoline_kernelINS0_14default_configENS1_38merge_sort_block_merge_config_selectorIxNS0_10empty_typeEEEZZNS1_27merge_sort_block_merge_implIS3_N6thrust23THRUST_200600_302600_NS6detail15normal_iteratorINS9_10device_ptrIxEEEEPS5_jNS1_19radix_merge_compareILb0ELb0ExNS0_19identity_decomposerEEEEE10hipError_tT0_T1_T2_jT3_P12ihipStream_tbPNSt15iterator_traitsISK_E10value_typeEPNSQ_ISL_E10value_typeEPSM_NS1_7vsmem_tEENKUlT_SK_SL_SM_E_clIPxSE_SF_SF_EESJ_SZ_SK_SL_SM_EUlSZ_E1_NS1_11comp_targetILNS1_3genE5ELNS1_11target_archE942ELNS1_3gpuE9ELNS1_3repE0EEENS1_36merge_oddeven_config_static_selectorELNS0_4arch9wavefront6targetE1EEEvSL_
		.amdhsa_group_segment_fixed_size 0
		.amdhsa_private_segment_fixed_size 0
		.amdhsa_kernarg_size 48
		.amdhsa_user_sgpr_count 2
		.amdhsa_user_sgpr_dispatch_ptr 0
		.amdhsa_user_sgpr_queue_ptr 0
		.amdhsa_user_sgpr_kernarg_segment_ptr 1
		.amdhsa_user_sgpr_dispatch_id 0
		.amdhsa_user_sgpr_kernarg_preload_length 0
		.amdhsa_user_sgpr_kernarg_preload_offset 0
		.amdhsa_user_sgpr_private_segment_size 0
		.amdhsa_uses_dynamic_stack 0
		.amdhsa_enable_private_segment 0
		.amdhsa_system_sgpr_workgroup_id_x 1
		.amdhsa_system_sgpr_workgroup_id_y 0
		.amdhsa_system_sgpr_workgroup_id_z 0
		.amdhsa_system_sgpr_workgroup_info 0
		.amdhsa_system_vgpr_workitem_id 0
		.amdhsa_next_free_vgpr 11
		.amdhsa_next_free_sgpr 19
		.amdhsa_accum_offset 12
		.amdhsa_reserve_vcc 1
		.amdhsa_float_round_mode_32 0
		.amdhsa_float_round_mode_16_64 0
		.amdhsa_float_denorm_mode_32 3
		.amdhsa_float_denorm_mode_16_64 3
		.amdhsa_dx10_clamp 1
		.amdhsa_ieee_mode 1
		.amdhsa_fp16_overflow 0
		.amdhsa_tg_split 0
		.amdhsa_exception_fp_ieee_invalid_op 0
		.amdhsa_exception_fp_denorm_src 0
		.amdhsa_exception_fp_ieee_div_zero 0
		.amdhsa_exception_fp_ieee_overflow 0
		.amdhsa_exception_fp_ieee_underflow 0
		.amdhsa_exception_fp_ieee_inexact 0
		.amdhsa_exception_int_div_zero 0
	.end_amdhsa_kernel
	.section	.text._ZN7rocprim17ROCPRIM_400000_NS6detail17trampoline_kernelINS0_14default_configENS1_38merge_sort_block_merge_config_selectorIxNS0_10empty_typeEEEZZNS1_27merge_sort_block_merge_implIS3_N6thrust23THRUST_200600_302600_NS6detail15normal_iteratorINS9_10device_ptrIxEEEEPS5_jNS1_19radix_merge_compareILb0ELb0ExNS0_19identity_decomposerEEEEE10hipError_tT0_T1_T2_jT3_P12ihipStream_tbPNSt15iterator_traitsISK_E10value_typeEPNSQ_ISL_E10value_typeEPSM_NS1_7vsmem_tEENKUlT_SK_SL_SM_E_clIPxSE_SF_SF_EESJ_SZ_SK_SL_SM_EUlSZ_E1_NS1_11comp_targetILNS1_3genE5ELNS1_11target_archE942ELNS1_3gpuE9ELNS1_3repE0EEENS1_36merge_oddeven_config_static_selectorELNS0_4arch9wavefront6targetE1EEEvSL_,"axG",@progbits,_ZN7rocprim17ROCPRIM_400000_NS6detail17trampoline_kernelINS0_14default_configENS1_38merge_sort_block_merge_config_selectorIxNS0_10empty_typeEEEZZNS1_27merge_sort_block_merge_implIS3_N6thrust23THRUST_200600_302600_NS6detail15normal_iteratorINS9_10device_ptrIxEEEEPS5_jNS1_19radix_merge_compareILb0ELb0ExNS0_19identity_decomposerEEEEE10hipError_tT0_T1_T2_jT3_P12ihipStream_tbPNSt15iterator_traitsISK_E10value_typeEPNSQ_ISL_E10value_typeEPSM_NS1_7vsmem_tEENKUlT_SK_SL_SM_E_clIPxSE_SF_SF_EESJ_SZ_SK_SL_SM_EUlSZ_E1_NS1_11comp_targetILNS1_3genE5ELNS1_11target_archE942ELNS1_3gpuE9ELNS1_3repE0EEENS1_36merge_oddeven_config_static_selectorELNS0_4arch9wavefront6targetE1EEEvSL_,comdat
.Lfunc_end1428:
	.size	_ZN7rocprim17ROCPRIM_400000_NS6detail17trampoline_kernelINS0_14default_configENS1_38merge_sort_block_merge_config_selectorIxNS0_10empty_typeEEEZZNS1_27merge_sort_block_merge_implIS3_N6thrust23THRUST_200600_302600_NS6detail15normal_iteratorINS9_10device_ptrIxEEEEPS5_jNS1_19radix_merge_compareILb0ELb0ExNS0_19identity_decomposerEEEEE10hipError_tT0_T1_T2_jT3_P12ihipStream_tbPNSt15iterator_traitsISK_E10value_typeEPNSQ_ISL_E10value_typeEPSM_NS1_7vsmem_tEENKUlT_SK_SL_SM_E_clIPxSE_SF_SF_EESJ_SZ_SK_SL_SM_EUlSZ_E1_NS1_11comp_targetILNS1_3genE5ELNS1_11target_archE942ELNS1_3gpuE9ELNS1_3repE0EEENS1_36merge_oddeven_config_static_selectorELNS0_4arch9wavefront6targetE1EEEvSL_, .Lfunc_end1428-_ZN7rocprim17ROCPRIM_400000_NS6detail17trampoline_kernelINS0_14default_configENS1_38merge_sort_block_merge_config_selectorIxNS0_10empty_typeEEEZZNS1_27merge_sort_block_merge_implIS3_N6thrust23THRUST_200600_302600_NS6detail15normal_iteratorINS9_10device_ptrIxEEEEPS5_jNS1_19radix_merge_compareILb0ELb0ExNS0_19identity_decomposerEEEEE10hipError_tT0_T1_T2_jT3_P12ihipStream_tbPNSt15iterator_traitsISK_E10value_typeEPNSQ_ISL_E10value_typeEPSM_NS1_7vsmem_tEENKUlT_SK_SL_SM_E_clIPxSE_SF_SF_EESJ_SZ_SK_SL_SM_EUlSZ_E1_NS1_11comp_targetILNS1_3genE5ELNS1_11target_archE942ELNS1_3gpuE9ELNS1_3repE0EEENS1_36merge_oddeven_config_static_selectorELNS0_4arch9wavefront6targetE1EEEvSL_
                                        ; -- End function
	.section	.AMDGPU.csdata,"",@progbits
; Kernel info:
; codeLenInByte = 584
; NumSgprs: 25
; NumVgprs: 11
; NumAgprs: 0
; TotalNumVgprs: 11
; ScratchSize: 0
; MemoryBound: 0
; FloatMode: 240
; IeeeMode: 1
; LDSByteSize: 0 bytes/workgroup (compile time only)
; SGPRBlocks: 3
; VGPRBlocks: 1
; NumSGPRsForWavesPerEU: 25
; NumVGPRsForWavesPerEU: 11
; AccumOffset: 12
; Occupancy: 8
; WaveLimiterHint : 0
; COMPUTE_PGM_RSRC2:SCRATCH_EN: 0
; COMPUTE_PGM_RSRC2:USER_SGPR: 2
; COMPUTE_PGM_RSRC2:TRAP_HANDLER: 0
; COMPUTE_PGM_RSRC2:TGID_X_EN: 1
; COMPUTE_PGM_RSRC2:TGID_Y_EN: 0
; COMPUTE_PGM_RSRC2:TGID_Z_EN: 0
; COMPUTE_PGM_RSRC2:TIDIG_COMP_CNT: 0
; COMPUTE_PGM_RSRC3_GFX90A:ACCUM_OFFSET: 2
; COMPUTE_PGM_RSRC3_GFX90A:TG_SPLIT: 0
	.section	.text._ZN7rocprim17ROCPRIM_400000_NS6detail17trampoline_kernelINS0_14default_configENS1_38merge_sort_block_merge_config_selectorIxNS0_10empty_typeEEEZZNS1_27merge_sort_block_merge_implIS3_N6thrust23THRUST_200600_302600_NS6detail15normal_iteratorINS9_10device_ptrIxEEEEPS5_jNS1_19radix_merge_compareILb0ELb0ExNS0_19identity_decomposerEEEEE10hipError_tT0_T1_T2_jT3_P12ihipStream_tbPNSt15iterator_traitsISK_E10value_typeEPNSQ_ISL_E10value_typeEPSM_NS1_7vsmem_tEENKUlT_SK_SL_SM_E_clIPxSE_SF_SF_EESJ_SZ_SK_SL_SM_EUlSZ_E1_NS1_11comp_targetILNS1_3genE4ELNS1_11target_archE910ELNS1_3gpuE8ELNS1_3repE0EEENS1_36merge_oddeven_config_static_selectorELNS0_4arch9wavefront6targetE1EEEvSL_,"axG",@progbits,_ZN7rocprim17ROCPRIM_400000_NS6detail17trampoline_kernelINS0_14default_configENS1_38merge_sort_block_merge_config_selectorIxNS0_10empty_typeEEEZZNS1_27merge_sort_block_merge_implIS3_N6thrust23THRUST_200600_302600_NS6detail15normal_iteratorINS9_10device_ptrIxEEEEPS5_jNS1_19radix_merge_compareILb0ELb0ExNS0_19identity_decomposerEEEEE10hipError_tT0_T1_T2_jT3_P12ihipStream_tbPNSt15iterator_traitsISK_E10value_typeEPNSQ_ISL_E10value_typeEPSM_NS1_7vsmem_tEENKUlT_SK_SL_SM_E_clIPxSE_SF_SF_EESJ_SZ_SK_SL_SM_EUlSZ_E1_NS1_11comp_targetILNS1_3genE4ELNS1_11target_archE910ELNS1_3gpuE8ELNS1_3repE0EEENS1_36merge_oddeven_config_static_selectorELNS0_4arch9wavefront6targetE1EEEvSL_,comdat
	.protected	_ZN7rocprim17ROCPRIM_400000_NS6detail17trampoline_kernelINS0_14default_configENS1_38merge_sort_block_merge_config_selectorIxNS0_10empty_typeEEEZZNS1_27merge_sort_block_merge_implIS3_N6thrust23THRUST_200600_302600_NS6detail15normal_iteratorINS9_10device_ptrIxEEEEPS5_jNS1_19radix_merge_compareILb0ELb0ExNS0_19identity_decomposerEEEEE10hipError_tT0_T1_T2_jT3_P12ihipStream_tbPNSt15iterator_traitsISK_E10value_typeEPNSQ_ISL_E10value_typeEPSM_NS1_7vsmem_tEENKUlT_SK_SL_SM_E_clIPxSE_SF_SF_EESJ_SZ_SK_SL_SM_EUlSZ_E1_NS1_11comp_targetILNS1_3genE4ELNS1_11target_archE910ELNS1_3gpuE8ELNS1_3repE0EEENS1_36merge_oddeven_config_static_selectorELNS0_4arch9wavefront6targetE1EEEvSL_ ; -- Begin function _ZN7rocprim17ROCPRIM_400000_NS6detail17trampoline_kernelINS0_14default_configENS1_38merge_sort_block_merge_config_selectorIxNS0_10empty_typeEEEZZNS1_27merge_sort_block_merge_implIS3_N6thrust23THRUST_200600_302600_NS6detail15normal_iteratorINS9_10device_ptrIxEEEEPS5_jNS1_19radix_merge_compareILb0ELb0ExNS0_19identity_decomposerEEEEE10hipError_tT0_T1_T2_jT3_P12ihipStream_tbPNSt15iterator_traitsISK_E10value_typeEPNSQ_ISL_E10value_typeEPSM_NS1_7vsmem_tEENKUlT_SK_SL_SM_E_clIPxSE_SF_SF_EESJ_SZ_SK_SL_SM_EUlSZ_E1_NS1_11comp_targetILNS1_3genE4ELNS1_11target_archE910ELNS1_3gpuE8ELNS1_3repE0EEENS1_36merge_oddeven_config_static_selectorELNS0_4arch9wavefront6targetE1EEEvSL_
	.globl	_ZN7rocprim17ROCPRIM_400000_NS6detail17trampoline_kernelINS0_14default_configENS1_38merge_sort_block_merge_config_selectorIxNS0_10empty_typeEEEZZNS1_27merge_sort_block_merge_implIS3_N6thrust23THRUST_200600_302600_NS6detail15normal_iteratorINS9_10device_ptrIxEEEEPS5_jNS1_19radix_merge_compareILb0ELb0ExNS0_19identity_decomposerEEEEE10hipError_tT0_T1_T2_jT3_P12ihipStream_tbPNSt15iterator_traitsISK_E10value_typeEPNSQ_ISL_E10value_typeEPSM_NS1_7vsmem_tEENKUlT_SK_SL_SM_E_clIPxSE_SF_SF_EESJ_SZ_SK_SL_SM_EUlSZ_E1_NS1_11comp_targetILNS1_3genE4ELNS1_11target_archE910ELNS1_3gpuE8ELNS1_3repE0EEENS1_36merge_oddeven_config_static_selectorELNS0_4arch9wavefront6targetE1EEEvSL_
	.p2align	8
	.type	_ZN7rocprim17ROCPRIM_400000_NS6detail17trampoline_kernelINS0_14default_configENS1_38merge_sort_block_merge_config_selectorIxNS0_10empty_typeEEEZZNS1_27merge_sort_block_merge_implIS3_N6thrust23THRUST_200600_302600_NS6detail15normal_iteratorINS9_10device_ptrIxEEEEPS5_jNS1_19radix_merge_compareILb0ELb0ExNS0_19identity_decomposerEEEEE10hipError_tT0_T1_T2_jT3_P12ihipStream_tbPNSt15iterator_traitsISK_E10value_typeEPNSQ_ISL_E10value_typeEPSM_NS1_7vsmem_tEENKUlT_SK_SL_SM_E_clIPxSE_SF_SF_EESJ_SZ_SK_SL_SM_EUlSZ_E1_NS1_11comp_targetILNS1_3genE4ELNS1_11target_archE910ELNS1_3gpuE8ELNS1_3repE0EEENS1_36merge_oddeven_config_static_selectorELNS0_4arch9wavefront6targetE1EEEvSL_,@function
_ZN7rocprim17ROCPRIM_400000_NS6detail17trampoline_kernelINS0_14default_configENS1_38merge_sort_block_merge_config_selectorIxNS0_10empty_typeEEEZZNS1_27merge_sort_block_merge_implIS3_N6thrust23THRUST_200600_302600_NS6detail15normal_iteratorINS9_10device_ptrIxEEEEPS5_jNS1_19radix_merge_compareILb0ELb0ExNS0_19identity_decomposerEEEEE10hipError_tT0_T1_T2_jT3_P12ihipStream_tbPNSt15iterator_traitsISK_E10value_typeEPNSQ_ISL_E10value_typeEPSM_NS1_7vsmem_tEENKUlT_SK_SL_SM_E_clIPxSE_SF_SF_EESJ_SZ_SK_SL_SM_EUlSZ_E1_NS1_11comp_targetILNS1_3genE4ELNS1_11target_archE910ELNS1_3gpuE8ELNS1_3repE0EEENS1_36merge_oddeven_config_static_selectorELNS0_4arch9wavefront6targetE1EEEvSL_: ; @_ZN7rocprim17ROCPRIM_400000_NS6detail17trampoline_kernelINS0_14default_configENS1_38merge_sort_block_merge_config_selectorIxNS0_10empty_typeEEEZZNS1_27merge_sort_block_merge_implIS3_N6thrust23THRUST_200600_302600_NS6detail15normal_iteratorINS9_10device_ptrIxEEEEPS5_jNS1_19radix_merge_compareILb0ELb0ExNS0_19identity_decomposerEEEEE10hipError_tT0_T1_T2_jT3_P12ihipStream_tbPNSt15iterator_traitsISK_E10value_typeEPNSQ_ISL_E10value_typeEPSM_NS1_7vsmem_tEENKUlT_SK_SL_SM_E_clIPxSE_SF_SF_EESJ_SZ_SK_SL_SM_EUlSZ_E1_NS1_11comp_targetILNS1_3genE4ELNS1_11target_archE910ELNS1_3gpuE8ELNS1_3repE0EEENS1_36merge_oddeven_config_static_selectorELNS0_4arch9wavefront6targetE1EEEvSL_
; %bb.0:
	.section	.rodata,"a",@progbits
	.p2align	6, 0x0
	.amdhsa_kernel _ZN7rocprim17ROCPRIM_400000_NS6detail17trampoline_kernelINS0_14default_configENS1_38merge_sort_block_merge_config_selectorIxNS0_10empty_typeEEEZZNS1_27merge_sort_block_merge_implIS3_N6thrust23THRUST_200600_302600_NS6detail15normal_iteratorINS9_10device_ptrIxEEEEPS5_jNS1_19radix_merge_compareILb0ELb0ExNS0_19identity_decomposerEEEEE10hipError_tT0_T1_T2_jT3_P12ihipStream_tbPNSt15iterator_traitsISK_E10value_typeEPNSQ_ISL_E10value_typeEPSM_NS1_7vsmem_tEENKUlT_SK_SL_SM_E_clIPxSE_SF_SF_EESJ_SZ_SK_SL_SM_EUlSZ_E1_NS1_11comp_targetILNS1_3genE4ELNS1_11target_archE910ELNS1_3gpuE8ELNS1_3repE0EEENS1_36merge_oddeven_config_static_selectorELNS0_4arch9wavefront6targetE1EEEvSL_
		.amdhsa_group_segment_fixed_size 0
		.amdhsa_private_segment_fixed_size 0
		.amdhsa_kernarg_size 48
		.amdhsa_user_sgpr_count 2
		.amdhsa_user_sgpr_dispatch_ptr 0
		.amdhsa_user_sgpr_queue_ptr 0
		.amdhsa_user_sgpr_kernarg_segment_ptr 1
		.amdhsa_user_sgpr_dispatch_id 0
		.amdhsa_user_sgpr_kernarg_preload_length 0
		.amdhsa_user_sgpr_kernarg_preload_offset 0
		.amdhsa_user_sgpr_private_segment_size 0
		.amdhsa_uses_dynamic_stack 0
		.amdhsa_enable_private_segment 0
		.amdhsa_system_sgpr_workgroup_id_x 1
		.amdhsa_system_sgpr_workgroup_id_y 0
		.amdhsa_system_sgpr_workgroup_id_z 0
		.amdhsa_system_sgpr_workgroup_info 0
		.amdhsa_system_vgpr_workitem_id 0
		.amdhsa_next_free_vgpr 1
		.amdhsa_next_free_sgpr 0
		.amdhsa_accum_offset 4
		.amdhsa_reserve_vcc 0
		.amdhsa_float_round_mode_32 0
		.amdhsa_float_round_mode_16_64 0
		.amdhsa_float_denorm_mode_32 3
		.amdhsa_float_denorm_mode_16_64 3
		.amdhsa_dx10_clamp 1
		.amdhsa_ieee_mode 1
		.amdhsa_fp16_overflow 0
		.amdhsa_tg_split 0
		.amdhsa_exception_fp_ieee_invalid_op 0
		.amdhsa_exception_fp_denorm_src 0
		.amdhsa_exception_fp_ieee_div_zero 0
		.amdhsa_exception_fp_ieee_overflow 0
		.amdhsa_exception_fp_ieee_underflow 0
		.amdhsa_exception_fp_ieee_inexact 0
		.amdhsa_exception_int_div_zero 0
	.end_amdhsa_kernel
	.section	.text._ZN7rocprim17ROCPRIM_400000_NS6detail17trampoline_kernelINS0_14default_configENS1_38merge_sort_block_merge_config_selectorIxNS0_10empty_typeEEEZZNS1_27merge_sort_block_merge_implIS3_N6thrust23THRUST_200600_302600_NS6detail15normal_iteratorINS9_10device_ptrIxEEEEPS5_jNS1_19radix_merge_compareILb0ELb0ExNS0_19identity_decomposerEEEEE10hipError_tT0_T1_T2_jT3_P12ihipStream_tbPNSt15iterator_traitsISK_E10value_typeEPNSQ_ISL_E10value_typeEPSM_NS1_7vsmem_tEENKUlT_SK_SL_SM_E_clIPxSE_SF_SF_EESJ_SZ_SK_SL_SM_EUlSZ_E1_NS1_11comp_targetILNS1_3genE4ELNS1_11target_archE910ELNS1_3gpuE8ELNS1_3repE0EEENS1_36merge_oddeven_config_static_selectorELNS0_4arch9wavefront6targetE1EEEvSL_,"axG",@progbits,_ZN7rocprim17ROCPRIM_400000_NS6detail17trampoline_kernelINS0_14default_configENS1_38merge_sort_block_merge_config_selectorIxNS0_10empty_typeEEEZZNS1_27merge_sort_block_merge_implIS3_N6thrust23THRUST_200600_302600_NS6detail15normal_iteratorINS9_10device_ptrIxEEEEPS5_jNS1_19radix_merge_compareILb0ELb0ExNS0_19identity_decomposerEEEEE10hipError_tT0_T1_T2_jT3_P12ihipStream_tbPNSt15iterator_traitsISK_E10value_typeEPNSQ_ISL_E10value_typeEPSM_NS1_7vsmem_tEENKUlT_SK_SL_SM_E_clIPxSE_SF_SF_EESJ_SZ_SK_SL_SM_EUlSZ_E1_NS1_11comp_targetILNS1_3genE4ELNS1_11target_archE910ELNS1_3gpuE8ELNS1_3repE0EEENS1_36merge_oddeven_config_static_selectorELNS0_4arch9wavefront6targetE1EEEvSL_,comdat
.Lfunc_end1429:
	.size	_ZN7rocprim17ROCPRIM_400000_NS6detail17trampoline_kernelINS0_14default_configENS1_38merge_sort_block_merge_config_selectorIxNS0_10empty_typeEEEZZNS1_27merge_sort_block_merge_implIS3_N6thrust23THRUST_200600_302600_NS6detail15normal_iteratorINS9_10device_ptrIxEEEEPS5_jNS1_19radix_merge_compareILb0ELb0ExNS0_19identity_decomposerEEEEE10hipError_tT0_T1_T2_jT3_P12ihipStream_tbPNSt15iterator_traitsISK_E10value_typeEPNSQ_ISL_E10value_typeEPSM_NS1_7vsmem_tEENKUlT_SK_SL_SM_E_clIPxSE_SF_SF_EESJ_SZ_SK_SL_SM_EUlSZ_E1_NS1_11comp_targetILNS1_3genE4ELNS1_11target_archE910ELNS1_3gpuE8ELNS1_3repE0EEENS1_36merge_oddeven_config_static_selectorELNS0_4arch9wavefront6targetE1EEEvSL_, .Lfunc_end1429-_ZN7rocprim17ROCPRIM_400000_NS6detail17trampoline_kernelINS0_14default_configENS1_38merge_sort_block_merge_config_selectorIxNS0_10empty_typeEEEZZNS1_27merge_sort_block_merge_implIS3_N6thrust23THRUST_200600_302600_NS6detail15normal_iteratorINS9_10device_ptrIxEEEEPS5_jNS1_19radix_merge_compareILb0ELb0ExNS0_19identity_decomposerEEEEE10hipError_tT0_T1_T2_jT3_P12ihipStream_tbPNSt15iterator_traitsISK_E10value_typeEPNSQ_ISL_E10value_typeEPSM_NS1_7vsmem_tEENKUlT_SK_SL_SM_E_clIPxSE_SF_SF_EESJ_SZ_SK_SL_SM_EUlSZ_E1_NS1_11comp_targetILNS1_3genE4ELNS1_11target_archE910ELNS1_3gpuE8ELNS1_3repE0EEENS1_36merge_oddeven_config_static_selectorELNS0_4arch9wavefront6targetE1EEEvSL_
                                        ; -- End function
	.section	.AMDGPU.csdata,"",@progbits
; Kernel info:
; codeLenInByte = 0
; NumSgprs: 6
; NumVgprs: 0
; NumAgprs: 0
; TotalNumVgprs: 0
; ScratchSize: 0
; MemoryBound: 0
; FloatMode: 240
; IeeeMode: 1
; LDSByteSize: 0 bytes/workgroup (compile time only)
; SGPRBlocks: 0
; VGPRBlocks: 0
; NumSGPRsForWavesPerEU: 6
; NumVGPRsForWavesPerEU: 1
; AccumOffset: 4
; Occupancy: 8
; WaveLimiterHint : 0
; COMPUTE_PGM_RSRC2:SCRATCH_EN: 0
; COMPUTE_PGM_RSRC2:USER_SGPR: 2
; COMPUTE_PGM_RSRC2:TRAP_HANDLER: 0
; COMPUTE_PGM_RSRC2:TGID_X_EN: 1
; COMPUTE_PGM_RSRC2:TGID_Y_EN: 0
; COMPUTE_PGM_RSRC2:TGID_Z_EN: 0
; COMPUTE_PGM_RSRC2:TIDIG_COMP_CNT: 0
; COMPUTE_PGM_RSRC3_GFX90A:ACCUM_OFFSET: 0
; COMPUTE_PGM_RSRC3_GFX90A:TG_SPLIT: 0
	.section	.text._ZN7rocprim17ROCPRIM_400000_NS6detail17trampoline_kernelINS0_14default_configENS1_38merge_sort_block_merge_config_selectorIxNS0_10empty_typeEEEZZNS1_27merge_sort_block_merge_implIS3_N6thrust23THRUST_200600_302600_NS6detail15normal_iteratorINS9_10device_ptrIxEEEEPS5_jNS1_19radix_merge_compareILb0ELb0ExNS0_19identity_decomposerEEEEE10hipError_tT0_T1_T2_jT3_P12ihipStream_tbPNSt15iterator_traitsISK_E10value_typeEPNSQ_ISL_E10value_typeEPSM_NS1_7vsmem_tEENKUlT_SK_SL_SM_E_clIPxSE_SF_SF_EESJ_SZ_SK_SL_SM_EUlSZ_E1_NS1_11comp_targetILNS1_3genE3ELNS1_11target_archE908ELNS1_3gpuE7ELNS1_3repE0EEENS1_36merge_oddeven_config_static_selectorELNS0_4arch9wavefront6targetE1EEEvSL_,"axG",@progbits,_ZN7rocprim17ROCPRIM_400000_NS6detail17trampoline_kernelINS0_14default_configENS1_38merge_sort_block_merge_config_selectorIxNS0_10empty_typeEEEZZNS1_27merge_sort_block_merge_implIS3_N6thrust23THRUST_200600_302600_NS6detail15normal_iteratorINS9_10device_ptrIxEEEEPS5_jNS1_19radix_merge_compareILb0ELb0ExNS0_19identity_decomposerEEEEE10hipError_tT0_T1_T2_jT3_P12ihipStream_tbPNSt15iterator_traitsISK_E10value_typeEPNSQ_ISL_E10value_typeEPSM_NS1_7vsmem_tEENKUlT_SK_SL_SM_E_clIPxSE_SF_SF_EESJ_SZ_SK_SL_SM_EUlSZ_E1_NS1_11comp_targetILNS1_3genE3ELNS1_11target_archE908ELNS1_3gpuE7ELNS1_3repE0EEENS1_36merge_oddeven_config_static_selectorELNS0_4arch9wavefront6targetE1EEEvSL_,comdat
	.protected	_ZN7rocprim17ROCPRIM_400000_NS6detail17trampoline_kernelINS0_14default_configENS1_38merge_sort_block_merge_config_selectorIxNS0_10empty_typeEEEZZNS1_27merge_sort_block_merge_implIS3_N6thrust23THRUST_200600_302600_NS6detail15normal_iteratorINS9_10device_ptrIxEEEEPS5_jNS1_19radix_merge_compareILb0ELb0ExNS0_19identity_decomposerEEEEE10hipError_tT0_T1_T2_jT3_P12ihipStream_tbPNSt15iterator_traitsISK_E10value_typeEPNSQ_ISL_E10value_typeEPSM_NS1_7vsmem_tEENKUlT_SK_SL_SM_E_clIPxSE_SF_SF_EESJ_SZ_SK_SL_SM_EUlSZ_E1_NS1_11comp_targetILNS1_3genE3ELNS1_11target_archE908ELNS1_3gpuE7ELNS1_3repE0EEENS1_36merge_oddeven_config_static_selectorELNS0_4arch9wavefront6targetE1EEEvSL_ ; -- Begin function _ZN7rocprim17ROCPRIM_400000_NS6detail17trampoline_kernelINS0_14default_configENS1_38merge_sort_block_merge_config_selectorIxNS0_10empty_typeEEEZZNS1_27merge_sort_block_merge_implIS3_N6thrust23THRUST_200600_302600_NS6detail15normal_iteratorINS9_10device_ptrIxEEEEPS5_jNS1_19radix_merge_compareILb0ELb0ExNS0_19identity_decomposerEEEEE10hipError_tT0_T1_T2_jT3_P12ihipStream_tbPNSt15iterator_traitsISK_E10value_typeEPNSQ_ISL_E10value_typeEPSM_NS1_7vsmem_tEENKUlT_SK_SL_SM_E_clIPxSE_SF_SF_EESJ_SZ_SK_SL_SM_EUlSZ_E1_NS1_11comp_targetILNS1_3genE3ELNS1_11target_archE908ELNS1_3gpuE7ELNS1_3repE0EEENS1_36merge_oddeven_config_static_selectorELNS0_4arch9wavefront6targetE1EEEvSL_
	.globl	_ZN7rocprim17ROCPRIM_400000_NS6detail17trampoline_kernelINS0_14default_configENS1_38merge_sort_block_merge_config_selectorIxNS0_10empty_typeEEEZZNS1_27merge_sort_block_merge_implIS3_N6thrust23THRUST_200600_302600_NS6detail15normal_iteratorINS9_10device_ptrIxEEEEPS5_jNS1_19radix_merge_compareILb0ELb0ExNS0_19identity_decomposerEEEEE10hipError_tT0_T1_T2_jT3_P12ihipStream_tbPNSt15iterator_traitsISK_E10value_typeEPNSQ_ISL_E10value_typeEPSM_NS1_7vsmem_tEENKUlT_SK_SL_SM_E_clIPxSE_SF_SF_EESJ_SZ_SK_SL_SM_EUlSZ_E1_NS1_11comp_targetILNS1_3genE3ELNS1_11target_archE908ELNS1_3gpuE7ELNS1_3repE0EEENS1_36merge_oddeven_config_static_selectorELNS0_4arch9wavefront6targetE1EEEvSL_
	.p2align	8
	.type	_ZN7rocprim17ROCPRIM_400000_NS6detail17trampoline_kernelINS0_14default_configENS1_38merge_sort_block_merge_config_selectorIxNS0_10empty_typeEEEZZNS1_27merge_sort_block_merge_implIS3_N6thrust23THRUST_200600_302600_NS6detail15normal_iteratorINS9_10device_ptrIxEEEEPS5_jNS1_19radix_merge_compareILb0ELb0ExNS0_19identity_decomposerEEEEE10hipError_tT0_T1_T2_jT3_P12ihipStream_tbPNSt15iterator_traitsISK_E10value_typeEPNSQ_ISL_E10value_typeEPSM_NS1_7vsmem_tEENKUlT_SK_SL_SM_E_clIPxSE_SF_SF_EESJ_SZ_SK_SL_SM_EUlSZ_E1_NS1_11comp_targetILNS1_3genE3ELNS1_11target_archE908ELNS1_3gpuE7ELNS1_3repE0EEENS1_36merge_oddeven_config_static_selectorELNS0_4arch9wavefront6targetE1EEEvSL_,@function
_ZN7rocprim17ROCPRIM_400000_NS6detail17trampoline_kernelINS0_14default_configENS1_38merge_sort_block_merge_config_selectorIxNS0_10empty_typeEEEZZNS1_27merge_sort_block_merge_implIS3_N6thrust23THRUST_200600_302600_NS6detail15normal_iteratorINS9_10device_ptrIxEEEEPS5_jNS1_19radix_merge_compareILb0ELb0ExNS0_19identity_decomposerEEEEE10hipError_tT0_T1_T2_jT3_P12ihipStream_tbPNSt15iterator_traitsISK_E10value_typeEPNSQ_ISL_E10value_typeEPSM_NS1_7vsmem_tEENKUlT_SK_SL_SM_E_clIPxSE_SF_SF_EESJ_SZ_SK_SL_SM_EUlSZ_E1_NS1_11comp_targetILNS1_3genE3ELNS1_11target_archE908ELNS1_3gpuE7ELNS1_3repE0EEENS1_36merge_oddeven_config_static_selectorELNS0_4arch9wavefront6targetE1EEEvSL_: ; @_ZN7rocprim17ROCPRIM_400000_NS6detail17trampoline_kernelINS0_14default_configENS1_38merge_sort_block_merge_config_selectorIxNS0_10empty_typeEEEZZNS1_27merge_sort_block_merge_implIS3_N6thrust23THRUST_200600_302600_NS6detail15normal_iteratorINS9_10device_ptrIxEEEEPS5_jNS1_19radix_merge_compareILb0ELb0ExNS0_19identity_decomposerEEEEE10hipError_tT0_T1_T2_jT3_P12ihipStream_tbPNSt15iterator_traitsISK_E10value_typeEPNSQ_ISL_E10value_typeEPSM_NS1_7vsmem_tEENKUlT_SK_SL_SM_E_clIPxSE_SF_SF_EESJ_SZ_SK_SL_SM_EUlSZ_E1_NS1_11comp_targetILNS1_3genE3ELNS1_11target_archE908ELNS1_3gpuE7ELNS1_3repE0EEENS1_36merge_oddeven_config_static_selectorELNS0_4arch9wavefront6targetE1EEEvSL_
; %bb.0:
	.section	.rodata,"a",@progbits
	.p2align	6, 0x0
	.amdhsa_kernel _ZN7rocprim17ROCPRIM_400000_NS6detail17trampoline_kernelINS0_14default_configENS1_38merge_sort_block_merge_config_selectorIxNS0_10empty_typeEEEZZNS1_27merge_sort_block_merge_implIS3_N6thrust23THRUST_200600_302600_NS6detail15normal_iteratorINS9_10device_ptrIxEEEEPS5_jNS1_19radix_merge_compareILb0ELb0ExNS0_19identity_decomposerEEEEE10hipError_tT0_T1_T2_jT3_P12ihipStream_tbPNSt15iterator_traitsISK_E10value_typeEPNSQ_ISL_E10value_typeEPSM_NS1_7vsmem_tEENKUlT_SK_SL_SM_E_clIPxSE_SF_SF_EESJ_SZ_SK_SL_SM_EUlSZ_E1_NS1_11comp_targetILNS1_3genE3ELNS1_11target_archE908ELNS1_3gpuE7ELNS1_3repE0EEENS1_36merge_oddeven_config_static_selectorELNS0_4arch9wavefront6targetE1EEEvSL_
		.amdhsa_group_segment_fixed_size 0
		.amdhsa_private_segment_fixed_size 0
		.amdhsa_kernarg_size 48
		.amdhsa_user_sgpr_count 2
		.amdhsa_user_sgpr_dispatch_ptr 0
		.amdhsa_user_sgpr_queue_ptr 0
		.amdhsa_user_sgpr_kernarg_segment_ptr 1
		.amdhsa_user_sgpr_dispatch_id 0
		.amdhsa_user_sgpr_kernarg_preload_length 0
		.amdhsa_user_sgpr_kernarg_preload_offset 0
		.amdhsa_user_sgpr_private_segment_size 0
		.amdhsa_uses_dynamic_stack 0
		.amdhsa_enable_private_segment 0
		.amdhsa_system_sgpr_workgroup_id_x 1
		.amdhsa_system_sgpr_workgroup_id_y 0
		.amdhsa_system_sgpr_workgroup_id_z 0
		.amdhsa_system_sgpr_workgroup_info 0
		.amdhsa_system_vgpr_workitem_id 0
		.amdhsa_next_free_vgpr 1
		.amdhsa_next_free_sgpr 0
		.amdhsa_accum_offset 4
		.amdhsa_reserve_vcc 0
		.amdhsa_float_round_mode_32 0
		.amdhsa_float_round_mode_16_64 0
		.amdhsa_float_denorm_mode_32 3
		.amdhsa_float_denorm_mode_16_64 3
		.amdhsa_dx10_clamp 1
		.amdhsa_ieee_mode 1
		.amdhsa_fp16_overflow 0
		.amdhsa_tg_split 0
		.amdhsa_exception_fp_ieee_invalid_op 0
		.amdhsa_exception_fp_denorm_src 0
		.amdhsa_exception_fp_ieee_div_zero 0
		.amdhsa_exception_fp_ieee_overflow 0
		.amdhsa_exception_fp_ieee_underflow 0
		.amdhsa_exception_fp_ieee_inexact 0
		.amdhsa_exception_int_div_zero 0
	.end_amdhsa_kernel
	.section	.text._ZN7rocprim17ROCPRIM_400000_NS6detail17trampoline_kernelINS0_14default_configENS1_38merge_sort_block_merge_config_selectorIxNS0_10empty_typeEEEZZNS1_27merge_sort_block_merge_implIS3_N6thrust23THRUST_200600_302600_NS6detail15normal_iteratorINS9_10device_ptrIxEEEEPS5_jNS1_19radix_merge_compareILb0ELb0ExNS0_19identity_decomposerEEEEE10hipError_tT0_T1_T2_jT3_P12ihipStream_tbPNSt15iterator_traitsISK_E10value_typeEPNSQ_ISL_E10value_typeEPSM_NS1_7vsmem_tEENKUlT_SK_SL_SM_E_clIPxSE_SF_SF_EESJ_SZ_SK_SL_SM_EUlSZ_E1_NS1_11comp_targetILNS1_3genE3ELNS1_11target_archE908ELNS1_3gpuE7ELNS1_3repE0EEENS1_36merge_oddeven_config_static_selectorELNS0_4arch9wavefront6targetE1EEEvSL_,"axG",@progbits,_ZN7rocprim17ROCPRIM_400000_NS6detail17trampoline_kernelINS0_14default_configENS1_38merge_sort_block_merge_config_selectorIxNS0_10empty_typeEEEZZNS1_27merge_sort_block_merge_implIS3_N6thrust23THRUST_200600_302600_NS6detail15normal_iteratorINS9_10device_ptrIxEEEEPS5_jNS1_19radix_merge_compareILb0ELb0ExNS0_19identity_decomposerEEEEE10hipError_tT0_T1_T2_jT3_P12ihipStream_tbPNSt15iterator_traitsISK_E10value_typeEPNSQ_ISL_E10value_typeEPSM_NS1_7vsmem_tEENKUlT_SK_SL_SM_E_clIPxSE_SF_SF_EESJ_SZ_SK_SL_SM_EUlSZ_E1_NS1_11comp_targetILNS1_3genE3ELNS1_11target_archE908ELNS1_3gpuE7ELNS1_3repE0EEENS1_36merge_oddeven_config_static_selectorELNS0_4arch9wavefront6targetE1EEEvSL_,comdat
.Lfunc_end1430:
	.size	_ZN7rocprim17ROCPRIM_400000_NS6detail17trampoline_kernelINS0_14default_configENS1_38merge_sort_block_merge_config_selectorIxNS0_10empty_typeEEEZZNS1_27merge_sort_block_merge_implIS3_N6thrust23THRUST_200600_302600_NS6detail15normal_iteratorINS9_10device_ptrIxEEEEPS5_jNS1_19radix_merge_compareILb0ELb0ExNS0_19identity_decomposerEEEEE10hipError_tT0_T1_T2_jT3_P12ihipStream_tbPNSt15iterator_traitsISK_E10value_typeEPNSQ_ISL_E10value_typeEPSM_NS1_7vsmem_tEENKUlT_SK_SL_SM_E_clIPxSE_SF_SF_EESJ_SZ_SK_SL_SM_EUlSZ_E1_NS1_11comp_targetILNS1_3genE3ELNS1_11target_archE908ELNS1_3gpuE7ELNS1_3repE0EEENS1_36merge_oddeven_config_static_selectorELNS0_4arch9wavefront6targetE1EEEvSL_, .Lfunc_end1430-_ZN7rocprim17ROCPRIM_400000_NS6detail17trampoline_kernelINS0_14default_configENS1_38merge_sort_block_merge_config_selectorIxNS0_10empty_typeEEEZZNS1_27merge_sort_block_merge_implIS3_N6thrust23THRUST_200600_302600_NS6detail15normal_iteratorINS9_10device_ptrIxEEEEPS5_jNS1_19radix_merge_compareILb0ELb0ExNS0_19identity_decomposerEEEEE10hipError_tT0_T1_T2_jT3_P12ihipStream_tbPNSt15iterator_traitsISK_E10value_typeEPNSQ_ISL_E10value_typeEPSM_NS1_7vsmem_tEENKUlT_SK_SL_SM_E_clIPxSE_SF_SF_EESJ_SZ_SK_SL_SM_EUlSZ_E1_NS1_11comp_targetILNS1_3genE3ELNS1_11target_archE908ELNS1_3gpuE7ELNS1_3repE0EEENS1_36merge_oddeven_config_static_selectorELNS0_4arch9wavefront6targetE1EEEvSL_
                                        ; -- End function
	.section	.AMDGPU.csdata,"",@progbits
; Kernel info:
; codeLenInByte = 0
; NumSgprs: 6
; NumVgprs: 0
; NumAgprs: 0
; TotalNumVgprs: 0
; ScratchSize: 0
; MemoryBound: 0
; FloatMode: 240
; IeeeMode: 1
; LDSByteSize: 0 bytes/workgroup (compile time only)
; SGPRBlocks: 0
; VGPRBlocks: 0
; NumSGPRsForWavesPerEU: 6
; NumVGPRsForWavesPerEU: 1
; AccumOffset: 4
; Occupancy: 8
; WaveLimiterHint : 0
; COMPUTE_PGM_RSRC2:SCRATCH_EN: 0
; COMPUTE_PGM_RSRC2:USER_SGPR: 2
; COMPUTE_PGM_RSRC2:TRAP_HANDLER: 0
; COMPUTE_PGM_RSRC2:TGID_X_EN: 1
; COMPUTE_PGM_RSRC2:TGID_Y_EN: 0
; COMPUTE_PGM_RSRC2:TGID_Z_EN: 0
; COMPUTE_PGM_RSRC2:TIDIG_COMP_CNT: 0
; COMPUTE_PGM_RSRC3_GFX90A:ACCUM_OFFSET: 0
; COMPUTE_PGM_RSRC3_GFX90A:TG_SPLIT: 0
	.section	.text._ZN7rocprim17ROCPRIM_400000_NS6detail17trampoline_kernelINS0_14default_configENS1_38merge_sort_block_merge_config_selectorIxNS0_10empty_typeEEEZZNS1_27merge_sort_block_merge_implIS3_N6thrust23THRUST_200600_302600_NS6detail15normal_iteratorINS9_10device_ptrIxEEEEPS5_jNS1_19radix_merge_compareILb0ELb0ExNS0_19identity_decomposerEEEEE10hipError_tT0_T1_T2_jT3_P12ihipStream_tbPNSt15iterator_traitsISK_E10value_typeEPNSQ_ISL_E10value_typeEPSM_NS1_7vsmem_tEENKUlT_SK_SL_SM_E_clIPxSE_SF_SF_EESJ_SZ_SK_SL_SM_EUlSZ_E1_NS1_11comp_targetILNS1_3genE2ELNS1_11target_archE906ELNS1_3gpuE6ELNS1_3repE0EEENS1_36merge_oddeven_config_static_selectorELNS0_4arch9wavefront6targetE1EEEvSL_,"axG",@progbits,_ZN7rocprim17ROCPRIM_400000_NS6detail17trampoline_kernelINS0_14default_configENS1_38merge_sort_block_merge_config_selectorIxNS0_10empty_typeEEEZZNS1_27merge_sort_block_merge_implIS3_N6thrust23THRUST_200600_302600_NS6detail15normal_iteratorINS9_10device_ptrIxEEEEPS5_jNS1_19radix_merge_compareILb0ELb0ExNS0_19identity_decomposerEEEEE10hipError_tT0_T1_T2_jT3_P12ihipStream_tbPNSt15iterator_traitsISK_E10value_typeEPNSQ_ISL_E10value_typeEPSM_NS1_7vsmem_tEENKUlT_SK_SL_SM_E_clIPxSE_SF_SF_EESJ_SZ_SK_SL_SM_EUlSZ_E1_NS1_11comp_targetILNS1_3genE2ELNS1_11target_archE906ELNS1_3gpuE6ELNS1_3repE0EEENS1_36merge_oddeven_config_static_selectorELNS0_4arch9wavefront6targetE1EEEvSL_,comdat
	.protected	_ZN7rocprim17ROCPRIM_400000_NS6detail17trampoline_kernelINS0_14default_configENS1_38merge_sort_block_merge_config_selectorIxNS0_10empty_typeEEEZZNS1_27merge_sort_block_merge_implIS3_N6thrust23THRUST_200600_302600_NS6detail15normal_iteratorINS9_10device_ptrIxEEEEPS5_jNS1_19radix_merge_compareILb0ELb0ExNS0_19identity_decomposerEEEEE10hipError_tT0_T1_T2_jT3_P12ihipStream_tbPNSt15iterator_traitsISK_E10value_typeEPNSQ_ISL_E10value_typeEPSM_NS1_7vsmem_tEENKUlT_SK_SL_SM_E_clIPxSE_SF_SF_EESJ_SZ_SK_SL_SM_EUlSZ_E1_NS1_11comp_targetILNS1_3genE2ELNS1_11target_archE906ELNS1_3gpuE6ELNS1_3repE0EEENS1_36merge_oddeven_config_static_selectorELNS0_4arch9wavefront6targetE1EEEvSL_ ; -- Begin function _ZN7rocprim17ROCPRIM_400000_NS6detail17trampoline_kernelINS0_14default_configENS1_38merge_sort_block_merge_config_selectorIxNS0_10empty_typeEEEZZNS1_27merge_sort_block_merge_implIS3_N6thrust23THRUST_200600_302600_NS6detail15normal_iteratorINS9_10device_ptrIxEEEEPS5_jNS1_19radix_merge_compareILb0ELb0ExNS0_19identity_decomposerEEEEE10hipError_tT0_T1_T2_jT3_P12ihipStream_tbPNSt15iterator_traitsISK_E10value_typeEPNSQ_ISL_E10value_typeEPSM_NS1_7vsmem_tEENKUlT_SK_SL_SM_E_clIPxSE_SF_SF_EESJ_SZ_SK_SL_SM_EUlSZ_E1_NS1_11comp_targetILNS1_3genE2ELNS1_11target_archE906ELNS1_3gpuE6ELNS1_3repE0EEENS1_36merge_oddeven_config_static_selectorELNS0_4arch9wavefront6targetE1EEEvSL_
	.globl	_ZN7rocprim17ROCPRIM_400000_NS6detail17trampoline_kernelINS0_14default_configENS1_38merge_sort_block_merge_config_selectorIxNS0_10empty_typeEEEZZNS1_27merge_sort_block_merge_implIS3_N6thrust23THRUST_200600_302600_NS6detail15normal_iteratorINS9_10device_ptrIxEEEEPS5_jNS1_19radix_merge_compareILb0ELb0ExNS0_19identity_decomposerEEEEE10hipError_tT0_T1_T2_jT3_P12ihipStream_tbPNSt15iterator_traitsISK_E10value_typeEPNSQ_ISL_E10value_typeEPSM_NS1_7vsmem_tEENKUlT_SK_SL_SM_E_clIPxSE_SF_SF_EESJ_SZ_SK_SL_SM_EUlSZ_E1_NS1_11comp_targetILNS1_3genE2ELNS1_11target_archE906ELNS1_3gpuE6ELNS1_3repE0EEENS1_36merge_oddeven_config_static_selectorELNS0_4arch9wavefront6targetE1EEEvSL_
	.p2align	8
	.type	_ZN7rocprim17ROCPRIM_400000_NS6detail17trampoline_kernelINS0_14default_configENS1_38merge_sort_block_merge_config_selectorIxNS0_10empty_typeEEEZZNS1_27merge_sort_block_merge_implIS3_N6thrust23THRUST_200600_302600_NS6detail15normal_iteratorINS9_10device_ptrIxEEEEPS5_jNS1_19radix_merge_compareILb0ELb0ExNS0_19identity_decomposerEEEEE10hipError_tT0_T1_T2_jT3_P12ihipStream_tbPNSt15iterator_traitsISK_E10value_typeEPNSQ_ISL_E10value_typeEPSM_NS1_7vsmem_tEENKUlT_SK_SL_SM_E_clIPxSE_SF_SF_EESJ_SZ_SK_SL_SM_EUlSZ_E1_NS1_11comp_targetILNS1_3genE2ELNS1_11target_archE906ELNS1_3gpuE6ELNS1_3repE0EEENS1_36merge_oddeven_config_static_selectorELNS0_4arch9wavefront6targetE1EEEvSL_,@function
_ZN7rocprim17ROCPRIM_400000_NS6detail17trampoline_kernelINS0_14default_configENS1_38merge_sort_block_merge_config_selectorIxNS0_10empty_typeEEEZZNS1_27merge_sort_block_merge_implIS3_N6thrust23THRUST_200600_302600_NS6detail15normal_iteratorINS9_10device_ptrIxEEEEPS5_jNS1_19radix_merge_compareILb0ELb0ExNS0_19identity_decomposerEEEEE10hipError_tT0_T1_T2_jT3_P12ihipStream_tbPNSt15iterator_traitsISK_E10value_typeEPNSQ_ISL_E10value_typeEPSM_NS1_7vsmem_tEENKUlT_SK_SL_SM_E_clIPxSE_SF_SF_EESJ_SZ_SK_SL_SM_EUlSZ_E1_NS1_11comp_targetILNS1_3genE2ELNS1_11target_archE906ELNS1_3gpuE6ELNS1_3repE0EEENS1_36merge_oddeven_config_static_selectorELNS0_4arch9wavefront6targetE1EEEvSL_: ; @_ZN7rocprim17ROCPRIM_400000_NS6detail17trampoline_kernelINS0_14default_configENS1_38merge_sort_block_merge_config_selectorIxNS0_10empty_typeEEEZZNS1_27merge_sort_block_merge_implIS3_N6thrust23THRUST_200600_302600_NS6detail15normal_iteratorINS9_10device_ptrIxEEEEPS5_jNS1_19radix_merge_compareILb0ELb0ExNS0_19identity_decomposerEEEEE10hipError_tT0_T1_T2_jT3_P12ihipStream_tbPNSt15iterator_traitsISK_E10value_typeEPNSQ_ISL_E10value_typeEPSM_NS1_7vsmem_tEENKUlT_SK_SL_SM_E_clIPxSE_SF_SF_EESJ_SZ_SK_SL_SM_EUlSZ_E1_NS1_11comp_targetILNS1_3genE2ELNS1_11target_archE906ELNS1_3gpuE6ELNS1_3repE0EEENS1_36merge_oddeven_config_static_selectorELNS0_4arch9wavefront6targetE1EEEvSL_
; %bb.0:
	.section	.rodata,"a",@progbits
	.p2align	6, 0x0
	.amdhsa_kernel _ZN7rocprim17ROCPRIM_400000_NS6detail17trampoline_kernelINS0_14default_configENS1_38merge_sort_block_merge_config_selectorIxNS0_10empty_typeEEEZZNS1_27merge_sort_block_merge_implIS3_N6thrust23THRUST_200600_302600_NS6detail15normal_iteratorINS9_10device_ptrIxEEEEPS5_jNS1_19radix_merge_compareILb0ELb0ExNS0_19identity_decomposerEEEEE10hipError_tT0_T1_T2_jT3_P12ihipStream_tbPNSt15iterator_traitsISK_E10value_typeEPNSQ_ISL_E10value_typeEPSM_NS1_7vsmem_tEENKUlT_SK_SL_SM_E_clIPxSE_SF_SF_EESJ_SZ_SK_SL_SM_EUlSZ_E1_NS1_11comp_targetILNS1_3genE2ELNS1_11target_archE906ELNS1_3gpuE6ELNS1_3repE0EEENS1_36merge_oddeven_config_static_selectorELNS0_4arch9wavefront6targetE1EEEvSL_
		.amdhsa_group_segment_fixed_size 0
		.amdhsa_private_segment_fixed_size 0
		.amdhsa_kernarg_size 48
		.amdhsa_user_sgpr_count 2
		.amdhsa_user_sgpr_dispatch_ptr 0
		.amdhsa_user_sgpr_queue_ptr 0
		.amdhsa_user_sgpr_kernarg_segment_ptr 1
		.amdhsa_user_sgpr_dispatch_id 0
		.amdhsa_user_sgpr_kernarg_preload_length 0
		.amdhsa_user_sgpr_kernarg_preload_offset 0
		.amdhsa_user_sgpr_private_segment_size 0
		.amdhsa_uses_dynamic_stack 0
		.amdhsa_enable_private_segment 0
		.amdhsa_system_sgpr_workgroup_id_x 1
		.amdhsa_system_sgpr_workgroup_id_y 0
		.amdhsa_system_sgpr_workgroup_id_z 0
		.amdhsa_system_sgpr_workgroup_info 0
		.amdhsa_system_vgpr_workitem_id 0
		.amdhsa_next_free_vgpr 1
		.amdhsa_next_free_sgpr 0
		.amdhsa_accum_offset 4
		.amdhsa_reserve_vcc 0
		.amdhsa_float_round_mode_32 0
		.amdhsa_float_round_mode_16_64 0
		.amdhsa_float_denorm_mode_32 3
		.amdhsa_float_denorm_mode_16_64 3
		.amdhsa_dx10_clamp 1
		.amdhsa_ieee_mode 1
		.amdhsa_fp16_overflow 0
		.amdhsa_tg_split 0
		.amdhsa_exception_fp_ieee_invalid_op 0
		.amdhsa_exception_fp_denorm_src 0
		.amdhsa_exception_fp_ieee_div_zero 0
		.amdhsa_exception_fp_ieee_overflow 0
		.amdhsa_exception_fp_ieee_underflow 0
		.amdhsa_exception_fp_ieee_inexact 0
		.amdhsa_exception_int_div_zero 0
	.end_amdhsa_kernel
	.section	.text._ZN7rocprim17ROCPRIM_400000_NS6detail17trampoline_kernelINS0_14default_configENS1_38merge_sort_block_merge_config_selectorIxNS0_10empty_typeEEEZZNS1_27merge_sort_block_merge_implIS3_N6thrust23THRUST_200600_302600_NS6detail15normal_iteratorINS9_10device_ptrIxEEEEPS5_jNS1_19radix_merge_compareILb0ELb0ExNS0_19identity_decomposerEEEEE10hipError_tT0_T1_T2_jT3_P12ihipStream_tbPNSt15iterator_traitsISK_E10value_typeEPNSQ_ISL_E10value_typeEPSM_NS1_7vsmem_tEENKUlT_SK_SL_SM_E_clIPxSE_SF_SF_EESJ_SZ_SK_SL_SM_EUlSZ_E1_NS1_11comp_targetILNS1_3genE2ELNS1_11target_archE906ELNS1_3gpuE6ELNS1_3repE0EEENS1_36merge_oddeven_config_static_selectorELNS0_4arch9wavefront6targetE1EEEvSL_,"axG",@progbits,_ZN7rocprim17ROCPRIM_400000_NS6detail17trampoline_kernelINS0_14default_configENS1_38merge_sort_block_merge_config_selectorIxNS0_10empty_typeEEEZZNS1_27merge_sort_block_merge_implIS3_N6thrust23THRUST_200600_302600_NS6detail15normal_iteratorINS9_10device_ptrIxEEEEPS5_jNS1_19radix_merge_compareILb0ELb0ExNS0_19identity_decomposerEEEEE10hipError_tT0_T1_T2_jT3_P12ihipStream_tbPNSt15iterator_traitsISK_E10value_typeEPNSQ_ISL_E10value_typeEPSM_NS1_7vsmem_tEENKUlT_SK_SL_SM_E_clIPxSE_SF_SF_EESJ_SZ_SK_SL_SM_EUlSZ_E1_NS1_11comp_targetILNS1_3genE2ELNS1_11target_archE906ELNS1_3gpuE6ELNS1_3repE0EEENS1_36merge_oddeven_config_static_selectorELNS0_4arch9wavefront6targetE1EEEvSL_,comdat
.Lfunc_end1431:
	.size	_ZN7rocprim17ROCPRIM_400000_NS6detail17trampoline_kernelINS0_14default_configENS1_38merge_sort_block_merge_config_selectorIxNS0_10empty_typeEEEZZNS1_27merge_sort_block_merge_implIS3_N6thrust23THRUST_200600_302600_NS6detail15normal_iteratorINS9_10device_ptrIxEEEEPS5_jNS1_19radix_merge_compareILb0ELb0ExNS0_19identity_decomposerEEEEE10hipError_tT0_T1_T2_jT3_P12ihipStream_tbPNSt15iterator_traitsISK_E10value_typeEPNSQ_ISL_E10value_typeEPSM_NS1_7vsmem_tEENKUlT_SK_SL_SM_E_clIPxSE_SF_SF_EESJ_SZ_SK_SL_SM_EUlSZ_E1_NS1_11comp_targetILNS1_3genE2ELNS1_11target_archE906ELNS1_3gpuE6ELNS1_3repE0EEENS1_36merge_oddeven_config_static_selectorELNS0_4arch9wavefront6targetE1EEEvSL_, .Lfunc_end1431-_ZN7rocprim17ROCPRIM_400000_NS6detail17trampoline_kernelINS0_14default_configENS1_38merge_sort_block_merge_config_selectorIxNS0_10empty_typeEEEZZNS1_27merge_sort_block_merge_implIS3_N6thrust23THRUST_200600_302600_NS6detail15normal_iteratorINS9_10device_ptrIxEEEEPS5_jNS1_19radix_merge_compareILb0ELb0ExNS0_19identity_decomposerEEEEE10hipError_tT0_T1_T2_jT3_P12ihipStream_tbPNSt15iterator_traitsISK_E10value_typeEPNSQ_ISL_E10value_typeEPSM_NS1_7vsmem_tEENKUlT_SK_SL_SM_E_clIPxSE_SF_SF_EESJ_SZ_SK_SL_SM_EUlSZ_E1_NS1_11comp_targetILNS1_3genE2ELNS1_11target_archE906ELNS1_3gpuE6ELNS1_3repE0EEENS1_36merge_oddeven_config_static_selectorELNS0_4arch9wavefront6targetE1EEEvSL_
                                        ; -- End function
	.section	.AMDGPU.csdata,"",@progbits
; Kernel info:
; codeLenInByte = 0
; NumSgprs: 6
; NumVgprs: 0
; NumAgprs: 0
; TotalNumVgprs: 0
; ScratchSize: 0
; MemoryBound: 0
; FloatMode: 240
; IeeeMode: 1
; LDSByteSize: 0 bytes/workgroup (compile time only)
; SGPRBlocks: 0
; VGPRBlocks: 0
; NumSGPRsForWavesPerEU: 6
; NumVGPRsForWavesPerEU: 1
; AccumOffset: 4
; Occupancy: 8
; WaveLimiterHint : 0
; COMPUTE_PGM_RSRC2:SCRATCH_EN: 0
; COMPUTE_PGM_RSRC2:USER_SGPR: 2
; COMPUTE_PGM_RSRC2:TRAP_HANDLER: 0
; COMPUTE_PGM_RSRC2:TGID_X_EN: 1
; COMPUTE_PGM_RSRC2:TGID_Y_EN: 0
; COMPUTE_PGM_RSRC2:TGID_Z_EN: 0
; COMPUTE_PGM_RSRC2:TIDIG_COMP_CNT: 0
; COMPUTE_PGM_RSRC3_GFX90A:ACCUM_OFFSET: 0
; COMPUTE_PGM_RSRC3_GFX90A:TG_SPLIT: 0
	.section	.text._ZN7rocprim17ROCPRIM_400000_NS6detail17trampoline_kernelINS0_14default_configENS1_38merge_sort_block_merge_config_selectorIxNS0_10empty_typeEEEZZNS1_27merge_sort_block_merge_implIS3_N6thrust23THRUST_200600_302600_NS6detail15normal_iteratorINS9_10device_ptrIxEEEEPS5_jNS1_19radix_merge_compareILb0ELb0ExNS0_19identity_decomposerEEEEE10hipError_tT0_T1_T2_jT3_P12ihipStream_tbPNSt15iterator_traitsISK_E10value_typeEPNSQ_ISL_E10value_typeEPSM_NS1_7vsmem_tEENKUlT_SK_SL_SM_E_clIPxSE_SF_SF_EESJ_SZ_SK_SL_SM_EUlSZ_E1_NS1_11comp_targetILNS1_3genE9ELNS1_11target_archE1100ELNS1_3gpuE3ELNS1_3repE0EEENS1_36merge_oddeven_config_static_selectorELNS0_4arch9wavefront6targetE1EEEvSL_,"axG",@progbits,_ZN7rocprim17ROCPRIM_400000_NS6detail17trampoline_kernelINS0_14default_configENS1_38merge_sort_block_merge_config_selectorIxNS0_10empty_typeEEEZZNS1_27merge_sort_block_merge_implIS3_N6thrust23THRUST_200600_302600_NS6detail15normal_iteratorINS9_10device_ptrIxEEEEPS5_jNS1_19radix_merge_compareILb0ELb0ExNS0_19identity_decomposerEEEEE10hipError_tT0_T1_T2_jT3_P12ihipStream_tbPNSt15iterator_traitsISK_E10value_typeEPNSQ_ISL_E10value_typeEPSM_NS1_7vsmem_tEENKUlT_SK_SL_SM_E_clIPxSE_SF_SF_EESJ_SZ_SK_SL_SM_EUlSZ_E1_NS1_11comp_targetILNS1_3genE9ELNS1_11target_archE1100ELNS1_3gpuE3ELNS1_3repE0EEENS1_36merge_oddeven_config_static_selectorELNS0_4arch9wavefront6targetE1EEEvSL_,comdat
	.protected	_ZN7rocprim17ROCPRIM_400000_NS6detail17trampoline_kernelINS0_14default_configENS1_38merge_sort_block_merge_config_selectorIxNS0_10empty_typeEEEZZNS1_27merge_sort_block_merge_implIS3_N6thrust23THRUST_200600_302600_NS6detail15normal_iteratorINS9_10device_ptrIxEEEEPS5_jNS1_19radix_merge_compareILb0ELb0ExNS0_19identity_decomposerEEEEE10hipError_tT0_T1_T2_jT3_P12ihipStream_tbPNSt15iterator_traitsISK_E10value_typeEPNSQ_ISL_E10value_typeEPSM_NS1_7vsmem_tEENKUlT_SK_SL_SM_E_clIPxSE_SF_SF_EESJ_SZ_SK_SL_SM_EUlSZ_E1_NS1_11comp_targetILNS1_3genE9ELNS1_11target_archE1100ELNS1_3gpuE3ELNS1_3repE0EEENS1_36merge_oddeven_config_static_selectorELNS0_4arch9wavefront6targetE1EEEvSL_ ; -- Begin function _ZN7rocprim17ROCPRIM_400000_NS6detail17trampoline_kernelINS0_14default_configENS1_38merge_sort_block_merge_config_selectorIxNS0_10empty_typeEEEZZNS1_27merge_sort_block_merge_implIS3_N6thrust23THRUST_200600_302600_NS6detail15normal_iteratorINS9_10device_ptrIxEEEEPS5_jNS1_19radix_merge_compareILb0ELb0ExNS0_19identity_decomposerEEEEE10hipError_tT0_T1_T2_jT3_P12ihipStream_tbPNSt15iterator_traitsISK_E10value_typeEPNSQ_ISL_E10value_typeEPSM_NS1_7vsmem_tEENKUlT_SK_SL_SM_E_clIPxSE_SF_SF_EESJ_SZ_SK_SL_SM_EUlSZ_E1_NS1_11comp_targetILNS1_3genE9ELNS1_11target_archE1100ELNS1_3gpuE3ELNS1_3repE0EEENS1_36merge_oddeven_config_static_selectorELNS0_4arch9wavefront6targetE1EEEvSL_
	.globl	_ZN7rocprim17ROCPRIM_400000_NS6detail17trampoline_kernelINS0_14default_configENS1_38merge_sort_block_merge_config_selectorIxNS0_10empty_typeEEEZZNS1_27merge_sort_block_merge_implIS3_N6thrust23THRUST_200600_302600_NS6detail15normal_iteratorINS9_10device_ptrIxEEEEPS5_jNS1_19radix_merge_compareILb0ELb0ExNS0_19identity_decomposerEEEEE10hipError_tT0_T1_T2_jT3_P12ihipStream_tbPNSt15iterator_traitsISK_E10value_typeEPNSQ_ISL_E10value_typeEPSM_NS1_7vsmem_tEENKUlT_SK_SL_SM_E_clIPxSE_SF_SF_EESJ_SZ_SK_SL_SM_EUlSZ_E1_NS1_11comp_targetILNS1_3genE9ELNS1_11target_archE1100ELNS1_3gpuE3ELNS1_3repE0EEENS1_36merge_oddeven_config_static_selectorELNS0_4arch9wavefront6targetE1EEEvSL_
	.p2align	8
	.type	_ZN7rocprim17ROCPRIM_400000_NS6detail17trampoline_kernelINS0_14default_configENS1_38merge_sort_block_merge_config_selectorIxNS0_10empty_typeEEEZZNS1_27merge_sort_block_merge_implIS3_N6thrust23THRUST_200600_302600_NS6detail15normal_iteratorINS9_10device_ptrIxEEEEPS5_jNS1_19radix_merge_compareILb0ELb0ExNS0_19identity_decomposerEEEEE10hipError_tT0_T1_T2_jT3_P12ihipStream_tbPNSt15iterator_traitsISK_E10value_typeEPNSQ_ISL_E10value_typeEPSM_NS1_7vsmem_tEENKUlT_SK_SL_SM_E_clIPxSE_SF_SF_EESJ_SZ_SK_SL_SM_EUlSZ_E1_NS1_11comp_targetILNS1_3genE9ELNS1_11target_archE1100ELNS1_3gpuE3ELNS1_3repE0EEENS1_36merge_oddeven_config_static_selectorELNS0_4arch9wavefront6targetE1EEEvSL_,@function
_ZN7rocprim17ROCPRIM_400000_NS6detail17trampoline_kernelINS0_14default_configENS1_38merge_sort_block_merge_config_selectorIxNS0_10empty_typeEEEZZNS1_27merge_sort_block_merge_implIS3_N6thrust23THRUST_200600_302600_NS6detail15normal_iteratorINS9_10device_ptrIxEEEEPS5_jNS1_19radix_merge_compareILb0ELb0ExNS0_19identity_decomposerEEEEE10hipError_tT0_T1_T2_jT3_P12ihipStream_tbPNSt15iterator_traitsISK_E10value_typeEPNSQ_ISL_E10value_typeEPSM_NS1_7vsmem_tEENKUlT_SK_SL_SM_E_clIPxSE_SF_SF_EESJ_SZ_SK_SL_SM_EUlSZ_E1_NS1_11comp_targetILNS1_3genE9ELNS1_11target_archE1100ELNS1_3gpuE3ELNS1_3repE0EEENS1_36merge_oddeven_config_static_selectorELNS0_4arch9wavefront6targetE1EEEvSL_: ; @_ZN7rocprim17ROCPRIM_400000_NS6detail17trampoline_kernelINS0_14default_configENS1_38merge_sort_block_merge_config_selectorIxNS0_10empty_typeEEEZZNS1_27merge_sort_block_merge_implIS3_N6thrust23THRUST_200600_302600_NS6detail15normal_iteratorINS9_10device_ptrIxEEEEPS5_jNS1_19radix_merge_compareILb0ELb0ExNS0_19identity_decomposerEEEEE10hipError_tT0_T1_T2_jT3_P12ihipStream_tbPNSt15iterator_traitsISK_E10value_typeEPNSQ_ISL_E10value_typeEPSM_NS1_7vsmem_tEENKUlT_SK_SL_SM_E_clIPxSE_SF_SF_EESJ_SZ_SK_SL_SM_EUlSZ_E1_NS1_11comp_targetILNS1_3genE9ELNS1_11target_archE1100ELNS1_3gpuE3ELNS1_3repE0EEENS1_36merge_oddeven_config_static_selectorELNS0_4arch9wavefront6targetE1EEEvSL_
; %bb.0:
	.section	.rodata,"a",@progbits
	.p2align	6, 0x0
	.amdhsa_kernel _ZN7rocprim17ROCPRIM_400000_NS6detail17trampoline_kernelINS0_14default_configENS1_38merge_sort_block_merge_config_selectorIxNS0_10empty_typeEEEZZNS1_27merge_sort_block_merge_implIS3_N6thrust23THRUST_200600_302600_NS6detail15normal_iteratorINS9_10device_ptrIxEEEEPS5_jNS1_19radix_merge_compareILb0ELb0ExNS0_19identity_decomposerEEEEE10hipError_tT0_T1_T2_jT3_P12ihipStream_tbPNSt15iterator_traitsISK_E10value_typeEPNSQ_ISL_E10value_typeEPSM_NS1_7vsmem_tEENKUlT_SK_SL_SM_E_clIPxSE_SF_SF_EESJ_SZ_SK_SL_SM_EUlSZ_E1_NS1_11comp_targetILNS1_3genE9ELNS1_11target_archE1100ELNS1_3gpuE3ELNS1_3repE0EEENS1_36merge_oddeven_config_static_selectorELNS0_4arch9wavefront6targetE1EEEvSL_
		.amdhsa_group_segment_fixed_size 0
		.amdhsa_private_segment_fixed_size 0
		.amdhsa_kernarg_size 48
		.amdhsa_user_sgpr_count 2
		.amdhsa_user_sgpr_dispatch_ptr 0
		.amdhsa_user_sgpr_queue_ptr 0
		.amdhsa_user_sgpr_kernarg_segment_ptr 1
		.amdhsa_user_sgpr_dispatch_id 0
		.amdhsa_user_sgpr_kernarg_preload_length 0
		.amdhsa_user_sgpr_kernarg_preload_offset 0
		.amdhsa_user_sgpr_private_segment_size 0
		.amdhsa_uses_dynamic_stack 0
		.amdhsa_enable_private_segment 0
		.amdhsa_system_sgpr_workgroup_id_x 1
		.amdhsa_system_sgpr_workgroup_id_y 0
		.amdhsa_system_sgpr_workgroup_id_z 0
		.amdhsa_system_sgpr_workgroup_info 0
		.amdhsa_system_vgpr_workitem_id 0
		.amdhsa_next_free_vgpr 1
		.amdhsa_next_free_sgpr 0
		.amdhsa_accum_offset 4
		.amdhsa_reserve_vcc 0
		.amdhsa_float_round_mode_32 0
		.amdhsa_float_round_mode_16_64 0
		.amdhsa_float_denorm_mode_32 3
		.amdhsa_float_denorm_mode_16_64 3
		.amdhsa_dx10_clamp 1
		.amdhsa_ieee_mode 1
		.amdhsa_fp16_overflow 0
		.amdhsa_tg_split 0
		.amdhsa_exception_fp_ieee_invalid_op 0
		.amdhsa_exception_fp_denorm_src 0
		.amdhsa_exception_fp_ieee_div_zero 0
		.amdhsa_exception_fp_ieee_overflow 0
		.amdhsa_exception_fp_ieee_underflow 0
		.amdhsa_exception_fp_ieee_inexact 0
		.amdhsa_exception_int_div_zero 0
	.end_amdhsa_kernel
	.section	.text._ZN7rocprim17ROCPRIM_400000_NS6detail17trampoline_kernelINS0_14default_configENS1_38merge_sort_block_merge_config_selectorIxNS0_10empty_typeEEEZZNS1_27merge_sort_block_merge_implIS3_N6thrust23THRUST_200600_302600_NS6detail15normal_iteratorINS9_10device_ptrIxEEEEPS5_jNS1_19radix_merge_compareILb0ELb0ExNS0_19identity_decomposerEEEEE10hipError_tT0_T1_T2_jT3_P12ihipStream_tbPNSt15iterator_traitsISK_E10value_typeEPNSQ_ISL_E10value_typeEPSM_NS1_7vsmem_tEENKUlT_SK_SL_SM_E_clIPxSE_SF_SF_EESJ_SZ_SK_SL_SM_EUlSZ_E1_NS1_11comp_targetILNS1_3genE9ELNS1_11target_archE1100ELNS1_3gpuE3ELNS1_3repE0EEENS1_36merge_oddeven_config_static_selectorELNS0_4arch9wavefront6targetE1EEEvSL_,"axG",@progbits,_ZN7rocprim17ROCPRIM_400000_NS6detail17trampoline_kernelINS0_14default_configENS1_38merge_sort_block_merge_config_selectorIxNS0_10empty_typeEEEZZNS1_27merge_sort_block_merge_implIS3_N6thrust23THRUST_200600_302600_NS6detail15normal_iteratorINS9_10device_ptrIxEEEEPS5_jNS1_19radix_merge_compareILb0ELb0ExNS0_19identity_decomposerEEEEE10hipError_tT0_T1_T2_jT3_P12ihipStream_tbPNSt15iterator_traitsISK_E10value_typeEPNSQ_ISL_E10value_typeEPSM_NS1_7vsmem_tEENKUlT_SK_SL_SM_E_clIPxSE_SF_SF_EESJ_SZ_SK_SL_SM_EUlSZ_E1_NS1_11comp_targetILNS1_3genE9ELNS1_11target_archE1100ELNS1_3gpuE3ELNS1_3repE0EEENS1_36merge_oddeven_config_static_selectorELNS0_4arch9wavefront6targetE1EEEvSL_,comdat
.Lfunc_end1432:
	.size	_ZN7rocprim17ROCPRIM_400000_NS6detail17trampoline_kernelINS0_14default_configENS1_38merge_sort_block_merge_config_selectorIxNS0_10empty_typeEEEZZNS1_27merge_sort_block_merge_implIS3_N6thrust23THRUST_200600_302600_NS6detail15normal_iteratorINS9_10device_ptrIxEEEEPS5_jNS1_19radix_merge_compareILb0ELb0ExNS0_19identity_decomposerEEEEE10hipError_tT0_T1_T2_jT3_P12ihipStream_tbPNSt15iterator_traitsISK_E10value_typeEPNSQ_ISL_E10value_typeEPSM_NS1_7vsmem_tEENKUlT_SK_SL_SM_E_clIPxSE_SF_SF_EESJ_SZ_SK_SL_SM_EUlSZ_E1_NS1_11comp_targetILNS1_3genE9ELNS1_11target_archE1100ELNS1_3gpuE3ELNS1_3repE0EEENS1_36merge_oddeven_config_static_selectorELNS0_4arch9wavefront6targetE1EEEvSL_, .Lfunc_end1432-_ZN7rocprim17ROCPRIM_400000_NS6detail17trampoline_kernelINS0_14default_configENS1_38merge_sort_block_merge_config_selectorIxNS0_10empty_typeEEEZZNS1_27merge_sort_block_merge_implIS3_N6thrust23THRUST_200600_302600_NS6detail15normal_iteratorINS9_10device_ptrIxEEEEPS5_jNS1_19radix_merge_compareILb0ELb0ExNS0_19identity_decomposerEEEEE10hipError_tT0_T1_T2_jT3_P12ihipStream_tbPNSt15iterator_traitsISK_E10value_typeEPNSQ_ISL_E10value_typeEPSM_NS1_7vsmem_tEENKUlT_SK_SL_SM_E_clIPxSE_SF_SF_EESJ_SZ_SK_SL_SM_EUlSZ_E1_NS1_11comp_targetILNS1_3genE9ELNS1_11target_archE1100ELNS1_3gpuE3ELNS1_3repE0EEENS1_36merge_oddeven_config_static_selectorELNS0_4arch9wavefront6targetE1EEEvSL_
                                        ; -- End function
	.section	.AMDGPU.csdata,"",@progbits
; Kernel info:
; codeLenInByte = 0
; NumSgprs: 6
; NumVgprs: 0
; NumAgprs: 0
; TotalNumVgprs: 0
; ScratchSize: 0
; MemoryBound: 0
; FloatMode: 240
; IeeeMode: 1
; LDSByteSize: 0 bytes/workgroup (compile time only)
; SGPRBlocks: 0
; VGPRBlocks: 0
; NumSGPRsForWavesPerEU: 6
; NumVGPRsForWavesPerEU: 1
; AccumOffset: 4
; Occupancy: 8
; WaveLimiterHint : 0
; COMPUTE_PGM_RSRC2:SCRATCH_EN: 0
; COMPUTE_PGM_RSRC2:USER_SGPR: 2
; COMPUTE_PGM_RSRC2:TRAP_HANDLER: 0
; COMPUTE_PGM_RSRC2:TGID_X_EN: 1
; COMPUTE_PGM_RSRC2:TGID_Y_EN: 0
; COMPUTE_PGM_RSRC2:TGID_Z_EN: 0
; COMPUTE_PGM_RSRC2:TIDIG_COMP_CNT: 0
; COMPUTE_PGM_RSRC3_GFX90A:ACCUM_OFFSET: 0
; COMPUTE_PGM_RSRC3_GFX90A:TG_SPLIT: 0
	.section	.text._ZN7rocprim17ROCPRIM_400000_NS6detail17trampoline_kernelINS0_14default_configENS1_38merge_sort_block_merge_config_selectorIxNS0_10empty_typeEEEZZNS1_27merge_sort_block_merge_implIS3_N6thrust23THRUST_200600_302600_NS6detail15normal_iteratorINS9_10device_ptrIxEEEEPS5_jNS1_19radix_merge_compareILb0ELb0ExNS0_19identity_decomposerEEEEE10hipError_tT0_T1_T2_jT3_P12ihipStream_tbPNSt15iterator_traitsISK_E10value_typeEPNSQ_ISL_E10value_typeEPSM_NS1_7vsmem_tEENKUlT_SK_SL_SM_E_clIPxSE_SF_SF_EESJ_SZ_SK_SL_SM_EUlSZ_E1_NS1_11comp_targetILNS1_3genE8ELNS1_11target_archE1030ELNS1_3gpuE2ELNS1_3repE0EEENS1_36merge_oddeven_config_static_selectorELNS0_4arch9wavefront6targetE1EEEvSL_,"axG",@progbits,_ZN7rocprim17ROCPRIM_400000_NS6detail17trampoline_kernelINS0_14default_configENS1_38merge_sort_block_merge_config_selectorIxNS0_10empty_typeEEEZZNS1_27merge_sort_block_merge_implIS3_N6thrust23THRUST_200600_302600_NS6detail15normal_iteratorINS9_10device_ptrIxEEEEPS5_jNS1_19radix_merge_compareILb0ELb0ExNS0_19identity_decomposerEEEEE10hipError_tT0_T1_T2_jT3_P12ihipStream_tbPNSt15iterator_traitsISK_E10value_typeEPNSQ_ISL_E10value_typeEPSM_NS1_7vsmem_tEENKUlT_SK_SL_SM_E_clIPxSE_SF_SF_EESJ_SZ_SK_SL_SM_EUlSZ_E1_NS1_11comp_targetILNS1_3genE8ELNS1_11target_archE1030ELNS1_3gpuE2ELNS1_3repE0EEENS1_36merge_oddeven_config_static_selectorELNS0_4arch9wavefront6targetE1EEEvSL_,comdat
	.protected	_ZN7rocprim17ROCPRIM_400000_NS6detail17trampoline_kernelINS0_14default_configENS1_38merge_sort_block_merge_config_selectorIxNS0_10empty_typeEEEZZNS1_27merge_sort_block_merge_implIS3_N6thrust23THRUST_200600_302600_NS6detail15normal_iteratorINS9_10device_ptrIxEEEEPS5_jNS1_19radix_merge_compareILb0ELb0ExNS0_19identity_decomposerEEEEE10hipError_tT0_T1_T2_jT3_P12ihipStream_tbPNSt15iterator_traitsISK_E10value_typeEPNSQ_ISL_E10value_typeEPSM_NS1_7vsmem_tEENKUlT_SK_SL_SM_E_clIPxSE_SF_SF_EESJ_SZ_SK_SL_SM_EUlSZ_E1_NS1_11comp_targetILNS1_3genE8ELNS1_11target_archE1030ELNS1_3gpuE2ELNS1_3repE0EEENS1_36merge_oddeven_config_static_selectorELNS0_4arch9wavefront6targetE1EEEvSL_ ; -- Begin function _ZN7rocprim17ROCPRIM_400000_NS6detail17trampoline_kernelINS0_14default_configENS1_38merge_sort_block_merge_config_selectorIxNS0_10empty_typeEEEZZNS1_27merge_sort_block_merge_implIS3_N6thrust23THRUST_200600_302600_NS6detail15normal_iteratorINS9_10device_ptrIxEEEEPS5_jNS1_19radix_merge_compareILb0ELb0ExNS0_19identity_decomposerEEEEE10hipError_tT0_T1_T2_jT3_P12ihipStream_tbPNSt15iterator_traitsISK_E10value_typeEPNSQ_ISL_E10value_typeEPSM_NS1_7vsmem_tEENKUlT_SK_SL_SM_E_clIPxSE_SF_SF_EESJ_SZ_SK_SL_SM_EUlSZ_E1_NS1_11comp_targetILNS1_3genE8ELNS1_11target_archE1030ELNS1_3gpuE2ELNS1_3repE0EEENS1_36merge_oddeven_config_static_selectorELNS0_4arch9wavefront6targetE1EEEvSL_
	.globl	_ZN7rocprim17ROCPRIM_400000_NS6detail17trampoline_kernelINS0_14default_configENS1_38merge_sort_block_merge_config_selectorIxNS0_10empty_typeEEEZZNS1_27merge_sort_block_merge_implIS3_N6thrust23THRUST_200600_302600_NS6detail15normal_iteratorINS9_10device_ptrIxEEEEPS5_jNS1_19radix_merge_compareILb0ELb0ExNS0_19identity_decomposerEEEEE10hipError_tT0_T1_T2_jT3_P12ihipStream_tbPNSt15iterator_traitsISK_E10value_typeEPNSQ_ISL_E10value_typeEPSM_NS1_7vsmem_tEENKUlT_SK_SL_SM_E_clIPxSE_SF_SF_EESJ_SZ_SK_SL_SM_EUlSZ_E1_NS1_11comp_targetILNS1_3genE8ELNS1_11target_archE1030ELNS1_3gpuE2ELNS1_3repE0EEENS1_36merge_oddeven_config_static_selectorELNS0_4arch9wavefront6targetE1EEEvSL_
	.p2align	8
	.type	_ZN7rocprim17ROCPRIM_400000_NS6detail17trampoline_kernelINS0_14default_configENS1_38merge_sort_block_merge_config_selectorIxNS0_10empty_typeEEEZZNS1_27merge_sort_block_merge_implIS3_N6thrust23THRUST_200600_302600_NS6detail15normal_iteratorINS9_10device_ptrIxEEEEPS5_jNS1_19radix_merge_compareILb0ELb0ExNS0_19identity_decomposerEEEEE10hipError_tT0_T1_T2_jT3_P12ihipStream_tbPNSt15iterator_traitsISK_E10value_typeEPNSQ_ISL_E10value_typeEPSM_NS1_7vsmem_tEENKUlT_SK_SL_SM_E_clIPxSE_SF_SF_EESJ_SZ_SK_SL_SM_EUlSZ_E1_NS1_11comp_targetILNS1_3genE8ELNS1_11target_archE1030ELNS1_3gpuE2ELNS1_3repE0EEENS1_36merge_oddeven_config_static_selectorELNS0_4arch9wavefront6targetE1EEEvSL_,@function
_ZN7rocprim17ROCPRIM_400000_NS6detail17trampoline_kernelINS0_14default_configENS1_38merge_sort_block_merge_config_selectorIxNS0_10empty_typeEEEZZNS1_27merge_sort_block_merge_implIS3_N6thrust23THRUST_200600_302600_NS6detail15normal_iteratorINS9_10device_ptrIxEEEEPS5_jNS1_19radix_merge_compareILb0ELb0ExNS0_19identity_decomposerEEEEE10hipError_tT0_T1_T2_jT3_P12ihipStream_tbPNSt15iterator_traitsISK_E10value_typeEPNSQ_ISL_E10value_typeEPSM_NS1_7vsmem_tEENKUlT_SK_SL_SM_E_clIPxSE_SF_SF_EESJ_SZ_SK_SL_SM_EUlSZ_E1_NS1_11comp_targetILNS1_3genE8ELNS1_11target_archE1030ELNS1_3gpuE2ELNS1_3repE0EEENS1_36merge_oddeven_config_static_selectorELNS0_4arch9wavefront6targetE1EEEvSL_: ; @_ZN7rocprim17ROCPRIM_400000_NS6detail17trampoline_kernelINS0_14default_configENS1_38merge_sort_block_merge_config_selectorIxNS0_10empty_typeEEEZZNS1_27merge_sort_block_merge_implIS3_N6thrust23THRUST_200600_302600_NS6detail15normal_iteratorINS9_10device_ptrIxEEEEPS5_jNS1_19radix_merge_compareILb0ELb0ExNS0_19identity_decomposerEEEEE10hipError_tT0_T1_T2_jT3_P12ihipStream_tbPNSt15iterator_traitsISK_E10value_typeEPNSQ_ISL_E10value_typeEPSM_NS1_7vsmem_tEENKUlT_SK_SL_SM_E_clIPxSE_SF_SF_EESJ_SZ_SK_SL_SM_EUlSZ_E1_NS1_11comp_targetILNS1_3genE8ELNS1_11target_archE1030ELNS1_3gpuE2ELNS1_3repE0EEENS1_36merge_oddeven_config_static_selectorELNS0_4arch9wavefront6targetE1EEEvSL_
; %bb.0:
	.section	.rodata,"a",@progbits
	.p2align	6, 0x0
	.amdhsa_kernel _ZN7rocprim17ROCPRIM_400000_NS6detail17trampoline_kernelINS0_14default_configENS1_38merge_sort_block_merge_config_selectorIxNS0_10empty_typeEEEZZNS1_27merge_sort_block_merge_implIS3_N6thrust23THRUST_200600_302600_NS6detail15normal_iteratorINS9_10device_ptrIxEEEEPS5_jNS1_19radix_merge_compareILb0ELb0ExNS0_19identity_decomposerEEEEE10hipError_tT0_T1_T2_jT3_P12ihipStream_tbPNSt15iterator_traitsISK_E10value_typeEPNSQ_ISL_E10value_typeEPSM_NS1_7vsmem_tEENKUlT_SK_SL_SM_E_clIPxSE_SF_SF_EESJ_SZ_SK_SL_SM_EUlSZ_E1_NS1_11comp_targetILNS1_3genE8ELNS1_11target_archE1030ELNS1_3gpuE2ELNS1_3repE0EEENS1_36merge_oddeven_config_static_selectorELNS0_4arch9wavefront6targetE1EEEvSL_
		.amdhsa_group_segment_fixed_size 0
		.amdhsa_private_segment_fixed_size 0
		.amdhsa_kernarg_size 48
		.amdhsa_user_sgpr_count 2
		.amdhsa_user_sgpr_dispatch_ptr 0
		.amdhsa_user_sgpr_queue_ptr 0
		.amdhsa_user_sgpr_kernarg_segment_ptr 1
		.amdhsa_user_sgpr_dispatch_id 0
		.amdhsa_user_sgpr_kernarg_preload_length 0
		.amdhsa_user_sgpr_kernarg_preload_offset 0
		.amdhsa_user_sgpr_private_segment_size 0
		.amdhsa_uses_dynamic_stack 0
		.amdhsa_enable_private_segment 0
		.amdhsa_system_sgpr_workgroup_id_x 1
		.amdhsa_system_sgpr_workgroup_id_y 0
		.amdhsa_system_sgpr_workgroup_id_z 0
		.amdhsa_system_sgpr_workgroup_info 0
		.amdhsa_system_vgpr_workitem_id 0
		.amdhsa_next_free_vgpr 1
		.amdhsa_next_free_sgpr 0
		.amdhsa_accum_offset 4
		.amdhsa_reserve_vcc 0
		.amdhsa_float_round_mode_32 0
		.amdhsa_float_round_mode_16_64 0
		.amdhsa_float_denorm_mode_32 3
		.amdhsa_float_denorm_mode_16_64 3
		.amdhsa_dx10_clamp 1
		.amdhsa_ieee_mode 1
		.amdhsa_fp16_overflow 0
		.amdhsa_tg_split 0
		.amdhsa_exception_fp_ieee_invalid_op 0
		.amdhsa_exception_fp_denorm_src 0
		.amdhsa_exception_fp_ieee_div_zero 0
		.amdhsa_exception_fp_ieee_overflow 0
		.amdhsa_exception_fp_ieee_underflow 0
		.amdhsa_exception_fp_ieee_inexact 0
		.amdhsa_exception_int_div_zero 0
	.end_amdhsa_kernel
	.section	.text._ZN7rocprim17ROCPRIM_400000_NS6detail17trampoline_kernelINS0_14default_configENS1_38merge_sort_block_merge_config_selectorIxNS0_10empty_typeEEEZZNS1_27merge_sort_block_merge_implIS3_N6thrust23THRUST_200600_302600_NS6detail15normal_iteratorINS9_10device_ptrIxEEEEPS5_jNS1_19radix_merge_compareILb0ELb0ExNS0_19identity_decomposerEEEEE10hipError_tT0_T1_T2_jT3_P12ihipStream_tbPNSt15iterator_traitsISK_E10value_typeEPNSQ_ISL_E10value_typeEPSM_NS1_7vsmem_tEENKUlT_SK_SL_SM_E_clIPxSE_SF_SF_EESJ_SZ_SK_SL_SM_EUlSZ_E1_NS1_11comp_targetILNS1_3genE8ELNS1_11target_archE1030ELNS1_3gpuE2ELNS1_3repE0EEENS1_36merge_oddeven_config_static_selectorELNS0_4arch9wavefront6targetE1EEEvSL_,"axG",@progbits,_ZN7rocprim17ROCPRIM_400000_NS6detail17trampoline_kernelINS0_14default_configENS1_38merge_sort_block_merge_config_selectorIxNS0_10empty_typeEEEZZNS1_27merge_sort_block_merge_implIS3_N6thrust23THRUST_200600_302600_NS6detail15normal_iteratorINS9_10device_ptrIxEEEEPS5_jNS1_19radix_merge_compareILb0ELb0ExNS0_19identity_decomposerEEEEE10hipError_tT0_T1_T2_jT3_P12ihipStream_tbPNSt15iterator_traitsISK_E10value_typeEPNSQ_ISL_E10value_typeEPSM_NS1_7vsmem_tEENKUlT_SK_SL_SM_E_clIPxSE_SF_SF_EESJ_SZ_SK_SL_SM_EUlSZ_E1_NS1_11comp_targetILNS1_3genE8ELNS1_11target_archE1030ELNS1_3gpuE2ELNS1_3repE0EEENS1_36merge_oddeven_config_static_selectorELNS0_4arch9wavefront6targetE1EEEvSL_,comdat
.Lfunc_end1433:
	.size	_ZN7rocprim17ROCPRIM_400000_NS6detail17trampoline_kernelINS0_14default_configENS1_38merge_sort_block_merge_config_selectorIxNS0_10empty_typeEEEZZNS1_27merge_sort_block_merge_implIS3_N6thrust23THRUST_200600_302600_NS6detail15normal_iteratorINS9_10device_ptrIxEEEEPS5_jNS1_19radix_merge_compareILb0ELb0ExNS0_19identity_decomposerEEEEE10hipError_tT0_T1_T2_jT3_P12ihipStream_tbPNSt15iterator_traitsISK_E10value_typeEPNSQ_ISL_E10value_typeEPSM_NS1_7vsmem_tEENKUlT_SK_SL_SM_E_clIPxSE_SF_SF_EESJ_SZ_SK_SL_SM_EUlSZ_E1_NS1_11comp_targetILNS1_3genE8ELNS1_11target_archE1030ELNS1_3gpuE2ELNS1_3repE0EEENS1_36merge_oddeven_config_static_selectorELNS0_4arch9wavefront6targetE1EEEvSL_, .Lfunc_end1433-_ZN7rocprim17ROCPRIM_400000_NS6detail17trampoline_kernelINS0_14default_configENS1_38merge_sort_block_merge_config_selectorIxNS0_10empty_typeEEEZZNS1_27merge_sort_block_merge_implIS3_N6thrust23THRUST_200600_302600_NS6detail15normal_iteratorINS9_10device_ptrIxEEEEPS5_jNS1_19radix_merge_compareILb0ELb0ExNS0_19identity_decomposerEEEEE10hipError_tT0_T1_T2_jT3_P12ihipStream_tbPNSt15iterator_traitsISK_E10value_typeEPNSQ_ISL_E10value_typeEPSM_NS1_7vsmem_tEENKUlT_SK_SL_SM_E_clIPxSE_SF_SF_EESJ_SZ_SK_SL_SM_EUlSZ_E1_NS1_11comp_targetILNS1_3genE8ELNS1_11target_archE1030ELNS1_3gpuE2ELNS1_3repE0EEENS1_36merge_oddeven_config_static_selectorELNS0_4arch9wavefront6targetE1EEEvSL_
                                        ; -- End function
	.section	.AMDGPU.csdata,"",@progbits
; Kernel info:
; codeLenInByte = 0
; NumSgprs: 6
; NumVgprs: 0
; NumAgprs: 0
; TotalNumVgprs: 0
; ScratchSize: 0
; MemoryBound: 0
; FloatMode: 240
; IeeeMode: 1
; LDSByteSize: 0 bytes/workgroup (compile time only)
; SGPRBlocks: 0
; VGPRBlocks: 0
; NumSGPRsForWavesPerEU: 6
; NumVGPRsForWavesPerEU: 1
; AccumOffset: 4
; Occupancy: 8
; WaveLimiterHint : 0
; COMPUTE_PGM_RSRC2:SCRATCH_EN: 0
; COMPUTE_PGM_RSRC2:USER_SGPR: 2
; COMPUTE_PGM_RSRC2:TRAP_HANDLER: 0
; COMPUTE_PGM_RSRC2:TGID_X_EN: 1
; COMPUTE_PGM_RSRC2:TGID_Y_EN: 0
; COMPUTE_PGM_RSRC2:TGID_Z_EN: 0
; COMPUTE_PGM_RSRC2:TIDIG_COMP_CNT: 0
; COMPUTE_PGM_RSRC3_GFX90A:ACCUM_OFFSET: 0
; COMPUTE_PGM_RSRC3_GFX90A:TG_SPLIT: 0
	.section	.text._ZN7rocprim17ROCPRIM_400000_NS6detail17trampoline_kernelINS0_14default_configENS1_38merge_sort_block_merge_config_selectorIxNS0_10empty_typeEEEZZNS1_27merge_sort_block_merge_implIS3_N6thrust23THRUST_200600_302600_NS6detail15normal_iteratorINS9_10device_ptrIxEEEEPS5_jNS1_19radix_merge_compareILb0ELb0ExNS0_19identity_decomposerEEEEE10hipError_tT0_T1_T2_jT3_P12ihipStream_tbPNSt15iterator_traitsISK_E10value_typeEPNSQ_ISL_E10value_typeEPSM_NS1_7vsmem_tEENKUlT_SK_SL_SM_E_clISE_PxSF_SF_EESJ_SZ_SK_SL_SM_EUlSZ_E_NS1_11comp_targetILNS1_3genE0ELNS1_11target_archE4294967295ELNS1_3gpuE0ELNS1_3repE0EEENS1_48merge_mergepath_partition_config_static_selectorELNS0_4arch9wavefront6targetE1EEEvSL_,"axG",@progbits,_ZN7rocprim17ROCPRIM_400000_NS6detail17trampoline_kernelINS0_14default_configENS1_38merge_sort_block_merge_config_selectorIxNS0_10empty_typeEEEZZNS1_27merge_sort_block_merge_implIS3_N6thrust23THRUST_200600_302600_NS6detail15normal_iteratorINS9_10device_ptrIxEEEEPS5_jNS1_19radix_merge_compareILb0ELb0ExNS0_19identity_decomposerEEEEE10hipError_tT0_T1_T2_jT3_P12ihipStream_tbPNSt15iterator_traitsISK_E10value_typeEPNSQ_ISL_E10value_typeEPSM_NS1_7vsmem_tEENKUlT_SK_SL_SM_E_clISE_PxSF_SF_EESJ_SZ_SK_SL_SM_EUlSZ_E_NS1_11comp_targetILNS1_3genE0ELNS1_11target_archE4294967295ELNS1_3gpuE0ELNS1_3repE0EEENS1_48merge_mergepath_partition_config_static_selectorELNS0_4arch9wavefront6targetE1EEEvSL_,comdat
	.protected	_ZN7rocprim17ROCPRIM_400000_NS6detail17trampoline_kernelINS0_14default_configENS1_38merge_sort_block_merge_config_selectorIxNS0_10empty_typeEEEZZNS1_27merge_sort_block_merge_implIS3_N6thrust23THRUST_200600_302600_NS6detail15normal_iteratorINS9_10device_ptrIxEEEEPS5_jNS1_19radix_merge_compareILb0ELb0ExNS0_19identity_decomposerEEEEE10hipError_tT0_T1_T2_jT3_P12ihipStream_tbPNSt15iterator_traitsISK_E10value_typeEPNSQ_ISL_E10value_typeEPSM_NS1_7vsmem_tEENKUlT_SK_SL_SM_E_clISE_PxSF_SF_EESJ_SZ_SK_SL_SM_EUlSZ_E_NS1_11comp_targetILNS1_3genE0ELNS1_11target_archE4294967295ELNS1_3gpuE0ELNS1_3repE0EEENS1_48merge_mergepath_partition_config_static_selectorELNS0_4arch9wavefront6targetE1EEEvSL_ ; -- Begin function _ZN7rocprim17ROCPRIM_400000_NS6detail17trampoline_kernelINS0_14default_configENS1_38merge_sort_block_merge_config_selectorIxNS0_10empty_typeEEEZZNS1_27merge_sort_block_merge_implIS3_N6thrust23THRUST_200600_302600_NS6detail15normal_iteratorINS9_10device_ptrIxEEEEPS5_jNS1_19radix_merge_compareILb0ELb0ExNS0_19identity_decomposerEEEEE10hipError_tT0_T1_T2_jT3_P12ihipStream_tbPNSt15iterator_traitsISK_E10value_typeEPNSQ_ISL_E10value_typeEPSM_NS1_7vsmem_tEENKUlT_SK_SL_SM_E_clISE_PxSF_SF_EESJ_SZ_SK_SL_SM_EUlSZ_E_NS1_11comp_targetILNS1_3genE0ELNS1_11target_archE4294967295ELNS1_3gpuE0ELNS1_3repE0EEENS1_48merge_mergepath_partition_config_static_selectorELNS0_4arch9wavefront6targetE1EEEvSL_
	.globl	_ZN7rocprim17ROCPRIM_400000_NS6detail17trampoline_kernelINS0_14default_configENS1_38merge_sort_block_merge_config_selectorIxNS0_10empty_typeEEEZZNS1_27merge_sort_block_merge_implIS3_N6thrust23THRUST_200600_302600_NS6detail15normal_iteratorINS9_10device_ptrIxEEEEPS5_jNS1_19radix_merge_compareILb0ELb0ExNS0_19identity_decomposerEEEEE10hipError_tT0_T1_T2_jT3_P12ihipStream_tbPNSt15iterator_traitsISK_E10value_typeEPNSQ_ISL_E10value_typeEPSM_NS1_7vsmem_tEENKUlT_SK_SL_SM_E_clISE_PxSF_SF_EESJ_SZ_SK_SL_SM_EUlSZ_E_NS1_11comp_targetILNS1_3genE0ELNS1_11target_archE4294967295ELNS1_3gpuE0ELNS1_3repE0EEENS1_48merge_mergepath_partition_config_static_selectorELNS0_4arch9wavefront6targetE1EEEvSL_
	.p2align	8
	.type	_ZN7rocprim17ROCPRIM_400000_NS6detail17trampoline_kernelINS0_14default_configENS1_38merge_sort_block_merge_config_selectorIxNS0_10empty_typeEEEZZNS1_27merge_sort_block_merge_implIS3_N6thrust23THRUST_200600_302600_NS6detail15normal_iteratorINS9_10device_ptrIxEEEEPS5_jNS1_19radix_merge_compareILb0ELb0ExNS0_19identity_decomposerEEEEE10hipError_tT0_T1_T2_jT3_P12ihipStream_tbPNSt15iterator_traitsISK_E10value_typeEPNSQ_ISL_E10value_typeEPSM_NS1_7vsmem_tEENKUlT_SK_SL_SM_E_clISE_PxSF_SF_EESJ_SZ_SK_SL_SM_EUlSZ_E_NS1_11comp_targetILNS1_3genE0ELNS1_11target_archE4294967295ELNS1_3gpuE0ELNS1_3repE0EEENS1_48merge_mergepath_partition_config_static_selectorELNS0_4arch9wavefront6targetE1EEEvSL_,@function
_ZN7rocprim17ROCPRIM_400000_NS6detail17trampoline_kernelINS0_14default_configENS1_38merge_sort_block_merge_config_selectorIxNS0_10empty_typeEEEZZNS1_27merge_sort_block_merge_implIS3_N6thrust23THRUST_200600_302600_NS6detail15normal_iteratorINS9_10device_ptrIxEEEEPS5_jNS1_19radix_merge_compareILb0ELb0ExNS0_19identity_decomposerEEEEE10hipError_tT0_T1_T2_jT3_P12ihipStream_tbPNSt15iterator_traitsISK_E10value_typeEPNSQ_ISL_E10value_typeEPSM_NS1_7vsmem_tEENKUlT_SK_SL_SM_E_clISE_PxSF_SF_EESJ_SZ_SK_SL_SM_EUlSZ_E_NS1_11comp_targetILNS1_3genE0ELNS1_11target_archE4294967295ELNS1_3gpuE0ELNS1_3repE0EEENS1_48merge_mergepath_partition_config_static_selectorELNS0_4arch9wavefront6targetE1EEEvSL_: ; @_ZN7rocprim17ROCPRIM_400000_NS6detail17trampoline_kernelINS0_14default_configENS1_38merge_sort_block_merge_config_selectorIxNS0_10empty_typeEEEZZNS1_27merge_sort_block_merge_implIS3_N6thrust23THRUST_200600_302600_NS6detail15normal_iteratorINS9_10device_ptrIxEEEEPS5_jNS1_19radix_merge_compareILb0ELb0ExNS0_19identity_decomposerEEEEE10hipError_tT0_T1_T2_jT3_P12ihipStream_tbPNSt15iterator_traitsISK_E10value_typeEPNSQ_ISL_E10value_typeEPSM_NS1_7vsmem_tEENKUlT_SK_SL_SM_E_clISE_PxSF_SF_EESJ_SZ_SK_SL_SM_EUlSZ_E_NS1_11comp_targetILNS1_3genE0ELNS1_11target_archE4294967295ELNS1_3gpuE0ELNS1_3repE0EEENS1_48merge_mergepath_partition_config_static_selectorELNS0_4arch9wavefront6targetE1EEEvSL_
; %bb.0:
	.section	.rodata,"a",@progbits
	.p2align	6, 0x0
	.amdhsa_kernel _ZN7rocprim17ROCPRIM_400000_NS6detail17trampoline_kernelINS0_14default_configENS1_38merge_sort_block_merge_config_selectorIxNS0_10empty_typeEEEZZNS1_27merge_sort_block_merge_implIS3_N6thrust23THRUST_200600_302600_NS6detail15normal_iteratorINS9_10device_ptrIxEEEEPS5_jNS1_19radix_merge_compareILb0ELb0ExNS0_19identity_decomposerEEEEE10hipError_tT0_T1_T2_jT3_P12ihipStream_tbPNSt15iterator_traitsISK_E10value_typeEPNSQ_ISL_E10value_typeEPSM_NS1_7vsmem_tEENKUlT_SK_SL_SM_E_clISE_PxSF_SF_EESJ_SZ_SK_SL_SM_EUlSZ_E_NS1_11comp_targetILNS1_3genE0ELNS1_11target_archE4294967295ELNS1_3gpuE0ELNS1_3repE0EEENS1_48merge_mergepath_partition_config_static_selectorELNS0_4arch9wavefront6targetE1EEEvSL_
		.amdhsa_group_segment_fixed_size 0
		.amdhsa_private_segment_fixed_size 0
		.amdhsa_kernarg_size 40
		.amdhsa_user_sgpr_count 2
		.amdhsa_user_sgpr_dispatch_ptr 0
		.amdhsa_user_sgpr_queue_ptr 0
		.amdhsa_user_sgpr_kernarg_segment_ptr 1
		.amdhsa_user_sgpr_dispatch_id 0
		.amdhsa_user_sgpr_kernarg_preload_length 0
		.amdhsa_user_sgpr_kernarg_preload_offset 0
		.amdhsa_user_sgpr_private_segment_size 0
		.amdhsa_uses_dynamic_stack 0
		.amdhsa_enable_private_segment 0
		.amdhsa_system_sgpr_workgroup_id_x 1
		.amdhsa_system_sgpr_workgroup_id_y 0
		.amdhsa_system_sgpr_workgroup_id_z 0
		.amdhsa_system_sgpr_workgroup_info 0
		.amdhsa_system_vgpr_workitem_id 0
		.amdhsa_next_free_vgpr 1
		.amdhsa_next_free_sgpr 0
		.amdhsa_accum_offset 4
		.amdhsa_reserve_vcc 0
		.amdhsa_float_round_mode_32 0
		.amdhsa_float_round_mode_16_64 0
		.amdhsa_float_denorm_mode_32 3
		.amdhsa_float_denorm_mode_16_64 3
		.amdhsa_dx10_clamp 1
		.amdhsa_ieee_mode 1
		.amdhsa_fp16_overflow 0
		.amdhsa_tg_split 0
		.amdhsa_exception_fp_ieee_invalid_op 0
		.amdhsa_exception_fp_denorm_src 0
		.amdhsa_exception_fp_ieee_div_zero 0
		.amdhsa_exception_fp_ieee_overflow 0
		.amdhsa_exception_fp_ieee_underflow 0
		.amdhsa_exception_fp_ieee_inexact 0
		.amdhsa_exception_int_div_zero 0
	.end_amdhsa_kernel
	.section	.text._ZN7rocprim17ROCPRIM_400000_NS6detail17trampoline_kernelINS0_14default_configENS1_38merge_sort_block_merge_config_selectorIxNS0_10empty_typeEEEZZNS1_27merge_sort_block_merge_implIS3_N6thrust23THRUST_200600_302600_NS6detail15normal_iteratorINS9_10device_ptrIxEEEEPS5_jNS1_19radix_merge_compareILb0ELb0ExNS0_19identity_decomposerEEEEE10hipError_tT0_T1_T2_jT3_P12ihipStream_tbPNSt15iterator_traitsISK_E10value_typeEPNSQ_ISL_E10value_typeEPSM_NS1_7vsmem_tEENKUlT_SK_SL_SM_E_clISE_PxSF_SF_EESJ_SZ_SK_SL_SM_EUlSZ_E_NS1_11comp_targetILNS1_3genE0ELNS1_11target_archE4294967295ELNS1_3gpuE0ELNS1_3repE0EEENS1_48merge_mergepath_partition_config_static_selectorELNS0_4arch9wavefront6targetE1EEEvSL_,"axG",@progbits,_ZN7rocprim17ROCPRIM_400000_NS6detail17trampoline_kernelINS0_14default_configENS1_38merge_sort_block_merge_config_selectorIxNS0_10empty_typeEEEZZNS1_27merge_sort_block_merge_implIS3_N6thrust23THRUST_200600_302600_NS6detail15normal_iteratorINS9_10device_ptrIxEEEEPS5_jNS1_19radix_merge_compareILb0ELb0ExNS0_19identity_decomposerEEEEE10hipError_tT0_T1_T2_jT3_P12ihipStream_tbPNSt15iterator_traitsISK_E10value_typeEPNSQ_ISL_E10value_typeEPSM_NS1_7vsmem_tEENKUlT_SK_SL_SM_E_clISE_PxSF_SF_EESJ_SZ_SK_SL_SM_EUlSZ_E_NS1_11comp_targetILNS1_3genE0ELNS1_11target_archE4294967295ELNS1_3gpuE0ELNS1_3repE0EEENS1_48merge_mergepath_partition_config_static_selectorELNS0_4arch9wavefront6targetE1EEEvSL_,comdat
.Lfunc_end1434:
	.size	_ZN7rocprim17ROCPRIM_400000_NS6detail17trampoline_kernelINS0_14default_configENS1_38merge_sort_block_merge_config_selectorIxNS0_10empty_typeEEEZZNS1_27merge_sort_block_merge_implIS3_N6thrust23THRUST_200600_302600_NS6detail15normal_iteratorINS9_10device_ptrIxEEEEPS5_jNS1_19radix_merge_compareILb0ELb0ExNS0_19identity_decomposerEEEEE10hipError_tT0_T1_T2_jT3_P12ihipStream_tbPNSt15iterator_traitsISK_E10value_typeEPNSQ_ISL_E10value_typeEPSM_NS1_7vsmem_tEENKUlT_SK_SL_SM_E_clISE_PxSF_SF_EESJ_SZ_SK_SL_SM_EUlSZ_E_NS1_11comp_targetILNS1_3genE0ELNS1_11target_archE4294967295ELNS1_3gpuE0ELNS1_3repE0EEENS1_48merge_mergepath_partition_config_static_selectorELNS0_4arch9wavefront6targetE1EEEvSL_, .Lfunc_end1434-_ZN7rocprim17ROCPRIM_400000_NS6detail17trampoline_kernelINS0_14default_configENS1_38merge_sort_block_merge_config_selectorIxNS0_10empty_typeEEEZZNS1_27merge_sort_block_merge_implIS3_N6thrust23THRUST_200600_302600_NS6detail15normal_iteratorINS9_10device_ptrIxEEEEPS5_jNS1_19radix_merge_compareILb0ELb0ExNS0_19identity_decomposerEEEEE10hipError_tT0_T1_T2_jT3_P12ihipStream_tbPNSt15iterator_traitsISK_E10value_typeEPNSQ_ISL_E10value_typeEPSM_NS1_7vsmem_tEENKUlT_SK_SL_SM_E_clISE_PxSF_SF_EESJ_SZ_SK_SL_SM_EUlSZ_E_NS1_11comp_targetILNS1_3genE0ELNS1_11target_archE4294967295ELNS1_3gpuE0ELNS1_3repE0EEENS1_48merge_mergepath_partition_config_static_selectorELNS0_4arch9wavefront6targetE1EEEvSL_
                                        ; -- End function
	.section	.AMDGPU.csdata,"",@progbits
; Kernel info:
; codeLenInByte = 0
; NumSgprs: 6
; NumVgprs: 0
; NumAgprs: 0
; TotalNumVgprs: 0
; ScratchSize: 0
; MemoryBound: 0
; FloatMode: 240
; IeeeMode: 1
; LDSByteSize: 0 bytes/workgroup (compile time only)
; SGPRBlocks: 0
; VGPRBlocks: 0
; NumSGPRsForWavesPerEU: 6
; NumVGPRsForWavesPerEU: 1
; AccumOffset: 4
; Occupancy: 8
; WaveLimiterHint : 0
; COMPUTE_PGM_RSRC2:SCRATCH_EN: 0
; COMPUTE_PGM_RSRC2:USER_SGPR: 2
; COMPUTE_PGM_RSRC2:TRAP_HANDLER: 0
; COMPUTE_PGM_RSRC2:TGID_X_EN: 1
; COMPUTE_PGM_RSRC2:TGID_Y_EN: 0
; COMPUTE_PGM_RSRC2:TGID_Z_EN: 0
; COMPUTE_PGM_RSRC2:TIDIG_COMP_CNT: 0
; COMPUTE_PGM_RSRC3_GFX90A:ACCUM_OFFSET: 0
; COMPUTE_PGM_RSRC3_GFX90A:TG_SPLIT: 0
	.section	.text._ZN7rocprim17ROCPRIM_400000_NS6detail17trampoline_kernelINS0_14default_configENS1_38merge_sort_block_merge_config_selectorIxNS0_10empty_typeEEEZZNS1_27merge_sort_block_merge_implIS3_N6thrust23THRUST_200600_302600_NS6detail15normal_iteratorINS9_10device_ptrIxEEEEPS5_jNS1_19radix_merge_compareILb0ELb0ExNS0_19identity_decomposerEEEEE10hipError_tT0_T1_T2_jT3_P12ihipStream_tbPNSt15iterator_traitsISK_E10value_typeEPNSQ_ISL_E10value_typeEPSM_NS1_7vsmem_tEENKUlT_SK_SL_SM_E_clISE_PxSF_SF_EESJ_SZ_SK_SL_SM_EUlSZ_E_NS1_11comp_targetILNS1_3genE10ELNS1_11target_archE1201ELNS1_3gpuE5ELNS1_3repE0EEENS1_48merge_mergepath_partition_config_static_selectorELNS0_4arch9wavefront6targetE1EEEvSL_,"axG",@progbits,_ZN7rocprim17ROCPRIM_400000_NS6detail17trampoline_kernelINS0_14default_configENS1_38merge_sort_block_merge_config_selectorIxNS0_10empty_typeEEEZZNS1_27merge_sort_block_merge_implIS3_N6thrust23THRUST_200600_302600_NS6detail15normal_iteratorINS9_10device_ptrIxEEEEPS5_jNS1_19radix_merge_compareILb0ELb0ExNS0_19identity_decomposerEEEEE10hipError_tT0_T1_T2_jT3_P12ihipStream_tbPNSt15iterator_traitsISK_E10value_typeEPNSQ_ISL_E10value_typeEPSM_NS1_7vsmem_tEENKUlT_SK_SL_SM_E_clISE_PxSF_SF_EESJ_SZ_SK_SL_SM_EUlSZ_E_NS1_11comp_targetILNS1_3genE10ELNS1_11target_archE1201ELNS1_3gpuE5ELNS1_3repE0EEENS1_48merge_mergepath_partition_config_static_selectorELNS0_4arch9wavefront6targetE1EEEvSL_,comdat
	.protected	_ZN7rocprim17ROCPRIM_400000_NS6detail17trampoline_kernelINS0_14default_configENS1_38merge_sort_block_merge_config_selectorIxNS0_10empty_typeEEEZZNS1_27merge_sort_block_merge_implIS3_N6thrust23THRUST_200600_302600_NS6detail15normal_iteratorINS9_10device_ptrIxEEEEPS5_jNS1_19radix_merge_compareILb0ELb0ExNS0_19identity_decomposerEEEEE10hipError_tT0_T1_T2_jT3_P12ihipStream_tbPNSt15iterator_traitsISK_E10value_typeEPNSQ_ISL_E10value_typeEPSM_NS1_7vsmem_tEENKUlT_SK_SL_SM_E_clISE_PxSF_SF_EESJ_SZ_SK_SL_SM_EUlSZ_E_NS1_11comp_targetILNS1_3genE10ELNS1_11target_archE1201ELNS1_3gpuE5ELNS1_3repE0EEENS1_48merge_mergepath_partition_config_static_selectorELNS0_4arch9wavefront6targetE1EEEvSL_ ; -- Begin function _ZN7rocprim17ROCPRIM_400000_NS6detail17trampoline_kernelINS0_14default_configENS1_38merge_sort_block_merge_config_selectorIxNS0_10empty_typeEEEZZNS1_27merge_sort_block_merge_implIS3_N6thrust23THRUST_200600_302600_NS6detail15normal_iteratorINS9_10device_ptrIxEEEEPS5_jNS1_19radix_merge_compareILb0ELb0ExNS0_19identity_decomposerEEEEE10hipError_tT0_T1_T2_jT3_P12ihipStream_tbPNSt15iterator_traitsISK_E10value_typeEPNSQ_ISL_E10value_typeEPSM_NS1_7vsmem_tEENKUlT_SK_SL_SM_E_clISE_PxSF_SF_EESJ_SZ_SK_SL_SM_EUlSZ_E_NS1_11comp_targetILNS1_3genE10ELNS1_11target_archE1201ELNS1_3gpuE5ELNS1_3repE0EEENS1_48merge_mergepath_partition_config_static_selectorELNS0_4arch9wavefront6targetE1EEEvSL_
	.globl	_ZN7rocprim17ROCPRIM_400000_NS6detail17trampoline_kernelINS0_14default_configENS1_38merge_sort_block_merge_config_selectorIxNS0_10empty_typeEEEZZNS1_27merge_sort_block_merge_implIS3_N6thrust23THRUST_200600_302600_NS6detail15normal_iteratorINS9_10device_ptrIxEEEEPS5_jNS1_19radix_merge_compareILb0ELb0ExNS0_19identity_decomposerEEEEE10hipError_tT0_T1_T2_jT3_P12ihipStream_tbPNSt15iterator_traitsISK_E10value_typeEPNSQ_ISL_E10value_typeEPSM_NS1_7vsmem_tEENKUlT_SK_SL_SM_E_clISE_PxSF_SF_EESJ_SZ_SK_SL_SM_EUlSZ_E_NS1_11comp_targetILNS1_3genE10ELNS1_11target_archE1201ELNS1_3gpuE5ELNS1_3repE0EEENS1_48merge_mergepath_partition_config_static_selectorELNS0_4arch9wavefront6targetE1EEEvSL_
	.p2align	8
	.type	_ZN7rocprim17ROCPRIM_400000_NS6detail17trampoline_kernelINS0_14default_configENS1_38merge_sort_block_merge_config_selectorIxNS0_10empty_typeEEEZZNS1_27merge_sort_block_merge_implIS3_N6thrust23THRUST_200600_302600_NS6detail15normal_iteratorINS9_10device_ptrIxEEEEPS5_jNS1_19radix_merge_compareILb0ELb0ExNS0_19identity_decomposerEEEEE10hipError_tT0_T1_T2_jT3_P12ihipStream_tbPNSt15iterator_traitsISK_E10value_typeEPNSQ_ISL_E10value_typeEPSM_NS1_7vsmem_tEENKUlT_SK_SL_SM_E_clISE_PxSF_SF_EESJ_SZ_SK_SL_SM_EUlSZ_E_NS1_11comp_targetILNS1_3genE10ELNS1_11target_archE1201ELNS1_3gpuE5ELNS1_3repE0EEENS1_48merge_mergepath_partition_config_static_selectorELNS0_4arch9wavefront6targetE1EEEvSL_,@function
_ZN7rocprim17ROCPRIM_400000_NS6detail17trampoline_kernelINS0_14default_configENS1_38merge_sort_block_merge_config_selectorIxNS0_10empty_typeEEEZZNS1_27merge_sort_block_merge_implIS3_N6thrust23THRUST_200600_302600_NS6detail15normal_iteratorINS9_10device_ptrIxEEEEPS5_jNS1_19radix_merge_compareILb0ELb0ExNS0_19identity_decomposerEEEEE10hipError_tT0_T1_T2_jT3_P12ihipStream_tbPNSt15iterator_traitsISK_E10value_typeEPNSQ_ISL_E10value_typeEPSM_NS1_7vsmem_tEENKUlT_SK_SL_SM_E_clISE_PxSF_SF_EESJ_SZ_SK_SL_SM_EUlSZ_E_NS1_11comp_targetILNS1_3genE10ELNS1_11target_archE1201ELNS1_3gpuE5ELNS1_3repE0EEENS1_48merge_mergepath_partition_config_static_selectorELNS0_4arch9wavefront6targetE1EEEvSL_: ; @_ZN7rocprim17ROCPRIM_400000_NS6detail17trampoline_kernelINS0_14default_configENS1_38merge_sort_block_merge_config_selectorIxNS0_10empty_typeEEEZZNS1_27merge_sort_block_merge_implIS3_N6thrust23THRUST_200600_302600_NS6detail15normal_iteratorINS9_10device_ptrIxEEEEPS5_jNS1_19radix_merge_compareILb0ELb0ExNS0_19identity_decomposerEEEEE10hipError_tT0_T1_T2_jT3_P12ihipStream_tbPNSt15iterator_traitsISK_E10value_typeEPNSQ_ISL_E10value_typeEPSM_NS1_7vsmem_tEENKUlT_SK_SL_SM_E_clISE_PxSF_SF_EESJ_SZ_SK_SL_SM_EUlSZ_E_NS1_11comp_targetILNS1_3genE10ELNS1_11target_archE1201ELNS1_3gpuE5ELNS1_3repE0EEENS1_48merge_mergepath_partition_config_static_selectorELNS0_4arch9wavefront6targetE1EEEvSL_
; %bb.0:
	.section	.rodata,"a",@progbits
	.p2align	6, 0x0
	.amdhsa_kernel _ZN7rocprim17ROCPRIM_400000_NS6detail17trampoline_kernelINS0_14default_configENS1_38merge_sort_block_merge_config_selectorIxNS0_10empty_typeEEEZZNS1_27merge_sort_block_merge_implIS3_N6thrust23THRUST_200600_302600_NS6detail15normal_iteratorINS9_10device_ptrIxEEEEPS5_jNS1_19radix_merge_compareILb0ELb0ExNS0_19identity_decomposerEEEEE10hipError_tT0_T1_T2_jT3_P12ihipStream_tbPNSt15iterator_traitsISK_E10value_typeEPNSQ_ISL_E10value_typeEPSM_NS1_7vsmem_tEENKUlT_SK_SL_SM_E_clISE_PxSF_SF_EESJ_SZ_SK_SL_SM_EUlSZ_E_NS1_11comp_targetILNS1_3genE10ELNS1_11target_archE1201ELNS1_3gpuE5ELNS1_3repE0EEENS1_48merge_mergepath_partition_config_static_selectorELNS0_4arch9wavefront6targetE1EEEvSL_
		.amdhsa_group_segment_fixed_size 0
		.amdhsa_private_segment_fixed_size 0
		.amdhsa_kernarg_size 40
		.amdhsa_user_sgpr_count 2
		.amdhsa_user_sgpr_dispatch_ptr 0
		.amdhsa_user_sgpr_queue_ptr 0
		.amdhsa_user_sgpr_kernarg_segment_ptr 1
		.amdhsa_user_sgpr_dispatch_id 0
		.amdhsa_user_sgpr_kernarg_preload_length 0
		.amdhsa_user_sgpr_kernarg_preload_offset 0
		.amdhsa_user_sgpr_private_segment_size 0
		.amdhsa_uses_dynamic_stack 0
		.amdhsa_enable_private_segment 0
		.amdhsa_system_sgpr_workgroup_id_x 1
		.amdhsa_system_sgpr_workgroup_id_y 0
		.amdhsa_system_sgpr_workgroup_id_z 0
		.amdhsa_system_sgpr_workgroup_info 0
		.amdhsa_system_vgpr_workitem_id 0
		.amdhsa_next_free_vgpr 1
		.amdhsa_next_free_sgpr 0
		.amdhsa_accum_offset 4
		.amdhsa_reserve_vcc 0
		.amdhsa_float_round_mode_32 0
		.amdhsa_float_round_mode_16_64 0
		.amdhsa_float_denorm_mode_32 3
		.amdhsa_float_denorm_mode_16_64 3
		.amdhsa_dx10_clamp 1
		.amdhsa_ieee_mode 1
		.amdhsa_fp16_overflow 0
		.amdhsa_tg_split 0
		.amdhsa_exception_fp_ieee_invalid_op 0
		.amdhsa_exception_fp_denorm_src 0
		.amdhsa_exception_fp_ieee_div_zero 0
		.amdhsa_exception_fp_ieee_overflow 0
		.amdhsa_exception_fp_ieee_underflow 0
		.amdhsa_exception_fp_ieee_inexact 0
		.amdhsa_exception_int_div_zero 0
	.end_amdhsa_kernel
	.section	.text._ZN7rocprim17ROCPRIM_400000_NS6detail17trampoline_kernelINS0_14default_configENS1_38merge_sort_block_merge_config_selectorIxNS0_10empty_typeEEEZZNS1_27merge_sort_block_merge_implIS3_N6thrust23THRUST_200600_302600_NS6detail15normal_iteratorINS9_10device_ptrIxEEEEPS5_jNS1_19radix_merge_compareILb0ELb0ExNS0_19identity_decomposerEEEEE10hipError_tT0_T1_T2_jT3_P12ihipStream_tbPNSt15iterator_traitsISK_E10value_typeEPNSQ_ISL_E10value_typeEPSM_NS1_7vsmem_tEENKUlT_SK_SL_SM_E_clISE_PxSF_SF_EESJ_SZ_SK_SL_SM_EUlSZ_E_NS1_11comp_targetILNS1_3genE10ELNS1_11target_archE1201ELNS1_3gpuE5ELNS1_3repE0EEENS1_48merge_mergepath_partition_config_static_selectorELNS0_4arch9wavefront6targetE1EEEvSL_,"axG",@progbits,_ZN7rocprim17ROCPRIM_400000_NS6detail17trampoline_kernelINS0_14default_configENS1_38merge_sort_block_merge_config_selectorIxNS0_10empty_typeEEEZZNS1_27merge_sort_block_merge_implIS3_N6thrust23THRUST_200600_302600_NS6detail15normal_iteratorINS9_10device_ptrIxEEEEPS5_jNS1_19radix_merge_compareILb0ELb0ExNS0_19identity_decomposerEEEEE10hipError_tT0_T1_T2_jT3_P12ihipStream_tbPNSt15iterator_traitsISK_E10value_typeEPNSQ_ISL_E10value_typeEPSM_NS1_7vsmem_tEENKUlT_SK_SL_SM_E_clISE_PxSF_SF_EESJ_SZ_SK_SL_SM_EUlSZ_E_NS1_11comp_targetILNS1_3genE10ELNS1_11target_archE1201ELNS1_3gpuE5ELNS1_3repE0EEENS1_48merge_mergepath_partition_config_static_selectorELNS0_4arch9wavefront6targetE1EEEvSL_,comdat
.Lfunc_end1435:
	.size	_ZN7rocprim17ROCPRIM_400000_NS6detail17trampoline_kernelINS0_14default_configENS1_38merge_sort_block_merge_config_selectorIxNS0_10empty_typeEEEZZNS1_27merge_sort_block_merge_implIS3_N6thrust23THRUST_200600_302600_NS6detail15normal_iteratorINS9_10device_ptrIxEEEEPS5_jNS1_19radix_merge_compareILb0ELb0ExNS0_19identity_decomposerEEEEE10hipError_tT0_T1_T2_jT3_P12ihipStream_tbPNSt15iterator_traitsISK_E10value_typeEPNSQ_ISL_E10value_typeEPSM_NS1_7vsmem_tEENKUlT_SK_SL_SM_E_clISE_PxSF_SF_EESJ_SZ_SK_SL_SM_EUlSZ_E_NS1_11comp_targetILNS1_3genE10ELNS1_11target_archE1201ELNS1_3gpuE5ELNS1_3repE0EEENS1_48merge_mergepath_partition_config_static_selectorELNS0_4arch9wavefront6targetE1EEEvSL_, .Lfunc_end1435-_ZN7rocprim17ROCPRIM_400000_NS6detail17trampoline_kernelINS0_14default_configENS1_38merge_sort_block_merge_config_selectorIxNS0_10empty_typeEEEZZNS1_27merge_sort_block_merge_implIS3_N6thrust23THRUST_200600_302600_NS6detail15normal_iteratorINS9_10device_ptrIxEEEEPS5_jNS1_19radix_merge_compareILb0ELb0ExNS0_19identity_decomposerEEEEE10hipError_tT0_T1_T2_jT3_P12ihipStream_tbPNSt15iterator_traitsISK_E10value_typeEPNSQ_ISL_E10value_typeEPSM_NS1_7vsmem_tEENKUlT_SK_SL_SM_E_clISE_PxSF_SF_EESJ_SZ_SK_SL_SM_EUlSZ_E_NS1_11comp_targetILNS1_3genE10ELNS1_11target_archE1201ELNS1_3gpuE5ELNS1_3repE0EEENS1_48merge_mergepath_partition_config_static_selectorELNS0_4arch9wavefront6targetE1EEEvSL_
                                        ; -- End function
	.section	.AMDGPU.csdata,"",@progbits
; Kernel info:
; codeLenInByte = 0
; NumSgprs: 6
; NumVgprs: 0
; NumAgprs: 0
; TotalNumVgprs: 0
; ScratchSize: 0
; MemoryBound: 0
; FloatMode: 240
; IeeeMode: 1
; LDSByteSize: 0 bytes/workgroup (compile time only)
; SGPRBlocks: 0
; VGPRBlocks: 0
; NumSGPRsForWavesPerEU: 6
; NumVGPRsForWavesPerEU: 1
; AccumOffset: 4
; Occupancy: 8
; WaveLimiterHint : 0
; COMPUTE_PGM_RSRC2:SCRATCH_EN: 0
; COMPUTE_PGM_RSRC2:USER_SGPR: 2
; COMPUTE_PGM_RSRC2:TRAP_HANDLER: 0
; COMPUTE_PGM_RSRC2:TGID_X_EN: 1
; COMPUTE_PGM_RSRC2:TGID_Y_EN: 0
; COMPUTE_PGM_RSRC2:TGID_Z_EN: 0
; COMPUTE_PGM_RSRC2:TIDIG_COMP_CNT: 0
; COMPUTE_PGM_RSRC3_GFX90A:ACCUM_OFFSET: 0
; COMPUTE_PGM_RSRC3_GFX90A:TG_SPLIT: 0
	.section	.text._ZN7rocprim17ROCPRIM_400000_NS6detail17trampoline_kernelINS0_14default_configENS1_38merge_sort_block_merge_config_selectorIxNS0_10empty_typeEEEZZNS1_27merge_sort_block_merge_implIS3_N6thrust23THRUST_200600_302600_NS6detail15normal_iteratorINS9_10device_ptrIxEEEEPS5_jNS1_19radix_merge_compareILb0ELb0ExNS0_19identity_decomposerEEEEE10hipError_tT0_T1_T2_jT3_P12ihipStream_tbPNSt15iterator_traitsISK_E10value_typeEPNSQ_ISL_E10value_typeEPSM_NS1_7vsmem_tEENKUlT_SK_SL_SM_E_clISE_PxSF_SF_EESJ_SZ_SK_SL_SM_EUlSZ_E_NS1_11comp_targetILNS1_3genE5ELNS1_11target_archE942ELNS1_3gpuE9ELNS1_3repE0EEENS1_48merge_mergepath_partition_config_static_selectorELNS0_4arch9wavefront6targetE1EEEvSL_,"axG",@progbits,_ZN7rocprim17ROCPRIM_400000_NS6detail17trampoline_kernelINS0_14default_configENS1_38merge_sort_block_merge_config_selectorIxNS0_10empty_typeEEEZZNS1_27merge_sort_block_merge_implIS3_N6thrust23THRUST_200600_302600_NS6detail15normal_iteratorINS9_10device_ptrIxEEEEPS5_jNS1_19radix_merge_compareILb0ELb0ExNS0_19identity_decomposerEEEEE10hipError_tT0_T1_T2_jT3_P12ihipStream_tbPNSt15iterator_traitsISK_E10value_typeEPNSQ_ISL_E10value_typeEPSM_NS1_7vsmem_tEENKUlT_SK_SL_SM_E_clISE_PxSF_SF_EESJ_SZ_SK_SL_SM_EUlSZ_E_NS1_11comp_targetILNS1_3genE5ELNS1_11target_archE942ELNS1_3gpuE9ELNS1_3repE0EEENS1_48merge_mergepath_partition_config_static_selectorELNS0_4arch9wavefront6targetE1EEEvSL_,comdat
	.protected	_ZN7rocprim17ROCPRIM_400000_NS6detail17trampoline_kernelINS0_14default_configENS1_38merge_sort_block_merge_config_selectorIxNS0_10empty_typeEEEZZNS1_27merge_sort_block_merge_implIS3_N6thrust23THRUST_200600_302600_NS6detail15normal_iteratorINS9_10device_ptrIxEEEEPS5_jNS1_19radix_merge_compareILb0ELb0ExNS0_19identity_decomposerEEEEE10hipError_tT0_T1_T2_jT3_P12ihipStream_tbPNSt15iterator_traitsISK_E10value_typeEPNSQ_ISL_E10value_typeEPSM_NS1_7vsmem_tEENKUlT_SK_SL_SM_E_clISE_PxSF_SF_EESJ_SZ_SK_SL_SM_EUlSZ_E_NS1_11comp_targetILNS1_3genE5ELNS1_11target_archE942ELNS1_3gpuE9ELNS1_3repE0EEENS1_48merge_mergepath_partition_config_static_selectorELNS0_4arch9wavefront6targetE1EEEvSL_ ; -- Begin function _ZN7rocprim17ROCPRIM_400000_NS6detail17trampoline_kernelINS0_14default_configENS1_38merge_sort_block_merge_config_selectorIxNS0_10empty_typeEEEZZNS1_27merge_sort_block_merge_implIS3_N6thrust23THRUST_200600_302600_NS6detail15normal_iteratorINS9_10device_ptrIxEEEEPS5_jNS1_19radix_merge_compareILb0ELb0ExNS0_19identity_decomposerEEEEE10hipError_tT0_T1_T2_jT3_P12ihipStream_tbPNSt15iterator_traitsISK_E10value_typeEPNSQ_ISL_E10value_typeEPSM_NS1_7vsmem_tEENKUlT_SK_SL_SM_E_clISE_PxSF_SF_EESJ_SZ_SK_SL_SM_EUlSZ_E_NS1_11comp_targetILNS1_3genE5ELNS1_11target_archE942ELNS1_3gpuE9ELNS1_3repE0EEENS1_48merge_mergepath_partition_config_static_selectorELNS0_4arch9wavefront6targetE1EEEvSL_
	.globl	_ZN7rocprim17ROCPRIM_400000_NS6detail17trampoline_kernelINS0_14default_configENS1_38merge_sort_block_merge_config_selectorIxNS0_10empty_typeEEEZZNS1_27merge_sort_block_merge_implIS3_N6thrust23THRUST_200600_302600_NS6detail15normal_iteratorINS9_10device_ptrIxEEEEPS5_jNS1_19radix_merge_compareILb0ELb0ExNS0_19identity_decomposerEEEEE10hipError_tT0_T1_T2_jT3_P12ihipStream_tbPNSt15iterator_traitsISK_E10value_typeEPNSQ_ISL_E10value_typeEPSM_NS1_7vsmem_tEENKUlT_SK_SL_SM_E_clISE_PxSF_SF_EESJ_SZ_SK_SL_SM_EUlSZ_E_NS1_11comp_targetILNS1_3genE5ELNS1_11target_archE942ELNS1_3gpuE9ELNS1_3repE0EEENS1_48merge_mergepath_partition_config_static_selectorELNS0_4arch9wavefront6targetE1EEEvSL_
	.p2align	8
	.type	_ZN7rocprim17ROCPRIM_400000_NS6detail17trampoline_kernelINS0_14default_configENS1_38merge_sort_block_merge_config_selectorIxNS0_10empty_typeEEEZZNS1_27merge_sort_block_merge_implIS3_N6thrust23THRUST_200600_302600_NS6detail15normal_iteratorINS9_10device_ptrIxEEEEPS5_jNS1_19radix_merge_compareILb0ELb0ExNS0_19identity_decomposerEEEEE10hipError_tT0_T1_T2_jT3_P12ihipStream_tbPNSt15iterator_traitsISK_E10value_typeEPNSQ_ISL_E10value_typeEPSM_NS1_7vsmem_tEENKUlT_SK_SL_SM_E_clISE_PxSF_SF_EESJ_SZ_SK_SL_SM_EUlSZ_E_NS1_11comp_targetILNS1_3genE5ELNS1_11target_archE942ELNS1_3gpuE9ELNS1_3repE0EEENS1_48merge_mergepath_partition_config_static_selectorELNS0_4arch9wavefront6targetE1EEEvSL_,@function
_ZN7rocprim17ROCPRIM_400000_NS6detail17trampoline_kernelINS0_14default_configENS1_38merge_sort_block_merge_config_selectorIxNS0_10empty_typeEEEZZNS1_27merge_sort_block_merge_implIS3_N6thrust23THRUST_200600_302600_NS6detail15normal_iteratorINS9_10device_ptrIxEEEEPS5_jNS1_19radix_merge_compareILb0ELb0ExNS0_19identity_decomposerEEEEE10hipError_tT0_T1_T2_jT3_P12ihipStream_tbPNSt15iterator_traitsISK_E10value_typeEPNSQ_ISL_E10value_typeEPSM_NS1_7vsmem_tEENKUlT_SK_SL_SM_E_clISE_PxSF_SF_EESJ_SZ_SK_SL_SM_EUlSZ_E_NS1_11comp_targetILNS1_3genE5ELNS1_11target_archE942ELNS1_3gpuE9ELNS1_3repE0EEENS1_48merge_mergepath_partition_config_static_selectorELNS0_4arch9wavefront6targetE1EEEvSL_: ; @_ZN7rocprim17ROCPRIM_400000_NS6detail17trampoline_kernelINS0_14default_configENS1_38merge_sort_block_merge_config_selectorIxNS0_10empty_typeEEEZZNS1_27merge_sort_block_merge_implIS3_N6thrust23THRUST_200600_302600_NS6detail15normal_iteratorINS9_10device_ptrIxEEEEPS5_jNS1_19radix_merge_compareILb0ELb0ExNS0_19identity_decomposerEEEEE10hipError_tT0_T1_T2_jT3_P12ihipStream_tbPNSt15iterator_traitsISK_E10value_typeEPNSQ_ISL_E10value_typeEPSM_NS1_7vsmem_tEENKUlT_SK_SL_SM_E_clISE_PxSF_SF_EESJ_SZ_SK_SL_SM_EUlSZ_E_NS1_11comp_targetILNS1_3genE5ELNS1_11target_archE942ELNS1_3gpuE9ELNS1_3repE0EEENS1_48merge_mergepath_partition_config_static_selectorELNS0_4arch9wavefront6targetE1EEEvSL_
; %bb.0:
	s_load_dword s3, s[0:1], 0x0
	v_lshl_or_b32 v0, s2, 7, v0
	s_waitcnt lgkmcnt(0)
	v_cmp_gt_u32_e32 vcc, s3, v0
	s_and_saveexec_b64 s[2:3], vcc
	s_cbranch_execz .LBB1436_6
; %bb.1:
	s_load_dwordx2 s[4:5], s[0:1], 0x4
	s_load_dwordx2 s[2:3], s[0:1], 0x20
	s_waitcnt lgkmcnt(0)
	s_lshr_b32 s6, s4, 9
	s_and_b32 s6, s6, 0x7ffffe
	s_add_i32 s7, s6, -1
	s_sub_i32 s6, 0, s6
	v_and_b32_e32 v1, s6, v0
	v_lshlrev_b32_e32 v1, 10, v1
	v_min_u32_e32 v2, s5, v1
	v_add_u32_e32 v1, s4, v1
	v_min_u32_e32 v4, s5, v1
	v_add_u32_e32 v1, s4, v4
	v_and_b32_e32 v3, s7, v0
	v_min_u32_e32 v1, s5, v1
	v_sub_u32_e32 v5, v1, v2
	v_lshlrev_b32_e32 v3, 10, v3
	v_min_u32_e32 v10, v5, v3
	v_sub_u32_e32 v3, v4, v2
	v_sub_u32_e32 v1, v1, v4
	v_sub_u32_e64 v1, v10, v1 clamp
	v_min_u32_e32 v11, v10, v3
	v_cmp_lt_u32_e32 vcc, v1, v11
	s_and_saveexec_b64 s[4:5], vcc
	s_cbranch_execz .LBB1436_5
; %bb.2:
	s_load_dwordx2 s[0:1], s[0:1], 0x10
	v_mov_b32_e32 v5, 0
	v_mov_b32_e32 v3, v5
	s_waitcnt lgkmcnt(0)
	v_lshl_add_u64 v[6:7], v[2:3], 3, s[0:1]
	v_lshl_add_u64 v[8:9], v[4:5], 3, s[0:1]
	s_mov_b64 s[0:1], 0
.LBB1436_3:                             ; =>This Inner Loop Header: Depth=1
	v_add_u32_e32 v3, v11, v1
	v_lshrrev_b32_e32 v4, 1, v3
	v_mov_b32_e32 v13, v5
	v_xad_u32 v12, v4, -1, v10
	v_lshl_add_u64 v[14:15], v[4:5], 3, v[6:7]
	v_lshl_add_u64 v[12:13], v[12:13], 3, v[8:9]
	flat_load_dwordx2 v[16:17], v[14:15]
	flat_load_dwordx2 v[18:19], v[12:13]
	v_add_u32_e32 v3, 1, v4
	s_waitcnt vmcnt(0) lgkmcnt(0)
	v_cmp_gt_i64_e32 vcc, v[16:17], v[18:19]
	s_nop 1
	v_cndmask_b32_e32 v11, v11, v4, vcc
	v_cndmask_b32_e32 v1, v3, v1, vcc
	v_cmp_ge_u32_e32 vcc, v1, v11
	s_or_b64 s[0:1], vcc, s[0:1]
	s_andn2_b64 exec, exec, s[0:1]
	s_cbranch_execnz .LBB1436_3
; %bb.4:
	s_or_b64 exec, exec, s[0:1]
.LBB1436_5:
	s_or_b64 exec, exec, s[4:5]
	v_add_u32_e32 v2, v1, v2
	v_mov_b32_e32 v1, 0
	v_lshl_add_u64 v[0:1], v[0:1], 2, s[2:3]
	global_store_dword v[0:1], v2, off
.LBB1436_6:
	s_endpgm
	.section	.rodata,"a",@progbits
	.p2align	6, 0x0
	.amdhsa_kernel _ZN7rocprim17ROCPRIM_400000_NS6detail17trampoline_kernelINS0_14default_configENS1_38merge_sort_block_merge_config_selectorIxNS0_10empty_typeEEEZZNS1_27merge_sort_block_merge_implIS3_N6thrust23THRUST_200600_302600_NS6detail15normal_iteratorINS9_10device_ptrIxEEEEPS5_jNS1_19radix_merge_compareILb0ELb0ExNS0_19identity_decomposerEEEEE10hipError_tT0_T1_T2_jT3_P12ihipStream_tbPNSt15iterator_traitsISK_E10value_typeEPNSQ_ISL_E10value_typeEPSM_NS1_7vsmem_tEENKUlT_SK_SL_SM_E_clISE_PxSF_SF_EESJ_SZ_SK_SL_SM_EUlSZ_E_NS1_11comp_targetILNS1_3genE5ELNS1_11target_archE942ELNS1_3gpuE9ELNS1_3repE0EEENS1_48merge_mergepath_partition_config_static_selectorELNS0_4arch9wavefront6targetE1EEEvSL_
		.amdhsa_group_segment_fixed_size 0
		.amdhsa_private_segment_fixed_size 0
		.amdhsa_kernarg_size 40
		.amdhsa_user_sgpr_count 2
		.amdhsa_user_sgpr_dispatch_ptr 0
		.amdhsa_user_sgpr_queue_ptr 0
		.amdhsa_user_sgpr_kernarg_segment_ptr 1
		.amdhsa_user_sgpr_dispatch_id 0
		.amdhsa_user_sgpr_kernarg_preload_length 0
		.amdhsa_user_sgpr_kernarg_preload_offset 0
		.amdhsa_user_sgpr_private_segment_size 0
		.amdhsa_uses_dynamic_stack 0
		.amdhsa_enable_private_segment 0
		.amdhsa_system_sgpr_workgroup_id_x 1
		.amdhsa_system_sgpr_workgroup_id_y 0
		.amdhsa_system_sgpr_workgroup_id_z 0
		.amdhsa_system_sgpr_workgroup_info 0
		.amdhsa_system_vgpr_workitem_id 0
		.amdhsa_next_free_vgpr 20
		.amdhsa_next_free_sgpr 8
		.amdhsa_accum_offset 20
		.amdhsa_reserve_vcc 1
		.amdhsa_float_round_mode_32 0
		.amdhsa_float_round_mode_16_64 0
		.amdhsa_float_denorm_mode_32 3
		.amdhsa_float_denorm_mode_16_64 3
		.amdhsa_dx10_clamp 1
		.amdhsa_ieee_mode 1
		.amdhsa_fp16_overflow 0
		.amdhsa_tg_split 0
		.amdhsa_exception_fp_ieee_invalid_op 0
		.amdhsa_exception_fp_denorm_src 0
		.amdhsa_exception_fp_ieee_div_zero 0
		.amdhsa_exception_fp_ieee_overflow 0
		.amdhsa_exception_fp_ieee_underflow 0
		.amdhsa_exception_fp_ieee_inexact 0
		.amdhsa_exception_int_div_zero 0
	.end_amdhsa_kernel
	.section	.text._ZN7rocprim17ROCPRIM_400000_NS6detail17trampoline_kernelINS0_14default_configENS1_38merge_sort_block_merge_config_selectorIxNS0_10empty_typeEEEZZNS1_27merge_sort_block_merge_implIS3_N6thrust23THRUST_200600_302600_NS6detail15normal_iteratorINS9_10device_ptrIxEEEEPS5_jNS1_19radix_merge_compareILb0ELb0ExNS0_19identity_decomposerEEEEE10hipError_tT0_T1_T2_jT3_P12ihipStream_tbPNSt15iterator_traitsISK_E10value_typeEPNSQ_ISL_E10value_typeEPSM_NS1_7vsmem_tEENKUlT_SK_SL_SM_E_clISE_PxSF_SF_EESJ_SZ_SK_SL_SM_EUlSZ_E_NS1_11comp_targetILNS1_3genE5ELNS1_11target_archE942ELNS1_3gpuE9ELNS1_3repE0EEENS1_48merge_mergepath_partition_config_static_selectorELNS0_4arch9wavefront6targetE1EEEvSL_,"axG",@progbits,_ZN7rocprim17ROCPRIM_400000_NS6detail17trampoline_kernelINS0_14default_configENS1_38merge_sort_block_merge_config_selectorIxNS0_10empty_typeEEEZZNS1_27merge_sort_block_merge_implIS3_N6thrust23THRUST_200600_302600_NS6detail15normal_iteratorINS9_10device_ptrIxEEEEPS5_jNS1_19radix_merge_compareILb0ELb0ExNS0_19identity_decomposerEEEEE10hipError_tT0_T1_T2_jT3_P12ihipStream_tbPNSt15iterator_traitsISK_E10value_typeEPNSQ_ISL_E10value_typeEPSM_NS1_7vsmem_tEENKUlT_SK_SL_SM_E_clISE_PxSF_SF_EESJ_SZ_SK_SL_SM_EUlSZ_E_NS1_11comp_targetILNS1_3genE5ELNS1_11target_archE942ELNS1_3gpuE9ELNS1_3repE0EEENS1_48merge_mergepath_partition_config_static_selectorELNS0_4arch9wavefront6targetE1EEEvSL_,comdat
.Lfunc_end1436:
	.size	_ZN7rocprim17ROCPRIM_400000_NS6detail17trampoline_kernelINS0_14default_configENS1_38merge_sort_block_merge_config_selectorIxNS0_10empty_typeEEEZZNS1_27merge_sort_block_merge_implIS3_N6thrust23THRUST_200600_302600_NS6detail15normal_iteratorINS9_10device_ptrIxEEEEPS5_jNS1_19radix_merge_compareILb0ELb0ExNS0_19identity_decomposerEEEEE10hipError_tT0_T1_T2_jT3_P12ihipStream_tbPNSt15iterator_traitsISK_E10value_typeEPNSQ_ISL_E10value_typeEPSM_NS1_7vsmem_tEENKUlT_SK_SL_SM_E_clISE_PxSF_SF_EESJ_SZ_SK_SL_SM_EUlSZ_E_NS1_11comp_targetILNS1_3genE5ELNS1_11target_archE942ELNS1_3gpuE9ELNS1_3repE0EEENS1_48merge_mergepath_partition_config_static_selectorELNS0_4arch9wavefront6targetE1EEEvSL_, .Lfunc_end1436-_ZN7rocprim17ROCPRIM_400000_NS6detail17trampoline_kernelINS0_14default_configENS1_38merge_sort_block_merge_config_selectorIxNS0_10empty_typeEEEZZNS1_27merge_sort_block_merge_implIS3_N6thrust23THRUST_200600_302600_NS6detail15normal_iteratorINS9_10device_ptrIxEEEEPS5_jNS1_19radix_merge_compareILb0ELb0ExNS0_19identity_decomposerEEEEE10hipError_tT0_T1_T2_jT3_P12ihipStream_tbPNSt15iterator_traitsISK_E10value_typeEPNSQ_ISL_E10value_typeEPSM_NS1_7vsmem_tEENKUlT_SK_SL_SM_E_clISE_PxSF_SF_EESJ_SZ_SK_SL_SM_EUlSZ_E_NS1_11comp_targetILNS1_3genE5ELNS1_11target_archE942ELNS1_3gpuE9ELNS1_3repE0EEENS1_48merge_mergepath_partition_config_static_selectorELNS0_4arch9wavefront6targetE1EEEvSL_
                                        ; -- End function
	.section	.AMDGPU.csdata,"",@progbits
; Kernel info:
; codeLenInByte = 316
; NumSgprs: 14
; NumVgprs: 20
; NumAgprs: 0
; TotalNumVgprs: 20
; ScratchSize: 0
; MemoryBound: 0
; FloatMode: 240
; IeeeMode: 1
; LDSByteSize: 0 bytes/workgroup (compile time only)
; SGPRBlocks: 1
; VGPRBlocks: 2
; NumSGPRsForWavesPerEU: 14
; NumVGPRsForWavesPerEU: 20
; AccumOffset: 20
; Occupancy: 8
; WaveLimiterHint : 0
; COMPUTE_PGM_RSRC2:SCRATCH_EN: 0
; COMPUTE_PGM_RSRC2:USER_SGPR: 2
; COMPUTE_PGM_RSRC2:TRAP_HANDLER: 0
; COMPUTE_PGM_RSRC2:TGID_X_EN: 1
; COMPUTE_PGM_RSRC2:TGID_Y_EN: 0
; COMPUTE_PGM_RSRC2:TGID_Z_EN: 0
; COMPUTE_PGM_RSRC2:TIDIG_COMP_CNT: 0
; COMPUTE_PGM_RSRC3_GFX90A:ACCUM_OFFSET: 4
; COMPUTE_PGM_RSRC3_GFX90A:TG_SPLIT: 0
	.section	.text._ZN7rocprim17ROCPRIM_400000_NS6detail17trampoline_kernelINS0_14default_configENS1_38merge_sort_block_merge_config_selectorIxNS0_10empty_typeEEEZZNS1_27merge_sort_block_merge_implIS3_N6thrust23THRUST_200600_302600_NS6detail15normal_iteratorINS9_10device_ptrIxEEEEPS5_jNS1_19radix_merge_compareILb0ELb0ExNS0_19identity_decomposerEEEEE10hipError_tT0_T1_T2_jT3_P12ihipStream_tbPNSt15iterator_traitsISK_E10value_typeEPNSQ_ISL_E10value_typeEPSM_NS1_7vsmem_tEENKUlT_SK_SL_SM_E_clISE_PxSF_SF_EESJ_SZ_SK_SL_SM_EUlSZ_E_NS1_11comp_targetILNS1_3genE4ELNS1_11target_archE910ELNS1_3gpuE8ELNS1_3repE0EEENS1_48merge_mergepath_partition_config_static_selectorELNS0_4arch9wavefront6targetE1EEEvSL_,"axG",@progbits,_ZN7rocprim17ROCPRIM_400000_NS6detail17trampoline_kernelINS0_14default_configENS1_38merge_sort_block_merge_config_selectorIxNS0_10empty_typeEEEZZNS1_27merge_sort_block_merge_implIS3_N6thrust23THRUST_200600_302600_NS6detail15normal_iteratorINS9_10device_ptrIxEEEEPS5_jNS1_19radix_merge_compareILb0ELb0ExNS0_19identity_decomposerEEEEE10hipError_tT0_T1_T2_jT3_P12ihipStream_tbPNSt15iterator_traitsISK_E10value_typeEPNSQ_ISL_E10value_typeEPSM_NS1_7vsmem_tEENKUlT_SK_SL_SM_E_clISE_PxSF_SF_EESJ_SZ_SK_SL_SM_EUlSZ_E_NS1_11comp_targetILNS1_3genE4ELNS1_11target_archE910ELNS1_3gpuE8ELNS1_3repE0EEENS1_48merge_mergepath_partition_config_static_selectorELNS0_4arch9wavefront6targetE1EEEvSL_,comdat
	.protected	_ZN7rocprim17ROCPRIM_400000_NS6detail17trampoline_kernelINS0_14default_configENS1_38merge_sort_block_merge_config_selectorIxNS0_10empty_typeEEEZZNS1_27merge_sort_block_merge_implIS3_N6thrust23THRUST_200600_302600_NS6detail15normal_iteratorINS9_10device_ptrIxEEEEPS5_jNS1_19radix_merge_compareILb0ELb0ExNS0_19identity_decomposerEEEEE10hipError_tT0_T1_T2_jT3_P12ihipStream_tbPNSt15iterator_traitsISK_E10value_typeEPNSQ_ISL_E10value_typeEPSM_NS1_7vsmem_tEENKUlT_SK_SL_SM_E_clISE_PxSF_SF_EESJ_SZ_SK_SL_SM_EUlSZ_E_NS1_11comp_targetILNS1_3genE4ELNS1_11target_archE910ELNS1_3gpuE8ELNS1_3repE0EEENS1_48merge_mergepath_partition_config_static_selectorELNS0_4arch9wavefront6targetE1EEEvSL_ ; -- Begin function _ZN7rocprim17ROCPRIM_400000_NS6detail17trampoline_kernelINS0_14default_configENS1_38merge_sort_block_merge_config_selectorIxNS0_10empty_typeEEEZZNS1_27merge_sort_block_merge_implIS3_N6thrust23THRUST_200600_302600_NS6detail15normal_iteratorINS9_10device_ptrIxEEEEPS5_jNS1_19radix_merge_compareILb0ELb0ExNS0_19identity_decomposerEEEEE10hipError_tT0_T1_T2_jT3_P12ihipStream_tbPNSt15iterator_traitsISK_E10value_typeEPNSQ_ISL_E10value_typeEPSM_NS1_7vsmem_tEENKUlT_SK_SL_SM_E_clISE_PxSF_SF_EESJ_SZ_SK_SL_SM_EUlSZ_E_NS1_11comp_targetILNS1_3genE4ELNS1_11target_archE910ELNS1_3gpuE8ELNS1_3repE0EEENS1_48merge_mergepath_partition_config_static_selectorELNS0_4arch9wavefront6targetE1EEEvSL_
	.globl	_ZN7rocprim17ROCPRIM_400000_NS6detail17trampoline_kernelINS0_14default_configENS1_38merge_sort_block_merge_config_selectorIxNS0_10empty_typeEEEZZNS1_27merge_sort_block_merge_implIS3_N6thrust23THRUST_200600_302600_NS6detail15normal_iteratorINS9_10device_ptrIxEEEEPS5_jNS1_19radix_merge_compareILb0ELb0ExNS0_19identity_decomposerEEEEE10hipError_tT0_T1_T2_jT3_P12ihipStream_tbPNSt15iterator_traitsISK_E10value_typeEPNSQ_ISL_E10value_typeEPSM_NS1_7vsmem_tEENKUlT_SK_SL_SM_E_clISE_PxSF_SF_EESJ_SZ_SK_SL_SM_EUlSZ_E_NS1_11comp_targetILNS1_3genE4ELNS1_11target_archE910ELNS1_3gpuE8ELNS1_3repE0EEENS1_48merge_mergepath_partition_config_static_selectorELNS0_4arch9wavefront6targetE1EEEvSL_
	.p2align	8
	.type	_ZN7rocprim17ROCPRIM_400000_NS6detail17trampoline_kernelINS0_14default_configENS1_38merge_sort_block_merge_config_selectorIxNS0_10empty_typeEEEZZNS1_27merge_sort_block_merge_implIS3_N6thrust23THRUST_200600_302600_NS6detail15normal_iteratorINS9_10device_ptrIxEEEEPS5_jNS1_19radix_merge_compareILb0ELb0ExNS0_19identity_decomposerEEEEE10hipError_tT0_T1_T2_jT3_P12ihipStream_tbPNSt15iterator_traitsISK_E10value_typeEPNSQ_ISL_E10value_typeEPSM_NS1_7vsmem_tEENKUlT_SK_SL_SM_E_clISE_PxSF_SF_EESJ_SZ_SK_SL_SM_EUlSZ_E_NS1_11comp_targetILNS1_3genE4ELNS1_11target_archE910ELNS1_3gpuE8ELNS1_3repE0EEENS1_48merge_mergepath_partition_config_static_selectorELNS0_4arch9wavefront6targetE1EEEvSL_,@function
_ZN7rocprim17ROCPRIM_400000_NS6detail17trampoline_kernelINS0_14default_configENS1_38merge_sort_block_merge_config_selectorIxNS0_10empty_typeEEEZZNS1_27merge_sort_block_merge_implIS3_N6thrust23THRUST_200600_302600_NS6detail15normal_iteratorINS9_10device_ptrIxEEEEPS5_jNS1_19radix_merge_compareILb0ELb0ExNS0_19identity_decomposerEEEEE10hipError_tT0_T1_T2_jT3_P12ihipStream_tbPNSt15iterator_traitsISK_E10value_typeEPNSQ_ISL_E10value_typeEPSM_NS1_7vsmem_tEENKUlT_SK_SL_SM_E_clISE_PxSF_SF_EESJ_SZ_SK_SL_SM_EUlSZ_E_NS1_11comp_targetILNS1_3genE4ELNS1_11target_archE910ELNS1_3gpuE8ELNS1_3repE0EEENS1_48merge_mergepath_partition_config_static_selectorELNS0_4arch9wavefront6targetE1EEEvSL_: ; @_ZN7rocprim17ROCPRIM_400000_NS6detail17trampoline_kernelINS0_14default_configENS1_38merge_sort_block_merge_config_selectorIxNS0_10empty_typeEEEZZNS1_27merge_sort_block_merge_implIS3_N6thrust23THRUST_200600_302600_NS6detail15normal_iteratorINS9_10device_ptrIxEEEEPS5_jNS1_19radix_merge_compareILb0ELb0ExNS0_19identity_decomposerEEEEE10hipError_tT0_T1_T2_jT3_P12ihipStream_tbPNSt15iterator_traitsISK_E10value_typeEPNSQ_ISL_E10value_typeEPSM_NS1_7vsmem_tEENKUlT_SK_SL_SM_E_clISE_PxSF_SF_EESJ_SZ_SK_SL_SM_EUlSZ_E_NS1_11comp_targetILNS1_3genE4ELNS1_11target_archE910ELNS1_3gpuE8ELNS1_3repE0EEENS1_48merge_mergepath_partition_config_static_selectorELNS0_4arch9wavefront6targetE1EEEvSL_
; %bb.0:
	.section	.rodata,"a",@progbits
	.p2align	6, 0x0
	.amdhsa_kernel _ZN7rocprim17ROCPRIM_400000_NS6detail17trampoline_kernelINS0_14default_configENS1_38merge_sort_block_merge_config_selectorIxNS0_10empty_typeEEEZZNS1_27merge_sort_block_merge_implIS3_N6thrust23THRUST_200600_302600_NS6detail15normal_iteratorINS9_10device_ptrIxEEEEPS5_jNS1_19radix_merge_compareILb0ELb0ExNS0_19identity_decomposerEEEEE10hipError_tT0_T1_T2_jT3_P12ihipStream_tbPNSt15iterator_traitsISK_E10value_typeEPNSQ_ISL_E10value_typeEPSM_NS1_7vsmem_tEENKUlT_SK_SL_SM_E_clISE_PxSF_SF_EESJ_SZ_SK_SL_SM_EUlSZ_E_NS1_11comp_targetILNS1_3genE4ELNS1_11target_archE910ELNS1_3gpuE8ELNS1_3repE0EEENS1_48merge_mergepath_partition_config_static_selectorELNS0_4arch9wavefront6targetE1EEEvSL_
		.amdhsa_group_segment_fixed_size 0
		.amdhsa_private_segment_fixed_size 0
		.amdhsa_kernarg_size 40
		.amdhsa_user_sgpr_count 2
		.amdhsa_user_sgpr_dispatch_ptr 0
		.amdhsa_user_sgpr_queue_ptr 0
		.amdhsa_user_sgpr_kernarg_segment_ptr 1
		.amdhsa_user_sgpr_dispatch_id 0
		.amdhsa_user_sgpr_kernarg_preload_length 0
		.amdhsa_user_sgpr_kernarg_preload_offset 0
		.amdhsa_user_sgpr_private_segment_size 0
		.amdhsa_uses_dynamic_stack 0
		.amdhsa_enable_private_segment 0
		.amdhsa_system_sgpr_workgroup_id_x 1
		.amdhsa_system_sgpr_workgroup_id_y 0
		.amdhsa_system_sgpr_workgroup_id_z 0
		.amdhsa_system_sgpr_workgroup_info 0
		.amdhsa_system_vgpr_workitem_id 0
		.amdhsa_next_free_vgpr 1
		.amdhsa_next_free_sgpr 0
		.amdhsa_accum_offset 4
		.amdhsa_reserve_vcc 0
		.amdhsa_float_round_mode_32 0
		.amdhsa_float_round_mode_16_64 0
		.amdhsa_float_denorm_mode_32 3
		.amdhsa_float_denorm_mode_16_64 3
		.amdhsa_dx10_clamp 1
		.amdhsa_ieee_mode 1
		.amdhsa_fp16_overflow 0
		.amdhsa_tg_split 0
		.amdhsa_exception_fp_ieee_invalid_op 0
		.amdhsa_exception_fp_denorm_src 0
		.amdhsa_exception_fp_ieee_div_zero 0
		.amdhsa_exception_fp_ieee_overflow 0
		.amdhsa_exception_fp_ieee_underflow 0
		.amdhsa_exception_fp_ieee_inexact 0
		.amdhsa_exception_int_div_zero 0
	.end_amdhsa_kernel
	.section	.text._ZN7rocprim17ROCPRIM_400000_NS6detail17trampoline_kernelINS0_14default_configENS1_38merge_sort_block_merge_config_selectorIxNS0_10empty_typeEEEZZNS1_27merge_sort_block_merge_implIS3_N6thrust23THRUST_200600_302600_NS6detail15normal_iteratorINS9_10device_ptrIxEEEEPS5_jNS1_19radix_merge_compareILb0ELb0ExNS0_19identity_decomposerEEEEE10hipError_tT0_T1_T2_jT3_P12ihipStream_tbPNSt15iterator_traitsISK_E10value_typeEPNSQ_ISL_E10value_typeEPSM_NS1_7vsmem_tEENKUlT_SK_SL_SM_E_clISE_PxSF_SF_EESJ_SZ_SK_SL_SM_EUlSZ_E_NS1_11comp_targetILNS1_3genE4ELNS1_11target_archE910ELNS1_3gpuE8ELNS1_3repE0EEENS1_48merge_mergepath_partition_config_static_selectorELNS0_4arch9wavefront6targetE1EEEvSL_,"axG",@progbits,_ZN7rocprim17ROCPRIM_400000_NS6detail17trampoline_kernelINS0_14default_configENS1_38merge_sort_block_merge_config_selectorIxNS0_10empty_typeEEEZZNS1_27merge_sort_block_merge_implIS3_N6thrust23THRUST_200600_302600_NS6detail15normal_iteratorINS9_10device_ptrIxEEEEPS5_jNS1_19radix_merge_compareILb0ELb0ExNS0_19identity_decomposerEEEEE10hipError_tT0_T1_T2_jT3_P12ihipStream_tbPNSt15iterator_traitsISK_E10value_typeEPNSQ_ISL_E10value_typeEPSM_NS1_7vsmem_tEENKUlT_SK_SL_SM_E_clISE_PxSF_SF_EESJ_SZ_SK_SL_SM_EUlSZ_E_NS1_11comp_targetILNS1_3genE4ELNS1_11target_archE910ELNS1_3gpuE8ELNS1_3repE0EEENS1_48merge_mergepath_partition_config_static_selectorELNS0_4arch9wavefront6targetE1EEEvSL_,comdat
.Lfunc_end1437:
	.size	_ZN7rocprim17ROCPRIM_400000_NS6detail17trampoline_kernelINS0_14default_configENS1_38merge_sort_block_merge_config_selectorIxNS0_10empty_typeEEEZZNS1_27merge_sort_block_merge_implIS3_N6thrust23THRUST_200600_302600_NS6detail15normal_iteratorINS9_10device_ptrIxEEEEPS5_jNS1_19radix_merge_compareILb0ELb0ExNS0_19identity_decomposerEEEEE10hipError_tT0_T1_T2_jT3_P12ihipStream_tbPNSt15iterator_traitsISK_E10value_typeEPNSQ_ISL_E10value_typeEPSM_NS1_7vsmem_tEENKUlT_SK_SL_SM_E_clISE_PxSF_SF_EESJ_SZ_SK_SL_SM_EUlSZ_E_NS1_11comp_targetILNS1_3genE4ELNS1_11target_archE910ELNS1_3gpuE8ELNS1_3repE0EEENS1_48merge_mergepath_partition_config_static_selectorELNS0_4arch9wavefront6targetE1EEEvSL_, .Lfunc_end1437-_ZN7rocprim17ROCPRIM_400000_NS6detail17trampoline_kernelINS0_14default_configENS1_38merge_sort_block_merge_config_selectorIxNS0_10empty_typeEEEZZNS1_27merge_sort_block_merge_implIS3_N6thrust23THRUST_200600_302600_NS6detail15normal_iteratorINS9_10device_ptrIxEEEEPS5_jNS1_19radix_merge_compareILb0ELb0ExNS0_19identity_decomposerEEEEE10hipError_tT0_T1_T2_jT3_P12ihipStream_tbPNSt15iterator_traitsISK_E10value_typeEPNSQ_ISL_E10value_typeEPSM_NS1_7vsmem_tEENKUlT_SK_SL_SM_E_clISE_PxSF_SF_EESJ_SZ_SK_SL_SM_EUlSZ_E_NS1_11comp_targetILNS1_3genE4ELNS1_11target_archE910ELNS1_3gpuE8ELNS1_3repE0EEENS1_48merge_mergepath_partition_config_static_selectorELNS0_4arch9wavefront6targetE1EEEvSL_
                                        ; -- End function
	.section	.AMDGPU.csdata,"",@progbits
; Kernel info:
; codeLenInByte = 0
; NumSgprs: 6
; NumVgprs: 0
; NumAgprs: 0
; TotalNumVgprs: 0
; ScratchSize: 0
; MemoryBound: 0
; FloatMode: 240
; IeeeMode: 1
; LDSByteSize: 0 bytes/workgroup (compile time only)
; SGPRBlocks: 0
; VGPRBlocks: 0
; NumSGPRsForWavesPerEU: 6
; NumVGPRsForWavesPerEU: 1
; AccumOffset: 4
; Occupancy: 8
; WaveLimiterHint : 0
; COMPUTE_PGM_RSRC2:SCRATCH_EN: 0
; COMPUTE_PGM_RSRC2:USER_SGPR: 2
; COMPUTE_PGM_RSRC2:TRAP_HANDLER: 0
; COMPUTE_PGM_RSRC2:TGID_X_EN: 1
; COMPUTE_PGM_RSRC2:TGID_Y_EN: 0
; COMPUTE_PGM_RSRC2:TGID_Z_EN: 0
; COMPUTE_PGM_RSRC2:TIDIG_COMP_CNT: 0
; COMPUTE_PGM_RSRC3_GFX90A:ACCUM_OFFSET: 0
; COMPUTE_PGM_RSRC3_GFX90A:TG_SPLIT: 0
	.section	.text._ZN7rocprim17ROCPRIM_400000_NS6detail17trampoline_kernelINS0_14default_configENS1_38merge_sort_block_merge_config_selectorIxNS0_10empty_typeEEEZZNS1_27merge_sort_block_merge_implIS3_N6thrust23THRUST_200600_302600_NS6detail15normal_iteratorINS9_10device_ptrIxEEEEPS5_jNS1_19radix_merge_compareILb0ELb0ExNS0_19identity_decomposerEEEEE10hipError_tT0_T1_T2_jT3_P12ihipStream_tbPNSt15iterator_traitsISK_E10value_typeEPNSQ_ISL_E10value_typeEPSM_NS1_7vsmem_tEENKUlT_SK_SL_SM_E_clISE_PxSF_SF_EESJ_SZ_SK_SL_SM_EUlSZ_E_NS1_11comp_targetILNS1_3genE3ELNS1_11target_archE908ELNS1_3gpuE7ELNS1_3repE0EEENS1_48merge_mergepath_partition_config_static_selectorELNS0_4arch9wavefront6targetE1EEEvSL_,"axG",@progbits,_ZN7rocprim17ROCPRIM_400000_NS6detail17trampoline_kernelINS0_14default_configENS1_38merge_sort_block_merge_config_selectorIxNS0_10empty_typeEEEZZNS1_27merge_sort_block_merge_implIS3_N6thrust23THRUST_200600_302600_NS6detail15normal_iteratorINS9_10device_ptrIxEEEEPS5_jNS1_19radix_merge_compareILb0ELb0ExNS0_19identity_decomposerEEEEE10hipError_tT0_T1_T2_jT3_P12ihipStream_tbPNSt15iterator_traitsISK_E10value_typeEPNSQ_ISL_E10value_typeEPSM_NS1_7vsmem_tEENKUlT_SK_SL_SM_E_clISE_PxSF_SF_EESJ_SZ_SK_SL_SM_EUlSZ_E_NS1_11comp_targetILNS1_3genE3ELNS1_11target_archE908ELNS1_3gpuE7ELNS1_3repE0EEENS1_48merge_mergepath_partition_config_static_selectorELNS0_4arch9wavefront6targetE1EEEvSL_,comdat
	.protected	_ZN7rocprim17ROCPRIM_400000_NS6detail17trampoline_kernelINS0_14default_configENS1_38merge_sort_block_merge_config_selectorIxNS0_10empty_typeEEEZZNS1_27merge_sort_block_merge_implIS3_N6thrust23THRUST_200600_302600_NS6detail15normal_iteratorINS9_10device_ptrIxEEEEPS5_jNS1_19radix_merge_compareILb0ELb0ExNS0_19identity_decomposerEEEEE10hipError_tT0_T1_T2_jT3_P12ihipStream_tbPNSt15iterator_traitsISK_E10value_typeEPNSQ_ISL_E10value_typeEPSM_NS1_7vsmem_tEENKUlT_SK_SL_SM_E_clISE_PxSF_SF_EESJ_SZ_SK_SL_SM_EUlSZ_E_NS1_11comp_targetILNS1_3genE3ELNS1_11target_archE908ELNS1_3gpuE7ELNS1_3repE0EEENS1_48merge_mergepath_partition_config_static_selectorELNS0_4arch9wavefront6targetE1EEEvSL_ ; -- Begin function _ZN7rocprim17ROCPRIM_400000_NS6detail17trampoline_kernelINS0_14default_configENS1_38merge_sort_block_merge_config_selectorIxNS0_10empty_typeEEEZZNS1_27merge_sort_block_merge_implIS3_N6thrust23THRUST_200600_302600_NS6detail15normal_iteratorINS9_10device_ptrIxEEEEPS5_jNS1_19radix_merge_compareILb0ELb0ExNS0_19identity_decomposerEEEEE10hipError_tT0_T1_T2_jT3_P12ihipStream_tbPNSt15iterator_traitsISK_E10value_typeEPNSQ_ISL_E10value_typeEPSM_NS1_7vsmem_tEENKUlT_SK_SL_SM_E_clISE_PxSF_SF_EESJ_SZ_SK_SL_SM_EUlSZ_E_NS1_11comp_targetILNS1_3genE3ELNS1_11target_archE908ELNS1_3gpuE7ELNS1_3repE0EEENS1_48merge_mergepath_partition_config_static_selectorELNS0_4arch9wavefront6targetE1EEEvSL_
	.globl	_ZN7rocprim17ROCPRIM_400000_NS6detail17trampoline_kernelINS0_14default_configENS1_38merge_sort_block_merge_config_selectorIxNS0_10empty_typeEEEZZNS1_27merge_sort_block_merge_implIS3_N6thrust23THRUST_200600_302600_NS6detail15normal_iteratorINS9_10device_ptrIxEEEEPS5_jNS1_19radix_merge_compareILb0ELb0ExNS0_19identity_decomposerEEEEE10hipError_tT0_T1_T2_jT3_P12ihipStream_tbPNSt15iterator_traitsISK_E10value_typeEPNSQ_ISL_E10value_typeEPSM_NS1_7vsmem_tEENKUlT_SK_SL_SM_E_clISE_PxSF_SF_EESJ_SZ_SK_SL_SM_EUlSZ_E_NS1_11comp_targetILNS1_3genE3ELNS1_11target_archE908ELNS1_3gpuE7ELNS1_3repE0EEENS1_48merge_mergepath_partition_config_static_selectorELNS0_4arch9wavefront6targetE1EEEvSL_
	.p2align	8
	.type	_ZN7rocprim17ROCPRIM_400000_NS6detail17trampoline_kernelINS0_14default_configENS1_38merge_sort_block_merge_config_selectorIxNS0_10empty_typeEEEZZNS1_27merge_sort_block_merge_implIS3_N6thrust23THRUST_200600_302600_NS6detail15normal_iteratorINS9_10device_ptrIxEEEEPS5_jNS1_19radix_merge_compareILb0ELb0ExNS0_19identity_decomposerEEEEE10hipError_tT0_T1_T2_jT3_P12ihipStream_tbPNSt15iterator_traitsISK_E10value_typeEPNSQ_ISL_E10value_typeEPSM_NS1_7vsmem_tEENKUlT_SK_SL_SM_E_clISE_PxSF_SF_EESJ_SZ_SK_SL_SM_EUlSZ_E_NS1_11comp_targetILNS1_3genE3ELNS1_11target_archE908ELNS1_3gpuE7ELNS1_3repE0EEENS1_48merge_mergepath_partition_config_static_selectorELNS0_4arch9wavefront6targetE1EEEvSL_,@function
_ZN7rocprim17ROCPRIM_400000_NS6detail17trampoline_kernelINS0_14default_configENS1_38merge_sort_block_merge_config_selectorIxNS0_10empty_typeEEEZZNS1_27merge_sort_block_merge_implIS3_N6thrust23THRUST_200600_302600_NS6detail15normal_iteratorINS9_10device_ptrIxEEEEPS5_jNS1_19radix_merge_compareILb0ELb0ExNS0_19identity_decomposerEEEEE10hipError_tT0_T1_T2_jT3_P12ihipStream_tbPNSt15iterator_traitsISK_E10value_typeEPNSQ_ISL_E10value_typeEPSM_NS1_7vsmem_tEENKUlT_SK_SL_SM_E_clISE_PxSF_SF_EESJ_SZ_SK_SL_SM_EUlSZ_E_NS1_11comp_targetILNS1_3genE3ELNS1_11target_archE908ELNS1_3gpuE7ELNS1_3repE0EEENS1_48merge_mergepath_partition_config_static_selectorELNS0_4arch9wavefront6targetE1EEEvSL_: ; @_ZN7rocprim17ROCPRIM_400000_NS6detail17trampoline_kernelINS0_14default_configENS1_38merge_sort_block_merge_config_selectorIxNS0_10empty_typeEEEZZNS1_27merge_sort_block_merge_implIS3_N6thrust23THRUST_200600_302600_NS6detail15normal_iteratorINS9_10device_ptrIxEEEEPS5_jNS1_19radix_merge_compareILb0ELb0ExNS0_19identity_decomposerEEEEE10hipError_tT0_T1_T2_jT3_P12ihipStream_tbPNSt15iterator_traitsISK_E10value_typeEPNSQ_ISL_E10value_typeEPSM_NS1_7vsmem_tEENKUlT_SK_SL_SM_E_clISE_PxSF_SF_EESJ_SZ_SK_SL_SM_EUlSZ_E_NS1_11comp_targetILNS1_3genE3ELNS1_11target_archE908ELNS1_3gpuE7ELNS1_3repE0EEENS1_48merge_mergepath_partition_config_static_selectorELNS0_4arch9wavefront6targetE1EEEvSL_
; %bb.0:
	.section	.rodata,"a",@progbits
	.p2align	6, 0x0
	.amdhsa_kernel _ZN7rocprim17ROCPRIM_400000_NS6detail17trampoline_kernelINS0_14default_configENS1_38merge_sort_block_merge_config_selectorIxNS0_10empty_typeEEEZZNS1_27merge_sort_block_merge_implIS3_N6thrust23THRUST_200600_302600_NS6detail15normal_iteratorINS9_10device_ptrIxEEEEPS5_jNS1_19radix_merge_compareILb0ELb0ExNS0_19identity_decomposerEEEEE10hipError_tT0_T1_T2_jT3_P12ihipStream_tbPNSt15iterator_traitsISK_E10value_typeEPNSQ_ISL_E10value_typeEPSM_NS1_7vsmem_tEENKUlT_SK_SL_SM_E_clISE_PxSF_SF_EESJ_SZ_SK_SL_SM_EUlSZ_E_NS1_11comp_targetILNS1_3genE3ELNS1_11target_archE908ELNS1_3gpuE7ELNS1_3repE0EEENS1_48merge_mergepath_partition_config_static_selectorELNS0_4arch9wavefront6targetE1EEEvSL_
		.amdhsa_group_segment_fixed_size 0
		.amdhsa_private_segment_fixed_size 0
		.amdhsa_kernarg_size 40
		.amdhsa_user_sgpr_count 2
		.amdhsa_user_sgpr_dispatch_ptr 0
		.amdhsa_user_sgpr_queue_ptr 0
		.amdhsa_user_sgpr_kernarg_segment_ptr 1
		.amdhsa_user_sgpr_dispatch_id 0
		.amdhsa_user_sgpr_kernarg_preload_length 0
		.amdhsa_user_sgpr_kernarg_preload_offset 0
		.amdhsa_user_sgpr_private_segment_size 0
		.amdhsa_uses_dynamic_stack 0
		.amdhsa_enable_private_segment 0
		.amdhsa_system_sgpr_workgroup_id_x 1
		.amdhsa_system_sgpr_workgroup_id_y 0
		.amdhsa_system_sgpr_workgroup_id_z 0
		.amdhsa_system_sgpr_workgroup_info 0
		.amdhsa_system_vgpr_workitem_id 0
		.amdhsa_next_free_vgpr 1
		.amdhsa_next_free_sgpr 0
		.amdhsa_accum_offset 4
		.amdhsa_reserve_vcc 0
		.amdhsa_float_round_mode_32 0
		.amdhsa_float_round_mode_16_64 0
		.amdhsa_float_denorm_mode_32 3
		.amdhsa_float_denorm_mode_16_64 3
		.amdhsa_dx10_clamp 1
		.amdhsa_ieee_mode 1
		.amdhsa_fp16_overflow 0
		.amdhsa_tg_split 0
		.amdhsa_exception_fp_ieee_invalid_op 0
		.amdhsa_exception_fp_denorm_src 0
		.amdhsa_exception_fp_ieee_div_zero 0
		.amdhsa_exception_fp_ieee_overflow 0
		.amdhsa_exception_fp_ieee_underflow 0
		.amdhsa_exception_fp_ieee_inexact 0
		.amdhsa_exception_int_div_zero 0
	.end_amdhsa_kernel
	.section	.text._ZN7rocprim17ROCPRIM_400000_NS6detail17trampoline_kernelINS0_14default_configENS1_38merge_sort_block_merge_config_selectorIxNS0_10empty_typeEEEZZNS1_27merge_sort_block_merge_implIS3_N6thrust23THRUST_200600_302600_NS6detail15normal_iteratorINS9_10device_ptrIxEEEEPS5_jNS1_19radix_merge_compareILb0ELb0ExNS0_19identity_decomposerEEEEE10hipError_tT0_T1_T2_jT3_P12ihipStream_tbPNSt15iterator_traitsISK_E10value_typeEPNSQ_ISL_E10value_typeEPSM_NS1_7vsmem_tEENKUlT_SK_SL_SM_E_clISE_PxSF_SF_EESJ_SZ_SK_SL_SM_EUlSZ_E_NS1_11comp_targetILNS1_3genE3ELNS1_11target_archE908ELNS1_3gpuE7ELNS1_3repE0EEENS1_48merge_mergepath_partition_config_static_selectorELNS0_4arch9wavefront6targetE1EEEvSL_,"axG",@progbits,_ZN7rocprim17ROCPRIM_400000_NS6detail17trampoline_kernelINS0_14default_configENS1_38merge_sort_block_merge_config_selectorIxNS0_10empty_typeEEEZZNS1_27merge_sort_block_merge_implIS3_N6thrust23THRUST_200600_302600_NS6detail15normal_iteratorINS9_10device_ptrIxEEEEPS5_jNS1_19radix_merge_compareILb0ELb0ExNS0_19identity_decomposerEEEEE10hipError_tT0_T1_T2_jT3_P12ihipStream_tbPNSt15iterator_traitsISK_E10value_typeEPNSQ_ISL_E10value_typeEPSM_NS1_7vsmem_tEENKUlT_SK_SL_SM_E_clISE_PxSF_SF_EESJ_SZ_SK_SL_SM_EUlSZ_E_NS1_11comp_targetILNS1_3genE3ELNS1_11target_archE908ELNS1_3gpuE7ELNS1_3repE0EEENS1_48merge_mergepath_partition_config_static_selectorELNS0_4arch9wavefront6targetE1EEEvSL_,comdat
.Lfunc_end1438:
	.size	_ZN7rocprim17ROCPRIM_400000_NS6detail17trampoline_kernelINS0_14default_configENS1_38merge_sort_block_merge_config_selectorIxNS0_10empty_typeEEEZZNS1_27merge_sort_block_merge_implIS3_N6thrust23THRUST_200600_302600_NS6detail15normal_iteratorINS9_10device_ptrIxEEEEPS5_jNS1_19radix_merge_compareILb0ELb0ExNS0_19identity_decomposerEEEEE10hipError_tT0_T1_T2_jT3_P12ihipStream_tbPNSt15iterator_traitsISK_E10value_typeEPNSQ_ISL_E10value_typeEPSM_NS1_7vsmem_tEENKUlT_SK_SL_SM_E_clISE_PxSF_SF_EESJ_SZ_SK_SL_SM_EUlSZ_E_NS1_11comp_targetILNS1_3genE3ELNS1_11target_archE908ELNS1_3gpuE7ELNS1_3repE0EEENS1_48merge_mergepath_partition_config_static_selectorELNS0_4arch9wavefront6targetE1EEEvSL_, .Lfunc_end1438-_ZN7rocprim17ROCPRIM_400000_NS6detail17trampoline_kernelINS0_14default_configENS1_38merge_sort_block_merge_config_selectorIxNS0_10empty_typeEEEZZNS1_27merge_sort_block_merge_implIS3_N6thrust23THRUST_200600_302600_NS6detail15normal_iteratorINS9_10device_ptrIxEEEEPS5_jNS1_19radix_merge_compareILb0ELb0ExNS0_19identity_decomposerEEEEE10hipError_tT0_T1_T2_jT3_P12ihipStream_tbPNSt15iterator_traitsISK_E10value_typeEPNSQ_ISL_E10value_typeEPSM_NS1_7vsmem_tEENKUlT_SK_SL_SM_E_clISE_PxSF_SF_EESJ_SZ_SK_SL_SM_EUlSZ_E_NS1_11comp_targetILNS1_3genE3ELNS1_11target_archE908ELNS1_3gpuE7ELNS1_3repE0EEENS1_48merge_mergepath_partition_config_static_selectorELNS0_4arch9wavefront6targetE1EEEvSL_
                                        ; -- End function
	.section	.AMDGPU.csdata,"",@progbits
; Kernel info:
; codeLenInByte = 0
; NumSgprs: 6
; NumVgprs: 0
; NumAgprs: 0
; TotalNumVgprs: 0
; ScratchSize: 0
; MemoryBound: 0
; FloatMode: 240
; IeeeMode: 1
; LDSByteSize: 0 bytes/workgroup (compile time only)
; SGPRBlocks: 0
; VGPRBlocks: 0
; NumSGPRsForWavesPerEU: 6
; NumVGPRsForWavesPerEU: 1
; AccumOffset: 4
; Occupancy: 8
; WaveLimiterHint : 0
; COMPUTE_PGM_RSRC2:SCRATCH_EN: 0
; COMPUTE_PGM_RSRC2:USER_SGPR: 2
; COMPUTE_PGM_RSRC2:TRAP_HANDLER: 0
; COMPUTE_PGM_RSRC2:TGID_X_EN: 1
; COMPUTE_PGM_RSRC2:TGID_Y_EN: 0
; COMPUTE_PGM_RSRC2:TGID_Z_EN: 0
; COMPUTE_PGM_RSRC2:TIDIG_COMP_CNT: 0
; COMPUTE_PGM_RSRC3_GFX90A:ACCUM_OFFSET: 0
; COMPUTE_PGM_RSRC3_GFX90A:TG_SPLIT: 0
	.section	.text._ZN7rocprim17ROCPRIM_400000_NS6detail17trampoline_kernelINS0_14default_configENS1_38merge_sort_block_merge_config_selectorIxNS0_10empty_typeEEEZZNS1_27merge_sort_block_merge_implIS3_N6thrust23THRUST_200600_302600_NS6detail15normal_iteratorINS9_10device_ptrIxEEEEPS5_jNS1_19radix_merge_compareILb0ELb0ExNS0_19identity_decomposerEEEEE10hipError_tT0_T1_T2_jT3_P12ihipStream_tbPNSt15iterator_traitsISK_E10value_typeEPNSQ_ISL_E10value_typeEPSM_NS1_7vsmem_tEENKUlT_SK_SL_SM_E_clISE_PxSF_SF_EESJ_SZ_SK_SL_SM_EUlSZ_E_NS1_11comp_targetILNS1_3genE2ELNS1_11target_archE906ELNS1_3gpuE6ELNS1_3repE0EEENS1_48merge_mergepath_partition_config_static_selectorELNS0_4arch9wavefront6targetE1EEEvSL_,"axG",@progbits,_ZN7rocprim17ROCPRIM_400000_NS6detail17trampoline_kernelINS0_14default_configENS1_38merge_sort_block_merge_config_selectorIxNS0_10empty_typeEEEZZNS1_27merge_sort_block_merge_implIS3_N6thrust23THRUST_200600_302600_NS6detail15normal_iteratorINS9_10device_ptrIxEEEEPS5_jNS1_19radix_merge_compareILb0ELb0ExNS0_19identity_decomposerEEEEE10hipError_tT0_T1_T2_jT3_P12ihipStream_tbPNSt15iterator_traitsISK_E10value_typeEPNSQ_ISL_E10value_typeEPSM_NS1_7vsmem_tEENKUlT_SK_SL_SM_E_clISE_PxSF_SF_EESJ_SZ_SK_SL_SM_EUlSZ_E_NS1_11comp_targetILNS1_3genE2ELNS1_11target_archE906ELNS1_3gpuE6ELNS1_3repE0EEENS1_48merge_mergepath_partition_config_static_selectorELNS0_4arch9wavefront6targetE1EEEvSL_,comdat
	.protected	_ZN7rocprim17ROCPRIM_400000_NS6detail17trampoline_kernelINS0_14default_configENS1_38merge_sort_block_merge_config_selectorIxNS0_10empty_typeEEEZZNS1_27merge_sort_block_merge_implIS3_N6thrust23THRUST_200600_302600_NS6detail15normal_iteratorINS9_10device_ptrIxEEEEPS5_jNS1_19radix_merge_compareILb0ELb0ExNS0_19identity_decomposerEEEEE10hipError_tT0_T1_T2_jT3_P12ihipStream_tbPNSt15iterator_traitsISK_E10value_typeEPNSQ_ISL_E10value_typeEPSM_NS1_7vsmem_tEENKUlT_SK_SL_SM_E_clISE_PxSF_SF_EESJ_SZ_SK_SL_SM_EUlSZ_E_NS1_11comp_targetILNS1_3genE2ELNS1_11target_archE906ELNS1_3gpuE6ELNS1_3repE0EEENS1_48merge_mergepath_partition_config_static_selectorELNS0_4arch9wavefront6targetE1EEEvSL_ ; -- Begin function _ZN7rocprim17ROCPRIM_400000_NS6detail17trampoline_kernelINS0_14default_configENS1_38merge_sort_block_merge_config_selectorIxNS0_10empty_typeEEEZZNS1_27merge_sort_block_merge_implIS3_N6thrust23THRUST_200600_302600_NS6detail15normal_iteratorINS9_10device_ptrIxEEEEPS5_jNS1_19radix_merge_compareILb0ELb0ExNS0_19identity_decomposerEEEEE10hipError_tT0_T1_T2_jT3_P12ihipStream_tbPNSt15iterator_traitsISK_E10value_typeEPNSQ_ISL_E10value_typeEPSM_NS1_7vsmem_tEENKUlT_SK_SL_SM_E_clISE_PxSF_SF_EESJ_SZ_SK_SL_SM_EUlSZ_E_NS1_11comp_targetILNS1_3genE2ELNS1_11target_archE906ELNS1_3gpuE6ELNS1_3repE0EEENS1_48merge_mergepath_partition_config_static_selectorELNS0_4arch9wavefront6targetE1EEEvSL_
	.globl	_ZN7rocprim17ROCPRIM_400000_NS6detail17trampoline_kernelINS0_14default_configENS1_38merge_sort_block_merge_config_selectorIxNS0_10empty_typeEEEZZNS1_27merge_sort_block_merge_implIS3_N6thrust23THRUST_200600_302600_NS6detail15normal_iteratorINS9_10device_ptrIxEEEEPS5_jNS1_19radix_merge_compareILb0ELb0ExNS0_19identity_decomposerEEEEE10hipError_tT0_T1_T2_jT3_P12ihipStream_tbPNSt15iterator_traitsISK_E10value_typeEPNSQ_ISL_E10value_typeEPSM_NS1_7vsmem_tEENKUlT_SK_SL_SM_E_clISE_PxSF_SF_EESJ_SZ_SK_SL_SM_EUlSZ_E_NS1_11comp_targetILNS1_3genE2ELNS1_11target_archE906ELNS1_3gpuE6ELNS1_3repE0EEENS1_48merge_mergepath_partition_config_static_selectorELNS0_4arch9wavefront6targetE1EEEvSL_
	.p2align	8
	.type	_ZN7rocprim17ROCPRIM_400000_NS6detail17trampoline_kernelINS0_14default_configENS1_38merge_sort_block_merge_config_selectorIxNS0_10empty_typeEEEZZNS1_27merge_sort_block_merge_implIS3_N6thrust23THRUST_200600_302600_NS6detail15normal_iteratorINS9_10device_ptrIxEEEEPS5_jNS1_19radix_merge_compareILb0ELb0ExNS0_19identity_decomposerEEEEE10hipError_tT0_T1_T2_jT3_P12ihipStream_tbPNSt15iterator_traitsISK_E10value_typeEPNSQ_ISL_E10value_typeEPSM_NS1_7vsmem_tEENKUlT_SK_SL_SM_E_clISE_PxSF_SF_EESJ_SZ_SK_SL_SM_EUlSZ_E_NS1_11comp_targetILNS1_3genE2ELNS1_11target_archE906ELNS1_3gpuE6ELNS1_3repE0EEENS1_48merge_mergepath_partition_config_static_selectorELNS0_4arch9wavefront6targetE1EEEvSL_,@function
_ZN7rocprim17ROCPRIM_400000_NS6detail17trampoline_kernelINS0_14default_configENS1_38merge_sort_block_merge_config_selectorIxNS0_10empty_typeEEEZZNS1_27merge_sort_block_merge_implIS3_N6thrust23THRUST_200600_302600_NS6detail15normal_iteratorINS9_10device_ptrIxEEEEPS5_jNS1_19radix_merge_compareILb0ELb0ExNS0_19identity_decomposerEEEEE10hipError_tT0_T1_T2_jT3_P12ihipStream_tbPNSt15iterator_traitsISK_E10value_typeEPNSQ_ISL_E10value_typeEPSM_NS1_7vsmem_tEENKUlT_SK_SL_SM_E_clISE_PxSF_SF_EESJ_SZ_SK_SL_SM_EUlSZ_E_NS1_11comp_targetILNS1_3genE2ELNS1_11target_archE906ELNS1_3gpuE6ELNS1_3repE0EEENS1_48merge_mergepath_partition_config_static_selectorELNS0_4arch9wavefront6targetE1EEEvSL_: ; @_ZN7rocprim17ROCPRIM_400000_NS6detail17trampoline_kernelINS0_14default_configENS1_38merge_sort_block_merge_config_selectorIxNS0_10empty_typeEEEZZNS1_27merge_sort_block_merge_implIS3_N6thrust23THRUST_200600_302600_NS6detail15normal_iteratorINS9_10device_ptrIxEEEEPS5_jNS1_19radix_merge_compareILb0ELb0ExNS0_19identity_decomposerEEEEE10hipError_tT0_T1_T2_jT3_P12ihipStream_tbPNSt15iterator_traitsISK_E10value_typeEPNSQ_ISL_E10value_typeEPSM_NS1_7vsmem_tEENKUlT_SK_SL_SM_E_clISE_PxSF_SF_EESJ_SZ_SK_SL_SM_EUlSZ_E_NS1_11comp_targetILNS1_3genE2ELNS1_11target_archE906ELNS1_3gpuE6ELNS1_3repE0EEENS1_48merge_mergepath_partition_config_static_selectorELNS0_4arch9wavefront6targetE1EEEvSL_
; %bb.0:
	.section	.rodata,"a",@progbits
	.p2align	6, 0x0
	.amdhsa_kernel _ZN7rocprim17ROCPRIM_400000_NS6detail17trampoline_kernelINS0_14default_configENS1_38merge_sort_block_merge_config_selectorIxNS0_10empty_typeEEEZZNS1_27merge_sort_block_merge_implIS3_N6thrust23THRUST_200600_302600_NS6detail15normal_iteratorINS9_10device_ptrIxEEEEPS5_jNS1_19radix_merge_compareILb0ELb0ExNS0_19identity_decomposerEEEEE10hipError_tT0_T1_T2_jT3_P12ihipStream_tbPNSt15iterator_traitsISK_E10value_typeEPNSQ_ISL_E10value_typeEPSM_NS1_7vsmem_tEENKUlT_SK_SL_SM_E_clISE_PxSF_SF_EESJ_SZ_SK_SL_SM_EUlSZ_E_NS1_11comp_targetILNS1_3genE2ELNS1_11target_archE906ELNS1_3gpuE6ELNS1_3repE0EEENS1_48merge_mergepath_partition_config_static_selectorELNS0_4arch9wavefront6targetE1EEEvSL_
		.amdhsa_group_segment_fixed_size 0
		.amdhsa_private_segment_fixed_size 0
		.amdhsa_kernarg_size 40
		.amdhsa_user_sgpr_count 2
		.amdhsa_user_sgpr_dispatch_ptr 0
		.amdhsa_user_sgpr_queue_ptr 0
		.amdhsa_user_sgpr_kernarg_segment_ptr 1
		.amdhsa_user_sgpr_dispatch_id 0
		.amdhsa_user_sgpr_kernarg_preload_length 0
		.amdhsa_user_sgpr_kernarg_preload_offset 0
		.amdhsa_user_sgpr_private_segment_size 0
		.amdhsa_uses_dynamic_stack 0
		.amdhsa_enable_private_segment 0
		.amdhsa_system_sgpr_workgroup_id_x 1
		.amdhsa_system_sgpr_workgroup_id_y 0
		.amdhsa_system_sgpr_workgroup_id_z 0
		.amdhsa_system_sgpr_workgroup_info 0
		.amdhsa_system_vgpr_workitem_id 0
		.amdhsa_next_free_vgpr 1
		.amdhsa_next_free_sgpr 0
		.amdhsa_accum_offset 4
		.amdhsa_reserve_vcc 0
		.amdhsa_float_round_mode_32 0
		.amdhsa_float_round_mode_16_64 0
		.amdhsa_float_denorm_mode_32 3
		.amdhsa_float_denorm_mode_16_64 3
		.amdhsa_dx10_clamp 1
		.amdhsa_ieee_mode 1
		.amdhsa_fp16_overflow 0
		.amdhsa_tg_split 0
		.amdhsa_exception_fp_ieee_invalid_op 0
		.amdhsa_exception_fp_denorm_src 0
		.amdhsa_exception_fp_ieee_div_zero 0
		.amdhsa_exception_fp_ieee_overflow 0
		.amdhsa_exception_fp_ieee_underflow 0
		.amdhsa_exception_fp_ieee_inexact 0
		.amdhsa_exception_int_div_zero 0
	.end_amdhsa_kernel
	.section	.text._ZN7rocprim17ROCPRIM_400000_NS6detail17trampoline_kernelINS0_14default_configENS1_38merge_sort_block_merge_config_selectorIxNS0_10empty_typeEEEZZNS1_27merge_sort_block_merge_implIS3_N6thrust23THRUST_200600_302600_NS6detail15normal_iteratorINS9_10device_ptrIxEEEEPS5_jNS1_19radix_merge_compareILb0ELb0ExNS0_19identity_decomposerEEEEE10hipError_tT0_T1_T2_jT3_P12ihipStream_tbPNSt15iterator_traitsISK_E10value_typeEPNSQ_ISL_E10value_typeEPSM_NS1_7vsmem_tEENKUlT_SK_SL_SM_E_clISE_PxSF_SF_EESJ_SZ_SK_SL_SM_EUlSZ_E_NS1_11comp_targetILNS1_3genE2ELNS1_11target_archE906ELNS1_3gpuE6ELNS1_3repE0EEENS1_48merge_mergepath_partition_config_static_selectorELNS0_4arch9wavefront6targetE1EEEvSL_,"axG",@progbits,_ZN7rocprim17ROCPRIM_400000_NS6detail17trampoline_kernelINS0_14default_configENS1_38merge_sort_block_merge_config_selectorIxNS0_10empty_typeEEEZZNS1_27merge_sort_block_merge_implIS3_N6thrust23THRUST_200600_302600_NS6detail15normal_iteratorINS9_10device_ptrIxEEEEPS5_jNS1_19radix_merge_compareILb0ELb0ExNS0_19identity_decomposerEEEEE10hipError_tT0_T1_T2_jT3_P12ihipStream_tbPNSt15iterator_traitsISK_E10value_typeEPNSQ_ISL_E10value_typeEPSM_NS1_7vsmem_tEENKUlT_SK_SL_SM_E_clISE_PxSF_SF_EESJ_SZ_SK_SL_SM_EUlSZ_E_NS1_11comp_targetILNS1_3genE2ELNS1_11target_archE906ELNS1_3gpuE6ELNS1_3repE0EEENS1_48merge_mergepath_partition_config_static_selectorELNS0_4arch9wavefront6targetE1EEEvSL_,comdat
.Lfunc_end1439:
	.size	_ZN7rocprim17ROCPRIM_400000_NS6detail17trampoline_kernelINS0_14default_configENS1_38merge_sort_block_merge_config_selectorIxNS0_10empty_typeEEEZZNS1_27merge_sort_block_merge_implIS3_N6thrust23THRUST_200600_302600_NS6detail15normal_iteratorINS9_10device_ptrIxEEEEPS5_jNS1_19radix_merge_compareILb0ELb0ExNS0_19identity_decomposerEEEEE10hipError_tT0_T1_T2_jT3_P12ihipStream_tbPNSt15iterator_traitsISK_E10value_typeEPNSQ_ISL_E10value_typeEPSM_NS1_7vsmem_tEENKUlT_SK_SL_SM_E_clISE_PxSF_SF_EESJ_SZ_SK_SL_SM_EUlSZ_E_NS1_11comp_targetILNS1_3genE2ELNS1_11target_archE906ELNS1_3gpuE6ELNS1_3repE0EEENS1_48merge_mergepath_partition_config_static_selectorELNS0_4arch9wavefront6targetE1EEEvSL_, .Lfunc_end1439-_ZN7rocprim17ROCPRIM_400000_NS6detail17trampoline_kernelINS0_14default_configENS1_38merge_sort_block_merge_config_selectorIxNS0_10empty_typeEEEZZNS1_27merge_sort_block_merge_implIS3_N6thrust23THRUST_200600_302600_NS6detail15normal_iteratorINS9_10device_ptrIxEEEEPS5_jNS1_19radix_merge_compareILb0ELb0ExNS0_19identity_decomposerEEEEE10hipError_tT0_T1_T2_jT3_P12ihipStream_tbPNSt15iterator_traitsISK_E10value_typeEPNSQ_ISL_E10value_typeEPSM_NS1_7vsmem_tEENKUlT_SK_SL_SM_E_clISE_PxSF_SF_EESJ_SZ_SK_SL_SM_EUlSZ_E_NS1_11comp_targetILNS1_3genE2ELNS1_11target_archE906ELNS1_3gpuE6ELNS1_3repE0EEENS1_48merge_mergepath_partition_config_static_selectorELNS0_4arch9wavefront6targetE1EEEvSL_
                                        ; -- End function
	.section	.AMDGPU.csdata,"",@progbits
; Kernel info:
; codeLenInByte = 0
; NumSgprs: 6
; NumVgprs: 0
; NumAgprs: 0
; TotalNumVgprs: 0
; ScratchSize: 0
; MemoryBound: 0
; FloatMode: 240
; IeeeMode: 1
; LDSByteSize: 0 bytes/workgroup (compile time only)
; SGPRBlocks: 0
; VGPRBlocks: 0
; NumSGPRsForWavesPerEU: 6
; NumVGPRsForWavesPerEU: 1
; AccumOffset: 4
; Occupancy: 8
; WaveLimiterHint : 0
; COMPUTE_PGM_RSRC2:SCRATCH_EN: 0
; COMPUTE_PGM_RSRC2:USER_SGPR: 2
; COMPUTE_PGM_RSRC2:TRAP_HANDLER: 0
; COMPUTE_PGM_RSRC2:TGID_X_EN: 1
; COMPUTE_PGM_RSRC2:TGID_Y_EN: 0
; COMPUTE_PGM_RSRC2:TGID_Z_EN: 0
; COMPUTE_PGM_RSRC2:TIDIG_COMP_CNT: 0
; COMPUTE_PGM_RSRC3_GFX90A:ACCUM_OFFSET: 0
; COMPUTE_PGM_RSRC3_GFX90A:TG_SPLIT: 0
	.section	.text._ZN7rocprim17ROCPRIM_400000_NS6detail17trampoline_kernelINS0_14default_configENS1_38merge_sort_block_merge_config_selectorIxNS0_10empty_typeEEEZZNS1_27merge_sort_block_merge_implIS3_N6thrust23THRUST_200600_302600_NS6detail15normal_iteratorINS9_10device_ptrIxEEEEPS5_jNS1_19radix_merge_compareILb0ELb0ExNS0_19identity_decomposerEEEEE10hipError_tT0_T1_T2_jT3_P12ihipStream_tbPNSt15iterator_traitsISK_E10value_typeEPNSQ_ISL_E10value_typeEPSM_NS1_7vsmem_tEENKUlT_SK_SL_SM_E_clISE_PxSF_SF_EESJ_SZ_SK_SL_SM_EUlSZ_E_NS1_11comp_targetILNS1_3genE9ELNS1_11target_archE1100ELNS1_3gpuE3ELNS1_3repE0EEENS1_48merge_mergepath_partition_config_static_selectorELNS0_4arch9wavefront6targetE1EEEvSL_,"axG",@progbits,_ZN7rocprim17ROCPRIM_400000_NS6detail17trampoline_kernelINS0_14default_configENS1_38merge_sort_block_merge_config_selectorIxNS0_10empty_typeEEEZZNS1_27merge_sort_block_merge_implIS3_N6thrust23THRUST_200600_302600_NS6detail15normal_iteratorINS9_10device_ptrIxEEEEPS5_jNS1_19radix_merge_compareILb0ELb0ExNS0_19identity_decomposerEEEEE10hipError_tT0_T1_T2_jT3_P12ihipStream_tbPNSt15iterator_traitsISK_E10value_typeEPNSQ_ISL_E10value_typeEPSM_NS1_7vsmem_tEENKUlT_SK_SL_SM_E_clISE_PxSF_SF_EESJ_SZ_SK_SL_SM_EUlSZ_E_NS1_11comp_targetILNS1_3genE9ELNS1_11target_archE1100ELNS1_3gpuE3ELNS1_3repE0EEENS1_48merge_mergepath_partition_config_static_selectorELNS0_4arch9wavefront6targetE1EEEvSL_,comdat
	.protected	_ZN7rocprim17ROCPRIM_400000_NS6detail17trampoline_kernelINS0_14default_configENS1_38merge_sort_block_merge_config_selectorIxNS0_10empty_typeEEEZZNS1_27merge_sort_block_merge_implIS3_N6thrust23THRUST_200600_302600_NS6detail15normal_iteratorINS9_10device_ptrIxEEEEPS5_jNS1_19radix_merge_compareILb0ELb0ExNS0_19identity_decomposerEEEEE10hipError_tT0_T1_T2_jT3_P12ihipStream_tbPNSt15iterator_traitsISK_E10value_typeEPNSQ_ISL_E10value_typeEPSM_NS1_7vsmem_tEENKUlT_SK_SL_SM_E_clISE_PxSF_SF_EESJ_SZ_SK_SL_SM_EUlSZ_E_NS1_11comp_targetILNS1_3genE9ELNS1_11target_archE1100ELNS1_3gpuE3ELNS1_3repE0EEENS1_48merge_mergepath_partition_config_static_selectorELNS0_4arch9wavefront6targetE1EEEvSL_ ; -- Begin function _ZN7rocprim17ROCPRIM_400000_NS6detail17trampoline_kernelINS0_14default_configENS1_38merge_sort_block_merge_config_selectorIxNS0_10empty_typeEEEZZNS1_27merge_sort_block_merge_implIS3_N6thrust23THRUST_200600_302600_NS6detail15normal_iteratorINS9_10device_ptrIxEEEEPS5_jNS1_19radix_merge_compareILb0ELb0ExNS0_19identity_decomposerEEEEE10hipError_tT0_T1_T2_jT3_P12ihipStream_tbPNSt15iterator_traitsISK_E10value_typeEPNSQ_ISL_E10value_typeEPSM_NS1_7vsmem_tEENKUlT_SK_SL_SM_E_clISE_PxSF_SF_EESJ_SZ_SK_SL_SM_EUlSZ_E_NS1_11comp_targetILNS1_3genE9ELNS1_11target_archE1100ELNS1_3gpuE3ELNS1_3repE0EEENS1_48merge_mergepath_partition_config_static_selectorELNS0_4arch9wavefront6targetE1EEEvSL_
	.globl	_ZN7rocprim17ROCPRIM_400000_NS6detail17trampoline_kernelINS0_14default_configENS1_38merge_sort_block_merge_config_selectorIxNS0_10empty_typeEEEZZNS1_27merge_sort_block_merge_implIS3_N6thrust23THRUST_200600_302600_NS6detail15normal_iteratorINS9_10device_ptrIxEEEEPS5_jNS1_19radix_merge_compareILb0ELb0ExNS0_19identity_decomposerEEEEE10hipError_tT0_T1_T2_jT3_P12ihipStream_tbPNSt15iterator_traitsISK_E10value_typeEPNSQ_ISL_E10value_typeEPSM_NS1_7vsmem_tEENKUlT_SK_SL_SM_E_clISE_PxSF_SF_EESJ_SZ_SK_SL_SM_EUlSZ_E_NS1_11comp_targetILNS1_3genE9ELNS1_11target_archE1100ELNS1_3gpuE3ELNS1_3repE0EEENS1_48merge_mergepath_partition_config_static_selectorELNS0_4arch9wavefront6targetE1EEEvSL_
	.p2align	8
	.type	_ZN7rocprim17ROCPRIM_400000_NS6detail17trampoline_kernelINS0_14default_configENS1_38merge_sort_block_merge_config_selectorIxNS0_10empty_typeEEEZZNS1_27merge_sort_block_merge_implIS3_N6thrust23THRUST_200600_302600_NS6detail15normal_iteratorINS9_10device_ptrIxEEEEPS5_jNS1_19radix_merge_compareILb0ELb0ExNS0_19identity_decomposerEEEEE10hipError_tT0_T1_T2_jT3_P12ihipStream_tbPNSt15iterator_traitsISK_E10value_typeEPNSQ_ISL_E10value_typeEPSM_NS1_7vsmem_tEENKUlT_SK_SL_SM_E_clISE_PxSF_SF_EESJ_SZ_SK_SL_SM_EUlSZ_E_NS1_11comp_targetILNS1_3genE9ELNS1_11target_archE1100ELNS1_3gpuE3ELNS1_3repE0EEENS1_48merge_mergepath_partition_config_static_selectorELNS0_4arch9wavefront6targetE1EEEvSL_,@function
_ZN7rocprim17ROCPRIM_400000_NS6detail17trampoline_kernelINS0_14default_configENS1_38merge_sort_block_merge_config_selectorIxNS0_10empty_typeEEEZZNS1_27merge_sort_block_merge_implIS3_N6thrust23THRUST_200600_302600_NS6detail15normal_iteratorINS9_10device_ptrIxEEEEPS5_jNS1_19radix_merge_compareILb0ELb0ExNS0_19identity_decomposerEEEEE10hipError_tT0_T1_T2_jT3_P12ihipStream_tbPNSt15iterator_traitsISK_E10value_typeEPNSQ_ISL_E10value_typeEPSM_NS1_7vsmem_tEENKUlT_SK_SL_SM_E_clISE_PxSF_SF_EESJ_SZ_SK_SL_SM_EUlSZ_E_NS1_11comp_targetILNS1_3genE9ELNS1_11target_archE1100ELNS1_3gpuE3ELNS1_3repE0EEENS1_48merge_mergepath_partition_config_static_selectorELNS0_4arch9wavefront6targetE1EEEvSL_: ; @_ZN7rocprim17ROCPRIM_400000_NS6detail17trampoline_kernelINS0_14default_configENS1_38merge_sort_block_merge_config_selectorIxNS0_10empty_typeEEEZZNS1_27merge_sort_block_merge_implIS3_N6thrust23THRUST_200600_302600_NS6detail15normal_iteratorINS9_10device_ptrIxEEEEPS5_jNS1_19radix_merge_compareILb0ELb0ExNS0_19identity_decomposerEEEEE10hipError_tT0_T1_T2_jT3_P12ihipStream_tbPNSt15iterator_traitsISK_E10value_typeEPNSQ_ISL_E10value_typeEPSM_NS1_7vsmem_tEENKUlT_SK_SL_SM_E_clISE_PxSF_SF_EESJ_SZ_SK_SL_SM_EUlSZ_E_NS1_11comp_targetILNS1_3genE9ELNS1_11target_archE1100ELNS1_3gpuE3ELNS1_3repE0EEENS1_48merge_mergepath_partition_config_static_selectorELNS0_4arch9wavefront6targetE1EEEvSL_
; %bb.0:
	.section	.rodata,"a",@progbits
	.p2align	6, 0x0
	.amdhsa_kernel _ZN7rocprim17ROCPRIM_400000_NS6detail17trampoline_kernelINS0_14default_configENS1_38merge_sort_block_merge_config_selectorIxNS0_10empty_typeEEEZZNS1_27merge_sort_block_merge_implIS3_N6thrust23THRUST_200600_302600_NS6detail15normal_iteratorINS9_10device_ptrIxEEEEPS5_jNS1_19radix_merge_compareILb0ELb0ExNS0_19identity_decomposerEEEEE10hipError_tT0_T1_T2_jT3_P12ihipStream_tbPNSt15iterator_traitsISK_E10value_typeEPNSQ_ISL_E10value_typeEPSM_NS1_7vsmem_tEENKUlT_SK_SL_SM_E_clISE_PxSF_SF_EESJ_SZ_SK_SL_SM_EUlSZ_E_NS1_11comp_targetILNS1_3genE9ELNS1_11target_archE1100ELNS1_3gpuE3ELNS1_3repE0EEENS1_48merge_mergepath_partition_config_static_selectorELNS0_4arch9wavefront6targetE1EEEvSL_
		.amdhsa_group_segment_fixed_size 0
		.amdhsa_private_segment_fixed_size 0
		.amdhsa_kernarg_size 40
		.amdhsa_user_sgpr_count 2
		.amdhsa_user_sgpr_dispatch_ptr 0
		.amdhsa_user_sgpr_queue_ptr 0
		.amdhsa_user_sgpr_kernarg_segment_ptr 1
		.amdhsa_user_sgpr_dispatch_id 0
		.amdhsa_user_sgpr_kernarg_preload_length 0
		.amdhsa_user_sgpr_kernarg_preload_offset 0
		.amdhsa_user_sgpr_private_segment_size 0
		.amdhsa_uses_dynamic_stack 0
		.amdhsa_enable_private_segment 0
		.amdhsa_system_sgpr_workgroup_id_x 1
		.amdhsa_system_sgpr_workgroup_id_y 0
		.amdhsa_system_sgpr_workgroup_id_z 0
		.amdhsa_system_sgpr_workgroup_info 0
		.amdhsa_system_vgpr_workitem_id 0
		.amdhsa_next_free_vgpr 1
		.amdhsa_next_free_sgpr 0
		.amdhsa_accum_offset 4
		.amdhsa_reserve_vcc 0
		.amdhsa_float_round_mode_32 0
		.amdhsa_float_round_mode_16_64 0
		.amdhsa_float_denorm_mode_32 3
		.amdhsa_float_denorm_mode_16_64 3
		.amdhsa_dx10_clamp 1
		.amdhsa_ieee_mode 1
		.amdhsa_fp16_overflow 0
		.amdhsa_tg_split 0
		.amdhsa_exception_fp_ieee_invalid_op 0
		.amdhsa_exception_fp_denorm_src 0
		.amdhsa_exception_fp_ieee_div_zero 0
		.amdhsa_exception_fp_ieee_overflow 0
		.amdhsa_exception_fp_ieee_underflow 0
		.amdhsa_exception_fp_ieee_inexact 0
		.amdhsa_exception_int_div_zero 0
	.end_amdhsa_kernel
	.section	.text._ZN7rocprim17ROCPRIM_400000_NS6detail17trampoline_kernelINS0_14default_configENS1_38merge_sort_block_merge_config_selectorIxNS0_10empty_typeEEEZZNS1_27merge_sort_block_merge_implIS3_N6thrust23THRUST_200600_302600_NS6detail15normal_iteratorINS9_10device_ptrIxEEEEPS5_jNS1_19radix_merge_compareILb0ELb0ExNS0_19identity_decomposerEEEEE10hipError_tT0_T1_T2_jT3_P12ihipStream_tbPNSt15iterator_traitsISK_E10value_typeEPNSQ_ISL_E10value_typeEPSM_NS1_7vsmem_tEENKUlT_SK_SL_SM_E_clISE_PxSF_SF_EESJ_SZ_SK_SL_SM_EUlSZ_E_NS1_11comp_targetILNS1_3genE9ELNS1_11target_archE1100ELNS1_3gpuE3ELNS1_3repE0EEENS1_48merge_mergepath_partition_config_static_selectorELNS0_4arch9wavefront6targetE1EEEvSL_,"axG",@progbits,_ZN7rocprim17ROCPRIM_400000_NS6detail17trampoline_kernelINS0_14default_configENS1_38merge_sort_block_merge_config_selectorIxNS0_10empty_typeEEEZZNS1_27merge_sort_block_merge_implIS3_N6thrust23THRUST_200600_302600_NS6detail15normal_iteratorINS9_10device_ptrIxEEEEPS5_jNS1_19radix_merge_compareILb0ELb0ExNS0_19identity_decomposerEEEEE10hipError_tT0_T1_T2_jT3_P12ihipStream_tbPNSt15iterator_traitsISK_E10value_typeEPNSQ_ISL_E10value_typeEPSM_NS1_7vsmem_tEENKUlT_SK_SL_SM_E_clISE_PxSF_SF_EESJ_SZ_SK_SL_SM_EUlSZ_E_NS1_11comp_targetILNS1_3genE9ELNS1_11target_archE1100ELNS1_3gpuE3ELNS1_3repE0EEENS1_48merge_mergepath_partition_config_static_selectorELNS0_4arch9wavefront6targetE1EEEvSL_,comdat
.Lfunc_end1440:
	.size	_ZN7rocprim17ROCPRIM_400000_NS6detail17trampoline_kernelINS0_14default_configENS1_38merge_sort_block_merge_config_selectorIxNS0_10empty_typeEEEZZNS1_27merge_sort_block_merge_implIS3_N6thrust23THRUST_200600_302600_NS6detail15normal_iteratorINS9_10device_ptrIxEEEEPS5_jNS1_19radix_merge_compareILb0ELb0ExNS0_19identity_decomposerEEEEE10hipError_tT0_T1_T2_jT3_P12ihipStream_tbPNSt15iterator_traitsISK_E10value_typeEPNSQ_ISL_E10value_typeEPSM_NS1_7vsmem_tEENKUlT_SK_SL_SM_E_clISE_PxSF_SF_EESJ_SZ_SK_SL_SM_EUlSZ_E_NS1_11comp_targetILNS1_3genE9ELNS1_11target_archE1100ELNS1_3gpuE3ELNS1_3repE0EEENS1_48merge_mergepath_partition_config_static_selectorELNS0_4arch9wavefront6targetE1EEEvSL_, .Lfunc_end1440-_ZN7rocprim17ROCPRIM_400000_NS6detail17trampoline_kernelINS0_14default_configENS1_38merge_sort_block_merge_config_selectorIxNS0_10empty_typeEEEZZNS1_27merge_sort_block_merge_implIS3_N6thrust23THRUST_200600_302600_NS6detail15normal_iteratorINS9_10device_ptrIxEEEEPS5_jNS1_19radix_merge_compareILb0ELb0ExNS0_19identity_decomposerEEEEE10hipError_tT0_T1_T2_jT3_P12ihipStream_tbPNSt15iterator_traitsISK_E10value_typeEPNSQ_ISL_E10value_typeEPSM_NS1_7vsmem_tEENKUlT_SK_SL_SM_E_clISE_PxSF_SF_EESJ_SZ_SK_SL_SM_EUlSZ_E_NS1_11comp_targetILNS1_3genE9ELNS1_11target_archE1100ELNS1_3gpuE3ELNS1_3repE0EEENS1_48merge_mergepath_partition_config_static_selectorELNS0_4arch9wavefront6targetE1EEEvSL_
                                        ; -- End function
	.section	.AMDGPU.csdata,"",@progbits
; Kernel info:
; codeLenInByte = 0
; NumSgprs: 6
; NumVgprs: 0
; NumAgprs: 0
; TotalNumVgprs: 0
; ScratchSize: 0
; MemoryBound: 0
; FloatMode: 240
; IeeeMode: 1
; LDSByteSize: 0 bytes/workgroup (compile time only)
; SGPRBlocks: 0
; VGPRBlocks: 0
; NumSGPRsForWavesPerEU: 6
; NumVGPRsForWavesPerEU: 1
; AccumOffset: 4
; Occupancy: 8
; WaveLimiterHint : 0
; COMPUTE_PGM_RSRC2:SCRATCH_EN: 0
; COMPUTE_PGM_RSRC2:USER_SGPR: 2
; COMPUTE_PGM_RSRC2:TRAP_HANDLER: 0
; COMPUTE_PGM_RSRC2:TGID_X_EN: 1
; COMPUTE_PGM_RSRC2:TGID_Y_EN: 0
; COMPUTE_PGM_RSRC2:TGID_Z_EN: 0
; COMPUTE_PGM_RSRC2:TIDIG_COMP_CNT: 0
; COMPUTE_PGM_RSRC3_GFX90A:ACCUM_OFFSET: 0
; COMPUTE_PGM_RSRC3_GFX90A:TG_SPLIT: 0
	.section	.text._ZN7rocprim17ROCPRIM_400000_NS6detail17trampoline_kernelINS0_14default_configENS1_38merge_sort_block_merge_config_selectorIxNS0_10empty_typeEEEZZNS1_27merge_sort_block_merge_implIS3_N6thrust23THRUST_200600_302600_NS6detail15normal_iteratorINS9_10device_ptrIxEEEEPS5_jNS1_19radix_merge_compareILb0ELb0ExNS0_19identity_decomposerEEEEE10hipError_tT0_T1_T2_jT3_P12ihipStream_tbPNSt15iterator_traitsISK_E10value_typeEPNSQ_ISL_E10value_typeEPSM_NS1_7vsmem_tEENKUlT_SK_SL_SM_E_clISE_PxSF_SF_EESJ_SZ_SK_SL_SM_EUlSZ_E_NS1_11comp_targetILNS1_3genE8ELNS1_11target_archE1030ELNS1_3gpuE2ELNS1_3repE0EEENS1_48merge_mergepath_partition_config_static_selectorELNS0_4arch9wavefront6targetE1EEEvSL_,"axG",@progbits,_ZN7rocprim17ROCPRIM_400000_NS6detail17trampoline_kernelINS0_14default_configENS1_38merge_sort_block_merge_config_selectorIxNS0_10empty_typeEEEZZNS1_27merge_sort_block_merge_implIS3_N6thrust23THRUST_200600_302600_NS6detail15normal_iteratorINS9_10device_ptrIxEEEEPS5_jNS1_19radix_merge_compareILb0ELb0ExNS0_19identity_decomposerEEEEE10hipError_tT0_T1_T2_jT3_P12ihipStream_tbPNSt15iterator_traitsISK_E10value_typeEPNSQ_ISL_E10value_typeEPSM_NS1_7vsmem_tEENKUlT_SK_SL_SM_E_clISE_PxSF_SF_EESJ_SZ_SK_SL_SM_EUlSZ_E_NS1_11comp_targetILNS1_3genE8ELNS1_11target_archE1030ELNS1_3gpuE2ELNS1_3repE0EEENS1_48merge_mergepath_partition_config_static_selectorELNS0_4arch9wavefront6targetE1EEEvSL_,comdat
	.protected	_ZN7rocprim17ROCPRIM_400000_NS6detail17trampoline_kernelINS0_14default_configENS1_38merge_sort_block_merge_config_selectorIxNS0_10empty_typeEEEZZNS1_27merge_sort_block_merge_implIS3_N6thrust23THRUST_200600_302600_NS6detail15normal_iteratorINS9_10device_ptrIxEEEEPS5_jNS1_19radix_merge_compareILb0ELb0ExNS0_19identity_decomposerEEEEE10hipError_tT0_T1_T2_jT3_P12ihipStream_tbPNSt15iterator_traitsISK_E10value_typeEPNSQ_ISL_E10value_typeEPSM_NS1_7vsmem_tEENKUlT_SK_SL_SM_E_clISE_PxSF_SF_EESJ_SZ_SK_SL_SM_EUlSZ_E_NS1_11comp_targetILNS1_3genE8ELNS1_11target_archE1030ELNS1_3gpuE2ELNS1_3repE0EEENS1_48merge_mergepath_partition_config_static_selectorELNS0_4arch9wavefront6targetE1EEEvSL_ ; -- Begin function _ZN7rocprim17ROCPRIM_400000_NS6detail17trampoline_kernelINS0_14default_configENS1_38merge_sort_block_merge_config_selectorIxNS0_10empty_typeEEEZZNS1_27merge_sort_block_merge_implIS3_N6thrust23THRUST_200600_302600_NS6detail15normal_iteratorINS9_10device_ptrIxEEEEPS5_jNS1_19radix_merge_compareILb0ELb0ExNS0_19identity_decomposerEEEEE10hipError_tT0_T1_T2_jT3_P12ihipStream_tbPNSt15iterator_traitsISK_E10value_typeEPNSQ_ISL_E10value_typeEPSM_NS1_7vsmem_tEENKUlT_SK_SL_SM_E_clISE_PxSF_SF_EESJ_SZ_SK_SL_SM_EUlSZ_E_NS1_11comp_targetILNS1_3genE8ELNS1_11target_archE1030ELNS1_3gpuE2ELNS1_3repE0EEENS1_48merge_mergepath_partition_config_static_selectorELNS0_4arch9wavefront6targetE1EEEvSL_
	.globl	_ZN7rocprim17ROCPRIM_400000_NS6detail17trampoline_kernelINS0_14default_configENS1_38merge_sort_block_merge_config_selectorIxNS0_10empty_typeEEEZZNS1_27merge_sort_block_merge_implIS3_N6thrust23THRUST_200600_302600_NS6detail15normal_iteratorINS9_10device_ptrIxEEEEPS5_jNS1_19radix_merge_compareILb0ELb0ExNS0_19identity_decomposerEEEEE10hipError_tT0_T1_T2_jT3_P12ihipStream_tbPNSt15iterator_traitsISK_E10value_typeEPNSQ_ISL_E10value_typeEPSM_NS1_7vsmem_tEENKUlT_SK_SL_SM_E_clISE_PxSF_SF_EESJ_SZ_SK_SL_SM_EUlSZ_E_NS1_11comp_targetILNS1_3genE8ELNS1_11target_archE1030ELNS1_3gpuE2ELNS1_3repE0EEENS1_48merge_mergepath_partition_config_static_selectorELNS0_4arch9wavefront6targetE1EEEvSL_
	.p2align	8
	.type	_ZN7rocprim17ROCPRIM_400000_NS6detail17trampoline_kernelINS0_14default_configENS1_38merge_sort_block_merge_config_selectorIxNS0_10empty_typeEEEZZNS1_27merge_sort_block_merge_implIS3_N6thrust23THRUST_200600_302600_NS6detail15normal_iteratorINS9_10device_ptrIxEEEEPS5_jNS1_19radix_merge_compareILb0ELb0ExNS0_19identity_decomposerEEEEE10hipError_tT0_T1_T2_jT3_P12ihipStream_tbPNSt15iterator_traitsISK_E10value_typeEPNSQ_ISL_E10value_typeEPSM_NS1_7vsmem_tEENKUlT_SK_SL_SM_E_clISE_PxSF_SF_EESJ_SZ_SK_SL_SM_EUlSZ_E_NS1_11comp_targetILNS1_3genE8ELNS1_11target_archE1030ELNS1_3gpuE2ELNS1_3repE0EEENS1_48merge_mergepath_partition_config_static_selectorELNS0_4arch9wavefront6targetE1EEEvSL_,@function
_ZN7rocprim17ROCPRIM_400000_NS6detail17trampoline_kernelINS0_14default_configENS1_38merge_sort_block_merge_config_selectorIxNS0_10empty_typeEEEZZNS1_27merge_sort_block_merge_implIS3_N6thrust23THRUST_200600_302600_NS6detail15normal_iteratorINS9_10device_ptrIxEEEEPS5_jNS1_19radix_merge_compareILb0ELb0ExNS0_19identity_decomposerEEEEE10hipError_tT0_T1_T2_jT3_P12ihipStream_tbPNSt15iterator_traitsISK_E10value_typeEPNSQ_ISL_E10value_typeEPSM_NS1_7vsmem_tEENKUlT_SK_SL_SM_E_clISE_PxSF_SF_EESJ_SZ_SK_SL_SM_EUlSZ_E_NS1_11comp_targetILNS1_3genE8ELNS1_11target_archE1030ELNS1_3gpuE2ELNS1_3repE0EEENS1_48merge_mergepath_partition_config_static_selectorELNS0_4arch9wavefront6targetE1EEEvSL_: ; @_ZN7rocprim17ROCPRIM_400000_NS6detail17trampoline_kernelINS0_14default_configENS1_38merge_sort_block_merge_config_selectorIxNS0_10empty_typeEEEZZNS1_27merge_sort_block_merge_implIS3_N6thrust23THRUST_200600_302600_NS6detail15normal_iteratorINS9_10device_ptrIxEEEEPS5_jNS1_19radix_merge_compareILb0ELb0ExNS0_19identity_decomposerEEEEE10hipError_tT0_T1_T2_jT3_P12ihipStream_tbPNSt15iterator_traitsISK_E10value_typeEPNSQ_ISL_E10value_typeEPSM_NS1_7vsmem_tEENKUlT_SK_SL_SM_E_clISE_PxSF_SF_EESJ_SZ_SK_SL_SM_EUlSZ_E_NS1_11comp_targetILNS1_3genE8ELNS1_11target_archE1030ELNS1_3gpuE2ELNS1_3repE0EEENS1_48merge_mergepath_partition_config_static_selectorELNS0_4arch9wavefront6targetE1EEEvSL_
; %bb.0:
	.section	.rodata,"a",@progbits
	.p2align	6, 0x0
	.amdhsa_kernel _ZN7rocprim17ROCPRIM_400000_NS6detail17trampoline_kernelINS0_14default_configENS1_38merge_sort_block_merge_config_selectorIxNS0_10empty_typeEEEZZNS1_27merge_sort_block_merge_implIS3_N6thrust23THRUST_200600_302600_NS6detail15normal_iteratorINS9_10device_ptrIxEEEEPS5_jNS1_19radix_merge_compareILb0ELb0ExNS0_19identity_decomposerEEEEE10hipError_tT0_T1_T2_jT3_P12ihipStream_tbPNSt15iterator_traitsISK_E10value_typeEPNSQ_ISL_E10value_typeEPSM_NS1_7vsmem_tEENKUlT_SK_SL_SM_E_clISE_PxSF_SF_EESJ_SZ_SK_SL_SM_EUlSZ_E_NS1_11comp_targetILNS1_3genE8ELNS1_11target_archE1030ELNS1_3gpuE2ELNS1_3repE0EEENS1_48merge_mergepath_partition_config_static_selectorELNS0_4arch9wavefront6targetE1EEEvSL_
		.amdhsa_group_segment_fixed_size 0
		.amdhsa_private_segment_fixed_size 0
		.amdhsa_kernarg_size 40
		.amdhsa_user_sgpr_count 2
		.amdhsa_user_sgpr_dispatch_ptr 0
		.amdhsa_user_sgpr_queue_ptr 0
		.amdhsa_user_sgpr_kernarg_segment_ptr 1
		.amdhsa_user_sgpr_dispatch_id 0
		.amdhsa_user_sgpr_kernarg_preload_length 0
		.amdhsa_user_sgpr_kernarg_preload_offset 0
		.amdhsa_user_sgpr_private_segment_size 0
		.amdhsa_uses_dynamic_stack 0
		.amdhsa_enable_private_segment 0
		.amdhsa_system_sgpr_workgroup_id_x 1
		.amdhsa_system_sgpr_workgroup_id_y 0
		.amdhsa_system_sgpr_workgroup_id_z 0
		.amdhsa_system_sgpr_workgroup_info 0
		.amdhsa_system_vgpr_workitem_id 0
		.amdhsa_next_free_vgpr 1
		.amdhsa_next_free_sgpr 0
		.amdhsa_accum_offset 4
		.amdhsa_reserve_vcc 0
		.amdhsa_float_round_mode_32 0
		.amdhsa_float_round_mode_16_64 0
		.amdhsa_float_denorm_mode_32 3
		.amdhsa_float_denorm_mode_16_64 3
		.amdhsa_dx10_clamp 1
		.amdhsa_ieee_mode 1
		.amdhsa_fp16_overflow 0
		.amdhsa_tg_split 0
		.amdhsa_exception_fp_ieee_invalid_op 0
		.amdhsa_exception_fp_denorm_src 0
		.amdhsa_exception_fp_ieee_div_zero 0
		.amdhsa_exception_fp_ieee_overflow 0
		.amdhsa_exception_fp_ieee_underflow 0
		.amdhsa_exception_fp_ieee_inexact 0
		.amdhsa_exception_int_div_zero 0
	.end_amdhsa_kernel
	.section	.text._ZN7rocprim17ROCPRIM_400000_NS6detail17trampoline_kernelINS0_14default_configENS1_38merge_sort_block_merge_config_selectorIxNS0_10empty_typeEEEZZNS1_27merge_sort_block_merge_implIS3_N6thrust23THRUST_200600_302600_NS6detail15normal_iteratorINS9_10device_ptrIxEEEEPS5_jNS1_19radix_merge_compareILb0ELb0ExNS0_19identity_decomposerEEEEE10hipError_tT0_T1_T2_jT3_P12ihipStream_tbPNSt15iterator_traitsISK_E10value_typeEPNSQ_ISL_E10value_typeEPSM_NS1_7vsmem_tEENKUlT_SK_SL_SM_E_clISE_PxSF_SF_EESJ_SZ_SK_SL_SM_EUlSZ_E_NS1_11comp_targetILNS1_3genE8ELNS1_11target_archE1030ELNS1_3gpuE2ELNS1_3repE0EEENS1_48merge_mergepath_partition_config_static_selectorELNS0_4arch9wavefront6targetE1EEEvSL_,"axG",@progbits,_ZN7rocprim17ROCPRIM_400000_NS6detail17trampoline_kernelINS0_14default_configENS1_38merge_sort_block_merge_config_selectorIxNS0_10empty_typeEEEZZNS1_27merge_sort_block_merge_implIS3_N6thrust23THRUST_200600_302600_NS6detail15normal_iteratorINS9_10device_ptrIxEEEEPS5_jNS1_19radix_merge_compareILb0ELb0ExNS0_19identity_decomposerEEEEE10hipError_tT0_T1_T2_jT3_P12ihipStream_tbPNSt15iterator_traitsISK_E10value_typeEPNSQ_ISL_E10value_typeEPSM_NS1_7vsmem_tEENKUlT_SK_SL_SM_E_clISE_PxSF_SF_EESJ_SZ_SK_SL_SM_EUlSZ_E_NS1_11comp_targetILNS1_3genE8ELNS1_11target_archE1030ELNS1_3gpuE2ELNS1_3repE0EEENS1_48merge_mergepath_partition_config_static_selectorELNS0_4arch9wavefront6targetE1EEEvSL_,comdat
.Lfunc_end1441:
	.size	_ZN7rocprim17ROCPRIM_400000_NS6detail17trampoline_kernelINS0_14default_configENS1_38merge_sort_block_merge_config_selectorIxNS0_10empty_typeEEEZZNS1_27merge_sort_block_merge_implIS3_N6thrust23THRUST_200600_302600_NS6detail15normal_iteratorINS9_10device_ptrIxEEEEPS5_jNS1_19radix_merge_compareILb0ELb0ExNS0_19identity_decomposerEEEEE10hipError_tT0_T1_T2_jT3_P12ihipStream_tbPNSt15iterator_traitsISK_E10value_typeEPNSQ_ISL_E10value_typeEPSM_NS1_7vsmem_tEENKUlT_SK_SL_SM_E_clISE_PxSF_SF_EESJ_SZ_SK_SL_SM_EUlSZ_E_NS1_11comp_targetILNS1_3genE8ELNS1_11target_archE1030ELNS1_3gpuE2ELNS1_3repE0EEENS1_48merge_mergepath_partition_config_static_selectorELNS0_4arch9wavefront6targetE1EEEvSL_, .Lfunc_end1441-_ZN7rocprim17ROCPRIM_400000_NS6detail17trampoline_kernelINS0_14default_configENS1_38merge_sort_block_merge_config_selectorIxNS0_10empty_typeEEEZZNS1_27merge_sort_block_merge_implIS3_N6thrust23THRUST_200600_302600_NS6detail15normal_iteratorINS9_10device_ptrIxEEEEPS5_jNS1_19radix_merge_compareILb0ELb0ExNS0_19identity_decomposerEEEEE10hipError_tT0_T1_T2_jT3_P12ihipStream_tbPNSt15iterator_traitsISK_E10value_typeEPNSQ_ISL_E10value_typeEPSM_NS1_7vsmem_tEENKUlT_SK_SL_SM_E_clISE_PxSF_SF_EESJ_SZ_SK_SL_SM_EUlSZ_E_NS1_11comp_targetILNS1_3genE8ELNS1_11target_archE1030ELNS1_3gpuE2ELNS1_3repE0EEENS1_48merge_mergepath_partition_config_static_selectorELNS0_4arch9wavefront6targetE1EEEvSL_
                                        ; -- End function
	.section	.AMDGPU.csdata,"",@progbits
; Kernel info:
; codeLenInByte = 0
; NumSgprs: 6
; NumVgprs: 0
; NumAgprs: 0
; TotalNumVgprs: 0
; ScratchSize: 0
; MemoryBound: 0
; FloatMode: 240
; IeeeMode: 1
; LDSByteSize: 0 bytes/workgroup (compile time only)
; SGPRBlocks: 0
; VGPRBlocks: 0
; NumSGPRsForWavesPerEU: 6
; NumVGPRsForWavesPerEU: 1
; AccumOffset: 4
; Occupancy: 8
; WaveLimiterHint : 0
; COMPUTE_PGM_RSRC2:SCRATCH_EN: 0
; COMPUTE_PGM_RSRC2:USER_SGPR: 2
; COMPUTE_PGM_RSRC2:TRAP_HANDLER: 0
; COMPUTE_PGM_RSRC2:TGID_X_EN: 1
; COMPUTE_PGM_RSRC2:TGID_Y_EN: 0
; COMPUTE_PGM_RSRC2:TGID_Z_EN: 0
; COMPUTE_PGM_RSRC2:TIDIG_COMP_CNT: 0
; COMPUTE_PGM_RSRC3_GFX90A:ACCUM_OFFSET: 0
; COMPUTE_PGM_RSRC3_GFX90A:TG_SPLIT: 0
	.section	.text._ZN7rocprim17ROCPRIM_400000_NS6detail17trampoline_kernelINS0_14default_configENS1_38merge_sort_block_merge_config_selectorIxNS0_10empty_typeEEEZZNS1_27merge_sort_block_merge_implIS3_N6thrust23THRUST_200600_302600_NS6detail15normal_iteratorINS9_10device_ptrIxEEEEPS5_jNS1_19radix_merge_compareILb0ELb0ExNS0_19identity_decomposerEEEEE10hipError_tT0_T1_T2_jT3_P12ihipStream_tbPNSt15iterator_traitsISK_E10value_typeEPNSQ_ISL_E10value_typeEPSM_NS1_7vsmem_tEENKUlT_SK_SL_SM_E_clISE_PxSF_SF_EESJ_SZ_SK_SL_SM_EUlSZ_E0_NS1_11comp_targetILNS1_3genE0ELNS1_11target_archE4294967295ELNS1_3gpuE0ELNS1_3repE0EEENS1_38merge_mergepath_config_static_selectorELNS0_4arch9wavefront6targetE1EEEvSL_,"axG",@progbits,_ZN7rocprim17ROCPRIM_400000_NS6detail17trampoline_kernelINS0_14default_configENS1_38merge_sort_block_merge_config_selectorIxNS0_10empty_typeEEEZZNS1_27merge_sort_block_merge_implIS3_N6thrust23THRUST_200600_302600_NS6detail15normal_iteratorINS9_10device_ptrIxEEEEPS5_jNS1_19radix_merge_compareILb0ELb0ExNS0_19identity_decomposerEEEEE10hipError_tT0_T1_T2_jT3_P12ihipStream_tbPNSt15iterator_traitsISK_E10value_typeEPNSQ_ISL_E10value_typeEPSM_NS1_7vsmem_tEENKUlT_SK_SL_SM_E_clISE_PxSF_SF_EESJ_SZ_SK_SL_SM_EUlSZ_E0_NS1_11comp_targetILNS1_3genE0ELNS1_11target_archE4294967295ELNS1_3gpuE0ELNS1_3repE0EEENS1_38merge_mergepath_config_static_selectorELNS0_4arch9wavefront6targetE1EEEvSL_,comdat
	.protected	_ZN7rocprim17ROCPRIM_400000_NS6detail17trampoline_kernelINS0_14default_configENS1_38merge_sort_block_merge_config_selectorIxNS0_10empty_typeEEEZZNS1_27merge_sort_block_merge_implIS3_N6thrust23THRUST_200600_302600_NS6detail15normal_iteratorINS9_10device_ptrIxEEEEPS5_jNS1_19radix_merge_compareILb0ELb0ExNS0_19identity_decomposerEEEEE10hipError_tT0_T1_T2_jT3_P12ihipStream_tbPNSt15iterator_traitsISK_E10value_typeEPNSQ_ISL_E10value_typeEPSM_NS1_7vsmem_tEENKUlT_SK_SL_SM_E_clISE_PxSF_SF_EESJ_SZ_SK_SL_SM_EUlSZ_E0_NS1_11comp_targetILNS1_3genE0ELNS1_11target_archE4294967295ELNS1_3gpuE0ELNS1_3repE0EEENS1_38merge_mergepath_config_static_selectorELNS0_4arch9wavefront6targetE1EEEvSL_ ; -- Begin function _ZN7rocprim17ROCPRIM_400000_NS6detail17trampoline_kernelINS0_14default_configENS1_38merge_sort_block_merge_config_selectorIxNS0_10empty_typeEEEZZNS1_27merge_sort_block_merge_implIS3_N6thrust23THRUST_200600_302600_NS6detail15normal_iteratorINS9_10device_ptrIxEEEEPS5_jNS1_19radix_merge_compareILb0ELb0ExNS0_19identity_decomposerEEEEE10hipError_tT0_T1_T2_jT3_P12ihipStream_tbPNSt15iterator_traitsISK_E10value_typeEPNSQ_ISL_E10value_typeEPSM_NS1_7vsmem_tEENKUlT_SK_SL_SM_E_clISE_PxSF_SF_EESJ_SZ_SK_SL_SM_EUlSZ_E0_NS1_11comp_targetILNS1_3genE0ELNS1_11target_archE4294967295ELNS1_3gpuE0ELNS1_3repE0EEENS1_38merge_mergepath_config_static_selectorELNS0_4arch9wavefront6targetE1EEEvSL_
	.globl	_ZN7rocprim17ROCPRIM_400000_NS6detail17trampoline_kernelINS0_14default_configENS1_38merge_sort_block_merge_config_selectorIxNS0_10empty_typeEEEZZNS1_27merge_sort_block_merge_implIS3_N6thrust23THRUST_200600_302600_NS6detail15normal_iteratorINS9_10device_ptrIxEEEEPS5_jNS1_19radix_merge_compareILb0ELb0ExNS0_19identity_decomposerEEEEE10hipError_tT0_T1_T2_jT3_P12ihipStream_tbPNSt15iterator_traitsISK_E10value_typeEPNSQ_ISL_E10value_typeEPSM_NS1_7vsmem_tEENKUlT_SK_SL_SM_E_clISE_PxSF_SF_EESJ_SZ_SK_SL_SM_EUlSZ_E0_NS1_11comp_targetILNS1_3genE0ELNS1_11target_archE4294967295ELNS1_3gpuE0ELNS1_3repE0EEENS1_38merge_mergepath_config_static_selectorELNS0_4arch9wavefront6targetE1EEEvSL_
	.p2align	8
	.type	_ZN7rocprim17ROCPRIM_400000_NS6detail17trampoline_kernelINS0_14default_configENS1_38merge_sort_block_merge_config_selectorIxNS0_10empty_typeEEEZZNS1_27merge_sort_block_merge_implIS3_N6thrust23THRUST_200600_302600_NS6detail15normal_iteratorINS9_10device_ptrIxEEEEPS5_jNS1_19radix_merge_compareILb0ELb0ExNS0_19identity_decomposerEEEEE10hipError_tT0_T1_T2_jT3_P12ihipStream_tbPNSt15iterator_traitsISK_E10value_typeEPNSQ_ISL_E10value_typeEPSM_NS1_7vsmem_tEENKUlT_SK_SL_SM_E_clISE_PxSF_SF_EESJ_SZ_SK_SL_SM_EUlSZ_E0_NS1_11comp_targetILNS1_3genE0ELNS1_11target_archE4294967295ELNS1_3gpuE0ELNS1_3repE0EEENS1_38merge_mergepath_config_static_selectorELNS0_4arch9wavefront6targetE1EEEvSL_,@function
_ZN7rocprim17ROCPRIM_400000_NS6detail17trampoline_kernelINS0_14default_configENS1_38merge_sort_block_merge_config_selectorIxNS0_10empty_typeEEEZZNS1_27merge_sort_block_merge_implIS3_N6thrust23THRUST_200600_302600_NS6detail15normal_iteratorINS9_10device_ptrIxEEEEPS5_jNS1_19radix_merge_compareILb0ELb0ExNS0_19identity_decomposerEEEEE10hipError_tT0_T1_T2_jT3_P12ihipStream_tbPNSt15iterator_traitsISK_E10value_typeEPNSQ_ISL_E10value_typeEPSM_NS1_7vsmem_tEENKUlT_SK_SL_SM_E_clISE_PxSF_SF_EESJ_SZ_SK_SL_SM_EUlSZ_E0_NS1_11comp_targetILNS1_3genE0ELNS1_11target_archE4294967295ELNS1_3gpuE0ELNS1_3repE0EEENS1_38merge_mergepath_config_static_selectorELNS0_4arch9wavefront6targetE1EEEvSL_: ; @_ZN7rocprim17ROCPRIM_400000_NS6detail17trampoline_kernelINS0_14default_configENS1_38merge_sort_block_merge_config_selectorIxNS0_10empty_typeEEEZZNS1_27merge_sort_block_merge_implIS3_N6thrust23THRUST_200600_302600_NS6detail15normal_iteratorINS9_10device_ptrIxEEEEPS5_jNS1_19radix_merge_compareILb0ELb0ExNS0_19identity_decomposerEEEEE10hipError_tT0_T1_T2_jT3_P12ihipStream_tbPNSt15iterator_traitsISK_E10value_typeEPNSQ_ISL_E10value_typeEPSM_NS1_7vsmem_tEENKUlT_SK_SL_SM_E_clISE_PxSF_SF_EESJ_SZ_SK_SL_SM_EUlSZ_E0_NS1_11comp_targetILNS1_3genE0ELNS1_11target_archE4294967295ELNS1_3gpuE0ELNS1_3repE0EEENS1_38merge_mergepath_config_static_selectorELNS0_4arch9wavefront6targetE1EEEvSL_
; %bb.0:
	.section	.rodata,"a",@progbits
	.p2align	6, 0x0
	.amdhsa_kernel _ZN7rocprim17ROCPRIM_400000_NS6detail17trampoline_kernelINS0_14default_configENS1_38merge_sort_block_merge_config_selectorIxNS0_10empty_typeEEEZZNS1_27merge_sort_block_merge_implIS3_N6thrust23THRUST_200600_302600_NS6detail15normal_iteratorINS9_10device_ptrIxEEEEPS5_jNS1_19radix_merge_compareILb0ELb0ExNS0_19identity_decomposerEEEEE10hipError_tT0_T1_T2_jT3_P12ihipStream_tbPNSt15iterator_traitsISK_E10value_typeEPNSQ_ISL_E10value_typeEPSM_NS1_7vsmem_tEENKUlT_SK_SL_SM_E_clISE_PxSF_SF_EESJ_SZ_SK_SL_SM_EUlSZ_E0_NS1_11comp_targetILNS1_3genE0ELNS1_11target_archE4294967295ELNS1_3gpuE0ELNS1_3repE0EEENS1_38merge_mergepath_config_static_selectorELNS0_4arch9wavefront6targetE1EEEvSL_
		.amdhsa_group_segment_fixed_size 0
		.amdhsa_private_segment_fixed_size 0
		.amdhsa_kernarg_size 64
		.amdhsa_user_sgpr_count 2
		.amdhsa_user_sgpr_dispatch_ptr 0
		.amdhsa_user_sgpr_queue_ptr 0
		.amdhsa_user_sgpr_kernarg_segment_ptr 1
		.amdhsa_user_sgpr_dispatch_id 0
		.amdhsa_user_sgpr_kernarg_preload_length 0
		.amdhsa_user_sgpr_kernarg_preload_offset 0
		.amdhsa_user_sgpr_private_segment_size 0
		.amdhsa_uses_dynamic_stack 0
		.amdhsa_enable_private_segment 0
		.amdhsa_system_sgpr_workgroup_id_x 1
		.amdhsa_system_sgpr_workgroup_id_y 0
		.amdhsa_system_sgpr_workgroup_id_z 0
		.amdhsa_system_sgpr_workgroup_info 0
		.amdhsa_system_vgpr_workitem_id 0
		.amdhsa_next_free_vgpr 1
		.amdhsa_next_free_sgpr 0
		.amdhsa_accum_offset 4
		.amdhsa_reserve_vcc 0
		.amdhsa_float_round_mode_32 0
		.amdhsa_float_round_mode_16_64 0
		.amdhsa_float_denorm_mode_32 3
		.amdhsa_float_denorm_mode_16_64 3
		.amdhsa_dx10_clamp 1
		.amdhsa_ieee_mode 1
		.amdhsa_fp16_overflow 0
		.amdhsa_tg_split 0
		.amdhsa_exception_fp_ieee_invalid_op 0
		.amdhsa_exception_fp_denorm_src 0
		.amdhsa_exception_fp_ieee_div_zero 0
		.amdhsa_exception_fp_ieee_overflow 0
		.amdhsa_exception_fp_ieee_underflow 0
		.amdhsa_exception_fp_ieee_inexact 0
		.amdhsa_exception_int_div_zero 0
	.end_amdhsa_kernel
	.section	.text._ZN7rocprim17ROCPRIM_400000_NS6detail17trampoline_kernelINS0_14default_configENS1_38merge_sort_block_merge_config_selectorIxNS0_10empty_typeEEEZZNS1_27merge_sort_block_merge_implIS3_N6thrust23THRUST_200600_302600_NS6detail15normal_iteratorINS9_10device_ptrIxEEEEPS5_jNS1_19radix_merge_compareILb0ELb0ExNS0_19identity_decomposerEEEEE10hipError_tT0_T1_T2_jT3_P12ihipStream_tbPNSt15iterator_traitsISK_E10value_typeEPNSQ_ISL_E10value_typeEPSM_NS1_7vsmem_tEENKUlT_SK_SL_SM_E_clISE_PxSF_SF_EESJ_SZ_SK_SL_SM_EUlSZ_E0_NS1_11comp_targetILNS1_3genE0ELNS1_11target_archE4294967295ELNS1_3gpuE0ELNS1_3repE0EEENS1_38merge_mergepath_config_static_selectorELNS0_4arch9wavefront6targetE1EEEvSL_,"axG",@progbits,_ZN7rocprim17ROCPRIM_400000_NS6detail17trampoline_kernelINS0_14default_configENS1_38merge_sort_block_merge_config_selectorIxNS0_10empty_typeEEEZZNS1_27merge_sort_block_merge_implIS3_N6thrust23THRUST_200600_302600_NS6detail15normal_iteratorINS9_10device_ptrIxEEEEPS5_jNS1_19radix_merge_compareILb0ELb0ExNS0_19identity_decomposerEEEEE10hipError_tT0_T1_T2_jT3_P12ihipStream_tbPNSt15iterator_traitsISK_E10value_typeEPNSQ_ISL_E10value_typeEPSM_NS1_7vsmem_tEENKUlT_SK_SL_SM_E_clISE_PxSF_SF_EESJ_SZ_SK_SL_SM_EUlSZ_E0_NS1_11comp_targetILNS1_3genE0ELNS1_11target_archE4294967295ELNS1_3gpuE0ELNS1_3repE0EEENS1_38merge_mergepath_config_static_selectorELNS0_4arch9wavefront6targetE1EEEvSL_,comdat
.Lfunc_end1442:
	.size	_ZN7rocprim17ROCPRIM_400000_NS6detail17trampoline_kernelINS0_14default_configENS1_38merge_sort_block_merge_config_selectorIxNS0_10empty_typeEEEZZNS1_27merge_sort_block_merge_implIS3_N6thrust23THRUST_200600_302600_NS6detail15normal_iteratorINS9_10device_ptrIxEEEEPS5_jNS1_19radix_merge_compareILb0ELb0ExNS0_19identity_decomposerEEEEE10hipError_tT0_T1_T2_jT3_P12ihipStream_tbPNSt15iterator_traitsISK_E10value_typeEPNSQ_ISL_E10value_typeEPSM_NS1_7vsmem_tEENKUlT_SK_SL_SM_E_clISE_PxSF_SF_EESJ_SZ_SK_SL_SM_EUlSZ_E0_NS1_11comp_targetILNS1_3genE0ELNS1_11target_archE4294967295ELNS1_3gpuE0ELNS1_3repE0EEENS1_38merge_mergepath_config_static_selectorELNS0_4arch9wavefront6targetE1EEEvSL_, .Lfunc_end1442-_ZN7rocprim17ROCPRIM_400000_NS6detail17trampoline_kernelINS0_14default_configENS1_38merge_sort_block_merge_config_selectorIxNS0_10empty_typeEEEZZNS1_27merge_sort_block_merge_implIS3_N6thrust23THRUST_200600_302600_NS6detail15normal_iteratorINS9_10device_ptrIxEEEEPS5_jNS1_19radix_merge_compareILb0ELb0ExNS0_19identity_decomposerEEEEE10hipError_tT0_T1_T2_jT3_P12ihipStream_tbPNSt15iterator_traitsISK_E10value_typeEPNSQ_ISL_E10value_typeEPSM_NS1_7vsmem_tEENKUlT_SK_SL_SM_E_clISE_PxSF_SF_EESJ_SZ_SK_SL_SM_EUlSZ_E0_NS1_11comp_targetILNS1_3genE0ELNS1_11target_archE4294967295ELNS1_3gpuE0ELNS1_3repE0EEENS1_38merge_mergepath_config_static_selectorELNS0_4arch9wavefront6targetE1EEEvSL_
                                        ; -- End function
	.section	.AMDGPU.csdata,"",@progbits
; Kernel info:
; codeLenInByte = 0
; NumSgprs: 6
; NumVgprs: 0
; NumAgprs: 0
; TotalNumVgprs: 0
; ScratchSize: 0
; MemoryBound: 0
; FloatMode: 240
; IeeeMode: 1
; LDSByteSize: 0 bytes/workgroup (compile time only)
; SGPRBlocks: 0
; VGPRBlocks: 0
; NumSGPRsForWavesPerEU: 6
; NumVGPRsForWavesPerEU: 1
; AccumOffset: 4
; Occupancy: 8
; WaveLimiterHint : 0
; COMPUTE_PGM_RSRC2:SCRATCH_EN: 0
; COMPUTE_PGM_RSRC2:USER_SGPR: 2
; COMPUTE_PGM_RSRC2:TRAP_HANDLER: 0
; COMPUTE_PGM_RSRC2:TGID_X_EN: 1
; COMPUTE_PGM_RSRC2:TGID_Y_EN: 0
; COMPUTE_PGM_RSRC2:TGID_Z_EN: 0
; COMPUTE_PGM_RSRC2:TIDIG_COMP_CNT: 0
; COMPUTE_PGM_RSRC3_GFX90A:ACCUM_OFFSET: 0
; COMPUTE_PGM_RSRC3_GFX90A:TG_SPLIT: 0
	.section	.text._ZN7rocprim17ROCPRIM_400000_NS6detail17trampoline_kernelINS0_14default_configENS1_38merge_sort_block_merge_config_selectorIxNS0_10empty_typeEEEZZNS1_27merge_sort_block_merge_implIS3_N6thrust23THRUST_200600_302600_NS6detail15normal_iteratorINS9_10device_ptrIxEEEEPS5_jNS1_19radix_merge_compareILb0ELb0ExNS0_19identity_decomposerEEEEE10hipError_tT0_T1_T2_jT3_P12ihipStream_tbPNSt15iterator_traitsISK_E10value_typeEPNSQ_ISL_E10value_typeEPSM_NS1_7vsmem_tEENKUlT_SK_SL_SM_E_clISE_PxSF_SF_EESJ_SZ_SK_SL_SM_EUlSZ_E0_NS1_11comp_targetILNS1_3genE10ELNS1_11target_archE1201ELNS1_3gpuE5ELNS1_3repE0EEENS1_38merge_mergepath_config_static_selectorELNS0_4arch9wavefront6targetE1EEEvSL_,"axG",@progbits,_ZN7rocprim17ROCPRIM_400000_NS6detail17trampoline_kernelINS0_14default_configENS1_38merge_sort_block_merge_config_selectorIxNS0_10empty_typeEEEZZNS1_27merge_sort_block_merge_implIS3_N6thrust23THRUST_200600_302600_NS6detail15normal_iteratorINS9_10device_ptrIxEEEEPS5_jNS1_19radix_merge_compareILb0ELb0ExNS0_19identity_decomposerEEEEE10hipError_tT0_T1_T2_jT3_P12ihipStream_tbPNSt15iterator_traitsISK_E10value_typeEPNSQ_ISL_E10value_typeEPSM_NS1_7vsmem_tEENKUlT_SK_SL_SM_E_clISE_PxSF_SF_EESJ_SZ_SK_SL_SM_EUlSZ_E0_NS1_11comp_targetILNS1_3genE10ELNS1_11target_archE1201ELNS1_3gpuE5ELNS1_3repE0EEENS1_38merge_mergepath_config_static_selectorELNS0_4arch9wavefront6targetE1EEEvSL_,comdat
	.protected	_ZN7rocprim17ROCPRIM_400000_NS6detail17trampoline_kernelINS0_14default_configENS1_38merge_sort_block_merge_config_selectorIxNS0_10empty_typeEEEZZNS1_27merge_sort_block_merge_implIS3_N6thrust23THRUST_200600_302600_NS6detail15normal_iteratorINS9_10device_ptrIxEEEEPS5_jNS1_19radix_merge_compareILb0ELb0ExNS0_19identity_decomposerEEEEE10hipError_tT0_T1_T2_jT3_P12ihipStream_tbPNSt15iterator_traitsISK_E10value_typeEPNSQ_ISL_E10value_typeEPSM_NS1_7vsmem_tEENKUlT_SK_SL_SM_E_clISE_PxSF_SF_EESJ_SZ_SK_SL_SM_EUlSZ_E0_NS1_11comp_targetILNS1_3genE10ELNS1_11target_archE1201ELNS1_3gpuE5ELNS1_3repE0EEENS1_38merge_mergepath_config_static_selectorELNS0_4arch9wavefront6targetE1EEEvSL_ ; -- Begin function _ZN7rocprim17ROCPRIM_400000_NS6detail17trampoline_kernelINS0_14default_configENS1_38merge_sort_block_merge_config_selectorIxNS0_10empty_typeEEEZZNS1_27merge_sort_block_merge_implIS3_N6thrust23THRUST_200600_302600_NS6detail15normal_iteratorINS9_10device_ptrIxEEEEPS5_jNS1_19radix_merge_compareILb0ELb0ExNS0_19identity_decomposerEEEEE10hipError_tT0_T1_T2_jT3_P12ihipStream_tbPNSt15iterator_traitsISK_E10value_typeEPNSQ_ISL_E10value_typeEPSM_NS1_7vsmem_tEENKUlT_SK_SL_SM_E_clISE_PxSF_SF_EESJ_SZ_SK_SL_SM_EUlSZ_E0_NS1_11comp_targetILNS1_3genE10ELNS1_11target_archE1201ELNS1_3gpuE5ELNS1_3repE0EEENS1_38merge_mergepath_config_static_selectorELNS0_4arch9wavefront6targetE1EEEvSL_
	.globl	_ZN7rocprim17ROCPRIM_400000_NS6detail17trampoline_kernelINS0_14default_configENS1_38merge_sort_block_merge_config_selectorIxNS0_10empty_typeEEEZZNS1_27merge_sort_block_merge_implIS3_N6thrust23THRUST_200600_302600_NS6detail15normal_iteratorINS9_10device_ptrIxEEEEPS5_jNS1_19radix_merge_compareILb0ELb0ExNS0_19identity_decomposerEEEEE10hipError_tT0_T1_T2_jT3_P12ihipStream_tbPNSt15iterator_traitsISK_E10value_typeEPNSQ_ISL_E10value_typeEPSM_NS1_7vsmem_tEENKUlT_SK_SL_SM_E_clISE_PxSF_SF_EESJ_SZ_SK_SL_SM_EUlSZ_E0_NS1_11comp_targetILNS1_3genE10ELNS1_11target_archE1201ELNS1_3gpuE5ELNS1_3repE0EEENS1_38merge_mergepath_config_static_selectorELNS0_4arch9wavefront6targetE1EEEvSL_
	.p2align	8
	.type	_ZN7rocprim17ROCPRIM_400000_NS6detail17trampoline_kernelINS0_14default_configENS1_38merge_sort_block_merge_config_selectorIxNS0_10empty_typeEEEZZNS1_27merge_sort_block_merge_implIS3_N6thrust23THRUST_200600_302600_NS6detail15normal_iteratorINS9_10device_ptrIxEEEEPS5_jNS1_19radix_merge_compareILb0ELb0ExNS0_19identity_decomposerEEEEE10hipError_tT0_T1_T2_jT3_P12ihipStream_tbPNSt15iterator_traitsISK_E10value_typeEPNSQ_ISL_E10value_typeEPSM_NS1_7vsmem_tEENKUlT_SK_SL_SM_E_clISE_PxSF_SF_EESJ_SZ_SK_SL_SM_EUlSZ_E0_NS1_11comp_targetILNS1_3genE10ELNS1_11target_archE1201ELNS1_3gpuE5ELNS1_3repE0EEENS1_38merge_mergepath_config_static_selectorELNS0_4arch9wavefront6targetE1EEEvSL_,@function
_ZN7rocprim17ROCPRIM_400000_NS6detail17trampoline_kernelINS0_14default_configENS1_38merge_sort_block_merge_config_selectorIxNS0_10empty_typeEEEZZNS1_27merge_sort_block_merge_implIS3_N6thrust23THRUST_200600_302600_NS6detail15normal_iteratorINS9_10device_ptrIxEEEEPS5_jNS1_19radix_merge_compareILb0ELb0ExNS0_19identity_decomposerEEEEE10hipError_tT0_T1_T2_jT3_P12ihipStream_tbPNSt15iterator_traitsISK_E10value_typeEPNSQ_ISL_E10value_typeEPSM_NS1_7vsmem_tEENKUlT_SK_SL_SM_E_clISE_PxSF_SF_EESJ_SZ_SK_SL_SM_EUlSZ_E0_NS1_11comp_targetILNS1_3genE10ELNS1_11target_archE1201ELNS1_3gpuE5ELNS1_3repE0EEENS1_38merge_mergepath_config_static_selectorELNS0_4arch9wavefront6targetE1EEEvSL_: ; @_ZN7rocprim17ROCPRIM_400000_NS6detail17trampoline_kernelINS0_14default_configENS1_38merge_sort_block_merge_config_selectorIxNS0_10empty_typeEEEZZNS1_27merge_sort_block_merge_implIS3_N6thrust23THRUST_200600_302600_NS6detail15normal_iteratorINS9_10device_ptrIxEEEEPS5_jNS1_19radix_merge_compareILb0ELb0ExNS0_19identity_decomposerEEEEE10hipError_tT0_T1_T2_jT3_P12ihipStream_tbPNSt15iterator_traitsISK_E10value_typeEPNSQ_ISL_E10value_typeEPSM_NS1_7vsmem_tEENKUlT_SK_SL_SM_E_clISE_PxSF_SF_EESJ_SZ_SK_SL_SM_EUlSZ_E0_NS1_11comp_targetILNS1_3genE10ELNS1_11target_archE1201ELNS1_3gpuE5ELNS1_3repE0EEENS1_38merge_mergepath_config_static_selectorELNS0_4arch9wavefront6targetE1EEEvSL_
; %bb.0:
	.section	.rodata,"a",@progbits
	.p2align	6, 0x0
	.amdhsa_kernel _ZN7rocprim17ROCPRIM_400000_NS6detail17trampoline_kernelINS0_14default_configENS1_38merge_sort_block_merge_config_selectorIxNS0_10empty_typeEEEZZNS1_27merge_sort_block_merge_implIS3_N6thrust23THRUST_200600_302600_NS6detail15normal_iteratorINS9_10device_ptrIxEEEEPS5_jNS1_19radix_merge_compareILb0ELb0ExNS0_19identity_decomposerEEEEE10hipError_tT0_T1_T2_jT3_P12ihipStream_tbPNSt15iterator_traitsISK_E10value_typeEPNSQ_ISL_E10value_typeEPSM_NS1_7vsmem_tEENKUlT_SK_SL_SM_E_clISE_PxSF_SF_EESJ_SZ_SK_SL_SM_EUlSZ_E0_NS1_11comp_targetILNS1_3genE10ELNS1_11target_archE1201ELNS1_3gpuE5ELNS1_3repE0EEENS1_38merge_mergepath_config_static_selectorELNS0_4arch9wavefront6targetE1EEEvSL_
		.amdhsa_group_segment_fixed_size 0
		.amdhsa_private_segment_fixed_size 0
		.amdhsa_kernarg_size 64
		.amdhsa_user_sgpr_count 2
		.amdhsa_user_sgpr_dispatch_ptr 0
		.amdhsa_user_sgpr_queue_ptr 0
		.amdhsa_user_sgpr_kernarg_segment_ptr 1
		.amdhsa_user_sgpr_dispatch_id 0
		.amdhsa_user_sgpr_kernarg_preload_length 0
		.amdhsa_user_sgpr_kernarg_preload_offset 0
		.amdhsa_user_sgpr_private_segment_size 0
		.amdhsa_uses_dynamic_stack 0
		.amdhsa_enable_private_segment 0
		.amdhsa_system_sgpr_workgroup_id_x 1
		.amdhsa_system_sgpr_workgroup_id_y 0
		.amdhsa_system_sgpr_workgroup_id_z 0
		.amdhsa_system_sgpr_workgroup_info 0
		.amdhsa_system_vgpr_workitem_id 0
		.amdhsa_next_free_vgpr 1
		.amdhsa_next_free_sgpr 0
		.amdhsa_accum_offset 4
		.amdhsa_reserve_vcc 0
		.amdhsa_float_round_mode_32 0
		.amdhsa_float_round_mode_16_64 0
		.amdhsa_float_denorm_mode_32 3
		.amdhsa_float_denorm_mode_16_64 3
		.amdhsa_dx10_clamp 1
		.amdhsa_ieee_mode 1
		.amdhsa_fp16_overflow 0
		.amdhsa_tg_split 0
		.amdhsa_exception_fp_ieee_invalid_op 0
		.amdhsa_exception_fp_denorm_src 0
		.amdhsa_exception_fp_ieee_div_zero 0
		.amdhsa_exception_fp_ieee_overflow 0
		.amdhsa_exception_fp_ieee_underflow 0
		.amdhsa_exception_fp_ieee_inexact 0
		.amdhsa_exception_int_div_zero 0
	.end_amdhsa_kernel
	.section	.text._ZN7rocprim17ROCPRIM_400000_NS6detail17trampoline_kernelINS0_14default_configENS1_38merge_sort_block_merge_config_selectorIxNS0_10empty_typeEEEZZNS1_27merge_sort_block_merge_implIS3_N6thrust23THRUST_200600_302600_NS6detail15normal_iteratorINS9_10device_ptrIxEEEEPS5_jNS1_19radix_merge_compareILb0ELb0ExNS0_19identity_decomposerEEEEE10hipError_tT0_T1_T2_jT3_P12ihipStream_tbPNSt15iterator_traitsISK_E10value_typeEPNSQ_ISL_E10value_typeEPSM_NS1_7vsmem_tEENKUlT_SK_SL_SM_E_clISE_PxSF_SF_EESJ_SZ_SK_SL_SM_EUlSZ_E0_NS1_11comp_targetILNS1_3genE10ELNS1_11target_archE1201ELNS1_3gpuE5ELNS1_3repE0EEENS1_38merge_mergepath_config_static_selectorELNS0_4arch9wavefront6targetE1EEEvSL_,"axG",@progbits,_ZN7rocprim17ROCPRIM_400000_NS6detail17trampoline_kernelINS0_14default_configENS1_38merge_sort_block_merge_config_selectorIxNS0_10empty_typeEEEZZNS1_27merge_sort_block_merge_implIS3_N6thrust23THRUST_200600_302600_NS6detail15normal_iteratorINS9_10device_ptrIxEEEEPS5_jNS1_19radix_merge_compareILb0ELb0ExNS0_19identity_decomposerEEEEE10hipError_tT0_T1_T2_jT3_P12ihipStream_tbPNSt15iterator_traitsISK_E10value_typeEPNSQ_ISL_E10value_typeEPSM_NS1_7vsmem_tEENKUlT_SK_SL_SM_E_clISE_PxSF_SF_EESJ_SZ_SK_SL_SM_EUlSZ_E0_NS1_11comp_targetILNS1_3genE10ELNS1_11target_archE1201ELNS1_3gpuE5ELNS1_3repE0EEENS1_38merge_mergepath_config_static_selectorELNS0_4arch9wavefront6targetE1EEEvSL_,comdat
.Lfunc_end1443:
	.size	_ZN7rocprim17ROCPRIM_400000_NS6detail17trampoline_kernelINS0_14default_configENS1_38merge_sort_block_merge_config_selectorIxNS0_10empty_typeEEEZZNS1_27merge_sort_block_merge_implIS3_N6thrust23THRUST_200600_302600_NS6detail15normal_iteratorINS9_10device_ptrIxEEEEPS5_jNS1_19radix_merge_compareILb0ELb0ExNS0_19identity_decomposerEEEEE10hipError_tT0_T1_T2_jT3_P12ihipStream_tbPNSt15iterator_traitsISK_E10value_typeEPNSQ_ISL_E10value_typeEPSM_NS1_7vsmem_tEENKUlT_SK_SL_SM_E_clISE_PxSF_SF_EESJ_SZ_SK_SL_SM_EUlSZ_E0_NS1_11comp_targetILNS1_3genE10ELNS1_11target_archE1201ELNS1_3gpuE5ELNS1_3repE0EEENS1_38merge_mergepath_config_static_selectorELNS0_4arch9wavefront6targetE1EEEvSL_, .Lfunc_end1443-_ZN7rocprim17ROCPRIM_400000_NS6detail17trampoline_kernelINS0_14default_configENS1_38merge_sort_block_merge_config_selectorIxNS0_10empty_typeEEEZZNS1_27merge_sort_block_merge_implIS3_N6thrust23THRUST_200600_302600_NS6detail15normal_iteratorINS9_10device_ptrIxEEEEPS5_jNS1_19radix_merge_compareILb0ELb0ExNS0_19identity_decomposerEEEEE10hipError_tT0_T1_T2_jT3_P12ihipStream_tbPNSt15iterator_traitsISK_E10value_typeEPNSQ_ISL_E10value_typeEPSM_NS1_7vsmem_tEENKUlT_SK_SL_SM_E_clISE_PxSF_SF_EESJ_SZ_SK_SL_SM_EUlSZ_E0_NS1_11comp_targetILNS1_3genE10ELNS1_11target_archE1201ELNS1_3gpuE5ELNS1_3repE0EEENS1_38merge_mergepath_config_static_selectorELNS0_4arch9wavefront6targetE1EEEvSL_
                                        ; -- End function
	.section	.AMDGPU.csdata,"",@progbits
; Kernel info:
; codeLenInByte = 0
; NumSgprs: 6
; NumVgprs: 0
; NumAgprs: 0
; TotalNumVgprs: 0
; ScratchSize: 0
; MemoryBound: 0
; FloatMode: 240
; IeeeMode: 1
; LDSByteSize: 0 bytes/workgroup (compile time only)
; SGPRBlocks: 0
; VGPRBlocks: 0
; NumSGPRsForWavesPerEU: 6
; NumVGPRsForWavesPerEU: 1
; AccumOffset: 4
; Occupancy: 8
; WaveLimiterHint : 0
; COMPUTE_PGM_RSRC2:SCRATCH_EN: 0
; COMPUTE_PGM_RSRC2:USER_SGPR: 2
; COMPUTE_PGM_RSRC2:TRAP_HANDLER: 0
; COMPUTE_PGM_RSRC2:TGID_X_EN: 1
; COMPUTE_PGM_RSRC2:TGID_Y_EN: 0
; COMPUTE_PGM_RSRC2:TGID_Z_EN: 0
; COMPUTE_PGM_RSRC2:TIDIG_COMP_CNT: 0
; COMPUTE_PGM_RSRC3_GFX90A:ACCUM_OFFSET: 0
; COMPUTE_PGM_RSRC3_GFX90A:TG_SPLIT: 0
	.section	.text._ZN7rocprim17ROCPRIM_400000_NS6detail17trampoline_kernelINS0_14default_configENS1_38merge_sort_block_merge_config_selectorIxNS0_10empty_typeEEEZZNS1_27merge_sort_block_merge_implIS3_N6thrust23THRUST_200600_302600_NS6detail15normal_iteratorINS9_10device_ptrIxEEEEPS5_jNS1_19radix_merge_compareILb0ELb0ExNS0_19identity_decomposerEEEEE10hipError_tT0_T1_T2_jT3_P12ihipStream_tbPNSt15iterator_traitsISK_E10value_typeEPNSQ_ISL_E10value_typeEPSM_NS1_7vsmem_tEENKUlT_SK_SL_SM_E_clISE_PxSF_SF_EESJ_SZ_SK_SL_SM_EUlSZ_E0_NS1_11comp_targetILNS1_3genE5ELNS1_11target_archE942ELNS1_3gpuE9ELNS1_3repE0EEENS1_38merge_mergepath_config_static_selectorELNS0_4arch9wavefront6targetE1EEEvSL_,"axG",@progbits,_ZN7rocprim17ROCPRIM_400000_NS6detail17trampoline_kernelINS0_14default_configENS1_38merge_sort_block_merge_config_selectorIxNS0_10empty_typeEEEZZNS1_27merge_sort_block_merge_implIS3_N6thrust23THRUST_200600_302600_NS6detail15normal_iteratorINS9_10device_ptrIxEEEEPS5_jNS1_19radix_merge_compareILb0ELb0ExNS0_19identity_decomposerEEEEE10hipError_tT0_T1_T2_jT3_P12ihipStream_tbPNSt15iterator_traitsISK_E10value_typeEPNSQ_ISL_E10value_typeEPSM_NS1_7vsmem_tEENKUlT_SK_SL_SM_E_clISE_PxSF_SF_EESJ_SZ_SK_SL_SM_EUlSZ_E0_NS1_11comp_targetILNS1_3genE5ELNS1_11target_archE942ELNS1_3gpuE9ELNS1_3repE0EEENS1_38merge_mergepath_config_static_selectorELNS0_4arch9wavefront6targetE1EEEvSL_,comdat
	.protected	_ZN7rocprim17ROCPRIM_400000_NS6detail17trampoline_kernelINS0_14default_configENS1_38merge_sort_block_merge_config_selectorIxNS0_10empty_typeEEEZZNS1_27merge_sort_block_merge_implIS3_N6thrust23THRUST_200600_302600_NS6detail15normal_iteratorINS9_10device_ptrIxEEEEPS5_jNS1_19radix_merge_compareILb0ELb0ExNS0_19identity_decomposerEEEEE10hipError_tT0_T1_T2_jT3_P12ihipStream_tbPNSt15iterator_traitsISK_E10value_typeEPNSQ_ISL_E10value_typeEPSM_NS1_7vsmem_tEENKUlT_SK_SL_SM_E_clISE_PxSF_SF_EESJ_SZ_SK_SL_SM_EUlSZ_E0_NS1_11comp_targetILNS1_3genE5ELNS1_11target_archE942ELNS1_3gpuE9ELNS1_3repE0EEENS1_38merge_mergepath_config_static_selectorELNS0_4arch9wavefront6targetE1EEEvSL_ ; -- Begin function _ZN7rocprim17ROCPRIM_400000_NS6detail17trampoline_kernelINS0_14default_configENS1_38merge_sort_block_merge_config_selectorIxNS0_10empty_typeEEEZZNS1_27merge_sort_block_merge_implIS3_N6thrust23THRUST_200600_302600_NS6detail15normal_iteratorINS9_10device_ptrIxEEEEPS5_jNS1_19radix_merge_compareILb0ELb0ExNS0_19identity_decomposerEEEEE10hipError_tT0_T1_T2_jT3_P12ihipStream_tbPNSt15iterator_traitsISK_E10value_typeEPNSQ_ISL_E10value_typeEPSM_NS1_7vsmem_tEENKUlT_SK_SL_SM_E_clISE_PxSF_SF_EESJ_SZ_SK_SL_SM_EUlSZ_E0_NS1_11comp_targetILNS1_3genE5ELNS1_11target_archE942ELNS1_3gpuE9ELNS1_3repE0EEENS1_38merge_mergepath_config_static_selectorELNS0_4arch9wavefront6targetE1EEEvSL_
	.globl	_ZN7rocprim17ROCPRIM_400000_NS6detail17trampoline_kernelINS0_14default_configENS1_38merge_sort_block_merge_config_selectorIxNS0_10empty_typeEEEZZNS1_27merge_sort_block_merge_implIS3_N6thrust23THRUST_200600_302600_NS6detail15normal_iteratorINS9_10device_ptrIxEEEEPS5_jNS1_19radix_merge_compareILb0ELb0ExNS0_19identity_decomposerEEEEE10hipError_tT0_T1_T2_jT3_P12ihipStream_tbPNSt15iterator_traitsISK_E10value_typeEPNSQ_ISL_E10value_typeEPSM_NS1_7vsmem_tEENKUlT_SK_SL_SM_E_clISE_PxSF_SF_EESJ_SZ_SK_SL_SM_EUlSZ_E0_NS1_11comp_targetILNS1_3genE5ELNS1_11target_archE942ELNS1_3gpuE9ELNS1_3repE0EEENS1_38merge_mergepath_config_static_selectorELNS0_4arch9wavefront6targetE1EEEvSL_
	.p2align	8
	.type	_ZN7rocprim17ROCPRIM_400000_NS6detail17trampoline_kernelINS0_14default_configENS1_38merge_sort_block_merge_config_selectorIxNS0_10empty_typeEEEZZNS1_27merge_sort_block_merge_implIS3_N6thrust23THRUST_200600_302600_NS6detail15normal_iteratorINS9_10device_ptrIxEEEEPS5_jNS1_19radix_merge_compareILb0ELb0ExNS0_19identity_decomposerEEEEE10hipError_tT0_T1_T2_jT3_P12ihipStream_tbPNSt15iterator_traitsISK_E10value_typeEPNSQ_ISL_E10value_typeEPSM_NS1_7vsmem_tEENKUlT_SK_SL_SM_E_clISE_PxSF_SF_EESJ_SZ_SK_SL_SM_EUlSZ_E0_NS1_11comp_targetILNS1_3genE5ELNS1_11target_archE942ELNS1_3gpuE9ELNS1_3repE0EEENS1_38merge_mergepath_config_static_selectorELNS0_4arch9wavefront6targetE1EEEvSL_,@function
_ZN7rocprim17ROCPRIM_400000_NS6detail17trampoline_kernelINS0_14default_configENS1_38merge_sort_block_merge_config_selectorIxNS0_10empty_typeEEEZZNS1_27merge_sort_block_merge_implIS3_N6thrust23THRUST_200600_302600_NS6detail15normal_iteratorINS9_10device_ptrIxEEEEPS5_jNS1_19radix_merge_compareILb0ELb0ExNS0_19identity_decomposerEEEEE10hipError_tT0_T1_T2_jT3_P12ihipStream_tbPNSt15iterator_traitsISK_E10value_typeEPNSQ_ISL_E10value_typeEPSM_NS1_7vsmem_tEENKUlT_SK_SL_SM_E_clISE_PxSF_SF_EESJ_SZ_SK_SL_SM_EUlSZ_E0_NS1_11comp_targetILNS1_3genE5ELNS1_11target_archE942ELNS1_3gpuE9ELNS1_3repE0EEENS1_38merge_mergepath_config_static_selectorELNS0_4arch9wavefront6targetE1EEEvSL_: ; @_ZN7rocprim17ROCPRIM_400000_NS6detail17trampoline_kernelINS0_14default_configENS1_38merge_sort_block_merge_config_selectorIxNS0_10empty_typeEEEZZNS1_27merge_sort_block_merge_implIS3_N6thrust23THRUST_200600_302600_NS6detail15normal_iteratorINS9_10device_ptrIxEEEEPS5_jNS1_19radix_merge_compareILb0ELb0ExNS0_19identity_decomposerEEEEE10hipError_tT0_T1_T2_jT3_P12ihipStream_tbPNSt15iterator_traitsISK_E10value_typeEPNSQ_ISL_E10value_typeEPSM_NS1_7vsmem_tEENKUlT_SK_SL_SM_E_clISE_PxSF_SF_EESJ_SZ_SK_SL_SM_EUlSZ_E0_NS1_11comp_targetILNS1_3genE5ELNS1_11target_archE942ELNS1_3gpuE9ELNS1_3repE0EEENS1_38merge_mergepath_config_static_selectorELNS0_4arch9wavefront6targetE1EEEvSL_
; %bb.0:
	s_load_dwordx2 s[18:19], s[0:1], 0x40
	s_load_dword s5, s[0:1], 0x30
	s_add_u32 s8, s0, 64
	s_addc_u32 s9, s1, 0
	s_waitcnt lgkmcnt(0)
	s_mul_i32 s4, s19, s4
	s_add_i32 s3, s4, s3
	s_mul_i32 s3, s3, s18
	s_add_i32 s16, s3, s2
	s_cmp_ge_u32 s16, s5
	s_cbranch_scc1 .LBB1444_43
; %bb.1:
	s_load_dwordx2 s[10:11], s[0:1], 0x28
	s_load_dwordx2 s[4:5], s[0:1], 0x38
	;; [unrolled: 1-line block ×3, first 2 shown]
	s_mov_b32 s17, 0
	v_mov_b32_e32 v15, 0
	s_waitcnt lgkmcnt(0)
	s_lshr_b32 s19, s10, 10
	s_cmp_lg_u32 s16, s19
	s_cselect_b64 s[14:15], -1, 0
	s_lshl_b64 s[12:13], s[16:17], 2
	s_add_u32 s4, s4, s12
	s_addc_u32 s5, s5, s13
	s_lshr_b32 s3, s11, 9
	s_and_b32 s3, s3, 0x7ffffe
	s_load_dwordx2 s[4:5], s[4:5], 0x0
	s_sub_i32 s3, 0, s3
	s_and_b32 s13, s16, s3
	s_lshl_b32 s21, s13, 10
	s_lshl_b32 s12, s16, 10
	s_lshl_b32 s13, s13, 11
	s_sub_i32 s20, s12, s21
	s_add_i32 s13, s13, s11
	s_add_i32 s22, s13, s20
	s_waitcnt lgkmcnt(0)
	s_sub_i32 s20, s22, s4
	s_sub_i32 s22, s22, s5
	;; [unrolled: 1-line block ×3, first 2 shown]
	s_min_u32 s20, s10, s20
	s_addk_i32 s22, 0x400
	s_or_b32 s3, s16, s3
	s_min_u32 s21, s10, s13
	s_add_i32 s13, s13, s11
	s_cmp_eq_u32 s3, -1
	s_cselect_b32 s3, s13, s22
	s_cselect_b32 s5, s21, s5
	s_min_u32 s3, s3, s10
	s_sub_i32 s11, s5, s4
	s_mov_b32 s5, s17
	s_sub_i32 s13, s3, s20
	s_lshl_b64 s[4:5], s[4:5], 3
	s_add_u32 s4, s6, s4
	s_mov_b32 s21, s17
	s_addc_u32 s5, s7, s5
	s_lshl_b64 s[20:21], s[20:21], 3
	s_add_u32 s6, s6, s20
	s_addc_u32 s7, s7, s21
	s_cmp_lt_u32 s2, s18
	s_cselect_b32 s2, 12, 18
	global_load_dword v1, v15, s[8:9] offset:14
	s_add_u32 s2, s8, s2
	s_addc_u32 s3, s9, 0
	global_load_ushort v2, v15, s[2:3]
	s_cmp_eq_u32 s16, s19
	v_lshlrev_b32_e32 v18, 3, v0
	s_waitcnt vmcnt(1)
	v_lshrrev_b32_e32 v3, 16, v1
	v_and_b32_e32 v1, 0xffff, v1
	v_mul_lo_u32 v1, v1, v3
	s_waitcnt vmcnt(0)
	v_mul_lo_u32 v1, v1, v2
	v_add_u32_e32 v22, v1, v0
	v_add_u32_e32 v20, v22, v1
	s_cbranch_scc1 .LBB1444_3
; %bb.2:
	v_subrev_u32_e32 v14, s11, v0
	v_mov_b32_e32 v19, v15
	v_lshl_add_u64 v[2:3], v[14:15], 3, s[6:7]
	v_lshl_add_u64 v[4:5], s[4:5], 0, v[18:19]
	v_cmp_gt_u32_e32 vcc, s11, v0
	v_subrev_u32_e32 v14, s11, v22
	v_mov_b32_e32 v23, v15
	v_cndmask_b32_e32 v3, v3, v5, vcc
	v_cndmask_b32_e32 v2, v2, v4, vcc
	v_lshl_add_u64 v[4:5], v[14:15], 3, s[6:7]
	v_lshl_add_u64 v[6:7], v[22:23], 3, s[4:5]
	v_cmp_gt_u32_e32 vcc, s11, v22
	v_subrev_u32_e32 v14, s11, v20
	v_mov_b32_e32 v21, v15
	v_add_u32_e32 v10, v20, v1
	v_cndmask_b32_e32 v5, v5, v7, vcc
	v_cndmask_b32_e32 v4, v4, v6, vcc
	v_lshl_add_u64 v[6:7], v[14:15], 3, s[6:7]
	v_lshl_add_u64 v[8:9], v[20:21], 3, s[4:5]
	v_cmp_gt_u32_e32 vcc, s11, v20
	v_subrev_u32_e32 v14, s11, v10
	v_mov_b32_e32 v11, v15
	v_cndmask_b32_e32 v7, v7, v9, vcc
	v_cndmask_b32_e32 v6, v6, v8, vcc
	v_lshl_add_u64 v[8:9], v[14:15], 3, s[6:7]
	v_lshl_add_u64 v[12:13], v[10:11], 3, s[4:5]
	v_cmp_gt_u32_e32 vcc, s11, v10
	global_load_dwordx2 v[2:3], v[2:3], off
	s_add_i32 s16, s13, s11
	v_cndmask_b32_e32 v8, v8, v12, vcc
	v_add_u32_e32 v12, v10, v1
	v_cndmask_b32_e32 v9, v9, v13, vcc
	v_subrev_u32_e32 v14, s11, v12
	v_mov_b32_e32 v13, v15
	v_lshl_add_u64 v[10:11], v[14:15], 3, s[6:7]
	v_lshl_add_u64 v[16:17], v[12:13], 3, s[4:5]
	v_cmp_gt_u32_e32 vcc, s11, v12
	global_load_dwordx2 v[4:5], v[4:5], off
	s_nop 0
	v_cndmask_b32_e32 v11, v11, v17, vcc
	v_cndmask_b32_e32 v10, v10, v16, vcc
	v_add_u32_e32 v16, v12, v1
	v_mov_b32_e32 v17, v15
	v_subrev_u32_e32 v14, s11, v16
	v_lshl_add_u64 v[24:25], v[16:17], 3, s[4:5]
	v_cmp_gt_u32_e32 vcc, s11, v16
	v_add_u32_e32 v16, v16, v1
	v_lshl_add_u64 v[12:13], v[14:15], 3, s[6:7]
	v_subrev_u32_e32 v14, s11, v16
	v_cndmask_b32_e32 v13, v13, v25, vcc
	v_cndmask_b32_e32 v12, v12, v24, vcc
	v_lshl_add_u64 v[24:25], v[14:15], 3, s[6:7]
	v_lshl_add_u64 v[14:15], v[16:17], 3, s[4:5]
	v_cmp_gt_u32_e32 vcc, s11, v16
	global_load_dwordx2 v[6:7], v[6:7], off
	s_mov_b64 s[2:3], -1
	v_cndmask_b32_e32 v15, v25, v15, vcc
	v_cndmask_b32_e32 v14, v24, v14, vcc
	global_load_dwordx2 v[8:9], v[8:9], off
	v_add_u32_e32 v24, v16, v1
	global_load_dwordx2 v[10:11], v[10:11], off
	s_nop 0
	global_load_dwordx2 v[12:13], v[12:13], off
	s_nop 0
	global_load_dwordx2 v[14:15], v[14:15], off
	s_cbranch_execz .LBB1444_4
	s_branch .LBB1444_17
.LBB1444_3:
	s_mov_b64 s[2:3], 0
                                        ; implicit-def: $vgpr24
                                        ; implicit-def: $vgpr2_vgpr3_vgpr4_vgpr5_vgpr6_vgpr7_vgpr8_vgpr9_vgpr10_vgpr11_vgpr12_vgpr13_vgpr14_vgpr15_vgpr16_vgpr17
                                        ; implicit-def: $sgpr16
.LBB1444_4:
	s_add_i32 s16, s13, s11
	v_cmp_gt_u32_e32 vcc, s16, v0
                                        ; implicit-def: $vgpr2_vgpr3_vgpr4_vgpr5_vgpr6_vgpr7_vgpr8_vgpr9_vgpr10_vgpr11_vgpr12_vgpr13_vgpr14_vgpr15_vgpr16_vgpr17
	s_and_saveexec_b64 s[2:3], vcc
	s_cbranch_execnz .LBB1444_44
; %bb.5:
	s_or_b64 exec, exec, s[2:3]
	v_cmp_gt_u32_e32 vcc, s16, v22
	s_and_saveexec_b64 s[2:3], vcc
	s_cbranch_execnz .LBB1444_45
.LBB1444_6:
	s_or_b64 exec, exec, s[2:3]
	v_cmp_gt_u32_e32 vcc, s16, v20
	s_and_saveexec_b64 s[2:3], vcc
	s_cbranch_execz .LBB1444_8
.LBB1444_7:
	v_mov_b32_e32 v21, 0
	v_subrev_u32_e32 v22, s11, v20
	v_mov_b32_e32 v23, v21
	s_waitcnt vmcnt(4)
	v_lshl_add_u64 v[6:7], v[20:21], 3, s[4:5]
	v_lshl_add_u64 v[22:23], v[22:23], 3, s[6:7]
	v_cmp_gt_u32_e32 vcc, s11, v20
	s_nop 1
	v_cndmask_b32_e32 v7, v23, v7, vcc
	v_cndmask_b32_e32 v6, v22, v6, vcc
	global_load_dwordx2 v[6:7], v[6:7], off
.LBB1444_8:
	s_or_b64 exec, exec, s[2:3]
	v_add_u32_e32 v20, v20, v1
	v_cmp_gt_u32_e32 vcc, s16, v20
	s_and_saveexec_b64 s[2:3], vcc
	s_cbranch_execz .LBB1444_10
; %bb.9:
	v_mov_b32_e32 v21, 0
	v_subrev_u32_e32 v22, s11, v20
	v_mov_b32_e32 v23, v21
	s_waitcnt vmcnt(3)
	v_lshl_add_u64 v[8:9], v[20:21], 3, s[4:5]
	v_lshl_add_u64 v[22:23], v[22:23], 3, s[6:7]
	v_cmp_gt_u32_e32 vcc, s11, v20
	s_nop 1
	v_cndmask_b32_e32 v9, v23, v9, vcc
	v_cndmask_b32_e32 v8, v22, v8, vcc
	global_load_dwordx2 v[8:9], v[8:9], off
.LBB1444_10:
	s_or_b64 exec, exec, s[2:3]
	v_add_u32_e32 v20, v20, v1
	v_cmp_gt_u32_e32 vcc, s16, v20
	s_and_saveexec_b64 s[2:3], vcc
	s_cbranch_execz .LBB1444_12
; %bb.11:
	v_mov_b32_e32 v21, 0
	v_subrev_u32_e32 v22, s11, v20
	v_mov_b32_e32 v23, v21
	s_waitcnt vmcnt(2)
	v_lshl_add_u64 v[10:11], v[20:21], 3, s[4:5]
	v_lshl_add_u64 v[22:23], v[22:23], 3, s[6:7]
	v_cmp_gt_u32_e32 vcc, s11, v20
	s_nop 1
	v_cndmask_b32_e32 v11, v23, v11, vcc
	v_cndmask_b32_e32 v10, v22, v10, vcc
	global_load_dwordx2 v[10:11], v[10:11], off
.LBB1444_12:
	;; [unrolled: 18-line block ×4, first 2 shown]
	s_or_b64 exec, exec, s[2:3]
	v_add_u32_e32 v24, v20, v1
	v_cmp_gt_u32_e64 s[2:3], s16, v24
.LBB1444_17:
	v_mov_b32_e32 v1, s16
	s_and_saveexec_b64 s[8:9], s[2:3]
	s_cbranch_execz .LBB1444_19
; %bb.18:
	v_mov_b32_e32 v17, 0
	v_subrev_u32_e32 v16, s11, v24
	v_mov_b32_e32 v25, v17
	v_lshl_add_u64 v[20:21], v[16:17], 3, s[6:7]
	v_lshl_add_u64 v[16:17], v[24:25], 3, s[4:5]
	v_cmp_gt_u32_e32 vcc, s11, v24
	v_mov_b32_e32 v1, s16
	s_nop 0
	v_cndmask_b32_e32 v17, v21, v17, vcc
	v_cndmask_b32_e32 v16, v20, v16, vcc
	global_load_dwordx2 v[16:17], v[16:17], off
.LBB1444_19:
	s_or_b64 exec, exec, s[8:9]
	s_load_dwordx2 s[16:17], s[0:1], 0x10
	v_min_u32_e32 v20, v1, v18
	v_sub_u32_e64 v19, v20, s13 clamp
	v_min_u32_e32 v21, s11, v20
	v_cmp_lt_u32_e32 vcc, v19, v21
	s_waitcnt vmcnt(0)
	ds_write2st64_b64 v18, v[2:3], v[4:5] offset1:2
	ds_write2st64_b64 v18, v[6:7], v[8:9] offset0:4 offset1:6
	ds_write2st64_b64 v18, v[10:11], v[12:13] offset0:8 offset1:10
	;; [unrolled: 1-line block ×3, first 2 shown]
	s_waitcnt lgkmcnt(0)
	s_barrier
	s_and_saveexec_b64 s[0:1], vcc
	s_cbranch_execz .LBB1444_23
; %bb.20:
	v_lshlrev_b32_e32 v22, 3, v20
	v_lshl_add_u32 v22, s11, 3, v22
	s_mov_b64 s[2:3], 0
.LBB1444_21:                            ; =>This Inner Loop Header: Depth=1
	v_add_u32_e32 v23, v21, v19
	v_lshrrev_b32_e32 v23, 1, v23
	v_not_b32_e32 v24, v23
	v_lshlrev_b32_e32 v25, 3, v23
	v_lshl_add_u32 v26, v24, 3, v22
	ds_read_b64 v[24:25], v25
	ds_read_b64 v[26:27], v26
	v_add_u32_e32 v28, 1, v23
	s_waitcnt lgkmcnt(0)
	v_cmp_gt_i64_e32 vcc, v[24:25], v[26:27]
	s_nop 1
	v_cndmask_b32_e32 v21, v21, v23, vcc
	v_cndmask_b32_e32 v19, v28, v19, vcc
	v_cmp_ge_u32_e32 vcc, v19, v21
	s_or_b64 s[2:3], vcc, s[2:3]
	s_andn2_b64 exec, exec, s[2:3]
	s_cbranch_execnz .LBB1444_21
; %bb.22:
	s_or_b64 exec, exec, s[2:3]
.LBB1444_23:
	s_or_b64 exec, exec, s[0:1]
	v_sub_u32_e32 v20, v20, v19
	v_add_u32_e32 v20, s11, v20
	v_cmp_ge_u32_e32 vcc, s11, v19
	v_cmp_le_u32_e64 s[0:1], v20, v1
	s_or_b64 s[0:1], vcc, s[0:1]
	s_and_saveexec_b64 s[18:19], s[0:1]
	s_cbranch_execz .LBB1444_29
; %bb.24:
	v_cmp_gt_u32_e32 vcc, s11, v19
                                        ; implicit-def: $vgpr2_vgpr3
	s_and_saveexec_b64 s[0:1], vcc
	s_cbranch_execz .LBB1444_26
; %bb.25:
	v_lshlrev_b32_e32 v2, 3, v19
	ds_read_b64 v[2:3], v2
.LBB1444_26:
	s_or_b64 exec, exec, s[0:1]
	v_cmp_ge_u32_e64 s[0:1], v20, v1
	v_cmp_lt_u32_e64 s[2:3], v20, v1
                                        ; implicit-def: $vgpr4_vgpr5
	s_and_saveexec_b64 s[4:5], s[2:3]
	s_cbranch_execz .LBB1444_28
; %bb.27:
	v_lshlrev_b32_e32 v4, 3, v20
	ds_read_b64 v[4:5], v4
.LBB1444_28:
	s_or_b64 exec, exec, s[4:5]
	s_waitcnt lgkmcnt(0)
	v_cmp_le_i64_e64 s[2:3], v[2:3], v[4:5]
	s_and_b64 s[2:3], vcc, s[2:3]
	s_or_b64 vcc, s[0:1], s[2:3]
	v_mov_b32_e32 v28, s11
	v_cndmask_b32_e32 v6, v20, v19, vcc
	v_cndmask_b32_e32 v7, v1, v28, vcc
	v_add_u32_e32 v10, 1, v6
	v_add_u32_e32 v6, -1, v7
	v_min_u32_e32 v6, v10, v6
	v_lshlrev_b32_e32 v6, 3, v6
	ds_read_b64 v[6:7], v6
	v_cndmask_b32_e32 v15, v19, v10, vcc
	v_cndmask_b32_e32 v14, v10, v20, vcc
	v_cmp_gt_u32_e64 s[2:3], s11, v15
	v_cmp_ge_u32_e64 s[0:1], v14, v1
	s_waitcnt lgkmcnt(0)
	v_cndmask_b32_e32 v9, v7, v5, vcc
	v_cndmask_b32_e32 v8, v6, v4, vcc
	;; [unrolled: 1-line block ×4, first 2 shown]
	v_cmp_le_i64_e64 s[4:5], v[6:7], v[8:9]
	s_and_b64 s[2:3], s[2:3], s[4:5]
	s_or_b64 s[0:1], s[0:1], s[2:3]
	v_cndmask_b32_e64 v10, v14, v15, s[0:1]
	v_cndmask_b32_e64 v11, v1, v28, s[0:1]
	v_add_u32_e32 v16, 1, v10
	v_add_u32_e32 v10, -1, v11
	v_min_u32_e32 v10, v16, v10
	v_lshlrev_b32_e32 v10, 3, v10
	ds_read_b64 v[10:11], v10
	v_cndmask_b32_e64 v20, v15, v16, s[0:1]
	v_cndmask_b32_e64 v19, v16, v14, s[0:1]
	v_cmp_gt_u32_e64 s[4:5], s11, v20
	v_cmp_ge_u32_e64 s[2:3], v19, v1
	s_waitcnt lgkmcnt(0)
	v_cndmask_b32_e64 v13, v11, v9, s[0:1]
	v_cndmask_b32_e64 v12, v10, v8, s[0:1]
	;; [unrolled: 1-line block ×4, first 2 shown]
	v_cmp_le_i64_e64 s[6:7], v[10:11], v[12:13]
	s_and_b64 s[4:5], s[4:5], s[6:7]
	s_or_b64 s[2:3], s[2:3], s[4:5]
	v_cndmask_b32_e64 v14, v19, v20, s[2:3]
	v_cndmask_b32_e64 v15, v1, v28, s[2:3]
	v_add_u32_e32 v21, 1, v14
	v_add_u32_e32 v14, -1, v15
	v_min_u32_e32 v14, v21, v14
	v_lshlrev_b32_e32 v14, 3, v14
	ds_read_b64 v[14:15], v14
	v_cndmask_b32_e64 v24, v20, v21, s[2:3]
	v_cndmask_b32_e64 v19, v21, v19, s[2:3]
	v_cmp_gt_u32_e64 s[6:7], s11, v24
	v_cmp_ge_u32_e64 s[4:5], v19, v1
	s_waitcnt lgkmcnt(0)
	v_cndmask_b32_e64 v17, v15, v13, s[2:3]
	v_cndmask_b32_e64 v16, v14, v12, s[2:3]
	;; [unrolled: 1-line block ×4, first 2 shown]
	v_cmp_le_i64_e64 s[8:9], v[14:15], v[16:17]
	s_and_b64 s[6:7], s[6:7], s[8:9]
	s_or_b64 s[4:5], s[4:5], s[6:7]
	v_cndmask_b32_e64 v20, v19, v24, s[4:5]
	v_cndmask_b32_e64 v21, v1, v28, s[4:5]
	v_add_u32_e32 v25, 1, v20
	v_add_u32_e32 v20, -1, v21
	v_min_u32_e32 v20, v25, v20
	v_lshlrev_b32_e32 v20, 3, v20
	ds_read_b64 v[20:21], v20
	v_cndmask_b32_e64 v26, v24, v25, s[4:5]
	v_cndmask_b32_e64 v19, v25, v19, s[4:5]
	v_cmp_gt_u32_e64 s[6:7], s11, v26
	v_cndmask_b32_e32 v3, v5, v3, vcc
	s_waitcnt lgkmcnt(0)
	v_cndmask_b32_e64 v23, v21, v17, s[4:5]
	v_cndmask_b32_e64 v22, v20, v16, s[4:5]
	;; [unrolled: 1-line block ×4, first 2 shown]
	v_cmp_le_i64_e64 s[8:9], v[20:21], v[22:23]
	v_cndmask_b32_e32 v2, v4, v2, vcc
	v_cmp_ge_u32_e32 vcc, v19, v1
	s_and_b64 s[6:7], s[6:7], s[8:9]
	s_or_b64 vcc, vcc, s[6:7]
	v_cndmask_b32_e32 v4, v19, v26, vcc
	v_cndmask_b32_e32 v5, v1, v28, vcc
	v_add_u32_e32 v27, 1, v4
	v_add_u32_e32 v4, -1, v5
	v_min_u32_e32 v4, v27, v4
	v_lshlrev_b32_e32 v4, 3, v4
	ds_read_b64 v[24:25], v4
	v_cndmask_b32_e64 v5, v9, v7, s[0:1]
	v_cndmask_b32_e64 v4, v8, v6, s[0:1]
	;; [unrolled: 1-line block ×4, first 2 shown]
	s_waitcnt lgkmcnt(0)
	v_cndmask_b32_e32 v13, v25, v23, vcc
	v_cndmask_b32_e32 v12, v24, v22, vcc
	;; [unrolled: 1-line block ×6, first 2 shown]
	v_cmp_gt_u32_e64 s[2:3], s11, v29
	v_cmp_le_i64_e64 s[6:7], v[24:25], v[12:13]
	v_cmp_ge_u32_e64 s[0:1], v19, v1
	s_and_b64 s[2:3], s[2:3], s[6:7]
	s_or_b64 s[0:1], s[0:1], s[2:3]
	v_cndmask_b32_e64 v8, v19, v29, s[0:1]
	v_cndmask_b32_e64 v9, v1, v28, s[0:1]
	v_add_u32_e32 v30, 1, v8
	v_add_u32_e32 v8, -1, v9
	v_min_u32_e32 v8, v30, v8
	v_lshlrev_b32_e32 v8, 3, v8
	ds_read_b64 v[26:27], v8
	v_cndmask_b32_e64 v9, v17, v15, s[4:5]
	v_cndmask_b32_e64 v8, v16, v14, s[4:5]
	v_cndmask_b32_e32 v11, v23, v21, vcc
	v_cndmask_b32_e32 v10, v22, v20, vcc
	s_waitcnt lgkmcnt(0)
	v_cndmask_b32_e64 v17, v27, v13, s[0:1]
	v_cndmask_b32_e64 v16, v26, v12, s[0:1]
	;; [unrolled: 1-line block ×6, first 2 shown]
	v_cmp_gt_u32_e64 s[2:3], s11, v26
	v_cmp_le_i64_e64 s[4:5], v[20:21], v[16:17]
	v_cmp_ge_u32_e32 vcc, v19, v1
	s_and_b64 s[2:3], s[2:3], s[4:5]
	s_or_b64 vcc, vcc, s[2:3]
	v_cndmask_b32_e32 v14, v19, v26, vcc
	v_cndmask_b32_e32 v15, v1, v28, vcc
	v_add_u32_e32 v27, 1, v14
	v_add_u32_e32 v14, -1, v15
	v_min_u32_e32 v14, v27, v14
	v_lshlrev_b32_e32 v14, 3, v14
	ds_read_b64 v[22:23], v14
	v_cndmask_b32_e32 v15, v17, v21, vcc
	v_cndmask_b32_e32 v14, v16, v20, vcc
	v_cndmask_b32_e64 v13, v13, v25, s[0:1]
	v_cndmask_b32_e64 v12, v12, v24, s[0:1]
	s_waitcnt lgkmcnt(0)
	v_cndmask_b32_e32 v17, v23, v17, vcc
	v_cndmask_b32_e32 v16, v22, v16, vcc
	;; [unrolled: 1-line block ×6, first 2 shown]
	v_cmp_gt_u32_e64 s[0:1], s11, v22
	v_cmp_le_i64_e64 s[2:3], v[20:21], v[16:17]
	v_cmp_ge_u32_e32 vcc, v19, v1
	s_and_b64 s[0:1], s[0:1], s[2:3]
	s_or_b64 vcc, vcc, s[0:1]
	v_cndmask_b32_e32 v17, v17, v21, vcc
	v_cndmask_b32_e32 v16, v16, v20, vcc
.LBB1444_29:
	s_or_b64 exec, exec, s[18:19]
	v_lshrrev_b32_e32 v1, 2, v0
	v_lshlrev_b32_e32 v19, 3, v18
	v_lshl_add_u32 v19, v1, 3, v19
	v_and_b32_e32 v1, 24, v1
	v_or_b32_e32 v25, 0x80, v0
	v_add_u32_e32 v26, v18, v1
	v_lshrrev_b32_e32 v1, 2, v25
	v_and_b32_e32 v1, 56, v1
	v_or_b32_e32 v24, 0x100, v0
	s_barrier
	s_barrier
	ds_write2_b64 v19, v[2:3], v[4:5] offset1:1
	ds_write2_b64 v19, v[6:7], v[8:9] offset0:2 offset1:3
	ds_write2_b64 v19, v[10:11], v[12:13] offset0:4 offset1:5
	;; [unrolled: 1-line block ×3, first 2 shown]
	v_add_u32_e32 v6, v18, v1
	v_lshrrev_b32_e32 v1, 2, v24
	v_and_b32_e32 v1, 0x58, v1
	v_or_b32_e32 v23, 0x180, v0
	v_add_u32_e32 v7, v18, v1
	v_lshrrev_b32_e32 v1, 2, v23
	v_and_b32_e32 v1, 0x78, v1
	v_or_b32_e32 v22, 0x200, v0
	;; [unrolled: 4-line block ×4, first 2 shown]
	v_add_u32_e32 v27, v18, v1
	v_lshrrev_b32_e32 v1, 2, v20
	s_mov_b32 s13, 0
	v_and_b32_e32 v1, 0xd8, v1
	s_lshl_b64 s[0:1], s[12:13], 3
	v_add_u32_e32 v28, v18, v1
	v_or_b32_e32 v1, 0x380, v0
	s_add_u32 s0, s16, s0
	v_lshrrev_b32_e32 v2, 2, v1
	s_addc_u32 s1, s17, s1
	v_and_b32_e32 v2, 0xf8, v2
	v_mov_b32_e32 v19, 0
	v_add_u32_e32 v29, v18, v2
	v_lshl_add_u64 v[2:3], s[0:1], 0, v[18:19]
	s_and_b64 vcc, exec, s[14:15]
	s_waitcnt lgkmcnt(0)
	s_cbranch_vccz .LBB1444_31
; %bb.30:
	s_barrier
	ds_read_b64 v[10:11], v26
	ds_read_b64 v[12:13], v6 offset:1024
	ds_read_b64 v[14:15], v7 offset:2048
	;; [unrolled: 1-line block ×7, first 2 shown]
	s_waitcnt lgkmcnt(7)
	global_store_dwordx2 v[2:3], v[10:11], off
	s_waitcnt lgkmcnt(6)
	global_store_dwordx2 v[2:3], v[12:13], off offset:1024
	s_waitcnt lgkmcnt(5)
	global_store_dwordx2 v[2:3], v[14:15], off offset:2048
	;; [unrolled: 2-line block ×3, first 2 shown]
	v_add_co_u32_e32 v10, vcc, 0x1000, v2
	s_nop 1
	v_addc_co_u32_e32 v11, vcc, 0, v3, vcc
	s_waitcnt lgkmcnt(3)
	global_store_dwordx2 v[10:11], v[18:19], off
	s_waitcnt lgkmcnt(2)
	global_store_dwordx2 v[10:11], v[30:31], off offset:1024
	s_waitcnt lgkmcnt(1)
	global_store_dwordx2 v[10:11], v[32:33], off offset:2048
	s_mov_b64 s[0:1], -1
	s_cbranch_execz .LBB1444_32
	s_branch .LBB1444_41
.LBB1444_31:
	s_mov_b64 s[0:1], 0
                                        ; implicit-def: $vgpr4_vgpr5
.LBB1444_32:
	s_barrier
	s_waitcnt lgkmcnt(0)
	ds_read_b64 v[16:17], v6 offset:1024
	ds_read_b64 v[14:15], v7 offset:2048
	;; [unrolled: 1-line block ×7, first 2 shown]
	s_sub_i32 s2, s10, s12
	v_cmp_gt_u32_e32 vcc, s2, v0
	s_and_saveexec_b64 s[0:1], vcc
	s_cbranch_execnz .LBB1444_46
; %bb.33:
	s_or_b64 exec, exec, s[0:1]
	v_cmp_gt_u32_e32 vcc, s2, v25
	s_and_saveexec_b64 s[0:1], vcc
	s_cbranch_execnz .LBB1444_47
.LBB1444_34:
	s_or_b64 exec, exec, s[0:1]
	v_cmp_gt_u32_e32 vcc, s2, v24
	s_and_saveexec_b64 s[0:1], vcc
	s_cbranch_execnz .LBB1444_48
.LBB1444_35:
	s_or_b64 exec, exec, s[0:1]
	v_cmp_gt_u32_e32 vcc, s2, v23
	s_and_saveexec_b64 s[0:1], vcc
	s_cbranch_execnz .LBB1444_49
.LBB1444_36:
	s_or_b64 exec, exec, s[0:1]
	v_cmp_gt_u32_e32 vcc, s2, v22
	s_and_saveexec_b64 s[0:1], vcc
	s_cbranch_execnz .LBB1444_50
.LBB1444_37:
	s_or_b64 exec, exec, s[0:1]
	v_cmp_gt_u32_e32 vcc, s2, v21
	s_and_saveexec_b64 s[0:1], vcc
	s_cbranch_execnz .LBB1444_51
.LBB1444_38:
	s_or_b64 exec, exec, s[0:1]
	v_cmp_gt_u32_e32 vcc, s2, v20
	s_and_saveexec_b64 s[0:1], vcc
	s_cbranch_execz .LBB1444_40
.LBB1444_39:
	s_waitcnt lgkmcnt(2)
	v_add_co_u32_e32 v8, vcc, 0x1000, v2
	s_nop 1
	v_addc_co_u32_e32 v9, vcc, 0, v3, vcc
	s_waitcnt lgkmcnt(1)
	global_store_dwordx2 v[8:9], v[6:7], off offset:2048
.LBB1444_40:
	s_or_b64 exec, exec, s[0:1]
	v_cmp_gt_u32_e64 s[0:1], s2, v1
.LBB1444_41:
	s_and_saveexec_b64 s[2:3], s[0:1]
	s_cbranch_execz .LBB1444_43
; %bb.42:
	v_add_co_u32_e32 v0, vcc, 0x1000, v2
	s_nop 1
	v_addc_co_u32_e32 v1, vcc, 0, v3, vcc
	s_waitcnt lgkmcnt(0)
	global_store_dwordx2 v[0:1], v[4:5], off offset:3072
.LBB1444_43:
	s_endpgm
.LBB1444_44:
	v_mov_b32_e32 v19, 0
	s_waitcnt vmcnt(5)
	v_subrev_u32_e32 v4, s11, v0
	v_mov_b32_e32 v5, v19
	v_lshl_add_u64 v[2:3], s[4:5], 0, v[18:19]
	v_lshl_add_u64 v[4:5], v[4:5], 3, s[6:7]
	v_cmp_gt_u32_e32 vcc, s11, v0
	s_nop 1
	v_cndmask_b32_e32 v3, v5, v3, vcc
	v_cndmask_b32_e32 v2, v4, v2, vcc
	global_load_dwordx2 v[2:3], v[2:3], off
	s_or_b64 exec, exec, s[2:3]
	v_cmp_gt_u32_e32 vcc, s16, v22
	s_and_saveexec_b64 s[2:3], vcc
	s_cbranch_execz .LBB1444_6
.LBB1444_45:
	v_mov_b32_e32 v23, 0
	s_waitcnt vmcnt(5)
	v_lshl_add_u64 v[4:5], v[22:23], 3, s[4:5]
	v_cmp_gt_u32_e32 vcc, s11, v22
	v_subrev_u32_e32 v22, s11, v22
	v_lshl_add_u64 v[22:23], v[22:23], 3, s[6:7]
	v_cndmask_b32_e32 v5, v23, v5, vcc
	v_cndmask_b32_e32 v4, v22, v4, vcc
	global_load_dwordx2 v[4:5], v[4:5], off
	s_or_b64 exec, exec, s[2:3]
	v_cmp_gt_u32_e32 vcc, s16, v20
	s_and_saveexec_b64 s[2:3], vcc
	s_cbranch_execnz .LBB1444_7
	s_branch .LBB1444_8
.LBB1444_46:
	ds_read_b64 v[18:19], v26
	s_waitcnt lgkmcnt(0)
	global_store_dwordx2 v[2:3], v[18:19], off
	s_or_b64 exec, exec, s[0:1]
	v_cmp_gt_u32_e32 vcc, s2, v25
	s_and_saveexec_b64 s[0:1], vcc
	s_cbranch_execz .LBB1444_34
.LBB1444_47:
	s_waitcnt lgkmcnt(6)
	global_store_dwordx2 v[2:3], v[16:17], off offset:1024
	s_or_b64 exec, exec, s[0:1]
	v_cmp_gt_u32_e32 vcc, s2, v24
	s_and_saveexec_b64 s[0:1], vcc
	s_cbranch_execz .LBB1444_35
.LBB1444_48:
	s_waitcnt lgkmcnt(5)
	global_store_dwordx2 v[2:3], v[14:15], off offset:2048
	s_or_b64 exec, exec, s[0:1]
	v_cmp_gt_u32_e32 vcc, s2, v23
	s_and_saveexec_b64 s[0:1], vcc
	s_cbranch_execz .LBB1444_36
.LBB1444_49:
	s_waitcnt lgkmcnt(4)
	global_store_dwordx2 v[2:3], v[12:13], off offset:3072
	s_or_b64 exec, exec, s[0:1]
	v_cmp_gt_u32_e32 vcc, s2, v22
	s_and_saveexec_b64 s[0:1], vcc
	s_cbranch_execz .LBB1444_37
.LBB1444_50:
	s_waitcnt lgkmcnt(4)
	v_add_co_u32_e32 v12, vcc, 0x1000, v2
	s_nop 1
	v_addc_co_u32_e32 v13, vcc, 0, v3, vcc
	s_waitcnt lgkmcnt(3)
	global_store_dwordx2 v[12:13], v[10:11], off
	s_or_b64 exec, exec, s[0:1]
	v_cmp_gt_u32_e32 vcc, s2, v21
	s_and_saveexec_b64 s[0:1], vcc
	s_cbranch_execz .LBB1444_38
.LBB1444_51:
	s_waitcnt lgkmcnt(3)
	v_add_co_u32_e32 v10, vcc, 0x1000, v2
	s_nop 1
	v_addc_co_u32_e32 v11, vcc, 0, v3, vcc
	s_waitcnt lgkmcnt(2)
	global_store_dwordx2 v[10:11], v[8:9], off offset:1024
	s_or_b64 exec, exec, s[0:1]
	v_cmp_gt_u32_e32 vcc, s2, v20
	s_and_saveexec_b64 s[0:1], vcc
	s_cbranch_execnz .LBB1444_39
	s_branch .LBB1444_40
	.section	.rodata,"a",@progbits
	.p2align	6, 0x0
	.amdhsa_kernel _ZN7rocprim17ROCPRIM_400000_NS6detail17trampoline_kernelINS0_14default_configENS1_38merge_sort_block_merge_config_selectorIxNS0_10empty_typeEEEZZNS1_27merge_sort_block_merge_implIS3_N6thrust23THRUST_200600_302600_NS6detail15normal_iteratorINS9_10device_ptrIxEEEEPS5_jNS1_19radix_merge_compareILb0ELb0ExNS0_19identity_decomposerEEEEE10hipError_tT0_T1_T2_jT3_P12ihipStream_tbPNSt15iterator_traitsISK_E10value_typeEPNSQ_ISL_E10value_typeEPSM_NS1_7vsmem_tEENKUlT_SK_SL_SM_E_clISE_PxSF_SF_EESJ_SZ_SK_SL_SM_EUlSZ_E0_NS1_11comp_targetILNS1_3genE5ELNS1_11target_archE942ELNS1_3gpuE9ELNS1_3repE0EEENS1_38merge_mergepath_config_static_selectorELNS0_4arch9wavefront6targetE1EEEvSL_
		.amdhsa_group_segment_fixed_size 8448
		.amdhsa_private_segment_fixed_size 0
		.amdhsa_kernarg_size 320
		.amdhsa_user_sgpr_count 2
		.amdhsa_user_sgpr_dispatch_ptr 0
		.amdhsa_user_sgpr_queue_ptr 0
		.amdhsa_user_sgpr_kernarg_segment_ptr 1
		.amdhsa_user_sgpr_dispatch_id 0
		.amdhsa_user_sgpr_kernarg_preload_length 0
		.amdhsa_user_sgpr_kernarg_preload_offset 0
		.amdhsa_user_sgpr_private_segment_size 0
		.amdhsa_uses_dynamic_stack 0
		.amdhsa_enable_private_segment 0
		.amdhsa_system_sgpr_workgroup_id_x 1
		.amdhsa_system_sgpr_workgroup_id_y 1
		.amdhsa_system_sgpr_workgroup_id_z 1
		.amdhsa_system_sgpr_workgroup_info 0
		.amdhsa_system_vgpr_workitem_id 0
		.amdhsa_next_free_vgpr 34
		.amdhsa_next_free_sgpr 23
		.amdhsa_accum_offset 36
		.amdhsa_reserve_vcc 1
		.amdhsa_float_round_mode_32 0
		.amdhsa_float_round_mode_16_64 0
		.amdhsa_float_denorm_mode_32 3
		.amdhsa_float_denorm_mode_16_64 3
		.amdhsa_dx10_clamp 1
		.amdhsa_ieee_mode 1
		.amdhsa_fp16_overflow 0
		.amdhsa_tg_split 0
		.amdhsa_exception_fp_ieee_invalid_op 0
		.amdhsa_exception_fp_denorm_src 0
		.amdhsa_exception_fp_ieee_div_zero 0
		.amdhsa_exception_fp_ieee_overflow 0
		.amdhsa_exception_fp_ieee_underflow 0
		.amdhsa_exception_fp_ieee_inexact 0
		.amdhsa_exception_int_div_zero 0
	.end_amdhsa_kernel
	.section	.text._ZN7rocprim17ROCPRIM_400000_NS6detail17trampoline_kernelINS0_14default_configENS1_38merge_sort_block_merge_config_selectorIxNS0_10empty_typeEEEZZNS1_27merge_sort_block_merge_implIS3_N6thrust23THRUST_200600_302600_NS6detail15normal_iteratorINS9_10device_ptrIxEEEEPS5_jNS1_19radix_merge_compareILb0ELb0ExNS0_19identity_decomposerEEEEE10hipError_tT0_T1_T2_jT3_P12ihipStream_tbPNSt15iterator_traitsISK_E10value_typeEPNSQ_ISL_E10value_typeEPSM_NS1_7vsmem_tEENKUlT_SK_SL_SM_E_clISE_PxSF_SF_EESJ_SZ_SK_SL_SM_EUlSZ_E0_NS1_11comp_targetILNS1_3genE5ELNS1_11target_archE942ELNS1_3gpuE9ELNS1_3repE0EEENS1_38merge_mergepath_config_static_selectorELNS0_4arch9wavefront6targetE1EEEvSL_,"axG",@progbits,_ZN7rocprim17ROCPRIM_400000_NS6detail17trampoline_kernelINS0_14default_configENS1_38merge_sort_block_merge_config_selectorIxNS0_10empty_typeEEEZZNS1_27merge_sort_block_merge_implIS3_N6thrust23THRUST_200600_302600_NS6detail15normal_iteratorINS9_10device_ptrIxEEEEPS5_jNS1_19radix_merge_compareILb0ELb0ExNS0_19identity_decomposerEEEEE10hipError_tT0_T1_T2_jT3_P12ihipStream_tbPNSt15iterator_traitsISK_E10value_typeEPNSQ_ISL_E10value_typeEPSM_NS1_7vsmem_tEENKUlT_SK_SL_SM_E_clISE_PxSF_SF_EESJ_SZ_SK_SL_SM_EUlSZ_E0_NS1_11comp_targetILNS1_3genE5ELNS1_11target_archE942ELNS1_3gpuE9ELNS1_3repE0EEENS1_38merge_mergepath_config_static_selectorELNS0_4arch9wavefront6targetE1EEEvSL_,comdat
.Lfunc_end1444:
	.size	_ZN7rocprim17ROCPRIM_400000_NS6detail17trampoline_kernelINS0_14default_configENS1_38merge_sort_block_merge_config_selectorIxNS0_10empty_typeEEEZZNS1_27merge_sort_block_merge_implIS3_N6thrust23THRUST_200600_302600_NS6detail15normal_iteratorINS9_10device_ptrIxEEEEPS5_jNS1_19radix_merge_compareILb0ELb0ExNS0_19identity_decomposerEEEEE10hipError_tT0_T1_T2_jT3_P12ihipStream_tbPNSt15iterator_traitsISK_E10value_typeEPNSQ_ISL_E10value_typeEPSM_NS1_7vsmem_tEENKUlT_SK_SL_SM_E_clISE_PxSF_SF_EESJ_SZ_SK_SL_SM_EUlSZ_E0_NS1_11comp_targetILNS1_3genE5ELNS1_11target_archE942ELNS1_3gpuE9ELNS1_3repE0EEENS1_38merge_mergepath_config_static_selectorELNS0_4arch9wavefront6targetE1EEEvSL_, .Lfunc_end1444-_ZN7rocprim17ROCPRIM_400000_NS6detail17trampoline_kernelINS0_14default_configENS1_38merge_sort_block_merge_config_selectorIxNS0_10empty_typeEEEZZNS1_27merge_sort_block_merge_implIS3_N6thrust23THRUST_200600_302600_NS6detail15normal_iteratorINS9_10device_ptrIxEEEEPS5_jNS1_19radix_merge_compareILb0ELb0ExNS0_19identity_decomposerEEEEE10hipError_tT0_T1_T2_jT3_P12ihipStream_tbPNSt15iterator_traitsISK_E10value_typeEPNSQ_ISL_E10value_typeEPSM_NS1_7vsmem_tEENKUlT_SK_SL_SM_E_clISE_PxSF_SF_EESJ_SZ_SK_SL_SM_EUlSZ_E0_NS1_11comp_targetILNS1_3genE5ELNS1_11target_archE942ELNS1_3gpuE9ELNS1_3repE0EEENS1_38merge_mergepath_config_static_selectorELNS0_4arch9wavefront6targetE1EEEvSL_
                                        ; -- End function
	.section	.AMDGPU.csdata,"",@progbits
; Kernel info:
; codeLenInByte = 3436
; NumSgprs: 29
; NumVgprs: 34
; NumAgprs: 0
; TotalNumVgprs: 34
; ScratchSize: 0
; MemoryBound: 0
; FloatMode: 240
; IeeeMode: 1
; LDSByteSize: 8448 bytes/workgroup (compile time only)
; SGPRBlocks: 3
; VGPRBlocks: 4
; NumSGPRsForWavesPerEU: 29
; NumVGPRsForWavesPerEU: 34
; AccumOffset: 36
; Occupancy: 4
; WaveLimiterHint : 1
; COMPUTE_PGM_RSRC2:SCRATCH_EN: 0
; COMPUTE_PGM_RSRC2:USER_SGPR: 2
; COMPUTE_PGM_RSRC2:TRAP_HANDLER: 0
; COMPUTE_PGM_RSRC2:TGID_X_EN: 1
; COMPUTE_PGM_RSRC2:TGID_Y_EN: 1
; COMPUTE_PGM_RSRC2:TGID_Z_EN: 1
; COMPUTE_PGM_RSRC2:TIDIG_COMP_CNT: 0
; COMPUTE_PGM_RSRC3_GFX90A:ACCUM_OFFSET: 8
; COMPUTE_PGM_RSRC3_GFX90A:TG_SPLIT: 0
	.section	.text._ZN7rocprim17ROCPRIM_400000_NS6detail17trampoline_kernelINS0_14default_configENS1_38merge_sort_block_merge_config_selectorIxNS0_10empty_typeEEEZZNS1_27merge_sort_block_merge_implIS3_N6thrust23THRUST_200600_302600_NS6detail15normal_iteratorINS9_10device_ptrIxEEEEPS5_jNS1_19radix_merge_compareILb0ELb0ExNS0_19identity_decomposerEEEEE10hipError_tT0_T1_T2_jT3_P12ihipStream_tbPNSt15iterator_traitsISK_E10value_typeEPNSQ_ISL_E10value_typeEPSM_NS1_7vsmem_tEENKUlT_SK_SL_SM_E_clISE_PxSF_SF_EESJ_SZ_SK_SL_SM_EUlSZ_E0_NS1_11comp_targetILNS1_3genE4ELNS1_11target_archE910ELNS1_3gpuE8ELNS1_3repE0EEENS1_38merge_mergepath_config_static_selectorELNS0_4arch9wavefront6targetE1EEEvSL_,"axG",@progbits,_ZN7rocprim17ROCPRIM_400000_NS6detail17trampoline_kernelINS0_14default_configENS1_38merge_sort_block_merge_config_selectorIxNS0_10empty_typeEEEZZNS1_27merge_sort_block_merge_implIS3_N6thrust23THRUST_200600_302600_NS6detail15normal_iteratorINS9_10device_ptrIxEEEEPS5_jNS1_19radix_merge_compareILb0ELb0ExNS0_19identity_decomposerEEEEE10hipError_tT0_T1_T2_jT3_P12ihipStream_tbPNSt15iterator_traitsISK_E10value_typeEPNSQ_ISL_E10value_typeEPSM_NS1_7vsmem_tEENKUlT_SK_SL_SM_E_clISE_PxSF_SF_EESJ_SZ_SK_SL_SM_EUlSZ_E0_NS1_11comp_targetILNS1_3genE4ELNS1_11target_archE910ELNS1_3gpuE8ELNS1_3repE0EEENS1_38merge_mergepath_config_static_selectorELNS0_4arch9wavefront6targetE1EEEvSL_,comdat
	.protected	_ZN7rocprim17ROCPRIM_400000_NS6detail17trampoline_kernelINS0_14default_configENS1_38merge_sort_block_merge_config_selectorIxNS0_10empty_typeEEEZZNS1_27merge_sort_block_merge_implIS3_N6thrust23THRUST_200600_302600_NS6detail15normal_iteratorINS9_10device_ptrIxEEEEPS5_jNS1_19radix_merge_compareILb0ELb0ExNS0_19identity_decomposerEEEEE10hipError_tT0_T1_T2_jT3_P12ihipStream_tbPNSt15iterator_traitsISK_E10value_typeEPNSQ_ISL_E10value_typeEPSM_NS1_7vsmem_tEENKUlT_SK_SL_SM_E_clISE_PxSF_SF_EESJ_SZ_SK_SL_SM_EUlSZ_E0_NS1_11comp_targetILNS1_3genE4ELNS1_11target_archE910ELNS1_3gpuE8ELNS1_3repE0EEENS1_38merge_mergepath_config_static_selectorELNS0_4arch9wavefront6targetE1EEEvSL_ ; -- Begin function _ZN7rocprim17ROCPRIM_400000_NS6detail17trampoline_kernelINS0_14default_configENS1_38merge_sort_block_merge_config_selectorIxNS0_10empty_typeEEEZZNS1_27merge_sort_block_merge_implIS3_N6thrust23THRUST_200600_302600_NS6detail15normal_iteratorINS9_10device_ptrIxEEEEPS5_jNS1_19radix_merge_compareILb0ELb0ExNS0_19identity_decomposerEEEEE10hipError_tT0_T1_T2_jT3_P12ihipStream_tbPNSt15iterator_traitsISK_E10value_typeEPNSQ_ISL_E10value_typeEPSM_NS1_7vsmem_tEENKUlT_SK_SL_SM_E_clISE_PxSF_SF_EESJ_SZ_SK_SL_SM_EUlSZ_E0_NS1_11comp_targetILNS1_3genE4ELNS1_11target_archE910ELNS1_3gpuE8ELNS1_3repE0EEENS1_38merge_mergepath_config_static_selectorELNS0_4arch9wavefront6targetE1EEEvSL_
	.globl	_ZN7rocprim17ROCPRIM_400000_NS6detail17trampoline_kernelINS0_14default_configENS1_38merge_sort_block_merge_config_selectorIxNS0_10empty_typeEEEZZNS1_27merge_sort_block_merge_implIS3_N6thrust23THRUST_200600_302600_NS6detail15normal_iteratorINS9_10device_ptrIxEEEEPS5_jNS1_19radix_merge_compareILb0ELb0ExNS0_19identity_decomposerEEEEE10hipError_tT0_T1_T2_jT3_P12ihipStream_tbPNSt15iterator_traitsISK_E10value_typeEPNSQ_ISL_E10value_typeEPSM_NS1_7vsmem_tEENKUlT_SK_SL_SM_E_clISE_PxSF_SF_EESJ_SZ_SK_SL_SM_EUlSZ_E0_NS1_11comp_targetILNS1_3genE4ELNS1_11target_archE910ELNS1_3gpuE8ELNS1_3repE0EEENS1_38merge_mergepath_config_static_selectorELNS0_4arch9wavefront6targetE1EEEvSL_
	.p2align	8
	.type	_ZN7rocprim17ROCPRIM_400000_NS6detail17trampoline_kernelINS0_14default_configENS1_38merge_sort_block_merge_config_selectorIxNS0_10empty_typeEEEZZNS1_27merge_sort_block_merge_implIS3_N6thrust23THRUST_200600_302600_NS6detail15normal_iteratorINS9_10device_ptrIxEEEEPS5_jNS1_19radix_merge_compareILb0ELb0ExNS0_19identity_decomposerEEEEE10hipError_tT0_T1_T2_jT3_P12ihipStream_tbPNSt15iterator_traitsISK_E10value_typeEPNSQ_ISL_E10value_typeEPSM_NS1_7vsmem_tEENKUlT_SK_SL_SM_E_clISE_PxSF_SF_EESJ_SZ_SK_SL_SM_EUlSZ_E0_NS1_11comp_targetILNS1_3genE4ELNS1_11target_archE910ELNS1_3gpuE8ELNS1_3repE0EEENS1_38merge_mergepath_config_static_selectorELNS0_4arch9wavefront6targetE1EEEvSL_,@function
_ZN7rocprim17ROCPRIM_400000_NS6detail17trampoline_kernelINS0_14default_configENS1_38merge_sort_block_merge_config_selectorIxNS0_10empty_typeEEEZZNS1_27merge_sort_block_merge_implIS3_N6thrust23THRUST_200600_302600_NS6detail15normal_iteratorINS9_10device_ptrIxEEEEPS5_jNS1_19radix_merge_compareILb0ELb0ExNS0_19identity_decomposerEEEEE10hipError_tT0_T1_T2_jT3_P12ihipStream_tbPNSt15iterator_traitsISK_E10value_typeEPNSQ_ISL_E10value_typeEPSM_NS1_7vsmem_tEENKUlT_SK_SL_SM_E_clISE_PxSF_SF_EESJ_SZ_SK_SL_SM_EUlSZ_E0_NS1_11comp_targetILNS1_3genE4ELNS1_11target_archE910ELNS1_3gpuE8ELNS1_3repE0EEENS1_38merge_mergepath_config_static_selectorELNS0_4arch9wavefront6targetE1EEEvSL_: ; @_ZN7rocprim17ROCPRIM_400000_NS6detail17trampoline_kernelINS0_14default_configENS1_38merge_sort_block_merge_config_selectorIxNS0_10empty_typeEEEZZNS1_27merge_sort_block_merge_implIS3_N6thrust23THRUST_200600_302600_NS6detail15normal_iteratorINS9_10device_ptrIxEEEEPS5_jNS1_19radix_merge_compareILb0ELb0ExNS0_19identity_decomposerEEEEE10hipError_tT0_T1_T2_jT3_P12ihipStream_tbPNSt15iterator_traitsISK_E10value_typeEPNSQ_ISL_E10value_typeEPSM_NS1_7vsmem_tEENKUlT_SK_SL_SM_E_clISE_PxSF_SF_EESJ_SZ_SK_SL_SM_EUlSZ_E0_NS1_11comp_targetILNS1_3genE4ELNS1_11target_archE910ELNS1_3gpuE8ELNS1_3repE0EEENS1_38merge_mergepath_config_static_selectorELNS0_4arch9wavefront6targetE1EEEvSL_
; %bb.0:
	.section	.rodata,"a",@progbits
	.p2align	6, 0x0
	.amdhsa_kernel _ZN7rocprim17ROCPRIM_400000_NS6detail17trampoline_kernelINS0_14default_configENS1_38merge_sort_block_merge_config_selectorIxNS0_10empty_typeEEEZZNS1_27merge_sort_block_merge_implIS3_N6thrust23THRUST_200600_302600_NS6detail15normal_iteratorINS9_10device_ptrIxEEEEPS5_jNS1_19radix_merge_compareILb0ELb0ExNS0_19identity_decomposerEEEEE10hipError_tT0_T1_T2_jT3_P12ihipStream_tbPNSt15iterator_traitsISK_E10value_typeEPNSQ_ISL_E10value_typeEPSM_NS1_7vsmem_tEENKUlT_SK_SL_SM_E_clISE_PxSF_SF_EESJ_SZ_SK_SL_SM_EUlSZ_E0_NS1_11comp_targetILNS1_3genE4ELNS1_11target_archE910ELNS1_3gpuE8ELNS1_3repE0EEENS1_38merge_mergepath_config_static_selectorELNS0_4arch9wavefront6targetE1EEEvSL_
		.amdhsa_group_segment_fixed_size 0
		.amdhsa_private_segment_fixed_size 0
		.amdhsa_kernarg_size 64
		.amdhsa_user_sgpr_count 2
		.amdhsa_user_sgpr_dispatch_ptr 0
		.amdhsa_user_sgpr_queue_ptr 0
		.amdhsa_user_sgpr_kernarg_segment_ptr 1
		.amdhsa_user_sgpr_dispatch_id 0
		.amdhsa_user_sgpr_kernarg_preload_length 0
		.amdhsa_user_sgpr_kernarg_preload_offset 0
		.amdhsa_user_sgpr_private_segment_size 0
		.amdhsa_uses_dynamic_stack 0
		.amdhsa_enable_private_segment 0
		.amdhsa_system_sgpr_workgroup_id_x 1
		.amdhsa_system_sgpr_workgroup_id_y 0
		.amdhsa_system_sgpr_workgroup_id_z 0
		.amdhsa_system_sgpr_workgroup_info 0
		.amdhsa_system_vgpr_workitem_id 0
		.amdhsa_next_free_vgpr 1
		.amdhsa_next_free_sgpr 0
		.amdhsa_accum_offset 4
		.amdhsa_reserve_vcc 0
		.amdhsa_float_round_mode_32 0
		.amdhsa_float_round_mode_16_64 0
		.amdhsa_float_denorm_mode_32 3
		.amdhsa_float_denorm_mode_16_64 3
		.amdhsa_dx10_clamp 1
		.amdhsa_ieee_mode 1
		.amdhsa_fp16_overflow 0
		.amdhsa_tg_split 0
		.amdhsa_exception_fp_ieee_invalid_op 0
		.amdhsa_exception_fp_denorm_src 0
		.amdhsa_exception_fp_ieee_div_zero 0
		.amdhsa_exception_fp_ieee_overflow 0
		.amdhsa_exception_fp_ieee_underflow 0
		.amdhsa_exception_fp_ieee_inexact 0
		.amdhsa_exception_int_div_zero 0
	.end_amdhsa_kernel
	.section	.text._ZN7rocprim17ROCPRIM_400000_NS6detail17trampoline_kernelINS0_14default_configENS1_38merge_sort_block_merge_config_selectorIxNS0_10empty_typeEEEZZNS1_27merge_sort_block_merge_implIS3_N6thrust23THRUST_200600_302600_NS6detail15normal_iteratorINS9_10device_ptrIxEEEEPS5_jNS1_19radix_merge_compareILb0ELb0ExNS0_19identity_decomposerEEEEE10hipError_tT0_T1_T2_jT3_P12ihipStream_tbPNSt15iterator_traitsISK_E10value_typeEPNSQ_ISL_E10value_typeEPSM_NS1_7vsmem_tEENKUlT_SK_SL_SM_E_clISE_PxSF_SF_EESJ_SZ_SK_SL_SM_EUlSZ_E0_NS1_11comp_targetILNS1_3genE4ELNS1_11target_archE910ELNS1_3gpuE8ELNS1_3repE0EEENS1_38merge_mergepath_config_static_selectorELNS0_4arch9wavefront6targetE1EEEvSL_,"axG",@progbits,_ZN7rocprim17ROCPRIM_400000_NS6detail17trampoline_kernelINS0_14default_configENS1_38merge_sort_block_merge_config_selectorIxNS0_10empty_typeEEEZZNS1_27merge_sort_block_merge_implIS3_N6thrust23THRUST_200600_302600_NS6detail15normal_iteratorINS9_10device_ptrIxEEEEPS5_jNS1_19radix_merge_compareILb0ELb0ExNS0_19identity_decomposerEEEEE10hipError_tT0_T1_T2_jT3_P12ihipStream_tbPNSt15iterator_traitsISK_E10value_typeEPNSQ_ISL_E10value_typeEPSM_NS1_7vsmem_tEENKUlT_SK_SL_SM_E_clISE_PxSF_SF_EESJ_SZ_SK_SL_SM_EUlSZ_E0_NS1_11comp_targetILNS1_3genE4ELNS1_11target_archE910ELNS1_3gpuE8ELNS1_3repE0EEENS1_38merge_mergepath_config_static_selectorELNS0_4arch9wavefront6targetE1EEEvSL_,comdat
.Lfunc_end1445:
	.size	_ZN7rocprim17ROCPRIM_400000_NS6detail17trampoline_kernelINS0_14default_configENS1_38merge_sort_block_merge_config_selectorIxNS0_10empty_typeEEEZZNS1_27merge_sort_block_merge_implIS3_N6thrust23THRUST_200600_302600_NS6detail15normal_iteratorINS9_10device_ptrIxEEEEPS5_jNS1_19radix_merge_compareILb0ELb0ExNS0_19identity_decomposerEEEEE10hipError_tT0_T1_T2_jT3_P12ihipStream_tbPNSt15iterator_traitsISK_E10value_typeEPNSQ_ISL_E10value_typeEPSM_NS1_7vsmem_tEENKUlT_SK_SL_SM_E_clISE_PxSF_SF_EESJ_SZ_SK_SL_SM_EUlSZ_E0_NS1_11comp_targetILNS1_3genE4ELNS1_11target_archE910ELNS1_3gpuE8ELNS1_3repE0EEENS1_38merge_mergepath_config_static_selectorELNS0_4arch9wavefront6targetE1EEEvSL_, .Lfunc_end1445-_ZN7rocprim17ROCPRIM_400000_NS6detail17trampoline_kernelINS0_14default_configENS1_38merge_sort_block_merge_config_selectorIxNS0_10empty_typeEEEZZNS1_27merge_sort_block_merge_implIS3_N6thrust23THRUST_200600_302600_NS6detail15normal_iteratorINS9_10device_ptrIxEEEEPS5_jNS1_19radix_merge_compareILb0ELb0ExNS0_19identity_decomposerEEEEE10hipError_tT0_T1_T2_jT3_P12ihipStream_tbPNSt15iterator_traitsISK_E10value_typeEPNSQ_ISL_E10value_typeEPSM_NS1_7vsmem_tEENKUlT_SK_SL_SM_E_clISE_PxSF_SF_EESJ_SZ_SK_SL_SM_EUlSZ_E0_NS1_11comp_targetILNS1_3genE4ELNS1_11target_archE910ELNS1_3gpuE8ELNS1_3repE0EEENS1_38merge_mergepath_config_static_selectorELNS0_4arch9wavefront6targetE1EEEvSL_
                                        ; -- End function
	.section	.AMDGPU.csdata,"",@progbits
; Kernel info:
; codeLenInByte = 0
; NumSgprs: 6
; NumVgprs: 0
; NumAgprs: 0
; TotalNumVgprs: 0
; ScratchSize: 0
; MemoryBound: 0
; FloatMode: 240
; IeeeMode: 1
; LDSByteSize: 0 bytes/workgroup (compile time only)
; SGPRBlocks: 0
; VGPRBlocks: 0
; NumSGPRsForWavesPerEU: 6
; NumVGPRsForWavesPerEU: 1
; AccumOffset: 4
; Occupancy: 8
; WaveLimiterHint : 0
; COMPUTE_PGM_RSRC2:SCRATCH_EN: 0
; COMPUTE_PGM_RSRC2:USER_SGPR: 2
; COMPUTE_PGM_RSRC2:TRAP_HANDLER: 0
; COMPUTE_PGM_RSRC2:TGID_X_EN: 1
; COMPUTE_PGM_RSRC2:TGID_Y_EN: 0
; COMPUTE_PGM_RSRC2:TGID_Z_EN: 0
; COMPUTE_PGM_RSRC2:TIDIG_COMP_CNT: 0
; COMPUTE_PGM_RSRC3_GFX90A:ACCUM_OFFSET: 0
; COMPUTE_PGM_RSRC3_GFX90A:TG_SPLIT: 0
	.section	.text._ZN7rocprim17ROCPRIM_400000_NS6detail17trampoline_kernelINS0_14default_configENS1_38merge_sort_block_merge_config_selectorIxNS0_10empty_typeEEEZZNS1_27merge_sort_block_merge_implIS3_N6thrust23THRUST_200600_302600_NS6detail15normal_iteratorINS9_10device_ptrIxEEEEPS5_jNS1_19radix_merge_compareILb0ELb0ExNS0_19identity_decomposerEEEEE10hipError_tT0_T1_T2_jT3_P12ihipStream_tbPNSt15iterator_traitsISK_E10value_typeEPNSQ_ISL_E10value_typeEPSM_NS1_7vsmem_tEENKUlT_SK_SL_SM_E_clISE_PxSF_SF_EESJ_SZ_SK_SL_SM_EUlSZ_E0_NS1_11comp_targetILNS1_3genE3ELNS1_11target_archE908ELNS1_3gpuE7ELNS1_3repE0EEENS1_38merge_mergepath_config_static_selectorELNS0_4arch9wavefront6targetE1EEEvSL_,"axG",@progbits,_ZN7rocprim17ROCPRIM_400000_NS6detail17trampoline_kernelINS0_14default_configENS1_38merge_sort_block_merge_config_selectorIxNS0_10empty_typeEEEZZNS1_27merge_sort_block_merge_implIS3_N6thrust23THRUST_200600_302600_NS6detail15normal_iteratorINS9_10device_ptrIxEEEEPS5_jNS1_19radix_merge_compareILb0ELb0ExNS0_19identity_decomposerEEEEE10hipError_tT0_T1_T2_jT3_P12ihipStream_tbPNSt15iterator_traitsISK_E10value_typeEPNSQ_ISL_E10value_typeEPSM_NS1_7vsmem_tEENKUlT_SK_SL_SM_E_clISE_PxSF_SF_EESJ_SZ_SK_SL_SM_EUlSZ_E0_NS1_11comp_targetILNS1_3genE3ELNS1_11target_archE908ELNS1_3gpuE7ELNS1_3repE0EEENS1_38merge_mergepath_config_static_selectorELNS0_4arch9wavefront6targetE1EEEvSL_,comdat
	.protected	_ZN7rocprim17ROCPRIM_400000_NS6detail17trampoline_kernelINS0_14default_configENS1_38merge_sort_block_merge_config_selectorIxNS0_10empty_typeEEEZZNS1_27merge_sort_block_merge_implIS3_N6thrust23THRUST_200600_302600_NS6detail15normal_iteratorINS9_10device_ptrIxEEEEPS5_jNS1_19radix_merge_compareILb0ELb0ExNS0_19identity_decomposerEEEEE10hipError_tT0_T1_T2_jT3_P12ihipStream_tbPNSt15iterator_traitsISK_E10value_typeEPNSQ_ISL_E10value_typeEPSM_NS1_7vsmem_tEENKUlT_SK_SL_SM_E_clISE_PxSF_SF_EESJ_SZ_SK_SL_SM_EUlSZ_E0_NS1_11comp_targetILNS1_3genE3ELNS1_11target_archE908ELNS1_3gpuE7ELNS1_3repE0EEENS1_38merge_mergepath_config_static_selectorELNS0_4arch9wavefront6targetE1EEEvSL_ ; -- Begin function _ZN7rocprim17ROCPRIM_400000_NS6detail17trampoline_kernelINS0_14default_configENS1_38merge_sort_block_merge_config_selectorIxNS0_10empty_typeEEEZZNS1_27merge_sort_block_merge_implIS3_N6thrust23THRUST_200600_302600_NS6detail15normal_iteratorINS9_10device_ptrIxEEEEPS5_jNS1_19radix_merge_compareILb0ELb0ExNS0_19identity_decomposerEEEEE10hipError_tT0_T1_T2_jT3_P12ihipStream_tbPNSt15iterator_traitsISK_E10value_typeEPNSQ_ISL_E10value_typeEPSM_NS1_7vsmem_tEENKUlT_SK_SL_SM_E_clISE_PxSF_SF_EESJ_SZ_SK_SL_SM_EUlSZ_E0_NS1_11comp_targetILNS1_3genE3ELNS1_11target_archE908ELNS1_3gpuE7ELNS1_3repE0EEENS1_38merge_mergepath_config_static_selectorELNS0_4arch9wavefront6targetE1EEEvSL_
	.globl	_ZN7rocprim17ROCPRIM_400000_NS6detail17trampoline_kernelINS0_14default_configENS1_38merge_sort_block_merge_config_selectorIxNS0_10empty_typeEEEZZNS1_27merge_sort_block_merge_implIS3_N6thrust23THRUST_200600_302600_NS6detail15normal_iteratorINS9_10device_ptrIxEEEEPS5_jNS1_19radix_merge_compareILb0ELb0ExNS0_19identity_decomposerEEEEE10hipError_tT0_T1_T2_jT3_P12ihipStream_tbPNSt15iterator_traitsISK_E10value_typeEPNSQ_ISL_E10value_typeEPSM_NS1_7vsmem_tEENKUlT_SK_SL_SM_E_clISE_PxSF_SF_EESJ_SZ_SK_SL_SM_EUlSZ_E0_NS1_11comp_targetILNS1_3genE3ELNS1_11target_archE908ELNS1_3gpuE7ELNS1_3repE0EEENS1_38merge_mergepath_config_static_selectorELNS0_4arch9wavefront6targetE1EEEvSL_
	.p2align	8
	.type	_ZN7rocprim17ROCPRIM_400000_NS6detail17trampoline_kernelINS0_14default_configENS1_38merge_sort_block_merge_config_selectorIxNS0_10empty_typeEEEZZNS1_27merge_sort_block_merge_implIS3_N6thrust23THRUST_200600_302600_NS6detail15normal_iteratorINS9_10device_ptrIxEEEEPS5_jNS1_19radix_merge_compareILb0ELb0ExNS0_19identity_decomposerEEEEE10hipError_tT0_T1_T2_jT3_P12ihipStream_tbPNSt15iterator_traitsISK_E10value_typeEPNSQ_ISL_E10value_typeEPSM_NS1_7vsmem_tEENKUlT_SK_SL_SM_E_clISE_PxSF_SF_EESJ_SZ_SK_SL_SM_EUlSZ_E0_NS1_11comp_targetILNS1_3genE3ELNS1_11target_archE908ELNS1_3gpuE7ELNS1_3repE0EEENS1_38merge_mergepath_config_static_selectorELNS0_4arch9wavefront6targetE1EEEvSL_,@function
_ZN7rocprim17ROCPRIM_400000_NS6detail17trampoline_kernelINS0_14default_configENS1_38merge_sort_block_merge_config_selectorIxNS0_10empty_typeEEEZZNS1_27merge_sort_block_merge_implIS3_N6thrust23THRUST_200600_302600_NS6detail15normal_iteratorINS9_10device_ptrIxEEEEPS5_jNS1_19radix_merge_compareILb0ELb0ExNS0_19identity_decomposerEEEEE10hipError_tT0_T1_T2_jT3_P12ihipStream_tbPNSt15iterator_traitsISK_E10value_typeEPNSQ_ISL_E10value_typeEPSM_NS1_7vsmem_tEENKUlT_SK_SL_SM_E_clISE_PxSF_SF_EESJ_SZ_SK_SL_SM_EUlSZ_E0_NS1_11comp_targetILNS1_3genE3ELNS1_11target_archE908ELNS1_3gpuE7ELNS1_3repE0EEENS1_38merge_mergepath_config_static_selectorELNS0_4arch9wavefront6targetE1EEEvSL_: ; @_ZN7rocprim17ROCPRIM_400000_NS6detail17trampoline_kernelINS0_14default_configENS1_38merge_sort_block_merge_config_selectorIxNS0_10empty_typeEEEZZNS1_27merge_sort_block_merge_implIS3_N6thrust23THRUST_200600_302600_NS6detail15normal_iteratorINS9_10device_ptrIxEEEEPS5_jNS1_19radix_merge_compareILb0ELb0ExNS0_19identity_decomposerEEEEE10hipError_tT0_T1_T2_jT3_P12ihipStream_tbPNSt15iterator_traitsISK_E10value_typeEPNSQ_ISL_E10value_typeEPSM_NS1_7vsmem_tEENKUlT_SK_SL_SM_E_clISE_PxSF_SF_EESJ_SZ_SK_SL_SM_EUlSZ_E0_NS1_11comp_targetILNS1_3genE3ELNS1_11target_archE908ELNS1_3gpuE7ELNS1_3repE0EEENS1_38merge_mergepath_config_static_selectorELNS0_4arch9wavefront6targetE1EEEvSL_
; %bb.0:
	.section	.rodata,"a",@progbits
	.p2align	6, 0x0
	.amdhsa_kernel _ZN7rocprim17ROCPRIM_400000_NS6detail17trampoline_kernelINS0_14default_configENS1_38merge_sort_block_merge_config_selectorIxNS0_10empty_typeEEEZZNS1_27merge_sort_block_merge_implIS3_N6thrust23THRUST_200600_302600_NS6detail15normal_iteratorINS9_10device_ptrIxEEEEPS5_jNS1_19radix_merge_compareILb0ELb0ExNS0_19identity_decomposerEEEEE10hipError_tT0_T1_T2_jT3_P12ihipStream_tbPNSt15iterator_traitsISK_E10value_typeEPNSQ_ISL_E10value_typeEPSM_NS1_7vsmem_tEENKUlT_SK_SL_SM_E_clISE_PxSF_SF_EESJ_SZ_SK_SL_SM_EUlSZ_E0_NS1_11comp_targetILNS1_3genE3ELNS1_11target_archE908ELNS1_3gpuE7ELNS1_3repE0EEENS1_38merge_mergepath_config_static_selectorELNS0_4arch9wavefront6targetE1EEEvSL_
		.amdhsa_group_segment_fixed_size 0
		.amdhsa_private_segment_fixed_size 0
		.amdhsa_kernarg_size 64
		.amdhsa_user_sgpr_count 2
		.amdhsa_user_sgpr_dispatch_ptr 0
		.amdhsa_user_sgpr_queue_ptr 0
		.amdhsa_user_sgpr_kernarg_segment_ptr 1
		.amdhsa_user_sgpr_dispatch_id 0
		.amdhsa_user_sgpr_kernarg_preload_length 0
		.amdhsa_user_sgpr_kernarg_preload_offset 0
		.amdhsa_user_sgpr_private_segment_size 0
		.amdhsa_uses_dynamic_stack 0
		.amdhsa_enable_private_segment 0
		.amdhsa_system_sgpr_workgroup_id_x 1
		.amdhsa_system_sgpr_workgroup_id_y 0
		.amdhsa_system_sgpr_workgroup_id_z 0
		.amdhsa_system_sgpr_workgroup_info 0
		.amdhsa_system_vgpr_workitem_id 0
		.amdhsa_next_free_vgpr 1
		.amdhsa_next_free_sgpr 0
		.amdhsa_accum_offset 4
		.amdhsa_reserve_vcc 0
		.amdhsa_float_round_mode_32 0
		.amdhsa_float_round_mode_16_64 0
		.amdhsa_float_denorm_mode_32 3
		.amdhsa_float_denorm_mode_16_64 3
		.amdhsa_dx10_clamp 1
		.amdhsa_ieee_mode 1
		.amdhsa_fp16_overflow 0
		.amdhsa_tg_split 0
		.amdhsa_exception_fp_ieee_invalid_op 0
		.amdhsa_exception_fp_denorm_src 0
		.amdhsa_exception_fp_ieee_div_zero 0
		.amdhsa_exception_fp_ieee_overflow 0
		.amdhsa_exception_fp_ieee_underflow 0
		.amdhsa_exception_fp_ieee_inexact 0
		.amdhsa_exception_int_div_zero 0
	.end_amdhsa_kernel
	.section	.text._ZN7rocprim17ROCPRIM_400000_NS6detail17trampoline_kernelINS0_14default_configENS1_38merge_sort_block_merge_config_selectorIxNS0_10empty_typeEEEZZNS1_27merge_sort_block_merge_implIS3_N6thrust23THRUST_200600_302600_NS6detail15normal_iteratorINS9_10device_ptrIxEEEEPS5_jNS1_19radix_merge_compareILb0ELb0ExNS0_19identity_decomposerEEEEE10hipError_tT0_T1_T2_jT3_P12ihipStream_tbPNSt15iterator_traitsISK_E10value_typeEPNSQ_ISL_E10value_typeEPSM_NS1_7vsmem_tEENKUlT_SK_SL_SM_E_clISE_PxSF_SF_EESJ_SZ_SK_SL_SM_EUlSZ_E0_NS1_11comp_targetILNS1_3genE3ELNS1_11target_archE908ELNS1_3gpuE7ELNS1_3repE0EEENS1_38merge_mergepath_config_static_selectorELNS0_4arch9wavefront6targetE1EEEvSL_,"axG",@progbits,_ZN7rocprim17ROCPRIM_400000_NS6detail17trampoline_kernelINS0_14default_configENS1_38merge_sort_block_merge_config_selectorIxNS0_10empty_typeEEEZZNS1_27merge_sort_block_merge_implIS3_N6thrust23THRUST_200600_302600_NS6detail15normal_iteratorINS9_10device_ptrIxEEEEPS5_jNS1_19radix_merge_compareILb0ELb0ExNS0_19identity_decomposerEEEEE10hipError_tT0_T1_T2_jT3_P12ihipStream_tbPNSt15iterator_traitsISK_E10value_typeEPNSQ_ISL_E10value_typeEPSM_NS1_7vsmem_tEENKUlT_SK_SL_SM_E_clISE_PxSF_SF_EESJ_SZ_SK_SL_SM_EUlSZ_E0_NS1_11comp_targetILNS1_3genE3ELNS1_11target_archE908ELNS1_3gpuE7ELNS1_3repE0EEENS1_38merge_mergepath_config_static_selectorELNS0_4arch9wavefront6targetE1EEEvSL_,comdat
.Lfunc_end1446:
	.size	_ZN7rocprim17ROCPRIM_400000_NS6detail17trampoline_kernelINS0_14default_configENS1_38merge_sort_block_merge_config_selectorIxNS0_10empty_typeEEEZZNS1_27merge_sort_block_merge_implIS3_N6thrust23THRUST_200600_302600_NS6detail15normal_iteratorINS9_10device_ptrIxEEEEPS5_jNS1_19radix_merge_compareILb0ELb0ExNS0_19identity_decomposerEEEEE10hipError_tT0_T1_T2_jT3_P12ihipStream_tbPNSt15iterator_traitsISK_E10value_typeEPNSQ_ISL_E10value_typeEPSM_NS1_7vsmem_tEENKUlT_SK_SL_SM_E_clISE_PxSF_SF_EESJ_SZ_SK_SL_SM_EUlSZ_E0_NS1_11comp_targetILNS1_3genE3ELNS1_11target_archE908ELNS1_3gpuE7ELNS1_3repE0EEENS1_38merge_mergepath_config_static_selectorELNS0_4arch9wavefront6targetE1EEEvSL_, .Lfunc_end1446-_ZN7rocprim17ROCPRIM_400000_NS6detail17trampoline_kernelINS0_14default_configENS1_38merge_sort_block_merge_config_selectorIxNS0_10empty_typeEEEZZNS1_27merge_sort_block_merge_implIS3_N6thrust23THRUST_200600_302600_NS6detail15normal_iteratorINS9_10device_ptrIxEEEEPS5_jNS1_19radix_merge_compareILb0ELb0ExNS0_19identity_decomposerEEEEE10hipError_tT0_T1_T2_jT3_P12ihipStream_tbPNSt15iterator_traitsISK_E10value_typeEPNSQ_ISL_E10value_typeEPSM_NS1_7vsmem_tEENKUlT_SK_SL_SM_E_clISE_PxSF_SF_EESJ_SZ_SK_SL_SM_EUlSZ_E0_NS1_11comp_targetILNS1_3genE3ELNS1_11target_archE908ELNS1_3gpuE7ELNS1_3repE0EEENS1_38merge_mergepath_config_static_selectorELNS0_4arch9wavefront6targetE1EEEvSL_
                                        ; -- End function
	.section	.AMDGPU.csdata,"",@progbits
; Kernel info:
; codeLenInByte = 0
; NumSgprs: 6
; NumVgprs: 0
; NumAgprs: 0
; TotalNumVgprs: 0
; ScratchSize: 0
; MemoryBound: 0
; FloatMode: 240
; IeeeMode: 1
; LDSByteSize: 0 bytes/workgroup (compile time only)
; SGPRBlocks: 0
; VGPRBlocks: 0
; NumSGPRsForWavesPerEU: 6
; NumVGPRsForWavesPerEU: 1
; AccumOffset: 4
; Occupancy: 8
; WaveLimiterHint : 0
; COMPUTE_PGM_RSRC2:SCRATCH_EN: 0
; COMPUTE_PGM_RSRC2:USER_SGPR: 2
; COMPUTE_PGM_RSRC2:TRAP_HANDLER: 0
; COMPUTE_PGM_RSRC2:TGID_X_EN: 1
; COMPUTE_PGM_RSRC2:TGID_Y_EN: 0
; COMPUTE_PGM_RSRC2:TGID_Z_EN: 0
; COMPUTE_PGM_RSRC2:TIDIG_COMP_CNT: 0
; COMPUTE_PGM_RSRC3_GFX90A:ACCUM_OFFSET: 0
; COMPUTE_PGM_RSRC3_GFX90A:TG_SPLIT: 0
	.section	.text._ZN7rocprim17ROCPRIM_400000_NS6detail17trampoline_kernelINS0_14default_configENS1_38merge_sort_block_merge_config_selectorIxNS0_10empty_typeEEEZZNS1_27merge_sort_block_merge_implIS3_N6thrust23THRUST_200600_302600_NS6detail15normal_iteratorINS9_10device_ptrIxEEEEPS5_jNS1_19radix_merge_compareILb0ELb0ExNS0_19identity_decomposerEEEEE10hipError_tT0_T1_T2_jT3_P12ihipStream_tbPNSt15iterator_traitsISK_E10value_typeEPNSQ_ISL_E10value_typeEPSM_NS1_7vsmem_tEENKUlT_SK_SL_SM_E_clISE_PxSF_SF_EESJ_SZ_SK_SL_SM_EUlSZ_E0_NS1_11comp_targetILNS1_3genE2ELNS1_11target_archE906ELNS1_3gpuE6ELNS1_3repE0EEENS1_38merge_mergepath_config_static_selectorELNS0_4arch9wavefront6targetE1EEEvSL_,"axG",@progbits,_ZN7rocprim17ROCPRIM_400000_NS6detail17trampoline_kernelINS0_14default_configENS1_38merge_sort_block_merge_config_selectorIxNS0_10empty_typeEEEZZNS1_27merge_sort_block_merge_implIS3_N6thrust23THRUST_200600_302600_NS6detail15normal_iteratorINS9_10device_ptrIxEEEEPS5_jNS1_19radix_merge_compareILb0ELb0ExNS0_19identity_decomposerEEEEE10hipError_tT0_T1_T2_jT3_P12ihipStream_tbPNSt15iterator_traitsISK_E10value_typeEPNSQ_ISL_E10value_typeEPSM_NS1_7vsmem_tEENKUlT_SK_SL_SM_E_clISE_PxSF_SF_EESJ_SZ_SK_SL_SM_EUlSZ_E0_NS1_11comp_targetILNS1_3genE2ELNS1_11target_archE906ELNS1_3gpuE6ELNS1_3repE0EEENS1_38merge_mergepath_config_static_selectorELNS0_4arch9wavefront6targetE1EEEvSL_,comdat
	.protected	_ZN7rocprim17ROCPRIM_400000_NS6detail17trampoline_kernelINS0_14default_configENS1_38merge_sort_block_merge_config_selectorIxNS0_10empty_typeEEEZZNS1_27merge_sort_block_merge_implIS3_N6thrust23THRUST_200600_302600_NS6detail15normal_iteratorINS9_10device_ptrIxEEEEPS5_jNS1_19radix_merge_compareILb0ELb0ExNS0_19identity_decomposerEEEEE10hipError_tT0_T1_T2_jT3_P12ihipStream_tbPNSt15iterator_traitsISK_E10value_typeEPNSQ_ISL_E10value_typeEPSM_NS1_7vsmem_tEENKUlT_SK_SL_SM_E_clISE_PxSF_SF_EESJ_SZ_SK_SL_SM_EUlSZ_E0_NS1_11comp_targetILNS1_3genE2ELNS1_11target_archE906ELNS1_3gpuE6ELNS1_3repE0EEENS1_38merge_mergepath_config_static_selectorELNS0_4arch9wavefront6targetE1EEEvSL_ ; -- Begin function _ZN7rocprim17ROCPRIM_400000_NS6detail17trampoline_kernelINS0_14default_configENS1_38merge_sort_block_merge_config_selectorIxNS0_10empty_typeEEEZZNS1_27merge_sort_block_merge_implIS3_N6thrust23THRUST_200600_302600_NS6detail15normal_iteratorINS9_10device_ptrIxEEEEPS5_jNS1_19radix_merge_compareILb0ELb0ExNS0_19identity_decomposerEEEEE10hipError_tT0_T1_T2_jT3_P12ihipStream_tbPNSt15iterator_traitsISK_E10value_typeEPNSQ_ISL_E10value_typeEPSM_NS1_7vsmem_tEENKUlT_SK_SL_SM_E_clISE_PxSF_SF_EESJ_SZ_SK_SL_SM_EUlSZ_E0_NS1_11comp_targetILNS1_3genE2ELNS1_11target_archE906ELNS1_3gpuE6ELNS1_3repE0EEENS1_38merge_mergepath_config_static_selectorELNS0_4arch9wavefront6targetE1EEEvSL_
	.globl	_ZN7rocprim17ROCPRIM_400000_NS6detail17trampoline_kernelINS0_14default_configENS1_38merge_sort_block_merge_config_selectorIxNS0_10empty_typeEEEZZNS1_27merge_sort_block_merge_implIS3_N6thrust23THRUST_200600_302600_NS6detail15normal_iteratorINS9_10device_ptrIxEEEEPS5_jNS1_19radix_merge_compareILb0ELb0ExNS0_19identity_decomposerEEEEE10hipError_tT0_T1_T2_jT3_P12ihipStream_tbPNSt15iterator_traitsISK_E10value_typeEPNSQ_ISL_E10value_typeEPSM_NS1_7vsmem_tEENKUlT_SK_SL_SM_E_clISE_PxSF_SF_EESJ_SZ_SK_SL_SM_EUlSZ_E0_NS1_11comp_targetILNS1_3genE2ELNS1_11target_archE906ELNS1_3gpuE6ELNS1_3repE0EEENS1_38merge_mergepath_config_static_selectorELNS0_4arch9wavefront6targetE1EEEvSL_
	.p2align	8
	.type	_ZN7rocprim17ROCPRIM_400000_NS6detail17trampoline_kernelINS0_14default_configENS1_38merge_sort_block_merge_config_selectorIxNS0_10empty_typeEEEZZNS1_27merge_sort_block_merge_implIS3_N6thrust23THRUST_200600_302600_NS6detail15normal_iteratorINS9_10device_ptrIxEEEEPS5_jNS1_19radix_merge_compareILb0ELb0ExNS0_19identity_decomposerEEEEE10hipError_tT0_T1_T2_jT3_P12ihipStream_tbPNSt15iterator_traitsISK_E10value_typeEPNSQ_ISL_E10value_typeEPSM_NS1_7vsmem_tEENKUlT_SK_SL_SM_E_clISE_PxSF_SF_EESJ_SZ_SK_SL_SM_EUlSZ_E0_NS1_11comp_targetILNS1_3genE2ELNS1_11target_archE906ELNS1_3gpuE6ELNS1_3repE0EEENS1_38merge_mergepath_config_static_selectorELNS0_4arch9wavefront6targetE1EEEvSL_,@function
_ZN7rocprim17ROCPRIM_400000_NS6detail17trampoline_kernelINS0_14default_configENS1_38merge_sort_block_merge_config_selectorIxNS0_10empty_typeEEEZZNS1_27merge_sort_block_merge_implIS3_N6thrust23THRUST_200600_302600_NS6detail15normal_iteratorINS9_10device_ptrIxEEEEPS5_jNS1_19radix_merge_compareILb0ELb0ExNS0_19identity_decomposerEEEEE10hipError_tT0_T1_T2_jT3_P12ihipStream_tbPNSt15iterator_traitsISK_E10value_typeEPNSQ_ISL_E10value_typeEPSM_NS1_7vsmem_tEENKUlT_SK_SL_SM_E_clISE_PxSF_SF_EESJ_SZ_SK_SL_SM_EUlSZ_E0_NS1_11comp_targetILNS1_3genE2ELNS1_11target_archE906ELNS1_3gpuE6ELNS1_3repE0EEENS1_38merge_mergepath_config_static_selectorELNS0_4arch9wavefront6targetE1EEEvSL_: ; @_ZN7rocprim17ROCPRIM_400000_NS6detail17trampoline_kernelINS0_14default_configENS1_38merge_sort_block_merge_config_selectorIxNS0_10empty_typeEEEZZNS1_27merge_sort_block_merge_implIS3_N6thrust23THRUST_200600_302600_NS6detail15normal_iteratorINS9_10device_ptrIxEEEEPS5_jNS1_19radix_merge_compareILb0ELb0ExNS0_19identity_decomposerEEEEE10hipError_tT0_T1_T2_jT3_P12ihipStream_tbPNSt15iterator_traitsISK_E10value_typeEPNSQ_ISL_E10value_typeEPSM_NS1_7vsmem_tEENKUlT_SK_SL_SM_E_clISE_PxSF_SF_EESJ_SZ_SK_SL_SM_EUlSZ_E0_NS1_11comp_targetILNS1_3genE2ELNS1_11target_archE906ELNS1_3gpuE6ELNS1_3repE0EEENS1_38merge_mergepath_config_static_selectorELNS0_4arch9wavefront6targetE1EEEvSL_
; %bb.0:
	.section	.rodata,"a",@progbits
	.p2align	6, 0x0
	.amdhsa_kernel _ZN7rocprim17ROCPRIM_400000_NS6detail17trampoline_kernelINS0_14default_configENS1_38merge_sort_block_merge_config_selectorIxNS0_10empty_typeEEEZZNS1_27merge_sort_block_merge_implIS3_N6thrust23THRUST_200600_302600_NS6detail15normal_iteratorINS9_10device_ptrIxEEEEPS5_jNS1_19radix_merge_compareILb0ELb0ExNS0_19identity_decomposerEEEEE10hipError_tT0_T1_T2_jT3_P12ihipStream_tbPNSt15iterator_traitsISK_E10value_typeEPNSQ_ISL_E10value_typeEPSM_NS1_7vsmem_tEENKUlT_SK_SL_SM_E_clISE_PxSF_SF_EESJ_SZ_SK_SL_SM_EUlSZ_E0_NS1_11comp_targetILNS1_3genE2ELNS1_11target_archE906ELNS1_3gpuE6ELNS1_3repE0EEENS1_38merge_mergepath_config_static_selectorELNS0_4arch9wavefront6targetE1EEEvSL_
		.amdhsa_group_segment_fixed_size 0
		.amdhsa_private_segment_fixed_size 0
		.amdhsa_kernarg_size 64
		.amdhsa_user_sgpr_count 2
		.amdhsa_user_sgpr_dispatch_ptr 0
		.amdhsa_user_sgpr_queue_ptr 0
		.amdhsa_user_sgpr_kernarg_segment_ptr 1
		.amdhsa_user_sgpr_dispatch_id 0
		.amdhsa_user_sgpr_kernarg_preload_length 0
		.amdhsa_user_sgpr_kernarg_preload_offset 0
		.amdhsa_user_sgpr_private_segment_size 0
		.amdhsa_uses_dynamic_stack 0
		.amdhsa_enable_private_segment 0
		.amdhsa_system_sgpr_workgroup_id_x 1
		.amdhsa_system_sgpr_workgroup_id_y 0
		.amdhsa_system_sgpr_workgroup_id_z 0
		.amdhsa_system_sgpr_workgroup_info 0
		.amdhsa_system_vgpr_workitem_id 0
		.amdhsa_next_free_vgpr 1
		.amdhsa_next_free_sgpr 0
		.amdhsa_accum_offset 4
		.amdhsa_reserve_vcc 0
		.amdhsa_float_round_mode_32 0
		.amdhsa_float_round_mode_16_64 0
		.amdhsa_float_denorm_mode_32 3
		.amdhsa_float_denorm_mode_16_64 3
		.amdhsa_dx10_clamp 1
		.amdhsa_ieee_mode 1
		.amdhsa_fp16_overflow 0
		.amdhsa_tg_split 0
		.amdhsa_exception_fp_ieee_invalid_op 0
		.amdhsa_exception_fp_denorm_src 0
		.amdhsa_exception_fp_ieee_div_zero 0
		.amdhsa_exception_fp_ieee_overflow 0
		.amdhsa_exception_fp_ieee_underflow 0
		.amdhsa_exception_fp_ieee_inexact 0
		.amdhsa_exception_int_div_zero 0
	.end_amdhsa_kernel
	.section	.text._ZN7rocprim17ROCPRIM_400000_NS6detail17trampoline_kernelINS0_14default_configENS1_38merge_sort_block_merge_config_selectorIxNS0_10empty_typeEEEZZNS1_27merge_sort_block_merge_implIS3_N6thrust23THRUST_200600_302600_NS6detail15normal_iteratorINS9_10device_ptrIxEEEEPS5_jNS1_19radix_merge_compareILb0ELb0ExNS0_19identity_decomposerEEEEE10hipError_tT0_T1_T2_jT3_P12ihipStream_tbPNSt15iterator_traitsISK_E10value_typeEPNSQ_ISL_E10value_typeEPSM_NS1_7vsmem_tEENKUlT_SK_SL_SM_E_clISE_PxSF_SF_EESJ_SZ_SK_SL_SM_EUlSZ_E0_NS1_11comp_targetILNS1_3genE2ELNS1_11target_archE906ELNS1_3gpuE6ELNS1_3repE0EEENS1_38merge_mergepath_config_static_selectorELNS0_4arch9wavefront6targetE1EEEvSL_,"axG",@progbits,_ZN7rocprim17ROCPRIM_400000_NS6detail17trampoline_kernelINS0_14default_configENS1_38merge_sort_block_merge_config_selectorIxNS0_10empty_typeEEEZZNS1_27merge_sort_block_merge_implIS3_N6thrust23THRUST_200600_302600_NS6detail15normal_iteratorINS9_10device_ptrIxEEEEPS5_jNS1_19radix_merge_compareILb0ELb0ExNS0_19identity_decomposerEEEEE10hipError_tT0_T1_T2_jT3_P12ihipStream_tbPNSt15iterator_traitsISK_E10value_typeEPNSQ_ISL_E10value_typeEPSM_NS1_7vsmem_tEENKUlT_SK_SL_SM_E_clISE_PxSF_SF_EESJ_SZ_SK_SL_SM_EUlSZ_E0_NS1_11comp_targetILNS1_3genE2ELNS1_11target_archE906ELNS1_3gpuE6ELNS1_3repE0EEENS1_38merge_mergepath_config_static_selectorELNS0_4arch9wavefront6targetE1EEEvSL_,comdat
.Lfunc_end1447:
	.size	_ZN7rocprim17ROCPRIM_400000_NS6detail17trampoline_kernelINS0_14default_configENS1_38merge_sort_block_merge_config_selectorIxNS0_10empty_typeEEEZZNS1_27merge_sort_block_merge_implIS3_N6thrust23THRUST_200600_302600_NS6detail15normal_iteratorINS9_10device_ptrIxEEEEPS5_jNS1_19radix_merge_compareILb0ELb0ExNS0_19identity_decomposerEEEEE10hipError_tT0_T1_T2_jT3_P12ihipStream_tbPNSt15iterator_traitsISK_E10value_typeEPNSQ_ISL_E10value_typeEPSM_NS1_7vsmem_tEENKUlT_SK_SL_SM_E_clISE_PxSF_SF_EESJ_SZ_SK_SL_SM_EUlSZ_E0_NS1_11comp_targetILNS1_3genE2ELNS1_11target_archE906ELNS1_3gpuE6ELNS1_3repE0EEENS1_38merge_mergepath_config_static_selectorELNS0_4arch9wavefront6targetE1EEEvSL_, .Lfunc_end1447-_ZN7rocprim17ROCPRIM_400000_NS6detail17trampoline_kernelINS0_14default_configENS1_38merge_sort_block_merge_config_selectorIxNS0_10empty_typeEEEZZNS1_27merge_sort_block_merge_implIS3_N6thrust23THRUST_200600_302600_NS6detail15normal_iteratorINS9_10device_ptrIxEEEEPS5_jNS1_19radix_merge_compareILb0ELb0ExNS0_19identity_decomposerEEEEE10hipError_tT0_T1_T2_jT3_P12ihipStream_tbPNSt15iterator_traitsISK_E10value_typeEPNSQ_ISL_E10value_typeEPSM_NS1_7vsmem_tEENKUlT_SK_SL_SM_E_clISE_PxSF_SF_EESJ_SZ_SK_SL_SM_EUlSZ_E0_NS1_11comp_targetILNS1_3genE2ELNS1_11target_archE906ELNS1_3gpuE6ELNS1_3repE0EEENS1_38merge_mergepath_config_static_selectorELNS0_4arch9wavefront6targetE1EEEvSL_
                                        ; -- End function
	.section	.AMDGPU.csdata,"",@progbits
; Kernel info:
; codeLenInByte = 0
; NumSgprs: 6
; NumVgprs: 0
; NumAgprs: 0
; TotalNumVgprs: 0
; ScratchSize: 0
; MemoryBound: 0
; FloatMode: 240
; IeeeMode: 1
; LDSByteSize: 0 bytes/workgroup (compile time only)
; SGPRBlocks: 0
; VGPRBlocks: 0
; NumSGPRsForWavesPerEU: 6
; NumVGPRsForWavesPerEU: 1
; AccumOffset: 4
; Occupancy: 8
; WaveLimiterHint : 0
; COMPUTE_PGM_RSRC2:SCRATCH_EN: 0
; COMPUTE_PGM_RSRC2:USER_SGPR: 2
; COMPUTE_PGM_RSRC2:TRAP_HANDLER: 0
; COMPUTE_PGM_RSRC2:TGID_X_EN: 1
; COMPUTE_PGM_RSRC2:TGID_Y_EN: 0
; COMPUTE_PGM_RSRC2:TGID_Z_EN: 0
; COMPUTE_PGM_RSRC2:TIDIG_COMP_CNT: 0
; COMPUTE_PGM_RSRC3_GFX90A:ACCUM_OFFSET: 0
; COMPUTE_PGM_RSRC3_GFX90A:TG_SPLIT: 0
	.section	.text._ZN7rocprim17ROCPRIM_400000_NS6detail17trampoline_kernelINS0_14default_configENS1_38merge_sort_block_merge_config_selectorIxNS0_10empty_typeEEEZZNS1_27merge_sort_block_merge_implIS3_N6thrust23THRUST_200600_302600_NS6detail15normal_iteratorINS9_10device_ptrIxEEEEPS5_jNS1_19radix_merge_compareILb0ELb0ExNS0_19identity_decomposerEEEEE10hipError_tT0_T1_T2_jT3_P12ihipStream_tbPNSt15iterator_traitsISK_E10value_typeEPNSQ_ISL_E10value_typeEPSM_NS1_7vsmem_tEENKUlT_SK_SL_SM_E_clISE_PxSF_SF_EESJ_SZ_SK_SL_SM_EUlSZ_E0_NS1_11comp_targetILNS1_3genE9ELNS1_11target_archE1100ELNS1_3gpuE3ELNS1_3repE0EEENS1_38merge_mergepath_config_static_selectorELNS0_4arch9wavefront6targetE1EEEvSL_,"axG",@progbits,_ZN7rocprim17ROCPRIM_400000_NS6detail17trampoline_kernelINS0_14default_configENS1_38merge_sort_block_merge_config_selectorIxNS0_10empty_typeEEEZZNS1_27merge_sort_block_merge_implIS3_N6thrust23THRUST_200600_302600_NS6detail15normal_iteratorINS9_10device_ptrIxEEEEPS5_jNS1_19radix_merge_compareILb0ELb0ExNS0_19identity_decomposerEEEEE10hipError_tT0_T1_T2_jT3_P12ihipStream_tbPNSt15iterator_traitsISK_E10value_typeEPNSQ_ISL_E10value_typeEPSM_NS1_7vsmem_tEENKUlT_SK_SL_SM_E_clISE_PxSF_SF_EESJ_SZ_SK_SL_SM_EUlSZ_E0_NS1_11comp_targetILNS1_3genE9ELNS1_11target_archE1100ELNS1_3gpuE3ELNS1_3repE0EEENS1_38merge_mergepath_config_static_selectorELNS0_4arch9wavefront6targetE1EEEvSL_,comdat
	.protected	_ZN7rocprim17ROCPRIM_400000_NS6detail17trampoline_kernelINS0_14default_configENS1_38merge_sort_block_merge_config_selectorIxNS0_10empty_typeEEEZZNS1_27merge_sort_block_merge_implIS3_N6thrust23THRUST_200600_302600_NS6detail15normal_iteratorINS9_10device_ptrIxEEEEPS5_jNS1_19radix_merge_compareILb0ELb0ExNS0_19identity_decomposerEEEEE10hipError_tT0_T1_T2_jT3_P12ihipStream_tbPNSt15iterator_traitsISK_E10value_typeEPNSQ_ISL_E10value_typeEPSM_NS1_7vsmem_tEENKUlT_SK_SL_SM_E_clISE_PxSF_SF_EESJ_SZ_SK_SL_SM_EUlSZ_E0_NS1_11comp_targetILNS1_3genE9ELNS1_11target_archE1100ELNS1_3gpuE3ELNS1_3repE0EEENS1_38merge_mergepath_config_static_selectorELNS0_4arch9wavefront6targetE1EEEvSL_ ; -- Begin function _ZN7rocprim17ROCPRIM_400000_NS6detail17trampoline_kernelINS0_14default_configENS1_38merge_sort_block_merge_config_selectorIxNS0_10empty_typeEEEZZNS1_27merge_sort_block_merge_implIS3_N6thrust23THRUST_200600_302600_NS6detail15normal_iteratorINS9_10device_ptrIxEEEEPS5_jNS1_19radix_merge_compareILb0ELb0ExNS0_19identity_decomposerEEEEE10hipError_tT0_T1_T2_jT3_P12ihipStream_tbPNSt15iterator_traitsISK_E10value_typeEPNSQ_ISL_E10value_typeEPSM_NS1_7vsmem_tEENKUlT_SK_SL_SM_E_clISE_PxSF_SF_EESJ_SZ_SK_SL_SM_EUlSZ_E0_NS1_11comp_targetILNS1_3genE9ELNS1_11target_archE1100ELNS1_3gpuE3ELNS1_3repE0EEENS1_38merge_mergepath_config_static_selectorELNS0_4arch9wavefront6targetE1EEEvSL_
	.globl	_ZN7rocprim17ROCPRIM_400000_NS6detail17trampoline_kernelINS0_14default_configENS1_38merge_sort_block_merge_config_selectorIxNS0_10empty_typeEEEZZNS1_27merge_sort_block_merge_implIS3_N6thrust23THRUST_200600_302600_NS6detail15normal_iteratorINS9_10device_ptrIxEEEEPS5_jNS1_19radix_merge_compareILb0ELb0ExNS0_19identity_decomposerEEEEE10hipError_tT0_T1_T2_jT3_P12ihipStream_tbPNSt15iterator_traitsISK_E10value_typeEPNSQ_ISL_E10value_typeEPSM_NS1_7vsmem_tEENKUlT_SK_SL_SM_E_clISE_PxSF_SF_EESJ_SZ_SK_SL_SM_EUlSZ_E0_NS1_11comp_targetILNS1_3genE9ELNS1_11target_archE1100ELNS1_3gpuE3ELNS1_3repE0EEENS1_38merge_mergepath_config_static_selectorELNS0_4arch9wavefront6targetE1EEEvSL_
	.p2align	8
	.type	_ZN7rocprim17ROCPRIM_400000_NS6detail17trampoline_kernelINS0_14default_configENS1_38merge_sort_block_merge_config_selectorIxNS0_10empty_typeEEEZZNS1_27merge_sort_block_merge_implIS3_N6thrust23THRUST_200600_302600_NS6detail15normal_iteratorINS9_10device_ptrIxEEEEPS5_jNS1_19radix_merge_compareILb0ELb0ExNS0_19identity_decomposerEEEEE10hipError_tT0_T1_T2_jT3_P12ihipStream_tbPNSt15iterator_traitsISK_E10value_typeEPNSQ_ISL_E10value_typeEPSM_NS1_7vsmem_tEENKUlT_SK_SL_SM_E_clISE_PxSF_SF_EESJ_SZ_SK_SL_SM_EUlSZ_E0_NS1_11comp_targetILNS1_3genE9ELNS1_11target_archE1100ELNS1_3gpuE3ELNS1_3repE0EEENS1_38merge_mergepath_config_static_selectorELNS0_4arch9wavefront6targetE1EEEvSL_,@function
_ZN7rocprim17ROCPRIM_400000_NS6detail17trampoline_kernelINS0_14default_configENS1_38merge_sort_block_merge_config_selectorIxNS0_10empty_typeEEEZZNS1_27merge_sort_block_merge_implIS3_N6thrust23THRUST_200600_302600_NS6detail15normal_iteratorINS9_10device_ptrIxEEEEPS5_jNS1_19radix_merge_compareILb0ELb0ExNS0_19identity_decomposerEEEEE10hipError_tT0_T1_T2_jT3_P12ihipStream_tbPNSt15iterator_traitsISK_E10value_typeEPNSQ_ISL_E10value_typeEPSM_NS1_7vsmem_tEENKUlT_SK_SL_SM_E_clISE_PxSF_SF_EESJ_SZ_SK_SL_SM_EUlSZ_E0_NS1_11comp_targetILNS1_3genE9ELNS1_11target_archE1100ELNS1_3gpuE3ELNS1_3repE0EEENS1_38merge_mergepath_config_static_selectorELNS0_4arch9wavefront6targetE1EEEvSL_: ; @_ZN7rocprim17ROCPRIM_400000_NS6detail17trampoline_kernelINS0_14default_configENS1_38merge_sort_block_merge_config_selectorIxNS0_10empty_typeEEEZZNS1_27merge_sort_block_merge_implIS3_N6thrust23THRUST_200600_302600_NS6detail15normal_iteratorINS9_10device_ptrIxEEEEPS5_jNS1_19radix_merge_compareILb0ELb0ExNS0_19identity_decomposerEEEEE10hipError_tT0_T1_T2_jT3_P12ihipStream_tbPNSt15iterator_traitsISK_E10value_typeEPNSQ_ISL_E10value_typeEPSM_NS1_7vsmem_tEENKUlT_SK_SL_SM_E_clISE_PxSF_SF_EESJ_SZ_SK_SL_SM_EUlSZ_E0_NS1_11comp_targetILNS1_3genE9ELNS1_11target_archE1100ELNS1_3gpuE3ELNS1_3repE0EEENS1_38merge_mergepath_config_static_selectorELNS0_4arch9wavefront6targetE1EEEvSL_
; %bb.0:
	.section	.rodata,"a",@progbits
	.p2align	6, 0x0
	.amdhsa_kernel _ZN7rocprim17ROCPRIM_400000_NS6detail17trampoline_kernelINS0_14default_configENS1_38merge_sort_block_merge_config_selectorIxNS0_10empty_typeEEEZZNS1_27merge_sort_block_merge_implIS3_N6thrust23THRUST_200600_302600_NS6detail15normal_iteratorINS9_10device_ptrIxEEEEPS5_jNS1_19radix_merge_compareILb0ELb0ExNS0_19identity_decomposerEEEEE10hipError_tT0_T1_T2_jT3_P12ihipStream_tbPNSt15iterator_traitsISK_E10value_typeEPNSQ_ISL_E10value_typeEPSM_NS1_7vsmem_tEENKUlT_SK_SL_SM_E_clISE_PxSF_SF_EESJ_SZ_SK_SL_SM_EUlSZ_E0_NS1_11comp_targetILNS1_3genE9ELNS1_11target_archE1100ELNS1_3gpuE3ELNS1_3repE0EEENS1_38merge_mergepath_config_static_selectorELNS0_4arch9wavefront6targetE1EEEvSL_
		.amdhsa_group_segment_fixed_size 0
		.amdhsa_private_segment_fixed_size 0
		.amdhsa_kernarg_size 64
		.amdhsa_user_sgpr_count 2
		.amdhsa_user_sgpr_dispatch_ptr 0
		.amdhsa_user_sgpr_queue_ptr 0
		.amdhsa_user_sgpr_kernarg_segment_ptr 1
		.amdhsa_user_sgpr_dispatch_id 0
		.amdhsa_user_sgpr_kernarg_preload_length 0
		.amdhsa_user_sgpr_kernarg_preload_offset 0
		.amdhsa_user_sgpr_private_segment_size 0
		.amdhsa_uses_dynamic_stack 0
		.amdhsa_enable_private_segment 0
		.amdhsa_system_sgpr_workgroup_id_x 1
		.amdhsa_system_sgpr_workgroup_id_y 0
		.amdhsa_system_sgpr_workgroup_id_z 0
		.amdhsa_system_sgpr_workgroup_info 0
		.amdhsa_system_vgpr_workitem_id 0
		.amdhsa_next_free_vgpr 1
		.amdhsa_next_free_sgpr 0
		.amdhsa_accum_offset 4
		.amdhsa_reserve_vcc 0
		.amdhsa_float_round_mode_32 0
		.amdhsa_float_round_mode_16_64 0
		.amdhsa_float_denorm_mode_32 3
		.amdhsa_float_denorm_mode_16_64 3
		.amdhsa_dx10_clamp 1
		.amdhsa_ieee_mode 1
		.amdhsa_fp16_overflow 0
		.amdhsa_tg_split 0
		.amdhsa_exception_fp_ieee_invalid_op 0
		.amdhsa_exception_fp_denorm_src 0
		.amdhsa_exception_fp_ieee_div_zero 0
		.amdhsa_exception_fp_ieee_overflow 0
		.amdhsa_exception_fp_ieee_underflow 0
		.amdhsa_exception_fp_ieee_inexact 0
		.amdhsa_exception_int_div_zero 0
	.end_amdhsa_kernel
	.section	.text._ZN7rocprim17ROCPRIM_400000_NS6detail17trampoline_kernelINS0_14default_configENS1_38merge_sort_block_merge_config_selectorIxNS0_10empty_typeEEEZZNS1_27merge_sort_block_merge_implIS3_N6thrust23THRUST_200600_302600_NS6detail15normal_iteratorINS9_10device_ptrIxEEEEPS5_jNS1_19radix_merge_compareILb0ELb0ExNS0_19identity_decomposerEEEEE10hipError_tT0_T1_T2_jT3_P12ihipStream_tbPNSt15iterator_traitsISK_E10value_typeEPNSQ_ISL_E10value_typeEPSM_NS1_7vsmem_tEENKUlT_SK_SL_SM_E_clISE_PxSF_SF_EESJ_SZ_SK_SL_SM_EUlSZ_E0_NS1_11comp_targetILNS1_3genE9ELNS1_11target_archE1100ELNS1_3gpuE3ELNS1_3repE0EEENS1_38merge_mergepath_config_static_selectorELNS0_4arch9wavefront6targetE1EEEvSL_,"axG",@progbits,_ZN7rocprim17ROCPRIM_400000_NS6detail17trampoline_kernelINS0_14default_configENS1_38merge_sort_block_merge_config_selectorIxNS0_10empty_typeEEEZZNS1_27merge_sort_block_merge_implIS3_N6thrust23THRUST_200600_302600_NS6detail15normal_iteratorINS9_10device_ptrIxEEEEPS5_jNS1_19radix_merge_compareILb0ELb0ExNS0_19identity_decomposerEEEEE10hipError_tT0_T1_T2_jT3_P12ihipStream_tbPNSt15iterator_traitsISK_E10value_typeEPNSQ_ISL_E10value_typeEPSM_NS1_7vsmem_tEENKUlT_SK_SL_SM_E_clISE_PxSF_SF_EESJ_SZ_SK_SL_SM_EUlSZ_E0_NS1_11comp_targetILNS1_3genE9ELNS1_11target_archE1100ELNS1_3gpuE3ELNS1_3repE0EEENS1_38merge_mergepath_config_static_selectorELNS0_4arch9wavefront6targetE1EEEvSL_,comdat
.Lfunc_end1448:
	.size	_ZN7rocprim17ROCPRIM_400000_NS6detail17trampoline_kernelINS0_14default_configENS1_38merge_sort_block_merge_config_selectorIxNS0_10empty_typeEEEZZNS1_27merge_sort_block_merge_implIS3_N6thrust23THRUST_200600_302600_NS6detail15normal_iteratorINS9_10device_ptrIxEEEEPS5_jNS1_19radix_merge_compareILb0ELb0ExNS0_19identity_decomposerEEEEE10hipError_tT0_T1_T2_jT3_P12ihipStream_tbPNSt15iterator_traitsISK_E10value_typeEPNSQ_ISL_E10value_typeEPSM_NS1_7vsmem_tEENKUlT_SK_SL_SM_E_clISE_PxSF_SF_EESJ_SZ_SK_SL_SM_EUlSZ_E0_NS1_11comp_targetILNS1_3genE9ELNS1_11target_archE1100ELNS1_3gpuE3ELNS1_3repE0EEENS1_38merge_mergepath_config_static_selectorELNS0_4arch9wavefront6targetE1EEEvSL_, .Lfunc_end1448-_ZN7rocprim17ROCPRIM_400000_NS6detail17trampoline_kernelINS0_14default_configENS1_38merge_sort_block_merge_config_selectorIxNS0_10empty_typeEEEZZNS1_27merge_sort_block_merge_implIS3_N6thrust23THRUST_200600_302600_NS6detail15normal_iteratorINS9_10device_ptrIxEEEEPS5_jNS1_19radix_merge_compareILb0ELb0ExNS0_19identity_decomposerEEEEE10hipError_tT0_T1_T2_jT3_P12ihipStream_tbPNSt15iterator_traitsISK_E10value_typeEPNSQ_ISL_E10value_typeEPSM_NS1_7vsmem_tEENKUlT_SK_SL_SM_E_clISE_PxSF_SF_EESJ_SZ_SK_SL_SM_EUlSZ_E0_NS1_11comp_targetILNS1_3genE9ELNS1_11target_archE1100ELNS1_3gpuE3ELNS1_3repE0EEENS1_38merge_mergepath_config_static_selectorELNS0_4arch9wavefront6targetE1EEEvSL_
                                        ; -- End function
	.section	.AMDGPU.csdata,"",@progbits
; Kernel info:
; codeLenInByte = 0
; NumSgprs: 6
; NumVgprs: 0
; NumAgprs: 0
; TotalNumVgprs: 0
; ScratchSize: 0
; MemoryBound: 0
; FloatMode: 240
; IeeeMode: 1
; LDSByteSize: 0 bytes/workgroup (compile time only)
; SGPRBlocks: 0
; VGPRBlocks: 0
; NumSGPRsForWavesPerEU: 6
; NumVGPRsForWavesPerEU: 1
; AccumOffset: 4
; Occupancy: 8
; WaveLimiterHint : 0
; COMPUTE_PGM_RSRC2:SCRATCH_EN: 0
; COMPUTE_PGM_RSRC2:USER_SGPR: 2
; COMPUTE_PGM_RSRC2:TRAP_HANDLER: 0
; COMPUTE_PGM_RSRC2:TGID_X_EN: 1
; COMPUTE_PGM_RSRC2:TGID_Y_EN: 0
; COMPUTE_PGM_RSRC2:TGID_Z_EN: 0
; COMPUTE_PGM_RSRC2:TIDIG_COMP_CNT: 0
; COMPUTE_PGM_RSRC3_GFX90A:ACCUM_OFFSET: 0
; COMPUTE_PGM_RSRC3_GFX90A:TG_SPLIT: 0
	.section	.text._ZN7rocprim17ROCPRIM_400000_NS6detail17trampoline_kernelINS0_14default_configENS1_38merge_sort_block_merge_config_selectorIxNS0_10empty_typeEEEZZNS1_27merge_sort_block_merge_implIS3_N6thrust23THRUST_200600_302600_NS6detail15normal_iteratorINS9_10device_ptrIxEEEEPS5_jNS1_19radix_merge_compareILb0ELb0ExNS0_19identity_decomposerEEEEE10hipError_tT0_T1_T2_jT3_P12ihipStream_tbPNSt15iterator_traitsISK_E10value_typeEPNSQ_ISL_E10value_typeEPSM_NS1_7vsmem_tEENKUlT_SK_SL_SM_E_clISE_PxSF_SF_EESJ_SZ_SK_SL_SM_EUlSZ_E0_NS1_11comp_targetILNS1_3genE8ELNS1_11target_archE1030ELNS1_3gpuE2ELNS1_3repE0EEENS1_38merge_mergepath_config_static_selectorELNS0_4arch9wavefront6targetE1EEEvSL_,"axG",@progbits,_ZN7rocprim17ROCPRIM_400000_NS6detail17trampoline_kernelINS0_14default_configENS1_38merge_sort_block_merge_config_selectorIxNS0_10empty_typeEEEZZNS1_27merge_sort_block_merge_implIS3_N6thrust23THRUST_200600_302600_NS6detail15normal_iteratorINS9_10device_ptrIxEEEEPS5_jNS1_19radix_merge_compareILb0ELb0ExNS0_19identity_decomposerEEEEE10hipError_tT0_T1_T2_jT3_P12ihipStream_tbPNSt15iterator_traitsISK_E10value_typeEPNSQ_ISL_E10value_typeEPSM_NS1_7vsmem_tEENKUlT_SK_SL_SM_E_clISE_PxSF_SF_EESJ_SZ_SK_SL_SM_EUlSZ_E0_NS1_11comp_targetILNS1_3genE8ELNS1_11target_archE1030ELNS1_3gpuE2ELNS1_3repE0EEENS1_38merge_mergepath_config_static_selectorELNS0_4arch9wavefront6targetE1EEEvSL_,comdat
	.protected	_ZN7rocprim17ROCPRIM_400000_NS6detail17trampoline_kernelINS0_14default_configENS1_38merge_sort_block_merge_config_selectorIxNS0_10empty_typeEEEZZNS1_27merge_sort_block_merge_implIS3_N6thrust23THRUST_200600_302600_NS6detail15normal_iteratorINS9_10device_ptrIxEEEEPS5_jNS1_19radix_merge_compareILb0ELb0ExNS0_19identity_decomposerEEEEE10hipError_tT0_T1_T2_jT3_P12ihipStream_tbPNSt15iterator_traitsISK_E10value_typeEPNSQ_ISL_E10value_typeEPSM_NS1_7vsmem_tEENKUlT_SK_SL_SM_E_clISE_PxSF_SF_EESJ_SZ_SK_SL_SM_EUlSZ_E0_NS1_11comp_targetILNS1_3genE8ELNS1_11target_archE1030ELNS1_3gpuE2ELNS1_3repE0EEENS1_38merge_mergepath_config_static_selectorELNS0_4arch9wavefront6targetE1EEEvSL_ ; -- Begin function _ZN7rocprim17ROCPRIM_400000_NS6detail17trampoline_kernelINS0_14default_configENS1_38merge_sort_block_merge_config_selectorIxNS0_10empty_typeEEEZZNS1_27merge_sort_block_merge_implIS3_N6thrust23THRUST_200600_302600_NS6detail15normal_iteratorINS9_10device_ptrIxEEEEPS5_jNS1_19radix_merge_compareILb0ELb0ExNS0_19identity_decomposerEEEEE10hipError_tT0_T1_T2_jT3_P12ihipStream_tbPNSt15iterator_traitsISK_E10value_typeEPNSQ_ISL_E10value_typeEPSM_NS1_7vsmem_tEENKUlT_SK_SL_SM_E_clISE_PxSF_SF_EESJ_SZ_SK_SL_SM_EUlSZ_E0_NS1_11comp_targetILNS1_3genE8ELNS1_11target_archE1030ELNS1_3gpuE2ELNS1_3repE0EEENS1_38merge_mergepath_config_static_selectorELNS0_4arch9wavefront6targetE1EEEvSL_
	.globl	_ZN7rocprim17ROCPRIM_400000_NS6detail17trampoline_kernelINS0_14default_configENS1_38merge_sort_block_merge_config_selectorIxNS0_10empty_typeEEEZZNS1_27merge_sort_block_merge_implIS3_N6thrust23THRUST_200600_302600_NS6detail15normal_iteratorINS9_10device_ptrIxEEEEPS5_jNS1_19radix_merge_compareILb0ELb0ExNS0_19identity_decomposerEEEEE10hipError_tT0_T1_T2_jT3_P12ihipStream_tbPNSt15iterator_traitsISK_E10value_typeEPNSQ_ISL_E10value_typeEPSM_NS1_7vsmem_tEENKUlT_SK_SL_SM_E_clISE_PxSF_SF_EESJ_SZ_SK_SL_SM_EUlSZ_E0_NS1_11comp_targetILNS1_3genE8ELNS1_11target_archE1030ELNS1_3gpuE2ELNS1_3repE0EEENS1_38merge_mergepath_config_static_selectorELNS0_4arch9wavefront6targetE1EEEvSL_
	.p2align	8
	.type	_ZN7rocprim17ROCPRIM_400000_NS6detail17trampoline_kernelINS0_14default_configENS1_38merge_sort_block_merge_config_selectorIxNS0_10empty_typeEEEZZNS1_27merge_sort_block_merge_implIS3_N6thrust23THRUST_200600_302600_NS6detail15normal_iteratorINS9_10device_ptrIxEEEEPS5_jNS1_19radix_merge_compareILb0ELb0ExNS0_19identity_decomposerEEEEE10hipError_tT0_T1_T2_jT3_P12ihipStream_tbPNSt15iterator_traitsISK_E10value_typeEPNSQ_ISL_E10value_typeEPSM_NS1_7vsmem_tEENKUlT_SK_SL_SM_E_clISE_PxSF_SF_EESJ_SZ_SK_SL_SM_EUlSZ_E0_NS1_11comp_targetILNS1_3genE8ELNS1_11target_archE1030ELNS1_3gpuE2ELNS1_3repE0EEENS1_38merge_mergepath_config_static_selectorELNS0_4arch9wavefront6targetE1EEEvSL_,@function
_ZN7rocprim17ROCPRIM_400000_NS6detail17trampoline_kernelINS0_14default_configENS1_38merge_sort_block_merge_config_selectorIxNS0_10empty_typeEEEZZNS1_27merge_sort_block_merge_implIS3_N6thrust23THRUST_200600_302600_NS6detail15normal_iteratorINS9_10device_ptrIxEEEEPS5_jNS1_19radix_merge_compareILb0ELb0ExNS0_19identity_decomposerEEEEE10hipError_tT0_T1_T2_jT3_P12ihipStream_tbPNSt15iterator_traitsISK_E10value_typeEPNSQ_ISL_E10value_typeEPSM_NS1_7vsmem_tEENKUlT_SK_SL_SM_E_clISE_PxSF_SF_EESJ_SZ_SK_SL_SM_EUlSZ_E0_NS1_11comp_targetILNS1_3genE8ELNS1_11target_archE1030ELNS1_3gpuE2ELNS1_3repE0EEENS1_38merge_mergepath_config_static_selectorELNS0_4arch9wavefront6targetE1EEEvSL_: ; @_ZN7rocprim17ROCPRIM_400000_NS6detail17trampoline_kernelINS0_14default_configENS1_38merge_sort_block_merge_config_selectorIxNS0_10empty_typeEEEZZNS1_27merge_sort_block_merge_implIS3_N6thrust23THRUST_200600_302600_NS6detail15normal_iteratorINS9_10device_ptrIxEEEEPS5_jNS1_19radix_merge_compareILb0ELb0ExNS0_19identity_decomposerEEEEE10hipError_tT0_T1_T2_jT3_P12ihipStream_tbPNSt15iterator_traitsISK_E10value_typeEPNSQ_ISL_E10value_typeEPSM_NS1_7vsmem_tEENKUlT_SK_SL_SM_E_clISE_PxSF_SF_EESJ_SZ_SK_SL_SM_EUlSZ_E0_NS1_11comp_targetILNS1_3genE8ELNS1_11target_archE1030ELNS1_3gpuE2ELNS1_3repE0EEENS1_38merge_mergepath_config_static_selectorELNS0_4arch9wavefront6targetE1EEEvSL_
; %bb.0:
	.section	.rodata,"a",@progbits
	.p2align	6, 0x0
	.amdhsa_kernel _ZN7rocprim17ROCPRIM_400000_NS6detail17trampoline_kernelINS0_14default_configENS1_38merge_sort_block_merge_config_selectorIxNS0_10empty_typeEEEZZNS1_27merge_sort_block_merge_implIS3_N6thrust23THRUST_200600_302600_NS6detail15normal_iteratorINS9_10device_ptrIxEEEEPS5_jNS1_19radix_merge_compareILb0ELb0ExNS0_19identity_decomposerEEEEE10hipError_tT0_T1_T2_jT3_P12ihipStream_tbPNSt15iterator_traitsISK_E10value_typeEPNSQ_ISL_E10value_typeEPSM_NS1_7vsmem_tEENKUlT_SK_SL_SM_E_clISE_PxSF_SF_EESJ_SZ_SK_SL_SM_EUlSZ_E0_NS1_11comp_targetILNS1_3genE8ELNS1_11target_archE1030ELNS1_3gpuE2ELNS1_3repE0EEENS1_38merge_mergepath_config_static_selectorELNS0_4arch9wavefront6targetE1EEEvSL_
		.amdhsa_group_segment_fixed_size 0
		.amdhsa_private_segment_fixed_size 0
		.amdhsa_kernarg_size 64
		.amdhsa_user_sgpr_count 2
		.amdhsa_user_sgpr_dispatch_ptr 0
		.amdhsa_user_sgpr_queue_ptr 0
		.amdhsa_user_sgpr_kernarg_segment_ptr 1
		.amdhsa_user_sgpr_dispatch_id 0
		.amdhsa_user_sgpr_kernarg_preload_length 0
		.amdhsa_user_sgpr_kernarg_preload_offset 0
		.amdhsa_user_sgpr_private_segment_size 0
		.amdhsa_uses_dynamic_stack 0
		.amdhsa_enable_private_segment 0
		.amdhsa_system_sgpr_workgroup_id_x 1
		.amdhsa_system_sgpr_workgroup_id_y 0
		.amdhsa_system_sgpr_workgroup_id_z 0
		.amdhsa_system_sgpr_workgroup_info 0
		.amdhsa_system_vgpr_workitem_id 0
		.amdhsa_next_free_vgpr 1
		.amdhsa_next_free_sgpr 0
		.amdhsa_accum_offset 4
		.amdhsa_reserve_vcc 0
		.amdhsa_float_round_mode_32 0
		.amdhsa_float_round_mode_16_64 0
		.amdhsa_float_denorm_mode_32 3
		.amdhsa_float_denorm_mode_16_64 3
		.amdhsa_dx10_clamp 1
		.amdhsa_ieee_mode 1
		.amdhsa_fp16_overflow 0
		.amdhsa_tg_split 0
		.amdhsa_exception_fp_ieee_invalid_op 0
		.amdhsa_exception_fp_denorm_src 0
		.amdhsa_exception_fp_ieee_div_zero 0
		.amdhsa_exception_fp_ieee_overflow 0
		.amdhsa_exception_fp_ieee_underflow 0
		.amdhsa_exception_fp_ieee_inexact 0
		.amdhsa_exception_int_div_zero 0
	.end_amdhsa_kernel
	.section	.text._ZN7rocprim17ROCPRIM_400000_NS6detail17trampoline_kernelINS0_14default_configENS1_38merge_sort_block_merge_config_selectorIxNS0_10empty_typeEEEZZNS1_27merge_sort_block_merge_implIS3_N6thrust23THRUST_200600_302600_NS6detail15normal_iteratorINS9_10device_ptrIxEEEEPS5_jNS1_19radix_merge_compareILb0ELb0ExNS0_19identity_decomposerEEEEE10hipError_tT0_T1_T2_jT3_P12ihipStream_tbPNSt15iterator_traitsISK_E10value_typeEPNSQ_ISL_E10value_typeEPSM_NS1_7vsmem_tEENKUlT_SK_SL_SM_E_clISE_PxSF_SF_EESJ_SZ_SK_SL_SM_EUlSZ_E0_NS1_11comp_targetILNS1_3genE8ELNS1_11target_archE1030ELNS1_3gpuE2ELNS1_3repE0EEENS1_38merge_mergepath_config_static_selectorELNS0_4arch9wavefront6targetE1EEEvSL_,"axG",@progbits,_ZN7rocprim17ROCPRIM_400000_NS6detail17trampoline_kernelINS0_14default_configENS1_38merge_sort_block_merge_config_selectorIxNS0_10empty_typeEEEZZNS1_27merge_sort_block_merge_implIS3_N6thrust23THRUST_200600_302600_NS6detail15normal_iteratorINS9_10device_ptrIxEEEEPS5_jNS1_19radix_merge_compareILb0ELb0ExNS0_19identity_decomposerEEEEE10hipError_tT0_T1_T2_jT3_P12ihipStream_tbPNSt15iterator_traitsISK_E10value_typeEPNSQ_ISL_E10value_typeEPSM_NS1_7vsmem_tEENKUlT_SK_SL_SM_E_clISE_PxSF_SF_EESJ_SZ_SK_SL_SM_EUlSZ_E0_NS1_11comp_targetILNS1_3genE8ELNS1_11target_archE1030ELNS1_3gpuE2ELNS1_3repE0EEENS1_38merge_mergepath_config_static_selectorELNS0_4arch9wavefront6targetE1EEEvSL_,comdat
.Lfunc_end1449:
	.size	_ZN7rocprim17ROCPRIM_400000_NS6detail17trampoline_kernelINS0_14default_configENS1_38merge_sort_block_merge_config_selectorIxNS0_10empty_typeEEEZZNS1_27merge_sort_block_merge_implIS3_N6thrust23THRUST_200600_302600_NS6detail15normal_iteratorINS9_10device_ptrIxEEEEPS5_jNS1_19radix_merge_compareILb0ELb0ExNS0_19identity_decomposerEEEEE10hipError_tT0_T1_T2_jT3_P12ihipStream_tbPNSt15iterator_traitsISK_E10value_typeEPNSQ_ISL_E10value_typeEPSM_NS1_7vsmem_tEENKUlT_SK_SL_SM_E_clISE_PxSF_SF_EESJ_SZ_SK_SL_SM_EUlSZ_E0_NS1_11comp_targetILNS1_3genE8ELNS1_11target_archE1030ELNS1_3gpuE2ELNS1_3repE0EEENS1_38merge_mergepath_config_static_selectorELNS0_4arch9wavefront6targetE1EEEvSL_, .Lfunc_end1449-_ZN7rocprim17ROCPRIM_400000_NS6detail17trampoline_kernelINS0_14default_configENS1_38merge_sort_block_merge_config_selectorIxNS0_10empty_typeEEEZZNS1_27merge_sort_block_merge_implIS3_N6thrust23THRUST_200600_302600_NS6detail15normal_iteratorINS9_10device_ptrIxEEEEPS5_jNS1_19radix_merge_compareILb0ELb0ExNS0_19identity_decomposerEEEEE10hipError_tT0_T1_T2_jT3_P12ihipStream_tbPNSt15iterator_traitsISK_E10value_typeEPNSQ_ISL_E10value_typeEPSM_NS1_7vsmem_tEENKUlT_SK_SL_SM_E_clISE_PxSF_SF_EESJ_SZ_SK_SL_SM_EUlSZ_E0_NS1_11comp_targetILNS1_3genE8ELNS1_11target_archE1030ELNS1_3gpuE2ELNS1_3repE0EEENS1_38merge_mergepath_config_static_selectorELNS0_4arch9wavefront6targetE1EEEvSL_
                                        ; -- End function
	.section	.AMDGPU.csdata,"",@progbits
; Kernel info:
; codeLenInByte = 0
; NumSgprs: 6
; NumVgprs: 0
; NumAgprs: 0
; TotalNumVgprs: 0
; ScratchSize: 0
; MemoryBound: 0
; FloatMode: 240
; IeeeMode: 1
; LDSByteSize: 0 bytes/workgroup (compile time only)
; SGPRBlocks: 0
; VGPRBlocks: 0
; NumSGPRsForWavesPerEU: 6
; NumVGPRsForWavesPerEU: 1
; AccumOffset: 4
; Occupancy: 8
; WaveLimiterHint : 0
; COMPUTE_PGM_RSRC2:SCRATCH_EN: 0
; COMPUTE_PGM_RSRC2:USER_SGPR: 2
; COMPUTE_PGM_RSRC2:TRAP_HANDLER: 0
; COMPUTE_PGM_RSRC2:TGID_X_EN: 1
; COMPUTE_PGM_RSRC2:TGID_Y_EN: 0
; COMPUTE_PGM_RSRC2:TGID_Z_EN: 0
; COMPUTE_PGM_RSRC2:TIDIG_COMP_CNT: 0
; COMPUTE_PGM_RSRC3_GFX90A:ACCUM_OFFSET: 0
; COMPUTE_PGM_RSRC3_GFX90A:TG_SPLIT: 0
	.section	.text._ZN7rocprim17ROCPRIM_400000_NS6detail17trampoline_kernelINS0_14default_configENS1_38merge_sort_block_merge_config_selectorIxNS0_10empty_typeEEEZZNS1_27merge_sort_block_merge_implIS3_N6thrust23THRUST_200600_302600_NS6detail15normal_iteratorINS9_10device_ptrIxEEEEPS5_jNS1_19radix_merge_compareILb0ELb0ExNS0_19identity_decomposerEEEEE10hipError_tT0_T1_T2_jT3_P12ihipStream_tbPNSt15iterator_traitsISK_E10value_typeEPNSQ_ISL_E10value_typeEPSM_NS1_7vsmem_tEENKUlT_SK_SL_SM_E_clISE_PxSF_SF_EESJ_SZ_SK_SL_SM_EUlSZ_E1_NS1_11comp_targetILNS1_3genE0ELNS1_11target_archE4294967295ELNS1_3gpuE0ELNS1_3repE0EEENS1_36merge_oddeven_config_static_selectorELNS0_4arch9wavefront6targetE1EEEvSL_,"axG",@progbits,_ZN7rocprim17ROCPRIM_400000_NS6detail17trampoline_kernelINS0_14default_configENS1_38merge_sort_block_merge_config_selectorIxNS0_10empty_typeEEEZZNS1_27merge_sort_block_merge_implIS3_N6thrust23THRUST_200600_302600_NS6detail15normal_iteratorINS9_10device_ptrIxEEEEPS5_jNS1_19radix_merge_compareILb0ELb0ExNS0_19identity_decomposerEEEEE10hipError_tT0_T1_T2_jT3_P12ihipStream_tbPNSt15iterator_traitsISK_E10value_typeEPNSQ_ISL_E10value_typeEPSM_NS1_7vsmem_tEENKUlT_SK_SL_SM_E_clISE_PxSF_SF_EESJ_SZ_SK_SL_SM_EUlSZ_E1_NS1_11comp_targetILNS1_3genE0ELNS1_11target_archE4294967295ELNS1_3gpuE0ELNS1_3repE0EEENS1_36merge_oddeven_config_static_selectorELNS0_4arch9wavefront6targetE1EEEvSL_,comdat
	.protected	_ZN7rocprim17ROCPRIM_400000_NS6detail17trampoline_kernelINS0_14default_configENS1_38merge_sort_block_merge_config_selectorIxNS0_10empty_typeEEEZZNS1_27merge_sort_block_merge_implIS3_N6thrust23THRUST_200600_302600_NS6detail15normal_iteratorINS9_10device_ptrIxEEEEPS5_jNS1_19radix_merge_compareILb0ELb0ExNS0_19identity_decomposerEEEEE10hipError_tT0_T1_T2_jT3_P12ihipStream_tbPNSt15iterator_traitsISK_E10value_typeEPNSQ_ISL_E10value_typeEPSM_NS1_7vsmem_tEENKUlT_SK_SL_SM_E_clISE_PxSF_SF_EESJ_SZ_SK_SL_SM_EUlSZ_E1_NS1_11comp_targetILNS1_3genE0ELNS1_11target_archE4294967295ELNS1_3gpuE0ELNS1_3repE0EEENS1_36merge_oddeven_config_static_selectorELNS0_4arch9wavefront6targetE1EEEvSL_ ; -- Begin function _ZN7rocprim17ROCPRIM_400000_NS6detail17trampoline_kernelINS0_14default_configENS1_38merge_sort_block_merge_config_selectorIxNS0_10empty_typeEEEZZNS1_27merge_sort_block_merge_implIS3_N6thrust23THRUST_200600_302600_NS6detail15normal_iteratorINS9_10device_ptrIxEEEEPS5_jNS1_19radix_merge_compareILb0ELb0ExNS0_19identity_decomposerEEEEE10hipError_tT0_T1_T2_jT3_P12ihipStream_tbPNSt15iterator_traitsISK_E10value_typeEPNSQ_ISL_E10value_typeEPSM_NS1_7vsmem_tEENKUlT_SK_SL_SM_E_clISE_PxSF_SF_EESJ_SZ_SK_SL_SM_EUlSZ_E1_NS1_11comp_targetILNS1_3genE0ELNS1_11target_archE4294967295ELNS1_3gpuE0ELNS1_3repE0EEENS1_36merge_oddeven_config_static_selectorELNS0_4arch9wavefront6targetE1EEEvSL_
	.globl	_ZN7rocprim17ROCPRIM_400000_NS6detail17trampoline_kernelINS0_14default_configENS1_38merge_sort_block_merge_config_selectorIxNS0_10empty_typeEEEZZNS1_27merge_sort_block_merge_implIS3_N6thrust23THRUST_200600_302600_NS6detail15normal_iteratorINS9_10device_ptrIxEEEEPS5_jNS1_19radix_merge_compareILb0ELb0ExNS0_19identity_decomposerEEEEE10hipError_tT0_T1_T2_jT3_P12ihipStream_tbPNSt15iterator_traitsISK_E10value_typeEPNSQ_ISL_E10value_typeEPSM_NS1_7vsmem_tEENKUlT_SK_SL_SM_E_clISE_PxSF_SF_EESJ_SZ_SK_SL_SM_EUlSZ_E1_NS1_11comp_targetILNS1_3genE0ELNS1_11target_archE4294967295ELNS1_3gpuE0ELNS1_3repE0EEENS1_36merge_oddeven_config_static_selectorELNS0_4arch9wavefront6targetE1EEEvSL_
	.p2align	8
	.type	_ZN7rocprim17ROCPRIM_400000_NS6detail17trampoline_kernelINS0_14default_configENS1_38merge_sort_block_merge_config_selectorIxNS0_10empty_typeEEEZZNS1_27merge_sort_block_merge_implIS3_N6thrust23THRUST_200600_302600_NS6detail15normal_iteratorINS9_10device_ptrIxEEEEPS5_jNS1_19radix_merge_compareILb0ELb0ExNS0_19identity_decomposerEEEEE10hipError_tT0_T1_T2_jT3_P12ihipStream_tbPNSt15iterator_traitsISK_E10value_typeEPNSQ_ISL_E10value_typeEPSM_NS1_7vsmem_tEENKUlT_SK_SL_SM_E_clISE_PxSF_SF_EESJ_SZ_SK_SL_SM_EUlSZ_E1_NS1_11comp_targetILNS1_3genE0ELNS1_11target_archE4294967295ELNS1_3gpuE0ELNS1_3repE0EEENS1_36merge_oddeven_config_static_selectorELNS0_4arch9wavefront6targetE1EEEvSL_,@function
_ZN7rocprim17ROCPRIM_400000_NS6detail17trampoline_kernelINS0_14default_configENS1_38merge_sort_block_merge_config_selectorIxNS0_10empty_typeEEEZZNS1_27merge_sort_block_merge_implIS3_N6thrust23THRUST_200600_302600_NS6detail15normal_iteratorINS9_10device_ptrIxEEEEPS5_jNS1_19radix_merge_compareILb0ELb0ExNS0_19identity_decomposerEEEEE10hipError_tT0_T1_T2_jT3_P12ihipStream_tbPNSt15iterator_traitsISK_E10value_typeEPNSQ_ISL_E10value_typeEPSM_NS1_7vsmem_tEENKUlT_SK_SL_SM_E_clISE_PxSF_SF_EESJ_SZ_SK_SL_SM_EUlSZ_E1_NS1_11comp_targetILNS1_3genE0ELNS1_11target_archE4294967295ELNS1_3gpuE0ELNS1_3repE0EEENS1_36merge_oddeven_config_static_selectorELNS0_4arch9wavefront6targetE1EEEvSL_: ; @_ZN7rocprim17ROCPRIM_400000_NS6detail17trampoline_kernelINS0_14default_configENS1_38merge_sort_block_merge_config_selectorIxNS0_10empty_typeEEEZZNS1_27merge_sort_block_merge_implIS3_N6thrust23THRUST_200600_302600_NS6detail15normal_iteratorINS9_10device_ptrIxEEEEPS5_jNS1_19radix_merge_compareILb0ELb0ExNS0_19identity_decomposerEEEEE10hipError_tT0_T1_T2_jT3_P12ihipStream_tbPNSt15iterator_traitsISK_E10value_typeEPNSQ_ISL_E10value_typeEPSM_NS1_7vsmem_tEENKUlT_SK_SL_SM_E_clISE_PxSF_SF_EESJ_SZ_SK_SL_SM_EUlSZ_E1_NS1_11comp_targetILNS1_3genE0ELNS1_11target_archE4294967295ELNS1_3gpuE0ELNS1_3repE0EEENS1_36merge_oddeven_config_static_selectorELNS0_4arch9wavefront6targetE1EEEvSL_
; %bb.0:
	.section	.rodata,"a",@progbits
	.p2align	6, 0x0
	.amdhsa_kernel _ZN7rocprim17ROCPRIM_400000_NS6detail17trampoline_kernelINS0_14default_configENS1_38merge_sort_block_merge_config_selectorIxNS0_10empty_typeEEEZZNS1_27merge_sort_block_merge_implIS3_N6thrust23THRUST_200600_302600_NS6detail15normal_iteratorINS9_10device_ptrIxEEEEPS5_jNS1_19radix_merge_compareILb0ELb0ExNS0_19identity_decomposerEEEEE10hipError_tT0_T1_T2_jT3_P12ihipStream_tbPNSt15iterator_traitsISK_E10value_typeEPNSQ_ISL_E10value_typeEPSM_NS1_7vsmem_tEENKUlT_SK_SL_SM_E_clISE_PxSF_SF_EESJ_SZ_SK_SL_SM_EUlSZ_E1_NS1_11comp_targetILNS1_3genE0ELNS1_11target_archE4294967295ELNS1_3gpuE0ELNS1_3repE0EEENS1_36merge_oddeven_config_static_selectorELNS0_4arch9wavefront6targetE1EEEvSL_
		.amdhsa_group_segment_fixed_size 0
		.amdhsa_private_segment_fixed_size 0
		.amdhsa_kernarg_size 48
		.amdhsa_user_sgpr_count 2
		.amdhsa_user_sgpr_dispatch_ptr 0
		.amdhsa_user_sgpr_queue_ptr 0
		.amdhsa_user_sgpr_kernarg_segment_ptr 1
		.amdhsa_user_sgpr_dispatch_id 0
		.amdhsa_user_sgpr_kernarg_preload_length 0
		.amdhsa_user_sgpr_kernarg_preload_offset 0
		.amdhsa_user_sgpr_private_segment_size 0
		.amdhsa_uses_dynamic_stack 0
		.amdhsa_enable_private_segment 0
		.amdhsa_system_sgpr_workgroup_id_x 1
		.amdhsa_system_sgpr_workgroup_id_y 0
		.amdhsa_system_sgpr_workgroup_id_z 0
		.amdhsa_system_sgpr_workgroup_info 0
		.amdhsa_system_vgpr_workitem_id 0
		.amdhsa_next_free_vgpr 1
		.amdhsa_next_free_sgpr 0
		.amdhsa_accum_offset 4
		.amdhsa_reserve_vcc 0
		.amdhsa_float_round_mode_32 0
		.amdhsa_float_round_mode_16_64 0
		.amdhsa_float_denorm_mode_32 3
		.amdhsa_float_denorm_mode_16_64 3
		.amdhsa_dx10_clamp 1
		.amdhsa_ieee_mode 1
		.amdhsa_fp16_overflow 0
		.amdhsa_tg_split 0
		.amdhsa_exception_fp_ieee_invalid_op 0
		.amdhsa_exception_fp_denorm_src 0
		.amdhsa_exception_fp_ieee_div_zero 0
		.amdhsa_exception_fp_ieee_overflow 0
		.amdhsa_exception_fp_ieee_underflow 0
		.amdhsa_exception_fp_ieee_inexact 0
		.amdhsa_exception_int_div_zero 0
	.end_amdhsa_kernel
	.section	.text._ZN7rocprim17ROCPRIM_400000_NS6detail17trampoline_kernelINS0_14default_configENS1_38merge_sort_block_merge_config_selectorIxNS0_10empty_typeEEEZZNS1_27merge_sort_block_merge_implIS3_N6thrust23THRUST_200600_302600_NS6detail15normal_iteratorINS9_10device_ptrIxEEEEPS5_jNS1_19radix_merge_compareILb0ELb0ExNS0_19identity_decomposerEEEEE10hipError_tT0_T1_T2_jT3_P12ihipStream_tbPNSt15iterator_traitsISK_E10value_typeEPNSQ_ISL_E10value_typeEPSM_NS1_7vsmem_tEENKUlT_SK_SL_SM_E_clISE_PxSF_SF_EESJ_SZ_SK_SL_SM_EUlSZ_E1_NS1_11comp_targetILNS1_3genE0ELNS1_11target_archE4294967295ELNS1_3gpuE0ELNS1_3repE0EEENS1_36merge_oddeven_config_static_selectorELNS0_4arch9wavefront6targetE1EEEvSL_,"axG",@progbits,_ZN7rocprim17ROCPRIM_400000_NS6detail17trampoline_kernelINS0_14default_configENS1_38merge_sort_block_merge_config_selectorIxNS0_10empty_typeEEEZZNS1_27merge_sort_block_merge_implIS3_N6thrust23THRUST_200600_302600_NS6detail15normal_iteratorINS9_10device_ptrIxEEEEPS5_jNS1_19radix_merge_compareILb0ELb0ExNS0_19identity_decomposerEEEEE10hipError_tT0_T1_T2_jT3_P12ihipStream_tbPNSt15iterator_traitsISK_E10value_typeEPNSQ_ISL_E10value_typeEPSM_NS1_7vsmem_tEENKUlT_SK_SL_SM_E_clISE_PxSF_SF_EESJ_SZ_SK_SL_SM_EUlSZ_E1_NS1_11comp_targetILNS1_3genE0ELNS1_11target_archE4294967295ELNS1_3gpuE0ELNS1_3repE0EEENS1_36merge_oddeven_config_static_selectorELNS0_4arch9wavefront6targetE1EEEvSL_,comdat
.Lfunc_end1450:
	.size	_ZN7rocprim17ROCPRIM_400000_NS6detail17trampoline_kernelINS0_14default_configENS1_38merge_sort_block_merge_config_selectorIxNS0_10empty_typeEEEZZNS1_27merge_sort_block_merge_implIS3_N6thrust23THRUST_200600_302600_NS6detail15normal_iteratorINS9_10device_ptrIxEEEEPS5_jNS1_19radix_merge_compareILb0ELb0ExNS0_19identity_decomposerEEEEE10hipError_tT0_T1_T2_jT3_P12ihipStream_tbPNSt15iterator_traitsISK_E10value_typeEPNSQ_ISL_E10value_typeEPSM_NS1_7vsmem_tEENKUlT_SK_SL_SM_E_clISE_PxSF_SF_EESJ_SZ_SK_SL_SM_EUlSZ_E1_NS1_11comp_targetILNS1_3genE0ELNS1_11target_archE4294967295ELNS1_3gpuE0ELNS1_3repE0EEENS1_36merge_oddeven_config_static_selectorELNS0_4arch9wavefront6targetE1EEEvSL_, .Lfunc_end1450-_ZN7rocprim17ROCPRIM_400000_NS6detail17trampoline_kernelINS0_14default_configENS1_38merge_sort_block_merge_config_selectorIxNS0_10empty_typeEEEZZNS1_27merge_sort_block_merge_implIS3_N6thrust23THRUST_200600_302600_NS6detail15normal_iteratorINS9_10device_ptrIxEEEEPS5_jNS1_19radix_merge_compareILb0ELb0ExNS0_19identity_decomposerEEEEE10hipError_tT0_T1_T2_jT3_P12ihipStream_tbPNSt15iterator_traitsISK_E10value_typeEPNSQ_ISL_E10value_typeEPSM_NS1_7vsmem_tEENKUlT_SK_SL_SM_E_clISE_PxSF_SF_EESJ_SZ_SK_SL_SM_EUlSZ_E1_NS1_11comp_targetILNS1_3genE0ELNS1_11target_archE4294967295ELNS1_3gpuE0ELNS1_3repE0EEENS1_36merge_oddeven_config_static_selectorELNS0_4arch9wavefront6targetE1EEEvSL_
                                        ; -- End function
	.section	.AMDGPU.csdata,"",@progbits
; Kernel info:
; codeLenInByte = 0
; NumSgprs: 6
; NumVgprs: 0
; NumAgprs: 0
; TotalNumVgprs: 0
; ScratchSize: 0
; MemoryBound: 0
; FloatMode: 240
; IeeeMode: 1
; LDSByteSize: 0 bytes/workgroup (compile time only)
; SGPRBlocks: 0
; VGPRBlocks: 0
; NumSGPRsForWavesPerEU: 6
; NumVGPRsForWavesPerEU: 1
; AccumOffset: 4
; Occupancy: 8
; WaveLimiterHint : 0
; COMPUTE_PGM_RSRC2:SCRATCH_EN: 0
; COMPUTE_PGM_RSRC2:USER_SGPR: 2
; COMPUTE_PGM_RSRC2:TRAP_HANDLER: 0
; COMPUTE_PGM_RSRC2:TGID_X_EN: 1
; COMPUTE_PGM_RSRC2:TGID_Y_EN: 0
; COMPUTE_PGM_RSRC2:TGID_Z_EN: 0
; COMPUTE_PGM_RSRC2:TIDIG_COMP_CNT: 0
; COMPUTE_PGM_RSRC3_GFX90A:ACCUM_OFFSET: 0
; COMPUTE_PGM_RSRC3_GFX90A:TG_SPLIT: 0
	.section	.text._ZN7rocprim17ROCPRIM_400000_NS6detail17trampoline_kernelINS0_14default_configENS1_38merge_sort_block_merge_config_selectorIxNS0_10empty_typeEEEZZNS1_27merge_sort_block_merge_implIS3_N6thrust23THRUST_200600_302600_NS6detail15normal_iteratorINS9_10device_ptrIxEEEEPS5_jNS1_19radix_merge_compareILb0ELb0ExNS0_19identity_decomposerEEEEE10hipError_tT0_T1_T2_jT3_P12ihipStream_tbPNSt15iterator_traitsISK_E10value_typeEPNSQ_ISL_E10value_typeEPSM_NS1_7vsmem_tEENKUlT_SK_SL_SM_E_clISE_PxSF_SF_EESJ_SZ_SK_SL_SM_EUlSZ_E1_NS1_11comp_targetILNS1_3genE10ELNS1_11target_archE1201ELNS1_3gpuE5ELNS1_3repE0EEENS1_36merge_oddeven_config_static_selectorELNS0_4arch9wavefront6targetE1EEEvSL_,"axG",@progbits,_ZN7rocprim17ROCPRIM_400000_NS6detail17trampoline_kernelINS0_14default_configENS1_38merge_sort_block_merge_config_selectorIxNS0_10empty_typeEEEZZNS1_27merge_sort_block_merge_implIS3_N6thrust23THRUST_200600_302600_NS6detail15normal_iteratorINS9_10device_ptrIxEEEEPS5_jNS1_19radix_merge_compareILb0ELb0ExNS0_19identity_decomposerEEEEE10hipError_tT0_T1_T2_jT3_P12ihipStream_tbPNSt15iterator_traitsISK_E10value_typeEPNSQ_ISL_E10value_typeEPSM_NS1_7vsmem_tEENKUlT_SK_SL_SM_E_clISE_PxSF_SF_EESJ_SZ_SK_SL_SM_EUlSZ_E1_NS1_11comp_targetILNS1_3genE10ELNS1_11target_archE1201ELNS1_3gpuE5ELNS1_3repE0EEENS1_36merge_oddeven_config_static_selectorELNS0_4arch9wavefront6targetE1EEEvSL_,comdat
	.protected	_ZN7rocprim17ROCPRIM_400000_NS6detail17trampoline_kernelINS0_14default_configENS1_38merge_sort_block_merge_config_selectorIxNS0_10empty_typeEEEZZNS1_27merge_sort_block_merge_implIS3_N6thrust23THRUST_200600_302600_NS6detail15normal_iteratorINS9_10device_ptrIxEEEEPS5_jNS1_19radix_merge_compareILb0ELb0ExNS0_19identity_decomposerEEEEE10hipError_tT0_T1_T2_jT3_P12ihipStream_tbPNSt15iterator_traitsISK_E10value_typeEPNSQ_ISL_E10value_typeEPSM_NS1_7vsmem_tEENKUlT_SK_SL_SM_E_clISE_PxSF_SF_EESJ_SZ_SK_SL_SM_EUlSZ_E1_NS1_11comp_targetILNS1_3genE10ELNS1_11target_archE1201ELNS1_3gpuE5ELNS1_3repE0EEENS1_36merge_oddeven_config_static_selectorELNS0_4arch9wavefront6targetE1EEEvSL_ ; -- Begin function _ZN7rocprim17ROCPRIM_400000_NS6detail17trampoline_kernelINS0_14default_configENS1_38merge_sort_block_merge_config_selectorIxNS0_10empty_typeEEEZZNS1_27merge_sort_block_merge_implIS3_N6thrust23THRUST_200600_302600_NS6detail15normal_iteratorINS9_10device_ptrIxEEEEPS5_jNS1_19radix_merge_compareILb0ELb0ExNS0_19identity_decomposerEEEEE10hipError_tT0_T1_T2_jT3_P12ihipStream_tbPNSt15iterator_traitsISK_E10value_typeEPNSQ_ISL_E10value_typeEPSM_NS1_7vsmem_tEENKUlT_SK_SL_SM_E_clISE_PxSF_SF_EESJ_SZ_SK_SL_SM_EUlSZ_E1_NS1_11comp_targetILNS1_3genE10ELNS1_11target_archE1201ELNS1_3gpuE5ELNS1_3repE0EEENS1_36merge_oddeven_config_static_selectorELNS0_4arch9wavefront6targetE1EEEvSL_
	.globl	_ZN7rocprim17ROCPRIM_400000_NS6detail17trampoline_kernelINS0_14default_configENS1_38merge_sort_block_merge_config_selectorIxNS0_10empty_typeEEEZZNS1_27merge_sort_block_merge_implIS3_N6thrust23THRUST_200600_302600_NS6detail15normal_iteratorINS9_10device_ptrIxEEEEPS5_jNS1_19radix_merge_compareILb0ELb0ExNS0_19identity_decomposerEEEEE10hipError_tT0_T1_T2_jT3_P12ihipStream_tbPNSt15iterator_traitsISK_E10value_typeEPNSQ_ISL_E10value_typeEPSM_NS1_7vsmem_tEENKUlT_SK_SL_SM_E_clISE_PxSF_SF_EESJ_SZ_SK_SL_SM_EUlSZ_E1_NS1_11comp_targetILNS1_3genE10ELNS1_11target_archE1201ELNS1_3gpuE5ELNS1_3repE0EEENS1_36merge_oddeven_config_static_selectorELNS0_4arch9wavefront6targetE1EEEvSL_
	.p2align	8
	.type	_ZN7rocprim17ROCPRIM_400000_NS6detail17trampoline_kernelINS0_14default_configENS1_38merge_sort_block_merge_config_selectorIxNS0_10empty_typeEEEZZNS1_27merge_sort_block_merge_implIS3_N6thrust23THRUST_200600_302600_NS6detail15normal_iteratorINS9_10device_ptrIxEEEEPS5_jNS1_19radix_merge_compareILb0ELb0ExNS0_19identity_decomposerEEEEE10hipError_tT0_T1_T2_jT3_P12ihipStream_tbPNSt15iterator_traitsISK_E10value_typeEPNSQ_ISL_E10value_typeEPSM_NS1_7vsmem_tEENKUlT_SK_SL_SM_E_clISE_PxSF_SF_EESJ_SZ_SK_SL_SM_EUlSZ_E1_NS1_11comp_targetILNS1_3genE10ELNS1_11target_archE1201ELNS1_3gpuE5ELNS1_3repE0EEENS1_36merge_oddeven_config_static_selectorELNS0_4arch9wavefront6targetE1EEEvSL_,@function
_ZN7rocprim17ROCPRIM_400000_NS6detail17trampoline_kernelINS0_14default_configENS1_38merge_sort_block_merge_config_selectorIxNS0_10empty_typeEEEZZNS1_27merge_sort_block_merge_implIS3_N6thrust23THRUST_200600_302600_NS6detail15normal_iteratorINS9_10device_ptrIxEEEEPS5_jNS1_19radix_merge_compareILb0ELb0ExNS0_19identity_decomposerEEEEE10hipError_tT0_T1_T2_jT3_P12ihipStream_tbPNSt15iterator_traitsISK_E10value_typeEPNSQ_ISL_E10value_typeEPSM_NS1_7vsmem_tEENKUlT_SK_SL_SM_E_clISE_PxSF_SF_EESJ_SZ_SK_SL_SM_EUlSZ_E1_NS1_11comp_targetILNS1_3genE10ELNS1_11target_archE1201ELNS1_3gpuE5ELNS1_3repE0EEENS1_36merge_oddeven_config_static_selectorELNS0_4arch9wavefront6targetE1EEEvSL_: ; @_ZN7rocprim17ROCPRIM_400000_NS6detail17trampoline_kernelINS0_14default_configENS1_38merge_sort_block_merge_config_selectorIxNS0_10empty_typeEEEZZNS1_27merge_sort_block_merge_implIS3_N6thrust23THRUST_200600_302600_NS6detail15normal_iteratorINS9_10device_ptrIxEEEEPS5_jNS1_19radix_merge_compareILb0ELb0ExNS0_19identity_decomposerEEEEE10hipError_tT0_T1_T2_jT3_P12ihipStream_tbPNSt15iterator_traitsISK_E10value_typeEPNSQ_ISL_E10value_typeEPSM_NS1_7vsmem_tEENKUlT_SK_SL_SM_E_clISE_PxSF_SF_EESJ_SZ_SK_SL_SM_EUlSZ_E1_NS1_11comp_targetILNS1_3genE10ELNS1_11target_archE1201ELNS1_3gpuE5ELNS1_3repE0EEENS1_36merge_oddeven_config_static_selectorELNS0_4arch9wavefront6targetE1EEEvSL_
; %bb.0:
	.section	.rodata,"a",@progbits
	.p2align	6, 0x0
	.amdhsa_kernel _ZN7rocprim17ROCPRIM_400000_NS6detail17trampoline_kernelINS0_14default_configENS1_38merge_sort_block_merge_config_selectorIxNS0_10empty_typeEEEZZNS1_27merge_sort_block_merge_implIS3_N6thrust23THRUST_200600_302600_NS6detail15normal_iteratorINS9_10device_ptrIxEEEEPS5_jNS1_19radix_merge_compareILb0ELb0ExNS0_19identity_decomposerEEEEE10hipError_tT0_T1_T2_jT3_P12ihipStream_tbPNSt15iterator_traitsISK_E10value_typeEPNSQ_ISL_E10value_typeEPSM_NS1_7vsmem_tEENKUlT_SK_SL_SM_E_clISE_PxSF_SF_EESJ_SZ_SK_SL_SM_EUlSZ_E1_NS1_11comp_targetILNS1_3genE10ELNS1_11target_archE1201ELNS1_3gpuE5ELNS1_3repE0EEENS1_36merge_oddeven_config_static_selectorELNS0_4arch9wavefront6targetE1EEEvSL_
		.amdhsa_group_segment_fixed_size 0
		.amdhsa_private_segment_fixed_size 0
		.amdhsa_kernarg_size 48
		.amdhsa_user_sgpr_count 2
		.amdhsa_user_sgpr_dispatch_ptr 0
		.amdhsa_user_sgpr_queue_ptr 0
		.amdhsa_user_sgpr_kernarg_segment_ptr 1
		.amdhsa_user_sgpr_dispatch_id 0
		.amdhsa_user_sgpr_kernarg_preload_length 0
		.amdhsa_user_sgpr_kernarg_preload_offset 0
		.amdhsa_user_sgpr_private_segment_size 0
		.amdhsa_uses_dynamic_stack 0
		.amdhsa_enable_private_segment 0
		.amdhsa_system_sgpr_workgroup_id_x 1
		.amdhsa_system_sgpr_workgroup_id_y 0
		.amdhsa_system_sgpr_workgroup_id_z 0
		.amdhsa_system_sgpr_workgroup_info 0
		.amdhsa_system_vgpr_workitem_id 0
		.amdhsa_next_free_vgpr 1
		.amdhsa_next_free_sgpr 0
		.amdhsa_accum_offset 4
		.amdhsa_reserve_vcc 0
		.amdhsa_float_round_mode_32 0
		.amdhsa_float_round_mode_16_64 0
		.amdhsa_float_denorm_mode_32 3
		.amdhsa_float_denorm_mode_16_64 3
		.amdhsa_dx10_clamp 1
		.amdhsa_ieee_mode 1
		.amdhsa_fp16_overflow 0
		.amdhsa_tg_split 0
		.amdhsa_exception_fp_ieee_invalid_op 0
		.amdhsa_exception_fp_denorm_src 0
		.amdhsa_exception_fp_ieee_div_zero 0
		.amdhsa_exception_fp_ieee_overflow 0
		.amdhsa_exception_fp_ieee_underflow 0
		.amdhsa_exception_fp_ieee_inexact 0
		.amdhsa_exception_int_div_zero 0
	.end_amdhsa_kernel
	.section	.text._ZN7rocprim17ROCPRIM_400000_NS6detail17trampoline_kernelINS0_14default_configENS1_38merge_sort_block_merge_config_selectorIxNS0_10empty_typeEEEZZNS1_27merge_sort_block_merge_implIS3_N6thrust23THRUST_200600_302600_NS6detail15normal_iteratorINS9_10device_ptrIxEEEEPS5_jNS1_19radix_merge_compareILb0ELb0ExNS0_19identity_decomposerEEEEE10hipError_tT0_T1_T2_jT3_P12ihipStream_tbPNSt15iterator_traitsISK_E10value_typeEPNSQ_ISL_E10value_typeEPSM_NS1_7vsmem_tEENKUlT_SK_SL_SM_E_clISE_PxSF_SF_EESJ_SZ_SK_SL_SM_EUlSZ_E1_NS1_11comp_targetILNS1_3genE10ELNS1_11target_archE1201ELNS1_3gpuE5ELNS1_3repE0EEENS1_36merge_oddeven_config_static_selectorELNS0_4arch9wavefront6targetE1EEEvSL_,"axG",@progbits,_ZN7rocprim17ROCPRIM_400000_NS6detail17trampoline_kernelINS0_14default_configENS1_38merge_sort_block_merge_config_selectorIxNS0_10empty_typeEEEZZNS1_27merge_sort_block_merge_implIS3_N6thrust23THRUST_200600_302600_NS6detail15normal_iteratorINS9_10device_ptrIxEEEEPS5_jNS1_19radix_merge_compareILb0ELb0ExNS0_19identity_decomposerEEEEE10hipError_tT0_T1_T2_jT3_P12ihipStream_tbPNSt15iterator_traitsISK_E10value_typeEPNSQ_ISL_E10value_typeEPSM_NS1_7vsmem_tEENKUlT_SK_SL_SM_E_clISE_PxSF_SF_EESJ_SZ_SK_SL_SM_EUlSZ_E1_NS1_11comp_targetILNS1_3genE10ELNS1_11target_archE1201ELNS1_3gpuE5ELNS1_3repE0EEENS1_36merge_oddeven_config_static_selectorELNS0_4arch9wavefront6targetE1EEEvSL_,comdat
.Lfunc_end1451:
	.size	_ZN7rocprim17ROCPRIM_400000_NS6detail17trampoline_kernelINS0_14default_configENS1_38merge_sort_block_merge_config_selectorIxNS0_10empty_typeEEEZZNS1_27merge_sort_block_merge_implIS3_N6thrust23THRUST_200600_302600_NS6detail15normal_iteratorINS9_10device_ptrIxEEEEPS5_jNS1_19radix_merge_compareILb0ELb0ExNS0_19identity_decomposerEEEEE10hipError_tT0_T1_T2_jT3_P12ihipStream_tbPNSt15iterator_traitsISK_E10value_typeEPNSQ_ISL_E10value_typeEPSM_NS1_7vsmem_tEENKUlT_SK_SL_SM_E_clISE_PxSF_SF_EESJ_SZ_SK_SL_SM_EUlSZ_E1_NS1_11comp_targetILNS1_3genE10ELNS1_11target_archE1201ELNS1_3gpuE5ELNS1_3repE0EEENS1_36merge_oddeven_config_static_selectorELNS0_4arch9wavefront6targetE1EEEvSL_, .Lfunc_end1451-_ZN7rocprim17ROCPRIM_400000_NS6detail17trampoline_kernelINS0_14default_configENS1_38merge_sort_block_merge_config_selectorIxNS0_10empty_typeEEEZZNS1_27merge_sort_block_merge_implIS3_N6thrust23THRUST_200600_302600_NS6detail15normal_iteratorINS9_10device_ptrIxEEEEPS5_jNS1_19radix_merge_compareILb0ELb0ExNS0_19identity_decomposerEEEEE10hipError_tT0_T1_T2_jT3_P12ihipStream_tbPNSt15iterator_traitsISK_E10value_typeEPNSQ_ISL_E10value_typeEPSM_NS1_7vsmem_tEENKUlT_SK_SL_SM_E_clISE_PxSF_SF_EESJ_SZ_SK_SL_SM_EUlSZ_E1_NS1_11comp_targetILNS1_3genE10ELNS1_11target_archE1201ELNS1_3gpuE5ELNS1_3repE0EEENS1_36merge_oddeven_config_static_selectorELNS0_4arch9wavefront6targetE1EEEvSL_
                                        ; -- End function
	.section	.AMDGPU.csdata,"",@progbits
; Kernel info:
; codeLenInByte = 0
; NumSgprs: 6
; NumVgprs: 0
; NumAgprs: 0
; TotalNumVgprs: 0
; ScratchSize: 0
; MemoryBound: 0
; FloatMode: 240
; IeeeMode: 1
; LDSByteSize: 0 bytes/workgroup (compile time only)
; SGPRBlocks: 0
; VGPRBlocks: 0
; NumSGPRsForWavesPerEU: 6
; NumVGPRsForWavesPerEU: 1
; AccumOffset: 4
; Occupancy: 8
; WaveLimiterHint : 0
; COMPUTE_PGM_RSRC2:SCRATCH_EN: 0
; COMPUTE_PGM_RSRC2:USER_SGPR: 2
; COMPUTE_PGM_RSRC2:TRAP_HANDLER: 0
; COMPUTE_PGM_RSRC2:TGID_X_EN: 1
; COMPUTE_PGM_RSRC2:TGID_Y_EN: 0
; COMPUTE_PGM_RSRC2:TGID_Z_EN: 0
; COMPUTE_PGM_RSRC2:TIDIG_COMP_CNT: 0
; COMPUTE_PGM_RSRC3_GFX90A:ACCUM_OFFSET: 0
; COMPUTE_PGM_RSRC3_GFX90A:TG_SPLIT: 0
	.section	.text._ZN7rocprim17ROCPRIM_400000_NS6detail17trampoline_kernelINS0_14default_configENS1_38merge_sort_block_merge_config_selectorIxNS0_10empty_typeEEEZZNS1_27merge_sort_block_merge_implIS3_N6thrust23THRUST_200600_302600_NS6detail15normal_iteratorINS9_10device_ptrIxEEEEPS5_jNS1_19radix_merge_compareILb0ELb0ExNS0_19identity_decomposerEEEEE10hipError_tT0_T1_T2_jT3_P12ihipStream_tbPNSt15iterator_traitsISK_E10value_typeEPNSQ_ISL_E10value_typeEPSM_NS1_7vsmem_tEENKUlT_SK_SL_SM_E_clISE_PxSF_SF_EESJ_SZ_SK_SL_SM_EUlSZ_E1_NS1_11comp_targetILNS1_3genE5ELNS1_11target_archE942ELNS1_3gpuE9ELNS1_3repE0EEENS1_36merge_oddeven_config_static_selectorELNS0_4arch9wavefront6targetE1EEEvSL_,"axG",@progbits,_ZN7rocprim17ROCPRIM_400000_NS6detail17trampoline_kernelINS0_14default_configENS1_38merge_sort_block_merge_config_selectorIxNS0_10empty_typeEEEZZNS1_27merge_sort_block_merge_implIS3_N6thrust23THRUST_200600_302600_NS6detail15normal_iteratorINS9_10device_ptrIxEEEEPS5_jNS1_19radix_merge_compareILb0ELb0ExNS0_19identity_decomposerEEEEE10hipError_tT0_T1_T2_jT3_P12ihipStream_tbPNSt15iterator_traitsISK_E10value_typeEPNSQ_ISL_E10value_typeEPSM_NS1_7vsmem_tEENKUlT_SK_SL_SM_E_clISE_PxSF_SF_EESJ_SZ_SK_SL_SM_EUlSZ_E1_NS1_11comp_targetILNS1_3genE5ELNS1_11target_archE942ELNS1_3gpuE9ELNS1_3repE0EEENS1_36merge_oddeven_config_static_selectorELNS0_4arch9wavefront6targetE1EEEvSL_,comdat
	.protected	_ZN7rocprim17ROCPRIM_400000_NS6detail17trampoline_kernelINS0_14default_configENS1_38merge_sort_block_merge_config_selectorIxNS0_10empty_typeEEEZZNS1_27merge_sort_block_merge_implIS3_N6thrust23THRUST_200600_302600_NS6detail15normal_iteratorINS9_10device_ptrIxEEEEPS5_jNS1_19radix_merge_compareILb0ELb0ExNS0_19identity_decomposerEEEEE10hipError_tT0_T1_T2_jT3_P12ihipStream_tbPNSt15iterator_traitsISK_E10value_typeEPNSQ_ISL_E10value_typeEPSM_NS1_7vsmem_tEENKUlT_SK_SL_SM_E_clISE_PxSF_SF_EESJ_SZ_SK_SL_SM_EUlSZ_E1_NS1_11comp_targetILNS1_3genE5ELNS1_11target_archE942ELNS1_3gpuE9ELNS1_3repE0EEENS1_36merge_oddeven_config_static_selectorELNS0_4arch9wavefront6targetE1EEEvSL_ ; -- Begin function _ZN7rocprim17ROCPRIM_400000_NS6detail17trampoline_kernelINS0_14default_configENS1_38merge_sort_block_merge_config_selectorIxNS0_10empty_typeEEEZZNS1_27merge_sort_block_merge_implIS3_N6thrust23THRUST_200600_302600_NS6detail15normal_iteratorINS9_10device_ptrIxEEEEPS5_jNS1_19radix_merge_compareILb0ELb0ExNS0_19identity_decomposerEEEEE10hipError_tT0_T1_T2_jT3_P12ihipStream_tbPNSt15iterator_traitsISK_E10value_typeEPNSQ_ISL_E10value_typeEPSM_NS1_7vsmem_tEENKUlT_SK_SL_SM_E_clISE_PxSF_SF_EESJ_SZ_SK_SL_SM_EUlSZ_E1_NS1_11comp_targetILNS1_3genE5ELNS1_11target_archE942ELNS1_3gpuE9ELNS1_3repE0EEENS1_36merge_oddeven_config_static_selectorELNS0_4arch9wavefront6targetE1EEEvSL_
	.globl	_ZN7rocprim17ROCPRIM_400000_NS6detail17trampoline_kernelINS0_14default_configENS1_38merge_sort_block_merge_config_selectorIxNS0_10empty_typeEEEZZNS1_27merge_sort_block_merge_implIS3_N6thrust23THRUST_200600_302600_NS6detail15normal_iteratorINS9_10device_ptrIxEEEEPS5_jNS1_19radix_merge_compareILb0ELb0ExNS0_19identity_decomposerEEEEE10hipError_tT0_T1_T2_jT3_P12ihipStream_tbPNSt15iterator_traitsISK_E10value_typeEPNSQ_ISL_E10value_typeEPSM_NS1_7vsmem_tEENKUlT_SK_SL_SM_E_clISE_PxSF_SF_EESJ_SZ_SK_SL_SM_EUlSZ_E1_NS1_11comp_targetILNS1_3genE5ELNS1_11target_archE942ELNS1_3gpuE9ELNS1_3repE0EEENS1_36merge_oddeven_config_static_selectorELNS0_4arch9wavefront6targetE1EEEvSL_
	.p2align	8
	.type	_ZN7rocprim17ROCPRIM_400000_NS6detail17trampoline_kernelINS0_14default_configENS1_38merge_sort_block_merge_config_selectorIxNS0_10empty_typeEEEZZNS1_27merge_sort_block_merge_implIS3_N6thrust23THRUST_200600_302600_NS6detail15normal_iteratorINS9_10device_ptrIxEEEEPS5_jNS1_19radix_merge_compareILb0ELb0ExNS0_19identity_decomposerEEEEE10hipError_tT0_T1_T2_jT3_P12ihipStream_tbPNSt15iterator_traitsISK_E10value_typeEPNSQ_ISL_E10value_typeEPSM_NS1_7vsmem_tEENKUlT_SK_SL_SM_E_clISE_PxSF_SF_EESJ_SZ_SK_SL_SM_EUlSZ_E1_NS1_11comp_targetILNS1_3genE5ELNS1_11target_archE942ELNS1_3gpuE9ELNS1_3repE0EEENS1_36merge_oddeven_config_static_selectorELNS0_4arch9wavefront6targetE1EEEvSL_,@function
_ZN7rocprim17ROCPRIM_400000_NS6detail17trampoline_kernelINS0_14default_configENS1_38merge_sort_block_merge_config_selectorIxNS0_10empty_typeEEEZZNS1_27merge_sort_block_merge_implIS3_N6thrust23THRUST_200600_302600_NS6detail15normal_iteratorINS9_10device_ptrIxEEEEPS5_jNS1_19radix_merge_compareILb0ELb0ExNS0_19identity_decomposerEEEEE10hipError_tT0_T1_T2_jT3_P12ihipStream_tbPNSt15iterator_traitsISK_E10value_typeEPNSQ_ISL_E10value_typeEPSM_NS1_7vsmem_tEENKUlT_SK_SL_SM_E_clISE_PxSF_SF_EESJ_SZ_SK_SL_SM_EUlSZ_E1_NS1_11comp_targetILNS1_3genE5ELNS1_11target_archE942ELNS1_3gpuE9ELNS1_3repE0EEENS1_36merge_oddeven_config_static_selectorELNS0_4arch9wavefront6targetE1EEEvSL_: ; @_ZN7rocprim17ROCPRIM_400000_NS6detail17trampoline_kernelINS0_14default_configENS1_38merge_sort_block_merge_config_selectorIxNS0_10empty_typeEEEZZNS1_27merge_sort_block_merge_implIS3_N6thrust23THRUST_200600_302600_NS6detail15normal_iteratorINS9_10device_ptrIxEEEEPS5_jNS1_19radix_merge_compareILb0ELb0ExNS0_19identity_decomposerEEEEE10hipError_tT0_T1_T2_jT3_P12ihipStream_tbPNSt15iterator_traitsISK_E10value_typeEPNSQ_ISL_E10value_typeEPSM_NS1_7vsmem_tEENKUlT_SK_SL_SM_E_clISE_PxSF_SF_EESJ_SZ_SK_SL_SM_EUlSZ_E1_NS1_11comp_targetILNS1_3genE5ELNS1_11target_archE942ELNS1_3gpuE9ELNS1_3repE0EEENS1_36merge_oddeven_config_static_selectorELNS0_4arch9wavefront6targetE1EEEvSL_
; %bb.0:
	s_load_dword s16, s[0:1], 0x20
	s_waitcnt lgkmcnt(0)
	s_lshr_b32 s3, s16, 8
	s_cmp_lg_u32 s2, s3
	s_cselect_b64 s[12:13], -1, 0
	s_cmp_eq_u32 s2, s3
	s_cselect_b64 s[6:7], -1, 0
	s_lshl_b32 s14, s2, 8
	s_sub_i32 s3, s16, s14
	v_cmp_gt_u32_e64 s[4:5], s3, v0
	s_or_b64 s[8:9], s[12:13], s[4:5]
	s_and_saveexec_b64 s[10:11], s[8:9]
	s_cbranch_execz .LBB1452_20
; %bb.1:
	s_load_dwordx4 s[8:11], s[0:1], 0x0
	s_load_dword s17, s[0:1], 0x24
	s_mov_b32 s15, 0
	s_lshl_b64 s[0:1], s[14:15], 3
	v_lshlrev_b32_e32 v1, 3, v0
	s_waitcnt lgkmcnt(0)
	s_add_u32 s0, s8, s0
	s_addc_u32 s1, s9, s1
	global_load_dwordx2 v[2:3], v1, s[0:1]
	s_lshr_b32 s0, s17, 8
	s_sub_i32 s1, 0, s0
	s_and_b32 s1, s2, s1
	s_and_b32 s0, s1, s0
	s_lshl_b32 s18, s1, 8
	s_sub_i32 s15, 0, s17
	s_cmp_eq_u32 s0, 0
	s_cselect_b64 s[0:1], -1, 0
	s_and_b64 s[2:3], s[0:1], exec
	s_cselect_b32 s15, s17, s15
	s_add_i32 s15, s15, s18
	s_cmp_lt_u32 s15, s16
	v_add_u32_e32 v0, s14, v0
	s_cbranch_scc1 .LBB1452_3
; %bb.2:
	v_cmp_gt_u32_e32 vcc, s16, v0
	s_or_b64 s[2:3], vcc, s[12:13]
	s_and_b64 s[2:3], s[2:3], exec
	s_cbranch_execz .LBB1452_4
	s_branch .LBB1452_18
.LBB1452_3:
	s_mov_b64 s[2:3], 0
.LBB1452_4:
	s_min_u32 s12, s15, s16
	s_min_u32 s14, s18, s12
	s_add_i32 s18, s18, s12
	s_add_i32 s13, s12, s17
	v_subrev_u32_e32 v0, s18, v0
	s_min_u32 s13, s13, s16
	v_add_u32_e32 v4, s14, v0
	s_and_b64 vcc, exec, s[6:7]
	s_cbranch_vccz .LBB1452_12
; %bb.5:
                                        ; implicit-def: $vgpr0
	s_and_saveexec_b64 s[6:7], s[4:5]
	s_cbranch_execz .LBB1452_11
; %bb.6:
	s_cmp_ge_u32 s15, s13
	v_mov_b32_e32 v5, s12
	s_cbranch_scc1 .LBB1452_10
; %bb.7:
	s_mov_b64 s[4:5], 0
	v_mov_b32_e32 v6, s13
	v_mov_b32_e32 v5, s12
	;; [unrolled: 1-line block ×3, first 2 shown]
.LBB1452_8:                             ; =>This Inner Loop Header: Depth=1
	v_add_u32_e32 v0, v5, v6
	v_lshrrev_b32_e32 v0, 1, v0
	v_lshl_add_u64 v[8:9], v[0:1], 3, s[8:9]
	global_load_dwordx2 v[8:9], v[8:9], off
	v_add_u32_e32 v7, 1, v0
	s_waitcnt vmcnt(0)
	v_cmp_gt_i64_e32 vcc, v[2:3], v[8:9]
	s_nop 1
	v_cndmask_b32_e64 v10, 0, 1, vcc
	v_cmp_le_i64_e32 vcc, v[8:9], v[2:3]
	s_nop 1
	v_cndmask_b32_e64 v8, 0, 1, vcc
	v_cndmask_b32_e64 v8, v8, v10, s[0:1]
	v_and_b32_e32 v8, 1, v8
	v_cmp_eq_u32_e32 vcc, 1, v8
	s_nop 1
	v_cndmask_b32_e32 v6, v0, v6, vcc
	v_cndmask_b32_e32 v5, v5, v7, vcc
	v_cmp_ge_u32_e32 vcc, v5, v6
	s_or_b64 s[4:5], vcc, s[4:5]
	s_andn2_b64 exec, exec, s[4:5]
	s_cbranch_execnz .LBB1452_8
; %bb.9:
	s_or_b64 exec, exec, s[4:5]
.LBB1452_10:
	v_add_u32_e32 v0, v5, v4
	s_or_b64 s[2:3], s[2:3], exec
.LBB1452_11:
	s_or_b64 exec, exec, s[6:7]
	s_branch .LBB1452_18
.LBB1452_12:
                                        ; implicit-def: $vgpr0
	s_cbranch_execz .LBB1452_18
; %bb.13:
	s_cmp_ge_u32 s15, s13
	v_mov_b32_e32 v5, s12
	s_cbranch_scc1 .LBB1452_17
; %bb.14:
	s_mov_b64 s[2:3], 0
	v_mov_b32_e32 v6, s13
	v_mov_b32_e32 v5, s12
	;; [unrolled: 1-line block ×3, first 2 shown]
.LBB1452_15:                            ; =>This Inner Loop Header: Depth=1
	v_add_u32_e32 v0, v5, v6
	v_lshrrev_b32_e32 v0, 1, v0
	v_lshl_add_u64 v[8:9], v[0:1], 3, s[8:9]
	global_load_dwordx2 v[8:9], v[8:9], off
	v_add_u32_e32 v7, 1, v0
	s_waitcnt vmcnt(0)
	v_cmp_gt_i64_e32 vcc, v[2:3], v[8:9]
	s_nop 1
	v_cndmask_b32_e64 v10, 0, 1, vcc
	v_cmp_le_i64_e32 vcc, v[8:9], v[2:3]
	s_nop 1
	v_cndmask_b32_e64 v8, 0, 1, vcc
	v_cndmask_b32_e64 v8, v8, v10, s[0:1]
	v_and_b32_e32 v8, 1, v8
	v_cmp_eq_u32_e32 vcc, 1, v8
	s_nop 1
	v_cndmask_b32_e32 v6, v0, v6, vcc
	v_cndmask_b32_e32 v5, v5, v7, vcc
	v_cmp_ge_u32_e32 vcc, v5, v6
	s_or_b64 s[2:3], vcc, s[2:3]
	s_andn2_b64 exec, exec, s[2:3]
	s_cbranch_execnz .LBB1452_15
; %bb.16:
	s_or_b64 exec, exec, s[2:3]
.LBB1452_17:
	v_add_u32_e32 v0, v5, v4
	s_mov_b64 s[2:3], -1
.LBB1452_18:
	s_and_b64 exec, exec, s[2:3]
	s_cbranch_execz .LBB1452_20
; %bb.19:
	v_mov_b32_e32 v4, s10
	v_mov_b32_e32 v5, s11
	;; [unrolled: 1-line block ×3, first 2 shown]
	v_lshl_add_u64 v[0:1], v[0:1], 3, v[4:5]
	s_waitcnt vmcnt(0)
	global_store_dwordx2 v[0:1], v[2:3], off
.LBB1452_20:
	s_endpgm
	.section	.rodata,"a",@progbits
	.p2align	6, 0x0
	.amdhsa_kernel _ZN7rocprim17ROCPRIM_400000_NS6detail17trampoline_kernelINS0_14default_configENS1_38merge_sort_block_merge_config_selectorIxNS0_10empty_typeEEEZZNS1_27merge_sort_block_merge_implIS3_N6thrust23THRUST_200600_302600_NS6detail15normal_iteratorINS9_10device_ptrIxEEEEPS5_jNS1_19radix_merge_compareILb0ELb0ExNS0_19identity_decomposerEEEEE10hipError_tT0_T1_T2_jT3_P12ihipStream_tbPNSt15iterator_traitsISK_E10value_typeEPNSQ_ISL_E10value_typeEPSM_NS1_7vsmem_tEENKUlT_SK_SL_SM_E_clISE_PxSF_SF_EESJ_SZ_SK_SL_SM_EUlSZ_E1_NS1_11comp_targetILNS1_3genE5ELNS1_11target_archE942ELNS1_3gpuE9ELNS1_3repE0EEENS1_36merge_oddeven_config_static_selectorELNS0_4arch9wavefront6targetE1EEEvSL_
		.amdhsa_group_segment_fixed_size 0
		.amdhsa_private_segment_fixed_size 0
		.amdhsa_kernarg_size 48
		.amdhsa_user_sgpr_count 2
		.amdhsa_user_sgpr_dispatch_ptr 0
		.amdhsa_user_sgpr_queue_ptr 0
		.amdhsa_user_sgpr_kernarg_segment_ptr 1
		.amdhsa_user_sgpr_dispatch_id 0
		.amdhsa_user_sgpr_kernarg_preload_length 0
		.amdhsa_user_sgpr_kernarg_preload_offset 0
		.amdhsa_user_sgpr_private_segment_size 0
		.amdhsa_uses_dynamic_stack 0
		.amdhsa_enable_private_segment 0
		.amdhsa_system_sgpr_workgroup_id_x 1
		.amdhsa_system_sgpr_workgroup_id_y 0
		.amdhsa_system_sgpr_workgroup_id_z 0
		.amdhsa_system_sgpr_workgroup_info 0
		.amdhsa_system_vgpr_workitem_id 0
		.amdhsa_next_free_vgpr 11
		.amdhsa_next_free_sgpr 19
		.amdhsa_accum_offset 12
		.amdhsa_reserve_vcc 1
		.amdhsa_float_round_mode_32 0
		.amdhsa_float_round_mode_16_64 0
		.amdhsa_float_denorm_mode_32 3
		.amdhsa_float_denorm_mode_16_64 3
		.amdhsa_dx10_clamp 1
		.amdhsa_ieee_mode 1
		.amdhsa_fp16_overflow 0
		.amdhsa_tg_split 0
		.amdhsa_exception_fp_ieee_invalid_op 0
		.amdhsa_exception_fp_denorm_src 0
		.amdhsa_exception_fp_ieee_div_zero 0
		.amdhsa_exception_fp_ieee_overflow 0
		.amdhsa_exception_fp_ieee_underflow 0
		.amdhsa_exception_fp_ieee_inexact 0
		.amdhsa_exception_int_div_zero 0
	.end_amdhsa_kernel
	.section	.text._ZN7rocprim17ROCPRIM_400000_NS6detail17trampoline_kernelINS0_14default_configENS1_38merge_sort_block_merge_config_selectorIxNS0_10empty_typeEEEZZNS1_27merge_sort_block_merge_implIS3_N6thrust23THRUST_200600_302600_NS6detail15normal_iteratorINS9_10device_ptrIxEEEEPS5_jNS1_19radix_merge_compareILb0ELb0ExNS0_19identity_decomposerEEEEE10hipError_tT0_T1_T2_jT3_P12ihipStream_tbPNSt15iterator_traitsISK_E10value_typeEPNSQ_ISL_E10value_typeEPSM_NS1_7vsmem_tEENKUlT_SK_SL_SM_E_clISE_PxSF_SF_EESJ_SZ_SK_SL_SM_EUlSZ_E1_NS1_11comp_targetILNS1_3genE5ELNS1_11target_archE942ELNS1_3gpuE9ELNS1_3repE0EEENS1_36merge_oddeven_config_static_selectorELNS0_4arch9wavefront6targetE1EEEvSL_,"axG",@progbits,_ZN7rocprim17ROCPRIM_400000_NS6detail17trampoline_kernelINS0_14default_configENS1_38merge_sort_block_merge_config_selectorIxNS0_10empty_typeEEEZZNS1_27merge_sort_block_merge_implIS3_N6thrust23THRUST_200600_302600_NS6detail15normal_iteratorINS9_10device_ptrIxEEEEPS5_jNS1_19radix_merge_compareILb0ELb0ExNS0_19identity_decomposerEEEEE10hipError_tT0_T1_T2_jT3_P12ihipStream_tbPNSt15iterator_traitsISK_E10value_typeEPNSQ_ISL_E10value_typeEPSM_NS1_7vsmem_tEENKUlT_SK_SL_SM_E_clISE_PxSF_SF_EESJ_SZ_SK_SL_SM_EUlSZ_E1_NS1_11comp_targetILNS1_3genE5ELNS1_11target_archE942ELNS1_3gpuE9ELNS1_3repE0EEENS1_36merge_oddeven_config_static_selectorELNS0_4arch9wavefront6targetE1EEEvSL_,comdat
.Lfunc_end1452:
	.size	_ZN7rocprim17ROCPRIM_400000_NS6detail17trampoline_kernelINS0_14default_configENS1_38merge_sort_block_merge_config_selectorIxNS0_10empty_typeEEEZZNS1_27merge_sort_block_merge_implIS3_N6thrust23THRUST_200600_302600_NS6detail15normal_iteratorINS9_10device_ptrIxEEEEPS5_jNS1_19radix_merge_compareILb0ELb0ExNS0_19identity_decomposerEEEEE10hipError_tT0_T1_T2_jT3_P12ihipStream_tbPNSt15iterator_traitsISK_E10value_typeEPNSQ_ISL_E10value_typeEPSM_NS1_7vsmem_tEENKUlT_SK_SL_SM_E_clISE_PxSF_SF_EESJ_SZ_SK_SL_SM_EUlSZ_E1_NS1_11comp_targetILNS1_3genE5ELNS1_11target_archE942ELNS1_3gpuE9ELNS1_3repE0EEENS1_36merge_oddeven_config_static_selectorELNS0_4arch9wavefront6targetE1EEEvSL_, .Lfunc_end1452-_ZN7rocprim17ROCPRIM_400000_NS6detail17trampoline_kernelINS0_14default_configENS1_38merge_sort_block_merge_config_selectorIxNS0_10empty_typeEEEZZNS1_27merge_sort_block_merge_implIS3_N6thrust23THRUST_200600_302600_NS6detail15normal_iteratorINS9_10device_ptrIxEEEEPS5_jNS1_19radix_merge_compareILb0ELb0ExNS0_19identity_decomposerEEEEE10hipError_tT0_T1_T2_jT3_P12ihipStream_tbPNSt15iterator_traitsISK_E10value_typeEPNSQ_ISL_E10value_typeEPSM_NS1_7vsmem_tEENKUlT_SK_SL_SM_E_clISE_PxSF_SF_EESJ_SZ_SK_SL_SM_EUlSZ_E1_NS1_11comp_targetILNS1_3genE5ELNS1_11target_archE942ELNS1_3gpuE9ELNS1_3repE0EEENS1_36merge_oddeven_config_static_selectorELNS0_4arch9wavefront6targetE1EEEvSL_
                                        ; -- End function
	.section	.AMDGPU.csdata,"",@progbits
; Kernel info:
; codeLenInByte = 584
; NumSgprs: 25
; NumVgprs: 11
; NumAgprs: 0
; TotalNumVgprs: 11
; ScratchSize: 0
; MemoryBound: 0
; FloatMode: 240
; IeeeMode: 1
; LDSByteSize: 0 bytes/workgroup (compile time only)
; SGPRBlocks: 3
; VGPRBlocks: 1
; NumSGPRsForWavesPerEU: 25
; NumVGPRsForWavesPerEU: 11
; AccumOffset: 12
; Occupancy: 8
; WaveLimiterHint : 0
; COMPUTE_PGM_RSRC2:SCRATCH_EN: 0
; COMPUTE_PGM_RSRC2:USER_SGPR: 2
; COMPUTE_PGM_RSRC2:TRAP_HANDLER: 0
; COMPUTE_PGM_RSRC2:TGID_X_EN: 1
; COMPUTE_PGM_RSRC2:TGID_Y_EN: 0
; COMPUTE_PGM_RSRC2:TGID_Z_EN: 0
; COMPUTE_PGM_RSRC2:TIDIG_COMP_CNT: 0
; COMPUTE_PGM_RSRC3_GFX90A:ACCUM_OFFSET: 2
; COMPUTE_PGM_RSRC3_GFX90A:TG_SPLIT: 0
	.section	.text._ZN7rocprim17ROCPRIM_400000_NS6detail17trampoline_kernelINS0_14default_configENS1_38merge_sort_block_merge_config_selectorIxNS0_10empty_typeEEEZZNS1_27merge_sort_block_merge_implIS3_N6thrust23THRUST_200600_302600_NS6detail15normal_iteratorINS9_10device_ptrIxEEEEPS5_jNS1_19radix_merge_compareILb0ELb0ExNS0_19identity_decomposerEEEEE10hipError_tT0_T1_T2_jT3_P12ihipStream_tbPNSt15iterator_traitsISK_E10value_typeEPNSQ_ISL_E10value_typeEPSM_NS1_7vsmem_tEENKUlT_SK_SL_SM_E_clISE_PxSF_SF_EESJ_SZ_SK_SL_SM_EUlSZ_E1_NS1_11comp_targetILNS1_3genE4ELNS1_11target_archE910ELNS1_3gpuE8ELNS1_3repE0EEENS1_36merge_oddeven_config_static_selectorELNS0_4arch9wavefront6targetE1EEEvSL_,"axG",@progbits,_ZN7rocprim17ROCPRIM_400000_NS6detail17trampoline_kernelINS0_14default_configENS1_38merge_sort_block_merge_config_selectorIxNS0_10empty_typeEEEZZNS1_27merge_sort_block_merge_implIS3_N6thrust23THRUST_200600_302600_NS6detail15normal_iteratorINS9_10device_ptrIxEEEEPS5_jNS1_19radix_merge_compareILb0ELb0ExNS0_19identity_decomposerEEEEE10hipError_tT0_T1_T2_jT3_P12ihipStream_tbPNSt15iterator_traitsISK_E10value_typeEPNSQ_ISL_E10value_typeEPSM_NS1_7vsmem_tEENKUlT_SK_SL_SM_E_clISE_PxSF_SF_EESJ_SZ_SK_SL_SM_EUlSZ_E1_NS1_11comp_targetILNS1_3genE4ELNS1_11target_archE910ELNS1_3gpuE8ELNS1_3repE0EEENS1_36merge_oddeven_config_static_selectorELNS0_4arch9wavefront6targetE1EEEvSL_,comdat
	.protected	_ZN7rocprim17ROCPRIM_400000_NS6detail17trampoline_kernelINS0_14default_configENS1_38merge_sort_block_merge_config_selectorIxNS0_10empty_typeEEEZZNS1_27merge_sort_block_merge_implIS3_N6thrust23THRUST_200600_302600_NS6detail15normal_iteratorINS9_10device_ptrIxEEEEPS5_jNS1_19radix_merge_compareILb0ELb0ExNS0_19identity_decomposerEEEEE10hipError_tT0_T1_T2_jT3_P12ihipStream_tbPNSt15iterator_traitsISK_E10value_typeEPNSQ_ISL_E10value_typeEPSM_NS1_7vsmem_tEENKUlT_SK_SL_SM_E_clISE_PxSF_SF_EESJ_SZ_SK_SL_SM_EUlSZ_E1_NS1_11comp_targetILNS1_3genE4ELNS1_11target_archE910ELNS1_3gpuE8ELNS1_3repE0EEENS1_36merge_oddeven_config_static_selectorELNS0_4arch9wavefront6targetE1EEEvSL_ ; -- Begin function _ZN7rocprim17ROCPRIM_400000_NS6detail17trampoline_kernelINS0_14default_configENS1_38merge_sort_block_merge_config_selectorIxNS0_10empty_typeEEEZZNS1_27merge_sort_block_merge_implIS3_N6thrust23THRUST_200600_302600_NS6detail15normal_iteratorINS9_10device_ptrIxEEEEPS5_jNS1_19radix_merge_compareILb0ELb0ExNS0_19identity_decomposerEEEEE10hipError_tT0_T1_T2_jT3_P12ihipStream_tbPNSt15iterator_traitsISK_E10value_typeEPNSQ_ISL_E10value_typeEPSM_NS1_7vsmem_tEENKUlT_SK_SL_SM_E_clISE_PxSF_SF_EESJ_SZ_SK_SL_SM_EUlSZ_E1_NS1_11comp_targetILNS1_3genE4ELNS1_11target_archE910ELNS1_3gpuE8ELNS1_3repE0EEENS1_36merge_oddeven_config_static_selectorELNS0_4arch9wavefront6targetE1EEEvSL_
	.globl	_ZN7rocprim17ROCPRIM_400000_NS6detail17trampoline_kernelINS0_14default_configENS1_38merge_sort_block_merge_config_selectorIxNS0_10empty_typeEEEZZNS1_27merge_sort_block_merge_implIS3_N6thrust23THRUST_200600_302600_NS6detail15normal_iteratorINS9_10device_ptrIxEEEEPS5_jNS1_19radix_merge_compareILb0ELb0ExNS0_19identity_decomposerEEEEE10hipError_tT0_T1_T2_jT3_P12ihipStream_tbPNSt15iterator_traitsISK_E10value_typeEPNSQ_ISL_E10value_typeEPSM_NS1_7vsmem_tEENKUlT_SK_SL_SM_E_clISE_PxSF_SF_EESJ_SZ_SK_SL_SM_EUlSZ_E1_NS1_11comp_targetILNS1_3genE4ELNS1_11target_archE910ELNS1_3gpuE8ELNS1_3repE0EEENS1_36merge_oddeven_config_static_selectorELNS0_4arch9wavefront6targetE1EEEvSL_
	.p2align	8
	.type	_ZN7rocprim17ROCPRIM_400000_NS6detail17trampoline_kernelINS0_14default_configENS1_38merge_sort_block_merge_config_selectorIxNS0_10empty_typeEEEZZNS1_27merge_sort_block_merge_implIS3_N6thrust23THRUST_200600_302600_NS6detail15normal_iteratorINS9_10device_ptrIxEEEEPS5_jNS1_19radix_merge_compareILb0ELb0ExNS0_19identity_decomposerEEEEE10hipError_tT0_T1_T2_jT3_P12ihipStream_tbPNSt15iterator_traitsISK_E10value_typeEPNSQ_ISL_E10value_typeEPSM_NS1_7vsmem_tEENKUlT_SK_SL_SM_E_clISE_PxSF_SF_EESJ_SZ_SK_SL_SM_EUlSZ_E1_NS1_11comp_targetILNS1_3genE4ELNS1_11target_archE910ELNS1_3gpuE8ELNS1_3repE0EEENS1_36merge_oddeven_config_static_selectorELNS0_4arch9wavefront6targetE1EEEvSL_,@function
_ZN7rocprim17ROCPRIM_400000_NS6detail17trampoline_kernelINS0_14default_configENS1_38merge_sort_block_merge_config_selectorIxNS0_10empty_typeEEEZZNS1_27merge_sort_block_merge_implIS3_N6thrust23THRUST_200600_302600_NS6detail15normal_iteratorINS9_10device_ptrIxEEEEPS5_jNS1_19radix_merge_compareILb0ELb0ExNS0_19identity_decomposerEEEEE10hipError_tT0_T1_T2_jT3_P12ihipStream_tbPNSt15iterator_traitsISK_E10value_typeEPNSQ_ISL_E10value_typeEPSM_NS1_7vsmem_tEENKUlT_SK_SL_SM_E_clISE_PxSF_SF_EESJ_SZ_SK_SL_SM_EUlSZ_E1_NS1_11comp_targetILNS1_3genE4ELNS1_11target_archE910ELNS1_3gpuE8ELNS1_3repE0EEENS1_36merge_oddeven_config_static_selectorELNS0_4arch9wavefront6targetE1EEEvSL_: ; @_ZN7rocprim17ROCPRIM_400000_NS6detail17trampoline_kernelINS0_14default_configENS1_38merge_sort_block_merge_config_selectorIxNS0_10empty_typeEEEZZNS1_27merge_sort_block_merge_implIS3_N6thrust23THRUST_200600_302600_NS6detail15normal_iteratorINS9_10device_ptrIxEEEEPS5_jNS1_19radix_merge_compareILb0ELb0ExNS0_19identity_decomposerEEEEE10hipError_tT0_T1_T2_jT3_P12ihipStream_tbPNSt15iterator_traitsISK_E10value_typeEPNSQ_ISL_E10value_typeEPSM_NS1_7vsmem_tEENKUlT_SK_SL_SM_E_clISE_PxSF_SF_EESJ_SZ_SK_SL_SM_EUlSZ_E1_NS1_11comp_targetILNS1_3genE4ELNS1_11target_archE910ELNS1_3gpuE8ELNS1_3repE0EEENS1_36merge_oddeven_config_static_selectorELNS0_4arch9wavefront6targetE1EEEvSL_
; %bb.0:
	.section	.rodata,"a",@progbits
	.p2align	6, 0x0
	.amdhsa_kernel _ZN7rocprim17ROCPRIM_400000_NS6detail17trampoline_kernelINS0_14default_configENS1_38merge_sort_block_merge_config_selectorIxNS0_10empty_typeEEEZZNS1_27merge_sort_block_merge_implIS3_N6thrust23THRUST_200600_302600_NS6detail15normal_iteratorINS9_10device_ptrIxEEEEPS5_jNS1_19radix_merge_compareILb0ELb0ExNS0_19identity_decomposerEEEEE10hipError_tT0_T1_T2_jT3_P12ihipStream_tbPNSt15iterator_traitsISK_E10value_typeEPNSQ_ISL_E10value_typeEPSM_NS1_7vsmem_tEENKUlT_SK_SL_SM_E_clISE_PxSF_SF_EESJ_SZ_SK_SL_SM_EUlSZ_E1_NS1_11comp_targetILNS1_3genE4ELNS1_11target_archE910ELNS1_3gpuE8ELNS1_3repE0EEENS1_36merge_oddeven_config_static_selectorELNS0_4arch9wavefront6targetE1EEEvSL_
		.amdhsa_group_segment_fixed_size 0
		.amdhsa_private_segment_fixed_size 0
		.amdhsa_kernarg_size 48
		.amdhsa_user_sgpr_count 2
		.amdhsa_user_sgpr_dispatch_ptr 0
		.amdhsa_user_sgpr_queue_ptr 0
		.amdhsa_user_sgpr_kernarg_segment_ptr 1
		.amdhsa_user_sgpr_dispatch_id 0
		.amdhsa_user_sgpr_kernarg_preload_length 0
		.amdhsa_user_sgpr_kernarg_preload_offset 0
		.amdhsa_user_sgpr_private_segment_size 0
		.amdhsa_uses_dynamic_stack 0
		.amdhsa_enable_private_segment 0
		.amdhsa_system_sgpr_workgroup_id_x 1
		.amdhsa_system_sgpr_workgroup_id_y 0
		.amdhsa_system_sgpr_workgroup_id_z 0
		.amdhsa_system_sgpr_workgroup_info 0
		.amdhsa_system_vgpr_workitem_id 0
		.amdhsa_next_free_vgpr 1
		.amdhsa_next_free_sgpr 0
		.amdhsa_accum_offset 4
		.amdhsa_reserve_vcc 0
		.amdhsa_float_round_mode_32 0
		.amdhsa_float_round_mode_16_64 0
		.amdhsa_float_denorm_mode_32 3
		.amdhsa_float_denorm_mode_16_64 3
		.amdhsa_dx10_clamp 1
		.amdhsa_ieee_mode 1
		.amdhsa_fp16_overflow 0
		.amdhsa_tg_split 0
		.amdhsa_exception_fp_ieee_invalid_op 0
		.amdhsa_exception_fp_denorm_src 0
		.amdhsa_exception_fp_ieee_div_zero 0
		.amdhsa_exception_fp_ieee_overflow 0
		.amdhsa_exception_fp_ieee_underflow 0
		.amdhsa_exception_fp_ieee_inexact 0
		.amdhsa_exception_int_div_zero 0
	.end_amdhsa_kernel
	.section	.text._ZN7rocprim17ROCPRIM_400000_NS6detail17trampoline_kernelINS0_14default_configENS1_38merge_sort_block_merge_config_selectorIxNS0_10empty_typeEEEZZNS1_27merge_sort_block_merge_implIS3_N6thrust23THRUST_200600_302600_NS6detail15normal_iteratorINS9_10device_ptrIxEEEEPS5_jNS1_19radix_merge_compareILb0ELb0ExNS0_19identity_decomposerEEEEE10hipError_tT0_T1_T2_jT3_P12ihipStream_tbPNSt15iterator_traitsISK_E10value_typeEPNSQ_ISL_E10value_typeEPSM_NS1_7vsmem_tEENKUlT_SK_SL_SM_E_clISE_PxSF_SF_EESJ_SZ_SK_SL_SM_EUlSZ_E1_NS1_11comp_targetILNS1_3genE4ELNS1_11target_archE910ELNS1_3gpuE8ELNS1_3repE0EEENS1_36merge_oddeven_config_static_selectorELNS0_4arch9wavefront6targetE1EEEvSL_,"axG",@progbits,_ZN7rocprim17ROCPRIM_400000_NS6detail17trampoline_kernelINS0_14default_configENS1_38merge_sort_block_merge_config_selectorIxNS0_10empty_typeEEEZZNS1_27merge_sort_block_merge_implIS3_N6thrust23THRUST_200600_302600_NS6detail15normal_iteratorINS9_10device_ptrIxEEEEPS5_jNS1_19radix_merge_compareILb0ELb0ExNS0_19identity_decomposerEEEEE10hipError_tT0_T1_T2_jT3_P12ihipStream_tbPNSt15iterator_traitsISK_E10value_typeEPNSQ_ISL_E10value_typeEPSM_NS1_7vsmem_tEENKUlT_SK_SL_SM_E_clISE_PxSF_SF_EESJ_SZ_SK_SL_SM_EUlSZ_E1_NS1_11comp_targetILNS1_3genE4ELNS1_11target_archE910ELNS1_3gpuE8ELNS1_3repE0EEENS1_36merge_oddeven_config_static_selectorELNS0_4arch9wavefront6targetE1EEEvSL_,comdat
.Lfunc_end1453:
	.size	_ZN7rocprim17ROCPRIM_400000_NS6detail17trampoline_kernelINS0_14default_configENS1_38merge_sort_block_merge_config_selectorIxNS0_10empty_typeEEEZZNS1_27merge_sort_block_merge_implIS3_N6thrust23THRUST_200600_302600_NS6detail15normal_iteratorINS9_10device_ptrIxEEEEPS5_jNS1_19radix_merge_compareILb0ELb0ExNS0_19identity_decomposerEEEEE10hipError_tT0_T1_T2_jT3_P12ihipStream_tbPNSt15iterator_traitsISK_E10value_typeEPNSQ_ISL_E10value_typeEPSM_NS1_7vsmem_tEENKUlT_SK_SL_SM_E_clISE_PxSF_SF_EESJ_SZ_SK_SL_SM_EUlSZ_E1_NS1_11comp_targetILNS1_3genE4ELNS1_11target_archE910ELNS1_3gpuE8ELNS1_3repE0EEENS1_36merge_oddeven_config_static_selectorELNS0_4arch9wavefront6targetE1EEEvSL_, .Lfunc_end1453-_ZN7rocprim17ROCPRIM_400000_NS6detail17trampoline_kernelINS0_14default_configENS1_38merge_sort_block_merge_config_selectorIxNS0_10empty_typeEEEZZNS1_27merge_sort_block_merge_implIS3_N6thrust23THRUST_200600_302600_NS6detail15normal_iteratorINS9_10device_ptrIxEEEEPS5_jNS1_19radix_merge_compareILb0ELb0ExNS0_19identity_decomposerEEEEE10hipError_tT0_T1_T2_jT3_P12ihipStream_tbPNSt15iterator_traitsISK_E10value_typeEPNSQ_ISL_E10value_typeEPSM_NS1_7vsmem_tEENKUlT_SK_SL_SM_E_clISE_PxSF_SF_EESJ_SZ_SK_SL_SM_EUlSZ_E1_NS1_11comp_targetILNS1_3genE4ELNS1_11target_archE910ELNS1_3gpuE8ELNS1_3repE0EEENS1_36merge_oddeven_config_static_selectorELNS0_4arch9wavefront6targetE1EEEvSL_
                                        ; -- End function
	.section	.AMDGPU.csdata,"",@progbits
; Kernel info:
; codeLenInByte = 0
; NumSgprs: 6
; NumVgprs: 0
; NumAgprs: 0
; TotalNumVgprs: 0
; ScratchSize: 0
; MemoryBound: 0
; FloatMode: 240
; IeeeMode: 1
; LDSByteSize: 0 bytes/workgroup (compile time only)
; SGPRBlocks: 0
; VGPRBlocks: 0
; NumSGPRsForWavesPerEU: 6
; NumVGPRsForWavesPerEU: 1
; AccumOffset: 4
; Occupancy: 8
; WaveLimiterHint : 0
; COMPUTE_PGM_RSRC2:SCRATCH_EN: 0
; COMPUTE_PGM_RSRC2:USER_SGPR: 2
; COMPUTE_PGM_RSRC2:TRAP_HANDLER: 0
; COMPUTE_PGM_RSRC2:TGID_X_EN: 1
; COMPUTE_PGM_RSRC2:TGID_Y_EN: 0
; COMPUTE_PGM_RSRC2:TGID_Z_EN: 0
; COMPUTE_PGM_RSRC2:TIDIG_COMP_CNT: 0
; COMPUTE_PGM_RSRC3_GFX90A:ACCUM_OFFSET: 0
; COMPUTE_PGM_RSRC3_GFX90A:TG_SPLIT: 0
	.section	.text._ZN7rocprim17ROCPRIM_400000_NS6detail17trampoline_kernelINS0_14default_configENS1_38merge_sort_block_merge_config_selectorIxNS0_10empty_typeEEEZZNS1_27merge_sort_block_merge_implIS3_N6thrust23THRUST_200600_302600_NS6detail15normal_iteratorINS9_10device_ptrIxEEEEPS5_jNS1_19radix_merge_compareILb0ELb0ExNS0_19identity_decomposerEEEEE10hipError_tT0_T1_T2_jT3_P12ihipStream_tbPNSt15iterator_traitsISK_E10value_typeEPNSQ_ISL_E10value_typeEPSM_NS1_7vsmem_tEENKUlT_SK_SL_SM_E_clISE_PxSF_SF_EESJ_SZ_SK_SL_SM_EUlSZ_E1_NS1_11comp_targetILNS1_3genE3ELNS1_11target_archE908ELNS1_3gpuE7ELNS1_3repE0EEENS1_36merge_oddeven_config_static_selectorELNS0_4arch9wavefront6targetE1EEEvSL_,"axG",@progbits,_ZN7rocprim17ROCPRIM_400000_NS6detail17trampoline_kernelINS0_14default_configENS1_38merge_sort_block_merge_config_selectorIxNS0_10empty_typeEEEZZNS1_27merge_sort_block_merge_implIS3_N6thrust23THRUST_200600_302600_NS6detail15normal_iteratorINS9_10device_ptrIxEEEEPS5_jNS1_19radix_merge_compareILb0ELb0ExNS0_19identity_decomposerEEEEE10hipError_tT0_T1_T2_jT3_P12ihipStream_tbPNSt15iterator_traitsISK_E10value_typeEPNSQ_ISL_E10value_typeEPSM_NS1_7vsmem_tEENKUlT_SK_SL_SM_E_clISE_PxSF_SF_EESJ_SZ_SK_SL_SM_EUlSZ_E1_NS1_11comp_targetILNS1_3genE3ELNS1_11target_archE908ELNS1_3gpuE7ELNS1_3repE0EEENS1_36merge_oddeven_config_static_selectorELNS0_4arch9wavefront6targetE1EEEvSL_,comdat
	.protected	_ZN7rocprim17ROCPRIM_400000_NS6detail17trampoline_kernelINS0_14default_configENS1_38merge_sort_block_merge_config_selectorIxNS0_10empty_typeEEEZZNS1_27merge_sort_block_merge_implIS3_N6thrust23THRUST_200600_302600_NS6detail15normal_iteratorINS9_10device_ptrIxEEEEPS5_jNS1_19radix_merge_compareILb0ELb0ExNS0_19identity_decomposerEEEEE10hipError_tT0_T1_T2_jT3_P12ihipStream_tbPNSt15iterator_traitsISK_E10value_typeEPNSQ_ISL_E10value_typeEPSM_NS1_7vsmem_tEENKUlT_SK_SL_SM_E_clISE_PxSF_SF_EESJ_SZ_SK_SL_SM_EUlSZ_E1_NS1_11comp_targetILNS1_3genE3ELNS1_11target_archE908ELNS1_3gpuE7ELNS1_3repE0EEENS1_36merge_oddeven_config_static_selectorELNS0_4arch9wavefront6targetE1EEEvSL_ ; -- Begin function _ZN7rocprim17ROCPRIM_400000_NS6detail17trampoline_kernelINS0_14default_configENS1_38merge_sort_block_merge_config_selectorIxNS0_10empty_typeEEEZZNS1_27merge_sort_block_merge_implIS3_N6thrust23THRUST_200600_302600_NS6detail15normal_iteratorINS9_10device_ptrIxEEEEPS5_jNS1_19radix_merge_compareILb0ELb0ExNS0_19identity_decomposerEEEEE10hipError_tT0_T1_T2_jT3_P12ihipStream_tbPNSt15iterator_traitsISK_E10value_typeEPNSQ_ISL_E10value_typeEPSM_NS1_7vsmem_tEENKUlT_SK_SL_SM_E_clISE_PxSF_SF_EESJ_SZ_SK_SL_SM_EUlSZ_E1_NS1_11comp_targetILNS1_3genE3ELNS1_11target_archE908ELNS1_3gpuE7ELNS1_3repE0EEENS1_36merge_oddeven_config_static_selectorELNS0_4arch9wavefront6targetE1EEEvSL_
	.globl	_ZN7rocprim17ROCPRIM_400000_NS6detail17trampoline_kernelINS0_14default_configENS1_38merge_sort_block_merge_config_selectorIxNS0_10empty_typeEEEZZNS1_27merge_sort_block_merge_implIS3_N6thrust23THRUST_200600_302600_NS6detail15normal_iteratorINS9_10device_ptrIxEEEEPS5_jNS1_19radix_merge_compareILb0ELb0ExNS0_19identity_decomposerEEEEE10hipError_tT0_T1_T2_jT3_P12ihipStream_tbPNSt15iterator_traitsISK_E10value_typeEPNSQ_ISL_E10value_typeEPSM_NS1_7vsmem_tEENKUlT_SK_SL_SM_E_clISE_PxSF_SF_EESJ_SZ_SK_SL_SM_EUlSZ_E1_NS1_11comp_targetILNS1_3genE3ELNS1_11target_archE908ELNS1_3gpuE7ELNS1_3repE0EEENS1_36merge_oddeven_config_static_selectorELNS0_4arch9wavefront6targetE1EEEvSL_
	.p2align	8
	.type	_ZN7rocprim17ROCPRIM_400000_NS6detail17trampoline_kernelINS0_14default_configENS1_38merge_sort_block_merge_config_selectorIxNS0_10empty_typeEEEZZNS1_27merge_sort_block_merge_implIS3_N6thrust23THRUST_200600_302600_NS6detail15normal_iteratorINS9_10device_ptrIxEEEEPS5_jNS1_19radix_merge_compareILb0ELb0ExNS0_19identity_decomposerEEEEE10hipError_tT0_T1_T2_jT3_P12ihipStream_tbPNSt15iterator_traitsISK_E10value_typeEPNSQ_ISL_E10value_typeEPSM_NS1_7vsmem_tEENKUlT_SK_SL_SM_E_clISE_PxSF_SF_EESJ_SZ_SK_SL_SM_EUlSZ_E1_NS1_11comp_targetILNS1_3genE3ELNS1_11target_archE908ELNS1_3gpuE7ELNS1_3repE0EEENS1_36merge_oddeven_config_static_selectorELNS0_4arch9wavefront6targetE1EEEvSL_,@function
_ZN7rocprim17ROCPRIM_400000_NS6detail17trampoline_kernelINS0_14default_configENS1_38merge_sort_block_merge_config_selectorIxNS0_10empty_typeEEEZZNS1_27merge_sort_block_merge_implIS3_N6thrust23THRUST_200600_302600_NS6detail15normal_iteratorINS9_10device_ptrIxEEEEPS5_jNS1_19radix_merge_compareILb0ELb0ExNS0_19identity_decomposerEEEEE10hipError_tT0_T1_T2_jT3_P12ihipStream_tbPNSt15iterator_traitsISK_E10value_typeEPNSQ_ISL_E10value_typeEPSM_NS1_7vsmem_tEENKUlT_SK_SL_SM_E_clISE_PxSF_SF_EESJ_SZ_SK_SL_SM_EUlSZ_E1_NS1_11comp_targetILNS1_3genE3ELNS1_11target_archE908ELNS1_3gpuE7ELNS1_3repE0EEENS1_36merge_oddeven_config_static_selectorELNS0_4arch9wavefront6targetE1EEEvSL_: ; @_ZN7rocprim17ROCPRIM_400000_NS6detail17trampoline_kernelINS0_14default_configENS1_38merge_sort_block_merge_config_selectorIxNS0_10empty_typeEEEZZNS1_27merge_sort_block_merge_implIS3_N6thrust23THRUST_200600_302600_NS6detail15normal_iteratorINS9_10device_ptrIxEEEEPS5_jNS1_19radix_merge_compareILb0ELb0ExNS0_19identity_decomposerEEEEE10hipError_tT0_T1_T2_jT3_P12ihipStream_tbPNSt15iterator_traitsISK_E10value_typeEPNSQ_ISL_E10value_typeEPSM_NS1_7vsmem_tEENKUlT_SK_SL_SM_E_clISE_PxSF_SF_EESJ_SZ_SK_SL_SM_EUlSZ_E1_NS1_11comp_targetILNS1_3genE3ELNS1_11target_archE908ELNS1_3gpuE7ELNS1_3repE0EEENS1_36merge_oddeven_config_static_selectorELNS0_4arch9wavefront6targetE1EEEvSL_
; %bb.0:
	.section	.rodata,"a",@progbits
	.p2align	6, 0x0
	.amdhsa_kernel _ZN7rocprim17ROCPRIM_400000_NS6detail17trampoline_kernelINS0_14default_configENS1_38merge_sort_block_merge_config_selectorIxNS0_10empty_typeEEEZZNS1_27merge_sort_block_merge_implIS3_N6thrust23THRUST_200600_302600_NS6detail15normal_iteratorINS9_10device_ptrIxEEEEPS5_jNS1_19radix_merge_compareILb0ELb0ExNS0_19identity_decomposerEEEEE10hipError_tT0_T1_T2_jT3_P12ihipStream_tbPNSt15iterator_traitsISK_E10value_typeEPNSQ_ISL_E10value_typeEPSM_NS1_7vsmem_tEENKUlT_SK_SL_SM_E_clISE_PxSF_SF_EESJ_SZ_SK_SL_SM_EUlSZ_E1_NS1_11comp_targetILNS1_3genE3ELNS1_11target_archE908ELNS1_3gpuE7ELNS1_3repE0EEENS1_36merge_oddeven_config_static_selectorELNS0_4arch9wavefront6targetE1EEEvSL_
		.amdhsa_group_segment_fixed_size 0
		.amdhsa_private_segment_fixed_size 0
		.amdhsa_kernarg_size 48
		.amdhsa_user_sgpr_count 2
		.amdhsa_user_sgpr_dispatch_ptr 0
		.amdhsa_user_sgpr_queue_ptr 0
		.amdhsa_user_sgpr_kernarg_segment_ptr 1
		.amdhsa_user_sgpr_dispatch_id 0
		.amdhsa_user_sgpr_kernarg_preload_length 0
		.amdhsa_user_sgpr_kernarg_preload_offset 0
		.amdhsa_user_sgpr_private_segment_size 0
		.amdhsa_uses_dynamic_stack 0
		.amdhsa_enable_private_segment 0
		.amdhsa_system_sgpr_workgroup_id_x 1
		.amdhsa_system_sgpr_workgroup_id_y 0
		.amdhsa_system_sgpr_workgroup_id_z 0
		.amdhsa_system_sgpr_workgroup_info 0
		.amdhsa_system_vgpr_workitem_id 0
		.amdhsa_next_free_vgpr 1
		.amdhsa_next_free_sgpr 0
		.amdhsa_accum_offset 4
		.amdhsa_reserve_vcc 0
		.amdhsa_float_round_mode_32 0
		.amdhsa_float_round_mode_16_64 0
		.amdhsa_float_denorm_mode_32 3
		.amdhsa_float_denorm_mode_16_64 3
		.amdhsa_dx10_clamp 1
		.amdhsa_ieee_mode 1
		.amdhsa_fp16_overflow 0
		.amdhsa_tg_split 0
		.amdhsa_exception_fp_ieee_invalid_op 0
		.amdhsa_exception_fp_denorm_src 0
		.amdhsa_exception_fp_ieee_div_zero 0
		.amdhsa_exception_fp_ieee_overflow 0
		.amdhsa_exception_fp_ieee_underflow 0
		.amdhsa_exception_fp_ieee_inexact 0
		.amdhsa_exception_int_div_zero 0
	.end_amdhsa_kernel
	.section	.text._ZN7rocprim17ROCPRIM_400000_NS6detail17trampoline_kernelINS0_14default_configENS1_38merge_sort_block_merge_config_selectorIxNS0_10empty_typeEEEZZNS1_27merge_sort_block_merge_implIS3_N6thrust23THRUST_200600_302600_NS6detail15normal_iteratorINS9_10device_ptrIxEEEEPS5_jNS1_19radix_merge_compareILb0ELb0ExNS0_19identity_decomposerEEEEE10hipError_tT0_T1_T2_jT3_P12ihipStream_tbPNSt15iterator_traitsISK_E10value_typeEPNSQ_ISL_E10value_typeEPSM_NS1_7vsmem_tEENKUlT_SK_SL_SM_E_clISE_PxSF_SF_EESJ_SZ_SK_SL_SM_EUlSZ_E1_NS1_11comp_targetILNS1_3genE3ELNS1_11target_archE908ELNS1_3gpuE7ELNS1_3repE0EEENS1_36merge_oddeven_config_static_selectorELNS0_4arch9wavefront6targetE1EEEvSL_,"axG",@progbits,_ZN7rocprim17ROCPRIM_400000_NS6detail17trampoline_kernelINS0_14default_configENS1_38merge_sort_block_merge_config_selectorIxNS0_10empty_typeEEEZZNS1_27merge_sort_block_merge_implIS3_N6thrust23THRUST_200600_302600_NS6detail15normal_iteratorINS9_10device_ptrIxEEEEPS5_jNS1_19radix_merge_compareILb0ELb0ExNS0_19identity_decomposerEEEEE10hipError_tT0_T1_T2_jT3_P12ihipStream_tbPNSt15iterator_traitsISK_E10value_typeEPNSQ_ISL_E10value_typeEPSM_NS1_7vsmem_tEENKUlT_SK_SL_SM_E_clISE_PxSF_SF_EESJ_SZ_SK_SL_SM_EUlSZ_E1_NS1_11comp_targetILNS1_3genE3ELNS1_11target_archE908ELNS1_3gpuE7ELNS1_3repE0EEENS1_36merge_oddeven_config_static_selectorELNS0_4arch9wavefront6targetE1EEEvSL_,comdat
.Lfunc_end1454:
	.size	_ZN7rocprim17ROCPRIM_400000_NS6detail17trampoline_kernelINS0_14default_configENS1_38merge_sort_block_merge_config_selectorIxNS0_10empty_typeEEEZZNS1_27merge_sort_block_merge_implIS3_N6thrust23THRUST_200600_302600_NS6detail15normal_iteratorINS9_10device_ptrIxEEEEPS5_jNS1_19radix_merge_compareILb0ELb0ExNS0_19identity_decomposerEEEEE10hipError_tT0_T1_T2_jT3_P12ihipStream_tbPNSt15iterator_traitsISK_E10value_typeEPNSQ_ISL_E10value_typeEPSM_NS1_7vsmem_tEENKUlT_SK_SL_SM_E_clISE_PxSF_SF_EESJ_SZ_SK_SL_SM_EUlSZ_E1_NS1_11comp_targetILNS1_3genE3ELNS1_11target_archE908ELNS1_3gpuE7ELNS1_3repE0EEENS1_36merge_oddeven_config_static_selectorELNS0_4arch9wavefront6targetE1EEEvSL_, .Lfunc_end1454-_ZN7rocprim17ROCPRIM_400000_NS6detail17trampoline_kernelINS0_14default_configENS1_38merge_sort_block_merge_config_selectorIxNS0_10empty_typeEEEZZNS1_27merge_sort_block_merge_implIS3_N6thrust23THRUST_200600_302600_NS6detail15normal_iteratorINS9_10device_ptrIxEEEEPS5_jNS1_19radix_merge_compareILb0ELb0ExNS0_19identity_decomposerEEEEE10hipError_tT0_T1_T2_jT3_P12ihipStream_tbPNSt15iterator_traitsISK_E10value_typeEPNSQ_ISL_E10value_typeEPSM_NS1_7vsmem_tEENKUlT_SK_SL_SM_E_clISE_PxSF_SF_EESJ_SZ_SK_SL_SM_EUlSZ_E1_NS1_11comp_targetILNS1_3genE3ELNS1_11target_archE908ELNS1_3gpuE7ELNS1_3repE0EEENS1_36merge_oddeven_config_static_selectorELNS0_4arch9wavefront6targetE1EEEvSL_
                                        ; -- End function
	.section	.AMDGPU.csdata,"",@progbits
; Kernel info:
; codeLenInByte = 0
; NumSgprs: 6
; NumVgprs: 0
; NumAgprs: 0
; TotalNumVgprs: 0
; ScratchSize: 0
; MemoryBound: 0
; FloatMode: 240
; IeeeMode: 1
; LDSByteSize: 0 bytes/workgroup (compile time only)
; SGPRBlocks: 0
; VGPRBlocks: 0
; NumSGPRsForWavesPerEU: 6
; NumVGPRsForWavesPerEU: 1
; AccumOffset: 4
; Occupancy: 8
; WaveLimiterHint : 0
; COMPUTE_PGM_RSRC2:SCRATCH_EN: 0
; COMPUTE_PGM_RSRC2:USER_SGPR: 2
; COMPUTE_PGM_RSRC2:TRAP_HANDLER: 0
; COMPUTE_PGM_RSRC2:TGID_X_EN: 1
; COMPUTE_PGM_RSRC2:TGID_Y_EN: 0
; COMPUTE_PGM_RSRC2:TGID_Z_EN: 0
; COMPUTE_PGM_RSRC2:TIDIG_COMP_CNT: 0
; COMPUTE_PGM_RSRC3_GFX90A:ACCUM_OFFSET: 0
; COMPUTE_PGM_RSRC3_GFX90A:TG_SPLIT: 0
	.section	.text._ZN7rocprim17ROCPRIM_400000_NS6detail17trampoline_kernelINS0_14default_configENS1_38merge_sort_block_merge_config_selectorIxNS0_10empty_typeEEEZZNS1_27merge_sort_block_merge_implIS3_N6thrust23THRUST_200600_302600_NS6detail15normal_iteratorINS9_10device_ptrIxEEEEPS5_jNS1_19radix_merge_compareILb0ELb0ExNS0_19identity_decomposerEEEEE10hipError_tT0_T1_T2_jT3_P12ihipStream_tbPNSt15iterator_traitsISK_E10value_typeEPNSQ_ISL_E10value_typeEPSM_NS1_7vsmem_tEENKUlT_SK_SL_SM_E_clISE_PxSF_SF_EESJ_SZ_SK_SL_SM_EUlSZ_E1_NS1_11comp_targetILNS1_3genE2ELNS1_11target_archE906ELNS1_3gpuE6ELNS1_3repE0EEENS1_36merge_oddeven_config_static_selectorELNS0_4arch9wavefront6targetE1EEEvSL_,"axG",@progbits,_ZN7rocprim17ROCPRIM_400000_NS6detail17trampoline_kernelINS0_14default_configENS1_38merge_sort_block_merge_config_selectorIxNS0_10empty_typeEEEZZNS1_27merge_sort_block_merge_implIS3_N6thrust23THRUST_200600_302600_NS6detail15normal_iteratorINS9_10device_ptrIxEEEEPS5_jNS1_19radix_merge_compareILb0ELb0ExNS0_19identity_decomposerEEEEE10hipError_tT0_T1_T2_jT3_P12ihipStream_tbPNSt15iterator_traitsISK_E10value_typeEPNSQ_ISL_E10value_typeEPSM_NS1_7vsmem_tEENKUlT_SK_SL_SM_E_clISE_PxSF_SF_EESJ_SZ_SK_SL_SM_EUlSZ_E1_NS1_11comp_targetILNS1_3genE2ELNS1_11target_archE906ELNS1_3gpuE6ELNS1_3repE0EEENS1_36merge_oddeven_config_static_selectorELNS0_4arch9wavefront6targetE1EEEvSL_,comdat
	.protected	_ZN7rocprim17ROCPRIM_400000_NS6detail17trampoline_kernelINS0_14default_configENS1_38merge_sort_block_merge_config_selectorIxNS0_10empty_typeEEEZZNS1_27merge_sort_block_merge_implIS3_N6thrust23THRUST_200600_302600_NS6detail15normal_iteratorINS9_10device_ptrIxEEEEPS5_jNS1_19radix_merge_compareILb0ELb0ExNS0_19identity_decomposerEEEEE10hipError_tT0_T1_T2_jT3_P12ihipStream_tbPNSt15iterator_traitsISK_E10value_typeEPNSQ_ISL_E10value_typeEPSM_NS1_7vsmem_tEENKUlT_SK_SL_SM_E_clISE_PxSF_SF_EESJ_SZ_SK_SL_SM_EUlSZ_E1_NS1_11comp_targetILNS1_3genE2ELNS1_11target_archE906ELNS1_3gpuE6ELNS1_3repE0EEENS1_36merge_oddeven_config_static_selectorELNS0_4arch9wavefront6targetE1EEEvSL_ ; -- Begin function _ZN7rocprim17ROCPRIM_400000_NS6detail17trampoline_kernelINS0_14default_configENS1_38merge_sort_block_merge_config_selectorIxNS0_10empty_typeEEEZZNS1_27merge_sort_block_merge_implIS3_N6thrust23THRUST_200600_302600_NS6detail15normal_iteratorINS9_10device_ptrIxEEEEPS5_jNS1_19radix_merge_compareILb0ELb0ExNS0_19identity_decomposerEEEEE10hipError_tT0_T1_T2_jT3_P12ihipStream_tbPNSt15iterator_traitsISK_E10value_typeEPNSQ_ISL_E10value_typeEPSM_NS1_7vsmem_tEENKUlT_SK_SL_SM_E_clISE_PxSF_SF_EESJ_SZ_SK_SL_SM_EUlSZ_E1_NS1_11comp_targetILNS1_3genE2ELNS1_11target_archE906ELNS1_3gpuE6ELNS1_3repE0EEENS1_36merge_oddeven_config_static_selectorELNS0_4arch9wavefront6targetE1EEEvSL_
	.globl	_ZN7rocprim17ROCPRIM_400000_NS6detail17trampoline_kernelINS0_14default_configENS1_38merge_sort_block_merge_config_selectorIxNS0_10empty_typeEEEZZNS1_27merge_sort_block_merge_implIS3_N6thrust23THRUST_200600_302600_NS6detail15normal_iteratorINS9_10device_ptrIxEEEEPS5_jNS1_19radix_merge_compareILb0ELb0ExNS0_19identity_decomposerEEEEE10hipError_tT0_T1_T2_jT3_P12ihipStream_tbPNSt15iterator_traitsISK_E10value_typeEPNSQ_ISL_E10value_typeEPSM_NS1_7vsmem_tEENKUlT_SK_SL_SM_E_clISE_PxSF_SF_EESJ_SZ_SK_SL_SM_EUlSZ_E1_NS1_11comp_targetILNS1_3genE2ELNS1_11target_archE906ELNS1_3gpuE6ELNS1_3repE0EEENS1_36merge_oddeven_config_static_selectorELNS0_4arch9wavefront6targetE1EEEvSL_
	.p2align	8
	.type	_ZN7rocprim17ROCPRIM_400000_NS6detail17trampoline_kernelINS0_14default_configENS1_38merge_sort_block_merge_config_selectorIxNS0_10empty_typeEEEZZNS1_27merge_sort_block_merge_implIS3_N6thrust23THRUST_200600_302600_NS6detail15normal_iteratorINS9_10device_ptrIxEEEEPS5_jNS1_19radix_merge_compareILb0ELb0ExNS0_19identity_decomposerEEEEE10hipError_tT0_T1_T2_jT3_P12ihipStream_tbPNSt15iterator_traitsISK_E10value_typeEPNSQ_ISL_E10value_typeEPSM_NS1_7vsmem_tEENKUlT_SK_SL_SM_E_clISE_PxSF_SF_EESJ_SZ_SK_SL_SM_EUlSZ_E1_NS1_11comp_targetILNS1_3genE2ELNS1_11target_archE906ELNS1_3gpuE6ELNS1_3repE0EEENS1_36merge_oddeven_config_static_selectorELNS0_4arch9wavefront6targetE1EEEvSL_,@function
_ZN7rocprim17ROCPRIM_400000_NS6detail17trampoline_kernelINS0_14default_configENS1_38merge_sort_block_merge_config_selectorIxNS0_10empty_typeEEEZZNS1_27merge_sort_block_merge_implIS3_N6thrust23THRUST_200600_302600_NS6detail15normal_iteratorINS9_10device_ptrIxEEEEPS5_jNS1_19radix_merge_compareILb0ELb0ExNS0_19identity_decomposerEEEEE10hipError_tT0_T1_T2_jT3_P12ihipStream_tbPNSt15iterator_traitsISK_E10value_typeEPNSQ_ISL_E10value_typeEPSM_NS1_7vsmem_tEENKUlT_SK_SL_SM_E_clISE_PxSF_SF_EESJ_SZ_SK_SL_SM_EUlSZ_E1_NS1_11comp_targetILNS1_3genE2ELNS1_11target_archE906ELNS1_3gpuE6ELNS1_3repE0EEENS1_36merge_oddeven_config_static_selectorELNS0_4arch9wavefront6targetE1EEEvSL_: ; @_ZN7rocprim17ROCPRIM_400000_NS6detail17trampoline_kernelINS0_14default_configENS1_38merge_sort_block_merge_config_selectorIxNS0_10empty_typeEEEZZNS1_27merge_sort_block_merge_implIS3_N6thrust23THRUST_200600_302600_NS6detail15normal_iteratorINS9_10device_ptrIxEEEEPS5_jNS1_19radix_merge_compareILb0ELb0ExNS0_19identity_decomposerEEEEE10hipError_tT0_T1_T2_jT3_P12ihipStream_tbPNSt15iterator_traitsISK_E10value_typeEPNSQ_ISL_E10value_typeEPSM_NS1_7vsmem_tEENKUlT_SK_SL_SM_E_clISE_PxSF_SF_EESJ_SZ_SK_SL_SM_EUlSZ_E1_NS1_11comp_targetILNS1_3genE2ELNS1_11target_archE906ELNS1_3gpuE6ELNS1_3repE0EEENS1_36merge_oddeven_config_static_selectorELNS0_4arch9wavefront6targetE1EEEvSL_
; %bb.0:
	.section	.rodata,"a",@progbits
	.p2align	6, 0x0
	.amdhsa_kernel _ZN7rocprim17ROCPRIM_400000_NS6detail17trampoline_kernelINS0_14default_configENS1_38merge_sort_block_merge_config_selectorIxNS0_10empty_typeEEEZZNS1_27merge_sort_block_merge_implIS3_N6thrust23THRUST_200600_302600_NS6detail15normal_iteratorINS9_10device_ptrIxEEEEPS5_jNS1_19radix_merge_compareILb0ELb0ExNS0_19identity_decomposerEEEEE10hipError_tT0_T1_T2_jT3_P12ihipStream_tbPNSt15iterator_traitsISK_E10value_typeEPNSQ_ISL_E10value_typeEPSM_NS1_7vsmem_tEENKUlT_SK_SL_SM_E_clISE_PxSF_SF_EESJ_SZ_SK_SL_SM_EUlSZ_E1_NS1_11comp_targetILNS1_3genE2ELNS1_11target_archE906ELNS1_3gpuE6ELNS1_3repE0EEENS1_36merge_oddeven_config_static_selectorELNS0_4arch9wavefront6targetE1EEEvSL_
		.amdhsa_group_segment_fixed_size 0
		.amdhsa_private_segment_fixed_size 0
		.amdhsa_kernarg_size 48
		.amdhsa_user_sgpr_count 2
		.amdhsa_user_sgpr_dispatch_ptr 0
		.amdhsa_user_sgpr_queue_ptr 0
		.amdhsa_user_sgpr_kernarg_segment_ptr 1
		.amdhsa_user_sgpr_dispatch_id 0
		.amdhsa_user_sgpr_kernarg_preload_length 0
		.amdhsa_user_sgpr_kernarg_preload_offset 0
		.amdhsa_user_sgpr_private_segment_size 0
		.amdhsa_uses_dynamic_stack 0
		.amdhsa_enable_private_segment 0
		.amdhsa_system_sgpr_workgroup_id_x 1
		.amdhsa_system_sgpr_workgroup_id_y 0
		.amdhsa_system_sgpr_workgroup_id_z 0
		.amdhsa_system_sgpr_workgroup_info 0
		.amdhsa_system_vgpr_workitem_id 0
		.amdhsa_next_free_vgpr 1
		.amdhsa_next_free_sgpr 0
		.amdhsa_accum_offset 4
		.amdhsa_reserve_vcc 0
		.amdhsa_float_round_mode_32 0
		.amdhsa_float_round_mode_16_64 0
		.amdhsa_float_denorm_mode_32 3
		.amdhsa_float_denorm_mode_16_64 3
		.amdhsa_dx10_clamp 1
		.amdhsa_ieee_mode 1
		.amdhsa_fp16_overflow 0
		.amdhsa_tg_split 0
		.amdhsa_exception_fp_ieee_invalid_op 0
		.amdhsa_exception_fp_denorm_src 0
		.amdhsa_exception_fp_ieee_div_zero 0
		.amdhsa_exception_fp_ieee_overflow 0
		.amdhsa_exception_fp_ieee_underflow 0
		.amdhsa_exception_fp_ieee_inexact 0
		.amdhsa_exception_int_div_zero 0
	.end_amdhsa_kernel
	.section	.text._ZN7rocprim17ROCPRIM_400000_NS6detail17trampoline_kernelINS0_14default_configENS1_38merge_sort_block_merge_config_selectorIxNS0_10empty_typeEEEZZNS1_27merge_sort_block_merge_implIS3_N6thrust23THRUST_200600_302600_NS6detail15normal_iteratorINS9_10device_ptrIxEEEEPS5_jNS1_19radix_merge_compareILb0ELb0ExNS0_19identity_decomposerEEEEE10hipError_tT0_T1_T2_jT3_P12ihipStream_tbPNSt15iterator_traitsISK_E10value_typeEPNSQ_ISL_E10value_typeEPSM_NS1_7vsmem_tEENKUlT_SK_SL_SM_E_clISE_PxSF_SF_EESJ_SZ_SK_SL_SM_EUlSZ_E1_NS1_11comp_targetILNS1_3genE2ELNS1_11target_archE906ELNS1_3gpuE6ELNS1_3repE0EEENS1_36merge_oddeven_config_static_selectorELNS0_4arch9wavefront6targetE1EEEvSL_,"axG",@progbits,_ZN7rocprim17ROCPRIM_400000_NS6detail17trampoline_kernelINS0_14default_configENS1_38merge_sort_block_merge_config_selectorIxNS0_10empty_typeEEEZZNS1_27merge_sort_block_merge_implIS3_N6thrust23THRUST_200600_302600_NS6detail15normal_iteratorINS9_10device_ptrIxEEEEPS5_jNS1_19radix_merge_compareILb0ELb0ExNS0_19identity_decomposerEEEEE10hipError_tT0_T1_T2_jT3_P12ihipStream_tbPNSt15iterator_traitsISK_E10value_typeEPNSQ_ISL_E10value_typeEPSM_NS1_7vsmem_tEENKUlT_SK_SL_SM_E_clISE_PxSF_SF_EESJ_SZ_SK_SL_SM_EUlSZ_E1_NS1_11comp_targetILNS1_3genE2ELNS1_11target_archE906ELNS1_3gpuE6ELNS1_3repE0EEENS1_36merge_oddeven_config_static_selectorELNS0_4arch9wavefront6targetE1EEEvSL_,comdat
.Lfunc_end1455:
	.size	_ZN7rocprim17ROCPRIM_400000_NS6detail17trampoline_kernelINS0_14default_configENS1_38merge_sort_block_merge_config_selectorIxNS0_10empty_typeEEEZZNS1_27merge_sort_block_merge_implIS3_N6thrust23THRUST_200600_302600_NS6detail15normal_iteratorINS9_10device_ptrIxEEEEPS5_jNS1_19radix_merge_compareILb0ELb0ExNS0_19identity_decomposerEEEEE10hipError_tT0_T1_T2_jT3_P12ihipStream_tbPNSt15iterator_traitsISK_E10value_typeEPNSQ_ISL_E10value_typeEPSM_NS1_7vsmem_tEENKUlT_SK_SL_SM_E_clISE_PxSF_SF_EESJ_SZ_SK_SL_SM_EUlSZ_E1_NS1_11comp_targetILNS1_3genE2ELNS1_11target_archE906ELNS1_3gpuE6ELNS1_3repE0EEENS1_36merge_oddeven_config_static_selectorELNS0_4arch9wavefront6targetE1EEEvSL_, .Lfunc_end1455-_ZN7rocprim17ROCPRIM_400000_NS6detail17trampoline_kernelINS0_14default_configENS1_38merge_sort_block_merge_config_selectorIxNS0_10empty_typeEEEZZNS1_27merge_sort_block_merge_implIS3_N6thrust23THRUST_200600_302600_NS6detail15normal_iteratorINS9_10device_ptrIxEEEEPS5_jNS1_19radix_merge_compareILb0ELb0ExNS0_19identity_decomposerEEEEE10hipError_tT0_T1_T2_jT3_P12ihipStream_tbPNSt15iterator_traitsISK_E10value_typeEPNSQ_ISL_E10value_typeEPSM_NS1_7vsmem_tEENKUlT_SK_SL_SM_E_clISE_PxSF_SF_EESJ_SZ_SK_SL_SM_EUlSZ_E1_NS1_11comp_targetILNS1_3genE2ELNS1_11target_archE906ELNS1_3gpuE6ELNS1_3repE0EEENS1_36merge_oddeven_config_static_selectorELNS0_4arch9wavefront6targetE1EEEvSL_
                                        ; -- End function
	.section	.AMDGPU.csdata,"",@progbits
; Kernel info:
; codeLenInByte = 0
; NumSgprs: 6
; NumVgprs: 0
; NumAgprs: 0
; TotalNumVgprs: 0
; ScratchSize: 0
; MemoryBound: 0
; FloatMode: 240
; IeeeMode: 1
; LDSByteSize: 0 bytes/workgroup (compile time only)
; SGPRBlocks: 0
; VGPRBlocks: 0
; NumSGPRsForWavesPerEU: 6
; NumVGPRsForWavesPerEU: 1
; AccumOffset: 4
; Occupancy: 8
; WaveLimiterHint : 0
; COMPUTE_PGM_RSRC2:SCRATCH_EN: 0
; COMPUTE_PGM_RSRC2:USER_SGPR: 2
; COMPUTE_PGM_RSRC2:TRAP_HANDLER: 0
; COMPUTE_PGM_RSRC2:TGID_X_EN: 1
; COMPUTE_PGM_RSRC2:TGID_Y_EN: 0
; COMPUTE_PGM_RSRC2:TGID_Z_EN: 0
; COMPUTE_PGM_RSRC2:TIDIG_COMP_CNT: 0
; COMPUTE_PGM_RSRC3_GFX90A:ACCUM_OFFSET: 0
; COMPUTE_PGM_RSRC3_GFX90A:TG_SPLIT: 0
	.section	.text._ZN7rocprim17ROCPRIM_400000_NS6detail17trampoline_kernelINS0_14default_configENS1_38merge_sort_block_merge_config_selectorIxNS0_10empty_typeEEEZZNS1_27merge_sort_block_merge_implIS3_N6thrust23THRUST_200600_302600_NS6detail15normal_iteratorINS9_10device_ptrIxEEEEPS5_jNS1_19radix_merge_compareILb0ELb0ExNS0_19identity_decomposerEEEEE10hipError_tT0_T1_T2_jT3_P12ihipStream_tbPNSt15iterator_traitsISK_E10value_typeEPNSQ_ISL_E10value_typeEPSM_NS1_7vsmem_tEENKUlT_SK_SL_SM_E_clISE_PxSF_SF_EESJ_SZ_SK_SL_SM_EUlSZ_E1_NS1_11comp_targetILNS1_3genE9ELNS1_11target_archE1100ELNS1_3gpuE3ELNS1_3repE0EEENS1_36merge_oddeven_config_static_selectorELNS0_4arch9wavefront6targetE1EEEvSL_,"axG",@progbits,_ZN7rocprim17ROCPRIM_400000_NS6detail17trampoline_kernelINS0_14default_configENS1_38merge_sort_block_merge_config_selectorIxNS0_10empty_typeEEEZZNS1_27merge_sort_block_merge_implIS3_N6thrust23THRUST_200600_302600_NS6detail15normal_iteratorINS9_10device_ptrIxEEEEPS5_jNS1_19radix_merge_compareILb0ELb0ExNS0_19identity_decomposerEEEEE10hipError_tT0_T1_T2_jT3_P12ihipStream_tbPNSt15iterator_traitsISK_E10value_typeEPNSQ_ISL_E10value_typeEPSM_NS1_7vsmem_tEENKUlT_SK_SL_SM_E_clISE_PxSF_SF_EESJ_SZ_SK_SL_SM_EUlSZ_E1_NS1_11comp_targetILNS1_3genE9ELNS1_11target_archE1100ELNS1_3gpuE3ELNS1_3repE0EEENS1_36merge_oddeven_config_static_selectorELNS0_4arch9wavefront6targetE1EEEvSL_,comdat
	.protected	_ZN7rocprim17ROCPRIM_400000_NS6detail17trampoline_kernelINS0_14default_configENS1_38merge_sort_block_merge_config_selectorIxNS0_10empty_typeEEEZZNS1_27merge_sort_block_merge_implIS3_N6thrust23THRUST_200600_302600_NS6detail15normal_iteratorINS9_10device_ptrIxEEEEPS5_jNS1_19radix_merge_compareILb0ELb0ExNS0_19identity_decomposerEEEEE10hipError_tT0_T1_T2_jT3_P12ihipStream_tbPNSt15iterator_traitsISK_E10value_typeEPNSQ_ISL_E10value_typeEPSM_NS1_7vsmem_tEENKUlT_SK_SL_SM_E_clISE_PxSF_SF_EESJ_SZ_SK_SL_SM_EUlSZ_E1_NS1_11comp_targetILNS1_3genE9ELNS1_11target_archE1100ELNS1_3gpuE3ELNS1_3repE0EEENS1_36merge_oddeven_config_static_selectorELNS0_4arch9wavefront6targetE1EEEvSL_ ; -- Begin function _ZN7rocprim17ROCPRIM_400000_NS6detail17trampoline_kernelINS0_14default_configENS1_38merge_sort_block_merge_config_selectorIxNS0_10empty_typeEEEZZNS1_27merge_sort_block_merge_implIS3_N6thrust23THRUST_200600_302600_NS6detail15normal_iteratorINS9_10device_ptrIxEEEEPS5_jNS1_19radix_merge_compareILb0ELb0ExNS0_19identity_decomposerEEEEE10hipError_tT0_T1_T2_jT3_P12ihipStream_tbPNSt15iterator_traitsISK_E10value_typeEPNSQ_ISL_E10value_typeEPSM_NS1_7vsmem_tEENKUlT_SK_SL_SM_E_clISE_PxSF_SF_EESJ_SZ_SK_SL_SM_EUlSZ_E1_NS1_11comp_targetILNS1_3genE9ELNS1_11target_archE1100ELNS1_3gpuE3ELNS1_3repE0EEENS1_36merge_oddeven_config_static_selectorELNS0_4arch9wavefront6targetE1EEEvSL_
	.globl	_ZN7rocprim17ROCPRIM_400000_NS6detail17trampoline_kernelINS0_14default_configENS1_38merge_sort_block_merge_config_selectorIxNS0_10empty_typeEEEZZNS1_27merge_sort_block_merge_implIS3_N6thrust23THRUST_200600_302600_NS6detail15normal_iteratorINS9_10device_ptrIxEEEEPS5_jNS1_19radix_merge_compareILb0ELb0ExNS0_19identity_decomposerEEEEE10hipError_tT0_T1_T2_jT3_P12ihipStream_tbPNSt15iterator_traitsISK_E10value_typeEPNSQ_ISL_E10value_typeEPSM_NS1_7vsmem_tEENKUlT_SK_SL_SM_E_clISE_PxSF_SF_EESJ_SZ_SK_SL_SM_EUlSZ_E1_NS1_11comp_targetILNS1_3genE9ELNS1_11target_archE1100ELNS1_3gpuE3ELNS1_3repE0EEENS1_36merge_oddeven_config_static_selectorELNS0_4arch9wavefront6targetE1EEEvSL_
	.p2align	8
	.type	_ZN7rocprim17ROCPRIM_400000_NS6detail17trampoline_kernelINS0_14default_configENS1_38merge_sort_block_merge_config_selectorIxNS0_10empty_typeEEEZZNS1_27merge_sort_block_merge_implIS3_N6thrust23THRUST_200600_302600_NS6detail15normal_iteratorINS9_10device_ptrIxEEEEPS5_jNS1_19radix_merge_compareILb0ELb0ExNS0_19identity_decomposerEEEEE10hipError_tT0_T1_T2_jT3_P12ihipStream_tbPNSt15iterator_traitsISK_E10value_typeEPNSQ_ISL_E10value_typeEPSM_NS1_7vsmem_tEENKUlT_SK_SL_SM_E_clISE_PxSF_SF_EESJ_SZ_SK_SL_SM_EUlSZ_E1_NS1_11comp_targetILNS1_3genE9ELNS1_11target_archE1100ELNS1_3gpuE3ELNS1_3repE0EEENS1_36merge_oddeven_config_static_selectorELNS0_4arch9wavefront6targetE1EEEvSL_,@function
_ZN7rocprim17ROCPRIM_400000_NS6detail17trampoline_kernelINS0_14default_configENS1_38merge_sort_block_merge_config_selectorIxNS0_10empty_typeEEEZZNS1_27merge_sort_block_merge_implIS3_N6thrust23THRUST_200600_302600_NS6detail15normal_iteratorINS9_10device_ptrIxEEEEPS5_jNS1_19radix_merge_compareILb0ELb0ExNS0_19identity_decomposerEEEEE10hipError_tT0_T1_T2_jT3_P12ihipStream_tbPNSt15iterator_traitsISK_E10value_typeEPNSQ_ISL_E10value_typeEPSM_NS1_7vsmem_tEENKUlT_SK_SL_SM_E_clISE_PxSF_SF_EESJ_SZ_SK_SL_SM_EUlSZ_E1_NS1_11comp_targetILNS1_3genE9ELNS1_11target_archE1100ELNS1_3gpuE3ELNS1_3repE0EEENS1_36merge_oddeven_config_static_selectorELNS0_4arch9wavefront6targetE1EEEvSL_: ; @_ZN7rocprim17ROCPRIM_400000_NS6detail17trampoline_kernelINS0_14default_configENS1_38merge_sort_block_merge_config_selectorIxNS0_10empty_typeEEEZZNS1_27merge_sort_block_merge_implIS3_N6thrust23THRUST_200600_302600_NS6detail15normal_iteratorINS9_10device_ptrIxEEEEPS5_jNS1_19radix_merge_compareILb0ELb0ExNS0_19identity_decomposerEEEEE10hipError_tT0_T1_T2_jT3_P12ihipStream_tbPNSt15iterator_traitsISK_E10value_typeEPNSQ_ISL_E10value_typeEPSM_NS1_7vsmem_tEENKUlT_SK_SL_SM_E_clISE_PxSF_SF_EESJ_SZ_SK_SL_SM_EUlSZ_E1_NS1_11comp_targetILNS1_3genE9ELNS1_11target_archE1100ELNS1_3gpuE3ELNS1_3repE0EEENS1_36merge_oddeven_config_static_selectorELNS0_4arch9wavefront6targetE1EEEvSL_
; %bb.0:
	.section	.rodata,"a",@progbits
	.p2align	6, 0x0
	.amdhsa_kernel _ZN7rocprim17ROCPRIM_400000_NS6detail17trampoline_kernelINS0_14default_configENS1_38merge_sort_block_merge_config_selectorIxNS0_10empty_typeEEEZZNS1_27merge_sort_block_merge_implIS3_N6thrust23THRUST_200600_302600_NS6detail15normal_iteratorINS9_10device_ptrIxEEEEPS5_jNS1_19radix_merge_compareILb0ELb0ExNS0_19identity_decomposerEEEEE10hipError_tT0_T1_T2_jT3_P12ihipStream_tbPNSt15iterator_traitsISK_E10value_typeEPNSQ_ISL_E10value_typeEPSM_NS1_7vsmem_tEENKUlT_SK_SL_SM_E_clISE_PxSF_SF_EESJ_SZ_SK_SL_SM_EUlSZ_E1_NS1_11comp_targetILNS1_3genE9ELNS1_11target_archE1100ELNS1_3gpuE3ELNS1_3repE0EEENS1_36merge_oddeven_config_static_selectorELNS0_4arch9wavefront6targetE1EEEvSL_
		.amdhsa_group_segment_fixed_size 0
		.amdhsa_private_segment_fixed_size 0
		.amdhsa_kernarg_size 48
		.amdhsa_user_sgpr_count 2
		.amdhsa_user_sgpr_dispatch_ptr 0
		.amdhsa_user_sgpr_queue_ptr 0
		.amdhsa_user_sgpr_kernarg_segment_ptr 1
		.amdhsa_user_sgpr_dispatch_id 0
		.amdhsa_user_sgpr_kernarg_preload_length 0
		.amdhsa_user_sgpr_kernarg_preload_offset 0
		.amdhsa_user_sgpr_private_segment_size 0
		.amdhsa_uses_dynamic_stack 0
		.amdhsa_enable_private_segment 0
		.amdhsa_system_sgpr_workgroup_id_x 1
		.amdhsa_system_sgpr_workgroup_id_y 0
		.amdhsa_system_sgpr_workgroup_id_z 0
		.amdhsa_system_sgpr_workgroup_info 0
		.amdhsa_system_vgpr_workitem_id 0
		.amdhsa_next_free_vgpr 1
		.amdhsa_next_free_sgpr 0
		.amdhsa_accum_offset 4
		.amdhsa_reserve_vcc 0
		.amdhsa_float_round_mode_32 0
		.amdhsa_float_round_mode_16_64 0
		.amdhsa_float_denorm_mode_32 3
		.amdhsa_float_denorm_mode_16_64 3
		.amdhsa_dx10_clamp 1
		.amdhsa_ieee_mode 1
		.amdhsa_fp16_overflow 0
		.amdhsa_tg_split 0
		.amdhsa_exception_fp_ieee_invalid_op 0
		.amdhsa_exception_fp_denorm_src 0
		.amdhsa_exception_fp_ieee_div_zero 0
		.amdhsa_exception_fp_ieee_overflow 0
		.amdhsa_exception_fp_ieee_underflow 0
		.amdhsa_exception_fp_ieee_inexact 0
		.amdhsa_exception_int_div_zero 0
	.end_amdhsa_kernel
	.section	.text._ZN7rocprim17ROCPRIM_400000_NS6detail17trampoline_kernelINS0_14default_configENS1_38merge_sort_block_merge_config_selectorIxNS0_10empty_typeEEEZZNS1_27merge_sort_block_merge_implIS3_N6thrust23THRUST_200600_302600_NS6detail15normal_iteratorINS9_10device_ptrIxEEEEPS5_jNS1_19radix_merge_compareILb0ELb0ExNS0_19identity_decomposerEEEEE10hipError_tT0_T1_T2_jT3_P12ihipStream_tbPNSt15iterator_traitsISK_E10value_typeEPNSQ_ISL_E10value_typeEPSM_NS1_7vsmem_tEENKUlT_SK_SL_SM_E_clISE_PxSF_SF_EESJ_SZ_SK_SL_SM_EUlSZ_E1_NS1_11comp_targetILNS1_3genE9ELNS1_11target_archE1100ELNS1_3gpuE3ELNS1_3repE0EEENS1_36merge_oddeven_config_static_selectorELNS0_4arch9wavefront6targetE1EEEvSL_,"axG",@progbits,_ZN7rocprim17ROCPRIM_400000_NS6detail17trampoline_kernelINS0_14default_configENS1_38merge_sort_block_merge_config_selectorIxNS0_10empty_typeEEEZZNS1_27merge_sort_block_merge_implIS3_N6thrust23THRUST_200600_302600_NS6detail15normal_iteratorINS9_10device_ptrIxEEEEPS5_jNS1_19radix_merge_compareILb0ELb0ExNS0_19identity_decomposerEEEEE10hipError_tT0_T1_T2_jT3_P12ihipStream_tbPNSt15iterator_traitsISK_E10value_typeEPNSQ_ISL_E10value_typeEPSM_NS1_7vsmem_tEENKUlT_SK_SL_SM_E_clISE_PxSF_SF_EESJ_SZ_SK_SL_SM_EUlSZ_E1_NS1_11comp_targetILNS1_3genE9ELNS1_11target_archE1100ELNS1_3gpuE3ELNS1_3repE0EEENS1_36merge_oddeven_config_static_selectorELNS0_4arch9wavefront6targetE1EEEvSL_,comdat
.Lfunc_end1456:
	.size	_ZN7rocprim17ROCPRIM_400000_NS6detail17trampoline_kernelINS0_14default_configENS1_38merge_sort_block_merge_config_selectorIxNS0_10empty_typeEEEZZNS1_27merge_sort_block_merge_implIS3_N6thrust23THRUST_200600_302600_NS6detail15normal_iteratorINS9_10device_ptrIxEEEEPS5_jNS1_19radix_merge_compareILb0ELb0ExNS0_19identity_decomposerEEEEE10hipError_tT0_T1_T2_jT3_P12ihipStream_tbPNSt15iterator_traitsISK_E10value_typeEPNSQ_ISL_E10value_typeEPSM_NS1_7vsmem_tEENKUlT_SK_SL_SM_E_clISE_PxSF_SF_EESJ_SZ_SK_SL_SM_EUlSZ_E1_NS1_11comp_targetILNS1_3genE9ELNS1_11target_archE1100ELNS1_3gpuE3ELNS1_3repE0EEENS1_36merge_oddeven_config_static_selectorELNS0_4arch9wavefront6targetE1EEEvSL_, .Lfunc_end1456-_ZN7rocprim17ROCPRIM_400000_NS6detail17trampoline_kernelINS0_14default_configENS1_38merge_sort_block_merge_config_selectorIxNS0_10empty_typeEEEZZNS1_27merge_sort_block_merge_implIS3_N6thrust23THRUST_200600_302600_NS6detail15normal_iteratorINS9_10device_ptrIxEEEEPS5_jNS1_19radix_merge_compareILb0ELb0ExNS0_19identity_decomposerEEEEE10hipError_tT0_T1_T2_jT3_P12ihipStream_tbPNSt15iterator_traitsISK_E10value_typeEPNSQ_ISL_E10value_typeEPSM_NS1_7vsmem_tEENKUlT_SK_SL_SM_E_clISE_PxSF_SF_EESJ_SZ_SK_SL_SM_EUlSZ_E1_NS1_11comp_targetILNS1_3genE9ELNS1_11target_archE1100ELNS1_3gpuE3ELNS1_3repE0EEENS1_36merge_oddeven_config_static_selectorELNS0_4arch9wavefront6targetE1EEEvSL_
                                        ; -- End function
	.section	.AMDGPU.csdata,"",@progbits
; Kernel info:
; codeLenInByte = 0
; NumSgprs: 6
; NumVgprs: 0
; NumAgprs: 0
; TotalNumVgprs: 0
; ScratchSize: 0
; MemoryBound: 0
; FloatMode: 240
; IeeeMode: 1
; LDSByteSize: 0 bytes/workgroup (compile time only)
; SGPRBlocks: 0
; VGPRBlocks: 0
; NumSGPRsForWavesPerEU: 6
; NumVGPRsForWavesPerEU: 1
; AccumOffset: 4
; Occupancy: 8
; WaveLimiterHint : 0
; COMPUTE_PGM_RSRC2:SCRATCH_EN: 0
; COMPUTE_PGM_RSRC2:USER_SGPR: 2
; COMPUTE_PGM_RSRC2:TRAP_HANDLER: 0
; COMPUTE_PGM_RSRC2:TGID_X_EN: 1
; COMPUTE_PGM_RSRC2:TGID_Y_EN: 0
; COMPUTE_PGM_RSRC2:TGID_Z_EN: 0
; COMPUTE_PGM_RSRC2:TIDIG_COMP_CNT: 0
; COMPUTE_PGM_RSRC3_GFX90A:ACCUM_OFFSET: 0
; COMPUTE_PGM_RSRC3_GFX90A:TG_SPLIT: 0
	.section	.text._ZN7rocprim17ROCPRIM_400000_NS6detail17trampoline_kernelINS0_14default_configENS1_38merge_sort_block_merge_config_selectorIxNS0_10empty_typeEEEZZNS1_27merge_sort_block_merge_implIS3_N6thrust23THRUST_200600_302600_NS6detail15normal_iteratorINS9_10device_ptrIxEEEEPS5_jNS1_19radix_merge_compareILb0ELb0ExNS0_19identity_decomposerEEEEE10hipError_tT0_T1_T2_jT3_P12ihipStream_tbPNSt15iterator_traitsISK_E10value_typeEPNSQ_ISL_E10value_typeEPSM_NS1_7vsmem_tEENKUlT_SK_SL_SM_E_clISE_PxSF_SF_EESJ_SZ_SK_SL_SM_EUlSZ_E1_NS1_11comp_targetILNS1_3genE8ELNS1_11target_archE1030ELNS1_3gpuE2ELNS1_3repE0EEENS1_36merge_oddeven_config_static_selectorELNS0_4arch9wavefront6targetE1EEEvSL_,"axG",@progbits,_ZN7rocprim17ROCPRIM_400000_NS6detail17trampoline_kernelINS0_14default_configENS1_38merge_sort_block_merge_config_selectorIxNS0_10empty_typeEEEZZNS1_27merge_sort_block_merge_implIS3_N6thrust23THRUST_200600_302600_NS6detail15normal_iteratorINS9_10device_ptrIxEEEEPS5_jNS1_19radix_merge_compareILb0ELb0ExNS0_19identity_decomposerEEEEE10hipError_tT0_T1_T2_jT3_P12ihipStream_tbPNSt15iterator_traitsISK_E10value_typeEPNSQ_ISL_E10value_typeEPSM_NS1_7vsmem_tEENKUlT_SK_SL_SM_E_clISE_PxSF_SF_EESJ_SZ_SK_SL_SM_EUlSZ_E1_NS1_11comp_targetILNS1_3genE8ELNS1_11target_archE1030ELNS1_3gpuE2ELNS1_3repE0EEENS1_36merge_oddeven_config_static_selectorELNS0_4arch9wavefront6targetE1EEEvSL_,comdat
	.protected	_ZN7rocprim17ROCPRIM_400000_NS6detail17trampoline_kernelINS0_14default_configENS1_38merge_sort_block_merge_config_selectorIxNS0_10empty_typeEEEZZNS1_27merge_sort_block_merge_implIS3_N6thrust23THRUST_200600_302600_NS6detail15normal_iteratorINS9_10device_ptrIxEEEEPS5_jNS1_19radix_merge_compareILb0ELb0ExNS0_19identity_decomposerEEEEE10hipError_tT0_T1_T2_jT3_P12ihipStream_tbPNSt15iterator_traitsISK_E10value_typeEPNSQ_ISL_E10value_typeEPSM_NS1_7vsmem_tEENKUlT_SK_SL_SM_E_clISE_PxSF_SF_EESJ_SZ_SK_SL_SM_EUlSZ_E1_NS1_11comp_targetILNS1_3genE8ELNS1_11target_archE1030ELNS1_3gpuE2ELNS1_3repE0EEENS1_36merge_oddeven_config_static_selectorELNS0_4arch9wavefront6targetE1EEEvSL_ ; -- Begin function _ZN7rocprim17ROCPRIM_400000_NS6detail17trampoline_kernelINS0_14default_configENS1_38merge_sort_block_merge_config_selectorIxNS0_10empty_typeEEEZZNS1_27merge_sort_block_merge_implIS3_N6thrust23THRUST_200600_302600_NS6detail15normal_iteratorINS9_10device_ptrIxEEEEPS5_jNS1_19radix_merge_compareILb0ELb0ExNS0_19identity_decomposerEEEEE10hipError_tT0_T1_T2_jT3_P12ihipStream_tbPNSt15iterator_traitsISK_E10value_typeEPNSQ_ISL_E10value_typeEPSM_NS1_7vsmem_tEENKUlT_SK_SL_SM_E_clISE_PxSF_SF_EESJ_SZ_SK_SL_SM_EUlSZ_E1_NS1_11comp_targetILNS1_3genE8ELNS1_11target_archE1030ELNS1_3gpuE2ELNS1_3repE0EEENS1_36merge_oddeven_config_static_selectorELNS0_4arch9wavefront6targetE1EEEvSL_
	.globl	_ZN7rocprim17ROCPRIM_400000_NS6detail17trampoline_kernelINS0_14default_configENS1_38merge_sort_block_merge_config_selectorIxNS0_10empty_typeEEEZZNS1_27merge_sort_block_merge_implIS3_N6thrust23THRUST_200600_302600_NS6detail15normal_iteratorINS9_10device_ptrIxEEEEPS5_jNS1_19radix_merge_compareILb0ELb0ExNS0_19identity_decomposerEEEEE10hipError_tT0_T1_T2_jT3_P12ihipStream_tbPNSt15iterator_traitsISK_E10value_typeEPNSQ_ISL_E10value_typeEPSM_NS1_7vsmem_tEENKUlT_SK_SL_SM_E_clISE_PxSF_SF_EESJ_SZ_SK_SL_SM_EUlSZ_E1_NS1_11comp_targetILNS1_3genE8ELNS1_11target_archE1030ELNS1_3gpuE2ELNS1_3repE0EEENS1_36merge_oddeven_config_static_selectorELNS0_4arch9wavefront6targetE1EEEvSL_
	.p2align	8
	.type	_ZN7rocprim17ROCPRIM_400000_NS6detail17trampoline_kernelINS0_14default_configENS1_38merge_sort_block_merge_config_selectorIxNS0_10empty_typeEEEZZNS1_27merge_sort_block_merge_implIS3_N6thrust23THRUST_200600_302600_NS6detail15normal_iteratorINS9_10device_ptrIxEEEEPS5_jNS1_19radix_merge_compareILb0ELb0ExNS0_19identity_decomposerEEEEE10hipError_tT0_T1_T2_jT3_P12ihipStream_tbPNSt15iterator_traitsISK_E10value_typeEPNSQ_ISL_E10value_typeEPSM_NS1_7vsmem_tEENKUlT_SK_SL_SM_E_clISE_PxSF_SF_EESJ_SZ_SK_SL_SM_EUlSZ_E1_NS1_11comp_targetILNS1_3genE8ELNS1_11target_archE1030ELNS1_3gpuE2ELNS1_3repE0EEENS1_36merge_oddeven_config_static_selectorELNS0_4arch9wavefront6targetE1EEEvSL_,@function
_ZN7rocprim17ROCPRIM_400000_NS6detail17trampoline_kernelINS0_14default_configENS1_38merge_sort_block_merge_config_selectorIxNS0_10empty_typeEEEZZNS1_27merge_sort_block_merge_implIS3_N6thrust23THRUST_200600_302600_NS6detail15normal_iteratorINS9_10device_ptrIxEEEEPS5_jNS1_19radix_merge_compareILb0ELb0ExNS0_19identity_decomposerEEEEE10hipError_tT0_T1_T2_jT3_P12ihipStream_tbPNSt15iterator_traitsISK_E10value_typeEPNSQ_ISL_E10value_typeEPSM_NS1_7vsmem_tEENKUlT_SK_SL_SM_E_clISE_PxSF_SF_EESJ_SZ_SK_SL_SM_EUlSZ_E1_NS1_11comp_targetILNS1_3genE8ELNS1_11target_archE1030ELNS1_3gpuE2ELNS1_3repE0EEENS1_36merge_oddeven_config_static_selectorELNS0_4arch9wavefront6targetE1EEEvSL_: ; @_ZN7rocprim17ROCPRIM_400000_NS6detail17trampoline_kernelINS0_14default_configENS1_38merge_sort_block_merge_config_selectorIxNS0_10empty_typeEEEZZNS1_27merge_sort_block_merge_implIS3_N6thrust23THRUST_200600_302600_NS6detail15normal_iteratorINS9_10device_ptrIxEEEEPS5_jNS1_19radix_merge_compareILb0ELb0ExNS0_19identity_decomposerEEEEE10hipError_tT0_T1_T2_jT3_P12ihipStream_tbPNSt15iterator_traitsISK_E10value_typeEPNSQ_ISL_E10value_typeEPSM_NS1_7vsmem_tEENKUlT_SK_SL_SM_E_clISE_PxSF_SF_EESJ_SZ_SK_SL_SM_EUlSZ_E1_NS1_11comp_targetILNS1_3genE8ELNS1_11target_archE1030ELNS1_3gpuE2ELNS1_3repE0EEENS1_36merge_oddeven_config_static_selectorELNS0_4arch9wavefront6targetE1EEEvSL_
; %bb.0:
	.section	.rodata,"a",@progbits
	.p2align	6, 0x0
	.amdhsa_kernel _ZN7rocprim17ROCPRIM_400000_NS6detail17trampoline_kernelINS0_14default_configENS1_38merge_sort_block_merge_config_selectorIxNS0_10empty_typeEEEZZNS1_27merge_sort_block_merge_implIS3_N6thrust23THRUST_200600_302600_NS6detail15normal_iteratorINS9_10device_ptrIxEEEEPS5_jNS1_19radix_merge_compareILb0ELb0ExNS0_19identity_decomposerEEEEE10hipError_tT0_T1_T2_jT3_P12ihipStream_tbPNSt15iterator_traitsISK_E10value_typeEPNSQ_ISL_E10value_typeEPSM_NS1_7vsmem_tEENKUlT_SK_SL_SM_E_clISE_PxSF_SF_EESJ_SZ_SK_SL_SM_EUlSZ_E1_NS1_11comp_targetILNS1_3genE8ELNS1_11target_archE1030ELNS1_3gpuE2ELNS1_3repE0EEENS1_36merge_oddeven_config_static_selectorELNS0_4arch9wavefront6targetE1EEEvSL_
		.amdhsa_group_segment_fixed_size 0
		.amdhsa_private_segment_fixed_size 0
		.amdhsa_kernarg_size 48
		.amdhsa_user_sgpr_count 2
		.amdhsa_user_sgpr_dispatch_ptr 0
		.amdhsa_user_sgpr_queue_ptr 0
		.amdhsa_user_sgpr_kernarg_segment_ptr 1
		.amdhsa_user_sgpr_dispatch_id 0
		.amdhsa_user_sgpr_kernarg_preload_length 0
		.amdhsa_user_sgpr_kernarg_preload_offset 0
		.amdhsa_user_sgpr_private_segment_size 0
		.amdhsa_uses_dynamic_stack 0
		.amdhsa_enable_private_segment 0
		.amdhsa_system_sgpr_workgroup_id_x 1
		.amdhsa_system_sgpr_workgroup_id_y 0
		.amdhsa_system_sgpr_workgroup_id_z 0
		.amdhsa_system_sgpr_workgroup_info 0
		.amdhsa_system_vgpr_workitem_id 0
		.amdhsa_next_free_vgpr 1
		.amdhsa_next_free_sgpr 0
		.amdhsa_accum_offset 4
		.amdhsa_reserve_vcc 0
		.amdhsa_float_round_mode_32 0
		.amdhsa_float_round_mode_16_64 0
		.amdhsa_float_denorm_mode_32 3
		.amdhsa_float_denorm_mode_16_64 3
		.amdhsa_dx10_clamp 1
		.amdhsa_ieee_mode 1
		.amdhsa_fp16_overflow 0
		.amdhsa_tg_split 0
		.amdhsa_exception_fp_ieee_invalid_op 0
		.amdhsa_exception_fp_denorm_src 0
		.amdhsa_exception_fp_ieee_div_zero 0
		.amdhsa_exception_fp_ieee_overflow 0
		.amdhsa_exception_fp_ieee_underflow 0
		.amdhsa_exception_fp_ieee_inexact 0
		.amdhsa_exception_int_div_zero 0
	.end_amdhsa_kernel
	.section	.text._ZN7rocprim17ROCPRIM_400000_NS6detail17trampoline_kernelINS0_14default_configENS1_38merge_sort_block_merge_config_selectorIxNS0_10empty_typeEEEZZNS1_27merge_sort_block_merge_implIS3_N6thrust23THRUST_200600_302600_NS6detail15normal_iteratorINS9_10device_ptrIxEEEEPS5_jNS1_19radix_merge_compareILb0ELb0ExNS0_19identity_decomposerEEEEE10hipError_tT0_T1_T2_jT3_P12ihipStream_tbPNSt15iterator_traitsISK_E10value_typeEPNSQ_ISL_E10value_typeEPSM_NS1_7vsmem_tEENKUlT_SK_SL_SM_E_clISE_PxSF_SF_EESJ_SZ_SK_SL_SM_EUlSZ_E1_NS1_11comp_targetILNS1_3genE8ELNS1_11target_archE1030ELNS1_3gpuE2ELNS1_3repE0EEENS1_36merge_oddeven_config_static_selectorELNS0_4arch9wavefront6targetE1EEEvSL_,"axG",@progbits,_ZN7rocprim17ROCPRIM_400000_NS6detail17trampoline_kernelINS0_14default_configENS1_38merge_sort_block_merge_config_selectorIxNS0_10empty_typeEEEZZNS1_27merge_sort_block_merge_implIS3_N6thrust23THRUST_200600_302600_NS6detail15normal_iteratorINS9_10device_ptrIxEEEEPS5_jNS1_19radix_merge_compareILb0ELb0ExNS0_19identity_decomposerEEEEE10hipError_tT0_T1_T2_jT3_P12ihipStream_tbPNSt15iterator_traitsISK_E10value_typeEPNSQ_ISL_E10value_typeEPSM_NS1_7vsmem_tEENKUlT_SK_SL_SM_E_clISE_PxSF_SF_EESJ_SZ_SK_SL_SM_EUlSZ_E1_NS1_11comp_targetILNS1_3genE8ELNS1_11target_archE1030ELNS1_3gpuE2ELNS1_3repE0EEENS1_36merge_oddeven_config_static_selectorELNS0_4arch9wavefront6targetE1EEEvSL_,comdat
.Lfunc_end1457:
	.size	_ZN7rocprim17ROCPRIM_400000_NS6detail17trampoline_kernelINS0_14default_configENS1_38merge_sort_block_merge_config_selectorIxNS0_10empty_typeEEEZZNS1_27merge_sort_block_merge_implIS3_N6thrust23THRUST_200600_302600_NS6detail15normal_iteratorINS9_10device_ptrIxEEEEPS5_jNS1_19radix_merge_compareILb0ELb0ExNS0_19identity_decomposerEEEEE10hipError_tT0_T1_T2_jT3_P12ihipStream_tbPNSt15iterator_traitsISK_E10value_typeEPNSQ_ISL_E10value_typeEPSM_NS1_7vsmem_tEENKUlT_SK_SL_SM_E_clISE_PxSF_SF_EESJ_SZ_SK_SL_SM_EUlSZ_E1_NS1_11comp_targetILNS1_3genE8ELNS1_11target_archE1030ELNS1_3gpuE2ELNS1_3repE0EEENS1_36merge_oddeven_config_static_selectorELNS0_4arch9wavefront6targetE1EEEvSL_, .Lfunc_end1457-_ZN7rocprim17ROCPRIM_400000_NS6detail17trampoline_kernelINS0_14default_configENS1_38merge_sort_block_merge_config_selectorIxNS0_10empty_typeEEEZZNS1_27merge_sort_block_merge_implIS3_N6thrust23THRUST_200600_302600_NS6detail15normal_iteratorINS9_10device_ptrIxEEEEPS5_jNS1_19radix_merge_compareILb0ELb0ExNS0_19identity_decomposerEEEEE10hipError_tT0_T1_T2_jT3_P12ihipStream_tbPNSt15iterator_traitsISK_E10value_typeEPNSQ_ISL_E10value_typeEPSM_NS1_7vsmem_tEENKUlT_SK_SL_SM_E_clISE_PxSF_SF_EESJ_SZ_SK_SL_SM_EUlSZ_E1_NS1_11comp_targetILNS1_3genE8ELNS1_11target_archE1030ELNS1_3gpuE2ELNS1_3repE0EEENS1_36merge_oddeven_config_static_selectorELNS0_4arch9wavefront6targetE1EEEvSL_
                                        ; -- End function
	.section	.AMDGPU.csdata,"",@progbits
; Kernel info:
; codeLenInByte = 0
; NumSgprs: 6
; NumVgprs: 0
; NumAgprs: 0
; TotalNumVgprs: 0
; ScratchSize: 0
; MemoryBound: 0
; FloatMode: 240
; IeeeMode: 1
; LDSByteSize: 0 bytes/workgroup (compile time only)
; SGPRBlocks: 0
; VGPRBlocks: 0
; NumSGPRsForWavesPerEU: 6
; NumVGPRsForWavesPerEU: 1
; AccumOffset: 4
; Occupancy: 8
; WaveLimiterHint : 0
; COMPUTE_PGM_RSRC2:SCRATCH_EN: 0
; COMPUTE_PGM_RSRC2:USER_SGPR: 2
; COMPUTE_PGM_RSRC2:TRAP_HANDLER: 0
; COMPUTE_PGM_RSRC2:TGID_X_EN: 1
; COMPUTE_PGM_RSRC2:TGID_Y_EN: 0
; COMPUTE_PGM_RSRC2:TGID_Z_EN: 0
; COMPUTE_PGM_RSRC2:TIDIG_COMP_CNT: 0
; COMPUTE_PGM_RSRC3_GFX90A:ACCUM_OFFSET: 0
; COMPUTE_PGM_RSRC3_GFX90A:TG_SPLIT: 0
	.section	.text._ZN7rocprim17ROCPRIM_400000_NS6detail17trampoline_kernelINS0_14default_configENS1_25transform_config_selectorIxLb0EEEZNS1_14transform_implILb0ES3_S5_PxN6thrust23THRUST_200600_302600_NS6detail15normal_iteratorINS9_10device_ptrIxEEEENS0_8identityIxEEEE10hipError_tT2_T3_mT4_P12ihipStream_tbEUlT_E_NS1_11comp_targetILNS1_3genE0ELNS1_11target_archE4294967295ELNS1_3gpuE0ELNS1_3repE0EEENS1_30default_config_static_selectorELNS0_4arch9wavefront6targetE1EEEvT1_,"axG",@progbits,_ZN7rocprim17ROCPRIM_400000_NS6detail17trampoline_kernelINS0_14default_configENS1_25transform_config_selectorIxLb0EEEZNS1_14transform_implILb0ES3_S5_PxN6thrust23THRUST_200600_302600_NS6detail15normal_iteratorINS9_10device_ptrIxEEEENS0_8identityIxEEEE10hipError_tT2_T3_mT4_P12ihipStream_tbEUlT_E_NS1_11comp_targetILNS1_3genE0ELNS1_11target_archE4294967295ELNS1_3gpuE0ELNS1_3repE0EEENS1_30default_config_static_selectorELNS0_4arch9wavefront6targetE1EEEvT1_,comdat
	.protected	_ZN7rocprim17ROCPRIM_400000_NS6detail17trampoline_kernelINS0_14default_configENS1_25transform_config_selectorIxLb0EEEZNS1_14transform_implILb0ES3_S5_PxN6thrust23THRUST_200600_302600_NS6detail15normal_iteratorINS9_10device_ptrIxEEEENS0_8identityIxEEEE10hipError_tT2_T3_mT4_P12ihipStream_tbEUlT_E_NS1_11comp_targetILNS1_3genE0ELNS1_11target_archE4294967295ELNS1_3gpuE0ELNS1_3repE0EEENS1_30default_config_static_selectorELNS0_4arch9wavefront6targetE1EEEvT1_ ; -- Begin function _ZN7rocprim17ROCPRIM_400000_NS6detail17trampoline_kernelINS0_14default_configENS1_25transform_config_selectorIxLb0EEEZNS1_14transform_implILb0ES3_S5_PxN6thrust23THRUST_200600_302600_NS6detail15normal_iteratorINS9_10device_ptrIxEEEENS0_8identityIxEEEE10hipError_tT2_T3_mT4_P12ihipStream_tbEUlT_E_NS1_11comp_targetILNS1_3genE0ELNS1_11target_archE4294967295ELNS1_3gpuE0ELNS1_3repE0EEENS1_30default_config_static_selectorELNS0_4arch9wavefront6targetE1EEEvT1_
	.globl	_ZN7rocprim17ROCPRIM_400000_NS6detail17trampoline_kernelINS0_14default_configENS1_25transform_config_selectorIxLb0EEEZNS1_14transform_implILb0ES3_S5_PxN6thrust23THRUST_200600_302600_NS6detail15normal_iteratorINS9_10device_ptrIxEEEENS0_8identityIxEEEE10hipError_tT2_T3_mT4_P12ihipStream_tbEUlT_E_NS1_11comp_targetILNS1_3genE0ELNS1_11target_archE4294967295ELNS1_3gpuE0ELNS1_3repE0EEENS1_30default_config_static_selectorELNS0_4arch9wavefront6targetE1EEEvT1_
	.p2align	8
	.type	_ZN7rocprim17ROCPRIM_400000_NS6detail17trampoline_kernelINS0_14default_configENS1_25transform_config_selectorIxLb0EEEZNS1_14transform_implILb0ES3_S5_PxN6thrust23THRUST_200600_302600_NS6detail15normal_iteratorINS9_10device_ptrIxEEEENS0_8identityIxEEEE10hipError_tT2_T3_mT4_P12ihipStream_tbEUlT_E_NS1_11comp_targetILNS1_3genE0ELNS1_11target_archE4294967295ELNS1_3gpuE0ELNS1_3repE0EEENS1_30default_config_static_selectorELNS0_4arch9wavefront6targetE1EEEvT1_,@function
_ZN7rocprim17ROCPRIM_400000_NS6detail17trampoline_kernelINS0_14default_configENS1_25transform_config_selectorIxLb0EEEZNS1_14transform_implILb0ES3_S5_PxN6thrust23THRUST_200600_302600_NS6detail15normal_iteratorINS9_10device_ptrIxEEEENS0_8identityIxEEEE10hipError_tT2_T3_mT4_P12ihipStream_tbEUlT_E_NS1_11comp_targetILNS1_3genE0ELNS1_11target_archE4294967295ELNS1_3gpuE0ELNS1_3repE0EEENS1_30default_config_static_selectorELNS0_4arch9wavefront6targetE1EEEvT1_: ; @_ZN7rocprim17ROCPRIM_400000_NS6detail17trampoline_kernelINS0_14default_configENS1_25transform_config_selectorIxLb0EEEZNS1_14transform_implILb0ES3_S5_PxN6thrust23THRUST_200600_302600_NS6detail15normal_iteratorINS9_10device_ptrIxEEEENS0_8identityIxEEEE10hipError_tT2_T3_mT4_P12ihipStream_tbEUlT_E_NS1_11comp_targetILNS1_3genE0ELNS1_11target_archE4294967295ELNS1_3gpuE0ELNS1_3repE0EEENS1_30default_config_static_selectorELNS0_4arch9wavefront6targetE1EEEvT1_
; %bb.0:
	.section	.rodata,"a",@progbits
	.p2align	6, 0x0
	.amdhsa_kernel _ZN7rocprim17ROCPRIM_400000_NS6detail17trampoline_kernelINS0_14default_configENS1_25transform_config_selectorIxLb0EEEZNS1_14transform_implILb0ES3_S5_PxN6thrust23THRUST_200600_302600_NS6detail15normal_iteratorINS9_10device_ptrIxEEEENS0_8identityIxEEEE10hipError_tT2_T3_mT4_P12ihipStream_tbEUlT_E_NS1_11comp_targetILNS1_3genE0ELNS1_11target_archE4294967295ELNS1_3gpuE0ELNS1_3repE0EEENS1_30default_config_static_selectorELNS0_4arch9wavefront6targetE1EEEvT1_
		.amdhsa_group_segment_fixed_size 0
		.amdhsa_private_segment_fixed_size 0
		.amdhsa_kernarg_size 40
		.amdhsa_user_sgpr_count 2
		.amdhsa_user_sgpr_dispatch_ptr 0
		.amdhsa_user_sgpr_queue_ptr 0
		.amdhsa_user_sgpr_kernarg_segment_ptr 1
		.amdhsa_user_sgpr_dispatch_id 0
		.amdhsa_user_sgpr_kernarg_preload_length 0
		.amdhsa_user_sgpr_kernarg_preload_offset 0
		.amdhsa_user_sgpr_private_segment_size 0
		.amdhsa_uses_dynamic_stack 0
		.amdhsa_enable_private_segment 0
		.amdhsa_system_sgpr_workgroup_id_x 1
		.amdhsa_system_sgpr_workgroup_id_y 0
		.amdhsa_system_sgpr_workgroup_id_z 0
		.amdhsa_system_sgpr_workgroup_info 0
		.amdhsa_system_vgpr_workitem_id 0
		.amdhsa_next_free_vgpr 1
		.amdhsa_next_free_sgpr 0
		.amdhsa_accum_offset 4
		.amdhsa_reserve_vcc 0
		.amdhsa_float_round_mode_32 0
		.amdhsa_float_round_mode_16_64 0
		.amdhsa_float_denorm_mode_32 3
		.amdhsa_float_denorm_mode_16_64 3
		.amdhsa_dx10_clamp 1
		.amdhsa_ieee_mode 1
		.amdhsa_fp16_overflow 0
		.amdhsa_tg_split 0
		.amdhsa_exception_fp_ieee_invalid_op 0
		.amdhsa_exception_fp_denorm_src 0
		.amdhsa_exception_fp_ieee_div_zero 0
		.amdhsa_exception_fp_ieee_overflow 0
		.amdhsa_exception_fp_ieee_underflow 0
		.amdhsa_exception_fp_ieee_inexact 0
		.amdhsa_exception_int_div_zero 0
	.end_amdhsa_kernel
	.section	.text._ZN7rocprim17ROCPRIM_400000_NS6detail17trampoline_kernelINS0_14default_configENS1_25transform_config_selectorIxLb0EEEZNS1_14transform_implILb0ES3_S5_PxN6thrust23THRUST_200600_302600_NS6detail15normal_iteratorINS9_10device_ptrIxEEEENS0_8identityIxEEEE10hipError_tT2_T3_mT4_P12ihipStream_tbEUlT_E_NS1_11comp_targetILNS1_3genE0ELNS1_11target_archE4294967295ELNS1_3gpuE0ELNS1_3repE0EEENS1_30default_config_static_selectorELNS0_4arch9wavefront6targetE1EEEvT1_,"axG",@progbits,_ZN7rocprim17ROCPRIM_400000_NS6detail17trampoline_kernelINS0_14default_configENS1_25transform_config_selectorIxLb0EEEZNS1_14transform_implILb0ES3_S5_PxN6thrust23THRUST_200600_302600_NS6detail15normal_iteratorINS9_10device_ptrIxEEEENS0_8identityIxEEEE10hipError_tT2_T3_mT4_P12ihipStream_tbEUlT_E_NS1_11comp_targetILNS1_3genE0ELNS1_11target_archE4294967295ELNS1_3gpuE0ELNS1_3repE0EEENS1_30default_config_static_selectorELNS0_4arch9wavefront6targetE1EEEvT1_,comdat
.Lfunc_end1458:
	.size	_ZN7rocprim17ROCPRIM_400000_NS6detail17trampoline_kernelINS0_14default_configENS1_25transform_config_selectorIxLb0EEEZNS1_14transform_implILb0ES3_S5_PxN6thrust23THRUST_200600_302600_NS6detail15normal_iteratorINS9_10device_ptrIxEEEENS0_8identityIxEEEE10hipError_tT2_T3_mT4_P12ihipStream_tbEUlT_E_NS1_11comp_targetILNS1_3genE0ELNS1_11target_archE4294967295ELNS1_3gpuE0ELNS1_3repE0EEENS1_30default_config_static_selectorELNS0_4arch9wavefront6targetE1EEEvT1_, .Lfunc_end1458-_ZN7rocprim17ROCPRIM_400000_NS6detail17trampoline_kernelINS0_14default_configENS1_25transform_config_selectorIxLb0EEEZNS1_14transform_implILb0ES3_S5_PxN6thrust23THRUST_200600_302600_NS6detail15normal_iteratorINS9_10device_ptrIxEEEENS0_8identityIxEEEE10hipError_tT2_T3_mT4_P12ihipStream_tbEUlT_E_NS1_11comp_targetILNS1_3genE0ELNS1_11target_archE4294967295ELNS1_3gpuE0ELNS1_3repE0EEENS1_30default_config_static_selectorELNS0_4arch9wavefront6targetE1EEEvT1_
                                        ; -- End function
	.section	.AMDGPU.csdata,"",@progbits
; Kernel info:
; codeLenInByte = 0
; NumSgprs: 6
; NumVgprs: 0
; NumAgprs: 0
; TotalNumVgprs: 0
; ScratchSize: 0
; MemoryBound: 0
; FloatMode: 240
; IeeeMode: 1
; LDSByteSize: 0 bytes/workgroup (compile time only)
; SGPRBlocks: 0
; VGPRBlocks: 0
; NumSGPRsForWavesPerEU: 6
; NumVGPRsForWavesPerEU: 1
; AccumOffset: 4
; Occupancy: 8
; WaveLimiterHint : 0
; COMPUTE_PGM_RSRC2:SCRATCH_EN: 0
; COMPUTE_PGM_RSRC2:USER_SGPR: 2
; COMPUTE_PGM_RSRC2:TRAP_HANDLER: 0
; COMPUTE_PGM_RSRC2:TGID_X_EN: 1
; COMPUTE_PGM_RSRC2:TGID_Y_EN: 0
; COMPUTE_PGM_RSRC2:TGID_Z_EN: 0
; COMPUTE_PGM_RSRC2:TIDIG_COMP_CNT: 0
; COMPUTE_PGM_RSRC3_GFX90A:ACCUM_OFFSET: 0
; COMPUTE_PGM_RSRC3_GFX90A:TG_SPLIT: 0
	.section	.text._ZN7rocprim17ROCPRIM_400000_NS6detail17trampoline_kernelINS0_14default_configENS1_25transform_config_selectorIxLb0EEEZNS1_14transform_implILb0ES3_S5_PxN6thrust23THRUST_200600_302600_NS6detail15normal_iteratorINS9_10device_ptrIxEEEENS0_8identityIxEEEE10hipError_tT2_T3_mT4_P12ihipStream_tbEUlT_E_NS1_11comp_targetILNS1_3genE5ELNS1_11target_archE942ELNS1_3gpuE9ELNS1_3repE0EEENS1_30default_config_static_selectorELNS0_4arch9wavefront6targetE1EEEvT1_,"axG",@progbits,_ZN7rocprim17ROCPRIM_400000_NS6detail17trampoline_kernelINS0_14default_configENS1_25transform_config_selectorIxLb0EEEZNS1_14transform_implILb0ES3_S5_PxN6thrust23THRUST_200600_302600_NS6detail15normal_iteratorINS9_10device_ptrIxEEEENS0_8identityIxEEEE10hipError_tT2_T3_mT4_P12ihipStream_tbEUlT_E_NS1_11comp_targetILNS1_3genE5ELNS1_11target_archE942ELNS1_3gpuE9ELNS1_3repE0EEENS1_30default_config_static_selectorELNS0_4arch9wavefront6targetE1EEEvT1_,comdat
	.protected	_ZN7rocprim17ROCPRIM_400000_NS6detail17trampoline_kernelINS0_14default_configENS1_25transform_config_selectorIxLb0EEEZNS1_14transform_implILb0ES3_S5_PxN6thrust23THRUST_200600_302600_NS6detail15normal_iteratorINS9_10device_ptrIxEEEENS0_8identityIxEEEE10hipError_tT2_T3_mT4_P12ihipStream_tbEUlT_E_NS1_11comp_targetILNS1_3genE5ELNS1_11target_archE942ELNS1_3gpuE9ELNS1_3repE0EEENS1_30default_config_static_selectorELNS0_4arch9wavefront6targetE1EEEvT1_ ; -- Begin function _ZN7rocprim17ROCPRIM_400000_NS6detail17trampoline_kernelINS0_14default_configENS1_25transform_config_selectorIxLb0EEEZNS1_14transform_implILb0ES3_S5_PxN6thrust23THRUST_200600_302600_NS6detail15normal_iteratorINS9_10device_ptrIxEEEENS0_8identityIxEEEE10hipError_tT2_T3_mT4_P12ihipStream_tbEUlT_E_NS1_11comp_targetILNS1_3genE5ELNS1_11target_archE942ELNS1_3gpuE9ELNS1_3repE0EEENS1_30default_config_static_selectorELNS0_4arch9wavefront6targetE1EEEvT1_
	.globl	_ZN7rocprim17ROCPRIM_400000_NS6detail17trampoline_kernelINS0_14default_configENS1_25transform_config_selectorIxLb0EEEZNS1_14transform_implILb0ES3_S5_PxN6thrust23THRUST_200600_302600_NS6detail15normal_iteratorINS9_10device_ptrIxEEEENS0_8identityIxEEEE10hipError_tT2_T3_mT4_P12ihipStream_tbEUlT_E_NS1_11comp_targetILNS1_3genE5ELNS1_11target_archE942ELNS1_3gpuE9ELNS1_3repE0EEENS1_30default_config_static_selectorELNS0_4arch9wavefront6targetE1EEEvT1_
	.p2align	8
	.type	_ZN7rocprim17ROCPRIM_400000_NS6detail17trampoline_kernelINS0_14default_configENS1_25transform_config_selectorIxLb0EEEZNS1_14transform_implILb0ES3_S5_PxN6thrust23THRUST_200600_302600_NS6detail15normal_iteratorINS9_10device_ptrIxEEEENS0_8identityIxEEEE10hipError_tT2_T3_mT4_P12ihipStream_tbEUlT_E_NS1_11comp_targetILNS1_3genE5ELNS1_11target_archE942ELNS1_3gpuE9ELNS1_3repE0EEENS1_30default_config_static_selectorELNS0_4arch9wavefront6targetE1EEEvT1_,@function
_ZN7rocprim17ROCPRIM_400000_NS6detail17trampoline_kernelINS0_14default_configENS1_25transform_config_selectorIxLb0EEEZNS1_14transform_implILb0ES3_S5_PxN6thrust23THRUST_200600_302600_NS6detail15normal_iteratorINS9_10device_ptrIxEEEENS0_8identityIxEEEE10hipError_tT2_T3_mT4_P12ihipStream_tbEUlT_E_NS1_11comp_targetILNS1_3genE5ELNS1_11target_archE942ELNS1_3gpuE9ELNS1_3repE0EEENS1_30default_config_static_selectorELNS0_4arch9wavefront6targetE1EEEvT1_: ; @_ZN7rocprim17ROCPRIM_400000_NS6detail17trampoline_kernelINS0_14default_configENS1_25transform_config_selectorIxLb0EEEZNS1_14transform_implILb0ES3_S5_PxN6thrust23THRUST_200600_302600_NS6detail15normal_iteratorINS9_10device_ptrIxEEEENS0_8identityIxEEEE10hipError_tT2_T3_mT4_P12ihipStream_tbEUlT_E_NS1_11comp_targetILNS1_3genE5ELNS1_11target_archE942ELNS1_3gpuE9ELNS1_3repE0EEENS1_30default_config_static_selectorELNS0_4arch9wavefront6targetE1EEEvT1_
; %bb.0:
	s_load_dwordx8 s[4:11], s[0:1], 0x0
	s_load_dword s3, s[0:1], 0x28
	v_lshlrev_b32_e32 v6, 3, v0
	s_waitcnt lgkmcnt(0)
	s_lshl_b64 s[0:1], s[6:7], 3
	s_add_u32 s6, s4, s0
	s_addc_u32 s7, s5, s1
	s_add_u32 s12, s10, s0
	s_addc_u32 s13, s11, s1
	s_lshl_b32 s0, s2, 10
	s_mov_b32 s1, 0
	s_add_i32 s3, s3, -1
	s_lshl_b64 s[4:5], s[0:1], 3
	s_add_u32 s6, s6, s4
	s_addc_u32 s7, s7, s5
	s_cmp_lg_u32 s2, s3
	s_cbranch_scc0 .LBB1459_2
; %bb.1:
	v_mov_b32_e32 v7, 0
	v_lshl_add_u64 v[2:3], s[6:7], 0, v[6:7]
	v_add_co_u32_e32 v2, vcc, 0x1000, v2
	global_load_dwordx2 v[10:11], v6, s[6:7]
	s_nop 0
	v_addc_co_u32_e32 v3, vcc, 0, v3, vcc
	global_load_dwordx2 v[4:5], v[2:3], off
	s_add_u32 s2, s12, s4
	s_addc_u32 s3, s13, s5
	v_lshl_add_u64 v[8:9], s[2:3], 0, v[6:7]
	s_mov_b64 s[2:3], -1
	s_waitcnt vmcnt(1)
	flat_store_dwordx2 v[8:9], v[10:11]
	s_cbranch_execz .LBB1459_3
	s_branch .LBB1459_12
.LBB1459_2:
	s_mov_b64 s[2:3], 0
                                        ; implicit-def: $vgpr4_vgpr5
                                        ; implicit-def: $vgpr8_vgpr9
.LBB1459_3:
	s_sub_i32 s8, s8, s0
	v_cmp_gt_u32_e32 vcc, s8, v0
                                        ; implicit-def: $vgpr2_vgpr3_vgpr4_vgpr5
	s_and_saveexec_b64 s[0:1], vcc
	s_cbranch_execz .LBB1459_5
; %bb.4:
	global_load_dwordx2 v[2:3], v6, s[6:7]
.LBB1459_5:
	s_or_b64 exec, exec, s[0:1]
	v_or_b32_e32 v0, 0x200, v0
	v_cmp_gt_u32_e64 s[0:1], s8, v0
	s_and_saveexec_b64 s[8:9], s[0:1]
	s_cbranch_execz .LBB1459_7
; %bb.6:
	v_lshlrev_b32_e32 v0, 3, v0
	global_load_dwordx2 v[4:5], v0, s[6:7]
.LBB1459_7:
	s_or_b64 exec, exec, s[8:9]
	s_add_u32 s4, s12, s4
	s_addc_u32 s5, s13, s5
	v_mov_b32_e32 v7, 0
	v_lshl_add_u64 v[8:9], s[4:5], 0, v[6:7]
	s_and_saveexec_b64 s[4:5], vcc
	s_cbranch_execz .LBB1459_9
; %bb.8:
	s_waitcnt vmcnt(0)
	flat_store_dwordx2 v[8:9], v[2:3]
.LBB1459_9:
	s_or_b64 exec, exec, s[4:5]
	s_and_saveexec_b64 s[4:5], s[0:1]
; %bb.10:
	s_or_b64 s[2:3], s[2:3], exec
; %bb.11:
	s_or_b64 exec, exec, s[4:5]
.LBB1459_12:
	s_and_saveexec_b64 s[0:1], s[2:3]
	s_cbranch_execnz .LBB1459_14
; %bb.13:
	s_endpgm
.LBB1459_14:
	v_add_co_u32_e32 v0, vcc, 0x1000, v8
	s_nop 1
	v_addc_co_u32_e32 v1, vcc, 0, v9, vcc
	s_waitcnt vmcnt(0)
	flat_store_dwordx2 v[0:1], v[4:5]
	s_endpgm
	.section	.rodata,"a",@progbits
	.p2align	6, 0x0
	.amdhsa_kernel _ZN7rocprim17ROCPRIM_400000_NS6detail17trampoline_kernelINS0_14default_configENS1_25transform_config_selectorIxLb0EEEZNS1_14transform_implILb0ES3_S5_PxN6thrust23THRUST_200600_302600_NS6detail15normal_iteratorINS9_10device_ptrIxEEEENS0_8identityIxEEEE10hipError_tT2_T3_mT4_P12ihipStream_tbEUlT_E_NS1_11comp_targetILNS1_3genE5ELNS1_11target_archE942ELNS1_3gpuE9ELNS1_3repE0EEENS1_30default_config_static_selectorELNS0_4arch9wavefront6targetE1EEEvT1_
		.amdhsa_group_segment_fixed_size 0
		.amdhsa_private_segment_fixed_size 0
		.amdhsa_kernarg_size 296
		.amdhsa_user_sgpr_count 2
		.amdhsa_user_sgpr_dispatch_ptr 0
		.amdhsa_user_sgpr_queue_ptr 0
		.amdhsa_user_sgpr_kernarg_segment_ptr 1
		.amdhsa_user_sgpr_dispatch_id 0
		.amdhsa_user_sgpr_kernarg_preload_length 0
		.amdhsa_user_sgpr_kernarg_preload_offset 0
		.amdhsa_user_sgpr_private_segment_size 0
		.amdhsa_uses_dynamic_stack 0
		.amdhsa_enable_private_segment 0
		.amdhsa_system_sgpr_workgroup_id_x 1
		.amdhsa_system_sgpr_workgroup_id_y 0
		.amdhsa_system_sgpr_workgroup_id_z 0
		.amdhsa_system_sgpr_workgroup_info 0
		.amdhsa_system_vgpr_workitem_id 0
		.amdhsa_next_free_vgpr 12
		.amdhsa_next_free_sgpr 14
		.amdhsa_accum_offset 12
		.amdhsa_reserve_vcc 1
		.amdhsa_float_round_mode_32 0
		.amdhsa_float_round_mode_16_64 0
		.amdhsa_float_denorm_mode_32 3
		.amdhsa_float_denorm_mode_16_64 3
		.amdhsa_dx10_clamp 1
		.amdhsa_ieee_mode 1
		.amdhsa_fp16_overflow 0
		.amdhsa_tg_split 0
		.amdhsa_exception_fp_ieee_invalid_op 0
		.amdhsa_exception_fp_denorm_src 0
		.amdhsa_exception_fp_ieee_div_zero 0
		.amdhsa_exception_fp_ieee_overflow 0
		.amdhsa_exception_fp_ieee_underflow 0
		.amdhsa_exception_fp_ieee_inexact 0
		.amdhsa_exception_int_div_zero 0
	.end_amdhsa_kernel
	.section	.text._ZN7rocprim17ROCPRIM_400000_NS6detail17trampoline_kernelINS0_14default_configENS1_25transform_config_selectorIxLb0EEEZNS1_14transform_implILb0ES3_S5_PxN6thrust23THRUST_200600_302600_NS6detail15normal_iteratorINS9_10device_ptrIxEEEENS0_8identityIxEEEE10hipError_tT2_T3_mT4_P12ihipStream_tbEUlT_E_NS1_11comp_targetILNS1_3genE5ELNS1_11target_archE942ELNS1_3gpuE9ELNS1_3repE0EEENS1_30default_config_static_selectorELNS0_4arch9wavefront6targetE1EEEvT1_,"axG",@progbits,_ZN7rocprim17ROCPRIM_400000_NS6detail17trampoline_kernelINS0_14default_configENS1_25transform_config_selectorIxLb0EEEZNS1_14transform_implILb0ES3_S5_PxN6thrust23THRUST_200600_302600_NS6detail15normal_iteratorINS9_10device_ptrIxEEEENS0_8identityIxEEEE10hipError_tT2_T3_mT4_P12ihipStream_tbEUlT_E_NS1_11comp_targetILNS1_3genE5ELNS1_11target_archE942ELNS1_3gpuE9ELNS1_3repE0EEENS1_30default_config_static_selectorELNS0_4arch9wavefront6targetE1EEEvT1_,comdat
.Lfunc_end1459:
	.size	_ZN7rocprim17ROCPRIM_400000_NS6detail17trampoline_kernelINS0_14default_configENS1_25transform_config_selectorIxLb0EEEZNS1_14transform_implILb0ES3_S5_PxN6thrust23THRUST_200600_302600_NS6detail15normal_iteratorINS9_10device_ptrIxEEEENS0_8identityIxEEEE10hipError_tT2_T3_mT4_P12ihipStream_tbEUlT_E_NS1_11comp_targetILNS1_3genE5ELNS1_11target_archE942ELNS1_3gpuE9ELNS1_3repE0EEENS1_30default_config_static_selectorELNS0_4arch9wavefront6targetE1EEEvT1_, .Lfunc_end1459-_ZN7rocprim17ROCPRIM_400000_NS6detail17trampoline_kernelINS0_14default_configENS1_25transform_config_selectorIxLb0EEEZNS1_14transform_implILb0ES3_S5_PxN6thrust23THRUST_200600_302600_NS6detail15normal_iteratorINS9_10device_ptrIxEEEENS0_8identityIxEEEE10hipError_tT2_T3_mT4_P12ihipStream_tbEUlT_E_NS1_11comp_targetILNS1_3genE5ELNS1_11target_archE942ELNS1_3gpuE9ELNS1_3repE0EEENS1_30default_config_static_selectorELNS0_4arch9wavefront6targetE1EEEvT1_
                                        ; -- End function
	.section	.AMDGPU.csdata,"",@progbits
; Kernel info:
; codeLenInByte = 332
; NumSgprs: 20
; NumVgprs: 12
; NumAgprs: 0
; TotalNumVgprs: 12
; ScratchSize: 0
; MemoryBound: 0
; FloatMode: 240
; IeeeMode: 1
; LDSByteSize: 0 bytes/workgroup (compile time only)
; SGPRBlocks: 2
; VGPRBlocks: 1
; NumSGPRsForWavesPerEU: 20
; NumVGPRsForWavesPerEU: 12
; AccumOffset: 12
; Occupancy: 8
; WaveLimiterHint : 1
; COMPUTE_PGM_RSRC2:SCRATCH_EN: 0
; COMPUTE_PGM_RSRC2:USER_SGPR: 2
; COMPUTE_PGM_RSRC2:TRAP_HANDLER: 0
; COMPUTE_PGM_RSRC2:TGID_X_EN: 1
; COMPUTE_PGM_RSRC2:TGID_Y_EN: 0
; COMPUTE_PGM_RSRC2:TGID_Z_EN: 0
; COMPUTE_PGM_RSRC2:TIDIG_COMP_CNT: 0
; COMPUTE_PGM_RSRC3_GFX90A:ACCUM_OFFSET: 2
; COMPUTE_PGM_RSRC3_GFX90A:TG_SPLIT: 0
	.section	.text._ZN7rocprim17ROCPRIM_400000_NS6detail17trampoline_kernelINS0_14default_configENS1_25transform_config_selectorIxLb0EEEZNS1_14transform_implILb0ES3_S5_PxN6thrust23THRUST_200600_302600_NS6detail15normal_iteratorINS9_10device_ptrIxEEEENS0_8identityIxEEEE10hipError_tT2_T3_mT4_P12ihipStream_tbEUlT_E_NS1_11comp_targetILNS1_3genE4ELNS1_11target_archE910ELNS1_3gpuE8ELNS1_3repE0EEENS1_30default_config_static_selectorELNS0_4arch9wavefront6targetE1EEEvT1_,"axG",@progbits,_ZN7rocprim17ROCPRIM_400000_NS6detail17trampoline_kernelINS0_14default_configENS1_25transform_config_selectorIxLb0EEEZNS1_14transform_implILb0ES3_S5_PxN6thrust23THRUST_200600_302600_NS6detail15normal_iteratorINS9_10device_ptrIxEEEENS0_8identityIxEEEE10hipError_tT2_T3_mT4_P12ihipStream_tbEUlT_E_NS1_11comp_targetILNS1_3genE4ELNS1_11target_archE910ELNS1_3gpuE8ELNS1_3repE0EEENS1_30default_config_static_selectorELNS0_4arch9wavefront6targetE1EEEvT1_,comdat
	.protected	_ZN7rocprim17ROCPRIM_400000_NS6detail17trampoline_kernelINS0_14default_configENS1_25transform_config_selectorIxLb0EEEZNS1_14transform_implILb0ES3_S5_PxN6thrust23THRUST_200600_302600_NS6detail15normal_iteratorINS9_10device_ptrIxEEEENS0_8identityIxEEEE10hipError_tT2_T3_mT4_P12ihipStream_tbEUlT_E_NS1_11comp_targetILNS1_3genE4ELNS1_11target_archE910ELNS1_3gpuE8ELNS1_3repE0EEENS1_30default_config_static_selectorELNS0_4arch9wavefront6targetE1EEEvT1_ ; -- Begin function _ZN7rocprim17ROCPRIM_400000_NS6detail17trampoline_kernelINS0_14default_configENS1_25transform_config_selectorIxLb0EEEZNS1_14transform_implILb0ES3_S5_PxN6thrust23THRUST_200600_302600_NS6detail15normal_iteratorINS9_10device_ptrIxEEEENS0_8identityIxEEEE10hipError_tT2_T3_mT4_P12ihipStream_tbEUlT_E_NS1_11comp_targetILNS1_3genE4ELNS1_11target_archE910ELNS1_3gpuE8ELNS1_3repE0EEENS1_30default_config_static_selectorELNS0_4arch9wavefront6targetE1EEEvT1_
	.globl	_ZN7rocprim17ROCPRIM_400000_NS6detail17trampoline_kernelINS0_14default_configENS1_25transform_config_selectorIxLb0EEEZNS1_14transform_implILb0ES3_S5_PxN6thrust23THRUST_200600_302600_NS6detail15normal_iteratorINS9_10device_ptrIxEEEENS0_8identityIxEEEE10hipError_tT2_T3_mT4_P12ihipStream_tbEUlT_E_NS1_11comp_targetILNS1_3genE4ELNS1_11target_archE910ELNS1_3gpuE8ELNS1_3repE0EEENS1_30default_config_static_selectorELNS0_4arch9wavefront6targetE1EEEvT1_
	.p2align	8
	.type	_ZN7rocprim17ROCPRIM_400000_NS6detail17trampoline_kernelINS0_14default_configENS1_25transform_config_selectorIxLb0EEEZNS1_14transform_implILb0ES3_S5_PxN6thrust23THRUST_200600_302600_NS6detail15normal_iteratorINS9_10device_ptrIxEEEENS0_8identityIxEEEE10hipError_tT2_T3_mT4_P12ihipStream_tbEUlT_E_NS1_11comp_targetILNS1_3genE4ELNS1_11target_archE910ELNS1_3gpuE8ELNS1_3repE0EEENS1_30default_config_static_selectorELNS0_4arch9wavefront6targetE1EEEvT1_,@function
_ZN7rocprim17ROCPRIM_400000_NS6detail17trampoline_kernelINS0_14default_configENS1_25transform_config_selectorIxLb0EEEZNS1_14transform_implILb0ES3_S5_PxN6thrust23THRUST_200600_302600_NS6detail15normal_iteratorINS9_10device_ptrIxEEEENS0_8identityIxEEEE10hipError_tT2_T3_mT4_P12ihipStream_tbEUlT_E_NS1_11comp_targetILNS1_3genE4ELNS1_11target_archE910ELNS1_3gpuE8ELNS1_3repE0EEENS1_30default_config_static_selectorELNS0_4arch9wavefront6targetE1EEEvT1_: ; @_ZN7rocprim17ROCPRIM_400000_NS6detail17trampoline_kernelINS0_14default_configENS1_25transform_config_selectorIxLb0EEEZNS1_14transform_implILb0ES3_S5_PxN6thrust23THRUST_200600_302600_NS6detail15normal_iteratorINS9_10device_ptrIxEEEENS0_8identityIxEEEE10hipError_tT2_T3_mT4_P12ihipStream_tbEUlT_E_NS1_11comp_targetILNS1_3genE4ELNS1_11target_archE910ELNS1_3gpuE8ELNS1_3repE0EEENS1_30default_config_static_selectorELNS0_4arch9wavefront6targetE1EEEvT1_
; %bb.0:
	.section	.rodata,"a",@progbits
	.p2align	6, 0x0
	.amdhsa_kernel _ZN7rocprim17ROCPRIM_400000_NS6detail17trampoline_kernelINS0_14default_configENS1_25transform_config_selectorIxLb0EEEZNS1_14transform_implILb0ES3_S5_PxN6thrust23THRUST_200600_302600_NS6detail15normal_iteratorINS9_10device_ptrIxEEEENS0_8identityIxEEEE10hipError_tT2_T3_mT4_P12ihipStream_tbEUlT_E_NS1_11comp_targetILNS1_3genE4ELNS1_11target_archE910ELNS1_3gpuE8ELNS1_3repE0EEENS1_30default_config_static_selectorELNS0_4arch9wavefront6targetE1EEEvT1_
		.amdhsa_group_segment_fixed_size 0
		.amdhsa_private_segment_fixed_size 0
		.amdhsa_kernarg_size 40
		.amdhsa_user_sgpr_count 2
		.amdhsa_user_sgpr_dispatch_ptr 0
		.amdhsa_user_sgpr_queue_ptr 0
		.amdhsa_user_sgpr_kernarg_segment_ptr 1
		.amdhsa_user_sgpr_dispatch_id 0
		.amdhsa_user_sgpr_kernarg_preload_length 0
		.amdhsa_user_sgpr_kernarg_preload_offset 0
		.amdhsa_user_sgpr_private_segment_size 0
		.amdhsa_uses_dynamic_stack 0
		.amdhsa_enable_private_segment 0
		.amdhsa_system_sgpr_workgroup_id_x 1
		.amdhsa_system_sgpr_workgroup_id_y 0
		.amdhsa_system_sgpr_workgroup_id_z 0
		.amdhsa_system_sgpr_workgroup_info 0
		.amdhsa_system_vgpr_workitem_id 0
		.amdhsa_next_free_vgpr 1
		.amdhsa_next_free_sgpr 0
		.amdhsa_accum_offset 4
		.amdhsa_reserve_vcc 0
		.amdhsa_float_round_mode_32 0
		.amdhsa_float_round_mode_16_64 0
		.amdhsa_float_denorm_mode_32 3
		.amdhsa_float_denorm_mode_16_64 3
		.amdhsa_dx10_clamp 1
		.amdhsa_ieee_mode 1
		.amdhsa_fp16_overflow 0
		.amdhsa_tg_split 0
		.amdhsa_exception_fp_ieee_invalid_op 0
		.amdhsa_exception_fp_denorm_src 0
		.amdhsa_exception_fp_ieee_div_zero 0
		.amdhsa_exception_fp_ieee_overflow 0
		.amdhsa_exception_fp_ieee_underflow 0
		.amdhsa_exception_fp_ieee_inexact 0
		.amdhsa_exception_int_div_zero 0
	.end_amdhsa_kernel
	.section	.text._ZN7rocprim17ROCPRIM_400000_NS6detail17trampoline_kernelINS0_14default_configENS1_25transform_config_selectorIxLb0EEEZNS1_14transform_implILb0ES3_S5_PxN6thrust23THRUST_200600_302600_NS6detail15normal_iteratorINS9_10device_ptrIxEEEENS0_8identityIxEEEE10hipError_tT2_T3_mT4_P12ihipStream_tbEUlT_E_NS1_11comp_targetILNS1_3genE4ELNS1_11target_archE910ELNS1_3gpuE8ELNS1_3repE0EEENS1_30default_config_static_selectorELNS0_4arch9wavefront6targetE1EEEvT1_,"axG",@progbits,_ZN7rocprim17ROCPRIM_400000_NS6detail17trampoline_kernelINS0_14default_configENS1_25transform_config_selectorIxLb0EEEZNS1_14transform_implILb0ES3_S5_PxN6thrust23THRUST_200600_302600_NS6detail15normal_iteratorINS9_10device_ptrIxEEEENS0_8identityIxEEEE10hipError_tT2_T3_mT4_P12ihipStream_tbEUlT_E_NS1_11comp_targetILNS1_3genE4ELNS1_11target_archE910ELNS1_3gpuE8ELNS1_3repE0EEENS1_30default_config_static_selectorELNS0_4arch9wavefront6targetE1EEEvT1_,comdat
.Lfunc_end1460:
	.size	_ZN7rocprim17ROCPRIM_400000_NS6detail17trampoline_kernelINS0_14default_configENS1_25transform_config_selectorIxLb0EEEZNS1_14transform_implILb0ES3_S5_PxN6thrust23THRUST_200600_302600_NS6detail15normal_iteratorINS9_10device_ptrIxEEEENS0_8identityIxEEEE10hipError_tT2_T3_mT4_P12ihipStream_tbEUlT_E_NS1_11comp_targetILNS1_3genE4ELNS1_11target_archE910ELNS1_3gpuE8ELNS1_3repE0EEENS1_30default_config_static_selectorELNS0_4arch9wavefront6targetE1EEEvT1_, .Lfunc_end1460-_ZN7rocprim17ROCPRIM_400000_NS6detail17trampoline_kernelINS0_14default_configENS1_25transform_config_selectorIxLb0EEEZNS1_14transform_implILb0ES3_S5_PxN6thrust23THRUST_200600_302600_NS6detail15normal_iteratorINS9_10device_ptrIxEEEENS0_8identityIxEEEE10hipError_tT2_T3_mT4_P12ihipStream_tbEUlT_E_NS1_11comp_targetILNS1_3genE4ELNS1_11target_archE910ELNS1_3gpuE8ELNS1_3repE0EEENS1_30default_config_static_selectorELNS0_4arch9wavefront6targetE1EEEvT1_
                                        ; -- End function
	.section	.AMDGPU.csdata,"",@progbits
; Kernel info:
; codeLenInByte = 0
; NumSgprs: 6
; NumVgprs: 0
; NumAgprs: 0
; TotalNumVgprs: 0
; ScratchSize: 0
; MemoryBound: 0
; FloatMode: 240
; IeeeMode: 1
; LDSByteSize: 0 bytes/workgroup (compile time only)
; SGPRBlocks: 0
; VGPRBlocks: 0
; NumSGPRsForWavesPerEU: 6
; NumVGPRsForWavesPerEU: 1
; AccumOffset: 4
; Occupancy: 8
; WaveLimiterHint : 0
; COMPUTE_PGM_RSRC2:SCRATCH_EN: 0
; COMPUTE_PGM_RSRC2:USER_SGPR: 2
; COMPUTE_PGM_RSRC2:TRAP_HANDLER: 0
; COMPUTE_PGM_RSRC2:TGID_X_EN: 1
; COMPUTE_PGM_RSRC2:TGID_Y_EN: 0
; COMPUTE_PGM_RSRC2:TGID_Z_EN: 0
; COMPUTE_PGM_RSRC2:TIDIG_COMP_CNT: 0
; COMPUTE_PGM_RSRC3_GFX90A:ACCUM_OFFSET: 0
; COMPUTE_PGM_RSRC3_GFX90A:TG_SPLIT: 0
	.section	.text._ZN7rocprim17ROCPRIM_400000_NS6detail17trampoline_kernelINS0_14default_configENS1_25transform_config_selectorIxLb0EEEZNS1_14transform_implILb0ES3_S5_PxN6thrust23THRUST_200600_302600_NS6detail15normal_iteratorINS9_10device_ptrIxEEEENS0_8identityIxEEEE10hipError_tT2_T3_mT4_P12ihipStream_tbEUlT_E_NS1_11comp_targetILNS1_3genE3ELNS1_11target_archE908ELNS1_3gpuE7ELNS1_3repE0EEENS1_30default_config_static_selectorELNS0_4arch9wavefront6targetE1EEEvT1_,"axG",@progbits,_ZN7rocprim17ROCPRIM_400000_NS6detail17trampoline_kernelINS0_14default_configENS1_25transform_config_selectorIxLb0EEEZNS1_14transform_implILb0ES3_S5_PxN6thrust23THRUST_200600_302600_NS6detail15normal_iteratorINS9_10device_ptrIxEEEENS0_8identityIxEEEE10hipError_tT2_T3_mT4_P12ihipStream_tbEUlT_E_NS1_11comp_targetILNS1_3genE3ELNS1_11target_archE908ELNS1_3gpuE7ELNS1_3repE0EEENS1_30default_config_static_selectorELNS0_4arch9wavefront6targetE1EEEvT1_,comdat
	.protected	_ZN7rocprim17ROCPRIM_400000_NS6detail17trampoline_kernelINS0_14default_configENS1_25transform_config_selectorIxLb0EEEZNS1_14transform_implILb0ES3_S5_PxN6thrust23THRUST_200600_302600_NS6detail15normal_iteratorINS9_10device_ptrIxEEEENS0_8identityIxEEEE10hipError_tT2_T3_mT4_P12ihipStream_tbEUlT_E_NS1_11comp_targetILNS1_3genE3ELNS1_11target_archE908ELNS1_3gpuE7ELNS1_3repE0EEENS1_30default_config_static_selectorELNS0_4arch9wavefront6targetE1EEEvT1_ ; -- Begin function _ZN7rocprim17ROCPRIM_400000_NS6detail17trampoline_kernelINS0_14default_configENS1_25transform_config_selectorIxLb0EEEZNS1_14transform_implILb0ES3_S5_PxN6thrust23THRUST_200600_302600_NS6detail15normal_iteratorINS9_10device_ptrIxEEEENS0_8identityIxEEEE10hipError_tT2_T3_mT4_P12ihipStream_tbEUlT_E_NS1_11comp_targetILNS1_3genE3ELNS1_11target_archE908ELNS1_3gpuE7ELNS1_3repE0EEENS1_30default_config_static_selectorELNS0_4arch9wavefront6targetE1EEEvT1_
	.globl	_ZN7rocprim17ROCPRIM_400000_NS6detail17trampoline_kernelINS0_14default_configENS1_25transform_config_selectorIxLb0EEEZNS1_14transform_implILb0ES3_S5_PxN6thrust23THRUST_200600_302600_NS6detail15normal_iteratorINS9_10device_ptrIxEEEENS0_8identityIxEEEE10hipError_tT2_T3_mT4_P12ihipStream_tbEUlT_E_NS1_11comp_targetILNS1_3genE3ELNS1_11target_archE908ELNS1_3gpuE7ELNS1_3repE0EEENS1_30default_config_static_selectorELNS0_4arch9wavefront6targetE1EEEvT1_
	.p2align	8
	.type	_ZN7rocprim17ROCPRIM_400000_NS6detail17trampoline_kernelINS0_14default_configENS1_25transform_config_selectorIxLb0EEEZNS1_14transform_implILb0ES3_S5_PxN6thrust23THRUST_200600_302600_NS6detail15normal_iteratorINS9_10device_ptrIxEEEENS0_8identityIxEEEE10hipError_tT2_T3_mT4_P12ihipStream_tbEUlT_E_NS1_11comp_targetILNS1_3genE3ELNS1_11target_archE908ELNS1_3gpuE7ELNS1_3repE0EEENS1_30default_config_static_selectorELNS0_4arch9wavefront6targetE1EEEvT1_,@function
_ZN7rocprim17ROCPRIM_400000_NS6detail17trampoline_kernelINS0_14default_configENS1_25transform_config_selectorIxLb0EEEZNS1_14transform_implILb0ES3_S5_PxN6thrust23THRUST_200600_302600_NS6detail15normal_iteratorINS9_10device_ptrIxEEEENS0_8identityIxEEEE10hipError_tT2_T3_mT4_P12ihipStream_tbEUlT_E_NS1_11comp_targetILNS1_3genE3ELNS1_11target_archE908ELNS1_3gpuE7ELNS1_3repE0EEENS1_30default_config_static_selectorELNS0_4arch9wavefront6targetE1EEEvT1_: ; @_ZN7rocprim17ROCPRIM_400000_NS6detail17trampoline_kernelINS0_14default_configENS1_25transform_config_selectorIxLb0EEEZNS1_14transform_implILb0ES3_S5_PxN6thrust23THRUST_200600_302600_NS6detail15normal_iteratorINS9_10device_ptrIxEEEENS0_8identityIxEEEE10hipError_tT2_T3_mT4_P12ihipStream_tbEUlT_E_NS1_11comp_targetILNS1_3genE3ELNS1_11target_archE908ELNS1_3gpuE7ELNS1_3repE0EEENS1_30default_config_static_selectorELNS0_4arch9wavefront6targetE1EEEvT1_
; %bb.0:
	.section	.rodata,"a",@progbits
	.p2align	6, 0x0
	.amdhsa_kernel _ZN7rocprim17ROCPRIM_400000_NS6detail17trampoline_kernelINS0_14default_configENS1_25transform_config_selectorIxLb0EEEZNS1_14transform_implILb0ES3_S5_PxN6thrust23THRUST_200600_302600_NS6detail15normal_iteratorINS9_10device_ptrIxEEEENS0_8identityIxEEEE10hipError_tT2_T3_mT4_P12ihipStream_tbEUlT_E_NS1_11comp_targetILNS1_3genE3ELNS1_11target_archE908ELNS1_3gpuE7ELNS1_3repE0EEENS1_30default_config_static_selectorELNS0_4arch9wavefront6targetE1EEEvT1_
		.amdhsa_group_segment_fixed_size 0
		.amdhsa_private_segment_fixed_size 0
		.amdhsa_kernarg_size 40
		.amdhsa_user_sgpr_count 2
		.amdhsa_user_sgpr_dispatch_ptr 0
		.amdhsa_user_sgpr_queue_ptr 0
		.amdhsa_user_sgpr_kernarg_segment_ptr 1
		.amdhsa_user_sgpr_dispatch_id 0
		.amdhsa_user_sgpr_kernarg_preload_length 0
		.amdhsa_user_sgpr_kernarg_preload_offset 0
		.amdhsa_user_sgpr_private_segment_size 0
		.amdhsa_uses_dynamic_stack 0
		.amdhsa_enable_private_segment 0
		.amdhsa_system_sgpr_workgroup_id_x 1
		.amdhsa_system_sgpr_workgroup_id_y 0
		.amdhsa_system_sgpr_workgroup_id_z 0
		.amdhsa_system_sgpr_workgroup_info 0
		.amdhsa_system_vgpr_workitem_id 0
		.amdhsa_next_free_vgpr 1
		.amdhsa_next_free_sgpr 0
		.amdhsa_accum_offset 4
		.amdhsa_reserve_vcc 0
		.amdhsa_float_round_mode_32 0
		.amdhsa_float_round_mode_16_64 0
		.amdhsa_float_denorm_mode_32 3
		.amdhsa_float_denorm_mode_16_64 3
		.amdhsa_dx10_clamp 1
		.amdhsa_ieee_mode 1
		.amdhsa_fp16_overflow 0
		.amdhsa_tg_split 0
		.amdhsa_exception_fp_ieee_invalid_op 0
		.amdhsa_exception_fp_denorm_src 0
		.amdhsa_exception_fp_ieee_div_zero 0
		.amdhsa_exception_fp_ieee_overflow 0
		.amdhsa_exception_fp_ieee_underflow 0
		.amdhsa_exception_fp_ieee_inexact 0
		.amdhsa_exception_int_div_zero 0
	.end_amdhsa_kernel
	.section	.text._ZN7rocprim17ROCPRIM_400000_NS6detail17trampoline_kernelINS0_14default_configENS1_25transform_config_selectorIxLb0EEEZNS1_14transform_implILb0ES3_S5_PxN6thrust23THRUST_200600_302600_NS6detail15normal_iteratorINS9_10device_ptrIxEEEENS0_8identityIxEEEE10hipError_tT2_T3_mT4_P12ihipStream_tbEUlT_E_NS1_11comp_targetILNS1_3genE3ELNS1_11target_archE908ELNS1_3gpuE7ELNS1_3repE0EEENS1_30default_config_static_selectorELNS0_4arch9wavefront6targetE1EEEvT1_,"axG",@progbits,_ZN7rocprim17ROCPRIM_400000_NS6detail17trampoline_kernelINS0_14default_configENS1_25transform_config_selectorIxLb0EEEZNS1_14transform_implILb0ES3_S5_PxN6thrust23THRUST_200600_302600_NS6detail15normal_iteratorINS9_10device_ptrIxEEEENS0_8identityIxEEEE10hipError_tT2_T3_mT4_P12ihipStream_tbEUlT_E_NS1_11comp_targetILNS1_3genE3ELNS1_11target_archE908ELNS1_3gpuE7ELNS1_3repE0EEENS1_30default_config_static_selectorELNS0_4arch9wavefront6targetE1EEEvT1_,comdat
.Lfunc_end1461:
	.size	_ZN7rocprim17ROCPRIM_400000_NS6detail17trampoline_kernelINS0_14default_configENS1_25transform_config_selectorIxLb0EEEZNS1_14transform_implILb0ES3_S5_PxN6thrust23THRUST_200600_302600_NS6detail15normal_iteratorINS9_10device_ptrIxEEEENS0_8identityIxEEEE10hipError_tT2_T3_mT4_P12ihipStream_tbEUlT_E_NS1_11comp_targetILNS1_3genE3ELNS1_11target_archE908ELNS1_3gpuE7ELNS1_3repE0EEENS1_30default_config_static_selectorELNS0_4arch9wavefront6targetE1EEEvT1_, .Lfunc_end1461-_ZN7rocprim17ROCPRIM_400000_NS6detail17trampoline_kernelINS0_14default_configENS1_25transform_config_selectorIxLb0EEEZNS1_14transform_implILb0ES3_S5_PxN6thrust23THRUST_200600_302600_NS6detail15normal_iteratorINS9_10device_ptrIxEEEENS0_8identityIxEEEE10hipError_tT2_T3_mT4_P12ihipStream_tbEUlT_E_NS1_11comp_targetILNS1_3genE3ELNS1_11target_archE908ELNS1_3gpuE7ELNS1_3repE0EEENS1_30default_config_static_selectorELNS0_4arch9wavefront6targetE1EEEvT1_
                                        ; -- End function
	.section	.AMDGPU.csdata,"",@progbits
; Kernel info:
; codeLenInByte = 0
; NumSgprs: 6
; NumVgprs: 0
; NumAgprs: 0
; TotalNumVgprs: 0
; ScratchSize: 0
; MemoryBound: 0
; FloatMode: 240
; IeeeMode: 1
; LDSByteSize: 0 bytes/workgroup (compile time only)
; SGPRBlocks: 0
; VGPRBlocks: 0
; NumSGPRsForWavesPerEU: 6
; NumVGPRsForWavesPerEU: 1
; AccumOffset: 4
; Occupancy: 8
; WaveLimiterHint : 0
; COMPUTE_PGM_RSRC2:SCRATCH_EN: 0
; COMPUTE_PGM_RSRC2:USER_SGPR: 2
; COMPUTE_PGM_RSRC2:TRAP_HANDLER: 0
; COMPUTE_PGM_RSRC2:TGID_X_EN: 1
; COMPUTE_PGM_RSRC2:TGID_Y_EN: 0
; COMPUTE_PGM_RSRC2:TGID_Z_EN: 0
; COMPUTE_PGM_RSRC2:TIDIG_COMP_CNT: 0
; COMPUTE_PGM_RSRC3_GFX90A:ACCUM_OFFSET: 0
; COMPUTE_PGM_RSRC3_GFX90A:TG_SPLIT: 0
	.section	.text._ZN7rocprim17ROCPRIM_400000_NS6detail17trampoline_kernelINS0_14default_configENS1_25transform_config_selectorIxLb0EEEZNS1_14transform_implILb0ES3_S5_PxN6thrust23THRUST_200600_302600_NS6detail15normal_iteratorINS9_10device_ptrIxEEEENS0_8identityIxEEEE10hipError_tT2_T3_mT4_P12ihipStream_tbEUlT_E_NS1_11comp_targetILNS1_3genE2ELNS1_11target_archE906ELNS1_3gpuE6ELNS1_3repE0EEENS1_30default_config_static_selectorELNS0_4arch9wavefront6targetE1EEEvT1_,"axG",@progbits,_ZN7rocprim17ROCPRIM_400000_NS6detail17trampoline_kernelINS0_14default_configENS1_25transform_config_selectorIxLb0EEEZNS1_14transform_implILb0ES3_S5_PxN6thrust23THRUST_200600_302600_NS6detail15normal_iteratorINS9_10device_ptrIxEEEENS0_8identityIxEEEE10hipError_tT2_T3_mT4_P12ihipStream_tbEUlT_E_NS1_11comp_targetILNS1_3genE2ELNS1_11target_archE906ELNS1_3gpuE6ELNS1_3repE0EEENS1_30default_config_static_selectorELNS0_4arch9wavefront6targetE1EEEvT1_,comdat
	.protected	_ZN7rocprim17ROCPRIM_400000_NS6detail17trampoline_kernelINS0_14default_configENS1_25transform_config_selectorIxLb0EEEZNS1_14transform_implILb0ES3_S5_PxN6thrust23THRUST_200600_302600_NS6detail15normal_iteratorINS9_10device_ptrIxEEEENS0_8identityIxEEEE10hipError_tT2_T3_mT4_P12ihipStream_tbEUlT_E_NS1_11comp_targetILNS1_3genE2ELNS1_11target_archE906ELNS1_3gpuE6ELNS1_3repE0EEENS1_30default_config_static_selectorELNS0_4arch9wavefront6targetE1EEEvT1_ ; -- Begin function _ZN7rocprim17ROCPRIM_400000_NS6detail17trampoline_kernelINS0_14default_configENS1_25transform_config_selectorIxLb0EEEZNS1_14transform_implILb0ES3_S5_PxN6thrust23THRUST_200600_302600_NS6detail15normal_iteratorINS9_10device_ptrIxEEEENS0_8identityIxEEEE10hipError_tT2_T3_mT4_P12ihipStream_tbEUlT_E_NS1_11comp_targetILNS1_3genE2ELNS1_11target_archE906ELNS1_3gpuE6ELNS1_3repE0EEENS1_30default_config_static_selectorELNS0_4arch9wavefront6targetE1EEEvT1_
	.globl	_ZN7rocprim17ROCPRIM_400000_NS6detail17trampoline_kernelINS0_14default_configENS1_25transform_config_selectorIxLb0EEEZNS1_14transform_implILb0ES3_S5_PxN6thrust23THRUST_200600_302600_NS6detail15normal_iteratorINS9_10device_ptrIxEEEENS0_8identityIxEEEE10hipError_tT2_T3_mT4_P12ihipStream_tbEUlT_E_NS1_11comp_targetILNS1_3genE2ELNS1_11target_archE906ELNS1_3gpuE6ELNS1_3repE0EEENS1_30default_config_static_selectorELNS0_4arch9wavefront6targetE1EEEvT1_
	.p2align	8
	.type	_ZN7rocprim17ROCPRIM_400000_NS6detail17trampoline_kernelINS0_14default_configENS1_25transform_config_selectorIxLb0EEEZNS1_14transform_implILb0ES3_S5_PxN6thrust23THRUST_200600_302600_NS6detail15normal_iteratorINS9_10device_ptrIxEEEENS0_8identityIxEEEE10hipError_tT2_T3_mT4_P12ihipStream_tbEUlT_E_NS1_11comp_targetILNS1_3genE2ELNS1_11target_archE906ELNS1_3gpuE6ELNS1_3repE0EEENS1_30default_config_static_selectorELNS0_4arch9wavefront6targetE1EEEvT1_,@function
_ZN7rocprim17ROCPRIM_400000_NS6detail17trampoline_kernelINS0_14default_configENS1_25transform_config_selectorIxLb0EEEZNS1_14transform_implILb0ES3_S5_PxN6thrust23THRUST_200600_302600_NS6detail15normal_iteratorINS9_10device_ptrIxEEEENS0_8identityIxEEEE10hipError_tT2_T3_mT4_P12ihipStream_tbEUlT_E_NS1_11comp_targetILNS1_3genE2ELNS1_11target_archE906ELNS1_3gpuE6ELNS1_3repE0EEENS1_30default_config_static_selectorELNS0_4arch9wavefront6targetE1EEEvT1_: ; @_ZN7rocprim17ROCPRIM_400000_NS6detail17trampoline_kernelINS0_14default_configENS1_25transform_config_selectorIxLb0EEEZNS1_14transform_implILb0ES3_S5_PxN6thrust23THRUST_200600_302600_NS6detail15normal_iteratorINS9_10device_ptrIxEEEENS0_8identityIxEEEE10hipError_tT2_T3_mT4_P12ihipStream_tbEUlT_E_NS1_11comp_targetILNS1_3genE2ELNS1_11target_archE906ELNS1_3gpuE6ELNS1_3repE0EEENS1_30default_config_static_selectorELNS0_4arch9wavefront6targetE1EEEvT1_
; %bb.0:
	.section	.rodata,"a",@progbits
	.p2align	6, 0x0
	.amdhsa_kernel _ZN7rocprim17ROCPRIM_400000_NS6detail17trampoline_kernelINS0_14default_configENS1_25transform_config_selectorIxLb0EEEZNS1_14transform_implILb0ES3_S5_PxN6thrust23THRUST_200600_302600_NS6detail15normal_iteratorINS9_10device_ptrIxEEEENS0_8identityIxEEEE10hipError_tT2_T3_mT4_P12ihipStream_tbEUlT_E_NS1_11comp_targetILNS1_3genE2ELNS1_11target_archE906ELNS1_3gpuE6ELNS1_3repE0EEENS1_30default_config_static_selectorELNS0_4arch9wavefront6targetE1EEEvT1_
		.amdhsa_group_segment_fixed_size 0
		.amdhsa_private_segment_fixed_size 0
		.amdhsa_kernarg_size 40
		.amdhsa_user_sgpr_count 2
		.amdhsa_user_sgpr_dispatch_ptr 0
		.amdhsa_user_sgpr_queue_ptr 0
		.amdhsa_user_sgpr_kernarg_segment_ptr 1
		.amdhsa_user_sgpr_dispatch_id 0
		.amdhsa_user_sgpr_kernarg_preload_length 0
		.amdhsa_user_sgpr_kernarg_preload_offset 0
		.amdhsa_user_sgpr_private_segment_size 0
		.amdhsa_uses_dynamic_stack 0
		.amdhsa_enable_private_segment 0
		.amdhsa_system_sgpr_workgroup_id_x 1
		.amdhsa_system_sgpr_workgroup_id_y 0
		.amdhsa_system_sgpr_workgroup_id_z 0
		.amdhsa_system_sgpr_workgroup_info 0
		.amdhsa_system_vgpr_workitem_id 0
		.amdhsa_next_free_vgpr 1
		.amdhsa_next_free_sgpr 0
		.amdhsa_accum_offset 4
		.amdhsa_reserve_vcc 0
		.amdhsa_float_round_mode_32 0
		.amdhsa_float_round_mode_16_64 0
		.amdhsa_float_denorm_mode_32 3
		.amdhsa_float_denorm_mode_16_64 3
		.amdhsa_dx10_clamp 1
		.amdhsa_ieee_mode 1
		.amdhsa_fp16_overflow 0
		.amdhsa_tg_split 0
		.amdhsa_exception_fp_ieee_invalid_op 0
		.amdhsa_exception_fp_denorm_src 0
		.amdhsa_exception_fp_ieee_div_zero 0
		.amdhsa_exception_fp_ieee_overflow 0
		.amdhsa_exception_fp_ieee_underflow 0
		.amdhsa_exception_fp_ieee_inexact 0
		.amdhsa_exception_int_div_zero 0
	.end_amdhsa_kernel
	.section	.text._ZN7rocprim17ROCPRIM_400000_NS6detail17trampoline_kernelINS0_14default_configENS1_25transform_config_selectorIxLb0EEEZNS1_14transform_implILb0ES3_S5_PxN6thrust23THRUST_200600_302600_NS6detail15normal_iteratorINS9_10device_ptrIxEEEENS0_8identityIxEEEE10hipError_tT2_T3_mT4_P12ihipStream_tbEUlT_E_NS1_11comp_targetILNS1_3genE2ELNS1_11target_archE906ELNS1_3gpuE6ELNS1_3repE0EEENS1_30default_config_static_selectorELNS0_4arch9wavefront6targetE1EEEvT1_,"axG",@progbits,_ZN7rocprim17ROCPRIM_400000_NS6detail17trampoline_kernelINS0_14default_configENS1_25transform_config_selectorIxLb0EEEZNS1_14transform_implILb0ES3_S5_PxN6thrust23THRUST_200600_302600_NS6detail15normal_iteratorINS9_10device_ptrIxEEEENS0_8identityIxEEEE10hipError_tT2_T3_mT4_P12ihipStream_tbEUlT_E_NS1_11comp_targetILNS1_3genE2ELNS1_11target_archE906ELNS1_3gpuE6ELNS1_3repE0EEENS1_30default_config_static_selectorELNS0_4arch9wavefront6targetE1EEEvT1_,comdat
.Lfunc_end1462:
	.size	_ZN7rocprim17ROCPRIM_400000_NS6detail17trampoline_kernelINS0_14default_configENS1_25transform_config_selectorIxLb0EEEZNS1_14transform_implILb0ES3_S5_PxN6thrust23THRUST_200600_302600_NS6detail15normal_iteratorINS9_10device_ptrIxEEEENS0_8identityIxEEEE10hipError_tT2_T3_mT4_P12ihipStream_tbEUlT_E_NS1_11comp_targetILNS1_3genE2ELNS1_11target_archE906ELNS1_3gpuE6ELNS1_3repE0EEENS1_30default_config_static_selectorELNS0_4arch9wavefront6targetE1EEEvT1_, .Lfunc_end1462-_ZN7rocprim17ROCPRIM_400000_NS6detail17trampoline_kernelINS0_14default_configENS1_25transform_config_selectorIxLb0EEEZNS1_14transform_implILb0ES3_S5_PxN6thrust23THRUST_200600_302600_NS6detail15normal_iteratorINS9_10device_ptrIxEEEENS0_8identityIxEEEE10hipError_tT2_T3_mT4_P12ihipStream_tbEUlT_E_NS1_11comp_targetILNS1_3genE2ELNS1_11target_archE906ELNS1_3gpuE6ELNS1_3repE0EEENS1_30default_config_static_selectorELNS0_4arch9wavefront6targetE1EEEvT1_
                                        ; -- End function
	.section	.AMDGPU.csdata,"",@progbits
; Kernel info:
; codeLenInByte = 0
; NumSgprs: 6
; NumVgprs: 0
; NumAgprs: 0
; TotalNumVgprs: 0
; ScratchSize: 0
; MemoryBound: 0
; FloatMode: 240
; IeeeMode: 1
; LDSByteSize: 0 bytes/workgroup (compile time only)
; SGPRBlocks: 0
; VGPRBlocks: 0
; NumSGPRsForWavesPerEU: 6
; NumVGPRsForWavesPerEU: 1
; AccumOffset: 4
; Occupancy: 8
; WaveLimiterHint : 0
; COMPUTE_PGM_RSRC2:SCRATCH_EN: 0
; COMPUTE_PGM_RSRC2:USER_SGPR: 2
; COMPUTE_PGM_RSRC2:TRAP_HANDLER: 0
; COMPUTE_PGM_RSRC2:TGID_X_EN: 1
; COMPUTE_PGM_RSRC2:TGID_Y_EN: 0
; COMPUTE_PGM_RSRC2:TGID_Z_EN: 0
; COMPUTE_PGM_RSRC2:TIDIG_COMP_CNT: 0
; COMPUTE_PGM_RSRC3_GFX90A:ACCUM_OFFSET: 0
; COMPUTE_PGM_RSRC3_GFX90A:TG_SPLIT: 0
	.section	.text._ZN7rocprim17ROCPRIM_400000_NS6detail17trampoline_kernelINS0_14default_configENS1_25transform_config_selectorIxLb0EEEZNS1_14transform_implILb0ES3_S5_PxN6thrust23THRUST_200600_302600_NS6detail15normal_iteratorINS9_10device_ptrIxEEEENS0_8identityIxEEEE10hipError_tT2_T3_mT4_P12ihipStream_tbEUlT_E_NS1_11comp_targetILNS1_3genE10ELNS1_11target_archE1201ELNS1_3gpuE5ELNS1_3repE0EEENS1_30default_config_static_selectorELNS0_4arch9wavefront6targetE1EEEvT1_,"axG",@progbits,_ZN7rocprim17ROCPRIM_400000_NS6detail17trampoline_kernelINS0_14default_configENS1_25transform_config_selectorIxLb0EEEZNS1_14transform_implILb0ES3_S5_PxN6thrust23THRUST_200600_302600_NS6detail15normal_iteratorINS9_10device_ptrIxEEEENS0_8identityIxEEEE10hipError_tT2_T3_mT4_P12ihipStream_tbEUlT_E_NS1_11comp_targetILNS1_3genE10ELNS1_11target_archE1201ELNS1_3gpuE5ELNS1_3repE0EEENS1_30default_config_static_selectorELNS0_4arch9wavefront6targetE1EEEvT1_,comdat
	.protected	_ZN7rocprim17ROCPRIM_400000_NS6detail17trampoline_kernelINS0_14default_configENS1_25transform_config_selectorIxLb0EEEZNS1_14transform_implILb0ES3_S5_PxN6thrust23THRUST_200600_302600_NS6detail15normal_iteratorINS9_10device_ptrIxEEEENS0_8identityIxEEEE10hipError_tT2_T3_mT4_P12ihipStream_tbEUlT_E_NS1_11comp_targetILNS1_3genE10ELNS1_11target_archE1201ELNS1_3gpuE5ELNS1_3repE0EEENS1_30default_config_static_selectorELNS0_4arch9wavefront6targetE1EEEvT1_ ; -- Begin function _ZN7rocprim17ROCPRIM_400000_NS6detail17trampoline_kernelINS0_14default_configENS1_25transform_config_selectorIxLb0EEEZNS1_14transform_implILb0ES3_S5_PxN6thrust23THRUST_200600_302600_NS6detail15normal_iteratorINS9_10device_ptrIxEEEENS0_8identityIxEEEE10hipError_tT2_T3_mT4_P12ihipStream_tbEUlT_E_NS1_11comp_targetILNS1_3genE10ELNS1_11target_archE1201ELNS1_3gpuE5ELNS1_3repE0EEENS1_30default_config_static_selectorELNS0_4arch9wavefront6targetE1EEEvT1_
	.globl	_ZN7rocprim17ROCPRIM_400000_NS6detail17trampoline_kernelINS0_14default_configENS1_25transform_config_selectorIxLb0EEEZNS1_14transform_implILb0ES3_S5_PxN6thrust23THRUST_200600_302600_NS6detail15normal_iteratorINS9_10device_ptrIxEEEENS0_8identityIxEEEE10hipError_tT2_T3_mT4_P12ihipStream_tbEUlT_E_NS1_11comp_targetILNS1_3genE10ELNS1_11target_archE1201ELNS1_3gpuE5ELNS1_3repE0EEENS1_30default_config_static_selectorELNS0_4arch9wavefront6targetE1EEEvT1_
	.p2align	8
	.type	_ZN7rocprim17ROCPRIM_400000_NS6detail17trampoline_kernelINS0_14default_configENS1_25transform_config_selectorIxLb0EEEZNS1_14transform_implILb0ES3_S5_PxN6thrust23THRUST_200600_302600_NS6detail15normal_iteratorINS9_10device_ptrIxEEEENS0_8identityIxEEEE10hipError_tT2_T3_mT4_P12ihipStream_tbEUlT_E_NS1_11comp_targetILNS1_3genE10ELNS1_11target_archE1201ELNS1_3gpuE5ELNS1_3repE0EEENS1_30default_config_static_selectorELNS0_4arch9wavefront6targetE1EEEvT1_,@function
_ZN7rocprim17ROCPRIM_400000_NS6detail17trampoline_kernelINS0_14default_configENS1_25transform_config_selectorIxLb0EEEZNS1_14transform_implILb0ES3_S5_PxN6thrust23THRUST_200600_302600_NS6detail15normal_iteratorINS9_10device_ptrIxEEEENS0_8identityIxEEEE10hipError_tT2_T3_mT4_P12ihipStream_tbEUlT_E_NS1_11comp_targetILNS1_3genE10ELNS1_11target_archE1201ELNS1_3gpuE5ELNS1_3repE0EEENS1_30default_config_static_selectorELNS0_4arch9wavefront6targetE1EEEvT1_: ; @_ZN7rocprim17ROCPRIM_400000_NS6detail17trampoline_kernelINS0_14default_configENS1_25transform_config_selectorIxLb0EEEZNS1_14transform_implILb0ES3_S5_PxN6thrust23THRUST_200600_302600_NS6detail15normal_iteratorINS9_10device_ptrIxEEEENS0_8identityIxEEEE10hipError_tT2_T3_mT4_P12ihipStream_tbEUlT_E_NS1_11comp_targetILNS1_3genE10ELNS1_11target_archE1201ELNS1_3gpuE5ELNS1_3repE0EEENS1_30default_config_static_selectorELNS0_4arch9wavefront6targetE1EEEvT1_
; %bb.0:
	.section	.rodata,"a",@progbits
	.p2align	6, 0x0
	.amdhsa_kernel _ZN7rocprim17ROCPRIM_400000_NS6detail17trampoline_kernelINS0_14default_configENS1_25transform_config_selectorIxLb0EEEZNS1_14transform_implILb0ES3_S5_PxN6thrust23THRUST_200600_302600_NS6detail15normal_iteratorINS9_10device_ptrIxEEEENS0_8identityIxEEEE10hipError_tT2_T3_mT4_P12ihipStream_tbEUlT_E_NS1_11comp_targetILNS1_3genE10ELNS1_11target_archE1201ELNS1_3gpuE5ELNS1_3repE0EEENS1_30default_config_static_selectorELNS0_4arch9wavefront6targetE1EEEvT1_
		.amdhsa_group_segment_fixed_size 0
		.amdhsa_private_segment_fixed_size 0
		.amdhsa_kernarg_size 40
		.amdhsa_user_sgpr_count 2
		.amdhsa_user_sgpr_dispatch_ptr 0
		.amdhsa_user_sgpr_queue_ptr 0
		.amdhsa_user_sgpr_kernarg_segment_ptr 1
		.amdhsa_user_sgpr_dispatch_id 0
		.amdhsa_user_sgpr_kernarg_preload_length 0
		.amdhsa_user_sgpr_kernarg_preload_offset 0
		.amdhsa_user_sgpr_private_segment_size 0
		.amdhsa_uses_dynamic_stack 0
		.amdhsa_enable_private_segment 0
		.amdhsa_system_sgpr_workgroup_id_x 1
		.amdhsa_system_sgpr_workgroup_id_y 0
		.amdhsa_system_sgpr_workgroup_id_z 0
		.amdhsa_system_sgpr_workgroup_info 0
		.amdhsa_system_vgpr_workitem_id 0
		.amdhsa_next_free_vgpr 1
		.amdhsa_next_free_sgpr 0
		.amdhsa_accum_offset 4
		.amdhsa_reserve_vcc 0
		.amdhsa_float_round_mode_32 0
		.amdhsa_float_round_mode_16_64 0
		.amdhsa_float_denorm_mode_32 3
		.amdhsa_float_denorm_mode_16_64 3
		.amdhsa_dx10_clamp 1
		.amdhsa_ieee_mode 1
		.amdhsa_fp16_overflow 0
		.amdhsa_tg_split 0
		.amdhsa_exception_fp_ieee_invalid_op 0
		.amdhsa_exception_fp_denorm_src 0
		.amdhsa_exception_fp_ieee_div_zero 0
		.amdhsa_exception_fp_ieee_overflow 0
		.amdhsa_exception_fp_ieee_underflow 0
		.amdhsa_exception_fp_ieee_inexact 0
		.amdhsa_exception_int_div_zero 0
	.end_amdhsa_kernel
	.section	.text._ZN7rocprim17ROCPRIM_400000_NS6detail17trampoline_kernelINS0_14default_configENS1_25transform_config_selectorIxLb0EEEZNS1_14transform_implILb0ES3_S5_PxN6thrust23THRUST_200600_302600_NS6detail15normal_iteratorINS9_10device_ptrIxEEEENS0_8identityIxEEEE10hipError_tT2_T3_mT4_P12ihipStream_tbEUlT_E_NS1_11comp_targetILNS1_3genE10ELNS1_11target_archE1201ELNS1_3gpuE5ELNS1_3repE0EEENS1_30default_config_static_selectorELNS0_4arch9wavefront6targetE1EEEvT1_,"axG",@progbits,_ZN7rocprim17ROCPRIM_400000_NS6detail17trampoline_kernelINS0_14default_configENS1_25transform_config_selectorIxLb0EEEZNS1_14transform_implILb0ES3_S5_PxN6thrust23THRUST_200600_302600_NS6detail15normal_iteratorINS9_10device_ptrIxEEEENS0_8identityIxEEEE10hipError_tT2_T3_mT4_P12ihipStream_tbEUlT_E_NS1_11comp_targetILNS1_3genE10ELNS1_11target_archE1201ELNS1_3gpuE5ELNS1_3repE0EEENS1_30default_config_static_selectorELNS0_4arch9wavefront6targetE1EEEvT1_,comdat
.Lfunc_end1463:
	.size	_ZN7rocprim17ROCPRIM_400000_NS6detail17trampoline_kernelINS0_14default_configENS1_25transform_config_selectorIxLb0EEEZNS1_14transform_implILb0ES3_S5_PxN6thrust23THRUST_200600_302600_NS6detail15normal_iteratorINS9_10device_ptrIxEEEENS0_8identityIxEEEE10hipError_tT2_T3_mT4_P12ihipStream_tbEUlT_E_NS1_11comp_targetILNS1_3genE10ELNS1_11target_archE1201ELNS1_3gpuE5ELNS1_3repE0EEENS1_30default_config_static_selectorELNS0_4arch9wavefront6targetE1EEEvT1_, .Lfunc_end1463-_ZN7rocprim17ROCPRIM_400000_NS6detail17trampoline_kernelINS0_14default_configENS1_25transform_config_selectorIxLb0EEEZNS1_14transform_implILb0ES3_S5_PxN6thrust23THRUST_200600_302600_NS6detail15normal_iteratorINS9_10device_ptrIxEEEENS0_8identityIxEEEE10hipError_tT2_T3_mT4_P12ihipStream_tbEUlT_E_NS1_11comp_targetILNS1_3genE10ELNS1_11target_archE1201ELNS1_3gpuE5ELNS1_3repE0EEENS1_30default_config_static_selectorELNS0_4arch9wavefront6targetE1EEEvT1_
                                        ; -- End function
	.section	.AMDGPU.csdata,"",@progbits
; Kernel info:
; codeLenInByte = 0
; NumSgprs: 6
; NumVgprs: 0
; NumAgprs: 0
; TotalNumVgprs: 0
; ScratchSize: 0
; MemoryBound: 0
; FloatMode: 240
; IeeeMode: 1
; LDSByteSize: 0 bytes/workgroup (compile time only)
; SGPRBlocks: 0
; VGPRBlocks: 0
; NumSGPRsForWavesPerEU: 6
; NumVGPRsForWavesPerEU: 1
; AccumOffset: 4
; Occupancy: 8
; WaveLimiterHint : 0
; COMPUTE_PGM_RSRC2:SCRATCH_EN: 0
; COMPUTE_PGM_RSRC2:USER_SGPR: 2
; COMPUTE_PGM_RSRC2:TRAP_HANDLER: 0
; COMPUTE_PGM_RSRC2:TGID_X_EN: 1
; COMPUTE_PGM_RSRC2:TGID_Y_EN: 0
; COMPUTE_PGM_RSRC2:TGID_Z_EN: 0
; COMPUTE_PGM_RSRC2:TIDIG_COMP_CNT: 0
; COMPUTE_PGM_RSRC3_GFX90A:ACCUM_OFFSET: 0
; COMPUTE_PGM_RSRC3_GFX90A:TG_SPLIT: 0
	.section	.text._ZN7rocprim17ROCPRIM_400000_NS6detail17trampoline_kernelINS0_14default_configENS1_25transform_config_selectorIxLb0EEEZNS1_14transform_implILb0ES3_S5_PxN6thrust23THRUST_200600_302600_NS6detail15normal_iteratorINS9_10device_ptrIxEEEENS0_8identityIxEEEE10hipError_tT2_T3_mT4_P12ihipStream_tbEUlT_E_NS1_11comp_targetILNS1_3genE10ELNS1_11target_archE1200ELNS1_3gpuE4ELNS1_3repE0EEENS1_30default_config_static_selectorELNS0_4arch9wavefront6targetE1EEEvT1_,"axG",@progbits,_ZN7rocprim17ROCPRIM_400000_NS6detail17trampoline_kernelINS0_14default_configENS1_25transform_config_selectorIxLb0EEEZNS1_14transform_implILb0ES3_S5_PxN6thrust23THRUST_200600_302600_NS6detail15normal_iteratorINS9_10device_ptrIxEEEENS0_8identityIxEEEE10hipError_tT2_T3_mT4_P12ihipStream_tbEUlT_E_NS1_11comp_targetILNS1_3genE10ELNS1_11target_archE1200ELNS1_3gpuE4ELNS1_3repE0EEENS1_30default_config_static_selectorELNS0_4arch9wavefront6targetE1EEEvT1_,comdat
	.protected	_ZN7rocprim17ROCPRIM_400000_NS6detail17trampoline_kernelINS0_14default_configENS1_25transform_config_selectorIxLb0EEEZNS1_14transform_implILb0ES3_S5_PxN6thrust23THRUST_200600_302600_NS6detail15normal_iteratorINS9_10device_ptrIxEEEENS0_8identityIxEEEE10hipError_tT2_T3_mT4_P12ihipStream_tbEUlT_E_NS1_11comp_targetILNS1_3genE10ELNS1_11target_archE1200ELNS1_3gpuE4ELNS1_3repE0EEENS1_30default_config_static_selectorELNS0_4arch9wavefront6targetE1EEEvT1_ ; -- Begin function _ZN7rocprim17ROCPRIM_400000_NS6detail17trampoline_kernelINS0_14default_configENS1_25transform_config_selectorIxLb0EEEZNS1_14transform_implILb0ES3_S5_PxN6thrust23THRUST_200600_302600_NS6detail15normal_iteratorINS9_10device_ptrIxEEEENS0_8identityIxEEEE10hipError_tT2_T3_mT4_P12ihipStream_tbEUlT_E_NS1_11comp_targetILNS1_3genE10ELNS1_11target_archE1200ELNS1_3gpuE4ELNS1_3repE0EEENS1_30default_config_static_selectorELNS0_4arch9wavefront6targetE1EEEvT1_
	.globl	_ZN7rocprim17ROCPRIM_400000_NS6detail17trampoline_kernelINS0_14default_configENS1_25transform_config_selectorIxLb0EEEZNS1_14transform_implILb0ES3_S5_PxN6thrust23THRUST_200600_302600_NS6detail15normal_iteratorINS9_10device_ptrIxEEEENS0_8identityIxEEEE10hipError_tT2_T3_mT4_P12ihipStream_tbEUlT_E_NS1_11comp_targetILNS1_3genE10ELNS1_11target_archE1200ELNS1_3gpuE4ELNS1_3repE0EEENS1_30default_config_static_selectorELNS0_4arch9wavefront6targetE1EEEvT1_
	.p2align	8
	.type	_ZN7rocprim17ROCPRIM_400000_NS6detail17trampoline_kernelINS0_14default_configENS1_25transform_config_selectorIxLb0EEEZNS1_14transform_implILb0ES3_S5_PxN6thrust23THRUST_200600_302600_NS6detail15normal_iteratorINS9_10device_ptrIxEEEENS0_8identityIxEEEE10hipError_tT2_T3_mT4_P12ihipStream_tbEUlT_E_NS1_11comp_targetILNS1_3genE10ELNS1_11target_archE1200ELNS1_3gpuE4ELNS1_3repE0EEENS1_30default_config_static_selectorELNS0_4arch9wavefront6targetE1EEEvT1_,@function
_ZN7rocprim17ROCPRIM_400000_NS6detail17trampoline_kernelINS0_14default_configENS1_25transform_config_selectorIxLb0EEEZNS1_14transform_implILb0ES3_S5_PxN6thrust23THRUST_200600_302600_NS6detail15normal_iteratorINS9_10device_ptrIxEEEENS0_8identityIxEEEE10hipError_tT2_T3_mT4_P12ihipStream_tbEUlT_E_NS1_11comp_targetILNS1_3genE10ELNS1_11target_archE1200ELNS1_3gpuE4ELNS1_3repE0EEENS1_30default_config_static_selectorELNS0_4arch9wavefront6targetE1EEEvT1_: ; @_ZN7rocprim17ROCPRIM_400000_NS6detail17trampoline_kernelINS0_14default_configENS1_25transform_config_selectorIxLb0EEEZNS1_14transform_implILb0ES3_S5_PxN6thrust23THRUST_200600_302600_NS6detail15normal_iteratorINS9_10device_ptrIxEEEENS0_8identityIxEEEE10hipError_tT2_T3_mT4_P12ihipStream_tbEUlT_E_NS1_11comp_targetILNS1_3genE10ELNS1_11target_archE1200ELNS1_3gpuE4ELNS1_3repE0EEENS1_30default_config_static_selectorELNS0_4arch9wavefront6targetE1EEEvT1_
; %bb.0:
	.section	.rodata,"a",@progbits
	.p2align	6, 0x0
	.amdhsa_kernel _ZN7rocprim17ROCPRIM_400000_NS6detail17trampoline_kernelINS0_14default_configENS1_25transform_config_selectorIxLb0EEEZNS1_14transform_implILb0ES3_S5_PxN6thrust23THRUST_200600_302600_NS6detail15normal_iteratorINS9_10device_ptrIxEEEENS0_8identityIxEEEE10hipError_tT2_T3_mT4_P12ihipStream_tbEUlT_E_NS1_11comp_targetILNS1_3genE10ELNS1_11target_archE1200ELNS1_3gpuE4ELNS1_3repE0EEENS1_30default_config_static_selectorELNS0_4arch9wavefront6targetE1EEEvT1_
		.amdhsa_group_segment_fixed_size 0
		.amdhsa_private_segment_fixed_size 0
		.amdhsa_kernarg_size 40
		.amdhsa_user_sgpr_count 2
		.amdhsa_user_sgpr_dispatch_ptr 0
		.amdhsa_user_sgpr_queue_ptr 0
		.amdhsa_user_sgpr_kernarg_segment_ptr 1
		.amdhsa_user_sgpr_dispatch_id 0
		.amdhsa_user_sgpr_kernarg_preload_length 0
		.amdhsa_user_sgpr_kernarg_preload_offset 0
		.amdhsa_user_sgpr_private_segment_size 0
		.amdhsa_uses_dynamic_stack 0
		.amdhsa_enable_private_segment 0
		.amdhsa_system_sgpr_workgroup_id_x 1
		.amdhsa_system_sgpr_workgroup_id_y 0
		.amdhsa_system_sgpr_workgroup_id_z 0
		.amdhsa_system_sgpr_workgroup_info 0
		.amdhsa_system_vgpr_workitem_id 0
		.amdhsa_next_free_vgpr 1
		.amdhsa_next_free_sgpr 0
		.amdhsa_accum_offset 4
		.amdhsa_reserve_vcc 0
		.amdhsa_float_round_mode_32 0
		.amdhsa_float_round_mode_16_64 0
		.amdhsa_float_denorm_mode_32 3
		.amdhsa_float_denorm_mode_16_64 3
		.amdhsa_dx10_clamp 1
		.amdhsa_ieee_mode 1
		.amdhsa_fp16_overflow 0
		.amdhsa_tg_split 0
		.amdhsa_exception_fp_ieee_invalid_op 0
		.amdhsa_exception_fp_denorm_src 0
		.amdhsa_exception_fp_ieee_div_zero 0
		.amdhsa_exception_fp_ieee_overflow 0
		.amdhsa_exception_fp_ieee_underflow 0
		.amdhsa_exception_fp_ieee_inexact 0
		.amdhsa_exception_int_div_zero 0
	.end_amdhsa_kernel
	.section	.text._ZN7rocprim17ROCPRIM_400000_NS6detail17trampoline_kernelINS0_14default_configENS1_25transform_config_selectorIxLb0EEEZNS1_14transform_implILb0ES3_S5_PxN6thrust23THRUST_200600_302600_NS6detail15normal_iteratorINS9_10device_ptrIxEEEENS0_8identityIxEEEE10hipError_tT2_T3_mT4_P12ihipStream_tbEUlT_E_NS1_11comp_targetILNS1_3genE10ELNS1_11target_archE1200ELNS1_3gpuE4ELNS1_3repE0EEENS1_30default_config_static_selectorELNS0_4arch9wavefront6targetE1EEEvT1_,"axG",@progbits,_ZN7rocprim17ROCPRIM_400000_NS6detail17trampoline_kernelINS0_14default_configENS1_25transform_config_selectorIxLb0EEEZNS1_14transform_implILb0ES3_S5_PxN6thrust23THRUST_200600_302600_NS6detail15normal_iteratorINS9_10device_ptrIxEEEENS0_8identityIxEEEE10hipError_tT2_T3_mT4_P12ihipStream_tbEUlT_E_NS1_11comp_targetILNS1_3genE10ELNS1_11target_archE1200ELNS1_3gpuE4ELNS1_3repE0EEENS1_30default_config_static_selectorELNS0_4arch9wavefront6targetE1EEEvT1_,comdat
.Lfunc_end1464:
	.size	_ZN7rocprim17ROCPRIM_400000_NS6detail17trampoline_kernelINS0_14default_configENS1_25transform_config_selectorIxLb0EEEZNS1_14transform_implILb0ES3_S5_PxN6thrust23THRUST_200600_302600_NS6detail15normal_iteratorINS9_10device_ptrIxEEEENS0_8identityIxEEEE10hipError_tT2_T3_mT4_P12ihipStream_tbEUlT_E_NS1_11comp_targetILNS1_3genE10ELNS1_11target_archE1200ELNS1_3gpuE4ELNS1_3repE0EEENS1_30default_config_static_selectorELNS0_4arch9wavefront6targetE1EEEvT1_, .Lfunc_end1464-_ZN7rocprim17ROCPRIM_400000_NS6detail17trampoline_kernelINS0_14default_configENS1_25transform_config_selectorIxLb0EEEZNS1_14transform_implILb0ES3_S5_PxN6thrust23THRUST_200600_302600_NS6detail15normal_iteratorINS9_10device_ptrIxEEEENS0_8identityIxEEEE10hipError_tT2_T3_mT4_P12ihipStream_tbEUlT_E_NS1_11comp_targetILNS1_3genE10ELNS1_11target_archE1200ELNS1_3gpuE4ELNS1_3repE0EEENS1_30default_config_static_selectorELNS0_4arch9wavefront6targetE1EEEvT1_
                                        ; -- End function
	.section	.AMDGPU.csdata,"",@progbits
; Kernel info:
; codeLenInByte = 0
; NumSgprs: 6
; NumVgprs: 0
; NumAgprs: 0
; TotalNumVgprs: 0
; ScratchSize: 0
; MemoryBound: 0
; FloatMode: 240
; IeeeMode: 1
; LDSByteSize: 0 bytes/workgroup (compile time only)
; SGPRBlocks: 0
; VGPRBlocks: 0
; NumSGPRsForWavesPerEU: 6
; NumVGPRsForWavesPerEU: 1
; AccumOffset: 4
; Occupancy: 8
; WaveLimiterHint : 0
; COMPUTE_PGM_RSRC2:SCRATCH_EN: 0
; COMPUTE_PGM_RSRC2:USER_SGPR: 2
; COMPUTE_PGM_RSRC2:TRAP_HANDLER: 0
; COMPUTE_PGM_RSRC2:TGID_X_EN: 1
; COMPUTE_PGM_RSRC2:TGID_Y_EN: 0
; COMPUTE_PGM_RSRC2:TGID_Z_EN: 0
; COMPUTE_PGM_RSRC2:TIDIG_COMP_CNT: 0
; COMPUTE_PGM_RSRC3_GFX90A:ACCUM_OFFSET: 0
; COMPUTE_PGM_RSRC3_GFX90A:TG_SPLIT: 0
	.section	.text._ZN7rocprim17ROCPRIM_400000_NS6detail17trampoline_kernelINS0_14default_configENS1_25transform_config_selectorIxLb0EEEZNS1_14transform_implILb0ES3_S5_PxN6thrust23THRUST_200600_302600_NS6detail15normal_iteratorINS9_10device_ptrIxEEEENS0_8identityIxEEEE10hipError_tT2_T3_mT4_P12ihipStream_tbEUlT_E_NS1_11comp_targetILNS1_3genE9ELNS1_11target_archE1100ELNS1_3gpuE3ELNS1_3repE0EEENS1_30default_config_static_selectorELNS0_4arch9wavefront6targetE1EEEvT1_,"axG",@progbits,_ZN7rocprim17ROCPRIM_400000_NS6detail17trampoline_kernelINS0_14default_configENS1_25transform_config_selectorIxLb0EEEZNS1_14transform_implILb0ES3_S5_PxN6thrust23THRUST_200600_302600_NS6detail15normal_iteratorINS9_10device_ptrIxEEEENS0_8identityIxEEEE10hipError_tT2_T3_mT4_P12ihipStream_tbEUlT_E_NS1_11comp_targetILNS1_3genE9ELNS1_11target_archE1100ELNS1_3gpuE3ELNS1_3repE0EEENS1_30default_config_static_selectorELNS0_4arch9wavefront6targetE1EEEvT1_,comdat
	.protected	_ZN7rocprim17ROCPRIM_400000_NS6detail17trampoline_kernelINS0_14default_configENS1_25transform_config_selectorIxLb0EEEZNS1_14transform_implILb0ES3_S5_PxN6thrust23THRUST_200600_302600_NS6detail15normal_iteratorINS9_10device_ptrIxEEEENS0_8identityIxEEEE10hipError_tT2_T3_mT4_P12ihipStream_tbEUlT_E_NS1_11comp_targetILNS1_3genE9ELNS1_11target_archE1100ELNS1_3gpuE3ELNS1_3repE0EEENS1_30default_config_static_selectorELNS0_4arch9wavefront6targetE1EEEvT1_ ; -- Begin function _ZN7rocprim17ROCPRIM_400000_NS6detail17trampoline_kernelINS0_14default_configENS1_25transform_config_selectorIxLb0EEEZNS1_14transform_implILb0ES3_S5_PxN6thrust23THRUST_200600_302600_NS6detail15normal_iteratorINS9_10device_ptrIxEEEENS0_8identityIxEEEE10hipError_tT2_T3_mT4_P12ihipStream_tbEUlT_E_NS1_11comp_targetILNS1_3genE9ELNS1_11target_archE1100ELNS1_3gpuE3ELNS1_3repE0EEENS1_30default_config_static_selectorELNS0_4arch9wavefront6targetE1EEEvT1_
	.globl	_ZN7rocprim17ROCPRIM_400000_NS6detail17trampoline_kernelINS0_14default_configENS1_25transform_config_selectorIxLb0EEEZNS1_14transform_implILb0ES3_S5_PxN6thrust23THRUST_200600_302600_NS6detail15normal_iteratorINS9_10device_ptrIxEEEENS0_8identityIxEEEE10hipError_tT2_T3_mT4_P12ihipStream_tbEUlT_E_NS1_11comp_targetILNS1_3genE9ELNS1_11target_archE1100ELNS1_3gpuE3ELNS1_3repE0EEENS1_30default_config_static_selectorELNS0_4arch9wavefront6targetE1EEEvT1_
	.p2align	8
	.type	_ZN7rocprim17ROCPRIM_400000_NS6detail17trampoline_kernelINS0_14default_configENS1_25transform_config_selectorIxLb0EEEZNS1_14transform_implILb0ES3_S5_PxN6thrust23THRUST_200600_302600_NS6detail15normal_iteratorINS9_10device_ptrIxEEEENS0_8identityIxEEEE10hipError_tT2_T3_mT4_P12ihipStream_tbEUlT_E_NS1_11comp_targetILNS1_3genE9ELNS1_11target_archE1100ELNS1_3gpuE3ELNS1_3repE0EEENS1_30default_config_static_selectorELNS0_4arch9wavefront6targetE1EEEvT1_,@function
_ZN7rocprim17ROCPRIM_400000_NS6detail17trampoline_kernelINS0_14default_configENS1_25transform_config_selectorIxLb0EEEZNS1_14transform_implILb0ES3_S5_PxN6thrust23THRUST_200600_302600_NS6detail15normal_iteratorINS9_10device_ptrIxEEEENS0_8identityIxEEEE10hipError_tT2_T3_mT4_P12ihipStream_tbEUlT_E_NS1_11comp_targetILNS1_3genE9ELNS1_11target_archE1100ELNS1_3gpuE3ELNS1_3repE0EEENS1_30default_config_static_selectorELNS0_4arch9wavefront6targetE1EEEvT1_: ; @_ZN7rocprim17ROCPRIM_400000_NS6detail17trampoline_kernelINS0_14default_configENS1_25transform_config_selectorIxLb0EEEZNS1_14transform_implILb0ES3_S5_PxN6thrust23THRUST_200600_302600_NS6detail15normal_iteratorINS9_10device_ptrIxEEEENS0_8identityIxEEEE10hipError_tT2_T3_mT4_P12ihipStream_tbEUlT_E_NS1_11comp_targetILNS1_3genE9ELNS1_11target_archE1100ELNS1_3gpuE3ELNS1_3repE0EEENS1_30default_config_static_selectorELNS0_4arch9wavefront6targetE1EEEvT1_
; %bb.0:
	.section	.rodata,"a",@progbits
	.p2align	6, 0x0
	.amdhsa_kernel _ZN7rocprim17ROCPRIM_400000_NS6detail17trampoline_kernelINS0_14default_configENS1_25transform_config_selectorIxLb0EEEZNS1_14transform_implILb0ES3_S5_PxN6thrust23THRUST_200600_302600_NS6detail15normal_iteratorINS9_10device_ptrIxEEEENS0_8identityIxEEEE10hipError_tT2_T3_mT4_P12ihipStream_tbEUlT_E_NS1_11comp_targetILNS1_3genE9ELNS1_11target_archE1100ELNS1_3gpuE3ELNS1_3repE0EEENS1_30default_config_static_selectorELNS0_4arch9wavefront6targetE1EEEvT1_
		.amdhsa_group_segment_fixed_size 0
		.amdhsa_private_segment_fixed_size 0
		.amdhsa_kernarg_size 40
		.amdhsa_user_sgpr_count 2
		.amdhsa_user_sgpr_dispatch_ptr 0
		.amdhsa_user_sgpr_queue_ptr 0
		.amdhsa_user_sgpr_kernarg_segment_ptr 1
		.amdhsa_user_sgpr_dispatch_id 0
		.amdhsa_user_sgpr_kernarg_preload_length 0
		.amdhsa_user_sgpr_kernarg_preload_offset 0
		.amdhsa_user_sgpr_private_segment_size 0
		.amdhsa_uses_dynamic_stack 0
		.amdhsa_enable_private_segment 0
		.amdhsa_system_sgpr_workgroup_id_x 1
		.amdhsa_system_sgpr_workgroup_id_y 0
		.amdhsa_system_sgpr_workgroup_id_z 0
		.amdhsa_system_sgpr_workgroup_info 0
		.amdhsa_system_vgpr_workitem_id 0
		.amdhsa_next_free_vgpr 1
		.amdhsa_next_free_sgpr 0
		.amdhsa_accum_offset 4
		.amdhsa_reserve_vcc 0
		.amdhsa_float_round_mode_32 0
		.amdhsa_float_round_mode_16_64 0
		.amdhsa_float_denorm_mode_32 3
		.amdhsa_float_denorm_mode_16_64 3
		.amdhsa_dx10_clamp 1
		.amdhsa_ieee_mode 1
		.amdhsa_fp16_overflow 0
		.amdhsa_tg_split 0
		.amdhsa_exception_fp_ieee_invalid_op 0
		.amdhsa_exception_fp_denorm_src 0
		.amdhsa_exception_fp_ieee_div_zero 0
		.amdhsa_exception_fp_ieee_overflow 0
		.amdhsa_exception_fp_ieee_underflow 0
		.amdhsa_exception_fp_ieee_inexact 0
		.amdhsa_exception_int_div_zero 0
	.end_amdhsa_kernel
	.section	.text._ZN7rocprim17ROCPRIM_400000_NS6detail17trampoline_kernelINS0_14default_configENS1_25transform_config_selectorIxLb0EEEZNS1_14transform_implILb0ES3_S5_PxN6thrust23THRUST_200600_302600_NS6detail15normal_iteratorINS9_10device_ptrIxEEEENS0_8identityIxEEEE10hipError_tT2_T3_mT4_P12ihipStream_tbEUlT_E_NS1_11comp_targetILNS1_3genE9ELNS1_11target_archE1100ELNS1_3gpuE3ELNS1_3repE0EEENS1_30default_config_static_selectorELNS0_4arch9wavefront6targetE1EEEvT1_,"axG",@progbits,_ZN7rocprim17ROCPRIM_400000_NS6detail17trampoline_kernelINS0_14default_configENS1_25transform_config_selectorIxLb0EEEZNS1_14transform_implILb0ES3_S5_PxN6thrust23THRUST_200600_302600_NS6detail15normal_iteratorINS9_10device_ptrIxEEEENS0_8identityIxEEEE10hipError_tT2_T3_mT4_P12ihipStream_tbEUlT_E_NS1_11comp_targetILNS1_3genE9ELNS1_11target_archE1100ELNS1_3gpuE3ELNS1_3repE0EEENS1_30default_config_static_selectorELNS0_4arch9wavefront6targetE1EEEvT1_,comdat
.Lfunc_end1465:
	.size	_ZN7rocprim17ROCPRIM_400000_NS6detail17trampoline_kernelINS0_14default_configENS1_25transform_config_selectorIxLb0EEEZNS1_14transform_implILb0ES3_S5_PxN6thrust23THRUST_200600_302600_NS6detail15normal_iteratorINS9_10device_ptrIxEEEENS0_8identityIxEEEE10hipError_tT2_T3_mT4_P12ihipStream_tbEUlT_E_NS1_11comp_targetILNS1_3genE9ELNS1_11target_archE1100ELNS1_3gpuE3ELNS1_3repE0EEENS1_30default_config_static_selectorELNS0_4arch9wavefront6targetE1EEEvT1_, .Lfunc_end1465-_ZN7rocprim17ROCPRIM_400000_NS6detail17trampoline_kernelINS0_14default_configENS1_25transform_config_selectorIxLb0EEEZNS1_14transform_implILb0ES3_S5_PxN6thrust23THRUST_200600_302600_NS6detail15normal_iteratorINS9_10device_ptrIxEEEENS0_8identityIxEEEE10hipError_tT2_T3_mT4_P12ihipStream_tbEUlT_E_NS1_11comp_targetILNS1_3genE9ELNS1_11target_archE1100ELNS1_3gpuE3ELNS1_3repE0EEENS1_30default_config_static_selectorELNS0_4arch9wavefront6targetE1EEEvT1_
                                        ; -- End function
	.section	.AMDGPU.csdata,"",@progbits
; Kernel info:
; codeLenInByte = 0
; NumSgprs: 6
; NumVgprs: 0
; NumAgprs: 0
; TotalNumVgprs: 0
; ScratchSize: 0
; MemoryBound: 0
; FloatMode: 240
; IeeeMode: 1
; LDSByteSize: 0 bytes/workgroup (compile time only)
; SGPRBlocks: 0
; VGPRBlocks: 0
; NumSGPRsForWavesPerEU: 6
; NumVGPRsForWavesPerEU: 1
; AccumOffset: 4
; Occupancy: 8
; WaveLimiterHint : 0
; COMPUTE_PGM_RSRC2:SCRATCH_EN: 0
; COMPUTE_PGM_RSRC2:USER_SGPR: 2
; COMPUTE_PGM_RSRC2:TRAP_HANDLER: 0
; COMPUTE_PGM_RSRC2:TGID_X_EN: 1
; COMPUTE_PGM_RSRC2:TGID_Y_EN: 0
; COMPUTE_PGM_RSRC2:TGID_Z_EN: 0
; COMPUTE_PGM_RSRC2:TIDIG_COMP_CNT: 0
; COMPUTE_PGM_RSRC3_GFX90A:ACCUM_OFFSET: 0
; COMPUTE_PGM_RSRC3_GFX90A:TG_SPLIT: 0
	.section	.text._ZN7rocprim17ROCPRIM_400000_NS6detail17trampoline_kernelINS0_14default_configENS1_25transform_config_selectorIxLb0EEEZNS1_14transform_implILb0ES3_S5_PxN6thrust23THRUST_200600_302600_NS6detail15normal_iteratorINS9_10device_ptrIxEEEENS0_8identityIxEEEE10hipError_tT2_T3_mT4_P12ihipStream_tbEUlT_E_NS1_11comp_targetILNS1_3genE8ELNS1_11target_archE1030ELNS1_3gpuE2ELNS1_3repE0EEENS1_30default_config_static_selectorELNS0_4arch9wavefront6targetE1EEEvT1_,"axG",@progbits,_ZN7rocprim17ROCPRIM_400000_NS6detail17trampoline_kernelINS0_14default_configENS1_25transform_config_selectorIxLb0EEEZNS1_14transform_implILb0ES3_S5_PxN6thrust23THRUST_200600_302600_NS6detail15normal_iteratorINS9_10device_ptrIxEEEENS0_8identityIxEEEE10hipError_tT2_T3_mT4_P12ihipStream_tbEUlT_E_NS1_11comp_targetILNS1_3genE8ELNS1_11target_archE1030ELNS1_3gpuE2ELNS1_3repE0EEENS1_30default_config_static_selectorELNS0_4arch9wavefront6targetE1EEEvT1_,comdat
	.protected	_ZN7rocprim17ROCPRIM_400000_NS6detail17trampoline_kernelINS0_14default_configENS1_25transform_config_selectorIxLb0EEEZNS1_14transform_implILb0ES3_S5_PxN6thrust23THRUST_200600_302600_NS6detail15normal_iteratorINS9_10device_ptrIxEEEENS0_8identityIxEEEE10hipError_tT2_T3_mT4_P12ihipStream_tbEUlT_E_NS1_11comp_targetILNS1_3genE8ELNS1_11target_archE1030ELNS1_3gpuE2ELNS1_3repE0EEENS1_30default_config_static_selectorELNS0_4arch9wavefront6targetE1EEEvT1_ ; -- Begin function _ZN7rocprim17ROCPRIM_400000_NS6detail17trampoline_kernelINS0_14default_configENS1_25transform_config_selectorIxLb0EEEZNS1_14transform_implILb0ES3_S5_PxN6thrust23THRUST_200600_302600_NS6detail15normal_iteratorINS9_10device_ptrIxEEEENS0_8identityIxEEEE10hipError_tT2_T3_mT4_P12ihipStream_tbEUlT_E_NS1_11comp_targetILNS1_3genE8ELNS1_11target_archE1030ELNS1_3gpuE2ELNS1_3repE0EEENS1_30default_config_static_selectorELNS0_4arch9wavefront6targetE1EEEvT1_
	.globl	_ZN7rocprim17ROCPRIM_400000_NS6detail17trampoline_kernelINS0_14default_configENS1_25transform_config_selectorIxLb0EEEZNS1_14transform_implILb0ES3_S5_PxN6thrust23THRUST_200600_302600_NS6detail15normal_iteratorINS9_10device_ptrIxEEEENS0_8identityIxEEEE10hipError_tT2_T3_mT4_P12ihipStream_tbEUlT_E_NS1_11comp_targetILNS1_3genE8ELNS1_11target_archE1030ELNS1_3gpuE2ELNS1_3repE0EEENS1_30default_config_static_selectorELNS0_4arch9wavefront6targetE1EEEvT1_
	.p2align	8
	.type	_ZN7rocprim17ROCPRIM_400000_NS6detail17trampoline_kernelINS0_14default_configENS1_25transform_config_selectorIxLb0EEEZNS1_14transform_implILb0ES3_S5_PxN6thrust23THRUST_200600_302600_NS6detail15normal_iteratorINS9_10device_ptrIxEEEENS0_8identityIxEEEE10hipError_tT2_T3_mT4_P12ihipStream_tbEUlT_E_NS1_11comp_targetILNS1_3genE8ELNS1_11target_archE1030ELNS1_3gpuE2ELNS1_3repE0EEENS1_30default_config_static_selectorELNS0_4arch9wavefront6targetE1EEEvT1_,@function
_ZN7rocprim17ROCPRIM_400000_NS6detail17trampoline_kernelINS0_14default_configENS1_25transform_config_selectorIxLb0EEEZNS1_14transform_implILb0ES3_S5_PxN6thrust23THRUST_200600_302600_NS6detail15normal_iteratorINS9_10device_ptrIxEEEENS0_8identityIxEEEE10hipError_tT2_T3_mT4_P12ihipStream_tbEUlT_E_NS1_11comp_targetILNS1_3genE8ELNS1_11target_archE1030ELNS1_3gpuE2ELNS1_3repE0EEENS1_30default_config_static_selectorELNS0_4arch9wavefront6targetE1EEEvT1_: ; @_ZN7rocprim17ROCPRIM_400000_NS6detail17trampoline_kernelINS0_14default_configENS1_25transform_config_selectorIxLb0EEEZNS1_14transform_implILb0ES3_S5_PxN6thrust23THRUST_200600_302600_NS6detail15normal_iteratorINS9_10device_ptrIxEEEENS0_8identityIxEEEE10hipError_tT2_T3_mT4_P12ihipStream_tbEUlT_E_NS1_11comp_targetILNS1_3genE8ELNS1_11target_archE1030ELNS1_3gpuE2ELNS1_3repE0EEENS1_30default_config_static_selectorELNS0_4arch9wavefront6targetE1EEEvT1_
; %bb.0:
	.section	.rodata,"a",@progbits
	.p2align	6, 0x0
	.amdhsa_kernel _ZN7rocprim17ROCPRIM_400000_NS6detail17trampoline_kernelINS0_14default_configENS1_25transform_config_selectorIxLb0EEEZNS1_14transform_implILb0ES3_S5_PxN6thrust23THRUST_200600_302600_NS6detail15normal_iteratorINS9_10device_ptrIxEEEENS0_8identityIxEEEE10hipError_tT2_T3_mT4_P12ihipStream_tbEUlT_E_NS1_11comp_targetILNS1_3genE8ELNS1_11target_archE1030ELNS1_3gpuE2ELNS1_3repE0EEENS1_30default_config_static_selectorELNS0_4arch9wavefront6targetE1EEEvT1_
		.amdhsa_group_segment_fixed_size 0
		.amdhsa_private_segment_fixed_size 0
		.amdhsa_kernarg_size 40
		.amdhsa_user_sgpr_count 2
		.amdhsa_user_sgpr_dispatch_ptr 0
		.amdhsa_user_sgpr_queue_ptr 0
		.amdhsa_user_sgpr_kernarg_segment_ptr 1
		.amdhsa_user_sgpr_dispatch_id 0
		.amdhsa_user_sgpr_kernarg_preload_length 0
		.amdhsa_user_sgpr_kernarg_preload_offset 0
		.amdhsa_user_sgpr_private_segment_size 0
		.amdhsa_uses_dynamic_stack 0
		.amdhsa_enable_private_segment 0
		.amdhsa_system_sgpr_workgroup_id_x 1
		.amdhsa_system_sgpr_workgroup_id_y 0
		.amdhsa_system_sgpr_workgroup_id_z 0
		.amdhsa_system_sgpr_workgroup_info 0
		.amdhsa_system_vgpr_workitem_id 0
		.amdhsa_next_free_vgpr 1
		.amdhsa_next_free_sgpr 0
		.amdhsa_accum_offset 4
		.amdhsa_reserve_vcc 0
		.amdhsa_float_round_mode_32 0
		.amdhsa_float_round_mode_16_64 0
		.amdhsa_float_denorm_mode_32 3
		.amdhsa_float_denorm_mode_16_64 3
		.amdhsa_dx10_clamp 1
		.amdhsa_ieee_mode 1
		.amdhsa_fp16_overflow 0
		.amdhsa_tg_split 0
		.amdhsa_exception_fp_ieee_invalid_op 0
		.amdhsa_exception_fp_denorm_src 0
		.amdhsa_exception_fp_ieee_div_zero 0
		.amdhsa_exception_fp_ieee_overflow 0
		.amdhsa_exception_fp_ieee_underflow 0
		.amdhsa_exception_fp_ieee_inexact 0
		.amdhsa_exception_int_div_zero 0
	.end_amdhsa_kernel
	.section	.text._ZN7rocprim17ROCPRIM_400000_NS6detail17trampoline_kernelINS0_14default_configENS1_25transform_config_selectorIxLb0EEEZNS1_14transform_implILb0ES3_S5_PxN6thrust23THRUST_200600_302600_NS6detail15normal_iteratorINS9_10device_ptrIxEEEENS0_8identityIxEEEE10hipError_tT2_T3_mT4_P12ihipStream_tbEUlT_E_NS1_11comp_targetILNS1_3genE8ELNS1_11target_archE1030ELNS1_3gpuE2ELNS1_3repE0EEENS1_30default_config_static_selectorELNS0_4arch9wavefront6targetE1EEEvT1_,"axG",@progbits,_ZN7rocprim17ROCPRIM_400000_NS6detail17trampoline_kernelINS0_14default_configENS1_25transform_config_selectorIxLb0EEEZNS1_14transform_implILb0ES3_S5_PxN6thrust23THRUST_200600_302600_NS6detail15normal_iteratorINS9_10device_ptrIxEEEENS0_8identityIxEEEE10hipError_tT2_T3_mT4_P12ihipStream_tbEUlT_E_NS1_11comp_targetILNS1_3genE8ELNS1_11target_archE1030ELNS1_3gpuE2ELNS1_3repE0EEENS1_30default_config_static_selectorELNS0_4arch9wavefront6targetE1EEEvT1_,comdat
.Lfunc_end1466:
	.size	_ZN7rocprim17ROCPRIM_400000_NS6detail17trampoline_kernelINS0_14default_configENS1_25transform_config_selectorIxLb0EEEZNS1_14transform_implILb0ES3_S5_PxN6thrust23THRUST_200600_302600_NS6detail15normal_iteratorINS9_10device_ptrIxEEEENS0_8identityIxEEEE10hipError_tT2_T3_mT4_P12ihipStream_tbEUlT_E_NS1_11comp_targetILNS1_3genE8ELNS1_11target_archE1030ELNS1_3gpuE2ELNS1_3repE0EEENS1_30default_config_static_selectorELNS0_4arch9wavefront6targetE1EEEvT1_, .Lfunc_end1466-_ZN7rocprim17ROCPRIM_400000_NS6detail17trampoline_kernelINS0_14default_configENS1_25transform_config_selectorIxLb0EEEZNS1_14transform_implILb0ES3_S5_PxN6thrust23THRUST_200600_302600_NS6detail15normal_iteratorINS9_10device_ptrIxEEEENS0_8identityIxEEEE10hipError_tT2_T3_mT4_P12ihipStream_tbEUlT_E_NS1_11comp_targetILNS1_3genE8ELNS1_11target_archE1030ELNS1_3gpuE2ELNS1_3repE0EEENS1_30default_config_static_selectorELNS0_4arch9wavefront6targetE1EEEvT1_
                                        ; -- End function
	.section	.AMDGPU.csdata,"",@progbits
; Kernel info:
; codeLenInByte = 0
; NumSgprs: 6
; NumVgprs: 0
; NumAgprs: 0
; TotalNumVgprs: 0
; ScratchSize: 0
; MemoryBound: 0
; FloatMode: 240
; IeeeMode: 1
; LDSByteSize: 0 bytes/workgroup (compile time only)
; SGPRBlocks: 0
; VGPRBlocks: 0
; NumSGPRsForWavesPerEU: 6
; NumVGPRsForWavesPerEU: 1
; AccumOffset: 4
; Occupancy: 8
; WaveLimiterHint : 0
; COMPUTE_PGM_RSRC2:SCRATCH_EN: 0
; COMPUTE_PGM_RSRC2:USER_SGPR: 2
; COMPUTE_PGM_RSRC2:TRAP_HANDLER: 0
; COMPUTE_PGM_RSRC2:TGID_X_EN: 1
; COMPUTE_PGM_RSRC2:TGID_Y_EN: 0
; COMPUTE_PGM_RSRC2:TGID_Z_EN: 0
; COMPUTE_PGM_RSRC2:TIDIG_COMP_CNT: 0
; COMPUTE_PGM_RSRC3_GFX90A:ACCUM_OFFSET: 0
; COMPUTE_PGM_RSRC3_GFX90A:TG_SPLIT: 0
	.section	.text._ZN7rocprim17ROCPRIM_400000_NS6detail17trampoline_kernelINS0_14default_configENS1_38merge_sort_block_merge_config_selectorIxNS0_10empty_typeEEEZZNS1_27merge_sort_block_merge_implIS3_N6thrust23THRUST_200600_302600_NS6detail15normal_iteratorINS9_10device_ptrIxEEEEPS5_jNS1_19radix_merge_compareILb0ELb1ExNS0_19identity_decomposerEEEEE10hipError_tT0_T1_T2_jT3_P12ihipStream_tbPNSt15iterator_traitsISK_E10value_typeEPNSQ_ISL_E10value_typeEPSM_NS1_7vsmem_tEENKUlT_SK_SL_SM_E_clIPxSE_SF_SF_EESJ_SZ_SK_SL_SM_EUlSZ_E_NS1_11comp_targetILNS1_3genE0ELNS1_11target_archE4294967295ELNS1_3gpuE0ELNS1_3repE0EEENS1_48merge_mergepath_partition_config_static_selectorELNS0_4arch9wavefront6targetE1EEEvSL_,"axG",@progbits,_ZN7rocprim17ROCPRIM_400000_NS6detail17trampoline_kernelINS0_14default_configENS1_38merge_sort_block_merge_config_selectorIxNS0_10empty_typeEEEZZNS1_27merge_sort_block_merge_implIS3_N6thrust23THRUST_200600_302600_NS6detail15normal_iteratorINS9_10device_ptrIxEEEEPS5_jNS1_19radix_merge_compareILb0ELb1ExNS0_19identity_decomposerEEEEE10hipError_tT0_T1_T2_jT3_P12ihipStream_tbPNSt15iterator_traitsISK_E10value_typeEPNSQ_ISL_E10value_typeEPSM_NS1_7vsmem_tEENKUlT_SK_SL_SM_E_clIPxSE_SF_SF_EESJ_SZ_SK_SL_SM_EUlSZ_E_NS1_11comp_targetILNS1_3genE0ELNS1_11target_archE4294967295ELNS1_3gpuE0ELNS1_3repE0EEENS1_48merge_mergepath_partition_config_static_selectorELNS0_4arch9wavefront6targetE1EEEvSL_,comdat
	.protected	_ZN7rocprim17ROCPRIM_400000_NS6detail17trampoline_kernelINS0_14default_configENS1_38merge_sort_block_merge_config_selectorIxNS0_10empty_typeEEEZZNS1_27merge_sort_block_merge_implIS3_N6thrust23THRUST_200600_302600_NS6detail15normal_iteratorINS9_10device_ptrIxEEEEPS5_jNS1_19radix_merge_compareILb0ELb1ExNS0_19identity_decomposerEEEEE10hipError_tT0_T1_T2_jT3_P12ihipStream_tbPNSt15iterator_traitsISK_E10value_typeEPNSQ_ISL_E10value_typeEPSM_NS1_7vsmem_tEENKUlT_SK_SL_SM_E_clIPxSE_SF_SF_EESJ_SZ_SK_SL_SM_EUlSZ_E_NS1_11comp_targetILNS1_3genE0ELNS1_11target_archE4294967295ELNS1_3gpuE0ELNS1_3repE0EEENS1_48merge_mergepath_partition_config_static_selectorELNS0_4arch9wavefront6targetE1EEEvSL_ ; -- Begin function _ZN7rocprim17ROCPRIM_400000_NS6detail17trampoline_kernelINS0_14default_configENS1_38merge_sort_block_merge_config_selectorIxNS0_10empty_typeEEEZZNS1_27merge_sort_block_merge_implIS3_N6thrust23THRUST_200600_302600_NS6detail15normal_iteratorINS9_10device_ptrIxEEEEPS5_jNS1_19radix_merge_compareILb0ELb1ExNS0_19identity_decomposerEEEEE10hipError_tT0_T1_T2_jT3_P12ihipStream_tbPNSt15iterator_traitsISK_E10value_typeEPNSQ_ISL_E10value_typeEPSM_NS1_7vsmem_tEENKUlT_SK_SL_SM_E_clIPxSE_SF_SF_EESJ_SZ_SK_SL_SM_EUlSZ_E_NS1_11comp_targetILNS1_3genE0ELNS1_11target_archE4294967295ELNS1_3gpuE0ELNS1_3repE0EEENS1_48merge_mergepath_partition_config_static_selectorELNS0_4arch9wavefront6targetE1EEEvSL_
	.globl	_ZN7rocprim17ROCPRIM_400000_NS6detail17trampoline_kernelINS0_14default_configENS1_38merge_sort_block_merge_config_selectorIxNS0_10empty_typeEEEZZNS1_27merge_sort_block_merge_implIS3_N6thrust23THRUST_200600_302600_NS6detail15normal_iteratorINS9_10device_ptrIxEEEEPS5_jNS1_19radix_merge_compareILb0ELb1ExNS0_19identity_decomposerEEEEE10hipError_tT0_T1_T2_jT3_P12ihipStream_tbPNSt15iterator_traitsISK_E10value_typeEPNSQ_ISL_E10value_typeEPSM_NS1_7vsmem_tEENKUlT_SK_SL_SM_E_clIPxSE_SF_SF_EESJ_SZ_SK_SL_SM_EUlSZ_E_NS1_11comp_targetILNS1_3genE0ELNS1_11target_archE4294967295ELNS1_3gpuE0ELNS1_3repE0EEENS1_48merge_mergepath_partition_config_static_selectorELNS0_4arch9wavefront6targetE1EEEvSL_
	.p2align	8
	.type	_ZN7rocprim17ROCPRIM_400000_NS6detail17trampoline_kernelINS0_14default_configENS1_38merge_sort_block_merge_config_selectorIxNS0_10empty_typeEEEZZNS1_27merge_sort_block_merge_implIS3_N6thrust23THRUST_200600_302600_NS6detail15normal_iteratorINS9_10device_ptrIxEEEEPS5_jNS1_19radix_merge_compareILb0ELb1ExNS0_19identity_decomposerEEEEE10hipError_tT0_T1_T2_jT3_P12ihipStream_tbPNSt15iterator_traitsISK_E10value_typeEPNSQ_ISL_E10value_typeEPSM_NS1_7vsmem_tEENKUlT_SK_SL_SM_E_clIPxSE_SF_SF_EESJ_SZ_SK_SL_SM_EUlSZ_E_NS1_11comp_targetILNS1_3genE0ELNS1_11target_archE4294967295ELNS1_3gpuE0ELNS1_3repE0EEENS1_48merge_mergepath_partition_config_static_selectorELNS0_4arch9wavefront6targetE1EEEvSL_,@function
_ZN7rocprim17ROCPRIM_400000_NS6detail17trampoline_kernelINS0_14default_configENS1_38merge_sort_block_merge_config_selectorIxNS0_10empty_typeEEEZZNS1_27merge_sort_block_merge_implIS3_N6thrust23THRUST_200600_302600_NS6detail15normal_iteratorINS9_10device_ptrIxEEEEPS5_jNS1_19radix_merge_compareILb0ELb1ExNS0_19identity_decomposerEEEEE10hipError_tT0_T1_T2_jT3_P12ihipStream_tbPNSt15iterator_traitsISK_E10value_typeEPNSQ_ISL_E10value_typeEPSM_NS1_7vsmem_tEENKUlT_SK_SL_SM_E_clIPxSE_SF_SF_EESJ_SZ_SK_SL_SM_EUlSZ_E_NS1_11comp_targetILNS1_3genE0ELNS1_11target_archE4294967295ELNS1_3gpuE0ELNS1_3repE0EEENS1_48merge_mergepath_partition_config_static_selectorELNS0_4arch9wavefront6targetE1EEEvSL_: ; @_ZN7rocprim17ROCPRIM_400000_NS6detail17trampoline_kernelINS0_14default_configENS1_38merge_sort_block_merge_config_selectorIxNS0_10empty_typeEEEZZNS1_27merge_sort_block_merge_implIS3_N6thrust23THRUST_200600_302600_NS6detail15normal_iteratorINS9_10device_ptrIxEEEEPS5_jNS1_19radix_merge_compareILb0ELb1ExNS0_19identity_decomposerEEEEE10hipError_tT0_T1_T2_jT3_P12ihipStream_tbPNSt15iterator_traitsISK_E10value_typeEPNSQ_ISL_E10value_typeEPSM_NS1_7vsmem_tEENKUlT_SK_SL_SM_E_clIPxSE_SF_SF_EESJ_SZ_SK_SL_SM_EUlSZ_E_NS1_11comp_targetILNS1_3genE0ELNS1_11target_archE4294967295ELNS1_3gpuE0ELNS1_3repE0EEENS1_48merge_mergepath_partition_config_static_selectorELNS0_4arch9wavefront6targetE1EEEvSL_
; %bb.0:
	.section	.rodata,"a",@progbits
	.p2align	6, 0x0
	.amdhsa_kernel _ZN7rocprim17ROCPRIM_400000_NS6detail17trampoline_kernelINS0_14default_configENS1_38merge_sort_block_merge_config_selectorIxNS0_10empty_typeEEEZZNS1_27merge_sort_block_merge_implIS3_N6thrust23THRUST_200600_302600_NS6detail15normal_iteratorINS9_10device_ptrIxEEEEPS5_jNS1_19radix_merge_compareILb0ELb1ExNS0_19identity_decomposerEEEEE10hipError_tT0_T1_T2_jT3_P12ihipStream_tbPNSt15iterator_traitsISK_E10value_typeEPNSQ_ISL_E10value_typeEPSM_NS1_7vsmem_tEENKUlT_SK_SL_SM_E_clIPxSE_SF_SF_EESJ_SZ_SK_SL_SM_EUlSZ_E_NS1_11comp_targetILNS1_3genE0ELNS1_11target_archE4294967295ELNS1_3gpuE0ELNS1_3repE0EEENS1_48merge_mergepath_partition_config_static_selectorELNS0_4arch9wavefront6targetE1EEEvSL_
		.amdhsa_group_segment_fixed_size 0
		.amdhsa_private_segment_fixed_size 0
		.amdhsa_kernarg_size 40
		.amdhsa_user_sgpr_count 2
		.amdhsa_user_sgpr_dispatch_ptr 0
		.amdhsa_user_sgpr_queue_ptr 0
		.amdhsa_user_sgpr_kernarg_segment_ptr 1
		.amdhsa_user_sgpr_dispatch_id 0
		.amdhsa_user_sgpr_kernarg_preload_length 0
		.amdhsa_user_sgpr_kernarg_preload_offset 0
		.amdhsa_user_sgpr_private_segment_size 0
		.amdhsa_uses_dynamic_stack 0
		.amdhsa_enable_private_segment 0
		.amdhsa_system_sgpr_workgroup_id_x 1
		.amdhsa_system_sgpr_workgroup_id_y 0
		.amdhsa_system_sgpr_workgroup_id_z 0
		.amdhsa_system_sgpr_workgroup_info 0
		.amdhsa_system_vgpr_workitem_id 0
		.amdhsa_next_free_vgpr 1
		.amdhsa_next_free_sgpr 0
		.amdhsa_accum_offset 4
		.amdhsa_reserve_vcc 0
		.amdhsa_float_round_mode_32 0
		.amdhsa_float_round_mode_16_64 0
		.amdhsa_float_denorm_mode_32 3
		.amdhsa_float_denorm_mode_16_64 3
		.amdhsa_dx10_clamp 1
		.amdhsa_ieee_mode 1
		.amdhsa_fp16_overflow 0
		.amdhsa_tg_split 0
		.amdhsa_exception_fp_ieee_invalid_op 0
		.amdhsa_exception_fp_denorm_src 0
		.amdhsa_exception_fp_ieee_div_zero 0
		.amdhsa_exception_fp_ieee_overflow 0
		.amdhsa_exception_fp_ieee_underflow 0
		.amdhsa_exception_fp_ieee_inexact 0
		.amdhsa_exception_int_div_zero 0
	.end_amdhsa_kernel
	.section	.text._ZN7rocprim17ROCPRIM_400000_NS6detail17trampoline_kernelINS0_14default_configENS1_38merge_sort_block_merge_config_selectorIxNS0_10empty_typeEEEZZNS1_27merge_sort_block_merge_implIS3_N6thrust23THRUST_200600_302600_NS6detail15normal_iteratorINS9_10device_ptrIxEEEEPS5_jNS1_19radix_merge_compareILb0ELb1ExNS0_19identity_decomposerEEEEE10hipError_tT0_T1_T2_jT3_P12ihipStream_tbPNSt15iterator_traitsISK_E10value_typeEPNSQ_ISL_E10value_typeEPSM_NS1_7vsmem_tEENKUlT_SK_SL_SM_E_clIPxSE_SF_SF_EESJ_SZ_SK_SL_SM_EUlSZ_E_NS1_11comp_targetILNS1_3genE0ELNS1_11target_archE4294967295ELNS1_3gpuE0ELNS1_3repE0EEENS1_48merge_mergepath_partition_config_static_selectorELNS0_4arch9wavefront6targetE1EEEvSL_,"axG",@progbits,_ZN7rocprim17ROCPRIM_400000_NS6detail17trampoline_kernelINS0_14default_configENS1_38merge_sort_block_merge_config_selectorIxNS0_10empty_typeEEEZZNS1_27merge_sort_block_merge_implIS3_N6thrust23THRUST_200600_302600_NS6detail15normal_iteratorINS9_10device_ptrIxEEEEPS5_jNS1_19radix_merge_compareILb0ELb1ExNS0_19identity_decomposerEEEEE10hipError_tT0_T1_T2_jT3_P12ihipStream_tbPNSt15iterator_traitsISK_E10value_typeEPNSQ_ISL_E10value_typeEPSM_NS1_7vsmem_tEENKUlT_SK_SL_SM_E_clIPxSE_SF_SF_EESJ_SZ_SK_SL_SM_EUlSZ_E_NS1_11comp_targetILNS1_3genE0ELNS1_11target_archE4294967295ELNS1_3gpuE0ELNS1_3repE0EEENS1_48merge_mergepath_partition_config_static_selectorELNS0_4arch9wavefront6targetE1EEEvSL_,comdat
.Lfunc_end1467:
	.size	_ZN7rocprim17ROCPRIM_400000_NS6detail17trampoline_kernelINS0_14default_configENS1_38merge_sort_block_merge_config_selectorIxNS0_10empty_typeEEEZZNS1_27merge_sort_block_merge_implIS3_N6thrust23THRUST_200600_302600_NS6detail15normal_iteratorINS9_10device_ptrIxEEEEPS5_jNS1_19radix_merge_compareILb0ELb1ExNS0_19identity_decomposerEEEEE10hipError_tT0_T1_T2_jT3_P12ihipStream_tbPNSt15iterator_traitsISK_E10value_typeEPNSQ_ISL_E10value_typeEPSM_NS1_7vsmem_tEENKUlT_SK_SL_SM_E_clIPxSE_SF_SF_EESJ_SZ_SK_SL_SM_EUlSZ_E_NS1_11comp_targetILNS1_3genE0ELNS1_11target_archE4294967295ELNS1_3gpuE0ELNS1_3repE0EEENS1_48merge_mergepath_partition_config_static_selectorELNS0_4arch9wavefront6targetE1EEEvSL_, .Lfunc_end1467-_ZN7rocprim17ROCPRIM_400000_NS6detail17trampoline_kernelINS0_14default_configENS1_38merge_sort_block_merge_config_selectorIxNS0_10empty_typeEEEZZNS1_27merge_sort_block_merge_implIS3_N6thrust23THRUST_200600_302600_NS6detail15normal_iteratorINS9_10device_ptrIxEEEEPS5_jNS1_19radix_merge_compareILb0ELb1ExNS0_19identity_decomposerEEEEE10hipError_tT0_T1_T2_jT3_P12ihipStream_tbPNSt15iterator_traitsISK_E10value_typeEPNSQ_ISL_E10value_typeEPSM_NS1_7vsmem_tEENKUlT_SK_SL_SM_E_clIPxSE_SF_SF_EESJ_SZ_SK_SL_SM_EUlSZ_E_NS1_11comp_targetILNS1_3genE0ELNS1_11target_archE4294967295ELNS1_3gpuE0ELNS1_3repE0EEENS1_48merge_mergepath_partition_config_static_selectorELNS0_4arch9wavefront6targetE1EEEvSL_
                                        ; -- End function
	.section	.AMDGPU.csdata,"",@progbits
; Kernel info:
; codeLenInByte = 0
; NumSgprs: 6
; NumVgprs: 0
; NumAgprs: 0
; TotalNumVgprs: 0
; ScratchSize: 0
; MemoryBound: 0
; FloatMode: 240
; IeeeMode: 1
; LDSByteSize: 0 bytes/workgroup (compile time only)
; SGPRBlocks: 0
; VGPRBlocks: 0
; NumSGPRsForWavesPerEU: 6
; NumVGPRsForWavesPerEU: 1
; AccumOffset: 4
; Occupancy: 8
; WaveLimiterHint : 0
; COMPUTE_PGM_RSRC2:SCRATCH_EN: 0
; COMPUTE_PGM_RSRC2:USER_SGPR: 2
; COMPUTE_PGM_RSRC2:TRAP_HANDLER: 0
; COMPUTE_PGM_RSRC2:TGID_X_EN: 1
; COMPUTE_PGM_RSRC2:TGID_Y_EN: 0
; COMPUTE_PGM_RSRC2:TGID_Z_EN: 0
; COMPUTE_PGM_RSRC2:TIDIG_COMP_CNT: 0
; COMPUTE_PGM_RSRC3_GFX90A:ACCUM_OFFSET: 0
; COMPUTE_PGM_RSRC3_GFX90A:TG_SPLIT: 0
	.section	.text._ZN7rocprim17ROCPRIM_400000_NS6detail17trampoline_kernelINS0_14default_configENS1_38merge_sort_block_merge_config_selectorIxNS0_10empty_typeEEEZZNS1_27merge_sort_block_merge_implIS3_N6thrust23THRUST_200600_302600_NS6detail15normal_iteratorINS9_10device_ptrIxEEEEPS5_jNS1_19radix_merge_compareILb0ELb1ExNS0_19identity_decomposerEEEEE10hipError_tT0_T1_T2_jT3_P12ihipStream_tbPNSt15iterator_traitsISK_E10value_typeEPNSQ_ISL_E10value_typeEPSM_NS1_7vsmem_tEENKUlT_SK_SL_SM_E_clIPxSE_SF_SF_EESJ_SZ_SK_SL_SM_EUlSZ_E_NS1_11comp_targetILNS1_3genE10ELNS1_11target_archE1201ELNS1_3gpuE5ELNS1_3repE0EEENS1_48merge_mergepath_partition_config_static_selectorELNS0_4arch9wavefront6targetE1EEEvSL_,"axG",@progbits,_ZN7rocprim17ROCPRIM_400000_NS6detail17trampoline_kernelINS0_14default_configENS1_38merge_sort_block_merge_config_selectorIxNS0_10empty_typeEEEZZNS1_27merge_sort_block_merge_implIS3_N6thrust23THRUST_200600_302600_NS6detail15normal_iteratorINS9_10device_ptrIxEEEEPS5_jNS1_19radix_merge_compareILb0ELb1ExNS0_19identity_decomposerEEEEE10hipError_tT0_T1_T2_jT3_P12ihipStream_tbPNSt15iterator_traitsISK_E10value_typeEPNSQ_ISL_E10value_typeEPSM_NS1_7vsmem_tEENKUlT_SK_SL_SM_E_clIPxSE_SF_SF_EESJ_SZ_SK_SL_SM_EUlSZ_E_NS1_11comp_targetILNS1_3genE10ELNS1_11target_archE1201ELNS1_3gpuE5ELNS1_3repE0EEENS1_48merge_mergepath_partition_config_static_selectorELNS0_4arch9wavefront6targetE1EEEvSL_,comdat
	.protected	_ZN7rocprim17ROCPRIM_400000_NS6detail17trampoline_kernelINS0_14default_configENS1_38merge_sort_block_merge_config_selectorIxNS0_10empty_typeEEEZZNS1_27merge_sort_block_merge_implIS3_N6thrust23THRUST_200600_302600_NS6detail15normal_iteratorINS9_10device_ptrIxEEEEPS5_jNS1_19radix_merge_compareILb0ELb1ExNS0_19identity_decomposerEEEEE10hipError_tT0_T1_T2_jT3_P12ihipStream_tbPNSt15iterator_traitsISK_E10value_typeEPNSQ_ISL_E10value_typeEPSM_NS1_7vsmem_tEENKUlT_SK_SL_SM_E_clIPxSE_SF_SF_EESJ_SZ_SK_SL_SM_EUlSZ_E_NS1_11comp_targetILNS1_3genE10ELNS1_11target_archE1201ELNS1_3gpuE5ELNS1_3repE0EEENS1_48merge_mergepath_partition_config_static_selectorELNS0_4arch9wavefront6targetE1EEEvSL_ ; -- Begin function _ZN7rocprim17ROCPRIM_400000_NS6detail17trampoline_kernelINS0_14default_configENS1_38merge_sort_block_merge_config_selectorIxNS0_10empty_typeEEEZZNS1_27merge_sort_block_merge_implIS3_N6thrust23THRUST_200600_302600_NS6detail15normal_iteratorINS9_10device_ptrIxEEEEPS5_jNS1_19radix_merge_compareILb0ELb1ExNS0_19identity_decomposerEEEEE10hipError_tT0_T1_T2_jT3_P12ihipStream_tbPNSt15iterator_traitsISK_E10value_typeEPNSQ_ISL_E10value_typeEPSM_NS1_7vsmem_tEENKUlT_SK_SL_SM_E_clIPxSE_SF_SF_EESJ_SZ_SK_SL_SM_EUlSZ_E_NS1_11comp_targetILNS1_3genE10ELNS1_11target_archE1201ELNS1_3gpuE5ELNS1_3repE0EEENS1_48merge_mergepath_partition_config_static_selectorELNS0_4arch9wavefront6targetE1EEEvSL_
	.globl	_ZN7rocprim17ROCPRIM_400000_NS6detail17trampoline_kernelINS0_14default_configENS1_38merge_sort_block_merge_config_selectorIxNS0_10empty_typeEEEZZNS1_27merge_sort_block_merge_implIS3_N6thrust23THRUST_200600_302600_NS6detail15normal_iteratorINS9_10device_ptrIxEEEEPS5_jNS1_19radix_merge_compareILb0ELb1ExNS0_19identity_decomposerEEEEE10hipError_tT0_T1_T2_jT3_P12ihipStream_tbPNSt15iterator_traitsISK_E10value_typeEPNSQ_ISL_E10value_typeEPSM_NS1_7vsmem_tEENKUlT_SK_SL_SM_E_clIPxSE_SF_SF_EESJ_SZ_SK_SL_SM_EUlSZ_E_NS1_11comp_targetILNS1_3genE10ELNS1_11target_archE1201ELNS1_3gpuE5ELNS1_3repE0EEENS1_48merge_mergepath_partition_config_static_selectorELNS0_4arch9wavefront6targetE1EEEvSL_
	.p2align	8
	.type	_ZN7rocprim17ROCPRIM_400000_NS6detail17trampoline_kernelINS0_14default_configENS1_38merge_sort_block_merge_config_selectorIxNS0_10empty_typeEEEZZNS1_27merge_sort_block_merge_implIS3_N6thrust23THRUST_200600_302600_NS6detail15normal_iteratorINS9_10device_ptrIxEEEEPS5_jNS1_19radix_merge_compareILb0ELb1ExNS0_19identity_decomposerEEEEE10hipError_tT0_T1_T2_jT3_P12ihipStream_tbPNSt15iterator_traitsISK_E10value_typeEPNSQ_ISL_E10value_typeEPSM_NS1_7vsmem_tEENKUlT_SK_SL_SM_E_clIPxSE_SF_SF_EESJ_SZ_SK_SL_SM_EUlSZ_E_NS1_11comp_targetILNS1_3genE10ELNS1_11target_archE1201ELNS1_3gpuE5ELNS1_3repE0EEENS1_48merge_mergepath_partition_config_static_selectorELNS0_4arch9wavefront6targetE1EEEvSL_,@function
_ZN7rocprim17ROCPRIM_400000_NS6detail17trampoline_kernelINS0_14default_configENS1_38merge_sort_block_merge_config_selectorIxNS0_10empty_typeEEEZZNS1_27merge_sort_block_merge_implIS3_N6thrust23THRUST_200600_302600_NS6detail15normal_iteratorINS9_10device_ptrIxEEEEPS5_jNS1_19radix_merge_compareILb0ELb1ExNS0_19identity_decomposerEEEEE10hipError_tT0_T1_T2_jT3_P12ihipStream_tbPNSt15iterator_traitsISK_E10value_typeEPNSQ_ISL_E10value_typeEPSM_NS1_7vsmem_tEENKUlT_SK_SL_SM_E_clIPxSE_SF_SF_EESJ_SZ_SK_SL_SM_EUlSZ_E_NS1_11comp_targetILNS1_3genE10ELNS1_11target_archE1201ELNS1_3gpuE5ELNS1_3repE0EEENS1_48merge_mergepath_partition_config_static_selectorELNS0_4arch9wavefront6targetE1EEEvSL_: ; @_ZN7rocprim17ROCPRIM_400000_NS6detail17trampoline_kernelINS0_14default_configENS1_38merge_sort_block_merge_config_selectorIxNS0_10empty_typeEEEZZNS1_27merge_sort_block_merge_implIS3_N6thrust23THRUST_200600_302600_NS6detail15normal_iteratorINS9_10device_ptrIxEEEEPS5_jNS1_19radix_merge_compareILb0ELb1ExNS0_19identity_decomposerEEEEE10hipError_tT0_T1_T2_jT3_P12ihipStream_tbPNSt15iterator_traitsISK_E10value_typeEPNSQ_ISL_E10value_typeEPSM_NS1_7vsmem_tEENKUlT_SK_SL_SM_E_clIPxSE_SF_SF_EESJ_SZ_SK_SL_SM_EUlSZ_E_NS1_11comp_targetILNS1_3genE10ELNS1_11target_archE1201ELNS1_3gpuE5ELNS1_3repE0EEENS1_48merge_mergepath_partition_config_static_selectorELNS0_4arch9wavefront6targetE1EEEvSL_
; %bb.0:
	.section	.rodata,"a",@progbits
	.p2align	6, 0x0
	.amdhsa_kernel _ZN7rocprim17ROCPRIM_400000_NS6detail17trampoline_kernelINS0_14default_configENS1_38merge_sort_block_merge_config_selectorIxNS0_10empty_typeEEEZZNS1_27merge_sort_block_merge_implIS3_N6thrust23THRUST_200600_302600_NS6detail15normal_iteratorINS9_10device_ptrIxEEEEPS5_jNS1_19radix_merge_compareILb0ELb1ExNS0_19identity_decomposerEEEEE10hipError_tT0_T1_T2_jT3_P12ihipStream_tbPNSt15iterator_traitsISK_E10value_typeEPNSQ_ISL_E10value_typeEPSM_NS1_7vsmem_tEENKUlT_SK_SL_SM_E_clIPxSE_SF_SF_EESJ_SZ_SK_SL_SM_EUlSZ_E_NS1_11comp_targetILNS1_3genE10ELNS1_11target_archE1201ELNS1_3gpuE5ELNS1_3repE0EEENS1_48merge_mergepath_partition_config_static_selectorELNS0_4arch9wavefront6targetE1EEEvSL_
		.amdhsa_group_segment_fixed_size 0
		.amdhsa_private_segment_fixed_size 0
		.amdhsa_kernarg_size 40
		.amdhsa_user_sgpr_count 2
		.amdhsa_user_sgpr_dispatch_ptr 0
		.amdhsa_user_sgpr_queue_ptr 0
		.amdhsa_user_sgpr_kernarg_segment_ptr 1
		.amdhsa_user_sgpr_dispatch_id 0
		.amdhsa_user_sgpr_kernarg_preload_length 0
		.amdhsa_user_sgpr_kernarg_preload_offset 0
		.amdhsa_user_sgpr_private_segment_size 0
		.amdhsa_uses_dynamic_stack 0
		.amdhsa_enable_private_segment 0
		.amdhsa_system_sgpr_workgroup_id_x 1
		.amdhsa_system_sgpr_workgroup_id_y 0
		.amdhsa_system_sgpr_workgroup_id_z 0
		.amdhsa_system_sgpr_workgroup_info 0
		.amdhsa_system_vgpr_workitem_id 0
		.amdhsa_next_free_vgpr 1
		.amdhsa_next_free_sgpr 0
		.amdhsa_accum_offset 4
		.amdhsa_reserve_vcc 0
		.amdhsa_float_round_mode_32 0
		.amdhsa_float_round_mode_16_64 0
		.amdhsa_float_denorm_mode_32 3
		.amdhsa_float_denorm_mode_16_64 3
		.amdhsa_dx10_clamp 1
		.amdhsa_ieee_mode 1
		.amdhsa_fp16_overflow 0
		.amdhsa_tg_split 0
		.amdhsa_exception_fp_ieee_invalid_op 0
		.amdhsa_exception_fp_denorm_src 0
		.amdhsa_exception_fp_ieee_div_zero 0
		.amdhsa_exception_fp_ieee_overflow 0
		.amdhsa_exception_fp_ieee_underflow 0
		.amdhsa_exception_fp_ieee_inexact 0
		.amdhsa_exception_int_div_zero 0
	.end_amdhsa_kernel
	.section	.text._ZN7rocprim17ROCPRIM_400000_NS6detail17trampoline_kernelINS0_14default_configENS1_38merge_sort_block_merge_config_selectorIxNS0_10empty_typeEEEZZNS1_27merge_sort_block_merge_implIS3_N6thrust23THRUST_200600_302600_NS6detail15normal_iteratorINS9_10device_ptrIxEEEEPS5_jNS1_19radix_merge_compareILb0ELb1ExNS0_19identity_decomposerEEEEE10hipError_tT0_T1_T2_jT3_P12ihipStream_tbPNSt15iterator_traitsISK_E10value_typeEPNSQ_ISL_E10value_typeEPSM_NS1_7vsmem_tEENKUlT_SK_SL_SM_E_clIPxSE_SF_SF_EESJ_SZ_SK_SL_SM_EUlSZ_E_NS1_11comp_targetILNS1_3genE10ELNS1_11target_archE1201ELNS1_3gpuE5ELNS1_3repE0EEENS1_48merge_mergepath_partition_config_static_selectorELNS0_4arch9wavefront6targetE1EEEvSL_,"axG",@progbits,_ZN7rocprim17ROCPRIM_400000_NS6detail17trampoline_kernelINS0_14default_configENS1_38merge_sort_block_merge_config_selectorIxNS0_10empty_typeEEEZZNS1_27merge_sort_block_merge_implIS3_N6thrust23THRUST_200600_302600_NS6detail15normal_iteratorINS9_10device_ptrIxEEEEPS5_jNS1_19radix_merge_compareILb0ELb1ExNS0_19identity_decomposerEEEEE10hipError_tT0_T1_T2_jT3_P12ihipStream_tbPNSt15iterator_traitsISK_E10value_typeEPNSQ_ISL_E10value_typeEPSM_NS1_7vsmem_tEENKUlT_SK_SL_SM_E_clIPxSE_SF_SF_EESJ_SZ_SK_SL_SM_EUlSZ_E_NS1_11comp_targetILNS1_3genE10ELNS1_11target_archE1201ELNS1_3gpuE5ELNS1_3repE0EEENS1_48merge_mergepath_partition_config_static_selectorELNS0_4arch9wavefront6targetE1EEEvSL_,comdat
.Lfunc_end1468:
	.size	_ZN7rocprim17ROCPRIM_400000_NS6detail17trampoline_kernelINS0_14default_configENS1_38merge_sort_block_merge_config_selectorIxNS0_10empty_typeEEEZZNS1_27merge_sort_block_merge_implIS3_N6thrust23THRUST_200600_302600_NS6detail15normal_iteratorINS9_10device_ptrIxEEEEPS5_jNS1_19radix_merge_compareILb0ELb1ExNS0_19identity_decomposerEEEEE10hipError_tT0_T1_T2_jT3_P12ihipStream_tbPNSt15iterator_traitsISK_E10value_typeEPNSQ_ISL_E10value_typeEPSM_NS1_7vsmem_tEENKUlT_SK_SL_SM_E_clIPxSE_SF_SF_EESJ_SZ_SK_SL_SM_EUlSZ_E_NS1_11comp_targetILNS1_3genE10ELNS1_11target_archE1201ELNS1_3gpuE5ELNS1_3repE0EEENS1_48merge_mergepath_partition_config_static_selectorELNS0_4arch9wavefront6targetE1EEEvSL_, .Lfunc_end1468-_ZN7rocprim17ROCPRIM_400000_NS6detail17trampoline_kernelINS0_14default_configENS1_38merge_sort_block_merge_config_selectorIxNS0_10empty_typeEEEZZNS1_27merge_sort_block_merge_implIS3_N6thrust23THRUST_200600_302600_NS6detail15normal_iteratorINS9_10device_ptrIxEEEEPS5_jNS1_19radix_merge_compareILb0ELb1ExNS0_19identity_decomposerEEEEE10hipError_tT0_T1_T2_jT3_P12ihipStream_tbPNSt15iterator_traitsISK_E10value_typeEPNSQ_ISL_E10value_typeEPSM_NS1_7vsmem_tEENKUlT_SK_SL_SM_E_clIPxSE_SF_SF_EESJ_SZ_SK_SL_SM_EUlSZ_E_NS1_11comp_targetILNS1_3genE10ELNS1_11target_archE1201ELNS1_3gpuE5ELNS1_3repE0EEENS1_48merge_mergepath_partition_config_static_selectorELNS0_4arch9wavefront6targetE1EEEvSL_
                                        ; -- End function
	.section	.AMDGPU.csdata,"",@progbits
; Kernel info:
; codeLenInByte = 0
; NumSgprs: 6
; NumVgprs: 0
; NumAgprs: 0
; TotalNumVgprs: 0
; ScratchSize: 0
; MemoryBound: 0
; FloatMode: 240
; IeeeMode: 1
; LDSByteSize: 0 bytes/workgroup (compile time only)
; SGPRBlocks: 0
; VGPRBlocks: 0
; NumSGPRsForWavesPerEU: 6
; NumVGPRsForWavesPerEU: 1
; AccumOffset: 4
; Occupancy: 8
; WaveLimiterHint : 0
; COMPUTE_PGM_RSRC2:SCRATCH_EN: 0
; COMPUTE_PGM_RSRC2:USER_SGPR: 2
; COMPUTE_PGM_RSRC2:TRAP_HANDLER: 0
; COMPUTE_PGM_RSRC2:TGID_X_EN: 1
; COMPUTE_PGM_RSRC2:TGID_Y_EN: 0
; COMPUTE_PGM_RSRC2:TGID_Z_EN: 0
; COMPUTE_PGM_RSRC2:TIDIG_COMP_CNT: 0
; COMPUTE_PGM_RSRC3_GFX90A:ACCUM_OFFSET: 0
; COMPUTE_PGM_RSRC3_GFX90A:TG_SPLIT: 0
	.section	.text._ZN7rocprim17ROCPRIM_400000_NS6detail17trampoline_kernelINS0_14default_configENS1_38merge_sort_block_merge_config_selectorIxNS0_10empty_typeEEEZZNS1_27merge_sort_block_merge_implIS3_N6thrust23THRUST_200600_302600_NS6detail15normal_iteratorINS9_10device_ptrIxEEEEPS5_jNS1_19radix_merge_compareILb0ELb1ExNS0_19identity_decomposerEEEEE10hipError_tT0_T1_T2_jT3_P12ihipStream_tbPNSt15iterator_traitsISK_E10value_typeEPNSQ_ISL_E10value_typeEPSM_NS1_7vsmem_tEENKUlT_SK_SL_SM_E_clIPxSE_SF_SF_EESJ_SZ_SK_SL_SM_EUlSZ_E_NS1_11comp_targetILNS1_3genE5ELNS1_11target_archE942ELNS1_3gpuE9ELNS1_3repE0EEENS1_48merge_mergepath_partition_config_static_selectorELNS0_4arch9wavefront6targetE1EEEvSL_,"axG",@progbits,_ZN7rocprim17ROCPRIM_400000_NS6detail17trampoline_kernelINS0_14default_configENS1_38merge_sort_block_merge_config_selectorIxNS0_10empty_typeEEEZZNS1_27merge_sort_block_merge_implIS3_N6thrust23THRUST_200600_302600_NS6detail15normal_iteratorINS9_10device_ptrIxEEEEPS5_jNS1_19radix_merge_compareILb0ELb1ExNS0_19identity_decomposerEEEEE10hipError_tT0_T1_T2_jT3_P12ihipStream_tbPNSt15iterator_traitsISK_E10value_typeEPNSQ_ISL_E10value_typeEPSM_NS1_7vsmem_tEENKUlT_SK_SL_SM_E_clIPxSE_SF_SF_EESJ_SZ_SK_SL_SM_EUlSZ_E_NS1_11comp_targetILNS1_3genE5ELNS1_11target_archE942ELNS1_3gpuE9ELNS1_3repE0EEENS1_48merge_mergepath_partition_config_static_selectorELNS0_4arch9wavefront6targetE1EEEvSL_,comdat
	.protected	_ZN7rocprim17ROCPRIM_400000_NS6detail17trampoline_kernelINS0_14default_configENS1_38merge_sort_block_merge_config_selectorIxNS0_10empty_typeEEEZZNS1_27merge_sort_block_merge_implIS3_N6thrust23THRUST_200600_302600_NS6detail15normal_iteratorINS9_10device_ptrIxEEEEPS5_jNS1_19radix_merge_compareILb0ELb1ExNS0_19identity_decomposerEEEEE10hipError_tT0_T1_T2_jT3_P12ihipStream_tbPNSt15iterator_traitsISK_E10value_typeEPNSQ_ISL_E10value_typeEPSM_NS1_7vsmem_tEENKUlT_SK_SL_SM_E_clIPxSE_SF_SF_EESJ_SZ_SK_SL_SM_EUlSZ_E_NS1_11comp_targetILNS1_3genE5ELNS1_11target_archE942ELNS1_3gpuE9ELNS1_3repE0EEENS1_48merge_mergepath_partition_config_static_selectorELNS0_4arch9wavefront6targetE1EEEvSL_ ; -- Begin function _ZN7rocprim17ROCPRIM_400000_NS6detail17trampoline_kernelINS0_14default_configENS1_38merge_sort_block_merge_config_selectorIxNS0_10empty_typeEEEZZNS1_27merge_sort_block_merge_implIS3_N6thrust23THRUST_200600_302600_NS6detail15normal_iteratorINS9_10device_ptrIxEEEEPS5_jNS1_19radix_merge_compareILb0ELb1ExNS0_19identity_decomposerEEEEE10hipError_tT0_T1_T2_jT3_P12ihipStream_tbPNSt15iterator_traitsISK_E10value_typeEPNSQ_ISL_E10value_typeEPSM_NS1_7vsmem_tEENKUlT_SK_SL_SM_E_clIPxSE_SF_SF_EESJ_SZ_SK_SL_SM_EUlSZ_E_NS1_11comp_targetILNS1_3genE5ELNS1_11target_archE942ELNS1_3gpuE9ELNS1_3repE0EEENS1_48merge_mergepath_partition_config_static_selectorELNS0_4arch9wavefront6targetE1EEEvSL_
	.globl	_ZN7rocprim17ROCPRIM_400000_NS6detail17trampoline_kernelINS0_14default_configENS1_38merge_sort_block_merge_config_selectorIxNS0_10empty_typeEEEZZNS1_27merge_sort_block_merge_implIS3_N6thrust23THRUST_200600_302600_NS6detail15normal_iteratorINS9_10device_ptrIxEEEEPS5_jNS1_19radix_merge_compareILb0ELb1ExNS0_19identity_decomposerEEEEE10hipError_tT0_T1_T2_jT3_P12ihipStream_tbPNSt15iterator_traitsISK_E10value_typeEPNSQ_ISL_E10value_typeEPSM_NS1_7vsmem_tEENKUlT_SK_SL_SM_E_clIPxSE_SF_SF_EESJ_SZ_SK_SL_SM_EUlSZ_E_NS1_11comp_targetILNS1_3genE5ELNS1_11target_archE942ELNS1_3gpuE9ELNS1_3repE0EEENS1_48merge_mergepath_partition_config_static_selectorELNS0_4arch9wavefront6targetE1EEEvSL_
	.p2align	8
	.type	_ZN7rocprim17ROCPRIM_400000_NS6detail17trampoline_kernelINS0_14default_configENS1_38merge_sort_block_merge_config_selectorIxNS0_10empty_typeEEEZZNS1_27merge_sort_block_merge_implIS3_N6thrust23THRUST_200600_302600_NS6detail15normal_iteratorINS9_10device_ptrIxEEEEPS5_jNS1_19radix_merge_compareILb0ELb1ExNS0_19identity_decomposerEEEEE10hipError_tT0_T1_T2_jT3_P12ihipStream_tbPNSt15iterator_traitsISK_E10value_typeEPNSQ_ISL_E10value_typeEPSM_NS1_7vsmem_tEENKUlT_SK_SL_SM_E_clIPxSE_SF_SF_EESJ_SZ_SK_SL_SM_EUlSZ_E_NS1_11comp_targetILNS1_3genE5ELNS1_11target_archE942ELNS1_3gpuE9ELNS1_3repE0EEENS1_48merge_mergepath_partition_config_static_selectorELNS0_4arch9wavefront6targetE1EEEvSL_,@function
_ZN7rocprim17ROCPRIM_400000_NS6detail17trampoline_kernelINS0_14default_configENS1_38merge_sort_block_merge_config_selectorIxNS0_10empty_typeEEEZZNS1_27merge_sort_block_merge_implIS3_N6thrust23THRUST_200600_302600_NS6detail15normal_iteratorINS9_10device_ptrIxEEEEPS5_jNS1_19radix_merge_compareILb0ELb1ExNS0_19identity_decomposerEEEEE10hipError_tT0_T1_T2_jT3_P12ihipStream_tbPNSt15iterator_traitsISK_E10value_typeEPNSQ_ISL_E10value_typeEPSM_NS1_7vsmem_tEENKUlT_SK_SL_SM_E_clIPxSE_SF_SF_EESJ_SZ_SK_SL_SM_EUlSZ_E_NS1_11comp_targetILNS1_3genE5ELNS1_11target_archE942ELNS1_3gpuE9ELNS1_3repE0EEENS1_48merge_mergepath_partition_config_static_selectorELNS0_4arch9wavefront6targetE1EEEvSL_: ; @_ZN7rocprim17ROCPRIM_400000_NS6detail17trampoline_kernelINS0_14default_configENS1_38merge_sort_block_merge_config_selectorIxNS0_10empty_typeEEEZZNS1_27merge_sort_block_merge_implIS3_N6thrust23THRUST_200600_302600_NS6detail15normal_iteratorINS9_10device_ptrIxEEEEPS5_jNS1_19radix_merge_compareILb0ELb1ExNS0_19identity_decomposerEEEEE10hipError_tT0_T1_T2_jT3_P12ihipStream_tbPNSt15iterator_traitsISK_E10value_typeEPNSQ_ISL_E10value_typeEPSM_NS1_7vsmem_tEENKUlT_SK_SL_SM_E_clIPxSE_SF_SF_EESJ_SZ_SK_SL_SM_EUlSZ_E_NS1_11comp_targetILNS1_3genE5ELNS1_11target_archE942ELNS1_3gpuE9ELNS1_3repE0EEENS1_48merge_mergepath_partition_config_static_selectorELNS0_4arch9wavefront6targetE1EEEvSL_
; %bb.0:
	s_load_dword s3, s[0:1], 0x0
	v_lshl_or_b32 v0, s2, 7, v0
	s_waitcnt lgkmcnt(0)
	v_cmp_gt_u32_e32 vcc, s3, v0
	s_and_saveexec_b64 s[2:3], vcc
	s_cbranch_execz .LBB1469_6
; %bb.1:
	s_load_dwordx2 s[2:3], s[0:1], 0x4
	s_load_dwordx4 s[4:7], s[0:1], 0x18
	s_waitcnt lgkmcnt(0)
	s_lshr_b32 s8, s2, 9
	s_and_b32 s8, s8, 0x7ffffe
	s_add_i32 s9, s8, -1
	s_sub_i32 s8, 0, s8
	v_and_b32_e32 v1, s8, v0
	v_lshlrev_b32_e32 v1, 10, v1
	v_min_u32_e32 v2, s3, v1
	v_add_u32_e32 v1, s2, v1
	v_min_u32_e32 v4, s3, v1
	v_add_u32_e32 v1, s2, v4
	v_and_b32_e32 v3, s9, v0
	v_min_u32_e32 v1, s3, v1
	v_sub_u32_e32 v5, v1, v2
	v_lshlrev_b32_e32 v3, 10, v3
	v_min_u32_e32 v10, v5, v3
	v_sub_u32_e32 v3, v4, v2
	v_sub_u32_e32 v1, v1, v4
	v_sub_u32_e64 v1, v10, v1 clamp
	v_min_u32_e32 v11, v10, v3
	v_cmp_lt_u32_e32 vcc, v1, v11
	s_and_saveexec_b64 s[2:3], vcc
	s_cbranch_execz .LBB1469_5
; %bb.2:
	s_load_dwordx2 s[0:1], s[0:1], 0x10
	v_mov_b32_e32 v5, 0
	v_mov_b32_e32 v3, v5
	s_waitcnt lgkmcnt(0)
	v_lshl_add_u64 v[6:7], v[2:3], 3, s[0:1]
	v_lshl_add_u64 v[8:9], v[4:5], 3, s[0:1]
	s_mov_b64 s[0:1], 0
.LBB1469_3:                             ; =>This Inner Loop Header: Depth=1
	v_add_u32_e32 v3, v11, v1
	v_lshrrev_b32_e32 v4, 1, v3
	v_mov_b32_e32 v13, v5
	v_xad_u32 v12, v4, -1, v10
	v_lshl_add_u64 v[14:15], v[4:5], 3, v[6:7]
	v_lshl_add_u64 v[12:13], v[12:13], 3, v[8:9]
	global_load_dwordx2 v[14:15], v[14:15], off
	v_add_u32_e32 v3, 1, v4
	global_load_dwordx2 v[12:13], v[12:13], off
	s_waitcnt vmcnt(1)
	v_and_b32_e32 v15, s5, v15
	v_and_b32_e32 v14, s4, v14
	s_waitcnt vmcnt(0)
	v_and_b32_e32 v13, s5, v13
	v_and_b32_e32 v12, s4, v12
	v_cmp_gt_i64_e32 vcc, v[14:15], v[12:13]
	s_nop 1
	v_cndmask_b32_e32 v11, v11, v4, vcc
	v_cndmask_b32_e32 v1, v3, v1, vcc
	v_cmp_ge_u32_e32 vcc, v1, v11
	s_or_b64 s[0:1], vcc, s[0:1]
	s_andn2_b64 exec, exec, s[0:1]
	s_cbranch_execnz .LBB1469_3
; %bb.4:
	s_or_b64 exec, exec, s[0:1]
.LBB1469_5:
	s_or_b64 exec, exec, s[2:3]
	v_mov_b32_e32 v4, s6
	v_mov_b32_e32 v5, s7
	v_add_u32_e32 v2, v1, v2
	v_mov_b32_e32 v1, 0
	v_lshl_add_u64 v[0:1], v[0:1], 2, v[4:5]
	global_store_dword v[0:1], v2, off
.LBB1469_6:
	s_endpgm
	.section	.rodata,"a",@progbits
	.p2align	6, 0x0
	.amdhsa_kernel _ZN7rocprim17ROCPRIM_400000_NS6detail17trampoline_kernelINS0_14default_configENS1_38merge_sort_block_merge_config_selectorIxNS0_10empty_typeEEEZZNS1_27merge_sort_block_merge_implIS3_N6thrust23THRUST_200600_302600_NS6detail15normal_iteratorINS9_10device_ptrIxEEEEPS5_jNS1_19radix_merge_compareILb0ELb1ExNS0_19identity_decomposerEEEEE10hipError_tT0_T1_T2_jT3_P12ihipStream_tbPNSt15iterator_traitsISK_E10value_typeEPNSQ_ISL_E10value_typeEPSM_NS1_7vsmem_tEENKUlT_SK_SL_SM_E_clIPxSE_SF_SF_EESJ_SZ_SK_SL_SM_EUlSZ_E_NS1_11comp_targetILNS1_3genE5ELNS1_11target_archE942ELNS1_3gpuE9ELNS1_3repE0EEENS1_48merge_mergepath_partition_config_static_selectorELNS0_4arch9wavefront6targetE1EEEvSL_
		.amdhsa_group_segment_fixed_size 0
		.amdhsa_private_segment_fixed_size 0
		.amdhsa_kernarg_size 40
		.amdhsa_user_sgpr_count 2
		.amdhsa_user_sgpr_dispatch_ptr 0
		.amdhsa_user_sgpr_queue_ptr 0
		.amdhsa_user_sgpr_kernarg_segment_ptr 1
		.amdhsa_user_sgpr_dispatch_id 0
		.amdhsa_user_sgpr_kernarg_preload_length 0
		.amdhsa_user_sgpr_kernarg_preload_offset 0
		.amdhsa_user_sgpr_private_segment_size 0
		.amdhsa_uses_dynamic_stack 0
		.amdhsa_enable_private_segment 0
		.amdhsa_system_sgpr_workgroup_id_x 1
		.amdhsa_system_sgpr_workgroup_id_y 0
		.amdhsa_system_sgpr_workgroup_id_z 0
		.amdhsa_system_sgpr_workgroup_info 0
		.amdhsa_system_vgpr_workitem_id 0
		.amdhsa_next_free_vgpr 16
		.amdhsa_next_free_sgpr 10
		.amdhsa_accum_offset 16
		.amdhsa_reserve_vcc 1
		.amdhsa_float_round_mode_32 0
		.amdhsa_float_round_mode_16_64 0
		.amdhsa_float_denorm_mode_32 3
		.amdhsa_float_denorm_mode_16_64 3
		.amdhsa_dx10_clamp 1
		.amdhsa_ieee_mode 1
		.amdhsa_fp16_overflow 0
		.amdhsa_tg_split 0
		.amdhsa_exception_fp_ieee_invalid_op 0
		.amdhsa_exception_fp_denorm_src 0
		.amdhsa_exception_fp_ieee_div_zero 0
		.amdhsa_exception_fp_ieee_overflow 0
		.amdhsa_exception_fp_ieee_underflow 0
		.amdhsa_exception_fp_ieee_inexact 0
		.amdhsa_exception_int_div_zero 0
	.end_amdhsa_kernel
	.section	.text._ZN7rocprim17ROCPRIM_400000_NS6detail17trampoline_kernelINS0_14default_configENS1_38merge_sort_block_merge_config_selectorIxNS0_10empty_typeEEEZZNS1_27merge_sort_block_merge_implIS3_N6thrust23THRUST_200600_302600_NS6detail15normal_iteratorINS9_10device_ptrIxEEEEPS5_jNS1_19radix_merge_compareILb0ELb1ExNS0_19identity_decomposerEEEEE10hipError_tT0_T1_T2_jT3_P12ihipStream_tbPNSt15iterator_traitsISK_E10value_typeEPNSQ_ISL_E10value_typeEPSM_NS1_7vsmem_tEENKUlT_SK_SL_SM_E_clIPxSE_SF_SF_EESJ_SZ_SK_SL_SM_EUlSZ_E_NS1_11comp_targetILNS1_3genE5ELNS1_11target_archE942ELNS1_3gpuE9ELNS1_3repE0EEENS1_48merge_mergepath_partition_config_static_selectorELNS0_4arch9wavefront6targetE1EEEvSL_,"axG",@progbits,_ZN7rocprim17ROCPRIM_400000_NS6detail17trampoline_kernelINS0_14default_configENS1_38merge_sort_block_merge_config_selectorIxNS0_10empty_typeEEEZZNS1_27merge_sort_block_merge_implIS3_N6thrust23THRUST_200600_302600_NS6detail15normal_iteratorINS9_10device_ptrIxEEEEPS5_jNS1_19radix_merge_compareILb0ELb1ExNS0_19identity_decomposerEEEEE10hipError_tT0_T1_T2_jT3_P12ihipStream_tbPNSt15iterator_traitsISK_E10value_typeEPNSQ_ISL_E10value_typeEPSM_NS1_7vsmem_tEENKUlT_SK_SL_SM_E_clIPxSE_SF_SF_EESJ_SZ_SK_SL_SM_EUlSZ_E_NS1_11comp_targetILNS1_3genE5ELNS1_11target_archE942ELNS1_3gpuE9ELNS1_3repE0EEENS1_48merge_mergepath_partition_config_static_selectorELNS0_4arch9wavefront6targetE1EEEvSL_,comdat
.Lfunc_end1469:
	.size	_ZN7rocprim17ROCPRIM_400000_NS6detail17trampoline_kernelINS0_14default_configENS1_38merge_sort_block_merge_config_selectorIxNS0_10empty_typeEEEZZNS1_27merge_sort_block_merge_implIS3_N6thrust23THRUST_200600_302600_NS6detail15normal_iteratorINS9_10device_ptrIxEEEEPS5_jNS1_19radix_merge_compareILb0ELb1ExNS0_19identity_decomposerEEEEE10hipError_tT0_T1_T2_jT3_P12ihipStream_tbPNSt15iterator_traitsISK_E10value_typeEPNSQ_ISL_E10value_typeEPSM_NS1_7vsmem_tEENKUlT_SK_SL_SM_E_clIPxSE_SF_SF_EESJ_SZ_SK_SL_SM_EUlSZ_E_NS1_11comp_targetILNS1_3genE5ELNS1_11target_archE942ELNS1_3gpuE9ELNS1_3repE0EEENS1_48merge_mergepath_partition_config_static_selectorELNS0_4arch9wavefront6targetE1EEEvSL_, .Lfunc_end1469-_ZN7rocprim17ROCPRIM_400000_NS6detail17trampoline_kernelINS0_14default_configENS1_38merge_sort_block_merge_config_selectorIxNS0_10empty_typeEEEZZNS1_27merge_sort_block_merge_implIS3_N6thrust23THRUST_200600_302600_NS6detail15normal_iteratorINS9_10device_ptrIxEEEEPS5_jNS1_19radix_merge_compareILb0ELb1ExNS0_19identity_decomposerEEEEE10hipError_tT0_T1_T2_jT3_P12ihipStream_tbPNSt15iterator_traitsISK_E10value_typeEPNSQ_ISL_E10value_typeEPSM_NS1_7vsmem_tEENKUlT_SK_SL_SM_E_clIPxSE_SF_SF_EESJ_SZ_SK_SL_SM_EUlSZ_E_NS1_11comp_targetILNS1_3genE5ELNS1_11target_archE942ELNS1_3gpuE9ELNS1_3repE0EEENS1_48merge_mergepath_partition_config_static_selectorELNS0_4arch9wavefront6targetE1EEEvSL_
                                        ; -- End function
	.section	.AMDGPU.csdata,"",@progbits
; Kernel info:
; codeLenInByte = 344
; NumSgprs: 16
; NumVgprs: 16
; NumAgprs: 0
; TotalNumVgprs: 16
; ScratchSize: 0
; MemoryBound: 0
; FloatMode: 240
; IeeeMode: 1
; LDSByteSize: 0 bytes/workgroup (compile time only)
; SGPRBlocks: 1
; VGPRBlocks: 1
; NumSGPRsForWavesPerEU: 16
; NumVGPRsForWavesPerEU: 16
; AccumOffset: 16
; Occupancy: 8
; WaveLimiterHint : 0
; COMPUTE_PGM_RSRC2:SCRATCH_EN: 0
; COMPUTE_PGM_RSRC2:USER_SGPR: 2
; COMPUTE_PGM_RSRC2:TRAP_HANDLER: 0
; COMPUTE_PGM_RSRC2:TGID_X_EN: 1
; COMPUTE_PGM_RSRC2:TGID_Y_EN: 0
; COMPUTE_PGM_RSRC2:TGID_Z_EN: 0
; COMPUTE_PGM_RSRC2:TIDIG_COMP_CNT: 0
; COMPUTE_PGM_RSRC3_GFX90A:ACCUM_OFFSET: 3
; COMPUTE_PGM_RSRC3_GFX90A:TG_SPLIT: 0
	.section	.text._ZN7rocprim17ROCPRIM_400000_NS6detail17trampoline_kernelINS0_14default_configENS1_38merge_sort_block_merge_config_selectorIxNS0_10empty_typeEEEZZNS1_27merge_sort_block_merge_implIS3_N6thrust23THRUST_200600_302600_NS6detail15normal_iteratorINS9_10device_ptrIxEEEEPS5_jNS1_19radix_merge_compareILb0ELb1ExNS0_19identity_decomposerEEEEE10hipError_tT0_T1_T2_jT3_P12ihipStream_tbPNSt15iterator_traitsISK_E10value_typeEPNSQ_ISL_E10value_typeEPSM_NS1_7vsmem_tEENKUlT_SK_SL_SM_E_clIPxSE_SF_SF_EESJ_SZ_SK_SL_SM_EUlSZ_E_NS1_11comp_targetILNS1_3genE4ELNS1_11target_archE910ELNS1_3gpuE8ELNS1_3repE0EEENS1_48merge_mergepath_partition_config_static_selectorELNS0_4arch9wavefront6targetE1EEEvSL_,"axG",@progbits,_ZN7rocprim17ROCPRIM_400000_NS6detail17trampoline_kernelINS0_14default_configENS1_38merge_sort_block_merge_config_selectorIxNS0_10empty_typeEEEZZNS1_27merge_sort_block_merge_implIS3_N6thrust23THRUST_200600_302600_NS6detail15normal_iteratorINS9_10device_ptrIxEEEEPS5_jNS1_19radix_merge_compareILb0ELb1ExNS0_19identity_decomposerEEEEE10hipError_tT0_T1_T2_jT3_P12ihipStream_tbPNSt15iterator_traitsISK_E10value_typeEPNSQ_ISL_E10value_typeEPSM_NS1_7vsmem_tEENKUlT_SK_SL_SM_E_clIPxSE_SF_SF_EESJ_SZ_SK_SL_SM_EUlSZ_E_NS1_11comp_targetILNS1_3genE4ELNS1_11target_archE910ELNS1_3gpuE8ELNS1_3repE0EEENS1_48merge_mergepath_partition_config_static_selectorELNS0_4arch9wavefront6targetE1EEEvSL_,comdat
	.protected	_ZN7rocprim17ROCPRIM_400000_NS6detail17trampoline_kernelINS0_14default_configENS1_38merge_sort_block_merge_config_selectorIxNS0_10empty_typeEEEZZNS1_27merge_sort_block_merge_implIS3_N6thrust23THRUST_200600_302600_NS6detail15normal_iteratorINS9_10device_ptrIxEEEEPS5_jNS1_19radix_merge_compareILb0ELb1ExNS0_19identity_decomposerEEEEE10hipError_tT0_T1_T2_jT3_P12ihipStream_tbPNSt15iterator_traitsISK_E10value_typeEPNSQ_ISL_E10value_typeEPSM_NS1_7vsmem_tEENKUlT_SK_SL_SM_E_clIPxSE_SF_SF_EESJ_SZ_SK_SL_SM_EUlSZ_E_NS1_11comp_targetILNS1_3genE4ELNS1_11target_archE910ELNS1_3gpuE8ELNS1_3repE0EEENS1_48merge_mergepath_partition_config_static_selectorELNS0_4arch9wavefront6targetE1EEEvSL_ ; -- Begin function _ZN7rocprim17ROCPRIM_400000_NS6detail17trampoline_kernelINS0_14default_configENS1_38merge_sort_block_merge_config_selectorIxNS0_10empty_typeEEEZZNS1_27merge_sort_block_merge_implIS3_N6thrust23THRUST_200600_302600_NS6detail15normal_iteratorINS9_10device_ptrIxEEEEPS5_jNS1_19radix_merge_compareILb0ELb1ExNS0_19identity_decomposerEEEEE10hipError_tT0_T1_T2_jT3_P12ihipStream_tbPNSt15iterator_traitsISK_E10value_typeEPNSQ_ISL_E10value_typeEPSM_NS1_7vsmem_tEENKUlT_SK_SL_SM_E_clIPxSE_SF_SF_EESJ_SZ_SK_SL_SM_EUlSZ_E_NS1_11comp_targetILNS1_3genE4ELNS1_11target_archE910ELNS1_3gpuE8ELNS1_3repE0EEENS1_48merge_mergepath_partition_config_static_selectorELNS0_4arch9wavefront6targetE1EEEvSL_
	.globl	_ZN7rocprim17ROCPRIM_400000_NS6detail17trampoline_kernelINS0_14default_configENS1_38merge_sort_block_merge_config_selectorIxNS0_10empty_typeEEEZZNS1_27merge_sort_block_merge_implIS3_N6thrust23THRUST_200600_302600_NS6detail15normal_iteratorINS9_10device_ptrIxEEEEPS5_jNS1_19radix_merge_compareILb0ELb1ExNS0_19identity_decomposerEEEEE10hipError_tT0_T1_T2_jT3_P12ihipStream_tbPNSt15iterator_traitsISK_E10value_typeEPNSQ_ISL_E10value_typeEPSM_NS1_7vsmem_tEENKUlT_SK_SL_SM_E_clIPxSE_SF_SF_EESJ_SZ_SK_SL_SM_EUlSZ_E_NS1_11comp_targetILNS1_3genE4ELNS1_11target_archE910ELNS1_3gpuE8ELNS1_3repE0EEENS1_48merge_mergepath_partition_config_static_selectorELNS0_4arch9wavefront6targetE1EEEvSL_
	.p2align	8
	.type	_ZN7rocprim17ROCPRIM_400000_NS6detail17trampoline_kernelINS0_14default_configENS1_38merge_sort_block_merge_config_selectorIxNS0_10empty_typeEEEZZNS1_27merge_sort_block_merge_implIS3_N6thrust23THRUST_200600_302600_NS6detail15normal_iteratorINS9_10device_ptrIxEEEEPS5_jNS1_19radix_merge_compareILb0ELb1ExNS0_19identity_decomposerEEEEE10hipError_tT0_T1_T2_jT3_P12ihipStream_tbPNSt15iterator_traitsISK_E10value_typeEPNSQ_ISL_E10value_typeEPSM_NS1_7vsmem_tEENKUlT_SK_SL_SM_E_clIPxSE_SF_SF_EESJ_SZ_SK_SL_SM_EUlSZ_E_NS1_11comp_targetILNS1_3genE4ELNS1_11target_archE910ELNS1_3gpuE8ELNS1_3repE0EEENS1_48merge_mergepath_partition_config_static_selectorELNS0_4arch9wavefront6targetE1EEEvSL_,@function
_ZN7rocprim17ROCPRIM_400000_NS6detail17trampoline_kernelINS0_14default_configENS1_38merge_sort_block_merge_config_selectorIxNS0_10empty_typeEEEZZNS1_27merge_sort_block_merge_implIS3_N6thrust23THRUST_200600_302600_NS6detail15normal_iteratorINS9_10device_ptrIxEEEEPS5_jNS1_19radix_merge_compareILb0ELb1ExNS0_19identity_decomposerEEEEE10hipError_tT0_T1_T2_jT3_P12ihipStream_tbPNSt15iterator_traitsISK_E10value_typeEPNSQ_ISL_E10value_typeEPSM_NS1_7vsmem_tEENKUlT_SK_SL_SM_E_clIPxSE_SF_SF_EESJ_SZ_SK_SL_SM_EUlSZ_E_NS1_11comp_targetILNS1_3genE4ELNS1_11target_archE910ELNS1_3gpuE8ELNS1_3repE0EEENS1_48merge_mergepath_partition_config_static_selectorELNS0_4arch9wavefront6targetE1EEEvSL_: ; @_ZN7rocprim17ROCPRIM_400000_NS6detail17trampoline_kernelINS0_14default_configENS1_38merge_sort_block_merge_config_selectorIxNS0_10empty_typeEEEZZNS1_27merge_sort_block_merge_implIS3_N6thrust23THRUST_200600_302600_NS6detail15normal_iteratorINS9_10device_ptrIxEEEEPS5_jNS1_19radix_merge_compareILb0ELb1ExNS0_19identity_decomposerEEEEE10hipError_tT0_T1_T2_jT3_P12ihipStream_tbPNSt15iterator_traitsISK_E10value_typeEPNSQ_ISL_E10value_typeEPSM_NS1_7vsmem_tEENKUlT_SK_SL_SM_E_clIPxSE_SF_SF_EESJ_SZ_SK_SL_SM_EUlSZ_E_NS1_11comp_targetILNS1_3genE4ELNS1_11target_archE910ELNS1_3gpuE8ELNS1_3repE0EEENS1_48merge_mergepath_partition_config_static_selectorELNS0_4arch9wavefront6targetE1EEEvSL_
; %bb.0:
	.section	.rodata,"a",@progbits
	.p2align	6, 0x0
	.amdhsa_kernel _ZN7rocprim17ROCPRIM_400000_NS6detail17trampoline_kernelINS0_14default_configENS1_38merge_sort_block_merge_config_selectorIxNS0_10empty_typeEEEZZNS1_27merge_sort_block_merge_implIS3_N6thrust23THRUST_200600_302600_NS6detail15normal_iteratorINS9_10device_ptrIxEEEEPS5_jNS1_19radix_merge_compareILb0ELb1ExNS0_19identity_decomposerEEEEE10hipError_tT0_T1_T2_jT3_P12ihipStream_tbPNSt15iterator_traitsISK_E10value_typeEPNSQ_ISL_E10value_typeEPSM_NS1_7vsmem_tEENKUlT_SK_SL_SM_E_clIPxSE_SF_SF_EESJ_SZ_SK_SL_SM_EUlSZ_E_NS1_11comp_targetILNS1_3genE4ELNS1_11target_archE910ELNS1_3gpuE8ELNS1_3repE0EEENS1_48merge_mergepath_partition_config_static_selectorELNS0_4arch9wavefront6targetE1EEEvSL_
		.amdhsa_group_segment_fixed_size 0
		.amdhsa_private_segment_fixed_size 0
		.amdhsa_kernarg_size 40
		.amdhsa_user_sgpr_count 2
		.amdhsa_user_sgpr_dispatch_ptr 0
		.amdhsa_user_sgpr_queue_ptr 0
		.amdhsa_user_sgpr_kernarg_segment_ptr 1
		.amdhsa_user_sgpr_dispatch_id 0
		.amdhsa_user_sgpr_kernarg_preload_length 0
		.amdhsa_user_sgpr_kernarg_preload_offset 0
		.amdhsa_user_sgpr_private_segment_size 0
		.amdhsa_uses_dynamic_stack 0
		.amdhsa_enable_private_segment 0
		.amdhsa_system_sgpr_workgroup_id_x 1
		.amdhsa_system_sgpr_workgroup_id_y 0
		.amdhsa_system_sgpr_workgroup_id_z 0
		.amdhsa_system_sgpr_workgroup_info 0
		.amdhsa_system_vgpr_workitem_id 0
		.amdhsa_next_free_vgpr 1
		.amdhsa_next_free_sgpr 0
		.amdhsa_accum_offset 4
		.amdhsa_reserve_vcc 0
		.amdhsa_float_round_mode_32 0
		.amdhsa_float_round_mode_16_64 0
		.amdhsa_float_denorm_mode_32 3
		.amdhsa_float_denorm_mode_16_64 3
		.amdhsa_dx10_clamp 1
		.amdhsa_ieee_mode 1
		.amdhsa_fp16_overflow 0
		.amdhsa_tg_split 0
		.amdhsa_exception_fp_ieee_invalid_op 0
		.amdhsa_exception_fp_denorm_src 0
		.amdhsa_exception_fp_ieee_div_zero 0
		.amdhsa_exception_fp_ieee_overflow 0
		.amdhsa_exception_fp_ieee_underflow 0
		.amdhsa_exception_fp_ieee_inexact 0
		.amdhsa_exception_int_div_zero 0
	.end_amdhsa_kernel
	.section	.text._ZN7rocprim17ROCPRIM_400000_NS6detail17trampoline_kernelINS0_14default_configENS1_38merge_sort_block_merge_config_selectorIxNS0_10empty_typeEEEZZNS1_27merge_sort_block_merge_implIS3_N6thrust23THRUST_200600_302600_NS6detail15normal_iteratorINS9_10device_ptrIxEEEEPS5_jNS1_19radix_merge_compareILb0ELb1ExNS0_19identity_decomposerEEEEE10hipError_tT0_T1_T2_jT3_P12ihipStream_tbPNSt15iterator_traitsISK_E10value_typeEPNSQ_ISL_E10value_typeEPSM_NS1_7vsmem_tEENKUlT_SK_SL_SM_E_clIPxSE_SF_SF_EESJ_SZ_SK_SL_SM_EUlSZ_E_NS1_11comp_targetILNS1_3genE4ELNS1_11target_archE910ELNS1_3gpuE8ELNS1_3repE0EEENS1_48merge_mergepath_partition_config_static_selectorELNS0_4arch9wavefront6targetE1EEEvSL_,"axG",@progbits,_ZN7rocprim17ROCPRIM_400000_NS6detail17trampoline_kernelINS0_14default_configENS1_38merge_sort_block_merge_config_selectorIxNS0_10empty_typeEEEZZNS1_27merge_sort_block_merge_implIS3_N6thrust23THRUST_200600_302600_NS6detail15normal_iteratorINS9_10device_ptrIxEEEEPS5_jNS1_19radix_merge_compareILb0ELb1ExNS0_19identity_decomposerEEEEE10hipError_tT0_T1_T2_jT3_P12ihipStream_tbPNSt15iterator_traitsISK_E10value_typeEPNSQ_ISL_E10value_typeEPSM_NS1_7vsmem_tEENKUlT_SK_SL_SM_E_clIPxSE_SF_SF_EESJ_SZ_SK_SL_SM_EUlSZ_E_NS1_11comp_targetILNS1_3genE4ELNS1_11target_archE910ELNS1_3gpuE8ELNS1_3repE0EEENS1_48merge_mergepath_partition_config_static_selectorELNS0_4arch9wavefront6targetE1EEEvSL_,comdat
.Lfunc_end1470:
	.size	_ZN7rocprim17ROCPRIM_400000_NS6detail17trampoline_kernelINS0_14default_configENS1_38merge_sort_block_merge_config_selectorIxNS0_10empty_typeEEEZZNS1_27merge_sort_block_merge_implIS3_N6thrust23THRUST_200600_302600_NS6detail15normal_iteratorINS9_10device_ptrIxEEEEPS5_jNS1_19radix_merge_compareILb0ELb1ExNS0_19identity_decomposerEEEEE10hipError_tT0_T1_T2_jT3_P12ihipStream_tbPNSt15iterator_traitsISK_E10value_typeEPNSQ_ISL_E10value_typeEPSM_NS1_7vsmem_tEENKUlT_SK_SL_SM_E_clIPxSE_SF_SF_EESJ_SZ_SK_SL_SM_EUlSZ_E_NS1_11comp_targetILNS1_3genE4ELNS1_11target_archE910ELNS1_3gpuE8ELNS1_3repE0EEENS1_48merge_mergepath_partition_config_static_selectorELNS0_4arch9wavefront6targetE1EEEvSL_, .Lfunc_end1470-_ZN7rocprim17ROCPRIM_400000_NS6detail17trampoline_kernelINS0_14default_configENS1_38merge_sort_block_merge_config_selectorIxNS0_10empty_typeEEEZZNS1_27merge_sort_block_merge_implIS3_N6thrust23THRUST_200600_302600_NS6detail15normal_iteratorINS9_10device_ptrIxEEEEPS5_jNS1_19radix_merge_compareILb0ELb1ExNS0_19identity_decomposerEEEEE10hipError_tT0_T1_T2_jT3_P12ihipStream_tbPNSt15iterator_traitsISK_E10value_typeEPNSQ_ISL_E10value_typeEPSM_NS1_7vsmem_tEENKUlT_SK_SL_SM_E_clIPxSE_SF_SF_EESJ_SZ_SK_SL_SM_EUlSZ_E_NS1_11comp_targetILNS1_3genE4ELNS1_11target_archE910ELNS1_3gpuE8ELNS1_3repE0EEENS1_48merge_mergepath_partition_config_static_selectorELNS0_4arch9wavefront6targetE1EEEvSL_
                                        ; -- End function
	.section	.AMDGPU.csdata,"",@progbits
; Kernel info:
; codeLenInByte = 0
; NumSgprs: 6
; NumVgprs: 0
; NumAgprs: 0
; TotalNumVgprs: 0
; ScratchSize: 0
; MemoryBound: 0
; FloatMode: 240
; IeeeMode: 1
; LDSByteSize: 0 bytes/workgroup (compile time only)
; SGPRBlocks: 0
; VGPRBlocks: 0
; NumSGPRsForWavesPerEU: 6
; NumVGPRsForWavesPerEU: 1
; AccumOffset: 4
; Occupancy: 8
; WaveLimiterHint : 0
; COMPUTE_PGM_RSRC2:SCRATCH_EN: 0
; COMPUTE_PGM_RSRC2:USER_SGPR: 2
; COMPUTE_PGM_RSRC2:TRAP_HANDLER: 0
; COMPUTE_PGM_RSRC2:TGID_X_EN: 1
; COMPUTE_PGM_RSRC2:TGID_Y_EN: 0
; COMPUTE_PGM_RSRC2:TGID_Z_EN: 0
; COMPUTE_PGM_RSRC2:TIDIG_COMP_CNT: 0
; COMPUTE_PGM_RSRC3_GFX90A:ACCUM_OFFSET: 0
; COMPUTE_PGM_RSRC3_GFX90A:TG_SPLIT: 0
	.section	.text._ZN7rocprim17ROCPRIM_400000_NS6detail17trampoline_kernelINS0_14default_configENS1_38merge_sort_block_merge_config_selectorIxNS0_10empty_typeEEEZZNS1_27merge_sort_block_merge_implIS3_N6thrust23THRUST_200600_302600_NS6detail15normal_iteratorINS9_10device_ptrIxEEEEPS5_jNS1_19radix_merge_compareILb0ELb1ExNS0_19identity_decomposerEEEEE10hipError_tT0_T1_T2_jT3_P12ihipStream_tbPNSt15iterator_traitsISK_E10value_typeEPNSQ_ISL_E10value_typeEPSM_NS1_7vsmem_tEENKUlT_SK_SL_SM_E_clIPxSE_SF_SF_EESJ_SZ_SK_SL_SM_EUlSZ_E_NS1_11comp_targetILNS1_3genE3ELNS1_11target_archE908ELNS1_3gpuE7ELNS1_3repE0EEENS1_48merge_mergepath_partition_config_static_selectorELNS0_4arch9wavefront6targetE1EEEvSL_,"axG",@progbits,_ZN7rocprim17ROCPRIM_400000_NS6detail17trampoline_kernelINS0_14default_configENS1_38merge_sort_block_merge_config_selectorIxNS0_10empty_typeEEEZZNS1_27merge_sort_block_merge_implIS3_N6thrust23THRUST_200600_302600_NS6detail15normal_iteratorINS9_10device_ptrIxEEEEPS5_jNS1_19radix_merge_compareILb0ELb1ExNS0_19identity_decomposerEEEEE10hipError_tT0_T1_T2_jT3_P12ihipStream_tbPNSt15iterator_traitsISK_E10value_typeEPNSQ_ISL_E10value_typeEPSM_NS1_7vsmem_tEENKUlT_SK_SL_SM_E_clIPxSE_SF_SF_EESJ_SZ_SK_SL_SM_EUlSZ_E_NS1_11comp_targetILNS1_3genE3ELNS1_11target_archE908ELNS1_3gpuE7ELNS1_3repE0EEENS1_48merge_mergepath_partition_config_static_selectorELNS0_4arch9wavefront6targetE1EEEvSL_,comdat
	.protected	_ZN7rocprim17ROCPRIM_400000_NS6detail17trampoline_kernelINS0_14default_configENS1_38merge_sort_block_merge_config_selectorIxNS0_10empty_typeEEEZZNS1_27merge_sort_block_merge_implIS3_N6thrust23THRUST_200600_302600_NS6detail15normal_iteratorINS9_10device_ptrIxEEEEPS5_jNS1_19radix_merge_compareILb0ELb1ExNS0_19identity_decomposerEEEEE10hipError_tT0_T1_T2_jT3_P12ihipStream_tbPNSt15iterator_traitsISK_E10value_typeEPNSQ_ISL_E10value_typeEPSM_NS1_7vsmem_tEENKUlT_SK_SL_SM_E_clIPxSE_SF_SF_EESJ_SZ_SK_SL_SM_EUlSZ_E_NS1_11comp_targetILNS1_3genE3ELNS1_11target_archE908ELNS1_3gpuE7ELNS1_3repE0EEENS1_48merge_mergepath_partition_config_static_selectorELNS0_4arch9wavefront6targetE1EEEvSL_ ; -- Begin function _ZN7rocprim17ROCPRIM_400000_NS6detail17trampoline_kernelINS0_14default_configENS1_38merge_sort_block_merge_config_selectorIxNS0_10empty_typeEEEZZNS1_27merge_sort_block_merge_implIS3_N6thrust23THRUST_200600_302600_NS6detail15normal_iteratorINS9_10device_ptrIxEEEEPS5_jNS1_19radix_merge_compareILb0ELb1ExNS0_19identity_decomposerEEEEE10hipError_tT0_T1_T2_jT3_P12ihipStream_tbPNSt15iterator_traitsISK_E10value_typeEPNSQ_ISL_E10value_typeEPSM_NS1_7vsmem_tEENKUlT_SK_SL_SM_E_clIPxSE_SF_SF_EESJ_SZ_SK_SL_SM_EUlSZ_E_NS1_11comp_targetILNS1_3genE3ELNS1_11target_archE908ELNS1_3gpuE7ELNS1_3repE0EEENS1_48merge_mergepath_partition_config_static_selectorELNS0_4arch9wavefront6targetE1EEEvSL_
	.globl	_ZN7rocprim17ROCPRIM_400000_NS6detail17trampoline_kernelINS0_14default_configENS1_38merge_sort_block_merge_config_selectorIxNS0_10empty_typeEEEZZNS1_27merge_sort_block_merge_implIS3_N6thrust23THRUST_200600_302600_NS6detail15normal_iteratorINS9_10device_ptrIxEEEEPS5_jNS1_19radix_merge_compareILb0ELb1ExNS0_19identity_decomposerEEEEE10hipError_tT0_T1_T2_jT3_P12ihipStream_tbPNSt15iterator_traitsISK_E10value_typeEPNSQ_ISL_E10value_typeEPSM_NS1_7vsmem_tEENKUlT_SK_SL_SM_E_clIPxSE_SF_SF_EESJ_SZ_SK_SL_SM_EUlSZ_E_NS1_11comp_targetILNS1_3genE3ELNS1_11target_archE908ELNS1_3gpuE7ELNS1_3repE0EEENS1_48merge_mergepath_partition_config_static_selectorELNS0_4arch9wavefront6targetE1EEEvSL_
	.p2align	8
	.type	_ZN7rocprim17ROCPRIM_400000_NS6detail17trampoline_kernelINS0_14default_configENS1_38merge_sort_block_merge_config_selectorIxNS0_10empty_typeEEEZZNS1_27merge_sort_block_merge_implIS3_N6thrust23THRUST_200600_302600_NS6detail15normal_iteratorINS9_10device_ptrIxEEEEPS5_jNS1_19radix_merge_compareILb0ELb1ExNS0_19identity_decomposerEEEEE10hipError_tT0_T1_T2_jT3_P12ihipStream_tbPNSt15iterator_traitsISK_E10value_typeEPNSQ_ISL_E10value_typeEPSM_NS1_7vsmem_tEENKUlT_SK_SL_SM_E_clIPxSE_SF_SF_EESJ_SZ_SK_SL_SM_EUlSZ_E_NS1_11comp_targetILNS1_3genE3ELNS1_11target_archE908ELNS1_3gpuE7ELNS1_3repE0EEENS1_48merge_mergepath_partition_config_static_selectorELNS0_4arch9wavefront6targetE1EEEvSL_,@function
_ZN7rocprim17ROCPRIM_400000_NS6detail17trampoline_kernelINS0_14default_configENS1_38merge_sort_block_merge_config_selectorIxNS0_10empty_typeEEEZZNS1_27merge_sort_block_merge_implIS3_N6thrust23THRUST_200600_302600_NS6detail15normal_iteratorINS9_10device_ptrIxEEEEPS5_jNS1_19radix_merge_compareILb0ELb1ExNS0_19identity_decomposerEEEEE10hipError_tT0_T1_T2_jT3_P12ihipStream_tbPNSt15iterator_traitsISK_E10value_typeEPNSQ_ISL_E10value_typeEPSM_NS1_7vsmem_tEENKUlT_SK_SL_SM_E_clIPxSE_SF_SF_EESJ_SZ_SK_SL_SM_EUlSZ_E_NS1_11comp_targetILNS1_3genE3ELNS1_11target_archE908ELNS1_3gpuE7ELNS1_3repE0EEENS1_48merge_mergepath_partition_config_static_selectorELNS0_4arch9wavefront6targetE1EEEvSL_: ; @_ZN7rocprim17ROCPRIM_400000_NS6detail17trampoline_kernelINS0_14default_configENS1_38merge_sort_block_merge_config_selectorIxNS0_10empty_typeEEEZZNS1_27merge_sort_block_merge_implIS3_N6thrust23THRUST_200600_302600_NS6detail15normal_iteratorINS9_10device_ptrIxEEEEPS5_jNS1_19radix_merge_compareILb0ELb1ExNS0_19identity_decomposerEEEEE10hipError_tT0_T1_T2_jT3_P12ihipStream_tbPNSt15iterator_traitsISK_E10value_typeEPNSQ_ISL_E10value_typeEPSM_NS1_7vsmem_tEENKUlT_SK_SL_SM_E_clIPxSE_SF_SF_EESJ_SZ_SK_SL_SM_EUlSZ_E_NS1_11comp_targetILNS1_3genE3ELNS1_11target_archE908ELNS1_3gpuE7ELNS1_3repE0EEENS1_48merge_mergepath_partition_config_static_selectorELNS0_4arch9wavefront6targetE1EEEvSL_
; %bb.0:
	.section	.rodata,"a",@progbits
	.p2align	6, 0x0
	.amdhsa_kernel _ZN7rocprim17ROCPRIM_400000_NS6detail17trampoline_kernelINS0_14default_configENS1_38merge_sort_block_merge_config_selectorIxNS0_10empty_typeEEEZZNS1_27merge_sort_block_merge_implIS3_N6thrust23THRUST_200600_302600_NS6detail15normal_iteratorINS9_10device_ptrIxEEEEPS5_jNS1_19radix_merge_compareILb0ELb1ExNS0_19identity_decomposerEEEEE10hipError_tT0_T1_T2_jT3_P12ihipStream_tbPNSt15iterator_traitsISK_E10value_typeEPNSQ_ISL_E10value_typeEPSM_NS1_7vsmem_tEENKUlT_SK_SL_SM_E_clIPxSE_SF_SF_EESJ_SZ_SK_SL_SM_EUlSZ_E_NS1_11comp_targetILNS1_3genE3ELNS1_11target_archE908ELNS1_3gpuE7ELNS1_3repE0EEENS1_48merge_mergepath_partition_config_static_selectorELNS0_4arch9wavefront6targetE1EEEvSL_
		.amdhsa_group_segment_fixed_size 0
		.amdhsa_private_segment_fixed_size 0
		.amdhsa_kernarg_size 40
		.amdhsa_user_sgpr_count 2
		.amdhsa_user_sgpr_dispatch_ptr 0
		.amdhsa_user_sgpr_queue_ptr 0
		.amdhsa_user_sgpr_kernarg_segment_ptr 1
		.amdhsa_user_sgpr_dispatch_id 0
		.amdhsa_user_sgpr_kernarg_preload_length 0
		.amdhsa_user_sgpr_kernarg_preload_offset 0
		.amdhsa_user_sgpr_private_segment_size 0
		.amdhsa_uses_dynamic_stack 0
		.amdhsa_enable_private_segment 0
		.amdhsa_system_sgpr_workgroup_id_x 1
		.amdhsa_system_sgpr_workgroup_id_y 0
		.amdhsa_system_sgpr_workgroup_id_z 0
		.amdhsa_system_sgpr_workgroup_info 0
		.amdhsa_system_vgpr_workitem_id 0
		.amdhsa_next_free_vgpr 1
		.amdhsa_next_free_sgpr 0
		.amdhsa_accum_offset 4
		.amdhsa_reserve_vcc 0
		.amdhsa_float_round_mode_32 0
		.amdhsa_float_round_mode_16_64 0
		.amdhsa_float_denorm_mode_32 3
		.amdhsa_float_denorm_mode_16_64 3
		.amdhsa_dx10_clamp 1
		.amdhsa_ieee_mode 1
		.amdhsa_fp16_overflow 0
		.amdhsa_tg_split 0
		.amdhsa_exception_fp_ieee_invalid_op 0
		.amdhsa_exception_fp_denorm_src 0
		.amdhsa_exception_fp_ieee_div_zero 0
		.amdhsa_exception_fp_ieee_overflow 0
		.amdhsa_exception_fp_ieee_underflow 0
		.amdhsa_exception_fp_ieee_inexact 0
		.amdhsa_exception_int_div_zero 0
	.end_amdhsa_kernel
	.section	.text._ZN7rocprim17ROCPRIM_400000_NS6detail17trampoline_kernelINS0_14default_configENS1_38merge_sort_block_merge_config_selectorIxNS0_10empty_typeEEEZZNS1_27merge_sort_block_merge_implIS3_N6thrust23THRUST_200600_302600_NS6detail15normal_iteratorINS9_10device_ptrIxEEEEPS5_jNS1_19radix_merge_compareILb0ELb1ExNS0_19identity_decomposerEEEEE10hipError_tT0_T1_T2_jT3_P12ihipStream_tbPNSt15iterator_traitsISK_E10value_typeEPNSQ_ISL_E10value_typeEPSM_NS1_7vsmem_tEENKUlT_SK_SL_SM_E_clIPxSE_SF_SF_EESJ_SZ_SK_SL_SM_EUlSZ_E_NS1_11comp_targetILNS1_3genE3ELNS1_11target_archE908ELNS1_3gpuE7ELNS1_3repE0EEENS1_48merge_mergepath_partition_config_static_selectorELNS0_4arch9wavefront6targetE1EEEvSL_,"axG",@progbits,_ZN7rocprim17ROCPRIM_400000_NS6detail17trampoline_kernelINS0_14default_configENS1_38merge_sort_block_merge_config_selectorIxNS0_10empty_typeEEEZZNS1_27merge_sort_block_merge_implIS3_N6thrust23THRUST_200600_302600_NS6detail15normal_iteratorINS9_10device_ptrIxEEEEPS5_jNS1_19radix_merge_compareILb0ELb1ExNS0_19identity_decomposerEEEEE10hipError_tT0_T1_T2_jT3_P12ihipStream_tbPNSt15iterator_traitsISK_E10value_typeEPNSQ_ISL_E10value_typeEPSM_NS1_7vsmem_tEENKUlT_SK_SL_SM_E_clIPxSE_SF_SF_EESJ_SZ_SK_SL_SM_EUlSZ_E_NS1_11comp_targetILNS1_3genE3ELNS1_11target_archE908ELNS1_3gpuE7ELNS1_3repE0EEENS1_48merge_mergepath_partition_config_static_selectorELNS0_4arch9wavefront6targetE1EEEvSL_,comdat
.Lfunc_end1471:
	.size	_ZN7rocprim17ROCPRIM_400000_NS6detail17trampoline_kernelINS0_14default_configENS1_38merge_sort_block_merge_config_selectorIxNS0_10empty_typeEEEZZNS1_27merge_sort_block_merge_implIS3_N6thrust23THRUST_200600_302600_NS6detail15normal_iteratorINS9_10device_ptrIxEEEEPS5_jNS1_19radix_merge_compareILb0ELb1ExNS0_19identity_decomposerEEEEE10hipError_tT0_T1_T2_jT3_P12ihipStream_tbPNSt15iterator_traitsISK_E10value_typeEPNSQ_ISL_E10value_typeEPSM_NS1_7vsmem_tEENKUlT_SK_SL_SM_E_clIPxSE_SF_SF_EESJ_SZ_SK_SL_SM_EUlSZ_E_NS1_11comp_targetILNS1_3genE3ELNS1_11target_archE908ELNS1_3gpuE7ELNS1_3repE0EEENS1_48merge_mergepath_partition_config_static_selectorELNS0_4arch9wavefront6targetE1EEEvSL_, .Lfunc_end1471-_ZN7rocprim17ROCPRIM_400000_NS6detail17trampoline_kernelINS0_14default_configENS1_38merge_sort_block_merge_config_selectorIxNS0_10empty_typeEEEZZNS1_27merge_sort_block_merge_implIS3_N6thrust23THRUST_200600_302600_NS6detail15normal_iteratorINS9_10device_ptrIxEEEEPS5_jNS1_19radix_merge_compareILb0ELb1ExNS0_19identity_decomposerEEEEE10hipError_tT0_T1_T2_jT3_P12ihipStream_tbPNSt15iterator_traitsISK_E10value_typeEPNSQ_ISL_E10value_typeEPSM_NS1_7vsmem_tEENKUlT_SK_SL_SM_E_clIPxSE_SF_SF_EESJ_SZ_SK_SL_SM_EUlSZ_E_NS1_11comp_targetILNS1_3genE3ELNS1_11target_archE908ELNS1_3gpuE7ELNS1_3repE0EEENS1_48merge_mergepath_partition_config_static_selectorELNS0_4arch9wavefront6targetE1EEEvSL_
                                        ; -- End function
	.section	.AMDGPU.csdata,"",@progbits
; Kernel info:
; codeLenInByte = 0
; NumSgprs: 6
; NumVgprs: 0
; NumAgprs: 0
; TotalNumVgprs: 0
; ScratchSize: 0
; MemoryBound: 0
; FloatMode: 240
; IeeeMode: 1
; LDSByteSize: 0 bytes/workgroup (compile time only)
; SGPRBlocks: 0
; VGPRBlocks: 0
; NumSGPRsForWavesPerEU: 6
; NumVGPRsForWavesPerEU: 1
; AccumOffset: 4
; Occupancy: 8
; WaveLimiterHint : 0
; COMPUTE_PGM_RSRC2:SCRATCH_EN: 0
; COMPUTE_PGM_RSRC2:USER_SGPR: 2
; COMPUTE_PGM_RSRC2:TRAP_HANDLER: 0
; COMPUTE_PGM_RSRC2:TGID_X_EN: 1
; COMPUTE_PGM_RSRC2:TGID_Y_EN: 0
; COMPUTE_PGM_RSRC2:TGID_Z_EN: 0
; COMPUTE_PGM_RSRC2:TIDIG_COMP_CNT: 0
; COMPUTE_PGM_RSRC3_GFX90A:ACCUM_OFFSET: 0
; COMPUTE_PGM_RSRC3_GFX90A:TG_SPLIT: 0
	.section	.text._ZN7rocprim17ROCPRIM_400000_NS6detail17trampoline_kernelINS0_14default_configENS1_38merge_sort_block_merge_config_selectorIxNS0_10empty_typeEEEZZNS1_27merge_sort_block_merge_implIS3_N6thrust23THRUST_200600_302600_NS6detail15normal_iteratorINS9_10device_ptrIxEEEEPS5_jNS1_19radix_merge_compareILb0ELb1ExNS0_19identity_decomposerEEEEE10hipError_tT0_T1_T2_jT3_P12ihipStream_tbPNSt15iterator_traitsISK_E10value_typeEPNSQ_ISL_E10value_typeEPSM_NS1_7vsmem_tEENKUlT_SK_SL_SM_E_clIPxSE_SF_SF_EESJ_SZ_SK_SL_SM_EUlSZ_E_NS1_11comp_targetILNS1_3genE2ELNS1_11target_archE906ELNS1_3gpuE6ELNS1_3repE0EEENS1_48merge_mergepath_partition_config_static_selectorELNS0_4arch9wavefront6targetE1EEEvSL_,"axG",@progbits,_ZN7rocprim17ROCPRIM_400000_NS6detail17trampoline_kernelINS0_14default_configENS1_38merge_sort_block_merge_config_selectorIxNS0_10empty_typeEEEZZNS1_27merge_sort_block_merge_implIS3_N6thrust23THRUST_200600_302600_NS6detail15normal_iteratorINS9_10device_ptrIxEEEEPS5_jNS1_19radix_merge_compareILb0ELb1ExNS0_19identity_decomposerEEEEE10hipError_tT0_T1_T2_jT3_P12ihipStream_tbPNSt15iterator_traitsISK_E10value_typeEPNSQ_ISL_E10value_typeEPSM_NS1_7vsmem_tEENKUlT_SK_SL_SM_E_clIPxSE_SF_SF_EESJ_SZ_SK_SL_SM_EUlSZ_E_NS1_11comp_targetILNS1_3genE2ELNS1_11target_archE906ELNS1_3gpuE6ELNS1_3repE0EEENS1_48merge_mergepath_partition_config_static_selectorELNS0_4arch9wavefront6targetE1EEEvSL_,comdat
	.protected	_ZN7rocprim17ROCPRIM_400000_NS6detail17trampoline_kernelINS0_14default_configENS1_38merge_sort_block_merge_config_selectorIxNS0_10empty_typeEEEZZNS1_27merge_sort_block_merge_implIS3_N6thrust23THRUST_200600_302600_NS6detail15normal_iteratorINS9_10device_ptrIxEEEEPS5_jNS1_19radix_merge_compareILb0ELb1ExNS0_19identity_decomposerEEEEE10hipError_tT0_T1_T2_jT3_P12ihipStream_tbPNSt15iterator_traitsISK_E10value_typeEPNSQ_ISL_E10value_typeEPSM_NS1_7vsmem_tEENKUlT_SK_SL_SM_E_clIPxSE_SF_SF_EESJ_SZ_SK_SL_SM_EUlSZ_E_NS1_11comp_targetILNS1_3genE2ELNS1_11target_archE906ELNS1_3gpuE6ELNS1_3repE0EEENS1_48merge_mergepath_partition_config_static_selectorELNS0_4arch9wavefront6targetE1EEEvSL_ ; -- Begin function _ZN7rocprim17ROCPRIM_400000_NS6detail17trampoline_kernelINS0_14default_configENS1_38merge_sort_block_merge_config_selectorIxNS0_10empty_typeEEEZZNS1_27merge_sort_block_merge_implIS3_N6thrust23THRUST_200600_302600_NS6detail15normal_iteratorINS9_10device_ptrIxEEEEPS5_jNS1_19radix_merge_compareILb0ELb1ExNS0_19identity_decomposerEEEEE10hipError_tT0_T1_T2_jT3_P12ihipStream_tbPNSt15iterator_traitsISK_E10value_typeEPNSQ_ISL_E10value_typeEPSM_NS1_7vsmem_tEENKUlT_SK_SL_SM_E_clIPxSE_SF_SF_EESJ_SZ_SK_SL_SM_EUlSZ_E_NS1_11comp_targetILNS1_3genE2ELNS1_11target_archE906ELNS1_3gpuE6ELNS1_3repE0EEENS1_48merge_mergepath_partition_config_static_selectorELNS0_4arch9wavefront6targetE1EEEvSL_
	.globl	_ZN7rocprim17ROCPRIM_400000_NS6detail17trampoline_kernelINS0_14default_configENS1_38merge_sort_block_merge_config_selectorIxNS0_10empty_typeEEEZZNS1_27merge_sort_block_merge_implIS3_N6thrust23THRUST_200600_302600_NS6detail15normal_iteratorINS9_10device_ptrIxEEEEPS5_jNS1_19radix_merge_compareILb0ELb1ExNS0_19identity_decomposerEEEEE10hipError_tT0_T1_T2_jT3_P12ihipStream_tbPNSt15iterator_traitsISK_E10value_typeEPNSQ_ISL_E10value_typeEPSM_NS1_7vsmem_tEENKUlT_SK_SL_SM_E_clIPxSE_SF_SF_EESJ_SZ_SK_SL_SM_EUlSZ_E_NS1_11comp_targetILNS1_3genE2ELNS1_11target_archE906ELNS1_3gpuE6ELNS1_3repE0EEENS1_48merge_mergepath_partition_config_static_selectorELNS0_4arch9wavefront6targetE1EEEvSL_
	.p2align	8
	.type	_ZN7rocprim17ROCPRIM_400000_NS6detail17trampoline_kernelINS0_14default_configENS1_38merge_sort_block_merge_config_selectorIxNS0_10empty_typeEEEZZNS1_27merge_sort_block_merge_implIS3_N6thrust23THRUST_200600_302600_NS6detail15normal_iteratorINS9_10device_ptrIxEEEEPS5_jNS1_19radix_merge_compareILb0ELb1ExNS0_19identity_decomposerEEEEE10hipError_tT0_T1_T2_jT3_P12ihipStream_tbPNSt15iterator_traitsISK_E10value_typeEPNSQ_ISL_E10value_typeEPSM_NS1_7vsmem_tEENKUlT_SK_SL_SM_E_clIPxSE_SF_SF_EESJ_SZ_SK_SL_SM_EUlSZ_E_NS1_11comp_targetILNS1_3genE2ELNS1_11target_archE906ELNS1_3gpuE6ELNS1_3repE0EEENS1_48merge_mergepath_partition_config_static_selectorELNS0_4arch9wavefront6targetE1EEEvSL_,@function
_ZN7rocprim17ROCPRIM_400000_NS6detail17trampoline_kernelINS0_14default_configENS1_38merge_sort_block_merge_config_selectorIxNS0_10empty_typeEEEZZNS1_27merge_sort_block_merge_implIS3_N6thrust23THRUST_200600_302600_NS6detail15normal_iteratorINS9_10device_ptrIxEEEEPS5_jNS1_19radix_merge_compareILb0ELb1ExNS0_19identity_decomposerEEEEE10hipError_tT0_T1_T2_jT3_P12ihipStream_tbPNSt15iterator_traitsISK_E10value_typeEPNSQ_ISL_E10value_typeEPSM_NS1_7vsmem_tEENKUlT_SK_SL_SM_E_clIPxSE_SF_SF_EESJ_SZ_SK_SL_SM_EUlSZ_E_NS1_11comp_targetILNS1_3genE2ELNS1_11target_archE906ELNS1_3gpuE6ELNS1_3repE0EEENS1_48merge_mergepath_partition_config_static_selectorELNS0_4arch9wavefront6targetE1EEEvSL_: ; @_ZN7rocprim17ROCPRIM_400000_NS6detail17trampoline_kernelINS0_14default_configENS1_38merge_sort_block_merge_config_selectorIxNS0_10empty_typeEEEZZNS1_27merge_sort_block_merge_implIS3_N6thrust23THRUST_200600_302600_NS6detail15normal_iteratorINS9_10device_ptrIxEEEEPS5_jNS1_19radix_merge_compareILb0ELb1ExNS0_19identity_decomposerEEEEE10hipError_tT0_T1_T2_jT3_P12ihipStream_tbPNSt15iterator_traitsISK_E10value_typeEPNSQ_ISL_E10value_typeEPSM_NS1_7vsmem_tEENKUlT_SK_SL_SM_E_clIPxSE_SF_SF_EESJ_SZ_SK_SL_SM_EUlSZ_E_NS1_11comp_targetILNS1_3genE2ELNS1_11target_archE906ELNS1_3gpuE6ELNS1_3repE0EEENS1_48merge_mergepath_partition_config_static_selectorELNS0_4arch9wavefront6targetE1EEEvSL_
; %bb.0:
	.section	.rodata,"a",@progbits
	.p2align	6, 0x0
	.amdhsa_kernel _ZN7rocprim17ROCPRIM_400000_NS6detail17trampoline_kernelINS0_14default_configENS1_38merge_sort_block_merge_config_selectorIxNS0_10empty_typeEEEZZNS1_27merge_sort_block_merge_implIS3_N6thrust23THRUST_200600_302600_NS6detail15normal_iteratorINS9_10device_ptrIxEEEEPS5_jNS1_19radix_merge_compareILb0ELb1ExNS0_19identity_decomposerEEEEE10hipError_tT0_T1_T2_jT3_P12ihipStream_tbPNSt15iterator_traitsISK_E10value_typeEPNSQ_ISL_E10value_typeEPSM_NS1_7vsmem_tEENKUlT_SK_SL_SM_E_clIPxSE_SF_SF_EESJ_SZ_SK_SL_SM_EUlSZ_E_NS1_11comp_targetILNS1_3genE2ELNS1_11target_archE906ELNS1_3gpuE6ELNS1_3repE0EEENS1_48merge_mergepath_partition_config_static_selectorELNS0_4arch9wavefront6targetE1EEEvSL_
		.amdhsa_group_segment_fixed_size 0
		.amdhsa_private_segment_fixed_size 0
		.amdhsa_kernarg_size 40
		.amdhsa_user_sgpr_count 2
		.amdhsa_user_sgpr_dispatch_ptr 0
		.amdhsa_user_sgpr_queue_ptr 0
		.amdhsa_user_sgpr_kernarg_segment_ptr 1
		.amdhsa_user_sgpr_dispatch_id 0
		.amdhsa_user_sgpr_kernarg_preload_length 0
		.amdhsa_user_sgpr_kernarg_preload_offset 0
		.amdhsa_user_sgpr_private_segment_size 0
		.amdhsa_uses_dynamic_stack 0
		.amdhsa_enable_private_segment 0
		.amdhsa_system_sgpr_workgroup_id_x 1
		.amdhsa_system_sgpr_workgroup_id_y 0
		.amdhsa_system_sgpr_workgroup_id_z 0
		.amdhsa_system_sgpr_workgroup_info 0
		.amdhsa_system_vgpr_workitem_id 0
		.amdhsa_next_free_vgpr 1
		.amdhsa_next_free_sgpr 0
		.amdhsa_accum_offset 4
		.amdhsa_reserve_vcc 0
		.amdhsa_float_round_mode_32 0
		.amdhsa_float_round_mode_16_64 0
		.amdhsa_float_denorm_mode_32 3
		.amdhsa_float_denorm_mode_16_64 3
		.amdhsa_dx10_clamp 1
		.amdhsa_ieee_mode 1
		.amdhsa_fp16_overflow 0
		.amdhsa_tg_split 0
		.amdhsa_exception_fp_ieee_invalid_op 0
		.amdhsa_exception_fp_denorm_src 0
		.amdhsa_exception_fp_ieee_div_zero 0
		.amdhsa_exception_fp_ieee_overflow 0
		.amdhsa_exception_fp_ieee_underflow 0
		.amdhsa_exception_fp_ieee_inexact 0
		.amdhsa_exception_int_div_zero 0
	.end_amdhsa_kernel
	.section	.text._ZN7rocprim17ROCPRIM_400000_NS6detail17trampoline_kernelINS0_14default_configENS1_38merge_sort_block_merge_config_selectorIxNS0_10empty_typeEEEZZNS1_27merge_sort_block_merge_implIS3_N6thrust23THRUST_200600_302600_NS6detail15normal_iteratorINS9_10device_ptrIxEEEEPS5_jNS1_19radix_merge_compareILb0ELb1ExNS0_19identity_decomposerEEEEE10hipError_tT0_T1_T2_jT3_P12ihipStream_tbPNSt15iterator_traitsISK_E10value_typeEPNSQ_ISL_E10value_typeEPSM_NS1_7vsmem_tEENKUlT_SK_SL_SM_E_clIPxSE_SF_SF_EESJ_SZ_SK_SL_SM_EUlSZ_E_NS1_11comp_targetILNS1_3genE2ELNS1_11target_archE906ELNS1_3gpuE6ELNS1_3repE0EEENS1_48merge_mergepath_partition_config_static_selectorELNS0_4arch9wavefront6targetE1EEEvSL_,"axG",@progbits,_ZN7rocprim17ROCPRIM_400000_NS6detail17trampoline_kernelINS0_14default_configENS1_38merge_sort_block_merge_config_selectorIxNS0_10empty_typeEEEZZNS1_27merge_sort_block_merge_implIS3_N6thrust23THRUST_200600_302600_NS6detail15normal_iteratorINS9_10device_ptrIxEEEEPS5_jNS1_19radix_merge_compareILb0ELb1ExNS0_19identity_decomposerEEEEE10hipError_tT0_T1_T2_jT3_P12ihipStream_tbPNSt15iterator_traitsISK_E10value_typeEPNSQ_ISL_E10value_typeEPSM_NS1_7vsmem_tEENKUlT_SK_SL_SM_E_clIPxSE_SF_SF_EESJ_SZ_SK_SL_SM_EUlSZ_E_NS1_11comp_targetILNS1_3genE2ELNS1_11target_archE906ELNS1_3gpuE6ELNS1_3repE0EEENS1_48merge_mergepath_partition_config_static_selectorELNS0_4arch9wavefront6targetE1EEEvSL_,comdat
.Lfunc_end1472:
	.size	_ZN7rocprim17ROCPRIM_400000_NS6detail17trampoline_kernelINS0_14default_configENS1_38merge_sort_block_merge_config_selectorIxNS0_10empty_typeEEEZZNS1_27merge_sort_block_merge_implIS3_N6thrust23THRUST_200600_302600_NS6detail15normal_iteratorINS9_10device_ptrIxEEEEPS5_jNS1_19radix_merge_compareILb0ELb1ExNS0_19identity_decomposerEEEEE10hipError_tT0_T1_T2_jT3_P12ihipStream_tbPNSt15iterator_traitsISK_E10value_typeEPNSQ_ISL_E10value_typeEPSM_NS1_7vsmem_tEENKUlT_SK_SL_SM_E_clIPxSE_SF_SF_EESJ_SZ_SK_SL_SM_EUlSZ_E_NS1_11comp_targetILNS1_3genE2ELNS1_11target_archE906ELNS1_3gpuE6ELNS1_3repE0EEENS1_48merge_mergepath_partition_config_static_selectorELNS0_4arch9wavefront6targetE1EEEvSL_, .Lfunc_end1472-_ZN7rocprim17ROCPRIM_400000_NS6detail17trampoline_kernelINS0_14default_configENS1_38merge_sort_block_merge_config_selectorIxNS0_10empty_typeEEEZZNS1_27merge_sort_block_merge_implIS3_N6thrust23THRUST_200600_302600_NS6detail15normal_iteratorINS9_10device_ptrIxEEEEPS5_jNS1_19radix_merge_compareILb0ELb1ExNS0_19identity_decomposerEEEEE10hipError_tT0_T1_T2_jT3_P12ihipStream_tbPNSt15iterator_traitsISK_E10value_typeEPNSQ_ISL_E10value_typeEPSM_NS1_7vsmem_tEENKUlT_SK_SL_SM_E_clIPxSE_SF_SF_EESJ_SZ_SK_SL_SM_EUlSZ_E_NS1_11comp_targetILNS1_3genE2ELNS1_11target_archE906ELNS1_3gpuE6ELNS1_3repE0EEENS1_48merge_mergepath_partition_config_static_selectorELNS0_4arch9wavefront6targetE1EEEvSL_
                                        ; -- End function
	.section	.AMDGPU.csdata,"",@progbits
; Kernel info:
; codeLenInByte = 0
; NumSgprs: 6
; NumVgprs: 0
; NumAgprs: 0
; TotalNumVgprs: 0
; ScratchSize: 0
; MemoryBound: 0
; FloatMode: 240
; IeeeMode: 1
; LDSByteSize: 0 bytes/workgroup (compile time only)
; SGPRBlocks: 0
; VGPRBlocks: 0
; NumSGPRsForWavesPerEU: 6
; NumVGPRsForWavesPerEU: 1
; AccumOffset: 4
; Occupancy: 8
; WaveLimiterHint : 0
; COMPUTE_PGM_RSRC2:SCRATCH_EN: 0
; COMPUTE_PGM_RSRC2:USER_SGPR: 2
; COMPUTE_PGM_RSRC2:TRAP_HANDLER: 0
; COMPUTE_PGM_RSRC2:TGID_X_EN: 1
; COMPUTE_PGM_RSRC2:TGID_Y_EN: 0
; COMPUTE_PGM_RSRC2:TGID_Z_EN: 0
; COMPUTE_PGM_RSRC2:TIDIG_COMP_CNT: 0
; COMPUTE_PGM_RSRC3_GFX90A:ACCUM_OFFSET: 0
; COMPUTE_PGM_RSRC3_GFX90A:TG_SPLIT: 0
	.section	.text._ZN7rocprim17ROCPRIM_400000_NS6detail17trampoline_kernelINS0_14default_configENS1_38merge_sort_block_merge_config_selectorIxNS0_10empty_typeEEEZZNS1_27merge_sort_block_merge_implIS3_N6thrust23THRUST_200600_302600_NS6detail15normal_iteratorINS9_10device_ptrIxEEEEPS5_jNS1_19radix_merge_compareILb0ELb1ExNS0_19identity_decomposerEEEEE10hipError_tT0_T1_T2_jT3_P12ihipStream_tbPNSt15iterator_traitsISK_E10value_typeEPNSQ_ISL_E10value_typeEPSM_NS1_7vsmem_tEENKUlT_SK_SL_SM_E_clIPxSE_SF_SF_EESJ_SZ_SK_SL_SM_EUlSZ_E_NS1_11comp_targetILNS1_3genE9ELNS1_11target_archE1100ELNS1_3gpuE3ELNS1_3repE0EEENS1_48merge_mergepath_partition_config_static_selectorELNS0_4arch9wavefront6targetE1EEEvSL_,"axG",@progbits,_ZN7rocprim17ROCPRIM_400000_NS6detail17trampoline_kernelINS0_14default_configENS1_38merge_sort_block_merge_config_selectorIxNS0_10empty_typeEEEZZNS1_27merge_sort_block_merge_implIS3_N6thrust23THRUST_200600_302600_NS6detail15normal_iteratorINS9_10device_ptrIxEEEEPS5_jNS1_19radix_merge_compareILb0ELb1ExNS0_19identity_decomposerEEEEE10hipError_tT0_T1_T2_jT3_P12ihipStream_tbPNSt15iterator_traitsISK_E10value_typeEPNSQ_ISL_E10value_typeEPSM_NS1_7vsmem_tEENKUlT_SK_SL_SM_E_clIPxSE_SF_SF_EESJ_SZ_SK_SL_SM_EUlSZ_E_NS1_11comp_targetILNS1_3genE9ELNS1_11target_archE1100ELNS1_3gpuE3ELNS1_3repE0EEENS1_48merge_mergepath_partition_config_static_selectorELNS0_4arch9wavefront6targetE1EEEvSL_,comdat
	.protected	_ZN7rocprim17ROCPRIM_400000_NS6detail17trampoline_kernelINS0_14default_configENS1_38merge_sort_block_merge_config_selectorIxNS0_10empty_typeEEEZZNS1_27merge_sort_block_merge_implIS3_N6thrust23THRUST_200600_302600_NS6detail15normal_iteratorINS9_10device_ptrIxEEEEPS5_jNS1_19radix_merge_compareILb0ELb1ExNS0_19identity_decomposerEEEEE10hipError_tT0_T1_T2_jT3_P12ihipStream_tbPNSt15iterator_traitsISK_E10value_typeEPNSQ_ISL_E10value_typeEPSM_NS1_7vsmem_tEENKUlT_SK_SL_SM_E_clIPxSE_SF_SF_EESJ_SZ_SK_SL_SM_EUlSZ_E_NS1_11comp_targetILNS1_3genE9ELNS1_11target_archE1100ELNS1_3gpuE3ELNS1_3repE0EEENS1_48merge_mergepath_partition_config_static_selectorELNS0_4arch9wavefront6targetE1EEEvSL_ ; -- Begin function _ZN7rocprim17ROCPRIM_400000_NS6detail17trampoline_kernelINS0_14default_configENS1_38merge_sort_block_merge_config_selectorIxNS0_10empty_typeEEEZZNS1_27merge_sort_block_merge_implIS3_N6thrust23THRUST_200600_302600_NS6detail15normal_iteratorINS9_10device_ptrIxEEEEPS5_jNS1_19radix_merge_compareILb0ELb1ExNS0_19identity_decomposerEEEEE10hipError_tT0_T1_T2_jT3_P12ihipStream_tbPNSt15iterator_traitsISK_E10value_typeEPNSQ_ISL_E10value_typeEPSM_NS1_7vsmem_tEENKUlT_SK_SL_SM_E_clIPxSE_SF_SF_EESJ_SZ_SK_SL_SM_EUlSZ_E_NS1_11comp_targetILNS1_3genE9ELNS1_11target_archE1100ELNS1_3gpuE3ELNS1_3repE0EEENS1_48merge_mergepath_partition_config_static_selectorELNS0_4arch9wavefront6targetE1EEEvSL_
	.globl	_ZN7rocprim17ROCPRIM_400000_NS6detail17trampoline_kernelINS0_14default_configENS1_38merge_sort_block_merge_config_selectorIxNS0_10empty_typeEEEZZNS1_27merge_sort_block_merge_implIS3_N6thrust23THRUST_200600_302600_NS6detail15normal_iteratorINS9_10device_ptrIxEEEEPS5_jNS1_19radix_merge_compareILb0ELb1ExNS0_19identity_decomposerEEEEE10hipError_tT0_T1_T2_jT3_P12ihipStream_tbPNSt15iterator_traitsISK_E10value_typeEPNSQ_ISL_E10value_typeEPSM_NS1_7vsmem_tEENKUlT_SK_SL_SM_E_clIPxSE_SF_SF_EESJ_SZ_SK_SL_SM_EUlSZ_E_NS1_11comp_targetILNS1_3genE9ELNS1_11target_archE1100ELNS1_3gpuE3ELNS1_3repE0EEENS1_48merge_mergepath_partition_config_static_selectorELNS0_4arch9wavefront6targetE1EEEvSL_
	.p2align	8
	.type	_ZN7rocprim17ROCPRIM_400000_NS6detail17trampoline_kernelINS0_14default_configENS1_38merge_sort_block_merge_config_selectorIxNS0_10empty_typeEEEZZNS1_27merge_sort_block_merge_implIS3_N6thrust23THRUST_200600_302600_NS6detail15normal_iteratorINS9_10device_ptrIxEEEEPS5_jNS1_19radix_merge_compareILb0ELb1ExNS0_19identity_decomposerEEEEE10hipError_tT0_T1_T2_jT3_P12ihipStream_tbPNSt15iterator_traitsISK_E10value_typeEPNSQ_ISL_E10value_typeEPSM_NS1_7vsmem_tEENKUlT_SK_SL_SM_E_clIPxSE_SF_SF_EESJ_SZ_SK_SL_SM_EUlSZ_E_NS1_11comp_targetILNS1_3genE9ELNS1_11target_archE1100ELNS1_3gpuE3ELNS1_3repE0EEENS1_48merge_mergepath_partition_config_static_selectorELNS0_4arch9wavefront6targetE1EEEvSL_,@function
_ZN7rocprim17ROCPRIM_400000_NS6detail17trampoline_kernelINS0_14default_configENS1_38merge_sort_block_merge_config_selectorIxNS0_10empty_typeEEEZZNS1_27merge_sort_block_merge_implIS3_N6thrust23THRUST_200600_302600_NS6detail15normal_iteratorINS9_10device_ptrIxEEEEPS5_jNS1_19radix_merge_compareILb0ELb1ExNS0_19identity_decomposerEEEEE10hipError_tT0_T1_T2_jT3_P12ihipStream_tbPNSt15iterator_traitsISK_E10value_typeEPNSQ_ISL_E10value_typeEPSM_NS1_7vsmem_tEENKUlT_SK_SL_SM_E_clIPxSE_SF_SF_EESJ_SZ_SK_SL_SM_EUlSZ_E_NS1_11comp_targetILNS1_3genE9ELNS1_11target_archE1100ELNS1_3gpuE3ELNS1_3repE0EEENS1_48merge_mergepath_partition_config_static_selectorELNS0_4arch9wavefront6targetE1EEEvSL_: ; @_ZN7rocprim17ROCPRIM_400000_NS6detail17trampoline_kernelINS0_14default_configENS1_38merge_sort_block_merge_config_selectorIxNS0_10empty_typeEEEZZNS1_27merge_sort_block_merge_implIS3_N6thrust23THRUST_200600_302600_NS6detail15normal_iteratorINS9_10device_ptrIxEEEEPS5_jNS1_19radix_merge_compareILb0ELb1ExNS0_19identity_decomposerEEEEE10hipError_tT0_T1_T2_jT3_P12ihipStream_tbPNSt15iterator_traitsISK_E10value_typeEPNSQ_ISL_E10value_typeEPSM_NS1_7vsmem_tEENKUlT_SK_SL_SM_E_clIPxSE_SF_SF_EESJ_SZ_SK_SL_SM_EUlSZ_E_NS1_11comp_targetILNS1_3genE9ELNS1_11target_archE1100ELNS1_3gpuE3ELNS1_3repE0EEENS1_48merge_mergepath_partition_config_static_selectorELNS0_4arch9wavefront6targetE1EEEvSL_
; %bb.0:
	.section	.rodata,"a",@progbits
	.p2align	6, 0x0
	.amdhsa_kernel _ZN7rocprim17ROCPRIM_400000_NS6detail17trampoline_kernelINS0_14default_configENS1_38merge_sort_block_merge_config_selectorIxNS0_10empty_typeEEEZZNS1_27merge_sort_block_merge_implIS3_N6thrust23THRUST_200600_302600_NS6detail15normal_iteratorINS9_10device_ptrIxEEEEPS5_jNS1_19radix_merge_compareILb0ELb1ExNS0_19identity_decomposerEEEEE10hipError_tT0_T1_T2_jT3_P12ihipStream_tbPNSt15iterator_traitsISK_E10value_typeEPNSQ_ISL_E10value_typeEPSM_NS1_7vsmem_tEENKUlT_SK_SL_SM_E_clIPxSE_SF_SF_EESJ_SZ_SK_SL_SM_EUlSZ_E_NS1_11comp_targetILNS1_3genE9ELNS1_11target_archE1100ELNS1_3gpuE3ELNS1_3repE0EEENS1_48merge_mergepath_partition_config_static_selectorELNS0_4arch9wavefront6targetE1EEEvSL_
		.amdhsa_group_segment_fixed_size 0
		.amdhsa_private_segment_fixed_size 0
		.amdhsa_kernarg_size 40
		.amdhsa_user_sgpr_count 2
		.amdhsa_user_sgpr_dispatch_ptr 0
		.amdhsa_user_sgpr_queue_ptr 0
		.amdhsa_user_sgpr_kernarg_segment_ptr 1
		.amdhsa_user_sgpr_dispatch_id 0
		.amdhsa_user_sgpr_kernarg_preload_length 0
		.amdhsa_user_sgpr_kernarg_preload_offset 0
		.amdhsa_user_sgpr_private_segment_size 0
		.amdhsa_uses_dynamic_stack 0
		.amdhsa_enable_private_segment 0
		.amdhsa_system_sgpr_workgroup_id_x 1
		.amdhsa_system_sgpr_workgroup_id_y 0
		.amdhsa_system_sgpr_workgroup_id_z 0
		.amdhsa_system_sgpr_workgroup_info 0
		.amdhsa_system_vgpr_workitem_id 0
		.amdhsa_next_free_vgpr 1
		.amdhsa_next_free_sgpr 0
		.amdhsa_accum_offset 4
		.amdhsa_reserve_vcc 0
		.amdhsa_float_round_mode_32 0
		.amdhsa_float_round_mode_16_64 0
		.amdhsa_float_denorm_mode_32 3
		.amdhsa_float_denorm_mode_16_64 3
		.amdhsa_dx10_clamp 1
		.amdhsa_ieee_mode 1
		.amdhsa_fp16_overflow 0
		.amdhsa_tg_split 0
		.amdhsa_exception_fp_ieee_invalid_op 0
		.amdhsa_exception_fp_denorm_src 0
		.amdhsa_exception_fp_ieee_div_zero 0
		.amdhsa_exception_fp_ieee_overflow 0
		.amdhsa_exception_fp_ieee_underflow 0
		.amdhsa_exception_fp_ieee_inexact 0
		.amdhsa_exception_int_div_zero 0
	.end_amdhsa_kernel
	.section	.text._ZN7rocprim17ROCPRIM_400000_NS6detail17trampoline_kernelINS0_14default_configENS1_38merge_sort_block_merge_config_selectorIxNS0_10empty_typeEEEZZNS1_27merge_sort_block_merge_implIS3_N6thrust23THRUST_200600_302600_NS6detail15normal_iteratorINS9_10device_ptrIxEEEEPS5_jNS1_19radix_merge_compareILb0ELb1ExNS0_19identity_decomposerEEEEE10hipError_tT0_T1_T2_jT3_P12ihipStream_tbPNSt15iterator_traitsISK_E10value_typeEPNSQ_ISL_E10value_typeEPSM_NS1_7vsmem_tEENKUlT_SK_SL_SM_E_clIPxSE_SF_SF_EESJ_SZ_SK_SL_SM_EUlSZ_E_NS1_11comp_targetILNS1_3genE9ELNS1_11target_archE1100ELNS1_3gpuE3ELNS1_3repE0EEENS1_48merge_mergepath_partition_config_static_selectorELNS0_4arch9wavefront6targetE1EEEvSL_,"axG",@progbits,_ZN7rocprim17ROCPRIM_400000_NS6detail17trampoline_kernelINS0_14default_configENS1_38merge_sort_block_merge_config_selectorIxNS0_10empty_typeEEEZZNS1_27merge_sort_block_merge_implIS3_N6thrust23THRUST_200600_302600_NS6detail15normal_iteratorINS9_10device_ptrIxEEEEPS5_jNS1_19radix_merge_compareILb0ELb1ExNS0_19identity_decomposerEEEEE10hipError_tT0_T1_T2_jT3_P12ihipStream_tbPNSt15iterator_traitsISK_E10value_typeEPNSQ_ISL_E10value_typeEPSM_NS1_7vsmem_tEENKUlT_SK_SL_SM_E_clIPxSE_SF_SF_EESJ_SZ_SK_SL_SM_EUlSZ_E_NS1_11comp_targetILNS1_3genE9ELNS1_11target_archE1100ELNS1_3gpuE3ELNS1_3repE0EEENS1_48merge_mergepath_partition_config_static_selectorELNS0_4arch9wavefront6targetE1EEEvSL_,comdat
.Lfunc_end1473:
	.size	_ZN7rocprim17ROCPRIM_400000_NS6detail17trampoline_kernelINS0_14default_configENS1_38merge_sort_block_merge_config_selectorIxNS0_10empty_typeEEEZZNS1_27merge_sort_block_merge_implIS3_N6thrust23THRUST_200600_302600_NS6detail15normal_iteratorINS9_10device_ptrIxEEEEPS5_jNS1_19radix_merge_compareILb0ELb1ExNS0_19identity_decomposerEEEEE10hipError_tT0_T1_T2_jT3_P12ihipStream_tbPNSt15iterator_traitsISK_E10value_typeEPNSQ_ISL_E10value_typeEPSM_NS1_7vsmem_tEENKUlT_SK_SL_SM_E_clIPxSE_SF_SF_EESJ_SZ_SK_SL_SM_EUlSZ_E_NS1_11comp_targetILNS1_3genE9ELNS1_11target_archE1100ELNS1_3gpuE3ELNS1_3repE0EEENS1_48merge_mergepath_partition_config_static_selectorELNS0_4arch9wavefront6targetE1EEEvSL_, .Lfunc_end1473-_ZN7rocprim17ROCPRIM_400000_NS6detail17trampoline_kernelINS0_14default_configENS1_38merge_sort_block_merge_config_selectorIxNS0_10empty_typeEEEZZNS1_27merge_sort_block_merge_implIS3_N6thrust23THRUST_200600_302600_NS6detail15normal_iteratorINS9_10device_ptrIxEEEEPS5_jNS1_19radix_merge_compareILb0ELb1ExNS0_19identity_decomposerEEEEE10hipError_tT0_T1_T2_jT3_P12ihipStream_tbPNSt15iterator_traitsISK_E10value_typeEPNSQ_ISL_E10value_typeEPSM_NS1_7vsmem_tEENKUlT_SK_SL_SM_E_clIPxSE_SF_SF_EESJ_SZ_SK_SL_SM_EUlSZ_E_NS1_11comp_targetILNS1_3genE9ELNS1_11target_archE1100ELNS1_3gpuE3ELNS1_3repE0EEENS1_48merge_mergepath_partition_config_static_selectorELNS0_4arch9wavefront6targetE1EEEvSL_
                                        ; -- End function
	.section	.AMDGPU.csdata,"",@progbits
; Kernel info:
; codeLenInByte = 0
; NumSgprs: 6
; NumVgprs: 0
; NumAgprs: 0
; TotalNumVgprs: 0
; ScratchSize: 0
; MemoryBound: 0
; FloatMode: 240
; IeeeMode: 1
; LDSByteSize: 0 bytes/workgroup (compile time only)
; SGPRBlocks: 0
; VGPRBlocks: 0
; NumSGPRsForWavesPerEU: 6
; NumVGPRsForWavesPerEU: 1
; AccumOffset: 4
; Occupancy: 8
; WaveLimiterHint : 0
; COMPUTE_PGM_RSRC2:SCRATCH_EN: 0
; COMPUTE_PGM_RSRC2:USER_SGPR: 2
; COMPUTE_PGM_RSRC2:TRAP_HANDLER: 0
; COMPUTE_PGM_RSRC2:TGID_X_EN: 1
; COMPUTE_PGM_RSRC2:TGID_Y_EN: 0
; COMPUTE_PGM_RSRC2:TGID_Z_EN: 0
; COMPUTE_PGM_RSRC2:TIDIG_COMP_CNT: 0
; COMPUTE_PGM_RSRC3_GFX90A:ACCUM_OFFSET: 0
; COMPUTE_PGM_RSRC3_GFX90A:TG_SPLIT: 0
	.section	.text._ZN7rocprim17ROCPRIM_400000_NS6detail17trampoline_kernelINS0_14default_configENS1_38merge_sort_block_merge_config_selectorIxNS0_10empty_typeEEEZZNS1_27merge_sort_block_merge_implIS3_N6thrust23THRUST_200600_302600_NS6detail15normal_iteratorINS9_10device_ptrIxEEEEPS5_jNS1_19radix_merge_compareILb0ELb1ExNS0_19identity_decomposerEEEEE10hipError_tT0_T1_T2_jT3_P12ihipStream_tbPNSt15iterator_traitsISK_E10value_typeEPNSQ_ISL_E10value_typeEPSM_NS1_7vsmem_tEENKUlT_SK_SL_SM_E_clIPxSE_SF_SF_EESJ_SZ_SK_SL_SM_EUlSZ_E_NS1_11comp_targetILNS1_3genE8ELNS1_11target_archE1030ELNS1_3gpuE2ELNS1_3repE0EEENS1_48merge_mergepath_partition_config_static_selectorELNS0_4arch9wavefront6targetE1EEEvSL_,"axG",@progbits,_ZN7rocprim17ROCPRIM_400000_NS6detail17trampoline_kernelINS0_14default_configENS1_38merge_sort_block_merge_config_selectorIxNS0_10empty_typeEEEZZNS1_27merge_sort_block_merge_implIS3_N6thrust23THRUST_200600_302600_NS6detail15normal_iteratorINS9_10device_ptrIxEEEEPS5_jNS1_19radix_merge_compareILb0ELb1ExNS0_19identity_decomposerEEEEE10hipError_tT0_T1_T2_jT3_P12ihipStream_tbPNSt15iterator_traitsISK_E10value_typeEPNSQ_ISL_E10value_typeEPSM_NS1_7vsmem_tEENKUlT_SK_SL_SM_E_clIPxSE_SF_SF_EESJ_SZ_SK_SL_SM_EUlSZ_E_NS1_11comp_targetILNS1_3genE8ELNS1_11target_archE1030ELNS1_3gpuE2ELNS1_3repE0EEENS1_48merge_mergepath_partition_config_static_selectorELNS0_4arch9wavefront6targetE1EEEvSL_,comdat
	.protected	_ZN7rocprim17ROCPRIM_400000_NS6detail17trampoline_kernelINS0_14default_configENS1_38merge_sort_block_merge_config_selectorIxNS0_10empty_typeEEEZZNS1_27merge_sort_block_merge_implIS3_N6thrust23THRUST_200600_302600_NS6detail15normal_iteratorINS9_10device_ptrIxEEEEPS5_jNS1_19radix_merge_compareILb0ELb1ExNS0_19identity_decomposerEEEEE10hipError_tT0_T1_T2_jT3_P12ihipStream_tbPNSt15iterator_traitsISK_E10value_typeEPNSQ_ISL_E10value_typeEPSM_NS1_7vsmem_tEENKUlT_SK_SL_SM_E_clIPxSE_SF_SF_EESJ_SZ_SK_SL_SM_EUlSZ_E_NS1_11comp_targetILNS1_3genE8ELNS1_11target_archE1030ELNS1_3gpuE2ELNS1_3repE0EEENS1_48merge_mergepath_partition_config_static_selectorELNS0_4arch9wavefront6targetE1EEEvSL_ ; -- Begin function _ZN7rocprim17ROCPRIM_400000_NS6detail17trampoline_kernelINS0_14default_configENS1_38merge_sort_block_merge_config_selectorIxNS0_10empty_typeEEEZZNS1_27merge_sort_block_merge_implIS3_N6thrust23THRUST_200600_302600_NS6detail15normal_iteratorINS9_10device_ptrIxEEEEPS5_jNS1_19radix_merge_compareILb0ELb1ExNS0_19identity_decomposerEEEEE10hipError_tT0_T1_T2_jT3_P12ihipStream_tbPNSt15iterator_traitsISK_E10value_typeEPNSQ_ISL_E10value_typeEPSM_NS1_7vsmem_tEENKUlT_SK_SL_SM_E_clIPxSE_SF_SF_EESJ_SZ_SK_SL_SM_EUlSZ_E_NS1_11comp_targetILNS1_3genE8ELNS1_11target_archE1030ELNS1_3gpuE2ELNS1_3repE0EEENS1_48merge_mergepath_partition_config_static_selectorELNS0_4arch9wavefront6targetE1EEEvSL_
	.globl	_ZN7rocprim17ROCPRIM_400000_NS6detail17trampoline_kernelINS0_14default_configENS1_38merge_sort_block_merge_config_selectorIxNS0_10empty_typeEEEZZNS1_27merge_sort_block_merge_implIS3_N6thrust23THRUST_200600_302600_NS6detail15normal_iteratorINS9_10device_ptrIxEEEEPS5_jNS1_19radix_merge_compareILb0ELb1ExNS0_19identity_decomposerEEEEE10hipError_tT0_T1_T2_jT3_P12ihipStream_tbPNSt15iterator_traitsISK_E10value_typeEPNSQ_ISL_E10value_typeEPSM_NS1_7vsmem_tEENKUlT_SK_SL_SM_E_clIPxSE_SF_SF_EESJ_SZ_SK_SL_SM_EUlSZ_E_NS1_11comp_targetILNS1_3genE8ELNS1_11target_archE1030ELNS1_3gpuE2ELNS1_3repE0EEENS1_48merge_mergepath_partition_config_static_selectorELNS0_4arch9wavefront6targetE1EEEvSL_
	.p2align	8
	.type	_ZN7rocprim17ROCPRIM_400000_NS6detail17trampoline_kernelINS0_14default_configENS1_38merge_sort_block_merge_config_selectorIxNS0_10empty_typeEEEZZNS1_27merge_sort_block_merge_implIS3_N6thrust23THRUST_200600_302600_NS6detail15normal_iteratorINS9_10device_ptrIxEEEEPS5_jNS1_19radix_merge_compareILb0ELb1ExNS0_19identity_decomposerEEEEE10hipError_tT0_T1_T2_jT3_P12ihipStream_tbPNSt15iterator_traitsISK_E10value_typeEPNSQ_ISL_E10value_typeEPSM_NS1_7vsmem_tEENKUlT_SK_SL_SM_E_clIPxSE_SF_SF_EESJ_SZ_SK_SL_SM_EUlSZ_E_NS1_11comp_targetILNS1_3genE8ELNS1_11target_archE1030ELNS1_3gpuE2ELNS1_3repE0EEENS1_48merge_mergepath_partition_config_static_selectorELNS0_4arch9wavefront6targetE1EEEvSL_,@function
_ZN7rocprim17ROCPRIM_400000_NS6detail17trampoline_kernelINS0_14default_configENS1_38merge_sort_block_merge_config_selectorIxNS0_10empty_typeEEEZZNS1_27merge_sort_block_merge_implIS3_N6thrust23THRUST_200600_302600_NS6detail15normal_iteratorINS9_10device_ptrIxEEEEPS5_jNS1_19radix_merge_compareILb0ELb1ExNS0_19identity_decomposerEEEEE10hipError_tT0_T1_T2_jT3_P12ihipStream_tbPNSt15iterator_traitsISK_E10value_typeEPNSQ_ISL_E10value_typeEPSM_NS1_7vsmem_tEENKUlT_SK_SL_SM_E_clIPxSE_SF_SF_EESJ_SZ_SK_SL_SM_EUlSZ_E_NS1_11comp_targetILNS1_3genE8ELNS1_11target_archE1030ELNS1_3gpuE2ELNS1_3repE0EEENS1_48merge_mergepath_partition_config_static_selectorELNS0_4arch9wavefront6targetE1EEEvSL_: ; @_ZN7rocprim17ROCPRIM_400000_NS6detail17trampoline_kernelINS0_14default_configENS1_38merge_sort_block_merge_config_selectorIxNS0_10empty_typeEEEZZNS1_27merge_sort_block_merge_implIS3_N6thrust23THRUST_200600_302600_NS6detail15normal_iteratorINS9_10device_ptrIxEEEEPS5_jNS1_19radix_merge_compareILb0ELb1ExNS0_19identity_decomposerEEEEE10hipError_tT0_T1_T2_jT3_P12ihipStream_tbPNSt15iterator_traitsISK_E10value_typeEPNSQ_ISL_E10value_typeEPSM_NS1_7vsmem_tEENKUlT_SK_SL_SM_E_clIPxSE_SF_SF_EESJ_SZ_SK_SL_SM_EUlSZ_E_NS1_11comp_targetILNS1_3genE8ELNS1_11target_archE1030ELNS1_3gpuE2ELNS1_3repE0EEENS1_48merge_mergepath_partition_config_static_selectorELNS0_4arch9wavefront6targetE1EEEvSL_
; %bb.0:
	.section	.rodata,"a",@progbits
	.p2align	6, 0x0
	.amdhsa_kernel _ZN7rocprim17ROCPRIM_400000_NS6detail17trampoline_kernelINS0_14default_configENS1_38merge_sort_block_merge_config_selectorIxNS0_10empty_typeEEEZZNS1_27merge_sort_block_merge_implIS3_N6thrust23THRUST_200600_302600_NS6detail15normal_iteratorINS9_10device_ptrIxEEEEPS5_jNS1_19radix_merge_compareILb0ELb1ExNS0_19identity_decomposerEEEEE10hipError_tT0_T1_T2_jT3_P12ihipStream_tbPNSt15iterator_traitsISK_E10value_typeEPNSQ_ISL_E10value_typeEPSM_NS1_7vsmem_tEENKUlT_SK_SL_SM_E_clIPxSE_SF_SF_EESJ_SZ_SK_SL_SM_EUlSZ_E_NS1_11comp_targetILNS1_3genE8ELNS1_11target_archE1030ELNS1_3gpuE2ELNS1_3repE0EEENS1_48merge_mergepath_partition_config_static_selectorELNS0_4arch9wavefront6targetE1EEEvSL_
		.amdhsa_group_segment_fixed_size 0
		.amdhsa_private_segment_fixed_size 0
		.amdhsa_kernarg_size 40
		.amdhsa_user_sgpr_count 2
		.amdhsa_user_sgpr_dispatch_ptr 0
		.amdhsa_user_sgpr_queue_ptr 0
		.amdhsa_user_sgpr_kernarg_segment_ptr 1
		.amdhsa_user_sgpr_dispatch_id 0
		.amdhsa_user_sgpr_kernarg_preload_length 0
		.amdhsa_user_sgpr_kernarg_preload_offset 0
		.amdhsa_user_sgpr_private_segment_size 0
		.amdhsa_uses_dynamic_stack 0
		.amdhsa_enable_private_segment 0
		.amdhsa_system_sgpr_workgroup_id_x 1
		.amdhsa_system_sgpr_workgroup_id_y 0
		.amdhsa_system_sgpr_workgroup_id_z 0
		.amdhsa_system_sgpr_workgroup_info 0
		.amdhsa_system_vgpr_workitem_id 0
		.amdhsa_next_free_vgpr 1
		.amdhsa_next_free_sgpr 0
		.amdhsa_accum_offset 4
		.amdhsa_reserve_vcc 0
		.amdhsa_float_round_mode_32 0
		.amdhsa_float_round_mode_16_64 0
		.amdhsa_float_denorm_mode_32 3
		.amdhsa_float_denorm_mode_16_64 3
		.amdhsa_dx10_clamp 1
		.amdhsa_ieee_mode 1
		.amdhsa_fp16_overflow 0
		.amdhsa_tg_split 0
		.amdhsa_exception_fp_ieee_invalid_op 0
		.amdhsa_exception_fp_denorm_src 0
		.amdhsa_exception_fp_ieee_div_zero 0
		.amdhsa_exception_fp_ieee_overflow 0
		.amdhsa_exception_fp_ieee_underflow 0
		.amdhsa_exception_fp_ieee_inexact 0
		.amdhsa_exception_int_div_zero 0
	.end_amdhsa_kernel
	.section	.text._ZN7rocprim17ROCPRIM_400000_NS6detail17trampoline_kernelINS0_14default_configENS1_38merge_sort_block_merge_config_selectorIxNS0_10empty_typeEEEZZNS1_27merge_sort_block_merge_implIS3_N6thrust23THRUST_200600_302600_NS6detail15normal_iteratorINS9_10device_ptrIxEEEEPS5_jNS1_19radix_merge_compareILb0ELb1ExNS0_19identity_decomposerEEEEE10hipError_tT0_T1_T2_jT3_P12ihipStream_tbPNSt15iterator_traitsISK_E10value_typeEPNSQ_ISL_E10value_typeEPSM_NS1_7vsmem_tEENKUlT_SK_SL_SM_E_clIPxSE_SF_SF_EESJ_SZ_SK_SL_SM_EUlSZ_E_NS1_11comp_targetILNS1_3genE8ELNS1_11target_archE1030ELNS1_3gpuE2ELNS1_3repE0EEENS1_48merge_mergepath_partition_config_static_selectorELNS0_4arch9wavefront6targetE1EEEvSL_,"axG",@progbits,_ZN7rocprim17ROCPRIM_400000_NS6detail17trampoline_kernelINS0_14default_configENS1_38merge_sort_block_merge_config_selectorIxNS0_10empty_typeEEEZZNS1_27merge_sort_block_merge_implIS3_N6thrust23THRUST_200600_302600_NS6detail15normal_iteratorINS9_10device_ptrIxEEEEPS5_jNS1_19radix_merge_compareILb0ELb1ExNS0_19identity_decomposerEEEEE10hipError_tT0_T1_T2_jT3_P12ihipStream_tbPNSt15iterator_traitsISK_E10value_typeEPNSQ_ISL_E10value_typeEPSM_NS1_7vsmem_tEENKUlT_SK_SL_SM_E_clIPxSE_SF_SF_EESJ_SZ_SK_SL_SM_EUlSZ_E_NS1_11comp_targetILNS1_3genE8ELNS1_11target_archE1030ELNS1_3gpuE2ELNS1_3repE0EEENS1_48merge_mergepath_partition_config_static_selectorELNS0_4arch9wavefront6targetE1EEEvSL_,comdat
.Lfunc_end1474:
	.size	_ZN7rocprim17ROCPRIM_400000_NS6detail17trampoline_kernelINS0_14default_configENS1_38merge_sort_block_merge_config_selectorIxNS0_10empty_typeEEEZZNS1_27merge_sort_block_merge_implIS3_N6thrust23THRUST_200600_302600_NS6detail15normal_iteratorINS9_10device_ptrIxEEEEPS5_jNS1_19radix_merge_compareILb0ELb1ExNS0_19identity_decomposerEEEEE10hipError_tT0_T1_T2_jT3_P12ihipStream_tbPNSt15iterator_traitsISK_E10value_typeEPNSQ_ISL_E10value_typeEPSM_NS1_7vsmem_tEENKUlT_SK_SL_SM_E_clIPxSE_SF_SF_EESJ_SZ_SK_SL_SM_EUlSZ_E_NS1_11comp_targetILNS1_3genE8ELNS1_11target_archE1030ELNS1_3gpuE2ELNS1_3repE0EEENS1_48merge_mergepath_partition_config_static_selectorELNS0_4arch9wavefront6targetE1EEEvSL_, .Lfunc_end1474-_ZN7rocprim17ROCPRIM_400000_NS6detail17trampoline_kernelINS0_14default_configENS1_38merge_sort_block_merge_config_selectorIxNS0_10empty_typeEEEZZNS1_27merge_sort_block_merge_implIS3_N6thrust23THRUST_200600_302600_NS6detail15normal_iteratorINS9_10device_ptrIxEEEEPS5_jNS1_19radix_merge_compareILb0ELb1ExNS0_19identity_decomposerEEEEE10hipError_tT0_T1_T2_jT3_P12ihipStream_tbPNSt15iterator_traitsISK_E10value_typeEPNSQ_ISL_E10value_typeEPSM_NS1_7vsmem_tEENKUlT_SK_SL_SM_E_clIPxSE_SF_SF_EESJ_SZ_SK_SL_SM_EUlSZ_E_NS1_11comp_targetILNS1_3genE8ELNS1_11target_archE1030ELNS1_3gpuE2ELNS1_3repE0EEENS1_48merge_mergepath_partition_config_static_selectorELNS0_4arch9wavefront6targetE1EEEvSL_
                                        ; -- End function
	.section	.AMDGPU.csdata,"",@progbits
; Kernel info:
; codeLenInByte = 0
; NumSgprs: 6
; NumVgprs: 0
; NumAgprs: 0
; TotalNumVgprs: 0
; ScratchSize: 0
; MemoryBound: 0
; FloatMode: 240
; IeeeMode: 1
; LDSByteSize: 0 bytes/workgroup (compile time only)
; SGPRBlocks: 0
; VGPRBlocks: 0
; NumSGPRsForWavesPerEU: 6
; NumVGPRsForWavesPerEU: 1
; AccumOffset: 4
; Occupancy: 8
; WaveLimiterHint : 0
; COMPUTE_PGM_RSRC2:SCRATCH_EN: 0
; COMPUTE_PGM_RSRC2:USER_SGPR: 2
; COMPUTE_PGM_RSRC2:TRAP_HANDLER: 0
; COMPUTE_PGM_RSRC2:TGID_X_EN: 1
; COMPUTE_PGM_RSRC2:TGID_Y_EN: 0
; COMPUTE_PGM_RSRC2:TGID_Z_EN: 0
; COMPUTE_PGM_RSRC2:TIDIG_COMP_CNT: 0
; COMPUTE_PGM_RSRC3_GFX90A:ACCUM_OFFSET: 0
; COMPUTE_PGM_RSRC3_GFX90A:TG_SPLIT: 0
	.section	.text._ZN7rocprim17ROCPRIM_400000_NS6detail17trampoline_kernelINS0_14default_configENS1_38merge_sort_block_merge_config_selectorIxNS0_10empty_typeEEEZZNS1_27merge_sort_block_merge_implIS3_N6thrust23THRUST_200600_302600_NS6detail15normal_iteratorINS9_10device_ptrIxEEEEPS5_jNS1_19radix_merge_compareILb0ELb1ExNS0_19identity_decomposerEEEEE10hipError_tT0_T1_T2_jT3_P12ihipStream_tbPNSt15iterator_traitsISK_E10value_typeEPNSQ_ISL_E10value_typeEPSM_NS1_7vsmem_tEENKUlT_SK_SL_SM_E_clIPxSE_SF_SF_EESJ_SZ_SK_SL_SM_EUlSZ_E0_NS1_11comp_targetILNS1_3genE0ELNS1_11target_archE4294967295ELNS1_3gpuE0ELNS1_3repE0EEENS1_38merge_mergepath_config_static_selectorELNS0_4arch9wavefront6targetE1EEEvSL_,"axG",@progbits,_ZN7rocprim17ROCPRIM_400000_NS6detail17trampoline_kernelINS0_14default_configENS1_38merge_sort_block_merge_config_selectorIxNS0_10empty_typeEEEZZNS1_27merge_sort_block_merge_implIS3_N6thrust23THRUST_200600_302600_NS6detail15normal_iteratorINS9_10device_ptrIxEEEEPS5_jNS1_19radix_merge_compareILb0ELb1ExNS0_19identity_decomposerEEEEE10hipError_tT0_T1_T2_jT3_P12ihipStream_tbPNSt15iterator_traitsISK_E10value_typeEPNSQ_ISL_E10value_typeEPSM_NS1_7vsmem_tEENKUlT_SK_SL_SM_E_clIPxSE_SF_SF_EESJ_SZ_SK_SL_SM_EUlSZ_E0_NS1_11comp_targetILNS1_3genE0ELNS1_11target_archE4294967295ELNS1_3gpuE0ELNS1_3repE0EEENS1_38merge_mergepath_config_static_selectorELNS0_4arch9wavefront6targetE1EEEvSL_,comdat
	.protected	_ZN7rocprim17ROCPRIM_400000_NS6detail17trampoline_kernelINS0_14default_configENS1_38merge_sort_block_merge_config_selectorIxNS0_10empty_typeEEEZZNS1_27merge_sort_block_merge_implIS3_N6thrust23THRUST_200600_302600_NS6detail15normal_iteratorINS9_10device_ptrIxEEEEPS5_jNS1_19radix_merge_compareILb0ELb1ExNS0_19identity_decomposerEEEEE10hipError_tT0_T1_T2_jT3_P12ihipStream_tbPNSt15iterator_traitsISK_E10value_typeEPNSQ_ISL_E10value_typeEPSM_NS1_7vsmem_tEENKUlT_SK_SL_SM_E_clIPxSE_SF_SF_EESJ_SZ_SK_SL_SM_EUlSZ_E0_NS1_11comp_targetILNS1_3genE0ELNS1_11target_archE4294967295ELNS1_3gpuE0ELNS1_3repE0EEENS1_38merge_mergepath_config_static_selectorELNS0_4arch9wavefront6targetE1EEEvSL_ ; -- Begin function _ZN7rocprim17ROCPRIM_400000_NS6detail17trampoline_kernelINS0_14default_configENS1_38merge_sort_block_merge_config_selectorIxNS0_10empty_typeEEEZZNS1_27merge_sort_block_merge_implIS3_N6thrust23THRUST_200600_302600_NS6detail15normal_iteratorINS9_10device_ptrIxEEEEPS5_jNS1_19radix_merge_compareILb0ELb1ExNS0_19identity_decomposerEEEEE10hipError_tT0_T1_T2_jT3_P12ihipStream_tbPNSt15iterator_traitsISK_E10value_typeEPNSQ_ISL_E10value_typeEPSM_NS1_7vsmem_tEENKUlT_SK_SL_SM_E_clIPxSE_SF_SF_EESJ_SZ_SK_SL_SM_EUlSZ_E0_NS1_11comp_targetILNS1_3genE0ELNS1_11target_archE4294967295ELNS1_3gpuE0ELNS1_3repE0EEENS1_38merge_mergepath_config_static_selectorELNS0_4arch9wavefront6targetE1EEEvSL_
	.globl	_ZN7rocprim17ROCPRIM_400000_NS6detail17trampoline_kernelINS0_14default_configENS1_38merge_sort_block_merge_config_selectorIxNS0_10empty_typeEEEZZNS1_27merge_sort_block_merge_implIS3_N6thrust23THRUST_200600_302600_NS6detail15normal_iteratorINS9_10device_ptrIxEEEEPS5_jNS1_19radix_merge_compareILb0ELb1ExNS0_19identity_decomposerEEEEE10hipError_tT0_T1_T2_jT3_P12ihipStream_tbPNSt15iterator_traitsISK_E10value_typeEPNSQ_ISL_E10value_typeEPSM_NS1_7vsmem_tEENKUlT_SK_SL_SM_E_clIPxSE_SF_SF_EESJ_SZ_SK_SL_SM_EUlSZ_E0_NS1_11comp_targetILNS1_3genE0ELNS1_11target_archE4294967295ELNS1_3gpuE0ELNS1_3repE0EEENS1_38merge_mergepath_config_static_selectorELNS0_4arch9wavefront6targetE1EEEvSL_
	.p2align	8
	.type	_ZN7rocprim17ROCPRIM_400000_NS6detail17trampoline_kernelINS0_14default_configENS1_38merge_sort_block_merge_config_selectorIxNS0_10empty_typeEEEZZNS1_27merge_sort_block_merge_implIS3_N6thrust23THRUST_200600_302600_NS6detail15normal_iteratorINS9_10device_ptrIxEEEEPS5_jNS1_19radix_merge_compareILb0ELb1ExNS0_19identity_decomposerEEEEE10hipError_tT0_T1_T2_jT3_P12ihipStream_tbPNSt15iterator_traitsISK_E10value_typeEPNSQ_ISL_E10value_typeEPSM_NS1_7vsmem_tEENKUlT_SK_SL_SM_E_clIPxSE_SF_SF_EESJ_SZ_SK_SL_SM_EUlSZ_E0_NS1_11comp_targetILNS1_3genE0ELNS1_11target_archE4294967295ELNS1_3gpuE0ELNS1_3repE0EEENS1_38merge_mergepath_config_static_selectorELNS0_4arch9wavefront6targetE1EEEvSL_,@function
_ZN7rocprim17ROCPRIM_400000_NS6detail17trampoline_kernelINS0_14default_configENS1_38merge_sort_block_merge_config_selectorIxNS0_10empty_typeEEEZZNS1_27merge_sort_block_merge_implIS3_N6thrust23THRUST_200600_302600_NS6detail15normal_iteratorINS9_10device_ptrIxEEEEPS5_jNS1_19radix_merge_compareILb0ELb1ExNS0_19identity_decomposerEEEEE10hipError_tT0_T1_T2_jT3_P12ihipStream_tbPNSt15iterator_traitsISK_E10value_typeEPNSQ_ISL_E10value_typeEPSM_NS1_7vsmem_tEENKUlT_SK_SL_SM_E_clIPxSE_SF_SF_EESJ_SZ_SK_SL_SM_EUlSZ_E0_NS1_11comp_targetILNS1_3genE0ELNS1_11target_archE4294967295ELNS1_3gpuE0ELNS1_3repE0EEENS1_38merge_mergepath_config_static_selectorELNS0_4arch9wavefront6targetE1EEEvSL_: ; @_ZN7rocprim17ROCPRIM_400000_NS6detail17trampoline_kernelINS0_14default_configENS1_38merge_sort_block_merge_config_selectorIxNS0_10empty_typeEEEZZNS1_27merge_sort_block_merge_implIS3_N6thrust23THRUST_200600_302600_NS6detail15normal_iteratorINS9_10device_ptrIxEEEEPS5_jNS1_19radix_merge_compareILb0ELb1ExNS0_19identity_decomposerEEEEE10hipError_tT0_T1_T2_jT3_P12ihipStream_tbPNSt15iterator_traitsISK_E10value_typeEPNSQ_ISL_E10value_typeEPSM_NS1_7vsmem_tEENKUlT_SK_SL_SM_E_clIPxSE_SF_SF_EESJ_SZ_SK_SL_SM_EUlSZ_E0_NS1_11comp_targetILNS1_3genE0ELNS1_11target_archE4294967295ELNS1_3gpuE0ELNS1_3repE0EEENS1_38merge_mergepath_config_static_selectorELNS0_4arch9wavefront6targetE1EEEvSL_
; %bb.0:
	.section	.rodata,"a",@progbits
	.p2align	6, 0x0
	.amdhsa_kernel _ZN7rocprim17ROCPRIM_400000_NS6detail17trampoline_kernelINS0_14default_configENS1_38merge_sort_block_merge_config_selectorIxNS0_10empty_typeEEEZZNS1_27merge_sort_block_merge_implIS3_N6thrust23THRUST_200600_302600_NS6detail15normal_iteratorINS9_10device_ptrIxEEEEPS5_jNS1_19radix_merge_compareILb0ELb1ExNS0_19identity_decomposerEEEEE10hipError_tT0_T1_T2_jT3_P12ihipStream_tbPNSt15iterator_traitsISK_E10value_typeEPNSQ_ISL_E10value_typeEPSM_NS1_7vsmem_tEENKUlT_SK_SL_SM_E_clIPxSE_SF_SF_EESJ_SZ_SK_SL_SM_EUlSZ_E0_NS1_11comp_targetILNS1_3genE0ELNS1_11target_archE4294967295ELNS1_3gpuE0ELNS1_3repE0EEENS1_38merge_mergepath_config_static_selectorELNS0_4arch9wavefront6targetE1EEEvSL_
		.amdhsa_group_segment_fixed_size 0
		.amdhsa_private_segment_fixed_size 0
		.amdhsa_kernarg_size 72
		.amdhsa_user_sgpr_count 2
		.amdhsa_user_sgpr_dispatch_ptr 0
		.amdhsa_user_sgpr_queue_ptr 0
		.amdhsa_user_sgpr_kernarg_segment_ptr 1
		.amdhsa_user_sgpr_dispatch_id 0
		.amdhsa_user_sgpr_kernarg_preload_length 0
		.amdhsa_user_sgpr_kernarg_preload_offset 0
		.amdhsa_user_sgpr_private_segment_size 0
		.amdhsa_uses_dynamic_stack 0
		.amdhsa_enable_private_segment 0
		.amdhsa_system_sgpr_workgroup_id_x 1
		.amdhsa_system_sgpr_workgroup_id_y 0
		.amdhsa_system_sgpr_workgroup_id_z 0
		.amdhsa_system_sgpr_workgroup_info 0
		.amdhsa_system_vgpr_workitem_id 0
		.amdhsa_next_free_vgpr 1
		.amdhsa_next_free_sgpr 0
		.amdhsa_accum_offset 4
		.amdhsa_reserve_vcc 0
		.amdhsa_float_round_mode_32 0
		.amdhsa_float_round_mode_16_64 0
		.amdhsa_float_denorm_mode_32 3
		.amdhsa_float_denorm_mode_16_64 3
		.amdhsa_dx10_clamp 1
		.amdhsa_ieee_mode 1
		.amdhsa_fp16_overflow 0
		.amdhsa_tg_split 0
		.amdhsa_exception_fp_ieee_invalid_op 0
		.amdhsa_exception_fp_denorm_src 0
		.amdhsa_exception_fp_ieee_div_zero 0
		.amdhsa_exception_fp_ieee_overflow 0
		.amdhsa_exception_fp_ieee_underflow 0
		.amdhsa_exception_fp_ieee_inexact 0
		.amdhsa_exception_int_div_zero 0
	.end_amdhsa_kernel
	.section	.text._ZN7rocprim17ROCPRIM_400000_NS6detail17trampoline_kernelINS0_14default_configENS1_38merge_sort_block_merge_config_selectorIxNS0_10empty_typeEEEZZNS1_27merge_sort_block_merge_implIS3_N6thrust23THRUST_200600_302600_NS6detail15normal_iteratorINS9_10device_ptrIxEEEEPS5_jNS1_19radix_merge_compareILb0ELb1ExNS0_19identity_decomposerEEEEE10hipError_tT0_T1_T2_jT3_P12ihipStream_tbPNSt15iterator_traitsISK_E10value_typeEPNSQ_ISL_E10value_typeEPSM_NS1_7vsmem_tEENKUlT_SK_SL_SM_E_clIPxSE_SF_SF_EESJ_SZ_SK_SL_SM_EUlSZ_E0_NS1_11comp_targetILNS1_3genE0ELNS1_11target_archE4294967295ELNS1_3gpuE0ELNS1_3repE0EEENS1_38merge_mergepath_config_static_selectorELNS0_4arch9wavefront6targetE1EEEvSL_,"axG",@progbits,_ZN7rocprim17ROCPRIM_400000_NS6detail17trampoline_kernelINS0_14default_configENS1_38merge_sort_block_merge_config_selectorIxNS0_10empty_typeEEEZZNS1_27merge_sort_block_merge_implIS3_N6thrust23THRUST_200600_302600_NS6detail15normal_iteratorINS9_10device_ptrIxEEEEPS5_jNS1_19radix_merge_compareILb0ELb1ExNS0_19identity_decomposerEEEEE10hipError_tT0_T1_T2_jT3_P12ihipStream_tbPNSt15iterator_traitsISK_E10value_typeEPNSQ_ISL_E10value_typeEPSM_NS1_7vsmem_tEENKUlT_SK_SL_SM_E_clIPxSE_SF_SF_EESJ_SZ_SK_SL_SM_EUlSZ_E0_NS1_11comp_targetILNS1_3genE0ELNS1_11target_archE4294967295ELNS1_3gpuE0ELNS1_3repE0EEENS1_38merge_mergepath_config_static_selectorELNS0_4arch9wavefront6targetE1EEEvSL_,comdat
.Lfunc_end1475:
	.size	_ZN7rocprim17ROCPRIM_400000_NS6detail17trampoline_kernelINS0_14default_configENS1_38merge_sort_block_merge_config_selectorIxNS0_10empty_typeEEEZZNS1_27merge_sort_block_merge_implIS3_N6thrust23THRUST_200600_302600_NS6detail15normal_iteratorINS9_10device_ptrIxEEEEPS5_jNS1_19radix_merge_compareILb0ELb1ExNS0_19identity_decomposerEEEEE10hipError_tT0_T1_T2_jT3_P12ihipStream_tbPNSt15iterator_traitsISK_E10value_typeEPNSQ_ISL_E10value_typeEPSM_NS1_7vsmem_tEENKUlT_SK_SL_SM_E_clIPxSE_SF_SF_EESJ_SZ_SK_SL_SM_EUlSZ_E0_NS1_11comp_targetILNS1_3genE0ELNS1_11target_archE4294967295ELNS1_3gpuE0ELNS1_3repE0EEENS1_38merge_mergepath_config_static_selectorELNS0_4arch9wavefront6targetE1EEEvSL_, .Lfunc_end1475-_ZN7rocprim17ROCPRIM_400000_NS6detail17trampoline_kernelINS0_14default_configENS1_38merge_sort_block_merge_config_selectorIxNS0_10empty_typeEEEZZNS1_27merge_sort_block_merge_implIS3_N6thrust23THRUST_200600_302600_NS6detail15normal_iteratorINS9_10device_ptrIxEEEEPS5_jNS1_19radix_merge_compareILb0ELb1ExNS0_19identity_decomposerEEEEE10hipError_tT0_T1_T2_jT3_P12ihipStream_tbPNSt15iterator_traitsISK_E10value_typeEPNSQ_ISL_E10value_typeEPSM_NS1_7vsmem_tEENKUlT_SK_SL_SM_E_clIPxSE_SF_SF_EESJ_SZ_SK_SL_SM_EUlSZ_E0_NS1_11comp_targetILNS1_3genE0ELNS1_11target_archE4294967295ELNS1_3gpuE0ELNS1_3repE0EEENS1_38merge_mergepath_config_static_selectorELNS0_4arch9wavefront6targetE1EEEvSL_
                                        ; -- End function
	.section	.AMDGPU.csdata,"",@progbits
; Kernel info:
; codeLenInByte = 0
; NumSgprs: 6
; NumVgprs: 0
; NumAgprs: 0
; TotalNumVgprs: 0
; ScratchSize: 0
; MemoryBound: 0
; FloatMode: 240
; IeeeMode: 1
; LDSByteSize: 0 bytes/workgroup (compile time only)
; SGPRBlocks: 0
; VGPRBlocks: 0
; NumSGPRsForWavesPerEU: 6
; NumVGPRsForWavesPerEU: 1
; AccumOffset: 4
; Occupancy: 8
; WaveLimiterHint : 0
; COMPUTE_PGM_RSRC2:SCRATCH_EN: 0
; COMPUTE_PGM_RSRC2:USER_SGPR: 2
; COMPUTE_PGM_RSRC2:TRAP_HANDLER: 0
; COMPUTE_PGM_RSRC2:TGID_X_EN: 1
; COMPUTE_PGM_RSRC2:TGID_Y_EN: 0
; COMPUTE_PGM_RSRC2:TGID_Z_EN: 0
; COMPUTE_PGM_RSRC2:TIDIG_COMP_CNT: 0
; COMPUTE_PGM_RSRC3_GFX90A:ACCUM_OFFSET: 0
; COMPUTE_PGM_RSRC3_GFX90A:TG_SPLIT: 0
	.section	.text._ZN7rocprim17ROCPRIM_400000_NS6detail17trampoline_kernelINS0_14default_configENS1_38merge_sort_block_merge_config_selectorIxNS0_10empty_typeEEEZZNS1_27merge_sort_block_merge_implIS3_N6thrust23THRUST_200600_302600_NS6detail15normal_iteratorINS9_10device_ptrIxEEEEPS5_jNS1_19radix_merge_compareILb0ELb1ExNS0_19identity_decomposerEEEEE10hipError_tT0_T1_T2_jT3_P12ihipStream_tbPNSt15iterator_traitsISK_E10value_typeEPNSQ_ISL_E10value_typeEPSM_NS1_7vsmem_tEENKUlT_SK_SL_SM_E_clIPxSE_SF_SF_EESJ_SZ_SK_SL_SM_EUlSZ_E0_NS1_11comp_targetILNS1_3genE10ELNS1_11target_archE1201ELNS1_3gpuE5ELNS1_3repE0EEENS1_38merge_mergepath_config_static_selectorELNS0_4arch9wavefront6targetE1EEEvSL_,"axG",@progbits,_ZN7rocprim17ROCPRIM_400000_NS6detail17trampoline_kernelINS0_14default_configENS1_38merge_sort_block_merge_config_selectorIxNS0_10empty_typeEEEZZNS1_27merge_sort_block_merge_implIS3_N6thrust23THRUST_200600_302600_NS6detail15normal_iteratorINS9_10device_ptrIxEEEEPS5_jNS1_19radix_merge_compareILb0ELb1ExNS0_19identity_decomposerEEEEE10hipError_tT0_T1_T2_jT3_P12ihipStream_tbPNSt15iterator_traitsISK_E10value_typeEPNSQ_ISL_E10value_typeEPSM_NS1_7vsmem_tEENKUlT_SK_SL_SM_E_clIPxSE_SF_SF_EESJ_SZ_SK_SL_SM_EUlSZ_E0_NS1_11comp_targetILNS1_3genE10ELNS1_11target_archE1201ELNS1_3gpuE5ELNS1_3repE0EEENS1_38merge_mergepath_config_static_selectorELNS0_4arch9wavefront6targetE1EEEvSL_,comdat
	.protected	_ZN7rocprim17ROCPRIM_400000_NS6detail17trampoline_kernelINS0_14default_configENS1_38merge_sort_block_merge_config_selectorIxNS0_10empty_typeEEEZZNS1_27merge_sort_block_merge_implIS3_N6thrust23THRUST_200600_302600_NS6detail15normal_iteratorINS9_10device_ptrIxEEEEPS5_jNS1_19radix_merge_compareILb0ELb1ExNS0_19identity_decomposerEEEEE10hipError_tT0_T1_T2_jT3_P12ihipStream_tbPNSt15iterator_traitsISK_E10value_typeEPNSQ_ISL_E10value_typeEPSM_NS1_7vsmem_tEENKUlT_SK_SL_SM_E_clIPxSE_SF_SF_EESJ_SZ_SK_SL_SM_EUlSZ_E0_NS1_11comp_targetILNS1_3genE10ELNS1_11target_archE1201ELNS1_3gpuE5ELNS1_3repE0EEENS1_38merge_mergepath_config_static_selectorELNS0_4arch9wavefront6targetE1EEEvSL_ ; -- Begin function _ZN7rocprim17ROCPRIM_400000_NS6detail17trampoline_kernelINS0_14default_configENS1_38merge_sort_block_merge_config_selectorIxNS0_10empty_typeEEEZZNS1_27merge_sort_block_merge_implIS3_N6thrust23THRUST_200600_302600_NS6detail15normal_iteratorINS9_10device_ptrIxEEEEPS5_jNS1_19radix_merge_compareILb0ELb1ExNS0_19identity_decomposerEEEEE10hipError_tT0_T1_T2_jT3_P12ihipStream_tbPNSt15iterator_traitsISK_E10value_typeEPNSQ_ISL_E10value_typeEPSM_NS1_7vsmem_tEENKUlT_SK_SL_SM_E_clIPxSE_SF_SF_EESJ_SZ_SK_SL_SM_EUlSZ_E0_NS1_11comp_targetILNS1_3genE10ELNS1_11target_archE1201ELNS1_3gpuE5ELNS1_3repE0EEENS1_38merge_mergepath_config_static_selectorELNS0_4arch9wavefront6targetE1EEEvSL_
	.globl	_ZN7rocprim17ROCPRIM_400000_NS6detail17trampoline_kernelINS0_14default_configENS1_38merge_sort_block_merge_config_selectorIxNS0_10empty_typeEEEZZNS1_27merge_sort_block_merge_implIS3_N6thrust23THRUST_200600_302600_NS6detail15normal_iteratorINS9_10device_ptrIxEEEEPS5_jNS1_19radix_merge_compareILb0ELb1ExNS0_19identity_decomposerEEEEE10hipError_tT0_T1_T2_jT3_P12ihipStream_tbPNSt15iterator_traitsISK_E10value_typeEPNSQ_ISL_E10value_typeEPSM_NS1_7vsmem_tEENKUlT_SK_SL_SM_E_clIPxSE_SF_SF_EESJ_SZ_SK_SL_SM_EUlSZ_E0_NS1_11comp_targetILNS1_3genE10ELNS1_11target_archE1201ELNS1_3gpuE5ELNS1_3repE0EEENS1_38merge_mergepath_config_static_selectorELNS0_4arch9wavefront6targetE1EEEvSL_
	.p2align	8
	.type	_ZN7rocprim17ROCPRIM_400000_NS6detail17trampoline_kernelINS0_14default_configENS1_38merge_sort_block_merge_config_selectorIxNS0_10empty_typeEEEZZNS1_27merge_sort_block_merge_implIS3_N6thrust23THRUST_200600_302600_NS6detail15normal_iteratorINS9_10device_ptrIxEEEEPS5_jNS1_19radix_merge_compareILb0ELb1ExNS0_19identity_decomposerEEEEE10hipError_tT0_T1_T2_jT3_P12ihipStream_tbPNSt15iterator_traitsISK_E10value_typeEPNSQ_ISL_E10value_typeEPSM_NS1_7vsmem_tEENKUlT_SK_SL_SM_E_clIPxSE_SF_SF_EESJ_SZ_SK_SL_SM_EUlSZ_E0_NS1_11comp_targetILNS1_3genE10ELNS1_11target_archE1201ELNS1_3gpuE5ELNS1_3repE0EEENS1_38merge_mergepath_config_static_selectorELNS0_4arch9wavefront6targetE1EEEvSL_,@function
_ZN7rocprim17ROCPRIM_400000_NS6detail17trampoline_kernelINS0_14default_configENS1_38merge_sort_block_merge_config_selectorIxNS0_10empty_typeEEEZZNS1_27merge_sort_block_merge_implIS3_N6thrust23THRUST_200600_302600_NS6detail15normal_iteratorINS9_10device_ptrIxEEEEPS5_jNS1_19radix_merge_compareILb0ELb1ExNS0_19identity_decomposerEEEEE10hipError_tT0_T1_T2_jT3_P12ihipStream_tbPNSt15iterator_traitsISK_E10value_typeEPNSQ_ISL_E10value_typeEPSM_NS1_7vsmem_tEENKUlT_SK_SL_SM_E_clIPxSE_SF_SF_EESJ_SZ_SK_SL_SM_EUlSZ_E0_NS1_11comp_targetILNS1_3genE10ELNS1_11target_archE1201ELNS1_3gpuE5ELNS1_3repE0EEENS1_38merge_mergepath_config_static_selectorELNS0_4arch9wavefront6targetE1EEEvSL_: ; @_ZN7rocprim17ROCPRIM_400000_NS6detail17trampoline_kernelINS0_14default_configENS1_38merge_sort_block_merge_config_selectorIxNS0_10empty_typeEEEZZNS1_27merge_sort_block_merge_implIS3_N6thrust23THRUST_200600_302600_NS6detail15normal_iteratorINS9_10device_ptrIxEEEEPS5_jNS1_19radix_merge_compareILb0ELb1ExNS0_19identity_decomposerEEEEE10hipError_tT0_T1_T2_jT3_P12ihipStream_tbPNSt15iterator_traitsISK_E10value_typeEPNSQ_ISL_E10value_typeEPSM_NS1_7vsmem_tEENKUlT_SK_SL_SM_E_clIPxSE_SF_SF_EESJ_SZ_SK_SL_SM_EUlSZ_E0_NS1_11comp_targetILNS1_3genE10ELNS1_11target_archE1201ELNS1_3gpuE5ELNS1_3repE0EEENS1_38merge_mergepath_config_static_selectorELNS0_4arch9wavefront6targetE1EEEvSL_
; %bb.0:
	.section	.rodata,"a",@progbits
	.p2align	6, 0x0
	.amdhsa_kernel _ZN7rocprim17ROCPRIM_400000_NS6detail17trampoline_kernelINS0_14default_configENS1_38merge_sort_block_merge_config_selectorIxNS0_10empty_typeEEEZZNS1_27merge_sort_block_merge_implIS3_N6thrust23THRUST_200600_302600_NS6detail15normal_iteratorINS9_10device_ptrIxEEEEPS5_jNS1_19radix_merge_compareILb0ELb1ExNS0_19identity_decomposerEEEEE10hipError_tT0_T1_T2_jT3_P12ihipStream_tbPNSt15iterator_traitsISK_E10value_typeEPNSQ_ISL_E10value_typeEPSM_NS1_7vsmem_tEENKUlT_SK_SL_SM_E_clIPxSE_SF_SF_EESJ_SZ_SK_SL_SM_EUlSZ_E0_NS1_11comp_targetILNS1_3genE10ELNS1_11target_archE1201ELNS1_3gpuE5ELNS1_3repE0EEENS1_38merge_mergepath_config_static_selectorELNS0_4arch9wavefront6targetE1EEEvSL_
		.amdhsa_group_segment_fixed_size 0
		.amdhsa_private_segment_fixed_size 0
		.amdhsa_kernarg_size 72
		.amdhsa_user_sgpr_count 2
		.amdhsa_user_sgpr_dispatch_ptr 0
		.amdhsa_user_sgpr_queue_ptr 0
		.amdhsa_user_sgpr_kernarg_segment_ptr 1
		.amdhsa_user_sgpr_dispatch_id 0
		.amdhsa_user_sgpr_kernarg_preload_length 0
		.amdhsa_user_sgpr_kernarg_preload_offset 0
		.amdhsa_user_sgpr_private_segment_size 0
		.amdhsa_uses_dynamic_stack 0
		.amdhsa_enable_private_segment 0
		.amdhsa_system_sgpr_workgroup_id_x 1
		.amdhsa_system_sgpr_workgroup_id_y 0
		.amdhsa_system_sgpr_workgroup_id_z 0
		.amdhsa_system_sgpr_workgroup_info 0
		.amdhsa_system_vgpr_workitem_id 0
		.amdhsa_next_free_vgpr 1
		.amdhsa_next_free_sgpr 0
		.amdhsa_accum_offset 4
		.amdhsa_reserve_vcc 0
		.amdhsa_float_round_mode_32 0
		.amdhsa_float_round_mode_16_64 0
		.amdhsa_float_denorm_mode_32 3
		.amdhsa_float_denorm_mode_16_64 3
		.amdhsa_dx10_clamp 1
		.amdhsa_ieee_mode 1
		.amdhsa_fp16_overflow 0
		.amdhsa_tg_split 0
		.amdhsa_exception_fp_ieee_invalid_op 0
		.amdhsa_exception_fp_denorm_src 0
		.amdhsa_exception_fp_ieee_div_zero 0
		.amdhsa_exception_fp_ieee_overflow 0
		.amdhsa_exception_fp_ieee_underflow 0
		.amdhsa_exception_fp_ieee_inexact 0
		.amdhsa_exception_int_div_zero 0
	.end_amdhsa_kernel
	.section	.text._ZN7rocprim17ROCPRIM_400000_NS6detail17trampoline_kernelINS0_14default_configENS1_38merge_sort_block_merge_config_selectorIxNS0_10empty_typeEEEZZNS1_27merge_sort_block_merge_implIS3_N6thrust23THRUST_200600_302600_NS6detail15normal_iteratorINS9_10device_ptrIxEEEEPS5_jNS1_19radix_merge_compareILb0ELb1ExNS0_19identity_decomposerEEEEE10hipError_tT0_T1_T2_jT3_P12ihipStream_tbPNSt15iterator_traitsISK_E10value_typeEPNSQ_ISL_E10value_typeEPSM_NS1_7vsmem_tEENKUlT_SK_SL_SM_E_clIPxSE_SF_SF_EESJ_SZ_SK_SL_SM_EUlSZ_E0_NS1_11comp_targetILNS1_3genE10ELNS1_11target_archE1201ELNS1_3gpuE5ELNS1_3repE0EEENS1_38merge_mergepath_config_static_selectorELNS0_4arch9wavefront6targetE1EEEvSL_,"axG",@progbits,_ZN7rocprim17ROCPRIM_400000_NS6detail17trampoline_kernelINS0_14default_configENS1_38merge_sort_block_merge_config_selectorIxNS0_10empty_typeEEEZZNS1_27merge_sort_block_merge_implIS3_N6thrust23THRUST_200600_302600_NS6detail15normal_iteratorINS9_10device_ptrIxEEEEPS5_jNS1_19radix_merge_compareILb0ELb1ExNS0_19identity_decomposerEEEEE10hipError_tT0_T1_T2_jT3_P12ihipStream_tbPNSt15iterator_traitsISK_E10value_typeEPNSQ_ISL_E10value_typeEPSM_NS1_7vsmem_tEENKUlT_SK_SL_SM_E_clIPxSE_SF_SF_EESJ_SZ_SK_SL_SM_EUlSZ_E0_NS1_11comp_targetILNS1_3genE10ELNS1_11target_archE1201ELNS1_3gpuE5ELNS1_3repE0EEENS1_38merge_mergepath_config_static_selectorELNS0_4arch9wavefront6targetE1EEEvSL_,comdat
.Lfunc_end1476:
	.size	_ZN7rocprim17ROCPRIM_400000_NS6detail17trampoline_kernelINS0_14default_configENS1_38merge_sort_block_merge_config_selectorIxNS0_10empty_typeEEEZZNS1_27merge_sort_block_merge_implIS3_N6thrust23THRUST_200600_302600_NS6detail15normal_iteratorINS9_10device_ptrIxEEEEPS5_jNS1_19radix_merge_compareILb0ELb1ExNS0_19identity_decomposerEEEEE10hipError_tT0_T1_T2_jT3_P12ihipStream_tbPNSt15iterator_traitsISK_E10value_typeEPNSQ_ISL_E10value_typeEPSM_NS1_7vsmem_tEENKUlT_SK_SL_SM_E_clIPxSE_SF_SF_EESJ_SZ_SK_SL_SM_EUlSZ_E0_NS1_11comp_targetILNS1_3genE10ELNS1_11target_archE1201ELNS1_3gpuE5ELNS1_3repE0EEENS1_38merge_mergepath_config_static_selectorELNS0_4arch9wavefront6targetE1EEEvSL_, .Lfunc_end1476-_ZN7rocprim17ROCPRIM_400000_NS6detail17trampoline_kernelINS0_14default_configENS1_38merge_sort_block_merge_config_selectorIxNS0_10empty_typeEEEZZNS1_27merge_sort_block_merge_implIS3_N6thrust23THRUST_200600_302600_NS6detail15normal_iteratorINS9_10device_ptrIxEEEEPS5_jNS1_19radix_merge_compareILb0ELb1ExNS0_19identity_decomposerEEEEE10hipError_tT0_T1_T2_jT3_P12ihipStream_tbPNSt15iterator_traitsISK_E10value_typeEPNSQ_ISL_E10value_typeEPSM_NS1_7vsmem_tEENKUlT_SK_SL_SM_E_clIPxSE_SF_SF_EESJ_SZ_SK_SL_SM_EUlSZ_E0_NS1_11comp_targetILNS1_3genE10ELNS1_11target_archE1201ELNS1_3gpuE5ELNS1_3repE0EEENS1_38merge_mergepath_config_static_selectorELNS0_4arch9wavefront6targetE1EEEvSL_
                                        ; -- End function
	.section	.AMDGPU.csdata,"",@progbits
; Kernel info:
; codeLenInByte = 0
; NumSgprs: 6
; NumVgprs: 0
; NumAgprs: 0
; TotalNumVgprs: 0
; ScratchSize: 0
; MemoryBound: 0
; FloatMode: 240
; IeeeMode: 1
; LDSByteSize: 0 bytes/workgroup (compile time only)
; SGPRBlocks: 0
; VGPRBlocks: 0
; NumSGPRsForWavesPerEU: 6
; NumVGPRsForWavesPerEU: 1
; AccumOffset: 4
; Occupancy: 8
; WaveLimiterHint : 0
; COMPUTE_PGM_RSRC2:SCRATCH_EN: 0
; COMPUTE_PGM_RSRC2:USER_SGPR: 2
; COMPUTE_PGM_RSRC2:TRAP_HANDLER: 0
; COMPUTE_PGM_RSRC2:TGID_X_EN: 1
; COMPUTE_PGM_RSRC2:TGID_Y_EN: 0
; COMPUTE_PGM_RSRC2:TGID_Z_EN: 0
; COMPUTE_PGM_RSRC2:TIDIG_COMP_CNT: 0
; COMPUTE_PGM_RSRC3_GFX90A:ACCUM_OFFSET: 0
; COMPUTE_PGM_RSRC3_GFX90A:TG_SPLIT: 0
	.section	.text._ZN7rocprim17ROCPRIM_400000_NS6detail17trampoline_kernelINS0_14default_configENS1_38merge_sort_block_merge_config_selectorIxNS0_10empty_typeEEEZZNS1_27merge_sort_block_merge_implIS3_N6thrust23THRUST_200600_302600_NS6detail15normal_iteratorINS9_10device_ptrIxEEEEPS5_jNS1_19radix_merge_compareILb0ELb1ExNS0_19identity_decomposerEEEEE10hipError_tT0_T1_T2_jT3_P12ihipStream_tbPNSt15iterator_traitsISK_E10value_typeEPNSQ_ISL_E10value_typeEPSM_NS1_7vsmem_tEENKUlT_SK_SL_SM_E_clIPxSE_SF_SF_EESJ_SZ_SK_SL_SM_EUlSZ_E0_NS1_11comp_targetILNS1_3genE5ELNS1_11target_archE942ELNS1_3gpuE9ELNS1_3repE0EEENS1_38merge_mergepath_config_static_selectorELNS0_4arch9wavefront6targetE1EEEvSL_,"axG",@progbits,_ZN7rocprim17ROCPRIM_400000_NS6detail17trampoline_kernelINS0_14default_configENS1_38merge_sort_block_merge_config_selectorIxNS0_10empty_typeEEEZZNS1_27merge_sort_block_merge_implIS3_N6thrust23THRUST_200600_302600_NS6detail15normal_iteratorINS9_10device_ptrIxEEEEPS5_jNS1_19radix_merge_compareILb0ELb1ExNS0_19identity_decomposerEEEEE10hipError_tT0_T1_T2_jT3_P12ihipStream_tbPNSt15iterator_traitsISK_E10value_typeEPNSQ_ISL_E10value_typeEPSM_NS1_7vsmem_tEENKUlT_SK_SL_SM_E_clIPxSE_SF_SF_EESJ_SZ_SK_SL_SM_EUlSZ_E0_NS1_11comp_targetILNS1_3genE5ELNS1_11target_archE942ELNS1_3gpuE9ELNS1_3repE0EEENS1_38merge_mergepath_config_static_selectorELNS0_4arch9wavefront6targetE1EEEvSL_,comdat
	.protected	_ZN7rocprim17ROCPRIM_400000_NS6detail17trampoline_kernelINS0_14default_configENS1_38merge_sort_block_merge_config_selectorIxNS0_10empty_typeEEEZZNS1_27merge_sort_block_merge_implIS3_N6thrust23THRUST_200600_302600_NS6detail15normal_iteratorINS9_10device_ptrIxEEEEPS5_jNS1_19radix_merge_compareILb0ELb1ExNS0_19identity_decomposerEEEEE10hipError_tT0_T1_T2_jT3_P12ihipStream_tbPNSt15iterator_traitsISK_E10value_typeEPNSQ_ISL_E10value_typeEPSM_NS1_7vsmem_tEENKUlT_SK_SL_SM_E_clIPxSE_SF_SF_EESJ_SZ_SK_SL_SM_EUlSZ_E0_NS1_11comp_targetILNS1_3genE5ELNS1_11target_archE942ELNS1_3gpuE9ELNS1_3repE0EEENS1_38merge_mergepath_config_static_selectorELNS0_4arch9wavefront6targetE1EEEvSL_ ; -- Begin function _ZN7rocprim17ROCPRIM_400000_NS6detail17trampoline_kernelINS0_14default_configENS1_38merge_sort_block_merge_config_selectorIxNS0_10empty_typeEEEZZNS1_27merge_sort_block_merge_implIS3_N6thrust23THRUST_200600_302600_NS6detail15normal_iteratorINS9_10device_ptrIxEEEEPS5_jNS1_19radix_merge_compareILb0ELb1ExNS0_19identity_decomposerEEEEE10hipError_tT0_T1_T2_jT3_P12ihipStream_tbPNSt15iterator_traitsISK_E10value_typeEPNSQ_ISL_E10value_typeEPSM_NS1_7vsmem_tEENKUlT_SK_SL_SM_E_clIPxSE_SF_SF_EESJ_SZ_SK_SL_SM_EUlSZ_E0_NS1_11comp_targetILNS1_3genE5ELNS1_11target_archE942ELNS1_3gpuE9ELNS1_3repE0EEENS1_38merge_mergepath_config_static_selectorELNS0_4arch9wavefront6targetE1EEEvSL_
	.globl	_ZN7rocprim17ROCPRIM_400000_NS6detail17trampoline_kernelINS0_14default_configENS1_38merge_sort_block_merge_config_selectorIxNS0_10empty_typeEEEZZNS1_27merge_sort_block_merge_implIS3_N6thrust23THRUST_200600_302600_NS6detail15normal_iteratorINS9_10device_ptrIxEEEEPS5_jNS1_19radix_merge_compareILb0ELb1ExNS0_19identity_decomposerEEEEE10hipError_tT0_T1_T2_jT3_P12ihipStream_tbPNSt15iterator_traitsISK_E10value_typeEPNSQ_ISL_E10value_typeEPSM_NS1_7vsmem_tEENKUlT_SK_SL_SM_E_clIPxSE_SF_SF_EESJ_SZ_SK_SL_SM_EUlSZ_E0_NS1_11comp_targetILNS1_3genE5ELNS1_11target_archE942ELNS1_3gpuE9ELNS1_3repE0EEENS1_38merge_mergepath_config_static_selectorELNS0_4arch9wavefront6targetE1EEEvSL_
	.p2align	8
	.type	_ZN7rocprim17ROCPRIM_400000_NS6detail17trampoline_kernelINS0_14default_configENS1_38merge_sort_block_merge_config_selectorIxNS0_10empty_typeEEEZZNS1_27merge_sort_block_merge_implIS3_N6thrust23THRUST_200600_302600_NS6detail15normal_iteratorINS9_10device_ptrIxEEEEPS5_jNS1_19radix_merge_compareILb0ELb1ExNS0_19identity_decomposerEEEEE10hipError_tT0_T1_T2_jT3_P12ihipStream_tbPNSt15iterator_traitsISK_E10value_typeEPNSQ_ISL_E10value_typeEPSM_NS1_7vsmem_tEENKUlT_SK_SL_SM_E_clIPxSE_SF_SF_EESJ_SZ_SK_SL_SM_EUlSZ_E0_NS1_11comp_targetILNS1_3genE5ELNS1_11target_archE942ELNS1_3gpuE9ELNS1_3repE0EEENS1_38merge_mergepath_config_static_selectorELNS0_4arch9wavefront6targetE1EEEvSL_,@function
_ZN7rocprim17ROCPRIM_400000_NS6detail17trampoline_kernelINS0_14default_configENS1_38merge_sort_block_merge_config_selectorIxNS0_10empty_typeEEEZZNS1_27merge_sort_block_merge_implIS3_N6thrust23THRUST_200600_302600_NS6detail15normal_iteratorINS9_10device_ptrIxEEEEPS5_jNS1_19radix_merge_compareILb0ELb1ExNS0_19identity_decomposerEEEEE10hipError_tT0_T1_T2_jT3_P12ihipStream_tbPNSt15iterator_traitsISK_E10value_typeEPNSQ_ISL_E10value_typeEPSM_NS1_7vsmem_tEENKUlT_SK_SL_SM_E_clIPxSE_SF_SF_EESJ_SZ_SK_SL_SM_EUlSZ_E0_NS1_11comp_targetILNS1_3genE5ELNS1_11target_archE942ELNS1_3gpuE9ELNS1_3repE0EEENS1_38merge_mergepath_config_static_selectorELNS0_4arch9wavefront6targetE1EEEvSL_: ; @_ZN7rocprim17ROCPRIM_400000_NS6detail17trampoline_kernelINS0_14default_configENS1_38merge_sort_block_merge_config_selectorIxNS0_10empty_typeEEEZZNS1_27merge_sort_block_merge_implIS3_N6thrust23THRUST_200600_302600_NS6detail15normal_iteratorINS9_10device_ptrIxEEEEPS5_jNS1_19radix_merge_compareILb0ELb1ExNS0_19identity_decomposerEEEEE10hipError_tT0_T1_T2_jT3_P12ihipStream_tbPNSt15iterator_traitsISK_E10value_typeEPNSQ_ISL_E10value_typeEPSM_NS1_7vsmem_tEENKUlT_SK_SL_SM_E_clIPxSE_SF_SF_EESJ_SZ_SK_SL_SM_EUlSZ_E0_NS1_11comp_targetILNS1_3genE5ELNS1_11target_archE942ELNS1_3gpuE9ELNS1_3repE0EEENS1_38merge_mergepath_config_static_selectorELNS0_4arch9wavefront6targetE1EEEvSL_
; %bb.0:
	s_load_dwordx2 s[18:19], s[0:1], 0x48
	s_load_dword s5, s[0:1], 0x30
	s_add_u32 s8, s0, 0x48
	s_addc_u32 s9, s1, 0
	s_waitcnt lgkmcnt(0)
	s_mul_i32 s4, s19, s4
	s_add_i32 s3, s4, s3
	s_mul_i32 s3, s3, s18
	s_add_i32 s16, s3, s2
	s_cmp_ge_u32 s16, s5
	s_cbranch_scc1 .LBB1477_43
; %bb.1:
	s_load_dwordx2 s[10:11], s[0:1], 0x28
	s_load_dwordx2 s[4:5], s[0:1], 0x40
	;; [unrolled: 1-line block ×3, first 2 shown]
	s_mov_b32 s17, 0
	s_mov_b32 s23, s17
	s_waitcnt lgkmcnt(0)
	s_lshr_b32 s19, s10, 10
	s_cmp_lg_u32 s16, s19
	s_cselect_b64 s[14:15], -1, 0
	s_lshl_b64 s[12:13], s[16:17], 2
	s_add_u32 s4, s4, s12
	s_addc_u32 s5, s5, s13
	s_lshr_b32 s3, s11, 9
	s_and_b32 s3, s3, 0x7ffffe
	s_load_dwordx2 s[4:5], s[4:5], 0x0
	s_sub_i32 s3, 0, s3
	s_and_b32 s13, s16, s3
	s_lshl_b32 s20, s13, 10
	s_lshl_b32 s12, s16, 10
	;; [unrolled: 1-line block ×3, first 2 shown]
	s_sub_i32 s21, s12, s20
	s_add_i32 s13, s13, s11
	s_add_i32 s21, s13, s21
	s_waitcnt lgkmcnt(0)
	s_sub_i32 s22, s21, s4
	s_sub_i32 s21, s21, s5
	;; [unrolled: 1-line block ×3, first 2 shown]
	s_min_u32 s22, s10, s22
	s_addk_i32 s21, 0x400
	s_or_b32 s3, s16, s3
	s_min_u32 s20, s10, s13
	s_add_i32 s13, s13, s11
	s_cmp_eq_u32 s3, -1
	s_cselect_b32 s3, s13, s21
	s_cselect_b32 s5, s20, s5
	s_min_u32 s3, s3, s10
	s_sub_i32 s11, s5, s4
	s_mov_b32 s5, s17
	s_sub_i32 s20, s3, s22
	s_lshl_b64 s[4:5], s[4:5], 3
	s_add_u32 s4, s6, s4
	s_addc_u32 s5, s7, s5
	s_lshl_b64 s[22:23], s[22:23], 3
	s_add_u32 s6, s6, s22
	s_addc_u32 s7, s7, s23
	s_cmp_lt_u32 s2, s18
	v_mov_b32_e32 v19, 0
	s_cselect_b32 s2, 12, 18
	global_load_dword v1, v19, s[8:9] offset:14
	s_add_u32 s2, s8, s2
	s_addc_u32 s3, s9, 0
	global_load_ushort v2, v19, s[2:3]
	s_cmp_eq_u32 s16, s19
	v_lshlrev_b32_e32 v18, 3, v0
	s_waitcnt vmcnt(1)
	v_lshrrev_b32_e32 v3, 16, v1
	v_and_b32_e32 v1, 0xffff, v1
	v_mul_lo_u32 v1, v1, v3
	s_waitcnt vmcnt(0)
	v_mul_lo_u32 v1, v1, v2
	v_add_u32_e32 v22, v1, v0
	v_add_u32_e32 v20, v22, v1
	s_cbranch_scc1 .LBB1477_3
; %bb.2:
	v_subrev_u32_e32 v4, s11, v0
	v_mov_b32_e32 v5, v19
	v_lshl_add_u64 v[2:3], s[4:5], 0, v[18:19]
	v_lshl_add_u64 v[4:5], v[4:5], 3, s[6:7]
	v_cmp_gt_u32_e32 vcc, s11, v0
	v_mov_b32_e32 v23, v19
	v_subrev_u32_e32 v6, s11, v22
	v_mov_b32_e32 v7, v19
	v_cndmask_b32_e32 v3, v5, v3, vcc
	v_cndmask_b32_e32 v2, v4, v2, vcc
	v_lshl_add_u64 v[4:5], v[22:23], 3, s[4:5]
	v_lshl_add_u64 v[6:7], v[6:7], 3, s[6:7]
	v_cmp_gt_u32_e32 vcc, s11, v22
	v_mov_b32_e32 v21, v19
	v_subrev_u32_e32 v8, s11, v20
	v_mov_b32_e32 v9, v19
	v_add_u32_e32 v10, v20, v1
	v_cndmask_b32_e32 v5, v7, v5, vcc
	v_cndmask_b32_e32 v4, v6, v4, vcc
	v_lshl_add_u64 v[6:7], v[20:21], 3, s[4:5]
	v_lshl_add_u64 v[8:9], v[8:9], 3, s[6:7]
	v_cmp_gt_u32_e32 vcc, s11, v20
	v_mov_b32_e32 v11, v19
	v_subrev_u32_e32 v12, s11, v10
	v_mov_b32_e32 v13, v19
	v_cndmask_b32_e32 v7, v9, v7, vcc
	v_cndmask_b32_e32 v6, v8, v6, vcc
	v_lshl_add_u64 v[8:9], v[10:11], 3, s[4:5]
	v_lshl_add_u64 v[12:13], v[12:13], 3, s[6:7]
	v_cmp_gt_u32_e32 vcc, s11, v10
	v_mov_b32_e32 v15, v19
	v_mov_b32_e32 v17, v19
	v_cndmask_b32_e32 v8, v12, v8, vcc
	v_add_u32_e32 v12, v10, v1
	v_cndmask_b32_e32 v9, v13, v9, vcc
	v_mov_b32_e32 v13, v19
	v_subrev_u32_e32 v14, s11, v12
	v_lshl_add_u64 v[10:11], v[12:13], 3, s[4:5]
	v_lshl_add_u64 v[14:15], v[14:15], 3, s[6:7]
	v_cmp_gt_u32_e32 vcc, s11, v12
	v_mov_b32_e32 v25, v19
	v_mov_b32_e32 v27, v19
	v_cndmask_b32_e32 v10, v14, v10, vcc
	v_add_u32_e32 v14, v12, v1
	v_cndmask_b32_e32 v11, v15, v11, vcc
	v_mov_b32_e32 v15, v19
	v_subrev_u32_e32 v16, s11, v14
	v_lshl_add_u64 v[12:13], v[14:15], 3, s[4:5]
	v_lshl_add_u64 v[16:17], v[16:17], 3, s[6:7]
	v_cmp_gt_u32_e32 vcc, s11, v14
	global_load_dwordx2 v[2:3], v[2:3], off
	s_add_i32 s13, s20, s11
	v_cndmask_b32_e32 v13, v17, v13, vcc
	v_cndmask_b32_e32 v12, v16, v12, vcc
	v_add_u32_e32 v16, v14, v1
	v_mov_b32_e32 v17, v19
	v_lshl_add_u64 v[14:15], v[16:17], 3, s[4:5]
	v_subrev_u32_e32 v24, s11, v16
	v_cmp_gt_u32_e32 vcc, s11, v16
	v_add_u32_e32 v16, v16, v1
	v_lshl_add_u64 v[24:25], v[24:25], 3, s[6:7]
	v_subrev_u32_e32 v26, s11, v16
	v_cndmask_b32_e32 v15, v25, v15, vcc
	v_cndmask_b32_e32 v14, v24, v14, vcc
	v_lshl_add_u64 v[24:25], v[16:17], 3, s[4:5]
	v_lshl_add_u64 v[26:27], v[26:27], 3, s[6:7]
	v_cmp_gt_u32_e32 vcc, s11, v16
	global_load_dwordx2 v[4:5], v[4:5], off
	s_nop 0
	v_cndmask_b32_e32 v17, v27, v25, vcc
	v_cndmask_b32_e32 v16, v26, v24, vcc
	global_load_dwordx2 v[6:7], v[6:7], off
	s_nop 0
	global_load_dwordx2 v[8:9], v[8:9], off
	s_nop 0
	;; [unrolled: 2-line block ×5, first 2 shown]
	global_load_dwordx2 v[16:17], v[16:17], off
	s_load_dwordx2 s[16:17], s[0:1], 0x10
	s_load_dwordx2 s[18:19], s[0:1], 0x38
	s_cbranch_execz .LBB1477_4
	s_branch .LBB1477_19
.LBB1477_3:
                                        ; implicit-def: $vgpr2_vgpr3_vgpr4_vgpr5_vgpr6_vgpr7_vgpr8_vgpr9_vgpr10_vgpr11_vgpr12_vgpr13_vgpr14_vgpr15_vgpr16_vgpr17
                                        ; implicit-def: $sgpr13
	s_load_dwordx2 s[16:17], s[0:1], 0x10
	s_load_dwordx2 s[18:19], s[0:1], 0x38
.LBB1477_4:
	s_add_i32 s13, s20, s11
	v_cmp_gt_u32_e32 vcc, s13, v0
                                        ; implicit-def: $vgpr2_vgpr3_vgpr4_vgpr5_vgpr6_vgpr7_vgpr8_vgpr9_vgpr10_vgpr11_vgpr12_vgpr13_vgpr14_vgpr15_vgpr16_vgpr17
	s_and_saveexec_b64 s[0:1], vcc
	s_cbranch_execnz .LBB1477_44
; %bb.5:
	s_or_b64 exec, exec, s[0:1]
	v_cmp_gt_u32_e32 vcc, s13, v22
	s_and_saveexec_b64 s[0:1], vcc
	s_cbranch_execnz .LBB1477_45
.LBB1477_6:
	s_or_b64 exec, exec, s[0:1]
	v_cmp_gt_u32_e32 vcc, s13, v20
	s_and_saveexec_b64 s[0:1], vcc
	s_cbranch_execz .LBB1477_8
.LBB1477_7:
	v_mov_b32_e32 v21, 0
	v_subrev_u32_e32 v22, s11, v20
	v_mov_b32_e32 v23, v21
	s_waitcnt vmcnt(5)
	v_lshl_add_u64 v[6:7], v[20:21], 3, s[4:5]
	v_lshl_add_u64 v[22:23], v[22:23], 3, s[6:7]
	v_cmp_gt_u32_e32 vcc, s11, v20
	s_nop 1
	v_cndmask_b32_e32 v7, v23, v7, vcc
	v_cndmask_b32_e32 v6, v22, v6, vcc
	global_load_dwordx2 v[6:7], v[6:7], off
.LBB1477_8:
	s_or_b64 exec, exec, s[0:1]
	v_add_u32_e32 v20, v20, v1
	v_cmp_gt_u32_e32 vcc, s13, v20
	s_and_saveexec_b64 s[0:1], vcc
	s_cbranch_execz .LBB1477_10
; %bb.9:
	v_mov_b32_e32 v21, 0
	v_subrev_u32_e32 v22, s11, v20
	v_mov_b32_e32 v23, v21
	s_waitcnt vmcnt(4)
	v_lshl_add_u64 v[8:9], v[20:21], 3, s[4:5]
	v_lshl_add_u64 v[22:23], v[22:23], 3, s[6:7]
	v_cmp_gt_u32_e32 vcc, s11, v20
	s_nop 1
	v_cndmask_b32_e32 v9, v23, v9, vcc
	v_cndmask_b32_e32 v8, v22, v8, vcc
	global_load_dwordx2 v[8:9], v[8:9], off
.LBB1477_10:
	s_or_b64 exec, exec, s[0:1]
	v_add_u32_e32 v20, v20, v1
	v_cmp_gt_u32_e32 vcc, s13, v20
	s_and_saveexec_b64 s[0:1], vcc
	s_cbranch_execz .LBB1477_12
; %bb.11:
	v_mov_b32_e32 v21, 0
	v_subrev_u32_e32 v22, s11, v20
	v_mov_b32_e32 v23, v21
	s_waitcnt vmcnt(3)
	v_lshl_add_u64 v[10:11], v[20:21], 3, s[4:5]
	v_lshl_add_u64 v[22:23], v[22:23], 3, s[6:7]
	v_cmp_gt_u32_e32 vcc, s11, v20
	s_nop 1
	v_cndmask_b32_e32 v11, v23, v11, vcc
	v_cndmask_b32_e32 v10, v22, v10, vcc
	global_load_dwordx2 v[10:11], v[10:11], off
.LBB1477_12:
	;; [unrolled: 18-line block ×4, first 2 shown]
	s_or_b64 exec, exec, s[0:1]
	v_add_u32_e32 v20, v20, v1
	v_cmp_gt_u32_e32 vcc, s13, v20
	s_and_saveexec_b64 s[0:1], vcc
	s_cbranch_execz .LBB1477_18
; %bb.17:
	v_mov_b32_e32 v21, 0
	s_waitcnt vmcnt(0)
	v_lshl_add_u64 v[16:17], v[20:21], 3, s[4:5]
	v_cmp_gt_u32_e32 vcc, s11, v20
	v_subrev_u32_e32 v20, s11, v20
	v_lshl_add_u64 v[20:21], v[20:21], 3, s[6:7]
	v_cndmask_b32_e32 v17, v21, v17, vcc
	v_cndmask_b32_e32 v16, v20, v16, vcc
	global_load_dwordx2 v[16:17], v[16:17], off
.LBB1477_18:
	s_or_b64 exec, exec, s[0:1]
.LBB1477_19:
	v_min_u32_e32 v19, s13, v18
	v_sub_u32_e64 v1, v19, s20 clamp
	v_min_u32_e32 v20, s11, v19
	v_cmp_lt_u32_e32 vcc, v1, v20
	s_waitcnt vmcnt(0)
	ds_write2st64_b64 v18, v[2:3], v[4:5] offset1:2
	ds_write2st64_b64 v18, v[6:7], v[8:9] offset0:4 offset1:6
	ds_write2st64_b64 v18, v[10:11], v[12:13] offset0:8 offset1:10
	;; [unrolled: 1-line block ×3, first 2 shown]
	s_waitcnt lgkmcnt(0)
	s_barrier
	s_and_saveexec_b64 s[0:1], vcc
	s_cbranch_execz .LBB1477_23
; %bb.20:
	v_lshlrev_b32_e32 v21, 3, v19
	v_lshl_add_u32 v21, s11, 3, v21
	s_mov_b64 s[2:3], 0
.LBB1477_21:                            ; =>This Inner Loop Header: Depth=1
	v_add_u32_e32 v22, v20, v1
	v_lshrrev_b32_e32 v26, 1, v22
	v_not_b32_e32 v24, v26
	v_lshlrev_b32_e32 v22, 3, v26
	v_lshl_add_u32 v24, v24, 3, v21
	ds_read_b64 v[22:23], v22
	ds_read_b64 v[24:25], v24
	v_add_u32_e32 v27, 1, v26
	s_waitcnt lgkmcnt(1)
	v_and_b32_e32 v23, s19, v23
	v_and_b32_e32 v22, s18, v22
	s_waitcnt lgkmcnt(0)
	v_and_b32_e32 v25, s19, v25
	v_and_b32_e32 v24, s18, v24
	v_cmp_gt_i64_e32 vcc, v[22:23], v[24:25]
	s_nop 1
	v_cndmask_b32_e32 v20, v20, v26, vcc
	v_cndmask_b32_e32 v1, v27, v1, vcc
	v_cmp_ge_u32_e32 vcc, v1, v20
	s_or_b64 s[2:3], vcc, s[2:3]
	s_andn2_b64 exec, exec, s[2:3]
	s_cbranch_execnz .LBB1477_21
; %bb.22:
	s_or_b64 exec, exec, s[2:3]
.LBB1477_23:
	s_or_b64 exec, exec, s[0:1]
	v_sub_u32_e32 v19, v19, v1
	v_add_u32_e32 v19, s11, v19
	v_cmp_ge_u32_e32 vcc, s11, v1
	v_cmp_ge_u32_e64 s[0:1], s13, v19
	s_or_b64 s[0:1], vcc, s[0:1]
	s_and_saveexec_b64 s[20:21], s[0:1]
	s_cbranch_execz .LBB1477_29
; %bb.24:
	v_cmp_gt_u32_e32 vcc, s11, v1
                                        ; implicit-def: $vgpr2_vgpr3
	s_and_saveexec_b64 s[0:1], vcc
	s_cbranch_execz .LBB1477_26
; %bb.25:
	v_lshlrev_b32_e32 v2, 3, v1
	ds_read_b64 v[2:3], v2
.LBB1477_26:
	s_or_b64 exec, exec, s[0:1]
	v_cmp_le_u32_e64 s[0:1], s13, v19
	v_cmp_gt_u32_e64 s[2:3], s13, v19
                                        ; implicit-def: $vgpr4_vgpr5
	s_and_saveexec_b64 s[4:5], s[2:3]
	s_cbranch_execz .LBB1477_28
; %bb.27:
	v_lshlrev_b32_e32 v4, 3, v19
	ds_read_b64 v[4:5], v4
.LBB1477_28:
	s_or_b64 exec, exec, s[4:5]
	s_waitcnt lgkmcnt(0)
	v_and_b32_e32 v7, s19, v5
	v_and_b32_e32 v6, s18, v4
	;; [unrolled: 1-line block ×4, first 2 shown]
	v_cmp_le_i64_e64 s[2:3], v[8:9], v[6:7]
	s_and_b64 s[2:3], vcc, s[2:3]
	s_or_b64 vcc, s[0:1], s[2:3]
	v_mov_b32_e32 v16, s13
	v_mov_b32_e32 v17, s11
	v_cndmask_b32_e32 v6, v19, v1, vcc
	v_cndmask_b32_e32 v7, v16, v17, vcc
	v_add_u32_e32 v8, 1, v6
	v_add_u32_e32 v6, -1, v7
	v_min_u32_e32 v6, v8, v6
	v_lshlrev_b32_e32 v6, 3, v6
	ds_read_b64 v[6:7], v6
	v_cndmask_b32_e32 v14, v8, v19, vcc
	v_cndmask_b32_e32 v1, v1, v8, vcc
	v_cmp_gt_u32_e64 s[2:3], s11, v1
	v_cmp_le_u32_e64 s[0:1], s13, v14
	s_waitcnt lgkmcnt(0)
	v_cndmask_b32_e32 v10, v7, v5, vcc
	v_cndmask_b32_e32 v11, v6, v4, vcc
	;; [unrolled: 1-line block ×4, first 2 shown]
	v_and_b32_e32 v7, s19, v10
	v_and_b32_e32 v6, s18, v11
	;; [unrolled: 1-line block ×4, first 2 shown]
	v_cmp_le_i64_e64 s[4:5], v[8:9], v[6:7]
	s_and_b64 s[2:3], s[2:3], s[4:5]
	s_or_b64 s[0:1], s[0:1], s[2:3]
	v_cndmask_b32_e64 v6, v14, v1, s[0:1]
	v_cndmask_b32_e64 v7, v16, v17, s[0:1]
	v_add_u32_e32 v8, 1, v6
	v_add_u32_e32 v6, -1, v7
	v_min_u32_e32 v6, v8, v6
	v_lshlrev_b32_e32 v6, 3, v6
	ds_read_b64 v[6:7], v6
	v_cndmask_b32_e64 v14, v8, v14, s[0:1]
	v_cndmask_b32_e64 v1, v1, v8, s[0:1]
	v_cmp_gt_u32_e64 s[4:5], s11, v1
	v_cmp_le_u32_e64 s[2:3], s13, v14
	s_waitcnt lgkmcnt(0)
	v_cndmask_b32_e64 v15, v7, v10, s[0:1]
	v_cndmask_b32_e64 v19, v6, v11, s[0:1]
	;; [unrolled: 1-line block ×4, first 2 shown]
	v_and_b32_e32 v7, s19, v15
	v_and_b32_e32 v6, s18, v19
	;; [unrolled: 1-line block ×4, first 2 shown]
	v_cmp_le_i64_e64 s[6:7], v[8:9], v[6:7]
	s_and_b64 s[4:5], s[4:5], s[6:7]
	s_or_b64 s[2:3], s[2:3], s[4:5]
	v_cndmask_b32_e64 v6, v14, v1, s[2:3]
	v_cndmask_b32_e64 v7, v16, v17, s[2:3]
	v_add_u32_e32 v8, 1, v6
	v_add_u32_e32 v6, -1, v7
	v_min_u32_e32 v6, v8, v6
	v_lshlrev_b32_e32 v6, 3, v6
	ds_read_b64 v[6:7], v6
	v_cndmask_b32_e64 v14, v8, v14, s[2:3]
	v_cndmask_b32_e64 v1, v1, v8, s[2:3]
	v_cmp_gt_u32_e64 s[6:7], s11, v1
	v_cmp_le_u32_e64 s[4:5], s13, v14
	s_waitcnt lgkmcnt(0)
	v_cndmask_b32_e64 v22, v7, v15, s[2:3]
	v_cndmask_b32_e64 v23, v6, v19, s[2:3]
	;; [unrolled: 1-line block ×4, first 2 shown]
	v_and_b32_e32 v7, s19, v22
	v_and_b32_e32 v6, s18, v23
	;; [unrolled: 1-line block ×4, first 2 shown]
	v_cmp_le_i64_e64 s[8:9], v[8:9], v[6:7]
	s_and_b64 s[6:7], s[6:7], s[8:9]
	s_or_b64 s[4:5], s[4:5], s[6:7]
	v_cndmask_b32_e64 v6, v14, v1, s[4:5]
	v_cndmask_b32_e64 v7, v16, v17, s[4:5]
	v_add_u32_e32 v8, 1, v6
	v_add_u32_e32 v6, -1, v7
	v_min_u32_e32 v6, v8, v6
	v_lshlrev_b32_e32 v6, 3, v6
	ds_read_b64 v[6:7], v6
	v_cndmask_b32_e32 v3, v5, v3, vcc
	v_cndmask_b32_e32 v2, v4, v2, vcc
	v_cndmask_b32_e64 v1, v1, v8, s[4:5]
	v_cndmask_b32_e64 v14, v8, v14, s[4:5]
	s_waitcnt lgkmcnt(0)
	v_cndmask_b32_e64 v26, v7, v22, s[4:5]
	v_cndmask_b32_e64 v27, v6, v23, s[4:5]
	;; [unrolled: 1-line block ×4, first 2 shown]
	v_and_b32_e32 v5, s19, v26
	v_and_b32_e32 v4, s18, v27
	;; [unrolled: 1-line block ×4, first 2 shown]
	v_cmp_gt_u32_e64 s[6:7], s11, v1
	v_cmp_le_i64_e64 s[8:9], v[6:7], v[4:5]
	v_cmp_le_u32_e32 vcc, s13, v14
	s_and_b64 s[6:7], s[6:7], s[8:9]
	s_or_b64 vcc, vcc, s[6:7]
	v_cndmask_b32_e32 v4, v14, v1, vcc
	v_cndmask_b32_e32 v5, v16, v17, vcc
	v_add_u32_e32 v30, 1, v4
	v_add_u32_e32 v4, -1, v5
	v_min_u32_e32 v4, v30, v4
	v_lshlrev_b32_e32 v4, 3, v4
	ds_read_b64 v[8:9], v4
	v_cndmask_b32_e64 v7, v15, v20, s[2:3]
	v_cndmask_b32_e64 v6, v19, v21, s[2:3]
	;; [unrolled: 1-line block ×4, first 2 shown]
	s_waitcnt lgkmcnt(0)
	v_cndmask_b32_e32 v19, v9, v26, vcc
	v_cndmask_b32_e32 v20, v8, v27, vcc
	;; [unrolled: 1-line block ×5, first 2 shown]
	v_and_b32_e32 v9, s19, v19
	v_and_b32_e32 v8, s18, v20
	;; [unrolled: 1-line block ×4, first 2 shown]
	v_cndmask_b32_e32 v14, v30, v14, vcc
	v_cmp_gt_u32_e64 s[2:3], s11, v1
	v_cmp_le_i64_e64 s[6:7], v[10:11], v[8:9]
	v_cmp_le_u32_e64 s[0:1], s13, v14
	s_and_b64 s[2:3], s[2:3], s[6:7]
	s_or_b64 s[0:1], s[0:1], s[2:3]
	v_cndmask_b32_e64 v8, v14, v1, s[0:1]
	v_cndmask_b32_e64 v9, v16, v17, s[0:1]
	v_add_u32_e32 v15, 1, v8
	v_add_u32_e32 v8, -1, v9
	v_min_u32_e32 v8, v15, v8
	v_lshlrev_b32_e32 v8, 3, v8
	ds_read_b64 v[12:13], v8
	v_cndmask_b32_e64 v9, v22, v24, s[4:5]
	v_cndmask_b32_e64 v8, v23, v25, s[4:5]
	v_cndmask_b32_e32 v11, v26, v28, vcc
	v_cndmask_b32_e64 v26, v15, v14, s[0:1]
	s_waitcnt lgkmcnt(0)
	v_cndmask_b32_e64 v22, v13, v19, s[0:1]
	v_cndmask_b32_e64 v23, v12, v20, s[0:1]
	;; [unrolled: 1-line block ×5, first 2 shown]
	v_and_b32_e32 v13, s19, v22
	v_and_b32_e32 v12, s18, v23
	;; [unrolled: 1-line block ×4, first 2 shown]
	v_cmp_gt_u32_e64 s[2:3], s11, v1
	v_cmp_le_i64_e64 s[4:5], v[14:15], v[12:13]
	v_cndmask_b32_e32 v10, v27, v29, vcc
	v_cmp_le_u32_e32 vcc, s13, v26
	s_and_b64 s[2:3], s[2:3], s[4:5]
	s_or_b64 vcc, vcc, s[2:3]
	v_cndmask_b32_e32 v12, v26, v1, vcc
	v_cndmask_b32_e32 v13, v16, v17, vcc
	v_add_u32_e32 v27, 1, v12
	v_add_u32_e32 v12, -1, v13
	v_min_u32_e32 v12, v27, v12
	v_lshlrev_b32_e32 v12, 3, v12
	ds_read_b64 v[16:17], v12
	v_cndmask_b32_e64 v13, v19, v21, s[0:1]
	v_cndmask_b32_e32 v15, v22, v24, vcc
	v_cndmask_b32_e32 v14, v23, v25, vcc
	v_cndmask_b32_e64 v12, v20, v31, s[0:1]
	s_waitcnt lgkmcnt(0)
	v_cndmask_b32_e32 v19, v17, v22, vcc
	v_cndmask_b32_e32 v22, v16, v23, vcc
	;; [unrolled: 1-line block ×6, first 2 shown]
	v_cmp_le_u32_e32 vcc, s13, v16
	v_and_b32_e32 v17, s19, v19
	v_and_b32_e32 v16, s18, v22
	;; [unrolled: 1-line block ×4, first 2 shown]
	v_cmp_gt_u32_e64 s[0:1], s11, v1
	v_cmp_le_i64_e64 s[2:3], v[20:21], v[16:17]
	s_and_b64 s[0:1], s[0:1], s[2:3]
	s_or_b64 vcc, vcc, s[0:1]
	v_cndmask_b32_e32 v17, v19, v23, vcc
	v_cndmask_b32_e32 v16, v22, v24, vcc
.LBB1477_29:
	s_or_b64 exec, exec, s[20:21]
	v_lshrrev_b32_e32 v1, 2, v0
	v_lshlrev_b32_e32 v19, 3, v18
	v_lshl_add_u32 v19, v1, 3, v19
	v_and_b32_e32 v1, 24, v1
	v_or_b32_e32 v25, 0x80, v0
	v_add_u32_e32 v26, v18, v1
	v_lshrrev_b32_e32 v1, 2, v25
	v_and_b32_e32 v1, 56, v1
	v_or_b32_e32 v24, 0x100, v0
	s_barrier
	s_barrier
	ds_write2_b64 v19, v[2:3], v[4:5] offset1:1
	ds_write2_b64 v19, v[6:7], v[8:9] offset0:2 offset1:3
	ds_write2_b64 v19, v[10:11], v[12:13] offset0:4 offset1:5
	;; [unrolled: 1-line block ×3, first 2 shown]
	v_add_u32_e32 v6, v18, v1
	v_lshrrev_b32_e32 v1, 2, v24
	v_and_b32_e32 v1, 0x58, v1
	v_or_b32_e32 v23, 0x180, v0
	v_add_u32_e32 v7, v18, v1
	v_lshrrev_b32_e32 v1, 2, v23
	v_and_b32_e32 v1, 0x78, v1
	v_or_b32_e32 v22, 0x200, v0
	;; [unrolled: 4-line block ×4, first 2 shown]
	v_add_u32_e32 v27, v18, v1
	v_lshrrev_b32_e32 v1, 2, v20
	s_mov_b32 s13, 0
	v_and_b32_e32 v1, 0xd8, v1
	s_lshl_b64 s[0:1], s[12:13], 3
	v_add_u32_e32 v28, v18, v1
	v_or_b32_e32 v1, 0x380, v0
	s_add_u32 s0, s16, s0
	v_lshrrev_b32_e32 v2, 2, v1
	s_addc_u32 s1, s17, s1
	v_and_b32_e32 v2, 0xf8, v2
	v_mov_b32_e32 v19, 0
	v_add_u32_e32 v29, v18, v2
	v_lshl_add_u64 v[2:3], s[0:1], 0, v[18:19]
	s_and_b64 vcc, exec, s[14:15]
	s_waitcnt lgkmcnt(0)
	s_cbranch_vccz .LBB1477_31
; %bb.30:
	s_barrier
	ds_read_b64 v[10:11], v26
	ds_read_b64 v[12:13], v6 offset:1024
	ds_read_b64 v[14:15], v7 offset:2048
	ds_read_b64 v[16:17], v8 offset:3072
	ds_read_b64 v[18:19], v9 offset:4096
	ds_read_b64 v[30:31], v27 offset:5120
	ds_read_b64 v[32:33], v28 offset:6144
	ds_read_b64 v[4:5], v29 offset:7168
	s_waitcnt lgkmcnt(7)
	global_store_dwordx2 v[2:3], v[10:11], off
	s_waitcnt lgkmcnt(6)
	global_store_dwordx2 v[2:3], v[12:13], off offset:1024
	s_waitcnt lgkmcnt(5)
	global_store_dwordx2 v[2:3], v[14:15], off offset:2048
	s_waitcnt lgkmcnt(4)
	global_store_dwordx2 v[2:3], v[16:17], off offset:3072
	v_add_co_u32_e32 v10, vcc, 0x1000, v2
	s_nop 1
	v_addc_co_u32_e32 v11, vcc, 0, v3, vcc
	s_waitcnt lgkmcnt(3)
	global_store_dwordx2 v[10:11], v[18:19], off
	s_waitcnt lgkmcnt(2)
	global_store_dwordx2 v[10:11], v[30:31], off offset:1024
	s_waitcnt lgkmcnt(1)
	global_store_dwordx2 v[10:11], v[32:33], off offset:2048
	s_mov_b64 s[0:1], -1
	s_cbranch_execz .LBB1477_32
	s_branch .LBB1477_41
.LBB1477_31:
	s_mov_b64 s[0:1], 0
                                        ; implicit-def: $vgpr4_vgpr5
.LBB1477_32:
	s_barrier
	s_waitcnt lgkmcnt(0)
	ds_read_b64 v[16:17], v6 offset:1024
	ds_read_b64 v[14:15], v7 offset:2048
	;; [unrolled: 1-line block ×7, first 2 shown]
	s_sub_i32 s2, s10, s12
	v_cmp_gt_u32_e32 vcc, s2, v0
	s_and_saveexec_b64 s[0:1], vcc
	s_cbranch_execnz .LBB1477_46
; %bb.33:
	s_or_b64 exec, exec, s[0:1]
	v_cmp_gt_u32_e32 vcc, s2, v25
	s_and_saveexec_b64 s[0:1], vcc
	s_cbranch_execnz .LBB1477_47
.LBB1477_34:
	s_or_b64 exec, exec, s[0:1]
	v_cmp_gt_u32_e32 vcc, s2, v24
	s_and_saveexec_b64 s[0:1], vcc
	s_cbranch_execnz .LBB1477_48
.LBB1477_35:
	s_or_b64 exec, exec, s[0:1]
	v_cmp_gt_u32_e32 vcc, s2, v23
	s_and_saveexec_b64 s[0:1], vcc
	s_cbranch_execnz .LBB1477_49
.LBB1477_36:
	s_or_b64 exec, exec, s[0:1]
	v_cmp_gt_u32_e32 vcc, s2, v22
	s_and_saveexec_b64 s[0:1], vcc
	s_cbranch_execnz .LBB1477_50
.LBB1477_37:
	s_or_b64 exec, exec, s[0:1]
	v_cmp_gt_u32_e32 vcc, s2, v21
	s_and_saveexec_b64 s[0:1], vcc
	s_cbranch_execnz .LBB1477_51
.LBB1477_38:
	s_or_b64 exec, exec, s[0:1]
	v_cmp_gt_u32_e32 vcc, s2, v20
	s_and_saveexec_b64 s[0:1], vcc
	s_cbranch_execz .LBB1477_40
.LBB1477_39:
	s_waitcnt lgkmcnt(2)
	v_add_co_u32_e32 v8, vcc, 0x1000, v2
	s_nop 1
	v_addc_co_u32_e32 v9, vcc, 0, v3, vcc
	s_waitcnt lgkmcnt(1)
	global_store_dwordx2 v[8:9], v[6:7], off offset:2048
.LBB1477_40:
	s_or_b64 exec, exec, s[0:1]
	v_cmp_gt_u32_e64 s[0:1], s2, v1
.LBB1477_41:
	s_and_saveexec_b64 s[2:3], s[0:1]
	s_cbranch_execz .LBB1477_43
; %bb.42:
	v_add_co_u32_e32 v0, vcc, 0x1000, v2
	s_nop 1
	v_addc_co_u32_e32 v1, vcc, 0, v3, vcc
	s_waitcnt lgkmcnt(0)
	global_store_dwordx2 v[0:1], v[4:5], off offset:3072
.LBB1477_43:
	s_endpgm
.LBB1477_44:
	v_mov_b32_e32 v19, 0
	s_waitcnt vmcnt(6)
	v_subrev_u32_e32 v4, s11, v0
	v_mov_b32_e32 v5, v19
	v_lshl_add_u64 v[2:3], s[4:5], 0, v[18:19]
	v_lshl_add_u64 v[4:5], v[4:5], 3, s[6:7]
	v_cmp_gt_u32_e32 vcc, s11, v0
	s_nop 1
	v_cndmask_b32_e32 v3, v5, v3, vcc
	v_cndmask_b32_e32 v2, v4, v2, vcc
	global_load_dwordx2 v[2:3], v[2:3], off
	s_or_b64 exec, exec, s[0:1]
	v_cmp_gt_u32_e32 vcc, s13, v22
	s_and_saveexec_b64 s[0:1], vcc
	s_cbranch_execz .LBB1477_6
.LBB1477_45:
	v_mov_b32_e32 v23, 0
	s_waitcnt vmcnt(6)
	v_lshl_add_u64 v[4:5], v[22:23], 3, s[4:5]
	v_cmp_gt_u32_e32 vcc, s11, v22
	v_subrev_u32_e32 v22, s11, v22
	v_lshl_add_u64 v[22:23], v[22:23], 3, s[6:7]
	v_cndmask_b32_e32 v5, v23, v5, vcc
	v_cndmask_b32_e32 v4, v22, v4, vcc
	global_load_dwordx2 v[4:5], v[4:5], off
	s_or_b64 exec, exec, s[0:1]
	v_cmp_gt_u32_e32 vcc, s13, v20
	s_and_saveexec_b64 s[0:1], vcc
	s_cbranch_execnz .LBB1477_7
	s_branch .LBB1477_8
.LBB1477_46:
	ds_read_b64 v[18:19], v26
	s_waitcnt lgkmcnt(0)
	global_store_dwordx2 v[2:3], v[18:19], off
	s_or_b64 exec, exec, s[0:1]
	v_cmp_gt_u32_e32 vcc, s2, v25
	s_and_saveexec_b64 s[0:1], vcc
	s_cbranch_execz .LBB1477_34
.LBB1477_47:
	s_waitcnt lgkmcnt(6)
	global_store_dwordx2 v[2:3], v[16:17], off offset:1024
	s_or_b64 exec, exec, s[0:1]
	v_cmp_gt_u32_e32 vcc, s2, v24
	s_and_saveexec_b64 s[0:1], vcc
	s_cbranch_execz .LBB1477_35
.LBB1477_48:
	s_waitcnt lgkmcnt(5)
	global_store_dwordx2 v[2:3], v[14:15], off offset:2048
	s_or_b64 exec, exec, s[0:1]
	v_cmp_gt_u32_e32 vcc, s2, v23
	s_and_saveexec_b64 s[0:1], vcc
	s_cbranch_execz .LBB1477_36
.LBB1477_49:
	s_waitcnt lgkmcnt(4)
	global_store_dwordx2 v[2:3], v[12:13], off offset:3072
	s_or_b64 exec, exec, s[0:1]
	v_cmp_gt_u32_e32 vcc, s2, v22
	s_and_saveexec_b64 s[0:1], vcc
	s_cbranch_execz .LBB1477_37
.LBB1477_50:
	s_waitcnt lgkmcnt(4)
	v_add_co_u32_e32 v12, vcc, 0x1000, v2
	s_nop 1
	v_addc_co_u32_e32 v13, vcc, 0, v3, vcc
	s_waitcnt lgkmcnt(3)
	global_store_dwordx2 v[12:13], v[10:11], off
	s_or_b64 exec, exec, s[0:1]
	v_cmp_gt_u32_e32 vcc, s2, v21
	s_and_saveexec_b64 s[0:1], vcc
	s_cbranch_execz .LBB1477_38
.LBB1477_51:
	s_waitcnt lgkmcnt(3)
	v_add_co_u32_e32 v10, vcc, 0x1000, v2
	s_nop 1
	v_addc_co_u32_e32 v11, vcc, 0, v3, vcc
	s_waitcnt lgkmcnt(2)
	global_store_dwordx2 v[10:11], v[8:9], off offset:1024
	s_or_b64 exec, exec, s[0:1]
	v_cmp_gt_u32_e32 vcc, s2, v20
	s_and_saveexec_b64 s[0:1], vcc
	s_cbranch_execnz .LBB1477_39
	s_branch .LBB1477_40
	.section	.rodata,"a",@progbits
	.p2align	6, 0x0
	.amdhsa_kernel _ZN7rocprim17ROCPRIM_400000_NS6detail17trampoline_kernelINS0_14default_configENS1_38merge_sort_block_merge_config_selectorIxNS0_10empty_typeEEEZZNS1_27merge_sort_block_merge_implIS3_N6thrust23THRUST_200600_302600_NS6detail15normal_iteratorINS9_10device_ptrIxEEEEPS5_jNS1_19radix_merge_compareILb0ELb1ExNS0_19identity_decomposerEEEEE10hipError_tT0_T1_T2_jT3_P12ihipStream_tbPNSt15iterator_traitsISK_E10value_typeEPNSQ_ISL_E10value_typeEPSM_NS1_7vsmem_tEENKUlT_SK_SL_SM_E_clIPxSE_SF_SF_EESJ_SZ_SK_SL_SM_EUlSZ_E0_NS1_11comp_targetILNS1_3genE5ELNS1_11target_archE942ELNS1_3gpuE9ELNS1_3repE0EEENS1_38merge_mergepath_config_static_selectorELNS0_4arch9wavefront6targetE1EEEvSL_
		.amdhsa_group_segment_fixed_size 8448
		.amdhsa_private_segment_fixed_size 0
		.amdhsa_kernarg_size 328
		.amdhsa_user_sgpr_count 2
		.amdhsa_user_sgpr_dispatch_ptr 0
		.amdhsa_user_sgpr_queue_ptr 0
		.amdhsa_user_sgpr_kernarg_segment_ptr 1
		.amdhsa_user_sgpr_dispatch_id 0
		.amdhsa_user_sgpr_kernarg_preload_length 0
		.amdhsa_user_sgpr_kernarg_preload_offset 0
		.amdhsa_user_sgpr_private_segment_size 0
		.amdhsa_uses_dynamic_stack 0
		.amdhsa_enable_private_segment 0
		.amdhsa_system_sgpr_workgroup_id_x 1
		.amdhsa_system_sgpr_workgroup_id_y 1
		.amdhsa_system_sgpr_workgroup_id_z 1
		.amdhsa_system_sgpr_workgroup_info 0
		.amdhsa_system_vgpr_workitem_id 0
		.amdhsa_next_free_vgpr 34
		.amdhsa_next_free_sgpr 24
		.amdhsa_accum_offset 36
		.amdhsa_reserve_vcc 1
		.amdhsa_float_round_mode_32 0
		.amdhsa_float_round_mode_16_64 0
		.amdhsa_float_denorm_mode_32 3
		.amdhsa_float_denorm_mode_16_64 3
		.amdhsa_dx10_clamp 1
		.amdhsa_ieee_mode 1
		.amdhsa_fp16_overflow 0
		.amdhsa_tg_split 0
		.amdhsa_exception_fp_ieee_invalid_op 0
		.amdhsa_exception_fp_denorm_src 0
		.amdhsa_exception_fp_ieee_div_zero 0
		.amdhsa_exception_fp_ieee_overflow 0
		.amdhsa_exception_fp_ieee_underflow 0
		.amdhsa_exception_fp_ieee_inexact 0
		.amdhsa_exception_int_div_zero 0
	.end_amdhsa_kernel
	.section	.text._ZN7rocprim17ROCPRIM_400000_NS6detail17trampoline_kernelINS0_14default_configENS1_38merge_sort_block_merge_config_selectorIxNS0_10empty_typeEEEZZNS1_27merge_sort_block_merge_implIS3_N6thrust23THRUST_200600_302600_NS6detail15normal_iteratorINS9_10device_ptrIxEEEEPS5_jNS1_19radix_merge_compareILb0ELb1ExNS0_19identity_decomposerEEEEE10hipError_tT0_T1_T2_jT3_P12ihipStream_tbPNSt15iterator_traitsISK_E10value_typeEPNSQ_ISL_E10value_typeEPSM_NS1_7vsmem_tEENKUlT_SK_SL_SM_E_clIPxSE_SF_SF_EESJ_SZ_SK_SL_SM_EUlSZ_E0_NS1_11comp_targetILNS1_3genE5ELNS1_11target_archE942ELNS1_3gpuE9ELNS1_3repE0EEENS1_38merge_mergepath_config_static_selectorELNS0_4arch9wavefront6targetE1EEEvSL_,"axG",@progbits,_ZN7rocprim17ROCPRIM_400000_NS6detail17trampoline_kernelINS0_14default_configENS1_38merge_sort_block_merge_config_selectorIxNS0_10empty_typeEEEZZNS1_27merge_sort_block_merge_implIS3_N6thrust23THRUST_200600_302600_NS6detail15normal_iteratorINS9_10device_ptrIxEEEEPS5_jNS1_19radix_merge_compareILb0ELb1ExNS0_19identity_decomposerEEEEE10hipError_tT0_T1_T2_jT3_P12ihipStream_tbPNSt15iterator_traitsISK_E10value_typeEPNSQ_ISL_E10value_typeEPSM_NS1_7vsmem_tEENKUlT_SK_SL_SM_E_clIPxSE_SF_SF_EESJ_SZ_SK_SL_SM_EUlSZ_E0_NS1_11comp_targetILNS1_3genE5ELNS1_11target_archE942ELNS1_3gpuE9ELNS1_3repE0EEENS1_38merge_mergepath_config_static_selectorELNS0_4arch9wavefront6targetE1EEEvSL_,comdat
.Lfunc_end1477:
	.size	_ZN7rocprim17ROCPRIM_400000_NS6detail17trampoline_kernelINS0_14default_configENS1_38merge_sort_block_merge_config_selectorIxNS0_10empty_typeEEEZZNS1_27merge_sort_block_merge_implIS3_N6thrust23THRUST_200600_302600_NS6detail15normal_iteratorINS9_10device_ptrIxEEEEPS5_jNS1_19radix_merge_compareILb0ELb1ExNS0_19identity_decomposerEEEEE10hipError_tT0_T1_T2_jT3_P12ihipStream_tbPNSt15iterator_traitsISK_E10value_typeEPNSQ_ISL_E10value_typeEPSM_NS1_7vsmem_tEENKUlT_SK_SL_SM_E_clIPxSE_SF_SF_EESJ_SZ_SK_SL_SM_EUlSZ_E0_NS1_11comp_targetILNS1_3genE5ELNS1_11target_archE942ELNS1_3gpuE9ELNS1_3repE0EEENS1_38merge_mergepath_config_static_selectorELNS0_4arch9wavefront6targetE1EEEvSL_, .Lfunc_end1477-_ZN7rocprim17ROCPRIM_400000_NS6detail17trampoline_kernelINS0_14default_configENS1_38merge_sort_block_merge_config_selectorIxNS0_10empty_typeEEEZZNS1_27merge_sort_block_merge_implIS3_N6thrust23THRUST_200600_302600_NS6detail15normal_iteratorINS9_10device_ptrIxEEEEPS5_jNS1_19radix_merge_compareILb0ELb1ExNS0_19identity_decomposerEEEEE10hipError_tT0_T1_T2_jT3_P12ihipStream_tbPNSt15iterator_traitsISK_E10value_typeEPNSQ_ISL_E10value_typeEPSM_NS1_7vsmem_tEENKUlT_SK_SL_SM_E_clIPxSE_SF_SF_EESJ_SZ_SK_SL_SM_EUlSZ_E0_NS1_11comp_targetILNS1_3genE5ELNS1_11target_archE942ELNS1_3gpuE9ELNS1_3repE0EEENS1_38merge_mergepath_config_static_selectorELNS0_4arch9wavefront6targetE1EEEvSL_
                                        ; -- End function
	.section	.AMDGPU.csdata,"",@progbits
; Kernel info:
; codeLenInByte = 3676
; NumSgprs: 30
; NumVgprs: 34
; NumAgprs: 0
; TotalNumVgprs: 34
; ScratchSize: 0
; MemoryBound: 0
; FloatMode: 240
; IeeeMode: 1
; LDSByteSize: 8448 bytes/workgroup (compile time only)
; SGPRBlocks: 3
; VGPRBlocks: 4
; NumSGPRsForWavesPerEU: 30
; NumVGPRsForWavesPerEU: 34
; AccumOffset: 36
; Occupancy: 4
; WaveLimiterHint : 1
; COMPUTE_PGM_RSRC2:SCRATCH_EN: 0
; COMPUTE_PGM_RSRC2:USER_SGPR: 2
; COMPUTE_PGM_RSRC2:TRAP_HANDLER: 0
; COMPUTE_PGM_RSRC2:TGID_X_EN: 1
; COMPUTE_PGM_RSRC2:TGID_Y_EN: 1
; COMPUTE_PGM_RSRC2:TGID_Z_EN: 1
; COMPUTE_PGM_RSRC2:TIDIG_COMP_CNT: 0
; COMPUTE_PGM_RSRC3_GFX90A:ACCUM_OFFSET: 8
; COMPUTE_PGM_RSRC3_GFX90A:TG_SPLIT: 0
	.section	.text._ZN7rocprim17ROCPRIM_400000_NS6detail17trampoline_kernelINS0_14default_configENS1_38merge_sort_block_merge_config_selectorIxNS0_10empty_typeEEEZZNS1_27merge_sort_block_merge_implIS3_N6thrust23THRUST_200600_302600_NS6detail15normal_iteratorINS9_10device_ptrIxEEEEPS5_jNS1_19radix_merge_compareILb0ELb1ExNS0_19identity_decomposerEEEEE10hipError_tT0_T1_T2_jT3_P12ihipStream_tbPNSt15iterator_traitsISK_E10value_typeEPNSQ_ISL_E10value_typeEPSM_NS1_7vsmem_tEENKUlT_SK_SL_SM_E_clIPxSE_SF_SF_EESJ_SZ_SK_SL_SM_EUlSZ_E0_NS1_11comp_targetILNS1_3genE4ELNS1_11target_archE910ELNS1_3gpuE8ELNS1_3repE0EEENS1_38merge_mergepath_config_static_selectorELNS0_4arch9wavefront6targetE1EEEvSL_,"axG",@progbits,_ZN7rocprim17ROCPRIM_400000_NS6detail17trampoline_kernelINS0_14default_configENS1_38merge_sort_block_merge_config_selectorIxNS0_10empty_typeEEEZZNS1_27merge_sort_block_merge_implIS3_N6thrust23THRUST_200600_302600_NS6detail15normal_iteratorINS9_10device_ptrIxEEEEPS5_jNS1_19radix_merge_compareILb0ELb1ExNS0_19identity_decomposerEEEEE10hipError_tT0_T1_T2_jT3_P12ihipStream_tbPNSt15iterator_traitsISK_E10value_typeEPNSQ_ISL_E10value_typeEPSM_NS1_7vsmem_tEENKUlT_SK_SL_SM_E_clIPxSE_SF_SF_EESJ_SZ_SK_SL_SM_EUlSZ_E0_NS1_11comp_targetILNS1_3genE4ELNS1_11target_archE910ELNS1_3gpuE8ELNS1_3repE0EEENS1_38merge_mergepath_config_static_selectorELNS0_4arch9wavefront6targetE1EEEvSL_,comdat
	.protected	_ZN7rocprim17ROCPRIM_400000_NS6detail17trampoline_kernelINS0_14default_configENS1_38merge_sort_block_merge_config_selectorIxNS0_10empty_typeEEEZZNS1_27merge_sort_block_merge_implIS3_N6thrust23THRUST_200600_302600_NS6detail15normal_iteratorINS9_10device_ptrIxEEEEPS5_jNS1_19radix_merge_compareILb0ELb1ExNS0_19identity_decomposerEEEEE10hipError_tT0_T1_T2_jT3_P12ihipStream_tbPNSt15iterator_traitsISK_E10value_typeEPNSQ_ISL_E10value_typeEPSM_NS1_7vsmem_tEENKUlT_SK_SL_SM_E_clIPxSE_SF_SF_EESJ_SZ_SK_SL_SM_EUlSZ_E0_NS1_11comp_targetILNS1_3genE4ELNS1_11target_archE910ELNS1_3gpuE8ELNS1_3repE0EEENS1_38merge_mergepath_config_static_selectorELNS0_4arch9wavefront6targetE1EEEvSL_ ; -- Begin function _ZN7rocprim17ROCPRIM_400000_NS6detail17trampoline_kernelINS0_14default_configENS1_38merge_sort_block_merge_config_selectorIxNS0_10empty_typeEEEZZNS1_27merge_sort_block_merge_implIS3_N6thrust23THRUST_200600_302600_NS6detail15normal_iteratorINS9_10device_ptrIxEEEEPS5_jNS1_19radix_merge_compareILb0ELb1ExNS0_19identity_decomposerEEEEE10hipError_tT0_T1_T2_jT3_P12ihipStream_tbPNSt15iterator_traitsISK_E10value_typeEPNSQ_ISL_E10value_typeEPSM_NS1_7vsmem_tEENKUlT_SK_SL_SM_E_clIPxSE_SF_SF_EESJ_SZ_SK_SL_SM_EUlSZ_E0_NS1_11comp_targetILNS1_3genE4ELNS1_11target_archE910ELNS1_3gpuE8ELNS1_3repE0EEENS1_38merge_mergepath_config_static_selectorELNS0_4arch9wavefront6targetE1EEEvSL_
	.globl	_ZN7rocprim17ROCPRIM_400000_NS6detail17trampoline_kernelINS0_14default_configENS1_38merge_sort_block_merge_config_selectorIxNS0_10empty_typeEEEZZNS1_27merge_sort_block_merge_implIS3_N6thrust23THRUST_200600_302600_NS6detail15normal_iteratorINS9_10device_ptrIxEEEEPS5_jNS1_19radix_merge_compareILb0ELb1ExNS0_19identity_decomposerEEEEE10hipError_tT0_T1_T2_jT3_P12ihipStream_tbPNSt15iterator_traitsISK_E10value_typeEPNSQ_ISL_E10value_typeEPSM_NS1_7vsmem_tEENKUlT_SK_SL_SM_E_clIPxSE_SF_SF_EESJ_SZ_SK_SL_SM_EUlSZ_E0_NS1_11comp_targetILNS1_3genE4ELNS1_11target_archE910ELNS1_3gpuE8ELNS1_3repE0EEENS1_38merge_mergepath_config_static_selectorELNS0_4arch9wavefront6targetE1EEEvSL_
	.p2align	8
	.type	_ZN7rocprim17ROCPRIM_400000_NS6detail17trampoline_kernelINS0_14default_configENS1_38merge_sort_block_merge_config_selectorIxNS0_10empty_typeEEEZZNS1_27merge_sort_block_merge_implIS3_N6thrust23THRUST_200600_302600_NS6detail15normal_iteratorINS9_10device_ptrIxEEEEPS5_jNS1_19radix_merge_compareILb0ELb1ExNS0_19identity_decomposerEEEEE10hipError_tT0_T1_T2_jT3_P12ihipStream_tbPNSt15iterator_traitsISK_E10value_typeEPNSQ_ISL_E10value_typeEPSM_NS1_7vsmem_tEENKUlT_SK_SL_SM_E_clIPxSE_SF_SF_EESJ_SZ_SK_SL_SM_EUlSZ_E0_NS1_11comp_targetILNS1_3genE4ELNS1_11target_archE910ELNS1_3gpuE8ELNS1_3repE0EEENS1_38merge_mergepath_config_static_selectorELNS0_4arch9wavefront6targetE1EEEvSL_,@function
_ZN7rocprim17ROCPRIM_400000_NS6detail17trampoline_kernelINS0_14default_configENS1_38merge_sort_block_merge_config_selectorIxNS0_10empty_typeEEEZZNS1_27merge_sort_block_merge_implIS3_N6thrust23THRUST_200600_302600_NS6detail15normal_iteratorINS9_10device_ptrIxEEEEPS5_jNS1_19radix_merge_compareILb0ELb1ExNS0_19identity_decomposerEEEEE10hipError_tT0_T1_T2_jT3_P12ihipStream_tbPNSt15iterator_traitsISK_E10value_typeEPNSQ_ISL_E10value_typeEPSM_NS1_7vsmem_tEENKUlT_SK_SL_SM_E_clIPxSE_SF_SF_EESJ_SZ_SK_SL_SM_EUlSZ_E0_NS1_11comp_targetILNS1_3genE4ELNS1_11target_archE910ELNS1_3gpuE8ELNS1_3repE0EEENS1_38merge_mergepath_config_static_selectorELNS0_4arch9wavefront6targetE1EEEvSL_: ; @_ZN7rocprim17ROCPRIM_400000_NS6detail17trampoline_kernelINS0_14default_configENS1_38merge_sort_block_merge_config_selectorIxNS0_10empty_typeEEEZZNS1_27merge_sort_block_merge_implIS3_N6thrust23THRUST_200600_302600_NS6detail15normal_iteratorINS9_10device_ptrIxEEEEPS5_jNS1_19radix_merge_compareILb0ELb1ExNS0_19identity_decomposerEEEEE10hipError_tT0_T1_T2_jT3_P12ihipStream_tbPNSt15iterator_traitsISK_E10value_typeEPNSQ_ISL_E10value_typeEPSM_NS1_7vsmem_tEENKUlT_SK_SL_SM_E_clIPxSE_SF_SF_EESJ_SZ_SK_SL_SM_EUlSZ_E0_NS1_11comp_targetILNS1_3genE4ELNS1_11target_archE910ELNS1_3gpuE8ELNS1_3repE0EEENS1_38merge_mergepath_config_static_selectorELNS0_4arch9wavefront6targetE1EEEvSL_
; %bb.0:
	.section	.rodata,"a",@progbits
	.p2align	6, 0x0
	.amdhsa_kernel _ZN7rocprim17ROCPRIM_400000_NS6detail17trampoline_kernelINS0_14default_configENS1_38merge_sort_block_merge_config_selectorIxNS0_10empty_typeEEEZZNS1_27merge_sort_block_merge_implIS3_N6thrust23THRUST_200600_302600_NS6detail15normal_iteratorINS9_10device_ptrIxEEEEPS5_jNS1_19radix_merge_compareILb0ELb1ExNS0_19identity_decomposerEEEEE10hipError_tT0_T1_T2_jT3_P12ihipStream_tbPNSt15iterator_traitsISK_E10value_typeEPNSQ_ISL_E10value_typeEPSM_NS1_7vsmem_tEENKUlT_SK_SL_SM_E_clIPxSE_SF_SF_EESJ_SZ_SK_SL_SM_EUlSZ_E0_NS1_11comp_targetILNS1_3genE4ELNS1_11target_archE910ELNS1_3gpuE8ELNS1_3repE0EEENS1_38merge_mergepath_config_static_selectorELNS0_4arch9wavefront6targetE1EEEvSL_
		.amdhsa_group_segment_fixed_size 0
		.amdhsa_private_segment_fixed_size 0
		.amdhsa_kernarg_size 72
		.amdhsa_user_sgpr_count 2
		.amdhsa_user_sgpr_dispatch_ptr 0
		.amdhsa_user_sgpr_queue_ptr 0
		.amdhsa_user_sgpr_kernarg_segment_ptr 1
		.amdhsa_user_sgpr_dispatch_id 0
		.amdhsa_user_sgpr_kernarg_preload_length 0
		.amdhsa_user_sgpr_kernarg_preload_offset 0
		.amdhsa_user_sgpr_private_segment_size 0
		.amdhsa_uses_dynamic_stack 0
		.amdhsa_enable_private_segment 0
		.amdhsa_system_sgpr_workgroup_id_x 1
		.amdhsa_system_sgpr_workgroup_id_y 0
		.amdhsa_system_sgpr_workgroup_id_z 0
		.amdhsa_system_sgpr_workgroup_info 0
		.amdhsa_system_vgpr_workitem_id 0
		.amdhsa_next_free_vgpr 1
		.amdhsa_next_free_sgpr 0
		.amdhsa_accum_offset 4
		.amdhsa_reserve_vcc 0
		.amdhsa_float_round_mode_32 0
		.amdhsa_float_round_mode_16_64 0
		.amdhsa_float_denorm_mode_32 3
		.amdhsa_float_denorm_mode_16_64 3
		.amdhsa_dx10_clamp 1
		.amdhsa_ieee_mode 1
		.amdhsa_fp16_overflow 0
		.amdhsa_tg_split 0
		.amdhsa_exception_fp_ieee_invalid_op 0
		.amdhsa_exception_fp_denorm_src 0
		.amdhsa_exception_fp_ieee_div_zero 0
		.amdhsa_exception_fp_ieee_overflow 0
		.amdhsa_exception_fp_ieee_underflow 0
		.amdhsa_exception_fp_ieee_inexact 0
		.amdhsa_exception_int_div_zero 0
	.end_amdhsa_kernel
	.section	.text._ZN7rocprim17ROCPRIM_400000_NS6detail17trampoline_kernelINS0_14default_configENS1_38merge_sort_block_merge_config_selectorIxNS0_10empty_typeEEEZZNS1_27merge_sort_block_merge_implIS3_N6thrust23THRUST_200600_302600_NS6detail15normal_iteratorINS9_10device_ptrIxEEEEPS5_jNS1_19radix_merge_compareILb0ELb1ExNS0_19identity_decomposerEEEEE10hipError_tT0_T1_T2_jT3_P12ihipStream_tbPNSt15iterator_traitsISK_E10value_typeEPNSQ_ISL_E10value_typeEPSM_NS1_7vsmem_tEENKUlT_SK_SL_SM_E_clIPxSE_SF_SF_EESJ_SZ_SK_SL_SM_EUlSZ_E0_NS1_11comp_targetILNS1_3genE4ELNS1_11target_archE910ELNS1_3gpuE8ELNS1_3repE0EEENS1_38merge_mergepath_config_static_selectorELNS0_4arch9wavefront6targetE1EEEvSL_,"axG",@progbits,_ZN7rocprim17ROCPRIM_400000_NS6detail17trampoline_kernelINS0_14default_configENS1_38merge_sort_block_merge_config_selectorIxNS0_10empty_typeEEEZZNS1_27merge_sort_block_merge_implIS3_N6thrust23THRUST_200600_302600_NS6detail15normal_iteratorINS9_10device_ptrIxEEEEPS5_jNS1_19radix_merge_compareILb0ELb1ExNS0_19identity_decomposerEEEEE10hipError_tT0_T1_T2_jT3_P12ihipStream_tbPNSt15iterator_traitsISK_E10value_typeEPNSQ_ISL_E10value_typeEPSM_NS1_7vsmem_tEENKUlT_SK_SL_SM_E_clIPxSE_SF_SF_EESJ_SZ_SK_SL_SM_EUlSZ_E0_NS1_11comp_targetILNS1_3genE4ELNS1_11target_archE910ELNS1_3gpuE8ELNS1_3repE0EEENS1_38merge_mergepath_config_static_selectorELNS0_4arch9wavefront6targetE1EEEvSL_,comdat
.Lfunc_end1478:
	.size	_ZN7rocprim17ROCPRIM_400000_NS6detail17trampoline_kernelINS0_14default_configENS1_38merge_sort_block_merge_config_selectorIxNS0_10empty_typeEEEZZNS1_27merge_sort_block_merge_implIS3_N6thrust23THRUST_200600_302600_NS6detail15normal_iteratorINS9_10device_ptrIxEEEEPS5_jNS1_19radix_merge_compareILb0ELb1ExNS0_19identity_decomposerEEEEE10hipError_tT0_T1_T2_jT3_P12ihipStream_tbPNSt15iterator_traitsISK_E10value_typeEPNSQ_ISL_E10value_typeEPSM_NS1_7vsmem_tEENKUlT_SK_SL_SM_E_clIPxSE_SF_SF_EESJ_SZ_SK_SL_SM_EUlSZ_E0_NS1_11comp_targetILNS1_3genE4ELNS1_11target_archE910ELNS1_3gpuE8ELNS1_3repE0EEENS1_38merge_mergepath_config_static_selectorELNS0_4arch9wavefront6targetE1EEEvSL_, .Lfunc_end1478-_ZN7rocprim17ROCPRIM_400000_NS6detail17trampoline_kernelINS0_14default_configENS1_38merge_sort_block_merge_config_selectorIxNS0_10empty_typeEEEZZNS1_27merge_sort_block_merge_implIS3_N6thrust23THRUST_200600_302600_NS6detail15normal_iteratorINS9_10device_ptrIxEEEEPS5_jNS1_19radix_merge_compareILb0ELb1ExNS0_19identity_decomposerEEEEE10hipError_tT0_T1_T2_jT3_P12ihipStream_tbPNSt15iterator_traitsISK_E10value_typeEPNSQ_ISL_E10value_typeEPSM_NS1_7vsmem_tEENKUlT_SK_SL_SM_E_clIPxSE_SF_SF_EESJ_SZ_SK_SL_SM_EUlSZ_E0_NS1_11comp_targetILNS1_3genE4ELNS1_11target_archE910ELNS1_3gpuE8ELNS1_3repE0EEENS1_38merge_mergepath_config_static_selectorELNS0_4arch9wavefront6targetE1EEEvSL_
                                        ; -- End function
	.section	.AMDGPU.csdata,"",@progbits
; Kernel info:
; codeLenInByte = 0
; NumSgprs: 6
; NumVgprs: 0
; NumAgprs: 0
; TotalNumVgprs: 0
; ScratchSize: 0
; MemoryBound: 0
; FloatMode: 240
; IeeeMode: 1
; LDSByteSize: 0 bytes/workgroup (compile time only)
; SGPRBlocks: 0
; VGPRBlocks: 0
; NumSGPRsForWavesPerEU: 6
; NumVGPRsForWavesPerEU: 1
; AccumOffset: 4
; Occupancy: 8
; WaveLimiterHint : 0
; COMPUTE_PGM_RSRC2:SCRATCH_EN: 0
; COMPUTE_PGM_RSRC2:USER_SGPR: 2
; COMPUTE_PGM_RSRC2:TRAP_HANDLER: 0
; COMPUTE_PGM_RSRC2:TGID_X_EN: 1
; COMPUTE_PGM_RSRC2:TGID_Y_EN: 0
; COMPUTE_PGM_RSRC2:TGID_Z_EN: 0
; COMPUTE_PGM_RSRC2:TIDIG_COMP_CNT: 0
; COMPUTE_PGM_RSRC3_GFX90A:ACCUM_OFFSET: 0
; COMPUTE_PGM_RSRC3_GFX90A:TG_SPLIT: 0
	.section	.text._ZN7rocprim17ROCPRIM_400000_NS6detail17trampoline_kernelINS0_14default_configENS1_38merge_sort_block_merge_config_selectorIxNS0_10empty_typeEEEZZNS1_27merge_sort_block_merge_implIS3_N6thrust23THRUST_200600_302600_NS6detail15normal_iteratorINS9_10device_ptrIxEEEEPS5_jNS1_19radix_merge_compareILb0ELb1ExNS0_19identity_decomposerEEEEE10hipError_tT0_T1_T2_jT3_P12ihipStream_tbPNSt15iterator_traitsISK_E10value_typeEPNSQ_ISL_E10value_typeEPSM_NS1_7vsmem_tEENKUlT_SK_SL_SM_E_clIPxSE_SF_SF_EESJ_SZ_SK_SL_SM_EUlSZ_E0_NS1_11comp_targetILNS1_3genE3ELNS1_11target_archE908ELNS1_3gpuE7ELNS1_3repE0EEENS1_38merge_mergepath_config_static_selectorELNS0_4arch9wavefront6targetE1EEEvSL_,"axG",@progbits,_ZN7rocprim17ROCPRIM_400000_NS6detail17trampoline_kernelINS0_14default_configENS1_38merge_sort_block_merge_config_selectorIxNS0_10empty_typeEEEZZNS1_27merge_sort_block_merge_implIS3_N6thrust23THRUST_200600_302600_NS6detail15normal_iteratorINS9_10device_ptrIxEEEEPS5_jNS1_19radix_merge_compareILb0ELb1ExNS0_19identity_decomposerEEEEE10hipError_tT0_T1_T2_jT3_P12ihipStream_tbPNSt15iterator_traitsISK_E10value_typeEPNSQ_ISL_E10value_typeEPSM_NS1_7vsmem_tEENKUlT_SK_SL_SM_E_clIPxSE_SF_SF_EESJ_SZ_SK_SL_SM_EUlSZ_E0_NS1_11comp_targetILNS1_3genE3ELNS1_11target_archE908ELNS1_3gpuE7ELNS1_3repE0EEENS1_38merge_mergepath_config_static_selectorELNS0_4arch9wavefront6targetE1EEEvSL_,comdat
	.protected	_ZN7rocprim17ROCPRIM_400000_NS6detail17trampoline_kernelINS0_14default_configENS1_38merge_sort_block_merge_config_selectorIxNS0_10empty_typeEEEZZNS1_27merge_sort_block_merge_implIS3_N6thrust23THRUST_200600_302600_NS6detail15normal_iteratorINS9_10device_ptrIxEEEEPS5_jNS1_19radix_merge_compareILb0ELb1ExNS0_19identity_decomposerEEEEE10hipError_tT0_T1_T2_jT3_P12ihipStream_tbPNSt15iterator_traitsISK_E10value_typeEPNSQ_ISL_E10value_typeEPSM_NS1_7vsmem_tEENKUlT_SK_SL_SM_E_clIPxSE_SF_SF_EESJ_SZ_SK_SL_SM_EUlSZ_E0_NS1_11comp_targetILNS1_3genE3ELNS1_11target_archE908ELNS1_3gpuE7ELNS1_3repE0EEENS1_38merge_mergepath_config_static_selectorELNS0_4arch9wavefront6targetE1EEEvSL_ ; -- Begin function _ZN7rocprim17ROCPRIM_400000_NS6detail17trampoline_kernelINS0_14default_configENS1_38merge_sort_block_merge_config_selectorIxNS0_10empty_typeEEEZZNS1_27merge_sort_block_merge_implIS3_N6thrust23THRUST_200600_302600_NS6detail15normal_iteratorINS9_10device_ptrIxEEEEPS5_jNS1_19radix_merge_compareILb0ELb1ExNS0_19identity_decomposerEEEEE10hipError_tT0_T1_T2_jT3_P12ihipStream_tbPNSt15iterator_traitsISK_E10value_typeEPNSQ_ISL_E10value_typeEPSM_NS1_7vsmem_tEENKUlT_SK_SL_SM_E_clIPxSE_SF_SF_EESJ_SZ_SK_SL_SM_EUlSZ_E0_NS1_11comp_targetILNS1_3genE3ELNS1_11target_archE908ELNS1_3gpuE7ELNS1_3repE0EEENS1_38merge_mergepath_config_static_selectorELNS0_4arch9wavefront6targetE1EEEvSL_
	.globl	_ZN7rocprim17ROCPRIM_400000_NS6detail17trampoline_kernelINS0_14default_configENS1_38merge_sort_block_merge_config_selectorIxNS0_10empty_typeEEEZZNS1_27merge_sort_block_merge_implIS3_N6thrust23THRUST_200600_302600_NS6detail15normal_iteratorINS9_10device_ptrIxEEEEPS5_jNS1_19radix_merge_compareILb0ELb1ExNS0_19identity_decomposerEEEEE10hipError_tT0_T1_T2_jT3_P12ihipStream_tbPNSt15iterator_traitsISK_E10value_typeEPNSQ_ISL_E10value_typeEPSM_NS1_7vsmem_tEENKUlT_SK_SL_SM_E_clIPxSE_SF_SF_EESJ_SZ_SK_SL_SM_EUlSZ_E0_NS1_11comp_targetILNS1_3genE3ELNS1_11target_archE908ELNS1_3gpuE7ELNS1_3repE0EEENS1_38merge_mergepath_config_static_selectorELNS0_4arch9wavefront6targetE1EEEvSL_
	.p2align	8
	.type	_ZN7rocprim17ROCPRIM_400000_NS6detail17trampoline_kernelINS0_14default_configENS1_38merge_sort_block_merge_config_selectorIxNS0_10empty_typeEEEZZNS1_27merge_sort_block_merge_implIS3_N6thrust23THRUST_200600_302600_NS6detail15normal_iteratorINS9_10device_ptrIxEEEEPS5_jNS1_19radix_merge_compareILb0ELb1ExNS0_19identity_decomposerEEEEE10hipError_tT0_T1_T2_jT3_P12ihipStream_tbPNSt15iterator_traitsISK_E10value_typeEPNSQ_ISL_E10value_typeEPSM_NS1_7vsmem_tEENKUlT_SK_SL_SM_E_clIPxSE_SF_SF_EESJ_SZ_SK_SL_SM_EUlSZ_E0_NS1_11comp_targetILNS1_3genE3ELNS1_11target_archE908ELNS1_3gpuE7ELNS1_3repE0EEENS1_38merge_mergepath_config_static_selectorELNS0_4arch9wavefront6targetE1EEEvSL_,@function
_ZN7rocprim17ROCPRIM_400000_NS6detail17trampoline_kernelINS0_14default_configENS1_38merge_sort_block_merge_config_selectorIxNS0_10empty_typeEEEZZNS1_27merge_sort_block_merge_implIS3_N6thrust23THRUST_200600_302600_NS6detail15normal_iteratorINS9_10device_ptrIxEEEEPS5_jNS1_19radix_merge_compareILb0ELb1ExNS0_19identity_decomposerEEEEE10hipError_tT0_T1_T2_jT3_P12ihipStream_tbPNSt15iterator_traitsISK_E10value_typeEPNSQ_ISL_E10value_typeEPSM_NS1_7vsmem_tEENKUlT_SK_SL_SM_E_clIPxSE_SF_SF_EESJ_SZ_SK_SL_SM_EUlSZ_E0_NS1_11comp_targetILNS1_3genE3ELNS1_11target_archE908ELNS1_3gpuE7ELNS1_3repE0EEENS1_38merge_mergepath_config_static_selectorELNS0_4arch9wavefront6targetE1EEEvSL_: ; @_ZN7rocprim17ROCPRIM_400000_NS6detail17trampoline_kernelINS0_14default_configENS1_38merge_sort_block_merge_config_selectorIxNS0_10empty_typeEEEZZNS1_27merge_sort_block_merge_implIS3_N6thrust23THRUST_200600_302600_NS6detail15normal_iteratorINS9_10device_ptrIxEEEEPS5_jNS1_19radix_merge_compareILb0ELb1ExNS0_19identity_decomposerEEEEE10hipError_tT0_T1_T2_jT3_P12ihipStream_tbPNSt15iterator_traitsISK_E10value_typeEPNSQ_ISL_E10value_typeEPSM_NS1_7vsmem_tEENKUlT_SK_SL_SM_E_clIPxSE_SF_SF_EESJ_SZ_SK_SL_SM_EUlSZ_E0_NS1_11comp_targetILNS1_3genE3ELNS1_11target_archE908ELNS1_3gpuE7ELNS1_3repE0EEENS1_38merge_mergepath_config_static_selectorELNS0_4arch9wavefront6targetE1EEEvSL_
; %bb.0:
	.section	.rodata,"a",@progbits
	.p2align	6, 0x0
	.amdhsa_kernel _ZN7rocprim17ROCPRIM_400000_NS6detail17trampoline_kernelINS0_14default_configENS1_38merge_sort_block_merge_config_selectorIxNS0_10empty_typeEEEZZNS1_27merge_sort_block_merge_implIS3_N6thrust23THRUST_200600_302600_NS6detail15normal_iteratorINS9_10device_ptrIxEEEEPS5_jNS1_19radix_merge_compareILb0ELb1ExNS0_19identity_decomposerEEEEE10hipError_tT0_T1_T2_jT3_P12ihipStream_tbPNSt15iterator_traitsISK_E10value_typeEPNSQ_ISL_E10value_typeEPSM_NS1_7vsmem_tEENKUlT_SK_SL_SM_E_clIPxSE_SF_SF_EESJ_SZ_SK_SL_SM_EUlSZ_E0_NS1_11comp_targetILNS1_3genE3ELNS1_11target_archE908ELNS1_3gpuE7ELNS1_3repE0EEENS1_38merge_mergepath_config_static_selectorELNS0_4arch9wavefront6targetE1EEEvSL_
		.amdhsa_group_segment_fixed_size 0
		.amdhsa_private_segment_fixed_size 0
		.amdhsa_kernarg_size 72
		.amdhsa_user_sgpr_count 2
		.amdhsa_user_sgpr_dispatch_ptr 0
		.amdhsa_user_sgpr_queue_ptr 0
		.amdhsa_user_sgpr_kernarg_segment_ptr 1
		.amdhsa_user_sgpr_dispatch_id 0
		.amdhsa_user_sgpr_kernarg_preload_length 0
		.amdhsa_user_sgpr_kernarg_preload_offset 0
		.amdhsa_user_sgpr_private_segment_size 0
		.amdhsa_uses_dynamic_stack 0
		.amdhsa_enable_private_segment 0
		.amdhsa_system_sgpr_workgroup_id_x 1
		.amdhsa_system_sgpr_workgroup_id_y 0
		.amdhsa_system_sgpr_workgroup_id_z 0
		.amdhsa_system_sgpr_workgroup_info 0
		.amdhsa_system_vgpr_workitem_id 0
		.amdhsa_next_free_vgpr 1
		.amdhsa_next_free_sgpr 0
		.amdhsa_accum_offset 4
		.amdhsa_reserve_vcc 0
		.amdhsa_float_round_mode_32 0
		.amdhsa_float_round_mode_16_64 0
		.amdhsa_float_denorm_mode_32 3
		.amdhsa_float_denorm_mode_16_64 3
		.amdhsa_dx10_clamp 1
		.amdhsa_ieee_mode 1
		.amdhsa_fp16_overflow 0
		.amdhsa_tg_split 0
		.amdhsa_exception_fp_ieee_invalid_op 0
		.amdhsa_exception_fp_denorm_src 0
		.amdhsa_exception_fp_ieee_div_zero 0
		.amdhsa_exception_fp_ieee_overflow 0
		.amdhsa_exception_fp_ieee_underflow 0
		.amdhsa_exception_fp_ieee_inexact 0
		.amdhsa_exception_int_div_zero 0
	.end_amdhsa_kernel
	.section	.text._ZN7rocprim17ROCPRIM_400000_NS6detail17trampoline_kernelINS0_14default_configENS1_38merge_sort_block_merge_config_selectorIxNS0_10empty_typeEEEZZNS1_27merge_sort_block_merge_implIS3_N6thrust23THRUST_200600_302600_NS6detail15normal_iteratorINS9_10device_ptrIxEEEEPS5_jNS1_19radix_merge_compareILb0ELb1ExNS0_19identity_decomposerEEEEE10hipError_tT0_T1_T2_jT3_P12ihipStream_tbPNSt15iterator_traitsISK_E10value_typeEPNSQ_ISL_E10value_typeEPSM_NS1_7vsmem_tEENKUlT_SK_SL_SM_E_clIPxSE_SF_SF_EESJ_SZ_SK_SL_SM_EUlSZ_E0_NS1_11comp_targetILNS1_3genE3ELNS1_11target_archE908ELNS1_3gpuE7ELNS1_3repE0EEENS1_38merge_mergepath_config_static_selectorELNS0_4arch9wavefront6targetE1EEEvSL_,"axG",@progbits,_ZN7rocprim17ROCPRIM_400000_NS6detail17trampoline_kernelINS0_14default_configENS1_38merge_sort_block_merge_config_selectorIxNS0_10empty_typeEEEZZNS1_27merge_sort_block_merge_implIS3_N6thrust23THRUST_200600_302600_NS6detail15normal_iteratorINS9_10device_ptrIxEEEEPS5_jNS1_19radix_merge_compareILb0ELb1ExNS0_19identity_decomposerEEEEE10hipError_tT0_T1_T2_jT3_P12ihipStream_tbPNSt15iterator_traitsISK_E10value_typeEPNSQ_ISL_E10value_typeEPSM_NS1_7vsmem_tEENKUlT_SK_SL_SM_E_clIPxSE_SF_SF_EESJ_SZ_SK_SL_SM_EUlSZ_E0_NS1_11comp_targetILNS1_3genE3ELNS1_11target_archE908ELNS1_3gpuE7ELNS1_3repE0EEENS1_38merge_mergepath_config_static_selectorELNS0_4arch9wavefront6targetE1EEEvSL_,comdat
.Lfunc_end1479:
	.size	_ZN7rocprim17ROCPRIM_400000_NS6detail17trampoline_kernelINS0_14default_configENS1_38merge_sort_block_merge_config_selectorIxNS0_10empty_typeEEEZZNS1_27merge_sort_block_merge_implIS3_N6thrust23THRUST_200600_302600_NS6detail15normal_iteratorINS9_10device_ptrIxEEEEPS5_jNS1_19radix_merge_compareILb0ELb1ExNS0_19identity_decomposerEEEEE10hipError_tT0_T1_T2_jT3_P12ihipStream_tbPNSt15iterator_traitsISK_E10value_typeEPNSQ_ISL_E10value_typeEPSM_NS1_7vsmem_tEENKUlT_SK_SL_SM_E_clIPxSE_SF_SF_EESJ_SZ_SK_SL_SM_EUlSZ_E0_NS1_11comp_targetILNS1_3genE3ELNS1_11target_archE908ELNS1_3gpuE7ELNS1_3repE0EEENS1_38merge_mergepath_config_static_selectorELNS0_4arch9wavefront6targetE1EEEvSL_, .Lfunc_end1479-_ZN7rocprim17ROCPRIM_400000_NS6detail17trampoline_kernelINS0_14default_configENS1_38merge_sort_block_merge_config_selectorIxNS0_10empty_typeEEEZZNS1_27merge_sort_block_merge_implIS3_N6thrust23THRUST_200600_302600_NS6detail15normal_iteratorINS9_10device_ptrIxEEEEPS5_jNS1_19radix_merge_compareILb0ELb1ExNS0_19identity_decomposerEEEEE10hipError_tT0_T1_T2_jT3_P12ihipStream_tbPNSt15iterator_traitsISK_E10value_typeEPNSQ_ISL_E10value_typeEPSM_NS1_7vsmem_tEENKUlT_SK_SL_SM_E_clIPxSE_SF_SF_EESJ_SZ_SK_SL_SM_EUlSZ_E0_NS1_11comp_targetILNS1_3genE3ELNS1_11target_archE908ELNS1_3gpuE7ELNS1_3repE0EEENS1_38merge_mergepath_config_static_selectorELNS0_4arch9wavefront6targetE1EEEvSL_
                                        ; -- End function
	.section	.AMDGPU.csdata,"",@progbits
; Kernel info:
; codeLenInByte = 0
; NumSgprs: 6
; NumVgprs: 0
; NumAgprs: 0
; TotalNumVgprs: 0
; ScratchSize: 0
; MemoryBound: 0
; FloatMode: 240
; IeeeMode: 1
; LDSByteSize: 0 bytes/workgroup (compile time only)
; SGPRBlocks: 0
; VGPRBlocks: 0
; NumSGPRsForWavesPerEU: 6
; NumVGPRsForWavesPerEU: 1
; AccumOffset: 4
; Occupancy: 8
; WaveLimiterHint : 0
; COMPUTE_PGM_RSRC2:SCRATCH_EN: 0
; COMPUTE_PGM_RSRC2:USER_SGPR: 2
; COMPUTE_PGM_RSRC2:TRAP_HANDLER: 0
; COMPUTE_PGM_RSRC2:TGID_X_EN: 1
; COMPUTE_PGM_RSRC2:TGID_Y_EN: 0
; COMPUTE_PGM_RSRC2:TGID_Z_EN: 0
; COMPUTE_PGM_RSRC2:TIDIG_COMP_CNT: 0
; COMPUTE_PGM_RSRC3_GFX90A:ACCUM_OFFSET: 0
; COMPUTE_PGM_RSRC3_GFX90A:TG_SPLIT: 0
	.section	.text._ZN7rocprim17ROCPRIM_400000_NS6detail17trampoline_kernelINS0_14default_configENS1_38merge_sort_block_merge_config_selectorIxNS0_10empty_typeEEEZZNS1_27merge_sort_block_merge_implIS3_N6thrust23THRUST_200600_302600_NS6detail15normal_iteratorINS9_10device_ptrIxEEEEPS5_jNS1_19radix_merge_compareILb0ELb1ExNS0_19identity_decomposerEEEEE10hipError_tT0_T1_T2_jT3_P12ihipStream_tbPNSt15iterator_traitsISK_E10value_typeEPNSQ_ISL_E10value_typeEPSM_NS1_7vsmem_tEENKUlT_SK_SL_SM_E_clIPxSE_SF_SF_EESJ_SZ_SK_SL_SM_EUlSZ_E0_NS1_11comp_targetILNS1_3genE2ELNS1_11target_archE906ELNS1_3gpuE6ELNS1_3repE0EEENS1_38merge_mergepath_config_static_selectorELNS0_4arch9wavefront6targetE1EEEvSL_,"axG",@progbits,_ZN7rocprim17ROCPRIM_400000_NS6detail17trampoline_kernelINS0_14default_configENS1_38merge_sort_block_merge_config_selectorIxNS0_10empty_typeEEEZZNS1_27merge_sort_block_merge_implIS3_N6thrust23THRUST_200600_302600_NS6detail15normal_iteratorINS9_10device_ptrIxEEEEPS5_jNS1_19radix_merge_compareILb0ELb1ExNS0_19identity_decomposerEEEEE10hipError_tT0_T1_T2_jT3_P12ihipStream_tbPNSt15iterator_traitsISK_E10value_typeEPNSQ_ISL_E10value_typeEPSM_NS1_7vsmem_tEENKUlT_SK_SL_SM_E_clIPxSE_SF_SF_EESJ_SZ_SK_SL_SM_EUlSZ_E0_NS1_11comp_targetILNS1_3genE2ELNS1_11target_archE906ELNS1_3gpuE6ELNS1_3repE0EEENS1_38merge_mergepath_config_static_selectorELNS0_4arch9wavefront6targetE1EEEvSL_,comdat
	.protected	_ZN7rocprim17ROCPRIM_400000_NS6detail17trampoline_kernelINS0_14default_configENS1_38merge_sort_block_merge_config_selectorIxNS0_10empty_typeEEEZZNS1_27merge_sort_block_merge_implIS3_N6thrust23THRUST_200600_302600_NS6detail15normal_iteratorINS9_10device_ptrIxEEEEPS5_jNS1_19radix_merge_compareILb0ELb1ExNS0_19identity_decomposerEEEEE10hipError_tT0_T1_T2_jT3_P12ihipStream_tbPNSt15iterator_traitsISK_E10value_typeEPNSQ_ISL_E10value_typeEPSM_NS1_7vsmem_tEENKUlT_SK_SL_SM_E_clIPxSE_SF_SF_EESJ_SZ_SK_SL_SM_EUlSZ_E0_NS1_11comp_targetILNS1_3genE2ELNS1_11target_archE906ELNS1_3gpuE6ELNS1_3repE0EEENS1_38merge_mergepath_config_static_selectorELNS0_4arch9wavefront6targetE1EEEvSL_ ; -- Begin function _ZN7rocprim17ROCPRIM_400000_NS6detail17trampoline_kernelINS0_14default_configENS1_38merge_sort_block_merge_config_selectorIxNS0_10empty_typeEEEZZNS1_27merge_sort_block_merge_implIS3_N6thrust23THRUST_200600_302600_NS6detail15normal_iteratorINS9_10device_ptrIxEEEEPS5_jNS1_19radix_merge_compareILb0ELb1ExNS0_19identity_decomposerEEEEE10hipError_tT0_T1_T2_jT3_P12ihipStream_tbPNSt15iterator_traitsISK_E10value_typeEPNSQ_ISL_E10value_typeEPSM_NS1_7vsmem_tEENKUlT_SK_SL_SM_E_clIPxSE_SF_SF_EESJ_SZ_SK_SL_SM_EUlSZ_E0_NS1_11comp_targetILNS1_3genE2ELNS1_11target_archE906ELNS1_3gpuE6ELNS1_3repE0EEENS1_38merge_mergepath_config_static_selectorELNS0_4arch9wavefront6targetE1EEEvSL_
	.globl	_ZN7rocprim17ROCPRIM_400000_NS6detail17trampoline_kernelINS0_14default_configENS1_38merge_sort_block_merge_config_selectorIxNS0_10empty_typeEEEZZNS1_27merge_sort_block_merge_implIS3_N6thrust23THRUST_200600_302600_NS6detail15normal_iteratorINS9_10device_ptrIxEEEEPS5_jNS1_19radix_merge_compareILb0ELb1ExNS0_19identity_decomposerEEEEE10hipError_tT0_T1_T2_jT3_P12ihipStream_tbPNSt15iterator_traitsISK_E10value_typeEPNSQ_ISL_E10value_typeEPSM_NS1_7vsmem_tEENKUlT_SK_SL_SM_E_clIPxSE_SF_SF_EESJ_SZ_SK_SL_SM_EUlSZ_E0_NS1_11comp_targetILNS1_3genE2ELNS1_11target_archE906ELNS1_3gpuE6ELNS1_3repE0EEENS1_38merge_mergepath_config_static_selectorELNS0_4arch9wavefront6targetE1EEEvSL_
	.p2align	8
	.type	_ZN7rocprim17ROCPRIM_400000_NS6detail17trampoline_kernelINS0_14default_configENS1_38merge_sort_block_merge_config_selectorIxNS0_10empty_typeEEEZZNS1_27merge_sort_block_merge_implIS3_N6thrust23THRUST_200600_302600_NS6detail15normal_iteratorINS9_10device_ptrIxEEEEPS5_jNS1_19radix_merge_compareILb0ELb1ExNS0_19identity_decomposerEEEEE10hipError_tT0_T1_T2_jT3_P12ihipStream_tbPNSt15iterator_traitsISK_E10value_typeEPNSQ_ISL_E10value_typeEPSM_NS1_7vsmem_tEENKUlT_SK_SL_SM_E_clIPxSE_SF_SF_EESJ_SZ_SK_SL_SM_EUlSZ_E0_NS1_11comp_targetILNS1_3genE2ELNS1_11target_archE906ELNS1_3gpuE6ELNS1_3repE0EEENS1_38merge_mergepath_config_static_selectorELNS0_4arch9wavefront6targetE1EEEvSL_,@function
_ZN7rocprim17ROCPRIM_400000_NS6detail17trampoline_kernelINS0_14default_configENS1_38merge_sort_block_merge_config_selectorIxNS0_10empty_typeEEEZZNS1_27merge_sort_block_merge_implIS3_N6thrust23THRUST_200600_302600_NS6detail15normal_iteratorINS9_10device_ptrIxEEEEPS5_jNS1_19radix_merge_compareILb0ELb1ExNS0_19identity_decomposerEEEEE10hipError_tT0_T1_T2_jT3_P12ihipStream_tbPNSt15iterator_traitsISK_E10value_typeEPNSQ_ISL_E10value_typeEPSM_NS1_7vsmem_tEENKUlT_SK_SL_SM_E_clIPxSE_SF_SF_EESJ_SZ_SK_SL_SM_EUlSZ_E0_NS1_11comp_targetILNS1_3genE2ELNS1_11target_archE906ELNS1_3gpuE6ELNS1_3repE0EEENS1_38merge_mergepath_config_static_selectorELNS0_4arch9wavefront6targetE1EEEvSL_: ; @_ZN7rocprim17ROCPRIM_400000_NS6detail17trampoline_kernelINS0_14default_configENS1_38merge_sort_block_merge_config_selectorIxNS0_10empty_typeEEEZZNS1_27merge_sort_block_merge_implIS3_N6thrust23THRUST_200600_302600_NS6detail15normal_iteratorINS9_10device_ptrIxEEEEPS5_jNS1_19radix_merge_compareILb0ELb1ExNS0_19identity_decomposerEEEEE10hipError_tT0_T1_T2_jT3_P12ihipStream_tbPNSt15iterator_traitsISK_E10value_typeEPNSQ_ISL_E10value_typeEPSM_NS1_7vsmem_tEENKUlT_SK_SL_SM_E_clIPxSE_SF_SF_EESJ_SZ_SK_SL_SM_EUlSZ_E0_NS1_11comp_targetILNS1_3genE2ELNS1_11target_archE906ELNS1_3gpuE6ELNS1_3repE0EEENS1_38merge_mergepath_config_static_selectorELNS0_4arch9wavefront6targetE1EEEvSL_
; %bb.0:
	.section	.rodata,"a",@progbits
	.p2align	6, 0x0
	.amdhsa_kernel _ZN7rocprim17ROCPRIM_400000_NS6detail17trampoline_kernelINS0_14default_configENS1_38merge_sort_block_merge_config_selectorIxNS0_10empty_typeEEEZZNS1_27merge_sort_block_merge_implIS3_N6thrust23THRUST_200600_302600_NS6detail15normal_iteratorINS9_10device_ptrIxEEEEPS5_jNS1_19radix_merge_compareILb0ELb1ExNS0_19identity_decomposerEEEEE10hipError_tT0_T1_T2_jT3_P12ihipStream_tbPNSt15iterator_traitsISK_E10value_typeEPNSQ_ISL_E10value_typeEPSM_NS1_7vsmem_tEENKUlT_SK_SL_SM_E_clIPxSE_SF_SF_EESJ_SZ_SK_SL_SM_EUlSZ_E0_NS1_11comp_targetILNS1_3genE2ELNS1_11target_archE906ELNS1_3gpuE6ELNS1_3repE0EEENS1_38merge_mergepath_config_static_selectorELNS0_4arch9wavefront6targetE1EEEvSL_
		.amdhsa_group_segment_fixed_size 0
		.amdhsa_private_segment_fixed_size 0
		.amdhsa_kernarg_size 72
		.amdhsa_user_sgpr_count 2
		.amdhsa_user_sgpr_dispatch_ptr 0
		.amdhsa_user_sgpr_queue_ptr 0
		.amdhsa_user_sgpr_kernarg_segment_ptr 1
		.amdhsa_user_sgpr_dispatch_id 0
		.amdhsa_user_sgpr_kernarg_preload_length 0
		.amdhsa_user_sgpr_kernarg_preload_offset 0
		.amdhsa_user_sgpr_private_segment_size 0
		.amdhsa_uses_dynamic_stack 0
		.amdhsa_enable_private_segment 0
		.amdhsa_system_sgpr_workgroup_id_x 1
		.amdhsa_system_sgpr_workgroup_id_y 0
		.amdhsa_system_sgpr_workgroup_id_z 0
		.amdhsa_system_sgpr_workgroup_info 0
		.amdhsa_system_vgpr_workitem_id 0
		.amdhsa_next_free_vgpr 1
		.amdhsa_next_free_sgpr 0
		.amdhsa_accum_offset 4
		.amdhsa_reserve_vcc 0
		.amdhsa_float_round_mode_32 0
		.amdhsa_float_round_mode_16_64 0
		.amdhsa_float_denorm_mode_32 3
		.amdhsa_float_denorm_mode_16_64 3
		.amdhsa_dx10_clamp 1
		.amdhsa_ieee_mode 1
		.amdhsa_fp16_overflow 0
		.amdhsa_tg_split 0
		.amdhsa_exception_fp_ieee_invalid_op 0
		.amdhsa_exception_fp_denorm_src 0
		.amdhsa_exception_fp_ieee_div_zero 0
		.amdhsa_exception_fp_ieee_overflow 0
		.amdhsa_exception_fp_ieee_underflow 0
		.amdhsa_exception_fp_ieee_inexact 0
		.amdhsa_exception_int_div_zero 0
	.end_amdhsa_kernel
	.section	.text._ZN7rocprim17ROCPRIM_400000_NS6detail17trampoline_kernelINS0_14default_configENS1_38merge_sort_block_merge_config_selectorIxNS0_10empty_typeEEEZZNS1_27merge_sort_block_merge_implIS3_N6thrust23THRUST_200600_302600_NS6detail15normal_iteratorINS9_10device_ptrIxEEEEPS5_jNS1_19radix_merge_compareILb0ELb1ExNS0_19identity_decomposerEEEEE10hipError_tT0_T1_T2_jT3_P12ihipStream_tbPNSt15iterator_traitsISK_E10value_typeEPNSQ_ISL_E10value_typeEPSM_NS1_7vsmem_tEENKUlT_SK_SL_SM_E_clIPxSE_SF_SF_EESJ_SZ_SK_SL_SM_EUlSZ_E0_NS1_11comp_targetILNS1_3genE2ELNS1_11target_archE906ELNS1_3gpuE6ELNS1_3repE0EEENS1_38merge_mergepath_config_static_selectorELNS0_4arch9wavefront6targetE1EEEvSL_,"axG",@progbits,_ZN7rocprim17ROCPRIM_400000_NS6detail17trampoline_kernelINS0_14default_configENS1_38merge_sort_block_merge_config_selectorIxNS0_10empty_typeEEEZZNS1_27merge_sort_block_merge_implIS3_N6thrust23THRUST_200600_302600_NS6detail15normal_iteratorINS9_10device_ptrIxEEEEPS5_jNS1_19radix_merge_compareILb0ELb1ExNS0_19identity_decomposerEEEEE10hipError_tT0_T1_T2_jT3_P12ihipStream_tbPNSt15iterator_traitsISK_E10value_typeEPNSQ_ISL_E10value_typeEPSM_NS1_7vsmem_tEENKUlT_SK_SL_SM_E_clIPxSE_SF_SF_EESJ_SZ_SK_SL_SM_EUlSZ_E0_NS1_11comp_targetILNS1_3genE2ELNS1_11target_archE906ELNS1_3gpuE6ELNS1_3repE0EEENS1_38merge_mergepath_config_static_selectorELNS0_4arch9wavefront6targetE1EEEvSL_,comdat
.Lfunc_end1480:
	.size	_ZN7rocprim17ROCPRIM_400000_NS6detail17trampoline_kernelINS0_14default_configENS1_38merge_sort_block_merge_config_selectorIxNS0_10empty_typeEEEZZNS1_27merge_sort_block_merge_implIS3_N6thrust23THRUST_200600_302600_NS6detail15normal_iteratorINS9_10device_ptrIxEEEEPS5_jNS1_19radix_merge_compareILb0ELb1ExNS0_19identity_decomposerEEEEE10hipError_tT0_T1_T2_jT3_P12ihipStream_tbPNSt15iterator_traitsISK_E10value_typeEPNSQ_ISL_E10value_typeEPSM_NS1_7vsmem_tEENKUlT_SK_SL_SM_E_clIPxSE_SF_SF_EESJ_SZ_SK_SL_SM_EUlSZ_E0_NS1_11comp_targetILNS1_3genE2ELNS1_11target_archE906ELNS1_3gpuE6ELNS1_3repE0EEENS1_38merge_mergepath_config_static_selectorELNS0_4arch9wavefront6targetE1EEEvSL_, .Lfunc_end1480-_ZN7rocprim17ROCPRIM_400000_NS6detail17trampoline_kernelINS0_14default_configENS1_38merge_sort_block_merge_config_selectorIxNS0_10empty_typeEEEZZNS1_27merge_sort_block_merge_implIS3_N6thrust23THRUST_200600_302600_NS6detail15normal_iteratorINS9_10device_ptrIxEEEEPS5_jNS1_19radix_merge_compareILb0ELb1ExNS0_19identity_decomposerEEEEE10hipError_tT0_T1_T2_jT3_P12ihipStream_tbPNSt15iterator_traitsISK_E10value_typeEPNSQ_ISL_E10value_typeEPSM_NS1_7vsmem_tEENKUlT_SK_SL_SM_E_clIPxSE_SF_SF_EESJ_SZ_SK_SL_SM_EUlSZ_E0_NS1_11comp_targetILNS1_3genE2ELNS1_11target_archE906ELNS1_3gpuE6ELNS1_3repE0EEENS1_38merge_mergepath_config_static_selectorELNS0_4arch9wavefront6targetE1EEEvSL_
                                        ; -- End function
	.section	.AMDGPU.csdata,"",@progbits
; Kernel info:
; codeLenInByte = 0
; NumSgprs: 6
; NumVgprs: 0
; NumAgprs: 0
; TotalNumVgprs: 0
; ScratchSize: 0
; MemoryBound: 0
; FloatMode: 240
; IeeeMode: 1
; LDSByteSize: 0 bytes/workgroup (compile time only)
; SGPRBlocks: 0
; VGPRBlocks: 0
; NumSGPRsForWavesPerEU: 6
; NumVGPRsForWavesPerEU: 1
; AccumOffset: 4
; Occupancy: 8
; WaveLimiterHint : 0
; COMPUTE_PGM_RSRC2:SCRATCH_EN: 0
; COMPUTE_PGM_RSRC2:USER_SGPR: 2
; COMPUTE_PGM_RSRC2:TRAP_HANDLER: 0
; COMPUTE_PGM_RSRC2:TGID_X_EN: 1
; COMPUTE_PGM_RSRC2:TGID_Y_EN: 0
; COMPUTE_PGM_RSRC2:TGID_Z_EN: 0
; COMPUTE_PGM_RSRC2:TIDIG_COMP_CNT: 0
; COMPUTE_PGM_RSRC3_GFX90A:ACCUM_OFFSET: 0
; COMPUTE_PGM_RSRC3_GFX90A:TG_SPLIT: 0
	.section	.text._ZN7rocprim17ROCPRIM_400000_NS6detail17trampoline_kernelINS0_14default_configENS1_38merge_sort_block_merge_config_selectorIxNS0_10empty_typeEEEZZNS1_27merge_sort_block_merge_implIS3_N6thrust23THRUST_200600_302600_NS6detail15normal_iteratorINS9_10device_ptrIxEEEEPS5_jNS1_19radix_merge_compareILb0ELb1ExNS0_19identity_decomposerEEEEE10hipError_tT0_T1_T2_jT3_P12ihipStream_tbPNSt15iterator_traitsISK_E10value_typeEPNSQ_ISL_E10value_typeEPSM_NS1_7vsmem_tEENKUlT_SK_SL_SM_E_clIPxSE_SF_SF_EESJ_SZ_SK_SL_SM_EUlSZ_E0_NS1_11comp_targetILNS1_3genE9ELNS1_11target_archE1100ELNS1_3gpuE3ELNS1_3repE0EEENS1_38merge_mergepath_config_static_selectorELNS0_4arch9wavefront6targetE1EEEvSL_,"axG",@progbits,_ZN7rocprim17ROCPRIM_400000_NS6detail17trampoline_kernelINS0_14default_configENS1_38merge_sort_block_merge_config_selectorIxNS0_10empty_typeEEEZZNS1_27merge_sort_block_merge_implIS3_N6thrust23THRUST_200600_302600_NS6detail15normal_iteratorINS9_10device_ptrIxEEEEPS5_jNS1_19radix_merge_compareILb0ELb1ExNS0_19identity_decomposerEEEEE10hipError_tT0_T1_T2_jT3_P12ihipStream_tbPNSt15iterator_traitsISK_E10value_typeEPNSQ_ISL_E10value_typeEPSM_NS1_7vsmem_tEENKUlT_SK_SL_SM_E_clIPxSE_SF_SF_EESJ_SZ_SK_SL_SM_EUlSZ_E0_NS1_11comp_targetILNS1_3genE9ELNS1_11target_archE1100ELNS1_3gpuE3ELNS1_3repE0EEENS1_38merge_mergepath_config_static_selectorELNS0_4arch9wavefront6targetE1EEEvSL_,comdat
	.protected	_ZN7rocprim17ROCPRIM_400000_NS6detail17trampoline_kernelINS0_14default_configENS1_38merge_sort_block_merge_config_selectorIxNS0_10empty_typeEEEZZNS1_27merge_sort_block_merge_implIS3_N6thrust23THRUST_200600_302600_NS6detail15normal_iteratorINS9_10device_ptrIxEEEEPS5_jNS1_19radix_merge_compareILb0ELb1ExNS0_19identity_decomposerEEEEE10hipError_tT0_T1_T2_jT3_P12ihipStream_tbPNSt15iterator_traitsISK_E10value_typeEPNSQ_ISL_E10value_typeEPSM_NS1_7vsmem_tEENKUlT_SK_SL_SM_E_clIPxSE_SF_SF_EESJ_SZ_SK_SL_SM_EUlSZ_E0_NS1_11comp_targetILNS1_3genE9ELNS1_11target_archE1100ELNS1_3gpuE3ELNS1_3repE0EEENS1_38merge_mergepath_config_static_selectorELNS0_4arch9wavefront6targetE1EEEvSL_ ; -- Begin function _ZN7rocprim17ROCPRIM_400000_NS6detail17trampoline_kernelINS0_14default_configENS1_38merge_sort_block_merge_config_selectorIxNS0_10empty_typeEEEZZNS1_27merge_sort_block_merge_implIS3_N6thrust23THRUST_200600_302600_NS6detail15normal_iteratorINS9_10device_ptrIxEEEEPS5_jNS1_19radix_merge_compareILb0ELb1ExNS0_19identity_decomposerEEEEE10hipError_tT0_T1_T2_jT3_P12ihipStream_tbPNSt15iterator_traitsISK_E10value_typeEPNSQ_ISL_E10value_typeEPSM_NS1_7vsmem_tEENKUlT_SK_SL_SM_E_clIPxSE_SF_SF_EESJ_SZ_SK_SL_SM_EUlSZ_E0_NS1_11comp_targetILNS1_3genE9ELNS1_11target_archE1100ELNS1_3gpuE3ELNS1_3repE0EEENS1_38merge_mergepath_config_static_selectorELNS0_4arch9wavefront6targetE1EEEvSL_
	.globl	_ZN7rocprim17ROCPRIM_400000_NS6detail17trampoline_kernelINS0_14default_configENS1_38merge_sort_block_merge_config_selectorIxNS0_10empty_typeEEEZZNS1_27merge_sort_block_merge_implIS3_N6thrust23THRUST_200600_302600_NS6detail15normal_iteratorINS9_10device_ptrIxEEEEPS5_jNS1_19radix_merge_compareILb0ELb1ExNS0_19identity_decomposerEEEEE10hipError_tT0_T1_T2_jT3_P12ihipStream_tbPNSt15iterator_traitsISK_E10value_typeEPNSQ_ISL_E10value_typeEPSM_NS1_7vsmem_tEENKUlT_SK_SL_SM_E_clIPxSE_SF_SF_EESJ_SZ_SK_SL_SM_EUlSZ_E0_NS1_11comp_targetILNS1_3genE9ELNS1_11target_archE1100ELNS1_3gpuE3ELNS1_3repE0EEENS1_38merge_mergepath_config_static_selectorELNS0_4arch9wavefront6targetE1EEEvSL_
	.p2align	8
	.type	_ZN7rocprim17ROCPRIM_400000_NS6detail17trampoline_kernelINS0_14default_configENS1_38merge_sort_block_merge_config_selectorIxNS0_10empty_typeEEEZZNS1_27merge_sort_block_merge_implIS3_N6thrust23THRUST_200600_302600_NS6detail15normal_iteratorINS9_10device_ptrIxEEEEPS5_jNS1_19radix_merge_compareILb0ELb1ExNS0_19identity_decomposerEEEEE10hipError_tT0_T1_T2_jT3_P12ihipStream_tbPNSt15iterator_traitsISK_E10value_typeEPNSQ_ISL_E10value_typeEPSM_NS1_7vsmem_tEENKUlT_SK_SL_SM_E_clIPxSE_SF_SF_EESJ_SZ_SK_SL_SM_EUlSZ_E0_NS1_11comp_targetILNS1_3genE9ELNS1_11target_archE1100ELNS1_3gpuE3ELNS1_3repE0EEENS1_38merge_mergepath_config_static_selectorELNS0_4arch9wavefront6targetE1EEEvSL_,@function
_ZN7rocprim17ROCPRIM_400000_NS6detail17trampoline_kernelINS0_14default_configENS1_38merge_sort_block_merge_config_selectorIxNS0_10empty_typeEEEZZNS1_27merge_sort_block_merge_implIS3_N6thrust23THRUST_200600_302600_NS6detail15normal_iteratorINS9_10device_ptrIxEEEEPS5_jNS1_19radix_merge_compareILb0ELb1ExNS0_19identity_decomposerEEEEE10hipError_tT0_T1_T2_jT3_P12ihipStream_tbPNSt15iterator_traitsISK_E10value_typeEPNSQ_ISL_E10value_typeEPSM_NS1_7vsmem_tEENKUlT_SK_SL_SM_E_clIPxSE_SF_SF_EESJ_SZ_SK_SL_SM_EUlSZ_E0_NS1_11comp_targetILNS1_3genE9ELNS1_11target_archE1100ELNS1_3gpuE3ELNS1_3repE0EEENS1_38merge_mergepath_config_static_selectorELNS0_4arch9wavefront6targetE1EEEvSL_: ; @_ZN7rocprim17ROCPRIM_400000_NS6detail17trampoline_kernelINS0_14default_configENS1_38merge_sort_block_merge_config_selectorIxNS0_10empty_typeEEEZZNS1_27merge_sort_block_merge_implIS3_N6thrust23THRUST_200600_302600_NS6detail15normal_iteratorINS9_10device_ptrIxEEEEPS5_jNS1_19radix_merge_compareILb0ELb1ExNS0_19identity_decomposerEEEEE10hipError_tT0_T1_T2_jT3_P12ihipStream_tbPNSt15iterator_traitsISK_E10value_typeEPNSQ_ISL_E10value_typeEPSM_NS1_7vsmem_tEENKUlT_SK_SL_SM_E_clIPxSE_SF_SF_EESJ_SZ_SK_SL_SM_EUlSZ_E0_NS1_11comp_targetILNS1_3genE9ELNS1_11target_archE1100ELNS1_3gpuE3ELNS1_3repE0EEENS1_38merge_mergepath_config_static_selectorELNS0_4arch9wavefront6targetE1EEEvSL_
; %bb.0:
	.section	.rodata,"a",@progbits
	.p2align	6, 0x0
	.amdhsa_kernel _ZN7rocprim17ROCPRIM_400000_NS6detail17trampoline_kernelINS0_14default_configENS1_38merge_sort_block_merge_config_selectorIxNS0_10empty_typeEEEZZNS1_27merge_sort_block_merge_implIS3_N6thrust23THRUST_200600_302600_NS6detail15normal_iteratorINS9_10device_ptrIxEEEEPS5_jNS1_19radix_merge_compareILb0ELb1ExNS0_19identity_decomposerEEEEE10hipError_tT0_T1_T2_jT3_P12ihipStream_tbPNSt15iterator_traitsISK_E10value_typeEPNSQ_ISL_E10value_typeEPSM_NS1_7vsmem_tEENKUlT_SK_SL_SM_E_clIPxSE_SF_SF_EESJ_SZ_SK_SL_SM_EUlSZ_E0_NS1_11comp_targetILNS1_3genE9ELNS1_11target_archE1100ELNS1_3gpuE3ELNS1_3repE0EEENS1_38merge_mergepath_config_static_selectorELNS0_4arch9wavefront6targetE1EEEvSL_
		.amdhsa_group_segment_fixed_size 0
		.amdhsa_private_segment_fixed_size 0
		.amdhsa_kernarg_size 72
		.amdhsa_user_sgpr_count 2
		.amdhsa_user_sgpr_dispatch_ptr 0
		.amdhsa_user_sgpr_queue_ptr 0
		.amdhsa_user_sgpr_kernarg_segment_ptr 1
		.amdhsa_user_sgpr_dispatch_id 0
		.amdhsa_user_sgpr_kernarg_preload_length 0
		.amdhsa_user_sgpr_kernarg_preload_offset 0
		.amdhsa_user_sgpr_private_segment_size 0
		.amdhsa_uses_dynamic_stack 0
		.amdhsa_enable_private_segment 0
		.amdhsa_system_sgpr_workgroup_id_x 1
		.amdhsa_system_sgpr_workgroup_id_y 0
		.amdhsa_system_sgpr_workgroup_id_z 0
		.amdhsa_system_sgpr_workgroup_info 0
		.amdhsa_system_vgpr_workitem_id 0
		.amdhsa_next_free_vgpr 1
		.amdhsa_next_free_sgpr 0
		.amdhsa_accum_offset 4
		.amdhsa_reserve_vcc 0
		.amdhsa_float_round_mode_32 0
		.amdhsa_float_round_mode_16_64 0
		.amdhsa_float_denorm_mode_32 3
		.amdhsa_float_denorm_mode_16_64 3
		.amdhsa_dx10_clamp 1
		.amdhsa_ieee_mode 1
		.amdhsa_fp16_overflow 0
		.amdhsa_tg_split 0
		.amdhsa_exception_fp_ieee_invalid_op 0
		.amdhsa_exception_fp_denorm_src 0
		.amdhsa_exception_fp_ieee_div_zero 0
		.amdhsa_exception_fp_ieee_overflow 0
		.amdhsa_exception_fp_ieee_underflow 0
		.amdhsa_exception_fp_ieee_inexact 0
		.amdhsa_exception_int_div_zero 0
	.end_amdhsa_kernel
	.section	.text._ZN7rocprim17ROCPRIM_400000_NS6detail17trampoline_kernelINS0_14default_configENS1_38merge_sort_block_merge_config_selectorIxNS0_10empty_typeEEEZZNS1_27merge_sort_block_merge_implIS3_N6thrust23THRUST_200600_302600_NS6detail15normal_iteratorINS9_10device_ptrIxEEEEPS5_jNS1_19radix_merge_compareILb0ELb1ExNS0_19identity_decomposerEEEEE10hipError_tT0_T1_T2_jT3_P12ihipStream_tbPNSt15iterator_traitsISK_E10value_typeEPNSQ_ISL_E10value_typeEPSM_NS1_7vsmem_tEENKUlT_SK_SL_SM_E_clIPxSE_SF_SF_EESJ_SZ_SK_SL_SM_EUlSZ_E0_NS1_11comp_targetILNS1_3genE9ELNS1_11target_archE1100ELNS1_3gpuE3ELNS1_3repE0EEENS1_38merge_mergepath_config_static_selectorELNS0_4arch9wavefront6targetE1EEEvSL_,"axG",@progbits,_ZN7rocprim17ROCPRIM_400000_NS6detail17trampoline_kernelINS0_14default_configENS1_38merge_sort_block_merge_config_selectorIxNS0_10empty_typeEEEZZNS1_27merge_sort_block_merge_implIS3_N6thrust23THRUST_200600_302600_NS6detail15normal_iteratorINS9_10device_ptrIxEEEEPS5_jNS1_19radix_merge_compareILb0ELb1ExNS0_19identity_decomposerEEEEE10hipError_tT0_T1_T2_jT3_P12ihipStream_tbPNSt15iterator_traitsISK_E10value_typeEPNSQ_ISL_E10value_typeEPSM_NS1_7vsmem_tEENKUlT_SK_SL_SM_E_clIPxSE_SF_SF_EESJ_SZ_SK_SL_SM_EUlSZ_E0_NS1_11comp_targetILNS1_3genE9ELNS1_11target_archE1100ELNS1_3gpuE3ELNS1_3repE0EEENS1_38merge_mergepath_config_static_selectorELNS0_4arch9wavefront6targetE1EEEvSL_,comdat
.Lfunc_end1481:
	.size	_ZN7rocprim17ROCPRIM_400000_NS6detail17trampoline_kernelINS0_14default_configENS1_38merge_sort_block_merge_config_selectorIxNS0_10empty_typeEEEZZNS1_27merge_sort_block_merge_implIS3_N6thrust23THRUST_200600_302600_NS6detail15normal_iteratorINS9_10device_ptrIxEEEEPS5_jNS1_19radix_merge_compareILb0ELb1ExNS0_19identity_decomposerEEEEE10hipError_tT0_T1_T2_jT3_P12ihipStream_tbPNSt15iterator_traitsISK_E10value_typeEPNSQ_ISL_E10value_typeEPSM_NS1_7vsmem_tEENKUlT_SK_SL_SM_E_clIPxSE_SF_SF_EESJ_SZ_SK_SL_SM_EUlSZ_E0_NS1_11comp_targetILNS1_3genE9ELNS1_11target_archE1100ELNS1_3gpuE3ELNS1_3repE0EEENS1_38merge_mergepath_config_static_selectorELNS0_4arch9wavefront6targetE1EEEvSL_, .Lfunc_end1481-_ZN7rocprim17ROCPRIM_400000_NS6detail17trampoline_kernelINS0_14default_configENS1_38merge_sort_block_merge_config_selectorIxNS0_10empty_typeEEEZZNS1_27merge_sort_block_merge_implIS3_N6thrust23THRUST_200600_302600_NS6detail15normal_iteratorINS9_10device_ptrIxEEEEPS5_jNS1_19radix_merge_compareILb0ELb1ExNS0_19identity_decomposerEEEEE10hipError_tT0_T1_T2_jT3_P12ihipStream_tbPNSt15iterator_traitsISK_E10value_typeEPNSQ_ISL_E10value_typeEPSM_NS1_7vsmem_tEENKUlT_SK_SL_SM_E_clIPxSE_SF_SF_EESJ_SZ_SK_SL_SM_EUlSZ_E0_NS1_11comp_targetILNS1_3genE9ELNS1_11target_archE1100ELNS1_3gpuE3ELNS1_3repE0EEENS1_38merge_mergepath_config_static_selectorELNS0_4arch9wavefront6targetE1EEEvSL_
                                        ; -- End function
	.section	.AMDGPU.csdata,"",@progbits
; Kernel info:
; codeLenInByte = 0
; NumSgprs: 6
; NumVgprs: 0
; NumAgprs: 0
; TotalNumVgprs: 0
; ScratchSize: 0
; MemoryBound: 0
; FloatMode: 240
; IeeeMode: 1
; LDSByteSize: 0 bytes/workgroup (compile time only)
; SGPRBlocks: 0
; VGPRBlocks: 0
; NumSGPRsForWavesPerEU: 6
; NumVGPRsForWavesPerEU: 1
; AccumOffset: 4
; Occupancy: 8
; WaveLimiterHint : 0
; COMPUTE_PGM_RSRC2:SCRATCH_EN: 0
; COMPUTE_PGM_RSRC2:USER_SGPR: 2
; COMPUTE_PGM_RSRC2:TRAP_HANDLER: 0
; COMPUTE_PGM_RSRC2:TGID_X_EN: 1
; COMPUTE_PGM_RSRC2:TGID_Y_EN: 0
; COMPUTE_PGM_RSRC2:TGID_Z_EN: 0
; COMPUTE_PGM_RSRC2:TIDIG_COMP_CNT: 0
; COMPUTE_PGM_RSRC3_GFX90A:ACCUM_OFFSET: 0
; COMPUTE_PGM_RSRC3_GFX90A:TG_SPLIT: 0
	.section	.text._ZN7rocprim17ROCPRIM_400000_NS6detail17trampoline_kernelINS0_14default_configENS1_38merge_sort_block_merge_config_selectorIxNS0_10empty_typeEEEZZNS1_27merge_sort_block_merge_implIS3_N6thrust23THRUST_200600_302600_NS6detail15normal_iteratorINS9_10device_ptrIxEEEEPS5_jNS1_19radix_merge_compareILb0ELb1ExNS0_19identity_decomposerEEEEE10hipError_tT0_T1_T2_jT3_P12ihipStream_tbPNSt15iterator_traitsISK_E10value_typeEPNSQ_ISL_E10value_typeEPSM_NS1_7vsmem_tEENKUlT_SK_SL_SM_E_clIPxSE_SF_SF_EESJ_SZ_SK_SL_SM_EUlSZ_E0_NS1_11comp_targetILNS1_3genE8ELNS1_11target_archE1030ELNS1_3gpuE2ELNS1_3repE0EEENS1_38merge_mergepath_config_static_selectorELNS0_4arch9wavefront6targetE1EEEvSL_,"axG",@progbits,_ZN7rocprim17ROCPRIM_400000_NS6detail17trampoline_kernelINS0_14default_configENS1_38merge_sort_block_merge_config_selectorIxNS0_10empty_typeEEEZZNS1_27merge_sort_block_merge_implIS3_N6thrust23THRUST_200600_302600_NS6detail15normal_iteratorINS9_10device_ptrIxEEEEPS5_jNS1_19radix_merge_compareILb0ELb1ExNS0_19identity_decomposerEEEEE10hipError_tT0_T1_T2_jT3_P12ihipStream_tbPNSt15iterator_traitsISK_E10value_typeEPNSQ_ISL_E10value_typeEPSM_NS1_7vsmem_tEENKUlT_SK_SL_SM_E_clIPxSE_SF_SF_EESJ_SZ_SK_SL_SM_EUlSZ_E0_NS1_11comp_targetILNS1_3genE8ELNS1_11target_archE1030ELNS1_3gpuE2ELNS1_3repE0EEENS1_38merge_mergepath_config_static_selectorELNS0_4arch9wavefront6targetE1EEEvSL_,comdat
	.protected	_ZN7rocprim17ROCPRIM_400000_NS6detail17trampoline_kernelINS0_14default_configENS1_38merge_sort_block_merge_config_selectorIxNS0_10empty_typeEEEZZNS1_27merge_sort_block_merge_implIS3_N6thrust23THRUST_200600_302600_NS6detail15normal_iteratorINS9_10device_ptrIxEEEEPS5_jNS1_19radix_merge_compareILb0ELb1ExNS0_19identity_decomposerEEEEE10hipError_tT0_T1_T2_jT3_P12ihipStream_tbPNSt15iterator_traitsISK_E10value_typeEPNSQ_ISL_E10value_typeEPSM_NS1_7vsmem_tEENKUlT_SK_SL_SM_E_clIPxSE_SF_SF_EESJ_SZ_SK_SL_SM_EUlSZ_E0_NS1_11comp_targetILNS1_3genE8ELNS1_11target_archE1030ELNS1_3gpuE2ELNS1_3repE0EEENS1_38merge_mergepath_config_static_selectorELNS0_4arch9wavefront6targetE1EEEvSL_ ; -- Begin function _ZN7rocprim17ROCPRIM_400000_NS6detail17trampoline_kernelINS0_14default_configENS1_38merge_sort_block_merge_config_selectorIxNS0_10empty_typeEEEZZNS1_27merge_sort_block_merge_implIS3_N6thrust23THRUST_200600_302600_NS6detail15normal_iteratorINS9_10device_ptrIxEEEEPS5_jNS1_19radix_merge_compareILb0ELb1ExNS0_19identity_decomposerEEEEE10hipError_tT0_T1_T2_jT3_P12ihipStream_tbPNSt15iterator_traitsISK_E10value_typeEPNSQ_ISL_E10value_typeEPSM_NS1_7vsmem_tEENKUlT_SK_SL_SM_E_clIPxSE_SF_SF_EESJ_SZ_SK_SL_SM_EUlSZ_E0_NS1_11comp_targetILNS1_3genE8ELNS1_11target_archE1030ELNS1_3gpuE2ELNS1_3repE0EEENS1_38merge_mergepath_config_static_selectorELNS0_4arch9wavefront6targetE1EEEvSL_
	.globl	_ZN7rocprim17ROCPRIM_400000_NS6detail17trampoline_kernelINS0_14default_configENS1_38merge_sort_block_merge_config_selectorIxNS0_10empty_typeEEEZZNS1_27merge_sort_block_merge_implIS3_N6thrust23THRUST_200600_302600_NS6detail15normal_iteratorINS9_10device_ptrIxEEEEPS5_jNS1_19radix_merge_compareILb0ELb1ExNS0_19identity_decomposerEEEEE10hipError_tT0_T1_T2_jT3_P12ihipStream_tbPNSt15iterator_traitsISK_E10value_typeEPNSQ_ISL_E10value_typeEPSM_NS1_7vsmem_tEENKUlT_SK_SL_SM_E_clIPxSE_SF_SF_EESJ_SZ_SK_SL_SM_EUlSZ_E0_NS1_11comp_targetILNS1_3genE8ELNS1_11target_archE1030ELNS1_3gpuE2ELNS1_3repE0EEENS1_38merge_mergepath_config_static_selectorELNS0_4arch9wavefront6targetE1EEEvSL_
	.p2align	8
	.type	_ZN7rocprim17ROCPRIM_400000_NS6detail17trampoline_kernelINS0_14default_configENS1_38merge_sort_block_merge_config_selectorIxNS0_10empty_typeEEEZZNS1_27merge_sort_block_merge_implIS3_N6thrust23THRUST_200600_302600_NS6detail15normal_iteratorINS9_10device_ptrIxEEEEPS5_jNS1_19radix_merge_compareILb0ELb1ExNS0_19identity_decomposerEEEEE10hipError_tT0_T1_T2_jT3_P12ihipStream_tbPNSt15iterator_traitsISK_E10value_typeEPNSQ_ISL_E10value_typeEPSM_NS1_7vsmem_tEENKUlT_SK_SL_SM_E_clIPxSE_SF_SF_EESJ_SZ_SK_SL_SM_EUlSZ_E0_NS1_11comp_targetILNS1_3genE8ELNS1_11target_archE1030ELNS1_3gpuE2ELNS1_3repE0EEENS1_38merge_mergepath_config_static_selectorELNS0_4arch9wavefront6targetE1EEEvSL_,@function
_ZN7rocprim17ROCPRIM_400000_NS6detail17trampoline_kernelINS0_14default_configENS1_38merge_sort_block_merge_config_selectorIxNS0_10empty_typeEEEZZNS1_27merge_sort_block_merge_implIS3_N6thrust23THRUST_200600_302600_NS6detail15normal_iteratorINS9_10device_ptrIxEEEEPS5_jNS1_19radix_merge_compareILb0ELb1ExNS0_19identity_decomposerEEEEE10hipError_tT0_T1_T2_jT3_P12ihipStream_tbPNSt15iterator_traitsISK_E10value_typeEPNSQ_ISL_E10value_typeEPSM_NS1_7vsmem_tEENKUlT_SK_SL_SM_E_clIPxSE_SF_SF_EESJ_SZ_SK_SL_SM_EUlSZ_E0_NS1_11comp_targetILNS1_3genE8ELNS1_11target_archE1030ELNS1_3gpuE2ELNS1_3repE0EEENS1_38merge_mergepath_config_static_selectorELNS0_4arch9wavefront6targetE1EEEvSL_: ; @_ZN7rocprim17ROCPRIM_400000_NS6detail17trampoline_kernelINS0_14default_configENS1_38merge_sort_block_merge_config_selectorIxNS0_10empty_typeEEEZZNS1_27merge_sort_block_merge_implIS3_N6thrust23THRUST_200600_302600_NS6detail15normal_iteratorINS9_10device_ptrIxEEEEPS5_jNS1_19radix_merge_compareILb0ELb1ExNS0_19identity_decomposerEEEEE10hipError_tT0_T1_T2_jT3_P12ihipStream_tbPNSt15iterator_traitsISK_E10value_typeEPNSQ_ISL_E10value_typeEPSM_NS1_7vsmem_tEENKUlT_SK_SL_SM_E_clIPxSE_SF_SF_EESJ_SZ_SK_SL_SM_EUlSZ_E0_NS1_11comp_targetILNS1_3genE8ELNS1_11target_archE1030ELNS1_3gpuE2ELNS1_3repE0EEENS1_38merge_mergepath_config_static_selectorELNS0_4arch9wavefront6targetE1EEEvSL_
; %bb.0:
	.section	.rodata,"a",@progbits
	.p2align	6, 0x0
	.amdhsa_kernel _ZN7rocprim17ROCPRIM_400000_NS6detail17trampoline_kernelINS0_14default_configENS1_38merge_sort_block_merge_config_selectorIxNS0_10empty_typeEEEZZNS1_27merge_sort_block_merge_implIS3_N6thrust23THRUST_200600_302600_NS6detail15normal_iteratorINS9_10device_ptrIxEEEEPS5_jNS1_19radix_merge_compareILb0ELb1ExNS0_19identity_decomposerEEEEE10hipError_tT0_T1_T2_jT3_P12ihipStream_tbPNSt15iterator_traitsISK_E10value_typeEPNSQ_ISL_E10value_typeEPSM_NS1_7vsmem_tEENKUlT_SK_SL_SM_E_clIPxSE_SF_SF_EESJ_SZ_SK_SL_SM_EUlSZ_E0_NS1_11comp_targetILNS1_3genE8ELNS1_11target_archE1030ELNS1_3gpuE2ELNS1_3repE0EEENS1_38merge_mergepath_config_static_selectorELNS0_4arch9wavefront6targetE1EEEvSL_
		.amdhsa_group_segment_fixed_size 0
		.amdhsa_private_segment_fixed_size 0
		.amdhsa_kernarg_size 72
		.amdhsa_user_sgpr_count 2
		.amdhsa_user_sgpr_dispatch_ptr 0
		.amdhsa_user_sgpr_queue_ptr 0
		.amdhsa_user_sgpr_kernarg_segment_ptr 1
		.amdhsa_user_sgpr_dispatch_id 0
		.amdhsa_user_sgpr_kernarg_preload_length 0
		.amdhsa_user_sgpr_kernarg_preload_offset 0
		.amdhsa_user_sgpr_private_segment_size 0
		.amdhsa_uses_dynamic_stack 0
		.amdhsa_enable_private_segment 0
		.amdhsa_system_sgpr_workgroup_id_x 1
		.amdhsa_system_sgpr_workgroup_id_y 0
		.amdhsa_system_sgpr_workgroup_id_z 0
		.amdhsa_system_sgpr_workgroup_info 0
		.amdhsa_system_vgpr_workitem_id 0
		.amdhsa_next_free_vgpr 1
		.amdhsa_next_free_sgpr 0
		.amdhsa_accum_offset 4
		.amdhsa_reserve_vcc 0
		.amdhsa_float_round_mode_32 0
		.amdhsa_float_round_mode_16_64 0
		.amdhsa_float_denorm_mode_32 3
		.amdhsa_float_denorm_mode_16_64 3
		.amdhsa_dx10_clamp 1
		.amdhsa_ieee_mode 1
		.amdhsa_fp16_overflow 0
		.amdhsa_tg_split 0
		.amdhsa_exception_fp_ieee_invalid_op 0
		.amdhsa_exception_fp_denorm_src 0
		.amdhsa_exception_fp_ieee_div_zero 0
		.amdhsa_exception_fp_ieee_overflow 0
		.amdhsa_exception_fp_ieee_underflow 0
		.amdhsa_exception_fp_ieee_inexact 0
		.amdhsa_exception_int_div_zero 0
	.end_amdhsa_kernel
	.section	.text._ZN7rocprim17ROCPRIM_400000_NS6detail17trampoline_kernelINS0_14default_configENS1_38merge_sort_block_merge_config_selectorIxNS0_10empty_typeEEEZZNS1_27merge_sort_block_merge_implIS3_N6thrust23THRUST_200600_302600_NS6detail15normal_iteratorINS9_10device_ptrIxEEEEPS5_jNS1_19radix_merge_compareILb0ELb1ExNS0_19identity_decomposerEEEEE10hipError_tT0_T1_T2_jT3_P12ihipStream_tbPNSt15iterator_traitsISK_E10value_typeEPNSQ_ISL_E10value_typeEPSM_NS1_7vsmem_tEENKUlT_SK_SL_SM_E_clIPxSE_SF_SF_EESJ_SZ_SK_SL_SM_EUlSZ_E0_NS1_11comp_targetILNS1_3genE8ELNS1_11target_archE1030ELNS1_3gpuE2ELNS1_3repE0EEENS1_38merge_mergepath_config_static_selectorELNS0_4arch9wavefront6targetE1EEEvSL_,"axG",@progbits,_ZN7rocprim17ROCPRIM_400000_NS6detail17trampoline_kernelINS0_14default_configENS1_38merge_sort_block_merge_config_selectorIxNS0_10empty_typeEEEZZNS1_27merge_sort_block_merge_implIS3_N6thrust23THRUST_200600_302600_NS6detail15normal_iteratorINS9_10device_ptrIxEEEEPS5_jNS1_19radix_merge_compareILb0ELb1ExNS0_19identity_decomposerEEEEE10hipError_tT0_T1_T2_jT3_P12ihipStream_tbPNSt15iterator_traitsISK_E10value_typeEPNSQ_ISL_E10value_typeEPSM_NS1_7vsmem_tEENKUlT_SK_SL_SM_E_clIPxSE_SF_SF_EESJ_SZ_SK_SL_SM_EUlSZ_E0_NS1_11comp_targetILNS1_3genE8ELNS1_11target_archE1030ELNS1_3gpuE2ELNS1_3repE0EEENS1_38merge_mergepath_config_static_selectorELNS0_4arch9wavefront6targetE1EEEvSL_,comdat
.Lfunc_end1482:
	.size	_ZN7rocprim17ROCPRIM_400000_NS6detail17trampoline_kernelINS0_14default_configENS1_38merge_sort_block_merge_config_selectorIxNS0_10empty_typeEEEZZNS1_27merge_sort_block_merge_implIS3_N6thrust23THRUST_200600_302600_NS6detail15normal_iteratorINS9_10device_ptrIxEEEEPS5_jNS1_19radix_merge_compareILb0ELb1ExNS0_19identity_decomposerEEEEE10hipError_tT0_T1_T2_jT3_P12ihipStream_tbPNSt15iterator_traitsISK_E10value_typeEPNSQ_ISL_E10value_typeEPSM_NS1_7vsmem_tEENKUlT_SK_SL_SM_E_clIPxSE_SF_SF_EESJ_SZ_SK_SL_SM_EUlSZ_E0_NS1_11comp_targetILNS1_3genE8ELNS1_11target_archE1030ELNS1_3gpuE2ELNS1_3repE0EEENS1_38merge_mergepath_config_static_selectorELNS0_4arch9wavefront6targetE1EEEvSL_, .Lfunc_end1482-_ZN7rocprim17ROCPRIM_400000_NS6detail17trampoline_kernelINS0_14default_configENS1_38merge_sort_block_merge_config_selectorIxNS0_10empty_typeEEEZZNS1_27merge_sort_block_merge_implIS3_N6thrust23THRUST_200600_302600_NS6detail15normal_iteratorINS9_10device_ptrIxEEEEPS5_jNS1_19radix_merge_compareILb0ELb1ExNS0_19identity_decomposerEEEEE10hipError_tT0_T1_T2_jT3_P12ihipStream_tbPNSt15iterator_traitsISK_E10value_typeEPNSQ_ISL_E10value_typeEPSM_NS1_7vsmem_tEENKUlT_SK_SL_SM_E_clIPxSE_SF_SF_EESJ_SZ_SK_SL_SM_EUlSZ_E0_NS1_11comp_targetILNS1_3genE8ELNS1_11target_archE1030ELNS1_3gpuE2ELNS1_3repE0EEENS1_38merge_mergepath_config_static_selectorELNS0_4arch9wavefront6targetE1EEEvSL_
                                        ; -- End function
	.section	.AMDGPU.csdata,"",@progbits
; Kernel info:
; codeLenInByte = 0
; NumSgprs: 6
; NumVgprs: 0
; NumAgprs: 0
; TotalNumVgprs: 0
; ScratchSize: 0
; MemoryBound: 0
; FloatMode: 240
; IeeeMode: 1
; LDSByteSize: 0 bytes/workgroup (compile time only)
; SGPRBlocks: 0
; VGPRBlocks: 0
; NumSGPRsForWavesPerEU: 6
; NumVGPRsForWavesPerEU: 1
; AccumOffset: 4
; Occupancy: 8
; WaveLimiterHint : 0
; COMPUTE_PGM_RSRC2:SCRATCH_EN: 0
; COMPUTE_PGM_RSRC2:USER_SGPR: 2
; COMPUTE_PGM_RSRC2:TRAP_HANDLER: 0
; COMPUTE_PGM_RSRC2:TGID_X_EN: 1
; COMPUTE_PGM_RSRC2:TGID_Y_EN: 0
; COMPUTE_PGM_RSRC2:TGID_Z_EN: 0
; COMPUTE_PGM_RSRC2:TIDIG_COMP_CNT: 0
; COMPUTE_PGM_RSRC3_GFX90A:ACCUM_OFFSET: 0
; COMPUTE_PGM_RSRC3_GFX90A:TG_SPLIT: 0
	.section	.text._ZN7rocprim17ROCPRIM_400000_NS6detail17trampoline_kernelINS0_14default_configENS1_38merge_sort_block_merge_config_selectorIxNS0_10empty_typeEEEZZNS1_27merge_sort_block_merge_implIS3_N6thrust23THRUST_200600_302600_NS6detail15normal_iteratorINS9_10device_ptrIxEEEEPS5_jNS1_19radix_merge_compareILb0ELb1ExNS0_19identity_decomposerEEEEE10hipError_tT0_T1_T2_jT3_P12ihipStream_tbPNSt15iterator_traitsISK_E10value_typeEPNSQ_ISL_E10value_typeEPSM_NS1_7vsmem_tEENKUlT_SK_SL_SM_E_clIPxSE_SF_SF_EESJ_SZ_SK_SL_SM_EUlSZ_E1_NS1_11comp_targetILNS1_3genE0ELNS1_11target_archE4294967295ELNS1_3gpuE0ELNS1_3repE0EEENS1_36merge_oddeven_config_static_selectorELNS0_4arch9wavefront6targetE1EEEvSL_,"axG",@progbits,_ZN7rocprim17ROCPRIM_400000_NS6detail17trampoline_kernelINS0_14default_configENS1_38merge_sort_block_merge_config_selectorIxNS0_10empty_typeEEEZZNS1_27merge_sort_block_merge_implIS3_N6thrust23THRUST_200600_302600_NS6detail15normal_iteratorINS9_10device_ptrIxEEEEPS5_jNS1_19radix_merge_compareILb0ELb1ExNS0_19identity_decomposerEEEEE10hipError_tT0_T1_T2_jT3_P12ihipStream_tbPNSt15iterator_traitsISK_E10value_typeEPNSQ_ISL_E10value_typeEPSM_NS1_7vsmem_tEENKUlT_SK_SL_SM_E_clIPxSE_SF_SF_EESJ_SZ_SK_SL_SM_EUlSZ_E1_NS1_11comp_targetILNS1_3genE0ELNS1_11target_archE4294967295ELNS1_3gpuE0ELNS1_3repE0EEENS1_36merge_oddeven_config_static_selectorELNS0_4arch9wavefront6targetE1EEEvSL_,comdat
	.protected	_ZN7rocprim17ROCPRIM_400000_NS6detail17trampoline_kernelINS0_14default_configENS1_38merge_sort_block_merge_config_selectorIxNS0_10empty_typeEEEZZNS1_27merge_sort_block_merge_implIS3_N6thrust23THRUST_200600_302600_NS6detail15normal_iteratorINS9_10device_ptrIxEEEEPS5_jNS1_19radix_merge_compareILb0ELb1ExNS0_19identity_decomposerEEEEE10hipError_tT0_T1_T2_jT3_P12ihipStream_tbPNSt15iterator_traitsISK_E10value_typeEPNSQ_ISL_E10value_typeEPSM_NS1_7vsmem_tEENKUlT_SK_SL_SM_E_clIPxSE_SF_SF_EESJ_SZ_SK_SL_SM_EUlSZ_E1_NS1_11comp_targetILNS1_3genE0ELNS1_11target_archE4294967295ELNS1_3gpuE0ELNS1_3repE0EEENS1_36merge_oddeven_config_static_selectorELNS0_4arch9wavefront6targetE1EEEvSL_ ; -- Begin function _ZN7rocprim17ROCPRIM_400000_NS6detail17trampoline_kernelINS0_14default_configENS1_38merge_sort_block_merge_config_selectorIxNS0_10empty_typeEEEZZNS1_27merge_sort_block_merge_implIS3_N6thrust23THRUST_200600_302600_NS6detail15normal_iteratorINS9_10device_ptrIxEEEEPS5_jNS1_19radix_merge_compareILb0ELb1ExNS0_19identity_decomposerEEEEE10hipError_tT0_T1_T2_jT3_P12ihipStream_tbPNSt15iterator_traitsISK_E10value_typeEPNSQ_ISL_E10value_typeEPSM_NS1_7vsmem_tEENKUlT_SK_SL_SM_E_clIPxSE_SF_SF_EESJ_SZ_SK_SL_SM_EUlSZ_E1_NS1_11comp_targetILNS1_3genE0ELNS1_11target_archE4294967295ELNS1_3gpuE0ELNS1_3repE0EEENS1_36merge_oddeven_config_static_selectorELNS0_4arch9wavefront6targetE1EEEvSL_
	.globl	_ZN7rocprim17ROCPRIM_400000_NS6detail17trampoline_kernelINS0_14default_configENS1_38merge_sort_block_merge_config_selectorIxNS0_10empty_typeEEEZZNS1_27merge_sort_block_merge_implIS3_N6thrust23THRUST_200600_302600_NS6detail15normal_iteratorINS9_10device_ptrIxEEEEPS5_jNS1_19radix_merge_compareILb0ELb1ExNS0_19identity_decomposerEEEEE10hipError_tT0_T1_T2_jT3_P12ihipStream_tbPNSt15iterator_traitsISK_E10value_typeEPNSQ_ISL_E10value_typeEPSM_NS1_7vsmem_tEENKUlT_SK_SL_SM_E_clIPxSE_SF_SF_EESJ_SZ_SK_SL_SM_EUlSZ_E1_NS1_11comp_targetILNS1_3genE0ELNS1_11target_archE4294967295ELNS1_3gpuE0ELNS1_3repE0EEENS1_36merge_oddeven_config_static_selectorELNS0_4arch9wavefront6targetE1EEEvSL_
	.p2align	8
	.type	_ZN7rocprim17ROCPRIM_400000_NS6detail17trampoline_kernelINS0_14default_configENS1_38merge_sort_block_merge_config_selectorIxNS0_10empty_typeEEEZZNS1_27merge_sort_block_merge_implIS3_N6thrust23THRUST_200600_302600_NS6detail15normal_iteratorINS9_10device_ptrIxEEEEPS5_jNS1_19radix_merge_compareILb0ELb1ExNS0_19identity_decomposerEEEEE10hipError_tT0_T1_T2_jT3_P12ihipStream_tbPNSt15iterator_traitsISK_E10value_typeEPNSQ_ISL_E10value_typeEPSM_NS1_7vsmem_tEENKUlT_SK_SL_SM_E_clIPxSE_SF_SF_EESJ_SZ_SK_SL_SM_EUlSZ_E1_NS1_11comp_targetILNS1_3genE0ELNS1_11target_archE4294967295ELNS1_3gpuE0ELNS1_3repE0EEENS1_36merge_oddeven_config_static_selectorELNS0_4arch9wavefront6targetE1EEEvSL_,@function
_ZN7rocprim17ROCPRIM_400000_NS6detail17trampoline_kernelINS0_14default_configENS1_38merge_sort_block_merge_config_selectorIxNS0_10empty_typeEEEZZNS1_27merge_sort_block_merge_implIS3_N6thrust23THRUST_200600_302600_NS6detail15normal_iteratorINS9_10device_ptrIxEEEEPS5_jNS1_19radix_merge_compareILb0ELb1ExNS0_19identity_decomposerEEEEE10hipError_tT0_T1_T2_jT3_P12ihipStream_tbPNSt15iterator_traitsISK_E10value_typeEPNSQ_ISL_E10value_typeEPSM_NS1_7vsmem_tEENKUlT_SK_SL_SM_E_clIPxSE_SF_SF_EESJ_SZ_SK_SL_SM_EUlSZ_E1_NS1_11comp_targetILNS1_3genE0ELNS1_11target_archE4294967295ELNS1_3gpuE0ELNS1_3repE0EEENS1_36merge_oddeven_config_static_selectorELNS0_4arch9wavefront6targetE1EEEvSL_: ; @_ZN7rocprim17ROCPRIM_400000_NS6detail17trampoline_kernelINS0_14default_configENS1_38merge_sort_block_merge_config_selectorIxNS0_10empty_typeEEEZZNS1_27merge_sort_block_merge_implIS3_N6thrust23THRUST_200600_302600_NS6detail15normal_iteratorINS9_10device_ptrIxEEEEPS5_jNS1_19radix_merge_compareILb0ELb1ExNS0_19identity_decomposerEEEEE10hipError_tT0_T1_T2_jT3_P12ihipStream_tbPNSt15iterator_traitsISK_E10value_typeEPNSQ_ISL_E10value_typeEPSM_NS1_7vsmem_tEENKUlT_SK_SL_SM_E_clIPxSE_SF_SF_EESJ_SZ_SK_SL_SM_EUlSZ_E1_NS1_11comp_targetILNS1_3genE0ELNS1_11target_archE4294967295ELNS1_3gpuE0ELNS1_3repE0EEENS1_36merge_oddeven_config_static_selectorELNS0_4arch9wavefront6targetE1EEEvSL_
; %bb.0:
	.section	.rodata,"a",@progbits
	.p2align	6, 0x0
	.amdhsa_kernel _ZN7rocprim17ROCPRIM_400000_NS6detail17trampoline_kernelINS0_14default_configENS1_38merge_sort_block_merge_config_selectorIxNS0_10empty_typeEEEZZNS1_27merge_sort_block_merge_implIS3_N6thrust23THRUST_200600_302600_NS6detail15normal_iteratorINS9_10device_ptrIxEEEEPS5_jNS1_19radix_merge_compareILb0ELb1ExNS0_19identity_decomposerEEEEE10hipError_tT0_T1_T2_jT3_P12ihipStream_tbPNSt15iterator_traitsISK_E10value_typeEPNSQ_ISL_E10value_typeEPSM_NS1_7vsmem_tEENKUlT_SK_SL_SM_E_clIPxSE_SF_SF_EESJ_SZ_SK_SL_SM_EUlSZ_E1_NS1_11comp_targetILNS1_3genE0ELNS1_11target_archE4294967295ELNS1_3gpuE0ELNS1_3repE0EEENS1_36merge_oddeven_config_static_selectorELNS0_4arch9wavefront6targetE1EEEvSL_
		.amdhsa_group_segment_fixed_size 0
		.amdhsa_private_segment_fixed_size 0
		.amdhsa_kernarg_size 48
		.amdhsa_user_sgpr_count 2
		.amdhsa_user_sgpr_dispatch_ptr 0
		.amdhsa_user_sgpr_queue_ptr 0
		.amdhsa_user_sgpr_kernarg_segment_ptr 1
		.amdhsa_user_sgpr_dispatch_id 0
		.amdhsa_user_sgpr_kernarg_preload_length 0
		.amdhsa_user_sgpr_kernarg_preload_offset 0
		.amdhsa_user_sgpr_private_segment_size 0
		.amdhsa_uses_dynamic_stack 0
		.amdhsa_enable_private_segment 0
		.amdhsa_system_sgpr_workgroup_id_x 1
		.amdhsa_system_sgpr_workgroup_id_y 0
		.amdhsa_system_sgpr_workgroup_id_z 0
		.amdhsa_system_sgpr_workgroup_info 0
		.amdhsa_system_vgpr_workitem_id 0
		.amdhsa_next_free_vgpr 1
		.amdhsa_next_free_sgpr 0
		.amdhsa_accum_offset 4
		.amdhsa_reserve_vcc 0
		.amdhsa_float_round_mode_32 0
		.amdhsa_float_round_mode_16_64 0
		.amdhsa_float_denorm_mode_32 3
		.amdhsa_float_denorm_mode_16_64 3
		.amdhsa_dx10_clamp 1
		.amdhsa_ieee_mode 1
		.amdhsa_fp16_overflow 0
		.amdhsa_tg_split 0
		.amdhsa_exception_fp_ieee_invalid_op 0
		.amdhsa_exception_fp_denorm_src 0
		.amdhsa_exception_fp_ieee_div_zero 0
		.amdhsa_exception_fp_ieee_overflow 0
		.amdhsa_exception_fp_ieee_underflow 0
		.amdhsa_exception_fp_ieee_inexact 0
		.amdhsa_exception_int_div_zero 0
	.end_amdhsa_kernel
	.section	.text._ZN7rocprim17ROCPRIM_400000_NS6detail17trampoline_kernelINS0_14default_configENS1_38merge_sort_block_merge_config_selectorIxNS0_10empty_typeEEEZZNS1_27merge_sort_block_merge_implIS3_N6thrust23THRUST_200600_302600_NS6detail15normal_iteratorINS9_10device_ptrIxEEEEPS5_jNS1_19radix_merge_compareILb0ELb1ExNS0_19identity_decomposerEEEEE10hipError_tT0_T1_T2_jT3_P12ihipStream_tbPNSt15iterator_traitsISK_E10value_typeEPNSQ_ISL_E10value_typeEPSM_NS1_7vsmem_tEENKUlT_SK_SL_SM_E_clIPxSE_SF_SF_EESJ_SZ_SK_SL_SM_EUlSZ_E1_NS1_11comp_targetILNS1_3genE0ELNS1_11target_archE4294967295ELNS1_3gpuE0ELNS1_3repE0EEENS1_36merge_oddeven_config_static_selectorELNS0_4arch9wavefront6targetE1EEEvSL_,"axG",@progbits,_ZN7rocprim17ROCPRIM_400000_NS6detail17trampoline_kernelINS0_14default_configENS1_38merge_sort_block_merge_config_selectorIxNS0_10empty_typeEEEZZNS1_27merge_sort_block_merge_implIS3_N6thrust23THRUST_200600_302600_NS6detail15normal_iteratorINS9_10device_ptrIxEEEEPS5_jNS1_19radix_merge_compareILb0ELb1ExNS0_19identity_decomposerEEEEE10hipError_tT0_T1_T2_jT3_P12ihipStream_tbPNSt15iterator_traitsISK_E10value_typeEPNSQ_ISL_E10value_typeEPSM_NS1_7vsmem_tEENKUlT_SK_SL_SM_E_clIPxSE_SF_SF_EESJ_SZ_SK_SL_SM_EUlSZ_E1_NS1_11comp_targetILNS1_3genE0ELNS1_11target_archE4294967295ELNS1_3gpuE0ELNS1_3repE0EEENS1_36merge_oddeven_config_static_selectorELNS0_4arch9wavefront6targetE1EEEvSL_,comdat
.Lfunc_end1483:
	.size	_ZN7rocprim17ROCPRIM_400000_NS6detail17trampoline_kernelINS0_14default_configENS1_38merge_sort_block_merge_config_selectorIxNS0_10empty_typeEEEZZNS1_27merge_sort_block_merge_implIS3_N6thrust23THRUST_200600_302600_NS6detail15normal_iteratorINS9_10device_ptrIxEEEEPS5_jNS1_19radix_merge_compareILb0ELb1ExNS0_19identity_decomposerEEEEE10hipError_tT0_T1_T2_jT3_P12ihipStream_tbPNSt15iterator_traitsISK_E10value_typeEPNSQ_ISL_E10value_typeEPSM_NS1_7vsmem_tEENKUlT_SK_SL_SM_E_clIPxSE_SF_SF_EESJ_SZ_SK_SL_SM_EUlSZ_E1_NS1_11comp_targetILNS1_3genE0ELNS1_11target_archE4294967295ELNS1_3gpuE0ELNS1_3repE0EEENS1_36merge_oddeven_config_static_selectorELNS0_4arch9wavefront6targetE1EEEvSL_, .Lfunc_end1483-_ZN7rocprim17ROCPRIM_400000_NS6detail17trampoline_kernelINS0_14default_configENS1_38merge_sort_block_merge_config_selectorIxNS0_10empty_typeEEEZZNS1_27merge_sort_block_merge_implIS3_N6thrust23THRUST_200600_302600_NS6detail15normal_iteratorINS9_10device_ptrIxEEEEPS5_jNS1_19radix_merge_compareILb0ELb1ExNS0_19identity_decomposerEEEEE10hipError_tT0_T1_T2_jT3_P12ihipStream_tbPNSt15iterator_traitsISK_E10value_typeEPNSQ_ISL_E10value_typeEPSM_NS1_7vsmem_tEENKUlT_SK_SL_SM_E_clIPxSE_SF_SF_EESJ_SZ_SK_SL_SM_EUlSZ_E1_NS1_11comp_targetILNS1_3genE0ELNS1_11target_archE4294967295ELNS1_3gpuE0ELNS1_3repE0EEENS1_36merge_oddeven_config_static_selectorELNS0_4arch9wavefront6targetE1EEEvSL_
                                        ; -- End function
	.section	.AMDGPU.csdata,"",@progbits
; Kernel info:
; codeLenInByte = 0
; NumSgprs: 6
; NumVgprs: 0
; NumAgprs: 0
; TotalNumVgprs: 0
; ScratchSize: 0
; MemoryBound: 0
; FloatMode: 240
; IeeeMode: 1
; LDSByteSize: 0 bytes/workgroup (compile time only)
; SGPRBlocks: 0
; VGPRBlocks: 0
; NumSGPRsForWavesPerEU: 6
; NumVGPRsForWavesPerEU: 1
; AccumOffset: 4
; Occupancy: 8
; WaveLimiterHint : 0
; COMPUTE_PGM_RSRC2:SCRATCH_EN: 0
; COMPUTE_PGM_RSRC2:USER_SGPR: 2
; COMPUTE_PGM_RSRC2:TRAP_HANDLER: 0
; COMPUTE_PGM_RSRC2:TGID_X_EN: 1
; COMPUTE_PGM_RSRC2:TGID_Y_EN: 0
; COMPUTE_PGM_RSRC2:TGID_Z_EN: 0
; COMPUTE_PGM_RSRC2:TIDIG_COMP_CNT: 0
; COMPUTE_PGM_RSRC3_GFX90A:ACCUM_OFFSET: 0
; COMPUTE_PGM_RSRC3_GFX90A:TG_SPLIT: 0
	.section	.text._ZN7rocprim17ROCPRIM_400000_NS6detail17trampoline_kernelINS0_14default_configENS1_38merge_sort_block_merge_config_selectorIxNS0_10empty_typeEEEZZNS1_27merge_sort_block_merge_implIS3_N6thrust23THRUST_200600_302600_NS6detail15normal_iteratorINS9_10device_ptrIxEEEEPS5_jNS1_19radix_merge_compareILb0ELb1ExNS0_19identity_decomposerEEEEE10hipError_tT0_T1_T2_jT3_P12ihipStream_tbPNSt15iterator_traitsISK_E10value_typeEPNSQ_ISL_E10value_typeEPSM_NS1_7vsmem_tEENKUlT_SK_SL_SM_E_clIPxSE_SF_SF_EESJ_SZ_SK_SL_SM_EUlSZ_E1_NS1_11comp_targetILNS1_3genE10ELNS1_11target_archE1201ELNS1_3gpuE5ELNS1_3repE0EEENS1_36merge_oddeven_config_static_selectorELNS0_4arch9wavefront6targetE1EEEvSL_,"axG",@progbits,_ZN7rocprim17ROCPRIM_400000_NS6detail17trampoline_kernelINS0_14default_configENS1_38merge_sort_block_merge_config_selectorIxNS0_10empty_typeEEEZZNS1_27merge_sort_block_merge_implIS3_N6thrust23THRUST_200600_302600_NS6detail15normal_iteratorINS9_10device_ptrIxEEEEPS5_jNS1_19radix_merge_compareILb0ELb1ExNS0_19identity_decomposerEEEEE10hipError_tT0_T1_T2_jT3_P12ihipStream_tbPNSt15iterator_traitsISK_E10value_typeEPNSQ_ISL_E10value_typeEPSM_NS1_7vsmem_tEENKUlT_SK_SL_SM_E_clIPxSE_SF_SF_EESJ_SZ_SK_SL_SM_EUlSZ_E1_NS1_11comp_targetILNS1_3genE10ELNS1_11target_archE1201ELNS1_3gpuE5ELNS1_3repE0EEENS1_36merge_oddeven_config_static_selectorELNS0_4arch9wavefront6targetE1EEEvSL_,comdat
	.protected	_ZN7rocprim17ROCPRIM_400000_NS6detail17trampoline_kernelINS0_14default_configENS1_38merge_sort_block_merge_config_selectorIxNS0_10empty_typeEEEZZNS1_27merge_sort_block_merge_implIS3_N6thrust23THRUST_200600_302600_NS6detail15normal_iteratorINS9_10device_ptrIxEEEEPS5_jNS1_19radix_merge_compareILb0ELb1ExNS0_19identity_decomposerEEEEE10hipError_tT0_T1_T2_jT3_P12ihipStream_tbPNSt15iterator_traitsISK_E10value_typeEPNSQ_ISL_E10value_typeEPSM_NS1_7vsmem_tEENKUlT_SK_SL_SM_E_clIPxSE_SF_SF_EESJ_SZ_SK_SL_SM_EUlSZ_E1_NS1_11comp_targetILNS1_3genE10ELNS1_11target_archE1201ELNS1_3gpuE5ELNS1_3repE0EEENS1_36merge_oddeven_config_static_selectorELNS0_4arch9wavefront6targetE1EEEvSL_ ; -- Begin function _ZN7rocprim17ROCPRIM_400000_NS6detail17trampoline_kernelINS0_14default_configENS1_38merge_sort_block_merge_config_selectorIxNS0_10empty_typeEEEZZNS1_27merge_sort_block_merge_implIS3_N6thrust23THRUST_200600_302600_NS6detail15normal_iteratorINS9_10device_ptrIxEEEEPS5_jNS1_19radix_merge_compareILb0ELb1ExNS0_19identity_decomposerEEEEE10hipError_tT0_T1_T2_jT3_P12ihipStream_tbPNSt15iterator_traitsISK_E10value_typeEPNSQ_ISL_E10value_typeEPSM_NS1_7vsmem_tEENKUlT_SK_SL_SM_E_clIPxSE_SF_SF_EESJ_SZ_SK_SL_SM_EUlSZ_E1_NS1_11comp_targetILNS1_3genE10ELNS1_11target_archE1201ELNS1_3gpuE5ELNS1_3repE0EEENS1_36merge_oddeven_config_static_selectorELNS0_4arch9wavefront6targetE1EEEvSL_
	.globl	_ZN7rocprim17ROCPRIM_400000_NS6detail17trampoline_kernelINS0_14default_configENS1_38merge_sort_block_merge_config_selectorIxNS0_10empty_typeEEEZZNS1_27merge_sort_block_merge_implIS3_N6thrust23THRUST_200600_302600_NS6detail15normal_iteratorINS9_10device_ptrIxEEEEPS5_jNS1_19radix_merge_compareILb0ELb1ExNS0_19identity_decomposerEEEEE10hipError_tT0_T1_T2_jT3_P12ihipStream_tbPNSt15iterator_traitsISK_E10value_typeEPNSQ_ISL_E10value_typeEPSM_NS1_7vsmem_tEENKUlT_SK_SL_SM_E_clIPxSE_SF_SF_EESJ_SZ_SK_SL_SM_EUlSZ_E1_NS1_11comp_targetILNS1_3genE10ELNS1_11target_archE1201ELNS1_3gpuE5ELNS1_3repE0EEENS1_36merge_oddeven_config_static_selectorELNS0_4arch9wavefront6targetE1EEEvSL_
	.p2align	8
	.type	_ZN7rocprim17ROCPRIM_400000_NS6detail17trampoline_kernelINS0_14default_configENS1_38merge_sort_block_merge_config_selectorIxNS0_10empty_typeEEEZZNS1_27merge_sort_block_merge_implIS3_N6thrust23THRUST_200600_302600_NS6detail15normal_iteratorINS9_10device_ptrIxEEEEPS5_jNS1_19radix_merge_compareILb0ELb1ExNS0_19identity_decomposerEEEEE10hipError_tT0_T1_T2_jT3_P12ihipStream_tbPNSt15iterator_traitsISK_E10value_typeEPNSQ_ISL_E10value_typeEPSM_NS1_7vsmem_tEENKUlT_SK_SL_SM_E_clIPxSE_SF_SF_EESJ_SZ_SK_SL_SM_EUlSZ_E1_NS1_11comp_targetILNS1_3genE10ELNS1_11target_archE1201ELNS1_3gpuE5ELNS1_3repE0EEENS1_36merge_oddeven_config_static_selectorELNS0_4arch9wavefront6targetE1EEEvSL_,@function
_ZN7rocprim17ROCPRIM_400000_NS6detail17trampoline_kernelINS0_14default_configENS1_38merge_sort_block_merge_config_selectorIxNS0_10empty_typeEEEZZNS1_27merge_sort_block_merge_implIS3_N6thrust23THRUST_200600_302600_NS6detail15normal_iteratorINS9_10device_ptrIxEEEEPS5_jNS1_19radix_merge_compareILb0ELb1ExNS0_19identity_decomposerEEEEE10hipError_tT0_T1_T2_jT3_P12ihipStream_tbPNSt15iterator_traitsISK_E10value_typeEPNSQ_ISL_E10value_typeEPSM_NS1_7vsmem_tEENKUlT_SK_SL_SM_E_clIPxSE_SF_SF_EESJ_SZ_SK_SL_SM_EUlSZ_E1_NS1_11comp_targetILNS1_3genE10ELNS1_11target_archE1201ELNS1_3gpuE5ELNS1_3repE0EEENS1_36merge_oddeven_config_static_selectorELNS0_4arch9wavefront6targetE1EEEvSL_: ; @_ZN7rocprim17ROCPRIM_400000_NS6detail17trampoline_kernelINS0_14default_configENS1_38merge_sort_block_merge_config_selectorIxNS0_10empty_typeEEEZZNS1_27merge_sort_block_merge_implIS3_N6thrust23THRUST_200600_302600_NS6detail15normal_iteratorINS9_10device_ptrIxEEEEPS5_jNS1_19radix_merge_compareILb0ELb1ExNS0_19identity_decomposerEEEEE10hipError_tT0_T1_T2_jT3_P12ihipStream_tbPNSt15iterator_traitsISK_E10value_typeEPNSQ_ISL_E10value_typeEPSM_NS1_7vsmem_tEENKUlT_SK_SL_SM_E_clIPxSE_SF_SF_EESJ_SZ_SK_SL_SM_EUlSZ_E1_NS1_11comp_targetILNS1_3genE10ELNS1_11target_archE1201ELNS1_3gpuE5ELNS1_3repE0EEENS1_36merge_oddeven_config_static_selectorELNS0_4arch9wavefront6targetE1EEEvSL_
; %bb.0:
	.section	.rodata,"a",@progbits
	.p2align	6, 0x0
	.amdhsa_kernel _ZN7rocprim17ROCPRIM_400000_NS6detail17trampoline_kernelINS0_14default_configENS1_38merge_sort_block_merge_config_selectorIxNS0_10empty_typeEEEZZNS1_27merge_sort_block_merge_implIS3_N6thrust23THRUST_200600_302600_NS6detail15normal_iteratorINS9_10device_ptrIxEEEEPS5_jNS1_19radix_merge_compareILb0ELb1ExNS0_19identity_decomposerEEEEE10hipError_tT0_T1_T2_jT3_P12ihipStream_tbPNSt15iterator_traitsISK_E10value_typeEPNSQ_ISL_E10value_typeEPSM_NS1_7vsmem_tEENKUlT_SK_SL_SM_E_clIPxSE_SF_SF_EESJ_SZ_SK_SL_SM_EUlSZ_E1_NS1_11comp_targetILNS1_3genE10ELNS1_11target_archE1201ELNS1_3gpuE5ELNS1_3repE0EEENS1_36merge_oddeven_config_static_selectorELNS0_4arch9wavefront6targetE1EEEvSL_
		.amdhsa_group_segment_fixed_size 0
		.amdhsa_private_segment_fixed_size 0
		.amdhsa_kernarg_size 48
		.amdhsa_user_sgpr_count 2
		.amdhsa_user_sgpr_dispatch_ptr 0
		.amdhsa_user_sgpr_queue_ptr 0
		.amdhsa_user_sgpr_kernarg_segment_ptr 1
		.amdhsa_user_sgpr_dispatch_id 0
		.amdhsa_user_sgpr_kernarg_preload_length 0
		.amdhsa_user_sgpr_kernarg_preload_offset 0
		.amdhsa_user_sgpr_private_segment_size 0
		.amdhsa_uses_dynamic_stack 0
		.amdhsa_enable_private_segment 0
		.amdhsa_system_sgpr_workgroup_id_x 1
		.amdhsa_system_sgpr_workgroup_id_y 0
		.amdhsa_system_sgpr_workgroup_id_z 0
		.amdhsa_system_sgpr_workgroup_info 0
		.amdhsa_system_vgpr_workitem_id 0
		.amdhsa_next_free_vgpr 1
		.amdhsa_next_free_sgpr 0
		.amdhsa_accum_offset 4
		.amdhsa_reserve_vcc 0
		.amdhsa_float_round_mode_32 0
		.amdhsa_float_round_mode_16_64 0
		.amdhsa_float_denorm_mode_32 3
		.amdhsa_float_denorm_mode_16_64 3
		.amdhsa_dx10_clamp 1
		.amdhsa_ieee_mode 1
		.amdhsa_fp16_overflow 0
		.amdhsa_tg_split 0
		.amdhsa_exception_fp_ieee_invalid_op 0
		.amdhsa_exception_fp_denorm_src 0
		.amdhsa_exception_fp_ieee_div_zero 0
		.amdhsa_exception_fp_ieee_overflow 0
		.amdhsa_exception_fp_ieee_underflow 0
		.amdhsa_exception_fp_ieee_inexact 0
		.amdhsa_exception_int_div_zero 0
	.end_amdhsa_kernel
	.section	.text._ZN7rocprim17ROCPRIM_400000_NS6detail17trampoline_kernelINS0_14default_configENS1_38merge_sort_block_merge_config_selectorIxNS0_10empty_typeEEEZZNS1_27merge_sort_block_merge_implIS3_N6thrust23THRUST_200600_302600_NS6detail15normal_iteratorINS9_10device_ptrIxEEEEPS5_jNS1_19radix_merge_compareILb0ELb1ExNS0_19identity_decomposerEEEEE10hipError_tT0_T1_T2_jT3_P12ihipStream_tbPNSt15iterator_traitsISK_E10value_typeEPNSQ_ISL_E10value_typeEPSM_NS1_7vsmem_tEENKUlT_SK_SL_SM_E_clIPxSE_SF_SF_EESJ_SZ_SK_SL_SM_EUlSZ_E1_NS1_11comp_targetILNS1_3genE10ELNS1_11target_archE1201ELNS1_3gpuE5ELNS1_3repE0EEENS1_36merge_oddeven_config_static_selectorELNS0_4arch9wavefront6targetE1EEEvSL_,"axG",@progbits,_ZN7rocprim17ROCPRIM_400000_NS6detail17trampoline_kernelINS0_14default_configENS1_38merge_sort_block_merge_config_selectorIxNS0_10empty_typeEEEZZNS1_27merge_sort_block_merge_implIS3_N6thrust23THRUST_200600_302600_NS6detail15normal_iteratorINS9_10device_ptrIxEEEEPS5_jNS1_19radix_merge_compareILb0ELb1ExNS0_19identity_decomposerEEEEE10hipError_tT0_T1_T2_jT3_P12ihipStream_tbPNSt15iterator_traitsISK_E10value_typeEPNSQ_ISL_E10value_typeEPSM_NS1_7vsmem_tEENKUlT_SK_SL_SM_E_clIPxSE_SF_SF_EESJ_SZ_SK_SL_SM_EUlSZ_E1_NS1_11comp_targetILNS1_3genE10ELNS1_11target_archE1201ELNS1_3gpuE5ELNS1_3repE0EEENS1_36merge_oddeven_config_static_selectorELNS0_4arch9wavefront6targetE1EEEvSL_,comdat
.Lfunc_end1484:
	.size	_ZN7rocprim17ROCPRIM_400000_NS6detail17trampoline_kernelINS0_14default_configENS1_38merge_sort_block_merge_config_selectorIxNS0_10empty_typeEEEZZNS1_27merge_sort_block_merge_implIS3_N6thrust23THRUST_200600_302600_NS6detail15normal_iteratorINS9_10device_ptrIxEEEEPS5_jNS1_19radix_merge_compareILb0ELb1ExNS0_19identity_decomposerEEEEE10hipError_tT0_T1_T2_jT3_P12ihipStream_tbPNSt15iterator_traitsISK_E10value_typeEPNSQ_ISL_E10value_typeEPSM_NS1_7vsmem_tEENKUlT_SK_SL_SM_E_clIPxSE_SF_SF_EESJ_SZ_SK_SL_SM_EUlSZ_E1_NS1_11comp_targetILNS1_3genE10ELNS1_11target_archE1201ELNS1_3gpuE5ELNS1_3repE0EEENS1_36merge_oddeven_config_static_selectorELNS0_4arch9wavefront6targetE1EEEvSL_, .Lfunc_end1484-_ZN7rocprim17ROCPRIM_400000_NS6detail17trampoline_kernelINS0_14default_configENS1_38merge_sort_block_merge_config_selectorIxNS0_10empty_typeEEEZZNS1_27merge_sort_block_merge_implIS3_N6thrust23THRUST_200600_302600_NS6detail15normal_iteratorINS9_10device_ptrIxEEEEPS5_jNS1_19radix_merge_compareILb0ELb1ExNS0_19identity_decomposerEEEEE10hipError_tT0_T1_T2_jT3_P12ihipStream_tbPNSt15iterator_traitsISK_E10value_typeEPNSQ_ISL_E10value_typeEPSM_NS1_7vsmem_tEENKUlT_SK_SL_SM_E_clIPxSE_SF_SF_EESJ_SZ_SK_SL_SM_EUlSZ_E1_NS1_11comp_targetILNS1_3genE10ELNS1_11target_archE1201ELNS1_3gpuE5ELNS1_3repE0EEENS1_36merge_oddeven_config_static_selectorELNS0_4arch9wavefront6targetE1EEEvSL_
                                        ; -- End function
	.section	.AMDGPU.csdata,"",@progbits
; Kernel info:
; codeLenInByte = 0
; NumSgprs: 6
; NumVgprs: 0
; NumAgprs: 0
; TotalNumVgprs: 0
; ScratchSize: 0
; MemoryBound: 0
; FloatMode: 240
; IeeeMode: 1
; LDSByteSize: 0 bytes/workgroup (compile time only)
; SGPRBlocks: 0
; VGPRBlocks: 0
; NumSGPRsForWavesPerEU: 6
; NumVGPRsForWavesPerEU: 1
; AccumOffset: 4
; Occupancy: 8
; WaveLimiterHint : 0
; COMPUTE_PGM_RSRC2:SCRATCH_EN: 0
; COMPUTE_PGM_RSRC2:USER_SGPR: 2
; COMPUTE_PGM_RSRC2:TRAP_HANDLER: 0
; COMPUTE_PGM_RSRC2:TGID_X_EN: 1
; COMPUTE_PGM_RSRC2:TGID_Y_EN: 0
; COMPUTE_PGM_RSRC2:TGID_Z_EN: 0
; COMPUTE_PGM_RSRC2:TIDIG_COMP_CNT: 0
; COMPUTE_PGM_RSRC3_GFX90A:ACCUM_OFFSET: 0
; COMPUTE_PGM_RSRC3_GFX90A:TG_SPLIT: 0
	.section	.text._ZN7rocprim17ROCPRIM_400000_NS6detail17trampoline_kernelINS0_14default_configENS1_38merge_sort_block_merge_config_selectorIxNS0_10empty_typeEEEZZNS1_27merge_sort_block_merge_implIS3_N6thrust23THRUST_200600_302600_NS6detail15normal_iteratorINS9_10device_ptrIxEEEEPS5_jNS1_19radix_merge_compareILb0ELb1ExNS0_19identity_decomposerEEEEE10hipError_tT0_T1_T2_jT3_P12ihipStream_tbPNSt15iterator_traitsISK_E10value_typeEPNSQ_ISL_E10value_typeEPSM_NS1_7vsmem_tEENKUlT_SK_SL_SM_E_clIPxSE_SF_SF_EESJ_SZ_SK_SL_SM_EUlSZ_E1_NS1_11comp_targetILNS1_3genE5ELNS1_11target_archE942ELNS1_3gpuE9ELNS1_3repE0EEENS1_36merge_oddeven_config_static_selectorELNS0_4arch9wavefront6targetE1EEEvSL_,"axG",@progbits,_ZN7rocprim17ROCPRIM_400000_NS6detail17trampoline_kernelINS0_14default_configENS1_38merge_sort_block_merge_config_selectorIxNS0_10empty_typeEEEZZNS1_27merge_sort_block_merge_implIS3_N6thrust23THRUST_200600_302600_NS6detail15normal_iteratorINS9_10device_ptrIxEEEEPS5_jNS1_19radix_merge_compareILb0ELb1ExNS0_19identity_decomposerEEEEE10hipError_tT0_T1_T2_jT3_P12ihipStream_tbPNSt15iterator_traitsISK_E10value_typeEPNSQ_ISL_E10value_typeEPSM_NS1_7vsmem_tEENKUlT_SK_SL_SM_E_clIPxSE_SF_SF_EESJ_SZ_SK_SL_SM_EUlSZ_E1_NS1_11comp_targetILNS1_3genE5ELNS1_11target_archE942ELNS1_3gpuE9ELNS1_3repE0EEENS1_36merge_oddeven_config_static_selectorELNS0_4arch9wavefront6targetE1EEEvSL_,comdat
	.protected	_ZN7rocprim17ROCPRIM_400000_NS6detail17trampoline_kernelINS0_14default_configENS1_38merge_sort_block_merge_config_selectorIxNS0_10empty_typeEEEZZNS1_27merge_sort_block_merge_implIS3_N6thrust23THRUST_200600_302600_NS6detail15normal_iteratorINS9_10device_ptrIxEEEEPS5_jNS1_19radix_merge_compareILb0ELb1ExNS0_19identity_decomposerEEEEE10hipError_tT0_T1_T2_jT3_P12ihipStream_tbPNSt15iterator_traitsISK_E10value_typeEPNSQ_ISL_E10value_typeEPSM_NS1_7vsmem_tEENKUlT_SK_SL_SM_E_clIPxSE_SF_SF_EESJ_SZ_SK_SL_SM_EUlSZ_E1_NS1_11comp_targetILNS1_3genE5ELNS1_11target_archE942ELNS1_3gpuE9ELNS1_3repE0EEENS1_36merge_oddeven_config_static_selectorELNS0_4arch9wavefront6targetE1EEEvSL_ ; -- Begin function _ZN7rocprim17ROCPRIM_400000_NS6detail17trampoline_kernelINS0_14default_configENS1_38merge_sort_block_merge_config_selectorIxNS0_10empty_typeEEEZZNS1_27merge_sort_block_merge_implIS3_N6thrust23THRUST_200600_302600_NS6detail15normal_iteratorINS9_10device_ptrIxEEEEPS5_jNS1_19radix_merge_compareILb0ELb1ExNS0_19identity_decomposerEEEEE10hipError_tT0_T1_T2_jT3_P12ihipStream_tbPNSt15iterator_traitsISK_E10value_typeEPNSQ_ISL_E10value_typeEPSM_NS1_7vsmem_tEENKUlT_SK_SL_SM_E_clIPxSE_SF_SF_EESJ_SZ_SK_SL_SM_EUlSZ_E1_NS1_11comp_targetILNS1_3genE5ELNS1_11target_archE942ELNS1_3gpuE9ELNS1_3repE0EEENS1_36merge_oddeven_config_static_selectorELNS0_4arch9wavefront6targetE1EEEvSL_
	.globl	_ZN7rocprim17ROCPRIM_400000_NS6detail17trampoline_kernelINS0_14default_configENS1_38merge_sort_block_merge_config_selectorIxNS0_10empty_typeEEEZZNS1_27merge_sort_block_merge_implIS3_N6thrust23THRUST_200600_302600_NS6detail15normal_iteratorINS9_10device_ptrIxEEEEPS5_jNS1_19radix_merge_compareILb0ELb1ExNS0_19identity_decomposerEEEEE10hipError_tT0_T1_T2_jT3_P12ihipStream_tbPNSt15iterator_traitsISK_E10value_typeEPNSQ_ISL_E10value_typeEPSM_NS1_7vsmem_tEENKUlT_SK_SL_SM_E_clIPxSE_SF_SF_EESJ_SZ_SK_SL_SM_EUlSZ_E1_NS1_11comp_targetILNS1_3genE5ELNS1_11target_archE942ELNS1_3gpuE9ELNS1_3repE0EEENS1_36merge_oddeven_config_static_selectorELNS0_4arch9wavefront6targetE1EEEvSL_
	.p2align	8
	.type	_ZN7rocprim17ROCPRIM_400000_NS6detail17trampoline_kernelINS0_14default_configENS1_38merge_sort_block_merge_config_selectorIxNS0_10empty_typeEEEZZNS1_27merge_sort_block_merge_implIS3_N6thrust23THRUST_200600_302600_NS6detail15normal_iteratorINS9_10device_ptrIxEEEEPS5_jNS1_19radix_merge_compareILb0ELb1ExNS0_19identity_decomposerEEEEE10hipError_tT0_T1_T2_jT3_P12ihipStream_tbPNSt15iterator_traitsISK_E10value_typeEPNSQ_ISL_E10value_typeEPSM_NS1_7vsmem_tEENKUlT_SK_SL_SM_E_clIPxSE_SF_SF_EESJ_SZ_SK_SL_SM_EUlSZ_E1_NS1_11comp_targetILNS1_3genE5ELNS1_11target_archE942ELNS1_3gpuE9ELNS1_3repE0EEENS1_36merge_oddeven_config_static_selectorELNS0_4arch9wavefront6targetE1EEEvSL_,@function
_ZN7rocprim17ROCPRIM_400000_NS6detail17trampoline_kernelINS0_14default_configENS1_38merge_sort_block_merge_config_selectorIxNS0_10empty_typeEEEZZNS1_27merge_sort_block_merge_implIS3_N6thrust23THRUST_200600_302600_NS6detail15normal_iteratorINS9_10device_ptrIxEEEEPS5_jNS1_19radix_merge_compareILb0ELb1ExNS0_19identity_decomposerEEEEE10hipError_tT0_T1_T2_jT3_P12ihipStream_tbPNSt15iterator_traitsISK_E10value_typeEPNSQ_ISL_E10value_typeEPSM_NS1_7vsmem_tEENKUlT_SK_SL_SM_E_clIPxSE_SF_SF_EESJ_SZ_SK_SL_SM_EUlSZ_E1_NS1_11comp_targetILNS1_3genE5ELNS1_11target_archE942ELNS1_3gpuE9ELNS1_3repE0EEENS1_36merge_oddeven_config_static_selectorELNS0_4arch9wavefront6targetE1EEEvSL_: ; @_ZN7rocprim17ROCPRIM_400000_NS6detail17trampoline_kernelINS0_14default_configENS1_38merge_sort_block_merge_config_selectorIxNS0_10empty_typeEEEZZNS1_27merge_sort_block_merge_implIS3_N6thrust23THRUST_200600_302600_NS6detail15normal_iteratorINS9_10device_ptrIxEEEEPS5_jNS1_19radix_merge_compareILb0ELb1ExNS0_19identity_decomposerEEEEE10hipError_tT0_T1_T2_jT3_P12ihipStream_tbPNSt15iterator_traitsISK_E10value_typeEPNSQ_ISL_E10value_typeEPSM_NS1_7vsmem_tEENKUlT_SK_SL_SM_E_clIPxSE_SF_SF_EESJ_SZ_SK_SL_SM_EUlSZ_E1_NS1_11comp_targetILNS1_3genE5ELNS1_11target_archE942ELNS1_3gpuE9ELNS1_3repE0EEENS1_36merge_oddeven_config_static_selectorELNS0_4arch9wavefront6targetE1EEEvSL_
; %bb.0:
	s_load_dword s18, s[0:1], 0x20
	s_waitcnt lgkmcnt(0)
	s_lshr_b32 s3, s18, 8
	s_cmp_lg_u32 s2, s3
	s_cselect_b64 s[14:15], -1, 0
	s_cmp_eq_u32 s2, s3
	s_cselect_b64 s[12:13], -1, 0
	s_lshl_b32 s16, s2, 8
	s_sub_i32 s3, s18, s16
	v_cmp_gt_u32_e64 s[6:7], s3, v0
	s_or_b64 s[4:5], s[14:15], s[6:7]
	s_and_saveexec_b64 s[8:9], s[4:5]
	s_cbranch_execz .LBB1485_20
; %bb.1:
	s_load_dwordx4 s[8:11], s[0:1], 0x0
	s_load_dword s19, s[0:1], 0x24
	s_mov_b32 s17, 0
	s_lshl_b64 s[4:5], s[16:17], 3
	v_lshlrev_b32_e32 v1, 3, v0
	s_waitcnt lgkmcnt(0)
	s_add_u32 s4, s8, s4
	s_addc_u32 s5, s9, s5
	global_load_dwordx2 v[2:3], v1, s[4:5]
	s_lshr_b32 s3, s19, 8
	s_sub_i32 s4, 0, s3
	s_and_b32 s2, s2, s4
	s_and_b32 s3, s2, s3
	s_lshl_b32 s20, s2, 8
	s_sub_i32 s17, 0, s19
	s_cmp_eq_u32 s3, 0
	s_cselect_b64 s[4:5], -1, 0
	s_and_b64 s[2:3], s[4:5], exec
	s_cselect_b32 s17, s19, s17
	s_add_i32 s17, s17, s20
	s_cmp_lt_u32 s17, s18
	v_add_u32_e32 v0, s16, v0
	s_cbranch_scc1 .LBB1485_3
; %bb.2:
	v_cmp_gt_u32_e32 vcc, s18, v0
	s_or_b64 s[2:3], vcc, s[14:15]
	s_and_b64 s[2:3], s[2:3], exec
	s_cbranch_execz .LBB1485_4
	s_branch .LBB1485_18
.LBB1485_3:
	s_mov_b64 s[2:3], 0
.LBB1485_4:
	s_load_dwordx2 s[0:1], s[0:1], 0x28
	s_min_u32 s14, s17, s18
	s_min_u32 s16, s20, s14
	s_add_i32 s20, s20, s14
	s_add_i32 s15, s14, s19
	v_subrev_u32_e32 v0, s20, v0
	s_min_u32 s15, s15, s18
	v_add_u32_e32 v6, s16, v0
	s_and_b64 vcc, exec, s[12:13]
	s_cbranch_vccz .LBB1485_12
; %bb.5:
                                        ; implicit-def: $vgpr0
	s_and_saveexec_b64 s[12:13], s[6:7]
	s_cbranch_execz .LBB1485_11
; %bb.6:
	s_cmp_ge_u32 s17, s15
	v_mov_b32_e32 v7, s14
	s_cbranch_scc1 .LBB1485_10
; %bb.7:
	s_waitcnt vmcnt(0) lgkmcnt(0)
	v_and_b32_e32 v1, s1, v3
	v_and_b32_e32 v0, s0, v2
	s_mov_b64 s[6:7], 0
	v_mov_b32_e32 v8, s15
	v_mov_b32_e32 v7, s14
	;; [unrolled: 1-line block ×3, first 2 shown]
.LBB1485_8:                             ; =>This Inner Loop Header: Depth=1
	v_add_u32_e32 v4, v7, v8
	v_lshrrev_b32_e32 v4, 1, v4
	v_lshl_add_u64 v[10:11], v[4:5], 3, s[8:9]
	global_load_dwordx2 v[10:11], v[10:11], off
	v_add_u32_e32 v9, 1, v4
	s_waitcnt vmcnt(0)
	v_and_b32_e32 v11, s1, v11
	v_and_b32_e32 v10, s0, v10
	v_cmp_gt_i64_e32 vcc, v[0:1], v[10:11]
	s_nop 1
	v_cndmask_b32_e64 v12, 0, 1, vcc
	v_cmp_le_i64_e32 vcc, v[10:11], v[0:1]
	s_nop 1
	v_cndmask_b32_e64 v10, 0, 1, vcc
	v_cndmask_b32_e64 v10, v10, v12, s[4:5]
	v_and_b32_e32 v10, 1, v10
	v_cmp_eq_u32_e32 vcc, 1, v10
	s_nop 1
	v_cndmask_b32_e32 v8, v4, v8, vcc
	v_cndmask_b32_e32 v7, v7, v9, vcc
	v_cmp_ge_u32_e32 vcc, v7, v8
	s_or_b64 s[6:7], vcc, s[6:7]
	s_andn2_b64 exec, exec, s[6:7]
	s_cbranch_execnz .LBB1485_8
; %bb.9:
	s_or_b64 exec, exec, s[6:7]
.LBB1485_10:
	v_add_u32_e32 v0, v7, v6
	s_or_b64 s[2:3], s[2:3], exec
.LBB1485_11:
	s_or_b64 exec, exec, s[12:13]
	s_branch .LBB1485_18
.LBB1485_12:
                                        ; implicit-def: $vgpr0
	s_cbranch_execz .LBB1485_18
; %bb.13:
	s_cmp_ge_u32 s17, s15
	v_mov_b32_e32 v7, s14
	s_cbranch_scc1 .LBB1485_17
; %bb.14:
	s_waitcnt vmcnt(0) lgkmcnt(0)
	v_and_b32_e32 v1, s1, v3
	v_and_b32_e32 v0, s0, v2
	s_mov_b64 s[2:3], 0
	v_mov_b32_e32 v8, s15
	v_mov_b32_e32 v7, s14
	;; [unrolled: 1-line block ×3, first 2 shown]
.LBB1485_15:                            ; =>This Inner Loop Header: Depth=1
	v_add_u32_e32 v4, v7, v8
	v_lshrrev_b32_e32 v4, 1, v4
	v_lshl_add_u64 v[10:11], v[4:5], 3, s[8:9]
	global_load_dwordx2 v[10:11], v[10:11], off
	v_add_u32_e32 v9, 1, v4
	s_waitcnt vmcnt(0)
	v_and_b32_e32 v11, s1, v11
	v_and_b32_e32 v10, s0, v10
	v_cmp_gt_i64_e32 vcc, v[0:1], v[10:11]
	s_nop 1
	v_cndmask_b32_e64 v12, 0, 1, vcc
	v_cmp_le_i64_e32 vcc, v[10:11], v[0:1]
	s_nop 1
	v_cndmask_b32_e64 v10, 0, 1, vcc
	v_cndmask_b32_e64 v10, v10, v12, s[4:5]
	v_and_b32_e32 v10, 1, v10
	v_cmp_eq_u32_e32 vcc, 1, v10
	s_nop 1
	v_cndmask_b32_e32 v8, v4, v8, vcc
	v_cndmask_b32_e32 v7, v7, v9, vcc
	v_cmp_ge_u32_e32 vcc, v7, v8
	s_or_b64 s[2:3], vcc, s[2:3]
	s_andn2_b64 exec, exec, s[2:3]
	s_cbranch_execnz .LBB1485_15
; %bb.16:
	s_or_b64 exec, exec, s[2:3]
.LBB1485_17:
	v_add_u32_e32 v0, v7, v6
	s_mov_b64 s[2:3], -1
.LBB1485_18:
	s_and_b64 exec, exec, s[2:3]
	s_cbranch_execz .LBB1485_20
; %bb.19:
	v_mov_b32_e32 v4, s10
	v_mov_b32_e32 v5, s11
	;; [unrolled: 1-line block ×3, first 2 shown]
	v_lshl_add_u64 v[0:1], v[0:1], 3, v[4:5]
	s_waitcnt vmcnt(0)
	global_store_dwordx2 v[0:1], v[2:3], off
.LBB1485_20:
	s_endpgm
	.section	.rodata,"a",@progbits
	.p2align	6, 0x0
	.amdhsa_kernel _ZN7rocprim17ROCPRIM_400000_NS6detail17trampoline_kernelINS0_14default_configENS1_38merge_sort_block_merge_config_selectorIxNS0_10empty_typeEEEZZNS1_27merge_sort_block_merge_implIS3_N6thrust23THRUST_200600_302600_NS6detail15normal_iteratorINS9_10device_ptrIxEEEEPS5_jNS1_19radix_merge_compareILb0ELb1ExNS0_19identity_decomposerEEEEE10hipError_tT0_T1_T2_jT3_P12ihipStream_tbPNSt15iterator_traitsISK_E10value_typeEPNSQ_ISL_E10value_typeEPSM_NS1_7vsmem_tEENKUlT_SK_SL_SM_E_clIPxSE_SF_SF_EESJ_SZ_SK_SL_SM_EUlSZ_E1_NS1_11comp_targetILNS1_3genE5ELNS1_11target_archE942ELNS1_3gpuE9ELNS1_3repE0EEENS1_36merge_oddeven_config_static_selectorELNS0_4arch9wavefront6targetE1EEEvSL_
		.amdhsa_group_segment_fixed_size 0
		.amdhsa_private_segment_fixed_size 0
		.amdhsa_kernarg_size 48
		.amdhsa_user_sgpr_count 2
		.amdhsa_user_sgpr_dispatch_ptr 0
		.amdhsa_user_sgpr_queue_ptr 0
		.amdhsa_user_sgpr_kernarg_segment_ptr 1
		.amdhsa_user_sgpr_dispatch_id 0
		.amdhsa_user_sgpr_kernarg_preload_length 0
		.amdhsa_user_sgpr_kernarg_preload_offset 0
		.amdhsa_user_sgpr_private_segment_size 0
		.amdhsa_uses_dynamic_stack 0
		.amdhsa_enable_private_segment 0
		.amdhsa_system_sgpr_workgroup_id_x 1
		.amdhsa_system_sgpr_workgroup_id_y 0
		.amdhsa_system_sgpr_workgroup_id_z 0
		.amdhsa_system_sgpr_workgroup_info 0
		.amdhsa_system_vgpr_workitem_id 0
		.amdhsa_next_free_vgpr 13
		.amdhsa_next_free_sgpr 21
		.amdhsa_accum_offset 16
		.amdhsa_reserve_vcc 1
		.amdhsa_float_round_mode_32 0
		.amdhsa_float_round_mode_16_64 0
		.amdhsa_float_denorm_mode_32 3
		.amdhsa_float_denorm_mode_16_64 3
		.amdhsa_dx10_clamp 1
		.amdhsa_ieee_mode 1
		.amdhsa_fp16_overflow 0
		.amdhsa_tg_split 0
		.amdhsa_exception_fp_ieee_invalid_op 0
		.amdhsa_exception_fp_denorm_src 0
		.amdhsa_exception_fp_ieee_div_zero 0
		.amdhsa_exception_fp_ieee_overflow 0
		.amdhsa_exception_fp_ieee_underflow 0
		.amdhsa_exception_fp_ieee_inexact 0
		.amdhsa_exception_int_div_zero 0
	.end_amdhsa_kernel
	.section	.text._ZN7rocprim17ROCPRIM_400000_NS6detail17trampoline_kernelINS0_14default_configENS1_38merge_sort_block_merge_config_selectorIxNS0_10empty_typeEEEZZNS1_27merge_sort_block_merge_implIS3_N6thrust23THRUST_200600_302600_NS6detail15normal_iteratorINS9_10device_ptrIxEEEEPS5_jNS1_19radix_merge_compareILb0ELb1ExNS0_19identity_decomposerEEEEE10hipError_tT0_T1_T2_jT3_P12ihipStream_tbPNSt15iterator_traitsISK_E10value_typeEPNSQ_ISL_E10value_typeEPSM_NS1_7vsmem_tEENKUlT_SK_SL_SM_E_clIPxSE_SF_SF_EESJ_SZ_SK_SL_SM_EUlSZ_E1_NS1_11comp_targetILNS1_3genE5ELNS1_11target_archE942ELNS1_3gpuE9ELNS1_3repE0EEENS1_36merge_oddeven_config_static_selectorELNS0_4arch9wavefront6targetE1EEEvSL_,"axG",@progbits,_ZN7rocprim17ROCPRIM_400000_NS6detail17trampoline_kernelINS0_14default_configENS1_38merge_sort_block_merge_config_selectorIxNS0_10empty_typeEEEZZNS1_27merge_sort_block_merge_implIS3_N6thrust23THRUST_200600_302600_NS6detail15normal_iteratorINS9_10device_ptrIxEEEEPS5_jNS1_19radix_merge_compareILb0ELb1ExNS0_19identity_decomposerEEEEE10hipError_tT0_T1_T2_jT3_P12ihipStream_tbPNSt15iterator_traitsISK_E10value_typeEPNSQ_ISL_E10value_typeEPSM_NS1_7vsmem_tEENKUlT_SK_SL_SM_E_clIPxSE_SF_SF_EESJ_SZ_SK_SL_SM_EUlSZ_E1_NS1_11comp_targetILNS1_3genE5ELNS1_11target_archE942ELNS1_3gpuE9ELNS1_3repE0EEENS1_36merge_oddeven_config_static_selectorELNS0_4arch9wavefront6targetE1EEEvSL_,comdat
.Lfunc_end1485:
	.size	_ZN7rocprim17ROCPRIM_400000_NS6detail17trampoline_kernelINS0_14default_configENS1_38merge_sort_block_merge_config_selectorIxNS0_10empty_typeEEEZZNS1_27merge_sort_block_merge_implIS3_N6thrust23THRUST_200600_302600_NS6detail15normal_iteratorINS9_10device_ptrIxEEEEPS5_jNS1_19radix_merge_compareILb0ELb1ExNS0_19identity_decomposerEEEEE10hipError_tT0_T1_T2_jT3_P12ihipStream_tbPNSt15iterator_traitsISK_E10value_typeEPNSQ_ISL_E10value_typeEPSM_NS1_7vsmem_tEENKUlT_SK_SL_SM_E_clIPxSE_SF_SF_EESJ_SZ_SK_SL_SM_EUlSZ_E1_NS1_11comp_targetILNS1_3genE5ELNS1_11target_archE942ELNS1_3gpuE9ELNS1_3repE0EEENS1_36merge_oddeven_config_static_selectorELNS0_4arch9wavefront6targetE1EEEvSL_, .Lfunc_end1485-_ZN7rocprim17ROCPRIM_400000_NS6detail17trampoline_kernelINS0_14default_configENS1_38merge_sort_block_merge_config_selectorIxNS0_10empty_typeEEEZZNS1_27merge_sort_block_merge_implIS3_N6thrust23THRUST_200600_302600_NS6detail15normal_iteratorINS9_10device_ptrIxEEEEPS5_jNS1_19radix_merge_compareILb0ELb1ExNS0_19identity_decomposerEEEEE10hipError_tT0_T1_T2_jT3_P12ihipStream_tbPNSt15iterator_traitsISK_E10value_typeEPNSQ_ISL_E10value_typeEPSM_NS1_7vsmem_tEENKUlT_SK_SL_SM_E_clIPxSE_SF_SF_EESJ_SZ_SK_SL_SM_EUlSZ_E1_NS1_11comp_targetILNS1_3genE5ELNS1_11target_archE942ELNS1_3gpuE9ELNS1_3repE0EEENS1_36merge_oddeven_config_static_selectorELNS0_4arch9wavefront6targetE1EEEvSL_
                                        ; -- End function
	.section	.AMDGPU.csdata,"",@progbits
; Kernel info:
; codeLenInByte = 632
; NumSgprs: 27
; NumVgprs: 13
; NumAgprs: 0
; TotalNumVgprs: 13
; ScratchSize: 0
; MemoryBound: 0
; FloatMode: 240
; IeeeMode: 1
; LDSByteSize: 0 bytes/workgroup (compile time only)
; SGPRBlocks: 3
; VGPRBlocks: 1
; NumSGPRsForWavesPerEU: 27
; NumVGPRsForWavesPerEU: 13
; AccumOffset: 16
; Occupancy: 8
; WaveLimiterHint : 0
; COMPUTE_PGM_RSRC2:SCRATCH_EN: 0
; COMPUTE_PGM_RSRC2:USER_SGPR: 2
; COMPUTE_PGM_RSRC2:TRAP_HANDLER: 0
; COMPUTE_PGM_RSRC2:TGID_X_EN: 1
; COMPUTE_PGM_RSRC2:TGID_Y_EN: 0
; COMPUTE_PGM_RSRC2:TGID_Z_EN: 0
; COMPUTE_PGM_RSRC2:TIDIG_COMP_CNT: 0
; COMPUTE_PGM_RSRC3_GFX90A:ACCUM_OFFSET: 3
; COMPUTE_PGM_RSRC3_GFX90A:TG_SPLIT: 0
	.section	.text._ZN7rocprim17ROCPRIM_400000_NS6detail17trampoline_kernelINS0_14default_configENS1_38merge_sort_block_merge_config_selectorIxNS0_10empty_typeEEEZZNS1_27merge_sort_block_merge_implIS3_N6thrust23THRUST_200600_302600_NS6detail15normal_iteratorINS9_10device_ptrIxEEEEPS5_jNS1_19radix_merge_compareILb0ELb1ExNS0_19identity_decomposerEEEEE10hipError_tT0_T1_T2_jT3_P12ihipStream_tbPNSt15iterator_traitsISK_E10value_typeEPNSQ_ISL_E10value_typeEPSM_NS1_7vsmem_tEENKUlT_SK_SL_SM_E_clIPxSE_SF_SF_EESJ_SZ_SK_SL_SM_EUlSZ_E1_NS1_11comp_targetILNS1_3genE4ELNS1_11target_archE910ELNS1_3gpuE8ELNS1_3repE0EEENS1_36merge_oddeven_config_static_selectorELNS0_4arch9wavefront6targetE1EEEvSL_,"axG",@progbits,_ZN7rocprim17ROCPRIM_400000_NS6detail17trampoline_kernelINS0_14default_configENS1_38merge_sort_block_merge_config_selectorIxNS0_10empty_typeEEEZZNS1_27merge_sort_block_merge_implIS3_N6thrust23THRUST_200600_302600_NS6detail15normal_iteratorINS9_10device_ptrIxEEEEPS5_jNS1_19radix_merge_compareILb0ELb1ExNS0_19identity_decomposerEEEEE10hipError_tT0_T1_T2_jT3_P12ihipStream_tbPNSt15iterator_traitsISK_E10value_typeEPNSQ_ISL_E10value_typeEPSM_NS1_7vsmem_tEENKUlT_SK_SL_SM_E_clIPxSE_SF_SF_EESJ_SZ_SK_SL_SM_EUlSZ_E1_NS1_11comp_targetILNS1_3genE4ELNS1_11target_archE910ELNS1_3gpuE8ELNS1_3repE0EEENS1_36merge_oddeven_config_static_selectorELNS0_4arch9wavefront6targetE1EEEvSL_,comdat
	.protected	_ZN7rocprim17ROCPRIM_400000_NS6detail17trampoline_kernelINS0_14default_configENS1_38merge_sort_block_merge_config_selectorIxNS0_10empty_typeEEEZZNS1_27merge_sort_block_merge_implIS3_N6thrust23THRUST_200600_302600_NS6detail15normal_iteratorINS9_10device_ptrIxEEEEPS5_jNS1_19radix_merge_compareILb0ELb1ExNS0_19identity_decomposerEEEEE10hipError_tT0_T1_T2_jT3_P12ihipStream_tbPNSt15iterator_traitsISK_E10value_typeEPNSQ_ISL_E10value_typeEPSM_NS1_7vsmem_tEENKUlT_SK_SL_SM_E_clIPxSE_SF_SF_EESJ_SZ_SK_SL_SM_EUlSZ_E1_NS1_11comp_targetILNS1_3genE4ELNS1_11target_archE910ELNS1_3gpuE8ELNS1_3repE0EEENS1_36merge_oddeven_config_static_selectorELNS0_4arch9wavefront6targetE1EEEvSL_ ; -- Begin function _ZN7rocprim17ROCPRIM_400000_NS6detail17trampoline_kernelINS0_14default_configENS1_38merge_sort_block_merge_config_selectorIxNS0_10empty_typeEEEZZNS1_27merge_sort_block_merge_implIS3_N6thrust23THRUST_200600_302600_NS6detail15normal_iteratorINS9_10device_ptrIxEEEEPS5_jNS1_19radix_merge_compareILb0ELb1ExNS0_19identity_decomposerEEEEE10hipError_tT0_T1_T2_jT3_P12ihipStream_tbPNSt15iterator_traitsISK_E10value_typeEPNSQ_ISL_E10value_typeEPSM_NS1_7vsmem_tEENKUlT_SK_SL_SM_E_clIPxSE_SF_SF_EESJ_SZ_SK_SL_SM_EUlSZ_E1_NS1_11comp_targetILNS1_3genE4ELNS1_11target_archE910ELNS1_3gpuE8ELNS1_3repE0EEENS1_36merge_oddeven_config_static_selectorELNS0_4arch9wavefront6targetE1EEEvSL_
	.globl	_ZN7rocprim17ROCPRIM_400000_NS6detail17trampoline_kernelINS0_14default_configENS1_38merge_sort_block_merge_config_selectorIxNS0_10empty_typeEEEZZNS1_27merge_sort_block_merge_implIS3_N6thrust23THRUST_200600_302600_NS6detail15normal_iteratorINS9_10device_ptrIxEEEEPS5_jNS1_19radix_merge_compareILb0ELb1ExNS0_19identity_decomposerEEEEE10hipError_tT0_T1_T2_jT3_P12ihipStream_tbPNSt15iterator_traitsISK_E10value_typeEPNSQ_ISL_E10value_typeEPSM_NS1_7vsmem_tEENKUlT_SK_SL_SM_E_clIPxSE_SF_SF_EESJ_SZ_SK_SL_SM_EUlSZ_E1_NS1_11comp_targetILNS1_3genE4ELNS1_11target_archE910ELNS1_3gpuE8ELNS1_3repE0EEENS1_36merge_oddeven_config_static_selectorELNS0_4arch9wavefront6targetE1EEEvSL_
	.p2align	8
	.type	_ZN7rocprim17ROCPRIM_400000_NS6detail17trampoline_kernelINS0_14default_configENS1_38merge_sort_block_merge_config_selectorIxNS0_10empty_typeEEEZZNS1_27merge_sort_block_merge_implIS3_N6thrust23THRUST_200600_302600_NS6detail15normal_iteratorINS9_10device_ptrIxEEEEPS5_jNS1_19radix_merge_compareILb0ELb1ExNS0_19identity_decomposerEEEEE10hipError_tT0_T1_T2_jT3_P12ihipStream_tbPNSt15iterator_traitsISK_E10value_typeEPNSQ_ISL_E10value_typeEPSM_NS1_7vsmem_tEENKUlT_SK_SL_SM_E_clIPxSE_SF_SF_EESJ_SZ_SK_SL_SM_EUlSZ_E1_NS1_11comp_targetILNS1_3genE4ELNS1_11target_archE910ELNS1_3gpuE8ELNS1_3repE0EEENS1_36merge_oddeven_config_static_selectorELNS0_4arch9wavefront6targetE1EEEvSL_,@function
_ZN7rocprim17ROCPRIM_400000_NS6detail17trampoline_kernelINS0_14default_configENS1_38merge_sort_block_merge_config_selectorIxNS0_10empty_typeEEEZZNS1_27merge_sort_block_merge_implIS3_N6thrust23THRUST_200600_302600_NS6detail15normal_iteratorINS9_10device_ptrIxEEEEPS5_jNS1_19radix_merge_compareILb0ELb1ExNS0_19identity_decomposerEEEEE10hipError_tT0_T1_T2_jT3_P12ihipStream_tbPNSt15iterator_traitsISK_E10value_typeEPNSQ_ISL_E10value_typeEPSM_NS1_7vsmem_tEENKUlT_SK_SL_SM_E_clIPxSE_SF_SF_EESJ_SZ_SK_SL_SM_EUlSZ_E1_NS1_11comp_targetILNS1_3genE4ELNS1_11target_archE910ELNS1_3gpuE8ELNS1_3repE0EEENS1_36merge_oddeven_config_static_selectorELNS0_4arch9wavefront6targetE1EEEvSL_: ; @_ZN7rocprim17ROCPRIM_400000_NS6detail17trampoline_kernelINS0_14default_configENS1_38merge_sort_block_merge_config_selectorIxNS0_10empty_typeEEEZZNS1_27merge_sort_block_merge_implIS3_N6thrust23THRUST_200600_302600_NS6detail15normal_iteratorINS9_10device_ptrIxEEEEPS5_jNS1_19radix_merge_compareILb0ELb1ExNS0_19identity_decomposerEEEEE10hipError_tT0_T1_T2_jT3_P12ihipStream_tbPNSt15iterator_traitsISK_E10value_typeEPNSQ_ISL_E10value_typeEPSM_NS1_7vsmem_tEENKUlT_SK_SL_SM_E_clIPxSE_SF_SF_EESJ_SZ_SK_SL_SM_EUlSZ_E1_NS1_11comp_targetILNS1_3genE4ELNS1_11target_archE910ELNS1_3gpuE8ELNS1_3repE0EEENS1_36merge_oddeven_config_static_selectorELNS0_4arch9wavefront6targetE1EEEvSL_
; %bb.0:
	.section	.rodata,"a",@progbits
	.p2align	6, 0x0
	.amdhsa_kernel _ZN7rocprim17ROCPRIM_400000_NS6detail17trampoline_kernelINS0_14default_configENS1_38merge_sort_block_merge_config_selectorIxNS0_10empty_typeEEEZZNS1_27merge_sort_block_merge_implIS3_N6thrust23THRUST_200600_302600_NS6detail15normal_iteratorINS9_10device_ptrIxEEEEPS5_jNS1_19radix_merge_compareILb0ELb1ExNS0_19identity_decomposerEEEEE10hipError_tT0_T1_T2_jT3_P12ihipStream_tbPNSt15iterator_traitsISK_E10value_typeEPNSQ_ISL_E10value_typeEPSM_NS1_7vsmem_tEENKUlT_SK_SL_SM_E_clIPxSE_SF_SF_EESJ_SZ_SK_SL_SM_EUlSZ_E1_NS1_11comp_targetILNS1_3genE4ELNS1_11target_archE910ELNS1_3gpuE8ELNS1_3repE0EEENS1_36merge_oddeven_config_static_selectorELNS0_4arch9wavefront6targetE1EEEvSL_
		.amdhsa_group_segment_fixed_size 0
		.amdhsa_private_segment_fixed_size 0
		.amdhsa_kernarg_size 48
		.amdhsa_user_sgpr_count 2
		.amdhsa_user_sgpr_dispatch_ptr 0
		.amdhsa_user_sgpr_queue_ptr 0
		.amdhsa_user_sgpr_kernarg_segment_ptr 1
		.amdhsa_user_sgpr_dispatch_id 0
		.amdhsa_user_sgpr_kernarg_preload_length 0
		.amdhsa_user_sgpr_kernarg_preload_offset 0
		.amdhsa_user_sgpr_private_segment_size 0
		.amdhsa_uses_dynamic_stack 0
		.amdhsa_enable_private_segment 0
		.amdhsa_system_sgpr_workgroup_id_x 1
		.amdhsa_system_sgpr_workgroup_id_y 0
		.amdhsa_system_sgpr_workgroup_id_z 0
		.amdhsa_system_sgpr_workgroup_info 0
		.amdhsa_system_vgpr_workitem_id 0
		.amdhsa_next_free_vgpr 1
		.amdhsa_next_free_sgpr 0
		.amdhsa_accum_offset 4
		.amdhsa_reserve_vcc 0
		.amdhsa_float_round_mode_32 0
		.amdhsa_float_round_mode_16_64 0
		.amdhsa_float_denorm_mode_32 3
		.amdhsa_float_denorm_mode_16_64 3
		.amdhsa_dx10_clamp 1
		.amdhsa_ieee_mode 1
		.amdhsa_fp16_overflow 0
		.amdhsa_tg_split 0
		.amdhsa_exception_fp_ieee_invalid_op 0
		.amdhsa_exception_fp_denorm_src 0
		.amdhsa_exception_fp_ieee_div_zero 0
		.amdhsa_exception_fp_ieee_overflow 0
		.amdhsa_exception_fp_ieee_underflow 0
		.amdhsa_exception_fp_ieee_inexact 0
		.amdhsa_exception_int_div_zero 0
	.end_amdhsa_kernel
	.section	.text._ZN7rocprim17ROCPRIM_400000_NS6detail17trampoline_kernelINS0_14default_configENS1_38merge_sort_block_merge_config_selectorIxNS0_10empty_typeEEEZZNS1_27merge_sort_block_merge_implIS3_N6thrust23THRUST_200600_302600_NS6detail15normal_iteratorINS9_10device_ptrIxEEEEPS5_jNS1_19radix_merge_compareILb0ELb1ExNS0_19identity_decomposerEEEEE10hipError_tT0_T1_T2_jT3_P12ihipStream_tbPNSt15iterator_traitsISK_E10value_typeEPNSQ_ISL_E10value_typeEPSM_NS1_7vsmem_tEENKUlT_SK_SL_SM_E_clIPxSE_SF_SF_EESJ_SZ_SK_SL_SM_EUlSZ_E1_NS1_11comp_targetILNS1_3genE4ELNS1_11target_archE910ELNS1_3gpuE8ELNS1_3repE0EEENS1_36merge_oddeven_config_static_selectorELNS0_4arch9wavefront6targetE1EEEvSL_,"axG",@progbits,_ZN7rocprim17ROCPRIM_400000_NS6detail17trampoline_kernelINS0_14default_configENS1_38merge_sort_block_merge_config_selectorIxNS0_10empty_typeEEEZZNS1_27merge_sort_block_merge_implIS3_N6thrust23THRUST_200600_302600_NS6detail15normal_iteratorINS9_10device_ptrIxEEEEPS5_jNS1_19radix_merge_compareILb0ELb1ExNS0_19identity_decomposerEEEEE10hipError_tT0_T1_T2_jT3_P12ihipStream_tbPNSt15iterator_traitsISK_E10value_typeEPNSQ_ISL_E10value_typeEPSM_NS1_7vsmem_tEENKUlT_SK_SL_SM_E_clIPxSE_SF_SF_EESJ_SZ_SK_SL_SM_EUlSZ_E1_NS1_11comp_targetILNS1_3genE4ELNS1_11target_archE910ELNS1_3gpuE8ELNS1_3repE0EEENS1_36merge_oddeven_config_static_selectorELNS0_4arch9wavefront6targetE1EEEvSL_,comdat
.Lfunc_end1486:
	.size	_ZN7rocprim17ROCPRIM_400000_NS6detail17trampoline_kernelINS0_14default_configENS1_38merge_sort_block_merge_config_selectorIxNS0_10empty_typeEEEZZNS1_27merge_sort_block_merge_implIS3_N6thrust23THRUST_200600_302600_NS6detail15normal_iteratorINS9_10device_ptrIxEEEEPS5_jNS1_19radix_merge_compareILb0ELb1ExNS0_19identity_decomposerEEEEE10hipError_tT0_T1_T2_jT3_P12ihipStream_tbPNSt15iterator_traitsISK_E10value_typeEPNSQ_ISL_E10value_typeEPSM_NS1_7vsmem_tEENKUlT_SK_SL_SM_E_clIPxSE_SF_SF_EESJ_SZ_SK_SL_SM_EUlSZ_E1_NS1_11comp_targetILNS1_3genE4ELNS1_11target_archE910ELNS1_3gpuE8ELNS1_3repE0EEENS1_36merge_oddeven_config_static_selectorELNS0_4arch9wavefront6targetE1EEEvSL_, .Lfunc_end1486-_ZN7rocprim17ROCPRIM_400000_NS6detail17trampoline_kernelINS0_14default_configENS1_38merge_sort_block_merge_config_selectorIxNS0_10empty_typeEEEZZNS1_27merge_sort_block_merge_implIS3_N6thrust23THRUST_200600_302600_NS6detail15normal_iteratorINS9_10device_ptrIxEEEEPS5_jNS1_19radix_merge_compareILb0ELb1ExNS0_19identity_decomposerEEEEE10hipError_tT0_T1_T2_jT3_P12ihipStream_tbPNSt15iterator_traitsISK_E10value_typeEPNSQ_ISL_E10value_typeEPSM_NS1_7vsmem_tEENKUlT_SK_SL_SM_E_clIPxSE_SF_SF_EESJ_SZ_SK_SL_SM_EUlSZ_E1_NS1_11comp_targetILNS1_3genE4ELNS1_11target_archE910ELNS1_3gpuE8ELNS1_3repE0EEENS1_36merge_oddeven_config_static_selectorELNS0_4arch9wavefront6targetE1EEEvSL_
                                        ; -- End function
	.section	.AMDGPU.csdata,"",@progbits
; Kernel info:
; codeLenInByte = 0
; NumSgprs: 6
; NumVgprs: 0
; NumAgprs: 0
; TotalNumVgprs: 0
; ScratchSize: 0
; MemoryBound: 0
; FloatMode: 240
; IeeeMode: 1
; LDSByteSize: 0 bytes/workgroup (compile time only)
; SGPRBlocks: 0
; VGPRBlocks: 0
; NumSGPRsForWavesPerEU: 6
; NumVGPRsForWavesPerEU: 1
; AccumOffset: 4
; Occupancy: 8
; WaveLimiterHint : 0
; COMPUTE_PGM_RSRC2:SCRATCH_EN: 0
; COMPUTE_PGM_RSRC2:USER_SGPR: 2
; COMPUTE_PGM_RSRC2:TRAP_HANDLER: 0
; COMPUTE_PGM_RSRC2:TGID_X_EN: 1
; COMPUTE_PGM_RSRC2:TGID_Y_EN: 0
; COMPUTE_PGM_RSRC2:TGID_Z_EN: 0
; COMPUTE_PGM_RSRC2:TIDIG_COMP_CNT: 0
; COMPUTE_PGM_RSRC3_GFX90A:ACCUM_OFFSET: 0
; COMPUTE_PGM_RSRC3_GFX90A:TG_SPLIT: 0
	.section	.text._ZN7rocprim17ROCPRIM_400000_NS6detail17trampoline_kernelINS0_14default_configENS1_38merge_sort_block_merge_config_selectorIxNS0_10empty_typeEEEZZNS1_27merge_sort_block_merge_implIS3_N6thrust23THRUST_200600_302600_NS6detail15normal_iteratorINS9_10device_ptrIxEEEEPS5_jNS1_19radix_merge_compareILb0ELb1ExNS0_19identity_decomposerEEEEE10hipError_tT0_T1_T2_jT3_P12ihipStream_tbPNSt15iterator_traitsISK_E10value_typeEPNSQ_ISL_E10value_typeEPSM_NS1_7vsmem_tEENKUlT_SK_SL_SM_E_clIPxSE_SF_SF_EESJ_SZ_SK_SL_SM_EUlSZ_E1_NS1_11comp_targetILNS1_3genE3ELNS1_11target_archE908ELNS1_3gpuE7ELNS1_3repE0EEENS1_36merge_oddeven_config_static_selectorELNS0_4arch9wavefront6targetE1EEEvSL_,"axG",@progbits,_ZN7rocprim17ROCPRIM_400000_NS6detail17trampoline_kernelINS0_14default_configENS1_38merge_sort_block_merge_config_selectorIxNS0_10empty_typeEEEZZNS1_27merge_sort_block_merge_implIS3_N6thrust23THRUST_200600_302600_NS6detail15normal_iteratorINS9_10device_ptrIxEEEEPS5_jNS1_19radix_merge_compareILb0ELb1ExNS0_19identity_decomposerEEEEE10hipError_tT0_T1_T2_jT3_P12ihipStream_tbPNSt15iterator_traitsISK_E10value_typeEPNSQ_ISL_E10value_typeEPSM_NS1_7vsmem_tEENKUlT_SK_SL_SM_E_clIPxSE_SF_SF_EESJ_SZ_SK_SL_SM_EUlSZ_E1_NS1_11comp_targetILNS1_3genE3ELNS1_11target_archE908ELNS1_3gpuE7ELNS1_3repE0EEENS1_36merge_oddeven_config_static_selectorELNS0_4arch9wavefront6targetE1EEEvSL_,comdat
	.protected	_ZN7rocprim17ROCPRIM_400000_NS6detail17trampoline_kernelINS0_14default_configENS1_38merge_sort_block_merge_config_selectorIxNS0_10empty_typeEEEZZNS1_27merge_sort_block_merge_implIS3_N6thrust23THRUST_200600_302600_NS6detail15normal_iteratorINS9_10device_ptrIxEEEEPS5_jNS1_19radix_merge_compareILb0ELb1ExNS0_19identity_decomposerEEEEE10hipError_tT0_T1_T2_jT3_P12ihipStream_tbPNSt15iterator_traitsISK_E10value_typeEPNSQ_ISL_E10value_typeEPSM_NS1_7vsmem_tEENKUlT_SK_SL_SM_E_clIPxSE_SF_SF_EESJ_SZ_SK_SL_SM_EUlSZ_E1_NS1_11comp_targetILNS1_3genE3ELNS1_11target_archE908ELNS1_3gpuE7ELNS1_3repE0EEENS1_36merge_oddeven_config_static_selectorELNS0_4arch9wavefront6targetE1EEEvSL_ ; -- Begin function _ZN7rocprim17ROCPRIM_400000_NS6detail17trampoline_kernelINS0_14default_configENS1_38merge_sort_block_merge_config_selectorIxNS0_10empty_typeEEEZZNS1_27merge_sort_block_merge_implIS3_N6thrust23THRUST_200600_302600_NS6detail15normal_iteratorINS9_10device_ptrIxEEEEPS5_jNS1_19radix_merge_compareILb0ELb1ExNS0_19identity_decomposerEEEEE10hipError_tT0_T1_T2_jT3_P12ihipStream_tbPNSt15iterator_traitsISK_E10value_typeEPNSQ_ISL_E10value_typeEPSM_NS1_7vsmem_tEENKUlT_SK_SL_SM_E_clIPxSE_SF_SF_EESJ_SZ_SK_SL_SM_EUlSZ_E1_NS1_11comp_targetILNS1_3genE3ELNS1_11target_archE908ELNS1_3gpuE7ELNS1_3repE0EEENS1_36merge_oddeven_config_static_selectorELNS0_4arch9wavefront6targetE1EEEvSL_
	.globl	_ZN7rocprim17ROCPRIM_400000_NS6detail17trampoline_kernelINS0_14default_configENS1_38merge_sort_block_merge_config_selectorIxNS0_10empty_typeEEEZZNS1_27merge_sort_block_merge_implIS3_N6thrust23THRUST_200600_302600_NS6detail15normal_iteratorINS9_10device_ptrIxEEEEPS5_jNS1_19radix_merge_compareILb0ELb1ExNS0_19identity_decomposerEEEEE10hipError_tT0_T1_T2_jT3_P12ihipStream_tbPNSt15iterator_traitsISK_E10value_typeEPNSQ_ISL_E10value_typeEPSM_NS1_7vsmem_tEENKUlT_SK_SL_SM_E_clIPxSE_SF_SF_EESJ_SZ_SK_SL_SM_EUlSZ_E1_NS1_11comp_targetILNS1_3genE3ELNS1_11target_archE908ELNS1_3gpuE7ELNS1_3repE0EEENS1_36merge_oddeven_config_static_selectorELNS0_4arch9wavefront6targetE1EEEvSL_
	.p2align	8
	.type	_ZN7rocprim17ROCPRIM_400000_NS6detail17trampoline_kernelINS0_14default_configENS1_38merge_sort_block_merge_config_selectorIxNS0_10empty_typeEEEZZNS1_27merge_sort_block_merge_implIS3_N6thrust23THRUST_200600_302600_NS6detail15normal_iteratorINS9_10device_ptrIxEEEEPS5_jNS1_19radix_merge_compareILb0ELb1ExNS0_19identity_decomposerEEEEE10hipError_tT0_T1_T2_jT3_P12ihipStream_tbPNSt15iterator_traitsISK_E10value_typeEPNSQ_ISL_E10value_typeEPSM_NS1_7vsmem_tEENKUlT_SK_SL_SM_E_clIPxSE_SF_SF_EESJ_SZ_SK_SL_SM_EUlSZ_E1_NS1_11comp_targetILNS1_3genE3ELNS1_11target_archE908ELNS1_3gpuE7ELNS1_3repE0EEENS1_36merge_oddeven_config_static_selectorELNS0_4arch9wavefront6targetE1EEEvSL_,@function
_ZN7rocprim17ROCPRIM_400000_NS6detail17trampoline_kernelINS0_14default_configENS1_38merge_sort_block_merge_config_selectorIxNS0_10empty_typeEEEZZNS1_27merge_sort_block_merge_implIS3_N6thrust23THRUST_200600_302600_NS6detail15normal_iteratorINS9_10device_ptrIxEEEEPS5_jNS1_19radix_merge_compareILb0ELb1ExNS0_19identity_decomposerEEEEE10hipError_tT0_T1_T2_jT3_P12ihipStream_tbPNSt15iterator_traitsISK_E10value_typeEPNSQ_ISL_E10value_typeEPSM_NS1_7vsmem_tEENKUlT_SK_SL_SM_E_clIPxSE_SF_SF_EESJ_SZ_SK_SL_SM_EUlSZ_E1_NS1_11comp_targetILNS1_3genE3ELNS1_11target_archE908ELNS1_3gpuE7ELNS1_3repE0EEENS1_36merge_oddeven_config_static_selectorELNS0_4arch9wavefront6targetE1EEEvSL_: ; @_ZN7rocprim17ROCPRIM_400000_NS6detail17trampoline_kernelINS0_14default_configENS1_38merge_sort_block_merge_config_selectorIxNS0_10empty_typeEEEZZNS1_27merge_sort_block_merge_implIS3_N6thrust23THRUST_200600_302600_NS6detail15normal_iteratorINS9_10device_ptrIxEEEEPS5_jNS1_19radix_merge_compareILb0ELb1ExNS0_19identity_decomposerEEEEE10hipError_tT0_T1_T2_jT3_P12ihipStream_tbPNSt15iterator_traitsISK_E10value_typeEPNSQ_ISL_E10value_typeEPSM_NS1_7vsmem_tEENKUlT_SK_SL_SM_E_clIPxSE_SF_SF_EESJ_SZ_SK_SL_SM_EUlSZ_E1_NS1_11comp_targetILNS1_3genE3ELNS1_11target_archE908ELNS1_3gpuE7ELNS1_3repE0EEENS1_36merge_oddeven_config_static_selectorELNS0_4arch9wavefront6targetE1EEEvSL_
; %bb.0:
	.section	.rodata,"a",@progbits
	.p2align	6, 0x0
	.amdhsa_kernel _ZN7rocprim17ROCPRIM_400000_NS6detail17trampoline_kernelINS0_14default_configENS1_38merge_sort_block_merge_config_selectorIxNS0_10empty_typeEEEZZNS1_27merge_sort_block_merge_implIS3_N6thrust23THRUST_200600_302600_NS6detail15normal_iteratorINS9_10device_ptrIxEEEEPS5_jNS1_19radix_merge_compareILb0ELb1ExNS0_19identity_decomposerEEEEE10hipError_tT0_T1_T2_jT3_P12ihipStream_tbPNSt15iterator_traitsISK_E10value_typeEPNSQ_ISL_E10value_typeEPSM_NS1_7vsmem_tEENKUlT_SK_SL_SM_E_clIPxSE_SF_SF_EESJ_SZ_SK_SL_SM_EUlSZ_E1_NS1_11comp_targetILNS1_3genE3ELNS1_11target_archE908ELNS1_3gpuE7ELNS1_3repE0EEENS1_36merge_oddeven_config_static_selectorELNS0_4arch9wavefront6targetE1EEEvSL_
		.amdhsa_group_segment_fixed_size 0
		.amdhsa_private_segment_fixed_size 0
		.amdhsa_kernarg_size 48
		.amdhsa_user_sgpr_count 2
		.amdhsa_user_sgpr_dispatch_ptr 0
		.amdhsa_user_sgpr_queue_ptr 0
		.amdhsa_user_sgpr_kernarg_segment_ptr 1
		.amdhsa_user_sgpr_dispatch_id 0
		.amdhsa_user_sgpr_kernarg_preload_length 0
		.amdhsa_user_sgpr_kernarg_preload_offset 0
		.amdhsa_user_sgpr_private_segment_size 0
		.amdhsa_uses_dynamic_stack 0
		.amdhsa_enable_private_segment 0
		.amdhsa_system_sgpr_workgroup_id_x 1
		.amdhsa_system_sgpr_workgroup_id_y 0
		.amdhsa_system_sgpr_workgroup_id_z 0
		.amdhsa_system_sgpr_workgroup_info 0
		.amdhsa_system_vgpr_workitem_id 0
		.amdhsa_next_free_vgpr 1
		.amdhsa_next_free_sgpr 0
		.amdhsa_accum_offset 4
		.amdhsa_reserve_vcc 0
		.amdhsa_float_round_mode_32 0
		.amdhsa_float_round_mode_16_64 0
		.amdhsa_float_denorm_mode_32 3
		.amdhsa_float_denorm_mode_16_64 3
		.amdhsa_dx10_clamp 1
		.amdhsa_ieee_mode 1
		.amdhsa_fp16_overflow 0
		.amdhsa_tg_split 0
		.amdhsa_exception_fp_ieee_invalid_op 0
		.amdhsa_exception_fp_denorm_src 0
		.amdhsa_exception_fp_ieee_div_zero 0
		.amdhsa_exception_fp_ieee_overflow 0
		.amdhsa_exception_fp_ieee_underflow 0
		.amdhsa_exception_fp_ieee_inexact 0
		.amdhsa_exception_int_div_zero 0
	.end_amdhsa_kernel
	.section	.text._ZN7rocprim17ROCPRIM_400000_NS6detail17trampoline_kernelINS0_14default_configENS1_38merge_sort_block_merge_config_selectorIxNS0_10empty_typeEEEZZNS1_27merge_sort_block_merge_implIS3_N6thrust23THRUST_200600_302600_NS6detail15normal_iteratorINS9_10device_ptrIxEEEEPS5_jNS1_19radix_merge_compareILb0ELb1ExNS0_19identity_decomposerEEEEE10hipError_tT0_T1_T2_jT3_P12ihipStream_tbPNSt15iterator_traitsISK_E10value_typeEPNSQ_ISL_E10value_typeEPSM_NS1_7vsmem_tEENKUlT_SK_SL_SM_E_clIPxSE_SF_SF_EESJ_SZ_SK_SL_SM_EUlSZ_E1_NS1_11comp_targetILNS1_3genE3ELNS1_11target_archE908ELNS1_3gpuE7ELNS1_3repE0EEENS1_36merge_oddeven_config_static_selectorELNS0_4arch9wavefront6targetE1EEEvSL_,"axG",@progbits,_ZN7rocprim17ROCPRIM_400000_NS6detail17trampoline_kernelINS0_14default_configENS1_38merge_sort_block_merge_config_selectorIxNS0_10empty_typeEEEZZNS1_27merge_sort_block_merge_implIS3_N6thrust23THRUST_200600_302600_NS6detail15normal_iteratorINS9_10device_ptrIxEEEEPS5_jNS1_19radix_merge_compareILb0ELb1ExNS0_19identity_decomposerEEEEE10hipError_tT0_T1_T2_jT3_P12ihipStream_tbPNSt15iterator_traitsISK_E10value_typeEPNSQ_ISL_E10value_typeEPSM_NS1_7vsmem_tEENKUlT_SK_SL_SM_E_clIPxSE_SF_SF_EESJ_SZ_SK_SL_SM_EUlSZ_E1_NS1_11comp_targetILNS1_3genE3ELNS1_11target_archE908ELNS1_3gpuE7ELNS1_3repE0EEENS1_36merge_oddeven_config_static_selectorELNS0_4arch9wavefront6targetE1EEEvSL_,comdat
.Lfunc_end1487:
	.size	_ZN7rocprim17ROCPRIM_400000_NS6detail17trampoline_kernelINS0_14default_configENS1_38merge_sort_block_merge_config_selectorIxNS0_10empty_typeEEEZZNS1_27merge_sort_block_merge_implIS3_N6thrust23THRUST_200600_302600_NS6detail15normal_iteratorINS9_10device_ptrIxEEEEPS5_jNS1_19radix_merge_compareILb0ELb1ExNS0_19identity_decomposerEEEEE10hipError_tT0_T1_T2_jT3_P12ihipStream_tbPNSt15iterator_traitsISK_E10value_typeEPNSQ_ISL_E10value_typeEPSM_NS1_7vsmem_tEENKUlT_SK_SL_SM_E_clIPxSE_SF_SF_EESJ_SZ_SK_SL_SM_EUlSZ_E1_NS1_11comp_targetILNS1_3genE3ELNS1_11target_archE908ELNS1_3gpuE7ELNS1_3repE0EEENS1_36merge_oddeven_config_static_selectorELNS0_4arch9wavefront6targetE1EEEvSL_, .Lfunc_end1487-_ZN7rocprim17ROCPRIM_400000_NS6detail17trampoline_kernelINS0_14default_configENS1_38merge_sort_block_merge_config_selectorIxNS0_10empty_typeEEEZZNS1_27merge_sort_block_merge_implIS3_N6thrust23THRUST_200600_302600_NS6detail15normal_iteratorINS9_10device_ptrIxEEEEPS5_jNS1_19radix_merge_compareILb0ELb1ExNS0_19identity_decomposerEEEEE10hipError_tT0_T1_T2_jT3_P12ihipStream_tbPNSt15iterator_traitsISK_E10value_typeEPNSQ_ISL_E10value_typeEPSM_NS1_7vsmem_tEENKUlT_SK_SL_SM_E_clIPxSE_SF_SF_EESJ_SZ_SK_SL_SM_EUlSZ_E1_NS1_11comp_targetILNS1_3genE3ELNS1_11target_archE908ELNS1_3gpuE7ELNS1_3repE0EEENS1_36merge_oddeven_config_static_selectorELNS0_4arch9wavefront6targetE1EEEvSL_
                                        ; -- End function
	.section	.AMDGPU.csdata,"",@progbits
; Kernel info:
; codeLenInByte = 0
; NumSgprs: 6
; NumVgprs: 0
; NumAgprs: 0
; TotalNumVgprs: 0
; ScratchSize: 0
; MemoryBound: 0
; FloatMode: 240
; IeeeMode: 1
; LDSByteSize: 0 bytes/workgroup (compile time only)
; SGPRBlocks: 0
; VGPRBlocks: 0
; NumSGPRsForWavesPerEU: 6
; NumVGPRsForWavesPerEU: 1
; AccumOffset: 4
; Occupancy: 8
; WaveLimiterHint : 0
; COMPUTE_PGM_RSRC2:SCRATCH_EN: 0
; COMPUTE_PGM_RSRC2:USER_SGPR: 2
; COMPUTE_PGM_RSRC2:TRAP_HANDLER: 0
; COMPUTE_PGM_RSRC2:TGID_X_EN: 1
; COMPUTE_PGM_RSRC2:TGID_Y_EN: 0
; COMPUTE_PGM_RSRC2:TGID_Z_EN: 0
; COMPUTE_PGM_RSRC2:TIDIG_COMP_CNT: 0
; COMPUTE_PGM_RSRC3_GFX90A:ACCUM_OFFSET: 0
; COMPUTE_PGM_RSRC3_GFX90A:TG_SPLIT: 0
	.section	.text._ZN7rocprim17ROCPRIM_400000_NS6detail17trampoline_kernelINS0_14default_configENS1_38merge_sort_block_merge_config_selectorIxNS0_10empty_typeEEEZZNS1_27merge_sort_block_merge_implIS3_N6thrust23THRUST_200600_302600_NS6detail15normal_iteratorINS9_10device_ptrIxEEEEPS5_jNS1_19radix_merge_compareILb0ELb1ExNS0_19identity_decomposerEEEEE10hipError_tT0_T1_T2_jT3_P12ihipStream_tbPNSt15iterator_traitsISK_E10value_typeEPNSQ_ISL_E10value_typeEPSM_NS1_7vsmem_tEENKUlT_SK_SL_SM_E_clIPxSE_SF_SF_EESJ_SZ_SK_SL_SM_EUlSZ_E1_NS1_11comp_targetILNS1_3genE2ELNS1_11target_archE906ELNS1_3gpuE6ELNS1_3repE0EEENS1_36merge_oddeven_config_static_selectorELNS0_4arch9wavefront6targetE1EEEvSL_,"axG",@progbits,_ZN7rocprim17ROCPRIM_400000_NS6detail17trampoline_kernelINS0_14default_configENS1_38merge_sort_block_merge_config_selectorIxNS0_10empty_typeEEEZZNS1_27merge_sort_block_merge_implIS3_N6thrust23THRUST_200600_302600_NS6detail15normal_iteratorINS9_10device_ptrIxEEEEPS5_jNS1_19radix_merge_compareILb0ELb1ExNS0_19identity_decomposerEEEEE10hipError_tT0_T1_T2_jT3_P12ihipStream_tbPNSt15iterator_traitsISK_E10value_typeEPNSQ_ISL_E10value_typeEPSM_NS1_7vsmem_tEENKUlT_SK_SL_SM_E_clIPxSE_SF_SF_EESJ_SZ_SK_SL_SM_EUlSZ_E1_NS1_11comp_targetILNS1_3genE2ELNS1_11target_archE906ELNS1_3gpuE6ELNS1_3repE0EEENS1_36merge_oddeven_config_static_selectorELNS0_4arch9wavefront6targetE1EEEvSL_,comdat
	.protected	_ZN7rocprim17ROCPRIM_400000_NS6detail17trampoline_kernelINS0_14default_configENS1_38merge_sort_block_merge_config_selectorIxNS0_10empty_typeEEEZZNS1_27merge_sort_block_merge_implIS3_N6thrust23THRUST_200600_302600_NS6detail15normal_iteratorINS9_10device_ptrIxEEEEPS5_jNS1_19radix_merge_compareILb0ELb1ExNS0_19identity_decomposerEEEEE10hipError_tT0_T1_T2_jT3_P12ihipStream_tbPNSt15iterator_traitsISK_E10value_typeEPNSQ_ISL_E10value_typeEPSM_NS1_7vsmem_tEENKUlT_SK_SL_SM_E_clIPxSE_SF_SF_EESJ_SZ_SK_SL_SM_EUlSZ_E1_NS1_11comp_targetILNS1_3genE2ELNS1_11target_archE906ELNS1_3gpuE6ELNS1_3repE0EEENS1_36merge_oddeven_config_static_selectorELNS0_4arch9wavefront6targetE1EEEvSL_ ; -- Begin function _ZN7rocprim17ROCPRIM_400000_NS6detail17trampoline_kernelINS0_14default_configENS1_38merge_sort_block_merge_config_selectorIxNS0_10empty_typeEEEZZNS1_27merge_sort_block_merge_implIS3_N6thrust23THRUST_200600_302600_NS6detail15normal_iteratorINS9_10device_ptrIxEEEEPS5_jNS1_19radix_merge_compareILb0ELb1ExNS0_19identity_decomposerEEEEE10hipError_tT0_T1_T2_jT3_P12ihipStream_tbPNSt15iterator_traitsISK_E10value_typeEPNSQ_ISL_E10value_typeEPSM_NS1_7vsmem_tEENKUlT_SK_SL_SM_E_clIPxSE_SF_SF_EESJ_SZ_SK_SL_SM_EUlSZ_E1_NS1_11comp_targetILNS1_3genE2ELNS1_11target_archE906ELNS1_3gpuE6ELNS1_3repE0EEENS1_36merge_oddeven_config_static_selectorELNS0_4arch9wavefront6targetE1EEEvSL_
	.globl	_ZN7rocprim17ROCPRIM_400000_NS6detail17trampoline_kernelINS0_14default_configENS1_38merge_sort_block_merge_config_selectorIxNS0_10empty_typeEEEZZNS1_27merge_sort_block_merge_implIS3_N6thrust23THRUST_200600_302600_NS6detail15normal_iteratorINS9_10device_ptrIxEEEEPS5_jNS1_19radix_merge_compareILb0ELb1ExNS0_19identity_decomposerEEEEE10hipError_tT0_T1_T2_jT3_P12ihipStream_tbPNSt15iterator_traitsISK_E10value_typeEPNSQ_ISL_E10value_typeEPSM_NS1_7vsmem_tEENKUlT_SK_SL_SM_E_clIPxSE_SF_SF_EESJ_SZ_SK_SL_SM_EUlSZ_E1_NS1_11comp_targetILNS1_3genE2ELNS1_11target_archE906ELNS1_3gpuE6ELNS1_3repE0EEENS1_36merge_oddeven_config_static_selectorELNS0_4arch9wavefront6targetE1EEEvSL_
	.p2align	8
	.type	_ZN7rocprim17ROCPRIM_400000_NS6detail17trampoline_kernelINS0_14default_configENS1_38merge_sort_block_merge_config_selectorIxNS0_10empty_typeEEEZZNS1_27merge_sort_block_merge_implIS3_N6thrust23THRUST_200600_302600_NS6detail15normal_iteratorINS9_10device_ptrIxEEEEPS5_jNS1_19radix_merge_compareILb0ELb1ExNS0_19identity_decomposerEEEEE10hipError_tT0_T1_T2_jT3_P12ihipStream_tbPNSt15iterator_traitsISK_E10value_typeEPNSQ_ISL_E10value_typeEPSM_NS1_7vsmem_tEENKUlT_SK_SL_SM_E_clIPxSE_SF_SF_EESJ_SZ_SK_SL_SM_EUlSZ_E1_NS1_11comp_targetILNS1_3genE2ELNS1_11target_archE906ELNS1_3gpuE6ELNS1_3repE0EEENS1_36merge_oddeven_config_static_selectorELNS0_4arch9wavefront6targetE1EEEvSL_,@function
_ZN7rocprim17ROCPRIM_400000_NS6detail17trampoline_kernelINS0_14default_configENS1_38merge_sort_block_merge_config_selectorIxNS0_10empty_typeEEEZZNS1_27merge_sort_block_merge_implIS3_N6thrust23THRUST_200600_302600_NS6detail15normal_iteratorINS9_10device_ptrIxEEEEPS5_jNS1_19radix_merge_compareILb0ELb1ExNS0_19identity_decomposerEEEEE10hipError_tT0_T1_T2_jT3_P12ihipStream_tbPNSt15iterator_traitsISK_E10value_typeEPNSQ_ISL_E10value_typeEPSM_NS1_7vsmem_tEENKUlT_SK_SL_SM_E_clIPxSE_SF_SF_EESJ_SZ_SK_SL_SM_EUlSZ_E1_NS1_11comp_targetILNS1_3genE2ELNS1_11target_archE906ELNS1_3gpuE6ELNS1_3repE0EEENS1_36merge_oddeven_config_static_selectorELNS0_4arch9wavefront6targetE1EEEvSL_: ; @_ZN7rocprim17ROCPRIM_400000_NS6detail17trampoline_kernelINS0_14default_configENS1_38merge_sort_block_merge_config_selectorIxNS0_10empty_typeEEEZZNS1_27merge_sort_block_merge_implIS3_N6thrust23THRUST_200600_302600_NS6detail15normal_iteratorINS9_10device_ptrIxEEEEPS5_jNS1_19radix_merge_compareILb0ELb1ExNS0_19identity_decomposerEEEEE10hipError_tT0_T1_T2_jT3_P12ihipStream_tbPNSt15iterator_traitsISK_E10value_typeEPNSQ_ISL_E10value_typeEPSM_NS1_7vsmem_tEENKUlT_SK_SL_SM_E_clIPxSE_SF_SF_EESJ_SZ_SK_SL_SM_EUlSZ_E1_NS1_11comp_targetILNS1_3genE2ELNS1_11target_archE906ELNS1_3gpuE6ELNS1_3repE0EEENS1_36merge_oddeven_config_static_selectorELNS0_4arch9wavefront6targetE1EEEvSL_
; %bb.0:
	.section	.rodata,"a",@progbits
	.p2align	6, 0x0
	.amdhsa_kernel _ZN7rocprim17ROCPRIM_400000_NS6detail17trampoline_kernelINS0_14default_configENS1_38merge_sort_block_merge_config_selectorIxNS0_10empty_typeEEEZZNS1_27merge_sort_block_merge_implIS3_N6thrust23THRUST_200600_302600_NS6detail15normal_iteratorINS9_10device_ptrIxEEEEPS5_jNS1_19radix_merge_compareILb0ELb1ExNS0_19identity_decomposerEEEEE10hipError_tT0_T1_T2_jT3_P12ihipStream_tbPNSt15iterator_traitsISK_E10value_typeEPNSQ_ISL_E10value_typeEPSM_NS1_7vsmem_tEENKUlT_SK_SL_SM_E_clIPxSE_SF_SF_EESJ_SZ_SK_SL_SM_EUlSZ_E1_NS1_11comp_targetILNS1_3genE2ELNS1_11target_archE906ELNS1_3gpuE6ELNS1_3repE0EEENS1_36merge_oddeven_config_static_selectorELNS0_4arch9wavefront6targetE1EEEvSL_
		.amdhsa_group_segment_fixed_size 0
		.amdhsa_private_segment_fixed_size 0
		.amdhsa_kernarg_size 48
		.amdhsa_user_sgpr_count 2
		.amdhsa_user_sgpr_dispatch_ptr 0
		.amdhsa_user_sgpr_queue_ptr 0
		.amdhsa_user_sgpr_kernarg_segment_ptr 1
		.amdhsa_user_sgpr_dispatch_id 0
		.amdhsa_user_sgpr_kernarg_preload_length 0
		.amdhsa_user_sgpr_kernarg_preload_offset 0
		.amdhsa_user_sgpr_private_segment_size 0
		.amdhsa_uses_dynamic_stack 0
		.amdhsa_enable_private_segment 0
		.amdhsa_system_sgpr_workgroup_id_x 1
		.amdhsa_system_sgpr_workgroup_id_y 0
		.amdhsa_system_sgpr_workgroup_id_z 0
		.amdhsa_system_sgpr_workgroup_info 0
		.amdhsa_system_vgpr_workitem_id 0
		.amdhsa_next_free_vgpr 1
		.amdhsa_next_free_sgpr 0
		.amdhsa_accum_offset 4
		.amdhsa_reserve_vcc 0
		.amdhsa_float_round_mode_32 0
		.amdhsa_float_round_mode_16_64 0
		.amdhsa_float_denorm_mode_32 3
		.amdhsa_float_denorm_mode_16_64 3
		.amdhsa_dx10_clamp 1
		.amdhsa_ieee_mode 1
		.amdhsa_fp16_overflow 0
		.amdhsa_tg_split 0
		.amdhsa_exception_fp_ieee_invalid_op 0
		.amdhsa_exception_fp_denorm_src 0
		.amdhsa_exception_fp_ieee_div_zero 0
		.amdhsa_exception_fp_ieee_overflow 0
		.amdhsa_exception_fp_ieee_underflow 0
		.amdhsa_exception_fp_ieee_inexact 0
		.amdhsa_exception_int_div_zero 0
	.end_amdhsa_kernel
	.section	.text._ZN7rocprim17ROCPRIM_400000_NS6detail17trampoline_kernelINS0_14default_configENS1_38merge_sort_block_merge_config_selectorIxNS0_10empty_typeEEEZZNS1_27merge_sort_block_merge_implIS3_N6thrust23THRUST_200600_302600_NS6detail15normal_iteratorINS9_10device_ptrIxEEEEPS5_jNS1_19radix_merge_compareILb0ELb1ExNS0_19identity_decomposerEEEEE10hipError_tT0_T1_T2_jT3_P12ihipStream_tbPNSt15iterator_traitsISK_E10value_typeEPNSQ_ISL_E10value_typeEPSM_NS1_7vsmem_tEENKUlT_SK_SL_SM_E_clIPxSE_SF_SF_EESJ_SZ_SK_SL_SM_EUlSZ_E1_NS1_11comp_targetILNS1_3genE2ELNS1_11target_archE906ELNS1_3gpuE6ELNS1_3repE0EEENS1_36merge_oddeven_config_static_selectorELNS0_4arch9wavefront6targetE1EEEvSL_,"axG",@progbits,_ZN7rocprim17ROCPRIM_400000_NS6detail17trampoline_kernelINS0_14default_configENS1_38merge_sort_block_merge_config_selectorIxNS0_10empty_typeEEEZZNS1_27merge_sort_block_merge_implIS3_N6thrust23THRUST_200600_302600_NS6detail15normal_iteratorINS9_10device_ptrIxEEEEPS5_jNS1_19radix_merge_compareILb0ELb1ExNS0_19identity_decomposerEEEEE10hipError_tT0_T1_T2_jT3_P12ihipStream_tbPNSt15iterator_traitsISK_E10value_typeEPNSQ_ISL_E10value_typeEPSM_NS1_7vsmem_tEENKUlT_SK_SL_SM_E_clIPxSE_SF_SF_EESJ_SZ_SK_SL_SM_EUlSZ_E1_NS1_11comp_targetILNS1_3genE2ELNS1_11target_archE906ELNS1_3gpuE6ELNS1_3repE0EEENS1_36merge_oddeven_config_static_selectorELNS0_4arch9wavefront6targetE1EEEvSL_,comdat
.Lfunc_end1488:
	.size	_ZN7rocprim17ROCPRIM_400000_NS6detail17trampoline_kernelINS0_14default_configENS1_38merge_sort_block_merge_config_selectorIxNS0_10empty_typeEEEZZNS1_27merge_sort_block_merge_implIS3_N6thrust23THRUST_200600_302600_NS6detail15normal_iteratorINS9_10device_ptrIxEEEEPS5_jNS1_19radix_merge_compareILb0ELb1ExNS0_19identity_decomposerEEEEE10hipError_tT0_T1_T2_jT3_P12ihipStream_tbPNSt15iterator_traitsISK_E10value_typeEPNSQ_ISL_E10value_typeEPSM_NS1_7vsmem_tEENKUlT_SK_SL_SM_E_clIPxSE_SF_SF_EESJ_SZ_SK_SL_SM_EUlSZ_E1_NS1_11comp_targetILNS1_3genE2ELNS1_11target_archE906ELNS1_3gpuE6ELNS1_3repE0EEENS1_36merge_oddeven_config_static_selectorELNS0_4arch9wavefront6targetE1EEEvSL_, .Lfunc_end1488-_ZN7rocprim17ROCPRIM_400000_NS6detail17trampoline_kernelINS0_14default_configENS1_38merge_sort_block_merge_config_selectorIxNS0_10empty_typeEEEZZNS1_27merge_sort_block_merge_implIS3_N6thrust23THRUST_200600_302600_NS6detail15normal_iteratorINS9_10device_ptrIxEEEEPS5_jNS1_19radix_merge_compareILb0ELb1ExNS0_19identity_decomposerEEEEE10hipError_tT0_T1_T2_jT3_P12ihipStream_tbPNSt15iterator_traitsISK_E10value_typeEPNSQ_ISL_E10value_typeEPSM_NS1_7vsmem_tEENKUlT_SK_SL_SM_E_clIPxSE_SF_SF_EESJ_SZ_SK_SL_SM_EUlSZ_E1_NS1_11comp_targetILNS1_3genE2ELNS1_11target_archE906ELNS1_3gpuE6ELNS1_3repE0EEENS1_36merge_oddeven_config_static_selectorELNS0_4arch9wavefront6targetE1EEEvSL_
                                        ; -- End function
	.section	.AMDGPU.csdata,"",@progbits
; Kernel info:
; codeLenInByte = 0
; NumSgprs: 6
; NumVgprs: 0
; NumAgprs: 0
; TotalNumVgprs: 0
; ScratchSize: 0
; MemoryBound: 0
; FloatMode: 240
; IeeeMode: 1
; LDSByteSize: 0 bytes/workgroup (compile time only)
; SGPRBlocks: 0
; VGPRBlocks: 0
; NumSGPRsForWavesPerEU: 6
; NumVGPRsForWavesPerEU: 1
; AccumOffset: 4
; Occupancy: 8
; WaveLimiterHint : 0
; COMPUTE_PGM_RSRC2:SCRATCH_EN: 0
; COMPUTE_PGM_RSRC2:USER_SGPR: 2
; COMPUTE_PGM_RSRC2:TRAP_HANDLER: 0
; COMPUTE_PGM_RSRC2:TGID_X_EN: 1
; COMPUTE_PGM_RSRC2:TGID_Y_EN: 0
; COMPUTE_PGM_RSRC2:TGID_Z_EN: 0
; COMPUTE_PGM_RSRC2:TIDIG_COMP_CNT: 0
; COMPUTE_PGM_RSRC3_GFX90A:ACCUM_OFFSET: 0
; COMPUTE_PGM_RSRC3_GFX90A:TG_SPLIT: 0
	.section	.text._ZN7rocprim17ROCPRIM_400000_NS6detail17trampoline_kernelINS0_14default_configENS1_38merge_sort_block_merge_config_selectorIxNS0_10empty_typeEEEZZNS1_27merge_sort_block_merge_implIS3_N6thrust23THRUST_200600_302600_NS6detail15normal_iteratorINS9_10device_ptrIxEEEEPS5_jNS1_19radix_merge_compareILb0ELb1ExNS0_19identity_decomposerEEEEE10hipError_tT0_T1_T2_jT3_P12ihipStream_tbPNSt15iterator_traitsISK_E10value_typeEPNSQ_ISL_E10value_typeEPSM_NS1_7vsmem_tEENKUlT_SK_SL_SM_E_clIPxSE_SF_SF_EESJ_SZ_SK_SL_SM_EUlSZ_E1_NS1_11comp_targetILNS1_3genE9ELNS1_11target_archE1100ELNS1_3gpuE3ELNS1_3repE0EEENS1_36merge_oddeven_config_static_selectorELNS0_4arch9wavefront6targetE1EEEvSL_,"axG",@progbits,_ZN7rocprim17ROCPRIM_400000_NS6detail17trampoline_kernelINS0_14default_configENS1_38merge_sort_block_merge_config_selectorIxNS0_10empty_typeEEEZZNS1_27merge_sort_block_merge_implIS3_N6thrust23THRUST_200600_302600_NS6detail15normal_iteratorINS9_10device_ptrIxEEEEPS5_jNS1_19radix_merge_compareILb0ELb1ExNS0_19identity_decomposerEEEEE10hipError_tT0_T1_T2_jT3_P12ihipStream_tbPNSt15iterator_traitsISK_E10value_typeEPNSQ_ISL_E10value_typeEPSM_NS1_7vsmem_tEENKUlT_SK_SL_SM_E_clIPxSE_SF_SF_EESJ_SZ_SK_SL_SM_EUlSZ_E1_NS1_11comp_targetILNS1_3genE9ELNS1_11target_archE1100ELNS1_3gpuE3ELNS1_3repE0EEENS1_36merge_oddeven_config_static_selectorELNS0_4arch9wavefront6targetE1EEEvSL_,comdat
	.protected	_ZN7rocprim17ROCPRIM_400000_NS6detail17trampoline_kernelINS0_14default_configENS1_38merge_sort_block_merge_config_selectorIxNS0_10empty_typeEEEZZNS1_27merge_sort_block_merge_implIS3_N6thrust23THRUST_200600_302600_NS6detail15normal_iteratorINS9_10device_ptrIxEEEEPS5_jNS1_19radix_merge_compareILb0ELb1ExNS0_19identity_decomposerEEEEE10hipError_tT0_T1_T2_jT3_P12ihipStream_tbPNSt15iterator_traitsISK_E10value_typeEPNSQ_ISL_E10value_typeEPSM_NS1_7vsmem_tEENKUlT_SK_SL_SM_E_clIPxSE_SF_SF_EESJ_SZ_SK_SL_SM_EUlSZ_E1_NS1_11comp_targetILNS1_3genE9ELNS1_11target_archE1100ELNS1_3gpuE3ELNS1_3repE0EEENS1_36merge_oddeven_config_static_selectorELNS0_4arch9wavefront6targetE1EEEvSL_ ; -- Begin function _ZN7rocprim17ROCPRIM_400000_NS6detail17trampoline_kernelINS0_14default_configENS1_38merge_sort_block_merge_config_selectorIxNS0_10empty_typeEEEZZNS1_27merge_sort_block_merge_implIS3_N6thrust23THRUST_200600_302600_NS6detail15normal_iteratorINS9_10device_ptrIxEEEEPS5_jNS1_19radix_merge_compareILb0ELb1ExNS0_19identity_decomposerEEEEE10hipError_tT0_T1_T2_jT3_P12ihipStream_tbPNSt15iterator_traitsISK_E10value_typeEPNSQ_ISL_E10value_typeEPSM_NS1_7vsmem_tEENKUlT_SK_SL_SM_E_clIPxSE_SF_SF_EESJ_SZ_SK_SL_SM_EUlSZ_E1_NS1_11comp_targetILNS1_3genE9ELNS1_11target_archE1100ELNS1_3gpuE3ELNS1_3repE0EEENS1_36merge_oddeven_config_static_selectorELNS0_4arch9wavefront6targetE1EEEvSL_
	.globl	_ZN7rocprim17ROCPRIM_400000_NS6detail17trampoline_kernelINS0_14default_configENS1_38merge_sort_block_merge_config_selectorIxNS0_10empty_typeEEEZZNS1_27merge_sort_block_merge_implIS3_N6thrust23THRUST_200600_302600_NS6detail15normal_iteratorINS9_10device_ptrIxEEEEPS5_jNS1_19radix_merge_compareILb0ELb1ExNS0_19identity_decomposerEEEEE10hipError_tT0_T1_T2_jT3_P12ihipStream_tbPNSt15iterator_traitsISK_E10value_typeEPNSQ_ISL_E10value_typeEPSM_NS1_7vsmem_tEENKUlT_SK_SL_SM_E_clIPxSE_SF_SF_EESJ_SZ_SK_SL_SM_EUlSZ_E1_NS1_11comp_targetILNS1_3genE9ELNS1_11target_archE1100ELNS1_3gpuE3ELNS1_3repE0EEENS1_36merge_oddeven_config_static_selectorELNS0_4arch9wavefront6targetE1EEEvSL_
	.p2align	8
	.type	_ZN7rocprim17ROCPRIM_400000_NS6detail17trampoline_kernelINS0_14default_configENS1_38merge_sort_block_merge_config_selectorIxNS0_10empty_typeEEEZZNS1_27merge_sort_block_merge_implIS3_N6thrust23THRUST_200600_302600_NS6detail15normal_iteratorINS9_10device_ptrIxEEEEPS5_jNS1_19radix_merge_compareILb0ELb1ExNS0_19identity_decomposerEEEEE10hipError_tT0_T1_T2_jT3_P12ihipStream_tbPNSt15iterator_traitsISK_E10value_typeEPNSQ_ISL_E10value_typeEPSM_NS1_7vsmem_tEENKUlT_SK_SL_SM_E_clIPxSE_SF_SF_EESJ_SZ_SK_SL_SM_EUlSZ_E1_NS1_11comp_targetILNS1_3genE9ELNS1_11target_archE1100ELNS1_3gpuE3ELNS1_3repE0EEENS1_36merge_oddeven_config_static_selectorELNS0_4arch9wavefront6targetE1EEEvSL_,@function
_ZN7rocprim17ROCPRIM_400000_NS6detail17trampoline_kernelINS0_14default_configENS1_38merge_sort_block_merge_config_selectorIxNS0_10empty_typeEEEZZNS1_27merge_sort_block_merge_implIS3_N6thrust23THRUST_200600_302600_NS6detail15normal_iteratorINS9_10device_ptrIxEEEEPS5_jNS1_19radix_merge_compareILb0ELb1ExNS0_19identity_decomposerEEEEE10hipError_tT0_T1_T2_jT3_P12ihipStream_tbPNSt15iterator_traitsISK_E10value_typeEPNSQ_ISL_E10value_typeEPSM_NS1_7vsmem_tEENKUlT_SK_SL_SM_E_clIPxSE_SF_SF_EESJ_SZ_SK_SL_SM_EUlSZ_E1_NS1_11comp_targetILNS1_3genE9ELNS1_11target_archE1100ELNS1_3gpuE3ELNS1_3repE0EEENS1_36merge_oddeven_config_static_selectorELNS0_4arch9wavefront6targetE1EEEvSL_: ; @_ZN7rocprim17ROCPRIM_400000_NS6detail17trampoline_kernelINS0_14default_configENS1_38merge_sort_block_merge_config_selectorIxNS0_10empty_typeEEEZZNS1_27merge_sort_block_merge_implIS3_N6thrust23THRUST_200600_302600_NS6detail15normal_iteratorINS9_10device_ptrIxEEEEPS5_jNS1_19radix_merge_compareILb0ELb1ExNS0_19identity_decomposerEEEEE10hipError_tT0_T1_T2_jT3_P12ihipStream_tbPNSt15iterator_traitsISK_E10value_typeEPNSQ_ISL_E10value_typeEPSM_NS1_7vsmem_tEENKUlT_SK_SL_SM_E_clIPxSE_SF_SF_EESJ_SZ_SK_SL_SM_EUlSZ_E1_NS1_11comp_targetILNS1_3genE9ELNS1_11target_archE1100ELNS1_3gpuE3ELNS1_3repE0EEENS1_36merge_oddeven_config_static_selectorELNS0_4arch9wavefront6targetE1EEEvSL_
; %bb.0:
	.section	.rodata,"a",@progbits
	.p2align	6, 0x0
	.amdhsa_kernel _ZN7rocprim17ROCPRIM_400000_NS6detail17trampoline_kernelINS0_14default_configENS1_38merge_sort_block_merge_config_selectorIxNS0_10empty_typeEEEZZNS1_27merge_sort_block_merge_implIS3_N6thrust23THRUST_200600_302600_NS6detail15normal_iteratorINS9_10device_ptrIxEEEEPS5_jNS1_19radix_merge_compareILb0ELb1ExNS0_19identity_decomposerEEEEE10hipError_tT0_T1_T2_jT3_P12ihipStream_tbPNSt15iterator_traitsISK_E10value_typeEPNSQ_ISL_E10value_typeEPSM_NS1_7vsmem_tEENKUlT_SK_SL_SM_E_clIPxSE_SF_SF_EESJ_SZ_SK_SL_SM_EUlSZ_E1_NS1_11comp_targetILNS1_3genE9ELNS1_11target_archE1100ELNS1_3gpuE3ELNS1_3repE0EEENS1_36merge_oddeven_config_static_selectorELNS0_4arch9wavefront6targetE1EEEvSL_
		.amdhsa_group_segment_fixed_size 0
		.amdhsa_private_segment_fixed_size 0
		.amdhsa_kernarg_size 48
		.amdhsa_user_sgpr_count 2
		.amdhsa_user_sgpr_dispatch_ptr 0
		.amdhsa_user_sgpr_queue_ptr 0
		.amdhsa_user_sgpr_kernarg_segment_ptr 1
		.amdhsa_user_sgpr_dispatch_id 0
		.amdhsa_user_sgpr_kernarg_preload_length 0
		.amdhsa_user_sgpr_kernarg_preload_offset 0
		.amdhsa_user_sgpr_private_segment_size 0
		.amdhsa_uses_dynamic_stack 0
		.amdhsa_enable_private_segment 0
		.amdhsa_system_sgpr_workgroup_id_x 1
		.amdhsa_system_sgpr_workgroup_id_y 0
		.amdhsa_system_sgpr_workgroup_id_z 0
		.amdhsa_system_sgpr_workgroup_info 0
		.amdhsa_system_vgpr_workitem_id 0
		.amdhsa_next_free_vgpr 1
		.amdhsa_next_free_sgpr 0
		.amdhsa_accum_offset 4
		.amdhsa_reserve_vcc 0
		.amdhsa_float_round_mode_32 0
		.amdhsa_float_round_mode_16_64 0
		.amdhsa_float_denorm_mode_32 3
		.amdhsa_float_denorm_mode_16_64 3
		.amdhsa_dx10_clamp 1
		.amdhsa_ieee_mode 1
		.amdhsa_fp16_overflow 0
		.amdhsa_tg_split 0
		.amdhsa_exception_fp_ieee_invalid_op 0
		.amdhsa_exception_fp_denorm_src 0
		.amdhsa_exception_fp_ieee_div_zero 0
		.amdhsa_exception_fp_ieee_overflow 0
		.amdhsa_exception_fp_ieee_underflow 0
		.amdhsa_exception_fp_ieee_inexact 0
		.amdhsa_exception_int_div_zero 0
	.end_amdhsa_kernel
	.section	.text._ZN7rocprim17ROCPRIM_400000_NS6detail17trampoline_kernelINS0_14default_configENS1_38merge_sort_block_merge_config_selectorIxNS0_10empty_typeEEEZZNS1_27merge_sort_block_merge_implIS3_N6thrust23THRUST_200600_302600_NS6detail15normal_iteratorINS9_10device_ptrIxEEEEPS5_jNS1_19radix_merge_compareILb0ELb1ExNS0_19identity_decomposerEEEEE10hipError_tT0_T1_T2_jT3_P12ihipStream_tbPNSt15iterator_traitsISK_E10value_typeEPNSQ_ISL_E10value_typeEPSM_NS1_7vsmem_tEENKUlT_SK_SL_SM_E_clIPxSE_SF_SF_EESJ_SZ_SK_SL_SM_EUlSZ_E1_NS1_11comp_targetILNS1_3genE9ELNS1_11target_archE1100ELNS1_3gpuE3ELNS1_3repE0EEENS1_36merge_oddeven_config_static_selectorELNS0_4arch9wavefront6targetE1EEEvSL_,"axG",@progbits,_ZN7rocprim17ROCPRIM_400000_NS6detail17trampoline_kernelINS0_14default_configENS1_38merge_sort_block_merge_config_selectorIxNS0_10empty_typeEEEZZNS1_27merge_sort_block_merge_implIS3_N6thrust23THRUST_200600_302600_NS6detail15normal_iteratorINS9_10device_ptrIxEEEEPS5_jNS1_19radix_merge_compareILb0ELb1ExNS0_19identity_decomposerEEEEE10hipError_tT0_T1_T2_jT3_P12ihipStream_tbPNSt15iterator_traitsISK_E10value_typeEPNSQ_ISL_E10value_typeEPSM_NS1_7vsmem_tEENKUlT_SK_SL_SM_E_clIPxSE_SF_SF_EESJ_SZ_SK_SL_SM_EUlSZ_E1_NS1_11comp_targetILNS1_3genE9ELNS1_11target_archE1100ELNS1_3gpuE3ELNS1_3repE0EEENS1_36merge_oddeven_config_static_selectorELNS0_4arch9wavefront6targetE1EEEvSL_,comdat
.Lfunc_end1489:
	.size	_ZN7rocprim17ROCPRIM_400000_NS6detail17trampoline_kernelINS0_14default_configENS1_38merge_sort_block_merge_config_selectorIxNS0_10empty_typeEEEZZNS1_27merge_sort_block_merge_implIS3_N6thrust23THRUST_200600_302600_NS6detail15normal_iteratorINS9_10device_ptrIxEEEEPS5_jNS1_19radix_merge_compareILb0ELb1ExNS0_19identity_decomposerEEEEE10hipError_tT0_T1_T2_jT3_P12ihipStream_tbPNSt15iterator_traitsISK_E10value_typeEPNSQ_ISL_E10value_typeEPSM_NS1_7vsmem_tEENKUlT_SK_SL_SM_E_clIPxSE_SF_SF_EESJ_SZ_SK_SL_SM_EUlSZ_E1_NS1_11comp_targetILNS1_3genE9ELNS1_11target_archE1100ELNS1_3gpuE3ELNS1_3repE0EEENS1_36merge_oddeven_config_static_selectorELNS0_4arch9wavefront6targetE1EEEvSL_, .Lfunc_end1489-_ZN7rocprim17ROCPRIM_400000_NS6detail17trampoline_kernelINS0_14default_configENS1_38merge_sort_block_merge_config_selectorIxNS0_10empty_typeEEEZZNS1_27merge_sort_block_merge_implIS3_N6thrust23THRUST_200600_302600_NS6detail15normal_iteratorINS9_10device_ptrIxEEEEPS5_jNS1_19radix_merge_compareILb0ELb1ExNS0_19identity_decomposerEEEEE10hipError_tT0_T1_T2_jT3_P12ihipStream_tbPNSt15iterator_traitsISK_E10value_typeEPNSQ_ISL_E10value_typeEPSM_NS1_7vsmem_tEENKUlT_SK_SL_SM_E_clIPxSE_SF_SF_EESJ_SZ_SK_SL_SM_EUlSZ_E1_NS1_11comp_targetILNS1_3genE9ELNS1_11target_archE1100ELNS1_3gpuE3ELNS1_3repE0EEENS1_36merge_oddeven_config_static_selectorELNS0_4arch9wavefront6targetE1EEEvSL_
                                        ; -- End function
	.section	.AMDGPU.csdata,"",@progbits
; Kernel info:
; codeLenInByte = 0
; NumSgprs: 6
; NumVgprs: 0
; NumAgprs: 0
; TotalNumVgprs: 0
; ScratchSize: 0
; MemoryBound: 0
; FloatMode: 240
; IeeeMode: 1
; LDSByteSize: 0 bytes/workgroup (compile time only)
; SGPRBlocks: 0
; VGPRBlocks: 0
; NumSGPRsForWavesPerEU: 6
; NumVGPRsForWavesPerEU: 1
; AccumOffset: 4
; Occupancy: 8
; WaveLimiterHint : 0
; COMPUTE_PGM_RSRC2:SCRATCH_EN: 0
; COMPUTE_PGM_RSRC2:USER_SGPR: 2
; COMPUTE_PGM_RSRC2:TRAP_HANDLER: 0
; COMPUTE_PGM_RSRC2:TGID_X_EN: 1
; COMPUTE_PGM_RSRC2:TGID_Y_EN: 0
; COMPUTE_PGM_RSRC2:TGID_Z_EN: 0
; COMPUTE_PGM_RSRC2:TIDIG_COMP_CNT: 0
; COMPUTE_PGM_RSRC3_GFX90A:ACCUM_OFFSET: 0
; COMPUTE_PGM_RSRC3_GFX90A:TG_SPLIT: 0
	.section	.text._ZN7rocprim17ROCPRIM_400000_NS6detail17trampoline_kernelINS0_14default_configENS1_38merge_sort_block_merge_config_selectorIxNS0_10empty_typeEEEZZNS1_27merge_sort_block_merge_implIS3_N6thrust23THRUST_200600_302600_NS6detail15normal_iteratorINS9_10device_ptrIxEEEEPS5_jNS1_19radix_merge_compareILb0ELb1ExNS0_19identity_decomposerEEEEE10hipError_tT0_T1_T2_jT3_P12ihipStream_tbPNSt15iterator_traitsISK_E10value_typeEPNSQ_ISL_E10value_typeEPSM_NS1_7vsmem_tEENKUlT_SK_SL_SM_E_clIPxSE_SF_SF_EESJ_SZ_SK_SL_SM_EUlSZ_E1_NS1_11comp_targetILNS1_3genE8ELNS1_11target_archE1030ELNS1_3gpuE2ELNS1_3repE0EEENS1_36merge_oddeven_config_static_selectorELNS0_4arch9wavefront6targetE1EEEvSL_,"axG",@progbits,_ZN7rocprim17ROCPRIM_400000_NS6detail17trampoline_kernelINS0_14default_configENS1_38merge_sort_block_merge_config_selectorIxNS0_10empty_typeEEEZZNS1_27merge_sort_block_merge_implIS3_N6thrust23THRUST_200600_302600_NS6detail15normal_iteratorINS9_10device_ptrIxEEEEPS5_jNS1_19radix_merge_compareILb0ELb1ExNS0_19identity_decomposerEEEEE10hipError_tT0_T1_T2_jT3_P12ihipStream_tbPNSt15iterator_traitsISK_E10value_typeEPNSQ_ISL_E10value_typeEPSM_NS1_7vsmem_tEENKUlT_SK_SL_SM_E_clIPxSE_SF_SF_EESJ_SZ_SK_SL_SM_EUlSZ_E1_NS1_11comp_targetILNS1_3genE8ELNS1_11target_archE1030ELNS1_3gpuE2ELNS1_3repE0EEENS1_36merge_oddeven_config_static_selectorELNS0_4arch9wavefront6targetE1EEEvSL_,comdat
	.protected	_ZN7rocprim17ROCPRIM_400000_NS6detail17trampoline_kernelINS0_14default_configENS1_38merge_sort_block_merge_config_selectorIxNS0_10empty_typeEEEZZNS1_27merge_sort_block_merge_implIS3_N6thrust23THRUST_200600_302600_NS6detail15normal_iteratorINS9_10device_ptrIxEEEEPS5_jNS1_19radix_merge_compareILb0ELb1ExNS0_19identity_decomposerEEEEE10hipError_tT0_T1_T2_jT3_P12ihipStream_tbPNSt15iterator_traitsISK_E10value_typeEPNSQ_ISL_E10value_typeEPSM_NS1_7vsmem_tEENKUlT_SK_SL_SM_E_clIPxSE_SF_SF_EESJ_SZ_SK_SL_SM_EUlSZ_E1_NS1_11comp_targetILNS1_3genE8ELNS1_11target_archE1030ELNS1_3gpuE2ELNS1_3repE0EEENS1_36merge_oddeven_config_static_selectorELNS0_4arch9wavefront6targetE1EEEvSL_ ; -- Begin function _ZN7rocprim17ROCPRIM_400000_NS6detail17trampoline_kernelINS0_14default_configENS1_38merge_sort_block_merge_config_selectorIxNS0_10empty_typeEEEZZNS1_27merge_sort_block_merge_implIS3_N6thrust23THRUST_200600_302600_NS6detail15normal_iteratorINS9_10device_ptrIxEEEEPS5_jNS1_19radix_merge_compareILb0ELb1ExNS0_19identity_decomposerEEEEE10hipError_tT0_T1_T2_jT3_P12ihipStream_tbPNSt15iterator_traitsISK_E10value_typeEPNSQ_ISL_E10value_typeEPSM_NS1_7vsmem_tEENKUlT_SK_SL_SM_E_clIPxSE_SF_SF_EESJ_SZ_SK_SL_SM_EUlSZ_E1_NS1_11comp_targetILNS1_3genE8ELNS1_11target_archE1030ELNS1_3gpuE2ELNS1_3repE0EEENS1_36merge_oddeven_config_static_selectorELNS0_4arch9wavefront6targetE1EEEvSL_
	.globl	_ZN7rocprim17ROCPRIM_400000_NS6detail17trampoline_kernelINS0_14default_configENS1_38merge_sort_block_merge_config_selectorIxNS0_10empty_typeEEEZZNS1_27merge_sort_block_merge_implIS3_N6thrust23THRUST_200600_302600_NS6detail15normal_iteratorINS9_10device_ptrIxEEEEPS5_jNS1_19radix_merge_compareILb0ELb1ExNS0_19identity_decomposerEEEEE10hipError_tT0_T1_T2_jT3_P12ihipStream_tbPNSt15iterator_traitsISK_E10value_typeEPNSQ_ISL_E10value_typeEPSM_NS1_7vsmem_tEENKUlT_SK_SL_SM_E_clIPxSE_SF_SF_EESJ_SZ_SK_SL_SM_EUlSZ_E1_NS1_11comp_targetILNS1_3genE8ELNS1_11target_archE1030ELNS1_3gpuE2ELNS1_3repE0EEENS1_36merge_oddeven_config_static_selectorELNS0_4arch9wavefront6targetE1EEEvSL_
	.p2align	8
	.type	_ZN7rocprim17ROCPRIM_400000_NS6detail17trampoline_kernelINS0_14default_configENS1_38merge_sort_block_merge_config_selectorIxNS0_10empty_typeEEEZZNS1_27merge_sort_block_merge_implIS3_N6thrust23THRUST_200600_302600_NS6detail15normal_iteratorINS9_10device_ptrIxEEEEPS5_jNS1_19radix_merge_compareILb0ELb1ExNS0_19identity_decomposerEEEEE10hipError_tT0_T1_T2_jT3_P12ihipStream_tbPNSt15iterator_traitsISK_E10value_typeEPNSQ_ISL_E10value_typeEPSM_NS1_7vsmem_tEENKUlT_SK_SL_SM_E_clIPxSE_SF_SF_EESJ_SZ_SK_SL_SM_EUlSZ_E1_NS1_11comp_targetILNS1_3genE8ELNS1_11target_archE1030ELNS1_3gpuE2ELNS1_3repE0EEENS1_36merge_oddeven_config_static_selectorELNS0_4arch9wavefront6targetE1EEEvSL_,@function
_ZN7rocprim17ROCPRIM_400000_NS6detail17trampoline_kernelINS0_14default_configENS1_38merge_sort_block_merge_config_selectorIxNS0_10empty_typeEEEZZNS1_27merge_sort_block_merge_implIS3_N6thrust23THRUST_200600_302600_NS6detail15normal_iteratorINS9_10device_ptrIxEEEEPS5_jNS1_19radix_merge_compareILb0ELb1ExNS0_19identity_decomposerEEEEE10hipError_tT0_T1_T2_jT3_P12ihipStream_tbPNSt15iterator_traitsISK_E10value_typeEPNSQ_ISL_E10value_typeEPSM_NS1_7vsmem_tEENKUlT_SK_SL_SM_E_clIPxSE_SF_SF_EESJ_SZ_SK_SL_SM_EUlSZ_E1_NS1_11comp_targetILNS1_3genE8ELNS1_11target_archE1030ELNS1_3gpuE2ELNS1_3repE0EEENS1_36merge_oddeven_config_static_selectorELNS0_4arch9wavefront6targetE1EEEvSL_: ; @_ZN7rocprim17ROCPRIM_400000_NS6detail17trampoline_kernelINS0_14default_configENS1_38merge_sort_block_merge_config_selectorIxNS0_10empty_typeEEEZZNS1_27merge_sort_block_merge_implIS3_N6thrust23THRUST_200600_302600_NS6detail15normal_iteratorINS9_10device_ptrIxEEEEPS5_jNS1_19radix_merge_compareILb0ELb1ExNS0_19identity_decomposerEEEEE10hipError_tT0_T1_T2_jT3_P12ihipStream_tbPNSt15iterator_traitsISK_E10value_typeEPNSQ_ISL_E10value_typeEPSM_NS1_7vsmem_tEENKUlT_SK_SL_SM_E_clIPxSE_SF_SF_EESJ_SZ_SK_SL_SM_EUlSZ_E1_NS1_11comp_targetILNS1_3genE8ELNS1_11target_archE1030ELNS1_3gpuE2ELNS1_3repE0EEENS1_36merge_oddeven_config_static_selectorELNS0_4arch9wavefront6targetE1EEEvSL_
; %bb.0:
	.section	.rodata,"a",@progbits
	.p2align	6, 0x0
	.amdhsa_kernel _ZN7rocprim17ROCPRIM_400000_NS6detail17trampoline_kernelINS0_14default_configENS1_38merge_sort_block_merge_config_selectorIxNS0_10empty_typeEEEZZNS1_27merge_sort_block_merge_implIS3_N6thrust23THRUST_200600_302600_NS6detail15normal_iteratorINS9_10device_ptrIxEEEEPS5_jNS1_19radix_merge_compareILb0ELb1ExNS0_19identity_decomposerEEEEE10hipError_tT0_T1_T2_jT3_P12ihipStream_tbPNSt15iterator_traitsISK_E10value_typeEPNSQ_ISL_E10value_typeEPSM_NS1_7vsmem_tEENKUlT_SK_SL_SM_E_clIPxSE_SF_SF_EESJ_SZ_SK_SL_SM_EUlSZ_E1_NS1_11comp_targetILNS1_3genE8ELNS1_11target_archE1030ELNS1_3gpuE2ELNS1_3repE0EEENS1_36merge_oddeven_config_static_selectorELNS0_4arch9wavefront6targetE1EEEvSL_
		.amdhsa_group_segment_fixed_size 0
		.amdhsa_private_segment_fixed_size 0
		.amdhsa_kernarg_size 48
		.amdhsa_user_sgpr_count 2
		.amdhsa_user_sgpr_dispatch_ptr 0
		.amdhsa_user_sgpr_queue_ptr 0
		.amdhsa_user_sgpr_kernarg_segment_ptr 1
		.amdhsa_user_sgpr_dispatch_id 0
		.amdhsa_user_sgpr_kernarg_preload_length 0
		.amdhsa_user_sgpr_kernarg_preload_offset 0
		.amdhsa_user_sgpr_private_segment_size 0
		.amdhsa_uses_dynamic_stack 0
		.amdhsa_enable_private_segment 0
		.amdhsa_system_sgpr_workgroup_id_x 1
		.amdhsa_system_sgpr_workgroup_id_y 0
		.amdhsa_system_sgpr_workgroup_id_z 0
		.amdhsa_system_sgpr_workgroup_info 0
		.amdhsa_system_vgpr_workitem_id 0
		.amdhsa_next_free_vgpr 1
		.amdhsa_next_free_sgpr 0
		.amdhsa_accum_offset 4
		.amdhsa_reserve_vcc 0
		.amdhsa_float_round_mode_32 0
		.amdhsa_float_round_mode_16_64 0
		.amdhsa_float_denorm_mode_32 3
		.amdhsa_float_denorm_mode_16_64 3
		.amdhsa_dx10_clamp 1
		.amdhsa_ieee_mode 1
		.amdhsa_fp16_overflow 0
		.amdhsa_tg_split 0
		.amdhsa_exception_fp_ieee_invalid_op 0
		.amdhsa_exception_fp_denorm_src 0
		.amdhsa_exception_fp_ieee_div_zero 0
		.amdhsa_exception_fp_ieee_overflow 0
		.amdhsa_exception_fp_ieee_underflow 0
		.amdhsa_exception_fp_ieee_inexact 0
		.amdhsa_exception_int_div_zero 0
	.end_amdhsa_kernel
	.section	.text._ZN7rocprim17ROCPRIM_400000_NS6detail17trampoline_kernelINS0_14default_configENS1_38merge_sort_block_merge_config_selectorIxNS0_10empty_typeEEEZZNS1_27merge_sort_block_merge_implIS3_N6thrust23THRUST_200600_302600_NS6detail15normal_iteratorINS9_10device_ptrIxEEEEPS5_jNS1_19radix_merge_compareILb0ELb1ExNS0_19identity_decomposerEEEEE10hipError_tT0_T1_T2_jT3_P12ihipStream_tbPNSt15iterator_traitsISK_E10value_typeEPNSQ_ISL_E10value_typeEPSM_NS1_7vsmem_tEENKUlT_SK_SL_SM_E_clIPxSE_SF_SF_EESJ_SZ_SK_SL_SM_EUlSZ_E1_NS1_11comp_targetILNS1_3genE8ELNS1_11target_archE1030ELNS1_3gpuE2ELNS1_3repE0EEENS1_36merge_oddeven_config_static_selectorELNS0_4arch9wavefront6targetE1EEEvSL_,"axG",@progbits,_ZN7rocprim17ROCPRIM_400000_NS6detail17trampoline_kernelINS0_14default_configENS1_38merge_sort_block_merge_config_selectorIxNS0_10empty_typeEEEZZNS1_27merge_sort_block_merge_implIS3_N6thrust23THRUST_200600_302600_NS6detail15normal_iteratorINS9_10device_ptrIxEEEEPS5_jNS1_19radix_merge_compareILb0ELb1ExNS0_19identity_decomposerEEEEE10hipError_tT0_T1_T2_jT3_P12ihipStream_tbPNSt15iterator_traitsISK_E10value_typeEPNSQ_ISL_E10value_typeEPSM_NS1_7vsmem_tEENKUlT_SK_SL_SM_E_clIPxSE_SF_SF_EESJ_SZ_SK_SL_SM_EUlSZ_E1_NS1_11comp_targetILNS1_3genE8ELNS1_11target_archE1030ELNS1_3gpuE2ELNS1_3repE0EEENS1_36merge_oddeven_config_static_selectorELNS0_4arch9wavefront6targetE1EEEvSL_,comdat
.Lfunc_end1490:
	.size	_ZN7rocprim17ROCPRIM_400000_NS6detail17trampoline_kernelINS0_14default_configENS1_38merge_sort_block_merge_config_selectorIxNS0_10empty_typeEEEZZNS1_27merge_sort_block_merge_implIS3_N6thrust23THRUST_200600_302600_NS6detail15normal_iteratorINS9_10device_ptrIxEEEEPS5_jNS1_19radix_merge_compareILb0ELb1ExNS0_19identity_decomposerEEEEE10hipError_tT0_T1_T2_jT3_P12ihipStream_tbPNSt15iterator_traitsISK_E10value_typeEPNSQ_ISL_E10value_typeEPSM_NS1_7vsmem_tEENKUlT_SK_SL_SM_E_clIPxSE_SF_SF_EESJ_SZ_SK_SL_SM_EUlSZ_E1_NS1_11comp_targetILNS1_3genE8ELNS1_11target_archE1030ELNS1_3gpuE2ELNS1_3repE0EEENS1_36merge_oddeven_config_static_selectorELNS0_4arch9wavefront6targetE1EEEvSL_, .Lfunc_end1490-_ZN7rocprim17ROCPRIM_400000_NS6detail17trampoline_kernelINS0_14default_configENS1_38merge_sort_block_merge_config_selectorIxNS0_10empty_typeEEEZZNS1_27merge_sort_block_merge_implIS3_N6thrust23THRUST_200600_302600_NS6detail15normal_iteratorINS9_10device_ptrIxEEEEPS5_jNS1_19radix_merge_compareILb0ELb1ExNS0_19identity_decomposerEEEEE10hipError_tT0_T1_T2_jT3_P12ihipStream_tbPNSt15iterator_traitsISK_E10value_typeEPNSQ_ISL_E10value_typeEPSM_NS1_7vsmem_tEENKUlT_SK_SL_SM_E_clIPxSE_SF_SF_EESJ_SZ_SK_SL_SM_EUlSZ_E1_NS1_11comp_targetILNS1_3genE8ELNS1_11target_archE1030ELNS1_3gpuE2ELNS1_3repE0EEENS1_36merge_oddeven_config_static_selectorELNS0_4arch9wavefront6targetE1EEEvSL_
                                        ; -- End function
	.section	.AMDGPU.csdata,"",@progbits
; Kernel info:
; codeLenInByte = 0
; NumSgprs: 6
; NumVgprs: 0
; NumAgprs: 0
; TotalNumVgprs: 0
; ScratchSize: 0
; MemoryBound: 0
; FloatMode: 240
; IeeeMode: 1
; LDSByteSize: 0 bytes/workgroup (compile time only)
; SGPRBlocks: 0
; VGPRBlocks: 0
; NumSGPRsForWavesPerEU: 6
; NumVGPRsForWavesPerEU: 1
; AccumOffset: 4
; Occupancy: 8
; WaveLimiterHint : 0
; COMPUTE_PGM_RSRC2:SCRATCH_EN: 0
; COMPUTE_PGM_RSRC2:USER_SGPR: 2
; COMPUTE_PGM_RSRC2:TRAP_HANDLER: 0
; COMPUTE_PGM_RSRC2:TGID_X_EN: 1
; COMPUTE_PGM_RSRC2:TGID_Y_EN: 0
; COMPUTE_PGM_RSRC2:TGID_Z_EN: 0
; COMPUTE_PGM_RSRC2:TIDIG_COMP_CNT: 0
; COMPUTE_PGM_RSRC3_GFX90A:ACCUM_OFFSET: 0
; COMPUTE_PGM_RSRC3_GFX90A:TG_SPLIT: 0
	.section	.text._ZN7rocprim17ROCPRIM_400000_NS6detail17trampoline_kernelINS0_14default_configENS1_38merge_sort_block_merge_config_selectorIxNS0_10empty_typeEEEZZNS1_27merge_sort_block_merge_implIS3_N6thrust23THRUST_200600_302600_NS6detail15normal_iteratorINS9_10device_ptrIxEEEEPS5_jNS1_19radix_merge_compareILb0ELb1ExNS0_19identity_decomposerEEEEE10hipError_tT0_T1_T2_jT3_P12ihipStream_tbPNSt15iterator_traitsISK_E10value_typeEPNSQ_ISL_E10value_typeEPSM_NS1_7vsmem_tEENKUlT_SK_SL_SM_E_clISE_PxSF_SF_EESJ_SZ_SK_SL_SM_EUlSZ_E_NS1_11comp_targetILNS1_3genE0ELNS1_11target_archE4294967295ELNS1_3gpuE0ELNS1_3repE0EEENS1_48merge_mergepath_partition_config_static_selectorELNS0_4arch9wavefront6targetE1EEEvSL_,"axG",@progbits,_ZN7rocprim17ROCPRIM_400000_NS6detail17trampoline_kernelINS0_14default_configENS1_38merge_sort_block_merge_config_selectorIxNS0_10empty_typeEEEZZNS1_27merge_sort_block_merge_implIS3_N6thrust23THRUST_200600_302600_NS6detail15normal_iteratorINS9_10device_ptrIxEEEEPS5_jNS1_19radix_merge_compareILb0ELb1ExNS0_19identity_decomposerEEEEE10hipError_tT0_T1_T2_jT3_P12ihipStream_tbPNSt15iterator_traitsISK_E10value_typeEPNSQ_ISL_E10value_typeEPSM_NS1_7vsmem_tEENKUlT_SK_SL_SM_E_clISE_PxSF_SF_EESJ_SZ_SK_SL_SM_EUlSZ_E_NS1_11comp_targetILNS1_3genE0ELNS1_11target_archE4294967295ELNS1_3gpuE0ELNS1_3repE0EEENS1_48merge_mergepath_partition_config_static_selectorELNS0_4arch9wavefront6targetE1EEEvSL_,comdat
	.protected	_ZN7rocprim17ROCPRIM_400000_NS6detail17trampoline_kernelINS0_14default_configENS1_38merge_sort_block_merge_config_selectorIxNS0_10empty_typeEEEZZNS1_27merge_sort_block_merge_implIS3_N6thrust23THRUST_200600_302600_NS6detail15normal_iteratorINS9_10device_ptrIxEEEEPS5_jNS1_19radix_merge_compareILb0ELb1ExNS0_19identity_decomposerEEEEE10hipError_tT0_T1_T2_jT3_P12ihipStream_tbPNSt15iterator_traitsISK_E10value_typeEPNSQ_ISL_E10value_typeEPSM_NS1_7vsmem_tEENKUlT_SK_SL_SM_E_clISE_PxSF_SF_EESJ_SZ_SK_SL_SM_EUlSZ_E_NS1_11comp_targetILNS1_3genE0ELNS1_11target_archE4294967295ELNS1_3gpuE0ELNS1_3repE0EEENS1_48merge_mergepath_partition_config_static_selectorELNS0_4arch9wavefront6targetE1EEEvSL_ ; -- Begin function _ZN7rocprim17ROCPRIM_400000_NS6detail17trampoline_kernelINS0_14default_configENS1_38merge_sort_block_merge_config_selectorIxNS0_10empty_typeEEEZZNS1_27merge_sort_block_merge_implIS3_N6thrust23THRUST_200600_302600_NS6detail15normal_iteratorINS9_10device_ptrIxEEEEPS5_jNS1_19radix_merge_compareILb0ELb1ExNS0_19identity_decomposerEEEEE10hipError_tT0_T1_T2_jT3_P12ihipStream_tbPNSt15iterator_traitsISK_E10value_typeEPNSQ_ISL_E10value_typeEPSM_NS1_7vsmem_tEENKUlT_SK_SL_SM_E_clISE_PxSF_SF_EESJ_SZ_SK_SL_SM_EUlSZ_E_NS1_11comp_targetILNS1_3genE0ELNS1_11target_archE4294967295ELNS1_3gpuE0ELNS1_3repE0EEENS1_48merge_mergepath_partition_config_static_selectorELNS0_4arch9wavefront6targetE1EEEvSL_
	.globl	_ZN7rocprim17ROCPRIM_400000_NS6detail17trampoline_kernelINS0_14default_configENS1_38merge_sort_block_merge_config_selectorIxNS0_10empty_typeEEEZZNS1_27merge_sort_block_merge_implIS3_N6thrust23THRUST_200600_302600_NS6detail15normal_iteratorINS9_10device_ptrIxEEEEPS5_jNS1_19radix_merge_compareILb0ELb1ExNS0_19identity_decomposerEEEEE10hipError_tT0_T1_T2_jT3_P12ihipStream_tbPNSt15iterator_traitsISK_E10value_typeEPNSQ_ISL_E10value_typeEPSM_NS1_7vsmem_tEENKUlT_SK_SL_SM_E_clISE_PxSF_SF_EESJ_SZ_SK_SL_SM_EUlSZ_E_NS1_11comp_targetILNS1_3genE0ELNS1_11target_archE4294967295ELNS1_3gpuE0ELNS1_3repE0EEENS1_48merge_mergepath_partition_config_static_selectorELNS0_4arch9wavefront6targetE1EEEvSL_
	.p2align	8
	.type	_ZN7rocprim17ROCPRIM_400000_NS6detail17trampoline_kernelINS0_14default_configENS1_38merge_sort_block_merge_config_selectorIxNS0_10empty_typeEEEZZNS1_27merge_sort_block_merge_implIS3_N6thrust23THRUST_200600_302600_NS6detail15normal_iteratorINS9_10device_ptrIxEEEEPS5_jNS1_19radix_merge_compareILb0ELb1ExNS0_19identity_decomposerEEEEE10hipError_tT0_T1_T2_jT3_P12ihipStream_tbPNSt15iterator_traitsISK_E10value_typeEPNSQ_ISL_E10value_typeEPSM_NS1_7vsmem_tEENKUlT_SK_SL_SM_E_clISE_PxSF_SF_EESJ_SZ_SK_SL_SM_EUlSZ_E_NS1_11comp_targetILNS1_3genE0ELNS1_11target_archE4294967295ELNS1_3gpuE0ELNS1_3repE0EEENS1_48merge_mergepath_partition_config_static_selectorELNS0_4arch9wavefront6targetE1EEEvSL_,@function
_ZN7rocprim17ROCPRIM_400000_NS6detail17trampoline_kernelINS0_14default_configENS1_38merge_sort_block_merge_config_selectorIxNS0_10empty_typeEEEZZNS1_27merge_sort_block_merge_implIS3_N6thrust23THRUST_200600_302600_NS6detail15normal_iteratorINS9_10device_ptrIxEEEEPS5_jNS1_19radix_merge_compareILb0ELb1ExNS0_19identity_decomposerEEEEE10hipError_tT0_T1_T2_jT3_P12ihipStream_tbPNSt15iterator_traitsISK_E10value_typeEPNSQ_ISL_E10value_typeEPSM_NS1_7vsmem_tEENKUlT_SK_SL_SM_E_clISE_PxSF_SF_EESJ_SZ_SK_SL_SM_EUlSZ_E_NS1_11comp_targetILNS1_3genE0ELNS1_11target_archE4294967295ELNS1_3gpuE0ELNS1_3repE0EEENS1_48merge_mergepath_partition_config_static_selectorELNS0_4arch9wavefront6targetE1EEEvSL_: ; @_ZN7rocprim17ROCPRIM_400000_NS6detail17trampoline_kernelINS0_14default_configENS1_38merge_sort_block_merge_config_selectorIxNS0_10empty_typeEEEZZNS1_27merge_sort_block_merge_implIS3_N6thrust23THRUST_200600_302600_NS6detail15normal_iteratorINS9_10device_ptrIxEEEEPS5_jNS1_19radix_merge_compareILb0ELb1ExNS0_19identity_decomposerEEEEE10hipError_tT0_T1_T2_jT3_P12ihipStream_tbPNSt15iterator_traitsISK_E10value_typeEPNSQ_ISL_E10value_typeEPSM_NS1_7vsmem_tEENKUlT_SK_SL_SM_E_clISE_PxSF_SF_EESJ_SZ_SK_SL_SM_EUlSZ_E_NS1_11comp_targetILNS1_3genE0ELNS1_11target_archE4294967295ELNS1_3gpuE0ELNS1_3repE0EEENS1_48merge_mergepath_partition_config_static_selectorELNS0_4arch9wavefront6targetE1EEEvSL_
; %bb.0:
	.section	.rodata,"a",@progbits
	.p2align	6, 0x0
	.amdhsa_kernel _ZN7rocprim17ROCPRIM_400000_NS6detail17trampoline_kernelINS0_14default_configENS1_38merge_sort_block_merge_config_selectorIxNS0_10empty_typeEEEZZNS1_27merge_sort_block_merge_implIS3_N6thrust23THRUST_200600_302600_NS6detail15normal_iteratorINS9_10device_ptrIxEEEEPS5_jNS1_19radix_merge_compareILb0ELb1ExNS0_19identity_decomposerEEEEE10hipError_tT0_T1_T2_jT3_P12ihipStream_tbPNSt15iterator_traitsISK_E10value_typeEPNSQ_ISL_E10value_typeEPSM_NS1_7vsmem_tEENKUlT_SK_SL_SM_E_clISE_PxSF_SF_EESJ_SZ_SK_SL_SM_EUlSZ_E_NS1_11comp_targetILNS1_3genE0ELNS1_11target_archE4294967295ELNS1_3gpuE0ELNS1_3repE0EEENS1_48merge_mergepath_partition_config_static_selectorELNS0_4arch9wavefront6targetE1EEEvSL_
		.amdhsa_group_segment_fixed_size 0
		.amdhsa_private_segment_fixed_size 0
		.amdhsa_kernarg_size 40
		.amdhsa_user_sgpr_count 2
		.amdhsa_user_sgpr_dispatch_ptr 0
		.amdhsa_user_sgpr_queue_ptr 0
		.amdhsa_user_sgpr_kernarg_segment_ptr 1
		.amdhsa_user_sgpr_dispatch_id 0
		.amdhsa_user_sgpr_kernarg_preload_length 0
		.amdhsa_user_sgpr_kernarg_preload_offset 0
		.amdhsa_user_sgpr_private_segment_size 0
		.amdhsa_uses_dynamic_stack 0
		.amdhsa_enable_private_segment 0
		.amdhsa_system_sgpr_workgroup_id_x 1
		.amdhsa_system_sgpr_workgroup_id_y 0
		.amdhsa_system_sgpr_workgroup_id_z 0
		.amdhsa_system_sgpr_workgroup_info 0
		.amdhsa_system_vgpr_workitem_id 0
		.amdhsa_next_free_vgpr 1
		.amdhsa_next_free_sgpr 0
		.amdhsa_accum_offset 4
		.amdhsa_reserve_vcc 0
		.amdhsa_float_round_mode_32 0
		.amdhsa_float_round_mode_16_64 0
		.amdhsa_float_denorm_mode_32 3
		.amdhsa_float_denorm_mode_16_64 3
		.amdhsa_dx10_clamp 1
		.amdhsa_ieee_mode 1
		.amdhsa_fp16_overflow 0
		.amdhsa_tg_split 0
		.amdhsa_exception_fp_ieee_invalid_op 0
		.amdhsa_exception_fp_denorm_src 0
		.amdhsa_exception_fp_ieee_div_zero 0
		.amdhsa_exception_fp_ieee_overflow 0
		.amdhsa_exception_fp_ieee_underflow 0
		.amdhsa_exception_fp_ieee_inexact 0
		.amdhsa_exception_int_div_zero 0
	.end_amdhsa_kernel
	.section	.text._ZN7rocprim17ROCPRIM_400000_NS6detail17trampoline_kernelINS0_14default_configENS1_38merge_sort_block_merge_config_selectorIxNS0_10empty_typeEEEZZNS1_27merge_sort_block_merge_implIS3_N6thrust23THRUST_200600_302600_NS6detail15normal_iteratorINS9_10device_ptrIxEEEEPS5_jNS1_19radix_merge_compareILb0ELb1ExNS0_19identity_decomposerEEEEE10hipError_tT0_T1_T2_jT3_P12ihipStream_tbPNSt15iterator_traitsISK_E10value_typeEPNSQ_ISL_E10value_typeEPSM_NS1_7vsmem_tEENKUlT_SK_SL_SM_E_clISE_PxSF_SF_EESJ_SZ_SK_SL_SM_EUlSZ_E_NS1_11comp_targetILNS1_3genE0ELNS1_11target_archE4294967295ELNS1_3gpuE0ELNS1_3repE0EEENS1_48merge_mergepath_partition_config_static_selectorELNS0_4arch9wavefront6targetE1EEEvSL_,"axG",@progbits,_ZN7rocprim17ROCPRIM_400000_NS6detail17trampoline_kernelINS0_14default_configENS1_38merge_sort_block_merge_config_selectorIxNS0_10empty_typeEEEZZNS1_27merge_sort_block_merge_implIS3_N6thrust23THRUST_200600_302600_NS6detail15normal_iteratorINS9_10device_ptrIxEEEEPS5_jNS1_19radix_merge_compareILb0ELb1ExNS0_19identity_decomposerEEEEE10hipError_tT0_T1_T2_jT3_P12ihipStream_tbPNSt15iterator_traitsISK_E10value_typeEPNSQ_ISL_E10value_typeEPSM_NS1_7vsmem_tEENKUlT_SK_SL_SM_E_clISE_PxSF_SF_EESJ_SZ_SK_SL_SM_EUlSZ_E_NS1_11comp_targetILNS1_3genE0ELNS1_11target_archE4294967295ELNS1_3gpuE0ELNS1_3repE0EEENS1_48merge_mergepath_partition_config_static_selectorELNS0_4arch9wavefront6targetE1EEEvSL_,comdat
.Lfunc_end1491:
	.size	_ZN7rocprim17ROCPRIM_400000_NS6detail17trampoline_kernelINS0_14default_configENS1_38merge_sort_block_merge_config_selectorIxNS0_10empty_typeEEEZZNS1_27merge_sort_block_merge_implIS3_N6thrust23THRUST_200600_302600_NS6detail15normal_iteratorINS9_10device_ptrIxEEEEPS5_jNS1_19radix_merge_compareILb0ELb1ExNS0_19identity_decomposerEEEEE10hipError_tT0_T1_T2_jT3_P12ihipStream_tbPNSt15iterator_traitsISK_E10value_typeEPNSQ_ISL_E10value_typeEPSM_NS1_7vsmem_tEENKUlT_SK_SL_SM_E_clISE_PxSF_SF_EESJ_SZ_SK_SL_SM_EUlSZ_E_NS1_11comp_targetILNS1_3genE0ELNS1_11target_archE4294967295ELNS1_3gpuE0ELNS1_3repE0EEENS1_48merge_mergepath_partition_config_static_selectorELNS0_4arch9wavefront6targetE1EEEvSL_, .Lfunc_end1491-_ZN7rocprim17ROCPRIM_400000_NS6detail17trampoline_kernelINS0_14default_configENS1_38merge_sort_block_merge_config_selectorIxNS0_10empty_typeEEEZZNS1_27merge_sort_block_merge_implIS3_N6thrust23THRUST_200600_302600_NS6detail15normal_iteratorINS9_10device_ptrIxEEEEPS5_jNS1_19radix_merge_compareILb0ELb1ExNS0_19identity_decomposerEEEEE10hipError_tT0_T1_T2_jT3_P12ihipStream_tbPNSt15iterator_traitsISK_E10value_typeEPNSQ_ISL_E10value_typeEPSM_NS1_7vsmem_tEENKUlT_SK_SL_SM_E_clISE_PxSF_SF_EESJ_SZ_SK_SL_SM_EUlSZ_E_NS1_11comp_targetILNS1_3genE0ELNS1_11target_archE4294967295ELNS1_3gpuE0ELNS1_3repE0EEENS1_48merge_mergepath_partition_config_static_selectorELNS0_4arch9wavefront6targetE1EEEvSL_
                                        ; -- End function
	.section	.AMDGPU.csdata,"",@progbits
; Kernel info:
; codeLenInByte = 0
; NumSgprs: 6
; NumVgprs: 0
; NumAgprs: 0
; TotalNumVgprs: 0
; ScratchSize: 0
; MemoryBound: 0
; FloatMode: 240
; IeeeMode: 1
; LDSByteSize: 0 bytes/workgroup (compile time only)
; SGPRBlocks: 0
; VGPRBlocks: 0
; NumSGPRsForWavesPerEU: 6
; NumVGPRsForWavesPerEU: 1
; AccumOffset: 4
; Occupancy: 8
; WaveLimiterHint : 0
; COMPUTE_PGM_RSRC2:SCRATCH_EN: 0
; COMPUTE_PGM_RSRC2:USER_SGPR: 2
; COMPUTE_PGM_RSRC2:TRAP_HANDLER: 0
; COMPUTE_PGM_RSRC2:TGID_X_EN: 1
; COMPUTE_PGM_RSRC2:TGID_Y_EN: 0
; COMPUTE_PGM_RSRC2:TGID_Z_EN: 0
; COMPUTE_PGM_RSRC2:TIDIG_COMP_CNT: 0
; COMPUTE_PGM_RSRC3_GFX90A:ACCUM_OFFSET: 0
; COMPUTE_PGM_RSRC3_GFX90A:TG_SPLIT: 0
	.section	.text._ZN7rocprim17ROCPRIM_400000_NS6detail17trampoline_kernelINS0_14default_configENS1_38merge_sort_block_merge_config_selectorIxNS0_10empty_typeEEEZZNS1_27merge_sort_block_merge_implIS3_N6thrust23THRUST_200600_302600_NS6detail15normal_iteratorINS9_10device_ptrIxEEEEPS5_jNS1_19radix_merge_compareILb0ELb1ExNS0_19identity_decomposerEEEEE10hipError_tT0_T1_T2_jT3_P12ihipStream_tbPNSt15iterator_traitsISK_E10value_typeEPNSQ_ISL_E10value_typeEPSM_NS1_7vsmem_tEENKUlT_SK_SL_SM_E_clISE_PxSF_SF_EESJ_SZ_SK_SL_SM_EUlSZ_E_NS1_11comp_targetILNS1_3genE10ELNS1_11target_archE1201ELNS1_3gpuE5ELNS1_3repE0EEENS1_48merge_mergepath_partition_config_static_selectorELNS0_4arch9wavefront6targetE1EEEvSL_,"axG",@progbits,_ZN7rocprim17ROCPRIM_400000_NS6detail17trampoline_kernelINS0_14default_configENS1_38merge_sort_block_merge_config_selectorIxNS0_10empty_typeEEEZZNS1_27merge_sort_block_merge_implIS3_N6thrust23THRUST_200600_302600_NS6detail15normal_iteratorINS9_10device_ptrIxEEEEPS5_jNS1_19radix_merge_compareILb0ELb1ExNS0_19identity_decomposerEEEEE10hipError_tT0_T1_T2_jT3_P12ihipStream_tbPNSt15iterator_traitsISK_E10value_typeEPNSQ_ISL_E10value_typeEPSM_NS1_7vsmem_tEENKUlT_SK_SL_SM_E_clISE_PxSF_SF_EESJ_SZ_SK_SL_SM_EUlSZ_E_NS1_11comp_targetILNS1_3genE10ELNS1_11target_archE1201ELNS1_3gpuE5ELNS1_3repE0EEENS1_48merge_mergepath_partition_config_static_selectorELNS0_4arch9wavefront6targetE1EEEvSL_,comdat
	.protected	_ZN7rocprim17ROCPRIM_400000_NS6detail17trampoline_kernelINS0_14default_configENS1_38merge_sort_block_merge_config_selectorIxNS0_10empty_typeEEEZZNS1_27merge_sort_block_merge_implIS3_N6thrust23THRUST_200600_302600_NS6detail15normal_iteratorINS9_10device_ptrIxEEEEPS5_jNS1_19radix_merge_compareILb0ELb1ExNS0_19identity_decomposerEEEEE10hipError_tT0_T1_T2_jT3_P12ihipStream_tbPNSt15iterator_traitsISK_E10value_typeEPNSQ_ISL_E10value_typeEPSM_NS1_7vsmem_tEENKUlT_SK_SL_SM_E_clISE_PxSF_SF_EESJ_SZ_SK_SL_SM_EUlSZ_E_NS1_11comp_targetILNS1_3genE10ELNS1_11target_archE1201ELNS1_3gpuE5ELNS1_3repE0EEENS1_48merge_mergepath_partition_config_static_selectorELNS0_4arch9wavefront6targetE1EEEvSL_ ; -- Begin function _ZN7rocprim17ROCPRIM_400000_NS6detail17trampoline_kernelINS0_14default_configENS1_38merge_sort_block_merge_config_selectorIxNS0_10empty_typeEEEZZNS1_27merge_sort_block_merge_implIS3_N6thrust23THRUST_200600_302600_NS6detail15normal_iteratorINS9_10device_ptrIxEEEEPS5_jNS1_19radix_merge_compareILb0ELb1ExNS0_19identity_decomposerEEEEE10hipError_tT0_T1_T2_jT3_P12ihipStream_tbPNSt15iterator_traitsISK_E10value_typeEPNSQ_ISL_E10value_typeEPSM_NS1_7vsmem_tEENKUlT_SK_SL_SM_E_clISE_PxSF_SF_EESJ_SZ_SK_SL_SM_EUlSZ_E_NS1_11comp_targetILNS1_3genE10ELNS1_11target_archE1201ELNS1_3gpuE5ELNS1_3repE0EEENS1_48merge_mergepath_partition_config_static_selectorELNS0_4arch9wavefront6targetE1EEEvSL_
	.globl	_ZN7rocprim17ROCPRIM_400000_NS6detail17trampoline_kernelINS0_14default_configENS1_38merge_sort_block_merge_config_selectorIxNS0_10empty_typeEEEZZNS1_27merge_sort_block_merge_implIS3_N6thrust23THRUST_200600_302600_NS6detail15normal_iteratorINS9_10device_ptrIxEEEEPS5_jNS1_19radix_merge_compareILb0ELb1ExNS0_19identity_decomposerEEEEE10hipError_tT0_T1_T2_jT3_P12ihipStream_tbPNSt15iterator_traitsISK_E10value_typeEPNSQ_ISL_E10value_typeEPSM_NS1_7vsmem_tEENKUlT_SK_SL_SM_E_clISE_PxSF_SF_EESJ_SZ_SK_SL_SM_EUlSZ_E_NS1_11comp_targetILNS1_3genE10ELNS1_11target_archE1201ELNS1_3gpuE5ELNS1_3repE0EEENS1_48merge_mergepath_partition_config_static_selectorELNS0_4arch9wavefront6targetE1EEEvSL_
	.p2align	8
	.type	_ZN7rocprim17ROCPRIM_400000_NS6detail17trampoline_kernelINS0_14default_configENS1_38merge_sort_block_merge_config_selectorIxNS0_10empty_typeEEEZZNS1_27merge_sort_block_merge_implIS3_N6thrust23THRUST_200600_302600_NS6detail15normal_iteratorINS9_10device_ptrIxEEEEPS5_jNS1_19radix_merge_compareILb0ELb1ExNS0_19identity_decomposerEEEEE10hipError_tT0_T1_T2_jT3_P12ihipStream_tbPNSt15iterator_traitsISK_E10value_typeEPNSQ_ISL_E10value_typeEPSM_NS1_7vsmem_tEENKUlT_SK_SL_SM_E_clISE_PxSF_SF_EESJ_SZ_SK_SL_SM_EUlSZ_E_NS1_11comp_targetILNS1_3genE10ELNS1_11target_archE1201ELNS1_3gpuE5ELNS1_3repE0EEENS1_48merge_mergepath_partition_config_static_selectorELNS0_4arch9wavefront6targetE1EEEvSL_,@function
_ZN7rocprim17ROCPRIM_400000_NS6detail17trampoline_kernelINS0_14default_configENS1_38merge_sort_block_merge_config_selectorIxNS0_10empty_typeEEEZZNS1_27merge_sort_block_merge_implIS3_N6thrust23THRUST_200600_302600_NS6detail15normal_iteratorINS9_10device_ptrIxEEEEPS5_jNS1_19radix_merge_compareILb0ELb1ExNS0_19identity_decomposerEEEEE10hipError_tT0_T1_T2_jT3_P12ihipStream_tbPNSt15iterator_traitsISK_E10value_typeEPNSQ_ISL_E10value_typeEPSM_NS1_7vsmem_tEENKUlT_SK_SL_SM_E_clISE_PxSF_SF_EESJ_SZ_SK_SL_SM_EUlSZ_E_NS1_11comp_targetILNS1_3genE10ELNS1_11target_archE1201ELNS1_3gpuE5ELNS1_3repE0EEENS1_48merge_mergepath_partition_config_static_selectorELNS0_4arch9wavefront6targetE1EEEvSL_: ; @_ZN7rocprim17ROCPRIM_400000_NS6detail17trampoline_kernelINS0_14default_configENS1_38merge_sort_block_merge_config_selectorIxNS0_10empty_typeEEEZZNS1_27merge_sort_block_merge_implIS3_N6thrust23THRUST_200600_302600_NS6detail15normal_iteratorINS9_10device_ptrIxEEEEPS5_jNS1_19radix_merge_compareILb0ELb1ExNS0_19identity_decomposerEEEEE10hipError_tT0_T1_T2_jT3_P12ihipStream_tbPNSt15iterator_traitsISK_E10value_typeEPNSQ_ISL_E10value_typeEPSM_NS1_7vsmem_tEENKUlT_SK_SL_SM_E_clISE_PxSF_SF_EESJ_SZ_SK_SL_SM_EUlSZ_E_NS1_11comp_targetILNS1_3genE10ELNS1_11target_archE1201ELNS1_3gpuE5ELNS1_3repE0EEENS1_48merge_mergepath_partition_config_static_selectorELNS0_4arch9wavefront6targetE1EEEvSL_
; %bb.0:
	.section	.rodata,"a",@progbits
	.p2align	6, 0x0
	.amdhsa_kernel _ZN7rocprim17ROCPRIM_400000_NS6detail17trampoline_kernelINS0_14default_configENS1_38merge_sort_block_merge_config_selectorIxNS0_10empty_typeEEEZZNS1_27merge_sort_block_merge_implIS3_N6thrust23THRUST_200600_302600_NS6detail15normal_iteratorINS9_10device_ptrIxEEEEPS5_jNS1_19radix_merge_compareILb0ELb1ExNS0_19identity_decomposerEEEEE10hipError_tT0_T1_T2_jT3_P12ihipStream_tbPNSt15iterator_traitsISK_E10value_typeEPNSQ_ISL_E10value_typeEPSM_NS1_7vsmem_tEENKUlT_SK_SL_SM_E_clISE_PxSF_SF_EESJ_SZ_SK_SL_SM_EUlSZ_E_NS1_11comp_targetILNS1_3genE10ELNS1_11target_archE1201ELNS1_3gpuE5ELNS1_3repE0EEENS1_48merge_mergepath_partition_config_static_selectorELNS0_4arch9wavefront6targetE1EEEvSL_
		.amdhsa_group_segment_fixed_size 0
		.amdhsa_private_segment_fixed_size 0
		.amdhsa_kernarg_size 40
		.amdhsa_user_sgpr_count 2
		.amdhsa_user_sgpr_dispatch_ptr 0
		.amdhsa_user_sgpr_queue_ptr 0
		.amdhsa_user_sgpr_kernarg_segment_ptr 1
		.amdhsa_user_sgpr_dispatch_id 0
		.amdhsa_user_sgpr_kernarg_preload_length 0
		.amdhsa_user_sgpr_kernarg_preload_offset 0
		.amdhsa_user_sgpr_private_segment_size 0
		.amdhsa_uses_dynamic_stack 0
		.amdhsa_enable_private_segment 0
		.amdhsa_system_sgpr_workgroup_id_x 1
		.amdhsa_system_sgpr_workgroup_id_y 0
		.amdhsa_system_sgpr_workgroup_id_z 0
		.amdhsa_system_sgpr_workgroup_info 0
		.amdhsa_system_vgpr_workitem_id 0
		.amdhsa_next_free_vgpr 1
		.amdhsa_next_free_sgpr 0
		.amdhsa_accum_offset 4
		.amdhsa_reserve_vcc 0
		.amdhsa_float_round_mode_32 0
		.amdhsa_float_round_mode_16_64 0
		.amdhsa_float_denorm_mode_32 3
		.amdhsa_float_denorm_mode_16_64 3
		.amdhsa_dx10_clamp 1
		.amdhsa_ieee_mode 1
		.amdhsa_fp16_overflow 0
		.amdhsa_tg_split 0
		.amdhsa_exception_fp_ieee_invalid_op 0
		.amdhsa_exception_fp_denorm_src 0
		.amdhsa_exception_fp_ieee_div_zero 0
		.amdhsa_exception_fp_ieee_overflow 0
		.amdhsa_exception_fp_ieee_underflow 0
		.amdhsa_exception_fp_ieee_inexact 0
		.amdhsa_exception_int_div_zero 0
	.end_amdhsa_kernel
	.section	.text._ZN7rocprim17ROCPRIM_400000_NS6detail17trampoline_kernelINS0_14default_configENS1_38merge_sort_block_merge_config_selectorIxNS0_10empty_typeEEEZZNS1_27merge_sort_block_merge_implIS3_N6thrust23THRUST_200600_302600_NS6detail15normal_iteratorINS9_10device_ptrIxEEEEPS5_jNS1_19radix_merge_compareILb0ELb1ExNS0_19identity_decomposerEEEEE10hipError_tT0_T1_T2_jT3_P12ihipStream_tbPNSt15iterator_traitsISK_E10value_typeEPNSQ_ISL_E10value_typeEPSM_NS1_7vsmem_tEENKUlT_SK_SL_SM_E_clISE_PxSF_SF_EESJ_SZ_SK_SL_SM_EUlSZ_E_NS1_11comp_targetILNS1_3genE10ELNS1_11target_archE1201ELNS1_3gpuE5ELNS1_3repE0EEENS1_48merge_mergepath_partition_config_static_selectorELNS0_4arch9wavefront6targetE1EEEvSL_,"axG",@progbits,_ZN7rocprim17ROCPRIM_400000_NS6detail17trampoline_kernelINS0_14default_configENS1_38merge_sort_block_merge_config_selectorIxNS0_10empty_typeEEEZZNS1_27merge_sort_block_merge_implIS3_N6thrust23THRUST_200600_302600_NS6detail15normal_iteratorINS9_10device_ptrIxEEEEPS5_jNS1_19radix_merge_compareILb0ELb1ExNS0_19identity_decomposerEEEEE10hipError_tT0_T1_T2_jT3_P12ihipStream_tbPNSt15iterator_traitsISK_E10value_typeEPNSQ_ISL_E10value_typeEPSM_NS1_7vsmem_tEENKUlT_SK_SL_SM_E_clISE_PxSF_SF_EESJ_SZ_SK_SL_SM_EUlSZ_E_NS1_11comp_targetILNS1_3genE10ELNS1_11target_archE1201ELNS1_3gpuE5ELNS1_3repE0EEENS1_48merge_mergepath_partition_config_static_selectorELNS0_4arch9wavefront6targetE1EEEvSL_,comdat
.Lfunc_end1492:
	.size	_ZN7rocprim17ROCPRIM_400000_NS6detail17trampoline_kernelINS0_14default_configENS1_38merge_sort_block_merge_config_selectorIxNS0_10empty_typeEEEZZNS1_27merge_sort_block_merge_implIS3_N6thrust23THRUST_200600_302600_NS6detail15normal_iteratorINS9_10device_ptrIxEEEEPS5_jNS1_19radix_merge_compareILb0ELb1ExNS0_19identity_decomposerEEEEE10hipError_tT0_T1_T2_jT3_P12ihipStream_tbPNSt15iterator_traitsISK_E10value_typeEPNSQ_ISL_E10value_typeEPSM_NS1_7vsmem_tEENKUlT_SK_SL_SM_E_clISE_PxSF_SF_EESJ_SZ_SK_SL_SM_EUlSZ_E_NS1_11comp_targetILNS1_3genE10ELNS1_11target_archE1201ELNS1_3gpuE5ELNS1_3repE0EEENS1_48merge_mergepath_partition_config_static_selectorELNS0_4arch9wavefront6targetE1EEEvSL_, .Lfunc_end1492-_ZN7rocprim17ROCPRIM_400000_NS6detail17trampoline_kernelINS0_14default_configENS1_38merge_sort_block_merge_config_selectorIxNS0_10empty_typeEEEZZNS1_27merge_sort_block_merge_implIS3_N6thrust23THRUST_200600_302600_NS6detail15normal_iteratorINS9_10device_ptrIxEEEEPS5_jNS1_19radix_merge_compareILb0ELb1ExNS0_19identity_decomposerEEEEE10hipError_tT0_T1_T2_jT3_P12ihipStream_tbPNSt15iterator_traitsISK_E10value_typeEPNSQ_ISL_E10value_typeEPSM_NS1_7vsmem_tEENKUlT_SK_SL_SM_E_clISE_PxSF_SF_EESJ_SZ_SK_SL_SM_EUlSZ_E_NS1_11comp_targetILNS1_3genE10ELNS1_11target_archE1201ELNS1_3gpuE5ELNS1_3repE0EEENS1_48merge_mergepath_partition_config_static_selectorELNS0_4arch9wavefront6targetE1EEEvSL_
                                        ; -- End function
	.section	.AMDGPU.csdata,"",@progbits
; Kernel info:
; codeLenInByte = 0
; NumSgprs: 6
; NumVgprs: 0
; NumAgprs: 0
; TotalNumVgprs: 0
; ScratchSize: 0
; MemoryBound: 0
; FloatMode: 240
; IeeeMode: 1
; LDSByteSize: 0 bytes/workgroup (compile time only)
; SGPRBlocks: 0
; VGPRBlocks: 0
; NumSGPRsForWavesPerEU: 6
; NumVGPRsForWavesPerEU: 1
; AccumOffset: 4
; Occupancy: 8
; WaveLimiterHint : 0
; COMPUTE_PGM_RSRC2:SCRATCH_EN: 0
; COMPUTE_PGM_RSRC2:USER_SGPR: 2
; COMPUTE_PGM_RSRC2:TRAP_HANDLER: 0
; COMPUTE_PGM_RSRC2:TGID_X_EN: 1
; COMPUTE_PGM_RSRC2:TGID_Y_EN: 0
; COMPUTE_PGM_RSRC2:TGID_Z_EN: 0
; COMPUTE_PGM_RSRC2:TIDIG_COMP_CNT: 0
; COMPUTE_PGM_RSRC3_GFX90A:ACCUM_OFFSET: 0
; COMPUTE_PGM_RSRC3_GFX90A:TG_SPLIT: 0
	.section	.text._ZN7rocprim17ROCPRIM_400000_NS6detail17trampoline_kernelINS0_14default_configENS1_38merge_sort_block_merge_config_selectorIxNS0_10empty_typeEEEZZNS1_27merge_sort_block_merge_implIS3_N6thrust23THRUST_200600_302600_NS6detail15normal_iteratorINS9_10device_ptrIxEEEEPS5_jNS1_19radix_merge_compareILb0ELb1ExNS0_19identity_decomposerEEEEE10hipError_tT0_T1_T2_jT3_P12ihipStream_tbPNSt15iterator_traitsISK_E10value_typeEPNSQ_ISL_E10value_typeEPSM_NS1_7vsmem_tEENKUlT_SK_SL_SM_E_clISE_PxSF_SF_EESJ_SZ_SK_SL_SM_EUlSZ_E_NS1_11comp_targetILNS1_3genE5ELNS1_11target_archE942ELNS1_3gpuE9ELNS1_3repE0EEENS1_48merge_mergepath_partition_config_static_selectorELNS0_4arch9wavefront6targetE1EEEvSL_,"axG",@progbits,_ZN7rocprim17ROCPRIM_400000_NS6detail17trampoline_kernelINS0_14default_configENS1_38merge_sort_block_merge_config_selectorIxNS0_10empty_typeEEEZZNS1_27merge_sort_block_merge_implIS3_N6thrust23THRUST_200600_302600_NS6detail15normal_iteratorINS9_10device_ptrIxEEEEPS5_jNS1_19radix_merge_compareILb0ELb1ExNS0_19identity_decomposerEEEEE10hipError_tT0_T1_T2_jT3_P12ihipStream_tbPNSt15iterator_traitsISK_E10value_typeEPNSQ_ISL_E10value_typeEPSM_NS1_7vsmem_tEENKUlT_SK_SL_SM_E_clISE_PxSF_SF_EESJ_SZ_SK_SL_SM_EUlSZ_E_NS1_11comp_targetILNS1_3genE5ELNS1_11target_archE942ELNS1_3gpuE9ELNS1_3repE0EEENS1_48merge_mergepath_partition_config_static_selectorELNS0_4arch9wavefront6targetE1EEEvSL_,comdat
	.protected	_ZN7rocprim17ROCPRIM_400000_NS6detail17trampoline_kernelINS0_14default_configENS1_38merge_sort_block_merge_config_selectorIxNS0_10empty_typeEEEZZNS1_27merge_sort_block_merge_implIS3_N6thrust23THRUST_200600_302600_NS6detail15normal_iteratorINS9_10device_ptrIxEEEEPS5_jNS1_19radix_merge_compareILb0ELb1ExNS0_19identity_decomposerEEEEE10hipError_tT0_T1_T2_jT3_P12ihipStream_tbPNSt15iterator_traitsISK_E10value_typeEPNSQ_ISL_E10value_typeEPSM_NS1_7vsmem_tEENKUlT_SK_SL_SM_E_clISE_PxSF_SF_EESJ_SZ_SK_SL_SM_EUlSZ_E_NS1_11comp_targetILNS1_3genE5ELNS1_11target_archE942ELNS1_3gpuE9ELNS1_3repE0EEENS1_48merge_mergepath_partition_config_static_selectorELNS0_4arch9wavefront6targetE1EEEvSL_ ; -- Begin function _ZN7rocprim17ROCPRIM_400000_NS6detail17trampoline_kernelINS0_14default_configENS1_38merge_sort_block_merge_config_selectorIxNS0_10empty_typeEEEZZNS1_27merge_sort_block_merge_implIS3_N6thrust23THRUST_200600_302600_NS6detail15normal_iteratorINS9_10device_ptrIxEEEEPS5_jNS1_19radix_merge_compareILb0ELb1ExNS0_19identity_decomposerEEEEE10hipError_tT0_T1_T2_jT3_P12ihipStream_tbPNSt15iterator_traitsISK_E10value_typeEPNSQ_ISL_E10value_typeEPSM_NS1_7vsmem_tEENKUlT_SK_SL_SM_E_clISE_PxSF_SF_EESJ_SZ_SK_SL_SM_EUlSZ_E_NS1_11comp_targetILNS1_3genE5ELNS1_11target_archE942ELNS1_3gpuE9ELNS1_3repE0EEENS1_48merge_mergepath_partition_config_static_selectorELNS0_4arch9wavefront6targetE1EEEvSL_
	.globl	_ZN7rocprim17ROCPRIM_400000_NS6detail17trampoline_kernelINS0_14default_configENS1_38merge_sort_block_merge_config_selectorIxNS0_10empty_typeEEEZZNS1_27merge_sort_block_merge_implIS3_N6thrust23THRUST_200600_302600_NS6detail15normal_iteratorINS9_10device_ptrIxEEEEPS5_jNS1_19radix_merge_compareILb0ELb1ExNS0_19identity_decomposerEEEEE10hipError_tT0_T1_T2_jT3_P12ihipStream_tbPNSt15iterator_traitsISK_E10value_typeEPNSQ_ISL_E10value_typeEPSM_NS1_7vsmem_tEENKUlT_SK_SL_SM_E_clISE_PxSF_SF_EESJ_SZ_SK_SL_SM_EUlSZ_E_NS1_11comp_targetILNS1_3genE5ELNS1_11target_archE942ELNS1_3gpuE9ELNS1_3repE0EEENS1_48merge_mergepath_partition_config_static_selectorELNS0_4arch9wavefront6targetE1EEEvSL_
	.p2align	8
	.type	_ZN7rocprim17ROCPRIM_400000_NS6detail17trampoline_kernelINS0_14default_configENS1_38merge_sort_block_merge_config_selectorIxNS0_10empty_typeEEEZZNS1_27merge_sort_block_merge_implIS3_N6thrust23THRUST_200600_302600_NS6detail15normal_iteratorINS9_10device_ptrIxEEEEPS5_jNS1_19radix_merge_compareILb0ELb1ExNS0_19identity_decomposerEEEEE10hipError_tT0_T1_T2_jT3_P12ihipStream_tbPNSt15iterator_traitsISK_E10value_typeEPNSQ_ISL_E10value_typeEPSM_NS1_7vsmem_tEENKUlT_SK_SL_SM_E_clISE_PxSF_SF_EESJ_SZ_SK_SL_SM_EUlSZ_E_NS1_11comp_targetILNS1_3genE5ELNS1_11target_archE942ELNS1_3gpuE9ELNS1_3repE0EEENS1_48merge_mergepath_partition_config_static_selectorELNS0_4arch9wavefront6targetE1EEEvSL_,@function
_ZN7rocprim17ROCPRIM_400000_NS6detail17trampoline_kernelINS0_14default_configENS1_38merge_sort_block_merge_config_selectorIxNS0_10empty_typeEEEZZNS1_27merge_sort_block_merge_implIS3_N6thrust23THRUST_200600_302600_NS6detail15normal_iteratorINS9_10device_ptrIxEEEEPS5_jNS1_19radix_merge_compareILb0ELb1ExNS0_19identity_decomposerEEEEE10hipError_tT0_T1_T2_jT3_P12ihipStream_tbPNSt15iterator_traitsISK_E10value_typeEPNSQ_ISL_E10value_typeEPSM_NS1_7vsmem_tEENKUlT_SK_SL_SM_E_clISE_PxSF_SF_EESJ_SZ_SK_SL_SM_EUlSZ_E_NS1_11comp_targetILNS1_3genE5ELNS1_11target_archE942ELNS1_3gpuE9ELNS1_3repE0EEENS1_48merge_mergepath_partition_config_static_selectorELNS0_4arch9wavefront6targetE1EEEvSL_: ; @_ZN7rocprim17ROCPRIM_400000_NS6detail17trampoline_kernelINS0_14default_configENS1_38merge_sort_block_merge_config_selectorIxNS0_10empty_typeEEEZZNS1_27merge_sort_block_merge_implIS3_N6thrust23THRUST_200600_302600_NS6detail15normal_iteratorINS9_10device_ptrIxEEEEPS5_jNS1_19radix_merge_compareILb0ELb1ExNS0_19identity_decomposerEEEEE10hipError_tT0_T1_T2_jT3_P12ihipStream_tbPNSt15iterator_traitsISK_E10value_typeEPNSQ_ISL_E10value_typeEPSM_NS1_7vsmem_tEENKUlT_SK_SL_SM_E_clISE_PxSF_SF_EESJ_SZ_SK_SL_SM_EUlSZ_E_NS1_11comp_targetILNS1_3genE5ELNS1_11target_archE942ELNS1_3gpuE9ELNS1_3repE0EEENS1_48merge_mergepath_partition_config_static_selectorELNS0_4arch9wavefront6targetE1EEEvSL_
; %bb.0:
	s_load_dword s3, s[0:1], 0x0
	v_lshl_or_b32 v0, s2, 7, v0
	s_waitcnt lgkmcnt(0)
	v_cmp_gt_u32_e32 vcc, s3, v0
	s_and_saveexec_b64 s[2:3], vcc
	s_cbranch_execz .LBB1493_6
; %bb.1:
	s_load_dwordx2 s[2:3], s[0:1], 0x4
	s_load_dwordx4 s[4:7], s[0:1], 0x18
	s_waitcnt lgkmcnt(0)
	s_lshr_b32 s8, s2, 9
	s_and_b32 s8, s8, 0x7ffffe
	s_add_i32 s9, s8, -1
	s_sub_i32 s8, 0, s8
	v_and_b32_e32 v1, s8, v0
	v_lshlrev_b32_e32 v1, 10, v1
	v_min_u32_e32 v2, s3, v1
	v_add_u32_e32 v1, s2, v1
	v_min_u32_e32 v4, s3, v1
	v_add_u32_e32 v1, s2, v4
	v_and_b32_e32 v3, s9, v0
	v_min_u32_e32 v1, s3, v1
	v_sub_u32_e32 v5, v1, v2
	v_lshlrev_b32_e32 v3, 10, v3
	v_min_u32_e32 v10, v5, v3
	v_sub_u32_e32 v3, v4, v2
	v_sub_u32_e32 v1, v1, v4
	v_sub_u32_e64 v1, v10, v1 clamp
	v_min_u32_e32 v11, v10, v3
	v_cmp_lt_u32_e32 vcc, v1, v11
	s_and_saveexec_b64 s[2:3], vcc
	s_cbranch_execz .LBB1493_5
; %bb.2:
	s_load_dwordx2 s[0:1], s[0:1], 0x10
	v_mov_b32_e32 v5, 0
	v_mov_b32_e32 v3, v5
	s_waitcnt lgkmcnt(0)
	v_lshl_add_u64 v[6:7], v[2:3], 3, s[0:1]
	v_lshl_add_u64 v[8:9], v[4:5], 3, s[0:1]
	s_mov_b64 s[0:1], 0
.LBB1493_3:                             ; =>This Inner Loop Header: Depth=1
	v_add_u32_e32 v3, v11, v1
	v_lshrrev_b32_e32 v4, 1, v3
	v_mov_b32_e32 v13, v5
	v_xad_u32 v12, v4, -1, v10
	v_lshl_add_u64 v[14:15], v[4:5], 3, v[6:7]
	v_lshl_add_u64 v[12:13], v[12:13], 3, v[8:9]
	flat_load_dwordx2 v[14:15], v[14:15]
	v_add_u32_e32 v3, 1, v4
	flat_load_dwordx2 v[12:13], v[12:13]
	s_waitcnt vmcnt(0) lgkmcnt(0)
	v_and_b32_e32 v15, s5, v15
	v_and_b32_e32 v14, s4, v14
	v_and_b32_e32 v13, s5, v13
	v_and_b32_e32 v12, s4, v12
	v_cmp_gt_i64_e32 vcc, v[14:15], v[12:13]
	s_nop 1
	v_cndmask_b32_e32 v11, v11, v4, vcc
	v_cndmask_b32_e32 v1, v3, v1, vcc
	v_cmp_ge_u32_e32 vcc, v1, v11
	s_or_b64 s[0:1], vcc, s[0:1]
	s_andn2_b64 exec, exec, s[0:1]
	s_cbranch_execnz .LBB1493_3
; %bb.4:
	s_or_b64 exec, exec, s[0:1]
.LBB1493_5:
	s_or_b64 exec, exec, s[2:3]
	v_mov_b32_e32 v4, s6
	v_mov_b32_e32 v5, s7
	v_add_u32_e32 v2, v1, v2
	v_mov_b32_e32 v1, 0
	v_lshl_add_u64 v[0:1], v[0:1], 2, v[4:5]
	global_store_dword v[0:1], v2, off
.LBB1493_6:
	s_endpgm
	.section	.rodata,"a",@progbits
	.p2align	6, 0x0
	.amdhsa_kernel _ZN7rocprim17ROCPRIM_400000_NS6detail17trampoline_kernelINS0_14default_configENS1_38merge_sort_block_merge_config_selectorIxNS0_10empty_typeEEEZZNS1_27merge_sort_block_merge_implIS3_N6thrust23THRUST_200600_302600_NS6detail15normal_iteratorINS9_10device_ptrIxEEEEPS5_jNS1_19radix_merge_compareILb0ELb1ExNS0_19identity_decomposerEEEEE10hipError_tT0_T1_T2_jT3_P12ihipStream_tbPNSt15iterator_traitsISK_E10value_typeEPNSQ_ISL_E10value_typeEPSM_NS1_7vsmem_tEENKUlT_SK_SL_SM_E_clISE_PxSF_SF_EESJ_SZ_SK_SL_SM_EUlSZ_E_NS1_11comp_targetILNS1_3genE5ELNS1_11target_archE942ELNS1_3gpuE9ELNS1_3repE0EEENS1_48merge_mergepath_partition_config_static_selectorELNS0_4arch9wavefront6targetE1EEEvSL_
		.amdhsa_group_segment_fixed_size 0
		.amdhsa_private_segment_fixed_size 0
		.amdhsa_kernarg_size 40
		.amdhsa_user_sgpr_count 2
		.amdhsa_user_sgpr_dispatch_ptr 0
		.amdhsa_user_sgpr_queue_ptr 0
		.amdhsa_user_sgpr_kernarg_segment_ptr 1
		.amdhsa_user_sgpr_dispatch_id 0
		.amdhsa_user_sgpr_kernarg_preload_length 0
		.amdhsa_user_sgpr_kernarg_preload_offset 0
		.amdhsa_user_sgpr_private_segment_size 0
		.amdhsa_uses_dynamic_stack 0
		.amdhsa_enable_private_segment 0
		.amdhsa_system_sgpr_workgroup_id_x 1
		.amdhsa_system_sgpr_workgroup_id_y 0
		.amdhsa_system_sgpr_workgroup_id_z 0
		.amdhsa_system_sgpr_workgroup_info 0
		.amdhsa_system_vgpr_workitem_id 0
		.amdhsa_next_free_vgpr 16
		.amdhsa_next_free_sgpr 10
		.amdhsa_accum_offset 16
		.amdhsa_reserve_vcc 1
		.amdhsa_float_round_mode_32 0
		.amdhsa_float_round_mode_16_64 0
		.amdhsa_float_denorm_mode_32 3
		.amdhsa_float_denorm_mode_16_64 3
		.amdhsa_dx10_clamp 1
		.amdhsa_ieee_mode 1
		.amdhsa_fp16_overflow 0
		.amdhsa_tg_split 0
		.amdhsa_exception_fp_ieee_invalid_op 0
		.amdhsa_exception_fp_denorm_src 0
		.amdhsa_exception_fp_ieee_div_zero 0
		.amdhsa_exception_fp_ieee_overflow 0
		.amdhsa_exception_fp_ieee_underflow 0
		.amdhsa_exception_fp_ieee_inexact 0
		.amdhsa_exception_int_div_zero 0
	.end_amdhsa_kernel
	.section	.text._ZN7rocprim17ROCPRIM_400000_NS6detail17trampoline_kernelINS0_14default_configENS1_38merge_sort_block_merge_config_selectorIxNS0_10empty_typeEEEZZNS1_27merge_sort_block_merge_implIS3_N6thrust23THRUST_200600_302600_NS6detail15normal_iteratorINS9_10device_ptrIxEEEEPS5_jNS1_19radix_merge_compareILb0ELb1ExNS0_19identity_decomposerEEEEE10hipError_tT0_T1_T2_jT3_P12ihipStream_tbPNSt15iterator_traitsISK_E10value_typeEPNSQ_ISL_E10value_typeEPSM_NS1_7vsmem_tEENKUlT_SK_SL_SM_E_clISE_PxSF_SF_EESJ_SZ_SK_SL_SM_EUlSZ_E_NS1_11comp_targetILNS1_3genE5ELNS1_11target_archE942ELNS1_3gpuE9ELNS1_3repE0EEENS1_48merge_mergepath_partition_config_static_selectorELNS0_4arch9wavefront6targetE1EEEvSL_,"axG",@progbits,_ZN7rocprim17ROCPRIM_400000_NS6detail17trampoline_kernelINS0_14default_configENS1_38merge_sort_block_merge_config_selectorIxNS0_10empty_typeEEEZZNS1_27merge_sort_block_merge_implIS3_N6thrust23THRUST_200600_302600_NS6detail15normal_iteratorINS9_10device_ptrIxEEEEPS5_jNS1_19radix_merge_compareILb0ELb1ExNS0_19identity_decomposerEEEEE10hipError_tT0_T1_T2_jT3_P12ihipStream_tbPNSt15iterator_traitsISK_E10value_typeEPNSQ_ISL_E10value_typeEPSM_NS1_7vsmem_tEENKUlT_SK_SL_SM_E_clISE_PxSF_SF_EESJ_SZ_SK_SL_SM_EUlSZ_E_NS1_11comp_targetILNS1_3genE5ELNS1_11target_archE942ELNS1_3gpuE9ELNS1_3repE0EEENS1_48merge_mergepath_partition_config_static_selectorELNS0_4arch9wavefront6targetE1EEEvSL_,comdat
.Lfunc_end1493:
	.size	_ZN7rocprim17ROCPRIM_400000_NS6detail17trampoline_kernelINS0_14default_configENS1_38merge_sort_block_merge_config_selectorIxNS0_10empty_typeEEEZZNS1_27merge_sort_block_merge_implIS3_N6thrust23THRUST_200600_302600_NS6detail15normal_iteratorINS9_10device_ptrIxEEEEPS5_jNS1_19radix_merge_compareILb0ELb1ExNS0_19identity_decomposerEEEEE10hipError_tT0_T1_T2_jT3_P12ihipStream_tbPNSt15iterator_traitsISK_E10value_typeEPNSQ_ISL_E10value_typeEPSM_NS1_7vsmem_tEENKUlT_SK_SL_SM_E_clISE_PxSF_SF_EESJ_SZ_SK_SL_SM_EUlSZ_E_NS1_11comp_targetILNS1_3genE5ELNS1_11target_archE942ELNS1_3gpuE9ELNS1_3repE0EEENS1_48merge_mergepath_partition_config_static_selectorELNS0_4arch9wavefront6targetE1EEEvSL_, .Lfunc_end1493-_ZN7rocprim17ROCPRIM_400000_NS6detail17trampoline_kernelINS0_14default_configENS1_38merge_sort_block_merge_config_selectorIxNS0_10empty_typeEEEZZNS1_27merge_sort_block_merge_implIS3_N6thrust23THRUST_200600_302600_NS6detail15normal_iteratorINS9_10device_ptrIxEEEEPS5_jNS1_19radix_merge_compareILb0ELb1ExNS0_19identity_decomposerEEEEE10hipError_tT0_T1_T2_jT3_P12ihipStream_tbPNSt15iterator_traitsISK_E10value_typeEPNSQ_ISL_E10value_typeEPSM_NS1_7vsmem_tEENKUlT_SK_SL_SM_E_clISE_PxSF_SF_EESJ_SZ_SK_SL_SM_EUlSZ_E_NS1_11comp_targetILNS1_3genE5ELNS1_11target_archE942ELNS1_3gpuE9ELNS1_3repE0EEENS1_48merge_mergepath_partition_config_static_selectorELNS0_4arch9wavefront6targetE1EEEvSL_
                                        ; -- End function
	.section	.AMDGPU.csdata,"",@progbits
; Kernel info:
; codeLenInByte = 340
; NumSgprs: 16
; NumVgprs: 16
; NumAgprs: 0
; TotalNumVgprs: 16
; ScratchSize: 0
; MemoryBound: 0
; FloatMode: 240
; IeeeMode: 1
; LDSByteSize: 0 bytes/workgroup (compile time only)
; SGPRBlocks: 1
; VGPRBlocks: 1
; NumSGPRsForWavesPerEU: 16
; NumVGPRsForWavesPerEU: 16
; AccumOffset: 16
; Occupancy: 8
; WaveLimiterHint : 0
; COMPUTE_PGM_RSRC2:SCRATCH_EN: 0
; COMPUTE_PGM_RSRC2:USER_SGPR: 2
; COMPUTE_PGM_RSRC2:TRAP_HANDLER: 0
; COMPUTE_PGM_RSRC2:TGID_X_EN: 1
; COMPUTE_PGM_RSRC2:TGID_Y_EN: 0
; COMPUTE_PGM_RSRC2:TGID_Z_EN: 0
; COMPUTE_PGM_RSRC2:TIDIG_COMP_CNT: 0
; COMPUTE_PGM_RSRC3_GFX90A:ACCUM_OFFSET: 3
; COMPUTE_PGM_RSRC3_GFX90A:TG_SPLIT: 0
	.section	.text._ZN7rocprim17ROCPRIM_400000_NS6detail17trampoline_kernelINS0_14default_configENS1_38merge_sort_block_merge_config_selectorIxNS0_10empty_typeEEEZZNS1_27merge_sort_block_merge_implIS3_N6thrust23THRUST_200600_302600_NS6detail15normal_iteratorINS9_10device_ptrIxEEEEPS5_jNS1_19radix_merge_compareILb0ELb1ExNS0_19identity_decomposerEEEEE10hipError_tT0_T1_T2_jT3_P12ihipStream_tbPNSt15iterator_traitsISK_E10value_typeEPNSQ_ISL_E10value_typeEPSM_NS1_7vsmem_tEENKUlT_SK_SL_SM_E_clISE_PxSF_SF_EESJ_SZ_SK_SL_SM_EUlSZ_E_NS1_11comp_targetILNS1_3genE4ELNS1_11target_archE910ELNS1_3gpuE8ELNS1_3repE0EEENS1_48merge_mergepath_partition_config_static_selectorELNS0_4arch9wavefront6targetE1EEEvSL_,"axG",@progbits,_ZN7rocprim17ROCPRIM_400000_NS6detail17trampoline_kernelINS0_14default_configENS1_38merge_sort_block_merge_config_selectorIxNS0_10empty_typeEEEZZNS1_27merge_sort_block_merge_implIS3_N6thrust23THRUST_200600_302600_NS6detail15normal_iteratorINS9_10device_ptrIxEEEEPS5_jNS1_19radix_merge_compareILb0ELb1ExNS0_19identity_decomposerEEEEE10hipError_tT0_T1_T2_jT3_P12ihipStream_tbPNSt15iterator_traitsISK_E10value_typeEPNSQ_ISL_E10value_typeEPSM_NS1_7vsmem_tEENKUlT_SK_SL_SM_E_clISE_PxSF_SF_EESJ_SZ_SK_SL_SM_EUlSZ_E_NS1_11comp_targetILNS1_3genE4ELNS1_11target_archE910ELNS1_3gpuE8ELNS1_3repE0EEENS1_48merge_mergepath_partition_config_static_selectorELNS0_4arch9wavefront6targetE1EEEvSL_,comdat
	.protected	_ZN7rocprim17ROCPRIM_400000_NS6detail17trampoline_kernelINS0_14default_configENS1_38merge_sort_block_merge_config_selectorIxNS0_10empty_typeEEEZZNS1_27merge_sort_block_merge_implIS3_N6thrust23THRUST_200600_302600_NS6detail15normal_iteratorINS9_10device_ptrIxEEEEPS5_jNS1_19radix_merge_compareILb0ELb1ExNS0_19identity_decomposerEEEEE10hipError_tT0_T1_T2_jT3_P12ihipStream_tbPNSt15iterator_traitsISK_E10value_typeEPNSQ_ISL_E10value_typeEPSM_NS1_7vsmem_tEENKUlT_SK_SL_SM_E_clISE_PxSF_SF_EESJ_SZ_SK_SL_SM_EUlSZ_E_NS1_11comp_targetILNS1_3genE4ELNS1_11target_archE910ELNS1_3gpuE8ELNS1_3repE0EEENS1_48merge_mergepath_partition_config_static_selectorELNS0_4arch9wavefront6targetE1EEEvSL_ ; -- Begin function _ZN7rocprim17ROCPRIM_400000_NS6detail17trampoline_kernelINS0_14default_configENS1_38merge_sort_block_merge_config_selectorIxNS0_10empty_typeEEEZZNS1_27merge_sort_block_merge_implIS3_N6thrust23THRUST_200600_302600_NS6detail15normal_iteratorINS9_10device_ptrIxEEEEPS5_jNS1_19radix_merge_compareILb0ELb1ExNS0_19identity_decomposerEEEEE10hipError_tT0_T1_T2_jT3_P12ihipStream_tbPNSt15iterator_traitsISK_E10value_typeEPNSQ_ISL_E10value_typeEPSM_NS1_7vsmem_tEENKUlT_SK_SL_SM_E_clISE_PxSF_SF_EESJ_SZ_SK_SL_SM_EUlSZ_E_NS1_11comp_targetILNS1_3genE4ELNS1_11target_archE910ELNS1_3gpuE8ELNS1_3repE0EEENS1_48merge_mergepath_partition_config_static_selectorELNS0_4arch9wavefront6targetE1EEEvSL_
	.globl	_ZN7rocprim17ROCPRIM_400000_NS6detail17trampoline_kernelINS0_14default_configENS1_38merge_sort_block_merge_config_selectorIxNS0_10empty_typeEEEZZNS1_27merge_sort_block_merge_implIS3_N6thrust23THRUST_200600_302600_NS6detail15normal_iteratorINS9_10device_ptrIxEEEEPS5_jNS1_19radix_merge_compareILb0ELb1ExNS0_19identity_decomposerEEEEE10hipError_tT0_T1_T2_jT3_P12ihipStream_tbPNSt15iterator_traitsISK_E10value_typeEPNSQ_ISL_E10value_typeEPSM_NS1_7vsmem_tEENKUlT_SK_SL_SM_E_clISE_PxSF_SF_EESJ_SZ_SK_SL_SM_EUlSZ_E_NS1_11comp_targetILNS1_3genE4ELNS1_11target_archE910ELNS1_3gpuE8ELNS1_3repE0EEENS1_48merge_mergepath_partition_config_static_selectorELNS0_4arch9wavefront6targetE1EEEvSL_
	.p2align	8
	.type	_ZN7rocprim17ROCPRIM_400000_NS6detail17trampoline_kernelINS0_14default_configENS1_38merge_sort_block_merge_config_selectorIxNS0_10empty_typeEEEZZNS1_27merge_sort_block_merge_implIS3_N6thrust23THRUST_200600_302600_NS6detail15normal_iteratorINS9_10device_ptrIxEEEEPS5_jNS1_19radix_merge_compareILb0ELb1ExNS0_19identity_decomposerEEEEE10hipError_tT0_T1_T2_jT3_P12ihipStream_tbPNSt15iterator_traitsISK_E10value_typeEPNSQ_ISL_E10value_typeEPSM_NS1_7vsmem_tEENKUlT_SK_SL_SM_E_clISE_PxSF_SF_EESJ_SZ_SK_SL_SM_EUlSZ_E_NS1_11comp_targetILNS1_3genE4ELNS1_11target_archE910ELNS1_3gpuE8ELNS1_3repE0EEENS1_48merge_mergepath_partition_config_static_selectorELNS0_4arch9wavefront6targetE1EEEvSL_,@function
_ZN7rocprim17ROCPRIM_400000_NS6detail17trampoline_kernelINS0_14default_configENS1_38merge_sort_block_merge_config_selectorIxNS0_10empty_typeEEEZZNS1_27merge_sort_block_merge_implIS3_N6thrust23THRUST_200600_302600_NS6detail15normal_iteratorINS9_10device_ptrIxEEEEPS5_jNS1_19radix_merge_compareILb0ELb1ExNS0_19identity_decomposerEEEEE10hipError_tT0_T1_T2_jT3_P12ihipStream_tbPNSt15iterator_traitsISK_E10value_typeEPNSQ_ISL_E10value_typeEPSM_NS1_7vsmem_tEENKUlT_SK_SL_SM_E_clISE_PxSF_SF_EESJ_SZ_SK_SL_SM_EUlSZ_E_NS1_11comp_targetILNS1_3genE4ELNS1_11target_archE910ELNS1_3gpuE8ELNS1_3repE0EEENS1_48merge_mergepath_partition_config_static_selectorELNS0_4arch9wavefront6targetE1EEEvSL_: ; @_ZN7rocprim17ROCPRIM_400000_NS6detail17trampoline_kernelINS0_14default_configENS1_38merge_sort_block_merge_config_selectorIxNS0_10empty_typeEEEZZNS1_27merge_sort_block_merge_implIS3_N6thrust23THRUST_200600_302600_NS6detail15normal_iteratorINS9_10device_ptrIxEEEEPS5_jNS1_19radix_merge_compareILb0ELb1ExNS0_19identity_decomposerEEEEE10hipError_tT0_T1_T2_jT3_P12ihipStream_tbPNSt15iterator_traitsISK_E10value_typeEPNSQ_ISL_E10value_typeEPSM_NS1_7vsmem_tEENKUlT_SK_SL_SM_E_clISE_PxSF_SF_EESJ_SZ_SK_SL_SM_EUlSZ_E_NS1_11comp_targetILNS1_3genE4ELNS1_11target_archE910ELNS1_3gpuE8ELNS1_3repE0EEENS1_48merge_mergepath_partition_config_static_selectorELNS0_4arch9wavefront6targetE1EEEvSL_
; %bb.0:
	.section	.rodata,"a",@progbits
	.p2align	6, 0x0
	.amdhsa_kernel _ZN7rocprim17ROCPRIM_400000_NS6detail17trampoline_kernelINS0_14default_configENS1_38merge_sort_block_merge_config_selectorIxNS0_10empty_typeEEEZZNS1_27merge_sort_block_merge_implIS3_N6thrust23THRUST_200600_302600_NS6detail15normal_iteratorINS9_10device_ptrIxEEEEPS5_jNS1_19radix_merge_compareILb0ELb1ExNS0_19identity_decomposerEEEEE10hipError_tT0_T1_T2_jT3_P12ihipStream_tbPNSt15iterator_traitsISK_E10value_typeEPNSQ_ISL_E10value_typeEPSM_NS1_7vsmem_tEENKUlT_SK_SL_SM_E_clISE_PxSF_SF_EESJ_SZ_SK_SL_SM_EUlSZ_E_NS1_11comp_targetILNS1_3genE4ELNS1_11target_archE910ELNS1_3gpuE8ELNS1_3repE0EEENS1_48merge_mergepath_partition_config_static_selectorELNS0_4arch9wavefront6targetE1EEEvSL_
		.amdhsa_group_segment_fixed_size 0
		.amdhsa_private_segment_fixed_size 0
		.amdhsa_kernarg_size 40
		.amdhsa_user_sgpr_count 2
		.amdhsa_user_sgpr_dispatch_ptr 0
		.amdhsa_user_sgpr_queue_ptr 0
		.amdhsa_user_sgpr_kernarg_segment_ptr 1
		.amdhsa_user_sgpr_dispatch_id 0
		.amdhsa_user_sgpr_kernarg_preload_length 0
		.amdhsa_user_sgpr_kernarg_preload_offset 0
		.amdhsa_user_sgpr_private_segment_size 0
		.amdhsa_uses_dynamic_stack 0
		.amdhsa_enable_private_segment 0
		.amdhsa_system_sgpr_workgroup_id_x 1
		.amdhsa_system_sgpr_workgroup_id_y 0
		.amdhsa_system_sgpr_workgroup_id_z 0
		.amdhsa_system_sgpr_workgroup_info 0
		.amdhsa_system_vgpr_workitem_id 0
		.amdhsa_next_free_vgpr 1
		.amdhsa_next_free_sgpr 0
		.amdhsa_accum_offset 4
		.amdhsa_reserve_vcc 0
		.amdhsa_float_round_mode_32 0
		.amdhsa_float_round_mode_16_64 0
		.amdhsa_float_denorm_mode_32 3
		.amdhsa_float_denorm_mode_16_64 3
		.amdhsa_dx10_clamp 1
		.amdhsa_ieee_mode 1
		.amdhsa_fp16_overflow 0
		.amdhsa_tg_split 0
		.amdhsa_exception_fp_ieee_invalid_op 0
		.amdhsa_exception_fp_denorm_src 0
		.amdhsa_exception_fp_ieee_div_zero 0
		.amdhsa_exception_fp_ieee_overflow 0
		.amdhsa_exception_fp_ieee_underflow 0
		.amdhsa_exception_fp_ieee_inexact 0
		.amdhsa_exception_int_div_zero 0
	.end_amdhsa_kernel
	.section	.text._ZN7rocprim17ROCPRIM_400000_NS6detail17trampoline_kernelINS0_14default_configENS1_38merge_sort_block_merge_config_selectorIxNS0_10empty_typeEEEZZNS1_27merge_sort_block_merge_implIS3_N6thrust23THRUST_200600_302600_NS6detail15normal_iteratorINS9_10device_ptrIxEEEEPS5_jNS1_19radix_merge_compareILb0ELb1ExNS0_19identity_decomposerEEEEE10hipError_tT0_T1_T2_jT3_P12ihipStream_tbPNSt15iterator_traitsISK_E10value_typeEPNSQ_ISL_E10value_typeEPSM_NS1_7vsmem_tEENKUlT_SK_SL_SM_E_clISE_PxSF_SF_EESJ_SZ_SK_SL_SM_EUlSZ_E_NS1_11comp_targetILNS1_3genE4ELNS1_11target_archE910ELNS1_3gpuE8ELNS1_3repE0EEENS1_48merge_mergepath_partition_config_static_selectorELNS0_4arch9wavefront6targetE1EEEvSL_,"axG",@progbits,_ZN7rocprim17ROCPRIM_400000_NS6detail17trampoline_kernelINS0_14default_configENS1_38merge_sort_block_merge_config_selectorIxNS0_10empty_typeEEEZZNS1_27merge_sort_block_merge_implIS3_N6thrust23THRUST_200600_302600_NS6detail15normal_iteratorINS9_10device_ptrIxEEEEPS5_jNS1_19radix_merge_compareILb0ELb1ExNS0_19identity_decomposerEEEEE10hipError_tT0_T1_T2_jT3_P12ihipStream_tbPNSt15iterator_traitsISK_E10value_typeEPNSQ_ISL_E10value_typeEPSM_NS1_7vsmem_tEENKUlT_SK_SL_SM_E_clISE_PxSF_SF_EESJ_SZ_SK_SL_SM_EUlSZ_E_NS1_11comp_targetILNS1_3genE4ELNS1_11target_archE910ELNS1_3gpuE8ELNS1_3repE0EEENS1_48merge_mergepath_partition_config_static_selectorELNS0_4arch9wavefront6targetE1EEEvSL_,comdat
.Lfunc_end1494:
	.size	_ZN7rocprim17ROCPRIM_400000_NS6detail17trampoline_kernelINS0_14default_configENS1_38merge_sort_block_merge_config_selectorIxNS0_10empty_typeEEEZZNS1_27merge_sort_block_merge_implIS3_N6thrust23THRUST_200600_302600_NS6detail15normal_iteratorINS9_10device_ptrIxEEEEPS5_jNS1_19radix_merge_compareILb0ELb1ExNS0_19identity_decomposerEEEEE10hipError_tT0_T1_T2_jT3_P12ihipStream_tbPNSt15iterator_traitsISK_E10value_typeEPNSQ_ISL_E10value_typeEPSM_NS1_7vsmem_tEENKUlT_SK_SL_SM_E_clISE_PxSF_SF_EESJ_SZ_SK_SL_SM_EUlSZ_E_NS1_11comp_targetILNS1_3genE4ELNS1_11target_archE910ELNS1_3gpuE8ELNS1_3repE0EEENS1_48merge_mergepath_partition_config_static_selectorELNS0_4arch9wavefront6targetE1EEEvSL_, .Lfunc_end1494-_ZN7rocprim17ROCPRIM_400000_NS6detail17trampoline_kernelINS0_14default_configENS1_38merge_sort_block_merge_config_selectorIxNS0_10empty_typeEEEZZNS1_27merge_sort_block_merge_implIS3_N6thrust23THRUST_200600_302600_NS6detail15normal_iteratorINS9_10device_ptrIxEEEEPS5_jNS1_19radix_merge_compareILb0ELb1ExNS0_19identity_decomposerEEEEE10hipError_tT0_T1_T2_jT3_P12ihipStream_tbPNSt15iterator_traitsISK_E10value_typeEPNSQ_ISL_E10value_typeEPSM_NS1_7vsmem_tEENKUlT_SK_SL_SM_E_clISE_PxSF_SF_EESJ_SZ_SK_SL_SM_EUlSZ_E_NS1_11comp_targetILNS1_3genE4ELNS1_11target_archE910ELNS1_3gpuE8ELNS1_3repE0EEENS1_48merge_mergepath_partition_config_static_selectorELNS0_4arch9wavefront6targetE1EEEvSL_
                                        ; -- End function
	.section	.AMDGPU.csdata,"",@progbits
; Kernel info:
; codeLenInByte = 0
; NumSgprs: 6
; NumVgprs: 0
; NumAgprs: 0
; TotalNumVgprs: 0
; ScratchSize: 0
; MemoryBound: 0
; FloatMode: 240
; IeeeMode: 1
; LDSByteSize: 0 bytes/workgroup (compile time only)
; SGPRBlocks: 0
; VGPRBlocks: 0
; NumSGPRsForWavesPerEU: 6
; NumVGPRsForWavesPerEU: 1
; AccumOffset: 4
; Occupancy: 8
; WaveLimiterHint : 0
; COMPUTE_PGM_RSRC2:SCRATCH_EN: 0
; COMPUTE_PGM_RSRC2:USER_SGPR: 2
; COMPUTE_PGM_RSRC2:TRAP_HANDLER: 0
; COMPUTE_PGM_RSRC2:TGID_X_EN: 1
; COMPUTE_PGM_RSRC2:TGID_Y_EN: 0
; COMPUTE_PGM_RSRC2:TGID_Z_EN: 0
; COMPUTE_PGM_RSRC2:TIDIG_COMP_CNT: 0
; COMPUTE_PGM_RSRC3_GFX90A:ACCUM_OFFSET: 0
; COMPUTE_PGM_RSRC3_GFX90A:TG_SPLIT: 0
	.section	.text._ZN7rocprim17ROCPRIM_400000_NS6detail17trampoline_kernelINS0_14default_configENS1_38merge_sort_block_merge_config_selectorIxNS0_10empty_typeEEEZZNS1_27merge_sort_block_merge_implIS3_N6thrust23THRUST_200600_302600_NS6detail15normal_iteratorINS9_10device_ptrIxEEEEPS5_jNS1_19radix_merge_compareILb0ELb1ExNS0_19identity_decomposerEEEEE10hipError_tT0_T1_T2_jT3_P12ihipStream_tbPNSt15iterator_traitsISK_E10value_typeEPNSQ_ISL_E10value_typeEPSM_NS1_7vsmem_tEENKUlT_SK_SL_SM_E_clISE_PxSF_SF_EESJ_SZ_SK_SL_SM_EUlSZ_E_NS1_11comp_targetILNS1_3genE3ELNS1_11target_archE908ELNS1_3gpuE7ELNS1_3repE0EEENS1_48merge_mergepath_partition_config_static_selectorELNS0_4arch9wavefront6targetE1EEEvSL_,"axG",@progbits,_ZN7rocprim17ROCPRIM_400000_NS6detail17trampoline_kernelINS0_14default_configENS1_38merge_sort_block_merge_config_selectorIxNS0_10empty_typeEEEZZNS1_27merge_sort_block_merge_implIS3_N6thrust23THRUST_200600_302600_NS6detail15normal_iteratorINS9_10device_ptrIxEEEEPS5_jNS1_19radix_merge_compareILb0ELb1ExNS0_19identity_decomposerEEEEE10hipError_tT0_T1_T2_jT3_P12ihipStream_tbPNSt15iterator_traitsISK_E10value_typeEPNSQ_ISL_E10value_typeEPSM_NS1_7vsmem_tEENKUlT_SK_SL_SM_E_clISE_PxSF_SF_EESJ_SZ_SK_SL_SM_EUlSZ_E_NS1_11comp_targetILNS1_3genE3ELNS1_11target_archE908ELNS1_3gpuE7ELNS1_3repE0EEENS1_48merge_mergepath_partition_config_static_selectorELNS0_4arch9wavefront6targetE1EEEvSL_,comdat
	.protected	_ZN7rocprim17ROCPRIM_400000_NS6detail17trampoline_kernelINS0_14default_configENS1_38merge_sort_block_merge_config_selectorIxNS0_10empty_typeEEEZZNS1_27merge_sort_block_merge_implIS3_N6thrust23THRUST_200600_302600_NS6detail15normal_iteratorINS9_10device_ptrIxEEEEPS5_jNS1_19radix_merge_compareILb0ELb1ExNS0_19identity_decomposerEEEEE10hipError_tT0_T1_T2_jT3_P12ihipStream_tbPNSt15iterator_traitsISK_E10value_typeEPNSQ_ISL_E10value_typeEPSM_NS1_7vsmem_tEENKUlT_SK_SL_SM_E_clISE_PxSF_SF_EESJ_SZ_SK_SL_SM_EUlSZ_E_NS1_11comp_targetILNS1_3genE3ELNS1_11target_archE908ELNS1_3gpuE7ELNS1_3repE0EEENS1_48merge_mergepath_partition_config_static_selectorELNS0_4arch9wavefront6targetE1EEEvSL_ ; -- Begin function _ZN7rocprim17ROCPRIM_400000_NS6detail17trampoline_kernelINS0_14default_configENS1_38merge_sort_block_merge_config_selectorIxNS0_10empty_typeEEEZZNS1_27merge_sort_block_merge_implIS3_N6thrust23THRUST_200600_302600_NS6detail15normal_iteratorINS9_10device_ptrIxEEEEPS5_jNS1_19radix_merge_compareILb0ELb1ExNS0_19identity_decomposerEEEEE10hipError_tT0_T1_T2_jT3_P12ihipStream_tbPNSt15iterator_traitsISK_E10value_typeEPNSQ_ISL_E10value_typeEPSM_NS1_7vsmem_tEENKUlT_SK_SL_SM_E_clISE_PxSF_SF_EESJ_SZ_SK_SL_SM_EUlSZ_E_NS1_11comp_targetILNS1_3genE3ELNS1_11target_archE908ELNS1_3gpuE7ELNS1_3repE0EEENS1_48merge_mergepath_partition_config_static_selectorELNS0_4arch9wavefront6targetE1EEEvSL_
	.globl	_ZN7rocprim17ROCPRIM_400000_NS6detail17trampoline_kernelINS0_14default_configENS1_38merge_sort_block_merge_config_selectorIxNS0_10empty_typeEEEZZNS1_27merge_sort_block_merge_implIS3_N6thrust23THRUST_200600_302600_NS6detail15normal_iteratorINS9_10device_ptrIxEEEEPS5_jNS1_19radix_merge_compareILb0ELb1ExNS0_19identity_decomposerEEEEE10hipError_tT0_T1_T2_jT3_P12ihipStream_tbPNSt15iterator_traitsISK_E10value_typeEPNSQ_ISL_E10value_typeEPSM_NS1_7vsmem_tEENKUlT_SK_SL_SM_E_clISE_PxSF_SF_EESJ_SZ_SK_SL_SM_EUlSZ_E_NS1_11comp_targetILNS1_3genE3ELNS1_11target_archE908ELNS1_3gpuE7ELNS1_3repE0EEENS1_48merge_mergepath_partition_config_static_selectorELNS0_4arch9wavefront6targetE1EEEvSL_
	.p2align	8
	.type	_ZN7rocprim17ROCPRIM_400000_NS6detail17trampoline_kernelINS0_14default_configENS1_38merge_sort_block_merge_config_selectorIxNS0_10empty_typeEEEZZNS1_27merge_sort_block_merge_implIS3_N6thrust23THRUST_200600_302600_NS6detail15normal_iteratorINS9_10device_ptrIxEEEEPS5_jNS1_19radix_merge_compareILb0ELb1ExNS0_19identity_decomposerEEEEE10hipError_tT0_T1_T2_jT3_P12ihipStream_tbPNSt15iterator_traitsISK_E10value_typeEPNSQ_ISL_E10value_typeEPSM_NS1_7vsmem_tEENKUlT_SK_SL_SM_E_clISE_PxSF_SF_EESJ_SZ_SK_SL_SM_EUlSZ_E_NS1_11comp_targetILNS1_3genE3ELNS1_11target_archE908ELNS1_3gpuE7ELNS1_3repE0EEENS1_48merge_mergepath_partition_config_static_selectorELNS0_4arch9wavefront6targetE1EEEvSL_,@function
_ZN7rocprim17ROCPRIM_400000_NS6detail17trampoline_kernelINS0_14default_configENS1_38merge_sort_block_merge_config_selectorIxNS0_10empty_typeEEEZZNS1_27merge_sort_block_merge_implIS3_N6thrust23THRUST_200600_302600_NS6detail15normal_iteratorINS9_10device_ptrIxEEEEPS5_jNS1_19radix_merge_compareILb0ELb1ExNS0_19identity_decomposerEEEEE10hipError_tT0_T1_T2_jT3_P12ihipStream_tbPNSt15iterator_traitsISK_E10value_typeEPNSQ_ISL_E10value_typeEPSM_NS1_7vsmem_tEENKUlT_SK_SL_SM_E_clISE_PxSF_SF_EESJ_SZ_SK_SL_SM_EUlSZ_E_NS1_11comp_targetILNS1_3genE3ELNS1_11target_archE908ELNS1_3gpuE7ELNS1_3repE0EEENS1_48merge_mergepath_partition_config_static_selectorELNS0_4arch9wavefront6targetE1EEEvSL_: ; @_ZN7rocprim17ROCPRIM_400000_NS6detail17trampoline_kernelINS0_14default_configENS1_38merge_sort_block_merge_config_selectorIxNS0_10empty_typeEEEZZNS1_27merge_sort_block_merge_implIS3_N6thrust23THRUST_200600_302600_NS6detail15normal_iteratorINS9_10device_ptrIxEEEEPS5_jNS1_19radix_merge_compareILb0ELb1ExNS0_19identity_decomposerEEEEE10hipError_tT0_T1_T2_jT3_P12ihipStream_tbPNSt15iterator_traitsISK_E10value_typeEPNSQ_ISL_E10value_typeEPSM_NS1_7vsmem_tEENKUlT_SK_SL_SM_E_clISE_PxSF_SF_EESJ_SZ_SK_SL_SM_EUlSZ_E_NS1_11comp_targetILNS1_3genE3ELNS1_11target_archE908ELNS1_3gpuE7ELNS1_3repE0EEENS1_48merge_mergepath_partition_config_static_selectorELNS0_4arch9wavefront6targetE1EEEvSL_
; %bb.0:
	.section	.rodata,"a",@progbits
	.p2align	6, 0x0
	.amdhsa_kernel _ZN7rocprim17ROCPRIM_400000_NS6detail17trampoline_kernelINS0_14default_configENS1_38merge_sort_block_merge_config_selectorIxNS0_10empty_typeEEEZZNS1_27merge_sort_block_merge_implIS3_N6thrust23THRUST_200600_302600_NS6detail15normal_iteratorINS9_10device_ptrIxEEEEPS5_jNS1_19radix_merge_compareILb0ELb1ExNS0_19identity_decomposerEEEEE10hipError_tT0_T1_T2_jT3_P12ihipStream_tbPNSt15iterator_traitsISK_E10value_typeEPNSQ_ISL_E10value_typeEPSM_NS1_7vsmem_tEENKUlT_SK_SL_SM_E_clISE_PxSF_SF_EESJ_SZ_SK_SL_SM_EUlSZ_E_NS1_11comp_targetILNS1_3genE3ELNS1_11target_archE908ELNS1_3gpuE7ELNS1_3repE0EEENS1_48merge_mergepath_partition_config_static_selectorELNS0_4arch9wavefront6targetE1EEEvSL_
		.amdhsa_group_segment_fixed_size 0
		.amdhsa_private_segment_fixed_size 0
		.amdhsa_kernarg_size 40
		.amdhsa_user_sgpr_count 2
		.amdhsa_user_sgpr_dispatch_ptr 0
		.amdhsa_user_sgpr_queue_ptr 0
		.amdhsa_user_sgpr_kernarg_segment_ptr 1
		.amdhsa_user_sgpr_dispatch_id 0
		.amdhsa_user_sgpr_kernarg_preload_length 0
		.amdhsa_user_sgpr_kernarg_preload_offset 0
		.amdhsa_user_sgpr_private_segment_size 0
		.amdhsa_uses_dynamic_stack 0
		.amdhsa_enable_private_segment 0
		.amdhsa_system_sgpr_workgroup_id_x 1
		.amdhsa_system_sgpr_workgroup_id_y 0
		.amdhsa_system_sgpr_workgroup_id_z 0
		.amdhsa_system_sgpr_workgroup_info 0
		.amdhsa_system_vgpr_workitem_id 0
		.amdhsa_next_free_vgpr 1
		.amdhsa_next_free_sgpr 0
		.amdhsa_accum_offset 4
		.amdhsa_reserve_vcc 0
		.amdhsa_float_round_mode_32 0
		.amdhsa_float_round_mode_16_64 0
		.amdhsa_float_denorm_mode_32 3
		.amdhsa_float_denorm_mode_16_64 3
		.amdhsa_dx10_clamp 1
		.amdhsa_ieee_mode 1
		.amdhsa_fp16_overflow 0
		.amdhsa_tg_split 0
		.amdhsa_exception_fp_ieee_invalid_op 0
		.amdhsa_exception_fp_denorm_src 0
		.amdhsa_exception_fp_ieee_div_zero 0
		.amdhsa_exception_fp_ieee_overflow 0
		.amdhsa_exception_fp_ieee_underflow 0
		.amdhsa_exception_fp_ieee_inexact 0
		.amdhsa_exception_int_div_zero 0
	.end_amdhsa_kernel
	.section	.text._ZN7rocprim17ROCPRIM_400000_NS6detail17trampoline_kernelINS0_14default_configENS1_38merge_sort_block_merge_config_selectorIxNS0_10empty_typeEEEZZNS1_27merge_sort_block_merge_implIS3_N6thrust23THRUST_200600_302600_NS6detail15normal_iteratorINS9_10device_ptrIxEEEEPS5_jNS1_19radix_merge_compareILb0ELb1ExNS0_19identity_decomposerEEEEE10hipError_tT0_T1_T2_jT3_P12ihipStream_tbPNSt15iterator_traitsISK_E10value_typeEPNSQ_ISL_E10value_typeEPSM_NS1_7vsmem_tEENKUlT_SK_SL_SM_E_clISE_PxSF_SF_EESJ_SZ_SK_SL_SM_EUlSZ_E_NS1_11comp_targetILNS1_3genE3ELNS1_11target_archE908ELNS1_3gpuE7ELNS1_3repE0EEENS1_48merge_mergepath_partition_config_static_selectorELNS0_4arch9wavefront6targetE1EEEvSL_,"axG",@progbits,_ZN7rocprim17ROCPRIM_400000_NS6detail17trampoline_kernelINS0_14default_configENS1_38merge_sort_block_merge_config_selectorIxNS0_10empty_typeEEEZZNS1_27merge_sort_block_merge_implIS3_N6thrust23THRUST_200600_302600_NS6detail15normal_iteratorINS9_10device_ptrIxEEEEPS5_jNS1_19radix_merge_compareILb0ELb1ExNS0_19identity_decomposerEEEEE10hipError_tT0_T1_T2_jT3_P12ihipStream_tbPNSt15iterator_traitsISK_E10value_typeEPNSQ_ISL_E10value_typeEPSM_NS1_7vsmem_tEENKUlT_SK_SL_SM_E_clISE_PxSF_SF_EESJ_SZ_SK_SL_SM_EUlSZ_E_NS1_11comp_targetILNS1_3genE3ELNS1_11target_archE908ELNS1_3gpuE7ELNS1_3repE0EEENS1_48merge_mergepath_partition_config_static_selectorELNS0_4arch9wavefront6targetE1EEEvSL_,comdat
.Lfunc_end1495:
	.size	_ZN7rocprim17ROCPRIM_400000_NS6detail17trampoline_kernelINS0_14default_configENS1_38merge_sort_block_merge_config_selectorIxNS0_10empty_typeEEEZZNS1_27merge_sort_block_merge_implIS3_N6thrust23THRUST_200600_302600_NS6detail15normal_iteratorINS9_10device_ptrIxEEEEPS5_jNS1_19radix_merge_compareILb0ELb1ExNS0_19identity_decomposerEEEEE10hipError_tT0_T1_T2_jT3_P12ihipStream_tbPNSt15iterator_traitsISK_E10value_typeEPNSQ_ISL_E10value_typeEPSM_NS1_7vsmem_tEENKUlT_SK_SL_SM_E_clISE_PxSF_SF_EESJ_SZ_SK_SL_SM_EUlSZ_E_NS1_11comp_targetILNS1_3genE3ELNS1_11target_archE908ELNS1_3gpuE7ELNS1_3repE0EEENS1_48merge_mergepath_partition_config_static_selectorELNS0_4arch9wavefront6targetE1EEEvSL_, .Lfunc_end1495-_ZN7rocprim17ROCPRIM_400000_NS6detail17trampoline_kernelINS0_14default_configENS1_38merge_sort_block_merge_config_selectorIxNS0_10empty_typeEEEZZNS1_27merge_sort_block_merge_implIS3_N6thrust23THRUST_200600_302600_NS6detail15normal_iteratorINS9_10device_ptrIxEEEEPS5_jNS1_19radix_merge_compareILb0ELb1ExNS0_19identity_decomposerEEEEE10hipError_tT0_T1_T2_jT3_P12ihipStream_tbPNSt15iterator_traitsISK_E10value_typeEPNSQ_ISL_E10value_typeEPSM_NS1_7vsmem_tEENKUlT_SK_SL_SM_E_clISE_PxSF_SF_EESJ_SZ_SK_SL_SM_EUlSZ_E_NS1_11comp_targetILNS1_3genE3ELNS1_11target_archE908ELNS1_3gpuE7ELNS1_3repE0EEENS1_48merge_mergepath_partition_config_static_selectorELNS0_4arch9wavefront6targetE1EEEvSL_
                                        ; -- End function
	.section	.AMDGPU.csdata,"",@progbits
; Kernel info:
; codeLenInByte = 0
; NumSgprs: 6
; NumVgprs: 0
; NumAgprs: 0
; TotalNumVgprs: 0
; ScratchSize: 0
; MemoryBound: 0
; FloatMode: 240
; IeeeMode: 1
; LDSByteSize: 0 bytes/workgroup (compile time only)
; SGPRBlocks: 0
; VGPRBlocks: 0
; NumSGPRsForWavesPerEU: 6
; NumVGPRsForWavesPerEU: 1
; AccumOffset: 4
; Occupancy: 8
; WaveLimiterHint : 0
; COMPUTE_PGM_RSRC2:SCRATCH_EN: 0
; COMPUTE_PGM_RSRC2:USER_SGPR: 2
; COMPUTE_PGM_RSRC2:TRAP_HANDLER: 0
; COMPUTE_PGM_RSRC2:TGID_X_EN: 1
; COMPUTE_PGM_RSRC2:TGID_Y_EN: 0
; COMPUTE_PGM_RSRC2:TGID_Z_EN: 0
; COMPUTE_PGM_RSRC2:TIDIG_COMP_CNT: 0
; COMPUTE_PGM_RSRC3_GFX90A:ACCUM_OFFSET: 0
; COMPUTE_PGM_RSRC3_GFX90A:TG_SPLIT: 0
	.section	.text._ZN7rocprim17ROCPRIM_400000_NS6detail17trampoline_kernelINS0_14default_configENS1_38merge_sort_block_merge_config_selectorIxNS0_10empty_typeEEEZZNS1_27merge_sort_block_merge_implIS3_N6thrust23THRUST_200600_302600_NS6detail15normal_iteratorINS9_10device_ptrIxEEEEPS5_jNS1_19radix_merge_compareILb0ELb1ExNS0_19identity_decomposerEEEEE10hipError_tT0_T1_T2_jT3_P12ihipStream_tbPNSt15iterator_traitsISK_E10value_typeEPNSQ_ISL_E10value_typeEPSM_NS1_7vsmem_tEENKUlT_SK_SL_SM_E_clISE_PxSF_SF_EESJ_SZ_SK_SL_SM_EUlSZ_E_NS1_11comp_targetILNS1_3genE2ELNS1_11target_archE906ELNS1_3gpuE6ELNS1_3repE0EEENS1_48merge_mergepath_partition_config_static_selectorELNS0_4arch9wavefront6targetE1EEEvSL_,"axG",@progbits,_ZN7rocprim17ROCPRIM_400000_NS6detail17trampoline_kernelINS0_14default_configENS1_38merge_sort_block_merge_config_selectorIxNS0_10empty_typeEEEZZNS1_27merge_sort_block_merge_implIS3_N6thrust23THRUST_200600_302600_NS6detail15normal_iteratorINS9_10device_ptrIxEEEEPS5_jNS1_19radix_merge_compareILb0ELb1ExNS0_19identity_decomposerEEEEE10hipError_tT0_T1_T2_jT3_P12ihipStream_tbPNSt15iterator_traitsISK_E10value_typeEPNSQ_ISL_E10value_typeEPSM_NS1_7vsmem_tEENKUlT_SK_SL_SM_E_clISE_PxSF_SF_EESJ_SZ_SK_SL_SM_EUlSZ_E_NS1_11comp_targetILNS1_3genE2ELNS1_11target_archE906ELNS1_3gpuE6ELNS1_3repE0EEENS1_48merge_mergepath_partition_config_static_selectorELNS0_4arch9wavefront6targetE1EEEvSL_,comdat
	.protected	_ZN7rocprim17ROCPRIM_400000_NS6detail17trampoline_kernelINS0_14default_configENS1_38merge_sort_block_merge_config_selectorIxNS0_10empty_typeEEEZZNS1_27merge_sort_block_merge_implIS3_N6thrust23THRUST_200600_302600_NS6detail15normal_iteratorINS9_10device_ptrIxEEEEPS5_jNS1_19radix_merge_compareILb0ELb1ExNS0_19identity_decomposerEEEEE10hipError_tT0_T1_T2_jT3_P12ihipStream_tbPNSt15iterator_traitsISK_E10value_typeEPNSQ_ISL_E10value_typeEPSM_NS1_7vsmem_tEENKUlT_SK_SL_SM_E_clISE_PxSF_SF_EESJ_SZ_SK_SL_SM_EUlSZ_E_NS1_11comp_targetILNS1_3genE2ELNS1_11target_archE906ELNS1_3gpuE6ELNS1_3repE0EEENS1_48merge_mergepath_partition_config_static_selectorELNS0_4arch9wavefront6targetE1EEEvSL_ ; -- Begin function _ZN7rocprim17ROCPRIM_400000_NS6detail17trampoline_kernelINS0_14default_configENS1_38merge_sort_block_merge_config_selectorIxNS0_10empty_typeEEEZZNS1_27merge_sort_block_merge_implIS3_N6thrust23THRUST_200600_302600_NS6detail15normal_iteratorINS9_10device_ptrIxEEEEPS5_jNS1_19radix_merge_compareILb0ELb1ExNS0_19identity_decomposerEEEEE10hipError_tT0_T1_T2_jT3_P12ihipStream_tbPNSt15iterator_traitsISK_E10value_typeEPNSQ_ISL_E10value_typeEPSM_NS1_7vsmem_tEENKUlT_SK_SL_SM_E_clISE_PxSF_SF_EESJ_SZ_SK_SL_SM_EUlSZ_E_NS1_11comp_targetILNS1_3genE2ELNS1_11target_archE906ELNS1_3gpuE6ELNS1_3repE0EEENS1_48merge_mergepath_partition_config_static_selectorELNS0_4arch9wavefront6targetE1EEEvSL_
	.globl	_ZN7rocprim17ROCPRIM_400000_NS6detail17trampoline_kernelINS0_14default_configENS1_38merge_sort_block_merge_config_selectorIxNS0_10empty_typeEEEZZNS1_27merge_sort_block_merge_implIS3_N6thrust23THRUST_200600_302600_NS6detail15normal_iteratorINS9_10device_ptrIxEEEEPS5_jNS1_19radix_merge_compareILb0ELb1ExNS0_19identity_decomposerEEEEE10hipError_tT0_T1_T2_jT3_P12ihipStream_tbPNSt15iterator_traitsISK_E10value_typeEPNSQ_ISL_E10value_typeEPSM_NS1_7vsmem_tEENKUlT_SK_SL_SM_E_clISE_PxSF_SF_EESJ_SZ_SK_SL_SM_EUlSZ_E_NS1_11comp_targetILNS1_3genE2ELNS1_11target_archE906ELNS1_3gpuE6ELNS1_3repE0EEENS1_48merge_mergepath_partition_config_static_selectorELNS0_4arch9wavefront6targetE1EEEvSL_
	.p2align	8
	.type	_ZN7rocprim17ROCPRIM_400000_NS6detail17trampoline_kernelINS0_14default_configENS1_38merge_sort_block_merge_config_selectorIxNS0_10empty_typeEEEZZNS1_27merge_sort_block_merge_implIS3_N6thrust23THRUST_200600_302600_NS6detail15normal_iteratorINS9_10device_ptrIxEEEEPS5_jNS1_19radix_merge_compareILb0ELb1ExNS0_19identity_decomposerEEEEE10hipError_tT0_T1_T2_jT3_P12ihipStream_tbPNSt15iterator_traitsISK_E10value_typeEPNSQ_ISL_E10value_typeEPSM_NS1_7vsmem_tEENKUlT_SK_SL_SM_E_clISE_PxSF_SF_EESJ_SZ_SK_SL_SM_EUlSZ_E_NS1_11comp_targetILNS1_3genE2ELNS1_11target_archE906ELNS1_3gpuE6ELNS1_3repE0EEENS1_48merge_mergepath_partition_config_static_selectorELNS0_4arch9wavefront6targetE1EEEvSL_,@function
_ZN7rocprim17ROCPRIM_400000_NS6detail17trampoline_kernelINS0_14default_configENS1_38merge_sort_block_merge_config_selectorIxNS0_10empty_typeEEEZZNS1_27merge_sort_block_merge_implIS3_N6thrust23THRUST_200600_302600_NS6detail15normal_iteratorINS9_10device_ptrIxEEEEPS5_jNS1_19radix_merge_compareILb0ELb1ExNS0_19identity_decomposerEEEEE10hipError_tT0_T1_T2_jT3_P12ihipStream_tbPNSt15iterator_traitsISK_E10value_typeEPNSQ_ISL_E10value_typeEPSM_NS1_7vsmem_tEENKUlT_SK_SL_SM_E_clISE_PxSF_SF_EESJ_SZ_SK_SL_SM_EUlSZ_E_NS1_11comp_targetILNS1_3genE2ELNS1_11target_archE906ELNS1_3gpuE6ELNS1_3repE0EEENS1_48merge_mergepath_partition_config_static_selectorELNS0_4arch9wavefront6targetE1EEEvSL_: ; @_ZN7rocprim17ROCPRIM_400000_NS6detail17trampoline_kernelINS0_14default_configENS1_38merge_sort_block_merge_config_selectorIxNS0_10empty_typeEEEZZNS1_27merge_sort_block_merge_implIS3_N6thrust23THRUST_200600_302600_NS6detail15normal_iteratorINS9_10device_ptrIxEEEEPS5_jNS1_19radix_merge_compareILb0ELb1ExNS0_19identity_decomposerEEEEE10hipError_tT0_T1_T2_jT3_P12ihipStream_tbPNSt15iterator_traitsISK_E10value_typeEPNSQ_ISL_E10value_typeEPSM_NS1_7vsmem_tEENKUlT_SK_SL_SM_E_clISE_PxSF_SF_EESJ_SZ_SK_SL_SM_EUlSZ_E_NS1_11comp_targetILNS1_3genE2ELNS1_11target_archE906ELNS1_3gpuE6ELNS1_3repE0EEENS1_48merge_mergepath_partition_config_static_selectorELNS0_4arch9wavefront6targetE1EEEvSL_
; %bb.0:
	.section	.rodata,"a",@progbits
	.p2align	6, 0x0
	.amdhsa_kernel _ZN7rocprim17ROCPRIM_400000_NS6detail17trampoline_kernelINS0_14default_configENS1_38merge_sort_block_merge_config_selectorIxNS0_10empty_typeEEEZZNS1_27merge_sort_block_merge_implIS3_N6thrust23THRUST_200600_302600_NS6detail15normal_iteratorINS9_10device_ptrIxEEEEPS5_jNS1_19radix_merge_compareILb0ELb1ExNS0_19identity_decomposerEEEEE10hipError_tT0_T1_T2_jT3_P12ihipStream_tbPNSt15iterator_traitsISK_E10value_typeEPNSQ_ISL_E10value_typeEPSM_NS1_7vsmem_tEENKUlT_SK_SL_SM_E_clISE_PxSF_SF_EESJ_SZ_SK_SL_SM_EUlSZ_E_NS1_11comp_targetILNS1_3genE2ELNS1_11target_archE906ELNS1_3gpuE6ELNS1_3repE0EEENS1_48merge_mergepath_partition_config_static_selectorELNS0_4arch9wavefront6targetE1EEEvSL_
		.amdhsa_group_segment_fixed_size 0
		.amdhsa_private_segment_fixed_size 0
		.amdhsa_kernarg_size 40
		.amdhsa_user_sgpr_count 2
		.amdhsa_user_sgpr_dispatch_ptr 0
		.amdhsa_user_sgpr_queue_ptr 0
		.amdhsa_user_sgpr_kernarg_segment_ptr 1
		.amdhsa_user_sgpr_dispatch_id 0
		.amdhsa_user_sgpr_kernarg_preload_length 0
		.amdhsa_user_sgpr_kernarg_preload_offset 0
		.amdhsa_user_sgpr_private_segment_size 0
		.amdhsa_uses_dynamic_stack 0
		.amdhsa_enable_private_segment 0
		.amdhsa_system_sgpr_workgroup_id_x 1
		.amdhsa_system_sgpr_workgroup_id_y 0
		.amdhsa_system_sgpr_workgroup_id_z 0
		.amdhsa_system_sgpr_workgroup_info 0
		.amdhsa_system_vgpr_workitem_id 0
		.amdhsa_next_free_vgpr 1
		.amdhsa_next_free_sgpr 0
		.amdhsa_accum_offset 4
		.amdhsa_reserve_vcc 0
		.amdhsa_float_round_mode_32 0
		.amdhsa_float_round_mode_16_64 0
		.amdhsa_float_denorm_mode_32 3
		.amdhsa_float_denorm_mode_16_64 3
		.amdhsa_dx10_clamp 1
		.amdhsa_ieee_mode 1
		.amdhsa_fp16_overflow 0
		.amdhsa_tg_split 0
		.amdhsa_exception_fp_ieee_invalid_op 0
		.amdhsa_exception_fp_denorm_src 0
		.amdhsa_exception_fp_ieee_div_zero 0
		.amdhsa_exception_fp_ieee_overflow 0
		.amdhsa_exception_fp_ieee_underflow 0
		.amdhsa_exception_fp_ieee_inexact 0
		.amdhsa_exception_int_div_zero 0
	.end_amdhsa_kernel
	.section	.text._ZN7rocprim17ROCPRIM_400000_NS6detail17trampoline_kernelINS0_14default_configENS1_38merge_sort_block_merge_config_selectorIxNS0_10empty_typeEEEZZNS1_27merge_sort_block_merge_implIS3_N6thrust23THRUST_200600_302600_NS6detail15normal_iteratorINS9_10device_ptrIxEEEEPS5_jNS1_19radix_merge_compareILb0ELb1ExNS0_19identity_decomposerEEEEE10hipError_tT0_T1_T2_jT3_P12ihipStream_tbPNSt15iterator_traitsISK_E10value_typeEPNSQ_ISL_E10value_typeEPSM_NS1_7vsmem_tEENKUlT_SK_SL_SM_E_clISE_PxSF_SF_EESJ_SZ_SK_SL_SM_EUlSZ_E_NS1_11comp_targetILNS1_3genE2ELNS1_11target_archE906ELNS1_3gpuE6ELNS1_3repE0EEENS1_48merge_mergepath_partition_config_static_selectorELNS0_4arch9wavefront6targetE1EEEvSL_,"axG",@progbits,_ZN7rocprim17ROCPRIM_400000_NS6detail17trampoline_kernelINS0_14default_configENS1_38merge_sort_block_merge_config_selectorIxNS0_10empty_typeEEEZZNS1_27merge_sort_block_merge_implIS3_N6thrust23THRUST_200600_302600_NS6detail15normal_iteratorINS9_10device_ptrIxEEEEPS5_jNS1_19radix_merge_compareILb0ELb1ExNS0_19identity_decomposerEEEEE10hipError_tT0_T1_T2_jT3_P12ihipStream_tbPNSt15iterator_traitsISK_E10value_typeEPNSQ_ISL_E10value_typeEPSM_NS1_7vsmem_tEENKUlT_SK_SL_SM_E_clISE_PxSF_SF_EESJ_SZ_SK_SL_SM_EUlSZ_E_NS1_11comp_targetILNS1_3genE2ELNS1_11target_archE906ELNS1_3gpuE6ELNS1_3repE0EEENS1_48merge_mergepath_partition_config_static_selectorELNS0_4arch9wavefront6targetE1EEEvSL_,comdat
.Lfunc_end1496:
	.size	_ZN7rocprim17ROCPRIM_400000_NS6detail17trampoline_kernelINS0_14default_configENS1_38merge_sort_block_merge_config_selectorIxNS0_10empty_typeEEEZZNS1_27merge_sort_block_merge_implIS3_N6thrust23THRUST_200600_302600_NS6detail15normal_iteratorINS9_10device_ptrIxEEEEPS5_jNS1_19radix_merge_compareILb0ELb1ExNS0_19identity_decomposerEEEEE10hipError_tT0_T1_T2_jT3_P12ihipStream_tbPNSt15iterator_traitsISK_E10value_typeEPNSQ_ISL_E10value_typeEPSM_NS1_7vsmem_tEENKUlT_SK_SL_SM_E_clISE_PxSF_SF_EESJ_SZ_SK_SL_SM_EUlSZ_E_NS1_11comp_targetILNS1_3genE2ELNS1_11target_archE906ELNS1_3gpuE6ELNS1_3repE0EEENS1_48merge_mergepath_partition_config_static_selectorELNS0_4arch9wavefront6targetE1EEEvSL_, .Lfunc_end1496-_ZN7rocprim17ROCPRIM_400000_NS6detail17trampoline_kernelINS0_14default_configENS1_38merge_sort_block_merge_config_selectorIxNS0_10empty_typeEEEZZNS1_27merge_sort_block_merge_implIS3_N6thrust23THRUST_200600_302600_NS6detail15normal_iteratorINS9_10device_ptrIxEEEEPS5_jNS1_19radix_merge_compareILb0ELb1ExNS0_19identity_decomposerEEEEE10hipError_tT0_T1_T2_jT3_P12ihipStream_tbPNSt15iterator_traitsISK_E10value_typeEPNSQ_ISL_E10value_typeEPSM_NS1_7vsmem_tEENKUlT_SK_SL_SM_E_clISE_PxSF_SF_EESJ_SZ_SK_SL_SM_EUlSZ_E_NS1_11comp_targetILNS1_3genE2ELNS1_11target_archE906ELNS1_3gpuE6ELNS1_3repE0EEENS1_48merge_mergepath_partition_config_static_selectorELNS0_4arch9wavefront6targetE1EEEvSL_
                                        ; -- End function
	.section	.AMDGPU.csdata,"",@progbits
; Kernel info:
; codeLenInByte = 0
; NumSgprs: 6
; NumVgprs: 0
; NumAgprs: 0
; TotalNumVgprs: 0
; ScratchSize: 0
; MemoryBound: 0
; FloatMode: 240
; IeeeMode: 1
; LDSByteSize: 0 bytes/workgroup (compile time only)
; SGPRBlocks: 0
; VGPRBlocks: 0
; NumSGPRsForWavesPerEU: 6
; NumVGPRsForWavesPerEU: 1
; AccumOffset: 4
; Occupancy: 8
; WaveLimiterHint : 0
; COMPUTE_PGM_RSRC2:SCRATCH_EN: 0
; COMPUTE_PGM_RSRC2:USER_SGPR: 2
; COMPUTE_PGM_RSRC2:TRAP_HANDLER: 0
; COMPUTE_PGM_RSRC2:TGID_X_EN: 1
; COMPUTE_PGM_RSRC2:TGID_Y_EN: 0
; COMPUTE_PGM_RSRC2:TGID_Z_EN: 0
; COMPUTE_PGM_RSRC2:TIDIG_COMP_CNT: 0
; COMPUTE_PGM_RSRC3_GFX90A:ACCUM_OFFSET: 0
; COMPUTE_PGM_RSRC3_GFX90A:TG_SPLIT: 0
	.section	.text._ZN7rocprim17ROCPRIM_400000_NS6detail17trampoline_kernelINS0_14default_configENS1_38merge_sort_block_merge_config_selectorIxNS0_10empty_typeEEEZZNS1_27merge_sort_block_merge_implIS3_N6thrust23THRUST_200600_302600_NS6detail15normal_iteratorINS9_10device_ptrIxEEEEPS5_jNS1_19radix_merge_compareILb0ELb1ExNS0_19identity_decomposerEEEEE10hipError_tT0_T1_T2_jT3_P12ihipStream_tbPNSt15iterator_traitsISK_E10value_typeEPNSQ_ISL_E10value_typeEPSM_NS1_7vsmem_tEENKUlT_SK_SL_SM_E_clISE_PxSF_SF_EESJ_SZ_SK_SL_SM_EUlSZ_E_NS1_11comp_targetILNS1_3genE9ELNS1_11target_archE1100ELNS1_3gpuE3ELNS1_3repE0EEENS1_48merge_mergepath_partition_config_static_selectorELNS0_4arch9wavefront6targetE1EEEvSL_,"axG",@progbits,_ZN7rocprim17ROCPRIM_400000_NS6detail17trampoline_kernelINS0_14default_configENS1_38merge_sort_block_merge_config_selectorIxNS0_10empty_typeEEEZZNS1_27merge_sort_block_merge_implIS3_N6thrust23THRUST_200600_302600_NS6detail15normal_iteratorINS9_10device_ptrIxEEEEPS5_jNS1_19radix_merge_compareILb0ELb1ExNS0_19identity_decomposerEEEEE10hipError_tT0_T1_T2_jT3_P12ihipStream_tbPNSt15iterator_traitsISK_E10value_typeEPNSQ_ISL_E10value_typeEPSM_NS1_7vsmem_tEENKUlT_SK_SL_SM_E_clISE_PxSF_SF_EESJ_SZ_SK_SL_SM_EUlSZ_E_NS1_11comp_targetILNS1_3genE9ELNS1_11target_archE1100ELNS1_3gpuE3ELNS1_3repE0EEENS1_48merge_mergepath_partition_config_static_selectorELNS0_4arch9wavefront6targetE1EEEvSL_,comdat
	.protected	_ZN7rocprim17ROCPRIM_400000_NS6detail17trampoline_kernelINS0_14default_configENS1_38merge_sort_block_merge_config_selectorIxNS0_10empty_typeEEEZZNS1_27merge_sort_block_merge_implIS3_N6thrust23THRUST_200600_302600_NS6detail15normal_iteratorINS9_10device_ptrIxEEEEPS5_jNS1_19radix_merge_compareILb0ELb1ExNS0_19identity_decomposerEEEEE10hipError_tT0_T1_T2_jT3_P12ihipStream_tbPNSt15iterator_traitsISK_E10value_typeEPNSQ_ISL_E10value_typeEPSM_NS1_7vsmem_tEENKUlT_SK_SL_SM_E_clISE_PxSF_SF_EESJ_SZ_SK_SL_SM_EUlSZ_E_NS1_11comp_targetILNS1_3genE9ELNS1_11target_archE1100ELNS1_3gpuE3ELNS1_3repE0EEENS1_48merge_mergepath_partition_config_static_selectorELNS0_4arch9wavefront6targetE1EEEvSL_ ; -- Begin function _ZN7rocprim17ROCPRIM_400000_NS6detail17trampoline_kernelINS0_14default_configENS1_38merge_sort_block_merge_config_selectorIxNS0_10empty_typeEEEZZNS1_27merge_sort_block_merge_implIS3_N6thrust23THRUST_200600_302600_NS6detail15normal_iteratorINS9_10device_ptrIxEEEEPS5_jNS1_19radix_merge_compareILb0ELb1ExNS0_19identity_decomposerEEEEE10hipError_tT0_T1_T2_jT3_P12ihipStream_tbPNSt15iterator_traitsISK_E10value_typeEPNSQ_ISL_E10value_typeEPSM_NS1_7vsmem_tEENKUlT_SK_SL_SM_E_clISE_PxSF_SF_EESJ_SZ_SK_SL_SM_EUlSZ_E_NS1_11comp_targetILNS1_3genE9ELNS1_11target_archE1100ELNS1_3gpuE3ELNS1_3repE0EEENS1_48merge_mergepath_partition_config_static_selectorELNS0_4arch9wavefront6targetE1EEEvSL_
	.globl	_ZN7rocprim17ROCPRIM_400000_NS6detail17trampoline_kernelINS0_14default_configENS1_38merge_sort_block_merge_config_selectorIxNS0_10empty_typeEEEZZNS1_27merge_sort_block_merge_implIS3_N6thrust23THRUST_200600_302600_NS6detail15normal_iteratorINS9_10device_ptrIxEEEEPS5_jNS1_19radix_merge_compareILb0ELb1ExNS0_19identity_decomposerEEEEE10hipError_tT0_T1_T2_jT3_P12ihipStream_tbPNSt15iterator_traitsISK_E10value_typeEPNSQ_ISL_E10value_typeEPSM_NS1_7vsmem_tEENKUlT_SK_SL_SM_E_clISE_PxSF_SF_EESJ_SZ_SK_SL_SM_EUlSZ_E_NS1_11comp_targetILNS1_3genE9ELNS1_11target_archE1100ELNS1_3gpuE3ELNS1_3repE0EEENS1_48merge_mergepath_partition_config_static_selectorELNS0_4arch9wavefront6targetE1EEEvSL_
	.p2align	8
	.type	_ZN7rocprim17ROCPRIM_400000_NS6detail17trampoline_kernelINS0_14default_configENS1_38merge_sort_block_merge_config_selectorIxNS0_10empty_typeEEEZZNS1_27merge_sort_block_merge_implIS3_N6thrust23THRUST_200600_302600_NS6detail15normal_iteratorINS9_10device_ptrIxEEEEPS5_jNS1_19radix_merge_compareILb0ELb1ExNS0_19identity_decomposerEEEEE10hipError_tT0_T1_T2_jT3_P12ihipStream_tbPNSt15iterator_traitsISK_E10value_typeEPNSQ_ISL_E10value_typeEPSM_NS1_7vsmem_tEENKUlT_SK_SL_SM_E_clISE_PxSF_SF_EESJ_SZ_SK_SL_SM_EUlSZ_E_NS1_11comp_targetILNS1_3genE9ELNS1_11target_archE1100ELNS1_3gpuE3ELNS1_3repE0EEENS1_48merge_mergepath_partition_config_static_selectorELNS0_4arch9wavefront6targetE1EEEvSL_,@function
_ZN7rocprim17ROCPRIM_400000_NS6detail17trampoline_kernelINS0_14default_configENS1_38merge_sort_block_merge_config_selectorIxNS0_10empty_typeEEEZZNS1_27merge_sort_block_merge_implIS3_N6thrust23THRUST_200600_302600_NS6detail15normal_iteratorINS9_10device_ptrIxEEEEPS5_jNS1_19radix_merge_compareILb0ELb1ExNS0_19identity_decomposerEEEEE10hipError_tT0_T1_T2_jT3_P12ihipStream_tbPNSt15iterator_traitsISK_E10value_typeEPNSQ_ISL_E10value_typeEPSM_NS1_7vsmem_tEENKUlT_SK_SL_SM_E_clISE_PxSF_SF_EESJ_SZ_SK_SL_SM_EUlSZ_E_NS1_11comp_targetILNS1_3genE9ELNS1_11target_archE1100ELNS1_3gpuE3ELNS1_3repE0EEENS1_48merge_mergepath_partition_config_static_selectorELNS0_4arch9wavefront6targetE1EEEvSL_: ; @_ZN7rocprim17ROCPRIM_400000_NS6detail17trampoline_kernelINS0_14default_configENS1_38merge_sort_block_merge_config_selectorIxNS0_10empty_typeEEEZZNS1_27merge_sort_block_merge_implIS3_N6thrust23THRUST_200600_302600_NS6detail15normal_iteratorINS9_10device_ptrIxEEEEPS5_jNS1_19radix_merge_compareILb0ELb1ExNS0_19identity_decomposerEEEEE10hipError_tT0_T1_T2_jT3_P12ihipStream_tbPNSt15iterator_traitsISK_E10value_typeEPNSQ_ISL_E10value_typeEPSM_NS1_7vsmem_tEENKUlT_SK_SL_SM_E_clISE_PxSF_SF_EESJ_SZ_SK_SL_SM_EUlSZ_E_NS1_11comp_targetILNS1_3genE9ELNS1_11target_archE1100ELNS1_3gpuE3ELNS1_3repE0EEENS1_48merge_mergepath_partition_config_static_selectorELNS0_4arch9wavefront6targetE1EEEvSL_
; %bb.0:
	.section	.rodata,"a",@progbits
	.p2align	6, 0x0
	.amdhsa_kernel _ZN7rocprim17ROCPRIM_400000_NS6detail17trampoline_kernelINS0_14default_configENS1_38merge_sort_block_merge_config_selectorIxNS0_10empty_typeEEEZZNS1_27merge_sort_block_merge_implIS3_N6thrust23THRUST_200600_302600_NS6detail15normal_iteratorINS9_10device_ptrIxEEEEPS5_jNS1_19radix_merge_compareILb0ELb1ExNS0_19identity_decomposerEEEEE10hipError_tT0_T1_T2_jT3_P12ihipStream_tbPNSt15iterator_traitsISK_E10value_typeEPNSQ_ISL_E10value_typeEPSM_NS1_7vsmem_tEENKUlT_SK_SL_SM_E_clISE_PxSF_SF_EESJ_SZ_SK_SL_SM_EUlSZ_E_NS1_11comp_targetILNS1_3genE9ELNS1_11target_archE1100ELNS1_3gpuE3ELNS1_3repE0EEENS1_48merge_mergepath_partition_config_static_selectorELNS0_4arch9wavefront6targetE1EEEvSL_
		.amdhsa_group_segment_fixed_size 0
		.amdhsa_private_segment_fixed_size 0
		.amdhsa_kernarg_size 40
		.amdhsa_user_sgpr_count 2
		.amdhsa_user_sgpr_dispatch_ptr 0
		.amdhsa_user_sgpr_queue_ptr 0
		.amdhsa_user_sgpr_kernarg_segment_ptr 1
		.amdhsa_user_sgpr_dispatch_id 0
		.amdhsa_user_sgpr_kernarg_preload_length 0
		.amdhsa_user_sgpr_kernarg_preload_offset 0
		.amdhsa_user_sgpr_private_segment_size 0
		.amdhsa_uses_dynamic_stack 0
		.amdhsa_enable_private_segment 0
		.amdhsa_system_sgpr_workgroup_id_x 1
		.amdhsa_system_sgpr_workgroup_id_y 0
		.amdhsa_system_sgpr_workgroup_id_z 0
		.amdhsa_system_sgpr_workgroup_info 0
		.amdhsa_system_vgpr_workitem_id 0
		.amdhsa_next_free_vgpr 1
		.amdhsa_next_free_sgpr 0
		.amdhsa_accum_offset 4
		.amdhsa_reserve_vcc 0
		.amdhsa_float_round_mode_32 0
		.amdhsa_float_round_mode_16_64 0
		.amdhsa_float_denorm_mode_32 3
		.amdhsa_float_denorm_mode_16_64 3
		.amdhsa_dx10_clamp 1
		.amdhsa_ieee_mode 1
		.amdhsa_fp16_overflow 0
		.amdhsa_tg_split 0
		.amdhsa_exception_fp_ieee_invalid_op 0
		.amdhsa_exception_fp_denorm_src 0
		.amdhsa_exception_fp_ieee_div_zero 0
		.amdhsa_exception_fp_ieee_overflow 0
		.amdhsa_exception_fp_ieee_underflow 0
		.amdhsa_exception_fp_ieee_inexact 0
		.amdhsa_exception_int_div_zero 0
	.end_amdhsa_kernel
	.section	.text._ZN7rocprim17ROCPRIM_400000_NS6detail17trampoline_kernelINS0_14default_configENS1_38merge_sort_block_merge_config_selectorIxNS0_10empty_typeEEEZZNS1_27merge_sort_block_merge_implIS3_N6thrust23THRUST_200600_302600_NS6detail15normal_iteratorINS9_10device_ptrIxEEEEPS5_jNS1_19radix_merge_compareILb0ELb1ExNS0_19identity_decomposerEEEEE10hipError_tT0_T1_T2_jT3_P12ihipStream_tbPNSt15iterator_traitsISK_E10value_typeEPNSQ_ISL_E10value_typeEPSM_NS1_7vsmem_tEENKUlT_SK_SL_SM_E_clISE_PxSF_SF_EESJ_SZ_SK_SL_SM_EUlSZ_E_NS1_11comp_targetILNS1_3genE9ELNS1_11target_archE1100ELNS1_3gpuE3ELNS1_3repE0EEENS1_48merge_mergepath_partition_config_static_selectorELNS0_4arch9wavefront6targetE1EEEvSL_,"axG",@progbits,_ZN7rocprim17ROCPRIM_400000_NS6detail17trampoline_kernelINS0_14default_configENS1_38merge_sort_block_merge_config_selectorIxNS0_10empty_typeEEEZZNS1_27merge_sort_block_merge_implIS3_N6thrust23THRUST_200600_302600_NS6detail15normal_iteratorINS9_10device_ptrIxEEEEPS5_jNS1_19radix_merge_compareILb0ELb1ExNS0_19identity_decomposerEEEEE10hipError_tT0_T1_T2_jT3_P12ihipStream_tbPNSt15iterator_traitsISK_E10value_typeEPNSQ_ISL_E10value_typeEPSM_NS1_7vsmem_tEENKUlT_SK_SL_SM_E_clISE_PxSF_SF_EESJ_SZ_SK_SL_SM_EUlSZ_E_NS1_11comp_targetILNS1_3genE9ELNS1_11target_archE1100ELNS1_3gpuE3ELNS1_3repE0EEENS1_48merge_mergepath_partition_config_static_selectorELNS0_4arch9wavefront6targetE1EEEvSL_,comdat
.Lfunc_end1497:
	.size	_ZN7rocprim17ROCPRIM_400000_NS6detail17trampoline_kernelINS0_14default_configENS1_38merge_sort_block_merge_config_selectorIxNS0_10empty_typeEEEZZNS1_27merge_sort_block_merge_implIS3_N6thrust23THRUST_200600_302600_NS6detail15normal_iteratorINS9_10device_ptrIxEEEEPS5_jNS1_19radix_merge_compareILb0ELb1ExNS0_19identity_decomposerEEEEE10hipError_tT0_T1_T2_jT3_P12ihipStream_tbPNSt15iterator_traitsISK_E10value_typeEPNSQ_ISL_E10value_typeEPSM_NS1_7vsmem_tEENKUlT_SK_SL_SM_E_clISE_PxSF_SF_EESJ_SZ_SK_SL_SM_EUlSZ_E_NS1_11comp_targetILNS1_3genE9ELNS1_11target_archE1100ELNS1_3gpuE3ELNS1_3repE0EEENS1_48merge_mergepath_partition_config_static_selectorELNS0_4arch9wavefront6targetE1EEEvSL_, .Lfunc_end1497-_ZN7rocprim17ROCPRIM_400000_NS6detail17trampoline_kernelINS0_14default_configENS1_38merge_sort_block_merge_config_selectorIxNS0_10empty_typeEEEZZNS1_27merge_sort_block_merge_implIS3_N6thrust23THRUST_200600_302600_NS6detail15normal_iteratorINS9_10device_ptrIxEEEEPS5_jNS1_19radix_merge_compareILb0ELb1ExNS0_19identity_decomposerEEEEE10hipError_tT0_T1_T2_jT3_P12ihipStream_tbPNSt15iterator_traitsISK_E10value_typeEPNSQ_ISL_E10value_typeEPSM_NS1_7vsmem_tEENKUlT_SK_SL_SM_E_clISE_PxSF_SF_EESJ_SZ_SK_SL_SM_EUlSZ_E_NS1_11comp_targetILNS1_3genE9ELNS1_11target_archE1100ELNS1_3gpuE3ELNS1_3repE0EEENS1_48merge_mergepath_partition_config_static_selectorELNS0_4arch9wavefront6targetE1EEEvSL_
                                        ; -- End function
	.section	.AMDGPU.csdata,"",@progbits
; Kernel info:
; codeLenInByte = 0
; NumSgprs: 6
; NumVgprs: 0
; NumAgprs: 0
; TotalNumVgprs: 0
; ScratchSize: 0
; MemoryBound: 0
; FloatMode: 240
; IeeeMode: 1
; LDSByteSize: 0 bytes/workgroup (compile time only)
; SGPRBlocks: 0
; VGPRBlocks: 0
; NumSGPRsForWavesPerEU: 6
; NumVGPRsForWavesPerEU: 1
; AccumOffset: 4
; Occupancy: 8
; WaveLimiterHint : 0
; COMPUTE_PGM_RSRC2:SCRATCH_EN: 0
; COMPUTE_PGM_RSRC2:USER_SGPR: 2
; COMPUTE_PGM_RSRC2:TRAP_HANDLER: 0
; COMPUTE_PGM_RSRC2:TGID_X_EN: 1
; COMPUTE_PGM_RSRC2:TGID_Y_EN: 0
; COMPUTE_PGM_RSRC2:TGID_Z_EN: 0
; COMPUTE_PGM_RSRC2:TIDIG_COMP_CNT: 0
; COMPUTE_PGM_RSRC3_GFX90A:ACCUM_OFFSET: 0
; COMPUTE_PGM_RSRC3_GFX90A:TG_SPLIT: 0
	.section	.text._ZN7rocprim17ROCPRIM_400000_NS6detail17trampoline_kernelINS0_14default_configENS1_38merge_sort_block_merge_config_selectorIxNS0_10empty_typeEEEZZNS1_27merge_sort_block_merge_implIS3_N6thrust23THRUST_200600_302600_NS6detail15normal_iteratorINS9_10device_ptrIxEEEEPS5_jNS1_19radix_merge_compareILb0ELb1ExNS0_19identity_decomposerEEEEE10hipError_tT0_T1_T2_jT3_P12ihipStream_tbPNSt15iterator_traitsISK_E10value_typeEPNSQ_ISL_E10value_typeEPSM_NS1_7vsmem_tEENKUlT_SK_SL_SM_E_clISE_PxSF_SF_EESJ_SZ_SK_SL_SM_EUlSZ_E_NS1_11comp_targetILNS1_3genE8ELNS1_11target_archE1030ELNS1_3gpuE2ELNS1_3repE0EEENS1_48merge_mergepath_partition_config_static_selectorELNS0_4arch9wavefront6targetE1EEEvSL_,"axG",@progbits,_ZN7rocprim17ROCPRIM_400000_NS6detail17trampoline_kernelINS0_14default_configENS1_38merge_sort_block_merge_config_selectorIxNS0_10empty_typeEEEZZNS1_27merge_sort_block_merge_implIS3_N6thrust23THRUST_200600_302600_NS6detail15normal_iteratorINS9_10device_ptrIxEEEEPS5_jNS1_19radix_merge_compareILb0ELb1ExNS0_19identity_decomposerEEEEE10hipError_tT0_T1_T2_jT3_P12ihipStream_tbPNSt15iterator_traitsISK_E10value_typeEPNSQ_ISL_E10value_typeEPSM_NS1_7vsmem_tEENKUlT_SK_SL_SM_E_clISE_PxSF_SF_EESJ_SZ_SK_SL_SM_EUlSZ_E_NS1_11comp_targetILNS1_3genE8ELNS1_11target_archE1030ELNS1_3gpuE2ELNS1_3repE0EEENS1_48merge_mergepath_partition_config_static_selectorELNS0_4arch9wavefront6targetE1EEEvSL_,comdat
	.protected	_ZN7rocprim17ROCPRIM_400000_NS6detail17trampoline_kernelINS0_14default_configENS1_38merge_sort_block_merge_config_selectorIxNS0_10empty_typeEEEZZNS1_27merge_sort_block_merge_implIS3_N6thrust23THRUST_200600_302600_NS6detail15normal_iteratorINS9_10device_ptrIxEEEEPS5_jNS1_19radix_merge_compareILb0ELb1ExNS0_19identity_decomposerEEEEE10hipError_tT0_T1_T2_jT3_P12ihipStream_tbPNSt15iterator_traitsISK_E10value_typeEPNSQ_ISL_E10value_typeEPSM_NS1_7vsmem_tEENKUlT_SK_SL_SM_E_clISE_PxSF_SF_EESJ_SZ_SK_SL_SM_EUlSZ_E_NS1_11comp_targetILNS1_3genE8ELNS1_11target_archE1030ELNS1_3gpuE2ELNS1_3repE0EEENS1_48merge_mergepath_partition_config_static_selectorELNS0_4arch9wavefront6targetE1EEEvSL_ ; -- Begin function _ZN7rocprim17ROCPRIM_400000_NS6detail17trampoline_kernelINS0_14default_configENS1_38merge_sort_block_merge_config_selectorIxNS0_10empty_typeEEEZZNS1_27merge_sort_block_merge_implIS3_N6thrust23THRUST_200600_302600_NS6detail15normal_iteratorINS9_10device_ptrIxEEEEPS5_jNS1_19radix_merge_compareILb0ELb1ExNS0_19identity_decomposerEEEEE10hipError_tT0_T1_T2_jT3_P12ihipStream_tbPNSt15iterator_traitsISK_E10value_typeEPNSQ_ISL_E10value_typeEPSM_NS1_7vsmem_tEENKUlT_SK_SL_SM_E_clISE_PxSF_SF_EESJ_SZ_SK_SL_SM_EUlSZ_E_NS1_11comp_targetILNS1_3genE8ELNS1_11target_archE1030ELNS1_3gpuE2ELNS1_3repE0EEENS1_48merge_mergepath_partition_config_static_selectorELNS0_4arch9wavefront6targetE1EEEvSL_
	.globl	_ZN7rocprim17ROCPRIM_400000_NS6detail17trampoline_kernelINS0_14default_configENS1_38merge_sort_block_merge_config_selectorIxNS0_10empty_typeEEEZZNS1_27merge_sort_block_merge_implIS3_N6thrust23THRUST_200600_302600_NS6detail15normal_iteratorINS9_10device_ptrIxEEEEPS5_jNS1_19radix_merge_compareILb0ELb1ExNS0_19identity_decomposerEEEEE10hipError_tT0_T1_T2_jT3_P12ihipStream_tbPNSt15iterator_traitsISK_E10value_typeEPNSQ_ISL_E10value_typeEPSM_NS1_7vsmem_tEENKUlT_SK_SL_SM_E_clISE_PxSF_SF_EESJ_SZ_SK_SL_SM_EUlSZ_E_NS1_11comp_targetILNS1_3genE8ELNS1_11target_archE1030ELNS1_3gpuE2ELNS1_3repE0EEENS1_48merge_mergepath_partition_config_static_selectorELNS0_4arch9wavefront6targetE1EEEvSL_
	.p2align	8
	.type	_ZN7rocprim17ROCPRIM_400000_NS6detail17trampoline_kernelINS0_14default_configENS1_38merge_sort_block_merge_config_selectorIxNS0_10empty_typeEEEZZNS1_27merge_sort_block_merge_implIS3_N6thrust23THRUST_200600_302600_NS6detail15normal_iteratorINS9_10device_ptrIxEEEEPS5_jNS1_19radix_merge_compareILb0ELb1ExNS0_19identity_decomposerEEEEE10hipError_tT0_T1_T2_jT3_P12ihipStream_tbPNSt15iterator_traitsISK_E10value_typeEPNSQ_ISL_E10value_typeEPSM_NS1_7vsmem_tEENKUlT_SK_SL_SM_E_clISE_PxSF_SF_EESJ_SZ_SK_SL_SM_EUlSZ_E_NS1_11comp_targetILNS1_3genE8ELNS1_11target_archE1030ELNS1_3gpuE2ELNS1_3repE0EEENS1_48merge_mergepath_partition_config_static_selectorELNS0_4arch9wavefront6targetE1EEEvSL_,@function
_ZN7rocprim17ROCPRIM_400000_NS6detail17trampoline_kernelINS0_14default_configENS1_38merge_sort_block_merge_config_selectorIxNS0_10empty_typeEEEZZNS1_27merge_sort_block_merge_implIS3_N6thrust23THRUST_200600_302600_NS6detail15normal_iteratorINS9_10device_ptrIxEEEEPS5_jNS1_19radix_merge_compareILb0ELb1ExNS0_19identity_decomposerEEEEE10hipError_tT0_T1_T2_jT3_P12ihipStream_tbPNSt15iterator_traitsISK_E10value_typeEPNSQ_ISL_E10value_typeEPSM_NS1_7vsmem_tEENKUlT_SK_SL_SM_E_clISE_PxSF_SF_EESJ_SZ_SK_SL_SM_EUlSZ_E_NS1_11comp_targetILNS1_3genE8ELNS1_11target_archE1030ELNS1_3gpuE2ELNS1_3repE0EEENS1_48merge_mergepath_partition_config_static_selectorELNS0_4arch9wavefront6targetE1EEEvSL_: ; @_ZN7rocprim17ROCPRIM_400000_NS6detail17trampoline_kernelINS0_14default_configENS1_38merge_sort_block_merge_config_selectorIxNS0_10empty_typeEEEZZNS1_27merge_sort_block_merge_implIS3_N6thrust23THRUST_200600_302600_NS6detail15normal_iteratorINS9_10device_ptrIxEEEEPS5_jNS1_19radix_merge_compareILb0ELb1ExNS0_19identity_decomposerEEEEE10hipError_tT0_T1_T2_jT3_P12ihipStream_tbPNSt15iterator_traitsISK_E10value_typeEPNSQ_ISL_E10value_typeEPSM_NS1_7vsmem_tEENKUlT_SK_SL_SM_E_clISE_PxSF_SF_EESJ_SZ_SK_SL_SM_EUlSZ_E_NS1_11comp_targetILNS1_3genE8ELNS1_11target_archE1030ELNS1_3gpuE2ELNS1_3repE0EEENS1_48merge_mergepath_partition_config_static_selectorELNS0_4arch9wavefront6targetE1EEEvSL_
; %bb.0:
	.section	.rodata,"a",@progbits
	.p2align	6, 0x0
	.amdhsa_kernel _ZN7rocprim17ROCPRIM_400000_NS6detail17trampoline_kernelINS0_14default_configENS1_38merge_sort_block_merge_config_selectorIxNS0_10empty_typeEEEZZNS1_27merge_sort_block_merge_implIS3_N6thrust23THRUST_200600_302600_NS6detail15normal_iteratorINS9_10device_ptrIxEEEEPS5_jNS1_19radix_merge_compareILb0ELb1ExNS0_19identity_decomposerEEEEE10hipError_tT0_T1_T2_jT3_P12ihipStream_tbPNSt15iterator_traitsISK_E10value_typeEPNSQ_ISL_E10value_typeEPSM_NS1_7vsmem_tEENKUlT_SK_SL_SM_E_clISE_PxSF_SF_EESJ_SZ_SK_SL_SM_EUlSZ_E_NS1_11comp_targetILNS1_3genE8ELNS1_11target_archE1030ELNS1_3gpuE2ELNS1_3repE0EEENS1_48merge_mergepath_partition_config_static_selectorELNS0_4arch9wavefront6targetE1EEEvSL_
		.amdhsa_group_segment_fixed_size 0
		.amdhsa_private_segment_fixed_size 0
		.amdhsa_kernarg_size 40
		.amdhsa_user_sgpr_count 2
		.amdhsa_user_sgpr_dispatch_ptr 0
		.amdhsa_user_sgpr_queue_ptr 0
		.amdhsa_user_sgpr_kernarg_segment_ptr 1
		.amdhsa_user_sgpr_dispatch_id 0
		.amdhsa_user_sgpr_kernarg_preload_length 0
		.amdhsa_user_sgpr_kernarg_preload_offset 0
		.amdhsa_user_sgpr_private_segment_size 0
		.amdhsa_uses_dynamic_stack 0
		.amdhsa_enable_private_segment 0
		.amdhsa_system_sgpr_workgroup_id_x 1
		.amdhsa_system_sgpr_workgroup_id_y 0
		.amdhsa_system_sgpr_workgroup_id_z 0
		.amdhsa_system_sgpr_workgroup_info 0
		.amdhsa_system_vgpr_workitem_id 0
		.amdhsa_next_free_vgpr 1
		.amdhsa_next_free_sgpr 0
		.amdhsa_accum_offset 4
		.amdhsa_reserve_vcc 0
		.amdhsa_float_round_mode_32 0
		.amdhsa_float_round_mode_16_64 0
		.amdhsa_float_denorm_mode_32 3
		.amdhsa_float_denorm_mode_16_64 3
		.amdhsa_dx10_clamp 1
		.amdhsa_ieee_mode 1
		.amdhsa_fp16_overflow 0
		.amdhsa_tg_split 0
		.amdhsa_exception_fp_ieee_invalid_op 0
		.amdhsa_exception_fp_denorm_src 0
		.amdhsa_exception_fp_ieee_div_zero 0
		.amdhsa_exception_fp_ieee_overflow 0
		.amdhsa_exception_fp_ieee_underflow 0
		.amdhsa_exception_fp_ieee_inexact 0
		.amdhsa_exception_int_div_zero 0
	.end_amdhsa_kernel
	.section	.text._ZN7rocprim17ROCPRIM_400000_NS6detail17trampoline_kernelINS0_14default_configENS1_38merge_sort_block_merge_config_selectorIxNS0_10empty_typeEEEZZNS1_27merge_sort_block_merge_implIS3_N6thrust23THRUST_200600_302600_NS6detail15normal_iteratorINS9_10device_ptrIxEEEEPS5_jNS1_19radix_merge_compareILb0ELb1ExNS0_19identity_decomposerEEEEE10hipError_tT0_T1_T2_jT3_P12ihipStream_tbPNSt15iterator_traitsISK_E10value_typeEPNSQ_ISL_E10value_typeEPSM_NS1_7vsmem_tEENKUlT_SK_SL_SM_E_clISE_PxSF_SF_EESJ_SZ_SK_SL_SM_EUlSZ_E_NS1_11comp_targetILNS1_3genE8ELNS1_11target_archE1030ELNS1_3gpuE2ELNS1_3repE0EEENS1_48merge_mergepath_partition_config_static_selectorELNS0_4arch9wavefront6targetE1EEEvSL_,"axG",@progbits,_ZN7rocprim17ROCPRIM_400000_NS6detail17trampoline_kernelINS0_14default_configENS1_38merge_sort_block_merge_config_selectorIxNS0_10empty_typeEEEZZNS1_27merge_sort_block_merge_implIS3_N6thrust23THRUST_200600_302600_NS6detail15normal_iteratorINS9_10device_ptrIxEEEEPS5_jNS1_19radix_merge_compareILb0ELb1ExNS0_19identity_decomposerEEEEE10hipError_tT0_T1_T2_jT3_P12ihipStream_tbPNSt15iterator_traitsISK_E10value_typeEPNSQ_ISL_E10value_typeEPSM_NS1_7vsmem_tEENKUlT_SK_SL_SM_E_clISE_PxSF_SF_EESJ_SZ_SK_SL_SM_EUlSZ_E_NS1_11comp_targetILNS1_3genE8ELNS1_11target_archE1030ELNS1_3gpuE2ELNS1_3repE0EEENS1_48merge_mergepath_partition_config_static_selectorELNS0_4arch9wavefront6targetE1EEEvSL_,comdat
.Lfunc_end1498:
	.size	_ZN7rocprim17ROCPRIM_400000_NS6detail17trampoline_kernelINS0_14default_configENS1_38merge_sort_block_merge_config_selectorIxNS0_10empty_typeEEEZZNS1_27merge_sort_block_merge_implIS3_N6thrust23THRUST_200600_302600_NS6detail15normal_iteratorINS9_10device_ptrIxEEEEPS5_jNS1_19radix_merge_compareILb0ELb1ExNS0_19identity_decomposerEEEEE10hipError_tT0_T1_T2_jT3_P12ihipStream_tbPNSt15iterator_traitsISK_E10value_typeEPNSQ_ISL_E10value_typeEPSM_NS1_7vsmem_tEENKUlT_SK_SL_SM_E_clISE_PxSF_SF_EESJ_SZ_SK_SL_SM_EUlSZ_E_NS1_11comp_targetILNS1_3genE8ELNS1_11target_archE1030ELNS1_3gpuE2ELNS1_3repE0EEENS1_48merge_mergepath_partition_config_static_selectorELNS0_4arch9wavefront6targetE1EEEvSL_, .Lfunc_end1498-_ZN7rocprim17ROCPRIM_400000_NS6detail17trampoline_kernelINS0_14default_configENS1_38merge_sort_block_merge_config_selectorIxNS0_10empty_typeEEEZZNS1_27merge_sort_block_merge_implIS3_N6thrust23THRUST_200600_302600_NS6detail15normal_iteratorINS9_10device_ptrIxEEEEPS5_jNS1_19radix_merge_compareILb0ELb1ExNS0_19identity_decomposerEEEEE10hipError_tT0_T1_T2_jT3_P12ihipStream_tbPNSt15iterator_traitsISK_E10value_typeEPNSQ_ISL_E10value_typeEPSM_NS1_7vsmem_tEENKUlT_SK_SL_SM_E_clISE_PxSF_SF_EESJ_SZ_SK_SL_SM_EUlSZ_E_NS1_11comp_targetILNS1_3genE8ELNS1_11target_archE1030ELNS1_3gpuE2ELNS1_3repE0EEENS1_48merge_mergepath_partition_config_static_selectorELNS0_4arch9wavefront6targetE1EEEvSL_
                                        ; -- End function
	.section	.AMDGPU.csdata,"",@progbits
; Kernel info:
; codeLenInByte = 0
; NumSgprs: 6
; NumVgprs: 0
; NumAgprs: 0
; TotalNumVgprs: 0
; ScratchSize: 0
; MemoryBound: 0
; FloatMode: 240
; IeeeMode: 1
; LDSByteSize: 0 bytes/workgroup (compile time only)
; SGPRBlocks: 0
; VGPRBlocks: 0
; NumSGPRsForWavesPerEU: 6
; NumVGPRsForWavesPerEU: 1
; AccumOffset: 4
; Occupancy: 8
; WaveLimiterHint : 0
; COMPUTE_PGM_RSRC2:SCRATCH_EN: 0
; COMPUTE_PGM_RSRC2:USER_SGPR: 2
; COMPUTE_PGM_RSRC2:TRAP_HANDLER: 0
; COMPUTE_PGM_RSRC2:TGID_X_EN: 1
; COMPUTE_PGM_RSRC2:TGID_Y_EN: 0
; COMPUTE_PGM_RSRC2:TGID_Z_EN: 0
; COMPUTE_PGM_RSRC2:TIDIG_COMP_CNT: 0
; COMPUTE_PGM_RSRC3_GFX90A:ACCUM_OFFSET: 0
; COMPUTE_PGM_RSRC3_GFX90A:TG_SPLIT: 0
	.section	.text._ZN7rocprim17ROCPRIM_400000_NS6detail17trampoline_kernelINS0_14default_configENS1_38merge_sort_block_merge_config_selectorIxNS0_10empty_typeEEEZZNS1_27merge_sort_block_merge_implIS3_N6thrust23THRUST_200600_302600_NS6detail15normal_iteratorINS9_10device_ptrIxEEEEPS5_jNS1_19radix_merge_compareILb0ELb1ExNS0_19identity_decomposerEEEEE10hipError_tT0_T1_T2_jT3_P12ihipStream_tbPNSt15iterator_traitsISK_E10value_typeEPNSQ_ISL_E10value_typeEPSM_NS1_7vsmem_tEENKUlT_SK_SL_SM_E_clISE_PxSF_SF_EESJ_SZ_SK_SL_SM_EUlSZ_E0_NS1_11comp_targetILNS1_3genE0ELNS1_11target_archE4294967295ELNS1_3gpuE0ELNS1_3repE0EEENS1_38merge_mergepath_config_static_selectorELNS0_4arch9wavefront6targetE1EEEvSL_,"axG",@progbits,_ZN7rocprim17ROCPRIM_400000_NS6detail17trampoline_kernelINS0_14default_configENS1_38merge_sort_block_merge_config_selectorIxNS0_10empty_typeEEEZZNS1_27merge_sort_block_merge_implIS3_N6thrust23THRUST_200600_302600_NS6detail15normal_iteratorINS9_10device_ptrIxEEEEPS5_jNS1_19radix_merge_compareILb0ELb1ExNS0_19identity_decomposerEEEEE10hipError_tT0_T1_T2_jT3_P12ihipStream_tbPNSt15iterator_traitsISK_E10value_typeEPNSQ_ISL_E10value_typeEPSM_NS1_7vsmem_tEENKUlT_SK_SL_SM_E_clISE_PxSF_SF_EESJ_SZ_SK_SL_SM_EUlSZ_E0_NS1_11comp_targetILNS1_3genE0ELNS1_11target_archE4294967295ELNS1_3gpuE0ELNS1_3repE0EEENS1_38merge_mergepath_config_static_selectorELNS0_4arch9wavefront6targetE1EEEvSL_,comdat
	.protected	_ZN7rocprim17ROCPRIM_400000_NS6detail17trampoline_kernelINS0_14default_configENS1_38merge_sort_block_merge_config_selectorIxNS0_10empty_typeEEEZZNS1_27merge_sort_block_merge_implIS3_N6thrust23THRUST_200600_302600_NS6detail15normal_iteratorINS9_10device_ptrIxEEEEPS5_jNS1_19radix_merge_compareILb0ELb1ExNS0_19identity_decomposerEEEEE10hipError_tT0_T1_T2_jT3_P12ihipStream_tbPNSt15iterator_traitsISK_E10value_typeEPNSQ_ISL_E10value_typeEPSM_NS1_7vsmem_tEENKUlT_SK_SL_SM_E_clISE_PxSF_SF_EESJ_SZ_SK_SL_SM_EUlSZ_E0_NS1_11comp_targetILNS1_3genE0ELNS1_11target_archE4294967295ELNS1_3gpuE0ELNS1_3repE0EEENS1_38merge_mergepath_config_static_selectorELNS0_4arch9wavefront6targetE1EEEvSL_ ; -- Begin function _ZN7rocprim17ROCPRIM_400000_NS6detail17trampoline_kernelINS0_14default_configENS1_38merge_sort_block_merge_config_selectorIxNS0_10empty_typeEEEZZNS1_27merge_sort_block_merge_implIS3_N6thrust23THRUST_200600_302600_NS6detail15normal_iteratorINS9_10device_ptrIxEEEEPS5_jNS1_19radix_merge_compareILb0ELb1ExNS0_19identity_decomposerEEEEE10hipError_tT0_T1_T2_jT3_P12ihipStream_tbPNSt15iterator_traitsISK_E10value_typeEPNSQ_ISL_E10value_typeEPSM_NS1_7vsmem_tEENKUlT_SK_SL_SM_E_clISE_PxSF_SF_EESJ_SZ_SK_SL_SM_EUlSZ_E0_NS1_11comp_targetILNS1_3genE0ELNS1_11target_archE4294967295ELNS1_3gpuE0ELNS1_3repE0EEENS1_38merge_mergepath_config_static_selectorELNS0_4arch9wavefront6targetE1EEEvSL_
	.globl	_ZN7rocprim17ROCPRIM_400000_NS6detail17trampoline_kernelINS0_14default_configENS1_38merge_sort_block_merge_config_selectorIxNS0_10empty_typeEEEZZNS1_27merge_sort_block_merge_implIS3_N6thrust23THRUST_200600_302600_NS6detail15normal_iteratorINS9_10device_ptrIxEEEEPS5_jNS1_19radix_merge_compareILb0ELb1ExNS0_19identity_decomposerEEEEE10hipError_tT0_T1_T2_jT3_P12ihipStream_tbPNSt15iterator_traitsISK_E10value_typeEPNSQ_ISL_E10value_typeEPSM_NS1_7vsmem_tEENKUlT_SK_SL_SM_E_clISE_PxSF_SF_EESJ_SZ_SK_SL_SM_EUlSZ_E0_NS1_11comp_targetILNS1_3genE0ELNS1_11target_archE4294967295ELNS1_3gpuE0ELNS1_3repE0EEENS1_38merge_mergepath_config_static_selectorELNS0_4arch9wavefront6targetE1EEEvSL_
	.p2align	8
	.type	_ZN7rocprim17ROCPRIM_400000_NS6detail17trampoline_kernelINS0_14default_configENS1_38merge_sort_block_merge_config_selectorIxNS0_10empty_typeEEEZZNS1_27merge_sort_block_merge_implIS3_N6thrust23THRUST_200600_302600_NS6detail15normal_iteratorINS9_10device_ptrIxEEEEPS5_jNS1_19radix_merge_compareILb0ELb1ExNS0_19identity_decomposerEEEEE10hipError_tT0_T1_T2_jT3_P12ihipStream_tbPNSt15iterator_traitsISK_E10value_typeEPNSQ_ISL_E10value_typeEPSM_NS1_7vsmem_tEENKUlT_SK_SL_SM_E_clISE_PxSF_SF_EESJ_SZ_SK_SL_SM_EUlSZ_E0_NS1_11comp_targetILNS1_3genE0ELNS1_11target_archE4294967295ELNS1_3gpuE0ELNS1_3repE0EEENS1_38merge_mergepath_config_static_selectorELNS0_4arch9wavefront6targetE1EEEvSL_,@function
_ZN7rocprim17ROCPRIM_400000_NS6detail17trampoline_kernelINS0_14default_configENS1_38merge_sort_block_merge_config_selectorIxNS0_10empty_typeEEEZZNS1_27merge_sort_block_merge_implIS3_N6thrust23THRUST_200600_302600_NS6detail15normal_iteratorINS9_10device_ptrIxEEEEPS5_jNS1_19radix_merge_compareILb0ELb1ExNS0_19identity_decomposerEEEEE10hipError_tT0_T1_T2_jT3_P12ihipStream_tbPNSt15iterator_traitsISK_E10value_typeEPNSQ_ISL_E10value_typeEPSM_NS1_7vsmem_tEENKUlT_SK_SL_SM_E_clISE_PxSF_SF_EESJ_SZ_SK_SL_SM_EUlSZ_E0_NS1_11comp_targetILNS1_3genE0ELNS1_11target_archE4294967295ELNS1_3gpuE0ELNS1_3repE0EEENS1_38merge_mergepath_config_static_selectorELNS0_4arch9wavefront6targetE1EEEvSL_: ; @_ZN7rocprim17ROCPRIM_400000_NS6detail17trampoline_kernelINS0_14default_configENS1_38merge_sort_block_merge_config_selectorIxNS0_10empty_typeEEEZZNS1_27merge_sort_block_merge_implIS3_N6thrust23THRUST_200600_302600_NS6detail15normal_iteratorINS9_10device_ptrIxEEEEPS5_jNS1_19radix_merge_compareILb0ELb1ExNS0_19identity_decomposerEEEEE10hipError_tT0_T1_T2_jT3_P12ihipStream_tbPNSt15iterator_traitsISK_E10value_typeEPNSQ_ISL_E10value_typeEPSM_NS1_7vsmem_tEENKUlT_SK_SL_SM_E_clISE_PxSF_SF_EESJ_SZ_SK_SL_SM_EUlSZ_E0_NS1_11comp_targetILNS1_3genE0ELNS1_11target_archE4294967295ELNS1_3gpuE0ELNS1_3repE0EEENS1_38merge_mergepath_config_static_selectorELNS0_4arch9wavefront6targetE1EEEvSL_
; %bb.0:
	.section	.rodata,"a",@progbits
	.p2align	6, 0x0
	.amdhsa_kernel _ZN7rocprim17ROCPRIM_400000_NS6detail17trampoline_kernelINS0_14default_configENS1_38merge_sort_block_merge_config_selectorIxNS0_10empty_typeEEEZZNS1_27merge_sort_block_merge_implIS3_N6thrust23THRUST_200600_302600_NS6detail15normal_iteratorINS9_10device_ptrIxEEEEPS5_jNS1_19radix_merge_compareILb0ELb1ExNS0_19identity_decomposerEEEEE10hipError_tT0_T1_T2_jT3_P12ihipStream_tbPNSt15iterator_traitsISK_E10value_typeEPNSQ_ISL_E10value_typeEPSM_NS1_7vsmem_tEENKUlT_SK_SL_SM_E_clISE_PxSF_SF_EESJ_SZ_SK_SL_SM_EUlSZ_E0_NS1_11comp_targetILNS1_3genE0ELNS1_11target_archE4294967295ELNS1_3gpuE0ELNS1_3repE0EEENS1_38merge_mergepath_config_static_selectorELNS0_4arch9wavefront6targetE1EEEvSL_
		.amdhsa_group_segment_fixed_size 0
		.amdhsa_private_segment_fixed_size 0
		.amdhsa_kernarg_size 72
		.amdhsa_user_sgpr_count 2
		.amdhsa_user_sgpr_dispatch_ptr 0
		.amdhsa_user_sgpr_queue_ptr 0
		.amdhsa_user_sgpr_kernarg_segment_ptr 1
		.amdhsa_user_sgpr_dispatch_id 0
		.amdhsa_user_sgpr_kernarg_preload_length 0
		.amdhsa_user_sgpr_kernarg_preload_offset 0
		.amdhsa_user_sgpr_private_segment_size 0
		.amdhsa_uses_dynamic_stack 0
		.amdhsa_enable_private_segment 0
		.amdhsa_system_sgpr_workgroup_id_x 1
		.amdhsa_system_sgpr_workgroup_id_y 0
		.amdhsa_system_sgpr_workgroup_id_z 0
		.amdhsa_system_sgpr_workgroup_info 0
		.amdhsa_system_vgpr_workitem_id 0
		.amdhsa_next_free_vgpr 1
		.amdhsa_next_free_sgpr 0
		.amdhsa_accum_offset 4
		.amdhsa_reserve_vcc 0
		.amdhsa_float_round_mode_32 0
		.amdhsa_float_round_mode_16_64 0
		.amdhsa_float_denorm_mode_32 3
		.amdhsa_float_denorm_mode_16_64 3
		.amdhsa_dx10_clamp 1
		.amdhsa_ieee_mode 1
		.amdhsa_fp16_overflow 0
		.amdhsa_tg_split 0
		.amdhsa_exception_fp_ieee_invalid_op 0
		.amdhsa_exception_fp_denorm_src 0
		.amdhsa_exception_fp_ieee_div_zero 0
		.amdhsa_exception_fp_ieee_overflow 0
		.amdhsa_exception_fp_ieee_underflow 0
		.amdhsa_exception_fp_ieee_inexact 0
		.amdhsa_exception_int_div_zero 0
	.end_amdhsa_kernel
	.section	.text._ZN7rocprim17ROCPRIM_400000_NS6detail17trampoline_kernelINS0_14default_configENS1_38merge_sort_block_merge_config_selectorIxNS0_10empty_typeEEEZZNS1_27merge_sort_block_merge_implIS3_N6thrust23THRUST_200600_302600_NS6detail15normal_iteratorINS9_10device_ptrIxEEEEPS5_jNS1_19radix_merge_compareILb0ELb1ExNS0_19identity_decomposerEEEEE10hipError_tT0_T1_T2_jT3_P12ihipStream_tbPNSt15iterator_traitsISK_E10value_typeEPNSQ_ISL_E10value_typeEPSM_NS1_7vsmem_tEENKUlT_SK_SL_SM_E_clISE_PxSF_SF_EESJ_SZ_SK_SL_SM_EUlSZ_E0_NS1_11comp_targetILNS1_3genE0ELNS1_11target_archE4294967295ELNS1_3gpuE0ELNS1_3repE0EEENS1_38merge_mergepath_config_static_selectorELNS0_4arch9wavefront6targetE1EEEvSL_,"axG",@progbits,_ZN7rocprim17ROCPRIM_400000_NS6detail17trampoline_kernelINS0_14default_configENS1_38merge_sort_block_merge_config_selectorIxNS0_10empty_typeEEEZZNS1_27merge_sort_block_merge_implIS3_N6thrust23THRUST_200600_302600_NS6detail15normal_iteratorINS9_10device_ptrIxEEEEPS5_jNS1_19radix_merge_compareILb0ELb1ExNS0_19identity_decomposerEEEEE10hipError_tT0_T1_T2_jT3_P12ihipStream_tbPNSt15iterator_traitsISK_E10value_typeEPNSQ_ISL_E10value_typeEPSM_NS1_7vsmem_tEENKUlT_SK_SL_SM_E_clISE_PxSF_SF_EESJ_SZ_SK_SL_SM_EUlSZ_E0_NS1_11comp_targetILNS1_3genE0ELNS1_11target_archE4294967295ELNS1_3gpuE0ELNS1_3repE0EEENS1_38merge_mergepath_config_static_selectorELNS0_4arch9wavefront6targetE1EEEvSL_,comdat
.Lfunc_end1499:
	.size	_ZN7rocprim17ROCPRIM_400000_NS6detail17trampoline_kernelINS0_14default_configENS1_38merge_sort_block_merge_config_selectorIxNS0_10empty_typeEEEZZNS1_27merge_sort_block_merge_implIS3_N6thrust23THRUST_200600_302600_NS6detail15normal_iteratorINS9_10device_ptrIxEEEEPS5_jNS1_19radix_merge_compareILb0ELb1ExNS0_19identity_decomposerEEEEE10hipError_tT0_T1_T2_jT3_P12ihipStream_tbPNSt15iterator_traitsISK_E10value_typeEPNSQ_ISL_E10value_typeEPSM_NS1_7vsmem_tEENKUlT_SK_SL_SM_E_clISE_PxSF_SF_EESJ_SZ_SK_SL_SM_EUlSZ_E0_NS1_11comp_targetILNS1_3genE0ELNS1_11target_archE4294967295ELNS1_3gpuE0ELNS1_3repE0EEENS1_38merge_mergepath_config_static_selectorELNS0_4arch9wavefront6targetE1EEEvSL_, .Lfunc_end1499-_ZN7rocprim17ROCPRIM_400000_NS6detail17trampoline_kernelINS0_14default_configENS1_38merge_sort_block_merge_config_selectorIxNS0_10empty_typeEEEZZNS1_27merge_sort_block_merge_implIS3_N6thrust23THRUST_200600_302600_NS6detail15normal_iteratorINS9_10device_ptrIxEEEEPS5_jNS1_19radix_merge_compareILb0ELb1ExNS0_19identity_decomposerEEEEE10hipError_tT0_T1_T2_jT3_P12ihipStream_tbPNSt15iterator_traitsISK_E10value_typeEPNSQ_ISL_E10value_typeEPSM_NS1_7vsmem_tEENKUlT_SK_SL_SM_E_clISE_PxSF_SF_EESJ_SZ_SK_SL_SM_EUlSZ_E0_NS1_11comp_targetILNS1_3genE0ELNS1_11target_archE4294967295ELNS1_3gpuE0ELNS1_3repE0EEENS1_38merge_mergepath_config_static_selectorELNS0_4arch9wavefront6targetE1EEEvSL_
                                        ; -- End function
	.section	.AMDGPU.csdata,"",@progbits
; Kernel info:
; codeLenInByte = 0
; NumSgprs: 6
; NumVgprs: 0
; NumAgprs: 0
; TotalNumVgprs: 0
; ScratchSize: 0
; MemoryBound: 0
; FloatMode: 240
; IeeeMode: 1
; LDSByteSize: 0 bytes/workgroup (compile time only)
; SGPRBlocks: 0
; VGPRBlocks: 0
; NumSGPRsForWavesPerEU: 6
; NumVGPRsForWavesPerEU: 1
; AccumOffset: 4
; Occupancy: 8
; WaveLimiterHint : 0
; COMPUTE_PGM_RSRC2:SCRATCH_EN: 0
; COMPUTE_PGM_RSRC2:USER_SGPR: 2
; COMPUTE_PGM_RSRC2:TRAP_HANDLER: 0
; COMPUTE_PGM_RSRC2:TGID_X_EN: 1
; COMPUTE_PGM_RSRC2:TGID_Y_EN: 0
; COMPUTE_PGM_RSRC2:TGID_Z_EN: 0
; COMPUTE_PGM_RSRC2:TIDIG_COMP_CNT: 0
; COMPUTE_PGM_RSRC3_GFX90A:ACCUM_OFFSET: 0
; COMPUTE_PGM_RSRC3_GFX90A:TG_SPLIT: 0
	.section	.text._ZN7rocprim17ROCPRIM_400000_NS6detail17trampoline_kernelINS0_14default_configENS1_38merge_sort_block_merge_config_selectorIxNS0_10empty_typeEEEZZNS1_27merge_sort_block_merge_implIS3_N6thrust23THRUST_200600_302600_NS6detail15normal_iteratorINS9_10device_ptrIxEEEEPS5_jNS1_19radix_merge_compareILb0ELb1ExNS0_19identity_decomposerEEEEE10hipError_tT0_T1_T2_jT3_P12ihipStream_tbPNSt15iterator_traitsISK_E10value_typeEPNSQ_ISL_E10value_typeEPSM_NS1_7vsmem_tEENKUlT_SK_SL_SM_E_clISE_PxSF_SF_EESJ_SZ_SK_SL_SM_EUlSZ_E0_NS1_11comp_targetILNS1_3genE10ELNS1_11target_archE1201ELNS1_3gpuE5ELNS1_3repE0EEENS1_38merge_mergepath_config_static_selectorELNS0_4arch9wavefront6targetE1EEEvSL_,"axG",@progbits,_ZN7rocprim17ROCPRIM_400000_NS6detail17trampoline_kernelINS0_14default_configENS1_38merge_sort_block_merge_config_selectorIxNS0_10empty_typeEEEZZNS1_27merge_sort_block_merge_implIS3_N6thrust23THRUST_200600_302600_NS6detail15normal_iteratorINS9_10device_ptrIxEEEEPS5_jNS1_19radix_merge_compareILb0ELb1ExNS0_19identity_decomposerEEEEE10hipError_tT0_T1_T2_jT3_P12ihipStream_tbPNSt15iterator_traitsISK_E10value_typeEPNSQ_ISL_E10value_typeEPSM_NS1_7vsmem_tEENKUlT_SK_SL_SM_E_clISE_PxSF_SF_EESJ_SZ_SK_SL_SM_EUlSZ_E0_NS1_11comp_targetILNS1_3genE10ELNS1_11target_archE1201ELNS1_3gpuE5ELNS1_3repE0EEENS1_38merge_mergepath_config_static_selectorELNS0_4arch9wavefront6targetE1EEEvSL_,comdat
	.protected	_ZN7rocprim17ROCPRIM_400000_NS6detail17trampoline_kernelINS0_14default_configENS1_38merge_sort_block_merge_config_selectorIxNS0_10empty_typeEEEZZNS1_27merge_sort_block_merge_implIS3_N6thrust23THRUST_200600_302600_NS6detail15normal_iteratorINS9_10device_ptrIxEEEEPS5_jNS1_19radix_merge_compareILb0ELb1ExNS0_19identity_decomposerEEEEE10hipError_tT0_T1_T2_jT3_P12ihipStream_tbPNSt15iterator_traitsISK_E10value_typeEPNSQ_ISL_E10value_typeEPSM_NS1_7vsmem_tEENKUlT_SK_SL_SM_E_clISE_PxSF_SF_EESJ_SZ_SK_SL_SM_EUlSZ_E0_NS1_11comp_targetILNS1_3genE10ELNS1_11target_archE1201ELNS1_3gpuE5ELNS1_3repE0EEENS1_38merge_mergepath_config_static_selectorELNS0_4arch9wavefront6targetE1EEEvSL_ ; -- Begin function _ZN7rocprim17ROCPRIM_400000_NS6detail17trampoline_kernelINS0_14default_configENS1_38merge_sort_block_merge_config_selectorIxNS0_10empty_typeEEEZZNS1_27merge_sort_block_merge_implIS3_N6thrust23THRUST_200600_302600_NS6detail15normal_iteratorINS9_10device_ptrIxEEEEPS5_jNS1_19radix_merge_compareILb0ELb1ExNS0_19identity_decomposerEEEEE10hipError_tT0_T1_T2_jT3_P12ihipStream_tbPNSt15iterator_traitsISK_E10value_typeEPNSQ_ISL_E10value_typeEPSM_NS1_7vsmem_tEENKUlT_SK_SL_SM_E_clISE_PxSF_SF_EESJ_SZ_SK_SL_SM_EUlSZ_E0_NS1_11comp_targetILNS1_3genE10ELNS1_11target_archE1201ELNS1_3gpuE5ELNS1_3repE0EEENS1_38merge_mergepath_config_static_selectorELNS0_4arch9wavefront6targetE1EEEvSL_
	.globl	_ZN7rocprim17ROCPRIM_400000_NS6detail17trampoline_kernelINS0_14default_configENS1_38merge_sort_block_merge_config_selectorIxNS0_10empty_typeEEEZZNS1_27merge_sort_block_merge_implIS3_N6thrust23THRUST_200600_302600_NS6detail15normal_iteratorINS9_10device_ptrIxEEEEPS5_jNS1_19radix_merge_compareILb0ELb1ExNS0_19identity_decomposerEEEEE10hipError_tT0_T1_T2_jT3_P12ihipStream_tbPNSt15iterator_traitsISK_E10value_typeEPNSQ_ISL_E10value_typeEPSM_NS1_7vsmem_tEENKUlT_SK_SL_SM_E_clISE_PxSF_SF_EESJ_SZ_SK_SL_SM_EUlSZ_E0_NS1_11comp_targetILNS1_3genE10ELNS1_11target_archE1201ELNS1_3gpuE5ELNS1_3repE0EEENS1_38merge_mergepath_config_static_selectorELNS0_4arch9wavefront6targetE1EEEvSL_
	.p2align	8
	.type	_ZN7rocprim17ROCPRIM_400000_NS6detail17trampoline_kernelINS0_14default_configENS1_38merge_sort_block_merge_config_selectorIxNS0_10empty_typeEEEZZNS1_27merge_sort_block_merge_implIS3_N6thrust23THRUST_200600_302600_NS6detail15normal_iteratorINS9_10device_ptrIxEEEEPS5_jNS1_19radix_merge_compareILb0ELb1ExNS0_19identity_decomposerEEEEE10hipError_tT0_T1_T2_jT3_P12ihipStream_tbPNSt15iterator_traitsISK_E10value_typeEPNSQ_ISL_E10value_typeEPSM_NS1_7vsmem_tEENKUlT_SK_SL_SM_E_clISE_PxSF_SF_EESJ_SZ_SK_SL_SM_EUlSZ_E0_NS1_11comp_targetILNS1_3genE10ELNS1_11target_archE1201ELNS1_3gpuE5ELNS1_3repE0EEENS1_38merge_mergepath_config_static_selectorELNS0_4arch9wavefront6targetE1EEEvSL_,@function
_ZN7rocprim17ROCPRIM_400000_NS6detail17trampoline_kernelINS0_14default_configENS1_38merge_sort_block_merge_config_selectorIxNS0_10empty_typeEEEZZNS1_27merge_sort_block_merge_implIS3_N6thrust23THRUST_200600_302600_NS6detail15normal_iteratorINS9_10device_ptrIxEEEEPS5_jNS1_19radix_merge_compareILb0ELb1ExNS0_19identity_decomposerEEEEE10hipError_tT0_T1_T2_jT3_P12ihipStream_tbPNSt15iterator_traitsISK_E10value_typeEPNSQ_ISL_E10value_typeEPSM_NS1_7vsmem_tEENKUlT_SK_SL_SM_E_clISE_PxSF_SF_EESJ_SZ_SK_SL_SM_EUlSZ_E0_NS1_11comp_targetILNS1_3genE10ELNS1_11target_archE1201ELNS1_3gpuE5ELNS1_3repE0EEENS1_38merge_mergepath_config_static_selectorELNS0_4arch9wavefront6targetE1EEEvSL_: ; @_ZN7rocprim17ROCPRIM_400000_NS6detail17trampoline_kernelINS0_14default_configENS1_38merge_sort_block_merge_config_selectorIxNS0_10empty_typeEEEZZNS1_27merge_sort_block_merge_implIS3_N6thrust23THRUST_200600_302600_NS6detail15normal_iteratorINS9_10device_ptrIxEEEEPS5_jNS1_19radix_merge_compareILb0ELb1ExNS0_19identity_decomposerEEEEE10hipError_tT0_T1_T2_jT3_P12ihipStream_tbPNSt15iterator_traitsISK_E10value_typeEPNSQ_ISL_E10value_typeEPSM_NS1_7vsmem_tEENKUlT_SK_SL_SM_E_clISE_PxSF_SF_EESJ_SZ_SK_SL_SM_EUlSZ_E0_NS1_11comp_targetILNS1_3genE10ELNS1_11target_archE1201ELNS1_3gpuE5ELNS1_3repE0EEENS1_38merge_mergepath_config_static_selectorELNS0_4arch9wavefront6targetE1EEEvSL_
; %bb.0:
	.section	.rodata,"a",@progbits
	.p2align	6, 0x0
	.amdhsa_kernel _ZN7rocprim17ROCPRIM_400000_NS6detail17trampoline_kernelINS0_14default_configENS1_38merge_sort_block_merge_config_selectorIxNS0_10empty_typeEEEZZNS1_27merge_sort_block_merge_implIS3_N6thrust23THRUST_200600_302600_NS6detail15normal_iteratorINS9_10device_ptrIxEEEEPS5_jNS1_19radix_merge_compareILb0ELb1ExNS0_19identity_decomposerEEEEE10hipError_tT0_T1_T2_jT3_P12ihipStream_tbPNSt15iterator_traitsISK_E10value_typeEPNSQ_ISL_E10value_typeEPSM_NS1_7vsmem_tEENKUlT_SK_SL_SM_E_clISE_PxSF_SF_EESJ_SZ_SK_SL_SM_EUlSZ_E0_NS1_11comp_targetILNS1_3genE10ELNS1_11target_archE1201ELNS1_3gpuE5ELNS1_3repE0EEENS1_38merge_mergepath_config_static_selectorELNS0_4arch9wavefront6targetE1EEEvSL_
		.amdhsa_group_segment_fixed_size 0
		.amdhsa_private_segment_fixed_size 0
		.amdhsa_kernarg_size 72
		.amdhsa_user_sgpr_count 2
		.amdhsa_user_sgpr_dispatch_ptr 0
		.amdhsa_user_sgpr_queue_ptr 0
		.amdhsa_user_sgpr_kernarg_segment_ptr 1
		.amdhsa_user_sgpr_dispatch_id 0
		.amdhsa_user_sgpr_kernarg_preload_length 0
		.amdhsa_user_sgpr_kernarg_preload_offset 0
		.amdhsa_user_sgpr_private_segment_size 0
		.amdhsa_uses_dynamic_stack 0
		.amdhsa_enable_private_segment 0
		.amdhsa_system_sgpr_workgroup_id_x 1
		.amdhsa_system_sgpr_workgroup_id_y 0
		.amdhsa_system_sgpr_workgroup_id_z 0
		.amdhsa_system_sgpr_workgroup_info 0
		.amdhsa_system_vgpr_workitem_id 0
		.amdhsa_next_free_vgpr 1
		.amdhsa_next_free_sgpr 0
		.amdhsa_accum_offset 4
		.amdhsa_reserve_vcc 0
		.amdhsa_float_round_mode_32 0
		.amdhsa_float_round_mode_16_64 0
		.amdhsa_float_denorm_mode_32 3
		.amdhsa_float_denorm_mode_16_64 3
		.amdhsa_dx10_clamp 1
		.amdhsa_ieee_mode 1
		.amdhsa_fp16_overflow 0
		.amdhsa_tg_split 0
		.amdhsa_exception_fp_ieee_invalid_op 0
		.amdhsa_exception_fp_denorm_src 0
		.amdhsa_exception_fp_ieee_div_zero 0
		.amdhsa_exception_fp_ieee_overflow 0
		.amdhsa_exception_fp_ieee_underflow 0
		.amdhsa_exception_fp_ieee_inexact 0
		.amdhsa_exception_int_div_zero 0
	.end_amdhsa_kernel
	.section	.text._ZN7rocprim17ROCPRIM_400000_NS6detail17trampoline_kernelINS0_14default_configENS1_38merge_sort_block_merge_config_selectorIxNS0_10empty_typeEEEZZNS1_27merge_sort_block_merge_implIS3_N6thrust23THRUST_200600_302600_NS6detail15normal_iteratorINS9_10device_ptrIxEEEEPS5_jNS1_19radix_merge_compareILb0ELb1ExNS0_19identity_decomposerEEEEE10hipError_tT0_T1_T2_jT3_P12ihipStream_tbPNSt15iterator_traitsISK_E10value_typeEPNSQ_ISL_E10value_typeEPSM_NS1_7vsmem_tEENKUlT_SK_SL_SM_E_clISE_PxSF_SF_EESJ_SZ_SK_SL_SM_EUlSZ_E0_NS1_11comp_targetILNS1_3genE10ELNS1_11target_archE1201ELNS1_3gpuE5ELNS1_3repE0EEENS1_38merge_mergepath_config_static_selectorELNS0_4arch9wavefront6targetE1EEEvSL_,"axG",@progbits,_ZN7rocprim17ROCPRIM_400000_NS6detail17trampoline_kernelINS0_14default_configENS1_38merge_sort_block_merge_config_selectorIxNS0_10empty_typeEEEZZNS1_27merge_sort_block_merge_implIS3_N6thrust23THRUST_200600_302600_NS6detail15normal_iteratorINS9_10device_ptrIxEEEEPS5_jNS1_19radix_merge_compareILb0ELb1ExNS0_19identity_decomposerEEEEE10hipError_tT0_T1_T2_jT3_P12ihipStream_tbPNSt15iterator_traitsISK_E10value_typeEPNSQ_ISL_E10value_typeEPSM_NS1_7vsmem_tEENKUlT_SK_SL_SM_E_clISE_PxSF_SF_EESJ_SZ_SK_SL_SM_EUlSZ_E0_NS1_11comp_targetILNS1_3genE10ELNS1_11target_archE1201ELNS1_3gpuE5ELNS1_3repE0EEENS1_38merge_mergepath_config_static_selectorELNS0_4arch9wavefront6targetE1EEEvSL_,comdat
.Lfunc_end1500:
	.size	_ZN7rocprim17ROCPRIM_400000_NS6detail17trampoline_kernelINS0_14default_configENS1_38merge_sort_block_merge_config_selectorIxNS0_10empty_typeEEEZZNS1_27merge_sort_block_merge_implIS3_N6thrust23THRUST_200600_302600_NS6detail15normal_iteratorINS9_10device_ptrIxEEEEPS5_jNS1_19radix_merge_compareILb0ELb1ExNS0_19identity_decomposerEEEEE10hipError_tT0_T1_T2_jT3_P12ihipStream_tbPNSt15iterator_traitsISK_E10value_typeEPNSQ_ISL_E10value_typeEPSM_NS1_7vsmem_tEENKUlT_SK_SL_SM_E_clISE_PxSF_SF_EESJ_SZ_SK_SL_SM_EUlSZ_E0_NS1_11comp_targetILNS1_3genE10ELNS1_11target_archE1201ELNS1_3gpuE5ELNS1_3repE0EEENS1_38merge_mergepath_config_static_selectorELNS0_4arch9wavefront6targetE1EEEvSL_, .Lfunc_end1500-_ZN7rocprim17ROCPRIM_400000_NS6detail17trampoline_kernelINS0_14default_configENS1_38merge_sort_block_merge_config_selectorIxNS0_10empty_typeEEEZZNS1_27merge_sort_block_merge_implIS3_N6thrust23THRUST_200600_302600_NS6detail15normal_iteratorINS9_10device_ptrIxEEEEPS5_jNS1_19radix_merge_compareILb0ELb1ExNS0_19identity_decomposerEEEEE10hipError_tT0_T1_T2_jT3_P12ihipStream_tbPNSt15iterator_traitsISK_E10value_typeEPNSQ_ISL_E10value_typeEPSM_NS1_7vsmem_tEENKUlT_SK_SL_SM_E_clISE_PxSF_SF_EESJ_SZ_SK_SL_SM_EUlSZ_E0_NS1_11comp_targetILNS1_3genE10ELNS1_11target_archE1201ELNS1_3gpuE5ELNS1_3repE0EEENS1_38merge_mergepath_config_static_selectorELNS0_4arch9wavefront6targetE1EEEvSL_
                                        ; -- End function
	.section	.AMDGPU.csdata,"",@progbits
; Kernel info:
; codeLenInByte = 0
; NumSgprs: 6
; NumVgprs: 0
; NumAgprs: 0
; TotalNumVgprs: 0
; ScratchSize: 0
; MemoryBound: 0
; FloatMode: 240
; IeeeMode: 1
; LDSByteSize: 0 bytes/workgroup (compile time only)
; SGPRBlocks: 0
; VGPRBlocks: 0
; NumSGPRsForWavesPerEU: 6
; NumVGPRsForWavesPerEU: 1
; AccumOffset: 4
; Occupancy: 8
; WaveLimiterHint : 0
; COMPUTE_PGM_RSRC2:SCRATCH_EN: 0
; COMPUTE_PGM_RSRC2:USER_SGPR: 2
; COMPUTE_PGM_RSRC2:TRAP_HANDLER: 0
; COMPUTE_PGM_RSRC2:TGID_X_EN: 1
; COMPUTE_PGM_RSRC2:TGID_Y_EN: 0
; COMPUTE_PGM_RSRC2:TGID_Z_EN: 0
; COMPUTE_PGM_RSRC2:TIDIG_COMP_CNT: 0
; COMPUTE_PGM_RSRC3_GFX90A:ACCUM_OFFSET: 0
; COMPUTE_PGM_RSRC3_GFX90A:TG_SPLIT: 0
	.section	.text._ZN7rocprim17ROCPRIM_400000_NS6detail17trampoline_kernelINS0_14default_configENS1_38merge_sort_block_merge_config_selectorIxNS0_10empty_typeEEEZZNS1_27merge_sort_block_merge_implIS3_N6thrust23THRUST_200600_302600_NS6detail15normal_iteratorINS9_10device_ptrIxEEEEPS5_jNS1_19radix_merge_compareILb0ELb1ExNS0_19identity_decomposerEEEEE10hipError_tT0_T1_T2_jT3_P12ihipStream_tbPNSt15iterator_traitsISK_E10value_typeEPNSQ_ISL_E10value_typeEPSM_NS1_7vsmem_tEENKUlT_SK_SL_SM_E_clISE_PxSF_SF_EESJ_SZ_SK_SL_SM_EUlSZ_E0_NS1_11comp_targetILNS1_3genE5ELNS1_11target_archE942ELNS1_3gpuE9ELNS1_3repE0EEENS1_38merge_mergepath_config_static_selectorELNS0_4arch9wavefront6targetE1EEEvSL_,"axG",@progbits,_ZN7rocprim17ROCPRIM_400000_NS6detail17trampoline_kernelINS0_14default_configENS1_38merge_sort_block_merge_config_selectorIxNS0_10empty_typeEEEZZNS1_27merge_sort_block_merge_implIS3_N6thrust23THRUST_200600_302600_NS6detail15normal_iteratorINS9_10device_ptrIxEEEEPS5_jNS1_19radix_merge_compareILb0ELb1ExNS0_19identity_decomposerEEEEE10hipError_tT0_T1_T2_jT3_P12ihipStream_tbPNSt15iterator_traitsISK_E10value_typeEPNSQ_ISL_E10value_typeEPSM_NS1_7vsmem_tEENKUlT_SK_SL_SM_E_clISE_PxSF_SF_EESJ_SZ_SK_SL_SM_EUlSZ_E0_NS1_11comp_targetILNS1_3genE5ELNS1_11target_archE942ELNS1_3gpuE9ELNS1_3repE0EEENS1_38merge_mergepath_config_static_selectorELNS0_4arch9wavefront6targetE1EEEvSL_,comdat
	.protected	_ZN7rocprim17ROCPRIM_400000_NS6detail17trampoline_kernelINS0_14default_configENS1_38merge_sort_block_merge_config_selectorIxNS0_10empty_typeEEEZZNS1_27merge_sort_block_merge_implIS3_N6thrust23THRUST_200600_302600_NS6detail15normal_iteratorINS9_10device_ptrIxEEEEPS5_jNS1_19radix_merge_compareILb0ELb1ExNS0_19identity_decomposerEEEEE10hipError_tT0_T1_T2_jT3_P12ihipStream_tbPNSt15iterator_traitsISK_E10value_typeEPNSQ_ISL_E10value_typeEPSM_NS1_7vsmem_tEENKUlT_SK_SL_SM_E_clISE_PxSF_SF_EESJ_SZ_SK_SL_SM_EUlSZ_E0_NS1_11comp_targetILNS1_3genE5ELNS1_11target_archE942ELNS1_3gpuE9ELNS1_3repE0EEENS1_38merge_mergepath_config_static_selectorELNS0_4arch9wavefront6targetE1EEEvSL_ ; -- Begin function _ZN7rocprim17ROCPRIM_400000_NS6detail17trampoline_kernelINS0_14default_configENS1_38merge_sort_block_merge_config_selectorIxNS0_10empty_typeEEEZZNS1_27merge_sort_block_merge_implIS3_N6thrust23THRUST_200600_302600_NS6detail15normal_iteratorINS9_10device_ptrIxEEEEPS5_jNS1_19radix_merge_compareILb0ELb1ExNS0_19identity_decomposerEEEEE10hipError_tT0_T1_T2_jT3_P12ihipStream_tbPNSt15iterator_traitsISK_E10value_typeEPNSQ_ISL_E10value_typeEPSM_NS1_7vsmem_tEENKUlT_SK_SL_SM_E_clISE_PxSF_SF_EESJ_SZ_SK_SL_SM_EUlSZ_E0_NS1_11comp_targetILNS1_3genE5ELNS1_11target_archE942ELNS1_3gpuE9ELNS1_3repE0EEENS1_38merge_mergepath_config_static_selectorELNS0_4arch9wavefront6targetE1EEEvSL_
	.globl	_ZN7rocprim17ROCPRIM_400000_NS6detail17trampoline_kernelINS0_14default_configENS1_38merge_sort_block_merge_config_selectorIxNS0_10empty_typeEEEZZNS1_27merge_sort_block_merge_implIS3_N6thrust23THRUST_200600_302600_NS6detail15normal_iteratorINS9_10device_ptrIxEEEEPS5_jNS1_19radix_merge_compareILb0ELb1ExNS0_19identity_decomposerEEEEE10hipError_tT0_T1_T2_jT3_P12ihipStream_tbPNSt15iterator_traitsISK_E10value_typeEPNSQ_ISL_E10value_typeEPSM_NS1_7vsmem_tEENKUlT_SK_SL_SM_E_clISE_PxSF_SF_EESJ_SZ_SK_SL_SM_EUlSZ_E0_NS1_11comp_targetILNS1_3genE5ELNS1_11target_archE942ELNS1_3gpuE9ELNS1_3repE0EEENS1_38merge_mergepath_config_static_selectorELNS0_4arch9wavefront6targetE1EEEvSL_
	.p2align	8
	.type	_ZN7rocprim17ROCPRIM_400000_NS6detail17trampoline_kernelINS0_14default_configENS1_38merge_sort_block_merge_config_selectorIxNS0_10empty_typeEEEZZNS1_27merge_sort_block_merge_implIS3_N6thrust23THRUST_200600_302600_NS6detail15normal_iteratorINS9_10device_ptrIxEEEEPS5_jNS1_19radix_merge_compareILb0ELb1ExNS0_19identity_decomposerEEEEE10hipError_tT0_T1_T2_jT3_P12ihipStream_tbPNSt15iterator_traitsISK_E10value_typeEPNSQ_ISL_E10value_typeEPSM_NS1_7vsmem_tEENKUlT_SK_SL_SM_E_clISE_PxSF_SF_EESJ_SZ_SK_SL_SM_EUlSZ_E0_NS1_11comp_targetILNS1_3genE5ELNS1_11target_archE942ELNS1_3gpuE9ELNS1_3repE0EEENS1_38merge_mergepath_config_static_selectorELNS0_4arch9wavefront6targetE1EEEvSL_,@function
_ZN7rocprim17ROCPRIM_400000_NS6detail17trampoline_kernelINS0_14default_configENS1_38merge_sort_block_merge_config_selectorIxNS0_10empty_typeEEEZZNS1_27merge_sort_block_merge_implIS3_N6thrust23THRUST_200600_302600_NS6detail15normal_iteratorINS9_10device_ptrIxEEEEPS5_jNS1_19radix_merge_compareILb0ELb1ExNS0_19identity_decomposerEEEEE10hipError_tT0_T1_T2_jT3_P12ihipStream_tbPNSt15iterator_traitsISK_E10value_typeEPNSQ_ISL_E10value_typeEPSM_NS1_7vsmem_tEENKUlT_SK_SL_SM_E_clISE_PxSF_SF_EESJ_SZ_SK_SL_SM_EUlSZ_E0_NS1_11comp_targetILNS1_3genE5ELNS1_11target_archE942ELNS1_3gpuE9ELNS1_3repE0EEENS1_38merge_mergepath_config_static_selectorELNS0_4arch9wavefront6targetE1EEEvSL_: ; @_ZN7rocprim17ROCPRIM_400000_NS6detail17trampoline_kernelINS0_14default_configENS1_38merge_sort_block_merge_config_selectorIxNS0_10empty_typeEEEZZNS1_27merge_sort_block_merge_implIS3_N6thrust23THRUST_200600_302600_NS6detail15normal_iteratorINS9_10device_ptrIxEEEEPS5_jNS1_19radix_merge_compareILb0ELb1ExNS0_19identity_decomposerEEEEE10hipError_tT0_T1_T2_jT3_P12ihipStream_tbPNSt15iterator_traitsISK_E10value_typeEPNSQ_ISL_E10value_typeEPSM_NS1_7vsmem_tEENKUlT_SK_SL_SM_E_clISE_PxSF_SF_EESJ_SZ_SK_SL_SM_EUlSZ_E0_NS1_11comp_targetILNS1_3genE5ELNS1_11target_archE942ELNS1_3gpuE9ELNS1_3repE0EEENS1_38merge_mergepath_config_static_selectorELNS0_4arch9wavefront6targetE1EEEvSL_
; %bb.0:
	s_load_dwordx2 s[18:19], s[0:1], 0x48
	s_load_dword s5, s[0:1], 0x30
	s_add_u32 s8, s0, 0x48
	s_addc_u32 s9, s1, 0
	s_waitcnt lgkmcnt(0)
	s_mul_i32 s4, s19, s4
	s_add_i32 s3, s4, s3
	s_mul_i32 s3, s3, s18
	s_add_i32 s16, s3, s2
	s_cmp_ge_u32 s16, s5
	s_cbranch_scc1 .LBB1501_43
; %bb.1:
	s_load_dwordx2 s[10:11], s[0:1], 0x28
	s_load_dwordx2 s[4:5], s[0:1], 0x40
	;; [unrolled: 1-line block ×3, first 2 shown]
	s_mov_b32 s17, 0
	v_mov_b32_e32 v15, 0
	s_waitcnt lgkmcnt(0)
	s_lshr_b32 s19, s10, 10
	s_cmp_lg_u32 s16, s19
	s_cselect_b64 s[14:15], -1, 0
	s_lshl_b64 s[12:13], s[16:17], 2
	s_add_u32 s4, s4, s12
	s_addc_u32 s5, s5, s13
	s_lshr_b32 s3, s11, 9
	s_and_b32 s3, s3, 0x7ffffe
	s_load_dwordx2 s[4:5], s[4:5], 0x0
	s_sub_i32 s3, 0, s3
	s_and_b32 s13, s16, s3
	s_lshl_b32 s21, s13, 10
	s_lshl_b32 s12, s16, 10
	;; [unrolled: 1-line block ×3, first 2 shown]
	s_sub_i32 s20, s12, s21
	s_add_i32 s13, s13, s11
	s_add_i32 s22, s13, s20
	s_waitcnt lgkmcnt(0)
	s_sub_i32 s20, s22, s4
	s_sub_i32 s22, s22, s5
	;; [unrolled: 1-line block ×3, first 2 shown]
	s_min_u32 s20, s10, s20
	s_addk_i32 s22, 0x400
	s_or_b32 s3, s16, s3
	s_min_u32 s21, s10, s13
	s_add_i32 s13, s13, s11
	s_cmp_eq_u32 s3, -1
	s_cselect_b32 s3, s13, s22
	s_cselect_b32 s5, s21, s5
	s_min_u32 s3, s3, s10
	s_sub_i32 s11, s5, s4
	s_mov_b32 s5, s17
	s_sub_i32 s13, s3, s20
	s_lshl_b64 s[4:5], s[4:5], 3
	s_add_u32 s4, s6, s4
	s_mov_b32 s21, s17
	s_addc_u32 s5, s7, s5
	s_lshl_b64 s[20:21], s[20:21], 3
	s_add_u32 s6, s6, s20
	s_addc_u32 s7, s7, s21
	s_cmp_lt_u32 s2, s18
	s_cselect_b32 s2, 12, 18
	global_load_dword v1, v15, s[8:9] offset:14
	s_add_u32 s2, s8, s2
	s_addc_u32 s3, s9, 0
	global_load_ushort v2, v15, s[2:3]
	s_cmp_eq_u32 s16, s19
	v_lshlrev_b32_e32 v18, 3, v0
	s_waitcnt vmcnt(1)
	v_lshrrev_b32_e32 v3, 16, v1
	v_and_b32_e32 v1, 0xffff, v1
	v_mul_lo_u32 v1, v1, v3
	s_waitcnt vmcnt(0)
	v_mul_lo_u32 v1, v1, v2
	v_add_u32_e32 v22, v1, v0
	v_add_u32_e32 v20, v22, v1
	s_cbranch_scc1 .LBB1501_3
; %bb.2:
	v_subrev_u32_e32 v14, s11, v0
	v_mov_b32_e32 v19, v15
	v_lshl_add_u64 v[2:3], v[14:15], 3, s[6:7]
	v_lshl_add_u64 v[4:5], s[4:5], 0, v[18:19]
	v_cmp_gt_u32_e32 vcc, s11, v0
	v_subrev_u32_e32 v14, s11, v22
	v_mov_b32_e32 v23, v15
	v_cndmask_b32_e32 v3, v3, v5, vcc
	v_cndmask_b32_e32 v2, v2, v4, vcc
	v_lshl_add_u64 v[4:5], v[14:15], 3, s[6:7]
	v_lshl_add_u64 v[6:7], v[22:23], 3, s[4:5]
	v_cmp_gt_u32_e32 vcc, s11, v22
	v_subrev_u32_e32 v14, s11, v20
	v_mov_b32_e32 v21, v15
	v_add_u32_e32 v10, v20, v1
	v_cndmask_b32_e32 v5, v5, v7, vcc
	v_cndmask_b32_e32 v4, v4, v6, vcc
	v_lshl_add_u64 v[6:7], v[14:15], 3, s[6:7]
	v_lshl_add_u64 v[8:9], v[20:21], 3, s[4:5]
	v_cmp_gt_u32_e32 vcc, s11, v20
	v_subrev_u32_e32 v14, s11, v10
	v_mov_b32_e32 v11, v15
	v_cndmask_b32_e32 v7, v7, v9, vcc
	v_cndmask_b32_e32 v6, v6, v8, vcc
	v_lshl_add_u64 v[8:9], v[14:15], 3, s[6:7]
	v_lshl_add_u64 v[12:13], v[10:11], 3, s[4:5]
	v_cmp_gt_u32_e32 vcc, s11, v10
	global_load_dwordx2 v[2:3], v[2:3], off
	s_add_i32 s16, s13, s11
	v_cndmask_b32_e32 v8, v8, v12, vcc
	v_add_u32_e32 v12, v10, v1
	v_cndmask_b32_e32 v9, v9, v13, vcc
	v_subrev_u32_e32 v14, s11, v12
	v_mov_b32_e32 v13, v15
	v_lshl_add_u64 v[10:11], v[14:15], 3, s[6:7]
	v_lshl_add_u64 v[16:17], v[12:13], 3, s[4:5]
	v_cmp_gt_u32_e32 vcc, s11, v12
	global_load_dwordx2 v[4:5], v[4:5], off
	s_nop 0
	v_cndmask_b32_e32 v11, v11, v17, vcc
	v_cndmask_b32_e32 v10, v10, v16, vcc
	v_add_u32_e32 v16, v12, v1
	v_mov_b32_e32 v17, v15
	v_subrev_u32_e32 v14, s11, v16
	v_lshl_add_u64 v[24:25], v[16:17], 3, s[4:5]
	v_cmp_gt_u32_e32 vcc, s11, v16
	v_add_u32_e32 v16, v16, v1
	v_lshl_add_u64 v[12:13], v[14:15], 3, s[6:7]
	v_subrev_u32_e32 v14, s11, v16
	v_cndmask_b32_e32 v13, v13, v25, vcc
	v_cndmask_b32_e32 v12, v12, v24, vcc
	v_lshl_add_u64 v[24:25], v[14:15], 3, s[6:7]
	v_lshl_add_u64 v[14:15], v[16:17], 3, s[4:5]
	v_cmp_gt_u32_e32 vcc, s11, v16
	global_load_dwordx2 v[6:7], v[6:7], off
	s_mov_b64 s[2:3], -1
	v_cndmask_b32_e32 v15, v25, v15, vcc
	v_cndmask_b32_e32 v14, v24, v14, vcc
	global_load_dwordx2 v[8:9], v[8:9], off
	v_add_u32_e32 v24, v16, v1
	global_load_dwordx2 v[10:11], v[10:11], off
	s_nop 0
	global_load_dwordx2 v[12:13], v[12:13], off
	s_nop 0
	global_load_dwordx2 v[14:15], v[14:15], off
	s_cbranch_execz .LBB1501_4
	s_branch .LBB1501_17
.LBB1501_3:
	s_mov_b64 s[2:3], 0
                                        ; implicit-def: $vgpr24
                                        ; implicit-def: $vgpr2_vgpr3_vgpr4_vgpr5_vgpr6_vgpr7_vgpr8_vgpr9_vgpr10_vgpr11_vgpr12_vgpr13_vgpr14_vgpr15_vgpr16_vgpr17
                                        ; implicit-def: $sgpr16
.LBB1501_4:
	s_add_i32 s16, s13, s11
	v_cmp_gt_u32_e32 vcc, s16, v0
                                        ; implicit-def: $vgpr2_vgpr3_vgpr4_vgpr5_vgpr6_vgpr7_vgpr8_vgpr9_vgpr10_vgpr11_vgpr12_vgpr13_vgpr14_vgpr15_vgpr16_vgpr17
	s_and_saveexec_b64 s[2:3], vcc
	s_cbranch_execnz .LBB1501_44
; %bb.5:
	s_or_b64 exec, exec, s[2:3]
	v_cmp_gt_u32_e32 vcc, s16, v22
	s_and_saveexec_b64 s[2:3], vcc
	s_cbranch_execnz .LBB1501_45
.LBB1501_6:
	s_or_b64 exec, exec, s[2:3]
	v_cmp_gt_u32_e32 vcc, s16, v20
	s_and_saveexec_b64 s[2:3], vcc
	s_cbranch_execz .LBB1501_8
.LBB1501_7:
	v_mov_b32_e32 v21, 0
	v_subrev_u32_e32 v22, s11, v20
	v_mov_b32_e32 v23, v21
	s_waitcnt vmcnt(4)
	v_lshl_add_u64 v[6:7], v[20:21], 3, s[4:5]
	v_lshl_add_u64 v[22:23], v[22:23], 3, s[6:7]
	v_cmp_gt_u32_e32 vcc, s11, v20
	s_nop 1
	v_cndmask_b32_e32 v7, v23, v7, vcc
	v_cndmask_b32_e32 v6, v22, v6, vcc
	global_load_dwordx2 v[6:7], v[6:7], off
.LBB1501_8:
	s_or_b64 exec, exec, s[2:3]
	v_add_u32_e32 v20, v20, v1
	v_cmp_gt_u32_e32 vcc, s16, v20
	s_and_saveexec_b64 s[2:3], vcc
	s_cbranch_execz .LBB1501_10
; %bb.9:
	v_mov_b32_e32 v21, 0
	v_subrev_u32_e32 v22, s11, v20
	v_mov_b32_e32 v23, v21
	s_waitcnt vmcnt(3)
	v_lshl_add_u64 v[8:9], v[20:21], 3, s[4:5]
	v_lshl_add_u64 v[22:23], v[22:23], 3, s[6:7]
	v_cmp_gt_u32_e32 vcc, s11, v20
	s_nop 1
	v_cndmask_b32_e32 v9, v23, v9, vcc
	v_cndmask_b32_e32 v8, v22, v8, vcc
	global_load_dwordx2 v[8:9], v[8:9], off
.LBB1501_10:
	s_or_b64 exec, exec, s[2:3]
	v_add_u32_e32 v20, v20, v1
	v_cmp_gt_u32_e32 vcc, s16, v20
	s_and_saveexec_b64 s[2:3], vcc
	s_cbranch_execz .LBB1501_12
; %bb.11:
	v_mov_b32_e32 v21, 0
	v_subrev_u32_e32 v22, s11, v20
	v_mov_b32_e32 v23, v21
	s_waitcnt vmcnt(2)
	v_lshl_add_u64 v[10:11], v[20:21], 3, s[4:5]
	v_lshl_add_u64 v[22:23], v[22:23], 3, s[6:7]
	v_cmp_gt_u32_e32 vcc, s11, v20
	s_nop 1
	v_cndmask_b32_e32 v11, v23, v11, vcc
	v_cndmask_b32_e32 v10, v22, v10, vcc
	global_load_dwordx2 v[10:11], v[10:11], off
.LBB1501_12:
	;; [unrolled: 18-line block ×4, first 2 shown]
	s_or_b64 exec, exec, s[2:3]
	v_add_u32_e32 v24, v20, v1
	v_cmp_gt_u32_e64 s[2:3], s16, v24
.LBB1501_17:
	s_load_dwordx2 s[18:19], s[0:1], 0x38
	v_mov_b32_e32 v1, s16
	s_and_saveexec_b64 s[8:9], s[2:3]
	s_cbranch_execz .LBB1501_19
; %bb.18:
	v_mov_b32_e32 v17, 0
	v_subrev_u32_e32 v16, s11, v24
	v_mov_b32_e32 v25, v17
	v_lshl_add_u64 v[20:21], v[16:17], 3, s[6:7]
	v_lshl_add_u64 v[16:17], v[24:25], 3, s[4:5]
	v_cmp_gt_u32_e32 vcc, s11, v24
	v_mov_b32_e32 v1, s16
	s_nop 0
	v_cndmask_b32_e32 v17, v21, v17, vcc
	v_cndmask_b32_e32 v16, v20, v16, vcc
	global_load_dwordx2 v[16:17], v[16:17], off
.LBB1501_19:
	s_or_b64 exec, exec, s[8:9]
	s_load_dwordx2 s[16:17], s[0:1], 0x10
	v_min_u32_e32 v20, v1, v18
	v_sub_u32_e64 v19, v20, s13 clamp
	v_min_u32_e32 v21, s11, v20
	v_cmp_lt_u32_e32 vcc, v19, v21
	s_waitcnt vmcnt(0)
	ds_write2st64_b64 v18, v[2:3], v[4:5] offset1:2
	ds_write2st64_b64 v18, v[6:7], v[8:9] offset0:4 offset1:6
	ds_write2st64_b64 v18, v[10:11], v[12:13] offset0:8 offset1:10
	;; [unrolled: 1-line block ×3, first 2 shown]
	s_waitcnt lgkmcnt(0)
	s_barrier
	s_and_saveexec_b64 s[0:1], vcc
	s_cbranch_execz .LBB1501_23
; %bb.20:
	v_lshlrev_b32_e32 v22, 3, v20
	v_lshl_add_u32 v22, s11, 3, v22
	s_mov_b64 s[2:3], 0
.LBB1501_21:                            ; =>This Inner Loop Header: Depth=1
	v_add_u32_e32 v23, v21, v19
	v_lshrrev_b32_e32 v23, 1, v23
	v_not_b32_e32 v26, v23
	v_lshlrev_b32_e32 v24, 3, v23
	v_lshl_add_u32 v26, v26, 3, v22
	ds_read_b64 v[24:25], v24
	ds_read_b64 v[26:27], v26
	v_add_u32_e32 v28, 1, v23
	s_waitcnt lgkmcnt(1)
	v_and_b32_e32 v25, s19, v25
	v_and_b32_e32 v24, s18, v24
	s_waitcnt lgkmcnt(0)
	v_and_b32_e32 v27, s19, v27
	v_and_b32_e32 v26, s18, v26
	v_cmp_gt_i64_e32 vcc, v[24:25], v[26:27]
	s_nop 1
	v_cndmask_b32_e32 v21, v21, v23, vcc
	v_cndmask_b32_e32 v19, v28, v19, vcc
	v_cmp_ge_u32_e32 vcc, v19, v21
	s_or_b64 s[2:3], vcc, s[2:3]
	s_andn2_b64 exec, exec, s[2:3]
	s_cbranch_execnz .LBB1501_21
; %bb.22:
	s_or_b64 exec, exec, s[2:3]
.LBB1501_23:
	s_or_b64 exec, exec, s[0:1]
	v_sub_u32_e32 v20, v20, v19
	v_add_u32_e32 v20, s11, v20
	v_cmp_ge_u32_e32 vcc, s11, v19
	v_cmp_le_u32_e64 s[0:1], v20, v1
	s_or_b64 s[0:1], vcc, s[0:1]
	s_and_saveexec_b64 s[20:21], s[0:1]
	s_cbranch_execz .LBB1501_29
; %bb.24:
	v_cmp_gt_u32_e32 vcc, s11, v19
                                        ; implicit-def: $vgpr2_vgpr3
	s_and_saveexec_b64 s[0:1], vcc
	s_cbranch_execz .LBB1501_26
; %bb.25:
	v_lshlrev_b32_e32 v2, 3, v19
	ds_read_b64 v[2:3], v2
.LBB1501_26:
	s_or_b64 exec, exec, s[0:1]
	v_cmp_ge_u32_e64 s[0:1], v20, v1
	v_cmp_lt_u32_e64 s[2:3], v20, v1
                                        ; implicit-def: $vgpr4_vgpr5
	s_and_saveexec_b64 s[4:5], s[2:3]
	s_cbranch_execz .LBB1501_28
; %bb.27:
	v_lshlrev_b32_e32 v4, 3, v20
	ds_read_b64 v[4:5], v4
.LBB1501_28:
	s_or_b64 exec, exec, s[4:5]
	s_waitcnt lgkmcnt(0)
	v_and_b32_e32 v7, s19, v5
	v_and_b32_e32 v6, s18, v4
	;; [unrolled: 1-line block ×4, first 2 shown]
	v_cmp_le_i64_e64 s[2:3], v[8:9], v[6:7]
	s_and_b64 s[2:3], vcc, s[2:3]
	s_or_b64 s[0:1], s[0:1], s[2:3]
	v_mov_b32_e32 v16, s11
	v_cndmask_b32_e64 v6, v20, v19, s[0:1]
	v_cndmask_b32_e64 v7, v1, v16, s[0:1]
	v_add_u32_e32 v8, 1, v6
	v_add_u32_e32 v6, -1, v7
	v_min_u32_e32 v6, v8, v6
	v_lshlrev_b32_e32 v6, 3, v6
	ds_read_b64 v[6:7], v6
	v_cndmask_b32_e64 v14, v8, v20, s[0:1]
	v_cndmask_b32_e64 v15, v19, v8, s[0:1]
	v_cmp_gt_u32_e64 s[2:3], s11, v15
	v_cmp_ge_u32_e32 vcc, v14, v1
	s_waitcnt lgkmcnt(0)
	v_cndmask_b32_e64 v10, v7, v5, s[0:1]
	v_cndmask_b32_e64 v11, v6, v4, s[0:1]
	;; [unrolled: 1-line block ×4, first 2 shown]
	v_and_b32_e32 v7, s19, v10
	v_and_b32_e32 v6, s18, v11
	;; [unrolled: 1-line block ×4, first 2 shown]
	v_cmp_le_i64_e64 s[4:5], v[8:9], v[6:7]
	s_and_b64 s[2:3], s[2:3], s[4:5]
	s_or_b64 vcc, vcc, s[2:3]
	v_cndmask_b32_e32 v6, v14, v15, vcc
	v_cndmask_b32_e32 v7, v1, v16, vcc
	v_add_u32_e32 v8, 1, v6
	v_add_u32_e32 v6, -1, v7
	v_min_u32_e32 v6, v8, v6
	v_lshlrev_b32_e32 v6, 3, v6
	ds_read_b64 v[6:7], v6
	v_cndmask_b32_e32 v14, v8, v14, vcc
	v_cndmask_b32_e32 v15, v15, v8, vcc
	v_cmp_gt_u32_e64 s[4:5], s11, v15
	v_cmp_ge_u32_e64 s[2:3], v14, v1
	s_waitcnt lgkmcnt(0)
	v_cndmask_b32_e32 v17, v7, v10, vcc
	v_cndmask_b32_e32 v19, v6, v11, vcc
	;; [unrolled: 1-line block ×4, first 2 shown]
	v_and_b32_e32 v7, s19, v17
	v_and_b32_e32 v6, s18, v19
	;; [unrolled: 1-line block ×4, first 2 shown]
	v_cmp_le_i64_e64 s[6:7], v[8:9], v[6:7]
	s_and_b64 s[4:5], s[4:5], s[6:7]
	s_or_b64 s[2:3], s[2:3], s[4:5]
	v_cndmask_b32_e64 v6, v14, v15, s[2:3]
	v_cndmask_b32_e64 v7, v1, v16, s[2:3]
	v_add_u32_e32 v8, 1, v6
	v_add_u32_e32 v6, -1, v7
	v_min_u32_e32 v6, v8, v6
	v_lshlrev_b32_e32 v6, 3, v6
	ds_read_b64 v[6:7], v6
	v_cndmask_b32_e64 v14, v8, v14, s[2:3]
	v_cndmask_b32_e64 v15, v15, v8, s[2:3]
	v_cmp_gt_u32_e64 s[6:7], s11, v15
	v_cmp_ge_u32_e64 s[4:5], v14, v1
	s_waitcnt lgkmcnt(0)
	v_cndmask_b32_e64 v22, v7, v17, s[2:3]
	v_cndmask_b32_e64 v23, v6, v19, s[2:3]
	;; [unrolled: 1-line block ×4, first 2 shown]
	v_and_b32_e32 v7, s19, v22
	v_and_b32_e32 v6, s18, v23
	;; [unrolled: 1-line block ×4, first 2 shown]
	v_cmp_le_i64_e64 s[8:9], v[8:9], v[6:7]
	s_and_b64 s[6:7], s[6:7], s[8:9]
	s_or_b64 s[4:5], s[4:5], s[6:7]
	v_cndmask_b32_e64 v6, v14, v15, s[4:5]
	v_cndmask_b32_e64 v7, v1, v16, s[4:5]
	v_add_u32_e32 v8, 1, v6
	v_add_u32_e32 v6, -1, v7
	v_min_u32_e32 v6, v8, v6
	v_lshlrev_b32_e32 v6, 3, v6
	ds_read_b64 v[6:7], v6
	v_cndmask_b32_e64 v3, v5, v3, s[0:1]
	v_cndmask_b32_e64 v2, v4, v2, s[0:1]
	;; [unrolled: 1-line block ×4, first 2 shown]
	s_waitcnt lgkmcnt(0)
	v_cndmask_b32_e64 v26, v7, v22, s[4:5]
	v_cndmask_b32_e64 v27, v6, v23, s[4:5]
	;; [unrolled: 1-line block ×4, first 2 shown]
	v_and_b32_e32 v5, s19, v26
	v_and_b32_e32 v4, s18, v27
	;; [unrolled: 1-line block ×4, first 2 shown]
	v_cmp_gt_u32_e64 s[6:7], s11, v15
	v_cmp_le_i64_e64 s[8:9], v[6:7], v[4:5]
	v_cmp_ge_u32_e64 s[0:1], v14, v1
	s_and_b64 s[6:7], s[6:7], s[8:9]
	s_or_b64 s[0:1], s[0:1], s[6:7]
	v_cndmask_b32_e64 v4, v14, v15, s[0:1]
	v_cndmask_b32_e64 v5, v1, v16, s[0:1]
	v_add_u32_e32 v30, 1, v4
	v_add_u32_e32 v4, -1, v5
	v_min_u32_e32 v4, v30, v4
	v_lshlrev_b32_e32 v4, 3, v4
	ds_read_b64 v[8:9], v4
	v_cndmask_b32_e64 v7, v17, v20, s[2:3]
	v_cndmask_b32_e64 v6, v19, v21, s[2:3]
	v_cndmask_b32_e32 v5, v10, v12, vcc
	v_cndmask_b32_e32 v4, v11, v13, vcc
	s_waitcnt lgkmcnt(0)
	v_cndmask_b32_e64 v19, v9, v26, s[0:1]
	v_cndmask_b32_e64 v20, v8, v27, s[0:1]
	;; [unrolled: 1-line block ×5, first 2 shown]
	v_and_b32_e32 v9, s19, v19
	v_and_b32_e32 v8, s18, v20
	;; [unrolled: 1-line block ×4, first 2 shown]
	v_cndmask_b32_e64 v14, v30, v14, s[0:1]
	v_cmp_gt_u32_e64 s[2:3], s11, v15
	v_cmp_le_i64_e64 s[6:7], v[10:11], v[8:9]
	v_cmp_ge_u32_e32 vcc, v14, v1
	s_and_b64 s[2:3], s[2:3], s[6:7]
	s_or_b64 vcc, vcc, s[2:3]
	v_cndmask_b32_e32 v8, v14, v15, vcc
	v_cndmask_b32_e32 v9, v1, v16, vcc
	v_add_u32_e32 v17, 1, v8
	v_add_u32_e32 v8, -1, v9
	v_min_u32_e32 v8, v17, v8
	v_lshlrev_b32_e32 v8, 3, v8
	ds_read_b64 v[12:13], v8
	v_cndmask_b32_e64 v9, v22, v24, s[4:5]
	v_cndmask_b32_e64 v8, v23, v25, s[4:5]
	;; [unrolled: 1-line block ×4, first 2 shown]
	s_waitcnt lgkmcnt(0)
	v_cndmask_b32_e32 v22, v13, v19, vcc
	v_cndmask_b32_e32 v23, v12, v20, vcc
	;; [unrolled: 1-line block ×6, first 2 shown]
	v_and_b32_e32 v13, s19, v22
	v_and_b32_e32 v12, s18, v23
	;; [unrolled: 1-line block ×4, first 2 shown]
	v_cmp_gt_u32_e64 s[2:3], s11, v27
	v_cmp_le_i64_e64 s[4:5], v[14:15], v[12:13]
	v_cmp_ge_u32_e64 s[0:1], v26, v1
	s_and_b64 s[2:3], s[2:3], s[4:5]
	s_or_b64 s[0:1], s[0:1], s[2:3]
	v_cndmask_b32_e64 v12, v26, v27, s[0:1]
	v_cndmask_b32_e64 v13, v1, v16, s[0:1]
	v_add_u32_e32 v28, 1, v12
	v_add_u32_e32 v12, -1, v13
	v_min_u32_e32 v12, v28, v12
	v_lshlrev_b32_e32 v12, 3, v12
	ds_read_b64 v[16:17], v12
	v_cndmask_b32_e32 v13, v19, v21, vcc
	v_cndmask_b32_e64 v15, v22, v24, s[0:1]
	v_cndmask_b32_e64 v14, v23, v25, s[0:1]
	v_cndmask_b32_e32 v12, v20, v31, vcc
	s_waitcnt lgkmcnt(0)
	v_cndmask_b32_e64 v19, v17, v22, s[0:1]
	v_cndmask_b32_e64 v22, v16, v23, s[0:1]
	;; [unrolled: 1-line block ×6, first 2 shown]
	v_cmp_ge_u32_e32 vcc, v16, v1
	v_cmp_gt_u32_e64 s[0:1], s11, v17
	v_and_b32_e32 v17, s19, v19
	v_and_b32_e32 v16, s18, v22
	;; [unrolled: 1-line block ×4, first 2 shown]
	v_cmp_le_i64_e64 s[2:3], v[20:21], v[16:17]
	s_and_b64 s[0:1], s[0:1], s[2:3]
	s_or_b64 vcc, vcc, s[0:1]
	v_cndmask_b32_e32 v17, v19, v23, vcc
	v_cndmask_b32_e32 v16, v22, v24, vcc
.LBB1501_29:
	s_or_b64 exec, exec, s[20:21]
	v_lshrrev_b32_e32 v1, 2, v0
	v_lshlrev_b32_e32 v19, 3, v18
	v_lshl_add_u32 v19, v1, 3, v19
	v_and_b32_e32 v1, 24, v1
	v_or_b32_e32 v25, 0x80, v0
	v_add_u32_e32 v26, v18, v1
	v_lshrrev_b32_e32 v1, 2, v25
	v_and_b32_e32 v1, 56, v1
	v_or_b32_e32 v24, 0x100, v0
	s_barrier
	s_barrier
	ds_write2_b64 v19, v[2:3], v[4:5] offset1:1
	ds_write2_b64 v19, v[6:7], v[8:9] offset0:2 offset1:3
	ds_write2_b64 v19, v[10:11], v[12:13] offset0:4 offset1:5
	;; [unrolled: 1-line block ×3, first 2 shown]
	v_add_u32_e32 v6, v18, v1
	v_lshrrev_b32_e32 v1, 2, v24
	v_and_b32_e32 v1, 0x58, v1
	v_or_b32_e32 v23, 0x180, v0
	v_add_u32_e32 v7, v18, v1
	v_lshrrev_b32_e32 v1, 2, v23
	v_and_b32_e32 v1, 0x78, v1
	v_or_b32_e32 v22, 0x200, v0
	v_add_u32_e32 v8, v18, v1
	v_lshrrev_b32_e32 v1, 2, v22
	v_and_b32_e32 v1, 0x98, v1
	v_or_b32_e32 v21, 0x280, v0
	v_add_u32_e32 v9, v18, v1
	v_lshrrev_b32_e32 v1, 2, v21
	v_and_b32_e32 v1, 0xb8, v1
	v_or_b32_e32 v20, 0x300, v0
	v_add_u32_e32 v27, v18, v1
	v_lshrrev_b32_e32 v1, 2, v20
	s_mov_b32 s13, 0
	v_and_b32_e32 v1, 0xd8, v1
	s_lshl_b64 s[0:1], s[12:13], 3
	v_add_u32_e32 v28, v18, v1
	v_or_b32_e32 v1, 0x380, v0
	s_add_u32 s0, s16, s0
	v_lshrrev_b32_e32 v2, 2, v1
	s_addc_u32 s1, s17, s1
	v_and_b32_e32 v2, 0xf8, v2
	v_mov_b32_e32 v19, 0
	v_add_u32_e32 v29, v18, v2
	v_lshl_add_u64 v[2:3], s[0:1], 0, v[18:19]
	s_and_b64 vcc, exec, s[14:15]
	s_waitcnt lgkmcnt(0)
	s_cbranch_vccz .LBB1501_31
; %bb.30:
	s_barrier
	ds_read_b64 v[10:11], v26
	ds_read_b64 v[12:13], v6 offset:1024
	ds_read_b64 v[14:15], v7 offset:2048
	;; [unrolled: 1-line block ×7, first 2 shown]
	s_waitcnt lgkmcnt(7)
	global_store_dwordx2 v[2:3], v[10:11], off
	s_waitcnt lgkmcnt(6)
	global_store_dwordx2 v[2:3], v[12:13], off offset:1024
	s_waitcnt lgkmcnt(5)
	global_store_dwordx2 v[2:3], v[14:15], off offset:2048
	s_waitcnt lgkmcnt(4)
	global_store_dwordx2 v[2:3], v[16:17], off offset:3072
	v_add_co_u32_e32 v10, vcc, 0x1000, v2
	s_nop 1
	v_addc_co_u32_e32 v11, vcc, 0, v3, vcc
	s_waitcnt lgkmcnt(3)
	global_store_dwordx2 v[10:11], v[18:19], off
	s_waitcnt lgkmcnt(2)
	global_store_dwordx2 v[10:11], v[30:31], off offset:1024
	s_waitcnt lgkmcnt(1)
	global_store_dwordx2 v[10:11], v[32:33], off offset:2048
	s_mov_b64 s[0:1], -1
	s_cbranch_execz .LBB1501_32
	s_branch .LBB1501_41
.LBB1501_31:
	s_mov_b64 s[0:1], 0
                                        ; implicit-def: $vgpr4_vgpr5
.LBB1501_32:
	s_barrier
	s_waitcnt lgkmcnt(0)
	ds_read_b64 v[16:17], v6 offset:1024
	ds_read_b64 v[14:15], v7 offset:2048
	;; [unrolled: 1-line block ×7, first 2 shown]
	s_sub_i32 s2, s10, s12
	v_cmp_gt_u32_e32 vcc, s2, v0
	s_and_saveexec_b64 s[0:1], vcc
	s_cbranch_execnz .LBB1501_46
; %bb.33:
	s_or_b64 exec, exec, s[0:1]
	v_cmp_gt_u32_e32 vcc, s2, v25
	s_and_saveexec_b64 s[0:1], vcc
	s_cbranch_execnz .LBB1501_47
.LBB1501_34:
	s_or_b64 exec, exec, s[0:1]
	v_cmp_gt_u32_e32 vcc, s2, v24
	s_and_saveexec_b64 s[0:1], vcc
	s_cbranch_execnz .LBB1501_48
.LBB1501_35:
	s_or_b64 exec, exec, s[0:1]
	v_cmp_gt_u32_e32 vcc, s2, v23
	s_and_saveexec_b64 s[0:1], vcc
	s_cbranch_execnz .LBB1501_49
.LBB1501_36:
	s_or_b64 exec, exec, s[0:1]
	v_cmp_gt_u32_e32 vcc, s2, v22
	s_and_saveexec_b64 s[0:1], vcc
	s_cbranch_execnz .LBB1501_50
.LBB1501_37:
	s_or_b64 exec, exec, s[0:1]
	v_cmp_gt_u32_e32 vcc, s2, v21
	s_and_saveexec_b64 s[0:1], vcc
	s_cbranch_execnz .LBB1501_51
.LBB1501_38:
	s_or_b64 exec, exec, s[0:1]
	v_cmp_gt_u32_e32 vcc, s2, v20
	s_and_saveexec_b64 s[0:1], vcc
	s_cbranch_execz .LBB1501_40
.LBB1501_39:
	s_waitcnt lgkmcnt(2)
	v_add_co_u32_e32 v8, vcc, 0x1000, v2
	s_nop 1
	v_addc_co_u32_e32 v9, vcc, 0, v3, vcc
	s_waitcnt lgkmcnt(1)
	global_store_dwordx2 v[8:9], v[6:7], off offset:2048
.LBB1501_40:
	s_or_b64 exec, exec, s[0:1]
	v_cmp_gt_u32_e64 s[0:1], s2, v1
.LBB1501_41:
	s_and_saveexec_b64 s[2:3], s[0:1]
	s_cbranch_execz .LBB1501_43
; %bb.42:
	v_add_co_u32_e32 v0, vcc, 0x1000, v2
	s_nop 1
	v_addc_co_u32_e32 v1, vcc, 0, v3, vcc
	s_waitcnt lgkmcnt(0)
	global_store_dwordx2 v[0:1], v[4:5], off offset:3072
.LBB1501_43:
	s_endpgm
.LBB1501_44:
	v_mov_b32_e32 v19, 0
	s_waitcnt vmcnt(5)
	v_subrev_u32_e32 v4, s11, v0
	v_mov_b32_e32 v5, v19
	v_lshl_add_u64 v[2:3], s[4:5], 0, v[18:19]
	v_lshl_add_u64 v[4:5], v[4:5], 3, s[6:7]
	v_cmp_gt_u32_e32 vcc, s11, v0
	s_nop 1
	v_cndmask_b32_e32 v3, v5, v3, vcc
	v_cndmask_b32_e32 v2, v4, v2, vcc
	global_load_dwordx2 v[2:3], v[2:3], off
	s_or_b64 exec, exec, s[2:3]
	v_cmp_gt_u32_e32 vcc, s16, v22
	s_and_saveexec_b64 s[2:3], vcc
	s_cbranch_execz .LBB1501_6
.LBB1501_45:
	v_mov_b32_e32 v23, 0
	s_waitcnt vmcnt(5)
	v_lshl_add_u64 v[4:5], v[22:23], 3, s[4:5]
	v_cmp_gt_u32_e32 vcc, s11, v22
	v_subrev_u32_e32 v22, s11, v22
	v_lshl_add_u64 v[22:23], v[22:23], 3, s[6:7]
	v_cndmask_b32_e32 v5, v23, v5, vcc
	v_cndmask_b32_e32 v4, v22, v4, vcc
	global_load_dwordx2 v[4:5], v[4:5], off
	s_or_b64 exec, exec, s[2:3]
	v_cmp_gt_u32_e32 vcc, s16, v20
	s_and_saveexec_b64 s[2:3], vcc
	s_cbranch_execnz .LBB1501_7
	s_branch .LBB1501_8
.LBB1501_46:
	ds_read_b64 v[18:19], v26
	s_waitcnt lgkmcnt(0)
	global_store_dwordx2 v[2:3], v[18:19], off
	s_or_b64 exec, exec, s[0:1]
	v_cmp_gt_u32_e32 vcc, s2, v25
	s_and_saveexec_b64 s[0:1], vcc
	s_cbranch_execz .LBB1501_34
.LBB1501_47:
	s_waitcnt lgkmcnt(6)
	global_store_dwordx2 v[2:3], v[16:17], off offset:1024
	s_or_b64 exec, exec, s[0:1]
	v_cmp_gt_u32_e32 vcc, s2, v24
	s_and_saveexec_b64 s[0:1], vcc
	s_cbranch_execz .LBB1501_35
.LBB1501_48:
	s_waitcnt lgkmcnt(5)
	global_store_dwordx2 v[2:3], v[14:15], off offset:2048
	s_or_b64 exec, exec, s[0:1]
	v_cmp_gt_u32_e32 vcc, s2, v23
	s_and_saveexec_b64 s[0:1], vcc
	s_cbranch_execz .LBB1501_36
.LBB1501_49:
	s_waitcnt lgkmcnt(4)
	global_store_dwordx2 v[2:3], v[12:13], off offset:3072
	s_or_b64 exec, exec, s[0:1]
	v_cmp_gt_u32_e32 vcc, s2, v22
	s_and_saveexec_b64 s[0:1], vcc
	s_cbranch_execz .LBB1501_37
.LBB1501_50:
	s_waitcnt lgkmcnt(4)
	v_add_co_u32_e32 v12, vcc, 0x1000, v2
	s_nop 1
	v_addc_co_u32_e32 v13, vcc, 0, v3, vcc
	s_waitcnt lgkmcnt(3)
	global_store_dwordx2 v[12:13], v[10:11], off
	s_or_b64 exec, exec, s[0:1]
	v_cmp_gt_u32_e32 vcc, s2, v21
	s_and_saveexec_b64 s[0:1], vcc
	s_cbranch_execz .LBB1501_38
.LBB1501_51:
	s_waitcnt lgkmcnt(3)
	v_add_co_u32_e32 v10, vcc, 0x1000, v2
	s_nop 1
	v_addc_co_u32_e32 v11, vcc, 0, v3, vcc
	s_waitcnt lgkmcnt(2)
	global_store_dwordx2 v[10:11], v[8:9], off offset:1024
	s_or_b64 exec, exec, s[0:1]
	v_cmp_gt_u32_e32 vcc, s2, v20
	s_and_saveexec_b64 s[0:1], vcc
	s_cbranch_execnz .LBB1501_39
	s_branch .LBB1501_40
	.section	.rodata,"a",@progbits
	.p2align	6, 0x0
	.amdhsa_kernel _ZN7rocprim17ROCPRIM_400000_NS6detail17trampoline_kernelINS0_14default_configENS1_38merge_sort_block_merge_config_selectorIxNS0_10empty_typeEEEZZNS1_27merge_sort_block_merge_implIS3_N6thrust23THRUST_200600_302600_NS6detail15normal_iteratorINS9_10device_ptrIxEEEEPS5_jNS1_19radix_merge_compareILb0ELb1ExNS0_19identity_decomposerEEEEE10hipError_tT0_T1_T2_jT3_P12ihipStream_tbPNSt15iterator_traitsISK_E10value_typeEPNSQ_ISL_E10value_typeEPSM_NS1_7vsmem_tEENKUlT_SK_SL_SM_E_clISE_PxSF_SF_EESJ_SZ_SK_SL_SM_EUlSZ_E0_NS1_11comp_targetILNS1_3genE5ELNS1_11target_archE942ELNS1_3gpuE9ELNS1_3repE0EEENS1_38merge_mergepath_config_static_selectorELNS0_4arch9wavefront6targetE1EEEvSL_
		.amdhsa_group_segment_fixed_size 8448
		.amdhsa_private_segment_fixed_size 0
		.amdhsa_kernarg_size 328
		.amdhsa_user_sgpr_count 2
		.amdhsa_user_sgpr_dispatch_ptr 0
		.amdhsa_user_sgpr_queue_ptr 0
		.amdhsa_user_sgpr_kernarg_segment_ptr 1
		.amdhsa_user_sgpr_dispatch_id 0
		.amdhsa_user_sgpr_kernarg_preload_length 0
		.amdhsa_user_sgpr_kernarg_preload_offset 0
		.amdhsa_user_sgpr_private_segment_size 0
		.amdhsa_uses_dynamic_stack 0
		.amdhsa_enable_private_segment 0
		.amdhsa_system_sgpr_workgroup_id_x 1
		.amdhsa_system_sgpr_workgroup_id_y 1
		.amdhsa_system_sgpr_workgroup_id_z 1
		.amdhsa_system_sgpr_workgroup_info 0
		.amdhsa_system_vgpr_workitem_id 0
		.amdhsa_next_free_vgpr 34
		.amdhsa_next_free_sgpr 23
		.amdhsa_accum_offset 36
		.amdhsa_reserve_vcc 1
		.amdhsa_float_round_mode_32 0
		.amdhsa_float_round_mode_16_64 0
		.amdhsa_float_denorm_mode_32 3
		.amdhsa_float_denorm_mode_16_64 3
		.amdhsa_dx10_clamp 1
		.amdhsa_ieee_mode 1
		.amdhsa_fp16_overflow 0
		.amdhsa_tg_split 0
		.amdhsa_exception_fp_ieee_invalid_op 0
		.amdhsa_exception_fp_denorm_src 0
		.amdhsa_exception_fp_ieee_div_zero 0
		.amdhsa_exception_fp_ieee_overflow 0
		.amdhsa_exception_fp_ieee_underflow 0
		.amdhsa_exception_fp_ieee_inexact 0
		.amdhsa_exception_int_div_zero 0
	.end_amdhsa_kernel
	.section	.text._ZN7rocprim17ROCPRIM_400000_NS6detail17trampoline_kernelINS0_14default_configENS1_38merge_sort_block_merge_config_selectorIxNS0_10empty_typeEEEZZNS1_27merge_sort_block_merge_implIS3_N6thrust23THRUST_200600_302600_NS6detail15normal_iteratorINS9_10device_ptrIxEEEEPS5_jNS1_19radix_merge_compareILb0ELb1ExNS0_19identity_decomposerEEEEE10hipError_tT0_T1_T2_jT3_P12ihipStream_tbPNSt15iterator_traitsISK_E10value_typeEPNSQ_ISL_E10value_typeEPSM_NS1_7vsmem_tEENKUlT_SK_SL_SM_E_clISE_PxSF_SF_EESJ_SZ_SK_SL_SM_EUlSZ_E0_NS1_11comp_targetILNS1_3genE5ELNS1_11target_archE942ELNS1_3gpuE9ELNS1_3repE0EEENS1_38merge_mergepath_config_static_selectorELNS0_4arch9wavefront6targetE1EEEvSL_,"axG",@progbits,_ZN7rocprim17ROCPRIM_400000_NS6detail17trampoline_kernelINS0_14default_configENS1_38merge_sort_block_merge_config_selectorIxNS0_10empty_typeEEEZZNS1_27merge_sort_block_merge_implIS3_N6thrust23THRUST_200600_302600_NS6detail15normal_iteratorINS9_10device_ptrIxEEEEPS5_jNS1_19radix_merge_compareILb0ELb1ExNS0_19identity_decomposerEEEEE10hipError_tT0_T1_T2_jT3_P12ihipStream_tbPNSt15iterator_traitsISK_E10value_typeEPNSQ_ISL_E10value_typeEPSM_NS1_7vsmem_tEENKUlT_SK_SL_SM_E_clISE_PxSF_SF_EESJ_SZ_SK_SL_SM_EUlSZ_E0_NS1_11comp_targetILNS1_3genE5ELNS1_11target_archE942ELNS1_3gpuE9ELNS1_3repE0EEENS1_38merge_mergepath_config_static_selectorELNS0_4arch9wavefront6targetE1EEEvSL_,comdat
.Lfunc_end1501:
	.size	_ZN7rocprim17ROCPRIM_400000_NS6detail17trampoline_kernelINS0_14default_configENS1_38merge_sort_block_merge_config_selectorIxNS0_10empty_typeEEEZZNS1_27merge_sort_block_merge_implIS3_N6thrust23THRUST_200600_302600_NS6detail15normal_iteratorINS9_10device_ptrIxEEEEPS5_jNS1_19radix_merge_compareILb0ELb1ExNS0_19identity_decomposerEEEEE10hipError_tT0_T1_T2_jT3_P12ihipStream_tbPNSt15iterator_traitsISK_E10value_typeEPNSQ_ISL_E10value_typeEPSM_NS1_7vsmem_tEENKUlT_SK_SL_SM_E_clISE_PxSF_SF_EESJ_SZ_SK_SL_SM_EUlSZ_E0_NS1_11comp_targetILNS1_3genE5ELNS1_11target_archE942ELNS1_3gpuE9ELNS1_3repE0EEENS1_38merge_mergepath_config_static_selectorELNS0_4arch9wavefront6targetE1EEEvSL_, .Lfunc_end1501-_ZN7rocprim17ROCPRIM_400000_NS6detail17trampoline_kernelINS0_14default_configENS1_38merge_sort_block_merge_config_selectorIxNS0_10empty_typeEEEZZNS1_27merge_sort_block_merge_implIS3_N6thrust23THRUST_200600_302600_NS6detail15normal_iteratorINS9_10device_ptrIxEEEEPS5_jNS1_19radix_merge_compareILb0ELb1ExNS0_19identity_decomposerEEEEE10hipError_tT0_T1_T2_jT3_P12ihipStream_tbPNSt15iterator_traitsISK_E10value_typeEPNSQ_ISL_E10value_typeEPSM_NS1_7vsmem_tEENKUlT_SK_SL_SM_E_clISE_PxSF_SF_EESJ_SZ_SK_SL_SM_EUlSZ_E0_NS1_11comp_targetILNS1_3genE5ELNS1_11target_archE942ELNS1_3gpuE9ELNS1_3repE0EEENS1_38merge_mergepath_config_static_selectorELNS0_4arch9wavefront6targetE1EEEvSL_
                                        ; -- End function
	.section	.AMDGPU.csdata,"",@progbits
; Kernel info:
; codeLenInByte = 3636
; NumSgprs: 29
; NumVgprs: 34
; NumAgprs: 0
; TotalNumVgprs: 34
; ScratchSize: 0
; MemoryBound: 0
; FloatMode: 240
; IeeeMode: 1
; LDSByteSize: 8448 bytes/workgroup (compile time only)
; SGPRBlocks: 3
; VGPRBlocks: 4
; NumSGPRsForWavesPerEU: 29
; NumVGPRsForWavesPerEU: 34
; AccumOffset: 36
; Occupancy: 4
; WaveLimiterHint : 1
; COMPUTE_PGM_RSRC2:SCRATCH_EN: 0
; COMPUTE_PGM_RSRC2:USER_SGPR: 2
; COMPUTE_PGM_RSRC2:TRAP_HANDLER: 0
; COMPUTE_PGM_RSRC2:TGID_X_EN: 1
; COMPUTE_PGM_RSRC2:TGID_Y_EN: 1
; COMPUTE_PGM_RSRC2:TGID_Z_EN: 1
; COMPUTE_PGM_RSRC2:TIDIG_COMP_CNT: 0
; COMPUTE_PGM_RSRC3_GFX90A:ACCUM_OFFSET: 8
; COMPUTE_PGM_RSRC3_GFX90A:TG_SPLIT: 0
	.section	.text._ZN7rocprim17ROCPRIM_400000_NS6detail17trampoline_kernelINS0_14default_configENS1_38merge_sort_block_merge_config_selectorIxNS0_10empty_typeEEEZZNS1_27merge_sort_block_merge_implIS3_N6thrust23THRUST_200600_302600_NS6detail15normal_iteratorINS9_10device_ptrIxEEEEPS5_jNS1_19radix_merge_compareILb0ELb1ExNS0_19identity_decomposerEEEEE10hipError_tT0_T1_T2_jT3_P12ihipStream_tbPNSt15iterator_traitsISK_E10value_typeEPNSQ_ISL_E10value_typeEPSM_NS1_7vsmem_tEENKUlT_SK_SL_SM_E_clISE_PxSF_SF_EESJ_SZ_SK_SL_SM_EUlSZ_E0_NS1_11comp_targetILNS1_3genE4ELNS1_11target_archE910ELNS1_3gpuE8ELNS1_3repE0EEENS1_38merge_mergepath_config_static_selectorELNS0_4arch9wavefront6targetE1EEEvSL_,"axG",@progbits,_ZN7rocprim17ROCPRIM_400000_NS6detail17trampoline_kernelINS0_14default_configENS1_38merge_sort_block_merge_config_selectorIxNS0_10empty_typeEEEZZNS1_27merge_sort_block_merge_implIS3_N6thrust23THRUST_200600_302600_NS6detail15normal_iteratorINS9_10device_ptrIxEEEEPS5_jNS1_19radix_merge_compareILb0ELb1ExNS0_19identity_decomposerEEEEE10hipError_tT0_T1_T2_jT3_P12ihipStream_tbPNSt15iterator_traitsISK_E10value_typeEPNSQ_ISL_E10value_typeEPSM_NS1_7vsmem_tEENKUlT_SK_SL_SM_E_clISE_PxSF_SF_EESJ_SZ_SK_SL_SM_EUlSZ_E0_NS1_11comp_targetILNS1_3genE4ELNS1_11target_archE910ELNS1_3gpuE8ELNS1_3repE0EEENS1_38merge_mergepath_config_static_selectorELNS0_4arch9wavefront6targetE1EEEvSL_,comdat
	.protected	_ZN7rocprim17ROCPRIM_400000_NS6detail17trampoline_kernelINS0_14default_configENS1_38merge_sort_block_merge_config_selectorIxNS0_10empty_typeEEEZZNS1_27merge_sort_block_merge_implIS3_N6thrust23THRUST_200600_302600_NS6detail15normal_iteratorINS9_10device_ptrIxEEEEPS5_jNS1_19radix_merge_compareILb0ELb1ExNS0_19identity_decomposerEEEEE10hipError_tT0_T1_T2_jT3_P12ihipStream_tbPNSt15iterator_traitsISK_E10value_typeEPNSQ_ISL_E10value_typeEPSM_NS1_7vsmem_tEENKUlT_SK_SL_SM_E_clISE_PxSF_SF_EESJ_SZ_SK_SL_SM_EUlSZ_E0_NS1_11comp_targetILNS1_3genE4ELNS1_11target_archE910ELNS1_3gpuE8ELNS1_3repE0EEENS1_38merge_mergepath_config_static_selectorELNS0_4arch9wavefront6targetE1EEEvSL_ ; -- Begin function _ZN7rocprim17ROCPRIM_400000_NS6detail17trampoline_kernelINS0_14default_configENS1_38merge_sort_block_merge_config_selectorIxNS0_10empty_typeEEEZZNS1_27merge_sort_block_merge_implIS3_N6thrust23THRUST_200600_302600_NS6detail15normal_iteratorINS9_10device_ptrIxEEEEPS5_jNS1_19radix_merge_compareILb0ELb1ExNS0_19identity_decomposerEEEEE10hipError_tT0_T1_T2_jT3_P12ihipStream_tbPNSt15iterator_traitsISK_E10value_typeEPNSQ_ISL_E10value_typeEPSM_NS1_7vsmem_tEENKUlT_SK_SL_SM_E_clISE_PxSF_SF_EESJ_SZ_SK_SL_SM_EUlSZ_E0_NS1_11comp_targetILNS1_3genE4ELNS1_11target_archE910ELNS1_3gpuE8ELNS1_3repE0EEENS1_38merge_mergepath_config_static_selectorELNS0_4arch9wavefront6targetE1EEEvSL_
	.globl	_ZN7rocprim17ROCPRIM_400000_NS6detail17trampoline_kernelINS0_14default_configENS1_38merge_sort_block_merge_config_selectorIxNS0_10empty_typeEEEZZNS1_27merge_sort_block_merge_implIS3_N6thrust23THRUST_200600_302600_NS6detail15normal_iteratorINS9_10device_ptrIxEEEEPS5_jNS1_19radix_merge_compareILb0ELb1ExNS0_19identity_decomposerEEEEE10hipError_tT0_T1_T2_jT3_P12ihipStream_tbPNSt15iterator_traitsISK_E10value_typeEPNSQ_ISL_E10value_typeEPSM_NS1_7vsmem_tEENKUlT_SK_SL_SM_E_clISE_PxSF_SF_EESJ_SZ_SK_SL_SM_EUlSZ_E0_NS1_11comp_targetILNS1_3genE4ELNS1_11target_archE910ELNS1_3gpuE8ELNS1_3repE0EEENS1_38merge_mergepath_config_static_selectorELNS0_4arch9wavefront6targetE1EEEvSL_
	.p2align	8
	.type	_ZN7rocprim17ROCPRIM_400000_NS6detail17trampoline_kernelINS0_14default_configENS1_38merge_sort_block_merge_config_selectorIxNS0_10empty_typeEEEZZNS1_27merge_sort_block_merge_implIS3_N6thrust23THRUST_200600_302600_NS6detail15normal_iteratorINS9_10device_ptrIxEEEEPS5_jNS1_19radix_merge_compareILb0ELb1ExNS0_19identity_decomposerEEEEE10hipError_tT0_T1_T2_jT3_P12ihipStream_tbPNSt15iterator_traitsISK_E10value_typeEPNSQ_ISL_E10value_typeEPSM_NS1_7vsmem_tEENKUlT_SK_SL_SM_E_clISE_PxSF_SF_EESJ_SZ_SK_SL_SM_EUlSZ_E0_NS1_11comp_targetILNS1_3genE4ELNS1_11target_archE910ELNS1_3gpuE8ELNS1_3repE0EEENS1_38merge_mergepath_config_static_selectorELNS0_4arch9wavefront6targetE1EEEvSL_,@function
_ZN7rocprim17ROCPRIM_400000_NS6detail17trampoline_kernelINS0_14default_configENS1_38merge_sort_block_merge_config_selectorIxNS0_10empty_typeEEEZZNS1_27merge_sort_block_merge_implIS3_N6thrust23THRUST_200600_302600_NS6detail15normal_iteratorINS9_10device_ptrIxEEEEPS5_jNS1_19radix_merge_compareILb0ELb1ExNS0_19identity_decomposerEEEEE10hipError_tT0_T1_T2_jT3_P12ihipStream_tbPNSt15iterator_traitsISK_E10value_typeEPNSQ_ISL_E10value_typeEPSM_NS1_7vsmem_tEENKUlT_SK_SL_SM_E_clISE_PxSF_SF_EESJ_SZ_SK_SL_SM_EUlSZ_E0_NS1_11comp_targetILNS1_3genE4ELNS1_11target_archE910ELNS1_3gpuE8ELNS1_3repE0EEENS1_38merge_mergepath_config_static_selectorELNS0_4arch9wavefront6targetE1EEEvSL_: ; @_ZN7rocprim17ROCPRIM_400000_NS6detail17trampoline_kernelINS0_14default_configENS1_38merge_sort_block_merge_config_selectorIxNS0_10empty_typeEEEZZNS1_27merge_sort_block_merge_implIS3_N6thrust23THRUST_200600_302600_NS6detail15normal_iteratorINS9_10device_ptrIxEEEEPS5_jNS1_19radix_merge_compareILb0ELb1ExNS0_19identity_decomposerEEEEE10hipError_tT0_T1_T2_jT3_P12ihipStream_tbPNSt15iterator_traitsISK_E10value_typeEPNSQ_ISL_E10value_typeEPSM_NS1_7vsmem_tEENKUlT_SK_SL_SM_E_clISE_PxSF_SF_EESJ_SZ_SK_SL_SM_EUlSZ_E0_NS1_11comp_targetILNS1_3genE4ELNS1_11target_archE910ELNS1_3gpuE8ELNS1_3repE0EEENS1_38merge_mergepath_config_static_selectorELNS0_4arch9wavefront6targetE1EEEvSL_
; %bb.0:
	.section	.rodata,"a",@progbits
	.p2align	6, 0x0
	.amdhsa_kernel _ZN7rocprim17ROCPRIM_400000_NS6detail17trampoline_kernelINS0_14default_configENS1_38merge_sort_block_merge_config_selectorIxNS0_10empty_typeEEEZZNS1_27merge_sort_block_merge_implIS3_N6thrust23THRUST_200600_302600_NS6detail15normal_iteratorINS9_10device_ptrIxEEEEPS5_jNS1_19radix_merge_compareILb0ELb1ExNS0_19identity_decomposerEEEEE10hipError_tT0_T1_T2_jT3_P12ihipStream_tbPNSt15iterator_traitsISK_E10value_typeEPNSQ_ISL_E10value_typeEPSM_NS1_7vsmem_tEENKUlT_SK_SL_SM_E_clISE_PxSF_SF_EESJ_SZ_SK_SL_SM_EUlSZ_E0_NS1_11comp_targetILNS1_3genE4ELNS1_11target_archE910ELNS1_3gpuE8ELNS1_3repE0EEENS1_38merge_mergepath_config_static_selectorELNS0_4arch9wavefront6targetE1EEEvSL_
		.amdhsa_group_segment_fixed_size 0
		.amdhsa_private_segment_fixed_size 0
		.amdhsa_kernarg_size 72
		.amdhsa_user_sgpr_count 2
		.amdhsa_user_sgpr_dispatch_ptr 0
		.amdhsa_user_sgpr_queue_ptr 0
		.amdhsa_user_sgpr_kernarg_segment_ptr 1
		.amdhsa_user_sgpr_dispatch_id 0
		.amdhsa_user_sgpr_kernarg_preload_length 0
		.amdhsa_user_sgpr_kernarg_preload_offset 0
		.amdhsa_user_sgpr_private_segment_size 0
		.amdhsa_uses_dynamic_stack 0
		.amdhsa_enable_private_segment 0
		.amdhsa_system_sgpr_workgroup_id_x 1
		.amdhsa_system_sgpr_workgroup_id_y 0
		.amdhsa_system_sgpr_workgroup_id_z 0
		.amdhsa_system_sgpr_workgroup_info 0
		.amdhsa_system_vgpr_workitem_id 0
		.amdhsa_next_free_vgpr 1
		.amdhsa_next_free_sgpr 0
		.amdhsa_accum_offset 4
		.amdhsa_reserve_vcc 0
		.amdhsa_float_round_mode_32 0
		.amdhsa_float_round_mode_16_64 0
		.amdhsa_float_denorm_mode_32 3
		.amdhsa_float_denorm_mode_16_64 3
		.amdhsa_dx10_clamp 1
		.amdhsa_ieee_mode 1
		.amdhsa_fp16_overflow 0
		.amdhsa_tg_split 0
		.amdhsa_exception_fp_ieee_invalid_op 0
		.amdhsa_exception_fp_denorm_src 0
		.amdhsa_exception_fp_ieee_div_zero 0
		.amdhsa_exception_fp_ieee_overflow 0
		.amdhsa_exception_fp_ieee_underflow 0
		.amdhsa_exception_fp_ieee_inexact 0
		.amdhsa_exception_int_div_zero 0
	.end_amdhsa_kernel
	.section	.text._ZN7rocprim17ROCPRIM_400000_NS6detail17trampoline_kernelINS0_14default_configENS1_38merge_sort_block_merge_config_selectorIxNS0_10empty_typeEEEZZNS1_27merge_sort_block_merge_implIS3_N6thrust23THRUST_200600_302600_NS6detail15normal_iteratorINS9_10device_ptrIxEEEEPS5_jNS1_19radix_merge_compareILb0ELb1ExNS0_19identity_decomposerEEEEE10hipError_tT0_T1_T2_jT3_P12ihipStream_tbPNSt15iterator_traitsISK_E10value_typeEPNSQ_ISL_E10value_typeEPSM_NS1_7vsmem_tEENKUlT_SK_SL_SM_E_clISE_PxSF_SF_EESJ_SZ_SK_SL_SM_EUlSZ_E0_NS1_11comp_targetILNS1_3genE4ELNS1_11target_archE910ELNS1_3gpuE8ELNS1_3repE0EEENS1_38merge_mergepath_config_static_selectorELNS0_4arch9wavefront6targetE1EEEvSL_,"axG",@progbits,_ZN7rocprim17ROCPRIM_400000_NS6detail17trampoline_kernelINS0_14default_configENS1_38merge_sort_block_merge_config_selectorIxNS0_10empty_typeEEEZZNS1_27merge_sort_block_merge_implIS3_N6thrust23THRUST_200600_302600_NS6detail15normal_iteratorINS9_10device_ptrIxEEEEPS5_jNS1_19radix_merge_compareILb0ELb1ExNS0_19identity_decomposerEEEEE10hipError_tT0_T1_T2_jT3_P12ihipStream_tbPNSt15iterator_traitsISK_E10value_typeEPNSQ_ISL_E10value_typeEPSM_NS1_7vsmem_tEENKUlT_SK_SL_SM_E_clISE_PxSF_SF_EESJ_SZ_SK_SL_SM_EUlSZ_E0_NS1_11comp_targetILNS1_3genE4ELNS1_11target_archE910ELNS1_3gpuE8ELNS1_3repE0EEENS1_38merge_mergepath_config_static_selectorELNS0_4arch9wavefront6targetE1EEEvSL_,comdat
.Lfunc_end1502:
	.size	_ZN7rocprim17ROCPRIM_400000_NS6detail17trampoline_kernelINS0_14default_configENS1_38merge_sort_block_merge_config_selectorIxNS0_10empty_typeEEEZZNS1_27merge_sort_block_merge_implIS3_N6thrust23THRUST_200600_302600_NS6detail15normal_iteratorINS9_10device_ptrIxEEEEPS5_jNS1_19radix_merge_compareILb0ELb1ExNS0_19identity_decomposerEEEEE10hipError_tT0_T1_T2_jT3_P12ihipStream_tbPNSt15iterator_traitsISK_E10value_typeEPNSQ_ISL_E10value_typeEPSM_NS1_7vsmem_tEENKUlT_SK_SL_SM_E_clISE_PxSF_SF_EESJ_SZ_SK_SL_SM_EUlSZ_E0_NS1_11comp_targetILNS1_3genE4ELNS1_11target_archE910ELNS1_3gpuE8ELNS1_3repE0EEENS1_38merge_mergepath_config_static_selectorELNS0_4arch9wavefront6targetE1EEEvSL_, .Lfunc_end1502-_ZN7rocprim17ROCPRIM_400000_NS6detail17trampoline_kernelINS0_14default_configENS1_38merge_sort_block_merge_config_selectorIxNS0_10empty_typeEEEZZNS1_27merge_sort_block_merge_implIS3_N6thrust23THRUST_200600_302600_NS6detail15normal_iteratorINS9_10device_ptrIxEEEEPS5_jNS1_19radix_merge_compareILb0ELb1ExNS0_19identity_decomposerEEEEE10hipError_tT0_T1_T2_jT3_P12ihipStream_tbPNSt15iterator_traitsISK_E10value_typeEPNSQ_ISL_E10value_typeEPSM_NS1_7vsmem_tEENKUlT_SK_SL_SM_E_clISE_PxSF_SF_EESJ_SZ_SK_SL_SM_EUlSZ_E0_NS1_11comp_targetILNS1_3genE4ELNS1_11target_archE910ELNS1_3gpuE8ELNS1_3repE0EEENS1_38merge_mergepath_config_static_selectorELNS0_4arch9wavefront6targetE1EEEvSL_
                                        ; -- End function
	.section	.AMDGPU.csdata,"",@progbits
; Kernel info:
; codeLenInByte = 0
; NumSgprs: 6
; NumVgprs: 0
; NumAgprs: 0
; TotalNumVgprs: 0
; ScratchSize: 0
; MemoryBound: 0
; FloatMode: 240
; IeeeMode: 1
; LDSByteSize: 0 bytes/workgroup (compile time only)
; SGPRBlocks: 0
; VGPRBlocks: 0
; NumSGPRsForWavesPerEU: 6
; NumVGPRsForWavesPerEU: 1
; AccumOffset: 4
; Occupancy: 8
; WaveLimiterHint : 0
; COMPUTE_PGM_RSRC2:SCRATCH_EN: 0
; COMPUTE_PGM_RSRC2:USER_SGPR: 2
; COMPUTE_PGM_RSRC2:TRAP_HANDLER: 0
; COMPUTE_PGM_RSRC2:TGID_X_EN: 1
; COMPUTE_PGM_RSRC2:TGID_Y_EN: 0
; COMPUTE_PGM_RSRC2:TGID_Z_EN: 0
; COMPUTE_PGM_RSRC2:TIDIG_COMP_CNT: 0
; COMPUTE_PGM_RSRC3_GFX90A:ACCUM_OFFSET: 0
; COMPUTE_PGM_RSRC3_GFX90A:TG_SPLIT: 0
	.section	.text._ZN7rocprim17ROCPRIM_400000_NS6detail17trampoline_kernelINS0_14default_configENS1_38merge_sort_block_merge_config_selectorIxNS0_10empty_typeEEEZZNS1_27merge_sort_block_merge_implIS3_N6thrust23THRUST_200600_302600_NS6detail15normal_iteratorINS9_10device_ptrIxEEEEPS5_jNS1_19radix_merge_compareILb0ELb1ExNS0_19identity_decomposerEEEEE10hipError_tT0_T1_T2_jT3_P12ihipStream_tbPNSt15iterator_traitsISK_E10value_typeEPNSQ_ISL_E10value_typeEPSM_NS1_7vsmem_tEENKUlT_SK_SL_SM_E_clISE_PxSF_SF_EESJ_SZ_SK_SL_SM_EUlSZ_E0_NS1_11comp_targetILNS1_3genE3ELNS1_11target_archE908ELNS1_3gpuE7ELNS1_3repE0EEENS1_38merge_mergepath_config_static_selectorELNS0_4arch9wavefront6targetE1EEEvSL_,"axG",@progbits,_ZN7rocprim17ROCPRIM_400000_NS6detail17trampoline_kernelINS0_14default_configENS1_38merge_sort_block_merge_config_selectorIxNS0_10empty_typeEEEZZNS1_27merge_sort_block_merge_implIS3_N6thrust23THRUST_200600_302600_NS6detail15normal_iteratorINS9_10device_ptrIxEEEEPS5_jNS1_19radix_merge_compareILb0ELb1ExNS0_19identity_decomposerEEEEE10hipError_tT0_T1_T2_jT3_P12ihipStream_tbPNSt15iterator_traitsISK_E10value_typeEPNSQ_ISL_E10value_typeEPSM_NS1_7vsmem_tEENKUlT_SK_SL_SM_E_clISE_PxSF_SF_EESJ_SZ_SK_SL_SM_EUlSZ_E0_NS1_11comp_targetILNS1_3genE3ELNS1_11target_archE908ELNS1_3gpuE7ELNS1_3repE0EEENS1_38merge_mergepath_config_static_selectorELNS0_4arch9wavefront6targetE1EEEvSL_,comdat
	.protected	_ZN7rocprim17ROCPRIM_400000_NS6detail17trampoline_kernelINS0_14default_configENS1_38merge_sort_block_merge_config_selectorIxNS0_10empty_typeEEEZZNS1_27merge_sort_block_merge_implIS3_N6thrust23THRUST_200600_302600_NS6detail15normal_iteratorINS9_10device_ptrIxEEEEPS5_jNS1_19radix_merge_compareILb0ELb1ExNS0_19identity_decomposerEEEEE10hipError_tT0_T1_T2_jT3_P12ihipStream_tbPNSt15iterator_traitsISK_E10value_typeEPNSQ_ISL_E10value_typeEPSM_NS1_7vsmem_tEENKUlT_SK_SL_SM_E_clISE_PxSF_SF_EESJ_SZ_SK_SL_SM_EUlSZ_E0_NS1_11comp_targetILNS1_3genE3ELNS1_11target_archE908ELNS1_3gpuE7ELNS1_3repE0EEENS1_38merge_mergepath_config_static_selectorELNS0_4arch9wavefront6targetE1EEEvSL_ ; -- Begin function _ZN7rocprim17ROCPRIM_400000_NS6detail17trampoline_kernelINS0_14default_configENS1_38merge_sort_block_merge_config_selectorIxNS0_10empty_typeEEEZZNS1_27merge_sort_block_merge_implIS3_N6thrust23THRUST_200600_302600_NS6detail15normal_iteratorINS9_10device_ptrIxEEEEPS5_jNS1_19radix_merge_compareILb0ELb1ExNS0_19identity_decomposerEEEEE10hipError_tT0_T1_T2_jT3_P12ihipStream_tbPNSt15iterator_traitsISK_E10value_typeEPNSQ_ISL_E10value_typeEPSM_NS1_7vsmem_tEENKUlT_SK_SL_SM_E_clISE_PxSF_SF_EESJ_SZ_SK_SL_SM_EUlSZ_E0_NS1_11comp_targetILNS1_3genE3ELNS1_11target_archE908ELNS1_3gpuE7ELNS1_3repE0EEENS1_38merge_mergepath_config_static_selectorELNS0_4arch9wavefront6targetE1EEEvSL_
	.globl	_ZN7rocprim17ROCPRIM_400000_NS6detail17trampoline_kernelINS0_14default_configENS1_38merge_sort_block_merge_config_selectorIxNS0_10empty_typeEEEZZNS1_27merge_sort_block_merge_implIS3_N6thrust23THRUST_200600_302600_NS6detail15normal_iteratorINS9_10device_ptrIxEEEEPS5_jNS1_19radix_merge_compareILb0ELb1ExNS0_19identity_decomposerEEEEE10hipError_tT0_T1_T2_jT3_P12ihipStream_tbPNSt15iterator_traitsISK_E10value_typeEPNSQ_ISL_E10value_typeEPSM_NS1_7vsmem_tEENKUlT_SK_SL_SM_E_clISE_PxSF_SF_EESJ_SZ_SK_SL_SM_EUlSZ_E0_NS1_11comp_targetILNS1_3genE3ELNS1_11target_archE908ELNS1_3gpuE7ELNS1_3repE0EEENS1_38merge_mergepath_config_static_selectorELNS0_4arch9wavefront6targetE1EEEvSL_
	.p2align	8
	.type	_ZN7rocprim17ROCPRIM_400000_NS6detail17trampoline_kernelINS0_14default_configENS1_38merge_sort_block_merge_config_selectorIxNS0_10empty_typeEEEZZNS1_27merge_sort_block_merge_implIS3_N6thrust23THRUST_200600_302600_NS6detail15normal_iteratorINS9_10device_ptrIxEEEEPS5_jNS1_19radix_merge_compareILb0ELb1ExNS0_19identity_decomposerEEEEE10hipError_tT0_T1_T2_jT3_P12ihipStream_tbPNSt15iterator_traitsISK_E10value_typeEPNSQ_ISL_E10value_typeEPSM_NS1_7vsmem_tEENKUlT_SK_SL_SM_E_clISE_PxSF_SF_EESJ_SZ_SK_SL_SM_EUlSZ_E0_NS1_11comp_targetILNS1_3genE3ELNS1_11target_archE908ELNS1_3gpuE7ELNS1_3repE0EEENS1_38merge_mergepath_config_static_selectorELNS0_4arch9wavefront6targetE1EEEvSL_,@function
_ZN7rocprim17ROCPRIM_400000_NS6detail17trampoline_kernelINS0_14default_configENS1_38merge_sort_block_merge_config_selectorIxNS0_10empty_typeEEEZZNS1_27merge_sort_block_merge_implIS3_N6thrust23THRUST_200600_302600_NS6detail15normal_iteratorINS9_10device_ptrIxEEEEPS5_jNS1_19radix_merge_compareILb0ELb1ExNS0_19identity_decomposerEEEEE10hipError_tT0_T1_T2_jT3_P12ihipStream_tbPNSt15iterator_traitsISK_E10value_typeEPNSQ_ISL_E10value_typeEPSM_NS1_7vsmem_tEENKUlT_SK_SL_SM_E_clISE_PxSF_SF_EESJ_SZ_SK_SL_SM_EUlSZ_E0_NS1_11comp_targetILNS1_3genE3ELNS1_11target_archE908ELNS1_3gpuE7ELNS1_3repE0EEENS1_38merge_mergepath_config_static_selectorELNS0_4arch9wavefront6targetE1EEEvSL_: ; @_ZN7rocprim17ROCPRIM_400000_NS6detail17trampoline_kernelINS0_14default_configENS1_38merge_sort_block_merge_config_selectorIxNS0_10empty_typeEEEZZNS1_27merge_sort_block_merge_implIS3_N6thrust23THRUST_200600_302600_NS6detail15normal_iteratorINS9_10device_ptrIxEEEEPS5_jNS1_19radix_merge_compareILb0ELb1ExNS0_19identity_decomposerEEEEE10hipError_tT0_T1_T2_jT3_P12ihipStream_tbPNSt15iterator_traitsISK_E10value_typeEPNSQ_ISL_E10value_typeEPSM_NS1_7vsmem_tEENKUlT_SK_SL_SM_E_clISE_PxSF_SF_EESJ_SZ_SK_SL_SM_EUlSZ_E0_NS1_11comp_targetILNS1_3genE3ELNS1_11target_archE908ELNS1_3gpuE7ELNS1_3repE0EEENS1_38merge_mergepath_config_static_selectorELNS0_4arch9wavefront6targetE1EEEvSL_
; %bb.0:
	.section	.rodata,"a",@progbits
	.p2align	6, 0x0
	.amdhsa_kernel _ZN7rocprim17ROCPRIM_400000_NS6detail17trampoline_kernelINS0_14default_configENS1_38merge_sort_block_merge_config_selectorIxNS0_10empty_typeEEEZZNS1_27merge_sort_block_merge_implIS3_N6thrust23THRUST_200600_302600_NS6detail15normal_iteratorINS9_10device_ptrIxEEEEPS5_jNS1_19radix_merge_compareILb0ELb1ExNS0_19identity_decomposerEEEEE10hipError_tT0_T1_T2_jT3_P12ihipStream_tbPNSt15iterator_traitsISK_E10value_typeEPNSQ_ISL_E10value_typeEPSM_NS1_7vsmem_tEENKUlT_SK_SL_SM_E_clISE_PxSF_SF_EESJ_SZ_SK_SL_SM_EUlSZ_E0_NS1_11comp_targetILNS1_3genE3ELNS1_11target_archE908ELNS1_3gpuE7ELNS1_3repE0EEENS1_38merge_mergepath_config_static_selectorELNS0_4arch9wavefront6targetE1EEEvSL_
		.amdhsa_group_segment_fixed_size 0
		.amdhsa_private_segment_fixed_size 0
		.amdhsa_kernarg_size 72
		.amdhsa_user_sgpr_count 2
		.amdhsa_user_sgpr_dispatch_ptr 0
		.amdhsa_user_sgpr_queue_ptr 0
		.amdhsa_user_sgpr_kernarg_segment_ptr 1
		.amdhsa_user_sgpr_dispatch_id 0
		.amdhsa_user_sgpr_kernarg_preload_length 0
		.amdhsa_user_sgpr_kernarg_preload_offset 0
		.amdhsa_user_sgpr_private_segment_size 0
		.amdhsa_uses_dynamic_stack 0
		.amdhsa_enable_private_segment 0
		.amdhsa_system_sgpr_workgroup_id_x 1
		.amdhsa_system_sgpr_workgroup_id_y 0
		.amdhsa_system_sgpr_workgroup_id_z 0
		.amdhsa_system_sgpr_workgroup_info 0
		.amdhsa_system_vgpr_workitem_id 0
		.amdhsa_next_free_vgpr 1
		.amdhsa_next_free_sgpr 0
		.amdhsa_accum_offset 4
		.amdhsa_reserve_vcc 0
		.amdhsa_float_round_mode_32 0
		.amdhsa_float_round_mode_16_64 0
		.amdhsa_float_denorm_mode_32 3
		.amdhsa_float_denorm_mode_16_64 3
		.amdhsa_dx10_clamp 1
		.amdhsa_ieee_mode 1
		.amdhsa_fp16_overflow 0
		.amdhsa_tg_split 0
		.amdhsa_exception_fp_ieee_invalid_op 0
		.amdhsa_exception_fp_denorm_src 0
		.amdhsa_exception_fp_ieee_div_zero 0
		.amdhsa_exception_fp_ieee_overflow 0
		.amdhsa_exception_fp_ieee_underflow 0
		.amdhsa_exception_fp_ieee_inexact 0
		.amdhsa_exception_int_div_zero 0
	.end_amdhsa_kernel
	.section	.text._ZN7rocprim17ROCPRIM_400000_NS6detail17trampoline_kernelINS0_14default_configENS1_38merge_sort_block_merge_config_selectorIxNS0_10empty_typeEEEZZNS1_27merge_sort_block_merge_implIS3_N6thrust23THRUST_200600_302600_NS6detail15normal_iteratorINS9_10device_ptrIxEEEEPS5_jNS1_19radix_merge_compareILb0ELb1ExNS0_19identity_decomposerEEEEE10hipError_tT0_T1_T2_jT3_P12ihipStream_tbPNSt15iterator_traitsISK_E10value_typeEPNSQ_ISL_E10value_typeEPSM_NS1_7vsmem_tEENKUlT_SK_SL_SM_E_clISE_PxSF_SF_EESJ_SZ_SK_SL_SM_EUlSZ_E0_NS1_11comp_targetILNS1_3genE3ELNS1_11target_archE908ELNS1_3gpuE7ELNS1_3repE0EEENS1_38merge_mergepath_config_static_selectorELNS0_4arch9wavefront6targetE1EEEvSL_,"axG",@progbits,_ZN7rocprim17ROCPRIM_400000_NS6detail17trampoline_kernelINS0_14default_configENS1_38merge_sort_block_merge_config_selectorIxNS0_10empty_typeEEEZZNS1_27merge_sort_block_merge_implIS3_N6thrust23THRUST_200600_302600_NS6detail15normal_iteratorINS9_10device_ptrIxEEEEPS5_jNS1_19radix_merge_compareILb0ELb1ExNS0_19identity_decomposerEEEEE10hipError_tT0_T1_T2_jT3_P12ihipStream_tbPNSt15iterator_traitsISK_E10value_typeEPNSQ_ISL_E10value_typeEPSM_NS1_7vsmem_tEENKUlT_SK_SL_SM_E_clISE_PxSF_SF_EESJ_SZ_SK_SL_SM_EUlSZ_E0_NS1_11comp_targetILNS1_3genE3ELNS1_11target_archE908ELNS1_3gpuE7ELNS1_3repE0EEENS1_38merge_mergepath_config_static_selectorELNS0_4arch9wavefront6targetE1EEEvSL_,comdat
.Lfunc_end1503:
	.size	_ZN7rocprim17ROCPRIM_400000_NS6detail17trampoline_kernelINS0_14default_configENS1_38merge_sort_block_merge_config_selectorIxNS0_10empty_typeEEEZZNS1_27merge_sort_block_merge_implIS3_N6thrust23THRUST_200600_302600_NS6detail15normal_iteratorINS9_10device_ptrIxEEEEPS5_jNS1_19radix_merge_compareILb0ELb1ExNS0_19identity_decomposerEEEEE10hipError_tT0_T1_T2_jT3_P12ihipStream_tbPNSt15iterator_traitsISK_E10value_typeEPNSQ_ISL_E10value_typeEPSM_NS1_7vsmem_tEENKUlT_SK_SL_SM_E_clISE_PxSF_SF_EESJ_SZ_SK_SL_SM_EUlSZ_E0_NS1_11comp_targetILNS1_3genE3ELNS1_11target_archE908ELNS1_3gpuE7ELNS1_3repE0EEENS1_38merge_mergepath_config_static_selectorELNS0_4arch9wavefront6targetE1EEEvSL_, .Lfunc_end1503-_ZN7rocprim17ROCPRIM_400000_NS6detail17trampoline_kernelINS0_14default_configENS1_38merge_sort_block_merge_config_selectorIxNS0_10empty_typeEEEZZNS1_27merge_sort_block_merge_implIS3_N6thrust23THRUST_200600_302600_NS6detail15normal_iteratorINS9_10device_ptrIxEEEEPS5_jNS1_19radix_merge_compareILb0ELb1ExNS0_19identity_decomposerEEEEE10hipError_tT0_T1_T2_jT3_P12ihipStream_tbPNSt15iterator_traitsISK_E10value_typeEPNSQ_ISL_E10value_typeEPSM_NS1_7vsmem_tEENKUlT_SK_SL_SM_E_clISE_PxSF_SF_EESJ_SZ_SK_SL_SM_EUlSZ_E0_NS1_11comp_targetILNS1_3genE3ELNS1_11target_archE908ELNS1_3gpuE7ELNS1_3repE0EEENS1_38merge_mergepath_config_static_selectorELNS0_4arch9wavefront6targetE1EEEvSL_
                                        ; -- End function
	.section	.AMDGPU.csdata,"",@progbits
; Kernel info:
; codeLenInByte = 0
; NumSgprs: 6
; NumVgprs: 0
; NumAgprs: 0
; TotalNumVgprs: 0
; ScratchSize: 0
; MemoryBound: 0
; FloatMode: 240
; IeeeMode: 1
; LDSByteSize: 0 bytes/workgroup (compile time only)
; SGPRBlocks: 0
; VGPRBlocks: 0
; NumSGPRsForWavesPerEU: 6
; NumVGPRsForWavesPerEU: 1
; AccumOffset: 4
; Occupancy: 8
; WaveLimiterHint : 0
; COMPUTE_PGM_RSRC2:SCRATCH_EN: 0
; COMPUTE_PGM_RSRC2:USER_SGPR: 2
; COMPUTE_PGM_RSRC2:TRAP_HANDLER: 0
; COMPUTE_PGM_RSRC2:TGID_X_EN: 1
; COMPUTE_PGM_RSRC2:TGID_Y_EN: 0
; COMPUTE_PGM_RSRC2:TGID_Z_EN: 0
; COMPUTE_PGM_RSRC2:TIDIG_COMP_CNT: 0
; COMPUTE_PGM_RSRC3_GFX90A:ACCUM_OFFSET: 0
; COMPUTE_PGM_RSRC3_GFX90A:TG_SPLIT: 0
	.section	.text._ZN7rocprim17ROCPRIM_400000_NS6detail17trampoline_kernelINS0_14default_configENS1_38merge_sort_block_merge_config_selectorIxNS0_10empty_typeEEEZZNS1_27merge_sort_block_merge_implIS3_N6thrust23THRUST_200600_302600_NS6detail15normal_iteratorINS9_10device_ptrIxEEEEPS5_jNS1_19radix_merge_compareILb0ELb1ExNS0_19identity_decomposerEEEEE10hipError_tT0_T1_T2_jT3_P12ihipStream_tbPNSt15iterator_traitsISK_E10value_typeEPNSQ_ISL_E10value_typeEPSM_NS1_7vsmem_tEENKUlT_SK_SL_SM_E_clISE_PxSF_SF_EESJ_SZ_SK_SL_SM_EUlSZ_E0_NS1_11comp_targetILNS1_3genE2ELNS1_11target_archE906ELNS1_3gpuE6ELNS1_3repE0EEENS1_38merge_mergepath_config_static_selectorELNS0_4arch9wavefront6targetE1EEEvSL_,"axG",@progbits,_ZN7rocprim17ROCPRIM_400000_NS6detail17trampoline_kernelINS0_14default_configENS1_38merge_sort_block_merge_config_selectorIxNS0_10empty_typeEEEZZNS1_27merge_sort_block_merge_implIS3_N6thrust23THRUST_200600_302600_NS6detail15normal_iteratorINS9_10device_ptrIxEEEEPS5_jNS1_19radix_merge_compareILb0ELb1ExNS0_19identity_decomposerEEEEE10hipError_tT0_T1_T2_jT3_P12ihipStream_tbPNSt15iterator_traitsISK_E10value_typeEPNSQ_ISL_E10value_typeEPSM_NS1_7vsmem_tEENKUlT_SK_SL_SM_E_clISE_PxSF_SF_EESJ_SZ_SK_SL_SM_EUlSZ_E0_NS1_11comp_targetILNS1_3genE2ELNS1_11target_archE906ELNS1_3gpuE6ELNS1_3repE0EEENS1_38merge_mergepath_config_static_selectorELNS0_4arch9wavefront6targetE1EEEvSL_,comdat
	.protected	_ZN7rocprim17ROCPRIM_400000_NS6detail17trampoline_kernelINS0_14default_configENS1_38merge_sort_block_merge_config_selectorIxNS0_10empty_typeEEEZZNS1_27merge_sort_block_merge_implIS3_N6thrust23THRUST_200600_302600_NS6detail15normal_iteratorINS9_10device_ptrIxEEEEPS5_jNS1_19radix_merge_compareILb0ELb1ExNS0_19identity_decomposerEEEEE10hipError_tT0_T1_T2_jT3_P12ihipStream_tbPNSt15iterator_traitsISK_E10value_typeEPNSQ_ISL_E10value_typeEPSM_NS1_7vsmem_tEENKUlT_SK_SL_SM_E_clISE_PxSF_SF_EESJ_SZ_SK_SL_SM_EUlSZ_E0_NS1_11comp_targetILNS1_3genE2ELNS1_11target_archE906ELNS1_3gpuE6ELNS1_3repE0EEENS1_38merge_mergepath_config_static_selectorELNS0_4arch9wavefront6targetE1EEEvSL_ ; -- Begin function _ZN7rocprim17ROCPRIM_400000_NS6detail17trampoline_kernelINS0_14default_configENS1_38merge_sort_block_merge_config_selectorIxNS0_10empty_typeEEEZZNS1_27merge_sort_block_merge_implIS3_N6thrust23THRUST_200600_302600_NS6detail15normal_iteratorINS9_10device_ptrIxEEEEPS5_jNS1_19radix_merge_compareILb0ELb1ExNS0_19identity_decomposerEEEEE10hipError_tT0_T1_T2_jT3_P12ihipStream_tbPNSt15iterator_traitsISK_E10value_typeEPNSQ_ISL_E10value_typeEPSM_NS1_7vsmem_tEENKUlT_SK_SL_SM_E_clISE_PxSF_SF_EESJ_SZ_SK_SL_SM_EUlSZ_E0_NS1_11comp_targetILNS1_3genE2ELNS1_11target_archE906ELNS1_3gpuE6ELNS1_3repE0EEENS1_38merge_mergepath_config_static_selectorELNS0_4arch9wavefront6targetE1EEEvSL_
	.globl	_ZN7rocprim17ROCPRIM_400000_NS6detail17trampoline_kernelINS0_14default_configENS1_38merge_sort_block_merge_config_selectorIxNS0_10empty_typeEEEZZNS1_27merge_sort_block_merge_implIS3_N6thrust23THRUST_200600_302600_NS6detail15normal_iteratorINS9_10device_ptrIxEEEEPS5_jNS1_19radix_merge_compareILb0ELb1ExNS0_19identity_decomposerEEEEE10hipError_tT0_T1_T2_jT3_P12ihipStream_tbPNSt15iterator_traitsISK_E10value_typeEPNSQ_ISL_E10value_typeEPSM_NS1_7vsmem_tEENKUlT_SK_SL_SM_E_clISE_PxSF_SF_EESJ_SZ_SK_SL_SM_EUlSZ_E0_NS1_11comp_targetILNS1_3genE2ELNS1_11target_archE906ELNS1_3gpuE6ELNS1_3repE0EEENS1_38merge_mergepath_config_static_selectorELNS0_4arch9wavefront6targetE1EEEvSL_
	.p2align	8
	.type	_ZN7rocprim17ROCPRIM_400000_NS6detail17trampoline_kernelINS0_14default_configENS1_38merge_sort_block_merge_config_selectorIxNS0_10empty_typeEEEZZNS1_27merge_sort_block_merge_implIS3_N6thrust23THRUST_200600_302600_NS6detail15normal_iteratorINS9_10device_ptrIxEEEEPS5_jNS1_19radix_merge_compareILb0ELb1ExNS0_19identity_decomposerEEEEE10hipError_tT0_T1_T2_jT3_P12ihipStream_tbPNSt15iterator_traitsISK_E10value_typeEPNSQ_ISL_E10value_typeEPSM_NS1_7vsmem_tEENKUlT_SK_SL_SM_E_clISE_PxSF_SF_EESJ_SZ_SK_SL_SM_EUlSZ_E0_NS1_11comp_targetILNS1_3genE2ELNS1_11target_archE906ELNS1_3gpuE6ELNS1_3repE0EEENS1_38merge_mergepath_config_static_selectorELNS0_4arch9wavefront6targetE1EEEvSL_,@function
_ZN7rocprim17ROCPRIM_400000_NS6detail17trampoline_kernelINS0_14default_configENS1_38merge_sort_block_merge_config_selectorIxNS0_10empty_typeEEEZZNS1_27merge_sort_block_merge_implIS3_N6thrust23THRUST_200600_302600_NS6detail15normal_iteratorINS9_10device_ptrIxEEEEPS5_jNS1_19radix_merge_compareILb0ELb1ExNS0_19identity_decomposerEEEEE10hipError_tT0_T1_T2_jT3_P12ihipStream_tbPNSt15iterator_traitsISK_E10value_typeEPNSQ_ISL_E10value_typeEPSM_NS1_7vsmem_tEENKUlT_SK_SL_SM_E_clISE_PxSF_SF_EESJ_SZ_SK_SL_SM_EUlSZ_E0_NS1_11comp_targetILNS1_3genE2ELNS1_11target_archE906ELNS1_3gpuE6ELNS1_3repE0EEENS1_38merge_mergepath_config_static_selectorELNS0_4arch9wavefront6targetE1EEEvSL_: ; @_ZN7rocprim17ROCPRIM_400000_NS6detail17trampoline_kernelINS0_14default_configENS1_38merge_sort_block_merge_config_selectorIxNS0_10empty_typeEEEZZNS1_27merge_sort_block_merge_implIS3_N6thrust23THRUST_200600_302600_NS6detail15normal_iteratorINS9_10device_ptrIxEEEEPS5_jNS1_19radix_merge_compareILb0ELb1ExNS0_19identity_decomposerEEEEE10hipError_tT0_T1_T2_jT3_P12ihipStream_tbPNSt15iterator_traitsISK_E10value_typeEPNSQ_ISL_E10value_typeEPSM_NS1_7vsmem_tEENKUlT_SK_SL_SM_E_clISE_PxSF_SF_EESJ_SZ_SK_SL_SM_EUlSZ_E0_NS1_11comp_targetILNS1_3genE2ELNS1_11target_archE906ELNS1_3gpuE6ELNS1_3repE0EEENS1_38merge_mergepath_config_static_selectorELNS0_4arch9wavefront6targetE1EEEvSL_
; %bb.0:
	.section	.rodata,"a",@progbits
	.p2align	6, 0x0
	.amdhsa_kernel _ZN7rocprim17ROCPRIM_400000_NS6detail17trampoline_kernelINS0_14default_configENS1_38merge_sort_block_merge_config_selectorIxNS0_10empty_typeEEEZZNS1_27merge_sort_block_merge_implIS3_N6thrust23THRUST_200600_302600_NS6detail15normal_iteratorINS9_10device_ptrIxEEEEPS5_jNS1_19radix_merge_compareILb0ELb1ExNS0_19identity_decomposerEEEEE10hipError_tT0_T1_T2_jT3_P12ihipStream_tbPNSt15iterator_traitsISK_E10value_typeEPNSQ_ISL_E10value_typeEPSM_NS1_7vsmem_tEENKUlT_SK_SL_SM_E_clISE_PxSF_SF_EESJ_SZ_SK_SL_SM_EUlSZ_E0_NS1_11comp_targetILNS1_3genE2ELNS1_11target_archE906ELNS1_3gpuE6ELNS1_3repE0EEENS1_38merge_mergepath_config_static_selectorELNS0_4arch9wavefront6targetE1EEEvSL_
		.amdhsa_group_segment_fixed_size 0
		.amdhsa_private_segment_fixed_size 0
		.amdhsa_kernarg_size 72
		.amdhsa_user_sgpr_count 2
		.amdhsa_user_sgpr_dispatch_ptr 0
		.amdhsa_user_sgpr_queue_ptr 0
		.amdhsa_user_sgpr_kernarg_segment_ptr 1
		.amdhsa_user_sgpr_dispatch_id 0
		.amdhsa_user_sgpr_kernarg_preload_length 0
		.amdhsa_user_sgpr_kernarg_preload_offset 0
		.amdhsa_user_sgpr_private_segment_size 0
		.amdhsa_uses_dynamic_stack 0
		.amdhsa_enable_private_segment 0
		.amdhsa_system_sgpr_workgroup_id_x 1
		.amdhsa_system_sgpr_workgroup_id_y 0
		.amdhsa_system_sgpr_workgroup_id_z 0
		.amdhsa_system_sgpr_workgroup_info 0
		.amdhsa_system_vgpr_workitem_id 0
		.amdhsa_next_free_vgpr 1
		.amdhsa_next_free_sgpr 0
		.amdhsa_accum_offset 4
		.amdhsa_reserve_vcc 0
		.amdhsa_float_round_mode_32 0
		.amdhsa_float_round_mode_16_64 0
		.amdhsa_float_denorm_mode_32 3
		.amdhsa_float_denorm_mode_16_64 3
		.amdhsa_dx10_clamp 1
		.amdhsa_ieee_mode 1
		.amdhsa_fp16_overflow 0
		.amdhsa_tg_split 0
		.amdhsa_exception_fp_ieee_invalid_op 0
		.amdhsa_exception_fp_denorm_src 0
		.amdhsa_exception_fp_ieee_div_zero 0
		.amdhsa_exception_fp_ieee_overflow 0
		.amdhsa_exception_fp_ieee_underflow 0
		.amdhsa_exception_fp_ieee_inexact 0
		.amdhsa_exception_int_div_zero 0
	.end_amdhsa_kernel
	.section	.text._ZN7rocprim17ROCPRIM_400000_NS6detail17trampoline_kernelINS0_14default_configENS1_38merge_sort_block_merge_config_selectorIxNS0_10empty_typeEEEZZNS1_27merge_sort_block_merge_implIS3_N6thrust23THRUST_200600_302600_NS6detail15normal_iteratorINS9_10device_ptrIxEEEEPS5_jNS1_19radix_merge_compareILb0ELb1ExNS0_19identity_decomposerEEEEE10hipError_tT0_T1_T2_jT3_P12ihipStream_tbPNSt15iterator_traitsISK_E10value_typeEPNSQ_ISL_E10value_typeEPSM_NS1_7vsmem_tEENKUlT_SK_SL_SM_E_clISE_PxSF_SF_EESJ_SZ_SK_SL_SM_EUlSZ_E0_NS1_11comp_targetILNS1_3genE2ELNS1_11target_archE906ELNS1_3gpuE6ELNS1_3repE0EEENS1_38merge_mergepath_config_static_selectorELNS0_4arch9wavefront6targetE1EEEvSL_,"axG",@progbits,_ZN7rocprim17ROCPRIM_400000_NS6detail17trampoline_kernelINS0_14default_configENS1_38merge_sort_block_merge_config_selectorIxNS0_10empty_typeEEEZZNS1_27merge_sort_block_merge_implIS3_N6thrust23THRUST_200600_302600_NS6detail15normal_iteratorINS9_10device_ptrIxEEEEPS5_jNS1_19radix_merge_compareILb0ELb1ExNS0_19identity_decomposerEEEEE10hipError_tT0_T1_T2_jT3_P12ihipStream_tbPNSt15iterator_traitsISK_E10value_typeEPNSQ_ISL_E10value_typeEPSM_NS1_7vsmem_tEENKUlT_SK_SL_SM_E_clISE_PxSF_SF_EESJ_SZ_SK_SL_SM_EUlSZ_E0_NS1_11comp_targetILNS1_3genE2ELNS1_11target_archE906ELNS1_3gpuE6ELNS1_3repE0EEENS1_38merge_mergepath_config_static_selectorELNS0_4arch9wavefront6targetE1EEEvSL_,comdat
.Lfunc_end1504:
	.size	_ZN7rocprim17ROCPRIM_400000_NS6detail17trampoline_kernelINS0_14default_configENS1_38merge_sort_block_merge_config_selectorIxNS0_10empty_typeEEEZZNS1_27merge_sort_block_merge_implIS3_N6thrust23THRUST_200600_302600_NS6detail15normal_iteratorINS9_10device_ptrIxEEEEPS5_jNS1_19radix_merge_compareILb0ELb1ExNS0_19identity_decomposerEEEEE10hipError_tT0_T1_T2_jT3_P12ihipStream_tbPNSt15iterator_traitsISK_E10value_typeEPNSQ_ISL_E10value_typeEPSM_NS1_7vsmem_tEENKUlT_SK_SL_SM_E_clISE_PxSF_SF_EESJ_SZ_SK_SL_SM_EUlSZ_E0_NS1_11comp_targetILNS1_3genE2ELNS1_11target_archE906ELNS1_3gpuE6ELNS1_3repE0EEENS1_38merge_mergepath_config_static_selectorELNS0_4arch9wavefront6targetE1EEEvSL_, .Lfunc_end1504-_ZN7rocprim17ROCPRIM_400000_NS6detail17trampoline_kernelINS0_14default_configENS1_38merge_sort_block_merge_config_selectorIxNS0_10empty_typeEEEZZNS1_27merge_sort_block_merge_implIS3_N6thrust23THRUST_200600_302600_NS6detail15normal_iteratorINS9_10device_ptrIxEEEEPS5_jNS1_19radix_merge_compareILb0ELb1ExNS0_19identity_decomposerEEEEE10hipError_tT0_T1_T2_jT3_P12ihipStream_tbPNSt15iterator_traitsISK_E10value_typeEPNSQ_ISL_E10value_typeEPSM_NS1_7vsmem_tEENKUlT_SK_SL_SM_E_clISE_PxSF_SF_EESJ_SZ_SK_SL_SM_EUlSZ_E0_NS1_11comp_targetILNS1_3genE2ELNS1_11target_archE906ELNS1_3gpuE6ELNS1_3repE0EEENS1_38merge_mergepath_config_static_selectorELNS0_4arch9wavefront6targetE1EEEvSL_
                                        ; -- End function
	.section	.AMDGPU.csdata,"",@progbits
; Kernel info:
; codeLenInByte = 0
; NumSgprs: 6
; NumVgprs: 0
; NumAgprs: 0
; TotalNumVgprs: 0
; ScratchSize: 0
; MemoryBound: 0
; FloatMode: 240
; IeeeMode: 1
; LDSByteSize: 0 bytes/workgroup (compile time only)
; SGPRBlocks: 0
; VGPRBlocks: 0
; NumSGPRsForWavesPerEU: 6
; NumVGPRsForWavesPerEU: 1
; AccumOffset: 4
; Occupancy: 8
; WaveLimiterHint : 0
; COMPUTE_PGM_RSRC2:SCRATCH_EN: 0
; COMPUTE_PGM_RSRC2:USER_SGPR: 2
; COMPUTE_PGM_RSRC2:TRAP_HANDLER: 0
; COMPUTE_PGM_RSRC2:TGID_X_EN: 1
; COMPUTE_PGM_RSRC2:TGID_Y_EN: 0
; COMPUTE_PGM_RSRC2:TGID_Z_EN: 0
; COMPUTE_PGM_RSRC2:TIDIG_COMP_CNT: 0
; COMPUTE_PGM_RSRC3_GFX90A:ACCUM_OFFSET: 0
; COMPUTE_PGM_RSRC3_GFX90A:TG_SPLIT: 0
	.section	.text._ZN7rocprim17ROCPRIM_400000_NS6detail17trampoline_kernelINS0_14default_configENS1_38merge_sort_block_merge_config_selectorIxNS0_10empty_typeEEEZZNS1_27merge_sort_block_merge_implIS3_N6thrust23THRUST_200600_302600_NS6detail15normal_iteratorINS9_10device_ptrIxEEEEPS5_jNS1_19radix_merge_compareILb0ELb1ExNS0_19identity_decomposerEEEEE10hipError_tT0_T1_T2_jT3_P12ihipStream_tbPNSt15iterator_traitsISK_E10value_typeEPNSQ_ISL_E10value_typeEPSM_NS1_7vsmem_tEENKUlT_SK_SL_SM_E_clISE_PxSF_SF_EESJ_SZ_SK_SL_SM_EUlSZ_E0_NS1_11comp_targetILNS1_3genE9ELNS1_11target_archE1100ELNS1_3gpuE3ELNS1_3repE0EEENS1_38merge_mergepath_config_static_selectorELNS0_4arch9wavefront6targetE1EEEvSL_,"axG",@progbits,_ZN7rocprim17ROCPRIM_400000_NS6detail17trampoline_kernelINS0_14default_configENS1_38merge_sort_block_merge_config_selectorIxNS0_10empty_typeEEEZZNS1_27merge_sort_block_merge_implIS3_N6thrust23THRUST_200600_302600_NS6detail15normal_iteratorINS9_10device_ptrIxEEEEPS5_jNS1_19radix_merge_compareILb0ELb1ExNS0_19identity_decomposerEEEEE10hipError_tT0_T1_T2_jT3_P12ihipStream_tbPNSt15iterator_traitsISK_E10value_typeEPNSQ_ISL_E10value_typeEPSM_NS1_7vsmem_tEENKUlT_SK_SL_SM_E_clISE_PxSF_SF_EESJ_SZ_SK_SL_SM_EUlSZ_E0_NS1_11comp_targetILNS1_3genE9ELNS1_11target_archE1100ELNS1_3gpuE3ELNS1_3repE0EEENS1_38merge_mergepath_config_static_selectorELNS0_4arch9wavefront6targetE1EEEvSL_,comdat
	.protected	_ZN7rocprim17ROCPRIM_400000_NS6detail17trampoline_kernelINS0_14default_configENS1_38merge_sort_block_merge_config_selectorIxNS0_10empty_typeEEEZZNS1_27merge_sort_block_merge_implIS3_N6thrust23THRUST_200600_302600_NS6detail15normal_iteratorINS9_10device_ptrIxEEEEPS5_jNS1_19radix_merge_compareILb0ELb1ExNS0_19identity_decomposerEEEEE10hipError_tT0_T1_T2_jT3_P12ihipStream_tbPNSt15iterator_traitsISK_E10value_typeEPNSQ_ISL_E10value_typeEPSM_NS1_7vsmem_tEENKUlT_SK_SL_SM_E_clISE_PxSF_SF_EESJ_SZ_SK_SL_SM_EUlSZ_E0_NS1_11comp_targetILNS1_3genE9ELNS1_11target_archE1100ELNS1_3gpuE3ELNS1_3repE0EEENS1_38merge_mergepath_config_static_selectorELNS0_4arch9wavefront6targetE1EEEvSL_ ; -- Begin function _ZN7rocprim17ROCPRIM_400000_NS6detail17trampoline_kernelINS0_14default_configENS1_38merge_sort_block_merge_config_selectorIxNS0_10empty_typeEEEZZNS1_27merge_sort_block_merge_implIS3_N6thrust23THRUST_200600_302600_NS6detail15normal_iteratorINS9_10device_ptrIxEEEEPS5_jNS1_19radix_merge_compareILb0ELb1ExNS0_19identity_decomposerEEEEE10hipError_tT0_T1_T2_jT3_P12ihipStream_tbPNSt15iterator_traitsISK_E10value_typeEPNSQ_ISL_E10value_typeEPSM_NS1_7vsmem_tEENKUlT_SK_SL_SM_E_clISE_PxSF_SF_EESJ_SZ_SK_SL_SM_EUlSZ_E0_NS1_11comp_targetILNS1_3genE9ELNS1_11target_archE1100ELNS1_3gpuE3ELNS1_3repE0EEENS1_38merge_mergepath_config_static_selectorELNS0_4arch9wavefront6targetE1EEEvSL_
	.globl	_ZN7rocprim17ROCPRIM_400000_NS6detail17trampoline_kernelINS0_14default_configENS1_38merge_sort_block_merge_config_selectorIxNS0_10empty_typeEEEZZNS1_27merge_sort_block_merge_implIS3_N6thrust23THRUST_200600_302600_NS6detail15normal_iteratorINS9_10device_ptrIxEEEEPS5_jNS1_19radix_merge_compareILb0ELb1ExNS0_19identity_decomposerEEEEE10hipError_tT0_T1_T2_jT3_P12ihipStream_tbPNSt15iterator_traitsISK_E10value_typeEPNSQ_ISL_E10value_typeEPSM_NS1_7vsmem_tEENKUlT_SK_SL_SM_E_clISE_PxSF_SF_EESJ_SZ_SK_SL_SM_EUlSZ_E0_NS1_11comp_targetILNS1_3genE9ELNS1_11target_archE1100ELNS1_3gpuE3ELNS1_3repE0EEENS1_38merge_mergepath_config_static_selectorELNS0_4arch9wavefront6targetE1EEEvSL_
	.p2align	8
	.type	_ZN7rocprim17ROCPRIM_400000_NS6detail17trampoline_kernelINS0_14default_configENS1_38merge_sort_block_merge_config_selectorIxNS0_10empty_typeEEEZZNS1_27merge_sort_block_merge_implIS3_N6thrust23THRUST_200600_302600_NS6detail15normal_iteratorINS9_10device_ptrIxEEEEPS5_jNS1_19radix_merge_compareILb0ELb1ExNS0_19identity_decomposerEEEEE10hipError_tT0_T1_T2_jT3_P12ihipStream_tbPNSt15iterator_traitsISK_E10value_typeEPNSQ_ISL_E10value_typeEPSM_NS1_7vsmem_tEENKUlT_SK_SL_SM_E_clISE_PxSF_SF_EESJ_SZ_SK_SL_SM_EUlSZ_E0_NS1_11comp_targetILNS1_3genE9ELNS1_11target_archE1100ELNS1_3gpuE3ELNS1_3repE0EEENS1_38merge_mergepath_config_static_selectorELNS0_4arch9wavefront6targetE1EEEvSL_,@function
_ZN7rocprim17ROCPRIM_400000_NS6detail17trampoline_kernelINS0_14default_configENS1_38merge_sort_block_merge_config_selectorIxNS0_10empty_typeEEEZZNS1_27merge_sort_block_merge_implIS3_N6thrust23THRUST_200600_302600_NS6detail15normal_iteratorINS9_10device_ptrIxEEEEPS5_jNS1_19radix_merge_compareILb0ELb1ExNS0_19identity_decomposerEEEEE10hipError_tT0_T1_T2_jT3_P12ihipStream_tbPNSt15iterator_traitsISK_E10value_typeEPNSQ_ISL_E10value_typeEPSM_NS1_7vsmem_tEENKUlT_SK_SL_SM_E_clISE_PxSF_SF_EESJ_SZ_SK_SL_SM_EUlSZ_E0_NS1_11comp_targetILNS1_3genE9ELNS1_11target_archE1100ELNS1_3gpuE3ELNS1_3repE0EEENS1_38merge_mergepath_config_static_selectorELNS0_4arch9wavefront6targetE1EEEvSL_: ; @_ZN7rocprim17ROCPRIM_400000_NS6detail17trampoline_kernelINS0_14default_configENS1_38merge_sort_block_merge_config_selectorIxNS0_10empty_typeEEEZZNS1_27merge_sort_block_merge_implIS3_N6thrust23THRUST_200600_302600_NS6detail15normal_iteratorINS9_10device_ptrIxEEEEPS5_jNS1_19radix_merge_compareILb0ELb1ExNS0_19identity_decomposerEEEEE10hipError_tT0_T1_T2_jT3_P12ihipStream_tbPNSt15iterator_traitsISK_E10value_typeEPNSQ_ISL_E10value_typeEPSM_NS1_7vsmem_tEENKUlT_SK_SL_SM_E_clISE_PxSF_SF_EESJ_SZ_SK_SL_SM_EUlSZ_E0_NS1_11comp_targetILNS1_3genE9ELNS1_11target_archE1100ELNS1_3gpuE3ELNS1_3repE0EEENS1_38merge_mergepath_config_static_selectorELNS0_4arch9wavefront6targetE1EEEvSL_
; %bb.0:
	.section	.rodata,"a",@progbits
	.p2align	6, 0x0
	.amdhsa_kernel _ZN7rocprim17ROCPRIM_400000_NS6detail17trampoline_kernelINS0_14default_configENS1_38merge_sort_block_merge_config_selectorIxNS0_10empty_typeEEEZZNS1_27merge_sort_block_merge_implIS3_N6thrust23THRUST_200600_302600_NS6detail15normal_iteratorINS9_10device_ptrIxEEEEPS5_jNS1_19radix_merge_compareILb0ELb1ExNS0_19identity_decomposerEEEEE10hipError_tT0_T1_T2_jT3_P12ihipStream_tbPNSt15iterator_traitsISK_E10value_typeEPNSQ_ISL_E10value_typeEPSM_NS1_7vsmem_tEENKUlT_SK_SL_SM_E_clISE_PxSF_SF_EESJ_SZ_SK_SL_SM_EUlSZ_E0_NS1_11comp_targetILNS1_3genE9ELNS1_11target_archE1100ELNS1_3gpuE3ELNS1_3repE0EEENS1_38merge_mergepath_config_static_selectorELNS0_4arch9wavefront6targetE1EEEvSL_
		.amdhsa_group_segment_fixed_size 0
		.amdhsa_private_segment_fixed_size 0
		.amdhsa_kernarg_size 72
		.amdhsa_user_sgpr_count 2
		.amdhsa_user_sgpr_dispatch_ptr 0
		.amdhsa_user_sgpr_queue_ptr 0
		.amdhsa_user_sgpr_kernarg_segment_ptr 1
		.amdhsa_user_sgpr_dispatch_id 0
		.amdhsa_user_sgpr_kernarg_preload_length 0
		.amdhsa_user_sgpr_kernarg_preload_offset 0
		.amdhsa_user_sgpr_private_segment_size 0
		.amdhsa_uses_dynamic_stack 0
		.amdhsa_enable_private_segment 0
		.amdhsa_system_sgpr_workgroup_id_x 1
		.amdhsa_system_sgpr_workgroup_id_y 0
		.amdhsa_system_sgpr_workgroup_id_z 0
		.amdhsa_system_sgpr_workgroup_info 0
		.amdhsa_system_vgpr_workitem_id 0
		.amdhsa_next_free_vgpr 1
		.amdhsa_next_free_sgpr 0
		.amdhsa_accum_offset 4
		.amdhsa_reserve_vcc 0
		.amdhsa_float_round_mode_32 0
		.amdhsa_float_round_mode_16_64 0
		.amdhsa_float_denorm_mode_32 3
		.amdhsa_float_denorm_mode_16_64 3
		.amdhsa_dx10_clamp 1
		.amdhsa_ieee_mode 1
		.amdhsa_fp16_overflow 0
		.amdhsa_tg_split 0
		.amdhsa_exception_fp_ieee_invalid_op 0
		.amdhsa_exception_fp_denorm_src 0
		.amdhsa_exception_fp_ieee_div_zero 0
		.amdhsa_exception_fp_ieee_overflow 0
		.amdhsa_exception_fp_ieee_underflow 0
		.amdhsa_exception_fp_ieee_inexact 0
		.amdhsa_exception_int_div_zero 0
	.end_amdhsa_kernel
	.section	.text._ZN7rocprim17ROCPRIM_400000_NS6detail17trampoline_kernelINS0_14default_configENS1_38merge_sort_block_merge_config_selectorIxNS0_10empty_typeEEEZZNS1_27merge_sort_block_merge_implIS3_N6thrust23THRUST_200600_302600_NS6detail15normal_iteratorINS9_10device_ptrIxEEEEPS5_jNS1_19radix_merge_compareILb0ELb1ExNS0_19identity_decomposerEEEEE10hipError_tT0_T1_T2_jT3_P12ihipStream_tbPNSt15iterator_traitsISK_E10value_typeEPNSQ_ISL_E10value_typeEPSM_NS1_7vsmem_tEENKUlT_SK_SL_SM_E_clISE_PxSF_SF_EESJ_SZ_SK_SL_SM_EUlSZ_E0_NS1_11comp_targetILNS1_3genE9ELNS1_11target_archE1100ELNS1_3gpuE3ELNS1_3repE0EEENS1_38merge_mergepath_config_static_selectorELNS0_4arch9wavefront6targetE1EEEvSL_,"axG",@progbits,_ZN7rocprim17ROCPRIM_400000_NS6detail17trampoline_kernelINS0_14default_configENS1_38merge_sort_block_merge_config_selectorIxNS0_10empty_typeEEEZZNS1_27merge_sort_block_merge_implIS3_N6thrust23THRUST_200600_302600_NS6detail15normal_iteratorINS9_10device_ptrIxEEEEPS5_jNS1_19radix_merge_compareILb0ELb1ExNS0_19identity_decomposerEEEEE10hipError_tT0_T1_T2_jT3_P12ihipStream_tbPNSt15iterator_traitsISK_E10value_typeEPNSQ_ISL_E10value_typeEPSM_NS1_7vsmem_tEENKUlT_SK_SL_SM_E_clISE_PxSF_SF_EESJ_SZ_SK_SL_SM_EUlSZ_E0_NS1_11comp_targetILNS1_3genE9ELNS1_11target_archE1100ELNS1_3gpuE3ELNS1_3repE0EEENS1_38merge_mergepath_config_static_selectorELNS0_4arch9wavefront6targetE1EEEvSL_,comdat
.Lfunc_end1505:
	.size	_ZN7rocprim17ROCPRIM_400000_NS6detail17trampoline_kernelINS0_14default_configENS1_38merge_sort_block_merge_config_selectorIxNS0_10empty_typeEEEZZNS1_27merge_sort_block_merge_implIS3_N6thrust23THRUST_200600_302600_NS6detail15normal_iteratorINS9_10device_ptrIxEEEEPS5_jNS1_19radix_merge_compareILb0ELb1ExNS0_19identity_decomposerEEEEE10hipError_tT0_T1_T2_jT3_P12ihipStream_tbPNSt15iterator_traitsISK_E10value_typeEPNSQ_ISL_E10value_typeEPSM_NS1_7vsmem_tEENKUlT_SK_SL_SM_E_clISE_PxSF_SF_EESJ_SZ_SK_SL_SM_EUlSZ_E0_NS1_11comp_targetILNS1_3genE9ELNS1_11target_archE1100ELNS1_3gpuE3ELNS1_3repE0EEENS1_38merge_mergepath_config_static_selectorELNS0_4arch9wavefront6targetE1EEEvSL_, .Lfunc_end1505-_ZN7rocprim17ROCPRIM_400000_NS6detail17trampoline_kernelINS0_14default_configENS1_38merge_sort_block_merge_config_selectorIxNS0_10empty_typeEEEZZNS1_27merge_sort_block_merge_implIS3_N6thrust23THRUST_200600_302600_NS6detail15normal_iteratorINS9_10device_ptrIxEEEEPS5_jNS1_19radix_merge_compareILb0ELb1ExNS0_19identity_decomposerEEEEE10hipError_tT0_T1_T2_jT3_P12ihipStream_tbPNSt15iterator_traitsISK_E10value_typeEPNSQ_ISL_E10value_typeEPSM_NS1_7vsmem_tEENKUlT_SK_SL_SM_E_clISE_PxSF_SF_EESJ_SZ_SK_SL_SM_EUlSZ_E0_NS1_11comp_targetILNS1_3genE9ELNS1_11target_archE1100ELNS1_3gpuE3ELNS1_3repE0EEENS1_38merge_mergepath_config_static_selectorELNS0_4arch9wavefront6targetE1EEEvSL_
                                        ; -- End function
	.section	.AMDGPU.csdata,"",@progbits
; Kernel info:
; codeLenInByte = 0
; NumSgprs: 6
; NumVgprs: 0
; NumAgprs: 0
; TotalNumVgprs: 0
; ScratchSize: 0
; MemoryBound: 0
; FloatMode: 240
; IeeeMode: 1
; LDSByteSize: 0 bytes/workgroup (compile time only)
; SGPRBlocks: 0
; VGPRBlocks: 0
; NumSGPRsForWavesPerEU: 6
; NumVGPRsForWavesPerEU: 1
; AccumOffset: 4
; Occupancy: 8
; WaveLimiterHint : 0
; COMPUTE_PGM_RSRC2:SCRATCH_EN: 0
; COMPUTE_PGM_RSRC2:USER_SGPR: 2
; COMPUTE_PGM_RSRC2:TRAP_HANDLER: 0
; COMPUTE_PGM_RSRC2:TGID_X_EN: 1
; COMPUTE_PGM_RSRC2:TGID_Y_EN: 0
; COMPUTE_PGM_RSRC2:TGID_Z_EN: 0
; COMPUTE_PGM_RSRC2:TIDIG_COMP_CNT: 0
; COMPUTE_PGM_RSRC3_GFX90A:ACCUM_OFFSET: 0
; COMPUTE_PGM_RSRC3_GFX90A:TG_SPLIT: 0
	.section	.text._ZN7rocprim17ROCPRIM_400000_NS6detail17trampoline_kernelINS0_14default_configENS1_38merge_sort_block_merge_config_selectorIxNS0_10empty_typeEEEZZNS1_27merge_sort_block_merge_implIS3_N6thrust23THRUST_200600_302600_NS6detail15normal_iteratorINS9_10device_ptrIxEEEEPS5_jNS1_19radix_merge_compareILb0ELb1ExNS0_19identity_decomposerEEEEE10hipError_tT0_T1_T2_jT3_P12ihipStream_tbPNSt15iterator_traitsISK_E10value_typeEPNSQ_ISL_E10value_typeEPSM_NS1_7vsmem_tEENKUlT_SK_SL_SM_E_clISE_PxSF_SF_EESJ_SZ_SK_SL_SM_EUlSZ_E0_NS1_11comp_targetILNS1_3genE8ELNS1_11target_archE1030ELNS1_3gpuE2ELNS1_3repE0EEENS1_38merge_mergepath_config_static_selectorELNS0_4arch9wavefront6targetE1EEEvSL_,"axG",@progbits,_ZN7rocprim17ROCPRIM_400000_NS6detail17trampoline_kernelINS0_14default_configENS1_38merge_sort_block_merge_config_selectorIxNS0_10empty_typeEEEZZNS1_27merge_sort_block_merge_implIS3_N6thrust23THRUST_200600_302600_NS6detail15normal_iteratorINS9_10device_ptrIxEEEEPS5_jNS1_19radix_merge_compareILb0ELb1ExNS0_19identity_decomposerEEEEE10hipError_tT0_T1_T2_jT3_P12ihipStream_tbPNSt15iterator_traitsISK_E10value_typeEPNSQ_ISL_E10value_typeEPSM_NS1_7vsmem_tEENKUlT_SK_SL_SM_E_clISE_PxSF_SF_EESJ_SZ_SK_SL_SM_EUlSZ_E0_NS1_11comp_targetILNS1_3genE8ELNS1_11target_archE1030ELNS1_3gpuE2ELNS1_3repE0EEENS1_38merge_mergepath_config_static_selectorELNS0_4arch9wavefront6targetE1EEEvSL_,comdat
	.protected	_ZN7rocprim17ROCPRIM_400000_NS6detail17trampoline_kernelINS0_14default_configENS1_38merge_sort_block_merge_config_selectorIxNS0_10empty_typeEEEZZNS1_27merge_sort_block_merge_implIS3_N6thrust23THRUST_200600_302600_NS6detail15normal_iteratorINS9_10device_ptrIxEEEEPS5_jNS1_19radix_merge_compareILb0ELb1ExNS0_19identity_decomposerEEEEE10hipError_tT0_T1_T2_jT3_P12ihipStream_tbPNSt15iterator_traitsISK_E10value_typeEPNSQ_ISL_E10value_typeEPSM_NS1_7vsmem_tEENKUlT_SK_SL_SM_E_clISE_PxSF_SF_EESJ_SZ_SK_SL_SM_EUlSZ_E0_NS1_11comp_targetILNS1_3genE8ELNS1_11target_archE1030ELNS1_3gpuE2ELNS1_3repE0EEENS1_38merge_mergepath_config_static_selectorELNS0_4arch9wavefront6targetE1EEEvSL_ ; -- Begin function _ZN7rocprim17ROCPRIM_400000_NS6detail17trampoline_kernelINS0_14default_configENS1_38merge_sort_block_merge_config_selectorIxNS0_10empty_typeEEEZZNS1_27merge_sort_block_merge_implIS3_N6thrust23THRUST_200600_302600_NS6detail15normal_iteratorINS9_10device_ptrIxEEEEPS5_jNS1_19radix_merge_compareILb0ELb1ExNS0_19identity_decomposerEEEEE10hipError_tT0_T1_T2_jT3_P12ihipStream_tbPNSt15iterator_traitsISK_E10value_typeEPNSQ_ISL_E10value_typeEPSM_NS1_7vsmem_tEENKUlT_SK_SL_SM_E_clISE_PxSF_SF_EESJ_SZ_SK_SL_SM_EUlSZ_E0_NS1_11comp_targetILNS1_3genE8ELNS1_11target_archE1030ELNS1_3gpuE2ELNS1_3repE0EEENS1_38merge_mergepath_config_static_selectorELNS0_4arch9wavefront6targetE1EEEvSL_
	.globl	_ZN7rocprim17ROCPRIM_400000_NS6detail17trampoline_kernelINS0_14default_configENS1_38merge_sort_block_merge_config_selectorIxNS0_10empty_typeEEEZZNS1_27merge_sort_block_merge_implIS3_N6thrust23THRUST_200600_302600_NS6detail15normal_iteratorINS9_10device_ptrIxEEEEPS5_jNS1_19radix_merge_compareILb0ELb1ExNS0_19identity_decomposerEEEEE10hipError_tT0_T1_T2_jT3_P12ihipStream_tbPNSt15iterator_traitsISK_E10value_typeEPNSQ_ISL_E10value_typeEPSM_NS1_7vsmem_tEENKUlT_SK_SL_SM_E_clISE_PxSF_SF_EESJ_SZ_SK_SL_SM_EUlSZ_E0_NS1_11comp_targetILNS1_3genE8ELNS1_11target_archE1030ELNS1_3gpuE2ELNS1_3repE0EEENS1_38merge_mergepath_config_static_selectorELNS0_4arch9wavefront6targetE1EEEvSL_
	.p2align	8
	.type	_ZN7rocprim17ROCPRIM_400000_NS6detail17trampoline_kernelINS0_14default_configENS1_38merge_sort_block_merge_config_selectorIxNS0_10empty_typeEEEZZNS1_27merge_sort_block_merge_implIS3_N6thrust23THRUST_200600_302600_NS6detail15normal_iteratorINS9_10device_ptrIxEEEEPS5_jNS1_19radix_merge_compareILb0ELb1ExNS0_19identity_decomposerEEEEE10hipError_tT0_T1_T2_jT3_P12ihipStream_tbPNSt15iterator_traitsISK_E10value_typeEPNSQ_ISL_E10value_typeEPSM_NS1_7vsmem_tEENKUlT_SK_SL_SM_E_clISE_PxSF_SF_EESJ_SZ_SK_SL_SM_EUlSZ_E0_NS1_11comp_targetILNS1_3genE8ELNS1_11target_archE1030ELNS1_3gpuE2ELNS1_3repE0EEENS1_38merge_mergepath_config_static_selectorELNS0_4arch9wavefront6targetE1EEEvSL_,@function
_ZN7rocprim17ROCPRIM_400000_NS6detail17trampoline_kernelINS0_14default_configENS1_38merge_sort_block_merge_config_selectorIxNS0_10empty_typeEEEZZNS1_27merge_sort_block_merge_implIS3_N6thrust23THRUST_200600_302600_NS6detail15normal_iteratorINS9_10device_ptrIxEEEEPS5_jNS1_19radix_merge_compareILb0ELb1ExNS0_19identity_decomposerEEEEE10hipError_tT0_T1_T2_jT3_P12ihipStream_tbPNSt15iterator_traitsISK_E10value_typeEPNSQ_ISL_E10value_typeEPSM_NS1_7vsmem_tEENKUlT_SK_SL_SM_E_clISE_PxSF_SF_EESJ_SZ_SK_SL_SM_EUlSZ_E0_NS1_11comp_targetILNS1_3genE8ELNS1_11target_archE1030ELNS1_3gpuE2ELNS1_3repE0EEENS1_38merge_mergepath_config_static_selectorELNS0_4arch9wavefront6targetE1EEEvSL_: ; @_ZN7rocprim17ROCPRIM_400000_NS6detail17trampoline_kernelINS0_14default_configENS1_38merge_sort_block_merge_config_selectorIxNS0_10empty_typeEEEZZNS1_27merge_sort_block_merge_implIS3_N6thrust23THRUST_200600_302600_NS6detail15normal_iteratorINS9_10device_ptrIxEEEEPS5_jNS1_19radix_merge_compareILb0ELb1ExNS0_19identity_decomposerEEEEE10hipError_tT0_T1_T2_jT3_P12ihipStream_tbPNSt15iterator_traitsISK_E10value_typeEPNSQ_ISL_E10value_typeEPSM_NS1_7vsmem_tEENKUlT_SK_SL_SM_E_clISE_PxSF_SF_EESJ_SZ_SK_SL_SM_EUlSZ_E0_NS1_11comp_targetILNS1_3genE8ELNS1_11target_archE1030ELNS1_3gpuE2ELNS1_3repE0EEENS1_38merge_mergepath_config_static_selectorELNS0_4arch9wavefront6targetE1EEEvSL_
; %bb.0:
	.section	.rodata,"a",@progbits
	.p2align	6, 0x0
	.amdhsa_kernel _ZN7rocprim17ROCPRIM_400000_NS6detail17trampoline_kernelINS0_14default_configENS1_38merge_sort_block_merge_config_selectorIxNS0_10empty_typeEEEZZNS1_27merge_sort_block_merge_implIS3_N6thrust23THRUST_200600_302600_NS6detail15normal_iteratorINS9_10device_ptrIxEEEEPS5_jNS1_19radix_merge_compareILb0ELb1ExNS0_19identity_decomposerEEEEE10hipError_tT0_T1_T2_jT3_P12ihipStream_tbPNSt15iterator_traitsISK_E10value_typeEPNSQ_ISL_E10value_typeEPSM_NS1_7vsmem_tEENKUlT_SK_SL_SM_E_clISE_PxSF_SF_EESJ_SZ_SK_SL_SM_EUlSZ_E0_NS1_11comp_targetILNS1_3genE8ELNS1_11target_archE1030ELNS1_3gpuE2ELNS1_3repE0EEENS1_38merge_mergepath_config_static_selectorELNS0_4arch9wavefront6targetE1EEEvSL_
		.amdhsa_group_segment_fixed_size 0
		.amdhsa_private_segment_fixed_size 0
		.amdhsa_kernarg_size 72
		.amdhsa_user_sgpr_count 2
		.amdhsa_user_sgpr_dispatch_ptr 0
		.amdhsa_user_sgpr_queue_ptr 0
		.amdhsa_user_sgpr_kernarg_segment_ptr 1
		.amdhsa_user_sgpr_dispatch_id 0
		.amdhsa_user_sgpr_kernarg_preload_length 0
		.amdhsa_user_sgpr_kernarg_preload_offset 0
		.amdhsa_user_sgpr_private_segment_size 0
		.amdhsa_uses_dynamic_stack 0
		.amdhsa_enable_private_segment 0
		.amdhsa_system_sgpr_workgroup_id_x 1
		.amdhsa_system_sgpr_workgroup_id_y 0
		.amdhsa_system_sgpr_workgroup_id_z 0
		.amdhsa_system_sgpr_workgroup_info 0
		.amdhsa_system_vgpr_workitem_id 0
		.amdhsa_next_free_vgpr 1
		.amdhsa_next_free_sgpr 0
		.amdhsa_accum_offset 4
		.amdhsa_reserve_vcc 0
		.amdhsa_float_round_mode_32 0
		.amdhsa_float_round_mode_16_64 0
		.amdhsa_float_denorm_mode_32 3
		.amdhsa_float_denorm_mode_16_64 3
		.amdhsa_dx10_clamp 1
		.amdhsa_ieee_mode 1
		.amdhsa_fp16_overflow 0
		.amdhsa_tg_split 0
		.amdhsa_exception_fp_ieee_invalid_op 0
		.amdhsa_exception_fp_denorm_src 0
		.amdhsa_exception_fp_ieee_div_zero 0
		.amdhsa_exception_fp_ieee_overflow 0
		.amdhsa_exception_fp_ieee_underflow 0
		.amdhsa_exception_fp_ieee_inexact 0
		.amdhsa_exception_int_div_zero 0
	.end_amdhsa_kernel
	.section	.text._ZN7rocprim17ROCPRIM_400000_NS6detail17trampoline_kernelINS0_14default_configENS1_38merge_sort_block_merge_config_selectorIxNS0_10empty_typeEEEZZNS1_27merge_sort_block_merge_implIS3_N6thrust23THRUST_200600_302600_NS6detail15normal_iteratorINS9_10device_ptrIxEEEEPS5_jNS1_19radix_merge_compareILb0ELb1ExNS0_19identity_decomposerEEEEE10hipError_tT0_T1_T2_jT3_P12ihipStream_tbPNSt15iterator_traitsISK_E10value_typeEPNSQ_ISL_E10value_typeEPSM_NS1_7vsmem_tEENKUlT_SK_SL_SM_E_clISE_PxSF_SF_EESJ_SZ_SK_SL_SM_EUlSZ_E0_NS1_11comp_targetILNS1_3genE8ELNS1_11target_archE1030ELNS1_3gpuE2ELNS1_3repE0EEENS1_38merge_mergepath_config_static_selectorELNS0_4arch9wavefront6targetE1EEEvSL_,"axG",@progbits,_ZN7rocprim17ROCPRIM_400000_NS6detail17trampoline_kernelINS0_14default_configENS1_38merge_sort_block_merge_config_selectorIxNS0_10empty_typeEEEZZNS1_27merge_sort_block_merge_implIS3_N6thrust23THRUST_200600_302600_NS6detail15normal_iteratorINS9_10device_ptrIxEEEEPS5_jNS1_19radix_merge_compareILb0ELb1ExNS0_19identity_decomposerEEEEE10hipError_tT0_T1_T2_jT3_P12ihipStream_tbPNSt15iterator_traitsISK_E10value_typeEPNSQ_ISL_E10value_typeEPSM_NS1_7vsmem_tEENKUlT_SK_SL_SM_E_clISE_PxSF_SF_EESJ_SZ_SK_SL_SM_EUlSZ_E0_NS1_11comp_targetILNS1_3genE8ELNS1_11target_archE1030ELNS1_3gpuE2ELNS1_3repE0EEENS1_38merge_mergepath_config_static_selectorELNS0_4arch9wavefront6targetE1EEEvSL_,comdat
.Lfunc_end1506:
	.size	_ZN7rocprim17ROCPRIM_400000_NS6detail17trampoline_kernelINS0_14default_configENS1_38merge_sort_block_merge_config_selectorIxNS0_10empty_typeEEEZZNS1_27merge_sort_block_merge_implIS3_N6thrust23THRUST_200600_302600_NS6detail15normal_iteratorINS9_10device_ptrIxEEEEPS5_jNS1_19radix_merge_compareILb0ELb1ExNS0_19identity_decomposerEEEEE10hipError_tT0_T1_T2_jT3_P12ihipStream_tbPNSt15iterator_traitsISK_E10value_typeEPNSQ_ISL_E10value_typeEPSM_NS1_7vsmem_tEENKUlT_SK_SL_SM_E_clISE_PxSF_SF_EESJ_SZ_SK_SL_SM_EUlSZ_E0_NS1_11comp_targetILNS1_3genE8ELNS1_11target_archE1030ELNS1_3gpuE2ELNS1_3repE0EEENS1_38merge_mergepath_config_static_selectorELNS0_4arch9wavefront6targetE1EEEvSL_, .Lfunc_end1506-_ZN7rocprim17ROCPRIM_400000_NS6detail17trampoline_kernelINS0_14default_configENS1_38merge_sort_block_merge_config_selectorIxNS0_10empty_typeEEEZZNS1_27merge_sort_block_merge_implIS3_N6thrust23THRUST_200600_302600_NS6detail15normal_iteratorINS9_10device_ptrIxEEEEPS5_jNS1_19radix_merge_compareILb0ELb1ExNS0_19identity_decomposerEEEEE10hipError_tT0_T1_T2_jT3_P12ihipStream_tbPNSt15iterator_traitsISK_E10value_typeEPNSQ_ISL_E10value_typeEPSM_NS1_7vsmem_tEENKUlT_SK_SL_SM_E_clISE_PxSF_SF_EESJ_SZ_SK_SL_SM_EUlSZ_E0_NS1_11comp_targetILNS1_3genE8ELNS1_11target_archE1030ELNS1_3gpuE2ELNS1_3repE0EEENS1_38merge_mergepath_config_static_selectorELNS0_4arch9wavefront6targetE1EEEvSL_
                                        ; -- End function
	.section	.AMDGPU.csdata,"",@progbits
; Kernel info:
; codeLenInByte = 0
; NumSgprs: 6
; NumVgprs: 0
; NumAgprs: 0
; TotalNumVgprs: 0
; ScratchSize: 0
; MemoryBound: 0
; FloatMode: 240
; IeeeMode: 1
; LDSByteSize: 0 bytes/workgroup (compile time only)
; SGPRBlocks: 0
; VGPRBlocks: 0
; NumSGPRsForWavesPerEU: 6
; NumVGPRsForWavesPerEU: 1
; AccumOffset: 4
; Occupancy: 8
; WaveLimiterHint : 0
; COMPUTE_PGM_RSRC2:SCRATCH_EN: 0
; COMPUTE_PGM_RSRC2:USER_SGPR: 2
; COMPUTE_PGM_RSRC2:TRAP_HANDLER: 0
; COMPUTE_PGM_RSRC2:TGID_X_EN: 1
; COMPUTE_PGM_RSRC2:TGID_Y_EN: 0
; COMPUTE_PGM_RSRC2:TGID_Z_EN: 0
; COMPUTE_PGM_RSRC2:TIDIG_COMP_CNT: 0
; COMPUTE_PGM_RSRC3_GFX90A:ACCUM_OFFSET: 0
; COMPUTE_PGM_RSRC3_GFX90A:TG_SPLIT: 0
	.section	.text._ZN7rocprim17ROCPRIM_400000_NS6detail17trampoline_kernelINS0_14default_configENS1_38merge_sort_block_merge_config_selectorIxNS0_10empty_typeEEEZZNS1_27merge_sort_block_merge_implIS3_N6thrust23THRUST_200600_302600_NS6detail15normal_iteratorINS9_10device_ptrIxEEEEPS5_jNS1_19radix_merge_compareILb0ELb1ExNS0_19identity_decomposerEEEEE10hipError_tT0_T1_T2_jT3_P12ihipStream_tbPNSt15iterator_traitsISK_E10value_typeEPNSQ_ISL_E10value_typeEPSM_NS1_7vsmem_tEENKUlT_SK_SL_SM_E_clISE_PxSF_SF_EESJ_SZ_SK_SL_SM_EUlSZ_E1_NS1_11comp_targetILNS1_3genE0ELNS1_11target_archE4294967295ELNS1_3gpuE0ELNS1_3repE0EEENS1_36merge_oddeven_config_static_selectorELNS0_4arch9wavefront6targetE1EEEvSL_,"axG",@progbits,_ZN7rocprim17ROCPRIM_400000_NS6detail17trampoline_kernelINS0_14default_configENS1_38merge_sort_block_merge_config_selectorIxNS0_10empty_typeEEEZZNS1_27merge_sort_block_merge_implIS3_N6thrust23THRUST_200600_302600_NS6detail15normal_iteratorINS9_10device_ptrIxEEEEPS5_jNS1_19radix_merge_compareILb0ELb1ExNS0_19identity_decomposerEEEEE10hipError_tT0_T1_T2_jT3_P12ihipStream_tbPNSt15iterator_traitsISK_E10value_typeEPNSQ_ISL_E10value_typeEPSM_NS1_7vsmem_tEENKUlT_SK_SL_SM_E_clISE_PxSF_SF_EESJ_SZ_SK_SL_SM_EUlSZ_E1_NS1_11comp_targetILNS1_3genE0ELNS1_11target_archE4294967295ELNS1_3gpuE0ELNS1_3repE0EEENS1_36merge_oddeven_config_static_selectorELNS0_4arch9wavefront6targetE1EEEvSL_,comdat
	.protected	_ZN7rocprim17ROCPRIM_400000_NS6detail17trampoline_kernelINS0_14default_configENS1_38merge_sort_block_merge_config_selectorIxNS0_10empty_typeEEEZZNS1_27merge_sort_block_merge_implIS3_N6thrust23THRUST_200600_302600_NS6detail15normal_iteratorINS9_10device_ptrIxEEEEPS5_jNS1_19radix_merge_compareILb0ELb1ExNS0_19identity_decomposerEEEEE10hipError_tT0_T1_T2_jT3_P12ihipStream_tbPNSt15iterator_traitsISK_E10value_typeEPNSQ_ISL_E10value_typeEPSM_NS1_7vsmem_tEENKUlT_SK_SL_SM_E_clISE_PxSF_SF_EESJ_SZ_SK_SL_SM_EUlSZ_E1_NS1_11comp_targetILNS1_3genE0ELNS1_11target_archE4294967295ELNS1_3gpuE0ELNS1_3repE0EEENS1_36merge_oddeven_config_static_selectorELNS0_4arch9wavefront6targetE1EEEvSL_ ; -- Begin function _ZN7rocprim17ROCPRIM_400000_NS6detail17trampoline_kernelINS0_14default_configENS1_38merge_sort_block_merge_config_selectorIxNS0_10empty_typeEEEZZNS1_27merge_sort_block_merge_implIS3_N6thrust23THRUST_200600_302600_NS6detail15normal_iteratorINS9_10device_ptrIxEEEEPS5_jNS1_19radix_merge_compareILb0ELb1ExNS0_19identity_decomposerEEEEE10hipError_tT0_T1_T2_jT3_P12ihipStream_tbPNSt15iterator_traitsISK_E10value_typeEPNSQ_ISL_E10value_typeEPSM_NS1_7vsmem_tEENKUlT_SK_SL_SM_E_clISE_PxSF_SF_EESJ_SZ_SK_SL_SM_EUlSZ_E1_NS1_11comp_targetILNS1_3genE0ELNS1_11target_archE4294967295ELNS1_3gpuE0ELNS1_3repE0EEENS1_36merge_oddeven_config_static_selectorELNS0_4arch9wavefront6targetE1EEEvSL_
	.globl	_ZN7rocprim17ROCPRIM_400000_NS6detail17trampoline_kernelINS0_14default_configENS1_38merge_sort_block_merge_config_selectorIxNS0_10empty_typeEEEZZNS1_27merge_sort_block_merge_implIS3_N6thrust23THRUST_200600_302600_NS6detail15normal_iteratorINS9_10device_ptrIxEEEEPS5_jNS1_19radix_merge_compareILb0ELb1ExNS0_19identity_decomposerEEEEE10hipError_tT0_T1_T2_jT3_P12ihipStream_tbPNSt15iterator_traitsISK_E10value_typeEPNSQ_ISL_E10value_typeEPSM_NS1_7vsmem_tEENKUlT_SK_SL_SM_E_clISE_PxSF_SF_EESJ_SZ_SK_SL_SM_EUlSZ_E1_NS1_11comp_targetILNS1_3genE0ELNS1_11target_archE4294967295ELNS1_3gpuE0ELNS1_3repE0EEENS1_36merge_oddeven_config_static_selectorELNS0_4arch9wavefront6targetE1EEEvSL_
	.p2align	8
	.type	_ZN7rocprim17ROCPRIM_400000_NS6detail17trampoline_kernelINS0_14default_configENS1_38merge_sort_block_merge_config_selectorIxNS0_10empty_typeEEEZZNS1_27merge_sort_block_merge_implIS3_N6thrust23THRUST_200600_302600_NS6detail15normal_iteratorINS9_10device_ptrIxEEEEPS5_jNS1_19radix_merge_compareILb0ELb1ExNS0_19identity_decomposerEEEEE10hipError_tT0_T1_T2_jT3_P12ihipStream_tbPNSt15iterator_traitsISK_E10value_typeEPNSQ_ISL_E10value_typeEPSM_NS1_7vsmem_tEENKUlT_SK_SL_SM_E_clISE_PxSF_SF_EESJ_SZ_SK_SL_SM_EUlSZ_E1_NS1_11comp_targetILNS1_3genE0ELNS1_11target_archE4294967295ELNS1_3gpuE0ELNS1_3repE0EEENS1_36merge_oddeven_config_static_selectorELNS0_4arch9wavefront6targetE1EEEvSL_,@function
_ZN7rocprim17ROCPRIM_400000_NS6detail17trampoline_kernelINS0_14default_configENS1_38merge_sort_block_merge_config_selectorIxNS0_10empty_typeEEEZZNS1_27merge_sort_block_merge_implIS3_N6thrust23THRUST_200600_302600_NS6detail15normal_iteratorINS9_10device_ptrIxEEEEPS5_jNS1_19radix_merge_compareILb0ELb1ExNS0_19identity_decomposerEEEEE10hipError_tT0_T1_T2_jT3_P12ihipStream_tbPNSt15iterator_traitsISK_E10value_typeEPNSQ_ISL_E10value_typeEPSM_NS1_7vsmem_tEENKUlT_SK_SL_SM_E_clISE_PxSF_SF_EESJ_SZ_SK_SL_SM_EUlSZ_E1_NS1_11comp_targetILNS1_3genE0ELNS1_11target_archE4294967295ELNS1_3gpuE0ELNS1_3repE0EEENS1_36merge_oddeven_config_static_selectorELNS0_4arch9wavefront6targetE1EEEvSL_: ; @_ZN7rocprim17ROCPRIM_400000_NS6detail17trampoline_kernelINS0_14default_configENS1_38merge_sort_block_merge_config_selectorIxNS0_10empty_typeEEEZZNS1_27merge_sort_block_merge_implIS3_N6thrust23THRUST_200600_302600_NS6detail15normal_iteratorINS9_10device_ptrIxEEEEPS5_jNS1_19radix_merge_compareILb0ELb1ExNS0_19identity_decomposerEEEEE10hipError_tT0_T1_T2_jT3_P12ihipStream_tbPNSt15iterator_traitsISK_E10value_typeEPNSQ_ISL_E10value_typeEPSM_NS1_7vsmem_tEENKUlT_SK_SL_SM_E_clISE_PxSF_SF_EESJ_SZ_SK_SL_SM_EUlSZ_E1_NS1_11comp_targetILNS1_3genE0ELNS1_11target_archE4294967295ELNS1_3gpuE0ELNS1_3repE0EEENS1_36merge_oddeven_config_static_selectorELNS0_4arch9wavefront6targetE1EEEvSL_
; %bb.0:
	.section	.rodata,"a",@progbits
	.p2align	6, 0x0
	.amdhsa_kernel _ZN7rocprim17ROCPRIM_400000_NS6detail17trampoline_kernelINS0_14default_configENS1_38merge_sort_block_merge_config_selectorIxNS0_10empty_typeEEEZZNS1_27merge_sort_block_merge_implIS3_N6thrust23THRUST_200600_302600_NS6detail15normal_iteratorINS9_10device_ptrIxEEEEPS5_jNS1_19radix_merge_compareILb0ELb1ExNS0_19identity_decomposerEEEEE10hipError_tT0_T1_T2_jT3_P12ihipStream_tbPNSt15iterator_traitsISK_E10value_typeEPNSQ_ISL_E10value_typeEPSM_NS1_7vsmem_tEENKUlT_SK_SL_SM_E_clISE_PxSF_SF_EESJ_SZ_SK_SL_SM_EUlSZ_E1_NS1_11comp_targetILNS1_3genE0ELNS1_11target_archE4294967295ELNS1_3gpuE0ELNS1_3repE0EEENS1_36merge_oddeven_config_static_selectorELNS0_4arch9wavefront6targetE1EEEvSL_
		.amdhsa_group_segment_fixed_size 0
		.amdhsa_private_segment_fixed_size 0
		.amdhsa_kernarg_size 48
		.amdhsa_user_sgpr_count 2
		.amdhsa_user_sgpr_dispatch_ptr 0
		.amdhsa_user_sgpr_queue_ptr 0
		.amdhsa_user_sgpr_kernarg_segment_ptr 1
		.amdhsa_user_sgpr_dispatch_id 0
		.amdhsa_user_sgpr_kernarg_preload_length 0
		.amdhsa_user_sgpr_kernarg_preload_offset 0
		.amdhsa_user_sgpr_private_segment_size 0
		.amdhsa_uses_dynamic_stack 0
		.amdhsa_enable_private_segment 0
		.amdhsa_system_sgpr_workgroup_id_x 1
		.amdhsa_system_sgpr_workgroup_id_y 0
		.amdhsa_system_sgpr_workgroup_id_z 0
		.amdhsa_system_sgpr_workgroup_info 0
		.amdhsa_system_vgpr_workitem_id 0
		.amdhsa_next_free_vgpr 1
		.amdhsa_next_free_sgpr 0
		.amdhsa_accum_offset 4
		.amdhsa_reserve_vcc 0
		.amdhsa_float_round_mode_32 0
		.amdhsa_float_round_mode_16_64 0
		.amdhsa_float_denorm_mode_32 3
		.amdhsa_float_denorm_mode_16_64 3
		.amdhsa_dx10_clamp 1
		.amdhsa_ieee_mode 1
		.amdhsa_fp16_overflow 0
		.amdhsa_tg_split 0
		.amdhsa_exception_fp_ieee_invalid_op 0
		.amdhsa_exception_fp_denorm_src 0
		.amdhsa_exception_fp_ieee_div_zero 0
		.amdhsa_exception_fp_ieee_overflow 0
		.amdhsa_exception_fp_ieee_underflow 0
		.amdhsa_exception_fp_ieee_inexact 0
		.amdhsa_exception_int_div_zero 0
	.end_amdhsa_kernel
	.section	.text._ZN7rocprim17ROCPRIM_400000_NS6detail17trampoline_kernelINS0_14default_configENS1_38merge_sort_block_merge_config_selectorIxNS0_10empty_typeEEEZZNS1_27merge_sort_block_merge_implIS3_N6thrust23THRUST_200600_302600_NS6detail15normal_iteratorINS9_10device_ptrIxEEEEPS5_jNS1_19radix_merge_compareILb0ELb1ExNS0_19identity_decomposerEEEEE10hipError_tT0_T1_T2_jT3_P12ihipStream_tbPNSt15iterator_traitsISK_E10value_typeEPNSQ_ISL_E10value_typeEPSM_NS1_7vsmem_tEENKUlT_SK_SL_SM_E_clISE_PxSF_SF_EESJ_SZ_SK_SL_SM_EUlSZ_E1_NS1_11comp_targetILNS1_3genE0ELNS1_11target_archE4294967295ELNS1_3gpuE0ELNS1_3repE0EEENS1_36merge_oddeven_config_static_selectorELNS0_4arch9wavefront6targetE1EEEvSL_,"axG",@progbits,_ZN7rocprim17ROCPRIM_400000_NS6detail17trampoline_kernelINS0_14default_configENS1_38merge_sort_block_merge_config_selectorIxNS0_10empty_typeEEEZZNS1_27merge_sort_block_merge_implIS3_N6thrust23THRUST_200600_302600_NS6detail15normal_iteratorINS9_10device_ptrIxEEEEPS5_jNS1_19radix_merge_compareILb0ELb1ExNS0_19identity_decomposerEEEEE10hipError_tT0_T1_T2_jT3_P12ihipStream_tbPNSt15iterator_traitsISK_E10value_typeEPNSQ_ISL_E10value_typeEPSM_NS1_7vsmem_tEENKUlT_SK_SL_SM_E_clISE_PxSF_SF_EESJ_SZ_SK_SL_SM_EUlSZ_E1_NS1_11comp_targetILNS1_3genE0ELNS1_11target_archE4294967295ELNS1_3gpuE0ELNS1_3repE0EEENS1_36merge_oddeven_config_static_selectorELNS0_4arch9wavefront6targetE1EEEvSL_,comdat
.Lfunc_end1507:
	.size	_ZN7rocprim17ROCPRIM_400000_NS6detail17trampoline_kernelINS0_14default_configENS1_38merge_sort_block_merge_config_selectorIxNS0_10empty_typeEEEZZNS1_27merge_sort_block_merge_implIS3_N6thrust23THRUST_200600_302600_NS6detail15normal_iteratorINS9_10device_ptrIxEEEEPS5_jNS1_19radix_merge_compareILb0ELb1ExNS0_19identity_decomposerEEEEE10hipError_tT0_T1_T2_jT3_P12ihipStream_tbPNSt15iterator_traitsISK_E10value_typeEPNSQ_ISL_E10value_typeEPSM_NS1_7vsmem_tEENKUlT_SK_SL_SM_E_clISE_PxSF_SF_EESJ_SZ_SK_SL_SM_EUlSZ_E1_NS1_11comp_targetILNS1_3genE0ELNS1_11target_archE4294967295ELNS1_3gpuE0ELNS1_3repE0EEENS1_36merge_oddeven_config_static_selectorELNS0_4arch9wavefront6targetE1EEEvSL_, .Lfunc_end1507-_ZN7rocprim17ROCPRIM_400000_NS6detail17trampoline_kernelINS0_14default_configENS1_38merge_sort_block_merge_config_selectorIxNS0_10empty_typeEEEZZNS1_27merge_sort_block_merge_implIS3_N6thrust23THRUST_200600_302600_NS6detail15normal_iteratorINS9_10device_ptrIxEEEEPS5_jNS1_19radix_merge_compareILb0ELb1ExNS0_19identity_decomposerEEEEE10hipError_tT0_T1_T2_jT3_P12ihipStream_tbPNSt15iterator_traitsISK_E10value_typeEPNSQ_ISL_E10value_typeEPSM_NS1_7vsmem_tEENKUlT_SK_SL_SM_E_clISE_PxSF_SF_EESJ_SZ_SK_SL_SM_EUlSZ_E1_NS1_11comp_targetILNS1_3genE0ELNS1_11target_archE4294967295ELNS1_3gpuE0ELNS1_3repE0EEENS1_36merge_oddeven_config_static_selectorELNS0_4arch9wavefront6targetE1EEEvSL_
                                        ; -- End function
	.section	.AMDGPU.csdata,"",@progbits
; Kernel info:
; codeLenInByte = 0
; NumSgprs: 6
; NumVgprs: 0
; NumAgprs: 0
; TotalNumVgprs: 0
; ScratchSize: 0
; MemoryBound: 0
; FloatMode: 240
; IeeeMode: 1
; LDSByteSize: 0 bytes/workgroup (compile time only)
; SGPRBlocks: 0
; VGPRBlocks: 0
; NumSGPRsForWavesPerEU: 6
; NumVGPRsForWavesPerEU: 1
; AccumOffset: 4
; Occupancy: 8
; WaveLimiterHint : 0
; COMPUTE_PGM_RSRC2:SCRATCH_EN: 0
; COMPUTE_PGM_RSRC2:USER_SGPR: 2
; COMPUTE_PGM_RSRC2:TRAP_HANDLER: 0
; COMPUTE_PGM_RSRC2:TGID_X_EN: 1
; COMPUTE_PGM_RSRC2:TGID_Y_EN: 0
; COMPUTE_PGM_RSRC2:TGID_Z_EN: 0
; COMPUTE_PGM_RSRC2:TIDIG_COMP_CNT: 0
; COMPUTE_PGM_RSRC3_GFX90A:ACCUM_OFFSET: 0
; COMPUTE_PGM_RSRC3_GFX90A:TG_SPLIT: 0
	.section	.text._ZN7rocprim17ROCPRIM_400000_NS6detail17trampoline_kernelINS0_14default_configENS1_38merge_sort_block_merge_config_selectorIxNS0_10empty_typeEEEZZNS1_27merge_sort_block_merge_implIS3_N6thrust23THRUST_200600_302600_NS6detail15normal_iteratorINS9_10device_ptrIxEEEEPS5_jNS1_19radix_merge_compareILb0ELb1ExNS0_19identity_decomposerEEEEE10hipError_tT0_T1_T2_jT3_P12ihipStream_tbPNSt15iterator_traitsISK_E10value_typeEPNSQ_ISL_E10value_typeEPSM_NS1_7vsmem_tEENKUlT_SK_SL_SM_E_clISE_PxSF_SF_EESJ_SZ_SK_SL_SM_EUlSZ_E1_NS1_11comp_targetILNS1_3genE10ELNS1_11target_archE1201ELNS1_3gpuE5ELNS1_3repE0EEENS1_36merge_oddeven_config_static_selectorELNS0_4arch9wavefront6targetE1EEEvSL_,"axG",@progbits,_ZN7rocprim17ROCPRIM_400000_NS6detail17trampoline_kernelINS0_14default_configENS1_38merge_sort_block_merge_config_selectorIxNS0_10empty_typeEEEZZNS1_27merge_sort_block_merge_implIS3_N6thrust23THRUST_200600_302600_NS6detail15normal_iteratorINS9_10device_ptrIxEEEEPS5_jNS1_19radix_merge_compareILb0ELb1ExNS0_19identity_decomposerEEEEE10hipError_tT0_T1_T2_jT3_P12ihipStream_tbPNSt15iterator_traitsISK_E10value_typeEPNSQ_ISL_E10value_typeEPSM_NS1_7vsmem_tEENKUlT_SK_SL_SM_E_clISE_PxSF_SF_EESJ_SZ_SK_SL_SM_EUlSZ_E1_NS1_11comp_targetILNS1_3genE10ELNS1_11target_archE1201ELNS1_3gpuE5ELNS1_3repE0EEENS1_36merge_oddeven_config_static_selectorELNS0_4arch9wavefront6targetE1EEEvSL_,comdat
	.protected	_ZN7rocprim17ROCPRIM_400000_NS6detail17trampoline_kernelINS0_14default_configENS1_38merge_sort_block_merge_config_selectorIxNS0_10empty_typeEEEZZNS1_27merge_sort_block_merge_implIS3_N6thrust23THRUST_200600_302600_NS6detail15normal_iteratorINS9_10device_ptrIxEEEEPS5_jNS1_19radix_merge_compareILb0ELb1ExNS0_19identity_decomposerEEEEE10hipError_tT0_T1_T2_jT3_P12ihipStream_tbPNSt15iterator_traitsISK_E10value_typeEPNSQ_ISL_E10value_typeEPSM_NS1_7vsmem_tEENKUlT_SK_SL_SM_E_clISE_PxSF_SF_EESJ_SZ_SK_SL_SM_EUlSZ_E1_NS1_11comp_targetILNS1_3genE10ELNS1_11target_archE1201ELNS1_3gpuE5ELNS1_3repE0EEENS1_36merge_oddeven_config_static_selectorELNS0_4arch9wavefront6targetE1EEEvSL_ ; -- Begin function _ZN7rocprim17ROCPRIM_400000_NS6detail17trampoline_kernelINS0_14default_configENS1_38merge_sort_block_merge_config_selectorIxNS0_10empty_typeEEEZZNS1_27merge_sort_block_merge_implIS3_N6thrust23THRUST_200600_302600_NS6detail15normal_iteratorINS9_10device_ptrIxEEEEPS5_jNS1_19radix_merge_compareILb0ELb1ExNS0_19identity_decomposerEEEEE10hipError_tT0_T1_T2_jT3_P12ihipStream_tbPNSt15iterator_traitsISK_E10value_typeEPNSQ_ISL_E10value_typeEPSM_NS1_7vsmem_tEENKUlT_SK_SL_SM_E_clISE_PxSF_SF_EESJ_SZ_SK_SL_SM_EUlSZ_E1_NS1_11comp_targetILNS1_3genE10ELNS1_11target_archE1201ELNS1_3gpuE5ELNS1_3repE0EEENS1_36merge_oddeven_config_static_selectorELNS0_4arch9wavefront6targetE1EEEvSL_
	.globl	_ZN7rocprim17ROCPRIM_400000_NS6detail17trampoline_kernelINS0_14default_configENS1_38merge_sort_block_merge_config_selectorIxNS0_10empty_typeEEEZZNS1_27merge_sort_block_merge_implIS3_N6thrust23THRUST_200600_302600_NS6detail15normal_iteratorINS9_10device_ptrIxEEEEPS5_jNS1_19radix_merge_compareILb0ELb1ExNS0_19identity_decomposerEEEEE10hipError_tT0_T1_T2_jT3_P12ihipStream_tbPNSt15iterator_traitsISK_E10value_typeEPNSQ_ISL_E10value_typeEPSM_NS1_7vsmem_tEENKUlT_SK_SL_SM_E_clISE_PxSF_SF_EESJ_SZ_SK_SL_SM_EUlSZ_E1_NS1_11comp_targetILNS1_3genE10ELNS1_11target_archE1201ELNS1_3gpuE5ELNS1_3repE0EEENS1_36merge_oddeven_config_static_selectorELNS0_4arch9wavefront6targetE1EEEvSL_
	.p2align	8
	.type	_ZN7rocprim17ROCPRIM_400000_NS6detail17trampoline_kernelINS0_14default_configENS1_38merge_sort_block_merge_config_selectorIxNS0_10empty_typeEEEZZNS1_27merge_sort_block_merge_implIS3_N6thrust23THRUST_200600_302600_NS6detail15normal_iteratorINS9_10device_ptrIxEEEEPS5_jNS1_19radix_merge_compareILb0ELb1ExNS0_19identity_decomposerEEEEE10hipError_tT0_T1_T2_jT3_P12ihipStream_tbPNSt15iterator_traitsISK_E10value_typeEPNSQ_ISL_E10value_typeEPSM_NS1_7vsmem_tEENKUlT_SK_SL_SM_E_clISE_PxSF_SF_EESJ_SZ_SK_SL_SM_EUlSZ_E1_NS1_11comp_targetILNS1_3genE10ELNS1_11target_archE1201ELNS1_3gpuE5ELNS1_3repE0EEENS1_36merge_oddeven_config_static_selectorELNS0_4arch9wavefront6targetE1EEEvSL_,@function
_ZN7rocprim17ROCPRIM_400000_NS6detail17trampoline_kernelINS0_14default_configENS1_38merge_sort_block_merge_config_selectorIxNS0_10empty_typeEEEZZNS1_27merge_sort_block_merge_implIS3_N6thrust23THRUST_200600_302600_NS6detail15normal_iteratorINS9_10device_ptrIxEEEEPS5_jNS1_19radix_merge_compareILb0ELb1ExNS0_19identity_decomposerEEEEE10hipError_tT0_T1_T2_jT3_P12ihipStream_tbPNSt15iterator_traitsISK_E10value_typeEPNSQ_ISL_E10value_typeEPSM_NS1_7vsmem_tEENKUlT_SK_SL_SM_E_clISE_PxSF_SF_EESJ_SZ_SK_SL_SM_EUlSZ_E1_NS1_11comp_targetILNS1_3genE10ELNS1_11target_archE1201ELNS1_3gpuE5ELNS1_3repE0EEENS1_36merge_oddeven_config_static_selectorELNS0_4arch9wavefront6targetE1EEEvSL_: ; @_ZN7rocprim17ROCPRIM_400000_NS6detail17trampoline_kernelINS0_14default_configENS1_38merge_sort_block_merge_config_selectorIxNS0_10empty_typeEEEZZNS1_27merge_sort_block_merge_implIS3_N6thrust23THRUST_200600_302600_NS6detail15normal_iteratorINS9_10device_ptrIxEEEEPS5_jNS1_19radix_merge_compareILb0ELb1ExNS0_19identity_decomposerEEEEE10hipError_tT0_T1_T2_jT3_P12ihipStream_tbPNSt15iterator_traitsISK_E10value_typeEPNSQ_ISL_E10value_typeEPSM_NS1_7vsmem_tEENKUlT_SK_SL_SM_E_clISE_PxSF_SF_EESJ_SZ_SK_SL_SM_EUlSZ_E1_NS1_11comp_targetILNS1_3genE10ELNS1_11target_archE1201ELNS1_3gpuE5ELNS1_3repE0EEENS1_36merge_oddeven_config_static_selectorELNS0_4arch9wavefront6targetE1EEEvSL_
; %bb.0:
	.section	.rodata,"a",@progbits
	.p2align	6, 0x0
	.amdhsa_kernel _ZN7rocprim17ROCPRIM_400000_NS6detail17trampoline_kernelINS0_14default_configENS1_38merge_sort_block_merge_config_selectorIxNS0_10empty_typeEEEZZNS1_27merge_sort_block_merge_implIS3_N6thrust23THRUST_200600_302600_NS6detail15normal_iteratorINS9_10device_ptrIxEEEEPS5_jNS1_19radix_merge_compareILb0ELb1ExNS0_19identity_decomposerEEEEE10hipError_tT0_T1_T2_jT3_P12ihipStream_tbPNSt15iterator_traitsISK_E10value_typeEPNSQ_ISL_E10value_typeEPSM_NS1_7vsmem_tEENKUlT_SK_SL_SM_E_clISE_PxSF_SF_EESJ_SZ_SK_SL_SM_EUlSZ_E1_NS1_11comp_targetILNS1_3genE10ELNS1_11target_archE1201ELNS1_3gpuE5ELNS1_3repE0EEENS1_36merge_oddeven_config_static_selectorELNS0_4arch9wavefront6targetE1EEEvSL_
		.amdhsa_group_segment_fixed_size 0
		.amdhsa_private_segment_fixed_size 0
		.amdhsa_kernarg_size 48
		.amdhsa_user_sgpr_count 2
		.amdhsa_user_sgpr_dispatch_ptr 0
		.amdhsa_user_sgpr_queue_ptr 0
		.amdhsa_user_sgpr_kernarg_segment_ptr 1
		.amdhsa_user_sgpr_dispatch_id 0
		.amdhsa_user_sgpr_kernarg_preload_length 0
		.amdhsa_user_sgpr_kernarg_preload_offset 0
		.amdhsa_user_sgpr_private_segment_size 0
		.amdhsa_uses_dynamic_stack 0
		.amdhsa_enable_private_segment 0
		.amdhsa_system_sgpr_workgroup_id_x 1
		.amdhsa_system_sgpr_workgroup_id_y 0
		.amdhsa_system_sgpr_workgroup_id_z 0
		.amdhsa_system_sgpr_workgroup_info 0
		.amdhsa_system_vgpr_workitem_id 0
		.amdhsa_next_free_vgpr 1
		.amdhsa_next_free_sgpr 0
		.amdhsa_accum_offset 4
		.amdhsa_reserve_vcc 0
		.amdhsa_float_round_mode_32 0
		.amdhsa_float_round_mode_16_64 0
		.amdhsa_float_denorm_mode_32 3
		.amdhsa_float_denorm_mode_16_64 3
		.amdhsa_dx10_clamp 1
		.amdhsa_ieee_mode 1
		.amdhsa_fp16_overflow 0
		.amdhsa_tg_split 0
		.amdhsa_exception_fp_ieee_invalid_op 0
		.amdhsa_exception_fp_denorm_src 0
		.amdhsa_exception_fp_ieee_div_zero 0
		.amdhsa_exception_fp_ieee_overflow 0
		.amdhsa_exception_fp_ieee_underflow 0
		.amdhsa_exception_fp_ieee_inexact 0
		.amdhsa_exception_int_div_zero 0
	.end_amdhsa_kernel
	.section	.text._ZN7rocprim17ROCPRIM_400000_NS6detail17trampoline_kernelINS0_14default_configENS1_38merge_sort_block_merge_config_selectorIxNS0_10empty_typeEEEZZNS1_27merge_sort_block_merge_implIS3_N6thrust23THRUST_200600_302600_NS6detail15normal_iteratorINS9_10device_ptrIxEEEEPS5_jNS1_19radix_merge_compareILb0ELb1ExNS0_19identity_decomposerEEEEE10hipError_tT0_T1_T2_jT3_P12ihipStream_tbPNSt15iterator_traitsISK_E10value_typeEPNSQ_ISL_E10value_typeEPSM_NS1_7vsmem_tEENKUlT_SK_SL_SM_E_clISE_PxSF_SF_EESJ_SZ_SK_SL_SM_EUlSZ_E1_NS1_11comp_targetILNS1_3genE10ELNS1_11target_archE1201ELNS1_3gpuE5ELNS1_3repE0EEENS1_36merge_oddeven_config_static_selectorELNS0_4arch9wavefront6targetE1EEEvSL_,"axG",@progbits,_ZN7rocprim17ROCPRIM_400000_NS6detail17trampoline_kernelINS0_14default_configENS1_38merge_sort_block_merge_config_selectorIxNS0_10empty_typeEEEZZNS1_27merge_sort_block_merge_implIS3_N6thrust23THRUST_200600_302600_NS6detail15normal_iteratorINS9_10device_ptrIxEEEEPS5_jNS1_19radix_merge_compareILb0ELb1ExNS0_19identity_decomposerEEEEE10hipError_tT0_T1_T2_jT3_P12ihipStream_tbPNSt15iterator_traitsISK_E10value_typeEPNSQ_ISL_E10value_typeEPSM_NS1_7vsmem_tEENKUlT_SK_SL_SM_E_clISE_PxSF_SF_EESJ_SZ_SK_SL_SM_EUlSZ_E1_NS1_11comp_targetILNS1_3genE10ELNS1_11target_archE1201ELNS1_3gpuE5ELNS1_3repE0EEENS1_36merge_oddeven_config_static_selectorELNS0_4arch9wavefront6targetE1EEEvSL_,comdat
.Lfunc_end1508:
	.size	_ZN7rocprim17ROCPRIM_400000_NS6detail17trampoline_kernelINS0_14default_configENS1_38merge_sort_block_merge_config_selectorIxNS0_10empty_typeEEEZZNS1_27merge_sort_block_merge_implIS3_N6thrust23THRUST_200600_302600_NS6detail15normal_iteratorINS9_10device_ptrIxEEEEPS5_jNS1_19radix_merge_compareILb0ELb1ExNS0_19identity_decomposerEEEEE10hipError_tT0_T1_T2_jT3_P12ihipStream_tbPNSt15iterator_traitsISK_E10value_typeEPNSQ_ISL_E10value_typeEPSM_NS1_7vsmem_tEENKUlT_SK_SL_SM_E_clISE_PxSF_SF_EESJ_SZ_SK_SL_SM_EUlSZ_E1_NS1_11comp_targetILNS1_3genE10ELNS1_11target_archE1201ELNS1_3gpuE5ELNS1_3repE0EEENS1_36merge_oddeven_config_static_selectorELNS0_4arch9wavefront6targetE1EEEvSL_, .Lfunc_end1508-_ZN7rocprim17ROCPRIM_400000_NS6detail17trampoline_kernelINS0_14default_configENS1_38merge_sort_block_merge_config_selectorIxNS0_10empty_typeEEEZZNS1_27merge_sort_block_merge_implIS3_N6thrust23THRUST_200600_302600_NS6detail15normal_iteratorINS9_10device_ptrIxEEEEPS5_jNS1_19radix_merge_compareILb0ELb1ExNS0_19identity_decomposerEEEEE10hipError_tT0_T1_T2_jT3_P12ihipStream_tbPNSt15iterator_traitsISK_E10value_typeEPNSQ_ISL_E10value_typeEPSM_NS1_7vsmem_tEENKUlT_SK_SL_SM_E_clISE_PxSF_SF_EESJ_SZ_SK_SL_SM_EUlSZ_E1_NS1_11comp_targetILNS1_3genE10ELNS1_11target_archE1201ELNS1_3gpuE5ELNS1_3repE0EEENS1_36merge_oddeven_config_static_selectorELNS0_4arch9wavefront6targetE1EEEvSL_
                                        ; -- End function
	.section	.AMDGPU.csdata,"",@progbits
; Kernel info:
; codeLenInByte = 0
; NumSgprs: 6
; NumVgprs: 0
; NumAgprs: 0
; TotalNumVgprs: 0
; ScratchSize: 0
; MemoryBound: 0
; FloatMode: 240
; IeeeMode: 1
; LDSByteSize: 0 bytes/workgroup (compile time only)
; SGPRBlocks: 0
; VGPRBlocks: 0
; NumSGPRsForWavesPerEU: 6
; NumVGPRsForWavesPerEU: 1
; AccumOffset: 4
; Occupancy: 8
; WaveLimiterHint : 0
; COMPUTE_PGM_RSRC2:SCRATCH_EN: 0
; COMPUTE_PGM_RSRC2:USER_SGPR: 2
; COMPUTE_PGM_RSRC2:TRAP_HANDLER: 0
; COMPUTE_PGM_RSRC2:TGID_X_EN: 1
; COMPUTE_PGM_RSRC2:TGID_Y_EN: 0
; COMPUTE_PGM_RSRC2:TGID_Z_EN: 0
; COMPUTE_PGM_RSRC2:TIDIG_COMP_CNT: 0
; COMPUTE_PGM_RSRC3_GFX90A:ACCUM_OFFSET: 0
; COMPUTE_PGM_RSRC3_GFX90A:TG_SPLIT: 0
	.section	.text._ZN7rocprim17ROCPRIM_400000_NS6detail17trampoline_kernelINS0_14default_configENS1_38merge_sort_block_merge_config_selectorIxNS0_10empty_typeEEEZZNS1_27merge_sort_block_merge_implIS3_N6thrust23THRUST_200600_302600_NS6detail15normal_iteratorINS9_10device_ptrIxEEEEPS5_jNS1_19radix_merge_compareILb0ELb1ExNS0_19identity_decomposerEEEEE10hipError_tT0_T1_T2_jT3_P12ihipStream_tbPNSt15iterator_traitsISK_E10value_typeEPNSQ_ISL_E10value_typeEPSM_NS1_7vsmem_tEENKUlT_SK_SL_SM_E_clISE_PxSF_SF_EESJ_SZ_SK_SL_SM_EUlSZ_E1_NS1_11comp_targetILNS1_3genE5ELNS1_11target_archE942ELNS1_3gpuE9ELNS1_3repE0EEENS1_36merge_oddeven_config_static_selectorELNS0_4arch9wavefront6targetE1EEEvSL_,"axG",@progbits,_ZN7rocprim17ROCPRIM_400000_NS6detail17trampoline_kernelINS0_14default_configENS1_38merge_sort_block_merge_config_selectorIxNS0_10empty_typeEEEZZNS1_27merge_sort_block_merge_implIS3_N6thrust23THRUST_200600_302600_NS6detail15normal_iteratorINS9_10device_ptrIxEEEEPS5_jNS1_19radix_merge_compareILb0ELb1ExNS0_19identity_decomposerEEEEE10hipError_tT0_T1_T2_jT3_P12ihipStream_tbPNSt15iterator_traitsISK_E10value_typeEPNSQ_ISL_E10value_typeEPSM_NS1_7vsmem_tEENKUlT_SK_SL_SM_E_clISE_PxSF_SF_EESJ_SZ_SK_SL_SM_EUlSZ_E1_NS1_11comp_targetILNS1_3genE5ELNS1_11target_archE942ELNS1_3gpuE9ELNS1_3repE0EEENS1_36merge_oddeven_config_static_selectorELNS0_4arch9wavefront6targetE1EEEvSL_,comdat
	.protected	_ZN7rocprim17ROCPRIM_400000_NS6detail17trampoline_kernelINS0_14default_configENS1_38merge_sort_block_merge_config_selectorIxNS0_10empty_typeEEEZZNS1_27merge_sort_block_merge_implIS3_N6thrust23THRUST_200600_302600_NS6detail15normal_iteratorINS9_10device_ptrIxEEEEPS5_jNS1_19radix_merge_compareILb0ELb1ExNS0_19identity_decomposerEEEEE10hipError_tT0_T1_T2_jT3_P12ihipStream_tbPNSt15iterator_traitsISK_E10value_typeEPNSQ_ISL_E10value_typeEPSM_NS1_7vsmem_tEENKUlT_SK_SL_SM_E_clISE_PxSF_SF_EESJ_SZ_SK_SL_SM_EUlSZ_E1_NS1_11comp_targetILNS1_3genE5ELNS1_11target_archE942ELNS1_3gpuE9ELNS1_3repE0EEENS1_36merge_oddeven_config_static_selectorELNS0_4arch9wavefront6targetE1EEEvSL_ ; -- Begin function _ZN7rocprim17ROCPRIM_400000_NS6detail17trampoline_kernelINS0_14default_configENS1_38merge_sort_block_merge_config_selectorIxNS0_10empty_typeEEEZZNS1_27merge_sort_block_merge_implIS3_N6thrust23THRUST_200600_302600_NS6detail15normal_iteratorINS9_10device_ptrIxEEEEPS5_jNS1_19radix_merge_compareILb0ELb1ExNS0_19identity_decomposerEEEEE10hipError_tT0_T1_T2_jT3_P12ihipStream_tbPNSt15iterator_traitsISK_E10value_typeEPNSQ_ISL_E10value_typeEPSM_NS1_7vsmem_tEENKUlT_SK_SL_SM_E_clISE_PxSF_SF_EESJ_SZ_SK_SL_SM_EUlSZ_E1_NS1_11comp_targetILNS1_3genE5ELNS1_11target_archE942ELNS1_3gpuE9ELNS1_3repE0EEENS1_36merge_oddeven_config_static_selectorELNS0_4arch9wavefront6targetE1EEEvSL_
	.globl	_ZN7rocprim17ROCPRIM_400000_NS6detail17trampoline_kernelINS0_14default_configENS1_38merge_sort_block_merge_config_selectorIxNS0_10empty_typeEEEZZNS1_27merge_sort_block_merge_implIS3_N6thrust23THRUST_200600_302600_NS6detail15normal_iteratorINS9_10device_ptrIxEEEEPS5_jNS1_19radix_merge_compareILb0ELb1ExNS0_19identity_decomposerEEEEE10hipError_tT0_T1_T2_jT3_P12ihipStream_tbPNSt15iterator_traitsISK_E10value_typeEPNSQ_ISL_E10value_typeEPSM_NS1_7vsmem_tEENKUlT_SK_SL_SM_E_clISE_PxSF_SF_EESJ_SZ_SK_SL_SM_EUlSZ_E1_NS1_11comp_targetILNS1_3genE5ELNS1_11target_archE942ELNS1_3gpuE9ELNS1_3repE0EEENS1_36merge_oddeven_config_static_selectorELNS0_4arch9wavefront6targetE1EEEvSL_
	.p2align	8
	.type	_ZN7rocprim17ROCPRIM_400000_NS6detail17trampoline_kernelINS0_14default_configENS1_38merge_sort_block_merge_config_selectorIxNS0_10empty_typeEEEZZNS1_27merge_sort_block_merge_implIS3_N6thrust23THRUST_200600_302600_NS6detail15normal_iteratorINS9_10device_ptrIxEEEEPS5_jNS1_19radix_merge_compareILb0ELb1ExNS0_19identity_decomposerEEEEE10hipError_tT0_T1_T2_jT3_P12ihipStream_tbPNSt15iterator_traitsISK_E10value_typeEPNSQ_ISL_E10value_typeEPSM_NS1_7vsmem_tEENKUlT_SK_SL_SM_E_clISE_PxSF_SF_EESJ_SZ_SK_SL_SM_EUlSZ_E1_NS1_11comp_targetILNS1_3genE5ELNS1_11target_archE942ELNS1_3gpuE9ELNS1_3repE0EEENS1_36merge_oddeven_config_static_selectorELNS0_4arch9wavefront6targetE1EEEvSL_,@function
_ZN7rocprim17ROCPRIM_400000_NS6detail17trampoline_kernelINS0_14default_configENS1_38merge_sort_block_merge_config_selectorIxNS0_10empty_typeEEEZZNS1_27merge_sort_block_merge_implIS3_N6thrust23THRUST_200600_302600_NS6detail15normal_iteratorINS9_10device_ptrIxEEEEPS5_jNS1_19radix_merge_compareILb0ELb1ExNS0_19identity_decomposerEEEEE10hipError_tT0_T1_T2_jT3_P12ihipStream_tbPNSt15iterator_traitsISK_E10value_typeEPNSQ_ISL_E10value_typeEPSM_NS1_7vsmem_tEENKUlT_SK_SL_SM_E_clISE_PxSF_SF_EESJ_SZ_SK_SL_SM_EUlSZ_E1_NS1_11comp_targetILNS1_3genE5ELNS1_11target_archE942ELNS1_3gpuE9ELNS1_3repE0EEENS1_36merge_oddeven_config_static_selectorELNS0_4arch9wavefront6targetE1EEEvSL_: ; @_ZN7rocprim17ROCPRIM_400000_NS6detail17trampoline_kernelINS0_14default_configENS1_38merge_sort_block_merge_config_selectorIxNS0_10empty_typeEEEZZNS1_27merge_sort_block_merge_implIS3_N6thrust23THRUST_200600_302600_NS6detail15normal_iteratorINS9_10device_ptrIxEEEEPS5_jNS1_19radix_merge_compareILb0ELb1ExNS0_19identity_decomposerEEEEE10hipError_tT0_T1_T2_jT3_P12ihipStream_tbPNSt15iterator_traitsISK_E10value_typeEPNSQ_ISL_E10value_typeEPSM_NS1_7vsmem_tEENKUlT_SK_SL_SM_E_clISE_PxSF_SF_EESJ_SZ_SK_SL_SM_EUlSZ_E1_NS1_11comp_targetILNS1_3genE5ELNS1_11target_archE942ELNS1_3gpuE9ELNS1_3repE0EEENS1_36merge_oddeven_config_static_selectorELNS0_4arch9wavefront6targetE1EEEvSL_
; %bb.0:
	s_load_dword s18, s[0:1], 0x20
	s_waitcnt lgkmcnt(0)
	s_lshr_b32 s3, s18, 8
	s_cmp_lg_u32 s2, s3
	s_cselect_b64 s[14:15], -1, 0
	s_cmp_eq_u32 s2, s3
	s_cselect_b64 s[12:13], -1, 0
	s_lshl_b32 s16, s2, 8
	s_sub_i32 s3, s18, s16
	v_cmp_gt_u32_e64 s[6:7], s3, v0
	s_or_b64 s[4:5], s[14:15], s[6:7]
	s_and_saveexec_b64 s[8:9], s[4:5]
	s_cbranch_execz .LBB1509_20
; %bb.1:
	s_load_dwordx4 s[8:11], s[0:1], 0x0
	s_load_dword s19, s[0:1], 0x24
	s_mov_b32 s17, 0
	s_lshl_b64 s[4:5], s[16:17], 3
	v_lshlrev_b32_e32 v1, 3, v0
	s_waitcnt lgkmcnt(0)
	s_add_u32 s4, s8, s4
	s_addc_u32 s5, s9, s5
	global_load_dwordx2 v[2:3], v1, s[4:5]
	s_lshr_b32 s3, s19, 8
	s_sub_i32 s4, 0, s3
	s_and_b32 s2, s2, s4
	s_and_b32 s3, s2, s3
	s_lshl_b32 s20, s2, 8
	s_sub_i32 s17, 0, s19
	s_cmp_eq_u32 s3, 0
	s_cselect_b64 s[4:5], -1, 0
	s_and_b64 s[2:3], s[4:5], exec
	s_cselect_b32 s17, s19, s17
	s_add_i32 s17, s17, s20
	s_cmp_lt_u32 s17, s18
	v_add_u32_e32 v0, s16, v0
	s_cbranch_scc1 .LBB1509_3
; %bb.2:
	v_cmp_gt_u32_e32 vcc, s18, v0
	s_or_b64 s[2:3], vcc, s[14:15]
	s_and_b64 s[2:3], s[2:3], exec
	s_cbranch_execz .LBB1509_4
	s_branch .LBB1509_18
.LBB1509_3:
	s_mov_b64 s[2:3], 0
.LBB1509_4:
	s_load_dwordx2 s[0:1], s[0:1], 0x28
	s_min_u32 s14, s17, s18
	s_min_u32 s16, s20, s14
	s_add_i32 s20, s20, s14
	s_add_i32 s15, s14, s19
	v_subrev_u32_e32 v0, s20, v0
	s_min_u32 s15, s15, s18
	v_add_u32_e32 v6, s16, v0
	s_and_b64 vcc, exec, s[12:13]
	s_cbranch_vccz .LBB1509_12
; %bb.5:
                                        ; implicit-def: $vgpr0
	s_and_saveexec_b64 s[12:13], s[6:7]
	s_cbranch_execz .LBB1509_11
; %bb.6:
	s_cmp_ge_u32 s17, s15
	v_mov_b32_e32 v7, s14
	s_cbranch_scc1 .LBB1509_10
; %bb.7:
	s_waitcnt vmcnt(0) lgkmcnt(0)
	v_and_b32_e32 v1, s1, v3
	v_and_b32_e32 v0, s0, v2
	s_mov_b64 s[6:7], 0
	v_mov_b32_e32 v8, s15
	v_mov_b32_e32 v7, s14
	;; [unrolled: 1-line block ×3, first 2 shown]
.LBB1509_8:                             ; =>This Inner Loop Header: Depth=1
	v_add_u32_e32 v4, v7, v8
	v_lshrrev_b32_e32 v4, 1, v4
	v_lshl_add_u64 v[10:11], v[4:5], 3, s[8:9]
	global_load_dwordx2 v[10:11], v[10:11], off
	v_add_u32_e32 v9, 1, v4
	s_waitcnt vmcnt(0)
	v_and_b32_e32 v11, s1, v11
	v_and_b32_e32 v10, s0, v10
	v_cmp_gt_i64_e32 vcc, v[0:1], v[10:11]
	s_nop 1
	v_cndmask_b32_e64 v12, 0, 1, vcc
	v_cmp_le_i64_e32 vcc, v[10:11], v[0:1]
	s_nop 1
	v_cndmask_b32_e64 v10, 0, 1, vcc
	v_cndmask_b32_e64 v10, v10, v12, s[4:5]
	v_and_b32_e32 v10, 1, v10
	v_cmp_eq_u32_e32 vcc, 1, v10
	s_nop 1
	v_cndmask_b32_e32 v8, v4, v8, vcc
	v_cndmask_b32_e32 v7, v7, v9, vcc
	v_cmp_ge_u32_e32 vcc, v7, v8
	s_or_b64 s[6:7], vcc, s[6:7]
	s_andn2_b64 exec, exec, s[6:7]
	s_cbranch_execnz .LBB1509_8
; %bb.9:
	s_or_b64 exec, exec, s[6:7]
.LBB1509_10:
	v_add_u32_e32 v0, v7, v6
	s_or_b64 s[2:3], s[2:3], exec
.LBB1509_11:
	s_or_b64 exec, exec, s[12:13]
	s_branch .LBB1509_18
.LBB1509_12:
                                        ; implicit-def: $vgpr0
	s_cbranch_execz .LBB1509_18
; %bb.13:
	s_cmp_ge_u32 s17, s15
	v_mov_b32_e32 v7, s14
	s_cbranch_scc1 .LBB1509_17
; %bb.14:
	s_waitcnt vmcnt(0) lgkmcnt(0)
	v_and_b32_e32 v1, s1, v3
	v_and_b32_e32 v0, s0, v2
	s_mov_b64 s[2:3], 0
	v_mov_b32_e32 v8, s15
	v_mov_b32_e32 v7, s14
	;; [unrolled: 1-line block ×3, first 2 shown]
.LBB1509_15:                            ; =>This Inner Loop Header: Depth=1
	v_add_u32_e32 v4, v7, v8
	v_lshrrev_b32_e32 v4, 1, v4
	v_lshl_add_u64 v[10:11], v[4:5], 3, s[8:9]
	global_load_dwordx2 v[10:11], v[10:11], off
	v_add_u32_e32 v9, 1, v4
	s_waitcnt vmcnt(0)
	v_and_b32_e32 v11, s1, v11
	v_and_b32_e32 v10, s0, v10
	v_cmp_gt_i64_e32 vcc, v[0:1], v[10:11]
	s_nop 1
	v_cndmask_b32_e64 v12, 0, 1, vcc
	v_cmp_le_i64_e32 vcc, v[10:11], v[0:1]
	s_nop 1
	v_cndmask_b32_e64 v10, 0, 1, vcc
	v_cndmask_b32_e64 v10, v10, v12, s[4:5]
	v_and_b32_e32 v10, 1, v10
	v_cmp_eq_u32_e32 vcc, 1, v10
	s_nop 1
	v_cndmask_b32_e32 v8, v4, v8, vcc
	v_cndmask_b32_e32 v7, v7, v9, vcc
	v_cmp_ge_u32_e32 vcc, v7, v8
	s_or_b64 s[2:3], vcc, s[2:3]
	s_andn2_b64 exec, exec, s[2:3]
	s_cbranch_execnz .LBB1509_15
; %bb.16:
	s_or_b64 exec, exec, s[2:3]
.LBB1509_17:
	v_add_u32_e32 v0, v7, v6
	s_mov_b64 s[2:3], -1
.LBB1509_18:
	s_and_b64 exec, exec, s[2:3]
	s_cbranch_execz .LBB1509_20
; %bb.19:
	v_mov_b32_e32 v4, s10
	v_mov_b32_e32 v5, s11
	v_mov_b32_e32 v1, 0
	v_lshl_add_u64 v[0:1], v[0:1], 3, v[4:5]
	s_waitcnt vmcnt(0)
	global_store_dwordx2 v[0:1], v[2:3], off
.LBB1509_20:
	s_endpgm
	.section	.rodata,"a",@progbits
	.p2align	6, 0x0
	.amdhsa_kernel _ZN7rocprim17ROCPRIM_400000_NS6detail17trampoline_kernelINS0_14default_configENS1_38merge_sort_block_merge_config_selectorIxNS0_10empty_typeEEEZZNS1_27merge_sort_block_merge_implIS3_N6thrust23THRUST_200600_302600_NS6detail15normal_iteratorINS9_10device_ptrIxEEEEPS5_jNS1_19radix_merge_compareILb0ELb1ExNS0_19identity_decomposerEEEEE10hipError_tT0_T1_T2_jT3_P12ihipStream_tbPNSt15iterator_traitsISK_E10value_typeEPNSQ_ISL_E10value_typeEPSM_NS1_7vsmem_tEENKUlT_SK_SL_SM_E_clISE_PxSF_SF_EESJ_SZ_SK_SL_SM_EUlSZ_E1_NS1_11comp_targetILNS1_3genE5ELNS1_11target_archE942ELNS1_3gpuE9ELNS1_3repE0EEENS1_36merge_oddeven_config_static_selectorELNS0_4arch9wavefront6targetE1EEEvSL_
		.amdhsa_group_segment_fixed_size 0
		.amdhsa_private_segment_fixed_size 0
		.amdhsa_kernarg_size 48
		.amdhsa_user_sgpr_count 2
		.amdhsa_user_sgpr_dispatch_ptr 0
		.amdhsa_user_sgpr_queue_ptr 0
		.amdhsa_user_sgpr_kernarg_segment_ptr 1
		.amdhsa_user_sgpr_dispatch_id 0
		.amdhsa_user_sgpr_kernarg_preload_length 0
		.amdhsa_user_sgpr_kernarg_preload_offset 0
		.amdhsa_user_sgpr_private_segment_size 0
		.amdhsa_uses_dynamic_stack 0
		.amdhsa_enable_private_segment 0
		.amdhsa_system_sgpr_workgroup_id_x 1
		.amdhsa_system_sgpr_workgroup_id_y 0
		.amdhsa_system_sgpr_workgroup_id_z 0
		.amdhsa_system_sgpr_workgroup_info 0
		.amdhsa_system_vgpr_workitem_id 0
		.amdhsa_next_free_vgpr 13
		.amdhsa_next_free_sgpr 21
		.amdhsa_accum_offset 16
		.amdhsa_reserve_vcc 1
		.amdhsa_float_round_mode_32 0
		.amdhsa_float_round_mode_16_64 0
		.amdhsa_float_denorm_mode_32 3
		.amdhsa_float_denorm_mode_16_64 3
		.amdhsa_dx10_clamp 1
		.amdhsa_ieee_mode 1
		.amdhsa_fp16_overflow 0
		.amdhsa_tg_split 0
		.amdhsa_exception_fp_ieee_invalid_op 0
		.amdhsa_exception_fp_denorm_src 0
		.amdhsa_exception_fp_ieee_div_zero 0
		.amdhsa_exception_fp_ieee_overflow 0
		.amdhsa_exception_fp_ieee_underflow 0
		.amdhsa_exception_fp_ieee_inexact 0
		.amdhsa_exception_int_div_zero 0
	.end_amdhsa_kernel
	.section	.text._ZN7rocprim17ROCPRIM_400000_NS6detail17trampoline_kernelINS0_14default_configENS1_38merge_sort_block_merge_config_selectorIxNS0_10empty_typeEEEZZNS1_27merge_sort_block_merge_implIS3_N6thrust23THRUST_200600_302600_NS6detail15normal_iteratorINS9_10device_ptrIxEEEEPS5_jNS1_19radix_merge_compareILb0ELb1ExNS0_19identity_decomposerEEEEE10hipError_tT0_T1_T2_jT3_P12ihipStream_tbPNSt15iterator_traitsISK_E10value_typeEPNSQ_ISL_E10value_typeEPSM_NS1_7vsmem_tEENKUlT_SK_SL_SM_E_clISE_PxSF_SF_EESJ_SZ_SK_SL_SM_EUlSZ_E1_NS1_11comp_targetILNS1_3genE5ELNS1_11target_archE942ELNS1_3gpuE9ELNS1_3repE0EEENS1_36merge_oddeven_config_static_selectorELNS0_4arch9wavefront6targetE1EEEvSL_,"axG",@progbits,_ZN7rocprim17ROCPRIM_400000_NS6detail17trampoline_kernelINS0_14default_configENS1_38merge_sort_block_merge_config_selectorIxNS0_10empty_typeEEEZZNS1_27merge_sort_block_merge_implIS3_N6thrust23THRUST_200600_302600_NS6detail15normal_iteratorINS9_10device_ptrIxEEEEPS5_jNS1_19radix_merge_compareILb0ELb1ExNS0_19identity_decomposerEEEEE10hipError_tT0_T1_T2_jT3_P12ihipStream_tbPNSt15iterator_traitsISK_E10value_typeEPNSQ_ISL_E10value_typeEPSM_NS1_7vsmem_tEENKUlT_SK_SL_SM_E_clISE_PxSF_SF_EESJ_SZ_SK_SL_SM_EUlSZ_E1_NS1_11comp_targetILNS1_3genE5ELNS1_11target_archE942ELNS1_3gpuE9ELNS1_3repE0EEENS1_36merge_oddeven_config_static_selectorELNS0_4arch9wavefront6targetE1EEEvSL_,comdat
.Lfunc_end1509:
	.size	_ZN7rocprim17ROCPRIM_400000_NS6detail17trampoline_kernelINS0_14default_configENS1_38merge_sort_block_merge_config_selectorIxNS0_10empty_typeEEEZZNS1_27merge_sort_block_merge_implIS3_N6thrust23THRUST_200600_302600_NS6detail15normal_iteratorINS9_10device_ptrIxEEEEPS5_jNS1_19radix_merge_compareILb0ELb1ExNS0_19identity_decomposerEEEEE10hipError_tT0_T1_T2_jT3_P12ihipStream_tbPNSt15iterator_traitsISK_E10value_typeEPNSQ_ISL_E10value_typeEPSM_NS1_7vsmem_tEENKUlT_SK_SL_SM_E_clISE_PxSF_SF_EESJ_SZ_SK_SL_SM_EUlSZ_E1_NS1_11comp_targetILNS1_3genE5ELNS1_11target_archE942ELNS1_3gpuE9ELNS1_3repE0EEENS1_36merge_oddeven_config_static_selectorELNS0_4arch9wavefront6targetE1EEEvSL_, .Lfunc_end1509-_ZN7rocprim17ROCPRIM_400000_NS6detail17trampoline_kernelINS0_14default_configENS1_38merge_sort_block_merge_config_selectorIxNS0_10empty_typeEEEZZNS1_27merge_sort_block_merge_implIS3_N6thrust23THRUST_200600_302600_NS6detail15normal_iteratorINS9_10device_ptrIxEEEEPS5_jNS1_19radix_merge_compareILb0ELb1ExNS0_19identity_decomposerEEEEE10hipError_tT0_T1_T2_jT3_P12ihipStream_tbPNSt15iterator_traitsISK_E10value_typeEPNSQ_ISL_E10value_typeEPSM_NS1_7vsmem_tEENKUlT_SK_SL_SM_E_clISE_PxSF_SF_EESJ_SZ_SK_SL_SM_EUlSZ_E1_NS1_11comp_targetILNS1_3genE5ELNS1_11target_archE942ELNS1_3gpuE9ELNS1_3repE0EEENS1_36merge_oddeven_config_static_selectorELNS0_4arch9wavefront6targetE1EEEvSL_
                                        ; -- End function
	.section	.AMDGPU.csdata,"",@progbits
; Kernel info:
; codeLenInByte = 632
; NumSgprs: 27
; NumVgprs: 13
; NumAgprs: 0
; TotalNumVgprs: 13
; ScratchSize: 0
; MemoryBound: 0
; FloatMode: 240
; IeeeMode: 1
; LDSByteSize: 0 bytes/workgroup (compile time only)
; SGPRBlocks: 3
; VGPRBlocks: 1
; NumSGPRsForWavesPerEU: 27
; NumVGPRsForWavesPerEU: 13
; AccumOffset: 16
; Occupancy: 8
; WaveLimiterHint : 0
; COMPUTE_PGM_RSRC2:SCRATCH_EN: 0
; COMPUTE_PGM_RSRC2:USER_SGPR: 2
; COMPUTE_PGM_RSRC2:TRAP_HANDLER: 0
; COMPUTE_PGM_RSRC2:TGID_X_EN: 1
; COMPUTE_PGM_RSRC2:TGID_Y_EN: 0
; COMPUTE_PGM_RSRC2:TGID_Z_EN: 0
; COMPUTE_PGM_RSRC2:TIDIG_COMP_CNT: 0
; COMPUTE_PGM_RSRC3_GFX90A:ACCUM_OFFSET: 3
; COMPUTE_PGM_RSRC3_GFX90A:TG_SPLIT: 0
	.section	.text._ZN7rocprim17ROCPRIM_400000_NS6detail17trampoline_kernelINS0_14default_configENS1_38merge_sort_block_merge_config_selectorIxNS0_10empty_typeEEEZZNS1_27merge_sort_block_merge_implIS3_N6thrust23THRUST_200600_302600_NS6detail15normal_iteratorINS9_10device_ptrIxEEEEPS5_jNS1_19radix_merge_compareILb0ELb1ExNS0_19identity_decomposerEEEEE10hipError_tT0_T1_T2_jT3_P12ihipStream_tbPNSt15iterator_traitsISK_E10value_typeEPNSQ_ISL_E10value_typeEPSM_NS1_7vsmem_tEENKUlT_SK_SL_SM_E_clISE_PxSF_SF_EESJ_SZ_SK_SL_SM_EUlSZ_E1_NS1_11comp_targetILNS1_3genE4ELNS1_11target_archE910ELNS1_3gpuE8ELNS1_3repE0EEENS1_36merge_oddeven_config_static_selectorELNS0_4arch9wavefront6targetE1EEEvSL_,"axG",@progbits,_ZN7rocprim17ROCPRIM_400000_NS6detail17trampoline_kernelINS0_14default_configENS1_38merge_sort_block_merge_config_selectorIxNS0_10empty_typeEEEZZNS1_27merge_sort_block_merge_implIS3_N6thrust23THRUST_200600_302600_NS6detail15normal_iteratorINS9_10device_ptrIxEEEEPS5_jNS1_19radix_merge_compareILb0ELb1ExNS0_19identity_decomposerEEEEE10hipError_tT0_T1_T2_jT3_P12ihipStream_tbPNSt15iterator_traitsISK_E10value_typeEPNSQ_ISL_E10value_typeEPSM_NS1_7vsmem_tEENKUlT_SK_SL_SM_E_clISE_PxSF_SF_EESJ_SZ_SK_SL_SM_EUlSZ_E1_NS1_11comp_targetILNS1_3genE4ELNS1_11target_archE910ELNS1_3gpuE8ELNS1_3repE0EEENS1_36merge_oddeven_config_static_selectorELNS0_4arch9wavefront6targetE1EEEvSL_,comdat
	.protected	_ZN7rocprim17ROCPRIM_400000_NS6detail17trampoline_kernelINS0_14default_configENS1_38merge_sort_block_merge_config_selectorIxNS0_10empty_typeEEEZZNS1_27merge_sort_block_merge_implIS3_N6thrust23THRUST_200600_302600_NS6detail15normal_iteratorINS9_10device_ptrIxEEEEPS5_jNS1_19radix_merge_compareILb0ELb1ExNS0_19identity_decomposerEEEEE10hipError_tT0_T1_T2_jT3_P12ihipStream_tbPNSt15iterator_traitsISK_E10value_typeEPNSQ_ISL_E10value_typeEPSM_NS1_7vsmem_tEENKUlT_SK_SL_SM_E_clISE_PxSF_SF_EESJ_SZ_SK_SL_SM_EUlSZ_E1_NS1_11comp_targetILNS1_3genE4ELNS1_11target_archE910ELNS1_3gpuE8ELNS1_3repE0EEENS1_36merge_oddeven_config_static_selectorELNS0_4arch9wavefront6targetE1EEEvSL_ ; -- Begin function _ZN7rocprim17ROCPRIM_400000_NS6detail17trampoline_kernelINS0_14default_configENS1_38merge_sort_block_merge_config_selectorIxNS0_10empty_typeEEEZZNS1_27merge_sort_block_merge_implIS3_N6thrust23THRUST_200600_302600_NS6detail15normal_iteratorINS9_10device_ptrIxEEEEPS5_jNS1_19radix_merge_compareILb0ELb1ExNS0_19identity_decomposerEEEEE10hipError_tT0_T1_T2_jT3_P12ihipStream_tbPNSt15iterator_traitsISK_E10value_typeEPNSQ_ISL_E10value_typeEPSM_NS1_7vsmem_tEENKUlT_SK_SL_SM_E_clISE_PxSF_SF_EESJ_SZ_SK_SL_SM_EUlSZ_E1_NS1_11comp_targetILNS1_3genE4ELNS1_11target_archE910ELNS1_3gpuE8ELNS1_3repE0EEENS1_36merge_oddeven_config_static_selectorELNS0_4arch9wavefront6targetE1EEEvSL_
	.globl	_ZN7rocprim17ROCPRIM_400000_NS6detail17trampoline_kernelINS0_14default_configENS1_38merge_sort_block_merge_config_selectorIxNS0_10empty_typeEEEZZNS1_27merge_sort_block_merge_implIS3_N6thrust23THRUST_200600_302600_NS6detail15normal_iteratorINS9_10device_ptrIxEEEEPS5_jNS1_19radix_merge_compareILb0ELb1ExNS0_19identity_decomposerEEEEE10hipError_tT0_T1_T2_jT3_P12ihipStream_tbPNSt15iterator_traitsISK_E10value_typeEPNSQ_ISL_E10value_typeEPSM_NS1_7vsmem_tEENKUlT_SK_SL_SM_E_clISE_PxSF_SF_EESJ_SZ_SK_SL_SM_EUlSZ_E1_NS1_11comp_targetILNS1_3genE4ELNS1_11target_archE910ELNS1_3gpuE8ELNS1_3repE0EEENS1_36merge_oddeven_config_static_selectorELNS0_4arch9wavefront6targetE1EEEvSL_
	.p2align	8
	.type	_ZN7rocprim17ROCPRIM_400000_NS6detail17trampoline_kernelINS0_14default_configENS1_38merge_sort_block_merge_config_selectorIxNS0_10empty_typeEEEZZNS1_27merge_sort_block_merge_implIS3_N6thrust23THRUST_200600_302600_NS6detail15normal_iteratorINS9_10device_ptrIxEEEEPS5_jNS1_19radix_merge_compareILb0ELb1ExNS0_19identity_decomposerEEEEE10hipError_tT0_T1_T2_jT3_P12ihipStream_tbPNSt15iterator_traitsISK_E10value_typeEPNSQ_ISL_E10value_typeEPSM_NS1_7vsmem_tEENKUlT_SK_SL_SM_E_clISE_PxSF_SF_EESJ_SZ_SK_SL_SM_EUlSZ_E1_NS1_11comp_targetILNS1_3genE4ELNS1_11target_archE910ELNS1_3gpuE8ELNS1_3repE0EEENS1_36merge_oddeven_config_static_selectorELNS0_4arch9wavefront6targetE1EEEvSL_,@function
_ZN7rocprim17ROCPRIM_400000_NS6detail17trampoline_kernelINS0_14default_configENS1_38merge_sort_block_merge_config_selectorIxNS0_10empty_typeEEEZZNS1_27merge_sort_block_merge_implIS3_N6thrust23THRUST_200600_302600_NS6detail15normal_iteratorINS9_10device_ptrIxEEEEPS5_jNS1_19radix_merge_compareILb0ELb1ExNS0_19identity_decomposerEEEEE10hipError_tT0_T1_T2_jT3_P12ihipStream_tbPNSt15iterator_traitsISK_E10value_typeEPNSQ_ISL_E10value_typeEPSM_NS1_7vsmem_tEENKUlT_SK_SL_SM_E_clISE_PxSF_SF_EESJ_SZ_SK_SL_SM_EUlSZ_E1_NS1_11comp_targetILNS1_3genE4ELNS1_11target_archE910ELNS1_3gpuE8ELNS1_3repE0EEENS1_36merge_oddeven_config_static_selectorELNS0_4arch9wavefront6targetE1EEEvSL_: ; @_ZN7rocprim17ROCPRIM_400000_NS6detail17trampoline_kernelINS0_14default_configENS1_38merge_sort_block_merge_config_selectorIxNS0_10empty_typeEEEZZNS1_27merge_sort_block_merge_implIS3_N6thrust23THRUST_200600_302600_NS6detail15normal_iteratorINS9_10device_ptrIxEEEEPS5_jNS1_19radix_merge_compareILb0ELb1ExNS0_19identity_decomposerEEEEE10hipError_tT0_T1_T2_jT3_P12ihipStream_tbPNSt15iterator_traitsISK_E10value_typeEPNSQ_ISL_E10value_typeEPSM_NS1_7vsmem_tEENKUlT_SK_SL_SM_E_clISE_PxSF_SF_EESJ_SZ_SK_SL_SM_EUlSZ_E1_NS1_11comp_targetILNS1_3genE4ELNS1_11target_archE910ELNS1_3gpuE8ELNS1_3repE0EEENS1_36merge_oddeven_config_static_selectorELNS0_4arch9wavefront6targetE1EEEvSL_
; %bb.0:
	.section	.rodata,"a",@progbits
	.p2align	6, 0x0
	.amdhsa_kernel _ZN7rocprim17ROCPRIM_400000_NS6detail17trampoline_kernelINS0_14default_configENS1_38merge_sort_block_merge_config_selectorIxNS0_10empty_typeEEEZZNS1_27merge_sort_block_merge_implIS3_N6thrust23THRUST_200600_302600_NS6detail15normal_iteratorINS9_10device_ptrIxEEEEPS5_jNS1_19radix_merge_compareILb0ELb1ExNS0_19identity_decomposerEEEEE10hipError_tT0_T1_T2_jT3_P12ihipStream_tbPNSt15iterator_traitsISK_E10value_typeEPNSQ_ISL_E10value_typeEPSM_NS1_7vsmem_tEENKUlT_SK_SL_SM_E_clISE_PxSF_SF_EESJ_SZ_SK_SL_SM_EUlSZ_E1_NS1_11comp_targetILNS1_3genE4ELNS1_11target_archE910ELNS1_3gpuE8ELNS1_3repE0EEENS1_36merge_oddeven_config_static_selectorELNS0_4arch9wavefront6targetE1EEEvSL_
		.amdhsa_group_segment_fixed_size 0
		.amdhsa_private_segment_fixed_size 0
		.amdhsa_kernarg_size 48
		.amdhsa_user_sgpr_count 2
		.amdhsa_user_sgpr_dispatch_ptr 0
		.amdhsa_user_sgpr_queue_ptr 0
		.amdhsa_user_sgpr_kernarg_segment_ptr 1
		.amdhsa_user_sgpr_dispatch_id 0
		.amdhsa_user_sgpr_kernarg_preload_length 0
		.amdhsa_user_sgpr_kernarg_preload_offset 0
		.amdhsa_user_sgpr_private_segment_size 0
		.amdhsa_uses_dynamic_stack 0
		.amdhsa_enable_private_segment 0
		.amdhsa_system_sgpr_workgroup_id_x 1
		.amdhsa_system_sgpr_workgroup_id_y 0
		.amdhsa_system_sgpr_workgroup_id_z 0
		.amdhsa_system_sgpr_workgroup_info 0
		.amdhsa_system_vgpr_workitem_id 0
		.amdhsa_next_free_vgpr 1
		.amdhsa_next_free_sgpr 0
		.amdhsa_accum_offset 4
		.amdhsa_reserve_vcc 0
		.amdhsa_float_round_mode_32 0
		.amdhsa_float_round_mode_16_64 0
		.amdhsa_float_denorm_mode_32 3
		.amdhsa_float_denorm_mode_16_64 3
		.amdhsa_dx10_clamp 1
		.amdhsa_ieee_mode 1
		.amdhsa_fp16_overflow 0
		.amdhsa_tg_split 0
		.amdhsa_exception_fp_ieee_invalid_op 0
		.amdhsa_exception_fp_denorm_src 0
		.amdhsa_exception_fp_ieee_div_zero 0
		.amdhsa_exception_fp_ieee_overflow 0
		.amdhsa_exception_fp_ieee_underflow 0
		.amdhsa_exception_fp_ieee_inexact 0
		.amdhsa_exception_int_div_zero 0
	.end_amdhsa_kernel
	.section	.text._ZN7rocprim17ROCPRIM_400000_NS6detail17trampoline_kernelINS0_14default_configENS1_38merge_sort_block_merge_config_selectorIxNS0_10empty_typeEEEZZNS1_27merge_sort_block_merge_implIS3_N6thrust23THRUST_200600_302600_NS6detail15normal_iteratorINS9_10device_ptrIxEEEEPS5_jNS1_19radix_merge_compareILb0ELb1ExNS0_19identity_decomposerEEEEE10hipError_tT0_T1_T2_jT3_P12ihipStream_tbPNSt15iterator_traitsISK_E10value_typeEPNSQ_ISL_E10value_typeEPSM_NS1_7vsmem_tEENKUlT_SK_SL_SM_E_clISE_PxSF_SF_EESJ_SZ_SK_SL_SM_EUlSZ_E1_NS1_11comp_targetILNS1_3genE4ELNS1_11target_archE910ELNS1_3gpuE8ELNS1_3repE0EEENS1_36merge_oddeven_config_static_selectorELNS0_4arch9wavefront6targetE1EEEvSL_,"axG",@progbits,_ZN7rocprim17ROCPRIM_400000_NS6detail17trampoline_kernelINS0_14default_configENS1_38merge_sort_block_merge_config_selectorIxNS0_10empty_typeEEEZZNS1_27merge_sort_block_merge_implIS3_N6thrust23THRUST_200600_302600_NS6detail15normal_iteratorINS9_10device_ptrIxEEEEPS5_jNS1_19radix_merge_compareILb0ELb1ExNS0_19identity_decomposerEEEEE10hipError_tT0_T1_T2_jT3_P12ihipStream_tbPNSt15iterator_traitsISK_E10value_typeEPNSQ_ISL_E10value_typeEPSM_NS1_7vsmem_tEENKUlT_SK_SL_SM_E_clISE_PxSF_SF_EESJ_SZ_SK_SL_SM_EUlSZ_E1_NS1_11comp_targetILNS1_3genE4ELNS1_11target_archE910ELNS1_3gpuE8ELNS1_3repE0EEENS1_36merge_oddeven_config_static_selectorELNS0_4arch9wavefront6targetE1EEEvSL_,comdat
.Lfunc_end1510:
	.size	_ZN7rocprim17ROCPRIM_400000_NS6detail17trampoline_kernelINS0_14default_configENS1_38merge_sort_block_merge_config_selectorIxNS0_10empty_typeEEEZZNS1_27merge_sort_block_merge_implIS3_N6thrust23THRUST_200600_302600_NS6detail15normal_iteratorINS9_10device_ptrIxEEEEPS5_jNS1_19radix_merge_compareILb0ELb1ExNS0_19identity_decomposerEEEEE10hipError_tT0_T1_T2_jT3_P12ihipStream_tbPNSt15iterator_traitsISK_E10value_typeEPNSQ_ISL_E10value_typeEPSM_NS1_7vsmem_tEENKUlT_SK_SL_SM_E_clISE_PxSF_SF_EESJ_SZ_SK_SL_SM_EUlSZ_E1_NS1_11comp_targetILNS1_3genE4ELNS1_11target_archE910ELNS1_3gpuE8ELNS1_3repE0EEENS1_36merge_oddeven_config_static_selectorELNS0_4arch9wavefront6targetE1EEEvSL_, .Lfunc_end1510-_ZN7rocprim17ROCPRIM_400000_NS6detail17trampoline_kernelINS0_14default_configENS1_38merge_sort_block_merge_config_selectorIxNS0_10empty_typeEEEZZNS1_27merge_sort_block_merge_implIS3_N6thrust23THRUST_200600_302600_NS6detail15normal_iteratorINS9_10device_ptrIxEEEEPS5_jNS1_19radix_merge_compareILb0ELb1ExNS0_19identity_decomposerEEEEE10hipError_tT0_T1_T2_jT3_P12ihipStream_tbPNSt15iterator_traitsISK_E10value_typeEPNSQ_ISL_E10value_typeEPSM_NS1_7vsmem_tEENKUlT_SK_SL_SM_E_clISE_PxSF_SF_EESJ_SZ_SK_SL_SM_EUlSZ_E1_NS1_11comp_targetILNS1_3genE4ELNS1_11target_archE910ELNS1_3gpuE8ELNS1_3repE0EEENS1_36merge_oddeven_config_static_selectorELNS0_4arch9wavefront6targetE1EEEvSL_
                                        ; -- End function
	.section	.AMDGPU.csdata,"",@progbits
; Kernel info:
; codeLenInByte = 0
; NumSgprs: 6
; NumVgprs: 0
; NumAgprs: 0
; TotalNumVgprs: 0
; ScratchSize: 0
; MemoryBound: 0
; FloatMode: 240
; IeeeMode: 1
; LDSByteSize: 0 bytes/workgroup (compile time only)
; SGPRBlocks: 0
; VGPRBlocks: 0
; NumSGPRsForWavesPerEU: 6
; NumVGPRsForWavesPerEU: 1
; AccumOffset: 4
; Occupancy: 8
; WaveLimiterHint : 0
; COMPUTE_PGM_RSRC2:SCRATCH_EN: 0
; COMPUTE_PGM_RSRC2:USER_SGPR: 2
; COMPUTE_PGM_RSRC2:TRAP_HANDLER: 0
; COMPUTE_PGM_RSRC2:TGID_X_EN: 1
; COMPUTE_PGM_RSRC2:TGID_Y_EN: 0
; COMPUTE_PGM_RSRC2:TGID_Z_EN: 0
; COMPUTE_PGM_RSRC2:TIDIG_COMP_CNT: 0
; COMPUTE_PGM_RSRC3_GFX90A:ACCUM_OFFSET: 0
; COMPUTE_PGM_RSRC3_GFX90A:TG_SPLIT: 0
	.section	.text._ZN7rocprim17ROCPRIM_400000_NS6detail17trampoline_kernelINS0_14default_configENS1_38merge_sort_block_merge_config_selectorIxNS0_10empty_typeEEEZZNS1_27merge_sort_block_merge_implIS3_N6thrust23THRUST_200600_302600_NS6detail15normal_iteratorINS9_10device_ptrIxEEEEPS5_jNS1_19radix_merge_compareILb0ELb1ExNS0_19identity_decomposerEEEEE10hipError_tT0_T1_T2_jT3_P12ihipStream_tbPNSt15iterator_traitsISK_E10value_typeEPNSQ_ISL_E10value_typeEPSM_NS1_7vsmem_tEENKUlT_SK_SL_SM_E_clISE_PxSF_SF_EESJ_SZ_SK_SL_SM_EUlSZ_E1_NS1_11comp_targetILNS1_3genE3ELNS1_11target_archE908ELNS1_3gpuE7ELNS1_3repE0EEENS1_36merge_oddeven_config_static_selectorELNS0_4arch9wavefront6targetE1EEEvSL_,"axG",@progbits,_ZN7rocprim17ROCPRIM_400000_NS6detail17trampoline_kernelINS0_14default_configENS1_38merge_sort_block_merge_config_selectorIxNS0_10empty_typeEEEZZNS1_27merge_sort_block_merge_implIS3_N6thrust23THRUST_200600_302600_NS6detail15normal_iteratorINS9_10device_ptrIxEEEEPS5_jNS1_19radix_merge_compareILb0ELb1ExNS0_19identity_decomposerEEEEE10hipError_tT0_T1_T2_jT3_P12ihipStream_tbPNSt15iterator_traitsISK_E10value_typeEPNSQ_ISL_E10value_typeEPSM_NS1_7vsmem_tEENKUlT_SK_SL_SM_E_clISE_PxSF_SF_EESJ_SZ_SK_SL_SM_EUlSZ_E1_NS1_11comp_targetILNS1_3genE3ELNS1_11target_archE908ELNS1_3gpuE7ELNS1_3repE0EEENS1_36merge_oddeven_config_static_selectorELNS0_4arch9wavefront6targetE1EEEvSL_,comdat
	.protected	_ZN7rocprim17ROCPRIM_400000_NS6detail17trampoline_kernelINS0_14default_configENS1_38merge_sort_block_merge_config_selectorIxNS0_10empty_typeEEEZZNS1_27merge_sort_block_merge_implIS3_N6thrust23THRUST_200600_302600_NS6detail15normal_iteratorINS9_10device_ptrIxEEEEPS5_jNS1_19radix_merge_compareILb0ELb1ExNS0_19identity_decomposerEEEEE10hipError_tT0_T1_T2_jT3_P12ihipStream_tbPNSt15iterator_traitsISK_E10value_typeEPNSQ_ISL_E10value_typeEPSM_NS1_7vsmem_tEENKUlT_SK_SL_SM_E_clISE_PxSF_SF_EESJ_SZ_SK_SL_SM_EUlSZ_E1_NS1_11comp_targetILNS1_3genE3ELNS1_11target_archE908ELNS1_3gpuE7ELNS1_3repE0EEENS1_36merge_oddeven_config_static_selectorELNS0_4arch9wavefront6targetE1EEEvSL_ ; -- Begin function _ZN7rocprim17ROCPRIM_400000_NS6detail17trampoline_kernelINS0_14default_configENS1_38merge_sort_block_merge_config_selectorIxNS0_10empty_typeEEEZZNS1_27merge_sort_block_merge_implIS3_N6thrust23THRUST_200600_302600_NS6detail15normal_iteratorINS9_10device_ptrIxEEEEPS5_jNS1_19radix_merge_compareILb0ELb1ExNS0_19identity_decomposerEEEEE10hipError_tT0_T1_T2_jT3_P12ihipStream_tbPNSt15iterator_traitsISK_E10value_typeEPNSQ_ISL_E10value_typeEPSM_NS1_7vsmem_tEENKUlT_SK_SL_SM_E_clISE_PxSF_SF_EESJ_SZ_SK_SL_SM_EUlSZ_E1_NS1_11comp_targetILNS1_3genE3ELNS1_11target_archE908ELNS1_3gpuE7ELNS1_3repE0EEENS1_36merge_oddeven_config_static_selectorELNS0_4arch9wavefront6targetE1EEEvSL_
	.globl	_ZN7rocprim17ROCPRIM_400000_NS6detail17trampoline_kernelINS0_14default_configENS1_38merge_sort_block_merge_config_selectorIxNS0_10empty_typeEEEZZNS1_27merge_sort_block_merge_implIS3_N6thrust23THRUST_200600_302600_NS6detail15normal_iteratorINS9_10device_ptrIxEEEEPS5_jNS1_19radix_merge_compareILb0ELb1ExNS0_19identity_decomposerEEEEE10hipError_tT0_T1_T2_jT3_P12ihipStream_tbPNSt15iterator_traitsISK_E10value_typeEPNSQ_ISL_E10value_typeEPSM_NS1_7vsmem_tEENKUlT_SK_SL_SM_E_clISE_PxSF_SF_EESJ_SZ_SK_SL_SM_EUlSZ_E1_NS1_11comp_targetILNS1_3genE3ELNS1_11target_archE908ELNS1_3gpuE7ELNS1_3repE0EEENS1_36merge_oddeven_config_static_selectorELNS0_4arch9wavefront6targetE1EEEvSL_
	.p2align	8
	.type	_ZN7rocprim17ROCPRIM_400000_NS6detail17trampoline_kernelINS0_14default_configENS1_38merge_sort_block_merge_config_selectorIxNS0_10empty_typeEEEZZNS1_27merge_sort_block_merge_implIS3_N6thrust23THRUST_200600_302600_NS6detail15normal_iteratorINS9_10device_ptrIxEEEEPS5_jNS1_19radix_merge_compareILb0ELb1ExNS0_19identity_decomposerEEEEE10hipError_tT0_T1_T2_jT3_P12ihipStream_tbPNSt15iterator_traitsISK_E10value_typeEPNSQ_ISL_E10value_typeEPSM_NS1_7vsmem_tEENKUlT_SK_SL_SM_E_clISE_PxSF_SF_EESJ_SZ_SK_SL_SM_EUlSZ_E1_NS1_11comp_targetILNS1_3genE3ELNS1_11target_archE908ELNS1_3gpuE7ELNS1_3repE0EEENS1_36merge_oddeven_config_static_selectorELNS0_4arch9wavefront6targetE1EEEvSL_,@function
_ZN7rocprim17ROCPRIM_400000_NS6detail17trampoline_kernelINS0_14default_configENS1_38merge_sort_block_merge_config_selectorIxNS0_10empty_typeEEEZZNS1_27merge_sort_block_merge_implIS3_N6thrust23THRUST_200600_302600_NS6detail15normal_iteratorINS9_10device_ptrIxEEEEPS5_jNS1_19radix_merge_compareILb0ELb1ExNS0_19identity_decomposerEEEEE10hipError_tT0_T1_T2_jT3_P12ihipStream_tbPNSt15iterator_traitsISK_E10value_typeEPNSQ_ISL_E10value_typeEPSM_NS1_7vsmem_tEENKUlT_SK_SL_SM_E_clISE_PxSF_SF_EESJ_SZ_SK_SL_SM_EUlSZ_E1_NS1_11comp_targetILNS1_3genE3ELNS1_11target_archE908ELNS1_3gpuE7ELNS1_3repE0EEENS1_36merge_oddeven_config_static_selectorELNS0_4arch9wavefront6targetE1EEEvSL_: ; @_ZN7rocprim17ROCPRIM_400000_NS6detail17trampoline_kernelINS0_14default_configENS1_38merge_sort_block_merge_config_selectorIxNS0_10empty_typeEEEZZNS1_27merge_sort_block_merge_implIS3_N6thrust23THRUST_200600_302600_NS6detail15normal_iteratorINS9_10device_ptrIxEEEEPS5_jNS1_19radix_merge_compareILb0ELb1ExNS0_19identity_decomposerEEEEE10hipError_tT0_T1_T2_jT3_P12ihipStream_tbPNSt15iterator_traitsISK_E10value_typeEPNSQ_ISL_E10value_typeEPSM_NS1_7vsmem_tEENKUlT_SK_SL_SM_E_clISE_PxSF_SF_EESJ_SZ_SK_SL_SM_EUlSZ_E1_NS1_11comp_targetILNS1_3genE3ELNS1_11target_archE908ELNS1_3gpuE7ELNS1_3repE0EEENS1_36merge_oddeven_config_static_selectorELNS0_4arch9wavefront6targetE1EEEvSL_
; %bb.0:
	.section	.rodata,"a",@progbits
	.p2align	6, 0x0
	.amdhsa_kernel _ZN7rocprim17ROCPRIM_400000_NS6detail17trampoline_kernelINS0_14default_configENS1_38merge_sort_block_merge_config_selectorIxNS0_10empty_typeEEEZZNS1_27merge_sort_block_merge_implIS3_N6thrust23THRUST_200600_302600_NS6detail15normal_iteratorINS9_10device_ptrIxEEEEPS5_jNS1_19radix_merge_compareILb0ELb1ExNS0_19identity_decomposerEEEEE10hipError_tT0_T1_T2_jT3_P12ihipStream_tbPNSt15iterator_traitsISK_E10value_typeEPNSQ_ISL_E10value_typeEPSM_NS1_7vsmem_tEENKUlT_SK_SL_SM_E_clISE_PxSF_SF_EESJ_SZ_SK_SL_SM_EUlSZ_E1_NS1_11comp_targetILNS1_3genE3ELNS1_11target_archE908ELNS1_3gpuE7ELNS1_3repE0EEENS1_36merge_oddeven_config_static_selectorELNS0_4arch9wavefront6targetE1EEEvSL_
		.amdhsa_group_segment_fixed_size 0
		.amdhsa_private_segment_fixed_size 0
		.amdhsa_kernarg_size 48
		.amdhsa_user_sgpr_count 2
		.amdhsa_user_sgpr_dispatch_ptr 0
		.amdhsa_user_sgpr_queue_ptr 0
		.amdhsa_user_sgpr_kernarg_segment_ptr 1
		.amdhsa_user_sgpr_dispatch_id 0
		.amdhsa_user_sgpr_kernarg_preload_length 0
		.amdhsa_user_sgpr_kernarg_preload_offset 0
		.amdhsa_user_sgpr_private_segment_size 0
		.amdhsa_uses_dynamic_stack 0
		.amdhsa_enable_private_segment 0
		.amdhsa_system_sgpr_workgroup_id_x 1
		.amdhsa_system_sgpr_workgroup_id_y 0
		.amdhsa_system_sgpr_workgroup_id_z 0
		.amdhsa_system_sgpr_workgroup_info 0
		.amdhsa_system_vgpr_workitem_id 0
		.amdhsa_next_free_vgpr 1
		.amdhsa_next_free_sgpr 0
		.amdhsa_accum_offset 4
		.amdhsa_reserve_vcc 0
		.amdhsa_float_round_mode_32 0
		.amdhsa_float_round_mode_16_64 0
		.amdhsa_float_denorm_mode_32 3
		.amdhsa_float_denorm_mode_16_64 3
		.amdhsa_dx10_clamp 1
		.amdhsa_ieee_mode 1
		.amdhsa_fp16_overflow 0
		.amdhsa_tg_split 0
		.amdhsa_exception_fp_ieee_invalid_op 0
		.amdhsa_exception_fp_denorm_src 0
		.amdhsa_exception_fp_ieee_div_zero 0
		.amdhsa_exception_fp_ieee_overflow 0
		.amdhsa_exception_fp_ieee_underflow 0
		.amdhsa_exception_fp_ieee_inexact 0
		.amdhsa_exception_int_div_zero 0
	.end_amdhsa_kernel
	.section	.text._ZN7rocprim17ROCPRIM_400000_NS6detail17trampoline_kernelINS0_14default_configENS1_38merge_sort_block_merge_config_selectorIxNS0_10empty_typeEEEZZNS1_27merge_sort_block_merge_implIS3_N6thrust23THRUST_200600_302600_NS6detail15normal_iteratorINS9_10device_ptrIxEEEEPS5_jNS1_19radix_merge_compareILb0ELb1ExNS0_19identity_decomposerEEEEE10hipError_tT0_T1_T2_jT3_P12ihipStream_tbPNSt15iterator_traitsISK_E10value_typeEPNSQ_ISL_E10value_typeEPSM_NS1_7vsmem_tEENKUlT_SK_SL_SM_E_clISE_PxSF_SF_EESJ_SZ_SK_SL_SM_EUlSZ_E1_NS1_11comp_targetILNS1_3genE3ELNS1_11target_archE908ELNS1_3gpuE7ELNS1_3repE0EEENS1_36merge_oddeven_config_static_selectorELNS0_4arch9wavefront6targetE1EEEvSL_,"axG",@progbits,_ZN7rocprim17ROCPRIM_400000_NS6detail17trampoline_kernelINS0_14default_configENS1_38merge_sort_block_merge_config_selectorIxNS0_10empty_typeEEEZZNS1_27merge_sort_block_merge_implIS3_N6thrust23THRUST_200600_302600_NS6detail15normal_iteratorINS9_10device_ptrIxEEEEPS5_jNS1_19radix_merge_compareILb0ELb1ExNS0_19identity_decomposerEEEEE10hipError_tT0_T1_T2_jT3_P12ihipStream_tbPNSt15iterator_traitsISK_E10value_typeEPNSQ_ISL_E10value_typeEPSM_NS1_7vsmem_tEENKUlT_SK_SL_SM_E_clISE_PxSF_SF_EESJ_SZ_SK_SL_SM_EUlSZ_E1_NS1_11comp_targetILNS1_3genE3ELNS1_11target_archE908ELNS1_3gpuE7ELNS1_3repE0EEENS1_36merge_oddeven_config_static_selectorELNS0_4arch9wavefront6targetE1EEEvSL_,comdat
.Lfunc_end1511:
	.size	_ZN7rocprim17ROCPRIM_400000_NS6detail17trampoline_kernelINS0_14default_configENS1_38merge_sort_block_merge_config_selectorIxNS0_10empty_typeEEEZZNS1_27merge_sort_block_merge_implIS3_N6thrust23THRUST_200600_302600_NS6detail15normal_iteratorINS9_10device_ptrIxEEEEPS5_jNS1_19radix_merge_compareILb0ELb1ExNS0_19identity_decomposerEEEEE10hipError_tT0_T1_T2_jT3_P12ihipStream_tbPNSt15iterator_traitsISK_E10value_typeEPNSQ_ISL_E10value_typeEPSM_NS1_7vsmem_tEENKUlT_SK_SL_SM_E_clISE_PxSF_SF_EESJ_SZ_SK_SL_SM_EUlSZ_E1_NS1_11comp_targetILNS1_3genE3ELNS1_11target_archE908ELNS1_3gpuE7ELNS1_3repE0EEENS1_36merge_oddeven_config_static_selectorELNS0_4arch9wavefront6targetE1EEEvSL_, .Lfunc_end1511-_ZN7rocprim17ROCPRIM_400000_NS6detail17trampoline_kernelINS0_14default_configENS1_38merge_sort_block_merge_config_selectorIxNS0_10empty_typeEEEZZNS1_27merge_sort_block_merge_implIS3_N6thrust23THRUST_200600_302600_NS6detail15normal_iteratorINS9_10device_ptrIxEEEEPS5_jNS1_19radix_merge_compareILb0ELb1ExNS0_19identity_decomposerEEEEE10hipError_tT0_T1_T2_jT3_P12ihipStream_tbPNSt15iterator_traitsISK_E10value_typeEPNSQ_ISL_E10value_typeEPSM_NS1_7vsmem_tEENKUlT_SK_SL_SM_E_clISE_PxSF_SF_EESJ_SZ_SK_SL_SM_EUlSZ_E1_NS1_11comp_targetILNS1_3genE3ELNS1_11target_archE908ELNS1_3gpuE7ELNS1_3repE0EEENS1_36merge_oddeven_config_static_selectorELNS0_4arch9wavefront6targetE1EEEvSL_
                                        ; -- End function
	.section	.AMDGPU.csdata,"",@progbits
; Kernel info:
; codeLenInByte = 0
; NumSgprs: 6
; NumVgprs: 0
; NumAgprs: 0
; TotalNumVgprs: 0
; ScratchSize: 0
; MemoryBound: 0
; FloatMode: 240
; IeeeMode: 1
; LDSByteSize: 0 bytes/workgroup (compile time only)
; SGPRBlocks: 0
; VGPRBlocks: 0
; NumSGPRsForWavesPerEU: 6
; NumVGPRsForWavesPerEU: 1
; AccumOffset: 4
; Occupancy: 8
; WaveLimiterHint : 0
; COMPUTE_PGM_RSRC2:SCRATCH_EN: 0
; COMPUTE_PGM_RSRC2:USER_SGPR: 2
; COMPUTE_PGM_RSRC2:TRAP_HANDLER: 0
; COMPUTE_PGM_RSRC2:TGID_X_EN: 1
; COMPUTE_PGM_RSRC2:TGID_Y_EN: 0
; COMPUTE_PGM_RSRC2:TGID_Z_EN: 0
; COMPUTE_PGM_RSRC2:TIDIG_COMP_CNT: 0
; COMPUTE_PGM_RSRC3_GFX90A:ACCUM_OFFSET: 0
; COMPUTE_PGM_RSRC3_GFX90A:TG_SPLIT: 0
	.section	.text._ZN7rocprim17ROCPRIM_400000_NS6detail17trampoline_kernelINS0_14default_configENS1_38merge_sort_block_merge_config_selectorIxNS0_10empty_typeEEEZZNS1_27merge_sort_block_merge_implIS3_N6thrust23THRUST_200600_302600_NS6detail15normal_iteratorINS9_10device_ptrIxEEEEPS5_jNS1_19radix_merge_compareILb0ELb1ExNS0_19identity_decomposerEEEEE10hipError_tT0_T1_T2_jT3_P12ihipStream_tbPNSt15iterator_traitsISK_E10value_typeEPNSQ_ISL_E10value_typeEPSM_NS1_7vsmem_tEENKUlT_SK_SL_SM_E_clISE_PxSF_SF_EESJ_SZ_SK_SL_SM_EUlSZ_E1_NS1_11comp_targetILNS1_3genE2ELNS1_11target_archE906ELNS1_3gpuE6ELNS1_3repE0EEENS1_36merge_oddeven_config_static_selectorELNS0_4arch9wavefront6targetE1EEEvSL_,"axG",@progbits,_ZN7rocprim17ROCPRIM_400000_NS6detail17trampoline_kernelINS0_14default_configENS1_38merge_sort_block_merge_config_selectorIxNS0_10empty_typeEEEZZNS1_27merge_sort_block_merge_implIS3_N6thrust23THRUST_200600_302600_NS6detail15normal_iteratorINS9_10device_ptrIxEEEEPS5_jNS1_19radix_merge_compareILb0ELb1ExNS0_19identity_decomposerEEEEE10hipError_tT0_T1_T2_jT3_P12ihipStream_tbPNSt15iterator_traitsISK_E10value_typeEPNSQ_ISL_E10value_typeEPSM_NS1_7vsmem_tEENKUlT_SK_SL_SM_E_clISE_PxSF_SF_EESJ_SZ_SK_SL_SM_EUlSZ_E1_NS1_11comp_targetILNS1_3genE2ELNS1_11target_archE906ELNS1_3gpuE6ELNS1_3repE0EEENS1_36merge_oddeven_config_static_selectorELNS0_4arch9wavefront6targetE1EEEvSL_,comdat
	.protected	_ZN7rocprim17ROCPRIM_400000_NS6detail17trampoline_kernelINS0_14default_configENS1_38merge_sort_block_merge_config_selectorIxNS0_10empty_typeEEEZZNS1_27merge_sort_block_merge_implIS3_N6thrust23THRUST_200600_302600_NS6detail15normal_iteratorINS9_10device_ptrIxEEEEPS5_jNS1_19radix_merge_compareILb0ELb1ExNS0_19identity_decomposerEEEEE10hipError_tT0_T1_T2_jT3_P12ihipStream_tbPNSt15iterator_traitsISK_E10value_typeEPNSQ_ISL_E10value_typeEPSM_NS1_7vsmem_tEENKUlT_SK_SL_SM_E_clISE_PxSF_SF_EESJ_SZ_SK_SL_SM_EUlSZ_E1_NS1_11comp_targetILNS1_3genE2ELNS1_11target_archE906ELNS1_3gpuE6ELNS1_3repE0EEENS1_36merge_oddeven_config_static_selectorELNS0_4arch9wavefront6targetE1EEEvSL_ ; -- Begin function _ZN7rocprim17ROCPRIM_400000_NS6detail17trampoline_kernelINS0_14default_configENS1_38merge_sort_block_merge_config_selectorIxNS0_10empty_typeEEEZZNS1_27merge_sort_block_merge_implIS3_N6thrust23THRUST_200600_302600_NS6detail15normal_iteratorINS9_10device_ptrIxEEEEPS5_jNS1_19radix_merge_compareILb0ELb1ExNS0_19identity_decomposerEEEEE10hipError_tT0_T1_T2_jT3_P12ihipStream_tbPNSt15iterator_traitsISK_E10value_typeEPNSQ_ISL_E10value_typeEPSM_NS1_7vsmem_tEENKUlT_SK_SL_SM_E_clISE_PxSF_SF_EESJ_SZ_SK_SL_SM_EUlSZ_E1_NS1_11comp_targetILNS1_3genE2ELNS1_11target_archE906ELNS1_3gpuE6ELNS1_3repE0EEENS1_36merge_oddeven_config_static_selectorELNS0_4arch9wavefront6targetE1EEEvSL_
	.globl	_ZN7rocprim17ROCPRIM_400000_NS6detail17trampoline_kernelINS0_14default_configENS1_38merge_sort_block_merge_config_selectorIxNS0_10empty_typeEEEZZNS1_27merge_sort_block_merge_implIS3_N6thrust23THRUST_200600_302600_NS6detail15normal_iteratorINS9_10device_ptrIxEEEEPS5_jNS1_19radix_merge_compareILb0ELb1ExNS0_19identity_decomposerEEEEE10hipError_tT0_T1_T2_jT3_P12ihipStream_tbPNSt15iterator_traitsISK_E10value_typeEPNSQ_ISL_E10value_typeEPSM_NS1_7vsmem_tEENKUlT_SK_SL_SM_E_clISE_PxSF_SF_EESJ_SZ_SK_SL_SM_EUlSZ_E1_NS1_11comp_targetILNS1_3genE2ELNS1_11target_archE906ELNS1_3gpuE6ELNS1_3repE0EEENS1_36merge_oddeven_config_static_selectorELNS0_4arch9wavefront6targetE1EEEvSL_
	.p2align	8
	.type	_ZN7rocprim17ROCPRIM_400000_NS6detail17trampoline_kernelINS0_14default_configENS1_38merge_sort_block_merge_config_selectorIxNS0_10empty_typeEEEZZNS1_27merge_sort_block_merge_implIS3_N6thrust23THRUST_200600_302600_NS6detail15normal_iteratorINS9_10device_ptrIxEEEEPS5_jNS1_19radix_merge_compareILb0ELb1ExNS0_19identity_decomposerEEEEE10hipError_tT0_T1_T2_jT3_P12ihipStream_tbPNSt15iterator_traitsISK_E10value_typeEPNSQ_ISL_E10value_typeEPSM_NS1_7vsmem_tEENKUlT_SK_SL_SM_E_clISE_PxSF_SF_EESJ_SZ_SK_SL_SM_EUlSZ_E1_NS1_11comp_targetILNS1_3genE2ELNS1_11target_archE906ELNS1_3gpuE6ELNS1_3repE0EEENS1_36merge_oddeven_config_static_selectorELNS0_4arch9wavefront6targetE1EEEvSL_,@function
_ZN7rocprim17ROCPRIM_400000_NS6detail17trampoline_kernelINS0_14default_configENS1_38merge_sort_block_merge_config_selectorIxNS0_10empty_typeEEEZZNS1_27merge_sort_block_merge_implIS3_N6thrust23THRUST_200600_302600_NS6detail15normal_iteratorINS9_10device_ptrIxEEEEPS5_jNS1_19radix_merge_compareILb0ELb1ExNS0_19identity_decomposerEEEEE10hipError_tT0_T1_T2_jT3_P12ihipStream_tbPNSt15iterator_traitsISK_E10value_typeEPNSQ_ISL_E10value_typeEPSM_NS1_7vsmem_tEENKUlT_SK_SL_SM_E_clISE_PxSF_SF_EESJ_SZ_SK_SL_SM_EUlSZ_E1_NS1_11comp_targetILNS1_3genE2ELNS1_11target_archE906ELNS1_3gpuE6ELNS1_3repE0EEENS1_36merge_oddeven_config_static_selectorELNS0_4arch9wavefront6targetE1EEEvSL_: ; @_ZN7rocprim17ROCPRIM_400000_NS6detail17trampoline_kernelINS0_14default_configENS1_38merge_sort_block_merge_config_selectorIxNS0_10empty_typeEEEZZNS1_27merge_sort_block_merge_implIS3_N6thrust23THRUST_200600_302600_NS6detail15normal_iteratorINS9_10device_ptrIxEEEEPS5_jNS1_19radix_merge_compareILb0ELb1ExNS0_19identity_decomposerEEEEE10hipError_tT0_T1_T2_jT3_P12ihipStream_tbPNSt15iterator_traitsISK_E10value_typeEPNSQ_ISL_E10value_typeEPSM_NS1_7vsmem_tEENKUlT_SK_SL_SM_E_clISE_PxSF_SF_EESJ_SZ_SK_SL_SM_EUlSZ_E1_NS1_11comp_targetILNS1_3genE2ELNS1_11target_archE906ELNS1_3gpuE6ELNS1_3repE0EEENS1_36merge_oddeven_config_static_selectorELNS0_4arch9wavefront6targetE1EEEvSL_
; %bb.0:
	.section	.rodata,"a",@progbits
	.p2align	6, 0x0
	.amdhsa_kernel _ZN7rocprim17ROCPRIM_400000_NS6detail17trampoline_kernelINS0_14default_configENS1_38merge_sort_block_merge_config_selectorIxNS0_10empty_typeEEEZZNS1_27merge_sort_block_merge_implIS3_N6thrust23THRUST_200600_302600_NS6detail15normal_iteratorINS9_10device_ptrIxEEEEPS5_jNS1_19radix_merge_compareILb0ELb1ExNS0_19identity_decomposerEEEEE10hipError_tT0_T1_T2_jT3_P12ihipStream_tbPNSt15iterator_traitsISK_E10value_typeEPNSQ_ISL_E10value_typeEPSM_NS1_7vsmem_tEENKUlT_SK_SL_SM_E_clISE_PxSF_SF_EESJ_SZ_SK_SL_SM_EUlSZ_E1_NS1_11comp_targetILNS1_3genE2ELNS1_11target_archE906ELNS1_3gpuE6ELNS1_3repE0EEENS1_36merge_oddeven_config_static_selectorELNS0_4arch9wavefront6targetE1EEEvSL_
		.amdhsa_group_segment_fixed_size 0
		.amdhsa_private_segment_fixed_size 0
		.amdhsa_kernarg_size 48
		.amdhsa_user_sgpr_count 2
		.amdhsa_user_sgpr_dispatch_ptr 0
		.amdhsa_user_sgpr_queue_ptr 0
		.amdhsa_user_sgpr_kernarg_segment_ptr 1
		.amdhsa_user_sgpr_dispatch_id 0
		.amdhsa_user_sgpr_kernarg_preload_length 0
		.amdhsa_user_sgpr_kernarg_preload_offset 0
		.amdhsa_user_sgpr_private_segment_size 0
		.amdhsa_uses_dynamic_stack 0
		.amdhsa_enable_private_segment 0
		.amdhsa_system_sgpr_workgroup_id_x 1
		.amdhsa_system_sgpr_workgroup_id_y 0
		.amdhsa_system_sgpr_workgroup_id_z 0
		.amdhsa_system_sgpr_workgroup_info 0
		.amdhsa_system_vgpr_workitem_id 0
		.amdhsa_next_free_vgpr 1
		.amdhsa_next_free_sgpr 0
		.amdhsa_accum_offset 4
		.amdhsa_reserve_vcc 0
		.amdhsa_float_round_mode_32 0
		.amdhsa_float_round_mode_16_64 0
		.amdhsa_float_denorm_mode_32 3
		.amdhsa_float_denorm_mode_16_64 3
		.amdhsa_dx10_clamp 1
		.amdhsa_ieee_mode 1
		.amdhsa_fp16_overflow 0
		.amdhsa_tg_split 0
		.amdhsa_exception_fp_ieee_invalid_op 0
		.amdhsa_exception_fp_denorm_src 0
		.amdhsa_exception_fp_ieee_div_zero 0
		.amdhsa_exception_fp_ieee_overflow 0
		.amdhsa_exception_fp_ieee_underflow 0
		.amdhsa_exception_fp_ieee_inexact 0
		.amdhsa_exception_int_div_zero 0
	.end_amdhsa_kernel
	.section	.text._ZN7rocprim17ROCPRIM_400000_NS6detail17trampoline_kernelINS0_14default_configENS1_38merge_sort_block_merge_config_selectorIxNS0_10empty_typeEEEZZNS1_27merge_sort_block_merge_implIS3_N6thrust23THRUST_200600_302600_NS6detail15normal_iteratorINS9_10device_ptrIxEEEEPS5_jNS1_19radix_merge_compareILb0ELb1ExNS0_19identity_decomposerEEEEE10hipError_tT0_T1_T2_jT3_P12ihipStream_tbPNSt15iterator_traitsISK_E10value_typeEPNSQ_ISL_E10value_typeEPSM_NS1_7vsmem_tEENKUlT_SK_SL_SM_E_clISE_PxSF_SF_EESJ_SZ_SK_SL_SM_EUlSZ_E1_NS1_11comp_targetILNS1_3genE2ELNS1_11target_archE906ELNS1_3gpuE6ELNS1_3repE0EEENS1_36merge_oddeven_config_static_selectorELNS0_4arch9wavefront6targetE1EEEvSL_,"axG",@progbits,_ZN7rocprim17ROCPRIM_400000_NS6detail17trampoline_kernelINS0_14default_configENS1_38merge_sort_block_merge_config_selectorIxNS0_10empty_typeEEEZZNS1_27merge_sort_block_merge_implIS3_N6thrust23THRUST_200600_302600_NS6detail15normal_iteratorINS9_10device_ptrIxEEEEPS5_jNS1_19radix_merge_compareILb0ELb1ExNS0_19identity_decomposerEEEEE10hipError_tT0_T1_T2_jT3_P12ihipStream_tbPNSt15iterator_traitsISK_E10value_typeEPNSQ_ISL_E10value_typeEPSM_NS1_7vsmem_tEENKUlT_SK_SL_SM_E_clISE_PxSF_SF_EESJ_SZ_SK_SL_SM_EUlSZ_E1_NS1_11comp_targetILNS1_3genE2ELNS1_11target_archE906ELNS1_3gpuE6ELNS1_3repE0EEENS1_36merge_oddeven_config_static_selectorELNS0_4arch9wavefront6targetE1EEEvSL_,comdat
.Lfunc_end1512:
	.size	_ZN7rocprim17ROCPRIM_400000_NS6detail17trampoline_kernelINS0_14default_configENS1_38merge_sort_block_merge_config_selectorIxNS0_10empty_typeEEEZZNS1_27merge_sort_block_merge_implIS3_N6thrust23THRUST_200600_302600_NS6detail15normal_iteratorINS9_10device_ptrIxEEEEPS5_jNS1_19radix_merge_compareILb0ELb1ExNS0_19identity_decomposerEEEEE10hipError_tT0_T1_T2_jT3_P12ihipStream_tbPNSt15iterator_traitsISK_E10value_typeEPNSQ_ISL_E10value_typeEPSM_NS1_7vsmem_tEENKUlT_SK_SL_SM_E_clISE_PxSF_SF_EESJ_SZ_SK_SL_SM_EUlSZ_E1_NS1_11comp_targetILNS1_3genE2ELNS1_11target_archE906ELNS1_3gpuE6ELNS1_3repE0EEENS1_36merge_oddeven_config_static_selectorELNS0_4arch9wavefront6targetE1EEEvSL_, .Lfunc_end1512-_ZN7rocprim17ROCPRIM_400000_NS6detail17trampoline_kernelINS0_14default_configENS1_38merge_sort_block_merge_config_selectorIxNS0_10empty_typeEEEZZNS1_27merge_sort_block_merge_implIS3_N6thrust23THRUST_200600_302600_NS6detail15normal_iteratorINS9_10device_ptrIxEEEEPS5_jNS1_19radix_merge_compareILb0ELb1ExNS0_19identity_decomposerEEEEE10hipError_tT0_T1_T2_jT3_P12ihipStream_tbPNSt15iterator_traitsISK_E10value_typeEPNSQ_ISL_E10value_typeEPSM_NS1_7vsmem_tEENKUlT_SK_SL_SM_E_clISE_PxSF_SF_EESJ_SZ_SK_SL_SM_EUlSZ_E1_NS1_11comp_targetILNS1_3genE2ELNS1_11target_archE906ELNS1_3gpuE6ELNS1_3repE0EEENS1_36merge_oddeven_config_static_selectorELNS0_4arch9wavefront6targetE1EEEvSL_
                                        ; -- End function
	.section	.AMDGPU.csdata,"",@progbits
; Kernel info:
; codeLenInByte = 0
; NumSgprs: 6
; NumVgprs: 0
; NumAgprs: 0
; TotalNumVgprs: 0
; ScratchSize: 0
; MemoryBound: 0
; FloatMode: 240
; IeeeMode: 1
; LDSByteSize: 0 bytes/workgroup (compile time only)
; SGPRBlocks: 0
; VGPRBlocks: 0
; NumSGPRsForWavesPerEU: 6
; NumVGPRsForWavesPerEU: 1
; AccumOffset: 4
; Occupancy: 8
; WaveLimiterHint : 0
; COMPUTE_PGM_RSRC2:SCRATCH_EN: 0
; COMPUTE_PGM_RSRC2:USER_SGPR: 2
; COMPUTE_PGM_RSRC2:TRAP_HANDLER: 0
; COMPUTE_PGM_RSRC2:TGID_X_EN: 1
; COMPUTE_PGM_RSRC2:TGID_Y_EN: 0
; COMPUTE_PGM_RSRC2:TGID_Z_EN: 0
; COMPUTE_PGM_RSRC2:TIDIG_COMP_CNT: 0
; COMPUTE_PGM_RSRC3_GFX90A:ACCUM_OFFSET: 0
; COMPUTE_PGM_RSRC3_GFX90A:TG_SPLIT: 0
	.section	.text._ZN7rocprim17ROCPRIM_400000_NS6detail17trampoline_kernelINS0_14default_configENS1_38merge_sort_block_merge_config_selectorIxNS0_10empty_typeEEEZZNS1_27merge_sort_block_merge_implIS3_N6thrust23THRUST_200600_302600_NS6detail15normal_iteratorINS9_10device_ptrIxEEEEPS5_jNS1_19radix_merge_compareILb0ELb1ExNS0_19identity_decomposerEEEEE10hipError_tT0_T1_T2_jT3_P12ihipStream_tbPNSt15iterator_traitsISK_E10value_typeEPNSQ_ISL_E10value_typeEPSM_NS1_7vsmem_tEENKUlT_SK_SL_SM_E_clISE_PxSF_SF_EESJ_SZ_SK_SL_SM_EUlSZ_E1_NS1_11comp_targetILNS1_3genE9ELNS1_11target_archE1100ELNS1_3gpuE3ELNS1_3repE0EEENS1_36merge_oddeven_config_static_selectorELNS0_4arch9wavefront6targetE1EEEvSL_,"axG",@progbits,_ZN7rocprim17ROCPRIM_400000_NS6detail17trampoline_kernelINS0_14default_configENS1_38merge_sort_block_merge_config_selectorIxNS0_10empty_typeEEEZZNS1_27merge_sort_block_merge_implIS3_N6thrust23THRUST_200600_302600_NS6detail15normal_iteratorINS9_10device_ptrIxEEEEPS5_jNS1_19radix_merge_compareILb0ELb1ExNS0_19identity_decomposerEEEEE10hipError_tT0_T1_T2_jT3_P12ihipStream_tbPNSt15iterator_traitsISK_E10value_typeEPNSQ_ISL_E10value_typeEPSM_NS1_7vsmem_tEENKUlT_SK_SL_SM_E_clISE_PxSF_SF_EESJ_SZ_SK_SL_SM_EUlSZ_E1_NS1_11comp_targetILNS1_3genE9ELNS1_11target_archE1100ELNS1_3gpuE3ELNS1_3repE0EEENS1_36merge_oddeven_config_static_selectorELNS0_4arch9wavefront6targetE1EEEvSL_,comdat
	.protected	_ZN7rocprim17ROCPRIM_400000_NS6detail17trampoline_kernelINS0_14default_configENS1_38merge_sort_block_merge_config_selectorIxNS0_10empty_typeEEEZZNS1_27merge_sort_block_merge_implIS3_N6thrust23THRUST_200600_302600_NS6detail15normal_iteratorINS9_10device_ptrIxEEEEPS5_jNS1_19radix_merge_compareILb0ELb1ExNS0_19identity_decomposerEEEEE10hipError_tT0_T1_T2_jT3_P12ihipStream_tbPNSt15iterator_traitsISK_E10value_typeEPNSQ_ISL_E10value_typeEPSM_NS1_7vsmem_tEENKUlT_SK_SL_SM_E_clISE_PxSF_SF_EESJ_SZ_SK_SL_SM_EUlSZ_E1_NS1_11comp_targetILNS1_3genE9ELNS1_11target_archE1100ELNS1_3gpuE3ELNS1_3repE0EEENS1_36merge_oddeven_config_static_selectorELNS0_4arch9wavefront6targetE1EEEvSL_ ; -- Begin function _ZN7rocprim17ROCPRIM_400000_NS6detail17trampoline_kernelINS0_14default_configENS1_38merge_sort_block_merge_config_selectorIxNS0_10empty_typeEEEZZNS1_27merge_sort_block_merge_implIS3_N6thrust23THRUST_200600_302600_NS6detail15normal_iteratorINS9_10device_ptrIxEEEEPS5_jNS1_19radix_merge_compareILb0ELb1ExNS0_19identity_decomposerEEEEE10hipError_tT0_T1_T2_jT3_P12ihipStream_tbPNSt15iterator_traitsISK_E10value_typeEPNSQ_ISL_E10value_typeEPSM_NS1_7vsmem_tEENKUlT_SK_SL_SM_E_clISE_PxSF_SF_EESJ_SZ_SK_SL_SM_EUlSZ_E1_NS1_11comp_targetILNS1_3genE9ELNS1_11target_archE1100ELNS1_3gpuE3ELNS1_3repE0EEENS1_36merge_oddeven_config_static_selectorELNS0_4arch9wavefront6targetE1EEEvSL_
	.globl	_ZN7rocprim17ROCPRIM_400000_NS6detail17trampoline_kernelINS0_14default_configENS1_38merge_sort_block_merge_config_selectorIxNS0_10empty_typeEEEZZNS1_27merge_sort_block_merge_implIS3_N6thrust23THRUST_200600_302600_NS6detail15normal_iteratorINS9_10device_ptrIxEEEEPS5_jNS1_19radix_merge_compareILb0ELb1ExNS0_19identity_decomposerEEEEE10hipError_tT0_T1_T2_jT3_P12ihipStream_tbPNSt15iterator_traitsISK_E10value_typeEPNSQ_ISL_E10value_typeEPSM_NS1_7vsmem_tEENKUlT_SK_SL_SM_E_clISE_PxSF_SF_EESJ_SZ_SK_SL_SM_EUlSZ_E1_NS1_11comp_targetILNS1_3genE9ELNS1_11target_archE1100ELNS1_3gpuE3ELNS1_3repE0EEENS1_36merge_oddeven_config_static_selectorELNS0_4arch9wavefront6targetE1EEEvSL_
	.p2align	8
	.type	_ZN7rocprim17ROCPRIM_400000_NS6detail17trampoline_kernelINS0_14default_configENS1_38merge_sort_block_merge_config_selectorIxNS0_10empty_typeEEEZZNS1_27merge_sort_block_merge_implIS3_N6thrust23THRUST_200600_302600_NS6detail15normal_iteratorINS9_10device_ptrIxEEEEPS5_jNS1_19radix_merge_compareILb0ELb1ExNS0_19identity_decomposerEEEEE10hipError_tT0_T1_T2_jT3_P12ihipStream_tbPNSt15iterator_traitsISK_E10value_typeEPNSQ_ISL_E10value_typeEPSM_NS1_7vsmem_tEENKUlT_SK_SL_SM_E_clISE_PxSF_SF_EESJ_SZ_SK_SL_SM_EUlSZ_E1_NS1_11comp_targetILNS1_3genE9ELNS1_11target_archE1100ELNS1_3gpuE3ELNS1_3repE0EEENS1_36merge_oddeven_config_static_selectorELNS0_4arch9wavefront6targetE1EEEvSL_,@function
_ZN7rocprim17ROCPRIM_400000_NS6detail17trampoline_kernelINS0_14default_configENS1_38merge_sort_block_merge_config_selectorIxNS0_10empty_typeEEEZZNS1_27merge_sort_block_merge_implIS3_N6thrust23THRUST_200600_302600_NS6detail15normal_iteratorINS9_10device_ptrIxEEEEPS5_jNS1_19radix_merge_compareILb0ELb1ExNS0_19identity_decomposerEEEEE10hipError_tT0_T1_T2_jT3_P12ihipStream_tbPNSt15iterator_traitsISK_E10value_typeEPNSQ_ISL_E10value_typeEPSM_NS1_7vsmem_tEENKUlT_SK_SL_SM_E_clISE_PxSF_SF_EESJ_SZ_SK_SL_SM_EUlSZ_E1_NS1_11comp_targetILNS1_3genE9ELNS1_11target_archE1100ELNS1_3gpuE3ELNS1_3repE0EEENS1_36merge_oddeven_config_static_selectorELNS0_4arch9wavefront6targetE1EEEvSL_: ; @_ZN7rocprim17ROCPRIM_400000_NS6detail17trampoline_kernelINS0_14default_configENS1_38merge_sort_block_merge_config_selectorIxNS0_10empty_typeEEEZZNS1_27merge_sort_block_merge_implIS3_N6thrust23THRUST_200600_302600_NS6detail15normal_iteratorINS9_10device_ptrIxEEEEPS5_jNS1_19radix_merge_compareILb0ELb1ExNS0_19identity_decomposerEEEEE10hipError_tT0_T1_T2_jT3_P12ihipStream_tbPNSt15iterator_traitsISK_E10value_typeEPNSQ_ISL_E10value_typeEPSM_NS1_7vsmem_tEENKUlT_SK_SL_SM_E_clISE_PxSF_SF_EESJ_SZ_SK_SL_SM_EUlSZ_E1_NS1_11comp_targetILNS1_3genE9ELNS1_11target_archE1100ELNS1_3gpuE3ELNS1_3repE0EEENS1_36merge_oddeven_config_static_selectorELNS0_4arch9wavefront6targetE1EEEvSL_
; %bb.0:
	.section	.rodata,"a",@progbits
	.p2align	6, 0x0
	.amdhsa_kernel _ZN7rocprim17ROCPRIM_400000_NS6detail17trampoline_kernelINS0_14default_configENS1_38merge_sort_block_merge_config_selectorIxNS0_10empty_typeEEEZZNS1_27merge_sort_block_merge_implIS3_N6thrust23THRUST_200600_302600_NS6detail15normal_iteratorINS9_10device_ptrIxEEEEPS5_jNS1_19radix_merge_compareILb0ELb1ExNS0_19identity_decomposerEEEEE10hipError_tT0_T1_T2_jT3_P12ihipStream_tbPNSt15iterator_traitsISK_E10value_typeEPNSQ_ISL_E10value_typeEPSM_NS1_7vsmem_tEENKUlT_SK_SL_SM_E_clISE_PxSF_SF_EESJ_SZ_SK_SL_SM_EUlSZ_E1_NS1_11comp_targetILNS1_3genE9ELNS1_11target_archE1100ELNS1_3gpuE3ELNS1_3repE0EEENS1_36merge_oddeven_config_static_selectorELNS0_4arch9wavefront6targetE1EEEvSL_
		.amdhsa_group_segment_fixed_size 0
		.amdhsa_private_segment_fixed_size 0
		.amdhsa_kernarg_size 48
		.amdhsa_user_sgpr_count 2
		.amdhsa_user_sgpr_dispatch_ptr 0
		.amdhsa_user_sgpr_queue_ptr 0
		.amdhsa_user_sgpr_kernarg_segment_ptr 1
		.amdhsa_user_sgpr_dispatch_id 0
		.amdhsa_user_sgpr_kernarg_preload_length 0
		.amdhsa_user_sgpr_kernarg_preload_offset 0
		.amdhsa_user_sgpr_private_segment_size 0
		.amdhsa_uses_dynamic_stack 0
		.amdhsa_enable_private_segment 0
		.amdhsa_system_sgpr_workgroup_id_x 1
		.amdhsa_system_sgpr_workgroup_id_y 0
		.amdhsa_system_sgpr_workgroup_id_z 0
		.amdhsa_system_sgpr_workgroup_info 0
		.amdhsa_system_vgpr_workitem_id 0
		.amdhsa_next_free_vgpr 1
		.amdhsa_next_free_sgpr 0
		.amdhsa_accum_offset 4
		.amdhsa_reserve_vcc 0
		.amdhsa_float_round_mode_32 0
		.amdhsa_float_round_mode_16_64 0
		.amdhsa_float_denorm_mode_32 3
		.amdhsa_float_denorm_mode_16_64 3
		.amdhsa_dx10_clamp 1
		.amdhsa_ieee_mode 1
		.amdhsa_fp16_overflow 0
		.amdhsa_tg_split 0
		.amdhsa_exception_fp_ieee_invalid_op 0
		.amdhsa_exception_fp_denorm_src 0
		.amdhsa_exception_fp_ieee_div_zero 0
		.amdhsa_exception_fp_ieee_overflow 0
		.amdhsa_exception_fp_ieee_underflow 0
		.amdhsa_exception_fp_ieee_inexact 0
		.amdhsa_exception_int_div_zero 0
	.end_amdhsa_kernel
	.section	.text._ZN7rocprim17ROCPRIM_400000_NS6detail17trampoline_kernelINS0_14default_configENS1_38merge_sort_block_merge_config_selectorIxNS0_10empty_typeEEEZZNS1_27merge_sort_block_merge_implIS3_N6thrust23THRUST_200600_302600_NS6detail15normal_iteratorINS9_10device_ptrIxEEEEPS5_jNS1_19radix_merge_compareILb0ELb1ExNS0_19identity_decomposerEEEEE10hipError_tT0_T1_T2_jT3_P12ihipStream_tbPNSt15iterator_traitsISK_E10value_typeEPNSQ_ISL_E10value_typeEPSM_NS1_7vsmem_tEENKUlT_SK_SL_SM_E_clISE_PxSF_SF_EESJ_SZ_SK_SL_SM_EUlSZ_E1_NS1_11comp_targetILNS1_3genE9ELNS1_11target_archE1100ELNS1_3gpuE3ELNS1_3repE0EEENS1_36merge_oddeven_config_static_selectorELNS0_4arch9wavefront6targetE1EEEvSL_,"axG",@progbits,_ZN7rocprim17ROCPRIM_400000_NS6detail17trampoline_kernelINS0_14default_configENS1_38merge_sort_block_merge_config_selectorIxNS0_10empty_typeEEEZZNS1_27merge_sort_block_merge_implIS3_N6thrust23THRUST_200600_302600_NS6detail15normal_iteratorINS9_10device_ptrIxEEEEPS5_jNS1_19radix_merge_compareILb0ELb1ExNS0_19identity_decomposerEEEEE10hipError_tT0_T1_T2_jT3_P12ihipStream_tbPNSt15iterator_traitsISK_E10value_typeEPNSQ_ISL_E10value_typeEPSM_NS1_7vsmem_tEENKUlT_SK_SL_SM_E_clISE_PxSF_SF_EESJ_SZ_SK_SL_SM_EUlSZ_E1_NS1_11comp_targetILNS1_3genE9ELNS1_11target_archE1100ELNS1_3gpuE3ELNS1_3repE0EEENS1_36merge_oddeven_config_static_selectorELNS0_4arch9wavefront6targetE1EEEvSL_,comdat
.Lfunc_end1513:
	.size	_ZN7rocprim17ROCPRIM_400000_NS6detail17trampoline_kernelINS0_14default_configENS1_38merge_sort_block_merge_config_selectorIxNS0_10empty_typeEEEZZNS1_27merge_sort_block_merge_implIS3_N6thrust23THRUST_200600_302600_NS6detail15normal_iteratorINS9_10device_ptrIxEEEEPS5_jNS1_19radix_merge_compareILb0ELb1ExNS0_19identity_decomposerEEEEE10hipError_tT0_T1_T2_jT3_P12ihipStream_tbPNSt15iterator_traitsISK_E10value_typeEPNSQ_ISL_E10value_typeEPSM_NS1_7vsmem_tEENKUlT_SK_SL_SM_E_clISE_PxSF_SF_EESJ_SZ_SK_SL_SM_EUlSZ_E1_NS1_11comp_targetILNS1_3genE9ELNS1_11target_archE1100ELNS1_3gpuE3ELNS1_3repE0EEENS1_36merge_oddeven_config_static_selectorELNS0_4arch9wavefront6targetE1EEEvSL_, .Lfunc_end1513-_ZN7rocprim17ROCPRIM_400000_NS6detail17trampoline_kernelINS0_14default_configENS1_38merge_sort_block_merge_config_selectorIxNS0_10empty_typeEEEZZNS1_27merge_sort_block_merge_implIS3_N6thrust23THRUST_200600_302600_NS6detail15normal_iteratorINS9_10device_ptrIxEEEEPS5_jNS1_19radix_merge_compareILb0ELb1ExNS0_19identity_decomposerEEEEE10hipError_tT0_T1_T2_jT3_P12ihipStream_tbPNSt15iterator_traitsISK_E10value_typeEPNSQ_ISL_E10value_typeEPSM_NS1_7vsmem_tEENKUlT_SK_SL_SM_E_clISE_PxSF_SF_EESJ_SZ_SK_SL_SM_EUlSZ_E1_NS1_11comp_targetILNS1_3genE9ELNS1_11target_archE1100ELNS1_3gpuE3ELNS1_3repE0EEENS1_36merge_oddeven_config_static_selectorELNS0_4arch9wavefront6targetE1EEEvSL_
                                        ; -- End function
	.section	.AMDGPU.csdata,"",@progbits
; Kernel info:
; codeLenInByte = 0
; NumSgprs: 6
; NumVgprs: 0
; NumAgprs: 0
; TotalNumVgprs: 0
; ScratchSize: 0
; MemoryBound: 0
; FloatMode: 240
; IeeeMode: 1
; LDSByteSize: 0 bytes/workgroup (compile time only)
; SGPRBlocks: 0
; VGPRBlocks: 0
; NumSGPRsForWavesPerEU: 6
; NumVGPRsForWavesPerEU: 1
; AccumOffset: 4
; Occupancy: 8
; WaveLimiterHint : 0
; COMPUTE_PGM_RSRC2:SCRATCH_EN: 0
; COMPUTE_PGM_RSRC2:USER_SGPR: 2
; COMPUTE_PGM_RSRC2:TRAP_HANDLER: 0
; COMPUTE_PGM_RSRC2:TGID_X_EN: 1
; COMPUTE_PGM_RSRC2:TGID_Y_EN: 0
; COMPUTE_PGM_RSRC2:TGID_Z_EN: 0
; COMPUTE_PGM_RSRC2:TIDIG_COMP_CNT: 0
; COMPUTE_PGM_RSRC3_GFX90A:ACCUM_OFFSET: 0
; COMPUTE_PGM_RSRC3_GFX90A:TG_SPLIT: 0
	.section	.text._ZN7rocprim17ROCPRIM_400000_NS6detail17trampoline_kernelINS0_14default_configENS1_38merge_sort_block_merge_config_selectorIxNS0_10empty_typeEEEZZNS1_27merge_sort_block_merge_implIS3_N6thrust23THRUST_200600_302600_NS6detail15normal_iteratorINS9_10device_ptrIxEEEEPS5_jNS1_19radix_merge_compareILb0ELb1ExNS0_19identity_decomposerEEEEE10hipError_tT0_T1_T2_jT3_P12ihipStream_tbPNSt15iterator_traitsISK_E10value_typeEPNSQ_ISL_E10value_typeEPSM_NS1_7vsmem_tEENKUlT_SK_SL_SM_E_clISE_PxSF_SF_EESJ_SZ_SK_SL_SM_EUlSZ_E1_NS1_11comp_targetILNS1_3genE8ELNS1_11target_archE1030ELNS1_3gpuE2ELNS1_3repE0EEENS1_36merge_oddeven_config_static_selectorELNS0_4arch9wavefront6targetE1EEEvSL_,"axG",@progbits,_ZN7rocprim17ROCPRIM_400000_NS6detail17trampoline_kernelINS0_14default_configENS1_38merge_sort_block_merge_config_selectorIxNS0_10empty_typeEEEZZNS1_27merge_sort_block_merge_implIS3_N6thrust23THRUST_200600_302600_NS6detail15normal_iteratorINS9_10device_ptrIxEEEEPS5_jNS1_19radix_merge_compareILb0ELb1ExNS0_19identity_decomposerEEEEE10hipError_tT0_T1_T2_jT3_P12ihipStream_tbPNSt15iterator_traitsISK_E10value_typeEPNSQ_ISL_E10value_typeEPSM_NS1_7vsmem_tEENKUlT_SK_SL_SM_E_clISE_PxSF_SF_EESJ_SZ_SK_SL_SM_EUlSZ_E1_NS1_11comp_targetILNS1_3genE8ELNS1_11target_archE1030ELNS1_3gpuE2ELNS1_3repE0EEENS1_36merge_oddeven_config_static_selectorELNS0_4arch9wavefront6targetE1EEEvSL_,comdat
	.protected	_ZN7rocprim17ROCPRIM_400000_NS6detail17trampoline_kernelINS0_14default_configENS1_38merge_sort_block_merge_config_selectorIxNS0_10empty_typeEEEZZNS1_27merge_sort_block_merge_implIS3_N6thrust23THRUST_200600_302600_NS6detail15normal_iteratorINS9_10device_ptrIxEEEEPS5_jNS1_19radix_merge_compareILb0ELb1ExNS0_19identity_decomposerEEEEE10hipError_tT0_T1_T2_jT3_P12ihipStream_tbPNSt15iterator_traitsISK_E10value_typeEPNSQ_ISL_E10value_typeEPSM_NS1_7vsmem_tEENKUlT_SK_SL_SM_E_clISE_PxSF_SF_EESJ_SZ_SK_SL_SM_EUlSZ_E1_NS1_11comp_targetILNS1_3genE8ELNS1_11target_archE1030ELNS1_3gpuE2ELNS1_3repE0EEENS1_36merge_oddeven_config_static_selectorELNS0_4arch9wavefront6targetE1EEEvSL_ ; -- Begin function _ZN7rocprim17ROCPRIM_400000_NS6detail17trampoline_kernelINS0_14default_configENS1_38merge_sort_block_merge_config_selectorIxNS0_10empty_typeEEEZZNS1_27merge_sort_block_merge_implIS3_N6thrust23THRUST_200600_302600_NS6detail15normal_iteratorINS9_10device_ptrIxEEEEPS5_jNS1_19radix_merge_compareILb0ELb1ExNS0_19identity_decomposerEEEEE10hipError_tT0_T1_T2_jT3_P12ihipStream_tbPNSt15iterator_traitsISK_E10value_typeEPNSQ_ISL_E10value_typeEPSM_NS1_7vsmem_tEENKUlT_SK_SL_SM_E_clISE_PxSF_SF_EESJ_SZ_SK_SL_SM_EUlSZ_E1_NS1_11comp_targetILNS1_3genE8ELNS1_11target_archE1030ELNS1_3gpuE2ELNS1_3repE0EEENS1_36merge_oddeven_config_static_selectorELNS0_4arch9wavefront6targetE1EEEvSL_
	.globl	_ZN7rocprim17ROCPRIM_400000_NS6detail17trampoline_kernelINS0_14default_configENS1_38merge_sort_block_merge_config_selectorIxNS0_10empty_typeEEEZZNS1_27merge_sort_block_merge_implIS3_N6thrust23THRUST_200600_302600_NS6detail15normal_iteratorINS9_10device_ptrIxEEEEPS5_jNS1_19radix_merge_compareILb0ELb1ExNS0_19identity_decomposerEEEEE10hipError_tT0_T1_T2_jT3_P12ihipStream_tbPNSt15iterator_traitsISK_E10value_typeEPNSQ_ISL_E10value_typeEPSM_NS1_7vsmem_tEENKUlT_SK_SL_SM_E_clISE_PxSF_SF_EESJ_SZ_SK_SL_SM_EUlSZ_E1_NS1_11comp_targetILNS1_3genE8ELNS1_11target_archE1030ELNS1_3gpuE2ELNS1_3repE0EEENS1_36merge_oddeven_config_static_selectorELNS0_4arch9wavefront6targetE1EEEvSL_
	.p2align	8
	.type	_ZN7rocprim17ROCPRIM_400000_NS6detail17trampoline_kernelINS0_14default_configENS1_38merge_sort_block_merge_config_selectorIxNS0_10empty_typeEEEZZNS1_27merge_sort_block_merge_implIS3_N6thrust23THRUST_200600_302600_NS6detail15normal_iteratorINS9_10device_ptrIxEEEEPS5_jNS1_19radix_merge_compareILb0ELb1ExNS0_19identity_decomposerEEEEE10hipError_tT0_T1_T2_jT3_P12ihipStream_tbPNSt15iterator_traitsISK_E10value_typeEPNSQ_ISL_E10value_typeEPSM_NS1_7vsmem_tEENKUlT_SK_SL_SM_E_clISE_PxSF_SF_EESJ_SZ_SK_SL_SM_EUlSZ_E1_NS1_11comp_targetILNS1_3genE8ELNS1_11target_archE1030ELNS1_3gpuE2ELNS1_3repE0EEENS1_36merge_oddeven_config_static_selectorELNS0_4arch9wavefront6targetE1EEEvSL_,@function
_ZN7rocprim17ROCPRIM_400000_NS6detail17trampoline_kernelINS0_14default_configENS1_38merge_sort_block_merge_config_selectorIxNS0_10empty_typeEEEZZNS1_27merge_sort_block_merge_implIS3_N6thrust23THRUST_200600_302600_NS6detail15normal_iteratorINS9_10device_ptrIxEEEEPS5_jNS1_19radix_merge_compareILb0ELb1ExNS0_19identity_decomposerEEEEE10hipError_tT0_T1_T2_jT3_P12ihipStream_tbPNSt15iterator_traitsISK_E10value_typeEPNSQ_ISL_E10value_typeEPSM_NS1_7vsmem_tEENKUlT_SK_SL_SM_E_clISE_PxSF_SF_EESJ_SZ_SK_SL_SM_EUlSZ_E1_NS1_11comp_targetILNS1_3genE8ELNS1_11target_archE1030ELNS1_3gpuE2ELNS1_3repE0EEENS1_36merge_oddeven_config_static_selectorELNS0_4arch9wavefront6targetE1EEEvSL_: ; @_ZN7rocprim17ROCPRIM_400000_NS6detail17trampoline_kernelINS0_14default_configENS1_38merge_sort_block_merge_config_selectorIxNS0_10empty_typeEEEZZNS1_27merge_sort_block_merge_implIS3_N6thrust23THRUST_200600_302600_NS6detail15normal_iteratorINS9_10device_ptrIxEEEEPS5_jNS1_19radix_merge_compareILb0ELb1ExNS0_19identity_decomposerEEEEE10hipError_tT0_T1_T2_jT3_P12ihipStream_tbPNSt15iterator_traitsISK_E10value_typeEPNSQ_ISL_E10value_typeEPSM_NS1_7vsmem_tEENKUlT_SK_SL_SM_E_clISE_PxSF_SF_EESJ_SZ_SK_SL_SM_EUlSZ_E1_NS1_11comp_targetILNS1_3genE8ELNS1_11target_archE1030ELNS1_3gpuE2ELNS1_3repE0EEENS1_36merge_oddeven_config_static_selectorELNS0_4arch9wavefront6targetE1EEEvSL_
; %bb.0:
	.section	.rodata,"a",@progbits
	.p2align	6, 0x0
	.amdhsa_kernel _ZN7rocprim17ROCPRIM_400000_NS6detail17trampoline_kernelINS0_14default_configENS1_38merge_sort_block_merge_config_selectorIxNS0_10empty_typeEEEZZNS1_27merge_sort_block_merge_implIS3_N6thrust23THRUST_200600_302600_NS6detail15normal_iteratorINS9_10device_ptrIxEEEEPS5_jNS1_19radix_merge_compareILb0ELb1ExNS0_19identity_decomposerEEEEE10hipError_tT0_T1_T2_jT3_P12ihipStream_tbPNSt15iterator_traitsISK_E10value_typeEPNSQ_ISL_E10value_typeEPSM_NS1_7vsmem_tEENKUlT_SK_SL_SM_E_clISE_PxSF_SF_EESJ_SZ_SK_SL_SM_EUlSZ_E1_NS1_11comp_targetILNS1_3genE8ELNS1_11target_archE1030ELNS1_3gpuE2ELNS1_3repE0EEENS1_36merge_oddeven_config_static_selectorELNS0_4arch9wavefront6targetE1EEEvSL_
		.amdhsa_group_segment_fixed_size 0
		.amdhsa_private_segment_fixed_size 0
		.amdhsa_kernarg_size 48
		.amdhsa_user_sgpr_count 2
		.amdhsa_user_sgpr_dispatch_ptr 0
		.amdhsa_user_sgpr_queue_ptr 0
		.amdhsa_user_sgpr_kernarg_segment_ptr 1
		.amdhsa_user_sgpr_dispatch_id 0
		.amdhsa_user_sgpr_kernarg_preload_length 0
		.amdhsa_user_sgpr_kernarg_preload_offset 0
		.amdhsa_user_sgpr_private_segment_size 0
		.amdhsa_uses_dynamic_stack 0
		.amdhsa_enable_private_segment 0
		.amdhsa_system_sgpr_workgroup_id_x 1
		.amdhsa_system_sgpr_workgroup_id_y 0
		.amdhsa_system_sgpr_workgroup_id_z 0
		.amdhsa_system_sgpr_workgroup_info 0
		.amdhsa_system_vgpr_workitem_id 0
		.amdhsa_next_free_vgpr 1
		.amdhsa_next_free_sgpr 0
		.amdhsa_accum_offset 4
		.amdhsa_reserve_vcc 0
		.amdhsa_float_round_mode_32 0
		.amdhsa_float_round_mode_16_64 0
		.amdhsa_float_denorm_mode_32 3
		.amdhsa_float_denorm_mode_16_64 3
		.amdhsa_dx10_clamp 1
		.amdhsa_ieee_mode 1
		.amdhsa_fp16_overflow 0
		.amdhsa_tg_split 0
		.amdhsa_exception_fp_ieee_invalid_op 0
		.amdhsa_exception_fp_denorm_src 0
		.amdhsa_exception_fp_ieee_div_zero 0
		.amdhsa_exception_fp_ieee_overflow 0
		.amdhsa_exception_fp_ieee_underflow 0
		.amdhsa_exception_fp_ieee_inexact 0
		.amdhsa_exception_int_div_zero 0
	.end_amdhsa_kernel
	.section	.text._ZN7rocprim17ROCPRIM_400000_NS6detail17trampoline_kernelINS0_14default_configENS1_38merge_sort_block_merge_config_selectorIxNS0_10empty_typeEEEZZNS1_27merge_sort_block_merge_implIS3_N6thrust23THRUST_200600_302600_NS6detail15normal_iteratorINS9_10device_ptrIxEEEEPS5_jNS1_19radix_merge_compareILb0ELb1ExNS0_19identity_decomposerEEEEE10hipError_tT0_T1_T2_jT3_P12ihipStream_tbPNSt15iterator_traitsISK_E10value_typeEPNSQ_ISL_E10value_typeEPSM_NS1_7vsmem_tEENKUlT_SK_SL_SM_E_clISE_PxSF_SF_EESJ_SZ_SK_SL_SM_EUlSZ_E1_NS1_11comp_targetILNS1_3genE8ELNS1_11target_archE1030ELNS1_3gpuE2ELNS1_3repE0EEENS1_36merge_oddeven_config_static_selectorELNS0_4arch9wavefront6targetE1EEEvSL_,"axG",@progbits,_ZN7rocprim17ROCPRIM_400000_NS6detail17trampoline_kernelINS0_14default_configENS1_38merge_sort_block_merge_config_selectorIxNS0_10empty_typeEEEZZNS1_27merge_sort_block_merge_implIS3_N6thrust23THRUST_200600_302600_NS6detail15normal_iteratorINS9_10device_ptrIxEEEEPS5_jNS1_19radix_merge_compareILb0ELb1ExNS0_19identity_decomposerEEEEE10hipError_tT0_T1_T2_jT3_P12ihipStream_tbPNSt15iterator_traitsISK_E10value_typeEPNSQ_ISL_E10value_typeEPSM_NS1_7vsmem_tEENKUlT_SK_SL_SM_E_clISE_PxSF_SF_EESJ_SZ_SK_SL_SM_EUlSZ_E1_NS1_11comp_targetILNS1_3genE8ELNS1_11target_archE1030ELNS1_3gpuE2ELNS1_3repE0EEENS1_36merge_oddeven_config_static_selectorELNS0_4arch9wavefront6targetE1EEEvSL_,comdat
.Lfunc_end1514:
	.size	_ZN7rocprim17ROCPRIM_400000_NS6detail17trampoline_kernelINS0_14default_configENS1_38merge_sort_block_merge_config_selectorIxNS0_10empty_typeEEEZZNS1_27merge_sort_block_merge_implIS3_N6thrust23THRUST_200600_302600_NS6detail15normal_iteratorINS9_10device_ptrIxEEEEPS5_jNS1_19radix_merge_compareILb0ELb1ExNS0_19identity_decomposerEEEEE10hipError_tT0_T1_T2_jT3_P12ihipStream_tbPNSt15iterator_traitsISK_E10value_typeEPNSQ_ISL_E10value_typeEPSM_NS1_7vsmem_tEENKUlT_SK_SL_SM_E_clISE_PxSF_SF_EESJ_SZ_SK_SL_SM_EUlSZ_E1_NS1_11comp_targetILNS1_3genE8ELNS1_11target_archE1030ELNS1_3gpuE2ELNS1_3repE0EEENS1_36merge_oddeven_config_static_selectorELNS0_4arch9wavefront6targetE1EEEvSL_, .Lfunc_end1514-_ZN7rocprim17ROCPRIM_400000_NS6detail17trampoline_kernelINS0_14default_configENS1_38merge_sort_block_merge_config_selectorIxNS0_10empty_typeEEEZZNS1_27merge_sort_block_merge_implIS3_N6thrust23THRUST_200600_302600_NS6detail15normal_iteratorINS9_10device_ptrIxEEEEPS5_jNS1_19radix_merge_compareILb0ELb1ExNS0_19identity_decomposerEEEEE10hipError_tT0_T1_T2_jT3_P12ihipStream_tbPNSt15iterator_traitsISK_E10value_typeEPNSQ_ISL_E10value_typeEPSM_NS1_7vsmem_tEENKUlT_SK_SL_SM_E_clISE_PxSF_SF_EESJ_SZ_SK_SL_SM_EUlSZ_E1_NS1_11comp_targetILNS1_3genE8ELNS1_11target_archE1030ELNS1_3gpuE2ELNS1_3repE0EEENS1_36merge_oddeven_config_static_selectorELNS0_4arch9wavefront6targetE1EEEvSL_
                                        ; -- End function
	.section	.AMDGPU.csdata,"",@progbits
; Kernel info:
; codeLenInByte = 0
; NumSgprs: 6
; NumVgprs: 0
; NumAgprs: 0
; TotalNumVgprs: 0
; ScratchSize: 0
; MemoryBound: 0
; FloatMode: 240
; IeeeMode: 1
; LDSByteSize: 0 bytes/workgroup (compile time only)
; SGPRBlocks: 0
; VGPRBlocks: 0
; NumSGPRsForWavesPerEU: 6
; NumVGPRsForWavesPerEU: 1
; AccumOffset: 4
; Occupancy: 8
; WaveLimiterHint : 0
; COMPUTE_PGM_RSRC2:SCRATCH_EN: 0
; COMPUTE_PGM_RSRC2:USER_SGPR: 2
; COMPUTE_PGM_RSRC2:TRAP_HANDLER: 0
; COMPUTE_PGM_RSRC2:TGID_X_EN: 1
; COMPUTE_PGM_RSRC2:TGID_Y_EN: 0
; COMPUTE_PGM_RSRC2:TGID_Z_EN: 0
; COMPUTE_PGM_RSRC2:TIDIG_COMP_CNT: 0
; COMPUTE_PGM_RSRC3_GFX90A:ACCUM_OFFSET: 0
; COMPUTE_PGM_RSRC3_GFX90A:TG_SPLIT: 0
	.section	.text._ZN7rocprim17ROCPRIM_400000_NS6detail17trampoline_kernelINS0_14default_configENS1_35radix_sort_onesweep_config_selectorIxNS0_10empty_typeEEEZNS1_34radix_sort_onesweep_global_offsetsIS3_Lb0EN6thrust23THRUST_200600_302600_NS6detail15normal_iteratorINS9_10device_ptrIxEEEEPS5_jNS0_19identity_decomposerEEE10hipError_tT1_T2_PT3_SK_jT4_jjP12ihipStream_tbEUlT_E_NS1_11comp_targetILNS1_3genE0ELNS1_11target_archE4294967295ELNS1_3gpuE0ELNS1_3repE0EEENS1_52radix_sort_onesweep_histogram_config_static_selectorELNS0_4arch9wavefront6targetE1EEEvSI_,"axG",@progbits,_ZN7rocprim17ROCPRIM_400000_NS6detail17trampoline_kernelINS0_14default_configENS1_35radix_sort_onesweep_config_selectorIxNS0_10empty_typeEEEZNS1_34radix_sort_onesweep_global_offsetsIS3_Lb0EN6thrust23THRUST_200600_302600_NS6detail15normal_iteratorINS9_10device_ptrIxEEEEPS5_jNS0_19identity_decomposerEEE10hipError_tT1_T2_PT3_SK_jT4_jjP12ihipStream_tbEUlT_E_NS1_11comp_targetILNS1_3genE0ELNS1_11target_archE4294967295ELNS1_3gpuE0ELNS1_3repE0EEENS1_52radix_sort_onesweep_histogram_config_static_selectorELNS0_4arch9wavefront6targetE1EEEvSI_,comdat
	.protected	_ZN7rocprim17ROCPRIM_400000_NS6detail17trampoline_kernelINS0_14default_configENS1_35radix_sort_onesweep_config_selectorIxNS0_10empty_typeEEEZNS1_34radix_sort_onesweep_global_offsetsIS3_Lb0EN6thrust23THRUST_200600_302600_NS6detail15normal_iteratorINS9_10device_ptrIxEEEEPS5_jNS0_19identity_decomposerEEE10hipError_tT1_T2_PT3_SK_jT4_jjP12ihipStream_tbEUlT_E_NS1_11comp_targetILNS1_3genE0ELNS1_11target_archE4294967295ELNS1_3gpuE0ELNS1_3repE0EEENS1_52radix_sort_onesweep_histogram_config_static_selectorELNS0_4arch9wavefront6targetE1EEEvSI_ ; -- Begin function _ZN7rocprim17ROCPRIM_400000_NS6detail17trampoline_kernelINS0_14default_configENS1_35radix_sort_onesweep_config_selectorIxNS0_10empty_typeEEEZNS1_34radix_sort_onesweep_global_offsetsIS3_Lb0EN6thrust23THRUST_200600_302600_NS6detail15normal_iteratorINS9_10device_ptrIxEEEEPS5_jNS0_19identity_decomposerEEE10hipError_tT1_T2_PT3_SK_jT4_jjP12ihipStream_tbEUlT_E_NS1_11comp_targetILNS1_3genE0ELNS1_11target_archE4294967295ELNS1_3gpuE0ELNS1_3repE0EEENS1_52radix_sort_onesweep_histogram_config_static_selectorELNS0_4arch9wavefront6targetE1EEEvSI_
	.globl	_ZN7rocprim17ROCPRIM_400000_NS6detail17trampoline_kernelINS0_14default_configENS1_35radix_sort_onesweep_config_selectorIxNS0_10empty_typeEEEZNS1_34radix_sort_onesweep_global_offsetsIS3_Lb0EN6thrust23THRUST_200600_302600_NS6detail15normal_iteratorINS9_10device_ptrIxEEEEPS5_jNS0_19identity_decomposerEEE10hipError_tT1_T2_PT3_SK_jT4_jjP12ihipStream_tbEUlT_E_NS1_11comp_targetILNS1_3genE0ELNS1_11target_archE4294967295ELNS1_3gpuE0ELNS1_3repE0EEENS1_52radix_sort_onesweep_histogram_config_static_selectorELNS0_4arch9wavefront6targetE1EEEvSI_
	.p2align	8
	.type	_ZN7rocprim17ROCPRIM_400000_NS6detail17trampoline_kernelINS0_14default_configENS1_35radix_sort_onesweep_config_selectorIxNS0_10empty_typeEEEZNS1_34radix_sort_onesweep_global_offsetsIS3_Lb0EN6thrust23THRUST_200600_302600_NS6detail15normal_iteratorINS9_10device_ptrIxEEEEPS5_jNS0_19identity_decomposerEEE10hipError_tT1_T2_PT3_SK_jT4_jjP12ihipStream_tbEUlT_E_NS1_11comp_targetILNS1_3genE0ELNS1_11target_archE4294967295ELNS1_3gpuE0ELNS1_3repE0EEENS1_52radix_sort_onesweep_histogram_config_static_selectorELNS0_4arch9wavefront6targetE1EEEvSI_,@function
_ZN7rocprim17ROCPRIM_400000_NS6detail17trampoline_kernelINS0_14default_configENS1_35radix_sort_onesweep_config_selectorIxNS0_10empty_typeEEEZNS1_34radix_sort_onesweep_global_offsetsIS3_Lb0EN6thrust23THRUST_200600_302600_NS6detail15normal_iteratorINS9_10device_ptrIxEEEEPS5_jNS0_19identity_decomposerEEE10hipError_tT1_T2_PT3_SK_jT4_jjP12ihipStream_tbEUlT_E_NS1_11comp_targetILNS1_3genE0ELNS1_11target_archE4294967295ELNS1_3gpuE0ELNS1_3repE0EEENS1_52radix_sort_onesweep_histogram_config_static_selectorELNS0_4arch9wavefront6targetE1EEEvSI_: ; @_ZN7rocprim17ROCPRIM_400000_NS6detail17trampoline_kernelINS0_14default_configENS1_35radix_sort_onesweep_config_selectorIxNS0_10empty_typeEEEZNS1_34radix_sort_onesweep_global_offsetsIS3_Lb0EN6thrust23THRUST_200600_302600_NS6detail15normal_iteratorINS9_10device_ptrIxEEEEPS5_jNS0_19identity_decomposerEEE10hipError_tT1_T2_PT3_SK_jT4_jjP12ihipStream_tbEUlT_E_NS1_11comp_targetILNS1_3genE0ELNS1_11target_archE4294967295ELNS1_3gpuE0ELNS1_3repE0EEENS1_52radix_sort_onesweep_histogram_config_static_selectorELNS0_4arch9wavefront6targetE1EEEvSI_
; %bb.0:
	.section	.rodata,"a",@progbits
	.p2align	6, 0x0
	.amdhsa_kernel _ZN7rocprim17ROCPRIM_400000_NS6detail17trampoline_kernelINS0_14default_configENS1_35radix_sort_onesweep_config_selectorIxNS0_10empty_typeEEEZNS1_34radix_sort_onesweep_global_offsetsIS3_Lb0EN6thrust23THRUST_200600_302600_NS6detail15normal_iteratorINS9_10device_ptrIxEEEEPS5_jNS0_19identity_decomposerEEE10hipError_tT1_T2_PT3_SK_jT4_jjP12ihipStream_tbEUlT_E_NS1_11comp_targetILNS1_3genE0ELNS1_11target_archE4294967295ELNS1_3gpuE0ELNS1_3repE0EEENS1_52radix_sort_onesweep_histogram_config_static_selectorELNS0_4arch9wavefront6targetE1EEEvSI_
		.amdhsa_group_segment_fixed_size 0
		.amdhsa_private_segment_fixed_size 0
		.amdhsa_kernarg_size 40
		.amdhsa_user_sgpr_count 2
		.amdhsa_user_sgpr_dispatch_ptr 0
		.amdhsa_user_sgpr_queue_ptr 0
		.amdhsa_user_sgpr_kernarg_segment_ptr 1
		.amdhsa_user_sgpr_dispatch_id 0
		.amdhsa_user_sgpr_kernarg_preload_length 0
		.amdhsa_user_sgpr_kernarg_preload_offset 0
		.amdhsa_user_sgpr_private_segment_size 0
		.amdhsa_uses_dynamic_stack 0
		.amdhsa_enable_private_segment 0
		.amdhsa_system_sgpr_workgroup_id_x 1
		.amdhsa_system_sgpr_workgroup_id_y 0
		.amdhsa_system_sgpr_workgroup_id_z 0
		.amdhsa_system_sgpr_workgroup_info 0
		.amdhsa_system_vgpr_workitem_id 0
		.amdhsa_next_free_vgpr 1
		.amdhsa_next_free_sgpr 0
		.amdhsa_accum_offset 4
		.amdhsa_reserve_vcc 0
		.amdhsa_float_round_mode_32 0
		.amdhsa_float_round_mode_16_64 0
		.amdhsa_float_denorm_mode_32 3
		.amdhsa_float_denorm_mode_16_64 3
		.amdhsa_dx10_clamp 1
		.amdhsa_ieee_mode 1
		.amdhsa_fp16_overflow 0
		.amdhsa_tg_split 0
		.amdhsa_exception_fp_ieee_invalid_op 0
		.amdhsa_exception_fp_denorm_src 0
		.amdhsa_exception_fp_ieee_div_zero 0
		.amdhsa_exception_fp_ieee_overflow 0
		.amdhsa_exception_fp_ieee_underflow 0
		.amdhsa_exception_fp_ieee_inexact 0
		.amdhsa_exception_int_div_zero 0
	.end_amdhsa_kernel
	.section	.text._ZN7rocprim17ROCPRIM_400000_NS6detail17trampoline_kernelINS0_14default_configENS1_35radix_sort_onesweep_config_selectorIxNS0_10empty_typeEEEZNS1_34radix_sort_onesweep_global_offsetsIS3_Lb0EN6thrust23THRUST_200600_302600_NS6detail15normal_iteratorINS9_10device_ptrIxEEEEPS5_jNS0_19identity_decomposerEEE10hipError_tT1_T2_PT3_SK_jT4_jjP12ihipStream_tbEUlT_E_NS1_11comp_targetILNS1_3genE0ELNS1_11target_archE4294967295ELNS1_3gpuE0ELNS1_3repE0EEENS1_52radix_sort_onesweep_histogram_config_static_selectorELNS0_4arch9wavefront6targetE1EEEvSI_,"axG",@progbits,_ZN7rocprim17ROCPRIM_400000_NS6detail17trampoline_kernelINS0_14default_configENS1_35radix_sort_onesweep_config_selectorIxNS0_10empty_typeEEEZNS1_34radix_sort_onesweep_global_offsetsIS3_Lb0EN6thrust23THRUST_200600_302600_NS6detail15normal_iteratorINS9_10device_ptrIxEEEEPS5_jNS0_19identity_decomposerEEE10hipError_tT1_T2_PT3_SK_jT4_jjP12ihipStream_tbEUlT_E_NS1_11comp_targetILNS1_3genE0ELNS1_11target_archE4294967295ELNS1_3gpuE0ELNS1_3repE0EEENS1_52radix_sort_onesweep_histogram_config_static_selectorELNS0_4arch9wavefront6targetE1EEEvSI_,comdat
.Lfunc_end1515:
	.size	_ZN7rocprim17ROCPRIM_400000_NS6detail17trampoline_kernelINS0_14default_configENS1_35radix_sort_onesweep_config_selectorIxNS0_10empty_typeEEEZNS1_34radix_sort_onesweep_global_offsetsIS3_Lb0EN6thrust23THRUST_200600_302600_NS6detail15normal_iteratorINS9_10device_ptrIxEEEEPS5_jNS0_19identity_decomposerEEE10hipError_tT1_T2_PT3_SK_jT4_jjP12ihipStream_tbEUlT_E_NS1_11comp_targetILNS1_3genE0ELNS1_11target_archE4294967295ELNS1_3gpuE0ELNS1_3repE0EEENS1_52radix_sort_onesweep_histogram_config_static_selectorELNS0_4arch9wavefront6targetE1EEEvSI_, .Lfunc_end1515-_ZN7rocprim17ROCPRIM_400000_NS6detail17trampoline_kernelINS0_14default_configENS1_35radix_sort_onesweep_config_selectorIxNS0_10empty_typeEEEZNS1_34radix_sort_onesweep_global_offsetsIS3_Lb0EN6thrust23THRUST_200600_302600_NS6detail15normal_iteratorINS9_10device_ptrIxEEEEPS5_jNS0_19identity_decomposerEEE10hipError_tT1_T2_PT3_SK_jT4_jjP12ihipStream_tbEUlT_E_NS1_11comp_targetILNS1_3genE0ELNS1_11target_archE4294967295ELNS1_3gpuE0ELNS1_3repE0EEENS1_52radix_sort_onesweep_histogram_config_static_selectorELNS0_4arch9wavefront6targetE1EEEvSI_
                                        ; -- End function
	.section	.AMDGPU.csdata,"",@progbits
; Kernel info:
; codeLenInByte = 0
; NumSgprs: 6
; NumVgprs: 0
; NumAgprs: 0
; TotalNumVgprs: 0
; ScratchSize: 0
; MemoryBound: 0
; FloatMode: 240
; IeeeMode: 1
; LDSByteSize: 0 bytes/workgroup (compile time only)
; SGPRBlocks: 0
; VGPRBlocks: 0
; NumSGPRsForWavesPerEU: 6
; NumVGPRsForWavesPerEU: 1
; AccumOffset: 4
; Occupancy: 8
; WaveLimiterHint : 0
; COMPUTE_PGM_RSRC2:SCRATCH_EN: 0
; COMPUTE_PGM_RSRC2:USER_SGPR: 2
; COMPUTE_PGM_RSRC2:TRAP_HANDLER: 0
; COMPUTE_PGM_RSRC2:TGID_X_EN: 1
; COMPUTE_PGM_RSRC2:TGID_Y_EN: 0
; COMPUTE_PGM_RSRC2:TGID_Z_EN: 0
; COMPUTE_PGM_RSRC2:TIDIG_COMP_CNT: 0
; COMPUTE_PGM_RSRC3_GFX90A:ACCUM_OFFSET: 0
; COMPUTE_PGM_RSRC3_GFX90A:TG_SPLIT: 0
	.section	.text._ZN7rocprim17ROCPRIM_400000_NS6detail17trampoline_kernelINS0_14default_configENS1_35radix_sort_onesweep_config_selectorIxNS0_10empty_typeEEEZNS1_34radix_sort_onesweep_global_offsetsIS3_Lb0EN6thrust23THRUST_200600_302600_NS6detail15normal_iteratorINS9_10device_ptrIxEEEEPS5_jNS0_19identity_decomposerEEE10hipError_tT1_T2_PT3_SK_jT4_jjP12ihipStream_tbEUlT_E_NS1_11comp_targetILNS1_3genE6ELNS1_11target_archE950ELNS1_3gpuE13ELNS1_3repE0EEENS1_52radix_sort_onesweep_histogram_config_static_selectorELNS0_4arch9wavefront6targetE1EEEvSI_,"axG",@progbits,_ZN7rocprim17ROCPRIM_400000_NS6detail17trampoline_kernelINS0_14default_configENS1_35radix_sort_onesweep_config_selectorIxNS0_10empty_typeEEEZNS1_34radix_sort_onesweep_global_offsetsIS3_Lb0EN6thrust23THRUST_200600_302600_NS6detail15normal_iteratorINS9_10device_ptrIxEEEEPS5_jNS0_19identity_decomposerEEE10hipError_tT1_T2_PT3_SK_jT4_jjP12ihipStream_tbEUlT_E_NS1_11comp_targetILNS1_3genE6ELNS1_11target_archE950ELNS1_3gpuE13ELNS1_3repE0EEENS1_52radix_sort_onesweep_histogram_config_static_selectorELNS0_4arch9wavefront6targetE1EEEvSI_,comdat
	.protected	_ZN7rocprim17ROCPRIM_400000_NS6detail17trampoline_kernelINS0_14default_configENS1_35radix_sort_onesweep_config_selectorIxNS0_10empty_typeEEEZNS1_34radix_sort_onesweep_global_offsetsIS3_Lb0EN6thrust23THRUST_200600_302600_NS6detail15normal_iteratorINS9_10device_ptrIxEEEEPS5_jNS0_19identity_decomposerEEE10hipError_tT1_T2_PT3_SK_jT4_jjP12ihipStream_tbEUlT_E_NS1_11comp_targetILNS1_3genE6ELNS1_11target_archE950ELNS1_3gpuE13ELNS1_3repE0EEENS1_52radix_sort_onesweep_histogram_config_static_selectorELNS0_4arch9wavefront6targetE1EEEvSI_ ; -- Begin function _ZN7rocprim17ROCPRIM_400000_NS6detail17trampoline_kernelINS0_14default_configENS1_35radix_sort_onesweep_config_selectorIxNS0_10empty_typeEEEZNS1_34radix_sort_onesweep_global_offsetsIS3_Lb0EN6thrust23THRUST_200600_302600_NS6detail15normal_iteratorINS9_10device_ptrIxEEEEPS5_jNS0_19identity_decomposerEEE10hipError_tT1_T2_PT3_SK_jT4_jjP12ihipStream_tbEUlT_E_NS1_11comp_targetILNS1_3genE6ELNS1_11target_archE950ELNS1_3gpuE13ELNS1_3repE0EEENS1_52radix_sort_onesweep_histogram_config_static_selectorELNS0_4arch9wavefront6targetE1EEEvSI_
	.globl	_ZN7rocprim17ROCPRIM_400000_NS6detail17trampoline_kernelINS0_14default_configENS1_35radix_sort_onesweep_config_selectorIxNS0_10empty_typeEEEZNS1_34radix_sort_onesweep_global_offsetsIS3_Lb0EN6thrust23THRUST_200600_302600_NS6detail15normal_iteratorINS9_10device_ptrIxEEEEPS5_jNS0_19identity_decomposerEEE10hipError_tT1_T2_PT3_SK_jT4_jjP12ihipStream_tbEUlT_E_NS1_11comp_targetILNS1_3genE6ELNS1_11target_archE950ELNS1_3gpuE13ELNS1_3repE0EEENS1_52radix_sort_onesweep_histogram_config_static_selectorELNS0_4arch9wavefront6targetE1EEEvSI_
	.p2align	8
	.type	_ZN7rocprim17ROCPRIM_400000_NS6detail17trampoline_kernelINS0_14default_configENS1_35radix_sort_onesweep_config_selectorIxNS0_10empty_typeEEEZNS1_34radix_sort_onesweep_global_offsetsIS3_Lb0EN6thrust23THRUST_200600_302600_NS6detail15normal_iteratorINS9_10device_ptrIxEEEEPS5_jNS0_19identity_decomposerEEE10hipError_tT1_T2_PT3_SK_jT4_jjP12ihipStream_tbEUlT_E_NS1_11comp_targetILNS1_3genE6ELNS1_11target_archE950ELNS1_3gpuE13ELNS1_3repE0EEENS1_52radix_sort_onesweep_histogram_config_static_selectorELNS0_4arch9wavefront6targetE1EEEvSI_,@function
_ZN7rocprim17ROCPRIM_400000_NS6detail17trampoline_kernelINS0_14default_configENS1_35radix_sort_onesweep_config_selectorIxNS0_10empty_typeEEEZNS1_34radix_sort_onesweep_global_offsetsIS3_Lb0EN6thrust23THRUST_200600_302600_NS6detail15normal_iteratorINS9_10device_ptrIxEEEEPS5_jNS0_19identity_decomposerEEE10hipError_tT1_T2_PT3_SK_jT4_jjP12ihipStream_tbEUlT_E_NS1_11comp_targetILNS1_3genE6ELNS1_11target_archE950ELNS1_3gpuE13ELNS1_3repE0EEENS1_52radix_sort_onesweep_histogram_config_static_selectorELNS0_4arch9wavefront6targetE1EEEvSI_: ; @_ZN7rocprim17ROCPRIM_400000_NS6detail17trampoline_kernelINS0_14default_configENS1_35radix_sort_onesweep_config_selectorIxNS0_10empty_typeEEEZNS1_34radix_sort_onesweep_global_offsetsIS3_Lb0EN6thrust23THRUST_200600_302600_NS6detail15normal_iteratorINS9_10device_ptrIxEEEEPS5_jNS0_19identity_decomposerEEE10hipError_tT1_T2_PT3_SK_jT4_jjP12ihipStream_tbEUlT_E_NS1_11comp_targetILNS1_3genE6ELNS1_11target_archE950ELNS1_3gpuE13ELNS1_3repE0EEENS1_52radix_sort_onesweep_histogram_config_static_selectorELNS0_4arch9wavefront6targetE1EEEvSI_
; %bb.0:
	.section	.rodata,"a",@progbits
	.p2align	6, 0x0
	.amdhsa_kernel _ZN7rocprim17ROCPRIM_400000_NS6detail17trampoline_kernelINS0_14default_configENS1_35radix_sort_onesweep_config_selectorIxNS0_10empty_typeEEEZNS1_34radix_sort_onesweep_global_offsetsIS3_Lb0EN6thrust23THRUST_200600_302600_NS6detail15normal_iteratorINS9_10device_ptrIxEEEEPS5_jNS0_19identity_decomposerEEE10hipError_tT1_T2_PT3_SK_jT4_jjP12ihipStream_tbEUlT_E_NS1_11comp_targetILNS1_3genE6ELNS1_11target_archE950ELNS1_3gpuE13ELNS1_3repE0EEENS1_52radix_sort_onesweep_histogram_config_static_selectorELNS0_4arch9wavefront6targetE1EEEvSI_
		.amdhsa_group_segment_fixed_size 0
		.amdhsa_private_segment_fixed_size 0
		.amdhsa_kernarg_size 40
		.amdhsa_user_sgpr_count 2
		.amdhsa_user_sgpr_dispatch_ptr 0
		.amdhsa_user_sgpr_queue_ptr 0
		.amdhsa_user_sgpr_kernarg_segment_ptr 1
		.amdhsa_user_sgpr_dispatch_id 0
		.amdhsa_user_sgpr_kernarg_preload_length 0
		.amdhsa_user_sgpr_kernarg_preload_offset 0
		.amdhsa_user_sgpr_private_segment_size 0
		.amdhsa_uses_dynamic_stack 0
		.amdhsa_enable_private_segment 0
		.amdhsa_system_sgpr_workgroup_id_x 1
		.amdhsa_system_sgpr_workgroup_id_y 0
		.amdhsa_system_sgpr_workgroup_id_z 0
		.amdhsa_system_sgpr_workgroup_info 0
		.amdhsa_system_vgpr_workitem_id 0
		.amdhsa_next_free_vgpr 1
		.amdhsa_next_free_sgpr 0
		.amdhsa_accum_offset 4
		.amdhsa_reserve_vcc 0
		.amdhsa_float_round_mode_32 0
		.amdhsa_float_round_mode_16_64 0
		.amdhsa_float_denorm_mode_32 3
		.amdhsa_float_denorm_mode_16_64 3
		.amdhsa_dx10_clamp 1
		.amdhsa_ieee_mode 1
		.amdhsa_fp16_overflow 0
		.amdhsa_tg_split 0
		.amdhsa_exception_fp_ieee_invalid_op 0
		.amdhsa_exception_fp_denorm_src 0
		.amdhsa_exception_fp_ieee_div_zero 0
		.amdhsa_exception_fp_ieee_overflow 0
		.amdhsa_exception_fp_ieee_underflow 0
		.amdhsa_exception_fp_ieee_inexact 0
		.amdhsa_exception_int_div_zero 0
	.end_amdhsa_kernel
	.section	.text._ZN7rocprim17ROCPRIM_400000_NS6detail17trampoline_kernelINS0_14default_configENS1_35radix_sort_onesweep_config_selectorIxNS0_10empty_typeEEEZNS1_34radix_sort_onesweep_global_offsetsIS3_Lb0EN6thrust23THRUST_200600_302600_NS6detail15normal_iteratorINS9_10device_ptrIxEEEEPS5_jNS0_19identity_decomposerEEE10hipError_tT1_T2_PT3_SK_jT4_jjP12ihipStream_tbEUlT_E_NS1_11comp_targetILNS1_3genE6ELNS1_11target_archE950ELNS1_3gpuE13ELNS1_3repE0EEENS1_52radix_sort_onesweep_histogram_config_static_selectorELNS0_4arch9wavefront6targetE1EEEvSI_,"axG",@progbits,_ZN7rocprim17ROCPRIM_400000_NS6detail17trampoline_kernelINS0_14default_configENS1_35radix_sort_onesweep_config_selectorIxNS0_10empty_typeEEEZNS1_34radix_sort_onesweep_global_offsetsIS3_Lb0EN6thrust23THRUST_200600_302600_NS6detail15normal_iteratorINS9_10device_ptrIxEEEEPS5_jNS0_19identity_decomposerEEE10hipError_tT1_T2_PT3_SK_jT4_jjP12ihipStream_tbEUlT_E_NS1_11comp_targetILNS1_3genE6ELNS1_11target_archE950ELNS1_3gpuE13ELNS1_3repE0EEENS1_52radix_sort_onesweep_histogram_config_static_selectorELNS0_4arch9wavefront6targetE1EEEvSI_,comdat
.Lfunc_end1516:
	.size	_ZN7rocprim17ROCPRIM_400000_NS6detail17trampoline_kernelINS0_14default_configENS1_35radix_sort_onesweep_config_selectorIxNS0_10empty_typeEEEZNS1_34radix_sort_onesweep_global_offsetsIS3_Lb0EN6thrust23THRUST_200600_302600_NS6detail15normal_iteratorINS9_10device_ptrIxEEEEPS5_jNS0_19identity_decomposerEEE10hipError_tT1_T2_PT3_SK_jT4_jjP12ihipStream_tbEUlT_E_NS1_11comp_targetILNS1_3genE6ELNS1_11target_archE950ELNS1_3gpuE13ELNS1_3repE0EEENS1_52radix_sort_onesweep_histogram_config_static_selectorELNS0_4arch9wavefront6targetE1EEEvSI_, .Lfunc_end1516-_ZN7rocprim17ROCPRIM_400000_NS6detail17trampoline_kernelINS0_14default_configENS1_35radix_sort_onesweep_config_selectorIxNS0_10empty_typeEEEZNS1_34radix_sort_onesweep_global_offsetsIS3_Lb0EN6thrust23THRUST_200600_302600_NS6detail15normal_iteratorINS9_10device_ptrIxEEEEPS5_jNS0_19identity_decomposerEEE10hipError_tT1_T2_PT3_SK_jT4_jjP12ihipStream_tbEUlT_E_NS1_11comp_targetILNS1_3genE6ELNS1_11target_archE950ELNS1_3gpuE13ELNS1_3repE0EEENS1_52radix_sort_onesweep_histogram_config_static_selectorELNS0_4arch9wavefront6targetE1EEEvSI_
                                        ; -- End function
	.section	.AMDGPU.csdata,"",@progbits
; Kernel info:
; codeLenInByte = 0
; NumSgprs: 6
; NumVgprs: 0
; NumAgprs: 0
; TotalNumVgprs: 0
; ScratchSize: 0
; MemoryBound: 0
; FloatMode: 240
; IeeeMode: 1
; LDSByteSize: 0 bytes/workgroup (compile time only)
; SGPRBlocks: 0
; VGPRBlocks: 0
; NumSGPRsForWavesPerEU: 6
; NumVGPRsForWavesPerEU: 1
; AccumOffset: 4
; Occupancy: 8
; WaveLimiterHint : 0
; COMPUTE_PGM_RSRC2:SCRATCH_EN: 0
; COMPUTE_PGM_RSRC2:USER_SGPR: 2
; COMPUTE_PGM_RSRC2:TRAP_HANDLER: 0
; COMPUTE_PGM_RSRC2:TGID_X_EN: 1
; COMPUTE_PGM_RSRC2:TGID_Y_EN: 0
; COMPUTE_PGM_RSRC2:TGID_Z_EN: 0
; COMPUTE_PGM_RSRC2:TIDIG_COMP_CNT: 0
; COMPUTE_PGM_RSRC3_GFX90A:ACCUM_OFFSET: 0
; COMPUTE_PGM_RSRC3_GFX90A:TG_SPLIT: 0
	.section	.text._ZN7rocprim17ROCPRIM_400000_NS6detail17trampoline_kernelINS0_14default_configENS1_35radix_sort_onesweep_config_selectorIxNS0_10empty_typeEEEZNS1_34radix_sort_onesweep_global_offsetsIS3_Lb0EN6thrust23THRUST_200600_302600_NS6detail15normal_iteratorINS9_10device_ptrIxEEEEPS5_jNS0_19identity_decomposerEEE10hipError_tT1_T2_PT3_SK_jT4_jjP12ihipStream_tbEUlT_E_NS1_11comp_targetILNS1_3genE5ELNS1_11target_archE942ELNS1_3gpuE9ELNS1_3repE0EEENS1_52radix_sort_onesweep_histogram_config_static_selectorELNS0_4arch9wavefront6targetE1EEEvSI_,"axG",@progbits,_ZN7rocprim17ROCPRIM_400000_NS6detail17trampoline_kernelINS0_14default_configENS1_35radix_sort_onesweep_config_selectorIxNS0_10empty_typeEEEZNS1_34radix_sort_onesweep_global_offsetsIS3_Lb0EN6thrust23THRUST_200600_302600_NS6detail15normal_iteratorINS9_10device_ptrIxEEEEPS5_jNS0_19identity_decomposerEEE10hipError_tT1_T2_PT3_SK_jT4_jjP12ihipStream_tbEUlT_E_NS1_11comp_targetILNS1_3genE5ELNS1_11target_archE942ELNS1_3gpuE9ELNS1_3repE0EEENS1_52radix_sort_onesweep_histogram_config_static_selectorELNS0_4arch9wavefront6targetE1EEEvSI_,comdat
	.protected	_ZN7rocprim17ROCPRIM_400000_NS6detail17trampoline_kernelINS0_14default_configENS1_35radix_sort_onesweep_config_selectorIxNS0_10empty_typeEEEZNS1_34radix_sort_onesweep_global_offsetsIS3_Lb0EN6thrust23THRUST_200600_302600_NS6detail15normal_iteratorINS9_10device_ptrIxEEEEPS5_jNS0_19identity_decomposerEEE10hipError_tT1_T2_PT3_SK_jT4_jjP12ihipStream_tbEUlT_E_NS1_11comp_targetILNS1_3genE5ELNS1_11target_archE942ELNS1_3gpuE9ELNS1_3repE0EEENS1_52radix_sort_onesweep_histogram_config_static_selectorELNS0_4arch9wavefront6targetE1EEEvSI_ ; -- Begin function _ZN7rocprim17ROCPRIM_400000_NS6detail17trampoline_kernelINS0_14default_configENS1_35radix_sort_onesweep_config_selectorIxNS0_10empty_typeEEEZNS1_34radix_sort_onesweep_global_offsetsIS3_Lb0EN6thrust23THRUST_200600_302600_NS6detail15normal_iteratorINS9_10device_ptrIxEEEEPS5_jNS0_19identity_decomposerEEE10hipError_tT1_T2_PT3_SK_jT4_jjP12ihipStream_tbEUlT_E_NS1_11comp_targetILNS1_3genE5ELNS1_11target_archE942ELNS1_3gpuE9ELNS1_3repE0EEENS1_52radix_sort_onesweep_histogram_config_static_selectorELNS0_4arch9wavefront6targetE1EEEvSI_
	.globl	_ZN7rocprim17ROCPRIM_400000_NS6detail17trampoline_kernelINS0_14default_configENS1_35radix_sort_onesweep_config_selectorIxNS0_10empty_typeEEEZNS1_34radix_sort_onesweep_global_offsetsIS3_Lb0EN6thrust23THRUST_200600_302600_NS6detail15normal_iteratorINS9_10device_ptrIxEEEEPS5_jNS0_19identity_decomposerEEE10hipError_tT1_T2_PT3_SK_jT4_jjP12ihipStream_tbEUlT_E_NS1_11comp_targetILNS1_3genE5ELNS1_11target_archE942ELNS1_3gpuE9ELNS1_3repE0EEENS1_52radix_sort_onesweep_histogram_config_static_selectorELNS0_4arch9wavefront6targetE1EEEvSI_
	.p2align	8
	.type	_ZN7rocprim17ROCPRIM_400000_NS6detail17trampoline_kernelINS0_14default_configENS1_35radix_sort_onesweep_config_selectorIxNS0_10empty_typeEEEZNS1_34radix_sort_onesweep_global_offsetsIS3_Lb0EN6thrust23THRUST_200600_302600_NS6detail15normal_iteratorINS9_10device_ptrIxEEEEPS5_jNS0_19identity_decomposerEEE10hipError_tT1_T2_PT3_SK_jT4_jjP12ihipStream_tbEUlT_E_NS1_11comp_targetILNS1_3genE5ELNS1_11target_archE942ELNS1_3gpuE9ELNS1_3repE0EEENS1_52radix_sort_onesweep_histogram_config_static_selectorELNS0_4arch9wavefront6targetE1EEEvSI_,@function
_ZN7rocprim17ROCPRIM_400000_NS6detail17trampoline_kernelINS0_14default_configENS1_35radix_sort_onesweep_config_selectorIxNS0_10empty_typeEEEZNS1_34radix_sort_onesweep_global_offsetsIS3_Lb0EN6thrust23THRUST_200600_302600_NS6detail15normal_iteratorINS9_10device_ptrIxEEEEPS5_jNS0_19identity_decomposerEEE10hipError_tT1_T2_PT3_SK_jT4_jjP12ihipStream_tbEUlT_E_NS1_11comp_targetILNS1_3genE5ELNS1_11target_archE942ELNS1_3gpuE9ELNS1_3repE0EEENS1_52radix_sort_onesweep_histogram_config_static_selectorELNS0_4arch9wavefront6targetE1EEEvSI_: ; @_ZN7rocprim17ROCPRIM_400000_NS6detail17trampoline_kernelINS0_14default_configENS1_35radix_sort_onesweep_config_selectorIxNS0_10empty_typeEEEZNS1_34radix_sort_onesweep_global_offsetsIS3_Lb0EN6thrust23THRUST_200600_302600_NS6detail15normal_iteratorINS9_10device_ptrIxEEEEPS5_jNS0_19identity_decomposerEEE10hipError_tT1_T2_PT3_SK_jT4_jjP12ihipStream_tbEUlT_E_NS1_11comp_targetILNS1_3genE5ELNS1_11target_archE942ELNS1_3gpuE9ELNS1_3repE0EEENS1_52radix_sort_onesweep_histogram_config_static_selectorELNS0_4arch9wavefront6targetE1EEEvSI_
; %bb.0:
	s_load_dword s11, s[0:1], 0x14
	s_load_dwordx4 s[4:7], s[0:1], 0x0
	s_load_dwordx2 s[8:9], s[0:1], 0x1c
	s_mul_i32 s10, s2, 0x1800
	s_waitcnt lgkmcnt(0)
	s_cmp_ge_u32 s2, s11
	s_mov_b64 s[2:3], -1
	s_cbranch_scc0 .LBB1517_477
; %bb.1:
	s_load_dword s2, s[0:1], 0x10
	s_mul_i32 s3, s11, 0xffffe800
	s_mov_b32 s11, 0
	s_lshl_b64 s[0:1], s[10:11], 3
                                        ; implicit-def: $vgpr24_vgpr25
	s_waitcnt lgkmcnt(0)
	s_add_i32 s11, s2, s3
	s_add_u32 s0, s4, s0
	s_addc_u32 s1, s5, s1
	v_cmp_gt_u32_e32 vcc, s11, v0
	s_and_saveexec_b64 s[2:3], vcc
	s_cbranch_execz .LBB1517_3
; %bb.2:
	v_lshlrev_b32_e32 v1, 3, v0
	global_load_dwordx2 v[24:25], v1, s[0:1]
.LBB1517_3:
	s_or_b64 exec, exec, s[2:3]
	v_or_b32_e32 v36, 0x200, v0
	v_cmp_gt_u32_e32 vcc, s11, v36
                                        ; implicit-def: $vgpr22_vgpr23
	s_and_saveexec_b64 s[2:3], vcc
	s_cbranch_execz .LBB1517_5
; %bb.4:
	v_lshlrev_b32_e32 v1, 3, v36
	global_load_dwordx2 v[22:23], v1, s[0:1]
.LBB1517_5:
	s_or_b64 exec, exec, s[2:3]
	v_or_b32_e32 v35, 0x400, v0
	v_cmp_gt_u32_e32 vcc, s11, v35
                                        ; implicit-def: $vgpr20_vgpr21
	s_and_saveexec_b64 s[2:3], vcc
	s_cbranch_execz .LBB1517_7
; %bb.6:
	v_lshlrev_b32_e32 v1, 3, v35
	global_load_dwordx2 v[20:21], v1, s[0:1]
.LBB1517_7:
	s_or_b64 exec, exec, s[2:3]
	v_or_b32_e32 v34, 0x600, v0
	v_cmp_gt_u32_e32 vcc, s11, v34
                                        ; implicit-def: $vgpr18_vgpr19
	s_and_saveexec_b64 s[2:3], vcc
	s_cbranch_execz .LBB1517_9
; %bb.8:
	v_lshlrev_b32_e32 v1, 3, v34
	global_load_dwordx2 v[18:19], v1, s[0:1]
.LBB1517_9:
	s_or_b64 exec, exec, s[2:3]
	v_or_b32_e32 v33, 0x800, v0
	v_cmp_gt_u32_e32 vcc, s11, v33
                                        ; implicit-def: $vgpr16_vgpr17
	s_and_saveexec_b64 s[2:3], vcc
	s_cbranch_execz .LBB1517_11
; %bb.10:
	v_lshlrev_b32_e32 v1, 3, v33
	global_load_dwordx2 v[16:17], v1, s[0:1]
.LBB1517_11:
	s_or_b64 exec, exec, s[2:3]
	v_or_b32_e32 v32, 0xa00, v0
	v_cmp_gt_u32_e32 vcc, s11, v32
                                        ; implicit-def: $vgpr14_vgpr15
	s_and_saveexec_b64 s[2:3], vcc
	s_cbranch_execz .LBB1517_13
; %bb.12:
	v_lshlrev_b32_e32 v1, 3, v32
	global_load_dwordx2 v[14:15], v1, s[0:1]
.LBB1517_13:
	s_or_b64 exec, exec, s[2:3]
	v_or_b32_e32 v31, 0xc00, v0
	v_cmp_gt_u32_e32 vcc, s11, v31
                                        ; implicit-def: $vgpr12_vgpr13
	s_and_saveexec_b64 s[2:3], vcc
	s_cbranch_execz .LBB1517_15
; %bb.14:
	v_lshlrev_b32_e32 v1, 3, v31
	global_load_dwordx2 v[12:13], v1, s[0:1]
.LBB1517_15:
	s_or_b64 exec, exec, s[2:3]
	v_or_b32_e32 v30, 0xe00, v0
	v_cmp_gt_u32_e32 vcc, s11, v30
                                        ; implicit-def: $vgpr10_vgpr11
	s_and_saveexec_b64 s[2:3], vcc
	s_cbranch_execz .LBB1517_17
; %bb.16:
	v_lshlrev_b32_e32 v1, 3, v30
	global_load_dwordx2 v[10:11], v1, s[0:1]
.LBB1517_17:
	s_or_b64 exec, exec, s[2:3]
	v_or_b32_e32 v29, 0x1000, v0
	v_cmp_gt_u32_e32 vcc, s11, v29
                                        ; implicit-def: $vgpr8_vgpr9
	s_and_saveexec_b64 s[2:3], vcc
	s_cbranch_execz .LBB1517_19
; %bb.18:
	v_lshlrev_b32_e32 v1, 3, v29
	global_load_dwordx2 v[8:9], v1, s[0:1]
.LBB1517_19:
	s_or_b64 exec, exec, s[2:3]
	v_or_b32_e32 v28, 0x1200, v0
	v_cmp_gt_u32_e32 vcc, s11, v28
                                        ; implicit-def: $vgpr6_vgpr7
	s_and_saveexec_b64 s[2:3], vcc
	s_cbranch_execz .LBB1517_21
; %bb.20:
	v_lshlrev_b32_e32 v1, 3, v28
	global_load_dwordx2 v[6:7], v1, s[0:1]
.LBB1517_21:
	s_or_b64 exec, exec, s[2:3]
	v_or_b32_e32 v27, 0x1400, v0
	v_cmp_gt_u32_e32 vcc, s11, v27
                                        ; implicit-def: $vgpr4_vgpr5
	s_and_saveexec_b64 s[2:3], vcc
	s_cbranch_execz .LBB1517_23
; %bb.22:
	v_lshlrev_b32_e32 v1, 3, v27
	global_load_dwordx2 v[4:5], v1, s[0:1]
.LBB1517_23:
	s_or_b64 exec, exec, s[2:3]
	v_or_b32_e32 v26, 0x1600, v0
	v_cmp_gt_u32_e32 vcc, s11, v26
                                        ; implicit-def: $vgpr2_vgpr3
	s_and_saveexec_b64 s[2:3], vcc
	s_cbranch_execz .LBB1517_25
; %bb.24:
	v_lshlrev_b32_e32 v1, 3, v26
	global_load_dwordx2 v[2:3], v1, s[0:1]
.LBB1517_25:
	s_or_b64 exec, exec, s[2:3]
	v_or_b32_e32 v1, 0xfffffe00, v0
	v_lshlrev_b32_e32 v37, 2, v0
	s_mov_b64 s[0:1], 0
	v_mov_b32_e32 v38, 0
	s_movk_i32 s2, 0x1dff
.LBB1517_26:                            ; =>This Inner Loop Header: Depth=1
	v_add_u32_e32 v1, 0x200, v1
	v_cmp_lt_u32_e32 vcc, s2, v1
	ds_write_b32 v37, v38
	s_or_b64 s[0:1], vcc, s[0:1]
	v_add_u32_e32 v37, 0x800, v37
	s_andn2_b64 exec, exec, s[0:1]
	s_cbranch_execnz .LBB1517_26
; %bb.27:
	s_or_b64 exec, exec, s[0:1]
	s_cmp_ge_u32 s8, s9
	s_cselect_b64 s[2:3], -1, 0
	v_cmp_le_u32_e32 vcc, s11, v0
	s_and_b64 s[0:1], s[2:3], exec
	s_cselect_b32 s18, 8, 10
	s_or_b64 s[0:1], s[2:3], vcc
	v_and_b32_e32 v1, 3, v0
	s_waitcnt vmcnt(0)
	v_xor_b32_e32 v25, 0x80000000, v25
	s_xor_b64 s[12:13], s[0:1], -1
	v_mov_b32_e32 v37, s18
	s_waitcnt lgkmcnt(0)
	s_barrier
	s_and_saveexec_b64 s[0:1], s[12:13]
	s_cbranch_execz .LBB1517_29
; %bb.28:
	s_sub_i32 s12, s9, s8
	s_min_u32 s12, s12, 8
	v_lshrrev_b64 v[38:39], s8, v[24:25]
	v_bfe_u32 v37, v38, 0, s12
	v_lshlrev_b32_e32 v38, 2, v1
	v_lshl_or_b32 v37, v37, 4, v38
	v_mov_b32_e32 v38, 1
	ds_add_u32 v37, v38
	v_mov_b32_e32 v37, 0
.LBB1517_29:
	s_or_b64 exec, exec, s[0:1]
	v_cmp_gt_i32_e64 s[0:1], 10, v37
	s_mov_b64 s[14:15], -1
	s_and_saveexec_b64 s[12:13], s[0:1]
; %bb.30:
	v_cmp_eq_u32_e64 s[0:1], 0, v37
	s_orn2_b64 s[14:15], s[0:1], exec
; %bb.31:
	s_or_b64 exec, exec, s[12:13]
	s_and_saveexec_b64 s[12:13], s[14:15]
	s_cbranch_execz .LBB1517_64
; %bb.32:
	s_add_i32 s14, s8, 8
	s_cmp_le_u32 s9, s14
	s_cselect_b64 s[0:1], -1, 0
	s_and_b64 s[16:17], s[0:1], exec
	s_cselect_b32 s15, 8, 10
	s_or_b64 s[0:1], s[0:1], vcc
	s_xor_b64 s[16:17], s[0:1], -1
	v_mov_b32_e32 v37, s15
	s_and_saveexec_b64 s[0:1], s[16:17]
	s_cbranch_execz .LBB1517_34
; %bb.33:
	s_sub_i32 s15, s9, s14
	s_min_u32 s15, s15, 8
	v_lshrrev_b64 v[38:39], s14, v[24:25]
	v_bfe_u32 v37, v38, 0, s15
	v_lshlrev_b32_e32 v38, 2, v1
	v_lshl_or_b32 v37, v37, 4, v38
	v_mov_b32_e32 v38, 1
	ds_add_u32 v37, v38 offset:4096
	v_mov_b32_e32 v37, 0
.LBB1517_34:
	s_or_b64 exec, exec, s[0:1]
	v_cmp_gt_i32_e64 s[0:1], 10, v37
	s_mov_b64 s[14:15], -1
	s_and_saveexec_b64 s[16:17], s[0:1]
; %bb.35:
	v_cmp_eq_u32_e64 s[0:1], 0, v37
	s_orn2_b64 s[14:15], s[0:1], exec
; %bb.36:
	s_or_b64 exec, exec, s[16:17]
	s_and_b64 exec, exec, s[14:15]
	s_cbranch_execz .LBB1517_64
; %bb.37:
	s_add_i32 s14, s8, 16
	s_cmp_le_u32 s9, s14
	s_cselect_b64 s[0:1], -1, 0
	s_and_b64 s[16:17], s[0:1], exec
	s_cselect_b32 s15, 8, 10
	s_or_b64 s[0:1], s[0:1], vcc
	s_xor_b64 s[16:17], s[0:1], -1
	v_mov_b32_e32 v37, s15
	s_and_saveexec_b64 s[0:1], s[16:17]
	s_cbranch_execz .LBB1517_39
; %bb.38:
	s_sub_i32 s15, s9, s14
	s_min_u32 s15, s15, 8
	v_lshrrev_b64 v[38:39], s14, v[24:25]
	v_bfe_u32 v37, v38, 0, s15
	v_lshlrev_b32_e32 v38, 2, v1
	v_lshl_or_b32 v37, v37, 4, v38
	v_mov_b32_e32 v38, 1
	ds_add_u32 v37, v38 offset:8192
	v_mov_b32_e32 v37, 0
.LBB1517_39:
	s_or_b64 exec, exec, s[0:1]
	v_cmp_gt_i32_e64 s[0:1], 10, v37
	s_mov_b64 s[14:15], -1
	s_and_saveexec_b64 s[16:17], s[0:1]
; %bb.40:
	v_cmp_eq_u32_e64 s[0:1], 0, v37
	s_orn2_b64 s[14:15], s[0:1], exec
; %bb.41:
	s_or_b64 exec, exec, s[16:17]
	s_and_b64 exec, exec, s[14:15]
	;; [unrolled: 33-line block ×6, first 2 shown]
	s_cbranch_execz .LBB1517_64
; %bb.62:
	s_add_i32 s0, s8, 56
	s_cmp_gt_u32 s9, s0
	s_cselect_b64 s[14:15], -1, 0
	s_xor_b64 s[16:17], vcc, -1
	s_and_b64 s[14:15], s[14:15], s[16:17]
	s_and_b64 exec, exec, s[14:15]
	s_cbranch_execz .LBB1517_64
; %bb.63:
	s_sub_i32 s1, s9, s0
	s_min_u32 s1, s1, 8
	v_lshrrev_b64 v[24:25], s0, v[24:25]
	v_bfe_u32 v24, v24, 0, s1
	v_lshlrev_b32_e32 v25, 2, v1
	v_lshl_or_b32 v24, v24, 4, v25
	v_mov_b32_e32 v25, 1
	ds_add_u32 v24, v25 offset:28672
.LBB1517_64:
	s_or_b64 exec, exec, s[12:13]
	v_cmp_le_u32_e32 vcc, s11, v36
	s_or_b64 s[0:1], s[2:3], vcc
	v_xor_b32_e32 v23, 0x80000000, v23
	s_xor_b64 s[12:13], s[0:1], -1
	v_mov_b32_e32 v24, s18
	s_and_saveexec_b64 s[0:1], s[12:13]
	s_cbranch_execz .LBB1517_66
; %bb.65:
	s_sub_i32 s12, s9, s8
	s_min_u32 s12, s12, 8
	v_lshrrev_b64 v[24:25], s8, v[22:23]
	v_bfe_u32 v24, v24, 0, s12
	v_lshlrev_b32_e32 v25, 2, v1
	v_lshl_or_b32 v24, v24, 4, v25
	v_mov_b32_e32 v25, 1
	ds_add_u32 v24, v25
	v_mov_b32_e32 v24, 0
.LBB1517_66:
	s_or_b64 exec, exec, s[0:1]
	v_cmp_gt_i32_e64 s[0:1], 10, v24
	s_mov_b64 s[14:15], -1
	s_and_saveexec_b64 s[12:13], s[0:1]
; %bb.67:
	v_cmp_eq_u32_e64 s[0:1], 0, v24
	s_orn2_b64 s[14:15], s[0:1], exec
; %bb.68:
	s_or_b64 exec, exec, s[12:13]
	s_and_saveexec_b64 s[12:13], s[14:15]
	s_cbranch_execz .LBB1517_101
; %bb.69:
	s_add_i32 s14, s8, 8
	s_cmp_le_u32 s9, s14
	s_cselect_b64 s[0:1], -1, 0
	s_and_b64 s[16:17], s[0:1], exec
	s_cselect_b32 s15, 8, 10
	s_or_b64 s[0:1], s[0:1], vcc
	s_xor_b64 s[16:17], s[0:1], -1
	v_mov_b32_e32 v24, s15
	s_and_saveexec_b64 s[0:1], s[16:17]
	s_cbranch_execz .LBB1517_71
; %bb.70:
	s_sub_i32 s15, s9, s14
	s_min_u32 s15, s15, 8
	v_lshrrev_b64 v[24:25], s14, v[22:23]
	v_bfe_u32 v24, v24, 0, s15
	v_lshlrev_b32_e32 v25, 2, v1
	v_lshl_or_b32 v24, v24, 4, v25
	v_mov_b32_e32 v25, 1
	ds_add_u32 v24, v25 offset:4096
	v_mov_b32_e32 v24, 0
.LBB1517_71:
	s_or_b64 exec, exec, s[0:1]
	v_cmp_gt_i32_e64 s[0:1], 10, v24
	s_mov_b64 s[14:15], -1
	s_and_saveexec_b64 s[16:17], s[0:1]
; %bb.72:
	v_cmp_eq_u32_e64 s[0:1], 0, v24
	s_orn2_b64 s[14:15], s[0:1], exec
; %bb.73:
	s_or_b64 exec, exec, s[16:17]
	s_and_b64 exec, exec, s[14:15]
	s_cbranch_execz .LBB1517_101
; %bb.74:
	s_add_i32 s14, s8, 16
	s_cmp_le_u32 s9, s14
	s_cselect_b64 s[0:1], -1, 0
	s_and_b64 s[16:17], s[0:1], exec
	s_cselect_b32 s15, 8, 10
	s_or_b64 s[0:1], s[0:1], vcc
	s_xor_b64 s[16:17], s[0:1], -1
	v_mov_b32_e32 v24, s15
	s_and_saveexec_b64 s[0:1], s[16:17]
	s_cbranch_execz .LBB1517_76
; %bb.75:
	s_sub_i32 s15, s9, s14
	s_min_u32 s15, s15, 8
	v_lshrrev_b64 v[24:25], s14, v[22:23]
	v_bfe_u32 v24, v24, 0, s15
	v_lshlrev_b32_e32 v25, 2, v1
	v_lshl_or_b32 v24, v24, 4, v25
	v_mov_b32_e32 v25, 1
	ds_add_u32 v24, v25 offset:8192
	v_mov_b32_e32 v24, 0
.LBB1517_76:
	s_or_b64 exec, exec, s[0:1]
	v_cmp_gt_i32_e64 s[0:1], 10, v24
	s_mov_b64 s[14:15], -1
	s_and_saveexec_b64 s[16:17], s[0:1]
; %bb.77:
	v_cmp_eq_u32_e64 s[0:1], 0, v24
	s_orn2_b64 s[14:15], s[0:1], exec
; %bb.78:
	s_or_b64 exec, exec, s[16:17]
	s_and_b64 exec, exec, s[14:15]
	s_cbranch_execz .LBB1517_101
; %bb.79:
	s_add_i32 s14, s8, 24
	s_cmp_le_u32 s9, s14
	s_cselect_b64 s[0:1], -1, 0
	s_and_b64 s[16:17], s[0:1], exec
	s_cselect_b32 s15, 8, 10
	s_or_b64 s[0:1], s[0:1], vcc
	s_xor_b64 s[16:17], s[0:1], -1
	v_mov_b32_e32 v24, s15
	s_and_saveexec_b64 s[0:1], s[16:17]
	s_cbranch_execz .LBB1517_81
; %bb.80:
	s_sub_i32 s15, s9, s14
	s_min_u32 s15, s15, 8
	v_lshrrev_b64 v[24:25], s14, v[22:23]
	v_bfe_u32 v24, v24, 0, s15
	v_lshlrev_b32_e32 v25, 2, v1
	v_lshl_or_b32 v24, v24, 4, v25
	v_mov_b32_e32 v25, 1
	ds_add_u32 v24, v25 offset:12288
	v_mov_b32_e32 v24, 0
.LBB1517_81:
	s_or_b64 exec, exec, s[0:1]
	v_cmp_gt_i32_e64 s[0:1], 10, v24
	s_mov_b64 s[14:15], -1
	s_and_saveexec_b64 s[16:17], s[0:1]
; %bb.82:
	v_cmp_eq_u32_e64 s[0:1], 0, v24
	s_orn2_b64 s[14:15], s[0:1], exec
; %bb.83:
	s_or_b64 exec, exec, s[16:17]
	s_and_b64 exec, exec, s[14:15]
	s_cbranch_execz .LBB1517_101
; %bb.84:
	s_add_i32 s14, s8, 32
	s_cmp_le_u32 s9, s14
	s_cselect_b64 s[0:1], -1, 0
	s_and_b64 s[16:17], s[0:1], exec
	s_cselect_b32 s15, 8, 10
	s_or_b64 s[0:1], s[0:1], vcc
	s_xor_b64 s[16:17], s[0:1], -1
	v_mov_b32_e32 v24, s15
	s_and_saveexec_b64 s[0:1], s[16:17]
	s_cbranch_execz .LBB1517_86
; %bb.85:
	s_sub_i32 s15, s9, s14
	s_min_u32 s15, s15, 8
	v_lshrrev_b64 v[24:25], s14, v[22:23]
	v_bfe_u32 v24, v24, 0, s15
	v_lshlrev_b32_e32 v25, 2, v1
	v_lshl_or_b32 v24, v24, 4, v25
	v_mov_b32_e32 v25, 1
	ds_add_u32 v24, v25 offset:16384
	v_mov_b32_e32 v24, 0
.LBB1517_86:
	s_or_b64 exec, exec, s[0:1]
	v_cmp_gt_i32_e64 s[0:1], 10, v24
	s_mov_b64 s[14:15], -1
	s_and_saveexec_b64 s[16:17], s[0:1]
; %bb.87:
	v_cmp_eq_u32_e64 s[0:1], 0, v24
	s_orn2_b64 s[14:15], s[0:1], exec
; %bb.88:
	s_or_b64 exec, exec, s[16:17]
	s_and_b64 exec, exec, s[14:15]
	s_cbranch_execz .LBB1517_101
; %bb.89:
	s_add_i32 s14, s8, 40
	s_cmp_le_u32 s9, s14
	s_cselect_b64 s[0:1], -1, 0
	s_and_b64 s[16:17], s[0:1], exec
	s_cselect_b32 s15, 8, 10
	s_or_b64 s[0:1], s[0:1], vcc
	s_xor_b64 s[16:17], s[0:1], -1
	v_mov_b32_e32 v24, s15
	s_and_saveexec_b64 s[0:1], s[16:17]
	s_cbranch_execz .LBB1517_91
; %bb.90:
	s_sub_i32 s15, s9, s14
	s_min_u32 s15, s15, 8
	v_lshrrev_b64 v[24:25], s14, v[22:23]
	v_bfe_u32 v24, v24, 0, s15
	v_lshlrev_b32_e32 v25, 2, v1
	v_lshl_or_b32 v24, v24, 4, v25
	v_mov_b32_e32 v25, 1
	ds_add_u32 v24, v25 offset:20480
	v_mov_b32_e32 v24, 0
.LBB1517_91:
	s_or_b64 exec, exec, s[0:1]
	v_cmp_gt_i32_e64 s[0:1], 10, v24
	s_mov_b64 s[14:15], -1
	s_and_saveexec_b64 s[16:17], s[0:1]
; %bb.92:
	v_cmp_eq_u32_e64 s[0:1], 0, v24
	s_orn2_b64 s[14:15], s[0:1], exec
; %bb.93:
	s_or_b64 exec, exec, s[16:17]
	s_and_b64 exec, exec, s[14:15]
	s_cbranch_execz .LBB1517_101
; %bb.94:
	s_add_i32 s14, s8, 48
	s_cmp_le_u32 s9, s14
	s_cselect_b64 s[0:1], -1, 0
	s_and_b64 s[16:17], s[0:1], exec
	s_cselect_b32 s15, 8, 10
	s_or_b64 s[0:1], s[0:1], vcc
	s_xor_b64 s[16:17], s[0:1], -1
	v_mov_b32_e32 v24, s15
	s_and_saveexec_b64 s[0:1], s[16:17]
	s_cbranch_execz .LBB1517_96
; %bb.95:
	s_sub_i32 s15, s9, s14
	s_min_u32 s15, s15, 8
	v_lshrrev_b64 v[24:25], s14, v[22:23]
	v_bfe_u32 v24, v24, 0, s15
	v_lshlrev_b32_e32 v25, 2, v1
	v_lshl_or_b32 v24, v24, 4, v25
	v_mov_b32_e32 v25, 1
	ds_add_u32 v24, v25 offset:24576
	v_mov_b32_e32 v24, 0
.LBB1517_96:
	s_or_b64 exec, exec, s[0:1]
	v_cmp_gt_i32_e64 s[0:1], 10, v24
	s_mov_b64 s[14:15], -1
	s_and_saveexec_b64 s[16:17], s[0:1]
; %bb.97:
	v_cmp_eq_u32_e64 s[0:1], 0, v24
	s_orn2_b64 s[14:15], s[0:1], exec
; %bb.98:
	s_or_b64 exec, exec, s[16:17]
	s_and_b64 exec, exec, s[14:15]
	s_cbranch_execz .LBB1517_101
; %bb.99:
	s_add_i32 s0, s8, 56
	s_cmp_gt_u32 s9, s0
	s_cselect_b64 s[14:15], -1, 0
	s_xor_b64 s[16:17], vcc, -1
	s_and_b64 s[14:15], s[14:15], s[16:17]
	s_and_b64 exec, exec, s[14:15]
	s_cbranch_execz .LBB1517_101
; %bb.100:
	s_sub_i32 s1, s9, s0
	s_min_u32 s1, s1, 8
	v_lshrrev_b64 v[22:23], s0, v[22:23]
	v_bfe_u32 v22, v22, 0, s1
	v_lshlrev_b32_e32 v23, 2, v1
	v_lshl_or_b32 v22, v22, 4, v23
	v_mov_b32_e32 v23, 1
	ds_add_u32 v22, v23 offset:28672
.LBB1517_101:
	s_or_b64 exec, exec, s[12:13]
	v_cmp_le_u32_e32 vcc, s11, v35
	s_or_b64 s[0:1], s[2:3], vcc
	v_xor_b32_e32 v21, 0x80000000, v21
	s_xor_b64 s[12:13], s[0:1], -1
	v_mov_b32_e32 v22, s18
	s_and_saveexec_b64 s[0:1], s[12:13]
	s_cbranch_execz .LBB1517_103
; %bb.102:
	s_sub_i32 s12, s9, s8
	s_min_u32 s12, s12, 8
	v_lshrrev_b64 v[22:23], s8, v[20:21]
	v_bfe_u32 v22, v22, 0, s12
	v_lshlrev_b32_e32 v23, 2, v1
	v_lshl_or_b32 v22, v22, 4, v23
	v_mov_b32_e32 v23, 1
	ds_add_u32 v22, v23
	v_mov_b32_e32 v22, 0
.LBB1517_103:
	s_or_b64 exec, exec, s[0:1]
	v_cmp_gt_i32_e64 s[0:1], 10, v22
	s_mov_b64 s[14:15], -1
	s_and_saveexec_b64 s[12:13], s[0:1]
; %bb.104:
	v_cmp_eq_u32_e64 s[0:1], 0, v22
	s_orn2_b64 s[14:15], s[0:1], exec
; %bb.105:
	s_or_b64 exec, exec, s[12:13]
	s_and_saveexec_b64 s[12:13], s[14:15]
	s_cbranch_execz .LBB1517_138
; %bb.106:
	s_add_i32 s14, s8, 8
	s_cmp_le_u32 s9, s14
	s_cselect_b64 s[0:1], -1, 0
	s_and_b64 s[16:17], s[0:1], exec
	s_cselect_b32 s15, 8, 10
	s_or_b64 s[0:1], s[0:1], vcc
	s_xor_b64 s[16:17], s[0:1], -1
	v_mov_b32_e32 v22, s15
	s_and_saveexec_b64 s[0:1], s[16:17]
	s_cbranch_execz .LBB1517_108
; %bb.107:
	s_sub_i32 s15, s9, s14
	s_min_u32 s15, s15, 8
	v_lshrrev_b64 v[22:23], s14, v[20:21]
	v_bfe_u32 v22, v22, 0, s15
	v_lshlrev_b32_e32 v23, 2, v1
	v_lshl_or_b32 v22, v22, 4, v23
	v_mov_b32_e32 v23, 1
	ds_add_u32 v22, v23 offset:4096
	v_mov_b32_e32 v22, 0
.LBB1517_108:
	s_or_b64 exec, exec, s[0:1]
	v_cmp_gt_i32_e64 s[0:1], 10, v22
	s_mov_b64 s[14:15], -1
	s_and_saveexec_b64 s[16:17], s[0:1]
; %bb.109:
	v_cmp_eq_u32_e64 s[0:1], 0, v22
	s_orn2_b64 s[14:15], s[0:1], exec
; %bb.110:
	s_or_b64 exec, exec, s[16:17]
	s_and_b64 exec, exec, s[14:15]
	s_cbranch_execz .LBB1517_138
; %bb.111:
	s_add_i32 s14, s8, 16
	s_cmp_le_u32 s9, s14
	s_cselect_b64 s[0:1], -1, 0
	s_and_b64 s[16:17], s[0:1], exec
	s_cselect_b32 s15, 8, 10
	s_or_b64 s[0:1], s[0:1], vcc
	s_xor_b64 s[16:17], s[0:1], -1
	v_mov_b32_e32 v22, s15
	s_and_saveexec_b64 s[0:1], s[16:17]
	s_cbranch_execz .LBB1517_113
; %bb.112:
	s_sub_i32 s15, s9, s14
	s_min_u32 s15, s15, 8
	v_lshrrev_b64 v[22:23], s14, v[20:21]
	v_bfe_u32 v22, v22, 0, s15
	v_lshlrev_b32_e32 v23, 2, v1
	v_lshl_or_b32 v22, v22, 4, v23
	v_mov_b32_e32 v23, 1
	ds_add_u32 v22, v23 offset:8192
	v_mov_b32_e32 v22, 0
.LBB1517_113:
	s_or_b64 exec, exec, s[0:1]
	v_cmp_gt_i32_e64 s[0:1], 10, v22
	s_mov_b64 s[14:15], -1
	s_and_saveexec_b64 s[16:17], s[0:1]
; %bb.114:
	v_cmp_eq_u32_e64 s[0:1], 0, v22
	s_orn2_b64 s[14:15], s[0:1], exec
; %bb.115:
	s_or_b64 exec, exec, s[16:17]
	s_and_b64 exec, exec, s[14:15]
	s_cbranch_execz .LBB1517_138
; %bb.116:
	s_add_i32 s14, s8, 24
	s_cmp_le_u32 s9, s14
	s_cselect_b64 s[0:1], -1, 0
	s_and_b64 s[16:17], s[0:1], exec
	s_cselect_b32 s15, 8, 10
	s_or_b64 s[0:1], s[0:1], vcc
	s_xor_b64 s[16:17], s[0:1], -1
	v_mov_b32_e32 v22, s15
	s_and_saveexec_b64 s[0:1], s[16:17]
	s_cbranch_execz .LBB1517_118
; %bb.117:
	s_sub_i32 s15, s9, s14
	s_min_u32 s15, s15, 8
	v_lshrrev_b64 v[22:23], s14, v[20:21]
	v_bfe_u32 v22, v22, 0, s15
	v_lshlrev_b32_e32 v23, 2, v1
	v_lshl_or_b32 v22, v22, 4, v23
	v_mov_b32_e32 v23, 1
	ds_add_u32 v22, v23 offset:12288
	v_mov_b32_e32 v22, 0
.LBB1517_118:
	s_or_b64 exec, exec, s[0:1]
	v_cmp_gt_i32_e64 s[0:1], 10, v22
	s_mov_b64 s[14:15], -1
	s_and_saveexec_b64 s[16:17], s[0:1]
; %bb.119:
	v_cmp_eq_u32_e64 s[0:1], 0, v22
	s_orn2_b64 s[14:15], s[0:1], exec
; %bb.120:
	s_or_b64 exec, exec, s[16:17]
	s_and_b64 exec, exec, s[14:15]
	s_cbranch_execz .LBB1517_138
; %bb.121:
	s_add_i32 s14, s8, 32
	s_cmp_le_u32 s9, s14
	s_cselect_b64 s[0:1], -1, 0
	s_and_b64 s[16:17], s[0:1], exec
	s_cselect_b32 s15, 8, 10
	s_or_b64 s[0:1], s[0:1], vcc
	s_xor_b64 s[16:17], s[0:1], -1
	v_mov_b32_e32 v22, s15
	s_and_saveexec_b64 s[0:1], s[16:17]
	s_cbranch_execz .LBB1517_123
; %bb.122:
	s_sub_i32 s15, s9, s14
	s_min_u32 s15, s15, 8
	v_lshrrev_b64 v[22:23], s14, v[20:21]
	v_bfe_u32 v22, v22, 0, s15
	v_lshlrev_b32_e32 v23, 2, v1
	v_lshl_or_b32 v22, v22, 4, v23
	v_mov_b32_e32 v23, 1
	ds_add_u32 v22, v23 offset:16384
	v_mov_b32_e32 v22, 0
.LBB1517_123:
	s_or_b64 exec, exec, s[0:1]
	v_cmp_gt_i32_e64 s[0:1], 10, v22
	s_mov_b64 s[14:15], -1
	s_and_saveexec_b64 s[16:17], s[0:1]
; %bb.124:
	v_cmp_eq_u32_e64 s[0:1], 0, v22
	s_orn2_b64 s[14:15], s[0:1], exec
; %bb.125:
	s_or_b64 exec, exec, s[16:17]
	s_and_b64 exec, exec, s[14:15]
	s_cbranch_execz .LBB1517_138
; %bb.126:
	s_add_i32 s14, s8, 40
	s_cmp_le_u32 s9, s14
	s_cselect_b64 s[0:1], -1, 0
	s_and_b64 s[16:17], s[0:1], exec
	s_cselect_b32 s15, 8, 10
	s_or_b64 s[0:1], s[0:1], vcc
	s_xor_b64 s[16:17], s[0:1], -1
	v_mov_b32_e32 v22, s15
	s_and_saveexec_b64 s[0:1], s[16:17]
	s_cbranch_execz .LBB1517_128
; %bb.127:
	s_sub_i32 s15, s9, s14
	s_min_u32 s15, s15, 8
	v_lshrrev_b64 v[22:23], s14, v[20:21]
	v_bfe_u32 v22, v22, 0, s15
	v_lshlrev_b32_e32 v23, 2, v1
	v_lshl_or_b32 v22, v22, 4, v23
	v_mov_b32_e32 v23, 1
	ds_add_u32 v22, v23 offset:20480
	v_mov_b32_e32 v22, 0
.LBB1517_128:
	s_or_b64 exec, exec, s[0:1]
	v_cmp_gt_i32_e64 s[0:1], 10, v22
	s_mov_b64 s[14:15], -1
	s_and_saveexec_b64 s[16:17], s[0:1]
; %bb.129:
	v_cmp_eq_u32_e64 s[0:1], 0, v22
	s_orn2_b64 s[14:15], s[0:1], exec
; %bb.130:
	s_or_b64 exec, exec, s[16:17]
	s_and_b64 exec, exec, s[14:15]
	s_cbranch_execz .LBB1517_138
; %bb.131:
	s_add_i32 s14, s8, 48
	s_cmp_le_u32 s9, s14
	s_cselect_b64 s[0:1], -1, 0
	s_and_b64 s[16:17], s[0:1], exec
	s_cselect_b32 s15, 8, 10
	s_or_b64 s[0:1], s[0:1], vcc
	s_xor_b64 s[16:17], s[0:1], -1
	v_mov_b32_e32 v22, s15
	s_and_saveexec_b64 s[0:1], s[16:17]
	s_cbranch_execz .LBB1517_133
; %bb.132:
	s_sub_i32 s15, s9, s14
	s_min_u32 s15, s15, 8
	v_lshrrev_b64 v[22:23], s14, v[20:21]
	v_bfe_u32 v22, v22, 0, s15
	v_lshlrev_b32_e32 v23, 2, v1
	v_lshl_or_b32 v22, v22, 4, v23
	v_mov_b32_e32 v23, 1
	ds_add_u32 v22, v23 offset:24576
	v_mov_b32_e32 v22, 0
.LBB1517_133:
	s_or_b64 exec, exec, s[0:1]
	v_cmp_gt_i32_e64 s[0:1], 10, v22
	s_mov_b64 s[14:15], -1
	s_and_saveexec_b64 s[16:17], s[0:1]
; %bb.134:
	v_cmp_eq_u32_e64 s[0:1], 0, v22
	s_orn2_b64 s[14:15], s[0:1], exec
; %bb.135:
	s_or_b64 exec, exec, s[16:17]
	s_and_b64 exec, exec, s[14:15]
	s_cbranch_execz .LBB1517_138
; %bb.136:
	s_add_i32 s0, s8, 56
	s_cmp_gt_u32 s9, s0
	s_cselect_b64 s[14:15], -1, 0
	s_xor_b64 s[16:17], vcc, -1
	s_and_b64 s[14:15], s[14:15], s[16:17]
	s_and_b64 exec, exec, s[14:15]
	s_cbranch_execz .LBB1517_138
; %bb.137:
	s_sub_i32 s1, s9, s0
	s_min_u32 s1, s1, 8
	v_lshrrev_b64 v[20:21], s0, v[20:21]
	v_bfe_u32 v20, v20, 0, s1
	v_lshlrev_b32_e32 v21, 2, v1
	v_lshl_or_b32 v20, v20, 4, v21
	v_mov_b32_e32 v21, 1
	ds_add_u32 v20, v21 offset:28672
.LBB1517_138:
	s_or_b64 exec, exec, s[12:13]
	v_cmp_le_u32_e32 vcc, s11, v34
	s_or_b64 s[0:1], s[2:3], vcc
	v_xor_b32_e32 v19, 0x80000000, v19
	s_xor_b64 s[12:13], s[0:1], -1
	v_mov_b32_e32 v20, s18
	s_and_saveexec_b64 s[0:1], s[12:13]
	s_cbranch_execz .LBB1517_140
; %bb.139:
	s_sub_i32 s12, s9, s8
	s_min_u32 s12, s12, 8
	v_lshrrev_b64 v[20:21], s8, v[18:19]
	v_bfe_u32 v20, v20, 0, s12
	v_lshlrev_b32_e32 v21, 2, v1
	v_lshl_or_b32 v20, v20, 4, v21
	v_mov_b32_e32 v21, 1
	ds_add_u32 v20, v21
	v_mov_b32_e32 v20, 0
.LBB1517_140:
	s_or_b64 exec, exec, s[0:1]
	v_cmp_gt_i32_e64 s[0:1], 10, v20
	s_mov_b64 s[14:15], -1
	s_and_saveexec_b64 s[12:13], s[0:1]
; %bb.141:
	v_cmp_eq_u32_e64 s[0:1], 0, v20
	s_orn2_b64 s[14:15], s[0:1], exec
; %bb.142:
	s_or_b64 exec, exec, s[12:13]
	s_and_saveexec_b64 s[12:13], s[14:15]
	s_cbranch_execz .LBB1517_175
; %bb.143:
	s_add_i32 s14, s8, 8
	s_cmp_le_u32 s9, s14
	s_cselect_b64 s[0:1], -1, 0
	s_and_b64 s[16:17], s[0:1], exec
	s_cselect_b32 s15, 8, 10
	s_or_b64 s[0:1], s[0:1], vcc
	s_xor_b64 s[16:17], s[0:1], -1
	v_mov_b32_e32 v20, s15
	s_and_saveexec_b64 s[0:1], s[16:17]
	s_cbranch_execz .LBB1517_145
; %bb.144:
	s_sub_i32 s15, s9, s14
	s_min_u32 s15, s15, 8
	v_lshrrev_b64 v[20:21], s14, v[18:19]
	v_bfe_u32 v20, v20, 0, s15
	v_lshlrev_b32_e32 v21, 2, v1
	v_lshl_or_b32 v20, v20, 4, v21
	v_mov_b32_e32 v21, 1
	ds_add_u32 v20, v21 offset:4096
	v_mov_b32_e32 v20, 0
.LBB1517_145:
	s_or_b64 exec, exec, s[0:1]
	v_cmp_gt_i32_e64 s[0:1], 10, v20
	s_mov_b64 s[14:15], -1
	s_and_saveexec_b64 s[16:17], s[0:1]
; %bb.146:
	v_cmp_eq_u32_e64 s[0:1], 0, v20
	s_orn2_b64 s[14:15], s[0:1], exec
; %bb.147:
	s_or_b64 exec, exec, s[16:17]
	s_and_b64 exec, exec, s[14:15]
	s_cbranch_execz .LBB1517_175
; %bb.148:
	s_add_i32 s14, s8, 16
	s_cmp_le_u32 s9, s14
	s_cselect_b64 s[0:1], -1, 0
	s_and_b64 s[16:17], s[0:1], exec
	s_cselect_b32 s15, 8, 10
	s_or_b64 s[0:1], s[0:1], vcc
	s_xor_b64 s[16:17], s[0:1], -1
	v_mov_b32_e32 v20, s15
	s_and_saveexec_b64 s[0:1], s[16:17]
	s_cbranch_execz .LBB1517_150
; %bb.149:
	s_sub_i32 s15, s9, s14
	s_min_u32 s15, s15, 8
	v_lshrrev_b64 v[20:21], s14, v[18:19]
	v_bfe_u32 v20, v20, 0, s15
	v_lshlrev_b32_e32 v21, 2, v1
	v_lshl_or_b32 v20, v20, 4, v21
	v_mov_b32_e32 v21, 1
	ds_add_u32 v20, v21 offset:8192
	v_mov_b32_e32 v20, 0
.LBB1517_150:
	s_or_b64 exec, exec, s[0:1]
	v_cmp_gt_i32_e64 s[0:1], 10, v20
	s_mov_b64 s[14:15], -1
	s_and_saveexec_b64 s[16:17], s[0:1]
; %bb.151:
	v_cmp_eq_u32_e64 s[0:1], 0, v20
	s_orn2_b64 s[14:15], s[0:1], exec
; %bb.152:
	s_or_b64 exec, exec, s[16:17]
	s_and_b64 exec, exec, s[14:15]
	s_cbranch_execz .LBB1517_175
; %bb.153:
	s_add_i32 s14, s8, 24
	s_cmp_le_u32 s9, s14
	s_cselect_b64 s[0:1], -1, 0
	s_and_b64 s[16:17], s[0:1], exec
	s_cselect_b32 s15, 8, 10
	s_or_b64 s[0:1], s[0:1], vcc
	s_xor_b64 s[16:17], s[0:1], -1
	v_mov_b32_e32 v20, s15
	s_and_saveexec_b64 s[0:1], s[16:17]
	s_cbranch_execz .LBB1517_155
; %bb.154:
	s_sub_i32 s15, s9, s14
	s_min_u32 s15, s15, 8
	v_lshrrev_b64 v[20:21], s14, v[18:19]
	v_bfe_u32 v20, v20, 0, s15
	v_lshlrev_b32_e32 v21, 2, v1
	v_lshl_or_b32 v20, v20, 4, v21
	v_mov_b32_e32 v21, 1
	ds_add_u32 v20, v21 offset:12288
	v_mov_b32_e32 v20, 0
.LBB1517_155:
	s_or_b64 exec, exec, s[0:1]
	v_cmp_gt_i32_e64 s[0:1], 10, v20
	s_mov_b64 s[14:15], -1
	s_and_saveexec_b64 s[16:17], s[0:1]
; %bb.156:
	v_cmp_eq_u32_e64 s[0:1], 0, v20
	s_orn2_b64 s[14:15], s[0:1], exec
; %bb.157:
	s_or_b64 exec, exec, s[16:17]
	s_and_b64 exec, exec, s[14:15]
	s_cbranch_execz .LBB1517_175
; %bb.158:
	s_add_i32 s14, s8, 32
	s_cmp_le_u32 s9, s14
	s_cselect_b64 s[0:1], -1, 0
	s_and_b64 s[16:17], s[0:1], exec
	s_cselect_b32 s15, 8, 10
	s_or_b64 s[0:1], s[0:1], vcc
	s_xor_b64 s[16:17], s[0:1], -1
	v_mov_b32_e32 v20, s15
	s_and_saveexec_b64 s[0:1], s[16:17]
	s_cbranch_execz .LBB1517_160
; %bb.159:
	s_sub_i32 s15, s9, s14
	s_min_u32 s15, s15, 8
	v_lshrrev_b64 v[20:21], s14, v[18:19]
	v_bfe_u32 v20, v20, 0, s15
	v_lshlrev_b32_e32 v21, 2, v1
	v_lshl_or_b32 v20, v20, 4, v21
	v_mov_b32_e32 v21, 1
	ds_add_u32 v20, v21 offset:16384
	v_mov_b32_e32 v20, 0
.LBB1517_160:
	s_or_b64 exec, exec, s[0:1]
	v_cmp_gt_i32_e64 s[0:1], 10, v20
	s_mov_b64 s[14:15], -1
	s_and_saveexec_b64 s[16:17], s[0:1]
; %bb.161:
	v_cmp_eq_u32_e64 s[0:1], 0, v20
	s_orn2_b64 s[14:15], s[0:1], exec
; %bb.162:
	s_or_b64 exec, exec, s[16:17]
	s_and_b64 exec, exec, s[14:15]
	s_cbranch_execz .LBB1517_175
; %bb.163:
	s_add_i32 s14, s8, 40
	s_cmp_le_u32 s9, s14
	s_cselect_b64 s[0:1], -1, 0
	s_and_b64 s[16:17], s[0:1], exec
	s_cselect_b32 s15, 8, 10
	s_or_b64 s[0:1], s[0:1], vcc
	s_xor_b64 s[16:17], s[0:1], -1
	v_mov_b32_e32 v20, s15
	s_and_saveexec_b64 s[0:1], s[16:17]
	s_cbranch_execz .LBB1517_165
; %bb.164:
	s_sub_i32 s15, s9, s14
	s_min_u32 s15, s15, 8
	v_lshrrev_b64 v[20:21], s14, v[18:19]
	v_bfe_u32 v20, v20, 0, s15
	v_lshlrev_b32_e32 v21, 2, v1
	v_lshl_or_b32 v20, v20, 4, v21
	v_mov_b32_e32 v21, 1
	ds_add_u32 v20, v21 offset:20480
	v_mov_b32_e32 v20, 0
.LBB1517_165:
	s_or_b64 exec, exec, s[0:1]
	v_cmp_gt_i32_e64 s[0:1], 10, v20
	s_mov_b64 s[14:15], -1
	s_and_saveexec_b64 s[16:17], s[0:1]
; %bb.166:
	v_cmp_eq_u32_e64 s[0:1], 0, v20
	s_orn2_b64 s[14:15], s[0:1], exec
; %bb.167:
	s_or_b64 exec, exec, s[16:17]
	s_and_b64 exec, exec, s[14:15]
	s_cbranch_execz .LBB1517_175
; %bb.168:
	s_add_i32 s14, s8, 48
	s_cmp_le_u32 s9, s14
	s_cselect_b64 s[0:1], -1, 0
	s_and_b64 s[16:17], s[0:1], exec
	s_cselect_b32 s15, 8, 10
	s_or_b64 s[0:1], s[0:1], vcc
	s_xor_b64 s[16:17], s[0:1], -1
	v_mov_b32_e32 v20, s15
	s_and_saveexec_b64 s[0:1], s[16:17]
	s_cbranch_execz .LBB1517_170
; %bb.169:
	s_sub_i32 s15, s9, s14
	s_min_u32 s15, s15, 8
	v_lshrrev_b64 v[20:21], s14, v[18:19]
	v_bfe_u32 v20, v20, 0, s15
	v_lshlrev_b32_e32 v21, 2, v1
	v_lshl_or_b32 v20, v20, 4, v21
	v_mov_b32_e32 v21, 1
	ds_add_u32 v20, v21 offset:24576
	v_mov_b32_e32 v20, 0
.LBB1517_170:
	s_or_b64 exec, exec, s[0:1]
	v_cmp_gt_i32_e64 s[0:1], 10, v20
	s_mov_b64 s[14:15], -1
	s_and_saveexec_b64 s[16:17], s[0:1]
; %bb.171:
	v_cmp_eq_u32_e64 s[0:1], 0, v20
	s_orn2_b64 s[14:15], s[0:1], exec
; %bb.172:
	s_or_b64 exec, exec, s[16:17]
	s_and_b64 exec, exec, s[14:15]
	s_cbranch_execz .LBB1517_175
; %bb.173:
	s_add_i32 s0, s8, 56
	s_cmp_gt_u32 s9, s0
	s_cselect_b64 s[14:15], -1, 0
	s_xor_b64 s[16:17], vcc, -1
	s_and_b64 s[14:15], s[14:15], s[16:17]
	s_and_b64 exec, exec, s[14:15]
	s_cbranch_execz .LBB1517_175
; %bb.174:
	s_sub_i32 s1, s9, s0
	s_min_u32 s1, s1, 8
	v_lshrrev_b64 v[18:19], s0, v[18:19]
	v_bfe_u32 v18, v18, 0, s1
	v_lshlrev_b32_e32 v19, 2, v1
	v_lshl_or_b32 v18, v18, 4, v19
	v_mov_b32_e32 v19, 1
	ds_add_u32 v18, v19 offset:28672
.LBB1517_175:
	s_or_b64 exec, exec, s[12:13]
	v_cmp_le_u32_e32 vcc, s11, v33
	s_or_b64 s[0:1], s[2:3], vcc
	v_xor_b32_e32 v17, 0x80000000, v17
	s_xor_b64 s[12:13], s[0:1], -1
	v_mov_b32_e32 v18, s18
	s_and_saveexec_b64 s[0:1], s[12:13]
	s_cbranch_execz .LBB1517_177
; %bb.176:
	s_sub_i32 s12, s9, s8
	s_min_u32 s12, s12, 8
	v_lshrrev_b64 v[18:19], s8, v[16:17]
	v_bfe_u32 v18, v18, 0, s12
	v_lshlrev_b32_e32 v19, 2, v1
	v_lshl_or_b32 v18, v18, 4, v19
	v_mov_b32_e32 v19, 1
	ds_add_u32 v18, v19
	v_mov_b32_e32 v18, 0
.LBB1517_177:
	s_or_b64 exec, exec, s[0:1]
	v_cmp_gt_i32_e64 s[0:1], 10, v18
	s_mov_b64 s[14:15], -1
	s_and_saveexec_b64 s[12:13], s[0:1]
; %bb.178:
	v_cmp_eq_u32_e64 s[0:1], 0, v18
	s_orn2_b64 s[14:15], s[0:1], exec
; %bb.179:
	s_or_b64 exec, exec, s[12:13]
	s_and_saveexec_b64 s[12:13], s[14:15]
	s_cbranch_execz .LBB1517_212
; %bb.180:
	s_add_i32 s14, s8, 8
	s_cmp_le_u32 s9, s14
	s_cselect_b64 s[0:1], -1, 0
	s_and_b64 s[16:17], s[0:1], exec
	s_cselect_b32 s15, 8, 10
	s_or_b64 s[0:1], s[0:1], vcc
	s_xor_b64 s[16:17], s[0:1], -1
	v_mov_b32_e32 v18, s15
	s_and_saveexec_b64 s[0:1], s[16:17]
	s_cbranch_execz .LBB1517_182
; %bb.181:
	s_sub_i32 s15, s9, s14
	s_min_u32 s15, s15, 8
	v_lshrrev_b64 v[18:19], s14, v[16:17]
	v_bfe_u32 v18, v18, 0, s15
	v_lshlrev_b32_e32 v19, 2, v1
	v_lshl_or_b32 v18, v18, 4, v19
	v_mov_b32_e32 v19, 1
	ds_add_u32 v18, v19 offset:4096
	v_mov_b32_e32 v18, 0
.LBB1517_182:
	s_or_b64 exec, exec, s[0:1]
	v_cmp_gt_i32_e64 s[0:1], 10, v18
	s_mov_b64 s[14:15], -1
	s_and_saveexec_b64 s[16:17], s[0:1]
; %bb.183:
	v_cmp_eq_u32_e64 s[0:1], 0, v18
	s_orn2_b64 s[14:15], s[0:1], exec
; %bb.184:
	s_or_b64 exec, exec, s[16:17]
	s_and_b64 exec, exec, s[14:15]
	s_cbranch_execz .LBB1517_212
; %bb.185:
	s_add_i32 s14, s8, 16
	s_cmp_le_u32 s9, s14
	s_cselect_b64 s[0:1], -1, 0
	s_and_b64 s[16:17], s[0:1], exec
	s_cselect_b32 s15, 8, 10
	s_or_b64 s[0:1], s[0:1], vcc
	s_xor_b64 s[16:17], s[0:1], -1
	v_mov_b32_e32 v18, s15
	s_and_saveexec_b64 s[0:1], s[16:17]
	s_cbranch_execz .LBB1517_187
; %bb.186:
	s_sub_i32 s15, s9, s14
	s_min_u32 s15, s15, 8
	v_lshrrev_b64 v[18:19], s14, v[16:17]
	v_bfe_u32 v18, v18, 0, s15
	v_lshlrev_b32_e32 v19, 2, v1
	v_lshl_or_b32 v18, v18, 4, v19
	v_mov_b32_e32 v19, 1
	ds_add_u32 v18, v19 offset:8192
	v_mov_b32_e32 v18, 0
.LBB1517_187:
	s_or_b64 exec, exec, s[0:1]
	v_cmp_gt_i32_e64 s[0:1], 10, v18
	s_mov_b64 s[14:15], -1
	s_and_saveexec_b64 s[16:17], s[0:1]
; %bb.188:
	v_cmp_eq_u32_e64 s[0:1], 0, v18
	s_orn2_b64 s[14:15], s[0:1], exec
; %bb.189:
	s_or_b64 exec, exec, s[16:17]
	s_and_b64 exec, exec, s[14:15]
	;; [unrolled: 33-line block ×6, first 2 shown]
	s_cbranch_execz .LBB1517_212
; %bb.210:
	s_add_i32 s0, s8, 56
	s_cmp_gt_u32 s9, s0
	s_cselect_b64 s[14:15], -1, 0
	s_xor_b64 s[16:17], vcc, -1
	s_and_b64 s[14:15], s[14:15], s[16:17]
	s_and_b64 exec, exec, s[14:15]
	s_cbranch_execz .LBB1517_212
; %bb.211:
	s_sub_i32 s1, s9, s0
	s_min_u32 s1, s1, 8
	v_lshrrev_b64 v[16:17], s0, v[16:17]
	v_bfe_u32 v16, v16, 0, s1
	v_lshlrev_b32_e32 v17, 2, v1
	v_lshl_or_b32 v16, v16, 4, v17
	v_mov_b32_e32 v17, 1
	ds_add_u32 v16, v17 offset:28672
.LBB1517_212:
	s_or_b64 exec, exec, s[12:13]
	v_cmp_le_u32_e32 vcc, s11, v32
	s_or_b64 s[0:1], s[2:3], vcc
	v_xor_b32_e32 v15, 0x80000000, v15
	s_xor_b64 s[12:13], s[0:1], -1
	v_mov_b32_e32 v16, s18
	s_and_saveexec_b64 s[0:1], s[12:13]
	s_cbranch_execz .LBB1517_214
; %bb.213:
	s_sub_i32 s12, s9, s8
	s_min_u32 s12, s12, 8
	v_lshrrev_b64 v[16:17], s8, v[14:15]
	v_bfe_u32 v16, v16, 0, s12
	v_lshlrev_b32_e32 v17, 2, v1
	v_lshl_or_b32 v16, v16, 4, v17
	v_mov_b32_e32 v17, 1
	ds_add_u32 v16, v17
	v_mov_b32_e32 v16, 0
.LBB1517_214:
	s_or_b64 exec, exec, s[0:1]
	v_cmp_gt_i32_e64 s[0:1], 10, v16
	s_mov_b64 s[14:15], -1
	s_and_saveexec_b64 s[12:13], s[0:1]
; %bb.215:
	v_cmp_eq_u32_e64 s[0:1], 0, v16
	s_orn2_b64 s[14:15], s[0:1], exec
; %bb.216:
	s_or_b64 exec, exec, s[12:13]
	s_and_saveexec_b64 s[12:13], s[14:15]
	s_cbranch_execz .LBB1517_249
; %bb.217:
	s_add_i32 s14, s8, 8
	s_cmp_le_u32 s9, s14
	s_cselect_b64 s[0:1], -1, 0
	s_and_b64 s[16:17], s[0:1], exec
	s_cselect_b32 s15, 8, 10
	s_or_b64 s[0:1], s[0:1], vcc
	s_xor_b64 s[16:17], s[0:1], -1
	v_mov_b32_e32 v16, s15
	s_and_saveexec_b64 s[0:1], s[16:17]
	s_cbranch_execz .LBB1517_219
; %bb.218:
	s_sub_i32 s15, s9, s14
	s_min_u32 s15, s15, 8
	v_lshrrev_b64 v[16:17], s14, v[14:15]
	v_bfe_u32 v16, v16, 0, s15
	v_lshlrev_b32_e32 v17, 2, v1
	v_lshl_or_b32 v16, v16, 4, v17
	v_mov_b32_e32 v17, 1
	ds_add_u32 v16, v17 offset:4096
	v_mov_b32_e32 v16, 0
.LBB1517_219:
	s_or_b64 exec, exec, s[0:1]
	v_cmp_gt_i32_e64 s[0:1], 10, v16
	s_mov_b64 s[14:15], -1
	s_and_saveexec_b64 s[16:17], s[0:1]
; %bb.220:
	v_cmp_eq_u32_e64 s[0:1], 0, v16
	s_orn2_b64 s[14:15], s[0:1], exec
; %bb.221:
	s_or_b64 exec, exec, s[16:17]
	s_and_b64 exec, exec, s[14:15]
	s_cbranch_execz .LBB1517_249
; %bb.222:
	s_add_i32 s14, s8, 16
	s_cmp_le_u32 s9, s14
	s_cselect_b64 s[0:1], -1, 0
	s_and_b64 s[16:17], s[0:1], exec
	s_cselect_b32 s15, 8, 10
	s_or_b64 s[0:1], s[0:1], vcc
	s_xor_b64 s[16:17], s[0:1], -1
	v_mov_b32_e32 v16, s15
	s_and_saveexec_b64 s[0:1], s[16:17]
	s_cbranch_execz .LBB1517_224
; %bb.223:
	s_sub_i32 s15, s9, s14
	s_min_u32 s15, s15, 8
	v_lshrrev_b64 v[16:17], s14, v[14:15]
	v_bfe_u32 v16, v16, 0, s15
	v_lshlrev_b32_e32 v17, 2, v1
	v_lshl_or_b32 v16, v16, 4, v17
	v_mov_b32_e32 v17, 1
	ds_add_u32 v16, v17 offset:8192
	v_mov_b32_e32 v16, 0
.LBB1517_224:
	s_or_b64 exec, exec, s[0:1]
	v_cmp_gt_i32_e64 s[0:1], 10, v16
	s_mov_b64 s[14:15], -1
	s_and_saveexec_b64 s[16:17], s[0:1]
; %bb.225:
	v_cmp_eq_u32_e64 s[0:1], 0, v16
	s_orn2_b64 s[14:15], s[0:1], exec
; %bb.226:
	s_or_b64 exec, exec, s[16:17]
	s_and_b64 exec, exec, s[14:15]
	;; [unrolled: 33-line block ×6, first 2 shown]
	s_cbranch_execz .LBB1517_249
; %bb.247:
	s_add_i32 s0, s8, 56
	s_cmp_gt_u32 s9, s0
	s_cselect_b64 s[14:15], -1, 0
	s_xor_b64 s[16:17], vcc, -1
	s_and_b64 s[14:15], s[14:15], s[16:17]
	s_and_b64 exec, exec, s[14:15]
	s_cbranch_execz .LBB1517_249
; %bb.248:
	s_sub_i32 s1, s9, s0
	s_min_u32 s1, s1, 8
	v_lshrrev_b64 v[14:15], s0, v[14:15]
	v_bfe_u32 v14, v14, 0, s1
	v_lshlrev_b32_e32 v15, 2, v1
	v_lshl_or_b32 v14, v14, 4, v15
	v_mov_b32_e32 v15, 1
	ds_add_u32 v14, v15 offset:28672
.LBB1517_249:
	s_or_b64 exec, exec, s[12:13]
	v_cmp_le_u32_e32 vcc, s11, v31
	s_or_b64 s[0:1], s[2:3], vcc
	v_xor_b32_e32 v13, 0x80000000, v13
	s_xor_b64 s[12:13], s[0:1], -1
	v_mov_b32_e32 v14, s18
	s_and_saveexec_b64 s[0:1], s[12:13]
	s_cbranch_execz .LBB1517_251
; %bb.250:
	s_sub_i32 s12, s9, s8
	s_min_u32 s12, s12, 8
	v_lshrrev_b64 v[14:15], s8, v[12:13]
	v_bfe_u32 v14, v14, 0, s12
	v_lshlrev_b32_e32 v15, 2, v1
	v_lshl_or_b32 v14, v14, 4, v15
	v_mov_b32_e32 v15, 1
	ds_add_u32 v14, v15
	v_mov_b32_e32 v14, 0
.LBB1517_251:
	s_or_b64 exec, exec, s[0:1]
	v_cmp_gt_i32_e64 s[0:1], 10, v14
	s_mov_b64 s[14:15], -1
	s_and_saveexec_b64 s[12:13], s[0:1]
; %bb.252:
	v_cmp_eq_u32_e64 s[0:1], 0, v14
	s_orn2_b64 s[14:15], s[0:1], exec
; %bb.253:
	s_or_b64 exec, exec, s[12:13]
	s_and_saveexec_b64 s[12:13], s[14:15]
	s_cbranch_execz .LBB1517_286
; %bb.254:
	s_add_i32 s14, s8, 8
	s_cmp_le_u32 s9, s14
	s_cselect_b64 s[0:1], -1, 0
	s_and_b64 s[16:17], s[0:1], exec
	s_cselect_b32 s15, 8, 10
	s_or_b64 s[0:1], s[0:1], vcc
	s_xor_b64 s[16:17], s[0:1], -1
	v_mov_b32_e32 v14, s15
	s_and_saveexec_b64 s[0:1], s[16:17]
	s_cbranch_execz .LBB1517_256
; %bb.255:
	s_sub_i32 s15, s9, s14
	s_min_u32 s15, s15, 8
	v_lshrrev_b64 v[14:15], s14, v[12:13]
	v_bfe_u32 v14, v14, 0, s15
	v_lshlrev_b32_e32 v15, 2, v1
	v_lshl_or_b32 v14, v14, 4, v15
	v_mov_b32_e32 v15, 1
	ds_add_u32 v14, v15 offset:4096
	v_mov_b32_e32 v14, 0
.LBB1517_256:
	s_or_b64 exec, exec, s[0:1]
	v_cmp_gt_i32_e64 s[0:1], 10, v14
	s_mov_b64 s[14:15], -1
	s_and_saveexec_b64 s[16:17], s[0:1]
; %bb.257:
	v_cmp_eq_u32_e64 s[0:1], 0, v14
	s_orn2_b64 s[14:15], s[0:1], exec
; %bb.258:
	s_or_b64 exec, exec, s[16:17]
	s_and_b64 exec, exec, s[14:15]
	s_cbranch_execz .LBB1517_286
; %bb.259:
	s_add_i32 s14, s8, 16
	s_cmp_le_u32 s9, s14
	s_cselect_b64 s[0:1], -1, 0
	s_and_b64 s[16:17], s[0:1], exec
	s_cselect_b32 s15, 8, 10
	s_or_b64 s[0:1], s[0:1], vcc
	s_xor_b64 s[16:17], s[0:1], -1
	v_mov_b32_e32 v14, s15
	s_and_saveexec_b64 s[0:1], s[16:17]
	s_cbranch_execz .LBB1517_261
; %bb.260:
	s_sub_i32 s15, s9, s14
	s_min_u32 s15, s15, 8
	v_lshrrev_b64 v[14:15], s14, v[12:13]
	v_bfe_u32 v14, v14, 0, s15
	v_lshlrev_b32_e32 v15, 2, v1
	v_lshl_or_b32 v14, v14, 4, v15
	v_mov_b32_e32 v15, 1
	ds_add_u32 v14, v15 offset:8192
	v_mov_b32_e32 v14, 0
.LBB1517_261:
	s_or_b64 exec, exec, s[0:1]
	v_cmp_gt_i32_e64 s[0:1], 10, v14
	s_mov_b64 s[14:15], -1
	s_and_saveexec_b64 s[16:17], s[0:1]
; %bb.262:
	v_cmp_eq_u32_e64 s[0:1], 0, v14
	s_orn2_b64 s[14:15], s[0:1], exec
; %bb.263:
	s_or_b64 exec, exec, s[16:17]
	s_and_b64 exec, exec, s[14:15]
	;; [unrolled: 33-line block ×6, first 2 shown]
	s_cbranch_execz .LBB1517_286
; %bb.284:
	s_add_i32 s0, s8, 56
	s_cmp_gt_u32 s9, s0
	s_cselect_b64 s[14:15], -1, 0
	s_xor_b64 s[16:17], vcc, -1
	s_and_b64 s[14:15], s[14:15], s[16:17]
	s_and_b64 exec, exec, s[14:15]
	s_cbranch_execz .LBB1517_286
; %bb.285:
	s_sub_i32 s1, s9, s0
	s_min_u32 s1, s1, 8
	v_lshrrev_b64 v[12:13], s0, v[12:13]
	v_bfe_u32 v12, v12, 0, s1
	v_lshlrev_b32_e32 v13, 2, v1
	v_lshl_or_b32 v12, v12, 4, v13
	v_mov_b32_e32 v13, 1
	ds_add_u32 v12, v13 offset:28672
.LBB1517_286:
	s_or_b64 exec, exec, s[12:13]
	v_cmp_le_u32_e32 vcc, s11, v30
	s_or_b64 s[0:1], s[2:3], vcc
	v_xor_b32_e32 v11, 0x80000000, v11
	s_xor_b64 s[12:13], s[0:1], -1
	v_mov_b32_e32 v12, s18
	s_and_saveexec_b64 s[0:1], s[12:13]
	s_cbranch_execz .LBB1517_288
; %bb.287:
	s_sub_i32 s12, s9, s8
	s_min_u32 s12, s12, 8
	v_lshrrev_b64 v[12:13], s8, v[10:11]
	v_bfe_u32 v12, v12, 0, s12
	v_lshlrev_b32_e32 v13, 2, v1
	v_lshl_or_b32 v12, v12, 4, v13
	v_mov_b32_e32 v13, 1
	ds_add_u32 v12, v13
	v_mov_b32_e32 v12, 0
.LBB1517_288:
	s_or_b64 exec, exec, s[0:1]
	v_cmp_gt_i32_e64 s[0:1], 10, v12
	s_mov_b64 s[14:15], -1
	s_and_saveexec_b64 s[12:13], s[0:1]
; %bb.289:
	v_cmp_eq_u32_e64 s[0:1], 0, v12
	s_orn2_b64 s[14:15], s[0:1], exec
; %bb.290:
	s_or_b64 exec, exec, s[12:13]
	s_and_saveexec_b64 s[12:13], s[14:15]
	s_cbranch_execz .LBB1517_323
; %bb.291:
	s_add_i32 s14, s8, 8
	s_cmp_le_u32 s9, s14
	s_cselect_b64 s[0:1], -1, 0
	s_and_b64 s[16:17], s[0:1], exec
	s_cselect_b32 s15, 8, 10
	s_or_b64 s[0:1], s[0:1], vcc
	s_xor_b64 s[16:17], s[0:1], -1
	v_mov_b32_e32 v12, s15
	s_and_saveexec_b64 s[0:1], s[16:17]
	s_cbranch_execz .LBB1517_293
; %bb.292:
	s_sub_i32 s15, s9, s14
	s_min_u32 s15, s15, 8
	v_lshrrev_b64 v[12:13], s14, v[10:11]
	v_bfe_u32 v12, v12, 0, s15
	v_lshlrev_b32_e32 v13, 2, v1
	v_lshl_or_b32 v12, v12, 4, v13
	v_mov_b32_e32 v13, 1
	ds_add_u32 v12, v13 offset:4096
	v_mov_b32_e32 v12, 0
.LBB1517_293:
	s_or_b64 exec, exec, s[0:1]
	v_cmp_gt_i32_e64 s[0:1], 10, v12
	s_mov_b64 s[14:15], -1
	s_and_saveexec_b64 s[16:17], s[0:1]
; %bb.294:
	v_cmp_eq_u32_e64 s[0:1], 0, v12
	s_orn2_b64 s[14:15], s[0:1], exec
; %bb.295:
	s_or_b64 exec, exec, s[16:17]
	s_and_b64 exec, exec, s[14:15]
	s_cbranch_execz .LBB1517_323
; %bb.296:
	s_add_i32 s14, s8, 16
	s_cmp_le_u32 s9, s14
	s_cselect_b64 s[0:1], -1, 0
	s_and_b64 s[16:17], s[0:1], exec
	s_cselect_b32 s15, 8, 10
	s_or_b64 s[0:1], s[0:1], vcc
	s_xor_b64 s[16:17], s[0:1], -1
	v_mov_b32_e32 v12, s15
	s_and_saveexec_b64 s[0:1], s[16:17]
	s_cbranch_execz .LBB1517_298
; %bb.297:
	s_sub_i32 s15, s9, s14
	s_min_u32 s15, s15, 8
	v_lshrrev_b64 v[12:13], s14, v[10:11]
	v_bfe_u32 v12, v12, 0, s15
	v_lshlrev_b32_e32 v13, 2, v1
	v_lshl_or_b32 v12, v12, 4, v13
	v_mov_b32_e32 v13, 1
	ds_add_u32 v12, v13 offset:8192
	v_mov_b32_e32 v12, 0
.LBB1517_298:
	s_or_b64 exec, exec, s[0:1]
	v_cmp_gt_i32_e64 s[0:1], 10, v12
	s_mov_b64 s[14:15], -1
	s_and_saveexec_b64 s[16:17], s[0:1]
; %bb.299:
	v_cmp_eq_u32_e64 s[0:1], 0, v12
	s_orn2_b64 s[14:15], s[0:1], exec
; %bb.300:
	s_or_b64 exec, exec, s[16:17]
	s_and_b64 exec, exec, s[14:15]
	;; [unrolled: 33-line block ×6, first 2 shown]
	s_cbranch_execz .LBB1517_323
; %bb.321:
	s_add_i32 s0, s8, 56
	s_cmp_gt_u32 s9, s0
	s_cselect_b64 s[14:15], -1, 0
	s_xor_b64 s[16:17], vcc, -1
	s_and_b64 s[14:15], s[14:15], s[16:17]
	s_and_b64 exec, exec, s[14:15]
	s_cbranch_execz .LBB1517_323
; %bb.322:
	s_sub_i32 s1, s9, s0
	s_min_u32 s1, s1, 8
	v_lshrrev_b64 v[10:11], s0, v[10:11]
	v_bfe_u32 v10, v10, 0, s1
	v_lshlrev_b32_e32 v11, 2, v1
	v_lshl_or_b32 v10, v10, 4, v11
	v_mov_b32_e32 v11, 1
	ds_add_u32 v10, v11 offset:28672
.LBB1517_323:
	s_or_b64 exec, exec, s[12:13]
	v_cmp_le_u32_e32 vcc, s11, v29
	s_or_b64 s[0:1], s[2:3], vcc
	v_xor_b32_e32 v9, 0x80000000, v9
	s_xor_b64 s[12:13], s[0:1], -1
	v_mov_b32_e32 v10, s18
	s_and_saveexec_b64 s[0:1], s[12:13]
	s_cbranch_execz .LBB1517_325
; %bb.324:
	s_sub_i32 s12, s9, s8
	s_min_u32 s12, s12, 8
	v_lshrrev_b64 v[10:11], s8, v[8:9]
	v_bfe_u32 v10, v10, 0, s12
	v_lshlrev_b32_e32 v11, 2, v1
	v_lshl_or_b32 v10, v10, 4, v11
	v_mov_b32_e32 v11, 1
	ds_add_u32 v10, v11
	v_mov_b32_e32 v10, 0
.LBB1517_325:
	s_or_b64 exec, exec, s[0:1]
	v_cmp_gt_i32_e64 s[0:1], 10, v10
	s_mov_b64 s[14:15], -1
	s_and_saveexec_b64 s[12:13], s[0:1]
; %bb.326:
	v_cmp_eq_u32_e64 s[0:1], 0, v10
	s_orn2_b64 s[14:15], s[0:1], exec
; %bb.327:
	s_or_b64 exec, exec, s[12:13]
	s_and_saveexec_b64 s[12:13], s[14:15]
	s_cbranch_execz .LBB1517_360
; %bb.328:
	s_add_i32 s14, s8, 8
	s_cmp_le_u32 s9, s14
	s_cselect_b64 s[0:1], -1, 0
	s_and_b64 s[16:17], s[0:1], exec
	s_cselect_b32 s15, 8, 10
	s_or_b64 s[0:1], s[0:1], vcc
	s_xor_b64 s[16:17], s[0:1], -1
	v_mov_b32_e32 v10, s15
	s_and_saveexec_b64 s[0:1], s[16:17]
	s_cbranch_execz .LBB1517_330
; %bb.329:
	s_sub_i32 s15, s9, s14
	s_min_u32 s15, s15, 8
	v_lshrrev_b64 v[10:11], s14, v[8:9]
	v_bfe_u32 v10, v10, 0, s15
	v_lshlrev_b32_e32 v11, 2, v1
	v_lshl_or_b32 v10, v10, 4, v11
	v_mov_b32_e32 v11, 1
	ds_add_u32 v10, v11 offset:4096
	v_mov_b32_e32 v10, 0
.LBB1517_330:
	s_or_b64 exec, exec, s[0:1]
	v_cmp_gt_i32_e64 s[0:1], 10, v10
	s_mov_b64 s[14:15], -1
	s_and_saveexec_b64 s[16:17], s[0:1]
; %bb.331:
	v_cmp_eq_u32_e64 s[0:1], 0, v10
	s_orn2_b64 s[14:15], s[0:1], exec
; %bb.332:
	s_or_b64 exec, exec, s[16:17]
	s_and_b64 exec, exec, s[14:15]
	s_cbranch_execz .LBB1517_360
; %bb.333:
	s_add_i32 s14, s8, 16
	s_cmp_le_u32 s9, s14
	s_cselect_b64 s[0:1], -1, 0
	s_and_b64 s[16:17], s[0:1], exec
	s_cselect_b32 s15, 8, 10
	s_or_b64 s[0:1], s[0:1], vcc
	s_xor_b64 s[16:17], s[0:1], -1
	v_mov_b32_e32 v10, s15
	s_and_saveexec_b64 s[0:1], s[16:17]
	s_cbranch_execz .LBB1517_335
; %bb.334:
	s_sub_i32 s15, s9, s14
	s_min_u32 s15, s15, 8
	v_lshrrev_b64 v[10:11], s14, v[8:9]
	v_bfe_u32 v10, v10, 0, s15
	v_lshlrev_b32_e32 v11, 2, v1
	v_lshl_or_b32 v10, v10, 4, v11
	v_mov_b32_e32 v11, 1
	ds_add_u32 v10, v11 offset:8192
	v_mov_b32_e32 v10, 0
.LBB1517_335:
	s_or_b64 exec, exec, s[0:1]
	v_cmp_gt_i32_e64 s[0:1], 10, v10
	s_mov_b64 s[14:15], -1
	s_and_saveexec_b64 s[16:17], s[0:1]
; %bb.336:
	v_cmp_eq_u32_e64 s[0:1], 0, v10
	s_orn2_b64 s[14:15], s[0:1], exec
; %bb.337:
	s_or_b64 exec, exec, s[16:17]
	s_and_b64 exec, exec, s[14:15]
	;; [unrolled: 33-line block ×6, first 2 shown]
	s_cbranch_execz .LBB1517_360
; %bb.358:
	s_add_i32 s0, s8, 56
	s_cmp_gt_u32 s9, s0
	s_cselect_b64 s[14:15], -1, 0
	s_xor_b64 s[16:17], vcc, -1
	s_and_b64 s[14:15], s[14:15], s[16:17]
	s_and_b64 exec, exec, s[14:15]
	s_cbranch_execz .LBB1517_360
; %bb.359:
	s_sub_i32 s1, s9, s0
	s_min_u32 s1, s1, 8
	v_lshrrev_b64 v[8:9], s0, v[8:9]
	v_bfe_u32 v8, v8, 0, s1
	v_lshlrev_b32_e32 v9, 2, v1
	v_lshl_or_b32 v8, v8, 4, v9
	v_mov_b32_e32 v9, 1
	ds_add_u32 v8, v9 offset:28672
.LBB1517_360:
	s_or_b64 exec, exec, s[12:13]
	v_cmp_le_u32_e32 vcc, s11, v28
	s_or_b64 s[0:1], s[2:3], vcc
	v_xor_b32_e32 v7, 0x80000000, v7
	s_xor_b64 s[12:13], s[0:1], -1
	v_mov_b32_e32 v8, s18
	s_and_saveexec_b64 s[0:1], s[12:13]
	s_cbranch_execz .LBB1517_362
; %bb.361:
	s_sub_i32 s12, s9, s8
	s_min_u32 s12, s12, 8
	v_lshrrev_b64 v[8:9], s8, v[6:7]
	v_bfe_u32 v8, v8, 0, s12
	v_lshlrev_b32_e32 v9, 2, v1
	v_lshl_or_b32 v8, v8, 4, v9
	v_mov_b32_e32 v9, 1
	ds_add_u32 v8, v9
	v_mov_b32_e32 v8, 0
.LBB1517_362:
	s_or_b64 exec, exec, s[0:1]
	v_cmp_gt_i32_e64 s[0:1], 10, v8
	s_mov_b64 s[14:15], -1
	s_and_saveexec_b64 s[12:13], s[0:1]
; %bb.363:
	v_cmp_eq_u32_e64 s[0:1], 0, v8
	s_orn2_b64 s[14:15], s[0:1], exec
; %bb.364:
	s_or_b64 exec, exec, s[12:13]
	s_and_saveexec_b64 s[12:13], s[14:15]
	s_cbranch_execz .LBB1517_397
; %bb.365:
	s_add_i32 s14, s8, 8
	s_cmp_le_u32 s9, s14
	s_cselect_b64 s[0:1], -1, 0
	s_and_b64 s[16:17], s[0:1], exec
	s_cselect_b32 s15, 8, 10
	s_or_b64 s[0:1], s[0:1], vcc
	s_xor_b64 s[16:17], s[0:1], -1
	v_mov_b32_e32 v8, s15
	s_and_saveexec_b64 s[0:1], s[16:17]
	s_cbranch_execz .LBB1517_367
; %bb.366:
	s_sub_i32 s15, s9, s14
	s_min_u32 s15, s15, 8
	v_lshrrev_b64 v[8:9], s14, v[6:7]
	v_bfe_u32 v8, v8, 0, s15
	v_lshlrev_b32_e32 v9, 2, v1
	v_lshl_or_b32 v8, v8, 4, v9
	v_mov_b32_e32 v9, 1
	ds_add_u32 v8, v9 offset:4096
	v_mov_b32_e32 v8, 0
.LBB1517_367:
	s_or_b64 exec, exec, s[0:1]
	v_cmp_gt_i32_e64 s[0:1], 10, v8
	s_mov_b64 s[14:15], -1
	s_and_saveexec_b64 s[16:17], s[0:1]
; %bb.368:
	v_cmp_eq_u32_e64 s[0:1], 0, v8
	s_orn2_b64 s[14:15], s[0:1], exec
; %bb.369:
	s_or_b64 exec, exec, s[16:17]
	s_and_b64 exec, exec, s[14:15]
	s_cbranch_execz .LBB1517_397
; %bb.370:
	s_add_i32 s14, s8, 16
	s_cmp_le_u32 s9, s14
	s_cselect_b64 s[0:1], -1, 0
	s_and_b64 s[16:17], s[0:1], exec
	s_cselect_b32 s15, 8, 10
	s_or_b64 s[0:1], s[0:1], vcc
	s_xor_b64 s[16:17], s[0:1], -1
	v_mov_b32_e32 v8, s15
	s_and_saveexec_b64 s[0:1], s[16:17]
	s_cbranch_execz .LBB1517_372
; %bb.371:
	s_sub_i32 s15, s9, s14
	s_min_u32 s15, s15, 8
	v_lshrrev_b64 v[8:9], s14, v[6:7]
	v_bfe_u32 v8, v8, 0, s15
	v_lshlrev_b32_e32 v9, 2, v1
	v_lshl_or_b32 v8, v8, 4, v9
	v_mov_b32_e32 v9, 1
	ds_add_u32 v8, v9 offset:8192
	v_mov_b32_e32 v8, 0
.LBB1517_372:
	s_or_b64 exec, exec, s[0:1]
	v_cmp_gt_i32_e64 s[0:1], 10, v8
	s_mov_b64 s[14:15], -1
	s_and_saveexec_b64 s[16:17], s[0:1]
; %bb.373:
	v_cmp_eq_u32_e64 s[0:1], 0, v8
	s_orn2_b64 s[14:15], s[0:1], exec
; %bb.374:
	s_or_b64 exec, exec, s[16:17]
	s_and_b64 exec, exec, s[14:15]
	;; [unrolled: 33-line block ×6, first 2 shown]
	s_cbranch_execz .LBB1517_397
; %bb.395:
	s_add_i32 s0, s8, 56
	s_cmp_gt_u32 s9, s0
	s_cselect_b64 s[14:15], -1, 0
	s_xor_b64 s[16:17], vcc, -1
	s_and_b64 s[14:15], s[14:15], s[16:17]
	s_and_b64 exec, exec, s[14:15]
	s_cbranch_execz .LBB1517_397
; %bb.396:
	s_sub_i32 s1, s9, s0
	s_min_u32 s1, s1, 8
	v_lshrrev_b64 v[6:7], s0, v[6:7]
	v_bfe_u32 v6, v6, 0, s1
	v_lshlrev_b32_e32 v7, 2, v1
	v_lshl_or_b32 v6, v6, 4, v7
	v_mov_b32_e32 v7, 1
	ds_add_u32 v6, v7 offset:28672
.LBB1517_397:
	s_or_b64 exec, exec, s[12:13]
	v_cmp_le_u32_e32 vcc, s11, v27
	s_or_b64 s[0:1], s[2:3], vcc
	v_xor_b32_e32 v5, 0x80000000, v5
	s_xor_b64 s[12:13], s[0:1], -1
	v_mov_b32_e32 v6, s18
	s_and_saveexec_b64 s[0:1], s[12:13]
	s_cbranch_execz .LBB1517_399
; %bb.398:
	s_sub_i32 s12, s9, s8
	s_min_u32 s12, s12, 8
	v_lshrrev_b64 v[6:7], s8, v[4:5]
	v_bfe_u32 v6, v6, 0, s12
	v_lshlrev_b32_e32 v7, 2, v1
	v_lshl_or_b32 v6, v6, 4, v7
	v_mov_b32_e32 v7, 1
	ds_add_u32 v6, v7
	v_mov_b32_e32 v6, 0
.LBB1517_399:
	s_or_b64 exec, exec, s[0:1]
	v_cmp_gt_i32_e64 s[0:1], 10, v6
	s_mov_b64 s[14:15], -1
	s_and_saveexec_b64 s[12:13], s[0:1]
; %bb.400:
	v_cmp_eq_u32_e64 s[0:1], 0, v6
	s_orn2_b64 s[14:15], s[0:1], exec
; %bb.401:
	s_or_b64 exec, exec, s[12:13]
	s_and_saveexec_b64 s[12:13], s[14:15]
	s_cbranch_execz .LBB1517_434
; %bb.402:
	s_add_i32 s14, s8, 8
	s_cmp_le_u32 s9, s14
	s_cselect_b64 s[0:1], -1, 0
	s_and_b64 s[16:17], s[0:1], exec
	s_cselect_b32 s15, 8, 10
	s_or_b64 s[0:1], s[0:1], vcc
	s_xor_b64 s[16:17], s[0:1], -1
	v_mov_b32_e32 v6, s15
	s_and_saveexec_b64 s[0:1], s[16:17]
	s_cbranch_execz .LBB1517_404
; %bb.403:
	s_sub_i32 s15, s9, s14
	s_min_u32 s15, s15, 8
	v_lshrrev_b64 v[6:7], s14, v[4:5]
	v_bfe_u32 v6, v6, 0, s15
	v_lshlrev_b32_e32 v7, 2, v1
	v_lshl_or_b32 v6, v6, 4, v7
	v_mov_b32_e32 v7, 1
	ds_add_u32 v6, v7 offset:4096
	v_mov_b32_e32 v6, 0
.LBB1517_404:
	s_or_b64 exec, exec, s[0:1]
	v_cmp_gt_i32_e64 s[0:1], 10, v6
	s_mov_b64 s[14:15], -1
	s_and_saveexec_b64 s[16:17], s[0:1]
; %bb.405:
	v_cmp_eq_u32_e64 s[0:1], 0, v6
	s_orn2_b64 s[14:15], s[0:1], exec
; %bb.406:
	s_or_b64 exec, exec, s[16:17]
	s_and_b64 exec, exec, s[14:15]
	s_cbranch_execz .LBB1517_434
; %bb.407:
	s_add_i32 s14, s8, 16
	s_cmp_le_u32 s9, s14
	s_cselect_b64 s[0:1], -1, 0
	s_and_b64 s[16:17], s[0:1], exec
	s_cselect_b32 s15, 8, 10
	s_or_b64 s[0:1], s[0:1], vcc
	s_xor_b64 s[16:17], s[0:1], -1
	v_mov_b32_e32 v6, s15
	s_and_saveexec_b64 s[0:1], s[16:17]
	s_cbranch_execz .LBB1517_409
; %bb.408:
	s_sub_i32 s15, s9, s14
	s_min_u32 s15, s15, 8
	v_lshrrev_b64 v[6:7], s14, v[4:5]
	v_bfe_u32 v6, v6, 0, s15
	v_lshlrev_b32_e32 v7, 2, v1
	v_lshl_or_b32 v6, v6, 4, v7
	v_mov_b32_e32 v7, 1
	ds_add_u32 v6, v7 offset:8192
	v_mov_b32_e32 v6, 0
.LBB1517_409:
	s_or_b64 exec, exec, s[0:1]
	v_cmp_gt_i32_e64 s[0:1], 10, v6
	s_mov_b64 s[14:15], -1
	s_and_saveexec_b64 s[16:17], s[0:1]
; %bb.410:
	v_cmp_eq_u32_e64 s[0:1], 0, v6
	s_orn2_b64 s[14:15], s[0:1], exec
; %bb.411:
	s_or_b64 exec, exec, s[16:17]
	s_and_b64 exec, exec, s[14:15]
	;; [unrolled: 33-line block ×6, first 2 shown]
	s_cbranch_execz .LBB1517_434
; %bb.432:
	s_add_i32 s0, s8, 56
	s_cmp_gt_u32 s9, s0
	s_cselect_b64 s[14:15], -1, 0
	s_xor_b64 s[16:17], vcc, -1
	s_and_b64 s[14:15], s[14:15], s[16:17]
	s_and_b64 exec, exec, s[14:15]
	s_cbranch_execz .LBB1517_434
; %bb.433:
	s_sub_i32 s1, s9, s0
	s_min_u32 s1, s1, 8
	v_lshrrev_b64 v[4:5], s0, v[4:5]
	v_bfe_u32 v4, v4, 0, s1
	v_lshlrev_b32_e32 v5, 2, v1
	v_lshl_or_b32 v4, v4, 4, v5
	v_mov_b32_e32 v5, 1
	ds_add_u32 v4, v5 offset:28672
.LBB1517_434:
	s_or_b64 exec, exec, s[12:13]
	v_cmp_le_u32_e32 vcc, s11, v26
	s_or_b64 s[0:1], s[2:3], vcc
	v_xor_b32_e32 v3, 0x80000000, v3
	s_xor_b64 s[2:3], s[0:1], -1
	v_mov_b32_e32 v4, s18
	s_and_saveexec_b64 s[0:1], s[2:3]
	s_cbranch_execz .LBB1517_436
; %bb.435:
	s_sub_i32 s2, s9, s8
	s_min_u32 s2, s2, 8
	v_lshrrev_b64 v[4:5], s8, v[2:3]
	v_bfe_u32 v4, v4, 0, s2
	v_lshlrev_b32_e32 v5, 2, v1
	v_lshl_or_b32 v4, v4, 4, v5
	v_mov_b32_e32 v5, 1
	ds_add_u32 v4, v5
	v_mov_b32_e32 v4, 0
.LBB1517_436:
	s_or_b64 exec, exec, s[0:1]
	v_cmp_gt_i32_e64 s[0:1], 10, v4
	s_mov_b64 s[12:13], -1
	s_and_saveexec_b64 s[2:3], s[0:1]
; %bb.437:
	v_cmp_eq_u32_e64 s[0:1], 0, v4
	s_orn2_b64 s[12:13], s[0:1], exec
; %bb.438:
	s_or_b64 exec, exec, s[2:3]
	s_and_saveexec_b64 s[2:3], s[12:13]
	s_cbranch_execz .LBB1517_471
; %bb.439:
	s_add_i32 s11, s8, 8
	s_cmp_le_u32 s9, s11
	s_cselect_b64 s[0:1], -1, 0
	s_and_b64 s[12:13], s[0:1], exec
	s_cselect_b32 s14, 8, 10
	s_or_b64 s[0:1], s[0:1], vcc
	s_xor_b64 s[12:13], s[0:1], -1
	v_mov_b32_e32 v4, s14
	s_and_saveexec_b64 s[0:1], s[12:13]
	s_cbranch_execz .LBB1517_441
; %bb.440:
	s_sub_i32 s12, s9, s11
	s_min_u32 s12, s12, 8
	v_lshrrev_b64 v[4:5], s11, v[2:3]
	v_bfe_u32 v4, v4, 0, s12
	v_lshlrev_b32_e32 v5, 2, v1
	v_lshl_or_b32 v4, v4, 4, v5
	v_mov_b32_e32 v5, 1
	ds_add_u32 v4, v5 offset:4096
	v_mov_b32_e32 v4, 0
.LBB1517_441:
	s_or_b64 exec, exec, s[0:1]
	v_cmp_gt_i32_e64 s[0:1], 10, v4
	s_mov_b64 s[12:13], -1
	s_and_saveexec_b64 s[14:15], s[0:1]
; %bb.442:
	v_cmp_eq_u32_e64 s[0:1], 0, v4
	s_orn2_b64 s[12:13], s[0:1], exec
; %bb.443:
	s_or_b64 exec, exec, s[14:15]
	s_and_b64 exec, exec, s[12:13]
	s_cbranch_execz .LBB1517_471
; %bb.444:
	s_add_i32 s11, s8, 16
	s_cmp_le_u32 s9, s11
	s_cselect_b64 s[0:1], -1, 0
	s_and_b64 s[12:13], s[0:1], exec
	s_cselect_b32 s14, 8, 10
	s_or_b64 s[0:1], s[0:1], vcc
	s_xor_b64 s[12:13], s[0:1], -1
	v_mov_b32_e32 v4, s14
	s_and_saveexec_b64 s[0:1], s[12:13]
	s_cbranch_execz .LBB1517_446
; %bb.445:
	s_sub_i32 s12, s9, s11
	s_min_u32 s12, s12, 8
	v_lshrrev_b64 v[4:5], s11, v[2:3]
	v_bfe_u32 v4, v4, 0, s12
	v_lshlrev_b32_e32 v5, 2, v1
	v_lshl_or_b32 v4, v4, 4, v5
	v_mov_b32_e32 v5, 1
	ds_add_u32 v4, v5 offset:8192
	v_mov_b32_e32 v4, 0
.LBB1517_446:
	s_or_b64 exec, exec, s[0:1]
	v_cmp_gt_i32_e64 s[0:1], 10, v4
	s_mov_b64 s[12:13], -1
	s_and_saveexec_b64 s[14:15], s[0:1]
; %bb.447:
	v_cmp_eq_u32_e64 s[0:1], 0, v4
	s_orn2_b64 s[12:13], s[0:1], exec
; %bb.448:
	s_or_b64 exec, exec, s[14:15]
	s_and_b64 exec, exec, s[12:13]
	;; [unrolled: 33-line block ×6, first 2 shown]
	s_cbranch_execz .LBB1517_471
; %bb.469:
	s_add_i32 s0, s8, 56
	s_cmp_gt_u32 s9, s0
	s_cselect_b64 s[12:13], -1, 0
	s_xor_b64 s[14:15], vcc, -1
	s_and_b64 s[12:13], s[12:13], s[14:15]
	s_and_b64 exec, exec, s[12:13]
	s_cbranch_execz .LBB1517_471
; %bb.470:
	s_sub_i32 s1, s9, s0
	s_min_u32 s1, s1, 8
	v_lshrrev_b64 v[2:3], s0, v[2:3]
	v_bfe_u32 v2, v2, 0, s1
	v_lshlrev_b32_e32 v1, 2, v1
	v_lshl_or_b32 v1, v2, 4, v1
	v_mov_b32_e32 v2, 1
	ds_add_u32 v1, v2 offset:28672
.LBB1517_471:
	s_or_b64 exec, exec, s[2:3]
	s_cmp_lt_u32 s8, s9
	s_waitcnt lgkmcnt(0)
	s_barrier
	s_cbranch_scc0 .LBB1517_476
; %bb.472:
	s_movk_i32 s0, 0x100
	v_cmp_gt_u32_e32 vcc, s0, v0
	v_lshlrev_b32_e32 v1, 4, v0
	v_mov_b32_e32 v3, 0
	v_mov_b32_e32 v2, v0
	s_mov_b32 s2, s8
	s_branch .LBB1517_474
.LBB1517_473:                           ;   in Loop: Header=BB1517_474 Depth=1
	s_or_b64 exec, exec, s[0:1]
	s_add_i32 s2, s2, 8
	v_add_u32_e32 v2, 0x100, v2
	s_cmp_lt_u32 s2, s9
	v_add_u32_e32 v1, 0x1000, v1
	s_cbranch_scc0 .LBB1517_476
.LBB1517_474:                           ; =>This Inner Loop Header: Depth=1
	s_and_saveexec_b64 s[0:1], vcc
	s_cbranch_execz .LBB1517_473
; %bb.475:                              ;   in Loop: Header=BB1517_474 Depth=1
	ds_read2_b32 v[4:5], v1 offset1:1
	ds_read2_b32 v[6:7], v1 offset0:2 offset1:3
	s_waitcnt lgkmcnt(1)
	v_add_u32_e32 v4, v5, v4
	s_waitcnt lgkmcnt(0)
	v_add3_u32 v6, v4, v6, v7
	v_lshl_add_u64 v[4:5], v[2:3], 2, s[6:7]
	global_atomic_add v[4:5], v6, off
	s_branch .LBB1517_473
.LBB1517_476:
	s_mov_b64 s[2:3], 0
.LBB1517_477:
	s_and_b64 vcc, exec, s[2:3]
	s_cbranch_vccz .LBB1517_613
; %bb.478:
	s_cmp_eq_u32 s8, 0
	s_cselect_b64 s[0:1], -1, 0
	s_cmp_eq_u32 s9, 64
	s_mov_b32 s11, 0
	s_cselect_b64 s[2:3], -1, 0
	s_and_b64 s[2:3], s[0:1], s[2:3]
	s_lshl_b64 s[0:1], s[10:11], 3
	s_add_u32 s0, s4, s0
	s_addc_u32 s1, s5, s1
	v_mov_b32_e32 v27, 0
	v_lshlrev_b32_e32 v26, 3, v0
	v_lshl_add_u64 v[2:3], s[0:1], 0, v[26:27]
	s_movk_i32 s4, 0x2000
	v_add_co_u32_e32 v4, vcc, s4, v2
	s_movk_i32 s4, 0x4000
	s_nop 0
	v_addc_co_u32_e32 v5, vcc, 0, v3, vcc
	v_add_co_u32_e32 v6, vcc, s4, v2
	s_movk_i32 s4, 0x6000
	s_nop 0
	v_addc_co_u32_e32 v7, vcc, 0, v3, vcc
	global_load_dwordx2 v[22:23], v[4:5], off offset:-4096
	global_load_dwordx2 v[20:21], v[4:5], off
	global_load_dwordx2 v[18:19], v[6:7], off offset:-4096
	global_load_dwordx2 v[16:17], v[6:7], off
	v_add_co_u32_e32 v4, vcc, s4, v2
	s_mov_b32 s4, 0x8000
	s_nop 0
	v_addc_co_u32_e32 v5, vcc, 0, v3, vcc
	v_add_co_u32_e32 v6, vcc, s4, v2
	s_mov_b32 s4, 0x9000
	s_nop 0
	v_addc_co_u32_e32 v7, vcc, 0, v3, vcc
	v_add_co_u32_e32 v24, vcc, s4, v2
	global_load_dwordx2 v[14:15], v[4:5], off offset:-4096
	global_load_dwordx2 v[12:13], v[4:5], off
	global_load_dwordx2 v[10:11], v[6:7], off offset:-4096
	global_load_dwordx2 v[8:9], v[6:7], off
	v_addc_co_u32_e32 v25, vcc, 0, v3, vcc
	v_add_co_u32_e32 v28, vcc, 0xa000, v2
	v_lshlrev_b32_e32 v1, 2, v0
	s_nop 0
	v_addc_co_u32_e32 v29, vcc, 0, v3, vcc
	global_load_dwordx2 v[6:7], v[24:25], off
	global_load_dwordx2 v[4:5], v[28:29], off
	v_add_co_u32_e32 v28, vcc, 0xb000, v2
	s_nop 1
	v_addc_co_u32_e32 v29, vcc, 0, v3, vcc
	global_load_dwordx2 v[24:25], v26, s[0:1]
	global_load_dwordx2 v[2:3], v[28:29], off
	s_mov_b64 s[0:1], -1
	s_and_b64 vcc, exec, s[2:3]
	s_cbranch_vccnz .LBB1517_608
; %bb.479:
	v_or_b32_e32 v26, 0xfffffe00, v0
	v_lshlrev_b32_e32 v28, 2, v0
	s_mov_b64 s[0:1], 0
	s_movk_i32 s2, 0x1dff
.LBB1517_480:                           ; =>This Inner Loop Header: Depth=1
	v_add_u32_e32 v26, 0x200, v26
	v_cmp_lt_u32_e32 vcc, s2, v26
	ds_write_b32 v28, v27
	s_or_b64 s[0:1], vcc, s[0:1]
	v_add_u32_e32 v28, 0x800, v28
	s_andn2_b64 exec, exec, s[0:1]
	s_cbranch_execnz .LBB1517_480
; %bb.481:
	s_or_b64 exec, exec, s[0:1]
	s_cmp_lt_u32 s8, s9
	s_cselect_b64 s[0:1], -1, 0
	s_and_b64 vcc, exec, s[0:1]
	s_waitcnt lgkmcnt(0)
	s_barrier
	s_cbranch_vccz .LBB1517_602
; %bb.482:
	s_sub_i32 s2, s9, s8
	s_min_u32 s2, s2, 8
	s_waitcnt vmcnt(1)
	v_xor_b32_e32 v29, 0x80000000, v25
	v_mov_b32_e32 v28, v24
	s_lshl_b32 s2, -1, s2
	v_and_b32_e32 v32, 3, v0
	s_not_b32 s12, s2
	v_lshrrev_b64 v[30:31], s8, v[28:29]
	v_and_b32_e32 v30, s12, v30
	v_lshlrev_b32_e32 v33, 2, v32
	v_lshl_or_b32 v30, v30, 4, v33
	v_mov_b32_e32 v31, 1
	ds_add_u32 v30, v31
	s_add_i32 s13, s8, 8
	s_cmp_le_u32 s9, s13
	v_xor_b32_e32 v27, 0x80000000, v23
	v_mov_b32_e32 v26, v22
	s_cselect_b64 s[2:3], -1, 0
	s_and_b64 vcc, exec, s[2:3]
	v_lshrrev_b64 v[30:31], s8, v[26:27]
	s_cbranch_vccz .LBB1517_484
; %bb.483:
	v_and_b32_e32 v31, s12, v30
	v_lshl_or_b32 v31, v31, 2, v32
	s_mov_b64 s[4:5], -1
	s_cbranch_execz .LBB1517_485
	s_branch .LBB1517_500
.LBB1517_484:
	s_mov_b64 s[4:5], 0
                                        ; implicit-def: $vgpr31
.LBB1517_485:
	s_sub_i32 s10, s9, s13
	s_min_u32 s10, s10, 8
	s_lshl_b32 s10, -1, s10
	s_not_b32 s15, s10
	v_lshrrev_b64 v[34:35], s13, v[28:29]
	v_and_b32_e32 v31, s15, v34
	v_lshl_or_b32 v34, v31, 4, v33
	v_mov_b32_e32 v31, 1
	ds_add_u32 v34, v31 offset:4096
	s_add_i32 s14, s8, 16
	s_cmp_gt_u32 s9, s14
	s_cselect_b64 s[10:11], -1, 0
	s_cmp_le_u32 s9, s14
	s_cbranch_scc1 .LBB1517_492
; %bb.486:
	s_sub_i32 s16, s9, s14
	s_min_u32 s16, s16, 8
	v_lshrrev_b64 v[34:35], s14, v[28:29]
	v_bfe_u32 v34, v34, 0, s16
	v_lshl_or_b32 v34, v34, 4, v33
	ds_add_u32 v34, v31 offset:8192
	s_add_i32 s16, s8, 24
	s_cmp_le_u32 s9, s16
	s_cbranch_scc1 .LBB1517_492
; %bb.487:
	s_sub_i32 s17, s9, s16
	s_min_u32 s17, s17, 8
	v_lshrrev_b64 v[34:35], s16, v[28:29]
	v_bfe_u32 v34, v34, 0, s17
	v_lshl_or_b32 v35, v34, 4, v33
	v_mov_b32_e32 v34, 1
	ds_add_u32 v35, v34 offset:12288
	s_add_i32 s16, s8, 32
	s_cmp_le_u32 s9, s16
	s_cbranch_scc1 .LBB1517_492
; %bb.488:
	s_sub_i32 s17, s9, s16
	s_min_u32 s17, s17, 8
	v_lshrrev_b64 v[36:37], s16, v[28:29]
	v_bfe_u32 v35, v36, 0, s17
	v_lshl_or_b32 v35, v35, 4, v33
	ds_add_u32 v35, v34 offset:16384
	s_add_i32 s16, s8, 40
	s_cmp_le_u32 s9, s16
	s_cbranch_scc1 .LBB1517_492
; %bb.489:
	s_sub_i32 s17, s9, s16
	s_min_u32 s17, s17, 8
	v_lshrrev_b64 v[34:35], s16, v[28:29]
	v_bfe_u32 v34, v34, 0, s17
	v_lshl_or_b32 v35, v34, 4, v33
	v_mov_b32_e32 v34, 1
	ds_add_u32 v35, v34 offset:20480
	s_add_i32 s16, s8, 48
	s_cmp_le_u32 s9, s16
	s_cbranch_scc1 .LBB1517_492
; %bb.490:
	s_sub_i32 s17, s9, s16
	s_min_u32 s17, s17, 8
	v_lshrrev_b64 v[36:37], s16, v[28:29]
	v_bfe_u32 v35, v36, 0, s17
	v_lshl_or_b32 v35, v35, 4, v33
	ds_add_u32 v35, v34 offset:24576
	s_add_i32 s16, s8, 56
	s_cmp_le_u32 s9, s16
	s_cbranch_scc1 .LBB1517_492
; %bb.491:
	s_sub_i32 s17, s9, s16
	s_min_u32 s17, s17, 8
	v_lshrrev_b64 v[28:29], s16, v[28:29]
	v_bfe_u32 v28, v28, 0, s17
	v_lshl_or_b32 v28, v28, 4, v33
	v_mov_b32_e32 v29, 1
	ds_add_u32 v28, v29 offset:28672
.LBB1517_492:
	v_and_b32_e32 v28, s12, v30
	v_lshl_or_b32 v28, v28, 4, v33
	ds_add_u32 v28, v31
	v_lshrrev_b64 v[28:29], s13, v[26:27]
	v_and_b32_e32 v28, s15, v28
	v_lshl_or_b32 v28, v28, 4, v33
	ds_add_u32 v28, v31 offset:4096
	s_andn2_b64 vcc, exec, s[10:11]
	s_cbranch_vccnz .LBB1517_499
; %bb.493:
	s_sub_i32 s10, s9, s14
	s_min_u32 s10, s10, 8
	v_lshrrev_b64 v[28:29], s14, v[26:27]
	v_bfe_u32 v28, v28, 0, s10
	v_lshl_or_b32 v29, v28, 4, v33
	v_mov_b32_e32 v28, 1
	ds_add_u32 v29, v28 offset:8192
	s_add_i32 s10, s8, 24
	s_cmp_gt_u32 s9, s10
	s_cbranch_scc0 .LBB1517_499
; %bb.494:
	s_sub_i32 s11, s9, s10
	s_min_u32 s11, s11, 8
	v_lshrrev_b64 v[30:31], s10, v[26:27]
	v_bfe_u32 v29, v30, 0, s11
	v_lshl_or_b32 v29, v29, 4, v33
	ds_add_u32 v29, v28 offset:12288
	s_add_i32 s10, s8, 32
	s_cmp_gt_u32 s9, s10
	s_cbranch_scc0 .LBB1517_499
; %bb.495:
	s_sub_i32 s11, s9, s10
	s_min_u32 s11, s11, 8
	v_lshrrev_b64 v[28:29], s10, v[26:27]
	v_bfe_u32 v28, v28, 0, s11
	v_lshl_or_b32 v29, v28, 4, v33
	v_mov_b32_e32 v28, 1
	ds_add_u32 v29, v28 offset:16384
	s_add_i32 s10, s8, 40
	s_cmp_gt_u32 s9, s10
	s_cbranch_scc0 .LBB1517_499
; %bb.496:
	s_sub_i32 s11, s9, s10
	s_min_u32 s11, s11, 8
	v_lshrrev_b64 v[30:31], s10, v[26:27]
	v_bfe_u32 v29, v30, 0, s11
	v_lshl_or_b32 v29, v29, 4, v33
	ds_add_u32 v29, v28 offset:20480
	s_add_i32 s10, s8, 48
	s_cmp_gt_u32 s9, s10
	s_cbranch_scc0 .LBB1517_499
; %bb.497:
	s_sub_i32 s11, s9, s10
	s_min_u32 s11, s11, 8
	v_lshrrev_b64 v[28:29], s10, v[26:27]
	v_bfe_u32 v28, v28, 0, s11
	v_lshl_or_b32 v28, v28, 4, v33
	v_mov_b32_e32 v29, 1
	ds_add_u32 v28, v29 offset:24576
	s_add_i32 s10, s8, 56
	s_cmp_gt_u32 s9, s10
	s_cbranch_scc0 .LBB1517_499
; %bb.498:
	s_sub_i32 s4, s9, s10
	s_min_u32 s4, s4, 8
	v_lshrrev_b64 v[26:27], s10, v[26:27]
	v_bfe_u32 v26, v26, 0, s4
	v_lshl_or_b32 v26, v26, 2, v32
	v_add_u32_e32 v31, 0x1c00, v26
	s_mov_b64 s[4:5], -1
	s_branch .LBB1517_500
.LBB1517_499:
                                        ; implicit-def: $vgpr31
.LBB1517_500:
	s_and_b64 vcc, exec, s[4:5]
	s_cbranch_vccz .LBB1517_502
; %bb.501:
	v_lshlrev_b32_e32 v26, 2, v31
	v_mov_b32_e32 v27, 1
	ds_add_u32 v26, v27
.LBB1517_502:
	v_xor_b32_e32 v29, 0x80000000, v21
	v_mov_b32_e32 v28, v20
	v_lshrrev_b64 v[30:31], s8, v[28:29]
	v_and_b32_e32 v30, s12, v30
	v_lshl_or_b32 v30, v30, 4, v33
	v_mov_b32_e32 v31, 1
	ds_add_u32 v30, v31
	v_xor_b32_e32 v27, 0x80000000, v19
	v_mov_b32_e32 v26, v18
	s_and_b64 vcc, exec, s[2:3]
	v_lshrrev_b64 v[30:31], s8, v[26:27]
	s_cbranch_vccz .LBB1517_504
; %bb.503:
	v_and_b32_e32 v31, s12, v30
	v_lshl_or_b32 v31, v31, 2, v32
	s_mov_b64 s[4:5], -1
	s_cbranch_execz .LBB1517_505
	s_branch .LBB1517_520
.LBB1517_504:
	s_mov_b64 s[4:5], 0
                                        ; implicit-def: $vgpr31
.LBB1517_505:
	s_sub_i32 s10, s9, s13
	s_min_u32 s10, s10, 8
	s_lshl_b32 s10, -1, s10
	s_not_b32 s15, s10
	v_lshrrev_b64 v[34:35], s13, v[28:29]
	v_and_b32_e32 v31, s15, v34
	v_lshl_or_b32 v34, v31, 4, v33
	v_mov_b32_e32 v31, 1
	ds_add_u32 v34, v31 offset:4096
	s_add_i32 s14, s8, 16
	s_cmp_gt_u32 s9, s14
	s_cselect_b64 s[10:11], -1, 0
	s_cmp_le_u32 s9, s14
	s_cbranch_scc1 .LBB1517_512
; %bb.506:
	s_sub_i32 s16, s9, s14
	s_min_u32 s16, s16, 8
	v_lshrrev_b64 v[34:35], s14, v[28:29]
	v_bfe_u32 v34, v34, 0, s16
	v_lshl_or_b32 v34, v34, 4, v33
	ds_add_u32 v34, v31 offset:8192
	s_add_i32 s16, s8, 24
	s_cmp_le_u32 s9, s16
	s_cbranch_scc1 .LBB1517_512
; %bb.507:
	s_sub_i32 s17, s9, s16
	s_min_u32 s17, s17, 8
	v_lshrrev_b64 v[34:35], s16, v[28:29]
	v_bfe_u32 v34, v34, 0, s17
	v_lshl_or_b32 v35, v34, 4, v33
	v_mov_b32_e32 v34, 1
	ds_add_u32 v35, v34 offset:12288
	s_add_i32 s16, s8, 32
	s_cmp_le_u32 s9, s16
	s_cbranch_scc1 .LBB1517_512
; %bb.508:
	s_sub_i32 s17, s9, s16
	s_min_u32 s17, s17, 8
	v_lshrrev_b64 v[36:37], s16, v[28:29]
	v_bfe_u32 v35, v36, 0, s17
	v_lshl_or_b32 v35, v35, 4, v33
	ds_add_u32 v35, v34 offset:16384
	s_add_i32 s16, s8, 40
	s_cmp_le_u32 s9, s16
	s_cbranch_scc1 .LBB1517_512
; %bb.509:
	s_sub_i32 s17, s9, s16
	s_min_u32 s17, s17, 8
	v_lshrrev_b64 v[34:35], s16, v[28:29]
	v_bfe_u32 v34, v34, 0, s17
	v_lshl_or_b32 v35, v34, 4, v33
	v_mov_b32_e32 v34, 1
	ds_add_u32 v35, v34 offset:20480
	s_add_i32 s16, s8, 48
	s_cmp_le_u32 s9, s16
	s_cbranch_scc1 .LBB1517_512
; %bb.510:
	s_sub_i32 s17, s9, s16
	s_min_u32 s17, s17, 8
	v_lshrrev_b64 v[36:37], s16, v[28:29]
	v_bfe_u32 v35, v36, 0, s17
	v_lshl_or_b32 v35, v35, 4, v33
	ds_add_u32 v35, v34 offset:24576
	s_add_i32 s16, s8, 56
	s_cmp_le_u32 s9, s16
	s_cbranch_scc1 .LBB1517_512
; %bb.511:
	s_sub_i32 s17, s9, s16
	s_min_u32 s17, s17, 8
	v_lshrrev_b64 v[28:29], s16, v[28:29]
	v_bfe_u32 v28, v28, 0, s17
	v_lshl_or_b32 v28, v28, 4, v33
	v_mov_b32_e32 v29, 1
	ds_add_u32 v28, v29 offset:28672
.LBB1517_512:
	v_and_b32_e32 v28, s12, v30
	v_lshl_or_b32 v28, v28, 4, v33
	ds_add_u32 v28, v31
	v_lshrrev_b64 v[28:29], s13, v[26:27]
	v_and_b32_e32 v28, s15, v28
	v_lshl_or_b32 v28, v28, 4, v33
	ds_add_u32 v28, v31 offset:4096
	s_andn2_b64 vcc, exec, s[10:11]
	s_cbranch_vccnz .LBB1517_519
; %bb.513:
	s_sub_i32 s10, s9, s14
	s_min_u32 s10, s10, 8
	v_lshrrev_b64 v[28:29], s14, v[26:27]
	v_bfe_u32 v28, v28, 0, s10
	v_lshl_or_b32 v29, v28, 4, v33
	v_mov_b32_e32 v28, 1
	ds_add_u32 v29, v28 offset:8192
	s_add_i32 s10, s8, 24
	s_cmp_gt_u32 s9, s10
	s_cbranch_scc0 .LBB1517_519
; %bb.514:
	s_sub_i32 s11, s9, s10
	s_min_u32 s11, s11, 8
	v_lshrrev_b64 v[30:31], s10, v[26:27]
	v_bfe_u32 v29, v30, 0, s11
	v_lshl_or_b32 v29, v29, 4, v33
	ds_add_u32 v29, v28 offset:12288
	s_add_i32 s10, s8, 32
	s_cmp_gt_u32 s9, s10
	s_cbranch_scc0 .LBB1517_519
; %bb.515:
	s_sub_i32 s11, s9, s10
	s_min_u32 s11, s11, 8
	v_lshrrev_b64 v[28:29], s10, v[26:27]
	v_bfe_u32 v28, v28, 0, s11
	v_lshl_or_b32 v29, v28, 4, v33
	v_mov_b32_e32 v28, 1
	ds_add_u32 v29, v28 offset:16384
	s_add_i32 s10, s8, 40
	s_cmp_gt_u32 s9, s10
	s_cbranch_scc0 .LBB1517_519
; %bb.516:
	s_sub_i32 s11, s9, s10
	s_min_u32 s11, s11, 8
	v_lshrrev_b64 v[30:31], s10, v[26:27]
	v_bfe_u32 v29, v30, 0, s11
	v_lshl_or_b32 v29, v29, 4, v33
	ds_add_u32 v29, v28 offset:20480
	s_add_i32 s10, s8, 48
	s_cmp_gt_u32 s9, s10
	s_cbranch_scc0 .LBB1517_519
; %bb.517:
	s_sub_i32 s11, s9, s10
	s_min_u32 s11, s11, 8
	v_lshrrev_b64 v[28:29], s10, v[26:27]
	v_bfe_u32 v28, v28, 0, s11
	v_lshl_or_b32 v28, v28, 4, v33
	v_mov_b32_e32 v29, 1
	ds_add_u32 v28, v29 offset:24576
	s_add_i32 s10, s8, 56
	s_cmp_gt_u32 s9, s10
	s_cbranch_scc0 .LBB1517_519
; %bb.518:
	s_sub_i32 s4, s9, s10
	s_min_u32 s4, s4, 8
	v_lshrrev_b64 v[26:27], s10, v[26:27]
	v_bfe_u32 v26, v26, 0, s4
	v_lshl_or_b32 v26, v26, 2, v32
	v_add_u32_e32 v31, 0x1c00, v26
	s_mov_b64 s[4:5], -1
	s_branch .LBB1517_520
.LBB1517_519:
                                        ; implicit-def: $vgpr31
.LBB1517_520:
	s_and_b64 vcc, exec, s[4:5]
	s_cbranch_vccz .LBB1517_522
; %bb.521:
	v_lshlrev_b32_e32 v26, 2, v31
	v_mov_b32_e32 v27, 1
	ds_add_u32 v26, v27
.LBB1517_522:
	v_xor_b32_e32 v29, 0x80000000, v17
	v_mov_b32_e32 v28, v16
	v_lshrrev_b64 v[30:31], s8, v[28:29]
	v_and_b32_e32 v30, s12, v30
	v_lshl_or_b32 v30, v30, 4, v33
	v_mov_b32_e32 v31, 1
	ds_add_u32 v30, v31
	v_xor_b32_e32 v27, 0x80000000, v15
	v_mov_b32_e32 v26, v14
	s_and_b64 vcc, exec, s[2:3]
	v_lshrrev_b64 v[30:31], s8, v[26:27]
	s_cbranch_vccz .LBB1517_524
; %bb.523:
	v_and_b32_e32 v31, s12, v30
	v_lshl_or_b32 v31, v31, 2, v32
	s_mov_b64 s[4:5], -1
	s_cbranch_execz .LBB1517_525
	s_branch .LBB1517_540
.LBB1517_524:
	s_mov_b64 s[4:5], 0
                                        ; implicit-def: $vgpr31
.LBB1517_525:
	s_sub_i32 s10, s9, s13
	s_min_u32 s10, s10, 8
	s_lshl_b32 s10, -1, s10
	s_not_b32 s15, s10
	v_lshrrev_b64 v[34:35], s13, v[28:29]
	v_and_b32_e32 v31, s15, v34
	v_lshl_or_b32 v34, v31, 4, v33
	v_mov_b32_e32 v31, 1
	ds_add_u32 v34, v31 offset:4096
	s_add_i32 s14, s8, 16
	s_cmp_gt_u32 s9, s14
	s_cselect_b64 s[10:11], -1, 0
	s_cmp_le_u32 s9, s14
	s_cbranch_scc1 .LBB1517_532
; %bb.526:
	s_sub_i32 s16, s9, s14
	s_min_u32 s16, s16, 8
	v_lshrrev_b64 v[34:35], s14, v[28:29]
	v_bfe_u32 v34, v34, 0, s16
	v_lshl_or_b32 v34, v34, 4, v33
	ds_add_u32 v34, v31 offset:8192
	s_add_i32 s16, s8, 24
	s_cmp_le_u32 s9, s16
	s_cbranch_scc1 .LBB1517_532
; %bb.527:
	s_sub_i32 s17, s9, s16
	s_min_u32 s17, s17, 8
	v_lshrrev_b64 v[34:35], s16, v[28:29]
	v_bfe_u32 v34, v34, 0, s17
	v_lshl_or_b32 v35, v34, 4, v33
	v_mov_b32_e32 v34, 1
	ds_add_u32 v35, v34 offset:12288
	s_add_i32 s16, s8, 32
	s_cmp_le_u32 s9, s16
	s_cbranch_scc1 .LBB1517_532
; %bb.528:
	s_sub_i32 s17, s9, s16
	s_min_u32 s17, s17, 8
	v_lshrrev_b64 v[36:37], s16, v[28:29]
	v_bfe_u32 v35, v36, 0, s17
	v_lshl_or_b32 v35, v35, 4, v33
	ds_add_u32 v35, v34 offset:16384
	s_add_i32 s16, s8, 40
	s_cmp_le_u32 s9, s16
	s_cbranch_scc1 .LBB1517_532
; %bb.529:
	s_sub_i32 s17, s9, s16
	s_min_u32 s17, s17, 8
	v_lshrrev_b64 v[34:35], s16, v[28:29]
	v_bfe_u32 v34, v34, 0, s17
	v_lshl_or_b32 v35, v34, 4, v33
	v_mov_b32_e32 v34, 1
	ds_add_u32 v35, v34 offset:20480
	s_add_i32 s16, s8, 48
	s_cmp_le_u32 s9, s16
	s_cbranch_scc1 .LBB1517_532
; %bb.530:
	s_sub_i32 s17, s9, s16
	s_min_u32 s17, s17, 8
	v_lshrrev_b64 v[36:37], s16, v[28:29]
	v_bfe_u32 v35, v36, 0, s17
	v_lshl_or_b32 v35, v35, 4, v33
	ds_add_u32 v35, v34 offset:24576
	s_add_i32 s16, s8, 56
	s_cmp_le_u32 s9, s16
	s_cbranch_scc1 .LBB1517_532
; %bb.531:
	s_sub_i32 s17, s9, s16
	s_min_u32 s17, s17, 8
	v_lshrrev_b64 v[28:29], s16, v[28:29]
	v_bfe_u32 v28, v28, 0, s17
	v_lshl_or_b32 v28, v28, 4, v33
	v_mov_b32_e32 v29, 1
	ds_add_u32 v28, v29 offset:28672
.LBB1517_532:
	v_and_b32_e32 v28, s12, v30
	v_lshl_or_b32 v28, v28, 4, v33
	ds_add_u32 v28, v31
	v_lshrrev_b64 v[28:29], s13, v[26:27]
	v_and_b32_e32 v28, s15, v28
	v_lshl_or_b32 v28, v28, 4, v33
	ds_add_u32 v28, v31 offset:4096
	s_andn2_b64 vcc, exec, s[10:11]
	s_cbranch_vccnz .LBB1517_539
; %bb.533:
	s_sub_i32 s10, s9, s14
	s_min_u32 s10, s10, 8
	v_lshrrev_b64 v[28:29], s14, v[26:27]
	v_bfe_u32 v28, v28, 0, s10
	v_lshl_or_b32 v29, v28, 4, v33
	v_mov_b32_e32 v28, 1
	ds_add_u32 v29, v28 offset:8192
	s_add_i32 s10, s8, 24
	s_cmp_gt_u32 s9, s10
	s_cbranch_scc0 .LBB1517_539
; %bb.534:
	s_sub_i32 s11, s9, s10
	s_min_u32 s11, s11, 8
	v_lshrrev_b64 v[30:31], s10, v[26:27]
	v_bfe_u32 v29, v30, 0, s11
	v_lshl_or_b32 v29, v29, 4, v33
	ds_add_u32 v29, v28 offset:12288
	s_add_i32 s10, s8, 32
	s_cmp_gt_u32 s9, s10
	s_cbranch_scc0 .LBB1517_539
; %bb.535:
	s_sub_i32 s11, s9, s10
	s_min_u32 s11, s11, 8
	v_lshrrev_b64 v[28:29], s10, v[26:27]
	v_bfe_u32 v28, v28, 0, s11
	v_lshl_or_b32 v29, v28, 4, v33
	v_mov_b32_e32 v28, 1
	ds_add_u32 v29, v28 offset:16384
	s_add_i32 s10, s8, 40
	s_cmp_gt_u32 s9, s10
	s_cbranch_scc0 .LBB1517_539
; %bb.536:
	s_sub_i32 s11, s9, s10
	s_min_u32 s11, s11, 8
	v_lshrrev_b64 v[30:31], s10, v[26:27]
	v_bfe_u32 v29, v30, 0, s11
	v_lshl_or_b32 v29, v29, 4, v33
	ds_add_u32 v29, v28 offset:20480
	s_add_i32 s10, s8, 48
	s_cmp_gt_u32 s9, s10
	s_cbranch_scc0 .LBB1517_539
; %bb.537:
	s_sub_i32 s11, s9, s10
	s_min_u32 s11, s11, 8
	v_lshrrev_b64 v[28:29], s10, v[26:27]
	v_bfe_u32 v28, v28, 0, s11
	v_lshl_or_b32 v28, v28, 4, v33
	v_mov_b32_e32 v29, 1
	ds_add_u32 v28, v29 offset:24576
	s_add_i32 s10, s8, 56
	s_cmp_gt_u32 s9, s10
	s_cbranch_scc0 .LBB1517_539
; %bb.538:
	s_sub_i32 s4, s9, s10
	s_min_u32 s4, s4, 8
	v_lshrrev_b64 v[26:27], s10, v[26:27]
	v_bfe_u32 v26, v26, 0, s4
	v_lshl_or_b32 v26, v26, 2, v32
	v_add_u32_e32 v31, 0x1c00, v26
	s_mov_b64 s[4:5], -1
	s_branch .LBB1517_540
.LBB1517_539:
                                        ; implicit-def: $vgpr31
.LBB1517_540:
	s_and_b64 vcc, exec, s[4:5]
	s_cbranch_vccz .LBB1517_542
; %bb.541:
	v_lshlrev_b32_e32 v26, 2, v31
	v_mov_b32_e32 v27, 1
	ds_add_u32 v26, v27
.LBB1517_542:
	v_xor_b32_e32 v29, 0x80000000, v13
	v_mov_b32_e32 v28, v12
	v_lshrrev_b64 v[30:31], s8, v[28:29]
	v_and_b32_e32 v30, s12, v30
	v_lshl_or_b32 v30, v30, 4, v33
	v_mov_b32_e32 v31, 1
	ds_add_u32 v30, v31
	v_xor_b32_e32 v27, 0x80000000, v11
	v_mov_b32_e32 v26, v10
	s_and_b64 vcc, exec, s[2:3]
	v_lshrrev_b64 v[30:31], s8, v[26:27]
	s_cbranch_vccz .LBB1517_544
; %bb.543:
	v_and_b32_e32 v31, s12, v30
	v_lshl_or_b32 v31, v31, 2, v32
	s_mov_b64 s[4:5], -1
	s_cbranch_execz .LBB1517_545
	s_branch .LBB1517_560
.LBB1517_544:
	s_mov_b64 s[4:5], 0
                                        ; implicit-def: $vgpr31
.LBB1517_545:
	s_sub_i32 s10, s9, s13
	s_min_u32 s10, s10, 8
	s_lshl_b32 s10, -1, s10
	s_not_b32 s15, s10
	v_lshrrev_b64 v[34:35], s13, v[28:29]
	v_and_b32_e32 v31, s15, v34
	v_lshl_or_b32 v34, v31, 4, v33
	v_mov_b32_e32 v31, 1
	ds_add_u32 v34, v31 offset:4096
	s_add_i32 s14, s8, 16
	s_cmp_gt_u32 s9, s14
	s_cselect_b64 s[10:11], -1, 0
	s_cmp_le_u32 s9, s14
	s_cbranch_scc1 .LBB1517_552
; %bb.546:
	s_sub_i32 s16, s9, s14
	s_min_u32 s16, s16, 8
	v_lshrrev_b64 v[34:35], s14, v[28:29]
	v_bfe_u32 v34, v34, 0, s16
	v_lshl_or_b32 v34, v34, 4, v33
	ds_add_u32 v34, v31 offset:8192
	s_add_i32 s16, s8, 24
	s_cmp_le_u32 s9, s16
	s_cbranch_scc1 .LBB1517_552
; %bb.547:
	s_sub_i32 s17, s9, s16
	s_min_u32 s17, s17, 8
	v_lshrrev_b64 v[34:35], s16, v[28:29]
	v_bfe_u32 v34, v34, 0, s17
	v_lshl_or_b32 v35, v34, 4, v33
	v_mov_b32_e32 v34, 1
	ds_add_u32 v35, v34 offset:12288
	s_add_i32 s16, s8, 32
	s_cmp_le_u32 s9, s16
	s_cbranch_scc1 .LBB1517_552
; %bb.548:
	s_sub_i32 s17, s9, s16
	s_min_u32 s17, s17, 8
	v_lshrrev_b64 v[36:37], s16, v[28:29]
	v_bfe_u32 v35, v36, 0, s17
	v_lshl_or_b32 v35, v35, 4, v33
	ds_add_u32 v35, v34 offset:16384
	s_add_i32 s16, s8, 40
	s_cmp_le_u32 s9, s16
	s_cbranch_scc1 .LBB1517_552
; %bb.549:
	s_sub_i32 s17, s9, s16
	s_min_u32 s17, s17, 8
	v_lshrrev_b64 v[34:35], s16, v[28:29]
	v_bfe_u32 v34, v34, 0, s17
	v_lshl_or_b32 v35, v34, 4, v33
	v_mov_b32_e32 v34, 1
	ds_add_u32 v35, v34 offset:20480
	s_add_i32 s16, s8, 48
	s_cmp_le_u32 s9, s16
	s_cbranch_scc1 .LBB1517_552
; %bb.550:
	s_sub_i32 s17, s9, s16
	s_min_u32 s17, s17, 8
	v_lshrrev_b64 v[36:37], s16, v[28:29]
	v_bfe_u32 v35, v36, 0, s17
	v_lshl_or_b32 v35, v35, 4, v33
	ds_add_u32 v35, v34 offset:24576
	s_add_i32 s16, s8, 56
	s_cmp_le_u32 s9, s16
	s_cbranch_scc1 .LBB1517_552
; %bb.551:
	s_sub_i32 s17, s9, s16
	s_min_u32 s17, s17, 8
	v_lshrrev_b64 v[28:29], s16, v[28:29]
	v_bfe_u32 v28, v28, 0, s17
	v_lshl_or_b32 v28, v28, 4, v33
	v_mov_b32_e32 v29, 1
	ds_add_u32 v28, v29 offset:28672
.LBB1517_552:
	v_and_b32_e32 v28, s12, v30
	v_lshl_or_b32 v28, v28, 4, v33
	ds_add_u32 v28, v31
	v_lshrrev_b64 v[28:29], s13, v[26:27]
	v_and_b32_e32 v28, s15, v28
	v_lshl_or_b32 v28, v28, 4, v33
	ds_add_u32 v28, v31 offset:4096
	s_andn2_b64 vcc, exec, s[10:11]
	s_cbranch_vccnz .LBB1517_559
; %bb.553:
	s_sub_i32 s10, s9, s14
	s_min_u32 s10, s10, 8
	v_lshrrev_b64 v[28:29], s14, v[26:27]
	v_bfe_u32 v28, v28, 0, s10
	v_lshl_or_b32 v29, v28, 4, v33
	v_mov_b32_e32 v28, 1
	ds_add_u32 v29, v28 offset:8192
	s_add_i32 s10, s8, 24
	s_cmp_gt_u32 s9, s10
	s_cbranch_scc0 .LBB1517_559
; %bb.554:
	s_sub_i32 s11, s9, s10
	s_min_u32 s11, s11, 8
	v_lshrrev_b64 v[30:31], s10, v[26:27]
	v_bfe_u32 v29, v30, 0, s11
	v_lshl_or_b32 v29, v29, 4, v33
	ds_add_u32 v29, v28 offset:12288
	s_add_i32 s10, s8, 32
	s_cmp_gt_u32 s9, s10
	s_cbranch_scc0 .LBB1517_559
; %bb.555:
	s_sub_i32 s11, s9, s10
	s_min_u32 s11, s11, 8
	v_lshrrev_b64 v[28:29], s10, v[26:27]
	v_bfe_u32 v28, v28, 0, s11
	v_lshl_or_b32 v29, v28, 4, v33
	v_mov_b32_e32 v28, 1
	ds_add_u32 v29, v28 offset:16384
	s_add_i32 s10, s8, 40
	s_cmp_gt_u32 s9, s10
	s_cbranch_scc0 .LBB1517_559
; %bb.556:
	s_sub_i32 s11, s9, s10
	s_min_u32 s11, s11, 8
	v_lshrrev_b64 v[30:31], s10, v[26:27]
	v_bfe_u32 v29, v30, 0, s11
	v_lshl_or_b32 v29, v29, 4, v33
	ds_add_u32 v29, v28 offset:20480
	s_add_i32 s10, s8, 48
	s_cmp_gt_u32 s9, s10
	s_cbranch_scc0 .LBB1517_559
; %bb.557:
	s_sub_i32 s11, s9, s10
	s_min_u32 s11, s11, 8
	v_lshrrev_b64 v[28:29], s10, v[26:27]
	v_bfe_u32 v28, v28, 0, s11
	v_lshl_or_b32 v28, v28, 4, v33
	v_mov_b32_e32 v29, 1
	ds_add_u32 v28, v29 offset:24576
	s_add_i32 s10, s8, 56
	s_cmp_gt_u32 s9, s10
	s_cbranch_scc0 .LBB1517_559
; %bb.558:
	s_sub_i32 s4, s9, s10
	s_min_u32 s4, s4, 8
	v_lshrrev_b64 v[26:27], s10, v[26:27]
	v_bfe_u32 v26, v26, 0, s4
	v_lshl_or_b32 v26, v26, 2, v32
	v_add_u32_e32 v31, 0x1c00, v26
	s_mov_b64 s[4:5], -1
	s_branch .LBB1517_560
.LBB1517_559:
                                        ; implicit-def: $vgpr31
.LBB1517_560:
	s_and_b64 vcc, exec, s[4:5]
	s_cbranch_vccz .LBB1517_562
; %bb.561:
	v_lshlrev_b32_e32 v26, 2, v31
	v_mov_b32_e32 v27, 1
	ds_add_u32 v26, v27
.LBB1517_562:
	v_xor_b32_e32 v29, 0x80000000, v9
	v_mov_b32_e32 v28, v8
	v_lshrrev_b64 v[30:31], s8, v[28:29]
	v_and_b32_e32 v30, s12, v30
	v_lshl_or_b32 v30, v30, 4, v33
	v_mov_b32_e32 v31, 1
	ds_add_u32 v30, v31
	v_xor_b32_e32 v27, 0x80000000, v7
	v_mov_b32_e32 v26, v6
	s_and_b64 vcc, exec, s[2:3]
	v_lshrrev_b64 v[30:31], s8, v[26:27]
	s_cbranch_vccz .LBB1517_564
; %bb.563:
	v_and_b32_e32 v31, s12, v30
	v_lshl_or_b32 v31, v31, 2, v32
	s_mov_b64 s[4:5], -1
	s_cbranch_execz .LBB1517_565
	s_branch .LBB1517_580
.LBB1517_564:
	s_mov_b64 s[4:5], 0
                                        ; implicit-def: $vgpr31
.LBB1517_565:
	s_sub_i32 s10, s9, s13
	s_min_u32 s10, s10, 8
	s_lshl_b32 s10, -1, s10
	s_not_b32 s15, s10
	v_lshrrev_b64 v[34:35], s13, v[28:29]
	v_and_b32_e32 v31, s15, v34
	v_lshl_or_b32 v34, v31, 4, v33
	v_mov_b32_e32 v31, 1
	ds_add_u32 v34, v31 offset:4096
	s_add_i32 s14, s8, 16
	s_cmp_gt_u32 s9, s14
	s_cselect_b64 s[10:11], -1, 0
	s_cmp_le_u32 s9, s14
	s_cbranch_scc1 .LBB1517_572
; %bb.566:
	s_sub_i32 s16, s9, s14
	s_min_u32 s16, s16, 8
	v_lshrrev_b64 v[34:35], s14, v[28:29]
	v_bfe_u32 v34, v34, 0, s16
	v_lshl_or_b32 v34, v34, 4, v33
	ds_add_u32 v34, v31 offset:8192
	s_add_i32 s16, s8, 24
	s_cmp_le_u32 s9, s16
	s_cbranch_scc1 .LBB1517_572
; %bb.567:
	s_sub_i32 s17, s9, s16
	s_min_u32 s17, s17, 8
	v_lshrrev_b64 v[34:35], s16, v[28:29]
	v_bfe_u32 v34, v34, 0, s17
	v_lshl_or_b32 v35, v34, 4, v33
	v_mov_b32_e32 v34, 1
	ds_add_u32 v35, v34 offset:12288
	s_add_i32 s16, s8, 32
	s_cmp_le_u32 s9, s16
	s_cbranch_scc1 .LBB1517_572
; %bb.568:
	s_sub_i32 s17, s9, s16
	s_min_u32 s17, s17, 8
	v_lshrrev_b64 v[36:37], s16, v[28:29]
	v_bfe_u32 v35, v36, 0, s17
	v_lshl_or_b32 v35, v35, 4, v33
	ds_add_u32 v35, v34 offset:16384
	s_add_i32 s16, s8, 40
	s_cmp_le_u32 s9, s16
	s_cbranch_scc1 .LBB1517_572
; %bb.569:
	s_sub_i32 s17, s9, s16
	s_min_u32 s17, s17, 8
	v_lshrrev_b64 v[34:35], s16, v[28:29]
	v_bfe_u32 v34, v34, 0, s17
	v_lshl_or_b32 v35, v34, 4, v33
	v_mov_b32_e32 v34, 1
	ds_add_u32 v35, v34 offset:20480
	s_add_i32 s16, s8, 48
	s_cmp_le_u32 s9, s16
	s_cbranch_scc1 .LBB1517_572
; %bb.570:
	s_sub_i32 s17, s9, s16
	s_min_u32 s17, s17, 8
	v_lshrrev_b64 v[36:37], s16, v[28:29]
	v_bfe_u32 v35, v36, 0, s17
	v_lshl_or_b32 v35, v35, 4, v33
	ds_add_u32 v35, v34 offset:24576
	s_add_i32 s16, s8, 56
	s_cmp_le_u32 s9, s16
	s_cbranch_scc1 .LBB1517_572
; %bb.571:
	s_sub_i32 s17, s9, s16
	s_min_u32 s17, s17, 8
	v_lshrrev_b64 v[28:29], s16, v[28:29]
	v_bfe_u32 v28, v28, 0, s17
	v_lshl_or_b32 v28, v28, 4, v33
	v_mov_b32_e32 v29, 1
	ds_add_u32 v28, v29 offset:28672
.LBB1517_572:
	v_and_b32_e32 v28, s12, v30
	v_lshl_or_b32 v28, v28, 4, v33
	ds_add_u32 v28, v31
	v_lshrrev_b64 v[28:29], s13, v[26:27]
	v_and_b32_e32 v28, s15, v28
	v_lshl_or_b32 v28, v28, 4, v33
	ds_add_u32 v28, v31 offset:4096
	s_andn2_b64 vcc, exec, s[10:11]
	s_cbranch_vccnz .LBB1517_579
; %bb.573:
	s_sub_i32 s10, s9, s14
	s_min_u32 s10, s10, 8
	v_lshrrev_b64 v[28:29], s14, v[26:27]
	v_bfe_u32 v28, v28, 0, s10
	v_lshl_or_b32 v29, v28, 4, v33
	v_mov_b32_e32 v28, 1
	ds_add_u32 v29, v28 offset:8192
	s_add_i32 s10, s8, 24
	s_cmp_gt_u32 s9, s10
	s_cbranch_scc0 .LBB1517_579
; %bb.574:
	s_sub_i32 s11, s9, s10
	s_min_u32 s11, s11, 8
	v_lshrrev_b64 v[30:31], s10, v[26:27]
	v_bfe_u32 v29, v30, 0, s11
	v_lshl_or_b32 v29, v29, 4, v33
	ds_add_u32 v29, v28 offset:12288
	s_add_i32 s10, s8, 32
	s_cmp_gt_u32 s9, s10
	s_cbranch_scc0 .LBB1517_579
; %bb.575:
	s_sub_i32 s11, s9, s10
	s_min_u32 s11, s11, 8
	v_lshrrev_b64 v[28:29], s10, v[26:27]
	v_bfe_u32 v28, v28, 0, s11
	v_lshl_or_b32 v29, v28, 4, v33
	v_mov_b32_e32 v28, 1
	ds_add_u32 v29, v28 offset:16384
	s_add_i32 s10, s8, 40
	s_cmp_gt_u32 s9, s10
	s_cbranch_scc0 .LBB1517_579
; %bb.576:
	s_sub_i32 s11, s9, s10
	s_min_u32 s11, s11, 8
	v_lshrrev_b64 v[30:31], s10, v[26:27]
	v_bfe_u32 v29, v30, 0, s11
	v_lshl_or_b32 v29, v29, 4, v33
	ds_add_u32 v29, v28 offset:20480
	s_add_i32 s10, s8, 48
	s_cmp_gt_u32 s9, s10
	s_cbranch_scc0 .LBB1517_579
; %bb.577:
	s_sub_i32 s11, s9, s10
	s_min_u32 s11, s11, 8
	v_lshrrev_b64 v[28:29], s10, v[26:27]
	v_bfe_u32 v28, v28, 0, s11
	v_lshl_or_b32 v28, v28, 4, v33
	v_mov_b32_e32 v29, 1
	ds_add_u32 v28, v29 offset:24576
	s_add_i32 s10, s8, 56
	s_cmp_gt_u32 s9, s10
	s_cbranch_scc0 .LBB1517_579
; %bb.578:
	s_sub_i32 s4, s9, s10
	s_min_u32 s4, s4, 8
	v_lshrrev_b64 v[26:27], s10, v[26:27]
	v_bfe_u32 v26, v26, 0, s4
	v_lshl_or_b32 v26, v26, 2, v32
	v_add_u32_e32 v31, 0x1c00, v26
	s_mov_b64 s[4:5], -1
	s_branch .LBB1517_580
.LBB1517_579:
                                        ; implicit-def: $vgpr31
.LBB1517_580:
	s_and_b64 vcc, exec, s[4:5]
	s_cbranch_vccz .LBB1517_582
; %bb.581:
	v_lshlrev_b32_e32 v26, 2, v31
	v_mov_b32_e32 v27, 1
	ds_add_u32 v26, v27
.LBB1517_582:
	v_xor_b32_e32 v29, 0x80000000, v5
	v_mov_b32_e32 v28, v4
	v_lshrrev_b64 v[30:31], s8, v[28:29]
	v_and_b32_e32 v30, s12, v30
	v_lshl_or_b32 v30, v30, 4, v33
	v_mov_b32_e32 v31, 1
	ds_add_u32 v30, v31
	s_waitcnt vmcnt(0)
	v_xor_b32_e32 v27, 0x80000000, v3
	v_mov_b32_e32 v26, v2
	s_and_b64 vcc, exec, s[2:3]
	v_lshrrev_b64 v[30:31], s8, v[26:27]
	s_cbranch_vccz .LBB1517_584
; %bb.583:
	v_and_b32_e32 v31, s12, v30
	v_lshl_or_b32 v31, v31, 2, v32
	s_mov_b64 s[2:3], -1
	s_cbranch_execz .LBB1517_585
	s_branch .LBB1517_600
.LBB1517_584:
	s_mov_b64 s[2:3], 0
                                        ; implicit-def: $vgpr31
.LBB1517_585:
	s_sub_i32 s4, s9, s13
	s_min_u32 s4, s4, 8
	s_lshl_b32 s4, -1, s4
	s_not_b32 s11, s4
	v_lshrrev_b64 v[34:35], s13, v[28:29]
	v_and_b32_e32 v31, s11, v34
	v_lshl_or_b32 v34, v31, 4, v33
	v_mov_b32_e32 v31, 1
	ds_add_u32 v34, v31 offset:4096
	s_add_i32 s10, s8, 16
	s_cmp_gt_u32 s9, s10
	s_cselect_b64 s[4:5], -1, 0
	s_cmp_le_u32 s9, s10
	s_cbranch_scc1 .LBB1517_592
; %bb.586:
	s_sub_i32 s14, s9, s10
	s_min_u32 s14, s14, 8
	v_lshrrev_b64 v[34:35], s10, v[28:29]
	v_bfe_u32 v34, v34, 0, s14
	v_lshl_or_b32 v34, v34, 4, v33
	ds_add_u32 v34, v31 offset:8192
	s_add_i32 s14, s8, 24
	s_cmp_le_u32 s9, s14
	s_cbranch_scc1 .LBB1517_592
; %bb.587:
	s_sub_i32 s15, s9, s14
	s_min_u32 s15, s15, 8
	v_lshrrev_b64 v[34:35], s14, v[28:29]
	v_bfe_u32 v34, v34, 0, s15
	v_lshl_or_b32 v35, v34, 4, v33
	v_mov_b32_e32 v34, 1
	ds_add_u32 v35, v34 offset:12288
	s_add_i32 s14, s8, 32
	s_cmp_le_u32 s9, s14
	s_cbranch_scc1 .LBB1517_592
; %bb.588:
	s_sub_i32 s15, s9, s14
	s_min_u32 s15, s15, 8
	v_lshrrev_b64 v[36:37], s14, v[28:29]
	v_bfe_u32 v35, v36, 0, s15
	v_lshl_or_b32 v35, v35, 4, v33
	ds_add_u32 v35, v34 offset:16384
	s_add_i32 s14, s8, 40
	s_cmp_le_u32 s9, s14
	s_cbranch_scc1 .LBB1517_592
; %bb.589:
	s_sub_i32 s15, s9, s14
	s_min_u32 s15, s15, 8
	v_lshrrev_b64 v[34:35], s14, v[28:29]
	v_bfe_u32 v34, v34, 0, s15
	v_lshl_or_b32 v35, v34, 4, v33
	v_mov_b32_e32 v34, 1
	ds_add_u32 v35, v34 offset:20480
	s_add_i32 s14, s8, 48
	s_cmp_le_u32 s9, s14
	s_cbranch_scc1 .LBB1517_592
; %bb.590:
	s_sub_i32 s15, s9, s14
	s_min_u32 s15, s15, 8
	v_lshrrev_b64 v[36:37], s14, v[28:29]
	v_bfe_u32 v35, v36, 0, s15
	v_lshl_or_b32 v35, v35, 4, v33
	ds_add_u32 v35, v34 offset:24576
	s_add_i32 s14, s8, 56
	s_cmp_le_u32 s9, s14
	s_cbranch_scc1 .LBB1517_592
; %bb.591:
	v_lshrrev_b64 v[28:29], s14, v[28:29]
	s_sub_i32 s14, s9, s14
	s_min_u32 s14, s14, 8
	v_bfe_u32 v28, v28, 0, s14
	v_lshl_or_b32 v28, v28, 4, v33
	v_mov_b32_e32 v29, 1
	ds_add_u32 v28, v29 offset:28672
.LBB1517_592:
	v_and_b32_e32 v28, s12, v30
	v_lshl_or_b32 v28, v28, 4, v33
	ds_add_u32 v28, v31
	v_lshrrev_b64 v[28:29], s13, v[26:27]
	v_and_b32_e32 v28, s11, v28
	v_lshl_or_b32 v28, v28, 4, v33
	ds_add_u32 v28, v31 offset:4096
	s_andn2_b64 vcc, exec, s[4:5]
	s_cbranch_vccnz .LBB1517_599
; %bb.593:
	s_sub_i32 s4, s9, s10
	s_min_u32 s4, s4, 8
	v_lshrrev_b64 v[28:29], s10, v[26:27]
	v_bfe_u32 v28, v28, 0, s4
	v_lshl_or_b32 v29, v28, 4, v33
	v_mov_b32_e32 v28, 1
	ds_add_u32 v29, v28 offset:8192
	s_add_i32 s4, s8, 24
	s_cmp_gt_u32 s9, s4
	s_cbranch_scc0 .LBB1517_599
; %bb.594:
	s_sub_i32 s5, s9, s4
	s_min_u32 s5, s5, 8
	v_lshrrev_b64 v[30:31], s4, v[26:27]
	v_bfe_u32 v29, v30, 0, s5
	v_lshl_or_b32 v29, v29, 4, v33
	ds_add_u32 v29, v28 offset:12288
	s_add_i32 s4, s8, 32
	s_cmp_gt_u32 s9, s4
	s_cbranch_scc0 .LBB1517_599
; %bb.595:
	s_sub_i32 s5, s9, s4
	s_min_u32 s5, s5, 8
	v_lshrrev_b64 v[28:29], s4, v[26:27]
	v_bfe_u32 v28, v28, 0, s5
	v_lshl_or_b32 v29, v28, 4, v33
	v_mov_b32_e32 v28, 1
	ds_add_u32 v29, v28 offset:16384
	s_add_i32 s4, s8, 40
	s_cmp_gt_u32 s9, s4
	s_cbranch_scc0 .LBB1517_599
; %bb.596:
	s_sub_i32 s5, s9, s4
	s_min_u32 s5, s5, 8
	v_lshrrev_b64 v[30:31], s4, v[26:27]
	v_bfe_u32 v29, v30, 0, s5
	v_lshl_or_b32 v29, v29, 4, v33
	ds_add_u32 v29, v28 offset:20480
	s_add_i32 s4, s8, 48
	s_cmp_gt_u32 s9, s4
	s_cbranch_scc0 .LBB1517_599
; %bb.597:
	s_sub_i32 s5, s9, s4
	s_min_u32 s5, s5, 8
	v_lshrrev_b64 v[28:29], s4, v[26:27]
	v_bfe_u32 v28, v28, 0, s5
	v_lshl_or_b32 v28, v28, 4, v33
	v_mov_b32_e32 v29, 1
	ds_add_u32 v28, v29 offset:24576
	s_add_i32 s4, s8, 56
	s_cmp_gt_u32 s9, s4
	s_cbranch_scc0 .LBB1517_599
; %bb.598:
	s_sub_i32 s2, s9, s4
	s_min_u32 s2, s2, 8
	v_lshrrev_b64 v[26:27], s4, v[26:27]
	v_bfe_u32 v26, v26, 0, s2
	v_lshl_or_b32 v26, v26, 2, v32
	v_add_u32_e32 v31, 0x1c00, v26
	s_mov_b64 s[2:3], -1
	s_branch .LBB1517_600
.LBB1517_599:
                                        ; implicit-def: $vgpr31
.LBB1517_600:
	s_and_b64 vcc, exec, s[2:3]
	s_cbranch_vccz .LBB1517_602
; %bb.601:
	v_lshlrev_b32_e32 v26, 2, v31
	v_mov_b32_e32 v27, 1
	ds_add_u32 v26, v27
.LBB1517_602:
	s_and_b64 vcc, exec, s[0:1]
	s_waitcnt lgkmcnt(0)
	s_barrier
	s_cbranch_vccz .LBB1517_607
; %bb.603:
	s_movk_i32 s0, 0x100
	v_cmp_gt_u32_e32 vcc, s0, v0
	v_lshlrev_b32_e32 v28, 4, v0
	v_mov_b32_e32 v27, 0
	v_mov_b32_e32 v26, v0
	s_branch .LBB1517_605
.LBB1517_604:                           ;   in Loop: Header=BB1517_605 Depth=1
	s_or_b64 exec, exec, s[0:1]
	s_add_i32 s8, s8, 8
	v_add_u32_e32 v26, 0x100, v26
	s_cmp_ge_u32 s8, s9
	v_add_u32_e32 v28, 0x1000, v28
	s_cbranch_scc1 .LBB1517_607
.LBB1517_605:                           ; =>This Inner Loop Header: Depth=1
	s_and_saveexec_b64 s[0:1], vcc
	s_cbranch_execz .LBB1517_604
; %bb.606:                              ;   in Loop: Header=BB1517_605 Depth=1
	ds_read2_b32 v[30:31], v28 offset1:1
	ds_read2_b32 v[32:33], v28 offset0:2 offset1:3
	s_waitcnt lgkmcnt(1)
	v_add_u32_e32 v29, v31, v30
	s_waitcnt lgkmcnt(0)
	v_add3_u32 v29, v29, v32, v33
	v_lshl_add_u64 v[30:31], v[26:27], 2, s[6:7]
	global_atomic_add v[30:31], v29, off
	s_branch .LBB1517_604
.LBB1517_607:
	s_mov_b64 s[0:1], 0
.LBB1517_608:
	s_and_b64 vcc, exec, s[0:1]
	s_cbranch_vccz .LBB1517_613
; %bb.609:
	v_or_b32_e32 v26, 0xfffffe00, v0
	s_mov_b64 s[0:1], 0
	v_mov_b32_e32 v27, 0
	s_movk_i32 s2, 0x1dff
	v_mov_b32_e32 v28, v1
.LBB1517_610:                           ; =>This Inner Loop Header: Depth=1
	v_add_u32_e32 v26, 0x200, v26
	v_cmp_lt_u32_e32 vcc, s2, v26
	ds_write_b32 v28, v27
	s_or_b64 s[0:1], vcc, s[0:1]
	v_add_u32_e32 v28, 0x800, v28
	s_andn2_b64 exec, exec, s[0:1]
	s_cbranch_execnz .LBB1517_610
; %bb.611:
	s_or_b64 exec, exec, s[0:1]
	v_and_b32_e32 v26, 3, v0
	s_waitcnt vmcnt(1)
	v_lshlrev_b32_e32 v27, 2, v24
	s_movk_i32 s0, 0x3fc
	v_and_or_b32 v27, v27, s0, v26
	v_lshlrev_b32_e32 v27, 2, v27
	v_mov_b32_e32 v28, 1
	s_waitcnt lgkmcnt(0)
	s_barrier
	ds_add_u32 v27, v28
	v_bfe_u32 v27, v24, 8, 8
	v_lshl_or_b32 v27, v27, 2, v26
	v_lshlrev_b32_e32 v27, 2, v27
	ds_add_u32 v27, v28 offset:4096
	v_bfe_u32 v27, v24, 16, 8
	v_lshl_or_b32 v27, v27, 2, v26
	v_lshlrev_b32_e32 v27, 2, v27
	ds_add_u32 v27, v28 offset:8192
	v_lshrrev_b32_e32 v27, 24, v24
	v_lshl_or_b32 v27, v27, 2, v26
	v_alignbit_b32 v24, v25, v24, 30
	v_lshlrev_b32_e32 v27, 2, v27
	v_and_or_b32 v24, v24, s0, v26
	ds_add_u32 v27, v28 offset:12288
	v_lshlrev_b32_e32 v24, 2, v24
	ds_add_u32 v24, v28 offset:16384
	v_bfe_u32 v24, v25, 8, 8
	v_lshl_or_b32 v24, v24, 2, v26
	v_lshlrev_b32_e32 v24, 2, v24
	ds_add_u32 v24, v28 offset:20480
	v_bfe_u32 v24, v25, 16, 8
	v_lshl_or_b32 v24, v24, 2, v26
	v_lshlrev_b32_e32 v24, 2, v24
	ds_add_u32 v24, v28 offset:24576
	v_lshrrev_b32_e32 v24, 24, v25
	v_or_b32_e32 v25, 0x1c00, v26
	v_lshl_or_b32 v24, v24, 2, v25
	v_xor_b32_e32 v24, 0x200, v24
	v_lshlrev_b32_e32 v24, 2, v24
	ds_add_u32 v24, v28
	v_lshlrev_b32_e32 v24, 2, v22
	v_and_or_b32 v24, v24, s0, v26
	v_lshlrev_b32_e32 v24, 2, v24
	ds_add_u32 v24, v28
	v_bfe_u32 v24, v22, 8, 8
	v_lshl_or_b32 v24, v24, 2, v26
	v_lshlrev_b32_e32 v24, 2, v24
	ds_add_u32 v24, v28 offset:4096
	v_bfe_u32 v24, v22, 16, 8
	v_lshl_or_b32 v24, v24, 2, v26
	v_lshlrev_b32_e32 v24, 2, v24
	ds_add_u32 v24, v28 offset:8192
	v_lshrrev_b32_e32 v24, 24, v22
	v_lshl_or_b32 v24, v24, 2, v26
	v_alignbit_b32 v22, v23, v22, 30
	v_lshlrev_b32_e32 v24, 2, v24
	v_and_or_b32 v22, v22, s0, v26
	ds_add_u32 v24, v28 offset:12288
	v_lshlrev_b32_e32 v22, 2, v22
	ds_add_u32 v22, v28 offset:16384
	v_bfe_u32 v22, v23, 8, 8
	v_lshl_or_b32 v22, v22, 2, v26
	v_lshlrev_b32_e32 v22, 2, v22
	ds_add_u32 v22, v28 offset:20480
	v_bfe_u32 v22, v23, 16, 8
	v_lshl_or_b32 v22, v22, 2, v26
	v_lshlrev_b32_e32 v22, 2, v22
	ds_add_u32 v22, v28 offset:24576
	v_lshrrev_b32_e32 v22, 24, v23
	v_lshl_or_b32 v22, v22, 2, v25
	v_xor_b32_e32 v22, 0x200, v22
	v_lshlrev_b32_e32 v22, 2, v22
	ds_add_u32 v22, v28
	v_lshlrev_b32_e32 v22, 2, v20
	v_and_or_b32 v22, v22, s0, v26
	v_lshlrev_b32_e32 v22, 2, v22
	ds_add_u32 v22, v28
	v_bfe_u32 v22, v20, 8, 8
	v_lshl_or_b32 v22, v22, 2, v26
	v_lshlrev_b32_e32 v22, 2, v22
	ds_add_u32 v22, v28 offset:4096
	v_bfe_u32 v22, v20, 16, 8
	v_lshl_or_b32 v22, v22, 2, v26
	v_lshlrev_b32_e32 v22, 2, v22
	ds_add_u32 v22, v28 offset:8192
	v_lshrrev_b32_e32 v22, 24, v20
	v_lshl_or_b32 v22, v22, 2, v26
	v_alignbit_b32 v20, v21, v20, 30
	v_lshlrev_b32_e32 v22, 2, v22
	v_and_or_b32 v20, v20, s0, v26
	ds_add_u32 v22, v28 offset:12288
	v_lshlrev_b32_e32 v20, 2, v20
	ds_add_u32 v20, v28 offset:16384
	v_bfe_u32 v20, v21, 8, 8
	v_lshl_or_b32 v20, v20, 2, v26
	v_lshlrev_b32_e32 v20, 2, v20
	ds_add_u32 v20, v28 offset:20480
	v_bfe_u32 v20, v21, 16, 8
	v_lshl_or_b32 v20, v20, 2, v26
	v_lshlrev_b32_e32 v20, 2, v20
	ds_add_u32 v20, v28 offset:24576
	v_lshrrev_b32_e32 v20, 24, v21
	;; [unrolled: 33-line block ×10, first 2 shown]
	v_lshl_or_b32 v4, v4, 2, v25
	v_xor_b32_e32 v4, 0x200, v4
	v_lshlrev_b32_e32 v4, 2, v4
	ds_add_u32 v4, v28
	s_waitcnt vmcnt(0)
	v_lshlrev_b32_e32 v4, 2, v2
	v_and_or_b32 v4, v4, s0, v26
	v_lshlrev_b32_e32 v4, 2, v4
	ds_add_u32 v4, v28
	v_bfe_u32 v4, v2, 8, 8
	v_lshl_or_b32 v4, v4, 2, v26
	v_lshlrev_b32_e32 v4, 2, v4
	ds_add_u32 v4, v28 offset:4096
	v_bfe_u32 v4, v2, 16, 8
	v_lshl_or_b32 v4, v4, 2, v26
	v_lshlrev_b32_e32 v4, 2, v4
	ds_add_u32 v4, v28 offset:8192
	v_lshrrev_b32_e32 v4, 24, v2
	v_lshl_or_b32 v4, v4, 2, v26
	v_alignbit_b32 v2, v3, v2, 30
	v_lshlrev_b32_e32 v4, 2, v4
	v_and_or_b32 v2, v2, s0, v26
	ds_add_u32 v4, v28 offset:12288
	v_lshlrev_b32_e32 v2, 2, v2
	ds_add_u32 v2, v28 offset:16384
	v_bfe_u32 v2, v3, 8, 8
	v_lshl_or_b32 v2, v2, 2, v26
	v_lshlrev_b32_e32 v2, 2, v2
	ds_add_u32 v2, v28 offset:20480
	v_bfe_u32 v2, v3, 16, 8
	v_lshl_or_b32 v2, v2, 2, v26
	v_lshlrev_b32_e32 v2, 2, v2
	ds_add_u32 v2, v28 offset:24576
	v_lshrrev_b32_e32 v2, 24, v3
	v_lshl_or_b32 v2, v2, 2, v25
	v_xor_b32_e32 v2, 0x200, v2
	v_lshlrev_b32_e32 v2, 2, v2
	ds_add_u32 v2, v28
	s_movk_i32 s0, 0x100
	v_cmp_gt_u32_e32 vcc, s0, v0
	s_waitcnt lgkmcnt(0)
	s_barrier
	s_and_saveexec_b64 s[0:1], vcc
	s_cbranch_execz .LBB1517_613
; %bb.612:
	v_lshlrev_b32_e32 v0, 2, v1
	ds_read2_b32 v[2:3], v0 offset1:1
	ds_read2_b32 v[4:5], v0 offset0:2 offset1:3
	v_add_u32_e32 v6, 0x1000, v0
	v_add_u32_e32 v7, 0x1008, v0
	;; [unrolled: 1-line block ×3, first 2 shown]
	s_waitcnt lgkmcnt(1)
	v_add_u32_e32 v2, v3, v2
	s_waitcnt lgkmcnt(0)
	v_add3_u32 v2, v2, v4, v5
	global_atomic_add v1, v2, s[6:7]
	ds_read2_b32 v[2:3], v6 offset1:1
	ds_read2_b32 v[4:5], v7 offset1:1
	v_or_b32_e32 v6, 0x2000, v0
	v_add_u32_e32 v7, 0x2008, v0
	s_waitcnt lgkmcnt(1)
	v_add_u32_e32 v2, v3, v2
	s_waitcnt lgkmcnt(0)
	v_add3_u32 v2, v2, v4, v5
	global_atomic_add v1, v2, s[6:7] offset:1024
	ds_read2_b32 v[2:3], v6 offset1:1
	ds_read2_b32 v[4:5], v7 offset1:1
	v_add_u32_e32 v6, 0x3000, v0
	v_add_u32_e32 v7, 0x3008, v0
	s_waitcnt lgkmcnt(1)
	v_add_u32_e32 v2, v3, v2
	s_waitcnt lgkmcnt(0)
	v_add3_u32 v2, v2, v4, v5
	global_atomic_add v1, v2, s[6:7] offset:2048
	ds_read2_b32 v[2:3], v6 offset1:1
	ds_read2_b32 v[4:5], v7 offset1:1
	v_or_b32_e32 v6, 0x4000, v0
	v_add_u32_e32 v7, 0x4008, v0
	s_waitcnt lgkmcnt(1)
	v_add_u32_e32 v2, v3, v2
	s_waitcnt lgkmcnt(0)
	v_add3_u32 v2, v2, v4, v5
	global_atomic_add v1, v2, s[6:7] offset:3072
	ds_read2_b32 v[2:3], v6 offset1:1
	ds_read2_b32 v[4:5], v7 offset1:1
	v_or_b32_e32 v6, 0x1000, v1
	v_add_u32_e32 v7, 0x5000, v0
	s_waitcnt lgkmcnt(1)
	v_add_u32_e32 v2, v3, v2
	s_waitcnt lgkmcnt(0)
	v_add3_u32 v2, v2, v4, v5
	global_atomic_add v6, v2, s[6:7]
	ds_read2_b32 v[2:3], v7 offset1:1
	ds_read2_b32 v[4:5], v8 offset1:1
	v_or_b32_e32 v6, 0x1400, v1
	v_or_b32_e32 v7, 0x6000, v0
	v_add_u32_e32 v8, 0x6008, v0
	s_waitcnt lgkmcnt(1)
	v_add_u32_e32 v2, v3, v2
	s_waitcnt lgkmcnt(0)
	v_add3_u32 v2, v2, v4, v5
	global_atomic_add v6, v2, s[6:7]
	ds_read2_b32 v[2:3], v7 offset1:1
	ds_read2_b32 v[4:5], v8 offset1:1
	v_or_b32_e32 v6, 0x1800, v1
	v_add_u32_e32 v7, 0x7000, v0
	v_add_u32_e32 v0, 0x7008, v0
	s_waitcnt lgkmcnt(1)
	v_add_u32_e32 v2, v3, v2
	s_waitcnt lgkmcnt(0)
	v_add3_u32 v2, v2, v4, v5
	global_atomic_add v6, v2, s[6:7]
	ds_read2_b32 v[2:3], v7 offset1:1
	ds_read2_b32 v[4:5], v0 offset1:1
	v_or_b32_e32 v1, 0x1c00, v1
	s_waitcnt lgkmcnt(1)
	v_add_u32_e32 v0, v3, v2
	s_waitcnt lgkmcnt(0)
	v_add3_u32 v0, v0, v4, v5
	global_atomic_add v1, v0, s[6:7]
.LBB1517_613:
	s_endpgm
	.section	.rodata,"a",@progbits
	.p2align	6, 0x0
	.amdhsa_kernel _ZN7rocprim17ROCPRIM_400000_NS6detail17trampoline_kernelINS0_14default_configENS1_35radix_sort_onesweep_config_selectorIxNS0_10empty_typeEEEZNS1_34radix_sort_onesweep_global_offsetsIS3_Lb0EN6thrust23THRUST_200600_302600_NS6detail15normal_iteratorINS9_10device_ptrIxEEEEPS5_jNS0_19identity_decomposerEEE10hipError_tT1_T2_PT3_SK_jT4_jjP12ihipStream_tbEUlT_E_NS1_11comp_targetILNS1_3genE5ELNS1_11target_archE942ELNS1_3gpuE9ELNS1_3repE0EEENS1_52radix_sort_onesweep_histogram_config_static_selectorELNS0_4arch9wavefront6targetE1EEEvSI_
		.amdhsa_group_segment_fixed_size 32768
		.amdhsa_private_segment_fixed_size 0
		.amdhsa_kernarg_size 40
		.amdhsa_user_sgpr_count 2
		.amdhsa_user_sgpr_dispatch_ptr 0
		.amdhsa_user_sgpr_queue_ptr 0
		.amdhsa_user_sgpr_kernarg_segment_ptr 1
		.amdhsa_user_sgpr_dispatch_id 0
		.amdhsa_user_sgpr_kernarg_preload_length 0
		.amdhsa_user_sgpr_kernarg_preload_offset 0
		.amdhsa_user_sgpr_private_segment_size 0
		.amdhsa_uses_dynamic_stack 0
		.amdhsa_enable_private_segment 0
		.amdhsa_system_sgpr_workgroup_id_x 1
		.amdhsa_system_sgpr_workgroup_id_y 0
		.amdhsa_system_sgpr_workgroup_id_z 0
		.amdhsa_system_sgpr_workgroup_info 0
		.amdhsa_system_vgpr_workitem_id 0
		.amdhsa_next_free_vgpr 40
		.amdhsa_next_free_sgpr 19
		.amdhsa_accum_offset 40
		.amdhsa_reserve_vcc 1
		.amdhsa_float_round_mode_32 0
		.amdhsa_float_round_mode_16_64 0
		.amdhsa_float_denorm_mode_32 3
		.amdhsa_float_denorm_mode_16_64 3
		.amdhsa_dx10_clamp 1
		.amdhsa_ieee_mode 1
		.amdhsa_fp16_overflow 0
		.amdhsa_tg_split 0
		.amdhsa_exception_fp_ieee_invalid_op 0
		.amdhsa_exception_fp_denorm_src 0
		.amdhsa_exception_fp_ieee_div_zero 0
		.amdhsa_exception_fp_ieee_overflow 0
		.amdhsa_exception_fp_ieee_underflow 0
		.amdhsa_exception_fp_ieee_inexact 0
		.amdhsa_exception_int_div_zero 0
	.end_amdhsa_kernel
	.section	.text._ZN7rocprim17ROCPRIM_400000_NS6detail17trampoline_kernelINS0_14default_configENS1_35radix_sort_onesweep_config_selectorIxNS0_10empty_typeEEEZNS1_34radix_sort_onesweep_global_offsetsIS3_Lb0EN6thrust23THRUST_200600_302600_NS6detail15normal_iteratorINS9_10device_ptrIxEEEEPS5_jNS0_19identity_decomposerEEE10hipError_tT1_T2_PT3_SK_jT4_jjP12ihipStream_tbEUlT_E_NS1_11comp_targetILNS1_3genE5ELNS1_11target_archE942ELNS1_3gpuE9ELNS1_3repE0EEENS1_52radix_sort_onesweep_histogram_config_static_selectorELNS0_4arch9wavefront6targetE1EEEvSI_,"axG",@progbits,_ZN7rocprim17ROCPRIM_400000_NS6detail17trampoline_kernelINS0_14default_configENS1_35radix_sort_onesweep_config_selectorIxNS0_10empty_typeEEEZNS1_34radix_sort_onesweep_global_offsetsIS3_Lb0EN6thrust23THRUST_200600_302600_NS6detail15normal_iteratorINS9_10device_ptrIxEEEEPS5_jNS0_19identity_decomposerEEE10hipError_tT1_T2_PT3_SK_jT4_jjP12ihipStream_tbEUlT_E_NS1_11comp_targetILNS1_3genE5ELNS1_11target_archE942ELNS1_3gpuE9ELNS1_3repE0EEENS1_52radix_sort_onesweep_histogram_config_static_selectorELNS0_4arch9wavefront6targetE1EEEvSI_,comdat
.Lfunc_end1517:
	.size	_ZN7rocprim17ROCPRIM_400000_NS6detail17trampoline_kernelINS0_14default_configENS1_35radix_sort_onesweep_config_selectorIxNS0_10empty_typeEEEZNS1_34radix_sort_onesweep_global_offsetsIS3_Lb0EN6thrust23THRUST_200600_302600_NS6detail15normal_iteratorINS9_10device_ptrIxEEEEPS5_jNS0_19identity_decomposerEEE10hipError_tT1_T2_PT3_SK_jT4_jjP12ihipStream_tbEUlT_E_NS1_11comp_targetILNS1_3genE5ELNS1_11target_archE942ELNS1_3gpuE9ELNS1_3repE0EEENS1_52radix_sort_onesweep_histogram_config_static_selectorELNS0_4arch9wavefront6targetE1EEEvSI_, .Lfunc_end1517-_ZN7rocprim17ROCPRIM_400000_NS6detail17trampoline_kernelINS0_14default_configENS1_35radix_sort_onesweep_config_selectorIxNS0_10empty_typeEEEZNS1_34radix_sort_onesweep_global_offsetsIS3_Lb0EN6thrust23THRUST_200600_302600_NS6detail15normal_iteratorINS9_10device_ptrIxEEEEPS5_jNS0_19identity_decomposerEEE10hipError_tT1_T2_PT3_SK_jT4_jjP12ihipStream_tbEUlT_E_NS1_11comp_targetILNS1_3genE5ELNS1_11target_archE942ELNS1_3gpuE9ELNS1_3repE0EEENS1_52radix_sort_onesweep_histogram_config_static_selectorELNS0_4arch9wavefront6targetE1EEEvSI_
                                        ; -- End function
	.section	.AMDGPU.csdata,"",@progbits
; Kernel info:
; codeLenInByte = 22164
; NumSgprs: 25
; NumVgprs: 40
; NumAgprs: 0
; TotalNumVgprs: 40
; ScratchSize: 0
; MemoryBound: 0
; FloatMode: 240
; IeeeMode: 1
; LDSByteSize: 32768 bytes/workgroup (compile time only)
; SGPRBlocks: 3
; VGPRBlocks: 4
; NumSGPRsForWavesPerEU: 25
; NumVGPRsForWavesPerEU: 40
; AccumOffset: 40
; Occupancy: 4
; WaveLimiterHint : 1
; COMPUTE_PGM_RSRC2:SCRATCH_EN: 0
; COMPUTE_PGM_RSRC2:USER_SGPR: 2
; COMPUTE_PGM_RSRC2:TRAP_HANDLER: 0
; COMPUTE_PGM_RSRC2:TGID_X_EN: 1
; COMPUTE_PGM_RSRC2:TGID_Y_EN: 0
; COMPUTE_PGM_RSRC2:TGID_Z_EN: 0
; COMPUTE_PGM_RSRC2:TIDIG_COMP_CNT: 0
; COMPUTE_PGM_RSRC3_GFX90A:ACCUM_OFFSET: 9
; COMPUTE_PGM_RSRC3_GFX90A:TG_SPLIT: 0
	.section	.text._ZN7rocprim17ROCPRIM_400000_NS6detail17trampoline_kernelINS0_14default_configENS1_35radix_sort_onesweep_config_selectorIxNS0_10empty_typeEEEZNS1_34radix_sort_onesweep_global_offsetsIS3_Lb0EN6thrust23THRUST_200600_302600_NS6detail15normal_iteratorINS9_10device_ptrIxEEEEPS5_jNS0_19identity_decomposerEEE10hipError_tT1_T2_PT3_SK_jT4_jjP12ihipStream_tbEUlT_E_NS1_11comp_targetILNS1_3genE2ELNS1_11target_archE906ELNS1_3gpuE6ELNS1_3repE0EEENS1_52radix_sort_onesweep_histogram_config_static_selectorELNS0_4arch9wavefront6targetE1EEEvSI_,"axG",@progbits,_ZN7rocprim17ROCPRIM_400000_NS6detail17trampoline_kernelINS0_14default_configENS1_35radix_sort_onesweep_config_selectorIxNS0_10empty_typeEEEZNS1_34radix_sort_onesweep_global_offsetsIS3_Lb0EN6thrust23THRUST_200600_302600_NS6detail15normal_iteratorINS9_10device_ptrIxEEEEPS5_jNS0_19identity_decomposerEEE10hipError_tT1_T2_PT3_SK_jT4_jjP12ihipStream_tbEUlT_E_NS1_11comp_targetILNS1_3genE2ELNS1_11target_archE906ELNS1_3gpuE6ELNS1_3repE0EEENS1_52radix_sort_onesweep_histogram_config_static_selectorELNS0_4arch9wavefront6targetE1EEEvSI_,comdat
	.protected	_ZN7rocprim17ROCPRIM_400000_NS6detail17trampoline_kernelINS0_14default_configENS1_35radix_sort_onesweep_config_selectorIxNS0_10empty_typeEEEZNS1_34radix_sort_onesweep_global_offsetsIS3_Lb0EN6thrust23THRUST_200600_302600_NS6detail15normal_iteratorINS9_10device_ptrIxEEEEPS5_jNS0_19identity_decomposerEEE10hipError_tT1_T2_PT3_SK_jT4_jjP12ihipStream_tbEUlT_E_NS1_11comp_targetILNS1_3genE2ELNS1_11target_archE906ELNS1_3gpuE6ELNS1_3repE0EEENS1_52radix_sort_onesweep_histogram_config_static_selectorELNS0_4arch9wavefront6targetE1EEEvSI_ ; -- Begin function _ZN7rocprim17ROCPRIM_400000_NS6detail17trampoline_kernelINS0_14default_configENS1_35radix_sort_onesweep_config_selectorIxNS0_10empty_typeEEEZNS1_34radix_sort_onesweep_global_offsetsIS3_Lb0EN6thrust23THRUST_200600_302600_NS6detail15normal_iteratorINS9_10device_ptrIxEEEEPS5_jNS0_19identity_decomposerEEE10hipError_tT1_T2_PT3_SK_jT4_jjP12ihipStream_tbEUlT_E_NS1_11comp_targetILNS1_3genE2ELNS1_11target_archE906ELNS1_3gpuE6ELNS1_3repE0EEENS1_52radix_sort_onesweep_histogram_config_static_selectorELNS0_4arch9wavefront6targetE1EEEvSI_
	.globl	_ZN7rocprim17ROCPRIM_400000_NS6detail17trampoline_kernelINS0_14default_configENS1_35radix_sort_onesweep_config_selectorIxNS0_10empty_typeEEEZNS1_34radix_sort_onesweep_global_offsetsIS3_Lb0EN6thrust23THRUST_200600_302600_NS6detail15normal_iteratorINS9_10device_ptrIxEEEEPS5_jNS0_19identity_decomposerEEE10hipError_tT1_T2_PT3_SK_jT4_jjP12ihipStream_tbEUlT_E_NS1_11comp_targetILNS1_3genE2ELNS1_11target_archE906ELNS1_3gpuE6ELNS1_3repE0EEENS1_52radix_sort_onesweep_histogram_config_static_selectorELNS0_4arch9wavefront6targetE1EEEvSI_
	.p2align	8
	.type	_ZN7rocprim17ROCPRIM_400000_NS6detail17trampoline_kernelINS0_14default_configENS1_35radix_sort_onesweep_config_selectorIxNS0_10empty_typeEEEZNS1_34radix_sort_onesweep_global_offsetsIS3_Lb0EN6thrust23THRUST_200600_302600_NS6detail15normal_iteratorINS9_10device_ptrIxEEEEPS5_jNS0_19identity_decomposerEEE10hipError_tT1_T2_PT3_SK_jT4_jjP12ihipStream_tbEUlT_E_NS1_11comp_targetILNS1_3genE2ELNS1_11target_archE906ELNS1_3gpuE6ELNS1_3repE0EEENS1_52radix_sort_onesweep_histogram_config_static_selectorELNS0_4arch9wavefront6targetE1EEEvSI_,@function
_ZN7rocprim17ROCPRIM_400000_NS6detail17trampoline_kernelINS0_14default_configENS1_35radix_sort_onesweep_config_selectorIxNS0_10empty_typeEEEZNS1_34radix_sort_onesweep_global_offsetsIS3_Lb0EN6thrust23THRUST_200600_302600_NS6detail15normal_iteratorINS9_10device_ptrIxEEEEPS5_jNS0_19identity_decomposerEEE10hipError_tT1_T2_PT3_SK_jT4_jjP12ihipStream_tbEUlT_E_NS1_11comp_targetILNS1_3genE2ELNS1_11target_archE906ELNS1_3gpuE6ELNS1_3repE0EEENS1_52radix_sort_onesweep_histogram_config_static_selectorELNS0_4arch9wavefront6targetE1EEEvSI_: ; @_ZN7rocprim17ROCPRIM_400000_NS6detail17trampoline_kernelINS0_14default_configENS1_35radix_sort_onesweep_config_selectorIxNS0_10empty_typeEEEZNS1_34radix_sort_onesweep_global_offsetsIS3_Lb0EN6thrust23THRUST_200600_302600_NS6detail15normal_iteratorINS9_10device_ptrIxEEEEPS5_jNS0_19identity_decomposerEEE10hipError_tT1_T2_PT3_SK_jT4_jjP12ihipStream_tbEUlT_E_NS1_11comp_targetILNS1_3genE2ELNS1_11target_archE906ELNS1_3gpuE6ELNS1_3repE0EEENS1_52radix_sort_onesweep_histogram_config_static_selectorELNS0_4arch9wavefront6targetE1EEEvSI_
; %bb.0:
	.section	.rodata,"a",@progbits
	.p2align	6, 0x0
	.amdhsa_kernel _ZN7rocprim17ROCPRIM_400000_NS6detail17trampoline_kernelINS0_14default_configENS1_35radix_sort_onesweep_config_selectorIxNS0_10empty_typeEEEZNS1_34radix_sort_onesweep_global_offsetsIS3_Lb0EN6thrust23THRUST_200600_302600_NS6detail15normal_iteratorINS9_10device_ptrIxEEEEPS5_jNS0_19identity_decomposerEEE10hipError_tT1_T2_PT3_SK_jT4_jjP12ihipStream_tbEUlT_E_NS1_11comp_targetILNS1_3genE2ELNS1_11target_archE906ELNS1_3gpuE6ELNS1_3repE0EEENS1_52radix_sort_onesweep_histogram_config_static_selectorELNS0_4arch9wavefront6targetE1EEEvSI_
		.amdhsa_group_segment_fixed_size 0
		.amdhsa_private_segment_fixed_size 0
		.amdhsa_kernarg_size 40
		.amdhsa_user_sgpr_count 2
		.amdhsa_user_sgpr_dispatch_ptr 0
		.amdhsa_user_sgpr_queue_ptr 0
		.amdhsa_user_sgpr_kernarg_segment_ptr 1
		.amdhsa_user_sgpr_dispatch_id 0
		.amdhsa_user_sgpr_kernarg_preload_length 0
		.amdhsa_user_sgpr_kernarg_preload_offset 0
		.amdhsa_user_sgpr_private_segment_size 0
		.amdhsa_uses_dynamic_stack 0
		.amdhsa_enable_private_segment 0
		.amdhsa_system_sgpr_workgroup_id_x 1
		.amdhsa_system_sgpr_workgroup_id_y 0
		.amdhsa_system_sgpr_workgroup_id_z 0
		.amdhsa_system_sgpr_workgroup_info 0
		.amdhsa_system_vgpr_workitem_id 0
		.amdhsa_next_free_vgpr 1
		.amdhsa_next_free_sgpr 0
		.amdhsa_accum_offset 4
		.amdhsa_reserve_vcc 0
		.amdhsa_float_round_mode_32 0
		.amdhsa_float_round_mode_16_64 0
		.amdhsa_float_denorm_mode_32 3
		.amdhsa_float_denorm_mode_16_64 3
		.amdhsa_dx10_clamp 1
		.amdhsa_ieee_mode 1
		.amdhsa_fp16_overflow 0
		.amdhsa_tg_split 0
		.amdhsa_exception_fp_ieee_invalid_op 0
		.amdhsa_exception_fp_denorm_src 0
		.amdhsa_exception_fp_ieee_div_zero 0
		.amdhsa_exception_fp_ieee_overflow 0
		.amdhsa_exception_fp_ieee_underflow 0
		.amdhsa_exception_fp_ieee_inexact 0
		.amdhsa_exception_int_div_zero 0
	.end_amdhsa_kernel
	.section	.text._ZN7rocprim17ROCPRIM_400000_NS6detail17trampoline_kernelINS0_14default_configENS1_35radix_sort_onesweep_config_selectorIxNS0_10empty_typeEEEZNS1_34radix_sort_onesweep_global_offsetsIS3_Lb0EN6thrust23THRUST_200600_302600_NS6detail15normal_iteratorINS9_10device_ptrIxEEEEPS5_jNS0_19identity_decomposerEEE10hipError_tT1_T2_PT3_SK_jT4_jjP12ihipStream_tbEUlT_E_NS1_11comp_targetILNS1_3genE2ELNS1_11target_archE906ELNS1_3gpuE6ELNS1_3repE0EEENS1_52radix_sort_onesweep_histogram_config_static_selectorELNS0_4arch9wavefront6targetE1EEEvSI_,"axG",@progbits,_ZN7rocprim17ROCPRIM_400000_NS6detail17trampoline_kernelINS0_14default_configENS1_35radix_sort_onesweep_config_selectorIxNS0_10empty_typeEEEZNS1_34radix_sort_onesweep_global_offsetsIS3_Lb0EN6thrust23THRUST_200600_302600_NS6detail15normal_iteratorINS9_10device_ptrIxEEEEPS5_jNS0_19identity_decomposerEEE10hipError_tT1_T2_PT3_SK_jT4_jjP12ihipStream_tbEUlT_E_NS1_11comp_targetILNS1_3genE2ELNS1_11target_archE906ELNS1_3gpuE6ELNS1_3repE0EEENS1_52radix_sort_onesweep_histogram_config_static_selectorELNS0_4arch9wavefront6targetE1EEEvSI_,comdat
.Lfunc_end1518:
	.size	_ZN7rocprim17ROCPRIM_400000_NS6detail17trampoline_kernelINS0_14default_configENS1_35radix_sort_onesweep_config_selectorIxNS0_10empty_typeEEEZNS1_34radix_sort_onesweep_global_offsetsIS3_Lb0EN6thrust23THRUST_200600_302600_NS6detail15normal_iteratorINS9_10device_ptrIxEEEEPS5_jNS0_19identity_decomposerEEE10hipError_tT1_T2_PT3_SK_jT4_jjP12ihipStream_tbEUlT_E_NS1_11comp_targetILNS1_3genE2ELNS1_11target_archE906ELNS1_3gpuE6ELNS1_3repE0EEENS1_52radix_sort_onesweep_histogram_config_static_selectorELNS0_4arch9wavefront6targetE1EEEvSI_, .Lfunc_end1518-_ZN7rocprim17ROCPRIM_400000_NS6detail17trampoline_kernelINS0_14default_configENS1_35radix_sort_onesweep_config_selectorIxNS0_10empty_typeEEEZNS1_34radix_sort_onesweep_global_offsetsIS3_Lb0EN6thrust23THRUST_200600_302600_NS6detail15normal_iteratorINS9_10device_ptrIxEEEEPS5_jNS0_19identity_decomposerEEE10hipError_tT1_T2_PT3_SK_jT4_jjP12ihipStream_tbEUlT_E_NS1_11comp_targetILNS1_3genE2ELNS1_11target_archE906ELNS1_3gpuE6ELNS1_3repE0EEENS1_52radix_sort_onesweep_histogram_config_static_selectorELNS0_4arch9wavefront6targetE1EEEvSI_
                                        ; -- End function
	.section	.AMDGPU.csdata,"",@progbits
; Kernel info:
; codeLenInByte = 0
; NumSgprs: 6
; NumVgprs: 0
; NumAgprs: 0
; TotalNumVgprs: 0
; ScratchSize: 0
; MemoryBound: 0
; FloatMode: 240
; IeeeMode: 1
; LDSByteSize: 0 bytes/workgroup (compile time only)
; SGPRBlocks: 0
; VGPRBlocks: 0
; NumSGPRsForWavesPerEU: 6
; NumVGPRsForWavesPerEU: 1
; AccumOffset: 4
; Occupancy: 8
; WaveLimiterHint : 0
; COMPUTE_PGM_RSRC2:SCRATCH_EN: 0
; COMPUTE_PGM_RSRC2:USER_SGPR: 2
; COMPUTE_PGM_RSRC2:TRAP_HANDLER: 0
; COMPUTE_PGM_RSRC2:TGID_X_EN: 1
; COMPUTE_PGM_RSRC2:TGID_Y_EN: 0
; COMPUTE_PGM_RSRC2:TGID_Z_EN: 0
; COMPUTE_PGM_RSRC2:TIDIG_COMP_CNT: 0
; COMPUTE_PGM_RSRC3_GFX90A:ACCUM_OFFSET: 0
; COMPUTE_PGM_RSRC3_GFX90A:TG_SPLIT: 0
	.section	.text._ZN7rocprim17ROCPRIM_400000_NS6detail17trampoline_kernelINS0_14default_configENS1_35radix_sort_onesweep_config_selectorIxNS0_10empty_typeEEEZNS1_34radix_sort_onesweep_global_offsetsIS3_Lb0EN6thrust23THRUST_200600_302600_NS6detail15normal_iteratorINS9_10device_ptrIxEEEEPS5_jNS0_19identity_decomposerEEE10hipError_tT1_T2_PT3_SK_jT4_jjP12ihipStream_tbEUlT_E_NS1_11comp_targetILNS1_3genE4ELNS1_11target_archE910ELNS1_3gpuE8ELNS1_3repE0EEENS1_52radix_sort_onesweep_histogram_config_static_selectorELNS0_4arch9wavefront6targetE1EEEvSI_,"axG",@progbits,_ZN7rocprim17ROCPRIM_400000_NS6detail17trampoline_kernelINS0_14default_configENS1_35radix_sort_onesweep_config_selectorIxNS0_10empty_typeEEEZNS1_34radix_sort_onesweep_global_offsetsIS3_Lb0EN6thrust23THRUST_200600_302600_NS6detail15normal_iteratorINS9_10device_ptrIxEEEEPS5_jNS0_19identity_decomposerEEE10hipError_tT1_T2_PT3_SK_jT4_jjP12ihipStream_tbEUlT_E_NS1_11comp_targetILNS1_3genE4ELNS1_11target_archE910ELNS1_3gpuE8ELNS1_3repE0EEENS1_52radix_sort_onesweep_histogram_config_static_selectorELNS0_4arch9wavefront6targetE1EEEvSI_,comdat
	.protected	_ZN7rocprim17ROCPRIM_400000_NS6detail17trampoline_kernelINS0_14default_configENS1_35radix_sort_onesweep_config_selectorIxNS0_10empty_typeEEEZNS1_34radix_sort_onesweep_global_offsetsIS3_Lb0EN6thrust23THRUST_200600_302600_NS6detail15normal_iteratorINS9_10device_ptrIxEEEEPS5_jNS0_19identity_decomposerEEE10hipError_tT1_T2_PT3_SK_jT4_jjP12ihipStream_tbEUlT_E_NS1_11comp_targetILNS1_3genE4ELNS1_11target_archE910ELNS1_3gpuE8ELNS1_3repE0EEENS1_52radix_sort_onesweep_histogram_config_static_selectorELNS0_4arch9wavefront6targetE1EEEvSI_ ; -- Begin function _ZN7rocprim17ROCPRIM_400000_NS6detail17trampoline_kernelINS0_14default_configENS1_35radix_sort_onesweep_config_selectorIxNS0_10empty_typeEEEZNS1_34radix_sort_onesweep_global_offsetsIS3_Lb0EN6thrust23THRUST_200600_302600_NS6detail15normal_iteratorINS9_10device_ptrIxEEEEPS5_jNS0_19identity_decomposerEEE10hipError_tT1_T2_PT3_SK_jT4_jjP12ihipStream_tbEUlT_E_NS1_11comp_targetILNS1_3genE4ELNS1_11target_archE910ELNS1_3gpuE8ELNS1_3repE0EEENS1_52radix_sort_onesweep_histogram_config_static_selectorELNS0_4arch9wavefront6targetE1EEEvSI_
	.globl	_ZN7rocprim17ROCPRIM_400000_NS6detail17trampoline_kernelINS0_14default_configENS1_35radix_sort_onesweep_config_selectorIxNS0_10empty_typeEEEZNS1_34radix_sort_onesweep_global_offsetsIS3_Lb0EN6thrust23THRUST_200600_302600_NS6detail15normal_iteratorINS9_10device_ptrIxEEEEPS5_jNS0_19identity_decomposerEEE10hipError_tT1_T2_PT3_SK_jT4_jjP12ihipStream_tbEUlT_E_NS1_11comp_targetILNS1_3genE4ELNS1_11target_archE910ELNS1_3gpuE8ELNS1_3repE0EEENS1_52radix_sort_onesweep_histogram_config_static_selectorELNS0_4arch9wavefront6targetE1EEEvSI_
	.p2align	8
	.type	_ZN7rocprim17ROCPRIM_400000_NS6detail17trampoline_kernelINS0_14default_configENS1_35radix_sort_onesweep_config_selectorIxNS0_10empty_typeEEEZNS1_34radix_sort_onesweep_global_offsetsIS3_Lb0EN6thrust23THRUST_200600_302600_NS6detail15normal_iteratorINS9_10device_ptrIxEEEEPS5_jNS0_19identity_decomposerEEE10hipError_tT1_T2_PT3_SK_jT4_jjP12ihipStream_tbEUlT_E_NS1_11comp_targetILNS1_3genE4ELNS1_11target_archE910ELNS1_3gpuE8ELNS1_3repE0EEENS1_52radix_sort_onesweep_histogram_config_static_selectorELNS0_4arch9wavefront6targetE1EEEvSI_,@function
_ZN7rocprim17ROCPRIM_400000_NS6detail17trampoline_kernelINS0_14default_configENS1_35radix_sort_onesweep_config_selectorIxNS0_10empty_typeEEEZNS1_34radix_sort_onesweep_global_offsetsIS3_Lb0EN6thrust23THRUST_200600_302600_NS6detail15normal_iteratorINS9_10device_ptrIxEEEEPS5_jNS0_19identity_decomposerEEE10hipError_tT1_T2_PT3_SK_jT4_jjP12ihipStream_tbEUlT_E_NS1_11comp_targetILNS1_3genE4ELNS1_11target_archE910ELNS1_3gpuE8ELNS1_3repE0EEENS1_52radix_sort_onesweep_histogram_config_static_selectorELNS0_4arch9wavefront6targetE1EEEvSI_: ; @_ZN7rocprim17ROCPRIM_400000_NS6detail17trampoline_kernelINS0_14default_configENS1_35radix_sort_onesweep_config_selectorIxNS0_10empty_typeEEEZNS1_34radix_sort_onesweep_global_offsetsIS3_Lb0EN6thrust23THRUST_200600_302600_NS6detail15normal_iteratorINS9_10device_ptrIxEEEEPS5_jNS0_19identity_decomposerEEE10hipError_tT1_T2_PT3_SK_jT4_jjP12ihipStream_tbEUlT_E_NS1_11comp_targetILNS1_3genE4ELNS1_11target_archE910ELNS1_3gpuE8ELNS1_3repE0EEENS1_52radix_sort_onesweep_histogram_config_static_selectorELNS0_4arch9wavefront6targetE1EEEvSI_
; %bb.0:
	.section	.rodata,"a",@progbits
	.p2align	6, 0x0
	.amdhsa_kernel _ZN7rocprim17ROCPRIM_400000_NS6detail17trampoline_kernelINS0_14default_configENS1_35radix_sort_onesweep_config_selectorIxNS0_10empty_typeEEEZNS1_34radix_sort_onesweep_global_offsetsIS3_Lb0EN6thrust23THRUST_200600_302600_NS6detail15normal_iteratorINS9_10device_ptrIxEEEEPS5_jNS0_19identity_decomposerEEE10hipError_tT1_T2_PT3_SK_jT4_jjP12ihipStream_tbEUlT_E_NS1_11comp_targetILNS1_3genE4ELNS1_11target_archE910ELNS1_3gpuE8ELNS1_3repE0EEENS1_52radix_sort_onesweep_histogram_config_static_selectorELNS0_4arch9wavefront6targetE1EEEvSI_
		.amdhsa_group_segment_fixed_size 0
		.amdhsa_private_segment_fixed_size 0
		.amdhsa_kernarg_size 40
		.amdhsa_user_sgpr_count 2
		.amdhsa_user_sgpr_dispatch_ptr 0
		.amdhsa_user_sgpr_queue_ptr 0
		.amdhsa_user_sgpr_kernarg_segment_ptr 1
		.amdhsa_user_sgpr_dispatch_id 0
		.amdhsa_user_sgpr_kernarg_preload_length 0
		.amdhsa_user_sgpr_kernarg_preload_offset 0
		.amdhsa_user_sgpr_private_segment_size 0
		.amdhsa_uses_dynamic_stack 0
		.amdhsa_enable_private_segment 0
		.amdhsa_system_sgpr_workgroup_id_x 1
		.amdhsa_system_sgpr_workgroup_id_y 0
		.amdhsa_system_sgpr_workgroup_id_z 0
		.amdhsa_system_sgpr_workgroup_info 0
		.amdhsa_system_vgpr_workitem_id 0
		.amdhsa_next_free_vgpr 1
		.amdhsa_next_free_sgpr 0
		.amdhsa_accum_offset 4
		.amdhsa_reserve_vcc 0
		.amdhsa_float_round_mode_32 0
		.amdhsa_float_round_mode_16_64 0
		.amdhsa_float_denorm_mode_32 3
		.amdhsa_float_denorm_mode_16_64 3
		.amdhsa_dx10_clamp 1
		.amdhsa_ieee_mode 1
		.amdhsa_fp16_overflow 0
		.amdhsa_tg_split 0
		.amdhsa_exception_fp_ieee_invalid_op 0
		.amdhsa_exception_fp_denorm_src 0
		.amdhsa_exception_fp_ieee_div_zero 0
		.amdhsa_exception_fp_ieee_overflow 0
		.amdhsa_exception_fp_ieee_underflow 0
		.amdhsa_exception_fp_ieee_inexact 0
		.amdhsa_exception_int_div_zero 0
	.end_amdhsa_kernel
	.section	.text._ZN7rocprim17ROCPRIM_400000_NS6detail17trampoline_kernelINS0_14default_configENS1_35radix_sort_onesweep_config_selectorIxNS0_10empty_typeEEEZNS1_34radix_sort_onesweep_global_offsetsIS3_Lb0EN6thrust23THRUST_200600_302600_NS6detail15normal_iteratorINS9_10device_ptrIxEEEEPS5_jNS0_19identity_decomposerEEE10hipError_tT1_T2_PT3_SK_jT4_jjP12ihipStream_tbEUlT_E_NS1_11comp_targetILNS1_3genE4ELNS1_11target_archE910ELNS1_3gpuE8ELNS1_3repE0EEENS1_52radix_sort_onesweep_histogram_config_static_selectorELNS0_4arch9wavefront6targetE1EEEvSI_,"axG",@progbits,_ZN7rocprim17ROCPRIM_400000_NS6detail17trampoline_kernelINS0_14default_configENS1_35radix_sort_onesweep_config_selectorIxNS0_10empty_typeEEEZNS1_34radix_sort_onesweep_global_offsetsIS3_Lb0EN6thrust23THRUST_200600_302600_NS6detail15normal_iteratorINS9_10device_ptrIxEEEEPS5_jNS0_19identity_decomposerEEE10hipError_tT1_T2_PT3_SK_jT4_jjP12ihipStream_tbEUlT_E_NS1_11comp_targetILNS1_3genE4ELNS1_11target_archE910ELNS1_3gpuE8ELNS1_3repE0EEENS1_52radix_sort_onesweep_histogram_config_static_selectorELNS0_4arch9wavefront6targetE1EEEvSI_,comdat
.Lfunc_end1519:
	.size	_ZN7rocprim17ROCPRIM_400000_NS6detail17trampoline_kernelINS0_14default_configENS1_35radix_sort_onesweep_config_selectorIxNS0_10empty_typeEEEZNS1_34radix_sort_onesweep_global_offsetsIS3_Lb0EN6thrust23THRUST_200600_302600_NS6detail15normal_iteratorINS9_10device_ptrIxEEEEPS5_jNS0_19identity_decomposerEEE10hipError_tT1_T2_PT3_SK_jT4_jjP12ihipStream_tbEUlT_E_NS1_11comp_targetILNS1_3genE4ELNS1_11target_archE910ELNS1_3gpuE8ELNS1_3repE0EEENS1_52radix_sort_onesweep_histogram_config_static_selectorELNS0_4arch9wavefront6targetE1EEEvSI_, .Lfunc_end1519-_ZN7rocprim17ROCPRIM_400000_NS6detail17trampoline_kernelINS0_14default_configENS1_35radix_sort_onesweep_config_selectorIxNS0_10empty_typeEEEZNS1_34radix_sort_onesweep_global_offsetsIS3_Lb0EN6thrust23THRUST_200600_302600_NS6detail15normal_iteratorINS9_10device_ptrIxEEEEPS5_jNS0_19identity_decomposerEEE10hipError_tT1_T2_PT3_SK_jT4_jjP12ihipStream_tbEUlT_E_NS1_11comp_targetILNS1_3genE4ELNS1_11target_archE910ELNS1_3gpuE8ELNS1_3repE0EEENS1_52radix_sort_onesweep_histogram_config_static_selectorELNS0_4arch9wavefront6targetE1EEEvSI_
                                        ; -- End function
	.section	.AMDGPU.csdata,"",@progbits
; Kernel info:
; codeLenInByte = 0
; NumSgprs: 6
; NumVgprs: 0
; NumAgprs: 0
; TotalNumVgprs: 0
; ScratchSize: 0
; MemoryBound: 0
; FloatMode: 240
; IeeeMode: 1
; LDSByteSize: 0 bytes/workgroup (compile time only)
; SGPRBlocks: 0
; VGPRBlocks: 0
; NumSGPRsForWavesPerEU: 6
; NumVGPRsForWavesPerEU: 1
; AccumOffset: 4
; Occupancy: 8
; WaveLimiterHint : 0
; COMPUTE_PGM_RSRC2:SCRATCH_EN: 0
; COMPUTE_PGM_RSRC2:USER_SGPR: 2
; COMPUTE_PGM_RSRC2:TRAP_HANDLER: 0
; COMPUTE_PGM_RSRC2:TGID_X_EN: 1
; COMPUTE_PGM_RSRC2:TGID_Y_EN: 0
; COMPUTE_PGM_RSRC2:TGID_Z_EN: 0
; COMPUTE_PGM_RSRC2:TIDIG_COMP_CNT: 0
; COMPUTE_PGM_RSRC3_GFX90A:ACCUM_OFFSET: 0
; COMPUTE_PGM_RSRC3_GFX90A:TG_SPLIT: 0
	.section	.text._ZN7rocprim17ROCPRIM_400000_NS6detail17trampoline_kernelINS0_14default_configENS1_35radix_sort_onesweep_config_selectorIxNS0_10empty_typeEEEZNS1_34radix_sort_onesweep_global_offsetsIS3_Lb0EN6thrust23THRUST_200600_302600_NS6detail15normal_iteratorINS9_10device_ptrIxEEEEPS5_jNS0_19identity_decomposerEEE10hipError_tT1_T2_PT3_SK_jT4_jjP12ihipStream_tbEUlT_E_NS1_11comp_targetILNS1_3genE3ELNS1_11target_archE908ELNS1_3gpuE7ELNS1_3repE0EEENS1_52radix_sort_onesweep_histogram_config_static_selectorELNS0_4arch9wavefront6targetE1EEEvSI_,"axG",@progbits,_ZN7rocprim17ROCPRIM_400000_NS6detail17trampoline_kernelINS0_14default_configENS1_35radix_sort_onesweep_config_selectorIxNS0_10empty_typeEEEZNS1_34radix_sort_onesweep_global_offsetsIS3_Lb0EN6thrust23THRUST_200600_302600_NS6detail15normal_iteratorINS9_10device_ptrIxEEEEPS5_jNS0_19identity_decomposerEEE10hipError_tT1_T2_PT3_SK_jT4_jjP12ihipStream_tbEUlT_E_NS1_11comp_targetILNS1_3genE3ELNS1_11target_archE908ELNS1_3gpuE7ELNS1_3repE0EEENS1_52radix_sort_onesweep_histogram_config_static_selectorELNS0_4arch9wavefront6targetE1EEEvSI_,comdat
	.protected	_ZN7rocprim17ROCPRIM_400000_NS6detail17trampoline_kernelINS0_14default_configENS1_35radix_sort_onesweep_config_selectorIxNS0_10empty_typeEEEZNS1_34radix_sort_onesweep_global_offsetsIS3_Lb0EN6thrust23THRUST_200600_302600_NS6detail15normal_iteratorINS9_10device_ptrIxEEEEPS5_jNS0_19identity_decomposerEEE10hipError_tT1_T2_PT3_SK_jT4_jjP12ihipStream_tbEUlT_E_NS1_11comp_targetILNS1_3genE3ELNS1_11target_archE908ELNS1_3gpuE7ELNS1_3repE0EEENS1_52radix_sort_onesweep_histogram_config_static_selectorELNS0_4arch9wavefront6targetE1EEEvSI_ ; -- Begin function _ZN7rocprim17ROCPRIM_400000_NS6detail17trampoline_kernelINS0_14default_configENS1_35radix_sort_onesweep_config_selectorIxNS0_10empty_typeEEEZNS1_34radix_sort_onesweep_global_offsetsIS3_Lb0EN6thrust23THRUST_200600_302600_NS6detail15normal_iteratorINS9_10device_ptrIxEEEEPS5_jNS0_19identity_decomposerEEE10hipError_tT1_T2_PT3_SK_jT4_jjP12ihipStream_tbEUlT_E_NS1_11comp_targetILNS1_3genE3ELNS1_11target_archE908ELNS1_3gpuE7ELNS1_3repE0EEENS1_52radix_sort_onesweep_histogram_config_static_selectorELNS0_4arch9wavefront6targetE1EEEvSI_
	.globl	_ZN7rocprim17ROCPRIM_400000_NS6detail17trampoline_kernelINS0_14default_configENS1_35radix_sort_onesweep_config_selectorIxNS0_10empty_typeEEEZNS1_34radix_sort_onesweep_global_offsetsIS3_Lb0EN6thrust23THRUST_200600_302600_NS6detail15normal_iteratorINS9_10device_ptrIxEEEEPS5_jNS0_19identity_decomposerEEE10hipError_tT1_T2_PT3_SK_jT4_jjP12ihipStream_tbEUlT_E_NS1_11comp_targetILNS1_3genE3ELNS1_11target_archE908ELNS1_3gpuE7ELNS1_3repE0EEENS1_52radix_sort_onesweep_histogram_config_static_selectorELNS0_4arch9wavefront6targetE1EEEvSI_
	.p2align	8
	.type	_ZN7rocprim17ROCPRIM_400000_NS6detail17trampoline_kernelINS0_14default_configENS1_35radix_sort_onesweep_config_selectorIxNS0_10empty_typeEEEZNS1_34radix_sort_onesweep_global_offsetsIS3_Lb0EN6thrust23THRUST_200600_302600_NS6detail15normal_iteratorINS9_10device_ptrIxEEEEPS5_jNS0_19identity_decomposerEEE10hipError_tT1_T2_PT3_SK_jT4_jjP12ihipStream_tbEUlT_E_NS1_11comp_targetILNS1_3genE3ELNS1_11target_archE908ELNS1_3gpuE7ELNS1_3repE0EEENS1_52radix_sort_onesweep_histogram_config_static_selectorELNS0_4arch9wavefront6targetE1EEEvSI_,@function
_ZN7rocprim17ROCPRIM_400000_NS6detail17trampoline_kernelINS0_14default_configENS1_35radix_sort_onesweep_config_selectorIxNS0_10empty_typeEEEZNS1_34radix_sort_onesweep_global_offsetsIS3_Lb0EN6thrust23THRUST_200600_302600_NS6detail15normal_iteratorINS9_10device_ptrIxEEEEPS5_jNS0_19identity_decomposerEEE10hipError_tT1_T2_PT3_SK_jT4_jjP12ihipStream_tbEUlT_E_NS1_11comp_targetILNS1_3genE3ELNS1_11target_archE908ELNS1_3gpuE7ELNS1_3repE0EEENS1_52radix_sort_onesweep_histogram_config_static_selectorELNS0_4arch9wavefront6targetE1EEEvSI_: ; @_ZN7rocprim17ROCPRIM_400000_NS6detail17trampoline_kernelINS0_14default_configENS1_35radix_sort_onesweep_config_selectorIxNS0_10empty_typeEEEZNS1_34radix_sort_onesweep_global_offsetsIS3_Lb0EN6thrust23THRUST_200600_302600_NS6detail15normal_iteratorINS9_10device_ptrIxEEEEPS5_jNS0_19identity_decomposerEEE10hipError_tT1_T2_PT3_SK_jT4_jjP12ihipStream_tbEUlT_E_NS1_11comp_targetILNS1_3genE3ELNS1_11target_archE908ELNS1_3gpuE7ELNS1_3repE0EEENS1_52radix_sort_onesweep_histogram_config_static_selectorELNS0_4arch9wavefront6targetE1EEEvSI_
; %bb.0:
	.section	.rodata,"a",@progbits
	.p2align	6, 0x0
	.amdhsa_kernel _ZN7rocprim17ROCPRIM_400000_NS6detail17trampoline_kernelINS0_14default_configENS1_35radix_sort_onesweep_config_selectorIxNS0_10empty_typeEEEZNS1_34radix_sort_onesweep_global_offsetsIS3_Lb0EN6thrust23THRUST_200600_302600_NS6detail15normal_iteratorINS9_10device_ptrIxEEEEPS5_jNS0_19identity_decomposerEEE10hipError_tT1_T2_PT3_SK_jT4_jjP12ihipStream_tbEUlT_E_NS1_11comp_targetILNS1_3genE3ELNS1_11target_archE908ELNS1_3gpuE7ELNS1_3repE0EEENS1_52radix_sort_onesweep_histogram_config_static_selectorELNS0_4arch9wavefront6targetE1EEEvSI_
		.amdhsa_group_segment_fixed_size 0
		.amdhsa_private_segment_fixed_size 0
		.amdhsa_kernarg_size 40
		.amdhsa_user_sgpr_count 2
		.amdhsa_user_sgpr_dispatch_ptr 0
		.amdhsa_user_sgpr_queue_ptr 0
		.amdhsa_user_sgpr_kernarg_segment_ptr 1
		.amdhsa_user_sgpr_dispatch_id 0
		.amdhsa_user_sgpr_kernarg_preload_length 0
		.amdhsa_user_sgpr_kernarg_preload_offset 0
		.amdhsa_user_sgpr_private_segment_size 0
		.amdhsa_uses_dynamic_stack 0
		.amdhsa_enable_private_segment 0
		.amdhsa_system_sgpr_workgroup_id_x 1
		.amdhsa_system_sgpr_workgroup_id_y 0
		.amdhsa_system_sgpr_workgroup_id_z 0
		.amdhsa_system_sgpr_workgroup_info 0
		.amdhsa_system_vgpr_workitem_id 0
		.amdhsa_next_free_vgpr 1
		.amdhsa_next_free_sgpr 0
		.amdhsa_accum_offset 4
		.amdhsa_reserve_vcc 0
		.amdhsa_float_round_mode_32 0
		.amdhsa_float_round_mode_16_64 0
		.amdhsa_float_denorm_mode_32 3
		.amdhsa_float_denorm_mode_16_64 3
		.amdhsa_dx10_clamp 1
		.amdhsa_ieee_mode 1
		.amdhsa_fp16_overflow 0
		.amdhsa_tg_split 0
		.amdhsa_exception_fp_ieee_invalid_op 0
		.amdhsa_exception_fp_denorm_src 0
		.amdhsa_exception_fp_ieee_div_zero 0
		.amdhsa_exception_fp_ieee_overflow 0
		.amdhsa_exception_fp_ieee_underflow 0
		.amdhsa_exception_fp_ieee_inexact 0
		.amdhsa_exception_int_div_zero 0
	.end_amdhsa_kernel
	.section	.text._ZN7rocprim17ROCPRIM_400000_NS6detail17trampoline_kernelINS0_14default_configENS1_35radix_sort_onesweep_config_selectorIxNS0_10empty_typeEEEZNS1_34radix_sort_onesweep_global_offsetsIS3_Lb0EN6thrust23THRUST_200600_302600_NS6detail15normal_iteratorINS9_10device_ptrIxEEEEPS5_jNS0_19identity_decomposerEEE10hipError_tT1_T2_PT3_SK_jT4_jjP12ihipStream_tbEUlT_E_NS1_11comp_targetILNS1_3genE3ELNS1_11target_archE908ELNS1_3gpuE7ELNS1_3repE0EEENS1_52radix_sort_onesweep_histogram_config_static_selectorELNS0_4arch9wavefront6targetE1EEEvSI_,"axG",@progbits,_ZN7rocprim17ROCPRIM_400000_NS6detail17trampoline_kernelINS0_14default_configENS1_35radix_sort_onesweep_config_selectorIxNS0_10empty_typeEEEZNS1_34radix_sort_onesweep_global_offsetsIS3_Lb0EN6thrust23THRUST_200600_302600_NS6detail15normal_iteratorINS9_10device_ptrIxEEEEPS5_jNS0_19identity_decomposerEEE10hipError_tT1_T2_PT3_SK_jT4_jjP12ihipStream_tbEUlT_E_NS1_11comp_targetILNS1_3genE3ELNS1_11target_archE908ELNS1_3gpuE7ELNS1_3repE0EEENS1_52radix_sort_onesweep_histogram_config_static_selectorELNS0_4arch9wavefront6targetE1EEEvSI_,comdat
.Lfunc_end1520:
	.size	_ZN7rocprim17ROCPRIM_400000_NS6detail17trampoline_kernelINS0_14default_configENS1_35radix_sort_onesweep_config_selectorIxNS0_10empty_typeEEEZNS1_34radix_sort_onesweep_global_offsetsIS3_Lb0EN6thrust23THRUST_200600_302600_NS6detail15normal_iteratorINS9_10device_ptrIxEEEEPS5_jNS0_19identity_decomposerEEE10hipError_tT1_T2_PT3_SK_jT4_jjP12ihipStream_tbEUlT_E_NS1_11comp_targetILNS1_3genE3ELNS1_11target_archE908ELNS1_3gpuE7ELNS1_3repE0EEENS1_52radix_sort_onesweep_histogram_config_static_selectorELNS0_4arch9wavefront6targetE1EEEvSI_, .Lfunc_end1520-_ZN7rocprim17ROCPRIM_400000_NS6detail17trampoline_kernelINS0_14default_configENS1_35radix_sort_onesweep_config_selectorIxNS0_10empty_typeEEEZNS1_34radix_sort_onesweep_global_offsetsIS3_Lb0EN6thrust23THRUST_200600_302600_NS6detail15normal_iteratorINS9_10device_ptrIxEEEEPS5_jNS0_19identity_decomposerEEE10hipError_tT1_T2_PT3_SK_jT4_jjP12ihipStream_tbEUlT_E_NS1_11comp_targetILNS1_3genE3ELNS1_11target_archE908ELNS1_3gpuE7ELNS1_3repE0EEENS1_52radix_sort_onesweep_histogram_config_static_selectorELNS0_4arch9wavefront6targetE1EEEvSI_
                                        ; -- End function
	.section	.AMDGPU.csdata,"",@progbits
; Kernel info:
; codeLenInByte = 0
; NumSgprs: 6
; NumVgprs: 0
; NumAgprs: 0
; TotalNumVgprs: 0
; ScratchSize: 0
; MemoryBound: 0
; FloatMode: 240
; IeeeMode: 1
; LDSByteSize: 0 bytes/workgroup (compile time only)
; SGPRBlocks: 0
; VGPRBlocks: 0
; NumSGPRsForWavesPerEU: 6
; NumVGPRsForWavesPerEU: 1
; AccumOffset: 4
; Occupancy: 8
; WaveLimiterHint : 0
; COMPUTE_PGM_RSRC2:SCRATCH_EN: 0
; COMPUTE_PGM_RSRC2:USER_SGPR: 2
; COMPUTE_PGM_RSRC2:TRAP_HANDLER: 0
; COMPUTE_PGM_RSRC2:TGID_X_EN: 1
; COMPUTE_PGM_RSRC2:TGID_Y_EN: 0
; COMPUTE_PGM_RSRC2:TGID_Z_EN: 0
; COMPUTE_PGM_RSRC2:TIDIG_COMP_CNT: 0
; COMPUTE_PGM_RSRC3_GFX90A:ACCUM_OFFSET: 0
; COMPUTE_PGM_RSRC3_GFX90A:TG_SPLIT: 0
	.section	.text._ZN7rocprim17ROCPRIM_400000_NS6detail17trampoline_kernelINS0_14default_configENS1_35radix_sort_onesweep_config_selectorIxNS0_10empty_typeEEEZNS1_34radix_sort_onesweep_global_offsetsIS3_Lb0EN6thrust23THRUST_200600_302600_NS6detail15normal_iteratorINS9_10device_ptrIxEEEEPS5_jNS0_19identity_decomposerEEE10hipError_tT1_T2_PT3_SK_jT4_jjP12ihipStream_tbEUlT_E_NS1_11comp_targetILNS1_3genE10ELNS1_11target_archE1201ELNS1_3gpuE5ELNS1_3repE0EEENS1_52radix_sort_onesweep_histogram_config_static_selectorELNS0_4arch9wavefront6targetE1EEEvSI_,"axG",@progbits,_ZN7rocprim17ROCPRIM_400000_NS6detail17trampoline_kernelINS0_14default_configENS1_35radix_sort_onesweep_config_selectorIxNS0_10empty_typeEEEZNS1_34radix_sort_onesweep_global_offsetsIS3_Lb0EN6thrust23THRUST_200600_302600_NS6detail15normal_iteratorINS9_10device_ptrIxEEEEPS5_jNS0_19identity_decomposerEEE10hipError_tT1_T2_PT3_SK_jT4_jjP12ihipStream_tbEUlT_E_NS1_11comp_targetILNS1_3genE10ELNS1_11target_archE1201ELNS1_3gpuE5ELNS1_3repE0EEENS1_52radix_sort_onesweep_histogram_config_static_selectorELNS0_4arch9wavefront6targetE1EEEvSI_,comdat
	.protected	_ZN7rocprim17ROCPRIM_400000_NS6detail17trampoline_kernelINS0_14default_configENS1_35radix_sort_onesweep_config_selectorIxNS0_10empty_typeEEEZNS1_34radix_sort_onesweep_global_offsetsIS3_Lb0EN6thrust23THRUST_200600_302600_NS6detail15normal_iteratorINS9_10device_ptrIxEEEEPS5_jNS0_19identity_decomposerEEE10hipError_tT1_T2_PT3_SK_jT4_jjP12ihipStream_tbEUlT_E_NS1_11comp_targetILNS1_3genE10ELNS1_11target_archE1201ELNS1_3gpuE5ELNS1_3repE0EEENS1_52radix_sort_onesweep_histogram_config_static_selectorELNS0_4arch9wavefront6targetE1EEEvSI_ ; -- Begin function _ZN7rocprim17ROCPRIM_400000_NS6detail17trampoline_kernelINS0_14default_configENS1_35radix_sort_onesweep_config_selectorIxNS0_10empty_typeEEEZNS1_34radix_sort_onesweep_global_offsetsIS3_Lb0EN6thrust23THRUST_200600_302600_NS6detail15normal_iteratorINS9_10device_ptrIxEEEEPS5_jNS0_19identity_decomposerEEE10hipError_tT1_T2_PT3_SK_jT4_jjP12ihipStream_tbEUlT_E_NS1_11comp_targetILNS1_3genE10ELNS1_11target_archE1201ELNS1_3gpuE5ELNS1_3repE0EEENS1_52radix_sort_onesweep_histogram_config_static_selectorELNS0_4arch9wavefront6targetE1EEEvSI_
	.globl	_ZN7rocprim17ROCPRIM_400000_NS6detail17trampoline_kernelINS0_14default_configENS1_35radix_sort_onesweep_config_selectorIxNS0_10empty_typeEEEZNS1_34radix_sort_onesweep_global_offsetsIS3_Lb0EN6thrust23THRUST_200600_302600_NS6detail15normal_iteratorINS9_10device_ptrIxEEEEPS5_jNS0_19identity_decomposerEEE10hipError_tT1_T2_PT3_SK_jT4_jjP12ihipStream_tbEUlT_E_NS1_11comp_targetILNS1_3genE10ELNS1_11target_archE1201ELNS1_3gpuE5ELNS1_3repE0EEENS1_52radix_sort_onesweep_histogram_config_static_selectorELNS0_4arch9wavefront6targetE1EEEvSI_
	.p2align	8
	.type	_ZN7rocprim17ROCPRIM_400000_NS6detail17trampoline_kernelINS0_14default_configENS1_35radix_sort_onesweep_config_selectorIxNS0_10empty_typeEEEZNS1_34radix_sort_onesweep_global_offsetsIS3_Lb0EN6thrust23THRUST_200600_302600_NS6detail15normal_iteratorINS9_10device_ptrIxEEEEPS5_jNS0_19identity_decomposerEEE10hipError_tT1_T2_PT3_SK_jT4_jjP12ihipStream_tbEUlT_E_NS1_11comp_targetILNS1_3genE10ELNS1_11target_archE1201ELNS1_3gpuE5ELNS1_3repE0EEENS1_52radix_sort_onesweep_histogram_config_static_selectorELNS0_4arch9wavefront6targetE1EEEvSI_,@function
_ZN7rocprim17ROCPRIM_400000_NS6detail17trampoline_kernelINS0_14default_configENS1_35radix_sort_onesweep_config_selectorIxNS0_10empty_typeEEEZNS1_34radix_sort_onesweep_global_offsetsIS3_Lb0EN6thrust23THRUST_200600_302600_NS6detail15normal_iteratorINS9_10device_ptrIxEEEEPS5_jNS0_19identity_decomposerEEE10hipError_tT1_T2_PT3_SK_jT4_jjP12ihipStream_tbEUlT_E_NS1_11comp_targetILNS1_3genE10ELNS1_11target_archE1201ELNS1_3gpuE5ELNS1_3repE0EEENS1_52radix_sort_onesweep_histogram_config_static_selectorELNS0_4arch9wavefront6targetE1EEEvSI_: ; @_ZN7rocprim17ROCPRIM_400000_NS6detail17trampoline_kernelINS0_14default_configENS1_35radix_sort_onesweep_config_selectorIxNS0_10empty_typeEEEZNS1_34radix_sort_onesweep_global_offsetsIS3_Lb0EN6thrust23THRUST_200600_302600_NS6detail15normal_iteratorINS9_10device_ptrIxEEEEPS5_jNS0_19identity_decomposerEEE10hipError_tT1_T2_PT3_SK_jT4_jjP12ihipStream_tbEUlT_E_NS1_11comp_targetILNS1_3genE10ELNS1_11target_archE1201ELNS1_3gpuE5ELNS1_3repE0EEENS1_52radix_sort_onesweep_histogram_config_static_selectorELNS0_4arch9wavefront6targetE1EEEvSI_
; %bb.0:
	.section	.rodata,"a",@progbits
	.p2align	6, 0x0
	.amdhsa_kernel _ZN7rocprim17ROCPRIM_400000_NS6detail17trampoline_kernelINS0_14default_configENS1_35radix_sort_onesweep_config_selectorIxNS0_10empty_typeEEEZNS1_34radix_sort_onesweep_global_offsetsIS3_Lb0EN6thrust23THRUST_200600_302600_NS6detail15normal_iteratorINS9_10device_ptrIxEEEEPS5_jNS0_19identity_decomposerEEE10hipError_tT1_T2_PT3_SK_jT4_jjP12ihipStream_tbEUlT_E_NS1_11comp_targetILNS1_3genE10ELNS1_11target_archE1201ELNS1_3gpuE5ELNS1_3repE0EEENS1_52radix_sort_onesweep_histogram_config_static_selectorELNS0_4arch9wavefront6targetE1EEEvSI_
		.amdhsa_group_segment_fixed_size 0
		.amdhsa_private_segment_fixed_size 0
		.amdhsa_kernarg_size 40
		.amdhsa_user_sgpr_count 2
		.amdhsa_user_sgpr_dispatch_ptr 0
		.amdhsa_user_sgpr_queue_ptr 0
		.amdhsa_user_sgpr_kernarg_segment_ptr 1
		.amdhsa_user_sgpr_dispatch_id 0
		.amdhsa_user_sgpr_kernarg_preload_length 0
		.amdhsa_user_sgpr_kernarg_preload_offset 0
		.amdhsa_user_sgpr_private_segment_size 0
		.amdhsa_uses_dynamic_stack 0
		.amdhsa_enable_private_segment 0
		.amdhsa_system_sgpr_workgroup_id_x 1
		.amdhsa_system_sgpr_workgroup_id_y 0
		.amdhsa_system_sgpr_workgroup_id_z 0
		.amdhsa_system_sgpr_workgroup_info 0
		.amdhsa_system_vgpr_workitem_id 0
		.amdhsa_next_free_vgpr 1
		.amdhsa_next_free_sgpr 0
		.amdhsa_accum_offset 4
		.amdhsa_reserve_vcc 0
		.amdhsa_float_round_mode_32 0
		.amdhsa_float_round_mode_16_64 0
		.amdhsa_float_denorm_mode_32 3
		.amdhsa_float_denorm_mode_16_64 3
		.amdhsa_dx10_clamp 1
		.amdhsa_ieee_mode 1
		.amdhsa_fp16_overflow 0
		.amdhsa_tg_split 0
		.amdhsa_exception_fp_ieee_invalid_op 0
		.amdhsa_exception_fp_denorm_src 0
		.amdhsa_exception_fp_ieee_div_zero 0
		.amdhsa_exception_fp_ieee_overflow 0
		.amdhsa_exception_fp_ieee_underflow 0
		.amdhsa_exception_fp_ieee_inexact 0
		.amdhsa_exception_int_div_zero 0
	.end_amdhsa_kernel
	.section	.text._ZN7rocprim17ROCPRIM_400000_NS6detail17trampoline_kernelINS0_14default_configENS1_35radix_sort_onesweep_config_selectorIxNS0_10empty_typeEEEZNS1_34radix_sort_onesweep_global_offsetsIS3_Lb0EN6thrust23THRUST_200600_302600_NS6detail15normal_iteratorINS9_10device_ptrIxEEEEPS5_jNS0_19identity_decomposerEEE10hipError_tT1_T2_PT3_SK_jT4_jjP12ihipStream_tbEUlT_E_NS1_11comp_targetILNS1_3genE10ELNS1_11target_archE1201ELNS1_3gpuE5ELNS1_3repE0EEENS1_52radix_sort_onesweep_histogram_config_static_selectorELNS0_4arch9wavefront6targetE1EEEvSI_,"axG",@progbits,_ZN7rocprim17ROCPRIM_400000_NS6detail17trampoline_kernelINS0_14default_configENS1_35radix_sort_onesweep_config_selectorIxNS0_10empty_typeEEEZNS1_34radix_sort_onesweep_global_offsetsIS3_Lb0EN6thrust23THRUST_200600_302600_NS6detail15normal_iteratorINS9_10device_ptrIxEEEEPS5_jNS0_19identity_decomposerEEE10hipError_tT1_T2_PT3_SK_jT4_jjP12ihipStream_tbEUlT_E_NS1_11comp_targetILNS1_3genE10ELNS1_11target_archE1201ELNS1_3gpuE5ELNS1_3repE0EEENS1_52radix_sort_onesweep_histogram_config_static_selectorELNS0_4arch9wavefront6targetE1EEEvSI_,comdat
.Lfunc_end1521:
	.size	_ZN7rocprim17ROCPRIM_400000_NS6detail17trampoline_kernelINS0_14default_configENS1_35radix_sort_onesweep_config_selectorIxNS0_10empty_typeEEEZNS1_34radix_sort_onesweep_global_offsetsIS3_Lb0EN6thrust23THRUST_200600_302600_NS6detail15normal_iteratorINS9_10device_ptrIxEEEEPS5_jNS0_19identity_decomposerEEE10hipError_tT1_T2_PT3_SK_jT4_jjP12ihipStream_tbEUlT_E_NS1_11comp_targetILNS1_3genE10ELNS1_11target_archE1201ELNS1_3gpuE5ELNS1_3repE0EEENS1_52radix_sort_onesweep_histogram_config_static_selectorELNS0_4arch9wavefront6targetE1EEEvSI_, .Lfunc_end1521-_ZN7rocprim17ROCPRIM_400000_NS6detail17trampoline_kernelINS0_14default_configENS1_35radix_sort_onesweep_config_selectorIxNS0_10empty_typeEEEZNS1_34radix_sort_onesweep_global_offsetsIS3_Lb0EN6thrust23THRUST_200600_302600_NS6detail15normal_iteratorINS9_10device_ptrIxEEEEPS5_jNS0_19identity_decomposerEEE10hipError_tT1_T2_PT3_SK_jT4_jjP12ihipStream_tbEUlT_E_NS1_11comp_targetILNS1_3genE10ELNS1_11target_archE1201ELNS1_3gpuE5ELNS1_3repE0EEENS1_52radix_sort_onesweep_histogram_config_static_selectorELNS0_4arch9wavefront6targetE1EEEvSI_
                                        ; -- End function
	.section	.AMDGPU.csdata,"",@progbits
; Kernel info:
; codeLenInByte = 0
; NumSgprs: 6
; NumVgprs: 0
; NumAgprs: 0
; TotalNumVgprs: 0
; ScratchSize: 0
; MemoryBound: 0
; FloatMode: 240
; IeeeMode: 1
; LDSByteSize: 0 bytes/workgroup (compile time only)
; SGPRBlocks: 0
; VGPRBlocks: 0
; NumSGPRsForWavesPerEU: 6
; NumVGPRsForWavesPerEU: 1
; AccumOffset: 4
; Occupancy: 8
; WaveLimiterHint : 0
; COMPUTE_PGM_RSRC2:SCRATCH_EN: 0
; COMPUTE_PGM_RSRC2:USER_SGPR: 2
; COMPUTE_PGM_RSRC2:TRAP_HANDLER: 0
; COMPUTE_PGM_RSRC2:TGID_X_EN: 1
; COMPUTE_PGM_RSRC2:TGID_Y_EN: 0
; COMPUTE_PGM_RSRC2:TGID_Z_EN: 0
; COMPUTE_PGM_RSRC2:TIDIG_COMP_CNT: 0
; COMPUTE_PGM_RSRC3_GFX90A:ACCUM_OFFSET: 0
; COMPUTE_PGM_RSRC3_GFX90A:TG_SPLIT: 0
	.section	.text._ZN7rocprim17ROCPRIM_400000_NS6detail17trampoline_kernelINS0_14default_configENS1_35radix_sort_onesweep_config_selectorIxNS0_10empty_typeEEEZNS1_34radix_sort_onesweep_global_offsetsIS3_Lb0EN6thrust23THRUST_200600_302600_NS6detail15normal_iteratorINS9_10device_ptrIxEEEEPS5_jNS0_19identity_decomposerEEE10hipError_tT1_T2_PT3_SK_jT4_jjP12ihipStream_tbEUlT_E_NS1_11comp_targetILNS1_3genE9ELNS1_11target_archE1100ELNS1_3gpuE3ELNS1_3repE0EEENS1_52radix_sort_onesweep_histogram_config_static_selectorELNS0_4arch9wavefront6targetE1EEEvSI_,"axG",@progbits,_ZN7rocprim17ROCPRIM_400000_NS6detail17trampoline_kernelINS0_14default_configENS1_35radix_sort_onesweep_config_selectorIxNS0_10empty_typeEEEZNS1_34radix_sort_onesweep_global_offsetsIS3_Lb0EN6thrust23THRUST_200600_302600_NS6detail15normal_iteratorINS9_10device_ptrIxEEEEPS5_jNS0_19identity_decomposerEEE10hipError_tT1_T2_PT3_SK_jT4_jjP12ihipStream_tbEUlT_E_NS1_11comp_targetILNS1_3genE9ELNS1_11target_archE1100ELNS1_3gpuE3ELNS1_3repE0EEENS1_52radix_sort_onesweep_histogram_config_static_selectorELNS0_4arch9wavefront6targetE1EEEvSI_,comdat
	.protected	_ZN7rocprim17ROCPRIM_400000_NS6detail17trampoline_kernelINS0_14default_configENS1_35radix_sort_onesweep_config_selectorIxNS0_10empty_typeEEEZNS1_34radix_sort_onesweep_global_offsetsIS3_Lb0EN6thrust23THRUST_200600_302600_NS6detail15normal_iteratorINS9_10device_ptrIxEEEEPS5_jNS0_19identity_decomposerEEE10hipError_tT1_T2_PT3_SK_jT4_jjP12ihipStream_tbEUlT_E_NS1_11comp_targetILNS1_3genE9ELNS1_11target_archE1100ELNS1_3gpuE3ELNS1_3repE0EEENS1_52radix_sort_onesweep_histogram_config_static_selectorELNS0_4arch9wavefront6targetE1EEEvSI_ ; -- Begin function _ZN7rocprim17ROCPRIM_400000_NS6detail17trampoline_kernelINS0_14default_configENS1_35radix_sort_onesweep_config_selectorIxNS0_10empty_typeEEEZNS1_34radix_sort_onesweep_global_offsetsIS3_Lb0EN6thrust23THRUST_200600_302600_NS6detail15normal_iteratorINS9_10device_ptrIxEEEEPS5_jNS0_19identity_decomposerEEE10hipError_tT1_T2_PT3_SK_jT4_jjP12ihipStream_tbEUlT_E_NS1_11comp_targetILNS1_3genE9ELNS1_11target_archE1100ELNS1_3gpuE3ELNS1_3repE0EEENS1_52radix_sort_onesweep_histogram_config_static_selectorELNS0_4arch9wavefront6targetE1EEEvSI_
	.globl	_ZN7rocprim17ROCPRIM_400000_NS6detail17trampoline_kernelINS0_14default_configENS1_35radix_sort_onesweep_config_selectorIxNS0_10empty_typeEEEZNS1_34radix_sort_onesweep_global_offsetsIS3_Lb0EN6thrust23THRUST_200600_302600_NS6detail15normal_iteratorINS9_10device_ptrIxEEEEPS5_jNS0_19identity_decomposerEEE10hipError_tT1_T2_PT3_SK_jT4_jjP12ihipStream_tbEUlT_E_NS1_11comp_targetILNS1_3genE9ELNS1_11target_archE1100ELNS1_3gpuE3ELNS1_3repE0EEENS1_52radix_sort_onesweep_histogram_config_static_selectorELNS0_4arch9wavefront6targetE1EEEvSI_
	.p2align	8
	.type	_ZN7rocprim17ROCPRIM_400000_NS6detail17trampoline_kernelINS0_14default_configENS1_35radix_sort_onesweep_config_selectorIxNS0_10empty_typeEEEZNS1_34radix_sort_onesweep_global_offsetsIS3_Lb0EN6thrust23THRUST_200600_302600_NS6detail15normal_iteratorINS9_10device_ptrIxEEEEPS5_jNS0_19identity_decomposerEEE10hipError_tT1_T2_PT3_SK_jT4_jjP12ihipStream_tbEUlT_E_NS1_11comp_targetILNS1_3genE9ELNS1_11target_archE1100ELNS1_3gpuE3ELNS1_3repE0EEENS1_52radix_sort_onesweep_histogram_config_static_selectorELNS0_4arch9wavefront6targetE1EEEvSI_,@function
_ZN7rocprim17ROCPRIM_400000_NS6detail17trampoline_kernelINS0_14default_configENS1_35radix_sort_onesweep_config_selectorIxNS0_10empty_typeEEEZNS1_34radix_sort_onesweep_global_offsetsIS3_Lb0EN6thrust23THRUST_200600_302600_NS6detail15normal_iteratorINS9_10device_ptrIxEEEEPS5_jNS0_19identity_decomposerEEE10hipError_tT1_T2_PT3_SK_jT4_jjP12ihipStream_tbEUlT_E_NS1_11comp_targetILNS1_3genE9ELNS1_11target_archE1100ELNS1_3gpuE3ELNS1_3repE0EEENS1_52radix_sort_onesweep_histogram_config_static_selectorELNS0_4arch9wavefront6targetE1EEEvSI_: ; @_ZN7rocprim17ROCPRIM_400000_NS6detail17trampoline_kernelINS0_14default_configENS1_35radix_sort_onesweep_config_selectorIxNS0_10empty_typeEEEZNS1_34radix_sort_onesweep_global_offsetsIS3_Lb0EN6thrust23THRUST_200600_302600_NS6detail15normal_iteratorINS9_10device_ptrIxEEEEPS5_jNS0_19identity_decomposerEEE10hipError_tT1_T2_PT3_SK_jT4_jjP12ihipStream_tbEUlT_E_NS1_11comp_targetILNS1_3genE9ELNS1_11target_archE1100ELNS1_3gpuE3ELNS1_3repE0EEENS1_52radix_sort_onesweep_histogram_config_static_selectorELNS0_4arch9wavefront6targetE1EEEvSI_
; %bb.0:
	.section	.rodata,"a",@progbits
	.p2align	6, 0x0
	.amdhsa_kernel _ZN7rocprim17ROCPRIM_400000_NS6detail17trampoline_kernelINS0_14default_configENS1_35radix_sort_onesweep_config_selectorIxNS0_10empty_typeEEEZNS1_34radix_sort_onesweep_global_offsetsIS3_Lb0EN6thrust23THRUST_200600_302600_NS6detail15normal_iteratorINS9_10device_ptrIxEEEEPS5_jNS0_19identity_decomposerEEE10hipError_tT1_T2_PT3_SK_jT4_jjP12ihipStream_tbEUlT_E_NS1_11comp_targetILNS1_3genE9ELNS1_11target_archE1100ELNS1_3gpuE3ELNS1_3repE0EEENS1_52radix_sort_onesweep_histogram_config_static_selectorELNS0_4arch9wavefront6targetE1EEEvSI_
		.amdhsa_group_segment_fixed_size 0
		.amdhsa_private_segment_fixed_size 0
		.amdhsa_kernarg_size 40
		.amdhsa_user_sgpr_count 2
		.amdhsa_user_sgpr_dispatch_ptr 0
		.amdhsa_user_sgpr_queue_ptr 0
		.amdhsa_user_sgpr_kernarg_segment_ptr 1
		.amdhsa_user_sgpr_dispatch_id 0
		.amdhsa_user_sgpr_kernarg_preload_length 0
		.amdhsa_user_sgpr_kernarg_preload_offset 0
		.amdhsa_user_sgpr_private_segment_size 0
		.amdhsa_uses_dynamic_stack 0
		.amdhsa_enable_private_segment 0
		.amdhsa_system_sgpr_workgroup_id_x 1
		.amdhsa_system_sgpr_workgroup_id_y 0
		.amdhsa_system_sgpr_workgroup_id_z 0
		.amdhsa_system_sgpr_workgroup_info 0
		.amdhsa_system_vgpr_workitem_id 0
		.amdhsa_next_free_vgpr 1
		.amdhsa_next_free_sgpr 0
		.amdhsa_accum_offset 4
		.amdhsa_reserve_vcc 0
		.amdhsa_float_round_mode_32 0
		.amdhsa_float_round_mode_16_64 0
		.amdhsa_float_denorm_mode_32 3
		.amdhsa_float_denorm_mode_16_64 3
		.amdhsa_dx10_clamp 1
		.amdhsa_ieee_mode 1
		.amdhsa_fp16_overflow 0
		.amdhsa_tg_split 0
		.amdhsa_exception_fp_ieee_invalid_op 0
		.amdhsa_exception_fp_denorm_src 0
		.amdhsa_exception_fp_ieee_div_zero 0
		.amdhsa_exception_fp_ieee_overflow 0
		.amdhsa_exception_fp_ieee_underflow 0
		.amdhsa_exception_fp_ieee_inexact 0
		.amdhsa_exception_int_div_zero 0
	.end_amdhsa_kernel
	.section	.text._ZN7rocprim17ROCPRIM_400000_NS6detail17trampoline_kernelINS0_14default_configENS1_35radix_sort_onesweep_config_selectorIxNS0_10empty_typeEEEZNS1_34radix_sort_onesweep_global_offsetsIS3_Lb0EN6thrust23THRUST_200600_302600_NS6detail15normal_iteratorINS9_10device_ptrIxEEEEPS5_jNS0_19identity_decomposerEEE10hipError_tT1_T2_PT3_SK_jT4_jjP12ihipStream_tbEUlT_E_NS1_11comp_targetILNS1_3genE9ELNS1_11target_archE1100ELNS1_3gpuE3ELNS1_3repE0EEENS1_52radix_sort_onesweep_histogram_config_static_selectorELNS0_4arch9wavefront6targetE1EEEvSI_,"axG",@progbits,_ZN7rocprim17ROCPRIM_400000_NS6detail17trampoline_kernelINS0_14default_configENS1_35radix_sort_onesweep_config_selectorIxNS0_10empty_typeEEEZNS1_34radix_sort_onesweep_global_offsetsIS3_Lb0EN6thrust23THRUST_200600_302600_NS6detail15normal_iteratorINS9_10device_ptrIxEEEEPS5_jNS0_19identity_decomposerEEE10hipError_tT1_T2_PT3_SK_jT4_jjP12ihipStream_tbEUlT_E_NS1_11comp_targetILNS1_3genE9ELNS1_11target_archE1100ELNS1_3gpuE3ELNS1_3repE0EEENS1_52radix_sort_onesweep_histogram_config_static_selectorELNS0_4arch9wavefront6targetE1EEEvSI_,comdat
.Lfunc_end1522:
	.size	_ZN7rocprim17ROCPRIM_400000_NS6detail17trampoline_kernelINS0_14default_configENS1_35radix_sort_onesweep_config_selectorIxNS0_10empty_typeEEEZNS1_34radix_sort_onesweep_global_offsetsIS3_Lb0EN6thrust23THRUST_200600_302600_NS6detail15normal_iteratorINS9_10device_ptrIxEEEEPS5_jNS0_19identity_decomposerEEE10hipError_tT1_T2_PT3_SK_jT4_jjP12ihipStream_tbEUlT_E_NS1_11comp_targetILNS1_3genE9ELNS1_11target_archE1100ELNS1_3gpuE3ELNS1_3repE0EEENS1_52radix_sort_onesweep_histogram_config_static_selectorELNS0_4arch9wavefront6targetE1EEEvSI_, .Lfunc_end1522-_ZN7rocprim17ROCPRIM_400000_NS6detail17trampoline_kernelINS0_14default_configENS1_35radix_sort_onesweep_config_selectorIxNS0_10empty_typeEEEZNS1_34radix_sort_onesweep_global_offsetsIS3_Lb0EN6thrust23THRUST_200600_302600_NS6detail15normal_iteratorINS9_10device_ptrIxEEEEPS5_jNS0_19identity_decomposerEEE10hipError_tT1_T2_PT3_SK_jT4_jjP12ihipStream_tbEUlT_E_NS1_11comp_targetILNS1_3genE9ELNS1_11target_archE1100ELNS1_3gpuE3ELNS1_3repE0EEENS1_52radix_sort_onesweep_histogram_config_static_selectorELNS0_4arch9wavefront6targetE1EEEvSI_
                                        ; -- End function
	.section	.AMDGPU.csdata,"",@progbits
; Kernel info:
; codeLenInByte = 0
; NumSgprs: 6
; NumVgprs: 0
; NumAgprs: 0
; TotalNumVgprs: 0
; ScratchSize: 0
; MemoryBound: 0
; FloatMode: 240
; IeeeMode: 1
; LDSByteSize: 0 bytes/workgroup (compile time only)
; SGPRBlocks: 0
; VGPRBlocks: 0
; NumSGPRsForWavesPerEU: 6
; NumVGPRsForWavesPerEU: 1
; AccumOffset: 4
; Occupancy: 8
; WaveLimiterHint : 0
; COMPUTE_PGM_RSRC2:SCRATCH_EN: 0
; COMPUTE_PGM_RSRC2:USER_SGPR: 2
; COMPUTE_PGM_RSRC2:TRAP_HANDLER: 0
; COMPUTE_PGM_RSRC2:TGID_X_EN: 1
; COMPUTE_PGM_RSRC2:TGID_Y_EN: 0
; COMPUTE_PGM_RSRC2:TGID_Z_EN: 0
; COMPUTE_PGM_RSRC2:TIDIG_COMP_CNT: 0
; COMPUTE_PGM_RSRC3_GFX90A:ACCUM_OFFSET: 0
; COMPUTE_PGM_RSRC3_GFX90A:TG_SPLIT: 0
	.section	.text._ZN7rocprim17ROCPRIM_400000_NS6detail17trampoline_kernelINS0_14default_configENS1_35radix_sort_onesweep_config_selectorIxNS0_10empty_typeEEEZNS1_34radix_sort_onesweep_global_offsetsIS3_Lb0EN6thrust23THRUST_200600_302600_NS6detail15normal_iteratorINS9_10device_ptrIxEEEEPS5_jNS0_19identity_decomposerEEE10hipError_tT1_T2_PT3_SK_jT4_jjP12ihipStream_tbEUlT_E_NS1_11comp_targetILNS1_3genE8ELNS1_11target_archE1030ELNS1_3gpuE2ELNS1_3repE0EEENS1_52radix_sort_onesweep_histogram_config_static_selectorELNS0_4arch9wavefront6targetE1EEEvSI_,"axG",@progbits,_ZN7rocprim17ROCPRIM_400000_NS6detail17trampoline_kernelINS0_14default_configENS1_35radix_sort_onesweep_config_selectorIxNS0_10empty_typeEEEZNS1_34radix_sort_onesweep_global_offsetsIS3_Lb0EN6thrust23THRUST_200600_302600_NS6detail15normal_iteratorINS9_10device_ptrIxEEEEPS5_jNS0_19identity_decomposerEEE10hipError_tT1_T2_PT3_SK_jT4_jjP12ihipStream_tbEUlT_E_NS1_11comp_targetILNS1_3genE8ELNS1_11target_archE1030ELNS1_3gpuE2ELNS1_3repE0EEENS1_52radix_sort_onesweep_histogram_config_static_selectorELNS0_4arch9wavefront6targetE1EEEvSI_,comdat
	.protected	_ZN7rocprim17ROCPRIM_400000_NS6detail17trampoline_kernelINS0_14default_configENS1_35radix_sort_onesweep_config_selectorIxNS0_10empty_typeEEEZNS1_34radix_sort_onesweep_global_offsetsIS3_Lb0EN6thrust23THRUST_200600_302600_NS6detail15normal_iteratorINS9_10device_ptrIxEEEEPS5_jNS0_19identity_decomposerEEE10hipError_tT1_T2_PT3_SK_jT4_jjP12ihipStream_tbEUlT_E_NS1_11comp_targetILNS1_3genE8ELNS1_11target_archE1030ELNS1_3gpuE2ELNS1_3repE0EEENS1_52radix_sort_onesweep_histogram_config_static_selectorELNS0_4arch9wavefront6targetE1EEEvSI_ ; -- Begin function _ZN7rocprim17ROCPRIM_400000_NS6detail17trampoline_kernelINS0_14default_configENS1_35radix_sort_onesweep_config_selectorIxNS0_10empty_typeEEEZNS1_34radix_sort_onesweep_global_offsetsIS3_Lb0EN6thrust23THRUST_200600_302600_NS6detail15normal_iteratorINS9_10device_ptrIxEEEEPS5_jNS0_19identity_decomposerEEE10hipError_tT1_T2_PT3_SK_jT4_jjP12ihipStream_tbEUlT_E_NS1_11comp_targetILNS1_3genE8ELNS1_11target_archE1030ELNS1_3gpuE2ELNS1_3repE0EEENS1_52radix_sort_onesweep_histogram_config_static_selectorELNS0_4arch9wavefront6targetE1EEEvSI_
	.globl	_ZN7rocprim17ROCPRIM_400000_NS6detail17trampoline_kernelINS0_14default_configENS1_35radix_sort_onesweep_config_selectorIxNS0_10empty_typeEEEZNS1_34radix_sort_onesweep_global_offsetsIS3_Lb0EN6thrust23THRUST_200600_302600_NS6detail15normal_iteratorINS9_10device_ptrIxEEEEPS5_jNS0_19identity_decomposerEEE10hipError_tT1_T2_PT3_SK_jT4_jjP12ihipStream_tbEUlT_E_NS1_11comp_targetILNS1_3genE8ELNS1_11target_archE1030ELNS1_3gpuE2ELNS1_3repE0EEENS1_52radix_sort_onesweep_histogram_config_static_selectorELNS0_4arch9wavefront6targetE1EEEvSI_
	.p2align	8
	.type	_ZN7rocprim17ROCPRIM_400000_NS6detail17trampoline_kernelINS0_14default_configENS1_35radix_sort_onesweep_config_selectorIxNS0_10empty_typeEEEZNS1_34radix_sort_onesweep_global_offsetsIS3_Lb0EN6thrust23THRUST_200600_302600_NS6detail15normal_iteratorINS9_10device_ptrIxEEEEPS5_jNS0_19identity_decomposerEEE10hipError_tT1_T2_PT3_SK_jT4_jjP12ihipStream_tbEUlT_E_NS1_11comp_targetILNS1_3genE8ELNS1_11target_archE1030ELNS1_3gpuE2ELNS1_3repE0EEENS1_52radix_sort_onesweep_histogram_config_static_selectorELNS0_4arch9wavefront6targetE1EEEvSI_,@function
_ZN7rocprim17ROCPRIM_400000_NS6detail17trampoline_kernelINS0_14default_configENS1_35radix_sort_onesweep_config_selectorIxNS0_10empty_typeEEEZNS1_34radix_sort_onesweep_global_offsetsIS3_Lb0EN6thrust23THRUST_200600_302600_NS6detail15normal_iteratorINS9_10device_ptrIxEEEEPS5_jNS0_19identity_decomposerEEE10hipError_tT1_T2_PT3_SK_jT4_jjP12ihipStream_tbEUlT_E_NS1_11comp_targetILNS1_3genE8ELNS1_11target_archE1030ELNS1_3gpuE2ELNS1_3repE0EEENS1_52radix_sort_onesweep_histogram_config_static_selectorELNS0_4arch9wavefront6targetE1EEEvSI_: ; @_ZN7rocprim17ROCPRIM_400000_NS6detail17trampoline_kernelINS0_14default_configENS1_35radix_sort_onesweep_config_selectorIxNS0_10empty_typeEEEZNS1_34radix_sort_onesweep_global_offsetsIS3_Lb0EN6thrust23THRUST_200600_302600_NS6detail15normal_iteratorINS9_10device_ptrIxEEEEPS5_jNS0_19identity_decomposerEEE10hipError_tT1_T2_PT3_SK_jT4_jjP12ihipStream_tbEUlT_E_NS1_11comp_targetILNS1_3genE8ELNS1_11target_archE1030ELNS1_3gpuE2ELNS1_3repE0EEENS1_52radix_sort_onesweep_histogram_config_static_selectorELNS0_4arch9wavefront6targetE1EEEvSI_
; %bb.0:
	.section	.rodata,"a",@progbits
	.p2align	6, 0x0
	.amdhsa_kernel _ZN7rocprim17ROCPRIM_400000_NS6detail17trampoline_kernelINS0_14default_configENS1_35radix_sort_onesweep_config_selectorIxNS0_10empty_typeEEEZNS1_34radix_sort_onesweep_global_offsetsIS3_Lb0EN6thrust23THRUST_200600_302600_NS6detail15normal_iteratorINS9_10device_ptrIxEEEEPS5_jNS0_19identity_decomposerEEE10hipError_tT1_T2_PT3_SK_jT4_jjP12ihipStream_tbEUlT_E_NS1_11comp_targetILNS1_3genE8ELNS1_11target_archE1030ELNS1_3gpuE2ELNS1_3repE0EEENS1_52radix_sort_onesweep_histogram_config_static_selectorELNS0_4arch9wavefront6targetE1EEEvSI_
		.amdhsa_group_segment_fixed_size 0
		.amdhsa_private_segment_fixed_size 0
		.amdhsa_kernarg_size 40
		.amdhsa_user_sgpr_count 2
		.amdhsa_user_sgpr_dispatch_ptr 0
		.amdhsa_user_sgpr_queue_ptr 0
		.amdhsa_user_sgpr_kernarg_segment_ptr 1
		.amdhsa_user_sgpr_dispatch_id 0
		.amdhsa_user_sgpr_kernarg_preload_length 0
		.amdhsa_user_sgpr_kernarg_preload_offset 0
		.amdhsa_user_sgpr_private_segment_size 0
		.amdhsa_uses_dynamic_stack 0
		.amdhsa_enable_private_segment 0
		.amdhsa_system_sgpr_workgroup_id_x 1
		.amdhsa_system_sgpr_workgroup_id_y 0
		.amdhsa_system_sgpr_workgroup_id_z 0
		.amdhsa_system_sgpr_workgroup_info 0
		.amdhsa_system_vgpr_workitem_id 0
		.amdhsa_next_free_vgpr 1
		.amdhsa_next_free_sgpr 0
		.amdhsa_accum_offset 4
		.amdhsa_reserve_vcc 0
		.amdhsa_float_round_mode_32 0
		.amdhsa_float_round_mode_16_64 0
		.amdhsa_float_denorm_mode_32 3
		.amdhsa_float_denorm_mode_16_64 3
		.amdhsa_dx10_clamp 1
		.amdhsa_ieee_mode 1
		.amdhsa_fp16_overflow 0
		.amdhsa_tg_split 0
		.amdhsa_exception_fp_ieee_invalid_op 0
		.amdhsa_exception_fp_denorm_src 0
		.amdhsa_exception_fp_ieee_div_zero 0
		.amdhsa_exception_fp_ieee_overflow 0
		.amdhsa_exception_fp_ieee_underflow 0
		.amdhsa_exception_fp_ieee_inexact 0
		.amdhsa_exception_int_div_zero 0
	.end_amdhsa_kernel
	.section	.text._ZN7rocprim17ROCPRIM_400000_NS6detail17trampoline_kernelINS0_14default_configENS1_35radix_sort_onesweep_config_selectorIxNS0_10empty_typeEEEZNS1_34radix_sort_onesweep_global_offsetsIS3_Lb0EN6thrust23THRUST_200600_302600_NS6detail15normal_iteratorINS9_10device_ptrIxEEEEPS5_jNS0_19identity_decomposerEEE10hipError_tT1_T2_PT3_SK_jT4_jjP12ihipStream_tbEUlT_E_NS1_11comp_targetILNS1_3genE8ELNS1_11target_archE1030ELNS1_3gpuE2ELNS1_3repE0EEENS1_52radix_sort_onesweep_histogram_config_static_selectorELNS0_4arch9wavefront6targetE1EEEvSI_,"axG",@progbits,_ZN7rocprim17ROCPRIM_400000_NS6detail17trampoline_kernelINS0_14default_configENS1_35radix_sort_onesweep_config_selectorIxNS0_10empty_typeEEEZNS1_34radix_sort_onesweep_global_offsetsIS3_Lb0EN6thrust23THRUST_200600_302600_NS6detail15normal_iteratorINS9_10device_ptrIxEEEEPS5_jNS0_19identity_decomposerEEE10hipError_tT1_T2_PT3_SK_jT4_jjP12ihipStream_tbEUlT_E_NS1_11comp_targetILNS1_3genE8ELNS1_11target_archE1030ELNS1_3gpuE2ELNS1_3repE0EEENS1_52radix_sort_onesweep_histogram_config_static_selectorELNS0_4arch9wavefront6targetE1EEEvSI_,comdat
.Lfunc_end1523:
	.size	_ZN7rocprim17ROCPRIM_400000_NS6detail17trampoline_kernelINS0_14default_configENS1_35radix_sort_onesweep_config_selectorIxNS0_10empty_typeEEEZNS1_34radix_sort_onesweep_global_offsetsIS3_Lb0EN6thrust23THRUST_200600_302600_NS6detail15normal_iteratorINS9_10device_ptrIxEEEEPS5_jNS0_19identity_decomposerEEE10hipError_tT1_T2_PT3_SK_jT4_jjP12ihipStream_tbEUlT_E_NS1_11comp_targetILNS1_3genE8ELNS1_11target_archE1030ELNS1_3gpuE2ELNS1_3repE0EEENS1_52radix_sort_onesweep_histogram_config_static_selectorELNS0_4arch9wavefront6targetE1EEEvSI_, .Lfunc_end1523-_ZN7rocprim17ROCPRIM_400000_NS6detail17trampoline_kernelINS0_14default_configENS1_35radix_sort_onesweep_config_selectorIxNS0_10empty_typeEEEZNS1_34radix_sort_onesweep_global_offsetsIS3_Lb0EN6thrust23THRUST_200600_302600_NS6detail15normal_iteratorINS9_10device_ptrIxEEEEPS5_jNS0_19identity_decomposerEEE10hipError_tT1_T2_PT3_SK_jT4_jjP12ihipStream_tbEUlT_E_NS1_11comp_targetILNS1_3genE8ELNS1_11target_archE1030ELNS1_3gpuE2ELNS1_3repE0EEENS1_52radix_sort_onesweep_histogram_config_static_selectorELNS0_4arch9wavefront6targetE1EEEvSI_
                                        ; -- End function
	.section	.AMDGPU.csdata,"",@progbits
; Kernel info:
; codeLenInByte = 0
; NumSgprs: 6
; NumVgprs: 0
; NumAgprs: 0
; TotalNumVgprs: 0
; ScratchSize: 0
; MemoryBound: 0
; FloatMode: 240
; IeeeMode: 1
; LDSByteSize: 0 bytes/workgroup (compile time only)
; SGPRBlocks: 0
; VGPRBlocks: 0
; NumSGPRsForWavesPerEU: 6
; NumVGPRsForWavesPerEU: 1
; AccumOffset: 4
; Occupancy: 8
; WaveLimiterHint : 0
; COMPUTE_PGM_RSRC2:SCRATCH_EN: 0
; COMPUTE_PGM_RSRC2:USER_SGPR: 2
; COMPUTE_PGM_RSRC2:TRAP_HANDLER: 0
; COMPUTE_PGM_RSRC2:TGID_X_EN: 1
; COMPUTE_PGM_RSRC2:TGID_Y_EN: 0
; COMPUTE_PGM_RSRC2:TGID_Z_EN: 0
; COMPUTE_PGM_RSRC2:TIDIG_COMP_CNT: 0
; COMPUTE_PGM_RSRC3_GFX90A:ACCUM_OFFSET: 0
; COMPUTE_PGM_RSRC3_GFX90A:TG_SPLIT: 0
	.section	.text._ZN7rocprim17ROCPRIM_400000_NS6detail17trampoline_kernelINS0_14default_configENS1_35radix_sort_onesweep_config_selectorIxNS0_10empty_typeEEEZNS1_34radix_sort_onesweep_global_offsetsIS3_Lb0EN6thrust23THRUST_200600_302600_NS6detail15normal_iteratorINS9_10device_ptrIxEEEEPS5_jNS0_19identity_decomposerEEE10hipError_tT1_T2_PT3_SK_jT4_jjP12ihipStream_tbEUlT_E0_NS1_11comp_targetILNS1_3genE0ELNS1_11target_archE4294967295ELNS1_3gpuE0ELNS1_3repE0EEENS1_52radix_sort_onesweep_histogram_config_static_selectorELNS0_4arch9wavefront6targetE1EEEvSI_,"axG",@progbits,_ZN7rocprim17ROCPRIM_400000_NS6detail17trampoline_kernelINS0_14default_configENS1_35radix_sort_onesweep_config_selectorIxNS0_10empty_typeEEEZNS1_34radix_sort_onesweep_global_offsetsIS3_Lb0EN6thrust23THRUST_200600_302600_NS6detail15normal_iteratorINS9_10device_ptrIxEEEEPS5_jNS0_19identity_decomposerEEE10hipError_tT1_T2_PT3_SK_jT4_jjP12ihipStream_tbEUlT_E0_NS1_11comp_targetILNS1_3genE0ELNS1_11target_archE4294967295ELNS1_3gpuE0ELNS1_3repE0EEENS1_52radix_sort_onesweep_histogram_config_static_selectorELNS0_4arch9wavefront6targetE1EEEvSI_,comdat
	.protected	_ZN7rocprim17ROCPRIM_400000_NS6detail17trampoline_kernelINS0_14default_configENS1_35radix_sort_onesweep_config_selectorIxNS0_10empty_typeEEEZNS1_34radix_sort_onesweep_global_offsetsIS3_Lb0EN6thrust23THRUST_200600_302600_NS6detail15normal_iteratorINS9_10device_ptrIxEEEEPS5_jNS0_19identity_decomposerEEE10hipError_tT1_T2_PT3_SK_jT4_jjP12ihipStream_tbEUlT_E0_NS1_11comp_targetILNS1_3genE0ELNS1_11target_archE4294967295ELNS1_3gpuE0ELNS1_3repE0EEENS1_52radix_sort_onesweep_histogram_config_static_selectorELNS0_4arch9wavefront6targetE1EEEvSI_ ; -- Begin function _ZN7rocprim17ROCPRIM_400000_NS6detail17trampoline_kernelINS0_14default_configENS1_35radix_sort_onesweep_config_selectorIxNS0_10empty_typeEEEZNS1_34radix_sort_onesweep_global_offsetsIS3_Lb0EN6thrust23THRUST_200600_302600_NS6detail15normal_iteratorINS9_10device_ptrIxEEEEPS5_jNS0_19identity_decomposerEEE10hipError_tT1_T2_PT3_SK_jT4_jjP12ihipStream_tbEUlT_E0_NS1_11comp_targetILNS1_3genE0ELNS1_11target_archE4294967295ELNS1_3gpuE0ELNS1_3repE0EEENS1_52radix_sort_onesweep_histogram_config_static_selectorELNS0_4arch9wavefront6targetE1EEEvSI_
	.globl	_ZN7rocprim17ROCPRIM_400000_NS6detail17trampoline_kernelINS0_14default_configENS1_35radix_sort_onesweep_config_selectorIxNS0_10empty_typeEEEZNS1_34radix_sort_onesweep_global_offsetsIS3_Lb0EN6thrust23THRUST_200600_302600_NS6detail15normal_iteratorINS9_10device_ptrIxEEEEPS5_jNS0_19identity_decomposerEEE10hipError_tT1_T2_PT3_SK_jT4_jjP12ihipStream_tbEUlT_E0_NS1_11comp_targetILNS1_3genE0ELNS1_11target_archE4294967295ELNS1_3gpuE0ELNS1_3repE0EEENS1_52radix_sort_onesweep_histogram_config_static_selectorELNS0_4arch9wavefront6targetE1EEEvSI_
	.p2align	8
	.type	_ZN7rocprim17ROCPRIM_400000_NS6detail17trampoline_kernelINS0_14default_configENS1_35radix_sort_onesweep_config_selectorIxNS0_10empty_typeEEEZNS1_34radix_sort_onesweep_global_offsetsIS3_Lb0EN6thrust23THRUST_200600_302600_NS6detail15normal_iteratorINS9_10device_ptrIxEEEEPS5_jNS0_19identity_decomposerEEE10hipError_tT1_T2_PT3_SK_jT4_jjP12ihipStream_tbEUlT_E0_NS1_11comp_targetILNS1_3genE0ELNS1_11target_archE4294967295ELNS1_3gpuE0ELNS1_3repE0EEENS1_52radix_sort_onesweep_histogram_config_static_selectorELNS0_4arch9wavefront6targetE1EEEvSI_,@function
_ZN7rocprim17ROCPRIM_400000_NS6detail17trampoline_kernelINS0_14default_configENS1_35radix_sort_onesweep_config_selectorIxNS0_10empty_typeEEEZNS1_34radix_sort_onesweep_global_offsetsIS3_Lb0EN6thrust23THRUST_200600_302600_NS6detail15normal_iteratorINS9_10device_ptrIxEEEEPS5_jNS0_19identity_decomposerEEE10hipError_tT1_T2_PT3_SK_jT4_jjP12ihipStream_tbEUlT_E0_NS1_11comp_targetILNS1_3genE0ELNS1_11target_archE4294967295ELNS1_3gpuE0ELNS1_3repE0EEENS1_52radix_sort_onesweep_histogram_config_static_selectorELNS0_4arch9wavefront6targetE1EEEvSI_: ; @_ZN7rocprim17ROCPRIM_400000_NS6detail17trampoline_kernelINS0_14default_configENS1_35radix_sort_onesweep_config_selectorIxNS0_10empty_typeEEEZNS1_34radix_sort_onesweep_global_offsetsIS3_Lb0EN6thrust23THRUST_200600_302600_NS6detail15normal_iteratorINS9_10device_ptrIxEEEEPS5_jNS0_19identity_decomposerEEE10hipError_tT1_T2_PT3_SK_jT4_jjP12ihipStream_tbEUlT_E0_NS1_11comp_targetILNS1_3genE0ELNS1_11target_archE4294967295ELNS1_3gpuE0ELNS1_3repE0EEENS1_52radix_sort_onesweep_histogram_config_static_selectorELNS0_4arch9wavefront6targetE1EEEvSI_
; %bb.0:
	.section	.rodata,"a",@progbits
	.p2align	6, 0x0
	.amdhsa_kernel _ZN7rocprim17ROCPRIM_400000_NS6detail17trampoline_kernelINS0_14default_configENS1_35radix_sort_onesweep_config_selectorIxNS0_10empty_typeEEEZNS1_34radix_sort_onesweep_global_offsetsIS3_Lb0EN6thrust23THRUST_200600_302600_NS6detail15normal_iteratorINS9_10device_ptrIxEEEEPS5_jNS0_19identity_decomposerEEE10hipError_tT1_T2_PT3_SK_jT4_jjP12ihipStream_tbEUlT_E0_NS1_11comp_targetILNS1_3genE0ELNS1_11target_archE4294967295ELNS1_3gpuE0ELNS1_3repE0EEENS1_52radix_sort_onesweep_histogram_config_static_selectorELNS0_4arch9wavefront6targetE1EEEvSI_
		.amdhsa_group_segment_fixed_size 0
		.amdhsa_private_segment_fixed_size 0
		.amdhsa_kernarg_size 8
		.amdhsa_user_sgpr_count 2
		.amdhsa_user_sgpr_dispatch_ptr 0
		.amdhsa_user_sgpr_queue_ptr 0
		.amdhsa_user_sgpr_kernarg_segment_ptr 1
		.amdhsa_user_sgpr_dispatch_id 0
		.amdhsa_user_sgpr_kernarg_preload_length 0
		.amdhsa_user_sgpr_kernarg_preload_offset 0
		.amdhsa_user_sgpr_private_segment_size 0
		.amdhsa_uses_dynamic_stack 0
		.amdhsa_enable_private_segment 0
		.amdhsa_system_sgpr_workgroup_id_x 1
		.amdhsa_system_sgpr_workgroup_id_y 0
		.amdhsa_system_sgpr_workgroup_id_z 0
		.amdhsa_system_sgpr_workgroup_info 0
		.amdhsa_system_vgpr_workitem_id 0
		.amdhsa_next_free_vgpr 1
		.amdhsa_next_free_sgpr 0
		.amdhsa_accum_offset 4
		.amdhsa_reserve_vcc 0
		.amdhsa_float_round_mode_32 0
		.amdhsa_float_round_mode_16_64 0
		.amdhsa_float_denorm_mode_32 3
		.amdhsa_float_denorm_mode_16_64 3
		.amdhsa_dx10_clamp 1
		.amdhsa_ieee_mode 1
		.amdhsa_fp16_overflow 0
		.amdhsa_tg_split 0
		.amdhsa_exception_fp_ieee_invalid_op 0
		.amdhsa_exception_fp_denorm_src 0
		.amdhsa_exception_fp_ieee_div_zero 0
		.amdhsa_exception_fp_ieee_overflow 0
		.amdhsa_exception_fp_ieee_underflow 0
		.amdhsa_exception_fp_ieee_inexact 0
		.amdhsa_exception_int_div_zero 0
	.end_amdhsa_kernel
	.section	.text._ZN7rocprim17ROCPRIM_400000_NS6detail17trampoline_kernelINS0_14default_configENS1_35radix_sort_onesweep_config_selectorIxNS0_10empty_typeEEEZNS1_34radix_sort_onesweep_global_offsetsIS3_Lb0EN6thrust23THRUST_200600_302600_NS6detail15normal_iteratorINS9_10device_ptrIxEEEEPS5_jNS0_19identity_decomposerEEE10hipError_tT1_T2_PT3_SK_jT4_jjP12ihipStream_tbEUlT_E0_NS1_11comp_targetILNS1_3genE0ELNS1_11target_archE4294967295ELNS1_3gpuE0ELNS1_3repE0EEENS1_52radix_sort_onesweep_histogram_config_static_selectorELNS0_4arch9wavefront6targetE1EEEvSI_,"axG",@progbits,_ZN7rocprim17ROCPRIM_400000_NS6detail17trampoline_kernelINS0_14default_configENS1_35radix_sort_onesweep_config_selectorIxNS0_10empty_typeEEEZNS1_34radix_sort_onesweep_global_offsetsIS3_Lb0EN6thrust23THRUST_200600_302600_NS6detail15normal_iteratorINS9_10device_ptrIxEEEEPS5_jNS0_19identity_decomposerEEE10hipError_tT1_T2_PT3_SK_jT4_jjP12ihipStream_tbEUlT_E0_NS1_11comp_targetILNS1_3genE0ELNS1_11target_archE4294967295ELNS1_3gpuE0ELNS1_3repE0EEENS1_52radix_sort_onesweep_histogram_config_static_selectorELNS0_4arch9wavefront6targetE1EEEvSI_,comdat
.Lfunc_end1524:
	.size	_ZN7rocprim17ROCPRIM_400000_NS6detail17trampoline_kernelINS0_14default_configENS1_35radix_sort_onesweep_config_selectorIxNS0_10empty_typeEEEZNS1_34radix_sort_onesweep_global_offsetsIS3_Lb0EN6thrust23THRUST_200600_302600_NS6detail15normal_iteratorINS9_10device_ptrIxEEEEPS5_jNS0_19identity_decomposerEEE10hipError_tT1_T2_PT3_SK_jT4_jjP12ihipStream_tbEUlT_E0_NS1_11comp_targetILNS1_3genE0ELNS1_11target_archE4294967295ELNS1_3gpuE0ELNS1_3repE0EEENS1_52radix_sort_onesweep_histogram_config_static_selectorELNS0_4arch9wavefront6targetE1EEEvSI_, .Lfunc_end1524-_ZN7rocprim17ROCPRIM_400000_NS6detail17trampoline_kernelINS0_14default_configENS1_35radix_sort_onesweep_config_selectorIxNS0_10empty_typeEEEZNS1_34radix_sort_onesweep_global_offsetsIS3_Lb0EN6thrust23THRUST_200600_302600_NS6detail15normal_iteratorINS9_10device_ptrIxEEEEPS5_jNS0_19identity_decomposerEEE10hipError_tT1_T2_PT3_SK_jT4_jjP12ihipStream_tbEUlT_E0_NS1_11comp_targetILNS1_3genE0ELNS1_11target_archE4294967295ELNS1_3gpuE0ELNS1_3repE0EEENS1_52radix_sort_onesweep_histogram_config_static_selectorELNS0_4arch9wavefront6targetE1EEEvSI_
                                        ; -- End function
	.section	.AMDGPU.csdata,"",@progbits
; Kernel info:
; codeLenInByte = 0
; NumSgprs: 6
; NumVgprs: 0
; NumAgprs: 0
; TotalNumVgprs: 0
; ScratchSize: 0
; MemoryBound: 0
; FloatMode: 240
; IeeeMode: 1
; LDSByteSize: 0 bytes/workgroup (compile time only)
; SGPRBlocks: 0
; VGPRBlocks: 0
; NumSGPRsForWavesPerEU: 6
; NumVGPRsForWavesPerEU: 1
; AccumOffset: 4
; Occupancy: 8
; WaveLimiterHint : 0
; COMPUTE_PGM_RSRC2:SCRATCH_EN: 0
; COMPUTE_PGM_RSRC2:USER_SGPR: 2
; COMPUTE_PGM_RSRC2:TRAP_HANDLER: 0
; COMPUTE_PGM_RSRC2:TGID_X_EN: 1
; COMPUTE_PGM_RSRC2:TGID_Y_EN: 0
; COMPUTE_PGM_RSRC2:TGID_Z_EN: 0
; COMPUTE_PGM_RSRC2:TIDIG_COMP_CNT: 0
; COMPUTE_PGM_RSRC3_GFX90A:ACCUM_OFFSET: 0
; COMPUTE_PGM_RSRC3_GFX90A:TG_SPLIT: 0
	.section	.text._ZN7rocprim17ROCPRIM_400000_NS6detail17trampoline_kernelINS0_14default_configENS1_35radix_sort_onesweep_config_selectorIxNS0_10empty_typeEEEZNS1_34radix_sort_onesweep_global_offsetsIS3_Lb0EN6thrust23THRUST_200600_302600_NS6detail15normal_iteratorINS9_10device_ptrIxEEEEPS5_jNS0_19identity_decomposerEEE10hipError_tT1_T2_PT3_SK_jT4_jjP12ihipStream_tbEUlT_E0_NS1_11comp_targetILNS1_3genE6ELNS1_11target_archE950ELNS1_3gpuE13ELNS1_3repE0EEENS1_52radix_sort_onesweep_histogram_config_static_selectorELNS0_4arch9wavefront6targetE1EEEvSI_,"axG",@progbits,_ZN7rocprim17ROCPRIM_400000_NS6detail17trampoline_kernelINS0_14default_configENS1_35radix_sort_onesweep_config_selectorIxNS0_10empty_typeEEEZNS1_34radix_sort_onesweep_global_offsetsIS3_Lb0EN6thrust23THRUST_200600_302600_NS6detail15normal_iteratorINS9_10device_ptrIxEEEEPS5_jNS0_19identity_decomposerEEE10hipError_tT1_T2_PT3_SK_jT4_jjP12ihipStream_tbEUlT_E0_NS1_11comp_targetILNS1_3genE6ELNS1_11target_archE950ELNS1_3gpuE13ELNS1_3repE0EEENS1_52radix_sort_onesweep_histogram_config_static_selectorELNS0_4arch9wavefront6targetE1EEEvSI_,comdat
	.protected	_ZN7rocprim17ROCPRIM_400000_NS6detail17trampoline_kernelINS0_14default_configENS1_35radix_sort_onesweep_config_selectorIxNS0_10empty_typeEEEZNS1_34radix_sort_onesweep_global_offsetsIS3_Lb0EN6thrust23THRUST_200600_302600_NS6detail15normal_iteratorINS9_10device_ptrIxEEEEPS5_jNS0_19identity_decomposerEEE10hipError_tT1_T2_PT3_SK_jT4_jjP12ihipStream_tbEUlT_E0_NS1_11comp_targetILNS1_3genE6ELNS1_11target_archE950ELNS1_3gpuE13ELNS1_3repE0EEENS1_52radix_sort_onesweep_histogram_config_static_selectorELNS0_4arch9wavefront6targetE1EEEvSI_ ; -- Begin function _ZN7rocprim17ROCPRIM_400000_NS6detail17trampoline_kernelINS0_14default_configENS1_35radix_sort_onesweep_config_selectorIxNS0_10empty_typeEEEZNS1_34radix_sort_onesweep_global_offsetsIS3_Lb0EN6thrust23THRUST_200600_302600_NS6detail15normal_iteratorINS9_10device_ptrIxEEEEPS5_jNS0_19identity_decomposerEEE10hipError_tT1_T2_PT3_SK_jT4_jjP12ihipStream_tbEUlT_E0_NS1_11comp_targetILNS1_3genE6ELNS1_11target_archE950ELNS1_3gpuE13ELNS1_3repE0EEENS1_52radix_sort_onesweep_histogram_config_static_selectorELNS0_4arch9wavefront6targetE1EEEvSI_
	.globl	_ZN7rocprim17ROCPRIM_400000_NS6detail17trampoline_kernelINS0_14default_configENS1_35radix_sort_onesweep_config_selectorIxNS0_10empty_typeEEEZNS1_34radix_sort_onesweep_global_offsetsIS3_Lb0EN6thrust23THRUST_200600_302600_NS6detail15normal_iteratorINS9_10device_ptrIxEEEEPS5_jNS0_19identity_decomposerEEE10hipError_tT1_T2_PT3_SK_jT4_jjP12ihipStream_tbEUlT_E0_NS1_11comp_targetILNS1_3genE6ELNS1_11target_archE950ELNS1_3gpuE13ELNS1_3repE0EEENS1_52radix_sort_onesweep_histogram_config_static_selectorELNS0_4arch9wavefront6targetE1EEEvSI_
	.p2align	8
	.type	_ZN7rocprim17ROCPRIM_400000_NS6detail17trampoline_kernelINS0_14default_configENS1_35radix_sort_onesweep_config_selectorIxNS0_10empty_typeEEEZNS1_34radix_sort_onesweep_global_offsetsIS3_Lb0EN6thrust23THRUST_200600_302600_NS6detail15normal_iteratorINS9_10device_ptrIxEEEEPS5_jNS0_19identity_decomposerEEE10hipError_tT1_T2_PT3_SK_jT4_jjP12ihipStream_tbEUlT_E0_NS1_11comp_targetILNS1_3genE6ELNS1_11target_archE950ELNS1_3gpuE13ELNS1_3repE0EEENS1_52radix_sort_onesweep_histogram_config_static_selectorELNS0_4arch9wavefront6targetE1EEEvSI_,@function
_ZN7rocprim17ROCPRIM_400000_NS6detail17trampoline_kernelINS0_14default_configENS1_35radix_sort_onesweep_config_selectorIxNS0_10empty_typeEEEZNS1_34radix_sort_onesweep_global_offsetsIS3_Lb0EN6thrust23THRUST_200600_302600_NS6detail15normal_iteratorINS9_10device_ptrIxEEEEPS5_jNS0_19identity_decomposerEEE10hipError_tT1_T2_PT3_SK_jT4_jjP12ihipStream_tbEUlT_E0_NS1_11comp_targetILNS1_3genE6ELNS1_11target_archE950ELNS1_3gpuE13ELNS1_3repE0EEENS1_52radix_sort_onesweep_histogram_config_static_selectorELNS0_4arch9wavefront6targetE1EEEvSI_: ; @_ZN7rocprim17ROCPRIM_400000_NS6detail17trampoline_kernelINS0_14default_configENS1_35radix_sort_onesweep_config_selectorIxNS0_10empty_typeEEEZNS1_34radix_sort_onesweep_global_offsetsIS3_Lb0EN6thrust23THRUST_200600_302600_NS6detail15normal_iteratorINS9_10device_ptrIxEEEEPS5_jNS0_19identity_decomposerEEE10hipError_tT1_T2_PT3_SK_jT4_jjP12ihipStream_tbEUlT_E0_NS1_11comp_targetILNS1_3genE6ELNS1_11target_archE950ELNS1_3gpuE13ELNS1_3repE0EEENS1_52radix_sort_onesweep_histogram_config_static_selectorELNS0_4arch9wavefront6targetE1EEEvSI_
; %bb.0:
	.section	.rodata,"a",@progbits
	.p2align	6, 0x0
	.amdhsa_kernel _ZN7rocprim17ROCPRIM_400000_NS6detail17trampoline_kernelINS0_14default_configENS1_35radix_sort_onesweep_config_selectorIxNS0_10empty_typeEEEZNS1_34radix_sort_onesweep_global_offsetsIS3_Lb0EN6thrust23THRUST_200600_302600_NS6detail15normal_iteratorINS9_10device_ptrIxEEEEPS5_jNS0_19identity_decomposerEEE10hipError_tT1_T2_PT3_SK_jT4_jjP12ihipStream_tbEUlT_E0_NS1_11comp_targetILNS1_3genE6ELNS1_11target_archE950ELNS1_3gpuE13ELNS1_3repE0EEENS1_52radix_sort_onesweep_histogram_config_static_selectorELNS0_4arch9wavefront6targetE1EEEvSI_
		.amdhsa_group_segment_fixed_size 0
		.amdhsa_private_segment_fixed_size 0
		.amdhsa_kernarg_size 8
		.amdhsa_user_sgpr_count 2
		.amdhsa_user_sgpr_dispatch_ptr 0
		.amdhsa_user_sgpr_queue_ptr 0
		.amdhsa_user_sgpr_kernarg_segment_ptr 1
		.amdhsa_user_sgpr_dispatch_id 0
		.amdhsa_user_sgpr_kernarg_preload_length 0
		.amdhsa_user_sgpr_kernarg_preload_offset 0
		.amdhsa_user_sgpr_private_segment_size 0
		.amdhsa_uses_dynamic_stack 0
		.amdhsa_enable_private_segment 0
		.amdhsa_system_sgpr_workgroup_id_x 1
		.amdhsa_system_sgpr_workgroup_id_y 0
		.amdhsa_system_sgpr_workgroup_id_z 0
		.amdhsa_system_sgpr_workgroup_info 0
		.amdhsa_system_vgpr_workitem_id 0
		.amdhsa_next_free_vgpr 1
		.amdhsa_next_free_sgpr 0
		.amdhsa_accum_offset 4
		.amdhsa_reserve_vcc 0
		.amdhsa_float_round_mode_32 0
		.amdhsa_float_round_mode_16_64 0
		.amdhsa_float_denorm_mode_32 3
		.amdhsa_float_denorm_mode_16_64 3
		.amdhsa_dx10_clamp 1
		.amdhsa_ieee_mode 1
		.amdhsa_fp16_overflow 0
		.amdhsa_tg_split 0
		.amdhsa_exception_fp_ieee_invalid_op 0
		.amdhsa_exception_fp_denorm_src 0
		.amdhsa_exception_fp_ieee_div_zero 0
		.amdhsa_exception_fp_ieee_overflow 0
		.amdhsa_exception_fp_ieee_underflow 0
		.amdhsa_exception_fp_ieee_inexact 0
		.amdhsa_exception_int_div_zero 0
	.end_amdhsa_kernel
	.section	.text._ZN7rocprim17ROCPRIM_400000_NS6detail17trampoline_kernelINS0_14default_configENS1_35radix_sort_onesweep_config_selectorIxNS0_10empty_typeEEEZNS1_34radix_sort_onesweep_global_offsetsIS3_Lb0EN6thrust23THRUST_200600_302600_NS6detail15normal_iteratorINS9_10device_ptrIxEEEEPS5_jNS0_19identity_decomposerEEE10hipError_tT1_T2_PT3_SK_jT4_jjP12ihipStream_tbEUlT_E0_NS1_11comp_targetILNS1_3genE6ELNS1_11target_archE950ELNS1_3gpuE13ELNS1_3repE0EEENS1_52radix_sort_onesweep_histogram_config_static_selectorELNS0_4arch9wavefront6targetE1EEEvSI_,"axG",@progbits,_ZN7rocprim17ROCPRIM_400000_NS6detail17trampoline_kernelINS0_14default_configENS1_35radix_sort_onesweep_config_selectorIxNS0_10empty_typeEEEZNS1_34radix_sort_onesweep_global_offsetsIS3_Lb0EN6thrust23THRUST_200600_302600_NS6detail15normal_iteratorINS9_10device_ptrIxEEEEPS5_jNS0_19identity_decomposerEEE10hipError_tT1_T2_PT3_SK_jT4_jjP12ihipStream_tbEUlT_E0_NS1_11comp_targetILNS1_3genE6ELNS1_11target_archE950ELNS1_3gpuE13ELNS1_3repE0EEENS1_52radix_sort_onesweep_histogram_config_static_selectorELNS0_4arch9wavefront6targetE1EEEvSI_,comdat
.Lfunc_end1525:
	.size	_ZN7rocprim17ROCPRIM_400000_NS6detail17trampoline_kernelINS0_14default_configENS1_35radix_sort_onesweep_config_selectorIxNS0_10empty_typeEEEZNS1_34radix_sort_onesweep_global_offsetsIS3_Lb0EN6thrust23THRUST_200600_302600_NS6detail15normal_iteratorINS9_10device_ptrIxEEEEPS5_jNS0_19identity_decomposerEEE10hipError_tT1_T2_PT3_SK_jT4_jjP12ihipStream_tbEUlT_E0_NS1_11comp_targetILNS1_3genE6ELNS1_11target_archE950ELNS1_3gpuE13ELNS1_3repE0EEENS1_52radix_sort_onesweep_histogram_config_static_selectorELNS0_4arch9wavefront6targetE1EEEvSI_, .Lfunc_end1525-_ZN7rocprim17ROCPRIM_400000_NS6detail17trampoline_kernelINS0_14default_configENS1_35radix_sort_onesweep_config_selectorIxNS0_10empty_typeEEEZNS1_34radix_sort_onesweep_global_offsetsIS3_Lb0EN6thrust23THRUST_200600_302600_NS6detail15normal_iteratorINS9_10device_ptrIxEEEEPS5_jNS0_19identity_decomposerEEE10hipError_tT1_T2_PT3_SK_jT4_jjP12ihipStream_tbEUlT_E0_NS1_11comp_targetILNS1_3genE6ELNS1_11target_archE950ELNS1_3gpuE13ELNS1_3repE0EEENS1_52radix_sort_onesweep_histogram_config_static_selectorELNS0_4arch9wavefront6targetE1EEEvSI_
                                        ; -- End function
	.section	.AMDGPU.csdata,"",@progbits
; Kernel info:
; codeLenInByte = 0
; NumSgprs: 6
; NumVgprs: 0
; NumAgprs: 0
; TotalNumVgprs: 0
; ScratchSize: 0
; MemoryBound: 0
; FloatMode: 240
; IeeeMode: 1
; LDSByteSize: 0 bytes/workgroup (compile time only)
; SGPRBlocks: 0
; VGPRBlocks: 0
; NumSGPRsForWavesPerEU: 6
; NumVGPRsForWavesPerEU: 1
; AccumOffset: 4
; Occupancy: 8
; WaveLimiterHint : 0
; COMPUTE_PGM_RSRC2:SCRATCH_EN: 0
; COMPUTE_PGM_RSRC2:USER_SGPR: 2
; COMPUTE_PGM_RSRC2:TRAP_HANDLER: 0
; COMPUTE_PGM_RSRC2:TGID_X_EN: 1
; COMPUTE_PGM_RSRC2:TGID_Y_EN: 0
; COMPUTE_PGM_RSRC2:TGID_Z_EN: 0
; COMPUTE_PGM_RSRC2:TIDIG_COMP_CNT: 0
; COMPUTE_PGM_RSRC3_GFX90A:ACCUM_OFFSET: 0
; COMPUTE_PGM_RSRC3_GFX90A:TG_SPLIT: 0
	.section	.text._ZN7rocprim17ROCPRIM_400000_NS6detail17trampoline_kernelINS0_14default_configENS1_35radix_sort_onesweep_config_selectorIxNS0_10empty_typeEEEZNS1_34radix_sort_onesweep_global_offsetsIS3_Lb0EN6thrust23THRUST_200600_302600_NS6detail15normal_iteratorINS9_10device_ptrIxEEEEPS5_jNS0_19identity_decomposerEEE10hipError_tT1_T2_PT3_SK_jT4_jjP12ihipStream_tbEUlT_E0_NS1_11comp_targetILNS1_3genE5ELNS1_11target_archE942ELNS1_3gpuE9ELNS1_3repE0EEENS1_52radix_sort_onesweep_histogram_config_static_selectorELNS0_4arch9wavefront6targetE1EEEvSI_,"axG",@progbits,_ZN7rocprim17ROCPRIM_400000_NS6detail17trampoline_kernelINS0_14default_configENS1_35radix_sort_onesweep_config_selectorIxNS0_10empty_typeEEEZNS1_34radix_sort_onesweep_global_offsetsIS3_Lb0EN6thrust23THRUST_200600_302600_NS6detail15normal_iteratorINS9_10device_ptrIxEEEEPS5_jNS0_19identity_decomposerEEE10hipError_tT1_T2_PT3_SK_jT4_jjP12ihipStream_tbEUlT_E0_NS1_11comp_targetILNS1_3genE5ELNS1_11target_archE942ELNS1_3gpuE9ELNS1_3repE0EEENS1_52radix_sort_onesweep_histogram_config_static_selectorELNS0_4arch9wavefront6targetE1EEEvSI_,comdat
	.protected	_ZN7rocprim17ROCPRIM_400000_NS6detail17trampoline_kernelINS0_14default_configENS1_35radix_sort_onesweep_config_selectorIxNS0_10empty_typeEEEZNS1_34radix_sort_onesweep_global_offsetsIS3_Lb0EN6thrust23THRUST_200600_302600_NS6detail15normal_iteratorINS9_10device_ptrIxEEEEPS5_jNS0_19identity_decomposerEEE10hipError_tT1_T2_PT3_SK_jT4_jjP12ihipStream_tbEUlT_E0_NS1_11comp_targetILNS1_3genE5ELNS1_11target_archE942ELNS1_3gpuE9ELNS1_3repE0EEENS1_52radix_sort_onesweep_histogram_config_static_selectorELNS0_4arch9wavefront6targetE1EEEvSI_ ; -- Begin function _ZN7rocprim17ROCPRIM_400000_NS6detail17trampoline_kernelINS0_14default_configENS1_35radix_sort_onesweep_config_selectorIxNS0_10empty_typeEEEZNS1_34radix_sort_onesweep_global_offsetsIS3_Lb0EN6thrust23THRUST_200600_302600_NS6detail15normal_iteratorINS9_10device_ptrIxEEEEPS5_jNS0_19identity_decomposerEEE10hipError_tT1_T2_PT3_SK_jT4_jjP12ihipStream_tbEUlT_E0_NS1_11comp_targetILNS1_3genE5ELNS1_11target_archE942ELNS1_3gpuE9ELNS1_3repE0EEENS1_52radix_sort_onesweep_histogram_config_static_selectorELNS0_4arch9wavefront6targetE1EEEvSI_
	.globl	_ZN7rocprim17ROCPRIM_400000_NS6detail17trampoline_kernelINS0_14default_configENS1_35radix_sort_onesweep_config_selectorIxNS0_10empty_typeEEEZNS1_34radix_sort_onesweep_global_offsetsIS3_Lb0EN6thrust23THRUST_200600_302600_NS6detail15normal_iteratorINS9_10device_ptrIxEEEEPS5_jNS0_19identity_decomposerEEE10hipError_tT1_T2_PT3_SK_jT4_jjP12ihipStream_tbEUlT_E0_NS1_11comp_targetILNS1_3genE5ELNS1_11target_archE942ELNS1_3gpuE9ELNS1_3repE0EEENS1_52radix_sort_onesweep_histogram_config_static_selectorELNS0_4arch9wavefront6targetE1EEEvSI_
	.p2align	8
	.type	_ZN7rocprim17ROCPRIM_400000_NS6detail17trampoline_kernelINS0_14default_configENS1_35radix_sort_onesweep_config_selectorIxNS0_10empty_typeEEEZNS1_34radix_sort_onesweep_global_offsetsIS3_Lb0EN6thrust23THRUST_200600_302600_NS6detail15normal_iteratorINS9_10device_ptrIxEEEEPS5_jNS0_19identity_decomposerEEE10hipError_tT1_T2_PT3_SK_jT4_jjP12ihipStream_tbEUlT_E0_NS1_11comp_targetILNS1_3genE5ELNS1_11target_archE942ELNS1_3gpuE9ELNS1_3repE0EEENS1_52radix_sort_onesweep_histogram_config_static_selectorELNS0_4arch9wavefront6targetE1EEEvSI_,@function
_ZN7rocprim17ROCPRIM_400000_NS6detail17trampoline_kernelINS0_14default_configENS1_35radix_sort_onesweep_config_selectorIxNS0_10empty_typeEEEZNS1_34radix_sort_onesweep_global_offsetsIS3_Lb0EN6thrust23THRUST_200600_302600_NS6detail15normal_iteratorINS9_10device_ptrIxEEEEPS5_jNS0_19identity_decomposerEEE10hipError_tT1_T2_PT3_SK_jT4_jjP12ihipStream_tbEUlT_E0_NS1_11comp_targetILNS1_3genE5ELNS1_11target_archE942ELNS1_3gpuE9ELNS1_3repE0EEENS1_52radix_sort_onesweep_histogram_config_static_selectorELNS0_4arch9wavefront6targetE1EEEvSI_: ; @_ZN7rocprim17ROCPRIM_400000_NS6detail17trampoline_kernelINS0_14default_configENS1_35radix_sort_onesweep_config_selectorIxNS0_10empty_typeEEEZNS1_34radix_sort_onesweep_global_offsetsIS3_Lb0EN6thrust23THRUST_200600_302600_NS6detail15normal_iteratorINS9_10device_ptrIxEEEEPS5_jNS0_19identity_decomposerEEE10hipError_tT1_T2_PT3_SK_jT4_jjP12ihipStream_tbEUlT_E0_NS1_11comp_targetILNS1_3genE5ELNS1_11target_archE942ELNS1_3gpuE9ELNS1_3repE0EEENS1_52radix_sort_onesweep_histogram_config_static_selectorELNS0_4arch9wavefront6targetE1EEEvSI_
; %bb.0:
	s_load_dwordx2 s[0:1], s[0:1], 0x0
	s_lshl_b32 s2, s2, 8
	s_mov_b32 s3, 0
	s_lshl_b64 s[2:3], s[2:3], 2
	v_lshlrev_b32_e32 v1, 2, v0
	s_waitcnt lgkmcnt(0)
	s_add_u32 s2, s0, s2
	s_movk_i32 s0, 0x100
	s_addc_u32 s3, s1, s3
	v_cmp_gt_u32_e32 vcc, s0, v0
                                        ; implicit-def: $vgpr3
	s_and_saveexec_b64 s[0:1], vcc
	s_cbranch_execz .LBB1526_2
; %bb.1:
	global_load_dword v3, v1, s[2:3]
.LBB1526_2:
	s_or_b64 exec, exec, s[0:1]
	v_mbcnt_lo_u32_b32 v2, -1, 0
	v_mbcnt_hi_u32_b32 v2, -1, v2
	v_and_b32_e32 v4, 15, v2
	s_waitcnt vmcnt(0)
	v_mov_b32_dpp v5, v3 row_shr:1 row_mask:0xf bank_mask:0xf
	v_cmp_ne_u32_e64 s[0:1], 0, v4
	s_nop 1
	v_cndmask_b32_e64 v5, 0, v5, s[0:1]
	v_add_u32_e32 v3, v5, v3
	v_cmp_lt_u32_e64 s[0:1], 1, v4
	s_nop 0
	v_mov_b32_dpp v5, v3 row_shr:2 row_mask:0xf bank_mask:0xf
	v_cndmask_b32_e64 v5, 0, v5, s[0:1]
	v_add_u32_e32 v3, v3, v5
	v_cmp_lt_u32_e64 s[0:1], 3, v4
	s_nop 0
	v_mov_b32_dpp v5, v3 row_shr:4 row_mask:0xf bank_mask:0xf
	v_cndmask_b32_e64 v5, 0, v5, s[0:1]
	v_add_u32_e32 v3, v3, v5
	v_cmp_lt_u32_e64 s[0:1], 7, v4
	s_nop 0
	v_mov_b32_dpp v5, v3 row_shr:8 row_mask:0xf bank_mask:0xf
	v_cndmask_b32_e64 v4, 0, v5, s[0:1]
	v_add_u32_e32 v3, v3, v4
	v_bfe_i32 v5, v2, 4, 1
	v_cmp_lt_u32_e64 s[0:1], 31, v2
	v_mov_b32_dpp v4, v3 row_bcast:15 row_mask:0xf bank_mask:0xf
	v_and_b32_e32 v4, v5, v4
	v_add_u32_e32 v3, v3, v4
	v_or_b32_e32 v5, 63, v0
	s_nop 0
	v_mov_b32_dpp v4, v3 row_bcast:31 row_mask:0xf bank_mask:0xf
	v_cndmask_b32_e64 v4, 0, v4, s[0:1]
	v_add_u32_e32 v3, v3, v4
	v_lshrrev_b32_e32 v4, 6, v0
	v_cmp_eq_u32_e64 s[0:1], v5, v0
	s_and_saveexec_b64 s[4:5], s[0:1]
	s_cbranch_execz .LBB1526_4
; %bb.3:
	v_lshlrev_b32_e32 v5, 2, v4
	ds_write_b32 v5, v3
.LBB1526_4:
	s_or_b64 exec, exec, s[4:5]
	v_cmp_gt_u32_e64 s[0:1], 8, v0
	s_waitcnt lgkmcnt(0)
	s_barrier
	s_and_saveexec_b64 s[4:5], s[0:1]
	s_cbranch_execz .LBB1526_6
; %bb.5:
	ds_read_b32 v5, v1
	v_and_b32_e32 v6, 7, v2
	v_cmp_ne_u32_e64 s[0:1], 0, v6
	s_waitcnt lgkmcnt(0)
	v_mov_b32_dpp v7, v5 row_shr:1 row_mask:0xf bank_mask:0xf
	v_cndmask_b32_e64 v7, 0, v7, s[0:1]
	v_add_u32_e32 v5, v7, v5
	v_cmp_lt_u32_e64 s[0:1], 1, v6
	s_nop 0
	v_mov_b32_dpp v7, v5 row_shr:2 row_mask:0xf bank_mask:0xf
	v_cndmask_b32_e64 v7, 0, v7, s[0:1]
	v_add_u32_e32 v5, v5, v7
	v_cmp_lt_u32_e64 s[0:1], 3, v6
	s_nop 0
	v_mov_b32_dpp v7, v5 row_shr:4 row_mask:0xf bank_mask:0xf
	v_cndmask_b32_e64 v6, 0, v7, s[0:1]
	v_add_u32_e32 v5, v5, v6
	ds_write_b32 v1, v5
.LBB1526_6:
	s_or_b64 exec, exec, s[4:5]
	v_cmp_lt_u32_e64 s[0:1], 63, v0
	v_mov_b32_e32 v0, 0
	s_waitcnt lgkmcnt(0)
	s_barrier
	s_and_saveexec_b64 s[4:5], s[0:1]
	s_cbranch_execz .LBB1526_8
; %bb.7:
	v_lshl_add_u32 v0, v4, 2, -4
	ds_read_b32 v0, v0
.LBB1526_8:
	s_or_b64 exec, exec, s[4:5]
	v_add_u32_e32 v4, -1, v2
	v_and_b32_e32 v5, 64, v2
	v_cmp_lt_i32_e64 s[0:1], v4, v5
	s_waitcnt lgkmcnt(0)
	v_add_u32_e32 v3, v0, v3
	v_cndmask_b32_e64 v4, v4, v2, s[0:1]
	v_lshlrev_b32_e32 v4, 2, v4
	ds_bpermute_b32 v3, v4, v3
	s_and_saveexec_b64 s[0:1], vcc
	s_cbranch_execz .LBB1526_10
; %bb.9:
	v_cmp_eq_u32_e32 vcc, 0, v2
	s_waitcnt lgkmcnt(0)
	s_nop 0
	v_cndmask_b32_e32 v0, v3, v0, vcc
	global_store_dword v1, v0, s[2:3]
.LBB1526_10:
	s_endpgm
	.section	.rodata,"a",@progbits
	.p2align	6, 0x0
	.amdhsa_kernel _ZN7rocprim17ROCPRIM_400000_NS6detail17trampoline_kernelINS0_14default_configENS1_35radix_sort_onesweep_config_selectorIxNS0_10empty_typeEEEZNS1_34radix_sort_onesweep_global_offsetsIS3_Lb0EN6thrust23THRUST_200600_302600_NS6detail15normal_iteratorINS9_10device_ptrIxEEEEPS5_jNS0_19identity_decomposerEEE10hipError_tT1_T2_PT3_SK_jT4_jjP12ihipStream_tbEUlT_E0_NS1_11comp_targetILNS1_3genE5ELNS1_11target_archE942ELNS1_3gpuE9ELNS1_3repE0EEENS1_52radix_sort_onesweep_histogram_config_static_selectorELNS0_4arch9wavefront6targetE1EEEvSI_
		.amdhsa_group_segment_fixed_size 32
		.amdhsa_private_segment_fixed_size 0
		.amdhsa_kernarg_size 8
		.amdhsa_user_sgpr_count 2
		.amdhsa_user_sgpr_dispatch_ptr 0
		.amdhsa_user_sgpr_queue_ptr 0
		.amdhsa_user_sgpr_kernarg_segment_ptr 1
		.amdhsa_user_sgpr_dispatch_id 0
		.amdhsa_user_sgpr_kernarg_preload_length 0
		.amdhsa_user_sgpr_kernarg_preload_offset 0
		.amdhsa_user_sgpr_private_segment_size 0
		.amdhsa_uses_dynamic_stack 0
		.amdhsa_enable_private_segment 0
		.amdhsa_system_sgpr_workgroup_id_x 1
		.amdhsa_system_sgpr_workgroup_id_y 0
		.amdhsa_system_sgpr_workgroup_id_z 0
		.amdhsa_system_sgpr_workgroup_info 0
		.amdhsa_system_vgpr_workitem_id 0
		.amdhsa_next_free_vgpr 8
		.amdhsa_next_free_sgpr 6
		.amdhsa_accum_offset 8
		.amdhsa_reserve_vcc 1
		.amdhsa_float_round_mode_32 0
		.amdhsa_float_round_mode_16_64 0
		.amdhsa_float_denorm_mode_32 3
		.amdhsa_float_denorm_mode_16_64 3
		.amdhsa_dx10_clamp 1
		.amdhsa_ieee_mode 1
		.amdhsa_fp16_overflow 0
		.amdhsa_tg_split 0
		.amdhsa_exception_fp_ieee_invalid_op 0
		.amdhsa_exception_fp_denorm_src 0
		.amdhsa_exception_fp_ieee_div_zero 0
		.amdhsa_exception_fp_ieee_overflow 0
		.amdhsa_exception_fp_ieee_underflow 0
		.amdhsa_exception_fp_ieee_inexact 0
		.amdhsa_exception_int_div_zero 0
	.end_amdhsa_kernel
	.section	.text._ZN7rocprim17ROCPRIM_400000_NS6detail17trampoline_kernelINS0_14default_configENS1_35radix_sort_onesweep_config_selectorIxNS0_10empty_typeEEEZNS1_34radix_sort_onesweep_global_offsetsIS3_Lb0EN6thrust23THRUST_200600_302600_NS6detail15normal_iteratorINS9_10device_ptrIxEEEEPS5_jNS0_19identity_decomposerEEE10hipError_tT1_T2_PT3_SK_jT4_jjP12ihipStream_tbEUlT_E0_NS1_11comp_targetILNS1_3genE5ELNS1_11target_archE942ELNS1_3gpuE9ELNS1_3repE0EEENS1_52radix_sort_onesweep_histogram_config_static_selectorELNS0_4arch9wavefront6targetE1EEEvSI_,"axG",@progbits,_ZN7rocprim17ROCPRIM_400000_NS6detail17trampoline_kernelINS0_14default_configENS1_35radix_sort_onesweep_config_selectorIxNS0_10empty_typeEEEZNS1_34radix_sort_onesweep_global_offsetsIS3_Lb0EN6thrust23THRUST_200600_302600_NS6detail15normal_iteratorINS9_10device_ptrIxEEEEPS5_jNS0_19identity_decomposerEEE10hipError_tT1_T2_PT3_SK_jT4_jjP12ihipStream_tbEUlT_E0_NS1_11comp_targetILNS1_3genE5ELNS1_11target_archE942ELNS1_3gpuE9ELNS1_3repE0EEENS1_52radix_sort_onesweep_histogram_config_static_selectorELNS0_4arch9wavefront6targetE1EEEvSI_,comdat
.Lfunc_end1526:
	.size	_ZN7rocprim17ROCPRIM_400000_NS6detail17trampoline_kernelINS0_14default_configENS1_35radix_sort_onesweep_config_selectorIxNS0_10empty_typeEEEZNS1_34radix_sort_onesweep_global_offsetsIS3_Lb0EN6thrust23THRUST_200600_302600_NS6detail15normal_iteratorINS9_10device_ptrIxEEEEPS5_jNS0_19identity_decomposerEEE10hipError_tT1_T2_PT3_SK_jT4_jjP12ihipStream_tbEUlT_E0_NS1_11comp_targetILNS1_3genE5ELNS1_11target_archE942ELNS1_3gpuE9ELNS1_3repE0EEENS1_52radix_sort_onesweep_histogram_config_static_selectorELNS0_4arch9wavefront6targetE1EEEvSI_, .Lfunc_end1526-_ZN7rocprim17ROCPRIM_400000_NS6detail17trampoline_kernelINS0_14default_configENS1_35radix_sort_onesweep_config_selectorIxNS0_10empty_typeEEEZNS1_34radix_sort_onesweep_global_offsetsIS3_Lb0EN6thrust23THRUST_200600_302600_NS6detail15normal_iteratorINS9_10device_ptrIxEEEEPS5_jNS0_19identity_decomposerEEE10hipError_tT1_T2_PT3_SK_jT4_jjP12ihipStream_tbEUlT_E0_NS1_11comp_targetILNS1_3genE5ELNS1_11target_archE942ELNS1_3gpuE9ELNS1_3repE0EEENS1_52radix_sort_onesweep_histogram_config_static_selectorELNS0_4arch9wavefront6targetE1EEEvSI_
                                        ; -- End function
	.section	.AMDGPU.csdata,"",@progbits
; Kernel info:
; codeLenInByte = 584
; NumSgprs: 12
; NumVgprs: 8
; NumAgprs: 0
; TotalNumVgprs: 8
; ScratchSize: 0
; MemoryBound: 0
; FloatMode: 240
; IeeeMode: 1
; LDSByteSize: 32 bytes/workgroup (compile time only)
; SGPRBlocks: 1
; VGPRBlocks: 0
; NumSGPRsForWavesPerEU: 12
; NumVGPRsForWavesPerEU: 8
; AccumOffset: 8
; Occupancy: 8
; WaveLimiterHint : 0
; COMPUTE_PGM_RSRC2:SCRATCH_EN: 0
; COMPUTE_PGM_RSRC2:USER_SGPR: 2
; COMPUTE_PGM_RSRC2:TRAP_HANDLER: 0
; COMPUTE_PGM_RSRC2:TGID_X_EN: 1
; COMPUTE_PGM_RSRC2:TGID_Y_EN: 0
; COMPUTE_PGM_RSRC2:TGID_Z_EN: 0
; COMPUTE_PGM_RSRC2:TIDIG_COMP_CNT: 0
; COMPUTE_PGM_RSRC3_GFX90A:ACCUM_OFFSET: 1
; COMPUTE_PGM_RSRC3_GFX90A:TG_SPLIT: 0
	.section	.text._ZN7rocprim17ROCPRIM_400000_NS6detail17trampoline_kernelINS0_14default_configENS1_35radix_sort_onesweep_config_selectorIxNS0_10empty_typeEEEZNS1_34radix_sort_onesweep_global_offsetsIS3_Lb0EN6thrust23THRUST_200600_302600_NS6detail15normal_iteratorINS9_10device_ptrIxEEEEPS5_jNS0_19identity_decomposerEEE10hipError_tT1_T2_PT3_SK_jT4_jjP12ihipStream_tbEUlT_E0_NS1_11comp_targetILNS1_3genE2ELNS1_11target_archE906ELNS1_3gpuE6ELNS1_3repE0EEENS1_52radix_sort_onesweep_histogram_config_static_selectorELNS0_4arch9wavefront6targetE1EEEvSI_,"axG",@progbits,_ZN7rocprim17ROCPRIM_400000_NS6detail17trampoline_kernelINS0_14default_configENS1_35radix_sort_onesweep_config_selectorIxNS0_10empty_typeEEEZNS1_34radix_sort_onesweep_global_offsetsIS3_Lb0EN6thrust23THRUST_200600_302600_NS6detail15normal_iteratorINS9_10device_ptrIxEEEEPS5_jNS0_19identity_decomposerEEE10hipError_tT1_T2_PT3_SK_jT4_jjP12ihipStream_tbEUlT_E0_NS1_11comp_targetILNS1_3genE2ELNS1_11target_archE906ELNS1_3gpuE6ELNS1_3repE0EEENS1_52radix_sort_onesweep_histogram_config_static_selectorELNS0_4arch9wavefront6targetE1EEEvSI_,comdat
	.protected	_ZN7rocprim17ROCPRIM_400000_NS6detail17trampoline_kernelINS0_14default_configENS1_35radix_sort_onesweep_config_selectorIxNS0_10empty_typeEEEZNS1_34radix_sort_onesweep_global_offsetsIS3_Lb0EN6thrust23THRUST_200600_302600_NS6detail15normal_iteratorINS9_10device_ptrIxEEEEPS5_jNS0_19identity_decomposerEEE10hipError_tT1_T2_PT3_SK_jT4_jjP12ihipStream_tbEUlT_E0_NS1_11comp_targetILNS1_3genE2ELNS1_11target_archE906ELNS1_3gpuE6ELNS1_3repE0EEENS1_52radix_sort_onesweep_histogram_config_static_selectorELNS0_4arch9wavefront6targetE1EEEvSI_ ; -- Begin function _ZN7rocprim17ROCPRIM_400000_NS6detail17trampoline_kernelINS0_14default_configENS1_35radix_sort_onesweep_config_selectorIxNS0_10empty_typeEEEZNS1_34radix_sort_onesweep_global_offsetsIS3_Lb0EN6thrust23THRUST_200600_302600_NS6detail15normal_iteratorINS9_10device_ptrIxEEEEPS5_jNS0_19identity_decomposerEEE10hipError_tT1_T2_PT3_SK_jT4_jjP12ihipStream_tbEUlT_E0_NS1_11comp_targetILNS1_3genE2ELNS1_11target_archE906ELNS1_3gpuE6ELNS1_3repE0EEENS1_52radix_sort_onesweep_histogram_config_static_selectorELNS0_4arch9wavefront6targetE1EEEvSI_
	.globl	_ZN7rocprim17ROCPRIM_400000_NS6detail17trampoline_kernelINS0_14default_configENS1_35radix_sort_onesweep_config_selectorIxNS0_10empty_typeEEEZNS1_34radix_sort_onesweep_global_offsetsIS3_Lb0EN6thrust23THRUST_200600_302600_NS6detail15normal_iteratorINS9_10device_ptrIxEEEEPS5_jNS0_19identity_decomposerEEE10hipError_tT1_T2_PT3_SK_jT4_jjP12ihipStream_tbEUlT_E0_NS1_11comp_targetILNS1_3genE2ELNS1_11target_archE906ELNS1_3gpuE6ELNS1_3repE0EEENS1_52radix_sort_onesweep_histogram_config_static_selectorELNS0_4arch9wavefront6targetE1EEEvSI_
	.p2align	8
	.type	_ZN7rocprim17ROCPRIM_400000_NS6detail17trampoline_kernelINS0_14default_configENS1_35radix_sort_onesweep_config_selectorIxNS0_10empty_typeEEEZNS1_34radix_sort_onesweep_global_offsetsIS3_Lb0EN6thrust23THRUST_200600_302600_NS6detail15normal_iteratorINS9_10device_ptrIxEEEEPS5_jNS0_19identity_decomposerEEE10hipError_tT1_T2_PT3_SK_jT4_jjP12ihipStream_tbEUlT_E0_NS1_11comp_targetILNS1_3genE2ELNS1_11target_archE906ELNS1_3gpuE6ELNS1_3repE0EEENS1_52radix_sort_onesweep_histogram_config_static_selectorELNS0_4arch9wavefront6targetE1EEEvSI_,@function
_ZN7rocprim17ROCPRIM_400000_NS6detail17trampoline_kernelINS0_14default_configENS1_35radix_sort_onesweep_config_selectorIxNS0_10empty_typeEEEZNS1_34radix_sort_onesweep_global_offsetsIS3_Lb0EN6thrust23THRUST_200600_302600_NS6detail15normal_iteratorINS9_10device_ptrIxEEEEPS5_jNS0_19identity_decomposerEEE10hipError_tT1_T2_PT3_SK_jT4_jjP12ihipStream_tbEUlT_E0_NS1_11comp_targetILNS1_3genE2ELNS1_11target_archE906ELNS1_3gpuE6ELNS1_3repE0EEENS1_52radix_sort_onesweep_histogram_config_static_selectorELNS0_4arch9wavefront6targetE1EEEvSI_: ; @_ZN7rocprim17ROCPRIM_400000_NS6detail17trampoline_kernelINS0_14default_configENS1_35radix_sort_onesweep_config_selectorIxNS0_10empty_typeEEEZNS1_34radix_sort_onesweep_global_offsetsIS3_Lb0EN6thrust23THRUST_200600_302600_NS6detail15normal_iteratorINS9_10device_ptrIxEEEEPS5_jNS0_19identity_decomposerEEE10hipError_tT1_T2_PT3_SK_jT4_jjP12ihipStream_tbEUlT_E0_NS1_11comp_targetILNS1_3genE2ELNS1_11target_archE906ELNS1_3gpuE6ELNS1_3repE0EEENS1_52radix_sort_onesweep_histogram_config_static_selectorELNS0_4arch9wavefront6targetE1EEEvSI_
; %bb.0:
	.section	.rodata,"a",@progbits
	.p2align	6, 0x0
	.amdhsa_kernel _ZN7rocprim17ROCPRIM_400000_NS6detail17trampoline_kernelINS0_14default_configENS1_35radix_sort_onesweep_config_selectorIxNS0_10empty_typeEEEZNS1_34radix_sort_onesweep_global_offsetsIS3_Lb0EN6thrust23THRUST_200600_302600_NS6detail15normal_iteratorINS9_10device_ptrIxEEEEPS5_jNS0_19identity_decomposerEEE10hipError_tT1_T2_PT3_SK_jT4_jjP12ihipStream_tbEUlT_E0_NS1_11comp_targetILNS1_3genE2ELNS1_11target_archE906ELNS1_3gpuE6ELNS1_3repE0EEENS1_52radix_sort_onesweep_histogram_config_static_selectorELNS0_4arch9wavefront6targetE1EEEvSI_
		.amdhsa_group_segment_fixed_size 0
		.amdhsa_private_segment_fixed_size 0
		.amdhsa_kernarg_size 8
		.amdhsa_user_sgpr_count 2
		.amdhsa_user_sgpr_dispatch_ptr 0
		.amdhsa_user_sgpr_queue_ptr 0
		.amdhsa_user_sgpr_kernarg_segment_ptr 1
		.amdhsa_user_sgpr_dispatch_id 0
		.amdhsa_user_sgpr_kernarg_preload_length 0
		.amdhsa_user_sgpr_kernarg_preload_offset 0
		.amdhsa_user_sgpr_private_segment_size 0
		.amdhsa_uses_dynamic_stack 0
		.amdhsa_enable_private_segment 0
		.amdhsa_system_sgpr_workgroup_id_x 1
		.amdhsa_system_sgpr_workgroup_id_y 0
		.amdhsa_system_sgpr_workgroup_id_z 0
		.amdhsa_system_sgpr_workgroup_info 0
		.amdhsa_system_vgpr_workitem_id 0
		.amdhsa_next_free_vgpr 1
		.amdhsa_next_free_sgpr 0
		.amdhsa_accum_offset 4
		.amdhsa_reserve_vcc 0
		.amdhsa_float_round_mode_32 0
		.amdhsa_float_round_mode_16_64 0
		.amdhsa_float_denorm_mode_32 3
		.amdhsa_float_denorm_mode_16_64 3
		.amdhsa_dx10_clamp 1
		.amdhsa_ieee_mode 1
		.amdhsa_fp16_overflow 0
		.amdhsa_tg_split 0
		.amdhsa_exception_fp_ieee_invalid_op 0
		.amdhsa_exception_fp_denorm_src 0
		.amdhsa_exception_fp_ieee_div_zero 0
		.amdhsa_exception_fp_ieee_overflow 0
		.amdhsa_exception_fp_ieee_underflow 0
		.amdhsa_exception_fp_ieee_inexact 0
		.amdhsa_exception_int_div_zero 0
	.end_amdhsa_kernel
	.section	.text._ZN7rocprim17ROCPRIM_400000_NS6detail17trampoline_kernelINS0_14default_configENS1_35radix_sort_onesweep_config_selectorIxNS0_10empty_typeEEEZNS1_34radix_sort_onesweep_global_offsetsIS3_Lb0EN6thrust23THRUST_200600_302600_NS6detail15normal_iteratorINS9_10device_ptrIxEEEEPS5_jNS0_19identity_decomposerEEE10hipError_tT1_T2_PT3_SK_jT4_jjP12ihipStream_tbEUlT_E0_NS1_11comp_targetILNS1_3genE2ELNS1_11target_archE906ELNS1_3gpuE6ELNS1_3repE0EEENS1_52radix_sort_onesweep_histogram_config_static_selectorELNS0_4arch9wavefront6targetE1EEEvSI_,"axG",@progbits,_ZN7rocprim17ROCPRIM_400000_NS6detail17trampoline_kernelINS0_14default_configENS1_35radix_sort_onesweep_config_selectorIxNS0_10empty_typeEEEZNS1_34radix_sort_onesweep_global_offsetsIS3_Lb0EN6thrust23THRUST_200600_302600_NS6detail15normal_iteratorINS9_10device_ptrIxEEEEPS5_jNS0_19identity_decomposerEEE10hipError_tT1_T2_PT3_SK_jT4_jjP12ihipStream_tbEUlT_E0_NS1_11comp_targetILNS1_3genE2ELNS1_11target_archE906ELNS1_3gpuE6ELNS1_3repE0EEENS1_52radix_sort_onesweep_histogram_config_static_selectorELNS0_4arch9wavefront6targetE1EEEvSI_,comdat
.Lfunc_end1527:
	.size	_ZN7rocprim17ROCPRIM_400000_NS6detail17trampoline_kernelINS0_14default_configENS1_35radix_sort_onesweep_config_selectorIxNS0_10empty_typeEEEZNS1_34radix_sort_onesweep_global_offsetsIS3_Lb0EN6thrust23THRUST_200600_302600_NS6detail15normal_iteratorINS9_10device_ptrIxEEEEPS5_jNS0_19identity_decomposerEEE10hipError_tT1_T2_PT3_SK_jT4_jjP12ihipStream_tbEUlT_E0_NS1_11comp_targetILNS1_3genE2ELNS1_11target_archE906ELNS1_3gpuE6ELNS1_3repE0EEENS1_52radix_sort_onesweep_histogram_config_static_selectorELNS0_4arch9wavefront6targetE1EEEvSI_, .Lfunc_end1527-_ZN7rocprim17ROCPRIM_400000_NS6detail17trampoline_kernelINS0_14default_configENS1_35radix_sort_onesweep_config_selectorIxNS0_10empty_typeEEEZNS1_34radix_sort_onesweep_global_offsetsIS3_Lb0EN6thrust23THRUST_200600_302600_NS6detail15normal_iteratorINS9_10device_ptrIxEEEEPS5_jNS0_19identity_decomposerEEE10hipError_tT1_T2_PT3_SK_jT4_jjP12ihipStream_tbEUlT_E0_NS1_11comp_targetILNS1_3genE2ELNS1_11target_archE906ELNS1_3gpuE6ELNS1_3repE0EEENS1_52radix_sort_onesweep_histogram_config_static_selectorELNS0_4arch9wavefront6targetE1EEEvSI_
                                        ; -- End function
	.section	.AMDGPU.csdata,"",@progbits
; Kernel info:
; codeLenInByte = 0
; NumSgprs: 6
; NumVgprs: 0
; NumAgprs: 0
; TotalNumVgprs: 0
; ScratchSize: 0
; MemoryBound: 0
; FloatMode: 240
; IeeeMode: 1
; LDSByteSize: 0 bytes/workgroup (compile time only)
; SGPRBlocks: 0
; VGPRBlocks: 0
; NumSGPRsForWavesPerEU: 6
; NumVGPRsForWavesPerEU: 1
; AccumOffset: 4
; Occupancy: 8
; WaveLimiterHint : 0
; COMPUTE_PGM_RSRC2:SCRATCH_EN: 0
; COMPUTE_PGM_RSRC2:USER_SGPR: 2
; COMPUTE_PGM_RSRC2:TRAP_HANDLER: 0
; COMPUTE_PGM_RSRC2:TGID_X_EN: 1
; COMPUTE_PGM_RSRC2:TGID_Y_EN: 0
; COMPUTE_PGM_RSRC2:TGID_Z_EN: 0
; COMPUTE_PGM_RSRC2:TIDIG_COMP_CNT: 0
; COMPUTE_PGM_RSRC3_GFX90A:ACCUM_OFFSET: 0
; COMPUTE_PGM_RSRC3_GFX90A:TG_SPLIT: 0
	.section	.text._ZN7rocprim17ROCPRIM_400000_NS6detail17trampoline_kernelINS0_14default_configENS1_35radix_sort_onesweep_config_selectorIxNS0_10empty_typeEEEZNS1_34radix_sort_onesweep_global_offsetsIS3_Lb0EN6thrust23THRUST_200600_302600_NS6detail15normal_iteratorINS9_10device_ptrIxEEEEPS5_jNS0_19identity_decomposerEEE10hipError_tT1_T2_PT3_SK_jT4_jjP12ihipStream_tbEUlT_E0_NS1_11comp_targetILNS1_3genE4ELNS1_11target_archE910ELNS1_3gpuE8ELNS1_3repE0EEENS1_52radix_sort_onesweep_histogram_config_static_selectorELNS0_4arch9wavefront6targetE1EEEvSI_,"axG",@progbits,_ZN7rocprim17ROCPRIM_400000_NS6detail17trampoline_kernelINS0_14default_configENS1_35radix_sort_onesweep_config_selectorIxNS0_10empty_typeEEEZNS1_34radix_sort_onesweep_global_offsetsIS3_Lb0EN6thrust23THRUST_200600_302600_NS6detail15normal_iteratorINS9_10device_ptrIxEEEEPS5_jNS0_19identity_decomposerEEE10hipError_tT1_T2_PT3_SK_jT4_jjP12ihipStream_tbEUlT_E0_NS1_11comp_targetILNS1_3genE4ELNS1_11target_archE910ELNS1_3gpuE8ELNS1_3repE0EEENS1_52radix_sort_onesweep_histogram_config_static_selectorELNS0_4arch9wavefront6targetE1EEEvSI_,comdat
	.protected	_ZN7rocprim17ROCPRIM_400000_NS6detail17trampoline_kernelINS0_14default_configENS1_35radix_sort_onesweep_config_selectorIxNS0_10empty_typeEEEZNS1_34radix_sort_onesweep_global_offsetsIS3_Lb0EN6thrust23THRUST_200600_302600_NS6detail15normal_iteratorINS9_10device_ptrIxEEEEPS5_jNS0_19identity_decomposerEEE10hipError_tT1_T2_PT3_SK_jT4_jjP12ihipStream_tbEUlT_E0_NS1_11comp_targetILNS1_3genE4ELNS1_11target_archE910ELNS1_3gpuE8ELNS1_3repE0EEENS1_52radix_sort_onesweep_histogram_config_static_selectorELNS0_4arch9wavefront6targetE1EEEvSI_ ; -- Begin function _ZN7rocprim17ROCPRIM_400000_NS6detail17trampoline_kernelINS0_14default_configENS1_35radix_sort_onesweep_config_selectorIxNS0_10empty_typeEEEZNS1_34radix_sort_onesweep_global_offsetsIS3_Lb0EN6thrust23THRUST_200600_302600_NS6detail15normal_iteratorINS9_10device_ptrIxEEEEPS5_jNS0_19identity_decomposerEEE10hipError_tT1_T2_PT3_SK_jT4_jjP12ihipStream_tbEUlT_E0_NS1_11comp_targetILNS1_3genE4ELNS1_11target_archE910ELNS1_3gpuE8ELNS1_3repE0EEENS1_52radix_sort_onesweep_histogram_config_static_selectorELNS0_4arch9wavefront6targetE1EEEvSI_
	.globl	_ZN7rocprim17ROCPRIM_400000_NS6detail17trampoline_kernelINS0_14default_configENS1_35radix_sort_onesweep_config_selectorIxNS0_10empty_typeEEEZNS1_34radix_sort_onesweep_global_offsetsIS3_Lb0EN6thrust23THRUST_200600_302600_NS6detail15normal_iteratorINS9_10device_ptrIxEEEEPS5_jNS0_19identity_decomposerEEE10hipError_tT1_T2_PT3_SK_jT4_jjP12ihipStream_tbEUlT_E0_NS1_11comp_targetILNS1_3genE4ELNS1_11target_archE910ELNS1_3gpuE8ELNS1_3repE0EEENS1_52radix_sort_onesweep_histogram_config_static_selectorELNS0_4arch9wavefront6targetE1EEEvSI_
	.p2align	8
	.type	_ZN7rocprim17ROCPRIM_400000_NS6detail17trampoline_kernelINS0_14default_configENS1_35radix_sort_onesweep_config_selectorIxNS0_10empty_typeEEEZNS1_34radix_sort_onesweep_global_offsetsIS3_Lb0EN6thrust23THRUST_200600_302600_NS6detail15normal_iteratorINS9_10device_ptrIxEEEEPS5_jNS0_19identity_decomposerEEE10hipError_tT1_T2_PT3_SK_jT4_jjP12ihipStream_tbEUlT_E0_NS1_11comp_targetILNS1_3genE4ELNS1_11target_archE910ELNS1_3gpuE8ELNS1_3repE0EEENS1_52radix_sort_onesweep_histogram_config_static_selectorELNS0_4arch9wavefront6targetE1EEEvSI_,@function
_ZN7rocprim17ROCPRIM_400000_NS6detail17trampoline_kernelINS0_14default_configENS1_35radix_sort_onesweep_config_selectorIxNS0_10empty_typeEEEZNS1_34radix_sort_onesweep_global_offsetsIS3_Lb0EN6thrust23THRUST_200600_302600_NS6detail15normal_iteratorINS9_10device_ptrIxEEEEPS5_jNS0_19identity_decomposerEEE10hipError_tT1_T2_PT3_SK_jT4_jjP12ihipStream_tbEUlT_E0_NS1_11comp_targetILNS1_3genE4ELNS1_11target_archE910ELNS1_3gpuE8ELNS1_3repE0EEENS1_52radix_sort_onesweep_histogram_config_static_selectorELNS0_4arch9wavefront6targetE1EEEvSI_: ; @_ZN7rocprim17ROCPRIM_400000_NS6detail17trampoline_kernelINS0_14default_configENS1_35radix_sort_onesweep_config_selectorIxNS0_10empty_typeEEEZNS1_34radix_sort_onesweep_global_offsetsIS3_Lb0EN6thrust23THRUST_200600_302600_NS6detail15normal_iteratorINS9_10device_ptrIxEEEEPS5_jNS0_19identity_decomposerEEE10hipError_tT1_T2_PT3_SK_jT4_jjP12ihipStream_tbEUlT_E0_NS1_11comp_targetILNS1_3genE4ELNS1_11target_archE910ELNS1_3gpuE8ELNS1_3repE0EEENS1_52radix_sort_onesweep_histogram_config_static_selectorELNS0_4arch9wavefront6targetE1EEEvSI_
; %bb.0:
	.section	.rodata,"a",@progbits
	.p2align	6, 0x0
	.amdhsa_kernel _ZN7rocprim17ROCPRIM_400000_NS6detail17trampoline_kernelINS0_14default_configENS1_35radix_sort_onesweep_config_selectorIxNS0_10empty_typeEEEZNS1_34radix_sort_onesweep_global_offsetsIS3_Lb0EN6thrust23THRUST_200600_302600_NS6detail15normal_iteratorINS9_10device_ptrIxEEEEPS5_jNS0_19identity_decomposerEEE10hipError_tT1_T2_PT3_SK_jT4_jjP12ihipStream_tbEUlT_E0_NS1_11comp_targetILNS1_3genE4ELNS1_11target_archE910ELNS1_3gpuE8ELNS1_3repE0EEENS1_52radix_sort_onesweep_histogram_config_static_selectorELNS0_4arch9wavefront6targetE1EEEvSI_
		.amdhsa_group_segment_fixed_size 0
		.amdhsa_private_segment_fixed_size 0
		.amdhsa_kernarg_size 8
		.amdhsa_user_sgpr_count 2
		.amdhsa_user_sgpr_dispatch_ptr 0
		.amdhsa_user_sgpr_queue_ptr 0
		.amdhsa_user_sgpr_kernarg_segment_ptr 1
		.amdhsa_user_sgpr_dispatch_id 0
		.amdhsa_user_sgpr_kernarg_preload_length 0
		.amdhsa_user_sgpr_kernarg_preload_offset 0
		.amdhsa_user_sgpr_private_segment_size 0
		.amdhsa_uses_dynamic_stack 0
		.amdhsa_enable_private_segment 0
		.amdhsa_system_sgpr_workgroup_id_x 1
		.amdhsa_system_sgpr_workgroup_id_y 0
		.amdhsa_system_sgpr_workgroup_id_z 0
		.amdhsa_system_sgpr_workgroup_info 0
		.amdhsa_system_vgpr_workitem_id 0
		.amdhsa_next_free_vgpr 1
		.amdhsa_next_free_sgpr 0
		.amdhsa_accum_offset 4
		.amdhsa_reserve_vcc 0
		.amdhsa_float_round_mode_32 0
		.amdhsa_float_round_mode_16_64 0
		.amdhsa_float_denorm_mode_32 3
		.amdhsa_float_denorm_mode_16_64 3
		.amdhsa_dx10_clamp 1
		.amdhsa_ieee_mode 1
		.amdhsa_fp16_overflow 0
		.amdhsa_tg_split 0
		.amdhsa_exception_fp_ieee_invalid_op 0
		.amdhsa_exception_fp_denorm_src 0
		.amdhsa_exception_fp_ieee_div_zero 0
		.amdhsa_exception_fp_ieee_overflow 0
		.amdhsa_exception_fp_ieee_underflow 0
		.amdhsa_exception_fp_ieee_inexact 0
		.amdhsa_exception_int_div_zero 0
	.end_amdhsa_kernel
	.section	.text._ZN7rocprim17ROCPRIM_400000_NS6detail17trampoline_kernelINS0_14default_configENS1_35radix_sort_onesweep_config_selectorIxNS0_10empty_typeEEEZNS1_34radix_sort_onesweep_global_offsetsIS3_Lb0EN6thrust23THRUST_200600_302600_NS6detail15normal_iteratorINS9_10device_ptrIxEEEEPS5_jNS0_19identity_decomposerEEE10hipError_tT1_T2_PT3_SK_jT4_jjP12ihipStream_tbEUlT_E0_NS1_11comp_targetILNS1_3genE4ELNS1_11target_archE910ELNS1_3gpuE8ELNS1_3repE0EEENS1_52radix_sort_onesweep_histogram_config_static_selectorELNS0_4arch9wavefront6targetE1EEEvSI_,"axG",@progbits,_ZN7rocprim17ROCPRIM_400000_NS6detail17trampoline_kernelINS0_14default_configENS1_35radix_sort_onesweep_config_selectorIxNS0_10empty_typeEEEZNS1_34radix_sort_onesweep_global_offsetsIS3_Lb0EN6thrust23THRUST_200600_302600_NS6detail15normal_iteratorINS9_10device_ptrIxEEEEPS5_jNS0_19identity_decomposerEEE10hipError_tT1_T2_PT3_SK_jT4_jjP12ihipStream_tbEUlT_E0_NS1_11comp_targetILNS1_3genE4ELNS1_11target_archE910ELNS1_3gpuE8ELNS1_3repE0EEENS1_52radix_sort_onesweep_histogram_config_static_selectorELNS0_4arch9wavefront6targetE1EEEvSI_,comdat
.Lfunc_end1528:
	.size	_ZN7rocprim17ROCPRIM_400000_NS6detail17trampoline_kernelINS0_14default_configENS1_35radix_sort_onesweep_config_selectorIxNS0_10empty_typeEEEZNS1_34radix_sort_onesweep_global_offsetsIS3_Lb0EN6thrust23THRUST_200600_302600_NS6detail15normal_iteratorINS9_10device_ptrIxEEEEPS5_jNS0_19identity_decomposerEEE10hipError_tT1_T2_PT3_SK_jT4_jjP12ihipStream_tbEUlT_E0_NS1_11comp_targetILNS1_3genE4ELNS1_11target_archE910ELNS1_3gpuE8ELNS1_3repE0EEENS1_52radix_sort_onesweep_histogram_config_static_selectorELNS0_4arch9wavefront6targetE1EEEvSI_, .Lfunc_end1528-_ZN7rocprim17ROCPRIM_400000_NS6detail17trampoline_kernelINS0_14default_configENS1_35radix_sort_onesweep_config_selectorIxNS0_10empty_typeEEEZNS1_34radix_sort_onesweep_global_offsetsIS3_Lb0EN6thrust23THRUST_200600_302600_NS6detail15normal_iteratorINS9_10device_ptrIxEEEEPS5_jNS0_19identity_decomposerEEE10hipError_tT1_T2_PT3_SK_jT4_jjP12ihipStream_tbEUlT_E0_NS1_11comp_targetILNS1_3genE4ELNS1_11target_archE910ELNS1_3gpuE8ELNS1_3repE0EEENS1_52radix_sort_onesweep_histogram_config_static_selectorELNS0_4arch9wavefront6targetE1EEEvSI_
                                        ; -- End function
	.section	.AMDGPU.csdata,"",@progbits
; Kernel info:
; codeLenInByte = 0
; NumSgprs: 6
; NumVgprs: 0
; NumAgprs: 0
; TotalNumVgprs: 0
; ScratchSize: 0
; MemoryBound: 0
; FloatMode: 240
; IeeeMode: 1
; LDSByteSize: 0 bytes/workgroup (compile time only)
; SGPRBlocks: 0
; VGPRBlocks: 0
; NumSGPRsForWavesPerEU: 6
; NumVGPRsForWavesPerEU: 1
; AccumOffset: 4
; Occupancy: 8
; WaveLimiterHint : 0
; COMPUTE_PGM_RSRC2:SCRATCH_EN: 0
; COMPUTE_PGM_RSRC2:USER_SGPR: 2
; COMPUTE_PGM_RSRC2:TRAP_HANDLER: 0
; COMPUTE_PGM_RSRC2:TGID_X_EN: 1
; COMPUTE_PGM_RSRC2:TGID_Y_EN: 0
; COMPUTE_PGM_RSRC2:TGID_Z_EN: 0
; COMPUTE_PGM_RSRC2:TIDIG_COMP_CNT: 0
; COMPUTE_PGM_RSRC3_GFX90A:ACCUM_OFFSET: 0
; COMPUTE_PGM_RSRC3_GFX90A:TG_SPLIT: 0
	.section	.text._ZN7rocprim17ROCPRIM_400000_NS6detail17trampoline_kernelINS0_14default_configENS1_35radix_sort_onesweep_config_selectorIxNS0_10empty_typeEEEZNS1_34radix_sort_onesweep_global_offsetsIS3_Lb0EN6thrust23THRUST_200600_302600_NS6detail15normal_iteratorINS9_10device_ptrIxEEEEPS5_jNS0_19identity_decomposerEEE10hipError_tT1_T2_PT3_SK_jT4_jjP12ihipStream_tbEUlT_E0_NS1_11comp_targetILNS1_3genE3ELNS1_11target_archE908ELNS1_3gpuE7ELNS1_3repE0EEENS1_52radix_sort_onesweep_histogram_config_static_selectorELNS0_4arch9wavefront6targetE1EEEvSI_,"axG",@progbits,_ZN7rocprim17ROCPRIM_400000_NS6detail17trampoline_kernelINS0_14default_configENS1_35radix_sort_onesweep_config_selectorIxNS0_10empty_typeEEEZNS1_34radix_sort_onesweep_global_offsetsIS3_Lb0EN6thrust23THRUST_200600_302600_NS6detail15normal_iteratorINS9_10device_ptrIxEEEEPS5_jNS0_19identity_decomposerEEE10hipError_tT1_T2_PT3_SK_jT4_jjP12ihipStream_tbEUlT_E0_NS1_11comp_targetILNS1_3genE3ELNS1_11target_archE908ELNS1_3gpuE7ELNS1_3repE0EEENS1_52radix_sort_onesweep_histogram_config_static_selectorELNS0_4arch9wavefront6targetE1EEEvSI_,comdat
	.protected	_ZN7rocprim17ROCPRIM_400000_NS6detail17trampoline_kernelINS0_14default_configENS1_35radix_sort_onesweep_config_selectorIxNS0_10empty_typeEEEZNS1_34radix_sort_onesweep_global_offsetsIS3_Lb0EN6thrust23THRUST_200600_302600_NS6detail15normal_iteratorINS9_10device_ptrIxEEEEPS5_jNS0_19identity_decomposerEEE10hipError_tT1_T2_PT3_SK_jT4_jjP12ihipStream_tbEUlT_E0_NS1_11comp_targetILNS1_3genE3ELNS1_11target_archE908ELNS1_3gpuE7ELNS1_3repE0EEENS1_52radix_sort_onesweep_histogram_config_static_selectorELNS0_4arch9wavefront6targetE1EEEvSI_ ; -- Begin function _ZN7rocprim17ROCPRIM_400000_NS6detail17trampoline_kernelINS0_14default_configENS1_35radix_sort_onesweep_config_selectorIxNS0_10empty_typeEEEZNS1_34radix_sort_onesweep_global_offsetsIS3_Lb0EN6thrust23THRUST_200600_302600_NS6detail15normal_iteratorINS9_10device_ptrIxEEEEPS5_jNS0_19identity_decomposerEEE10hipError_tT1_T2_PT3_SK_jT4_jjP12ihipStream_tbEUlT_E0_NS1_11comp_targetILNS1_3genE3ELNS1_11target_archE908ELNS1_3gpuE7ELNS1_3repE0EEENS1_52radix_sort_onesweep_histogram_config_static_selectorELNS0_4arch9wavefront6targetE1EEEvSI_
	.globl	_ZN7rocprim17ROCPRIM_400000_NS6detail17trampoline_kernelINS0_14default_configENS1_35radix_sort_onesweep_config_selectorIxNS0_10empty_typeEEEZNS1_34radix_sort_onesweep_global_offsetsIS3_Lb0EN6thrust23THRUST_200600_302600_NS6detail15normal_iteratorINS9_10device_ptrIxEEEEPS5_jNS0_19identity_decomposerEEE10hipError_tT1_T2_PT3_SK_jT4_jjP12ihipStream_tbEUlT_E0_NS1_11comp_targetILNS1_3genE3ELNS1_11target_archE908ELNS1_3gpuE7ELNS1_3repE0EEENS1_52radix_sort_onesweep_histogram_config_static_selectorELNS0_4arch9wavefront6targetE1EEEvSI_
	.p2align	8
	.type	_ZN7rocprim17ROCPRIM_400000_NS6detail17trampoline_kernelINS0_14default_configENS1_35radix_sort_onesweep_config_selectorIxNS0_10empty_typeEEEZNS1_34radix_sort_onesweep_global_offsetsIS3_Lb0EN6thrust23THRUST_200600_302600_NS6detail15normal_iteratorINS9_10device_ptrIxEEEEPS5_jNS0_19identity_decomposerEEE10hipError_tT1_T2_PT3_SK_jT4_jjP12ihipStream_tbEUlT_E0_NS1_11comp_targetILNS1_3genE3ELNS1_11target_archE908ELNS1_3gpuE7ELNS1_3repE0EEENS1_52radix_sort_onesweep_histogram_config_static_selectorELNS0_4arch9wavefront6targetE1EEEvSI_,@function
_ZN7rocprim17ROCPRIM_400000_NS6detail17trampoline_kernelINS0_14default_configENS1_35radix_sort_onesweep_config_selectorIxNS0_10empty_typeEEEZNS1_34radix_sort_onesweep_global_offsetsIS3_Lb0EN6thrust23THRUST_200600_302600_NS6detail15normal_iteratorINS9_10device_ptrIxEEEEPS5_jNS0_19identity_decomposerEEE10hipError_tT1_T2_PT3_SK_jT4_jjP12ihipStream_tbEUlT_E0_NS1_11comp_targetILNS1_3genE3ELNS1_11target_archE908ELNS1_3gpuE7ELNS1_3repE0EEENS1_52radix_sort_onesweep_histogram_config_static_selectorELNS0_4arch9wavefront6targetE1EEEvSI_: ; @_ZN7rocprim17ROCPRIM_400000_NS6detail17trampoline_kernelINS0_14default_configENS1_35radix_sort_onesweep_config_selectorIxNS0_10empty_typeEEEZNS1_34radix_sort_onesweep_global_offsetsIS3_Lb0EN6thrust23THRUST_200600_302600_NS6detail15normal_iteratorINS9_10device_ptrIxEEEEPS5_jNS0_19identity_decomposerEEE10hipError_tT1_T2_PT3_SK_jT4_jjP12ihipStream_tbEUlT_E0_NS1_11comp_targetILNS1_3genE3ELNS1_11target_archE908ELNS1_3gpuE7ELNS1_3repE0EEENS1_52radix_sort_onesweep_histogram_config_static_selectorELNS0_4arch9wavefront6targetE1EEEvSI_
; %bb.0:
	.section	.rodata,"a",@progbits
	.p2align	6, 0x0
	.amdhsa_kernel _ZN7rocprim17ROCPRIM_400000_NS6detail17trampoline_kernelINS0_14default_configENS1_35radix_sort_onesweep_config_selectorIxNS0_10empty_typeEEEZNS1_34radix_sort_onesweep_global_offsetsIS3_Lb0EN6thrust23THRUST_200600_302600_NS6detail15normal_iteratorINS9_10device_ptrIxEEEEPS5_jNS0_19identity_decomposerEEE10hipError_tT1_T2_PT3_SK_jT4_jjP12ihipStream_tbEUlT_E0_NS1_11comp_targetILNS1_3genE3ELNS1_11target_archE908ELNS1_3gpuE7ELNS1_3repE0EEENS1_52radix_sort_onesweep_histogram_config_static_selectorELNS0_4arch9wavefront6targetE1EEEvSI_
		.amdhsa_group_segment_fixed_size 0
		.amdhsa_private_segment_fixed_size 0
		.amdhsa_kernarg_size 8
		.amdhsa_user_sgpr_count 2
		.amdhsa_user_sgpr_dispatch_ptr 0
		.amdhsa_user_sgpr_queue_ptr 0
		.amdhsa_user_sgpr_kernarg_segment_ptr 1
		.amdhsa_user_sgpr_dispatch_id 0
		.amdhsa_user_sgpr_kernarg_preload_length 0
		.amdhsa_user_sgpr_kernarg_preload_offset 0
		.amdhsa_user_sgpr_private_segment_size 0
		.amdhsa_uses_dynamic_stack 0
		.amdhsa_enable_private_segment 0
		.amdhsa_system_sgpr_workgroup_id_x 1
		.amdhsa_system_sgpr_workgroup_id_y 0
		.amdhsa_system_sgpr_workgroup_id_z 0
		.amdhsa_system_sgpr_workgroup_info 0
		.amdhsa_system_vgpr_workitem_id 0
		.amdhsa_next_free_vgpr 1
		.amdhsa_next_free_sgpr 0
		.amdhsa_accum_offset 4
		.amdhsa_reserve_vcc 0
		.amdhsa_float_round_mode_32 0
		.amdhsa_float_round_mode_16_64 0
		.amdhsa_float_denorm_mode_32 3
		.amdhsa_float_denorm_mode_16_64 3
		.amdhsa_dx10_clamp 1
		.amdhsa_ieee_mode 1
		.amdhsa_fp16_overflow 0
		.amdhsa_tg_split 0
		.amdhsa_exception_fp_ieee_invalid_op 0
		.amdhsa_exception_fp_denorm_src 0
		.amdhsa_exception_fp_ieee_div_zero 0
		.amdhsa_exception_fp_ieee_overflow 0
		.amdhsa_exception_fp_ieee_underflow 0
		.amdhsa_exception_fp_ieee_inexact 0
		.amdhsa_exception_int_div_zero 0
	.end_amdhsa_kernel
	.section	.text._ZN7rocprim17ROCPRIM_400000_NS6detail17trampoline_kernelINS0_14default_configENS1_35radix_sort_onesweep_config_selectorIxNS0_10empty_typeEEEZNS1_34radix_sort_onesweep_global_offsetsIS3_Lb0EN6thrust23THRUST_200600_302600_NS6detail15normal_iteratorINS9_10device_ptrIxEEEEPS5_jNS0_19identity_decomposerEEE10hipError_tT1_T2_PT3_SK_jT4_jjP12ihipStream_tbEUlT_E0_NS1_11comp_targetILNS1_3genE3ELNS1_11target_archE908ELNS1_3gpuE7ELNS1_3repE0EEENS1_52radix_sort_onesweep_histogram_config_static_selectorELNS0_4arch9wavefront6targetE1EEEvSI_,"axG",@progbits,_ZN7rocprim17ROCPRIM_400000_NS6detail17trampoline_kernelINS0_14default_configENS1_35radix_sort_onesweep_config_selectorIxNS0_10empty_typeEEEZNS1_34radix_sort_onesweep_global_offsetsIS3_Lb0EN6thrust23THRUST_200600_302600_NS6detail15normal_iteratorINS9_10device_ptrIxEEEEPS5_jNS0_19identity_decomposerEEE10hipError_tT1_T2_PT3_SK_jT4_jjP12ihipStream_tbEUlT_E0_NS1_11comp_targetILNS1_3genE3ELNS1_11target_archE908ELNS1_3gpuE7ELNS1_3repE0EEENS1_52radix_sort_onesweep_histogram_config_static_selectorELNS0_4arch9wavefront6targetE1EEEvSI_,comdat
.Lfunc_end1529:
	.size	_ZN7rocprim17ROCPRIM_400000_NS6detail17trampoline_kernelINS0_14default_configENS1_35radix_sort_onesweep_config_selectorIxNS0_10empty_typeEEEZNS1_34radix_sort_onesweep_global_offsetsIS3_Lb0EN6thrust23THRUST_200600_302600_NS6detail15normal_iteratorINS9_10device_ptrIxEEEEPS5_jNS0_19identity_decomposerEEE10hipError_tT1_T2_PT3_SK_jT4_jjP12ihipStream_tbEUlT_E0_NS1_11comp_targetILNS1_3genE3ELNS1_11target_archE908ELNS1_3gpuE7ELNS1_3repE0EEENS1_52radix_sort_onesweep_histogram_config_static_selectorELNS0_4arch9wavefront6targetE1EEEvSI_, .Lfunc_end1529-_ZN7rocprim17ROCPRIM_400000_NS6detail17trampoline_kernelINS0_14default_configENS1_35radix_sort_onesweep_config_selectorIxNS0_10empty_typeEEEZNS1_34radix_sort_onesweep_global_offsetsIS3_Lb0EN6thrust23THRUST_200600_302600_NS6detail15normal_iteratorINS9_10device_ptrIxEEEEPS5_jNS0_19identity_decomposerEEE10hipError_tT1_T2_PT3_SK_jT4_jjP12ihipStream_tbEUlT_E0_NS1_11comp_targetILNS1_3genE3ELNS1_11target_archE908ELNS1_3gpuE7ELNS1_3repE0EEENS1_52radix_sort_onesweep_histogram_config_static_selectorELNS0_4arch9wavefront6targetE1EEEvSI_
                                        ; -- End function
	.section	.AMDGPU.csdata,"",@progbits
; Kernel info:
; codeLenInByte = 0
; NumSgprs: 6
; NumVgprs: 0
; NumAgprs: 0
; TotalNumVgprs: 0
; ScratchSize: 0
; MemoryBound: 0
; FloatMode: 240
; IeeeMode: 1
; LDSByteSize: 0 bytes/workgroup (compile time only)
; SGPRBlocks: 0
; VGPRBlocks: 0
; NumSGPRsForWavesPerEU: 6
; NumVGPRsForWavesPerEU: 1
; AccumOffset: 4
; Occupancy: 8
; WaveLimiterHint : 0
; COMPUTE_PGM_RSRC2:SCRATCH_EN: 0
; COMPUTE_PGM_RSRC2:USER_SGPR: 2
; COMPUTE_PGM_RSRC2:TRAP_HANDLER: 0
; COMPUTE_PGM_RSRC2:TGID_X_EN: 1
; COMPUTE_PGM_RSRC2:TGID_Y_EN: 0
; COMPUTE_PGM_RSRC2:TGID_Z_EN: 0
; COMPUTE_PGM_RSRC2:TIDIG_COMP_CNT: 0
; COMPUTE_PGM_RSRC3_GFX90A:ACCUM_OFFSET: 0
; COMPUTE_PGM_RSRC3_GFX90A:TG_SPLIT: 0
	.section	.text._ZN7rocprim17ROCPRIM_400000_NS6detail17trampoline_kernelINS0_14default_configENS1_35radix_sort_onesweep_config_selectorIxNS0_10empty_typeEEEZNS1_34radix_sort_onesweep_global_offsetsIS3_Lb0EN6thrust23THRUST_200600_302600_NS6detail15normal_iteratorINS9_10device_ptrIxEEEEPS5_jNS0_19identity_decomposerEEE10hipError_tT1_T2_PT3_SK_jT4_jjP12ihipStream_tbEUlT_E0_NS1_11comp_targetILNS1_3genE10ELNS1_11target_archE1201ELNS1_3gpuE5ELNS1_3repE0EEENS1_52radix_sort_onesweep_histogram_config_static_selectorELNS0_4arch9wavefront6targetE1EEEvSI_,"axG",@progbits,_ZN7rocprim17ROCPRIM_400000_NS6detail17trampoline_kernelINS0_14default_configENS1_35radix_sort_onesweep_config_selectorIxNS0_10empty_typeEEEZNS1_34radix_sort_onesweep_global_offsetsIS3_Lb0EN6thrust23THRUST_200600_302600_NS6detail15normal_iteratorINS9_10device_ptrIxEEEEPS5_jNS0_19identity_decomposerEEE10hipError_tT1_T2_PT3_SK_jT4_jjP12ihipStream_tbEUlT_E0_NS1_11comp_targetILNS1_3genE10ELNS1_11target_archE1201ELNS1_3gpuE5ELNS1_3repE0EEENS1_52radix_sort_onesweep_histogram_config_static_selectorELNS0_4arch9wavefront6targetE1EEEvSI_,comdat
	.protected	_ZN7rocprim17ROCPRIM_400000_NS6detail17trampoline_kernelINS0_14default_configENS1_35radix_sort_onesweep_config_selectorIxNS0_10empty_typeEEEZNS1_34radix_sort_onesweep_global_offsetsIS3_Lb0EN6thrust23THRUST_200600_302600_NS6detail15normal_iteratorINS9_10device_ptrIxEEEEPS5_jNS0_19identity_decomposerEEE10hipError_tT1_T2_PT3_SK_jT4_jjP12ihipStream_tbEUlT_E0_NS1_11comp_targetILNS1_3genE10ELNS1_11target_archE1201ELNS1_3gpuE5ELNS1_3repE0EEENS1_52radix_sort_onesweep_histogram_config_static_selectorELNS0_4arch9wavefront6targetE1EEEvSI_ ; -- Begin function _ZN7rocprim17ROCPRIM_400000_NS6detail17trampoline_kernelINS0_14default_configENS1_35radix_sort_onesweep_config_selectorIxNS0_10empty_typeEEEZNS1_34radix_sort_onesweep_global_offsetsIS3_Lb0EN6thrust23THRUST_200600_302600_NS6detail15normal_iteratorINS9_10device_ptrIxEEEEPS5_jNS0_19identity_decomposerEEE10hipError_tT1_T2_PT3_SK_jT4_jjP12ihipStream_tbEUlT_E0_NS1_11comp_targetILNS1_3genE10ELNS1_11target_archE1201ELNS1_3gpuE5ELNS1_3repE0EEENS1_52radix_sort_onesweep_histogram_config_static_selectorELNS0_4arch9wavefront6targetE1EEEvSI_
	.globl	_ZN7rocprim17ROCPRIM_400000_NS6detail17trampoline_kernelINS0_14default_configENS1_35radix_sort_onesweep_config_selectorIxNS0_10empty_typeEEEZNS1_34radix_sort_onesweep_global_offsetsIS3_Lb0EN6thrust23THRUST_200600_302600_NS6detail15normal_iteratorINS9_10device_ptrIxEEEEPS5_jNS0_19identity_decomposerEEE10hipError_tT1_T2_PT3_SK_jT4_jjP12ihipStream_tbEUlT_E0_NS1_11comp_targetILNS1_3genE10ELNS1_11target_archE1201ELNS1_3gpuE5ELNS1_3repE0EEENS1_52radix_sort_onesweep_histogram_config_static_selectorELNS0_4arch9wavefront6targetE1EEEvSI_
	.p2align	8
	.type	_ZN7rocprim17ROCPRIM_400000_NS6detail17trampoline_kernelINS0_14default_configENS1_35radix_sort_onesweep_config_selectorIxNS0_10empty_typeEEEZNS1_34radix_sort_onesweep_global_offsetsIS3_Lb0EN6thrust23THRUST_200600_302600_NS6detail15normal_iteratorINS9_10device_ptrIxEEEEPS5_jNS0_19identity_decomposerEEE10hipError_tT1_T2_PT3_SK_jT4_jjP12ihipStream_tbEUlT_E0_NS1_11comp_targetILNS1_3genE10ELNS1_11target_archE1201ELNS1_3gpuE5ELNS1_3repE0EEENS1_52radix_sort_onesweep_histogram_config_static_selectorELNS0_4arch9wavefront6targetE1EEEvSI_,@function
_ZN7rocprim17ROCPRIM_400000_NS6detail17trampoline_kernelINS0_14default_configENS1_35radix_sort_onesweep_config_selectorIxNS0_10empty_typeEEEZNS1_34radix_sort_onesweep_global_offsetsIS3_Lb0EN6thrust23THRUST_200600_302600_NS6detail15normal_iteratorINS9_10device_ptrIxEEEEPS5_jNS0_19identity_decomposerEEE10hipError_tT1_T2_PT3_SK_jT4_jjP12ihipStream_tbEUlT_E0_NS1_11comp_targetILNS1_3genE10ELNS1_11target_archE1201ELNS1_3gpuE5ELNS1_3repE0EEENS1_52radix_sort_onesweep_histogram_config_static_selectorELNS0_4arch9wavefront6targetE1EEEvSI_: ; @_ZN7rocprim17ROCPRIM_400000_NS6detail17trampoline_kernelINS0_14default_configENS1_35radix_sort_onesweep_config_selectorIxNS0_10empty_typeEEEZNS1_34radix_sort_onesweep_global_offsetsIS3_Lb0EN6thrust23THRUST_200600_302600_NS6detail15normal_iteratorINS9_10device_ptrIxEEEEPS5_jNS0_19identity_decomposerEEE10hipError_tT1_T2_PT3_SK_jT4_jjP12ihipStream_tbEUlT_E0_NS1_11comp_targetILNS1_3genE10ELNS1_11target_archE1201ELNS1_3gpuE5ELNS1_3repE0EEENS1_52radix_sort_onesweep_histogram_config_static_selectorELNS0_4arch9wavefront6targetE1EEEvSI_
; %bb.0:
	.section	.rodata,"a",@progbits
	.p2align	6, 0x0
	.amdhsa_kernel _ZN7rocprim17ROCPRIM_400000_NS6detail17trampoline_kernelINS0_14default_configENS1_35radix_sort_onesweep_config_selectorIxNS0_10empty_typeEEEZNS1_34radix_sort_onesweep_global_offsetsIS3_Lb0EN6thrust23THRUST_200600_302600_NS6detail15normal_iteratorINS9_10device_ptrIxEEEEPS5_jNS0_19identity_decomposerEEE10hipError_tT1_T2_PT3_SK_jT4_jjP12ihipStream_tbEUlT_E0_NS1_11comp_targetILNS1_3genE10ELNS1_11target_archE1201ELNS1_3gpuE5ELNS1_3repE0EEENS1_52radix_sort_onesweep_histogram_config_static_selectorELNS0_4arch9wavefront6targetE1EEEvSI_
		.amdhsa_group_segment_fixed_size 0
		.amdhsa_private_segment_fixed_size 0
		.amdhsa_kernarg_size 8
		.amdhsa_user_sgpr_count 2
		.amdhsa_user_sgpr_dispatch_ptr 0
		.amdhsa_user_sgpr_queue_ptr 0
		.amdhsa_user_sgpr_kernarg_segment_ptr 1
		.amdhsa_user_sgpr_dispatch_id 0
		.amdhsa_user_sgpr_kernarg_preload_length 0
		.amdhsa_user_sgpr_kernarg_preload_offset 0
		.amdhsa_user_sgpr_private_segment_size 0
		.amdhsa_uses_dynamic_stack 0
		.amdhsa_enable_private_segment 0
		.amdhsa_system_sgpr_workgroup_id_x 1
		.amdhsa_system_sgpr_workgroup_id_y 0
		.amdhsa_system_sgpr_workgroup_id_z 0
		.amdhsa_system_sgpr_workgroup_info 0
		.amdhsa_system_vgpr_workitem_id 0
		.amdhsa_next_free_vgpr 1
		.amdhsa_next_free_sgpr 0
		.amdhsa_accum_offset 4
		.amdhsa_reserve_vcc 0
		.amdhsa_float_round_mode_32 0
		.amdhsa_float_round_mode_16_64 0
		.amdhsa_float_denorm_mode_32 3
		.amdhsa_float_denorm_mode_16_64 3
		.amdhsa_dx10_clamp 1
		.amdhsa_ieee_mode 1
		.amdhsa_fp16_overflow 0
		.amdhsa_tg_split 0
		.amdhsa_exception_fp_ieee_invalid_op 0
		.amdhsa_exception_fp_denorm_src 0
		.amdhsa_exception_fp_ieee_div_zero 0
		.amdhsa_exception_fp_ieee_overflow 0
		.amdhsa_exception_fp_ieee_underflow 0
		.amdhsa_exception_fp_ieee_inexact 0
		.amdhsa_exception_int_div_zero 0
	.end_amdhsa_kernel
	.section	.text._ZN7rocprim17ROCPRIM_400000_NS6detail17trampoline_kernelINS0_14default_configENS1_35radix_sort_onesweep_config_selectorIxNS0_10empty_typeEEEZNS1_34radix_sort_onesweep_global_offsetsIS3_Lb0EN6thrust23THRUST_200600_302600_NS6detail15normal_iteratorINS9_10device_ptrIxEEEEPS5_jNS0_19identity_decomposerEEE10hipError_tT1_T2_PT3_SK_jT4_jjP12ihipStream_tbEUlT_E0_NS1_11comp_targetILNS1_3genE10ELNS1_11target_archE1201ELNS1_3gpuE5ELNS1_3repE0EEENS1_52radix_sort_onesweep_histogram_config_static_selectorELNS0_4arch9wavefront6targetE1EEEvSI_,"axG",@progbits,_ZN7rocprim17ROCPRIM_400000_NS6detail17trampoline_kernelINS0_14default_configENS1_35radix_sort_onesweep_config_selectorIxNS0_10empty_typeEEEZNS1_34radix_sort_onesweep_global_offsetsIS3_Lb0EN6thrust23THRUST_200600_302600_NS6detail15normal_iteratorINS9_10device_ptrIxEEEEPS5_jNS0_19identity_decomposerEEE10hipError_tT1_T2_PT3_SK_jT4_jjP12ihipStream_tbEUlT_E0_NS1_11comp_targetILNS1_3genE10ELNS1_11target_archE1201ELNS1_3gpuE5ELNS1_3repE0EEENS1_52radix_sort_onesweep_histogram_config_static_selectorELNS0_4arch9wavefront6targetE1EEEvSI_,comdat
.Lfunc_end1530:
	.size	_ZN7rocprim17ROCPRIM_400000_NS6detail17trampoline_kernelINS0_14default_configENS1_35radix_sort_onesweep_config_selectorIxNS0_10empty_typeEEEZNS1_34radix_sort_onesweep_global_offsetsIS3_Lb0EN6thrust23THRUST_200600_302600_NS6detail15normal_iteratorINS9_10device_ptrIxEEEEPS5_jNS0_19identity_decomposerEEE10hipError_tT1_T2_PT3_SK_jT4_jjP12ihipStream_tbEUlT_E0_NS1_11comp_targetILNS1_3genE10ELNS1_11target_archE1201ELNS1_3gpuE5ELNS1_3repE0EEENS1_52radix_sort_onesweep_histogram_config_static_selectorELNS0_4arch9wavefront6targetE1EEEvSI_, .Lfunc_end1530-_ZN7rocprim17ROCPRIM_400000_NS6detail17trampoline_kernelINS0_14default_configENS1_35radix_sort_onesweep_config_selectorIxNS0_10empty_typeEEEZNS1_34radix_sort_onesweep_global_offsetsIS3_Lb0EN6thrust23THRUST_200600_302600_NS6detail15normal_iteratorINS9_10device_ptrIxEEEEPS5_jNS0_19identity_decomposerEEE10hipError_tT1_T2_PT3_SK_jT4_jjP12ihipStream_tbEUlT_E0_NS1_11comp_targetILNS1_3genE10ELNS1_11target_archE1201ELNS1_3gpuE5ELNS1_3repE0EEENS1_52radix_sort_onesweep_histogram_config_static_selectorELNS0_4arch9wavefront6targetE1EEEvSI_
                                        ; -- End function
	.section	.AMDGPU.csdata,"",@progbits
; Kernel info:
; codeLenInByte = 0
; NumSgprs: 6
; NumVgprs: 0
; NumAgprs: 0
; TotalNumVgprs: 0
; ScratchSize: 0
; MemoryBound: 0
; FloatMode: 240
; IeeeMode: 1
; LDSByteSize: 0 bytes/workgroup (compile time only)
; SGPRBlocks: 0
; VGPRBlocks: 0
; NumSGPRsForWavesPerEU: 6
; NumVGPRsForWavesPerEU: 1
; AccumOffset: 4
; Occupancy: 8
; WaveLimiterHint : 0
; COMPUTE_PGM_RSRC2:SCRATCH_EN: 0
; COMPUTE_PGM_RSRC2:USER_SGPR: 2
; COMPUTE_PGM_RSRC2:TRAP_HANDLER: 0
; COMPUTE_PGM_RSRC2:TGID_X_EN: 1
; COMPUTE_PGM_RSRC2:TGID_Y_EN: 0
; COMPUTE_PGM_RSRC2:TGID_Z_EN: 0
; COMPUTE_PGM_RSRC2:TIDIG_COMP_CNT: 0
; COMPUTE_PGM_RSRC3_GFX90A:ACCUM_OFFSET: 0
; COMPUTE_PGM_RSRC3_GFX90A:TG_SPLIT: 0
	.section	.text._ZN7rocprim17ROCPRIM_400000_NS6detail17trampoline_kernelINS0_14default_configENS1_35radix_sort_onesweep_config_selectorIxNS0_10empty_typeEEEZNS1_34radix_sort_onesweep_global_offsetsIS3_Lb0EN6thrust23THRUST_200600_302600_NS6detail15normal_iteratorINS9_10device_ptrIxEEEEPS5_jNS0_19identity_decomposerEEE10hipError_tT1_T2_PT3_SK_jT4_jjP12ihipStream_tbEUlT_E0_NS1_11comp_targetILNS1_3genE9ELNS1_11target_archE1100ELNS1_3gpuE3ELNS1_3repE0EEENS1_52radix_sort_onesweep_histogram_config_static_selectorELNS0_4arch9wavefront6targetE1EEEvSI_,"axG",@progbits,_ZN7rocprim17ROCPRIM_400000_NS6detail17trampoline_kernelINS0_14default_configENS1_35radix_sort_onesweep_config_selectorIxNS0_10empty_typeEEEZNS1_34radix_sort_onesweep_global_offsetsIS3_Lb0EN6thrust23THRUST_200600_302600_NS6detail15normal_iteratorINS9_10device_ptrIxEEEEPS5_jNS0_19identity_decomposerEEE10hipError_tT1_T2_PT3_SK_jT4_jjP12ihipStream_tbEUlT_E0_NS1_11comp_targetILNS1_3genE9ELNS1_11target_archE1100ELNS1_3gpuE3ELNS1_3repE0EEENS1_52radix_sort_onesweep_histogram_config_static_selectorELNS0_4arch9wavefront6targetE1EEEvSI_,comdat
	.protected	_ZN7rocprim17ROCPRIM_400000_NS6detail17trampoline_kernelINS0_14default_configENS1_35radix_sort_onesweep_config_selectorIxNS0_10empty_typeEEEZNS1_34radix_sort_onesweep_global_offsetsIS3_Lb0EN6thrust23THRUST_200600_302600_NS6detail15normal_iteratorINS9_10device_ptrIxEEEEPS5_jNS0_19identity_decomposerEEE10hipError_tT1_T2_PT3_SK_jT4_jjP12ihipStream_tbEUlT_E0_NS1_11comp_targetILNS1_3genE9ELNS1_11target_archE1100ELNS1_3gpuE3ELNS1_3repE0EEENS1_52radix_sort_onesweep_histogram_config_static_selectorELNS0_4arch9wavefront6targetE1EEEvSI_ ; -- Begin function _ZN7rocprim17ROCPRIM_400000_NS6detail17trampoline_kernelINS0_14default_configENS1_35radix_sort_onesweep_config_selectorIxNS0_10empty_typeEEEZNS1_34radix_sort_onesweep_global_offsetsIS3_Lb0EN6thrust23THRUST_200600_302600_NS6detail15normal_iteratorINS9_10device_ptrIxEEEEPS5_jNS0_19identity_decomposerEEE10hipError_tT1_T2_PT3_SK_jT4_jjP12ihipStream_tbEUlT_E0_NS1_11comp_targetILNS1_3genE9ELNS1_11target_archE1100ELNS1_3gpuE3ELNS1_3repE0EEENS1_52radix_sort_onesweep_histogram_config_static_selectorELNS0_4arch9wavefront6targetE1EEEvSI_
	.globl	_ZN7rocprim17ROCPRIM_400000_NS6detail17trampoline_kernelINS0_14default_configENS1_35radix_sort_onesweep_config_selectorIxNS0_10empty_typeEEEZNS1_34radix_sort_onesweep_global_offsetsIS3_Lb0EN6thrust23THRUST_200600_302600_NS6detail15normal_iteratorINS9_10device_ptrIxEEEEPS5_jNS0_19identity_decomposerEEE10hipError_tT1_T2_PT3_SK_jT4_jjP12ihipStream_tbEUlT_E0_NS1_11comp_targetILNS1_3genE9ELNS1_11target_archE1100ELNS1_3gpuE3ELNS1_3repE0EEENS1_52radix_sort_onesweep_histogram_config_static_selectorELNS0_4arch9wavefront6targetE1EEEvSI_
	.p2align	8
	.type	_ZN7rocprim17ROCPRIM_400000_NS6detail17trampoline_kernelINS0_14default_configENS1_35radix_sort_onesweep_config_selectorIxNS0_10empty_typeEEEZNS1_34radix_sort_onesweep_global_offsetsIS3_Lb0EN6thrust23THRUST_200600_302600_NS6detail15normal_iteratorINS9_10device_ptrIxEEEEPS5_jNS0_19identity_decomposerEEE10hipError_tT1_T2_PT3_SK_jT4_jjP12ihipStream_tbEUlT_E0_NS1_11comp_targetILNS1_3genE9ELNS1_11target_archE1100ELNS1_3gpuE3ELNS1_3repE0EEENS1_52radix_sort_onesweep_histogram_config_static_selectorELNS0_4arch9wavefront6targetE1EEEvSI_,@function
_ZN7rocprim17ROCPRIM_400000_NS6detail17trampoline_kernelINS0_14default_configENS1_35radix_sort_onesweep_config_selectorIxNS0_10empty_typeEEEZNS1_34radix_sort_onesweep_global_offsetsIS3_Lb0EN6thrust23THRUST_200600_302600_NS6detail15normal_iteratorINS9_10device_ptrIxEEEEPS5_jNS0_19identity_decomposerEEE10hipError_tT1_T2_PT3_SK_jT4_jjP12ihipStream_tbEUlT_E0_NS1_11comp_targetILNS1_3genE9ELNS1_11target_archE1100ELNS1_3gpuE3ELNS1_3repE0EEENS1_52radix_sort_onesweep_histogram_config_static_selectorELNS0_4arch9wavefront6targetE1EEEvSI_: ; @_ZN7rocprim17ROCPRIM_400000_NS6detail17trampoline_kernelINS0_14default_configENS1_35radix_sort_onesweep_config_selectorIxNS0_10empty_typeEEEZNS1_34radix_sort_onesweep_global_offsetsIS3_Lb0EN6thrust23THRUST_200600_302600_NS6detail15normal_iteratorINS9_10device_ptrIxEEEEPS5_jNS0_19identity_decomposerEEE10hipError_tT1_T2_PT3_SK_jT4_jjP12ihipStream_tbEUlT_E0_NS1_11comp_targetILNS1_3genE9ELNS1_11target_archE1100ELNS1_3gpuE3ELNS1_3repE0EEENS1_52radix_sort_onesweep_histogram_config_static_selectorELNS0_4arch9wavefront6targetE1EEEvSI_
; %bb.0:
	.section	.rodata,"a",@progbits
	.p2align	6, 0x0
	.amdhsa_kernel _ZN7rocprim17ROCPRIM_400000_NS6detail17trampoline_kernelINS0_14default_configENS1_35radix_sort_onesweep_config_selectorIxNS0_10empty_typeEEEZNS1_34radix_sort_onesweep_global_offsetsIS3_Lb0EN6thrust23THRUST_200600_302600_NS6detail15normal_iteratorINS9_10device_ptrIxEEEEPS5_jNS0_19identity_decomposerEEE10hipError_tT1_T2_PT3_SK_jT4_jjP12ihipStream_tbEUlT_E0_NS1_11comp_targetILNS1_3genE9ELNS1_11target_archE1100ELNS1_3gpuE3ELNS1_3repE0EEENS1_52radix_sort_onesweep_histogram_config_static_selectorELNS0_4arch9wavefront6targetE1EEEvSI_
		.amdhsa_group_segment_fixed_size 0
		.amdhsa_private_segment_fixed_size 0
		.amdhsa_kernarg_size 8
		.amdhsa_user_sgpr_count 2
		.amdhsa_user_sgpr_dispatch_ptr 0
		.amdhsa_user_sgpr_queue_ptr 0
		.amdhsa_user_sgpr_kernarg_segment_ptr 1
		.amdhsa_user_sgpr_dispatch_id 0
		.amdhsa_user_sgpr_kernarg_preload_length 0
		.amdhsa_user_sgpr_kernarg_preload_offset 0
		.amdhsa_user_sgpr_private_segment_size 0
		.amdhsa_uses_dynamic_stack 0
		.amdhsa_enable_private_segment 0
		.amdhsa_system_sgpr_workgroup_id_x 1
		.amdhsa_system_sgpr_workgroup_id_y 0
		.amdhsa_system_sgpr_workgroup_id_z 0
		.amdhsa_system_sgpr_workgroup_info 0
		.amdhsa_system_vgpr_workitem_id 0
		.amdhsa_next_free_vgpr 1
		.amdhsa_next_free_sgpr 0
		.amdhsa_accum_offset 4
		.amdhsa_reserve_vcc 0
		.amdhsa_float_round_mode_32 0
		.amdhsa_float_round_mode_16_64 0
		.amdhsa_float_denorm_mode_32 3
		.amdhsa_float_denorm_mode_16_64 3
		.amdhsa_dx10_clamp 1
		.amdhsa_ieee_mode 1
		.amdhsa_fp16_overflow 0
		.amdhsa_tg_split 0
		.amdhsa_exception_fp_ieee_invalid_op 0
		.amdhsa_exception_fp_denorm_src 0
		.amdhsa_exception_fp_ieee_div_zero 0
		.amdhsa_exception_fp_ieee_overflow 0
		.amdhsa_exception_fp_ieee_underflow 0
		.amdhsa_exception_fp_ieee_inexact 0
		.amdhsa_exception_int_div_zero 0
	.end_amdhsa_kernel
	.section	.text._ZN7rocprim17ROCPRIM_400000_NS6detail17trampoline_kernelINS0_14default_configENS1_35radix_sort_onesweep_config_selectorIxNS0_10empty_typeEEEZNS1_34radix_sort_onesweep_global_offsetsIS3_Lb0EN6thrust23THRUST_200600_302600_NS6detail15normal_iteratorINS9_10device_ptrIxEEEEPS5_jNS0_19identity_decomposerEEE10hipError_tT1_T2_PT3_SK_jT4_jjP12ihipStream_tbEUlT_E0_NS1_11comp_targetILNS1_3genE9ELNS1_11target_archE1100ELNS1_3gpuE3ELNS1_3repE0EEENS1_52radix_sort_onesweep_histogram_config_static_selectorELNS0_4arch9wavefront6targetE1EEEvSI_,"axG",@progbits,_ZN7rocprim17ROCPRIM_400000_NS6detail17trampoline_kernelINS0_14default_configENS1_35radix_sort_onesweep_config_selectorIxNS0_10empty_typeEEEZNS1_34radix_sort_onesweep_global_offsetsIS3_Lb0EN6thrust23THRUST_200600_302600_NS6detail15normal_iteratorINS9_10device_ptrIxEEEEPS5_jNS0_19identity_decomposerEEE10hipError_tT1_T2_PT3_SK_jT4_jjP12ihipStream_tbEUlT_E0_NS1_11comp_targetILNS1_3genE9ELNS1_11target_archE1100ELNS1_3gpuE3ELNS1_3repE0EEENS1_52radix_sort_onesweep_histogram_config_static_selectorELNS0_4arch9wavefront6targetE1EEEvSI_,comdat
.Lfunc_end1531:
	.size	_ZN7rocprim17ROCPRIM_400000_NS6detail17trampoline_kernelINS0_14default_configENS1_35radix_sort_onesweep_config_selectorIxNS0_10empty_typeEEEZNS1_34radix_sort_onesweep_global_offsetsIS3_Lb0EN6thrust23THRUST_200600_302600_NS6detail15normal_iteratorINS9_10device_ptrIxEEEEPS5_jNS0_19identity_decomposerEEE10hipError_tT1_T2_PT3_SK_jT4_jjP12ihipStream_tbEUlT_E0_NS1_11comp_targetILNS1_3genE9ELNS1_11target_archE1100ELNS1_3gpuE3ELNS1_3repE0EEENS1_52radix_sort_onesweep_histogram_config_static_selectorELNS0_4arch9wavefront6targetE1EEEvSI_, .Lfunc_end1531-_ZN7rocprim17ROCPRIM_400000_NS6detail17trampoline_kernelINS0_14default_configENS1_35radix_sort_onesweep_config_selectorIxNS0_10empty_typeEEEZNS1_34radix_sort_onesweep_global_offsetsIS3_Lb0EN6thrust23THRUST_200600_302600_NS6detail15normal_iteratorINS9_10device_ptrIxEEEEPS5_jNS0_19identity_decomposerEEE10hipError_tT1_T2_PT3_SK_jT4_jjP12ihipStream_tbEUlT_E0_NS1_11comp_targetILNS1_3genE9ELNS1_11target_archE1100ELNS1_3gpuE3ELNS1_3repE0EEENS1_52radix_sort_onesweep_histogram_config_static_selectorELNS0_4arch9wavefront6targetE1EEEvSI_
                                        ; -- End function
	.section	.AMDGPU.csdata,"",@progbits
; Kernel info:
; codeLenInByte = 0
; NumSgprs: 6
; NumVgprs: 0
; NumAgprs: 0
; TotalNumVgprs: 0
; ScratchSize: 0
; MemoryBound: 0
; FloatMode: 240
; IeeeMode: 1
; LDSByteSize: 0 bytes/workgroup (compile time only)
; SGPRBlocks: 0
; VGPRBlocks: 0
; NumSGPRsForWavesPerEU: 6
; NumVGPRsForWavesPerEU: 1
; AccumOffset: 4
; Occupancy: 8
; WaveLimiterHint : 0
; COMPUTE_PGM_RSRC2:SCRATCH_EN: 0
; COMPUTE_PGM_RSRC2:USER_SGPR: 2
; COMPUTE_PGM_RSRC2:TRAP_HANDLER: 0
; COMPUTE_PGM_RSRC2:TGID_X_EN: 1
; COMPUTE_PGM_RSRC2:TGID_Y_EN: 0
; COMPUTE_PGM_RSRC2:TGID_Z_EN: 0
; COMPUTE_PGM_RSRC2:TIDIG_COMP_CNT: 0
; COMPUTE_PGM_RSRC3_GFX90A:ACCUM_OFFSET: 0
; COMPUTE_PGM_RSRC3_GFX90A:TG_SPLIT: 0
	.section	.text._ZN7rocprim17ROCPRIM_400000_NS6detail17trampoline_kernelINS0_14default_configENS1_35radix_sort_onesweep_config_selectorIxNS0_10empty_typeEEEZNS1_34radix_sort_onesweep_global_offsetsIS3_Lb0EN6thrust23THRUST_200600_302600_NS6detail15normal_iteratorINS9_10device_ptrIxEEEEPS5_jNS0_19identity_decomposerEEE10hipError_tT1_T2_PT3_SK_jT4_jjP12ihipStream_tbEUlT_E0_NS1_11comp_targetILNS1_3genE8ELNS1_11target_archE1030ELNS1_3gpuE2ELNS1_3repE0EEENS1_52radix_sort_onesweep_histogram_config_static_selectorELNS0_4arch9wavefront6targetE1EEEvSI_,"axG",@progbits,_ZN7rocprim17ROCPRIM_400000_NS6detail17trampoline_kernelINS0_14default_configENS1_35radix_sort_onesweep_config_selectorIxNS0_10empty_typeEEEZNS1_34radix_sort_onesweep_global_offsetsIS3_Lb0EN6thrust23THRUST_200600_302600_NS6detail15normal_iteratorINS9_10device_ptrIxEEEEPS5_jNS0_19identity_decomposerEEE10hipError_tT1_T2_PT3_SK_jT4_jjP12ihipStream_tbEUlT_E0_NS1_11comp_targetILNS1_3genE8ELNS1_11target_archE1030ELNS1_3gpuE2ELNS1_3repE0EEENS1_52radix_sort_onesweep_histogram_config_static_selectorELNS0_4arch9wavefront6targetE1EEEvSI_,comdat
	.protected	_ZN7rocprim17ROCPRIM_400000_NS6detail17trampoline_kernelINS0_14default_configENS1_35radix_sort_onesweep_config_selectorIxNS0_10empty_typeEEEZNS1_34radix_sort_onesweep_global_offsetsIS3_Lb0EN6thrust23THRUST_200600_302600_NS6detail15normal_iteratorINS9_10device_ptrIxEEEEPS5_jNS0_19identity_decomposerEEE10hipError_tT1_T2_PT3_SK_jT4_jjP12ihipStream_tbEUlT_E0_NS1_11comp_targetILNS1_3genE8ELNS1_11target_archE1030ELNS1_3gpuE2ELNS1_3repE0EEENS1_52radix_sort_onesweep_histogram_config_static_selectorELNS0_4arch9wavefront6targetE1EEEvSI_ ; -- Begin function _ZN7rocprim17ROCPRIM_400000_NS6detail17trampoline_kernelINS0_14default_configENS1_35radix_sort_onesweep_config_selectorIxNS0_10empty_typeEEEZNS1_34radix_sort_onesweep_global_offsetsIS3_Lb0EN6thrust23THRUST_200600_302600_NS6detail15normal_iteratorINS9_10device_ptrIxEEEEPS5_jNS0_19identity_decomposerEEE10hipError_tT1_T2_PT3_SK_jT4_jjP12ihipStream_tbEUlT_E0_NS1_11comp_targetILNS1_3genE8ELNS1_11target_archE1030ELNS1_3gpuE2ELNS1_3repE0EEENS1_52radix_sort_onesweep_histogram_config_static_selectorELNS0_4arch9wavefront6targetE1EEEvSI_
	.globl	_ZN7rocprim17ROCPRIM_400000_NS6detail17trampoline_kernelINS0_14default_configENS1_35radix_sort_onesweep_config_selectorIxNS0_10empty_typeEEEZNS1_34radix_sort_onesweep_global_offsetsIS3_Lb0EN6thrust23THRUST_200600_302600_NS6detail15normal_iteratorINS9_10device_ptrIxEEEEPS5_jNS0_19identity_decomposerEEE10hipError_tT1_T2_PT3_SK_jT4_jjP12ihipStream_tbEUlT_E0_NS1_11comp_targetILNS1_3genE8ELNS1_11target_archE1030ELNS1_3gpuE2ELNS1_3repE0EEENS1_52radix_sort_onesweep_histogram_config_static_selectorELNS0_4arch9wavefront6targetE1EEEvSI_
	.p2align	8
	.type	_ZN7rocprim17ROCPRIM_400000_NS6detail17trampoline_kernelINS0_14default_configENS1_35radix_sort_onesweep_config_selectorIxNS0_10empty_typeEEEZNS1_34radix_sort_onesweep_global_offsetsIS3_Lb0EN6thrust23THRUST_200600_302600_NS6detail15normal_iteratorINS9_10device_ptrIxEEEEPS5_jNS0_19identity_decomposerEEE10hipError_tT1_T2_PT3_SK_jT4_jjP12ihipStream_tbEUlT_E0_NS1_11comp_targetILNS1_3genE8ELNS1_11target_archE1030ELNS1_3gpuE2ELNS1_3repE0EEENS1_52radix_sort_onesweep_histogram_config_static_selectorELNS0_4arch9wavefront6targetE1EEEvSI_,@function
_ZN7rocprim17ROCPRIM_400000_NS6detail17trampoline_kernelINS0_14default_configENS1_35radix_sort_onesweep_config_selectorIxNS0_10empty_typeEEEZNS1_34radix_sort_onesweep_global_offsetsIS3_Lb0EN6thrust23THRUST_200600_302600_NS6detail15normal_iteratorINS9_10device_ptrIxEEEEPS5_jNS0_19identity_decomposerEEE10hipError_tT1_T2_PT3_SK_jT4_jjP12ihipStream_tbEUlT_E0_NS1_11comp_targetILNS1_3genE8ELNS1_11target_archE1030ELNS1_3gpuE2ELNS1_3repE0EEENS1_52radix_sort_onesweep_histogram_config_static_selectorELNS0_4arch9wavefront6targetE1EEEvSI_: ; @_ZN7rocprim17ROCPRIM_400000_NS6detail17trampoline_kernelINS0_14default_configENS1_35radix_sort_onesweep_config_selectorIxNS0_10empty_typeEEEZNS1_34radix_sort_onesweep_global_offsetsIS3_Lb0EN6thrust23THRUST_200600_302600_NS6detail15normal_iteratorINS9_10device_ptrIxEEEEPS5_jNS0_19identity_decomposerEEE10hipError_tT1_T2_PT3_SK_jT4_jjP12ihipStream_tbEUlT_E0_NS1_11comp_targetILNS1_3genE8ELNS1_11target_archE1030ELNS1_3gpuE2ELNS1_3repE0EEENS1_52radix_sort_onesweep_histogram_config_static_selectorELNS0_4arch9wavefront6targetE1EEEvSI_
; %bb.0:
	.section	.rodata,"a",@progbits
	.p2align	6, 0x0
	.amdhsa_kernel _ZN7rocprim17ROCPRIM_400000_NS6detail17trampoline_kernelINS0_14default_configENS1_35radix_sort_onesweep_config_selectorIxNS0_10empty_typeEEEZNS1_34radix_sort_onesweep_global_offsetsIS3_Lb0EN6thrust23THRUST_200600_302600_NS6detail15normal_iteratorINS9_10device_ptrIxEEEEPS5_jNS0_19identity_decomposerEEE10hipError_tT1_T2_PT3_SK_jT4_jjP12ihipStream_tbEUlT_E0_NS1_11comp_targetILNS1_3genE8ELNS1_11target_archE1030ELNS1_3gpuE2ELNS1_3repE0EEENS1_52radix_sort_onesweep_histogram_config_static_selectorELNS0_4arch9wavefront6targetE1EEEvSI_
		.amdhsa_group_segment_fixed_size 0
		.amdhsa_private_segment_fixed_size 0
		.amdhsa_kernarg_size 8
		.amdhsa_user_sgpr_count 2
		.amdhsa_user_sgpr_dispatch_ptr 0
		.amdhsa_user_sgpr_queue_ptr 0
		.amdhsa_user_sgpr_kernarg_segment_ptr 1
		.amdhsa_user_sgpr_dispatch_id 0
		.amdhsa_user_sgpr_kernarg_preload_length 0
		.amdhsa_user_sgpr_kernarg_preload_offset 0
		.amdhsa_user_sgpr_private_segment_size 0
		.amdhsa_uses_dynamic_stack 0
		.amdhsa_enable_private_segment 0
		.amdhsa_system_sgpr_workgroup_id_x 1
		.amdhsa_system_sgpr_workgroup_id_y 0
		.amdhsa_system_sgpr_workgroup_id_z 0
		.amdhsa_system_sgpr_workgroup_info 0
		.amdhsa_system_vgpr_workitem_id 0
		.amdhsa_next_free_vgpr 1
		.amdhsa_next_free_sgpr 0
		.amdhsa_accum_offset 4
		.amdhsa_reserve_vcc 0
		.amdhsa_float_round_mode_32 0
		.amdhsa_float_round_mode_16_64 0
		.amdhsa_float_denorm_mode_32 3
		.amdhsa_float_denorm_mode_16_64 3
		.amdhsa_dx10_clamp 1
		.amdhsa_ieee_mode 1
		.amdhsa_fp16_overflow 0
		.amdhsa_tg_split 0
		.amdhsa_exception_fp_ieee_invalid_op 0
		.amdhsa_exception_fp_denorm_src 0
		.amdhsa_exception_fp_ieee_div_zero 0
		.amdhsa_exception_fp_ieee_overflow 0
		.amdhsa_exception_fp_ieee_underflow 0
		.amdhsa_exception_fp_ieee_inexact 0
		.amdhsa_exception_int_div_zero 0
	.end_amdhsa_kernel
	.section	.text._ZN7rocprim17ROCPRIM_400000_NS6detail17trampoline_kernelINS0_14default_configENS1_35radix_sort_onesweep_config_selectorIxNS0_10empty_typeEEEZNS1_34radix_sort_onesweep_global_offsetsIS3_Lb0EN6thrust23THRUST_200600_302600_NS6detail15normal_iteratorINS9_10device_ptrIxEEEEPS5_jNS0_19identity_decomposerEEE10hipError_tT1_T2_PT3_SK_jT4_jjP12ihipStream_tbEUlT_E0_NS1_11comp_targetILNS1_3genE8ELNS1_11target_archE1030ELNS1_3gpuE2ELNS1_3repE0EEENS1_52radix_sort_onesweep_histogram_config_static_selectorELNS0_4arch9wavefront6targetE1EEEvSI_,"axG",@progbits,_ZN7rocprim17ROCPRIM_400000_NS6detail17trampoline_kernelINS0_14default_configENS1_35radix_sort_onesweep_config_selectorIxNS0_10empty_typeEEEZNS1_34radix_sort_onesweep_global_offsetsIS3_Lb0EN6thrust23THRUST_200600_302600_NS6detail15normal_iteratorINS9_10device_ptrIxEEEEPS5_jNS0_19identity_decomposerEEE10hipError_tT1_T2_PT3_SK_jT4_jjP12ihipStream_tbEUlT_E0_NS1_11comp_targetILNS1_3genE8ELNS1_11target_archE1030ELNS1_3gpuE2ELNS1_3repE0EEENS1_52radix_sort_onesweep_histogram_config_static_selectorELNS0_4arch9wavefront6targetE1EEEvSI_,comdat
.Lfunc_end1532:
	.size	_ZN7rocprim17ROCPRIM_400000_NS6detail17trampoline_kernelINS0_14default_configENS1_35radix_sort_onesweep_config_selectorIxNS0_10empty_typeEEEZNS1_34radix_sort_onesweep_global_offsetsIS3_Lb0EN6thrust23THRUST_200600_302600_NS6detail15normal_iteratorINS9_10device_ptrIxEEEEPS5_jNS0_19identity_decomposerEEE10hipError_tT1_T2_PT3_SK_jT4_jjP12ihipStream_tbEUlT_E0_NS1_11comp_targetILNS1_3genE8ELNS1_11target_archE1030ELNS1_3gpuE2ELNS1_3repE0EEENS1_52radix_sort_onesweep_histogram_config_static_selectorELNS0_4arch9wavefront6targetE1EEEvSI_, .Lfunc_end1532-_ZN7rocprim17ROCPRIM_400000_NS6detail17trampoline_kernelINS0_14default_configENS1_35radix_sort_onesweep_config_selectorIxNS0_10empty_typeEEEZNS1_34radix_sort_onesweep_global_offsetsIS3_Lb0EN6thrust23THRUST_200600_302600_NS6detail15normal_iteratorINS9_10device_ptrIxEEEEPS5_jNS0_19identity_decomposerEEE10hipError_tT1_T2_PT3_SK_jT4_jjP12ihipStream_tbEUlT_E0_NS1_11comp_targetILNS1_3genE8ELNS1_11target_archE1030ELNS1_3gpuE2ELNS1_3repE0EEENS1_52radix_sort_onesweep_histogram_config_static_selectorELNS0_4arch9wavefront6targetE1EEEvSI_
                                        ; -- End function
	.section	.AMDGPU.csdata,"",@progbits
; Kernel info:
; codeLenInByte = 0
; NumSgprs: 6
; NumVgprs: 0
; NumAgprs: 0
; TotalNumVgprs: 0
; ScratchSize: 0
; MemoryBound: 0
; FloatMode: 240
; IeeeMode: 1
; LDSByteSize: 0 bytes/workgroup (compile time only)
; SGPRBlocks: 0
; VGPRBlocks: 0
; NumSGPRsForWavesPerEU: 6
; NumVGPRsForWavesPerEU: 1
; AccumOffset: 4
; Occupancy: 8
; WaveLimiterHint : 0
; COMPUTE_PGM_RSRC2:SCRATCH_EN: 0
; COMPUTE_PGM_RSRC2:USER_SGPR: 2
; COMPUTE_PGM_RSRC2:TRAP_HANDLER: 0
; COMPUTE_PGM_RSRC2:TGID_X_EN: 1
; COMPUTE_PGM_RSRC2:TGID_Y_EN: 0
; COMPUTE_PGM_RSRC2:TGID_Z_EN: 0
; COMPUTE_PGM_RSRC2:TIDIG_COMP_CNT: 0
; COMPUTE_PGM_RSRC3_GFX90A:ACCUM_OFFSET: 0
; COMPUTE_PGM_RSRC3_GFX90A:TG_SPLIT: 0
	.section	.text._ZN7rocprim17ROCPRIM_400000_NS6detail17trampoline_kernelINS0_14default_configENS1_25transform_config_selectorIxLb0EEEZNS1_14transform_implILb0ES3_S5_N6thrust23THRUST_200600_302600_NS6detail15normal_iteratorINS8_10device_ptrIxEEEEPxNS0_8identityIxEEEE10hipError_tT2_T3_mT4_P12ihipStream_tbEUlT_E_NS1_11comp_targetILNS1_3genE0ELNS1_11target_archE4294967295ELNS1_3gpuE0ELNS1_3repE0EEENS1_30default_config_static_selectorELNS0_4arch9wavefront6targetE1EEEvT1_,"axG",@progbits,_ZN7rocprim17ROCPRIM_400000_NS6detail17trampoline_kernelINS0_14default_configENS1_25transform_config_selectorIxLb0EEEZNS1_14transform_implILb0ES3_S5_N6thrust23THRUST_200600_302600_NS6detail15normal_iteratorINS8_10device_ptrIxEEEEPxNS0_8identityIxEEEE10hipError_tT2_T3_mT4_P12ihipStream_tbEUlT_E_NS1_11comp_targetILNS1_3genE0ELNS1_11target_archE4294967295ELNS1_3gpuE0ELNS1_3repE0EEENS1_30default_config_static_selectorELNS0_4arch9wavefront6targetE1EEEvT1_,comdat
	.protected	_ZN7rocprim17ROCPRIM_400000_NS6detail17trampoline_kernelINS0_14default_configENS1_25transform_config_selectorIxLb0EEEZNS1_14transform_implILb0ES3_S5_N6thrust23THRUST_200600_302600_NS6detail15normal_iteratorINS8_10device_ptrIxEEEEPxNS0_8identityIxEEEE10hipError_tT2_T3_mT4_P12ihipStream_tbEUlT_E_NS1_11comp_targetILNS1_3genE0ELNS1_11target_archE4294967295ELNS1_3gpuE0ELNS1_3repE0EEENS1_30default_config_static_selectorELNS0_4arch9wavefront6targetE1EEEvT1_ ; -- Begin function _ZN7rocprim17ROCPRIM_400000_NS6detail17trampoline_kernelINS0_14default_configENS1_25transform_config_selectorIxLb0EEEZNS1_14transform_implILb0ES3_S5_N6thrust23THRUST_200600_302600_NS6detail15normal_iteratorINS8_10device_ptrIxEEEEPxNS0_8identityIxEEEE10hipError_tT2_T3_mT4_P12ihipStream_tbEUlT_E_NS1_11comp_targetILNS1_3genE0ELNS1_11target_archE4294967295ELNS1_3gpuE0ELNS1_3repE0EEENS1_30default_config_static_selectorELNS0_4arch9wavefront6targetE1EEEvT1_
	.globl	_ZN7rocprim17ROCPRIM_400000_NS6detail17trampoline_kernelINS0_14default_configENS1_25transform_config_selectorIxLb0EEEZNS1_14transform_implILb0ES3_S5_N6thrust23THRUST_200600_302600_NS6detail15normal_iteratorINS8_10device_ptrIxEEEEPxNS0_8identityIxEEEE10hipError_tT2_T3_mT4_P12ihipStream_tbEUlT_E_NS1_11comp_targetILNS1_3genE0ELNS1_11target_archE4294967295ELNS1_3gpuE0ELNS1_3repE0EEENS1_30default_config_static_selectorELNS0_4arch9wavefront6targetE1EEEvT1_
	.p2align	8
	.type	_ZN7rocprim17ROCPRIM_400000_NS6detail17trampoline_kernelINS0_14default_configENS1_25transform_config_selectorIxLb0EEEZNS1_14transform_implILb0ES3_S5_N6thrust23THRUST_200600_302600_NS6detail15normal_iteratorINS8_10device_ptrIxEEEEPxNS0_8identityIxEEEE10hipError_tT2_T3_mT4_P12ihipStream_tbEUlT_E_NS1_11comp_targetILNS1_3genE0ELNS1_11target_archE4294967295ELNS1_3gpuE0ELNS1_3repE0EEENS1_30default_config_static_selectorELNS0_4arch9wavefront6targetE1EEEvT1_,@function
_ZN7rocprim17ROCPRIM_400000_NS6detail17trampoline_kernelINS0_14default_configENS1_25transform_config_selectorIxLb0EEEZNS1_14transform_implILb0ES3_S5_N6thrust23THRUST_200600_302600_NS6detail15normal_iteratorINS8_10device_ptrIxEEEEPxNS0_8identityIxEEEE10hipError_tT2_T3_mT4_P12ihipStream_tbEUlT_E_NS1_11comp_targetILNS1_3genE0ELNS1_11target_archE4294967295ELNS1_3gpuE0ELNS1_3repE0EEENS1_30default_config_static_selectorELNS0_4arch9wavefront6targetE1EEEvT1_: ; @_ZN7rocprim17ROCPRIM_400000_NS6detail17trampoline_kernelINS0_14default_configENS1_25transform_config_selectorIxLb0EEEZNS1_14transform_implILb0ES3_S5_N6thrust23THRUST_200600_302600_NS6detail15normal_iteratorINS8_10device_ptrIxEEEEPxNS0_8identityIxEEEE10hipError_tT2_T3_mT4_P12ihipStream_tbEUlT_E_NS1_11comp_targetILNS1_3genE0ELNS1_11target_archE4294967295ELNS1_3gpuE0ELNS1_3repE0EEENS1_30default_config_static_selectorELNS0_4arch9wavefront6targetE1EEEvT1_
; %bb.0:
	.section	.rodata,"a",@progbits
	.p2align	6, 0x0
	.amdhsa_kernel _ZN7rocprim17ROCPRIM_400000_NS6detail17trampoline_kernelINS0_14default_configENS1_25transform_config_selectorIxLb0EEEZNS1_14transform_implILb0ES3_S5_N6thrust23THRUST_200600_302600_NS6detail15normal_iteratorINS8_10device_ptrIxEEEEPxNS0_8identityIxEEEE10hipError_tT2_T3_mT4_P12ihipStream_tbEUlT_E_NS1_11comp_targetILNS1_3genE0ELNS1_11target_archE4294967295ELNS1_3gpuE0ELNS1_3repE0EEENS1_30default_config_static_selectorELNS0_4arch9wavefront6targetE1EEEvT1_
		.amdhsa_group_segment_fixed_size 0
		.amdhsa_private_segment_fixed_size 0
		.amdhsa_kernarg_size 40
		.amdhsa_user_sgpr_count 2
		.amdhsa_user_sgpr_dispatch_ptr 0
		.amdhsa_user_sgpr_queue_ptr 0
		.amdhsa_user_sgpr_kernarg_segment_ptr 1
		.amdhsa_user_sgpr_dispatch_id 0
		.amdhsa_user_sgpr_kernarg_preload_length 0
		.amdhsa_user_sgpr_kernarg_preload_offset 0
		.amdhsa_user_sgpr_private_segment_size 0
		.amdhsa_uses_dynamic_stack 0
		.amdhsa_enable_private_segment 0
		.amdhsa_system_sgpr_workgroup_id_x 1
		.amdhsa_system_sgpr_workgroup_id_y 0
		.amdhsa_system_sgpr_workgroup_id_z 0
		.amdhsa_system_sgpr_workgroup_info 0
		.amdhsa_system_vgpr_workitem_id 0
		.amdhsa_next_free_vgpr 1
		.amdhsa_next_free_sgpr 0
		.amdhsa_accum_offset 4
		.amdhsa_reserve_vcc 0
		.amdhsa_float_round_mode_32 0
		.amdhsa_float_round_mode_16_64 0
		.amdhsa_float_denorm_mode_32 3
		.amdhsa_float_denorm_mode_16_64 3
		.amdhsa_dx10_clamp 1
		.amdhsa_ieee_mode 1
		.amdhsa_fp16_overflow 0
		.amdhsa_tg_split 0
		.amdhsa_exception_fp_ieee_invalid_op 0
		.amdhsa_exception_fp_denorm_src 0
		.amdhsa_exception_fp_ieee_div_zero 0
		.amdhsa_exception_fp_ieee_overflow 0
		.amdhsa_exception_fp_ieee_underflow 0
		.amdhsa_exception_fp_ieee_inexact 0
		.amdhsa_exception_int_div_zero 0
	.end_amdhsa_kernel
	.section	.text._ZN7rocprim17ROCPRIM_400000_NS6detail17trampoline_kernelINS0_14default_configENS1_25transform_config_selectorIxLb0EEEZNS1_14transform_implILb0ES3_S5_N6thrust23THRUST_200600_302600_NS6detail15normal_iteratorINS8_10device_ptrIxEEEEPxNS0_8identityIxEEEE10hipError_tT2_T3_mT4_P12ihipStream_tbEUlT_E_NS1_11comp_targetILNS1_3genE0ELNS1_11target_archE4294967295ELNS1_3gpuE0ELNS1_3repE0EEENS1_30default_config_static_selectorELNS0_4arch9wavefront6targetE1EEEvT1_,"axG",@progbits,_ZN7rocprim17ROCPRIM_400000_NS6detail17trampoline_kernelINS0_14default_configENS1_25transform_config_selectorIxLb0EEEZNS1_14transform_implILb0ES3_S5_N6thrust23THRUST_200600_302600_NS6detail15normal_iteratorINS8_10device_ptrIxEEEEPxNS0_8identityIxEEEE10hipError_tT2_T3_mT4_P12ihipStream_tbEUlT_E_NS1_11comp_targetILNS1_3genE0ELNS1_11target_archE4294967295ELNS1_3gpuE0ELNS1_3repE0EEENS1_30default_config_static_selectorELNS0_4arch9wavefront6targetE1EEEvT1_,comdat
.Lfunc_end1533:
	.size	_ZN7rocprim17ROCPRIM_400000_NS6detail17trampoline_kernelINS0_14default_configENS1_25transform_config_selectorIxLb0EEEZNS1_14transform_implILb0ES3_S5_N6thrust23THRUST_200600_302600_NS6detail15normal_iteratorINS8_10device_ptrIxEEEEPxNS0_8identityIxEEEE10hipError_tT2_T3_mT4_P12ihipStream_tbEUlT_E_NS1_11comp_targetILNS1_3genE0ELNS1_11target_archE4294967295ELNS1_3gpuE0ELNS1_3repE0EEENS1_30default_config_static_selectorELNS0_4arch9wavefront6targetE1EEEvT1_, .Lfunc_end1533-_ZN7rocprim17ROCPRIM_400000_NS6detail17trampoline_kernelINS0_14default_configENS1_25transform_config_selectorIxLb0EEEZNS1_14transform_implILb0ES3_S5_N6thrust23THRUST_200600_302600_NS6detail15normal_iteratorINS8_10device_ptrIxEEEEPxNS0_8identityIxEEEE10hipError_tT2_T3_mT4_P12ihipStream_tbEUlT_E_NS1_11comp_targetILNS1_3genE0ELNS1_11target_archE4294967295ELNS1_3gpuE0ELNS1_3repE0EEENS1_30default_config_static_selectorELNS0_4arch9wavefront6targetE1EEEvT1_
                                        ; -- End function
	.section	.AMDGPU.csdata,"",@progbits
; Kernel info:
; codeLenInByte = 0
; NumSgprs: 6
; NumVgprs: 0
; NumAgprs: 0
; TotalNumVgprs: 0
; ScratchSize: 0
; MemoryBound: 0
; FloatMode: 240
; IeeeMode: 1
; LDSByteSize: 0 bytes/workgroup (compile time only)
; SGPRBlocks: 0
; VGPRBlocks: 0
; NumSGPRsForWavesPerEU: 6
; NumVGPRsForWavesPerEU: 1
; AccumOffset: 4
; Occupancy: 8
; WaveLimiterHint : 0
; COMPUTE_PGM_RSRC2:SCRATCH_EN: 0
; COMPUTE_PGM_RSRC2:USER_SGPR: 2
; COMPUTE_PGM_RSRC2:TRAP_HANDLER: 0
; COMPUTE_PGM_RSRC2:TGID_X_EN: 1
; COMPUTE_PGM_RSRC2:TGID_Y_EN: 0
; COMPUTE_PGM_RSRC2:TGID_Z_EN: 0
; COMPUTE_PGM_RSRC2:TIDIG_COMP_CNT: 0
; COMPUTE_PGM_RSRC3_GFX90A:ACCUM_OFFSET: 0
; COMPUTE_PGM_RSRC3_GFX90A:TG_SPLIT: 0
	.section	.text._ZN7rocprim17ROCPRIM_400000_NS6detail17trampoline_kernelINS0_14default_configENS1_25transform_config_selectorIxLb0EEEZNS1_14transform_implILb0ES3_S5_N6thrust23THRUST_200600_302600_NS6detail15normal_iteratorINS8_10device_ptrIxEEEEPxNS0_8identityIxEEEE10hipError_tT2_T3_mT4_P12ihipStream_tbEUlT_E_NS1_11comp_targetILNS1_3genE5ELNS1_11target_archE942ELNS1_3gpuE9ELNS1_3repE0EEENS1_30default_config_static_selectorELNS0_4arch9wavefront6targetE1EEEvT1_,"axG",@progbits,_ZN7rocprim17ROCPRIM_400000_NS6detail17trampoline_kernelINS0_14default_configENS1_25transform_config_selectorIxLb0EEEZNS1_14transform_implILb0ES3_S5_N6thrust23THRUST_200600_302600_NS6detail15normal_iteratorINS8_10device_ptrIxEEEEPxNS0_8identityIxEEEE10hipError_tT2_T3_mT4_P12ihipStream_tbEUlT_E_NS1_11comp_targetILNS1_3genE5ELNS1_11target_archE942ELNS1_3gpuE9ELNS1_3repE0EEENS1_30default_config_static_selectorELNS0_4arch9wavefront6targetE1EEEvT1_,comdat
	.protected	_ZN7rocprim17ROCPRIM_400000_NS6detail17trampoline_kernelINS0_14default_configENS1_25transform_config_selectorIxLb0EEEZNS1_14transform_implILb0ES3_S5_N6thrust23THRUST_200600_302600_NS6detail15normal_iteratorINS8_10device_ptrIxEEEEPxNS0_8identityIxEEEE10hipError_tT2_T3_mT4_P12ihipStream_tbEUlT_E_NS1_11comp_targetILNS1_3genE5ELNS1_11target_archE942ELNS1_3gpuE9ELNS1_3repE0EEENS1_30default_config_static_selectorELNS0_4arch9wavefront6targetE1EEEvT1_ ; -- Begin function _ZN7rocprim17ROCPRIM_400000_NS6detail17trampoline_kernelINS0_14default_configENS1_25transform_config_selectorIxLb0EEEZNS1_14transform_implILb0ES3_S5_N6thrust23THRUST_200600_302600_NS6detail15normal_iteratorINS8_10device_ptrIxEEEEPxNS0_8identityIxEEEE10hipError_tT2_T3_mT4_P12ihipStream_tbEUlT_E_NS1_11comp_targetILNS1_3genE5ELNS1_11target_archE942ELNS1_3gpuE9ELNS1_3repE0EEENS1_30default_config_static_selectorELNS0_4arch9wavefront6targetE1EEEvT1_
	.globl	_ZN7rocprim17ROCPRIM_400000_NS6detail17trampoline_kernelINS0_14default_configENS1_25transform_config_selectorIxLb0EEEZNS1_14transform_implILb0ES3_S5_N6thrust23THRUST_200600_302600_NS6detail15normal_iteratorINS8_10device_ptrIxEEEEPxNS0_8identityIxEEEE10hipError_tT2_T3_mT4_P12ihipStream_tbEUlT_E_NS1_11comp_targetILNS1_3genE5ELNS1_11target_archE942ELNS1_3gpuE9ELNS1_3repE0EEENS1_30default_config_static_selectorELNS0_4arch9wavefront6targetE1EEEvT1_
	.p2align	8
	.type	_ZN7rocprim17ROCPRIM_400000_NS6detail17trampoline_kernelINS0_14default_configENS1_25transform_config_selectorIxLb0EEEZNS1_14transform_implILb0ES3_S5_N6thrust23THRUST_200600_302600_NS6detail15normal_iteratorINS8_10device_ptrIxEEEEPxNS0_8identityIxEEEE10hipError_tT2_T3_mT4_P12ihipStream_tbEUlT_E_NS1_11comp_targetILNS1_3genE5ELNS1_11target_archE942ELNS1_3gpuE9ELNS1_3repE0EEENS1_30default_config_static_selectorELNS0_4arch9wavefront6targetE1EEEvT1_,@function
_ZN7rocprim17ROCPRIM_400000_NS6detail17trampoline_kernelINS0_14default_configENS1_25transform_config_selectorIxLb0EEEZNS1_14transform_implILb0ES3_S5_N6thrust23THRUST_200600_302600_NS6detail15normal_iteratorINS8_10device_ptrIxEEEEPxNS0_8identityIxEEEE10hipError_tT2_T3_mT4_P12ihipStream_tbEUlT_E_NS1_11comp_targetILNS1_3genE5ELNS1_11target_archE942ELNS1_3gpuE9ELNS1_3repE0EEENS1_30default_config_static_selectorELNS0_4arch9wavefront6targetE1EEEvT1_: ; @_ZN7rocprim17ROCPRIM_400000_NS6detail17trampoline_kernelINS0_14default_configENS1_25transform_config_selectorIxLb0EEEZNS1_14transform_implILb0ES3_S5_N6thrust23THRUST_200600_302600_NS6detail15normal_iteratorINS8_10device_ptrIxEEEEPxNS0_8identityIxEEEE10hipError_tT2_T3_mT4_P12ihipStream_tbEUlT_E_NS1_11comp_targetILNS1_3genE5ELNS1_11target_archE942ELNS1_3gpuE9ELNS1_3repE0EEENS1_30default_config_static_selectorELNS0_4arch9wavefront6targetE1EEEvT1_
; %bb.0:
	s_load_dwordx8 s[4:11], s[0:1], 0x0
	s_load_dword s3, s[0:1], 0x28
	v_lshlrev_b32_e32 v6, 3, v0
	s_waitcnt lgkmcnt(0)
	s_lshl_b64 s[0:1], s[6:7], 3
	s_add_u32 s6, s4, s0
	s_addc_u32 s7, s5, s1
	s_add_u32 s12, s10, s0
	s_addc_u32 s13, s11, s1
	s_lshl_b32 s0, s2, 10
	s_mov_b32 s1, 0
	s_add_i32 s3, s3, -1
	s_lshl_b64 s[4:5], s[0:1], 3
	s_add_u32 s6, s6, s4
	s_addc_u32 s7, s7, s5
	s_cmp_lg_u32 s2, s3
	s_cbranch_scc0 .LBB1534_2
; %bb.1:
	v_mov_b32_e32 v7, 0
	v_lshl_add_u64 v[2:3], s[6:7], 0, v[6:7]
	flat_load_dwordx2 v[10:11], v[2:3]
	v_add_co_u32_e32 v2, vcc, 0x1000, v2
	s_add_u32 s2, s12, s4
	s_nop 0
	v_addc_co_u32_e32 v3, vcc, 0, v3, vcc
	flat_load_dwordx2 v[4:5], v[2:3]
	s_addc_u32 s3, s13, s5
	v_lshl_add_u64 v[8:9], s[2:3], 0, v[6:7]
	s_waitcnt vmcnt(0) lgkmcnt(0)
	global_store_dwordx2 v6, v[10:11], s[2:3]
	s_mov_b64 s[2:3], -1
	s_cbranch_execz .LBB1534_3
	s_branch .LBB1534_12
.LBB1534_2:
	s_mov_b64 s[2:3], 0
                                        ; implicit-def: $vgpr4_vgpr5
                                        ; implicit-def: $vgpr8_vgpr9
.LBB1534_3:
	s_sub_i32 s8, s8, s0
	v_cmp_gt_u32_e32 vcc, s8, v0
                                        ; implicit-def: $vgpr2_vgpr3_vgpr4_vgpr5
	s_and_saveexec_b64 s[0:1], vcc
	s_cbranch_execz .LBB1534_5
; %bb.4:
	v_mov_b32_e32 v7, 0
	v_lshl_add_u64 v[2:3], s[6:7], 0, v[6:7]
	flat_load_dwordx2 v[2:3], v[2:3]
.LBB1534_5:
	s_or_b64 exec, exec, s[0:1]
	v_or_b32_e32 v0, 0x200, v0
	v_cmp_gt_u32_e64 s[0:1], s8, v0
	s_and_saveexec_b64 s[8:9], s[0:1]
	s_cbranch_execz .LBB1534_7
; %bb.6:
	v_lshlrev_b32_e32 v0, 3, v0
	v_mov_b32_e32 v1, 0
	v_lshl_add_u64 v[0:1], s[6:7], 0, v[0:1]
	flat_load_dwordx2 v[4:5], v[0:1]
.LBB1534_7:
	s_or_b64 exec, exec, s[8:9]
	s_add_u32 s4, s12, s4
	s_addc_u32 s5, s13, s5
	v_mov_b32_e32 v7, 0
	v_lshl_add_u64 v[8:9], s[4:5], 0, v[6:7]
	s_and_saveexec_b64 s[4:5], vcc
	s_cbranch_execz .LBB1534_9
; %bb.8:
	s_waitcnt vmcnt(0) lgkmcnt(0)
	global_store_dwordx2 v[8:9], v[2:3], off
.LBB1534_9:
	s_or_b64 exec, exec, s[4:5]
	s_and_saveexec_b64 s[4:5], s[0:1]
; %bb.10:
	s_or_b64 s[2:3], s[2:3], exec
; %bb.11:
	s_or_b64 exec, exec, s[4:5]
.LBB1534_12:
	s_and_saveexec_b64 s[0:1], s[2:3]
	s_cbranch_execnz .LBB1534_14
; %bb.13:
	s_endpgm
.LBB1534_14:
	v_add_co_u32_e32 v0, vcc, 0x1000, v8
	s_nop 1
	v_addc_co_u32_e32 v1, vcc, 0, v9, vcc
	s_waitcnt vmcnt(0) lgkmcnt(0)
	global_store_dwordx2 v[0:1], v[4:5], off
	s_endpgm
	.section	.rodata,"a",@progbits
	.p2align	6, 0x0
	.amdhsa_kernel _ZN7rocprim17ROCPRIM_400000_NS6detail17trampoline_kernelINS0_14default_configENS1_25transform_config_selectorIxLb0EEEZNS1_14transform_implILb0ES3_S5_N6thrust23THRUST_200600_302600_NS6detail15normal_iteratorINS8_10device_ptrIxEEEEPxNS0_8identityIxEEEE10hipError_tT2_T3_mT4_P12ihipStream_tbEUlT_E_NS1_11comp_targetILNS1_3genE5ELNS1_11target_archE942ELNS1_3gpuE9ELNS1_3repE0EEENS1_30default_config_static_selectorELNS0_4arch9wavefront6targetE1EEEvT1_
		.amdhsa_group_segment_fixed_size 0
		.amdhsa_private_segment_fixed_size 0
		.amdhsa_kernarg_size 296
		.amdhsa_user_sgpr_count 2
		.amdhsa_user_sgpr_dispatch_ptr 0
		.amdhsa_user_sgpr_queue_ptr 0
		.amdhsa_user_sgpr_kernarg_segment_ptr 1
		.amdhsa_user_sgpr_dispatch_id 0
		.amdhsa_user_sgpr_kernarg_preload_length 0
		.amdhsa_user_sgpr_kernarg_preload_offset 0
		.amdhsa_user_sgpr_private_segment_size 0
		.amdhsa_uses_dynamic_stack 0
		.amdhsa_enable_private_segment 0
		.amdhsa_system_sgpr_workgroup_id_x 1
		.amdhsa_system_sgpr_workgroup_id_y 0
		.amdhsa_system_sgpr_workgroup_id_z 0
		.amdhsa_system_sgpr_workgroup_info 0
		.amdhsa_system_vgpr_workitem_id 0
		.amdhsa_next_free_vgpr 12
		.amdhsa_next_free_sgpr 14
		.amdhsa_accum_offset 12
		.amdhsa_reserve_vcc 1
		.amdhsa_float_round_mode_32 0
		.amdhsa_float_round_mode_16_64 0
		.amdhsa_float_denorm_mode_32 3
		.amdhsa_float_denorm_mode_16_64 3
		.amdhsa_dx10_clamp 1
		.amdhsa_ieee_mode 1
		.amdhsa_fp16_overflow 0
		.amdhsa_tg_split 0
		.amdhsa_exception_fp_ieee_invalid_op 0
		.amdhsa_exception_fp_denorm_src 0
		.amdhsa_exception_fp_ieee_div_zero 0
		.amdhsa_exception_fp_ieee_overflow 0
		.amdhsa_exception_fp_ieee_underflow 0
		.amdhsa_exception_fp_ieee_inexact 0
		.amdhsa_exception_int_div_zero 0
	.end_amdhsa_kernel
	.section	.text._ZN7rocprim17ROCPRIM_400000_NS6detail17trampoline_kernelINS0_14default_configENS1_25transform_config_selectorIxLb0EEEZNS1_14transform_implILb0ES3_S5_N6thrust23THRUST_200600_302600_NS6detail15normal_iteratorINS8_10device_ptrIxEEEEPxNS0_8identityIxEEEE10hipError_tT2_T3_mT4_P12ihipStream_tbEUlT_E_NS1_11comp_targetILNS1_3genE5ELNS1_11target_archE942ELNS1_3gpuE9ELNS1_3repE0EEENS1_30default_config_static_selectorELNS0_4arch9wavefront6targetE1EEEvT1_,"axG",@progbits,_ZN7rocprim17ROCPRIM_400000_NS6detail17trampoline_kernelINS0_14default_configENS1_25transform_config_selectorIxLb0EEEZNS1_14transform_implILb0ES3_S5_N6thrust23THRUST_200600_302600_NS6detail15normal_iteratorINS8_10device_ptrIxEEEEPxNS0_8identityIxEEEE10hipError_tT2_T3_mT4_P12ihipStream_tbEUlT_E_NS1_11comp_targetILNS1_3genE5ELNS1_11target_archE942ELNS1_3gpuE9ELNS1_3repE0EEENS1_30default_config_static_selectorELNS0_4arch9wavefront6targetE1EEEvT1_,comdat
.Lfunc_end1534:
	.size	_ZN7rocprim17ROCPRIM_400000_NS6detail17trampoline_kernelINS0_14default_configENS1_25transform_config_selectorIxLb0EEEZNS1_14transform_implILb0ES3_S5_N6thrust23THRUST_200600_302600_NS6detail15normal_iteratorINS8_10device_ptrIxEEEEPxNS0_8identityIxEEEE10hipError_tT2_T3_mT4_P12ihipStream_tbEUlT_E_NS1_11comp_targetILNS1_3genE5ELNS1_11target_archE942ELNS1_3gpuE9ELNS1_3repE0EEENS1_30default_config_static_selectorELNS0_4arch9wavefront6targetE1EEEvT1_, .Lfunc_end1534-_ZN7rocprim17ROCPRIM_400000_NS6detail17trampoline_kernelINS0_14default_configENS1_25transform_config_selectorIxLb0EEEZNS1_14transform_implILb0ES3_S5_N6thrust23THRUST_200600_302600_NS6detail15normal_iteratorINS8_10device_ptrIxEEEEPxNS0_8identityIxEEEE10hipError_tT2_T3_mT4_P12ihipStream_tbEUlT_E_NS1_11comp_targetILNS1_3genE5ELNS1_11target_archE942ELNS1_3gpuE9ELNS1_3repE0EEENS1_30default_config_static_selectorELNS0_4arch9wavefront6targetE1EEEvT1_
                                        ; -- End function
	.section	.AMDGPU.csdata,"",@progbits
; Kernel info:
; codeLenInByte = 356
; NumSgprs: 20
; NumVgprs: 12
; NumAgprs: 0
; TotalNumVgprs: 12
; ScratchSize: 0
; MemoryBound: 0
; FloatMode: 240
; IeeeMode: 1
; LDSByteSize: 0 bytes/workgroup (compile time only)
; SGPRBlocks: 2
; VGPRBlocks: 1
; NumSGPRsForWavesPerEU: 20
; NumVGPRsForWavesPerEU: 12
; AccumOffset: 12
; Occupancy: 8
; WaveLimiterHint : 1
; COMPUTE_PGM_RSRC2:SCRATCH_EN: 0
; COMPUTE_PGM_RSRC2:USER_SGPR: 2
; COMPUTE_PGM_RSRC2:TRAP_HANDLER: 0
; COMPUTE_PGM_RSRC2:TGID_X_EN: 1
; COMPUTE_PGM_RSRC2:TGID_Y_EN: 0
; COMPUTE_PGM_RSRC2:TGID_Z_EN: 0
; COMPUTE_PGM_RSRC2:TIDIG_COMP_CNT: 0
; COMPUTE_PGM_RSRC3_GFX90A:ACCUM_OFFSET: 2
; COMPUTE_PGM_RSRC3_GFX90A:TG_SPLIT: 0
	.section	.text._ZN7rocprim17ROCPRIM_400000_NS6detail17trampoline_kernelINS0_14default_configENS1_25transform_config_selectorIxLb0EEEZNS1_14transform_implILb0ES3_S5_N6thrust23THRUST_200600_302600_NS6detail15normal_iteratorINS8_10device_ptrIxEEEEPxNS0_8identityIxEEEE10hipError_tT2_T3_mT4_P12ihipStream_tbEUlT_E_NS1_11comp_targetILNS1_3genE4ELNS1_11target_archE910ELNS1_3gpuE8ELNS1_3repE0EEENS1_30default_config_static_selectorELNS0_4arch9wavefront6targetE1EEEvT1_,"axG",@progbits,_ZN7rocprim17ROCPRIM_400000_NS6detail17trampoline_kernelINS0_14default_configENS1_25transform_config_selectorIxLb0EEEZNS1_14transform_implILb0ES3_S5_N6thrust23THRUST_200600_302600_NS6detail15normal_iteratorINS8_10device_ptrIxEEEEPxNS0_8identityIxEEEE10hipError_tT2_T3_mT4_P12ihipStream_tbEUlT_E_NS1_11comp_targetILNS1_3genE4ELNS1_11target_archE910ELNS1_3gpuE8ELNS1_3repE0EEENS1_30default_config_static_selectorELNS0_4arch9wavefront6targetE1EEEvT1_,comdat
	.protected	_ZN7rocprim17ROCPRIM_400000_NS6detail17trampoline_kernelINS0_14default_configENS1_25transform_config_selectorIxLb0EEEZNS1_14transform_implILb0ES3_S5_N6thrust23THRUST_200600_302600_NS6detail15normal_iteratorINS8_10device_ptrIxEEEEPxNS0_8identityIxEEEE10hipError_tT2_T3_mT4_P12ihipStream_tbEUlT_E_NS1_11comp_targetILNS1_3genE4ELNS1_11target_archE910ELNS1_3gpuE8ELNS1_3repE0EEENS1_30default_config_static_selectorELNS0_4arch9wavefront6targetE1EEEvT1_ ; -- Begin function _ZN7rocprim17ROCPRIM_400000_NS6detail17trampoline_kernelINS0_14default_configENS1_25transform_config_selectorIxLb0EEEZNS1_14transform_implILb0ES3_S5_N6thrust23THRUST_200600_302600_NS6detail15normal_iteratorINS8_10device_ptrIxEEEEPxNS0_8identityIxEEEE10hipError_tT2_T3_mT4_P12ihipStream_tbEUlT_E_NS1_11comp_targetILNS1_3genE4ELNS1_11target_archE910ELNS1_3gpuE8ELNS1_3repE0EEENS1_30default_config_static_selectorELNS0_4arch9wavefront6targetE1EEEvT1_
	.globl	_ZN7rocprim17ROCPRIM_400000_NS6detail17trampoline_kernelINS0_14default_configENS1_25transform_config_selectorIxLb0EEEZNS1_14transform_implILb0ES3_S5_N6thrust23THRUST_200600_302600_NS6detail15normal_iteratorINS8_10device_ptrIxEEEEPxNS0_8identityIxEEEE10hipError_tT2_T3_mT4_P12ihipStream_tbEUlT_E_NS1_11comp_targetILNS1_3genE4ELNS1_11target_archE910ELNS1_3gpuE8ELNS1_3repE0EEENS1_30default_config_static_selectorELNS0_4arch9wavefront6targetE1EEEvT1_
	.p2align	8
	.type	_ZN7rocprim17ROCPRIM_400000_NS6detail17trampoline_kernelINS0_14default_configENS1_25transform_config_selectorIxLb0EEEZNS1_14transform_implILb0ES3_S5_N6thrust23THRUST_200600_302600_NS6detail15normal_iteratorINS8_10device_ptrIxEEEEPxNS0_8identityIxEEEE10hipError_tT2_T3_mT4_P12ihipStream_tbEUlT_E_NS1_11comp_targetILNS1_3genE4ELNS1_11target_archE910ELNS1_3gpuE8ELNS1_3repE0EEENS1_30default_config_static_selectorELNS0_4arch9wavefront6targetE1EEEvT1_,@function
_ZN7rocprim17ROCPRIM_400000_NS6detail17trampoline_kernelINS0_14default_configENS1_25transform_config_selectorIxLb0EEEZNS1_14transform_implILb0ES3_S5_N6thrust23THRUST_200600_302600_NS6detail15normal_iteratorINS8_10device_ptrIxEEEEPxNS0_8identityIxEEEE10hipError_tT2_T3_mT4_P12ihipStream_tbEUlT_E_NS1_11comp_targetILNS1_3genE4ELNS1_11target_archE910ELNS1_3gpuE8ELNS1_3repE0EEENS1_30default_config_static_selectorELNS0_4arch9wavefront6targetE1EEEvT1_: ; @_ZN7rocprim17ROCPRIM_400000_NS6detail17trampoline_kernelINS0_14default_configENS1_25transform_config_selectorIxLb0EEEZNS1_14transform_implILb0ES3_S5_N6thrust23THRUST_200600_302600_NS6detail15normal_iteratorINS8_10device_ptrIxEEEEPxNS0_8identityIxEEEE10hipError_tT2_T3_mT4_P12ihipStream_tbEUlT_E_NS1_11comp_targetILNS1_3genE4ELNS1_11target_archE910ELNS1_3gpuE8ELNS1_3repE0EEENS1_30default_config_static_selectorELNS0_4arch9wavefront6targetE1EEEvT1_
; %bb.0:
	.section	.rodata,"a",@progbits
	.p2align	6, 0x0
	.amdhsa_kernel _ZN7rocprim17ROCPRIM_400000_NS6detail17trampoline_kernelINS0_14default_configENS1_25transform_config_selectorIxLb0EEEZNS1_14transform_implILb0ES3_S5_N6thrust23THRUST_200600_302600_NS6detail15normal_iteratorINS8_10device_ptrIxEEEEPxNS0_8identityIxEEEE10hipError_tT2_T3_mT4_P12ihipStream_tbEUlT_E_NS1_11comp_targetILNS1_3genE4ELNS1_11target_archE910ELNS1_3gpuE8ELNS1_3repE0EEENS1_30default_config_static_selectorELNS0_4arch9wavefront6targetE1EEEvT1_
		.amdhsa_group_segment_fixed_size 0
		.amdhsa_private_segment_fixed_size 0
		.amdhsa_kernarg_size 40
		.amdhsa_user_sgpr_count 2
		.amdhsa_user_sgpr_dispatch_ptr 0
		.amdhsa_user_sgpr_queue_ptr 0
		.amdhsa_user_sgpr_kernarg_segment_ptr 1
		.amdhsa_user_sgpr_dispatch_id 0
		.amdhsa_user_sgpr_kernarg_preload_length 0
		.amdhsa_user_sgpr_kernarg_preload_offset 0
		.amdhsa_user_sgpr_private_segment_size 0
		.amdhsa_uses_dynamic_stack 0
		.amdhsa_enable_private_segment 0
		.amdhsa_system_sgpr_workgroup_id_x 1
		.amdhsa_system_sgpr_workgroup_id_y 0
		.amdhsa_system_sgpr_workgroup_id_z 0
		.amdhsa_system_sgpr_workgroup_info 0
		.amdhsa_system_vgpr_workitem_id 0
		.amdhsa_next_free_vgpr 1
		.amdhsa_next_free_sgpr 0
		.amdhsa_accum_offset 4
		.amdhsa_reserve_vcc 0
		.amdhsa_float_round_mode_32 0
		.amdhsa_float_round_mode_16_64 0
		.amdhsa_float_denorm_mode_32 3
		.amdhsa_float_denorm_mode_16_64 3
		.amdhsa_dx10_clamp 1
		.amdhsa_ieee_mode 1
		.amdhsa_fp16_overflow 0
		.amdhsa_tg_split 0
		.amdhsa_exception_fp_ieee_invalid_op 0
		.amdhsa_exception_fp_denorm_src 0
		.amdhsa_exception_fp_ieee_div_zero 0
		.amdhsa_exception_fp_ieee_overflow 0
		.amdhsa_exception_fp_ieee_underflow 0
		.amdhsa_exception_fp_ieee_inexact 0
		.amdhsa_exception_int_div_zero 0
	.end_amdhsa_kernel
	.section	.text._ZN7rocprim17ROCPRIM_400000_NS6detail17trampoline_kernelINS0_14default_configENS1_25transform_config_selectorIxLb0EEEZNS1_14transform_implILb0ES3_S5_N6thrust23THRUST_200600_302600_NS6detail15normal_iteratorINS8_10device_ptrIxEEEEPxNS0_8identityIxEEEE10hipError_tT2_T3_mT4_P12ihipStream_tbEUlT_E_NS1_11comp_targetILNS1_3genE4ELNS1_11target_archE910ELNS1_3gpuE8ELNS1_3repE0EEENS1_30default_config_static_selectorELNS0_4arch9wavefront6targetE1EEEvT1_,"axG",@progbits,_ZN7rocprim17ROCPRIM_400000_NS6detail17trampoline_kernelINS0_14default_configENS1_25transform_config_selectorIxLb0EEEZNS1_14transform_implILb0ES3_S5_N6thrust23THRUST_200600_302600_NS6detail15normal_iteratorINS8_10device_ptrIxEEEEPxNS0_8identityIxEEEE10hipError_tT2_T3_mT4_P12ihipStream_tbEUlT_E_NS1_11comp_targetILNS1_3genE4ELNS1_11target_archE910ELNS1_3gpuE8ELNS1_3repE0EEENS1_30default_config_static_selectorELNS0_4arch9wavefront6targetE1EEEvT1_,comdat
.Lfunc_end1535:
	.size	_ZN7rocprim17ROCPRIM_400000_NS6detail17trampoline_kernelINS0_14default_configENS1_25transform_config_selectorIxLb0EEEZNS1_14transform_implILb0ES3_S5_N6thrust23THRUST_200600_302600_NS6detail15normal_iteratorINS8_10device_ptrIxEEEEPxNS0_8identityIxEEEE10hipError_tT2_T3_mT4_P12ihipStream_tbEUlT_E_NS1_11comp_targetILNS1_3genE4ELNS1_11target_archE910ELNS1_3gpuE8ELNS1_3repE0EEENS1_30default_config_static_selectorELNS0_4arch9wavefront6targetE1EEEvT1_, .Lfunc_end1535-_ZN7rocprim17ROCPRIM_400000_NS6detail17trampoline_kernelINS0_14default_configENS1_25transform_config_selectorIxLb0EEEZNS1_14transform_implILb0ES3_S5_N6thrust23THRUST_200600_302600_NS6detail15normal_iteratorINS8_10device_ptrIxEEEEPxNS0_8identityIxEEEE10hipError_tT2_T3_mT4_P12ihipStream_tbEUlT_E_NS1_11comp_targetILNS1_3genE4ELNS1_11target_archE910ELNS1_3gpuE8ELNS1_3repE0EEENS1_30default_config_static_selectorELNS0_4arch9wavefront6targetE1EEEvT1_
                                        ; -- End function
	.section	.AMDGPU.csdata,"",@progbits
; Kernel info:
; codeLenInByte = 0
; NumSgprs: 6
; NumVgprs: 0
; NumAgprs: 0
; TotalNumVgprs: 0
; ScratchSize: 0
; MemoryBound: 0
; FloatMode: 240
; IeeeMode: 1
; LDSByteSize: 0 bytes/workgroup (compile time only)
; SGPRBlocks: 0
; VGPRBlocks: 0
; NumSGPRsForWavesPerEU: 6
; NumVGPRsForWavesPerEU: 1
; AccumOffset: 4
; Occupancy: 8
; WaveLimiterHint : 0
; COMPUTE_PGM_RSRC2:SCRATCH_EN: 0
; COMPUTE_PGM_RSRC2:USER_SGPR: 2
; COMPUTE_PGM_RSRC2:TRAP_HANDLER: 0
; COMPUTE_PGM_RSRC2:TGID_X_EN: 1
; COMPUTE_PGM_RSRC2:TGID_Y_EN: 0
; COMPUTE_PGM_RSRC2:TGID_Z_EN: 0
; COMPUTE_PGM_RSRC2:TIDIG_COMP_CNT: 0
; COMPUTE_PGM_RSRC3_GFX90A:ACCUM_OFFSET: 0
; COMPUTE_PGM_RSRC3_GFX90A:TG_SPLIT: 0
	.section	.text._ZN7rocprim17ROCPRIM_400000_NS6detail17trampoline_kernelINS0_14default_configENS1_25transform_config_selectorIxLb0EEEZNS1_14transform_implILb0ES3_S5_N6thrust23THRUST_200600_302600_NS6detail15normal_iteratorINS8_10device_ptrIxEEEEPxNS0_8identityIxEEEE10hipError_tT2_T3_mT4_P12ihipStream_tbEUlT_E_NS1_11comp_targetILNS1_3genE3ELNS1_11target_archE908ELNS1_3gpuE7ELNS1_3repE0EEENS1_30default_config_static_selectorELNS0_4arch9wavefront6targetE1EEEvT1_,"axG",@progbits,_ZN7rocprim17ROCPRIM_400000_NS6detail17trampoline_kernelINS0_14default_configENS1_25transform_config_selectorIxLb0EEEZNS1_14transform_implILb0ES3_S5_N6thrust23THRUST_200600_302600_NS6detail15normal_iteratorINS8_10device_ptrIxEEEEPxNS0_8identityIxEEEE10hipError_tT2_T3_mT4_P12ihipStream_tbEUlT_E_NS1_11comp_targetILNS1_3genE3ELNS1_11target_archE908ELNS1_3gpuE7ELNS1_3repE0EEENS1_30default_config_static_selectorELNS0_4arch9wavefront6targetE1EEEvT1_,comdat
	.protected	_ZN7rocprim17ROCPRIM_400000_NS6detail17trampoline_kernelINS0_14default_configENS1_25transform_config_selectorIxLb0EEEZNS1_14transform_implILb0ES3_S5_N6thrust23THRUST_200600_302600_NS6detail15normal_iteratorINS8_10device_ptrIxEEEEPxNS0_8identityIxEEEE10hipError_tT2_T3_mT4_P12ihipStream_tbEUlT_E_NS1_11comp_targetILNS1_3genE3ELNS1_11target_archE908ELNS1_3gpuE7ELNS1_3repE0EEENS1_30default_config_static_selectorELNS0_4arch9wavefront6targetE1EEEvT1_ ; -- Begin function _ZN7rocprim17ROCPRIM_400000_NS6detail17trampoline_kernelINS0_14default_configENS1_25transform_config_selectorIxLb0EEEZNS1_14transform_implILb0ES3_S5_N6thrust23THRUST_200600_302600_NS6detail15normal_iteratorINS8_10device_ptrIxEEEEPxNS0_8identityIxEEEE10hipError_tT2_T3_mT4_P12ihipStream_tbEUlT_E_NS1_11comp_targetILNS1_3genE3ELNS1_11target_archE908ELNS1_3gpuE7ELNS1_3repE0EEENS1_30default_config_static_selectorELNS0_4arch9wavefront6targetE1EEEvT1_
	.globl	_ZN7rocprim17ROCPRIM_400000_NS6detail17trampoline_kernelINS0_14default_configENS1_25transform_config_selectorIxLb0EEEZNS1_14transform_implILb0ES3_S5_N6thrust23THRUST_200600_302600_NS6detail15normal_iteratorINS8_10device_ptrIxEEEEPxNS0_8identityIxEEEE10hipError_tT2_T3_mT4_P12ihipStream_tbEUlT_E_NS1_11comp_targetILNS1_3genE3ELNS1_11target_archE908ELNS1_3gpuE7ELNS1_3repE0EEENS1_30default_config_static_selectorELNS0_4arch9wavefront6targetE1EEEvT1_
	.p2align	8
	.type	_ZN7rocprim17ROCPRIM_400000_NS6detail17trampoline_kernelINS0_14default_configENS1_25transform_config_selectorIxLb0EEEZNS1_14transform_implILb0ES3_S5_N6thrust23THRUST_200600_302600_NS6detail15normal_iteratorINS8_10device_ptrIxEEEEPxNS0_8identityIxEEEE10hipError_tT2_T3_mT4_P12ihipStream_tbEUlT_E_NS1_11comp_targetILNS1_3genE3ELNS1_11target_archE908ELNS1_3gpuE7ELNS1_3repE0EEENS1_30default_config_static_selectorELNS0_4arch9wavefront6targetE1EEEvT1_,@function
_ZN7rocprim17ROCPRIM_400000_NS6detail17trampoline_kernelINS0_14default_configENS1_25transform_config_selectorIxLb0EEEZNS1_14transform_implILb0ES3_S5_N6thrust23THRUST_200600_302600_NS6detail15normal_iteratorINS8_10device_ptrIxEEEEPxNS0_8identityIxEEEE10hipError_tT2_T3_mT4_P12ihipStream_tbEUlT_E_NS1_11comp_targetILNS1_3genE3ELNS1_11target_archE908ELNS1_3gpuE7ELNS1_3repE0EEENS1_30default_config_static_selectorELNS0_4arch9wavefront6targetE1EEEvT1_: ; @_ZN7rocprim17ROCPRIM_400000_NS6detail17trampoline_kernelINS0_14default_configENS1_25transform_config_selectorIxLb0EEEZNS1_14transform_implILb0ES3_S5_N6thrust23THRUST_200600_302600_NS6detail15normal_iteratorINS8_10device_ptrIxEEEEPxNS0_8identityIxEEEE10hipError_tT2_T3_mT4_P12ihipStream_tbEUlT_E_NS1_11comp_targetILNS1_3genE3ELNS1_11target_archE908ELNS1_3gpuE7ELNS1_3repE0EEENS1_30default_config_static_selectorELNS0_4arch9wavefront6targetE1EEEvT1_
; %bb.0:
	.section	.rodata,"a",@progbits
	.p2align	6, 0x0
	.amdhsa_kernel _ZN7rocprim17ROCPRIM_400000_NS6detail17trampoline_kernelINS0_14default_configENS1_25transform_config_selectorIxLb0EEEZNS1_14transform_implILb0ES3_S5_N6thrust23THRUST_200600_302600_NS6detail15normal_iteratorINS8_10device_ptrIxEEEEPxNS0_8identityIxEEEE10hipError_tT2_T3_mT4_P12ihipStream_tbEUlT_E_NS1_11comp_targetILNS1_3genE3ELNS1_11target_archE908ELNS1_3gpuE7ELNS1_3repE0EEENS1_30default_config_static_selectorELNS0_4arch9wavefront6targetE1EEEvT1_
		.amdhsa_group_segment_fixed_size 0
		.amdhsa_private_segment_fixed_size 0
		.amdhsa_kernarg_size 40
		.amdhsa_user_sgpr_count 2
		.amdhsa_user_sgpr_dispatch_ptr 0
		.amdhsa_user_sgpr_queue_ptr 0
		.amdhsa_user_sgpr_kernarg_segment_ptr 1
		.amdhsa_user_sgpr_dispatch_id 0
		.amdhsa_user_sgpr_kernarg_preload_length 0
		.amdhsa_user_sgpr_kernarg_preload_offset 0
		.amdhsa_user_sgpr_private_segment_size 0
		.amdhsa_uses_dynamic_stack 0
		.amdhsa_enable_private_segment 0
		.amdhsa_system_sgpr_workgroup_id_x 1
		.amdhsa_system_sgpr_workgroup_id_y 0
		.amdhsa_system_sgpr_workgroup_id_z 0
		.amdhsa_system_sgpr_workgroup_info 0
		.amdhsa_system_vgpr_workitem_id 0
		.amdhsa_next_free_vgpr 1
		.amdhsa_next_free_sgpr 0
		.amdhsa_accum_offset 4
		.amdhsa_reserve_vcc 0
		.amdhsa_float_round_mode_32 0
		.amdhsa_float_round_mode_16_64 0
		.amdhsa_float_denorm_mode_32 3
		.amdhsa_float_denorm_mode_16_64 3
		.amdhsa_dx10_clamp 1
		.amdhsa_ieee_mode 1
		.amdhsa_fp16_overflow 0
		.amdhsa_tg_split 0
		.amdhsa_exception_fp_ieee_invalid_op 0
		.amdhsa_exception_fp_denorm_src 0
		.amdhsa_exception_fp_ieee_div_zero 0
		.amdhsa_exception_fp_ieee_overflow 0
		.amdhsa_exception_fp_ieee_underflow 0
		.amdhsa_exception_fp_ieee_inexact 0
		.amdhsa_exception_int_div_zero 0
	.end_amdhsa_kernel
	.section	.text._ZN7rocprim17ROCPRIM_400000_NS6detail17trampoline_kernelINS0_14default_configENS1_25transform_config_selectorIxLb0EEEZNS1_14transform_implILb0ES3_S5_N6thrust23THRUST_200600_302600_NS6detail15normal_iteratorINS8_10device_ptrIxEEEEPxNS0_8identityIxEEEE10hipError_tT2_T3_mT4_P12ihipStream_tbEUlT_E_NS1_11comp_targetILNS1_3genE3ELNS1_11target_archE908ELNS1_3gpuE7ELNS1_3repE0EEENS1_30default_config_static_selectorELNS0_4arch9wavefront6targetE1EEEvT1_,"axG",@progbits,_ZN7rocprim17ROCPRIM_400000_NS6detail17trampoline_kernelINS0_14default_configENS1_25transform_config_selectorIxLb0EEEZNS1_14transform_implILb0ES3_S5_N6thrust23THRUST_200600_302600_NS6detail15normal_iteratorINS8_10device_ptrIxEEEEPxNS0_8identityIxEEEE10hipError_tT2_T3_mT4_P12ihipStream_tbEUlT_E_NS1_11comp_targetILNS1_3genE3ELNS1_11target_archE908ELNS1_3gpuE7ELNS1_3repE0EEENS1_30default_config_static_selectorELNS0_4arch9wavefront6targetE1EEEvT1_,comdat
.Lfunc_end1536:
	.size	_ZN7rocprim17ROCPRIM_400000_NS6detail17trampoline_kernelINS0_14default_configENS1_25transform_config_selectorIxLb0EEEZNS1_14transform_implILb0ES3_S5_N6thrust23THRUST_200600_302600_NS6detail15normal_iteratorINS8_10device_ptrIxEEEEPxNS0_8identityIxEEEE10hipError_tT2_T3_mT4_P12ihipStream_tbEUlT_E_NS1_11comp_targetILNS1_3genE3ELNS1_11target_archE908ELNS1_3gpuE7ELNS1_3repE0EEENS1_30default_config_static_selectorELNS0_4arch9wavefront6targetE1EEEvT1_, .Lfunc_end1536-_ZN7rocprim17ROCPRIM_400000_NS6detail17trampoline_kernelINS0_14default_configENS1_25transform_config_selectorIxLb0EEEZNS1_14transform_implILb0ES3_S5_N6thrust23THRUST_200600_302600_NS6detail15normal_iteratorINS8_10device_ptrIxEEEEPxNS0_8identityIxEEEE10hipError_tT2_T3_mT4_P12ihipStream_tbEUlT_E_NS1_11comp_targetILNS1_3genE3ELNS1_11target_archE908ELNS1_3gpuE7ELNS1_3repE0EEENS1_30default_config_static_selectorELNS0_4arch9wavefront6targetE1EEEvT1_
                                        ; -- End function
	.section	.AMDGPU.csdata,"",@progbits
; Kernel info:
; codeLenInByte = 0
; NumSgprs: 6
; NumVgprs: 0
; NumAgprs: 0
; TotalNumVgprs: 0
; ScratchSize: 0
; MemoryBound: 0
; FloatMode: 240
; IeeeMode: 1
; LDSByteSize: 0 bytes/workgroup (compile time only)
; SGPRBlocks: 0
; VGPRBlocks: 0
; NumSGPRsForWavesPerEU: 6
; NumVGPRsForWavesPerEU: 1
; AccumOffset: 4
; Occupancy: 8
; WaveLimiterHint : 0
; COMPUTE_PGM_RSRC2:SCRATCH_EN: 0
; COMPUTE_PGM_RSRC2:USER_SGPR: 2
; COMPUTE_PGM_RSRC2:TRAP_HANDLER: 0
; COMPUTE_PGM_RSRC2:TGID_X_EN: 1
; COMPUTE_PGM_RSRC2:TGID_Y_EN: 0
; COMPUTE_PGM_RSRC2:TGID_Z_EN: 0
; COMPUTE_PGM_RSRC2:TIDIG_COMP_CNT: 0
; COMPUTE_PGM_RSRC3_GFX90A:ACCUM_OFFSET: 0
; COMPUTE_PGM_RSRC3_GFX90A:TG_SPLIT: 0
	.section	.text._ZN7rocprim17ROCPRIM_400000_NS6detail17trampoline_kernelINS0_14default_configENS1_25transform_config_selectorIxLb0EEEZNS1_14transform_implILb0ES3_S5_N6thrust23THRUST_200600_302600_NS6detail15normal_iteratorINS8_10device_ptrIxEEEEPxNS0_8identityIxEEEE10hipError_tT2_T3_mT4_P12ihipStream_tbEUlT_E_NS1_11comp_targetILNS1_3genE2ELNS1_11target_archE906ELNS1_3gpuE6ELNS1_3repE0EEENS1_30default_config_static_selectorELNS0_4arch9wavefront6targetE1EEEvT1_,"axG",@progbits,_ZN7rocprim17ROCPRIM_400000_NS6detail17trampoline_kernelINS0_14default_configENS1_25transform_config_selectorIxLb0EEEZNS1_14transform_implILb0ES3_S5_N6thrust23THRUST_200600_302600_NS6detail15normal_iteratorINS8_10device_ptrIxEEEEPxNS0_8identityIxEEEE10hipError_tT2_T3_mT4_P12ihipStream_tbEUlT_E_NS1_11comp_targetILNS1_3genE2ELNS1_11target_archE906ELNS1_3gpuE6ELNS1_3repE0EEENS1_30default_config_static_selectorELNS0_4arch9wavefront6targetE1EEEvT1_,comdat
	.protected	_ZN7rocprim17ROCPRIM_400000_NS6detail17trampoline_kernelINS0_14default_configENS1_25transform_config_selectorIxLb0EEEZNS1_14transform_implILb0ES3_S5_N6thrust23THRUST_200600_302600_NS6detail15normal_iteratorINS8_10device_ptrIxEEEEPxNS0_8identityIxEEEE10hipError_tT2_T3_mT4_P12ihipStream_tbEUlT_E_NS1_11comp_targetILNS1_3genE2ELNS1_11target_archE906ELNS1_3gpuE6ELNS1_3repE0EEENS1_30default_config_static_selectorELNS0_4arch9wavefront6targetE1EEEvT1_ ; -- Begin function _ZN7rocprim17ROCPRIM_400000_NS6detail17trampoline_kernelINS0_14default_configENS1_25transform_config_selectorIxLb0EEEZNS1_14transform_implILb0ES3_S5_N6thrust23THRUST_200600_302600_NS6detail15normal_iteratorINS8_10device_ptrIxEEEEPxNS0_8identityIxEEEE10hipError_tT2_T3_mT4_P12ihipStream_tbEUlT_E_NS1_11comp_targetILNS1_3genE2ELNS1_11target_archE906ELNS1_3gpuE6ELNS1_3repE0EEENS1_30default_config_static_selectorELNS0_4arch9wavefront6targetE1EEEvT1_
	.globl	_ZN7rocprim17ROCPRIM_400000_NS6detail17trampoline_kernelINS0_14default_configENS1_25transform_config_selectorIxLb0EEEZNS1_14transform_implILb0ES3_S5_N6thrust23THRUST_200600_302600_NS6detail15normal_iteratorINS8_10device_ptrIxEEEEPxNS0_8identityIxEEEE10hipError_tT2_T3_mT4_P12ihipStream_tbEUlT_E_NS1_11comp_targetILNS1_3genE2ELNS1_11target_archE906ELNS1_3gpuE6ELNS1_3repE0EEENS1_30default_config_static_selectorELNS0_4arch9wavefront6targetE1EEEvT1_
	.p2align	8
	.type	_ZN7rocprim17ROCPRIM_400000_NS6detail17trampoline_kernelINS0_14default_configENS1_25transform_config_selectorIxLb0EEEZNS1_14transform_implILb0ES3_S5_N6thrust23THRUST_200600_302600_NS6detail15normal_iteratorINS8_10device_ptrIxEEEEPxNS0_8identityIxEEEE10hipError_tT2_T3_mT4_P12ihipStream_tbEUlT_E_NS1_11comp_targetILNS1_3genE2ELNS1_11target_archE906ELNS1_3gpuE6ELNS1_3repE0EEENS1_30default_config_static_selectorELNS0_4arch9wavefront6targetE1EEEvT1_,@function
_ZN7rocprim17ROCPRIM_400000_NS6detail17trampoline_kernelINS0_14default_configENS1_25transform_config_selectorIxLb0EEEZNS1_14transform_implILb0ES3_S5_N6thrust23THRUST_200600_302600_NS6detail15normal_iteratorINS8_10device_ptrIxEEEEPxNS0_8identityIxEEEE10hipError_tT2_T3_mT4_P12ihipStream_tbEUlT_E_NS1_11comp_targetILNS1_3genE2ELNS1_11target_archE906ELNS1_3gpuE6ELNS1_3repE0EEENS1_30default_config_static_selectorELNS0_4arch9wavefront6targetE1EEEvT1_: ; @_ZN7rocprim17ROCPRIM_400000_NS6detail17trampoline_kernelINS0_14default_configENS1_25transform_config_selectorIxLb0EEEZNS1_14transform_implILb0ES3_S5_N6thrust23THRUST_200600_302600_NS6detail15normal_iteratorINS8_10device_ptrIxEEEEPxNS0_8identityIxEEEE10hipError_tT2_T3_mT4_P12ihipStream_tbEUlT_E_NS1_11comp_targetILNS1_3genE2ELNS1_11target_archE906ELNS1_3gpuE6ELNS1_3repE0EEENS1_30default_config_static_selectorELNS0_4arch9wavefront6targetE1EEEvT1_
; %bb.0:
	.section	.rodata,"a",@progbits
	.p2align	6, 0x0
	.amdhsa_kernel _ZN7rocprim17ROCPRIM_400000_NS6detail17trampoline_kernelINS0_14default_configENS1_25transform_config_selectorIxLb0EEEZNS1_14transform_implILb0ES3_S5_N6thrust23THRUST_200600_302600_NS6detail15normal_iteratorINS8_10device_ptrIxEEEEPxNS0_8identityIxEEEE10hipError_tT2_T3_mT4_P12ihipStream_tbEUlT_E_NS1_11comp_targetILNS1_3genE2ELNS1_11target_archE906ELNS1_3gpuE6ELNS1_3repE0EEENS1_30default_config_static_selectorELNS0_4arch9wavefront6targetE1EEEvT1_
		.amdhsa_group_segment_fixed_size 0
		.amdhsa_private_segment_fixed_size 0
		.amdhsa_kernarg_size 40
		.amdhsa_user_sgpr_count 2
		.amdhsa_user_sgpr_dispatch_ptr 0
		.amdhsa_user_sgpr_queue_ptr 0
		.amdhsa_user_sgpr_kernarg_segment_ptr 1
		.amdhsa_user_sgpr_dispatch_id 0
		.amdhsa_user_sgpr_kernarg_preload_length 0
		.amdhsa_user_sgpr_kernarg_preload_offset 0
		.amdhsa_user_sgpr_private_segment_size 0
		.amdhsa_uses_dynamic_stack 0
		.amdhsa_enable_private_segment 0
		.amdhsa_system_sgpr_workgroup_id_x 1
		.amdhsa_system_sgpr_workgroup_id_y 0
		.amdhsa_system_sgpr_workgroup_id_z 0
		.amdhsa_system_sgpr_workgroup_info 0
		.amdhsa_system_vgpr_workitem_id 0
		.amdhsa_next_free_vgpr 1
		.amdhsa_next_free_sgpr 0
		.amdhsa_accum_offset 4
		.amdhsa_reserve_vcc 0
		.amdhsa_float_round_mode_32 0
		.amdhsa_float_round_mode_16_64 0
		.amdhsa_float_denorm_mode_32 3
		.amdhsa_float_denorm_mode_16_64 3
		.amdhsa_dx10_clamp 1
		.amdhsa_ieee_mode 1
		.amdhsa_fp16_overflow 0
		.amdhsa_tg_split 0
		.amdhsa_exception_fp_ieee_invalid_op 0
		.amdhsa_exception_fp_denorm_src 0
		.amdhsa_exception_fp_ieee_div_zero 0
		.amdhsa_exception_fp_ieee_overflow 0
		.amdhsa_exception_fp_ieee_underflow 0
		.amdhsa_exception_fp_ieee_inexact 0
		.amdhsa_exception_int_div_zero 0
	.end_amdhsa_kernel
	.section	.text._ZN7rocprim17ROCPRIM_400000_NS6detail17trampoline_kernelINS0_14default_configENS1_25transform_config_selectorIxLb0EEEZNS1_14transform_implILb0ES3_S5_N6thrust23THRUST_200600_302600_NS6detail15normal_iteratorINS8_10device_ptrIxEEEEPxNS0_8identityIxEEEE10hipError_tT2_T3_mT4_P12ihipStream_tbEUlT_E_NS1_11comp_targetILNS1_3genE2ELNS1_11target_archE906ELNS1_3gpuE6ELNS1_3repE0EEENS1_30default_config_static_selectorELNS0_4arch9wavefront6targetE1EEEvT1_,"axG",@progbits,_ZN7rocprim17ROCPRIM_400000_NS6detail17trampoline_kernelINS0_14default_configENS1_25transform_config_selectorIxLb0EEEZNS1_14transform_implILb0ES3_S5_N6thrust23THRUST_200600_302600_NS6detail15normal_iteratorINS8_10device_ptrIxEEEEPxNS0_8identityIxEEEE10hipError_tT2_T3_mT4_P12ihipStream_tbEUlT_E_NS1_11comp_targetILNS1_3genE2ELNS1_11target_archE906ELNS1_3gpuE6ELNS1_3repE0EEENS1_30default_config_static_selectorELNS0_4arch9wavefront6targetE1EEEvT1_,comdat
.Lfunc_end1537:
	.size	_ZN7rocprim17ROCPRIM_400000_NS6detail17trampoline_kernelINS0_14default_configENS1_25transform_config_selectorIxLb0EEEZNS1_14transform_implILb0ES3_S5_N6thrust23THRUST_200600_302600_NS6detail15normal_iteratorINS8_10device_ptrIxEEEEPxNS0_8identityIxEEEE10hipError_tT2_T3_mT4_P12ihipStream_tbEUlT_E_NS1_11comp_targetILNS1_3genE2ELNS1_11target_archE906ELNS1_3gpuE6ELNS1_3repE0EEENS1_30default_config_static_selectorELNS0_4arch9wavefront6targetE1EEEvT1_, .Lfunc_end1537-_ZN7rocprim17ROCPRIM_400000_NS6detail17trampoline_kernelINS0_14default_configENS1_25transform_config_selectorIxLb0EEEZNS1_14transform_implILb0ES3_S5_N6thrust23THRUST_200600_302600_NS6detail15normal_iteratorINS8_10device_ptrIxEEEEPxNS0_8identityIxEEEE10hipError_tT2_T3_mT4_P12ihipStream_tbEUlT_E_NS1_11comp_targetILNS1_3genE2ELNS1_11target_archE906ELNS1_3gpuE6ELNS1_3repE0EEENS1_30default_config_static_selectorELNS0_4arch9wavefront6targetE1EEEvT1_
                                        ; -- End function
	.section	.AMDGPU.csdata,"",@progbits
; Kernel info:
; codeLenInByte = 0
; NumSgprs: 6
; NumVgprs: 0
; NumAgprs: 0
; TotalNumVgprs: 0
; ScratchSize: 0
; MemoryBound: 0
; FloatMode: 240
; IeeeMode: 1
; LDSByteSize: 0 bytes/workgroup (compile time only)
; SGPRBlocks: 0
; VGPRBlocks: 0
; NumSGPRsForWavesPerEU: 6
; NumVGPRsForWavesPerEU: 1
; AccumOffset: 4
; Occupancy: 8
; WaveLimiterHint : 0
; COMPUTE_PGM_RSRC2:SCRATCH_EN: 0
; COMPUTE_PGM_RSRC2:USER_SGPR: 2
; COMPUTE_PGM_RSRC2:TRAP_HANDLER: 0
; COMPUTE_PGM_RSRC2:TGID_X_EN: 1
; COMPUTE_PGM_RSRC2:TGID_Y_EN: 0
; COMPUTE_PGM_RSRC2:TGID_Z_EN: 0
; COMPUTE_PGM_RSRC2:TIDIG_COMP_CNT: 0
; COMPUTE_PGM_RSRC3_GFX90A:ACCUM_OFFSET: 0
; COMPUTE_PGM_RSRC3_GFX90A:TG_SPLIT: 0
	.section	.text._ZN7rocprim17ROCPRIM_400000_NS6detail17trampoline_kernelINS0_14default_configENS1_25transform_config_selectorIxLb0EEEZNS1_14transform_implILb0ES3_S5_N6thrust23THRUST_200600_302600_NS6detail15normal_iteratorINS8_10device_ptrIxEEEEPxNS0_8identityIxEEEE10hipError_tT2_T3_mT4_P12ihipStream_tbEUlT_E_NS1_11comp_targetILNS1_3genE10ELNS1_11target_archE1201ELNS1_3gpuE5ELNS1_3repE0EEENS1_30default_config_static_selectorELNS0_4arch9wavefront6targetE1EEEvT1_,"axG",@progbits,_ZN7rocprim17ROCPRIM_400000_NS6detail17trampoline_kernelINS0_14default_configENS1_25transform_config_selectorIxLb0EEEZNS1_14transform_implILb0ES3_S5_N6thrust23THRUST_200600_302600_NS6detail15normal_iteratorINS8_10device_ptrIxEEEEPxNS0_8identityIxEEEE10hipError_tT2_T3_mT4_P12ihipStream_tbEUlT_E_NS1_11comp_targetILNS1_3genE10ELNS1_11target_archE1201ELNS1_3gpuE5ELNS1_3repE0EEENS1_30default_config_static_selectorELNS0_4arch9wavefront6targetE1EEEvT1_,comdat
	.protected	_ZN7rocprim17ROCPRIM_400000_NS6detail17trampoline_kernelINS0_14default_configENS1_25transform_config_selectorIxLb0EEEZNS1_14transform_implILb0ES3_S5_N6thrust23THRUST_200600_302600_NS6detail15normal_iteratorINS8_10device_ptrIxEEEEPxNS0_8identityIxEEEE10hipError_tT2_T3_mT4_P12ihipStream_tbEUlT_E_NS1_11comp_targetILNS1_3genE10ELNS1_11target_archE1201ELNS1_3gpuE5ELNS1_3repE0EEENS1_30default_config_static_selectorELNS0_4arch9wavefront6targetE1EEEvT1_ ; -- Begin function _ZN7rocprim17ROCPRIM_400000_NS6detail17trampoline_kernelINS0_14default_configENS1_25transform_config_selectorIxLb0EEEZNS1_14transform_implILb0ES3_S5_N6thrust23THRUST_200600_302600_NS6detail15normal_iteratorINS8_10device_ptrIxEEEEPxNS0_8identityIxEEEE10hipError_tT2_T3_mT4_P12ihipStream_tbEUlT_E_NS1_11comp_targetILNS1_3genE10ELNS1_11target_archE1201ELNS1_3gpuE5ELNS1_3repE0EEENS1_30default_config_static_selectorELNS0_4arch9wavefront6targetE1EEEvT1_
	.globl	_ZN7rocprim17ROCPRIM_400000_NS6detail17trampoline_kernelINS0_14default_configENS1_25transform_config_selectorIxLb0EEEZNS1_14transform_implILb0ES3_S5_N6thrust23THRUST_200600_302600_NS6detail15normal_iteratorINS8_10device_ptrIxEEEEPxNS0_8identityIxEEEE10hipError_tT2_T3_mT4_P12ihipStream_tbEUlT_E_NS1_11comp_targetILNS1_3genE10ELNS1_11target_archE1201ELNS1_3gpuE5ELNS1_3repE0EEENS1_30default_config_static_selectorELNS0_4arch9wavefront6targetE1EEEvT1_
	.p2align	8
	.type	_ZN7rocprim17ROCPRIM_400000_NS6detail17trampoline_kernelINS0_14default_configENS1_25transform_config_selectorIxLb0EEEZNS1_14transform_implILb0ES3_S5_N6thrust23THRUST_200600_302600_NS6detail15normal_iteratorINS8_10device_ptrIxEEEEPxNS0_8identityIxEEEE10hipError_tT2_T3_mT4_P12ihipStream_tbEUlT_E_NS1_11comp_targetILNS1_3genE10ELNS1_11target_archE1201ELNS1_3gpuE5ELNS1_3repE0EEENS1_30default_config_static_selectorELNS0_4arch9wavefront6targetE1EEEvT1_,@function
_ZN7rocprim17ROCPRIM_400000_NS6detail17trampoline_kernelINS0_14default_configENS1_25transform_config_selectorIxLb0EEEZNS1_14transform_implILb0ES3_S5_N6thrust23THRUST_200600_302600_NS6detail15normal_iteratorINS8_10device_ptrIxEEEEPxNS0_8identityIxEEEE10hipError_tT2_T3_mT4_P12ihipStream_tbEUlT_E_NS1_11comp_targetILNS1_3genE10ELNS1_11target_archE1201ELNS1_3gpuE5ELNS1_3repE0EEENS1_30default_config_static_selectorELNS0_4arch9wavefront6targetE1EEEvT1_: ; @_ZN7rocprim17ROCPRIM_400000_NS6detail17trampoline_kernelINS0_14default_configENS1_25transform_config_selectorIxLb0EEEZNS1_14transform_implILb0ES3_S5_N6thrust23THRUST_200600_302600_NS6detail15normal_iteratorINS8_10device_ptrIxEEEEPxNS0_8identityIxEEEE10hipError_tT2_T3_mT4_P12ihipStream_tbEUlT_E_NS1_11comp_targetILNS1_3genE10ELNS1_11target_archE1201ELNS1_3gpuE5ELNS1_3repE0EEENS1_30default_config_static_selectorELNS0_4arch9wavefront6targetE1EEEvT1_
; %bb.0:
	.section	.rodata,"a",@progbits
	.p2align	6, 0x0
	.amdhsa_kernel _ZN7rocprim17ROCPRIM_400000_NS6detail17trampoline_kernelINS0_14default_configENS1_25transform_config_selectorIxLb0EEEZNS1_14transform_implILb0ES3_S5_N6thrust23THRUST_200600_302600_NS6detail15normal_iteratorINS8_10device_ptrIxEEEEPxNS0_8identityIxEEEE10hipError_tT2_T3_mT4_P12ihipStream_tbEUlT_E_NS1_11comp_targetILNS1_3genE10ELNS1_11target_archE1201ELNS1_3gpuE5ELNS1_3repE0EEENS1_30default_config_static_selectorELNS0_4arch9wavefront6targetE1EEEvT1_
		.amdhsa_group_segment_fixed_size 0
		.amdhsa_private_segment_fixed_size 0
		.amdhsa_kernarg_size 40
		.amdhsa_user_sgpr_count 2
		.amdhsa_user_sgpr_dispatch_ptr 0
		.amdhsa_user_sgpr_queue_ptr 0
		.amdhsa_user_sgpr_kernarg_segment_ptr 1
		.amdhsa_user_sgpr_dispatch_id 0
		.amdhsa_user_sgpr_kernarg_preload_length 0
		.amdhsa_user_sgpr_kernarg_preload_offset 0
		.amdhsa_user_sgpr_private_segment_size 0
		.amdhsa_uses_dynamic_stack 0
		.amdhsa_enable_private_segment 0
		.amdhsa_system_sgpr_workgroup_id_x 1
		.amdhsa_system_sgpr_workgroup_id_y 0
		.amdhsa_system_sgpr_workgroup_id_z 0
		.amdhsa_system_sgpr_workgroup_info 0
		.amdhsa_system_vgpr_workitem_id 0
		.amdhsa_next_free_vgpr 1
		.amdhsa_next_free_sgpr 0
		.amdhsa_accum_offset 4
		.amdhsa_reserve_vcc 0
		.amdhsa_float_round_mode_32 0
		.amdhsa_float_round_mode_16_64 0
		.amdhsa_float_denorm_mode_32 3
		.amdhsa_float_denorm_mode_16_64 3
		.amdhsa_dx10_clamp 1
		.amdhsa_ieee_mode 1
		.amdhsa_fp16_overflow 0
		.amdhsa_tg_split 0
		.amdhsa_exception_fp_ieee_invalid_op 0
		.amdhsa_exception_fp_denorm_src 0
		.amdhsa_exception_fp_ieee_div_zero 0
		.amdhsa_exception_fp_ieee_overflow 0
		.amdhsa_exception_fp_ieee_underflow 0
		.amdhsa_exception_fp_ieee_inexact 0
		.amdhsa_exception_int_div_zero 0
	.end_amdhsa_kernel
	.section	.text._ZN7rocprim17ROCPRIM_400000_NS6detail17trampoline_kernelINS0_14default_configENS1_25transform_config_selectorIxLb0EEEZNS1_14transform_implILb0ES3_S5_N6thrust23THRUST_200600_302600_NS6detail15normal_iteratorINS8_10device_ptrIxEEEEPxNS0_8identityIxEEEE10hipError_tT2_T3_mT4_P12ihipStream_tbEUlT_E_NS1_11comp_targetILNS1_3genE10ELNS1_11target_archE1201ELNS1_3gpuE5ELNS1_3repE0EEENS1_30default_config_static_selectorELNS0_4arch9wavefront6targetE1EEEvT1_,"axG",@progbits,_ZN7rocprim17ROCPRIM_400000_NS6detail17trampoline_kernelINS0_14default_configENS1_25transform_config_selectorIxLb0EEEZNS1_14transform_implILb0ES3_S5_N6thrust23THRUST_200600_302600_NS6detail15normal_iteratorINS8_10device_ptrIxEEEEPxNS0_8identityIxEEEE10hipError_tT2_T3_mT4_P12ihipStream_tbEUlT_E_NS1_11comp_targetILNS1_3genE10ELNS1_11target_archE1201ELNS1_3gpuE5ELNS1_3repE0EEENS1_30default_config_static_selectorELNS0_4arch9wavefront6targetE1EEEvT1_,comdat
.Lfunc_end1538:
	.size	_ZN7rocprim17ROCPRIM_400000_NS6detail17trampoline_kernelINS0_14default_configENS1_25transform_config_selectorIxLb0EEEZNS1_14transform_implILb0ES3_S5_N6thrust23THRUST_200600_302600_NS6detail15normal_iteratorINS8_10device_ptrIxEEEEPxNS0_8identityIxEEEE10hipError_tT2_T3_mT4_P12ihipStream_tbEUlT_E_NS1_11comp_targetILNS1_3genE10ELNS1_11target_archE1201ELNS1_3gpuE5ELNS1_3repE0EEENS1_30default_config_static_selectorELNS0_4arch9wavefront6targetE1EEEvT1_, .Lfunc_end1538-_ZN7rocprim17ROCPRIM_400000_NS6detail17trampoline_kernelINS0_14default_configENS1_25transform_config_selectorIxLb0EEEZNS1_14transform_implILb0ES3_S5_N6thrust23THRUST_200600_302600_NS6detail15normal_iteratorINS8_10device_ptrIxEEEEPxNS0_8identityIxEEEE10hipError_tT2_T3_mT4_P12ihipStream_tbEUlT_E_NS1_11comp_targetILNS1_3genE10ELNS1_11target_archE1201ELNS1_3gpuE5ELNS1_3repE0EEENS1_30default_config_static_selectorELNS0_4arch9wavefront6targetE1EEEvT1_
                                        ; -- End function
	.section	.AMDGPU.csdata,"",@progbits
; Kernel info:
; codeLenInByte = 0
; NumSgprs: 6
; NumVgprs: 0
; NumAgprs: 0
; TotalNumVgprs: 0
; ScratchSize: 0
; MemoryBound: 0
; FloatMode: 240
; IeeeMode: 1
; LDSByteSize: 0 bytes/workgroup (compile time only)
; SGPRBlocks: 0
; VGPRBlocks: 0
; NumSGPRsForWavesPerEU: 6
; NumVGPRsForWavesPerEU: 1
; AccumOffset: 4
; Occupancy: 8
; WaveLimiterHint : 0
; COMPUTE_PGM_RSRC2:SCRATCH_EN: 0
; COMPUTE_PGM_RSRC2:USER_SGPR: 2
; COMPUTE_PGM_RSRC2:TRAP_HANDLER: 0
; COMPUTE_PGM_RSRC2:TGID_X_EN: 1
; COMPUTE_PGM_RSRC2:TGID_Y_EN: 0
; COMPUTE_PGM_RSRC2:TGID_Z_EN: 0
; COMPUTE_PGM_RSRC2:TIDIG_COMP_CNT: 0
; COMPUTE_PGM_RSRC3_GFX90A:ACCUM_OFFSET: 0
; COMPUTE_PGM_RSRC3_GFX90A:TG_SPLIT: 0
	.section	.text._ZN7rocprim17ROCPRIM_400000_NS6detail17trampoline_kernelINS0_14default_configENS1_25transform_config_selectorIxLb0EEEZNS1_14transform_implILb0ES3_S5_N6thrust23THRUST_200600_302600_NS6detail15normal_iteratorINS8_10device_ptrIxEEEEPxNS0_8identityIxEEEE10hipError_tT2_T3_mT4_P12ihipStream_tbEUlT_E_NS1_11comp_targetILNS1_3genE10ELNS1_11target_archE1200ELNS1_3gpuE4ELNS1_3repE0EEENS1_30default_config_static_selectorELNS0_4arch9wavefront6targetE1EEEvT1_,"axG",@progbits,_ZN7rocprim17ROCPRIM_400000_NS6detail17trampoline_kernelINS0_14default_configENS1_25transform_config_selectorIxLb0EEEZNS1_14transform_implILb0ES3_S5_N6thrust23THRUST_200600_302600_NS6detail15normal_iteratorINS8_10device_ptrIxEEEEPxNS0_8identityIxEEEE10hipError_tT2_T3_mT4_P12ihipStream_tbEUlT_E_NS1_11comp_targetILNS1_3genE10ELNS1_11target_archE1200ELNS1_3gpuE4ELNS1_3repE0EEENS1_30default_config_static_selectorELNS0_4arch9wavefront6targetE1EEEvT1_,comdat
	.protected	_ZN7rocprim17ROCPRIM_400000_NS6detail17trampoline_kernelINS0_14default_configENS1_25transform_config_selectorIxLb0EEEZNS1_14transform_implILb0ES3_S5_N6thrust23THRUST_200600_302600_NS6detail15normal_iteratorINS8_10device_ptrIxEEEEPxNS0_8identityIxEEEE10hipError_tT2_T3_mT4_P12ihipStream_tbEUlT_E_NS1_11comp_targetILNS1_3genE10ELNS1_11target_archE1200ELNS1_3gpuE4ELNS1_3repE0EEENS1_30default_config_static_selectorELNS0_4arch9wavefront6targetE1EEEvT1_ ; -- Begin function _ZN7rocprim17ROCPRIM_400000_NS6detail17trampoline_kernelINS0_14default_configENS1_25transform_config_selectorIxLb0EEEZNS1_14transform_implILb0ES3_S5_N6thrust23THRUST_200600_302600_NS6detail15normal_iteratorINS8_10device_ptrIxEEEEPxNS0_8identityIxEEEE10hipError_tT2_T3_mT4_P12ihipStream_tbEUlT_E_NS1_11comp_targetILNS1_3genE10ELNS1_11target_archE1200ELNS1_3gpuE4ELNS1_3repE0EEENS1_30default_config_static_selectorELNS0_4arch9wavefront6targetE1EEEvT1_
	.globl	_ZN7rocprim17ROCPRIM_400000_NS6detail17trampoline_kernelINS0_14default_configENS1_25transform_config_selectorIxLb0EEEZNS1_14transform_implILb0ES3_S5_N6thrust23THRUST_200600_302600_NS6detail15normal_iteratorINS8_10device_ptrIxEEEEPxNS0_8identityIxEEEE10hipError_tT2_T3_mT4_P12ihipStream_tbEUlT_E_NS1_11comp_targetILNS1_3genE10ELNS1_11target_archE1200ELNS1_3gpuE4ELNS1_3repE0EEENS1_30default_config_static_selectorELNS0_4arch9wavefront6targetE1EEEvT1_
	.p2align	8
	.type	_ZN7rocprim17ROCPRIM_400000_NS6detail17trampoline_kernelINS0_14default_configENS1_25transform_config_selectorIxLb0EEEZNS1_14transform_implILb0ES3_S5_N6thrust23THRUST_200600_302600_NS6detail15normal_iteratorINS8_10device_ptrIxEEEEPxNS0_8identityIxEEEE10hipError_tT2_T3_mT4_P12ihipStream_tbEUlT_E_NS1_11comp_targetILNS1_3genE10ELNS1_11target_archE1200ELNS1_3gpuE4ELNS1_3repE0EEENS1_30default_config_static_selectorELNS0_4arch9wavefront6targetE1EEEvT1_,@function
_ZN7rocprim17ROCPRIM_400000_NS6detail17trampoline_kernelINS0_14default_configENS1_25transform_config_selectorIxLb0EEEZNS1_14transform_implILb0ES3_S5_N6thrust23THRUST_200600_302600_NS6detail15normal_iteratorINS8_10device_ptrIxEEEEPxNS0_8identityIxEEEE10hipError_tT2_T3_mT4_P12ihipStream_tbEUlT_E_NS1_11comp_targetILNS1_3genE10ELNS1_11target_archE1200ELNS1_3gpuE4ELNS1_3repE0EEENS1_30default_config_static_selectorELNS0_4arch9wavefront6targetE1EEEvT1_: ; @_ZN7rocprim17ROCPRIM_400000_NS6detail17trampoline_kernelINS0_14default_configENS1_25transform_config_selectorIxLb0EEEZNS1_14transform_implILb0ES3_S5_N6thrust23THRUST_200600_302600_NS6detail15normal_iteratorINS8_10device_ptrIxEEEEPxNS0_8identityIxEEEE10hipError_tT2_T3_mT4_P12ihipStream_tbEUlT_E_NS1_11comp_targetILNS1_3genE10ELNS1_11target_archE1200ELNS1_3gpuE4ELNS1_3repE0EEENS1_30default_config_static_selectorELNS0_4arch9wavefront6targetE1EEEvT1_
; %bb.0:
	.section	.rodata,"a",@progbits
	.p2align	6, 0x0
	.amdhsa_kernel _ZN7rocprim17ROCPRIM_400000_NS6detail17trampoline_kernelINS0_14default_configENS1_25transform_config_selectorIxLb0EEEZNS1_14transform_implILb0ES3_S5_N6thrust23THRUST_200600_302600_NS6detail15normal_iteratorINS8_10device_ptrIxEEEEPxNS0_8identityIxEEEE10hipError_tT2_T3_mT4_P12ihipStream_tbEUlT_E_NS1_11comp_targetILNS1_3genE10ELNS1_11target_archE1200ELNS1_3gpuE4ELNS1_3repE0EEENS1_30default_config_static_selectorELNS0_4arch9wavefront6targetE1EEEvT1_
		.amdhsa_group_segment_fixed_size 0
		.amdhsa_private_segment_fixed_size 0
		.amdhsa_kernarg_size 40
		.amdhsa_user_sgpr_count 2
		.amdhsa_user_sgpr_dispatch_ptr 0
		.amdhsa_user_sgpr_queue_ptr 0
		.amdhsa_user_sgpr_kernarg_segment_ptr 1
		.amdhsa_user_sgpr_dispatch_id 0
		.amdhsa_user_sgpr_kernarg_preload_length 0
		.amdhsa_user_sgpr_kernarg_preload_offset 0
		.amdhsa_user_sgpr_private_segment_size 0
		.amdhsa_uses_dynamic_stack 0
		.amdhsa_enable_private_segment 0
		.amdhsa_system_sgpr_workgroup_id_x 1
		.amdhsa_system_sgpr_workgroup_id_y 0
		.amdhsa_system_sgpr_workgroup_id_z 0
		.amdhsa_system_sgpr_workgroup_info 0
		.amdhsa_system_vgpr_workitem_id 0
		.amdhsa_next_free_vgpr 1
		.amdhsa_next_free_sgpr 0
		.amdhsa_accum_offset 4
		.amdhsa_reserve_vcc 0
		.amdhsa_float_round_mode_32 0
		.amdhsa_float_round_mode_16_64 0
		.amdhsa_float_denorm_mode_32 3
		.amdhsa_float_denorm_mode_16_64 3
		.amdhsa_dx10_clamp 1
		.amdhsa_ieee_mode 1
		.amdhsa_fp16_overflow 0
		.amdhsa_tg_split 0
		.amdhsa_exception_fp_ieee_invalid_op 0
		.amdhsa_exception_fp_denorm_src 0
		.amdhsa_exception_fp_ieee_div_zero 0
		.amdhsa_exception_fp_ieee_overflow 0
		.amdhsa_exception_fp_ieee_underflow 0
		.amdhsa_exception_fp_ieee_inexact 0
		.amdhsa_exception_int_div_zero 0
	.end_amdhsa_kernel
	.section	.text._ZN7rocprim17ROCPRIM_400000_NS6detail17trampoline_kernelINS0_14default_configENS1_25transform_config_selectorIxLb0EEEZNS1_14transform_implILb0ES3_S5_N6thrust23THRUST_200600_302600_NS6detail15normal_iteratorINS8_10device_ptrIxEEEEPxNS0_8identityIxEEEE10hipError_tT2_T3_mT4_P12ihipStream_tbEUlT_E_NS1_11comp_targetILNS1_3genE10ELNS1_11target_archE1200ELNS1_3gpuE4ELNS1_3repE0EEENS1_30default_config_static_selectorELNS0_4arch9wavefront6targetE1EEEvT1_,"axG",@progbits,_ZN7rocprim17ROCPRIM_400000_NS6detail17trampoline_kernelINS0_14default_configENS1_25transform_config_selectorIxLb0EEEZNS1_14transform_implILb0ES3_S5_N6thrust23THRUST_200600_302600_NS6detail15normal_iteratorINS8_10device_ptrIxEEEEPxNS0_8identityIxEEEE10hipError_tT2_T3_mT4_P12ihipStream_tbEUlT_E_NS1_11comp_targetILNS1_3genE10ELNS1_11target_archE1200ELNS1_3gpuE4ELNS1_3repE0EEENS1_30default_config_static_selectorELNS0_4arch9wavefront6targetE1EEEvT1_,comdat
.Lfunc_end1539:
	.size	_ZN7rocprim17ROCPRIM_400000_NS6detail17trampoline_kernelINS0_14default_configENS1_25transform_config_selectorIxLb0EEEZNS1_14transform_implILb0ES3_S5_N6thrust23THRUST_200600_302600_NS6detail15normal_iteratorINS8_10device_ptrIxEEEEPxNS0_8identityIxEEEE10hipError_tT2_T3_mT4_P12ihipStream_tbEUlT_E_NS1_11comp_targetILNS1_3genE10ELNS1_11target_archE1200ELNS1_3gpuE4ELNS1_3repE0EEENS1_30default_config_static_selectorELNS0_4arch9wavefront6targetE1EEEvT1_, .Lfunc_end1539-_ZN7rocprim17ROCPRIM_400000_NS6detail17trampoline_kernelINS0_14default_configENS1_25transform_config_selectorIxLb0EEEZNS1_14transform_implILb0ES3_S5_N6thrust23THRUST_200600_302600_NS6detail15normal_iteratorINS8_10device_ptrIxEEEEPxNS0_8identityIxEEEE10hipError_tT2_T3_mT4_P12ihipStream_tbEUlT_E_NS1_11comp_targetILNS1_3genE10ELNS1_11target_archE1200ELNS1_3gpuE4ELNS1_3repE0EEENS1_30default_config_static_selectorELNS0_4arch9wavefront6targetE1EEEvT1_
                                        ; -- End function
	.section	.AMDGPU.csdata,"",@progbits
; Kernel info:
; codeLenInByte = 0
; NumSgprs: 6
; NumVgprs: 0
; NumAgprs: 0
; TotalNumVgprs: 0
; ScratchSize: 0
; MemoryBound: 0
; FloatMode: 240
; IeeeMode: 1
; LDSByteSize: 0 bytes/workgroup (compile time only)
; SGPRBlocks: 0
; VGPRBlocks: 0
; NumSGPRsForWavesPerEU: 6
; NumVGPRsForWavesPerEU: 1
; AccumOffset: 4
; Occupancy: 8
; WaveLimiterHint : 0
; COMPUTE_PGM_RSRC2:SCRATCH_EN: 0
; COMPUTE_PGM_RSRC2:USER_SGPR: 2
; COMPUTE_PGM_RSRC2:TRAP_HANDLER: 0
; COMPUTE_PGM_RSRC2:TGID_X_EN: 1
; COMPUTE_PGM_RSRC2:TGID_Y_EN: 0
; COMPUTE_PGM_RSRC2:TGID_Z_EN: 0
; COMPUTE_PGM_RSRC2:TIDIG_COMP_CNT: 0
; COMPUTE_PGM_RSRC3_GFX90A:ACCUM_OFFSET: 0
; COMPUTE_PGM_RSRC3_GFX90A:TG_SPLIT: 0
	.section	.text._ZN7rocprim17ROCPRIM_400000_NS6detail17trampoline_kernelINS0_14default_configENS1_25transform_config_selectorIxLb0EEEZNS1_14transform_implILb0ES3_S5_N6thrust23THRUST_200600_302600_NS6detail15normal_iteratorINS8_10device_ptrIxEEEEPxNS0_8identityIxEEEE10hipError_tT2_T3_mT4_P12ihipStream_tbEUlT_E_NS1_11comp_targetILNS1_3genE9ELNS1_11target_archE1100ELNS1_3gpuE3ELNS1_3repE0EEENS1_30default_config_static_selectorELNS0_4arch9wavefront6targetE1EEEvT1_,"axG",@progbits,_ZN7rocprim17ROCPRIM_400000_NS6detail17trampoline_kernelINS0_14default_configENS1_25transform_config_selectorIxLb0EEEZNS1_14transform_implILb0ES3_S5_N6thrust23THRUST_200600_302600_NS6detail15normal_iteratorINS8_10device_ptrIxEEEEPxNS0_8identityIxEEEE10hipError_tT2_T3_mT4_P12ihipStream_tbEUlT_E_NS1_11comp_targetILNS1_3genE9ELNS1_11target_archE1100ELNS1_3gpuE3ELNS1_3repE0EEENS1_30default_config_static_selectorELNS0_4arch9wavefront6targetE1EEEvT1_,comdat
	.protected	_ZN7rocprim17ROCPRIM_400000_NS6detail17trampoline_kernelINS0_14default_configENS1_25transform_config_selectorIxLb0EEEZNS1_14transform_implILb0ES3_S5_N6thrust23THRUST_200600_302600_NS6detail15normal_iteratorINS8_10device_ptrIxEEEEPxNS0_8identityIxEEEE10hipError_tT2_T3_mT4_P12ihipStream_tbEUlT_E_NS1_11comp_targetILNS1_3genE9ELNS1_11target_archE1100ELNS1_3gpuE3ELNS1_3repE0EEENS1_30default_config_static_selectorELNS0_4arch9wavefront6targetE1EEEvT1_ ; -- Begin function _ZN7rocprim17ROCPRIM_400000_NS6detail17trampoline_kernelINS0_14default_configENS1_25transform_config_selectorIxLb0EEEZNS1_14transform_implILb0ES3_S5_N6thrust23THRUST_200600_302600_NS6detail15normal_iteratorINS8_10device_ptrIxEEEEPxNS0_8identityIxEEEE10hipError_tT2_T3_mT4_P12ihipStream_tbEUlT_E_NS1_11comp_targetILNS1_3genE9ELNS1_11target_archE1100ELNS1_3gpuE3ELNS1_3repE0EEENS1_30default_config_static_selectorELNS0_4arch9wavefront6targetE1EEEvT1_
	.globl	_ZN7rocprim17ROCPRIM_400000_NS6detail17trampoline_kernelINS0_14default_configENS1_25transform_config_selectorIxLb0EEEZNS1_14transform_implILb0ES3_S5_N6thrust23THRUST_200600_302600_NS6detail15normal_iteratorINS8_10device_ptrIxEEEEPxNS0_8identityIxEEEE10hipError_tT2_T3_mT4_P12ihipStream_tbEUlT_E_NS1_11comp_targetILNS1_3genE9ELNS1_11target_archE1100ELNS1_3gpuE3ELNS1_3repE0EEENS1_30default_config_static_selectorELNS0_4arch9wavefront6targetE1EEEvT1_
	.p2align	8
	.type	_ZN7rocprim17ROCPRIM_400000_NS6detail17trampoline_kernelINS0_14default_configENS1_25transform_config_selectorIxLb0EEEZNS1_14transform_implILb0ES3_S5_N6thrust23THRUST_200600_302600_NS6detail15normal_iteratorINS8_10device_ptrIxEEEEPxNS0_8identityIxEEEE10hipError_tT2_T3_mT4_P12ihipStream_tbEUlT_E_NS1_11comp_targetILNS1_3genE9ELNS1_11target_archE1100ELNS1_3gpuE3ELNS1_3repE0EEENS1_30default_config_static_selectorELNS0_4arch9wavefront6targetE1EEEvT1_,@function
_ZN7rocprim17ROCPRIM_400000_NS6detail17trampoline_kernelINS0_14default_configENS1_25transform_config_selectorIxLb0EEEZNS1_14transform_implILb0ES3_S5_N6thrust23THRUST_200600_302600_NS6detail15normal_iteratorINS8_10device_ptrIxEEEEPxNS0_8identityIxEEEE10hipError_tT2_T3_mT4_P12ihipStream_tbEUlT_E_NS1_11comp_targetILNS1_3genE9ELNS1_11target_archE1100ELNS1_3gpuE3ELNS1_3repE0EEENS1_30default_config_static_selectorELNS0_4arch9wavefront6targetE1EEEvT1_: ; @_ZN7rocprim17ROCPRIM_400000_NS6detail17trampoline_kernelINS0_14default_configENS1_25transform_config_selectorIxLb0EEEZNS1_14transform_implILb0ES3_S5_N6thrust23THRUST_200600_302600_NS6detail15normal_iteratorINS8_10device_ptrIxEEEEPxNS0_8identityIxEEEE10hipError_tT2_T3_mT4_P12ihipStream_tbEUlT_E_NS1_11comp_targetILNS1_3genE9ELNS1_11target_archE1100ELNS1_3gpuE3ELNS1_3repE0EEENS1_30default_config_static_selectorELNS0_4arch9wavefront6targetE1EEEvT1_
; %bb.0:
	.section	.rodata,"a",@progbits
	.p2align	6, 0x0
	.amdhsa_kernel _ZN7rocprim17ROCPRIM_400000_NS6detail17trampoline_kernelINS0_14default_configENS1_25transform_config_selectorIxLb0EEEZNS1_14transform_implILb0ES3_S5_N6thrust23THRUST_200600_302600_NS6detail15normal_iteratorINS8_10device_ptrIxEEEEPxNS0_8identityIxEEEE10hipError_tT2_T3_mT4_P12ihipStream_tbEUlT_E_NS1_11comp_targetILNS1_3genE9ELNS1_11target_archE1100ELNS1_3gpuE3ELNS1_3repE0EEENS1_30default_config_static_selectorELNS0_4arch9wavefront6targetE1EEEvT1_
		.amdhsa_group_segment_fixed_size 0
		.amdhsa_private_segment_fixed_size 0
		.amdhsa_kernarg_size 40
		.amdhsa_user_sgpr_count 2
		.amdhsa_user_sgpr_dispatch_ptr 0
		.amdhsa_user_sgpr_queue_ptr 0
		.amdhsa_user_sgpr_kernarg_segment_ptr 1
		.amdhsa_user_sgpr_dispatch_id 0
		.amdhsa_user_sgpr_kernarg_preload_length 0
		.amdhsa_user_sgpr_kernarg_preload_offset 0
		.amdhsa_user_sgpr_private_segment_size 0
		.amdhsa_uses_dynamic_stack 0
		.amdhsa_enable_private_segment 0
		.amdhsa_system_sgpr_workgroup_id_x 1
		.amdhsa_system_sgpr_workgroup_id_y 0
		.amdhsa_system_sgpr_workgroup_id_z 0
		.amdhsa_system_sgpr_workgroup_info 0
		.amdhsa_system_vgpr_workitem_id 0
		.amdhsa_next_free_vgpr 1
		.amdhsa_next_free_sgpr 0
		.amdhsa_accum_offset 4
		.amdhsa_reserve_vcc 0
		.amdhsa_float_round_mode_32 0
		.amdhsa_float_round_mode_16_64 0
		.amdhsa_float_denorm_mode_32 3
		.amdhsa_float_denorm_mode_16_64 3
		.amdhsa_dx10_clamp 1
		.amdhsa_ieee_mode 1
		.amdhsa_fp16_overflow 0
		.amdhsa_tg_split 0
		.amdhsa_exception_fp_ieee_invalid_op 0
		.amdhsa_exception_fp_denorm_src 0
		.amdhsa_exception_fp_ieee_div_zero 0
		.amdhsa_exception_fp_ieee_overflow 0
		.amdhsa_exception_fp_ieee_underflow 0
		.amdhsa_exception_fp_ieee_inexact 0
		.amdhsa_exception_int_div_zero 0
	.end_amdhsa_kernel
	.section	.text._ZN7rocprim17ROCPRIM_400000_NS6detail17trampoline_kernelINS0_14default_configENS1_25transform_config_selectorIxLb0EEEZNS1_14transform_implILb0ES3_S5_N6thrust23THRUST_200600_302600_NS6detail15normal_iteratorINS8_10device_ptrIxEEEEPxNS0_8identityIxEEEE10hipError_tT2_T3_mT4_P12ihipStream_tbEUlT_E_NS1_11comp_targetILNS1_3genE9ELNS1_11target_archE1100ELNS1_3gpuE3ELNS1_3repE0EEENS1_30default_config_static_selectorELNS0_4arch9wavefront6targetE1EEEvT1_,"axG",@progbits,_ZN7rocprim17ROCPRIM_400000_NS6detail17trampoline_kernelINS0_14default_configENS1_25transform_config_selectorIxLb0EEEZNS1_14transform_implILb0ES3_S5_N6thrust23THRUST_200600_302600_NS6detail15normal_iteratorINS8_10device_ptrIxEEEEPxNS0_8identityIxEEEE10hipError_tT2_T3_mT4_P12ihipStream_tbEUlT_E_NS1_11comp_targetILNS1_3genE9ELNS1_11target_archE1100ELNS1_3gpuE3ELNS1_3repE0EEENS1_30default_config_static_selectorELNS0_4arch9wavefront6targetE1EEEvT1_,comdat
.Lfunc_end1540:
	.size	_ZN7rocprim17ROCPRIM_400000_NS6detail17trampoline_kernelINS0_14default_configENS1_25transform_config_selectorIxLb0EEEZNS1_14transform_implILb0ES3_S5_N6thrust23THRUST_200600_302600_NS6detail15normal_iteratorINS8_10device_ptrIxEEEEPxNS0_8identityIxEEEE10hipError_tT2_T3_mT4_P12ihipStream_tbEUlT_E_NS1_11comp_targetILNS1_3genE9ELNS1_11target_archE1100ELNS1_3gpuE3ELNS1_3repE0EEENS1_30default_config_static_selectorELNS0_4arch9wavefront6targetE1EEEvT1_, .Lfunc_end1540-_ZN7rocprim17ROCPRIM_400000_NS6detail17trampoline_kernelINS0_14default_configENS1_25transform_config_selectorIxLb0EEEZNS1_14transform_implILb0ES3_S5_N6thrust23THRUST_200600_302600_NS6detail15normal_iteratorINS8_10device_ptrIxEEEEPxNS0_8identityIxEEEE10hipError_tT2_T3_mT4_P12ihipStream_tbEUlT_E_NS1_11comp_targetILNS1_3genE9ELNS1_11target_archE1100ELNS1_3gpuE3ELNS1_3repE0EEENS1_30default_config_static_selectorELNS0_4arch9wavefront6targetE1EEEvT1_
                                        ; -- End function
	.section	.AMDGPU.csdata,"",@progbits
; Kernel info:
; codeLenInByte = 0
; NumSgprs: 6
; NumVgprs: 0
; NumAgprs: 0
; TotalNumVgprs: 0
; ScratchSize: 0
; MemoryBound: 0
; FloatMode: 240
; IeeeMode: 1
; LDSByteSize: 0 bytes/workgroup (compile time only)
; SGPRBlocks: 0
; VGPRBlocks: 0
; NumSGPRsForWavesPerEU: 6
; NumVGPRsForWavesPerEU: 1
; AccumOffset: 4
; Occupancy: 8
; WaveLimiterHint : 0
; COMPUTE_PGM_RSRC2:SCRATCH_EN: 0
; COMPUTE_PGM_RSRC2:USER_SGPR: 2
; COMPUTE_PGM_RSRC2:TRAP_HANDLER: 0
; COMPUTE_PGM_RSRC2:TGID_X_EN: 1
; COMPUTE_PGM_RSRC2:TGID_Y_EN: 0
; COMPUTE_PGM_RSRC2:TGID_Z_EN: 0
; COMPUTE_PGM_RSRC2:TIDIG_COMP_CNT: 0
; COMPUTE_PGM_RSRC3_GFX90A:ACCUM_OFFSET: 0
; COMPUTE_PGM_RSRC3_GFX90A:TG_SPLIT: 0
	.section	.text._ZN7rocprim17ROCPRIM_400000_NS6detail17trampoline_kernelINS0_14default_configENS1_25transform_config_selectorIxLb0EEEZNS1_14transform_implILb0ES3_S5_N6thrust23THRUST_200600_302600_NS6detail15normal_iteratorINS8_10device_ptrIxEEEEPxNS0_8identityIxEEEE10hipError_tT2_T3_mT4_P12ihipStream_tbEUlT_E_NS1_11comp_targetILNS1_3genE8ELNS1_11target_archE1030ELNS1_3gpuE2ELNS1_3repE0EEENS1_30default_config_static_selectorELNS0_4arch9wavefront6targetE1EEEvT1_,"axG",@progbits,_ZN7rocprim17ROCPRIM_400000_NS6detail17trampoline_kernelINS0_14default_configENS1_25transform_config_selectorIxLb0EEEZNS1_14transform_implILb0ES3_S5_N6thrust23THRUST_200600_302600_NS6detail15normal_iteratorINS8_10device_ptrIxEEEEPxNS0_8identityIxEEEE10hipError_tT2_T3_mT4_P12ihipStream_tbEUlT_E_NS1_11comp_targetILNS1_3genE8ELNS1_11target_archE1030ELNS1_3gpuE2ELNS1_3repE0EEENS1_30default_config_static_selectorELNS0_4arch9wavefront6targetE1EEEvT1_,comdat
	.protected	_ZN7rocprim17ROCPRIM_400000_NS6detail17trampoline_kernelINS0_14default_configENS1_25transform_config_selectorIxLb0EEEZNS1_14transform_implILb0ES3_S5_N6thrust23THRUST_200600_302600_NS6detail15normal_iteratorINS8_10device_ptrIxEEEEPxNS0_8identityIxEEEE10hipError_tT2_T3_mT4_P12ihipStream_tbEUlT_E_NS1_11comp_targetILNS1_3genE8ELNS1_11target_archE1030ELNS1_3gpuE2ELNS1_3repE0EEENS1_30default_config_static_selectorELNS0_4arch9wavefront6targetE1EEEvT1_ ; -- Begin function _ZN7rocprim17ROCPRIM_400000_NS6detail17trampoline_kernelINS0_14default_configENS1_25transform_config_selectorIxLb0EEEZNS1_14transform_implILb0ES3_S5_N6thrust23THRUST_200600_302600_NS6detail15normal_iteratorINS8_10device_ptrIxEEEEPxNS0_8identityIxEEEE10hipError_tT2_T3_mT4_P12ihipStream_tbEUlT_E_NS1_11comp_targetILNS1_3genE8ELNS1_11target_archE1030ELNS1_3gpuE2ELNS1_3repE0EEENS1_30default_config_static_selectorELNS0_4arch9wavefront6targetE1EEEvT1_
	.globl	_ZN7rocprim17ROCPRIM_400000_NS6detail17trampoline_kernelINS0_14default_configENS1_25transform_config_selectorIxLb0EEEZNS1_14transform_implILb0ES3_S5_N6thrust23THRUST_200600_302600_NS6detail15normal_iteratorINS8_10device_ptrIxEEEEPxNS0_8identityIxEEEE10hipError_tT2_T3_mT4_P12ihipStream_tbEUlT_E_NS1_11comp_targetILNS1_3genE8ELNS1_11target_archE1030ELNS1_3gpuE2ELNS1_3repE0EEENS1_30default_config_static_selectorELNS0_4arch9wavefront6targetE1EEEvT1_
	.p2align	8
	.type	_ZN7rocprim17ROCPRIM_400000_NS6detail17trampoline_kernelINS0_14default_configENS1_25transform_config_selectorIxLb0EEEZNS1_14transform_implILb0ES3_S5_N6thrust23THRUST_200600_302600_NS6detail15normal_iteratorINS8_10device_ptrIxEEEEPxNS0_8identityIxEEEE10hipError_tT2_T3_mT4_P12ihipStream_tbEUlT_E_NS1_11comp_targetILNS1_3genE8ELNS1_11target_archE1030ELNS1_3gpuE2ELNS1_3repE0EEENS1_30default_config_static_selectorELNS0_4arch9wavefront6targetE1EEEvT1_,@function
_ZN7rocprim17ROCPRIM_400000_NS6detail17trampoline_kernelINS0_14default_configENS1_25transform_config_selectorIxLb0EEEZNS1_14transform_implILb0ES3_S5_N6thrust23THRUST_200600_302600_NS6detail15normal_iteratorINS8_10device_ptrIxEEEEPxNS0_8identityIxEEEE10hipError_tT2_T3_mT4_P12ihipStream_tbEUlT_E_NS1_11comp_targetILNS1_3genE8ELNS1_11target_archE1030ELNS1_3gpuE2ELNS1_3repE0EEENS1_30default_config_static_selectorELNS0_4arch9wavefront6targetE1EEEvT1_: ; @_ZN7rocprim17ROCPRIM_400000_NS6detail17trampoline_kernelINS0_14default_configENS1_25transform_config_selectorIxLb0EEEZNS1_14transform_implILb0ES3_S5_N6thrust23THRUST_200600_302600_NS6detail15normal_iteratorINS8_10device_ptrIxEEEEPxNS0_8identityIxEEEE10hipError_tT2_T3_mT4_P12ihipStream_tbEUlT_E_NS1_11comp_targetILNS1_3genE8ELNS1_11target_archE1030ELNS1_3gpuE2ELNS1_3repE0EEENS1_30default_config_static_selectorELNS0_4arch9wavefront6targetE1EEEvT1_
; %bb.0:
	.section	.rodata,"a",@progbits
	.p2align	6, 0x0
	.amdhsa_kernel _ZN7rocprim17ROCPRIM_400000_NS6detail17trampoline_kernelINS0_14default_configENS1_25transform_config_selectorIxLb0EEEZNS1_14transform_implILb0ES3_S5_N6thrust23THRUST_200600_302600_NS6detail15normal_iteratorINS8_10device_ptrIxEEEEPxNS0_8identityIxEEEE10hipError_tT2_T3_mT4_P12ihipStream_tbEUlT_E_NS1_11comp_targetILNS1_3genE8ELNS1_11target_archE1030ELNS1_3gpuE2ELNS1_3repE0EEENS1_30default_config_static_selectorELNS0_4arch9wavefront6targetE1EEEvT1_
		.amdhsa_group_segment_fixed_size 0
		.amdhsa_private_segment_fixed_size 0
		.amdhsa_kernarg_size 40
		.amdhsa_user_sgpr_count 2
		.amdhsa_user_sgpr_dispatch_ptr 0
		.amdhsa_user_sgpr_queue_ptr 0
		.amdhsa_user_sgpr_kernarg_segment_ptr 1
		.amdhsa_user_sgpr_dispatch_id 0
		.amdhsa_user_sgpr_kernarg_preload_length 0
		.amdhsa_user_sgpr_kernarg_preload_offset 0
		.amdhsa_user_sgpr_private_segment_size 0
		.amdhsa_uses_dynamic_stack 0
		.amdhsa_enable_private_segment 0
		.amdhsa_system_sgpr_workgroup_id_x 1
		.amdhsa_system_sgpr_workgroup_id_y 0
		.amdhsa_system_sgpr_workgroup_id_z 0
		.amdhsa_system_sgpr_workgroup_info 0
		.amdhsa_system_vgpr_workitem_id 0
		.amdhsa_next_free_vgpr 1
		.amdhsa_next_free_sgpr 0
		.amdhsa_accum_offset 4
		.amdhsa_reserve_vcc 0
		.amdhsa_float_round_mode_32 0
		.amdhsa_float_round_mode_16_64 0
		.amdhsa_float_denorm_mode_32 3
		.amdhsa_float_denorm_mode_16_64 3
		.amdhsa_dx10_clamp 1
		.amdhsa_ieee_mode 1
		.amdhsa_fp16_overflow 0
		.amdhsa_tg_split 0
		.amdhsa_exception_fp_ieee_invalid_op 0
		.amdhsa_exception_fp_denorm_src 0
		.amdhsa_exception_fp_ieee_div_zero 0
		.amdhsa_exception_fp_ieee_overflow 0
		.amdhsa_exception_fp_ieee_underflow 0
		.amdhsa_exception_fp_ieee_inexact 0
		.amdhsa_exception_int_div_zero 0
	.end_amdhsa_kernel
	.section	.text._ZN7rocprim17ROCPRIM_400000_NS6detail17trampoline_kernelINS0_14default_configENS1_25transform_config_selectorIxLb0EEEZNS1_14transform_implILb0ES3_S5_N6thrust23THRUST_200600_302600_NS6detail15normal_iteratorINS8_10device_ptrIxEEEEPxNS0_8identityIxEEEE10hipError_tT2_T3_mT4_P12ihipStream_tbEUlT_E_NS1_11comp_targetILNS1_3genE8ELNS1_11target_archE1030ELNS1_3gpuE2ELNS1_3repE0EEENS1_30default_config_static_selectorELNS0_4arch9wavefront6targetE1EEEvT1_,"axG",@progbits,_ZN7rocprim17ROCPRIM_400000_NS6detail17trampoline_kernelINS0_14default_configENS1_25transform_config_selectorIxLb0EEEZNS1_14transform_implILb0ES3_S5_N6thrust23THRUST_200600_302600_NS6detail15normal_iteratorINS8_10device_ptrIxEEEEPxNS0_8identityIxEEEE10hipError_tT2_T3_mT4_P12ihipStream_tbEUlT_E_NS1_11comp_targetILNS1_3genE8ELNS1_11target_archE1030ELNS1_3gpuE2ELNS1_3repE0EEENS1_30default_config_static_selectorELNS0_4arch9wavefront6targetE1EEEvT1_,comdat
.Lfunc_end1541:
	.size	_ZN7rocprim17ROCPRIM_400000_NS6detail17trampoline_kernelINS0_14default_configENS1_25transform_config_selectorIxLb0EEEZNS1_14transform_implILb0ES3_S5_N6thrust23THRUST_200600_302600_NS6detail15normal_iteratorINS8_10device_ptrIxEEEEPxNS0_8identityIxEEEE10hipError_tT2_T3_mT4_P12ihipStream_tbEUlT_E_NS1_11comp_targetILNS1_3genE8ELNS1_11target_archE1030ELNS1_3gpuE2ELNS1_3repE0EEENS1_30default_config_static_selectorELNS0_4arch9wavefront6targetE1EEEvT1_, .Lfunc_end1541-_ZN7rocprim17ROCPRIM_400000_NS6detail17trampoline_kernelINS0_14default_configENS1_25transform_config_selectorIxLb0EEEZNS1_14transform_implILb0ES3_S5_N6thrust23THRUST_200600_302600_NS6detail15normal_iteratorINS8_10device_ptrIxEEEEPxNS0_8identityIxEEEE10hipError_tT2_T3_mT4_P12ihipStream_tbEUlT_E_NS1_11comp_targetILNS1_3genE8ELNS1_11target_archE1030ELNS1_3gpuE2ELNS1_3repE0EEENS1_30default_config_static_selectorELNS0_4arch9wavefront6targetE1EEEvT1_
                                        ; -- End function
	.section	.AMDGPU.csdata,"",@progbits
; Kernel info:
; codeLenInByte = 0
; NumSgprs: 6
; NumVgprs: 0
; NumAgprs: 0
; TotalNumVgprs: 0
; ScratchSize: 0
; MemoryBound: 0
; FloatMode: 240
; IeeeMode: 1
; LDSByteSize: 0 bytes/workgroup (compile time only)
; SGPRBlocks: 0
; VGPRBlocks: 0
; NumSGPRsForWavesPerEU: 6
; NumVGPRsForWavesPerEU: 1
; AccumOffset: 4
; Occupancy: 8
; WaveLimiterHint : 0
; COMPUTE_PGM_RSRC2:SCRATCH_EN: 0
; COMPUTE_PGM_RSRC2:USER_SGPR: 2
; COMPUTE_PGM_RSRC2:TRAP_HANDLER: 0
; COMPUTE_PGM_RSRC2:TGID_X_EN: 1
; COMPUTE_PGM_RSRC2:TGID_Y_EN: 0
; COMPUTE_PGM_RSRC2:TGID_Z_EN: 0
; COMPUTE_PGM_RSRC2:TIDIG_COMP_CNT: 0
; COMPUTE_PGM_RSRC3_GFX90A:ACCUM_OFFSET: 0
; COMPUTE_PGM_RSRC3_GFX90A:TG_SPLIT: 0
	.section	.text._ZN7rocprim17ROCPRIM_400000_NS6detail17trampoline_kernelINS0_14default_configENS1_35radix_sort_onesweep_config_selectorIxNS0_10empty_typeEEEZZNS1_29radix_sort_onesweep_iterationIS3_Lb0EN6thrust23THRUST_200600_302600_NS6detail15normal_iteratorINS9_10device_ptrIxEEEESE_PS5_SF_jNS0_19identity_decomposerENS1_16block_id_wrapperIjLb1EEEEE10hipError_tT1_PNSt15iterator_traitsISK_E10value_typeET2_T3_PNSL_ISQ_E10value_typeET4_T5_PSV_SW_PNS1_23onesweep_lookback_stateEbbT6_jjT7_P12ihipStream_tbENKUlT_T0_SK_SP_E_clISE_SE_SF_SF_EEDaS13_S14_SK_SP_EUlS13_E_NS1_11comp_targetILNS1_3genE0ELNS1_11target_archE4294967295ELNS1_3gpuE0ELNS1_3repE0EEENS1_47radix_sort_onesweep_sort_config_static_selectorELNS0_4arch9wavefront6targetE1EEEvSK_,"axG",@progbits,_ZN7rocprim17ROCPRIM_400000_NS6detail17trampoline_kernelINS0_14default_configENS1_35radix_sort_onesweep_config_selectorIxNS0_10empty_typeEEEZZNS1_29radix_sort_onesweep_iterationIS3_Lb0EN6thrust23THRUST_200600_302600_NS6detail15normal_iteratorINS9_10device_ptrIxEEEESE_PS5_SF_jNS0_19identity_decomposerENS1_16block_id_wrapperIjLb1EEEEE10hipError_tT1_PNSt15iterator_traitsISK_E10value_typeET2_T3_PNSL_ISQ_E10value_typeET4_T5_PSV_SW_PNS1_23onesweep_lookback_stateEbbT6_jjT7_P12ihipStream_tbENKUlT_T0_SK_SP_E_clISE_SE_SF_SF_EEDaS13_S14_SK_SP_EUlS13_E_NS1_11comp_targetILNS1_3genE0ELNS1_11target_archE4294967295ELNS1_3gpuE0ELNS1_3repE0EEENS1_47radix_sort_onesweep_sort_config_static_selectorELNS0_4arch9wavefront6targetE1EEEvSK_,comdat
	.protected	_ZN7rocprim17ROCPRIM_400000_NS6detail17trampoline_kernelINS0_14default_configENS1_35radix_sort_onesweep_config_selectorIxNS0_10empty_typeEEEZZNS1_29radix_sort_onesweep_iterationIS3_Lb0EN6thrust23THRUST_200600_302600_NS6detail15normal_iteratorINS9_10device_ptrIxEEEESE_PS5_SF_jNS0_19identity_decomposerENS1_16block_id_wrapperIjLb1EEEEE10hipError_tT1_PNSt15iterator_traitsISK_E10value_typeET2_T3_PNSL_ISQ_E10value_typeET4_T5_PSV_SW_PNS1_23onesweep_lookback_stateEbbT6_jjT7_P12ihipStream_tbENKUlT_T0_SK_SP_E_clISE_SE_SF_SF_EEDaS13_S14_SK_SP_EUlS13_E_NS1_11comp_targetILNS1_3genE0ELNS1_11target_archE4294967295ELNS1_3gpuE0ELNS1_3repE0EEENS1_47radix_sort_onesweep_sort_config_static_selectorELNS0_4arch9wavefront6targetE1EEEvSK_ ; -- Begin function _ZN7rocprim17ROCPRIM_400000_NS6detail17trampoline_kernelINS0_14default_configENS1_35radix_sort_onesweep_config_selectorIxNS0_10empty_typeEEEZZNS1_29radix_sort_onesweep_iterationIS3_Lb0EN6thrust23THRUST_200600_302600_NS6detail15normal_iteratorINS9_10device_ptrIxEEEESE_PS5_SF_jNS0_19identity_decomposerENS1_16block_id_wrapperIjLb1EEEEE10hipError_tT1_PNSt15iterator_traitsISK_E10value_typeET2_T3_PNSL_ISQ_E10value_typeET4_T5_PSV_SW_PNS1_23onesweep_lookback_stateEbbT6_jjT7_P12ihipStream_tbENKUlT_T0_SK_SP_E_clISE_SE_SF_SF_EEDaS13_S14_SK_SP_EUlS13_E_NS1_11comp_targetILNS1_3genE0ELNS1_11target_archE4294967295ELNS1_3gpuE0ELNS1_3repE0EEENS1_47radix_sort_onesweep_sort_config_static_selectorELNS0_4arch9wavefront6targetE1EEEvSK_
	.globl	_ZN7rocprim17ROCPRIM_400000_NS6detail17trampoline_kernelINS0_14default_configENS1_35radix_sort_onesweep_config_selectorIxNS0_10empty_typeEEEZZNS1_29radix_sort_onesweep_iterationIS3_Lb0EN6thrust23THRUST_200600_302600_NS6detail15normal_iteratorINS9_10device_ptrIxEEEESE_PS5_SF_jNS0_19identity_decomposerENS1_16block_id_wrapperIjLb1EEEEE10hipError_tT1_PNSt15iterator_traitsISK_E10value_typeET2_T3_PNSL_ISQ_E10value_typeET4_T5_PSV_SW_PNS1_23onesweep_lookback_stateEbbT6_jjT7_P12ihipStream_tbENKUlT_T0_SK_SP_E_clISE_SE_SF_SF_EEDaS13_S14_SK_SP_EUlS13_E_NS1_11comp_targetILNS1_3genE0ELNS1_11target_archE4294967295ELNS1_3gpuE0ELNS1_3repE0EEENS1_47radix_sort_onesweep_sort_config_static_selectorELNS0_4arch9wavefront6targetE1EEEvSK_
	.p2align	8
	.type	_ZN7rocprim17ROCPRIM_400000_NS6detail17trampoline_kernelINS0_14default_configENS1_35radix_sort_onesweep_config_selectorIxNS0_10empty_typeEEEZZNS1_29radix_sort_onesweep_iterationIS3_Lb0EN6thrust23THRUST_200600_302600_NS6detail15normal_iteratorINS9_10device_ptrIxEEEESE_PS5_SF_jNS0_19identity_decomposerENS1_16block_id_wrapperIjLb1EEEEE10hipError_tT1_PNSt15iterator_traitsISK_E10value_typeET2_T3_PNSL_ISQ_E10value_typeET4_T5_PSV_SW_PNS1_23onesweep_lookback_stateEbbT6_jjT7_P12ihipStream_tbENKUlT_T0_SK_SP_E_clISE_SE_SF_SF_EEDaS13_S14_SK_SP_EUlS13_E_NS1_11comp_targetILNS1_3genE0ELNS1_11target_archE4294967295ELNS1_3gpuE0ELNS1_3repE0EEENS1_47radix_sort_onesweep_sort_config_static_selectorELNS0_4arch9wavefront6targetE1EEEvSK_,@function
_ZN7rocprim17ROCPRIM_400000_NS6detail17trampoline_kernelINS0_14default_configENS1_35radix_sort_onesweep_config_selectorIxNS0_10empty_typeEEEZZNS1_29radix_sort_onesweep_iterationIS3_Lb0EN6thrust23THRUST_200600_302600_NS6detail15normal_iteratorINS9_10device_ptrIxEEEESE_PS5_SF_jNS0_19identity_decomposerENS1_16block_id_wrapperIjLb1EEEEE10hipError_tT1_PNSt15iterator_traitsISK_E10value_typeET2_T3_PNSL_ISQ_E10value_typeET4_T5_PSV_SW_PNS1_23onesweep_lookback_stateEbbT6_jjT7_P12ihipStream_tbENKUlT_T0_SK_SP_E_clISE_SE_SF_SF_EEDaS13_S14_SK_SP_EUlS13_E_NS1_11comp_targetILNS1_3genE0ELNS1_11target_archE4294967295ELNS1_3gpuE0ELNS1_3repE0EEENS1_47radix_sort_onesweep_sort_config_static_selectorELNS0_4arch9wavefront6targetE1EEEvSK_: ; @_ZN7rocprim17ROCPRIM_400000_NS6detail17trampoline_kernelINS0_14default_configENS1_35radix_sort_onesweep_config_selectorIxNS0_10empty_typeEEEZZNS1_29radix_sort_onesweep_iterationIS3_Lb0EN6thrust23THRUST_200600_302600_NS6detail15normal_iteratorINS9_10device_ptrIxEEEESE_PS5_SF_jNS0_19identity_decomposerENS1_16block_id_wrapperIjLb1EEEEE10hipError_tT1_PNSt15iterator_traitsISK_E10value_typeET2_T3_PNSL_ISQ_E10value_typeET4_T5_PSV_SW_PNS1_23onesweep_lookback_stateEbbT6_jjT7_P12ihipStream_tbENKUlT_T0_SK_SP_E_clISE_SE_SF_SF_EEDaS13_S14_SK_SP_EUlS13_E_NS1_11comp_targetILNS1_3genE0ELNS1_11target_archE4294967295ELNS1_3gpuE0ELNS1_3repE0EEENS1_47radix_sort_onesweep_sort_config_static_selectorELNS0_4arch9wavefront6targetE1EEEvSK_
; %bb.0:
	.section	.rodata,"a",@progbits
	.p2align	6, 0x0
	.amdhsa_kernel _ZN7rocprim17ROCPRIM_400000_NS6detail17trampoline_kernelINS0_14default_configENS1_35radix_sort_onesweep_config_selectorIxNS0_10empty_typeEEEZZNS1_29radix_sort_onesweep_iterationIS3_Lb0EN6thrust23THRUST_200600_302600_NS6detail15normal_iteratorINS9_10device_ptrIxEEEESE_PS5_SF_jNS0_19identity_decomposerENS1_16block_id_wrapperIjLb1EEEEE10hipError_tT1_PNSt15iterator_traitsISK_E10value_typeET2_T3_PNSL_ISQ_E10value_typeET4_T5_PSV_SW_PNS1_23onesweep_lookback_stateEbbT6_jjT7_P12ihipStream_tbENKUlT_T0_SK_SP_E_clISE_SE_SF_SF_EEDaS13_S14_SK_SP_EUlS13_E_NS1_11comp_targetILNS1_3genE0ELNS1_11target_archE4294967295ELNS1_3gpuE0ELNS1_3repE0EEENS1_47radix_sort_onesweep_sort_config_static_selectorELNS0_4arch9wavefront6targetE1EEEvSK_
		.amdhsa_group_segment_fixed_size 0
		.amdhsa_private_segment_fixed_size 0
		.amdhsa_kernarg_size 88
		.amdhsa_user_sgpr_count 2
		.amdhsa_user_sgpr_dispatch_ptr 0
		.amdhsa_user_sgpr_queue_ptr 0
		.amdhsa_user_sgpr_kernarg_segment_ptr 1
		.amdhsa_user_sgpr_dispatch_id 0
		.amdhsa_user_sgpr_kernarg_preload_length 0
		.amdhsa_user_sgpr_kernarg_preload_offset 0
		.amdhsa_user_sgpr_private_segment_size 0
		.amdhsa_uses_dynamic_stack 0
		.amdhsa_enable_private_segment 0
		.amdhsa_system_sgpr_workgroup_id_x 1
		.amdhsa_system_sgpr_workgroup_id_y 0
		.amdhsa_system_sgpr_workgroup_id_z 0
		.amdhsa_system_sgpr_workgroup_info 0
		.amdhsa_system_vgpr_workitem_id 0
		.amdhsa_next_free_vgpr 1
		.amdhsa_next_free_sgpr 0
		.amdhsa_accum_offset 4
		.amdhsa_reserve_vcc 0
		.amdhsa_float_round_mode_32 0
		.amdhsa_float_round_mode_16_64 0
		.amdhsa_float_denorm_mode_32 3
		.amdhsa_float_denorm_mode_16_64 3
		.amdhsa_dx10_clamp 1
		.amdhsa_ieee_mode 1
		.amdhsa_fp16_overflow 0
		.amdhsa_tg_split 0
		.amdhsa_exception_fp_ieee_invalid_op 0
		.amdhsa_exception_fp_denorm_src 0
		.amdhsa_exception_fp_ieee_div_zero 0
		.amdhsa_exception_fp_ieee_overflow 0
		.amdhsa_exception_fp_ieee_underflow 0
		.amdhsa_exception_fp_ieee_inexact 0
		.amdhsa_exception_int_div_zero 0
	.end_amdhsa_kernel
	.section	.text._ZN7rocprim17ROCPRIM_400000_NS6detail17trampoline_kernelINS0_14default_configENS1_35radix_sort_onesweep_config_selectorIxNS0_10empty_typeEEEZZNS1_29radix_sort_onesweep_iterationIS3_Lb0EN6thrust23THRUST_200600_302600_NS6detail15normal_iteratorINS9_10device_ptrIxEEEESE_PS5_SF_jNS0_19identity_decomposerENS1_16block_id_wrapperIjLb1EEEEE10hipError_tT1_PNSt15iterator_traitsISK_E10value_typeET2_T3_PNSL_ISQ_E10value_typeET4_T5_PSV_SW_PNS1_23onesweep_lookback_stateEbbT6_jjT7_P12ihipStream_tbENKUlT_T0_SK_SP_E_clISE_SE_SF_SF_EEDaS13_S14_SK_SP_EUlS13_E_NS1_11comp_targetILNS1_3genE0ELNS1_11target_archE4294967295ELNS1_3gpuE0ELNS1_3repE0EEENS1_47radix_sort_onesweep_sort_config_static_selectorELNS0_4arch9wavefront6targetE1EEEvSK_,"axG",@progbits,_ZN7rocprim17ROCPRIM_400000_NS6detail17trampoline_kernelINS0_14default_configENS1_35radix_sort_onesweep_config_selectorIxNS0_10empty_typeEEEZZNS1_29radix_sort_onesweep_iterationIS3_Lb0EN6thrust23THRUST_200600_302600_NS6detail15normal_iteratorINS9_10device_ptrIxEEEESE_PS5_SF_jNS0_19identity_decomposerENS1_16block_id_wrapperIjLb1EEEEE10hipError_tT1_PNSt15iterator_traitsISK_E10value_typeET2_T3_PNSL_ISQ_E10value_typeET4_T5_PSV_SW_PNS1_23onesweep_lookback_stateEbbT6_jjT7_P12ihipStream_tbENKUlT_T0_SK_SP_E_clISE_SE_SF_SF_EEDaS13_S14_SK_SP_EUlS13_E_NS1_11comp_targetILNS1_3genE0ELNS1_11target_archE4294967295ELNS1_3gpuE0ELNS1_3repE0EEENS1_47radix_sort_onesweep_sort_config_static_selectorELNS0_4arch9wavefront6targetE1EEEvSK_,comdat
.Lfunc_end1542:
	.size	_ZN7rocprim17ROCPRIM_400000_NS6detail17trampoline_kernelINS0_14default_configENS1_35radix_sort_onesweep_config_selectorIxNS0_10empty_typeEEEZZNS1_29radix_sort_onesweep_iterationIS3_Lb0EN6thrust23THRUST_200600_302600_NS6detail15normal_iteratorINS9_10device_ptrIxEEEESE_PS5_SF_jNS0_19identity_decomposerENS1_16block_id_wrapperIjLb1EEEEE10hipError_tT1_PNSt15iterator_traitsISK_E10value_typeET2_T3_PNSL_ISQ_E10value_typeET4_T5_PSV_SW_PNS1_23onesweep_lookback_stateEbbT6_jjT7_P12ihipStream_tbENKUlT_T0_SK_SP_E_clISE_SE_SF_SF_EEDaS13_S14_SK_SP_EUlS13_E_NS1_11comp_targetILNS1_3genE0ELNS1_11target_archE4294967295ELNS1_3gpuE0ELNS1_3repE0EEENS1_47radix_sort_onesweep_sort_config_static_selectorELNS0_4arch9wavefront6targetE1EEEvSK_, .Lfunc_end1542-_ZN7rocprim17ROCPRIM_400000_NS6detail17trampoline_kernelINS0_14default_configENS1_35radix_sort_onesweep_config_selectorIxNS0_10empty_typeEEEZZNS1_29radix_sort_onesweep_iterationIS3_Lb0EN6thrust23THRUST_200600_302600_NS6detail15normal_iteratorINS9_10device_ptrIxEEEESE_PS5_SF_jNS0_19identity_decomposerENS1_16block_id_wrapperIjLb1EEEEE10hipError_tT1_PNSt15iterator_traitsISK_E10value_typeET2_T3_PNSL_ISQ_E10value_typeET4_T5_PSV_SW_PNS1_23onesweep_lookback_stateEbbT6_jjT7_P12ihipStream_tbENKUlT_T0_SK_SP_E_clISE_SE_SF_SF_EEDaS13_S14_SK_SP_EUlS13_E_NS1_11comp_targetILNS1_3genE0ELNS1_11target_archE4294967295ELNS1_3gpuE0ELNS1_3repE0EEENS1_47radix_sort_onesweep_sort_config_static_selectorELNS0_4arch9wavefront6targetE1EEEvSK_
                                        ; -- End function
	.section	.AMDGPU.csdata,"",@progbits
; Kernel info:
; codeLenInByte = 0
; NumSgprs: 6
; NumVgprs: 0
; NumAgprs: 0
; TotalNumVgprs: 0
; ScratchSize: 0
; MemoryBound: 0
; FloatMode: 240
; IeeeMode: 1
; LDSByteSize: 0 bytes/workgroup (compile time only)
; SGPRBlocks: 0
; VGPRBlocks: 0
; NumSGPRsForWavesPerEU: 6
; NumVGPRsForWavesPerEU: 1
; AccumOffset: 4
; Occupancy: 8
; WaveLimiterHint : 0
; COMPUTE_PGM_RSRC2:SCRATCH_EN: 0
; COMPUTE_PGM_RSRC2:USER_SGPR: 2
; COMPUTE_PGM_RSRC2:TRAP_HANDLER: 0
; COMPUTE_PGM_RSRC2:TGID_X_EN: 1
; COMPUTE_PGM_RSRC2:TGID_Y_EN: 0
; COMPUTE_PGM_RSRC2:TGID_Z_EN: 0
; COMPUTE_PGM_RSRC2:TIDIG_COMP_CNT: 0
; COMPUTE_PGM_RSRC3_GFX90A:ACCUM_OFFSET: 0
; COMPUTE_PGM_RSRC3_GFX90A:TG_SPLIT: 0
	.section	.text._ZN7rocprim17ROCPRIM_400000_NS6detail17trampoline_kernelINS0_14default_configENS1_35radix_sort_onesweep_config_selectorIxNS0_10empty_typeEEEZZNS1_29radix_sort_onesweep_iterationIS3_Lb0EN6thrust23THRUST_200600_302600_NS6detail15normal_iteratorINS9_10device_ptrIxEEEESE_PS5_SF_jNS0_19identity_decomposerENS1_16block_id_wrapperIjLb1EEEEE10hipError_tT1_PNSt15iterator_traitsISK_E10value_typeET2_T3_PNSL_ISQ_E10value_typeET4_T5_PSV_SW_PNS1_23onesweep_lookback_stateEbbT6_jjT7_P12ihipStream_tbENKUlT_T0_SK_SP_E_clISE_SE_SF_SF_EEDaS13_S14_SK_SP_EUlS13_E_NS1_11comp_targetILNS1_3genE6ELNS1_11target_archE950ELNS1_3gpuE13ELNS1_3repE0EEENS1_47radix_sort_onesweep_sort_config_static_selectorELNS0_4arch9wavefront6targetE1EEEvSK_,"axG",@progbits,_ZN7rocprim17ROCPRIM_400000_NS6detail17trampoline_kernelINS0_14default_configENS1_35radix_sort_onesweep_config_selectorIxNS0_10empty_typeEEEZZNS1_29radix_sort_onesweep_iterationIS3_Lb0EN6thrust23THRUST_200600_302600_NS6detail15normal_iteratorINS9_10device_ptrIxEEEESE_PS5_SF_jNS0_19identity_decomposerENS1_16block_id_wrapperIjLb1EEEEE10hipError_tT1_PNSt15iterator_traitsISK_E10value_typeET2_T3_PNSL_ISQ_E10value_typeET4_T5_PSV_SW_PNS1_23onesweep_lookback_stateEbbT6_jjT7_P12ihipStream_tbENKUlT_T0_SK_SP_E_clISE_SE_SF_SF_EEDaS13_S14_SK_SP_EUlS13_E_NS1_11comp_targetILNS1_3genE6ELNS1_11target_archE950ELNS1_3gpuE13ELNS1_3repE0EEENS1_47radix_sort_onesweep_sort_config_static_selectorELNS0_4arch9wavefront6targetE1EEEvSK_,comdat
	.protected	_ZN7rocprim17ROCPRIM_400000_NS6detail17trampoline_kernelINS0_14default_configENS1_35radix_sort_onesweep_config_selectorIxNS0_10empty_typeEEEZZNS1_29radix_sort_onesweep_iterationIS3_Lb0EN6thrust23THRUST_200600_302600_NS6detail15normal_iteratorINS9_10device_ptrIxEEEESE_PS5_SF_jNS0_19identity_decomposerENS1_16block_id_wrapperIjLb1EEEEE10hipError_tT1_PNSt15iterator_traitsISK_E10value_typeET2_T3_PNSL_ISQ_E10value_typeET4_T5_PSV_SW_PNS1_23onesweep_lookback_stateEbbT6_jjT7_P12ihipStream_tbENKUlT_T0_SK_SP_E_clISE_SE_SF_SF_EEDaS13_S14_SK_SP_EUlS13_E_NS1_11comp_targetILNS1_3genE6ELNS1_11target_archE950ELNS1_3gpuE13ELNS1_3repE0EEENS1_47radix_sort_onesweep_sort_config_static_selectorELNS0_4arch9wavefront6targetE1EEEvSK_ ; -- Begin function _ZN7rocprim17ROCPRIM_400000_NS6detail17trampoline_kernelINS0_14default_configENS1_35radix_sort_onesweep_config_selectorIxNS0_10empty_typeEEEZZNS1_29radix_sort_onesweep_iterationIS3_Lb0EN6thrust23THRUST_200600_302600_NS6detail15normal_iteratorINS9_10device_ptrIxEEEESE_PS5_SF_jNS0_19identity_decomposerENS1_16block_id_wrapperIjLb1EEEEE10hipError_tT1_PNSt15iterator_traitsISK_E10value_typeET2_T3_PNSL_ISQ_E10value_typeET4_T5_PSV_SW_PNS1_23onesweep_lookback_stateEbbT6_jjT7_P12ihipStream_tbENKUlT_T0_SK_SP_E_clISE_SE_SF_SF_EEDaS13_S14_SK_SP_EUlS13_E_NS1_11comp_targetILNS1_3genE6ELNS1_11target_archE950ELNS1_3gpuE13ELNS1_3repE0EEENS1_47radix_sort_onesweep_sort_config_static_selectorELNS0_4arch9wavefront6targetE1EEEvSK_
	.globl	_ZN7rocprim17ROCPRIM_400000_NS6detail17trampoline_kernelINS0_14default_configENS1_35radix_sort_onesweep_config_selectorIxNS0_10empty_typeEEEZZNS1_29radix_sort_onesweep_iterationIS3_Lb0EN6thrust23THRUST_200600_302600_NS6detail15normal_iteratorINS9_10device_ptrIxEEEESE_PS5_SF_jNS0_19identity_decomposerENS1_16block_id_wrapperIjLb1EEEEE10hipError_tT1_PNSt15iterator_traitsISK_E10value_typeET2_T3_PNSL_ISQ_E10value_typeET4_T5_PSV_SW_PNS1_23onesweep_lookback_stateEbbT6_jjT7_P12ihipStream_tbENKUlT_T0_SK_SP_E_clISE_SE_SF_SF_EEDaS13_S14_SK_SP_EUlS13_E_NS1_11comp_targetILNS1_3genE6ELNS1_11target_archE950ELNS1_3gpuE13ELNS1_3repE0EEENS1_47radix_sort_onesweep_sort_config_static_selectorELNS0_4arch9wavefront6targetE1EEEvSK_
	.p2align	8
	.type	_ZN7rocprim17ROCPRIM_400000_NS6detail17trampoline_kernelINS0_14default_configENS1_35radix_sort_onesweep_config_selectorIxNS0_10empty_typeEEEZZNS1_29radix_sort_onesweep_iterationIS3_Lb0EN6thrust23THRUST_200600_302600_NS6detail15normal_iteratorINS9_10device_ptrIxEEEESE_PS5_SF_jNS0_19identity_decomposerENS1_16block_id_wrapperIjLb1EEEEE10hipError_tT1_PNSt15iterator_traitsISK_E10value_typeET2_T3_PNSL_ISQ_E10value_typeET4_T5_PSV_SW_PNS1_23onesweep_lookback_stateEbbT6_jjT7_P12ihipStream_tbENKUlT_T0_SK_SP_E_clISE_SE_SF_SF_EEDaS13_S14_SK_SP_EUlS13_E_NS1_11comp_targetILNS1_3genE6ELNS1_11target_archE950ELNS1_3gpuE13ELNS1_3repE0EEENS1_47radix_sort_onesweep_sort_config_static_selectorELNS0_4arch9wavefront6targetE1EEEvSK_,@function
_ZN7rocprim17ROCPRIM_400000_NS6detail17trampoline_kernelINS0_14default_configENS1_35radix_sort_onesweep_config_selectorIxNS0_10empty_typeEEEZZNS1_29radix_sort_onesweep_iterationIS3_Lb0EN6thrust23THRUST_200600_302600_NS6detail15normal_iteratorINS9_10device_ptrIxEEEESE_PS5_SF_jNS0_19identity_decomposerENS1_16block_id_wrapperIjLb1EEEEE10hipError_tT1_PNSt15iterator_traitsISK_E10value_typeET2_T3_PNSL_ISQ_E10value_typeET4_T5_PSV_SW_PNS1_23onesweep_lookback_stateEbbT6_jjT7_P12ihipStream_tbENKUlT_T0_SK_SP_E_clISE_SE_SF_SF_EEDaS13_S14_SK_SP_EUlS13_E_NS1_11comp_targetILNS1_3genE6ELNS1_11target_archE950ELNS1_3gpuE13ELNS1_3repE0EEENS1_47radix_sort_onesweep_sort_config_static_selectorELNS0_4arch9wavefront6targetE1EEEvSK_: ; @_ZN7rocprim17ROCPRIM_400000_NS6detail17trampoline_kernelINS0_14default_configENS1_35radix_sort_onesweep_config_selectorIxNS0_10empty_typeEEEZZNS1_29radix_sort_onesweep_iterationIS3_Lb0EN6thrust23THRUST_200600_302600_NS6detail15normal_iteratorINS9_10device_ptrIxEEEESE_PS5_SF_jNS0_19identity_decomposerENS1_16block_id_wrapperIjLb1EEEEE10hipError_tT1_PNSt15iterator_traitsISK_E10value_typeET2_T3_PNSL_ISQ_E10value_typeET4_T5_PSV_SW_PNS1_23onesweep_lookback_stateEbbT6_jjT7_P12ihipStream_tbENKUlT_T0_SK_SP_E_clISE_SE_SF_SF_EEDaS13_S14_SK_SP_EUlS13_E_NS1_11comp_targetILNS1_3genE6ELNS1_11target_archE950ELNS1_3gpuE13ELNS1_3repE0EEENS1_47radix_sort_onesweep_sort_config_static_selectorELNS0_4arch9wavefront6targetE1EEEvSK_
; %bb.0:
	.section	.rodata,"a",@progbits
	.p2align	6, 0x0
	.amdhsa_kernel _ZN7rocprim17ROCPRIM_400000_NS6detail17trampoline_kernelINS0_14default_configENS1_35radix_sort_onesweep_config_selectorIxNS0_10empty_typeEEEZZNS1_29radix_sort_onesweep_iterationIS3_Lb0EN6thrust23THRUST_200600_302600_NS6detail15normal_iteratorINS9_10device_ptrIxEEEESE_PS5_SF_jNS0_19identity_decomposerENS1_16block_id_wrapperIjLb1EEEEE10hipError_tT1_PNSt15iterator_traitsISK_E10value_typeET2_T3_PNSL_ISQ_E10value_typeET4_T5_PSV_SW_PNS1_23onesweep_lookback_stateEbbT6_jjT7_P12ihipStream_tbENKUlT_T0_SK_SP_E_clISE_SE_SF_SF_EEDaS13_S14_SK_SP_EUlS13_E_NS1_11comp_targetILNS1_3genE6ELNS1_11target_archE950ELNS1_3gpuE13ELNS1_3repE0EEENS1_47radix_sort_onesweep_sort_config_static_selectorELNS0_4arch9wavefront6targetE1EEEvSK_
		.amdhsa_group_segment_fixed_size 0
		.amdhsa_private_segment_fixed_size 0
		.amdhsa_kernarg_size 88
		.amdhsa_user_sgpr_count 2
		.amdhsa_user_sgpr_dispatch_ptr 0
		.amdhsa_user_sgpr_queue_ptr 0
		.amdhsa_user_sgpr_kernarg_segment_ptr 1
		.amdhsa_user_sgpr_dispatch_id 0
		.amdhsa_user_sgpr_kernarg_preload_length 0
		.amdhsa_user_sgpr_kernarg_preload_offset 0
		.amdhsa_user_sgpr_private_segment_size 0
		.amdhsa_uses_dynamic_stack 0
		.amdhsa_enable_private_segment 0
		.amdhsa_system_sgpr_workgroup_id_x 1
		.amdhsa_system_sgpr_workgroup_id_y 0
		.amdhsa_system_sgpr_workgroup_id_z 0
		.amdhsa_system_sgpr_workgroup_info 0
		.amdhsa_system_vgpr_workitem_id 0
		.amdhsa_next_free_vgpr 1
		.amdhsa_next_free_sgpr 0
		.amdhsa_accum_offset 4
		.amdhsa_reserve_vcc 0
		.amdhsa_float_round_mode_32 0
		.amdhsa_float_round_mode_16_64 0
		.amdhsa_float_denorm_mode_32 3
		.amdhsa_float_denorm_mode_16_64 3
		.amdhsa_dx10_clamp 1
		.amdhsa_ieee_mode 1
		.amdhsa_fp16_overflow 0
		.amdhsa_tg_split 0
		.amdhsa_exception_fp_ieee_invalid_op 0
		.amdhsa_exception_fp_denorm_src 0
		.amdhsa_exception_fp_ieee_div_zero 0
		.amdhsa_exception_fp_ieee_overflow 0
		.amdhsa_exception_fp_ieee_underflow 0
		.amdhsa_exception_fp_ieee_inexact 0
		.amdhsa_exception_int_div_zero 0
	.end_amdhsa_kernel
	.section	.text._ZN7rocprim17ROCPRIM_400000_NS6detail17trampoline_kernelINS0_14default_configENS1_35radix_sort_onesweep_config_selectorIxNS0_10empty_typeEEEZZNS1_29radix_sort_onesweep_iterationIS3_Lb0EN6thrust23THRUST_200600_302600_NS6detail15normal_iteratorINS9_10device_ptrIxEEEESE_PS5_SF_jNS0_19identity_decomposerENS1_16block_id_wrapperIjLb1EEEEE10hipError_tT1_PNSt15iterator_traitsISK_E10value_typeET2_T3_PNSL_ISQ_E10value_typeET4_T5_PSV_SW_PNS1_23onesweep_lookback_stateEbbT6_jjT7_P12ihipStream_tbENKUlT_T0_SK_SP_E_clISE_SE_SF_SF_EEDaS13_S14_SK_SP_EUlS13_E_NS1_11comp_targetILNS1_3genE6ELNS1_11target_archE950ELNS1_3gpuE13ELNS1_3repE0EEENS1_47radix_sort_onesweep_sort_config_static_selectorELNS0_4arch9wavefront6targetE1EEEvSK_,"axG",@progbits,_ZN7rocprim17ROCPRIM_400000_NS6detail17trampoline_kernelINS0_14default_configENS1_35radix_sort_onesweep_config_selectorIxNS0_10empty_typeEEEZZNS1_29radix_sort_onesweep_iterationIS3_Lb0EN6thrust23THRUST_200600_302600_NS6detail15normal_iteratorINS9_10device_ptrIxEEEESE_PS5_SF_jNS0_19identity_decomposerENS1_16block_id_wrapperIjLb1EEEEE10hipError_tT1_PNSt15iterator_traitsISK_E10value_typeET2_T3_PNSL_ISQ_E10value_typeET4_T5_PSV_SW_PNS1_23onesweep_lookback_stateEbbT6_jjT7_P12ihipStream_tbENKUlT_T0_SK_SP_E_clISE_SE_SF_SF_EEDaS13_S14_SK_SP_EUlS13_E_NS1_11comp_targetILNS1_3genE6ELNS1_11target_archE950ELNS1_3gpuE13ELNS1_3repE0EEENS1_47radix_sort_onesweep_sort_config_static_selectorELNS0_4arch9wavefront6targetE1EEEvSK_,comdat
.Lfunc_end1543:
	.size	_ZN7rocprim17ROCPRIM_400000_NS6detail17trampoline_kernelINS0_14default_configENS1_35radix_sort_onesweep_config_selectorIxNS0_10empty_typeEEEZZNS1_29radix_sort_onesweep_iterationIS3_Lb0EN6thrust23THRUST_200600_302600_NS6detail15normal_iteratorINS9_10device_ptrIxEEEESE_PS5_SF_jNS0_19identity_decomposerENS1_16block_id_wrapperIjLb1EEEEE10hipError_tT1_PNSt15iterator_traitsISK_E10value_typeET2_T3_PNSL_ISQ_E10value_typeET4_T5_PSV_SW_PNS1_23onesweep_lookback_stateEbbT6_jjT7_P12ihipStream_tbENKUlT_T0_SK_SP_E_clISE_SE_SF_SF_EEDaS13_S14_SK_SP_EUlS13_E_NS1_11comp_targetILNS1_3genE6ELNS1_11target_archE950ELNS1_3gpuE13ELNS1_3repE0EEENS1_47radix_sort_onesweep_sort_config_static_selectorELNS0_4arch9wavefront6targetE1EEEvSK_, .Lfunc_end1543-_ZN7rocprim17ROCPRIM_400000_NS6detail17trampoline_kernelINS0_14default_configENS1_35radix_sort_onesweep_config_selectorIxNS0_10empty_typeEEEZZNS1_29radix_sort_onesweep_iterationIS3_Lb0EN6thrust23THRUST_200600_302600_NS6detail15normal_iteratorINS9_10device_ptrIxEEEESE_PS5_SF_jNS0_19identity_decomposerENS1_16block_id_wrapperIjLb1EEEEE10hipError_tT1_PNSt15iterator_traitsISK_E10value_typeET2_T3_PNSL_ISQ_E10value_typeET4_T5_PSV_SW_PNS1_23onesweep_lookback_stateEbbT6_jjT7_P12ihipStream_tbENKUlT_T0_SK_SP_E_clISE_SE_SF_SF_EEDaS13_S14_SK_SP_EUlS13_E_NS1_11comp_targetILNS1_3genE6ELNS1_11target_archE950ELNS1_3gpuE13ELNS1_3repE0EEENS1_47radix_sort_onesweep_sort_config_static_selectorELNS0_4arch9wavefront6targetE1EEEvSK_
                                        ; -- End function
	.section	.AMDGPU.csdata,"",@progbits
; Kernel info:
; codeLenInByte = 0
; NumSgprs: 6
; NumVgprs: 0
; NumAgprs: 0
; TotalNumVgprs: 0
; ScratchSize: 0
; MemoryBound: 0
; FloatMode: 240
; IeeeMode: 1
; LDSByteSize: 0 bytes/workgroup (compile time only)
; SGPRBlocks: 0
; VGPRBlocks: 0
; NumSGPRsForWavesPerEU: 6
; NumVGPRsForWavesPerEU: 1
; AccumOffset: 4
; Occupancy: 8
; WaveLimiterHint : 0
; COMPUTE_PGM_RSRC2:SCRATCH_EN: 0
; COMPUTE_PGM_RSRC2:USER_SGPR: 2
; COMPUTE_PGM_RSRC2:TRAP_HANDLER: 0
; COMPUTE_PGM_RSRC2:TGID_X_EN: 1
; COMPUTE_PGM_RSRC2:TGID_Y_EN: 0
; COMPUTE_PGM_RSRC2:TGID_Z_EN: 0
; COMPUTE_PGM_RSRC2:TIDIG_COMP_CNT: 0
; COMPUTE_PGM_RSRC3_GFX90A:ACCUM_OFFSET: 0
; COMPUTE_PGM_RSRC3_GFX90A:TG_SPLIT: 0
	.section	.text._ZN7rocprim17ROCPRIM_400000_NS6detail17trampoline_kernelINS0_14default_configENS1_35radix_sort_onesweep_config_selectorIxNS0_10empty_typeEEEZZNS1_29radix_sort_onesweep_iterationIS3_Lb0EN6thrust23THRUST_200600_302600_NS6detail15normal_iteratorINS9_10device_ptrIxEEEESE_PS5_SF_jNS0_19identity_decomposerENS1_16block_id_wrapperIjLb1EEEEE10hipError_tT1_PNSt15iterator_traitsISK_E10value_typeET2_T3_PNSL_ISQ_E10value_typeET4_T5_PSV_SW_PNS1_23onesweep_lookback_stateEbbT6_jjT7_P12ihipStream_tbENKUlT_T0_SK_SP_E_clISE_SE_SF_SF_EEDaS13_S14_SK_SP_EUlS13_E_NS1_11comp_targetILNS1_3genE5ELNS1_11target_archE942ELNS1_3gpuE9ELNS1_3repE0EEENS1_47radix_sort_onesweep_sort_config_static_selectorELNS0_4arch9wavefront6targetE1EEEvSK_,"axG",@progbits,_ZN7rocprim17ROCPRIM_400000_NS6detail17trampoline_kernelINS0_14default_configENS1_35radix_sort_onesweep_config_selectorIxNS0_10empty_typeEEEZZNS1_29radix_sort_onesweep_iterationIS3_Lb0EN6thrust23THRUST_200600_302600_NS6detail15normal_iteratorINS9_10device_ptrIxEEEESE_PS5_SF_jNS0_19identity_decomposerENS1_16block_id_wrapperIjLb1EEEEE10hipError_tT1_PNSt15iterator_traitsISK_E10value_typeET2_T3_PNSL_ISQ_E10value_typeET4_T5_PSV_SW_PNS1_23onesweep_lookback_stateEbbT6_jjT7_P12ihipStream_tbENKUlT_T0_SK_SP_E_clISE_SE_SF_SF_EEDaS13_S14_SK_SP_EUlS13_E_NS1_11comp_targetILNS1_3genE5ELNS1_11target_archE942ELNS1_3gpuE9ELNS1_3repE0EEENS1_47radix_sort_onesweep_sort_config_static_selectorELNS0_4arch9wavefront6targetE1EEEvSK_,comdat
	.protected	_ZN7rocprim17ROCPRIM_400000_NS6detail17trampoline_kernelINS0_14default_configENS1_35radix_sort_onesweep_config_selectorIxNS0_10empty_typeEEEZZNS1_29radix_sort_onesweep_iterationIS3_Lb0EN6thrust23THRUST_200600_302600_NS6detail15normal_iteratorINS9_10device_ptrIxEEEESE_PS5_SF_jNS0_19identity_decomposerENS1_16block_id_wrapperIjLb1EEEEE10hipError_tT1_PNSt15iterator_traitsISK_E10value_typeET2_T3_PNSL_ISQ_E10value_typeET4_T5_PSV_SW_PNS1_23onesweep_lookback_stateEbbT6_jjT7_P12ihipStream_tbENKUlT_T0_SK_SP_E_clISE_SE_SF_SF_EEDaS13_S14_SK_SP_EUlS13_E_NS1_11comp_targetILNS1_3genE5ELNS1_11target_archE942ELNS1_3gpuE9ELNS1_3repE0EEENS1_47radix_sort_onesweep_sort_config_static_selectorELNS0_4arch9wavefront6targetE1EEEvSK_ ; -- Begin function _ZN7rocprim17ROCPRIM_400000_NS6detail17trampoline_kernelINS0_14default_configENS1_35radix_sort_onesweep_config_selectorIxNS0_10empty_typeEEEZZNS1_29radix_sort_onesweep_iterationIS3_Lb0EN6thrust23THRUST_200600_302600_NS6detail15normal_iteratorINS9_10device_ptrIxEEEESE_PS5_SF_jNS0_19identity_decomposerENS1_16block_id_wrapperIjLb1EEEEE10hipError_tT1_PNSt15iterator_traitsISK_E10value_typeET2_T3_PNSL_ISQ_E10value_typeET4_T5_PSV_SW_PNS1_23onesweep_lookback_stateEbbT6_jjT7_P12ihipStream_tbENKUlT_T0_SK_SP_E_clISE_SE_SF_SF_EEDaS13_S14_SK_SP_EUlS13_E_NS1_11comp_targetILNS1_3genE5ELNS1_11target_archE942ELNS1_3gpuE9ELNS1_3repE0EEENS1_47radix_sort_onesweep_sort_config_static_selectorELNS0_4arch9wavefront6targetE1EEEvSK_
	.globl	_ZN7rocprim17ROCPRIM_400000_NS6detail17trampoline_kernelINS0_14default_configENS1_35radix_sort_onesweep_config_selectorIxNS0_10empty_typeEEEZZNS1_29radix_sort_onesweep_iterationIS3_Lb0EN6thrust23THRUST_200600_302600_NS6detail15normal_iteratorINS9_10device_ptrIxEEEESE_PS5_SF_jNS0_19identity_decomposerENS1_16block_id_wrapperIjLb1EEEEE10hipError_tT1_PNSt15iterator_traitsISK_E10value_typeET2_T3_PNSL_ISQ_E10value_typeET4_T5_PSV_SW_PNS1_23onesweep_lookback_stateEbbT6_jjT7_P12ihipStream_tbENKUlT_T0_SK_SP_E_clISE_SE_SF_SF_EEDaS13_S14_SK_SP_EUlS13_E_NS1_11comp_targetILNS1_3genE5ELNS1_11target_archE942ELNS1_3gpuE9ELNS1_3repE0EEENS1_47radix_sort_onesweep_sort_config_static_selectorELNS0_4arch9wavefront6targetE1EEEvSK_
	.p2align	8
	.type	_ZN7rocprim17ROCPRIM_400000_NS6detail17trampoline_kernelINS0_14default_configENS1_35radix_sort_onesweep_config_selectorIxNS0_10empty_typeEEEZZNS1_29radix_sort_onesweep_iterationIS3_Lb0EN6thrust23THRUST_200600_302600_NS6detail15normal_iteratorINS9_10device_ptrIxEEEESE_PS5_SF_jNS0_19identity_decomposerENS1_16block_id_wrapperIjLb1EEEEE10hipError_tT1_PNSt15iterator_traitsISK_E10value_typeET2_T3_PNSL_ISQ_E10value_typeET4_T5_PSV_SW_PNS1_23onesweep_lookback_stateEbbT6_jjT7_P12ihipStream_tbENKUlT_T0_SK_SP_E_clISE_SE_SF_SF_EEDaS13_S14_SK_SP_EUlS13_E_NS1_11comp_targetILNS1_3genE5ELNS1_11target_archE942ELNS1_3gpuE9ELNS1_3repE0EEENS1_47radix_sort_onesweep_sort_config_static_selectorELNS0_4arch9wavefront6targetE1EEEvSK_,@function
_ZN7rocprim17ROCPRIM_400000_NS6detail17trampoline_kernelINS0_14default_configENS1_35radix_sort_onesweep_config_selectorIxNS0_10empty_typeEEEZZNS1_29radix_sort_onesweep_iterationIS3_Lb0EN6thrust23THRUST_200600_302600_NS6detail15normal_iteratorINS9_10device_ptrIxEEEESE_PS5_SF_jNS0_19identity_decomposerENS1_16block_id_wrapperIjLb1EEEEE10hipError_tT1_PNSt15iterator_traitsISK_E10value_typeET2_T3_PNSL_ISQ_E10value_typeET4_T5_PSV_SW_PNS1_23onesweep_lookback_stateEbbT6_jjT7_P12ihipStream_tbENKUlT_T0_SK_SP_E_clISE_SE_SF_SF_EEDaS13_S14_SK_SP_EUlS13_E_NS1_11comp_targetILNS1_3genE5ELNS1_11target_archE942ELNS1_3gpuE9ELNS1_3repE0EEENS1_47radix_sort_onesweep_sort_config_static_selectorELNS0_4arch9wavefront6targetE1EEEvSK_: ; @_ZN7rocprim17ROCPRIM_400000_NS6detail17trampoline_kernelINS0_14default_configENS1_35radix_sort_onesweep_config_selectorIxNS0_10empty_typeEEEZZNS1_29radix_sort_onesweep_iterationIS3_Lb0EN6thrust23THRUST_200600_302600_NS6detail15normal_iteratorINS9_10device_ptrIxEEEESE_PS5_SF_jNS0_19identity_decomposerENS1_16block_id_wrapperIjLb1EEEEE10hipError_tT1_PNSt15iterator_traitsISK_E10value_typeET2_T3_PNSL_ISQ_E10value_typeET4_T5_PSV_SW_PNS1_23onesweep_lookback_stateEbbT6_jjT7_P12ihipStream_tbENKUlT_T0_SK_SP_E_clISE_SE_SF_SF_EEDaS13_S14_SK_SP_EUlS13_E_NS1_11comp_targetILNS1_3genE5ELNS1_11target_archE942ELNS1_3gpuE9ELNS1_3repE0EEENS1_47radix_sort_onesweep_sort_config_static_selectorELNS0_4arch9wavefront6targetE1EEEvSK_
; %bb.0:
	s_load_dwordx4 s[20:23], s[0:1], 0x28
	s_load_dwordx2 s[18:19], s[0:1], 0x38
	s_load_dwordx4 s[24:27], s[0:1], 0x44
	v_and_b32_e32 v2, 0x3ff, v0
	v_cmp_eq_u32_e64 s[4:5], 0, v2
	s_and_saveexec_b64 s[6:7], s[4:5]
	s_cbranch_execz .LBB1544_4
; %bb.1:
	s_mov_b64 s[10:11], exec
	v_mbcnt_lo_u32_b32 v1, s10, 0
	v_mbcnt_hi_u32_b32 v1, s11, v1
	v_cmp_eq_u32_e32 vcc, 0, v1
                                        ; implicit-def: $vgpr3
	s_and_saveexec_b64 s[8:9], vcc
	s_cbranch_execz .LBB1544_3
; %bb.2:
	s_load_dwordx2 s[12:13], s[0:1], 0x50
	s_bcnt1_i32_b64 s3, s[10:11]
	v_mov_b32_e32 v3, 0
	v_mov_b32_e32 v4, s3
	s_waitcnt lgkmcnt(0)
	global_atomic_add v3, v3, v4, s[12:13] sc0
.LBB1544_3:
	s_or_b64 exec, exec, s[8:9]
	s_waitcnt vmcnt(0)
	v_readfirstlane_b32 s3, v3
	v_mov_b32_e32 v3, 0
	s_nop 0
	v_add_u32_e32 v1, s3, v1
	ds_write_b32 v3, v1 offset:10272
.LBB1544_4:
	s_or_b64 exec, exec, s[6:7]
	v_mov_b32_e32 v5, 0
	s_load_dwordx4 s[28:31], s[0:1], 0x0
	s_load_dword s3, s[0:1], 0x20
	s_waitcnt lgkmcnt(0)
	s_barrier
	ds_read_b32 v1, v5 offset:10272
	s_waitcnt lgkmcnt(0)
	s_barrier
	v_readfirstlane_b32 s27, v1
	v_cmp_le_u32_e32 vcc, s26, v1
	s_mul_i32 s34, s27, 0x1800
	v_mbcnt_lo_u32_b32 v1, -1, 0
	s_cbranch_vccz .LBB1544_103
; %bb.5:
	s_mul_i32 s6, s26, 0xffffe800
	s_mov_b32 s35, 0
	s_add_i32 s3, s6, s3
	s_lshl_b64 s[6:7], s[34:35], 3
	v_mbcnt_hi_u32_b32 v3, -1, v1
	s_add_u32 s8, s28, s6
	v_and_b32_e32 v8, 63, v3
	v_and_b32_e32 v32, 0x3c0, v2
	s_addc_u32 s9, s29, s7
	s_mov_b32 s6, -1
	v_mul_u32_u24_e32 v9, 12, v32
	v_lshlrev_b32_e32 v4, 3, v8
	s_brev_b32 s7, -2
	v_lshl_add_u64 v[6:7], s[8:9], 0, v[4:5]
	v_lshlrev_b32_e32 v4, 3, v9
	v_or_b32_e32 v26, v8, v9
	v_lshl_add_u64 v[28:29], v[6:7], 0, v[4:5]
	v_cmp_gt_u32_e32 vcc, s3, v26
	v_mov_b64_e32 v[4:5], s[6:7]
	s_and_saveexec_b64 s[8:9], vcc
	s_cbranch_execz .LBB1544_7
; %bb.6:
	global_load_dwordx2 v[4:5], v[28:29], off
.LBB1544_7:
	s_or_b64 exec, exec, s[8:9]
	v_or_b32_e32 v6, 64, v26
	v_cmp_gt_u32_e32 vcc, s3, v6
	v_mov_b64_e32 v[6:7], s[6:7]
	s_and_saveexec_b64 s[6:7], vcc
	s_cbranch_execz .LBB1544_9
; %bb.8:
	global_load_dwordx2 v[6:7], v[28:29], off offset:512
.LBB1544_9:
	s_or_b64 exec, exec, s[6:7]
	s_mov_b32 s6, -1
	v_or_b32_e32 v8, 0x80, v26
	s_brev_b32 s7, -2
	v_cmp_gt_u32_e32 vcc, s3, v8
	v_mov_b64_e32 v[8:9], s[6:7]
	s_and_saveexec_b64 s[8:9], vcc
	s_cbranch_execz .LBB1544_11
; %bb.10:
	global_load_dwordx2 v[8:9], v[28:29], off offset:1024
.LBB1544_11:
	s_or_b64 exec, exec, s[8:9]
	v_or_b32_e32 v10, 0xc0, v26
	v_cmp_gt_u32_e32 vcc, s3, v10
	v_mov_b64_e32 v[10:11], s[6:7]
	s_and_saveexec_b64 s[6:7], vcc
	s_cbranch_execz .LBB1544_13
; %bb.12:
	global_load_dwordx2 v[10:11], v[28:29], off offset:1536
.LBB1544_13:
	s_or_b64 exec, exec, s[6:7]
	s_mov_b32 s6, -1
	v_add_u32_e32 v12, 0x100, v26
	s_brev_b32 s7, -2
	v_cmp_gt_u32_e32 vcc, s3, v12
	v_mov_b64_e32 v[12:13], s[6:7]
	s_and_saveexec_b64 s[8:9], vcc
	s_cbranch_execz .LBB1544_15
; %bb.14:
	global_load_dwordx2 v[12:13], v[28:29], off offset:2048
.LBB1544_15:
	s_or_b64 exec, exec, s[8:9]
	v_add_u32_e32 v14, 0x140, v26
	v_cmp_gt_u32_e32 vcc, s3, v14
	v_mov_b64_e32 v[14:15], s[6:7]
	s_and_saveexec_b64 s[6:7], vcc
	s_cbranch_execz .LBB1544_17
; %bb.16:
	global_load_dwordx2 v[14:15], v[28:29], off offset:2560
.LBB1544_17:
	s_or_b64 exec, exec, s[6:7]
	s_mov_b32 s6, -1
	v_add_u32_e32 v16, 0x180, v26
	s_brev_b32 s7, -2
	v_cmp_gt_u32_e32 vcc, s3, v16
	v_mov_b64_e32 v[16:17], s[6:7]
	s_and_saveexec_b64 s[8:9], vcc
	s_cbranch_execz .LBB1544_19
; %bb.18:
	global_load_dwordx2 v[16:17], v[28:29], off offset:3072
.LBB1544_19:
	s_or_b64 exec, exec, s[8:9]
	v_add_u32_e32 v18, 0x1c0, v26
	v_cmp_gt_u32_e32 vcc, s3, v18
	v_mov_b64_e32 v[18:19], s[6:7]
	s_and_saveexec_b64 s[6:7], vcc
	s_cbranch_execz .LBB1544_21
; %bb.20:
	global_load_dwordx2 v[18:19], v[28:29], off offset:3584
.LBB1544_21:
	s_or_b64 exec, exec, s[6:7]
	s_mov_b32 s6, -1
	v_add_u32_e32 v20, 0x200, v26
	s_brev_b32 s7, -2
	v_cmp_gt_u32_e32 vcc, s3, v20
	v_mov_b64_e32 v[20:21], s[6:7]
	s_and_saveexec_b64 s[8:9], vcc
	s_cbranch_execz .LBB1544_23
; %bb.22:
	v_add_co_u32_e32 v20, vcc, 0x1000, v28
	s_nop 1
	v_addc_co_u32_e32 v21, vcc, 0, v29, vcc
	global_load_dwordx2 v[20:21], v[20:21], off
.LBB1544_23:
	s_or_b64 exec, exec, s[8:9]
	v_add_u32_e32 v22, 0x240, v26
	v_cmp_gt_u32_e32 vcc, s3, v22
	v_mov_b64_e32 v[22:23], s[6:7]
	s_and_saveexec_b64 s[6:7], vcc
	s_cbranch_execz .LBB1544_25
; %bb.24:
	v_add_co_u32_e32 v22, vcc, 0x1000, v28
	s_nop 1
	v_addc_co_u32_e32 v23, vcc, 0, v29, vcc
	global_load_dwordx2 v[22:23], v[22:23], off offset:512
.LBB1544_25:
	s_or_b64 exec, exec, s[6:7]
	s_mov_b32 s6, -1
	v_add_u32_e32 v24, 0x280, v26
	s_brev_b32 s7, -2
	v_cmp_gt_u32_e32 vcc, s3, v24
	v_mov_b64_e32 v[24:25], s[6:7]
	s_and_saveexec_b64 s[8:9], vcc
	s_cbranch_execz .LBB1544_27
; %bb.26:
	v_add_co_u32_e32 v24, vcc, 0x1000, v28
	s_nop 1
	v_addc_co_u32_e32 v25, vcc, 0, v29, vcc
	global_load_dwordx2 v[24:25], v[24:25], off offset:1024
.LBB1544_27:
	s_or_b64 exec, exec, s[8:9]
	v_add_u32_e32 v26, 0x2c0, v26
	v_cmp_gt_u32_e32 vcc, s3, v26
	v_mov_b64_e32 v[26:27], s[6:7]
	s_and_saveexec_b64 s[6:7], vcc
	s_cbranch_execz .LBB1544_29
; %bb.28:
	v_add_co_u32_e32 v26, vcc, 0x1000, v28
	s_nop 1
	v_addc_co_u32_e32 v27, vcc, 0, v29, vcc
	global_load_dwordx2 v[26:27], v[26:27], off offset:1536
.LBB1544_29:
	s_or_b64 exec, exec, s[6:7]
	s_load_dword s6, s[0:1], 0x64
	s_load_dword s26, s[0:1], 0x58
	s_add_u32 s7, s0, 0x58
	s_addc_u32 s8, s1, 0
	v_mov_b32_e32 v29, 0
	s_waitcnt lgkmcnt(0)
	s_lshr_b32 s9, s6, 16
	s_cmp_lt_u32 s2, s26
	s_cselect_b32 s6, 12, 18
	s_add_u32 s6, s7, s6
	s_addc_u32 s7, s8, 0
	global_load_ushort v46, v29, s[6:7]
	s_waitcnt vmcnt(1)
	v_xor_b32_e32 v5, 0x80000000, v5
	v_mul_u32_u24_e32 v30, 5, v2
	s_lshl_b32 s6, -1, s25
	v_lshlrev_b32_e32 v33, 2, v30
	v_lshrrev_b64 v[30:31], s24, v[4:5]
	s_not_b32 s33, s6
	v_bfe_u32 v28, v0, 10, 10
	v_bfe_u32 v35, v0, 20, 10
	v_and_b32_e32 v48, s33, v30
	v_mad_u32_u24 v47, v35, s9, v28
	v_and_b32_e32 v28, 1, v48
	v_lshlrev_b32_e32 v35, 30, v48
	v_mov_b32_e32 v34, v29
	v_lshlrev_b32_e32 v37, 29, v48
	v_lshl_add_u64 v[30:31], v[28:29], 0, -1
	v_cmp_ne_u32_e32 vcc, 0, v28
	v_not_b32_e32 v28, v35
	v_mov_b32_e32 v36, v29
	v_mov_b32_e32 v38, v29
	v_lshlrev_b32_e32 v39, 28, v48
	v_cmp_gt_i64_e64 s[6:7], 0, v[34:35]
	v_not_b32_e32 v34, v37
	v_xor_b32_e32 v31, vcc_hi, v31
	v_ashrrev_i32_e32 v28, 31, v28
	v_mov_b32_e32 v40, v29
	v_lshlrev_b32_e32 v41, 27, v48
	v_cmp_gt_i64_e64 s[8:9], 0, v[36:37]
	v_cmp_gt_i64_e64 s[10:11], 0, v[38:39]
	v_not_b32_e32 v35, v39
	v_xor_b32_e32 v30, vcc_lo, v30
	v_ashrrev_i32_e32 v34, 31, v34
	v_and_b32_e32 v31, exec_hi, v31
	v_xor_b32_e32 v39, s7, v28
	v_lshlrev_b32_e32 v43, 26, v48
	v_cmp_gt_i64_e64 s[12:13], 0, v[40:41]
	v_not_b32_e32 v36, v41
	v_ashrrev_i32_e32 v35, 31, v35
	v_and_b32_e32 v30, exec_lo, v30
	v_xor_b32_e32 v28, s6, v28
	v_xor_b32_e32 v40, s9, v34
	v_and_b32_e32 v31, v31, v39
	v_mov_b32_e32 v42, v29
	v_lshlrev_b32_e32 v45, 25, v48
	v_not_b32_e32 v37, v43
	v_ashrrev_i32_e32 v36, 31, v36
	v_xor_b32_e32 v41, s11, v35
	v_and_b32_e32 v28, v30, v28
	v_and_b32_e32 v30, v31, v40
	v_mov_b32_e32 v44, v29
	v_cmp_gt_i64_e64 s[14:15], 0, v[42:43]
	v_not_b32_e32 v38, v45
	v_ashrrev_i32_e32 v37, 31, v37
	v_xor_b32_e32 v42, s13, v36
	v_and_b32_e32 v30, v30, v41
	v_cmp_gt_i64_e64 s[16:17], 0, v[44:45]
	v_ashrrev_i32_e32 v38, 31, v38
	v_xor_b32_e32 v43, s15, v37
	v_and_b32_e32 v30, v30, v42
	v_xor_b32_e32 v34, s8, v34
	v_xor_b32_e32 v44, s17, v38
	v_and_b32_e32 v30, v30, v43
	v_xor_b32_e32 v35, s10, v35
	v_and_b32_e32 v28, v28, v34
	v_and_b32_e32 v34, v30, v44
	v_xor_b32_e32 v36, s12, v36
	v_and_b32_e32 v28, v28, v35
	v_xor_b32_e32 v37, s14, v37
	;; [unrolled: 2-line block ×3, first 2 shown]
	v_and_b32_e32 v28, v28, v37
	v_and_b32_e32 v28, v28, v38
	v_lshl_add_u32 v49, v48, 3, v48
	ds_write2_b32 v33, v29, v29 offset0:8 offset1:9
	ds_write2_b32 v33, v29, v29 offset0:10 offset1:11
	ds_write_b32 v33, v29 offset:48
	s_waitcnt lgkmcnt(0)
	s_barrier
	s_waitcnt lgkmcnt(0)
	; wave barrier
	s_waitcnt vmcnt(0)
	v_mad_u64_u32 v[30:31], s[6:7], v47, v46, v[2:3]
	v_lshrrev_b32_e32 v45, 6, v30
	v_lshlrev_b32_e32 v31, 24, v48
	v_mov_b32_e32 v30, v29
	v_cmp_gt_i64_e32 vcc, 0, v[30:31]
	v_not_b32_e32 v30, v31
	v_ashrrev_i32_e32 v30, 31, v30
	v_xor_b32_e32 v31, vcc_hi, v30
	v_xor_b32_e32 v30, vcc_lo, v30
	v_and_b32_e32 v30, v28, v30
	v_and_b32_e32 v31, v34, v31
	v_mbcnt_lo_u32_b32 v28, v30, 0
	v_mbcnt_hi_u32_b32 v35, v31, v28
	v_cmp_eq_u32_e32 vcc, 0, v35
	v_cmp_ne_u64_e64 s[6:7], 0, v[30:31]
	v_add_lshl_u32 v38, v45, v49, 2
	s_and_b64 s[8:9], s[6:7], vcc
	s_and_saveexec_b64 s[6:7], s[8:9]
	s_cbranch_execz .LBB1544_31
; %bb.30:
	v_bcnt_u32_b32 v28, v30, 0
	v_bcnt_u32_b32 v28, v31, v28
	ds_write_b32 v38, v28 offset:32
.LBB1544_31:
	s_or_b64 exec, exec, s[6:7]
	v_xor_b32_e32 v7, 0x80000000, v7
	v_lshrrev_b64 v[30:31], s24, v[6:7]
	v_and_b32_e32 v36, s33, v30
	v_lshl_add_u32 v28, v36, 3, v36
	v_add_lshl_u32 v39, v45, v28, 2
	v_and_b32_e32 v28, 1, v36
	v_lshl_add_u64 v[30:31], v[28:29], 0, -1
	v_cmp_ne_u32_e32 vcc, 0, v28
	; wave barrier
	s_nop 1
	v_xor_b32_e32 v30, vcc_lo, v30
	v_xor_b32_e32 v28, vcc_hi, v31
	v_and_b32_e32 v37, exec_lo, v30
	v_lshlrev_b32_e32 v31, 30, v36
	v_mov_b32_e32 v30, v29
	v_cmp_gt_i64_e32 vcc, 0, v[30:31]
	v_not_b32_e32 v30, v31
	v_ashrrev_i32_e32 v30, 31, v30
	v_and_b32_e32 v28, exec_hi, v28
	v_xor_b32_e32 v31, vcc_hi, v30
	v_xor_b32_e32 v30, vcc_lo, v30
	v_and_b32_e32 v28, v28, v31
	v_and_b32_e32 v37, v37, v30
	v_lshlrev_b32_e32 v31, 29, v36
	v_mov_b32_e32 v30, v29
	v_cmp_gt_i64_e32 vcc, 0, v[30:31]
	v_not_b32_e32 v30, v31
	v_ashrrev_i32_e32 v30, 31, v30
	v_xor_b32_e32 v31, vcc_hi, v30
	v_xor_b32_e32 v30, vcc_lo, v30
	v_and_b32_e32 v28, v28, v31
	v_and_b32_e32 v37, v37, v30
	v_lshlrev_b32_e32 v31, 28, v36
	v_mov_b32_e32 v30, v29
	v_cmp_gt_i64_e32 vcc, 0, v[30:31]
	v_not_b32_e32 v30, v31
	v_ashrrev_i32_e32 v30, 31, v30
	;; [unrolled: 9-line block ×5, first 2 shown]
	v_xor_b32_e32 v31, vcc_hi, v30
	v_xor_b32_e32 v30, vcc_lo, v30
	v_and_b32_e32 v28, v28, v31
	v_lshlrev_b32_e32 v31, 24, v36
	v_and_b32_e32 v37, v37, v30
	v_mov_b32_e32 v30, v29
	v_not_b32_e32 v29, v31
	v_cmp_gt_i64_e32 vcc, 0, v[30:31]
	v_ashrrev_i32_e32 v29, 31, v29
	ds_read_b32 v34, v39 offset:32
	v_xor_b32_e32 v30, vcc_hi, v29
	v_xor_b32_e32 v31, vcc_lo, v29
	v_and_b32_e32 v29, v28, v30
	v_and_b32_e32 v28, v37, v31
	v_mbcnt_lo_u32_b32 v30, v28, 0
	v_mbcnt_hi_u32_b32 v36, v29, v30
	v_cmp_eq_u32_e32 vcc, 0, v36
	v_cmp_ne_u64_e64 s[6:7], 0, v[28:29]
	s_and_b64 s[8:9], s[6:7], vcc
	; wave barrier
	s_and_saveexec_b64 s[6:7], s[8:9]
	s_cbranch_execz .LBB1544_33
; %bb.32:
	v_bcnt_u32_b32 v28, v28, 0
	v_bcnt_u32_b32 v28, v29, v28
	s_waitcnt lgkmcnt(0)
	v_add_u32_e32 v28, v34, v28
	ds_write_b32 v39, v28 offset:32
.LBB1544_33:
	s_or_b64 exec, exec, s[6:7]
	v_xor_b32_e32 v9, 0x80000000, v9
	v_lshrrev_b64 v[28:29], s24, v[8:9]
	v_and_b32_e32 v40, s33, v28
	v_lshl_add_u32 v28, v40, 3, v40
	v_add_lshl_u32 v42, v45, v28, 2
	v_and_b32_e32 v28, 1, v40
	v_mov_b32_e32 v29, 0
	v_lshl_add_u64 v[30:31], v[28:29], 0, -1
	v_cmp_ne_u32_e32 vcc, 0, v28
	; wave barrier
	s_nop 1
	v_xor_b32_e32 v30, vcc_lo, v30
	v_xor_b32_e32 v28, vcc_hi, v31
	v_and_b32_e32 v41, exec_lo, v30
	v_lshlrev_b32_e32 v31, 30, v40
	v_mov_b32_e32 v30, v29
	v_cmp_gt_i64_e32 vcc, 0, v[30:31]
	v_not_b32_e32 v30, v31
	v_ashrrev_i32_e32 v30, 31, v30
	v_and_b32_e32 v28, exec_hi, v28
	v_xor_b32_e32 v31, vcc_hi, v30
	v_xor_b32_e32 v30, vcc_lo, v30
	v_and_b32_e32 v28, v28, v31
	v_and_b32_e32 v41, v41, v30
	v_lshlrev_b32_e32 v31, 29, v40
	v_mov_b32_e32 v30, v29
	v_cmp_gt_i64_e32 vcc, 0, v[30:31]
	v_not_b32_e32 v30, v31
	v_ashrrev_i32_e32 v30, 31, v30
	v_xor_b32_e32 v31, vcc_hi, v30
	v_xor_b32_e32 v30, vcc_lo, v30
	v_and_b32_e32 v28, v28, v31
	v_and_b32_e32 v41, v41, v30
	v_lshlrev_b32_e32 v31, 28, v40
	v_mov_b32_e32 v30, v29
	v_cmp_gt_i64_e32 vcc, 0, v[30:31]
	v_not_b32_e32 v30, v31
	v_ashrrev_i32_e32 v30, 31, v30
	;; [unrolled: 9-line block ×6, first 2 shown]
	v_xor_b32_e32 v31, vcc_hi, v30
	v_xor_b32_e32 v30, vcc_lo, v30
	ds_read_b32 v37, v42 offset:32
	v_and_b32_e32 v30, v41, v30
	v_and_b32_e32 v31, v28, v31
	v_mbcnt_lo_u32_b32 v28, v30, 0
	v_mbcnt_hi_u32_b32 v40, v31, v28
	v_cmp_eq_u32_e32 vcc, 0, v40
	v_cmp_ne_u64_e64 s[6:7], 0, v[30:31]
	s_and_b64 s[8:9], s[6:7], vcc
	; wave barrier
	s_and_saveexec_b64 s[6:7], s[8:9]
	s_cbranch_execz .LBB1544_35
; %bb.34:
	v_bcnt_u32_b32 v28, v30, 0
	v_bcnt_u32_b32 v28, v31, v28
	s_waitcnt lgkmcnt(0)
	v_add_u32_e32 v28, v37, v28
	ds_write_b32 v42, v28 offset:32
.LBB1544_35:
	s_or_b64 exec, exec, s[6:7]
	v_xor_b32_e32 v11, 0x80000000, v11
	v_lshrrev_b64 v[30:31], s24, v[10:11]
	v_and_b32_e32 v43, s33, v30
	v_lshl_add_u32 v28, v43, 3, v43
	v_add_lshl_u32 v46, v45, v28, 2
	v_and_b32_e32 v28, 1, v43
	v_lshl_add_u64 v[30:31], v[28:29], 0, -1
	v_cmp_ne_u32_e32 vcc, 0, v28
	; wave barrier
	s_nop 1
	v_xor_b32_e32 v30, vcc_lo, v30
	v_xor_b32_e32 v28, vcc_hi, v31
	v_and_b32_e32 v44, exec_lo, v30
	v_lshlrev_b32_e32 v31, 30, v43
	v_mov_b32_e32 v30, v29
	v_cmp_gt_i64_e32 vcc, 0, v[30:31]
	v_not_b32_e32 v30, v31
	v_ashrrev_i32_e32 v30, 31, v30
	v_and_b32_e32 v28, exec_hi, v28
	v_xor_b32_e32 v31, vcc_hi, v30
	v_xor_b32_e32 v30, vcc_lo, v30
	v_and_b32_e32 v28, v28, v31
	v_and_b32_e32 v44, v44, v30
	v_lshlrev_b32_e32 v31, 29, v43
	v_mov_b32_e32 v30, v29
	v_cmp_gt_i64_e32 vcc, 0, v[30:31]
	v_not_b32_e32 v30, v31
	v_ashrrev_i32_e32 v30, 31, v30
	v_xor_b32_e32 v31, vcc_hi, v30
	v_xor_b32_e32 v30, vcc_lo, v30
	v_and_b32_e32 v28, v28, v31
	v_and_b32_e32 v44, v44, v30
	v_lshlrev_b32_e32 v31, 28, v43
	v_mov_b32_e32 v30, v29
	v_cmp_gt_i64_e32 vcc, 0, v[30:31]
	v_not_b32_e32 v30, v31
	v_ashrrev_i32_e32 v30, 31, v30
	;; [unrolled: 9-line block ×5, first 2 shown]
	v_xor_b32_e32 v31, vcc_hi, v30
	v_xor_b32_e32 v30, vcc_lo, v30
	v_and_b32_e32 v28, v28, v31
	v_lshlrev_b32_e32 v31, 24, v43
	v_and_b32_e32 v44, v44, v30
	v_mov_b32_e32 v30, v29
	v_not_b32_e32 v29, v31
	v_cmp_gt_i64_e32 vcc, 0, v[30:31]
	v_ashrrev_i32_e32 v29, 31, v29
	ds_read_b32 v41, v46 offset:32
	v_xor_b32_e32 v30, vcc_hi, v29
	v_xor_b32_e32 v31, vcc_lo, v29
	v_and_b32_e32 v29, v28, v30
	v_and_b32_e32 v28, v44, v31
	v_mbcnt_lo_u32_b32 v30, v28, 0
	v_mbcnt_hi_u32_b32 v43, v29, v30
	v_cmp_eq_u32_e32 vcc, 0, v43
	v_cmp_ne_u64_e64 s[6:7], 0, v[28:29]
	s_and_b64 s[8:9], s[6:7], vcc
	; wave barrier
	s_and_saveexec_b64 s[6:7], s[8:9]
	s_cbranch_execz .LBB1544_37
; %bb.36:
	v_bcnt_u32_b32 v28, v28, 0
	v_bcnt_u32_b32 v28, v29, v28
	s_waitcnt lgkmcnt(0)
	v_add_u32_e32 v28, v41, v28
	ds_write_b32 v46, v28 offset:32
.LBB1544_37:
	s_or_b64 exec, exec, s[6:7]
	v_xor_b32_e32 v13, 0x80000000, v13
	v_lshrrev_b64 v[28:29], s24, v[12:13]
	v_and_b32_e32 v47, s33, v28
	v_lshl_add_u32 v28, v47, 3, v47
	v_add_lshl_u32 v49, v45, v28, 2
	v_and_b32_e32 v28, 1, v47
	v_mov_b32_e32 v29, 0
	v_lshl_add_u64 v[30:31], v[28:29], 0, -1
	v_cmp_ne_u32_e32 vcc, 0, v28
	; wave barrier
	s_nop 1
	v_xor_b32_e32 v30, vcc_lo, v30
	v_xor_b32_e32 v28, vcc_hi, v31
	v_and_b32_e32 v48, exec_lo, v30
	v_lshlrev_b32_e32 v31, 30, v47
	v_mov_b32_e32 v30, v29
	v_cmp_gt_i64_e32 vcc, 0, v[30:31]
	v_not_b32_e32 v30, v31
	v_ashrrev_i32_e32 v30, 31, v30
	v_and_b32_e32 v28, exec_hi, v28
	v_xor_b32_e32 v31, vcc_hi, v30
	v_xor_b32_e32 v30, vcc_lo, v30
	v_and_b32_e32 v28, v28, v31
	v_and_b32_e32 v48, v48, v30
	v_lshlrev_b32_e32 v31, 29, v47
	v_mov_b32_e32 v30, v29
	v_cmp_gt_i64_e32 vcc, 0, v[30:31]
	v_not_b32_e32 v30, v31
	v_ashrrev_i32_e32 v30, 31, v30
	v_xor_b32_e32 v31, vcc_hi, v30
	v_xor_b32_e32 v30, vcc_lo, v30
	v_and_b32_e32 v28, v28, v31
	v_and_b32_e32 v48, v48, v30
	v_lshlrev_b32_e32 v31, 28, v47
	v_mov_b32_e32 v30, v29
	v_cmp_gt_i64_e32 vcc, 0, v[30:31]
	v_not_b32_e32 v30, v31
	v_ashrrev_i32_e32 v30, 31, v30
	;; [unrolled: 9-line block ×6, first 2 shown]
	v_xor_b32_e32 v31, vcc_hi, v30
	v_xor_b32_e32 v30, vcc_lo, v30
	ds_read_b32 v44, v49 offset:32
	v_and_b32_e32 v30, v48, v30
	v_and_b32_e32 v31, v28, v31
	v_mbcnt_lo_u32_b32 v28, v30, 0
	v_mbcnt_hi_u32_b32 v47, v31, v28
	v_cmp_eq_u32_e32 vcc, 0, v47
	v_cmp_ne_u64_e64 s[6:7], 0, v[30:31]
	s_and_b64 s[8:9], s[6:7], vcc
	; wave barrier
	s_and_saveexec_b64 s[6:7], s[8:9]
	s_cbranch_execz .LBB1544_39
; %bb.38:
	v_bcnt_u32_b32 v28, v30, 0
	v_bcnt_u32_b32 v28, v31, v28
	s_waitcnt lgkmcnt(0)
	v_add_u32_e32 v28, v44, v28
	ds_write_b32 v49, v28 offset:32
.LBB1544_39:
	s_or_b64 exec, exec, s[6:7]
	v_xor_b32_e32 v15, 0x80000000, v15
	v_lshrrev_b64 v[30:31], s24, v[14:15]
	v_and_b32_e32 v50, s33, v30
	v_lshl_add_u32 v28, v50, 3, v50
	v_add_lshl_u32 v52, v45, v28, 2
	v_and_b32_e32 v28, 1, v50
	v_lshl_add_u64 v[30:31], v[28:29], 0, -1
	v_cmp_ne_u32_e32 vcc, 0, v28
	; wave barrier
	s_nop 1
	v_xor_b32_e32 v30, vcc_lo, v30
	v_xor_b32_e32 v28, vcc_hi, v31
	v_and_b32_e32 v51, exec_lo, v30
	v_lshlrev_b32_e32 v31, 30, v50
	v_mov_b32_e32 v30, v29
	v_cmp_gt_i64_e32 vcc, 0, v[30:31]
	v_not_b32_e32 v30, v31
	v_ashrrev_i32_e32 v30, 31, v30
	v_and_b32_e32 v28, exec_hi, v28
	v_xor_b32_e32 v31, vcc_hi, v30
	v_xor_b32_e32 v30, vcc_lo, v30
	v_and_b32_e32 v28, v28, v31
	v_and_b32_e32 v51, v51, v30
	v_lshlrev_b32_e32 v31, 29, v50
	v_mov_b32_e32 v30, v29
	v_cmp_gt_i64_e32 vcc, 0, v[30:31]
	v_not_b32_e32 v30, v31
	v_ashrrev_i32_e32 v30, 31, v30
	v_xor_b32_e32 v31, vcc_hi, v30
	v_xor_b32_e32 v30, vcc_lo, v30
	v_and_b32_e32 v28, v28, v31
	v_and_b32_e32 v51, v51, v30
	v_lshlrev_b32_e32 v31, 28, v50
	v_mov_b32_e32 v30, v29
	v_cmp_gt_i64_e32 vcc, 0, v[30:31]
	v_not_b32_e32 v30, v31
	v_ashrrev_i32_e32 v30, 31, v30
	;; [unrolled: 9-line block ×5, first 2 shown]
	v_xor_b32_e32 v31, vcc_hi, v30
	v_xor_b32_e32 v30, vcc_lo, v30
	v_and_b32_e32 v28, v28, v31
	v_lshlrev_b32_e32 v31, 24, v50
	v_and_b32_e32 v51, v51, v30
	v_mov_b32_e32 v30, v29
	v_not_b32_e32 v29, v31
	v_cmp_gt_i64_e32 vcc, 0, v[30:31]
	v_ashrrev_i32_e32 v29, 31, v29
	ds_read_b32 v48, v52 offset:32
	v_xor_b32_e32 v30, vcc_hi, v29
	v_xor_b32_e32 v31, vcc_lo, v29
	v_and_b32_e32 v29, v28, v30
	v_and_b32_e32 v28, v51, v31
	v_mbcnt_lo_u32_b32 v30, v28, 0
	v_mbcnt_hi_u32_b32 v50, v29, v30
	v_cmp_eq_u32_e32 vcc, 0, v50
	v_cmp_ne_u64_e64 s[6:7], 0, v[28:29]
	s_and_b64 s[8:9], s[6:7], vcc
	; wave barrier
	s_and_saveexec_b64 s[6:7], s[8:9]
	s_cbranch_execz .LBB1544_41
; %bb.40:
	v_bcnt_u32_b32 v28, v28, 0
	v_bcnt_u32_b32 v28, v29, v28
	s_waitcnt lgkmcnt(0)
	v_add_u32_e32 v28, v48, v28
	ds_write_b32 v52, v28 offset:32
.LBB1544_41:
	s_or_b64 exec, exec, s[6:7]
	v_xor_b32_e32 v17, 0x80000000, v17
	v_lshrrev_b64 v[28:29], s24, v[16:17]
	v_and_b32_e32 v53, s33, v28
	v_lshl_add_u32 v28, v53, 3, v53
	v_add_lshl_u32 v55, v45, v28, 2
	v_and_b32_e32 v28, 1, v53
	v_mov_b32_e32 v29, 0
	v_lshl_add_u64 v[30:31], v[28:29], 0, -1
	v_cmp_ne_u32_e32 vcc, 0, v28
	; wave barrier
	s_nop 1
	v_xor_b32_e32 v30, vcc_lo, v30
	v_xor_b32_e32 v28, vcc_hi, v31
	v_and_b32_e32 v54, exec_lo, v30
	v_lshlrev_b32_e32 v31, 30, v53
	v_mov_b32_e32 v30, v29
	v_cmp_gt_i64_e32 vcc, 0, v[30:31]
	v_not_b32_e32 v30, v31
	v_ashrrev_i32_e32 v30, 31, v30
	v_and_b32_e32 v28, exec_hi, v28
	v_xor_b32_e32 v31, vcc_hi, v30
	v_xor_b32_e32 v30, vcc_lo, v30
	v_and_b32_e32 v28, v28, v31
	v_and_b32_e32 v54, v54, v30
	v_lshlrev_b32_e32 v31, 29, v53
	v_mov_b32_e32 v30, v29
	v_cmp_gt_i64_e32 vcc, 0, v[30:31]
	v_not_b32_e32 v30, v31
	v_ashrrev_i32_e32 v30, 31, v30
	v_xor_b32_e32 v31, vcc_hi, v30
	v_xor_b32_e32 v30, vcc_lo, v30
	v_and_b32_e32 v28, v28, v31
	v_and_b32_e32 v54, v54, v30
	v_lshlrev_b32_e32 v31, 28, v53
	v_mov_b32_e32 v30, v29
	v_cmp_gt_i64_e32 vcc, 0, v[30:31]
	v_not_b32_e32 v30, v31
	v_ashrrev_i32_e32 v30, 31, v30
	;; [unrolled: 9-line block ×6, first 2 shown]
	v_xor_b32_e32 v31, vcc_hi, v30
	v_xor_b32_e32 v30, vcc_lo, v30
	ds_read_b32 v51, v55 offset:32
	v_and_b32_e32 v30, v54, v30
	v_and_b32_e32 v31, v28, v31
	v_mbcnt_lo_u32_b32 v28, v30, 0
	v_mbcnt_hi_u32_b32 v53, v31, v28
	v_cmp_eq_u32_e32 vcc, 0, v53
	v_cmp_ne_u64_e64 s[6:7], 0, v[30:31]
	s_and_b64 s[8:9], s[6:7], vcc
	; wave barrier
	s_and_saveexec_b64 s[6:7], s[8:9]
	s_cbranch_execz .LBB1544_43
; %bb.42:
	v_bcnt_u32_b32 v28, v30, 0
	v_bcnt_u32_b32 v28, v31, v28
	s_waitcnt lgkmcnt(0)
	v_add_u32_e32 v28, v51, v28
	ds_write_b32 v55, v28 offset:32
.LBB1544_43:
	s_or_b64 exec, exec, s[6:7]
	v_xor_b32_e32 v19, 0x80000000, v19
	v_lshrrev_b64 v[30:31], s24, v[18:19]
	v_and_b32_e32 v56, s33, v30
	v_lshl_add_u32 v28, v56, 3, v56
	v_add_lshl_u32 v58, v45, v28, 2
	v_and_b32_e32 v28, 1, v56
	v_lshl_add_u64 v[30:31], v[28:29], 0, -1
	v_cmp_ne_u32_e32 vcc, 0, v28
	; wave barrier
	s_nop 1
	v_xor_b32_e32 v30, vcc_lo, v30
	v_xor_b32_e32 v28, vcc_hi, v31
	v_and_b32_e32 v57, exec_lo, v30
	v_lshlrev_b32_e32 v31, 30, v56
	v_mov_b32_e32 v30, v29
	v_cmp_gt_i64_e32 vcc, 0, v[30:31]
	v_not_b32_e32 v30, v31
	v_ashrrev_i32_e32 v30, 31, v30
	v_and_b32_e32 v28, exec_hi, v28
	v_xor_b32_e32 v31, vcc_hi, v30
	v_xor_b32_e32 v30, vcc_lo, v30
	v_and_b32_e32 v28, v28, v31
	v_and_b32_e32 v57, v57, v30
	v_lshlrev_b32_e32 v31, 29, v56
	v_mov_b32_e32 v30, v29
	v_cmp_gt_i64_e32 vcc, 0, v[30:31]
	v_not_b32_e32 v30, v31
	v_ashrrev_i32_e32 v30, 31, v30
	v_xor_b32_e32 v31, vcc_hi, v30
	v_xor_b32_e32 v30, vcc_lo, v30
	v_and_b32_e32 v28, v28, v31
	v_and_b32_e32 v57, v57, v30
	v_lshlrev_b32_e32 v31, 28, v56
	v_mov_b32_e32 v30, v29
	v_cmp_gt_i64_e32 vcc, 0, v[30:31]
	v_not_b32_e32 v30, v31
	v_ashrrev_i32_e32 v30, 31, v30
	;; [unrolled: 9-line block ×5, first 2 shown]
	v_xor_b32_e32 v31, vcc_hi, v30
	v_xor_b32_e32 v30, vcc_lo, v30
	v_and_b32_e32 v28, v28, v31
	v_lshlrev_b32_e32 v31, 24, v56
	v_and_b32_e32 v57, v57, v30
	v_mov_b32_e32 v30, v29
	v_not_b32_e32 v29, v31
	v_cmp_gt_i64_e32 vcc, 0, v[30:31]
	v_ashrrev_i32_e32 v29, 31, v29
	ds_read_b32 v54, v58 offset:32
	v_xor_b32_e32 v30, vcc_hi, v29
	v_xor_b32_e32 v31, vcc_lo, v29
	v_and_b32_e32 v29, v28, v30
	v_and_b32_e32 v28, v57, v31
	v_mbcnt_lo_u32_b32 v30, v28, 0
	v_mbcnt_hi_u32_b32 v56, v29, v30
	v_cmp_eq_u32_e32 vcc, 0, v56
	v_cmp_ne_u64_e64 s[6:7], 0, v[28:29]
	s_and_b64 s[8:9], s[6:7], vcc
	; wave barrier
	s_and_saveexec_b64 s[6:7], s[8:9]
	s_cbranch_execz .LBB1544_45
; %bb.44:
	v_bcnt_u32_b32 v28, v28, 0
	v_bcnt_u32_b32 v28, v29, v28
	s_waitcnt lgkmcnt(0)
	v_add_u32_e32 v28, v54, v28
	ds_write_b32 v58, v28 offset:32
.LBB1544_45:
	s_or_b64 exec, exec, s[6:7]
	v_xor_b32_e32 v21, 0x80000000, v21
	v_lshrrev_b64 v[28:29], s24, v[20:21]
	v_and_b32_e32 v59, s33, v28
	v_lshl_add_u32 v28, v59, 3, v59
	v_add_lshl_u32 v61, v45, v28, 2
	v_and_b32_e32 v28, 1, v59
	v_mov_b32_e32 v29, 0
	v_lshl_add_u64 v[30:31], v[28:29], 0, -1
	v_cmp_ne_u32_e32 vcc, 0, v28
	; wave barrier
	s_nop 1
	v_xor_b32_e32 v30, vcc_lo, v30
	v_xor_b32_e32 v28, vcc_hi, v31
	v_and_b32_e32 v60, exec_lo, v30
	v_lshlrev_b32_e32 v31, 30, v59
	v_mov_b32_e32 v30, v29
	v_cmp_gt_i64_e32 vcc, 0, v[30:31]
	v_not_b32_e32 v30, v31
	v_ashrrev_i32_e32 v30, 31, v30
	v_and_b32_e32 v28, exec_hi, v28
	v_xor_b32_e32 v31, vcc_hi, v30
	v_xor_b32_e32 v30, vcc_lo, v30
	v_and_b32_e32 v28, v28, v31
	v_and_b32_e32 v60, v60, v30
	v_lshlrev_b32_e32 v31, 29, v59
	v_mov_b32_e32 v30, v29
	v_cmp_gt_i64_e32 vcc, 0, v[30:31]
	v_not_b32_e32 v30, v31
	v_ashrrev_i32_e32 v30, 31, v30
	v_xor_b32_e32 v31, vcc_hi, v30
	v_xor_b32_e32 v30, vcc_lo, v30
	v_and_b32_e32 v28, v28, v31
	v_and_b32_e32 v60, v60, v30
	v_lshlrev_b32_e32 v31, 28, v59
	v_mov_b32_e32 v30, v29
	v_cmp_gt_i64_e32 vcc, 0, v[30:31]
	v_not_b32_e32 v30, v31
	v_ashrrev_i32_e32 v30, 31, v30
	;; [unrolled: 9-line block ×6, first 2 shown]
	v_xor_b32_e32 v31, vcc_hi, v30
	v_xor_b32_e32 v30, vcc_lo, v30
	ds_read_b32 v57, v61 offset:32
	v_and_b32_e32 v30, v60, v30
	v_and_b32_e32 v31, v28, v31
	v_mbcnt_lo_u32_b32 v28, v30, 0
	v_mbcnt_hi_u32_b32 v59, v31, v28
	v_cmp_eq_u32_e32 vcc, 0, v59
	v_cmp_ne_u64_e64 s[6:7], 0, v[30:31]
	s_and_b64 s[8:9], s[6:7], vcc
	; wave barrier
	s_and_saveexec_b64 s[6:7], s[8:9]
	s_cbranch_execz .LBB1544_47
; %bb.46:
	v_bcnt_u32_b32 v28, v30, 0
	v_bcnt_u32_b32 v28, v31, v28
	s_waitcnt lgkmcnt(0)
	v_add_u32_e32 v28, v57, v28
	ds_write_b32 v61, v28 offset:32
.LBB1544_47:
	s_or_b64 exec, exec, s[6:7]
	v_xor_b32_e32 v23, 0x80000000, v23
	v_lshrrev_b64 v[30:31], s24, v[22:23]
	v_and_b32_e32 v62, s33, v30
	v_lshl_add_u32 v28, v62, 3, v62
	v_add_lshl_u32 v64, v45, v28, 2
	v_and_b32_e32 v28, 1, v62
	v_lshl_add_u64 v[30:31], v[28:29], 0, -1
	v_cmp_ne_u32_e32 vcc, 0, v28
	; wave barrier
	s_nop 1
	v_xor_b32_e32 v30, vcc_lo, v30
	v_xor_b32_e32 v28, vcc_hi, v31
	v_and_b32_e32 v63, exec_lo, v30
	v_lshlrev_b32_e32 v31, 30, v62
	v_mov_b32_e32 v30, v29
	v_cmp_gt_i64_e32 vcc, 0, v[30:31]
	v_not_b32_e32 v30, v31
	v_ashrrev_i32_e32 v30, 31, v30
	v_and_b32_e32 v28, exec_hi, v28
	v_xor_b32_e32 v31, vcc_hi, v30
	v_xor_b32_e32 v30, vcc_lo, v30
	v_and_b32_e32 v28, v28, v31
	v_and_b32_e32 v63, v63, v30
	v_lshlrev_b32_e32 v31, 29, v62
	v_mov_b32_e32 v30, v29
	v_cmp_gt_i64_e32 vcc, 0, v[30:31]
	v_not_b32_e32 v30, v31
	v_ashrrev_i32_e32 v30, 31, v30
	v_xor_b32_e32 v31, vcc_hi, v30
	v_xor_b32_e32 v30, vcc_lo, v30
	v_and_b32_e32 v28, v28, v31
	v_and_b32_e32 v63, v63, v30
	v_lshlrev_b32_e32 v31, 28, v62
	v_mov_b32_e32 v30, v29
	v_cmp_gt_i64_e32 vcc, 0, v[30:31]
	v_not_b32_e32 v30, v31
	v_ashrrev_i32_e32 v30, 31, v30
	;; [unrolled: 9-line block ×5, first 2 shown]
	v_xor_b32_e32 v31, vcc_hi, v30
	v_xor_b32_e32 v30, vcc_lo, v30
	v_and_b32_e32 v28, v28, v31
	v_lshlrev_b32_e32 v31, 24, v62
	v_and_b32_e32 v63, v63, v30
	v_mov_b32_e32 v30, v29
	v_not_b32_e32 v29, v31
	v_cmp_gt_i64_e32 vcc, 0, v[30:31]
	v_ashrrev_i32_e32 v29, 31, v29
	ds_read_b32 v60, v64 offset:32
	v_xor_b32_e32 v30, vcc_hi, v29
	v_xor_b32_e32 v31, vcc_lo, v29
	v_and_b32_e32 v29, v28, v30
	v_and_b32_e32 v28, v63, v31
	v_mbcnt_lo_u32_b32 v30, v28, 0
	v_mbcnt_hi_u32_b32 v62, v29, v30
	v_cmp_eq_u32_e32 vcc, 0, v62
	v_cmp_ne_u64_e64 s[6:7], 0, v[28:29]
	s_and_b64 s[8:9], s[6:7], vcc
	; wave barrier
	s_and_saveexec_b64 s[6:7], s[8:9]
	s_cbranch_execz .LBB1544_49
; %bb.48:
	v_bcnt_u32_b32 v28, v28, 0
	v_bcnt_u32_b32 v28, v29, v28
	s_waitcnt lgkmcnt(0)
	v_add_u32_e32 v28, v60, v28
	ds_write_b32 v64, v28 offset:32
.LBB1544_49:
	s_or_b64 exec, exec, s[6:7]
	v_xor_b32_e32 v25, 0x80000000, v25
	v_lshrrev_b64 v[28:29], s24, v[24:25]
	v_and_b32_e32 v65, s33, v28
	v_lshl_add_u32 v28, v65, 3, v65
	v_add_lshl_u32 v66, v45, v28, 2
	v_and_b32_e32 v28, 1, v65
	v_mov_b32_e32 v29, 0
	v_lshl_add_u64 v[30:31], v[28:29], 0, -1
	v_cmp_ne_u32_e32 vcc, 0, v28
	; wave barrier
	s_nop 1
	v_xor_b32_e32 v30, vcc_lo, v30
	v_xor_b32_e32 v28, vcc_hi, v31
	v_and_b32_e32 v67, exec_lo, v30
	v_lshlrev_b32_e32 v31, 30, v65
	v_mov_b32_e32 v30, v29
	v_cmp_gt_i64_e32 vcc, 0, v[30:31]
	v_not_b32_e32 v30, v31
	v_ashrrev_i32_e32 v30, 31, v30
	v_and_b32_e32 v28, exec_hi, v28
	v_xor_b32_e32 v31, vcc_hi, v30
	v_xor_b32_e32 v30, vcc_lo, v30
	v_and_b32_e32 v28, v28, v31
	v_and_b32_e32 v67, v67, v30
	v_lshlrev_b32_e32 v31, 29, v65
	v_mov_b32_e32 v30, v29
	v_cmp_gt_i64_e32 vcc, 0, v[30:31]
	v_not_b32_e32 v30, v31
	v_ashrrev_i32_e32 v30, 31, v30
	v_xor_b32_e32 v31, vcc_hi, v30
	v_xor_b32_e32 v30, vcc_lo, v30
	v_and_b32_e32 v28, v28, v31
	v_and_b32_e32 v67, v67, v30
	v_lshlrev_b32_e32 v31, 28, v65
	v_mov_b32_e32 v30, v29
	v_cmp_gt_i64_e32 vcc, 0, v[30:31]
	v_not_b32_e32 v30, v31
	v_ashrrev_i32_e32 v30, 31, v30
	;; [unrolled: 9-line block ×6, first 2 shown]
	v_xor_b32_e32 v31, vcc_hi, v30
	v_xor_b32_e32 v30, vcc_lo, v30
	ds_read_b32 v63, v66 offset:32
	v_and_b32_e32 v30, v67, v30
	v_and_b32_e32 v31, v28, v31
	v_mbcnt_lo_u32_b32 v28, v30, 0
	v_mbcnt_hi_u32_b32 v65, v31, v28
	v_cmp_eq_u32_e32 vcc, 0, v65
	v_cmp_ne_u64_e64 s[6:7], 0, v[30:31]
	s_and_b64 s[8:9], s[6:7], vcc
	; wave barrier
	s_and_saveexec_b64 s[6:7], s[8:9]
	s_cbranch_execz .LBB1544_51
; %bb.50:
	v_bcnt_u32_b32 v28, v30, 0
	v_bcnt_u32_b32 v28, v31, v28
	s_waitcnt lgkmcnt(0)
	v_add_u32_e32 v28, v63, v28
	ds_write_b32 v66, v28 offset:32
.LBB1544_51:
	s_or_b64 exec, exec, s[6:7]
	v_xor_b32_e32 v27, 0x80000000, v27
	v_lshrrev_b64 v[30:31], s24, v[26:27]
	v_and_b32_e32 v67, s33, v30
	v_lshl_add_u32 v28, v67, 3, v67
	v_add_lshl_u32 v68, v45, v28, 2
	v_and_b32_e32 v28, 1, v67
	v_lshl_add_u64 v[30:31], v[28:29], 0, -1
	v_cmp_ne_u32_e32 vcc, 0, v28
	; wave barrier
	s_nop 1
	v_xor_b32_e32 v30, vcc_lo, v30
	v_xor_b32_e32 v28, vcc_hi, v31
	v_and_b32_e32 v70, exec_lo, v30
	v_lshlrev_b32_e32 v31, 30, v67
	v_mov_b32_e32 v30, v29
	v_cmp_gt_i64_e32 vcc, 0, v[30:31]
	v_not_b32_e32 v30, v31
	v_ashrrev_i32_e32 v30, 31, v30
	v_and_b32_e32 v28, exec_hi, v28
	v_xor_b32_e32 v31, vcc_hi, v30
	v_xor_b32_e32 v30, vcc_lo, v30
	v_and_b32_e32 v28, v28, v31
	v_and_b32_e32 v70, v70, v30
	v_lshlrev_b32_e32 v31, 29, v67
	v_mov_b32_e32 v30, v29
	v_cmp_gt_i64_e32 vcc, 0, v[30:31]
	v_not_b32_e32 v30, v31
	v_ashrrev_i32_e32 v30, 31, v30
	v_xor_b32_e32 v31, vcc_hi, v30
	v_xor_b32_e32 v30, vcc_lo, v30
	v_and_b32_e32 v28, v28, v31
	v_and_b32_e32 v70, v70, v30
	v_lshlrev_b32_e32 v31, 28, v67
	v_mov_b32_e32 v30, v29
	v_cmp_gt_i64_e32 vcc, 0, v[30:31]
	v_not_b32_e32 v30, v31
	v_ashrrev_i32_e32 v30, 31, v30
	;; [unrolled: 9-line block ×5, first 2 shown]
	v_xor_b32_e32 v31, vcc_hi, v30
	v_xor_b32_e32 v30, vcc_lo, v30
	v_and_b32_e32 v28, v28, v31
	v_lshlrev_b32_e32 v31, 24, v67
	v_and_b32_e32 v70, v70, v30
	v_mov_b32_e32 v30, v29
	v_not_b32_e32 v29, v31
	v_cmp_gt_i64_e32 vcc, 0, v[30:31]
	v_ashrrev_i32_e32 v29, 31, v29
	ds_read_b32 v45, v68 offset:32
	v_xor_b32_e32 v30, vcc_hi, v29
	v_xor_b32_e32 v31, vcc_lo, v29
	v_and_b32_e32 v29, v28, v30
	v_and_b32_e32 v28, v70, v31
	v_mbcnt_lo_u32_b32 v30, v28, 0
	v_mbcnt_hi_u32_b32 v67, v29, v30
	v_cmp_eq_u32_e32 vcc, 0, v67
	v_cmp_ne_u64_e64 s[6:7], 0, v[28:29]
	v_add_u32_e32 v69, 32, v33
	s_and_b64 s[8:9], s[6:7], vcc
	; wave barrier
	s_and_saveexec_b64 s[6:7], s[8:9]
	s_cbranch_execz .LBB1544_53
; %bb.52:
	v_bcnt_u32_b32 v28, v28, 0
	v_bcnt_u32_b32 v28, v29, v28
	s_waitcnt lgkmcnt(0)
	v_add_u32_e32 v28, v45, v28
	ds_write_b32 v68, v28 offset:32
.LBB1544_53:
	s_or_b64 exec, exec, s[6:7]
	; wave barrier
	s_waitcnt lgkmcnt(0)
	s_barrier
	ds_read2_b32 v[30:31], v33 offset0:8 offset1:9
	ds_read2_b32 v[28:29], v69 offset0:2 offset1:3
	ds_read_b32 v70, v69 offset:16
	v_min_u32_e32 v32, 0x1c0, v32
	v_or_b32_e32 v32, 63, v32
	s_waitcnt lgkmcnt(1)
	v_add3_u32 v71, v31, v30, v28
	s_waitcnt lgkmcnt(0)
	v_add3_u32 v70, v71, v29, v70
	v_and_b32_e32 v71, 15, v3
	v_cmp_ne_u32_e32 vcc, 0, v71
	v_mov_b32_dpp v72, v70 row_shr:1 row_mask:0xf bank_mask:0xf
	s_nop 0
	v_cndmask_b32_e32 v72, 0, v72, vcc
	v_add_u32_e32 v70, v72, v70
	v_cmp_lt_u32_e32 vcc, 1, v71
	s_nop 0
	v_mov_b32_dpp v72, v70 row_shr:2 row_mask:0xf bank_mask:0xf
	v_cndmask_b32_e32 v72, 0, v72, vcc
	v_add_u32_e32 v70, v70, v72
	v_cmp_lt_u32_e32 vcc, 3, v71
	s_nop 0
	v_mov_b32_dpp v72, v70 row_shr:4 row_mask:0xf bank_mask:0xf
	;; [unrolled: 5-line block ×3, first 2 shown]
	v_cndmask_b32_e32 v71, 0, v72, vcc
	v_add_u32_e32 v70, v70, v71
	v_bfe_i32 v72, v3, 4, 1
	v_cmp_lt_u32_e32 vcc, 31, v3
	v_mov_b32_dpp v71, v70 row_bcast:15 row_mask:0xf bank_mask:0xf
	v_and_b32_e32 v71, v72, v71
	v_add_u32_e32 v70, v70, v71
	s_nop 1
	v_mov_b32_dpp v71, v70 row_bcast:31 row_mask:0xf bank_mask:0xf
	v_cndmask_b32_e32 v71, 0, v71, vcc
	v_add_u32_e32 v70, v70, v71
	v_lshrrev_b32_e32 v71, 6, v2
	v_cmp_eq_u32_e32 vcc, v32, v2
	s_and_saveexec_b64 s[6:7], vcc
	s_cbranch_execz .LBB1544_55
; %bb.54:
	v_lshlrev_b32_e32 v32, 2, v71
	ds_write_b32 v32, v70
.LBB1544_55:
	s_or_b64 exec, exec, s[6:7]
	v_cmp_gt_u32_e32 vcc, 8, v2
	s_waitcnt lgkmcnt(0)
	s_barrier
	s_and_saveexec_b64 s[6:7], vcc
	s_cbranch_execz .LBB1544_57
; %bb.56:
	v_lshlrev_b32_e32 v32, 2, v2
	ds_read_b32 v72, v32
	v_and_b32_e32 v73, 7, v3
	v_cmp_ne_u32_e32 vcc, 0, v73
	s_waitcnt lgkmcnt(0)
	v_mov_b32_dpp v74, v72 row_shr:1 row_mask:0xf bank_mask:0xf
	v_cndmask_b32_e32 v74, 0, v74, vcc
	v_add_u32_e32 v72, v74, v72
	v_cmp_lt_u32_e32 vcc, 1, v73
	s_nop 0
	v_mov_b32_dpp v74, v72 row_shr:2 row_mask:0xf bank_mask:0xf
	v_cndmask_b32_e32 v74, 0, v74, vcc
	v_add_u32_e32 v72, v72, v74
	v_cmp_lt_u32_e32 vcc, 3, v73
	s_nop 0
	v_mov_b32_dpp v74, v72 row_shr:4 row_mask:0xf bank_mask:0xf
	v_cndmask_b32_e32 v73, 0, v74, vcc
	v_add_u32_e32 v72, v72, v73
	ds_write_b32 v32, v72
.LBB1544_57:
	s_or_b64 exec, exec, s[6:7]
	v_cmp_lt_u32_e32 vcc, 63, v2
	v_mov_b32_e32 v32, 0
	s_waitcnt lgkmcnt(0)
	s_barrier
	s_and_saveexec_b64 s[6:7], vcc
	s_cbranch_execz .LBB1544_59
; %bb.58:
	v_lshl_add_u32 v32, v71, 2, -4
	ds_read_b32 v32, v32
.LBB1544_59:
	s_or_b64 exec, exec, s[6:7]
	v_add_u32_e32 v71, -1, v3
	v_and_b32_e32 v72, 64, v3
	v_cmp_lt_i32_e32 vcc, v71, v72
	s_waitcnt lgkmcnt(0)
	v_add_u32_e32 v70, v32, v70
	s_movk_i32 s6, 0x100
	v_cndmask_b32_e32 v71, v71, v3, vcc
	v_lshlrev_b32_e32 v71, 2, v71
	ds_bpermute_b32 v70, v71, v70
	v_cmp_eq_u32_e32 vcc, 0, v3
	s_waitcnt lgkmcnt(0)
	s_nop 0
	v_cndmask_b32_e32 v3, v70, v32, vcc
	v_cndmask_b32_e64 v3, v3, 0, s[4:5]
	v_add_u32_e32 v30, v3, v30
	v_add_u32_e32 v31, v30, v31
	;; [unrolled: 1-line block ×4, first 2 shown]
	ds_write2_b32 v33, v3, v30 offset0:8 offset1:9
	ds_write2_b32 v69, v31, v28 offset0:2 offset1:3
	ds_write_b32 v69, v29 offset:16
	s_waitcnt lgkmcnt(0)
	s_barrier
	ds_read_b32 v75, v38 offset:32
	ds_read_b32 v69, v39 offset:32
	;; [unrolled: 1-line block ×12, first 2 shown]
	v_cmp_gt_u32_e32 vcc, s6, v2
                                        ; implicit-def: $vgpr3
                                        ; implicit-def: $vgpr38
	s_and_saveexec_b64 s[8:9], vcc
	s_cbranch_execz .LBB1544_63
; %bb.60:
	v_mul_u32_u24_e32 v3, 9, v2
	v_lshlrev_b32_e32 v29, 2, v3
	ds_read_b32 v3, v29 offset:32
	s_movk_i32 s6, 0xff
	v_cmp_ne_u32_e64 s[6:7], s6, v2
	v_mov_b32_e32 v28, 0x1800
	s_and_saveexec_b64 s[10:11], s[6:7]
	s_cbranch_execz .LBB1544_62
; %bb.61:
	ds_read_b32 v28, v29 offset:68
.LBB1544_62:
	s_or_b64 exec, exec, s[10:11]
	s_waitcnt lgkmcnt(0)
	v_sub_u32_e32 v38, v28, v3
.LBB1544_63:
	s_or_b64 exec, exec, s[8:9]
	s_waitcnt lgkmcnt(0)
	s_barrier
	s_and_saveexec_b64 s[8:9], vcc
	s_cbranch_execz .LBB1544_73
; %bb.64:
	v_lshl_or_b32 v30, s27, 8, v2
	v_mov_b32_e32 v31, 0
	v_lshl_add_u64 v[28:29], v[30:31], 2, s[18:19]
	v_or_b32_e32 v30, 2.0, v38
	s_mov_b64 s[10:11], 0
	s_brev_b32 s16, 1
	s_mov_b32 s17, s27
	v_mov_b32_e32 v49, 0
	global_store_dword v[28:29], v30, off sc1
                                        ; implicit-def: $sgpr6_sgpr7
	s_branch .LBB1544_66
.LBB1544_65:                            ;   in Loop: Header=BB1544_66 Depth=1
	s_or_b64 exec, exec, s[12:13]
	v_and_b32_e32 v32, 0x3fffffff, v55
	v_add_u32_e32 v49, v32, v49
	v_cmp_eq_u32_e64 s[6:7], s16, v30
	s_and_b64 s[12:13], exec, s[6:7]
	s_or_b64 s[10:11], s[12:13], s[10:11]
	s_andn2_b64 exec, exec, s[10:11]
	s_cbranch_execz .LBB1544_72
.LBB1544_66:                            ; =>This Loop Header: Depth=1
                                        ;     Child Loop BB1544_69 Depth 2
	s_or_b64 s[6:7], s[6:7], exec
	s_cmp_eq_u32 s17, 0
	s_cbranch_scc1 .LBB1544_71
; %bb.67:                               ;   in Loop: Header=BB1544_66 Depth=1
	s_add_i32 s17, s17, -1
	v_lshl_or_b32 v30, s17, 8, v2
	v_lshl_add_u64 v[32:33], v[30:31], 2, s[18:19]
	global_load_dword v55, v[32:33], off sc1
	s_waitcnt vmcnt(0)
	v_and_b32_e32 v30, -2.0, v55
	v_cmp_eq_u32_e64 s[6:7], 0, v30
	s_and_saveexec_b64 s[12:13], s[6:7]
	s_cbranch_execz .LBB1544_65
; %bb.68:                               ;   in Loop: Header=BB1544_66 Depth=1
	s_mov_b64 s[14:15], 0
.LBB1544_69:                            ;   Parent Loop BB1544_66 Depth=1
                                        ; =>  This Inner Loop Header: Depth=2
	global_load_dword v55, v[32:33], off sc1
	s_waitcnt vmcnt(0)
	v_and_b32_e32 v30, -2.0, v55
	v_cmp_ne_u32_e64 s[6:7], 0, v30
	s_or_b64 s[14:15], s[6:7], s[14:15]
	s_andn2_b64 exec, exec, s[14:15]
	s_cbranch_execnz .LBB1544_69
; %bb.70:                               ;   in Loop: Header=BB1544_66 Depth=1
	s_or_b64 exec, exec, s[14:15]
	s_branch .LBB1544_65
.LBB1544_71:                            ;   in Loop: Header=BB1544_66 Depth=1
                                        ; implicit-def: $sgpr17
	s_and_b64 s[12:13], exec, s[6:7]
	s_or_b64 s[10:11], s[12:13], s[10:11]
	s_andn2_b64 exec, exec, s[10:11]
	s_cbranch_execnz .LBB1544_66
.LBB1544_72:
	s_or_b64 exec, exec, s[10:11]
	v_add_u32_e32 v30, v49, v38
	v_or_b32_e32 v30, 0x80000000, v30
	global_store_dword v[28:29], v30, off sc1
	v_lshlrev_b32_e32 v28, 2, v2
	global_load_dword v29, v28, s[20:21]
	v_sub_u32_e32 v30, v49, v3
	s_waitcnt vmcnt(0)
	v_add_u32_e32 v29, v30, v29
	ds_write_b32 v28, v29
.LBB1544_73:
	s_or_b64 exec, exec, s[8:9]
	v_add_u32_e32 v30, v75, v35
	v_add3_u32 v28, v36, v34, v69
	v_add3_u32 v29, v40, v37, v70
	;; [unrolled: 1-line block ×11, first 2 shown]
	v_lshlrev_b32_e32 v31, 3, v2
	v_mov_b32_e32 v77, 0x400
	s_movk_i32 s10, 0x400
	v_add_u32_e32 v32, 0x400, v31
	v_lshl_add_u32 v33, v33, 3, v77
	v_add3_u32 v35, v67, v39, v45
	v_lshl_add_u32 v39, v76, 3, v77
	v_add3_u32 v42, v65, v42, v63
	v_lshl_add_u32 v45, v75, 3, v77
	v_add3_u32 v46, v62, v46, v60
	v_lshl_add_u32 v49, v49, 3, v77
	v_add3_u32 v52, v59, v52, v57
	v_lshl_add_u32 v55, v55, 3, v77
	v_add3_u32 v54, v56, v58, v54
	v_lshl_add_u32 v56, v68, 3, v77
	v_add3_u32 v51, v53, v74, v51
	v_lshl_add_u32 v53, v66, 3, v77
	v_add3_u32 v48, v50, v73, v48
	v_lshl_add_u32 v50, v64, 3, v77
	v_add3_u32 v44, v47, v72, v44
	v_lshl_add_u32 v47, v61, 3, v77
	v_add3_u32 v41, v43, v71, v41
	v_lshl_add_u32 v43, v29, 3, v77
	v_add3_u32 v37, v40, v70, v37
	v_lshl_add_u32 v40, v28, 3, v77
	v_add3_u32 v34, v36, v69, v34
	v_lshl_add_u32 v36, v30, 3, v77
	s_mov_b32 s11, 0
	v_mov_b32_e32 v29, 0
	s_movk_i32 s12, 0x200
	v_mov_b32_e32 v57, v2
	s_mov_b32 s13, 0
	s_branch .LBB1544_75
.LBB1544_74:                            ;   in Loop: Header=BB1544_75 Depth=1
	s_or_b64 exec, exec, s[8:9]
	s_addk_i32 s13, 0xe000
	s_addk_i32 s11, 0xfc00
	s_cmp_eq_u32 s13, 0xffff4000
	v_add_u32_e32 v57, 0x400, v57
	s_barrier
	s_cbranch_scc1 .LBB1544_104
.LBB1544_75:                            ; =>This Inner Loop Header: Depth=1
	v_add_u32_e32 v28, s11, v30
	v_cmp_gt_u32_e64 s[6:7], s10, v28
	s_and_saveexec_b64 s[8:9], s[6:7]
	s_cbranch_execz .LBB1544_77
; %bb.76:                               ;   in Loop: Header=BB1544_75 Depth=1
	v_add_u32_e32 v28, s13, v36
	ds_write_b64 v28, v[4:5]
.LBB1544_77:                            ;   in Loop: Header=BB1544_75 Depth=1
	s_or_b64 exec, exec, s[8:9]
	v_add_u32_e32 v28, s11, v34
	v_cmp_gt_u32_e64 s[6:7], s10, v28
	s_and_saveexec_b64 s[8:9], s[6:7]
	s_cbranch_execz .LBB1544_79
; %bb.78:                               ;   in Loop: Header=BB1544_75 Depth=1
	v_add_u32_e32 v28, s13, v40
	ds_write_b64 v28, v[6:7]
.LBB1544_79:                            ;   in Loop: Header=BB1544_75 Depth=1
	s_or_b64 exec, exec, s[8:9]
	;; [unrolled: 9-line block ×12, first 2 shown]
	v_cmp_gt_u32_e64 s[6:7], s3, v57
	s_waitcnt lgkmcnt(0)
	s_barrier
	s_and_saveexec_b64 s[8:9], s[6:7]
	s_cbranch_execz .LBB1544_101
; %bb.100:                              ;   in Loop: Header=BB1544_75 Depth=1
	ds_read_b64 v[58:59], v31 offset:1024
	s_waitcnt lgkmcnt(0)
	v_lshrrev_b64 v[60:61], s24, v[58:59]
	v_and_b32_e32 v28, s33, v60
	v_lshlrev_b32_e32 v28, 2, v28
	ds_read_b32 v28, v28
	v_xor_b32_e32 v59, 0x80000000, v59
	s_waitcnt lgkmcnt(0)
	v_add_u32_e32 v28, v57, v28
	v_lshl_add_u64 v[60:61], v[28:29], 3, s[30:31]
	global_store_dwordx2 v[60:61], v[58:59], off
.LBB1544_101:                           ;   in Loop: Header=BB1544_75 Depth=1
	s_or_b64 exec, exec, s[8:9]
	v_add_u32_e32 v28, 0x200, v57
	v_cmp_gt_u32_e64 s[6:7], s3, v28
	s_and_saveexec_b64 s[8:9], s[6:7]
	s_cbranch_execz .LBB1544_74
; %bb.102:                              ;   in Loop: Header=BB1544_75 Depth=1
	ds_read_b64 v[58:59], v32 offset:4096
	s_waitcnt lgkmcnt(0)
	v_lshrrev_b64 v[60:61], s24, v[58:59]
	v_and_b32_e32 v28, s33, v60
	v_lshlrev_b32_e32 v28, 2, v28
	ds_read_b32 v28, v28
	v_xor_b32_e32 v59, 0x80000000, v59
	s_waitcnt lgkmcnt(0)
	v_add3_u32 v28, v57, v28, s12
	v_lshl_add_u64 v[60:61], v[28:29], 3, s[30:31]
	global_store_dwordx2 v[60:61], v[58:59], off
	s_branch .LBB1544_74
.LBB1544_103:
	s_mov_b64 s[8:9], 0
                                        ; implicit-def: $vgpr4
	s_cbranch_execnz .LBB1544_107
	s_branch .LBB1544_180
.LBB1544_104:
	s_add_i32 s26, s26, -1
	s_cmp_eq_u32 s26, s27
	s_cselect_b64 s[6:7], -1, 0
	s_and_b64 s[10:11], vcc, s[6:7]
	s_mov_b64 s[6:7], 0
	s_mov_b64 s[8:9], 0
                                        ; implicit-def: $vgpr4
	s_and_saveexec_b64 s[12:13], s[10:11]
	s_xor_b64 s[10:11], exec, s[12:13]
; %bb.105:
	s_mov_b64 s[8:9], exec
	v_add_u32_e32 v4, v3, v38
; %bb.106:
	s_or_b64 exec, exec, s[10:11]
	s_and_b64 vcc, exec, s[6:7]
	s_cbranch_vccz .LBB1544_180
.LBB1544_107:
	s_mov_b32 s35, 0
	s_load_dword s3, s[0:1], 0x64
	s_load_dword s12, s[0:1], 0x58
	s_lshl_b64 s[6:7], s[34:35], 3
	v_mbcnt_hi_u32_b32 v3, -1, v1
	s_add_u32 s6, s28, s6
	v_and_b32_e32 v1, 63, v3
	v_and_b32_e32 v31, 0x3c0, v2
	s_addc_u32 s7, s29, s7
	v_mov_b32_e32 v27, 0
	v_mul_u32_u24_e32 v6, 12, v31
	v_lshlrev_b32_e32 v26, 3, v1
	v_lshl_add_u64 v[4:5], s[6:7], 0, v[26:27]
	v_lshlrev_b32_e32 v26, 3, v6
	s_add_u32 s0, s0, 0x58
	v_lshl_add_u64 v[18:19], v[4:5], 0, v[26:27]
	s_addc_u32 s1, s1, 0
	s_waitcnt lgkmcnt(0)
	s_lshr_b32 s3, s3, 16
	global_load_dwordx2 v[4:5], v[18:19], off
	s_cmp_lt_u32 s2, s12
	s_cselect_b32 s2, 12, 18
	s_add_u32 s0, s0, s2
	s_addc_u32 s1, s1, 0
	global_load_ushort v38, v27, s[0:1]
	v_bfe_u32 v20, v0, 10, 10
	v_bfe_u32 v21, v0, 20, 10
	v_mul_u32_u24_e32 v0, 5, v2
	v_lshlrev_b32_e32 v30, 2, v0
	ds_write2_b32 v30, v27, v27 offset0:8 offset1:9
	ds_write2_b32 v30, v27, v27 offset0:10 offset1:11
	ds_write_b32 v30, v27 offset:48
	s_movk_i32 s0, 0x1000
	global_load_dwordx2 v[0:1], v[18:19], off offset:512
	global_load_dwordx2 v[6:7], v[18:19], off offset:1024
	;; [unrolled: 1-line block ×7, first 2 shown]
	v_add_co_u32_e32 v36, vcc, s0, v18
	v_mad_u32_u24 v40, v21, s3, v20
	s_nop 0
	v_addc_co_u32_e32 v37, vcc, 0, v19, vcc
	global_load_dwordx2 v[18:19], v[36:37], off
	global_load_dwordx2 v[20:21], v[36:37], off offset:512
	global_load_dwordx2 v[22:23], v[36:37], off offset:1024
	;; [unrolled: 1-line block ×3, first 2 shown]
	s_lshl_b32 s0, -1, s25
	s_not_b32 s13, s0
	v_mov_b32_e32 v28, v27
	v_mov_b32_e32 v32, v27
	;; [unrolled: 1-line block ×3, first 2 shown]
	s_waitcnt lgkmcnt(0)
	s_barrier
	s_waitcnt lgkmcnt(0)
	; wave barrier
	s_waitcnt vmcnt(12)
	v_xor_b32_e32 v5, 0x80000000, v5
	v_lshrrev_b64 v[36:37], s24, v[4:5]
	v_and_b32_e32 v43, s13, v36
	v_and_b32_e32 v26, 1, v43
	v_lshlrev_b32_e32 v29, 30, v43
	v_lshlrev_b32_e32 v33, 29, v43
	s_waitcnt vmcnt(11)
	v_mad_u64_u32 v[36:37], s[0:1], v40, v38, v[2:3]
	v_lshl_add_u64 v[40:41], v[26:27], 0, -1
	v_cmp_ne_u32_e32 vcc, 0, v26
	v_not_b32_e32 v26, v29
	v_lshlrev_b32_e32 v35, 28, v43
	v_cmp_gt_i64_e64 s[0:1], 0, v[28:29]
	v_cmp_gt_i64_e64 s[2:3], 0, v[32:33]
	v_not_b32_e32 v28, v33
	v_xor_b32_e32 v33, vcc_lo, v40
	v_ashrrev_i32_e32 v26, 31, v26
	v_cmp_gt_i64_e64 s[6:7], 0, v[34:35]
	v_not_b32_e32 v29, v35
	v_ashrrev_i32_e32 v28, 31, v28
	v_and_b32_e32 v33, exec_lo, v33
	v_xor_b32_e32 v34, s1, v26
	v_xor_b32_e32 v26, s0, v26
	v_xor_b32_e32 v32, vcc_hi, v41
	v_ashrrev_i32_e32 v29, 31, v29
	v_xor_b32_e32 v35, s3, v28
	v_xor_b32_e32 v28, s2, v28
	v_and_b32_e32 v26, v33, v26
	v_lshlrev_b32_e32 v39, 27, v43
	v_and_b32_e32 v32, exec_hi, v32
	v_xor_b32_e32 v37, s7, v29
	v_xor_b32_e32 v29, s6, v29
	v_and_b32_e32 v26, v26, v28
	v_and_b32_e32 v32, v32, v34
	;; [unrolled: 1-line block ×3, first 2 shown]
	v_mov_b32_e32 v38, v27
	v_not_b32_e32 v29, v39
	v_and_b32_e32 v32, v32, v35
	v_cmp_gt_i64_e32 vcc, 0, v[38:39]
	v_ashrrev_i32_e32 v29, 31, v29
	v_and_b32_e32 v28, v32, v37
	v_xor_b32_e32 v32, vcc_hi, v29
	v_xor_b32_e32 v29, vcc_lo, v29
	v_and_b32_e32 v32, v28, v32
	v_and_b32_e32 v26, v26, v29
	v_lshlrev_b32_e32 v29, 26, v43
	v_mov_b32_e32 v28, v27
	v_cmp_gt_i64_e32 vcc, 0, v[28:29]
	v_not_b32_e32 v28, v29
	v_ashrrev_i32_e32 v28, 31, v28
	v_xor_b32_e32 v29, vcc_hi, v28
	v_xor_b32_e32 v28, vcc_lo, v28
	v_and_b32_e32 v32, v32, v29
	v_and_b32_e32 v26, v26, v28
	v_lshlrev_b32_e32 v29, 25, v43
	v_mov_b32_e32 v28, v27
	v_cmp_gt_i64_e32 vcc, 0, v[28:29]
	v_not_b32_e32 v28, v29
	v_ashrrev_i32_e32 v28, 31, v28
	;; [unrolled: 9-line block ×3, first 2 shown]
	v_xor_b32_e32 v29, vcc_hi, v28
	v_xor_b32_e32 v28, vcc_lo, v28
	v_and_b32_e32 v28, v26, v28
	v_and_b32_e32 v29, v32, v29
	v_mbcnt_lo_u32_b32 v26, v28, 0
	v_mbcnt_hi_u32_b32 v33, v29, v26
	v_lshl_add_u32 v44, v43, 3, v43
	v_lshrrev_b32_e32 v42, 6, v36
	v_cmp_eq_u32_e32 vcc, 0, v33
	v_cmp_ne_u64_e64 s[0:1], 0, v[28:29]
	v_add_lshl_u32 v36, v42, v44, 2
	s_and_b64 s[2:3], s[0:1], vcc
	s_and_saveexec_b64 s[0:1], s[2:3]
	s_cbranch_execz .LBB1544_109
; %bb.108:
	v_bcnt_u32_b32 v26, v28, 0
	v_bcnt_u32_b32 v26, v29, v26
	ds_write_b32 v36, v26 offset:32
.LBB1544_109:
	s_or_b64 exec, exec, s[0:1]
	s_waitcnt vmcnt(10)
	v_xor_b32_e32 v1, 0x80000000, v1
	v_lshrrev_b64 v[28:29], s24, v[0:1]
	v_and_b32_e32 v34, s13, v28
	v_lshl_add_u32 v26, v34, 3, v34
	v_add_lshl_u32 v37, v42, v26, 2
	v_and_b32_e32 v26, 1, v34
	v_lshl_add_u64 v[28:29], v[26:27], 0, -1
	v_cmp_ne_u32_e32 vcc, 0, v26
	; wave barrier
	s_nop 1
	v_xor_b32_e32 v28, vcc_lo, v28
	v_xor_b32_e32 v26, vcc_hi, v29
	v_and_b32_e32 v35, exec_lo, v28
	v_lshlrev_b32_e32 v29, 30, v34
	v_mov_b32_e32 v28, v27
	v_cmp_gt_i64_e32 vcc, 0, v[28:29]
	v_not_b32_e32 v28, v29
	v_ashrrev_i32_e32 v28, 31, v28
	v_and_b32_e32 v26, exec_hi, v26
	v_xor_b32_e32 v29, vcc_hi, v28
	v_xor_b32_e32 v28, vcc_lo, v28
	v_and_b32_e32 v26, v26, v29
	v_and_b32_e32 v35, v35, v28
	v_lshlrev_b32_e32 v29, 29, v34
	v_mov_b32_e32 v28, v27
	v_cmp_gt_i64_e32 vcc, 0, v[28:29]
	v_not_b32_e32 v28, v29
	v_ashrrev_i32_e32 v28, 31, v28
	v_xor_b32_e32 v29, vcc_hi, v28
	v_xor_b32_e32 v28, vcc_lo, v28
	v_and_b32_e32 v26, v26, v29
	v_and_b32_e32 v35, v35, v28
	v_lshlrev_b32_e32 v29, 28, v34
	v_mov_b32_e32 v28, v27
	v_cmp_gt_i64_e32 vcc, 0, v[28:29]
	v_not_b32_e32 v28, v29
	v_ashrrev_i32_e32 v28, 31, v28
	v_xor_b32_e32 v29, vcc_hi, v28
	v_xor_b32_e32 v28, vcc_lo, v28
	v_and_b32_e32 v26, v26, v29
	v_and_b32_e32 v35, v35, v28
	v_lshlrev_b32_e32 v29, 27, v34
	v_mov_b32_e32 v28, v27
	v_cmp_gt_i64_e32 vcc, 0, v[28:29]
	v_not_b32_e32 v28, v29
	v_ashrrev_i32_e32 v28, 31, v28
	v_xor_b32_e32 v29, vcc_hi, v28
	v_xor_b32_e32 v28, vcc_lo, v28
	v_and_b32_e32 v26, v26, v29
	v_and_b32_e32 v35, v35, v28
	v_lshlrev_b32_e32 v29, 26, v34
	v_mov_b32_e32 v28, v27
	v_cmp_gt_i64_e32 vcc, 0, v[28:29]
	v_not_b32_e32 v28, v29
	v_ashrrev_i32_e32 v28, 31, v28
	v_xor_b32_e32 v29, vcc_hi, v28
	v_xor_b32_e32 v28, vcc_lo, v28
	v_and_b32_e32 v26, v26, v29
	v_and_b32_e32 v35, v35, v28
	v_lshlrev_b32_e32 v29, 25, v34
	v_mov_b32_e32 v28, v27
	v_cmp_gt_i64_e32 vcc, 0, v[28:29]
	v_not_b32_e32 v28, v29
	v_ashrrev_i32_e32 v28, 31, v28
	v_xor_b32_e32 v29, vcc_hi, v28
	v_xor_b32_e32 v28, vcc_lo, v28
	v_and_b32_e32 v26, v26, v29
	v_lshlrev_b32_e32 v29, 24, v34
	v_and_b32_e32 v35, v35, v28
	v_mov_b32_e32 v28, v27
	v_not_b32_e32 v27, v29
	v_cmp_gt_i64_e32 vcc, 0, v[28:29]
	v_ashrrev_i32_e32 v27, 31, v27
	ds_read_b32 v32, v37 offset:32
	v_xor_b32_e32 v28, vcc_hi, v27
	v_xor_b32_e32 v29, vcc_lo, v27
	v_and_b32_e32 v27, v26, v28
	v_and_b32_e32 v26, v35, v29
	v_mbcnt_lo_u32_b32 v28, v26, 0
	v_mbcnt_hi_u32_b32 v34, v27, v28
	v_cmp_eq_u32_e32 vcc, 0, v34
	v_cmp_ne_u64_e64 s[0:1], 0, v[26:27]
	s_and_b64 s[2:3], s[0:1], vcc
	; wave barrier
	s_and_saveexec_b64 s[0:1], s[2:3]
	s_cbranch_execz .LBB1544_111
; %bb.110:
	v_bcnt_u32_b32 v26, v26, 0
	v_bcnt_u32_b32 v26, v27, v26
	s_waitcnt lgkmcnt(0)
	v_add_u32_e32 v26, v32, v26
	ds_write_b32 v37, v26 offset:32
.LBB1544_111:
	s_or_b64 exec, exec, s[0:1]
	s_waitcnt vmcnt(9)
	v_xor_b32_e32 v7, 0x80000000, v7
	v_lshrrev_b64 v[26:27], s24, v[6:7]
	v_and_b32_e32 v38, s13, v26
	v_lshl_add_u32 v26, v38, 3, v38
	v_add_lshl_u32 v40, v42, v26, 2
	v_and_b32_e32 v26, 1, v38
	v_mov_b32_e32 v27, 0
	v_lshl_add_u64 v[28:29], v[26:27], 0, -1
	v_cmp_ne_u32_e32 vcc, 0, v26
	; wave barrier
	s_nop 1
	v_xor_b32_e32 v28, vcc_lo, v28
	v_xor_b32_e32 v26, vcc_hi, v29
	v_and_b32_e32 v39, exec_lo, v28
	v_lshlrev_b32_e32 v29, 30, v38
	v_mov_b32_e32 v28, v27
	v_cmp_gt_i64_e32 vcc, 0, v[28:29]
	v_not_b32_e32 v28, v29
	v_ashrrev_i32_e32 v28, 31, v28
	v_and_b32_e32 v26, exec_hi, v26
	v_xor_b32_e32 v29, vcc_hi, v28
	v_xor_b32_e32 v28, vcc_lo, v28
	v_and_b32_e32 v26, v26, v29
	v_and_b32_e32 v39, v39, v28
	v_lshlrev_b32_e32 v29, 29, v38
	v_mov_b32_e32 v28, v27
	v_cmp_gt_i64_e32 vcc, 0, v[28:29]
	v_not_b32_e32 v28, v29
	v_ashrrev_i32_e32 v28, 31, v28
	v_xor_b32_e32 v29, vcc_hi, v28
	v_xor_b32_e32 v28, vcc_lo, v28
	v_and_b32_e32 v26, v26, v29
	v_and_b32_e32 v39, v39, v28
	v_lshlrev_b32_e32 v29, 28, v38
	v_mov_b32_e32 v28, v27
	v_cmp_gt_i64_e32 vcc, 0, v[28:29]
	v_not_b32_e32 v28, v29
	v_ashrrev_i32_e32 v28, 31, v28
	;; [unrolled: 9-line block ×6, first 2 shown]
	v_xor_b32_e32 v29, vcc_hi, v28
	v_xor_b32_e32 v28, vcc_lo, v28
	ds_read_b32 v35, v40 offset:32
	v_and_b32_e32 v28, v39, v28
	v_and_b32_e32 v29, v26, v29
	v_mbcnt_lo_u32_b32 v26, v28, 0
	v_mbcnt_hi_u32_b32 v38, v29, v26
	v_cmp_eq_u32_e32 vcc, 0, v38
	v_cmp_ne_u64_e64 s[0:1], 0, v[28:29]
	s_and_b64 s[2:3], s[0:1], vcc
	; wave barrier
	s_and_saveexec_b64 s[0:1], s[2:3]
	s_cbranch_execz .LBB1544_113
; %bb.112:
	v_bcnt_u32_b32 v26, v28, 0
	v_bcnt_u32_b32 v26, v29, v26
	s_waitcnt lgkmcnt(0)
	v_add_u32_e32 v26, v35, v26
	ds_write_b32 v40, v26 offset:32
.LBB1544_113:
	s_or_b64 exec, exec, s[0:1]
	s_waitcnt vmcnt(8)
	v_xor_b32_e32 v9, 0x80000000, v9
	v_lshrrev_b64 v[28:29], s24, v[8:9]
	v_and_b32_e32 v41, s13, v28
	v_lshl_add_u32 v26, v41, 3, v41
	v_add_lshl_u32 v44, v42, v26, 2
	v_and_b32_e32 v26, 1, v41
	v_lshl_add_u64 v[28:29], v[26:27], 0, -1
	v_cmp_ne_u32_e32 vcc, 0, v26
	; wave barrier
	s_nop 1
	v_xor_b32_e32 v28, vcc_lo, v28
	v_xor_b32_e32 v26, vcc_hi, v29
	v_and_b32_e32 v43, exec_lo, v28
	v_lshlrev_b32_e32 v29, 30, v41
	v_mov_b32_e32 v28, v27
	v_cmp_gt_i64_e32 vcc, 0, v[28:29]
	v_not_b32_e32 v28, v29
	v_ashrrev_i32_e32 v28, 31, v28
	v_and_b32_e32 v26, exec_hi, v26
	v_xor_b32_e32 v29, vcc_hi, v28
	v_xor_b32_e32 v28, vcc_lo, v28
	v_and_b32_e32 v26, v26, v29
	v_and_b32_e32 v43, v43, v28
	v_lshlrev_b32_e32 v29, 29, v41
	v_mov_b32_e32 v28, v27
	v_cmp_gt_i64_e32 vcc, 0, v[28:29]
	v_not_b32_e32 v28, v29
	v_ashrrev_i32_e32 v28, 31, v28
	v_xor_b32_e32 v29, vcc_hi, v28
	v_xor_b32_e32 v28, vcc_lo, v28
	v_and_b32_e32 v26, v26, v29
	v_and_b32_e32 v43, v43, v28
	v_lshlrev_b32_e32 v29, 28, v41
	v_mov_b32_e32 v28, v27
	v_cmp_gt_i64_e32 vcc, 0, v[28:29]
	v_not_b32_e32 v28, v29
	v_ashrrev_i32_e32 v28, 31, v28
	;; [unrolled: 9-line block ×5, first 2 shown]
	v_xor_b32_e32 v29, vcc_hi, v28
	v_xor_b32_e32 v28, vcc_lo, v28
	v_and_b32_e32 v26, v26, v29
	v_lshlrev_b32_e32 v29, 24, v41
	v_and_b32_e32 v43, v43, v28
	v_mov_b32_e32 v28, v27
	v_not_b32_e32 v27, v29
	v_cmp_gt_i64_e32 vcc, 0, v[28:29]
	v_ashrrev_i32_e32 v27, 31, v27
	ds_read_b32 v39, v44 offset:32
	v_xor_b32_e32 v28, vcc_hi, v27
	v_xor_b32_e32 v29, vcc_lo, v27
	v_and_b32_e32 v27, v26, v28
	v_and_b32_e32 v26, v43, v29
	v_mbcnt_lo_u32_b32 v28, v26, 0
	v_mbcnt_hi_u32_b32 v41, v27, v28
	v_cmp_eq_u32_e32 vcc, 0, v41
	v_cmp_ne_u64_e64 s[0:1], 0, v[26:27]
	s_and_b64 s[2:3], s[0:1], vcc
	; wave barrier
	s_and_saveexec_b64 s[0:1], s[2:3]
	s_cbranch_execz .LBB1544_115
; %bb.114:
	v_bcnt_u32_b32 v26, v26, 0
	v_bcnt_u32_b32 v26, v27, v26
	s_waitcnt lgkmcnt(0)
	v_add_u32_e32 v26, v39, v26
	ds_write_b32 v44, v26 offset:32
.LBB1544_115:
	s_or_b64 exec, exec, s[0:1]
	s_waitcnt vmcnt(7)
	v_xor_b32_e32 v11, 0x80000000, v11
	v_lshrrev_b64 v[26:27], s24, v[10:11]
	v_and_b32_e32 v45, s13, v26
	v_lshl_add_u32 v26, v45, 3, v45
	v_add_lshl_u32 v47, v42, v26, 2
	v_and_b32_e32 v26, 1, v45
	v_mov_b32_e32 v27, 0
	v_lshl_add_u64 v[28:29], v[26:27], 0, -1
	v_cmp_ne_u32_e32 vcc, 0, v26
	; wave barrier
	s_nop 1
	v_xor_b32_e32 v28, vcc_lo, v28
	v_xor_b32_e32 v26, vcc_hi, v29
	v_and_b32_e32 v46, exec_lo, v28
	v_lshlrev_b32_e32 v29, 30, v45
	v_mov_b32_e32 v28, v27
	v_cmp_gt_i64_e32 vcc, 0, v[28:29]
	v_not_b32_e32 v28, v29
	v_ashrrev_i32_e32 v28, 31, v28
	v_and_b32_e32 v26, exec_hi, v26
	v_xor_b32_e32 v29, vcc_hi, v28
	v_xor_b32_e32 v28, vcc_lo, v28
	v_and_b32_e32 v26, v26, v29
	v_and_b32_e32 v46, v46, v28
	v_lshlrev_b32_e32 v29, 29, v45
	v_mov_b32_e32 v28, v27
	v_cmp_gt_i64_e32 vcc, 0, v[28:29]
	v_not_b32_e32 v28, v29
	v_ashrrev_i32_e32 v28, 31, v28
	v_xor_b32_e32 v29, vcc_hi, v28
	v_xor_b32_e32 v28, vcc_lo, v28
	v_and_b32_e32 v26, v26, v29
	v_and_b32_e32 v46, v46, v28
	v_lshlrev_b32_e32 v29, 28, v45
	v_mov_b32_e32 v28, v27
	v_cmp_gt_i64_e32 vcc, 0, v[28:29]
	v_not_b32_e32 v28, v29
	v_ashrrev_i32_e32 v28, 31, v28
	;; [unrolled: 9-line block ×6, first 2 shown]
	v_xor_b32_e32 v29, vcc_hi, v28
	v_xor_b32_e32 v28, vcc_lo, v28
	ds_read_b32 v43, v47 offset:32
	v_and_b32_e32 v28, v46, v28
	v_and_b32_e32 v29, v26, v29
	v_mbcnt_lo_u32_b32 v26, v28, 0
	v_mbcnt_hi_u32_b32 v45, v29, v26
	v_cmp_eq_u32_e32 vcc, 0, v45
	v_cmp_ne_u64_e64 s[0:1], 0, v[28:29]
	s_and_b64 s[2:3], s[0:1], vcc
	; wave barrier
	s_and_saveexec_b64 s[0:1], s[2:3]
	s_cbranch_execz .LBB1544_117
; %bb.116:
	v_bcnt_u32_b32 v26, v28, 0
	v_bcnt_u32_b32 v26, v29, v26
	s_waitcnt lgkmcnt(0)
	v_add_u32_e32 v26, v43, v26
	ds_write_b32 v47, v26 offset:32
.LBB1544_117:
	s_or_b64 exec, exec, s[0:1]
	s_waitcnt vmcnt(6)
	v_xor_b32_e32 v13, 0x80000000, v13
	v_lshrrev_b64 v[28:29], s24, v[12:13]
	v_and_b32_e32 v48, s13, v28
	v_lshl_add_u32 v26, v48, 3, v48
	v_add_lshl_u32 v50, v42, v26, 2
	v_and_b32_e32 v26, 1, v48
	v_lshl_add_u64 v[28:29], v[26:27], 0, -1
	v_cmp_ne_u32_e32 vcc, 0, v26
	; wave barrier
	s_nop 1
	v_xor_b32_e32 v28, vcc_lo, v28
	v_xor_b32_e32 v26, vcc_hi, v29
	v_and_b32_e32 v49, exec_lo, v28
	v_lshlrev_b32_e32 v29, 30, v48
	v_mov_b32_e32 v28, v27
	v_cmp_gt_i64_e32 vcc, 0, v[28:29]
	v_not_b32_e32 v28, v29
	v_ashrrev_i32_e32 v28, 31, v28
	v_and_b32_e32 v26, exec_hi, v26
	v_xor_b32_e32 v29, vcc_hi, v28
	v_xor_b32_e32 v28, vcc_lo, v28
	v_and_b32_e32 v26, v26, v29
	v_and_b32_e32 v49, v49, v28
	v_lshlrev_b32_e32 v29, 29, v48
	v_mov_b32_e32 v28, v27
	v_cmp_gt_i64_e32 vcc, 0, v[28:29]
	v_not_b32_e32 v28, v29
	v_ashrrev_i32_e32 v28, 31, v28
	v_xor_b32_e32 v29, vcc_hi, v28
	v_xor_b32_e32 v28, vcc_lo, v28
	v_and_b32_e32 v26, v26, v29
	v_and_b32_e32 v49, v49, v28
	v_lshlrev_b32_e32 v29, 28, v48
	v_mov_b32_e32 v28, v27
	v_cmp_gt_i64_e32 vcc, 0, v[28:29]
	v_not_b32_e32 v28, v29
	v_ashrrev_i32_e32 v28, 31, v28
	;; [unrolled: 9-line block ×5, first 2 shown]
	v_xor_b32_e32 v29, vcc_hi, v28
	v_xor_b32_e32 v28, vcc_lo, v28
	v_and_b32_e32 v26, v26, v29
	v_lshlrev_b32_e32 v29, 24, v48
	v_and_b32_e32 v49, v49, v28
	v_mov_b32_e32 v28, v27
	v_not_b32_e32 v27, v29
	v_cmp_gt_i64_e32 vcc, 0, v[28:29]
	v_ashrrev_i32_e32 v27, 31, v27
	ds_read_b32 v46, v50 offset:32
	v_xor_b32_e32 v28, vcc_hi, v27
	v_xor_b32_e32 v29, vcc_lo, v27
	v_and_b32_e32 v27, v26, v28
	v_and_b32_e32 v26, v49, v29
	v_mbcnt_lo_u32_b32 v28, v26, 0
	v_mbcnt_hi_u32_b32 v48, v27, v28
	v_cmp_eq_u32_e32 vcc, 0, v48
	v_cmp_ne_u64_e64 s[0:1], 0, v[26:27]
	s_and_b64 s[2:3], s[0:1], vcc
	; wave barrier
	s_and_saveexec_b64 s[0:1], s[2:3]
	s_cbranch_execz .LBB1544_119
; %bb.118:
	v_bcnt_u32_b32 v26, v26, 0
	v_bcnt_u32_b32 v26, v27, v26
	s_waitcnt lgkmcnt(0)
	v_add_u32_e32 v26, v46, v26
	ds_write_b32 v50, v26 offset:32
.LBB1544_119:
	s_or_b64 exec, exec, s[0:1]
	s_waitcnt vmcnt(5)
	v_xor_b32_e32 v15, 0x80000000, v15
	v_lshrrev_b64 v[26:27], s24, v[14:15]
	v_and_b32_e32 v51, s13, v26
	v_lshl_add_u32 v26, v51, 3, v51
	v_add_lshl_u32 v53, v42, v26, 2
	v_and_b32_e32 v26, 1, v51
	v_mov_b32_e32 v27, 0
	v_lshl_add_u64 v[28:29], v[26:27], 0, -1
	v_cmp_ne_u32_e32 vcc, 0, v26
	; wave barrier
	s_nop 1
	v_xor_b32_e32 v28, vcc_lo, v28
	v_xor_b32_e32 v26, vcc_hi, v29
	v_and_b32_e32 v52, exec_lo, v28
	v_lshlrev_b32_e32 v29, 30, v51
	v_mov_b32_e32 v28, v27
	v_cmp_gt_i64_e32 vcc, 0, v[28:29]
	v_not_b32_e32 v28, v29
	v_ashrrev_i32_e32 v28, 31, v28
	v_and_b32_e32 v26, exec_hi, v26
	v_xor_b32_e32 v29, vcc_hi, v28
	v_xor_b32_e32 v28, vcc_lo, v28
	v_and_b32_e32 v26, v26, v29
	v_and_b32_e32 v52, v52, v28
	v_lshlrev_b32_e32 v29, 29, v51
	v_mov_b32_e32 v28, v27
	v_cmp_gt_i64_e32 vcc, 0, v[28:29]
	v_not_b32_e32 v28, v29
	v_ashrrev_i32_e32 v28, 31, v28
	v_xor_b32_e32 v29, vcc_hi, v28
	v_xor_b32_e32 v28, vcc_lo, v28
	v_and_b32_e32 v26, v26, v29
	v_and_b32_e32 v52, v52, v28
	v_lshlrev_b32_e32 v29, 28, v51
	v_mov_b32_e32 v28, v27
	v_cmp_gt_i64_e32 vcc, 0, v[28:29]
	v_not_b32_e32 v28, v29
	v_ashrrev_i32_e32 v28, 31, v28
	;; [unrolled: 9-line block ×6, first 2 shown]
	v_xor_b32_e32 v29, vcc_hi, v28
	v_xor_b32_e32 v28, vcc_lo, v28
	ds_read_b32 v49, v53 offset:32
	v_and_b32_e32 v28, v52, v28
	v_and_b32_e32 v29, v26, v29
	v_mbcnt_lo_u32_b32 v26, v28, 0
	v_mbcnt_hi_u32_b32 v51, v29, v26
	v_cmp_eq_u32_e32 vcc, 0, v51
	v_cmp_ne_u64_e64 s[0:1], 0, v[28:29]
	s_and_b64 s[2:3], s[0:1], vcc
	; wave barrier
	s_and_saveexec_b64 s[0:1], s[2:3]
	s_cbranch_execz .LBB1544_121
; %bb.120:
	v_bcnt_u32_b32 v26, v28, 0
	v_bcnt_u32_b32 v26, v29, v26
	s_waitcnt lgkmcnt(0)
	v_add_u32_e32 v26, v49, v26
	ds_write_b32 v53, v26 offset:32
.LBB1544_121:
	s_or_b64 exec, exec, s[0:1]
	s_waitcnt vmcnt(4)
	v_xor_b32_e32 v17, 0x80000000, v17
	v_lshrrev_b64 v[28:29], s24, v[16:17]
	v_and_b32_e32 v54, s13, v28
	v_lshl_add_u32 v26, v54, 3, v54
	v_add_lshl_u32 v56, v42, v26, 2
	v_and_b32_e32 v26, 1, v54
	v_lshl_add_u64 v[28:29], v[26:27], 0, -1
	v_cmp_ne_u32_e32 vcc, 0, v26
	; wave barrier
	s_nop 1
	v_xor_b32_e32 v28, vcc_lo, v28
	v_xor_b32_e32 v26, vcc_hi, v29
	v_and_b32_e32 v55, exec_lo, v28
	v_lshlrev_b32_e32 v29, 30, v54
	v_mov_b32_e32 v28, v27
	v_cmp_gt_i64_e32 vcc, 0, v[28:29]
	v_not_b32_e32 v28, v29
	v_ashrrev_i32_e32 v28, 31, v28
	v_and_b32_e32 v26, exec_hi, v26
	v_xor_b32_e32 v29, vcc_hi, v28
	v_xor_b32_e32 v28, vcc_lo, v28
	v_and_b32_e32 v26, v26, v29
	v_and_b32_e32 v55, v55, v28
	v_lshlrev_b32_e32 v29, 29, v54
	v_mov_b32_e32 v28, v27
	v_cmp_gt_i64_e32 vcc, 0, v[28:29]
	v_not_b32_e32 v28, v29
	v_ashrrev_i32_e32 v28, 31, v28
	v_xor_b32_e32 v29, vcc_hi, v28
	v_xor_b32_e32 v28, vcc_lo, v28
	v_and_b32_e32 v26, v26, v29
	v_and_b32_e32 v55, v55, v28
	v_lshlrev_b32_e32 v29, 28, v54
	v_mov_b32_e32 v28, v27
	v_cmp_gt_i64_e32 vcc, 0, v[28:29]
	v_not_b32_e32 v28, v29
	v_ashrrev_i32_e32 v28, 31, v28
	;; [unrolled: 9-line block ×5, first 2 shown]
	v_xor_b32_e32 v29, vcc_hi, v28
	v_xor_b32_e32 v28, vcc_lo, v28
	v_and_b32_e32 v26, v26, v29
	v_lshlrev_b32_e32 v29, 24, v54
	v_and_b32_e32 v55, v55, v28
	v_mov_b32_e32 v28, v27
	v_not_b32_e32 v27, v29
	v_cmp_gt_i64_e32 vcc, 0, v[28:29]
	v_ashrrev_i32_e32 v27, 31, v27
	ds_read_b32 v52, v56 offset:32
	v_xor_b32_e32 v28, vcc_hi, v27
	v_xor_b32_e32 v29, vcc_lo, v27
	v_and_b32_e32 v27, v26, v28
	v_and_b32_e32 v26, v55, v29
	v_mbcnt_lo_u32_b32 v28, v26, 0
	v_mbcnt_hi_u32_b32 v54, v27, v28
	v_cmp_eq_u32_e32 vcc, 0, v54
	v_cmp_ne_u64_e64 s[0:1], 0, v[26:27]
	s_and_b64 s[2:3], s[0:1], vcc
	; wave barrier
	s_and_saveexec_b64 s[0:1], s[2:3]
	s_cbranch_execz .LBB1544_123
; %bb.122:
	v_bcnt_u32_b32 v26, v26, 0
	v_bcnt_u32_b32 v26, v27, v26
	s_waitcnt lgkmcnt(0)
	v_add_u32_e32 v26, v52, v26
	ds_write_b32 v56, v26 offset:32
.LBB1544_123:
	s_or_b64 exec, exec, s[0:1]
	s_waitcnt vmcnt(3)
	v_xor_b32_e32 v19, 0x80000000, v19
	v_lshrrev_b64 v[26:27], s24, v[18:19]
	v_and_b32_e32 v57, s13, v26
	v_lshl_add_u32 v26, v57, 3, v57
	v_add_lshl_u32 v59, v42, v26, 2
	v_and_b32_e32 v26, 1, v57
	v_mov_b32_e32 v27, 0
	v_lshl_add_u64 v[28:29], v[26:27], 0, -1
	v_cmp_ne_u32_e32 vcc, 0, v26
	; wave barrier
	s_nop 1
	v_xor_b32_e32 v28, vcc_lo, v28
	v_xor_b32_e32 v26, vcc_hi, v29
	v_and_b32_e32 v58, exec_lo, v28
	v_lshlrev_b32_e32 v29, 30, v57
	v_mov_b32_e32 v28, v27
	v_cmp_gt_i64_e32 vcc, 0, v[28:29]
	v_not_b32_e32 v28, v29
	v_ashrrev_i32_e32 v28, 31, v28
	v_and_b32_e32 v26, exec_hi, v26
	v_xor_b32_e32 v29, vcc_hi, v28
	v_xor_b32_e32 v28, vcc_lo, v28
	v_and_b32_e32 v26, v26, v29
	v_and_b32_e32 v58, v58, v28
	v_lshlrev_b32_e32 v29, 29, v57
	v_mov_b32_e32 v28, v27
	v_cmp_gt_i64_e32 vcc, 0, v[28:29]
	v_not_b32_e32 v28, v29
	v_ashrrev_i32_e32 v28, 31, v28
	v_xor_b32_e32 v29, vcc_hi, v28
	v_xor_b32_e32 v28, vcc_lo, v28
	v_and_b32_e32 v26, v26, v29
	v_and_b32_e32 v58, v58, v28
	v_lshlrev_b32_e32 v29, 28, v57
	v_mov_b32_e32 v28, v27
	v_cmp_gt_i64_e32 vcc, 0, v[28:29]
	v_not_b32_e32 v28, v29
	v_ashrrev_i32_e32 v28, 31, v28
	;; [unrolled: 9-line block ×6, first 2 shown]
	v_xor_b32_e32 v29, vcc_hi, v28
	v_xor_b32_e32 v28, vcc_lo, v28
	ds_read_b32 v55, v59 offset:32
	v_and_b32_e32 v28, v58, v28
	v_and_b32_e32 v29, v26, v29
	v_mbcnt_lo_u32_b32 v26, v28, 0
	v_mbcnt_hi_u32_b32 v57, v29, v26
	v_cmp_eq_u32_e32 vcc, 0, v57
	v_cmp_ne_u64_e64 s[0:1], 0, v[28:29]
	s_and_b64 s[2:3], s[0:1], vcc
	; wave barrier
	s_and_saveexec_b64 s[0:1], s[2:3]
	s_cbranch_execz .LBB1544_125
; %bb.124:
	v_bcnt_u32_b32 v26, v28, 0
	v_bcnt_u32_b32 v26, v29, v26
	s_waitcnt lgkmcnt(0)
	v_add_u32_e32 v26, v55, v26
	ds_write_b32 v59, v26 offset:32
.LBB1544_125:
	s_or_b64 exec, exec, s[0:1]
	s_waitcnt vmcnt(2)
	v_xor_b32_e32 v21, 0x80000000, v21
	v_lshrrev_b64 v[28:29], s24, v[20:21]
	v_and_b32_e32 v60, s13, v28
	v_lshl_add_u32 v26, v60, 3, v60
	v_add_lshl_u32 v62, v42, v26, 2
	v_and_b32_e32 v26, 1, v60
	v_lshl_add_u64 v[28:29], v[26:27], 0, -1
	v_cmp_ne_u32_e32 vcc, 0, v26
	; wave barrier
	s_nop 1
	v_xor_b32_e32 v28, vcc_lo, v28
	v_xor_b32_e32 v26, vcc_hi, v29
	v_and_b32_e32 v61, exec_lo, v28
	v_lshlrev_b32_e32 v29, 30, v60
	v_mov_b32_e32 v28, v27
	v_cmp_gt_i64_e32 vcc, 0, v[28:29]
	v_not_b32_e32 v28, v29
	v_ashrrev_i32_e32 v28, 31, v28
	v_and_b32_e32 v26, exec_hi, v26
	v_xor_b32_e32 v29, vcc_hi, v28
	v_xor_b32_e32 v28, vcc_lo, v28
	v_and_b32_e32 v26, v26, v29
	v_and_b32_e32 v61, v61, v28
	v_lshlrev_b32_e32 v29, 29, v60
	v_mov_b32_e32 v28, v27
	v_cmp_gt_i64_e32 vcc, 0, v[28:29]
	v_not_b32_e32 v28, v29
	v_ashrrev_i32_e32 v28, 31, v28
	v_xor_b32_e32 v29, vcc_hi, v28
	v_xor_b32_e32 v28, vcc_lo, v28
	v_and_b32_e32 v26, v26, v29
	v_and_b32_e32 v61, v61, v28
	v_lshlrev_b32_e32 v29, 28, v60
	v_mov_b32_e32 v28, v27
	v_cmp_gt_i64_e32 vcc, 0, v[28:29]
	v_not_b32_e32 v28, v29
	v_ashrrev_i32_e32 v28, 31, v28
	;; [unrolled: 9-line block ×5, first 2 shown]
	v_xor_b32_e32 v29, vcc_hi, v28
	v_xor_b32_e32 v28, vcc_lo, v28
	v_and_b32_e32 v26, v26, v29
	v_lshlrev_b32_e32 v29, 24, v60
	v_and_b32_e32 v61, v61, v28
	v_mov_b32_e32 v28, v27
	v_not_b32_e32 v27, v29
	v_cmp_gt_i64_e32 vcc, 0, v[28:29]
	v_ashrrev_i32_e32 v27, 31, v27
	ds_read_b32 v58, v62 offset:32
	v_xor_b32_e32 v28, vcc_hi, v27
	v_xor_b32_e32 v29, vcc_lo, v27
	v_and_b32_e32 v27, v26, v28
	v_and_b32_e32 v26, v61, v29
	v_mbcnt_lo_u32_b32 v28, v26, 0
	v_mbcnt_hi_u32_b32 v60, v27, v28
	v_cmp_eq_u32_e32 vcc, 0, v60
	v_cmp_ne_u64_e64 s[0:1], 0, v[26:27]
	s_and_b64 s[2:3], s[0:1], vcc
	; wave barrier
	s_and_saveexec_b64 s[0:1], s[2:3]
	s_cbranch_execz .LBB1544_127
; %bb.126:
	v_bcnt_u32_b32 v26, v26, 0
	v_bcnt_u32_b32 v26, v27, v26
	s_waitcnt lgkmcnt(0)
	v_add_u32_e32 v26, v58, v26
	ds_write_b32 v62, v26 offset:32
.LBB1544_127:
	s_or_b64 exec, exec, s[0:1]
	s_waitcnt vmcnt(1)
	v_xor_b32_e32 v23, 0x80000000, v23
	v_lshrrev_b64 v[26:27], s24, v[22:23]
	v_and_b32_e32 v63, s13, v26
	v_lshl_add_u32 v26, v63, 3, v63
	v_add_lshl_u32 v64, v42, v26, 2
	v_and_b32_e32 v26, 1, v63
	v_mov_b32_e32 v27, 0
	v_lshl_add_u64 v[28:29], v[26:27], 0, -1
	v_cmp_ne_u32_e32 vcc, 0, v26
	; wave barrier
	s_nop 1
	v_xor_b32_e32 v28, vcc_lo, v28
	v_xor_b32_e32 v26, vcc_hi, v29
	v_and_b32_e32 v65, exec_lo, v28
	v_lshlrev_b32_e32 v29, 30, v63
	v_mov_b32_e32 v28, v27
	v_cmp_gt_i64_e32 vcc, 0, v[28:29]
	v_not_b32_e32 v28, v29
	v_ashrrev_i32_e32 v28, 31, v28
	v_and_b32_e32 v26, exec_hi, v26
	v_xor_b32_e32 v29, vcc_hi, v28
	v_xor_b32_e32 v28, vcc_lo, v28
	v_and_b32_e32 v26, v26, v29
	v_and_b32_e32 v65, v65, v28
	v_lshlrev_b32_e32 v29, 29, v63
	v_mov_b32_e32 v28, v27
	v_cmp_gt_i64_e32 vcc, 0, v[28:29]
	v_not_b32_e32 v28, v29
	v_ashrrev_i32_e32 v28, 31, v28
	v_xor_b32_e32 v29, vcc_hi, v28
	v_xor_b32_e32 v28, vcc_lo, v28
	v_and_b32_e32 v26, v26, v29
	v_and_b32_e32 v65, v65, v28
	v_lshlrev_b32_e32 v29, 28, v63
	v_mov_b32_e32 v28, v27
	v_cmp_gt_i64_e32 vcc, 0, v[28:29]
	v_not_b32_e32 v28, v29
	v_ashrrev_i32_e32 v28, 31, v28
	;; [unrolled: 9-line block ×6, first 2 shown]
	v_xor_b32_e32 v29, vcc_hi, v28
	v_xor_b32_e32 v28, vcc_lo, v28
	ds_read_b32 v61, v64 offset:32
	v_and_b32_e32 v28, v65, v28
	v_and_b32_e32 v29, v26, v29
	v_mbcnt_lo_u32_b32 v26, v28, 0
	v_mbcnt_hi_u32_b32 v63, v29, v26
	v_cmp_eq_u32_e32 vcc, 0, v63
	v_cmp_ne_u64_e64 s[0:1], 0, v[28:29]
	s_and_b64 s[2:3], s[0:1], vcc
	; wave barrier
	s_and_saveexec_b64 s[0:1], s[2:3]
	s_cbranch_execz .LBB1544_129
; %bb.128:
	v_bcnt_u32_b32 v26, v28, 0
	v_bcnt_u32_b32 v26, v29, v26
	s_waitcnt lgkmcnt(0)
	v_add_u32_e32 v26, v61, v26
	ds_write_b32 v64, v26 offset:32
.LBB1544_129:
	s_or_b64 exec, exec, s[0:1]
	s_waitcnt vmcnt(0)
	v_xor_b32_e32 v25, 0x80000000, v25
	v_lshrrev_b64 v[28:29], s24, v[24:25]
	v_and_b32_e32 v65, s13, v28
	v_lshl_add_u32 v26, v65, 3, v65
	v_add_lshl_u32 v66, v42, v26, 2
	v_and_b32_e32 v26, 1, v65
	v_lshl_add_u64 v[28:29], v[26:27], 0, -1
	v_cmp_ne_u32_e32 vcc, 0, v26
	; wave barrier
	s_nop 1
	v_xor_b32_e32 v28, vcc_lo, v28
	v_xor_b32_e32 v26, vcc_hi, v29
	v_and_b32_e32 v68, exec_lo, v28
	v_lshlrev_b32_e32 v29, 30, v65
	v_mov_b32_e32 v28, v27
	v_cmp_gt_i64_e32 vcc, 0, v[28:29]
	v_not_b32_e32 v28, v29
	v_ashrrev_i32_e32 v28, 31, v28
	v_and_b32_e32 v26, exec_hi, v26
	v_xor_b32_e32 v29, vcc_hi, v28
	v_xor_b32_e32 v28, vcc_lo, v28
	v_and_b32_e32 v26, v26, v29
	v_and_b32_e32 v68, v68, v28
	v_lshlrev_b32_e32 v29, 29, v65
	v_mov_b32_e32 v28, v27
	v_cmp_gt_i64_e32 vcc, 0, v[28:29]
	v_not_b32_e32 v28, v29
	v_ashrrev_i32_e32 v28, 31, v28
	v_xor_b32_e32 v29, vcc_hi, v28
	v_xor_b32_e32 v28, vcc_lo, v28
	v_and_b32_e32 v26, v26, v29
	v_and_b32_e32 v68, v68, v28
	v_lshlrev_b32_e32 v29, 28, v65
	v_mov_b32_e32 v28, v27
	v_cmp_gt_i64_e32 vcc, 0, v[28:29]
	v_not_b32_e32 v28, v29
	v_ashrrev_i32_e32 v28, 31, v28
	;; [unrolled: 9-line block ×5, first 2 shown]
	v_xor_b32_e32 v29, vcc_hi, v28
	v_xor_b32_e32 v28, vcc_lo, v28
	v_and_b32_e32 v26, v26, v29
	v_lshlrev_b32_e32 v29, 24, v65
	v_and_b32_e32 v68, v68, v28
	v_mov_b32_e32 v28, v27
	v_not_b32_e32 v27, v29
	v_cmp_gt_i64_e32 vcc, 0, v[28:29]
	v_ashrrev_i32_e32 v27, 31, v27
	ds_read_b32 v42, v66 offset:32
	v_xor_b32_e32 v28, vcc_hi, v27
	v_xor_b32_e32 v29, vcc_lo, v27
	v_and_b32_e32 v27, v26, v28
	v_and_b32_e32 v26, v68, v29
	v_mbcnt_lo_u32_b32 v28, v26, 0
	v_mbcnt_hi_u32_b32 v65, v27, v28
	v_cmp_eq_u32_e32 vcc, 0, v65
	v_cmp_ne_u64_e64 s[0:1], 0, v[26:27]
	v_add_u32_e32 v67, 32, v30
	s_and_b64 s[2:3], s[0:1], vcc
	; wave barrier
	s_and_saveexec_b64 s[0:1], s[2:3]
	s_cbranch_execz .LBB1544_131
; %bb.130:
	v_bcnt_u32_b32 v26, v26, 0
	v_bcnt_u32_b32 v26, v27, v26
	s_waitcnt lgkmcnt(0)
	v_add_u32_e32 v26, v42, v26
	ds_write_b32 v66, v26 offset:32
.LBB1544_131:
	s_or_b64 exec, exec, s[0:1]
	; wave barrier
	s_waitcnt lgkmcnt(0)
	s_barrier
	ds_read2_b32 v[28:29], v30 offset0:8 offset1:9
	ds_read2_b32 v[26:27], v67 offset0:2 offset1:3
	ds_read_b32 v68, v67 offset:16
	v_min_u32_e32 v31, 0x1c0, v31
	v_or_b32_e32 v31, 63, v31
	s_waitcnt lgkmcnt(1)
	v_add3_u32 v69, v29, v28, v26
	s_waitcnt lgkmcnt(0)
	v_add3_u32 v68, v69, v27, v68
	v_and_b32_e32 v69, 15, v3
	v_cmp_ne_u32_e32 vcc, 0, v69
	v_mov_b32_dpp v70, v68 row_shr:1 row_mask:0xf bank_mask:0xf
	s_nop 0
	v_cndmask_b32_e32 v70, 0, v70, vcc
	v_add_u32_e32 v68, v70, v68
	v_cmp_lt_u32_e32 vcc, 1, v69
	s_nop 0
	v_mov_b32_dpp v70, v68 row_shr:2 row_mask:0xf bank_mask:0xf
	v_cndmask_b32_e32 v70, 0, v70, vcc
	v_add_u32_e32 v68, v68, v70
	v_cmp_lt_u32_e32 vcc, 3, v69
	s_nop 0
	v_mov_b32_dpp v70, v68 row_shr:4 row_mask:0xf bank_mask:0xf
	v_cndmask_b32_e32 v70, 0, v70, vcc
	v_add_u32_e32 v68, v68, v70
	v_cmp_lt_u32_e32 vcc, 7, v69
	s_nop 0
	v_mov_b32_dpp v70, v68 row_shr:8 row_mask:0xf bank_mask:0xf
	v_cndmask_b32_e32 v69, 0, v70, vcc
	v_add_u32_e32 v68, v68, v69
	v_bfe_i32 v70, v3, 4, 1
	v_cmp_lt_u32_e32 vcc, 31, v3
	v_mov_b32_dpp v69, v68 row_bcast:15 row_mask:0xf bank_mask:0xf
	v_and_b32_e32 v69, v70, v69
	v_add_u32_e32 v68, v68, v69
	s_nop 1
	v_mov_b32_dpp v69, v68 row_bcast:31 row_mask:0xf bank_mask:0xf
	v_cndmask_b32_e32 v69, 0, v69, vcc
	v_add_u32_e32 v68, v68, v69
	v_lshrrev_b32_e32 v69, 6, v2
	v_cmp_eq_u32_e32 vcc, v31, v2
	s_and_saveexec_b64 s[0:1], vcc
	s_cbranch_execz .LBB1544_133
; %bb.132:
	v_lshlrev_b32_e32 v31, 2, v69
	ds_write_b32 v31, v68
.LBB1544_133:
	s_or_b64 exec, exec, s[0:1]
	v_cmp_gt_u32_e32 vcc, 8, v2
	s_waitcnt lgkmcnt(0)
	s_barrier
	s_and_saveexec_b64 s[0:1], vcc
	s_cbranch_execz .LBB1544_135
; %bb.134:
	v_lshlrev_b32_e32 v31, 2, v2
	ds_read_b32 v70, v31
	v_and_b32_e32 v71, 7, v3
	v_cmp_ne_u32_e32 vcc, 0, v71
	s_waitcnt lgkmcnt(0)
	v_mov_b32_dpp v72, v70 row_shr:1 row_mask:0xf bank_mask:0xf
	v_cndmask_b32_e32 v72, 0, v72, vcc
	v_add_u32_e32 v70, v72, v70
	v_cmp_lt_u32_e32 vcc, 1, v71
	s_nop 0
	v_mov_b32_dpp v72, v70 row_shr:2 row_mask:0xf bank_mask:0xf
	v_cndmask_b32_e32 v72, 0, v72, vcc
	v_add_u32_e32 v70, v70, v72
	v_cmp_lt_u32_e32 vcc, 3, v71
	s_nop 0
	v_mov_b32_dpp v72, v70 row_shr:4 row_mask:0xf bank_mask:0xf
	v_cndmask_b32_e32 v71, 0, v72, vcc
	v_add_u32_e32 v70, v70, v71
	ds_write_b32 v31, v70
.LBB1544_135:
	s_or_b64 exec, exec, s[0:1]
	v_cmp_lt_u32_e32 vcc, 63, v2
	v_mov_b32_e32 v31, 0
	s_waitcnt lgkmcnt(0)
	s_barrier
	s_and_saveexec_b64 s[0:1], vcc
	s_cbranch_execz .LBB1544_137
; %bb.136:
	v_lshl_add_u32 v31, v69, 2, -4
	ds_read_b32 v31, v31
.LBB1544_137:
	s_or_b64 exec, exec, s[0:1]
	v_add_u32_e32 v69, -1, v3
	v_and_b32_e32 v70, 64, v3
	v_cmp_lt_i32_e32 vcc, v69, v70
	s_waitcnt lgkmcnt(0)
	v_add_u32_e32 v68, v31, v68
	s_movk_i32 s0, 0x100
	v_cndmask_b32_e32 v69, v69, v3, vcc
	v_lshlrev_b32_e32 v69, 2, v69
	ds_bpermute_b32 v68, v69, v68
	v_cmp_eq_u32_e32 vcc, 0, v3
	s_waitcnt lgkmcnt(0)
	s_nop 0
	v_cndmask_b32_e32 v3, v68, v31, vcc
	v_cndmask_b32_e64 v3, v3, 0, s[4:5]
	v_add_u32_e32 v28, v3, v28
	v_add_u32_e32 v29, v28, v29
	;; [unrolled: 1-line block ×4, first 2 shown]
	ds_write2_b32 v30, v3, v28 offset0:8 offset1:9
	ds_write2_b32 v67, v29, v26 offset0:2 offset1:3
	ds_write_b32 v67, v27 offset:16
	s_waitcnt lgkmcnt(0)
	s_barrier
	ds_read_b32 v73, v36 offset:32
	ds_read_b32 v67, v37 offset:32
	;; [unrolled: 1-line block ×12, first 2 shown]
	v_cmp_gt_u32_e32 vcc, s0, v2
                                        ; implicit-def: $vgpr3
                                        ; implicit-def: $vgpr36
	s_and_saveexec_b64 s[2:3], vcc
	s_cbranch_execz .LBB1544_141
; %bb.138:
	v_mul_u32_u24_e32 v3, 9, v2
	v_lshlrev_b32_e32 v27, 2, v3
	ds_read_b32 v3, v27 offset:32
	s_movk_i32 s0, 0xff
	v_cmp_ne_u32_e64 s[0:1], s0, v2
	v_mov_b32_e32 v26, 0x1800
	s_and_saveexec_b64 s[4:5], s[0:1]
	s_cbranch_execz .LBB1544_140
; %bb.139:
	ds_read_b32 v26, v27 offset:68
.LBB1544_140:
	s_or_b64 exec, exec, s[4:5]
	s_waitcnt lgkmcnt(0)
	v_sub_u32_e32 v36, v26, v3
.LBB1544_141:
	s_or_b64 exec, exec, s[2:3]
	s_waitcnt lgkmcnt(0)
	s_barrier
	s_and_saveexec_b64 s[2:3], vcc
	s_cbranch_execz .LBB1544_151
; %bb.142:
	v_lshl_or_b32 v28, s27, 8, v2
	v_mov_b32_e32 v29, 0
	v_lshl_add_u64 v[26:27], v[28:29], 2, s[18:19]
	v_or_b32_e32 v28, 2.0, v36
	s_mov_b64 s[4:5], 0
	s_brev_b32 s14, 1
	s_mov_b32 s15, s27
	v_mov_b32_e32 v47, 0
	global_store_dword v[26:27], v28, off sc1
                                        ; implicit-def: $sgpr0_sgpr1
	s_branch .LBB1544_145
.LBB1544_143:                           ;   in Loop: Header=BB1544_145 Depth=1
	s_or_b64 exec, exec, s[10:11]
.LBB1544_144:                           ;   in Loop: Header=BB1544_145 Depth=1
	s_or_b64 exec, exec, s[6:7]
	v_and_b32_e32 v30, 0x3fffffff, v53
	v_add_u32_e32 v47, v30, v47
	v_cmp_eq_u32_e64 s[0:1], s14, v28
	s_and_b64 s[6:7], exec, s[0:1]
	s_or_b64 s[4:5], s[6:7], s[4:5]
	s_andn2_b64 exec, exec, s[4:5]
	s_cbranch_execz .LBB1544_150
.LBB1544_145:                           ; =>This Loop Header: Depth=1
                                        ;     Child Loop BB1544_148 Depth 2
	s_or_b64 s[0:1], s[0:1], exec
	s_cmp_eq_u32 s15, 0
	s_cbranch_scc1 .LBB1544_149
; %bb.146:                              ;   in Loop: Header=BB1544_145 Depth=1
	s_add_i32 s15, s15, -1
	v_lshl_or_b32 v28, s15, 8, v2
	v_lshl_add_u64 v[30:31], v[28:29], 2, s[18:19]
	global_load_dword v53, v[30:31], off sc1
	s_waitcnt vmcnt(0)
	v_and_b32_e32 v28, -2.0, v53
	v_cmp_eq_u32_e64 s[0:1], 0, v28
	s_and_saveexec_b64 s[6:7], s[0:1]
	s_cbranch_execz .LBB1544_144
; %bb.147:                              ;   in Loop: Header=BB1544_145 Depth=1
	s_mov_b64 s[10:11], 0
.LBB1544_148:                           ;   Parent Loop BB1544_145 Depth=1
                                        ; =>  This Inner Loop Header: Depth=2
	global_load_dword v53, v[30:31], off sc1
	s_waitcnt vmcnt(0)
	v_and_b32_e32 v28, -2.0, v53
	v_cmp_ne_u32_e64 s[0:1], 0, v28
	s_or_b64 s[10:11], s[0:1], s[10:11]
	s_andn2_b64 exec, exec, s[10:11]
	s_cbranch_execnz .LBB1544_148
	s_branch .LBB1544_143
.LBB1544_149:                           ;   in Loop: Header=BB1544_145 Depth=1
                                        ; implicit-def: $sgpr15
	s_and_b64 s[6:7], exec, s[0:1]
	s_or_b64 s[4:5], s[6:7], s[4:5]
	s_andn2_b64 exec, exec, s[4:5]
	s_cbranch_execnz .LBB1544_145
.LBB1544_150:
	s_or_b64 exec, exec, s[4:5]
	v_add_u32_e32 v28, v47, v36
	v_or_b32_e32 v28, 0x80000000, v28
	global_store_dword v[26:27], v28, off sc1
	v_lshlrev_b32_e32 v26, 2, v2
	global_load_dword v27, v26, s[20:21]
	v_sub_u32_e32 v28, v47, v3
	s_waitcnt vmcnt(0)
	v_add_u32_e32 v27, v28, v27
	ds_write_b32 v26, v27
.LBB1544_151:
	s_or_b64 exec, exec, s[2:3]
	v_add_u32_e32 v28, v73, v33
	v_add3_u32 v26, v34, v32, v67
	v_add3_u32 v27, v38, v35, v68
	;; [unrolled: 1-line block ×11, first 2 shown]
	v_lshlrev_b32_e32 v29, 3, v2
	v_mov_b32_e32 v75, 0x400
	s_movk_i32 s4, 0x400
	v_add_u32_e32 v30, 0x400, v29
	v_lshl_add_u32 v31, v31, 3, v75
	v_add3_u32 v33, v65, v37, v42
	v_lshl_add_u32 v37, v74, 3, v75
	v_add3_u32 v40, v63, v40, v61
	;; [unrolled: 2-line block ×11, first 2 shown]
	v_lshl_add_u32 v34, v28, 3, v75
	s_mov_b32 s5, 0
	s_movk_i32 s6, 0x200
	v_mov_b32_e32 v27, 0
	v_mov_b32_e32 v55, v2
	s_mov_b32 s7, 0
	s_branch .LBB1544_153
.LBB1544_152:                           ;   in Loop: Header=BB1544_153 Depth=1
	s_or_b64 exec, exec, s[2:3]
	s_waitcnt lgkmcnt(0)
	s_barrier
	ds_read_b64 v[56:57], v29 offset:1024
	ds_read_b64 v[58:59], v30 offset:4096
	s_addk_i32 s7, 0xe000
	s_addk_i32 s5, 0xfc00
	s_cmp_eq_u32 s7, 0xffff4000
	s_waitcnt lgkmcnt(1)
	v_lshrrev_b64 v[60:61], s24, v[56:57]
	v_and_b32_e32 v26, s13, v60
	s_waitcnt lgkmcnt(0)
	v_lshrrev_b64 v[60:61], s24, v[58:59]
	v_lshlrev_b32_e32 v26, 2, v26
	v_and_b32_e32 v60, s13, v60
	ds_read_b32 v26, v26
	v_lshlrev_b32_e32 v60, 2, v60
	ds_read_b32 v62, v60
	v_xor_b32_e32 v57, 0x80000000, v57
	v_xor_b32_e32 v59, 0x80000000, v59
	s_waitcnt lgkmcnt(1)
	v_add_u32_e32 v26, v55, v26
	v_lshl_add_u64 v[60:61], v[26:27], 3, s[30:31]
	s_waitcnt lgkmcnt(0)
	v_add3_u32 v26, v55, v62, s6
	global_store_dwordx2 v[60:61], v[56:57], off
	v_lshl_add_u64 v[56:57], v[26:27], 3, s[30:31]
	v_add_u32_e32 v55, 0x400, v55
	global_store_dwordx2 v[56:57], v[58:59], off
	s_barrier
	s_cbranch_scc1 .LBB1544_177
.LBB1544_153:                           ; =>This Inner Loop Header: Depth=1
	v_add_u32_e32 v26, s5, v28
	v_cmp_gt_u32_e64 s[0:1], s4, v26
	s_and_saveexec_b64 s[2:3], s[0:1]
	s_cbranch_execz .LBB1544_155
; %bb.154:                              ;   in Loop: Header=BB1544_153 Depth=1
	v_add_u32_e32 v26, s7, v34
	ds_write_b64 v26, v[4:5]
.LBB1544_155:                           ;   in Loop: Header=BB1544_153 Depth=1
	s_or_b64 exec, exec, s[2:3]
	v_add_u32_e32 v26, s5, v32
	v_cmp_gt_u32_e64 s[0:1], s4, v26
	s_and_saveexec_b64 s[2:3], s[0:1]
	s_cbranch_execz .LBB1544_157
; %bb.156:                              ;   in Loop: Header=BB1544_153 Depth=1
	v_add_u32_e32 v26, s7, v38
	ds_write_b64 v26, v[0:1]
.LBB1544_157:                           ;   in Loop: Header=BB1544_153 Depth=1
	s_or_b64 exec, exec, s[2:3]
	;; [unrolled: 9-line block ×11, first 2 shown]
	v_add_u32_e32 v26, s5, v33
	v_cmp_gt_u32_e64 s[0:1], s4, v26
	s_and_saveexec_b64 s[2:3], s[0:1]
	s_cbranch_execz .LBB1544_152
; %bb.176:                              ;   in Loop: Header=BB1544_153 Depth=1
	v_add_u32_e32 v26, s7, v31
	ds_write_b64 v26, v[24:25]
	s_branch .LBB1544_152
.LBB1544_177:
	s_add_i32 s12, s12, -1
	s_cmp_eq_u32 s12, s27
	s_cselect_b64 s[0:1], -1, 0
	s_and_b64 s[2:3], vcc, s[0:1]
                                        ; implicit-def: $vgpr4
	s_and_saveexec_b64 s[0:1], s[2:3]
; %bb.178:
	v_add_u32_e32 v4, v3, v36
	s_or_b64 s[8:9], s[8:9], exec
; %bb.179:
	s_or_b64 exec, exec, s[0:1]
.LBB1544_180:
	s_and_saveexec_b64 s[0:1], s[8:9]
	s_cbranch_execnz .LBB1544_182
; %bb.181:
	s_endpgm
.LBB1544_182:
	v_lshlrev_b32_e32 v0, 2, v2
	ds_read_b32 v1, v0
	s_waitcnt lgkmcnt(0)
	v_add_u32_e32 v1, v1, v4
	global_store_dword v0, v1, s[22:23]
	s_endpgm
	.section	.rodata,"a",@progbits
	.p2align	6, 0x0
	.amdhsa_kernel _ZN7rocprim17ROCPRIM_400000_NS6detail17trampoline_kernelINS0_14default_configENS1_35radix_sort_onesweep_config_selectorIxNS0_10empty_typeEEEZZNS1_29radix_sort_onesweep_iterationIS3_Lb0EN6thrust23THRUST_200600_302600_NS6detail15normal_iteratorINS9_10device_ptrIxEEEESE_PS5_SF_jNS0_19identity_decomposerENS1_16block_id_wrapperIjLb1EEEEE10hipError_tT1_PNSt15iterator_traitsISK_E10value_typeET2_T3_PNSL_ISQ_E10value_typeET4_T5_PSV_SW_PNS1_23onesweep_lookback_stateEbbT6_jjT7_P12ihipStream_tbENKUlT_T0_SK_SP_E_clISE_SE_SF_SF_EEDaS13_S14_SK_SP_EUlS13_E_NS1_11comp_targetILNS1_3genE5ELNS1_11target_archE942ELNS1_3gpuE9ELNS1_3repE0EEENS1_47radix_sort_onesweep_sort_config_static_selectorELNS0_4arch9wavefront6targetE1EEEvSK_
		.amdhsa_group_segment_fixed_size 10280
		.amdhsa_private_segment_fixed_size 0
		.amdhsa_kernarg_size 344
		.amdhsa_user_sgpr_count 2
		.amdhsa_user_sgpr_dispatch_ptr 0
		.amdhsa_user_sgpr_queue_ptr 0
		.amdhsa_user_sgpr_kernarg_segment_ptr 1
		.amdhsa_user_sgpr_dispatch_id 0
		.amdhsa_user_sgpr_kernarg_preload_length 0
		.amdhsa_user_sgpr_kernarg_preload_offset 0
		.amdhsa_user_sgpr_private_segment_size 0
		.amdhsa_uses_dynamic_stack 0
		.amdhsa_enable_private_segment 0
		.amdhsa_system_sgpr_workgroup_id_x 1
		.amdhsa_system_sgpr_workgroup_id_y 0
		.amdhsa_system_sgpr_workgroup_id_z 0
		.amdhsa_system_sgpr_workgroup_info 0
		.amdhsa_system_vgpr_workitem_id 2
		.amdhsa_next_free_vgpr 78
		.amdhsa_next_free_sgpr 36
		.amdhsa_accum_offset 80
		.amdhsa_reserve_vcc 1
		.amdhsa_float_round_mode_32 0
		.amdhsa_float_round_mode_16_64 0
		.amdhsa_float_denorm_mode_32 3
		.amdhsa_float_denorm_mode_16_64 3
		.amdhsa_dx10_clamp 1
		.amdhsa_ieee_mode 1
		.amdhsa_fp16_overflow 0
		.amdhsa_tg_split 0
		.amdhsa_exception_fp_ieee_invalid_op 0
		.amdhsa_exception_fp_denorm_src 0
		.amdhsa_exception_fp_ieee_div_zero 0
		.amdhsa_exception_fp_ieee_overflow 0
		.amdhsa_exception_fp_ieee_underflow 0
		.amdhsa_exception_fp_ieee_inexact 0
		.amdhsa_exception_int_div_zero 0
	.end_amdhsa_kernel
	.section	.text._ZN7rocprim17ROCPRIM_400000_NS6detail17trampoline_kernelINS0_14default_configENS1_35radix_sort_onesweep_config_selectorIxNS0_10empty_typeEEEZZNS1_29radix_sort_onesweep_iterationIS3_Lb0EN6thrust23THRUST_200600_302600_NS6detail15normal_iteratorINS9_10device_ptrIxEEEESE_PS5_SF_jNS0_19identity_decomposerENS1_16block_id_wrapperIjLb1EEEEE10hipError_tT1_PNSt15iterator_traitsISK_E10value_typeET2_T3_PNSL_ISQ_E10value_typeET4_T5_PSV_SW_PNS1_23onesweep_lookback_stateEbbT6_jjT7_P12ihipStream_tbENKUlT_T0_SK_SP_E_clISE_SE_SF_SF_EEDaS13_S14_SK_SP_EUlS13_E_NS1_11comp_targetILNS1_3genE5ELNS1_11target_archE942ELNS1_3gpuE9ELNS1_3repE0EEENS1_47radix_sort_onesweep_sort_config_static_selectorELNS0_4arch9wavefront6targetE1EEEvSK_,"axG",@progbits,_ZN7rocprim17ROCPRIM_400000_NS6detail17trampoline_kernelINS0_14default_configENS1_35radix_sort_onesweep_config_selectorIxNS0_10empty_typeEEEZZNS1_29radix_sort_onesweep_iterationIS3_Lb0EN6thrust23THRUST_200600_302600_NS6detail15normal_iteratorINS9_10device_ptrIxEEEESE_PS5_SF_jNS0_19identity_decomposerENS1_16block_id_wrapperIjLb1EEEEE10hipError_tT1_PNSt15iterator_traitsISK_E10value_typeET2_T3_PNSL_ISQ_E10value_typeET4_T5_PSV_SW_PNS1_23onesweep_lookback_stateEbbT6_jjT7_P12ihipStream_tbENKUlT_T0_SK_SP_E_clISE_SE_SF_SF_EEDaS13_S14_SK_SP_EUlS13_E_NS1_11comp_targetILNS1_3genE5ELNS1_11target_archE942ELNS1_3gpuE9ELNS1_3repE0EEENS1_47radix_sort_onesweep_sort_config_static_selectorELNS0_4arch9wavefront6targetE1EEEvSK_,comdat
.Lfunc_end1544:
	.size	_ZN7rocprim17ROCPRIM_400000_NS6detail17trampoline_kernelINS0_14default_configENS1_35radix_sort_onesweep_config_selectorIxNS0_10empty_typeEEEZZNS1_29radix_sort_onesweep_iterationIS3_Lb0EN6thrust23THRUST_200600_302600_NS6detail15normal_iteratorINS9_10device_ptrIxEEEESE_PS5_SF_jNS0_19identity_decomposerENS1_16block_id_wrapperIjLb1EEEEE10hipError_tT1_PNSt15iterator_traitsISK_E10value_typeET2_T3_PNSL_ISQ_E10value_typeET4_T5_PSV_SW_PNS1_23onesweep_lookback_stateEbbT6_jjT7_P12ihipStream_tbENKUlT_T0_SK_SP_E_clISE_SE_SF_SF_EEDaS13_S14_SK_SP_EUlS13_E_NS1_11comp_targetILNS1_3genE5ELNS1_11target_archE942ELNS1_3gpuE9ELNS1_3repE0EEENS1_47radix_sort_onesweep_sort_config_static_selectorELNS0_4arch9wavefront6targetE1EEEvSK_, .Lfunc_end1544-_ZN7rocprim17ROCPRIM_400000_NS6detail17trampoline_kernelINS0_14default_configENS1_35radix_sort_onesweep_config_selectorIxNS0_10empty_typeEEEZZNS1_29radix_sort_onesweep_iterationIS3_Lb0EN6thrust23THRUST_200600_302600_NS6detail15normal_iteratorINS9_10device_ptrIxEEEESE_PS5_SF_jNS0_19identity_decomposerENS1_16block_id_wrapperIjLb1EEEEE10hipError_tT1_PNSt15iterator_traitsISK_E10value_typeET2_T3_PNSL_ISQ_E10value_typeET4_T5_PSV_SW_PNS1_23onesweep_lookback_stateEbbT6_jjT7_P12ihipStream_tbENKUlT_T0_SK_SP_E_clISE_SE_SF_SF_EEDaS13_S14_SK_SP_EUlS13_E_NS1_11comp_targetILNS1_3genE5ELNS1_11target_archE942ELNS1_3gpuE9ELNS1_3repE0EEENS1_47radix_sort_onesweep_sort_config_static_selectorELNS0_4arch9wavefront6targetE1EEEvSK_
                                        ; -- End function
	.section	.AMDGPU.csdata,"",@progbits
; Kernel info:
; codeLenInByte = 15268
; NumSgprs: 42
; NumVgprs: 78
; NumAgprs: 0
; TotalNumVgprs: 78
; ScratchSize: 0
; MemoryBound: 0
; FloatMode: 240
; IeeeMode: 1
; LDSByteSize: 10280 bytes/workgroup (compile time only)
; SGPRBlocks: 5
; VGPRBlocks: 9
; NumSGPRsForWavesPerEU: 42
; NumVGPRsForWavesPerEU: 78
; AccumOffset: 80
; Occupancy: 6
; WaveLimiterHint : 1
; COMPUTE_PGM_RSRC2:SCRATCH_EN: 0
; COMPUTE_PGM_RSRC2:USER_SGPR: 2
; COMPUTE_PGM_RSRC2:TRAP_HANDLER: 0
; COMPUTE_PGM_RSRC2:TGID_X_EN: 1
; COMPUTE_PGM_RSRC2:TGID_Y_EN: 0
; COMPUTE_PGM_RSRC2:TGID_Z_EN: 0
; COMPUTE_PGM_RSRC2:TIDIG_COMP_CNT: 2
; COMPUTE_PGM_RSRC3_GFX90A:ACCUM_OFFSET: 19
; COMPUTE_PGM_RSRC3_GFX90A:TG_SPLIT: 0
	.section	.text._ZN7rocprim17ROCPRIM_400000_NS6detail17trampoline_kernelINS0_14default_configENS1_35radix_sort_onesweep_config_selectorIxNS0_10empty_typeEEEZZNS1_29radix_sort_onesweep_iterationIS3_Lb0EN6thrust23THRUST_200600_302600_NS6detail15normal_iteratorINS9_10device_ptrIxEEEESE_PS5_SF_jNS0_19identity_decomposerENS1_16block_id_wrapperIjLb1EEEEE10hipError_tT1_PNSt15iterator_traitsISK_E10value_typeET2_T3_PNSL_ISQ_E10value_typeET4_T5_PSV_SW_PNS1_23onesweep_lookback_stateEbbT6_jjT7_P12ihipStream_tbENKUlT_T0_SK_SP_E_clISE_SE_SF_SF_EEDaS13_S14_SK_SP_EUlS13_E_NS1_11comp_targetILNS1_3genE2ELNS1_11target_archE906ELNS1_3gpuE6ELNS1_3repE0EEENS1_47radix_sort_onesweep_sort_config_static_selectorELNS0_4arch9wavefront6targetE1EEEvSK_,"axG",@progbits,_ZN7rocprim17ROCPRIM_400000_NS6detail17trampoline_kernelINS0_14default_configENS1_35radix_sort_onesweep_config_selectorIxNS0_10empty_typeEEEZZNS1_29radix_sort_onesweep_iterationIS3_Lb0EN6thrust23THRUST_200600_302600_NS6detail15normal_iteratorINS9_10device_ptrIxEEEESE_PS5_SF_jNS0_19identity_decomposerENS1_16block_id_wrapperIjLb1EEEEE10hipError_tT1_PNSt15iterator_traitsISK_E10value_typeET2_T3_PNSL_ISQ_E10value_typeET4_T5_PSV_SW_PNS1_23onesweep_lookback_stateEbbT6_jjT7_P12ihipStream_tbENKUlT_T0_SK_SP_E_clISE_SE_SF_SF_EEDaS13_S14_SK_SP_EUlS13_E_NS1_11comp_targetILNS1_3genE2ELNS1_11target_archE906ELNS1_3gpuE6ELNS1_3repE0EEENS1_47radix_sort_onesweep_sort_config_static_selectorELNS0_4arch9wavefront6targetE1EEEvSK_,comdat
	.protected	_ZN7rocprim17ROCPRIM_400000_NS6detail17trampoline_kernelINS0_14default_configENS1_35radix_sort_onesweep_config_selectorIxNS0_10empty_typeEEEZZNS1_29radix_sort_onesweep_iterationIS3_Lb0EN6thrust23THRUST_200600_302600_NS6detail15normal_iteratorINS9_10device_ptrIxEEEESE_PS5_SF_jNS0_19identity_decomposerENS1_16block_id_wrapperIjLb1EEEEE10hipError_tT1_PNSt15iterator_traitsISK_E10value_typeET2_T3_PNSL_ISQ_E10value_typeET4_T5_PSV_SW_PNS1_23onesweep_lookback_stateEbbT6_jjT7_P12ihipStream_tbENKUlT_T0_SK_SP_E_clISE_SE_SF_SF_EEDaS13_S14_SK_SP_EUlS13_E_NS1_11comp_targetILNS1_3genE2ELNS1_11target_archE906ELNS1_3gpuE6ELNS1_3repE0EEENS1_47radix_sort_onesweep_sort_config_static_selectorELNS0_4arch9wavefront6targetE1EEEvSK_ ; -- Begin function _ZN7rocprim17ROCPRIM_400000_NS6detail17trampoline_kernelINS0_14default_configENS1_35radix_sort_onesweep_config_selectorIxNS0_10empty_typeEEEZZNS1_29radix_sort_onesweep_iterationIS3_Lb0EN6thrust23THRUST_200600_302600_NS6detail15normal_iteratorINS9_10device_ptrIxEEEESE_PS5_SF_jNS0_19identity_decomposerENS1_16block_id_wrapperIjLb1EEEEE10hipError_tT1_PNSt15iterator_traitsISK_E10value_typeET2_T3_PNSL_ISQ_E10value_typeET4_T5_PSV_SW_PNS1_23onesweep_lookback_stateEbbT6_jjT7_P12ihipStream_tbENKUlT_T0_SK_SP_E_clISE_SE_SF_SF_EEDaS13_S14_SK_SP_EUlS13_E_NS1_11comp_targetILNS1_3genE2ELNS1_11target_archE906ELNS1_3gpuE6ELNS1_3repE0EEENS1_47radix_sort_onesweep_sort_config_static_selectorELNS0_4arch9wavefront6targetE1EEEvSK_
	.globl	_ZN7rocprim17ROCPRIM_400000_NS6detail17trampoline_kernelINS0_14default_configENS1_35radix_sort_onesweep_config_selectorIxNS0_10empty_typeEEEZZNS1_29radix_sort_onesweep_iterationIS3_Lb0EN6thrust23THRUST_200600_302600_NS6detail15normal_iteratorINS9_10device_ptrIxEEEESE_PS5_SF_jNS0_19identity_decomposerENS1_16block_id_wrapperIjLb1EEEEE10hipError_tT1_PNSt15iterator_traitsISK_E10value_typeET2_T3_PNSL_ISQ_E10value_typeET4_T5_PSV_SW_PNS1_23onesweep_lookback_stateEbbT6_jjT7_P12ihipStream_tbENKUlT_T0_SK_SP_E_clISE_SE_SF_SF_EEDaS13_S14_SK_SP_EUlS13_E_NS1_11comp_targetILNS1_3genE2ELNS1_11target_archE906ELNS1_3gpuE6ELNS1_3repE0EEENS1_47radix_sort_onesweep_sort_config_static_selectorELNS0_4arch9wavefront6targetE1EEEvSK_
	.p2align	8
	.type	_ZN7rocprim17ROCPRIM_400000_NS6detail17trampoline_kernelINS0_14default_configENS1_35radix_sort_onesweep_config_selectorIxNS0_10empty_typeEEEZZNS1_29radix_sort_onesweep_iterationIS3_Lb0EN6thrust23THRUST_200600_302600_NS6detail15normal_iteratorINS9_10device_ptrIxEEEESE_PS5_SF_jNS0_19identity_decomposerENS1_16block_id_wrapperIjLb1EEEEE10hipError_tT1_PNSt15iterator_traitsISK_E10value_typeET2_T3_PNSL_ISQ_E10value_typeET4_T5_PSV_SW_PNS1_23onesweep_lookback_stateEbbT6_jjT7_P12ihipStream_tbENKUlT_T0_SK_SP_E_clISE_SE_SF_SF_EEDaS13_S14_SK_SP_EUlS13_E_NS1_11comp_targetILNS1_3genE2ELNS1_11target_archE906ELNS1_3gpuE6ELNS1_3repE0EEENS1_47radix_sort_onesweep_sort_config_static_selectorELNS0_4arch9wavefront6targetE1EEEvSK_,@function
_ZN7rocprim17ROCPRIM_400000_NS6detail17trampoline_kernelINS0_14default_configENS1_35radix_sort_onesweep_config_selectorIxNS0_10empty_typeEEEZZNS1_29radix_sort_onesweep_iterationIS3_Lb0EN6thrust23THRUST_200600_302600_NS6detail15normal_iteratorINS9_10device_ptrIxEEEESE_PS5_SF_jNS0_19identity_decomposerENS1_16block_id_wrapperIjLb1EEEEE10hipError_tT1_PNSt15iterator_traitsISK_E10value_typeET2_T3_PNSL_ISQ_E10value_typeET4_T5_PSV_SW_PNS1_23onesweep_lookback_stateEbbT6_jjT7_P12ihipStream_tbENKUlT_T0_SK_SP_E_clISE_SE_SF_SF_EEDaS13_S14_SK_SP_EUlS13_E_NS1_11comp_targetILNS1_3genE2ELNS1_11target_archE906ELNS1_3gpuE6ELNS1_3repE0EEENS1_47radix_sort_onesweep_sort_config_static_selectorELNS0_4arch9wavefront6targetE1EEEvSK_: ; @_ZN7rocprim17ROCPRIM_400000_NS6detail17trampoline_kernelINS0_14default_configENS1_35radix_sort_onesweep_config_selectorIxNS0_10empty_typeEEEZZNS1_29radix_sort_onesweep_iterationIS3_Lb0EN6thrust23THRUST_200600_302600_NS6detail15normal_iteratorINS9_10device_ptrIxEEEESE_PS5_SF_jNS0_19identity_decomposerENS1_16block_id_wrapperIjLb1EEEEE10hipError_tT1_PNSt15iterator_traitsISK_E10value_typeET2_T3_PNSL_ISQ_E10value_typeET4_T5_PSV_SW_PNS1_23onesweep_lookback_stateEbbT6_jjT7_P12ihipStream_tbENKUlT_T0_SK_SP_E_clISE_SE_SF_SF_EEDaS13_S14_SK_SP_EUlS13_E_NS1_11comp_targetILNS1_3genE2ELNS1_11target_archE906ELNS1_3gpuE6ELNS1_3repE0EEENS1_47radix_sort_onesweep_sort_config_static_selectorELNS0_4arch9wavefront6targetE1EEEvSK_
; %bb.0:
	.section	.rodata,"a",@progbits
	.p2align	6, 0x0
	.amdhsa_kernel _ZN7rocprim17ROCPRIM_400000_NS6detail17trampoline_kernelINS0_14default_configENS1_35radix_sort_onesweep_config_selectorIxNS0_10empty_typeEEEZZNS1_29radix_sort_onesweep_iterationIS3_Lb0EN6thrust23THRUST_200600_302600_NS6detail15normal_iteratorINS9_10device_ptrIxEEEESE_PS5_SF_jNS0_19identity_decomposerENS1_16block_id_wrapperIjLb1EEEEE10hipError_tT1_PNSt15iterator_traitsISK_E10value_typeET2_T3_PNSL_ISQ_E10value_typeET4_T5_PSV_SW_PNS1_23onesweep_lookback_stateEbbT6_jjT7_P12ihipStream_tbENKUlT_T0_SK_SP_E_clISE_SE_SF_SF_EEDaS13_S14_SK_SP_EUlS13_E_NS1_11comp_targetILNS1_3genE2ELNS1_11target_archE906ELNS1_3gpuE6ELNS1_3repE0EEENS1_47radix_sort_onesweep_sort_config_static_selectorELNS0_4arch9wavefront6targetE1EEEvSK_
		.amdhsa_group_segment_fixed_size 0
		.amdhsa_private_segment_fixed_size 0
		.amdhsa_kernarg_size 88
		.amdhsa_user_sgpr_count 2
		.amdhsa_user_sgpr_dispatch_ptr 0
		.amdhsa_user_sgpr_queue_ptr 0
		.amdhsa_user_sgpr_kernarg_segment_ptr 1
		.amdhsa_user_sgpr_dispatch_id 0
		.amdhsa_user_sgpr_kernarg_preload_length 0
		.amdhsa_user_sgpr_kernarg_preload_offset 0
		.amdhsa_user_sgpr_private_segment_size 0
		.amdhsa_uses_dynamic_stack 0
		.amdhsa_enable_private_segment 0
		.amdhsa_system_sgpr_workgroup_id_x 1
		.amdhsa_system_sgpr_workgroup_id_y 0
		.amdhsa_system_sgpr_workgroup_id_z 0
		.amdhsa_system_sgpr_workgroup_info 0
		.amdhsa_system_vgpr_workitem_id 0
		.amdhsa_next_free_vgpr 1
		.amdhsa_next_free_sgpr 0
		.amdhsa_accum_offset 4
		.amdhsa_reserve_vcc 0
		.amdhsa_float_round_mode_32 0
		.amdhsa_float_round_mode_16_64 0
		.amdhsa_float_denorm_mode_32 3
		.amdhsa_float_denorm_mode_16_64 3
		.amdhsa_dx10_clamp 1
		.amdhsa_ieee_mode 1
		.amdhsa_fp16_overflow 0
		.amdhsa_tg_split 0
		.amdhsa_exception_fp_ieee_invalid_op 0
		.amdhsa_exception_fp_denorm_src 0
		.amdhsa_exception_fp_ieee_div_zero 0
		.amdhsa_exception_fp_ieee_overflow 0
		.amdhsa_exception_fp_ieee_underflow 0
		.amdhsa_exception_fp_ieee_inexact 0
		.amdhsa_exception_int_div_zero 0
	.end_amdhsa_kernel
	.section	.text._ZN7rocprim17ROCPRIM_400000_NS6detail17trampoline_kernelINS0_14default_configENS1_35radix_sort_onesweep_config_selectorIxNS0_10empty_typeEEEZZNS1_29radix_sort_onesweep_iterationIS3_Lb0EN6thrust23THRUST_200600_302600_NS6detail15normal_iteratorINS9_10device_ptrIxEEEESE_PS5_SF_jNS0_19identity_decomposerENS1_16block_id_wrapperIjLb1EEEEE10hipError_tT1_PNSt15iterator_traitsISK_E10value_typeET2_T3_PNSL_ISQ_E10value_typeET4_T5_PSV_SW_PNS1_23onesweep_lookback_stateEbbT6_jjT7_P12ihipStream_tbENKUlT_T0_SK_SP_E_clISE_SE_SF_SF_EEDaS13_S14_SK_SP_EUlS13_E_NS1_11comp_targetILNS1_3genE2ELNS1_11target_archE906ELNS1_3gpuE6ELNS1_3repE0EEENS1_47radix_sort_onesweep_sort_config_static_selectorELNS0_4arch9wavefront6targetE1EEEvSK_,"axG",@progbits,_ZN7rocprim17ROCPRIM_400000_NS6detail17trampoline_kernelINS0_14default_configENS1_35radix_sort_onesweep_config_selectorIxNS0_10empty_typeEEEZZNS1_29radix_sort_onesweep_iterationIS3_Lb0EN6thrust23THRUST_200600_302600_NS6detail15normal_iteratorINS9_10device_ptrIxEEEESE_PS5_SF_jNS0_19identity_decomposerENS1_16block_id_wrapperIjLb1EEEEE10hipError_tT1_PNSt15iterator_traitsISK_E10value_typeET2_T3_PNSL_ISQ_E10value_typeET4_T5_PSV_SW_PNS1_23onesweep_lookback_stateEbbT6_jjT7_P12ihipStream_tbENKUlT_T0_SK_SP_E_clISE_SE_SF_SF_EEDaS13_S14_SK_SP_EUlS13_E_NS1_11comp_targetILNS1_3genE2ELNS1_11target_archE906ELNS1_3gpuE6ELNS1_3repE0EEENS1_47radix_sort_onesweep_sort_config_static_selectorELNS0_4arch9wavefront6targetE1EEEvSK_,comdat
.Lfunc_end1545:
	.size	_ZN7rocprim17ROCPRIM_400000_NS6detail17trampoline_kernelINS0_14default_configENS1_35radix_sort_onesweep_config_selectorIxNS0_10empty_typeEEEZZNS1_29radix_sort_onesweep_iterationIS3_Lb0EN6thrust23THRUST_200600_302600_NS6detail15normal_iteratorINS9_10device_ptrIxEEEESE_PS5_SF_jNS0_19identity_decomposerENS1_16block_id_wrapperIjLb1EEEEE10hipError_tT1_PNSt15iterator_traitsISK_E10value_typeET2_T3_PNSL_ISQ_E10value_typeET4_T5_PSV_SW_PNS1_23onesweep_lookback_stateEbbT6_jjT7_P12ihipStream_tbENKUlT_T0_SK_SP_E_clISE_SE_SF_SF_EEDaS13_S14_SK_SP_EUlS13_E_NS1_11comp_targetILNS1_3genE2ELNS1_11target_archE906ELNS1_3gpuE6ELNS1_3repE0EEENS1_47radix_sort_onesweep_sort_config_static_selectorELNS0_4arch9wavefront6targetE1EEEvSK_, .Lfunc_end1545-_ZN7rocprim17ROCPRIM_400000_NS6detail17trampoline_kernelINS0_14default_configENS1_35radix_sort_onesweep_config_selectorIxNS0_10empty_typeEEEZZNS1_29radix_sort_onesweep_iterationIS3_Lb0EN6thrust23THRUST_200600_302600_NS6detail15normal_iteratorINS9_10device_ptrIxEEEESE_PS5_SF_jNS0_19identity_decomposerENS1_16block_id_wrapperIjLb1EEEEE10hipError_tT1_PNSt15iterator_traitsISK_E10value_typeET2_T3_PNSL_ISQ_E10value_typeET4_T5_PSV_SW_PNS1_23onesweep_lookback_stateEbbT6_jjT7_P12ihipStream_tbENKUlT_T0_SK_SP_E_clISE_SE_SF_SF_EEDaS13_S14_SK_SP_EUlS13_E_NS1_11comp_targetILNS1_3genE2ELNS1_11target_archE906ELNS1_3gpuE6ELNS1_3repE0EEENS1_47radix_sort_onesweep_sort_config_static_selectorELNS0_4arch9wavefront6targetE1EEEvSK_
                                        ; -- End function
	.section	.AMDGPU.csdata,"",@progbits
; Kernel info:
; codeLenInByte = 0
; NumSgprs: 6
; NumVgprs: 0
; NumAgprs: 0
; TotalNumVgprs: 0
; ScratchSize: 0
; MemoryBound: 0
; FloatMode: 240
; IeeeMode: 1
; LDSByteSize: 0 bytes/workgroup (compile time only)
; SGPRBlocks: 0
; VGPRBlocks: 0
; NumSGPRsForWavesPerEU: 6
; NumVGPRsForWavesPerEU: 1
; AccumOffset: 4
; Occupancy: 8
; WaveLimiterHint : 0
; COMPUTE_PGM_RSRC2:SCRATCH_EN: 0
; COMPUTE_PGM_RSRC2:USER_SGPR: 2
; COMPUTE_PGM_RSRC2:TRAP_HANDLER: 0
; COMPUTE_PGM_RSRC2:TGID_X_EN: 1
; COMPUTE_PGM_RSRC2:TGID_Y_EN: 0
; COMPUTE_PGM_RSRC2:TGID_Z_EN: 0
; COMPUTE_PGM_RSRC2:TIDIG_COMP_CNT: 0
; COMPUTE_PGM_RSRC3_GFX90A:ACCUM_OFFSET: 0
; COMPUTE_PGM_RSRC3_GFX90A:TG_SPLIT: 0
	.section	.text._ZN7rocprim17ROCPRIM_400000_NS6detail17trampoline_kernelINS0_14default_configENS1_35radix_sort_onesweep_config_selectorIxNS0_10empty_typeEEEZZNS1_29radix_sort_onesweep_iterationIS3_Lb0EN6thrust23THRUST_200600_302600_NS6detail15normal_iteratorINS9_10device_ptrIxEEEESE_PS5_SF_jNS0_19identity_decomposerENS1_16block_id_wrapperIjLb1EEEEE10hipError_tT1_PNSt15iterator_traitsISK_E10value_typeET2_T3_PNSL_ISQ_E10value_typeET4_T5_PSV_SW_PNS1_23onesweep_lookback_stateEbbT6_jjT7_P12ihipStream_tbENKUlT_T0_SK_SP_E_clISE_SE_SF_SF_EEDaS13_S14_SK_SP_EUlS13_E_NS1_11comp_targetILNS1_3genE4ELNS1_11target_archE910ELNS1_3gpuE8ELNS1_3repE0EEENS1_47radix_sort_onesweep_sort_config_static_selectorELNS0_4arch9wavefront6targetE1EEEvSK_,"axG",@progbits,_ZN7rocprim17ROCPRIM_400000_NS6detail17trampoline_kernelINS0_14default_configENS1_35radix_sort_onesweep_config_selectorIxNS0_10empty_typeEEEZZNS1_29radix_sort_onesweep_iterationIS3_Lb0EN6thrust23THRUST_200600_302600_NS6detail15normal_iteratorINS9_10device_ptrIxEEEESE_PS5_SF_jNS0_19identity_decomposerENS1_16block_id_wrapperIjLb1EEEEE10hipError_tT1_PNSt15iterator_traitsISK_E10value_typeET2_T3_PNSL_ISQ_E10value_typeET4_T5_PSV_SW_PNS1_23onesweep_lookback_stateEbbT6_jjT7_P12ihipStream_tbENKUlT_T0_SK_SP_E_clISE_SE_SF_SF_EEDaS13_S14_SK_SP_EUlS13_E_NS1_11comp_targetILNS1_3genE4ELNS1_11target_archE910ELNS1_3gpuE8ELNS1_3repE0EEENS1_47radix_sort_onesweep_sort_config_static_selectorELNS0_4arch9wavefront6targetE1EEEvSK_,comdat
	.protected	_ZN7rocprim17ROCPRIM_400000_NS6detail17trampoline_kernelINS0_14default_configENS1_35radix_sort_onesweep_config_selectorIxNS0_10empty_typeEEEZZNS1_29radix_sort_onesweep_iterationIS3_Lb0EN6thrust23THRUST_200600_302600_NS6detail15normal_iteratorINS9_10device_ptrIxEEEESE_PS5_SF_jNS0_19identity_decomposerENS1_16block_id_wrapperIjLb1EEEEE10hipError_tT1_PNSt15iterator_traitsISK_E10value_typeET2_T3_PNSL_ISQ_E10value_typeET4_T5_PSV_SW_PNS1_23onesweep_lookback_stateEbbT6_jjT7_P12ihipStream_tbENKUlT_T0_SK_SP_E_clISE_SE_SF_SF_EEDaS13_S14_SK_SP_EUlS13_E_NS1_11comp_targetILNS1_3genE4ELNS1_11target_archE910ELNS1_3gpuE8ELNS1_3repE0EEENS1_47radix_sort_onesweep_sort_config_static_selectorELNS0_4arch9wavefront6targetE1EEEvSK_ ; -- Begin function _ZN7rocprim17ROCPRIM_400000_NS6detail17trampoline_kernelINS0_14default_configENS1_35radix_sort_onesweep_config_selectorIxNS0_10empty_typeEEEZZNS1_29radix_sort_onesweep_iterationIS3_Lb0EN6thrust23THRUST_200600_302600_NS6detail15normal_iteratorINS9_10device_ptrIxEEEESE_PS5_SF_jNS0_19identity_decomposerENS1_16block_id_wrapperIjLb1EEEEE10hipError_tT1_PNSt15iterator_traitsISK_E10value_typeET2_T3_PNSL_ISQ_E10value_typeET4_T5_PSV_SW_PNS1_23onesweep_lookback_stateEbbT6_jjT7_P12ihipStream_tbENKUlT_T0_SK_SP_E_clISE_SE_SF_SF_EEDaS13_S14_SK_SP_EUlS13_E_NS1_11comp_targetILNS1_3genE4ELNS1_11target_archE910ELNS1_3gpuE8ELNS1_3repE0EEENS1_47radix_sort_onesweep_sort_config_static_selectorELNS0_4arch9wavefront6targetE1EEEvSK_
	.globl	_ZN7rocprim17ROCPRIM_400000_NS6detail17trampoline_kernelINS0_14default_configENS1_35radix_sort_onesweep_config_selectorIxNS0_10empty_typeEEEZZNS1_29radix_sort_onesweep_iterationIS3_Lb0EN6thrust23THRUST_200600_302600_NS6detail15normal_iteratorINS9_10device_ptrIxEEEESE_PS5_SF_jNS0_19identity_decomposerENS1_16block_id_wrapperIjLb1EEEEE10hipError_tT1_PNSt15iterator_traitsISK_E10value_typeET2_T3_PNSL_ISQ_E10value_typeET4_T5_PSV_SW_PNS1_23onesweep_lookback_stateEbbT6_jjT7_P12ihipStream_tbENKUlT_T0_SK_SP_E_clISE_SE_SF_SF_EEDaS13_S14_SK_SP_EUlS13_E_NS1_11comp_targetILNS1_3genE4ELNS1_11target_archE910ELNS1_3gpuE8ELNS1_3repE0EEENS1_47radix_sort_onesweep_sort_config_static_selectorELNS0_4arch9wavefront6targetE1EEEvSK_
	.p2align	8
	.type	_ZN7rocprim17ROCPRIM_400000_NS6detail17trampoline_kernelINS0_14default_configENS1_35radix_sort_onesweep_config_selectorIxNS0_10empty_typeEEEZZNS1_29radix_sort_onesweep_iterationIS3_Lb0EN6thrust23THRUST_200600_302600_NS6detail15normal_iteratorINS9_10device_ptrIxEEEESE_PS5_SF_jNS0_19identity_decomposerENS1_16block_id_wrapperIjLb1EEEEE10hipError_tT1_PNSt15iterator_traitsISK_E10value_typeET2_T3_PNSL_ISQ_E10value_typeET4_T5_PSV_SW_PNS1_23onesweep_lookback_stateEbbT6_jjT7_P12ihipStream_tbENKUlT_T0_SK_SP_E_clISE_SE_SF_SF_EEDaS13_S14_SK_SP_EUlS13_E_NS1_11comp_targetILNS1_3genE4ELNS1_11target_archE910ELNS1_3gpuE8ELNS1_3repE0EEENS1_47radix_sort_onesweep_sort_config_static_selectorELNS0_4arch9wavefront6targetE1EEEvSK_,@function
_ZN7rocprim17ROCPRIM_400000_NS6detail17trampoline_kernelINS0_14default_configENS1_35radix_sort_onesweep_config_selectorIxNS0_10empty_typeEEEZZNS1_29radix_sort_onesweep_iterationIS3_Lb0EN6thrust23THRUST_200600_302600_NS6detail15normal_iteratorINS9_10device_ptrIxEEEESE_PS5_SF_jNS0_19identity_decomposerENS1_16block_id_wrapperIjLb1EEEEE10hipError_tT1_PNSt15iterator_traitsISK_E10value_typeET2_T3_PNSL_ISQ_E10value_typeET4_T5_PSV_SW_PNS1_23onesweep_lookback_stateEbbT6_jjT7_P12ihipStream_tbENKUlT_T0_SK_SP_E_clISE_SE_SF_SF_EEDaS13_S14_SK_SP_EUlS13_E_NS1_11comp_targetILNS1_3genE4ELNS1_11target_archE910ELNS1_3gpuE8ELNS1_3repE0EEENS1_47radix_sort_onesweep_sort_config_static_selectorELNS0_4arch9wavefront6targetE1EEEvSK_: ; @_ZN7rocprim17ROCPRIM_400000_NS6detail17trampoline_kernelINS0_14default_configENS1_35radix_sort_onesweep_config_selectorIxNS0_10empty_typeEEEZZNS1_29radix_sort_onesweep_iterationIS3_Lb0EN6thrust23THRUST_200600_302600_NS6detail15normal_iteratorINS9_10device_ptrIxEEEESE_PS5_SF_jNS0_19identity_decomposerENS1_16block_id_wrapperIjLb1EEEEE10hipError_tT1_PNSt15iterator_traitsISK_E10value_typeET2_T3_PNSL_ISQ_E10value_typeET4_T5_PSV_SW_PNS1_23onesweep_lookback_stateEbbT6_jjT7_P12ihipStream_tbENKUlT_T0_SK_SP_E_clISE_SE_SF_SF_EEDaS13_S14_SK_SP_EUlS13_E_NS1_11comp_targetILNS1_3genE4ELNS1_11target_archE910ELNS1_3gpuE8ELNS1_3repE0EEENS1_47radix_sort_onesweep_sort_config_static_selectorELNS0_4arch9wavefront6targetE1EEEvSK_
; %bb.0:
	.section	.rodata,"a",@progbits
	.p2align	6, 0x0
	.amdhsa_kernel _ZN7rocprim17ROCPRIM_400000_NS6detail17trampoline_kernelINS0_14default_configENS1_35radix_sort_onesweep_config_selectorIxNS0_10empty_typeEEEZZNS1_29radix_sort_onesweep_iterationIS3_Lb0EN6thrust23THRUST_200600_302600_NS6detail15normal_iteratorINS9_10device_ptrIxEEEESE_PS5_SF_jNS0_19identity_decomposerENS1_16block_id_wrapperIjLb1EEEEE10hipError_tT1_PNSt15iterator_traitsISK_E10value_typeET2_T3_PNSL_ISQ_E10value_typeET4_T5_PSV_SW_PNS1_23onesweep_lookback_stateEbbT6_jjT7_P12ihipStream_tbENKUlT_T0_SK_SP_E_clISE_SE_SF_SF_EEDaS13_S14_SK_SP_EUlS13_E_NS1_11comp_targetILNS1_3genE4ELNS1_11target_archE910ELNS1_3gpuE8ELNS1_3repE0EEENS1_47radix_sort_onesweep_sort_config_static_selectorELNS0_4arch9wavefront6targetE1EEEvSK_
		.amdhsa_group_segment_fixed_size 0
		.amdhsa_private_segment_fixed_size 0
		.amdhsa_kernarg_size 88
		.amdhsa_user_sgpr_count 2
		.amdhsa_user_sgpr_dispatch_ptr 0
		.amdhsa_user_sgpr_queue_ptr 0
		.amdhsa_user_sgpr_kernarg_segment_ptr 1
		.amdhsa_user_sgpr_dispatch_id 0
		.amdhsa_user_sgpr_kernarg_preload_length 0
		.amdhsa_user_sgpr_kernarg_preload_offset 0
		.amdhsa_user_sgpr_private_segment_size 0
		.amdhsa_uses_dynamic_stack 0
		.amdhsa_enable_private_segment 0
		.amdhsa_system_sgpr_workgroup_id_x 1
		.amdhsa_system_sgpr_workgroup_id_y 0
		.amdhsa_system_sgpr_workgroup_id_z 0
		.amdhsa_system_sgpr_workgroup_info 0
		.amdhsa_system_vgpr_workitem_id 0
		.amdhsa_next_free_vgpr 1
		.amdhsa_next_free_sgpr 0
		.amdhsa_accum_offset 4
		.amdhsa_reserve_vcc 0
		.amdhsa_float_round_mode_32 0
		.amdhsa_float_round_mode_16_64 0
		.amdhsa_float_denorm_mode_32 3
		.amdhsa_float_denorm_mode_16_64 3
		.amdhsa_dx10_clamp 1
		.amdhsa_ieee_mode 1
		.amdhsa_fp16_overflow 0
		.amdhsa_tg_split 0
		.amdhsa_exception_fp_ieee_invalid_op 0
		.amdhsa_exception_fp_denorm_src 0
		.amdhsa_exception_fp_ieee_div_zero 0
		.amdhsa_exception_fp_ieee_overflow 0
		.amdhsa_exception_fp_ieee_underflow 0
		.amdhsa_exception_fp_ieee_inexact 0
		.amdhsa_exception_int_div_zero 0
	.end_amdhsa_kernel
	.section	.text._ZN7rocprim17ROCPRIM_400000_NS6detail17trampoline_kernelINS0_14default_configENS1_35radix_sort_onesweep_config_selectorIxNS0_10empty_typeEEEZZNS1_29radix_sort_onesweep_iterationIS3_Lb0EN6thrust23THRUST_200600_302600_NS6detail15normal_iteratorINS9_10device_ptrIxEEEESE_PS5_SF_jNS0_19identity_decomposerENS1_16block_id_wrapperIjLb1EEEEE10hipError_tT1_PNSt15iterator_traitsISK_E10value_typeET2_T3_PNSL_ISQ_E10value_typeET4_T5_PSV_SW_PNS1_23onesweep_lookback_stateEbbT6_jjT7_P12ihipStream_tbENKUlT_T0_SK_SP_E_clISE_SE_SF_SF_EEDaS13_S14_SK_SP_EUlS13_E_NS1_11comp_targetILNS1_3genE4ELNS1_11target_archE910ELNS1_3gpuE8ELNS1_3repE0EEENS1_47radix_sort_onesweep_sort_config_static_selectorELNS0_4arch9wavefront6targetE1EEEvSK_,"axG",@progbits,_ZN7rocprim17ROCPRIM_400000_NS6detail17trampoline_kernelINS0_14default_configENS1_35radix_sort_onesweep_config_selectorIxNS0_10empty_typeEEEZZNS1_29radix_sort_onesweep_iterationIS3_Lb0EN6thrust23THRUST_200600_302600_NS6detail15normal_iteratorINS9_10device_ptrIxEEEESE_PS5_SF_jNS0_19identity_decomposerENS1_16block_id_wrapperIjLb1EEEEE10hipError_tT1_PNSt15iterator_traitsISK_E10value_typeET2_T3_PNSL_ISQ_E10value_typeET4_T5_PSV_SW_PNS1_23onesweep_lookback_stateEbbT6_jjT7_P12ihipStream_tbENKUlT_T0_SK_SP_E_clISE_SE_SF_SF_EEDaS13_S14_SK_SP_EUlS13_E_NS1_11comp_targetILNS1_3genE4ELNS1_11target_archE910ELNS1_3gpuE8ELNS1_3repE0EEENS1_47radix_sort_onesweep_sort_config_static_selectorELNS0_4arch9wavefront6targetE1EEEvSK_,comdat
.Lfunc_end1546:
	.size	_ZN7rocprim17ROCPRIM_400000_NS6detail17trampoline_kernelINS0_14default_configENS1_35radix_sort_onesweep_config_selectorIxNS0_10empty_typeEEEZZNS1_29radix_sort_onesweep_iterationIS3_Lb0EN6thrust23THRUST_200600_302600_NS6detail15normal_iteratorINS9_10device_ptrIxEEEESE_PS5_SF_jNS0_19identity_decomposerENS1_16block_id_wrapperIjLb1EEEEE10hipError_tT1_PNSt15iterator_traitsISK_E10value_typeET2_T3_PNSL_ISQ_E10value_typeET4_T5_PSV_SW_PNS1_23onesweep_lookback_stateEbbT6_jjT7_P12ihipStream_tbENKUlT_T0_SK_SP_E_clISE_SE_SF_SF_EEDaS13_S14_SK_SP_EUlS13_E_NS1_11comp_targetILNS1_3genE4ELNS1_11target_archE910ELNS1_3gpuE8ELNS1_3repE0EEENS1_47radix_sort_onesweep_sort_config_static_selectorELNS0_4arch9wavefront6targetE1EEEvSK_, .Lfunc_end1546-_ZN7rocprim17ROCPRIM_400000_NS6detail17trampoline_kernelINS0_14default_configENS1_35radix_sort_onesweep_config_selectorIxNS0_10empty_typeEEEZZNS1_29radix_sort_onesweep_iterationIS3_Lb0EN6thrust23THRUST_200600_302600_NS6detail15normal_iteratorINS9_10device_ptrIxEEEESE_PS5_SF_jNS0_19identity_decomposerENS1_16block_id_wrapperIjLb1EEEEE10hipError_tT1_PNSt15iterator_traitsISK_E10value_typeET2_T3_PNSL_ISQ_E10value_typeET4_T5_PSV_SW_PNS1_23onesweep_lookback_stateEbbT6_jjT7_P12ihipStream_tbENKUlT_T0_SK_SP_E_clISE_SE_SF_SF_EEDaS13_S14_SK_SP_EUlS13_E_NS1_11comp_targetILNS1_3genE4ELNS1_11target_archE910ELNS1_3gpuE8ELNS1_3repE0EEENS1_47radix_sort_onesweep_sort_config_static_selectorELNS0_4arch9wavefront6targetE1EEEvSK_
                                        ; -- End function
	.section	.AMDGPU.csdata,"",@progbits
; Kernel info:
; codeLenInByte = 0
; NumSgprs: 6
; NumVgprs: 0
; NumAgprs: 0
; TotalNumVgprs: 0
; ScratchSize: 0
; MemoryBound: 0
; FloatMode: 240
; IeeeMode: 1
; LDSByteSize: 0 bytes/workgroup (compile time only)
; SGPRBlocks: 0
; VGPRBlocks: 0
; NumSGPRsForWavesPerEU: 6
; NumVGPRsForWavesPerEU: 1
; AccumOffset: 4
; Occupancy: 8
; WaveLimiterHint : 0
; COMPUTE_PGM_RSRC2:SCRATCH_EN: 0
; COMPUTE_PGM_RSRC2:USER_SGPR: 2
; COMPUTE_PGM_RSRC2:TRAP_HANDLER: 0
; COMPUTE_PGM_RSRC2:TGID_X_EN: 1
; COMPUTE_PGM_RSRC2:TGID_Y_EN: 0
; COMPUTE_PGM_RSRC2:TGID_Z_EN: 0
; COMPUTE_PGM_RSRC2:TIDIG_COMP_CNT: 0
; COMPUTE_PGM_RSRC3_GFX90A:ACCUM_OFFSET: 0
; COMPUTE_PGM_RSRC3_GFX90A:TG_SPLIT: 0
	.section	.text._ZN7rocprim17ROCPRIM_400000_NS6detail17trampoline_kernelINS0_14default_configENS1_35radix_sort_onesweep_config_selectorIxNS0_10empty_typeEEEZZNS1_29radix_sort_onesweep_iterationIS3_Lb0EN6thrust23THRUST_200600_302600_NS6detail15normal_iteratorINS9_10device_ptrIxEEEESE_PS5_SF_jNS0_19identity_decomposerENS1_16block_id_wrapperIjLb1EEEEE10hipError_tT1_PNSt15iterator_traitsISK_E10value_typeET2_T3_PNSL_ISQ_E10value_typeET4_T5_PSV_SW_PNS1_23onesweep_lookback_stateEbbT6_jjT7_P12ihipStream_tbENKUlT_T0_SK_SP_E_clISE_SE_SF_SF_EEDaS13_S14_SK_SP_EUlS13_E_NS1_11comp_targetILNS1_3genE3ELNS1_11target_archE908ELNS1_3gpuE7ELNS1_3repE0EEENS1_47radix_sort_onesweep_sort_config_static_selectorELNS0_4arch9wavefront6targetE1EEEvSK_,"axG",@progbits,_ZN7rocprim17ROCPRIM_400000_NS6detail17trampoline_kernelINS0_14default_configENS1_35radix_sort_onesweep_config_selectorIxNS0_10empty_typeEEEZZNS1_29radix_sort_onesweep_iterationIS3_Lb0EN6thrust23THRUST_200600_302600_NS6detail15normal_iteratorINS9_10device_ptrIxEEEESE_PS5_SF_jNS0_19identity_decomposerENS1_16block_id_wrapperIjLb1EEEEE10hipError_tT1_PNSt15iterator_traitsISK_E10value_typeET2_T3_PNSL_ISQ_E10value_typeET4_T5_PSV_SW_PNS1_23onesweep_lookback_stateEbbT6_jjT7_P12ihipStream_tbENKUlT_T0_SK_SP_E_clISE_SE_SF_SF_EEDaS13_S14_SK_SP_EUlS13_E_NS1_11comp_targetILNS1_3genE3ELNS1_11target_archE908ELNS1_3gpuE7ELNS1_3repE0EEENS1_47radix_sort_onesweep_sort_config_static_selectorELNS0_4arch9wavefront6targetE1EEEvSK_,comdat
	.protected	_ZN7rocprim17ROCPRIM_400000_NS6detail17trampoline_kernelINS0_14default_configENS1_35radix_sort_onesweep_config_selectorIxNS0_10empty_typeEEEZZNS1_29radix_sort_onesweep_iterationIS3_Lb0EN6thrust23THRUST_200600_302600_NS6detail15normal_iteratorINS9_10device_ptrIxEEEESE_PS5_SF_jNS0_19identity_decomposerENS1_16block_id_wrapperIjLb1EEEEE10hipError_tT1_PNSt15iterator_traitsISK_E10value_typeET2_T3_PNSL_ISQ_E10value_typeET4_T5_PSV_SW_PNS1_23onesweep_lookback_stateEbbT6_jjT7_P12ihipStream_tbENKUlT_T0_SK_SP_E_clISE_SE_SF_SF_EEDaS13_S14_SK_SP_EUlS13_E_NS1_11comp_targetILNS1_3genE3ELNS1_11target_archE908ELNS1_3gpuE7ELNS1_3repE0EEENS1_47radix_sort_onesweep_sort_config_static_selectorELNS0_4arch9wavefront6targetE1EEEvSK_ ; -- Begin function _ZN7rocprim17ROCPRIM_400000_NS6detail17trampoline_kernelINS0_14default_configENS1_35radix_sort_onesweep_config_selectorIxNS0_10empty_typeEEEZZNS1_29radix_sort_onesweep_iterationIS3_Lb0EN6thrust23THRUST_200600_302600_NS6detail15normal_iteratorINS9_10device_ptrIxEEEESE_PS5_SF_jNS0_19identity_decomposerENS1_16block_id_wrapperIjLb1EEEEE10hipError_tT1_PNSt15iterator_traitsISK_E10value_typeET2_T3_PNSL_ISQ_E10value_typeET4_T5_PSV_SW_PNS1_23onesweep_lookback_stateEbbT6_jjT7_P12ihipStream_tbENKUlT_T0_SK_SP_E_clISE_SE_SF_SF_EEDaS13_S14_SK_SP_EUlS13_E_NS1_11comp_targetILNS1_3genE3ELNS1_11target_archE908ELNS1_3gpuE7ELNS1_3repE0EEENS1_47radix_sort_onesweep_sort_config_static_selectorELNS0_4arch9wavefront6targetE1EEEvSK_
	.globl	_ZN7rocprim17ROCPRIM_400000_NS6detail17trampoline_kernelINS0_14default_configENS1_35radix_sort_onesweep_config_selectorIxNS0_10empty_typeEEEZZNS1_29radix_sort_onesweep_iterationIS3_Lb0EN6thrust23THRUST_200600_302600_NS6detail15normal_iteratorINS9_10device_ptrIxEEEESE_PS5_SF_jNS0_19identity_decomposerENS1_16block_id_wrapperIjLb1EEEEE10hipError_tT1_PNSt15iterator_traitsISK_E10value_typeET2_T3_PNSL_ISQ_E10value_typeET4_T5_PSV_SW_PNS1_23onesweep_lookback_stateEbbT6_jjT7_P12ihipStream_tbENKUlT_T0_SK_SP_E_clISE_SE_SF_SF_EEDaS13_S14_SK_SP_EUlS13_E_NS1_11comp_targetILNS1_3genE3ELNS1_11target_archE908ELNS1_3gpuE7ELNS1_3repE0EEENS1_47radix_sort_onesweep_sort_config_static_selectorELNS0_4arch9wavefront6targetE1EEEvSK_
	.p2align	8
	.type	_ZN7rocprim17ROCPRIM_400000_NS6detail17trampoline_kernelINS0_14default_configENS1_35radix_sort_onesweep_config_selectorIxNS0_10empty_typeEEEZZNS1_29radix_sort_onesweep_iterationIS3_Lb0EN6thrust23THRUST_200600_302600_NS6detail15normal_iteratorINS9_10device_ptrIxEEEESE_PS5_SF_jNS0_19identity_decomposerENS1_16block_id_wrapperIjLb1EEEEE10hipError_tT1_PNSt15iterator_traitsISK_E10value_typeET2_T3_PNSL_ISQ_E10value_typeET4_T5_PSV_SW_PNS1_23onesweep_lookback_stateEbbT6_jjT7_P12ihipStream_tbENKUlT_T0_SK_SP_E_clISE_SE_SF_SF_EEDaS13_S14_SK_SP_EUlS13_E_NS1_11comp_targetILNS1_3genE3ELNS1_11target_archE908ELNS1_3gpuE7ELNS1_3repE0EEENS1_47radix_sort_onesweep_sort_config_static_selectorELNS0_4arch9wavefront6targetE1EEEvSK_,@function
_ZN7rocprim17ROCPRIM_400000_NS6detail17trampoline_kernelINS0_14default_configENS1_35radix_sort_onesweep_config_selectorIxNS0_10empty_typeEEEZZNS1_29radix_sort_onesweep_iterationIS3_Lb0EN6thrust23THRUST_200600_302600_NS6detail15normal_iteratorINS9_10device_ptrIxEEEESE_PS5_SF_jNS0_19identity_decomposerENS1_16block_id_wrapperIjLb1EEEEE10hipError_tT1_PNSt15iterator_traitsISK_E10value_typeET2_T3_PNSL_ISQ_E10value_typeET4_T5_PSV_SW_PNS1_23onesweep_lookback_stateEbbT6_jjT7_P12ihipStream_tbENKUlT_T0_SK_SP_E_clISE_SE_SF_SF_EEDaS13_S14_SK_SP_EUlS13_E_NS1_11comp_targetILNS1_3genE3ELNS1_11target_archE908ELNS1_3gpuE7ELNS1_3repE0EEENS1_47radix_sort_onesweep_sort_config_static_selectorELNS0_4arch9wavefront6targetE1EEEvSK_: ; @_ZN7rocprim17ROCPRIM_400000_NS6detail17trampoline_kernelINS0_14default_configENS1_35radix_sort_onesweep_config_selectorIxNS0_10empty_typeEEEZZNS1_29radix_sort_onesweep_iterationIS3_Lb0EN6thrust23THRUST_200600_302600_NS6detail15normal_iteratorINS9_10device_ptrIxEEEESE_PS5_SF_jNS0_19identity_decomposerENS1_16block_id_wrapperIjLb1EEEEE10hipError_tT1_PNSt15iterator_traitsISK_E10value_typeET2_T3_PNSL_ISQ_E10value_typeET4_T5_PSV_SW_PNS1_23onesweep_lookback_stateEbbT6_jjT7_P12ihipStream_tbENKUlT_T0_SK_SP_E_clISE_SE_SF_SF_EEDaS13_S14_SK_SP_EUlS13_E_NS1_11comp_targetILNS1_3genE3ELNS1_11target_archE908ELNS1_3gpuE7ELNS1_3repE0EEENS1_47radix_sort_onesweep_sort_config_static_selectorELNS0_4arch9wavefront6targetE1EEEvSK_
; %bb.0:
	.section	.rodata,"a",@progbits
	.p2align	6, 0x0
	.amdhsa_kernel _ZN7rocprim17ROCPRIM_400000_NS6detail17trampoline_kernelINS0_14default_configENS1_35radix_sort_onesweep_config_selectorIxNS0_10empty_typeEEEZZNS1_29radix_sort_onesweep_iterationIS3_Lb0EN6thrust23THRUST_200600_302600_NS6detail15normal_iteratorINS9_10device_ptrIxEEEESE_PS5_SF_jNS0_19identity_decomposerENS1_16block_id_wrapperIjLb1EEEEE10hipError_tT1_PNSt15iterator_traitsISK_E10value_typeET2_T3_PNSL_ISQ_E10value_typeET4_T5_PSV_SW_PNS1_23onesweep_lookback_stateEbbT6_jjT7_P12ihipStream_tbENKUlT_T0_SK_SP_E_clISE_SE_SF_SF_EEDaS13_S14_SK_SP_EUlS13_E_NS1_11comp_targetILNS1_3genE3ELNS1_11target_archE908ELNS1_3gpuE7ELNS1_3repE0EEENS1_47radix_sort_onesweep_sort_config_static_selectorELNS0_4arch9wavefront6targetE1EEEvSK_
		.amdhsa_group_segment_fixed_size 0
		.amdhsa_private_segment_fixed_size 0
		.amdhsa_kernarg_size 88
		.amdhsa_user_sgpr_count 2
		.amdhsa_user_sgpr_dispatch_ptr 0
		.amdhsa_user_sgpr_queue_ptr 0
		.amdhsa_user_sgpr_kernarg_segment_ptr 1
		.amdhsa_user_sgpr_dispatch_id 0
		.amdhsa_user_sgpr_kernarg_preload_length 0
		.amdhsa_user_sgpr_kernarg_preload_offset 0
		.amdhsa_user_sgpr_private_segment_size 0
		.amdhsa_uses_dynamic_stack 0
		.amdhsa_enable_private_segment 0
		.amdhsa_system_sgpr_workgroup_id_x 1
		.amdhsa_system_sgpr_workgroup_id_y 0
		.amdhsa_system_sgpr_workgroup_id_z 0
		.amdhsa_system_sgpr_workgroup_info 0
		.amdhsa_system_vgpr_workitem_id 0
		.amdhsa_next_free_vgpr 1
		.amdhsa_next_free_sgpr 0
		.amdhsa_accum_offset 4
		.amdhsa_reserve_vcc 0
		.amdhsa_float_round_mode_32 0
		.amdhsa_float_round_mode_16_64 0
		.amdhsa_float_denorm_mode_32 3
		.amdhsa_float_denorm_mode_16_64 3
		.amdhsa_dx10_clamp 1
		.amdhsa_ieee_mode 1
		.amdhsa_fp16_overflow 0
		.amdhsa_tg_split 0
		.amdhsa_exception_fp_ieee_invalid_op 0
		.amdhsa_exception_fp_denorm_src 0
		.amdhsa_exception_fp_ieee_div_zero 0
		.amdhsa_exception_fp_ieee_overflow 0
		.amdhsa_exception_fp_ieee_underflow 0
		.amdhsa_exception_fp_ieee_inexact 0
		.amdhsa_exception_int_div_zero 0
	.end_amdhsa_kernel
	.section	.text._ZN7rocprim17ROCPRIM_400000_NS6detail17trampoline_kernelINS0_14default_configENS1_35radix_sort_onesweep_config_selectorIxNS0_10empty_typeEEEZZNS1_29radix_sort_onesweep_iterationIS3_Lb0EN6thrust23THRUST_200600_302600_NS6detail15normal_iteratorINS9_10device_ptrIxEEEESE_PS5_SF_jNS0_19identity_decomposerENS1_16block_id_wrapperIjLb1EEEEE10hipError_tT1_PNSt15iterator_traitsISK_E10value_typeET2_T3_PNSL_ISQ_E10value_typeET4_T5_PSV_SW_PNS1_23onesweep_lookback_stateEbbT6_jjT7_P12ihipStream_tbENKUlT_T0_SK_SP_E_clISE_SE_SF_SF_EEDaS13_S14_SK_SP_EUlS13_E_NS1_11comp_targetILNS1_3genE3ELNS1_11target_archE908ELNS1_3gpuE7ELNS1_3repE0EEENS1_47radix_sort_onesweep_sort_config_static_selectorELNS0_4arch9wavefront6targetE1EEEvSK_,"axG",@progbits,_ZN7rocprim17ROCPRIM_400000_NS6detail17trampoline_kernelINS0_14default_configENS1_35radix_sort_onesweep_config_selectorIxNS0_10empty_typeEEEZZNS1_29radix_sort_onesweep_iterationIS3_Lb0EN6thrust23THRUST_200600_302600_NS6detail15normal_iteratorINS9_10device_ptrIxEEEESE_PS5_SF_jNS0_19identity_decomposerENS1_16block_id_wrapperIjLb1EEEEE10hipError_tT1_PNSt15iterator_traitsISK_E10value_typeET2_T3_PNSL_ISQ_E10value_typeET4_T5_PSV_SW_PNS1_23onesweep_lookback_stateEbbT6_jjT7_P12ihipStream_tbENKUlT_T0_SK_SP_E_clISE_SE_SF_SF_EEDaS13_S14_SK_SP_EUlS13_E_NS1_11comp_targetILNS1_3genE3ELNS1_11target_archE908ELNS1_3gpuE7ELNS1_3repE0EEENS1_47radix_sort_onesweep_sort_config_static_selectorELNS0_4arch9wavefront6targetE1EEEvSK_,comdat
.Lfunc_end1547:
	.size	_ZN7rocprim17ROCPRIM_400000_NS6detail17trampoline_kernelINS0_14default_configENS1_35radix_sort_onesweep_config_selectorIxNS0_10empty_typeEEEZZNS1_29radix_sort_onesweep_iterationIS3_Lb0EN6thrust23THRUST_200600_302600_NS6detail15normal_iteratorINS9_10device_ptrIxEEEESE_PS5_SF_jNS0_19identity_decomposerENS1_16block_id_wrapperIjLb1EEEEE10hipError_tT1_PNSt15iterator_traitsISK_E10value_typeET2_T3_PNSL_ISQ_E10value_typeET4_T5_PSV_SW_PNS1_23onesweep_lookback_stateEbbT6_jjT7_P12ihipStream_tbENKUlT_T0_SK_SP_E_clISE_SE_SF_SF_EEDaS13_S14_SK_SP_EUlS13_E_NS1_11comp_targetILNS1_3genE3ELNS1_11target_archE908ELNS1_3gpuE7ELNS1_3repE0EEENS1_47radix_sort_onesweep_sort_config_static_selectorELNS0_4arch9wavefront6targetE1EEEvSK_, .Lfunc_end1547-_ZN7rocprim17ROCPRIM_400000_NS6detail17trampoline_kernelINS0_14default_configENS1_35radix_sort_onesweep_config_selectorIxNS0_10empty_typeEEEZZNS1_29radix_sort_onesweep_iterationIS3_Lb0EN6thrust23THRUST_200600_302600_NS6detail15normal_iteratorINS9_10device_ptrIxEEEESE_PS5_SF_jNS0_19identity_decomposerENS1_16block_id_wrapperIjLb1EEEEE10hipError_tT1_PNSt15iterator_traitsISK_E10value_typeET2_T3_PNSL_ISQ_E10value_typeET4_T5_PSV_SW_PNS1_23onesweep_lookback_stateEbbT6_jjT7_P12ihipStream_tbENKUlT_T0_SK_SP_E_clISE_SE_SF_SF_EEDaS13_S14_SK_SP_EUlS13_E_NS1_11comp_targetILNS1_3genE3ELNS1_11target_archE908ELNS1_3gpuE7ELNS1_3repE0EEENS1_47radix_sort_onesweep_sort_config_static_selectorELNS0_4arch9wavefront6targetE1EEEvSK_
                                        ; -- End function
	.section	.AMDGPU.csdata,"",@progbits
; Kernel info:
; codeLenInByte = 0
; NumSgprs: 6
; NumVgprs: 0
; NumAgprs: 0
; TotalNumVgprs: 0
; ScratchSize: 0
; MemoryBound: 0
; FloatMode: 240
; IeeeMode: 1
; LDSByteSize: 0 bytes/workgroup (compile time only)
; SGPRBlocks: 0
; VGPRBlocks: 0
; NumSGPRsForWavesPerEU: 6
; NumVGPRsForWavesPerEU: 1
; AccumOffset: 4
; Occupancy: 8
; WaveLimiterHint : 0
; COMPUTE_PGM_RSRC2:SCRATCH_EN: 0
; COMPUTE_PGM_RSRC2:USER_SGPR: 2
; COMPUTE_PGM_RSRC2:TRAP_HANDLER: 0
; COMPUTE_PGM_RSRC2:TGID_X_EN: 1
; COMPUTE_PGM_RSRC2:TGID_Y_EN: 0
; COMPUTE_PGM_RSRC2:TGID_Z_EN: 0
; COMPUTE_PGM_RSRC2:TIDIG_COMP_CNT: 0
; COMPUTE_PGM_RSRC3_GFX90A:ACCUM_OFFSET: 0
; COMPUTE_PGM_RSRC3_GFX90A:TG_SPLIT: 0
	.section	.text._ZN7rocprim17ROCPRIM_400000_NS6detail17trampoline_kernelINS0_14default_configENS1_35radix_sort_onesweep_config_selectorIxNS0_10empty_typeEEEZZNS1_29radix_sort_onesweep_iterationIS3_Lb0EN6thrust23THRUST_200600_302600_NS6detail15normal_iteratorINS9_10device_ptrIxEEEESE_PS5_SF_jNS0_19identity_decomposerENS1_16block_id_wrapperIjLb1EEEEE10hipError_tT1_PNSt15iterator_traitsISK_E10value_typeET2_T3_PNSL_ISQ_E10value_typeET4_T5_PSV_SW_PNS1_23onesweep_lookback_stateEbbT6_jjT7_P12ihipStream_tbENKUlT_T0_SK_SP_E_clISE_SE_SF_SF_EEDaS13_S14_SK_SP_EUlS13_E_NS1_11comp_targetILNS1_3genE10ELNS1_11target_archE1201ELNS1_3gpuE5ELNS1_3repE0EEENS1_47radix_sort_onesweep_sort_config_static_selectorELNS0_4arch9wavefront6targetE1EEEvSK_,"axG",@progbits,_ZN7rocprim17ROCPRIM_400000_NS6detail17trampoline_kernelINS0_14default_configENS1_35radix_sort_onesweep_config_selectorIxNS0_10empty_typeEEEZZNS1_29radix_sort_onesweep_iterationIS3_Lb0EN6thrust23THRUST_200600_302600_NS6detail15normal_iteratorINS9_10device_ptrIxEEEESE_PS5_SF_jNS0_19identity_decomposerENS1_16block_id_wrapperIjLb1EEEEE10hipError_tT1_PNSt15iterator_traitsISK_E10value_typeET2_T3_PNSL_ISQ_E10value_typeET4_T5_PSV_SW_PNS1_23onesweep_lookback_stateEbbT6_jjT7_P12ihipStream_tbENKUlT_T0_SK_SP_E_clISE_SE_SF_SF_EEDaS13_S14_SK_SP_EUlS13_E_NS1_11comp_targetILNS1_3genE10ELNS1_11target_archE1201ELNS1_3gpuE5ELNS1_3repE0EEENS1_47radix_sort_onesweep_sort_config_static_selectorELNS0_4arch9wavefront6targetE1EEEvSK_,comdat
	.protected	_ZN7rocprim17ROCPRIM_400000_NS6detail17trampoline_kernelINS0_14default_configENS1_35radix_sort_onesweep_config_selectorIxNS0_10empty_typeEEEZZNS1_29radix_sort_onesweep_iterationIS3_Lb0EN6thrust23THRUST_200600_302600_NS6detail15normal_iteratorINS9_10device_ptrIxEEEESE_PS5_SF_jNS0_19identity_decomposerENS1_16block_id_wrapperIjLb1EEEEE10hipError_tT1_PNSt15iterator_traitsISK_E10value_typeET2_T3_PNSL_ISQ_E10value_typeET4_T5_PSV_SW_PNS1_23onesweep_lookback_stateEbbT6_jjT7_P12ihipStream_tbENKUlT_T0_SK_SP_E_clISE_SE_SF_SF_EEDaS13_S14_SK_SP_EUlS13_E_NS1_11comp_targetILNS1_3genE10ELNS1_11target_archE1201ELNS1_3gpuE5ELNS1_3repE0EEENS1_47radix_sort_onesweep_sort_config_static_selectorELNS0_4arch9wavefront6targetE1EEEvSK_ ; -- Begin function _ZN7rocprim17ROCPRIM_400000_NS6detail17trampoline_kernelINS0_14default_configENS1_35radix_sort_onesweep_config_selectorIxNS0_10empty_typeEEEZZNS1_29radix_sort_onesweep_iterationIS3_Lb0EN6thrust23THRUST_200600_302600_NS6detail15normal_iteratorINS9_10device_ptrIxEEEESE_PS5_SF_jNS0_19identity_decomposerENS1_16block_id_wrapperIjLb1EEEEE10hipError_tT1_PNSt15iterator_traitsISK_E10value_typeET2_T3_PNSL_ISQ_E10value_typeET4_T5_PSV_SW_PNS1_23onesweep_lookback_stateEbbT6_jjT7_P12ihipStream_tbENKUlT_T0_SK_SP_E_clISE_SE_SF_SF_EEDaS13_S14_SK_SP_EUlS13_E_NS1_11comp_targetILNS1_3genE10ELNS1_11target_archE1201ELNS1_3gpuE5ELNS1_3repE0EEENS1_47radix_sort_onesweep_sort_config_static_selectorELNS0_4arch9wavefront6targetE1EEEvSK_
	.globl	_ZN7rocprim17ROCPRIM_400000_NS6detail17trampoline_kernelINS0_14default_configENS1_35radix_sort_onesweep_config_selectorIxNS0_10empty_typeEEEZZNS1_29radix_sort_onesweep_iterationIS3_Lb0EN6thrust23THRUST_200600_302600_NS6detail15normal_iteratorINS9_10device_ptrIxEEEESE_PS5_SF_jNS0_19identity_decomposerENS1_16block_id_wrapperIjLb1EEEEE10hipError_tT1_PNSt15iterator_traitsISK_E10value_typeET2_T3_PNSL_ISQ_E10value_typeET4_T5_PSV_SW_PNS1_23onesweep_lookback_stateEbbT6_jjT7_P12ihipStream_tbENKUlT_T0_SK_SP_E_clISE_SE_SF_SF_EEDaS13_S14_SK_SP_EUlS13_E_NS1_11comp_targetILNS1_3genE10ELNS1_11target_archE1201ELNS1_3gpuE5ELNS1_3repE0EEENS1_47radix_sort_onesweep_sort_config_static_selectorELNS0_4arch9wavefront6targetE1EEEvSK_
	.p2align	8
	.type	_ZN7rocprim17ROCPRIM_400000_NS6detail17trampoline_kernelINS0_14default_configENS1_35radix_sort_onesweep_config_selectorIxNS0_10empty_typeEEEZZNS1_29radix_sort_onesweep_iterationIS3_Lb0EN6thrust23THRUST_200600_302600_NS6detail15normal_iteratorINS9_10device_ptrIxEEEESE_PS5_SF_jNS0_19identity_decomposerENS1_16block_id_wrapperIjLb1EEEEE10hipError_tT1_PNSt15iterator_traitsISK_E10value_typeET2_T3_PNSL_ISQ_E10value_typeET4_T5_PSV_SW_PNS1_23onesweep_lookback_stateEbbT6_jjT7_P12ihipStream_tbENKUlT_T0_SK_SP_E_clISE_SE_SF_SF_EEDaS13_S14_SK_SP_EUlS13_E_NS1_11comp_targetILNS1_3genE10ELNS1_11target_archE1201ELNS1_3gpuE5ELNS1_3repE0EEENS1_47radix_sort_onesweep_sort_config_static_selectorELNS0_4arch9wavefront6targetE1EEEvSK_,@function
_ZN7rocprim17ROCPRIM_400000_NS6detail17trampoline_kernelINS0_14default_configENS1_35radix_sort_onesweep_config_selectorIxNS0_10empty_typeEEEZZNS1_29radix_sort_onesweep_iterationIS3_Lb0EN6thrust23THRUST_200600_302600_NS6detail15normal_iteratorINS9_10device_ptrIxEEEESE_PS5_SF_jNS0_19identity_decomposerENS1_16block_id_wrapperIjLb1EEEEE10hipError_tT1_PNSt15iterator_traitsISK_E10value_typeET2_T3_PNSL_ISQ_E10value_typeET4_T5_PSV_SW_PNS1_23onesweep_lookback_stateEbbT6_jjT7_P12ihipStream_tbENKUlT_T0_SK_SP_E_clISE_SE_SF_SF_EEDaS13_S14_SK_SP_EUlS13_E_NS1_11comp_targetILNS1_3genE10ELNS1_11target_archE1201ELNS1_3gpuE5ELNS1_3repE0EEENS1_47radix_sort_onesweep_sort_config_static_selectorELNS0_4arch9wavefront6targetE1EEEvSK_: ; @_ZN7rocprim17ROCPRIM_400000_NS6detail17trampoline_kernelINS0_14default_configENS1_35radix_sort_onesweep_config_selectorIxNS0_10empty_typeEEEZZNS1_29radix_sort_onesweep_iterationIS3_Lb0EN6thrust23THRUST_200600_302600_NS6detail15normal_iteratorINS9_10device_ptrIxEEEESE_PS5_SF_jNS0_19identity_decomposerENS1_16block_id_wrapperIjLb1EEEEE10hipError_tT1_PNSt15iterator_traitsISK_E10value_typeET2_T3_PNSL_ISQ_E10value_typeET4_T5_PSV_SW_PNS1_23onesweep_lookback_stateEbbT6_jjT7_P12ihipStream_tbENKUlT_T0_SK_SP_E_clISE_SE_SF_SF_EEDaS13_S14_SK_SP_EUlS13_E_NS1_11comp_targetILNS1_3genE10ELNS1_11target_archE1201ELNS1_3gpuE5ELNS1_3repE0EEENS1_47radix_sort_onesweep_sort_config_static_selectorELNS0_4arch9wavefront6targetE1EEEvSK_
; %bb.0:
	.section	.rodata,"a",@progbits
	.p2align	6, 0x0
	.amdhsa_kernel _ZN7rocprim17ROCPRIM_400000_NS6detail17trampoline_kernelINS0_14default_configENS1_35radix_sort_onesweep_config_selectorIxNS0_10empty_typeEEEZZNS1_29radix_sort_onesweep_iterationIS3_Lb0EN6thrust23THRUST_200600_302600_NS6detail15normal_iteratorINS9_10device_ptrIxEEEESE_PS5_SF_jNS0_19identity_decomposerENS1_16block_id_wrapperIjLb1EEEEE10hipError_tT1_PNSt15iterator_traitsISK_E10value_typeET2_T3_PNSL_ISQ_E10value_typeET4_T5_PSV_SW_PNS1_23onesweep_lookback_stateEbbT6_jjT7_P12ihipStream_tbENKUlT_T0_SK_SP_E_clISE_SE_SF_SF_EEDaS13_S14_SK_SP_EUlS13_E_NS1_11comp_targetILNS1_3genE10ELNS1_11target_archE1201ELNS1_3gpuE5ELNS1_3repE0EEENS1_47radix_sort_onesweep_sort_config_static_selectorELNS0_4arch9wavefront6targetE1EEEvSK_
		.amdhsa_group_segment_fixed_size 0
		.amdhsa_private_segment_fixed_size 0
		.amdhsa_kernarg_size 88
		.amdhsa_user_sgpr_count 2
		.amdhsa_user_sgpr_dispatch_ptr 0
		.amdhsa_user_sgpr_queue_ptr 0
		.amdhsa_user_sgpr_kernarg_segment_ptr 1
		.amdhsa_user_sgpr_dispatch_id 0
		.amdhsa_user_sgpr_kernarg_preload_length 0
		.amdhsa_user_sgpr_kernarg_preload_offset 0
		.amdhsa_user_sgpr_private_segment_size 0
		.amdhsa_uses_dynamic_stack 0
		.amdhsa_enable_private_segment 0
		.amdhsa_system_sgpr_workgroup_id_x 1
		.amdhsa_system_sgpr_workgroup_id_y 0
		.amdhsa_system_sgpr_workgroup_id_z 0
		.amdhsa_system_sgpr_workgroup_info 0
		.amdhsa_system_vgpr_workitem_id 0
		.amdhsa_next_free_vgpr 1
		.amdhsa_next_free_sgpr 0
		.amdhsa_accum_offset 4
		.amdhsa_reserve_vcc 0
		.amdhsa_float_round_mode_32 0
		.amdhsa_float_round_mode_16_64 0
		.amdhsa_float_denorm_mode_32 3
		.amdhsa_float_denorm_mode_16_64 3
		.amdhsa_dx10_clamp 1
		.amdhsa_ieee_mode 1
		.amdhsa_fp16_overflow 0
		.amdhsa_tg_split 0
		.amdhsa_exception_fp_ieee_invalid_op 0
		.amdhsa_exception_fp_denorm_src 0
		.amdhsa_exception_fp_ieee_div_zero 0
		.amdhsa_exception_fp_ieee_overflow 0
		.amdhsa_exception_fp_ieee_underflow 0
		.amdhsa_exception_fp_ieee_inexact 0
		.amdhsa_exception_int_div_zero 0
	.end_amdhsa_kernel
	.section	.text._ZN7rocprim17ROCPRIM_400000_NS6detail17trampoline_kernelINS0_14default_configENS1_35radix_sort_onesweep_config_selectorIxNS0_10empty_typeEEEZZNS1_29radix_sort_onesweep_iterationIS3_Lb0EN6thrust23THRUST_200600_302600_NS6detail15normal_iteratorINS9_10device_ptrIxEEEESE_PS5_SF_jNS0_19identity_decomposerENS1_16block_id_wrapperIjLb1EEEEE10hipError_tT1_PNSt15iterator_traitsISK_E10value_typeET2_T3_PNSL_ISQ_E10value_typeET4_T5_PSV_SW_PNS1_23onesweep_lookback_stateEbbT6_jjT7_P12ihipStream_tbENKUlT_T0_SK_SP_E_clISE_SE_SF_SF_EEDaS13_S14_SK_SP_EUlS13_E_NS1_11comp_targetILNS1_3genE10ELNS1_11target_archE1201ELNS1_3gpuE5ELNS1_3repE0EEENS1_47radix_sort_onesweep_sort_config_static_selectorELNS0_4arch9wavefront6targetE1EEEvSK_,"axG",@progbits,_ZN7rocprim17ROCPRIM_400000_NS6detail17trampoline_kernelINS0_14default_configENS1_35radix_sort_onesweep_config_selectorIxNS0_10empty_typeEEEZZNS1_29radix_sort_onesweep_iterationIS3_Lb0EN6thrust23THRUST_200600_302600_NS6detail15normal_iteratorINS9_10device_ptrIxEEEESE_PS5_SF_jNS0_19identity_decomposerENS1_16block_id_wrapperIjLb1EEEEE10hipError_tT1_PNSt15iterator_traitsISK_E10value_typeET2_T3_PNSL_ISQ_E10value_typeET4_T5_PSV_SW_PNS1_23onesweep_lookback_stateEbbT6_jjT7_P12ihipStream_tbENKUlT_T0_SK_SP_E_clISE_SE_SF_SF_EEDaS13_S14_SK_SP_EUlS13_E_NS1_11comp_targetILNS1_3genE10ELNS1_11target_archE1201ELNS1_3gpuE5ELNS1_3repE0EEENS1_47radix_sort_onesweep_sort_config_static_selectorELNS0_4arch9wavefront6targetE1EEEvSK_,comdat
.Lfunc_end1548:
	.size	_ZN7rocprim17ROCPRIM_400000_NS6detail17trampoline_kernelINS0_14default_configENS1_35radix_sort_onesweep_config_selectorIxNS0_10empty_typeEEEZZNS1_29radix_sort_onesweep_iterationIS3_Lb0EN6thrust23THRUST_200600_302600_NS6detail15normal_iteratorINS9_10device_ptrIxEEEESE_PS5_SF_jNS0_19identity_decomposerENS1_16block_id_wrapperIjLb1EEEEE10hipError_tT1_PNSt15iterator_traitsISK_E10value_typeET2_T3_PNSL_ISQ_E10value_typeET4_T5_PSV_SW_PNS1_23onesweep_lookback_stateEbbT6_jjT7_P12ihipStream_tbENKUlT_T0_SK_SP_E_clISE_SE_SF_SF_EEDaS13_S14_SK_SP_EUlS13_E_NS1_11comp_targetILNS1_3genE10ELNS1_11target_archE1201ELNS1_3gpuE5ELNS1_3repE0EEENS1_47radix_sort_onesweep_sort_config_static_selectorELNS0_4arch9wavefront6targetE1EEEvSK_, .Lfunc_end1548-_ZN7rocprim17ROCPRIM_400000_NS6detail17trampoline_kernelINS0_14default_configENS1_35radix_sort_onesweep_config_selectorIxNS0_10empty_typeEEEZZNS1_29radix_sort_onesweep_iterationIS3_Lb0EN6thrust23THRUST_200600_302600_NS6detail15normal_iteratorINS9_10device_ptrIxEEEESE_PS5_SF_jNS0_19identity_decomposerENS1_16block_id_wrapperIjLb1EEEEE10hipError_tT1_PNSt15iterator_traitsISK_E10value_typeET2_T3_PNSL_ISQ_E10value_typeET4_T5_PSV_SW_PNS1_23onesweep_lookback_stateEbbT6_jjT7_P12ihipStream_tbENKUlT_T0_SK_SP_E_clISE_SE_SF_SF_EEDaS13_S14_SK_SP_EUlS13_E_NS1_11comp_targetILNS1_3genE10ELNS1_11target_archE1201ELNS1_3gpuE5ELNS1_3repE0EEENS1_47radix_sort_onesweep_sort_config_static_selectorELNS0_4arch9wavefront6targetE1EEEvSK_
                                        ; -- End function
	.section	.AMDGPU.csdata,"",@progbits
; Kernel info:
; codeLenInByte = 0
; NumSgprs: 6
; NumVgprs: 0
; NumAgprs: 0
; TotalNumVgprs: 0
; ScratchSize: 0
; MemoryBound: 0
; FloatMode: 240
; IeeeMode: 1
; LDSByteSize: 0 bytes/workgroup (compile time only)
; SGPRBlocks: 0
; VGPRBlocks: 0
; NumSGPRsForWavesPerEU: 6
; NumVGPRsForWavesPerEU: 1
; AccumOffset: 4
; Occupancy: 8
; WaveLimiterHint : 0
; COMPUTE_PGM_RSRC2:SCRATCH_EN: 0
; COMPUTE_PGM_RSRC2:USER_SGPR: 2
; COMPUTE_PGM_RSRC2:TRAP_HANDLER: 0
; COMPUTE_PGM_RSRC2:TGID_X_EN: 1
; COMPUTE_PGM_RSRC2:TGID_Y_EN: 0
; COMPUTE_PGM_RSRC2:TGID_Z_EN: 0
; COMPUTE_PGM_RSRC2:TIDIG_COMP_CNT: 0
; COMPUTE_PGM_RSRC3_GFX90A:ACCUM_OFFSET: 0
; COMPUTE_PGM_RSRC3_GFX90A:TG_SPLIT: 0
	.section	.text._ZN7rocprim17ROCPRIM_400000_NS6detail17trampoline_kernelINS0_14default_configENS1_35radix_sort_onesweep_config_selectorIxNS0_10empty_typeEEEZZNS1_29radix_sort_onesweep_iterationIS3_Lb0EN6thrust23THRUST_200600_302600_NS6detail15normal_iteratorINS9_10device_ptrIxEEEESE_PS5_SF_jNS0_19identity_decomposerENS1_16block_id_wrapperIjLb1EEEEE10hipError_tT1_PNSt15iterator_traitsISK_E10value_typeET2_T3_PNSL_ISQ_E10value_typeET4_T5_PSV_SW_PNS1_23onesweep_lookback_stateEbbT6_jjT7_P12ihipStream_tbENKUlT_T0_SK_SP_E_clISE_SE_SF_SF_EEDaS13_S14_SK_SP_EUlS13_E_NS1_11comp_targetILNS1_3genE9ELNS1_11target_archE1100ELNS1_3gpuE3ELNS1_3repE0EEENS1_47radix_sort_onesweep_sort_config_static_selectorELNS0_4arch9wavefront6targetE1EEEvSK_,"axG",@progbits,_ZN7rocprim17ROCPRIM_400000_NS6detail17trampoline_kernelINS0_14default_configENS1_35radix_sort_onesweep_config_selectorIxNS0_10empty_typeEEEZZNS1_29radix_sort_onesweep_iterationIS3_Lb0EN6thrust23THRUST_200600_302600_NS6detail15normal_iteratorINS9_10device_ptrIxEEEESE_PS5_SF_jNS0_19identity_decomposerENS1_16block_id_wrapperIjLb1EEEEE10hipError_tT1_PNSt15iterator_traitsISK_E10value_typeET2_T3_PNSL_ISQ_E10value_typeET4_T5_PSV_SW_PNS1_23onesweep_lookback_stateEbbT6_jjT7_P12ihipStream_tbENKUlT_T0_SK_SP_E_clISE_SE_SF_SF_EEDaS13_S14_SK_SP_EUlS13_E_NS1_11comp_targetILNS1_3genE9ELNS1_11target_archE1100ELNS1_3gpuE3ELNS1_3repE0EEENS1_47radix_sort_onesweep_sort_config_static_selectorELNS0_4arch9wavefront6targetE1EEEvSK_,comdat
	.protected	_ZN7rocprim17ROCPRIM_400000_NS6detail17trampoline_kernelINS0_14default_configENS1_35radix_sort_onesweep_config_selectorIxNS0_10empty_typeEEEZZNS1_29radix_sort_onesweep_iterationIS3_Lb0EN6thrust23THRUST_200600_302600_NS6detail15normal_iteratorINS9_10device_ptrIxEEEESE_PS5_SF_jNS0_19identity_decomposerENS1_16block_id_wrapperIjLb1EEEEE10hipError_tT1_PNSt15iterator_traitsISK_E10value_typeET2_T3_PNSL_ISQ_E10value_typeET4_T5_PSV_SW_PNS1_23onesweep_lookback_stateEbbT6_jjT7_P12ihipStream_tbENKUlT_T0_SK_SP_E_clISE_SE_SF_SF_EEDaS13_S14_SK_SP_EUlS13_E_NS1_11comp_targetILNS1_3genE9ELNS1_11target_archE1100ELNS1_3gpuE3ELNS1_3repE0EEENS1_47radix_sort_onesweep_sort_config_static_selectorELNS0_4arch9wavefront6targetE1EEEvSK_ ; -- Begin function _ZN7rocprim17ROCPRIM_400000_NS6detail17trampoline_kernelINS0_14default_configENS1_35radix_sort_onesweep_config_selectorIxNS0_10empty_typeEEEZZNS1_29radix_sort_onesweep_iterationIS3_Lb0EN6thrust23THRUST_200600_302600_NS6detail15normal_iteratorINS9_10device_ptrIxEEEESE_PS5_SF_jNS0_19identity_decomposerENS1_16block_id_wrapperIjLb1EEEEE10hipError_tT1_PNSt15iterator_traitsISK_E10value_typeET2_T3_PNSL_ISQ_E10value_typeET4_T5_PSV_SW_PNS1_23onesweep_lookback_stateEbbT6_jjT7_P12ihipStream_tbENKUlT_T0_SK_SP_E_clISE_SE_SF_SF_EEDaS13_S14_SK_SP_EUlS13_E_NS1_11comp_targetILNS1_3genE9ELNS1_11target_archE1100ELNS1_3gpuE3ELNS1_3repE0EEENS1_47radix_sort_onesweep_sort_config_static_selectorELNS0_4arch9wavefront6targetE1EEEvSK_
	.globl	_ZN7rocprim17ROCPRIM_400000_NS6detail17trampoline_kernelINS0_14default_configENS1_35radix_sort_onesweep_config_selectorIxNS0_10empty_typeEEEZZNS1_29radix_sort_onesweep_iterationIS3_Lb0EN6thrust23THRUST_200600_302600_NS6detail15normal_iteratorINS9_10device_ptrIxEEEESE_PS5_SF_jNS0_19identity_decomposerENS1_16block_id_wrapperIjLb1EEEEE10hipError_tT1_PNSt15iterator_traitsISK_E10value_typeET2_T3_PNSL_ISQ_E10value_typeET4_T5_PSV_SW_PNS1_23onesweep_lookback_stateEbbT6_jjT7_P12ihipStream_tbENKUlT_T0_SK_SP_E_clISE_SE_SF_SF_EEDaS13_S14_SK_SP_EUlS13_E_NS1_11comp_targetILNS1_3genE9ELNS1_11target_archE1100ELNS1_3gpuE3ELNS1_3repE0EEENS1_47radix_sort_onesweep_sort_config_static_selectorELNS0_4arch9wavefront6targetE1EEEvSK_
	.p2align	8
	.type	_ZN7rocprim17ROCPRIM_400000_NS6detail17trampoline_kernelINS0_14default_configENS1_35radix_sort_onesweep_config_selectorIxNS0_10empty_typeEEEZZNS1_29radix_sort_onesweep_iterationIS3_Lb0EN6thrust23THRUST_200600_302600_NS6detail15normal_iteratorINS9_10device_ptrIxEEEESE_PS5_SF_jNS0_19identity_decomposerENS1_16block_id_wrapperIjLb1EEEEE10hipError_tT1_PNSt15iterator_traitsISK_E10value_typeET2_T3_PNSL_ISQ_E10value_typeET4_T5_PSV_SW_PNS1_23onesweep_lookback_stateEbbT6_jjT7_P12ihipStream_tbENKUlT_T0_SK_SP_E_clISE_SE_SF_SF_EEDaS13_S14_SK_SP_EUlS13_E_NS1_11comp_targetILNS1_3genE9ELNS1_11target_archE1100ELNS1_3gpuE3ELNS1_3repE0EEENS1_47radix_sort_onesweep_sort_config_static_selectorELNS0_4arch9wavefront6targetE1EEEvSK_,@function
_ZN7rocprim17ROCPRIM_400000_NS6detail17trampoline_kernelINS0_14default_configENS1_35radix_sort_onesweep_config_selectorIxNS0_10empty_typeEEEZZNS1_29radix_sort_onesweep_iterationIS3_Lb0EN6thrust23THRUST_200600_302600_NS6detail15normal_iteratorINS9_10device_ptrIxEEEESE_PS5_SF_jNS0_19identity_decomposerENS1_16block_id_wrapperIjLb1EEEEE10hipError_tT1_PNSt15iterator_traitsISK_E10value_typeET2_T3_PNSL_ISQ_E10value_typeET4_T5_PSV_SW_PNS1_23onesweep_lookback_stateEbbT6_jjT7_P12ihipStream_tbENKUlT_T0_SK_SP_E_clISE_SE_SF_SF_EEDaS13_S14_SK_SP_EUlS13_E_NS1_11comp_targetILNS1_3genE9ELNS1_11target_archE1100ELNS1_3gpuE3ELNS1_3repE0EEENS1_47radix_sort_onesweep_sort_config_static_selectorELNS0_4arch9wavefront6targetE1EEEvSK_: ; @_ZN7rocprim17ROCPRIM_400000_NS6detail17trampoline_kernelINS0_14default_configENS1_35radix_sort_onesweep_config_selectorIxNS0_10empty_typeEEEZZNS1_29radix_sort_onesweep_iterationIS3_Lb0EN6thrust23THRUST_200600_302600_NS6detail15normal_iteratorINS9_10device_ptrIxEEEESE_PS5_SF_jNS0_19identity_decomposerENS1_16block_id_wrapperIjLb1EEEEE10hipError_tT1_PNSt15iterator_traitsISK_E10value_typeET2_T3_PNSL_ISQ_E10value_typeET4_T5_PSV_SW_PNS1_23onesweep_lookback_stateEbbT6_jjT7_P12ihipStream_tbENKUlT_T0_SK_SP_E_clISE_SE_SF_SF_EEDaS13_S14_SK_SP_EUlS13_E_NS1_11comp_targetILNS1_3genE9ELNS1_11target_archE1100ELNS1_3gpuE3ELNS1_3repE0EEENS1_47radix_sort_onesweep_sort_config_static_selectorELNS0_4arch9wavefront6targetE1EEEvSK_
; %bb.0:
	.section	.rodata,"a",@progbits
	.p2align	6, 0x0
	.amdhsa_kernel _ZN7rocprim17ROCPRIM_400000_NS6detail17trampoline_kernelINS0_14default_configENS1_35radix_sort_onesweep_config_selectorIxNS0_10empty_typeEEEZZNS1_29radix_sort_onesweep_iterationIS3_Lb0EN6thrust23THRUST_200600_302600_NS6detail15normal_iteratorINS9_10device_ptrIxEEEESE_PS5_SF_jNS0_19identity_decomposerENS1_16block_id_wrapperIjLb1EEEEE10hipError_tT1_PNSt15iterator_traitsISK_E10value_typeET2_T3_PNSL_ISQ_E10value_typeET4_T5_PSV_SW_PNS1_23onesweep_lookback_stateEbbT6_jjT7_P12ihipStream_tbENKUlT_T0_SK_SP_E_clISE_SE_SF_SF_EEDaS13_S14_SK_SP_EUlS13_E_NS1_11comp_targetILNS1_3genE9ELNS1_11target_archE1100ELNS1_3gpuE3ELNS1_3repE0EEENS1_47radix_sort_onesweep_sort_config_static_selectorELNS0_4arch9wavefront6targetE1EEEvSK_
		.amdhsa_group_segment_fixed_size 0
		.amdhsa_private_segment_fixed_size 0
		.amdhsa_kernarg_size 88
		.amdhsa_user_sgpr_count 2
		.amdhsa_user_sgpr_dispatch_ptr 0
		.amdhsa_user_sgpr_queue_ptr 0
		.amdhsa_user_sgpr_kernarg_segment_ptr 1
		.amdhsa_user_sgpr_dispatch_id 0
		.amdhsa_user_sgpr_kernarg_preload_length 0
		.amdhsa_user_sgpr_kernarg_preload_offset 0
		.amdhsa_user_sgpr_private_segment_size 0
		.amdhsa_uses_dynamic_stack 0
		.amdhsa_enable_private_segment 0
		.amdhsa_system_sgpr_workgroup_id_x 1
		.amdhsa_system_sgpr_workgroup_id_y 0
		.amdhsa_system_sgpr_workgroup_id_z 0
		.amdhsa_system_sgpr_workgroup_info 0
		.amdhsa_system_vgpr_workitem_id 0
		.amdhsa_next_free_vgpr 1
		.amdhsa_next_free_sgpr 0
		.amdhsa_accum_offset 4
		.amdhsa_reserve_vcc 0
		.amdhsa_float_round_mode_32 0
		.amdhsa_float_round_mode_16_64 0
		.amdhsa_float_denorm_mode_32 3
		.amdhsa_float_denorm_mode_16_64 3
		.amdhsa_dx10_clamp 1
		.amdhsa_ieee_mode 1
		.amdhsa_fp16_overflow 0
		.amdhsa_tg_split 0
		.amdhsa_exception_fp_ieee_invalid_op 0
		.amdhsa_exception_fp_denorm_src 0
		.amdhsa_exception_fp_ieee_div_zero 0
		.amdhsa_exception_fp_ieee_overflow 0
		.amdhsa_exception_fp_ieee_underflow 0
		.amdhsa_exception_fp_ieee_inexact 0
		.amdhsa_exception_int_div_zero 0
	.end_amdhsa_kernel
	.section	.text._ZN7rocprim17ROCPRIM_400000_NS6detail17trampoline_kernelINS0_14default_configENS1_35radix_sort_onesweep_config_selectorIxNS0_10empty_typeEEEZZNS1_29radix_sort_onesweep_iterationIS3_Lb0EN6thrust23THRUST_200600_302600_NS6detail15normal_iteratorINS9_10device_ptrIxEEEESE_PS5_SF_jNS0_19identity_decomposerENS1_16block_id_wrapperIjLb1EEEEE10hipError_tT1_PNSt15iterator_traitsISK_E10value_typeET2_T3_PNSL_ISQ_E10value_typeET4_T5_PSV_SW_PNS1_23onesweep_lookback_stateEbbT6_jjT7_P12ihipStream_tbENKUlT_T0_SK_SP_E_clISE_SE_SF_SF_EEDaS13_S14_SK_SP_EUlS13_E_NS1_11comp_targetILNS1_3genE9ELNS1_11target_archE1100ELNS1_3gpuE3ELNS1_3repE0EEENS1_47radix_sort_onesweep_sort_config_static_selectorELNS0_4arch9wavefront6targetE1EEEvSK_,"axG",@progbits,_ZN7rocprim17ROCPRIM_400000_NS6detail17trampoline_kernelINS0_14default_configENS1_35radix_sort_onesweep_config_selectorIxNS0_10empty_typeEEEZZNS1_29radix_sort_onesweep_iterationIS3_Lb0EN6thrust23THRUST_200600_302600_NS6detail15normal_iteratorINS9_10device_ptrIxEEEESE_PS5_SF_jNS0_19identity_decomposerENS1_16block_id_wrapperIjLb1EEEEE10hipError_tT1_PNSt15iterator_traitsISK_E10value_typeET2_T3_PNSL_ISQ_E10value_typeET4_T5_PSV_SW_PNS1_23onesweep_lookback_stateEbbT6_jjT7_P12ihipStream_tbENKUlT_T0_SK_SP_E_clISE_SE_SF_SF_EEDaS13_S14_SK_SP_EUlS13_E_NS1_11comp_targetILNS1_3genE9ELNS1_11target_archE1100ELNS1_3gpuE3ELNS1_3repE0EEENS1_47radix_sort_onesweep_sort_config_static_selectorELNS0_4arch9wavefront6targetE1EEEvSK_,comdat
.Lfunc_end1549:
	.size	_ZN7rocprim17ROCPRIM_400000_NS6detail17trampoline_kernelINS0_14default_configENS1_35radix_sort_onesweep_config_selectorIxNS0_10empty_typeEEEZZNS1_29radix_sort_onesweep_iterationIS3_Lb0EN6thrust23THRUST_200600_302600_NS6detail15normal_iteratorINS9_10device_ptrIxEEEESE_PS5_SF_jNS0_19identity_decomposerENS1_16block_id_wrapperIjLb1EEEEE10hipError_tT1_PNSt15iterator_traitsISK_E10value_typeET2_T3_PNSL_ISQ_E10value_typeET4_T5_PSV_SW_PNS1_23onesweep_lookback_stateEbbT6_jjT7_P12ihipStream_tbENKUlT_T0_SK_SP_E_clISE_SE_SF_SF_EEDaS13_S14_SK_SP_EUlS13_E_NS1_11comp_targetILNS1_3genE9ELNS1_11target_archE1100ELNS1_3gpuE3ELNS1_3repE0EEENS1_47radix_sort_onesweep_sort_config_static_selectorELNS0_4arch9wavefront6targetE1EEEvSK_, .Lfunc_end1549-_ZN7rocprim17ROCPRIM_400000_NS6detail17trampoline_kernelINS0_14default_configENS1_35radix_sort_onesweep_config_selectorIxNS0_10empty_typeEEEZZNS1_29radix_sort_onesweep_iterationIS3_Lb0EN6thrust23THRUST_200600_302600_NS6detail15normal_iteratorINS9_10device_ptrIxEEEESE_PS5_SF_jNS0_19identity_decomposerENS1_16block_id_wrapperIjLb1EEEEE10hipError_tT1_PNSt15iterator_traitsISK_E10value_typeET2_T3_PNSL_ISQ_E10value_typeET4_T5_PSV_SW_PNS1_23onesweep_lookback_stateEbbT6_jjT7_P12ihipStream_tbENKUlT_T0_SK_SP_E_clISE_SE_SF_SF_EEDaS13_S14_SK_SP_EUlS13_E_NS1_11comp_targetILNS1_3genE9ELNS1_11target_archE1100ELNS1_3gpuE3ELNS1_3repE0EEENS1_47radix_sort_onesweep_sort_config_static_selectorELNS0_4arch9wavefront6targetE1EEEvSK_
                                        ; -- End function
	.section	.AMDGPU.csdata,"",@progbits
; Kernel info:
; codeLenInByte = 0
; NumSgprs: 6
; NumVgprs: 0
; NumAgprs: 0
; TotalNumVgprs: 0
; ScratchSize: 0
; MemoryBound: 0
; FloatMode: 240
; IeeeMode: 1
; LDSByteSize: 0 bytes/workgroup (compile time only)
; SGPRBlocks: 0
; VGPRBlocks: 0
; NumSGPRsForWavesPerEU: 6
; NumVGPRsForWavesPerEU: 1
; AccumOffset: 4
; Occupancy: 8
; WaveLimiterHint : 0
; COMPUTE_PGM_RSRC2:SCRATCH_EN: 0
; COMPUTE_PGM_RSRC2:USER_SGPR: 2
; COMPUTE_PGM_RSRC2:TRAP_HANDLER: 0
; COMPUTE_PGM_RSRC2:TGID_X_EN: 1
; COMPUTE_PGM_RSRC2:TGID_Y_EN: 0
; COMPUTE_PGM_RSRC2:TGID_Z_EN: 0
; COMPUTE_PGM_RSRC2:TIDIG_COMP_CNT: 0
; COMPUTE_PGM_RSRC3_GFX90A:ACCUM_OFFSET: 0
; COMPUTE_PGM_RSRC3_GFX90A:TG_SPLIT: 0
	.section	.text._ZN7rocprim17ROCPRIM_400000_NS6detail17trampoline_kernelINS0_14default_configENS1_35radix_sort_onesweep_config_selectorIxNS0_10empty_typeEEEZZNS1_29radix_sort_onesweep_iterationIS3_Lb0EN6thrust23THRUST_200600_302600_NS6detail15normal_iteratorINS9_10device_ptrIxEEEESE_PS5_SF_jNS0_19identity_decomposerENS1_16block_id_wrapperIjLb1EEEEE10hipError_tT1_PNSt15iterator_traitsISK_E10value_typeET2_T3_PNSL_ISQ_E10value_typeET4_T5_PSV_SW_PNS1_23onesweep_lookback_stateEbbT6_jjT7_P12ihipStream_tbENKUlT_T0_SK_SP_E_clISE_SE_SF_SF_EEDaS13_S14_SK_SP_EUlS13_E_NS1_11comp_targetILNS1_3genE8ELNS1_11target_archE1030ELNS1_3gpuE2ELNS1_3repE0EEENS1_47radix_sort_onesweep_sort_config_static_selectorELNS0_4arch9wavefront6targetE1EEEvSK_,"axG",@progbits,_ZN7rocprim17ROCPRIM_400000_NS6detail17trampoline_kernelINS0_14default_configENS1_35radix_sort_onesweep_config_selectorIxNS0_10empty_typeEEEZZNS1_29radix_sort_onesweep_iterationIS3_Lb0EN6thrust23THRUST_200600_302600_NS6detail15normal_iteratorINS9_10device_ptrIxEEEESE_PS5_SF_jNS0_19identity_decomposerENS1_16block_id_wrapperIjLb1EEEEE10hipError_tT1_PNSt15iterator_traitsISK_E10value_typeET2_T3_PNSL_ISQ_E10value_typeET4_T5_PSV_SW_PNS1_23onesweep_lookback_stateEbbT6_jjT7_P12ihipStream_tbENKUlT_T0_SK_SP_E_clISE_SE_SF_SF_EEDaS13_S14_SK_SP_EUlS13_E_NS1_11comp_targetILNS1_3genE8ELNS1_11target_archE1030ELNS1_3gpuE2ELNS1_3repE0EEENS1_47radix_sort_onesweep_sort_config_static_selectorELNS0_4arch9wavefront6targetE1EEEvSK_,comdat
	.protected	_ZN7rocprim17ROCPRIM_400000_NS6detail17trampoline_kernelINS0_14default_configENS1_35radix_sort_onesweep_config_selectorIxNS0_10empty_typeEEEZZNS1_29radix_sort_onesweep_iterationIS3_Lb0EN6thrust23THRUST_200600_302600_NS6detail15normal_iteratorINS9_10device_ptrIxEEEESE_PS5_SF_jNS0_19identity_decomposerENS1_16block_id_wrapperIjLb1EEEEE10hipError_tT1_PNSt15iterator_traitsISK_E10value_typeET2_T3_PNSL_ISQ_E10value_typeET4_T5_PSV_SW_PNS1_23onesweep_lookback_stateEbbT6_jjT7_P12ihipStream_tbENKUlT_T0_SK_SP_E_clISE_SE_SF_SF_EEDaS13_S14_SK_SP_EUlS13_E_NS1_11comp_targetILNS1_3genE8ELNS1_11target_archE1030ELNS1_3gpuE2ELNS1_3repE0EEENS1_47radix_sort_onesweep_sort_config_static_selectorELNS0_4arch9wavefront6targetE1EEEvSK_ ; -- Begin function _ZN7rocprim17ROCPRIM_400000_NS6detail17trampoline_kernelINS0_14default_configENS1_35radix_sort_onesweep_config_selectorIxNS0_10empty_typeEEEZZNS1_29radix_sort_onesweep_iterationIS3_Lb0EN6thrust23THRUST_200600_302600_NS6detail15normal_iteratorINS9_10device_ptrIxEEEESE_PS5_SF_jNS0_19identity_decomposerENS1_16block_id_wrapperIjLb1EEEEE10hipError_tT1_PNSt15iterator_traitsISK_E10value_typeET2_T3_PNSL_ISQ_E10value_typeET4_T5_PSV_SW_PNS1_23onesweep_lookback_stateEbbT6_jjT7_P12ihipStream_tbENKUlT_T0_SK_SP_E_clISE_SE_SF_SF_EEDaS13_S14_SK_SP_EUlS13_E_NS1_11comp_targetILNS1_3genE8ELNS1_11target_archE1030ELNS1_3gpuE2ELNS1_3repE0EEENS1_47radix_sort_onesweep_sort_config_static_selectorELNS0_4arch9wavefront6targetE1EEEvSK_
	.globl	_ZN7rocprim17ROCPRIM_400000_NS6detail17trampoline_kernelINS0_14default_configENS1_35radix_sort_onesweep_config_selectorIxNS0_10empty_typeEEEZZNS1_29radix_sort_onesweep_iterationIS3_Lb0EN6thrust23THRUST_200600_302600_NS6detail15normal_iteratorINS9_10device_ptrIxEEEESE_PS5_SF_jNS0_19identity_decomposerENS1_16block_id_wrapperIjLb1EEEEE10hipError_tT1_PNSt15iterator_traitsISK_E10value_typeET2_T3_PNSL_ISQ_E10value_typeET4_T5_PSV_SW_PNS1_23onesweep_lookback_stateEbbT6_jjT7_P12ihipStream_tbENKUlT_T0_SK_SP_E_clISE_SE_SF_SF_EEDaS13_S14_SK_SP_EUlS13_E_NS1_11comp_targetILNS1_3genE8ELNS1_11target_archE1030ELNS1_3gpuE2ELNS1_3repE0EEENS1_47radix_sort_onesweep_sort_config_static_selectorELNS0_4arch9wavefront6targetE1EEEvSK_
	.p2align	8
	.type	_ZN7rocprim17ROCPRIM_400000_NS6detail17trampoline_kernelINS0_14default_configENS1_35radix_sort_onesweep_config_selectorIxNS0_10empty_typeEEEZZNS1_29radix_sort_onesweep_iterationIS3_Lb0EN6thrust23THRUST_200600_302600_NS6detail15normal_iteratorINS9_10device_ptrIxEEEESE_PS5_SF_jNS0_19identity_decomposerENS1_16block_id_wrapperIjLb1EEEEE10hipError_tT1_PNSt15iterator_traitsISK_E10value_typeET2_T3_PNSL_ISQ_E10value_typeET4_T5_PSV_SW_PNS1_23onesweep_lookback_stateEbbT6_jjT7_P12ihipStream_tbENKUlT_T0_SK_SP_E_clISE_SE_SF_SF_EEDaS13_S14_SK_SP_EUlS13_E_NS1_11comp_targetILNS1_3genE8ELNS1_11target_archE1030ELNS1_3gpuE2ELNS1_3repE0EEENS1_47radix_sort_onesweep_sort_config_static_selectorELNS0_4arch9wavefront6targetE1EEEvSK_,@function
_ZN7rocprim17ROCPRIM_400000_NS6detail17trampoline_kernelINS0_14default_configENS1_35radix_sort_onesweep_config_selectorIxNS0_10empty_typeEEEZZNS1_29radix_sort_onesweep_iterationIS3_Lb0EN6thrust23THRUST_200600_302600_NS6detail15normal_iteratorINS9_10device_ptrIxEEEESE_PS5_SF_jNS0_19identity_decomposerENS1_16block_id_wrapperIjLb1EEEEE10hipError_tT1_PNSt15iterator_traitsISK_E10value_typeET2_T3_PNSL_ISQ_E10value_typeET4_T5_PSV_SW_PNS1_23onesweep_lookback_stateEbbT6_jjT7_P12ihipStream_tbENKUlT_T0_SK_SP_E_clISE_SE_SF_SF_EEDaS13_S14_SK_SP_EUlS13_E_NS1_11comp_targetILNS1_3genE8ELNS1_11target_archE1030ELNS1_3gpuE2ELNS1_3repE0EEENS1_47radix_sort_onesweep_sort_config_static_selectorELNS0_4arch9wavefront6targetE1EEEvSK_: ; @_ZN7rocprim17ROCPRIM_400000_NS6detail17trampoline_kernelINS0_14default_configENS1_35radix_sort_onesweep_config_selectorIxNS0_10empty_typeEEEZZNS1_29radix_sort_onesweep_iterationIS3_Lb0EN6thrust23THRUST_200600_302600_NS6detail15normal_iteratorINS9_10device_ptrIxEEEESE_PS5_SF_jNS0_19identity_decomposerENS1_16block_id_wrapperIjLb1EEEEE10hipError_tT1_PNSt15iterator_traitsISK_E10value_typeET2_T3_PNSL_ISQ_E10value_typeET4_T5_PSV_SW_PNS1_23onesweep_lookback_stateEbbT6_jjT7_P12ihipStream_tbENKUlT_T0_SK_SP_E_clISE_SE_SF_SF_EEDaS13_S14_SK_SP_EUlS13_E_NS1_11comp_targetILNS1_3genE8ELNS1_11target_archE1030ELNS1_3gpuE2ELNS1_3repE0EEENS1_47radix_sort_onesweep_sort_config_static_selectorELNS0_4arch9wavefront6targetE1EEEvSK_
; %bb.0:
	.section	.rodata,"a",@progbits
	.p2align	6, 0x0
	.amdhsa_kernel _ZN7rocprim17ROCPRIM_400000_NS6detail17trampoline_kernelINS0_14default_configENS1_35radix_sort_onesweep_config_selectorIxNS0_10empty_typeEEEZZNS1_29radix_sort_onesweep_iterationIS3_Lb0EN6thrust23THRUST_200600_302600_NS6detail15normal_iteratorINS9_10device_ptrIxEEEESE_PS5_SF_jNS0_19identity_decomposerENS1_16block_id_wrapperIjLb1EEEEE10hipError_tT1_PNSt15iterator_traitsISK_E10value_typeET2_T3_PNSL_ISQ_E10value_typeET4_T5_PSV_SW_PNS1_23onesweep_lookback_stateEbbT6_jjT7_P12ihipStream_tbENKUlT_T0_SK_SP_E_clISE_SE_SF_SF_EEDaS13_S14_SK_SP_EUlS13_E_NS1_11comp_targetILNS1_3genE8ELNS1_11target_archE1030ELNS1_3gpuE2ELNS1_3repE0EEENS1_47radix_sort_onesweep_sort_config_static_selectorELNS0_4arch9wavefront6targetE1EEEvSK_
		.amdhsa_group_segment_fixed_size 0
		.amdhsa_private_segment_fixed_size 0
		.amdhsa_kernarg_size 88
		.amdhsa_user_sgpr_count 2
		.amdhsa_user_sgpr_dispatch_ptr 0
		.amdhsa_user_sgpr_queue_ptr 0
		.amdhsa_user_sgpr_kernarg_segment_ptr 1
		.amdhsa_user_sgpr_dispatch_id 0
		.amdhsa_user_sgpr_kernarg_preload_length 0
		.amdhsa_user_sgpr_kernarg_preload_offset 0
		.amdhsa_user_sgpr_private_segment_size 0
		.amdhsa_uses_dynamic_stack 0
		.amdhsa_enable_private_segment 0
		.amdhsa_system_sgpr_workgroup_id_x 1
		.amdhsa_system_sgpr_workgroup_id_y 0
		.amdhsa_system_sgpr_workgroup_id_z 0
		.amdhsa_system_sgpr_workgroup_info 0
		.amdhsa_system_vgpr_workitem_id 0
		.amdhsa_next_free_vgpr 1
		.amdhsa_next_free_sgpr 0
		.amdhsa_accum_offset 4
		.amdhsa_reserve_vcc 0
		.amdhsa_float_round_mode_32 0
		.amdhsa_float_round_mode_16_64 0
		.amdhsa_float_denorm_mode_32 3
		.amdhsa_float_denorm_mode_16_64 3
		.amdhsa_dx10_clamp 1
		.amdhsa_ieee_mode 1
		.amdhsa_fp16_overflow 0
		.amdhsa_tg_split 0
		.amdhsa_exception_fp_ieee_invalid_op 0
		.amdhsa_exception_fp_denorm_src 0
		.amdhsa_exception_fp_ieee_div_zero 0
		.amdhsa_exception_fp_ieee_overflow 0
		.amdhsa_exception_fp_ieee_underflow 0
		.amdhsa_exception_fp_ieee_inexact 0
		.amdhsa_exception_int_div_zero 0
	.end_amdhsa_kernel
	.section	.text._ZN7rocprim17ROCPRIM_400000_NS6detail17trampoline_kernelINS0_14default_configENS1_35radix_sort_onesweep_config_selectorIxNS0_10empty_typeEEEZZNS1_29radix_sort_onesweep_iterationIS3_Lb0EN6thrust23THRUST_200600_302600_NS6detail15normal_iteratorINS9_10device_ptrIxEEEESE_PS5_SF_jNS0_19identity_decomposerENS1_16block_id_wrapperIjLb1EEEEE10hipError_tT1_PNSt15iterator_traitsISK_E10value_typeET2_T3_PNSL_ISQ_E10value_typeET4_T5_PSV_SW_PNS1_23onesweep_lookback_stateEbbT6_jjT7_P12ihipStream_tbENKUlT_T0_SK_SP_E_clISE_SE_SF_SF_EEDaS13_S14_SK_SP_EUlS13_E_NS1_11comp_targetILNS1_3genE8ELNS1_11target_archE1030ELNS1_3gpuE2ELNS1_3repE0EEENS1_47radix_sort_onesweep_sort_config_static_selectorELNS0_4arch9wavefront6targetE1EEEvSK_,"axG",@progbits,_ZN7rocprim17ROCPRIM_400000_NS6detail17trampoline_kernelINS0_14default_configENS1_35radix_sort_onesweep_config_selectorIxNS0_10empty_typeEEEZZNS1_29radix_sort_onesweep_iterationIS3_Lb0EN6thrust23THRUST_200600_302600_NS6detail15normal_iteratorINS9_10device_ptrIxEEEESE_PS5_SF_jNS0_19identity_decomposerENS1_16block_id_wrapperIjLb1EEEEE10hipError_tT1_PNSt15iterator_traitsISK_E10value_typeET2_T3_PNSL_ISQ_E10value_typeET4_T5_PSV_SW_PNS1_23onesweep_lookback_stateEbbT6_jjT7_P12ihipStream_tbENKUlT_T0_SK_SP_E_clISE_SE_SF_SF_EEDaS13_S14_SK_SP_EUlS13_E_NS1_11comp_targetILNS1_3genE8ELNS1_11target_archE1030ELNS1_3gpuE2ELNS1_3repE0EEENS1_47radix_sort_onesweep_sort_config_static_selectorELNS0_4arch9wavefront6targetE1EEEvSK_,comdat
.Lfunc_end1550:
	.size	_ZN7rocprim17ROCPRIM_400000_NS6detail17trampoline_kernelINS0_14default_configENS1_35radix_sort_onesweep_config_selectorIxNS0_10empty_typeEEEZZNS1_29radix_sort_onesweep_iterationIS3_Lb0EN6thrust23THRUST_200600_302600_NS6detail15normal_iteratorINS9_10device_ptrIxEEEESE_PS5_SF_jNS0_19identity_decomposerENS1_16block_id_wrapperIjLb1EEEEE10hipError_tT1_PNSt15iterator_traitsISK_E10value_typeET2_T3_PNSL_ISQ_E10value_typeET4_T5_PSV_SW_PNS1_23onesweep_lookback_stateEbbT6_jjT7_P12ihipStream_tbENKUlT_T0_SK_SP_E_clISE_SE_SF_SF_EEDaS13_S14_SK_SP_EUlS13_E_NS1_11comp_targetILNS1_3genE8ELNS1_11target_archE1030ELNS1_3gpuE2ELNS1_3repE0EEENS1_47radix_sort_onesweep_sort_config_static_selectorELNS0_4arch9wavefront6targetE1EEEvSK_, .Lfunc_end1550-_ZN7rocprim17ROCPRIM_400000_NS6detail17trampoline_kernelINS0_14default_configENS1_35radix_sort_onesweep_config_selectorIxNS0_10empty_typeEEEZZNS1_29radix_sort_onesweep_iterationIS3_Lb0EN6thrust23THRUST_200600_302600_NS6detail15normal_iteratorINS9_10device_ptrIxEEEESE_PS5_SF_jNS0_19identity_decomposerENS1_16block_id_wrapperIjLb1EEEEE10hipError_tT1_PNSt15iterator_traitsISK_E10value_typeET2_T3_PNSL_ISQ_E10value_typeET4_T5_PSV_SW_PNS1_23onesweep_lookback_stateEbbT6_jjT7_P12ihipStream_tbENKUlT_T0_SK_SP_E_clISE_SE_SF_SF_EEDaS13_S14_SK_SP_EUlS13_E_NS1_11comp_targetILNS1_3genE8ELNS1_11target_archE1030ELNS1_3gpuE2ELNS1_3repE0EEENS1_47radix_sort_onesweep_sort_config_static_selectorELNS0_4arch9wavefront6targetE1EEEvSK_
                                        ; -- End function
	.section	.AMDGPU.csdata,"",@progbits
; Kernel info:
; codeLenInByte = 0
; NumSgprs: 6
; NumVgprs: 0
; NumAgprs: 0
; TotalNumVgprs: 0
; ScratchSize: 0
; MemoryBound: 0
; FloatMode: 240
; IeeeMode: 1
; LDSByteSize: 0 bytes/workgroup (compile time only)
; SGPRBlocks: 0
; VGPRBlocks: 0
; NumSGPRsForWavesPerEU: 6
; NumVGPRsForWavesPerEU: 1
; AccumOffset: 4
; Occupancy: 8
; WaveLimiterHint : 0
; COMPUTE_PGM_RSRC2:SCRATCH_EN: 0
; COMPUTE_PGM_RSRC2:USER_SGPR: 2
; COMPUTE_PGM_RSRC2:TRAP_HANDLER: 0
; COMPUTE_PGM_RSRC2:TGID_X_EN: 1
; COMPUTE_PGM_RSRC2:TGID_Y_EN: 0
; COMPUTE_PGM_RSRC2:TGID_Z_EN: 0
; COMPUTE_PGM_RSRC2:TIDIG_COMP_CNT: 0
; COMPUTE_PGM_RSRC3_GFX90A:ACCUM_OFFSET: 0
; COMPUTE_PGM_RSRC3_GFX90A:TG_SPLIT: 0
	.section	.text._ZN7rocprim17ROCPRIM_400000_NS6detail17trampoline_kernelINS0_14default_configENS1_35radix_sort_onesweep_config_selectorIxNS0_10empty_typeEEEZZNS1_29radix_sort_onesweep_iterationIS3_Lb0EN6thrust23THRUST_200600_302600_NS6detail15normal_iteratorINS9_10device_ptrIxEEEESE_PS5_SF_jNS0_19identity_decomposerENS1_16block_id_wrapperIjLb1EEEEE10hipError_tT1_PNSt15iterator_traitsISK_E10value_typeET2_T3_PNSL_ISQ_E10value_typeET4_T5_PSV_SW_PNS1_23onesweep_lookback_stateEbbT6_jjT7_P12ihipStream_tbENKUlT_T0_SK_SP_E_clISE_PxSF_SF_EEDaS13_S14_SK_SP_EUlS13_E_NS1_11comp_targetILNS1_3genE0ELNS1_11target_archE4294967295ELNS1_3gpuE0ELNS1_3repE0EEENS1_47radix_sort_onesweep_sort_config_static_selectorELNS0_4arch9wavefront6targetE1EEEvSK_,"axG",@progbits,_ZN7rocprim17ROCPRIM_400000_NS6detail17trampoline_kernelINS0_14default_configENS1_35radix_sort_onesweep_config_selectorIxNS0_10empty_typeEEEZZNS1_29radix_sort_onesweep_iterationIS3_Lb0EN6thrust23THRUST_200600_302600_NS6detail15normal_iteratorINS9_10device_ptrIxEEEESE_PS5_SF_jNS0_19identity_decomposerENS1_16block_id_wrapperIjLb1EEEEE10hipError_tT1_PNSt15iterator_traitsISK_E10value_typeET2_T3_PNSL_ISQ_E10value_typeET4_T5_PSV_SW_PNS1_23onesweep_lookback_stateEbbT6_jjT7_P12ihipStream_tbENKUlT_T0_SK_SP_E_clISE_PxSF_SF_EEDaS13_S14_SK_SP_EUlS13_E_NS1_11comp_targetILNS1_3genE0ELNS1_11target_archE4294967295ELNS1_3gpuE0ELNS1_3repE0EEENS1_47radix_sort_onesweep_sort_config_static_selectorELNS0_4arch9wavefront6targetE1EEEvSK_,comdat
	.protected	_ZN7rocprim17ROCPRIM_400000_NS6detail17trampoline_kernelINS0_14default_configENS1_35radix_sort_onesweep_config_selectorIxNS0_10empty_typeEEEZZNS1_29radix_sort_onesweep_iterationIS3_Lb0EN6thrust23THRUST_200600_302600_NS6detail15normal_iteratorINS9_10device_ptrIxEEEESE_PS5_SF_jNS0_19identity_decomposerENS1_16block_id_wrapperIjLb1EEEEE10hipError_tT1_PNSt15iterator_traitsISK_E10value_typeET2_T3_PNSL_ISQ_E10value_typeET4_T5_PSV_SW_PNS1_23onesweep_lookback_stateEbbT6_jjT7_P12ihipStream_tbENKUlT_T0_SK_SP_E_clISE_PxSF_SF_EEDaS13_S14_SK_SP_EUlS13_E_NS1_11comp_targetILNS1_3genE0ELNS1_11target_archE4294967295ELNS1_3gpuE0ELNS1_3repE0EEENS1_47radix_sort_onesweep_sort_config_static_selectorELNS0_4arch9wavefront6targetE1EEEvSK_ ; -- Begin function _ZN7rocprim17ROCPRIM_400000_NS6detail17trampoline_kernelINS0_14default_configENS1_35radix_sort_onesweep_config_selectorIxNS0_10empty_typeEEEZZNS1_29radix_sort_onesweep_iterationIS3_Lb0EN6thrust23THRUST_200600_302600_NS6detail15normal_iteratorINS9_10device_ptrIxEEEESE_PS5_SF_jNS0_19identity_decomposerENS1_16block_id_wrapperIjLb1EEEEE10hipError_tT1_PNSt15iterator_traitsISK_E10value_typeET2_T3_PNSL_ISQ_E10value_typeET4_T5_PSV_SW_PNS1_23onesweep_lookback_stateEbbT6_jjT7_P12ihipStream_tbENKUlT_T0_SK_SP_E_clISE_PxSF_SF_EEDaS13_S14_SK_SP_EUlS13_E_NS1_11comp_targetILNS1_3genE0ELNS1_11target_archE4294967295ELNS1_3gpuE0ELNS1_3repE0EEENS1_47radix_sort_onesweep_sort_config_static_selectorELNS0_4arch9wavefront6targetE1EEEvSK_
	.globl	_ZN7rocprim17ROCPRIM_400000_NS6detail17trampoline_kernelINS0_14default_configENS1_35radix_sort_onesweep_config_selectorIxNS0_10empty_typeEEEZZNS1_29radix_sort_onesweep_iterationIS3_Lb0EN6thrust23THRUST_200600_302600_NS6detail15normal_iteratorINS9_10device_ptrIxEEEESE_PS5_SF_jNS0_19identity_decomposerENS1_16block_id_wrapperIjLb1EEEEE10hipError_tT1_PNSt15iterator_traitsISK_E10value_typeET2_T3_PNSL_ISQ_E10value_typeET4_T5_PSV_SW_PNS1_23onesweep_lookback_stateEbbT6_jjT7_P12ihipStream_tbENKUlT_T0_SK_SP_E_clISE_PxSF_SF_EEDaS13_S14_SK_SP_EUlS13_E_NS1_11comp_targetILNS1_3genE0ELNS1_11target_archE4294967295ELNS1_3gpuE0ELNS1_3repE0EEENS1_47radix_sort_onesweep_sort_config_static_selectorELNS0_4arch9wavefront6targetE1EEEvSK_
	.p2align	8
	.type	_ZN7rocprim17ROCPRIM_400000_NS6detail17trampoline_kernelINS0_14default_configENS1_35radix_sort_onesweep_config_selectorIxNS0_10empty_typeEEEZZNS1_29radix_sort_onesweep_iterationIS3_Lb0EN6thrust23THRUST_200600_302600_NS6detail15normal_iteratorINS9_10device_ptrIxEEEESE_PS5_SF_jNS0_19identity_decomposerENS1_16block_id_wrapperIjLb1EEEEE10hipError_tT1_PNSt15iterator_traitsISK_E10value_typeET2_T3_PNSL_ISQ_E10value_typeET4_T5_PSV_SW_PNS1_23onesweep_lookback_stateEbbT6_jjT7_P12ihipStream_tbENKUlT_T0_SK_SP_E_clISE_PxSF_SF_EEDaS13_S14_SK_SP_EUlS13_E_NS1_11comp_targetILNS1_3genE0ELNS1_11target_archE4294967295ELNS1_3gpuE0ELNS1_3repE0EEENS1_47radix_sort_onesweep_sort_config_static_selectorELNS0_4arch9wavefront6targetE1EEEvSK_,@function
_ZN7rocprim17ROCPRIM_400000_NS6detail17trampoline_kernelINS0_14default_configENS1_35radix_sort_onesweep_config_selectorIxNS0_10empty_typeEEEZZNS1_29radix_sort_onesweep_iterationIS3_Lb0EN6thrust23THRUST_200600_302600_NS6detail15normal_iteratorINS9_10device_ptrIxEEEESE_PS5_SF_jNS0_19identity_decomposerENS1_16block_id_wrapperIjLb1EEEEE10hipError_tT1_PNSt15iterator_traitsISK_E10value_typeET2_T3_PNSL_ISQ_E10value_typeET4_T5_PSV_SW_PNS1_23onesweep_lookback_stateEbbT6_jjT7_P12ihipStream_tbENKUlT_T0_SK_SP_E_clISE_PxSF_SF_EEDaS13_S14_SK_SP_EUlS13_E_NS1_11comp_targetILNS1_3genE0ELNS1_11target_archE4294967295ELNS1_3gpuE0ELNS1_3repE0EEENS1_47radix_sort_onesweep_sort_config_static_selectorELNS0_4arch9wavefront6targetE1EEEvSK_: ; @_ZN7rocprim17ROCPRIM_400000_NS6detail17trampoline_kernelINS0_14default_configENS1_35radix_sort_onesweep_config_selectorIxNS0_10empty_typeEEEZZNS1_29radix_sort_onesweep_iterationIS3_Lb0EN6thrust23THRUST_200600_302600_NS6detail15normal_iteratorINS9_10device_ptrIxEEEESE_PS5_SF_jNS0_19identity_decomposerENS1_16block_id_wrapperIjLb1EEEEE10hipError_tT1_PNSt15iterator_traitsISK_E10value_typeET2_T3_PNSL_ISQ_E10value_typeET4_T5_PSV_SW_PNS1_23onesweep_lookback_stateEbbT6_jjT7_P12ihipStream_tbENKUlT_T0_SK_SP_E_clISE_PxSF_SF_EEDaS13_S14_SK_SP_EUlS13_E_NS1_11comp_targetILNS1_3genE0ELNS1_11target_archE4294967295ELNS1_3gpuE0ELNS1_3repE0EEENS1_47radix_sort_onesweep_sort_config_static_selectorELNS0_4arch9wavefront6targetE1EEEvSK_
; %bb.0:
	.section	.rodata,"a",@progbits
	.p2align	6, 0x0
	.amdhsa_kernel _ZN7rocprim17ROCPRIM_400000_NS6detail17trampoline_kernelINS0_14default_configENS1_35radix_sort_onesweep_config_selectorIxNS0_10empty_typeEEEZZNS1_29radix_sort_onesweep_iterationIS3_Lb0EN6thrust23THRUST_200600_302600_NS6detail15normal_iteratorINS9_10device_ptrIxEEEESE_PS5_SF_jNS0_19identity_decomposerENS1_16block_id_wrapperIjLb1EEEEE10hipError_tT1_PNSt15iterator_traitsISK_E10value_typeET2_T3_PNSL_ISQ_E10value_typeET4_T5_PSV_SW_PNS1_23onesweep_lookback_stateEbbT6_jjT7_P12ihipStream_tbENKUlT_T0_SK_SP_E_clISE_PxSF_SF_EEDaS13_S14_SK_SP_EUlS13_E_NS1_11comp_targetILNS1_3genE0ELNS1_11target_archE4294967295ELNS1_3gpuE0ELNS1_3repE0EEENS1_47radix_sort_onesweep_sort_config_static_selectorELNS0_4arch9wavefront6targetE1EEEvSK_
		.amdhsa_group_segment_fixed_size 0
		.amdhsa_private_segment_fixed_size 0
		.amdhsa_kernarg_size 88
		.amdhsa_user_sgpr_count 2
		.amdhsa_user_sgpr_dispatch_ptr 0
		.amdhsa_user_sgpr_queue_ptr 0
		.amdhsa_user_sgpr_kernarg_segment_ptr 1
		.amdhsa_user_sgpr_dispatch_id 0
		.amdhsa_user_sgpr_kernarg_preload_length 0
		.amdhsa_user_sgpr_kernarg_preload_offset 0
		.amdhsa_user_sgpr_private_segment_size 0
		.amdhsa_uses_dynamic_stack 0
		.amdhsa_enable_private_segment 0
		.amdhsa_system_sgpr_workgroup_id_x 1
		.amdhsa_system_sgpr_workgroup_id_y 0
		.amdhsa_system_sgpr_workgroup_id_z 0
		.amdhsa_system_sgpr_workgroup_info 0
		.amdhsa_system_vgpr_workitem_id 0
		.amdhsa_next_free_vgpr 1
		.amdhsa_next_free_sgpr 0
		.amdhsa_accum_offset 4
		.amdhsa_reserve_vcc 0
		.amdhsa_float_round_mode_32 0
		.amdhsa_float_round_mode_16_64 0
		.amdhsa_float_denorm_mode_32 3
		.amdhsa_float_denorm_mode_16_64 3
		.amdhsa_dx10_clamp 1
		.amdhsa_ieee_mode 1
		.amdhsa_fp16_overflow 0
		.amdhsa_tg_split 0
		.amdhsa_exception_fp_ieee_invalid_op 0
		.amdhsa_exception_fp_denorm_src 0
		.amdhsa_exception_fp_ieee_div_zero 0
		.amdhsa_exception_fp_ieee_overflow 0
		.amdhsa_exception_fp_ieee_underflow 0
		.amdhsa_exception_fp_ieee_inexact 0
		.amdhsa_exception_int_div_zero 0
	.end_amdhsa_kernel
	.section	.text._ZN7rocprim17ROCPRIM_400000_NS6detail17trampoline_kernelINS0_14default_configENS1_35radix_sort_onesweep_config_selectorIxNS0_10empty_typeEEEZZNS1_29radix_sort_onesweep_iterationIS3_Lb0EN6thrust23THRUST_200600_302600_NS6detail15normal_iteratorINS9_10device_ptrIxEEEESE_PS5_SF_jNS0_19identity_decomposerENS1_16block_id_wrapperIjLb1EEEEE10hipError_tT1_PNSt15iterator_traitsISK_E10value_typeET2_T3_PNSL_ISQ_E10value_typeET4_T5_PSV_SW_PNS1_23onesweep_lookback_stateEbbT6_jjT7_P12ihipStream_tbENKUlT_T0_SK_SP_E_clISE_PxSF_SF_EEDaS13_S14_SK_SP_EUlS13_E_NS1_11comp_targetILNS1_3genE0ELNS1_11target_archE4294967295ELNS1_3gpuE0ELNS1_3repE0EEENS1_47radix_sort_onesweep_sort_config_static_selectorELNS0_4arch9wavefront6targetE1EEEvSK_,"axG",@progbits,_ZN7rocprim17ROCPRIM_400000_NS6detail17trampoline_kernelINS0_14default_configENS1_35radix_sort_onesweep_config_selectorIxNS0_10empty_typeEEEZZNS1_29radix_sort_onesweep_iterationIS3_Lb0EN6thrust23THRUST_200600_302600_NS6detail15normal_iteratorINS9_10device_ptrIxEEEESE_PS5_SF_jNS0_19identity_decomposerENS1_16block_id_wrapperIjLb1EEEEE10hipError_tT1_PNSt15iterator_traitsISK_E10value_typeET2_T3_PNSL_ISQ_E10value_typeET4_T5_PSV_SW_PNS1_23onesweep_lookback_stateEbbT6_jjT7_P12ihipStream_tbENKUlT_T0_SK_SP_E_clISE_PxSF_SF_EEDaS13_S14_SK_SP_EUlS13_E_NS1_11comp_targetILNS1_3genE0ELNS1_11target_archE4294967295ELNS1_3gpuE0ELNS1_3repE0EEENS1_47radix_sort_onesweep_sort_config_static_selectorELNS0_4arch9wavefront6targetE1EEEvSK_,comdat
.Lfunc_end1551:
	.size	_ZN7rocprim17ROCPRIM_400000_NS6detail17trampoline_kernelINS0_14default_configENS1_35radix_sort_onesweep_config_selectorIxNS0_10empty_typeEEEZZNS1_29radix_sort_onesweep_iterationIS3_Lb0EN6thrust23THRUST_200600_302600_NS6detail15normal_iteratorINS9_10device_ptrIxEEEESE_PS5_SF_jNS0_19identity_decomposerENS1_16block_id_wrapperIjLb1EEEEE10hipError_tT1_PNSt15iterator_traitsISK_E10value_typeET2_T3_PNSL_ISQ_E10value_typeET4_T5_PSV_SW_PNS1_23onesweep_lookback_stateEbbT6_jjT7_P12ihipStream_tbENKUlT_T0_SK_SP_E_clISE_PxSF_SF_EEDaS13_S14_SK_SP_EUlS13_E_NS1_11comp_targetILNS1_3genE0ELNS1_11target_archE4294967295ELNS1_3gpuE0ELNS1_3repE0EEENS1_47radix_sort_onesweep_sort_config_static_selectorELNS0_4arch9wavefront6targetE1EEEvSK_, .Lfunc_end1551-_ZN7rocprim17ROCPRIM_400000_NS6detail17trampoline_kernelINS0_14default_configENS1_35radix_sort_onesweep_config_selectorIxNS0_10empty_typeEEEZZNS1_29radix_sort_onesweep_iterationIS3_Lb0EN6thrust23THRUST_200600_302600_NS6detail15normal_iteratorINS9_10device_ptrIxEEEESE_PS5_SF_jNS0_19identity_decomposerENS1_16block_id_wrapperIjLb1EEEEE10hipError_tT1_PNSt15iterator_traitsISK_E10value_typeET2_T3_PNSL_ISQ_E10value_typeET4_T5_PSV_SW_PNS1_23onesweep_lookback_stateEbbT6_jjT7_P12ihipStream_tbENKUlT_T0_SK_SP_E_clISE_PxSF_SF_EEDaS13_S14_SK_SP_EUlS13_E_NS1_11comp_targetILNS1_3genE0ELNS1_11target_archE4294967295ELNS1_3gpuE0ELNS1_3repE0EEENS1_47radix_sort_onesweep_sort_config_static_selectorELNS0_4arch9wavefront6targetE1EEEvSK_
                                        ; -- End function
	.section	.AMDGPU.csdata,"",@progbits
; Kernel info:
; codeLenInByte = 0
; NumSgprs: 6
; NumVgprs: 0
; NumAgprs: 0
; TotalNumVgprs: 0
; ScratchSize: 0
; MemoryBound: 0
; FloatMode: 240
; IeeeMode: 1
; LDSByteSize: 0 bytes/workgroup (compile time only)
; SGPRBlocks: 0
; VGPRBlocks: 0
; NumSGPRsForWavesPerEU: 6
; NumVGPRsForWavesPerEU: 1
; AccumOffset: 4
; Occupancy: 8
; WaveLimiterHint : 0
; COMPUTE_PGM_RSRC2:SCRATCH_EN: 0
; COMPUTE_PGM_RSRC2:USER_SGPR: 2
; COMPUTE_PGM_RSRC2:TRAP_HANDLER: 0
; COMPUTE_PGM_RSRC2:TGID_X_EN: 1
; COMPUTE_PGM_RSRC2:TGID_Y_EN: 0
; COMPUTE_PGM_RSRC2:TGID_Z_EN: 0
; COMPUTE_PGM_RSRC2:TIDIG_COMP_CNT: 0
; COMPUTE_PGM_RSRC3_GFX90A:ACCUM_OFFSET: 0
; COMPUTE_PGM_RSRC3_GFX90A:TG_SPLIT: 0
	.section	.text._ZN7rocprim17ROCPRIM_400000_NS6detail17trampoline_kernelINS0_14default_configENS1_35radix_sort_onesweep_config_selectorIxNS0_10empty_typeEEEZZNS1_29radix_sort_onesweep_iterationIS3_Lb0EN6thrust23THRUST_200600_302600_NS6detail15normal_iteratorINS9_10device_ptrIxEEEESE_PS5_SF_jNS0_19identity_decomposerENS1_16block_id_wrapperIjLb1EEEEE10hipError_tT1_PNSt15iterator_traitsISK_E10value_typeET2_T3_PNSL_ISQ_E10value_typeET4_T5_PSV_SW_PNS1_23onesweep_lookback_stateEbbT6_jjT7_P12ihipStream_tbENKUlT_T0_SK_SP_E_clISE_PxSF_SF_EEDaS13_S14_SK_SP_EUlS13_E_NS1_11comp_targetILNS1_3genE6ELNS1_11target_archE950ELNS1_3gpuE13ELNS1_3repE0EEENS1_47radix_sort_onesweep_sort_config_static_selectorELNS0_4arch9wavefront6targetE1EEEvSK_,"axG",@progbits,_ZN7rocprim17ROCPRIM_400000_NS6detail17trampoline_kernelINS0_14default_configENS1_35radix_sort_onesweep_config_selectorIxNS0_10empty_typeEEEZZNS1_29radix_sort_onesweep_iterationIS3_Lb0EN6thrust23THRUST_200600_302600_NS6detail15normal_iteratorINS9_10device_ptrIxEEEESE_PS5_SF_jNS0_19identity_decomposerENS1_16block_id_wrapperIjLb1EEEEE10hipError_tT1_PNSt15iterator_traitsISK_E10value_typeET2_T3_PNSL_ISQ_E10value_typeET4_T5_PSV_SW_PNS1_23onesweep_lookback_stateEbbT6_jjT7_P12ihipStream_tbENKUlT_T0_SK_SP_E_clISE_PxSF_SF_EEDaS13_S14_SK_SP_EUlS13_E_NS1_11comp_targetILNS1_3genE6ELNS1_11target_archE950ELNS1_3gpuE13ELNS1_3repE0EEENS1_47radix_sort_onesweep_sort_config_static_selectorELNS0_4arch9wavefront6targetE1EEEvSK_,comdat
	.protected	_ZN7rocprim17ROCPRIM_400000_NS6detail17trampoline_kernelINS0_14default_configENS1_35radix_sort_onesweep_config_selectorIxNS0_10empty_typeEEEZZNS1_29radix_sort_onesweep_iterationIS3_Lb0EN6thrust23THRUST_200600_302600_NS6detail15normal_iteratorINS9_10device_ptrIxEEEESE_PS5_SF_jNS0_19identity_decomposerENS1_16block_id_wrapperIjLb1EEEEE10hipError_tT1_PNSt15iterator_traitsISK_E10value_typeET2_T3_PNSL_ISQ_E10value_typeET4_T5_PSV_SW_PNS1_23onesweep_lookback_stateEbbT6_jjT7_P12ihipStream_tbENKUlT_T0_SK_SP_E_clISE_PxSF_SF_EEDaS13_S14_SK_SP_EUlS13_E_NS1_11comp_targetILNS1_3genE6ELNS1_11target_archE950ELNS1_3gpuE13ELNS1_3repE0EEENS1_47radix_sort_onesweep_sort_config_static_selectorELNS0_4arch9wavefront6targetE1EEEvSK_ ; -- Begin function _ZN7rocprim17ROCPRIM_400000_NS6detail17trampoline_kernelINS0_14default_configENS1_35radix_sort_onesweep_config_selectorIxNS0_10empty_typeEEEZZNS1_29radix_sort_onesweep_iterationIS3_Lb0EN6thrust23THRUST_200600_302600_NS6detail15normal_iteratorINS9_10device_ptrIxEEEESE_PS5_SF_jNS0_19identity_decomposerENS1_16block_id_wrapperIjLb1EEEEE10hipError_tT1_PNSt15iterator_traitsISK_E10value_typeET2_T3_PNSL_ISQ_E10value_typeET4_T5_PSV_SW_PNS1_23onesweep_lookback_stateEbbT6_jjT7_P12ihipStream_tbENKUlT_T0_SK_SP_E_clISE_PxSF_SF_EEDaS13_S14_SK_SP_EUlS13_E_NS1_11comp_targetILNS1_3genE6ELNS1_11target_archE950ELNS1_3gpuE13ELNS1_3repE0EEENS1_47radix_sort_onesweep_sort_config_static_selectorELNS0_4arch9wavefront6targetE1EEEvSK_
	.globl	_ZN7rocprim17ROCPRIM_400000_NS6detail17trampoline_kernelINS0_14default_configENS1_35radix_sort_onesweep_config_selectorIxNS0_10empty_typeEEEZZNS1_29radix_sort_onesweep_iterationIS3_Lb0EN6thrust23THRUST_200600_302600_NS6detail15normal_iteratorINS9_10device_ptrIxEEEESE_PS5_SF_jNS0_19identity_decomposerENS1_16block_id_wrapperIjLb1EEEEE10hipError_tT1_PNSt15iterator_traitsISK_E10value_typeET2_T3_PNSL_ISQ_E10value_typeET4_T5_PSV_SW_PNS1_23onesweep_lookback_stateEbbT6_jjT7_P12ihipStream_tbENKUlT_T0_SK_SP_E_clISE_PxSF_SF_EEDaS13_S14_SK_SP_EUlS13_E_NS1_11comp_targetILNS1_3genE6ELNS1_11target_archE950ELNS1_3gpuE13ELNS1_3repE0EEENS1_47radix_sort_onesweep_sort_config_static_selectorELNS0_4arch9wavefront6targetE1EEEvSK_
	.p2align	8
	.type	_ZN7rocprim17ROCPRIM_400000_NS6detail17trampoline_kernelINS0_14default_configENS1_35radix_sort_onesweep_config_selectorIxNS0_10empty_typeEEEZZNS1_29radix_sort_onesweep_iterationIS3_Lb0EN6thrust23THRUST_200600_302600_NS6detail15normal_iteratorINS9_10device_ptrIxEEEESE_PS5_SF_jNS0_19identity_decomposerENS1_16block_id_wrapperIjLb1EEEEE10hipError_tT1_PNSt15iterator_traitsISK_E10value_typeET2_T3_PNSL_ISQ_E10value_typeET4_T5_PSV_SW_PNS1_23onesweep_lookback_stateEbbT6_jjT7_P12ihipStream_tbENKUlT_T0_SK_SP_E_clISE_PxSF_SF_EEDaS13_S14_SK_SP_EUlS13_E_NS1_11comp_targetILNS1_3genE6ELNS1_11target_archE950ELNS1_3gpuE13ELNS1_3repE0EEENS1_47radix_sort_onesweep_sort_config_static_selectorELNS0_4arch9wavefront6targetE1EEEvSK_,@function
_ZN7rocprim17ROCPRIM_400000_NS6detail17trampoline_kernelINS0_14default_configENS1_35radix_sort_onesweep_config_selectorIxNS0_10empty_typeEEEZZNS1_29radix_sort_onesweep_iterationIS3_Lb0EN6thrust23THRUST_200600_302600_NS6detail15normal_iteratorINS9_10device_ptrIxEEEESE_PS5_SF_jNS0_19identity_decomposerENS1_16block_id_wrapperIjLb1EEEEE10hipError_tT1_PNSt15iterator_traitsISK_E10value_typeET2_T3_PNSL_ISQ_E10value_typeET4_T5_PSV_SW_PNS1_23onesweep_lookback_stateEbbT6_jjT7_P12ihipStream_tbENKUlT_T0_SK_SP_E_clISE_PxSF_SF_EEDaS13_S14_SK_SP_EUlS13_E_NS1_11comp_targetILNS1_3genE6ELNS1_11target_archE950ELNS1_3gpuE13ELNS1_3repE0EEENS1_47radix_sort_onesweep_sort_config_static_selectorELNS0_4arch9wavefront6targetE1EEEvSK_: ; @_ZN7rocprim17ROCPRIM_400000_NS6detail17trampoline_kernelINS0_14default_configENS1_35radix_sort_onesweep_config_selectorIxNS0_10empty_typeEEEZZNS1_29radix_sort_onesweep_iterationIS3_Lb0EN6thrust23THRUST_200600_302600_NS6detail15normal_iteratorINS9_10device_ptrIxEEEESE_PS5_SF_jNS0_19identity_decomposerENS1_16block_id_wrapperIjLb1EEEEE10hipError_tT1_PNSt15iterator_traitsISK_E10value_typeET2_T3_PNSL_ISQ_E10value_typeET4_T5_PSV_SW_PNS1_23onesweep_lookback_stateEbbT6_jjT7_P12ihipStream_tbENKUlT_T0_SK_SP_E_clISE_PxSF_SF_EEDaS13_S14_SK_SP_EUlS13_E_NS1_11comp_targetILNS1_3genE6ELNS1_11target_archE950ELNS1_3gpuE13ELNS1_3repE0EEENS1_47radix_sort_onesweep_sort_config_static_selectorELNS0_4arch9wavefront6targetE1EEEvSK_
; %bb.0:
	.section	.rodata,"a",@progbits
	.p2align	6, 0x0
	.amdhsa_kernel _ZN7rocprim17ROCPRIM_400000_NS6detail17trampoline_kernelINS0_14default_configENS1_35radix_sort_onesweep_config_selectorIxNS0_10empty_typeEEEZZNS1_29radix_sort_onesweep_iterationIS3_Lb0EN6thrust23THRUST_200600_302600_NS6detail15normal_iteratorINS9_10device_ptrIxEEEESE_PS5_SF_jNS0_19identity_decomposerENS1_16block_id_wrapperIjLb1EEEEE10hipError_tT1_PNSt15iterator_traitsISK_E10value_typeET2_T3_PNSL_ISQ_E10value_typeET4_T5_PSV_SW_PNS1_23onesweep_lookback_stateEbbT6_jjT7_P12ihipStream_tbENKUlT_T0_SK_SP_E_clISE_PxSF_SF_EEDaS13_S14_SK_SP_EUlS13_E_NS1_11comp_targetILNS1_3genE6ELNS1_11target_archE950ELNS1_3gpuE13ELNS1_3repE0EEENS1_47radix_sort_onesweep_sort_config_static_selectorELNS0_4arch9wavefront6targetE1EEEvSK_
		.amdhsa_group_segment_fixed_size 0
		.amdhsa_private_segment_fixed_size 0
		.amdhsa_kernarg_size 88
		.amdhsa_user_sgpr_count 2
		.amdhsa_user_sgpr_dispatch_ptr 0
		.amdhsa_user_sgpr_queue_ptr 0
		.amdhsa_user_sgpr_kernarg_segment_ptr 1
		.amdhsa_user_sgpr_dispatch_id 0
		.amdhsa_user_sgpr_kernarg_preload_length 0
		.amdhsa_user_sgpr_kernarg_preload_offset 0
		.amdhsa_user_sgpr_private_segment_size 0
		.amdhsa_uses_dynamic_stack 0
		.amdhsa_enable_private_segment 0
		.amdhsa_system_sgpr_workgroup_id_x 1
		.amdhsa_system_sgpr_workgroup_id_y 0
		.amdhsa_system_sgpr_workgroup_id_z 0
		.amdhsa_system_sgpr_workgroup_info 0
		.amdhsa_system_vgpr_workitem_id 0
		.amdhsa_next_free_vgpr 1
		.amdhsa_next_free_sgpr 0
		.amdhsa_accum_offset 4
		.amdhsa_reserve_vcc 0
		.amdhsa_float_round_mode_32 0
		.amdhsa_float_round_mode_16_64 0
		.amdhsa_float_denorm_mode_32 3
		.amdhsa_float_denorm_mode_16_64 3
		.amdhsa_dx10_clamp 1
		.amdhsa_ieee_mode 1
		.amdhsa_fp16_overflow 0
		.amdhsa_tg_split 0
		.amdhsa_exception_fp_ieee_invalid_op 0
		.amdhsa_exception_fp_denorm_src 0
		.amdhsa_exception_fp_ieee_div_zero 0
		.amdhsa_exception_fp_ieee_overflow 0
		.amdhsa_exception_fp_ieee_underflow 0
		.amdhsa_exception_fp_ieee_inexact 0
		.amdhsa_exception_int_div_zero 0
	.end_amdhsa_kernel
	.section	.text._ZN7rocprim17ROCPRIM_400000_NS6detail17trampoline_kernelINS0_14default_configENS1_35radix_sort_onesweep_config_selectorIxNS0_10empty_typeEEEZZNS1_29radix_sort_onesweep_iterationIS3_Lb0EN6thrust23THRUST_200600_302600_NS6detail15normal_iteratorINS9_10device_ptrIxEEEESE_PS5_SF_jNS0_19identity_decomposerENS1_16block_id_wrapperIjLb1EEEEE10hipError_tT1_PNSt15iterator_traitsISK_E10value_typeET2_T3_PNSL_ISQ_E10value_typeET4_T5_PSV_SW_PNS1_23onesweep_lookback_stateEbbT6_jjT7_P12ihipStream_tbENKUlT_T0_SK_SP_E_clISE_PxSF_SF_EEDaS13_S14_SK_SP_EUlS13_E_NS1_11comp_targetILNS1_3genE6ELNS1_11target_archE950ELNS1_3gpuE13ELNS1_3repE0EEENS1_47radix_sort_onesweep_sort_config_static_selectorELNS0_4arch9wavefront6targetE1EEEvSK_,"axG",@progbits,_ZN7rocprim17ROCPRIM_400000_NS6detail17trampoline_kernelINS0_14default_configENS1_35radix_sort_onesweep_config_selectorIxNS0_10empty_typeEEEZZNS1_29radix_sort_onesweep_iterationIS3_Lb0EN6thrust23THRUST_200600_302600_NS6detail15normal_iteratorINS9_10device_ptrIxEEEESE_PS5_SF_jNS0_19identity_decomposerENS1_16block_id_wrapperIjLb1EEEEE10hipError_tT1_PNSt15iterator_traitsISK_E10value_typeET2_T3_PNSL_ISQ_E10value_typeET4_T5_PSV_SW_PNS1_23onesweep_lookback_stateEbbT6_jjT7_P12ihipStream_tbENKUlT_T0_SK_SP_E_clISE_PxSF_SF_EEDaS13_S14_SK_SP_EUlS13_E_NS1_11comp_targetILNS1_3genE6ELNS1_11target_archE950ELNS1_3gpuE13ELNS1_3repE0EEENS1_47radix_sort_onesweep_sort_config_static_selectorELNS0_4arch9wavefront6targetE1EEEvSK_,comdat
.Lfunc_end1552:
	.size	_ZN7rocprim17ROCPRIM_400000_NS6detail17trampoline_kernelINS0_14default_configENS1_35radix_sort_onesweep_config_selectorIxNS0_10empty_typeEEEZZNS1_29radix_sort_onesweep_iterationIS3_Lb0EN6thrust23THRUST_200600_302600_NS6detail15normal_iteratorINS9_10device_ptrIxEEEESE_PS5_SF_jNS0_19identity_decomposerENS1_16block_id_wrapperIjLb1EEEEE10hipError_tT1_PNSt15iterator_traitsISK_E10value_typeET2_T3_PNSL_ISQ_E10value_typeET4_T5_PSV_SW_PNS1_23onesweep_lookback_stateEbbT6_jjT7_P12ihipStream_tbENKUlT_T0_SK_SP_E_clISE_PxSF_SF_EEDaS13_S14_SK_SP_EUlS13_E_NS1_11comp_targetILNS1_3genE6ELNS1_11target_archE950ELNS1_3gpuE13ELNS1_3repE0EEENS1_47radix_sort_onesweep_sort_config_static_selectorELNS0_4arch9wavefront6targetE1EEEvSK_, .Lfunc_end1552-_ZN7rocprim17ROCPRIM_400000_NS6detail17trampoline_kernelINS0_14default_configENS1_35radix_sort_onesweep_config_selectorIxNS0_10empty_typeEEEZZNS1_29radix_sort_onesweep_iterationIS3_Lb0EN6thrust23THRUST_200600_302600_NS6detail15normal_iteratorINS9_10device_ptrIxEEEESE_PS5_SF_jNS0_19identity_decomposerENS1_16block_id_wrapperIjLb1EEEEE10hipError_tT1_PNSt15iterator_traitsISK_E10value_typeET2_T3_PNSL_ISQ_E10value_typeET4_T5_PSV_SW_PNS1_23onesweep_lookback_stateEbbT6_jjT7_P12ihipStream_tbENKUlT_T0_SK_SP_E_clISE_PxSF_SF_EEDaS13_S14_SK_SP_EUlS13_E_NS1_11comp_targetILNS1_3genE6ELNS1_11target_archE950ELNS1_3gpuE13ELNS1_3repE0EEENS1_47radix_sort_onesweep_sort_config_static_selectorELNS0_4arch9wavefront6targetE1EEEvSK_
                                        ; -- End function
	.section	.AMDGPU.csdata,"",@progbits
; Kernel info:
; codeLenInByte = 0
; NumSgprs: 6
; NumVgprs: 0
; NumAgprs: 0
; TotalNumVgprs: 0
; ScratchSize: 0
; MemoryBound: 0
; FloatMode: 240
; IeeeMode: 1
; LDSByteSize: 0 bytes/workgroup (compile time only)
; SGPRBlocks: 0
; VGPRBlocks: 0
; NumSGPRsForWavesPerEU: 6
; NumVGPRsForWavesPerEU: 1
; AccumOffset: 4
; Occupancy: 8
; WaveLimiterHint : 0
; COMPUTE_PGM_RSRC2:SCRATCH_EN: 0
; COMPUTE_PGM_RSRC2:USER_SGPR: 2
; COMPUTE_PGM_RSRC2:TRAP_HANDLER: 0
; COMPUTE_PGM_RSRC2:TGID_X_EN: 1
; COMPUTE_PGM_RSRC2:TGID_Y_EN: 0
; COMPUTE_PGM_RSRC2:TGID_Z_EN: 0
; COMPUTE_PGM_RSRC2:TIDIG_COMP_CNT: 0
; COMPUTE_PGM_RSRC3_GFX90A:ACCUM_OFFSET: 0
; COMPUTE_PGM_RSRC3_GFX90A:TG_SPLIT: 0
	.section	.text._ZN7rocprim17ROCPRIM_400000_NS6detail17trampoline_kernelINS0_14default_configENS1_35radix_sort_onesweep_config_selectorIxNS0_10empty_typeEEEZZNS1_29radix_sort_onesweep_iterationIS3_Lb0EN6thrust23THRUST_200600_302600_NS6detail15normal_iteratorINS9_10device_ptrIxEEEESE_PS5_SF_jNS0_19identity_decomposerENS1_16block_id_wrapperIjLb1EEEEE10hipError_tT1_PNSt15iterator_traitsISK_E10value_typeET2_T3_PNSL_ISQ_E10value_typeET4_T5_PSV_SW_PNS1_23onesweep_lookback_stateEbbT6_jjT7_P12ihipStream_tbENKUlT_T0_SK_SP_E_clISE_PxSF_SF_EEDaS13_S14_SK_SP_EUlS13_E_NS1_11comp_targetILNS1_3genE5ELNS1_11target_archE942ELNS1_3gpuE9ELNS1_3repE0EEENS1_47radix_sort_onesweep_sort_config_static_selectorELNS0_4arch9wavefront6targetE1EEEvSK_,"axG",@progbits,_ZN7rocprim17ROCPRIM_400000_NS6detail17trampoline_kernelINS0_14default_configENS1_35radix_sort_onesweep_config_selectorIxNS0_10empty_typeEEEZZNS1_29radix_sort_onesweep_iterationIS3_Lb0EN6thrust23THRUST_200600_302600_NS6detail15normal_iteratorINS9_10device_ptrIxEEEESE_PS5_SF_jNS0_19identity_decomposerENS1_16block_id_wrapperIjLb1EEEEE10hipError_tT1_PNSt15iterator_traitsISK_E10value_typeET2_T3_PNSL_ISQ_E10value_typeET4_T5_PSV_SW_PNS1_23onesweep_lookback_stateEbbT6_jjT7_P12ihipStream_tbENKUlT_T0_SK_SP_E_clISE_PxSF_SF_EEDaS13_S14_SK_SP_EUlS13_E_NS1_11comp_targetILNS1_3genE5ELNS1_11target_archE942ELNS1_3gpuE9ELNS1_3repE0EEENS1_47radix_sort_onesweep_sort_config_static_selectorELNS0_4arch9wavefront6targetE1EEEvSK_,comdat
	.protected	_ZN7rocprim17ROCPRIM_400000_NS6detail17trampoline_kernelINS0_14default_configENS1_35radix_sort_onesweep_config_selectorIxNS0_10empty_typeEEEZZNS1_29radix_sort_onesweep_iterationIS3_Lb0EN6thrust23THRUST_200600_302600_NS6detail15normal_iteratorINS9_10device_ptrIxEEEESE_PS5_SF_jNS0_19identity_decomposerENS1_16block_id_wrapperIjLb1EEEEE10hipError_tT1_PNSt15iterator_traitsISK_E10value_typeET2_T3_PNSL_ISQ_E10value_typeET4_T5_PSV_SW_PNS1_23onesweep_lookback_stateEbbT6_jjT7_P12ihipStream_tbENKUlT_T0_SK_SP_E_clISE_PxSF_SF_EEDaS13_S14_SK_SP_EUlS13_E_NS1_11comp_targetILNS1_3genE5ELNS1_11target_archE942ELNS1_3gpuE9ELNS1_3repE0EEENS1_47radix_sort_onesweep_sort_config_static_selectorELNS0_4arch9wavefront6targetE1EEEvSK_ ; -- Begin function _ZN7rocprim17ROCPRIM_400000_NS6detail17trampoline_kernelINS0_14default_configENS1_35radix_sort_onesweep_config_selectorIxNS0_10empty_typeEEEZZNS1_29radix_sort_onesweep_iterationIS3_Lb0EN6thrust23THRUST_200600_302600_NS6detail15normal_iteratorINS9_10device_ptrIxEEEESE_PS5_SF_jNS0_19identity_decomposerENS1_16block_id_wrapperIjLb1EEEEE10hipError_tT1_PNSt15iterator_traitsISK_E10value_typeET2_T3_PNSL_ISQ_E10value_typeET4_T5_PSV_SW_PNS1_23onesweep_lookback_stateEbbT6_jjT7_P12ihipStream_tbENKUlT_T0_SK_SP_E_clISE_PxSF_SF_EEDaS13_S14_SK_SP_EUlS13_E_NS1_11comp_targetILNS1_3genE5ELNS1_11target_archE942ELNS1_3gpuE9ELNS1_3repE0EEENS1_47radix_sort_onesweep_sort_config_static_selectorELNS0_4arch9wavefront6targetE1EEEvSK_
	.globl	_ZN7rocprim17ROCPRIM_400000_NS6detail17trampoline_kernelINS0_14default_configENS1_35radix_sort_onesweep_config_selectorIxNS0_10empty_typeEEEZZNS1_29radix_sort_onesweep_iterationIS3_Lb0EN6thrust23THRUST_200600_302600_NS6detail15normal_iteratorINS9_10device_ptrIxEEEESE_PS5_SF_jNS0_19identity_decomposerENS1_16block_id_wrapperIjLb1EEEEE10hipError_tT1_PNSt15iterator_traitsISK_E10value_typeET2_T3_PNSL_ISQ_E10value_typeET4_T5_PSV_SW_PNS1_23onesweep_lookback_stateEbbT6_jjT7_P12ihipStream_tbENKUlT_T0_SK_SP_E_clISE_PxSF_SF_EEDaS13_S14_SK_SP_EUlS13_E_NS1_11comp_targetILNS1_3genE5ELNS1_11target_archE942ELNS1_3gpuE9ELNS1_3repE0EEENS1_47radix_sort_onesweep_sort_config_static_selectorELNS0_4arch9wavefront6targetE1EEEvSK_
	.p2align	8
	.type	_ZN7rocprim17ROCPRIM_400000_NS6detail17trampoline_kernelINS0_14default_configENS1_35radix_sort_onesweep_config_selectorIxNS0_10empty_typeEEEZZNS1_29radix_sort_onesweep_iterationIS3_Lb0EN6thrust23THRUST_200600_302600_NS6detail15normal_iteratorINS9_10device_ptrIxEEEESE_PS5_SF_jNS0_19identity_decomposerENS1_16block_id_wrapperIjLb1EEEEE10hipError_tT1_PNSt15iterator_traitsISK_E10value_typeET2_T3_PNSL_ISQ_E10value_typeET4_T5_PSV_SW_PNS1_23onesweep_lookback_stateEbbT6_jjT7_P12ihipStream_tbENKUlT_T0_SK_SP_E_clISE_PxSF_SF_EEDaS13_S14_SK_SP_EUlS13_E_NS1_11comp_targetILNS1_3genE5ELNS1_11target_archE942ELNS1_3gpuE9ELNS1_3repE0EEENS1_47radix_sort_onesweep_sort_config_static_selectorELNS0_4arch9wavefront6targetE1EEEvSK_,@function
_ZN7rocprim17ROCPRIM_400000_NS6detail17trampoline_kernelINS0_14default_configENS1_35radix_sort_onesweep_config_selectorIxNS0_10empty_typeEEEZZNS1_29radix_sort_onesweep_iterationIS3_Lb0EN6thrust23THRUST_200600_302600_NS6detail15normal_iteratorINS9_10device_ptrIxEEEESE_PS5_SF_jNS0_19identity_decomposerENS1_16block_id_wrapperIjLb1EEEEE10hipError_tT1_PNSt15iterator_traitsISK_E10value_typeET2_T3_PNSL_ISQ_E10value_typeET4_T5_PSV_SW_PNS1_23onesweep_lookback_stateEbbT6_jjT7_P12ihipStream_tbENKUlT_T0_SK_SP_E_clISE_PxSF_SF_EEDaS13_S14_SK_SP_EUlS13_E_NS1_11comp_targetILNS1_3genE5ELNS1_11target_archE942ELNS1_3gpuE9ELNS1_3repE0EEENS1_47radix_sort_onesweep_sort_config_static_selectorELNS0_4arch9wavefront6targetE1EEEvSK_: ; @_ZN7rocprim17ROCPRIM_400000_NS6detail17trampoline_kernelINS0_14default_configENS1_35radix_sort_onesweep_config_selectorIxNS0_10empty_typeEEEZZNS1_29radix_sort_onesweep_iterationIS3_Lb0EN6thrust23THRUST_200600_302600_NS6detail15normal_iteratorINS9_10device_ptrIxEEEESE_PS5_SF_jNS0_19identity_decomposerENS1_16block_id_wrapperIjLb1EEEEE10hipError_tT1_PNSt15iterator_traitsISK_E10value_typeET2_T3_PNSL_ISQ_E10value_typeET4_T5_PSV_SW_PNS1_23onesweep_lookback_stateEbbT6_jjT7_P12ihipStream_tbENKUlT_T0_SK_SP_E_clISE_PxSF_SF_EEDaS13_S14_SK_SP_EUlS13_E_NS1_11comp_targetILNS1_3genE5ELNS1_11target_archE942ELNS1_3gpuE9ELNS1_3repE0EEENS1_47radix_sort_onesweep_sort_config_static_selectorELNS0_4arch9wavefront6targetE1EEEvSK_
; %bb.0:
	s_load_dwordx4 s[20:23], s[0:1], 0x28
	s_load_dwordx2 s[18:19], s[0:1], 0x38
	s_load_dwordx4 s[24:27], s[0:1], 0x44
	v_and_b32_e32 v2, 0x3ff, v0
	v_cmp_eq_u32_e64 s[4:5], 0, v2
	s_and_saveexec_b64 s[6:7], s[4:5]
	s_cbranch_execz .LBB1553_4
; %bb.1:
	s_mov_b64 s[10:11], exec
	v_mbcnt_lo_u32_b32 v1, s10, 0
	v_mbcnt_hi_u32_b32 v1, s11, v1
	v_cmp_eq_u32_e32 vcc, 0, v1
                                        ; implicit-def: $vgpr3
	s_and_saveexec_b64 s[8:9], vcc
	s_cbranch_execz .LBB1553_3
; %bb.2:
	s_load_dwordx2 s[12:13], s[0:1], 0x50
	s_bcnt1_i32_b64 s3, s[10:11]
	v_mov_b32_e32 v3, 0
	v_mov_b32_e32 v4, s3
	s_waitcnt lgkmcnt(0)
	global_atomic_add v3, v3, v4, s[12:13] sc0
.LBB1553_3:
	s_or_b64 exec, exec, s[8:9]
	s_waitcnt vmcnt(0)
	v_readfirstlane_b32 s3, v3
	v_mov_b32_e32 v3, 0
	s_nop 0
	v_add_u32_e32 v1, s3, v1
	ds_write_b32 v3, v1 offset:10272
.LBB1553_4:
	s_or_b64 exec, exec, s[6:7]
	v_mov_b32_e32 v5, 0
	s_load_dwordx4 s[28:31], s[0:1], 0x0
	s_load_dword s3, s[0:1], 0x20
	s_waitcnt lgkmcnt(0)
	s_barrier
	ds_read_b32 v1, v5 offset:10272
	s_waitcnt lgkmcnt(0)
	s_barrier
	v_readfirstlane_b32 s27, v1
	v_cmp_le_u32_e32 vcc, s26, v1
	s_mul_i32 s34, s27, 0x1800
	v_mbcnt_lo_u32_b32 v1, -1, 0
	s_cbranch_vccz .LBB1553_103
; %bb.5:
	s_mul_i32 s6, s26, 0xffffe800
	s_mov_b32 s35, 0
	s_add_i32 s3, s6, s3
	s_lshl_b64 s[6:7], s[34:35], 3
	v_mbcnt_hi_u32_b32 v3, -1, v1
	s_add_u32 s8, s28, s6
	v_and_b32_e32 v8, 63, v3
	v_and_b32_e32 v32, 0x3c0, v2
	s_addc_u32 s9, s29, s7
	s_mov_b32 s6, -1
	v_mul_u32_u24_e32 v9, 12, v32
	v_lshlrev_b32_e32 v4, 3, v8
	s_brev_b32 s7, -2
	v_lshl_add_u64 v[6:7], s[8:9], 0, v[4:5]
	v_lshlrev_b32_e32 v4, 3, v9
	v_or_b32_e32 v26, v8, v9
	v_lshl_add_u64 v[28:29], v[6:7], 0, v[4:5]
	v_cmp_gt_u32_e32 vcc, s3, v26
	v_mov_b64_e32 v[4:5], s[6:7]
	s_and_saveexec_b64 s[8:9], vcc
	s_cbranch_execz .LBB1553_7
; %bb.6:
	global_load_dwordx2 v[4:5], v[28:29], off
.LBB1553_7:
	s_or_b64 exec, exec, s[8:9]
	v_or_b32_e32 v6, 64, v26
	v_cmp_gt_u32_e32 vcc, s3, v6
	v_mov_b64_e32 v[6:7], s[6:7]
	s_and_saveexec_b64 s[6:7], vcc
	s_cbranch_execz .LBB1553_9
; %bb.8:
	global_load_dwordx2 v[6:7], v[28:29], off offset:512
.LBB1553_9:
	s_or_b64 exec, exec, s[6:7]
	s_mov_b32 s6, -1
	v_or_b32_e32 v8, 0x80, v26
	s_brev_b32 s7, -2
	v_cmp_gt_u32_e32 vcc, s3, v8
	v_mov_b64_e32 v[8:9], s[6:7]
	s_and_saveexec_b64 s[8:9], vcc
	s_cbranch_execz .LBB1553_11
; %bb.10:
	global_load_dwordx2 v[8:9], v[28:29], off offset:1024
.LBB1553_11:
	s_or_b64 exec, exec, s[8:9]
	v_or_b32_e32 v10, 0xc0, v26
	v_cmp_gt_u32_e32 vcc, s3, v10
	v_mov_b64_e32 v[10:11], s[6:7]
	s_and_saveexec_b64 s[6:7], vcc
	s_cbranch_execz .LBB1553_13
; %bb.12:
	global_load_dwordx2 v[10:11], v[28:29], off offset:1536
.LBB1553_13:
	s_or_b64 exec, exec, s[6:7]
	s_mov_b32 s6, -1
	v_add_u32_e32 v12, 0x100, v26
	s_brev_b32 s7, -2
	v_cmp_gt_u32_e32 vcc, s3, v12
	v_mov_b64_e32 v[12:13], s[6:7]
	s_and_saveexec_b64 s[8:9], vcc
	s_cbranch_execz .LBB1553_15
; %bb.14:
	global_load_dwordx2 v[12:13], v[28:29], off offset:2048
.LBB1553_15:
	s_or_b64 exec, exec, s[8:9]
	v_add_u32_e32 v14, 0x140, v26
	v_cmp_gt_u32_e32 vcc, s3, v14
	v_mov_b64_e32 v[14:15], s[6:7]
	s_and_saveexec_b64 s[6:7], vcc
	s_cbranch_execz .LBB1553_17
; %bb.16:
	global_load_dwordx2 v[14:15], v[28:29], off offset:2560
.LBB1553_17:
	s_or_b64 exec, exec, s[6:7]
	s_mov_b32 s6, -1
	v_add_u32_e32 v16, 0x180, v26
	s_brev_b32 s7, -2
	v_cmp_gt_u32_e32 vcc, s3, v16
	v_mov_b64_e32 v[16:17], s[6:7]
	s_and_saveexec_b64 s[8:9], vcc
	s_cbranch_execz .LBB1553_19
; %bb.18:
	global_load_dwordx2 v[16:17], v[28:29], off offset:3072
.LBB1553_19:
	s_or_b64 exec, exec, s[8:9]
	v_add_u32_e32 v18, 0x1c0, v26
	v_cmp_gt_u32_e32 vcc, s3, v18
	v_mov_b64_e32 v[18:19], s[6:7]
	s_and_saveexec_b64 s[6:7], vcc
	s_cbranch_execz .LBB1553_21
; %bb.20:
	global_load_dwordx2 v[18:19], v[28:29], off offset:3584
.LBB1553_21:
	s_or_b64 exec, exec, s[6:7]
	s_mov_b32 s6, -1
	v_add_u32_e32 v20, 0x200, v26
	s_brev_b32 s7, -2
	v_cmp_gt_u32_e32 vcc, s3, v20
	v_mov_b64_e32 v[20:21], s[6:7]
	s_and_saveexec_b64 s[8:9], vcc
	s_cbranch_execz .LBB1553_23
; %bb.22:
	v_add_co_u32_e32 v20, vcc, 0x1000, v28
	s_nop 1
	v_addc_co_u32_e32 v21, vcc, 0, v29, vcc
	global_load_dwordx2 v[20:21], v[20:21], off
.LBB1553_23:
	s_or_b64 exec, exec, s[8:9]
	v_add_u32_e32 v22, 0x240, v26
	v_cmp_gt_u32_e32 vcc, s3, v22
	v_mov_b64_e32 v[22:23], s[6:7]
	s_and_saveexec_b64 s[6:7], vcc
	s_cbranch_execz .LBB1553_25
; %bb.24:
	v_add_co_u32_e32 v22, vcc, 0x1000, v28
	s_nop 1
	v_addc_co_u32_e32 v23, vcc, 0, v29, vcc
	global_load_dwordx2 v[22:23], v[22:23], off offset:512
.LBB1553_25:
	s_or_b64 exec, exec, s[6:7]
	s_mov_b32 s6, -1
	v_add_u32_e32 v24, 0x280, v26
	s_brev_b32 s7, -2
	v_cmp_gt_u32_e32 vcc, s3, v24
	v_mov_b64_e32 v[24:25], s[6:7]
	s_and_saveexec_b64 s[8:9], vcc
	s_cbranch_execz .LBB1553_27
; %bb.26:
	v_add_co_u32_e32 v24, vcc, 0x1000, v28
	s_nop 1
	v_addc_co_u32_e32 v25, vcc, 0, v29, vcc
	global_load_dwordx2 v[24:25], v[24:25], off offset:1024
.LBB1553_27:
	s_or_b64 exec, exec, s[8:9]
	v_add_u32_e32 v26, 0x2c0, v26
	v_cmp_gt_u32_e32 vcc, s3, v26
	v_mov_b64_e32 v[26:27], s[6:7]
	s_and_saveexec_b64 s[6:7], vcc
	s_cbranch_execz .LBB1553_29
; %bb.28:
	v_add_co_u32_e32 v26, vcc, 0x1000, v28
	s_nop 1
	v_addc_co_u32_e32 v27, vcc, 0, v29, vcc
	global_load_dwordx2 v[26:27], v[26:27], off offset:1536
.LBB1553_29:
	s_or_b64 exec, exec, s[6:7]
	s_load_dword s6, s[0:1], 0x64
	s_load_dword s26, s[0:1], 0x58
	s_add_u32 s7, s0, 0x58
	s_addc_u32 s8, s1, 0
	v_mov_b32_e32 v29, 0
	s_waitcnt lgkmcnt(0)
	s_lshr_b32 s9, s6, 16
	s_cmp_lt_u32 s2, s26
	s_cselect_b32 s6, 12, 18
	s_add_u32 s6, s7, s6
	s_addc_u32 s7, s8, 0
	global_load_ushort v46, v29, s[6:7]
	s_waitcnt vmcnt(1)
	v_xor_b32_e32 v5, 0x80000000, v5
	v_mul_u32_u24_e32 v30, 5, v2
	s_lshl_b32 s6, -1, s25
	v_lshlrev_b32_e32 v33, 2, v30
	v_lshrrev_b64 v[30:31], s24, v[4:5]
	s_not_b32 s33, s6
	v_bfe_u32 v28, v0, 10, 10
	v_bfe_u32 v35, v0, 20, 10
	v_and_b32_e32 v48, s33, v30
	v_mad_u32_u24 v47, v35, s9, v28
	v_and_b32_e32 v28, 1, v48
	v_lshlrev_b32_e32 v35, 30, v48
	v_mov_b32_e32 v34, v29
	v_lshlrev_b32_e32 v37, 29, v48
	v_lshl_add_u64 v[30:31], v[28:29], 0, -1
	v_cmp_ne_u32_e32 vcc, 0, v28
	v_not_b32_e32 v28, v35
	v_mov_b32_e32 v36, v29
	v_mov_b32_e32 v38, v29
	v_lshlrev_b32_e32 v39, 28, v48
	v_cmp_gt_i64_e64 s[6:7], 0, v[34:35]
	v_not_b32_e32 v34, v37
	v_xor_b32_e32 v31, vcc_hi, v31
	v_ashrrev_i32_e32 v28, 31, v28
	v_mov_b32_e32 v40, v29
	v_lshlrev_b32_e32 v41, 27, v48
	v_cmp_gt_i64_e64 s[8:9], 0, v[36:37]
	v_cmp_gt_i64_e64 s[10:11], 0, v[38:39]
	v_not_b32_e32 v35, v39
	v_xor_b32_e32 v30, vcc_lo, v30
	v_ashrrev_i32_e32 v34, 31, v34
	v_and_b32_e32 v31, exec_hi, v31
	v_xor_b32_e32 v39, s7, v28
	v_lshlrev_b32_e32 v43, 26, v48
	v_cmp_gt_i64_e64 s[12:13], 0, v[40:41]
	v_not_b32_e32 v36, v41
	v_ashrrev_i32_e32 v35, 31, v35
	v_and_b32_e32 v30, exec_lo, v30
	v_xor_b32_e32 v28, s6, v28
	v_xor_b32_e32 v40, s9, v34
	v_and_b32_e32 v31, v31, v39
	v_mov_b32_e32 v42, v29
	v_lshlrev_b32_e32 v45, 25, v48
	v_not_b32_e32 v37, v43
	v_ashrrev_i32_e32 v36, 31, v36
	v_xor_b32_e32 v41, s11, v35
	v_and_b32_e32 v28, v30, v28
	v_and_b32_e32 v30, v31, v40
	v_mov_b32_e32 v44, v29
	v_cmp_gt_i64_e64 s[14:15], 0, v[42:43]
	v_not_b32_e32 v38, v45
	v_ashrrev_i32_e32 v37, 31, v37
	v_xor_b32_e32 v42, s13, v36
	v_and_b32_e32 v30, v30, v41
	v_cmp_gt_i64_e64 s[16:17], 0, v[44:45]
	v_ashrrev_i32_e32 v38, 31, v38
	v_xor_b32_e32 v43, s15, v37
	v_and_b32_e32 v30, v30, v42
	v_xor_b32_e32 v34, s8, v34
	v_xor_b32_e32 v44, s17, v38
	v_and_b32_e32 v30, v30, v43
	v_xor_b32_e32 v35, s10, v35
	v_and_b32_e32 v28, v28, v34
	v_and_b32_e32 v34, v30, v44
	v_xor_b32_e32 v36, s12, v36
	v_and_b32_e32 v28, v28, v35
	v_xor_b32_e32 v37, s14, v37
	;; [unrolled: 2-line block ×3, first 2 shown]
	v_and_b32_e32 v28, v28, v37
	v_and_b32_e32 v28, v28, v38
	v_lshl_add_u32 v49, v48, 3, v48
	ds_write2_b32 v33, v29, v29 offset0:8 offset1:9
	ds_write2_b32 v33, v29, v29 offset0:10 offset1:11
	ds_write_b32 v33, v29 offset:48
	s_waitcnt lgkmcnt(0)
	s_barrier
	s_waitcnt lgkmcnt(0)
	; wave barrier
	s_waitcnt vmcnt(0)
	v_mad_u64_u32 v[30:31], s[6:7], v47, v46, v[2:3]
	v_lshrrev_b32_e32 v45, 6, v30
	v_lshlrev_b32_e32 v31, 24, v48
	v_mov_b32_e32 v30, v29
	v_cmp_gt_i64_e32 vcc, 0, v[30:31]
	v_not_b32_e32 v30, v31
	v_ashrrev_i32_e32 v30, 31, v30
	v_xor_b32_e32 v31, vcc_hi, v30
	v_xor_b32_e32 v30, vcc_lo, v30
	v_and_b32_e32 v30, v28, v30
	v_and_b32_e32 v31, v34, v31
	v_mbcnt_lo_u32_b32 v28, v30, 0
	v_mbcnt_hi_u32_b32 v35, v31, v28
	v_cmp_eq_u32_e32 vcc, 0, v35
	v_cmp_ne_u64_e64 s[6:7], 0, v[30:31]
	v_add_lshl_u32 v38, v45, v49, 2
	s_and_b64 s[8:9], s[6:7], vcc
	s_and_saveexec_b64 s[6:7], s[8:9]
	s_cbranch_execz .LBB1553_31
; %bb.30:
	v_bcnt_u32_b32 v28, v30, 0
	v_bcnt_u32_b32 v28, v31, v28
	ds_write_b32 v38, v28 offset:32
.LBB1553_31:
	s_or_b64 exec, exec, s[6:7]
	v_xor_b32_e32 v7, 0x80000000, v7
	v_lshrrev_b64 v[30:31], s24, v[6:7]
	v_and_b32_e32 v36, s33, v30
	v_lshl_add_u32 v28, v36, 3, v36
	v_add_lshl_u32 v39, v45, v28, 2
	v_and_b32_e32 v28, 1, v36
	v_lshl_add_u64 v[30:31], v[28:29], 0, -1
	v_cmp_ne_u32_e32 vcc, 0, v28
	; wave barrier
	s_nop 1
	v_xor_b32_e32 v30, vcc_lo, v30
	v_xor_b32_e32 v28, vcc_hi, v31
	v_and_b32_e32 v37, exec_lo, v30
	v_lshlrev_b32_e32 v31, 30, v36
	v_mov_b32_e32 v30, v29
	v_cmp_gt_i64_e32 vcc, 0, v[30:31]
	v_not_b32_e32 v30, v31
	v_ashrrev_i32_e32 v30, 31, v30
	v_and_b32_e32 v28, exec_hi, v28
	v_xor_b32_e32 v31, vcc_hi, v30
	v_xor_b32_e32 v30, vcc_lo, v30
	v_and_b32_e32 v28, v28, v31
	v_and_b32_e32 v37, v37, v30
	v_lshlrev_b32_e32 v31, 29, v36
	v_mov_b32_e32 v30, v29
	v_cmp_gt_i64_e32 vcc, 0, v[30:31]
	v_not_b32_e32 v30, v31
	v_ashrrev_i32_e32 v30, 31, v30
	v_xor_b32_e32 v31, vcc_hi, v30
	v_xor_b32_e32 v30, vcc_lo, v30
	v_and_b32_e32 v28, v28, v31
	v_and_b32_e32 v37, v37, v30
	v_lshlrev_b32_e32 v31, 28, v36
	v_mov_b32_e32 v30, v29
	v_cmp_gt_i64_e32 vcc, 0, v[30:31]
	v_not_b32_e32 v30, v31
	v_ashrrev_i32_e32 v30, 31, v30
	v_xor_b32_e32 v31, vcc_hi, v30
	v_xor_b32_e32 v30, vcc_lo, v30
	v_and_b32_e32 v28, v28, v31
	v_and_b32_e32 v37, v37, v30
	v_lshlrev_b32_e32 v31, 27, v36
	v_mov_b32_e32 v30, v29
	v_cmp_gt_i64_e32 vcc, 0, v[30:31]
	v_not_b32_e32 v30, v31
	v_ashrrev_i32_e32 v30, 31, v30
	v_xor_b32_e32 v31, vcc_hi, v30
	v_xor_b32_e32 v30, vcc_lo, v30
	v_and_b32_e32 v28, v28, v31
	v_and_b32_e32 v37, v37, v30
	v_lshlrev_b32_e32 v31, 26, v36
	v_mov_b32_e32 v30, v29
	v_cmp_gt_i64_e32 vcc, 0, v[30:31]
	v_not_b32_e32 v30, v31
	v_ashrrev_i32_e32 v30, 31, v30
	v_xor_b32_e32 v31, vcc_hi, v30
	v_xor_b32_e32 v30, vcc_lo, v30
	v_and_b32_e32 v28, v28, v31
	v_and_b32_e32 v37, v37, v30
	v_lshlrev_b32_e32 v31, 25, v36
	v_mov_b32_e32 v30, v29
	v_cmp_gt_i64_e32 vcc, 0, v[30:31]
	v_not_b32_e32 v30, v31
	v_ashrrev_i32_e32 v30, 31, v30
	v_xor_b32_e32 v31, vcc_hi, v30
	v_xor_b32_e32 v30, vcc_lo, v30
	v_and_b32_e32 v28, v28, v31
	v_lshlrev_b32_e32 v31, 24, v36
	v_and_b32_e32 v37, v37, v30
	v_mov_b32_e32 v30, v29
	v_not_b32_e32 v29, v31
	v_cmp_gt_i64_e32 vcc, 0, v[30:31]
	v_ashrrev_i32_e32 v29, 31, v29
	ds_read_b32 v34, v39 offset:32
	v_xor_b32_e32 v30, vcc_hi, v29
	v_xor_b32_e32 v31, vcc_lo, v29
	v_and_b32_e32 v29, v28, v30
	v_and_b32_e32 v28, v37, v31
	v_mbcnt_lo_u32_b32 v30, v28, 0
	v_mbcnt_hi_u32_b32 v36, v29, v30
	v_cmp_eq_u32_e32 vcc, 0, v36
	v_cmp_ne_u64_e64 s[6:7], 0, v[28:29]
	s_and_b64 s[8:9], s[6:7], vcc
	; wave barrier
	s_and_saveexec_b64 s[6:7], s[8:9]
	s_cbranch_execz .LBB1553_33
; %bb.32:
	v_bcnt_u32_b32 v28, v28, 0
	v_bcnt_u32_b32 v28, v29, v28
	s_waitcnt lgkmcnt(0)
	v_add_u32_e32 v28, v34, v28
	ds_write_b32 v39, v28 offset:32
.LBB1553_33:
	s_or_b64 exec, exec, s[6:7]
	v_xor_b32_e32 v9, 0x80000000, v9
	v_lshrrev_b64 v[28:29], s24, v[8:9]
	v_and_b32_e32 v40, s33, v28
	v_lshl_add_u32 v28, v40, 3, v40
	v_add_lshl_u32 v42, v45, v28, 2
	v_and_b32_e32 v28, 1, v40
	v_mov_b32_e32 v29, 0
	v_lshl_add_u64 v[30:31], v[28:29], 0, -1
	v_cmp_ne_u32_e32 vcc, 0, v28
	; wave barrier
	s_nop 1
	v_xor_b32_e32 v30, vcc_lo, v30
	v_xor_b32_e32 v28, vcc_hi, v31
	v_and_b32_e32 v41, exec_lo, v30
	v_lshlrev_b32_e32 v31, 30, v40
	v_mov_b32_e32 v30, v29
	v_cmp_gt_i64_e32 vcc, 0, v[30:31]
	v_not_b32_e32 v30, v31
	v_ashrrev_i32_e32 v30, 31, v30
	v_and_b32_e32 v28, exec_hi, v28
	v_xor_b32_e32 v31, vcc_hi, v30
	v_xor_b32_e32 v30, vcc_lo, v30
	v_and_b32_e32 v28, v28, v31
	v_and_b32_e32 v41, v41, v30
	v_lshlrev_b32_e32 v31, 29, v40
	v_mov_b32_e32 v30, v29
	v_cmp_gt_i64_e32 vcc, 0, v[30:31]
	v_not_b32_e32 v30, v31
	v_ashrrev_i32_e32 v30, 31, v30
	v_xor_b32_e32 v31, vcc_hi, v30
	v_xor_b32_e32 v30, vcc_lo, v30
	v_and_b32_e32 v28, v28, v31
	v_and_b32_e32 v41, v41, v30
	v_lshlrev_b32_e32 v31, 28, v40
	v_mov_b32_e32 v30, v29
	v_cmp_gt_i64_e32 vcc, 0, v[30:31]
	v_not_b32_e32 v30, v31
	v_ashrrev_i32_e32 v30, 31, v30
	;; [unrolled: 9-line block ×6, first 2 shown]
	v_xor_b32_e32 v31, vcc_hi, v30
	v_xor_b32_e32 v30, vcc_lo, v30
	ds_read_b32 v37, v42 offset:32
	v_and_b32_e32 v30, v41, v30
	v_and_b32_e32 v31, v28, v31
	v_mbcnt_lo_u32_b32 v28, v30, 0
	v_mbcnt_hi_u32_b32 v40, v31, v28
	v_cmp_eq_u32_e32 vcc, 0, v40
	v_cmp_ne_u64_e64 s[6:7], 0, v[30:31]
	s_and_b64 s[8:9], s[6:7], vcc
	; wave barrier
	s_and_saveexec_b64 s[6:7], s[8:9]
	s_cbranch_execz .LBB1553_35
; %bb.34:
	v_bcnt_u32_b32 v28, v30, 0
	v_bcnt_u32_b32 v28, v31, v28
	s_waitcnt lgkmcnt(0)
	v_add_u32_e32 v28, v37, v28
	ds_write_b32 v42, v28 offset:32
.LBB1553_35:
	s_or_b64 exec, exec, s[6:7]
	v_xor_b32_e32 v11, 0x80000000, v11
	v_lshrrev_b64 v[30:31], s24, v[10:11]
	v_and_b32_e32 v43, s33, v30
	v_lshl_add_u32 v28, v43, 3, v43
	v_add_lshl_u32 v46, v45, v28, 2
	v_and_b32_e32 v28, 1, v43
	v_lshl_add_u64 v[30:31], v[28:29], 0, -1
	v_cmp_ne_u32_e32 vcc, 0, v28
	; wave barrier
	s_nop 1
	v_xor_b32_e32 v30, vcc_lo, v30
	v_xor_b32_e32 v28, vcc_hi, v31
	v_and_b32_e32 v44, exec_lo, v30
	v_lshlrev_b32_e32 v31, 30, v43
	v_mov_b32_e32 v30, v29
	v_cmp_gt_i64_e32 vcc, 0, v[30:31]
	v_not_b32_e32 v30, v31
	v_ashrrev_i32_e32 v30, 31, v30
	v_and_b32_e32 v28, exec_hi, v28
	v_xor_b32_e32 v31, vcc_hi, v30
	v_xor_b32_e32 v30, vcc_lo, v30
	v_and_b32_e32 v28, v28, v31
	v_and_b32_e32 v44, v44, v30
	v_lshlrev_b32_e32 v31, 29, v43
	v_mov_b32_e32 v30, v29
	v_cmp_gt_i64_e32 vcc, 0, v[30:31]
	v_not_b32_e32 v30, v31
	v_ashrrev_i32_e32 v30, 31, v30
	v_xor_b32_e32 v31, vcc_hi, v30
	v_xor_b32_e32 v30, vcc_lo, v30
	v_and_b32_e32 v28, v28, v31
	v_and_b32_e32 v44, v44, v30
	v_lshlrev_b32_e32 v31, 28, v43
	v_mov_b32_e32 v30, v29
	v_cmp_gt_i64_e32 vcc, 0, v[30:31]
	v_not_b32_e32 v30, v31
	v_ashrrev_i32_e32 v30, 31, v30
	;; [unrolled: 9-line block ×5, first 2 shown]
	v_xor_b32_e32 v31, vcc_hi, v30
	v_xor_b32_e32 v30, vcc_lo, v30
	v_and_b32_e32 v28, v28, v31
	v_lshlrev_b32_e32 v31, 24, v43
	v_and_b32_e32 v44, v44, v30
	v_mov_b32_e32 v30, v29
	v_not_b32_e32 v29, v31
	v_cmp_gt_i64_e32 vcc, 0, v[30:31]
	v_ashrrev_i32_e32 v29, 31, v29
	ds_read_b32 v41, v46 offset:32
	v_xor_b32_e32 v30, vcc_hi, v29
	v_xor_b32_e32 v31, vcc_lo, v29
	v_and_b32_e32 v29, v28, v30
	v_and_b32_e32 v28, v44, v31
	v_mbcnt_lo_u32_b32 v30, v28, 0
	v_mbcnt_hi_u32_b32 v43, v29, v30
	v_cmp_eq_u32_e32 vcc, 0, v43
	v_cmp_ne_u64_e64 s[6:7], 0, v[28:29]
	s_and_b64 s[8:9], s[6:7], vcc
	; wave barrier
	s_and_saveexec_b64 s[6:7], s[8:9]
	s_cbranch_execz .LBB1553_37
; %bb.36:
	v_bcnt_u32_b32 v28, v28, 0
	v_bcnt_u32_b32 v28, v29, v28
	s_waitcnt lgkmcnt(0)
	v_add_u32_e32 v28, v41, v28
	ds_write_b32 v46, v28 offset:32
.LBB1553_37:
	s_or_b64 exec, exec, s[6:7]
	v_xor_b32_e32 v13, 0x80000000, v13
	v_lshrrev_b64 v[28:29], s24, v[12:13]
	v_and_b32_e32 v47, s33, v28
	v_lshl_add_u32 v28, v47, 3, v47
	v_add_lshl_u32 v49, v45, v28, 2
	v_and_b32_e32 v28, 1, v47
	v_mov_b32_e32 v29, 0
	v_lshl_add_u64 v[30:31], v[28:29], 0, -1
	v_cmp_ne_u32_e32 vcc, 0, v28
	; wave barrier
	s_nop 1
	v_xor_b32_e32 v30, vcc_lo, v30
	v_xor_b32_e32 v28, vcc_hi, v31
	v_and_b32_e32 v48, exec_lo, v30
	v_lshlrev_b32_e32 v31, 30, v47
	v_mov_b32_e32 v30, v29
	v_cmp_gt_i64_e32 vcc, 0, v[30:31]
	v_not_b32_e32 v30, v31
	v_ashrrev_i32_e32 v30, 31, v30
	v_and_b32_e32 v28, exec_hi, v28
	v_xor_b32_e32 v31, vcc_hi, v30
	v_xor_b32_e32 v30, vcc_lo, v30
	v_and_b32_e32 v28, v28, v31
	v_and_b32_e32 v48, v48, v30
	v_lshlrev_b32_e32 v31, 29, v47
	v_mov_b32_e32 v30, v29
	v_cmp_gt_i64_e32 vcc, 0, v[30:31]
	v_not_b32_e32 v30, v31
	v_ashrrev_i32_e32 v30, 31, v30
	v_xor_b32_e32 v31, vcc_hi, v30
	v_xor_b32_e32 v30, vcc_lo, v30
	v_and_b32_e32 v28, v28, v31
	v_and_b32_e32 v48, v48, v30
	v_lshlrev_b32_e32 v31, 28, v47
	v_mov_b32_e32 v30, v29
	v_cmp_gt_i64_e32 vcc, 0, v[30:31]
	v_not_b32_e32 v30, v31
	v_ashrrev_i32_e32 v30, 31, v30
	;; [unrolled: 9-line block ×6, first 2 shown]
	v_xor_b32_e32 v31, vcc_hi, v30
	v_xor_b32_e32 v30, vcc_lo, v30
	ds_read_b32 v44, v49 offset:32
	v_and_b32_e32 v30, v48, v30
	v_and_b32_e32 v31, v28, v31
	v_mbcnt_lo_u32_b32 v28, v30, 0
	v_mbcnt_hi_u32_b32 v47, v31, v28
	v_cmp_eq_u32_e32 vcc, 0, v47
	v_cmp_ne_u64_e64 s[6:7], 0, v[30:31]
	s_and_b64 s[8:9], s[6:7], vcc
	; wave barrier
	s_and_saveexec_b64 s[6:7], s[8:9]
	s_cbranch_execz .LBB1553_39
; %bb.38:
	v_bcnt_u32_b32 v28, v30, 0
	v_bcnt_u32_b32 v28, v31, v28
	s_waitcnt lgkmcnt(0)
	v_add_u32_e32 v28, v44, v28
	ds_write_b32 v49, v28 offset:32
.LBB1553_39:
	s_or_b64 exec, exec, s[6:7]
	v_xor_b32_e32 v15, 0x80000000, v15
	v_lshrrev_b64 v[30:31], s24, v[14:15]
	v_and_b32_e32 v50, s33, v30
	v_lshl_add_u32 v28, v50, 3, v50
	v_add_lshl_u32 v52, v45, v28, 2
	v_and_b32_e32 v28, 1, v50
	v_lshl_add_u64 v[30:31], v[28:29], 0, -1
	v_cmp_ne_u32_e32 vcc, 0, v28
	; wave barrier
	s_nop 1
	v_xor_b32_e32 v30, vcc_lo, v30
	v_xor_b32_e32 v28, vcc_hi, v31
	v_and_b32_e32 v51, exec_lo, v30
	v_lshlrev_b32_e32 v31, 30, v50
	v_mov_b32_e32 v30, v29
	v_cmp_gt_i64_e32 vcc, 0, v[30:31]
	v_not_b32_e32 v30, v31
	v_ashrrev_i32_e32 v30, 31, v30
	v_and_b32_e32 v28, exec_hi, v28
	v_xor_b32_e32 v31, vcc_hi, v30
	v_xor_b32_e32 v30, vcc_lo, v30
	v_and_b32_e32 v28, v28, v31
	v_and_b32_e32 v51, v51, v30
	v_lshlrev_b32_e32 v31, 29, v50
	v_mov_b32_e32 v30, v29
	v_cmp_gt_i64_e32 vcc, 0, v[30:31]
	v_not_b32_e32 v30, v31
	v_ashrrev_i32_e32 v30, 31, v30
	v_xor_b32_e32 v31, vcc_hi, v30
	v_xor_b32_e32 v30, vcc_lo, v30
	v_and_b32_e32 v28, v28, v31
	v_and_b32_e32 v51, v51, v30
	v_lshlrev_b32_e32 v31, 28, v50
	v_mov_b32_e32 v30, v29
	v_cmp_gt_i64_e32 vcc, 0, v[30:31]
	v_not_b32_e32 v30, v31
	v_ashrrev_i32_e32 v30, 31, v30
	;; [unrolled: 9-line block ×5, first 2 shown]
	v_xor_b32_e32 v31, vcc_hi, v30
	v_xor_b32_e32 v30, vcc_lo, v30
	v_and_b32_e32 v28, v28, v31
	v_lshlrev_b32_e32 v31, 24, v50
	v_and_b32_e32 v51, v51, v30
	v_mov_b32_e32 v30, v29
	v_not_b32_e32 v29, v31
	v_cmp_gt_i64_e32 vcc, 0, v[30:31]
	v_ashrrev_i32_e32 v29, 31, v29
	ds_read_b32 v48, v52 offset:32
	v_xor_b32_e32 v30, vcc_hi, v29
	v_xor_b32_e32 v31, vcc_lo, v29
	v_and_b32_e32 v29, v28, v30
	v_and_b32_e32 v28, v51, v31
	v_mbcnt_lo_u32_b32 v30, v28, 0
	v_mbcnt_hi_u32_b32 v50, v29, v30
	v_cmp_eq_u32_e32 vcc, 0, v50
	v_cmp_ne_u64_e64 s[6:7], 0, v[28:29]
	s_and_b64 s[8:9], s[6:7], vcc
	; wave barrier
	s_and_saveexec_b64 s[6:7], s[8:9]
	s_cbranch_execz .LBB1553_41
; %bb.40:
	v_bcnt_u32_b32 v28, v28, 0
	v_bcnt_u32_b32 v28, v29, v28
	s_waitcnt lgkmcnt(0)
	v_add_u32_e32 v28, v48, v28
	ds_write_b32 v52, v28 offset:32
.LBB1553_41:
	s_or_b64 exec, exec, s[6:7]
	v_xor_b32_e32 v17, 0x80000000, v17
	v_lshrrev_b64 v[28:29], s24, v[16:17]
	v_and_b32_e32 v53, s33, v28
	v_lshl_add_u32 v28, v53, 3, v53
	v_add_lshl_u32 v55, v45, v28, 2
	v_and_b32_e32 v28, 1, v53
	v_mov_b32_e32 v29, 0
	v_lshl_add_u64 v[30:31], v[28:29], 0, -1
	v_cmp_ne_u32_e32 vcc, 0, v28
	; wave barrier
	s_nop 1
	v_xor_b32_e32 v30, vcc_lo, v30
	v_xor_b32_e32 v28, vcc_hi, v31
	v_and_b32_e32 v54, exec_lo, v30
	v_lshlrev_b32_e32 v31, 30, v53
	v_mov_b32_e32 v30, v29
	v_cmp_gt_i64_e32 vcc, 0, v[30:31]
	v_not_b32_e32 v30, v31
	v_ashrrev_i32_e32 v30, 31, v30
	v_and_b32_e32 v28, exec_hi, v28
	v_xor_b32_e32 v31, vcc_hi, v30
	v_xor_b32_e32 v30, vcc_lo, v30
	v_and_b32_e32 v28, v28, v31
	v_and_b32_e32 v54, v54, v30
	v_lshlrev_b32_e32 v31, 29, v53
	v_mov_b32_e32 v30, v29
	v_cmp_gt_i64_e32 vcc, 0, v[30:31]
	v_not_b32_e32 v30, v31
	v_ashrrev_i32_e32 v30, 31, v30
	v_xor_b32_e32 v31, vcc_hi, v30
	v_xor_b32_e32 v30, vcc_lo, v30
	v_and_b32_e32 v28, v28, v31
	v_and_b32_e32 v54, v54, v30
	v_lshlrev_b32_e32 v31, 28, v53
	v_mov_b32_e32 v30, v29
	v_cmp_gt_i64_e32 vcc, 0, v[30:31]
	v_not_b32_e32 v30, v31
	v_ashrrev_i32_e32 v30, 31, v30
	;; [unrolled: 9-line block ×6, first 2 shown]
	v_xor_b32_e32 v31, vcc_hi, v30
	v_xor_b32_e32 v30, vcc_lo, v30
	ds_read_b32 v51, v55 offset:32
	v_and_b32_e32 v30, v54, v30
	v_and_b32_e32 v31, v28, v31
	v_mbcnt_lo_u32_b32 v28, v30, 0
	v_mbcnt_hi_u32_b32 v53, v31, v28
	v_cmp_eq_u32_e32 vcc, 0, v53
	v_cmp_ne_u64_e64 s[6:7], 0, v[30:31]
	s_and_b64 s[8:9], s[6:7], vcc
	; wave barrier
	s_and_saveexec_b64 s[6:7], s[8:9]
	s_cbranch_execz .LBB1553_43
; %bb.42:
	v_bcnt_u32_b32 v28, v30, 0
	v_bcnt_u32_b32 v28, v31, v28
	s_waitcnt lgkmcnt(0)
	v_add_u32_e32 v28, v51, v28
	ds_write_b32 v55, v28 offset:32
.LBB1553_43:
	s_or_b64 exec, exec, s[6:7]
	v_xor_b32_e32 v19, 0x80000000, v19
	v_lshrrev_b64 v[30:31], s24, v[18:19]
	v_and_b32_e32 v56, s33, v30
	v_lshl_add_u32 v28, v56, 3, v56
	v_add_lshl_u32 v58, v45, v28, 2
	v_and_b32_e32 v28, 1, v56
	v_lshl_add_u64 v[30:31], v[28:29], 0, -1
	v_cmp_ne_u32_e32 vcc, 0, v28
	; wave barrier
	s_nop 1
	v_xor_b32_e32 v30, vcc_lo, v30
	v_xor_b32_e32 v28, vcc_hi, v31
	v_and_b32_e32 v57, exec_lo, v30
	v_lshlrev_b32_e32 v31, 30, v56
	v_mov_b32_e32 v30, v29
	v_cmp_gt_i64_e32 vcc, 0, v[30:31]
	v_not_b32_e32 v30, v31
	v_ashrrev_i32_e32 v30, 31, v30
	v_and_b32_e32 v28, exec_hi, v28
	v_xor_b32_e32 v31, vcc_hi, v30
	v_xor_b32_e32 v30, vcc_lo, v30
	v_and_b32_e32 v28, v28, v31
	v_and_b32_e32 v57, v57, v30
	v_lshlrev_b32_e32 v31, 29, v56
	v_mov_b32_e32 v30, v29
	v_cmp_gt_i64_e32 vcc, 0, v[30:31]
	v_not_b32_e32 v30, v31
	v_ashrrev_i32_e32 v30, 31, v30
	v_xor_b32_e32 v31, vcc_hi, v30
	v_xor_b32_e32 v30, vcc_lo, v30
	v_and_b32_e32 v28, v28, v31
	v_and_b32_e32 v57, v57, v30
	v_lshlrev_b32_e32 v31, 28, v56
	v_mov_b32_e32 v30, v29
	v_cmp_gt_i64_e32 vcc, 0, v[30:31]
	v_not_b32_e32 v30, v31
	v_ashrrev_i32_e32 v30, 31, v30
	;; [unrolled: 9-line block ×5, first 2 shown]
	v_xor_b32_e32 v31, vcc_hi, v30
	v_xor_b32_e32 v30, vcc_lo, v30
	v_and_b32_e32 v28, v28, v31
	v_lshlrev_b32_e32 v31, 24, v56
	v_and_b32_e32 v57, v57, v30
	v_mov_b32_e32 v30, v29
	v_not_b32_e32 v29, v31
	v_cmp_gt_i64_e32 vcc, 0, v[30:31]
	v_ashrrev_i32_e32 v29, 31, v29
	ds_read_b32 v54, v58 offset:32
	v_xor_b32_e32 v30, vcc_hi, v29
	v_xor_b32_e32 v31, vcc_lo, v29
	v_and_b32_e32 v29, v28, v30
	v_and_b32_e32 v28, v57, v31
	v_mbcnt_lo_u32_b32 v30, v28, 0
	v_mbcnt_hi_u32_b32 v56, v29, v30
	v_cmp_eq_u32_e32 vcc, 0, v56
	v_cmp_ne_u64_e64 s[6:7], 0, v[28:29]
	s_and_b64 s[8:9], s[6:7], vcc
	; wave barrier
	s_and_saveexec_b64 s[6:7], s[8:9]
	s_cbranch_execz .LBB1553_45
; %bb.44:
	v_bcnt_u32_b32 v28, v28, 0
	v_bcnt_u32_b32 v28, v29, v28
	s_waitcnt lgkmcnt(0)
	v_add_u32_e32 v28, v54, v28
	ds_write_b32 v58, v28 offset:32
.LBB1553_45:
	s_or_b64 exec, exec, s[6:7]
	v_xor_b32_e32 v21, 0x80000000, v21
	v_lshrrev_b64 v[28:29], s24, v[20:21]
	v_and_b32_e32 v59, s33, v28
	v_lshl_add_u32 v28, v59, 3, v59
	v_add_lshl_u32 v61, v45, v28, 2
	v_and_b32_e32 v28, 1, v59
	v_mov_b32_e32 v29, 0
	v_lshl_add_u64 v[30:31], v[28:29], 0, -1
	v_cmp_ne_u32_e32 vcc, 0, v28
	; wave barrier
	s_nop 1
	v_xor_b32_e32 v30, vcc_lo, v30
	v_xor_b32_e32 v28, vcc_hi, v31
	v_and_b32_e32 v60, exec_lo, v30
	v_lshlrev_b32_e32 v31, 30, v59
	v_mov_b32_e32 v30, v29
	v_cmp_gt_i64_e32 vcc, 0, v[30:31]
	v_not_b32_e32 v30, v31
	v_ashrrev_i32_e32 v30, 31, v30
	v_and_b32_e32 v28, exec_hi, v28
	v_xor_b32_e32 v31, vcc_hi, v30
	v_xor_b32_e32 v30, vcc_lo, v30
	v_and_b32_e32 v28, v28, v31
	v_and_b32_e32 v60, v60, v30
	v_lshlrev_b32_e32 v31, 29, v59
	v_mov_b32_e32 v30, v29
	v_cmp_gt_i64_e32 vcc, 0, v[30:31]
	v_not_b32_e32 v30, v31
	v_ashrrev_i32_e32 v30, 31, v30
	v_xor_b32_e32 v31, vcc_hi, v30
	v_xor_b32_e32 v30, vcc_lo, v30
	v_and_b32_e32 v28, v28, v31
	v_and_b32_e32 v60, v60, v30
	v_lshlrev_b32_e32 v31, 28, v59
	v_mov_b32_e32 v30, v29
	v_cmp_gt_i64_e32 vcc, 0, v[30:31]
	v_not_b32_e32 v30, v31
	v_ashrrev_i32_e32 v30, 31, v30
	;; [unrolled: 9-line block ×6, first 2 shown]
	v_xor_b32_e32 v31, vcc_hi, v30
	v_xor_b32_e32 v30, vcc_lo, v30
	ds_read_b32 v57, v61 offset:32
	v_and_b32_e32 v30, v60, v30
	v_and_b32_e32 v31, v28, v31
	v_mbcnt_lo_u32_b32 v28, v30, 0
	v_mbcnt_hi_u32_b32 v59, v31, v28
	v_cmp_eq_u32_e32 vcc, 0, v59
	v_cmp_ne_u64_e64 s[6:7], 0, v[30:31]
	s_and_b64 s[8:9], s[6:7], vcc
	; wave barrier
	s_and_saveexec_b64 s[6:7], s[8:9]
	s_cbranch_execz .LBB1553_47
; %bb.46:
	v_bcnt_u32_b32 v28, v30, 0
	v_bcnt_u32_b32 v28, v31, v28
	s_waitcnt lgkmcnt(0)
	v_add_u32_e32 v28, v57, v28
	ds_write_b32 v61, v28 offset:32
.LBB1553_47:
	s_or_b64 exec, exec, s[6:7]
	v_xor_b32_e32 v23, 0x80000000, v23
	v_lshrrev_b64 v[30:31], s24, v[22:23]
	v_and_b32_e32 v62, s33, v30
	v_lshl_add_u32 v28, v62, 3, v62
	v_add_lshl_u32 v64, v45, v28, 2
	v_and_b32_e32 v28, 1, v62
	v_lshl_add_u64 v[30:31], v[28:29], 0, -1
	v_cmp_ne_u32_e32 vcc, 0, v28
	; wave barrier
	s_nop 1
	v_xor_b32_e32 v30, vcc_lo, v30
	v_xor_b32_e32 v28, vcc_hi, v31
	v_and_b32_e32 v63, exec_lo, v30
	v_lshlrev_b32_e32 v31, 30, v62
	v_mov_b32_e32 v30, v29
	v_cmp_gt_i64_e32 vcc, 0, v[30:31]
	v_not_b32_e32 v30, v31
	v_ashrrev_i32_e32 v30, 31, v30
	v_and_b32_e32 v28, exec_hi, v28
	v_xor_b32_e32 v31, vcc_hi, v30
	v_xor_b32_e32 v30, vcc_lo, v30
	v_and_b32_e32 v28, v28, v31
	v_and_b32_e32 v63, v63, v30
	v_lshlrev_b32_e32 v31, 29, v62
	v_mov_b32_e32 v30, v29
	v_cmp_gt_i64_e32 vcc, 0, v[30:31]
	v_not_b32_e32 v30, v31
	v_ashrrev_i32_e32 v30, 31, v30
	v_xor_b32_e32 v31, vcc_hi, v30
	v_xor_b32_e32 v30, vcc_lo, v30
	v_and_b32_e32 v28, v28, v31
	v_and_b32_e32 v63, v63, v30
	v_lshlrev_b32_e32 v31, 28, v62
	v_mov_b32_e32 v30, v29
	v_cmp_gt_i64_e32 vcc, 0, v[30:31]
	v_not_b32_e32 v30, v31
	v_ashrrev_i32_e32 v30, 31, v30
	;; [unrolled: 9-line block ×5, first 2 shown]
	v_xor_b32_e32 v31, vcc_hi, v30
	v_xor_b32_e32 v30, vcc_lo, v30
	v_and_b32_e32 v28, v28, v31
	v_lshlrev_b32_e32 v31, 24, v62
	v_and_b32_e32 v63, v63, v30
	v_mov_b32_e32 v30, v29
	v_not_b32_e32 v29, v31
	v_cmp_gt_i64_e32 vcc, 0, v[30:31]
	v_ashrrev_i32_e32 v29, 31, v29
	ds_read_b32 v60, v64 offset:32
	v_xor_b32_e32 v30, vcc_hi, v29
	v_xor_b32_e32 v31, vcc_lo, v29
	v_and_b32_e32 v29, v28, v30
	v_and_b32_e32 v28, v63, v31
	v_mbcnt_lo_u32_b32 v30, v28, 0
	v_mbcnt_hi_u32_b32 v62, v29, v30
	v_cmp_eq_u32_e32 vcc, 0, v62
	v_cmp_ne_u64_e64 s[6:7], 0, v[28:29]
	s_and_b64 s[8:9], s[6:7], vcc
	; wave barrier
	s_and_saveexec_b64 s[6:7], s[8:9]
	s_cbranch_execz .LBB1553_49
; %bb.48:
	v_bcnt_u32_b32 v28, v28, 0
	v_bcnt_u32_b32 v28, v29, v28
	s_waitcnt lgkmcnt(0)
	v_add_u32_e32 v28, v60, v28
	ds_write_b32 v64, v28 offset:32
.LBB1553_49:
	s_or_b64 exec, exec, s[6:7]
	v_xor_b32_e32 v25, 0x80000000, v25
	v_lshrrev_b64 v[28:29], s24, v[24:25]
	v_and_b32_e32 v65, s33, v28
	v_lshl_add_u32 v28, v65, 3, v65
	v_add_lshl_u32 v66, v45, v28, 2
	v_and_b32_e32 v28, 1, v65
	v_mov_b32_e32 v29, 0
	v_lshl_add_u64 v[30:31], v[28:29], 0, -1
	v_cmp_ne_u32_e32 vcc, 0, v28
	; wave barrier
	s_nop 1
	v_xor_b32_e32 v30, vcc_lo, v30
	v_xor_b32_e32 v28, vcc_hi, v31
	v_and_b32_e32 v67, exec_lo, v30
	v_lshlrev_b32_e32 v31, 30, v65
	v_mov_b32_e32 v30, v29
	v_cmp_gt_i64_e32 vcc, 0, v[30:31]
	v_not_b32_e32 v30, v31
	v_ashrrev_i32_e32 v30, 31, v30
	v_and_b32_e32 v28, exec_hi, v28
	v_xor_b32_e32 v31, vcc_hi, v30
	v_xor_b32_e32 v30, vcc_lo, v30
	v_and_b32_e32 v28, v28, v31
	v_and_b32_e32 v67, v67, v30
	v_lshlrev_b32_e32 v31, 29, v65
	v_mov_b32_e32 v30, v29
	v_cmp_gt_i64_e32 vcc, 0, v[30:31]
	v_not_b32_e32 v30, v31
	v_ashrrev_i32_e32 v30, 31, v30
	v_xor_b32_e32 v31, vcc_hi, v30
	v_xor_b32_e32 v30, vcc_lo, v30
	v_and_b32_e32 v28, v28, v31
	v_and_b32_e32 v67, v67, v30
	v_lshlrev_b32_e32 v31, 28, v65
	v_mov_b32_e32 v30, v29
	v_cmp_gt_i64_e32 vcc, 0, v[30:31]
	v_not_b32_e32 v30, v31
	v_ashrrev_i32_e32 v30, 31, v30
	;; [unrolled: 9-line block ×6, first 2 shown]
	v_xor_b32_e32 v31, vcc_hi, v30
	v_xor_b32_e32 v30, vcc_lo, v30
	ds_read_b32 v63, v66 offset:32
	v_and_b32_e32 v30, v67, v30
	v_and_b32_e32 v31, v28, v31
	v_mbcnt_lo_u32_b32 v28, v30, 0
	v_mbcnt_hi_u32_b32 v65, v31, v28
	v_cmp_eq_u32_e32 vcc, 0, v65
	v_cmp_ne_u64_e64 s[6:7], 0, v[30:31]
	s_and_b64 s[8:9], s[6:7], vcc
	; wave barrier
	s_and_saveexec_b64 s[6:7], s[8:9]
	s_cbranch_execz .LBB1553_51
; %bb.50:
	v_bcnt_u32_b32 v28, v30, 0
	v_bcnt_u32_b32 v28, v31, v28
	s_waitcnt lgkmcnt(0)
	v_add_u32_e32 v28, v63, v28
	ds_write_b32 v66, v28 offset:32
.LBB1553_51:
	s_or_b64 exec, exec, s[6:7]
	v_xor_b32_e32 v27, 0x80000000, v27
	v_lshrrev_b64 v[30:31], s24, v[26:27]
	v_and_b32_e32 v67, s33, v30
	v_lshl_add_u32 v28, v67, 3, v67
	v_add_lshl_u32 v68, v45, v28, 2
	v_and_b32_e32 v28, 1, v67
	v_lshl_add_u64 v[30:31], v[28:29], 0, -1
	v_cmp_ne_u32_e32 vcc, 0, v28
	; wave barrier
	s_nop 1
	v_xor_b32_e32 v30, vcc_lo, v30
	v_xor_b32_e32 v28, vcc_hi, v31
	v_and_b32_e32 v70, exec_lo, v30
	v_lshlrev_b32_e32 v31, 30, v67
	v_mov_b32_e32 v30, v29
	v_cmp_gt_i64_e32 vcc, 0, v[30:31]
	v_not_b32_e32 v30, v31
	v_ashrrev_i32_e32 v30, 31, v30
	v_and_b32_e32 v28, exec_hi, v28
	v_xor_b32_e32 v31, vcc_hi, v30
	v_xor_b32_e32 v30, vcc_lo, v30
	v_and_b32_e32 v28, v28, v31
	v_and_b32_e32 v70, v70, v30
	v_lshlrev_b32_e32 v31, 29, v67
	v_mov_b32_e32 v30, v29
	v_cmp_gt_i64_e32 vcc, 0, v[30:31]
	v_not_b32_e32 v30, v31
	v_ashrrev_i32_e32 v30, 31, v30
	v_xor_b32_e32 v31, vcc_hi, v30
	v_xor_b32_e32 v30, vcc_lo, v30
	v_and_b32_e32 v28, v28, v31
	v_and_b32_e32 v70, v70, v30
	v_lshlrev_b32_e32 v31, 28, v67
	v_mov_b32_e32 v30, v29
	v_cmp_gt_i64_e32 vcc, 0, v[30:31]
	v_not_b32_e32 v30, v31
	v_ashrrev_i32_e32 v30, 31, v30
	;; [unrolled: 9-line block ×5, first 2 shown]
	v_xor_b32_e32 v31, vcc_hi, v30
	v_xor_b32_e32 v30, vcc_lo, v30
	v_and_b32_e32 v28, v28, v31
	v_lshlrev_b32_e32 v31, 24, v67
	v_and_b32_e32 v70, v70, v30
	v_mov_b32_e32 v30, v29
	v_not_b32_e32 v29, v31
	v_cmp_gt_i64_e32 vcc, 0, v[30:31]
	v_ashrrev_i32_e32 v29, 31, v29
	ds_read_b32 v45, v68 offset:32
	v_xor_b32_e32 v30, vcc_hi, v29
	v_xor_b32_e32 v31, vcc_lo, v29
	v_and_b32_e32 v29, v28, v30
	v_and_b32_e32 v28, v70, v31
	v_mbcnt_lo_u32_b32 v30, v28, 0
	v_mbcnt_hi_u32_b32 v67, v29, v30
	v_cmp_eq_u32_e32 vcc, 0, v67
	v_cmp_ne_u64_e64 s[6:7], 0, v[28:29]
	v_add_u32_e32 v69, 32, v33
	s_and_b64 s[8:9], s[6:7], vcc
	; wave barrier
	s_and_saveexec_b64 s[6:7], s[8:9]
	s_cbranch_execz .LBB1553_53
; %bb.52:
	v_bcnt_u32_b32 v28, v28, 0
	v_bcnt_u32_b32 v28, v29, v28
	s_waitcnt lgkmcnt(0)
	v_add_u32_e32 v28, v45, v28
	ds_write_b32 v68, v28 offset:32
.LBB1553_53:
	s_or_b64 exec, exec, s[6:7]
	; wave barrier
	s_waitcnt lgkmcnt(0)
	s_barrier
	ds_read2_b32 v[30:31], v33 offset0:8 offset1:9
	ds_read2_b32 v[28:29], v69 offset0:2 offset1:3
	ds_read_b32 v70, v69 offset:16
	v_min_u32_e32 v32, 0x1c0, v32
	v_or_b32_e32 v32, 63, v32
	s_waitcnt lgkmcnt(1)
	v_add3_u32 v71, v31, v30, v28
	s_waitcnt lgkmcnt(0)
	v_add3_u32 v70, v71, v29, v70
	v_and_b32_e32 v71, 15, v3
	v_cmp_ne_u32_e32 vcc, 0, v71
	v_mov_b32_dpp v72, v70 row_shr:1 row_mask:0xf bank_mask:0xf
	s_nop 0
	v_cndmask_b32_e32 v72, 0, v72, vcc
	v_add_u32_e32 v70, v72, v70
	v_cmp_lt_u32_e32 vcc, 1, v71
	s_nop 0
	v_mov_b32_dpp v72, v70 row_shr:2 row_mask:0xf bank_mask:0xf
	v_cndmask_b32_e32 v72, 0, v72, vcc
	v_add_u32_e32 v70, v70, v72
	v_cmp_lt_u32_e32 vcc, 3, v71
	s_nop 0
	v_mov_b32_dpp v72, v70 row_shr:4 row_mask:0xf bank_mask:0xf
	;; [unrolled: 5-line block ×3, first 2 shown]
	v_cndmask_b32_e32 v71, 0, v72, vcc
	v_add_u32_e32 v70, v70, v71
	v_bfe_i32 v72, v3, 4, 1
	v_cmp_lt_u32_e32 vcc, 31, v3
	v_mov_b32_dpp v71, v70 row_bcast:15 row_mask:0xf bank_mask:0xf
	v_and_b32_e32 v71, v72, v71
	v_add_u32_e32 v70, v70, v71
	s_nop 1
	v_mov_b32_dpp v71, v70 row_bcast:31 row_mask:0xf bank_mask:0xf
	v_cndmask_b32_e32 v71, 0, v71, vcc
	v_add_u32_e32 v70, v70, v71
	v_lshrrev_b32_e32 v71, 6, v2
	v_cmp_eq_u32_e32 vcc, v32, v2
	s_and_saveexec_b64 s[6:7], vcc
	s_cbranch_execz .LBB1553_55
; %bb.54:
	v_lshlrev_b32_e32 v32, 2, v71
	ds_write_b32 v32, v70
.LBB1553_55:
	s_or_b64 exec, exec, s[6:7]
	v_cmp_gt_u32_e32 vcc, 8, v2
	s_waitcnt lgkmcnt(0)
	s_barrier
	s_and_saveexec_b64 s[6:7], vcc
	s_cbranch_execz .LBB1553_57
; %bb.56:
	v_lshlrev_b32_e32 v32, 2, v2
	ds_read_b32 v72, v32
	v_and_b32_e32 v73, 7, v3
	v_cmp_ne_u32_e32 vcc, 0, v73
	s_waitcnt lgkmcnt(0)
	v_mov_b32_dpp v74, v72 row_shr:1 row_mask:0xf bank_mask:0xf
	v_cndmask_b32_e32 v74, 0, v74, vcc
	v_add_u32_e32 v72, v74, v72
	v_cmp_lt_u32_e32 vcc, 1, v73
	s_nop 0
	v_mov_b32_dpp v74, v72 row_shr:2 row_mask:0xf bank_mask:0xf
	v_cndmask_b32_e32 v74, 0, v74, vcc
	v_add_u32_e32 v72, v72, v74
	v_cmp_lt_u32_e32 vcc, 3, v73
	s_nop 0
	v_mov_b32_dpp v74, v72 row_shr:4 row_mask:0xf bank_mask:0xf
	v_cndmask_b32_e32 v73, 0, v74, vcc
	v_add_u32_e32 v72, v72, v73
	ds_write_b32 v32, v72
.LBB1553_57:
	s_or_b64 exec, exec, s[6:7]
	v_cmp_lt_u32_e32 vcc, 63, v2
	v_mov_b32_e32 v32, 0
	s_waitcnt lgkmcnt(0)
	s_barrier
	s_and_saveexec_b64 s[6:7], vcc
	s_cbranch_execz .LBB1553_59
; %bb.58:
	v_lshl_add_u32 v32, v71, 2, -4
	ds_read_b32 v32, v32
.LBB1553_59:
	s_or_b64 exec, exec, s[6:7]
	v_add_u32_e32 v71, -1, v3
	v_and_b32_e32 v72, 64, v3
	v_cmp_lt_i32_e32 vcc, v71, v72
	s_waitcnt lgkmcnt(0)
	v_add_u32_e32 v70, v32, v70
	s_movk_i32 s6, 0x100
	v_cndmask_b32_e32 v71, v71, v3, vcc
	v_lshlrev_b32_e32 v71, 2, v71
	ds_bpermute_b32 v70, v71, v70
	v_cmp_eq_u32_e32 vcc, 0, v3
	s_waitcnt lgkmcnt(0)
	s_nop 0
	v_cndmask_b32_e32 v3, v70, v32, vcc
	v_cndmask_b32_e64 v3, v3, 0, s[4:5]
	v_add_u32_e32 v30, v3, v30
	v_add_u32_e32 v31, v30, v31
	v_add_u32_e32 v28, v31, v28
	v_add_u32_e32 v29, v28, v29
	ds_write2_b32 v33, v3, v30 offset0:8 offset1:9
	ds_write2_b32 v69, v31, v28 offset0:2 offset1:3
	ds_write_b32 v69, v29 offset:16
	s_waitcnt lgkmcnt(0)
	s_barrier
	ds_read_b32 v75, v38 offset:32
	ds_read_b32 v69, v39 offset:32
	;; [unrolled: 1-line block ×12, first 2 shown]
	v_cmp_gt_u32_e32 vcc, s6, v2
                                        ; implicit-def: $vgpr3
                                        ; implicit-def: $vgpr38
	s_and_saveexec_b64 s[8:9], vcc
	s_cbranch_execz .LBB1553_63
; %bb.60:
	v_mul_u32_u24_e32 v3, 9, v2
	v_lshlrev_b32_e32 v29, 2, v3
	ds_read_b32 v3, v29 offset:32
	s_movk_i32 s6, 0xff
	v_cmp_ne_u32_e64 s[6:7], s6, v2
	v_mov_b32_e32 v28, 0x1800
	s_and_saveexec_b64 s[10:11], s[6:7]
	s_cbranch_execz .LBB1553_62
; %bb.61:
	ds_read_b32 v28, v29 offset:68
.LBB1553_62:
	s_or_b64 exec, exec, s[10:11]
	s_waitcnt lgkmcnt(0)
	v_sub_u32_e32 v38, v28, v3
.LBB1553_63:
	s_or_b64 exec, exec, s[8:9]
	s_waitcnt lgkmcnt(0)
	s_barrier
	s_and_saveexec_b64 s[8:9], vcc
	s_cbranch_execz .LBB1553_73
; %bb.64:
	v_lshl_or_b32 v30, s27, 8, v2
	v_mov_b32_e32 v31, 0
	v_lshl_add_u64 v[28:29], v[30:31], 2, s[18:19]
	v_or_b32_e32 v30, 2.0, v38
	s_mov_b64 s[10:11], 0
	s_brev_b32 s16, 1
	s_mov_b32 s17, s27
	v_mov_b32_e32 v49, 0
	global_store_dword v[28:29], v30, off sc1
                                        ; implicit-def: $sgpr6_sgpr7
	s_branch .LBB1553_66
.LBB1553_65:                            ;   in Loop: Header=BB1553_66 Depth=1
	s_or_b64 exec, exec, s[12:13]
	v_and_b32_e32 v32, 0x3fffffff, v55
	v_add_u32_e32 v49, v32, v49
	v_cmp_eq_u32_e64 s[6:7], s16, v30
	s_and_b64 s[12:13], exec, s[6:7]
	s_or_b64 s[10:11], s[12:13], s[10:11]
	s_andn2_b64 exec, exec, s[10:11]
	s_cbranch_execz .LBB1553_72
.LBB1553_66:                            ; =>This Loop Header: Depth=1
                                        ;     Child Loop BB1553_69 Depth 2
	s_or_b64 s[6:7], s[6:7], exec
	s_cmp_eq_u32 s17, 0
	s_cbranch_scc1 .LBB1553_71
; %bb.67:                               ;   in Loop: Header=BB1553_66 Depth=1
	s_add_i32 s17, s17, -1
	v_lshl_or_b32 v30, s17, 8, v2
	v_lshl_add_u64 v[32:33], v[30:31], 2, s[18:19]
	global_load_dword v55, v[32:33], off sc1
	s_waitcnt vmcnt(0)
	v_and_b32_e32 v30, -2.0, v55
	v_cmp_eq_u32_e64 s[6:7], 0, v30
	s_and_saveexec_b64 s[12:13], s[6:7]
	s_cbranch_execz .LBB1553_65
; %bb.68:                               ;   in Loop: Header=BB1553_66 Depth=1
	s_mov_b64 s[14:15], 0
.LBB1553_69:                            ;   Parent Loop BB1553_66 Depth=1
                                        ; =>  This Inner Loop Header: Depth=2
	global_load_dword v55, v[32:33], off sc1
	s_waitcnt vmcnt(0)
	v_and_b32_e32 v30, -2.0, v55
	v_cmp_ne_u32_e64 s[6:7], 0, v30
	s_or_b64 s[14:15], s[6:7], s[14:15]
	s_andn2_b64 exec, exec, s[14:15]
	s_cbranch_execnz .LBB1553_69
; %bb.70:                               ;   in Loop: Header=BB1553_66 Depth=1
	s_or_b64 exec, exec, s[14:15]
	s_branch .LBB1553_65
.LBB1553_71:                            ;   in Loop: Header=BB1553_66 Depth=1
                                        ; implicit-def: $sgpr17
	s_and_b64 s[12:13], exec, s[6:7]
	s_or_b64 s[10:11], s[12:13], s[10:11]
	s_andn2_b64 exec, exec, s[10:11]
	s_cbranch_execnz .LBB1553_66
.LBB1553_72:
	s_or_b64 exec, exec, s[10:11]
	v_add_u32_e32 v30, v49, v38
	v_or_b32_e32 v30, 0x80000000, v30
	global_store_dword v[28:29], v30, off sc1
	v_lshlrev_b32_e32 v28, 2, v2
	global_load_dword v29, v28, s[20:21]
	v_sub_u32_e32 v30, v49, v3
	s_waitcnt vmcnt(0)
	v_add_u32_e32 v29, v30, v29
	ds_write_b32 v28, v29
.LBB1553_73:
	s_or_b64 exec, exec, s[8:9]
	v_add_u32_e32 v30, v75, v35
	v_add3_u32 v28, v36, v34, v69
	v_add3_u32 v29, v40, v37, v70
	;; [unrolled: 1-line block ×11, first 2 shown]
	v_lshlrev_b32_e32 v31, 3, v2
	v_mov_b32_e32 v77, 0x400
	s_movk_i32 s10, 0x400
	v_add_u32_e32 v32, 0x400, v31
	v_lshl_add_u32 v33, v33, 3, v77
	v_add3_u32 v35, v67, v39, v45
	v_lshl_add_u32 v39, v76, 3, v77
	v_add3_u32 v42, v65, v42, v63
	;; [unrolled: 2-line block ×11, first 2 shown]
	v_lshl_add_u32 v36, v30, 3, v77
	s_mov_b32 s11, 0
	v_mov_b32_e32 v29, 0
	s_movk_i32 s12, 0x200
	v_mov_b32_e32 v57, v2
	s_mov_b32 s13, 0
	s_branch .LBB1553_75
.LBB1553_74:                            ;   in Loop: Header=BB1553_75 Depth=1
	s_or_b64 exec, exec, s[8:9]
	s_addk_i32 s13, 0xe000
	s_addk_i32 s11, 0xfc00
	s_cmp_eq_u32 s13, 0xffff4000
	v_add_u32_e32 v57, 0x400, v57
	s_barrier
	s_cbranch_scc1 .LBB1553_104
.LBB1553_75:                            ; =>This Inner Loop Header: Depth=1
	v_add_u32_e32 v28, s11, v30
	v_cmp_gt_u32_e64 s[6:7], s10, v28
	s_and_saveexec_b64 s[8:9], s[6:7]
	s_cbranch_execz .LBB1553_77
; %bb.76:                               ;   in Loop: Header=BB1553_75 Depth=1
	v_add_u32_e32 v28, s13, v36
	ds_write_b64 v28, v[4:5]
.LBB1553_77:                            ;   in Loop: Header=BB1553_75 Depth=1
	s_or_b64 exec, exec, s[8:9]
	v_add_u32_e32 v28, s11, v34
	v_cmp_gt_u32_e64 s[6:7], s10, v28
	s_and_saveexec_b64 s[8:9], s[6:7]
	s_cbranch_execz .LBB1553_79
; %bb.78:                               ;   in Loop: Header=BB1553_75 Depth=1
	v_add_u32_e32 v28, s13, v40
	ds_write_b64 v28, v[6:7]
.LBB1553_79:                            ;   in Loop: Header=BB1553_75 Depth=1
	s_or_b64 exec, exec, s[8:9]
	;; [unrolled: 9-line block ×12, first 2 shown]
	v_cmp_gt_u32_e64 s[6:7], s3, v57
	s_waitcnt lgkmcnt(0)
	s_barrier
	s_and_saveexec_b64 s[8:9], s[6:7]
	s_cbranch_execz .LBB1553_101
; %bb.100:                              ;   in Loop: Header=BB1553_75 Depth=1
	ds_read_b64 v[58:59], v31 offset:1024
	s_waitcnt lgkmcnt(0)
	v_lshrrev_b64 v[60:61], s24, v[58:59]
	v_and_b32_e32 v28, s33, v60
	v_lshlrev_b32_e32 v28, 2, v28
	ds_read_b32 v28, v28
	v_xor_b32_e32 v59, 0x80000000, v59
	s_waitcnt lgkmcnt(0)
	v_add_u32_e32 v28, v57, v28
	v_lshl_add_u64 v[60:61], v[28:29], 3, s[30:31]
	global_store_dwordx2 v[60:61], v[58:59], off
.LBB1553_101:                           ;   in Loop: Header=BB1553_75 Depth=1
	s_or_b64 exec, exec, s[8:9]
	v_add_u32_e32 v28, 0x200, v57
	v_cmp_gt_u32_e64 s[6:7], s3, v28
	s_and_saveexec_b64 s[8:9], s[6:7]
	s_cbranch_execz .LBB1553_74
; %bb.102:                              ;   in Loop: Header=BB1553_75 Depth=1
	ds_read_b64 v[58:59], v32 offset:4096
	s_waitcnt lgkmcnt(0)
	v_lshrrev_b64 v[60:61], s24, v[58:59]
	v_and_b32_e32 v28, s33, v60
	v_lshlrev_b32_e32 v28, 2, v28
	ds_read_b32 v28, v28
	v_xor_b32_e32 v59, 0x80000000, v59
	s_waitcnt lgkmcnt(0)
	v_add3_u32 v28, v57, v28, s12
	v_lshl_add_u64 v[60:61], v[28:29], 3, s[30:31]
	global_store_dwordx2 v[60:61], v[58:59], off
	s_branch .LBB1553_74
.LBB1553_103:
	s_mov_b64 s[8:9], 0
                                        ; implicit-def: $vgpr4
	s_cbranch_execnz .LBB1553_107
	s_branch .LBB1553_180
.LBB1553_104:
	s_add_i32 s26, s26, -1
	s_cmp_eq_u32 s26, s27
	s_cselect_b64 s[6:7], -1, 0
	s_and_b64 s[10:11], vcc, s[6:7]
	s_mov_b64 s[6:7], 0
	s_mov_b64 s[8:9], 0
                                        ; implicit-def: $vgpr4
	s_and_saveexec_b64 s[12:13], s[10:11]
	s_xor_b64 s[10:11], exec, s[12:13]
; %bb.105:
	s_mov_b64 s[8:9], exec
	v_add_u32_e32 v4, v3, v38
; %bb.106:
	s_or_b64 exec, exec, s[10:11]
	s_and_b64 vcc, exec, s[6:7]
	s_cbranch_vccz .LBB1553_180
.LBB1553_107:
	s_mov_b32 s35, 0
	s_load_dword s3, s[0:1], 0x64
	s_load_dword s12, s[0:1], 0x58
	s_lshl_b64 s[6:7], s[34:35], 3
	v_mbcnt_hi_u32_b32 v3, -1, v1
	s_add_u32 s6, s28, s6
	v_and_b32_e32 v1, 63, v3
	v_and_b32_e32 v31, 0x3c0, v2
	s_addc_u32 s7, s29, s7
	v_mov_b32_e32 v27, 0
	v_mul_u32_u24_e32 v6, 12, v31
	v_lshlrev_b32_e32 v26, 3, v1
	v_lshl_add_u64 v[4:5], s[6:7], 0, v[26:27]
	v_lshlrev_b32_e32 v26, 3, v6
	s_add_u32 s0, s0, 0x58
	v_lshl_add_u64 v[18:19], v[4:5], 0, v[26:27]
	s_addc_u32 s1, s1, 0
	s_waitcnt lgkmcnt(0)
	s_lshr_b32 s3, s3, 16
	global_load_dwordx2 v[4:5], v[18:19], off
	s_cmp_lt_u32 s2, s12
	s_cselect_b32 s2, 12, 18
	s_add_u32 s0, s0, s2
	s_addc_u32 s1, s1, 0
	global_load_ushort v38, v27, s[0:1]
	v_bfe_u32 v20, v0, 10, 10
	v_bfe_u32 v21, v0, 20, 10
	v_mul_u32_u24_e32 v0, 5, v2
	v_lshlrev_b32_e32 v30, 2, v0
	ds_write2_b32 v30, v27, v27 offset0:8 offset1:9
	ds_write2_b32 v30, v27, v27 offset0:10 offset1:11
	ds_write_b32 v30, v27 offset:48
	s_movk_i32 s0, 0x1000
	global_load_dwordx2 v[0:1], v[18:19], off offset:512
	global_load_dwordx2 v[6:7], v[18:19], off offset:1024
	;; [unrolled: 1-line block ×7, first 2 shown]
	v_add_co_u32_e32 v36, vcc, s0, v18
	v_mad_u32_u24 v40, v21, s3, v20
	s_nop 0
	v_addc_co_u32_e32 v37, vcc, 0, v19, vcc
	global_load_dwordx2 v[18:19], v[36:37], off
	global_load_dwordx2 v[20:21], v[36:37], off offset:512
	global_load_dwordx2 v[22:23], v[36:37], off offset:1024
	global_load_dwordx2 v[24:25], v[36:37], off offset:1536
	s_lshl_b32 s0, -1, s25
	s_not_b32 s13, s0
	v_mov_b32_e32 v28, v27
	v_mov_b32_e32 v32, v27
	;; [unrolled: 1-line block ×3, first 2 shown]
	s_waitcnt lgkmcnt(0)
	s_barrier
	s_waitcnt lgkmcnt(0)
	; wave barrier
	s_waitcnt vmcnt(12)
	v_xor_b32_e32 v5, 0x80000000, v5
	v_lshrrev_b64 v[36:37], s24, v[4:5]
	v_and_b32_e32 v43, s13, v36
	v_and_b32_e32 v26, 1, v43
	v_lshlrev_b32_e32 v29, 30, v43
	v_lshlrev_b32_e32 v33, 29, v43
	s_waitcnt vmcnt(11)
	v_mad_u64_u32 v[36:37], s[0:1], v40, v38, v[2:3]
	v_lshl_add_u64 v[40:41], v[26:27], 0, -1
	v_cmp_ne_u32_e32 vcc, 0, v26
	v_not_b32_e32 v26, v29
	v_lshlrev_b32_e32 v35, 28, v43
	v_cmp_gt_i64_e64 s[0:1], 0, v[28:29]
	v_cmp_gt_i64_e64 s[2:3], 0, v[32:33]
	v_not_b32_e32 v28, v33
	v_xor_b32_e32 v33, vcc_lo, v40
	v_ashrrev_i32_e32 v26, 31, v26
	v_cmp_gt_i64_e64 s[6:7], 0, v[34:35]
	v_not_b32_e32 v29, v35
	v_ashrrev_i32_e32 v28, 31, v28
	v_and_b32_e32 v33, exec_lo, v33
	v_xor_b32_e32 v34, s1, v26
	v_xor_b32_e32 v26, s0, v26
	v_xor_b32_e32 v32, vcc_hi, v41
	v_ashrrev_i32_e32 v29, 31, v29
	v_xor_b32_e32 v35, s3, v28
	v_xor_b32_e32 v28, s2, v28
	v_and_b32_e32 v26, v33, v26
	v_lshlrev_b32_e32 v39, 27, v43
	v_and_b32_e32 v32, exec_hi, v32
	v_xor_b32_e32 v37, s7, v29
	v_xor_b32_e32 v29, s6, v29
	v_and_b32_e32 v26, v26, v28
	v_and_b32_e32 v32, v32, v34
	;; [unrolled: 1-line block ×3, first 2 shown]
	v_mov_b32_e32 v38, v27
	v_not_b32_e32 v29, v39
	v_and_b32_e32 v32, v32, v35
	v_cmp_gt_i64_e32 vcc, 0, v[38:39]
	v_ashrrev_i32_e32 v29, 31, v29
	v_and_b32_e32 v28, v32, v37
	v_xor_b32_e32 v32, vcc_hi, v29
	v_xor_b32_e32 v29, vcc_lo, v29
	v_and_b32_e32 v32, v28, v32
	v_and_b32_e32 v26, v26, v29
	v_lshlrev_b32_e32 v29, 26, v43
	v_mov_b32_e32 v28, v27
	v_cmp_gt_i64_e32 vcc, 0, v[28:29]
	v_not_b32_e32 v28, v29
	v_ashrrev_i32_e32 v28, 31, v28
	v_xor_b32_e32 v29, vcc_hi, v28
	v_xor_b32_e32 v28, vcc_lo, v28
	v_and_b32_e32 v32, v32, v29
	v_and_b32_e32 v26, v26, v28
	v_lshlrev_b32_e32 v29, 25, v43
	v_mov_b32_e32 v28, v27
	v_cmp_gt_i64_e32 vcc, 0, v[28:29]
	v_not_b32_e32 v28, v29
	v_ashrrev_i32_e32 v28, 31, v28
	;; [unrolled: 9-line block ×3, first 2 shown]
	v_xor_b32_e32 v29, vcc_hi, v28
	v_xor_b32_e32 v28, vcc_lo, v28
	v_and_b32_e32 v28, v26, v28
	v_and_b32_e32 v29, v32, v29
	v_mbcnt_lo_u32_b32 v26, v28, 0
	v_mbcnt_hi_u32_b32 v33, v29, v26
	v_lshl_add_u32 v44, v43, 3, v43
	v_lshrrev_b32_e32 v42, 6, v36
	v_cmp_eq_u32_e32 vcc, 0, v33
	v_cmp_ne_u64_e64 s[0:1], 0, v[28:29]
	v_add_lshl_u32 v36, v42, v44, 2
	s_and_b64 s[2:3], s[0:1], vcc
	s_and_saveexec_b64 s[0:1], s[2:3]
	s_cbranch_execz .LBB1553_109
; %bb.108:
	v_bcnt_u32_b32 v26, v28, 0
	v_bcnt_u32_b32 v26, v29, v26
	ds_write_b32 v36, v26 offset:32
.LBB1553_109:
	s_or_b64 exec, exec, s[0:1]
	s_waitcnt vmcnt(10)
	v_xor_b32_e32 v1, 0x80000000, v1
	v_lshrrev_b64 v[28:29], s24, v[0:1]
	v_and_b32_e32 v34, s13, v28
	v_lshl_add_u32 v26, v34, 3, v34
	v_add_lshl_u32 v37, v42, v26, 2
	v_and_b32_e32 v26, 1, v34
	v_lshl_add_u64 v[28:29], v[26:27], 0, -1
	v_cmp_ne_u32_e32 vcc, 0, v26
	; wave barrier
	s_nop 1
	v_xor_b32_e32 v28, vcc_lo, v28
	v_xor_b32_e32 v26, vcc_hi, v29
	v_and_b32_e32 v35, exec_lo, v28
	v_lshlrev_b32_e32 v29, 30, v34
	v_mov_b32_e32 v28, v27
	v_cmp_gt_i64_e32 vcc, 0, v[28:29]
	v_not_b32_e32 v28, v29
	v_ashrrev_i32_e32 v28, 31, v28
	v_and_b32_e32 v26, exec_hi, v26
	v_xor_b32_e32 v29, vcc_hi, v28
	v_xor_b32_e32 v28, vcc_lo, v28
	v_and_b32_e32 v26, v26, v29
	v_and_b32_e32 v35, v35, v28
	v_lshlrev_b32_e32 v29, 29, v34
	v_mov_b32_e32 v28, v27
	v_cmp_gt_i64_e32 vcc, 0, v[28:29]
	v_not_b32_e32 v28, v29
	v_ashrrev_i32_e32 v28, 31, v28
	v_xor_b32_e32 v29, vcc_hi, v28
	v_xor_b32_e32 v28, vcc_lo, v28
	v_and_b32_e32 v26, v26, v29
	v_and_b32_e32 v35, v35, v28
	v_lshlrev_b32_e32 v29, 28, v34
	v_mov_b32_e32 v28, v27
	v_cmp_gt_i64_e32 vcc, 0, v[28:29]
	v_not_b32_e32 v28, v29
	v_ashrrev_i32_e32 v28, 31, v28
	;; [unrolled: 9-line block ×5, first 2 shown]
	v_xor_b32_e32 v29, vcc_hi, v28
	v_xor_b32_e32 v28, vcc_lo, v28
	v_and_b32_e32 v26, v26, v29
	v_lshlrev_b32_e32 v29, 24, v34
	v_and_b32_e32 v35, v35, v28
	v_mov_b32_e32 v28, v27
	v_not_b32_e32 v27, v29
	v_cmp_gt_i64_e32 vcc, 0, v[28:29]
	v_ashrrev_i32_e32 v27, 31, v27
	ds_read_b32 v32, v37 offset:32
	v_xor_b32_e32 v28, vcc_hi, v27
	v_xor_b32_e32 v29, vcc_lo, v27
	v_and_b32_e32 v27, v26, v28
	v_and_b32_e32 v26, v35, v29
	v_mbcnt_lo_u32_b32 v28, v26, 0
	v_mbcnt_hi_u32_b32 v34, v27, v28
	v_cmp_eq_u32_e32 vcc, 0, v34
	v_cmp_ne_u64_e64 s[0:1], 0, v[26:27]
	s_and_b64 s[2:3], s[0:1], vcc
	; wave barrier
	s_and_saveexec_b64 s[0:1], s[2:3]
	s_cbranch_execz .LBB1553_111
; %bb.110:
	v_bcnt_u32_b32 v26, v26, 0
	v_bcnt_u32_b32 v26, v27, v26
	s_waitcnt lgkmcnt(0)
	v_add_u32_e32 v26, v32, v26
	ds_write_b32 v37, v26 offset:32
.LBB1553_111:
	s_or_b64 exec, exec, s[0:1]
	s_waitcnt vmcnt(9)
	v_xor_b32_e32 v7, 0x80000000, v7
	v_lshrrev_b64 v[26:27], s24, v[6:7]
	v_and_b32_e32 v38, s13, v26
	v_lshl_add_u32 v26, v38, 3, v38
	v_add_lshl_u32 v40, v42, v26, 2
	v_and_b32_e32 v26, 1, v38
	v_mov_b32_e32 v27, 0
	v_lshl_add_u64 v[28:29], v[26:27], 0, -1
	v_cmp_ne_u32_e32 vcc, 0, v26
	; wave barrier
	s_nop 1
	v_xor_b32_e32 v28, vcc_lo, v28
	v_xor_b32_e32 v26, vcc_hi, v29
	v_and_b32_e32 v39, exec_lo, v28
	v_lshlrev_b32_e32 v29, 30, v38
	v_mov_b32_e32 v28, v27
	v_cmp_gt_i64_e32 vcc, 0, v[28:29]
	v_not_b32_e32 v28, v29
	v_ashrrev_i32_e32 v28, 31, v28
	v_and_b32_e32 v26, exec_hi, v26
	v_xor_b32_e32 v29, vcc_hi, v28
	v_xor_b32_e32 v28, vcc_lo, v28
	v_and_b32_e32 v26, v26, v29
	v_and_b32_e32 v39, v39, v28
	v_lshlrev_b32_e32 v29, 29, v38
	v_mov_b32_e32 v28, v27
	v_cmp_gt_i64_e32 vcc, 0, v[28:29]
	v_not_b32_e32 v28, v29
	v_ashrrev_i32_e32 v28, 31, v28
	v_xor_b32_e32 v29, vcc_hi, v28
	v_xor_b32_e32 v28, vcc_lo, v28
	v_and_b32_e32 v26, v26, v29
	v_and_b32_e32 v39, v39, v28
	v_lshlrev_b32_e32 v29, 28, v38
	v_mov_b32_e32 v28, v27
	v_cmp_gt_i64_e32 vcc, 0, v[28:29]
	v_not_b32_e32 v28, v29
	v_ashrrev_i32_e32 v28, 31, v28
	;; [unrolled: 9-line block ×6, first 2 shown]
	v_xor_b32_e32 v29, vcc_hi, v28
	v_xor_b32_e32 v28, vcc_lo, v28
	ds_read_b32 v35, v40 offset:32
	v_and_b32_e32 v28, v39, v28
	v_and_b32_e32 v29, v26, v29
	v_mbcnt_lo_u32_b32 v26, v28, 0
	v_mbcnt_hi_u32_b32 v38, v29, v26
	v_cmp_eq_u32_e32 vcc, 0, v38
	v_cmp_ne_u64_e64 s[0:1], 0, v[28:29]
	s_and_b64 s[2:3], s[0:1], vcc
	; wave barrier
	s_and_saveexec_b64 s[0:1], s[2:3]
	s_cbranch_execz .LBB1553_113
; %bb.112:
	v_bcnt_u32_b32 v26, v28, 0
	v_bcnt_u32_b32 v26, v29, v26
	s_waitcnt lgkmcnt(0)
	v_add_u32_e32 v26, v35, v26
	ds_write_b32 v40, v26 offset:32
.LBB1553_113:
	s_or_b64 exec, exec, s[0:1]
	s_waitcnt vmcnt(8)
	v_xor_b32_e32 v9, 0x80000000, v9
	v_lshrrev_b64 v[28:29], s24, v[8:9]
	v_and_b32_e32 v41, s13, v28
	v_lshl_add_u32 v26, v41, 3, v41
	v_add_lshl_u32 v44, v42, v26, 2
	v_and_b32_e32 v26, 1, v41
	v_lshl_add_u64 v[28:29], v[26:27], 0, -1
	v_cmp_ne_u32_e32 vcc, 0, v26
	; wave barrier
	s_nop 1
	v_xor_b32_e32 v28, vcc_lo, v28
	v_xor_b32_e32 v26, vcc_hi, v29
	v_and_b32_e32 v43, exec_lo, v28
	v_lshlrev_b32_e32 v29, 30, v41
	v_mov_b32_e32 v28, v27
	v_cmp_gt_i64_e32 vcc, 0, v[28:29]
	v_not_b32_e32 v28, v29
	v_ashrrev_i32_e32 v28, 31, v28
	v_and_b32_e32 v26, exec_hi, v26
	v_xor_b32_e32 v29, vcc_hi, v28
	v_xor_b32_e32 v28, vcc_lo, v28
	v_and_b32_e32 v26, v26, v29
	v_and_b32_e32 v43, v43, v28
	v_lshlrev_b32_e32 v29, 29, v41
	v_mov_b32_e32 v28, v27
	v_cmp_gt_i64_e32 vcc, 0, v[28:29]
	v_not_b32_e32 v28, v29
	v_ashrrev_i32_e32 v28, 31, v28
	v_xor_b32_e32 v29, vcc_hi, v28
	v_xor_b32_e32 v28, vcc_lo, v28
	v_and_b32_e32 v26, v26, v29
	v_and_b32_e32 v43, v43, v28
	v_lshlrev_b32_e32 v29, 28, v41
	v_mov_b32_e32 v28, v27
	v_cmp_gt_i64_e32 vcc, 0, v[28:29]
	v_not_b32_e32 v28, v29
	v_ashrrev_i32_e32 v28, 31, v28
	;; [unrolled: 9-line block ×5, first 2 shown]
	v_xor_b32_e32 v29, vcc_hi, v28
	v_xor_b32_e32 v28, vcc_lo, v28
	v_and_b32_e32 v26, v26, v29
	v_lshlrev_b32_e32 v29, 24, v41
	v_and_b32_e32 v43, v43, v28
	v_mov_b32_e32 v28, v27
	v_not_b32_e32 v27, v29
	v_cmp_gt_i64_e32 vcc, 0, v[28:29]
	v_ashrrev_i32_e32 v27, 31, v27
	ds_read_b32 v39, v44 offset:32
	v_xor_b32_e32 v28, vcc_hi, v27
	v_xor_b32_e32 v29, vcc_lo, v27
	v_and_b32_e32 v27, v26, v28
	v_and_b32_e32 v26, v43, v29
	v_mbcnt_lo_u32_b32 v28, v26, 0
	v_mbcnt_hi_u32_b32 v41, v27, v28
	v_cmp_eq_u32_e32 vcc, 0, v41
	v_cmp_ne_u64_e64 s[0:1], 0, v[26:27]
	s_and_b64 s[2:3], s[0:1], vcc
	; wave barrier
	s_and_saveexec_b64 s[0:1], s[2:3]
	s_cbranch_execz .LBB1553_115
; %bb.114:
	v_bcnt_u32_b32 v26, v26, 0
	v_bcnt_u32_b32 v26, v27, v26
	s_waitcnt lgkmcnt(0)
	v_add_u32_e32 v26, v39, v26
	ds_write_b32 v44, v26 offset:32
.LBB1553_115:
	s_or_b64 exec, exec, s[0:1]
	s_waitcnt vmcnt(7)
	v_xor_b32_e32 v11, 0x80000000, v11
	v_lshrrev_b64 v[26:27], s24, v[10:11]
	v_and_b32_e32 v45, s13, v26
	v_lshl_add_u32 v26, v45, 3, v45
	v_add_lshl_u32 v47, v42, v26, 2
	v_and_b32_e32 v26, 1, v45
	v_mov_b32_e32 v27, 0
	v_lshl_add_u64 v[28:29], v[26:27], 0, -1
	v_cmp_ne_u32_e32 vcc, 0, v26
	; wave barrier
	s_nop 1
	v_xor_b32_e32 v28, vcc_lo, v28
	v_xor_b32_e32 v26, vcc_hi, v29
	v_and_b32_e32 v46, exec_lo, v28
	v_lshlrev_b32_e32 v29, 30, v45
	v_mov_b32_e32 v28, v27
	v_cmp_gt_i64_e32 vcc, 0, v[28:29]
	v_not_b32_e32 v28, v29
	v_ashrrev_i32_e32 v28, 31, v28
	v_and_b32_e32 v26, exec_hi, v26
	v_xor_b32_e32 v29, vcc_hi, v28
	v_xor_b32_e32 v28, vcc_lo, v28
	v_and_b32_e32 v26, v26, v29
	v_and_b32_e32 v46, v46, v28
	v_lshlrev_b32_e32 v29, 29, v45
	v_mov_b32_e32 v28, v27
	v_cmp_gt_i64_e32 vcc, 0, v[28:29]
	v_not_b32_e32 v28, v29
	v_ashrrev_i32_e32 v28, 31, v28
	v_xor_b32_e32 v29, vcc_hi, v28
	v_xor_b32_e32 v28, vcc_lo, v28
	v_and_b32_e32 v26, v26, v29
	v_and_b32_e32 v46, v46, v28
	v_lshlrev_b32_e32 v29, 28, v45
	v_mov_b32_e32 v28, v27
	v_cmp_gt_i64_e32 vcc, 0, v[28:29]
	v_not_b32_e32 v28, v29
	v_ashrrev_i32_e32 v28, 31, v28
	;; [unrolled: 9-line block ×6, first 2 shown]
	v_xor_b32_e32 v29, vcc_hi, v28
	v_xor_b32_e32 v28, vcc_lo, v28
	ds_read_b32 v43, v47 offset:32
	v_and_b32_e32 v28, v46, v28
	v_and_b32_e32 v29, v26, v29
	v_mbcnt_lo_u32_b32 v26, v28, 0
	v_mbcnt_hi_u32_b32 v45, v29, v26
	v_cmp_eq_u32_e32 vcc, 0, v45
	v_cmp_ne_u64_e64 s[0:1], 0, v[28:29]
	s_and_b64 s[2:3], s[0:1], vcc
	; wave barrier
	s_and_saveexec_b64 s[0:1], s[2:3]
	s_cbranch_execz .LBB1553_117
; %bb.116:
	v_bcnt_u32_b32 v26, v28, 0
	v_bcnt_u32_b32 v26, v29, v26
	s_waitcnt lgkmcnt(0)
	v_add_u32_e32 v26, v43, v26
	ds_write_b32 v47, v26 offset:32
.LBB1553_117:
	s_or_b64 exec, exec, s[0:1]
	s_waitcnt vmcnt(6)
	v_xor_b32_e32 v13, 0x80000000, v13
	v_lshrrev_b64 v[28:29], s24, v[12:13]
	v_and_b32_e32 v48, s13, v28
	v_lshl_add_u32 v26, v48, 3, v48
	v_add_lshl_u32 v50, v42, v26, 2
	v_and_b32_e32 v26, 1, v48
	v_lshl_add_u64 v[28:29], v[26:27], 0, -1
	v_cmp_ne_u32_e32 vcc, 0, v26
	; wave barrier
	s_nop 1
	v_xor_b32_e32 v28, vcc_lo, v28
	v_xor_b32_e32 v26, vcc_hi, v29
	v_and_b32_e32 v49, exec_lo, v28
	v_lshlrev_b32_e32 v29, 30, v48
	v_mov_b32_e32 v28, v27
	v_cmp_gt_i64_e32 vcc, 0, v[28:29]
	v_not_b32_e32 v28, v29
	v_ashrrev_i32_e32 v28, 31, v28
	v_and_b32_e32 v26, exec_hi, v26
	v_xor_b32_e32 v29, vcc_hi, v28
	v_xor_b32_e32 v28, vcc_lo, v28
	v_and_b32_e32 v26, v26, v29
	v_and_b32_e32 v49, v49, v28
	v_lshlrev_b32_e32 v29, 29, v48
	v_mov_b32_e32 v28, v27
	v_cmp_gt_i64_e32 vcc, 0, v[28:29]
	v_not_b32_e32 v28, v29
	v_ashrrev_i32_e32 v28, 31, v28
	v_xor_b32_e32 v29, vcc_hi, v28
	v_xor_b32_e32 v28, vcc_lo, v28
	v_and_b32_e32 v26, v26, v29
	v_and_b32_e32 v49, v49, v28
	v_lshlrev_b32_e32 v29, 28, v48
	v_mov_b32_e32 v28, v27
	v_cmp_gt_i64_e32 vcc, 0, v[28:29]
	v_not_b32_e32 v28, v29
	v_ashrrev_i32_e32 v28, 31, v28
	;; [unrolled: 9-line block ×5, first 2 shown]
	v_xor_b32_e32 v29, vcc_hi, v28
	v_xor_b32_e32 v28, vcc_lo, v28
	v_and_b32_e32 v26, v26, v29
	v_lshlrev_b32_e32 v29, 24, v48
	v_and_b32_e32 v49, v49, v28
	v_mov_b32_e32 v28, v27
	v_not_b32_e32 v27, v29
	v_cmp_gt_i64_e32 vcc, 0, v[28:29]
	v_ashrrev_i32_e32 v27, 31, v27
	ds_read_b32 v46, v50 offset:32
	v_xor_b32_e32 v28, vcc_hi, v27
	v_xor_b32_e32 v29, vcc_lo, v27
	v_and_b32_e32 v27, v26, v28
	v_and_b32_e32 v26, v49, v29
	v_mbcnt_lo_u32_b32 v28, v26, 0
	v_mbcnt_hi_u32_b32 v48, v27, v28
	v_cmp_eq_u32_e32 vcc, 0, v48
	v_cmp_ne_u64_e64 s[0:1], 0, v[26:27]
	s_and_b64 s[2:3], s[0:1], vcc
	; wave barrier
	s_and_saveexec_b64 s[0:1], s[2:3]
	s_cbranch_execz .LBB1553_119
; %bb.118:
	v_bcnt_u32_b32 v26, v26, 0
	v_bcnt_u32_b32 v26, v27, v26
	s_waitcnt lgkmcnt(0)
	v_add_u32_e32 v26, v46, v26
	ds_write_b32 v50, v26 offset:32
.LBB1553_119:
	s_or_b64 exec, exec, s[0:1]
	s_waitcnt vmcnt(5)
	v_xor_b32_e32 v15, 0x80000000, v15
	v_lshrrev_b64 v[26:27], s24, v[14:15]
	v_and_b32_e32 v51, s13, v26
	v_lshl_add_u32 v26, v51, 3, v51
	v_add_lshl_u32 v53, v42, v26, 2
	v_and_b32_e32 v26, 1, v51
	v_mov_b32_e32 v27, 0
	v_lshl_add_u64 v[28:29], v[26:27], 0, -1
	v_cmp_ne_u32_e32 vcc, 0, v26
	; wave barrier
	s_nop 1
	v_xor_b32_e32 v28, vcc_lo, v28
	v_xor_b32_e32 v26, vcc_hi, v29
	v_and_b32_e32 v52, exec_lo, v28
	v_lshlrev_b32_e32 v29, 30, v51
	v_mov_b32_e32 v28, v27
	v_cmp_gt_i64_e32 vcc, 0, v[28:29]
	v_not_b32_e32 v28, v29
	v_ashrrev_i32_e32 v28, 31, v28
	v_and_b32_e32 v26, exec_hi, v26
	v_xor_b32_e32 v29, vcc_hi, v28
	v_xor_b32_e32 v28, vcc_lo, v28
	v_and_b32_e32 v26, v26, v29
	v_and_b32_e32 v52, v52, v28
	v_lshlrev_b32_e32 v29, 29, v51
	v_mov_b32_e32 v28, v27
	v_cmp_gt_i64_e32 vcc, 0, v[28:29]
	v_not_b32_e32 v28, v29
	v_ashrrev_i32_e32 v28, 31, v28
	v_xor_b32_e32 v29, vcc_hi, v28
	v_xor_b32_e32 v28, vcc_lo, v28
	v_and_b32_e32 v26, v26, v29
	v_and_b32_e32 v52, v52, v28
	v_lshlrev_b32_e32 v29, 28, v51
	v_mov_b32_e32 v28, v27
	v_cmp_gt_i64_e32 vcc, 0, v[28:29]
	v_not_b32_e32 v28, v29
	v_ashrrev_i32_e32 v28, 31, v28
	;; [unrolled: 9-line block ×6, first 2 shown]
	v_xor_b32_e32 v29, vcc_hi, v28
	v_xor_b32_e32 v28, vcc_lo, v28
	ds_read_b32 v49, v53 offset:32
	v_and_b32_e32 v28, v52, v28
	v_and_b32_e32 v29, v26, v29
	v_mbcnt_lo_u32_b32 v26, v28, 0
	v_mbcnt_hi_u32_b32 v51, v29, v26
	v_cmp_eq_u32_e32 vcc, 0, v51
	v_cmp_ne_u64_e64 s[0:1], 0, v[28:29]
	s_and_b64 s[2:3], s[0:1], vcc
	; wave barrier
	s_and_saveexec_b64 s[0:1], s[2:3]
	s_cbranch_execz .LBB1553_121
; %bb.120:
	v_bcnt_u32_b32 v26, v28, 0
	v_bcnt_u32_b32 v26, v29, v26
	s_waitcnt lgkmcnt(0)
	v_add_u32_e32 v26, v49, v26
	ds_write_b32 v53, v26 offset:32
.LBB1553_121:
	s_or_b64 exec, exec, s[0:1]
	s_waitcnt vmcnt(4)
	v_xor_b32_e32 v17, 0x80000000, v17
	v_lshrrev_b64 v[28:29], s24, v[16:17]
	v_and_b32_e32 v54, s13, v28
	v_lshl_add_u32 v26, v54, 3, v54
	v_add_lshl_u32 v56, v42, v26, 2
	v_and_b32_e32 v26, 1, v54
	v_lshl_add_u64 v[28:29], v[26:27], 0, -1
	v_cmp_ne_u32_e32 vcc, 0, v26
	; wave barrier
	s_nop 1
	v_xor_b32_e32 v28, vcc_lo, v28
	v_xor_b32_e32 v26, vcc_hi, v29
	v_and_b32_e32 v55, exec_lo, v28
	v_lshlrev_b32_e32 v29, 30, v54
	v_mov_b32_e32 v28, v27
	v_cmp_gt_i64_e32 vcc, 0, v[28:29]
	v_not_b32_e32 v28, v29
	v_ashrrev_i32_e32 v28, 31, v28
	v_and_b32_e32 v26, exec_hi, v26
	v_xor_b32_e32 v29, vcc_hi, v28
	v_xor_b32_e32 v28, vcc_lo, v28
	v_and_b32_e32 v26, v26, v29
	v_and_b32_e32 v55, v55, v28
	v_lshlrev_b32_e32 v29, 29, v54
	v_mov_b32_e32 v28, v27
	v_cmp_gt_i64_e32 vcc, 0, v[28:29]
	v_not_b32_e32 v28, v29
	v_ashrrev_i32_e32 v28, 31, v28
	v_xor_b32_e32 v29, vcc_hi, v28
	v_xor_b32_e32 v28, vcc_lo, v28
	v_and_b32_e32 v26, v26, v29
	v_and_b32_e32 v55, v55, v28
	v_lshlrev_b32_e32 v29, 28, v54
	v_mov_b32_e32 v28, v27
	v_cmp_gt_i64_e32 vcc, 0, v[28:29]
	v_not_b32_e32 v28, v29
	v_ashrrev_i32_e32 v28, 31, v28
	;; [unrolled: 9-line block ×5, first 2 shown]
	v_xor_b32_e32 v29, vcc_hi, v28
	v_xor_b32_e32 v28, vcc_lo, v28
	v_and_b32_e32 v26, v26, v29
	v_lshlrev_b32_e32 v29, 24, v54
	v_and_b32_e32 v55, v55, v28
	v_mov_b32_e32 v28, v27
	v_not_b32_e32 v27, v29
	v_cmp_gt_i64_e32 vcc, 0, v[28:29]
	v_ashrrev_i32_e32 v27, 31, v27
	ds_read_b32 v52, v56 offset:32
	v_xor_b32_e32 v28, vcc_hi, v27
	v_xor_b32_e32 v29, vcc_lo, v27
	v_and_b32_e32 v27, v26, v28
	v_and_b32_e32 v26, v55, v29
	v_mbcnt_lo_u32_b32 v28, v26, 0
	v_mbcnt_hi_u32_b32 v54, v27, v28
	v_cmp_eq_u32_e32 vcc, 0, v54
	v_cmp_ne_u64_e64 s[0:1], 0, v[26:27]
	s_and_b64 s[2:3], s[0:1], vcc
	; wave barrier
	s_and_saveexec_b64 s[0:1], s[2:3]
	s_cbranch_execz .LBB1553_123
; %bb.122:
	v_bcnt_u32_b32 v26, v26, 0
	v_bcnt_u32_b32 v26, v27, v26
	s_waitcnt lgkmcnt(0)
	v_add_u32_e32 v26, v52, v26
	ds_write_b32 v56, v26 offset:32
.LBB1553_123:
	s_or_b64 exec, exec, s[0:1]
	s_waitcnt vmcnt(3)
	v_xor_b32_e32 v19, 0x80000000, v19
	v_lshrrev_b64 v[26:27], s24, v[18:19]
	v_and_b32_e32 v57, s13, v26
	v_lshl_add_u32 v26, v57, 3, v57
	v_add_lshl_u32 v59, v42, v26, 2
	v_and_b32_e32 v26, 1, v57
	v_mov_b32_e32 v27, 0
	v_lshl_add_u64 v[28:29], v[26:27], 0, -1
	v_cmp_ne_u32_e32 vcc, 0, v26
	; wave barrier
	s_nop 1
	v_xor_b32_e32 v28, vcc_lo, v28
	v_xor_b32_e32 v26, vcc_hi, v29
	v_and_b32_e32 v58, exec_lo, v28
	v_lshlrev_b32_e32 v29, 30, v57
	v_mov_b32_e32 v28, v27
	v_cmp_gt_i64_e32 vcc, 0, v[28:29]
	v_not_b32_e32 v28, v29
	v_ashrrev_i32_e32 v28, 31, v28
	v_and_b32_e32 v26, exec_hi, v26
	v_xor_b32_e32 v29, vcc_hi, v28
	v_xor_b32_e32 v28, vcc_lo, v28
	v_and_b32_e32 v26, v26, v29
	v_and_b32_e32 v58, v58, v28
	v_lshlrev_b32_e32 v29, 29, v57
	v_mov_b32_e32 v28, v27
	v_cmp_gt_i64_e32 vcc, 0, v[28:29]
	v_not_b32_e32 v28, v29
	v_ashrrev_i32_e32 v28, 31, v28
	v_xor_b32_e32 v29, vcc_hi, v28
	v_xor_b32_e32 v28, vcc_lo, v28
	v_and_b32_e32 v26, v26, v29
	v_and_b32_e32 v58, v58, v28
	v_lshlrev_b32_e32 v29, 28, v57
	v_mov_b32_e32 v28, v27
	v_cmp_gt_i64_e32 vcc, 0, v[28:29]
	v_not_b32_e32 v28, v29
	v_ashrrev_i32_e32 v28, 31, v28
	;; [unrolled: 9-line block ×6, first 2 shown]
	v_xor_b32_e32 v29, vcc_hi, v28
	v_xor_b32_e32 v28, vcc_lo, v28
	ds_read_b32 v55, v59 offset:32
	v_and_b32_e32 v28, v58, v28
	v_and_b32_e32 v29, v26, v29
	v_mbcnt_lo_u32_b32 v26, v28, 0
	v_mbcnt_hi_u32_b32 v57, v29, v26
	v_cmp_eq_u32_e32 vcc, 0, v57
	v_cmp_ne_u64_e64 s[0:1], 0, v[28:29]
	s_and_b64 s[2:3], s[0:1], vcc
	; wave barrier
	s_and_saveexec_b64 s[0:1], s[2:3]
	s_cbranch_execz .LBB1553_125
; %bb.124:
	v_bcnt_u32_b32 v26, v28, 0
	v_bcnt_u32_b32 v26, v29, v26
	s_waitcnt lgkmcnt(0)
	v_add_u32_e32 v26, v55, v26
	ds_write_b32 v59, v26 offset:32
.LBB1553_125:
	s_or_b64 exec, exec, s[0:1]
	s_waitcnt vmcnt(2)
	v_xor_b32_e32 v21, 0x80000000, v21
	v_lshrrev_b64 v[28:29], s24, v[20:21]
	v_and_b32_e32 v60, s13, v28
	v_lshl_add_u32 v26, v60, 3, v60
	v_add_lshl_u32 v62, v42, v26, 2
	v_and_b32_e32 v26, 1, v60
	v_lshl_add_u64 v[28:29], v[26:27], 0, -1
	v_cmp_ne_u32_e32 vcc, 0, v26
	; wave barrier
	s_nop 1
	v_xor_b32_e32 v28, vcc_lo, v28
	v_xor_b32_e32 v26, vcc_hi, v29
	v_and_b32_e32 v61, exec_lo, v28
	v_lshlrev_b32_e32 v29, 30, v60
	v_mov_b32_e32 v28, v27
	v_cmp_gt_i64_e32 vcc, 0, v[28:29]
	v_not_b32_e32 v28, v29
	v_ashrrev_i32_e32 v28, 31, v28
	v_and_b32_e32 v26, exec_hi, v26
	v_xor_b32_e32 v29, vcc_hi, v28
	v_xor_b32_e32 v28, vcc_lo, v28
	v_and_b32_e32 v26, v26, v29
	v_and_b32_e32 v61, v61, v28
	v_lshlrev_b32_e32 v29, 29, v60
	v_mov_b32_e32 v28, v27
	v_cmp_gt_i64_e32 vcc, 0, v[28:29]
	v_not_b32_e32 v28, v29
	v_ashrrev_i32_e32 v28, 31, v28
	v_xor_b32_e32 v29, vcc_hi, v28
	v_xor_b32_e32 v28, vcc_lo, v28
	v_and_b32_e32 v26, v26, v29
	v_and_b32_e32 v61, v61, v28
	v_lshlrev_b32_e32 v29, 28, v60
	v_mov_b32_e32 v28, v27
	v_cmp_gt_i64_e32 vcc, 0, v[28:29]
	v_not_b32_e32 v28, v29
	v_ashrrev_i32_e32 v28, 31, v28
	;; [unrolled: 9-line block ×5, first 2 shown]
	v_xor_b32_e32 v29, vcc_hi, v28
	v_xor_b32_e32 v28, vcc_lo, v28
	v_and_b32_e32 v26, v26, v29
	v_lshlrev_b32_e32 v29, 24, v60
	v_and_b32_e32 v61, v61, v28
	v_mov_b32_e32 v28, v27
	v_not_b32_e32 v27, v29
	v_cmp_gt_i64_e32 vcc, 0, v[28:29]
	v_ashrrev_i32_e32 v27, 31, v27
	ds_read_b32 v58, v62 offset:32
	v_xor_b32_e32 v28, vcc_hi, v27
	v_xor_b32_e32 v29, vcc_lo, v27
	v_and_b32_e32 v27, v26, v28
	v_and_b32_e32 v26, v61, v29
	v_mbcnt_lo_u32_b32 v28, v26, 0
	v_mbcnt_hi_u32_b32 v60, v27, v28
	v_cmp_eq_u32_e32 vcc, 0, v60
	v_cmp_ne_u64_e64 s[0:1], 0, v[26:27]
	s_and_b64 s[2:3], s[0:1], vcc
	; wave barrier
	s_and_saveexec_b64 s[0:1], s[2:3]
	s_cbranch_execz .LBB1553_127
; %bb.126:
	v_bcnt_u32_b32 v26, v26, 0
	v_bcnt_u32_b32 v26, v27, v26
	s_waitcnt lgkmcnt(0)
	v_add_u32_e32 v26, v58, v26
	ds_write_b32 v62, v26 offset:32
.LBB1553_127:
	s_or_b64 exec, exec, s[0:1]
	s_waitcnt vmcnt(1)
	v_xor_b32_e32 v23, 0x80000000, v23
	v_lshrrev_b64 v[26:27], s24, v[22:23]
	v_and_b32_e32 v63, s13, v26
	v_lshl_add_u32 v26, v63, 3, v63
	v_add_lshl_u32 v64, v42, v26, 2
	v_and_b32_e32 v26, 1, v63
	v_mov_b32_e32 v27, 0
	v_lshl_add_u64 v[28:29], v[26:27], 0, -1
	v_cmp_ne_u32_e32 vcc, 0, v26
	; wave barrier
	s_nop 1
	v_xor_b32_e32 v28, vcc_lo, v28
	v_xor_b32_e32 v26, vcc_hi, v29
	v_and_b32_e32 v65, exec_lo, v28
	v_lshlrev_b32_e32 v29, 30, v63
	v_mov_b32_e32 v28, v27
	v_cmp_gt_i64_e32 vcc, 0, v[28:29]
	v_not_b32_e32 v28, v29
	v_ashrrev_i32_e32 v28, 31, v28
	v_and_b32_e32 v26, exec_hi, v26
	v_xor_b32_e32 v29, vcc_hi, v28
	v_xor_b32_e32 v28, vcc_lo, v28
	v_and_b32_e32 v26, v26, v29
	v_and_b32_e32 v65, v65, v28
	v_lshlrev_b32_e32 v29, 29, v63
	v_mov_b32_e32 v28, v27
	v_cmp_gt_i64_e32 vcc, 0, v[28:29]
	v_not_b32_e32 v28, v29
	v_ashrrev_i32_e32 v28, 31, v28
	v_xor_b32_e32 v29, vcc_hi, v28
	v_xor_b32_e32 v28, vcc_lo, v28
	v_and_b32_e32 v26, v26, v29
	v_and_b32_e32 v65, v65, v28
	v_lshlrev_b32_e32 v29, 28, v63
	v_mov_b32_e32 v28, v27
	v_cmp_gt_i64_e32 vcc, 0, v[28:29]
	v_not_b32_e32 v28, v29
	v_ashrrev_i32_e32 v28, 31, v28
	v_xor_b32_e32 v29, vcc_hi, v28
	v_xor_b32_e32 v28, vcc_lo, v28
	v_and_b32_e32 v26, v26, v29
	v_and_b32_e32 v65, v65, v28
	v_lshlrev_b32_e32 v29, 27, v63
	v_mov_b32_e32 v28, v27
	v_cmp_gt_i64_e32 vcc, 0, v[28:29]
	v_not_b32_e32 v28, v29
	v_ashrrev_i32_e32 v28, 31, v28
	v_xor_b32_e32 v29, vcc_hi, v28
	v_xor_b32_e32 v28, vcc_lo, v28
	v_and_b32_e32 v26, v26, v29
	v_and_b32_e32 v65, v65, v28
	v_lshlrev_b32_e32 v29, 26, v63
	v_mov_b32_e32 v28, v27
	v_cmp_gt_i64_e32 vcc, 0, v[28:29]
	v_not_b32_e32 v28, v29
	v_ashrrev_i32_e32 v28, 31, v28
	v_xor_b32_e32 v29, vcc_hi, v28
	v_xor_b32_e32 v28, vcc_lo, v28
	v_and_b32_e32 v26, v26, v29
	v_and_b32_e32 v65, v65, v28
	v_lshlrev_b32_e32 v29, 25, v63
	v_mov_b32_e32 v28, v27
	v_cmp_gt_i64_e32 vcc, 0, v[28:29]
	v_not_b32_e32 v28, v29
	v_ashrrev_i32_e32 v28, 31, v28
	v_xor_b32_e32 v29, vcc_hi, v28
	v_xor_b32_e32 v28, vcc_lo, v28
	v_and_b32_e32 v26, v26, v29
	v_and_b32_e32 v65, v65, v28
	v_lshlrev_b32_e32 v29, 24, v63
	v_mov_b32_e32 v28, v27
	v_cmp_gt_i64_e32 vcc, 0, v[28:29]
	v_not_b32_e32 v28, v29
	v_ashrrev_i32_e32 v28, 31, v28
	v_xor_b32_e32 v29, vcc_hi, v28
	v_xor_b32_e32 v28, vcc_lo, v28
	ds_read_b32 v61, v64 offset:32
	v_and_b32_e32 v28, v65, v28
	v_and_b32_e32 v29, v26, v29
	v_mbcnt_lo_u32_b32 v26, v28, 0
	v_mbcnt_hi_u32_b32 v63, v29, v26
	v_cmp_eq_u32_e32 vcc, 0, v63
	v_cmp_ne_u64_e64 s[0:1], 0, v[28:29]
	s_and_b64 s[2:3], s[0:1], vcc
	; wave barrier
	s_and_saveexec_b64 s[0:1], s[2:3]
	s_cbranch_execz .LBB1553_129
; %bb.128:
	v_bcnt_u32_b32 v26, v28, 0
	v_bcnt_u32_b32 v26, v29, v26
	s_waitcnt lgkmcnt(0)
	v_add_u32_e32 v26, v61, v26
	ds_write_b32 v64, v26 offset:32
.LBB1553_129:
	s_or_b64 exec, exec, s[0:1]
	s_waitcnt vmcnt(0)
	v_xor_b32_e32 v25, 0x80000000, v25
	v_lshrrev_b64 v[28:29], s24, v[24:25]
	v_and_b32_e32 v65, s13, v28
	v_lshl_add_u32 v26, v65, 3, v65
	v_add_lshl_u32 v66, v42, v26, 2
	v_and_b32_e32 v26, 1, v65
	v_lshl_add_u64 v[28:29], v[26:27], 0, -1
	v_cmp_ne_u32_e32 vcc, 0, v26
	; wave barrier
	s_nop 1
	v_xor_b32_e32 v28, vcc_lo, v28
	v_xor_b32_e32 v26, vcc_hi, v29
	v_and_b32_e32 v68, exec_lo, v28
	v_lshlrev_b32_e32 v29, 30, v65
	v_mov_b32_e32 v28, v27
	v_cmp_gt_i64_e32 vcc, 0, v[28:29]
	v_not_b32_e32 v28, v29
	v_ashrrev_i32_e32 v28, 31, v28
	v_and_b32_e32 v26, exec_hi, v26
	v_xor_b32_e32 v29, vcc_hi, v28
	v_xor_b32_e32 v28, vcc_lo, v28
	v_and_b32_e32 v26, v26, v29
	v_and_b32_e32 v68, v68, v28
	v_lshlrev_b32_e32 v29, 29, v65
	v_mov_b32_e32 v28, v27
	v_cmp_gt_i64_e32 vcc, 0, v[28:29]
	v_not_b32_e32 v28, v29
	v_ashrrev_i32_e32 v28, 31, v28
	v_xor_b32_e32 v29, vcc_hi, v28
	v_xor_b32_e32 v28, vcc_lo, v28
	v_and_b32_e32 v26, v26, v29
	v_and_b32_e32 v68, v68, v28
	v_lshlrev_b32_e32 v29, 28, v65
	v_mov_b32_e32 v28, v27
	v_cmp_gt_i64_e32 vcc, 0, v[28:29]
	v_not_b32_e32 v28, v29
	v_ashrrev_i32_e32 v28, 31, v28
	;; [unrolled: 9-line block ×5, first 2 shown]
	v_xor_b32_e32 v29, vcc_hi, v28
	v_xor_b32_e32 v28, vcc_lo, v28
	v_and_b32_e32 v26, v26, v29
	v_lshlrev_b32_e32 v29, 24, v65
	v_and_b32_e32 v68, v68, v28
	v_mov_b32_e32 v28, v27
	v_not_b32_e32 v27, v29
	v_cmp_gt_i64_e32 vcc, 0, v[28:29]
	v_ashrrev_i32_e32 v27, 31, v27
	ds_read_b32 v42, v66 offset:32
	v_xor_b32_e32 v28, vcc_hi, v27
	v_xor_b32_e32 v29, vcc_lo, v27
	v_and_b32_e32 v27, v26, v28
	v_and_b32_e32 v26, v68, v29
	v_mbcnt_lo_u32_b32 v28, v26, 0
	v_mbcnt_hi_u32_b32 v65, v27, v28
	v_cmp_eq_u32_e32 vcc, 0, v65
	v_cmp_ne_u64_e64 s[0:1], 0, v[26:27]
	v_add_u32_e32 v67, 32, v30
	s_and_b64 s[2:3], s[0:1], vcc
	; wave barrier
	s_and_saveexec_b64 s[0:1], s[2:3]
	s_cbranch_execz .LBB1553_131
; %bb.130:
	v_bcnt_u32_b32 v26, v26, 0
	v_bcnt_u32_b32 v26, v27, v26
	s_waitcnt lgkmcnt(0)
	v_add_u32_e32 v26, v42, v26
	ds_write_b32 v66, v26 offset:32
.LBB1553_131:
	s_or_b64 exec, exec, s[0:1]
	; wave barrier
	s_waitcnt lgkmcnt(0)
	s_barrier
	ds_read2_b32 v[28:29], v30 offset0:8 offset1:9
	ds_read2_b32 v[26:27], v67 offset0:2 offset1:3
	ds_read_b32 v68, v67 offset:16
	v_min_u32_e32 v31, 0x1c0, v31
	v_or_b32_e32 v31, 63, v31
	s_waitcnt lgkmcnt(1)
	v_add3_u32 v69, v29, v28, v26
	s_waitcnt lgkmcnt(0)
	v_add3_u32 v68, v69, v27, v68
	v_and_b32_e32 v69, 15, v3
	v_cmp_ne_u32_e32 vcc, 0, v69
	v_mov_b32_dpp v70, v68 row_shr:1 row_mask:0xf bank_mask:0xf
	s_nop 0
	v_cndmask_b32_e32 v70, 0, v70, vcc
	v_add_u32_e32 v68, v70, v68
	v_cmp_lt_u32_e32 vcc, 1, v69
	s_nop 0
	v_mov_b32_dpp v70, v68 row_shr:2 row_mask:0xf bank_mask:0xf
	v_cndmask_b32_e32 v70, 0, v70, vcc
	v_add_u32_e32 v68, v68, v70
	v_cmp_lt_u32_e32 vcc, 3, v69
	s_nop 0
	v_mov_b32_dpp v70, v68 row_shr:4 row_mask:0xf bank_mask:0xf
	;; [unrolled: 5-line block ×3, first 2 shown]
	v_cndmask_b32_e32 v69, 0, v70, vcc
	v_add_u32_e32 v68, v68, v69
	v_bfe_i32 v70, v3, 4, 1
	v_cmp_lt_u32_e32 vcc, 31, v3
	v_mov_b32_dpp v69, v68 row_bcast:15 row_mask:0xf bank_mask:0xf
	v_and_b32_e32 v69, v70, v69
	v_add_u32_e32 v68, v68, v69
	s_nop 1
	v_mov_b32_dpp v69, v68 row_bcast:31 row_mask:0xf bank_mask:0xf
	v_cndmask_b32_e32 v69, 0, v69, vcc
	v_add_u32_e32 v68, v68, v69
	v_lshrrev_b32_e32 v69, 6, v2
	v_cmp_eq_u32_e32 vcc, v31, v2
	s_and_saveexec_b64 s[0:1], vcc
	s_cbranch_execz .LBB1553_133
; %bb.132:
	v_lshlrev_b32_e32 v31, 2, v69
	ds_write_b32 v31, v68
.LBB1553_133:
	s_or_b64 exec, exec, s[0:1]
	v_cmp_gt_u32_e32 vcc, 8, v2
	s_waitcnt lgkmcnt(0)
	s_barrier
	s_and_saveexec_b64 s[0:1], vcc
	s_cbranch_execz .LBB1553_135
; %bb.134:
	v_lshlrev_b32_e32 v31, 2, v2
	ds_read_b32 v70, v31
	v_and_b32_e32 v71, 7, v3
	v_cmp_ne_u32_e32 vcc, 0, v71
	s_waitcnt lgkmcnt(0)
	v_mov_b32_dpp v72, v70 row_shr:1 row_mask:0xf bank_mask:0xf
	v_cndmask_b32_e32 v72, 0, v72, vcc
	v_add_u32_e32 v70, v72, v70
	v_cmp_lt_u32_e32 vcc, 1, v71
	s_nop 0
	v_mov_b32_dpp v72, v70 row_shr:2 row_mask:0xf bank_mask:0xf
	v_cndmask_b32_e32 v72, 0, v72, vcc
	v_add_u32_e32 v70, v70, v72
	v_cmp_lt_u32_e32 vcc, 3, v71
	s_nop 0
	v_mov_b32_dpp v72, v70 row_shr:4 row_mask:0xf bank_mask:0xf
	v_cndmask_b32_e32 v71, 0, v72, vcc
	v_add_u32_e32 v70, v70, v71
	ds_write_b32 v31, v70
.LBB1553_135:
	s_or_b64 exec, exec, s[0:1]
	v_cmp_lt_u32_e32 vcc, 63, v2
	v_mov_b32_e32 v31, 0
	s_waitcnt lgkmcnt(0)
	s_barrier
	s_and_saveexec_b64 s[0:1], vcc
	s_cbranch_execz .LBB1553_137
; %bb.136:
	v_lshl_add_u32 v31, v69, 2, -4
	ds_read_b32 v31, v31
.LBB1553_137:
	s_or_b64 exec, exec, s[0:1]
	v_add_u32_e32 v69, -1, v3
	v_and_b32_e32 v70, 64, v3
	v_cmp_lt_i32_e32 vcc, v69, v70
	s_waitcnt lgkmcnt(0)
	v_add_u32_e32 v68, v31, v68
	s_movk_i32 s0, 0x100
	v_cndmask_b32_e32 v69, v69, v3, vcc
	v_lshlrev_b32_e32 v69, 2, v69
	ds_bpermute_b32 v68, v69, v68
	v_cmp_eq_u32_e32 vcc, 0, v3
	s_waitcnt lgkmcnt(0)
	s_nop 0
	v_cndmask_b32_e32 v3, v68, v31, vcc
	v_cndmask_b32_e64 v3, v3, 0, s[4:5]
	v_add_u32_e32 v28, v3, v28
	v_add_u32_e32 v29, v28, v29
	;; [unrolled: 1-line block ×4, first 2 shown]
	ds_write2_b32 v30, v3, v28 offset0:8 offset1:9
	ds_write2_b32 v67, v29, v26 offset0:2 offset1:3
	ds_write_b32 v67, v27 offset:16
	s_waitcnt lgkmcnt(0)
	s_barrier
	ds_read_b32 v73, v36 offset:32
	ds_read_b32 v67, v37 offset:32
	;; [unrolled: 1-line block ×12, first 2 shown]
	v_cmp_gt_u32_e32 vcc, s0, v2
                                        ; implicit-def: $vgpr3
                                        ; implicit-def: $vgpr36
	s_and_saveexec_b64 s[2:3], vcc
	s_cbranch_execz .LBB1553_141
; %bb.138:
	v_mul_u32_u24_e32 v3, 9, v2
	v_lshlrev_b32_e32 v27, 2, v3
	ds_read_b32 v3, v27 offset:32
	s_movk_i32 s0, 0xff
	v_cmp_ne_u32_e64 s[0:1], s0, v2
	v_mov_b32_e32 v26, 0x1800
	s_and_saveexec_b64 s[4:5], s[0:1]
	s_cbranch_execz .LBB1553_140
; %bb.139:
	ds_read_b32 v26, v27 offset:68
.LBB1553_140:
	s_or_b64 exec, exec, s[4:5]
	s_waitcnt lgkmcnt(0)
	v_sub_u32_e32 v36, v26, v3
.LBB1553_141:
	s_or_b64 exec, exec, s[2:3]
	s_waitcnt lgkmcnt(0)
	s_barrier
	s_and_saveexec_b64 s[2:3], vcc
	s_cbranch_execz .LBB1553_151
; %bb.142:
	v_lshl_or_b32 v28, s27, 8, v2
	v_mov_b32_e32 v29, 0
	v_lshl_add_u64 v[26:27], v[28:29], 2, s[18:19]
	v_or_b32_e32 v28, 2.0, v36
	s_mov_b64 s[4:5], 0
	s_brev_b32 s14, 1
	s_mov_b32 s15, s27
	v_mov_b32_e32 v47, 0
	global_store_dword v[26:27], v28, off sc1
                                        ; implicit-def: $sgpr0_sgpr1
	s_branch .LBB1553_145
.LBB1553_143:                           ;   in Loop: Header=BB1553_145 Depth=1
	s_or_b64 exec, exec, s[10:11]
.LBB1553_144:                           ;   in Loop: Header=BB1553_145 Depth=1
	s_or_b64 exec, exec, s[6:7]
	v_and_b32_e32 v30, 0x3fffffff, v53
	v_add_u32_e32 v47, v30, v47
	v_cmp_eq_u32_e64 s[0:1], s14, v28
	s_and_b64 s[6:7], exec, s[0:1]
	s_or_b64 s[4:5], s[6:7], s[4:5]
	s_andn2_b64 exec, exec, s[4:5]
	s_cbranch_execz .LBB1553_150
.LBB1553_145:                           ; =>This Loop Header: Depth=1
                                        ;     Child Loop BB1553_148 Depth 2
	s_or_b64 s[0:1], s[0:1], exec
	s_cmp_eq_u32 s15, 0
	s_cbranch_scc1 .LBB1553_149
; %bb.146:                              ;   in Loop: Header=BB1553_145 Depth=1
	s_add_i32 s15, s15, -1
	v_lshl_or_b32 v28, s15, 8, v2
	v_lshl_add_u64 v[30:31], v[28:29], 2, s[18:19]
	global_load_dword v53, v[30:31], off sc1
	s_waitcnt vmcnt(0)
	v_and_b32_e32 v28, -2.0, v53
	v_cmp_eq_u32_e64 s[0:1], 0, v28
	s_and_saveexec_b64 s[6:7], s[0:1]
	s_cbranch_execz .LBB1553_144
; %bb.147:                              ;   in Loop: Header=BB1553_145 Depth=1
	s_mov_b64 s[10:11], 0
.LBB1553_148:                           ;   Parent Loop BB1553_145 Depth=1
                                        ; =>  This Inner Loop Header: Depth=2
	global_load_dword v53, v[30:31], off sc1
	s_waitcnt vmcnt(0)
	v_and_b32_e32 v28, -2.0, v53
	v_cmp_ne_u32_e64 s[0:1], 0, v28
	s_or_b64 s[10:11], s[0:1], s[10:11]
	s_andn2_b64 exec, exec, s[10:11]
	s_cbranch_execnz .LBB1553_148
	s_branch .LBB1553_143
.LBB1553_149:                           ;   in Loop: Header=BB1553_145 Depth=1
                                        ; implicit-def: $sgpr15
	s_and_b64 s[6:7], exec, s[0:1]
	s_or_b64 s[4:5], s[6:7], s[4:5]
	s_andn2_b64 exec, exec, s[4:5]
	s_cbranch_execnz .LBB1553_145
.LBB1553_150:
	s_or_b64 exec, exec, s[4:5]
	v_add_u32_e32 v28, v47, v36
	v_or_b32_e32 v28, 0x80000000, v28
	global_store_dword v[26:27], v28, off sc1
	v_lshlrev_b32_e32 v26, 2, v2
	global_load_dword v27, v26, s[20:21]
	v_sub_u32_e32 v28, v47, v3
	s_waitcnt vmcnt(0)
	v_add_u32_e32 v27, v28, v27
	ds_write_b32 v26, v27
.LBB1553_151:
	s_or_b64 exec, exec, s[2:3]
	v_add_u32_e32 v28, v73, v33
	v_add3_u32 v26, v34, v32, v67
	v_add3_u32 v27, v38, v35, v68
	v_add3_u32 v59, v41, v39, v69
	v_add3_u32 v62, v45, v43, v70
	v_add3_u32 v64, v48, v46, v71
	v_add3_u32 v66, v51, v49, v72
	v_add3_u32 v53, v54, v52, v56
	v_add3_u32 v47, v57, v55, v50
	v_add3_u32 v73, v60, v58, v44
	v_add3_u32 v74, v63, v61, v40
	v_add3_u32 v31, v65, v42, v37
	v_lshlrev_b32_e32 v29, 3, v2
	v_mov_b32_e32 v75, 0x400
	s_movk_i32 s4, 0x400
	v_add_u32_e32 v30, 0x400, v29
	v_lshl_add_u32 v31, v31, 3, v75
	v_add3_u32 v33, v65, v37, v42
	v_lshl_add_u32 v37, v74, 3, v75
	v_add3_u32 v40, v63, v40, v61
	;; [unrolled: 2-line block ×11, first 2 shown]
	v_lshl_add_u32 v34, v28, 3, v75
	s_mov_b32 s5, 0
	s_movk_i32 s6, 0x200
	v_mov_b32_e32 v27, 0
	v_mov_b32_e32 v55, v2
	s_mov_b32 s7, 0
	s_branch .LBB1553_153
.LBB1553_152:                           ;   in Loop: Header=BB1553_153 Depth=1
	s_or_b64 exec, exec, s[2:3]
	s_waitcnt lgkmcnt(0)
	s_barrier
	ds_read_b64 v[56:57], v29 offset:1024
	ds_read_b64 v[58:59], v30 offset:4096
	s_addk_i32 s7, 0xe000
	s_addk_i32 s5, 0xfc00
	s_cmp_eq_u32 s7, 0xffff4000
	s_waitcnt lgkmcnt(1)
	v_lshrrev_b64 v[60:61], s24, v[56:57]
	v_and_b32_e32 v26, s13, v60
	s_waitcnt lgkmcnt(0)
	v_lshrrev_b64 v[60:61], s24, v[58:59]
	v_lshlrev_b32_e32 v26, 2, v26
	v_and_b32_e32 v60, s13, v60
	ds_read_b32 v26, v26
	v_lshlrev_b32_e32 v60, 2, v60
	ds_read_b32 v62, v60
	v_xor_b32_e32 v57, 0x80000000, v57
	v_xor_b32_e32 v59, 0x80000000, v59
	s_waitcnt lgkmcnt(1)
	v_add_u32_e32 v26, v55, v26
	v_lshl_add_u64 v[60:61], v[26:27], 3, s[30:31]
	s_waitcnt lgkmcnt(0)
	v_add3_u32 v26, v55, v62, s6
	global_store_dwordx2 v[60:61], v[56:57], off
	v_lshl_add_u64 v[56:57], v[26:27], 3, s[30:31]
	v_add_u32_e32 v55, 0x400, v55
	global_store_dwordx2 v[56:57], v[58:59], off
	s_barrier
	s_cbranch_scc1 .LBB1553_177
.LBB1553_153:                           ; =>This Inner Loop Header: Depth=1
	v_add_u32_e32 v26, s5, v28
	v_cmp_gt_u32_e64 s[0:1], s4, v26
	s_and_saveexec_b64 s[2:3], s[0:1]
	s_cbranch_execz .LBB1553_155
; %bb.154:                              ;   in Loop: Header=BB1553_153 Depth=1
	v_add_u32_e32 v26, s7, v34
	ds_write_b64 v26, v[4:5]
.LBB1553_155:                           ;   in Loop: Header=BB1553_153 Depth=1
	s_or_b64 exec, exec, s[2:3]
	v_add_u32_e32 v26, s5, v32
	v_cmp_gt_u32_e64 s[0:1], s4, v26
	s_and_saveexec_b64 s[2:3], s[0:1]
	s_cbranch_execz .LBB1553_157
; %bb.156:                              ;   in Loop: Header=BB1553_153 Depth=1
	v_add_u32_e32 v26, s7, v38
	ds_write_b64 v26, v[0:1]
.LBB1553_157:                           ;   in Loop: Header=BB1553_153 Depth=1
	s_or_b64 exec, exec, s[2:3]
	;; [unrolled: 9-line block ×11, first 2 shown]
	v_add_u32_e32 v26, s5, v33
	v_cmp_gt_u32_e64 s[0:1], s4, v26
	s_and_saveexec_b64 s[2:3], s[0:1]
	s_cbranch_execz .LBB1553_152
; %bb.176:                              ;   in Loop: Header=BB1553_153 Depth=1
	v_add_u32_e32 v26, s7, v31
	ds_write_b64 v26, v[24:25]
	s_branch .LBB1553_152
.LBB1553_177:
	s_add_i32 s12, s12, -1
	s_cmp_eq_u32 s12, s27
	s_cselect_b64 s[0:1], -1, 0
	s_and_b64 s[2:3], vcc, s[0:1]
                                        ; implicit-def: $vgpr4
	s_and_saveexec_b64 s[0:1], s[2:3]
; %bb.178:
	v_add_u32_e32 v4, v3, v36
	s_or_b64 s[8:9], s[8:9], exec
; %bb.179:
	s_or_b64 exec, exec, s[0:1]
.LBB1553_180:
	s_and_saveexec_b64 s[0:1], s[8:9]
	s_cbranch_execnz .LBB1553_182
; %bb.181:
	s_endpgm
.LBB1553_182:
	v_lshlrev_b32_e32 v0, 2, v2
	ds_read_b32 v1, v0
	s_waitcnt lgkmcnt(0)
	v_add_u32_e32 v1, v1, v4
	global_store_dword v0, v1, s[22:23]
	s_endpgm
	.section	.rodata,"a",@progbits
	.p2align	6, 0x0
	.amdhsa_kernel _ZN7rocprim17ROCPRIM_400000_NS6detail17trampoline_kernelINS0_14default_configENS1_35radix_sort_onesweep_config_selectorIxNS0_10empty_typeEEEZZNS1_29radix_sort_onesweep_iterationIS3_Lb0EN6thrust23THRUST_200600_302600_NS6detail15normal_iteratorINS9_10device_ptrIxEEEESE_PS5_SF_jNS0_19identity_decomposerENS1_16block_id_wrapperIjLb1EEEEE10hipError_tT1_PNSt15iterator_traitsISK_E10value_typeET2_T3_PNSL_ISQ_E10value_typeET4_T5_PSV_SW_PNS1_23onesweep_lookback_stateEbbT6_jjT7_P12ihipStream_tbENKUlT_T0_SK_SP_E_clISE_PxSF_SF_EEDaS13_S14_SK_SP_EUlS13_E_NS1_11comp_targetILNS1_3genE5ELNS1_11target_archE942ELNS1_3gpuE9ELNS1_3repE0EEENS1_47radix_sort_onesweep_sort_config_static_selectorELNS0_4arch9wavefront6targetE1EEEvSK_
		.amdhsa_group_segment_fixed_size 10280
		.amdhsa_private_segment_fixed_size 0
		.amdhsa_kernarg_size 344
		.amdhsa_user_sgpr_count 2
		.amdhsa_user_sgpr_dispatch_ptr 0
		.amdhsa_user_sgpr_queue_ptr 0
		.amdhsa_user_sgpr_kernarg_segment_ptr 1
		.amdhsa_user_sgpr_dispatch_id 0
		.amdhsa_user_sgpr_kernarg_preload_length 0
		.amdhsa_user_sgpr_kernarg_preload_offset 0
		.amdhsa_user_sgpr_private_segment_size 0
		.amdhsa_uses_dynamic_stack 0
		.amdhsa_enable_private_segment 0
		.amdhsa_system_sgpr_workgroup_id_x 1
		.amdhsa_system_sgpr_workgroup_id_y 0
		.amdhsa_system_sgpr_workgroup_id_z 0
		.amdhsa_system_sgpr_workgroup_info 0
		.amdhsa_system_vgpr_workitem_id 2
		.amdhsa_next_free_vgpr 78
		.amdhsa_next_free_sgpr 36
		.amdhsa_accum_offset 80
		.amdhsa_reserve_vcc 1
		.amdhsa_float_round_mode_32 0
		.amdhsa_float_round_mode_16_64 0
		.amdhsa_float_denorm_mode_32 3
		.amdhsa_float_denorm_mode_16_64 3
		.amdhsa_dx10_clamp 1
		.amdhsa_ieee_mode 1
		.amdhsa_fp16_overflow 0
		.amdhsa_tg_split 0
		.amdhsa_exception_fp_ieee_invalid_op 0
		.amdhsa_exception_fp_denorm_src 0
		.amdhsa_exception_fp_ieee_div_zero 0
		.amdhsa_exception_fp_ieee_overflow 0
		.amdhsa_exception_fp_ieee_underflow 0
		.amdhsa_exception_fp_ieee_inexact 0
		.amdhsa_exception_int_div_zero 0
	.end_amdhsa_kernel
	.section	.text._ZN7rocprim17ROCPRIM_400000_NS6detail17trampoline_kernelINS0_14default_configENS1_35radix_sort_onesweep_config_selectorIxNS0_10empty_typeEEEZZNS1_29radix_sort_onesweep_iterationIS3_Lb0EN6thrust23THRUST_200600_302600_NS6detail15normal_iteratorINS9_10device_ptrIxEEEESE_PS5_SF_jNS0_19identity_decomposerENS1_16block_id_wrapperIjLb1EEEEE10hipError_tT1_PNSt15iterator_traitsISK_E10value_typeET2_T3_PNSL_ISQ_E10value_typeET4_T5_PSV_SW_PNS1_23onesweep_lookback_stateEbbT6_jjT7_P12ihipStream_tbENKUlT_T0_SK_SP_E_clISE_PxSF_SF_EEDaS13_S14_SK_SP_EUlS13_E_NS1_11comp_targetILNS1_3genE5ELNS1_11target_archE942ELNS1_3gpuE9ELNS1_3repE0EEENS1_47radix_sort_onesweep_sort_config_static_selectorELNS0_4arch9wavefront6targetE1EEEvSK_,"axG",@progbits,_ZN7rocprim17ROCPRIM_400000_NS6detail17trampoline_kernelINS0_14default_configENS1_35radix_sort_onesweep_config_selectorIxNS0_10empty_typeEEEZZNS1_29radix_sort_onesweep_iterationIS3_Lb0EN6thrust23THRUST_200600_302600_NS6detail15normal_iteratorINS9_10device_ptrIxEEEESE_PS5_SF_jNS0_19identity_decomposerENS1_16block_id_wrapperIjLb1EEEEE10hipError_tT1_PNSt15iterator_traitsISK_E10value_typeET2_T3_PNSL_ISQ_E10value_typeET4_T5_PSV_SW_PNS1_23onesweep_lookback_stateEbbT6_jjT7_P12ihipStream_tbENKUlT_T0_SK_SP_E_clISE_PxSF_SF_EEDaS13_S14_SK_SP_EUlS13_E_NS1_11comp_targetILNS1_3genE5ELNS1_11target_archE942ELNS1_3gpuE9ELNS1_3repE0EEENS1_47radix_sort_onesweep_sort_config_static_selectorELNS0_4arch9wavefront6targetE1EEEvSK_,comdat
.Lfunc_end1553:
	.size	_ZN7rocprim17ROCPRIM_400000_NS6detail17trampoline_kernelINS0_14default_configENS1_35radix_sort_onesweep_config_selectorIxNS0_10empty_typeEEEZZNS1_29radix_sort_onesweep_iterationIS3_Lb0EN6thrust23THRUST_200600_302600_NS6detail15normal_iteratorINS9_10device_ptrIxEEEESE_PS5_SF_jNS0_19identity_decomposerENS1_16block_id_wrapperIjLb1EEEEE10hipError_tT1_PNSt15iterator_traitsISK_E10value_typeET2_T3_PNSL_ISQ_E10value_typeET4_T5_PSV_SW_PNS1_23onesweep_lookback_stateEbbT6_jjT7_P12ihipStream_tbENKUlT_T0_SK_SP_E_clISE_PxSF_SF_EEDaS13_S14_SK_SP_EUlS13_E_NS1_11comp_targetILNS1_3genE5ELNS1_11target_archE942ELNS1_3gpuE9ELNS1_3repE0EEENS1_47radix_sort_onesweep_sort_config_static_selectorELNS0_4arch9wavefront6targetE1EEEvSK_, .Lfunc_end1553-_ZN7rocprim17ROCPRIM_400000_NS6detail17trampoline_kernelINS0_14default_configENS1_35radix_sort_onesweep_config_selectorIxNS0_10empty_typeEEEZZNS1_29radix_sort_onesweep_iterationIS3_Lb0EN6thrust23THRUST_200600_302600_NS6detail15normal_iteratorINS9_10device_ptrIxEEEESE_PS5_SF_jNS0_19identity_decomposerENS1_16block_id_wrapperIjLb1EEEEE10hipError_tT1_PNSt15iterator_traitsISK_E10value_typeET2_T3_PNSL_ISQ_E10value_typeET4_T5_PSV_SW_PNS1_23onesweep_lookback_stateEbbT6_jjT7_P12ihipStream_tbENKUlT_T0_SK_SP_E_clISE_PxSF_SF_EEDaS13_S14_SK_SP_EUlS13_E_NS1_11comp_targetILNS1_3genE5ELNS1_11target_archE942ELNS1_3gpuE9ELNS1_3repE0EEENS1_47radix_sort_onesweep_sort_config_static_selectorELNS0_4arch9wavefront6targetE1EEEvSK_
                                        ; -- End function
	.section	.AMDGPU.csdata,"",@progbits
; Kernel info:
; codeLenInByte = 15268
; NumSgprs: 42
; NumVgprs: 78
; NumAgprs: 0
; TotalNumVgprs: 78
; ScratchSize: 0
; MemoryBound: 0
; FloatMode: 240
; IeeeMode: 1
; LDSByteSize: 10280 bytes/workgroup (compile time only)
; SGPRBlocks: 5
; VGPRBlocks: 9
; NumSGPRsForWavesPerEU: 42
; NumVGPRsForWavesPerEU: 78
; AccumOffset: 80
; Occupancy: 6
; WaveLimiterHint : 1
; COMPUTE_PGM_RSRC2:SCRATCH_EN: 0
; COMPUTE_PGM_RSRC2:USER_SGPR: 2
; COMPUTE_PGM_RSRC2:TRAP_HANDLER: 0
; COMPUTE_PGM_RSRC2:TGID_X_EN: 1
; COMPUTE_PGM_RSRC2:TGID_Y_EN: 0
; COMPUTE_PGM_RSRC2:TGID_Z_EN: 0
; COMPUTE_PGM_RSRC2:TIDIG_COMP_CNT: 2
; COMPUTE_PGM_RSRC3_GFX90A:ACCUM_OFFSET: 19
; COMPUTE_PGM_RSRC3_GFX90A:TG_SPLIT: 0
	.section	.text._ZN7rocprim17ROCPRIM_400000_NS6detail17trampoline_kernelINS0_14default_configENS1_35radix_sort_onesweep_config_selectorIxNS0_10empty_typeEEEZZNS1_29radix_sort_onesweep_iterationIS3_Lb0EN6thrust23THRUST_200600_302600_NS6detail15normal_iteratorINS9_10device_ptrIxEEEESE_PS5_SF_jNS0_19identity_decomposerENS1_16block_id_wrapperIjLb1EEEEE10hipError_tT1_PNSt15iterator_traitsISK_E10value_typeET2_T3_PNSL_ISQ_E10value_typeET4_T5_PSV_SW_PNS1_23onesweep_lookback_stateEbbT6_jjT7_P12ihipStream_tbENKUlT_T0_SK_SP_E_clISE_PxSF_SF_EEDaS13_S14_SK_SP_EUlS13_E_NS1_11comp_targetILNS1_3genE2ELNS1_11target_archE906ELNS1_3gpuE6ELNS1_3repE0EEENS1_47radix_sort_onesweep_sort_config_static_selectorELNS0_4arch9wavefront6targetE1EEEvSK_,"axG",@progbits,_ZN7rocprim17ROCPRIM_400000_NS6detail17trampoline_kernelINS0_14default_configENS1_35radix_sort_onesweep_config_selectorIxNS0_10empty_typeEEEZZNS1_29radix_sort_onesweep_iterationIS3_Lb0EN6thrust23THRUST_200600_302600_NS6detail15normal_iteratorINS9_10device_ptrIxEEEESE_PS5_SF_jNS0_19identity_decomposerENS1_16block_id_wrapperIjLb1EEEEE10hipError_tT1_PNSt15iterator_traitsISK_E10value_typeET2_T3_PNSL_ISQ_E10value_typeET4_T5_PSV_SW_PNS1_23onesweep_lookback_stateEbbT6_jjT7_P12ihipStream_tbENKUlT_T0_SK_SP_E_clISE_PxSF_SF_EEDaS13_S14_SK_SP_EUlS13_E_NS1_11comp_targetILNS1_3genE2ELNS1_11target_archE906ELNS1_3gpuE6ELNS1_3repE0EEENS1_47radix_sort_onesweep_sort_config_static_selectorELNS0_4arch9wavefront6targetE1EEEvSK_,comdat
	.protected	_ZN7rocprim17ROCPRIM_400000_NS6detail17trampoline_kernelINS0_14default_configENS1_35radix_sort_onesweep_config_selectorIxNS0_10empty_typeEEEZZNS1_29radix_sort_onesweep_iterationIS3_Lb0EN6thrust23THRUST_200600_302600_NS6detail15normal_iteratorINS9_10device_ptrIxEEEESE_PS5_SF_jNS0_19identity_decomposerENS1_16block_id_wrapperIjLb1EEEEE10hipError_tT1_PNSt15iterator_traitsISK_E10value_typeET2_T3_PNSL_ISQ_E10value_typeET4_T5_PSV_SW_PNS1_23onesweep_lookback_stateEbbT6_jjT7_P12ihipStream_tbENKUlT_T0_SK_SP_E_clISE_PxSF_SF_EEDaS13_S14_SK_SP_EUlS13_E_NS1_11comp_targetILNS1_3genE2ELNS1_11target_archE906ELNS1_3gpuE6ELNS1_3repE0EEENS1_47radix_sort_onesweep_sort_config_static_selectorELNS0_4arch9wavefront6targetE1EEEvSK_ ; -- Begin function _ZN7rocprim17ROCPRIM_400000_NS6detail17trampoline_kernelINS0_14default_configENS1_35radix_sort_onesweep_config_selectorIxNS0_10empty_typeEEEZZNS1_29radix_sort_onesweep_iterationIS3_Lb0EN6thrust23THRUST_200600_302600_NS6detail15normal_iteratorINS9_10device_ptrIxEEEESE_PS5_SF_jNS0_19identity_decomposerENS1_16block_id_wrapperIjLb1EEEEE10hipError_tT1_PNSt15iterator_traitsISK_E10value_typeET2_T3_PNSL_ISQ_E10value_typeET4_T5_PSV_SW_PNS1_23onesweep_lookback_stateEbbT6_jjT7_P12ihipStream_tbENKUlT_T0_SK_SP_E_clISE_PxSF_SF_EEDaS13_S14_SK_SP_EUlS13_E_NS1_11comp_targetILNS1_3genE2ELNS1_11target_archE906ELNS1_3gpuE6ELNS1_3repE0EEENS1_47radix_sort_onesweep_sort_config_static_selectorELNS0_4arch9wavefront6targetE1EEEvSK_
	.globl	_ZN7rocprim17ROCPRIM_400000_NS6detail17trampoline_kernelINS0_14default_configENS1_35radix_sort_onesweep_config_selectorIxNS0_10empty_typeEEEZZNS1_29radix_sort_onesweep_iterationIS3_Lb0EN6thrust23THRUST_200600_302600_NS6detail15normal_iteratorINS9_10device_ptrIxEEEESE_PS5_SF_jNS0_19identity_decomposerENS1_16block_id_wrapperIjLb1EEEEE10hipError_tT1_PNSt15iterator_traitsISK_E10value_typeET2_T3_PNSL_ISQ_E10value_typeET4_T5_PSV_SW_PNS1_23onesweep_lookback_stateEbbT6_jjT7_P12ihipStream_tbENKUlT_T0_SK_SP_E_clISE_PxSF_SF_EEDaS13_S14_SK_SP_EUlS13_E_NS1_11comp_targetILNS1_3genE2ELNS1_11target_archE906ELNS1_3gpuE6ELNS1_3repE0EEENS1_47radix_sort_onesweep_sort_config_static_selectorELNS0_4arch9wavefront6targetE1EEEvSK_
	.p2align	8
	.type	_ZN7rocprim17ROCPRIM_400000_NS6detail17trampoline_kernelINS0_14default_configENS1_35radix_sort_onesweep_config_selectorIxNS0_10empty_typeEEEZZNS1_29radix_sort_onesweep_iterationIS3_Lb0EN6thrust23THRUST_200600_302600_NS6detail15normal_iteratorINS9_10device_ptrIxEEEESE_PS5_SF_jNS0_19identity_decomposerENS1_16block_id_wrapperIjLb1EEEEE10hipError_tT1_PNSt15iterator_traitsISK_E10value_typeET2_T3_PNSL_ISQ_E10value_typeET4_T5_PSV_SW_PNS1_23onesweep_lookback_stateEbbT6_jjT7_P12ihipStream_tbENKUlT_T0_SK_SP_E_clISE_PxSF_SF_EEDaS13_S14_SK_SP_EUlS13_E_NS1_11comp_targetILNS1_3genE2ELNS1_11target_archE906ELNS1_3gpuE6ELNS1_3repE0EEENS1_47radix_sort_onesweep_sort_config_static_selectorELNS0_4arch9wavefront6targetE1EEEvSK_,@function
_ZN7rocprim17ROCPRIM_400000_NS6detail17trampoline_kernelINS0_14default_configENS1_35radix_sort_onesweep_config_selectorIxNS0_10empty_typeEEEZZNS1_29radix_sort_onesweep_iterationIS3_Lb0EN6thrust23THRUST_200600_302600_NS6detail15normal_iteratorINS9_10device_ptrIxEEEESE_PS5_SF_jNS0_19identity_decomposerENS1_16block_id_wrapperIjLb1EEEEE10hipError_tT1_PNSt15iterator_traitsISK_E10value_typeET2_T3_PNSL_ISQ_E10value_typeET4_T5_PSV_SW_PNS1_23onesweep_lookback_stateEbbT6_jjT7_P12ihipStream_tbENKUlT_T0_SK_SP_E_clISE_PxSF_SF_EEDaS13_S14_SK_SP_EUlS13_E_NS1_11comp_targetILNS1_3genE2ELNS1_11target_archE906ELNS1_3gpuE6ELNS1_3repE0EEENS1_47radix_sort_onesweep_sort_config_static_selectorELNS0_4arch9wavefront6targetE1EEEvSK_: ; @_ZN7rocprim17ROCPRIM_400000_NS6detail17trampoline_kernelINS0_14default_configENS1_35radix_sort_onesweep_config_selectorIxNS0_10empty_typeEEEZZNS1_29radix_sort_onesweep_iterationIS3_Lb0EN6thrust23THRUST_200600_302600_NS6detail15normal_iteratorINS9_10device_ptrIxEEEESE_PS5_SF_jNS0_19identity_decomposerENS1_16block_id_wrapperIjLb1EEEEE10hipError_tT1_PNSt15iterator_traitsISK_E10value_typeET2_T3_PNSL_ISQ_E10value_typeET4_T5_PSV_SW_PNS1_23onesweep_lookback_stateEbbT6_jjT7_P12ihipStream_tbENKUlT_T0_SK_SP_E_clISE_PxSF_SF_EEDaS13_S14_SK_SP_EUlS13_E_NS1_11comp_targetILNS1_3genE2ELNS1_11target_archE906ELNS1_3gpuE6ELNS1_3repE0EEENS1_47radix_sort_onesweep_sort_config_static_selectorELNS0_4arch9wavefront6targetE1EEEvSK_
; %bb.0:
	.section	.rodata,"a",@progbits
	.p2align	6, 0x0
	.amdhsa_kernel _ZN7rocprim17ROCPRIM_400000_NS6detail17trampoline_kernelINS0_14default_configENS1_35radix_sort_onesweep_config_selectorIxNS0_10empty_typeEEEZZNS1_29radix_sort_onesweep_iterationIS3_Lb0EN6thrust23THRUST_200600_302600_NS6detail15normal_iteratorINS9_10device_ptrIxEEEESE_PS5_SF_jNS0_19identity_decomposerENS1_16block_id_wrapperIjLb1EEEEE10hipError_tT1_PNSt15iterator_traitsISK_E10value_typeET2_T3_PNSL_ISQ_E10value_typeET4_T5_PSV_SW_PNS1_23onesweep_lookback_stateEbbT6_jjT7_P12ihipStream_tbENKUlT_T0_SK_SP_E_clISE_PxSF_SF_EEDaS13_S14_SK_SP_EUlS13_E_NS1_11comp_targetILNS1_3genE2ELNS1_11target_archE906ELNS1_3gpuE6ELNS1_3repE0EEENS1_47radix_sort_onesweep_sort_config_static_selectorELNS0_4arch9wavefront6targetE1EEEvSK_
		.amdhsa_group_segment_fixed_size 0
		.amdhsa_private_segment_fixed_size 0
		.amdhsa_kernarg_size 88
		.amdhsa_user_sgpr_count 2
		.amdhsa_user_sgpr_dispatch_ptr 0
		.amdhsa_user_sgpr_queue_ptr 0
		.amdhsa_user_sgpr_kernarg_segment_ptr 1
		.amdhsa_user_sgpr_dispatch_id 0
		.amdhsa_user_sgpr_kernarg_preload_length 0
		.amdhsa_user_sgpr_kernarg_preload_offset 0
		.amdhsa_user_sgpr_private_segment_size 0
		.amdhsa_uses_dynamic_stack 0
		.amdhsa_enable_private_segment 0
		.amdhsa_system_sgpr_workgroup_id_x 1
		.amdhsa_system_sgpr_workgroup_id_y 0
		.amdhsa_system_sgpr_workgroup_id_z 0
		.amdhsa_system_sgpr_workgroup_info 0
		.amdhsa_system_vgpr_workitem_id 0
		.amdhsa_next_free_vgpr 1
		.amdhsa_next_free_sgpr 0
		.amdhsa_accum_offset 4
		.amdhsa_reserve_vcc 0
		.amdhsa_float_round_mode_32 0
		.amdhsa_float_round_mode_16_64 0
		.amdhsa_float_denorm_mode_32 3
		.amdhsa_float_denorm_mode_16_64 3
		.amdhsa_dx10_clamp 1
		.amdhsa_ieee_mode 1
		.amdhsa_fp16_overflow 0
		.amdhsa_tg_split 0
		.amdhsa_exception_fp_ieee_invalid_op 0
		.amdhsa_exception_fp_denorm_src 0
		.amdhsa_exception_fp_ieee_div_zero 0
		.amdhsa_exception_fp_ieee_overflow 0
		.amdhsa_exception_fp_ieee_underflow 0
		.amdhsa_exception_fp_ieee_inexact 0
		.amdhsa_exception_int_div_zero 0
	.end_amdhsa_kernel
	.section	.text._ZN7rocprim17ROCPRIM_400000_NS6detail17trampoline_kernelINS0_14default_configENS1_35radix_sort_onesweep_config_selectorIxNS0_10empty_typeEEEZZNS1_29radix_sort_onesweep_iterationIS3_Lb0EN6thrust23THRUST_200600_302600_NS6detail15normal_iteratorINS9_10device_ptrIxEEEESE_PS5_SF_jNS0_19identity_decomposerENS1_16block_id_wrapperIjLb1EEEEE10hipError_tT1_PNSt15iterator_traitsISK_E10value_typeET2_T3_PNSL_ISQ_E10value_typeET4_T5_PSV_SW_PNS1_23onesweep_lookback_stateEbbT6_jjT7_P12ihipStream_tbENKUlT_T0_SK_SP_E_clISE_PxSF_SF_EEDaS13_S14_SK_SP_EUlS13_E_NS1_11comp_targetILNS1_3genE2ELNS1_11target_archE906ELNS1_3gpuE6ELNS1_3repE0EEENS1_47radix_sort_onesweep_sort_config_static_selectorELNS0_4arch9wavefront6targetE1EEEvSK_,"axG",@progbits,_ZN7rocprim17ROCPRIM_400000_NS6detail17trampoline_kernelINS0_14default_configENS1_35radix_sort_onesweep_config_selectorIxNS0_10empty_typeEEEZZNS1_29radix_sort_onesweep_iterationIS3_Lb0EN6thrust23THRUST_200600_302600_NS6detail15normal_iteratorINS9_10device_ptrIxEEEESE_PS5_SF_jNS0_19identity_decomposerENS1_16block_id_wrapperIjLb1EEEEE10hipError_tT1_PNSt15iterator_traitsISK_E10value_typeET2_T3_PNSL_ISQ_E10value_typeET4_T5_PSV_SW_PNS1_23onesweep_lookback_stateEbbT6_jjT7_P12ihipStream_tbENKUlT_T0_SK_SP_E_clISE_PxSF_SF_EEDaS13_S14_SK_SP_EUlS13_E_NS1_11comp_targetILNS1_3genE2ELNS1_11target_archE906ELNS1_3gpuE6ELNS1_3repE0EEENS1_47radix_sort_onesweep_sort_config_static_selectorELNS0_4arch9wavefront6targetE1EEEvSK_,comdat
.Lfunc_end1554:
	.size	_ZN7rocprim17ROCPRIM_400000_NS6detail17trampoline_kernelINS0_14default_configENS1_35radix_sort_onesweep_config_selectorIxNS0_10empty_typeEEEZZNS1_29radix_sort_onesweep_iterationIS3_Lb0EN6thrust23THRUST_200600_302600_NS6detail15normal_iteratorINS9_10device_ptrIxEEEESE_PS5_SF_jNS0_19identity_decomposerENS1_16block_id_wrapperIjLb1EEEEE10hipError_tT1_PNSt15iterator_traitsISK_E10value_typeET2_T3_PNSL_ISQ_E10value_typeET4_T5_PSV_SW_PNS1_23onesweep_lookback_stateEbbT6_jjT7_P12ihipStream_tbENKUlT_T0_SK_SP_E_clISE_PxSF_SF_EEDaS13_S14_SK_SP_EUlS13_E_NS1_11comp_targetILNS1_3genE2ELNS1_11target_archE906ELNS1_3gpuE6ELNS1_3repE0EEENS1_47radix_sort_onesweep_sort_config_static_selectorELNS0_4arch9wavefront6targetE1EEEvSK_, .Lfunc_end1554-_ZN7rocprim17ROCPRIM_400000_NS6detail17trampoline_kernelINS0_14default_configENS1_35radix_sort_onesweep_config_selectorIxNS0_10empty_typeEEEZZNS1_29radix_sort_onesweep_iterationIS3_Lb0EN6thrust23THRUST_200600_302600_NS6detail15normal_iteratorINS9_10device_ptrIxEEEESE_PS5_SF_jNS0_19identity_decomposerENS1_16block_id_wrapperIjLb1EEEEE10hipError_tT1_PNSt15iterator_traitsISK_E10value_typeET2_T3_PNSL_ISQ_E10value_typeET4_T5_PSV_SW_PNS1_23onesweep_lookback_stateEbbT6_jjT7_P12ihipStream_tbENKUlT_T0_SK_SP_E_clISE_PxSF_SF_EEDaS13_S14_SK_SP_EUlS13_E_NS1_11comp_targetILNS1_3genE2ELNS1_11target_archE906ELNS1_3gpuE6ELNS1_3repE0EEENS1_47radix_sort_onesweep_sort_config_static_selectorELNS0_4arch9wavefront6targetE1EEEvSK_
                                        ; -- End function
	.section	.AMDGPU.csdata,"",@progbits
; Kernel info:
; codeLenInByte = 0
; NumSgprs: 6
; NumVgprs: 0
; NumAgprs: 0
; TotalNumVgprs: 0
; ScratchSize: 0
; MemoryBound: 0
; FloatMode: 240
; IeeeMode: 1
; LDSByteSize: 0 bytes/workgroup (compile time only)
; SGPRBlocks: 0
; VGPRBlocks: 0
; NumSGPRsForWavesPerEU: 6
; NumVGPRsForWavesPerEU: 1
; AccumOffset: 4
; Occupancy: 8
; WaveLimiterHint : 0
; COMPUTE_PGM_RSRC2:SCRATCH_EN: 0
; COMPUTE_PGM_RSRC2:USER_SGPR: 2
; COMPUTE_PGM_RSRC2:TRAP_HANDLER: 0
; COMPUTE_PGM_RSRC2:TGID_X_EN: 1
; COMPUTE_PGM_RSRC2:TGID_Y_EN: 0
; COMPUTE_PGM_RSRC2:TGID_Z_EN: 0
; COMPUTE_PGM_RSRC2:TIDIG_COMP_CNT: 0
; COMPUTE_PGM_RSRC3_GFX90A:ACCUM_OFFSET: 0
; COMPUTE_PGM_RSRC3_GFX90A:TG_SPLIT: 0
	.section	.text._ZN7rocprim17ROCPRIM_400000_NS6detail17trampoline_kernelINS0_14default_configENS1_35radix_sort_onesweep_config_selectorIxNS0_10empty_typeEEEZZNS1_29radix_sort_onesweep_iterationIS3_Lb0EN6thrust23THRUST_200600_302600_NS6detail15normal_iteratorINS9_10device_ptrIxEEEESE_PS5_SF_jNS0_19identity_decomposerENS1_16block_id_wrapperIjLb1EEEEE10hipError_tT1_PNSt15iterator_traitsISK_E10value_typeET2_T3_PNSL_ISQ_E10value_typeET4_T5_PSV_SW_PNS1_23onesweep_lookback_stateEbbT6_jjT7_P12ihipStream_tbENKUlT_T0_SK_SP_E_clISE_PxSF_SF_EEDaS13_S14_SK_SP_EUlS13_E_NS1_11comp_targetILNS1_3genE4ELNS1_11target_archE910ELNS1_3gpuE8ELNS1_3repE0EEENS1_47radix_sort_onesweep_sort_config_static_selectorELNS0_4arch9wavefront6targetE1EEEvSK_,"axG",@progbits,_ZN7rocprim17ROCPRIM_400000_NS6detail17trampoline_kernelINS0_14default_configENS1_35radix_sort_onesweep_config_selectorIxNS0_10empty_typeEEEZZNS1_29radix_sort_onesweep_iterationIS3_Lb0EN6thrust23THRUST_200600_302600_NS6detail15normal_iteratorINS9_10device_ptrIxEEEESE_PS5_SF_jNS0_19identity_decomposerENS1_16block_id_wrapperIjLb1EEEEE10hipError_tT1_PNSt15iterator_traitsISK_E10value_typeET2_T3_PNSL_ISQ_E10value_typeET4_T5_PSV_SW_PNS1_23onesweep_lookback_stateEbbT6_jjT7_P12ihipStream_tbENKUlT_T0_SK_SP_E_clISE_PxSF_SF_EEDaS13_S14_SK_SP_EUlS13_E_NS1_11comp_targetILNS1_3genE4ELNS1_11target_archE910ELNS1_3gpuE8ELNS1_3repE0EEENS1_47radix_sort_onesweep_sort_config_static_selectorELNS0_4arch9wavefront6targetE1EEEvSK_,comdat
	.protected	_ZN7rocprim17ROCPRIM_400000_NS6detail17trampoline_kernelINS0_14default_configENS1_35radix_sort_onesweep_config_selectorIxNS0_10empty_typeEEEZZNS1_29radix_sort_onesweep_iterationIS3_Lb0EN6thrust23THRUST_200600_302600_NS6detail15normal_iteratorINS9_10device_ptrIxEEEESE_PS5_SF_jNS0_19identity_decomposerENS1_16block_id_wrapperIjLb1EEEEE10hipError_tT1_PNSt15iterator_traitsISK_E10value_typeET2_T3_PNSL_ISQ_E10value_typeET4_T5_PSV_SW_PNS1_23onesweep_lookback_stateEbbT6_jjT7_P12ihipStream_tbENKUlT_T0_SK_SP_E_clISE_PxSF_SF_EEDaS13_S14_SK_SP_EUlS13_E_NS1_11comp_targetILNS1_3genE4ELNS1_11target_archE910ELNS1_3gpuE8ELNS1_3repE0EEENS1_47radix_sort_onesweep_sort_config_static_selectorELNS0_4arch9wavefront6targetE1EEEvSK_ ; -- Begin function _ZN7rocprim17ROCPRIM_400000_NS6detail17trampoline_kernelINS0_14default_configENS1_35radix_sort_onesweep_config_selectorIxNS0_10empty_typeEEEZZNS1_29radix_sort_onesweep_iterationIS3_Lb0EN6thrust23THRUST_200600_302600_NS6detail15normal_iteratorINS9_10device_ptrIxEEEESE_PS5_SF_jNS0_19identity_decomposerENS1_16block_id_wrapperIjLb1EEEEE10hipError_tT1_PNSt15iterator_traitsISK_E10value_typeET2_T3_PNSL_ISQ_E10value_typeET4_T5_PSV_SW_PNS1_23onesweep_lookback_stateEbbT6_jjT7_P12ihipStream_tbENKUlT_T0_SK_SP_E_clISE_PxSF_SF_EEDaS13_S14_SK_SP_EUlS13_E_NS1_11comp_targetILNS1_3genE4ELNS1_11target_archE910ELNS1_3gpuE8ELNS1_3repE0EEENS1_47radix_sort_onesweep_sort_config_static_selectorELNS0_4arch9wavefront6targetE1EEEvSK_
	.globl	_ZN7rocprim17ROCPRIM_400000_NS6detail17trampoline_kernelINS0_14default_configENS1_35radix_sort_onesweep_config_selectorIxNS0_10empty_typeEEEZZNS1_29radix_sort_onesweep_iterationIS3_Lb0EN6thrust23THRUST_200600_302600_NS6detail15normal_iteratorINS9_10device_ptrIxEEEESE_PS5_SF_jNS0_19identity_decomposerENS1_16block_id_wrapperIjLb1EEEEE10hipError_tT1_PNSt15iterator_traitsISK_E10value_typeET2_T3_PNSL_ISQ_E10value_typeET4_T5_PSV_SW_PNS1_23onesweep_lookback_stateEbbT6_jjT7_P12ihipStream_tbENKUlT_T0_SK_SP_E_clISE_PxSF_SF_EEDaS13_S14_SK_SP_EUlS13_E_NS1_11comp_targetILNS1_3genE4ELNS1_11target_archE910ELNS1_3gpuE8ELNS1_3repE0EEENS1_47radix_sort_onesweep_sort_config_static_selectorELNS0_4arch9wavefront6targetE1EEEvSK_
	.p2align	8
	.type	_ZN7rocprim17ROCPRIM_400000_NS6detail17trampoline_kernelINS0_14default_configENS1_35radix_sort_onesweep_config_selectorIxNS0_10empty_typeEEEZZNS1_29radix_sort_onesweep_iterationIS3_Lb0EN6thrust23THRUST_200600_302600_NS6detail15normal_iteratorINS9_10device_ptrIxEEEESE_PS5_SF_jNS0_19identity_decomposerENS1_16block_id_wrapperIjLb1EEEEE10hipError_tT1_PNSt15iterator_traitsISK_E10value_typeET2_T3_PNSL_ISQ_E10value_typeET4_T5_PSV_SW_PNS1_23onesweep_lookback_stateEbbT6_jjT7_P12ihipStream_tbENKUlT_T0_SK_SP_E_clISE_PxSF_SF_EEDaS13_S14_SK_SP_EUlS13_E_NS1_11comp_targetILNS1_3genE4ELNS1_11target_archE910ELNS1_3gpuE8ELNS1_3repE0EEENS1_47radix_sort_onesweep_sort_config_static_selectorELNS0_4arch9wavefront6targetE1EEEvSK_,@function
_ZN7rocprim17ROCPRIM_400000_NS6detail17trampoline_kernelINS0_14default_configENS1_35radix_sort_onesweep_config_selectorIxNS0_10empty_typeEEEZZNS1_29radix_sort_onesweep_iterationIS3_Lb0EN6thrust23THRUST_200600_302600_NS6detail15normal_iteratorINS9_10device_ptrIxEEEESE_PS5_SF_jNS0_19identity_decomposerENS1_16block_id_wrapperIjLb1EEEEE10hipError_tT1_PNSt15iterator_traitsISK_E10value_typeET2_T3_PNSL_ISQ_E10value_typeET4_T5_PSV_SW_PNS1_23onesweep_lookback_stateEbbT6_jjT7_P12ihipStream_tbENKUlT_T0_SK_SP_E_clISE_PxSF_SF_EEDaS13_S14_SK_SP_EUlS13_E_NS1_11comp_targetILNS1_3genE4ELNS1_11target_archE910ELNS1_3gpuE8ELNS1_3repE0EEENS1_47radix_sort_onesweep_sort_config_static_selectorELNS0_4arch9wavefront6targetE1EEEvSK_: ; @_ZN7rocprim17ROCPRIM_400000_NS6detail17trampoline_kernelINS0_14default_configENS1_35radix_sort_onesweep_config_selectorIxNS0_10empty_typeEEEZZNS1_29radix_sort_onesweep_iterationIS3_Lb0EN6thrust23THRUST_200600_302600_NS6detail15normal_iteratorINS9_10device_ptrIxEEEESE_PS5_SF_jNS0_19identity_decomposerENS1_16block_id_wrapperIjLb1EEEEE10hipError_tT1_PNSt15iterator_traitsISK_E10value_typeET2_T3_PNSL_ISQ_E10value_typeET4_T5_PSV_SW_PNS1_23onesweep_lookback_stateEbbT6_jjT7_P12ihipStream_tbENKUlT_T0_SK_SP_E_clISE_PxSF_SF_EEDaS13_S14_SK_SP_EUlS13_E_NS1_11comp_targetILNS1_3genE4ELNS1_11target_archE910ELNS1_3gpuE8ELNS1_3repE0EEENS1_47radix_sort_onesweep_sort_config_static_selectorELNS0_4arch9wavefront6targetE1EEEvSK_
; %bb.0:
	.section	.rodata,"a",@progbits
	.p2align	6, 0x0
	.amdhsa_kernel _ZN7rocprim17ROCPRIM_400000_NS6detail17trampoline_kernelINS0_14default_configENS1_35radix_sort_onesweep_config_selectorIxNS0_10empty_typeEEEZZNS1_29radix_sort_onesweep_iterationIS3_Lb0EN6thrust23THRUST_200600_302600_NS6detail15normal_iteratorINS9_10device_ptrIxEEEESE_PS5_SF_jNS0_19identity_decomposerENS1_16block_id_wrapperIjLb1EEEEE10hipError_tT1_PNSt15iterator_traitsISK_E10value_typeET2_T3_PNSL_ISQ_E10value_typeET4_T5_PSV_SW_PNS1_23onesweep_lookback_stateEbbT6_jjT7_P12ihipStream_tbENKUlT_T0_SK_SP_E_clISE_PxSF_SF_EEDaS13_S14_SK_SP_EUlS13_E_NS1_11comp_targetILNS1_3genE4ELNS1_11target_archE910ELNS1_3gpuE8ELNS1_3repE0EEENS1_47radix_sort_onesweep_sort_config_static_selectorELNS0_4arch9wavefront6targetE1EEEvSK_
		.amdhsa_group_segment_fixed_size 0
		.amdhsa_private_segment_fixed_size 0
		.amdhsa_kernarg_size 88
		.amdhsa_user_sgpr_count 2
		.amdhsa_user_sgpr_dispatch_ptr 0
		.amdhsa_user_sgpr_queue_ptr 0
		.amdhsa_user_sgpr_kernarg_segment_ptr 1
		.amdhsa_user_sgpr_dispatch_id 0
		.amdhsa_user_sgpr_kernarg_preload_length 0
		.amdhsa_user_sgpr_kernarg_preload_offset 0
		.amdhsa_user_sgpr_private_segment_size 0
		.amdhsa_uses_dynamic_stack 0
		.amdhsa_enable_private_segment 0
		.amdhsa_system_sgpr_workgroup_id_x 1
		.amdhsa_system_sgpr_workgroup_id_y 0
		.amdhsa_system_sgpr_workgroup_id_z 0
		.amdhsa_system_sgpr_workgroup_info 0
		.amdhsa_system_vgpr_workitem_id 0
		.amdhsa_next_free_vgpr 1
		.amdhsa_next_free_sgpr 0
		.amdhsa_accum_offset 4
		.amdhsa_reserve_vcc 0
		.amdhsa_float_round_mode_32 0
		.amdhsa_float_round_mode_16_64 0
		.amdhsa_float_denorm_mode_32 3
		.amdhsa_float_denorm_mode_16_64 3
		.amdhsa_dx10_clamp 1
		.amdhsa_ieee_mode 1
		.amdhsa_fp16_overflow 0
		.amdhsa_tg_split 0
		.amdhsa_exception_fp_ieee_invalid_op 0
		.amdhsa_exception_fp_denorm_src 0
		.amdhsa_exception_fp_ieee_div_zero 0
		.amdhsa_exception_fp_ieee_overflow 0
		.amdhsa_exception_fp_ieee_underflow 0
		.amdhsa_exception_fp_ieee_inexact 0
		.amdhsa_exception_int_div_zero 0
	.end_amdhsa_kernel
	.section	.text._ZN7rocprim17ROCPRIM_400000_NS6detail17trampoline_kernelINS0_14default_configENS1_35radix_sort_onesweep_config_selectorIxNS0_10empty_typeEEEZZNS1_29radix_sort_onesweep_iterationIS3_Lb0EN6thrust23THRUST_200600_302600_NS6detail15normal_iteratorINS9_10device_ptrIxEEEESE_PS5_SF_jNS0_19identity_decomposerENS1_16block_id_wrapperIjLb1EEEEE10hipError_tT1_PNSt15iterator_traitsISK_E10value_typeET2_T3_PNSL_ISQ_E10value_typeET4_T5_PSV_SW_PNS1_23onesweep_lookback_stateEbbT6_jjT7_P12ihipStream_tbENKUlT_T0_SK_SP_E_clISE_PxSF_SF_EEDaS13_S14_SK_SP_EUlS13_E_NS1_11comp_targetILNS1_3genE4ELNS1_11target_archE910ELNS1_3gpuE8ELNS1_3repE0EEENS1_47radix_sort_onesweep_sort_config_static_selectorELNS0_4arch9wavefront6targetE1EEEvSK_,"axG",@progbits,_ZN7rocprim17ROCPRIM_400000_NS6detail17trampoline_kernelINS0_14default_configENS1_35radix_sort_onesweep_config_selectorIxNS0_10empty_typeEEEZZNS1_29radix_sort_onesweep_iterationIS3_Lb0EN6thrust23THRUST_200600_302600_NS6detail15normal_iteratorINS9_10device_ptrIxEEEESE_PS5_SF_jNS0_19identity_decomposerENS1_16block_id_wrapperIjLb1EEEEE10hipError_tT1_PNSt15iterator_traitsISK_E10value_typeET2_T3_PNSL_ISQ_E10value_typeET4_T5_PSV_SW_PNS1_23onesweep_lookback_stateEbbT6_jjT7_P12ihipStream_tbENKUlT_T0_SK_SP_E_clISE_PxSF_SF_EEDaS13_S14_SK_SP_EUlS13_E_NS1_11comp_targetILNS1_3genE4ELNS1_11target_archE910ELNS1_3gpuE8ELNS1_3repE0EEENS1_47radix_sort_onesweep_sort_config_static_selectorELNS0_4arch9wavefront6targetE1EEEvSK_,comdat
.Lfunc_end1555:
	.size	_ZN7rocprim17ROCPRIM_400000_NS6detail17trampoline_kernelINS0_14default_configENS1_35radix_sort_onesweep_config_selectorIxNS0_10empty_typeEEEZZNS1_29radix_sort_onesweep_iterationIS3_Lb0EN6thrust23THRUST_200600_302600_NS6detail15normal_iteratorINS9_10device_ptrIxEEEESE_PS5_SF_jNS0_19identity_decomposerENS1_16block_id_wrapperIjLb1EEEEE10hipError_tT1_PNSt15iterator_traitsISK_E10value_typeET2_T3_PNSL_ISQ_E10value_typeET4_T5_PSV_SW_PNS1_23onesweep_lookback_stateEbbT6_jjT7_P12ihipStream_tbENKUlT_T0_SK_SP_E_clISE_PxSF_SF_EEDaS13_S14_SK_SP_EUlS13_E_NS1_11comp_targetILNS1_3genE4ELNS1_11target_archE910ELNS1_3gpuE8ELNS1_3repE0EEENS1_47radix_sort_onesweep_sort_config_static_selectorELNS0_4arch9wavefront6targetE1EEEvSK_, .Lfunc_end1555-_ZN7rocprim17ROCPRIM_400000_NS6detail17trampoline_kernelINS0_14default_configENS1_35radix_sort_onesweep_config_selectorIxNS0_10empty_typeEEEZZNS1_29radix_sort_onesweep_iterationIS3_Lb0EN6thrust23THRUST_200600_302600_NS6detail15normal_iteratorINS9_10device_ptrIxEEEESE_PS5_SF_jNS0_19identity_decomposerENS1_16block_id_wrapperIjLb1EEEEE10hipError_tT1_PNSt15iterator_traitsISK_E10value_typeET2_T3_PNSL_ISQ_E10value_typeET4_T5_PSV_SW_PNS1_23onesweep_lookback_stateEbbT6_jjT7_P12ihipStream_tbENKUlT_T0_SK_SP_E_clISE_PxSF_SF_EEDaS13_S14_SK_SP_EUlS13_E_NS1_11comp_targetILNS1_3genE4ELNS1_11target_archE910ELNS1_3gpuE8ELNS1_3repE0EEENS1_47radix_sort_onesweep_sort_config_static_selectorELNS0_4arch9wavefront6targetE1EEEvSK_
                                        ; -- End function
	.section	.AMDGPU.csdata,"",@progbits
; Kernel info:
; codeLenInByte = 0
; NumSgprs: 6
; NumVgprs: 0
; NumAgprs: 0
; TotalNumVgprs: 0
; ScratchSize: 0
; MemoryBound: 0
; FloatMode: 240
; IeeeMode: 1
; LDSByteSize: 0 bytes/workgroup (compile time only)
; SGPRBlocks: 0
; VGPRBlocks: 0
; NumSGPRsForWavesPerEU: 6
; NumVGPRsForWavesPerEU: 1
; AccumOffset: 4
; Occupancy: 8
; WaveLimiterHint : 0
; COMPUTE_PGM_RSRC2:SCRATCH_EN: 0
; COMPUTE_PGM_RSRC2:USER_SGPR: 2
; COMPUTE_PGM_RSRC2:TRAP_HANDLER: 0
; COMPUTE_PGM_RSRC2:TGID_X_EN: 1
; COMPUTE_PGM_RSRC2:TGID_Y_EN: 0
; COMPUTE_PGM_RSRC2:TGID_Z_EN: 0
; COMPUTE_PGM_RSRC2:TIDIG_COMP_CNT: 0
; COMPUTE_PGM_RSRC3_GFX90A:ACCUM_OFFSET: 0
; COMPUTE_PGM_RSRC3_GFX90A:TG_SPLIT: 0
	.section	.text._ZN7rocprim17ROCPRIM_400000_NS6detail17trampoline_kernelINS0_14default_configENS1_35radix_sort_onesweep_config_selectorIxNS0_10empty_typeEEEZZNS1_29radix_sort_onesweep_iterationIS3_Lb0EN6thrust23THRUST_200600_302600_NS6detail15normal_iteratorINS9_10device_ptrIxEEEESE_PS5_SF_jNS0_19identity_decomposerENS1_16block_id_wrapperIjLb1EEEEE10hipError_tT1_PNSt15iterator_traitsISK_E10value_typeET2_T3_PNSL_ISQ_E10value_typeET4_T5_PSV_SW_PNS1_23onesweep_lookback_stateEbbT6_jjT7_P12ihipStream_tbENKUlT_T0_SK_SP_E_clISE_PxSF_SF_EEDaS13_S14_SK_SP_EUlS13_E_NS1_11comp_targetILNS1_3genE3ELNS1_11target_archE908ELNS1_3gpuE7ELNS1_3repE0EEENS1_47radix_sort_onesweep_sort_config_static_selectorELNS0_4arch9wavefront6targetE1EEEvSK_,"axG",@progbits,_ZN7rocprim17ROCPRIM_400000_NS6detail17trampoline_kernelINS0_14default_configENS1_35radix_sort_onesweep_config_selectorIxNS0_10empty_typeEEEZZNS1_29radix_sort_onesweep_iterationIS3_Lb0EN6thrust23THRUST_200600_302600_NS6detail15normal_iteratorINS9_10device_ptrIxEEEESE_PS5_SF_jNS0_19identity_decomposerENS1_16block_id_wrapperIjLb1EEEEE10hipError_tT1_PNSt15iterator_traitsISK_E10value_typeET2_T3_PNSL_ISQ_E10value_typeET4_T5_PSV_SW_PNS1_23onesweep_lookback_stateEbbT6_jjT7_P12ihipStream_tbENKUlT_T0_SK_SP_E_clISE_PxSF_SF_EEDaS13_S14_SK_SP_EUlS13_E_NS1_11comp_targetILNS1_3genE3ELNS1_11target_archE908ELNS1_3gpuE7ELNS1_3repE0EEENS1_47radix_sort_onesweep_sort_config_static_selectorELNS0_4arch9wavefront6targetE1EEEvSK_,comdat
	.protected	_ZN7rocprim17ROCPRIM_400000_NS6detail17trampoline_kernelINS0_14default_configENS1_35radix_sort_onesweep_config_selectorIxNS0_10empty_typeEEEZZNS1_29radix_sort_onesweep_iterationIS3_Lb0EN6thrust23THRUST_200600_302600_NS6detail15normal_iteratorINS9_10device_ptrIxEEEESE_PS5_SF_jNS0_19identity_decomposerENS1_16block_id_wrapperIjLb1EEEEE10hipError_tT1_PNSt15iterator_traitsISK_E10value_typeET2_T3_PNSL_ISQ_E10value_typeET4_T5_PSV_SW_PNS1_23onesweep_lookback_stateEbbT6_jjT7_P12ihipStream_tbENKUlT_T0_SK_SP_E_clISE_PxSF_SF_EEDaS13_S14_SK_SP_EUlS13_E_NS1_11comp_targetILNS1_3genE3ELNS1_11target_archE908ELNS1_3gpuE7ELNS1_3repE0EEENS1_47radix_sort_onesweep_sort_config_static_selectorELNS0_4arch9wavefront6targetE1EEEvSK_ ; -- Begin function _ZN7rocprim17ROCPRIM_400000_NS6detail17trampoline_kernelINS0_14default_configENS1_35radix_sort_onesweep_config_selectorIxNS0_10empty_typeEEEZZNS1_29radix_sort_onesweep_iterationIS3_Lb0EN6thrust23THRUST_200600_302600_NS6detail15normal_iteratorINS9_10device_ptrIxEEEESE_PS5_SF_jNS0_19identity_decomposerENS1_16block_id_wrapperIjLb1EEEEE10hipError_tT1_PNSt15iterator_traitsISK_E10value_typeET2_T3_PNSL_ISQ_E10value_typeET4_T5_PSV_SW_PNS1_23onesweep_lookback_stateEbbT6_jjT7_P12ihipStream_tbENKUlT_T0_SK_SP_E_clISE_PxSF_SF_EEDaS13_S14_SK_SP_EUlS13_E_NS1_11comp_targetILNS1_3genE3ELNS1_11target_archE908ELNS1_3gpuE7ELNS1_3repE0EEENS1_47radix_sort_onesweep_sort_config_static_selectorELNS0_4arch9wavefront6targetE1EEEvSK_
	.globl	_ZN7rocprim17ROCPRIM_400000_NS6detail17trampoline_kernelINS0_14default_configENS1_35radix_sort_onesweep_config_selectorIxNS0_10empty_typeEEEZZNS1_29radix_sort_onesweep_iterationIS3_Lb0EN6thrust23THRUST_200600_302600_NS6detail15normal_iteratorINS9_10device_ptrIxEEEESE_PS5_SF_jNS0_19identity_decomposerENS1_16block_id_wrapperIjLb1EEEEE10hipError_tT1_PNSt15iterator_traitsISK_E10value_typeET2_T3_PNSL_ISQ_E10value_typeET4_T5_PSV_SW_PNS1_23onesweep_lookback_stateEbbT6_jjT7_P12ihipStream_tbENKUlT_T0_SK_SP_E_clISE_PxSF_SF_EEDaS13_S14_SK_SP_EUlS13_E_NS1_11comp_targetILNS1_3genE3ELNS1_11target_archE908ELNS1_3gpuE7ELNS1_3repE0EEENS1_47radix_sort_onesweep_sort_config_static_selectorELNS0_4arch9wavefront6targetE1EEEvSK_
	.p2align	8
	.type	_ZN7rocprim17ROCPRIM_400000_NS6detail17trampoline_kernelINS0_14default_configENS1_35radix_sort_onesweep_config_selectorIxNS0_10empty_typeEEEZZNS1_29radix_sort_onesweep_iterationIS3_Lb0EN6thrust23THRUST_200600_302600_NS6detail15normal_iteratorINS9_10device_ptrIxEEEESE_PS5_SF_jNS0_19identity_decomposerENS1_16block_id_wrapperIjLb1EEEEE10hipError_tT1_PNSt15iterator_traitsISK_E10value_typeET2_T3_PNSL_ISQ_E10value_typeET4_T5_PSV_SW_PNS1_23onesweep_lookback_stateEbbT6_jjT7_P12ihipStream_tbENKUlT_T0_SK_SP_E_clISE_PxSF_SF_EEDaS13_S14_SK_SP_EUlS13_E_NS1_11comp_targetILNS1_3genE3ELNS1_11target_archE908ELNS1_3gpuE7ELNS1_3repE0EEENS1_47radix_sort_onesweep_sort_config_static_selectorELNS0_4arch9wavefront6targetE1EEEvSK_,@function
_ZN7rocprim17ROCPRIM_400000_NS6detail17trampoline_kernelINS0_14default_configENS1_35radix_sort_onesweep_config_selectorIxNS0_10empty_typeEEEZZNS1_29radix_sort_onesweep_iterationIS3_Lb0EN6thrust23THRUST_200600_302600_NS6detail15normal_iteratorINS9_10device_ptrIxEEEESE_PS5_SF_jNS0_19identity_decomposerENS1_16block_id_wrapperIjLb1EEEEE10hipError_tT1_PNSt15iterator_traitsISK_E10value_typeET2_T3_PNSL_ISQ_E10value_typeET4_T5_PSV_SW_PNS1_23onesweep_lookback_stateEbbT6_jjT7_P12ihipStream_tbENKUlT_T0_SK_SP_E_clISE_PxSF_SF_EEDaS13_S14_SK_SP_EUlS13_E_NS1_11comp_targetILNS1_3genE3ELNS1_11target_archE908ELNS1_3gpuE7ELNS1_3repE0EEENS1_47radix_sort_onesweep_sort_config_static_selectorELNS0_4arch9wavefront6targetE1EEEvSK_: ; @_ZN7rocprim17ROCPRIM_400000_NS6detail17trampoline_kernelINS0_14default_configENS1_35radix_sort_onesweep_config_selectorIxNS0_10empty_typeEEEZZNS1_29radix_sort_onesweep_iterationIS3_Lb0EN6thrust23THRUST_200600_302600_NS6detail15normal_iteratorINS9_10device_ptrIxEEEESE_PS5_SF_jNS0_19identity_decomposerENS1_16block_id_wrapperIjLb1EEEEE10hipError_tT1_PNSt15iterator_traitsISK_E10value_typeET2_T3_PNSL_ISQ_E10value_typeET4_T5_PSV_SW_PNS1_23onesweep_lookback_stateEbbT6_jjT7_P12ihipStream_tbENKUlT_T0_SK_SP_E_clISE_PxSF_SF_EEDaS13_S14_SK_SP_EUlS13_E_NS1_11comp_targetILNS1_3genE3ELNS1_11target_archE908ELNS1_3gpuE7ELNS1_3repE0EEENS1_47radix_sort_onesweep_sort_config_static_selectorELNS0_4arch9wavefront6targetE1EEEvSK_
; %bb.0:
	.section	.rodata,"a",@progbits
	.p2align	6, 0x0
	.amdhsa_kernel _ZN7rocprim17ROCPRIM_400000_NS6detail17trampoline_kernelINS0_14default_configENS1_35radix_sort_onesweep_config_selectorIxNS0_10empty_typeEEEZZNS1_29radix_sort_onesweep_iterationIS3_Lb0EN6thrust23THRUST_200600_302600_NS6detail15normal_iteratorINS9_10device_ptrIxEEEESE_PS5_SF_jNS0_19identity_decomposerENS1_16block_id_wrapperIjLb1EEEEE10hipError_tT1_PNSt15iterator_traitsISK_E10value_typeET2_T3_PNSL_ISQ_E10value_typeET4_T5_PSV_SW_PNS1_23onesweep_lookback_stateEbbT6_jjT7_P12ihipStream_tbENKUlT_T0_SK_SP_E_clISE_PxSF_SF_EEDaS13_S14_SK_SP_EUlS13_E_NS1_11comp_targetILNS1_3genE3ELNS1_11target_archE908ELNS1_3gpuE7ELNS1_3repE0EEENS1_47radix_sort_onesweep_sort_config_static_selectorELNS0_4arch9wavefront6targetE1EEEvSK_
		.amdhsa_group_segment_fixed_size 0
		.amdhsa_private_segment_fixed_size 0
		.amdhsa_kernarg_size 88
		.amdhsa_user_sgpr_count 2
		.amdhsa_user_sgpr_dispatch_ptr 0
		.amdhsa_user_sgpr_queue_ptr 0
		.amdhsa_user_sgpr_kernarg_segment_ptr 1
		.amdhsa_user_sgpr_dispatch_id 0
		.amdhsa_user_sgpr_kernarg_preload_length 0
		.amdhsa_user_sgpr_kernarg_preload_offset 0
		.amdhsa_user_sgpr_private_segment_size 0
		.amdhsa_uses_dynamic_stack 0
		.amdhsa_enable_private_segment 0
		.amdhsa_system_sgpr_workgroup_id_x 1
		.amdhsa_system_sgpr_workgroup_id_y 0
		.amdhsa_system_sgpr_workgroup_id_z 0
		.amdhsa_system_sgpr_workgroup_info 0
		.amdhsa_system_vgpr_workitem_id 0
		.amdhsa_next_free_vgpr 1
		.amdhsa_next_free_sgpr 0
		.amdhsa_accum_offset 4
		.amdhsa_reserve_vcc 0
		.amdhsa_float_round_mode_32 0
		.amdhsa_float_round_mode_16_64 0
		.amdhsa_float_denorm_mode_32 3
		.amdhsa_float_denorm_mode_16_64 3
		.amdhsa_dx10_clamp 1
		.amdhsa_ieee_mode 1
		.amdhsa_fp16_overflow 0
		.amdhsa_tg_split 0
		.amdhsa_exception_fp_ieee_invalid_op 0
		.amdhsa_exception_fp_denorm_src 0
		.amdhsa_exception_fp_ieee_div_zero 0
		.amdhsa_exception_fp_ieee_overflow 0
		.amdhsa_exception_fp_ieee_underflow 0
		.amdhsa_exception_fp_ieee_inexact 0
		.amdhsa_exception_int_div_zero 0
	.end_amdhsa_kernel
	.section	.text._ZN7rocprim17ROCPRIM_400000_NS6detail17trampoline_kernelINS0_14default_configENS1_35radix_sort_onesweep_config_selectorIxNS0_10empty_typeEEEZZNS1_29radix_sort_onesweep_iterationIS3_Lb0EN6thrust23THRUST_200600_302600_NS6detail15normal_iteratorINS9_10device_ptrIxEEEESE_PS5_SF_jNS0_19identity_decomposerENS1_16block_id_wrapperIjLb1EEEEE10hipError_tT1_PNSt15iterator_traitsISK_E10value_typeET2_T3_PNSL_ISQ_E10value_typeET4_T5_PSV_SW_PNS1_23onesweep_lookback_stateEbbT6_jjT7_P12ihipStream_tbENKUlT_T0_SK_SP_E_clISE_PxSF_SF_EEDaS13_S14_SK_SP_EUlS13_E_NS1_11comp_targetILNS1_3genE3ELNS1_11target_archE908ELNS1_3gpuE7ELNS1_3repE0EEENS1_47radix_sort_onesweep_sort_config_static_selectorELNS0_4arch9wavefront6targetE1EEEvSK_,"axG",@progbits,_ZN7rocprim17ROCPRIM_400000_NS6detail17trampoline_kernelINS0_14default_configENS1_35radix_sort_onesweep_config_selectorIxNS0_10empty_typeEEEZZNS1_29radix_sort_onesweep_iterationIS3_Lb0EN6thrust23THRUST_200600_302600_NS6detail15normal_iteratorINS9_10device_ptrIxEEEESE_PS5_SF_jNS0_19identity_decomposerENS1_16block_id_wrapperIjLb1EEEEE10hipError_tT1_PNSt15iterator_traitsISK_E10value_typeET2_T3_PNSL_ISQ_E10value_typeET4_T5_PSV_SW_PNS1_23onesweep_lookback_stateEbbT6_jjT7_P12ihipStream_tbENKUlT_T0_SK_SP_E_clISE_PxSF_SF_EEDaS13_S14_SK_SP_EUlS13_E_NS1_11comp_targetILNS1_3genE3ELNS1_11target_archE908ELNS1_3gpuE7ELNS1_3repE0EEENS1_47radix_sort_onesweep_sort_config_static_selectorELNS0_4arch9wavefront6targetE1EEEvSK_,comdat
.Lfunc_end1556:
	.size	_ZN7rocprim17ROCPRIM_400000_NS6detail17trampoline_kernelINS0_14default_configENS1_35radix_sort_onesweep_config_selectorIxNS0_10empty_typeEEEZZNS1_29radix_sort_onesweep_iterationIS3_Lb0EN6thrust23THRUST_200600_302600_NS6detail15normal_iteratorINS9_10device_ptrIxEEEESE_PS5_SF_jNS0_19identity_decomposerENS1_16block_id_wrapperIjLb1EEEEE10hipError_tT1_PNSt15iterator_traitsISK_E10value_typeET2_T3_PNSL_ISQ_E10value_typeET4_T5_PSV_SW_PNS1_23onesweep_lookback_stateEbbT6_jjT7_P12ihipStream_tbENKUlT_T0_SK_SP_E_clISE_PxSF_SF_EEDaS13_S14_SK_SP_EUlS13_E_NS1_11comp_targetILNS1_3genE3ELNS1_11target_archE908ELNS1_3gpuE7ELNS1_3repE0EEENS1_47radix_sort_onesweep_sort_config_static_selectorELNS0_4arch9wavefront6targetE1EEEvSK_, .Lfunc_end1556-_ZN7rocprim17ROCPRIM_400000_NS6detail17trampoline_kernelINS0_14default_configENS1_35radix_sort_onesweep_config_selectorIxNS0_10empty_typeEEEZZNS1_29radix_sort_onesweep_iterationIS3_Lb0EN6thrust23THRUST_200600_302600_NS6detail15normal_iteratorINS9_10device_ptrIxEEEESE_PS5_SF_jNS0_19identity_decomposerENS1_16block_id_wrapperIjLb1EEEEE10hipError_tT1_PNSt15iterator_traitsISK_E10value_typeET2_T3_PNSL_ISQ_E10value_typeET4_T5_PSV_SW_PNS1_23onesweep_lookback_stateEbbT6_jjT7_P12ihipStream_tbENKUlT_T0_SK_SP_E_clISE_PxSF_SF_EEDaS13_S14_SK_SP_EUlS13_E_NS1_11comp_targetILNS1_3genE3ELNS1_11target_archE908ELNS1_3gpuE7ELNS1_3repE0EEENS1_47radix_sort_onesweep_sort_config_static_selectorELNS0_4arch9wavefront6targetE1EEEvSK_
                                        ; -- End function
	.section	.AMDGPU.csdata,"",@progbits
; Kernel info:
; codeLenInByte = 0
; NumSgprs: 6
; NumVgprs: 0
; NumAgprs: 0
; TotalNumVgprs: 0
; ScratchSize: 0
; MemoryBound: 0
; FloatMode: 240
; IeeeMode: 1
; LDSByteSize: 0 bytes/workgroup (compile time only)
; SGPRBlocks: 0
; VGPRBlocks: 0
; NumSGPRsForWavesPerEU: 6
; NumVGPRsForWavesPerEU: 1
; AccumOffset: 4
; Occupancy: 8
; WaveLimiterHint : 0
; COMPUTE_PGM_RSRC2:SCRATCH_EN: 0
; COMPUTE_PGM_RSRC2:USER_SGPR: 2
; COMPUTE_PGM_RSRC2:TRAP_HANDLER: 0
; COMPUTE_PGM_RSRC2:TGID_X_EN: 1
; COMPUTE_PGM_RSRC2:TGID_Y_EN: 0
; COMPUTE_PGM_RSRC2:TGID_Z_EN: 0
; COMPUTE_PGM_RSRC2:TIDIG_COMP_CNT: 0
; COMPUTE_PGM_RSRC3_GFX90A:ACCUM_OFFSET: 0
; COMPUTE_PGM_RSRC3_GFX90A:TG_SPLIT: 0
	.section	.text._ZN7rocprim17ROCPRIM_400000_NS6detail17trampoline_kernelINS0_14default_configENS1_35radix_sort_onesweep_config_selectorIxNS0_10empty_typeEEEZZNS1_29radix_sort_onesweep_iterationIS3_Lb0EN6thrust23THRUST_200600_302600_NS6detail15normal_iteratorINS9_10device_ptrIxEEEESE_PS5_SF_jNS0_19identity_decomposerENS1_16block_id_wrapperIjLb1EEEEE10hipError_tT1_PNSt15iterator_traitsISK_E10value_typeET2_T3_PNSL_ISQ_E10value_typeET4_T5_PSV_SW_PNS1_23onesweep_lookback_stateEbbT6_jjT7_P12ihipStream_tbENKUlT_T0_SK_SP_E_clISE_PxSF_SF_EEDaS13_S14_SK_SP_EUlS13_E_NS1_11comp_targetILNS1_3genE10ELNS1_11target_archE1201ELNS1_3gpuE5ELNS1_3repE0EEENS1_47radix_sort_onesweep_sort_config_static_selectorELNS0_4arch9wavefront6targetE1EEEvSK_,"axG",@progbits,_ZN7rocprim17ROCPRIM_400000_NS6detail17trampoline_kernelINS0_14default_configENS1_35radix_sort_onesweep_config_selectorIxNS0_10empty_typeEEEZZNS1_29radix_sort_onesweep_iterationIS3_Lb0EN6thrust23THRUST_200600_302600_NS6detail15normal_iteratorINS9_10device_ptrIxEEEESE_PS5_SF_jNS0_19identity_decomposerENS1_16block_id_wrapperIjLb1EEEEE10hipError_tT1_PNSt15iterator_traitsISK_E10value_typeET2_T3_PNSL_ISQ_E10value_typeET4_T5_PSV_SW_PNS1_23onesweep_lookback_stateEbbT6_jjT7_P12ihipStream_tbENKUlT_T0_SK_SP_E_clISE_PxSF_SF_EEDaS13_S14_SK_SP_EUlS13_E_NS1_11comp_targetILNS1_3genE10ELNS1_11target_archE1201ELNS1_3gpuE5ELNS1_3repE0EEENS1_47radix_sort_onesweep_sort_config_static_selectorELNS0_4arch9wavefront6targetE1EEEvSK_,comdat
	.protected	_ZN7rocprim17ROCPRIM_400000_NS6detail17trampoline_kernelINS0_14default_configENS1_35radix_sort_onesweep_config_selectorIxNS0_10empty_typeEEEZZNS1_29radix_sort_onesweep_iterationIS3_Lb0EN6thrust23THRUST_200600_302600_NS6detail15normal_iteratorINS9_10device_ptrIxEEEESE_PS5_SF_jNS0_19identity_decomposerENS1_16block_id_wrapperIjLb1EEEEE10hipError_tT1_PNSt15iterator_traitsISK_E10value_typeET2_T3_PNSL_ISQ_E10value_typeET4_T5_PSV_SW_PNS1_23onesweep_lookback_stateEbbT6_jjT7_P12ihipStream_tbENKUlT_T0_SK_SP_E_clISE_PxSF_SF_EEDaS13_S14_SK_SP_EUlS13_E_NS1_11comp_targetILNS1_3genE10ELNS1_11target_archE1201ELNS1_3gpuE5ELNS1_3repE0EEENS1_47radix_sort_onesweep_sort_config_static_selectorELNS0_4arch9wavefront6targetE1EEEvSK_ ; -- Begin function _ZN7rocprim17ROCPRIM_400000_NS6detail17trampoline_kernelINS0_14default_configENS1_35radix_sort_onesweep_config_selectorIxNS0_10empty_typeEEEZZNS1_29radix_sort_onesweep_iterationIS3_Lb0EN6thrust23THRUST_200600_302600_NS6detail15normal_iteratorINS9_10device_ptrIxEEEESE_PS5_SF_jNS0_19identity_decomposerENS1_16block_id_wrapperIjLb1EEEEE10hipError_tT1_PNSt15iterator_traitsISK_E10value_typeET2_T3_PNSL_ISQ_E10value_typeET4_T5_PSV_SW_PNS1_23onesweep_lookback_stateEbbT6_jjT7_P12ihipStream_tbENKUlT_T0_SK_SP_E_clISE_PxSF_SF_EEDaS13_S14_SK_SP_EUlS13_E_NS1_11comp_targetILNS1_3genE10ELNS1_11target_archE1201ELNS1_3gpuE5ELNS1_3repE0EEENS1_47radix_sort_onesweep_sort_config_static_selectorELNS0_4arch9wavefront6targetE1EEEvSK_
	.globl	_ZN7rocprim17ROCPRIM_400000_NS6detail17trampoline_kernelINS0_14default_configENS1_35radix_sort_onesweep_config_selectorIxNS0_10empty_typeEEEZZNS1_29radix_sort_onesweep_iterationIS3_Lb0EN6thrust23THRUST_200600_302600_NS6detail15normal_iteratorINS9_10device_ptrIxEEEESE_PS5_SF_jNS0_19identity_decomposerENS1_16block_id_wrapperIjLb1EEEEE10hipError_tT1_PNSt15iterator_traitsISK_E10value_typeET2_T3_PNSL_ISQ_E10value_typeET4_T5_PSV_SW_PNS1_23onesweep_lookback_stateEbbT6_jjT7_P12ihipStream_tbENKUlT_T0_SK_SP_E_clISE_PxSF_SF_EEDaS13_S14_SK_SP_EUlS13_E_NS1_11comp_targetILNS1_3genE10ELNS1_11target_archE1201ELNS1_3gpuE5ELNS1_3repE0EEENS1_47radix_sort_onesweep_sort_config_static_selectorELNS0_4arch9wavefront6targetE1EEEvSK_
	.p2align	8
	.type	_ZN7rocprim17ROCPRIM_400000_NS6detail17trampoline_kernelINS0_14default_configENS1_35radix_sort_onesweep_config_selectorIxNS0_10empty_typeEEEZZNS1_29radix_sort_onesweep_iterationIS3_Lb0EN6thrust23THRUST_200600_302600_NS6detail15normal_iteratorINS9_10device_ptrIxEEEESE_PS5_SF_jNS0_19identity_decomposerENS1_16block_id_wrapperIjLb1EEEEE10hipError_tT1_PNSt15iterator_traitsISK_E10value_typeET2_T3_PNSL_ISQ_E10value_typeET4_T5_PSV_SW_PNS1_23onesweep_lookback_stateEbbT6_jjT7_P12ihipStream_tbENKUlT_T0_SK_SP_E_clISE_PxSF_SF_EEDaS13_S14_SK_SP_EUlS13_E_NS1_11comp_targetILNS1_3genE10ELNS1_11target_archE1201ELNS1_3gpuE5ELNS1_3repE0EEENS1_47radix_sort_onesweep_sort_config_static_selectorELNS0_4arch9wavefront6targetE1EEEvSK_,@function
_ZN7rocprim17ROCPRIM_400000_NS6detail17trampoline_kernelINS0_14default_configENS1_35radix_sort_onesweep_config_selectorIxNS0_10empty_typeEEEZZNS1_29radix_sort_onesweep_iterationIS3_Lb0EN6thrust23THRUST_200600_302600_NS6detail15normal_iteratorINS9_10device_ptrIxEEEESE_PS5_SF_jNS0_19identity_decomposerENS1_16block_id_wrapperIjLb1EEEEE10hipError_tT1_PNSt15iterator_traitsISK_E10value_typeET2_T3_PNSL_ISQ_E10value_typeET4_T5_PSV_SW_PNS1_23onesweep_lookback_stateEbbT6_jjT7_P12ihipStream_tbENKUlT_T0_SK_SP_E_clISE_PxSF_SF_EEDaS13_S14_SK_SP_EUlS13_E_NS1_11comp_targetILNS1_3genE10ELNS1_11target_archE1201ELNS1_3gpuE5ELNS1_3repE0EEENS1_47radix_sort_onesweep_sort_config_static_selectorELNS0_4arch9wavefront6targetE1EEEvSK_: ; @_ZN7rocprim17ROCPRIM_400000_NS6detail17trampoline_kernelINS0_14default_configENS1_35radix_sort_onesweep_config_selectorIxNS0_10empty_typeEEEZZNS1_29radix_sort_onesweep_iterationIS3_Lb0EN6thrust23THRUST_200600_302600_NS6detail15normal_iteratorINS9_10device_ptrIxEEEESE_PS5_SF_jNS0_19identity_decomposerENS1_16block_id_wrapperIjLb1EEEEE10hipError_tT1_PNSt15iterator_traitsISK_E10value_typeET2_T3_PNSL_ISQ_E10value_typeET4_T5_PSV_SW_PNS1_23onesweep_lookback_stateEbbT6_jjT7_P12ihipStream_tbENKUlT_T0_SK_SP_E_clISE_PxSF_SF_EEDaS13_S14_SK_SP_EUlS13_E_NS1_11comp_targetILNS1_3genE10ELNS1_11target_archE1201ELNS1_3gpuE5ELNS1_3repE0EEENS1_47radix_sort_onesweep_sort_config_static_selectorELNS0_4arch9wavefront6targetE1EEEvSK_
; %bb.0:
	.section	.rodata,"a",@progbits
	.p2align	6, 0x0
	.amdhsa_kernel _ZN7rocprim17ROCPRIM_400000_NS6detail17trampoline_kernelINS0_14default_configENS1_35radix_sort_onesweep_config_selectorIxNS0_10empty_typeEEEZZNS1_29radix_sort_onesweep_iterationIS3_Lb0EN6thrust23THRUST_200600_302600_NS6detail15normal_iteratorINS9_10device_ptrIxEEEESE_PS5_SF_jNS0_19identity_decomposerENS1_16block_id_wrapperIjLb1EEEEE10hipError_tT1_PNSt15iterator_traitsISK_E10value_typeET2_T3_PNSL_ISQ_E10value_typeET4_T5_PSV_SW_PNS1_23onesweep_lookback_stateEbbT6_jjT7_P12ihipStream_tbENKUlT_T0_SK_SP_E_clISE_PxSF_SF_EEDaS13_S14_SK_SP_EUlS13_E_NS1_11comp_targetILNS1_3genE10ELNS1_11target_archE1201ELNS1_3gpuE5ELNS1_3repE0EEENS1_47radix_sort_onesweep_sort_config_static_selectorELNS0_4arch9wavefront6targetE1EEEvSK_
		.amdhsa_group_segment_fixed_size 0
		.amdhsa_private_segment_fixed_size 0
		.amdhsa_kernarg_size 88
		.amdhsa_user_sgpr_count 2
		.amdhsa_user_sgpr_dispatch_ptr 0
		.amdhsa_user_sgpr_queue_ptr 0
		.amdhsa_user_sgpr_kernarg_segment_ptr 1
		.amdhsa_user_sgpr_dispatch_id 0
		.amdhsa_user_sgpr_kernarg_preload_length 0
		.amdhsa_user_sgpr_kernarg_preload_offset 0
		.amdhsa_user_sgpr_private_segment_size 0
		.amdhsa_uses_dynamic_stack 0
		.amdhsa_enable_private_segment 0
		.amdhsa_system_sgpr_workgroup_id_x 1
		.amdhsa_system_sgpr_workgroup_id_y 0
		.amdhsa_system_sgpr_workgroup_id_z 0
		.amdhsa_system_sgpr_workgroup_info 0
		.amdhsa_system_vgpr_workitem_id 0
		.amdhsa_next_free_vgpr 1
		.amdhsa_next_free_sgpr 0
		.amdhsa_accum_offset 4
		.amdhsa_reserve_vcc 0
		.amdhsa_float_round_mode_32 0
		.amdhsa_float_round_mode_16_64 0
		.amdhsa_float_denorm_mode_32 3
		.amdhsa_float_denorm_mode_16_64 3
		.amdhsa_dx10_clamp 1
		.amdhsa_ieee_mode 1
		.amdhsa_fp16_overflow 0
		.amdhsa_tg_split 0
		.amdhsa_exception_fp_ieee_invalid_op 0
		.amdhsa_exception_fp_denorm_src 0
		.amdhsa_exception_fp_ieee_div_zero 0
		.amdhsa_exception_fp_ieee_overflow 0
		.amdhsa_exception_fp_ieee_underflow 0
		.amdhsa_exception_fp_ieee_inexact 0
		.amdhsa_exception_int_div_zero 0
	.end_amdhsa_kernel
	.section	.text._ZN7rocprim17ROCPRIM_400000_NS6detail17trampoline_kernelINS0_14default_configENS1_35radix_sort_onesweep_config_selectorIxNS0_10empty_typeEEEZZNS1_29radix_sort_onesweep_iterationIS3_Lb0EN6thrust23THRUST_200600_302600_NS6detail15normal_iteratorINS9_10device_ptrIxEEEESE_PS5_SF_jNS0_19identity_decomposerENS1_16block_id_wrapperIjLb1EEEEE10hipError_tT1_PNSt15iterator_traitsISK_E10value_typeET2_T3_PNSL_ISQ_E10value_typeET4_T5_PSV_SW_PNS1_23onesweep_lookback_stateEbbT6_jjT7_P12ihipStream_tbENKUlT_T0_SK_SP_E_clISE_PxSF_SF_EEDaS13_S14_SK_SP_EUlS13_E_NS1_11comp_targetILNS1_3genE10ELNS1_11target_archE1201ELNS1_3gpuE5ELNS1_3repE0EEENS1_47radix_sort_onesweep_sort_config_static_selectorELNS0_4arch9wavefront6targetE1EEEvSK_,"axG",@progbits,_ZN7rocprim17ROCPRIM_400000_NS6detail17trampoline_kernelINS0_14default_configENS1_35radix_sort_onesweep_config_selectorIxNS0_10empty_typeEEEZZNS1_29radix_sort_onesweep_iterationIS3_Lb0EN6thrust23THRUST_200600_302600_NS6detail15normal_iteratorINS9_10device_ptrIxEEEESE_PS5_SF_jNS0_19identity_decomposerENS1_16block_id_wrapperIjLb1EEEEE10hipError_tT1_PNSt15iterator_traitsISK_E10value_typeET2_T3_PNSL_ISQ_E10value_typeET4_T5_PSV_SW_PNS1_23onesweep_lookback_stateEbbT6_jjT7_P12ihipStream_tbENKUlT_T0_SK_SP_E_clISE_PxSF_SF_EEDaS13_S14_SK_SP_EUlS13_E_NS1_11comp_targetILNS1_3genE10ELNS1_11target_archE1201ELNS1_3gpuE5ELNS1_3repE0EEENS1_47radix_sort_onesweep_sort_config_static_selectorELNS0_4arch9wavefront6targetE1EEEvSK_,comdat
.Lfunc_end1557:
	.size	_ZN7rocprim17ROCPRIM_400000_NS6detail17trampoline_kernelINS0_14default_configENS1_35radix_sort_onesweep_config_selectorIxNS0_10empty_typeEEEZZNS1_29radix_sort_onesweep_iterationIS3_Lb0EN6thrust23THRUST_200600_302600_NS6detail15normal_iteratorINS9_10device_ptrIxEEEESE_PS5_SF_jNS0_19identity_decomposerENS1_16block_id_wrapperIjLb1EEEEE10hipError_tT1_PNSt15iterator_traitsISK_E10value_typeET2_T3_PNSL_ISQ_E10value_typeET4_T5_PSV_SW_PNS1_23onesweep_lookback_stateEbbT6_jjT7_P12ihipStream_tbENKUlT_T0_SK_SP_E_clISE_PxSF_SF_EEDaS13_S14_SK_SP_EUlS13_E_NS1_11comp_targetILNS1_3genE10ELNS1_11target_archE1201ELNS1_3gpuE5ELNS1_3repE0EEENS1_47radix_sort_onesweep_sort_config_static_selectorELNS0_4arch9wavefront6targetE1EEEvSK_, .Lfunc_end1557-_ZN7rocprim17ROCPRIM_400000_NS6detail17trampoline_kernelINS0_14default_configENS1_35radix_sort_onesweep_config_selectorIxNS0_10empty_typeEEEZZNS1_29radix_sort_onesweep_iterationIS3_Lb0EN6thrust23THRUST_200600_302600_NS6detail15normal_iteratorINS9_10device_ptrIxEEEESE_PS5_SF_jNS0_19identity_decomposerENS1_16block_id_wrapperIjLb1EEEEE10hipError_tT1_PNSt15iterator_traitsISK_E10value_typeET2_T3_PNSL_ISQ_E10value_typeET4_T5_PSV_SW_PNS1_23onesweep_lookback_stateEbbT6_jjT7_P12ihipStream_tbENKUlT_T0_SK_SP_E_clISE_PxSF_SF_EEDaS13_S14_SK_SP_EUlS13_E_NS1_11comp_targetILNS1_3genE10ELNS1_11target_archE1201ELNS1_3gpuE5ELNS1_3repE0EEENS1_47radix_sort_onesweep_sort_config_static_selectorELNS0_4arch9wavefront6targetE1EEEvSK_
                                        ; -- End function
	.section	.AMDGPU.csdata,"",@progbits
; Kernel info:
; codeLenInByte = 0
; NumSgprs: 6
; NumVgprs: 0
; NumAgprs: 0
; TotalNumVgprs: 0
; ScratchSize: 0
; MemoryBound: 0
; FloatMode: 240
; IeeeMode: 1
; LDSByteSize: 0 bytes/workgroup (compile time only)
; SGPRBlocks: 0
; VGPRBlocks: 0
; NumSGPRsForWavesPerEU: 6
; NumVGPRsForWavesPerEU: 1
; AccumOffset: 4
; Occupancy: 8
; WaveLimiterHint : 0
; COMPUTE_PGM_RSRC2:SCRATCH_EN: 0
; COMPUTE_PGM_RSRC2:USER_SGPR: 2
; COMPUTE_PGM_RSRC2:TRAP_HANDLER: 0
; COMPUTE_PGM_RSRC2:TGID_X_EN: 1
; COMPUTE_PGM_RSRC2:TGID_Y_EN: 0
; COMPUTE_PGM_RSRC2:TGID_Z_EN: 0
; COMPUTE_PGM_RSRC2:TIDIG_COMP_CNT: 0
; COMPUTE_PGM_RSRC3_GFX90A:ACCUM_OFFSET: 0
; COMPUTE_PGM_RSRC3_GFX90A:TG_SPLIT: 0
	.section	.text._ZN7rocprim17ROCPRIM_400000_NS6detail17trampoline_kernelINS0_14default_configENS1_35radix_sort_onesweep_config_selectorIxNS0_10empty_typeEEEZZNS1_29radix_sort_onesweep_iterationIS3_Lb0EN6thrust23THRUST_200600_302600_NS6detail15normal_iteratorINS9_10device_ptrIxEEEESE_PS5_SF_jNS0_19identity_decomposerENS1_16block_id_wrapperIjLb1EEEEE10hipError_tT1_PNSt15iterator_traitsISK_E10value_typeET2_T3_PNSL_ISQ_E10value_typeET4_T5_PSV_SW_PNS1_23onesweep_lookback_stateEbbT6_jjT7_P12ihipStream_tbENKUlT_T0_SK_SP_E_clISE_PxSF_SF_EEDaS13_S14_SK_SP_EUlS13_E_NS1_11comp_targetILNS1_3genE9ELNS1_11target_archE1100ELNS1_3gpuE3ELNS1_3repE0EEENS1_47radix_sort_onesweep_sort_config_static_selectorELNS0_4arch9wavefront6targetE1EEEvSK_,"axG",@progbits,_ZN7rocprim17ROCPRIM_400000_NS6detail17trampoline_kernelINS0_14default_configENS1_35radix_sort_onesweep_config_selectorIxNS0_10empty_typeEEEZZNS1_29radix_sort_onesweep_iterationIS3_Lb0EN6thrust23THRUST_200600_302600_NS6detail15normal_iteratorINS9_10device_ptrIxEEEESE_PS5_SF_jNS0_19identity_decomposerENS1_16block_id_wrapperIjLb1EEEEE10hipError_tT1_PNSt15iterator_traitsISK_E10value_typeET2_T3_PNSL_ISQ_E10value_typeET4_T5_PSV_SW_PNS1_23onesweep_lookback_stateEbbT6_jjT7_P12ihipStream_tbENKUlT_T0_SK_SP_E_clISE_PxSF_SF_EEDaS13_S14_SK_SP_EUlS13_E_NS1_11comp_targetILNS1_3genE9ELNS1_11target_archE1100ELNS1_3gpuE3ELNS1_3repE0EEENS1_47radix_sort_onesweep_sort_config_static_selectorELNS0_4arch9wavefront6targetE1EEEvSK_,comdat
	.protected	_ZN7rocprim17ROCPRIM_400000_NS6detail17trampoline_kernelINS0_14default_configENS1_35radix_sort_onesweep_config_selectorIxNS0_10empty_typeEEEZZNS1_29radix_sort_onesweep_iterationIS3_Lb0EN6thrust23THRUST_200600_302600_NS6detail15normal_iteratorINS9_10device_ptrIxEEEESE_PS5_SF_jNS0_19identity_decomposerENS1_16block_id_wrapperIjLb1EEEEE10hipError_tT1_PNSt15iterator_traitsISK_E10value_typeET2_T3_PNSL_ISQ_E10value_typeET4_T5_PSV_SW_PNS1_23onesweep_lookback_stateEbbT6_jjT7_P12ihipStream_tbENKUlT_T0_SK_SP_E_clISE_PxSF_SF_EEDaS13_S14_SK_SP_EUlS13_E_NS1_11comp_targetILNS1_3genE9ELNS1_11target_archE1100ELNS1_3gpuE3ELNS1_3repE0EEENS1_47radix_sort_onesweep_sort_config_static_selectorELNS0_4arch9wavefront6targetE1EEEvSK_ ; -- Begin function _ZN7rocprim17ROCPRIM_400000_NS6detail17trampoline_kernelINS0_14default_configENS1_35radix_sort_onesweep_config_selectorIxNS0_10empty_typeEEEZZNS1_29radix_sort_onesweep_iterationIS3_Lb0EN6thrust23THRUST_200600_302600_NS6detail15normal_iteratorINS9_10device_ptrIxEEEESE_PS5_SF_jNS0_19identity_decomposerENS1_16block_id_wrapperIjLb1EEEEE10hipError_tT1_PNSt15iterator_traitsISK_E10value_typeET2_T3_PNSL_ISQ_E10value_typeET4_T5_PSV_SW_PNS1_23onesweep_lookback_stateEbbT6_jjT7_P12ihipStream_tbENKUlT_T0_SK_SP_E_clISE_PxSF_SF_EEDaS13_S14_SK_SP_EUlS13_E_NS1_11comp_targetILNS1_3genE9ELNS1_11target_archE1100ELNS1_3gpuE3ELNS1_3repE0EEENS1_47radix_sort_onesweep_sort_config_static_selectorELNS0_4arch9wavefront6targetE1EEEvSK_
	.globl	_ZN7rocprim17ROCPRIM_400000_NS6detail17trampoline_kernelINS0_14default_configENS1_35radix_sort_onesweep_config_selectorIxNS0_10empty_typeEEEZZNS1_29radix_sort_onesweep_iterationIS3_Lb0EN6thrust23THRUST_200600_302600_NS6detail15normal_iteratorINS9_10device_ptrIxEEEESE_PS5_SF_jNS0_19identity_decomposerENS1_16block_id_wrapperIjLb1EEEEE10hipError_tT1_PNSt15iterator_traitsISK_E10value_typeET2_T3_PNSL_ISQ_E10value_typeET4_T5_PSV_SW_PNS1_23onesweep_lookback_stateEbbT6_jjT7_P12ihipStream_tbENKUlT_T0_SK_SP_E_clISE_PxSF_SF_EEDaS13_S14_SK_SP_EUlS13_E_NS1_11comp_targetILNS1_3genE9ELNS1_11target_archE1100ELNS1_3gpuE3ELNS1_3repE0EEENS1_47radix_sort_onesweep_sort_config_static_selectorELNS0_4arch9wavefront6targetE1EEEvSK_
	.p2align	8
	.type	_ZN7rocprim17ROCPRIM_400000_NS6detail17trampoline_kernelINS0_14default_configENS1_35radix_sort_onesweep_config_selectorIxNS0_10empty_typeEEEZZNS1_29radix_sort_onesweep_iterationIS3_Lb0EN6thrust23THRUST_200600_302600_NS6detail15normal_iteratorINS9_10device_ptrIxEEEESE_PS5_SF_jNS0_19identity_decomposerENS1_16block_id_wrapperIjLb1EEEEE10hipError_tT1_PNSt15iterator_traitsISK_E10value_typeET2_T3_PNSL_ISQ_E10value_typeET4_T5_PSV_SW_PNS1_23onesweep_lookback_stateEbbT6_jjT7_P12ihipStream_tbENKUlT_T0_SK_SP_E_clISE_PxSF_SF_EEDaS13_S14_SK_SP_EUlS13_E_NS1_11comp_targetILNS1_3genE9ELNS1_11target_archE1100ELNS1_3gpuE3ELNS1_3repE0EEENS1_47radix_sort_onesweep_sort_config_static_selectorELNS0_4arch9wavefront6targetE1EEEvSK_,@function
_ZN7rocprim17ROCPRIM_400000_NS6detail17trampoline_kernelINS0_14default_configENS1_35radix_sort_onesweep_config_selectorIxNS0_10empty_typeEEEZZNS1_29radix_sort_onesweep_iterationIS3_Lb0EN6thrust23THRUST_200600_302600_NS6detail15normal_iteratorINS9_10device_ptrIxEEEESE_PS5_SF_jNS0_19identity_decomposerENS1_16block_id_wrapperIjLb1EEEEE10hipError_tT1_PNSt15iterator_traitsISK_E10value_typeET2_T3_PNSL_ISQ_E10value_typeET4_T5_PSV_SW_PNS1_23onesweep_lookback_stateEbbT6_jjT7_P12ihipStream_tbENKUlT_T0_SK_SP_E_clISE_PxSF_SF_EEDaS13_S14_SK_SP_EUlS13_E_NS1_11comp_targetILNS1_3genE9ELNS1_11target_archE1100ELNS1_3gpuE3ELNS1_3repE0EEENS1_47radix_sort_onesweep_sort_config_static_selectorELNS0_4arch9wavefront6targetE1EEEvSK_: ; @_ZN7rocprim17ROCPRIM_400000_NS6detail17trampoline_kernelINS0_14default_configENS1_35radix_sort_onesweep_config_selectorIxNS0_10empty_typeEEEZZNS1_29radix_sort_onesweep_iterationIS3_Lb0EN6thrust23THRUST_200600_302600_NS6detail15normal_iteratorINS9_10device_ptrIxEEEESE_PS5_SF_jNS0_19identity_decomposerENS1_16block_id_wrapperIjLb1EEEEE10hipError_tT1_PNSt15iterator_traitsISK_E10value_typeET2_T3_PNSL_ISQ_E10value_typeET4_T5_PSV_SW_PNS1_23onesweep_lookback_stateEbbT6_jjT7_P12ihipStream_tbENKUlT_T0_SK_SP_E_clISE_PxSF_SF_EEDaS13_S14_SK_SP_EUlS13_E_NS1_11comp_targetILNS1_3genE9ELNS1_11target_archE1100ELNS1_3gpuE3ELNS1_3repE0EEENS1_47radix_sort_onesweep_sort_config_static_selectorELNS0_4arch9wavefront6targetE1EEEvSK_
; %bb.0:
	.section	.rodata,"a",@progbits
	.p2align	6, 0x0
	.amdhsa_kernel _ZN7rocprim17ROCPRIM_400000_NS6detail17trampoline_kernelINS0_14default_configENS1_35radix_sort_onesweep_config_selectorIxNS0_10empty_typeEEEZZNS1_29radix_sort_onesweep_iterationIS3_Lb0EN6thrust23THRUST_200600_302600_NS6detail15normal_iteratorINS9_10device_ptrIxEEEESE_PS5_SF_jNS0_19identity_decomposerENS1_16block_id_wrapperIjLb1EEEEE10hipError_tT1_PNSt15iterator_traitsISK_E10value_typeET2_T3_PNSL_ISQ_E10value_typeET4_T5_PSV_SW_PNS1_23onesweep_lookback_stateEbbT6_jjT7_P12ihipStream_tbENKUlT_T0_SK_SP_E_clISE_PxSF_SF_EEDaS13_S14_SK_SP_EUlS13_E_NS1_11comp_targetILNS1_3genE9ELNS1_11target_archE1100ELNS1_3gpuE3ELNS1_3repE0EEENS1_47radix_sort_onesweep_sort_config_static_selectorELNS0_4arch9wavefront6targetE1EEEvSK_
		.amdhsa_group_segment_fixed_size 0
		.amdhsa_private_segment_fixed_size 0
		.amdhsa_kernarg_size 88
		.amdhsa_user_sgpr_count 2
		.amdhsa_user_sgpr_dispatch_ptr 0
		.amdhsa_user_sgpr_queue_ptr 0
		.amdhsa_user_sgpr_kernarg_segment_ptr 1
		.amdhsa_user_sgpr_dispatch_id 0
		.amdhsa_user_sgpr_kernarg_preload_length 0
		.amdhsa_user_sgpr_kernarg_preload_offset 0
		.amdhsa_user_sgpr_private_segment_size 0
		.amdhsa_uses_dynamic_stack 0
		.amdhsa_enable_private_segment 0
		.amdhsa_system_sgpr_workgroup_id_x 1
		.amdhsa_system_sgpr_workgroup_id_y 0
		.amdhsa_system_sgpr_workgroup_id_z 0
		.amdhsa_system_sgpr_workgroup_info 0
		.amdhsa_system_vgpr_workitem_id 0
		.amdhsa_next_free_vgpr 1
		.amdhsa_next_free_sgpr 0
		.amdhsa_accum_offset 4
		.amdhsa_reserve_vcc 0
		.amdhsa_float_round_mode_32 0
		.amdhsa_float_round_mode_16_64 0
		.amdhsa_float_denorm_mode_32 3
		.amdhsa_float_denorm_mode_16_64 3
		.amdhsa_dx10_clamp 1
		.amdhsa_ieee_mode 1
		.amdhsa_fp16_overflow 0
		.amdhsa_tg_split 0
		.amdhsa_exception_fp_ieee_invalid_op 0
		.amdhsa_exception_fp_denorm_src 0
		.amdhsa_exception_fp_ieee_div_zero 0
		.amdhsa_exception_fp_ieee_overflow 0
		.amdhsa_exception_fp_ieee_underflow 0
		.amdhsa_exception_fp_ieee_inexact 0
		.amdhsa_exception_int_div_zero 0
	.end_amdhsa_kernel
	.section	.text._ZN7rocprim17ROCPRIM_400000_NS6detail17trampoline_kernelINS0_14default_configENS1_35radix_sort_onesweep_config_selectorIxNS0_10empty_typeEEEZZNS1_29radix_sort_onesweep_iterationIS3_Lb0EN6thrust23THRUST_200600_302600_NS6detail15normal_iteratorINS9_10device_ptrIxEEEESE_PS5_SF_jNS0_19identity_decomposerENS1_16block_id_wrapperIjLb1EEEEE10hipError_tT1_PNSt15iterator_traitsISK_E10value_typeET2_T3_PNSL_ISQ_E10value_typeET4_T5_PSV_SW_PNS1_23onesweep_lookback_stateEbbT6_jjT7_P12ihipStream_tbENKUlT_T0_SK_SP_E_clISE_PxSF_SF_EEDaS13_S14_SK_SP_EUlS13_E_NS1_11comp_targetILNS1_3genE9ELNS1_11target_archE1100ELNS1_3gpuE3ELNS1_3repE0EEENS1_47radix_sort_onesweep_sort_config_static_selectorELNS0_4arch9wavefront6targetE1EEEvSK_,"axG",@progbits,_ZN7rocprim17ROCPRIM_400000_NS6detail17trampoline_kernelINS0_14default_configENS1_35radix_sort_onesweep_config_selectorIxNS0_10empty_typeEEEZZNS1_29radix_sort_onesweep_iterationIS3_Lb0EN6thrust23THRUST_200600_302600_NS6detail15normal_iteratorINS9_10device_ptrIxEEEESE_PS5_SF_jNS0_19identity_decomposerENS1_16block_id_wrapperIjLb1EEEEE10hipError_tT1_PNSt15iterator_traitsISK_E10value_typeET2_T3_PNSL_ISQ_E10value_typeET4_T5_PSV_SW_PNS1_23onesweep_lookback_stateEbbT6_jjT7_P12ihipStream_tbENKUlT_T0_SK_SP_E_clISE_PxSF_SF_EEDaS13_S14_SK_SP_EUlS13_E_NS1_11comp_targetILNS1_3genE9ELNS1_11target_archE1100ELNS1_3gpuE3ELNS1_3repE0EEENS1_47radix_sort_onesweep_sort_config_static_selectorELNS0_4arch9wavefront6targetE1EEEvSK_,comdat
.Lfunc_end1558:
	.size	_ZN7rocprim17ROCPRIM_400000_NS6detail17trampoline_kernelINS0_14default_configENS1_35radix_sort_onesweep_config_selectorIxNS0_10empty_typeEEEZZNS1_29radix_sort_onesweep_iterationIS3_Lb0EN6thrust23THRUST_200600_302600_NS6detail15normal_iteratorINS9_10device_ptrIxEEEESE_PS5_SF_jNS0_19identity_decomposerENS1_16block_id_wrapperIjLb1EEEEE10hipError_tT1_PNSt15iterator_traitsISK_E10value_typeET2_T3_PNSL_ISQ_E10value_typeET4_T5_PSV_SW_PNS1_23onesweep_lookback_stateEbbT6_jjT7_P12ihipStream_tbENKUlT_T0_SK_SP_E_clISE_PxSF_SF_EEDaS13_S14_SK_SP_EUlS13_E_NS1_11comp_targetILNS1_3genE9ELNS1_11target_archE1100ELNS1_3gpuE3ELNS1_3repE0EEENS1_47radix_sort_onesweep_sort_config_static_selectorELNS0_4arch9wavefront6targetE1EEEvSK_, .Lfunc_end1558-_ZN7rocprim17ROCPRIM_400000_NS6detail17trampoline_kernelINS0_14default_configENS1_35radix_sort_onesweep_config_selectorIxNS0_10empty_typeEEEZZNS1_29radix_sort_onesweep_iterationIS3_Lb0EN6thrust23THRUST_200600_302600_NS6detail15normal_iteratorINS9_10device_ptrIxEEEESE_PS5_SF_jNS0_19identity_decomposerENS1_16block_id_wrapperIjLb1EEEEE10hipError_tT1_PNSt15iterator_traitsISK_E10value_typeET2_T3_PNSL_ISQ_E10value_typeET4_T5_PSV_SW_PNS1_23onesweep_lookback_stateEbbT6_jjT7_P12ihipStream_tbENKUlT_T0_SK_SP_E_clISE_PxSF_SF_EEDaS13_S14_SK_SP_EUlS13_E_NS1_11comp_targetILNS1_3genE9ELNS1_11target_archE1100ELNS1_3gpuE3ELNS1_3repE0EEENS1_47radix_sort_onesweep_sort_config_static_selectorELNS0_4arch9wavefront6targetE1EEEvSK_
                                        ; -- End function
	.section	.AMDGPU.csdata,"",@progbits
; Kernel info:
; codeLenInByte = 0
; NumSgprs: 6
; NumVgprs: 0
; NumAgprs: 0
; TotalNumVgprs: 0
; ScratchSize: 0
; MemoryBound: 0
; FloatMode: 240
; IeeeMode: 1
; LDSByteSize: 0 bytes/workgroup (compile time only)
; SGPRBlocks: 0
; VGPRBlocks: 0
; NumSGPRsForWavesPerEU: 6
; NumVGPRsForWavesPerEU: 1
; AccumOffset: 4
; Occupancy: 8
; WaveLimiterHint : 0
; COMPUTE_PGM_RSRC2:SCRATCH_EN: 0
; COMPUTE_PGM_RSRC2:USER_SGPR: 2
; COMPUTE_PGM_RSRC2:TRAP_HANDLER: 0
; COMPUTE_PGM_RSRC2:TGID_X_EN: 1
; COMPUTE_PGM_RSRC2:TGID_Y_EN: 0
; COMPUTE_PGM_RSRC2:TGID_Z_EN: 0
; COMPUTE_PGM_RSRC2:TIDIG_COMP_CNT: 0
; COMPUTE_PGM_RSRC3_GFX90A:ACCUM_OFFSET: 0
; COMPUTE_PGM_RSRC3_GFX90A:TG_SPLIT: 0
	.section	.text._ZN7rocprim17ROCPRIM_400000_NS6detail17trampoline_kernelINS0_14default_configENS1_35radix_sort_onesweep_config_selectorIxNS0_10empty_typeEEEZZNS1_29radix_sort_onesweep_iterationIS3_Lb0EN6thrust23THRUST_200600_302600_NS6detail15normal_iteratorINS9_10device_ptrIxEEEESE_PS5_SF_jNS0_19identity_decomposerENS1_16block_id_wrapperIjLb1EEEEE10hipError_tT1_PNSt15iterator_traitsISK_E10value_typeET2_T3_PNSL_ISQ_E10value_typeET4_T5_PSV_SW_PNS1_23onesweep_lookback_stateEbbT6_jjT7_P12ihipStream_tbENKUlT_T0_SK_SP_E_clISE_PxSF_SF_EEDaS13_S14_SK_SP_EUlS13_E_NS1_11comp_targetILNS1_3genE8ELNS1_11target_archE1030ELNS1_3gpuE2ELNS1_3repE0EEENS1_47radix_sort_onesweep_sort_config_static_selectorELNS0_4arch9wavefront6targetE1EEEvSK_,"axG",@progbits,_ZN7rocprim17ROCPRIM_400000_NS6detail17trampoline_kernelINS0_14default_configENS1_35radix_sort_onesweep_config_selectorIxNS0_10empty_typeEEEZZNS1_29radix_sort_onesweep_iterationIS3_Lb0EN6thrust23THRUST_200600_302600_NS6detail15normal_iteratorINS9_10device_ptrIxEEEESE_PS5_SF_jNS0_19identity_decomposerENS1_16block_id_wrapperIjLb1EEEEE10hipError_tT1_PNSt15iterator_traitsISK_E10value_typeET2_T3_PNSL_ISQ_E10value_typeET4_T5_PSV_SW_PNS1_23onesweep_lookback_stateEbbT6_jjT7_P12ihipStream_tbENKUlT_T0_SK_SP_E_clISE_PxSF_SF_EEDaS13_S14_SK_SP_EUlS13_E_NS1_11comp_targetILNS1_3genE8ELNS1_11target_archE1030ELNS1_3gpuE2ELNS1_3repE0EEENS1_47radix_sort_onesweep_sort_config_static_selectorELNS0_4arch9wavefront6targetE1EEEvSK_,comdat
	.protected	_ZN7rocprim17ROCPRIM_400000_NS6detail17trampoline_kernelINS0_14default_configENS1_35radix_sort_onesweep_config_selectorIxNS0_10empty_typeEEEZZNS1_29radix_sort_onesweep_iterationIS3_Lb0EN6thrust23THRUST_200600_302600_NS6detail15normal_iteratorINS9_10device_ptrIxEEEESE_PS5_SF_jNS0_19identity_decomposerENS1_16block_id_wrapperIjLb1EEEEE10hipError_tT1_PNSt15iterator_traitsISK_E10value_typeET2_T3_PNSL_ISQ_E10value_typeET4_T5_PSV_SW_PNS1_23onesweep_lookback_stateEbbT6_jjT7_P12ihipStream_tbENKUlT_T0_SK_SP_E_clISE_PxSF_SF_EEDaS13_S14_SK_SP_EUlS13_E_NS1_11comp_targetILNS1_3genE8ELNS1_11target_archE1030ELNS1_3gpuE2ELNS1_3repE0EEENS1_47radix_sort_onesweep_sort_config_static_selectorELNS0_4arch9wavefront6targetE1EEEvSK_ ; -- Begin function _ZN7rocprim17ROCPRIM_400000_NS6detail17trampoline_kernelINS0_14default_configENS1_35radix_sort_onesweep_config_selectorIxNS0_10empty_typeEEEZZNS1_29radix_sort_onesweep_iterationIS3_Lb0EN6thrust23THRUST_200600_302600_NS6detail15normal_iteratorINS9_10device_ptrIxEEEESE_PS5_SF_jNS0_19identity_decomposerENS1_16block_id_wrapperIjLb1EEEEE10hipError_tT1_PNSt15iterator_traitsISK_E10value_typeET2_T3_PNSL_ISQ_E10value_typeET4_T5_PSV_SW_PNS1_23onesweep_lookback_stateEbbT6_jjT7_P12ihipStream_tbENKUlT_T0_SK_SP_E_clISE_PxSF_SF_EEDaS13_S14_SK_SP_EUlS13_E_NS1_11comp_targetILNS1_3genE8ELNS1_11target_archE1030ELNS1_3gpuE2ELNS1_3repE0EEENS1_47radix_sort_onesweep_sort_config_static_selectorELNS0_4arch9wavefront6targetE1EEEvSK_
	.globl	_ZN7rocprim17ROCPRIM_400000_NS6detail17trampoline_kernelINS0_14default_configENS1_35radix_sort_onesweep_config_selectorIxNS0_10empty_typeEEEZZNS1_29radix_sort_onesweep_iterationIS3_Lb0EN6thrust23THRUST_200600_302600_NS6detail15normal_iteratorINS9_10device_ptrIxEEEESE_PS5_SF_jNS0_19identity_decomposerENS1_16block_id_wrapperIjLb1EEEEE10hipError_tT1_PNSt15iterator_traitsISK_E10value_typeET2_T3_PNSL_ISQ_E10value_typeET4_T5_PSV_SW_PNS1_23onesweep_lookback_stateEbbT6_jjT7_P12ihipStream_tbENKUlT_T0_SK_SP_E_clISE_PxSF_SF_EEDaS13_S14_SK_SP_EUlS13_E_NS1_11comp_targetILNS1_3genE8ELNS1_11target_archE1030ELNS1_3gpuE2ELNS1_3repE0EEENS1_47radix_sort_onesweep_sort_config_static_selectorELNS0_4arch9wavefront6targetE1EEEvSK_
	.p2align	8
	.type	_ZN7rocprim17ROCPRIM_400000_NS6detail17trampoline_kernelINS0_14default_configENS1_35radix_sort_onesweep_config_selectorIxNS0_10empty_typeEEEZZNS1_29radix_sort_onesweep_iterationIS3_Lb0EN6thrust23THRUST_200600_302600_NS6detail15normal_iteratorINS9_10device_ptrIxEEEESE_PS5_SF_jNS0_19identity_decomposerENS1_16block_id_wrapperIjLb1EEEEE10hipError_tT1_PNSt15iterator_traitsISK_E10value_typeET2_T3_PNSL_ISQ_E10value_typeET4_T5_PSV_SW_PNS1_23onesweep_lookback_stateEbbT6_jjT7_P12ihipStream_tbENKUlT_T0_SK_SP_E_clISE_PxSF_SF_EEDaS13_S14_SK_SP_EUlS13_E_NS1_11comp_targetILNS1_3genE8ELNS1_11target_archE1030ELNS1_3gpuE2ELNS1_3repE0EEENS1_47radix_sort_onesweep_sort_config_static_selectorELNS0_4arch9wavefront6targetE1EEEvSK_,@function
_ZN7rocprim17ROCPRIM_400000_NS6detail17trampoline_kernelINS0_14default_configENS1_35radix_sort_onesweep_config_selectorIxNS0_10empty_typeEEEZZNS1_29radix_sort_onesweep_iterationIS3_Lb0EN6thrust23THRUST_200600_302600_NS6detail15normal_iteratorINS9_10device_ptrIxEEEESE_PS5_SF_jNS0_19identity_decomposerENS1_16block_id_wrapperIjLb1EEEEE10hipError_tT1_PNSt15iterator_traitsISK_E10value_typeET2_T3_PNSL_ISQ_E10value_typeET4_T5_PSV_SW_PNS1_23onesweep_lookback_stateEbbT6_jjT7_P12ihipStream_tbENKUlT_T0_SK_SP_E_clISE_PxSF_SF_EEDaS13_S14_SK_SP_EUlS13_E_NS1_11comp_targetILNS1_3genE8ELNS1_11target_archE1030ELNS1_3gpuE2ELNS1_3repE0EEENS1_47radix_sort_onesweep_sort_config_static_selectorELNS0_4arch9wavefront6targetE1EEEvSK_: ; @_ZN7rocprim17ROCPRIM_400000_NS6detail17trampoline_kernelINS0_14default_configENS1_35radix_sort_onesweep_config_selectorIxNS0_10empty_typeEEEZZNS1_29radix_sort_onesweep_iterationIS3_Lb0EN6thrust23THRUST_200600_302600_NS6detail15normal_iteratorINS9_10device_ptrIxEEEESE_PS5_SF_jNS0_19identity_decomposerENS1_16block_id_wrapperIjLb1EEEEE10hipError_tT1_PNSt15iterator_traitsISK_E10value_typeET2_T3_PNSL_ISQ_E10value_typeET4_T5_PSV_SW_PNS1_23onesweep_lookback_stateEbbT6_jjT7_P12ihipStream_tbENKUlT_T0_SK_SP_E_clISE_PxSF_SF_EEDaS13_S14_SK_SP_EUlS13_E_NS1_11comp_targetILNS1_3genE8ELNS1_11target_archE1030ELNS1_3gpuE2ELNS1_3repE0EEENS1_47radix_sort_onesweep_sort_config_static_selectorELNS0_4arch9wavefront6targetE1EEEvSK_
; %bb.0:
	.section	.rodata,"a",@progbits
	.p2align	6, 0x0
	.amdhsa_kernel _ZN7rocprim17ROCPRIM_400000_NS6detail17trampoline_kernelINS0_14default_configENS1_35radix_sort_onesweep_config_selectorIxNS0_10empty_typeEEEZZNS1_29radix_sort_onesweep_iterationIS3_Lb0EN6thrust23THRUST_200600_302600_NS6detail15normal_iteratorINS9_10device_ptrIxEEEESE_PS5_SF_jNS0_19identity_decomposerENS1_16block_id_wrapperIjLb1EEEEE10hipError_tT1_PNSt15iterator_traitsISK_E10value_typeET2_T3_PNSL_ISQ_E10value_typeET4_T5_PSV_SW_PNS1_23onesweep_lookback_stateEbbT6_jjT7_P12ihipStream_tbENKUlT_T0_SK_SP_E_clISE_PxSF_SF_EEDaS13_S14_SK_SP_EUlS13_E_NS1_11comp_targetILNS1_3genE8ELNS1_11target_archE1030ELNS1_3gpuE2ELNS1_3repE0EEENS1_47radix_sort_onesweep_sort_config_static_selectorELNS0_4arch9wavefront6targetE1EEEvSK_
		.amdhsa_group_segment_fixed_size 0
		.amdhsa_private_segment_fixed_size 0
		.amdhsa_kernarg_size 88
		.amdhsa_user_sgpr_count 2
		.amdhsa_user_sgpr_dispatch_ptr 0
		.amdhsa_user_sgpr_queue_ptr 0
		.amdhsa_user_sgpr_kernarg_segment_ptr 1
		.amdhsa_user_sgpr_dispatch_id 0
		.amdhsa_user_sgpr_kernarg_preload_length 0
		.amdhsa_user_sgpr_kernarg_preload_offset 0
		.amdhsa_user_sgpr_private_segment_size 0
		.amdhsa_uses_dynamic_stack 0
		.amdhsa_enable_private_segment 0
		.amdhsa_system_sgpr_workgroup_id_x 1
		.amdhsa_system_sgpr_workgroup_id_y 0
		.amdhsa_system_sgpr_workgroup_id_z 0
		.amdhsa_system_sgpr_workgroup_info 0
		.amdhsa_system_vgpr_workitem_id 0
		.amdhsa_next_free_vgpr 1
		.amdhsa_next_free_sgpr 0
		.amdhsa_accum_offset 4
		.amdhsa_reserve_vcc 0
		.amdhsa_float_round_mode_32 0
		.amdhsa_float_round_mode_16_64 0
		.amdhsa_float_denorm_mode_32 3
		.amdhsa_float_denorm_mode_16_64 3
		.amdhsa_dx10_clamp 1
		.amdhsa_ieee_mode 1
		.amdhsa_fp16_overflow 0
		.amdhsa_tg_split 0
		.amdhsa_exception_fp_ieee_invalid_op 0
		.amdhsa_exception_fp_denorm_src 0
		.amdhsa_exception_fp_ieee_div_zero 0
		.amdhsa_exception_fp_ieee_overflow 0
		.amdhsa_exception_fp_ieee_underflow 0
		.amdhsa_exception_fp_ieee_inexact 0
		.amdhsa_exception_int_div_zero 0
	.end_amdhsa_kernel
	.section	.text._ZN7rocprim17ROCPRIM_400000_NS6detail17trampoline_kernelINS0_14default_configENS1_35radix_sort_onesweep_config_selectorIxNS0_10empty_typeEEEZZNS1_29radix_sort_onesweep_iterationIS3_Lb0EN6thrust23THRUST_200600_302600_NS6detail15normal_iteratorINS9_10device_ptrIxEEEESE_PS5_SF_jNS0_19identity_decomposerENS1_16block_id_wrapperIjLb1EEEEE10hipError_tT1_PNSt15iterator_traitsISK_E10value_typeET2_T3_PNSL_ISQ_E10value_typeET4_T5_PSV_SW_PNS1_23onesweep_lookback_stateEbbT6_jjT7_P12ihipStream_tbENKUlT_T0_SK_SP_E_clISE_PxSF_SF_EEDaS13_S14_SK_SP_EUlS13_E_NS1_11comp_targetILNS1_3genE8ELNS1_11target_archE1030ELNS1_3gpuE2ELNS1_3repE0EEENS1_47radix_sort_onesweep_sort_config_static_selectorELNS0_4arch9wavefront6targetE1EEEvSK_,"axG",@progbits,_ZN7rocprim17ROCPRIM_400000_NS6detail17trampoline_kernelINS0_14default_configENS1_35radix_sort_onesweep_config_selectorIxNS0_10empty_typeEEEZZNS1_29radix_sort_onesweep_iterationIS3_Lb0EN6thrust23THRUST_200600_302600_NS6detail15normal_iteratorINS9_10device_ptrIxEEEESE_PS5_SF_jNS0_19identity_decomposerENS1_16block_id_wrapperIjLb1EEEEE10hipError_tT1_PNSt15iterator_traitsISK_E10value_typeET2_T3_PNSL_ISQ_E10value_typeET4_T5_PSV_SW_PNS1_23onesweep_lookback_stateEbbT6_jjT7_P12ihipStream_tbENKUlT_T0_SK_SP_E_clISE_PxSF_SF_EEDaS13_S14_SK_SP_EUlS13_E_NS1_11comp_targetILNS1_3genE8ELNS1_11target_archE1030ELNS1_3gpuE2ELNS1_3repE0EEENS1_47radix_sort_onesweep_sort_config_static_selectorELNS0_4arch9wavefront6targetE1EEEvSK_,comdat
.Lfunc_end1559:
	.size	_ZN7rocprim17ROCPRIM_400000_NS6detail17trampoline_kernelINS0_14default_configENS1_35radix_sort_onesweep_config_selectorIxNS0_10empty_typeEEEZZNS1_29radix_sort_onesweep_iterationIS3_Lb0EN6thrust23THRUST_200600_302600_NS6detail15normal_iteratorINS9_10device_ptrIxEEEESE_PS5_SF_jNS0_19identity_decomposerENS1_16block_id_wrapperIjLb1EEEEE10hipError_tT1_PNSt15iterator_traitsISK_E10value_typeET2_T3_PNSL_ISQ_E10value_typeET4_T5_PSV_SW_PNS1_23onesweep_lookback_stateEbbT6_jjT7_P12ihipStream_tbENKUlT_T0_SK_SP_E_clISE_PxSF_SF_EEDaS13_S14_SK_SP_EUlS13_E_NS1_11comp_targetILNS1_3genE8ELNS1_11target_archE1030ELNS1_3gpuE2ELNS1_3repE0EEENS1_47radix_sort_onesweep_sort_config_static_selectorELNS0_4arch9wavefront6targetE1EEEvSK_, .Lfunc_end1559-_ZN7rocprim17ROCPRIM_400000_NS6detail17trampoline_kernelINS0_14default_configENS1_35radix_sort_onesweep_config_selectorIxNS0_10empty_typeEEEZZNS1_29radix_sort_onesweep_iterationIS3_Lb0EN6thrust23THRUST_200600_302600_NS6detail15normal_iteratorINS9_10device_ptrIxEEEESE_PS5_SF_jNS0_19identity_decomposerENS1_16block_id_wrapperIjLb1EEEEE10hipError_tT1_PNSt15iterator_traitsISK_E10value_typeET2_T3_PNSL_ISQ_E10value_typeET4_T5_PSV_SW_PNS1_23onesweep_lookback_stateEbbT6_jjT7_P12ihipStream_tbENKUlT_T0_SK_SP_E_clISE_PxSF_SF_EEDaS13_S14_SK_SP_EUlS13_E_NS1_11comp_targetILNS1_3genE8ELNS1_11target_archE1030ELNS1_3gpuE2ELNS1_3repE0EEENS1_47radix_sort_onesweep_sort_config_static_selectorELNS0_4arch9wavefront6targetE1EEEvSK_
                                        ; -- End function
	.section	.AMDGPU.csdata,"",@progbits
; Kernel info:
; codeLenInByte = 0
; NumSgprs: 6
; NumVgprs: 0
; NumAgprs: 0
; TotalNumVgprs: 0
; ScratchSize: 0
; MemoryBound: 0
; FloatMode: 240
; IeeeMode: 1
; LDSByteSize: 0 bytes/workgroup (compile time only)
; SGPRBlocks: 0
; VGPRBlocks: 0
; NumSGPRsForWavesPerEU: 6
; NumVGPRsForWavesPerEU: 1
; AccumOffset: 4
; Occupancy: 8
; WaveLimiterHint : 0
; COMPUTE_PGM_RSRC2:SCRATCH_EN: 0
; COMPUTE_PGM_RSRC2:USER_SGPR: 2
; COMPUTE_PGM_RSRC2:TRAP_HANDLER: 0
; COMPUTE_PGM_RSRC2:TGID_X_EN: 1
; COMPUTE_PGM_RSRC2:TGID_Y_EN: 0
; COMPUTE_PGM_RSRC2:TGID_Z_EN: 0
; COMPUTE_PGM_RSRC2:TIDIG_COMP_CNT: 0
; COMPUTE_PGM_RSRC3_GFX90A:ACCUM_OFFSET: 0
; COMPUTE_PGM_RSRC3_GFX90A:TG_SPLIT: 0
	.section	.text._ZN7rocprim17ROCPRIM_400000_NS6detail17trampoline_kernelINS0_14default_configENS1_35radix_sort_onesweep_config_selectorIxNS0_10empty_typeEEEZZNS1_29radix_sort_onesweep_iterationIS3_Lb0EN6thrust23THRUST_200600_302600_NS6detail15normal_iteratorINS9_10device_ptrIxEEEESE_PS5_SF_jNS0_19identity_decomposerENS1_16block_id_wrapperIjLb1EEEEE10hipError_tT1_PNSt15iterator_traitsISK_E10value_typeET2_T3_PNSL_ISQ_E10value_typeET4_T5_PSV_SW_PNS1_23onesweep_lookback_stateEbbT6_jjT7_P12ihipStream_tbENKUlT_T0_SK_SP_E_clIPxSE_SF_SF_EEDaS13_S14_SK_SP_EUlS13_E_NS1_11comp_targetILNS1_3genE0ELNS1_11target_archE4294967295ELNS1_3gpuE0ELNS1_3repE0EEENS1_47radix_sort_onesweep_sort_config_static_selectorELNS0_4arch9wavefront6targetE1EEEvSK_,"axG",@progbits,_ZN7rocprim17ROCPRIM_400000_NS6detail17trampoline_kernelINS0_14default_configENS1_35radix_sort_onesweep_config_selectorIxNS0_10empty_typeEEEZZNS1_29radix_sort_onesweep_iterationIS3_Lb0EN6thrust23THRUST_200600_302600_NS6detail15normal_iteratorINS9_10device_ptrIxEEEESE_PS5_SF_jNS0_19identity_decomposerENS1_16block_id_wrapperIjLb1EEEEE10hipError_tT1_PNSt15iterator_traitsISK_E10value_typeET2_T3_PNSL_ISQ_E10value_typeET4_T5_PSV_SW_PNS1_23onesweep_lookback_stateEbbT6_jjT7_P12ihipStream_tbENKUlT_T0_SK_SP_E_clIPxSE_SF_SF_EEDaS13_S14_SK_SP_EUlS13_E_NS1_11comp_targetILNS1_3genE0ELNS1_11target_archE4294967295ELNS1_3gpuE0ELNS1_3repE0EEENS1_47radix_sort_onesweep_sort_config_static_selectorELNS0_4arch9wavefront6targetE1EEEvSK_,comdat
	.protected	_ZN7rocprim17ROCPRIM_400000_NS6detail17trampoline_kernelINS0_14default_configENS1_35radix_sort_onesweep_config_selectorIxNS0_10empty_typeEEEZZNS1_29radix_sort_onesweep_iterationIS3_Lb0EN6thrust23THRUST_200600_302600_NS6detail15normal_iteratorINS9_10device_ptrIxEEEESE_PS5_SF_jNS0_19identity_decomposerENS1_16block_id_wrapperIjLb1EEEEE10hipError_tT1_PNSt15iterator_traitsISK_E10value_typeET2_T3_PNSL_ISQ_E10value_typeET4_T5_PSV_SW_PNS1_23onesweep_lookback_stateEbbT6_jjT7_P12ihipStream_tbENKUlT_T0_SK_SP_E_clIPxSE_SF_SF_EEDaS13_S14_SK_SP_EUlS13_E_NS1_11comp_targetILNS1_3genE0ELNS1_11target_archE4294967295ELNS1_3gpuE0ELNS1_3repE0EEENS1_47radix_sort_onesweep_sort_config_static_selectorELNS0_4arch9wavefront6targetE1EEEvSK_ ; -- Begin function _ZN7rocprim17ROCPRIM_400000_NS6detail17trampoline_kernelINS0_14default_configENS1_35radix_sort_onesweep_config_selectorIxNS0_10empty_typeEEEZZNS1_29radix_sort_onesweep_iterationIS3_Lb0EN6thrust23THRUST_200600_302600_NS6detail15normal_iteratorINS9_10device_ptrIxEEEESE_PS5_SF_jNS0_19identity_decomposerENS1_16block_id_wrapperIjLb1EEEEE10hipError_tT1_PNSt15iterator_traitsISK_E10value_typeET2_T3_PNSL_ISQ_E10value_typeET4_T5_PSV_SW_PNS1_23onesweep_lookback_stateEbbT6_jjT7_P12ihipStream_tbENKUlT_T0_SK_SP_E_clIPxSE_SF_SF_EEDaS13_S14_SK_SP_EUlS13_E_NS1_11comp_targetILNS1_3genE0ELNS1_11target_archE4294967295ELNS1_3gpuE0ELNS1_3repE0EEENS1_47radix_sort_onesweep_sort_config_static_selectorELNS0_4arch9wavefront6targetE1EEEvSK_
	.globl	_ZN7rocprim17ROCPRIM_400000_NS6detail17trampoline_kernelINS0_14default_configENS1_35radix_sort_onesweep_config_selectorIxNS0_10empty_typeEEEZZNS1_29radix_sort_onesweep_iterationIS3_Lb0EN6thrust23THRUST_200600_302600_NS6detail15normal_iteratorINS9_10device_ptrIxEEEESE_PS5_SF_jNS0_19identity_decomposerENS1_16block_id_wrapperIjLb1EEEEE10hipError_tT1_PNSt15iterator_traitsISK_E10value_typeET2_T3_PNSL_ISQ_E10value_typeET4_T5_PSV_SW_PNS1_23onesweep_lookback_stateEbbT6_jjT7_P12ihipStream_tbENKUlT_T0_SK_SP_E_clIPxSE_SF_SF_EEDaS13_S14_SK_SP_EUlS13_E_NS1_11comp_targetILNS1_3genE0ELNS1_11target_archE4294967295ELNS1_3gpuE0ELNS1_3repE0EEENS1_47radix_sort_onesweep_sort_config_static_selectorELNS0_4arch9wavefront6targetE1EEEvSK_
	.p2align	8
	.type	_ZN7rocprim17ROCPRIM_400000_NS6detail17trampoline_kernelINS0_14default_configENS1_35radix_sort_onesweep_config_selectorIxNS0_10empty_typeEEEZZNS1_29radix_sort_onesweep_iterationIS3_Lb0EN6thrust23THRUST_200600_302600_NS6detail15normal_iteratorINS9_10device_ptrIxEEEESE_PS5_SF_jNS0_19identity_decomposerENS1_16block_id_wrapperIjLb1EEEEE10hipError_tT1_PNSt15iterator_traitsISK_E10value_typeET2_T3_PNSL_ISQ_E10value_typeET4_T5_PSV_SW_PNS1_23onesweep_lookback_stateEbbT6_jjT7_P12ihipStream_tbENKUlT_T0_SK_SP_E_clIPxSE_SF_SF_EEDaS13_S14_SK_SP_EUlS13_E_NS1_11comp_targetILNS1_3genE0ELNS1_11target_archE4294967295ELNS1_3gpuE0ELNS1_3repE0EEENS1_47radix_sort_onesweep_sort_config_static_selectorELNS0_4arch9wavefront6targetE1EEEvSK_,@function
_ZN7rocprim17ROCPRIM_400000_NS6detail17trampoline_kernelINS0_14default_configENS1_35radix_sort_onesweep_config_selectorIxNS0_10empty_typeEEEZZNS1_29radix_sort_onesweep_iterationIS3_Lb0EN6thrust23THRUST_200600_302600_NS6detail15normal_iteratorINS9_10device_ptrIxEEEESE_PS5_SF_jNS0_19identity_decomposerENS1_16block_id_wrapperIjLb1EEEEE10hipError_tT1_PNSt15iterator_traitsISK_E10value_typeET2_T3_PNSL_ISQ_E10value_typeET4_T5_PSV_SW_PNS1_23onesweep_lookback_stateEbbT6_jjT7_P12ihipStream_tbENKUlT_T0_SK_SP_E_clIPxSE_SF_SF_EEDaS13_S14_SK_SP_EUlS13_E_NS1_11comp_targetILNS1_3genE0ELNS1_11target_archE4294967295ELNS1_3gpuE0ELNS1_3repE0EEENS1_47radix_sort_onesweep_sort_config_static_selectorELNS0_4arch9wavefront6targetE1EEEvSK_: ; @_ZN7rocprim17ROCPRIM_400000_NS6detail17trampoline_kernelINS0_14default_configENS1_35radix_sort_onesweep_config_selectorIxNS0_10empty_typeEEEZZNS1_29radix_sort_onesweep_iterationIS3_Lb0EN6thrust23THRUST_200600_302600_NS6detail15normal_iteratorINS9_10device_ptrIxEEEESE_PS5_SF_jNS0_19identity_decomposerENS1_16block_id_wrapperIjLb1EEEEE10hipError_tT1_PNSt15iterator_traitsISK_E10value_typeET2_T3_PNSL_ISQ_E10value_typeET4_T5_PSV_SW_PNS1_23onesweep_lookback_stateEbbT6_jjT7_P12ihipStream_tbENKUlT_T0_SK_SP_E_clIPxSE_SF_SF_EEDaS13_S14_SK_SP_EUlS13_E_NS1_11comp_targetILNS1_3genE0ELNS1_11target_archE4294967295ELNS1_3gpuE0ELNS1_3repE0EEENS1_47radix_sort_onesweep_sort_config_static_selectorELNS0_4arch9wavefront6targetE1EEEvSK_
; %bb.0:
	.section	.rodata,"a",@progbits
	.p2align	6, 0x0
	.amdhsa_kernel _ZN7rocprim17ROCPRIM_400000_NS6detail17trampoline_kernelINS0_14default_configENS1_35radix_sort_onesweep_config_selectorIxNS0_10empty_typeEEEZZNS1_29radix_sort_onesweep_iterationIS3_Lb0EN6thrust23THRUST_200600_302600_NS6detail15normal_iteratorINS9_10device_ptrIxEEEESE_PS5_SF_jNS0_19identity_decomposerENS1_16block_id_wrapperIjLb1EEEEE10hipError_tT1_PNSt15iterator_traitsISK_E10value_typeET2_T3_PNSL_ISQ_E10value_typeET4_T5_PSV_SW_PNS1_23onesweep_lookback_stateEbbT6_jjT7_P12ihipStream_tbENKUlT_T0_SK_SP_E_clIPxSE_SF_SF_EEDaS13_S14_SK_SP_EUlS13_E_NS1_11comp_targetILNS1_3genE0ELNS1_11target_archE4294967295ELNS1_3gpuE0ELNS1_3repE0EEENS1_47radix_sort_onesweep_sort_config_static_selectorELNS0_4arch9wavefront6targetE1EEEvSK_
		.amdhsa_group_segment_fixed_size 0
		.amdhsa_private_segment_fixed_size 0
		.amdhsa_kernarg_size 88
		.amdhsa_user_sgpr_count 2
		.amdhsa_user_sgpr_dispatch_ptr 0
		.amdhsa_user_sgpr_queue_ptr 0
		.amdhsa_user_sgpr_kernarg_segment_ptr 1
		.amdhsa_user_sgpr_dispatch_id 0
		.amdhsa_user_sgpr_kernarg_preload_length 0
		.amdhsa_user_sgpr_kernarg_preload_offset 0
		.amdhsa_user_sgpr_private_segment_size 0
		.amdhsa_uses_dynamic_stack 0
		.amdhsa_enable_private_segment 0
		.amdhsa_system_sgpr_workgroup_id_x 1
		.amdhsa_system_sgpr_workgroup_id_y 0
		.amdhsa_system_sgpr_workgroup_id_z 0
		.amdhsa_system_sgpr_workgroup_info 0
		.amdhsa_system_vgpr_workitem_id 0
		.amdhsa_next_free_vgpr 1
		.amdhsa_next_free_sgpr 0
		.amdhsa_accum_offset 4
		.amdhsa_reserve_vcc 0
		.amdhsa_float_round_mode_32 0
		.amdhsa_float_round_mode_16_64 0
		.amdhsa_float_denorm_mode_32 3
		.amdhsa_float_denorm_mode_16_64 3
		.amdhsa_dx10_clamp 1
		.amdhsa_ieee_mode 1
		.amdhsa_fp16_overflow 0
		.amdhsa_tg_split 0
		.amdhsa_exception_fp_ieee_invalid_op 0
		.amdhsa_exception_fp_denorm_src 0
		.amdhsa_exception_fp_ieee_div_zero 0
		.amdhsa_exception_fp_ieee_overflow 0
		.amdhsa_exception_fp_ieee_underflow 0
		.amdhsa_exception_fp_ieee_inexact 0
		.amdhsa_exception_int_div_zero 0
	.end_amdhsa_kernel
	.section	.text._ZN7rocprim17ROCPRIM_400000_NS6detail17trampoline_kernelINS0_14default_configENS1_35radix_sort_onesweep_config_selectorIxNS0_10empty_typeEEEZZNS1_29radix_sort_onesweep_iterationIS3_Lb0EN6thrust23THRUST_200600_302600_NS6detail15normal_iteratorINS9_10device_ptrIxEEEESE_PS5_SF_jNS0_19identity_decomposerENS1_16block_id_wrapperIjLb1EEEEE10hipError_tT1_PNSt15iterator_traitsISK_E10value_typeET2_T3_PNSL_ISQ_E10value_typeET4_T5_PSV_SW_PNS1_23onesweep_lookback_stateEbbT6_jjT7_P12ihipStream_tbENKUlT_T0_SK_SP_E_clIPxSE_SF_SF_EEDaS13_S14_SK_SP_EUlS13_E_NS1_11comp_targetILNS1_3genE0ELNS1_11target_archE4294967295ELNS1_3gpuE0ELNS1_3repE0EEENS1_47radix_sort_onesweep_sort_config_static_selectorELNS0_4arch9wavefront6targetE1EEEvSK_,"axG",@progbits,_ZN7rocprim17ROCPRIM_400000_NS6detail17trampoline_kernelINS0_14default_configENS1_35radix_sort_onesweep_config_selectorIxNS0_10empty_typeEEEZZNS1_29radix_sort_onesweep_iterationIS3_Lb0EN6thrust23THRUST_200600_302600_NS6detail15normal_iteratorINS9_10device_ptrIxEEEESE_PS5_SF_jNS0_19identity_decomposerENS1_16block_id_wrapperIjLb1EEEEE10hipError_tT1_PNSt15iterator_traitsISK_E10value_typeET2_T3_PNSL_ISQ_E10value_typeET4_T5_PSV_SW_PNS1_23onesweep_lookback_stateEbbT6_jjT7_P12ihipStream_tbENKUlT_T0_SK_SP_E_clIPxSE_SF_SF_EEDaS13_S14_SK_SP_EUlS13_E_NS1_11comp_targetILNS1_3genE0ELNS1_11target_archE4294967295ELNS1_3gpuE0ELNS1_3repE0EEENS1_47radix_sort_onesweep_sort_config_static_selectorELNS0_4arch9wavefront6targetE1EEEvSK_,comdat
.Lfunc_end1560:
	.size	_ZN7rocprim17ROCPRIM_400000_NS6detail17trampoline_kernelINS0_14default_configENS1_35radix_sort_onesweep_config_selectorIxNS0_10empty_typeEEEZZNS1_29radix_sort_onesweep_iterationIS3_Lb0EN6thrust23THRUST_200600_302600_NS6detail15normal_iteratorINS9_10device_ptrIxEEEESE_PS5_SF_jNS0_19identity_decomposerENS1_16block_id_wrapperIjLb1EEEEE10hipError_tT1_PNSt15iterator_traitsISK_E10value_typeET2_T3_PNSL_ISQ_E10value_typeET4_T5_PSV_SW_PNS1_23onesweep_lookback_stateEbbT6_jjT7_P12ihipStream_tbENKUlT_T0_SK_SP_E_clIPxSE_SF_SF_EEDaS13_S14_SK_SP_EUlS13_E_NS1_11comp_targetILNS1_3genE0ELNS1_11target_archE4294967295ELNS1_3gpuE0ELNS1_3repE0EEENS1_47radix_sort_onesweep_sort_config_static_selectorELNS0_4arch9wavefront6targetE1EEEvSK_, .Lfunc_end1560-_ZN7rocprim17ROCPRIM_400000_NS6detail17trampoline_kernelINS0_14default_configENS1_35radix_sort_onesweep_config_selectorIxNS0_10empty_typeEEEZZNS1_29radix_sort_onesweep_iterationIS3_Lb0EN6thrust23THRUST_200600_302600_NS6detail15normal_iteratorINS9_10device_ptrIxEEEESE_PS5_SF_jNS0_19identity_decomposerENS1_16block_id_wrapperIjLb1EEEEE10hipError_tT1_PNSt15iterator_traitsISK_E10value_typeET2_T3_PNSL_ISQ_E10value_typeET4_T5_PSV_SW_PNS1_23onesweep_lookback_stateEbbT6_jjT7_P12ihipStream_tbENKUlT_T0_SK_SP_E_clIPxSE_SF_SF_EEDaS13_S14_SK_SP_EUlS13_E_NS1_11comp_targetILNS1_3genE0ELNS1_11target_archE4294967295ELNS1_3gpuE0ELNS1_3repE0EEENS1_47radix_sort_onesweep_sort_config_static_selectorELNS0_4arch9wavefront6targetE1EEEvSK_
                                        ; -- End function
	.section	.AMDGPU.csdata,"",@progbits
; Kernel info:
; codeLenInByte = 0
; NumSgprs: 6
; NumVgprs: 0
; NumAgprs: 0
; TotalNumVgprs: 0
; ScratchSize: 0
; MemoryBound: 0
; FloatMode: 240
; IeeeMode: 1
; LDSByteSize: 0 bytes/workgroup (compile time only)
; SGPRBlocks: 0
; VGPRBlocks: 0
; NumSGPRsForWavesPerEU: 6
; NumVGPRsForWavesPerEU: 1
; AccumOffset: 4
; Occupancy: 8
; WaveLimiterHint : 0
; COMPUTE_PGM_RSRC2:SCRATCH_EN: 0
; COMPUTE_PGM_RSRC2:USER_SGPR: 2
; COMPUTE_PGM_RSRC2:TRAP_HANDLER: 0
; COMPUTE_PGM_RSRC2:TGID_X_EN: 1
; COMPUTE_PGM_RSRC2:TGID_Y_EN: 0
; COMPUTE_PGM_RSRC2:TGID_Z_EN: 0
; COMPUTE_PGM_RSRC2:TIDIG_COMP_CNT: 0
; COMPUTE_PGM_RSRC3_GFX90A:ACCUM_OFFSET: 0
; COMPUTE_PGM_RSRC3_GFX90A:TG_SPLIT: 0
	.section	.text._ZN7rocprim17ROCPRIM_400000_NS6detail17trampoline_kernelINS0_14default_configENS1_35radix_sort_onesweep_config_selectorIxNS0_10empty_typeEEEZZNS1_29radix_sort_onesweep_iterationIS3_Lb0EN6thrust23THRUST_200600_302600_NS6detail15normal_iteratorINS9_10device_ptrIxEEEESE_PS5_SF_jNS0_19identity_decomposerENS1_16block_id_wrapperIjLb1EEEEE10hipError_tT1_PNSt15iterator_traitsISK_E10value_typeET2_T3_PNSL_ISQ_E10value_typeET4_T5_PSV_SW_PNS1_23onesweep_lookback_stateEbbT6_jjT7_P12ihipStream_tbENKUlT_T0_SK_SP_E_clIPxSE_SF_SF_EEDaS13_S14_SK_SP_EUlS13_E_NS1_11comp_targetILNS1_3genE6ELNS1_11target_archE950ELNS1_3gpuE13ELNS1_3repE0EEENS1_47radix_sort_onesweep_sort_config_static_selectorELNS0_4arch9wavefront6targetE1EEEvSK_,"axG",@progbits,_ZN7rocprim17ROCPRIM_400000_NS6detail17trampoline_kernelINS0_14default_configENS1_35radix_sort_onesweep_config_selectorIxNS0_10empty_typeEEEZZNS1_29radix_sort_onesweep_iterationIS3_Lb0EN6thrust23THRUST_200600_302600_NS6detail15normal_iteratorINS9_10device_ptrIxEEEESE_PS5_SF_jNS0_19identity_decomposerENS1_16block_id_wrapperIjLb1EEEEE10hipError_tT1_PNSt15iterator_traitsISK_E10value_typeET2_T3_PNSL_ISQ_E10value_typeET4_T5_PSV_SW_PNS1_23onesweep_lookback_stateEbbT6_jjT7_P12ihipStream_tbENKUlT_T0_SK_SP_E_clIPxSE_SF_SF_EEDaS13_S14_SK_SP_EUlS13_E_NS1_11comp_targetILNS1_3genE6ELNS1_11target_archE950ELNS1_3gpuE13ELNS1_3repE0EEENS1_47radix_sort_onesweep_sort_config_static_selectorELNS0_4arch9wavefront6targetE1EEEvSK_,comdat
	.protected	_ZN7rocprim17ROCPRIM_400000_NS6detail17trampoline_kernelINS0_14default_configENS1_35radix_sort_onesweep_config_selectorIxNS0_10empty_typeEEEZZNS1_29radix_sort_onesweep_iterationIS3_Lb0EN6thrust23THRUST_200600_302600_NS6detail15normal_iteratorINS9_10device_ptrIxEEEESE_PS5_SF_jNS0_19identity_decomposerENS1_16block_id_wrapperIjLb1EEEEE10hipError_tT1_PNSt15iterator_traitsISK_E10value_typeET2_T3_PNSL_ISQ_E10value_typeET4_T5_PSV_SW_PNS1_23onesweep_lookback_stateEbbT6_jjT7_P12ihipStream_tbENKUlT_T0_SK_SP_E_clIPxSE_SF_SF_EEDaS13_S14_SK_SP_EUlS13_E_NS1_11comp_targetILNS1_3genE6ELNS1_11target_archE950ELNS1_3gpuE13ELNS1_3repE0EEENS1_47radix_sort_onesweep_sort_config_static_selectorELNS0_4arch9wavefront6targetE1EEEvSK_ ; -- Begin function _ZN7rocprim17ROCPRIM_400000_NS6detail17trampoline_kernelINS0_14default_configENS1_35radix_sort_onesweep_config_selectorIxNS0_10empty_typeEEEZZNS1_29radix_sort_onesweep_iterationIS3_Lb0EN6thrust23THRUST_200600_302600_NS6detail15normal_iteratorINS9_10device_ptrIxEEEESE_PS5_SF_jNS0_19identity_decomposerENS1_16block_id_wrapperIjLb1EEEEE10hipError_tT1_PNSt15iterator_traitsISK_E10value_typeET2_T3_PNSL_ISQ_E10value_typeET4_T5_PSV_SW_PNS1_23onesweep_lookback_stateEbbT6_jjT7_P12ihipStream_tbENKUlT_T0_SK_SP_E_clIPxSE_SF_SF_EEDaS13_S14_SK_SP_EUlS13_E_NS1_11comp_targetILNS1_3genE6ELNS1_11target_archE950ELNS1_3gpuE13ELNS1_3repE0EEENS1_47radix_sort_onesweep_sort_config_static_selectorELNS0_4arch9wavefront6targetE1EEEvSK_
	.globl	_ZN7rocprim17ROCPRIM_400000_NS6detail17trampoline_kernelINS0_14default_configENS1_35radix_sort_onesweep_config_selectorIxNS0_10empty_typeEEEZZNS1_29radix_sort_onesweep_iterationIS3_Lb0EN6thrust23THRUST_200600_302600_NS6detail15normal_iteratorINS9_10device_ptrIxEEEESE_PS5_SF_jNS0_19identity_decomposerENS1_16block_id_wrapperIjLb1EEEEE10hipError_tT1_PNSt15iterator_traitsISK_E10value_typeET2_T3_PNSL_ISQ_E10value_typeET4_T5_PSV_SW_PNS1_23onesweep_lookback_stateEbbT6_jjT7_P12ihipStream_tbENKUlT_T0_SK_SP_E_clIPxSE_SF_SF_EEDaS13_S14_SK_SP_EUlS13_E_NS1_11comp_targetILNS1_3genE6ELNS1_11target_archE950ELNS1_3gpuE13ELNS1_3repE0EEENS1_47radix_sort_onesweep_sort_config_static_selectorELNS0_4arch9wavefront6targetE1EEEvSK_
	.p2align	8
	.type	_ZN7rocprim17ROCPRIM_400000_NS6detail17trampoline_kernelINS0_14default_configENS1_35radix_sort_onesweep_config_selectorIxNS0_10empty_typeEEEZZNS1_29radix_sort_onesweep_iterationIS3_Lb0EN6thrust23THRUST_200600_302600_NS6detail15normal_iteratorINS9_10device_ptrIxEEEESE_PS5_SF_jNS0_19identity_decomposerENS1_16block_id_wrapperIjLb1EEEEE10hipError_tT1_PNSt15iterator_traitsISK_E10value_typeET2_T3_PNSL_ISQ_E10value_typeET4_T5_PSV_SW_PNS1_23onesweep_lookback_stateEbbT6_jjT7_P12ihipStream_tbENKUlT_T0_SK_SP_E_clIPxSE_SF_SF_EEDaS13_S14_SK_SP_EUlS13_E_NS1_11comp_targetILNS1_3genE6ELNS1_11target_archE950ELNS1_3gpuE13ELNS1_3repE0EEENS1_47radix_sort_onesweep_sort_config_static_selectorELNS0_4arch9wavefront6targetE1EEEvSK_,@function
_ZN7rocprim17ROCPRIM_400000_NS6detail17trampoline_kernelINS0_14default_configENS1_35radix_sort_onesweep_config_selectorIxNS0_10empty_typeEEEZZNS1_29radix_sort_onesweep_iterationIS3_Lb0EN6thrust23THRUST_200600_302600_NS6detail15normal_iteratorINS9_10device_ptrIxEEEESE_PS5_SF_jNS0_19identity_decomposerENS1_16block_id_wrapperIjLb1EEEEE10hipError_tT1_PNSt15iterator_traitsISK_E10value_typeET2_T3_PNSL_ISQ_E10value_typeET4_T5_PSV_SW_PNS1_23onesweep_lookback_stateEbbT6_jjT7_P12ihipStream_tbENKUlT_T0_SK_SP_E_clIPxSE_SF_SF_EEDaS13_S14_SK_SP_EUlS13_E_NS1_11comp_targetILNS1_3genE6ELNS1_11target_archE950ELNS1_3gpuE13ELNS1_3repE0EEENS1_47radix_sort_onesweep_sort_config_static_selectorELNS0_4arch9wavefront6targetE1EEEvSK_: ; @_ZN7rocprim17ROCPRIM_400000_NS6detail17trampoline_kernelINS0_14default_configENS1_35radix_sort_onesweep_config_selectorIxNS0_10empty_typeEEEZZNS1_29radix_sort_onesweep_iterationIS3_Lb0EN6thrust23THRUST_200600_302600_NS6detail15normal_iteratorINS9_10device_ptrIxEEEESE_PS5_SF_jNS0_19identity_decomposerENS1_16block_id_wrapperIjLb1EEEEE10hipError_tT1_PNSt15iterator_traitsISK_E10value_typeET2_T3_PNSL_ISQ_E10value_typeET4_T5_PSV_SW_PNS1_23onesweep_lookback_stateEbbT6_jjT7_P12ihipStream_tbENKUlT_T0_SK_SP_E_clIPxSE_SF_SF_EEDaS13_S14_SK_SP_EUlS13_E_NS1_11comp_targetILNS1_3genE6ELNS1_11target_archE950ELNS1_3gpuE13ELNS1_3repE0EEENS1_47radix_sort_onesweep_sort_config_static_selectorELNS0_4arch9wavefront6targetE1EEEvSK_
; %bb.0:
	.section	.rodata,"a",@progbits
	.p2align	6, 0x0
	.amdhsa_kernel _ZN7rocprim17ROCPRIM_400000_NS6detail17trampoline_kernelINS0_14default_configENS1_35radix_sort_onesweep_config_selectorIxNS0_10empty_typeEEEZZNS1_29radix_sort_onesweep_iterationIS3_Lb0EN6thrust23THRUST_200600_302600_NS6detail15normal_iteratorINS9_10device_ptrIxEEEESE_PS5_SF_jNS0_19identity_decomposerENS1_16block_id_wrapperIjLb1EEEEE10hipError_tT1_PNSt15iterator_traitsISK_E10value_typeET2_T3_PNSL_ISQ_E10value_typeET4_T5_PSV_SW_PNS1_23onesweep_lookback_stateEbbT6_jjT7_P12ihipStream_tbENKUlT_T0_SK_SP_E_clIPxSE_SF_SF_EEDaS13_S14_SK_SP_EUlS13_E_NS1_11comp_targetILNS1_3genE6ELNS1_11target_archE950ELNS1_3gpuE13ELNS1_3repE0EEENS1_47radix_sort_onesweep_sort_config_static_selectorELNS0_4arch9wavefront6targetE1EEEvSK_
		.amdhsa_group_segment_fixed_size 0
		.amdhsa_private_segment_fixed_size 0
		.amdhsa_kernarg_size 88
		.amdhsa_user_sgpr_count 2
		.amdhsa_user_sgpr_dispatch_ptr 0
		.amdhsa_user_sgpr_queue_ptr 0
		.amdhsa_user_sgpr_kernarg_segment_ptr 1
		.amdhsa_user_sgpr_dispatch_id 0
		.amdhsa_user_sgpr_kernarg_preload_length 0
		.amdhsa_user_sgpr_kernarg_preload_offset 0
		.amdhsa_user_sgpr_private_segment_size 0
		.amdhsa_uses_dynamic_stack 0
		.amdhsa_enable_private_segment 0
		.amdhsa_system_sgpr_workgroup_id_x 1
		.amdhsa_system_sgpr_workgroup_id_y 0
		.amdhsa_system_sgpr_workgroup_id_z 0
		.amdhsa_system_sgpr_workgroup_info 0
		.amdhsa_system_vgpr_workitem_id 0
		.amdhsa_next_free_vgpr 1
		.amdhsa_next_free_sgpr 0
		.amdhsa_accum_offset 4
		.amdhsa_reserve_vcc 0
		.amdhsa_float_round_mode_32 0
		.amdhsa_float_round_mode_16_64 0
		.amdhsa_float_denorm_mode_32 3
		.amdhsa_float_denorm_mode_16_64 3
		.amdhsa_dx10_clamp 1
		.amdhsa_ieee_mode 1
		.amdhsa_fp16_overflow 0
		.amdhsa_tg_split 0
		.amdhsa_exception_fp_ieee_invalid_op 0
		.amdhsa_exception_fp_denorm_src 0
		.amdhsa_exception_fp_ieee_div_zero 0
		.amdhsa_exception_fp_ieee_overflow 0
		.amdhsa_exception_fp_ieee_underflow 0
		.amdhsa_exception_fp_ieee_inexact 0
		.amdhsa_exception_int_div_zero 0
	.end_amdhsa_kernel
	.section	.text._ZN7rocprim17ROCPRIM_400000_NS6detail17trampoline_kernelINS0_14default_configENS1_35radix_sort_onesweep_config_selectorIxNS0_10empty_typeEEEZZNS1_29radix_sort_onesweep_iterationIS3_Lb0EN6thrust23THRUST_200600_302600_NS6detail15normal_iteratorINS9_10device_ptrIxEEEESE_PS5_SF_jNS0_19identity_decomposerENS1_16block_id_wrapperIjLb1EEEEE10hipError_tT1_PNSt15iterator_traitsISK_E10value_typeET2_T3_PNSL_ISQ_E10value_typeET4_T5_PSV_SW_PNS1_23onesweep_lookback_stateEbbT6_jjT7_P12ihipStream_tbENKUlT_T0_SK_SP_E_clIPxSE_SF_SF_EEDaS13_S14_SK_SP_EUlS13_E_NS1_11comp_targetILNS1_3genE6ELNS1_11target_archE950ELNS1_3gpuE13ELNS1_3repE0EEENS1_47radix_sort_onesweep_sort_config_static_selectorELNS0_4arch9wavefront6targetE1EEEvSK_,"axG",@progbits,_ZN7rocprim17ROCPRIM_400000_NS6detail17trampoline_kernelINS0_14default_configENS1_35radix_sort_onesweep_config_selectorIxNS0_10empty_typeEEEZZNS1_29radix_sort_onesweep_iterationIS3_Lb0EN6thrust23THRUST_200600_302600_NS6detail15normal_iteratorINS9_10device_ptrIxEEEESE_PS5_SF_jNS0_19identity_decomposerENS1_16block_id_wrapperIjLb1EEEEE10hipError_tT1_PNSt15iterator_traitsISK_E10value_typeET2_T3_PNSL_ISQ_E10value_typeET4_T5_PSV_SW_PNS1_23onesweep_lookback_stateEbbT6_jjT7_P12ihipStream_tbENKUlT_T0_SK_SP_E_clIPxSE_SF_SF_EEDaS13_S14_SK_SP_EUlS13_E_NS1_11comp_targetILNS1_3genE6ELNS1_11target_archE950ELNS1_3gpuE13ELNS1_3repE0EEENS1_47radix_sort_onesweep_sort_config_static_selectorELNS0_4arch9wavefront6targetE1EEEvSK_,comdat
.Lfunc_end1561:
	.size	_ZN7rocprim17ROCPRIM_400000_NS6detail17trampoline_kernelINS0_14default_configENS1_35radix_sort_onesweep_config_selectorIxNS0_10empty_typeEEEZZNS1_29radix_sort_onesweep_iterationIS3_Lb0EN6thrust23THRUST_200600_302600_NS6detail15normal_iteratorINS9_10device_ptrIxEEEESE_PS5_SF_jNS0_19identity_decomposerENS1_16block_id_wrapperIjLb1EEEEE10hipError_tT1_PNSt15iterator_traitsISK_E10value_typeET2_T3_PNSL_ISQ_E10value_typeET4_T5_PSV_SW_PNS1_23onesweep_lookback_stateEbbT6_jjT7_P12ihipStream_tbENKUlT_T0_SK_SP_E_clIPxSE_SF_SF_EEDaS13_S14_SK_SP_EUlS13_E_NS1_11comp_targetILNS1_3genE6ELNS1_11target_archE950ELNS1_3gpuE13ELNS1_3repE0EEENS1_47radix_sort_onesweep_sort_config_static_selectorELNS0_4arch9wavefront6targetE1EEEvSK_, .Lfunc_end1561-_ZN7rocprim17ROCPRIM_400000_NS6detail17trampoline_kernelINS0_14default_configENS1_35radix_sort_onesweep_config_selectorIxNS0_10empty_typeEEEZZNS1_29radix_sort_onesweep_iterationIS3_Lb0EN6thrust23THRUST_200600_302600_NS6detail15normal_iteratorINS9_10device_ptrIxEEEESE_PS5_SF_jNS0_19identity_decomposerENS1_16block_id_wrapperIjLb1EEEEE10hipError_tT1_PNSt15iterator_traitsISK_E10value_typeET2_T3_PNSL_ISQ_E10value_typeET4_T5_PSV_SW_PNS1_23onesweep_lookback_stateEbbT6_jjT7_P12ihipStream_tbENKUlT_T0_SK_SP_E_clIPxSE_SF_SF_EEDaS13_S14_SK_SP_EUlS13_E_NS1_11comp_targetILNS1_3genE6ELNS1_11target_archE950ELNS1_3gpuE13ELNS1_3repE0EEENS1_47radix_sort_onesweep_sort_config_static_selectorELNS0_4arch9wavefront6targetE1EEEvSK_
                                        ; -- End function
	.section	.AMDGPU.csdata,"",@progbits
; Kernel info:
; codeLenInByte = 0
; NumSgprs: 6
; NumVgprs: 0
; NumAgprs: 0
; TotalNumVgprs: 0
; ScratchSize: 0
; MemoryBound: 0
; FloatMode: 240
; IeeeMode: 1
; LDSByteSize: 0 bytes/workgroup (compile time only)
; SGPRBlocks: 0
; VGPRBlocks: 0
; NumSGPRsForWavesPerEU: 6
; NumVGPRsForWavesPerEU: 1
; AccumOffset: 4
; Occupancy: 8
; WaveLimiterHint : 0
; COMPUTE_PGM_RSRC2:SCRATCH_EN: 0
; COMPUTE_PGM_RSRC2:USER_SGPR: 2
; COMPUTE_PGM_RSRC2:TRAP_HANDLER: 0
; COMPUTE_PGM_RSRC2:TGID_X_EN: 1
; COMPUTE_PGM_RSRC2:TGID_Y_EN: 0
; COMPUTE_PGM_RSRC2:TGID_Z_EN: 0
; COMPUTE_PGM_RSRC2:TIDIG_COMP_CNT: 0
; COMPUTE_PGM_RSRC3_GFX90A:ACCUM_OFFSET: 0
; COMPUTE_PGM_RSRC3_GFX90A:TG_SPLIT: 0
	.section	.text._ZN7rocprim17ROCPRIM_400000_NS6detail17trampoline_kernelINS0_14default_configENS1_35radix_sort_onesweep_config_selectorIxNS0_10empty_typeEEEZZNS1_29radix_sort_onesweep_iterationIS3_Lb0EN6thrust23THRUST_200600_302600_NS6detail15normal_iteratorINS9_10device_ptrIxEEEESE_PS5_SF_jNS0_19identity_decomposerENS1_16block_id_wrapperIjLb1EEEEE10hipError_tT1_PNSt15iterator_traitsISK_E10value_typeET2_T3_PNSL_ISQ_E10value_typeET4_T5_PSV_SW_PNS1_23onesweep_lookback_stateEbbT6_jjT7_P12ihipStream_tbENKUlT_T0_SK_SP_E_clIPxSE_SF_SF_EEDaS13_S14_SK_SP_EUlS13_E_NS1_11comp_targetILNS1_3genE5ELNS1_11target_archE942ELNS1_3gpuE9ELNS1_3repE0EEENS1_47radix_sort_onesweep_sort_config_static_selectorELNS0_4arch9wavefront6targetE1EEEvSK_,"axG",@progbits,_ZN7rocprim17ROCPRIM_400000_NS6detail17trampoline_kernelINS0_14default_configENS1_35radix_sort_onesweep_config_selectorIxNS0_10empty_typeEEEZZNS1_29radix_sort_onesweep_iterationIS3_Lb0EN6thrust23THRUST_200600_302600_NS6detail15normal_iteratorINS9_10device_ptrIxEEEESE_PS5_SF_jNS0_19identity_decomposerENS1_16block_id_wrapperIjLb1EEEEE10hipError_tT1_PNSt15iterator_traitsISK_E10value_typeET2_T3_PNSL_ISQ_E10value_typeET4_T5_PSV_SW_PNS1_23onesweep_lookback_stateEbbT6_jjT7_P12ihipStream_tbENKUlT_T0_SK_SP_E_clIPxSE_SF_SF_EEDaS13_S14_SK_SP_EUlS13_E_NS1_11comp_targetILNS1_3genE5ELNS1_11target_archE942ELNS1_3gpuE9ELNS1_3repE0EEENS1_47radix_sort_onesweep_sort_config_static_selectorELNS0_4arch9wavefront6targetE1EEEvSK_,comdat
	.protected	_ZN7rocprim17ROCPRIM_400000_NS6detail17trampoline_kernelINS0_14default_configENS1_35radix_sort_onesweep_config_selectorIxNS0_10empty_typeEEEZZNS1_29radix_sort_onesweep_iterationIS3_Lb0EN6thrust23THRUST_200600_302600_NS6detail15normal_iteratorINS9_10device_ptrIxEEEESE_PS5_SF_jNS0_19identity_decomposerENS1_16block_id_wrapperIjLb1EEEEE10hipError_tT1_PNSt15iterator_traitsISK_E10value_typeET2_T3_PNSL_ISQ_E10value_typeET4_T5_PSV_SW_PNS1_23onesweep_lookback_stateEbbT6_jjT7_P12ihipStream_tbENKUlT_T0_SK_SP_E_clIPxSE_SF_SF_EEDaS13_S14_SK_SP_EUlS13_E_NS1_11comp_targetILNS1_3genE5ELNS1_11target_archE942ELNS1_3gpuE9ELNS1_3repE0EEENS1_47radix_sort_onesweep_sort_config_static_selectorELNS0_4arch9wavefront6targetE1EEEvSK_ ; -- Begin function _ZN7rocprim17ROCPRIM_400000_NS6detail17trampoline_kernelINS0_14default_configENS1_35radix_sort_onesweep_config_selectorIxNS0_10empty_typeEEEZZNS1_29radix_sort_onesweep_iterationIS3_Lb0EN6thrust23THRUST_200600_302600_NS6detail15normal_iteratorINS9_10device_ptrIxEEEESE_PS5_SF_jNS0_19identity_decomposerENS1_16block_id_wrapperIjLb1EEEEE10hipError_tT1_PNSt15iterator_traitsISK_E10value_typeET2_T3_PNSL_ISQ_E10value_typeET4_T5_PSV_SW_PNS1_23onesweep_lookback_stateEbbT6_jjT7_P12ihipStream_tbENKUlT_T0_SK_SP_E_clIPxSE_SF_SF_EEDaS13_S14_SK_SP_EUlS13_E_NS1_11comp_targetILNS1_3genE5ELNS1_11target_archE942ELNS1_3gpuE9ELNS1_3repE0EEENS1_47radix_sort_onesweep_sort_config_static_selectorELNS0_4arch9wavefront6targetE1EEEvSK_
	.globl	_ZN7rocprim17ROCPRIM_400000_NS6detail17trampoline_kernelINS0_14default_configENS1_35radix_sort_onesweep_config_selectorIxNS0_10empty_typeEEEZZNS1_29radix_sort_onesweep_iterationIS3_Lb0EN6thrust23THRUST_200600_302600_NS6detail15normal_iteratorINS9_10device_ptrIxEEEESE_PS5_SF_jNS0_19identity_decomposerENS1_16block_id_wrapperIjLb1EEEEE10hipError_tT1_PNSt15iterator_traitsISK_E10value_typeET2_T3_PNSL_ISQ_E10value_typeET4_T5_PSV_SW_PNS1_23onesweep_lookback_stateEbbT6_jjT7_P12ihipStream_tbENKUlT_T0_SK_SP_E_clIPxSE_SF_SF_EEDaS13_S14_SK_SP_EUlS13_E_NS1_11comp_targetILNS1_3genE5ELNS1_11target_archE942ELNS1_3gpuE9ELNS1_3repE0EEENS1_47radix_sort_onesweep_sort_config_static_selectorELNS0_4arch9wavefront6targetE1EEEvSK_
	.p2align	8
	.type	_ZN7rocprim17ROCPRIM_400000_NS6detail17trampoline_kernelINS0_14default_configENS1_35radix_sort_onesweep_config_selectorIxNS0_10empty_typeEEEZZNS1_29radix_sort_onesweep_iterationIS3_Lb0EN6thrust23THRUST_200600_302600_NS6detail15normal_iteratorINS9_10device_ptrIxEEEESE_PS5_SF_jNS0_19identity_decomposerENS1_16block_id_wrapperIjLb1EEEEE10hipError_tT1_PNSt15iterator_traitsISK_E10value_typeET2_T3_PNSL_ISQ_E10value_typeET4_T5_PSV_SW_PNS1_23onesweep_lookback_stateEbbT6_jjT7_P12ihipStream_tbENKUlT_T0_SK_SP_E_clIPxSE_SF_SF_EEDaS13_S14_SK_SP_EUlS13_E_NS1_11comp_targetILNS1_3genE5ELNS1_11target_archE942ELNS1_3gpuE9ELNS1_3repE0EEENS1_47radix_sort_onesweep_sort_config_static_selectorELNS0_4arch9wavefront6targetE1EEEvSK_,@function
_ZN7rocprim17ROCPRIM_400000_NS6detail17trampoline_kernelINS0_14default_configENS1_35radix_sort_onesweep_config_selectorIxNS0_10empty_typeEEEZZNS1_29radix_sort_onesweep_iterationIS3_Lb0EN6thrust23THRUST_200600_302600_NS6detail15normal_iteratorINS9_10device_ptrIxEEEESE_PS5_SF_jNS0_19identity_decomposerENS1_16block_id_wrapperIjLb1EEEEE10hipError_tT1_PNSt15iterator_traitsISK_E10value_typeET2_T3_PNSL_ISQ_E10value_typeET4_T5_PSV_SW_PNS1_23onesweep_lookback_stateEbbT6_jjT7_P12ihipStream_tbENKUlT_T0_SK_SP_E_clIPxSE_SF_SF_EEDaS13_S14_SK_SP_EUlS13_E_NS1_11comp_targetILNS1_3genE5ELNS1_11target_archE942ELNS1_3gpuE9ELNS1_3repE0EEENS1_47radix_sort_onesweep_sort_config_static_selectorELNS0_4arch9wavefront6targetE1EEEvSK_: ; @_ZN7rocprim17ROCPRIM_400000_NS6detail17trampoline_kernelINS0_14default_configENS1_35radix_sort_onesweep_config_selectorIxNS0_10empty_typeEEEZZNS1_29radix_sort_onesweep_iterationIS3_Lb0EN6thrust23THRUST_200600_302600_NS6detail15normal_iteratorINS9_10device_ptrIxEEEESE_PS5_SF_jNS0_19identity_decomposerENS1_16block_id_wrapperIjLb1EEEEE10hipError_tT1_PNSt15iterator_traitsISK_E10value_typeET2_T3_PNSL_ISQ_E10value_typeET4_T5_PSV_SW_PNS1_23onesweep_lookback_stateEbbT6_jjT7_P12ihipStream_tbENKUlT_T0_SK_SP_E_clIPxSE_SF_SF_EEDaS13_S14_SK_SP_EUlS13_E_NS1_11comp_targetILNS1_3genE5ELNS1_11target_archE942ELNS1_3gpuE9ELNS1_3repE0EEENS1_47radix_sort_onesweep_sort_config_static_selectorELNS0_4arch9wavefront6targetE1EEEvSK_
; %bb.0:
	s_load_dwordx4 s[20:23], s[0:1], 0x28
	s_load_dwordx2 s[18:19], s[0:1], 0x38
	s_load_dwordx4 s[24:27], s[0:1], 0x44
	v_and_b32_e32 v2, 0x3ff, v0
	v_cmp_eq_u32_e64 s[4:5], 0, v2
	s_and_saveexec_b64 s[6:7], s[4:5]
	s_cbranch_execz .LBB1562_4
; %bb.1:
	s_mov_b64 s[10:11], exec
	v_mbcnt_lo_u32_b32 v1, s10, 0
	v_mbcnt_hi_u32_b32 v1, s11, v1
	v_cmp_eq_u32_e32 vcc, 0, v1
                                        ; implicit-def: $vgpr3
	s_and_saveexec_b64 s[8:9], vcc
	s_cbranch_execz .LBB1562_3
; %bb.2:
	s_load_dwordx2 s[12:13], s[0:1], 0x50
	s_bcnt1_i32_b64 s3, s[10:11]
	v_mov_b32_e32 v3, 0
	v_mov_b32_e32 v4, s3
	s_waitcnt lgkmcnt(0)
	global_atomic_add v3, v3, v4, s[12:13] sc0
.LBB1562_3:
	s_or_b64 exec, exec, s[8:9]
	s_waitcnt vmcnt(0)
	v_readfirstlane_b32 s3, v3
	v_mov_b32_e32 v3, 0
	s_nop 0
	v_add_u32_e32 v1, s3, v1
	ds_write_b32 v3, v1 offset:10272
.LBB1562_4:
	s_or_b64 exec, exec, s[6:7]
	v_mov_b32_e32 v5, 0
	s_load_dwordx4 s[28:31], s[0:1], 0x0
	s_load_dword s3, s[0:1], 0x20
	s_waitcnt lgkmcnt(0)
	s_barrier
	ds_read_b32 v1, v5 offset:10272
	s_waitcnt lgkmcnt(0)
	s_barrier
	v_readfirstlane_b32 s27, v1
	v_cmp_le_u32_e32 vcc, s26, v1
	s_mul_i32 s34, s27, 0x1800
	v_mbcnt_lo_u32_b32 v1, -1, 0
	s_cbranch_vccz .LBB1562_103
; %bb.5:
	s_mul_i32 s6, s26, 0xffffe800
	s_mov_b32 s35, 0
	s_add_i32 s3, s6, s3
	s_lshl_b64 s[6:7], s[34:35], 3
	v_mbcnt_hi_u32_b32 v3, -1, v1
	s_add_u32 s8, s28, s6
	v_and_b32_e32 v8, 63, v3
	v_and_b32_e32 v32, 0x3c0, v2
	s_addc_u32 s9, s29, s7
	s_mov_b32 s6, -1
	v_mul_u32_u24_e32 v9, 12, v32
	v_lshlrev_b32_e32 v4, 3, v8
	s_brev_b32 s7, -2
	v_lshl_add_u64 v[6:7], s[8:9], 0, v[4:5]
	v_lshlrev_b32_e32 v4, 3, v9
	v_or_b32_e32 v26, v8, v9
	v_lshl_add_u64 v[28:29], v[6:7], 0, v[4:5]
	v_cmp_gt_u32_e32 vcc, s3, v26
	v_mov_b64_e32 v[4:5], s[6:7]
	s_and_saveexec_b64 s[8:9], vcc
	s_cbranch_execz .LBB1562_7
; %bb.6:
	global_load_dwordx2 v[4:5], v[28:29], off
.LBB1562_7:
	s_or_b64 exec, exec, s[8:9]
	v_or_b32_e32 v6, 64, v26
	v_cmp_gt_u32_e32 vcc, s3, v6
	v_mov_b64_e32 v[6:7], s[6:7]
	s_and_saveexec_b64 s[6:7], vcc
	s_cbranch_execz .LBB1562_9
; %bb.8:
	global_load_dwordx2 v[6:7], v[28:29], off offset:512
.LBB1562_9:
	s_or_b64 exec, exec, s[6:7]
	s_mov_b32 s6, -1
	v_or_b32_e32 v8, 0x80, v26
	s_brev_b32 s7, -2
	v_cmp_gt_u32_e32 vcc, s3, v8
	v_mov_b64_e32 v[8:9], s[6:7]
	s_and_saveexec_b64 s[8:9], vcc
	s_cbranch_execz .LBB1562_11
; %bb.10:
	global_load_dwordx2 v[8:9], v[28:29], off offset:1024
.LBB1562_11:
	s_or_b64 exec, exec, s[8:9]
	v_or_b32_e32 v10, 0xc0, v26
	v_cmp_gt_u32_e32 vcc, s3, v10
	v_mov_b64_e32 v[10:11], s[6:7]
	s_and_saveexec_b64 s[6:7], vcc
	s_cbranch_execz .LBB1562_13
; %bb.12:
	global_load_dwordx2 v[10:11], v[28:29], off offset:1536
.LBB1562_13:
	s_or_b64 exec, exec, s[6:7]
	s_mov_b32 s6, -1
	v_add_u32_e32 v12, 0x100, v26
	s_brev_b32 s7, -2
	v_cmp_gt_u32_e32 vcc, s3, v12
	v_mov_b64_e32 v[12:13], s[6:7]
	s_and_saveexec_b64 s[8:9], vcc
	s_cbranch_execz .LBB1562_15
; %bb.14:
	global_load_dwordx2 v[12:13], v[28:29], off offset:2048
.LBB1562_15:
	s_or_b64 exec, exec, s[8:9]
	v_add_u32_e32 v14, 0x140, v26
	v_cmp_gt_u32_e32 vcc, s3, v14
	v_mov_b64_e32 v[14:15], s[6:7]
	s_and_saveexec_b64 s[6:7], vcc
	s_cbranch_execz .LBB1562_17
; %bb.16:
	global_load_dwordx2 v[14:15], v[28:29], off offset:2560
.LBB1562_17:
	s_or_b64 exec, exec, s[6:7]
	s_mov_b32 s6, -1
	v_add_u32_e32 v16, 0x180, v26
	s_brev_b32 s7, -2
	v_cmp_gt_u32_e32 vcc, s3, v16
	v_mov_b64_e32 v[16:17], s[6:7]
	s_and_saveexec_b64 s[8:9], vcc
	s_cbranch_execz .LBB1562_19
; %bb.18:
	global_load_dwordx2 v[16:17], v[28:29], off offset:3072
.LBB1562_19:
	s_or_b64 exec, exec, s[8:9]
	v_add_u32_e32 v18, 0x1c0, v26
	v_cmp_gt_u32_e32 vcc, s3, v18
	v_mov_b64_e32 v[18:19], s[6:7]
	s_and_saveexec_b64 s[6:7], vcc
	s_cbranch_execz .LBB1562_21
; %bb.20:
	global_load_dwordx2 v[18:19], v[28:29], off offset:3584
.LBB1562_21:
	s_or_b64 exec, exec, s[6:7]
	s_mov_b32 s6, -1
	v_add_u32_e32 v20, 0x200, v26
	s_brev_b32 s7, -2
	v_cmp_gt_u32_e32 vcc, s3, v20
	v_mov_b64_e32 v[20:21], s[6:7]
	s_and_saveexec_b64 s[8:9], vcc
	s_cbranch_execz .LBB1562_23
; %bb.22:
	v_add_co_u32_e32 v20, vcc, 0x1000, v28
	s_nop 1
	v_addc_co_u32_e32 v21, vcc, 0, v29, vcc
	global_load_dwordx2 v[20:21], v[20:21], off
.LBB1562_23:
	s_or_b64 exec, exec, s[8:9]
	v_add_u32_e32 v22, 0x240, v26
	v_cmp_gt_u32_e32 vcc, s3, v22
	v_mov_b64_e32 v[22:23], s[6:7]
	s_and_saveexec_b64 s[6:7], vcc
	s_cbranch_execz .LBB1562_25
; %bb.24:
	v_add_co_u32_e32 v22, vcc, 0x1000, v28
	s_nop 1
	v_addc_co_u32_e32 v23, vcc, 0, v29, vcc
	global_load_dwordx2 v[22:23], v[22:23], off offset:512
.LBB1562_25:
	s_or_b64 exec, exec, s[6:7]
	s_mov_b32 s6, -1
	v_add_u32_e32 v24, 0x280, v26
	s_brev_b32 s7, -2
	v_cmp_gt_u32_e32 vcc, s3, v24
	v_mov_b64_e32 v[24:25], s[6:7]
	s_and_saveexec_b64 s[8:9], vcc
	s_cbranch_execz .LBB1562_27
; %bb.26:
	v_add_co_u32_e32 v24, vcc, 0x1000, v28
	s_nop 1
	v_addc_co_u32_e32 v25, vcc, 0, v29, vcc
	global_load_dwordx2 v[24:25], v[24:25], off offset:1024
.LBB1562_27:
	s_or_b64 exec, exec, s[8:9]
	v_add_u32_e32 v26, 0x2c0, v26
	v_cmp_gt_u32_e32 vcc, s3, v26
	v_mov_b64_e32 v[26:27], s[6:7]
	s_and_saveexec_b64 s[6:7], vcc
	s_cbranch_execz .LBB1562_29
; %bb.28:
	v_add_co_u32_e32 v26, vcc, 0x1000, v28
	s_nop 1
	v_addc_co_u32_e32 v27, vcc, 0, v29, vcc
	global_load_dwordx2 v[26:27], v[26:27], off offset:1536
.LBB1562_29:
	s_or_b64 exec, exec, s[6:7]
	s_load_dword s6, s[0:1], 0x64
	s_load_dword s26, s[0:1], 0x58
	s_add_u32 s7, s0, 0x58
	s_addc_u32 s8, s1, 0
	v_mov_b32_e32 v29, 0
	s_waitcnt lgkmcnt(0)
	s_lshr_b32 s9, s6, 16
	s_cmp_lt_u32 s2, s26
	s_cselect_b32 s6, 12, 18
	s_add_u32 s6, s7, s6
	s_addc_u32 s7, s8, 0
	global_load_ushort v46, v29, s[6:7]
	s_waitcnt vmcnt(1)
	v_xor_b32_e32 v5, 0x80000000, v5
	v_mul_u32_u24_e32 v30, 5, v2
	s_lshl_b32 s6, -1, s25
	v_lshlrev_b32_e32 v33, 2, v30
	v_lshrrev_b64 v[30:31], s24, v[4:5]
	s_not_b32 s33, s6
	v_bfe_u32 v28, v0, 10, 10
	v_bfe_u32 v35, v0, 20, 10
	v_and_b32_e32 v48, s33, v30
	v_mad_u32_u24 v47, v35, s9, v28
	v_and_b32_e32 v28, 1, v48
	v_lshlrev_b32_e32 v35, 30, v48
	v_mov_b32_e32 v34, v29
	v_lshlrev_b32_e32 v37, 29, v48
	v_lshl_add_u64 v[30:31], v[28:29], 0, -1
	v_cmp_ne_u32_e32 vcc, 0, v28
	v_not_b32_e32 v28, v35
	v_mov_b32_e32 v36, v29
	v_mov_b32_e32 v38, v29
	v_lshlrev_b32_e32 v39, 28, v48
	v_cmp_gt_i64_e64 s[6:7], 0, v[34:35]
	v_not_b32_e32 v34, v37
	v_xor_b32_e32 v31, vcc_hi, v31
	v_ashrrev_i32_e32 v28, 31, v28
	v_mov_b32_e32 v40, v29
	v_lshlrev_b32_e32 v41, 27, v48
	v_cmp_gt_i64_e64 s[8:9], 0, v[36:37]
	v_cmp_gt_i64_e64 s[10:11], 0, v[38:39]
	v_not_b32_e32 v35, v39
	v_xor_b32_e32 v30, vcc_lo, v30
	v_ashrrev_i32_e32 v34, 31, v34
	v_and_b32_e32 v31, exec_hi, v31
	v_xor_b32_e32 v39, s7, v28
	v_lshlrev_b32_e32 v43, 26, v48
	v_cmp_gt_i64_e64 s[12:13], 0, v[40:41]
	v_not_b32_e32 v36, v41
	v_ashrrev_i32_e32 v35, 31, v35
	v_and_b32_e32 v30, exec_lo, v30
	v_xor_b32_e32 v28, s6, v28
	v_xor_b32_e32 v40, s9, v34
	v_and_b32_e32 v31, v31, v39
	v_mov_b32_e32 v42, v29
	v_lshlrev_b32_e32 v45, 25, v48
	v_not_b32_e32 v37, v43
	v_ashrrev_i32_e32 v36, 31, v36
	v_xor_b32_e32 v41, s11, v35
	v_and_b32_e32 v28, v30, v28
	v_and_b32_e32 v30, v31, v40
	v_mov_b32_e32 v44, v29
	v_cmp_gt_i64_e64 s[14:15], 0, v[42:43]
	v_not_b32_e32 v38, v45
	v_ashrrev_i32_e32 v37, 31, v37
	v_xor_b32_e32 v42, s13, v36
	v_and_b32_e32 v30, v30, v41
	v_cmp_gt_i64_e64 s[16:17], 0, v[44:45]
	v_ashrrev_i32_e32 v38, 31, v38
	v_xor_b32_e32 v43, s15, v37
	v_and_b32_e32 v30, v30, v42
	v_xor_b32_e32 v34, s8, v34
	v_xor_b32_e32 v44, s17, v38
	v_and_b32_e32 v30, v30, v43
	v_xor_b32_e32 v35, s10, v35
	v_and_b32_e32 v28, v28, v34
	v_and_b32_e32 v34, v30, v44
	v_xor_b32_e32 v36, s12, v36
	v_and_b32_e32 v28, v28, v35
	v_xor_b32_e32 v37, s14, v37
	;; [unrolled: 2-line block ×3, first 2 shown]
	v_and_b32_e32 v28, v28, v37
	v_and_b32_e32 v28, v28, v38
	v_lshl_add_u32 v49, v48, 3, v48
	ds_write2_b32 v33, v29, v29 offset0:8 offset1:9
	ds_write2_b32 v33, v29, v29 offset0:10 offset1:11
	ds_write_b32 v33, v29 offset:48
	s_waitcnt lgkmcnt(0)
	s_barrier
	s_waitcnt lgkmcnt(0)
	; wave barrier
	s_waitcnt vmcnt(0)
	v_mad_u64_u32 v[30:31], s[6:7], v47, v46, v[2:3]
	v_lshrrev_b32_e32 v45, 6, v30
	v_lshlrev_b32_e32 v31, 24, v48
	v_mov_b32_e32 v30, v29
	v_cmp_gt_i64_e32 vcc, 0, v[30:31]
	v_not_b32_e32 v30, v31
	v_ashrrev_i32_e32 v30, 31, v30
	v_xor_b32_e32 v31, vcc_hi, v30
	v_xor_b32_e32 v30, vcc_lo, v30
	v_and_b32_e32 v30, v28, v30
	v_and_b32_e32 v31, v34, v31
	v_mbcnt_lo_u32_b32 v28, v30, 0
	v_mbcnt_hi_u32_b32 v35, v31, v28
	v_cmp_eq_u32_e32 vcc, 0, v35
	v_cmp_ne_u64_e64 s[6:7], 0, v[30:31]
	v_add_lshl_u32 v38, v45, v49, 2
	s_and_b64 s[8:9], s[6:7], vcc
	s_and_saveexec_b64 s[6:7], s[8:9]
	s_cbranch_execz .LBB1562_31
; %bb.30:
	v_bcnt_u32_b32 v28, v30, 0
	v_bcnt_u32_b32 v28, v31, v28
	ds_write_b32 v38, v28 offset:32
.LBB1562_31:
	s_or_b64 exec, exec, s[6:7]
	v_xor_b32_e32 v7, 0x80000000, v7
	v_lshrrev_b64 v[30:31], s24, v[6:7]
	v_and_b32_e32 v36, s33, v30
	v_lshl_add_u32 v28, v36, 3, v36
	v_add_lshl_u32 v39, v45, v28, 2
	v_and_b32_e32 v28, 1, v36
	v_lshl_add_u64 v[30:31], v[28:29], 0, -1
	v_cmp_ne_u32_e32 vcc, 0, v28
	; wave barrier
	s_nop 1
	v_xor_b32_e32 v30, vcc_lo, v30
	v_xor_b32_e32 v28, vcc_hi, v31
	v_and_b32_e32 v37, exec_lo, v30
	v_lshlrev_b32_e32 v31, 30, v36
	v_mov_b32_e32 v30, v29
	v_cmp_gt_i64_e32 vcc, 0, v[30:31]
	v_not_b32_e32 v30, v31
	v_ashrrev_i32_e32 v30, 31, v30
	v_and_b32_e32 v28, exec_hi, v28
	v_xor_b32_e32 v31, vcc_hi, v30
	v_xor_b32_e32 v30, vcc_lo, v30
	v_and_b32_e32 v28, v28, v31
	v_and_b32_e32 v37, v37, v30
	v_lshlrev_b32_e32 v31, 29, v36
	v_mov_b32_e32 v30, v29
	v_cmp_gt_i64_e32 vcc, 0, v[30:31]
	v_not_b32_e32 v30, v31
	v_ashrrev_i32_e32 v30, 31, v30
	v_xor_b32_e32 v31, vcc_hi, v30
	v_xor_b32_e32 v30, vcc_lo, v30
	v_and_b32_e32 v28, v28, v31
	v_and_b32_e32 v37, v37, v30
	v_lshlrev_b32_e32 v31, 28, v36
	v_mov_b32_e32 v30, v29
	v_cmp_gt_i64_e32 vcc, 0, v[30:31]
	v_not_b32_e32 v30, v31
	v_ashrrev_i32_e32 v30, 31, v30
	;; [unrolled: 9-line block ×5, first 2 shown]
	v_xor_b32_e32 v31, vcc_hi, v30
	v_xor_b32_e32 v30, vcc_lo, v30
	v_and_b32_e32 v28, v28, v31
	v_lshlrev_b32_e32 v31, 24, v36
	v_and_b32_e32 v37, v37, v30
	v_mov_b32_e32 v30, v29
	v_not_b32_e32 v29, v31
	v_cmp_gt_i64_e32 vcc, 0, v[30:31]
	v_ashrrev_i32_e32 v29, 31, v29
	ds_read_b32 v34, v39 offset:32
	v_xor_b32_e32 v30, vcc_hi, v29
	v_xor_b32_e32 v31, vcc_lo, v29
	v_and_b32_e32 v29, v28, v30
	v_and_b32_e32 v28, v37, v31
	v_mbcnt_lo_u32_b32 v30, v28, 0
	v_mbcnt_hi_u32_b32 v36, v29, v30
	v_cmp_eq_u32_e32 vcc, 0, v36
	v_cmp_ne_u64_e64 s[6:7], 0, v[28:29]
	s_and_b64 s[8:9], s[6:7], vcc
	; wave barrier
	s_and_saveexec_b64 s[6:7], s[8:9]
	s_cbranch_execz .LBB1562_33
; %bb.32:
	v_bcnt_u32_b32 v28, v28, 0
	v_bcnt_u32_b32 v28, v29, v28
	s_waitcnt lgkmcnt(0)
	v_add_u32_e32 v28, v34, v28
	ds_write_b32 v39, v28 offset:32
.LBB1562_33:
	s_or_b64 exec, exec, s[6:7]
	v_xor_b32_e32 v9, 0x80000000, v9
	v_lshrrev_b64 v[28:29], s24, v[8:9]
	v_and_b32_e32 v40, s33, v28
	v_lshl_add_u32 v28, v40, 3, v40
	v_add_lshl_u32 v42, v45, v28, 2
	v_and_b32_e32 v28, 1, v40
	v_mov_b32_e32 v29, 0
	v_lshl_add_u64 v[30:31], v[28:29], 0, -1
	v_cmp_ne_u32_e32 vcc, 0, v28
	; wave barrier
	s_nop 1
	v_xor_b32_e32 v30, vcc_lo, v30
	v_xor_b32_e32 v28, vcc_hi, v31
	v_and_b32_e32 v41, exec_lo, v30
	v_lshlrev_b32_e32 v31, 30, v40
	v_mov_b32_e32 v30, v29
	v_cmp_gt_i64_e32 vcc, 0, v[30:31]
	v_not_b32_e32 v30, v31
	v_ashrrev_i32_e32 v30, 31, v30
	v_and_b32_e32 v28, exec_hi, v28
	v_xor_b32_e32 v31, vcc_hi, v30
	v_xor_b32_e32 v30, vcc_lo, v30
	v_and_b32_e32 v28, v28, v31
	v_and_b32_e32 v41, v41, v30
	v_lshlrev_b32_e32 v31, 29, v40
	v_mov_b32_e32 v30, v29
	v_cmp_gt_i64_e32 vcc, 0, v[30:31]
	v_not_b32_e32 v30, v31
	v_ashrrev_i32_e32 v30, 31, v30
	v_xor_b32_e32 v31, vcc_hi, v30
	v_xor_b32_e32 v30, vcc_lo, v30
	v_and_b32_e32 v28, v28, v31
	v_and_b32_e32 v41, v41, v30
	v_lshlrev_b32_e32 v31, 28, v40
	v_mov_b32_e32 v30, v29
	v_cmp_gt_i64_e32 vcc, 0, v[30:31]
	v_not_b32_e32 v30, v31
	v_ashrrev_i32_e32 v30, 31, v30
	;; [unrolled: 9-line block ×6, first 2 shown]
	v_xor_b32_e32 v31, vcc_hi, v30
	v_xor_b32_e32 v30, vcc_lo, v30
	ds_read_b32 v37, v42 offset:32
	v_and_b32_e32 v30, v41, v30
	v_and_b32_e32 v31, v28, v31
	v_mbcnt_lo_u32_b32 v28, v30, 0
	v_mbcnt_hi_u32_b32 v40, v31, v28
	v_cmp_eq_u32_e32 vcc, 0, v40
	v_cmp_ne_u64_e64 s[6:7], 0, v[30:31]
	s_and_b64 s[8:9], s[6:7], vcc
	; wave barrier
	s_and_saveexec_b64 s[6:7], s[8:9]
	s_cbranch_execz .LBB1562_35
; %bb.34:
	v_bcnt_u32_b32 v28, v30, 0
	v_bcnt_u32_b32 v28, v31, v28
	s_waitcnt lgkmcnt(0)
	v_add_u32_e32 v28, v37, v28
	ds_write_b32 v42, v28 offset:32
.LBB1562_35:
	s_or_b64 exec, exec, s[6:7]
	v_xor_b32_e32 v11, 0x80000000, v11
	v_lshrrev_b64 v[30:31], s24, v[10:11]
	v_and_b32_e32 v43, s33, v30
	v_lshl_add_u32 v28, v43, 3, v43
	v_add_lshl_u32 v46, v45, v28, 2
	v_and_b32_e32 v28, 1, v43
	v_lshl_add_u64 v[30:31], v[28:29], 0, -1
	v_cmp_ne_u32_e32 vcc, 0, v28
	; wave barrier
	s_nop 1
	v_xor_b32_e32 v30, vcc_lo, v30
	v_xor_b32_e32 v28, vcc_hi, v31
	v_and_b32_e32 v44, exec_lo, v30
	v_lshlrev_b32_e32 v31, 30, v43
	v_mov_b32_e32 v30, v29
	v_cmp_gt_i64_e32 vcc, 0, v[30:31]
	v_not_b32_e32 v30, v31
	v_ashrrev_i32_e32 v30, 31, v30
	v_and_b32_e32 v28, exec_hi, v28
	v_xor_b32_e32 v31, vcc_hi, v30
	v_xor_b32_e32 v30, vcc_lo, v30
	v_and_b32_e32 v28, v28, v31
	v_and_b32_e32 v44, v44, v30
	v_lshlrev_b32_e32 v31, 29, v43
	v_mov_b32_e32 v30, v29
	v_cmp_gt_i64_e32 vcc, 0, v[30:31]
	v_not_b32_e32 v30, v31
	v_ashrrev_i32_e32 v30, 31, v30
	v_xor_b32_e32 v31, vcc_hi, v30
	v_xor_b32_e32 v30, vcc_lo, v30
	v_and_b32_e32 v28, v28, v31
	v_and_b32_e32 v44, v44, v30
	v_lshlrev_b32_e32 v31, 28, v43
	v_mov_b32_e32 v30, v29
	v_cmp_gt_i64_e32 vcc, 0, v[30:31]
	v_not_b32_e32 v30, v31
	v_ashrrev_i32_e32 v30, 31, v30
	;; [unrolled: 9-line block ×5, first 2 shown]
	v_xor_b32_e32 v31, vcc_hi, v30
	v_xor_b32_e32 v30, vcc_lo, v30
	v_and_b32_e32 v28, v28, v31
	v_lshlrev_b32_e32 v31, 24, v43
	v_and_b32_e32 v44, v44, v30
	v_mov_b32_e32 v30, v29
	v_not_b32_e32 v29, v31
	v_cmp_gt_i64_e32 vcc, 0, v[30:31]
	v_ashrrev_i32_e32 v29, 31, v29
	ds_read_b32 v41, v46 offset:32
	v_xor_b32_e32 v30, vcc_hi, v29
	v_xor_b32_e32 v31, vcc_lo, v29
	v_and_b32_e32 v29, v28, v30
	v_and_b32_e32 v28, v44, v31
	v_mbcnt_lo_u32_b32 v30, v28, 0
	v_mbcnt_hi_u32_b32 v43, v29, v30
	v_cmp_eq_u32_e32 vcc, 0, v43
	v_cmp_ne_u64_e64 s[6:7], 0, v[28:29]
	s_and_b64 s[8:9], s[6:7], vcc
	; wave barrier
	s_and_saveexec_b64 s[6:7], s[8:9]
	s_cbranch_execz .LBB1562_37
; %bb.36:
	v_bcnt_u32_b32 v28, v28, 0
	v_bcnt_u32_b32 v28, v29, v28
	s_waitcnt lgkmcnt(0)
	v_add_u32_e32 v28, v41, v28
	ds_write_b32 v46, v28 offset:32
.LBB1562_37:
	s_or_b64 exec, exec, s[6:7]
	v_xor_b32_e32 v13, 0x80000000, v13
	v_lshrrev_b64 v[28:29], s24, v[12:13]
	v_and_b32_e32 v47, s33, v28
	v_lshl_add_u32 v28, v47, 3, v47
	v_add_lshl_u32 v49, v45, v28, 2
	v_and_b32_e32 v28, 1, v47
	v_mov_b32_e32 v29, 0
	v_lshl_add_u64 v[30:31], v[28:29], 0, -1
	v_cmp_ne_u32_e32 vcc, 0, v28
	; wave barrier
	s_nop 1
	v_xor_b32_e32 v30, vcc_lo, v30
	v_xor_b32_e32 v28, vcc_hi, v31
	v_and_b32_e32 v48, exec_lo, v30
	v_lshlrev_b32_e32 v31, 30, v47
	v_mov_b32_e32 v30, v29
	v_cmp_gt_i64_e32 vcc, 0, v[30:31]
	v_not_b32_e32 v30, v31
	v_ashrrev_i32_e32 v30, 31, v30
	v_and_b32_e32 v28, exec_hi, v28
	v_xor_b32_e32 v31, vcc_hi, v30
	v_xor_b32_e32 v30, vcc_lo, v30
	v_and_b32_e32 v28, v28, v31
	v_and_b32_e32 v48, v48, v30
	v_lshlrev_b32_e32 v31, 29, v47
	v_mov_b32_e32 v30, v29
	v_cmp_gt_i64_e32 vcc, 0, v[30:31]
	v_not_b32_e32 v30, v31
	v_ashrrev_i32_e32 v30, 31, v30
	v_xor_b32_e32 v31, vcc_hi, v30
	v_xor_b32_e32 v30, vcc_lo, v30
	v_and_b32_e32 v28, v28, v31
	v_and_b32_e32 v48, v48, v30
	v_lshlrev_b32_e32 v31, 28, v47
	v_mov_b32_e32 v30, v29
	v_cmp_gt_i64_e32 vcc, 0, v[30:31]
	v_not_b32_e32 v30, v31
	v_ashrrev_i32_e32 v30, 31, v30
	;; [unrolled: 9-line block ×6, first 2 shown]
	v_xor_b32_e32 v31, vcc_hi, v30
	v_xor_b32_e32 v30, vcc_lo, v30
	ds_read_b32 v44, v49 offset:32
	v_and_b32_e32 v30, v48, v30
	v_and_b32_e32 v31, v28, v31
	v_mbcnt_lo_u32_b32 v28, v30, 0
	v_mbcnt_hi_u32_b32 v47, v31, v28
	v_cmp_eq_u32_e32 vcc, 0, v47
	v_cmp_ne_u64_e64 s[6:7], 0, v[30:31]
	s_and_b64 s[8:9], s[6:7], vcc
	; wave barrier
	s_and_saveexec_b64 s[6:7], s[8:9]
	s_cbranch_execz .LBB1562_39
; %bb.38:
	v_bcnt_u32_b32 v28, v30, 0
	v_bcnt_u32_b32 v28, v31, v28
	s_waitcnt lgkmcnt(0)
	v_add_u32_e32 v28, v44, v28
	ds_write_b32 v49, v28 offset:32
.LBB1562_39:
	s_or_b64 exec, exec, s[6:7]
	v_xor_b32_e32 v15, 0x80000000, v15
	v_lshrrev_b64 v[30:31], s24, v[14:15]
	v_and_b32_e32 v50, s33, v30
	v_lshl_add_u32 v28, v50, 3, v50
	v_add_lshl_u32 v52, v45, v28, 2
	v_and_b32_e32 v28, 1, v50
	v_lshl_add_u64 v[30:31], v[28:29], 0, -1
	v_cmp_ne_u32_e32 vcc, 0, v28
	; wave barrier
	s_nop 1
	v_xor_b32_e32 v30, vcc_lo, v30
	v_xor_b32_e32 v28, vcc_hi, v31
	v_and_b32_e32 v51, exec_lo, v30
	v_lshlrev_b32_e32 v31, 30, v50
	v_mov_b32_e32 v30, v29
	v_cmp_gt_i64_e32 vcc, 0, v[30:31]
	v_not_b32_e32 v30, v31
	v_ashrrev_i32_e32 v30, 31, v30
	v_and_b32_e32 v28, exec_hi, v28
	v_xor_b32_e32 v31, vcc_hi, v30
	v_xor_b32_e32 v30, vcc_lo, v30
	v_and_b32_e32 v28, v28, v31
	v_and_b32_e32 v51, v51, v30
	v_lshlrev_b32_e32 v31, 29, v50
	v_mov_b32_e32 v30, v29
	v_cmp_gt_i64_e32 vcc, 0, v[30:31]
	v_not_b32_e32 v30, v31
	v_ashrrev_i32_e32 v30, 31, v30
	v_xor_b32_e32 v31, vcc_hi, v30
	v_xor_b32_e32 v30, vcc_lo, v30
	v_and_b32_e32 v28, v28, v31
	v_and_b32_e32 v51, v51, v30
	v_lshlrev_b32_e32 v31, 28, v50
	v_mov_b32_e32 v30, v29
	v_cmp_gt_i64_e32 vcc, 0, v[30:31]
	v_not_b32_e32 v30, v31
	v_ashrrev_i32_e32 v30, 31, v30
	;; [unrolled: 9-line block ×5, first 2 shown]
	v_xor_b32_e32 v31, vcc_hi, v30
	v_xor_b32_e32 v30, vcc_lo, v30
	v_and_b32_e32 v28, v28, v31
	v_lshlrev_b32_e32 v31, 24, v50
	v_and_b32_e32 v51, v51, v30
	v_mov_b32_e32 v30, v29
	v_not_b32_e32 v29, v31
	v_cmp_gt_i64_e32 vcc, 0, v[30:31]
	v_ashrrev_i32_e32 v29, 31, v29
	ds_read_b32 v48, v52 offset:32
	v_xor_b32_e32 v30, vcc_hi, v29
	v_xor_b32_e32 v31, vcc_lo, v29
	v_and_b32_e32 v29, v28, v30
	v_and_b32_e32 v28, v51, v31
	v_mbcnt_lo_u32_b32 v30, v28, 0
	v_mbcnt_hi_u32_b32 v50, v29, v30
	v_cmp_eq_u32_e32 vcc, 0, v50
	v_cmp_ne_u64_e64 s[6:7], 0, v[28:29]
	s_and_b64 s[8:9], s[6:7], vcc
	; wave barrier
	s_and_saveexec_b64 s[6:7], s[8:9]
	s_cbranch_execz .LBB1562_41
; %bb.40:
	v_bcnt_u32_b32 v28, v28, 0
	v_bcnt_u32_b32 v28, v29, v28
	s_waitcnt lgkmcnt(0)
	v_add_u32_e32 v28, v48, v28
	ds_write_b32 v52, v28 offset:32
.LBB1562_41:
	s_or_b64 exec, exec, s[6:7]
	v_xor_b32_e32 v17, 0x80000000, v17
	v_lshrrev_b64 v[28:29], s24, v[16:17]
	v_and_b32_e32 v53, s33, v28
	v_lshl_add_u32 v28, v53, 3, v53
	v_add_lshl_u32 v55, v45, v28, 2
	v_and_b32_e32 v28, 1, v53
	v_mov_b32_e32 v29, 0
	v_lshl_add_u64 v[30:31], v[28:29], 0, -1
	v_cmp_ne_u32_e32 vcc, 0, v28
	; wave barrier
	s_nop 1
	v_xor_b32_e32 v30, vcc_lo, v30
	v_xor_b32_e32 v28, vcc_hi, v31
	v_and_b32_e32 v54, exec_lo, v30
	v_lshlrev_b32_e32 v31, 30, v53
	v_mov_b32_e32 v30, v29
	v_cmp_gt_i64_e32 vcc, 0, v[30:31]
	v_not_b32_e32 v30, v31
	v_ashrrev_i32_e32 v30, 31, v30
	v_and_b32_e32 v28, exec_hi, v28
	v_xor_b32_e32 v31, vcc_hi, v30
	v_xor_b32_e32 v30, vcc_lo, v30
	v_and_b32_e32 v28, v28, v31
	v_and_b32_e32 v54, v54, v30
	v_lshlrev_b32_e32 v31, 29, v53
	v_mov_b32_e32 v30, v29
	v_cmp_gt_i64_e32 vcc, 0, v[30:31]
	v_not_b32_e32 v30, v31
	v_ashrrev_i32_e32 v30, 31, v30
	v_xor_b32_e32 v31, vcc_hi, v30
	v_xor_b32_e32 v30, vcc_lo, v30
	v_and_b32_e32 v28, v28, v31
	v_and_b32_e32 v54, v54, v30
	v_lshlrev_b32_e32 v31, 28, v53
	v_mov_b32_e32 v30, v29
	v_cmp_gt_i64_e32 vcc, 0, v[30:31]
	v_not_b32_e32 v30, v31
	v_ashrrev_i32_e32 v30, 31, v30
	;; [unrolled: 9-line block ×6, first 2 shown]
	v_xor_b32_e32 v31, vcc_hi, v30
	v_xor_b32_e32 v30, vcc_lo, v30
	ds_read_b32 v51, v55 offset:32
	v_and_b32_e32 v30, v54, v30
	v_and_b32_e32 v31, v28, v31
	v_mbcnt_lo_u32_b32 v28, v30, 0
	v_mbcnt_hi_u32_b32 v53, v31, v28
	v_cmp_eq_u32_e32 vcc, 0, v53
	v_cmp_ne_u64_e64 s[6:7], 0, v[30:31]
	s_and_b64 s[8:9], s[6:7], vcc
	; wave barrier
	s_and_saveexec_b64 s[6:7], s[8:9]
	s_cbranch_execz .LBB1562_43
; %bb.42:
	v_bcnt_u32_b32 v28, v30, 0
	v_bcnt_u32_b32 v28, v31, v28
	s_waitcnt lgkmcnt(0)
	v_add_u32_e32 v28, v51, v28
	ds_write_b32 v55, v28 offset:32
.LBB1562_43:
	s_or_b64 exec, exec, s[6:7]
	v_xor_b32_e32 v19, 0x80000000, v19
	v_lshrrev_b64 v[30:31], s24, v[18:19]
	v_and_b32_e32 v56, s33, v30
	v_lshl_add_u32 v28, v56, 3, v56
	v_add_lshl_u32 v58, v45, v28, 2
	v_and_b32_e32 v28, 1, v56
	v_lshl_add_u64 v[30:31], v[28:29], 0, -1
	v_cmp_ne_u32_e32 vcc, 0, v28
	; wave barrier
	s_nop 1
	v_xor_b32_e32 v30, vcc_lo, v30
	v_xor_b32_e32 v28, vcc_hi, v31
	v_and_b32_e32 v57, exec_lo, v30
	v_lshlrev_b32_e32 v31, 30, v56
	v_mov_b32_e32 v30, v29
	v_cmp_gt_i64_e32 vcc, 0, v[30:31]
	v_not_b32_e32 v30, v31
	v_ashrrev_i32_e32 v30, 31, v30
	v_and_b32_e32 v28, exec_hi, v28
	v_xor_b32_e32 v31, vcc_hi, v30
	v_xor_b32_e32 v30, vcc_lo, v30
	v_and_b32_e32 v28, v28, v31
	v_and_b32_e32 v57, v57, v30
	v_lshlrev_b32_e32 v31, 29, v56
	v_mov_b32_e32 v30, v29
	v_cmp_gt_i64_e32 vcc, 0, v[30:31]
	v_not_b32_e32 v30, v31
	v_ashrrev_i32_e32 v30, 31, v30
	v_xor_b32_e32 v31, vcc_hi, v30
	v_xor_b32_e32 v30, vcc_lo, v30
	v_and_b32_e32 v28, v28, v31
	v_and_b32_e32 v57, v57, v30
	v_lshlrev_b32_e32 v31, 28, v56
	v_mov_b32_e32 v30, v29
	v_cmp_gt_i64_e32 vcc, 0, v[30:31]
	v_not_b32_e32 v30, v31
	v_ashrrev_i32_e32 v30, 31, v30
	;; [unrolled: 9-line block ×5, first 2 shown]
	v_xor_b32_e32 v31, vcc_hi, v30
	v_xor_b32_e32 v30, vcc_lo, v30
	v_and_b32_e32 v28, v28, v31
	v_lshlrev_b32_e32 v31, 24, v56
	v_and_b32_e32 v57, v57, v30
	v_mov_b32_e32 v30, v29
	v_not_b32_e32 v29, v31
	v_cmp_gt_i64_e32 vcc, 0, v[30:31]
	v_ashrrev_i32_e32 v29, 31, v29
	ds_read_b32 v54, v58 offset:32
	v_xor_b32_e32 v30, vcc_hi, v29
	v_xor_b32_e32 v31, vcc_lo, v29
	v_and_b32_e32 v29, v28, v30
	v_and_b32_e32 v28, v57, v31
	v_mbcnt_lo_u32_b32 v30, v28, 0
	v_mbcnt_hi_u32_b32 v56, v29, v30
	v_cmp_eq_u32_e32 vcc, 0, v56
	v_cmp_ne_u64_e64 s[6:7], 0, v[28:29]
	s_and_b64 s[8:9], s[6:7], vcc
	; wave barrier
	s_and_saveexec_b64 s[6:7], s[8:9]
	s_cbranch_execz .LBB1562_45
; %bb.44:
	v_bcnt_u32_b32 v28, v28, 0
	v_bcnt_u32_b32 v28, v29, v28
	s_waitcnt lgkmcnt(0)
	v_add_u32_e32 v28, v54, v28
	ds_write_b32 v58, v28 offset:32
.LBB1562_45:
	s_or_b64 exec, exec, s[6:7]
	v_xor_b32_e32 v21, 0x80000000, v21
	v_lshrrev_b64 v[28:29], s24, v[20:21]
	v_and_b32_e32 v59, s33, v28
	v_lshl_add_u32 v28, v59, 3, v59
	v_add_lshl_u32 v61, v45, v28, 2
	v_and_b32_e32 v28, 1, v59
	v_mov_b32_e32 v29, 0
	v_lshl_add_u64 v[30:31], v[28:29], 0, -1
	v_cmp_ne_u32_e32 vcc, 0, v28
	; wave barrier
	s_nop 1
	v_xor_b32_e32 v30, vcc_lo, v30
	v_xor_b32_e32 v28, vcc_hi, v31
	v_and_b32_e32 v60, exec_lo, v30
	v_lshlrev_b32_e32 v31, 30, v59
	v_mov_b32_e32 v30, v29
	v_cmp_gt_i64_e32 vcc, 0, v[30:31]
	v_not_b32_e32 v30, v31
	v_ashrrev_i32_e32 v30, 31, v30
	v_and_b32_e32 v28, exec_hi, v28
	v_xor_b32_e32 v31, vcc_hi, v30
	v_xor_b32_e32 v30, vcc_lo, v30
	v_and_b32_e32 v28, v28, v31
	v_and_b32_e32 v60, v60, v30
	v_lshlrev_b32_e32 v31, 29, v59
	v_mov_b32_e32 v30, v29
	v_cmp_gt_i64_e32 vcc, 0, v[30:31]
	v_not_b32_e32 v30, v31
	v_ashrrev_i32_e32 v30, 31, v30
	v_xor_b32_e32 v31, vcc_hi, v30
	v_xor_b32_e32 v30, vcc_lo, v30
	v_and_b32_e32 v28, v28, v31
	v_and_b32_e32 v60, v60, v30
	v_lshlrev_b32_e32 v31, 28, v59
	v_mov_b32_e32 v30, v29
	v_cmp_gt_i64_e32 vcc, 0, v[30:31]
	v_not_b32_e32 v30, v31
	v_ashrrev_i32_e32 v30, 31, v30
	;; [unrolled: 9-line block ×6, first 2 shown]
	v_xor_b32_e32 v31, vcc_hi, v30
	v_xor_b32_e32 v30, vcc_lo, v30
	ds_read_b32 v57, v61 offset:32
	v_and_b32_e32 v30, v60, v30
	v_and_b32_e32 v31, v28, v31
	v_mbcnt_lo_u32_b32 v28, v30, 0
	v_mbcnt_hi_u32_b32 v59, v31, v28
	v_cmp_eq_u32_e32 vcc, 0, v59
	v_cmp_ne_u64_e64 s[6:7], 0, v[30:31]
	s_and_b64 s[8:9], s[6:7], vcc
	; wave barrier
	s_and_saveexec_b64 s[6:7], s[8:9]
	s_cbranch_execz .LBB1562_47
; %bb.46:
	v_bcnt_u32_b32 v28, v30, 0
	v_bcnt_u32_b32 v28, v31, v28
	s_waitcnt lgkmcnt(0)
	v_add_u32_e32 v28, v57, v28
	ds_write_b32 v61, v28 offset:32
.LBB1562_47:
	s_or_b64 exec, exec, s[6:7]
	v_xor_b32_e32 v23, 0x80000000, v23
	v_lshrrev_b64 v[30:31], s24, v[22:23]
	v_and_b32_e32 v62, s33, v30
	v_lshl_add_u32 v28, v62, 3, v62
	v_add_lshl_u32 v64, v45, v28, 2
	v_and_b32_e32 v28, 1, v62
	v_lshl_add_u64 v[30:31], v[28:29], 0, -1
	v_cmp_ne_u32_e32 vcc, 0, v28
	; wave barrier
	s_nop 1
	v_xor_b32_e32 v30, vcc_lo, v30
	v_xor_b32_e32 v28, vcc_hi, v31
	v_and_b32_e32 v63, exec_lo, v30
	v_lshlrev_b32_e32 v31, 30, v62
	v_mov_b32_e32 v30, v29
	v_cmp_gt_i64_e32 vcc, 0, v[30:31]
	v_not_b32_e32 v30, v31
	v_ashrrev_i32_e32 v30, 31, v30
	v_and_b32_e32 v28, exec_hi, v28
	v_xor_b32_e32 v31, vcc_hi, v30
	v_xor_b32_e32 v30, vcc_lo, v30
	v_and_b32_e32 v28, v28, v31
	v_and_b32_e32 v63, v63, v30
	v_lshlrev_b32_e32 v31, 29, v62
	v_mov_b32_e32 v30, v29
	v_cmp_gt_i64_e32 vcc, 0, v[30:31]
	v_not_b32_e32 v30, v31
	v_ashrrev_i32_e32 v30, 31, v30
	v_xor_b32_e32 v31, vcc_hi, v30
	v_xor_b32_e32 v30, vcc_lo, v30
	v_and_b32_e32 v28, v28, v31
	v_and_b32_e32 v63, v63, v30
	v_lshlrev_b32_e32 v31, 28, v62
	v_mov_b32_e32 v30, v29
	v_cmp_gt_i64_e32 vcc, 0, v[30:31]
	v_not_b32_e32 v30, v31
	v_ashrrev_i32_e32 v30, 31, v30
	;; [unrolled: 9-line block ×5, first 2 shown]
	v_xor_b32_e32 v31, vcc_hi, v30
	v_xor_b32_e32 v30, vcc_lo, v30
	v_and_b32_e32 v28, v28, v31
	v_lshlrev_b32_e32 v31, 24, v62
	v_and_b32_e32 v63, v63, v30
	v_mov_b32_e32 v30, v29
	v_not_b32_e32 v29, v31
	v_cmp_gt_i64_e32 vcc, 0, v[30:31]
	v_ashrrev_i32_e32 v29, 31, v29
	ds_read_b32 v60, v64 offset:32
	v_xor_b32_e32 v30, vcc_hi, v29
	v_xor_b32_e32 v31, vcc_lo, v29
	v_and_b32_e32 v29, v28, v30
	v_and_b32_e32 v28, v63, v31
	v_mbcnt_lo_u32_b32 v30, v28, 0
	v_mbcnt_hi_u32_b32 v62, v29, v30
	v_cmp_eq_u32_e32 vcc, 0, v62
	v_cmp_ne_u64_e64 s[6:7], 0, v[28:29]
	s_and_b64 s[8:9], s[6:7], vcc
	; wave barrier
	s_and_saveexec_b64 s[6:7], s[8:9]
	s_cbranch_execz .LBB1562_49
; %bb.48:
	v_bcnt_u32_b32 v28, v28, 0
	v_bcnt_u32_b32 v28, v29, v28
	s_waitcnt lgkmcnt(0)
	v_add_u32_e32 v28, v60, v28
	ds_write_b32 v64, v28 offset:32
.LBB1562_49:
	s_or_b64 exec, exec, s[6:7]
	v_xor_b32_e32 v25, 0x80000000, v25
	v_lshrrev_b64 v[28:29], s24, v[24:25]
	v_and_b32_e32 v65, s33, v28
	v_lshl_add_u32 v28, v65, 3, v65
	v_add_lshl_u32 v66, v45, v28, 2
	v_and_b32_e32 v28, 1, v65
	v_mov_b32_e32 v29, 0
	v_lshl_add_u64 v[30:31], v[28:29], 0, -1
	v_cmp_ne_u32_e32 vcc, 0, v28
	; wave barrier
	s_nop 1
	v_xor_b32_e32 v30, vcc_lo, v30
	v_xor_b32_e32 v28, vcc_hi, v31
	v_and_b32_e32 v67, exec_lo, v30
	v_lshlrev_b32_e32 v31, 30, v65
	v_mov_b32_e32 v30, v29
	v_cmp_gt_i64_e32 vcc, 0, v[30:31]
	v_not_b32_e32 v30, v31
	v_ashrrev_i32_e32 v30, 31, v30
	v_and_b32_e32 v28, exec_hi, v28
	v_xor_b32_e32 v31, vcc_hi, v30
	v_xor_b32_e32 v30, vcc_lo, v30
	v_and_b32_e32 v28, v28, v31
	v_and_b32_e32 v67, v67, v30
	v_lshlrev_b32_e32 v31, 29, v65
	v_mov_b32_e32 v30, v29
	v_cmp_gt_i64_e32 vcc, 0, v[30:31]
	v_not_b32_e32 v30, v31
	v_ashrrev_i32_e32 v30, 31, v30
	v_xor_b32_e32 v31, vcc_hi, v30
	v_xor_b32_e32 v30, vcc_lo, v30
	v_and_b32_e32 v28, v28, v31
	v_and_b32_e32 v67, v67, v30
	v_lshlrev_b32_e32 v31, 28, v65
	v_mov_b32_e32 v30, v29
	v_cmp_gt_i64_e32 vcc, 0, v[30:31]
	v_not_b32_e32 v30, v31
	v_ashrrev_i32_e32 v30, 31, v30
	;; [unrolled: 9-line block ×6, first 2 shown]
	v_xor_b32_e32 v31, vcc_hi, v30
	v_xor_b32_e32 v30, vcc_lo, v30
	ds_read_b32 v63, v66 offset:32
	v_and_b32_e32 v30, v67, v30
	v_and_b32_e32 v31, v28, v31
	v_mbcnt_lo_u32_b32 v28, v30, 0
	v_mbcnt_hi_u32_b32 v65, v31, v28
	v_cmp_eq_u32_e32 vcc, 0, v65
	v_cmp_ne_u64_e64 s[6:7], 0, v[30:31]
	s_and_b64 s[8:9], s[6:7], vcc
	; wave barrier
	s_and_saveexec_b64 s[6:7], s[8:9]
	s_cbranch_execz .LBB1562_51
; %bb.50:
	v_bcnt_u32_b32 v28, v30, 0
	v_bcnt_u32_b32 v28, v31, v28
	s_waitcnt lgkmcnt(0)
	v_add_u32_e32 v28, v63, v28
	ds_write_b32 v66, v28 offset:32
.LBB1562_51:
	s_or_b64 exec, exec, s[6:7]
	v_xor_b32_e32 v27, 0x80000000, v27
	v_lshrrev_b64 v[30:31], s24, v[26:27]
	v_and_b32_e32 v67, s33, v30
	v_lshl_add_u32 v28, v67, 3, v67
	v_add_lshl_u32 v68, v45, v28, 2
	v_and_b32_e32 v28, 1, v67
	v_lshl_add_u64 v[30:31], v[28:29], 0, -1
	v_cmp_ne_u32_e32 vcc, 0, v28
	; wave barrier
	s_nop 1
	v_xor_b32_e32 v30, vcc_lo, v30
	v_xor_b32_e32 v28, vcc_hi, v31
	v_and_b32_e32 v70, exec_lo, v30
	v_lshlrev_b32_e32 v31, 30, v67
	v_mov_b32_e32 v30, v29
	v_cmp_gt_i64_e32 vcc, 0, v[30:31]
	v_not_b32_e32 v30, v31
	v_ashrrev_i32_e32 v30, 31, v30
	v_and_b32_e32 v28, exec_hi, v28
	v_xor_b32_e32 v31, vcc_hi, v30
	v_xor_b32_e32 v30, vcc_lo, v30
	v_and_b32_e32 v28, v28, v31
	v_and_b32_e32 v70, v70, v30
	v_lshlrev_b32_e32 v31, 29, v67
	v_mov_b32_e32 v30, v29
	v_cmp_gt_i64_e32 vcc, 0, v[30:31]
	v_not_b32_e32 v30, v31
	v_ashrrev_i32_e32 v30, 31, v30
	v_xor_b32_e32 v31, vcc_hi, v30
	v_xor_b32_e32 v30, vcc_lo, v30
	v_and_b32_e32 v28, v28, v31
	v_and_b32_e32 v70, v70, v30
	v_lshlrev_b32_e32 v31, 28, v67
	v_mov_b32_e32 v30, v29
	v_cmp_gt_i64_e32 vcc, 0, v[30:31]
	v_not_b32_e32 v30, v31
	v_ashrrev_i32_e32 v30, 31, v30
	;; [unrolled: 9-line block ×5, first 2 shown]
	v_xor_b32_e32 v31, vcc_hi, v30
	v_xor_b32_e32 v30, vcc_lo, v30
	v_and_b32_e32 v28, v28, v31
	v_lshlrev_b32_e32 v31, 24, v67
	v_and_b32_e32 v70, v70, v30
	v_mov_b32_e32 v30, v29
	v_not_b32_e32 v29, v31
	v_cmp_gt_i64_e32 vcc, 0, v[30:31]
	v_ashrrev_i32_e32 v29, 31, v29
	ds_read_b32 v45, v68 offset:32
	v_xor_b32_e32 v30, vcc_hi, v29
	v_xor_b32_e32 v31, vcc_lo, v29
	v_and_b32_e32 v29, v28, v30
	v_and_b32_e32 v28, v70, v31
	v_mbcnt_lo_u32_b32 v30, v28, 0
	v_mbcnt_hi_u32_b32 v67, v29, v30
	v_cmp_eq_u32_e32 vcc, 0, v67
	v_cmp_ne_u64_e64 s[6:7], 0, v[28:29]
	v_add_u32_e32 v69, 32, v33
	s_and_b64 s[8:9], s[6:7], vcc
	; wave barrier
	s_and_saveexec_b64 s[6:7], s[8:9]
	s_cbranch_execz .LBB1562_53
; %bb.52:
	v_bcnt_u32_b32 v28, v28, 0
	v_bcnt_u32_b32 v28, v29, v28
	s_waitcnt lgkmcnt(0)
	v_add_u32_e32 v28, v45, v28
	ds_write_b32 v68, v28 offset:32
.LBB1562_53:
	s_or_b64 exec, exec, s[6:7]
	; wave barrier
	s_waitcnt lgkmcnt(0)
	s_barrier
	ds_read2_b32 v[30:31], v33 offset0:8 offset1:9
	ds_read2_b32 v[28:29], v69 offset0:2 offset1:3
	ds_read_b32 v70, v69 offset:16
	v_min_u32_e32 v32, 0x1c0, v32
	v_or_b32_e32 v32, 63, v32
	s_waitcnt lgkmcnt(1)
	v_add3_u32 v71, v31, v30, v28
	s_waitcnt lgkmcnt(0)
	v_add3_u32 v70, v71, v29, v70
	v_and_b32_e32 v71, 15, v3
	v_cmp_ne_u32_e32 vcc, 0, v71
	v_mov_b32_dpp v72, v70 row_shr:1 row_mask:0xf bank_mask:0xf
	s_nop 0
	v_cndmask_b32_e32 v72, 0, v72, vcc
	v_add_u32_e32 v70, v72, v70
	v_cmp_lt_u32_e32 vcc, 1, v71
	s_nop 0
	v_mov_b32_dpp v72, v70 row_shr:2 row_mask:0xf bank_mask:0xf
	v_cndmask_b32_e32 v72, 0, v72, vcc
	v_add_u32_e32 v70, v70, v72
	v_cmp_lt_u32_e32 vcc, 3, v71
	s_nop 0
	v_mov_b32_dpp v72, v70 row_shr:4 row_mask:0xf bank_mask:0xf
	;; [unrolled: 5-line block ×3, first 2 shown]
	v_cndmask_b32_e32 v71, 0, v72, vcc
	v_add_u32_e32 v70, v70, v71
	v_bfe_i32 v72, v3, 4, 1
	v_cmp_lt_u32_e32 vcc, 31, v3
	v_mov_b32_dpp v71, v70 row_bcast:15 row_mask:0xf bank_mask:0xf
	v_and_b32_e32 v71, v72, v71
	v_add_u32_e32 v70, v70, v71
	s_nop 1
	v_mov_b32_dpp v71, v70 row_bcast:31 row_mask:0xf bank_mask:0xf
	v_cndmask_b32_e32 v71, 0, v71, vcc
	v_add_u32_e32 v70, v70, v71
	v_lshrrev_b32_e32 v71, 6, v2
	v_cmp_eq_u32_e32 vcc, v32, v2
	s_and_saveexec_b64 s[6:7], vcc
	s_cbranch_execz .LBB1562_55
; %bb.54:
	v_lshlrev_b32_e32 v32, 2, v71
	ds_write_b32 v32, v70
.LBB1562_55:
	s_or_b64 exec, exec, s[6:7]
	v_cmp_gt_u32_e32 vcc, 8, v2
	s_waitcnt lgkmcnt(0)
	s_barrier
	s_and_saveexec_b64 s[6:7], vcc
	s_cbranch_execz .LBB1562_57
; %bb.56:
	v_lshlrev_b32_e32 v32, 2, v2
	ds_read_b32 v72, v32
	v_and_b32_e32 v73, 7, v3
	v_cmp_ne_u32_e32 vcc, 0, v73
	s_waitcnt lgkmcnt(0)
	v_mov_b32_dpp v74, v72 row_shr:1 row_mask:0xf bank_mask:0xf
	v_cndmask_b32_e32 v74, 0, v74, vcc
	v_add_u32_e32 v72, v74, v72
	v_cmp_lt_u32_e32 vcc, 1, v73
	s_nop 0
	v_mov_b32_dpp v74, v72 row_shr:2 row_mask:0xf bank_mask:0xf
	v_cndmask_b32_e32 v74, 0, v74, vcc
	v_add_u32_e32 v72, v72, v74
	v_cmp_lt_u32_e32 vcc, 3, v73
	s_nop 0
	v_mov_b32_dpp v74, v72 row_shr:4 row_mask:0xf bank_mask:0xf
	v_cndmask_b32_e32 v73, 0, v74, vcc
	v_add_u32_e32 v72, v72, v73
	ds_write_b32 v32, v72
.LBB1562_57:
	s_or_b64 exec, exec, s[6:7]
	v_cmp_lt_u32_e32 vcc, 63, v2
	v_mov_b32_e32 v32, 0
	s_waitcnt lgkmcnt(0)
	s_barrier
	s_and_saveexec_b64 s[6:7], vcc
	s_cbranch_execz .LBB1562_59
; %bb.58:
	v_lshl_add_u32 v32, v71, 2, -4
	ds_read_b32 v32, v32
.LBB1562_59:
	s_or_b64 exec, exec, s[6:7]
	v_add_u32_e32 v71, -1, v3
	v_and_b32_e32 v72, 64, v3
	v_cmp_lt_i32_e32 vcc, v71, v72
	s_waitcnt lgkmcnt(0)
	v_add_u32_e32 v70, v32, v70
	s_movk_i32 s6, 0x100
	v_cndmask_b32_e32 v71, v71, v3, vcc
	v_lshlrev_b32_e32 v71, 2, v71
	ds_bpermute_b32 v70, v71, v70
	v_cmp_eq_u32_e32 vcc, 0, v3
	s_waitcnt lgkmcnt(0)
	s_nop 0
	v_cndmask_b32_e32 v3, v70, v32, vcc
	v_cndmask_b32_e64 v3, v3, 0, s[4:5]
	v_add_u32_e32 v30, v3, v30
	v_add_u32_e32 v31, v30, v31
	;; [unrolled: 1-line block ×4, first 2 shown]
	ds_write2_b32 v33, v3, v30 offset0:8 offset1:9
	ds_write2_b32 v69, v31, v28 offset0:2 offset1:3
	ds_write_b32 v69, v29 offset:16
	s_waitcnt lgkmcnt(0)
	s_barrier
	ds_read_b32 v75, v38 offset:32
	ds_read_b32 v69, v39 offset:32
	;; [unrolled: 1-line block ×12, first 2 shown]
	v_cmp_gt_u32_e32 vcc, s6, v2
                                        ; implicit-def: $vgpr3
                                        ; implicit-def: $vgpr38
	s_and_saveexec_b64 s[8:9], vcc
	s_cbranch_execz .LBB1562_63
; %bb.60:
	v_mul_u32_u24_e32 v3, 9, v2
	v_lshlrev_b32_e32 v29, 2, v3
	ds_read_b32 v3, v29 offset:32
	s_movk_i32 s6, 0xff
	v_cmp_ne_u32_e64 s[6:7], s6, v2
	v_mov_b32_e32 v28, 0x1800
	s_and_saveexec_b64 s[10:11], s[6:7]
	s_cbranch_execz .LBB1562_62
; %bb.61:
	ds_read_b32 v28, v29 offset:68
.LBB1562_62:
	s_or_b64 exec, exec, s[10:11]
	s_waitcnt lgkmcnt(0)
	v_sub_u32_e32 v38, v28, v3
.LBB1562_63:
	s_or_b64 exec, exec, s[8:9]
	s_waitcnt lgkmcnt(0)
	s_barrier
	s_and_saveexec_b64 s[8:9], vcc
	s_cbranch_execz .LBB1562_73
; %bb.64:
	v_lshl_or_b32 v30, s27, 8, v2
	v_mov_b32_e32 v31, 0
	v_lshl_add_u64 v[28:29], v[30:31], 2, s[18:19]
	v_or_b32_e32 v30, 2.0, v38
	s_mov_b64 s[10:11], 0
	s_brev_b32 s16, 1
	s_mov_b32 s17, s27
	v_mov_b32_e32 v49, 0
	global_store_dword v[28:29], v30, off sc1
                                        ; implicit-def: $sgpr6_sgpr7
	s_branch .LBB1562_66
.LBB1562_65:                            ;   in Loop: Header=BB1562_66 Depth=1
	s_or_b64 exec, exec, s[12:13]
	v_and_b32_e32 v32, 0x3fffffff, v55
	v_add_u32_e32 v49, v32, v49
	v_cmp_eq_u32_e64 s[6:7], s16, v30
	s_and_b64 s[12:13], exec, s[6:7]
	s_or_b64 s[10:11], s[12:13], s[10:11]
	s_andn2_b64 exec, exec, s[10:11]
	s_cbranch_execz .LBB1562_72
.LBB1562_66:                            ; =>This Loop Header: Depth=1
                                        ;     Child Loop BB1562_69 Depth 2
	s_or_b64 s[6:7], s[6:7], exec
	s_cmp_eq_u32 s17, 0
	s_cbranch_scc1 .LBB1562_71
; %bb.67:                               ;   in Loop: Header=BB1562_66 Depth=1
	s_add_i32 s17, s17, -1
	v_lshl_or_b32 v30, s17, 8, v2
	v_lshl_add_u64 v[32:33], v[30:31], 2, s[18:19]
	global_load_dword v55, v[32:33], off sc1
	s_waitcnt vmcnt(0)
	v_and_b32_e32 v30, -2.0, v55
	v_cmp_eq_u32_e64 s[6:7], 0, v30
	s_and_saveexec_b64 s[12:13], s[6:7]
	s_cbranch_execz .LBB1562_65
; %bb.68:                               ;   in Loop: Header=BB1562_66 Depth=1
	s_mov_b64 s[14:15], 0
.LBB1562_69:                            ;   Parent Loop BB1562_66 Depth=1
                                        ; =>  This Inner Loop Header: Depth=2
	global_load_dword v55, v[32:33], off sc1
	s_waitcnt vmcnt(0)
	v_and_b32_e32 v30, -2.0, v55
	v_cmp_ne_u32_e64 s[6:7], 0, v30
	s_or_b64 s[14:15], s[6:7], s[14:15]
	s_andn2_b64 exec, exec, s[14:15]
	s_cbranch_execnz .LBB1562_69
; %bb.70:                               ;   in Loop: Header=BB1562_66 Depth=1
	s_or_b64 exec, exec, s[14:15]
	s_branch .LBB1562_65
.LBB1562_71:                            ;   in Loop: Header=BB1562_66 Depth=1
                                        ; implicit-def: $sgpr17
	s_and_b64 s[12:13], exec, s[6:7]
	s_or_b64 s[10:11], s[12:13], s[10:11]
	s_andn2_b64 exec, exec, s[10:11]
	s_cbranch_execnz .LBB1562_66
.LBB1562_72:
	s_or_b64 exec, exec, s[10:11]
	v_add_u32_e32 v30, v49, v38
	v_or_b32_e32 v30, 0x80000000, v30
	global_store_dword v[28:29], v30, off sc1
	v_lshlrev_b32_e32 v28, 2, v2
	global_load_dword v29, v28, s[20:21]
	v_sub_u32_e32 v30, v49, v3
	s_waitcnt vmcnt(0)
	v_add_u32_e32 v29, v30, v29
	ds_write_b32 v28, v29
.LBB1562_73:
	s_or_b64 exec, exec, s[8:9]
	v_add_u32_e32 v30, v75, v35
	v_add3_u32 v28, v36, v34, v69
	v_add3_u32 v29, v40, v37, v70
	;; [unrolled: 1-line block ×11, first 2 shown]
	v_lshlrev_b32_e32 v31, 3, v2
	v_mov_b32_e32 v77, 0x400
	s_movk_i32 s10, 0x400
	v_add_u32_e32 v32, 0x400, v31
	v_lshl_add_u32 v33, v33, 3, v77
	v_add3_u32 v35, v67, v39, v45
	v_lshl_add_u32 v39, v76, 3, v77
	v_add3_u32 v42, v65, v42, v63
	;; [unrolled: 2-line block ×11, first 2 shown]
	v_lshl_add_u32 v36, v30, 3, v77
	s_mov_b32 s11, 0
	v_mov_b32_e32 v29, 0
	s_movk_i32 s12, 0x200
	v_mov_b32_e32 v57, v2
	s_mov_b32 s13, 0
	s_branch .LBB1562_75
.LBB1562_74:                            ;   in Loop: Header=BB1562_75 Depth=1
	s_or_b64 exec, exec, s[8:9]
	s_addk_i32 s13, 0xe000
	s_addk_i32 s11, 0xfc00
	s_cmp_eq_u32 s13, 0xffff4000
	v_add_u32_e32 v57, 0x400, v57
	s_barrier
	s_cbranch_scc1 .LBB1562_104
.LBB1562_75:                            ; =>This Inner Loop Header: Depth=1
	v_add_u32_e32 v28, s11, v30
	v_cmp_gt_u32_e64 s[6:7], s10, v28
	s_and_saveexec_b64 s[8:9], s[6:7]
	s_cbranch_execz .LBB1562_77
; %bb.76:                               ;   in Loop: Header=BB1562_75 Depth=1
	v_add_u32_e32 v28, s13, v36
	ds_write_b64 v28, v[4:5]
.LBB1562_77:                            ;   in Loop: Header=BB1562_75 Depth=1
	s_or_b64 exec, exec, s[8:9]
	v_add_u32_e32 v28, s11, v34
	v_cmp_gt_u32_e64 s[6:7], s10, v28
	s_and_saveexec_b64 s[8:9], s[6:7]
	s_cbranch_execz .LBB1562_79
; %bb.78:                               ;   in Loop: Header=BB1562_75 Depth=1
	v_add_u32_e32 v28, s13, v40
	ds_write_b64 v28, v[6:7]
.LBB1562_79:                            ;   in Loop: Header=BB1562_75 Depth=1
	s_or_b64 exec, exec, s[8:9]
	;; [unrolled: 9-line block ×12, first 2 shown]
	v_cmp_gt_u32_e64 s[6:7], s3, v57
	s_waitcnt lgkmcnt(0)
	s_barrier
	s_and_saveexec_b64 s[8:9], s[6:7]
	s_cbranch_execz .LBB1562_101
; %bb.100:                              ;   in Loop: Header=BB1562_75 Depth=1
	ds_read_b64 v[58:59], v31 offset:1024
	s_waitcnt lgkmcnt(0)
	v_lshrrev_b64 v[60:61], s24, v[58:59]
	v_and_b32_e32 v28, s33, v60
	v_lshlrev_b32_e32 v28, 2, v28
	ds_read_b32 v28, v28
	v_xor_b32_e32 v59, 0x80000000, v59
	s_waitcnt lgkmcnt(0)
	v_add_u32_e32 v28, v57, v28
	v_lshl_add_u64 v[60:61], v[28:29], 3, s[30:31]
	global_store_dwordx2 v[60:61], v[58:59], off
.LBB1562_101:                           ;   in Loop: Header=BB1562_75 Depth=1
	s_or_b64 exec, exec, s[8:9]
	v_add_u32_e32 v28, 0x200, v57
	v_cmp_gt_u32_e64 s[6:7], s3, v28
	s_and_saveexec_b64 s[8:9], s[6:7]
	s_cbranch_execz .LBB1562_74
; %bb.102:                              ;   in Loop: Header=BB1562_75 Depth=1
	ds_read_b64 v[58:59], v32 offset:4096
	s_waitcnt lgkmcnt(0)
	v_lshrrev_b64 v[60:61], s24, v[58:59]
	v_and_b32_e32 v28, s33, v60
	v_lshlrev_b32_e32 v28, 2, v28
	ds_read_b32 v28, v28
	v_xor_b32_e32 v59, 0x80000000, v59
	s_waitcnt lgkmcnt(0)
	v_add3_u32 v28, v57, v28, s12
	v_lshl_add_u64 v[60:61], v[28:29], 3, s[30:31]
	global_store_dwordx2 v[60:61], v[58:59], off
	s_branch .LBB1562_74
.LBB1562_103:
	s_mov_b64 s[8:9], 0
                                        ; implicit-def: $vgpr4
	s_cbranch_execnz .LBB1562_107
	s_branch .LBB1562_180
.LBB1562_104:
	s_add_i32 s26, s26, -1
	s_cmp_eq_u32 s26, s27
	s_cselect_b64 s[6:7], -1, 0
	s_and_b64 s[10:11], vcc, s[6:7]
	s_mov_b64 s[6:7], 0
	s_mov_b64 s[8:9], 0
                                        ; implicit-def: $vgpr4
	s_and_saveexec_b64 s[12:13], s[10:11]
	s_xor_b64 s[10:11], exec, s[12:13]
; %bb.105:
	s_mov_b64 s[8:9], exec
	v_add_u32_e32 v4, v3, v38
; %bb.106:
	s_or_b64 exec, exec, s[10:11]
	s_and_b64 vcc, exec, s[6:7]
	s_cbranch_vccz .LBB1562_180
.LBB1562_107:
	s_mov_b32 s35, 0
	s_load_dword s3, s[0:1], 0x64
	s_load_dword s12, s[0:1], 0x58
	s_lshl_b64 s[6:7], s[34:35], 3
	v_mbcnt_hi_u32_b32 v3, -1, v1
	s_add_u32 s6, s28, s6
	v_and_b32_e32 v1, 63, v3
	v_and_b32_e32 v31, 0x3c0, v2
	s_addc_u32 s7, s29, s7
	v_mov_b32_e32 v27, 0
	v_mul_u32_u24_e32 v6, 12, v31
	v_lshlrev_b32_e32 v26, 3, v1
	v_lshl_add_u64 v[4:5], s[6:7], 0, v[26:27]
	v_lshlrev_b32_e32 v26, 3, v6
	s_add_u32 s0, s0, 0x58
	v_lshl_add_u64 v[18:19], v[4:5], 0, v[26:27]
	s_addc_u32 s1, s1, 0
	s_waitcnt lgkmcnt(0)
	s_lshr_b32 s3, s3, 16
	global_load_dwordx2 v[4:5], v[18:19], off
	s_cmp_lt_u32 s2, s12
	s_cselect_b32 s2, 12, 18
	s_add_u32 s0, s0, s2
	s_addc_u32 s1, s1, 0
	global_load_ushort v38, v27, s[0:1]
	v_bfe_u32 v20, v0, 10, 10
	v_bfe_u32 v21, v0, 20, 10
	v_mul_u32_u24_e32 v0, 5, v2
	v_lshlrev_b32_e32 v30, 2, v0
	ds_write2_b32 v30, v27, v27 offset0:8 offset1:9
	ds_write2_b32 v30, v27, v27 offset0:10 offset1:11
	ds_write_b32 v30, v27 offset:48
	s_movk_i32 s0, 0x1000
	global_load_dwordx2 v[0:1], v[18:19], off offset:512
	global_load_dwordx2 v[6:7], v[18:19], off offset:1024
	;; [unrolled: 1-line block ×7, first 2 shown]
	v_add_co_u32_e32 v36, vcc, s0, v18
	v_mad_u32_u24 v40, v21, s3, v20
	s_nop 0
	v_addc_co_u32_e32 v37, vcc, 0, v19, vcc
	global_load_dwordx2 v[18:19], v[36:37], off
	global_load_dwordx2 v[20:21], v[36:37], off offset:512
	global_load_dwordx2 v[22:23], v[36:37], off offset:1024
	;; [unrolled: 1-line block ×3, first 2 shown]
	s_lshl_b32 s0, -1, s25
	s_not_b32 s13, s0
	v_mov_b32_e32 v28, v27
	v_mov_b32_e32 v32, v27
	;; [unrolled: 1-line block ×3, first 2 shown]
	s_waitcnt lgkmcnt(0)
	s_barrier
	s_waitcnt lgkmcnt(0)
	; wave barrier
	s_waitcnt vmcnt(12)
	v_xor_b32_e32 v5, 0x80000000, v5
	v_lshrrev_b64 v[36:37], s24, v[4:5]
	v_and_b32_e32 v43, s13, v36
	v_and_b32_e32 v26, 1, v43
	v_lshlrev_b32_e32 v29, 30, v43
	v_lshlrev_b32_e32 v33, 29, v43
	s_waitcnt vmcnt(11)
	v_mad_u64_u32 v[36:37], s[0:1], v40, v38, v[2:3]
	v_lshl_add_u64 v[40:41], v[26:27], 0, -1
	v_cmp_ne_u32_e32 vcc, 0, v26
	v_not_b32_e32 v26, v29
	v_lshlrev_b32_e32 v35, 28, v43
	v_cmp_gt_i64_e64 s[0:1], 0, v[28:29]
	v_cmp_gt_i64_e64 s[2:3], 0, v[32:33]
	v_not_b32_e32 v28, v33
	v_xor_b32_e32 v33, vcc_lo, v40
	v_ashrrev_i32_e32 v26, 31, v26
	v_cmp_gt_i64_e64 s[6:7], 0, v[34:35]
	v_not_b32_e32 v29, v35
	v_ashrrev_i32_e32 v28, 31, v28
	v_and_b32_e32 v33, exec_lo, v33
	v_xor_b32_e32 v34, s1, v26
	v_xor_b32_e32 v26, s0, v26
	v_xor_b32_e32 v32, vcc_hi, v41
	v_ashrrev_i32_e32 v29, 31, v29
	v_xor_b32_e32 v35, s3, v28
	v_xor_b32_e32 v28, s2, v28
	v_and_b32_e32 v26, v33, v26
	v_lshlrev_b32_e32 v39, 27, v43
	v_and_b32_e32 v32, exec_hi, v32
	v_xor_b32_e32 v37, s7, v29
	v_xor_b32_e32 v29, s6, v29
	v_and_b32_e32 v26, v26, v28
	v_and_b32_e32 v32, v32, v34
	;; [unrolled: 1-line block ×3, first 2 shown]
	v_mov_b32_e32 v38, v27
	v_not_b32_e32 v29, v39
	v_and_b32_e32 v32, v32, v35
	v_cmp_gt_i64_e32 vcc, 0, v[38:39]
	v_ashrrev_i32_e32 v29, 31, v29
	v_and_b32_e32 v28, v32, v37
	v_xor_b32_e32 v32, vcc_hi, v29
	v_xor_b32_e32 v29, vcc_lo, v29
	v_and_b32_e32 v32, v28, v32
	v_and_b32_e32 v26, v26, v29
	v_lshlrev_b32_e32 v29, 26, v43
	v_mov_b32_e32 v28, v27
	v_cmp_gt_i64_e32 vcc, 0, v[28:29]
	v_not_b32_e32 v28, v29
	v_ashrrev_i32_e32 v28, 31, v28
	v_xor_b32_e32 v29, vcc_hi, v28
	v_xor_b32_e32 v28, vcc_lo, v28
	v_and_b32_e32 v32, v32, v29
	v_and_b32_e32 v26, v26, v28
	v_lshlrev_b32_e32 v29, 25, v43
	v_mov_b32_e32 v28, v27
	v_cmp_gt_i64_e32 vcc, 0, v[28:29]
	v_not_b32_e32 v28, v29
	v_ashrrev_i32_e32 v28, 31, v28
	;; [unrolled: 9-line block ×3, first 2 shown]
	v_xor_b32_e32 v29, vcc_hi, v28
	v_xor_b32_e32 v28, vcc_lo, v28
	v_and_b32_e32 v28, v26, v28
	v_and_b32_e32 v29, v32, v29
	v_mbcnt_lo_u32_b32 v26, v28, 0
	v_mbcnt_hi_u32_b32 v33, v29, v26
	v_lshl_add_u32 v44, v43, 3, v43
	v_lshrrev_b32_e32 v42, 6, v36
	v_cmp_eq_u32_e32 vcc, 0, v33
	v_cmp_ne_u64_e64 s[0:1], 0, v[28:29]
	v_add_lshl_u32 v36, v42, v44, 2
	s_and_b64 s[2:3], s[0:1], vcc
	s_and_saveexec_b64 s[0:1], s[2:3]
	s_cbranch_execz .LBB1562_109
; %bb.108:
	v_bcnt_u32_b32 v26, v28, 0
	v_bcnt_u32_b32 v26, v29, v26
	ds_write_b32 v36, v26 offset:32
.LBB1562_109:
	s_or_b64 exec, exec, s[0:1]
	s_waitcnt vmcnt(10)
	v_xor_b32_e32 v1, 0x80000000, v1
	v_lshrrev_b64 v[28:29], s24, v[0:1]
	v_and_b32_e32 v34, s13, v28
	v_lshl_add_u32 v26, v34, 3, v34
	v_add_lshl_u32 v37, v42, v26, 2
	v_and_b32_e32 v26, 1, v34
	v_lshl_add_u64 v[28:29], v[26:27], 0, -1
	v_cmp_ne_u32_e32 vcc, 0, v26
	; wave barrier
	s_nop 1
	v_xor_b32_e32 v28, vcc_lo, v28
	v_xor_b32_e32 v26, vcc_hi, v29
	v_and_b32_e32 v35, exec_lo, v28
	v_lshlrev_b32_e32 v29, 30, v34
	v_mov_b32_e32 v28, v27
	v_cmp_gt_i64_e32 vcc, 0, v[28:29]
	v_not_b32_e32 v28, v29
	v_ashrrev_i32_e32 v28, 31, v28
	v_and_b32_e32 v26, exec_hi, v26
	v_xor_b32_e32 v29, vcc_hi, v28
	v_xor_b32_e32 v28, vcc_lo, v28
	v_and_b32_e32 v26, v26, v29
	v_and_b32_e32 v35, v35, v28
	v_lshlrev_b32_e32 v29, 29, v34
	v_mov_b32_e32 v28, v27
	v_cmp_gt_i64_e32 vcc, 0, v[28:29]
	v_not_b32_e32 v28, v29
	v_ashrrev_i32_e32 v28, 31, v28
	v_xor_b32_e32 v29, vcc_hi, v28
	v_xor_b32_e32 v28, vcc_lo, v28
	v_and_b32_e32 v26, v26, v29
	v_and_b32_e32 v35, v35, v28
	v_lshlrev_b32_e32 v29, 28, v34
	v_mov_b32_e32 v28, v27
	v_cmp_gt_i64_e32 vcc, 0, v[28:29]
	v_not_b32_e32 v28, v29
	v_ashrrev_i32_e32 v28, 31, v28
	;; [unrolled: 9-line block ×5, first 2 shown]
	v_xor_b32_e32 v29, vcc_hi, v28
	v_xor_b32_e32 v28, vcc_lo, v28
	v_and_b32_e32 v26, v26, v29
	v_lshlrev_b32_e32 v29, 24, v34
	v_and_b32_e32 v35, v35, v28
	v_mov_b32_e32 v28, v27
	v_not_b32_e32 v27, v29
	v_cmp_gt_i64_e32 vcc, 0, v[28:29]
	v_ashrrev_i32_e32 v27, 31, v27
	ds_read_b32 v32, v37 offset:32
	v_xor_b32_e32 v28, vcc_hi, v27
	v_xor_b32_e32 v29, vcc_lo, v27
	v_and_b32_e32 v27, v26, v28
	v_and_b32_e32 v26, v35, v29
	v_mbcnt_lo_u32_b32 v28, v26, 0
	v_mbcnt_hi_u32_b32 v34, v27, v28
	v_cmp_eq_u32_e32 vcc, 0, v34
	v_cmp_ne_u64_e64 s[0:1], 0, v[26:27]
	s_and_b64 s[2:3], s[0:1], vcc
	; wave barrier
	s_and_saveexec_b64 s[0:1], s[2:3]
	s_cbranch_execz .LBB1562_111
; %bb.110:
	v_bcnt_u32_b32 v26, v26, 0
	v_bcnt_u32_b32 v26, v27, v26
	s_waitcnt lgkmcnt(0)
	v_add_u32_e32 v26, v32, v26
	ds_write_b32 v37, v26 offset:32
.LBB1562_111:
	s_or_b64 exec, exec, s[0:1]
	s_waitcnt vmcnt(9)
	v_xor_b32_e32 v7, 0x80000000, v7
	v_lshrrev_b64 v[26:27], s24, v[6:7]
	v_and_b32_e32 v38, s13, v26
	v_lshl_add_u32 v26, v38, 3, v38
	v_add_lshl_u32 v40, v42, v26, 2
	v_and_b32_e32 v26, 1, v38
	v_mov_b32_e32 v27, 0
	v_lshl_add_u64 v[28:29], v[26:27], 0, -1
	v_cmp_ne_u32_e32 vcc, 0, v26
	; wave barrier
	s_nop 1
	v_xor_b32_e32 v28, vcc_lo, v28
	v_xor_b32_e32 v26, vcc_hi, v29
	v_and_b32_e32 v39, exec_lo, v28
	v_lshlrev_b32_e32 v29, 30, v38
	v_mov_b32_e32 v28, v27
	v_cmp_gt_i64_e32 vcc, 0, v[28:29]
	v_not_b32_e32 v28, v29
	v_ashrrev_i32_e32 v28, 31, v28
	v_and_b32_e32 v26, exec_hi, v26
	v_xor_b32_e32 v29, vcc_hi, v28
	v_xor_b32_e32 v28, vcc_lo, v28
	v_and_b32_e32 v26, v26, v29
	v_and_b32_e32 v39, v39, v28
	v_lshlrev_b32_e32 v29, 29, v38
	v_mov_b32_e32 v28, v27
	v_cmp_gt_i64_e32 vcc, 0, v[28:29]
	v_not_b32_e32 v28, v29
	v_ashrrev_i32_e32 v28, 31, v28
	v_xor_b32_e32 v29, vcc_hi, v28
	v_xor_b32_e32 v28, vcc_lo, v28
	v_and_b32_e32 v26, v26, v29
	v_and_b32_e32 v39, v39, v28
	v_lshlrev_b32_e32 v29, 28, v38
	v_mov_b32_e32 v28, v27
	v_cmp_gt_i64_e32 vcc, 0, v[28:29]
	v_not_b32_e32 v28, v29
	v_ashrrev_i32_e32 v28, 31, v28
	;; [unrolled: 9-line block ×6, first 2 shown]
	v_xor_b32_e32 v29, vcc_hi, v28
	v_xor_b32_e32 v28, vcc_lo, v28
	ds_read_b32 v35, v40 offset:32
	v_and_b32_e32 v28, v39, v28
	v_and_b32_e32 v29, v26, v29
	v_mbcnt_lo_u32_b32 v26, v28, 0
	v_mbcnt_hi_u32_b32 v38, v29, v26
	v_cmp_eq_u32_e32 vcc, 0, v38
	v_cmp_ne_u64_e64 s[0:1], 0, v[28:29]
	s_and_b64 s[2:3], s[0:1], vcc
	; wave barrier
	s_and_saveexec_b64 s[0:1], s[2:3]
	s_cbranch_execz .LBB1562_113
; %bb.112:
	v_bcnt_u32_b32 v26, v28, 0
	v_bcnt_u32_b32 v26, v29, v26
	s_waitcnt lgkmcnt(0)
	v_add_u32_e32 v26, v35, v26
	ds_write_b32 v40, v26 offset:32
.LBB1562_113:
	s_or_b64 exec, exec, s[0:1]
	s_waitcnt vmcnt(8)
	v_xor_b32_e32 v9, 0x80000000, v9
	v_lshrrev_b64 v[28:29], s24, v[8:9]
	v_and_b32_e32 v41, s13, v28
	v_lshl_add_u32 v26, v41, 3, v41
	v_add_lshl_u32 v44, v42, v26, 2
	v_and_b32_e32 v26, 1, v41
	v_lshl_add_u64 v[28:29], v[26:27], 0, -1
	v_cmp_ne_u32_e32 vcc, 0, v26
	; wave barrier
	s_nop 1
	v_xor_b32_e32 v28, vcc_lo, v28
	v_xor_b32_e32 v26, vcc_hi, v29
	v_and_b32_e32 v43, exec_lo, v28
	v_lshlrev_b32_e32 v29, 30, v41
	v_mov_b32_e32 v28, v27
	v_cmp_gt_i64_e32 vcc, 0, v[28:29]
	v_not_b32_e32 v28, v29
	v_ashrrev_i32_e32 v28, 31, v28
	v_and_b32_e32 v26, exec_hi, v26
	v_xor_b32_e32 v29, vcc_hi, v28
	v_xor_b32_e32 v28, vcc_lo, v28
	v_and_b32_e32 v26, v26, v29
	v_and_b32_e32 v43, v43, v28
	v_lshlrev_b32_e32 v29, 29, v41
	v_mov_b32_e32 v28, v27
	v_cmp_gt_i64_e32 vcc, 0, v[28:29]
	v_not_b32_e32 v28, v29
	v_ashrrev_i32_e32 v28, 31, v28
	v_xor_b32_e32 v29, vcc_hi, v28
	v_xor_b32_e32 v28, vcc_lo, v28
	v_and_b32_e32 v26, v26, v29
	v_and_b32_e32 v43, v43, v28
	v_lshlrev_b32_e32 v29, 28, v41
	v_mov_b32_e32 v28, v27
	v_cmp_gt_i64_e32 vcc, 0, v[28:29]
	v_not_b32_e32 v28, v29
	v_ashrrev_i32_e32 v28, 31, v28
	;; [unrolled: 9-line block ×5, first 2 shown]
	v_xor_b32_e32 v29, vcc_hi, v28
	v_xor_b32_e32 v28, vcc_lo, v28
	v_and_b32_e32 v26, v26, v29
	v_lshlrev_b32_e32 v29, 24, v41
	v_and_b32_e32 v43, v43, v28
	v_mov_b32_e32 v28, v27
	v_not_b32_e32 v27, v29
	v_cmp_gt_i64_e32 vcc, 0, v[28:29]
	v_ashrrev_i32_e32 v27, 31, v27
	ds_read_b32 v39, v44 offset:32
	v_xor_b32_e32 v28, vcc_hi, v27
	v_xor_b32_e32 v29, vcc_lo, v27
	v_and_b32_e32 v27, v26, v28
	v_and_b32_e32 v26, v43, v29
	v_mbcnt_lo_u32_b32 v28, v26, 0
	v_mbcnt_hi_u32_b32 v41, v27, v28
	v_cmp_eq_u32_e32 vcc, 0, v41
	v_cmp_ne_u64_e64 s[0:1], 0, v[26:27]
	s_and_b64 s[2:3], s[0:1], vcc
	; wave barrier
	s_and_saveexec_b64 s[0:1], s[2:3]
	s_cbranch_execz .LBB1562_115
; %bb.114:
	v_bcnt_u32_b32 v26, v26, 0
	v_bcnt_u32_b32 v26, v27, v26
	s_waitcnt lgkmcnt(0)
	v_add_u32_e32 v26, v39, v26
	ds_write_b32 v44, v26 offset:32
.LBB1562_115:
	s_or_b64 exec, exec, s[0:1]
	s_waitcnt vmcnt(7)
	v_xor_b32_e32 v11, 0x80000000, v11
	v_lshrrev_b64 v[26:27], s24, v[10:11]
	v_and_b32_e32 v45, s13, v26
	v_lshl_add_u32 v26, v45, 3, v45
	v_add_lshl_u32 v47, v42, v26, 2
	v_and_b32_e32 v26, 1, v45
	v_mov_b32_e32 v27, 0
	v_lshl_add_u64 v[28:29], v[26:27], 0, -1
	v_cmp_ne_u32_e32 vcc, 0, v26
	; wave barrier
	s_nop 1
	v_xor_b32_e32 v28, vcc_lo, v28
	v_xor_b32_e32 v26, vcc_hi, v29
	v_and_b32_e32 v46, exec_lo, v28
	v_lshlrev_b32_e32 v29, 30, v45
	v_mov_b32_e32 v28, v27
	v_cmp_gt_i64_e32 vcc, 0, v[28:29]
	v_not_b32_e32 v28, v29
	v_ashrrev_i32_e32 v28, 31, v28
	v_and_b32_e32 v26, exec_hi, v26
	v_xor_b32_e32 v29, vcc_hi, v28
	v_xor_b32_e32 v28, vcc_lo, v28
	v_and_b32_e32 v26, v26, v29
	v_and_b32_e32 v46, v46, v28
	v_lshlrev_b32_e32 v29, 29, v45
	v_mov_b32_e32 v28, v27
	v_cmp_gt_i64_e32 vcc, 0, v[28:29]
	v_not_b32_e32 v28, v29
	v_ashrrev_i32_e32 v28, 31, v28
	v_xor_b32_e32 v29, vcc_hi, v28
	v_xor_b32_e32 v28, vcc_lo, v28
	v_and_b32_e32 v26, v26, v29
	v_and_b32_e32 v46, v46, v28
	v_lshlrev_b32_e32 v29, 28, v45
	v_mov_b32_e32 v28, v27
	v_cmp_gt_i64_e32 vcc, 0, v[28:29]
	v_not_b32_e32 v28, v29
	v_ashrrev_i32_e32 v28, 31, v28
	;; [unrolled: 9-line block ×6, first 2 shown]
	v_xor_b32_e32 v29, vcc_hi, v28
	v_xor_b32_e32 v28, vcc_lo, v28
	ds_read_b32 v43, v47 offset:32
	v_and_b32_e32 v28, v46, v28
	v_and_b32_e32 v29, v26, v29
	v_mbcnt_lo_u32_b32 v26, v28, 0
	v_mbcnt_hi_u32_b32 v45, v29, v26
	v_cmp_eq_u32_e32 vcc, 0, v45
	v_cmp_ne_u64_e64 s[0:1], 0, v[28:29]
	s_and_b64 s[2:3], s[0:1], vcc
	; wave barrier
	s_and_saveexec_b64 s[0:1], s[2:3]
	s_cbranch_execz .LBB1562_117
; %bb.116:
	v_bcnt_u32_b32 v26, v28, 0
	v_bcnt_u32_b32 v26, v29, v26
	s_waitcnt lgkmcnt(0)
	v_add_u32_e32 v26, v43, v26
	ds_write_b32 v47, v26 offset:32
.LBB1562_117:
	s_or_b64 exec, exec, s[0:1]
	s_waitcnt vmcnt(6)
	v_xor_b32_e32 v13, 0x80000000, v13
	v_lshrrev_b64 v[28:29], s24, v[12:13]
	v_and_b32_e32 v48, s13, v28
	v_lshl_add_u32 v26, v48, 3, v48
	v_add_lshl_u32 v50, v42, v26, 2
	v_and_b32_e32 v26, 1, v48
	v_lshl_add_u64 v[28:29], v[26:27], 0, -1
	v_cmp_ne_u32_e32 vcc, 0, v26
	; wave barrier
	s_nop 1
	v_xor_b32_e32 v28, vcc_lo, v28
	v_xor_b32_e32 v26, vcc_hi, v29
	v_and_b32_e32 v49, exec_lo, v28
	v_lshlrev_b32_e32 v29, 30, v48
	v_mov_b32_e32 v28, v27
	v_cmp_gt_i64_e32 vcc, 0, v[28:29]
	v_not_b32_e32 v28, v29
	v_ashrrev_i32_e32 v28, 31, v28
	v_and_b32_e32 v26, exec_hi, v26
	v_xor_b32_e32 v29, vcc_hi, v28
	v_xor_b32_e32 v28, vcc_lo, v28
	v_and_b32_e32 v26, v26, v29
	v_and_b32_e32 v49, v49, v28
	v_lshlrev_b32_e32 v29, 29, v48
	v_mov_b32_e32 v28, v27
	v_cmp_gt_i64_e32 vcc, 0, v[28:29]
	v_not_b32_e32 v28, v29
	v_ashrrev_i32_e32 v28, 31, v28
	v_xor_b32_e32 v29, vcc_hi, v28
	v_xor_b32_e32 v28, vcc_lo, v28
	v_and_b32_e32 v26, v26, v29
	v_and_b32_e32 v49, v49, v28
	v_lshlrev_b32_e32 v29, 28, v48
	v_mov_b32_e32 v28, v27
	v_cmp_gt_i64_e32 vcc, 0, v[28:29]
	v_not_b32_e32 v28, v29
	v_ashrrev_i32_e32 v28, 31, v28
	;; [unrolled: 9-line block ×5, first 2 shown]
	v_xor_b32_e32 v29, vcc_hi, v28
	v_xor_b32_e32 v28, vcc_lo, v28
	v_and_b32_e32 v26, v26, v29
	v_lshlrev_b32_e32 v29, 24, v48
	v_and_b32_e32 v49, v49, v28
	v_mov_b32_e32 v28, v27
	v_not_b32_e32 v27, v29
	v_cmp_gt_i64_e32 vcc, 0, v[28:29]
	v_ashrrev_i32_e32 v27, 31, v27
	ds_read_b32 v46, v50 offset:32
	v_xor_b32_e32 v28, vcc_hi, v27
	v_xor_b32_e32 v29, vcc_lo, v27
	v_and_b32_e32 v27, v26, v28
	v_and_b32_e32 v26, v49, v29
	v_mbcnt_lo_u32_b32 v28, v26, 0
	v_mbcnt_hi_u32_b32 v48, v27, v28
	v_cmp_eq_u32_e32 vcc, 0, v48
	v_cmp_ne_u64_e64 s[0:1], 0, v[26:27]
	s_and_b64 s[2:3], s[0:1], vcc
	; wave barrier
	s_and_saveexec_b64 s[0:1], s[2:3]
	s_cbranch_execz .LBB1562_119
; %bb.118:
	v_bcnt_u32_b32 v26, v26, 0
	v_bcnt_u32_b32 v26, v27, v26
	s_waitcnt lgkmcnt(0)
	v_add_u32_e32 v26, v46, v26
	ds_write_b32 v50, v26 offset:32
.LBB1562_119:
	s_or_b64 exec, exec, s[0:1]
	s_waitcnt vmcnt(5)
	v_xor_b32_e32 v15, 0x80000000, v15
	v_lshrrev_b64 v[26:27], s24, v[14:15]
	v_and_b32_e32 v51, s13, v26
	v_lshl_add_u32 v26, v51, 3, v51
	v_add_lshl_u32 v53, v42, v26, 2
	v_and_b32_e32 v26, 1, v51
	v_mov_b32_e32 v27, 0
	v_lshl_add_u64 v[28:29], v[26:27], 0, -1
	v_cmp_ne_u32_e32 vcc, 0, v26
	; wave barrier
	s_nop 1
	v_xor_b32_e32 v28, vcc_lo, v28
	v_xor_b32_e32 v26, vcc_hi, v29
	v_and_b32_e32 v52, exec_lo, v28
	v_lshlrev_b32_e32 v29, 30, v51
	v_mov_b32_e32 v28, v27
	v_cmp_gt_i64_e32 vcc, 0, v[28:29]
	v_not_b32_e32 v28, v29
	v_ashrrev_i32_e32 v28, 31, v28
	v_and_b32_e32 v26, exec_hi, v26
	v_xor_b32_e32 v29, vcc_hi, v28
	v_xor_b32_e32 v28, vcc_lo, v28
	v_and_b32_e32 v26, v26, v29
	v_and_b32_e32 v52, v52, v28
	v_lshlrev_b32_e32 v29, 29, v51
	v_mov_b32_e32 v28, v27
	v_cmp_gt_i64_e32 vcc, 0, v[28:29]
	v_not_b32_e32 v28, v29
	v_ashrrev_i32_e32 v28, 31, v28
	v_xor_b32_e32 v29, vcc_hi, v28
	v_xor_b32_e32 v28, vcc_lo, v28
	v_and_b32_e32 v26, v26, v29
	v_and_b32_e32 v52, v52, v28
	v_lshlrev_b32_e32 v29, 28, v51
	v_mov_b32_e32 v28, v27
	v_cmp_gt_i64_e32 vcc, 0, v[28:29]
	v_not_b32_e32 v28, v29
	v_ashrrev_i32_e32 v28, 31, v28
	;; [unrolled: 9-line block ×6, first 2 shown]
	v_xor_b32_e32 v29, vcc_hi, v28
	v_xor_b32_e32 v28, vcc_lo, v28
	ds_read_b32 v49, v53 offset:32
	v_and_b32_e32 v28, v52, v28
	v_and_b32_e32 v29, v26, v29
	v_mbcnt_lo_u32_b32 v26, v28, 0
	v_mbcnt_hi_u32_b32 v51, v29, v26
	v_cmp_eq_u32_e32 vcc, 0, v51
	v_cmp_ne_u64_e64 s[0:1], 0, v[28:29]
	s_and_b64 s[2:3], s[0:1], vcc
	; wave barrier
	s_and_saveexec_b64 s[0:1], s[2:3]
	s_cbranch_execz .LBB1562_121
; %bb.120:
	v_bcnt_u32_b32 v26, v28, 0
	v_bcnt_u32_b32 v26, v29, v26
	s_waitcnt lgkmcnt(0)
	v_add_u32_e32 v26, v49, v26
	ds_write_b32 v53, v26 offset:32
.LBB1562_121:
	s_or_b64 exec, exec, s[0:1]
	s_waitcnt vmcnt(4)
	v_xor_b32_e32 v17, 0x80000000, v17
	v_lshrrev_b64 v[28:29], s24, v[16:17]
	v_and_b32_e32 v54, s13, v28
	v_lshl_add_u32 v26, v54, 3, v54
	v_add_lshl_u32 v56, v42, v26, 2
	v_and_b32_e32 v26, 1, v54
	v_lshl_add_u64 v[28:29], v[26:27], 0, -1
	v_cmp_ne_u32_e32 vcc, 0, v26
	; wave barrier
	s_nop 1
	v_xor_b32_e32 v28, vcc_lo, v28
	v_xor_b32_e32 v26, vcc_hi, v29
	v_and_b32_e32 v55, exec_lo, v28
	v_lshlrev_b32_e32 v29, 30, v54
	v_mov_b32_e32 v28, v27
	v_cmp_gt_i64_e32 vcc, 0, v[28:29]
	v_not_b32_e32 v28, v29
	v_ashrrev_i32_e32 v28, 31, v28
	v_and_b32_e32 v26, exec_hi, v26
	v_xor_b32_e32 v29, vcc_hi, v28
	v_xor_b32_e32 v28, vcc_lo, v28
	v_and_b32_e32 v26, v26, v29
	v_and_b32_e32 v55, v55, v28
	v_lshlrev_b32_e32 v29, 29, v54
	v_mov_b32_e32 v28, v27
	v_cmp_gt_i64_e32 vcc, 0, v[28:29]
	v_not_b32_e32 v28, v29
	v_ashrrev_i32_e32 v28, 31, v28
	v_xor_b32_e32 v29, vcc_hi, v28
	v_xor_b32_e32 v28, vcc_lo, v28
	v_and_b32_e32 v26, v26, v29
	v_and_b32_e32 v55, v55, v28
	v_lshlrev_b32_e32 v29, 28, v54
	v_mov_b32_e32 v28, v27
	v_cmp_gt_i64_e32 vcc, 0, v[28:29]
	v_not_b32_e32 v28, v29
	v_ashrrev_i32_e32 v28, 31, v28
	;; [unrolled: 9-line block ×5, first 2 shown]
	v_xor_b32_e32 v29, vcc_hi, v28
	v_xor_b32_e32 v28, vcc_lo, v28
	v_and_b32_e32 v26, v26, v29
	v_lshlrev_b32_e32 v29, 24, v54
	v_and_b32_e32 v55, v55, v28
	v_mov_b32_e32 v28, v27
	v_not_b32_e32 v27, v29
	v_cmp_gt_i64_e32 vcc, 0, v[28:29]
	v_ashrrev_i32_e32 v27, 31, v27
	ds_read_b32 v52, v56 offset:32
	v_xor_b32_e32 v28, vcc_hi, v27
	v_xor_b32_e32 v29, vcc_lo, v27
	v_and_b32_e32 v27, v26, v28
	v_and_b32_e32 v26, v55, v29
	v_mbcnt_lo_u32_b32 v28, v26, 0
	v_mbcnt_hi_u32_b32 v54, v27, v28
	v_cmp_eq_u32_e32 vcc, 0, v54
	v_cmp_ne_u64_e64 s[0:1], 0, v[26:27]
	s_and_b64 s[2:3], s[0:1], vcc
	; wave barrier
	s_and_saveexec_b64 s[0:1], s[2:3]
	s_cbranch_execz .LBB1562_123
; %bb.122:
	v_bcnt_u32_b32 v26, v26, 0
	v_bcnt_u32_b32 v26, v27, v26
	s_waitcnt lgkmcnt(0)
	v_add_u32_e32 v26, v52, v26
	ds_write_b32 v56, v26 offset:32
.LBB1562_123:
	s_or_b64 exec, exec, s[0:1]
	s_waitcnt vmcnt(3)
	v_xor_b32_e32 v19, 0x80000000, v19
	v_lshrrev_b64 v[26:27], s24, v[18:19]
	v_and_b32_e32 v57, s13, v26
	v_lshl_add_u32 v26, v57, 3, v57
	v_add_lshl_u32 v59, v42, v26, 2
	v_and_b32_e32 v26, 1, v57
	v_mov_b32_e32 v27, 0
	v_lshl_add_u64 v[28:29], v[26:27], 0, -1
	v_cmp_ne_u32_e32 vcc, 0, v26
	; wave barrier
	s_nop 1
	v_xor_b32_e32 v28, vcc_lo, v28
	v_xor_b32_e32 v26, vcc_hi, v29
	v_and_b32_e32 v58, exec_lo, v28
	v_lshlrev_b32_e32 v29, 30, v57
	v_mov_b32_e32 v28, v27
	v_cmp_gt_i64_e32 vcc, 0, v[28:29]
	v_not_b32_e32 v28, v29
	v_ashrrev_i32_e32 v28, 31, v28
	v_and_b32_e32 v26, exec_hi, v26
	v_xor_b32_e32 v29, vcc_hi, v28
	v_xor_b32_e32 v28, vcc_lo, v28
	v_and_b32_e32 v26, v26, v29
	v_and_b32_e32 v58, v58, v28
	v_lshlrev_b32_e32 v29, 29, v57
	v_mov_b32_e32 v28, v27
	v_cmp_gt_i64_e32 vcc, 0, v[28:29]
	v_not_b32_e32 v28, v29
	v_ashrrev_i32_e32 v28, 31, v28
	v_xor_b32_e32 v29, vcc_hi, v28
	v_xor_b32_e32 v28, vcc_lo, v28
	v_and_b32_e32 v26, v26, v29
	v_and_b32_e32 v58, v58, v28
	v_lshlrev_b32_e32 v29, 28, v57
	v_mov_b32_e32 v28, v27
	v_cmp_gt_i64_e32 vcc, 0, v[28:29]
	v_not_b32_e32 v28, v29
	v_ashrrev_i32_e32 v28, 31, v28
	;; [unrolled: 9-line block ×6, first 2 shown]
	v_xor_b32_e32 v29, vcc_hi, v28
	v_xor_b32_e32 v28, vcc_lo, v28
	ds_read_b32 v55, v59 offset:32
	v_and_b32_e32 v28, v58, v28
	v_and_b32_e32 v29, v26, v29
	v_mbcnt_lo_u32_b32 v26, v28, 0
	v_mbcnt_hi_u32_b32 v57, v29, v26
	v_cmp_eq_u32_e32 vcc, 0, v57
	v_cmp_ne_u64_e64 s[0:1], 0, v[28:29]
	s_and_b64 s[2:3], s[0:1], vcc
	; wave barrier
	s_and_saveexec_b64 s[0:1], s[2:3]
	s_cbranch_execz .LBB1562_125
; %bb.124:
	v_bcnt_u32_b32 v26, v28, 0
	v_bcnt_u32_b32 v26, v29, v26
	s_waitcnt lgkmcnt(0)
	v_add_u32_e32 v26, v55, v26
	ds_write_b32 v59, v26 offset:32
.LBB1562_125:
	s_or_b64 exec, exec, s[0:1]
	s_waitcnt vmcnt(2)
	v_xor_b32_e32 v21, 0x80000000, v21
	v_lshrrev_b64 v[28:29], s24, v[20:21]
	v_and_b32_e32 v60, s13, v28
	v_lshl_add_u32 v26, v60, 3, v60
	v_add_lshl_u32 v62, v42, v26, 2
	v_and_b32_e32 v26, 1, v60
	v_lshl_add_u64 v[28:29], v[26:27], 0, -1
	v_cmp_ne_u32_e32 vcc, 0, v26
	; wave barrier
	s_nop 1
	v_xor_b32_e32 v28, vcc_lo, v28
	v_xor_b32_e32 v26, vcc_hi, v29
	v_and_b32_e32 v61, exec_lo, v28
	v_lshlrev_b32_e32 v29, 30, v60
	v_mov_b32_e32 v28, v27
	v_cmp_gt_i64_e32 vcc, 0, v[28:29]
	v_not_b32_e32 v28, v29
	v_ashrrev_i32_e32 v28, 31, v28
	v_and_b32_e32 v26, exec_hi, v26
	v_xor_b32_e32 v29, vcc_hi, v28
	v_xor_b32_e32 v28, vcc_lo, v28
	v_and_b32_e32 v26, v26, v29
	v_and_b32_e32 v61, v61, v28
	v_lshlrev_b32_e32 v29, 29, v60
	v_mov_b32_e32 v28, v27
	v_cmp_gt_i64_e32 vcc, 0, v[28:29]
	v_not_b32_e32 v28, v29
	v_ashrrev_i32_e32 v28, 31, v28
	v_xor_b32_e32 v29, vcc_hi, v28
	v_xor_b32_e32 v28, vcc_lo, v28
	v_and_b32_e32 v26, v26, v29
	v_and_b32_e32 v61, v61, v28
	v_lshlrev_b32_e32 v29, 28, v60
	v_mov_b32_e32 v28, v27
	v_cmp_gt_i64_e32 vcc, 0, v[28:29]
	v_not_b32_e32 v28, v29
	v_ashrrev_i32_e32 v28, 31, v28
	;; [unrolled: 9-line block ×5, first 2 shown]
	v_xor_b32_e32 v29, vcc_hi, v28
	v_xor_b32_e32 v28, vcc_lo, v28
	v_and_b32_e32 v26, v26, v29
	v_lshlrev_b32_e32 v29, 24, v60
	v_and_b32_e32 v61, v61, v28
	v_mov_b32_e32 v28, v27
	v_not_b32_e32 v27, v29
	v_cmp_gt_i64_e32 vcc, 0, v[28:29]
	v_ashrrev_i32_e32 v27, 31, v27
	ds_read_b32 v58, v62 offset:32
	v_xor_b32_e32 v28, vcc_hi, v27
	v_xor_b32_e32 v29, vcc_lo, v27
	v_and_b32_e32 v27, v26, v28
	v_and_b32_e32 v26, v61, v29
	v_mbcnt_lo_u32_b32 v28, v26, 0
	v_mbcnt_hi_u32_b32 v60, v27, v28
	v_cmp_eq_u32_e32 vcc, 0, v60
	v_cmp_ne_u64_e64 s[0:1], 0, v[26:27]
	s_and_b64 s[2:3], s[0:1], vcc
	; wave barrier
	s_and_saveexec_b64 s[0:1], s[2:3]
	s_cbranch_execz .LBB1562_127
; %bb.126:
	v_bcnt_u32_b32 v26, v26, 0
	v_bcnt_u32_b32 v26, v27, v26
	s_waitcnt lgkmcnt(0)
	v_add_u32_e32 v26, v58, v26
	ds_write_b32 v62, v26 offset:32
.LBB1562_127:
	s_or_b64 exec, exec, s[0:1]
	s_waitcnt vmcnt(1)
	v_xor_b32_e32 v23, 0x80000000, v23
	v_lshrrev_b64 v[26:27], s24, v[22:23]
	v_and_b32_e32 v63, s13, v26
	v_lshl_add_u32 v26, v63, 3, v63
	v_add_lshl_u32 v64, v42, v26, 2
	v_and_b32_e32 v26, 1, v63
	v_mov_b32_e32 v27, 0
	v_lshl_add_u64 v[28:29], v[26:27], 0, -1
	v_cmp_ne_u32_e32 vcc, 0, v26
	; wave barrier
	s_nop 1
	v_xor_b32_e32 v28, vcc_lo, v28
	v_xor_b32_e32 v26, vcc_hi, v29
	v_and_b32_e32 v65, exec_lo, v28
	v_lshlrev_b32_e32 v29, 30, v63
	v_mov_b32_e32 v28, v27
	v_cmp_gt_i64_e32 vcc, 0, v[28:29]
	v_not_b32_e32 v28, v29
	v_ashrrev_i32_e32 v28, 31, v28
	v_and_b32_e32 v26, exec_hi, v26
	v_xor_b32_e32 v29, vcc_hi, v28
	v_xor_b32_e32 v28, vcc_lo, v28
	v_and_b32_e32 v26, v26, v29
	v_and_b32_e32 v65, v65, v28
	v_lshlrev_b32_e32 v29, 29, v63
	v_mov_b32_e32 v28, v27
	v_cmp_gt_i64_e32 vcc, 0, v[28:29]
	v_not_b32_e32 v28, v29
	v_ashrrev_i32_e32 v28, 31, v28
	v_xor_b32_e32 v29, vcc_hi, v28
	v_xor_b32_e32 v28, vcc_lo, v28
	v_and_b32_e32 v26, v26, v29
	v_and_b32_e32 v65, v65, v28
	v_lshlrev_b32_e32 v29, 28, v63
	v_mov_b32_e32 v28, v27
	v_cmp_gt_i64_e32 vcc, 0, v[28:29]
	v_not_b32_e32 v28, v29
	v_ashrrev_i32_e32 v28, 31, v28
	;; [unrolled: 9-line block ×6, first 2 shown]
	v_xor_b32_e32 v29, vcc_hi, v28
	v_xor_b32_e32 v28, vcc_lo, v28
	ds_read_b32 v61, v64 offset:32
	v_and_b32_e32 v28, v65, v28
	v_and_b32_e32 v29, v26, v29
	v_mbcnt_lo_u32_b32 v26, v28, 0
	v_mbcnt_hi_u32_b32 v63, v29, v26
	v_cmp_eq_u32_e32 vcc, 0, v63
	v_cmp_ne_u64_e64 s[0:1], 0, v[28:29]
	s_and_b64 s[2:3], s[0:1], vcc
	; wave barrier
	s_and_saveexec_b64 s[0:1], s[2:3]
	s_cbranch_execz .LBB1562_129
; %bb.128:
	v_bcnt_u32_b32 v26, v28, 0
	v_bcnt_u32_b32 v26, v29, v26
	s_waitcnt lgkmcnt(0)
	v_add_u32_e32 v26, v61, v26
	ds_write_b32 v64, v26 offset:32
.LBB1562_129:
	s_or_b64 exec, exec, s[0:1]
	s_waitcnt vmcnt(0)
	v_xor_b32_e32 v25, 0x80000000, v25
	v_lshrrev_b64 v[28:29], s24, v[24:25]
	v_and_b32_e32 v65, s13, v28
	v_lshl_add_u32 v26, v65, 3, v65
	v_add_lshl_u32 v66, v42, v26, 2
	v_and_b32_e32 v26, 1, v65
	v_lshl_add_u64 v[28:29], v[26:27], 0, -1
	v_cmp_ne_u32_e32 vcc, 0, v26
	; wave barrier
	s_nop 1
	v_xor_b32_e32 v28, vcc_lo, v28
	v_xor_b32_e32 v26, vcc_hi, v29
	v_and_b32_e32 v68, exec_lo, v28
	v_lshlrev_b32_e32 v29, 30, v65
	v_mov_b32_e32 v28, v27
	v_cmp_gt_i64_e32 vcc, 0, v[28:29]
	v_not_b32_e32 v28, v29
	v_ashrrev_i32_e32 v28, 31, v28
	v_and_b32_e32 v26, exec_hi, v26
	v_xor_b32_e32 v29, vcc_hi, v28
	v_xor_b32_e32 v28, vcc_lo, v28
	v_and_b32_e32 v26, v26, v29
	v_and_b32_e32 v68, v68, v28
	v_lshlrev_b32_e32 v29, 29, v65
	v_mov_b32_e32 v28, v27
	v_cmp_gt_i64_e32 vcc, 0, v[28:29]
	v_not_b32_e32 v28, v29
	v_ashrrev_i32_e32 v28, 31, v28
	v_xor_b32_e32 v29, vcc_hi, v28
	v_xor_b32_e32 v28, vcc_lo, v28
	v_and_b32_e32 v26, v26, v29
	v_and_b32_e32 v68, v68, v28
	v_lshlrev_b32_e32 v29, 28, v65
	v_mov_b32_e32 v28, v27
	v_cmp_gt_i64_e32 vcc, 0, v[28:29]
	v_not_b32_e32 v28, v29
	v_ashrrev_i32_e32 v28, 31, v28
	v_xor_b32_e32 v29, vcc_hi, v28
	v_xor_b32_e32 v28, vcc_lo, v28
	v_and_b32_e32 v26, v26, v29
	v_and_b32_e32 v68, v68, v28
	v_lshlrev_b32_e32 v29, 27, v65
	v_mov_b32_e32 v28, v27
	v_cmp_gt_i64_e32 vcc, 0, v[28:29]
	v_not_b32_e32 v28, v29
	v_ashrrev_i32_e32 v28, 31, v28
	v_xor_b32_e32 v29, vcc_hi, v28
	v_xor_b32_e32 v28, vcc_lo, v28
	v_and_b32_e32 v26, v26, v29
	v_and_b32_e32 v68, v68, v28
	v_lshlrev_b32_e32 v29, 26, v65
	v_mov_b32_e32 v28, v27
	v_cmp_gt_i64_e32 vcc, 0, v[28:29]
	v_not_b32_e32 v28, v29
	v_ashrrev_i32_e32 v28, 31, v28
	v_xor_b32_e32 v29, vcc_hi, v28
	v_xor_b32_e32 v28, vcc_lo, v28
	v_and_b32_e32 v26, v26, v29
	v_and_b32_e32 v68, v68, v28
	v_lshlrev_b32_e32 v29, 25, v65
	v_mov_b32_e32 v28, v27
	v_cmp_gt_i64_e32 vcc, 0, v[28:29]
	v_not_b32_e32 v28, v29
	v_ashrrev_i32_e32 v28, 31, v28
	v_xor_b32_e32 v29, vcc_hi, v28
	v_xor_b32_e32 v28, vcc_lo, v28
	v_and_b32_e32 v26, v26, v29
	v_lshlrev_b32_e32 v29, 24, v65
	v_and_b32_e32 v68, v68, v28
	v_mov_b32_e32 v28, v27
	v_not_b32_e32 v27, v29
	v_cmp_gt_i64_e32 vcc, 0, v[28:29]
	v_ashrrev_i32_e32 v27, 31, v27
	ds_read_b32 v42, v66 offset:32
	v_xor_b32_e32 v28, vcc_hi, v27
	v_xor_b32_e32 v29, vcc_lo, v27
	v_and_b32_e32 v27, v26, v28
	v_and_b32_e32 v26, v68, v29
	v_mbcnt_lo_u32_b32 v28, v26, 0
	v_mbcnt_hi_u32_b32 v65, v27, v28
	v_cmp_eq_u32_e32 vcc, 0, v65
	v_cmp_ne_u64_e64 s[0:1], 0, v[26:27]
	v_add_u32_e32 v67, 32, v30
	s_and_b64 s[2:3], s[0:1], vcc
	; wave barrier
	s_and_saveexec_b64 s[0:1], s[2:3]
	s_cbranch_execz .LBB1562_131
; %bb.130:
	v_bcnt_u32_b32 v26, v26, 0
	v_bcnt_u32_b32 v26, v27, v26
	s_waitcnt lgkmcnt(0)
	v_add_u32_e32 v26, v42, v26
	ds_write_b32 v66, v26 offset:32
.LBB1562_131:
	s_or_b64 exec, exec, s[0:1]
	; wave barrier
	s_waitcnt lgkmcnt(0)
	s_barrier
	ds_read2_b32 v[28:29], v30 offset0:8 offset1:9
	ds_read2_b32 v[26:27], v67 offset0:2 offset1:3
	ds_read_b32 v68, v67 offset:16
	v_min_u32_e32 v31, 0x1c0, v31
	v_or_b32_e32 v31, 63, v31
	s_waitcnt lgkmcnt(1)
	v_add3_u32 v69, v29, v28, v26
	s_waitcnt lgkmcnt(0)
	v_add3_u32 v68, v69, v27, v68
	v_and_b32_e32 v69, 15, v3
	v_cmp_ne_u32_e32 vcc, 0, v69
	v_mov_b32_dpp v70, v68 row_shr:1 row_mask:0xf bank_mask:0xf
	s_nop 0
	v_cndmask_b32_e32 v70, 0, v70, vcc
	v_add_u32_e32 v68, v70, v68
	v_cmp_lt_u32_e32 vcc, 1, v69
	s_nop 0
	v_mov_b32_dpp v70, v68 row_shr:2 row_mask:0xf bank_mask:0xf
	v_cndmask_b32_e32 v70, 0, v70, vcc
	v_add_u32_e32 v68, v68, v70
	v_cmp_lt_u32_e32 vcc, 3, v69
	s_nop 0
	v_mov_b32_dpp v70, v68 row_shr:4 row_mask:0xf bank_mask:0xf
	v_cndmask_b32_e32 v70, 0, v70, vcc
	v_add_u32_e32 v68, v68, v70
	v_cmp_lt_u32_e32 vcc, 7, v69
	s_nop 0
	v_mov_b32_dpp v70, v68 row_shr:8 row_mask:0xf bank_mask:0xf
	v_cndmask_b32_e32 v69, 0, v70, vcc
	v_add_u32_e32 v68, v68, v69
	v_bfe_i32 v70, v3, 4, 1
	v_cmp_lt_u32_e32 vcc, 31, v3
	v_mov_b32_dpp v69, v68 row_bcast:15 row_mask:0xf bank_mask:0xf
	v_and_b32_e32 v69, v70, v69
	v_add_u32_e32 v68, v68, v69
	s_nop 1
	v_mov_b32_dpp v69, v68 row_bcast:31 row_mask:0xf bank_mask:0xf
	v_cndmask_b32_e32 v69, 0, v69, vcc
	v_add_u32_e32 v68, v68, v69
	v_lshrrev_b32_e32 v69, 6, v2
	v_cmp_eq_u32_e32 vcc, v31, v2
	s_and_saveexec_b64 s[0:1], vcc
	s_cbranch_execz .LBB1562_133
; %bb.132:
	v_lshlrev_b32_e32 v31, 2, v69
	ds_write_b32 v31, v68
.LBB1562_133:
	s_or_b64 exec, exec, s[0:1]
	v_cmp_gt_u32_e32 vcc, 8, v2
	s_waitcnt lgkmcnt(0)
	s_barrier
	s_and_saveexec_b64 s[0:1], vcc
	s_cbranch_execz .LBB1562_135
; %bb.134:
	v_lshlrev_b32_e32 v31, 2, v2
	ds_read_b32 v70, v31
	v_and_b32_e32 v71, 7, v3
	v_cmp_ne_u32_e32 vcc, 0, v71
	s_waitcnt lgkmcnt(0)
	v_mov_b32_dpp v72, v70 row_shr:1 row_mask:0xf bank_mask:0xf
	v_cndmask_b32_e32 v72, 0, v72, vcc
	v_add_u32_e32 v70, v72, v70
	v_cmp_lt_u32_e32 vcc, 1, v71
	s_nop 0
	v_mov_b32_dpp v72, v70 row_shr:2 row_mask:0xf bank_mask:0xf
	v_cndmask_b32_e32 v72, 0, v72, vcc
	v_add_u32_e32 v70, v70, v72
	v_cmp_lt_u32_e32 vcc, 3, v71
	s_nop 0
	v_mov_b32_dpp v72, v70 row_shr:4 row_mask:0xf bank_mask:0xf
	v_cndmask_b32_e32 v71, 0, v72, vcc
	v_add_u32_e32 v70, v70, v71
	ds_write_b32 v31, v70
.LBB1562_135:
	s_or_b64 exec, exec, s[0:1]
	v_cmp_lt_u32_e32 vcc, 63, v2
	v_mov_b32_e32 v31, 0
	s_waitcnt lgkmcnt(0)
	s_barrier
	s_and_saveexec_b64 s[0:1], vcc
	s_cbranch_execz .LBB1562_137
; %bb.136:
	v_lshl_add_u32 v31, v69, 2, -4
	ds_read_b32 v31, v31
.LBB1562_137:
	s_or_b64 exec, exec, s[0:1]
	v_add_u32_e32 v69, -1, v3
	v_and_b32_e32 v70, 64, v3
	v_cmp_lt_i32_e32 vcc, v69, v70
	s_waitcnt lgkmcnt(0)
	v_add_u32_e32 v68, v31, v68
	s_movk_i32 s0, 0x100
	v_cndmask_b32_e32 v69, v69, v3, vcc
	v_lshlrev_b32_e32 v69, 2, v69
	ds_bpermute_b32 v68, v69, v68
	v_cmp_eq_u32_e32 vcc, 0, v3
	s_waitcnt lgkmcnt(0)
	s_nop 0
	v_cndmask_b32_e32 v3, v68, v31, vcc
	v_cndmask_b32_e64 v3, v3, 0, s[4:5]
	v_add_u32_e32 v28, v3, v28
	v_add_u32_e32 v29, v28, v29
	;; [unrolled: 1-line block ×4, first 2 shown]
	ds_write2_b32 v30, v3, v28 offset0:8 offset1:9
	ds_write2_b32 v67, v29, v26 offset0:2 offset1:3
	ds_write_b32 v67, v27 offset:16
	s_waitcnt lgkmcnt(0)
	s_barrier
	ds_read_b32 v73, v36 offset:32
	ds_read_b32 v67, v37 offset:32
	;; [unrolled: 1-line block ×12, first 2 shown]
	v_cmp_gt_u32_e32 vcc, s0, v2
                                        ; implicit-def: $vgpr3
                                        ; implicit-def: $vgpr36
	s_and_saveexec_b64 s[2:3], vcc
	s_cbranch_execz .LBB1562_141
; %bb.138:
	v_mul_u32_u24_e32 v3, 9, v2
	v_lshlrev_b32_e32 v27, 2, v3
	ds_read_b32 v3, v27 offset:32
	s_movk_i32 s0, 0xff
	v_cmp_ne_u32_e64 s[0:1], s0, v2
	v_mov_b32_e32 v26, 0x1800
	s_and_saveexec_b64 s[4:5], s[0:1]
	s_cbranch_execz .LBB1562_140
; %bb.139:
	ds_read_b32 v26, v27 offset:68
.LBB1562_140:
	s_or_b64 exec, exec, s[4:5]
	s_waitcnt lgkmcnt(0)
	v_sub_u32_e32 v36, v26, v3
.LBB1562_141:
	s_or_b64 exec, exec, s[2:3]
	s_waitcnt lgkmcnt(0)
	s_barrier
	s_and_saveexec_b64 s[2:3], vcc
	s_cbranch_execz .LBB1562_151
; %bb.142:
	v_lshl_or_b32 v28, s27, 8, v2
	v_mov_b32_e32 v29, 0
	v_lshl_add_u64 v[26:27], v[28:29], 2, s[18:19]
	v_or_b32_e32 v28, 2.0, v36
	s_mov_b64 s[4:5], 0
	s_brev_b32 s14, 1
	s_mov_b32 s15, s27
	v_mov_b32_e32 v47, 0
	global_store_dword v[26:27], v28, off sc1
                                        ; implicit-def: $sgpr0_sgpr1
	s_branch .LBB1562_145
.LBB1562_143:                           ;   in Loop: Header=BB1562_145 Depth=1
	s_or_b64 exec, exec, s[10:11]
.LBB1562_144:                           ;   in Loop: Header=BB1562_145 Depth=1
	s_or_b64 exec, exec, s[6:7]
	v_and_b32_e32 v30, 0x3fffffff, v53
	v_add_u32_e32 v47, v30, v47
	v_cmp_eq_u32_e64 s[0:1], s14, v28
	s_and_b64 s[6:7], exec, s[0:1]
	s_or_b64 s[4:5], s[6:7], s[4:5]
	s_andn2_b64 exec, exec, s[4:5]
	s_cbranch_execz .LBB1562_150
.LBB1562_145:                           ; =>This Loop Header: Depth=1
                                        ;     Child Loop BB1562_148 Depth 2
	s_or_b64 s[0:1], s[0:1], exec
	s_cmp_eq_u32 s15, 0
	s_cbranch_scc1 .LBB1562_149
; %bb.146:                              ;   in Loop: Header=BB1562_145 Depth=1
	s_add_i32 s15, s15, -1
	v_lshl_or_b32 v28, s15, 8, v2
	v_lshl_add_u64 v[30:31], v[28:29], 2, s[18:19]
	global_load_dword v53, v[30:31], off sc1
	s_waitcnt vmcnt(0)
	v_and_b32_e32 v28, -2.0, v53
	v_cmp_eq_u32_e64 s[0:1], 0, v28
	s_and_saveexec_b64 s[6:7], s[0:1]
	s_cbranch_execz .LBB1562_144
; %bb.147:                              ;   in Loop: Header=BB1562_145 Depth=1
	s_mov_b64 s[10:11], 0
.LBB1562_148:                           ;   Parent Loop BB1562_145 Depth=1
                                        ; =>  This Inner Loop Header: Depth=2
	global_load_dword v53, v[30:31], off sc1
	s_waitcnt vmcnt(0)
	v_and_b32_e32 v28, -2.0, v53
	v_cmp_ne_u32_e64 s[0:1], 0, v28
	s_or_b64 s[10:11], s[0:1], s[10:11]
	s_andn2_b64 exec, exec, s[10:11]
	s_cbranch_execnz .LBB1562_148
	s_branch .LBB1562_143
.LBB1562_149:                           ;   in Loop: Header=BB1562_145 Depth=1
                                        ; implicit-def: $sgpr15
	s_and_b64 s[6:7], exec, s[0:1]
	s_or_b64 s[4:5], s[6:7], s[4:5]
	s_andn2_b64 exec, exec, s[4:5]
	s_cbranch_execnz .LBB1562_145
.LBB1562_150:
	s_or_b64 exec, exec, s[4:5]
	v_add_u32_e32 v28, v47, v36
	v_or_b32_e32 v28, 0x80000000, v28
	global_store_dword v[26:27], v28, off sc1
	v_lshlrev_b32_e32 v26, 2, v2
	global_load_dword v27, v26, s[20:21]
	v_sub_u32_e32 v28, v47, v3
	s_waitcnt vmcnt(0)
	v_add_u32_e32 v27, v28, v27
	ds_write_b32 v26, v27
.LBB1562_151:
	s_or_b64 exec, exec, s[2:3]
	v_add_u32_e32 v28, v73, v33
	v_add3_u32 v26, v34, v32, v67
	v_add3_u32 v27, v38, v35, v68
	;; [unrolled: 1-line block ×11, first 2 shown]
	v_lshlrev_b32_e32 v29, 3, v2
	v_mov_b32_e32 v75, 0x400
	s_movk_i32 s4, 0x400
	v_add_u32_e32 v30, 0x400, v29
	v_lshl_add_u32 v31, v31, 3, v75
	v_add3_u32 v33, v65, v37, v42
	v_lshl_add_u32 v37, v74, 3, v75
	v_add3_u32 v40, v63, v40, v61
	;; [unrolled: 2-line block ×11, first 2 shown]
	v_lshl_add_u32 v34, v28, 3, v75
	s_mov_b32 s5, 0
	s_movk_i32 s6, 0x200
	v_mov_b32_e32 v27, 0
	v_mov_b32_e32 v55, v2
	s_mov_b32 s7, 0
	s_branch .LBB1562_153
.LBB1562_152:                           ;   in Loop: Header=BB1562_153 Depth=1
	s_or_b64 exec, exec, s[2:3]
	s_waitcnt lgkmcnt(0)
	s_barrier
	ds_read_b64 v[56:57], v29 offset:1024
	ds_read_b64 v[58:59], v30 offset:4096
	s_addk_i32 s7, 0xe000
	s_addk_i32 s5, 0xfc00
	s_cmp_eq_u32 s7, 0xffff4000
	s_waitcnt lgkmcnt(1)
	v_lshrrev_b64 v[60:61], s24, v[56:57]
	v_and_b32_e32 v26, s13, v60
	s_waitcnt lgkmcnt(0)
	v_lshrrev_b64 v[60:61], s24, v[58:59]
	v_lshlrev_b32_e32 v26, 2, v26
	v_and_b32_e32 v60, s13, v60
	ds_read_b32 v26, v26
	v_lshlrev_b32_e32 v60, 2, v60
	ds_read_b32 v62, v60
	v_xor_b32_e32 v57, 0x80000000, v57
	v_xor_b32_e32 v59, 0x80000000, v59
	s_waitcnt lgkmcnt(1)
	v_add_u32_e32 v26, v55, v26
	v_lshl_add_u64 v[60:61], v[26:27], 3, s[30:31]
	s_waitcnt lgkmcnt(0)
	v_add3_u32 v26, v55, v62, s6
	global_store_dwordx2 v[60:61], v[56:57], off
	v_lshl_add_u64 v[56:57], v[26:27], 3, s[30:31]
	v_add_u32_e32 v55, 0x400, v55
	global_store_dwordx2 v[56:57], v[58:59], off
	s_barrier
	s_cbranch_scc1 .LBB1562_177
.LBB1562_153:                           ; =>This Inner Loop Header: Depth=1
	v_add_u32_e32 v26, s5, v28
	v_cmp_gt_u32_e64 s[0:1], s4, v26
	s_and_saveexec_b64 s[2:3], s[0:1]
	s_cbranch_execz .LBB1562_155
; %bb.154:                              ;   in Loop: Header=BB1562_153 Depth=1
	v_add_u32_e32 v26, s7, v34
	ds_write_b64 v26, v[4:5]
.LBB1562_155:                           ;   in Loop: Header=BB1562_153 Depth=1
	s_or_b64 exec, exec, s[2:3]
	v_add_u32_e32 v26, s5, v32
	v_cmp_gt_u32_e64 s[0:1], s4, v26
	s_and_saveexec_b64 s[2:3], s[0:1]
	s_cbranch_execz .LBB1562_157
; %bb.156:                              ;   in Loop: Header=BB1562_153 Depth=1
	v_add_u32_e32 v26, s7, v38
	ds_write_b64 v26, v[0:1]
.LBB1562_157:                           ;   in Loop: Header=BB1562_153 Depth=1
	s_or_b64 exec, exec, s[2:3]
	;; [unrolled: 9-line block ×11, first 2 shown]
	v_add_u32_e32 v26, s5, v33
	v_cmp_gt_u32_e64 s[0:1], s4, v26
	s_and_saveexec_b64 s[2:3], s[0:1]
	s_cbranch_execz .LBB1562_152
; %bb.176:                              ;   in Loop: Header=BB1562_153 Depth=1
	v_add_u32_e32 v26, s7, v31
	ds_write_b64 v26, v[24:25]
	s_branch .LBB1562_152
.LBB1562_177:
	s_add_i32 s12, s12, -1
	s_cmp_eq_u32 s12, s27
	s_cselect_b64 s[0:1], -1, 0
	s_and_b64 s[2:3], vcc, s[0:1]
                                        ; implicit-def: $vgpr4
	s_and_saveexec_b64 s[0:1], s[2:3]
; %bb.178:
	v_add_u32_e32 v4, v3, v36
	s_or_b64 s[8:9], s[8:9], exec
; %bb.179:
	s_or_b64 exec, exec, s[0:1]
.LBB1562_180:
	s_and_saveexec_b64 s[0:1], s[8:9]
	s_cbranch_execnz .LBB1562_182
; %bb.181:
	s_endpgm
.LBB1562_182:
	v_lshlrev_b32_e32 v0, 2, v2
	ds_read_b32 v1, v0
	s_waitcnt lgkmcnt(0)
	v_add_u32_e32 v1, v1, v4
	global_store_dword v0, v1, s[22:23]
	s_endpgm
	.section	.rodata,"a",@progbits
	.p2align	6, 0x0
	.amdhsa_kernel _ZN7rocprim17ROCPRIM_400000_NS6detail17trampoline_kernelINS0_14default_configENS1_35radix_sort_onesweep_config_selectorIxNS0_10empty_typeEEEZZNS1_29radix_sort_onesweep_iterationIS3_Lb0EN6thrust23THRUST_200600_302600_NS6detail15normal_iteratorINS9_10device_ptrIxEEEESE_PS5_SF_jNS0_19identity_decomposerENS1_16block_id_wrapperIjLb1EEEEE10hipError_tT1_PNSt15iterator_traitsISK_E10value_typeET2_T3_PNSL_ISQ_E10value_typeET4_T5_PSV_SW_PNS1_23onesweep_lookback_stateEbbT6_jjT7_P12ihipStream_tbENKUlT_T0_SK_SP_E_clIPxSE_SF_SF_EEDaS13_S14_SK_SP_EUlS13_E_NS1_11comp_targetILNS1_3genE5ELNS1_11target_archE942ELNS1_3gpuE9ELNS1_3repE0EEENS1_47radix_sort_onesweep_sort_config_static_selectorELNS0_4arch9wavefront6targetE1EEEvSK_
		.amdhsa_group_segment_fixed_size 10280
		.amdhsa_private_segment_fixed_size 0
		.amdhsa_kernarg_size 344
		.amdhsa_user_sgpr_count 2
		.amdhsa_user_sgpr_dispatch_ptr 0
		.amdhsa_user_sgpr_queue_ptr 0
		.amdhsa_user_sgpr_kernarg_segment_ptr 1
		.amdhsa_user_sgpr_dispatch_id 0
		.amdhsa_user_sgpr_kernarg_preload_length 0
		.amdhsa_user_sgpr_kernarg_preload_offset 0
		.amdhsa_user_sgpr_private_segment_size 0
		.amdhsa_uses_dynamic_stack 0
		.amdhsa_enable_private_segment 0
		.amdhsa_system_sgpr_workgroup_id_x 1
		.amdhsa_system_sgpr_workgroup_id_y 0
		.amdhsa_system_sgpr_workgroup_id_z 0
		.amdhsa_system_sgpr_workgroup_info 0
		.amdhsa_system_vgpr_workitem_id 2
		.amdhsa_next_free_vgpr 78
		.amdhsa_next_free_sgpr 36
		.amdhsa_accum_offset 80
		.amdhsa_reserve_vcc 1
		.amdhsa_float_round_mode_32 0
		.amdhsa_float_round_mode_16_64 0
		.amdhsa_float_denorm_mode_32 3
		.amdhsa_float_denorm_mode_16_64 3
		.amdhsa_dx10_clamp 1
		.amdhsa_ieee_mode 1
		.amdhsa_fp16_overflow 0
		.amdhsa_tg_split 0
		.amdhsa_exception_fp_ieee_invalid_op 0
		.amdhsa_exception_fp_denorm_src 0
		.amdhsa_exception_fp_ieee_div_zero 0
		.amdhsa_exception_fp_ieee_overflow 0
		.amdhsa_exception_fp_ieee_underflow 0
		.amdhsa_exception_fp_ieee_inexact 0
		.amdhsa_exception_int_div_zero 0
	.end_amdhsa_kernel
	.section	.text._ZN7rocprim17ROCPRIM_400000_NS6detail17trampoline_kernelINS0_14default_configENS1_35radix_sort_onesweep_config_selectorIxNS0_10empty_typeEEEZZNS1_29radix_sort_onesweep_iterationIS3_Lb0EN6thrust23THRUST_200600_302600_NS6detail15normal_iteratorINS9_10device_ptrIxEEEESE_PS5_SF_jNS0_19identity_decomposerENS1_16block_id_wrapperIjLb1EEEEE10hipError_tT1_PNSt15iterator_traitsISK_E10value_typeET2_T3_PNSL_ISQ_E10value_typeET4_T5_PSV_SW_PNS1_23onesweep_lookback_stateEbbT6_jjT7_P12ihipStream_tbENKUlT_T0_SK_SP_E_clIPxSE_SF_SF_EEDaS13_S14_SK_SP_EUlS13_E_NS1_11comp_targetILNS1_3genE5ELNS1_11target_archE942ELNS1_3gpuE9ELNS1_3repE0EEENS1_47radix_sort_onesweep_sort_config_static_selectorELNS0_4arch9wavefront6targetE1EEEvSK_,"axG",@progbits,_ZN7rocprim17ROCPRIM_400000_NS6detail17trampoline_kernelINS0_14default_configENS1_35radix_sort_onesweep_config_selectorIxNS0_10empty_typeEEEZZNS1_29radix_sort_onesweep_iterationIS3_Lb0EN6thrust23THRUST_200600_302600_NS6detail15normal_iteratorINS9_10device_ptrIxEEEESE_PS5_SF_jNS0_19identity_decomposerENS1_16block_id_wrapperIjLb1EEEEE10hipError_tT1_PNSt15iterator_traitsISK_E10value_typeET2_T3_PNSL_ISQ_E10value_typeET4_T5_PSV_SW_PNS1_23onesweep_lookback_stateEbbT6_jjT7_P12ihipStream_tbENKUlT_T0_SK_SP_E_clIPxSE_SF_SF_EEDaS13_S14_SK_SP_EUlS13_E_NS1_11comp_targetILNS1_3genE5ELNS1_11target_archE942ELNS1_3gpuE9ELNS1_3repE0EEENS1_47radix_sort_onesweep_sort_config_static_selectorELNS0_4arch9wavefront6targetE1EEEvSK_,comdat
.Lfunc_end1562:
	.size	_ZN7rocprim17ROCPRIM_400000_NS6detail17trampoline_kernelINS0_14default_configENS1_35radix_sort_onesweep_config_selectorIxNS0_10empty_typeEEEZZNS1_29radix_sort_onesweep_iterationIS3_Lb0EN6thrust23THRUST_200600_302600_NS6detail15normal_iteratorINS9_10device_ptrIxEEEESE_PS5_SF_jNS0_19identity_decomposerENS1_16block_id_wrapperIjLb1EEEEE10hipError_tT1_PNSt15iterator_traitsISK_E10value_typeET2_T3_PNSL_ISQ_E10value_typeET4_T5_PSV_SW_PNS1_23onesweep_lookback_stateEbbT6_jjT7_P12ihipStream_tbENKUlT_T0_SK_SP_E_clIPxSE_SF_SF_EEDaS13_S14_SK_SP_EUlS13_E_NS1_11comp_targetILNS1_3genE5ELNS1_11target_archE942ELNS1_3gpuE9ELNS1_3repE0EEENS1_47radix_sort_onesweep_sort_config_static_selectorELNS0_4arch9wavefront6targetE1EEEvSK_, .Lfunc_end1562-_ZN7rocprim17ROCPRIM_400000_NS6detail17trampoline_kernelINS0_14default_configENS1_35radix_sort_onesweep_config_selectorIxNS0_10empty_typeEEEZZNS1_29radix_sort_onesweep_iterationIS3_Lb0EN6thrust23THRUST_200600_302600_NS6detail15normal_iteratorINS9_10device_ptrIxEEEESE_PS5_SF_jNS0_19identity_decomposerENS1_16block_id_wrapperIjLb1EEEEE10hipError_tT1_PNSt15iterator_traitsISK_E10value_typeET2_T3_PNSL_ISQ_E10value_typeET4_T5_PSV_SW_PNS1_23onesweep_lookback_stateEbbT6_jjT7_P12ihipStream_tbENKUlT_T0_SK_SP_E_clIPxSE_SF_SF_EEDaS13_S14_SK_SP_EUlS13_E_NS1_11comp_targetILNS1_3genE5ELNS1_11target_archE942ELNS1_3gpuE9ELNS1_3repE0EEENS1_47radix_sort_onesweep_sort_config_static_selectorELNS0_4arch9wavefront6targetE1EEEvSK_
                                        ; -- End function
	.section	.AMDGPU.csdata,"",@progbits
; Kernel info:
; codeLenInByte = 15268
; NumSgprs: 42
; NumVgprs: 78
; NumAgprs: 0
; TotalNumVgprs: 78
; ScratchSize: 0
; MemoryBound: 0
; FloatMode: 240
; IeeeMode: 1
; LDSByteSize: 10280 bytes/workgroup (compile time only)
; SGPRBlocks: 5
; VGPRBlocks: 9
; NumSGPRsForWavesPerEU: 42
; NumVGPRsForWavesPerEU: 78
; AccumOffset: 80
; Occupancy: 6
; WaveLimiterHint : 1
; COMPUTE_PGM_RSRC2:SCRATCH_EN: 0
; COMPUTE_PGM_RSRC2:USER_SGPR: 2
; COMPUTE_PGM_RSRC2:TRAP_HANDLER: 0
; COMPUTE_PGM_RSRC2:TGID_X_EN: 1
; COMPUTE_PGM_RSRC2:TGID_Y_EN: 0
; COMPUTE_PGM_RSRC2:TGID_Z_EN: 0
; COMPUTE_PGM_RSRC2:TIDIG_COMP_CNT: 2
; COMPUTE_PGM_RSRC3_GFX90A:ACCUM_OFFSET: 19
; COMPUTE_PGM_RSRC3_GFX90A:TG_SPLIT: 0
	.section	.text._ZN7rocprim17ROCPRIM_400000_NS6detail17trampoline_kernelINS0_14default_configENS1_35radix_sort_onesweep_config_selectorIxNS0_10empty_typeEEEZZNS1_29radix_sort_onesweep_iterationIS3_Lb0EN6thrust23THRUST_200600_302600_NS6detail15normal_iteratorINS9_10device_ptrIxEEEESE_PS5_SF_jNS0_19identity_decomposerENS1_16block_id_wrapperIjLb1EEEEE10hipError_tT1_PNSt15iterator_traitsISK_E10value_typeET2_T3_PNSL_ISQ_E10value_typeET4_T5_PSV_SW_PNS1_23onesweep_lookback_stateEbbT6_jjT7_P12ihipStream_tbENKUlT_T0_SK_SP_E_clIPxSE_SF_SF_EEDaS13_S14_SK_SP_EUlS13_E_NS1_11comp_targetILNS1_3genE2ELNS1_11target_archE906ELNS1_3gpuE6ELNS1_3repE0EEENS1_47radix_sort_onesweep_sort_config_static_selectorELNS0_4arch9wavefront6targetE1EEEvSK_,"axG",@progbits,_ZN7rocprim17ROCPRIM_400000_NS6detail17trampoline_kernelINS0_14default_configENS1_35radix_sort_onesweep_config_selectorIxNS0_10empty_typeEEEZZNS1_29radix_sort_onesweep_iterationIS3_Lb0EN6thrust23THRUST_200600_302600_NS6detail15normal_iteratorINS9_10device_ptrIxEEEESE_PS5_SF_jNS0_19identity_decomposerENS1_16block_id_wrapperIjLb1EEEEE10hipError_tT1_PNSt15iterator_traitsISK_E10value_typeET2_T3_PNSL_ISQ_E10value_typeET4_T5_PSV_SW_PNS1_23onesweep_lookback_stateEbbT6_jjT7_P12ihipStream_tbENKUlT_T0_SK_SP_E_clIPxSE_SF_SF_EEDaS13_S14_SK_SP_EUlS13_E_NS1_11comp_targetILNS1_3genE2ELNS1_11target_archE906ELNS1_3gpuE6ELNS1_3repE0EEENS1_47radix_sort_onesweep_sort_config_static_selectorELNS0_4arch9wavefront6targetE1EEEvSK_,comdat
	.protected	_ZN7rocprim17ROCPRIM_400000_NS6detail17trampoline_kernelINS0_14default_configENS1_35radix_sort_onesweep_config_selectorIxNS0_10empty_typeEEEZZNS1_29radix_sort_onesweep_iterationIS3_Lb0EN6thrust23THRUST_200600_302600_NS6detail15normal_iteratorINS9_10device_ptrIxEEEESE_PS5_SF_jNS0_19identity_decomposerENS1_16block_id_wrapperIjLb1EEEEE10hipError_tT1_PNSt15iterator_traitsISK_E10value_typeET2_T3_PNSL_ISQ_E10value_typeET4_T5_PSV_SW_PNS1_23onesweep_lookback_stateEbbT6_jjT7_P12ihipStream_tbENKUlT_T0_SK_SP_E_clIPxSE_SF_SF_EEDaS13_S14_SK_SP_EUlS13_E_NS1_11comp_targetILNS1_3genE2ELNS1_11target_archE906ELNS1_3gpuE6ELNS1_3repE0EEENS1_47radix_sort_onesweep_sort_config_static_selectorELNS0_4arch9wavefront6targetE1EEEvSK_ ; -- Begin function _ZN7rocprim17ROCPRIM_400000_NS6detail17trampoline_kernelINS0_14default_configENS1_35radix_sort_onesweep_config_selectorIxNS0_10empty_typeEEEZZNS1_29radix_sort_onesweep_iterationIS3_Lb0EN6thrust23THRUST_200600_302600_NS6detail15normal_iteratorINS9_10device_ptrIxEEEESE_PS5_SF_jNS0_19identity_decomposerENS1_16block_id_wrapperIjLb1EEEEE10hipError_tT1_PNSt15iterator_traitsISK_E10value_typeET2_T3_PNSL_ISQ_E10value_typeET4_T5_PSV_SW_PNS1_23onesweep_lookback_stateEbbT6_jjT7_P12ihipStream_tbENKUlT_T0_SK_SP_E_clIPxSE_SF_SF_EEDaS13_S14_SK_SP_EUlS13_E_NS1_11comp_targetILNS1_3genE2ELNS1_11target_archE906ELNS1_3gpuE6ELNS1_3repE0EEENS1_47radix_sort_onesweep_sort_config_static_selectorELNS0_4arch9wavefront6targetE1EEEvSK_
	.globl	_ZN7rocprim17ROCPRIM_400000_NS6detail17trampoline_kernelINS0_14default_configENS1_35radix_sort_onesweep_config_selectorIxNS0_10empty_typeEEEZZNS1_29radix_sort_onesweep_iterationIS3_Lb0EN6thrust23THRUST_200600_302600_NS6detail15normal_iteratorINS9_10device_ptrIxEEEESE_PS5_SF_jNS0_19identity_decomposerENS1_16block_id_wrapperIjLb1EEEEE10hipError_tT1_PNSt15iterator_traitsISK_E10value_typeET2_T3_PNSL_ISQ_E10value_typeET4_T5_PSV_SW_PNS1_23onesweep_lookback_stateEbbT6_jjT7_P12ihipStream_tbENKUlT_T0_SK_SP_E_clIPxSE_SF_SF_EEDaS13_S14_SK_SP_EUlS13_E_NS1_11comp_targetILNS1_3genE2ELNS1_11target_archE906ELNS1_3gpuE6ELNS1_3repE0EEENS1_47radix_sort_onesweep_sort_config_static_selectorELNS0_4arch9wavefront6targetE1EEEvSK_
	.p2align	8
	.type	_ZN7rocprim17ROCPRIM_400000_NS6detail17trampoline_kernelINS0_14default_configENS1_35radix_sort_onesweep_config_selectorIxNS0_10empty_typeEEEZZNS1_29radix_sort_onesweep_iterationIS3_Lb0EN6thrust23THRUST_200600_302600_NS6detail15normal_iteratorINS9_10device_ptrIxEEEESE_PS5_SF_jNS0_19identity_decomposerENS1_16block_id_wrapperIjLb1EEEEE10hipError_tT1_PNSt15iterator_traitsISK_E10value_typeET2_T3_PNSL_ISQ_E10value_typeET4_T5_PSV_SW_PNS1_23onesweep_lookback_stateEbbT6_jjT7_P12ihipStream_tbENKUlT_T0_SK_SP_E_clIPxSE_SF_SF_EEDaS13_S14_SK_SP_EUlS13_E_NS1_11comp_targetILNS1_3genE2ELNS1_11target_archE906ELNS1_3gpuE6ELNS1_3repE0EEENS1_47radix_sort_onesweep_sort_config_static_selectorELNS0_4arch9wavefront6targetE1EEEvSK_,@function
_ZN7rocprim17ROCPRIM_400000_NS6detail17trampoline_kernelINS0_14default_configENS1_35radix_sort_onesweep_config_selectorIxNS0_10empty_typeEEEZZNS1_29radix_sort_onesweep_iterationIS3_Lb0EN6thrust23THRUST_200600_302600_NS6detail15normal_iteratorINS9_10device_ptrIxEEEESE_PS5_SF_jNS0_19identity_decomposerENS1_16block_id_wrapperIjLb1EEEEE10hipError_tT1_PNSt15iterator_traitsISK_E10value_typeET2_T3_PNSL_ISQ_E10value_typeET4_T5_PSV_SW_PNS1_23onesweep_lookback_stateEbbT6_jjT7_P12ihipStream_tbENKUlT_T0_SK_SP_E_clIPxSE_SF_SF_EEDaS13_S14_SK_SP_EUlS13_E_NS1_11comp_targetILNS1_3genE2ELNS1_11target_archE906ELNS1_3gpuE6ELNS1_3repE0EEENS1_47radix_sort_onesweep_sort_config_static_selectorELNS0_4arch9wavefront6targetE1EEEvSK_: ; @_ZN7rocprim17ROCPRIM_400000_NS6detail17trampoline_kernelINS0_14default_configENS1_35radix_sort_onesweep_config_selectorIxNS0_10empty_typeEEEZZNS1_29radix_sort_onesweep_iterationIS3_Lb0EN6thrust23THRUST_200600_302600_NS6detail15normal_iteratorINS9_10device_ptrIxEEEESE_PS5_SF_jNS0_19identity_decomposerENS1_16block_id_wrapperIjLb1EEEEE10hipError_tT1_PNSt15iterator_traitsISK_E10value_typeET2_T3_PNSL_ISQ_E10value_typeET4_T5_PSV_SW_PNS1_23onesweep_lookback_stateEbbT6_jjT7_P12ihipStream_tbENKUlT_T0_SK_SP_E_clIPxSE_SF_SF_EEDaS13_S14_SK_SP_EUlS13_E_NS1_11comp_targetILNS1_3genE2ELNS1_11target_archE906ELNS1_3gpuE6ELNS1_3repE0EEENS1_47radix_sort_onesweep_sort_config_static_selectorELNS0_4arch9wavefront6targetE1EEEvSK_
; %bb.0:
	.section	.rodata,"a",@progbits
	.p2align	6, 0x0
	.amdhsa_kernel _ZN7rocprim17ROCPRIM_400000_NS6detail17trampoline_kernelINS0_14default_configENS1_35radix_sort_onesweep_config_selectorIxNS0_10empty_typeEEEZZNS1_29radix_sort_onesweep_iterationIS3_Lb0EN6thrust23THRUST_200600_302600_NS6detail15normal_iteratorINS9_10device_ptrIxEEEESE_PS5_SF_jNS0_19identity_decomposerENS1_16block_id_wrapperIjLb1EEEEE10hipError_tT1_PNSt15iterator_traitsISK_E10value_typeET2_T3_PNSL_ISQ_E10value_typeET4_T5_PSV_SW_PNS1_23onesweep_lookback_stateEbbT6_jjT7_P12ihipStream_tbENKUlT_T0_SK_SP_E_clIPxSE_SF_SF_EEDaS13_S14_SK_SP_EUlS13_E_NS1_11comp_targetILNS1_3genE2ELNS1_11target_archE906ELNS1_3gpuE6ELNS1_3repE0EEENS1_47radix_sort_onesweep_sort_config_static_selectorELNS0_4arch9wavefront6targetE1EEEvSK_
		.amdhsa_group_segment_fixed_size 0
		.amdhsa_private_segment_fixed_size 0
		.amdhsa_kernarg_size 88
		.amdhsa_user_sgpr_count 2
		.amdhsa_user_sgpr_dispatch_ptr 0
		.amdhsa_user_sgpr_queue_ptr 0
		.amdhsa_user_sgpr_kernarg_segment_ptr 1
		.amdhsa_user_sgpr_dispatch_id 0
		.amdhsa_user_sgpr_kernarg_preload_length 0
		.amdhsa_user_sgpr_kernarg_preload_offset 0
		.amdhsa_user_sgpr_private_segment_size 0
		.amdhsa_uses_dynamic_stack 0
		.amdhsa_enable_private_segment 0
		.amdhsa_system_sgpr_workgroup_id_x 1
		.amdhsa_system_sgpr_workgroup_id_y 0
		.amdhsa_system_sgpr_workgroup_id_z 0
		.amdhsa_system_sgpr_workgroup_info 0
		.amdhsa_system_vgpr_workitem_id 0
		.amdhsa_next_free_vgpr 1
		.amdhsa_next_free_sgpr 0
		.amdhsa_accum_offset 4
		.amdhsa_reserve_vcc 0
		.amdhsa_float_round_mode_32 0
		.amdhsa_float_round_mode_16_64 0
		.amdhsa_float_denorm_mode_32 3
		.amdhsa_float_denorm_mode_16_64 3
		.amdhsa_dx10_clamp 1
		.amdhsa_ieee_mode 1
		.amdhsa_fp16_overflow 0
		.amdhsa_tg_split 0
		.amdhsa_exception_fp_ieee_invalid_op 0
		.amdhsa_exception_fp_denorm_src 0
		.amdhsa_exception_fp_ieee_div_zero 0
		.amdhsa_exception_fp_ieee_overflow 0
		.amdhsa_exception_fp_ieee_underflow 0
		.amdhsa_exception_fp_ieee_inexact 0
		.amdhsa_exception_int_div_zero 0
	.end_amdhsa_kernel
	.section	.text._ZN7rocprim17ROCPRIM_400000_NS6detail17trampoline_kernelINS0_14default_configENS1_35radix_sort_onesweep_config_selectorIxNS0_10empty_typeEEEZZNS1_29radix_sort_onesweep_iterationIS3_Lb0EN6thrust23THRUST_200600_302600_NS6detail15normal_iteratorINS9_10device_ptrIxEEEESE_PS5_SF_jNS0_19identity_decomposerENS1_16block_id_wrapperIjLb1EEEEE10hipError_tT1_PNSt15iterator_traitsISK_E10value_typeET2_T3_PNSL_ISQ_E10value_typeET4_T5_PSV_SW_PNS1_23onesweep_lookback_stateEbbT6_jjT7_P12ihipStream_tbENKUlT_T0_SK_SP_E_clIPxSE_SF_SF_EEDaS13_S14_SK_SP_EUlS13_E_NS1_11comp_targetILNS1_3genE2ELNS1_11target_archE906ELNS1_3gpuE6ELNS1_3repE0EEENS1_47radix_sort_onesweep_sort_config_static_selectorELNS0_4arch9wavefront6targetE1EEEvSK_,"axG",@progbits,_ZN7rocprim17ROCPRIM_400000_NS6detail17trampoline_kernelINS0_14default_configENS1_35radix_sort_onesweep_config_selectorIxNS0_10empty_typeEEEZZNS1_29radix_sort_onesweep_iterationIS3_Lb0EN6thrust23THRUST_200600_302600_NS6detail15normal_iteratorINS9_10device_ptrIxEEEESE_PS5_SF_jNS0_19identity_decomposerENS1_16block_id_wrapperIjLb1EEEEE10hipError_tT1_PNSt15iterator_traitsISK_E10value_typeET2_T3_PNSL_ISQ_E10value_typeET4_T5_PSV_SW_PNS1_23onesweep_lookback_stateEbbT6_jjT7_P12ihipStream_tbENKUlT_T0_SK_SP_E_clIPxSE_SF_SF_EEDaS13_S14_SK_SP_EUlS13_E_NS1_11comp_targetILNS1_3genE2ELNS1_11target_archE906ELNS1_3gpuE6ELNS1_3repE0EEENS1_47radix_sort_onesweep_sort_config_static_selectorELNS0_4arch9wavefront6targetE1EEEvSK_,comdat
.Lfunc_end1563:
	.size	_ZN7rocprim17ROCPRIM_400000_NS6detail17trampoline_kernelINS0_14default_configENS1_35radix_sort_onesweep_config_selectorIxNS0_10empty_typeEEEZZNS1_29radix_sort_onesweep_iterationIS3_Lb0EN6thrust23THRUST_200600_302600_NS6detail15normal_iteratorINS9_10device_ptrIxEEEESE_PS5_SF_jNS0_19identity_decomposerENS1_16block_id_wrapperIjLb1EEEEE10hipError_tT1_PNSt15iterator_traitsISK_E10value_typeET2_T3_PNSL_ISQ_E10value_typeET4_T5_PSV_SW_PNS1_23onesweep_lookback_stateEbbT6_jjT7_P12ihipStream_tbENKUlT_T0_SK_SP_E_clIPxSE_SF_SF_EEDaS13_S14_SK_SP_EUlS13_E_NS1_11comp_targetILNS1_3genE2ELNS1_11target_archE906ELNS1_3gpuE6ELNS1_3repE0EEENS1_47radix_sort_onesweep_sort_config_static_selectorELNS0_4arch9wavefront6targetE1EEEvSK_, .Lfunc_end1563-_ZN7rocprim17ROCPRIM_400000_NS6detail17trampoline_kernelINS0_14default_configENS1_35radix_sort_onesweep_config_selectorIxNS0_10empty_typeEEEZZNS1_29radix_sort_onesweep_iterationIS3_Lb0EN6thrust23THRUST_200600_302600_NS6detail15normal_iteratorINS9_10device_ptrIxEEEESE_PS5_SF_jNS0_19identity_decomposerENS1_16block_id_wrapperIjLb1EEEEE10hipError_tT1_PNSt15iterator_traitsISK_E10value_typeET2_T3_PNSL_ISQ_E10value_typeET4_T5_PSV_SW_PNS1_23onesweep_lookback_stateEbbT6_jjT7_P12ihipStream_tbENKUlT_T0_SK_SP_E_clIPxSE_SF_SF_EEDaS13_S14_SK_SP_EUlS13_E_NS1_11comp_targetILNS1_3genE2ELNS1_11target_archE906ELNS1_3gpuE6ELNS1_3repE0EEENS1_47radix_sort_onesweep_sort_config_static_selectorELNS0_4arch9wavefront6targetE1EEEvSK_
                                        ; -- End function
	.section	.AMDGPU.csdata,"",@progbits
; Kernel info:
; codeLenInByte = 0
; NumSgprs: 6
; NumVgprs: 0
; NumAgprs: 0
; TotalNumVgprs: 0
; ScratchSize: 0
; MemoryBound: 0
; FloatMode: 240
; IeeeMode: 1
; LDSByteSize: 0 bytes/workgroup (compile time only)
; SGPRBlocks: 0
; VGPRBlocks: 0
; NumSGPRsForWavesPerEU: 6
; NumVGPRsForWavesPerEU: 1
; AccumOffset: 4
; Occupancy: 8
; WaveLimiterHint : 0
; COMPUTE_PGM_RSRC2:SCRATCH_EN: 0
; COMPUTE_PGM_RSRC2:USER_SGPR: 2
; COMPUTE_PGM_RSRC2:TRAP_HANDLER: 0
; COMPUTE_PGM_RSRC2:TGID_X_EN: 1
; COMPUTE_PGM_RSRC2:TGID_Y_EN: 0
; COMPUTE_PGM_RSRC2:TGID_Z_EN: 0
; COMPUTE_PGM_RSRC2:TIDIG_COMP_CNT: 0
; COMPUTE_PGM_RSRC3_GFX90A:ACCUM_OFFSET: 0
; COMPUTE_PGM_RSRC3_GFX90A:TG_SPLIT: 0
	.section	.text._ZN7rocprim17ROCPRIM_400000_NS6detail17trampoline_kernelINS0_14default_configENS1_35radix_sort_onesweep_config_selectorIxNS0_10empty_typeEEEZZNS1_29radix_sort_onesweep_iterationIS3_Lb0EN6thrust23THRUST_200600_302600_NS6detail15normal_iteratorINS9_10device_ptrIxEEEESE_PS5_SF_jNS0_19identity_decomposerENS1_16block_id_wrapperIjLb1EEEEE10hipError_tT1_PNSt15iterator_traitsISK_E10value_typeET2_T3_PNSL_ISQ_E10value_typeET4_T5_PSV_SW_PNS1_23onesweep_lookback_stateEbbT6_jjT7_P12ihipStream_tbENKUlT_T0_SK_SP_E_clIPxSE_SF_SF_EEDaS13_S14_SK_SP_EUlS13_E_NS1_11comp_targetILNS1_3genE4ELNS1_11target_archE910ELNS1_3gpuE8ELNS1_3repE0EEENS1_47radix_sort_onesweep_sort_config_static_selectorELNS0_4arch9wavefront6targetE1EEEvSK_,"axG",@progbits,_ZN7rocprim17ROCPRIM_400000_NS6detail17trampoline_kernelINS0_14default_configENS1_35radix_sort_onesweep_config_selectorIxNS0_10empty_typeEEEZZNS1_29radix_sort_onesweep_iterationIS3_Lb0EN6thrust23THRUST_200600_302600_NS6detail15normal_iteratorINS9_10device_ptrIxEEEESE_PS5_SF_jNS0_19identity_decomposerENS1_16block_id_wrapperIjLb1EEEEE10hipError_tT1_PNSt15iterator_traitsISK_E10value_typeET2_T3_PNSL_ISQ_E10value_typeET4_T5_PSV_SW_PNS1_23onesweep_lookback_stateEbbT6_jjT7_P12ihipStream_tbENKUlT_T0_SK_SP_E_clIPxSE_SF_SF_EEDaS13_S14_SK_SP_EUlS13_E_NS1_11comp_targetILNS1_3genE4ELNS1_11target_archE910ELNS1_3gpuE8ELNS1_3repE0EEENS1_47radix_sort_onesweep_sort_config_static_selectorELNS0_4arch9wavefront6targetE1EEEvSK_,comdat
	.protected	_ZN7rocprim17ROCPRIM_400000_NS6detail17trampoline_kernelINS0_14default_configENS1_35radix_sort_onesweep_config_selectorIxNS0_10empty_typeEEEZZNS1_29radix_sort_onesweep_iterationIS3_Lb0EN6thrust23THRUST_200600_302600_NS6detail15normal_iteratorINS9_10device_ptrIxEEEESE_PS5_SF_jNS0_19identity_decomposerENS1_16block_id_wrapperIjLb1EEEEE10hipError_tT1_PNSt15iterator_traitsISK_E10value_typeET2_T3_PNSL_ISQ_E10value_typeET4_T5_PSV_SW_PNS1_23onesweep_lookback_stateEbbT6_jjT7_P12ihipStream_tbENKUlT_T0_SK_SP_E_clIPxSE_SF_SF_EEDaS13_S14_SK_SP_EUlS13_E_NS1_11comp_targetILNS1_3genE4ELNS1_11target_archE910ELNS1_3gpuE8ELNS1_3repE0EEENS1_47radix_sort_onesweep_sort_config_static_selectorELNS0_4arch9wavefront6targetE1EEEvSK_ ; -- Begin function _ZN7rocprim17ROCPRIM_400000_NS6detail17trampoline_kernelINS0_14default_configENS1_35radix_sort_onesweep_config_selectorIxNS0_10empty_typeEEEZZNS1_29radix_sort_onesweep_iterationIS3_Lb0EN6thrust23THRUST_200600_302600_NS6detail15normal_iteratorINS9_10device_ptrIxEEEESE_PS5_SF_jNS0_19identity_decomposerENS1_16block_id_wrapperIjLb1EEEEE10hipError_tT1_PNSt15iterator_traitsISK_E10value_typeET2_T3_PNSL_ISQ_E10value_typeET4_T5_PSV_SW_PNS1_23onesweep_lookback_stateEbbT6_jjT7_P12ihipStream_tbENKUlT_T0_SK_SP_E_clIPxSE_SF_SF_EEDaS13_S14_SK_SP_EUlS13_E_NS1_11comp_targetILNS1_3genE4ELNS1_11target_archE910ELNS1_3gpuE8ELNS1_3repE0EEENS1_47radix_sort_onesweep_sort_config_static_selectorELNS0_4arch9wavefront6targetE1EEEvSK_
	.globl	_ZN7rocprim17ROCPRIM_400000_NS6detail17trampoline_kernelINS0_14default_configENS1_35radix_sort_onesweep_config_selectorIxNS0_10empty_typeEEEZZNS1_29radix_sort_onesweep_iterationIS3_Lb0EN6thrust23THRUST_200600_302600_NS6detail15normal_iteratorINS9_10device_ptrIxEEEESE_PS5_SF_jNS0_19identity_decomposerENS1_16block_id_wrapperIjLb1EEEEE10hipError_tT1_PNSt15iterator_traitsISK_E10value_typeET2_T3_PNSL_ISQ_E10value_typeET4_T5_PSV_SW_PNS1_23onesweep_lookback_stateEbbT6_jjT7_P12ihipStream_tbENKUlT_T0_SK_SP_E_clIPxSE_SF_SF_EEDaS13_S14_SK_SP_EUlS13_E_NS1_11comp_targetILNS1_3genE4ELNS1_11target_archE910ELNS1_3gpuE8ELNS1_3repE0EEENS1_47radix_sort_onesweep_sort_config_static_selectorELNS0_4arch9wavefront6targetE1EEEvSK_
	.p2align	8
	.type	_ZN7rocprim17ROCPRIM_400000_NS6detail17trampoline_kernelINS0_14default_configENS1_35radix_sort_onesweep_config_selectorIxNS0_10empty_typeEEEZZNS1_29radix_sort_onesweep_iterationIS3_Lb0EN6thrust23THRUST_200600_302600_NS6detail15normal_iteratorINS9_10device_ptrIxEEEESE_PS5_SF_jNS0_19identity_decomposerENS1_16block_id_wrapperIjLb1EEEEE10hipError_tT1_PNSt15iterator_traitsISK_E10value_typeET2_T3_PNSL_ISQ_E10value_typeET4_T5_PSV_SW_PNS1_23onesweep_lookback_stateEbbT6_jjT7_P12ihipStream_tbENKUlT_T0_SK_SP_E_clIPxSE_SF_SF_EEDaS13_S14_SK_SP_EUlS13_E_NS1_11comp_targetILNS1_3genE4ELNS1_11target_archE910ELNS1_3gpuE8ELNS1_3repE0EEENS1_47radix_sort_onesweep_sort_config_static_selectorELNS0_4arch9wavefront6targetE1EEEvSK_,@function
_ZN7rocprim17ROCPRIM_400000_NS6detail17trampoline_kernelINS0_14default_configENS1_35radix_sort_onesweep_config_selectorIxNS0_10empty_typeEEEZZNS1_29radix_sort_onesweep_iterationIS3_Lb0EN6thrust23THRUST_200600_302600_NS6detail15normal_iteratorINS9_10device_ptrIxEEEESE_PS5_SF_jNS0_19identity_decomposerENS1_16block_id_wrapperIjLb1EEEEE10hipError_tT1_PNSt15iterator_traitsISK_E10value_typeET2_T3_PNSL_ISQ_E10value_typeET4_T5_PSV_SW_PNS1_23onesweep_lookback_stateEbbT6_jjT7_P12ihipStream_tbENKUlT_T0_SK_SP_E_clIPxSE_SF_SF_EEDaS13_S14_SK_SP_EUlS13_E_NS1_11comp_targetILNS1_3genE4ELNS1_11target_archE910ELNS1_3gpuE8ELNS1_3repE0EEENS1_47radix_sort_onesweep_sort_config_static_selectorELNS0_4arch9wavefront6targetE1EEEvSK_: ; @_ZN7rocprim17ROCPRIM_400000_NS6detail17trampoline_kernelINS0_14default_configENS1_35radix_sort_onesweep_config_selectorIxNS0_10empty_typeEEEZZNS1_29radix_sort_onesweep_iterationIS3_Lb0EN6thrust23THRUST_200600_302600_NS6detail15normal_iteratorINS9_10device_ptrIxEEEESE_PS5_SF_jNS0_19identity_decomposerENS1_16block_id_wrapperIjLb1EEEEE10hipError_tT1_PNSt15iterator_traitsISK_E10value_typeET2_T3_PNSL_ISQ_E10value_typeET4_T5_PSV_SW_PNS1_23onesweep_lookback_stateEbbT6_jjT7_P12ihipStream_tbENKUlT_T0_SK_SP_E_clIPxSE_SF_SF_EEDaS13_S14_SK_SP_EUlS13_E_NS1_11comp_targetILNS1_3genE4ELNS1_11target_archE910ELNS1_3gpuE8ELNS1_3repE0EEENS1_47radix_sort_onesweep_sort_config_static_selectorELNS0_4arch9wavefront6targetE1EEEvSK_
; %bb.0:
	.section	.rodata,"a",@progbits
	.p2align	6, 0x0
	.amdhsa_kernel _ZN7rocprim17ROCPRIM_400000_NS6detail17trampoline_kernelINS0_14default_configENS1_35radix_sort_onesweep_config_selectorIxNS0_10empty_typeEEEZZNS1_29radix_sort_onesweep_iterationIS3_Lb0EN6thrust23THRUST_200600_302600_NS6detail15normal_iteratorINS9_10device_ptrIxEEEESE_PS5_SF_jNS0_19identity_decomposerENS1_16block_id_wrapperIjLb1EEEEE10hipError_tT1_PNSt15iterator_traitsISK_E10value_typeET2_T3_PNSL_ISQ_E10value_typeET4_T5_PSV_SW_PNS1_23onesweep_lookback_stateEbbT6_jjT7_P12ihipStream_tbENKUlT_T0_SK_SP_E_clIPxSE_SF_SF_EEDaS13_S14_SK_SP_EUlS13_E_NS1_11comp_targetILNS1_3genE4ELNS1_11target_archE910ELNS1_3gpuE8ELNS1_3repE0EEENS1_47radix_sort_onesweep_sort_config_static_selectorELNS0_4arch9wavefront6targetE1EEEvSK_
		.amdhsa_group_segment_fixed_size 0
		.amdhsa_private_segment_fixed_size 0
		.amdhsa_kernarg_size 88
		.amdhsa_user_sgpr_count 2
		.amdhsa_user_sgpr_dispatch_ptr 0
		.amdhsa_user_sgpr_queue_ptr 0
		.amdhsa_user_sgpr_kernarg_segment_ptr 1
		.amdhsa_user_sgpr_dispatch_id 0
		.amdhsa_user_sgpr_kernarg_preload_length 0
		.amdhsa_user_sgpr_kernarg_preload_offset 0
		.amdhsa_user_sgpr_private_segment_size 0
		.amdhsa_uses_dynamic_stack 0
		.amdhsa_enable_private_segment 0
		.amdhsa_system_sgpr_workgroup_id_x 1
		.amdhsa_system_sgpr_workgroup_id_y 0
		.amdhsa_system_sgpr_workgroup_id_z 0
		.amdhsa_system_sgpr_workgroup_info 0
		.amdhsa_system_vgpr_workitem_id 0
		.amdhsa_next_free_vgpr 1
		.amdhsa_next_free_sgpr 0
		.amdhsa_accum_offset 4
		.amdhsa_reserve_vcc 0
		.amdhsa_float_round_mode_32 0
		.amdhsa_float_round_mode_16_64 0
		.amdhsa_float_denorm_mode_32 3
		.amdhsa_float_denorm_mode_16_64 3
		.amdhsa_dx10_clamp 1
		.amdhsa_ieee_mode 1
		.amdhsa_fp16_overflow 0
		.amdhsa_tg_split 0
		.amdhsa_exception_fp_ieee_invalid_op 0
		.amdhsa_exception_fp_denorm_src 0
		.amdhsa_exception_fp_ieee_div_zero 0
		.amdhsa_exception_fp_ieee_overflow 0
		.amdhsa_exception_fp_ieee_underflow 0
		.amdhsa_exception_fp_ieee_inexact 0
		.amdhsa_exception_int_div_zero 0
	.end_amdhsa_kernel
	.section	.text._ZN7rocprim17ROCPRIM_400000_NS6detail17trampoline_kernelINS0_14default_configENS1_35radix_sort_onesweep_config_selectorIxNS0_10empty_typeEEEZZNS1_29radix_sort_onesweep_iterationIS3_Lb0EN6thrust23THRUST_200600_302600_NS6detail15normal_iteratorINS9_10device_ptrIxEEEESE_PS5_SF_jNS0_19identity_decomposerENS1_16block_id_wrapperIjLb1EEEEE10hipError_tT1_PNSt15iterator_traitsISK_E10value_typeET2_T3_PNSL_ISQ_E10value_typeET4_T5_PSV_SW_PNS1_23onesweep_lookback_stateEbbT6_jjT7_P12ihipStream_tbENKUlT_T0_SK_SP_E_clIPxSE_SF_SF_EEDaS13_S14_SK_SP_EUlS13_E_NS1_11comp_targetILNS1_3genE4ELNS1_11target_archE910ELNS1_3gpuE8ELNS1_3repE0EEENS1_47radix_sort_onesweep_sort_config_static_selectorELNS0_4arch9wavefront6targetE1EEEvSK_,"axG",@progbits,_ZN7rocprim17ROCPRIM_400000_NS6detail17trampoline_kernelINS0_14default_configENS1_35radix_sort_onesweep_config_selectorIxNS0_10empty_typeEEEZZNS1_29radix_sort_onesweep_iterationIS3_Lb0EN6thrust23THRUST_200600_302600_NS6detail15normal_iteratorINS9_10device_ptrIxEEEESE_PS5_SF_jNS0_19identity_decomposerENS1_16block_id_wrapperIjLb1EEEEE10hipError_tT1_PNSt15iterator_traitsISK_E10value_typeET2_T3_PNSL_ISQ_E10value_typeET4_T5_PSV_SW_PNS1_23onesweep_lookback_stateEbbT6_jjT7_P12ihipStream_tbENKUlT_T0_SK_SP_E_clIPxSE_SF_SF_EEDaS13_S14_SK_SP_EUlS13_E_NS1_11comp_targetILNS1_3genE4ELNS1_11target_archE910ELNS1_3gpuE8ELNS1_3repE0EEENS1_47radix_sort_onesweep_sort_config_static_selectorELNS0_4arch9wavefront6targetE1EEEvSK_,comdat
.Lfunc_end1564:
	.size	_ZN7rocprim17ROCPRIM_400000_NS6detail17trampoline_kernelINS0_14default_configENS1_35radix_sort_onesweep_config_selectorIxNS0_10empty_typeEEEZZNS1_29radix_sort_onesweep_iterationIS3_Lb0EN6thrust23THRUST_200600_302600_NS6detail15normal_iteratorINS9_10device_ptrIxEEEESE_PS5_SF_jNS0_19identity_decomposerENS1_16block_id_wrapperIjLb1EEEEE10hipError_tT1_PNSt15iterator_traitsISK_E10value_typeET2_T3_PNSL_ISQ_E10value_typeET4_T5_PSV_SW_PNS1_23onesweep_lookback_stateEbbT6_jjT7_P12ihipStream_tbENKUlT_T0_SK_SP_E_clIPxSE_SF_SF_EEDaS13_S14_SK_SP_EUlS13_E_NS1_11comp_targetILNS1_3genE4ELNS1_11target_archE910ELNS1_3gpuE8ELNS1_3repE0EEENS1_47radix_sort_onesweep_sort_config_static_selectorELNS0_4arch9wavefront6targetE1EEEvSK_, .Lfunc_end1564-_ZN7rocprim17ROCPRIM_400000_NS6detail17trampoline_kernelINS0_14default_configENS1_35radix_sort_onesweep_config_selectorIxNS0_10empty_typeEEEZZNS1_29radix_sort_onesweep_iterationIS3_Lb0EN6thrust23THRUST_200600_302600_NS6detail15normal_iteratorINS9_10device_ptrIxEEEESE_PS5_SF_jNS0_19identity_decomposerENS1_16block_id_wrapperIjLb1EEEEE10hipError_tT1_PNSt15iterator_traitsISK_E10value_typeET2_T3_PNSL_ISQ_E10value_typeET4_T5_PSV_SW_PNS1_23onesweep_lookback_stateEbbT6_jjT7_P12ihipStream_tbENKUlT_T0_SK_SP_E_clIPxSE_SF_SF_EEDaS13_S14_SK_SP_EUlS13_E_NS1_11comp_targetILNS1_3genE4ELNS1_11target_archE910ELNS1_3gpuE8ELNS1_3repE0EEENS1_47radix_sort_onesweep_sort_config_static_selectorELNS0_4arch9wavefront6targetE1EEEvSK_
                                        ; -- End function
	.section	.AMDGPU.csdata,"",@progbits
; Kernel info:
; codeLenInByte = 0
; NumSgprs: 6
; NumVgprs: 0
; NumAgprs: 0
; TotalNumVgprs: 0
; ScratchSize: 0
; MemoryBound: 0
; FloatMode: 240
; IeeeMode: 1
; LDSByteSize: 0 bytes/workgroup (compile time only)
; SGPRBlocks: 0
; VGPRBlocks: 0
; NumSGPRsForWavesPerEU: 6
; NumVGPRsForWavesPerEU: 1
; AccumOffset: 4
; Occupancy: 8
; WaveLimiterHint : 0
; COMPUTE_PGM_RSRC2:SCRATCH_EN: 0
; COMPUTE_PGM_RSRC2:USER_SGPR: 2
; COMPUTE_PGM_RSRC2:TRAP_HANDLER: 0
; COMPUTE_PGM_RSRC2:TGID_X_EN: 1
; COMPUTE_PGM_RSRC2:TGID_Y_EN: 0
; COMPUTE_PGM_RSRC2:TGID_Z_EN: 0
; COMPUTE_PGM_RSRC2:TIDIG_COMP_CNT: 0
; COMPUTE_PGM_RSRC3_GFX90A:ACCUM_OFFSET: 0
; COMPUTE_PGM_RSRC3_GFX90A:TG_SPLIT: 0
	.section	.text._ZN7rocprim17ROCPRIM_400000_NS6detail17trampoline_kernelINS0_14default_configENS1_35radix_sort_onesweep_config_selectorIxNS0_10empty_typeEEEZZNS1_29radix_sort_onesweep_iterationIS3_Lb0EN6thrust23THRUST_200600_302600_NS6detail15normal_iteratorINS9_10device_ptrIxEEEESE_PS5_SF_jNS0_19identity_decomposerENS1_16block_id_wrapperIjLb1EEEEE10hipError_tT1_PNSt15iterator_traitsISK_E10value_typeET2_T3_PNSL_ISQ_E10value_typeET4_T5_PSV_SW_PNS1_23onesweep_lookback_stateEbbT6_jjT7_P12ihipStream_tbENKUlT_T0_SK_SP_E_clIPxSE_SF_SF_EEDaS13_S14_SK_SP_EUlS13_E_NS1_11comp_targetILNS1_3genE3ELNS1_11target_archE908ELNS1_3gpuE7ELNS1_3repE0EEENS1_47radix_sort_onesweep_sort_config_static_selectorELNS0_4arch9wavefront6targetE1EEEvSK_,"axG",@progbits,_ZN7rocprim17ROCPRIM_400000_NS6detail17trampoline_kernelINS0_14default_configENS1_35radix_sort_onesweep_config_selectorIxNS0_10empty_typeEEEZZNS1_29radix_sort_onesweep_iterationIS3_Lb0EN6thrust23THRUST_200600_302600_NS6detail15normal_iteratorINS9_10device_ptrIxEEEESE_PS5_SF_jNS0_19identity_decomposerENS1_16block_id_wrapperIjLb1EEEEE10hipError_tT1_PNSt15iterator_traitsISK_E10value_typeET2_T3_PNSL_ISQ_E10value_typeET4_T5_PSV_SW_PNS1_23onesweep_lookback_stateEbbT6_jjT7_P12ihipStream_tbENKUlT_T0_SK_SP_E_clIPxSE_SF_SF_EEDaS13_S14_SK_SP_EUlS13_E_NS1_11comp_targetILNS1_3genE3ELNS1_11target_archE908ELNS1_3gpuE7ELNS1_3repE0EEENS1_47radix_sort_onesweep_sort_config_static_selectorELNS0_4arch9wavefront6targetE1EEEvSK_,comdat
	.protected	_ZN7rocprim17ROCPRIM_400000_NS6detail17trampoline_kernelINS0_14default_configENS1_35radix_sort_onesweep_config_selectorIxNS0_10empty_typeEEEZZNS1_29radix_sort_onesweep_iterationIS3_Lb0EN6thrust23THRUST_200600_302600_NS6detail15normal_iteratorINS9_10device_ptrIxEEEESE_PS5_SF_jNS0_19identity_decomposerENS1_16block_id_wrapperIjLb1EEEEE10hipError_tT1_PNSt15iterator_traitsISK_E10value_typeET2_T3_PNSL_ISQ_E10value_typeET4_T5_PSV_SW_PNS1_23onesweep_lookback_stateEbbT6_jjT7_P12ihipStream_tbENKUlT_T0_SK_SP_E_clIPxSE_SF_SF_EEDaS13_S14_SK_SP_EUlS13_E_NS1_11comp_targetILNS1_3genE3ELNS1_11target_archE908ELNS1_3gpuE7ELNS1_3repE0EEENS1_47radix_sort_onesweep_sort_config_static_selectorELNS0_4arch9wavefront6targetE1EEEvSK_ ; -- Begin function _ZN7rocprim17ROCPRIM_400000_NS6detail17trampoline_kernelINS0_14default_configENS1_35radix_sort_onesweep_config_selectorIxNS0_10empty_typeEEEZZNS1_29radix_sort_onesweep_iterationIS3_Lb0EN6thrust23THRUST_200600_302600_NS6detail15normal_iteratorINS9_10device_ptrIxEEEESE_PS5_SF_jNS0_19identity_decomposerENS1_16block_id_wrapperIjLb1EEEEE10hipError_tT1_PNSt15iterator_traitsISK_E10value_typeET2_T3_PNSL_ISQ_E10value_typeET4_T5_PSV_SW_PNS1_23onesweep_lookback_stateEbbT6_jjT7_P12ihipStream_tbENKUlT_T0_SK_SP_E_clIPxSE_SF_SF_EEDaS13_S14_SK_SP_EUlS13_E_NS1_11comp_targetILNS1_3genE3ELNS1_11target_archE908ELNS1_3gpuE7ELNS1_3repE0EEENS1_47radix_sort_onesweep_sort_config_static_selectorELNS0_4arch9wavefront6targetE1EEEvSK_
	.globl	_ZN7rocprim17ROCPRIM_400000_NS6detail17trampoline_kernelINS0_14default_configENS1_35radix_sort_onesweep_config_selectorIxNS0_10empty_typeEEEZZNS1_29radix_sort_onesweep_iterationIS3_Lb0EN6thrust23THRUST_200600_302600_NS6detail15normal_iteratorINS9_10device_ptrIxEEEESE_PS5_SF_jNS0_19identity_decomposerENS1_16block_id_wrapperIjLb1EEEEE10hipError_tT1_PNSt15iterator_traitsISK_E10value_typeET2_T3_PNSL_ISQ_E10value_typeET4_T5_PSV_SW_PNS1_23onesweep_lookback_stateEbbT6_jjT7_P12ihipStream_tbENKUlT_T0_SK_SP_E_clIPxSE_SF_SF_EEDaS13_S14_SK_SP_EUlS13_E_NS1_11comp_targetILNS1_3genE3ELNS1_11target_archE908ELNS1_3gpuE7ELNS1_3repE0EEENS1_47radix_sort_onesweep_sort_config_static_selectorELNS0_4arch9wavefront6targetE1EEEvSK_
	.p2align	8
	.type	_ZN7rocprim17ROCPRIM_400000_NS6detail17trampoline_kernelINS0_14default_configENS1_35radix_sort_onesweep_config_selectorIxNS0_10empty_typeEEEZZNS1_29radix_sort_onesweep_iterationIS3_Lb0EN6thrust23THRUST_200600_302600_NS6detail15normal_iteratorINS9_10device_ptrIxEEEESE_PS5_SF_jNS0_19identity_decomposerENS1_16block_id_wrapperIjLb1EEEEE10hipError_tT1_PNSt15iterator_traitsISK_E10value_typeET2_T3_PNSL_ISQ_E10value_typeET4_T5_PSV_SW_PNS1_23onesweep_lookback_stateEbbT6_jjT7_P12ihipStream_tbENKUlT_T0_SK_SP_E_clIPxSE_SF_SF_EEDaS13_S14_SK_SP_EUlS13_E_NS1_11comp_targetILNS1_3genE3ELNS1_11target_archE908ELNS1_3gpuE7ELNS1_3repE0EEENS1_47radix_sort_onesweep_sort_config_static_selectorELNS0_4arch9wavefront6targetE1EEEvSK_,@function
_ZN7rocprim17ROCPRIM_400000_NS6detail17trampoline_kernelINS0_14default_configENS1_35radix_sort_onesweep_config_selectorIxNS0_10empty_typeEEEZZNS1_29radix_sort_onesweep_iterationIS3_Lb0EN6thrust23THRUST_200600_302600_NS6detail15normal_iteratorINS9_10device_ptrIxEEEESE_PS5_SF_jNS0_19identity_decomposerENS1_16block_id_wrapperIjLb1EEEEE10hipError_tT1_PNSt15iterator_traitsISK_E10value_typeET2_T3_PNSL_ISQ_E10value_typeET4_T5_PSV_SW_PNS1_23onesweep_lookback_stateEbbT6_jjT7_P12ihipStream_tbENKUlT_T0_SK_SP_E_clIPxSE_SF_SF_EEDaS13_S14_SK_SP_EUlS13_E_NS1_11comp_targetILNS1_3genE3ELNS1_11target_archE908ELNS1_3gpuE7ELNS1_3repE0EEENS1_47radix_sort_onesweep_sort_config_static_selectorELNS0_4arch9wavefront6targetE1EEEvSK_: ; @_ZN7rocprim17ROCPRIM_400000_NS6detail17trampoline_kernelINS0_14default_configENS1_35radix_sort_onesweep_config_selectorIxNS0_10empty_typeEEEZZNS1_29radix_sort_onesweep_iterationIS3_Lb0EN6thrust23THRUST_200600_302600_NS6detail15normal_iteratorINS9_10device_ptrIxEEEESE_PS5_SF_jNS0_19identity_decomposerENS1_16block_id_wrapperIjLb1EEEEE10hipError_tT1_PNSt15iterator_traitsISK_E10value_typeET2_T3_PNSL_ISQ_E10value_typeET4_T5_PSV_SW_PNS1_23onesweep_lookback_stateEbbT6_jjT7_P12ihipStream_tbENKUlT_T0_SK_SP_E_clIPxSE_SF_SF_EEDaS13_S14_SK_SP_EUlS13_E_NS1_11comp_targetILNS1_3genE3ELNS1_11target_archE908ELNS1_3gpuE7ELNS1_3repE0EEENS1_47radix_sort_onesweep_sort_config_static_selectorELNS0_4arch9wavefront6targetE1EEEvSK_
; %bb.0:
	.section	.rodata,"a",@progbits
	.p2align	6, 0x0
	.amdhsa_kernel _ZN7rocprim17ROCPRIM_400000_NS6detail17trampoline_kernelINS0_14default_configENS1_35radix_sort_onesweep_config_selectorIxNS0_10empty_typeEEEZZNS1_29radix_sort_onesweep_iterationIS3_Lb0EN6thrust23THRUST_200600_302600_NS6detail15normal_iteratorINS9_10device_ptrIxEEEESE_PS5_SF_jNS0_19identity_decomposerENS1_16block_id_wrapperIjLb1EEEEE10hipError_tT1_PNSt15iterator_traitsISK_E10value_typeET2_T3_PNSL_ISQ_E10value_typeET4_T5_PSV_SW_PNS1_23onesweep_lookback_stateEbbT6_jjT7_P12ihipStream_tbENKUlT_T0_SK_SP_E_clIPxSE_SF_SF_EEDaS13_S14_SK_SP_EUlS13_E_NS1_11comp_targetILNS1_3genE3ELNS1_11target_archE908ELNS1_3gpuE7ELNS1_3repE0EEENS1_47radix_sort_onesweep_sort_config_static_selectorELNS0_4arch9wavefront6targetE1EEEvSK_
		.amdhsa_group_segment_fixed_size 0
		.amdhsa_private_segment_fixed_size 0
		.amdhsa_kernarg_size 88
		.amdhsa_user_sgpr_count 2
		.amdhsa_user_sgpr_dispatch_ptr 0
		.amdhsa_user_sgpr_queue_ptr 0
		.amdhsa_user_sgpr_kernarg_segment_ptr 1
		.amdhsa_user_sgpr_dispatch_id 0
		.amdhsa_user_sgpr_kernarg_preload_length 0
		.amdhsa_user_sgpr_kernarg_preload_offset 0
		.amdhsa_user_sgpr_private_segment_size 0
		.amdhsa_uses_dynamic_stack 0
		.amdhsa_enable_private_segment 0
		.amdhsa_system_sgpr_workgroup_id_x 1
		.amdhsa_system_sgpr_workgroup_id_y 0
		.amdhsa_system_sgpr_workgroup_id_z 0
		.amdhsa_system_sgpr_workgroup_info 0
		.amdhsa_system_vgpr_workitem_id 0
		.amdhsa_next_free_vgpr 1
		.amdhsa_next_free_sgpr 0
		.amdhsa_accum_offset 4
		.amdhsa_reserve_vcc 0
		.amdhsa_float_round_mode_32 0
		.amdhsa_float_round_mode_16_64 0
		.amdhsa_float_denorm_mode_32 3
		.amdhsa_float_denorm_mode_16_64 3
		.amdhsa_dx10_clamp 1
		.amdhsa_ieee_mode 1
		.amdhsa_fp16_overflow 0
		.amdhsa_tg_split 0
		.amdhsa_exception_fp_ieee_invalid_op 0
		.amdhsa_exception_fp_denorm_src 0
		.amdhsa_exception_fp_ieee_div_zero 0
		.amdhsa_exception_fp_ieee_overflow 0
		.amdhsa_exception_fp_ieee_underflow 0
		.amdhsa_exception_fp_ieee_inexact 0
		.amdhsa_exception_int_div_zero 0
	.end_amdhsa_kernel
	.section	.text._ZN7rocprim17ROCPRIM_400000_NS6detail17trampoline_kernelINS0_14default_configENS1_35radix_sort_onesweep_config_selectorIxNS0_10empty_typeEEEZZNS1_29radix_sort_onesweep_iterationIS3_Lb0EN6thrust23THRUST_200600_302600_NS6detail15normal_iteratorINS9_10device_ptrIxEEEESE_PS5_SF_jNS0_19identity_decomposerENS1_16block_id_wrapperIjLb1EEEEE10hipError_tT1_PNSt15iterator_traitsISK_E10value_typeET2_T3_PNSL_ISQ_E10value_typeET4_T5_PSV_SW_PNS1_23onesweep_lookback_stateEbbT6_jjT7_P12ihipStream_tbENKUlT_T0_SK_SP_E_clIPxSE_SF_SF_EEDaS13_S14_SK_SP_EUlS13_E_NS1_11comp_targetILNS1_3genE3ELNS1_11target_archE908ELNS1_3gpuE7ELNS1_3repE0EEENS1_47radix_sort_onesweep_sort_config_static_selectorELNS0_4arch9wavefront6targetE1EEEvSK_,"axG",@progbits,_ZN7rocprim17ROCPRIM_400000_NS6detail17trampoline_kernelINS0_14default_configENS1_35radix_sort_onesweep_config_selectorIxNS0_10empty_typeEEEZZNS1_29radix_sort_onesweep_iterationIS3_Lb0EN6thrust23THRUST_200600_302600_NS6detail15normal_iteratorINS9_10device_ptrIxEEEESE_PS5_SF_jNS0_19identity_decomposerENS1_16block_id_wrapperIjLb1EEEEE10hipError_tT1_PNSt15iterator_traitsISK_E10value_typeET2_T3_PNSL_ISQ_E10value_typeET4_T5_PSV_SW_PNS1_23onesweep_lookback_stateEbbT6_jjT7_P12ihipStream_tbENKUlT_T0_SK_SP_E_clIPxSE_SF_SF_EEDaS13_S14_SK_SP_EUlS13_E_NS1_11comp_targetILNS1_3genE3ELNS1_11target_archE908ELNS1_3gpuE7ELNS1_3repE0EEENS1_47radix_sort_onesweep_sort_config_static_selectorELNS0_4arch9wavefront6targetE1EEEvSK_,comdat
.Lfunc_end1565:
	.size	_ZN7rocprim17ROCPRIM_400000_NS6detail17trampoline_kernelINS0_14default_configENS1_35radix_sort_onesweep_config_selectorIxNS0_10empty_typeEEEZZNS1_29radix_sort_onesweep_iterationIS3_Lb0EN6thrust23THRUST_200600_302600_NS6detail15normal_iteratorINS9_10device_ptrIxEEEESE_PS5_SF_jNS0_19identity_decomposerENS1_16block_id_wrapperIjLb1EEEEE10hipError_tT1_PNSt15iterator_traitsISK_E10value_typeET2_T3_PNSL_ISQ_E10value_typeET4_T5_PSV_SW_PNS1_23onesweep_lookback_stateEbbT6_jjT7_P12ihipStream_tbENKUlT_T0_SK_SP_E_clIPxSE_SF_SF_EEDaS13_S14_SK_SP_EUlS13_E_NS1_11comp_targetILNS1_3genE3ELNS1_11target_archE908ELNS1_3gpuE7ELNS1_3repE0EEENS1_47radix_sort_onesweep_sort_config_static_selectorELNS0_4arch9wavefront6targetE1EEEvSK_, .Lfunc_end1565-_ZN7rocprim17ROCPRIM_400000_NS6detail17trampoline_kernelINS0_14default_configENS1_35radix_sort_onesweep_config_selectorIxNS0_10empty_typeEEEZZNS1_29radix_sort_onesweep_iterationIS3_Lb0EN6thrust23THRUST_200600_302600_NS6detail15normal_iteratorINS9_10device_ptrIxEEEESE_PS5_SF_jNS0_19identity_decomposerENS1_16block_id_wrapperIjLb1EEEEE10hipError_tT1_PNSt15iterator_traitsISK_E10value_typeET2_T3_PNSL_ISQ_E10value_typeET4_T5_PSV_SW_PNS1_23onesweep_lookback_stateEbbT6_jjT7_P12ihipStream_tbENKUlT_T0_SK_SP_E_clIPxSE_SF_SF_EEDaS13_S14_SK_SP_EUlS13_E_NS1_11comp_targetILNS1_3genE3ELNS1_11target_archE908ELNS1_3gpuE7ELNS1_3repE0EEENS1_47radix_sort_onesweep_sort_config_static_selectorELNS0_4arch9wavefront6targetE1EEEvSK_
                                        ; -- End function
	.section	.AMDGPU.csdata,"",@progbits
; Kernel info:
; codeLenInByte = 0
; NumSgprs: 6
; NumVgprs: 0
; NumAgprs: 0
; TotalNumVgprs: 0
; ScratchSize: 0
; MemoryBound: 0
; FloatMode: 240
; IeeeMode: 1
; LDSByteSize: 0 bytes/workgroup (compile time only)
; SGPRBlocks: 0
; VGPRBlocks: 0
; NumSGPRsForWavesPerEU: 6
; NumVGPRsForWavesPerEU: 1
; AccumOffset: 4
; Occupancy: 8
; WaveLimiterHint : 0
; COMPUTE_PGM_RSRC2:SCRATCH_EN: 0
; COMPUTE_PGM_RSRC2:USER_SGPR: 2
; COMPUTE_PGM_RSRC2:TRAP_HANDLER: 0
; COMPUTE_PGM_RSRC2:TGID_X_EN: 1
; COMPUTE_PGM_RSRC2:TGID_Y_EN: 0
; COMPUTE_PGM_RSRC2:TGID_Z_EN: 0
; COMPUTE_PGM_RSRC2:TIDIG_COMP_CNT: 0
; COMPUTE_PGM_RSRC3_GFX90A:ACCUM_OFFSET: 0
; COMPUTE_PGM_RSRC3_GFX90A:TG_SPLIT: 0
	.section	.text._ZN7rocprim17ROCPRIM_400000_NS6detail17trampoline_kernelINS0_14default_configENS1_35radix_sort_onesweep_config_selectorIxNS0_10empty_typeEEEZZNS1_29radix_sort_onesweep_iterationIS3_Lb0EN6thrust23THRUST_200600_302600_NS6detail15normal_iteratorINS9_10device_ptrIxEEEESE_PS5_SF_jNS0_19identity_decomposerENS1_16block_id_wrapperIjLb1EEEEE10hipError_tT1_PNSt15iterator_traitsISK_E10value_typeET2_T3_PNSL_ISQ_E10value_typeET4_T5_PSV_SW_PNS1_23onesweep_lookback_stateEbbT6_jjT7_P12ihipStream_tbENKUlT_T0_SK_SP_E_clIPxSE_SF_SF_EEDaS13_S14_SK_SP_EUlS13_E_NS1_11comp_targetILNS1_3genE10ELNS1_11target_archE1201ELNS1_3gpuE5ELNS1_3repE0EEENS1_47radix_sort_onesweep_sort_config_static_selectorELNS0_4arch9wavefront6targetE1EEEvSK_,"axG",@progbits,_ZN7rocprim17ROCPRIM_400000_NS6detail17trampoline_kernelINS0_14default_configENS1_35radix_sort_onesweep_config_selectorIxNS0_10empty_typeEEEZZNS1_29radix_sort_onesweep_iterationIS3_Lb0EN6thrust23THRUST_200600_302600_NS6detail15normal_iteratorINS9_10device_ptrIxEEEESE_PS5_SF_jNS0_19identity_decomposerENS1_16block_id_wrapperIjLb1EEEEE10hipError_tT1_PNSt15iterator_traitsISK_E10value_typeET2_T3_PNSL_ISQ_E10value_typeET4_T5_PSV_SW_PNS1_23onesweep_lookback_stateEbbT6_jjT7_P12ihipStream_tbENKUlT_T0_SK_SP_E_clIPxSE_SF_SF_EEDaS13_S14_SK_SP_EUlS13_E_NS1_11comp_targetILNS1_3genE10ELNS1_11target_archE1201ELNS1_3gpuE5ELNS1_3repE0EEENS1_47radix_sort_onesweep_sort_config_static_selectorELNS0_4arch9wavefront6targetE1EEEvSK_,comdat
	.protected	_ZN7rocprim17ROCPRIM_400000_NS6detail17trampoline_kernelINS0_14default_configENS1_35radix_sort_onesweep_config_selectorIxNS0_10empty_typeEEEZZNS1_29radix_sort_onesweep_iterationIS3_Lb0EN6thrust23THRUST_200600_302600_NS6detail15normal_iteratorINS9_10device_ptrIxEEEESE_PS5_SF_jNS0_19identity_decomposerENS1_16block_id_wrapperIjLb1EEEEE10hipError_tT1_PNSt15iterator_traitsISK_E10value_typeET2_T3_PNSL_ISQ_E10value_typeET4_T5_PSV_SW_PNS1_23onesweep_lookback_stateEbbT6_jjT7_P12ihipStream_tbENKUlT_T0_SK_SP_E_clIPxSE_SF_SF_EEDaS13_S14_SK_SP_EUlS13_E_NS1_11comp_targetILNS1_3genE10ELNS1_11target_archE1201ELNS1_3gpuE5ELNS1_3repE0EEENS1_47radix_sort_onesweep_sort_config_static_selectorELNS0_4arch9wavefront6targetE1EEEvSK_ ; -- Begin function _ZN7rocprim17ROCPRIM_400000_NS6detail17trampoline_kernelINS0_14default_configENS1_35radix_sort_onesweep_config_selectorIxNS0_10empty_typeEEEZZNS1_29radix_sort_onesweep_iterationIS3_Lb0EN6thrust23THRUST_200600_302600_NS6detail15normal_iteratorINS9_10device_ptrIxEEEESE_PS5_SF_jNS0_19identity_decomposerENS1_16block_id_wrapperIjLb1EEEEE10hipError_tT1_PNSt15iterator_traitsISK_E10value_typeET2_T3_PNSL_ISQ_E10value_typeET4_T5_PSV_SW_PNS1_23onesweep_lookback_stateEbbT6_jjT7_P12ihipStream_tbENKUlT_T0_SK_SP_E_clIPxSE_SF_SF_EEDaS13_S14_SK_SP_EUlS13_E_NS1_11comp_targetILNS1_3genE10ELNS1_11target_archE1201ELNS1_3gpuE5ELNS1_3repE0EEENS1_47radix_sort_onesweep_sort_config_static_selectorELNS0_4arch9wavefront6targetE1EEEvSK_
	.globl	_ZN7rocprim17ROCPRIM_400000_NS6detail17trampoline_kernelINS0_14default_configENS1_35radix_sort_onesweep_config_selectorIxNS0_10empty_typeEEEZZNS1_29radix_sort_onesweep_iterationIS3_Lb0EN6thrust23THRUST_200600_302600_NS6detail15normal_iteratorINS9_10device_ptrIxEEEESE_PS5_SF_jNS0_19identity_decomposerENS1_16block_id_wrapperIjLb1EEEEE10hipError_tT1_PNSt15iterator_traitsISK_E10value_typeET2_T3_PNSL_ISQ_E10value_typeET4_T5_PSV_SW_PNS1_23onesweep_lookback_stateEbbT6_jjT7_P12ihipStream_tbENKUlT_T0_SK_SP_E_clIPxSE_SF_SF_EEDaS13_S14_SK_SP_EUlS13_E_NS1_11comp_targetILNS1_3genE10ELNS1_11target_archE1201ELNS1_3gpuE5ELNS1_3repE0EEENS1_47radix_sort_onesweep_sort_config_static_selectorELNS0_4arch9wavefront6targetE1EEEvSK_
	.p2align	8
	.type	_ZN7rocprim17ROCPRIM_400000_NS6detail17trampoline_kernelINS0_14default_configENS1_35radix_sort_onesweep_config_selectorIxNS0_10empty_typeEEEZZNS1_29radix_sort_onesweep_iterationIS3_Lb0EN6thrust23THRUST_200600_302600_NS6detail15normal_iteratorINS9_10device_ptrIxEEEESE_PS5_SF_jNS0_19identity_decomposerENS1_16block_id_wrapperIjLb1EEEEE10hipError_tT1_PNSt15iterator_traitsISK_E10value_typeET2_T3_PNSL_ISQ_E10value_typeET4_T5_PSV_SW_PNS1_23onesweep_lookback_stateEbbT6_jjT7_P12ihipStream_tbENKUlT_T0_SK_SP_E_clIPxSE_SF_SF_EEDaS13_S14_SK_SP_EUlS13_E_NS1_11comp_targetILNS1_3genE10ELNS1_11target_archE1201ELNS1_3gpuE5ELNS1_3repE0EEENS1_47radix_sort_onesweep_sort_config_static_selectorELNS0_4arch9wavefront6targetE1EEEvSK_,@function
_ZN7rocprim17ROCPRIM_400000_NS6detail17trampoline_kernelINS0_14default_configENS1_35radix_sort_onesweep_config_selectorIxNS0_10empty_typeEEEZZNS1_29radix_sort_onesweep_iterationIS3_Lb0EN6thrust23THRUST_200600_302600_NS6detail15normal_iteratorINS9_10device_ptrIxEEEESE_PS5_SF_jNS0_19identity_decomposerENS1_16block_id_wrapperIjLb1EEEEE10hipError_tT1_PNSt15iterator_traitsISK_E10value_typeET2_T3_PNSL_ISQ_E10value_typeET4_T5_PSV_SW_PNS1_23onesweep_lookback_stateEbbT6_jjT7_P12ihipStream_tbENKUlT_T0_SK_SP_E_clIPxSE_SF_SF_EEDaS13_S14_SK_SP_EUlS13_E_NS1_11comp_targetILNS1_3genE10ELNS1_11target_archE1201ELNS1_3gpuE5ELNS1_3repE0EEENS1_47radix_sort_onesweep_sort_config_static_selectorELNS0_4arch9wavefront6targetE1EEEvSK_: ; @_ZN7rocprim17ROCPRIM_400000_NS6detail17trampoline_kernelINS0_14default_configENS1_35radix_sort_onesweep_config_selectorIxNS0_10empty_typeEEEZZNS1_29radix_sort_onesweep_iterationIS3_Lb0EN6thrust23THRUST_200600_302600_NS6detail15normal_iteratorINS9_10device_ptrIxEEEESE_PS5_SF_jNS0_19identity_decomposerENS1_16block_id_wrapperIjLb1EEEEE10hipError_tT1_PNSt15iterator_traitsISK_E10value_typeET2_T3_PNSL_ISQ_E10value_typeET4_T5_PSV_SW_PNS1_23onesweep_lookback_stateEbbT6_jjT7_P12ihipStream_tbENKUlT_T0_SK_SP_E_clIPxSE_SF_SF_EEDaS13_S14_SK_SP_EUlS13_E_NS1_11comp_targetILNS1_3genE10ELNS1_11target_archE1201ELNS1_3gpuE5ELNS1_3repE0EEENS1_47radix_sort_onesweep_sort_config_static_selectorELNS0_4arch9wavefront6targetE1EEEvSK_
; %bb.0:
	.section	.rodata,"a",@progbits
	.p2align	6, 0x0
	.amdhsa_kernel _ZN7rocprim17ROCPRIM_400000_NS6detail17trampoline_kernelINS0_14default_configENS1_35radix_sort_onesweep_config_selectorIxNS0_10empty_typeEEEZZNS1_29radix_sort_onesweep_iterationIS3_Lb0EN6thrust23THRUST_200600_302600_NS6detail15normal_iteratorINS9_10device_ptrIxEEEESE_PS5_SF_jNS0_19identity_decomposerENS1_16block_id_wrapperIjLb1EEEEE10hipError_tT1_PNSt15iterator_traitsISK_E10value_typeET2_T3_PNSL_ISQ_E10value_typeET4_T5_PSV_SW_PNS1_23onesweep_lookback_stateEbbT6_jjT7_P12ihipStream_tbENKUlT_T0_SK_SP_E_clIPxSE_SF_SF_EEDaS13_S14_SK_SP_EUlS13_E_NS1_11comp_targetILNS1_3genE10ELNS1_11target_archE1201ELNS1_3gpuE5ELNS1_3repE0EEENS1_47radix_sort_onesweep_sort_config_static_selectorELNS0_4arch9wavefront6targetE1EEEvSK_
		.amdhsa_group_segment_fixed_size 0
		.amdhsa_private_segment_fixed_size 0
		.amdhsa_kernarg_size 88
		.amdhsa_user_sgpr_count 2
		.amdhsa_user_sgpr_dispatch_ptr 0
		.amdhsa_user_sgpr_queue_ptr 0
		.amdhsa_user_sgpr_kernarg_segment_ptr 1
		.amdhsa_user_sgpr_dispatch_id 0
		.amdhsa_user_sgpr_kernarg_preload_length 0
		.amdhsa_user_sgpr_kernarg_preload_offset 0
		.amdhsa_user_sgpr_private_segment_size 0
		.amdhsa_uses_dynamic_stack 0
		.amdhsa_enable_private_segment 0
		.amdhsa_system_sgpr_workgroup_id_x 1
		.amdhsa_system_sgpr_workgroup_id_y 0
		.amdhsa_system_sgpr_workgroup_id_z 0
		.amdhsa_system_sgpr_workgroup_info 0
		.amdhsa_system_vgpr_workitem_id 0
		.amdhsa_next_free_vgpr 1
		.amdhsa_next_free_sgpr 0
		.amdhsa_accum_offset 4
		.amdhsa_reserve_vcc 0
		.amdhsa_float_round_mode_32 0
		.amdhsa_float_round_mode_16_64 0
		.amdhsa_float_denorm_mode_32 3
		.amdhsa_float_denorm_mode_16_64 3
		.amdhsa_dx10_clamp 1
		.amdhsa_ieee_mode 1
		.amdhsa_fp16_overflow 0
		.amdhsa_tg_split 0
		.amdhsa_exception_fp_ieee_invalid_op 0
		.amdhsa_exception_fp_denorm_src 0
		.amdhsa_exception_fp_ieee_div_zero 0
		.amdhsa_exception_fp_ieee_overflow 0
		.amdhsa_exception_fp_ieee_underflow 0
		.amdhsa_exception_fp_ieee_inexact 0
		.amdhsa_exception_int_div_zero 0
	.end_amdhsa_kernel
	.section	.text._ZN7rocprim17ROCPRIM_400000_NS6detail17trampoline_kernelINS0_14default_configENS1_35radix_sort_onesweep_config_selectorIxNS0_10empty_typeEEEZZNS1_29radix_sort_onesweep_iterationIS3_Lb0EN6thrust23THRUST_200600_302600_NS6detail15normal_iteratorINS9_10device_ptrIxEEEESE_PS5_SF_jNS0_19identity_decomposerENS1_16block_id_wrapperIjLb1EEEEE10hipError_tT1_PNSt15iterator_traitsISK_E10value_typeET2_T3_PNSL_ISQ_E10value_typeET4_T5_PSV_SW_PNS1_23onesweep_lookback_stateEbbT6_jjT7_P12ihipStream_tbENKUlT_T0_SK_SP_E_clIPxSE_SF_SF_EEDaS13_S14_SK_SP_EUlS13_E_NS1_11comp_targetILNS1_3genE10ELNS1_11target_archE1201ELNS1_3gpuE5ELNS1_3repE0EEENS1_47radix_sort_onesweep_sort_config_static_selectorELNS0_4arch9wavefront6targetE1EEEvSK_,"axG",@progbits,_ZN7rocprim17ROCPRIM_400000_NS6detail17trampoline_kernelINS0_14default_configENS1_35radix_sort_onesweep_config_selectorIxNS0_10empty_typeEEEZZNS1_29radix_sort_onesweep_iterationIS3_Lb0EN6thrust23THRUST_200600_302600_NS6detail15normal_iteratorINS9_10device_ptrIxEEEESE_PS5_SF_jNS0_19identity_decomposerENS1_16block_id_wrapperIjLb1EEEEE10hipError_tT1_PNSt15iterator_traitsISK_E10value_typeET2_T3_PNSL_ISQ_E10value_typeET4_T5_PSV_SW_PNS1_23onesweep_lookback_stateEbbT6_jjT7_P12ihipStream_tbENKUlT_T0_SK_SP_E_clIPxSE_SF_SF_EEDaS13_S14_SK_SP_EUlS13_E_NS1_11comp_targetILNS1_3genE10ELNS1_11target_archE1201ELNS1_3gpuE5ELNS1_3repE0EEENS1_47radix_sort_onesweep_sort_config_static_selectorELNS0_4arch9wavefront6targetE1EEEvSK_,comdat
.Lfunc_end1566:
	.size	_ZN7rocprim17ROCPRIM_400000_NS6detail17trampoline_kernelINS0_14default_configENS1_35radix_sort_onesweep_config_selectorIxNS0_10empty_typeEEEZZNS1_29radix_sort_onesweep_iterationIS3_Lb0EN6thrust23THRUST_200600_302600_NS6detail15normal_iteratorINS9_10device_ptrIxEEEESE_PS5_SF_jNS0_19identity_decomposerENS1_16block_id_wrapperIjLb1EEEEE10hipError_tT1_PNSt15iterator_traitsISK_E10value_typeET2_T3_PNSL_ISQ_E10value_typeET4_T5_PSV_SW_PNS1_23onesweep_lookback_stateEbbT6_jjT7_P12ihipStream_tbENKUlT_T0_SK_SP_E_clIPxSE_SF_SF_EEDaS13_S14_SK_SP_EUlS13_E_NS1_11comp_targetILNS1_3genE10ELNS1_11target_archE1201ELNS1_3gpuE5ELNS1_3repE0EEENS1_47radix_sort_onesweep_sort_config_static_selectorELNS0_4arch9wavefront6targetE1EEEvSK_, .Lfunc_end1566-_ZN7rocprim17ROCPRIM_400000_NS6detail17trampoline_kernelINS0_14default_configENS1_35radix_sort_onesweep_config_selectorIxNS0_10empty_typeEEEZZNS1_29radix_sort_onesweep_iterationIS3_Lb0EN6thrust23THRUST_200600_302600_NS6detail15normal_iteratorINS9_10device_ptrIxEEEESE_PS5_SF_jNS0_19identity_decomposerENS1_16block_id_wrapperIjLb1EEEEE10hipError_tT1_PNSt15iterator_traitsISK_E10value_typeET2_T3_PNSL_ISQ_E10value_typeET4_T5_PSV_SW_PNS1_23onesweep_lookback_stateEbbT6_jjT7_P12ihipStream_tbENKUlT_T0_SK_SP_E_clIPxSE_SF_SF_EEDaS13_S14_SK_SP_EUlS13_E_NS1_11comp_targetILNS1_3genE10ELNS1_11target_archE1201ELNS1_3gpuE5ELNS1_3repE0EEENS1_47radix_sort_onesweep_sort_config_static_selectorELNS0_4arch9wavefront6targetE1EEEvSK_
                                        ; -- End function
	.section	.AMDGPU.csdata,"",@progbits
; Kernel info:
; codeLenInByte = 0
; NumSgprs: 6
; NumVgprs: 0
; NumAgprs: 0
; TotalNumVgprs: 0
; ScratchSize: 0
; MemoryBound: 0
; FloatMode: 240
; IeeeMode: 1
; LDSByteSize: 0 bytes/workgroup (compile time only)
; SGPRBlocks: 0
; VGPRBlocks: 0
; NumSGPRsForWavesPerEU: 6
; NumVGPRsForWavesPerEU: 1
; AccumOffset: 4
; Occupancy: 8
; WaveLimiterHint : 0
; COMPUTE_PGM_RSRC2:SCRATCH_EN: 0
; COMPUTE_PGM_RSRC2:USER_SGPR: 2
; COMPUTE_PGM_RSRC2:TRAP_HANDLER: 0
; COMPUTE_PGM_RSRC2:TGID_X_EN: 1
; COMPUTE_PGM_RSRC2:TGID_Y_EN: 0
; COMPUTE_PGM_RSRC2:TGID_Z_EN: 0
; COMPUTE_PGM_RSRC2:TIDIG_COMP_CNT: 0
; COMPUTE_PGM_RSRC3_GFX90A:ACCUM_OFFSET: 0
; COMPUTE_PGM_RSRC3_GFX90A:TG_SPLIT: 0
	.section	.text._ZN7rocprim17ROCPRIM_400000_NS6detail17trampoline_kernelINS0_14default_configENS1_35radix_sort_onesweep_config_selectorIxNS0_10empty_typeEEEZZNS1_29radix_sort_onesweep_iterationIS3_Lb0EN6thrust23THRUST_200600_302600_NS6detail15normal_iteratorINS9_10device_ptrIxEEEESE_PS5_SF_jNS0_19identity_decomposerENS1_16block_id_wrapperIjLb1EEEEE10hipError_tT1_PNSt15iterator_traitsISK_E10value_typeET2_T3_PNSL_ISQ_E10value_typeET4_T5_PSV_SW_PNS1_23onesweep_lookback_stateEbbT6_jjT7_P12ihipStream_tbENKUlT_T0_SK_SP_E_clIPxSE_SF_SF_EEDaS13_S14_SK_SP_EUlS13_E_NS1_11comp_targetILNS1_3genE9ELNS1_11target_archE1100ELNS1_3gpuE3ELNS1_3repE0EEENS1_47radix_sort_onesweep_sort_config_static_selectorELNS0_4arch9wavefront6targetE1EEEvSK_,"axG",@progbits,_ZN7rocprim17ROCPRIM_400000_NS6detail17trampoline_kernelINS0_14default_configENS1_35radix_sort_onesweep_config_selectorIxNS0_10empty_typeEEEZZNS1_29radix_sort_onesweep_iterationIS3_Lb0EN6thrust23THRUST_200600_302600_NS6detail15normal_iteratorINS9_10device_ptrIxEEEESE_PS5_SF_jNS0_19identity_decomposerENS1_16block_id_wrapperIjLb1EEEEE10hipError_tT1_PNSt15iterator_traitsISK_E10value_typeET2_T3_PNSL_ISQ_E10value_typeET4_T5_PSV_SW_PNS1_23onesweep_lookback_stateEbbT6_jjT7_P12ihipStream_tbENKUlT_T0_SK_SP_E_clIPxSE_SF_SF_EEDaS13_S14_SK_SP_EUlS13_E_NS1_11comp_targetILNS1_3genE9ELNS1_11target_archE1100ELNS1_3gpuE3ELNS1_3repE0EEENS1_47radix_sort_onesweep_sort_config_static_selectorELNS0_4arch9wavefront6targetE1EEEvSK_,comdat
	.protected	_ZN7rocprim17ROCPRIM_400000_NS6detail17trampoline_kernelINS0_14default_configENS1_35radix_sort_onesweep_config_selectorIxNS0_10empty_typeEEEZZNS1_29radix_sort_onesweep_iterationIS3_Lb0EN6thrust23THRUST_200600_302600_NS6detail15normal_iteratorINS9_10device_ptrIxEEEESE_PS5_SF_jNS0_19identity_decomposerENS1_16block_id_wrapperIjLb1EEEEE10hipError_tT1_PNSt15iterator_traitsISK_E10value_typeET2_T3_PNSL_ISQ_E10value_typeET4_T5_PSV_SW_PNS1_23onesweep_lookback_stateEbbT6_jjT7_P12ihipStream_tbENKUlT_T0_SK_SP_E_clIPxSE_SF_SF_EEDaS13_S14_SK_SP_EUlS13_E_NS1_11comp_targetILNS1_3genE9ELNS1_11target_archE1100ELNS1_3gpuE3ELNS1_3repE0EEENS1_47radix_sort_onesweep_sort_config_static_selectorELNS0_4arch9wavefront6targetE1EEEvSK_ ; -- Begin function _ZN7rocprim17ROCPRIM_400000_NS6detail17trampoline_kernelINS0_14default_configENS1_35radix_sort_onesweep_config_selectorIxNS0_10empty_typeEEEZZNS1_29radix_sort_onesweep_iterationIS3_Lb0EN6thrust23THRUST_200600_302600_NS6detail15normal_iteratorINS9_10device_ptrIxEEEESE_PS5_SF_jNS0_19identity_decomposerENS1_16block_id_wrapperIjLb1EEEEE10hipError_tT1_PNSt15iterator_traitsISK_E10value_typeET2_T3_PNSL_ISQ_E10value_typeET4_T5_PSV_SW_PNS1_23onesweep_lookback_stateEbbT6_jjT7_P12ihipStream_tbENKUlT_T0_SK_SP_E_clIPxSE_SF_SF_EEDaS13_S14_SK_SP_EUlS13_E_NS1_11comp_targetILNS1_3genE9ELNS1_11target_archE1100ELNS1_3gpuE3ELNS1_3repE0EEENS1_47radix_sort_onesweep_sort_config_static_selectorELNS0_4arch9wavefront6targetE1EEEvSK_
	.globl	_ZN7rocprim17ROCPRIM_400000_NS6detail17trampoline_kernelINS0_14default_configENS1_35radix_sort_onesweep_config_selectorIxNS0_10empty_typeEEEZZNS1_29radix_sort_onesweep_iterationIS3_Lb0EN6thrust23THRUST_200600_302600_NS6detail15normal_iteratorINS9_10device_ptrIxEEEESE_PS5_SF_jNS0_19identity_decomposerENS1_16block_id_wrapperIjLb1EEEEE10hipError_tT1_PNSt15iterator_traitsISK_E10value_typeET2_T3_PNSL_ISQ_E10value_typeET4_T5_PSV_SW_PNS1_23onesweep_lookback_stateEbbT6_jjT7_P12ihipStream_tbENKUlT_T0_SK_SP_E_clIPxSE_SF_SF_EEDaS13_S14_SK_SP_EUlS13_E_NS1_11comp_targetILNS1_3genE9ELNS1_11target_archE1100ELNS1_3gpuE3ELNS1_3repE0EEENS1_47radix_sort_onesweep_sort_config_static_selectorELNS0_4arch9wavefront6targetE1EEEvSK_
	.p2align	8
	.type	_ZN7rocprim17ROCPRIM_400000_NS6detail17trampoline_kernelINS0_14default_configENS1_35radix_sort_onesweep_config_selectorIxNS0_10empty_typeEEEZZNS1_29radix_sort_onesweep_iterationIS3_Lb0EN6thrust23THRUST_200600_302600_NS6detail15normal_iteratorINS9_10device_ptrIxEEEESE_PS5_SF_jNS0_19identity_decomposerENS1_16block_id_wrapperIjLb1EEEEE10hipError_tT1_PNSt15iterator_traitsISK_E10value_typeET2_T3_PNSL_ISQ_E10value_typeET4_T5_PSV_SW_PNS1_23onesweep_lookback_stateEbbT6_jjT7_P12ihipStream_tbENKUlT_T0_SK_SP_E_clIPxSE_SF_SF_EEDaS13_S14_SK_SP_EUlS13_E_NS1_11comp_targetILNS1_3genE9ELNS1_11target_archE1100ELNS1_3gpuE3ELNS1_3repE0EEENS1_47radix_sort_onesweep_sort_config_static_selectorELNS0_4arch9wavefront6targetE1EEEvSK_,@function
_ZN7rocprim17ROCPRIM_400000_NS6detail17trampoline_kernelINS0_14default_configENS1_35radix_sort_onesweep_config_selectorIxNS0_10empty_typeEEEZZNS1_29radix_sort_onesweep_iterationIS3_Lb0EN6thrust23THRUST_200600_302600_NS6detail15normal_iteratorINS9_10device_ptrIxEEEESE_PS5_SF_jNS0_19identity_decomposerENS1_16block_id_wrapperIjLb1EEEEE10hipError_tT1_PNSt15iterator_traitsISK_E10value_typeET2_T3_PNSL_ISQ_E10value_typeET4_T5_PSV_SW_PNS1_23onesweep_lookback_stateEbbT6_jjT7_P12ihipStream_tbENKUlT_T0_SK_SP_E_clIPxSE_SF_SF_EEDaS13_S14_SK_SP_EUlS13_E_NS1_11comp_targetILNS1_3genE9ELNS1_11target_archE1100ELNS1_3gpuE3ELNS1_3repE0EEENS1_47radix_sort_onesweep_sort_config_static_selectorELNS0_4arch9wavefront6targetE1EEEvSK_: ; @_ZN7rocprim17ROCPRIM_400000_NS6detail17trampoline_kernelINS0_14default_configENS1_35radix_sort_onesweep_config_selectorIxNS0_10empty_typeEEEZZNS1_29radix_sort_onesweep_iterationIS3_Lb0EN6thrust23THRUST_200600_302600_NS6detail15normal_iteratorINS9_10device_ptrIxEEEESE_PS5_SF_jNS0_19identity_decomposerENS1_16block_id_wrapperIjLb1EEEEE10hipError_tT1_PNSt15iterator_traitsISK_E10value_typeET2_T3_PNSL_ISQ_E10value_typeET4_T5_PSV_SW_PNS1_23onesweep_lookback_stateEbbT6_jjT7_P12ihipStream_tbENKUlT_T0_SK_SP_E_clIPxSE_SF_SF_EEDaS13_S14_SK_SP_EUlS13_E_NS1_11comp_targetILNS1_3genE9ELNS1_11target_archE1100ELNS1_3gpuE3ELNS1_3repE0EEENS1_47radix_sort_onesweep_sort_config_static_selectorELNS0_4arch9wavefront6targetE1EEEvSK_
; %bb.0:
	.section	.rodata,"a",@progbits
	.p2align	6, 0x0
	.amdhsa_kernel _ZN7rocprim17ROCPRIM_400000_NS6detail17trampoline_kernelINS0_14default_configENS1_35radix_sort_onesweep_config_selectorIxNS0_10empty_typeEEEZZNS1_29radix_sort_onesweep_iterationIS3_Lb0EN6thrust23THRUST_200600_302600_NS6detail15normal_iteratorINS9_10device_ptrIxEEEESE_PS5_SF_jNS0_19identity_decomposerENS1_16block_id_wrapperIjLb1EEEEE10hipError_tT1_PNSt15iterator_traitsISK_E10value_typeET2_T3_PNSL_ISQ_E10value_typeET4_T5_PSV_SW_PNS1_23onesweep_lookback_stateEbbT6_jjT7_P12ihipStream_tbENKUlT_T0_SK_SP_E_clIPxSE_SF_SF_EEDaS13_S14_SK_SP_EUlS13_E_NS1_11comp_targetILNS1_3genE9ELNS1_11target_archE1100ELNS1_3gpuE3ELNS1_3repE0EEENS1_47radix_sort_onesweep_sort_config_static_selectorELNS0_4arch9wavefront6targetE1EEEvSK_
		.amdhsa_group_segment_fixed_size 0
		.amdhsa_private_segment_fixed_size 0
		.amdhsa_kernarg_size 88
		.amdhsa_user_sgpr_count 2
		.amdhsa_user_sgpr_dispatch_ptr 0
		.amdhsa_user_sgpr_queue_ptr 0
		.amdhsa_user_sgpr_kernarg_segment_ptr 1
		.amdhsa_user_sgpr_dispatch_id 0
		.amdhsa_user_sgpr_kernarg_preload_length 0
		.amdhsa_user_sgpr_kernarg_preload_offset 0
		.amdhsa_user_sgpr_private_segment_size 0
		.amdhsa_uses_dynamic_stack 0
		.amdhsa_enable_private_segment 0
		.amdhsa_system_sgpr_workgroup_id_x 1
		.amdhsa_system_sgpr_workgroup_id_y 0
		.amdhsa_system_sgpr_workgroup_id_z 0
		.amdhsa_system_sgpr_workgroup_info 0
		.amdhsa_system_vgpr_workitem_id 0
		.amdhsa_next_free_vgpr 1
		.amdhsa_next_free_sgpr 0
		.amdhsa_accum_offset 4
		.amdhsa_reserve_vcc 0
		.amdhsa_float_round_mode_32 0
		.amdhsa_float_round_mode_16_64 0
		.amdhsa_float_denorm_mode_32 3
		.amdhsa_float_denorm_mode_16_64 3
		.amdhsa_dx10_clamp 1
		.amdhsa_ieee_mode 1
		.amdhsa_fp16_overflow 0
		.amdhsa_tg_split 0
		.amdhsa_exception_fp_ieee_invalid_op 0
		.amdhsa_exception_fp_denorm_src 0
		.amdhsa_exception_fp_ieee_div_zero 0
		.amdhsa_exception_fp_ieee_overflow 0
		.amdhsa_exception_fp_ieee_underflow 0
		.amdhsa_exception_fp_ieee_inexact 0
		.amdhsa_exception_int_div_zero 0
	.end_amdhsa_kernel
	.section	.text._ZN7rocprim17ROCPRIM_400000_NS6detail17trampoline_kernelINS0_14default_configENS1_35radix_sort_onesweep_config_selectorIxNS0_10empty_typeEEEZZNS1_29radix_sort_onesweep_iterationIS3_Lb0EN6thrust23THRUST_200600_302600_NS6detail15normal_iteratorINS9_10device_ptrIxEEEESE_PS5_SF_jNS0_19identity_decomposerENS1_16block_id_wrapperIjLb1EEEEE10hipError_tT1_PNSt15iterator_traitsISK_E10value_typeET2_T3_PNSL_ISQ_E10value_typeET4_T5_PSV_SW_PNS1_23onesweep_lookback_stateEbbT6_jjT7_P12ihipStream_tbENKUlT_T0_SK_SP_E_clIPxSE_SF_SF_EEDaS13_S14_SK_SP_EUlS13_E_NS1_11comp_targetILNS1_3genE9ELNS1_11target_archE1100ELNS1_3gpuE3ELNS1_3repE0EEENS1_47radix_sort_onesweep_sort_config_static_selectorELNS0_4arch9wavefront6targetE1EEEvSK_,"axG",@progbits,_ZN7rocprim17ROCPRIM_400000_NS6detail17trampoline_kernelINS0_14default_configENS1_35radix_sort_onesweep_config_selectorIxNS0_10empty_typeEEEZZNS1_29radix_sort_onesweep_iterationIS3_Lb0EN6thrust23THRUST_200600_302600_NS6detail15normal_iteratorINS9_10device_ptrIxEEEESE_PS5_SF_jNS0_19identity_decomposerENS1_16block_id_wrapperIjLb1EEEEE10hipError_tT1_PNSt15iterator_traitsISK_E10value_typeET2_T3_PNSL_ISQ_E10value_typeET4_T5_PSV_SW_PNS1_23onesweep_lookback_stateEbbT6_jjT7_P12ihipStream_tbENKUlT_T0_SK_SP_E_clIPxSE_SF_SF_EEDaS13_S14_SK_SP_EUlS13_E_NS1_11comp_targetILNS1_3genE9ELNS1_11target_archE1100ELNS1_3gpuE3ELNS1_3repE0EEENS1_47radix_sort_onesweep_sort_config_static_selectorELNS0_4arch9wavefront6targetE1EEEvSK_,comdat
.Lfunc_end1567:
	.size	_ZN7rocprim17ROCPRIM_400000_NS6detail17trampoline_kernelINS0_14default_configENS1_35radix_sort_onesweep_config_selectorIxNS0_10empty_typeEEEZZNS1_29radix_sort_onesweep_iterationIS3_Lb0EN6thrust23THRUST_200600_302600_NS6detail15normal_iteratorINS9_10device_ptrIxEEEESE_PS5_SF_jNS0_19identity_decomposerENS1_16block_id_wrapperIjLb1EEEEE10hipError_tT1_PNSt15iterator_traitsISK_E10value_typeET2_T3_PNSL_ISQ_E10value_typeET4_T5_PSV_SW_PNS1_23onesweep_lookback_stateEbbT6_jjT7_P12ihipStream_tbENKUlT_T0_SK_SP_E_clIPxSE_SF_SF_EEDaS13_S14_SK_SP_EUlS13_E_NS1_11comp_targetILNS1_3genE9ELNS1_11target_archE1100ELNS1_3gpuE3ELNS1_3repE0EEENS1_47radix_sort_onesweep_sort_config_static_selectorELNS0_4arch9wavefront6targetE1EEEvSK_, .Lfunc_end1567-_ZN7rocprim17ROCPRIM_400000_NS6detail17trampoline_kernelINS0_14default_configENS1_35radix_sort_onesweep_config_selectorIxNS0_10empty_typeEEEZZNS1_29radix_sort_onesweep_iterationIS3_Lb0EN6thrust23THRUST_200600_302600_NS6detail15normal_iteratorINS9_10device_ptrIxEEEESE_PS5_SF_jNS0_19identity_decomposerENS1_16block_id_wrapperIjLb1EEEEE10hipError_tT1_PNSt15iterator_traitsISK_E10value_typeET2_T3_PNSL_ISQ_E10value_typeET4_T5_PSV_SW_PNS1_23onesweep_lookback_stateEbbT6_jjT7_P12ihipStream_tbENKUlT_T0_SK_SP_E_clIPxSE_SF_SF_EEDaS13_S14_SK_SP_EUlS13_E_NS1_11comp_targetILNS1_3genE9ELNS1_11target_archE1100ELNS1_3gpuE3ELNS1_3repE0EEENS1_47radix_sort_onesweep_sort_config_static_selectorELNS0_4arch9wavefront6targetE1EEEvSK_
                                        ; -- End function
	.section	.AMDGPU.csdata,"",@progbits
; Kernel info:
; codeLenInByte = 0
; NumSgprs: 6
; NumVgprs: 0
; NumAgprs: 0
; TotalNumVgprs: 0
; ScratchSize: 0
; MemoryBound: 0
; FloatMode: 240
; IeeeMode: 1
; LDSByteSize: 0 bytes/workgroup (compile time only)
; SGPRBlocks: 0
; VGPRBlocks: 0
; NumSGPRsForWavesPerEU: 6
; NumVGPRsForWavesPerEU: 1
; AccumOffset: 4
; Occupancy: 8
; WaveLimiterHint : 0
; COMPUTE_PGM_RSRC2:SCRATCH_EN: 0
; COMPUTE_PGM_RSRC2:USER_SGPR: 2
; COMPUTE_PGM_RSRC2:TRAP_HANDLER: 0
; COMPUTE_PGM_RSRC2:TGID_X_EN: 1
; COMPUTE_PGM_RSRC2:TGID_Y_EN: 0
; COMPUTE_PGM_RSRC2:TGID_Z_EN: 0
; COMPUTE_PGM_RSRC2:TIDIG_COMP_CNT: 0
; COMPUTE_PGM_RSRC3_GFX90A:ACCUM_OFFSET: 0
; COMPUTE_PGM_RSRC3_GFX90A:TG_SPLIT: 0
	.section	.text._ZN7rocprim17ROCPRIM_400000_NS6detail17trampoline_kernelINS0_14default_configENS1_35radix_sort_onesweep_config_selectorIxNS0_10empty_typeEEEZZNS1_29radix_sort_onesweep_iterationIS3_Lb0EN6thrust23THRUST_200600_302600_NS6detail15normal_iteratorINS9_10device_ptrIxEEEESE_PS5_SF_jNS0_19identity_decomposerENS1_16block_id_wrapperIjLb1EEEEE10hipError_tT1_PNSt15iterator_traitsISK_E10value_typeET2_T3_PNSL_ISQ_E10value_typeET4_T5_PSV_SW_PNS1_23onesweep_lookback_stateEbbT6_jjT7_P12ihipStream_tbENKUlT_T0_SK_SP_E_clIPxSE_SF_SF_EEDaS13_S14_SK_SP_EUlS13_E_NS1_11comp_targetILNS1_3genE8ELNS1_11target_archE1030ELNS1_3gpuE2ELNS1_3repE0EEENS1_47radix_sort_onesweep_sort_config_static_selectorELNS0_4arch9wavefront6targetE1EEEvSK_,"axG",@progbits,_ZN7rocprim17ROCPRIM_400000_NS6detail17trampoline_kernelINS0_14default_configENS1_35radix_sort_onesweep_config_selectorIxNS0_10empty_typeEEEZZNS1_29radix_sort_onesweep_iterationIS3_Lb0EN6thrust23THRUST_200600_302600_NS6detail15normal_iteratorINS9_10device_ptrIxEEEESE_PS5_SF_jNS0_19identity_decomposerENS1_16block_id_wrapperIjLb1EEEEE10hipError_tT1_PNSt15iterator_traitsISK_E10value_typeET2_T3_PNSL_ISQ_E10value_typeET4_T5_PSV_SW_PNS1_23onesweep_lookback_stateEbbT6_jjT7_P12ihipStream_tbENKUlT_T0_SK_SP_E_clIPxSE_SF_SF_EEDaS13_S14_SK_SP_EUlS13_E_NS1_11comp_targetILNS1_3genE8ELNS1_11target_archE1030ELNS1_3gpuE2ELNS1_3repE0EEENS1_47radix_sort_onesweep_sort_config_static_selectorELNS0_4arch9wavefront6targetE1EEEvSK_,comdat
	.protected	_ZN7rocprim17ROCPRIM_400000_NS6detail17trampoline_kernelINS0_14default_configENS1_35radix_sort_onesweep_config_selectorIxNS0_10empty_typeEEEZZNS1_29radix_sort_onesweep_iterationIS3_Lb0EN6thrust23THRUST_200600_302600_NS6detail15normal_iteratorINS9_10device_ptrIxEEEESE_PS5_SF_jNS0_19identity_decomposerENS1_16block_id_wrapperIjLb1EEEEE10hipError_tT1_PNSt15iterator_traitsISK_E10value_typeET2_T3_PNSL_ISQ_E10value_typeET4_T5_PSV_SW_PNS1_23onesweep_lookback_stateEbbT6_jjT7_P12ihipStream_tbENKUlT_T0_SK_SP_E_clIPxSE_SF_SF_EEDaS13_S14_SK_SP_EUlS13_E_NS1_11comp_targetILNS1_3genE8ELNS1_11target_archE1030ELNS1_3gpuE2ELNS1_3repE0EEENS1_47radix_sort_onesweep_sort_config_static_selectorELNS0_4arch9wavefront6targetE1EEEvSK_ ; -- Begin function _ZN7rocprim17ROCPRIM_400000_NS6detail17trampoline_kernelINS0_14default_configENS1_35radix_sort_onesweep_config_selectorIxNS0_10empty_typeEEEZZNS1_29radix_sort_onesweep_iterationIS3_Lb0EN6thrust23THRUST_200600_302600_NS6detail15normal_iteratorINS9_10device_ptrIxEEEESE_PS5_SF_jNS0_19identity_decomposerENS1_16block_id_wrapperIjLb1EEEEE10hipError_tT1_PNSt15iterator_traitsISK_E10value_typeET2_T3_PNSL_ISQ_E10value_typeET4_T5_PSV_SW_PNS1_23onesweep_lookback_stateEbbT6_jjT7_P12ihipStream_tbENKUlT_T0_SK_SP_E_clIPxSE_SF_SF_EEDaS13_S14_SK_SP_EUlS13_E_NS1_11comp_targetILNS1_3genE8ELNS1_11target_archE1030ELNS1_3gpuE2ELNS1_3repE0EEENS1_47radix_sort_onesweep_sort_config_static_selectorELNS0_4arch9wavefront6targetE1EEEvSK_
	.globl	_ZN7rocprim17ROCPRIM_400000_NS6detail17trampoline_kernelINS0_14default_configENS1_35radix_sort_onesweep_config_selectorIxNS0_10empty_typeEEEZZNS1_29radix_sort_onesweep_iterationIS3_Lb0EN6thrust23THRUST_200600_302600_NS6detail15normal_iteratorINS9_10device_ptrIxEEEESE_PS5_SF_jNS0_19identity_decomposerENS1_16block_id_wrapperIjLb1EEEEE10hipError_tT1_PNSt15iterator_traitsISK_E10value_typeET2_T3_PNSL_ISQ_E10value_typeET4_T5_PSV_SW_PNS1_23onesweep_lookback_stateEbbT6_jjT7_P12ihipStream_tbENKUlT_T0_SK_SP_E_clIPxSE_SF_SF_EEDaS13_S14_SK_SP_EUlS13_E_NS1_11comp_targetILNS1_3genE8ELNS1_11target_archE1030ELNS1_3gpuE2ELNS1_3repE0EEENS1_47radix_sort_onesweep_sort_config_static_selectorELNS0_4arch9wavefront6targetE1EEEvSK_
	.p2align	8
	.type	_ZN7rocprim17ROCPRIM_400000_NS6detail17trampoline_kernelINS0_14default_configENS1_35radix_sort_onesweep_config_selectorIxNS0_10empty_typeEEEZZNS1_29radix_sort_onesweep_iterationIS3_Lb0EN6thrust23THRUST_200600_302600_NS6detail15normal_iteratorINS9_10device_ptrIxEEEESE_PS5_SF_jNS0_19identity_decomposerENS1_16block_id_wrapperIjLb1EEEEE10hipError_tT1_PNSt15iterator_traitsISK_E10value_typeET2_T3_PNSL_ISQ_E10value_typeET4_T5_PSV_SW_PNS1_23onesweep_lookback_stateEbbT6_jjT7_P12ihipStream_tbENKUlT_T0_SK_SP_E_clIPxSE_SF_SF_EEDaS13_S14_SK_SP_EUlS13_E_NS1_11comp_targetILNS1_3genE8ELNS1_11target_archE1030ELNS1_3gpuE2ELNS1_3repE0EEENS1_47radix_sort_onesweep_sort_config_static_selectorELNS0_4arch9wavefront6targetE1EEEvSK_,@function
_ZN7rocprim17ROCPRIM_400000_NS6detail17trampoline_kernelINS0_14default_configENS1_35radix_sort_onesweep_config_selectorIxNS0_10empty_typeEEEZZNS1_29radix_sort_onesweep_iterationIS3_Lb0EN6thrust23THRUST_200600_302600_NS6detail15normal_iteratorINS9_10device_ptrIxEEEESE_PS5_SF_jNS0_19identity_decomposerENS1_16block_id_wrapperIjLb1EEEEE10hipError_tT1_PNSt15iterator_traitsISK_E10value_typeET2_T3_PNSL_ISQ_E10value_typeET4_T5_PSV_SW_PNS1_23onesweep_lookback_stateEbbT6_jjT7_P12ihipStream_tbENKUlT_T0_SK_SP_E_clIPxSE_SF_SF_EEDaS13_S14_SK_SP_EUlS13_E_NS1_11comp_targetILNS1_3genE8ELNS1_11target_archE1030ELNS1_3gpuE2ELNS1_3repE0EEENS1_47radix_sort_onesweep_sort_config_static_selectorELNS0_4arch9wavefront6targetE1EEEvSK_: ; @_ZN7rocprim17ROCPRIM_400000_NS6detail17trampoline_kernelINS0_14default_configENS1_35radix_sort_onesweep_config_selectorIxNS0_10empty_typeEEEZZNS1_29radix_sort_onesweep_iterationIS3_Lb0EN6thrust23THRUST_200600_302600_NS6detail15normal_iteratorINS9_10device_ptrIxEEEESE_PS5_SF_jNS0_19identity_decomposerENS1_16block_id_wrapperIjLb1EEEEE10hipError_tT1_PNSt15iterator_traitsISK_E10value_typeET2_T3_PNSL_ISQ_E10value_typeET4_T5_PSV_SW_PNS1_23onesweep_lookback_stateEbbT6_jjT7_P12ihipStream_tbENKUlT_T0_SK_SP_E_clIPxSE_SF_SF_EEDaS13_S14_SK_SP_EUlS13_E_NS1_11comp_targetILNS1_3genE8ELNS1_11target_archE1030ELNS1_3gpuE2ELNS1_3repE0EEENS1_47radix_sort_onesweep_sort_config_static_selectorELNS0_4arch9wavefront6targetE1EEEvSK_
; %bb.0:
	.section	.rodata,"a",@progbits
	.p2align	6, 0x0
	.amdhsa_kernel _ZN7rocprim17ROCPRIM_400000_NS6detail17trampoline_kernelINS0_14default_configENS1_35radix_sort_onesweep_config_selectorIxNS0_10empty_typeEEEZZNS1_29radix_sort_onesweep_iterationIS3_Lb0EN6thrust23THRUST_200600_302600_NS6detail15normal_iteratorINS9_10device_ptrIxEEEESE_PS5_SF_jNS0_19identity_decomposerENS1_16block_id_wrapperIjLb1EEEEE10hipError_tT1_PNSt15iterator_traitsISK_E10value_typeET2_T3_PNSL_ISQ_E10value_typeET4_T5_PSV_SW_PNS1_23onesweep_lookback_stateEbbT6_jjT7_P12ihipStream_tbENKUlT_T0_SK_SP_E_clIPxSE_SF_SF_EEDaS13_S14_SK_SP_EUlS13_E_NS1_11comp_targetILNS1_3genE8ELNS1_11target_archE1030ELNS1_3gpuE2ELNS1_3repE0EEENS1_47radix_sort_onesweep_sort_config_static_selectorELNS0_4arch9wavefront6targetE1EEEvSK_
		.amdhsa_group_segment_fixed_size 0
		.amdhsa_private_segment_fixed_size 0
		.amdhsa_kernarg_size 88
		.amdhsa_user_sgpr_count 2
		.amdhsa_user_sgpr_dispatch_ptr 0
		.amdhsa_user_sgpr_queue_ptr 0
		.amdhsa_user_sgpr_kernarg_segment_ptr 1
		.amdhsa_user_sgpr_dispatch_id 0
		.amdhsa_user_sgpr_kernarg_preload_length 0
		.amdhsa_user_sgpr_kernarg_preload_offset 0
		.amdhsa_user_sgpr_private_segment_size 0
		.amdhsa_uses_dynamic_stack 0
		.amdhsa_enable_private_segment 0
		.amdhsa_system_sgpr_workgroup_id_x 1
		.amdhsa_system_sgpr_workgroup_id_y 0
		.amdhsa_system_sgpr_workgroup_id_z 0
		.amdhsa_system_sgpr_workgroup_info 0
		.amdhsa_system_vgpr_workitem_id 0
		.amdhsa_next_free_vgpr 1
		.amdhsa_next_free_sgpr 0
		.amdhsa_accum_offset 4
		.amdhsa_reserve_vcc 0
		.amdhsa_float_round_mode_32 0
		.amdhsa_float_round_mode_16_64 0
		.amdhsa_float_denorm_mode_32 3
		.amdhsa_float_denorm_mode_16_64 3
		.amdhsa_dx10_clamp 1
		.amdhsa_ieee_mode 1
		.amdhsa_fp16_overflow 0
		.amdhsa_tg_split 0
		.amdhsa_exception_fp_ieee_invalid_op 0
		.amdhsa_exception_fp_denorm_src 0
		.amdhsa_exception_fp_ieee_div_zero 0
		.amdhsa_exception_fp_ieee_overflow 0
		.amdhsa_exception_fp_ieee_underflow 0
		.amdhsa_exception_fp_ieee_inexact 0
		.amdhsa_exception_int_div_zero 0
	.end_amdhsa_kernel
	.section	.text._ZN7rocprim17ROCPRIM_400000_NS6detail17trampoline_kernelINS0_14default_configENS1_35radix_sort_onesweep_config_selectorIxNS0_10empty_typeEEEZZNS1_29radix_sort_onesweep_iterationIS3_Lb0EN6thrust23THRUST_200600_302600_NS6detail15normal_iteratorINS9_10device_ptrIxEEEESE_PS5_SF_jNS0_19identity_decomposerENS1_16block_id_wrapperIjLb1EEEEE10hipError_tT1_PNSt15iterator_traitsISK_E10value_typeET2_T3_PNSL_ISQ_E10value_typeET4_T5_PSV_SW_PNS1_23onesweep_lookback_stateEbbT6_jjT7_P12ihipStream_tbENKUlT_T0_SK_SP_E_clIPxSE_SF_SF_EEDaS13_S14_SK_SP_EUlS13_E_NS1_11comp_targetILNS1_3genE8ELNS1_11target_archE1030ELNS1_3gpuE2ELNS1_3repE0EEENS1_47radix_sort_onesweep_sort_config_static_selectorELNS0_4arch9wavefront6targetE1EEEvSK_,"axG",@progbits,_ZN7rocprim17ROCPRIM_400000_NS6detail17trampoline_kernelINS0_14default_configENS1_35radix_sort_onesweep_config_selectorIxNS0_10empty_typeEEEZZNS1_29radix_sort_onesweep_iterationIS3_Lb0EN6thrust23THRUST_200600_302600_NS6detail15normal_iteratorINS9_10device_ptrIxEEEESE_PS5_SF_jNS0_19identity_decomposerENS1_16block_id_wrapperIjLb1EEEEE10hipError_tT1_PNSt15iterator_traitsISK_E10value_typeET2_T3_PNSL_ISQ_E10value_typeET4_T5_PSV_SW_PNS1_23onesweep_lookback_stateEbbT6_jjT7_P12ihipStream_tbENKUlT_T0_SK_SP_E_clIPxSE_SF_SF_EEDaS13_S14_SK_SP_EUlS13_E_NS1_11comp_targetILNS1_3genE8ELNS1_11target_archE1030ELNS1_3gpuE2ELNS1_3repE0EEENS1_47radix_sort_onesweep_sort_config_static_selectorELNS0_4arch9wavefront6targetE1EEEvSK_,comdat
.Lfunc_end1568:
	.size	_ZN7rocprim17ROCPRIM_400000_NS6detail17trampoline_kernelINS0_14default_configENS1_35radix_sort_onesweep_config_selectorIxNS0_10empty_typeEEEZZNS1_29radix_sort_onesweep_iterationIS3_Lb0EN6thrust23THRUST_200600_302600_NS6detail15normal_iteratorINS9_10device_ptrIxEEEESE_PS5_SF_jNS0_19identity_decomposerENS1_16block_id_wrapperIjLb1EEEEE10hipError_tT1_PNSt15iterator_traitsISK_E10value_typeET2_T3_PNSL_ISQ_E10value_typeET4_T5_PSV_SW_PNS1_23onesweep_lookback_stateEbbT6_jjT7_P12ihipStream_tbENKUlT_T0_SK_SP_E_clIPxSE_SF_SF_EEDaS13_S14_SK_SP_EUlS13_E_NS1_11comp_targetILNS1_3genE8ELNS1_11target_archE1030ELNS1_3gpuE2ELNS1_3repE0EEENS1_47radix_sort_onesweep_sort_config_static_selectorELNS0_4arch9wavefront6targetE1EEEvSK_, .Lfunc_end1568-_ZN7rocprim17ROCPRIM_400000_NS6detail17trampoline_kernelINS0_14default_configENS1_35radix_sort_onesweep_config_selectorIxNS0_10empty_typeEEEZZNS1_29radix_sort_onesweep_iterationIS3_Lb0EN6thrust23THRUST_200600_302600_NS6detail15normal_iteratorINS9_10device_ptrIxEEEESE_PS5_SF_jNS0_19identity_decomposerENS1_16block_id_wrapperIjLb1EEEEE10hipError_tT1_PNSt15iterator_traitsISK_E10value_typeET2_T3_PNSL_ISQ_E10value_typeET4_T5_PSV_SW_PNS1_23onesweep_lookback_stateEbbT6_jjT7_P12ihipStream_tbENKUlT_T0_SK_SP_E_clIPxSE_SF_SF_EEDaS13_S14_SK_SP_EUlS13_E_NS1_11comp_targetILNS1_3genE8ELNS1_11target_archE1030ELNS1_3gpuE2ELNS1_3repE0EEENS1_47radix_sort_onesweep_sort_config_static_selectorELNS0_4arch9wavefront6targetE1EEEvSK_
                                        ; -- End function
	.section	.AMDGPU.csdata,"",@progbits
; Kernel info:
; codeLenInByte = 0
; NumSgprs: 6
; NumVgprs: 0
; NumAgprs: 0
; TotalNumVgprs: 0
; ScratchSize: 0
; MemoryBound: 0
; FloatMode: 240
; IeeeMode: 1
; LDSByteSize: 0 bytes/workgroup (compile time only)
; SGPRBlocks: 0
; VGPRBlocks: 0
; NumSGPRsForWavesPerEU: 6
; NumVGPRsForWavesPerEU: 1
; AccumOffset: 4
; Occupancy: 8
; WaveLimiterHint : 0
; COMPUTE_PGM_RSRC2:SCRATCH_EN: 0
; COMPUTE_PGM_RSRC2:USER_SGPR: 2
; COMPUTE_PGM_RSRC2:TRAP_HANDLER: 0
; COMPUTE_PGM_RSRC2:TGID_X_EN: 1
; COMPUTE_PGM_RSRC2:TGID_Y_EN: 0
; COMPUTE_PGM_RSRC2:TGID_Z_EN: 0
; COMPUTE_PGM_RSRC2:TIDIG_COMP_CNT: 0
; COMPUTE_PGM_RSRC3_GFX90A:ACCUM_OFFSET: 0
; COMPUTE_PGM_RSRC3_GFX90A:TG_SPLIT: 0
	.section	.text._ZN7rocprim17ROCPRIM_400000_NS6detail17trampoline_kernelINS0_14default_configENS1_35radix_sort_onesweep_config_selectorIxNS0_10empty_typeEEEZZNS1_29radix_sort_onesweep_iterationIS3_Lb0EN6thrust23THRUST_200600_302600_NS6detail15normal_iteratorINS9_10device_ptrIxEEEESE_PS5_SF_jNS0_19identity_decomposerENS1_16block_id_wrapperIjLb0EEEEE10hipError_tT1_PNSt15iterator_traitsISK_E10value_typeET2_T3_PNSL_ISQ_E10value_typeET4_T5_PSV_SW_PNS1_23onesweep_lookback_stateEbbT6_jjT7_P12ihipStream_tbENKUlT_T0_SK_SP_E_clISE_SE_SF_SF_EEDaS13_S14_SK_SP_EUlS13_E_NS1_11comp_targetILNS1_3genE0ELNS1_11target_archE4294967295ELNS1_3gpuE0ELNS1_3repE0EEENS1_47radix_sort_onesweep_sort_config_static_selectorELNS0_4arch9wavefront6targetE1EEEvSK_,"axG",@progbits,_ZN7rocprim17ROCPRIM_400000_NS6detail17trampoline_kernelINS0_14default_configENS1_35radix_sort_onesweep_config_selectorIxNS0_10empty_typeEEEZZNS1_29radix_sort_onesweep_iterationIS3_Lb0EN6thrust23THRUST_200600_302600_NS6detail15normal_iteratorINS9_10device_ptrIxEEEESE_PS5_SF_jNS0_19identity_decomposerENS1_16block_id_wrapperIjLb0EEEEE10hipError_tT1_PNSt15iterator_traitsISK_E10value_typeET2_T3_PNSL_ISQ_E10value_typeET4_T5_PSV_SW_PNS1_23onesweep_lookback_stateEbbT6_jjT7_P12ihipStream_tbENKUlT_T0_SK_SP_E_clISE_SE_SF_SF_EEDaS13_S14_SK_SP_EUlS13_E_NS1_11comp_targetILNS1_3genE0ELNS1_11target_archE4294967295ELNS1_3gpuE0ELNS1_3repE0EEENS1_47radix_sort_onesweep_sort_config_static_selectorELNS0_4arch9wavefront6targetE1EEEvSK_,comdat
	.protected	_ZN7rocprim17ROCPRIM_400000_NS6detail17trampoline_kernelINS0_14default_configENS1_35radix_sort_onesweep_config_selectorIxNS0_10empty_typeEEEZZNS1_29radix_sort_onesweep_iterationIS3_Lb0EN6thrust23THRUST_200600_302600_NS6detail15normal_iteratorINS9_10device_ptrIxEEEESE_PS5_SF_jNS0_19identity_decomposerENS1_16block_id_wrapperIjLb0EEEEE10hipError_tT1_PNSt15iterator_traitsISK_E10value_typeET2_T3_PNSL_ISQ_E10value_typeET4_T5_PSV_SW_PNS1_23onesweep_lookback_stateEbbT6_jjT7_P12ihipStream_tbENKUlT_T0_SK_SP_E_clISE_SE_SF_SF_EEDaS13_S14_SK_SP_EUlS13_E_NS1_11comp_targetILNS1_3genE0ELNS1_11target_archE4294967295ELNS1_3gpuE0ELNS1_3repE0EEENS1_47radix_sort_onesweep_sort_config_static_selectorELNS0_4arch9wavefront6targetE1EEEvSK_ ; -- Begin function _ZN7rocprim17ROCPRIM_400000_NS6detail17trampoline_kernelINS0_14default_configENS1_35radix_sort_onesweep_config_selectorIxNS0_10empty_typeEEEZZNS1_29radix_sort_onesweep_iterationIS3_Lb0EN6thrust23THRUST_200600_302600_NS6detail15normal_iteratorINS9_10device_ptrIxEEEESE_PS5_SF_jNS0_19identity_decomposerENS1_16block_id_wrapperIjLb0EEEEE10hipError_tT1_PNSt15iterator_traitsISK_E10value_typeET2_T3_PNSL_ISQ_E10value_typeET4_T5_PSV_SW_PNS1_23onesweep_lookback_stateEbbT6_jjT7_P12ihipStream_tbENKUlT_T0_SK_SP_E_clISE_SE_SF_SF_EEDaS13_S14_SK_SP_EUlS13_E_NS1_11comp_targetILNS1_3genE0ELNS1_11target_archE4294967295ELNS1_3gpuE0ELNS1_3repE0EEENS1_47radix_sort_onesweep_sort_config_static_selectorELNS0_4arch9wavefront6targetE1EEEvSK_
	.globl	_ZN7rocprim17ROCPRIM_400000_NS6detail17trampoline_kernelINS0_14default_configENS1_35radix_sort_onesweep_config_selectorIxNS0_10empty_typeEEEZZNS1_29radix_sort_onesweep_iterationIS3_Lb0EN6thrust23THRUST_200600_302600_NS6detail15normal_iteratorINS9_10device_ptrIxEEEESE_PS5_SF_jNS0_19identity_decomposerENS1_16block_id_wrapperIjLb0EEEEE10hipError_tT1_PNSt15iterator_traitsISK_E10value_typeET2_T3_PNSL_ISQ_E10value_typeET4_T5_PSV_SW_PNS1_23onesweep_lookback_stateEbbT6_jjT7_P12ihipStream_tbENKUlT_T0_SK_SP_E_clISE_SE_SF_SF_EEDaS13_S14_SK_SP_EUlS13_E_NS1_11comp_targetILNS1_3genE0ELNS1_11target_archE4294967295ELNS1_3gpuE0ELNS1_3repE0EEENS1_47radix_sort_onesweep_sort_config_static_selectorELNS0_4arch9wavefront6targetE1EEEvSK_
	.p2align	8
	.type	_ZN7rocprim17ROCPRIM_400000_NS6detail17trampoline_kernelINS0_14default_configENS1_35radix_sort_onesweep_config_selectorIxNS0_10empty_typeEEEZZNS1_29radix_sort_onesweep_iterationIS3_Lb0EN6thrust23THRUST_200600_302600_NS6detail15normal_iteratorINS9_10device_ptrIxEEEESE_PS5_SF_jNS0_19identity_decomposerENS1_16block_id_wrapperIjLb0EEEEE10hipError_tT1_PNSt15iterator_traitsISK_E10value_typeET2_T3_PNSL_ISQ_E10value_typeET4_T5_PSV_SW_PNS1_23onesweep_lookback_stateEbbT6_jjT7_P12ihipStream_tbENKUlT_T0_SK_SP_E_clISE_SE_SF_SF_EEDaS13_S14_SK_SP_EUlS13_E_NS1_11comp_targetILNS1_3genE0ELNS1_11target_archE4294967295ELNS1_3gpuE0ELNS1_3repE0EEENS1_47radix_sort_onesweep_sort_config_static_selectorELNS0_4arch9wavefront6targetE1EEEvSK_,@function
_ZN7rocprim17ROCPRIM_400000_NS6detail17trampoline_kernelINS0_14default_configENS1_35radix_sort_onesweep_config_selectorIxNS0_10empty_typeEEEZZNS1_29radix_sort_onesweep_iterationIS3_Lb0EN6thrust23THRUST_200600_302600_NS6detail15normal_iteratorINS9_10device_ptrIxEEEESE_PS5_SF_jNS0_19identity_decomposerENS1_16block_id_wrapperIjLb0EEEEE10hipError_tT1_PNSt15iterator_traitsISK_E10value_typeET2_T3_PNSL_ISQ_E10value_typeET4_T5_PSV_SW_PNS1_23onesweep_lookback_stateEbbT6_jjT7_P12ihipStream_tbENKUlT_T0_SK_SP_E_clISE_SE_SF_SF_EEDaS13_S14_SK_SP_EUlS13_E_NS1_11comp_targetILNS1_3genE0ELNS1_11target_archE4294967295ELNS1_3gpuE0ELNS1_3repE0EEENS1_47radix_sort_onesweep_sort_config_static_selectorELNS0_4arch9wavefront6targetE1EEEvSK_: ; @_ZN7rocprim17ROCPRIM_400000_NS6detail17trampoline_kernelINS0_14default_configENS1_35radix_sort_onesweep_config_selectorIxNS0_10empty_typeEEEZZNS1_29radix_sort_onesweep_iterationIS3_Lb0EN6thrust23THRUST_200600_302600_NS6detail15normal_iteratorINS9_10device_ptrIxEEEESE_PS5_SF_jNS0_19identity_decomposerENS1_16block_id_wrapperIjLb0EEEEE10hipError_tT1_PNSt15iterator_traitsISK_E10value_typeET2_T3_PNSL_ISQ_E10value_typeET4_T5_PSV_SW_PNS1_23onesweep_lookback_stateEbbT6_jjT7_P12ihipStream_tbENKUlT_T0_SK_SP_E_clISE_SE_SF_SF_EEDaS13_S14_SK_SP_EUlS13_E_NS1_11comp_targetILNS1_3genE0ELNS1_11target_archE4294967295ELNS1_3gpuE0ELNS1_3repE0EEENS1_47radix_sort_onesweep_sort_config_static_selectorELNS0_4arch9wavefront6targetE1EEEvSK_
; %bb.0:
	.section	.rodata,"a",@progbits
	.p2align	6, 0x0
	.amdhsa_kernel _ZN7rocprim17ROCPRIM_400000_NS6detail17trampoline_kernelINS0_14default_configENS1_35radix_sort_onesweep_config_selectorIxNS0_10empty_typeEEEZZNS1_29radix_sort_onesweep_iterationIS3_Lb0EN6thrust23THRUST_200600_302600_NS6detail15normal_iteratorINS9_10device_ptrIxEEEESE_PS5_SF_jNS0_19identity_decomposerENS1_16block_id_wrapperIjLb0EEEEE10hipError_tT1_PNSt15iterator_traitsISK_E10value_typeET2_T3_PNSL_ISQ_E10value_typeET4_T5_PSV_SW_PNS1_23onesweep_lookback_stateEbbT6_jjT7_P12ihipStream_tbENKUlT_T0_SK_SP_E_clISE_SE_SF_SF_EEDaS13_S14_SK_SP_EUlS13_E_NS1_11comp_targetILNS1_3genE0ELNS1_11target_archE4294967295ELNS1_3gpuE0ELNS1_3repE0EEENS1_47radix_sort_onesweep_sort_config_static_selectorELNS0_4arch9wavefront6targetE1EEEvSK_
		.amdhsa_group_segment_fixed_size 0
		.amdhsa_private_segment_fixed_size 0
		.amdhsa_kernarg_size 88
		.amdhsa_user_sgpr_count 2
		.amdhsa_user_sgpr_dispatch_ptr 0
		.amdhsa_user_sgpr_queue_ptr 0
		.amdhsa_user_sgpr_kernarg_segment_ptr 1
		.amdhsa_user_sgpr_dispatch_id 0
		.amdhsa_user_sgpr_kernarg_preload_length 0
		.amdhsa_user_sgpr_kernarg_preload_offset 0
		.amdhsa_user_sgpr_private_segment_size 0
		.amdhsa_uses_dynamic_stack 0
		.amdhsa_enable_private_segment 0
		.amdhsa_system_sgpr_workgroup_id_x 1
		.amdhsa_system_sgpr_workgroup_id_y 0
		.amdhsa_system_sgpr_workgroup_id_z 0
		.amdhsa_system_sgpr_workgroup_info 0
		.amdhsa_system_vgpr_workitem_id 0
		.amdhsa_next_free_vgpr 1
		.amdhsa_next_free_sgpr 0
		.amdhsa_accum_offset 4
		.amdhsa_reserve_vcc 0
		.amdhsa_float_round_mode_32 0
		.amdhsa_float_round_mode_16_64 0
		.amdhsa_float_denorm_mode_32 3
		.amdhsa_float_denorm_mode_16_64 3
		.amdhsa_dx10_clamp 1
		.amdhsa_ieee_mode 1
		.amdhsa_fp16_overflow 0
		.amdhsa_tg_split 0
		.amdhsa_exception_fp_ieee_invalid_op 0
		.amdhsa_exception_fp_denorm_src 0
		.amdhsa_exception_fp_ieee_div_zero 0
		.amdhsa_exception_fp_ieee_overflow 0
		.amdhsa_exception_fp_ieee_underflow 0
		.amdhsa_exception_fp_ieee_inexact 0
		.amdhsa_exception_int_div_zero 0
	.end_amdhsa_kernel
	.section	.text._ZN7rocprim17ROCPRIM_400000_NS6detail17trampoline_kernelINS0_14default_configENS1_35radix_sort_onesweep_config_selectorIxNS0_10empty_typeEEEZZNS1_29radix_sort_onesweep_iterationIS3_Lb0EN6thrust23THRUST_200600_302600_NS6detail15normal_iteratorINS9_10device_ptrIxEEEESE_PS5_SF_jNS0_19identity_decomposerENS1_16block_id_wrapperIjLb0EEEEE10hipError_tT1_PNSt15iterator_traitsISK_E10value_typeET2_T3_PNSL_ISQ_E10value_typeET4_T5_PSV_SW_PNS1_23onesweep_lookback_stateEbbT6_jjT7_P12ihipStream_tbENKUlT_T0_SK_SP_E_clISE_SE_SF_SF_EEDaS13_S14_SK_SP_EUlS13_E_NS1_11comp_targetILNS1_3genE0ELNS1_11target_archE4294967295ELNS1_3gpuE0ELNS1_3repE0EEENS1_47radix_sort_onesweep_sort_config_static_selectorELNS0_4arch9wavefront6targetE1EEEvSK_,"axG",@progbits,_ZN7rocprim17ROCPRIM_400000_NS6detail17trampoline_kernelINS0_14default_configENS1_35radix_sort_onesweep_config_selectorIxNS0_10empty_typeEEEZZNS1_29radix_sort_onesweep_iterationIS3_Lb0EN6thrust23THRUST_200600_302600_NS6detail15normal_iteratorINS9_10device_ptrIxEEEESE_PS5_SF_jNS0_19identity_decomposerENS1_16block_id_wrapperIjLb0EEEEE10hipError_tT1_PNSt15iterator_traitsISK_E10value_typeET2_T3_PNSL_ISQ_E10value_typeET4_T5_PSV_SW_PNS1_23onesweep_lookback_stateEbbT6_jjT7_P12ihipStream_tbENKUlT_T0_SK_SP_E_clISE_SE_SF_SF_EEDaS13_S14_SK_SP_EUlS13_E_NS1_11comp_targetILNS1_3genE0ELNS1_11target_archE4294967295ELNS1_3gpuE0ELNS1_3repE0EEENS1_47radix_sort_onesweep_sort_config_static_selectorELNS0_4arch9wavefront6targetE1EEEvSK_,comdat
.Lfunc_end1569:
	.size	_ZN7rocprim17ROCPRIM_400000_NS6detail17trampoline_kernelINS0_14default_configENS1_35radix_sort_onesweep_config_selectorIxNS0_10empty_typeEEEZZNS1_29radix_sort_onesweep_iterationIS3_Lb0EN6thrust23THRUST_200600_302600_NS6detail15normal_iteratorINS9_10device_ptrIxEEEESE_PS5_SF_jNS0_19identity_decomposerENS1_16block_id_wrapperIjLb0EEEEE10hipError_tT1_PNSt15iterator_traitsISK_E10value_typeET2_T3_PNSL_ISQ_E10value_typeET4_T5_PSV_SW_PNS1_23onesweep_lookback_stateEbbT6_jjT7_P12ihipStream_tbENKUlT_T0_SK_SP_E_clISE_SE_SF_SF_EEDaS13_S14_SK_SP_EUlS13_E_NS1_11comp_targetILNS1_3genE0ELNS1_11target_archE4294967295ELNS1_3gpuE0ELNS1_3repE0EEENS1_47radix_sort_onesweep_sort_config_static_selectorELNS0_4arch9wavefront6targetE1EEEvSK_, .Lfunc_end1569-_ZN7rocprim17ROCPRIM_400000_NS6detail17trampoline_kernelINS0_14default_configENS1_35radix_sort_onesweep_config_selectorIxNS0_10empty_typeEEEZZNS1_29radix_sort_onesweep_iterationIS3_Lb0EN6thrust23THRUST_200600_302600_NS6detail15normal_iteratorINS9_10device_ptrIxEEEESE_PS5_SF_jNS0_19identity_decomposerENS1_16block_id_wrapperIjLb0EEEEE10hipError_tT1_PNSt15iterator_traitsISK_E10value_typeET2_T3_PNSL_ISQ_E10value_typeET4_T5_PSV_SW_PNS1_23onesweep_lookback_stateEbbT6_jjT7_P12ihipStream_tbENKUlT_T0_SK_SP_E_clISE_SE_SF_SF_EEDaS13_S14_SK_SP_EUlS13_E_NS1_11comp_targetILNS1_3genE0ELNS1_11target_archE4294967295ELNS1_3gpuE0ELNS1_3repE0EEENS1_47radix_sort_onesweep_sort_config_static_selectorELNS0_4arch9wavefront6targetE1EEEvSK_
                                        ; -- End function
	.section	.AMDGPU.csdata,"",@progbits
; Kernel info:
; codeLenInByte = 0
; NumSgprs: 6
; NumVgprs: 0
; NumAgprs: 0
; TotalNumVgprs: 0
; ScratchSize: 0
; MemoryBound: 0
; FloatMode: 240
; IeeeMode: 1
; LDSByteSize: 0 bytes/workgroup (compile time only)
; SGPRBlocks: 0
; VGPRBlocks: 0
; NumSGPRsForWavesPerEU: 6
; NumVGPRsForWavesPerEU: 1
; AccumOffset: 4
; Occupancy: 8
; WaveLimiterHint : 0
; COMPUTE_PGM_RSRC2:SCRATCH_EN: 0
; COMPUTE_PGM_RSRC2:USER_SGPR: 2
; COMPUTE_PGM_RSRC2:TRAP_HANDLER: 0
; COMPUTE_PGM_RSRC2:TGID_X_EN: 1
; COMPUTE_PGM_RSRC2:TGID_Y_EN: 0
; COMPUTE_PGM_RSRC2:TGID_Z_EN: 0
; COMPUTE_PGM_RSRC2:TIDIG_COMP_CNT: 0
; COMPUTE_PGM_RSRC3_GFX90A:ACCUM_OFFSET: 0
; COMPUTE_PGM_RSRC3_GFX90A:TG_SPLIT: 0
	.section	.text._ZN7rocprim17ROCPRIM_400000_NS6detail17trampoline_kernelINS0_14default_configENS1_35radix_sort_onesweep_config_selectorIxNS0_10empty_typeEEEZZNS1_29radix_sort_onesweep_iterationIS3_Lb0EN6thrust23THRUST_200600_302600_NS6detail15normal_iteratorINS9_10device_ptrIxEEEESE_PS5_SF_jNS0_19identity_decomposerENS1_16block_id_wrapperIjLb0EEEEE10hipError_tT1_PNSt15iterator_traitsISK_E10value_typeET2_T3_PNSL_ISQ_E10value_typeET4_T5_PSV_SW_PNS1_23onesweep_lookback_stateEbbT6_jjT7_P12ihipStream_tbENKUlT_T0_SK_SP_E_clISE_SE_SF_SF_EEDaS13_S14_SK_SP_EUlS13_E_NS1_11comp_targetILNS1_3genE6ELNS1_11target_archE950ELNS1_3gpuE13ELNS1_3repE0EEENS1_47radix_sort_onesweep_sort_config_static_selectorELNS0_4arch9wavefront6targetE1EEEvSK_,"axG",@progbits,_ZN7rocprim17ROCPRIM_400000_NS6detail17trampoline_kernelINS0_14default_configENS1_35radix_sort_onesweep_config_selectorIxNS0_10empty_typeEEEZZNS1_29radix_sort_onesweep_iterationIS3_Lb0EN6thrust23THRUST_200600_302600_NS6detail15normal_iteratorINS9_10device_ptrIxEEEESE_PS5_SF_jNS0_19identity_decomposerENS1_16block_id_wrapperIjLb0EEEEE10hipError_tT1_PNSt15iterator_traitsISK_E10value_typeET2_T3_PNSL_ISQ_E10value_typeET4_T5_PSV_SW_PNS1_23onesweep_lookback_stateEbbT6_jjT7_P12ihipStream_tbENKUlT_T0_SK_SP_E_clISE_SE_SF_SF_EEDaS13_S14_SK_SP_EUlS13_E_NS1_11comp_targetILNS1_3genE6ELNS1_11target_archE950ELNS1_3gpuE13ELNS1_3repE0EEENS1_47radix_sort_onesweep_sort_config_static_selectorELNS0_4arch9wavefront6targetE1EEEvSK_,comdat
	.protected	_ZN7rocprim17ROCPRIM_400000_NS6detail17trampoline_kernelINS0_14default_configENS1_35radix_sort_onesweep_config_selectorIxNS0_10empty_typeEEEZZNS1_29radix_sort_onesweep_iterationIS3_Lb0EN6thrust23THRUST_200600_302600_NS6detail15normal_iteratorINS9_10device_ptrIxEEEESE_PS5_SF_jNS0_19identity_decomposerENS1_16block_id_wrapperIjLb0EEEEE10hipError_tT1_PNSt15iterator_traitsISK_E10value_typeET2_T3_PNSL_ISQ_E10value_typeET4_T5_PSV_SW_PNS1_23onesweep_lookback_stateEbbT6_jjT7_P12ihipStream_tbENKUlT_T0_SK_SP_E_clISE_SE_SF_SF_EEDaS13_S14_SK_SP_EUlS13_E_NS1_11comp_targetILNS1_3genE6ELNS1_11target_archE950ELNS1_3gpuE13ELNS1_3repE0EEENS1_47radix_sort_onesweep_sort_config_static_selectorELNS0_4arch9wavefront6targetE1EEEvSK_ ; -- Begin function _ZN7rocprim17ROCPRIM_400000_NS6detail17trampoline_kernelINS0_14default_configENS1_35radix_sort_onesweep_config_selectorIxNS0_10empty_typeEEEZZNS1_29radix_sort_onesweep_iterationIS3_Lb0EN6thrust23THRUST_200600_302600_NS6detail15normal_iteratorINS9_10device_ptrIxEEEESE_PS5_SF_jNS0_19identity_decomposerENS1_16block_id_wrapperIjLb0EEEEE10hipError_tT1_PNSt15iterator_traitsISK_E10value_typeET2_T3_PNSL_ISQ_E10value_typeET4_T5_PSV_SW_PNS1_23onesweep_lookback_stateEbbT6_jjT7_P12ihipStream_tbENKUlT_T0_SK_SP_E_clISE_SE_SF_SF_EEDaS13_S14_SK_SP_EUlS13_E_NS1_11comp_targetILNS1_3genE6ELNS1_11target_archE950ELNS1_3gpuE13ELNS1_3repE0EEENS1_47radix_sort_onesweep_sort_config_static_selectorELNS0_4arch9wavefront6targetE1EEEvSK_
	.globl	_ZN7rocprim17ROCPRIM_400000_NS6detail17trampoline_kernelINS0_14default_configENS1_35radix_sort_onesweep_config_selectorIxNS0_10empty_typeEEEZZNS1_29radix_sort_onesweep_iterationIS3_Lb0EN6thrust23THRUST_200600_302600_NS6detail15normal_iteratorINS9_10device_ptrIxEEEESE_PS5_SF_jNS0_19identity_decomposerENS1_16block_id_wrapperIjLb0EEEEE10hipError_tT1_PNSt15iterator_traitsISK_E10value_typeET2_T3_PNSL_ISQ_E10value_typeET4_T5_PSV_SW_PNS1_23onesweep_lookback_stateEbbT6_jjT7_P12ihipStream_tbENKUlT_T0_SK_SP_E_clISE_SE_SF_SF_EEDaS13_S14_SK_SP_EUlS13_E_NS1_11comp_targetILNS1_3genE6ELNS1_11target_archE950ELNS1_3gpuE13ELNS1_3repE0EEENS1_47radix_sort_onesweep_sort_config_static_selectorELNS0_4arch9wavefront6targetE1EEEvSK_
	.p2align	8
	.type	_ZN7rocprim17ROCPRIM_400000_NS6detail17trampoline_kernelINS0_14default_configENS1_35radix_sort_onesweep_config_selectorIxNS0_10empty_typeEEEZZNS1_29radix_sort_onesweep_iterationIS3_Lb0EN6thrust23THRUST_200600_302600_NS6detail15normal_iteratorINS9_10device_ptrIxEEEESE_PS5_SF_jNS0_19identity_decomposerENS1_16block_id_wrapperIjLb0EEEEE10hipError_tT1_PNSt15iterator_traitsISK_E10value_typeET2_T3_PNSL_ISQ_E10value_typeET4_T5_PSV_SW_PNS1_23onesweep_lookback_stateEbbT6_jjT7_P12ihipStream_tbENKUlT_T0_SK_SP_E_clISE_SE_SF_SF_EEDaS13_S14_SK_SP_EUlS13_E_NS1_11comp_targetILNS1_3genE6ELNS1_11target_archE950ELNS1_3gpuE13ELNS1_3repE0EEENS1_47radix_sort_onesweep_sort_config_static_selectorELNS0_4arch9wavefront6targetE1EEEvSK_,@function
_ZN7rocprim17ROCPRIM_400000_NS6detail17trampoline_kernelINS0_14default_configENS1_35radix_sort_onesweep_config_selectorIxNS0_10empty_typeEEEZZNS1_29radix_sort_onesweep_iterationIS3_Lb0EN6thrust23THRUST_200600_302600_NS6detail15normal_iteratorINS9_10device_ptrIxEEEESE_PS5_SF_jNS0_19identity_decomposerENS1_16block_id_wrapperIjLb0EEEEE10hipError_tT1_PNSt15iterator_traitsISK_E10value_typeET2_T3_PNSL_ISQ_E10value_typeET4_T5_PSV_SW_PNS1_23onesweep_lookback_stateEbbT6_jjT7_P12ihipStream_tbENKUlT_T0_SK_SP_E_clISE_SE_SF_SF_EEDaS13_S14_SK_SP_EUlS13_E_NS1_11comp_targetILNS1_3genE6ELNS1_11target_archE950ELNS1_3gpuE13ELNS1_3repE0EEENS1_47radix_sort_onesweep_sort_config_static_selectorELNS0_4arch9wavefront6targetE1EEEvSK_: ; @_ZN7rocprim17ROCPRIM_400000_NS6detail17trampoline_kernelINS0_14default_configENS1_35radix_sort_onesweep_config_selectorIxNS0_10empty_typeEEEZZNS1_29radix_sort_onesweep_iterationIS3_Lb0EN6thrust23THRUST_200600_302600_NS6detail15normal_iteratorINS9_10device_ptrIxEEEESE_PS5_SF_jNS0_19identity_decomposerENS1_16block_id_wrapperIjLb0EEEEE10hipError_tT1_PNSt15iterator_traitsISK_E10value_typeET2_T3_PNSL_ISQ_E10value_typeET4_T5_PSV_SW_PNS1_23onesweep_lookback_stateEbbT6_jjT7_P12ihipStream_tbENKUlT_T0_SK_SP_E_clISE_SE_SF_SF_EEDaS13_S14_SK_SP_EUlS13_E_NS1_11comp_targetILNS1_3genE6ELNS1_11target_archE950ELNS1_3gpuE13ELNS1_3repE0EEENS1_47radix_sort_onesweep_sort_config_static_selectorELNS0_4arch9wavefront6targetE1EEEvSK_
; %bb.0:
	.section	.rodata,"a",@progbits
	.p2align	6, 0x0
	.amdhsa_kernel _ZN7rocprim17ROCPRIM_400000_NS6detail17trampoline_kernelINS0_14default_configENS1_35radix_sort_onesweep_config_selectorIxNS0_10empty_typeEEEZZNS1_29radix_sort_onesweep_iterationIS3_Lb0EN6thrust23THRUST_200600_302600_NS6detail15normal_iteratorINS9_10device_ptrIxEEEESE_PS5_SF_jNS0_19identity_decomposerENS1_16block_id_wrapperIjLb0EEEEE10hipError_tT1_PNSt15iterator_traitsISK_E10value_typeET2_T3_PNSL_ISQ_E10value_typeET4_T5_PSV_SW_PNS1_23onesweep_lookback_stateEbbT6_jjT7_P12ihipStream_tbENKUlT_T0_SK_SP_E_clISE_SE_SF_SF_EEDaS13_S14_SK_SP_EUlS13_E_NS1_11comp_targetILNS1_3genE6ELNS1_11target_archE950ELNS1_3gpuE13ELNS1_3repE0EEENS1_47radix_sort_onesweep_sort_config_static_selectorELNS0_4arch9wavefront6targetE1EEEvSK_
		.amdhsa_group_segment_fixed_size 0
		.amdhsa_private_segment_fixed_size 0
		.amdhsa_kernarg_size 88
		.amdhsa_user_sgpr_count 2
		.amdhsa_user_sgpr_dispatch_ptr 0
		.amdhsa_user_sgpr_queue_ptr 0
		.amdhsa_user_sgpr_kernarg_segment_ptr 1
		.amdhsa_user_sgpr_dispatch_id 0
		.amdhsa_user_sgpr_kernarg_preload_length 0
		.amdhsa_user_sgpr_kernarg_preload_offset 0
		.amdhsa_user_sgpr_private_segment_size 0
		.amdhsa_uses_dynamic_stack 0
		.amdhsa_enable_private_segment 0
		.amdhsa_system_sgpr_workgroup_id_x 1
		.amdhsa_system_sgpr_workgroup_id_y 0
		.amdhsa_system_sgpr_workgroup_id_z 0
		.amdhsa_system_sgpr_workgroup_info 0
		.amdhsa_system_vgpr_workitem_id 0
		.amdhsa_next_free_vgpr 1
		.amdhsa_next_free_sgpr 0
		.amdhsa_accum_offset 4
		.amdhsa_reserve_vcc 0
		.amdhsa_float_round_mode_32 0
		.amdhsa_float_round_mode_16_64 0
		.amdhsa_float_denorm_mode_32 3
		.amdhsa_float_denorm_mode_16_64 3
		.amdhsa_dx10_clamp 1
		.amdhsa_ieee_mode 1
		.amdhsa_fp16_overflow 0
		.amdhsa_tg_split 0
		.amdhsa_exception_fp_ieee_invalid_op 0
		.amdhsa_exception_fp_denorm_src 0
		.amdhsa_exception_fp_ieee_div_zero 0
		.amdhsa_exception_fp_ieee_overflow 0
		.amdhsa_exception_fp_ieee_underflow 0
		.amdhsa_exception_fp_ieee_inexact 0
		.amdhsa_exception_int_div_zero 0
	.end_amdhsa_kernel
	.section	.text._ZN7rocprim17ROCPRIM_400000_NS6detail17trampoline_kernelINS0_14default_configENS1_35radix_sort_onesweep_config_selectorIxNS0_10empty_typeEEEZZNS1_29radix_sort_onesweep_iterationIS3_Lb0EN6thrust23THRUST_200600_302600_NS6detail15normal_iteratorINS9_10device_ptrIxEEEESE_PS5_SF_jNS0_19identity_decomposerENS1_16block_id_wrapperIjLb0EEEEE10hipError_tT1_PNSt15iterator_traitsISK_E10value_typeET2_T3_PNSL_ISQ_E10value_typeET4_T5_PSV_SW_PNS1_23onesweep_lookback_stateEbbT6_jjT7_P12ihipStream_tbENKUlT_T0_SK_SP_E_clISE_SE_SF_SF_EEDaS13_S14_SK_SP_EUlS13_E_NS1_11comp_targetILNS1_3genE6ELNS1_11target_archE950ELNS1_3gpuE13ELNS1_3repE0EEENS1_47radix_sort_onesweep_sort_config_static_selectorELNS0_4arch9wavefront6targetE1EEEvSK_,"axG",@progbits,_ZN7rocprim17ROCPRIM_400000_NS6detail17trampoline_kernelINS0_14default_configENS1_35radix_sort_onesweep_config_selectorIxNS0_10empty_typeEEEZZNS1_29radix_sort_onesweep_iterationIS3_Lb0EN6thrust23THRUST_200600_302600_NS6detail15normal_iteratorINS9_10device_ptrIxEEEESE_PS5_SF_jNS0_19identity_decomposerENS1_16block_id_wrapperIjLb0EEEEE10hipError_tT1_PNSt15iterator_traitsISK_E10value_typeET2_T3_PNSL_ISQ_E10value_typeET4_T5_PSV_SW_PNS1_23onesweep_lookback_stateEbbT6_jjT7_P12ihipStream_tbENKUlT_T0_SK_SP_E_clISE_SE_SF_SF_EEDaS13_S14_SK_SP_EUlS13_E_NS1_11comp_targetILNS1_3genE6ELNS1_11target_archE950ELNS1_3gpuE13ELNS1_3repE0EEENS1_47radix_sort_onesweep_sort_config_static_selectorELNS0_4arch9wavefront6targetE1EEEvSK_,comdat
.Lfunc_end1570:
	.size	_ZN7rocprim17ROCPRIM_400000_NS6detail17trampoline_kernelINS0_14default_configENS1_35radix_sort_onesweep_config_selectorIxNS0_10empty_typeEEEZZNS1_29radix_sort_onesweep_iterationIS3_Lb0EN6thrust23THRUST_200600_302600_NS6detail15normal_iteratorINS9_10device_ptrIxEEEESE_PS5_SF_jNS0_19identity_decomposerENS1_16block_id_wrapperIjLb0EEEEE10hipError_tT1_PNSt15iterator_traitsISK_E10value_typeET2_T3_PNSL_ISQ_E10value_typeET4_T5_PSV_SW_PNS1_23onesweep_lookback_stateEbbT6_jjT7_P12ihipStream_tbENKUlT_T0_SK_SP_E_clISE_SE_SF_SF_EEDaS13_S14_SK_SP_EUlS13_E_NS1_11comp_targetILNS1_3genE6ELNS1_11target_archE950ELNS1_3gpuE13ELNS1_3repE0EEENS1_47radix_sort_onesweep_sort_config_static_selectorELNS0_4arch9wavefront6targetE1EEEvSK_, .Lfunc_end1570-_ZN7rocprim17ROCPRIM_400000_NS6detail17trampoline_kernelINS0_14default_configENS1_35radix_sort_onesweep_config_selectorIxNS0_10empty_typeEEEZZNS1_29radix_sort_onesweep_iterationIS3_Lb0EN6thrust23THRUST_200600_302600_NS6detail15normal_iteratorINS9_10device_ptrIxEEEESE_PS5_SF_jNS0_19identity_decomposerENS1_16block_id_wrapperIjLb0EEEEE10hipError_tT1_PNSt15iterator_traitsISK_E10value_typeET2_T3_PNSL_ISQ_E10value_typeET4_T5_PSV_SW_PNS1_23onesweep_lookback_stateEbbT6_jjT7_P12ihipStream_tbENKUlT_T0_SK_SP_E_clISE_SE_SF_SF_EEDaS13_S14_SK_SP_EUlS13_E_NS1_11comp_targetILNS1_3genE6ELNS1_11target_archE950ELNS1_3gpuE13ELNS1_3repE0EEENS1_47radix_sort_onesweep_sort_config_static_selectorELNS0_4arch9wavefront6targetE1EEEvSK_
                                        ; -- End function
	.section	.AMDGPU.csdata,"",@progbits
; Kernel info:
; codeLenInByte = 0
; NumSgprs: 6
; NumVgprs: 0
; NumAgprs: 0
; TotalNumVgprs: 0
; ScratchSize: 0
; MemoryBound: 0
; FloatMode: 240
; IeeeMode: 1
; LDSByteSize: 0 bytes/workgroup (compile time only)
; SGPRBlocks: 0
; VGPRBlocks: 0
; NumSGPRsForWavesPerEU: 6
; NumVGPRsForWavesPerEU: 1
; AccumOffset: 4
; Occupancy: 8
; WaveLimiterHint : 0
; COMPUTE_PGM_RSRC2:SCRATCH_EN: 0
; COMPUTE_PGM_RSRC2:USER_SGPR: 2
; COMPUTE_PGM_RSRC2:TRAP_HANDLER: 0
; COMPUTE_PGM_RSRC2:TGID_X_EN: 1
; COMPUTE_PGM_RSRC2:TGID_Y_EN: 0
; COMPUTE_PGM_RSRC2:TGID_Z_EN: 0
; COMPUTE_PGM_RSRC2:TIDIG_COMP_CNT: 0
; COMPUTE_PGM_RSRC3_GFX90A:ACCUM_OFFSET: 0
; COMPUTE_PGM_RSRC3_GFX90A:TG_SPLIT: 0
	.section	.text._ZN7rocprim17ROCPRIM_400000_NS6detail17trampoline_kernelINS0_14default_configENS1_35radix_sort_onesweep_config_selectorIxNS0_10empty_typeEEEZZNS1_29radix_sort_onesweep_iterationIS3_Lb0EN6thrust23THRUST_200600_302600_NS6detail15normal_iteratorINS9_10device_ptrIxEEEESE_PS5_SF_jNS0_19identity_decomposerENS1_16block_id_wrapperIjLb0EEEEE10hipError_tT1_PNSt15iterator_traitsISK_E10value_typeET2_T3_PNSL_ISQ_E10value_typeET4_T5_PSV_SW_PNS1_23onesweep_lookback_stateEbbT6_jjT7_P12ihipStream_tbENKUlT_T0_SK_SP_E_clISE_SE_SF_SF_EEDaS13_S14_SK_SP_EUlS13_E_NS1_11comp_targetILNS1_3genE5ELNS1_11target_archE942ELNS1_3gpuE9ELNS1_3repE0EEENS1_47radix_sort_onesweep_sort_config_static_selectorELNS0_4arch9wavefront6targetE1EEEvSK_,"axG",@progbits,_ZN7rocprim17ROCPRIM_400000_NS6detail17trampoline_kernelINS0_14default_configENS1_35radix_sort_onesweep_config_selectorIxNS0_10empty_typeEEEZZNS1_29radix_sort_onesweep_iterationIS3_Lb0EN6thrust23THRUST_200600_302600_NS6detail15normal_iteratorINS9_10device_ptrIxEEEESE_PS5_SF_jNS0_19identity_decomposerENS1_16block_id_wrapperIjLb0EEEEE10hipError_tT1_PNSt15iterator_traitsISK_E10value_typeET2_T3_PNSL_ISQ_E10value_typeET4_T5_PSV_SW_PNS1_23onesweep_lookback_stateEbbT6_jjT7_P12ihipStream_tbENKUlT_T0_SK_SP_E_clISE_SE_SF_SF_EEDaS13_S14_SK_SP_EUlS13_E_NS1_11comp_targetILNS1_3genE5ELNS1_11target_archE942ELNS1_3gpuE9ELNS1_3repE0EEENS1_47radix_sort_onesweep_sort_config_static_selectorELNS0_4arch9wavefront6targetE1EEEvSK_,comdat
	.protected	_ZN7rocprim17ROCPRIM_400000_NS6detail17trampoline_kernelINS0_14default_configENS1_35radix_sort_onesweep_config_selectorIxNS0_10empty_typeEEEZZNS1_29radix_sort_onesweep_iterationIS3_Lb0EN6thrust23THRUST_200600_302600_NS6detail15normal_iteratorINS9_10device_ptrIxEEEESE_PS5_SF_jNS0_19identity_decomposerENS1_16block_id_wrapperIjLb0EEEEE10hipError_tT1_PNSt15iterator_traitsISK_E10value_typeET2_T3_PNSL_ISQ_E10value_typeET4_T5_PSV_SW_PNS1_23onesweep_lookback_stateEbbT6_jjT7_P12ihipStream_tbENKUlT_T0_SK_SP_E_clISE_SE_SF_SF_EEDaS13_S14_SK_SP_EUlS13_E_NS1_11comp_targetILNS1_3genE5ELNS1_11target_archE942ELNS1_3gpuE9ELNS1_3repE0EEENS1_47radix_sort_onesweep_sort_config_static_selectorELNS0_4arch9wavefront6targetE1EEEvSK_ ; -- Begin function _ZN7rocprim17ROCPRIM_400000_NS6detail17trampoline_kernelINS0_14default_configENS1_35radix_sort_onesweep_config_selectorIxNS0_10empty_typeEEEZZNS1_29radix_sort_onesweep_iterationIS3_Lb0EN6thrust23THRUST_200600_302600_NS6detail15normal_iteratorINS9_10device_ptrIxEEEESE_PS5_SF_jNS0_19identity_decomposerENS1_16block_id_wrapperIjLb0EEEEE10hipError_tT1_PNSt15iterator_traitsISK_E10value_typeET2_T3_PNSL_ISQ_E10value_typeET4_T5_PSV_SW_PNS1_23onesweep_lookback_stateEbbT6_jjT7_P12ihipStream_tbENKUlT_T0_SK_SP_E_clISE_SE_SF_SF_EEDaS13_S14_SK_SP_EUlS13_E_NS1_11comp_targetILNS1_3genE5ELNS1_11target_archE942ELNS1_3gpuE9ELNS1_3repE0EEENS1_47radix_sort_onesweep_sort_config_static_selectorELNS0_4arch9wavefront6targetE1EEEvSK_
	.globl	_ZN7rocprim17ROCPRIM_400000_NS6detail17trampoline_kernelINS0_14default_configENS1_35radix_sort_onesweep_config_selectorIxNS0_10empty_typeEEEZZNS1_29radix_sort_onesweep_iterationIS3_Lb0EN6thrust23THRUST_200600_302600_NS6detail15normal_iteratorINS9_10device_ptrIxEEEESE_PS5_SF_jNS0_19identity_decomposerENS1_16block_id_wrapperIjLb0EEEEE10hipError_tT1_PNSt15iterator_traitsISK_E10value_typeET2_T3_PNSL_ISQ_E10value_typeET4_T5_PSV_SW_PNS1_23onesweep_lookback_stateEbbT6_jjT7_P12ihipStream_tbENKUlT_T0_SK_SP_E_clISE_SE_SF_SF_EEDaS13_S14_SK_SP_EUlS13_E_NS1_11comp_targetILNS1_3genE5ELNS1_11target_archE942ELNS1_3gpuE9ELNS1_3repE0EEENS1_47radix_sort_onesweep_sort_config_static_selectorELNS0_4arch9wavefront6targetE1EEEvSK_
	.p2align	8
	.type	_ZN7rocprim17ROCPRIM_400000_NS6detail17trampoline_kernelINS0_14default_configENS1_35radix_sort_onesweep_config_selectorIxNS0_10empty_typeEEEZZNS1_29radix_sort_onesweep_iterationIS3_Lb0EN6thrust23THRUST_200600_302600_NS6detail15normal_iteratorINS9_10device_ptrIxEEEESE_PS5_SF_jNS0_19identity_decomposerENS1_16block_id_wrapperIjLb0EEEEE10hipError_tT1_PNSt15iterator_traitsISK_E10value_typeET2_T3_PNSL_ISQ_E10value_typeET4_T5_PSV_SW_PNS1_23onesweep_lookback_stateEbbT6_jjT7_P12ihipStream_tbENKUlT_T0_SK_SP_E_clISE_SE_SF_SF_EEDaS13_S14_SK_SP_EUlS13_E_NS1_11comp_targetILNS1_3genE5ELNS1_11target_archE942ELNS1_3gpuE9ELNS1_3repE0EEENS1_47radix_sort_onesweep_sort_config_static_selectorELNS0_4arch9wavefront6targetE1EEEvSK_,@function
_ZN7rocprim17ROCPRIM_400000_NS6detail17trampoline_kernelINS0_14default_configENS1_35radix_sort_onesweep_config_selectorIxNS0_10empty_typeEEEZZNS1_29radix_sort_onesweep_iterationIS3_Lb0EN6thrust23THRUST_200600_302600_NS6detail15normal_iteratorINS9_10device_ptrIxEEEESE_PS5_SF_jNS0_19identity_decomposerENS1_16block_id_wrapperIjLb0EEEEE10hipError_tT1_PNSt15iterator_traitsISK_E10value_typeET2_T3_PNSL_ISQ_E10value_typeET4_T5_PSV_SW_PNS1_23onesweep_lookback_stateEbbT6_jjT7_P12ihipStream_tbENKUlT_T0_SK_SP_E_clISE_SE_SF_SF_EEDaS13_S14_SK_SP_EUlS13_E_NS1_11comp_targetILNS1_3genE5ELNS1_11target_archE942ELNS1_3gpuE9ELNS1_3repE0EEENS1_47radix_sort_onesweep_sort_config_static_selectorELNS0_4arch9wavefront6targetE1EEEvSK_: ; @_ZN7rocprim17ROCPRIM_400000_NS6detail17trampoline_kernelINS0_14default_configENS1_35radix_sort_onesweep_config_selectorIxNS0_10empty_typeEEEZZNS1_29radix_sort_onesweep_iterationIS3_Lb0EN6thrust23THRUST_200600_302600_NS6detail15normal_iteratorINS9_10device_ptrIxEEEESE_PS5_SF_jNS0_19identity_decomposerENS1_16block_id_wrapperIjLb0EEEEE10hipError_tT1_PNSt15iterator_traitsISK_E10value_typeET2_T3_PNSL_ISQ_E10value_typeET4_T5_PSV_SW_PNS1_23onesweep_lookback_stateEbbT6_jjT7_P12ihipStream_tbENKUlT_T0_SK_SP_E_clISE_SE_SF_SF_EEDaS13_S14_SK_SP_EUlS13_E_NS1_11comp_targetILNS1_3genE5ELNS1_11target_archE942ELNS1_3gpuE9ELNS1_3repE0EEENS1_47radix_sort_onesweep_sort_config_static_selectorELNS0_4arch9wavefront6targetE1EEEvSK_
; %bb.0:
	s_load_dwordx4 s[20:23], s[0:1], 0x44
	s_load_dwordx2 s[28:29], s[0:1], 0x38
	s_load_dwordx4 s[24:27], s[0:1], 0x0
	s_load_dwordx4 s[16:19], s[0:1], 0x28
	s_mul_i32 s30, s2, 0x1800
	s_waitcnt lgkmcnt(0)
	s_cmp_ge_u32 s2, s22
	v_mbcnt_lo_u32_b32 v1, -1, 0
	s_cbranch_scc0 .LBB1571_99
; %bb.1:
	s_load_dword s3, s[0:1], 0x20
	s_mul_i32 s6, s22, 0xffffe800
	s_mov_b32 s31, 0
	v_and_b32_e32 v2, 0x3ff, v0
	s_lshl_b64 s[4:5], s[30:31], 3
	s_waitcnt lgkmcnt(0)
	s_add_i32 s3, s3, s6
	v_mbcnt_hi_u32_b32 v3, -1, v1
	s_add_u32 s6, s24, s4
	v_and_b32_e32 v8, 63, v3
	v_and_b32_e32 v32, 0x1c0, v2
	s_addc_u32 s7, s25, s5
	s_mov_b32 s4, -1
	v_mul_u32_u24_e32 v9, 12, v32
	v_lshlrev_b32_e32 v4, 3, v8
	v_mov_b32_e32 v5, 0
	s_brev_b32 s5, -2
	v_lshl_add_u64 v[6:7], s[6:7], 0, v[4:5]
	v_lshlrev_b32_e32 v4, 3, v9
	v_or_b32_e32 v26, v8, v9
	v_lshl_add_u64 v[28:29], v[6:7], 0, v[4:5]
	v_cmp_gt_u32_e32 vcc, s3, v26
	v_mov_b64_e32 v[4:5], s[4:5]
	s_and_saveexec_b64 s[6:7], vcc
	s_cbranch_execz .LBB1571_3
; %bb.2:
	global_load_dwordx2 v[4:5], v[28:29], off
.LBB1571_3:
	s_or_b64 exec, exec, s[6:7]
	v_or_b32_e32 v6, 64, v26
	v_cmp_gt_u32_e32 vcc, s3, v6
	v_mov_b64_e32 v[6:7], s[4:5]
	s_and_saveexec_b64 s[4:5], vcc
	s_cbranch_execz .LBB1571_5
; %bb.4:
	global_load_dwordx2 v[6:7], v[28:29], off offset:512
.LBB1571_5:
	s_or_b64 exec, exec, s[4:5]
	s_mov_b32 s4, -1
	v_or_b32_e32 v8, 0x80, v26
	s_brev_b32 s5, -2
	v_cmp_gt_u32_e32 vcc, s3, v8
	v_mov_b64_e32 v[8:9], s[4:5]
	s_and_saveexec_b64 s[6:7], vcc
	s_cbranch_execz .LBB1571_7
; %bb.6:
	global_load_dwordx2 v[8:9], v[28:29], off offset:1024
.LBB1571_7:
	s_or_b64 exec, exec, s[6:7]
	v_or_b32_e32 v10, 0xc0, v26
	v_cmp_gt_u32_e32 vcc, s3, v10
	v_mov_b64_e32 v[10:11], s[4:5]
	s_and_saveexec_b64 s[4:5], vcc
	s_cbranch_execz .LBB1571_9
; %bb.8:
	global_load_dwordx2 v[10:11], v[28:29], off offset:1536
.LBB1571_9:
	s_or_b64 exec, exec, s[4:5]
	s_mov_b32 s4, -1
	v_add_u32_e32 v12, 0x100, v26
	s_brev_b32 s5, -2
	v_cmp_gt_u32_e32 vcc, s3, v12
	v_mov_b64_e32 v[12:13], s[4:5]
	s_and_saveexec_b64 s[6:7], vcc
	s_cbranch_execz .LBB1571_11
; %bb.10:
	global_load_dwordx2 v[12:13], v[28:29], off offset:2048
.LBB1571_11:
	s_or_b64 exec, exec, s[6:7]
	v_add_u32_e32 v14, 0x140, v26
	v_cmp_gt_u32_e32 vcc, s3, v14
	v_mov_b64_e32 v[14:15], s[4:5]
	s_and_saveexec_b64 s[4:5], vcc
	s_cbranch_execz .LBB1571_13
; %bb.12:
	global_load_dwordx2 v[14:15], v[28:29], off offset:2560
.LBB1571_13:
	s_or_b64 exec, exec, s[4:5]
	s_mov_b32 s4, -1
	v_add_u32_e32 v16, 0x180, v26
	s_brev_b32 s5, -2
	v_cmp_gt_u32_e32 vcc, s3, v16
	v_mov_b64_e32 v[16:17], s[4:5]
	s_and_saveexec_b64 s[6:7], vcc
	s_cbranch_execz .LBB1571_15
; %bb.14:
	global_load_dwordx2 v[16:17], v[28:29], off offset:3072
.LBB1571_15:
	s_or_b64 exec, exec, s[6:7]
	v_add_u32_e32 v18, 0x1c0, v26
	v_cmp_gt_u32_e32 vcc, s3, v18
	v_mov_b64_e32 v[18:19], s[4:5]
	s_and_saveexec_b64 s[4:5], vcc
	s_cbranch_execz .LBB1571_17
; %bb.16:
	global_load_dwordx2 v[18:19], v[28:29], off offset:3584
.LBB1571_17:
	s_or_b64 exec, exec, s[4:5]
	s_mov_b32 s4, -1
	v_add_u32_e32 v20, 0x200, v26
	s_brev_b32 s5, -2
	v_cmp_gt_u32_e32 vcc, s3, v20
	v_mov_b64_e32 v[20:21], s[4:5]
	s_and_saveexec_b64 s[6:7], vcc
	s_cbranch_execz .LBB1571_19
; %bb.18:
	v_add_co_u32_e32 v20, vcc, 0x1000, v28
	s_nop 1
	v_addc_co_u32_e32 v21, vcc, 0, v29, vcc
	global_load_dwordx2 v[20:21], v[20:21], off
.LBB1571_19:
	s_or_b64 exec, exec, s[6:7]
	v_add_u32_e32 v22, 0x240, v26
	v_cmp_gt_u32_e32 vcc, s3, v22
	v_mov_b64_e32 v[22:23], s[4:5]
	s_and_saveexec_b64 s[4:5], vcc
	s_cbranch_execz .LBB1571_21
; %bb.20:
	v_add_co_u32_e32 v22, vcc, 0x1000, v28
	s_nop 1
	v_addc_co_u32_e32 v23, vcc, 0, v29, vcc
	global_load_dwordx2 v[22:23], v[22:23], off offset:512
.LBB1571_21:
	s_or_b64 exec, exec, s[4:5]
	s_mov_b32 s4, -1
	v_add_u32_e32 v24, 0x280, v26
	s_brev_b32 s5, -2
	v_cmp_gt_u32_e32 vcc, s3, v24
	v_mov_b64_e32 v[24:25], s[4:5]
	s_and_saveexec_b64 s[6:7], vcc
	s_cbranch_execz .LBB1571_23
; %bb.22:
	v_add_co_u32_e32 v24, vcc, 0x1000, v28
	s_nop 1
	v_addc_co_u32_e32 v25, vcc, 0, v29, vcc
	global_load_dwordx2 v[24:25], v[24:25], off offset:1024
.LBB1571_23:
	s_or_b64 exec, exec, s[6:7]
	v_add_u32_e32 v26, 0x2c0, v26
	v_cmp_gt_u32_e32 vcc, s3, v26
	v_mov_b64_e32 v[26:27], s[4:5]
	s_and_saveexec_b64 s[4:5], vcc
	s_cbranch_execz .LBB1571_25
; %bb.24:
	v_add_co_u32_e32 v26, vcc, 0x1000, v28
	s_nop 1
	v_addc_co_u32_e32 v27, vcc, 0, v29, vcc
	global_load_dwordx2 v[26:27], v[26:27], off offset:1536
.LBB1571_25:
	s_or_b64 exec, exec, s[4:5]
	s_load_dword s4, s[0:1], 0x64
	s_load_dword s22, s[0:1], 0x58
	s_add_u32 s5, s0, 0x58
	s_addc_u32 s6, s1, 0
	v_mov_b32_e32 v29, 0
	s_waitcnt lgkmcnt(0)
	s_lshr_b32 s7, s4, 16
	s_cmp_lt_u32 s2, s22
	s_cselect_b32 s4, 12, 18
	s_add_u32 s4, s5, s4
	s_addc_u32 s5, s6, 0
	global_load_ushort v46, v29, s[4:5]
	s_waitcnt vmcnt(1)
	v_xor_b32_e32 v5, 0x80000000, v5
	v_mul_u32_u24_e32 v30, 5, v2
	s_lshl_b32 s4, -1, s21
	v_lshlrev_b32_e32 v33, 2, v30
	v_lshrrev_b64 v[30:31], s20, v[4:5]
	s_not_b32 s23, s4
	v_bfe_u32 v28, v0, 10, 10
	v_bfe_u32 v35, v0, 20, 10
	v_and_b32_e32 v48, s23, v30
	v_mad_u32_u24 v47, v35, s7, v28
	v_and_b32_e32 v28, 1, v48
	v_lshlrev_b32_e32 v35, 30, v48
	v_mov_b32_e32 v34, v29
	v_lshlrev_b32_e32 v37, 29, v48
	v_lshl_add_u64 v[30:31], v[28:29], 0, -1
	v_cmp_ne_u32_e32 vcc, 0, v28
	v_not_b32_e32 v28, v35
	v_mov_b32_e32 v36, v29
	v_mov_b32_e32 v38, v29
	v_lshlrev_b32_e32 v39, 28, v48
	v_cmp_gt_i64_e64 s[4:5], 0, v[34:35]
	v_not_b32_e32 v34, v37
	v_xor_b32_e32 v31, vcc_hi, v31
	v_ashrrev_i32_e32 v28, 31, v28
	v_mov_b32_e32 v40, v29
	v_lshlrev_b32_e32 v41, 27, v48
	v_cmp_gt_i64_e64 s[6:7], 0, v[36:37]
	v_cmp_gt_i64_e64 s[8:9], 0, v[38:39]
	v_not_b32_e32 v35, v39
	v_xor_b32_e32 v30, vcc_lo, v30
	v_ashrrev_i32_e32 v34, 31, v34
	v_and_b32_e32 v31, exec_hi, v31
	v_xor_b32_e32 v39, s5, v28
	v_lshlrev_b32_e32 v43, 26, v48
	v_cmp_gt_i64_e64 s[10:11], 0, v[40:41]
	v_not_b32_e32 v36, v41
	v_ashrrev_i32_e32 v35, 31, v35
	v_and_b32_e32 v30, exec_lo, v30
	v_xor_b32_e32 v28, s4, v28
	v_xor_b32_e32 v40, s7, v34
	v_and_b32_e32 v31, v31, v39
	v_mov_b32_e32 v42, v29
	v_lshlrev_b32_e32 v45, 25, v48
	v_not_b32_e32 v37, v43
	v_ashrrev_i32_e32 v36, 31, v36
	v_xor_b32_e32 v41, s9, v35
	v_and_b32_e32 v28, v30, v28
	v_and_b32_e32 v30, v31, v40
	v_mov_b32_e32 v44, v29
	v_cmp_gt_i64_e64 s[12:13], 0, v[42:43]
	v_not_b32_e32 v38, v45
	v_ashrrev_i32_e32 v37, 31, v37
	v_xor_b32_e32 v42, s11, v36
	v_and_b32_e32 v30, v30, v41
	v_cmp_gt_i64_e64 s[14:15], 0, v[44:45]
	v_ashrrev_i32_e32 v38, 31, v38
	v_xor_b32_e32 v43, s13, v37
	v_and_b32_e32 v30, v30, v42
	v_xor_b32_e32 v34, s6, v34
	v_xor_b32_e32 v44, s15, v38
	v_and_b32_e32 v30, v30, v43
	v_xor_b32_e32 v35, s8, v35
	v_and_b32_e32 v28, v28, v34
	v_and_b32_e32 v34, v30, v44
	v_xor_b32_e32 v36, s10, v36
	v_and_b32_e32 v28, v28, v35
	v_xor_b32_e32 v37, s12, v37
	;; [unrolled: 2-line block ×3, first 2 shown]
	v_and_b32_e32 v28, v28, v37
	v_and_b32_e32 v28, v28, v38
	v_lshl_add_u32 v49, v48, 3, v48
	ds_write2_b32 v33, v29, v29 offset0:8 offset1:9
	ds_write2_b32 v33, v29, v29 offset0:10 offset1:11
	ds_write_b32 v33, v29 offset:48
	s_waitcnt lgkmcnt(0)
	s_barrier
	s_waitcnt lgkmcnt(0)
	; wave barrier
	s_waitcnt vmcnt(0)
	v_mad_u64_u32 v[30:31], s[4:5], v47, v46, v[2:3]
	v_lshrrev_b32_e32 v45, 6, v30
	v_lshlrev_b32_e32 v31, 24, v48
	v_mov_b32_e32 v30, v29
	v_cmp_gt_i64_e32 vcc, 0, v[30:31]
	v_not_b32_e32 v30, v31
	v_ashrrev_i32_e32 v30, 31, v30
	v_xor_b32_e32 v31, vcc_hi, v30
	v_xor_b32_e32 v30, vcc_lo, v30
	v_and_b32_e32 v30, v28, v30
	v_and_b32_e32 v31, v34, v31
	v_mbcnt_lo_u32_b32 v28, v30, 0
	v_mbcnt_hi_u32_b32 v35, v31, v28
	v_cmp_eq_u32_e32 vcc, 0, v35
	v_cmp_ne_u64_e64 s[4:5], 0, v[30:31]
	v_add_lshl_u32 v38, v45, v49, 2
	s_and_b64 s[6:7], s[4:5], vcc
	s_and_saveexec_b64 s[4:5], s[6:7]
	s_cbranch_execz .LBB1571_27
; %bb.26:
	v_bcnt_u32_b32 v28, v30, 0
	v_bcnt_u32_b32 v28, v31, v28
	ds_write_b32 v38, v28 offset:32
.LBB1571_27:
	s_or_b64 exec, exec, s[4:5]
	v_xor_b32_e32 v7, 0x80000000, v7
	v_lshrrev_b64 v[30:31], s20, v[6:7]
	v_and_b32_e32 v36, s23, v30
	v_lshl_add_u32 v28, v36, 3, v36
	v_add_lshl_u32 v39, v45, v28, 2
	v_and_b32_e32 v28, 1, v36
	v_lshl_add_u64 v[30:31], v[28:29], 0, -1
	v_cmp_ne_u32_e32 vcc, 0, v28
	; wave barrier
	s_nop 1
	v_xor_b32_e32 v30, vcc_lo, v30
	v_xor_b32_e32 v28, vcc_hi, v31
	v_and_b32_e32 v37, exec_lo, v30
	v_lshlrev_b32_e32 v31, 30, v36
	v_mov_b32_e32 v30, v29
	v_cmp_gt_i64_e32 vcc, 0, v[30:31]
	v_not_b32_e32 v30, v31
	v_ashrrev_i32_e32 v30, 31, v30
	v_and_b32_e32 v28, exec_hi, v28
	v_xor_b32_e32 v31, vcc_hi, v30
	v_xor_b32_e32 v30, vcc_lo, v30
	v_and_b32_e32 v28, v28, v31
	v_and_b32_e32 v37, v37, v30
	v_lshlrev_b32_e32 v31, 29, v36
	v_mov_b32_e32 v30, v29
	v_cmp_gt_i64_e32 vcc, 0, v[30:31]
	v_not_b32_e32 v30, v31
	v_ashrrev_i32_e32 v30, 31, v30
	v_xor_b32_e32 v31, vcc_hi, v30
	v_xor_b32_e32 v30, vcc_lo, v30
	v_and_b32_e32 v28, v28, v31
	v_and_b32_e32 v37, v37, v30
	v_lshlrev_b32_e32 v31, 28, v36
	v_mov_b32_e32 v30, v29
	v_cmp_gt_i64_e32 vcc, 0, v[30:31]
	v_not_b32_e32 v30, v31
	v_ashrrev_i32_e32 v30, 31, v30
	;; [unrolled: 9-line block ×5, first 2 shown]
	v_xor_b32_e32 v31, vcc_hi, v30
	v_xor_b32_e32 v30, vcc_lo, v30
	v_and_b32_e32 v28, v28, v31
	v_lshlrev_b32_e32 v31, 24, v36
	v_and_b32_e32 v37, v37, v30
	v_mov_b32_e32 v30, v29
	v_not_b32_e32 v29, v31
	v_cmp_gt_i64_e32 vcc, 0, v[30:31]
	v_ashrrev_i32_e32 v29, 31, v29
	ds_read_b32 v34, v39 offset:32
	v_xor_b32_e32 v30, vcc_hi, v29
	v_xor_b32_e32 v31, vcc_lo, v29
	v_and_b32_e32 v29, v28, v30
	v_and_b32_e32 v28, v37, v31
	v_mbcnt_lo_u32_b32 v30, v28, 0
	v_mbcnt_hi_u32_b32 v36, v29, v30
	v_cmp_eq_u32_e32 vcc, 0, v36
	v_cmp_ne_u64_e64 s[4:5], 0, v[28:29]
	s_and_b64 s[6:7], s[4:5], vcc
	; wave barrier
	s_and_saveexec_b64 s[4:5], s[6:7]
	s_cbranch_execz .LBB1571_29
; %bb.28:
	v_bcnt_u32_b32 v28, v28, 0
	v_bcnt_u32_b32 v28, v29, v28
	s_waitcnt lgkmcnt(0)
	v_add_u32_e32 v28, v34, v28
	ds_write_b32 v39, v28 offset:32
.LBB1571_29:
	s_or_b64 exec, exec, s[4:5]
	v_xor_b32_e32 v9, 0x80000000, v9
	v_lshrrev_b64 v[28:29], s20, v[8:9]
	v_and_b32_e32 v40, s23, v28
	v_lshl_add_u32 v28, v40, 3, v40
	v_add_lshl_u32 v42, v45, v28, 2
	v_and_b32_e32 v28, 1, v40
	v_mov_b32_e32 v29, 0
	v_lshl_add_u64 v[30:31], v[28:29], 0, -1
	v_cmp_ne_u32_e32 vcc, 0, v28
	; wave barrier
	s_nop 1
	v_xor_b32_e32 v30, vcc_lo, v30
	v_xor_b32_e32 v28, vcc_hi, v31
	v_and_b32_e32 v41, exec_lo, v30
	v_lshlrev_b32_e32 v31, 30, v40
	v_mov_b32_e32 v30, v29
	v_cmp_gt_i64_e32 vcc, 0, v[30:31]
	v_not_b32_e32 v30, v31
	v_ashrrev_i32_e32 v30, 31, v30
	v_and_b32_e32 v28, exec_hi, v28
	v_xor_b32_e32 v31, vcc_hi, v30
	v_xor_b32_e32 v30, vcc_lo, v30
	v_and_b32_e32 v28, v28, v31
	v_and_b32_e32 v41, v41, v30
	v_lshlrev_b32_e32 v31, 29, v40
	v_mov_b32_e32 v30, v29
	v_cmp_gt_i64_e32 vcc, 0, v[30:31]
	v_not_b32_e32 v30, v31
	v_ashrrev_i32_e32 v30, 31, v30
	v_xor_b32_e32 v31, vcc_hi, v30
	v_xor_b32_e32 v30, vcc_lo, v30
	v_and_b32_e32 v28, v28, v31
	v_and_b32_e32 v41, v41, v30
	v_lshlrev_b32_e32 v31, 28, v40
	v_mov_b32_e32 v30, v29
	v_cmp_gt_i64_e32 vcc, 0, v[30:31]
	v_not_b32_e32 v30, v31
	v_ashrrev_i32_e32 v30, 31, v30
	;; [unrolled: 9-line block ×6, first 2 shown]
	v_xor_b32_e32 v31, vcc_hi, v30
	v_xor_b32_e32 v30, vcc_lo, v30
	ds_read_b32 v37, v42 offset:32
	v_and_b32_e32 v30, v41, v30
	v_and_b32_e32 v31, v28, v31
	v_mbcnt_lo_u32_b32 v28, v30, 0
	v_mbcnt_hi_u32_b32 v40, v31, v28
	v_cmp_eq_u32_e32 vcc, 0, v40
	v_cmp_ne_u64_e64 s[4:5], 0, v[30:31]
	s_and_b64 s[6:7], s[4:5], vcc
	; wave barrier
	s_and_saveexec_b64 s[4:5], s[6:7]
	s_cbranch_execz .LBB1571_31
; %bb.30:
	v_bcnt_u32_b32 v28, v30, 0
	v_bcnt_u32_b32 v28, v31, v28
	s_waitcnt lgkmcnt(0)
	v_add_u32_e32 v28, v37, v28
	ds_write_b32 v42, v28 offset:32
.LBB1571_31:
	s_or_b64 exec, exec, s[4:5]
	v_xor_b32_e32 v11, 0x80000000, v11
	v_lshrrev_b64 v[30:31], s20, v[10:11]
	v_and_b32_e32 v43, s23, v30
	v_lshl_add_u32 v28, v43, 3, v43
	v_add_lshl_u32 v46, v45, v28, 2
	v_and_b32_e32 v28, 1, v43
	v_lshl_add_u64 v[30:31], v[28:29], 0, -1
	v_cmp_ne_u32_e32 vcc, 0, v28
	; wave barrier
	s_nop 1
	v_xor_b32_e32 v30, vcc_lo, v30
	v_xor_b32_e32 v28, vcc_hi, v31
	v_and_b32_e32 v44, exec_lo, v30
	v_lshlrev_b32_e32 v31, 30, v43
	v_mov_b32_e32 v30, v29
	v_cmp_gt_i64_e32 vcc, 0, v[30:31]
	v_not_b32_e32 v30, v31
	v_ashrrev_i32_e32 v30, 31, v30
	v_and_b32_e32 v28, exec_hi, v28
	v_xor_b32_e32 v31, vcc_hi, v30
	v_xor_b32_e32 v30, vcc_lo, v30
	v_and_b32_e32 v28, v28, v31
	v_and_b32_e32 v44, v44, v30
	v_lshlrev_b32_e32 v31, 29, v43
	v_mov_b32_e32 v30, v29
	v_cmp_gt_i64_e32 vcc, 0, v[30:31]
	v_not_b32_e32 v30, v31
	v_ashrrev_i32_e32 v30, 31, v30
	v_xor_b32_e32 v31, vcc_hi, v30
	v_xor_b32_e32 v30, vcc_lo, v30
	v_and_b32_e32 v28, v28, v31
	v_and_b32_e32 v44, v44, v30
	v_lshlrev_b32_e32 v31, 28, v43
	v_mov_b32_e32 v30, v29
	v_cmp_gt_i64_e32 vcc, 0, v[30:31]
	v_not_b32_e32 v30, v31
	v_ashrrev_i32_e32 v30, 31, v30
	;; [unrolled: 9-line block ×5, first 2 shown]
	v_xor_b32_e32 v31, vcc_hi, v30
	v_xor_b32_e32 v30, vcc_lo, v30
	v_and_b32_e32 v28, v28, v31
	v_lshlrev_b32_e32 v31, 24, v43
	v_and_b32_e32 v44, v44, v30
	v_mov_b32_e32 v30, v29
	v_not_b32_e32 v29, v31
	v_cmp_gt_i64_e32 vcc, 0, v[30:31]
	v_ashrrev_i32_e32 v29, 31, v29
	ds_read_b32 v41, v46 offset:32
	v_xor_b32_e32 v30, vcc_hi, v29
	v_xor_b32_e32 v31, vcc_lo, v29
	v_and_b32_e32 v29, v28, v30
	v_and_b32_e32 v28, v44, v31
	v_mbcnt_lo_u32_b32 v30, v28, 0
	v_mbcnt_hi_u32_b32 v43, v29, v30
	v_cmp_eq_u32_e32 vcc, 0, v43
	v_cmp_ne_u64_e64 s[4:5], 0, v[28:29]
	s_and_b64 s[6:7], s[4:5], vcc
	; wave barrier
	s_and_saveexec_b64 s[4:5], s[6:7]
	s_cbranch_execz .LBB1571_33
; %bb.32:
	v_bcnt_u32_b32 v28, v28, 0
	v_bcnt_u32_b32 v28, v29, v28
	s_waitcnt lgkmcnt(0)
	v_add_u32_e32 v28, v41, v28
	ds_write_b32 v46, v28 offset:32
.LBB1571_33:
	s_or_b64 exec, exec, s[4:5]
	v_xor_b32_e32 v13, 0x80000000, v13
	v_lshrrev_b64 v[28:29], s20, v[12:13]
	v_and_b32_e32 v47, s23, v28
	v_lshl_add_u32 v28, v47, 3, v47
	v_add_lshl_u32 v49, v45, v28, 2
	v_and_b32_e32 v28, 1, v47
	v_mov_b32_e32 v29, 0
	v_lshl_add_u64 v[30:31], v[28:29], 0, -1
	v_cmp_ne_u32_e32 vcc, 0, v28
	; wave barrier
	s_nop 1
	v_xor_b32_e32 v30, vcc_lo, v30
	v_xor_b32_e32 v28, vcc_hi, v31
	v_and_b32_e32 v48, exec_lo, v30
	v_lshlrev_b32_e32 v31, 30, v47
	v_mov_b32_e32 v30, v29
	v_cmp_gt_i64_e32 vcc, 0, v[30:31]
	v_not_b32_e32 v30, v31
	v_ashrrev_i32_e32 v30, 31, v30
	v_and_b32_e32 v28, exec_hi, v28
	v_xor_b32_e32 v31, vcc_hi, v30
	v_xor_b32_e32 v30, vcc_lo, v30
	v_and_b32_e32 v28, v28, v31
	v_and_b32_e32 v48, v48, v30
	v_lshlrev_b32_e32 v31, 29, v47
	v_mov_b32_e32 v30, v29
	v_cmp_gt_i64_e32 vcc, 0, v[30:31]
	v_not_b32_e32 v30, v31
	v_ashrrev_i32_e32 v30, 31, v30
	v_xor_b32_e32 v31, vcc_hi, v30
	v_xor_b32_e32 v30, vcc_lo, v30
	v_and_b32_e32 v28, v28, v31
	v_and_b32_e32 v48, v48, v30
	v_lshlrev_b32_e32 v31, 28, v47
	v_mov_b32_e32 v30, v29
	v_cmp_gt_i64_e32 vcc, 0, v[30:31]
	v_not_b32_e32 v30, v31
	v_ashrrev_i32_e32 v30, 31, v30
	;; [unrolled: 9-line block ×6, first 2 shown]
	v_xor_b32_e32 v31, vcc_hi, v30
	v_xor_b32_e32 v30, vcc_lo, v30
	ds_read_b32 v44, v49 offset:32
	v_and_b32_e32 v30, v48, v30
	v_and_b32_e32 v31, v28, v31
	v_mbcnt_lo_u32_b32 v28, v30, 0
	v_mbcnt_hi_u32_b32 v47, v31, v28
	v_cmp_eq_u32_e32 vcc, 0, v47
	v_cmp_ne_u64_e64 s[4:5], 0, v[30:31]
	s_and_b64 s[6:7], s[4:5], vcc
	; wave barrier
	s_and_saveexec_b64 s[4:5], s[6:7]
	s_cbranch_execz .LBB1571_35
; %bb.34:
	v_bcnt_u32_b32 v28, v30, 0
	v_bcnt_u32_b32 v28, v31, v28
	s_waitcnt lgkmcnt(0)
	v_add_u32_e32 v28, v44, v28
	ds_write_b32 v49, v28 offset:32
.LBB1571_35:
	s_or_b64 exec, exec, s[4:5]
	v_xor_b32_e32 v15, 0x80000000, v15
	v_lshrrev_b64 v[30:31], s20, v[14:15]
	v_and_b32_e32 v50, s23, v30
	v_lshl_add_u32 v28, v50, 3, v50
	v_add_lshl_u32 v52, v45, v28, 2
	v_and_b32_e32 v28, 1, v50
	v_lshl_add_u64 v[30:31], v[28:29], 0, -1
	v_cmp_ne_u32_e32 vcc, 0, v28
	; wave barrier
	s_nop 1
	v_xor_b32_e32 v30, vcc_lo, v30
	v_xor_b32_e32 v28, vcc_hi, v31
	v_and_b32_e32 v51, exec_lo, v30
	v_lshlrev_b32_e32 v31, 30, v50
	v_mov_b32_e32 v30, v29
	v_cmp_gt_i64_e32 vcc, 0, v[30:31]
	v_not_b32_e32 v30, v31
	v_ashrrev_i32_e32 v30, 31, v30
	v_and_b32_e32 v28, exec_hi, v28
	v_xor_b32_e32 v31, vcc_hi, v30
	v_xor_b32_e32 v30, vcc_lo, v30
	v_and_b32_e32 v28, v28, v31
	v_and_b32_e32 v51, v51, v30
	v_lshlrev_b32_e32 v31, 29, v50
	v_mov_b32_e32 v30, v29
	v_cmp_gt_i64_e32 vcc, 0, v[30:31]
	v_not_b32_e32 v30, v31
	v_ashrrev_i32_e32 v30, 31, v30
	v_xor_b32_e32 v31, vcc_hi, v30
	v_xor_b32_e32 v30, vcc_lo, v30
	v_and_b32_e32 v28, v28, v31
	v_and_b32_e32 v51, v51, v30
	v_lshlrev_b32_e32 v31, 28, v50
	v_mov_b32_e32 v30, v29
	v_cmp_gt_i64_e32 vcc, 0, v[30:31]
	v_not_b32_e32 v30, v31
	v_ashrrev_i32_e32 v30, 31, v30
	;; [unrolled: 9-line block ×5, first 2 shown]
	v_xor_b32_e32 v31, vcc_hi, v30
	v_xor_b32_e32 v30, vcc_lo, v30
	v_and_b32_e32 v28, v28, v31
	v_lshlrev_b32_e32 v31, 24, v50
	v_and_b32_e32 v51, v51, v30
	v_mov_b32_e32 v30, v29
	v_not_b32_e32 v29, v31
	v_cmp_gt_i64_e32 vcc, 0, v[30:31]
	v_ashrrev_i32_e32 v29, 31, v29
	ds_read_b32 v48, v52 offset:32
	v_xor_b32_e32 v30, vcc_hi, v29
	v_xor_b32_e32 v31, vcc_lo, v29
	v_and_b32_e32 v29, v28, v30
	v_and_b32_e32 v28, v51, v31
	v_mbcnt_lo_u32_b32 v30, v28, 0
	v_mbcnt_hi_u32_b32 v50, v29, v30
	v_cmp_eq_u32_e32 vcc, 0, v50
	v_cmp_ne_u64_e64 s[4:5], 0, v[28:29]
	s_and_b64 s[6:7], s[4:5], vcc
	; wave barrier
	s_and_saveexec_b64 s[4:5], s[6:7]
	s_cbranch_execz .LBB1571_37
; %bb.36:
	v_bcnt_u32_b32 v28, v28, 0
	v_bcnt_u32_b32 v28, v29, v28
	s_waitcnt lgkmcnt(0)
	v_add_u32_e32 v28, v48, v28
	ds_write_b32 v52, v28 offset:32
.LBB1571_37:
	s_or_b64 exec, exec, s[4:5]
	v_xor_b32_e32 v17, 0x80000000, v17
	v_lshrrev_b64 v[28:29], s20, v[16:17]
	v_and_b32_e32 v53, s23, v28
	v_lshl_add_u32 v28, v53, 3, v53
	v_add_lshl_u32 v55, v45, v28, 2
	v_and_b32_e32 v28, 1, v53
	v_mov_b32_e32 v29, 0
	v_lshl_add_u64 v[30:31], v[28:29], 0, -1
	v_cmp_ne_u32_e32 vcc, 0, v28
	; wave barrier
	s_nop 1
	v_xor_b32_e32 v30, vcc_lo, v30
	v_xor_b32_e32 v28, vcc_hi, v31
	v_and_b32_e32 v54, exec_lo, v30
	v_lshlrev_b32_e32 v31, 30, v53
	v_mov_b32_e32 v30, v29
	v_cmp_gt_i64_e32 vcc, 0, v[30:31]
	v_not_b32_e32 v30, v31
	v_ashrrev_i32_e32 v30, 31, v30
	v_and_b32_e32 v28, exec_hi, v28
	v_xor_b32_e32 v31, vcc_hi, v30
	v_xor_b32_e32 v30, vcc_lo, v30
	v_and_b32_e32 v28, v28, v31
	v_and_b32_e32 v54, v54, v30
	v_lshlrev_b32_e32 v31, 29, v53
	v_mov_b32_e32 v30, v29
	v_cmp_gt_i64_e32 vcc, 0, v[30:31]
	v_not_b32_e32 v30, v31
	v_ashrrev_i32_e32 v30, 31, v30
	v_xor_b32_e32 v31, vcc_hi, v30
	v_xor_b32_e32 v30, vcc_lo, v30
	v_and_b32_e32 v28, v28, v31
	v_and_b32_e32 v54, v54, v30
	v_lshlrev_b32_e32 v31, 28, v53
	v_mov_b32_e32 v30, v29
	v_cmp_gt_i64_e32 vcc, 0, v[30:31]
	v_not_b32_e32 v30, v31
	v_ashrrev_i32_e32 v30, 31, v30
	;; [unrolled: 9-line block ×6, first 2 shown]
	v_xor_b32_e32 v31, vcc_hi, v30
	v_xor_b32_e32 v30, vcc_lo, v30
	ds_read_b32 v51, v55 offset:32
	v_and_b32_e32 v30, v54, v30
	v_and_b32_e32 v31, v28, v31
	v_mbcnt_lo_u32_b32 v28, v30, 0
	v_mbcnt_hi_u32_b32 v53, v31, v28
	v_cmp_eq_u32_e32 vcc, 0, v53
	v_cmp_ne_u64_e64 s[4:5], 0, v[30:31]
	s_and_b64 s[6:7], s[4:5], vcc
	; wave barrier
	s_and_saveexec_b64 s[4:5], s[6:7]
	s_cbranch_execz .LBB1571_39
; %bb.38:
	v_bcnt_u32_b32 v28, v30, 0
	v_bcnt_u32_b32 v28, v31, v28
	s_waitcnt lgkmcnt(0)
	v_add_u32_e32 v28, v51, v28
	ds_write_b32 v55, v28 offset:32
.LBB1571_39:
	s_or_b64 exec, exec, s[4:5]
	v_xor_b32_e32 v19, 0x80000000, v19
	v_lshrrev_b64 v[30:31], s20, v[18:19]
	v_and_b32_e32 v56, s23, v30
	v_lshl_add_u32 v28, v56, 3, v56
	v_add_lshl_u32 v58, v45, v28, 2
	v_and_b32_e32 v28, 1, v56
	v_lshl_add_u64 v[30:31], v[28:29], 0, -1
	v_cmp_ne_u32_e32 vcc, 0, v28
	; wave barrier
	s_nop 1
	v_xor_b32_e32 v30, vcc_lo, v30
	v_xor_b32_e32 v28, vcc_hi, v31
	v_and_b32_e32 v57, exec_lo, v30
	v_lshlrev_b32_e32 v31, 30, v56
	v_mov_b32_e32 v30, v29
	v_cmp_gt_i64_e32 vcc, 0, v[30:31]
	v_not_b32_e32 v30, v31
	v_ashrrev_i32_e32 v30, 31, v30
	v_and_b32_e32 v28, exec_hi, v28
	v_xor_b32_e32 v31, vcc_hi, v30
	v_xor_b32_e32 v30, vcc_lo, v30
	v_and_b32_e32 v28, v28, v31
	v_and_b32_e32 v57, v57, v30
	v_lshlrev_b32_e32 v31, 29, v56
	v_mov_b32_e32 v30, v29
	v_cmp_gt_i64_e32 vcc, 0, v[30:31]
	v_not_b32_e32 v30, v31
	v_ashrrev_i32_e32 v30, 31, v30
	v_xor_b32_e32 v31, vcc_hi, v30
	v_xor_b32_e32 v30, vcc_lo, v30
	v_and_b32_e32 v28, v28, v31
	v_and_b32_e32 v57, v57, v30
	v_lshlrev_b32_e32 v31, 28, v56
	v_mov_b32_e32 v30, v29
	v_cmp_gt_i64_e32 vcc, 0, v[30:31]
	v_not_b32_e32 v30, v31
	v_ashrrev_i32_e32 v30, 31, v30
	;; [unrolled: 9-line block ×5, first 2 shown]
	v_xor_b32_e32 v31, vcc_hi, v30
	v_xor_b32_e32 v30, vcc_lo, v30
	v_and_b32_e32 v28, v28, v31
	v_lshlrev_b32_e32 v31, 24, v56
	v_and_b32_e32 v57, v57, v30
	v_mov_b32_e32 v30, v29
	v_not_b32_e32 v29, v31
	v_cmp_gt_i64_e32 vcc, 0, v[30:31]
	v_ashrrev_i32_e32 v29, 31, v29
	ds_read_b32 v54, v58 offset:32
	v_xor_b32_e32 v30, vcc_hi, v29
	v_xor_b32_e32 v31, vcc_lo, v29
	v_and_b32_e32 v29, v28, v30
	v_and_b32_e32 v28, v57, v31
	v_mbcnt_lo_u32_b32 v30, v28, 0
	v_mbcnt_hi_u32_b32 v56, v29, v30
	v_cmp_eq_u32_e32 vcc, 0, v56
	v_cmp_ne_u64_e64 s[4:5], 0, v[28:29]
	s_and_b64 s[6:7], s[4:5], vcc
	; wave barrier
	s_and_saveexec_b64 s[4:5], s[6:7]
	s_cbranch_execz .LBB1571_41
; %bb.40:
	v_bcnt_u32_b32 v28, v28, 0
	v_bcnt_u32_b32 v28, v29, v28
	s_waitcnt lgkmcnt(0)
	v_add_u32_e32 v28, v54, v28
	ds_write_b32 v58, v28 offset:32
.LBB1571_41:
	s_or_b64 exec, exec, s[4:5]
	v_xor_b32_e32 v21, 0x80000000, v21
	v_lshrrev_b64 v[28:29], s20, v[20:21]
	v_and_b32_e32 v59, s23, v28
	v_lshl_add_u32 v28, v59, 3, v59
	v_add_lshl_u32 v61, v45, v28, 2
	v_and_b32_e32 v28, 1, v59
	v_mov_b32_e32 v29, 0
	v_lshl_add_u64 v[30:31], v[28:29], 0, -1
	v_cmp_ne_u32_e32 vcc, 0, v28
	; wave barrier
	s_nop 1
	v_xor_b32_e32 v30, vcc_lo, v30
	v_xor_b32_e32 v28, vcc_hi, v31
	v_and_b32_e32 v60, exec_lo, v30
	v_lshlrev_b32_e32 v31, 30, v59
	v_mov_b32_e32 v30, v29
	v_cmp_gt_i64_e32 vcc, 0, v[30:31]
	v_not_b32_e32 v30, v31
	v_ashrrev_i32_e32 v30, 31, v30
	v_and_b32_e32 v28, exec_hi, v28
	v_xor_b32_e32 v31, vcc_hi, v30
	v_xor_b32_e32 v30, vcc_lo, v30
	v_and_b32_e32 v28, v28, v31
	v_and_b32_e32 v60, v60, v30
	v_lshlrev_b32_e32 v31, 29, v59
	v_mov_b32_e32 v30, v29
	v_cmp_gt_i64_e32 vcc, 0, v[30:31]
	v_not_b32_e32 v30, v31
	v_ashrrev_i32_e32 v30, 31, v30
	v_xor_b32_e32 v31, vcc_hi, v30
	v_xor_b32_e32 v30, vcc_lo, v30
	v_and_b32_e32 v28, v28, v31
	v_and_b32_e32 v60, v60, v30
	v_lshlrev_b32_e32 v31, 28, v59
	v_mov_b32_e32 v30, v29
	v_cmp_gt_i64_e32 vcc, 0, v[30:31]
	v_not_b32_e32 v30, v31
	v_ashrrev_i32_e32 v30, 31, v30
	;; [unrolled: 9-line block ×6, first 2 shown]
	v_xor_b32_e32 v31, vcc_hi, v30
	v_xor_b32_e32 v30, vcc_lo, v30
	ds_read_b32 v57, v61 offset:32
	v_and_b32_e32 v30, v60, v30
	v_and_b32_e32 v31, v28, v31
	v_mbcnt_lo_u32_b32 v28, v30, 0
	v_mbcnt_hi_u32_b32 v59, v31, v28
	v_cmp_eq_u32_e32 vcc, 0, v59
	v_cmp_ne_u64_e64 s[4:5], 0, v[30:31]
	s_and_b64 s[6:7], s[4:5], vcc
	; wave barrier
	s_and_saveexec_b64 s[4:5], s[6:7]
	s_cbranch_execz .LBB1571_43
; %bb.42:
	v_bcnt_u32_b32 v28, v30, 0
	v_bcnt_u32_b32 v28, v31, v28
	s_waitcnt lgkmcnt(0)
	v_add_u32_e32 v28, v57, v28
	ds_write_b32 v61, v28 offset:32
.LBB1571_43:
	s_or_b64 exec, exec, s[4:5]
	v_xor_b32_e32 v23, 0x80000000, v23
	v_lshrrev_b64 v[30:31], s20, v[22:23]
	v_and_b32_e32 v62, s23, v30
	v_lshl_add_u32 v28, v62, 3, v62
	v_add_lshl_u32 v64, v45, v28, 2
	v_and_b32_e32 v28, 1, v62
	v_lshl_add_u64 v[30:31], v[28:29], 0, -1
	v_cmp_ne_u32_e32 vcc, 0, v28
	; wave barrier
	s_nop 1
	v_xor_b32_e32 v30, vcc_lo, v30
	v_xor_b32_e32 v28, vcc_hi, v31
	v_and_b32_e32 v63, exec_lo, v30
	v_lshlrev_b32_e32 v31, 30, v62
	v_mov_b32_e32 v30, v29
	v_cmp_gt_i64_e32 vcc, 0, v[30:31]
	v_not_b32_e32 v30, v31
	v_ashrrev_i32_e32 v30, 31, v30
	v_and_b32_e32 v28, exec_hi, v28
	v_xor_b32_e32 v31, vcc_hi, v30
	v_xor_b32_e32 v30, vcc_lo, v30
	v_and_b32_e32 v28, v28, v31
	v_and_b32_e32 v63, v63, v30
	v_lshlrev_b32_e32 v31, 29, v62
	v_mov_b32_e32 v30, v29
	v_cmp_gt_i64_e32 vcc, 0, v[30:31]
	v_not_b32_e32 v30, v31
	v_ashrrev_i32_e32 v30, 31, v30
	v_xor_b32_e32 v31, vcc_hi, v30
	v_xor_b32_e32 v30, vcc_lo, v30
	v_and_b32_e32 v28, v28, v31
	v_and_b32_e32 v63, v63, v30
	v_lshlrev_b32_e32 v31, 28, v62
	v_mov_b32_e32 v30, v29
	v_cmp_gt_i64_e32 vcc, 0, v[30:31]
	v_not_b32_e32 v30, v31
	v_ashrrev_i32_e32 v30, 31, v30
	;; [unrolled: 9-line block ×5, first 2 shown]
	v_xor_b32_e32 v31, vcc_hi, v30
	v_xor_b32_e32 v30, vcc_lo, v30
	v_and_b32_e32 v28, v28, v31
	v_lshlrev_b32_e32 v31, 24, v62
	v_and_b32_e32 v63, v63, v30
	v_mov_b32_e32 v30, v29
	v_not_b32_e32 v29, v31
	v_cmp_gt_i64_e32 vcc, 0, v[30:31]
	v_ashrrev_i32_e32 v29, 31, v29
	ds_read_b32 v60, v64 offset:32
	v_xor_b32_e32 v30, vcc_hi, v29
	v_xor_b32_e32 v31, vcc_lo, v29
	v_and_b32_e32 v29, v28, v30
	v_and_b32_e32 v28, v63, v31
	v_mbcnt_lo_u32_b32 v30, v28, 0
	v_mbcnt_hi_u32_b32 v62, v29, v30
	v_cmp_eq_u32_e32 vcc, 0, v62
	v_cmp_ne_u64_e64 s[4:5], 0, v[28:29]
	s_and_b64 s[6:7], s[4:5], vcc
	; wave barrier
	s_and_saveexec_b64 s[4:5], s[6:7]
	s_cbranch_execz .LBB1571_45
; %bb.44:
	v_bcnt_u32_b32 v28, v28, 0
	v_bcnt_u32_b32 v28, v29, v28
	s_waitcnt lgkmcnt(0)
	v_add_u32_e32 v28, v60, v28
	ds_write_b32 v64, v28 offset:32
.LBB1571_45:
	s_or_b64 exec, exec, s[4:5]
	v_xor_b32_e32 v25, 0x80000000, v25
	v_lshrrev_b64 v[28:29], s20, v[24:25]
	v_and_b32_e32 v65, s23, v28
	v_lshl_add_u32 v28, v65, 3, v65
	v_add_lshl_u32 v66, v45, v28, 2
	v_and_b32_e32 v28, 1, v65
	v_mov_b32_e32 v29, 0
	v_lshl_add_u64 v[30:31], v[28:29], 0, -1
	v_cmp_ne_u32_e32 vcc, 0, v28
	; wave barrier
	s_nop 1
	v_xor_b32_e32 v30, vcc_lo, v30
	v_xor_b32_e32 v28, vcc_hi, v31
	v_and_b32_e32 v67, exec_lo, v30
	v_lshlrev_b32_e32 v31, 30, v65
	v_mov_b32_e32 v30, v29
	v_cmp_gt_i64_e32 vcc, 0, v[30:31]
	v_not_b32_e32 v30, v31
	v_ashrrev_i32_e32 v30, 31, v30
	v_and_b32_e32 v28, exec_hi, v28
	v_xor_b32_e32 v31, vcc_hi, v30
	v_xor_b32_e32 v30, vcc_lo, v30
	v_and_b32_e32 v28, v28, v31
	v_and_b32_e32 v67, v67, v30
	v_lshlrev_b32_e32 v31, 29, v65
	v_mov_b32_e32 v30, v29
	v_cmp_gt_i64_e32 vcc, 0, v[30:31]
	v_not_b32_e32 v30, v31
	v_ashrrev_i32_e32 v30, 31, v30
	v_xor_b32_e32 v31, vcc_hi, v30
	v_xor_b32_e32 v30, vcc_lo, v30
	v_and_b32_e32 v28, v28, v31
	v_and_b32_e32 v67, v67, v30
	v_lshlrev_b32_e32 v31, 28, v65
	v_mov_b32_e32 v30, v29
	v_cmp_gt_i64_e32 vcc, 0, v[30:31]
	v_not_b32_e32 v30, v31
	v_ashrrev_i32_e32 v30, 31, v30
	v_xor_b32_e32 v31, vcc_hi, v30
	v_xor_b32_e32 v30, vcc_lo, v30
	v_and_b32_e32 v28, v28, v31
	v_and_b32_e32 v67, v67, v30
	v_lshlrev_b32_e32 v31, 27, v65
	v_mov_b32_e32 v30, v29
	v_cmp_gt_i64_e32 vcc, 0, v[30:31]
	v_not_b32_e32 v30, v31
	v_ashrrev_i32_e32 v30, 31, v30
	v_xor_b32_e32 v31, vcc_hi, v30
	v_xor_b32_e32 v30, vcc_lo, v30
	v_and_b32_e32 v28, v28, v31
	v_and_b32_e32 v67, v67, v30
	v_lshlrev_b32_e32 v31, 26, v65
	v_mov_b32_e32 v30, v29
	v_cmp_gt_i64_e32 vcc, 0, v[30:31]
	v_not_b32_e32 v30, v31
	v_ashrrev_i32_e32 v30, 31, v30
	v_xor_b32_e32 v31, vcc_hi, v30
	v_xor_b32_e32 v30, vcc_lo, v30
	v_and_b32_e32 v28, v28, v31
	v_and_b32_e32 v67, v67, v30
	v_lshlrev_b32_e32 v31, 25, v65
	v_mov_b32_e32 v30, v29
	v_cmp_gt_i64_e32 vcc, 0, v[30:31]
	v_not_b32_e32 v30, v31
	v_ashrrev_i32_e32 v30, 31, v30
	v_xor_b32_e32 v31, vcc_hi, v30
	v_xor_b32_e32 v30, vcc_lo, v30
	v_and_b32_e32 v28, v28, v31
	v_and_b32_e32 v67, v67, v30
	v_lshlrev_b32_e32 v31, 24, v65
	v_mov_b32_e32 v30, v29
	v_cmp_gt_i64_e32 vcc, 0, v[30:31]
	v_not_b32_e32 v30, v31
	v_ashrrev_i32_e32 v30, 31, v30
	v_xor_b32_e32 v31, vcc_hi, v30
	v_xor_b32_e32 v30, vcc_lo, v30
	ds_read_b32 v63, v66 offset:32
	v_and_b32_e32 v30, v67, v30
	v_and_b32_e32 v31, v28, v31
	v_mbcnt_lo_u32_b32 v28, v30, 0
	v_mbcnt_hi_u32_b32 v65, v31, v28
	v_cmp_eq_u32_e32 vcc, 0, v65
	v_cmp_ne_u64_e64 s[4:5], 0, v[30:31]
	s_and_b64 s[6:7], s[4:5], vcc
	; wave barrier
	s_and_saveexec_b64 s[4:5], s[6:7]
	s_cbranch_execz .LBB1571_47
; %bb.46:
	v_bcnt_u32_b32 v28, v30, 0
	v_bcnt_u32_b32 v28, v31, v28
	s_waitcnt lgkmcnt(0)
	v_add_u32_e32 v28, v63, v28
	ds_write_b32 v66, v28 offset:32
.LBB1571_47:
	s_or_b64 exec, exec, s[4:5]
	v_xor_b32_e32 v27, 0x80000000, v27
	v_lshrrev_b64 v[30:31], s20, v[26:27]
	v_and_b32_e32 v67, s23, v30
	v_lshl_add_u32 v28, v67, 3, v67
	v_add_lshl_u32 v68, v45, v28, 2
	v_and_b32_e32 v28, 1, v67
	v_lshl_add_u64 v[30:31], v[28:29], 0, -1
	v_cmp_ne_u32_e32 vcc, 0, v28
	; wave barrier
	s_nop 1
	v_xor_b32_e32 v30, vcc_lo, v30
	v_xor_b32_e32 v28, vcc_hi, v31
	v_and_b32_e32 v70, exec_lo, v30
	v_lshlrev_b32_e32 v31, 30, v67
	v_mov_b32_e32 v30, v29
	v_cmp_gt_i64_e32 vcc, 0, v[30:31]
	v_not_b32_e32 v30, v31
	v_ashrrev_i32_e32 v30, 31, v30
	v_and_b32_e32 v28, exec_hi, v28
	v_xor_b32_e32 v31, vcc_hi, v30
	v_xor_b32_e32 v30, vcc_lo, v30
	v_and_b32_e32 v28, v28, v31
	v_and_b32_e32 v70, v70, v30
	v_lshlrev_b32_e32 v31, 29, v67
	v_mov_b32_e32 v30, v29
	v_cmp_gt_i64_e32 vcc, 0, v[30:31]
	v_not_b32_e32 v30, v31
	v_ashrrev_i32_e32 v30, 31, v30
	v_xor_b32_e32 v31, vcc_hi, v30
	v_xor_b32_e32 v30, vcc_lo, v30
	v_and_b32_e32 v28, v28, v31
	v_and_b32_e32 v70, v70, v30
	v_lshlrev_b32_e32 v31, 28, v67
	v_mov_b32_e32 v30, v29
	v_cmp_gt_i64_e32 vcc, 0, v[30:31]
	v_not_b32_e32 v30, v31
	v_ashrrev_i32_e32 v30, 31, v30
	;; [unrolled: 9-line block ×5, first 2 shown]
	v_xor_b32_e32 v31, vcc_hi, v30
	v_xor_b32_e32 v30, vcc_lo, v30
	v_and_b32_e32 v28, v28, v31
	v_lshlrev_b32_e32 v31, 24, v67
	v_and_b32_e32 v70, v70, v30
	v_mov_b32_e32 v30, v29
	v_not_b32_e32 v29, v31
	v_cmp_gt_i64_e32 vcc, 0, v[30:31]
	v_ashrrev_i32_e32 v29, 31, v29
	ds_read_b32 v45, v68 offset:32
	v_xor_b32_e32 v30, vcc_hi, v29
	v_xor_b32_e32 v31, vcc_lo, v29
	v_and_b32_e32 v29, v28, v30
	v_and_b32_e32 v28, v70, v31
	v_mbcnt_lo_u32_b32 v30, v28, 0
	v_mbcnt_hi_u32_b32 v67, v29, v30
	v_cmp_eq_u32_e32 vcc, 0, v67
	v_cmp_ne_u64_e64 s[4:5], 0, v[28:29]
	v_add_u32_e32 v69, 32, v33
	s_and_b64 s[6:7], s[4:5], vcc
	; wave barrier
	s_and_saveexec_b64 s[4:5], s[6:7]
	s_cbranch_execz .LBB1571_49
; %bb.48:
	v_bcnt_u32_b32 v28, v28, 0
	v_bcnt_u32_b32 v28, v29, v28
	s_waitcnt lgkmcnt(0)
	v_add_u32_e32 v28, v45, v28
	ds_write_b32 v68, v28 offset:32
.LBB1571_49:
	s_or_b64 exec, exec, s[4:5]
	; wave barrier
	s_waitcnt lgkmcnt(0)
	s_barrier
	ds_read2_b32 v[30:31], v33 offset0:8 offset1:9
	ds_read2_b32 v[28:29], v69 offset0:2 offset1:3
	ds_read_b32 v70, v69 offset:16
	v_min_u32_e32 v32, 0x1c0, v32
	v_or_b32_e32 v32, 63, v32
	s_waitcnt lgkmcnt(1)
	v_add3_u32 v71, v31, v30, v28
	s_waitcnt lgkmcnt(0)
	v_add3_u32 v70, v71, v29, v70
	v_and_b32_e32 v71, 15, v3
	v_cmp_ne_u32_e32 vcc, 0, v71
	v_mov_b32_dpp v72, v70 row_shr:1 row_mask:0xf bank_mask:0xf
	s_nop 0
	v_cndmask_b32_e32 v72, 0, v72, vcc
	v_add_u32_e32 v70, v72, v70
	v_cmp_lt_u32_e32 vcc, 1, v71
	s_nop 0
	v_mov_b32_dpp v72, v70 row_shr:2 row_mask:0xf bank_mask:0xf
	v_cndmask_b32_e32 v72, 0, v72, vcc
	v_add_u32_e32 v70, v70, v72
	v_cmp_lt_u32_e32 vcc, 3, v71
	s_nop 0
	v_mov_b32_dpp v72, v70 row_shr:4 row_mask:0xf bank_mask:0xf
	;; [unrolled: 5-line block ×3, first 2 shown]
	v_cndmask_b32_e32 v71, 0, v72, vcc
	v_add_u32_e32 v70, v70, v71
	v_bfe_i32 v72, v3, 4, 1
	v_cmp_lt_u32_e32 vcc, 31, v3
	v_mov_b32_dpp v71, v70 row_bcast:15 row_mask:0xf bank_mask:0xf
	v_and_b32_e32 v71, v72, v71
	v_add_u32_e32 v70, v70, v71
	v_lshrrev_b32_e32 v72, 6, v2
	s_nop 0
	v_mov_b32_dpp v71, v70 row_bcast:31 row_mask:0xf bank_mask:0xf
	v_cndmask_b32_e32 v71, 0, v71, vcc
	v_add_u32_e32 v71, v70, v71
	v_cmp_eq_u32_e32 vcc, v32, v2
	s_and_saveexec_b64 s[4:5], vcc
	s_cbranch_execz .LBB1571_51
; %bb.50:
	v_lshlrev_b32_e32 v32, 2, v72
	ds_write_b32 v32, v71
.LBB1571_51:
	s_or_b64 exec, exec, s[4:5]
	v_cmp_gt_u32_e32 vcc, 8, v2
	v_lshlrev_b32_e32 v70, 2, v2
	s_waitcnt lgkmcnt(0)
	s_barrier
	s_and_saveexec_b64 s[4:5], vcc
	s_cbranch_execz .LBB1571_53
; %bb.52:
	ds_read_b32 v32, v70
	v_and_b32_e32 v73, 7, v3
	v_cmp_ne_u32_e32 vcc, 0, v73
	s_waitcnt lgkmcnt(0)
	v_mov_b32_dpp v74, v32 row_shr:1 row_mask:0xf bank_mask:0xf
	v_cndmask_b32_e32 v74, 0, v74, vcc
	v_add_u32_e32 v32, v74, v32
	v_cmp_lt_u32_e32 vcc, 1, v73
	s_nop 0
	v_mov_b32_dpp v74, v32 row_shr:2 row_mask:0xf bank_mask:0xf
	v_cndmask_b32_e32 v74, 0, v74, vcc
	v_add_u32_e32 v32, v32, v74
	v_cmp_lt_u32_e32 vcc, 3, v73
	s_nop 0
	v_mov_b32_dpp v74, v32 row_shr:4 row_mask:0xf bank_mask:0xf
	v_cndmask_b32_e32 v73, 0, v74, vcc
	v_add_u32_e32 v32, v32, v73
	ds_write_b32 v70, v32
.LBB1571_53:
	s_or_b64 exec, exec, s[4:5]
	v_cmp_lt_u32_e32 vcc, 63, v2
	v_mov_b32_e32 v32, 0
	s_waitcnt lgkmcnt(0)
	s_barrier
	s_and_saveexec_b64 s[4:5], vcc
	s_cbranch_execz .LBB1571_55
; %bb.54:
	v_lshl_add_u32 v32, v72, 2, -4
	ds_read_b32 v32, v32
.LBB1571_55:
	s_or_b64 exec, exec, s[4:5]
	v_add_u32_e32 v72, -1, v3
	v_and_b32_e32 v73, 64, v3
	v_cmp_lt_i32_e32 vcc, v72, v73
	s_waitcnt lgkmcnt(0)
	v_add_u32_e32 v71, v32, v71
	s_movk_i32 s4, 0x100
	v_cndmask_b32_e32 v72, v72, v3, vcc
	v_lshlrev_b32_e32 v72, 2, v72
	ds_bpermute_b32 v71, v72, v71
	v_cmp_eq_u32_e32 vcc, 0, v3
	s_waitcnt lgkmcnt(0)
	s_nop 0
	v_cndmask_b32_e32 v3, v71, v32, vcc
	v_cmp_ne_u32_e32 vcc, 0, v2
	s_nop 1
	v_cndmask_b32_e32 v3, 0, v3, vcc
	v_add_u32_e32 v30, v3, v30
	v_add_u32_e32 v31, v30, v31
	;; [unrolled: 1-line block ×4, first 2 shown]
	ds_write2_b32 v33, v3, v30 offset0:8 offset1:9
	ds_write2_b32 v69, v31, v28 offset0:2 offset1:3
	ds_write_b32 v69, v29 offset:16
	s_waitcnt lgkmcnt(0)
	s_barrier
	ds_read_b32 v76, v38 offset:32
	ds_read_b32 v69, v39 offset:32
	;; [unrolled: 1-line block ×12, first 2 shown]
	v_cmp_gt_u32_e32 vcc, s4, v2
                                        ; implicit-def: $vgpr3
                                        ; implicit-def: $vgpr38
	s_and_saveexec_b64 s[6:7], vcc
	s_cbranch_execz .LBB1571_59
; %bb.56:
	v_mul_u32_u24_e32 v3, 9, v2
	v_lshlrev_b32_e32 v29, 2, v3
	ds_read_b32 v3, v29 offset:32
	s_movk_i32 s4, 0xff
	v_cmp_ne_u32_e64 s[4:5], s4, v2
	v_mov_b32_e32 v28, 0x1800
	s_and_saveexec_b64 s[8:9], s[4:5]
	s_cbranch_execz .LBB1571_58
; %bb.57:
	ds_read_b32 v28, v29 offset:68
.LBB1571_58:
	s_or_b64 exec, exec, s[8:9]
	s_waitcnt lgkmcnt(0)
	v_sub_u32_e32 v38, v28, v3
.LBB1571_59:
	s_or_b64 exec, exec, s[6:7]
	s_waitcnt lgkmcnt(0)
	s_barrier
	s_and_saveexec_b64 s[6:7], vcc
	s_cbranch_execz .LBB1571_69
; %bb.60:
	v_lshl_or_b32 v30, s2, 8, v2
	v_mov_b32_e32 v31, 0
	v_lshl_add_u64 v[28:29], v[30:31], 2, s[28:29]
	v_or_b32_e32 v30, 2.0, v38
	s_mov_b64 s[8:9], 0
	s_brev_b32 s14, 1
	s_mov_b32 s15, s2
	v_mov_b32_e32 v49, 0
	global_store_dword v[28:29], v30, off sc1
                                        ; implicit-def: $sgpr4_sgpr5
	s_branch .LBB1571_62
.LBB1571_61:                            ;   in Loop: Header=BB1571_62 Depth=1
	s_or_b64 exec, exec, s[10:11]
	v_and_b32_e32 v32, 0x3fffffff, v55
	v_add_u32_e32 v49, v32, v49
	v_cmp_eq_u32_e64 s[4:5], s14, v30
	s_and_b64 s[10:11], exec, s[4:5]
	s_or_b64 s[8:9], s[10:11], s[8:9]
	s_andn2_b64 exec, exec, s[8:9]
	s_cbranch_execz .LBB1571_68
.LBB1571_62:                            ; =>This Loop Header: Depth=1
                                        ;     Child Loop BB1571_65 Depth 2
	s_or_b64 s[4:5], s[4:5], exec
	s_cmp_eq_u32 s15, 0
	s_cbranch_scc1 .LBB1571_67
; %bb.63:                               ;   in Loop: Header=BB1571_62 Depth=1
	s_add_i32 s15, s15, -1
	v_lshl_or_b32 v30, s15, 8, v2
	v_lshl_add_u64 v[32:33], v[30:31], 2, s[28:29]
	global_load_dword v55, v[32:33], off sc1
	s_waitcnt vmcnt(0)
	v_and_b32_e32 v30, -2.0, v55
	v_cmp_eq_u32_e64 s[4:5], 0, v30
	s_and_saveexec_b64 s[10:11], s[4:5]
	s_cbranch_execz .LBB1571_61
; %bb.64:                               ;   in Loop: Header=BB1571_62 Depth=1
	s_mov_b64 s[12:13], 0
.LBB1571_65:                            ;   Parent Loop BB1571_62 Depth=1
                                        ; =>  This Inner Loop Header: Depth=2
	global_load_dword v55, v[32:33], off sc1
	s_waitcnt vmcnt(0)
	v_and_b32_e32 v30, -2.0, v55
	v_cmp_ne_u32_e64 s[4:5], 0, v30
	s_or_b64 s[12:13], s[4:5], s[12:13]
	s_andn2_b64 exec, exec, s[12:13]
	s_cbranch_execnz .LBB1571_65
; %bb.66:                               ;   in Loop: Header=BB1571_62 Depth=1
	s_or_b64 exec, exec, s[12:13]
	s_branch .LBB1571_61
.LBB1571_67:                            ;   in Loop: Header=BB1571_62 Depth=1
                                        ; implicit-def: $sgpr15
	s_and_b64 s[10:11], exec, s[4:5]
	s_or_b64 s[8:9], s[10:11], s[8:9]
	s_andn2_b64 exec, exec, s[8:9]
	s_cbranch_execnz .LBB1571_62
.LBB1571_68:
	s_or_b64 exec, exec, s[8:9]
	v_add_u32_e32 v30, v49, v38
	v_or_b32_e32 v30, 0x80000000, v30
	global_store_dword v[28:29], v30, off sc1
	global_load_dword v28, v70, s[16:17]
	v_sub_u32_e32 v29, v49, v3
	s_waitcnt vmcnt(0)
	v_add_u32_e32 v28, v29, v28
	ds_write_b32 v70, v28
.LBB1571_69:
	s_or_b64 exec, exec, s[6:7]
	v_add_u32_e32 v30, v76, v35
	v_add3_u32 v28, v36, v34, v69
	v_add3_u32 v29, v40, v37, v71
	;; [unrolled: 1-line block ×11, first 2 shown]
	v_lshlrev_b32_e32 v31, 3, v2
	v_mov_b32_e32 v77, 0x400
	s_movk_i32 s8, 0x400
	v_add_u32_e32 v32, 0x400, v31
	v_lshl_add_u32 v33, v33, 3, v77
	v_add3_u32 v35, v67, v39, v45
	v_lshl_add_u32 v39, v76, 3, v77
	v_add3_u32 v42, v65, v42, v63
	;; [unrolled: 2-line block ×11, first 2 shown]
	v_lshl_add_u32 v36, v30, 3, v77
	s_mov_b32 s9, 0
	v_mov_b32_e32 v29, 0
	s_movk_i32 s10, 0x200
	v_mov_b32_e32 v57, v2
	s_mov_b32 s11, 0
	s_branch .LBB1571_71
.LBB1571_70:                            ;   in Loop: Header=BB1571_71 Depth=1
	s_or_b64 exec, exec, s[6:7]
	s_addk_i32 s11, 0xe000
	s_addk_i32 s9, 0xfc00
	s_cmp_eq_u32 s11, 0xffff4000
	v_add_u32_e32 v57, 0x400, v57
	s_barrier
	s_cbranch_scc1 .LBB1571_100
.LBB1571_71:                            ; =>This Inner Loop Header: Depth=1
	v_add_u32_e32 v28, s9, v30
	v_cmp_gt_u32_e64 s[4:5], s8, v28
	s_and_saveexec_b64 s[6:7], s[4:5]
	s_cbranch_execz .LBB1571_73
; %bb.72:                               ;   in Loop: Header=BB1571_71 Depth=1
	v_add_u32_e32 v28, s11, v36
	ds_write_b64 v28, v[4:5]
.LBB1571_73:                            ;   in Loop: Header=BB1571_71 Depth=1
	s_or_b64 exec, exec, s[6:7]
	v_add_u32_e32 v28, s9, v34
	v_cmp_gt_u32_e64 s[4:5], s8, v28
	s_and_saveexec_b64 s[6:7], s[4:5]
	s_cbranch_execz .LBB1571_75
; %bb.74:                               ;   in Loop: Header=BB1571_71 Depth=1
	v_add_u32_e32 v28, s11, v40
	ds_write_b64 v28, v[6:7]
.LBB1571_75:                            ;   in Loop: Header=BB1571_71 Depth=1
	s_or_b64 exec, exec, s[6:7]
	;; [unrolled: 9-line block ×12, first 2 shown]
	v_cmp_gt_u32_e64 s[4:5], s3, v57
	s_waitcnt lgkmcnt(0)
	s_barrier
	s_and_saveexec_b64 s[6:7], s[4:5]
	s_cbranch_execz .LBB1571_97
; %bb.96:                               ;   in Loop: Header=BB1571_71 Depth=1
	ds_read_b64 v[58:59], v31 offset:1024
	s_waitcnt lgkmcnt(0)
	v_lshrrev_b64 v[60:61], s20, v[58:59]
	v_and_b32_e32 v28, s23, v60
	v_lshlrev_b32_e32 v28, 2, v28
	ds_read_b32 v28, v28
	v_xor_b32_e32 v59, 0x80000000, v59
	s_waitcnt lgkmcnt(0)
	v_add_u32_e32 v28, v57, v28
	v_lshl_add_u64 v[60:61], v[28:29], 3, s[26:27]
	global_store_dwordx2 v[60:61], v[58:59], off
.LBB1571_97:                            ;   in Loop: Header=BB1571_71 Depth=1
	s_or_b64 exec, exec, s[6:7]
	v_add_u32_e32 v28, 0x200, v57
	v_cmp_gt_u32_e64 s[4:5], s3, v28
	s_and_saveexec_b64 s[6:7], s[4:5]
	s_cbranch_execz .LBB1571_70
; %bb.98:                               ;   in Loop: Header=BB1571_71 Depth=1
	ds_read_b64 v[58:59], v32 offset:4096
	s_waitcnt lgkmcnt(0)
	v_lshrrev_b64 v[60:61], s20, v[58:59]
	v_and_b32_e32 v28, s23, v60
	v_lshlrev_b32_e32 v28, 2, v28
	ds_read_b32 v28, v28
	v_xor_b32_e32 v59, 0x80000000, v59
	s_waitcnt lgkmcnt(0)
	v_add3_u32 v28, v57, v28, s10
	v_lshl_add_u64 v[60:61], v[28:29], 3, s[26:27]
	global_store_dwordx2 v[60:61], v[58:59], off
	s_branch .LBB1571_70
.LBB1571_99:
	s_mov_b64 s[8:9], 0
                                        ; implicit-def: $vgpr4
                                        ; implicit-def: $vgpr2
	s_cbranch_execnz .LBB1571_103
	s_branch .LBB1571_176
.LBB1571_100:
	s_add_i32 s22, s22, -1
	s_cmp_eq_u32 s22, s2
	s_cselect_b64 s[4:5], -1, 0
	s_and_b64 s[6:7], vcc, s[4:5]
	s_mov_b64 s[4:5], 0
	s_mov_b64 s[8:9], 0
                                        ; implicit-def: $vgpr4
	s_and_saveexec_b64 s[10:11], s[6:7]
	s_xor_b64 s[6:7], exec, s[10:11]
; %bb.101:
	s_mov_b64 s[8:9], exec
	v_add_u32_e32 v4, v3, v38
; %bb.102:
	s_or_b64 exec, exec, s[6:7]
	s_and_b64 vcc, exec, s[4:5]
	s_cbranch_vccz .LBB1571_176
.LBB1571_103:
	s_mov_b32 s31, 0
	s_lshl_b64 s[4:5], s[30:31], 3
	v_mbcnt_hi_u32_b32 v3, -1, v1
	s_add_u32 s4, s24, s4
	v_and_b32_e32 v1, 63, v3
	s_addc_u32 s5, s25, s5
	v_mov_b32_e32 v27, 0
	v_lshlrev_b32_e32 v26, 3, v1
	v_lshl_add_u64 v[4:5], s[4:5], 0, v[26:27]
	s_load_dword s3, s[0:1], 0x58
	s_load_dword s4, s[0:1], 0x64
	v_and_b32_e32 v2, 0x3ff, v0
	v_and_b32_e32 v30, 0x1c0, v2
	v_mul_u32_u24_e32 v6, 12, v30
	v_lshlrev_b32_e32 v26, 3, v6
	s_add_u32 s0, s0, 0x58
	v_lshl_add_u64 v[18:19], v[4:5], 0, v[26:27]
	s_addc_u32 s1, s1, 0
	s_waitcnt lgkmcnt(0)
	s_lshr_b32 s4, s4, 16
	global_load_dwordx2 v[4:5], v[18:19], off
	s_cmp_lt_u32 s2, s3
	s_cselect_b32 s5, 12, 18
	s_add_u32 s0, s0, s5
	s_addc_u32 s1, s1, 0
	global_load_ushort v38, v27, s[0:1]
	v_bfe_u32 v20, v0, 10, 10
	v_bfe_u32 v21, v0, 20, 10
	v_mul_u32_u24_e32 v0, 5, v2
	v_lshlrev_b32_e32 v31, 2, v0
	ds_write2_b32 v31, v27, v27 offset0:8 offset1:9
	ds_write2_b32 v31, v27, v27 offset0:10 offset1:11
	ds_write_b32 v31, v27 offset:48
	s_movk_i32 s0, 0x1000
	global_load_dwordx2 v[0:1], v[18:19], off offset:512
	global_load_dwordx2 v[6:7], v[18:19], off offset:1024
	;; [unrolled: 1-line block ×7, first 2 shown]
	v_add_co_u32_e32 v36, vcc, s0, v18
	v_mad_u32_u24 v39, v21, s4, v20
	s_nop 0
	v_addc_co_u32_e32 v37, vcc, 0, v19, vcc
	global_load_dwordx2 v[18:19], v[36:37], off
	global_load_dwordx2 v[20:21], v[36:37], off offset:512
	global_load_dwordx2 v[22:23], v[36:37], off offset:1024
	;; [unrolled: 1-line block ×3, first 2 shown]
	s_lshl_b32 s0, -1, s21
	s_not_b32 s14, s0
	v_mov_b32_e32 v28, v27
	v_mov_b32_e32 v32, v27
	v_mov_b32_e32 v34, v27
	s_waitcnt lgkmcnt(0)
	s_barrier
	s_waitcnt lgkmcnt(0)
	; wave barrier
	s_waitcnt vmcnt(12)
	v_xor_b32_e32 v5, 0x80000000, v5
	v_lshrrev_b64 v[36:37], s20, v[4:5]
	v_and_b32_e32 v40, s14, v36
	v_and_b32_e32 v26, 1, v40
	v_lshlrev_b32_e32 v29, 30, v40
	v_lshlrev_b32_e32 v33, 29, v40
	s_waitcnt vmcnt(11)
	v_mad_u64_u32 v[36:37], s[0:1], v39, v38, v[2:3]
	v_lshl_add_u64 v[38:39], v[26:27], 0, -1
	v_cmp_ne_u32_e32 vcc, 0, v26
	v_not_b32_e32 v26, v29
	v_lshlrev_b32_e32 v35, 28, v40
	v_cmp_gt_i64_e64 s[0:1], 0, v[28:29]
	v_cmp_gt_i64_e64 s[4:5], 0, v[32:33]
	v_not_b32_e32 v28, v33
	v_xor_b32_e32 v33, vcc_lo, v38
	v_ashrrev_i32_e32 v26, 31, v26
	v_cmp_gt_i64_e64 s[6:7], 0, v[34:35]
	v_not_b32_e32 v29, v35
	v_ashrrev_i32_e32 v28, 31, v28
	v_and_b32_e32 v33, exec_lo, v33
	v_xor_b32_e32 v34, s1, v26
	v_xor_b32_e32 v26, s0, v26
	v_lshrrev_b32_e32 v42, 6, v36
	v_ashrrev_i32_e32 v29, 31, v29
	v_xor_b32_e32 v36, s5, v28
	v_xor_b32_e32 v28, s4, v28
	v_and_b32_e32 v26, v33, v26
	v_xor_b32_e32 v32, vcc_hi, v39
	v_xor_b32_e32 v37, s7, v29
	v_xor_b32_e32 v29, s6, v29
	v_and_b32_e32 v26, v26, v28
	v_and_b32_e32 v32, exec_hi, v32
	v_and_b32_e32 v26, v26, v29
	v_lshlrev_b32_e32 v29, 27, v40
	v_mov_b32_e32 v28, v27
	v_and_b32_e32 v32, v32, v34
	v_cmp_gt_i64_e32 vcc, 0, v[28:29]
	v_not_b32_e32 v28, v29
	v_and_b32_e32 v32, v32, v36
	v_ashrrev_i32_e32 v28, 31, v28
	v_and_b32_e32 v32, v32, v37
	v_xor_b32_e32 v29, vcc_hi, v28
	v_xor_b32_e32 v28, vcc_lo, v28
	v_and_b32_e32 v32, v32, v29
	v_and_b32_e32 v26, v26, v28
	v_lshlrev_b32_e32 v29, 26, v40
	v_mov_b32_e32 v28, v27
	v_cmp_gt_i64_e32 vcc, 0, v[28:29]
	v_not_b32_e32 v28, v29
	v_ashrrev_i32_e32 v28, 31, v28
	v_xor_b32_e32 v29, vcc_hi, v28
	v_xor_b32_e32 v28, vcc_lo, v28
	v_and_b32_e32 v32, v32, v29
	v_and_b32_e32 v26, v26, v28
	v_lshlrev_b32_e32 v29, 25, v40
	v_mov_b32_e32 v28, v27
	v_cmp_gt_i64_e32 vcc, 0, v[28:29]
	v_not_b32_e32 v28, v29
	v_ashrrev_i32_e32 v28, 31, v28
	;; [unrolled: 9-line block ×3, first 2 shown]
	v_xor_b32_e32 v29, vcc_hi, v28
	v_xor_b32_e32 v28, vcc_lo, v28
	v_and_b32_e32 v28, v26, v28
	v_and_b32_e32 v29, v32, v29
	v_mbcnt_lo_u32_b32 v26, v28, 0
	v_mbcnt_hi_u32_b32 v33, v29, v26
	v_lshl_add_u32 v41, v40, 3, v40
	v_cmp_eq_u32_e32 vcc, 0, v33
	v_cmp_ne_u64_e64 s[0:1], 0, v[28:29]
	v_add_lshl_u32 v35, v42, v41, 2
	s_and_b64 s[4:5], s[0:1], vcc
	s_and_saveexec_b64 s[0:1], s[4:5]
	s_cbranch_execz .LBB1571_105
; %bb.104:
	v_bcnt_u32_b32 v26, v28, 0
	v_bcnt_u32_b32 v26, v29, v26
	ds_write_b32 v35, v26 offset:32
.LBB1571_105:
	s_or_b64 exec, exec, s[0:1]
	s_waitcnt vmcnt(10)
	v_xor_b32_e32 v1, 0x80000000, v1
	v_lshrrev_b64 v[28:29], s20, v[0:1]
	v_and_b32_e32 v34, s14, v28
	v_lshl_add_u32 v26, v34, 3, v34
	v_add_lshl_u32 v37, v42, v26, 2
	v_and_b32_e32 v26, 1, v34
	v_lshl_add_u64 v[28:29], v[26:27], 0, -1
	v_cmp_ne_u32_e32 vcc, 0, v26
	; wave barrier
	s_nop 1
	v_xor_b32_e32 v28, vcc_lo, v28
	v_xor_b32_e32 v26, vcc_hi, v29
	v_and_b32_e32 v36, exec_lo, v28
	v_lshlrev_b32_e32 v29, 30, v34
	v_mov_b32_e32 v28, v27
	v_cmp_gt_i64_e32 vcc, 0, v[28:29]
	v_not_b32_e32 v28, v29
	v_ashrrev_i32_e32 v28, 31, v28
	v_and_b32_e32 v26, exec_hi, v26
	v_xor_b32_e32 v29, vcc_hi, v28
	v_xor_b32_e32 v28, vcc_lo, v28
	v_and_b32_e32 v26, v26, v29
	v_and_b32_e32 v36, v36, v28
	v_lshlrev_b32_e32 v29, 29, v34
	v_mov_b32_e32 v28, v27
	v_cmp_gt_i64_e32 vcc, 0, v[28:29]
	v_not_b32_e32 v28, v29
	v_ashrrev_i32_e32 v28, 31, v28
	v_xor_b32_e32 v29, vcc_hi, v28
	v_xor_b32_e32 v28, vcc_lo, v28
	v_and_b32_e32 v26, v26, v29
	v_and_b32_e32 v36, v36, v28
	v_lshlrev_b32_e32 v29, 28, v34
	v_mov_b32_e32 v28, v27
	v_cmp_gt_i64_e32 vcc, 0, v[28:29]
	v_not_b32_e32 v28, v29
	v_ashrrev_i32_e32 v28, 31, v28
	;; [unrolled: 9-line block ×5, first 2 shown]
	v_xor_b32_e32 v29, vcc_hi, v28
	v_xor_b32_e32 v28, vcc_lo, v28
	v_and_b32_e32 v26, v26, v29
	v_lshlrev_b32_e32 v29, 24, v34
	v_and_b32_e32 v36, v36, v28
	v_mov_b32_e32 v28, v27
	v_not_b32_e32 v27, v29
	v_cmp_gt_i64_e32 vcc, 0, v[28:29]
	v_ashrrev_i32_e32 v27, 31, v27
	ds_read_b32 v32, v37 offset:32
	v_xor_b32_e32 v28, vcc_hi, v27
	v_xor_b32_e32 v29, vcc_lo, v27
	v_and_b32_e32 v27, v26, v28
	v_and_b32_e32 v26, v36, v29
	v_mbcnt_lo_u32_b32 v28, v26, 0
	v_mbcnt_hi_u32_b32 v34, v27, v28
	v_cmp_eq_u32_e32 vcc, 0, v34
	v_cmp_ne_u64_e64 s[0:1], 0, v[26:27]
	s_and_b64 s[4:5], s[0:1], vcc
	; wave barrier
	s_and_saveexec_b64 s[0:1], s[4:5]
	s_cbranch_execz .LBB1571_107
; %bb.106:
	v_bcnt_u32_b32 v26, v26, 0
	v_bcnt_u32_b32 v26, v27, v26
	s_waitcnt lgkmcnt(0)
	v_add_u32_e32 v26, v32, v26
	ds_write_b32 v37, v26 offset:32
.LBB1571_107:
	s_or_b64 exec, exec, s[0:1]
	s_waitcnt vmcnt(9)
	v_xor_b32_e32 v7, 0x80000000, v7
	v_lshrrev_b64 v[26:27], s20, v[6:7]
	v_and_b32_e32 v38, s14, v26
	v_lshl_add_u32 v26, v38, 3, v38
	v_add_lshl_u32 v40, v42, v26, 2
	v_and_b32_e32 v26, 1, v38
	v_mov_b32_e32 v27, 0
	v_lshl_add_u64 v[28:29], v[26:27], 0, -1
	v_cmp_ne_u32_e32 vcc, 0, v26
	; wave barrier
	s_nop 1
	v_xor_b32_e32 v28, vcc_lo, v28
	v_xor_b32_e32 v26, vcc_hi, v29
	v_and_b32_e32 v39, exec_lo, v28
	v_lshlrev_b32_e32 v29, 30, v38
	v_mov_b32_e32 v28, v27
	v_cmp_gt_i64_e32 vcc, 0, v[28:29]
	v_not_b32_e32 v28, v29
	v_ashrrev_i32_e32 v28, 31, v28
	v_and_b32_e32 v26, exec_hi, v26
	v_xor_b32_e32 v29, vcc_hi, v28
	v_xor_b32_e32 v28, vcc_lo, v28
	v_and_b32_e32 v26, v26, v29
	v_and_b32_e32 v39, v39, v28
	v_lshlrev_b32_e32 v29, 29, v38
	v_mov_b32_e32 v28, v27
	v_cmp_gt_i64_e32 vcc, 0, v[28:29]
	v_not_b32_e32 v28, v29
	v_ashrrev_i32_e32 v28, 31, v28
	v_xor_b32_e32 v29, vcc_hi, v28
	v_xor_b32_e32 v28, vcc_lo, v28
	v_and_b32_e32 v26, v26, v29
	v_and_b32_e32 v39, v39, v28
	v_lshlrev_b32_e32 v29, 28, v38
	v_mov_b32_e32 v28, v27
	v_cmp_gt_i64_e32 vcc, 0, v[28:29]
	v_not_b32_e32 v28, v29
	v_ashrrev_i32_e32 v28, 31, v28
	;; [unrolled: 9-line block ×6, first 2 shown]
	v_xor_b32_e32 v29, vcc_hi, v28
	v_xor_b32_e32 v28, vcc_lo, v28
	ds_read_b32 v36, v40 offset:32
	v_and_b32_e32 v28, v39, v28
	v_and_b32_e32 v29, v26, v29
	v_mbcnt_lo_u32_b32 v26, v28, 0
	v_mbcnt_hi_u32_b32 v38, v29, v26
	v_cmp_eq_u32_e32 vcc, 0, v38
	v_cmp_ne_u64_e64 s[0:1], 0, v[28:29]
	s_and_b64 s[4:5], s[0:1], vcc
	; wave barrier
	s_and_saveexec_b64 s[0:1], s[4:5]
	s_cbranch_execz .LBB1571_109
; %bb.108:
	v_bcnt_u32_b32 v26, v28, 0
	v_bcnt_u32_b32 v26, v29, v26
	s_waitcnt lgkmcnt(0)
	v_add_u32_e32 v26, v36, v26
	ds_write_b32 v40, v26 offset:32
.LBB1571_109:
	s_or_b64 exec, exec, s[0:1]
	s_waitcnt vmcnt(8)
	v_xor_b32_e32 v9, 0x80000000, v9
	v_lshrrev_b64 v[28:29], s20, v[8:9]
	v_and_b32_e32 v41, s14, v28
	v_lshl_add_u32 v26, v41, 3, v41
	v_add_lshl_u32 v44, v42, v26, 2
	v_and_b32_e32 v26, 1, v41
	v_lshl_add_u64 v[28:29], v[26:27], 0, -1
	v_cmp_ne_u32_e32 vcc, 0, v26
	; wave barrier
	s_nop 1
	v_xor_b32_e32 v28, vcc_lo, v28
	v_xor_b32_e32 v26, vcc_hi, v29
	v_and_b32_e32 v43, exec_lo, v28
	v_lshlrev_b32_e32 v29, 30, v41
	v_mov_b32_e32 v28, v27
	v_cmp_gt_i64_e32 vcc, 0, v[28:29]
	v_not_b32_e32 v28, v29
	v_ashrrev_i32_e32 v28, 31, v28
	v_and_b32_e32 v26, exec_hi, v26
	v_xor_b32_e32 v29, vcc_hi, v28
	v_xor_b32_e32 v28, vcc_lo, v28
	v_and_b32_e32 v26, v26, v29
	v_and_b32_e32 v43, v43, v28
	v_lshlrev_b32_e32 v29, 29, v41
	v_mov_b32_e32 v28, v27
	v_cmp_gt_i64_e32 vcc, 0, v[28:29]
	v_not_b32_e32 v28, v29
	v_ashrrev_i32_e32 v28, 31, v28
	v_xor_b32_e32 v29, vcc_hi, v28
	v_xor_b32_e32 v28, vcc_lo, v28
	v_and_b32_e32 v26, v26, v29
	v_and_b32_e32 v43, v43, v28
	v_lshlrev_b32_e32 v29, 28, v41
	v_mov_b32_e32 v28, v27
	v_cmp_gt_i64_e32 vcc, 0, v[28:29]
	v_not_b32_e32 v28, v29
	v_ashrrev_i32_e32 v28, 31, v28
	;; [unrolled: 9-line block ×5, first 2 shown]
	v_xor_b32_e32 v29, vcc_hi, v28
	v_xor_b32_e32 v28, vcc_lo, v28
	v_and_b32_e32 v26, v26, v29
	v_lshlrev_b32_e32 v29, 24, v41
	v_and_b32_e32 v43, v43, v28
	v_mov_b32_e32 v28, v27
	v_not_b32_e32 v27, v29
	v_cmp_gt_i64_e32 vcc, 0, v[28:29]
	v_ashrrev_i32_e32 v27, 31, v27
	ds_read_b32 v39, v44 offset:32
	v_xor_b32_e32 v28, vcc_hi, v27
	v_xor_b32_e32 v29, vcc_lo, v27
	v_and_b32_e32 v27, v26, v28
	v_and_b32_e32 v26, v43, v29
	v_mbcnt_lo_u32_b32 v28, v26, 0
	v_mbcnt_hi_u32_b32 v41, v27, v28
	v_cmp_eq_u32_e32 vcc, 0, v41
	v_cmp_ne_u64_e64 s[0:1], 0, v[26:27]
	s_and_b64 s[4:5], s[0:1], vcc
	; wave barrier
	s_and_saveexec_b64 s[0:1], s[4:5]
	s_cbranch_execz .LBB1571_111
; %bb.110:
	v_bcnt_u32_b32 v26, v26, 0
	v_bcnt_u32_b32 v26, v27, v26
	s_waitcnt lgkmcnt(0)
	v_add_u32_e32 v26, v39, v26
	ds_write_b32 v44, v26 offset:32
.LBB1571_111:
	s_or_b64 exec, exec, s[0:1]
	s_waitcnt vmcnt(7)
	v_xor_b32_e32 v11, 0x80000000, v11
	v_lshrrev_b64 v[26:27], s20, v[10:11]
	v_and_b32_e32 v45, s14, v26
	v_lshl_add_u32 v26, v45, 3, v45
	v_add_lshl_u32 v47, v42, v26, 2
	v_and_b32_e32 v26, 1, v45
	v_mov_b32_e32 v27, 0
	v_lshl_add_u64 v[28:29], v[26:27], 0, -1
	v_cmp_ne_u32_e32 vcc, 0, v26
	; wave barrier
	s_nop 1
	v_xor_b32_e32 v28, vcc_lo, v28
	v_xor_b32_e32 v26, vcc_hi, v29
	v_and_b32_e32 v46, exec_lo, v28
	v_lshlrev_b32_e32 v29, 30, v45
	v_mov_b32_e32 v28, v27
	v_cmp_gt_i64_e32 vcc, 0, v[28:29]
	v_not_b32_e32 v28, v29
	v_ashrrev_i32_e32 v28, 31, v28
	v_and_b32_e32 v26, exec_hi, v26
	v_xor_b32_e32 v29, vcc_hi, v28
	v_xor_b32_e32 v28, vcc_lo, v28
	v_and_b32_e32 v26, v26, v29
	v_and_b32_e32 v46, v46, v28
	v_lshlrev_b32_e32 v29, 29, v45
	v_mov_b32_e32 v28, v27
	v_cmp_gt_i64_e32 vcc, 0, v[28:29]
	v_not_b32_e32 v28, v29
	v_ashrrev_i32_e32 v28, 31, v28
	v_xor_b32_e32 v29, vcc_hi, v28
	v_xor_b32_e32 v28, vcc_lo, v28
	v_and_b32_e32 v26, v26, v29
	v_and_b32_e32 v46, v46, v28
	v_lshlrev_b32_e32 v29, 28, v45
	v_mov_b32_e32 v28, v27
	v_cmp_gt_i64_e32 vcc, 0, v[28:29]
	v_not_b32_e32 v28, v29
	v_ashrrev_i32_e32 v28, 31, v28
	;; [unrolled: 9-line block ×6, first 2 shown]
	v_xor_b32_e32 v29, vcc_hi, v28
	v_xor_b32_e32 v28, vcc_lo, v28
	ds_read_b32 v43, v47 offset:32
	v_and_b32_e32 v28, v46, v28
	v_and_b32_e32 v29, v26, v29
	v_mbcnt_lo_u32_b32 v26, v28, 0
	v_mbcnt_hi_u32_b32 v45, v29, v26
	v_cmp_eq_u32_e32 vcc, 0, v45
	v_cmp_ne_u64_e64 s[0:1], 0, v[28:29]
	s_and_b64 s[4:5], s[0:1], vcc
	; wave barrier
	s_and_saveexec_b64 s[0:1], s[4:5]
	s_cbranch_execz .LBB1571_113
; %bb.112:
	v_bcnt_u32_b32 v26, v28, 0
	v_bcnt_u32_b32 v26, v29, v26
	s_waitcnt lgkmcnt(0)
	v_add_u32_e32 v26, v43, v26
	ds_write_b32 v47, v26 offset:32
.LBB1571_113:
	s_or_b64 exec, exec, s[0:1]
	s_waitcnt vmcnt(6)
	v_xor_b32_e32 v13, 0x80000000, v13
	v_lshrrev_b64 v[28:29], s20, v[12:13]
	v_and_b32_e32 v48, s14, v28
	v_lshl_add_u32 v26, v48, 3, v48
	v_add_lshl_u32 v50, v42, v26, 2
	v_and_b32_e32 v26, 1, v48
	v_lshl_add_u64 v[28:29], v[26:27], 0, -1
	v_cmp_ne_u32_e32 vcc, 0, v26
	; wave barrier
	s_nop 1
	v_xor_b32_e32 v28, vcc_lo, v28
	v_xor_b32_e32 v26, vcc_hi, v29
	v_and_b32_e32 v49, exec_lo, v28
	v_lshlrev_b32_e32 v29, 30, v48
	v_mov_b32_e32 v28, v27
	v_cmp_gt_i64_e32 vcc, 0, v[28:29]
	v_not_b32_e32 v28, v29
	v_ashrrev_i32_e32 v28, 31, v28
	v_and_b32_e32 v26, exec_hi, v26
	v_xor_b32_e32 v29, vcc_hi, v28
	v_xor_b32_e32 v28, vcc_lo, v28
	v_and_b32_e32 v26, v26, v29
	v_and_b32_e32 v49, v49, v28
	v_lshlrev_b32_e32 v29, 29, v48
	v_mov_b32_e32 v28, v27
	v_cmp_gt_i64_e32 vcc, 0, v[28:29]
	v_not_b32_e32 v28, v29
	v_ashrrev_i32_e32 v28, 31, v28
	v_xor_b32_e32 v29, vcc_hi, v28
	v_xor_b32_e32 v28, vcc_lo, v28
	v_and_b32_e32 v26, v26, v29
	v_and_b32_e32 v49, v49, v28
	v_lshlrev_b32_e32 v29, 28, v48
	v_mov_b32_e32 v28, v27
	v_cmp_gt_i64_e32 vcc, 0, v[28:29]
	v_not_b32_e32 v28, v29
	v_ashrrev_i32_e32 v28, 31, v28
	;; [unrolled: 9-line block ×5, first 2 shown]
	v_xor_b32_e32 v29, vcc_hi, v28
	v_xor_b32_e32 v28, vcc_lo, v28
	v_and_b32_e32 v26, v26, v29
	v_lshlrev_b32_e32 v29, 24, v48
	v_and_b32_e32 v49, v49, v28
	v_mov_b32_e32 v28, v27
	v_not_b32_e32 v27, v29
	v_cmp_gt_i64_e32 vcc, 0, v[28:29]
	v_ashrrev_i32_e32 v27, 31, v27
	ds_read_b32 v46, v50 offset:32
	v_xor_b32_e32 v28, vcc_hi, v27
	v_xor_b32_e32 v29, vcc_lo, v27
	v_and_b32_e32 v27, v26, v28
	v_and_b32_e32 v26, v49, v29
	v_mbcnt_lo_u32_b32 v28, v26, 0
	v_mbcnt_hi_u32_b32 v48, v27, v28
	v_cmp_eq_u32_e32 vcc, 0, v48
	v_cmp_ne_u64_e64 s[0:1], 0, v[26:27]
	s_and_b64 s[4:5], s[0:1], vcc
	; wave barrier
	s_and_saveexec_b64 s[0:1], s[4:5]
	s_cbranch_execz .LBB1571_115
; %bb.114:
	v_bcnt_u32_b32 v26, v26, 0
	v_bcnt_u32_b32 v26, v27, v26
	s_waitcnt lgkmcnt(0)
	v_add_u32_e32 v26, v46, v26
	ds_write_b32 v50, v26 offset:32
.LBB1571_115:
	s_or_b64 exec, exec, s[0:1]
	s_waitcnt vmcnt(5)
	v_xor_b32_e32 v15, 0x80000000, v15
	v_lshrrev_b64 v[26:27], s20, v[14:15]
	v_and_b32_e32 v51, s14, v26
	v_lshl_add_u32 v26, v51, 3, v51
	v_add_lshl_u32 v53, v42, v26, 2
	v_and_b32_e32 v26, 1, v51
	v_mov_b32_e32 v27, 0
	v_lshl_add_u64 v[28:29], v[26:27], 0, -1
	v_cmp_ne_u32_e32 vcc, 0, v26
	; wave barrier
	s_nop 1
	v_xor_b32_e32 v28, vcc_lo, v28
	v_xor_b32_e32 v26, vcc_hi, v29
	v_and_b32_e32 v52, exec_lo, v28
	v_lshlrev_b32_e32 v29, 30, v51
	v_mov_b32_e32 v28, v27
	v_cmp_gt_i64_e32 vcc, 0, v[28:29]
	v_not_b32_e32 v28, v29
	v_ashrrev_i32_e32 v28, 31, v28
	v_and_b32_e32 v26, exec_hi, v26
	v_xor_b32_e32 v29, vcc_hi, v28
	v_xor_b32_e32 v28, vcc_lo, v28
	v_and_b32_e32 v26, v26, v29
	v_and_b32_e32 v52, v52, v28
	v_lshlrev_b32_e32 v29, 29, v51
	v_mov_b32_e32 v28, v27
	v_cmp_gt_i64_e32 vcc, 0, v[28:29]
	v_not_b32_e32 v28, v29
	v_ashrrev_i32_e32 v28, 31, v28
	v_xor_b32_e32 v29, vcc_hi, v28
	v_xor_b32_e32 v28, vcc_lo, v28
	v_and_b32_e32 v26, v26, v29
	v_and_b32_e32 v52, v52, v28
	v_lshlrev_b32_e32 v29, 28, v51
	v_mov_b32_e32 v28, v27
	v_cmp_gt_i64_e32 vcc, 0, v[28:29]
	v_not_b32_e32 v28, v29
	v_ashrrev_i32_e32 v28, 31, v28
	;; [unrolled: 9-line block ×6, first 2 shown]
	v_xor_b32_e32 v29, vcc_hi, v28
	v_xor_b32_e32 v28, vcc_lo, v28
	ds_read_b32 v49, v53 offset:32
	v_and_b32_e32 v28, v52, v28
	v_and_b32_e32 v29, v26, v29
	v_mbcnt_lo_u32_b32 v26, v28, 0
	v_mbcnt_hi_u32_b32 v51, v29, v26
	v_cmp_eq_u32_e32 vcc, 0, v51
	v_cmp_ne_u64_e64 s[0:1], 0, v[28:29]
	s_and_b64 s[4:5], s[0:1], vcc
	; wave barrier
	s_and_saveexec_b64 s[0:1], s[4:5]
	s_cbranch_execz .LBB1571_117
; %bb.116:
	v_bcnt_u32_b32 v26, v28, 0
	v_bcnt_u32_b32 v26, v29, v26
	s_waitcnt lgkmcnt(0)
	v_add_u32_e32 v26, v49, v26
	ds_write_b32 v53, v26 offset:32
.LBB1571_117:
	s_or_b64 exec, exec, s[0:1]
	s_waitcnt vmcnt(4)
	v_xor_b32_e32 v17, 0x80000000, v17
	v_lshrrev_b64 v[28:29], s20, v[16:17]
	v_and_b32_e32 v54, s14, v28
	v_lshl_add_u32 v26, v54, 3, v54
	v_add_lshl_u32 v56, v42, v26, 2
	v_and_b32_e32 v26, 1, v54
	v_lshl_add_u64 v[28:29], v[26:27], 0, -1
	v_cmp_ne_u32_e32 vcc, 0, v26
	; wave barrier
	s_nop 1
	v_xor_b32_e32 v28, vcc_lo, v28
	v_xor_b32_e32 v26, vcc_hi, v29
	v_and_b32_e32 v55, exec_lo, v28
	v_lshlrev_b32_e32 v29, 30, v54
	v_mov_b32_e32 v28, v27
	v_cmp_gt_i64_e32 vcc, 0, v[28:29]
	v_not_b32_e32 v28, v29
	v_ashrrev_i32_e32 v28, 31, v28
	v_and_b32_e32 v26, exec_hi, v26
	v_xor_b32_e32 v29, vcc_hi, v28
	v_xor_b32_e32 v28, vcc_lo, v28
	v_and_b32_e32 v26, v26, v29
	v_and_b32_e32 v55, v55, v28
	v_lshlrev_b32_e32 v29, 29, v54
	v_mov_b32_e32 v28, v27
	v_cmp_gt_i64_e32 vcc, 0, v[28:29]
	v_not_b32_e32 v28, v29
	v_ashrrev_i32_e32 v28, 31, v28
	v_xor_b32_e32 v29, vcc_hi, v28
	v_xor_b32_e32 v28, vcc_lo, v28
	v_and_b32_e32 v26, v26, v29
	v_and_b32_e32 v55, v55, v28
	v_lshlrev_b32_e32 v29, 28, v54
	v_mov_b32_e32 v28, v27
	v_cmp_gt_i64_e32 vcc, 0, v[28:29]
	v_not_b32_e32 v28, v29
	v_ashrrev_i32_e32 v28, 31, v28
	;; [unrolled: 9-line block ×5, first 2 shown]
	v_xor_b32_e32 v29, vcc_hi, v28
	v_xor_b32_e32 v28, vcc_lo, v28
	v_and_b32_e32 v26, v26, v29
	v_lshlrev_b32_e32 v29, 24, v54
	v_and_b32_e32 v55, v55, v28
	v_mov_b32_e32 v28, v27
	v_not_b32_e32 v27, v29
	v_cmp_gt_i64_e32 vcc, 0, v[28:29]
	v_ashrrev_i32_e32 v27, 31, v27
	ds_read_b32 v52, v56 offset:32
	v_xor_b32_e32 v28, vcc_hi, v27
	v_xor_b32_e32 v29, vcc_lo, v27
	v_and_b32_e32 v27, v26, v28
	v_and_b32_e32 v26, v55, v29
	v_mbcnt_lo_u32_b32 v28, v26, 0
	v_mbcnt_hi_u32_b32 v54, v27, v28
	v_cmp_eq_u32_e32 vcc, 0, v54
	v_cmp_ne_u64_e64 s[0:1], 0, v[26:27]
	s_and_b64 s[4:5], s[0:1], vcc
	; wave barrier
	s_and_saveexec_b64 s[0:1], s[4:5]
	s_cbranch_execz .LBB1571_119
; %bb.118:
	v_bcnt_u32_b32 v26, v26, 0
	v_bcnt_u32_b32 v26, v27, v26
	s_waitcnt lgkmcnt(0)
	v_add_u32_e32 v26, v52, v26
	ds_write_b32 v56, v26 offset:32
.LBB1571_119:
	s_or_b64 exec, exec, s[0:1]
	s_waitcnt vmcnt(3)
	v_xor_b32_e32 v19, 0x80000000, v19
	v_lshrrev_b64 v[26:27], s20, v[18:19]
	v_and_b32_e32 v57, s14, v26
	v_lshl_add_u32 v26, v57, 3, v57
	v_add_lshl_u32 v59, v42, v26, 2
	v_and_b32_e32 v26, 1, v57
	v_mov_b32_e32 v27, 0
	v_lshl_add_u64 v[28:29], v[26:27], 0, -1
	v_cmp_ne_u32_e32 vcc, 0, v26
	; wave barrier
	s_nop 1
	v_xor_b32_e32 v28, vcc_lo, v28
	v_xor_b32_e32 v26, vcc_hi, v29
	v_and_b32_e32 v58, exec_lo, v28
	v_lshlrev_b32_e32 v29, 30, v57
	v_mov_b32_e32 v28, v27
	v_cmp_gt_i64_e32 vcc, 0, v[28:29]
	v_not_b32_e32 v28, v29
	v_ashrrev_i32_e32 v28, 31, v28
	v_and_b32_e32 v26, exec_hi, v26
	v_xor_b32_e32 v29, vcc_hi, v28
	v_xor_b32_e32 v28, vcc_lo, v28
	v_and_b32_e32 v26, v26, v29
	v_and_b32_e32 v58, v58, v28
	v_lshlrev_b32_e32 v29, 29, v57
	v_mov_b32_e32 v28, v27
	v_cmp_gt_i64_e32 vcc, 0, v[28:29]
	v_not_b32_e32 v28, v29
	v_ashrrev_i32_e32 v28, 31, v28
	v_xor_b32_e32 v29, vcc_hi, v28
	v_xor_b32_e32 v28, vcc_lo, v28
	v_and_b32_e32 v26, v26, v29
	v_and_b32_e32 v58, v58, v28
	v_lshlrev_b32_e32 v29, 28, v57
	v_mov_b32_e32 v28, v27
	v_cmp_gt_i64_e32 vcc, 0, v[28:29]
	v_not_b32_e32 v28, v29
	v_ashrrev_i32_e32 v28, 31, v28
	;; [unrolled: 9-line block ×6, first 2 shown]
	v_xor_b32_e32 v29, vcc_hi, v28
	v_xor_b32_e32 v28, vcc_lo, v28
	ds_read_b32 v55, v59 offset:32
	v_and_b32_e32 v28, v58, v28
	v_and_b32_e32 v29, v26, v29
	v_mbcnt_lo_u32_b32 v26, v28, 0
	v_mbcnt_hi_u32_b32 v57, v29, v26
	v_cmp_eq_u32_e32 vcc, 0, v57
	v_cmp_ne_u64_e64 s[0:1], 0, v[28:29]
	s_and_b64 s[4:5], s[0:1], vcc
	; wave barrier
	s_and_saveexec_b64 s[0:1], s[4:5]
	s_cbranch_execz .LBB1571_121
; %bb.120:
	v_bcnt_u32_b32 v26, v28, 0
	v_bcnt_u32_b32 v26, v29, v26
	s_waitcnt lgkmcnt(0)
	v_add_u32_e32 v26, v55, v26
	ds_write_b32 v59, v26 offset:32
.LBB1571_121:
	s_or_b64 exec, exec, s[0:1]
	s_waitcnt vmcnt(2)
	v_xor_b32_e32 v21, 0x80000000, v21
	v_lshrrev_b64 v[28:29], s20, v[20:21]
	v_and_b32_e32 v60, s14, v28
	v_lshl_add_u32 v26, v60, 3, v60
	v_add_lshl_u32 v62, v42, v26, 2
	v_and_b32_e32 v26, 1, v60
	v_lshl_add_u64 v[28:29], v[26:27], 0, -1
	v_cmp_ne_u32_e32 vcc, 0, v26
	; wave barrier
	s_nop 1
	v_xor_b32_e32 v28, vcc_lo, v28
	v_xor_b32_e32 v26, vcc_hi, v29
	v_and_b32_e32 v61, exec_lo, v28
	v_lshlrev_b32_e32 v29, 30, v60
	v_mov_b32_e32 v28, v27
	v_cmp_gt_i64_e32 vcc, 0, v[28:29]
	v_not_b32_e32 v28, v29
	v_ashrrev_i32_e32 v28, 31, v28
	v_and_b32_e32 v26, exec_hi, v26
	v_xor_b32_e32 v29, vcc_hi, v28
	v_xor_b32_e32 v28, vcc_lo, v28
	v_and_b32_e32 v26, v26, v29
	v_and_b32_e32 v61, v61, v28
	v_lshlrev_b32_e32 v29, 29, v60
	v_mov_b32_e32 v28, v27
	v_cmp_gt_i64_e32 vcc, 0, v[28:29]
	v_not_b32_e32 v28, v29
	v_ashrrev_i32_e32 v28, 31, v28
	v_xor_b32_e32 v29, vcc_hi, v28
	v_xor_b32_e32 v28, vcc_lo, v28
	v_and_b32_e32 v26, v26, v29
	v_and_b32_e32 v61, v61, v28
	v_lshlrev_b32_e32 v29, 28, v60
	v_mov_b32_e32 v28, v27
	v_cmp_gt_i64_e32 vcc, 0, v[28:29]
	v_not_b32_e32 v28, v29
	v_ashrrev_i32_e32 v28, 31, v28
	;; [unrolled: 9-line block ×5, first 2 shown]
	v_xor_b32_e32 v29, vcc_hi, v28
	v_xor_b32_e32 v28, vcc_lo, v28
	v_and_b32_e32 v26, v26, v29
	v_lshlrev_b32_e32 v29, 24, v60
	v_and_b32_e32 v61, v61, v28
	v_mov_b32_e32 v28, v27
	v_not_b32_e32 v27, v29
	v_cmp_gt_i64_e32 vcc, 0, v[28:29]
	v_ashrrev_i32_e32 v27, 31, v27
	ds_read_b32 v58, v62 offset:32
	v_xor_b32_e32 v28, vcc_hi, v27
	v_xor_b32_e32 v29, vcc_lo, v27
	v_and_b32_e32 v27, v26, v28
	v_and_b32_e32 v26, v61, v29
	v_mbcnt_lo_u32_b32 v28, v26, 0
	v_mbcnt_hi_u32_b32 v60, v27, v28
	v_cmp_eq_u32_e32 vcc, 0, v60
	v_cmp_ne_u64_e64 s[0:1], 0, v[26:27]
	s_and_b64 s[4:5], s[0:1], vcc
	; wave barrier
	s_and_saveexec_b64 s[0:1], s[4:5]
	s_cbranch_execz .LBB1571_123
; %bb.122:
	v_bcnt_u32_b32 v26, v26, 0
	v_bcnt_u32_b32 v26, v27, v26
	s_waitcnt lgkmcnt(0)
	v_add_u32_e32 v26, v58, v26
	ds_write_b32 v62, v26 offset:32
.LBB1571_123:
	s_or_b64 exec, exec, s[0:1]
	s_waitcnt vmcnt(1)
	v_xor_b32_e32 v23, 0x80000000, v23
	v_lshrrev_b64 v[26:27], s20, v[22:23]
	v_and_b32_e32 v63, s14, v26
	v_lshl_add_u32 v26, v63, 3, v63
	v_add_lshl_u32 v64, v42, v26, 2
	v_and_b32_e32 v26, 1, v63
	v_mov_b32_e32 v27, 0
	v_lshl_add_u64 v[28:29], v[26:27], 0, -1
	v_cmp_ne_u32_e32 vcc, 0, v26
	; wave barrier
	s_nop 1
	v_xor_b32_e32 v28, vcc_lo, v28
	v_xor_b32_e32 v26, vcc_hi, v29
	v_and_b32_e32 v65, exec_lo, v28
	v_lshlrev_b32_e32 v29, 30, v63
	v_mov_b32_e32 v28, v27
	v_cmp_gt_i64_e32 vcc, 0, v[28:29]
	v_not_b32_e32 v28, v29
	v_ashrrev_i32_e32 v28, 31, v28
	v_and_b32_e32 v26, exec_hi, v26
	v_xor_b32_e32 v29, vcc_hi, v28
	v_xor_b32_e32 v28, vcc_lo, v28
	v_and_b32_e32 v26, v26, v29
	v_and_b32_e32 v65, v65, v28
	v_lshlrev_b32_e32 v29, 29, v63
	v_mov_b32_e32 v28, v27
	v_cmp_gt_i64_e32 vcc, 0, v[28:29]
	v_not_b32_e32 v28, v29
	v_ashrrev_i32_e32 v28, 31, v28
	v_xor_b32_e32 v29, vcc_hi, v28
	v_xor_b32_e32 v28, vcc_lo, v28
	v_and_b32_e32 v26, v26, v29
	v_and_b32_e32 v65, v65, v28
	v_lshlrev_b32_e32 v29, 28, v63
	v_mov_b32_e32 v28, v27
	v_cmp_gt_i64_e32 vcc, 0, v[28:29]
	v_not_b32_e32 v28, v29
	v_ashrrev_i32_e32 v28, 31, v28
	;; [unrolled: 9-line block ×6, first 2 shown]
	v_xor_b32_e32 v29, vcc_hi, v28
	v_xor_b32_e32 v28, vcc_lo, v28
	ds_read_b32 v61, v64 offset:32
	v_and_b32_e32 v28, v65, v28
	v_and_b32_e32 v29, v26, v29
	v_mbcnt_lo_u32_b32 v26, v28, 0
	v_mbcnt_hi_u32_b32 v63, v29, v26
	v_cmp_eq_u32_e32 vcc, 0, v63
	v_cmp_ne_u64_e64 s[0:1], 0, v[28:29]
	s_and_b64 s[4:5], s[0:1], vcc
	; wave barrier
	s_and_saveexec_b64 s[0:1], s[4:5]
	s_cbranch_execz .LBB1571_125
; %bb.124:
	v_bcnt_u32_b32 v26, v28, 0
	v_bcnt_u32_b32 v26, v29, v26
	s_waitcnt lgkmcnt(0)
	v_add_u32_e32 v26, v61, v26
	ds_write_b32 v64, v26 offset:32
.LBB1571_125:
	s_or_b64 exec, exec, s[0:1]
	s_waitcnt vmcnt(0)
	v_xor_b32_e32 v25, 0x80000000, v25
	v_lshrrev_b64 v[28:29], s20, v[24:25]
	v_and_b32_e32 v65, s14, v28
	v_lshl_add_u32 v26, v65, 3, v65
	v_add_lshl_u32 v66, v42, v26, 2
	v_and_b32_e32 v26, 1, v65
	v_lshl_add_u64 v[28:29], v[26:27], 0, -1
	v_cmp_ne_u32_e32 vcc, 0, v26
	; wave barrier
	s_nop 1
	v_xor_b32_e32 v28, vcc_lo, v28
	v_xor_b32_e32 v26, vcc_hi, v29
	v_and_b32_e32 v68, exec_lo, v28
	v_lshlrev_b32_e32 v29, 30, v65
	v_mov_b32_e32 v28, v27
	v_cmp_gt_i64_e32 vcc, 0, v[28:29]
	v_not_b32_e32 v28, v29
	v_ashrrev_i32_e32 v28, 31, v28
	v_and_b32_e32 v26, exec_hi, v26
	v_xor_b32_e32 v29, vcc_hi, v28
	v_xor_b32_e32 v28, vcc_lo, v28
	v_and_b32_e32 v26, v26, v29
	v_and_b32_e32 v68, v68, v28
	v_lshlrev_b32_e32 v29, 29, v65
	v_mov_b32_e32 v28, v27
	v_cmp_gt_i64_e32 vcc, 0, v[28:29]
	v_not_b32_e32 v28, v29
	v_ashrrev_i32_e32 v28, 31, v28
	v_xor_b32_e32 v29, vcc_hi, v28
	v_xor_b32_e32 v28, vcc_lo, v28
	v_and_b32_e32 v26, v26, v29
	v_and_b32_e32 v68, v68, v28
	v_lshlrev_b32_e32 v29, 28, v65
	v_mov_b32_e32 v28, v27
	v_cmp_gt_i64_e32 vcc, 0, v[28:29]
	v_not_b32_e32 v28, v29
	v_ashrrev_i32_e32 v28, 31, v28
	;; [unrolled: 9-line block ×5, first 2 shown]
	v_xor_b32_e32 v29, vcc_hi, v28
	v_xor_b32_e32 v28, vcc_lo, v28
	v_and_b32_e32 v26, v26, v29
	v_lshlrev_b32_e32 v29, 24, v65
	v_and_b32_e32 v68, v68, v28
	v_mov_b32_e32 v28, v27
	v_not_b32_e32 v27, v29
	v_cmp_gt_i64_e32 vcc, 0, v[28:29]
	v_ashrrev_i32_e32 v27, 31, v27
	ds_read_b32 v42, v66 offset:32
	v_xor_b32_e32 v28, vcc_hi, v27
	v_xor_b32_e32 v29, vcc_lo, v27
	v_and_b32_e32 v27, v26, v28
	v_and_b32_e32 v26, v68, v29
	v_mbcnt_lo_u32_b32 v28, v26, 0
	v_mbcnt_hi_u32_b32 v65, v27, v28
	v_cmp_eq_u32_e32 vcc, 0, v65
	v_cmp_ne_u64_e64 s[0:1], 0, v[26:27]
	v_add_u32_e32 v67, 32, v31
	s_and_b64 s[4:5], s[0:1], vcc
	; wave barrier
	s_and_saveexec_b64 s[0:1], s[4:5]
	s_cbranch_execz .LBB1571_127
; %bb.126:
	v_bcnt_u32_b32 v26, v26, 0
	v_bcnt_u32_b32 v26, v27, v26
	s_waitcnt lgkmcnt(0)
	v_add_u32_e32 v26, v42, v26
	ds_write_b32 v66, v26 offset:32
.LBB1571_127:
	s_or_b64 exec, exec, s[0:1]
	; wave barrier
	s_waitcnt lgkmcnt(0)
	s_barrier
	ds_read2_b32 v[28:29], v31 offset0:8 offset1:9
	ds_read2_b32 v[26:27], v67 offset0:2 offset1:3
	ds_read_b32 v68, v67 offset:16
	v_min_u32_e32 v30, 0x1c0, v30
	v_or_b32_e32 v30, 63, v30
	s_waitcnt lgkmcnt(1)
	v_add3_u32 v69, v29, v28, v26
	s_waitcnt lgkmcnt(0)
	v_add3_u32 v68, v69, v27, v68
	v_and_b32_e32 v69, 15, v3
	v_cmp_ne_u32_e32 vcc, 0, v69
	v_mov_b32_dpp v70, v68 row_shr:1 row_mask:0xf bank_mask:0xf
	s_nop 0
	v_cndmask_b32_e32 v70, 0, v70, vcc
	v_add_u32_e32 v68, v70, v68
	v_cmp_lt_u32_e32 vcc, 1, v69
	s_nop 0
	v_mov_b32_dpp v70, v68 row_shr:2 row_mask:0xf bank_mask:0xf
	v_cndmask_b32_e32 v70, 0, v70, vcc
	v_add_u32_e32 v68, v68, v70
	v_cmp_lt_u32_e32 vcc, 3, v69
	s_nop 0
	v_mov_b32_dpp v70, v68 row_shr:4 row_mask:0xf bank_mask:0xf
	;; [unrolled: 5-line block ×3, first 2 shown]
	v_cndmask_b32_e32 v69, 0, v70, vcc
	v_add_u32_e32 v68, v68, v69
	v_bfe_i32 v70, v3, 4, 1
	v_cmp_lt_u32_e32 vcc, 31, v3
	v_mov_b32_dpp v69, v68 row_bcast:15 row_mask:0xf bank_mask:0xf
	v_and_b32_e32 v69, v70, v69
	v_add_u32_e32 v68, v68, v69
	v_lshrrev_b32_e32 v70, 6, v2
	s_nop 0
	v_mov_b32_dpp v69, v68 row_bcast:31 row_mask:0xf bank_mask:0xf
	v_cndmask_b32_e32 v69, 0, v69, vcc
	v_add_u32_e32 v69, v68, v69
	v_cmp_eq_u32_e32 vcc, v30, v2
	s_and_saveexec_b64 s[0:1], vcc
	s_cbranch_execz .LBB1571_129
; %bb.128:
	v_lshlrev_b32_e32 v30, 2, v70
	ds_write_b32 v30, v69
.LBB1571_129:
	s_or_b64 exec, exec, s[0:1]
	v_cmp_gt_u32_e32 vcc, 8, v2
	v_lshlrev_b32_e32 v68, 2, v2
	s_waitcnt lgkmcnt(0)
	s_barrier
	s_and_saveexec_b64 s[0:1], vcc
	s_cbranch_execz .LBB1571_131
; %bb.130:
	ds_read_b32 v30, v68
	v_and_b32_e32 v71, 7, v3
	v_cmp_ne_u32_e32 vcc, 0, v71
	s_waitcnt lgkmcnt(0)
	v_mov_b32_dpp v72, v30 row_shr:1 row_mask:0xf bank_mask:0xf
	v_cndmask_b32_e32 v72, 0, v72, vcc
	v_add_u32_e32 v30, v72, v30
	v_cmp_lt_u32_e32 vcc, 1, v71
	s_nop 0
	v_mov_b32_dpp v72, v30 row_shr:2 row_mask:0xf bank_mask:0xf
	v_cndmask_b32_e32 v72, 0, v72, vcc
	v_add_u32_e32 v30, v30, v72
	v_cmp_lt_u32_e32 vcc, 3, v71
	s_nop 0
	v_mov_b32_dpp v72, v30 row_shr:4 row_mask:0xf bank_mask:0xf
	v_cndmask_b32_e32 v71, 0, v72, vcc
	v_add_u32_e32 v30, v30, v71
	ds_write_b32 v68, v30
.LBB1571_131:
	s_or_b64 exec, exec, s[0:1]
	v_cmp_lt_u32_e32 vcc, 63, v2
	v_mov_b32_e32 v30, 0
	s_waitcnt lgkmcnt(0)
	s_barrier
	s_and_saveexec_b64 s[0:1], vcc
	s_cbranch_execz .LBB1571_133
; %bb.132:
	v_lshl_add_u32 v30, v70, 2, -4
	ds_read_b32 v30, v30
.LBB1571_133:
	s_or_b64 exec, exec, s[0:1]
	v_add_u32_e32 v70, -1, v3
	v_and_b32_e32 v71, 64, v3
	v_cmp_lt_i32_e32 vcc, v70, v71
	s_waitcnt lgkmcnt(0)
	v_add_u32_e32 v69, v30, v69
	s_movk_i32 s0, 0x100
	v_cndmask_b32_e32 v70, v70, v3, vcc
	v_lshlrev_b32_e32 v70, 2, v70
	ds_bpermute_b32 v69, v70, v69
	v_cmp_eq_u32_e32 vcc, 0, v3
	s_waitcnt lgkmcnt(0)
	s_nop 0
	v_cndmask_b32_e32 v3, v69, v30, vcc
	v_cmp_ne_u32_e32 vcc, 0, v2
	s_nop 1
	v_cndmask_b32_e32 v3, 0, v3, vcc
	v_add_u32_e32 v28, v3, v28
	v_add_u32_e32 v29, v28, v29
	;; [unrolled: 1-line block ×4, first 2 shown]
	ds_write2_b32 v31, v3, v28 offset0:8 offset1:9
	ds_write2_b32 v67, v29, v26 offset0:2 offset1:3
	ds_write_b32 v67, v27 offset:16
	s_waitcnt lgkmcnt(0)
	s_barrier
	ds_read_b32 v74, v35 offset:32
	ds_read_b32 v67, v37 offset:32
	;; [unrolled: 1-line block ×12, first 2 shown]
	v_cmp_gt_u32_e32 vcc, s0, v2
                                        ; implicit-def: $vgpr3
                                        ; implicit-def: $vgpr35
	s_and_saveexec_b64 s[4:5], vcc
	s_cbranch_execz .LBB1571_137
; %bb.134:
	v_mul_u32_u24_e32 v3, 9, v2
	v_lshlrev_b32_e32 v27, 2, v3
	ds_read_b32 v3, v27 offset:32
	s_movk_i32 s0, 0xff
	v_cmp_ne_u32_e64 s[0:1], s0, v2
	v_mov_b32_e32 v26, 0x1800
	s_and_saveexec_b64 s[6:7], s[0:1]
	s_cbranch_execz .LBB1571_136
; %bb.135:
	ds_read_b32 v26, v27 offset:68
.LBB1571_136:
	s_or_b64 exec, exec, s[6:7]
	s_waitcnt lgkmcnt(0)
	v_sub_u32_e32 v35, v26, v3
.LBB1571_137:
	s_or_b64 exec, exec, s[4:5]
	s_waitcnt lgkmcnt(0)
	s_barrier
	s_and_saveexec_b64 s[4:5], vcc
	s_cbranch_execz .LBB1571_147
; %bb.138:
	v_lshl_or_b32 v28, s2, 8, v2
	v_mov_b32_e32 v29, 0
	v_lshl_add_u64 v[26:27], v[28:29], 2, s[28:29]
	v_or_b32_e32 v28, 2.0, v35
	s_mov_b64 s[6:7], 0
	s_brev_b32 s15, 1
	s_mov_b32 s21, s2
	v_mov_b32_e32 v47, 0
	global_store_dword v[26:27], v28, off sc1
                                        ; implicit-def: $sgpr0_sgpr1
	s_branch .LBB1571_141
.LBB1571_139:                           ;   in Loop: Header=BB1571_141 Depth=1
	s_or_b64 exec, exec, s[12:13]
.LBB1571_140:                           ;   in Loop: Header=BB1571_141 Depth=1
	s_or_b64 exec, exec, s[10:11]
	v_and_b32_e32 v30, 0x3fffffff, v53
	v_add_u32_e32 v47, v30, v47
	v_cmp_eq_u32_e64 s[0:1], s15, v28
	s_and_b64 s[10:11], exec, s[0:1]
	s_or_b64 s[6:7], s[10:11], s[6:7]
	s_andn2_b64 exec, exec, s[6:7]
	s_cbranch_execz .LBB1571_146
.LBB1571_141:                           ; =>This Loop Header: Depth=1
                                        ;     Child Loop BB1571_144 Depth 2
	s_or_b64 s[0:1], s[0:1], exec
	s_cmp_eq_u32 s21, 0
	s_cbranch_scc1 .LBB1571_145
; %bb.142:                              ;   in Loop: Header=BB1571_141 Depth=1
	s_add_i32 s21, s21, -1
	v_lshl_or_b32 v28, s21, 8, v2
	v_lshl_add_u64 v[30:31], v[28:29], 2, s[28:29]
	global_load_dword v53, v[30:31], off sc1
	s_waitcnt vmcnt(0)
	v_and_b32_e32 v28, -2.0, v53
	v_cmp_eq_u32_e64 s[0:1], 0, v28
	s_and_saveexec_b64 s[10:11], s[0:1]
	s_cbranch_execz .LBB1571_140
; %bb.143:                              ;   in Loop: Header=BB1571_141 Depth=1
	s_mov_b64 s[12:13], 0
.LBB1571_144:                           ;   Parent Loop BB1571_141 Depth=1
                                        ; =>  This Inner Loop Header: Depth=2
	global_load_dword v53, v[30:31], off sc1
	s_waitcnt vmcnt(0)
	v_and_b32_e32 v28, -2.0, v53
	v_cmp_ne_u32_e64 s[0:1], 0, v28
	s_or_b64 s[12:13], s[0:1], s[12:13]
	s_andn2_b64 exec, exec, s[12:13]
	s_cbranch_execnz .LBB1571_144
	s_branch .LBB1571_139
.LBB1571_145:                           ;   in Loop: Header=BB1571_141 Depth=1
                                        ; implicit-def: $sgpr21
	s_and_b64 s[10:11], exec, s[0:1]
	s_or_b64 s[6:7], s[10:11], s[6:7]
	s_andn2_b64 exec, exec, s[6:7]
	s_cbranch_execnz .LBB1571_141
.LBB1571_146:
	s_or_b64 exec, exec, s[6:7]
	v_add_u32_e32 v28, v47, v35
	v_or_b32_e32 v28, 0x80000000, v28
	global_store_dword v[26:27], v28, off sc1
	global_load_dword v26, v68, s[16:17]
	v_sub_u32_e32 v27, v47, v3
	s_waitcnt vmcnt(0)
	v_add_u32_e32 v26, v27, v26
	ds_write_b32 v68, v26
.LBB1571_147:
	s_or_b64 exec, exec, s[4:5]
	v_add_u32_e32 v28, v74, v33
	v_add3_u32 v26, v34, v32, v67
	v_add3_u32 v27, v38, v36, v69
	;; [unrolled: 1-line block ×11, first 2 shown]
	v_lshlrev_b32_e32 v29, 3, v2
	v_mov_b32_e32 v75, 0x400
	s_movk_i32 s6, 0x400
	v_add_u32_e32 v30, 0x400, v29
	v_lshl_add_u32 v31, v31, 3, v75
	v_add3_u32 v33, v65, v37, v42
	v_lshl_add_u32 v37, v74, 3, v75
	v_add3_u32 v40, v63, v40, v61
	;; [unrolled: 2-line block ×11, first 2 shown]
	v_lshl_add_u32 v34, v28, 3, v75
	s_mov_b32 s7, 0
	s_movk_i32 s10, 0x200
	v_mov_b32_e32 v27, 0
	v_mov_b32_e32 v55, v2
	s_mov_b32 s11, 0
	s_branch .LBB1571_149
.LBB1571_148:                           ;   in Loop: Header=BB1571_149 Depth=1
	s_or_b64 exec, exec, s[4:5]
	s_waitcnt lgkmcnt(0)
	s_barrier
	ds_read_b64 v[56:57], v29 offset:1024
	ds_read_b64 v[58:59], v30 offset:4096
	s_addk_i32 s11, 0xe000
	s_addk_i32 s7, 0xfc00
	s_cmp_eq_u32 s11, 0xffff4000
	s_waitcnt lgkmcnt(1)
	v_lshrrev_b64 v[60:61], s20, v[56:57]
	v_and_b32_e32 v26, s14, v60
	s_waitcnt lgkmcnt(0)
	v_lshrrev_b64 v[60:61], s20, v[58:59]
	v_lshlrev_b32_e32 v26, 2, v26
	v_and_b32_e32 v60, s14, v60
	ds_read_b32 v26, v26
	v_lshlrev_b32_e32 v60, 2, v60
	ds_read_b32 v62, v60
	v_xor_b32_e32 v57, 0x80000000, v57
	v_xor_b32_e32 v59, 0x80000000, v59
	s_waitcnt lgkmcnt(1)
	v_add_u32_e32 v26, v55, v26
	v_lshl_add_u64 v[60:61], v[26:27], 3, s[26:27]
	s_waitcnt lgkmcnt(0)
	v_add3_u32 v26, v55, v62, s10
	global_store_dwordx2 v[60:61], v[56:57], off
	v_lshl_add_u64 v[56:57], v[26:27], 3, s[26:27]
	v_add_u32_e32 v55, 0x400, v55
	global_store_dwordx2 v[56:57], v[58:59], off
	s_barrier
	s_cbranch_scc1 .LBB1571_173
.LBB1571_149:                           ; =>This Inner Loop Header: Depth=1
	v_add_u32_e32 v26, s7, v28
	v_cmp_gt_u32_e64 s[0:1], s6, v26
	s_and_saveexec_b64 s[4:5], s[0:1]
	s_cbranch_execz .LBB1571_151
; %bb.150:                              ;   in Loop: Header=BB1571_149 Depth=1
	v_add_u32_e32 v26, s11, v34
	ds_write_b64 v26, v[4:5]
.LBB1571_151:                           ;   in Loop: Header=BB1571_149 Depth=1
	s_or_b64 exec, exec, s[4:5]
	v_add_u32_e32 v26, s7, v32
	v_cmp_gt_u32_e64 s[0:1], s6, v26
	s_and_saveexec_b64 s[4:5], s[0:1]
	s_cbranch_execz .LBB1571_153
; %bb.152:                              ;   in Loop: Header=BB1571_149 Depth=1
	v_add_u32_e32 v26, s11, v38
	ds_write_b64 v26, v[0:1]
.LBB1571_153:                           ;   in Loop: Header=BB1571_149 Depth=1
	s_or_b64 exec, exec, s[4:5]
	;; [unrolled: 9-line block ×11, first 2 shown]
	v_add_u32_e32 v26, s7, v33
	v_cmp_gt_u32_e64 s[0:1], s6, v26
	s_and_saveexec_b64 s[4:5], s[0:1]
	s_cbranch_execz .LBB1571_148
; %bb.172:                              ;   in Loop: Header=BB1571_149 Depth=1
	v_add_u32_e32 v26, s11, v31
	ds_write_b64 v26, v[24:25]
	s_branch .LBB1571_148
.LBB1571_173:
	s_add_i32 s3, s3, -1
	s_cmp_eq_u32 s3, s2
	s_cselect_b64 s[0:1], -1, 0
	s_and_b64 s[2:3], vcc, s[0:1]
                                        ; implicit-def: $vgpr4
	s_and_saveexec_b64 s[0:1], s[2:3]
; %bb.174:
	v_add_u32_e32 v4, v3, v35
	s_or_b64 s[8:9], s[8:9], exec
; %bb.175:
	s_or_b64 exec, exec, s[0:1]
.LBB1571_176:
	s_and_saveexec_b64 s[0:1], s[8:9]
	s_cbranch_execnz .LBB1571_178
; %bb.177:
	s_endpgm
.LBB1571_178:
	v_lshlrev_b32_e32 v0, 2, v2
	ds_read_b32 v5, v0
	v_mov_b32_e32 v0, s18
	v_mov_b32_e32 v1, s19
	;; [unrolled: 1-line block ×3, first 2 shown]
	v_lshl_add_u64 v[0:1], v[2:3], 2, v[0:1]
	s_waitcnt lgkmcnt(0)
	v_add_u32_e32 v2, v5, v4
	global_store_dword v[0:1], v2, off
	s_endpgm
	.section	.rodata,"a",@progbits
	.p2align	6, 0x0
	.amdhsa_kernel _ZN7rocprim17ROCPRIM_400000_NS6detail17trampoline_kernelINS0_14default_configENS1_35radix_sort_onesweep_config_selectorIxNS0_10empty_typeEEEZZNS1_29radix_sort_onesweep_iterationIS3_Lb0EN6thrust23THRUST_200600_302600_NS6detail15normal_iteratorINS9_10device_ptrIxEEEESE_PS5_SF_jNS0_19identity_decomposerENS1_16block_id_wrapperIjLb0EEEEE10hipError_tT1_PNSt15iterator_traitsISK_E10value_typeET2_T3_PNSL_ISQ_E10value_typeET4_T5_PSV_SW_PNS1_23onesweep_lookback_stateEbbT6_jjT7_P12ihipStream_tbENKUlT_T0_SK_SP_E_clISE_SE_SF_SF_EEDaS13_S14_SK_SP_EUlS13_E_NS1_11comp_targetILNS1_3genE5ELNS1_11target_archE942ELNS1_3gpuE9ELNS1_3repE0EEENS1_47radix_sort_onesweep_sort_config_static_selectorELNS0_4arch9wavefront6targetE1EEEvSK_
		.amdhsa_group_segment_fixed_size 10280
		.amdhsa_private_segment_fixed_size 0
		.amdhsa_kernarg_size 344
		.amdhsa_user_sgpr_count 2
		.amdhsa_user_sgpr_dispatch_ptr 0
		.amdhsa_user_sgpr_queue_ptr 0
		.amdhsa_user_sgpr_kernarg_segment_ptr 1
		.amdhsa_user_sgpr_dispatch_id 0
		.amdhsa_user_sgpr_kernarg_preload_length 0
		.amdhsa_user_sgpr_kernarg_preload_offset 0
		.amdhsa_user_sgpr_private_segment_size 0
		.amdhsa_uses_dynamic_stack 0
		.amdhsa_enable_private_segment 0
		.amdhsa_system_sgpr_workgroup_id_x 1
		.amdhsa_system_sgpr_workgroup_id_y 0
		.amdhsa_system_sgpr_workgroup_id_z 0
		.amdhsa_system_sgpr_workgroup_info 0
		.amdhsa_system_vgpr_workitem_id 2
		.amdhsa_next_free_vgpr 78
		.amdhsa_next_free_sgpr 32
		.amdhsa_accum_offset 80
		.amdhsa_reserve_vcc 1
		.amdhsa_float_round_mode_32 0
		.amdhsa_float_round_mode_16_64 0
		.amdhsa_float_denorm_mode_32 3
		.amdhsa_float_denorm_mode_16_64 3
		.amdhsa_dx10_clamp 1
		.amdhsa_ieee_mode 1
		.amdhsa_fp16_overflow 0
		.amdhsa_tg_split 0
		.amdhsa_exception_fp_ieee_invalid_op 0
		.amdhsa_exception_fp_denorm_src 0
		.amdhsa_exception_fp_ieee_div_zero 0
		.amdhsa_exception_fp_ieee_overflow 0
		.amdhsa_exception_fp_ieee_underflow 0
		.amdhsa_exception_fp_ieee_inexact 0
		.amdhsa_exception_int_div_zero 0
	.end_amdhsa_kernel
	.section	.text._ZN7rocprim17ROCPRIM_400000_NS6detail17trampoline_kernelINS0_14default_configENS1_35radix_sort_onesweep_config_selectorIxNS0_10empty_typeEEEZZNS1_29radix_sort_onesweep_iterationIS3_Lb0EN6thrust23THRUST_200600_302600_NS6detail15normal_iteratorINS9_10device_ptrIxEEEESE_PS5_SF_jNS0_19identity_decomposerENS1_16block_id_wrapperIjLb0EEEEE10hipError_tT1_PNSt15iterator_traitsISK_E10value_typeET2_T3_PNSL_ISQ_E10value_typeET4_T5_PSV_SW_PNS1_23onesweep_lookback_stateEbbT6_jjT7_P12ihipStream_tbENKUlT_T0_SK_SP_E_clISE_SE_SF_SF_EEDaS13_S14_SK_SP_EUlS13_E_NS1_11comp_targetILNS1_3genE5ELNS1_11target_archE942ELNS1_3gpuE9ELNS1_3repE0EEENS1_47radix_sort_onesweep_sort_config_static_selectorELNS0_4arch9wavefront6targetE1EEEvSK_,"axG",@progbits,_ZN7rocprim17ROCPRIM_400000_NS6detail17trampoline_kernelINS0_14default_configENS1_35radix_sort_onesweep_config_selectorIxNS0_10empty_typeEEEZZNS1_29radix_sort_onesweep_iterationIS3_Lb0EN6thrust23THRUST_200600_302600_NS6detail15normal_iteratorINS9_10device_ptrIxEEEESE_PS5_SF_jNS0_19identity_decomposerENS1_16block_id_wrapperIjLb0EEEEE10hipError_tT1_PNSt15iterator_traitsISK_E10value_typeET2_T3_PNSL_ISQ_E10value_typeET4_T5_PSV_SW_PNS1_23onesweep_lookback_stateEbbT6_jjT7_P12ihipStream_tbENKUlT_T0_SK_SP_E_clISE_SE_SF_SF_EEDaS13_S14_SK_SP_EUlS13_E_NS1_11comp_targetILNS1_3genE5ELNS1_11target_archE942ELNS1_3gpuE9ELNS1_3repE0EEENS1_47radix_sort_onesweep_sort_config_static_selectorELNS0_4arch9wavefront6targetE1EEEvSK_,comdat
.Lfunc_end1571:
	.size	_ZN7rocprim17ROCPRIM_400000_NS6detail17trampoline_kernelINS0_14default_configENS1_35radix_sort_onesweep_config_selectorIxNS0_10empty_typeEEEZZNS1_29radix_sort_onesweep_iterationIS3_Lb0EN6thrust23THRUST_200600_302600_NS6detail15normal_iteratorINS9_10device_ptrIxEEEESE_PS5_SF_jNS0_19identity_decomposerENS1_16block_id_wrapperIjLb0EEEEE10hipError_tT1_PNSt15iterator_traitsISK_E10value_typeET2_T3_PNSL_ISQ_E10value_typeET4_T5_PSV_SW_PNS1_23onesweep_lookback_stateEbbT6_jjT7_P12ihipStream_tbENKUlT_T0_SK_SP_E_clISE_SE_SF_SF_EEDaS13_S14_SK_SP_EUlS13_E_NS1_11comp_targetILNS1_3genE5ELNS1_11target_archE942ELNS1_3gpuE9ELNS1_3repE0EEENS1_47radix_sort_onesweep_sort_config_static_selectorELNS0_4arch9wavefront6targetE1EEEvSK_, .Lfunc_end1571-_ZN7rocprim17ROCPRIM_400000_NS6detail17trampoline_kernelINS0_14default_configENS1_35radix_sort_onesweep_config_selectorIxNS0_10empty_typeEEEZZNS1_29radix_sort_onesweep_iterationIS3_Lb0EN6thrust23THRUST_200600_302600_NS6detail15normal_iteratorINS9_10device_ptrIxEEEESE_PS5_SF_jNS0_19identity_decomposerENS1_16block_id_wrapperIjLb0EEEEE10hipError_tT1_PNSt15iterator_traitsISK_E10value_typeET2_T3_PNSL_ISQ_E10value_typeET4_T5_PSV_SW_PNS1_23onesweep_lookback_stateEbbT6_jjT7_P12ihipStream_tbENKUlT_T0_SK_SP_E_clISE_SE_SF_SF_EEDaS13_S14_SK_SP_EUlS13_E_NS1_11comp_targetILNS1_3genE5ELNS1_11target_archE942ELNS1_3gpuE9ELNS1_3repE0EEENS1_47radix_sort_onesweep_sort_config_static_selectorELNS0_4arch9wavefront6targetE1EEEvSK_
                                        ; -- End function
	.section	.AMDGPU.csdata,"",@progbits
; Kernel info:
; codeLenInByte = 15160
; NumSgprs: 38
; NumVgprs: 78
; NumAgprs: 0
; TotalNumVgprs: 78
; ScratchSize: 0
; MemoryBound: 0
; FloatMode: 240
; IeeeMode: 1
; LDSByteSize: 10280 bytes/workgroup (compile time only)
; SGPRBlocks: 4
; VGPRBlocks: 9
; NumSGPRsForWavesPerEU: 38
; NumVGPRsForWavesPerEU: 78
; AccumOffset: 80
; Occupancy: 6
; WaveLimiterHint : 1
; COMPUTE_PGM_RSRC2:SCRATCH_EN: 0
; COMPUTE_PGM_RSRC2:USER_SGPR: 2
; COMPUTE_PGM_RSRC2:TRAP_HANDLER: 0
; COMPUTE_PGM_RSRC2:TGID_X_EN: 1
; COMPUTE_PGM_RSRC2:TGID_Y_EN: 0
; COMPUTE_PGM_RSRC2:TGID_Z_EN: 0
; COMPUTE_PGM_RSRC2:TIDIG_COMP_CNT: 2
; COMPUTE_PGM_RSRC3_GFX90A:ACCUM_OFFSET: 19
; COMPUTE_PGM_RSRC3_GFX90A:TG_SPLIT: 0
	.section	.text._ZN7rocprim17ROCPRIM_400000_NS6detail17trampoline_kernelINS0_14default_configENS1_35radix_sort_onesweep_config_selectorIxNS0_10empty_typeEEEZZNS1_29radix_sort_onesweep_iterationIS3_Lb0EN6thrust23THRUST_200600_302600_NS6detail15normal_iteratorINS9_10device_ptrIxEEEESE_PS5_SF_jNS0_19identity_decomposerENS1_16block_id_wrapperIjLb0EEEEE10hipError_tT1_PNSt15iterator_traitsISK_E10value_typeET2_T3_PNSL_ISQ_E10value_typeET4_T5_PSV_SW_PNS1_23onesweep_lookback_stateEbbT6_jjT7_P12ihipStream_tbENKUlT_T0_SK_SP_E_clISE_SE_SF_SF_EEDaS13_S14_SK_SP_EUlS13_E_NS1_11comp_targetILNS1_3genE2ELNS1_11target_archE906ELNS1_3gpuE6ELNS1_3repE0EEENS1_47radix_sort_onesweep_sort_config_static_selectorELNS0_4arch9wavefront6targetE1EEEvSK_,"axG",@progbits,_ZN7rocprim17ROCPRIM_400000_NS6detail17trampoline_kernelINS0_14default_configENS1_35radix_sort_onesweep_config_selectorIxNS0_10empty_typeEEEZZNS1_29radix_sort_onesweep_iterationIS3_Lb0EN6thrust23THRUST_200600_302600_NS6detail15normal_iteratorINS9_10device_ptrIxEEEESE_PS5_SF_jNS0_19identity_decomposerENS1_16block_id_wrapperIjLb0EEEEE10hipError_tT1_PNSt15iterator_traitsISK_E10value_typeET2_T3_PNSL_ISQ_E10value_typeET4_T5_PSV_SW_PNS1_23onesweep_lookback_stateEbbT6_jjT7_P12ihipStream_tbENKUlT_T0_SK_SP_E_clISE_SE_SF_SF_EEDaS13_S14_SK_SP_EUlS13_E_NS1_11comp_targetILNS1_3genE2ELNS1_11target_archE906ELNS1_3gpuE6ELNS1_3repE0EEENS1_47radix_sort_onesweep_sort_config_static_selectorELNS0_4arch9wavefront6targetE1EEEvSK_,comdat
	.protected	_ZN7rocprim17ROCPRIM_400000_NS6detail17trampoline_kernelINS0_14default_configENS1_35radix_sort_onesweep_config_selectorIxNS0_10empty_typeEEEZZNS1_29radix_sort_onesweep_iterationIS3_Lb0EN6thrust23THRUST_200600_302600_NS6detail15normal_iteratorINS9_10device_ptrIxEEEESE_PS5_SF_jNS0_19identity_decomposerENS1_16block_id_wrapperIjLb0EEEEE10hipError_tT1_PNSt15iterator_traitsISK_E10value_typeET2_T3_PNSL_ISQ_E10value_typeET4_T5_PSV_SW_PNS1_23onesweep_lookback_stateEbbT6_jjT7_P12ihipStream_tbENKUlT_T0_SK_SP_E_clISE_SE_SF_SF_EEDaS13_S14_SK_SP_EUlS13_E_NS1_11comp_targetILNS1_3genE2ELNS1_11target_archE906ELNS1_3gpuE6ELNS1_3repE0EEENS1_47radix_sort_onesweep_sort_config_static_selectorELNS0_4arch9wavefront6targetE1EEEvSK_ ; -- Begin function _ZN7rocprim17ROCPRIM_400000_NS6detail17trampoline_kernelINS0_14default_configENS1_35radix_sort_onesweep_config_selectorIxNS0_10empty_typeEEEZZNS1_29radix_sort_onesweep_iterationIS3_Lb0EN6thrust23THRUST_200600_302600_NS6detail15normal_iteratorINS9_10device_ptrIxEEEESE_PS5_SF_jNS0_19identity_decomposerENS1_16block_id_wrapperIjLb0EEEEE10hipError_tT1_PNSt15iterator_traitsISK_E10value_typeET2_T3_PNSL_ISQ_E10value_typeET4_T5_PSV_SW_PNS1_23onesweep_lookback_stateEbbT6_jjT7_P12ihipStream_tbENKUlT_T0_SK_SP_E_clISE_SE_SF_SF_EEDaS13_S14_SK_SP_EUlS13_E_NS1_11comp_targetILNS1_3genE2ELNS1_11target_archE906ELNS1_3gpuE6ELNS1_3repE0EEENS1_47radix_sort_onesweep_sort_config_static_selectorELNS0_4arch9wavefront6targetE1EEEvSK_
	.globl	_ZN7rocprim17ROCPRIM_400000_NS6detail17trampoline_kernelINS0_14default_configENS1_35radix_sort_onesweep_config_selectorIxNS0_10empty_typeEEEZZNS1_29radix_sort_onesweep_iterationIS3_Lb0EN6thrust23THRUST_200600_302600_NS6detail15normal_iteratorINS9_10device_ptrIxEEEESE_PS5_SF_jNS0_19identity_decomposerENS1_16block_id_wrapperIjLb0EEEEE10hipError_tT1_PNSt15iterator_traitsISK_E10value_typeET2_T3_PNSL_ISQ_E10value_typeET4_T5_PSV_SW_PNS1_23onesweep_lookback_stateEbbT6_jjT7_P12ihipStream_tbENKUlT_T0_SK_SP_E_clISE_SE_SF_SF_EEDaS13_S14_SK_SP_EUlS13_E_NS1_11comp_targetILNS1_3genE2ELNS1_11target_archE906ELNS1_3gpuE6ELNS1_3repE0EEENS1_47radix_sort_onesweep_sort_config_static_selectorELNS0_4arch9wavefront6targetE1EEEvSK_
	.p2align	8
	.type	_ZN7rocprim17ROCPRIM_400000_NS6detail17trampoline_kernelINS0_14default_configENS1_35radix_sort_onesweep_config_selectorIxNS0_10empty_typeEEEZZNS1_29radix_sort_onesweep_iterationIS3_Lb0EN6thrust23THRUST_200600_302600_NS6detail15normal_iteratorINS9_10device_ptrIxEEEESE_PS5_SF_jNS0_19identity_decomposerENS1_16block_id_wrapperIjLb0EEEEE10hipError_tT1_PNSt15iterator_traitsISK_E10value_typeET2_T3_PNSL_ISQ_E10value_typeET4_T5_PSV_SW_PNS1_23onesweep_lookback_stateEbbT6_jjT7_P12ihipStream_tbENKUlT_T0_SK_SP_E_clISE_SE_SF_SF_EEDaS13_S14_SK_SP_EUlS13_E_NS1_11comp_targetILNS1_3genE2ELNS1_11target_archE906ELNS1_3gpuE6ELNS1_3repE0EEENS1_47radix_sort_onesweep_sort_config_static_selectorELNS0_4arch9wavefront6targetE1EEEvSK_,@function
_ZN7rocprim17ROCPRIM_400000_NS6detail17trampoline_kernelINS0_14default_configENS1_35radix_sort_onesweep_config_selectorIxNS0_10empty_typeEEEZZNS1_29radix_sort_onesweep_iterationIS3_Lb0EN6thrust23THRUST_200600_302600_NS6detail15normal_iteratorINS9_10device_ptrIxEEEESE_PS5_SF_jNS0_19identity_decomposerENS1_16block_id_wrapperIjLb0EEEEE10hipError_tT1_PNSt15iterator_traitsISK_E10value_typeET2_T3_PNSL_ISQ_E10value_typeET4_T5_PSV_SW_PNS1_23onesweep_lookback_stateEbbT6_jjT7_P12ihipStream_tbENKUlT_T0_SK_SP_E_clISE_SE_SF_SF_EEDaS13_S14_SK_SP_EUlS13_E_NS1_11comp_targetILNS1_3genE2ELNS1_11target_archE906ELNS1_3gpuE6ELNS1_3repE0EEENS1_47radix_sort_onesweep_sort_config_static_selectorELNS0_4arch9wavefront6targetE1EEEvSK_: ; @_ZN7rocprim17ROCPRIM_400000_NS6detail17trampoline_kernelINS0_14default_configENS1_35radix_sort_onesweep_config_selectorIxNS0_10empty_typeEEEZZNS1_29radix_sort_onesweep_iterationIS3_Lb0EN6thrust23THRUST_200600_302600_NS6detail15normal_iteratorINS9_10device_ptrIxEEEESE_PS5_SF_jNS0_19identity_decomposerENS1_16block_id_wrapperIjLb0EEEEE10hipError_tT1_PNSt15iterator_traitsISK_E10value_typeET2_T3_PNSL_ISQ_E10value_typeET4_T5_PSV_SW_PNS1_23onesweep_lookback_stateEbbT6_jjT7_P12ihipStream_tbENKUlT_T0_SK_SP_E_clISE_SE_SF_SF_EEDaS13_S14_SK_SP_EUlS13_E_NS1_11comp_targetILNS1_3genE2ELNS1_11target_archE906ELNS1_3gpuE6ELNS1_3repE0EEENS1_47radix_sort_onesweep_sort_config_static_selectorELNS0_4arch9wavefront6targetE1EEEvSK_
; %bb.0:
	.section	.rodata,"a",@progbits
	.p2align	6, 0x0
	.amdhsa_kernel _ZN7rocprim17ROCPRIM_400000_NS6detail17trampoline_kernelINS0_14default_configENS1_35radix_sort_onesweep_config_selectorIxNS0_10empty_typeEEEZZNS1_29radix_sort_onesweep_iterationIS3_Lb0EN6thrust23THRUST_200600_302600_NS6detail15normal_iteratorINS9_10device_ptrIxEEEESE_PS5_SF_jNS0_19identity_decomposerENS1_16block_id_wrapperIjLb0EEEEE10hipError_tT1_PNSt15iterator_traitsISK_E10value_typeET2_T3_PNSL_ISQ_E10value_typeET4_T5_PSV_SW_PNS1_23onesweep_lookback_stateEbbT6_jjT7_P12ihipStream_tbENKUlT_T0_SK_SP_E_clISE_SE_SF_SF_EEDaS13_S14_SK_SP_EUlS13_E_NS1_11comp_targetILNS1_3genE2ELNS1_11target_archE906ELNS1_3gpuE6ELNS1_3repE0EEENS1_47radix_sort_onesweep_sort_config_static_selectorELNS0_4arch9wavefront6targetE1EEEvSK_
		.amdhsa_group_segment_fixed_size 0
		.amdhsa_private_segment_fixed_size 0
		.amdhsa_kernarg_size 88
		.amdhsa_user_sgpr_count 2
		.amdhsa_user_sgpr_dispatch_ptr 0
		.amdhsa_user_sgpr_queue_ptr 0
		.amdhsa_user_sgpr_kernarg_segment_ptr 1
		.amdhsa_user_sgpr_dispatch_id 0
		.amdhsa_user_sgpr_kernarg_preload_length 0
		.amdhsa_user_sgpr_kernarg_preload_offset 0
		.amdhsa_user_sgpr_private_segment_size 0
		.amdhsa_uses_dynamic_stack 0
		.amdhsa_enable_private_segment 0
		.amdhsa_system_sgpr_workgroup_id_x 1
		.amdhsa_system_sgpr_workgroup_id_y 0
		.amdhsa_system_sgpr_workgroup_id_z 0
		.amdhsa_system_sgpr_workgroup_info 0
		.amdhsa_system_vgpr_workitem_id 0
		.amdhsa_next_free_vgpr 1
		.amdhsa_next_free_sgpr 0
		.amdhsa_accum_offset 4
		.amdhsa_reserve_vcc 0
		.amdhsa_float_round_mode_32 0
		.amdhsa_float_round_mode_16_64 0
		.amdhsa_float_denorm_mode_32 3
		.amdhsa_float_denorm_mode_16_64 3
		.amdhsa_dx10_clamp 1
		.amdhsa_ieee_mode 1
		.amdhsa_fp16_overflow 0
		.amdhsa_tg_split 0
		.amdhsa_exception_fp_ieee_invalid_op 0
		.amdhsa_exception_fp_denorm_src 0
		.amdhsa_exception_fp_ieee_div_zero 0
		.amdhsa_exception_fp_ieee_overflow 0
		.amdhsa_exception_fp_ieee_underflow 0
		.amdhsa_exception_fp_ieee_inexact 0
		.amdhsa_exception_int_div_zero 0
	.end_amdhsa_kernel
	.section	.text._ZN7rocprim17ROCPRIM_400000_NS6detail17trampoline_kernelINS0_14default_configENS1_35radix_sort_onesweep_config_selectorIxNS0_10empty_typeEEEZZNS1_29radix_sort_onesweep_iterationIS3_Lb0EN6thrust23THRUST_200600_302600_NS6detail15normal_iteratorINS9_10device_ptrIxEEEESE_PS5_SF_jNS0_19identity_decomposerENS1_16block_id_wrapperIjLb0EEEEE10hipError_tT1_PNSt15iterator_traitsISK_E10value_typeET2_T3_PNSL_ISQ_E10value_typeET4_T5_PSV_SW_PNS1_23onesweep_lookback_stateEbbT6_jjT7_P12ihipStream_tbENKUlT_T0_SK_SP_E_clISE_SE_SF_SF_EEDaS13_S14_SK_SP_EUlS13_E_NS1_11comp_targetILNS1_3genE2ELNS1_11target_archE906ELNS1_3gpuE6ELNS1_3repE0EEENS1_47radix_sort_onesweep_sort_config_static_selectorELNS0_4arch9wavefront6targetE1EEEvSK_,"axG",@progbits,_ZN7rocprim17ROCPRIM_400000_NS6detail17trampoline_kernelINS0_14default_configENS1_35radix_sort_onesweep_config_selectorIxNS0_10empty_typeEEEZZNS1_29radix_sort_onesweep_iterationIS3_Lb0EN6thrust23THRUST_200600_302600_NS6detail15normal_iteratorINS9_10device_ptrIxEEEESE_PS5_SF_jNS0_19identity_decomposerENS1_16block_id_wrapperIjLb0EEEEE10hipError_tT1_PNSt15iterator_traitsISK_E10value_typeET2_T3_PNSL_ISQ_E10value_typeET4_T5_PSV_SW_PNS1_23onesweep_lookback_stateEbbT6_jjT7_P12ihipStream_tbENKUlT_T0_SK_SP_E_clISE_SE_SF_SF_EEDaS13_S14_SK_SP_EUlS13_E_NS1_11comp_targetILNS1_3genE2ELNS1_11target_archE906ELNS1_3gpuE6ELNS1_3repE0EEENS1_47radix_sort_onesweep_sort_config_static_selectorELNS0_4arch9wavefront6targetE1EEEvSK_,comdat
.Lfunc_end1572:
	.size	_ZN7rocprim17ROCPRIM_400000_NS6detail17trampoline_kernelINS0_14default_configENS1_35radix_sort_onesweep_config_selectorIxNS0_10empty_typeEEEZZNS1_29radix_sort_onesweep_iterationIS3_Lb0EN6thrust23THRUST_200600_302600_NS6detail15normal_iteratorINS9_10device_ptrIxEEEESE_PS5_SF_jNS0_19identity_decomposerENS1_16block_id_wrapperIjLb0EEEEE10hipError_tT1_PNSt15iterator_traitsISK_E10value_typeET2_T3_PNSL_ISQ_E10value_typeET4_T5_PSV_SW_PNS1_23onesweep_lookback_stateEbbT6_jjT7_P12ihipStream_tbENKUlT_T0_SK_SP_E_clISE_SE_SF_SF_EEDaS13_S14_SK_SP_EUlS13_E_NS1_11comp_targetILNS1_3genE2ELNS1_11target_archE906ELNS1_3gpuE6ELNS1_3repE0EEENS1_47radix_sort_onesweep_sort_config_static_selectorELNS0_4arch9wavefront6targetE1EEEvSK_, .Lfunc_end1572-_ZN7rocprim17ROCPRIM_400000_NS6detail17trampoline_kernelINS0_14default_configENS1_35radix_sort_onesweep_config_selectorIxNS0_10empty_typeEEEZZNS1_29radix_sort_onesweep_iterationIS3_Lb0EN6thrust23THRUST_200600_302600_NS6detail15normal_iteratorINS9_10device_ptrIxEEEESE_PS5_SF_jNS0_19identity_decomposerENS1_16block_id_wrapperIjLb0EEEEE10hipError_tT1_PNSt15iterator_traitsISK_E10value_typeET2_T3_PNSL_ISQ_E10value_typeET4_T5_PSV_SW_PNS1_23onesweep_lookback_stateEbbT6_jjT7_P12ihipStream_tbENKUlT_T0_SK_SP_E_clISE_SE_SF_SF_EEDaS13_S14_SK_SP_EUlS13_E_NS1_11comp_targetILNS1_3genE2ELNS1_11target_archE906ELNS1_3gpuE6ELNS1_3repE0EEENS1_47radix_sort_onesweep_sort_config_static_selectorELNS0_4arch9wavefront6targetE1EEEvSK_
                                        ; -- End function
	.section	.AMDGPU.csdata,"",@progbits
; Kernel info:
; codeLenInByte = 0
; NumSgprs: 6
; NumVgprs: 0
; NumAgprs: 0
; TotalNumVgprs: 0
; ScratchSize: 0
; MemoryBound: 0
; FloatMode: 240
; IeeeMode: 1
; LDSByteSize: 0 bytes/workgroup (compile time only)
; SGPRBlocks: 0
; VGPRBlocks: 0
; NumSGPRsForWavesPerEU: 6
; NumVGPRsForWavesPerEU: 1
; AccumOffset: 4
; Occupancy: 8
; WaveLimiterHint : 0
; COMPUTE_PGM_RSRC2:SCRATCH_EN: 0
; COMPUTE_PGM_RSRC2:USER_SGPR: 2
; COMPUTE_PGM_RSRC2:TRAP_HANDLER: 0
; COMPUTE_PGM_RSRC2:TGID_X_EN: 1
; COMPUTE_PGM_RSRC2:TGID_Y_EN: 0
; COMPUTE_PGM_RSRC2:TGID_Z_EN: 0
; COMPUTE_PGM_RSRC2:TIDIG_COMP_CNT: 0
; COMPUTE_PGM_RSRC3_GFX90A:ACCUM_OFFSET: 0
; COMPUTE_PGM_RSRC3_GFX90A:TG_SPLIT: 0
	.section	.text._ZN7rocprim17ROCPRIM_400000_NS6detail17trampoline_kernelINS0_14default_configENS1_35radix_sort_onesweep_config_selectorIxNS0_10empty_typeEEEZZNS1_29radix_sort_onesweep_iterationIS3_Lb0EN6thrust23THRUST_200600_302600_NS6detail15normal_iteratorINS9_10device_ptrIxEEEESE_PS5_SF_jNS0_19identity_decomposerENS1_16block_id_wrapperIjLb0EEEEE10hipError_tT1_PNSt15iterator_traitsISK_E10value_typeET2_T3_PNSL_ISQ_E10value_typeET4_T5_PSV_SW_PNS1_23onesweep_lookback_stateEbbT6_jjT7_P12ihipStream_tbENKUlT_T0_SK_SP_E_clISE_SE_SF_SF_EEDaS13_S14_SK_SP_EUlS13_E_NS1_11comp_targetILNS1_3genE4ELNS1_11target_archE910ELNS1_3gpuE8ELNS1_3repE0EEENS1_47radix_sort_onesweep_sort_config_static_selectorELNS0_4arch9wavefront6targetE1EEEvSK_,"axG",@progbits,_ZN7rocprim17ROCPRIM_400000_NS6detail17trampoline_kernelINS0_14default_configENS1_35radix_sort_onesweep_config_selectorIxNS0_10empty_typeEEEZZNS1_29radix_sort_onesweep_iterationIS3_Lb0EN6thrust23THRUST_200600_302600_NS6detail15normal_iteratorINS9_10device_ptrIxEEEESE_PS5_SF_jNS0_19identity_decomposerENS1_16block_id_wrapperIjLb0EEEEE10hipError_tT1_PNSt15iterator_traitsISK_E10value_typeET2_T3_PNSL_ISQ_E10value_typeET4_T5_PSV_SW_PNS1_23onesweep_lookback_stateEbbT6_jjT7_P12ihipStream_tbENKUlT_T0_SK_SP_E_clISE_SE_SF_SF_EEDaS13_S14_SK_SP_EUlS13_E_NS1_11comp_targetILNS1_3genE4ELNS1_11target_archE910ELNS1_3gpuE8ELNS1_3repE0EEENS1_47radix_sort_onesweep_sort_config_static_selectorELNS0_4arch9wavefront6targetE1EEEvSK_,comdat
	.protected	_ZN7rocprim17ROCPRIM_400000_NS6detail17trampoline_kernelINS0_14default_configENS1_35radix_sort_onesweep_config_selectorIxNS0_10empty_typeEEEZZNS1_29radix_sort_onesweep_iterationIS3_Lb0EN6thrust23THRUST_200600_302600_NS6detail15normal_iteratorINS9_10device_ptrIxEEEESE_PS5_SF_jNS0_19identity_decomposerENS1_16block_id_wrapperIjLb0EEEEE10hipError_tT1_PNSt15iterator_traitsISK_E10value_typeET2_T3_PNSL_ISQ_E10value_typeET4_T5_PSV_SW_PNS1_23onesweep_lookback_stateEbbT6_jjT7_P12ihipStream_tbENKUlT_T0_SK_SP_E_clISE_SE_SF_SF_EEDaS13_S14_SK_SP_EUlS13_E_NS1_11comp_targetILNS1_3genE4ELNS1_11target_archE910ELNS1_3gpuE8ELNS1_3repE0EEENS1_47radix_sort_onesweep_sort_config_static_selectorELNS0_4arch9wavefront6targetE1EEEvSK_ ; -- Begin function _ZN7rocprim17ROCPRIM_400000_NS6detail17trampoline_kernelINS0_14default_configENS1_35radix_sort_onesweep_config_selectorIxNS0_10empty_typeEEEZZNS1_29radix_sort_onesweep_iterationIS3_Lb0EN6thrust23THRUST_200600_302600_NS6detail15normal_iteratorINS9_10device_ptrIxEEEESE_PS5_SF_jNS0_19identity_decomposerENS1_16block_id_wrapperIjLb0EEEEE10hipError_tT1_PNSt15iterator_traitsISK_E10value_typeET2_T3_PNSL_ISQ_E10value_typeET4_T5_PSV_SW_PNS1_23onesweep_lookback_stateEbbT6_jjT7_P12ihipStream_tbENKUlT_T0_SK_SP_E_clISE_SE_SF_SF_EEDaS13_S14_SK_SP_EUlS13_E_NS1_11comp_targetILNS1_3genE4ELNS1_11target_archE910ELNS1_3gpuE8ELNS1_3repE0EEENS1_47radix_sort_onesweep_sort_config_static_selectorELNS0_4arch9wavefront6targetE1EEEvSK_
	.globl	_ZN7rocprim17ROCPRIM_400000_NS6detail17trampoline_kernelINS0_14default_configENS1_35radix_sort_onesweep_config_selectorIxNS0_10empty_typeEEEZZNS1_29radix_sort_onesweep_iterationIS3_Lb0EN6thrust23THRUST_200600_302600_NS6detail15normal_iteratorINS9_10device_ptrIxEEEESE_PS5_SF_jNS0_19identity_decomposerENS1_16block_id_wrapperIjLb0EEEEE10hipError_tT1_PNSt15iterator_traitsISK_E10value_typeET2_T3_PNSL_ISQ_E10value_typeET4_T5_PSV_SW_PNS1_23onesweep_lookback_stateEbbT6_jjT7_P12ihipStream_tbENKUlT_T0_SK_SP_E_clISE_SE_SF_SF_EEDaS13_S14_SK_SP_EUlS13_E_NS1_11comp_targetILNS1_3genE4ELNS1_11target_archE910ELNS1_3gpuE8ELNS1_3repE0EEENS1_47radix_sort_onesweep_sort_config_static_selectorELNS0_4arch9wavefront6targetE1EEEvSK_
	.p2align	8
	.type	_ZN7rocprim17ROCPRIM_400000_NS6detail17trampoline_kernelINS0_14default_configENS1_35radix_sort_onesweep_config_selectorIxNS0_10empty_typeEEEZZNS1_29radix_sort_onesweep_iterationIS3_Lb0EN6thrust23THRUST_200600_302600_NS6detail15normal_iteratorINS9_10device_ptrIxEEEESE_PS5_SF_jNS0_19identity_decomposerENS1_16block_id_wrapperIjLb0EEEEE10hipError_tT1_PNSt15iterator_traitsISK_E10value_typeET2_T3_PNSL_ISQ_E10value_typeET4_T5_PSV_SW_PNS1_23onesweep_lookback_stateEbbT6_jjT7_P12ihipStream_tbENKUlT_T0_SK_SP_E_clISE_SE_SF_SF_EEDaS13_S14_SK_SP_EUlS13_E_NS1_11comp_targetILNS1_3genE4ELNS1_11target_archE910ELNS1_3gpuE8ELNS1_3repE0EEENS1_47radix_sort_onesweep_sort_config_static_selectorELNS0_4arch9wavefront6targetE1EEEvSK_,@function
_ZN7rocprim17ROCPRIM_400000_NS6detail17trampoline_kernelINS0_14default_configENS1_35radix_sort_onesweep_config_selectorIxNS0_10empty_typeEEEZZNS1_29radix_sort_onesweep_iterationIS3_Lb0EN6thrust23THRUST_200600_302600_NS6detail15normal_iteratorINS9_10device_ptrIxEEEESE_PS5_SF_jNS0_19identity_decomposerENS1_16block_id_wrapperIjLb0EEEEE10hipError_tT1_PNSt15iterator_traitsISK_E10value_typeET2_T3_PNSL_ISQ_E10value_typeET4_T5_PSV_SW_PNS1_23onesweep_lookback_stateEbbT6_jjT7_P12ihipStream_tbENKUlT_T0_SK_SP_E_clISE_SE_SF_SF_EEDaS13_S14_SK_SP_EUlS13_E_NS1_11comp_targetILNS1_3genE4ELNS1_11target_archE910ELNS1_3gpuE8ELNS1_3repE0EEENS1_47radix_sort_onesweep_sort_config_static_selectorELNS0_4arch9wavefront6targetE1EEEvSK_: ; @_ZN7rocprim17ROCPRIM_400000_NS6detail17trampoline_kernelINS0_14default_configENS1_35radix_sort_onesweep_config_selectorIxNS0_10empty_typeEEEZZNS1_29radix_sort_onesweep_iterationIS3_Lb0EN6thrust23THRUST_200600_302600_NS6detail15normal_iteratorINS9_10device_ptrIxEEEESE_PS5_SF_jNS0_19identity_decomposerENS1_16block_id_wrapperIjLb0EEEEE10hipError_tT1_PNSt15iterator_traitsISK_E10value_typeET2_T3_PNSL_ISQ_E10value_typeET4_T5_PSV_SW_PNS1_23onesweep_lookback_stateEbbT6_jjT7_P12ihipStream_tbENKUlT_T0_SK_SP_E_clISE_SE_SF_SF_EEDaS13_S14_SK_SP_EUlS13_E_NS1_11comp_targetILNS1_3genE4ELNS1_11target_archE910ELNS1_3gpuE8ELNS1_3repE0EEENS1_47radix_sort_onesweep_sort_config_static_selectorELNS0_4arch9wavefront6targetE1EEEvSK_
; %bb.0:
	.section	.rodata,"a",@progbits
	.p2align	6, 0x0
	.amdhsa_kernel _ZN7rocprim17ROCPRIM_400000_NS6detail17trampoline_kernelINS0_14default_configENS1_35radix_sort_onesweep_config_selectorIxNS0_10empty_typeEEEZZNS1_29radix_sort_onesweep_iterationIS3_Lb0EN6thrust23THRUST_200600_302600_NS6detail15normal_iteratorINS9_10device_ptrIxEEEESE_PS5_SF_jNS0_19identity_decomposerENS1_16block_id_wrapperIjLb0EEEEE10hipError_tT1_PNSt15iterator_traitsISK_E10value_typeET2_T3_PNSL_ISQ_E10value_typeET4_T5_PSV_SW_PNS1_23onesweep_lookback_stateEbbT6_jjT7_P12ihipStream_tbENKUlT_T0_SK_SP_E_clISE_SE_SF_SF_EEDaS13_S14_SK_SP_EUlS13_E_NS1_11comp_targetILNS1_3genE4ELNS1_11target_archE910ELNS1_3gpuE8ELNS1_3repE0EEENS1_47radix_sort_onesweep_sort_config_static_selectorELNS0_4arch9wavefront6targetE1EEEvSK_
		.amdhsa_group_segment_fixed_size 0
		.amdhsa_private_segment_fixed_size 0
		.amdhsa_kernarg_size 88
		.amdhsa_user_sgpr_count 2
		.amdhsa_user_sgpr_dispatch_ptr 0
		.amdhsa_user_sgpr_queue_ptr 0
		.amdhsa_user_sgpr_kernarg_segment_ptr 1
		.amdhsa_user_sgpr_dispatch_id 0
		.amdhsa_user_sgpr_kernarg_preload_length 0
		.amdhsa_user_sgpr_kernarg_preload_offset 0
		.amdhsa_user_sgpr_private_segment_size 0
		.amdhsa_uses_dynamic_stack 0
		.amdhsa_enable_private_segment 0
		.amdhsa_system_sgpr_workgroup_id_x 1
		.amdhsa_system_sgpr_workgroup_id_y 0
		.amdhsa_system_sgpr_workgroup_id_z 0
		.amdhsa_system_sgpr_workgroup_info 0
		.amdhsa_system_vgpr_workitem_id 0
		.amdhsa_next_free_vgpr 1
		.amdhsa_next_free_sgpr 0
		.amdhsa_accum_offset 4
		.amdhsa_reserve_vcc 0
		.amdhsa_float_round_mode_32 0
		.amdhsa_float_round_mode_16_64 0
		.amdhsa_float_denorm_mode_32 3
		.amdhsa_float_denorm_mode_16_64 3
		.amdhsa_dx10_clamp 1
		.amdhsa_ieee_mode 1
		.amdhsa_fp16_overflow 0
		.amdhsa_tg_split 0
		.amdhsa_exception_fp_ieee_invalid_op 0
		.amdhsa_exception_fp_denorm_src 0
		.amdhsa_exception_fp_ieee_div_zero 0
		.amdhsa_exception_fp_ieee_overflow 0
		.amdhsa_exception_fp_ieee_underflow 0
		.amdhsa_exception_fp_ieee_inexact 0
		.amdhsa_exception_int_div_zero 0
	.end_amdhsa_kernel
	.section	.text._ZN7rocprim17ROCPRIM_400000_NS6detail17trampoline_kernelINS0_14default_configENS1_35radix_sort_onesweep_config_selectorIxNS0_10empty_typeEEEZZNS1_29radix_sort_onesweep_iterationIS3_Lb0EN6thrust23THRUST_200600_302600_NS6detail15normal_iteratorINS9_10device_ptrIxEEEESE_PS5_SF_jNS0_19identity_decomposerENS1_16block_id_wrapperIjLb0EEEEE10hipError_tT1_PNSt15iterator_traitsISK_E10value_typeET2_T3_PNSL_ISQ_E10value_typeET4_T5_PSV_SW_PNS1_23onesweep_lookback_stateEbbT6_jjT7_P12ihipStream_tbENKUlT_T0_SK_SP_E_clISE_SE_SF_SF_EEDaS13_S14_SK_SP_EUlS13_E_NS1_11comp_targetILNS1_3genE4ELNS1_11target_archE910ELNS1_3gpuE8ELNS1_3repE0EEENS1_47radix_sort_onesweep_sort_config_static_selectorELNS0_4arch9wavefront6targetE1EEEvSK_,"axG",@progbits,_ZN7rocprim17ROCPRIM_400000_NS6detail17trampoline_kernelINS0_14default_configENS1_35radix_sort_onesweep_config_selectorIxNS0_10empty_typeEEEZZNS1_29radix_sort_onesweep_iterationIS3_Lb0EN6thrust23THRUST_200600_302600_NS6detail15normal_iteratorINS9_10device_ptrIxEEEESE_PS5_SF_jNS0_19identity_decomposerENS1_16block_id_wrapperIjLb0EEEEE10hipError_tT1_PNSt15iterator_traitsISK_E10value_typeET2_T3_PNSL_ISQ_E10value_typeET4_T5_PSV_SW_PNS1_23onesweep_lookback_stateEbbT6_jjT7_P12ihipStream_tbENKUlT_T0_SK_SP_E_clISE_SE_SF_SF_EEDaS13_S14_SK_SP_EUlS13_E_NS1_11comp_targetILNS1_3genE4ELNS1_11target_archE910ELNS1_3gpuE8ELNS1_3repE0EEENS1_47radix_sort_onesweep_sort_config_static_selectorELNS0_4arch9wavefront6targetE1EEEvSK_,comdat
.Lfunc_end1573:
	.size	_ZN7rocprim17ROCPRIM_400000_NS6detail17trampoline_kernelINS0_14default_configENS1_35radix_sort_onesweep_config_selectorIxNS0_10empty_typeEEEZZNS1_29radix_sort_onesweep_iterationIS3_Lb0EN6thrust23THRUST_200600_302600_NS6detail15normal_iteratorINS9_10device_ptrIxEEEESE_PS5_SF_jNS0_19identity_decomposerENS1_16block_id_wrapperIjLb0EEEEE10hipError_tT1_PNSt15iterator_traitsISK_E10value_typeET2_T3_PNSL_ISQ_E10value_typeET4_T5_PSV_SW_PNS1_23onesweep_lookback_stateEbbT6_jjT7_P12ihipStream_tbENKUlT_T0_SK_SP_E_clISE_SE_SF_SF_EEDaS13_S14_SK_SP_EUlS13_E_NS1_11comp_targetILNS1_3genE4ELNS1_11target_archE910ELNS1_3gpuE8ELNS1_3repE0EEENS1_47radix_sort_onesweep_sort_config_static_selectorELNS0_4arch9wavefront6targetE1EEEvSK_, .Lfunc_end1573-_ZN7rocprim17ROCPRIM_400000_NS6detail17trampoline_kernelINS0_14default_configENS1_35radix_sort_onesweep_config_selectorIxNS0_10empty_typeEEEZZNS1_29radix_sort_onesweep_iterationIS3_Lb0EN6thrust23THRUST_200600_302600_NS6detail15normal_iteratorINS9_10device_ptrIxEEEESE_PS5_SF_jNS0_19identity_decomposerENS1_16block_id_wrapperIjLb0EEEEE10hipError_tT1_PNSt15iterator_traitsISK_E10value_typeET2_T3_PNSL_ISQ_E10value_typeET4_T5_PSV_SW_PNS1_23onesweep_lookback_stateEbbT6_jjT7_P12ihipStream_tbENKUlT_T0_SK_SP_E_clISE_SE_SF_SF_EEDaS13_S14_SK_SP_EUlS13_E_NS1_11comp_targetILNS1_3genE4ELNS1_11target_archE910ELNS1_3gpuE8ELNS1_3repE0EEENS1_47radix_sort_onesweep_sort_config_static_selectorELNS0_4arch9wavefront6targetE1EEEvSK_
                                        ; -- End function
	.section	.AMDGPU.csdata,"",@progbits
; Kernel info:
; codeLenInByte = 0
; NumSgprs: 6
; NumVgprs: 0
; NumAgprs: 0
; TotalNumVgprs: 0
; ScratchSize: 0
; MemoryBound: 0
; FloatMode: 240
; IeeeMode: 1
; LDSByteSize: 0 bytes/workgroup (compile time only)
; SGPRBlocks: 0
; VGPRBlocks: 0
; NumSGPRsForWavesPerEU: 6
; NumVGPRsForWavesPerEU: 1
; AccumOffset: 4
; Occupancy: 8
; WaveLimiterHint : 0
; COMPUTE_PGM_RSRC2:SCRATCH_EN: 0
; COMPUTE_PGM_RSRC2:USER_SGPR: 2
; COMPUTE_PGM_RSRC2:TRAP_HANDLER: 0
; COMPUTE_PGM_RSRC2:TGID_X_EN: 1
; COMPUTE_PGM_RSRC2:TGID_Y_EN: 0
; COMPUTE_PGM_RSRC2:TGID_Z_EN: 0
; COMPUTE_PGM_RSRC2:TIDIG_COMP_CNT: 0
; COMPUTE_PGM_RSRC3_GFX90A:ACCUM_OFFSET: 0
; COMPUTE_PGM_RSRC3_GFX90A:TG_SPLIT: 0
	.section	.text._ZN7rocprim17ROCPRIM_400000_NS6detail17trampoline_kernelINS0_14default_configENS1_35radix_sort_onesweep_config_selectorIxNS0_10empty_typeEEEZZNS1_29radix_sort_onesweep_iterationIS3_Lb0EN6thrust23THRUST_200600_302600_NS6detail15normal_iteratorINS9_10device_ptrIxEEEESE_PS5_SF_jNS0_19identity_decomposerENS1_16block_id_wrapperIjLb0EEEEE10hipError_tT1_PNSt15iterator_traitsISK_E10value_typeET2_T3_PNSL_ISQ_E10value_typeET4_T5_PSV_SW_PNS1_23onesweep_lookback_stateEbbT6_jjT7_P12ihipStream_tbENKUlT_T0_SK_SP_E_clISE_SE_SF_SF_EEDaS13_S14_SK_SP_EUlS13_E_NS1_11comp_targetILNS1_3genE3ELNS1_11target_archE908ELNS1_3gpuE7ELNS1_3repE0EEENS1_47radix_sort_onesweep_sort_config_static_selectorELNS0_4arch9wavefront6targetE1EEEvSK_,"axG",@progbits,_ZN7rocprim17ROCPRIM_400000_NS6detail17trampoline_kernelINS0_14default_configENS1_35radix_sort_onesweep_config_selectorIxNS0_10empty_typeEEEZZNS1_29radix_sort_onesweep_iterationIS3_Lb0EN6thrust23THRUST_200600_302600_NS6detail15normal_iteratorINS9_10device_ptrIxEEEESE_PS5_SF_jNS0_19identity_decomposerENS1_16block_id_wrapperIjLb0EEEEE10hipError_tT1_PNSt15iterator_traitsISK_E10value_typeET2_T3_PNSL_ISQ_E10value_typeET4_T5_PSV_SW_PNS1_23onesweep_lookback_stateEbbT6_jjT7_P12ihipStream_tbENKUlT_T0_SK_SP_E_clISE_SE_SF_SF_EEDaS13_S14_SK_SP_EUlS13_E_NS1_11comp_targetILNS1_3genE3ELNS1_11target_archE908ELNS1_3gpuE7ELNS1_3repE0EEENS1_47radix_sort_onesweep_sort_config_static_selectorELNS0_4arch9wavefront6targetE1EEEvSK_,comdat
	.protected	_ZN7rocprim17ROCPRIM_400000_NS6detail17trampoline_kernelINS0_14default_configENS1_35radix_sort_onesweep_config_selectorIxNS0_10empty_typeEEEZZNS1_29radix_sort_onesweep_iterationIS3_Lb0EN6thrust23THRUST_200600_302600_NS6detail15normal_iteratorINS9_10device_ptrIxEEEESE_PS5_SF_jNS0_19identity_decomposerENS1_16block_id_wrapperIjLb0EEEEE10hipError_tT1_PNSt15iterator_traitsISK_E10value_typeET2_T3_PNSL_ISQ_E10value_typeET4_T5_PSV_SW_PNS1_23onesweep_lookback_stateEbbT6_jjT7_P12ihipStream_tbENKUlT_T0_SK_SP_E_clISE_SE_SF_SF_EEDaS13_S14_SK_SP_EUlS13_E_NS1_11comp_targetILNS1_3genE3ELNS1_11target_archE908ELNS1_3gpuE7ELNS1_3repE0EEENS1_47radix_sort_onesweep_sort_config_static_selectorELNS0_4arch9wavefront6targetE1EEEvSK_ ; -- Begin function _ZN7rocprim17ROCPRIM_400000_NS6detail17trampoline_kernelINS0_14default_configENS1_35radix_sort_onesweep_config_selectorIxNS0_10empty_typeEEEZZNS1_29radix_sort_onesweep_iterationIS3_Lb0EN6thrust23THRUST_200600_302600_NS6detail15normal_iteratorINS9_10device_ptrIxEEEESE_PS5_SF_jNS0_19identity_decomposerENS1_16block_id_wrapperIjLb0EEEEE10hipError_tT1_PNSt15iterator_traitsISK_E10value_typeET2_T3_PNSL_ISQ_E10value_typeET4_T5_PSV_SW_PNS1_23onesweep_lookback_stateEbbT6_jjT7_P12ihipStream_tbENKUlT_T0_SK_SP_E_clISE_SE_SF_SF_EEDaS13_S14_SK_SP_EUlS13_E_NS1_11comp_targetILNS1_3genE3ELNS1_11target_archE908ELNS1_3gpuE7ELNS1_3repE0EEENS1_47radix_sort_onesweep_sort_config_static_selectorELNS0_4arch9wavefront6targetE1EEEvSK_
	.globl	_ZN7rocprim17ROCPRIM_400000_NS6detail17trampoline_kernelINS0_14default_configENS1_35radix_sort_onesweep_config_selectorIxNS0_10empty_typeEEEZZNS1_29radix_sort_onesweep_iterationIS3_Lb0EN6thrust23THRUST_200600_302600_NS6detail15normal_iteratorINS9_10device_ptrIxEEEESE_PS5_SF_jNS0_19identity_decomposerENS1_16block_id_wrapperIjLb0EEEEE10hipError_tT1_PNSt15iterator_traitsISK_E10value_typeET2_T3_PNSL_ISQ_E10value_typeET4_T5_PSV_SW_PNS1_23onesweep_lookback_stateEbbT6_jjT7_P12ihipStream_tbENKUlT_T0_SK_SP_E_clISE_SE_SF_SF_EEDaS13_S14_SK_SP_EUlS13_E_NS1_11comp_targetILNS1_3genE3ELNS1_11target_archE908ELNS1_3gpuE7ELNS1_3repE0EEENS1_47radix_sort_onesweep_sort_config_static_selectorELNS0_4arch9wavefront6targetE1EEEvSK_
	.p2align	8
	.type	_ZN7rocprim17ROCPRIM_400000_NS6detail17trampoline_kernelINS0_14default_configENS1_35radix_sort_onesweep_config_selectorIxNS0_10empty_typeEEEZZNS1_29radix_sort_onesweep_iterationIS3_Lb0EN6thrust23THRUST_200600_302600_NS6detail15normal_iteratorINS9_10device_ptrIxEEEESE_PS5_SF_jNS0_19identity_decomposerENS1_16block_id_wrapperIjLb0EEEEE10hipError_tT1_PNSt15iterator_traitsISK_E10value_typeET2_T3_PNSL_ISQ_E10value_typeET4_T5_PSV_SW_PNS1_23onesweep_lookback_stateEbbT6_jjT7_P12ihipStream_tbENKUlT_T0_SK_SP_E_clISE_SE_SF_SF_EEDaS13_S14_SK_SP_EUlS13_E_NS1_11comp_targetILNS1_3genE3ELNS1_11target_archE908ELNS1_3gpuE7ELNS1_3repE0EEENS1_47radix_sort_onesweep_sort_config_static_selectorELNS0_4arch9wavefront6targetE1EEEvSK_,@function
_ZN7rocprim17ROCPRIM_400000_NS6detail17trampoline_kernelINS0_14default_configENS1_35radix_sort_onesweep_config_selectorIxNS0_10empty_typeEEEZZNS1_29radix_sort_onesweep_iterationIS3_Lb0EN6thrust23THRUST_200600_302600_NS6detail15normal_iteratorINS9_10device_ptrIxEEEESE_PS5_SF_jNS0_19identity_decomposerENS1_16block_id_wrapperIjLb0EEEEE10hipError_tT1_PNSt15iterator_traitsISK_E10value_typeET2_T3_PNSL_ISQ_E10value_typeET4_T5_PSV_SW_PNS1_23onesweep_lookback_stateEbbT6_jjT7_P12ihipStream_tbENKUlT_T0_SK_SP_E_clISE_SE_SF_SF_EEDaS13_S14_SK_SP_EUlS13_E_NS1_11comp_targetILNS1_3genE3ELNS1_11target_archE908ELNS1_3gpuE7ELNS1_3repE0EEENS1_47radix_sort_onesweep_sort_config_static_selectorELNS0_4arch9wavefront6targetE1EEEvSK_: ; @_ZN7rocprim17ROCPRIM_400000_NS6detail17trampoline_kernelINS0_14default_configENS1_35radix_sort_onesweep_config_selectorIxNS0_10empty_typeEEEZZNS1_29radix_sort_onesweep_iterationIS3_Lb0EN6thrust23THRUST_200600_302600_NS6detail15normal_iteratorINS9_10device_ptrIxEEEESE_PS5_SF_jNS0_19identity_decomposerENS1_16block_id_wrapperIjLb0EEEEE10hipError_tT1_PNSt15iterator_traitsISK_E10value_typeET2_T3_PNSL_ISQ_E10value_typeET4_T5_PSV_SW_PNS1_23onesweep_lookback_stateEbbT6_jjT7_P12ihipStream_tbENKUlT_T0_SK_SP_E_clISE_SE_SF_SF_EEDaS13_S14_SK_SP_EUlS13_E_NS1_11comp_targetILNS1_3genE3ELNS1_11target_archE908ELNS1_3gpuE7ELNS1_3repE0EEENS1_47radix_sort_onesweep_sort_config_static_selectorELNS0_4arch9wavefront6targetE1EEEvSK_
; %bb.0:
	.section	.rodata,"a",@progbits
	.p2align	6, 0x0
	.amdhsa_kernel _ZN7rocprim17ROCPRIM_400000_NS6detail17trampoline_kernelINS0_14default_configENS1_35radix_sort_onesweep_config_selectorIxNS0_10empty_typeEEEZZNS1_29radix_sort_onesweep_iterationIS3_Lb0EN6thrust23THRUST_200600_302600_NS6detail15normal_iteratorINS9_10device_ptrIxEEEESE_PS5_SF_jNS0_19identity_decomposerENS1_16block_id_wrapperIjLb0EEEEE10hipError_tT1_PNSt15iterator_traitsISK_E10value_typeET2_T3_PNSL_ISQ_E10value_typeET4_T5_PSV_SW_PNS1_23onesweep_lookback_stateEbbT6_jjT7_P12ihipStream_tbENKUlT_T0_SK_SP_E_clISE_SE_SF_SF_EEDaS13_S14_SK_SP_EUlS13_E_NS1_11comp_targetILNS1_3genE3ELNS1_11target_archE908ELNS1_3gpuE7ELNS1_3repE0EEENS1_47radix_sort_onesweep_sort_config_static_selectorELNS0_4arch9wavefront6targetE1EEEvSK_
		.amdhsa_group_segment_fixed_size 0
		.amdhsa_private_segment_fixed_size 0
		.amdhsa_kernarg_size 88
		.amdhsa_user_sgpr_count 2
		.amdhsa_user_sgpr_dispatch_ptr 0
		.amdhsa_user_sgpr_queue_ptr 0
		.amdhsa_user_sgpr_kernarg_segment_ptr 1
		.amdhsa_user_sgpr_dispatch_id 0
		.amdhsa_user_sgpr_kernarg_preload_length 0
		.amdhsa_user_sgpr_kernarg_preload_offset 0
		.amdhsa_user_sgpr_private_segment_size 0
		.amdhsa_uses_dynamic_stack 0
		.amdhsa_enable_private_segment 0
		.amdhsa_system_sgpr_workgroup_id_x 1
		.amdhsa_system_sgpr_workgroup_id_y 0
		.amdhsa_system_sgpr_workgroup_id_z 0
		.amdhsa_system_sgpr_workgroup_info 0
		.amdhsa_system_vgpr_workitem_id 0
		.amdhsa_next_free_vgpr 1
		.amdhsa_next_free_sgpr 0
		.amdhsa_accum_offset 4
		.amdhsa_reserve_vcc 0
		.amdhsa_float_round_mode_32 0
		.amdhsa_float_round_mode_16_64 0
		.amdhsa_float_denorm_mode_32 3
		.amdhsa_float_denorm_mode_16_64 3
		.amdhsa_dx10_clamp 1
		.amdhsa_ieee_mode 1
		.amdhsa_fp16_overflow 0
		.amdhsa_tg_split 0
		.amdhsa_exception_fp_ieee_invalid_op 0
		.amdhsa_exception_fp_denorm_src 0
		.amdhsa_exception_fp_ieee_div_zero 0
		.amdhsa_exception_fp_ieee_overflow 0
		.amdhsa_exception_fp_ieee_underflow 0
		.amdhsa_exception_fp_ieee_inexact 0
		.amdhsa_exception_int_div_zero 0
	.end_amdhsa_kernel
	.section	.text._ZN7rocprim17ROCPRIM_400000_NS6detail17trampoline_kernelINS0_14default_configENS1_35radix_sort_onesweep_config_selectorIxNS0_10empty_typeEEEZZNS1_29radix_sort_onesweep_iterationIS3_Lb0EN6thrust23THRUST_200600_302600_NS6detail15normal_iteratorINS9_10device_ptrIxEEEESE_PS5_SF_jNS0_19identity_decomposerENS1_16block_id_wrapperIjLb0EEEEE10hipError_tT1_PNSt15iterator_traitsISK_E10value_typeET2_T3_PNSL_ISQ_E10value_typeET4_T5_PSV_SW_PNS1_23onesweep_lookback_stateEbbT6_jjT7_P12ihipStream_tbENKUlT_T0_SK_SP_E_clISE_SE_SF_SF_EEDaS13_S14_SK_SP_EUlS13_E_NS1_11comp_targetILNS1_3genE3ELNS1_11target_archE908ELNS1_3gpuE7ELNS1_3repE0EEENS1_47radix_sort_onesweep_sort_config_static_selectorELNS0_4arch9wavefront6targetE1EEEvSK_,"axG",@progbits,_ZN7rocprim17ROCPRIM_400000_NS6detail17trampoline_kernelINS0_14default_configENS1_35radix_sort_onesweep_config_selectorIxNS0_10empty_typeEEEZZNS1_29radix_sort_onesweep_iterationIS3_Lb0EN6thrust23THRUST_200600_302600_NS6detail15normal_iteratorINS9_10device_ptrIxEEEESE_PS5_SF_jNS0_19identity_decomposerENS1_16block_id_wrapperIjLb0EEEEE10hipError_tT1_PNSt15iterator_traitsISK_E10value_typeET2_T3_PNSL_ISQ_E10value_typeET4_T5_PSV_SW_PNS1_23onesweep_lookback_stateEbbT6_jjT7_P12ihipStream_tbENKUlT_T0_SK_SP_E_clISE_SE_SF_SF_EEDaS13_S14_SK_SP_EUlS13_E_NS1_11comp_targetILNS1_3genE3ELNS1_11target_archE908ELNS1_3gpuE7ELNS1_3repE0EEENS1_47radix_sort_onesweep_sort_config_static_selectorELNS0_4arch9wavefront6targetE1EEEvSK_,comdat
.Lfunc_end1574:
	.size	_ZN7rocprim17ROCPRIM_400000_NS6detail17trampoline_kernelINS0_14default_configENS1_35radix_sort_onesweep_config_selectorIxNS0_10empty_typeEEEZZNS1_29radix_sort_onesweep_iterationIS3_Lb0EN6thrust23THRUST_200600_302600_NS6detail15normal_iteratorINS9_10device_ptrIxEEEESE_PS5_SF_jNS0_19identity_decomposerENS1_16block_id_wrapperIjLb0EEEEE10hipError_tT1_PNSt15iterator_traitsISK_E10value_typeET2_T3_PNSL_ISQ_E10value_typeET4_T5_PSV_SW_PNS1_23onesweep_lookback_stateEbbT6_jjT7_P12ihipStream_tbENKUlT_T0_SK_SP_E_clISE_SE_SF_SF_EEDaS13_S14_SK_SP_EUlS13_E_NS1_11comp_targetILNS1_3genE3ELNS1_11target_archE908ELNS1_3gpuE7ELNS1_3repE0EEENS1_47radix_sort_onesweep_sort_config_static_selectorELNS0_4arch9wavefront6targetE1EEEvSK_, .Lfunc_end1574-_ZN7rocprim17ROCPRIM_400000_NS6detail17trampoline_kernelINS0_14default_configENS1_35radix_sort_onesweep_config_selectorIxNS0_10empty_typeEEEZZNS1_29radix_sort_onesweep_iterationIS3_Lb0EN6thrust23THRUST_200600_302600_NS6detail15normal_iteratorINS9_10device_ptrIxEEEESE_PS5_SF_jNS0_19identity_decomposerENS1_16block_id_wrapperIjLb0EEEEE10hipError_tT1_PNSt15iterator_traitsISK_E10value_typeET2_T3_PNSL_ISQ_E10value_typeET4_T5_PSV_SW_PNS1_23onesweep_lookback_stateEbbT6_jjT7_P12ihipStream_tbENKUlT_T0_SK_SP_E_clISE_SE_SF_SF_EEDaS13_S14_SK_SP_EUlS13_E_NS1_11comp_targetILNS1_3genE3ELNS1_11target_archE908ELNS1_3gpuE7ELNS1_3repE0EEENS1_47radix_sort_onesweep_sort_config_static_selectorELNS0_4arch9wavefront6targetE1EEEvSK_
                                        ; -- End function
	.section	.AMDGPU.csdata,"",@progbits
; Kernel info:
; codeLenInByte = 0
; NumSgprs: 6
; NumVgprs: 0
; NumAgprs: 0
; TotalNumVgprs: 0
; ScratchSize: 0
; MemoryBound: 0
; FloatMode: 240
; IeeeMode: 1
; LDSByteSize: 0 bytes/workgroup (compile time only)
; SGPRBlocks: 0
; VGPRBlocks: 0
; NumSGPRsForWavesPerEU: 6
; NumVGPRsForWavesPerEU: 1
; AccumOffset: 4
; Occupancy: 8
; WaveLimiterHint : 0
; COMPUTE_PGM_RSRC2:SCRATCH_EN: 0
; COMPUTE_PGM_RSRC2:USER_SGPR: 2
; COMPUTE_PGM_RSRC2:TRAP_HANDLER: 0
; COMPUTE_PGM_RSRC2:TGID_X_EN: 1
; COMPUTE_PGM_RSRC2:TGID_Y_EN: 0
; COMPUTE_PGM_RSRC2:TGID_Z_EN: 0
; COMPUTE_PGM_RSRC2:TIDIG_COMP_CNT: 0
; COMPUTE_PGM_RSRC3_GFX90A:ACCUM_OFFSET: 0
; COMPUTE_PGM_RSRC3_GFX90A:TG_SPLIT: 0
	.section	.text._ZN7rocprim17ROCPRIM_400000_NS6detail17trampoline_kernelINS0_14default_configENS1_35radix_sort_onesweep_config_selectorIxNS0_10empty_typeEEEZZNS1_29radix_sort_onesweep_iterationIS3_Lb0EN6thrust23THRUST_200600_302600_NS6detail15normal_iteratorINS9_10device_ptrIxEEEESE_PS5_SF_jNS0_19identity_decomposerENS1_16block_id_wrapperIjLb0EEEEE10hipError_tT1_PNSt15iterator_traitsISK_E10value_typeET2_T3_PNSL_ISQ_E10value_typeET4_T5_PSV_SW_PNS1_23onesweep_lookback_stateEbbT6_jjT7_P12ihipStream_tbENKUlT_T0_SK_SP_E_clISE_SE_SF_SF_EEDaS13_S14_SK_SP_EUlS13_E_NS1_11comp_targetILNS1_3genE10ELNS1_11target_archE1201ELNS1_3gpuE5ELNS1_3repE0EEENS1_47radix_sort_onesweep_sort_config_static_selectorELNS0_4arch9wavefront6targetE1EEEvSK_,"axG",@progbits,_ZN7rocprim17ROCPRIM_400000_NS6detail17trampoline_kernelINS0_14default_configENS1_35radix_sort_onesweep_config_selectorIxNS0_10empty_typeEEEZZNS1_29radix_sort_onesweep_iterationIS3_Lb0EN6thrust23THRUST_200600_302600_NS6detail15normal_iteratorINS9_10device_ptrIxEEEESE_PS5_SF_jNS0_19identity_decomposerENS1_16block_id_wrapperIjLb0EEEEE10hipError_tT1_PNSt15iterator_traitsISK_E10value_typeET2_T3_PNSL_ISQ_E10value_typeET4_T5_PSV_SW_PNS1_23onesweep_lookback_stateEbbT6_jjT7_P12ihipStream_tbENKUlT_T0_SK_SP_E_clISE_SE_SF_SF_EEDaS13_S14_SK_SP_EUlS13_E_NS1_11comp_targetILNS1_3genE10ELNS1_11target_archE1201ELNS1_3gpuE5ELNS1_3repE0EEENS1_47radix_sort_onesweep_sort_config_static_selectorELNS0_4arch9wavefront6targetE1EEEvSK_,comdat
	.protected	_ZN7rocprim17ROCPRIM_400000_NS6detail17trampoline_kernelINS0_14default_configENS1_35radix_sort_onesweep_config_selectorIxNS0_10empty_typeEEEZZNS1_29radix_sort_onesweep_iterationIS3_Lb0EN6thrust23THRUST_200600_302600_NS6detail15normal_iteratorINS9_10device_ptrIxEEEESE_PS5_SF_jNS0_19identity_decomposerENS1_16block_id_wrapperIjLb0EEEEE10hipError_tT1_PNSt15iterator_traitsISK_E10value_typeET2_T3_PNSL_ISQ_E10value_typeET4_T5_PSV_SW_PNS1_23onesweep_lookback_stateEbbT6_jjT7_P12ihipStream_tbENKUlT_T0_SK_SP_E_clISE_SE_SF_SF_EEDaS13_S14_SK_SP_EUlS13_E_NS1_11comp_targetILNS1_3genE10ELNS1_11target_archE1201ELNS1_3gpuE5ELNS1_3repE0EEENS1_47radix_sort_onesweep_sort_config_static_selectorELNS0_4arch9wavefront6targetE1EEEvSK_ ; -- Begin function _ZN7rocprim17ROCPRIM_400000_NS6detail17trampoline_kernelINS0_14default_configENS1_35radix_sort_onesweep_config_selectorIxNS0_10empty_typeEEEZZNS1_29radix_sort_onesweep_iterationIS3_Lb0EN6thrust23THRUST_200600_302600_NS6detail15normal_iteratorINS9_10device_ptrIxEEEESE_PS5_SF_jNS0_19identity_decomposerENS1_16block_id_wrapperIjLb0EEEEE10hipError_tT1_PNSt15iterator_traitsISK_E10value_typeET2_T3_PNSL_ISQ_E10value_typeET4_T5_PSV_SW_PNS1_23onesweep_lookback_stateEbbT6_jjT7_P12ihipStream_tbENKUlT_T0_SK_SP_E_clISE_SE_SF_SF_EEDaS13_S14_SK_SP_EUlS13_E_NS1_11comp_targetILNS1_3genE10ELNS1_11target_archE1201ELNS1_3gpuE5ELNS1_3repE0EEENS1_47radix_sort_onesweep_sort_config_static_selectorELNS0_4arch9wavefront6targetE1EEEvSK_
	.globl	_ZN7rocprim17ROCPRIM_400000_NS6detail17trampoline_kernelINS0_14default_configENS1_35radix_sort_onesweep_config_selectorIxNS0_10empty_typeEEEZZNS1_29radix_sort_onesweep_iterationIS3_Lb0EN6thrust23THRUST_200600_302600_NS6detail15normal_iteratorINS9_10device_ptrIxEEEESE_PS5_SF_jNS0_19identity_decomposerENS1_16block_id_wrapperIjLb0EEEEE10hipError_tT1_PNSt15iterator_traitsISK_E10value_typeET2_T3_PNSL_ISQ_E10value_typeET4_T5_PSV_SW_PNS1_23onesweep_lookback_stateEbbT6_jjT7_P12ihipStream_tbENKUlT_T0_SK_SP_E_clISE_SE_SF_SF_EEDaS13_S14_SK_SP_EUlS13_E_NS1_11comp_targetILNS1_3genE10ELNS1_11target_archE1201ELNS1_3gpuE5ELNS1_3repE0EEENS1_47radix_sort_onesweep_sort_config_static_selectorELNS0_4arch9wavefront6targetE1EEEvSK_
	.p2align	8
	.type	_ZN7rocprim17ROCPRIM_400000_NS6detail17trampoline_kernelINS0_14default_configENS1_35radix_sort_onesweep_config_selectorIxNS0_10empty_typeEEEZZNS1_29radix_sort_onesweep_iterationIS3_Lb0EN6thrust23THRUST_200600_302600_NS6detail15normal_iteratorINS9_10device_ptrIxEEEESE_PS5_SF_jNS0_19identity_decomposerENS1_16block_id_wrapperIjLb0EEEEE10hipError_tT1_PNSt15iterator_traitsISK_E10value_typeET2_T3_PNSL_ISQ_E10value_typeET4_T5_PSV_SW_PNS1_23onesweep_lookback_stateEbbT6_jjT7_P12ihipStream_tbENKUlT_T0_SK_SP_E_clISE_SE_SF_SF_EEDaS13_S14_SK_SP_EUlS13_E_NS1_11comp_targetILNS1_3genE10ELNS1_11target_archE1201ELNS1_3gpuE5ELNS1_3repE0EEENS1_47radix_sort_onesweep_sort_config_static_selectorELNS0_4arch9wavefront6targetE1EEEvSK_,@function
_ZN7rocprim17ROCPRIM_400000_NS6detail17trampoline_kernelINS0_14default_configENS1_35radix_sort_onesweep_config_selectorIxNS0_10empty_typeEEEZZNS1_29radix_sort_onesweep_iterationIS3_Lb0EN6thrust23THRUST_200600_302600_NS6detail15normal_iteratorINS9_10device_ptrIxEEEESE_PS5_SF_jNS0_19identity_decomposerENS1_16block_id_wrapperIjLb0EEEEE10hipError_tT1_PNSt15iterator_traitsISK_E10value_typeET2_T3_PNSL_ISQ_E10value_typeET4_T5_PSV_SW_PNS1_23onesweep_lookback_stateEbbT6_jjT7_P12ihipStream_tbENKUlT_T0_SK_SP_E_clISE_SE_SF_SF_EEDaS13_S14_SK_SP_EUlS13_E_NS1_11comp_targetILNS1_3genE10ELNS1_11target_archE1201ELNS1_3gpuE5ELNS1_3repE0EEENS1_47radix_sort_onesweep_sort_config_static_selectorELNS0_4arch9wavefront6targetE1EEEvSK_: ; @_ZN7rocprim17ROCPRIM_400000_NS6detail17trampoline_kernelINS0_14default_configENS1_35radix_sort_onesweep_config_selectorIxNS0_10empty_typeEEEZZNS1_29radix_sort_onesweep_iterationIS3_Lb0EN6thrust23THRUST_200600_302600_NS6detail15normal_iteratorINS9_10device_ptrIxEEEESE_PS5_SF_jNS0_19identity_decomposerENS1_16block_id_wrapperIjLb0EEEEE10hipError_tT1_PNSt15iterator_traitsISK_E10value_typeET2_T3_PNSL_ISQ_E10value_typeET4_T5_PSV_SW_PNS1_23onesweep_lookback_stateEbbT6_jjT7_P12ihipStream_tbENKUlT_T0_SK_SP_E_clISE_SE_SF_SF_EEDaS13_S14_SK_SP_EUlS13_E_NS1_11comp_targetILNS1_3genE10ELNS1_11target_archE1201ELNS1_3gpuE5ELNS1_3repE0EEENS1_47radix_sort_onesweep_sort_config_static_selectorELNS0_4arch9wavefront6targetE1EEEvSK_
; %bb.0:
	.section	.rodata,"a",@progbits
	.p2align	6, 0x0
	.amdhsa_kernel _ZN7rocprim17ROCPRIM_400000_NS6detail17trampoline_kernelINS0_14default_configENS1_35radix_sort_onesweep_config_selectorIxNS0_10empty_typeEEEZZNS1_29radix_sort_onesweep_iterationIS3_Lb0EN6thrust23THRUST_200600_302600_NS6detail15normal_iteratorINS9_10device_ptrIxEEEESE_PS5_SF_jNS0_19identity_decomposerENS1_16block_id_wrapperIjLb0EEEEE10hipError_tT1_PNSt15iterator_traitsISK_E10value_typeET2_T3_PNSL_ISQ_E10value_typeET4_T5_PSV_SW_PNS1_23onesweep_lookback_stateEbbT6_jjT7_P12ihipStream_tbENKUlT_T0_SK_SP_E_clISE_SE_SF_SF_EEDaS13_S14_SK_SP_EUlS13_E_NS1_11comp_targetILNS1_3genE10ELNS1_11target_archE1201ELNS1_3gpuE5ELNS1_3repE0EEENS1_47radix_sort_onesweep_sort_config_static_selectorELNS0_4arch9wavefront6targetE1EEEvSK_
		.amdhsa_group_segment_fixed_size 0
		.amdhsa_private_segment_fixed_size 0
		.amdhsa_kernarg_size 88
		.amdhsa_user_sgpr_count 2
		.amdhsa_user_sgpr_dispatch_ptr 0
		.amdhsa_user_sgpr_queue_ptr 0
		.amdhsa_user_sgpr_kernarg_segment_ptr 1
		.amdhsa_user_sgpr_dispatch_id 0
		.amdhsa_user_sgpr_kernarg_preload_length 0
		.amdhsa_user_sgpr_kernarg_preload_offset 0
		.amdhsa_user_sgpr_private_segment_size 0
		.amdhsa_uses_dynamic_stack 0
		.amdhsa_enable_private_segment 0
		.amdhsa_system_sgpr_workgroup_id_x 1
		.amdhsa_system_sgpr_workgroup_id_y 0
		.amdhsa_system_sgpr_workgroup_id_z 0
		.amdhsa_system_sgpr_workgroup_info 0
		.amdhsa_system_vgpr_workitem_id 0
		.amdhsa_next_free_vgpr 1
		.amdhsa_next_free_sgpr 0
		.amdhsa_accum_offset 4
		.amdhsa_reserve_vcc 0
		.amdhsa_float_round_mode_32 0
		.amdhsa_float_round_mode_16_64 0
		.amdhsa_float_denorm_mode_32 3
		.amdhsa_float_denorm_mode_16_64 3
		.amdhsa_dx10_clamp 1
		.amdhsa_ieee_mode 1
		.amdhsa_fp16_overflow 0
		.amdhsa_tg_split 0
		.amdhsa_exception_fp_ieee_invalid_op 0
		.amdhsa_exception_fp_denorm_src 0
		.amdhsa_exception_fp_ieee_div_zero 0
		.amdhsa_exception_fp_ieee_overflow 0
		.amdhsa_exception_fp_ieee_underflow 0
		.amdhsa_exception_fp_ieee_inexact 0
		.amdhsa_exception_int_div_zero 0
	.end_amdhsa_kernel
	.section	.text._ZN7rocprim17ROCPRIM_400000_NS6detail17trampoline_kernelINS0_14default_configENS1_35radix_sort_onesweep_config_selectorIxNS0_10empty_typeEEEZZNS1_29radix_sort_onesweep_iterationIS3_Lb0EN6thrust23THRUST_200600_302600_NS6detail15normal_iteratorINS9_10device_ptrIxEEEESE_PS5_SF_jNS0_19identity_decomposerENS1_16block_id_wrapperIjLb0EEEEE10hipError_tT1_PNSt15iterator_traitsISK_E10value_typeET2_T3_PNSL_ISQ_E10value_typeET4_T5_PSV_SW_PNS1_23onesweep_lookback_stateEbbT6_jjT7_P12ihipStream_tbENKUlT_T0_SK_SP_E_clISE_SE_SF_SF_EEDaS13_S14_SK_SP_EUlS13_E_NS1_11comp_targetILNS1_3genE10ELNS1_11target_archE1201ELNS1_3gpuE5ELNS1_3repE0EEENS1_47radix_sort_onesweep_sort_config_static_selectorELNS0_4arch9wavefront6targetE1EEEvSK_,"axG",@progbits,_ZN7rocprim17ROCPRIM_400000_NS6detail17trampoline_kernelINS0_14default_configENS1_35radix_sort_onesweep_config_selectorIxNS0_10empty_typeEEEZZNS1_29radix_sort_onesweep_iterationIS3_Lb0EN6thrust23THRUST_200600_302600_NS6detail15normal_iteratorINS9_10device_ptrIxEEEESE_PS5_SF_jNS0_19identity_decomposerENS1_16block_id_wrapperIjLb0EEEEE10hipError_tT1_PNSt15iterator_traitsISK_E10value_typeET2_T3_PNSL_ISQ_E10value_typeET4_T5_PSV_SW_PNS1_23onesweep_lookback_stateEbbT6_jjT7_P12ihipStream_tbENKUlT_T0_SK_SP_E_clISE_SE_SF_SF_EEDaS13_S14_SK_SP_EUlS13_E_NS1_11comp_targetILNS1_3genE10ELNS1_11target_archE1201ELNS1_3gpuE5ELNS1_3repE0EEENS1_47radix_sort_onesweep_sort_config_static_selectorELNS0_4arch9wavefront6targetE1EEEvSK_,comdat
.Lfunc_end1575:
	.size	_ZN7rocprim17ROCPRIM_400000_NS6detail17trampoline_kernelINS0_14default_configENS1_35radix_sort_onesweep_config_selectorIxNS0_10empty_typeEEEZZNS1_29radix_sort_onesweep_iterationIS3_Lb0EN6thrust23THRUST_200600_302600_NS6detail15normal_iteratorINS9_10device_ptrIxEEEESE_PS5_SF_jNS0_19identity_decomposerENS1_16block_id_wrapperIjLb0EEEEE10hipError_tT1_PNSt15iterator_traitsISK_E10value_typeET2_T3_PNSL_ISQ_E10value_typeET4_T5_PSV_SW_PNS1_23onesweep_lookback_stateEbbT6_jjT7_P12ihipStream_tbENKUlT_T0_SK_SP_E_clISE_SE_SF_SF_EEDaS13_S14_SK_SP_EUlS13_E_NS1_11comp_targetILNS1_3genE10ELNS1_11target_archE1201ELNS1_3gpuE5ELNS1_3repE0EEENS1_47radix_sort_onesweep_sort_config_static_selectorELNS0_4arch9wavefront6targetE1EEEvSK_, .Lfunc_end1575-_ZN7rocprim17ROCPRIM_400000_NS6detail17trampoline_kernelINS0_14default_configENS1_35radix_sort_onesweep_config_selectorIxNS0_10empty_typeEEEZZNS1_29radix_sort_onesweep_iterationIS3_Lb0EN6thrust23THRUST_200600_302600_NS6detail15normal_iteratorINS9_10device_ptrIxEEEESE_PS5_SF_jNS0_19identity_decomposerENS1_16block_id_wrapperIjLb0EEEEE10hipError_tT1_PNSt15iterator_traitsISK_E10value_typeET2_T3_PNSL_ISQ_E10value_typeET4_T5_PSV_SW_PNS1_23onesweep_lookback_stateEbbT6_jjT7_P12ihipStream_tbENKUlT_T0_SK_SP_E_clISE_SE_SF_SF_EEDaS13_S14_SK_SP_EUlS13_E_NS1_11comp_targetILNS1_3genE10ELNS1_11target_archE1201ELNS1_3gpuE5ELNS1_3repE0EEENS1_47radix_sort_onesweep_sort_config_static_selectorELNS0_4arch9wavefront6targetE1EEEvSK_
                                        ; -- End function
	.section	.AMDGPU.csdata,"",@progbits
; Kernel info:
; codeLenInByte = 0
; NumSgprs: 6
; NumVgprs: 0
; NumAgprs: 0
; TotalNumVgprs: 0
; ScratchSize: 0
; MemoryBound: 0
; FloatMode: 240
; IeeeMode: 1
; LDSByteSize: 0 bytes/workgroup (compile time only)
; SGPRBlocks: 0
; VGPRBlocks: 0
; NumSGPRsForWavesPerEU: 6
; NumVGPRsForWavesPerEU: 1
; AccumOffset: 4
; Occupancy: 8
; WaveLimiterHint : 0
; COMPUTE_PGM_RSRC2:SCRATCH_EN: 0
; COMPUTE_PGM_RSRC2:USER_SGPR: 2
; COMPUTE_PGM_RSRC2:TRAP_HANDLER: 0
; COMPUTE_PGM_RSRC2:TGID_X_EN: 1
; COMPUTE_PGM_RSRC2:TGID_Y_EN: 0
; COMPUTE_PGM_RSRC2:TGID_Z_EN: 0
; COMPUTE_PGM_RSRC2:TIDIG_COMP_CNT: 0
; COMPUTE_PGM_RSRC3_GFX90A:ACCUM_OFFSET: 0
; COMPUTE_PGM_RSRC3_GFX90A:TG_SPLIT: 0
	.section	.text._ZN7rocprim17ROCPRIM_400000_NS6detail17trampoline_kernelINS0_14default_configENS1_35radix_sort_onesweep_config_selectorIxNS0_10empty_typeEEEZZNS1_29radix_sort_onesweep_iterationIS3_Lb0EN6thrust23THRUST_200600_302600_NS6detail15normal_iteratorINS9_10device_ptrIxEEEESE_PS5_SF_jNS0_19identity_decomposerENS1_16block_id_wrapperIjLb0EEEEE10hipError_tT1_PNSt15iterator_traitsISK_E10value_typeET2_T3_PNSL_ISQ_E10value_typeET4_T5_PSV_SW_PNS1_23onesweep_lookback_stateEbbT6_jjT7_P12ihipStream_tbENKUlT_T0_SK_SP_E_clISE_SE_SF_SF_EEDaS13_S14_SK_SP_EUlS13_E_NS1_11comp_targetILNS1_3genE9ELNS1_11target_archE1100ELNS1_3gpuE3ELNS1_3repE0EEENS1_47radix_sort_onesweep_sort_config_static_selectorELNS0_4arch9wavefront6targetE1EEEvSK_,"axG",@progbits,_ZN7rocprim17ROCPRIM_400000_NS6detail17trampoline_kernelINS0_14default_configENS1_35radix_sort_onesweep_config_selectorIxNS0_10empty_typeEEEZZNS1_29radix_sort_onesweep_iterationIS3_Lb0EN6thrust23THRUST_200600_302600_NS6detail15normal_iteratorINS9_10device_ptrIxEEEESE_PS5_SF_jNS0_19identity_decomposerENS1_16block_id_wrapperIjLb0EEEEE10hipError_tT1_PNSt15iterator_traitsISK_E10value_typeET2_T3_PNSL_ISQ_E10value_typeET4_T5_PSV_SW_PNS1_23onesweep_lookback_stateEbbT6_jjT7_P12ihipStream_tbENKUlT_T0_SK_SP_E_clISE_SE_SF_SF_EEDaS13_S14_SK_SP_EUlS13_E_NS1_11comp_targetILNS1_3genE9ELNS1_11target_archE1100ELNS1_3gpuE3ELNS1_3repE0EEENS1_47radix_sort_onesweep_sort_config_static_selectorELNS0_4arch9wavefront6targetE1EEEvSK_,comdat
	.protected	_ZN7rocprim17ROCPRIM_400000_NS6detail17trampoline_kernelINS0_14default_configENS1_35radix_sort_onesweep_config_selectorIxNS0_10empty_typeEEEZZNS1_29radix_sort_onesweep_iterationIS3_Lb0EN6thrust23THRUST_200600_302600_NS6detail15normal_iteratorINS9_10device_ptrIxEEEESE_PS5_SF_jNS0_19identity_decomposerENS1_16block_id_wrapperIjLb0EEEEE10hipError_tT1_PNSt15iterator_traitsISK_E10value_typeET2_T3_PNSL_ISQ_E10value_typeET4_T5_PSV_SW_PNS1_23onesweep_lookback_stateEbbT6_jjT7_P12ihipStream_tbENKUlT_T0_SK_SP_E_clISE_SE_SF_SF_EEDaS13_S14_SK_SP_EUlS13_E_NS1_11comp_targetILNS1_3genE9ELNS1_11target_archE1100ELNS1_3gpuE3ELNS1_3repE0EEENS1_47radix_sort_onesweep_sort_config_static_selectorELNS0_4arch9wavefront6targetE1EEEvSK_ ; -- Begin function _ZN7rocprim17ROCPRIM_400000_NS6detail17trampoline_kernelINS0_14default_configENS1_35radix_sort_onesweep_config_selectorIxNS0_10empty_typeEEEZZNS1_29radix_sort_onesweep_iterationIS3_Lb0EN6thrust23THRUST_200600_302600_NS6detail15normal_iteratorINS9_10device_ptrIxEEEESE_PS5_SF_jNS0_19identity_decomposerENS1_16block_id_wrapperIjLb0EEEEE10hipError_tT1_PNSt15iterator_traitsISK_E10value_typeET2_T3_PNSL_ISQ_E10value_typeET4_T5_PSV_SW_PNS1_23onesweep_lookback_stateEbbT6_jjT7_P12ihipStream_tbENKUlT_T0_SK_SP_E_clISE_SE_SF_SF_EEDaS13_S14_SK_SP_EUlS13_E_NS1_11comp_targetILNS1_3genE9ELNS1_11target_archE1100ELNS1_3gpuE3ELNS1_3repE0EEENS1_47radix_sort_onesweep_sort_config_static_selectorELNS0_4arch9wavefront6targetE1EEEvSK_
	.globl	_ZN7rocprim17ROCPRIM_400000_NS6detail17trampoline_kernelINS0_14default_configENS1_35radix_sort_onesweep_config_selectorIxNS0_10empty_typeEEEZZNS1_29radix_sort_onesweep_iterationIS3_Lb0EN6thrust23THRUST_200600_302600_NS6detail15normal_iteratorINS9_10device_ptrIxEEEESE_PS5_SF_jNS0_19identity_decomposerENS1_16block_id_wrapperIjLb0EEEEE10hipError_tT1_PNSt15iterator_traitsISK_E10value_typeET2_T3_PNSL_ISQ_E10value_typeET4_T5_PSV_SW_PNS1_23onesweep_lookback_stateEbbT6_jjT7_P12ihipStream_tbENKUlT_T0_SK_SP_E_clISE_SE_SF_SF_EEDaS13_S14_SK_SP_EUlS13_E_NS1_11comp_targetILNS1_3genE9ELNS1_11target_archE1100ELNS1_3gpuE3ELNS1_3repE0EEENS1_47radix_sort_onesweep_sort_config_static_selectorELNS0_4arch9wavefront6targetE1EEEvSK_
	.p2align	8
	.type	_ZN7rocprim17ROCPRIM_400000_NS6detail17trampoline_kernelINS0_14default_configENS1_35radix_sort_onesweep_config_selectorIxNS0_10empty_typeEEEZZNS1_29radix_sort_onesweep_iterationIS3_Lb0EN6thrust23THRUST_200600_302600_NS6detail15normal_iteratorINS9_10device_ptrIxEEEESE_PS5_SF_jNS0_19identity_decomposerENS1_16block_id_wrapperIjLb0EEEEE10hipError_tT1_PNSt15iterator_traitsISK_E10value_typeET2_T3_PNSL_ISQ_E10value_typeET4_T5_PSV_SW_PNS1_23onesweep_lookback_stateEbbT6_jjT7_P12ihipStream_tbENKUlT_T0_SK_SP_E_clISE_SE_SF_SF_EEDaS13_S14_SK_SP_EUlS13_E_NS1_11comp_targetILNS1_3genE9ELNS1_11target_archE1100ELNS1_3gpuE3ELNS1_3repE0EEENS1_47radix_sort_onesweep_sort_config_static_selectorELNS0_4arch9wavefront6targetE1EEEvSK_,@function
_ZN7rocprim17ROCPRIM_400000_NS6detail17trampoline_kernelINS0_14default_configENS1_35radix_sort_onesweep_config_selectorIxNS0_10empty_typeEEEZZNS1_29radix_sort_onesweep_iterationIS3_Lb0EN6thrust23THRUST_200600_302600_NS6detail15normal_iteratorINS9_10device_ptrIxEEEESE_PS5_SF_jNS0_19identity_decomposerENS1_16block_id_wrapperIjLb0EEEEE10hipError_tT1_PNSt15iterator_traitsISK_E10value_typeET2_T3_PNSL_ISQ_E10value_typeET4_T5_PSV_SW_PNS1_23onesweep_lookback_stateEbbT6_jjT7_P12ihipStream_tbENKUlT_T0_SK_SP_E_clISE_SE_SF_SF_EEDaS13_S14_SK_SP_EUlS13_E_NS1_11comp_targetILNS1_3genE9ELNS1_11target_archE1100ELNS1_3gpuE3ELNS1_3repE0EEENS1_47radix_sort_onesweep_sort_config_static_selectorELNS0_4arch9wavefront6targetE1EEEvSK_: ; @_ZN7rocprim17ROCPRIM_400000_NS6detail17trampoline_kernelINS0_14default_configENS1_35radix_sort_onesweep_config_selectorIxNS0_10empty_typeEEEZZNS1_29radix_sort_onesweep_iterationIS3_Lb0EN6thrust23THRUST_200600_302600_NS6detail15normal_iteratorINS9_10device_ptrIxEEEESE_PS5_SF_jNS0_19identity_decomposerENS1_16block_id_wrapperIjLb0EEEEE10hipError_tT1_PNSt15iterator_traitsISK_E10value_typeET2_T3_PNSL_ISQ_E10value_typeET4_T5_PSV_SW_PNS1_23onesweep_lookback_stateEbbT6_jjT7_P12ihipStream_tbENKUlT_T0_SK_SP_E_clISE_SE_SF_SF_EEDaS13_S14_SK_SP_EUlS13_E_NS1_11comp_targetILNS1_3genE9ELNS1_11target_archE1100ELNS1_3gpuE3ELNS1_3repE0EEENS1_47radix_sort_onesweep_sort_config_static_selectorELNS0_4arch9wavefront6targetE1EEEvSK_
; %bb.0:
	.section	.rodata,"a",@progbits
	.p2align	6, 0x0
	.amdhsa_kernel _ZN7rocprim17ROCPRIM_400000_NS6detail17trampoline_kernelINS0_14default_configENS1_35radix_sort_onesweep_config_selectorIxNS0_10empty_typeEEEZZNS1_29radix_sort_onesweep_iterationIS3_Lb0EN6thrust23THRUST_200600_302600_NS6detail15normal_iteratorINS9_10device_ptrIxEEEESE_PS5_SF_jNS0_19identity_decomposerENS1_16block_id_wrapperIjLb0EEEEE10hipError_tT1_PNSt15iterator_traitsISK_E10value_typeET2_T3_PNSL_ISQ_E10value_typeET4_T5_PSV_SW_PNS1_23onesweep_lookback_stateEbbT6_jjT7_P12ihipStream_tbENKUlT_T0_SK_SP_E_clISE_SE_SF_SF_EEDaS13_S14_SK_SP_EUlS13_E_NS1_11comp_targetILNS1_3genE9ELNS1_11target_archE1100ELNS1_3gpuE3ELNS1_3repE0EEENS1_47radix_sort_onesweep_sort_config_static_selectorELNS0_4arch9wavefront6targetE1EEEvSK_
		.amdhsa_group_segment_fixed_size 0
		.amdhsa_private_segment_fixed_size 0
		.amdhsa_kernarg_size 88
		.amdhsa_user_sgpr_count 2
		.amdhsa_user_sgpr_dispatch_ptr 0
		.amdhsa_user_sgpr_queue_ptr 0
		.amdhsa_user_sgpr_kernarg_segment_ptr 1
		.amdhsa_user_sgpr_dispatch_id 0
		.amdhsa_user_sgpr_kernarg_preload_length 0
		.amdhsa_user_sgpr_kernarg_preload_offset 0
		.amdhsa_user_sgpr_private_segment_size 0
		.amdhsa_uses_dynamic_stack 0
		.amdhsa_enable_private_segment 0
		.amdhsa_system_sgpr_workgroup_id_x 1
		.amdhsa_system_sgpr_workgroup_id_y 0
		.amdhsa_system_sgpr_workgroup_id_z 0
		.amdhsa_system_sgpr_workgroup_info 0
		.amdhsa_system_vgpr_workitem_id 0
		.amdhsa_next_free_vgpr 1
		.amdhsa_next_free_sgpr 0
		.amdhsa_accum_offset 4
		.amdhsa_reserve_vcc 0
		.amdhsa_float_round_mode_32 0
		.amdhsa_float_round_mode_16_64 0
		.amdhsa_float_denorm_mode_32 3
		.amdhsa_float_denorm_mode_16_64 3
		.amdhsa_dx10_clamp 1
		.amdhsa_ieee_mode 1
		.amdhsa_fp16_overflow 0
		.amdhsa_tg_split 0
		.amdhsa_exception_fp_ieee_invalid_op 0
		.amdhsa_exception_fp_denorm_src 0
		.amdhsa_exception_fp_ieee_div_zero 0
		.amdhsa_exception_fp_ieee_overflow 0
		.amdhsa_exception_fp_ieee_underflow 0
		.amdhsa_exception_fp_ieee_inexact 0
		.amdhsa_exception_int_div_zero 0
	.end_amdhsa_kernel
	.section	.text._ZN7rocprim17ROCPRIM_400000_NS6detail17trampoline_kernelINS0_14default_configENS1_35radix_sort_onesweep_config_selectorIxNS0_10empty_typeEEEZZNS1_29radix_sort_onesweep_iterationIS3_Lb0EN6thrust23THRUST_200600_302600_NS6detail15normal_iteratorINS9_10device_ptrIxEEEESE_PS5_SF_jNS0_19identity_decomposerENS1_16block_id_wrapperIjLb0EEEEE10hipError_tT1_PNSt15iterator_traitsISK_E10value_typeET2_T3_PNSL_ISQ_E10value_typeET4_T5_PSV_SW_PNS1_23onesweep_lookback_stateEbbT6_jjT7_P12ihipStream_tbENKUlT_T0_SK_SP_E_clISE_SE_SF_SF_EEDaS13_S14_SK_SP_EUlS13_E_NS1_11comp_targetILNS1_3genE9ELNS1_11target_archE1100ELNS1_3gpuE3ELNS1_3repE0EEENS1_47radix_sort_onesweep_sort_config_static_selectorELNS0_4arch9wavefront6targetE1EEEvSK_,"axG",@progbits,_ZN7rocprim17ROCPRIM_400000_NS6detail17trampoline_kernelINS0_14default_configENS1_35radix_sort_onesweep_config_selectorIxNS0_10empty_typeEEEZZNS1_29radix_sort_onesweep_iterationIS3_Lb0EN6thrust23THRUST_200600_302600_NS6detail15normal_iteratorINS9_10device_ptrIxEEEESE_PS5_SF_jNS0_19identity_decomposerENS1_16block_id_wrapperIjLb0EEEEE10hipError_tT1_PNSt15iterator_traitsISK_E10value_typeET2_T3_PNSL_ISQ_E10value_typeET4_T5_PSV_SW_PNS1_23onesweep_lookback_stateEbbT6_jjT7_P12ihipStream_tbENKUlT_T0_SK_SP_E_clISE_SE_SF_SF_EEDaS13_S14_SK_SP_EUlS13_E_NS1_11comp_targetILNS1_3genE9ELNS1_11target_archE1100ELNS1_3gpuE3ELNS1_3repE0EEENS1_47radix_sort_onesweep_sort_config_static_selectorELNS0_4arch9wavefront6targetE1EEEvSK_,comdat
.Lfunc_end1576:
	.size	_ZN7rocprim17ROCPRIM_400000_NS6detail17trampoline_kernelINS0_14default_configENS1_35radix_sort_onesweep_config_selectorIxNS0_10empty_typeEEEZZNS1_29radix_sort_onesweep_iterationIS3_Lb0EN6thrust23THRUST_200600_302600_NS6detail15normal_iteratorINS9_10device_ptrIxEEEESE_PS5_SF_jNS0_19identity_decomposerENS1_16block_id_wrapperIjLb0EEEEE10hipError_tT1_PNSt15iterator_traitsISK_E10value_typeET2_T3_PNSL_ISQ_E10value_typeET4_T5_PSV_SW_PNS1_23onesweep_lookback_stateEbbT6_jjT7_P12ihipStream_tbENKUlT_T0_SK_SP_E_clISE_SE_SF_SF_EEDaS13_S14_SK_SP_EUlS13_E_NS1_11comp_targetILNS1_3genE9ELNS1_11target_archE1100ELNS1_3gpuE3ELNS1_3repE0EEENS1_47radix_sort_onesweep_sort_config_static_selectorELNS0_4arch9wavefront6targetE1EEEvSK_, .Lfunc_end1576-_ZN7rocprim17ROCPRIM_400000_NS6detail17trampoline_kernelINS0_14default_configENS1_35radix_sort_onesweep_config_selectorIxNS0_10empty_typeEEEZZNS1_29radix_sort_onesweep_iterationIS3_Lb0EN6thrust23THRUST_200600_302600_NS6detail15normal_iteratorINS9_10device_ptrIxEEEESE_PS5_SF_jNS0_19identity_decomposerENS1_16block_id_wrapperIjLb0EEEEE10hipError_tT1_PNSt15iterator_traitsISK_E10value_typeET2_T3_PNSL_ISQ_E10value_typeET4_T5_PSV_SW_PNS1_23onesweep_lookback_stateEbbT6_jjT7_P12ihipStream_tbENKUlT_T0_SK_SP_E_clISE_SE_SF_SF_EEDaS13_S14_SK_SP_EUlS13_E_NS1_11comp_targetILNS1_3genE9ELNS1_11target_archE1100ELNS1_3gpuE3ELNS1_3repE0EEENS1_47radix_sort_onesweep_sort_config_static_selectorELNS0_4arch9wavefront6targetE1EEEvSK_
                                        ; -- End function
	.section	.AMDGPU.csdata,"",@progbits
; Kernel info:
; codeLenInByte = 0
; NumSgprs: 6
; NumVgprs: 0
; NumAgprs: 0
; TotalNumVgprs: 0
; ScratchSize: 0
; MemoryBound: 0
; FloatMode: 240
; IeeeMode: 1
; LDSByteSize: 0 bytes/workgroup (compile time only)
; SGPRBlocks: 0
; VGPRBlocks: 0
; NumSGPRsForWavesPerEU: 6
; NumVGPRsForWavesPerEU: 1
; AccumOffset: 4
; Occupancy: 8
; WaveLimiterHint : 0
; COMPUTE_PGM_RSRC2:SCRATCH_EN: 0
; COMPUTE_PGM_RSRC2:USER_SGPR: 2
; COMPUTE_PGM_RSRC2:TRAP_HANDLER: 0
; COMPUTE_PGM_RSRC2:TGID_X_EN: 1
; COMPUTE_PGM_RSRC2:TGID_Y_EN: 0
; COMPUTE_PGM_RSRC2:TGID_Z_EN: 0
; COMPUTE_PGM_RSRC2:TIDIG_COMP_CNT: 0
; COMPUTE_PGM_RSRC3_GFX90A:ACCUM_OFFSET: 0
; COMPUTE_PGM_RSRC3_GFX90A:TG_SPLIT: 0
	.section	.text._ZN7rocprim17ROCPRIM_400000_NS6detail17trampoline_kernelINS0_14default_configENS1_35radix_sort_onesweep_config_selectorIxNS0_10empty_typeEEEZZNS1_29radix_sort_onesweep_iterationIS3_Lb0EN6thrust23THRUST_200600_302600_NS6detail15normal_iteratorINS9_10device_ptrIxEEEESE_PS5_SF_jNS0_19identity_decomposerENS1_16block_id_wrapperIjLb0EEEEE10hipError_tT1_PNSt15iterator_traitsISK_E10value_typeET2_T3_PNSL_ISQ_E10value_typeET4_T5_PSV_SW_PNS1_23onesweep_lookback_stateEbbT6_jjT7_P12ihipStream_tbENKUlT_T0_SK_SP_E_clISE_SE_SF_SF_EEDaS13_S14_SK_SP_EUlS13_E_NS1_11comp_targetILNS1_3genE8ELNS1_11target_archE1030ELNS1_3gpuE2ELNS1_3repE0EEENS1_47radix_sort_onesweep_sort_config_static_selectorELNS0_4arch9wavefront6targetE1EEEvSK_,"axG",@progbits,_ZN7rocprim17ROCPRIM_400000_NS6detail17trampoline_kernelINS0_14default_configENS1_35radix_sort_onesweep_config_selectorIxNS0_10empty_typeEEEZZNS1_29radix_sort_onesweep_iterationIS3_Lb0EN6thrust23THRUST_200600_302600_NS6detail15normal_iteratorINS9_10device_ptrIxEEEESE_PS5_SF_jNS0_19identity_decomposerENS1_16block_id_wrapperIjLb0EEEEE10hipError_tT1_PNSt15iterator_traitsISK_E10value_typeET2_T3_PNSL_ISQ_E10value_typeET4_T5_PSV_SW_PNS1_23onesweep_lookback_stateEbbT6_jjT7_P12ihipStream_tbENKUlT_T0_SK_SP_E_clISE_SE_SF_SF_EEDaS13_S14_SK_SP_EUlS13_E_NS1_11comp_targetILNS1_3genE8ELNS1_11target_archE1030ELNS1_3gpuE2ELNS1_3repE0EEENS1_47radix_sort_onesweep_sort_config_static_selectorELNS0_4arch9wavefront6targetE1EEEvSK_,comdat
	.protected	_ZN7rocprim17ROCPRIM_400000_NS6detail17trampoline_kernelINS0_14default_configENS1_35radix_sort_onesweep_config_selectorIxNS0_10empty_typeEEEZZNS1_29radix_sort_onesweep_iterationIS3_Lb0EN6thrust23THRUST_200600_302600_NS6detail15normal_iteratorINS9_10device_ptrIxEEEESE_PS5_SF_jNS0_19identity_decomposerENS1_16block_id_wrapperIjLb0EEEEE10hipError_tT1_PNSt15iterator_traitsISK_E10value_typeET2_T3_PNSL_ISQ_E10value_typeET4_T5_PSV_SW_PNS1_23onesweep_lookback_stateEbbT6_jjT7_P12ihipStream_tbENKUlT_T0_SK_SP_E_clISE_SE_SF_SF_EEDaS13_S14_SK_SP_EUlS13_E_NS1_11comp_targetILNS1_3genE8ELNS1_11target_archE1030ELNS1_3gpuE2ELNS1_3repE0EEENS1_47radix_sort_onesweep_sort_config_static_selectorELNS0_4arch9wavefront6targetE1EEEvSK_ ; -- Begin function _ZN7rocprim17ROCPRIM_400000_NS6detail17trampoline_kernelINS0_14default_configENS1_35radix_sort_onesweep_config_selectorIxNS0_10empty_typeEEEZZNS1_29radix_sort_onesweep_iterationIS3_Lb0EN6thrust23THRUST_200600_302600_NS6detail15normal_iteratorINS9_10device_ptrIxEEEESE_PS5_SF_jNS0_19identity_decomposerENS1_16block_id_wrapperIjLb0EEEEE10hipError_tT1_PNSt15iterator_traitsISK_E10value_typeET2_T3_PNSL_ISQ_E10value_typeET4_T5_PSV_SW_PNS1_23onesweep_lookback_stateEbbT6_jjT7_P12ihipStream_tbENKUlT_T0_SK_SP_E_clISE_SE_SF_SF_EEDaS13_S14_SK_SP_EUlS13_E_NS1_11comp_targetILNS1_3genE8ELNS1_11target_archE1030ELNS1_3gpuE2ELNS1_3repE0EEENS1_47radix_sort_onesweep_sort_config_static_selectorELNS0_4arch9wavefront6targetE1EEEvSK_
	.globl	_ZN7rocprim17ROCPRIM_400000_NS6detail17trampoline_kernelINS0_14default_configENS1_35radix_sort_onesweep_config_selectorIxNS0_10empty_typeEEEZZNS1_29radix_sort_onesweep_iterationIS3_Lb0EN6thrust23THRUST_200600_302600_NS6detail15normal_iteratorINS9_10device_ptrIxEEEESE_PS5_SF_jNS0_19identity_decomposerENS1_16block_id_wrapperIjLb0EEEEE10hipError_tT1_PNSt15iterator_traitsISK_E10value_typeET2_T3_PNSL_ISQ_E10value_typeET4_T5_PSV_SW_PNS1_23onesweep_lookback_stateEbbT6_jjT7_P12ihipStream_tbENKUlT_T0_SK_SP_E_clISE_SE_SF_SF_EEDaS13_S14_SK_SP_EUlS13_E_NS1_11comp_targetILNS1_3genE8ELNS1_11target_archE1030ELNS1_3gpuE2ELNS1_3repE0EEENS1_47radix_sort_onesweep_sort_config_static_selectorELNS0_4arch9wavefront6targetE1EEEvSK_
	.p2align	8
	.type	_ZN7rocprim17ROCPRIM_400000_NS6detail17trampoline_kernelINS0_14default_configENS1_35radix_sort_onesweep_config_selectorIxNS0_10empty_typeEEEZZNS1_29radix_sort_onesweep_iterationIS3_Lb0EN6thrust23THRUST_200600_302600_NS6detail15normal_iteratorINS9_10device_ptrIxEEEESE_PS5_SF_jNS0_19identity_decomposerENS1_16block_id_wrapperIjLb0EEEEE10hipError_tT1_PNSt15iterator_traitsISK_E10value_typeET2_T3_PNSL_ISQ_E10value_typeET4_T5_PSV_SW_PNS1_23onesweep_lookback_stateEbbT6_jjT7_P12ihipStream_tbENKUlT_T0_SK_SP_E_clISE_SE_SF_SF_EEDaS13_S14_SK_SP_EUlS13_E_NS1_11comp_targetILNS1_3genE8ELNS1_11target_archE1030ELNS1_3gpuE2ELNS1_3repE0EEENS1_47radix_sort_onesweep_sort_config_static_selectorELNS0_4arch9wavefront6targetE1EEEvSK_,@function
_ZN7rocprim17ROCPRIM_400000_NS6detail17trampoline_kernelINS0_14default_configENS1_35radix_sort_onesweep_config_selectorIxNS0_10empty_typeEEEZZNS1_29radix_sort_onesweep_iterationIS3_Lb0EN6thrust23THRUST_200600_302600_NS6detail15normal_iteratorINS9_10device_ptrIxEEEESE_PS5_SF_jNS0_19identity_decomposerENS1_16block_id_wrapperIjLb0EEEEE10hipError_tT1_PNSt15iterator_traitsISK_E10value_typeET2_T3_PNSL_ISQ_E10value_typeET4_T5_PSV_SW_PNS1_23onesweep_lookback_stateEbbT6_jjT7_P12ihipStream_tbENKUlT_T0_SK_SP_E_clISE_SE_SF_SF_EEDaS13_S14_SK_SP_EUlS13_E_NS1_11comp_targetILNS1_3genE8ELNS1_11target_archE1030ELNS1_3gpuE2ELNS1_3repE0EEENS1_47radix_sort_onesweep_sort_config_static_selectorELNS0_4arch9wavefront6targetE1EEEvSK_: ; @_ZN7rocprim17ROCPRIM_400000_NS6detail17trampoline_kernelINS0_14default_configENS1_35radix_sort_onesweep_config_selectorIxNS0_10empty_typeEEEZZNS1_29radix_sort_onesweep_iterationIS3_Lb0EN6thrust23THRUST_200600_302600_NS6detail15normal_iteratorINS9_10device_ptrIxEEEESE_PS5_SF_jNS0_19identity_decomposerENS1_16block_id_wrapperIjLb0EEEEE10hipError_tT1_PNSt15iterator_traitsISK_E10value_typeET2_T3_PNSL_ISQ_E10value_typeET4_T5_PSV_SW_PNS1_23onesweep_lookback_stateEbbT6_jjT7_P12ihipStream_tbENKUlT_T0_SK_SP_E_clISE_SE_SF_SF_EEDaS13_S14_SK_SP_EUlS13_E_NS1_11comp_targetILNS1_3genE8ELNS1_11target_archE1030ELNS1_3gpuE2ELNS1_3repE0EEENS1_47radix_sort_onesweep_sort_config_static_selectorELNS0_4arch9wavefront6targetE1EEEvSK_
; %bb.0:
	.section	.rodata,"a",@progbits
	.p2align	6, 0x0
	.amdhsa_kernel _ZN7rocprim17ROCPRIM_400000_NS6detail17trampoline_kernelINS0_14default_configENS1_35radix_sort_onesweep_config_selectorIxNS0_10empty_typeEEEZZNS1_29radix_sort_onesweep_iterationIS3_Lb0EN6thrust23THRUST_200600_302600_NS6detail15normal_iteratorINS9_10device_ptrIxEEEESE_PS5_SF_jNS0_19identity_decomposerENS1_16block_id_wrapperIjLb0EEEEE10hipError_tT1_PNSt15iterator_traitsISK_E10value_typeET2_T3_PNSL_ISQ_E10value_typeET4_T5_PSV_SW_PNS1_23onesweep_lookback_stateEbbT6_jjT7_P12ihipStream_tbENKUlT_T0_SK_SP_E_clISE_SE_SF_SF_EEDaS13_S14_SK_SP_EUlS13_E_NS1_11comp_targetILNS1_3genE8ELNS1_11target_archE1030ELNS1_3gpuE2ELNS1_3repE0EEENS1_47radix_sort_onesweep_sort_config_static_selectorELNS0_4arch9wavefront6targetE1EEEvSK_
		.amdhsa_group_segment_fixed_size 0
		.amdhsa_private_segment_fixed_size 0
		.amdhsa_kernarg_size 88
		.amdhsa_user_sgpr_count 2
		.amdhsa_user_sgpr_dispatch_ptr 0
		.amdhsa_user_sgpr_queue_ptr 0
		.amdhsa_user_sgpr_kernarg_segment_ptr 1
		.amdhsa_user_sgpr_dispatch_id 0
		.amdhsa_user_sgpr_kernarg_preload_length 0
		.amdhsa_user_sgpr_kernarg_preload_offset 0
		.amdhsa_user_sgpr_private_segment_size 0
		.amdhsa_uses_dynamic_stack 0
		.amdhsa_enable_private_segment 0
		.amdhsa_system_sgpr_workgroup_id_x 1
		.amdhsa_system_sgpr_workgroup_id_y 0
		.amdhsa_system_sgpr_workgroup_id_z 0
		.amdhsa_system_sgpr_workgroup_info 0
		.amdhsa_system_vgpr_workitem_id 0
		.amdhsa_next_free_vgpr 1
		.amdhsa_next_free_sgpr 0
		.amdhsa_accum_offset 4
		.amdhsa_reserve_vcc 0
		.amdhsa_float_round_mode_32 0
		.amdhsa_float_round_mode_16_64 0
		.amdhsa_float_denorm_mode_32 3
		.amdhsa_float_denorm_mode_16_64 3
		.amdhsa_dx10_clamp 1
		.amdhsa_ieee_mode 1
		.amdhsa_fp16_overflow 0
		.amdhsa_tg_split 0
		.amdhsa_exception_fp_ieee_invalid_op 0
		.amdhsa_exception_fp_denorm_src 0
		.amdhsa_exception_fp_ieee_div_zero 0
		.amdhsa_exception_fp_ieee_overflow 0
		.amdhsa_exception_fp_ieee_underflow 0
		.amdhsa_exception_fp_ieee_inexact 0
		.amdhsa_exception_int_div_zero 0
	.end_amdhsa_kernel
	.section	.text._ZN7rocprim17ROCPRIM_400000_NS6detail17trampoline_kernelINS0_14default_configENS1_35radix_sort_onesweep_config_selectorIxNS0_10empty_typeEEEZZNS1_29radix_sort_onesweep_iterationIS3_Lb0EN6thrust23THRUST_200600_302600_NS6detail15normal_iteratorINS9_10device_ptrIxEEEESE_PS5_SF_jNS0_19identity_decomposerENS1_16block_id_wrapperIjLb0EEEEE10hipError_tT1_PNSt15iterator_traitsISK_E10value_typeET2_T3_PNSL_ISQ_E10value_typeET4_T5_PSV_SW_PNS1_23onesweep_lookback_stateEbbT6_jjT7_P12ihipStream_tbENKUlT_T0_SK_SP_E_clISE_SE_SF_SF_EEDaS13_S14_SK_SP_EUlS13_E_NS1_11comp_targetILNS1_3genE8ELNS1_11target_archE1030ELNS1_3gpuE2ELNS1_3repE0EEENS1_47radix_sort_onesweep_sort_config_static_selectorELNS0_4arch9wavefront6targetE1EEEvSK_,"axG",@progbits,_ZN7rocprim17ROCPRIM_400000_NS6detail17trampoline_kernelINS0_14default_configENS1_35radix_sort_onesweep_config_selectorIxNS0_10empty_typeEEEZZNS1_29radix_sort_onesweep_iterationIS3_Lb0EN6thrust23THRUST_200600_302600_NS6detail15normal_iteratorINS9_10device_ptrIxEEEESE_PS5_SF_jNS0_19identity_decomposerENS1_16block_id_wrapperIjLb0EEEEE10hipError_tT1_PNSt15iterator_traitsISK_E10value_typeET2_T3_PNSL_ISQ_E10value_typeET4_T5_PSV_SW_PNS1_23onesweep_lookback_stateEbbT6_jjT7_P12ihipStream_tbENKUlT_T0_SK_SP_E_clISE_SE_SF_SF_EEDaS13_S14_SK_SP_EUlS13_E_NS1_11comp_targetILNS1_3genE8ELNS1_11target_archE1030ELNS1_3gpuE2ELNS1_3repE0EEENS1_47radix_sort_onesweep_sort_config_static_selectorELNS0_4arch9wavefront6targetE1EEEvSK_,comdat
.Lfunc_end1577:
	.size	_ZN7rocprim17ROCPRIM_400000_NS6detail17trampoline_kernelINS0_14default_configENS1_35radix_sort_onesweep_config_selectorIxNS0_10empty_typeEEEZZNS1_29radix_sort_onesweep_iterationIS3_Lb0EN6thrust23THRUST_200600_302600_NS6detail15normal_iteratorINS9_10device_ptrIxEEEESE_PS5_SF_jNS0_19identity_decomposerENS1_16block_id_wrapperIjLb0EEEEE10hipError_tT1_PNSt15iterator_traitsISK_E10value_typeET2_T3_PNSL_ISQ_E10value_typeET4_T5_PSV_SW_PNS1_23onesweep_lookback_stateEbbT6_jjT7_P12ihipStream_tbENKUlT_T0_SK_SP_E_clISE_SE_SF_SF_EEDaS13_S14_SK_SP_EUlS13_E_NS1_11comp_targetILNS1_3genE8ELNS1_11target_archE1030ELNS1_3gpuE2ELNS1_3repE0EEENS1_47radix_sort_onesweep_sort_config_static_selectorELNS0_4arch9wavefront6targetE1EEEvSK_, .Lfunc_end1577-_ZN7rocprim17ROCPRIM_400000_NS6detail17trampoline_kernelINS0_14default_configENS1_35radix_sort_onesweep_config_selectorIxNS0_10empty_typeEEEZZNS1_29radix_sort_onesweep_iterationIS3_Lb0EN6thrust23THRUST_200600_302600_NS6detail15normal_iteratorINS9_10device_ptrIxEEEESE_PS5_SF_jNS0_19identity_decomposerENS1_16block_id_wrapperIjLb0EEEEE10hipError_tT1_PNSt15iterator_traitsISK_E10value_typeET2_T3_PNSL_ISQ_E10value_typeET4_T5_PSV_SW_PNS1_23onesweep_lookback_stateEbbT6_jjT7_P12ihipStream_tbENKUlT_T0_SK_SP_E_clISE_SE_SF_SF_EEDaS13_S14_SK_SP_EUlS13_E_NS1_11comp_targetILNS1_3genE8ELNS1_11target_archE1030ELNS1_3gpuE2ELNS1_3repE0EEENS1_47radix_sort_onesweep_sort_config_static_selectorELNS0_4arch9wavefront6targetE1EEEvSK_
                                        ; -- End function
	.section	.AMDGPU.csdata,"",@progbits
; Kernel info:
; codeLenInByte = 0
; NumSgprs: 6
; NumVgprs: 0
; NumAgprs: 0
; TotalNumVgprs: 0
; ScratchSize: 0
; MemoryBound: 0
; FloatMode: 240
; IeeeMode: 1
; LDSByteSize: 0 bytes/workgroup (compile time only)
; SGPRBlocks: 0
; VGPRBlocks: 0
; NumSGPRsForWavesPerEU: 6
; NumVGPRsForWavesPerEU: 1
; AccumOffset: 4
; Occupancy: 8
; WaveLimiterHint : 0
; COMPUTE_PGM_RSRC2:SCRATCH_EN: 0
; COMPUTE_PGM_RSRC2:USER_SGPR: 2
; COMPUTE_PGM_RSRC2:TRAP_HANDLER: 0
; COMPUTE_PGM_RSRC2:TGID_X_EN: 1
; COMPUTE_PGM_RSRC2:TGID_Y_EN: 0
; COMPUTE_PGM_RSRC2:TGID_Z_EN: 0
; COMPUTE_PGM_RSRC2:TIDIG_COMP_CNT: 0
; COMPUTE_PGM_RSRC3_GFX90A:ACCUM_OFFSET: 0
; COMPUTE_PGM_RSRC3_GFX90A:TG_SPLIT: 0
	.section	.text._ZN7rocprim17ROCPRIM_400000_NS6detail17trampoline_kernelINS0_14default_configENS1_35radix_sort_onesweep_config_selectorIxNS0_10empty_typeEEEZZNS1_29radix_sort_onesweep_iterationIS3_Lb0EN6thrust23THRUST_200600_302600_NS6detail15normal_iteratorINS9_10device_ptrIxEEEESE_PS5_SF_jNS0_19identity_decomposerENS1_16block_id_wrapperIjLb0EEEEE10hipError_tT1_PNSt15iterator_traitsISK_E10value_typeET2_T3_PNSL_ISQ_E10value_typeET4_T5_PSV_SW_PNS1_23onesweep_lookback_stateEbbT6_jjT7_P12ihipStream_tbENKUlT_T0_SK_SP_E_clISE_PxSF_SF_EEDaS13_S14_SK_SP_EUlS13_E_NS1_11comp_targetILNS1_3genE0ELNS1_11target_archE4294967295ELNS1_3gpuE0ELNS1_3repE0EEENS1_47radix_sort_onesweep_sort_config_static_selectorELNS0_4arch9wavefront6targetE1EEEvSK_,"axG",@progbits,_ZN7rocprim17ROCPRIM_400000_NS6detail17trampoline_kernelINS0_14default_configENS1_35radix_sort_onesweep_config_selectorIxNS0_10empty_typeEEEZZNS1_29radix_sort_onesweep_iterationIS3_Lb0EN6thrust23THRUST_200600_302600_NS6detail15normal_iteratorINS9_10device_ptrIxEEEESE_PS5_SF_jNS0_19identity_decomposerENS1_16block_id_wrapperIjLb0EEEEE10hipError_tT1_PNSt15iterator_traitsISK_E10value_typeET2_T3_PNSL_ISQ_E10value_typeET4_T5_PSV_SW_PNS1_23onesweep_lookback_stateEbbT6_jjT7_P12ihipStream_tbENKUlT_T0_SK_SP_E_clISE_PxSF_SF_EEDaS13_S14_SK_SP_EUlS13_E_NS1_11comp_targetILNS1_3genE0ELNS1_11target_archE4294967295ELNS1_3gpuE0ELNS1_3repE0EEENS1_47radix_sort_onesweep_sort_config_static_selectorELNS0_4arch9wavefront6targetE1EEEvSK_,comdat
	.protected	_ZN7rocprim17ROCPRIM_400000_NS6detail17trampoline_kernelINS0_14default_configENS1_35radix_sort_onesweep_config_selectorIxNS0_10empty_typeEEEZZNS1_29radix_sort_onesweep_iterationIS3_Lb0EN6thrust23THRUST_200600_302600_NS6detail15normal_iteratorINS9_10device_ptrIxEEEESE_PS5_SF_jNS0_19identity_decomposerENS1_16block_id_wrapperIjLb0EEEEE10hipError_tT1_PNSt15iterator_traitsISK_E10value_typeET2_T3_PNSL_ISQ_E10value_typeET4_T5_PSV_SW_PNS1_23onesweep_lookback_stateEbbT6_jjT7_P12ihipStream_tbENKUlT_T0_SK_SP_E_clISE_PxSF_SF_EEDaS13_S14_SK_SP_EUlS13_E_NS1_11comp_targetILNS1_3genE0ELNS1_11target_archE4294967295ELNS1_3gpuE0ELNS1_3repE0EEENS1_47radix_sort_onesweep_sort_config_static_selectorELNS0_4arch9wavefront6targetE1EEEvSK_ ; -- Begin function _ZN7rocprim17ROCPRIM_400000_NS6detail17trampoline_kernelINS0_14default_configENS1_35radix_sort_onesweep_config_selectorIxNS0_10empty_typeEEEZZNS1_29radix_sort_onesweep_iterationIS3_Lb0EN6thrust23THRUST_200600_302600_NS6detail15normal_iteratorINS9_10device_ptrIxEEEESE_PS5_SF_jNS0_19identity_decomposerENS1_16block_id_wrapperIjLb0EEEEE10hipError_tT1_PNSt15iterator_traitsISK_E10value_typeET2_T3_PNSL_ISQ_E10value_typeET4_T5_PSV_SW_PNS1_23onesweep_lookback_stateEbbT6_jjT7_P12ihipStream_tbENKUlT_T0_SK_SP_E_clISE_PxSF_SF_EEDaS13_S14_SK_SP_EUlS13_E_NS1_11comp_targetILNS1_3genE0ELNS1_11target_archE4294967295ELNS1_3gpuE0ELNS1_3repE0EEENS1_47radix_sort_onesweep_sort_config_static_selectorELNS0_4arch9wavefront6targetE1EEEvSK_
	.globl	_ZN7rocprim17ROCPRIM_400000_NS6detail17trampoline_kernelINS0_14default_configENS1_35radix_sort_onesweep_config_selectorIxNS0_10empty_typeEEEZZNS1_29radix_sort_onesweep_iterationIS3_Lb0EN6thrust23THRUST_200600_302600_NS6detail15normal_iteratorINS9_10device_ptrIxEEEESE_PS5_SF_jNS0_19identity_decomposerENS1_16block_id_wrapperIjLb0EEEEE10hipError_tT1_PNSt15iterator_traitsISK_E10value_typeET2_T3_PNSL_ISQ_E10value_typeET4_T5_PSV_SW_PNS1_23onesweep_lookback_stateEbbT6_jjT7_P12ihipStream_tbENKUlT_T0_SK_SP_E_clISE_PxSF_SF_EEDaS13_S14_SK_SP_EUlS13_E_NS1_11comp_targetILNS1_3genE0ELNS1_11target_archE4294967295ELNS1_3gpuE0ELNS1_3repE0EEENS1_47radix_sort_onesweep_sort_config_static_selectorELNS0_4arch9wavefront6targetE1EEEvSK_
	.p2align	8
	.type	_ZN7rocprim17ROCPRIM_400000_NS6detail17trampoline_kernelINS0_14default_configENS1_35radix_sort_onesweep_config_selectorIxNS0_10empty_typeEEEZZNS1_29radix_sort_onesweep_iterationIS3_Lb0EN6thrust23THRUST_200600_302600_NS6detail15normal_iteratorINS9_10device_ptrIxEEEESE_PS5_SF_jNS0_19identity_decomposerENS1_16block_id_wrapperIjLb0EEEEE10hipError_tT1_PNSt15iterator_traitsISK_E10value_typeET2_T3_PNSL_ISQ_E10value_typeET4_T5_PSV_SW_PNS1_23onesweep_lookback_stateEbbT6_jjT7_P12ihipStream_tbENKUlT_T0_SK_SP_E_clISE_PxSF_SF_EEDaS13_S14_SK_SP_EUlS13_E_NS1_11comp_targetILNS1_3genE0ELNS1_11target_archE4294967295ELNS1_3gpuE0ELNS1_3repE0EEENS1_47radix_sort_onesweep_sort_config_static_selectorELNS0_4arch9wavefront6targetE1EEEvSK_,@function
_ZN7rocprim17ROCPRIM_400000_NS6detail17trampoline_kernelINS0_14default_configENS1_35radix_sort_onesweep_config_selectorIxNS0_10empty_typeEEEZZNS1_29radix_sort_onesweep_iterationIS3_Lb0EN6thrust23THRUST_200600_302600_NS6detail15normal_iteratorINS9_10device_ptrIxEEEESE_PS5_SF_jNS0_19identity_decomposerENS1_16block_id_wrapperIjLb0EEEEE10hipError_tT1_PNSt15iterator_traitsISK_E10value_typeET2_T3_PNSL_ISQ_E10value_typeET4_T5_PSV_SW_PNS1_23onesweep_lookback_stateEbbT6_jjT7_P12ihipStream_tbENKUlT_T0_SK_SP_E_clISE_PxSF_SF_EEDaS13_S14_SK_SP_EUlS13_E_NS1_11comp_targetILNS1_3genE0ELNS1_11target_archE4294967295ELNS1_3gpuE0ELNS1_3repE0EEENS1_47radix_sort_onesweep_sort_config_static_selectorELNS0_4arch9wavefront6targetE1EEEvSK_: ; @_ZN7rocprim17ROCPRIM_400000_NS6detail17trampoline_kernelINS0_14default_configENS1_35radix_sort_onesweep_config_selectorIxNS0_10empty_typeEEEZZNS1_29radix_sort_onesweep_iterationIS3_Lb0EN6thrust23THRUST_200600_302600_NS6detail15normal_iteratorINS9_10device_ptrIxEEEESE_PS5_SF_jNS0_19identity_decomposerENS1_16block_id_wrapperIjLb0EEEEE10hipError_tT1_PNSt15iterator_traitsISK_E10value_typeET2_T3_PNSL_ISQ_E10value_typeET4_T5_PSV_SW_PNS1_23onesweep_lookback_stateEbbT6_jjT7_P12ihipStream_tbENKUlT_T0_SK_SP_E_clISE_PxSF_SF_EEDaS13_S14_SK_SP_EUlS13_E_NS1_11comp_targetILNS1_3genE0ELNS1_11target_archE4294967295ELNS1_3gpuE0ELNS1_3repE0EEENS1_47radix_sort_onesweep_sort_config_static_selectorELNS0_4arch9wavefront6targetE1EEEvSK_
; %bb.0:
	.section	.rodata,"a",@progbits
	.p2align	6, 0x0
	.amdhsa_kernel _ZN7rocprim17ROCPRIM_400000_NS6detail17trampoline_kernelINS0_14default_configENS1_35radix_sort_onesweep_config_selectorIxNS0_10empty_typeEEEZZNS1_29radix_sort_onesweep_iterationIS3_Lb0EN6thrust23THRUST_200600_302600_NS6detail15normal_iteratorINS9_10device_ptrIxEEEESE_PS5_SF_jNS0_19identity_decomposerENS1_16block_id_wrapperIjLb0EEEEE10hipError_tT1_PNSt15iterator_traitsISK_E10value_typeET2_T3_PNSL_ISQ_E10value_typeET4_T5_PSV_SW_PNS1_23onesweep_lookback_stateEbbT6_jjT7_P12ihipStream_tbENKUlT_T0_SK_SP_E_clISE_PxSF_SF_EEDaS13_S14_SK_SP_EUlS13_E_NS1_11comp_targetILNS1_3genE0ELNS1_11target_archE4294967295ELNS1_3gpuE0ELNS1_3repE0EEENS1_47radix_sort_onesweep_sort_config_static_selectorELNS0_4arch9wavefront6targetE1EEEvSK_
		.amdhsa_group_segment_fixed_size 0
		.amdhsa_private_segment_fixed_size 0
		.amdhsa_kernarg_size 88
		.amdhsa_user_sgpr_count 2
		.amdhsa_user_sgpr_dispatch_ptr 0
		.amdhsa_user_sgpr_queue_ptr 0
		.amdhsa_user_sgpr_kernarg_segment_ptr 1
		.amdhsa_user_sgpr_dispatch_id 0
		.amdhsa_user_sgpr_kernarg_preload_length 0
		.amdhsa_user_sgpr_kernarg_preload_offset 0
		.amdhsa_user_sgpr_private_segment_size 0
		.amdhsa_uses_dynamic_stack 0
		.amdhsa_enable_private_segment 0
		.amdhsa_system_sgpr_workgroup_id_x 1
		.amdhsa_system_sgpr_workgroup_id_y 0
		.amdhsa_system_sgpr_workgroup_id_z 0
		.amdhsa_system_sgpr_workgroup_info 0
		.amdhsa_system_vgpr_workitem_id 0
		.amdhsa_next_free_vgpr 1
		.amdhsa_next_free_sgpr 0
		.amdhsa_accum_offset 4
		.amdhsa_reserve_vcc 0
		.amdhsa_float_round_mode_32 0
		.amdhsa_float_round_mode_16_64 0
		.amdhsa_float_denorm_mode_32 3
		.amdhsa_float_denorm_mode_16_64 3
		.amdhsa_dx10_clamp 1
		.amdhsa_ieee_mode 1
		.amdhsa_fp16_overflow 0
		.amdhsa_tg_split 0
		.amdhsa_exception_fp_ieee_invalid_op 0
		.amdhsa_exception_fp_denorm_src 0
		.amdhsa_exception_fp_ieee_div_zero 0
		.amdhsa_exception_fp_ieee_overflow 0
		.amdhsa_exception_fp_ieee_underflow 0
		.amdhsa_exception_fp_ieee_inexact 0
		.amdhsa_exception_int_div_zero 0
	.end_amdhsa_kernel
	.section	.text._ZN7rocprim17ROCPRIM_400000_NS6detail17trampoline_kernelINS0_14default_configENS1_35radix_sort_onesweep_config_selectorIxNS0_10empty_typeEEEZZNS1_29radix_sort_onesweep_iterationIS3_Lb0EN6thrust23THRUST_200600_302600_NS6detail15normal_iteratorINS9_10device_ptrIxEEEESE_PS5_SF_jNS0_19identity_decomposerENS1_16block_id_wrapperIjLb0EEEEE10hipError_tT1_PNSt15iterator_traitsISK_E10value_typeET2_T3_PNSL_ISQ_E10value_typeET4_T5_PSV_SW_PNS1_23onesweep_lookback_stateEbbT6_jjT7_P12ihipStream_tbENKUlT_T0_SK_SP_E_clISE_PxSF_SF_EEDaS13_S14_SK_SP_EUlS13_E_NS1_11comp_targetILNS1_3genE0ELNS1_11target_archE4294967295ELNS1_3gpuE0ELNS1_3repE0EEENS1_47radix_sort_onesweep_sort_config_static_selectorELNS0_4arch9wavefront6targetE1EEEvSK_,"axG",@progbits,_ZN7rocprim17ROCPRIM_400000_NS6detail17trampoline_kernelINS0_14default_configENS1_35radix_sort_onesweep_config_selectorIxNS0_10empty_typeEEEZZNS1_29radix_sort_onesweep_iterationIS3_Lb0EN6thrust23THRUST_200600_302600_NS6detail15normal_iteratorINS9_10device_ptrIxEEEESE_PS5_SF_jNS0_19identity_decomposerENS1_16block_id_wrapperIjLb0EEEEE10hipError_tT1_PNSt15iterator_traitsISK_E10value_typeET2_T3_PNSL_ISQ_E10value_typeET4_T5_PSV_SW_PNS1_23onesweep_lookback_stateEbbT6_jjT7_P12ihipStream_tbENKUlT_T0_SK_SP_E_clISE_PxSF_SF_EEDaS13_S14_SK_SP_EUlS13_E_NS1_11comp_targetILNS1_3genE0ELNS1_11target_archE4294967295ELNS1_3gpuE0ELNS1_3repE0EEENS1_47radix_sort_onesweep_sort_config_static_selectorELNS0_4arch9wavefront6targetE1EEEvSK_,comdat
.Lfunc_end1578:
	.size	_ZN7rocprim17ROCPRIM_400000_NS6detail17trampoline_kernelINS0_14default_configENS1_35radix_sort_onesweep_config_selectorIxNS0_10empty_typeEEEZZNS1_29radix_sort_onesweep_iterationIS3_Lb0EN6thrust23THRUST_200600_302600_NS6detail15normal_iteratorINS9_10device_ptrIxEEEESE_PS5_SF_jNS0_19identity_decomposerENS1_16block_id_wrapperIjLb0EEEEE10hipError_tT1_PNSt15iterator_traitsISK_E10value_typeET2_T3_PNSL_ISQ_E10value_typeET4_T5_PSV_SW_PNS1_23onesweep_lookback_stateEbbT6_jjT7_P12ihipStream_tbENKUlT_T0_SK_SP_E_clISE_PxSF_SF_EEDaS13_S14_SK_SP_EUlS13_E_NS1_11comp_targetILNS1_3genE0ELNS1_11target_archE4294967295ELNS1_3gpuE0ELNS1_3repE0EEENS1_47radix_sort_onesweep_sort_config_static_selectorELNS0_4arch9wavefront6targetE1EEEvSK_, .Lfunc_end1578-_ZN7rocprim17ROCPRIM_400000_NS6detail17trampoline_kernelINS0_14default_configENS1_35radix_sort_onesweep_config_selectorIxNS0_10empty_typeEEEZZNS1_29radix_sort_onesweep_iterationIS3_Lb0EN6thrust23THRUST_200600_302600_NS6detail15normal_iteratorINS9_10device_ptrIxEEEESE_PS5_SF_jNS0_19identity_decomposerENS1_16block_id_wrapperIjLb0EEEEE10hipError_tT1_PNSt15iterator_traitsISK_E10value_typeET2_T3_PNSL_ISQ_E10value_typeET4_T5_PSV_SW_PNS1_23onesweep_lookback_stateEbbT6_jjT7_P12ihipStream_tbENKUlT_T0_SK_SP_E_clISE_PxSF_SF_EEDaS13_S14_SK_SP_EUlS13_E_NS1_11comp_targetILNS1_3genE0ELNS1_11target_archE4294967295ELNS1_3gpuE0ELNS1_3repE0EEENS1_47radix_sort_onesweep_sort_config_static_selectorELNS0_4arch9wavefront6targetE1EEEvSK_
                                        ; -- End function
	.section	.AMDGPU.csdata,"",@progbits
; Kernel info:
; codeLenInByte = 0
; NumSgprs: 6
; NumVgprs: 0
; NumAgprs: 0
; TotalNumVgprs: 0
; ScratchSize: 0
; MemoryBound: 0
; FloatMode: 240
; IeeeMode: 1
; LDSByteSize: 0 bytes/workgroup (compile time only)
; SGPRBlocks: 0
; VGPRBlocks: 0
; NumSGPRsForWavesPerEU: 6
; NumVGPRsForWavesPerEU: 1
; AccumOffset: 4
; Occupancy: 8
; WaveLimiterHint : 0
; COMPUTE_PGM_RSRC2:SCRATCH_EN: 0
; COMPUTE_PGM_RSRC2:USER_SGPR: 2
; COMPUTE_PGM_RSRC2:TRAP_HANDLER: 0
; COMPUTE_PGM_RSRC2:TGID_X_EN: 1
; COMPUTE_PGM_RSRC2:TGID_Y_EN: 0
; COMPUTE_PGM_RSRC2:TGID_Z_EN: 0
; COMPUTE_PGM_RSRC2:TIDIG_COMP_CNT: 0
; COMPUTE_PGM_RSRC3_GFX90A:ACCUM_OFFSET: 0
; COMPUTE_PGM_RSRC3_GFX90A:TG_SPLIT: 0
	.section	.text._ZN7rocprim17ROCPRIM_400000_NS6detail17trampoline_kernelINS0_14default_configENS1_35radix_sort_onesweep_config_selectorIxNS0_10empty_typeEEEZZNS1_29radix_sort_onesweep_iterationIS3_Lb0EN6thrust23THRUST_200600_302600_NS6detail15normal_iteratorINS9_10device_ptrIxEEEESE_PS5_SF_jNS0_19identity_decomposerENS1_16block_id_wrapperIjLb0EEEEE10hipError_tT1_PNSt15iterator_traitsISK_E10value_typeET2_T3_PNSL_ISQ_E10value_typeET4_T5_PSV_SW_PNS1_23onesweep_lookback_stateEbbT6_jjT7_P12ihipStream_tbENKUlT_T0_SK_SP_E_clISE_PxSF_SF_EEDaS13_S14_SK_SP_EUlS13_E_NS1_11comp_targetILNS1_3genE6ELNS1_11target_archE950ELNS1_3gpuE13ELNS1_3repE0EEENS1_47radix_sort_onesweep_sort_config_static_selectorELNS0_4arch9wavefront6targetE1EEEvSK_,"axG",@progbits,_ZN7rocprim17ROCPRIM_400000_NS6detail17trampoline_kernelINS0_14default_configENS1_35radix_sort_onesweep_config_selectorIxNS0_10empty_typeEEEZZNS1_29radix_sort_onesweep_iterationIS3_Lb0EN6thrust23THRUST_200600_302600_NS6detail15normal_iteratorINS9_10device_ptrIxEEEESE_PS5_SF_jNS0_19identity_decomposerENS1_16block_id_wrapperIjLb0EEEEE10hipError_tT1_PNSt15iterator_traitsISK_E10value_typeET2_T3_PNSL_ISQ_E10value_typeET4_T5_PSV_SW_PNS1_23onesweep_lookback_stateEbbT6_jjT7_P12ihipStream_tbENKUlT_T0_SK_SP_E_clISE_PxSF_SF_EEDaS13_S14_SK_SP_EUlS13_E_NS1_11comp_targetILNS1_3genE6ELNS1_11target_archE950ELNS1_3gpuE13ELNS1_3repE0EEENS1_47radix_sort_onesweep_sort_config_static_selectorELNS0_4arch9wavefront6targetE1EEEvSK_,comdat
	.protected	_ZN7rocprim17ROCPRIM_400000_NS6detail17trampoline_kernelINS0_14default_configENS1_35radix_sort_onesweep_config_selectorIxNS0_10empty_typeEEEZZNS1_29radix_sort_onesweep_iterationIS3_Lb0EN6thrust23THRUST_200600_302600_NS6detail15normal_iteratorINS9_10device_ptrIxEEEESE_PS5_SF_jNS0_19identity_decomposerENS1_16block_id_wrapperIjLb0EEEEE10hipError_tT1_PNSt15iterator_traitsISK_E10value_typeET2_T3_PNSL_ISQ_E10value_typeET4_T5_PSV_SW_PNS1_23onesweep_lookback_stateEbbT6_jjT7_P12ihipStream_tbENKUlT_T0_SK_SP_E_clISE_PxSF_SF_EEDaS13_S14_SK_SP_EUlS13_E_NS1_11comp_targetILNS1_3genE6ELNS1_11target_archE950ELNS1_3gpuE13ELNS1_3repE0EEENS1_47radix_sort_onesweep_sort_config_static_selectorELNS0_4arch9wavefront6targetE1EEEvSK_ ; -- Begin function _ZN7rocprim17ROCPRIM_400000_NS6detail17trampoline_kernelINS0_14default_configENS1_35radix_sort_onesweep_config_selectorIxNS0_10empty_typeEEEZZNS1_29radix_sort_onesweep_iterationIS3_Lb0EN6thrust23THRUST_200600_302600_NS6detail15normal_iteratorINS9_10device_ptrIxEEEESE_PS5_SF_jNS0_19identity_decomposerENS1_16block_id_wrapperIjLb0EEEEE10hipError_tT1_PNSt15iterator_traitsISK_E10value_typeET2_T3_PNSL_ISQ_E10value_typeET4_T5_PSV_SW_PNS1_23onesweep_lookback_stateEbbT6_jjT7_P12ihipStream_tbENKUlT_T0_SK_SP_E_clISE_PxSF_SF_EEDaS13_S14_SK_SP_EUlS13_E_NS1_11comp_targetILNS1_3genE6ELNS1_11target_archE950ELNS1_3gpuE13ELNS1_3repE0EEENS1_47radix_sort_onesweep_sort_config_static_selectorELNS0_4arch9wavefront6targetE1EEEvSK_
	.globl	_ZN7rocprim17ROCPRIM_400000_NS6detail17trampoline_kernelINS0_14default_configENS1_35radix_sort_onesweep_config_selectorIxNS0_10empty_typeEEEZZNS1_29radix_sort_onesweep_iterationIS3_Lb0EN6thrust23THRUST_200600_302600_NS6detail15normal_iteratorINS9_10device_ptrIxEEEESE_PS5_SF_jNS0_19identity_decomposerENS1_16block_id_wrapperIjLb0EEEEE10hipError_tT1_PNSt15iterator_traitsISK_E10value_typeET2_T3_PNSL_ISQ_E10value_typeET4_T5_PSV_SW_PNS1_23onesweep_lookback_stateEbbT6_jjT7_P12ihipStream_tbENKUlT_T0_SK_SP_E_clISE_PxSF_SF_EEDaS13_S14_SK_SP_EUlS13_E_NS1_11comp_targetILNS1_3genE6ELNS1_11target_archE950ELNS1_3gpuE13ELNS1_3repE0EEENS1_47radix_sort_onesweep_sort_config_static_selectorELNS0_4arch9wavefront6targetE1EEEvSK_
	.p2align	8
	.type	_ZN7rocprim17ROCPRIM_400000_NS6detail17trampoline_kernelINS0_14default_configENS1_35radix_sort_onesweep_config_selectorIxNS0_10empty_typeEEEZZNS1_29radix_sort_onesweep_iterationIS3_Lb0EN6thrust23THRUST_200600_302600_NS6detail15normal_iteratorINS9_10device_ptrIxEEEESE_PS5_SF_jNS0_19identity_decomposerENS1_16block_id_wrapperIjLb0EEEEE10hipError_tT1_PNSt15iterator_traitsISK_E10value_typeET2_T3_PNSL_ISQ_E10value_typeET4_T5_PSV_SW_PNS1_23onesweep_lookback_stateEbbT6_jjT7_P12ihipStream_tbENKUlT_T0_SK_SP_E_clISE_PxSF_SF_EEDaS13_S14_SK_SP_EUlS13_E_NS1_11comp_targetILNS1_3genE6ELNS1_11target_archE950ELNS1_3gpuE13ELNS1_3repE0EEENS1_47radix_sort_onesweep_sort_config_static_selectorELNS0_4arch9wavefront6targetE1EEEvSK_,@function
_ZN7rocprim17ROCPRIM_400000_NS6detail17trampoline_kernelINS0_14default_configENS1_35radix_sort_onesweep_config_selectorIxNS0_10empty_typeEEEZZNS1_29radix_sort_onesweep_iterationIS3_Lb0EN6thrust23THRUST_200600_302600_NS6detail15normal_iteratorINS9_10device_ptrIxEEEESE_PS5_SF_jNS0_19identity_decomposerENS1_16block_id_wrapperIjLb0EEEEE10hipError_tT1_PNSt15iterator_traitsISK_E10value_typeET2_T3_PNSL_ISQ_E10value_typeET4_T5_PSV_SW_PNS1_23onesweep_lookback_stateEbbT6_jjT7_P12ihipStream_tbENKUlT_T0_SK_SP_E_clISE_PxSF_SF_EEDaS13_S14_SK_SP_EUlS13_E_NS1_11comp_targetILNS1_3genE6ELNS1_11target_archE950ELNS1_3gpuE13ELNS1_3repE0EEENS1_47radix_sort_onesweep_sort_config_static_selectorELNS0_4arch9wavefront6targetE1EEEvSK_: ; @_ZN7rocprim17ROCPRIM_400000_NS6detail17trampoline_kernelINS0_14default_configENS1_35radix_sort_onesweep_config_selectorIxNS0_10empty_typeEEEZZNS1_29radix_sort_onesweep_iterationIS3_Lb0EN6thrust23THRUST_200600_302600_NS6detail15normal_iteratorINS9_10device_ptrIxEEEESE_PS5_SF_jNS0_19identity_decomposerENS1_16block_id_wrapperIjLb0EEEEE10hipError_tT1_PNSt15iterator_traitsISK_E10value_typeET2_T3_PNSL_ISQ_E10value_typeET4_T5_PSV_SW_PNS1_23onesweep_lookback_stateEbbT6_jjT7_P12ihipStream_tbENKUlT_T0_SK_SP_E_clISE_PxSF_SF_EEDaS13_S14_SK_SP_EUlS13_E_NS1_11comp_targetILNS1_3genE6ELNS1_11target_archE950ELNS1_3gpuE13ELNS1_3repE0EEENS1_47radix_sort_onesweep_sort_config_static_selectorELNS0_4arch9wavefront6targetE1EEEvSK_
; %bb.0:
	.section	.rodata,"a",@progbits
	.p2align	6, 0x0
	.amdhsa_kernel _ZN7rocprim17ROCPRIM_400000_NS6detail17trampoline_kernelINS0_14default_configENS1_35radix_sort_onesweep_config_selectorIxNS0_10empty_typeEEEZZNS1_29radix_sort_onesweep_iterationIS3_Lb0EN6thrust23THRUST_200600_302600_NS6detail15normal_iteratorINS9_10device_ptrIxEEEESE_PS5_SF_jNS0_19identity_decomposerENS1_16block_id_wrapperIjLb0EEEEE10hipError_tT1_PNSt15iterator_traitsISK_E10value_typeET2_T3_PNSL_ISQ_E10value_typeET4_T5_PSV_SW_PNS1_23onesweep_lookback_stateEbbT6_jjT7_P12ihipStream_tbENKUlT_T0_SK_SP_E_clISE_PxSF_SF_EEDaS13_S14_SK_SP_EUlS13_E_NS1_11comp_targetILNS1_3genE6ELNS1_11target_archE950ELNS1_3gpuE13ELNS1_3repE0EEENS1_47radix_sort_onesweep_sort_config_static_selectorELNS0_4arch9wavefront6targetE1EEEvSK_
		.amdhsa_group_segment_fixed_size 0
		.amdhsa_private_segment_fixed_size 0
		.amdhsa_kernarg_size 88
		.amdhsa_user_sgpr_count 2
		.amdhsa_user_sgpr_dispatch_ptr 0
		.amdhsa_user_sgpr_queue_ptr 0
		.amdhsa_user_sgpr_kernarg_segment_ptr 1
		.amdhsa_user_sgpr_dispatch_id 0
		.amdhsa_user_sgpr_kernarg_preload_length 0
		.amdhsa_user_sgpr_kernarg_preload_offset 0
		.amdhsa_user_sgpr_private_segment_size 0
		.amdhsa_uses_dynamic_stack 0
		.amdhsa_enable_private_segment 0
		.amdhsa_system_sgpr_workgroup_id_x 1
		.amdhsa_system_sgpr_workgroup_id_y 0
		.amdhsa_system_sgpr_workgroup_id_z 0
		.amdhsa_system_sgpr_workgroup_info 0
		.amdhsa_system_vgpr_workitem_id 0
		.amdhsa_next_free_vgpr 1
		.amdhsa_next_free_sgpr 0
		.amdhsa_accum_offset 4
		.amdhsa_reserve_vcc 0
		.amdhsa_float_round_mode_32 0
		.amdhsa_float_round_mode_16_64 0
		.amdhsa_float_denorm_mode_32 3
		.amdhsa_float_denorm_mode_16_64 3
		.amdhsa_dx10_clamp 1
		.amdhsa_ieee_mode 1
		.amdhsa_fp16_overflow 0
		.amdhsa_tg_split 0
		.amdhsa_exception_fp_ieee_invalid_op 0
		.amdhsa_exception_fp_denorm_src 0
		.amdhsa_exception_fp_ieee_div_zero 0
		.amdhsa_exception_fp_ieee_overflow 0
		.amdhsa_exception_fp_ieee_underflow 0
		.amdhsa_exception_fp_ieee_inexact 0
		.amdhsa_exception_int_div_zero 0
	.end_amdhsa_kernel
	.section	.text._ZN7rocprim17ROCPRIM_400000_NS6detail17trampoline_kernelINS0_14default_configENS1_35radix_sort_onesweep_config_selectorIxNS0_10empty_typeEEEZZNS1_29radix_sort_onesweep_iterationIS3_Lb0EN6thrust23THRUST_200600_302600_NS6detail15normal_iteratorINS9_10device_ptrIxEEEESE_PS5_SF_jNS0_19identity_decomposerENS1_16block_id_wrapperIjLb0EEEEE10hipError_tT1_PNSt15iterator_traitsISK_E10value_typeET2_T3_PNSL_ISQ_E10value_typeET4_T5_PSV_SW_PNS1_23onesweep_lookback_stateEbbT6_jjT7_P12ihipStream_tbENKUlT_T0_SK_SP_E_clISE_PxSF_SF_EEDaS13_S14_SK_SP_EUlS13_E_NS1_11comp_targetILNS1_3genE6ELNS1_11target_archE950ELNS1_3gpuE13ELNS1_3repE0EEENS1_47radix_sort_onesweep_sort_config_static_selectorELNS0_4arch9wavefront6targetE1EEEvSK_,"axG",@progbits,_ZN7rocprim17ROCPRIM_400000_NS6detail17trampoline_kernelINS0_14default_configENS1_35radix_sort_onesweep_config_selectorIxNS0_10empty_typeEEEZZNS1_29radix_sort_onesweep_iterationIS3_Lb0EN6thrust23THRUST_200600_302600_NS6detail15normal_iteratorINS9_10device_ptrIxEEEESE_PS5_SF_jNS0_19identity_decomposerENS1_16block_id_wrapperIjLb0EEEEE10hipError_tT1_PNSt15iterator_traitsISK_E10value_typeET2_T3_PNSL_ISQ_E10value_typeET4_T5_PSV_SW_PNS1_23onesweep_lookback_stateEbbT6_jjT7_P12ihipStream_tbENKUlT_T0_SK_SP_E_clISE_PxSF_SF_EEDaS13_S14_SK_SP_EUlS13_E_NS1_11comp_targetILNS1_3genE6ELNS1_11target_archE950ELNS1_3gpuE13ELNS1_3repE0EEENS1_47radix_sort_onesweep_sort_config_static_selectorELNS0_4arch9wavefront6targetE1EEEvSK_,comdat
.Lfunc_end1579:
	.size	_ZN7rocprim17ROCPRIM_400000_NS6detail17trampoline_kernelINS0_14default_configENS1_35radix_sort_onesweep_config_selectorIxNS0_10empty_typeEEEZZNS1_29radix_sort_onesweep_iterationIS3_Lb0EN6thrust23THRUST_200600_302600_NS6detail15normal_iteratorINS9_10device_ptrIxEEEESE_PS5_SF_jNS0_19identity_decomposerENS1_16block_id_wrapperIjLb0EEEEE10hipError_tT1_PNSt15iterator_traitsISK_E10value_typeET2_T3_PNSL_ISQ_E10value_typeET4_T5_PSV_SW_PNS1_23onesweep_lookback_stateEbbT6_jjT7_P12ihipStream_tbENKUlT_T0_SK_SP_E_clISE_PxSF_SF_EEDaS13_S14_SK_SP_EUlS13_E_NS1_11comp_targetILNS1_3genE6ELNS1_11target_archE950ELNS1_3gpuE13ELNS1_3repE0EEENS1_47radix_sort_onesweep_sort_config_static_selectorELNS0_4arch9wavefront6targetE1EEEvSK_, .Lfunc_end1579-_ZN7rocprim17ROCPRIM_400000_NS6detail17trampoline_kernelINS0_14default_configENS1_35radix_sort_onesweep_config_selectorIxNS0_10empty_typeEEEZZNS1_29radix_sort_onesweep_iterationIS3_Lb0EN6thrust23THRUST_200600_302600_NS6detail15normal_iteratorINS9_10device_ptrIxEEEESE_PS5_SF_jNS0_19identity_decomposerENS1_16block_id_wrapperIjLb0EEEEE10hipError_tT1_PNSt15iterator_traitsISK_E10value_typeET2_T3_PNSL_ISQ_E10value_typeET4_T5_PSV_SW_PNS1_23onesweep_lookback_stateEbbT6_jjT7_P12ihipStream_tbENKUlT_T0_SK_SP_E_clISE_PxSF_SF_EEDaS13_S14_SK_SP_EUlS13_E_NS1_11comp_targetILNS1_3genE6ELNS1_11target_archE950ELNS1_3gpuE13ELNS1_3repE0EEENS1_47radix_sort_onesweep_sort_config_static_selectorELNS0_4arch9wavefront6targetE1EEEvSK_
                                        ; -- End function
	.section	.AMDGPU.csdata,"",@progbits
; Kernel info:
; codeLenInByte = 0
; NumSgprs: 6
; NumVgprs: 0
; NumAgprs: 0
; TotalNumVgprs: 0
; ScratchSize: 0
; MemoryBound: 0
; FloatMode: 240
; IeeeMode: 1
; LDSByteSize: 0 bytes/workgroup (compile time only)
; SGPRBlocks: 0
; VGPRBlocks: 0
; NumSGPRsForWavesPerEU: 6
; NumVGPRsForWavesPerEU: 1
; AccumOffset: 4
; Occupancy: 8
; WaveLimiterHint : 0
; COMPUTE_PGM_RSRC2:SCRATCH_EN: 0
; COMPUTE_PGM_RSRC2:USER_SGPR: 2
; COMPUTE_PGM_RSRC2:TRAP_HANDLER: 0
; COMPUTE_PGM_RSRC2:TGID_X_EN: 1
; COMPUTE_PGM_RSRC2:TGID_Y_EN: 0
; COMPUTE_PGM_RSRC2:TGID_Z_EN: 0
; COMPUTE_PGM_RSRC2:TIDIG_COMP_CNT: 0
; COMPUTE_PGM_RSRC3_GFX90A:ACCUM_OFFSET: 0
; COMPUTE_PGM_RSRC3_GFX90A:TG_SPLIT: 0
	.section	.text._ZN7rocprim17ROCPRIM_400000_NS6detail17trampoline_kernelINS0_14default_configENS1_35radix_sort_onesweep_config_selectorIxNS0_10empty_typeEEEZZNS1_29radix_sort_onesweep_iterationIS3_Lb0EN6thrust23THRUST_200600_302600_NS6detail15normal_iteratorINS9_10device_ptrIxEEEESE_PS5_SF_jNS0_19identity_decomposerENS1_16block_id_wrapperIjLb0EEEEE10hipError_tT1_PNSt15iterator_traitsISK_E10value_typeET2_T3_PNSL_ISQ_E10value_typeET4_T5_PSV_SW_PNS1_23onesweep_lookback_stateEbbT6_jjT7_P12ihipStream_tbENKUlT_T0_SK_SP_E_clISE_PxSF_SF_EEDaS13_S14_SK_SP_EUlS13_E_NS1_11comp_targetILNS1_3genE5ELNS1_11target_archE942ELNS1_3gpuE9ELNS1_3repE0EEENS1_47radix_sort_onesweep_sort_config_static_selectorELNS0_4arch9wavefront6targetE1EEEvSK_,"axG",@progbits,_ZN7rocprim17ROCPRIM_400000_NS6detail17trampoline_kernelINS0_14default_configENS1_35radix_sort_onesweep_config_selectorIxNS0_10empty_typeEEEZZNS1_29radix_sort_onesweep_iterationIS3_Lb0EN6thrust23THRUST_200600_302600_NS6detail15normal_iteratorINS9_10device_ptrIxEEEESE_PS5_SF_jNS0_19identity_decomposerENS1_16block_id_wrapperIjLb0EEEEE10hipError_tT1_PNSt15iterator_traitsISK_E10value_typeET2_T3_PNSL_ISQ_E10value_typeET4_T5_PSV_SW_PNS1_23onesweep_lookback_stateEbbT6_jjT7_P12ihipStream_tbENKUlT_T0_SK_SP_E_clISE_PxSF_SF_EEDaS13_S14_SK_SP_EUlS13_E_NS1_11comp_targetILNS1_3genE5ELNS1_11target_archE942ELNS1_3gpuE9ELNS1_3repE0EEENS1_47radix_sort_onesweep_sort_config_static_selectorELNS0_4arch9wavefront6targetE1EEEvSK_,comdat
	.protected	_ZN7rocprim17ROCPRIM_400000_NS6detail17trampoline_kernelINS0_14default_configENS1_35radix_sort_onesweep_config_selectorIxNS0_10empty_typeEEEZZNS1_29radix_sort_onesweep_iterationIS3_Lb0EN6thrust23THRUST_200600_302600_NS6detail15normal_iteratorINS9_10device_ptrIxEEEESE_PS5_SF_jNS0_19identity_decomposerENS1_16block_id_wrapperIjLb0EEEEE10hipError_tT1_PNSt15iterator_traitsISK_E10value_typeET2_T3_PNSL_ISQ_E10value_typeET4_T5_PSV_SW_PNS1_23onesweep_lookback_stateEbbT6_jjT7_P12ihipStream_tbENKUlT_T0_SK_SP_E_clISE_PxSF_SF_EEDaS13_S14_SK_SP_EUlS13_E_NS1_11comp_targetILNS1_3genE5ELNS1_11target_archE942ELNS1_3gpuE9ELNS1_3repE0EEENS1_47radix_sort_onesweep_sort_config_static_selectorELNS0_4arch9wavefront6targetE1EEEvSK_ ; -- Begin function _ZN7rocprim17ROCPRIM_400000_NS6detail17trampoline_kernelINS0_14default_configENS1_35radix_sort_onesweep_config_selectorIxNS0_10empty_typeEEEZZNS1_29radix_sort_onesweep_iterationIS3_Lb0EN6thrust23THRUST_200600_302600_NS6detail15normal_iteratorINS9_10device_ptrIxEEEESE_PS5_SF_jNS0_19identity_decomposerENS1_16block_id_wrapperIjLb0EEEEE10hipError_tT1_PNSt15iterator_traitsISK_E10value_typeET2_T3_PNSL_ISQ_E10value_typeET4_T5_PSV_SW_PNS1_23onesweep_lookback_stateEbbT6_jjT7_P12ihipStream_tbENKUlT_T0_SK_SP_E_clISE_PxSF_SF_EEDaS13_S14_SK_SP_EUlS13_E_NS1_11comp_targetILNS1_3genE5ELNS1_11target_archE942ELNS1_3gpuE9ELNS1_3repE0EEENS1_47radix_sort_onesweep_sort_config_static_selectorELNS0_4arch9wavefront6targetE1EEEvSK_
	.globl	_ZN7rocprim17ROCPRIM_400000_NS6detail17trampoline_kernelINS0_14default_configENS1_35radix_sort_onesweep_config_selectorIxNS0_10empty_typeEEEZZNS1_29radix_sort_onesweep_iterationIS3_Lb0EN6thrust23THRUST_200600_302600_NS6detail15normal_iteratorINS9_10device_ptrIxEEEESE_PS5_SF_jNS0_19identity_decomposerENS1_16block_id_wrapperIjLb0EEEEE10hipError_tT1_PNSt15iterator_traitsISK_E10value_typeET2_T3_PNSL_ISQ_E10value_typeET4_T5_PSV_SW_PNS1_23onesweep_lookback_stateEbbT6_jjT7_P12ihipStream_tbENKUlT_T0_SK_SP_E_clISE_PxSF_SF_EEDaS13_S14_SK_SP_EUlS13_E_NS1_11comp_targetILNS1_3genE5ELNS1_11target_archE942ELNS1_3gpuE9ELNS1_3repE0EEENS1_47radix_sort_onesweep_sort_config_static_selectorELNS0_4arch9wavefront6targetE1EEEvSK_
	.p2align	8
	.type	_ZN7rocprim17ROCPRIM_400000_NS6detail17trampoline_kernelINS0_14default_configENS1_35radix_sort_onesweep_config_selectorIxNS0_10empty_typeEEEZZNS1_29radix_sort_onesweep_iterationIS3_Lb0EN6thrust23THRUST_200600_302600_NS6detail15normal_iteratorINS9_10device_ptrIxEEEESE_PS5_SF_jNS0_19identity_decomposerENS1_16block_id_wrapperIjLb0EEEEE10hipError_tT1_PNSt15iterator_traitsISK_E10value_typeET2_T3_PNSL_ISQ_E10value_typeET4_T5_PSV_SW_PNS1_23onesweep_lookback_stateEbbT6_jjT7_P12ihipStream_tbENKUlT_T0_SK_SP_E_clISE_PxSF_SF_EEDaS13_S14_SK_SP_EUlS13_E_NS1_11comp_targetILNS1_3genE5ELNS1_11target_archE942ELNS1_3gpuE9ELNS1_3repE0EEENS1_47radix_sort_onesweep_sort_config_static_selectorELNS0_4arch9wavefront6targetE1EEEvSK_,@function
_ZN7rocprim17ROCPRIM_400000_NS6detail17trampoline_kernelINS0_14default_configENS1_35radix_sort_onesweep_config_selectorIxNS0_10empty_typeEEEZZNS1_29radix_sort_onesweep_iterationIS3_Lb0EN6thrust23THRUST_200600_302600_NS6detail15normal_iteratorINS9_10device_ptrIxEEEESE_PS5_SF_jNS0_19identity_decomposerENS1_16block_id_wrapperIjLb0EEEEE10hipError_tT1_PNSt15iterator_traitsISK_E10value_typeET2_T3_PNSL_ISQ_E10value_typeET4_T5_PSV_SW_PNS1_23onesweep_lookback_stateEbbT6_jjT7_P12ihipStream_tbENKUlT_T0_SK_SP_E_clISE_PxSF_SF_EEDaS13_S14_SK_SP_EUlS13_E_NS1_11comp_targetILNS1_3genE5ELNS1_11target_archE942ELNS1_3gpuE9ELNS1_3repE0EEENS1_47radix_sort_onesweep_sort_config_static_selectorELNS0_4arch9wavefront6targetE1EEEvSK_: ; @_ZN7rocprim17ROCPRIM_400000_NS6detail17trampoline_kernelINS0_14default_configENS1_35radix_sort_onesweep_config_selectorIxNS0_10empty_typeEEEZZNS1_29radix_sort_onesweep_iterationIS3_Lb0EN6thrust23THRUST_200600_302600_NS6detail15normal_iteratorINS9_10device_ptrIxEEEESE_PS5_SF_jNS0_19identity_decomposerENS1_16block_id_wrapperIjLb0EEEEE10hipError_tT1_PNSt15iterator_traitsISK_E10value_typeET2_T3_PNSL_ISQ_E10value_typeET4_T5_PSV_SW_PNS1_23onesweep_lookback_stateEbbT6_jjT7_P12ihipStream_tbENKUlT_T0_SK_SP_E_clISE_PxSF_SF_EEDaS13_S14_SK_SP_EUlS13_E_NS1_11comp_targetILNS1_3genE5ELNS1_11target_archE942ELNS1_3gpuE9ELNS1_3repE0EEENS1_47radix_sort_onesweep_sort_config_static_selectorELNS0_4arch9wavefront6targetE1EEEvSK_
; %bb.0:
	s_load_dwordx4 s[20:23], s[0:1], 0x44
	s_load_dwordx2 s[28:29], s[0:1], 0x38
	s_load_dwordx4 s[24:27], s[0:1], 0x0
	s_load_dwordx4 s[16:19], s[0:1], 0x28
	s_mul_i32 s30, s2, 0x1800
	s_waitcnt lgkmcnt(0)
	s_cmp_ge_u32 s2, s22
	v_mbcnt_lo_u32_b32 v1, -1, 0
	s_cbranch_scc0 .LBB1580_99
; %bb.1:
	s_load_dword s3, s[0:1], 0x20
	s_mul_i32 s6, s22, 0xffffe800
	s_mov_b32 s31, 0
	v_and_b32_e32 v2, 0x3ff, v0
	s_lshl_b64 s[4:5], s[30:31], 3
	s_waitcnt lgkmcnt(0)
	s_add_i32 s3, s3, s6
	v_mbcnt_hi_u32_b32 v3, -1, v1
	s_add_u32 s6, s24, s4
	v_and_b32_e32 v8, 63, v3
	v_and_b32_e32 v32, 0x1c0, v2
	s_addc_u32 s7, s25, s5
	s_mov_b32 s4, -1
	v_mul_u32_u24_e32 v9, 12, v32
	v_lshlrev_b32_e32 v4, 3, v8
	v_mov_b32_e32 v5, 0
	s_brev_b32 s5, -2
	v_lshl_add_u64 v[6:7], s[6:7], 0, v[4:5]
	v_lshlrev_b32_e32 v4, 3, v9
	v_or_b32_e32 v26, v8, v9
	v_lshl_add_u64 v[28:29], v[6:7], 0, v[4:5]
	v_cmp_gt_u32_e32 vcc, s3, v26
	v_mov_b64_e32 v[4:5], s[4:5]
	s_and_saveexec_b64 s[6:7], vcc
	s_cbranch_execz .LBB1580_3
; %bb.2:
	global_load_dwordx2 v[4:5], v[28:29], off
.LBB1580_3:
	s_or_b64 exec, exec, s[6:7]
	v_or_b32_e32 v6, 64, v26
	v_cmp_gt_u32_e32 vcc, s3, v6
	v_mov_b64_e32 v[6:7], s[4:5]
	s_and_saveexec_b64 s[4:5], vcc
	s_cbranch_execz .LBB1580_5
; %bb.4:
	global_load_dwordx2 v[6:7], v[28:29], off offset:512
.LBB1580_5:
	s_or_b64 exec, exec, s[4:5]
	s_mov_b32 s4, -1
	v_or_b32_e32 v8, 0x80, v26
	s_brev_b32 s5, -2
	v_cmp_gt_u32_e32 vcc, s3, v8
	v_mov_b64_e32 v[8:9], s[4:5]
	s_and_saveexec_b64 s[6:7], vcc
	s_cbranch_execz .LBB1580_7
; %bb.6:
	global_load_dwordx2 v[8:9], v[28:29], off offset:1024
.LBB1580_7:
	s_or_b64 exec, exec, s[6:7]
	v_or_b32_e32 v10, 0xc0, v26
	v_cmp_gt_u32_e32 vcc, s3, v10
	v_mov_b64_e32 v[10:11], s[4:5]
	s_and_saveexec_b64 s[4:5], vcc
	s_cbranch_execz .LBB1580_9
; %bb.8:
	global_load_dwordx2 v[10:11], v[28:29], off offset:1536
.LBB1580_9:
	s_or_b64 exec, exec, s[4:5]
	s_mov_b32 s4, -1
	v_add_u32_e32 v12, 0x100, v26
	s_brev_b32 s5, -2
	v_cmp_gt_u32_e32 vcc, s3, v12
	v_mov_b64_e32 v[12:13], s[4:5]
	s_and_saveexec_b64 s[6:7], vcc
	s_cbranch_execz .LBB1580_11
; %bb.10:
	global_load_dwordx2 v[12:13], v[28:29], off offset:2048
.LBB1580_11:
	s_or_b64 exec, exec, s[6:7]
	v_add_u32_e32 v14, 0x140, v26
	v_cmp_gt_u32_e32 vcc, s3, v14
	v_mov_b64_e32 v[14:15], s[4:5]
	s_and_saveexec_b64 s[4:5], vcc
	s_cbranch_execz .LBB1580_13
; %bb.12:
	global_load_dwordx2 v[14:15], v[28:29], off offset:2560
.LBB1580_13:
	s_or_b64 exec, exec, s[4:5]
	s_mov_b32 s4, -1
	v_add_u32_e32 v16, 0x180, v26
	s_brev_b32 s5, -2
	v_cmp_gt_u32_e32 vcc, s3, v16
	v_mov_b64_e32 v[16:17], s[4:5]
	s_and_saveexec_b64 s[6:7], vcc
	s_cbranch_execz .LBB1580_15
; %bb.14:
	global_load_dwordx2 v[16:17], v[28:29], off offset:3072
.LBB1580_15:
	s_or_b64 exec, exec, s[6:7]
	v_add_u32_e32 v18, 0x1c0, v26
	v_cmp_gt_u32_e32 vcc, s3, v18
	v_mov_b64_e32 v[18:19], s[4:5]
	s_and_saveexec_b64 s[4:5], vcc
	s_cbranch_execz .LBB1580_17
; %bb.16:
	global_load_dwordx2 v[18:19], v[28:29], off offset:3584
.LBB1580_17:
	s_or_b64 exec, exec, s[4:5]
	s_mov_b32 s4, -1
	v_add_u32_e32 v20, 0x200, v26
	s_brev_b32 s5, -2
	v_cmp_gt_u32_e32 vcc, s3, v20
	v_mov_b64_e32 v[20:21], s[4:5]
	s_and_saveexec_b64 s[6:7], vcc
	s_cbranch_execz .LBB1580_19
; %bb.18:
	v_add_co_u32_e32 v20, vcc, 0x1000, v28
	s_nop 1
	v_addc_co_u32_e32 v21, vcc, 0, v29, vcc
	global_load_dwordx2 v[20:21], v[20:21], off
.LBB1580_19:
	s_or_b64 exec, exec, s[6:7]
	v_add_u32_e32 v22, 0x240, v26
	v_cmp_gt_u32_e32 vcc, s3, v22
	v_mov_b64_e32 v[22:23], s[4:5]
	s_and_saveexec_b64 s[4:5], vcc
	s_cbranch_execz .LBB1580_21
; %bb.20:
	v_add_co_u32_e32 v22, vcc, 0x1000, v28
	s_nop 1
	v_addc_co_u32_e32 v23, vcc, 0, v29, vcc
	global_load_dwordx2 v[22:23], v[22:23], off offset:512
.LBB1580_21:
	s_or_b64 exec, exec, s[4:5]
	s_mov_b32 s4, -1
	v_add_u32_e32 v24, 0x280, v26
	s_brev_b32 s5, -2
	v_cmp_gt_u32_e32 vcc, s3, v24
	v_mov_b64_e32 v[24:25], s[4:5]
	s_and_saveexec_b64 s[6:7], vcc
	s_cbranch_execz .LBB1580_23
; %bb.22:
	v_add_co_u32_e32 v24, vcc, 0x1000, v28
	s_nop 1
	v_addc_co_u32_e32 v25, vcc, 0, v29, vcc
	global_load_dwordx2 v[24:25], v[24:25], off offset:1024
.LBB1580_23:
	s_or_b64 exec, exec, s[6:7]
	v_add_u32_e32 v26, 0x2c0, v26
	v_cmp_gt_u32_e32 vcc, s3, v26
	v_mov_b64_e32 v[26:27], s[4:5]
	s_and_saveexec_b64 s[4:5], vcc
	s_cbranch_execz .LBB1580_25
; %bb.24:
	v_add_co_u32_e32 v26, vcc, 0x1000, v28
	s_nop 1
	v_addc_co_u32_e32 v27, vcc, 0, v29, vcc
	global_load_dwordx2 v[26:27], v[26:27], off offset:1536
.LBB1580_25:
	s_or_b64 exec, exec, s[4:5]
	s_load_dword s4, s[0:1], 0x64
	s_load_dword s22, s[0:1], 0x58
	s_add_u32 s5, s0, 0x58
	s_addc_u32 s6, s1, 0
	v_mov_b32_e32 v29, 0
	s_waitcnt lgkmcnt(0)
	s_lshr_b32 s7, s4, 16
	s_cmp_lt_u32 s2, s22
	s_cselect_b32 s4, 12, 18
	s_add_u32 s4, s5, s4
	s_addc_u32 s5, s6, 0
	global_load_ushort v46, v29, s[4:5]
	s_waitcnt vmcnt(1)
	v_xor_b32_e32 v5, 0x80000000, v5
	v_mul_u32_u24_e32 v30, 5, v2
	s_lshl_b32 s4, -1, s21
	v_lshlrev_b32_e32 v33, 2, v30
	v_lshrrev_b64 v[30:31], s20, v[4:5]
	s_not_b32 s23, s4
	v_bfe_u32 v28, v0, 10, 10
	v_bfe_u32 v35, v0, 20, 10
	v_and_b32_e32 v48, s23, v30
	v_mad_u32_u24 v47, v35, s7, v28
	v_and_b32_e32 v28, 1, v48
	v_lshlrev_b32_e32 v35, 30, v48
	v_mov_b32_e32 v34, v29
	v_lshlrev_b32_e32 v37, 29, v48
	v_lshl_add_u64 v[30:31], v[28:29], 0, -1
	v_cmp_ne_u32_e32 vcc, 0, v28
	v_not_b32_e32 v28, v35
	v_mov_b32_e32 v36, v29
	v_mov_b32_e32 v38, v29
	v_lshlrev_b32_e32 v39, 28, v48
	v_cmp_gt_i64_e64 s[4:5], 0, v[34:35]
	v_not_b32_e32 v34, v37
	v_xor_b32_e32 v31, vcc_hi, v31
	v_ashrrev_i32_e32 v28, 31, v28
	v_mov_b32_e32 v40, v29
	v_lshlrev_b32_e32 v41, 27, v48
	v_cmp_gt_i64_e64 s[6:7], 0, v[36:37]
	v_cmp_gt_i64_e64 s[8:9], 0, v[38:39]
	v_not_b32_e32 v35, v39
	v_xor_b32_e32 v30, vcc_lo, v30
	v_ashrrev_i32_e32 v34, 31, v34
	v_and_b32_e32 v31, exec_hi, v31
	v_xor_b32_e32 v39, s5, v28
	v_lshlrev_b32_e32 v43, 26, v48
	v_cmp_gt_i64_e64 s[10:11], 0, v[40:41]
	v_not_b32_e32 v36, v41
	v_ashrrev_i32_e32 v35, 31, v35
	v_and_b32_e32 v30, exec_lo, v30
	v_xor_b32_e32 v28, s4, v28
	v_xor_b32_e32 v40, s7, v34
	v_and_b32_e32 v31, v31, v39
	v_mov_b32_e32 v42, v29
	v_lshlrev_b32_e32 v45, 25, v48
	v_not_b32_e32 v37, v43
	v_ashrrev_i32_e32 v36, 31, v36
	v_xor_b32_e32 v41, s9, v35
	v_and_b32_e32 v28, v30, v28
	v_and_b32_e32 v30, v31, v40
	v_mov_b32_e32 v44, v29
	v_cmp_gt_i64_e64 s[12:13], 0, v[42:43]
	v_not_b32_e32 v38, v45
	v_ashrrev_i32_e32 v37, 31, v37
	v_xor_b32_e32 v42, s11, v36
	v_and_b32_e32 v30, v30, v41
	v_cmp_gt_i64_e64 s[14:15], 0, v[44:45]
	v_ashrrev_i32_e32 v38, 31, v38
	v_xor_b32_e32 v43, s13, v37
	v_and_b32_e32 v30, v30, v42
	v_xor_b32_e32 v34, s6, v34
	v_xor_b32_e32 v44, s15, v38
	v_and_b32_e32 v30, v30, v43
	v_xor_b32_e32 v35, s8, v35
	v_and_b32_e32 v28, v28, v34
	v_and_b32_e32 v34, v30, v44
	v_xor_b32_e32 v36, s10, v36
	v_and_b32_e32 v28, v28, v35
	v_xor_b32_e32 v37, s12, v37
	;; [unrolled: 2-line block ×3, first 2 shown]
	v_and_b32_e32 v28, v28, v37
	v_and_b32_e32 v28, v28, v38
	v_lshl_add_u32 v49, v48, 3, v48
	ds_write2_b32 v33, v29, v29 offset0:8 offset1:9
	ds_write2_b32 v33, v29, v29 offset0:10 offset1:11
	ds_write_b32 v33, v29 offset:48
	s_waitcnt lgkmcnt(0)
	s_barrier
	s_waitcnt lgkmcnt(0)
	; wave barrier
	s_waitcnt vmcnt(0)
	v_mad_u64_u32 v[30:31], s[4:5], v47, v46, v[2:3]
	v_lshrrev_b32_e32 v45, 6, v30
	v_lshlrev_b32_e32 v31, 24, v48
	v_mov_b32_e32 v30, v29
	v_cmp_gt_i64_e32 vcc, 0, v[30:31]
	v_not_b32_e32 v30, v31
	v_ashrrev_i32_e32 v30, 31, v30
	v_xor_b32_e32 v31, vcc_hi, v30
	v_xor_b32_e32 v30, vcc_lo, v30
	v_and_b32_e32 v30, v28, v30
	v_and_b32_e32 v31, v34, v31
	v_mbcnt_lo_u32_b32 v28, v30, 0
	v_mbcnt_hi_u32_b32 v35, v31, v28
	v_cmp_eq_u32_e32 vcc, 0, v35
	v_cmp_ne_u64_e64 s[4:5], 0, v[30:31]
	v_add_lshl_u32 v38, v45, v49, 2
	s_and_b64 s[6:7], s[4:5], vcc
	s_and_saveexec_b64 s[4:5], s[6:7]
	s_cbranch_execz .LBB1580_27
; %bb.26:
	v_bcnt_u32_b32 v28, v30, 0
	v_bcnt_u32_b32 v28, v31, v28
	ds_write_b32 v38, v28 offset:32
.LBB1580_27:
	s_or_b64 exec, exec, s[4:5]
	v_xor_b32_e32 v7, 0x80000000, v7
	v_lshrrev_b64 v[30:31], s20, v[6:7]
	v_and_b32_e32 v36, s23, v30
	v_lshl_add_u32 v28, v36, 3, v36
	v_add_lshl_u32 v39, v45, v28, 2
	v_and_b32_e32 v28, 1, v36
	v_lshl_add_u64 v[30:31], v[28:29], 0, -1
	v_cmp_ne_u32_e32 vcc, 0, v28
	; wave barrier
	s_nop 1
	v_xor_b32_e32 v30, vcc_lo, v30
	v_xor_b32_e32 v28, vcc_hi, v31
	v_and_b32_e32 v37, exec_lo, v30
	v_lshlrev_b32_e32 v31, 30, v36
	v_mov_b32_e32 v30, v29
	v_cmp_gt_i64_e32 vcc, 0, v[30:31]
	v_not_b32_e32 v30, v31
	v_ashrrev_i32_e32 v30, 31, v30
	v_and_b32_e32 v28, exec_hi, v28
	v_xor_b32_e32 v31, vcc_hi, v30
	v_xor_b32_e32 v30, vcc_lo, v30
	v_and_b32_e32 v28, v28, v31
	v_and_b32_e32 v37, v37, v30
	v_lshlrev_b32_e32 v31, 29, v36
	v_mov_b32_e32 v30, v29
	v_cmp_gt_i64_e32 vcc, 0, v[30:31]
	v_not_b32_e32 v30, v31
	v_ashrrev_i32_e32 v30, 31, v30
	v_xor_b32_e32 v31, vcc_hi, v30
	v_xor_b32_e32 v30, vcc_lo, v30
	v_and_b32_e32 v28, v28, v31
	v_and_b32_e32 v37, v37, v30
	v_lshlrev_b32_e32 v31, 28, v36
	v_mov_b32_e32 v30, v29
	v_cmp_gt_i64_e32 vcc, 0, v[30:31]
	v_not_b32_e32 v30, v31
	v_ashrrev_i32_e32 v30, 31, v30
	;; [unrolled: 9-line block ×5, first 2 shown]
	v_xor_b32_e32 v31, vcc_hi, v30
	v_xor_b32_e32 v30, vcc_lo, v30
	v_and_b32_e32 v28, v28, v31
	v_lshlrev_b32_e32 v31, 24, v36
	v_and_b32_e32 v37, v37, v30
	v_mov_b32_e32 v30, v29
	v_not_b32_e32 v29, v31
	v_cmp_gt_i64_e32 vcc, 0, v[30:31]
	v_ashrrev_i32_e32 v29, 31, v29
	ds_read_b32 v34, v39 offset:32
	v_xor_b32_e32 v30, vcc_hi, v29
	v_xor_b32_e32 v31, vcc_lo, v29
	v_and_b32_e32 v29, v28, v30
	v_and_b32_e32 v28, v37, v31
	v_mbcnt_lo_u32_b32 v30, v28, 0
	v_mbcnt_hi_u32_b32 v36, v29, v30
	v_cmp_eq_u32_e32 vcc, 0, v36
	v_cmp_ne_u64_e64 s[4:5], 0, v[28:29]
	s_and_b64 s[6:7], s[4:5], vcc
	; wave barrier
	s_and_saveexec_b64 s[4:5], s[6:7]
	s_cbranch_execz .LBB1580_29
; %bb.28:
	v_bcnt_u32_b32 v28, v28, 0
	v_bcnt_u32_b32 v28, v29, v28
	s_waitcnt lgkmcnt(0)
	v_add_u32_e32 v28, v34, v28
	ds_write_b32 v39, v28 offset:32
.LBB1580_29:
	s_or_b64 exec, exec, s[4:5]
	v_xor_b32_e32 v9, 0x80000000, v9
	v_lshrrev_b64 v[28:29], s20, v[8:9]
	v_and_b32_e32 v40, s23, v28
	v_lshl_add_u32 v28, v40, 3, v40
	v_add_lshl_u32 v42, v45, v28, 2
	v_and_b32_e32 v28, 1, v40
	v_mov_b32_e32 v29, 0
	v_lshl_add_u64 v[30:31], v[28:29], 0, -1
	v_cmp_ne_u32_e32 vcc, 0, v28
	; wave barrier
	s_nop 1
	v_xor_b32_e32 v30, vcc_lo, v30
	v_xor_b32_e32 v28, vcc_hi, v31
	v_and_b32_e32 v41, exec_lo, v30
	v_lshlrev_b32_e32 v31, 30, v40
	v_mov_b32_e32 v30, v29
	v_cmp_gt_i64_e32 vcc, 0, v[30:31]
	v_not_b32_e32 v30, v31
	v_ashrrev_i32_e32 v30, 31, v30
	v_and_b32_e32 v28, exec_hi, v28
	v_xor_b32_e32 v31, vcc_hi, v30
	v_xor_b32_e32 v30, vcc_lo, v30
	v_and_b32_e32 v28, v28, v31
	v_and_b32_e32 v41, v41, v30
	v_lshlrev_b32_e32 v31, 29, v40
	v_mov_b32_e32 v30, v29
	v_cmp_gt_i64_e32 vcc, 0, v[30:31]
	v_not_b32_e32 v30, v31
	v_ashrrev_i32_e32 v30, 31, v30
	v_xor_b32_e32 v31, vcc_hi, v30
	v_xor_b32_e32 v30, vcc_lo, v30
	v_and_b32_e32 v28, v28, v31
	v_and_b32_e32 v41, v41, v30
	v_lshlrev_b32_e32 v31, 28, v40
	v_mov_b32_e32 v30, v29
	v_cmp_gt_i64_e32 vcc, 0, v[30:31]
	v_not_b32_e32 v30, v31
	v_ashrrev_i32_e32 v30, 31, v30
	;; [unrolled: 9-line block ×6, first 2 shown]
	v_xor_b32_e32 v31, vcc_hi, v30
	v_xor_b32_e32 v30, vcc_lo, v30
	ds_read_b32 v37, v42 offset:32
	v_and_b32_e32 v30, v41, v30
	v_and_b32_e32 v31, v28, v31
	v_mbcnt_lo_u32_b32 v28, v30, 0
	v_mbcnt_hi_u32_b32 v40, v31, v28
	v_cmp_eq_u32_e32 vcc, 0, v40
	v_cmp_ne_u64_e64 s[4:5], 0, v[30:31]
	s_and_b64 s[6:7], s[4:5], vcc
	; wave barrier
	s_and_saveexec_b64 s[4:5], s[6:7]
	s_cbranch_execz .LBB1580_31
; %bb.30:
	v_bcnt_u32_b32 v28, v30, 0
	v_bcnt_u32_b32 v28, v31, v28
	s_waitcnt lgkmcnt(0)
	v_add_u32_e32 v28, v37, v28
	ds_write_b32 v42, v28 offset:32
.LBB1580_31:
	s_or_b64 exec, exec, s[4:5]
	v_xor_b32_e32 v11, 0x80000000, v11
	v_lshrrev_b64 v[30:31], s20, v[10:11]
	v_and_b32_e32 v43, s23, v30
	v_lshl_add_u32 v28, v43, 3, v43
	v_add_lshl_u32 v46, v45, v28, 2
	v_and_b32_e32 v28, 1, v43
	v_lshl_add_u64 v[30:31], v[28:29], 0, -1
	v_cmp_ne_u32_e32 vcc, 0, v28
	; wave barrier
	s_nop 1
	v_xor_b32_e32 v30, vcc_lo, v30
	v_xor_b32_e32 v28, vcc_hi, v31
	v_and_b32_e32 v44, exec_lo, v30
	v_lshlrev_b32_e32 v31, 30, v43
	v_mov_b32_e32 v30, v29
	v_cmp_gt_i64_e32 vcc, 0, v[30:31]
	v_not_b32_e32 v30, v31
	v_ashrrev_i32_e32 v30, 31, v30
	v_and_b32_e32 v28, exec_hi, v28
	v_xor_b32_e32 v31, vcc_hi, v30
	v_xor_b32_e32 v30, vcc_lo, v30
	v_and_b32_e32 v28, v28, v31
	v_and_b32_e32 v44, v44, v30
	v_lshlrev_b32_e32 v31, 29, v43
	v_mov_b32_e32 v30, v29
	v_cmp_gt_i64_e32 vcc, 0, v[30:31]
	v_not_b32_e32 v30, v31
	v_ashrrev_i32_e32 v30, 31, v30
	v_xor_b32_e32 v31, vcc_hi, v30
	v_xor_b32_e32 v30, vcc_lo, v30
	v_and_b32_e32 v28, v28, v31
	v_and_b32_e32 v44, v44, v30
	v_lshlrev_b32_e32 v31, 28, v43
	v_mov_b32_e32 v30, v29
	v_cmp_gt_i64_e32 vcc, 0, v[30:31]
	v_not_b32_e32 v30, v31
	v_ashrrev_i32_e32 v30, 31, v30
	v_xor_b32_e32 v31, vcc_hi, v30
	v_xor_b32_e32 v30, vcc_lo, v30
	v_and_b32_e32 v28, v28, v31
	v_and_b32_e32 v44, v44, v30
	v_lshlrev_b32_e32 v31, 27, v43
	v_mov_b32_e32 v30, v29
	v_cmp_gt_i64_e32 vcc, 0, v[30:31]
	v_not_b32_e32 v30, v31
	v_ashrrev_i32_e32 v30, 31, v30
	v_xor_b32_e32 v31, vcc_hi, v30
	v_xor_b32_e32 v30, vcc_lo, v30
	v_and_b32_e32 v28, v28, v31
	v_and_b32_e32 v44, v44, v30
	v_lshlrev_b32_e32 v31, 26, v43
	v_mov_b32_e32 v30, v29
	v_cmp_gt_i64_e32 vcc, 0, v[30:31]
	v_not_b32_e32 v30, v31
	v_ashrrev_i32_e32 v30, 31, v30
	v_xor_b32_e32 v31, vcc_hi, v30
	v_xor_b32_e32 v30, vcc_lo, v30
	v_and_b32_e32 v28, v28, v31
	v_and_b32_e32 v44, v44, v30
	v_lshlrev_b32_e32 v31, 25, v43
	v_mov_b32_e32 v30, v29
	v_cmp_gt_i64_e32 vcc, 0, v[30:31]
	v_not_b32_e32 v30, v31
	v_ashrrev_i32_e32 v30, 31, v30
	v_xor_b32_e32 v31, vcc_hi, v30
	v_xor_b32_e32 v30, vcc_lo, v30
	v_and_b32_e32 v28, v28, v31
	v_lshlrev_b32_e32 v31, 24, v43
	v_and_b32_e32 v44, v44, v30
	v_mov_b32_e32 v30, v29
	v_not_b32_e32 v29, v31
	v_cmp_gt_i64_e32 vcc, 0, v[30:31]
	v_ashrrev_i32_e32 v29, 31, v29
	ds_read_b32 v41, v46 offset:32
	v_xor_b32_e32 v30, vcc_hi, v29
	v_xor_b32_e32 v31, vcc_lo, v29
	v_and_b32_e32 v29, v28, v30
	v_and_b32_e32 v28, v44, v31
	v_mbcnt_lo_u32_b32 v30, v28, 0
	v_mbcnt_hi_u32_b32 v43, v29, v30
	v_cmp_eq_u32_e32 vcc, 0, v43
	v_cmp_ne_u64_e64 s[4:5], 0, v[28:29]
	s_and_b64 s[6:7], s[4:5], vcc
	; wave barrier
	s_and_saveexec_b64 s[4:5], s[6:7]
	s_cbranch_execz .LBB1580_33
; %bb.32:
	v_bcnt_u32_b32 v28, v28, 0
	v_bcnt_u32_b32 v28, v29, v28
	s_waitcnt lgkmcnt(0)
	v_add_u32_e32 v28, v41, v28
	ds_write_b32 v46, v28 offset:32
.LBB1580_33:
	s_or_b64 exec, exec, s[4:5]
	v_xor_b32_e32 v13, 0x80000000, v13
	v_lshrrev_b64 v[28:29], s20, v[12:13]
	v_and_b32_e32 v47, s23, v28
	v_lshl_add_u32 v28, v47, 3, v47
	v_add_lshl_u32 v49, v45, v28, 2
	v_and_b32_e32 v28, 1, v47
	v_mov_b32_e32 v29, 0
	v_lshl_add_u64 v[30:31], v[28:29], 0, -1
	v_cmp_ne_u32_e32 vcc, 0, v28
	; wave barrier
	s_nop 1
	v_xor_b32_e32 v30, vcc_lo, v30
	v_xor_b32_e32 v28, vcc_hi, v31
	v_and_b32_e32 v48, exec_lo, v30
	v_lshlrev_b32_e32 v31, 30, v47
	v_mov_b32_e32 v30, v29
	v_cmp_gt_i64_e32 vcc, 0, v[30:31]
	v_not_b32_e32 v30, v31
	v_ashrrev_i32_e32 v30, 31, v30
	v_and_b32_e32 v28, exec_hi, v28
	v_xor_b32_e32 v31, vcc_hi, v30
	v_xor_b32_e32 v30, vcc_lo, v30
	v_and_b32_e32 v28, v28, v31
	v_and_b32_e32 v48, v48, v30
	v_lshlrev_b32_e32 v31, 29, v47
	v_mov_b32_e32 v30, v29
	v_cmp_gt_i64_e32 vcc, 0, v[30:31]
	v_not_b32_e32 v30, v31
	v_ashrrev_i32_e32 v30, 31, v30
	v_xor_b32_e32 v31, vcc_hi, v30
	v_xor_b32_e32 v30, vcc_lo, v30
	v_and_b32_e32 v28, v28, v31
	v_and_b32_e32 v48, v48, v30
	v_lshlrev_b32_e32 v31, 28, v47
	v_mov_b32_e32 v30, v29
	v_cmp_gt_i64_e32 vcc, 0, v[30:31]
	v_not_b32_e32 v30, v31
	v_ashrrev_i32_e32 v30, 31, v30
	;; [unrolled: 9-line block ×6, first 2 shown]
	v_xor_b32_e32 v31, vcc_hi, v30
	v_xor_b32_e32 v30, vcc_lo, v30
	ds_read_b32 v44, v49 offset:32
	v_and_b32_e32 v30, v48, v30
	v_and_b32_e32 v31, v28, v31
	v_mbcnt_lo_u32_b32 v28, v30, 0
	v_mbcnt_hi_u32_b32 v47, v31, v28
	v_cmp_eq_u32_e32 vcc, 0, v47
	v_cmp_ne_u64_e64 s[4:5], 0, v[30:31]
	s_and_b64 s[6:7], s[4:5], vcc
	; wave barrier
	s_and_saveexec_b64 s[4:5], s[6:7]
	s_cbranch_execz .LBB1580_35
; %bb.34:
	v_bcnt_u32_b32 v28, v30, 0
	v_bcnt_u32_b32 v28, v31, v28
	s_waitcnt lgkmcnt(0)
	v_add_u32_e32 v28, v44, v28
	ds_write_b32 v49, v28 offset:32
.LBB1580_35:
	s_or_b64 exec, exec, s[4:5]
	v_xor_b32_e32 v15, 0x80000000, v15
	v_lshrrev_b64 v[30:31], s20, v[14:15]
	v_and_b32_e32 v50, s23, v30
	v_lshl_add_u32 v28, v50, 3, v50
	v_add_lshl_u32 v52, v45, v28, 2
	v_and_b32_e32 v28, 1, v50
	v_lshl_add_u64 v[30:31], v[28:29], 0, -1
	v_cmp_ne_u32_e32 vcc, 0, v28
	; wave barrier
	s_nop 1
	v_xor_b32_e32 v30, vcc_lo, v30
	v_xor_b32_e32 v28, vcc_hi, v31
	v_and_b32_e32 v51, exec_lo, v30
	v_lshlrev_b32_e32 v31, 30, v50
	v_mov_b32_e32 v30, v29
	v_cmp_gt_i64_e32 vcc, 0, v[30:31]
	v_not_b32_e32 v30, v31
	v_ashrrev_i32_e32 v30, 31, v30
	v_and_b32_e32 v28, exec_hi, v28
	v_xor_b32_e32 v31, vcc_hi, v30
	v_xor_b32_e32 v30, vcc_lo, v30
	v_and_b32_e32 v28, v28, v31
	v_and_b32_e32 v51, v51, v30
	v_lshlrev_b32_e32 v31, 29, v50
	v_mov_b32_e32 v30, v29
	v_cmp_gt_i64_e32 vcc, 0, v[30:31]
	v_not_b32_e32 v30, v31
	v_ashrrev_i32_e32 v30, 31, v30
	v_xor_b32_e32 v31, vcc_hi, v30
	v_xor_b32_e32 v30, vcc_lo, v30
	v_and_b32_e32 v28, v28, v31
	v_and_b32_e32 v51, v51, v30
	v_lshlrev_b32_e32 v31, 28, v50
	v_mov_b32_e32 v30, v29
	v_cmp_gt_i64_e32 vcc, 0, v[30:31]
	v_not_b32_e32 v30, v31
	v_ashrrev_i32_e32 v30, 31, v30
	;; [unrolled: 9-line block ×5, first 2 shown]
	v_xor_b32_e32 v31, vcc_hi, v30
	v_xor_b32_e32 v30, vcc_lo, v30
	v_and_b32_e32 v28, v28, v31
	v_lshlrev_b32_e32 v31, 24, v50
	v_and_b32_e32 v51, v51, v30
	v_mov_b32_e32 v30, v29
	v_not_b32_e32 v29, v31
	v_cmp_gt_i64_e32 vcc, 0, v[30:31]
	v_ashrrev_i32_e32 v29, 31, v29
	ds_read_b32 v48, v52 offset:32
	v_xor_b32_e32 v30, vcc_hi, v29
	v_xor_b32_e32 v31, vcc_lo, v29
	v_and_b32_e32 v29, v28, v30
	v_and_b32_e32 v28, v51, v31
	v_mbcnt_lo_u32_b32 v30, v28, 0
	v_mbcnt_hi_u32_b32 v50, v29, v30
	v_cmp_eq_u32_e32 vcc, 0, v50
	v_cmp_ne_u64_e64 s[4:5], 0, v[28:29]
	s_and_b64 s[6:7], s[4:5], vcc
	; wave barrier
	s_and_saveexec_b64 s[4:5], s[6:7]
	s_cbranch_execz .LBB1580_37
; %bb.36:
	v_bcnt_u32_b32 v28, v28, 0
	v_bcnt_u32_b32 v28, v29, v28
	s_waitcnt lgkmcnt(0)
	v_add_u32_e32 v28, v48, v28
	ds_write_b32 v52, v28 offset:32
.LBB1580_37:
	s_or_b64 exec, exec, s[4:5]
	v_xor_b32_e32 v17, 0x80000000, v17
	v_lshrrev_b64 v[28:29], s20, v[16:17]
	v_and_b32_e32 v53, s23, v28
	v_lshl_add_u32 v28, v53, 3, v53
	v_add_lshl_u32 v55, v45, v28, 2
	v_and_b32_e32 v28, 1, v53
	v_mov_b32_e32 v29, 0
	v_lshl_add_u64 v[30:31], v[28:29], 0, -1
	v_cmp_ne_u32_e32 vcc, 0, v28
	; wave barrier
	s_nop 1
	v_xor_b32_e32 v30, vcc_lo, v30
	v_xor_b32_e32 v28, vcc_hi, v31
	v_and_b32_e32 v54, exec_lo, v30
	v_lshlrev_b32_e32 v31, 30, v53
	v_mov_b32_e32 v30, v29
	v_cmp_gt_i64_e32 vcc, 0, v[30:31]
	v_not_b32_e32 v30, v31
	v_ashrrev_i32_e32 v30, 31, v30
	v_and_b32_e32 v28, exec_hi, v28
	v_xor_b32_e32 v31, vcc_hi, v30
	v_xor_b32_e32 v30, vcc_lo, v30
	v_and_b32_e32 v28, v28, v31
	v_and_b32_e32 v54, v54, v30
	v_lshlrev_b32_e32 v31, 29, v53
	v_mov_b32_e32 v30, v29
	v_cmp_gt_i64_e32 vcc, 0, v[30:31]
	v_not_b32_e32 v30, v31
	v_ashrrev_i32_e32 v30, 31, v30
	v_xor_b32_e32 v31, vcc_hi, v30
	v_xor_b32_e32 v30, vcc_lo, v30
	v_and_b32_e32 v28, v28, v31
	v_and_b32_e32 v54, v54, v30
	v_lshlrev_b32_e32 v31, 28, v53
	v_mov_b32_e32 v30, v29
	v_cmp_gt_i64_e32 vcc, 0, v[30:31]
	v_not_b32_e32 v30, v31
	v_ashrrev_i32_e32 v30, 31, v30
	;; [unrolled: 9-line block ×6, first 2 shown]
	v_xor_b32_e32 v31, vcc_hi, v30
	v_xor_b32_e32 v30, vcc_lo, v30
	ds_read_b32 v51, v55 offset:32
	v_and_b32_e32 v30, v54, v30
	v_and_b32_e32 v31, v28, v31
	v_mbcnt_lo_u32_b32 v28, v30, 0
	v_mbcnt_hi_u32_b32 v53, v31, v28
	v_cmp_eq_u32_e32 vcc, 0, v53
	v_cmp_ne_u64_e64 s[4:5], 0, v[30:31]
	s_and_b64 s[6:7], s[4:5], vcc
	; wave barrier
	s_and_saveexec_b64 s[4:5], s[6:7]
	s_cbranch_execz .LBB1580_39
; %bb.38:
	v_bcnt_u32_b32 v28, v30, 0
	v_bcnt_u32_b32 v28, v31, v28
	s_waitcnt lgkmcnt(0)
	v_add_u32_e32 v28, v51, v28
	ds_write_b32 v55, v28 offset:32
.LBB1580_39:
	s_or_b64 exec, exec, s[4:5]
	v_xor_b32_e32 v19, 0x80000000, v19
	v_lshrrev_b64 v[30:31], s20, v[18:19]
	v_and_b32_e32 v56, s23, v30
	v_lshl_add_u32 v28, v56, 3, v56
	v_add_lshl_u32 v58, v45, v28, 2
	v_and_b32_e32 v28, 1, v56
	v_lshl_add_u64 v[30:31], v[28:29], 0, -1
	v_cmp_ne_u32_e32 vcc, 0, v28
	; wave barrier
	s_nop 1
	v_xor_b32_e32 v30, vcc_lo, v30
	v_xor_b32_e32 v28, vcc_hi, v31
	v_and_b32_e32 v57, exec_lo, v30
	v_lshlrev_b32_e32 v31, 30, v56
	v_mov_b32_e32 v30, v29
	v_cmp_gt_i64_e32 vcc, 0, v[30:31]
	v_not_b32_e32 v30, v31
	v_ashrrev_i32_e32 v30, 31, v30
	v_and_b32_e32 v28, exec_hi, v28
	v_xor_b32_e32 v31, vcc_hi, v30
	v_xor_b32_e32 v30, vcc_lo, v30
	v_and_b32_e32 v28, v28, v31
	v_and_b32_e32 v57, v57, v30
	v_lshlrev_b32_e32 v31, 29, v56
	v_mov_b32_e32 v30, v29
	v_cmp_gt_i64_e32 vcc, 0, v[30:31]
	v_not_b32_e32 v30, v31
	v_ashrrev_i32_e32 v30, 31, v30
	v_xor_b32_e32 v31, vcc_hi, v30
	v_xor_b32_e32 v30, vcc_lo, v30
	v_and_b32_e32 v28, v28, v31
	v_and_b32_e32 v57, v57, v30
	v_lshlrev_b32_e32 v31, 28, v56
	v_mov_b32_e32 v30, v29
	v_cmp_gt_i64_e32 vcc, 0, v[30:31]
	v_not_b32_e32 v30, v31
	v_ashrrev_i32_e32 v30, 31, v30
	;; [unrolled: 9-line block ×5, first 2 shown]
	v_xor_b32_e32 v31, vcc_hi, v30
	v_xor_b32_e32 v30, vcc_lo, v30
	v_and_b32_e32 v28, v28, v31
	v_lshlrev_b32_e32 v31, 24, v56
	v_and_b32_e32 v57, v57, v30
	v_mov_b32_e32 v30, v29
	v_not_b32_e32 v29, v31
	v_cmp_gt_i64_e32 vcc, 0, v[30:31]
	v_ashrrev_i32_e32 v29, 31, v29
	ds_read_b32 v54, v58 offset:32
	v_xor_b32_e32 v30, vcc_hi, v29
	v_xor_b32_e32 v31, vcc_lo, v29
	v_and_b32_e32 v29, v28, v30
	v_and_b32_e32 v28, v57, v31
	v_mbcnt_lo_u32_b32 v30, v28, 0
	v_mbcnt_hi_u32_b32 v56, v29, v30
	v_cmp_eq_u32_e32 vcc, 0, v56
	v_cmp_ne_u64_e64 s[4:5], 0, v[28:29]
	s_and_b64 s[6:7], s[4:5], vcc
	; wave barrier
	s_and_saveexec_b64 s[4:5], s[6:7]
	s_cbranch_execz .LBB1580_41
; %bb.40:
	v_bcnt_u32_b32 v28, v28, 0
	v_bcnt_u32_b32 v28, v29, v28
	s_waitcnt lgkmcnt(0)
	v_add_u32_e32 v28, v54, v28
	ds_write_b32 v58, v28 offset:32
.LBB1580_41:
	s_or_b64 exec, exec, s[4:5]
	v_xor_b32_e32 v21, 0x80000000, v21
	v_lshrrev_b64 v[28:29], s20, v[20:21]
	v_and_b32_e32 v59, s23, v28
	v_lshl_add_u32 v28, v59, 3, v59
	v_add_lshl_u32 v61, v45, v28, 2
	v_and_b32_e32 v28, 1, v59
	v_mov_b32_e32 v29, 0
	v_lshl_add_u64 v[30:31], v[28:29], 0, -1
	v_cmp_ne_u32_e32 vcc, 0, v28
	; wave barrier
	s_nop 1
	v_xor_b32_e32 v30, vcc_lo, v30
	v_xor_b32_e32 v28, vcc_hi, v31
	v_and_b32_e32 v60, exec_lo, v30
	v_lshlrev_b32_e32 v31, 30, v59
	v_mov_b32_e32 v30, v29
	v_cmp_gt_i64_e32 vcc, 0, v[30:31]
	v_not_b32_e32 v30, v31
	v_ashrrev_i32_e32 v30, 31, v30
	v_and_b32_e32 v28, exec_hi, v28
	v_xor_b32_e32 v31, vcc_hi, v30
	v_xor_b32_e32 v30, vcc_lo, v30
	v_and_b32_e32 v28, v28, v31
	v_and_b32_e32 v60, v60, v30
	v_lshlrev_b32_e32 v31, 29, v59
	v_mov_b32_e32 v30, v29
	v_cmp_gt_i64_e32 vcc, 0, v[30:31]
	v_not_b32_e32 v30, v31
	v_ashrrev_i32_e32 v30, 31, v30
	v_xor_b32_e32 v31, vcc_hi, v30
	v_xor_b32_e32 v30, vcc_lo, v30
	v_and_b32_e32 v28, v28, v31
	v_and_b32_e32 v60, v60, v30
	v_lshlrev_b32_e32 v31, 28, v59
	v_mov_b32_e32 v30, v29
	v_cmp_gt_i64_e32 vcc, 0, v[30:31]
	v_not_b32_e32 v30, v31
	v_ashrrev_i32_e32 v30, 31, v30
	;; [unrolled: 9-line block ×6, first 2 shown]
	v_xor_b32_e32 v31, vcc_hi, v30
	v_xor_b32_e32 v30, vcc_lo, v30
	ds_read_b32 v57, v61 offset:32
	v_and_b32_e32 v30, v60, v30
	v_and_b32_e32 v31, v28, v31
	v_mbcnt_lo_u32_b32 v28, v30, 0
	v_mbcnt_hi_u32_b32 v59, v31, v28
	v_cmp_eq_u32_e32 vcc, 0, v59
	v_cmp_ne_u64_e64 s[4:5], 0, v[30:31]
	s_and_b64 s[6:7], s[4:5], vcc
	; wave barrier
	s_and_saveexec_b64 s[4:5], s[6:7]
	s_cbranch_execz .LBB1580_43
; %bb.42:
	v_bcnt_u32_b32 v28, v30, 0
	v_bcnt_u32_b32 v28, v31, v28
	s_waitcnt lgkmcnt(0)
	v_add_u32_e32 v28, v57, v28
	ds_write_b32 v61, v28 offset:32
.LBB1580_43:
	s_or_b64 exec, exec, s[4:5]
	v_xor_b32_e32 v23, 0x80000000, v23
	v_lshrrev_b64 v[30:31], s20, v[22:23]
	v_and_b32_e32 v62, s23, v30
	v_lshl_add_u32 v28, v62, 3, v62
	v_add_lshl_u32 v64, v45, v28, 2
	v_and_b32_e32 v28, 1, v62
	v_lshl_add_u64 v[30:31], v[28:29], 0, -1
	v_cmp_ne_u32_e32 vcc, 0, v28
	; wave barrier
	s_nop 1
	v_xor_b32_e32 v30, vcc_lo, v30
	v_xor_b32_e32 v28, vcc_hi, v31
	v_and_b32_e32 v63, exec_lo, v30
	v_lshlrev_b32_e32 v31, 30, v62
	v_mov_b32_e32 v30, v29
	v_cmp_gt_i64_e32 vcc, 0, v[30:31]
	v_not_b32_e32 v30, v31
	v_ashrrev_i32_e32 v30, 31, v30
	v_and_b32_e32 v28, exec_hi, v28
	v_xor_b32_e32 v31, vcc_hi, v30
	v_xor_b32_e32 v30, vcc_lo, v30
	v_and_b32_e32 v28, v28, v31
	v_and_b32_e32 v63, v63, v30
	v_lshlrev_b32_e32 v31, 29, v62
	v_mov_b32_e32 v30, v29
	v_cmp_gt_i64_e32 vcc, 0, v[30:31]
	v_not_b32_e32 v30, v31
	v_ashrrev_i32_e32 v30, 31, v30
	v_xor_b32_e32 v31, vcc_hi, v30
	v_xor_b32_e32 v30, vcc_lo, v30
	v_and_b32_e32 v28, v28, v31
	v_and_b32_e32 v63, v63, v30
	v_lshlrev_b32_e32 v31, 28, v62
	v_mov_b32_e32 v30, v29
	v_cmp_gt_i64_e32 vcc, 0, v[30:31]
	v_not_b32_e32 v30, v31
	v_ashrrev_i32_e32 v30, 31, v30
	;; [unrolled: 9-line block ×5, first 2 shown]
	v_xor_b32_e32 v31, vcc_hi, v30
	v_xor_b32_e32 v30, vcc_lo, v30
	v_and_b32_e32 v28, v28, v31
	v_lshlrev_b32_e32 v31, 24, v62
	v_and_b32_e32 v63, v63, v30
	v_mov_b32_e32 v30, v29
	v_not_b32_e32 v29, v31
	v_cmp_gt_i64_e32 vcc, 0, v[30:31]
	v_ashrrev_i32_e32 v29, 31, v29
	ds_read_b32 v60, v64 offset:32
	v_xor_b32_e32 v30, vcc_hi, v29
	v_xor_b32_e32 v31, vcc_lo, v29
	v_and_b32_e32 v29, v28, v30
	v_and_b32_e32 v28, v63, v31
	v_mbcnt_lo_u32_b32 v30, v28, 0
	v_mbcnt_hi_u32_b32 v62, v29, v30
	v_cmp_eq_u32_e32 vcc, 0, v62
	v_cmp_ne_u64_e64 s[4:5], 0, v[28:29]
	s_and_b64 s[6:7], s[4:5], vcc
	; wave barrier
	s_and_saveexec_b64 s[4:5], s[6:7]
	s_cbranch_execz .LBB1580_45
; %bb.44:
	v_bcnt_u32_b32 v28, v28, 0
	v_bcnt_u32_b32 v28, v29, v28
	s_waitcnt lgkmcnt(0)
	v_add_u32_e32 v28, v60, v28
	ds_write_b32 v64, v28 offset:32
.LBB1580_45:
	s_or_b64 exec, exec, s[4:5]
	v_xor_b32_e32 v25, 0x80000000, v25
	v_lshrrev_b64 v[28:29], s20, v[24:25]
	v_and_b32_e32 v65, s23, v28
	v_lshl_add_u32 v28, v65, 3, v65
	v_add_lshl_u32 v66, v45, v28, 2
	v_and_b32_e32 v28, 1, v65
	v_mov_b32_e32 v29, 0
	v_lshl_add_u64 v[30:31], v[28:29], 0, -1
	v_cmp_ne_u32_e32 vcc, 0, v28
	; wave barrier
	s_nop 1
	v_xor_b32_e32 v30, vcc_lo, v30
	v_xor_b32_e32 v28, vcc_hi, v31
	v_and_b32_e32 v67, exec_lo, v30
	v_lshlrev_b32_e32 v31, 30, v65
	v_mov_b32_e32 v30, v29
	v_cmp_gt_i64_e32 vcc, 0, v[30:31]
	v_not_b32_e32 v30, v31
	v_ashrrev_i32_e32 v30, 31, v30
	v_and_b32_e32 v28, exec_hi, v28
	v_xor_b32_e32 v31, vcc_hi, v30
	v_xor_b32_e32 v30, vcc_lo, v30
	v_and_b32_e32 v28, v28, v31
	v_and_b32_e32 v67, v67, v30
	v_lshlrev_b32_e32 v31, 29, v65
	v_mov_b32_e32 v30, v29
	v_cmp_gt_i64_e32 vcc, 0, v[30:31]
	v_not_b32_e32 v30, v31
	v_ashrrev_i32_e32 v30, 31, v30
	v_xor_b32_e32 v31, vcc_hi, v30
	v_xor_b32_e32 v30, vcc_lo, v30
	v_and_b32_e32 v28, v28, v31
	v_and_b32_e32 v67, v67, v30
	v_lshlrev_b32_e32 v31, 28, v65
	v_mov_b32_e32 v30, v29
	v_cmp_gt_i64_e32 vcc, 0, v[30:31]
	v_not_b32_e32 v30, v31
	v_ashrrev_i32_e32 v30, 31, v30
	;; [unrolled: 9-line block ×6, first 2 shown]
	v_xor_b32_e32 v31, vcc_hi, v30
	v_xor_b32_e32 v30, vcc_lo, v30
	ds_read_b32 v63, v66 offset:32
	v_and_b32_e32 v30, v67, v30
	v_and_b32_e32 v31, v28, v31
	v_mbcnt_lo_u32_b32 v28, v30, 0
	v_mbcnt_hi_u32_b32 v65, v31, v28
	v_cmp_eq_u32_e32 vcc, 0, v65
	v_cmp_ne_u64_e64 s[4:5], 0, v[30:31]
	s_and_b64 s[6:7], s[4:5], vcc
	; wave barrier
	s_and_saveexec_b64 s[4:5], s[6:7]
	s_cbranch_execz .LBB1580_47
; %bb.46:
	v_bcnt_u32_b32 v28, v30, 0
	v_bcnt_u32_b32 v28, v31, v28
	s_waitcnt lgkmcnt(0)
	v_add_u32_e32 v28, v63, v28
	ds_write_b32 v66, v28 offset:32
.LBB1580_47:
	s_or_b64 exec, exec, s[4:5]
	v_xor_b32_e32 v27, 0x80000000, v27
	v_lshrrev_b64 v[30:31], s20, v[26:27]
	v_and_b32_e32 v67, s23, v30
	v_lshl_add_u32 v28, v67, 3, v67
	v_add_lshl_u32 v68, v45, v28, 2
	v_and_b32_e32 v28, 1, v67
	v_lshl_add_u64 v[30:31], v[28:29], 0, -1
	v_cmp_ne_u32_e32 vcc, 0, v28
	; wave barrier
	s_nop 1
	v_xor_b32_e32 v30, vcc_lo, v30
	v_xor_b32_e32 v28, vcc_hi, v31
	v_and_b32_e32 v70, exec_lo, v30
	v_lshlrev_b32_e32 v31, 30, v67
	v_mov_b32_e32 v30, v29
	v_cmp_gt_i64_e32 vcc, 0, v[30:31]
	v_not_b32_e32 v30, v31
	v_ashrrev_i32_e32 v30, 31, v30
	v_and_b32_e32 v28, exec_hi, v28
	v_xor_b32_e32 v31, vcc_hi, v30
	v_xor_b32_e32 v30, vcc_lo, v30
	v_and_b32_e32 v28, v28, v31
	v_and_b32_e32 v70, v70, v30
	v_lshlrev_b32_e32 v31, 29, v67
	v_mov_b32_e32 v30, v29
	v_cmp_gt_i64_e32 vcc, 0, v[30:31]
	v_not_b32_e32 v30, v31
	v_ashrrev_i32_e32 v30, 31, v30
	v_xor_b32_e32 v31, vcc_hi, v30
	v_xor_b32_e32 v30, vcc_lo, v30
	v_and_b32_e32 v28, v28, v31
	v_and_b32_e32 v70, v70, v30
	v_lshlrev_b32_e32 v31, 28, v67
	v_mov_b32_e32 v30, v29
	v_cmp_gt_i64_e32 vcc, 0, v[30:31]
	v_not_b32_e32 v30, v31
	v_ashrrev_i32_e32 v30, 31, v30
	;; [unrolled: 9-line block ×5, first 2 shown]
	v_xor_b32_e32 v31, vcc_hi, v30
	v_xor_b32_e32 v30, vcc_lo, v30
	v_and_b32_e32 v28, v28, v31
	v_lshlrev_b32_e32 v31, 24, v67
	v_and_b32_e32 v70, v70, v30
	v_mov_b32_e32 v30, v29
	v_not_b32_e32 v29, v31
	v_cmp_gt_i64_e32 vcc, 0, v[30:31]
	v_ashrrev_i32_e32 v29, 31, v29
	ds_read_b32 v45, v68 offset:32
	v_xor_b32_e32 v30, vcc_hi, v29
	v_xor_b32_e32 v31, vcc_lo, v29
	v_and_b32_e32 v29, v28, v30
	v_and_b32_e32 v28, v70, v31
	v_mbcnt_lo_u32_b32 v30, v28, 0
	v_mbcnt_hi_u32_b32 v67, v29, v30
	v_cmp_eq_u32_e32 vcc, 0, v67
	v_cmp_ne_u64_e64 s[4:5], 0, v[28:29]
	v_add_u32_e32 v69, 32, v33
	s_and_b64 s[6:7], s[4:5], vcc
	; wave barrier
	s_and_saveexec_b64 s[4:5], s[6:7]
	s_cbranch_execz .LBB1580_49
; %bb.48:
	v_bcnt_u32_b32 v28, v28, 0
	v_bcnt_u32_b32 v28, v29, v28
	s_waitcnt lgkmcnt(0)
	v_add_u32_e32 v28, v45, v28
	ds_write_b32 v68, v28 offset:32
.LBB1580_49:
	s_or_b64 exec, exec, s[4:5]
	; wave barrier
	s_waitcnt lgkmcnt(0)
	s_barrier
	ds_read2_b32 v[30:31], v33 offset0:8 offset1:9
	ds_read2_b32 v[28:29], v69 offset0:2 offset1:3
	ds_read_b32 v70, v69 offset:16
	v_min_u32_e32 v32, 0x1c0, v32
	v_or_b32_e32 v32, 63, v32
	s_waitcnt lgkmcnt(1)
	v_add3_u32 v71, v31, v30, v28
	s_waitcnt lgkmcnt(0)
	v_add3_u32 v70, v71, v29, v70
	v_and_b32_e32 v71, 15, v3
	v_cmp_ne_u32_e32 vcc, 0, v71
	v_mov_b32_dpp v72, v70 row_shr:1 row_mask:0xf bank_mask:0xf
	s_nop 0
	v_cndmask_b32_e32 v72, 0, v72, vcc
	v_add_u32_e32 v70, v72, v70
	v_cmp_lt_u32_e32 vcc, 1, v71
	s_nop 0
	v_mov_b32_dpp v72, v70 row_shr:2 row_mask:0xf bank_mask:0xf
	v_cndmask_b32_e32 v72, 0, v72, vcc
	v_add_u32_e32 v70, v70, v72
	v_cmp_lt_u32_e32 vcc, 3, v71
	s_nop 0
	v_mov_b32_dpp v72, v70 row_shr:4 row_mask:0xf bank_mask:0xf
	;; [unrolled: 5-line block ×3, first 2 shown]
	v_cndmask_b32_e32 v71, 0, v72, vcc
	v_add_u32_e32 v70, v70, v71
	v_bfe_i32 v72, v3, 4, 1
	v_cmp_lt_u32_e32 vcc, 31, v3
	v_mov_b32_dpp v71, v70 row_bcast:15 row_mask:0xf bank_mask:0xf
	v_and_b32_e32 v71, v72, v71
	v_add_u32_e32 v70, v70, v71
	v_lshrrev_b32_e32 v72, 6, v2
	s_nop 0
	v_mov_b32_dpp v71, v70 row_bcast:31 row_mask:0xf bank_mask:0xf
	v_cndmask_b32_e32 v71, 0, v71, vcc
	v_add_u32_e32 v71, v70, v71
	v_cmp_eq_u32_e32 vcc, v32, v2
	s_and_saveexec_b64 s[4:5], vcc
	s_cbranch_execz .LBB1580_51
; %bb.50:
	v_lshlrev_b32_e32 v32, 2, v72
	ds_write_b32 v32, v71
.LBB1580_51:
	s_or_b64 exec, exec, s[4:5]
	v_cmp_gt_u32_e32 vcc, 8, v2
	v_lshlrev_b32_e32 v70, 2, v2
	s_waitcnt lgkmcnt(0)
	s_barrier
	s_and_saveexec_b64 s[4:5], vcc
	s_cbranch_execz .LBB1580_53
; %bb.52:
	ds_read_b32 v32, v70
	v_and_b32_e32 v73, 7, v3
	v_cmp_ne_u32_e32 vcc, 0, v73
	s_waitcnt lgkmcnt(0)
	v_mov_b32_dpp v74, v32 row_shr:1 row_mask:0xf bank_mask:0xf
	v_cndmask_b32_e32 v74, 0, v74, vcc
	v_add_u32_e32 v32, v74, v32
	v_cmp_lt_u32_e32 vcc, 1, v73
	s_nop 0
	v_mov_b32_dpp v74, v32 row_shr:2 row_mask:0xf bank_mask:0xf
	v_cndmask_b32_e32 v74, 0, v74, vcc
	v_add_u32_e32 v32, v32, v74
	v_cmp_lt_u32_e32 vcc, 3, v73
	s_nop 0
	v_mov_b32_dpp v74, v32 row_shr:4 row_mask:0xf bank_mask:0xf
	v_cndmask_b32_e32 v73, 0, v74, vcc
	v_add_u32_e32 v32, v32, v73
	ds_write_b32 v70, v32
.LBB1580_53:
	s_or_b64 exec, exec, s[4:5]
	v_cmp_lt_u32_e32 vcc, 63, v2
	v_mov_b32_e32 v32, 0
	s_waitcnt lgkmcnt(0)
	s_barrier
	s_and_saveexec_b64 s[4:5], vcc
	s_cbranch_execz .LBB1580_55
; %bb.54:
	v_lshl_add_u32 v32, v72, 2, -4
	ds_read_b32 v32, v32
.LBB1580_55:
	s_or_b64 exec, exec, s[4:5]
	v_add_u32_e32 v72, -1, v3
	v_and_b32_e32 v73, 64, v3
	v_cmp_lt_i32_e32 vcc, v72, v73
	s_waitcnt lgkmcnt(0)
	v_add_u32_e32 v71, v32, v71
	s_movk_i32 s4, 0x100
	v_cndmask_b32_e32 v72, v72, v3, vcc
	v_lshlrev_b32_e32 v72, 2, v72
	ds_bpermute_b32 v71, v72, v71
	v_cmp_eq_u32_e32 vcc, 0, v3
	s_waitcnt lgkmcnt(0)
	s_nop 0
	v_cndmask_b32_e32 v3, v71, v32, vcc
	v_cmp_ne_u32_e32 vcc, 0, v2
	s_nop 1
	v_cndmask_b32_e32 v3, 0, v3, vcc
	v_add_u32_e32 v30, v3, v30
	v_add_u32_e32 v31, v30, v31
	;; [unrolled: 1-line block ×4, first 2 shown]
	ds_write2_b32 v33, v3, v30 offset0:8 offset1:9
	ds_write2_b32 v69, v31, v28 offset0:2 offset1:3
	ds_write_b32 v69, v29 offset:16
	s_waitcnt lgkmcnt(0)
	s_barrier
	ds_read_b32 v76, v38 offset:32
	ds_read_b32 v69, v39 offset:32
	;; [unrolled: 1-line block ×12, first 2 shown]
	v_cmp_gt_u32_e32 vcc, s4, v2
                                        ; implicit-def: $vgpr3
                                        ; implicit-def: $vgpr38
	s_and_saveexec_b64 s[6:7], vcc
	s_cbranch_execz .LBB1580_59
; %bb.56:
	v_mul_u32_u24_e32 v3, 9, v2
	v_lshlrev_b32_e32 v29, 2, v3
	ds_read_b32 v3, v29 offset:32
	s_movk_i32 s4, 0xff
	v_cmp_ne_u32_e64 s[4:5], s4, v2
	v_mov_b32_e32 v28, 0x1800
	s_and_saveexec_b64 s[8:9], s[4:5]
	s_cbranch_execz .LBB1580_58
; %bb.57:
	ds_read_b32 v28, v29 offset:68
.LBB1580_58:
	s_or_b64 exec, exec, s[8:9]
	s_waitcnt lgkmcnt(0)
	v_sub_u32_e32 v38, v28, v3
.LBB1580_59:
	s_or_b64 exec, exec, s[6:7]
	s_waitcnt lgkmcnt(0)
	s_barrier
	s_and_saveexec_b64 s[6:7], vcc
	s_cbranch_execz .LBB1580_69
; %bb.60:
	v_lshl_or_b32 v30, s2, 8, v2
	v_mov_b32_e32 v31, 0
	v_lshl_add_u64 v[28:29], v[30:31], 2, s[28:29]
	v_or_b32_e32 v30, 2.0, v38
	s_mov_b64 s[8:9], 0
	s_brev_b32 s14, 1
	s_mov_b32 s15, s2
	v_mov_b32_e32 v49, 0
	global_store_dword v[28:29], v30, off sc1
                                        ; implicit-def: $sgpr4_sgpr5
	s_branch .LBB1580_62
.LBB1580_61:                            ;   in Loop: Header=BB1580_62 Depth=1
	s_or_b64 exec, exec, s[10:11]
	v_and_b32_e32 v32, 0x3fffffff, v55
	v_add_u32_e32 v49, v32, v49
	v_cmp_eq_u32_e64 s[4:5], s14, v30
	s_and_b64 s[10:11], exec, s[4:5]
	s_or_b64 s[8:9], s[10:11], s[8:9]
	s_andn2_b64 exec, exec, s[8:9]
	s_cbranch_execz .LBB1580_68
.LBB1580_62:                            ; =>This Loop Header: Depth=1
                                        ;     Child Loop BB1580_65 Depth 2
	s_or_b64 s[4:5], s[4:5], exec
	s_cmp_eq_u32 s15, 0
	s_cbranch_scc1 .LBB1580_67
; %bb.63:                               ;   in Loop: Header=BB1580_62 Depth=1
	s_add_i32 s15, s15, -1
	v_lshl_or_b32 v30, s15, 8, v2
	v_lshl_add_u64 v[32:33], v[30:31], 2, s[28:29]
	global_load_dword v55, v[32:33], off sc1
	s_waitcnt vmcnt(0)
	v_and_b32_e32 v30, -2.0, v55
	v_cmp_eq_u32_e64 s[4:5], 0, v30
	s_and_saveexec_b64 s[10:11], s[4:5]
	s_cbranch_execz .LBB1580_61
; %bb.64:                               ;   in Loop: Header=BB1580_62 Depth=1
	s_mov_b64 s[12:13], 0
.LBB1580_65:                            ;   Parent Loop BB1580_62 Depth=1
                                        ; =>  This Inner Loop Header: Depth=2
	global_load_dword v55, v[32:33], off sc1
	s_waitcnt vmcnt(0)
	v_and_b32_e32 v30, -2.0, v55
	v_cmp_ne_u32_e64 s[4:5], 0, v30
	s_or_b64 s[12:13], s[4:5], s[12:13]
	s_andn2_b64 exec, exec, s[12:13]
	s_cbranch_execnz .LBB1580_65
; %bb.66:                               ;   in Loop: Header=BB1580_62 Depth=1
	s_or_b64 exec, exec, s[12:13]
	s_branch .LBB1580_61
.LBB1580_67:                            ;   in Loop: Header=BB1580_62 Depth=1
                                        ; implicit-def: $sgpr15
	s_and_b64 s[10:11], exec, s[4:5]
	s_or_b64 s[8:9], s[10:11], s[8:9]
	s_andn2_b64 exec, exec, s[8:9]
	s_cbranch_execnz .LBB1580_62
.LBB1580_68:
	s_or_b64 exec, exec, s[8:9]
	v_add_u32_e32 v30, v49, v38
	v_or_b32_e32 v30, 0x80000000, v30
	global_store_dword v[28:29], v30, off sc1
	global_load_dword v28, v70, s[16:17]
	v_sub_u32_e32 v29, v49, v3
	s_waitcnt vmcnt(0)
	v_add_u32_e32 v28, v29, v28
	ds_write_b32 v70, v28
.LBB1580_69:
	s_or_b64 exec, exec, s[6:7]
	v_add_u32_e32 v30, v76, v35
	v_add3_u32 v28, v36, v34, v69
	v_add3_u32 v29, v40, v37, v71
	;; [unrolled: 1-line block ×11, first 2 shown]
	v_lshlrev_b32_e32 v31, 3, v2
	v_mov_b32_e32 v77, 0x400
	s_movk_i32 s8, 0x400
	v_add_u32_e32 v32, 0x400, v31
	v_lshl_add_u32 v33, v33, 3, v77
	v_add3_u32 v35, v67, v39, v45
	v_lshl_add_u32 v39, v76, 3, v77
	v_add3_u32 v42, v65, v42, v63
	;; [unrolled: 2-line block ×11, first 2 shown]
	v_lshl_add_u32 v36, v30, 3, v77
	s_mov_b32 s9, 0
	v_mov_b32_e32 v29, 0
	s_movk_i32 s10, 0x200
	v_mov_b32_e32 v57, v2
	s_mov_b32 s11, 0
	s_branch .LBB1580_71
.LBB1580_70:                            ;   in Loop: Header=BB1580_71 Depth=1
	s_or_b64 exec, exec, s[6:7]
	s_addk_i32 s11, 0xe000
	s_addk_i32 s9, 0xfc00
	s_cmp_eq_u32 s11, 0xffff4000
	v_add_u32_e32 v57, 0x400, v57
	s_barrier
	s_cbranch_scc1 .LBB1580_100
.LBB1580_71:                            ; =>This Inner Loop Header: Depth=1
	v_add_u32_e32 v28, s9, v30
	v_cmp_gt_u32_e64 s[4:5], s8, v28
	s_and_saveexec_b64 s[6:7], s[4:5]
	s_cbranch_execz .LBB1580_73
; %bb.72:                               ;   in Loop: Header=BB1580_71 Depth=1
	v_add_u32_e32 v28, s11, v36
	ds_write_b64 v28, v[4:5]
.LBB1580_73:                            ;   in Loop: Header=BB1580_71 Depth=1
	s_or_b64 exec, exec, s[6:7]
	v_add_u32_e32 v28, s9, v34
	v_cmp_gt_u32_e64 s[4:5], s8, v28
	s_and_saveexec_b64 s[6:7], s[4:5]
	s_cbranch_execz .LBB1580_75
; %bb.74:                               ;   in Loop: Header=BB1580_71 Depth=1
	v_add_u32_e32 v28, s11, v40
	ds_write_b64 v28, v[6:7]
.LBB1580_75:                            ;   in Loop: Header=BB1580_71 Depth=1
	s_or_b64 exec, exec, s[6:7]
	;; [unrolled: 9-line block ×12, first 2 shown]
	v_cmp_gt_u32_e64 s[4:5], s3, v57
	s_waitcnt lgkmcnt(0)
	s_barrier
	s_and_saveexec_b64 s[6:7], s[4:5]
	s_cbranch_execz .LBB1580_97
; %bb.96:                               ;   in Loop: Header=BB1580_71 Depth=1
	ds_read_b64 v[58:59], v31 offset:1024
	s_waitcnt lgkmcnt(0)
	v_lshrrev_b64 v[60:61], s20, v[58:59]
	v_and_b32_e32 v28, s23, v60
	v_lshlrev_b32_e32 v28, 2, v28
	ds_read_b32 v28, v28
	v_xor_b32_e32 v59, 0x80000000, v59
	s_waitcnt lgkmcnt(0)
	v_add_u32_e32 v28, v57, v28
	v_lshl_add_u64 v[60:61], v[28:29], 3, s[26:27]
	global_store_dwordx2 v[60:61], v[58:59], off
.LBB1580_97:                            ;   in Loop: Header=BB1580_71 Depth=1
	s_or_b64 exec, exec, s[6:7]
	v_add_u32_e32 v28, 0x200, v57
	v_cmp_gt_u32_e64 s[4:5], s3, v28
	s_and_saveexec_b64 s[6:7], s[4:5]
	s_cbranch_execz .LBB1580_70
; %bb.98:                               ;   in Loop: Header=BB1580_71 Depth=1
	ds_read_b64 v[58:59], v32 offset:4096
	s_waitcnt lgkmcnt(0)
	v_lshrrev_b64 v[60:61], s20, v[58:59]
	v_and_b32_e32 v28, s23, v60
	v_lshlrev_b32_e32 v28, 2, v28
	ds_read_b32 v28, v28
	v_xor_b32_e32 v59, 0x80000000, v59
	s_waitcnt lgkmcnt(0)
	v_add3_u32 v28, v57, v28, s10
	v_lshl_add_u64 v[60:61], v[28:29], 3, s[26:27]
	global_store_dwordx2 v[60:61], v[58:59], off
	s_branch .LBB1580_70
.LBB1580_99:
	s_mov_b64 s[8:9], 0
                                        ; implicit-def: $vgpr4
                                        ; implicit-def: $vgpr2
	s_cbranch_execnz .LBB1580_103
	s_branch .LBB1580_176
.LBB1580_100:
	s_add_i32 s22, s22, -1
	s_cmp_eq_u32 s22, s2
	s_cselect_b64 s[4:5], -1, 0
	s_and_b64 s[6:7], vcc, s[4:5]
	s_mov_b64 s[4:5], 0
	s_mov_b64 s[8:9], 0
                                        ; implicit-def: $vgpr4
	s_and_saveexec_b64 s[10:11], s[6:7]
	s_xor_b64 s[6:7], exec, s[10:11]
; %bb.101:
	s_mov_b64 s[8:9], exec
	v_add_u32_e32 v4, v3, v38
; %bb.102:
	s_or_b64 exec, exec, s[6:7]
	s_and_b64 vcc, exec, s[4:5]
	s_cbranch_vccz .LBB1580_176
.LBB1580_103:
	s_mov_b32 s31, 0
	s_lshl_b64 s[4:5], s[30:31], 3
	v_mbcnt_hi_u32_b32 v3, -1, v1
	s_add_u32 s4, s24, s4
	v_and_b32_e32 v1, 63, v3
	s_addc_u32 s5, s25, s5
	v_mov_b32_e32 v27, 0
	v_lshlrev_b32_e32 v26, 3, v1
	v_lshl_add_u64 v[4:5], s[4:5], 0, v[26:27]
	s_load_dword s3, s[0:1], 0x58
	s_load_dword s4, s[0:1], 0x64
	v_and_b32_e32 v2, 0x3ff, v0
	v_and_b32_e32 v30, 0x1c0, v2
	v_mul_u32_u24_e32 v6, 12, v30
	v_lshlrev_b32_e32 v26, 3, v6
	s_add_u32 s0, s0, 0x58
	v_lshl_add_u64 v[18:19], v[4:5], 0, v[26:27]
	s_addc_u32 s1, s1, 0
	s_waitcnt lgkmcnt(0)
	s_lshr_b32 s4, s4, 16
	global_load_dwordx2 v[4:5], v[18:19], off
	s_cmp_lt_u32 s2, s3
	s_cselect_b32 s5, 12, 18
	s_add_u32 s0, s0, s5
	s_addc_u32 s1, s1, 0
	global_load_ushort v38, v27, s[0:1]
	v_bfe_u32 v20, v0, 10, 10
	v_bfe_u32 v21, v0, 20, 10
	v_mul_u32_u24_e32 v0, 5, v2
	v_lshlrev_b32_e32 v31, 2, v0
	ds_write2_b32 v31, v27, v27 offset0:8 offset1:9
	ds_write2_b32 v31, v27, v27 offset0:10 offset1:11
	ds_write_b32 v31, v27 offset:48
	s_movk_i32 s0, 0x1000
	global_load_dwordx2 v[0:1], v[18:19], off offset:512
	global_load_dwordx2 v[6:7], v[18:19], off offset:1024
	;; [unrolled: 1-line block ×7, first 2 shown]
	v_add_co_u32_e32 v36, vcc, s0, v18
	v_mad_u32_u24 v39, v21, s4, v20
	s_nop 0
	v_addc_co_u32_e32 v37, vcc, 0, v19, vcc
	global_load_dwordx2 v[18:19], v[36:37], off
	global_load_dwordx2 v[20:21], v[36:37], off offset:512
	global_load_dwordx2 v[22:23], v[36:37], off offset:1024
	;; [unrolled: 1-line block ×3, first 2 shown]
	s_lshl_b32 s0, -1, s21
	s_not_b32 s14, s0
	v_mov_b32_e32 v28, v27
	v_mov_b32_e32 v32, v27
	;; [unrolled: 1-line block ×3, first 2 shown]
	s_waitcnt lgkmcnt(0)
	s_barrier
	s_waitcnt lgkmcnt(0)
	; wave barrier
	s_waitcnt vmcnt(12)
	v_xor_b32_e32 v5, 0x80000000, v5
	v_lshrrev_b64 v[36:37], s20, v[4:5]
	v_and_b32_e32 v40, s14, v36
	v_and_b32_e32 v26, 1, v40
	v_lshlrev_b32_e32 v29, 30, v40
	v_lshlrev_b32_e32 v33, 29, v40
	s_waitcnt vmcnt(11)
	v_mad_u64_u32 v[36:37], s[0:1], v39, v38, v[2:3]
	v_lshl_add_u64 v[38:39], v[26:27], 0, -1
	v_cmp_ne_u32_e32 vcc, 0, v26
	v_not_b32_e32 v26, v29
	v_lshlrev_b32_e32 v35, 28, v40
	v_cmp_gt_i64_e64 s[0:1], 0, v[28:29]
	v_cmp_gt_i64_e64 s[4:5], 0, v[32:33]
	v_not_b32_e32 v28, v33
	v_xor_b32_e32 v33, vcc_lo, v38
	v_ashrrev_i32_e32 v26, 31, v26
	v_cmp_gt_i64_e64 s[6:7], 0, v[34:35]
	v_not_b32_e32 v29, v35
	v_ashrrev_i32_e32 v28, 31, v28
	v_and_b32_e32 v33, exec_lo, v33
	v_xor_b32_e32 v34, s1, v26
	v_xor_b32_e32 v26, s0, v26
	v_lshrrev_b32_e32 v42, 6, v36
	v_ashrrev_i32_e32 v29, 31, v29
	v_xor_b32_e32 v36, s5, v28
	v_xor_b32_e32 v28, s4, v28
	v_and_b32_e32 v26, v33, v26
	v_xor_b32_e32 v32, vcc_hi, v39
	v_xor_b32_e32 v37, s7, v29
	v_xor_b32_e32 v29, s6, v29
	v_and_b32_e32 v26, v26, v28
	v_and_b32_e32 v32, exec_hi, v32
	v_and_b32_e32 v26, v26, v29
	v_lshlrev_b32_e32 v29, 27, v40
	v_mov_b32_e32 v28, v27
	v_and_b32_e32 v32, v32, v34
	v_cmp_gt_i64_e32 vcc, 0, v[28:29]
	v_not_b32_e32 v28, v29
	v_and_b32_e32 v32, v32, v36
	v_ashrrev_i32_e32 v28, 31, v28
	v_and_b32_e32 v32, v32, v37
	v_xor_b32_e32 v29, vcc_hi, v28
	v_xor_b32_e32 v28, vcc_lo, v28
	v_and_b32_e32 v32, v32, v29
	v_and_b32_e32 v26, v26, v28
	v_lshlrev_b32_e32 v29, 26, v40
	v_mov_b32_e32 v28, v27
	v_cmp_gt_i64_e32 vcc, 0, v[28:29]
	v_not_b32_e32 v28, v29
	v_ashrrev_i32_e32 v28, 31, v28
	v_xor_b32_e32 v29, vcc_hi, v28
	v_xor_b32_e32 v28, vcc_lo, v28
	v_and_b32_e32 v32, v32, v29
	v_and_b32_e32 v26, v26, v28
	v_lshlrev_b32_e32 v29, 25, v40
	v_mov_b32_e32 v28, v27
	v_cmp_gt_i64_e32 vcc, 0, v[28:29]
	v_not_b32_e32 v28, v29
	v_ashrrev_i32_e32 v28, 31, v28
	;; [unrolled: 9-line block ×3, first 2 shown]
	v_xor_b32_e32 v29, vcc_hi, v28
	v_xor_b32_e32 v28, vcc_lo, v28
	v_and_b32_e32 v28, v26, v28
	v_and_b32_e32 v29, v32, v29
	v_mbcnt_lo_u32_b32 v26, v28, 0
	v_mbcnt_hi_u32_b32 v33, v29, v26
	v_lshl_add_u32 v41, v40, 3, v40
	v_cmp_eq_u32_e32 vcc, 0, v33
	v_cmp_ne_u64_e64 s[0:1], 0, v[28:29]
	v_add_lshl_u32 v35, v42, v41, 2
	s_and_b64 s[4:5], s[0:1], vcc
	s_and_saveexec_b64 s[0:1], s[4:5]
	s_cbranch_execz .LBB1580_105
; %bb.104:
	v_bcnt_u32_b32 v26, v28, 0
	v_bcnt_u32_b32 v26, v29, v26
	ds_write_b32 v35, v26 offset:32
.LBB1580_105:
	s_or_b64 exec, exec, s[0:1]
	s_waitcnt vmcnt(10)
	v_xor_b32_e32 v1, 0x80000000, v1
	v_lshrrev_b64 v[28:29], s20, v[0:1]
	v_and_b32_e32 v34, s14, v28
	v_lshl_add_u32 v26, v34, 3, v34
	v_add_lshl_u32 v37, v42, v26, 2
	v_and_b32_e32 v26, 1, v34
	v_lshl_add_u64 v[28:29], v[26:27], 0, -1
	v_cmp_ne_u32_e32 vcc, 0, v26
	; wave barrier
	s_nop 1
	v_xor_b32_e32 v28, vcc_lo, v28
	v_xor_b32_e32 v26, vcc_hi, v29
	v_and_b32_e32 v36, exec_lo, v28
	v_lshlrev_b32_e32 v29, 30, v34
	v_mov_b32_e32 v28, v27
	v_cmp_gt_i64_e32 vcc, 0, v[28:29]
	v_not_b32_e32 v28, v29
	v_ashrrev_i32_e32 v28, 31, v28
	v_and_b32_e32 v26, exec_hi, v26
	v_xor_b32_e32 v29, vcc_hi, v28
	v_xor_b32_e32 v28, vcc_lo, v28
	v_and_b32_e32 v26, v26, v29
	v_and_b32_e32 v36, v36, v28
	v_lshlrev_b32_e32 v29, 29, v34
	v_mov_b32_e32 v28, v27
	v_cmp_gt_i64_e32 vcc, 0, v[28:29]
	v_not_b32_e32 v28, v29
	v_ashrrev_i32_e32 v28, 31, v28
	v_xor_b32_e32 v29, vcc_hi, v28
	v_xor_b32_e32 v28, vcc_lo, v28
	v_and_b32_e32 v26, v26, v29
	v_and_b32_e32 v36, v36, v28
	v_lshlrev_b32_e32 v29, 28, v34
	v_mov_b32_e32 v28, v27
	v_cmp_gt_i64_e32 vcc, 0, v[28:29]
	v_not_b32_e32 v28, v29
	v_ashrrev_i32_e32 v28, 31, v28
	;; [unrolled: 9-line block ×5, first 2 shown]
	v_xor_b32_e32 v29, vcc_hi, v28
	v_xor_b32_e32 v28, vcc_lo, v28
	v_and_b32_e32 v26, v26, v29
	v_lshlrev_b32_e32 v29, 24, v34
	v_and_b32_e32 v36, v36, v28
	v_mov_b32_e32 v28, v27
	v_not_b32_e32 v27, v29
	v_cmp_gt_i64_e32 vcc, 0, v[28:29]
	v_ashrrev_i32_e32 v27, 31, v27
	ds_read_b32 v32, v37 offset:32
	v_xor_b32_e32 v28, vcc_hi, v27
	v_xor_b32_e32 v29, vcc_lo, v27
	v_and_b32_e32 v27, v26, v28
	v_and_b32_e32 v26, v36, v29
	v_mbcnt_lo_u32_b32 v28, v26, 0
	v_mbcnt_hi_u32_b32 v34, v27, v28
	v_cmp_eq_u32_e32 vcc, 0, v34
	v_cmp_ne_u64_e64 s[0:1], 0, v[26:27]
	s_and_b64 s[4:5], s[0:1], vcc
	; wave barrier
	s_and_saveexec_b64 s[0:1], s[4:5]
	s_cbranch_execz .LBB1580_107
; %bb.106:
	v_bcnt_u32_b32 v26, v26, 0
	v_bcnt_u32_b32 v26, v27, v26
	s_waitcnt lgkmcnt(0)
	v_add_u32_e32 v26, v32, v26
	ds_write_b32 v37, v26 offset:32
.LBB1580_107:
	s_or_b64 exec, exec, s[0:1]
	s_waitcnt vmcnt(9)
	v_xor_b32_e32 v7, 0x80000000, v7
	v_lshrrev_b64 v[26:27], s20, v[6:7]
	v_and_b32_e32 v38, s14, v26
	v_lshl_add_u32 v26, v38, 3, v38
	v_add_lshl_u32 v40, v42, v26, 2
	v_and_b32_e32 v26, 1, v38
	v_mov_b32_e32 v27, 0
	v_lshl_add_u64 v[28:29], v[26:27], 0, -1
	v_cmp_ne_u32_e32 vcc, 0, v26
	; wave barrier
	s_nop 1
	v_xor_b32_e32 v28, vcc_lo, v28
	v_xor_b32_e32 v26, vcc_hi, v29
	v_and_b32_e32 v39, exec_lo, v28
	v_lshlrev_b32_e32 v29, 30, v38
	v_mov_b32_e32 v28, v27
	v_cmp_gt_i64_e32 vcc, 0, v[28:29]
	v_not_b32_e32 v28, v29
	v_ashrrev_i32_e32 v28, 31, v28
	v_and_b32_e32 v26, exec_hi, v26
	v_xor_b32_e32 v29, vcc_hi, v28
	v_xor_b32_e32 v28, vcc_lo, v28
	v_and_b32_e32 v26, v26, v29
	v_and_b32_e32 v39, v39, v28
	v_lshlrev_b32_e32 v29, 29, v38
	v_mov_b32_e32 v28, v27
	v_cmp_gt_i64_e32 vcc, 0, v[28:29]
	v_not_b32_e32 v28, v29
	v_ashrrev_i32_e32 v28, 31, v28
	v_xor_b32_e32 v29, vcc_hi, v28
	v_xor_b32_e32 v28, vcc_lo, v28
	v_and_b32_e32 v26, v26, v29
	v_and_b32_e32 v39, v39, v28
	v_lshlrev_b32_e32 v29, 28, v38
	v_mov_b32_e32 v28, v27
	v_cmp_gt_i64_e32 vcc, 0, v[28:29]
	v_not_b32_e32 v28, v29
	v_ashrrev_i32_e32 v28, 31, v28
	;; [unrolled: 9-line block ×6, first 2 shown]
	v_xor_b32_e32 v29, vcc_hi, v28
	v_xor_b32_e32 v28, vcc_lo, v28
	ds_read_b32 v36, v40 offset:32
	v_and_b32_e32 v28, v39, v28
	v_and_b32_e32 v29, v26, v29
	v_mbcnt_lo_u32_b32 v26, v28, 0
	v_mbcnt_hi_u32_b32 v38, v29, v26
	v_cmp_eq_u32_e32 vcc, 0, v38
	v_cmp_ne_u64_e64 s[0:1], 0, v[28:29]
	s_and_b64 s[4:5], s[0:1], vcc
	; wave barrier
	s_and_saveexec_b64 s[0:1], s[4:5]
	s_cbranch_execz .LBB1580_109
; %bb.108:
	v_bcnt_u32_b32 v26, v28, 0
	v_bcnt_u32_b32 v26, v29, v26
	s_waitcnt lgkmcnt(0)
	v_add_u32_e32 v26, v36, v26
	ds_write_b32 v40, v26 offset:32
.LBB1580_109:
	s_or_b64 exec, exec, s[0:1]
	s_waitcnt vmcnt(8)
	v_xor_b32_e32 v9, 0x80000000, v9
	v_lshrrev_b64 v[28:29], s20, v[8:9]
	v_and_b32_e32 v41, s14, v28
	v_lshl_add_u32 v26, v41, 3, v41
	v_add_lshl_u32 v44, v42, v26, 2
	v_and_b32_e32 v26, 1, v41
	v_lshl_add_u64 v[28:29], v[26:27], 0, -1
	v_cmp_ne_u32_e32 vcc, 0, v26
	; wave barrier
	s_nop 1
	v_xor_b32_e32 v28, vcc_lo, v28
	v_xor_b32_e32 v26, vcc_hi, v29
	v_and_b32_e32 v43, exec_lo, v28
	v_lshlrev_b32_e32 v29, 30, v41
	v_mov_b32_e32 v28, v27
	v_cmp_gt_i64_e32 vcc, 0, v[28:29]
	v_not_b32_e32 v28, v29
	v_ashrrev_i32_e32 v28, 31, v28
	v_and_b32_e32 v26, exec_hi, v26
	v_xor_b32_e32 v29, vcc_hi, v28
	v_xor_b32_e32 v28, vcc_lo, v28
	v_and_b32_e32 v26, v26, v29
	v_and_b32_e32 v43, v43, v28
	v_lshlrev_b32_e32 v29, 29, v41
	v_mov_b32_e32 v28, v27
	v_cmp_gt_i64_e32 vcc, 0, v[28:29]
	v_not_b32_e32 v28, v29
	v_ashrrev_i32_e32 v28, 31, v28
	v_xor_b32_e32 v29, vcc_hi, v28
	v_xor_b32_e32 v28, vcc_lo, v28
	v_and_b32_e32 v26, v26, v29
	v_and_b32_e32 v43, v43, v28
	v_lshlrev_b32_e32 v29, 28, v41
	v_mov_b32_e32 v28, v27
	v_cmp_gt_i64_e32 vcc, 0, v[28:29]
	v_not_b32_e32 v28, v29
	v_ashrrev_i32_e32 v28, 31, v28
	;; [unrolled: 9-line block ×5, first 2 shown]
	v_xor_b32_e32 v29, vcc_hi, v28
	v_xor_b32_e32 v28, vcc_lo, v28
	v_and_b32_e32 v26, v26, v29
	v_lshlrev_b32_e32 v29, 24, v41
	v_and_b32_e32 v43, v43, v28
	v_mov_b32_e32 v28, v27
	v_not_b32_e32 v27, v29
	v_cmp_gt_i64_e32 vcc, 0, v[28:29]
	v_ashrrev_i32_e32 v27, 31, v27
	ds_read_b32 v39, v44 offset:32
	v_xor_b32_e32 v28, vcc_hi, v27
	v_xor_b32_e32 v29, vcc_lo, v27
	v_and_b32_e32 v27, v26, v28
	v_and_b32_e32 v26, v43, v29
	v_mbcnt_lo_u32_b32 v28, v26, 0
	v_mbcnt_hi_u32_b32 v41, v27, v28
	v_cmp_eq_u32_e32 vcc, 0, v41
	v_cmp_ne_u64_e64 s[0:1], 0, v[26:27]
	s_and_b64 s[4:5], s[0:1], vcc
	; wave barrier
	s_and_saveexec_b64 s[0:1], s[4:5]
	s_cbranch_execz .LBB1580_111
; %bb.110:
	v_bcnt_u32_b32 v26, v26, 0
	v_bcnt_u32_b32 v26, v27, v26
	s_waitcnt lgkmcnt(0)
	v_add_u32_e32 v26, v39, v26
	ds_write_b32 v44, v26 offset:32
.LBB1580_111:
	s_or_b64 exec, exec, s[0:1]
	s_waitcnt vmcnt(7)
	v_xor_b32_e32 v11, 0x80000000, v11
	v_lshrrev_b64 v[26:27], s20, v[10:11]
	v_and_b32_e32 v45, s14, v26
	v_lshl_add_u32 v26, v45, 3, v45
	v_add_lshl_u32 v47, v42, v26, 2
	v_and_b32_e32 v26, 1, v45
	v_mov_b32_e32 v27, 0
	v_lshl_add_u64 v[28:29], v[26:27], 0, -1
	v_cmp_ne_u32_e32 vcc, 0, v26
	; wave barrier
	s_nop 1
	v_xor_b32_e32 v28, vcc_lo, v28
	v_xor_b32_e32 v26, vcc_hi, v29
	v_and_b32_e32 v46, exec_lo, v28
	v_lshlrev_b32_e32 v29, 30, v45
	v_mov_b32_e32 v28, v27
	v_cmp_gt_i64_e32 vcc, 0, v[28:29]
	v_not_b32_e32 v28, v29
	v_ashrrev_i32_e32 v28, 31, v28
	v_and_b32_e32 v26, exec_hi, v26
	v_xor_b32_e32 v29, vcc_hi, v28
	v_xor_b32_e32 v28, vcc_lo, v28
	v_and_b32_e32 v26, v26, v29
	v_and_b32_e32 v46, v46, v28
	v_lshlrev_b32_e32 v29, 29, v45
	v_mov_b32_e32 v28, v27
	v_cmp_gt_i64_e32 vcc, 0, v[28:29]
	v_not_b32_e32 v28, v29
	v_ashrrev_i32_e32 v28, 31, v28
	v_xor_b32_e32 v29, vcc_hi, v28
	v_xor_b32_e32 v28, vcc_lo, v28
	v_and_b32_e32 v26, v26, v29
	v_and_b32_e32 v46, v46, v28
	v_lshlrev_b32_e32 v29, 28, v45
	v_mov_b32_e32 v28, v27
	v_cmp_gt_i64_e32 vcc, 0, v[28:29]
	v_not_b32_e32 v28, v29
	v_ashrrev_i32_e32 v28, 31, v28
	v_xor_b32_e32 v29, vcc_hi, v28
	v_xor_b32_e32 v28, vcc_lo, v28
	v_and_b32_e32 v26, v26, v29
	v_and_b32_e32 v46, v46, v28
	v_lshlrev_b32_e32 v29, 27, v45
	v_mov_b32_e32 v28, v27
	v_cmp_gt_i64_e32 vcc, 0, v[28:29]
	v_not_b32_e32 v28, v29
	v_ashrrev_i32_e32 v28, 31, v28
	v_xor_b32_e32 v29, vcc_hi, v28
	v_xor_b32_e32 v28, vcc_lo, v28
	v_and_b32_e32 v26, v26, v29
	v_and_b32_e32 v46, v46, v28
	v_lshlrev_b32_e32 v29, 26, v45
	v_mov_b32_e32 v28, v27
	v_cmp_gt_i64_e32 vcc, 0, v[28:29]
	v_not_b32_e32 v28, v29
	v_ashrrev_i32_e32 v28, 31, v28
	v_xor_b32_e32 v29, vcc_hi, v28
	v_xor_b32_e32 v28, vcc_lo, v28
	v_and_b32_e32 v26, v26, v29
	v_and_b32_e32 v46, v46, v28
	v_lshlrev_b32_e32 v29, 25, v45
	v_mov_b32_e32 v28, v27
	v_cmp_gt_i64_e32 vcc, 0, v[28:29]
	v_not_b32_e32 v28, v29
	v_ashrrev_i32_e32 v28, 31, v28
	v_xor_b32_e32 v29, vcc_hi, v28
	v_xor_b32_e32 v28, vcc_lo, v28
	v_and_b32_e32 v26, v26, v29
	v_and_b32_e32 v46, v46, v28
	v_lshlrev_b32_e32 v29, 24, v45
	v_mov_b32_e32 v28, v27
	v_cmp_gt_i64_e32 vcc, 0, v[28:29]
	v_not_b32_e32 v28, v29
	v_ashrrev_i32_e32 v28, 31, v28
	v_xor_b32_e32 v29, vcc_hi, v28
	v_xor_b32_e32 v28, vcc_lo, v28
	ds_read_b32 v43, v47 offset:32
	v_and_b32_e32 v28, v46, v28
	v_and_b32_e32 v29, v26, v29
	v_mbcnt_lo_u32_b32 v26, v28, 0
	v_mbcnt_hi_u32_b32 v45, v29, v26
	v_cmp_eq_u32_e32 vcc, 0, v45
	v_cmp_ne_u64_e64 s[0:1], 0, v[28:29]
	s_and_b64 s[4:5], s[0:1], vcc
	; wave barrier
	s_and_saveexec_b64 s[0:1], s[4:5]
	s_cbranch_execz .LBB1580_113
; %bb.112:
	v_bcnt_u32_b32 v26, v28, 0
	v_bcnt_u32_b32 v26, v29, v26
	s_waitcnt lgkmcnt(0)
	v_add_u32_e32 v26, v43, v26
	ds_write_b32 v47, v26 offset:32
.LBB1580_113:
	s_or_b64 exec, exec, s[0:1]
	s_waitcnt vmcnt(6)
	v_xor_b32_e32 v13, 0x80000000, v13
	v_lshrrev_b64 v[28:29], s20, v[12:13]
	v_and_b32_e32 v48, s14, v28
	v_lshl_add_u32 v26, v48, 3, v48
	v_add_lshl_u32 v50, v42, v26, 2
	v_and_b32_e32 v26, 1, v48
	v_lshl_add_u64 v[28:29], v[26:27], 0, -1
	v_cmp_ne_u32_e32 vcc, 0, v26
	; wave barrier
	s_nop 1
	v_xor_b32_e32 v28, vcc_lo, v28
	v_xor_b32_e32 v26, vcc_hi, v29
	v_and_b32_e32 v49, exec_lo, v28
	v_lshlrev_b32_e32 v29, 30, v48
	v_mov_b32_e32 v28, v27
	v_cmp_gt_i64_e32 vcc, 0, v[28:29]
	v_not_b32_e32 v28, v29
	v_ashrrev_i32_e32 v28, 31, v28
	v_and_b32_e32 v26, exec_hi, v26
	v_xor_b32_e32 v29, vcc_hi, v28
	v_xor_b32_e32 v28, vcc_lo, v28
	v_and_b32_e32 v26, v26, v29
	v_and_b32_e32 v49, v49, v28
	v_lshlrev_b32_e32 v29, 29, v48
	v_mov_b32_e32 v28, v27
	v_cmp_gt_i64_e32 vcc, 0, v[28:29]
	v_not_b32_e32 v28, v29
	v_ashrrev_i32_e32 v28, 31, v28
	v_xor_b32_e32 v29, vcc_hi, v28
	v_xor_b32_e32 v28, vcc_lo, v28
	v_and_b32_e32 v26, v26, v29
	v_and_b32_e32 v49, v49, v28
	v_lshlrev_b32_e32 v29, 28, v48
	v_mov_b32_e32 v28, v27
	v_cmp_gt_i64_e32 vcc, 0, v[28:29]
	v_not_b32_e32 v28, v29
	v_ashrrev_i32_e32 v28, 31, v28
	;; [unrolled: 9-line block ×5, first 2 shown]
	v_xor_b32_e32 v29, vcc_hi, v28
	v_xor_b32_e32 v28, vcc_lo, v28
	v_and_b32_e32 v26, v26, v29
	v_lshlrev_b32_e32 v29, 24, v48
	v_and_b32_e32 v49, v49, v28
	v_mov_b32_e32 v28, v27
	v_not_b32_e32 v27, v29
	v_cmp_gt_i64_e32 vcc, 0, v[28:29]
	v_ashrrev_i32_e32 v27, 31, v27
	ds_read_b32 v46, v50 offset:32
	v_xor_b32_e32 v28, vcc_hi, v27
	v_xor_b32_e32 v29, vcc_lo, v27
	v_and_b32_e32 v27, v26, v28
	v_and_b32_e32 v26, v49, v29
	v_mbcnt_lo_u32_b32 v28, v26, 0
	v_mbcnt_hi_u32_b32 v48, v27, v28
	v_cmp_eq_u32_e32 vcc, 0, v48
	v_cmp_ne_u64_e64 s[0:1], 0, v[26:27]
	s_and_b64 s[4:5], s[0:1], vcc
	; wave barrier
	s_and_saveexec_b64 s[0:1], s[4:5]
	s_cbranch_execz .LBB1580_115
; %bb.114:
	v_bcnt_u32_b32 v26, v26, 0
	v_bcnt_u32_b32 v26, v27, v26
	s_waitcnt lgkmcnt(0)
	v_add_u32_e32 v26, v46, v26
	ds_write_b32 v50, v26 offset:32
.LBB1580_115:
	s_or_b64 exec, exec, s[0:1]
	s_waitcnt vmcnt(5)
	v_xor_b32_e32 v15, 0x80000000, v15
	v_lshrrev_b64 v[26:27], s20, v[14:15]
	v_and_b32_e32 v51, s14, v26
	v_lshl_add_u32 v26, v51, 3, v51
	v_add_lshl_u32 v53, v42, v26, 2
	v_and_b32_e32 v26, 1, v51
	v_mov_b32_e32 v27, 0
	v_lshl_add_u64 v[28:29], v[26:27], 0, -1
	v_cmp_ne_u32_e32 vcc, 0, v26
	; wave barrier
	s_nop 1
	v_xor_b32_e32 v28, vcc_lo, v28
	v_xor_b32_e32 v26, vcc_hi, v29
	v_and_b32_e32 v52, exec_lo, v28
	v_lshlrev_b32_e32 v29, 30, v51
	v_mov_b32_e32 v28, v27
	v_cmp_gt_i64_e32 vcc, 0, v[28:29]
	v_not_b32_e32 v28, v29
	v_ashrrev_i32_e32 v28, 31, v28
	v_and_b32_e32 v26, exec_hi, v26
	v_xor_b32_e32 v29, vcc_hi, v28
	v_xor_b32_e32 v28, vcc_lo, v28
	v_and_b32_e32 v26, v26, v29
	v_and_b32_e32 v52, v52, v28
	v_lshlrev_b32_e32 v29, 29, v51
	v_mov_b32_e32 v28, v27
	v_cmp_gt_i64_e32 vcc, 0, v[28:29]
	v_not_b32_e32 v28, v29
	v_ashrrev_i32_e32 v28, 31, v28
	v_xor_b32_e32 v29, vcc_hi, v28
	v_xor_b32_e32 v28, vcc_lo, v28
	v_and_b32_e32 v26, v26, v29
	v_and_b32_e32 v52, v52, v28
	v_lshlrev_b32_e32 v29, 28, v51
	v_mov_b32_e32 v28, v27
	v_cmp_gt_i64_e32 vcc, 0, v[28:29]
	v_not_b32_e32 v28, v29
	v_ashrrev_i32_e32 v28, 31, v28
	;; [unrolled: 9-line block ×6, first 2 shown]
	v_xor_b32_e32 v29, vcc_hi, v28
	v_xor_b32_e32 v28, vcc_lo, v28
	ds_read_b32 v49, v53 offset:32
	v_and_b32_e32 v28, v52, v28
	v_and_b32_e32 v29, v26, v29
	v_mbcnt_lo_u32_b32 v26, v28, 0
	v_mbcnt_hi_u32_b32 v51, v29, v26
	v_cmp_eq_u32_e32 vcc, 0, v51
	v_cmp_ne_u64_e64 s[0:1], 0, v[28:29]
	s_and_b64 s[4:5], s[0:1], vcc
	; wave barrier
	s_and_saveexec_b64 s[0:1], s[4:5]
	s_cbranch_execz .LBB1580_117
; %bb.116:
	v_bcnt_u32_b32 v26, v28, 0
	v_bcnt_u32_b32 v26, v29, v26
	s_waitcnt lgkmcnt(0)
	v_add_u32_e32 v26, v49, v26
	ds_write_b32 v53, v26 offset:32
.LBB1580_117:
	s_or_b64 exec, exec, s[0:1]
	s_waitcnt vmcnt(4)
	v_xor_b32_e32 v17, 0x80000000, v17
	v_lshrrev_b64 v[28:29], s20, v[16:17]
	v_and_b32_e32 v54, s14, v28
	v_lshl_add_u32 v26, v54, 3, v54
	v_add_lshl_u32 v56, v42, v26, 2
	v_and_b32_e32 v26, 1, v54
	v_lshl_add_u64 v[28:29], v[26:27], 0, -1
	v_cmp_ne_u32_e32 vcc, 0, v26
	; wave barrier
	s_nop 1
	v_xor_b32_e32 v28, vcc_lo, v28
	v_xor_b32_e32 v26, vcc_hi, v29
	v_and_b32_e32 v55, exec_lo, v28
	v_lshlrev_b32_e32 v29, 30, v54
	v_mov_b32_e32 v28, v27
	v_cmp_gt_i64_e32 vcc, 0, v[28:29]
	v_not_b32_e32 v28, v29
	v_ashrrev_i32_e32 v28, 31, v28
	v_and_b32_e32 v26, exec_hi, v26
	v_xor_b32_e32 v29, vcc_hi, v28
	v_xor_b32_e32 v28, vcc_lo, v28
	v_and_b32_e32 v26, v26, v29
	v_and_b32_e32 v55, v55, v28
	v_lshlrev_b32_e32 v29, 29, v54
	v_mov_b32_e32 v28, v27
	v_cmp_gt_i64_e32 vcc, 0, v[28:29]
	v_not_b32_e32 v28, v29
	v_ashrrev_i32_e32 v28, 31, v28
	v_xor_b32_e32 v29, vcc_hi, v28
	v_xor_b32_e32 v28, vcc_lo, v28
	v_and_b32_e32 v26, v26, v29
	v_and_b32_e32 v55, v55, v28
	v_lshlrev_b32_e32 v29, 28, v54
	v_mov_b32_e32 v28, v27
	v_cmp_gt_i64_e32 vcc, 0, v[28:29]
	v_not_b32_e32 v28, v29
	v_ashrrev_i32_e32 v28, 31, v28
	;; [unrolled: 9-line block ×5, first 2 shown]
	v_xor_b32_e32 v29, vcc_hi, v28
	v_xor_b32_e32 v28, vcc_lo, v28
	v_and_b32_e32 v26, v26, v29
	v_lshlrev_b32_e32 v29, 24, v54
	v_and_b32_e32 v55, v55, v28
	v_mov_b32_e32 v28, v27
	v_not_b32_e32 v27, v29
	v_cmp_gt_i64_e32 vcc, 0, v[28:29]
	v_ashrrev_i32_e32 v27, 31, v27
	ds_read_b32 v52, v56 offset:32
	v_xor_b32_e32 v28, vcc_hi, v27
	v_xor_b32_e32 v29, vcc_lo, v27
	v_and_b32_e32 v27, v26, v28
	v_and_b32_e32 v26, v55, v29
	v_mbcnt_lo_u32_b32 v28, v26, 0
	v_mbcnt_hi_u32_b32 v54, v27, v28
	v_cmp_eq_u32_e32 vcc, 0, v54
	v_cmp_ne_u64_e64 s[0:1], 0, v[26:27]
	s_and_b64 s[4:5], s[0:1], vcc
	; wave barrier
	s_and_saveexec_b64 s[0:1], s[4:5]
	s_cbranch_execz .LBB1580_119
; %bb.118:
	v_bcnt_u32_b32 v26, v26, 0
	v_bcnt_u32_b32 v26, v27, v26
	s_waitcnt lgkmcnt(0)
	v_add_u32_e32 v26, v52, v26
	ds_write_b32 v56, v26 offset:32
.LBB1580_119:
	s_or_b64 exec, exec, s[0:1]
	s_waitcnt vmcnt(3)
	v_xor_b32_e32 v19, 0x80000000, v19
	v_lshrrev_b64 v[26:27], s20, v[18:19]
	v_and_b32_e32 v57, s14, v26
	v_lshl_add_u32 v26, v57, 3, v57
	v_add_lshl_u32 v59, v42, v26, 2
	v_and_b32_e32 v26, 1, v57
	v_mov_b32_e32 v27, 0
	v_lshl_add_u64 v[28:29], v[26:27], 0, -1
	v_cmp_ne_u32_e32 vcc, 0, v26
	; wave barrier
	s_nop 1
	v_xor_b32_e32 v28, vcc_lo, v28
	v_xor_b32_e32 v26, vcc_hi, v29
	v_and_b32_e32 v58, exec_lo, v28
	v_lshlrev_b32_e32 v29, 30, v57
	v_mov_b32_e32 v28, v27
	v_cmp_gt_i64_e32 vcc, 0, v[28:29]
	v_not_b32_e32 v28, v29
	v_ashrrev_i32_e32 v28, 31, v28
	v_and_b32_e32 v26, exec_hi, v26
	v_xor_b32_e32 v29, vcc_hi, v28
	v_xor_b32_e32 v28, vcc_lo, v28
	v_and_b32_e32 v26, v26, v29
	v_and_b32_e32 v58, v58, v28
	v_lshlrev_b32_e32 v29, 29, v57
	v_mov_b32_e32 v28, v27
	v_cmp_gt_i64_e32 vcc, 0, v[28:29]
	v_not_b32_e32 v28, v29
	v_ashrrev_i32_e32 v28, 31, v28
	v_xor_b32_e32 v29, vcc_hi, v28
	v_xor_b32_e32 v28, vcc_lo, v28
	v_and_b32_e32 v26, v26, v29
	v_and_b32_e32 v58, v58, v28
	v_lshlrev_b32_e32 v29, 28, v57
	v_mov_b32_e32 v28, v27
	v_cmp_gt_i64_e32 vcc, 0, v[28:29]
	v_not_b32_e32 v28, v29
	v_ashrrev_i32_e32 v28, 31, v28
	;; [unrolled: 9-line block ×6, first 2 shown]
	v_xor_b32_e32 v29, vcc_hi, v28
	v_xor_b32_e32 v28, vcc_lo, v28
	ds_read_b32 v55, v59 offset:32
	v_and_b32_e32 v28, v58, v28
	v_and_b32_e32 v29, v26, v29
	v_mbcnt_lo_u32_b32 v26, v28, 0
	v_mbcnt_hi_u32_b32 v57, v29, v26
	v_cmp_eq_u32_e32 vcc, 0, v57
	v_cmp_ne_u64_e64 s[0:1], 0, v[28:29]
	s_and_b64 s[4:5], s[0:1], vcc
	; wave barrier
	s_and_saveexec_b64 s[0:1], s[4:5]
	s_cbranch_execz .LBB1580_121
; %bb.120:
	v_bcnt_u32_b32 v26, v28, 0
	v_bcnt_u32_b32 v26, v29, v26
	s_waitcnt lgkmcnt(0)
	v_add_u32_e32 v26, v55, v26
	ds_write_b32 v59, v26 offset:32
.LBB1580_121:
	s_or_b64 exec, exec, s[0:1]
	s_waitcnt vmcnt(2)
	v_xor_b32_e32 v21, 0x80000000, v21
	v_lshrrev_b64 v[28:29], s20, v[20:21]
	v_and_b32_e32 v60, s14, v28
	v_lshl_add_u32 v26, v60, 3, v60
	v_add_lshl_u32 v62, v42, v26, 2
	v_and_b32_e32 v26, 1, v60
	v_lshl_add_u64 v[28:29], v[26:27], 0, -1
	v_cmp_ne_u32_e32 vcc, 0, v26
	; wave barrier
	s_nop 1
	v_xor_b32_e32 v28, vcc_lo, v28
	v_xor_b32_e32 v26, vcc_hi, v29
	v_and_b32_e32 v61, exec_lo, v28
	v_lshlrev_b32_e32 v29, 30, v60
	v_mov_b32_e32 v28, v27
	v_cmp_gt_i64_e32 vcc, 0, v[28:29]
	v_not_b32_e32 v28, v29
	v_ashrrev_i32_e32 v28, 31, v28
	v_and_b32_e32 v26, exec_hi, v26
	v_xor_b32_e32 v29, vcc_hi, v28
	v_xor_b32_e32 v28, vcc_lo, v28
	v_and_b32_e32 v26, v26, v29
	v_and_b32_e32 v61, v61, v28
	v_lshlrev_b32_e32 v29, 29, v60
	v_mov_b32_e32 v28, v27
	v_cmp_gt_i64_e32 vcc, 0, v[28:29]
	v_not_b32_e32 v28, v29
	v_ashrrev_i32_e32 v28, 31, v28
	v_xor_b32_e32 v29, vcc_hi, v28
	v_xor_b32_e32 v28, vcc_lo, v28
	v_and_b32_e32 v26, v26, v29
	v_and_b32_e32 v61, v61, v28
	v_lshlrev_b32_e32 v29, 28, v60
	v_mov_b32_e32 v28, v27
	v_cmp_gt_i64_e32 vcc, 0, v[28:29]
	v_not_b32_e32 v28, v29
	v_ashrrev_i32_e32 v28, 31, v28
	;; [unrolled: 9-line block ×5, first 2 shown]
	v_xor_b32_e32 v29, vcc_hi, v28
	v_xor_b32_e32 v28, vcc_lo, v28
	v_and_b32_e32 v26, v26, v29
	v_lshlrev_b32_e32 v29, 24, v60
	v_and_b32_e32 v61, v61, v28
	v_mov_b32_e32 v28, v27
	v_not_b32_e32 v27, v29
	v_cmp_gt_i64_e32 vcc, 0, v[28:29]
	v_ashrrev_i32_e32 v27, 31, v27
	ds_read_b32 v58, v62 offset:32
	v_xor_b32_e32 v28, vcc_hi, v27
	v_xor_b32_e32 v29, vcc_lo, v27
	v_and_b32_e32 v27, v26, v28
	v_and_b32_e32 v26, v61, v29
	v_mbcnt_lo_u32_b32 v28, v26, 0
	v_mbcnt_hi_u32_b32 v60, v27, v28
	v_cmp_eq_u32_e32 vcc, 0, v60
	v_cmp_ne_u64_e64 s[0:1], 0, v[26:27]
	s_and_b64 s[4:5], s[0:1], vcc
	; wave barrier
	s_and_saveexec_b64 s[0:1], s[4:5]
	s_cbranch_execz .LBB1580_123
; %bb.122:
	v_bcnt_u32_b32 v26, v26, 0
	v_bcnt_u32_b32 v26, v27, v26
	s_waitcnt lgkmcnt(0)
	v_add_u32_e32 v26, v58, v26
	ds_write_b32 v62, v26 offset:32
.LBB1580_123:
	s_or_b64 exec, exec, s[0:1]
	s_waitcnt vmcnt(1)
	v_xor_b32_e32 v23, 0x80000000, v23
	v_lshrrev_b64 v[26:27], s20, v[22:23]
	v_and_b32_e32 v63, s14, v26
	v_lshl_add_u32 v26, v63, 3, v63
	v_add_lshl_u32 v64, v42, v26, 2
	v_and_b32_e32 v26, 1, v63
	v_mov_b32_e32 v27, 0
	v_lshl_add_u64 v[28:29], v[26:27], 0, -1
	v_cmp_ne_u32_e32 vcc, 0, v26
	; wave barrier
	s_nop 1
	v_xor_b32_e32 v28, vcc_lo, v28
	v_xor_b32_e32 v26, vcc_hi, v29
	v_and_b32_e32 v65, exec_lo, v28
	v_lshlrev_b32_e32 v29, 30, v63
	v_mov_b32_e32 v28, v27
	v_cmp_gt_i64_e32 vcc, 0, v[28:29]
	v_not_b32_e32 v28, v29
	v_ashrrev_i32_e32 v28, 31, v28
	v_and_b32_e32 v26, exec_hi, v26
	v_xor_b32_e32 v29, vcc_hi, v28
	v_xor_b32_e32 v28, vcc_lo, v28
	v_and_b32_e32 v26, v26, v29
	v_and_b32_e32 v65, v65, v28
	v_lshlrev_b32_e32 v29, 29, v63
	v_mov_b32_e32 v28, v27
	v_cmp_gt_i64_e32 vcc, 0, v[28:29]
	v_not_b32_e32 v28, v29
	v_ashrrev_i32_e32 v28, 31, v28
	v_xor_b32_e32 v29, vcc_hi, v28
	v_xor_b32_e32 v28, vcc_lo, v28
	v_and_b32_e32 v26, v26, v29
	v_and_b32_e32 v65, v65, v28
	v_lshlrev_b32_e32 v29, 28, v63
	v_mov_b32_e32 v28, v27
	v_cmp_gt_i64_e32 vcc, 0, v[28:29]
	v_not_b32_e32 v28, v29
	v_ashrrev_i32_e32 v28, 31, v28
	;; [unrolled: 9-line block ×6, first 2 shown]
	v_xor_b32_e32 v29, vcc_hi, v28
	v_xor_b32_e32 v28, vcc_lo, v28
	ds_read_b32 v61, v64 offset:32
	v_and_b32_e32 v28, v65, v28
	v_and_b32_e32 v29, v26, v29
	v_mbcnt_lo_u32_b32 v26, v28, 0
	v_mbcnt_hi_u32_b32 v63, v29, v26
	v_cmp_eq_u32_e32 vcc, 0, v63
	v_cmp_ne_u64_e64 s[0:1], 0, v[28:29]
	s_and_b64 s[4:5], s[0:1], vcc
	; wave barrier
	s_and_saveexec_b64 s[0:1], s[4:5]
	s_cbranch_execz .LBB1580_125
; %bb.124:
	v_bcnt_u32_b32 v26, v28, 0
	v_bcnt_u32_b32 v26, v29, v26
	s_waitcnt lgkmcnt(0)
	v_add_u32_e32 v26, v61, v26
	ds_write_b32 v64, v26 offset:32
.LBB1580_125:
	s_or_b64 exec, exec, s[0:1]
	s_waitcnt vmcnt(0)
	v_xor_b32_e32 v25, 0x80000000, v25
	v_lshrrev_b64 v[28:29], s20, v[24:25]
	v_and_b32_e32 v65, s14, v28
	v_lshl_add_u32 v26, v65, 3, v65
	v_add_lshl_u32 v66, v42, v26, 2
	v_and_b32_e32 v26, 1, v65
	v_lshl_add_u64 v[28:29], v[26:27], 0, -1
	v_cmp_ne_u32_e32 vcc, 0, v26
	; wave barrier
	s_nop 1
	v_xor_b32_e32 v28, vcc_lo, v28
	v_xor_b32_e32 v26, vcc_hi, v29
	v_and_b32_e32 v68, exec_lo, v28
	v_lshlrev_b32_e32 v29, 30, v65
	v_mov_b32_e32 v28, v27
	v_cmp_gt_i64_e32 vcc, 0, v[28:29]
	v_not_b32_e32 v28, v29
	v_ashrrev_i32_e32 v28, 31, v28
	v_and_b32_e32 v26, exec_hi, v26
	v_xor_b32_e32 v29, vcc_hi, v28
	v_xor_b32_e32 v28, vcc_lo, v28
	v_and_b32_e32 v26, v26, v29
	v_and_b32_e32 v68, v68, v28
	v_lshlrev_b32_e32 v29, 29, v65
	v_mov_b32_e32 v28, v27
	v_cmp_gt_i64_e32 vcc, 0, v[28:29]
	v_not_b32_e32 v28, v29
	v_ashrrev_i32_e32 v28, 31, v28
	v_xor_b32_e32 v29, vcc_hi, v28
	v_xor_b32_e32 v28, vcc_lo, v28
	v_and_b32_e32 v26, v26, v29
	v_and_b32_e32 v68, v68, v28
	v_lshlrev_b32_e32 v29, 28, v65
	v_mov_b32_e32 v28, v27
	v_cmp_gt_i64_e32 vcc, 0, v[28:29]
	v_not_b32_e32 v28, v29
	v_ashrrev_i32_e32 v28, 31, v28
	;; [unrolled: 9-line block ×5, first 2 shown]
	v_xor_b32_e32 v29, vcc_hi, v28
	v_xor_b32_e32 v28, vcc_lo, v28
	v_and_b32_e32 v26, v26, v29
	v_lshlrev_b32_e32 v29, 24, v65
	v_and_b32_e32 v68, v68, v28
	v_mov_b32_e32 v28, v27
	v_not_b32_e32 v27, v29
	v_cmp_gt_i64_e32 vcc, 0, v[28:29]
	v_ashrrev_i32_e32 v27, 31, v27
	ds_read_b32 v42, v66 offset:32
	v_xor_b32_e32 v28, vcc_hi, v27
	v_xor_b32_e32 v29, vcc_lo, v27
	v_and_b32_e32 v27, v26, v28
	v_and_b32_e32 v26, v68, v29
	v_mbcnt_lo_u32_b32 v28, v26, 0
	v_mbcnt_hi_u32_b32 v65, v27, v28
	v_cmp_eq_u32_e32 vcc, 0, v65
	v_cmp_ne_u64_e64 s[0:1], 0, v[26:27]
	v_add_u32_e32 v67, 32, v31
	s_and_b64 s[4:5], s[0:1], vcc
	; wave barrier
	s_and_saveexec_b64 s[0:1], s[4:5]
	s_cbranch_execz .LBB1580_127
; %bb.126:
	v_bcnt_u32_b32 v26, v26, 0
	v_bcnt_u32_b32 v26, v27, v26
	s_waitcnt lgkmcnt(0)
	v_add_u32_e32 v26, v42, v26
	ds_write_b32 v66, v26 offset:32
.LBB1580_127:
	s_or_b64 exec, exec, s[0:1]
	; wave barrier
	s_waitcnt lgkmcnt(0)
	s_barrier
	ds_read2_b32 v[28:29], v31 offset0:8 offset1:9
	ds_read2_b32 v[26:27], v67 offset0:2 offset1:3
	ds_read_b32 v68, v67 offset:16
	v_min_u32_e32 v30, 0x1c0, v30
	v_or_b32_e32 v30, 63, v30
	s_waitcnt lgkmcnt(1)
	v_add3_u32 v69, v29, v28, v26
	s_waitcnt lgkmcnt(0)
	v_add3_u32 v68, v69, v27, v68
	v_and_b32_e32 v69, 15, v3
	v_cmp_ne_u32_e32 vcc, 0, v69
	v_mov_b32_dpp v70, v68 row_shr:1 row_mask:0xf bank_mask:0xf
	s_nop 0
	v_cndmask_b32_e32 v70, 0, v70, vcc
	v_add_u32_e32 v68, v70, v68
	v_cmp_lt_u32_e32 vcc, 1, v69
	s_nop 0
	v_mov_b32_dpp v70, v68 row_shr:2 row_mask:0xf bank_mask:0xf
	v_cndmask_b32_e32 v70, 0, v70, vcc
	v_add_u32_e32 v68, v68, v70
	v_cmp_lt_u32_e32 vcc, 3, v69
	s_nop 0
	v_mov_b32_dpp v70, v68 row_shr:4 row_mask:0xf bank_mask:0xf
	;; [unrolled: 5-line block ×3, first 2 shown]
	v_cndmask_b32_e32 v69, 0, v70, vcc
	v_add_u32_e32 v68, v68, v69
	v_bfe_i32 v70, v3, 4, 1
	v_cmp_lt_u32_e32 vcc, 31, v3
	v_mov_b32_dpp v69, v68 row_bcast:15 row_mask:0xf bank_mask:0xf
	v_and_b32_e32 v69, v70, v69
	v_add_u32_e32 v68, v68, v69
	v_lshrrev_b32_e32 v70, 6, v2
	s_nop 0
	v_mov_b32_dpp v69, v68 row_bcast:31 row_mask:0xf bank_mask:0xf
	v_cndmask_b32_e32 v69, 0, v69, vcc
	v_add_u32_e32 v69, v68, v69
	v_cmp_eq_u32_e32 vcc, v30, v2
	s_and_saveexec_b64 s[0:1], vcc
	s_cbranch_execz .LBB1580_129
; %bb.128:
	v_lshlrev_b32_e32 v30, 2, v70
	ds_write_b32 v30, v69
.LBB1580_129:
	s_or_b64 exec, exec, s[0:1]
	v_cmp_gt_u32_e32 vcc, 8, v2
	v_lshlrev_b32_e32 v68, 2, v2
	s_waitcnt lgkmcnt(0)
	s_barrier
	s_and_saveexec_b64 s[0:1], vcc
	s_cbranch_execz .LBB1580_131
; %bb.130:
	ds_read_b32 v30, v68
	v_and_b32_e32 v71, 7, v3
	v_cmp_ne_u32_e32 vcc, 0, v71
	s_waitcnt lgkmcnt(0)
	v_mov_b32_dpp v72, v30 row_shr:1 row_mask:0xf bank_mask:0xf
	v_cndmask_b32_e32 v72, 0, v72, vcc
	v_add_u32_e32 v30, v72, v30
	v_cmp_lt_u32_e32 vcc, 1, v71
	s_nop 0
	v_mov_b32_dpp v72, v30 row_shr:2 row_mask:0xf bank_mask:0xf
	v_cndmask_b32_e32 v72, 0, v72, vcc
	v_add_u32_e32 v30, v30, v72
	v_cmp_lt_u32_e32 vcc, 3, v71
	s_nop 0
	v_mov_b32_dpp v72, v30 row_shr:4 row_mask:0xf bank_mask:0xf
	v_cndmask_b32_e32 v71, 0, v72, vcc
	v_add_u32_e32 v30, v30, v71
	ds_write_b32 v68, v30
.LBB1580_131:
	s_or_b64 exec, exec, s[0:1]
	v_cmp_lt_u32_e32 vcc, 63, v2
	v_mov_b32_e32 v30, 0
	s_waitcnt lgkmcnt(0)
	s_barrier
	s_and_saveexec_b64 s[0:1], vcc
	s_cbranch_execz .LBB1580_133
; %bb.132:
	v_lshl_add_u32 v30, v70, 2, -4
	ds_read_b32 v30, v30
.LBB1580_133:
	s_or_b64 exec, exec, s[0:1]
	v_add_u32_e32 v70, -1, v3
	v_and_b32_e32 v71, 64, v3
	v_cmp_lt_i32_e32 vcc, v70, v71
	s_waitcnt lgkmcnt(0)
	v_add_u32_e32 v69, v30, v69
	s_movk_i32 s0, 0x100
	v_cndmask_b32_e32 v70, v70, v3, vcc
	v_lshlrev_b32_e32 v70, 2, v70
	ds_bpermute_b32 v69, v70, v69
	v_cmp_eq_u32_e32 vcc, 0, v3
	s_waitcnt lgkmcnt(0)
	s_nop 0
	v_cndmask_b32_e32 v3, v69, v30, vcc
	v_cmp_ne_u32_e32 vcc, 0, v2
	s_nop 1
	v_cndmask_b32_e32 v3, 0, v3, vcc
	v_add_u32_e32 v28, v3, v28
	v_add_u32_e32 v29, v28, v29
	;; [unrolled: 1-line block ×4, first 2 shown]
	ds_write2_b32 v31, v3, v28 offset0:8 offset1:9
	ds_write2_b32 v67, v29, v26 offset0:2 offset1:3
	ds_write_b32 v67, v27 offset:16
	s_waitcnt lgkmcnt(0)
	s_barrier
	ds_read_b32 v74, v35 offset:32
	ds_read_b32 v67, v37 offset:32
	;; [unrolled: 1-line block ×12, first 2 shown]
	v_cmp_gt_u32_e32 vcc, s0, v2
                                        ; implicit-def: $vgpr3
                                        ; implicit-def: $vgpr35
	s_and_saveexec_b64 s[4:5], vcc
	s_cbranch_execz .LBB1580_137
; %bb.134:
	v_mul_u32_u24_e32 v3, 9, v2
	v_lshlrev_b32_e32 v27, 2, v3
	ds_read_b32 v3, v27 offset:32
	s_movk_i32 s0, 0xff
	v_cmp_ne_u32_e64 s[0:1], s0, v2
	v_mov_b32_e32 v26, 0x1800
	s_and_saveexec_b64 s[6:7], s[0:1]
	s_cbranch_execz .LBB1580_136
; %bb.135:
	ds_read_b32 v26, v27 offset:68
.LBB1580_136:
	s_or_b64 exec, exec, s[6:7]
	s_waitcnt lgkmcnt(0)
	v_sub_u32_e32 v35, v26, v3
.LBB1580_137:
	s_or_b64 exec, exec, s[4:5]
	s_waitcnt lgkmcnt(0)
	s_barrier
	s_and_saveexec_b64 s[4:5], vcc
	s_cbranch_execz .LBB1580_147
; %bb.138:
	v_lshl_or_b32 v28, s2, 8, v2
	v_mov_b32_e32 v29, 0
	v_lshl_add_u64 v[26:27], v[28:29], 2, s[28:29]
	v_or_b32_e32 v28, 2.0, v35
	s_mov_b64 s[6:7], 0
	s_brev_b32 s15, 1
	s_mov_b32 s21, s2
	v_mov_b32_e32 v47, 0
	global_store_dword v[26:27], v28, off sc1
                                        ; implicit-def: $sgpr0_sgpr1
	s_branch .LBB1580_141
.LBB1580_139:                           ;   in Loop: Header=BB1580_141 Depth=1
	s_or_b64 exec, exec, s[12:13]
.LBB1580_140:                           ;   in Loop: Header=BB1580_141 Depth=1
	s_or_b64 exec, exec, s[10:11]
	v_and_b32_e32 v30, 0x3fffffff, v53
	v_add_u32_e32 v47, v30, v47
	v_cmp_eq_u32_e64 s[0:1], s15, v28
	s_and_b64 s[10:11], exec, s[0:1]
	s_or_b64 s[6:7], s[10:11], s[6:7]
	s_andn2_b64 exec, exec, s[6:7]
	s_cbranch_execz .LBB1580_146
.LBB1580_141:                           ; =>This Loop Header: Depth=1
                                        ;     Child Loop BB1580_144 Depth 2
	s_or_b64 s[0:1], s[0:1], exec
	s_cmp_eq_u32 s21, 0
	s_cbranch_scc1 .LBB1580_145
; %bb.142:                              ;   in Loop: Header=BB1580_141 Depth=1
	s_add_i32 s21, s21, -1
	v_lshl_or_b32 v28, s21, 8, v2
	v_lshl_add_u64 v[30:31], v[28:29], 2, s[28:29]
	global_load_dword v53, v[30:31], off sc1
	s_waitcnt vmcnt(0)
	v_and_b32_e32 v28, -2.0, v53
	v_cmp_eq_u32_e64 s[0:1], 0, v28
	s_and_saveexec_b64 s[10:11], s[0:1]
	s_cbranch_execz .LBB1580_140
; %bb.143:                              ;   in Loop: Header=BB1580_141 Depth=1
	s_mov_b64 s[12:13], 0
.LBB1580_144:                           ;   Parent Loop BB1580_141 Depth=1
                                        ; =>  This Inner Loop Header: Depth=2
	global_load_dword v53, v[30:31], off sc1
	s_waitcnt vmcnt(0)
	v_and_b32_e32 v28, -2.0, v53
	v_cmp_ne_u32_e64 s[0:1], 0, v28
	s_or_b64 s[12:13], s[0:1], s[12:13]
	s_andn2_b64 exec, exec, s[12:13]
	s_cbranch_execnz .LBB1580_144
	s_branch .LBB1580_139
.LBB1580_145:                           ;   in Loop: Header=BB1580_141 Depth=1
                                        ; implicit-def: $sgpr21
	s_and_b64 s[10:11], exec, s[0:1]
	s_or_b64 s[6:7], s[10:11], s[6:7]
	s_andn2_b64 exec, exec, s[6:7]
	s_cbranch_execnz .LBB1580_141
.LBB1580_146:
	s_or_b64 exec, exec, s[6:7]
	v_add_u32_e32 v28, v47, v35
	v_or_b32_e32 v28, 0x80000000, v28
	global_store_dword v[26:27], v28, off sc1
	global_load_dword v26, v68, s[16:17]
	v_sub_u32_e32 v27, v47, v3
	s_waitcnt vmcnt(0)
	v_add_u32_e32 v26, v27, v26
	ds_write_b32 v68, v26
.LBB1580_147:
	s_or_b64 exec, exec, s[4:5]
	v_add_u32_e32 v28, v74, v33
	v_add3_u32 v26, v34, v32, v67
	v_add3_u32 v27, v38, v36, v69
	;; [unrolled: 1-line block ×11, first 2 shown]
	v_lshlrev_b32_e32 v29, 3, v2
	v_mov_b32_e32 v75, 0x400
	s_movk_i32 s6, 0x400
	v_add_u32_e32 v30, 0x400, v29
	v_lshl_add_u32 v31, v31, 3, v75
	v_add3_u32 v33, v65, v37, v42
	v_lshl_add_u32 v37, v74, 3, v75
	v_add3_u32 v40, v63, v40, v61
	;; [unrolled: 2-line block ×11, first 2 shown]
	v_lshl_add_u32 v34, v28, 3, v75
	s_mov_b32 s7, 0
	s_movk_i32 s10, 0x200
	v_mov_b32_e32 v27, 0
	v_mov_b32_e32 v55, v2
	s_mov_b32 s11, 0
	s_branch .LBB1580_149
.LBB1580_148:                           ;   in Loop: Header=BB1580_149 Depth=1
	s_or_b64 exec, exec, s[4:5]
	s_waitcnt lgkmcnt(0)
	s_barrier
	ds_read_b64 v[56:57], v29 offset:1024
	ds_read_b64 v[58:59], v30 offset:4096
	s_addk_i32 s11, 0xe000
	s_addk_i32 s7, 0xfc00
	s_cmp_eq_u32 s11, 0xffff4000
	s_waitcnt lgkmcnt(1)
	v_lshrrev_b64 v[60:61], s20, v[56:57]
	v_and_b32_e32 v26, s14, v60
	s_waitcnt lgkmcnt(0)
	v_lshrrev_b64 v[60:61], s20, v[58:59]
	v_lshlrev_b32_e32 v26, 2, v26
	v_and_b32_e32 v60, s14, v60
	ds_read_b32 v26, v26
	v_lshlrev_b32_e32 v60, 2, v60
	ds_read_b32 v62, v60
	v_xor_b32_e32 v57, 0x80000000, v57
	v_xor_b32_e32 v59, 0x80000000, v59
	s_waitcnt lgkmcnt(1)
	v_add_u32_e32 v26, v55, v26
	v_lshl_add_u64 v[60:61], v[26:27], 3, s[26:27]
	s_waitcnt lgkmcnt(0)
	v_add3_u32 v26, v55, v62, s10
	global_store_dwordx2 v[60:61], v[56:57], off
	v_lshl_add_u64 v[56:57], v[26:27], 3, s[26:27]
	v_add_u32_e32 v55, 0x400, v55
	global_store_dwordx2 v[56:57], v[58:59], off
	s_barrier
	s_cbranch_scc1 .LBB1580_173
.LBB1580_149:                           ; =>This Inner Loop Header: Depth=1
	v_add_u32_e32 v26, s7, v28
	v_cmp_gt_u32_e64 s[0:1], s6, v26
	s_and_saveexec_b64 s[4:5], s[0:1]
	s_cbranch_execz .LBB1580_151
; %bb.150:                              ;   in Loop: Header=BB1580_149 Depth=1
	v_add_u32_e32 v26, s11, v34
	ds_write_b64 v26, v[4:5]
.LBB1580_151:                           ;   in Loop: Header=BB1580_149 Depth=1
	s_or_b64 exec, exec, s[4:5]
	v_add_u32_e32 v26, s7, v32
	v_cmp_gt_u32_e64 s[0:1], s6, v26
	s_and_saveexec_b64 s[4:5], s[0:1]
	s_cbranch_execz .LBB1580_153
; %bb.152:                              ;   in Loop: Header=BB1580_149 Depth=1
	v_add_u32_e32 v26, s11, v38
	ds_write_b64 v26, v[0:1]
.LBB1580_153:                           ;   in Loop: Header=BB1580_149 Depth=1
	s_or_b64 exec, exec, s[4:5]
	;; [unrolled: 9-line block ×11, first 2 shown]
	v_add_u32_e32 v26, s7, v33
	v_cmp_gt_u32_e64 s[0:1], s6, v26
	s_and_saveexec_b64 s[4:5], s[0:1]
	s_cbranch_execz .LBB1580_148
; %bb.172:                              ;   in Loop: Header=BB1580_149 Depth=1
	v_add_u32_e32 v26, s11, v31
	ds_write_b64 v26, v[24:25]
	s_branch .LBB1580_148
.LBB1580_173:
	s_add_i32 s3, s3, -1
	s_cmp_eq_u32 s3, s2
	s_cselect_b64 s[0:1], -1, 0
	s_and_b64 s[2:3], vcc, s[0:1]
                                        ; implicit-def: $vgpr4
	s_and_saveexec_b64 s[0:1], s[2:3]
; %bb.174:
	v_add_u32_e32 v4, v3, v35
	s_or_b64 s[8:9], s[8:9], exec
; %bb.175:
	s_or_b64 exec, exec, s[0:1]
.LBB1580_176:
	s_and_saveexec_b64 s[0:1], s[8:9]
	s_cbranch_execnz .LBB1580_178
; %bb.177:
	s_endpgm
.LBB1580_178:
	v_lshlrev_b32_e32 v0, 2, v2
	ds_read_b32 v5, v0
	v_mov_b32_e32 v0, s18
	v_mov_b32_e32 v1, s19
	;; [unrolled: 1-line block ×3, first 2 shown]
	v_lshl_add_u64 v[0:1], v[2:3], 2, v[0:1]
	s_waitcnt lgkmcnt(0)
	v_add_u32_e32 v2, v5, v4
	global_store_dword v[0:1], v2, off
	s_endpgm
	.section	.rodata,"a",@progbits
	.p2align	6, 0x0
	.amdhsa_kernel _ZN7rocprim17ROCPRIM_400000_NS6detail17trampoline_kernelINS0_14default_configENS1_35radix_sort_onesweep_config_selectorIxNS0_10empty_typeEEEZZNS1_29radix_sort_onesweep_iterationIS3_Lb0EN6thrust23THRUST_200600_302600_NS6detail15normal_iteratorINS9_10device_ptrIxEEEESE_PS5_SF_jNS0_19identity_decomposerENS1_16block_id_wrapperIjLb0EEEEE10hipError_tT1_PNSt15iterator_traitsISK_E10value_typeET2_T3_PNSL_ISQ_E10value_typeET4_T5_PSV_SW_PNS1_23onesweep_lookback_stateEbbT6_jjT7_P12ihipStream_tbENKUlT_T0_SK_SP_E_clISE_PxSF_SF_EEDaS13_S14_SK_SP_EUlS13_E_NS1_11comp_targetILNS1_3genE5ELNS1_11target_archE942ELNS1_3gpuE9ELNS1_3repE0EEENS1_47radix_sort_onesweep_sort_config_static_selectorELNS0_4arch9wavefront6targetE1EEEvSK_
		.amdhsa_group_segment_fixed_size 10280
		.amdhsa_private_segment_fixed_size 0
		.amdhsa_kernarg_size 344
		.amdhsa_user_sgpr_count 2
		.amdhsa_user_sgpr_dispatch_ptr 0
		.amdhsa_user_sgpr_queue_ptr 0
		.amdhsa_user_sgpr_kernarg_segment_ptr 1
		.amdhsa_user_sgpr_dispatch_id 0
		.amdhsa_user_sgpr_kernarg_preload_length 0
		.amdhsa_user_sgpr_kernarg_preload_offset 0
		.amdhsa_user_sgpr_private_segment_size 0
		.amdhsa_uses_dynamic_stack 0
		.amdhsa_enable_private_segment 0
		.amdhsa_system_sgpr_workgroup_id_x 1
		.amdhsa_system_sgpr_workgroup_id_y 0
		.amdhsa_system_sgpr_workgroup_id_z 0
		.amdhsa_system_sgpr_workgroup_info 0
		.amdhsa_system_vgpr_workitem_id 2
		.amdhsa_next_free_vgpr 78
		.amdhsa_next_free_sgpr 32
		.amdhsa_accum_offset 80
		.amdhsa_reserve_vcc 1
		.amdhsa_float_round_mode_32 0
		.amdhsa_float_round_mode_16_64 0
		.amdhsa_float_denorm_mode_32 3
		.amdhsa_float_denorm_mode_16_64 3
		.amdhsa_dx10_clamp 1
		.amdhsa_ieee_mode 1
		.amdhsa_fp16_overflow 0
		.amdhsa_tg_split 0
		.amdhsa_exception_fp_ieee_invalid_op 0
		.amdhsa_exception_fp_denorm_src 0
		.amdhsa_exception_fp_ieee_div_zero 0
		.amdhsa_exception_fp_ieee_overflow 0
		.amdhsa_exception_fp_ieee_underflow 0
		.amdhsa_exception_fp_ieee_inexact 0
		.amdhsa_exception_int_div_zero 0
	.end_amdhsa_kernel
	.section	.text._ZN7rocprim17ROCPRIM_400000_NS6detail17trampoline_kernelINS0_14default_configENS1_35radix_sort_onesweep_config_selectorIxNS0_10empty_typeEEEZZNS1_29radix_sort_onesweep_iterationIS3_Lb0EN6thrust23THRUST_200600_302600_NS6detail15normal_iteratorINS9_10device_ptrIxEEEESE_PS5_SF_jNS0_19identity_decomposerENS1_16block_id_wrapperIjLb0EEEEE10hipError_tT1_PNSt15iterator_traitsISK_E10value_typeET2_T3_PNSL_ISQ_E10value_typeET4_T5_PSV_SW_PNS1_23onesweep_lookback_stateEbbT6_jjT7_P12ihipStream_tbENKUlT_T0_SK_SP_E_clISE_PxSF_SF_EEDaS13_S14_SK_SP_EUlS13_E_NS1_11comp_targetILNS1_3genE5ELNS1_11target_archE942ELNS1_3gpuE9ELNS1_3repE0EEENS1_47radix_sort_onesweep_sort_config_static_selectorELNS0_4arch9wavefront6targetE1EEEvSK_,"axG",@progbits,_ZN7rocprim17ROCPRIM_400000_NS6detail17trampoline_kernelINS0_14default_configENS1_35radix_sort_onesweep_config_selectorIxNS0_10empty_typeEEEZZNS1_29radix_sort_onesweep_iterationIS3_Lb0EN6thrust23THRUST_200600_302600_NS6detail15normal_iteratorINS9_10device_ptrIxEEEESE_PS5_SF_jNS0_19identity_decomposerENS1_16block_id_wrapperIjLb0EEEEE10hipError_tT1_PNSt15iterator_traitsISK_E10value_typeET2_T3_PNSL_ISQ_E10value_typeET4_T5_PSV_SW_PNS1_23onesweep_lookback_stateEbbT6_jjT7_P12ihipStream_tbENKUlT_T0_SK_SP_E_clISE_PxSF_SF_EEDaS13_S14_SK_SP_EUlS13_E_NS1_11comp_targetILNS1_3genE5ELNS1_11target_archE942ELNS1_3gpuE9ELNS1_3repE0EEENS1_47radix_sort_onesweep_sort_config_static_selectorELNS0_4arch9wavefront6targetE1EEEvSK_,comdat
.Lfunc_end1580:
	.size	_ZN7rocprim17ROCPRIM_400000_NS6detail17trampoline_kernelINS0_14default_configENS1_35radix_sort_onesweep_config_selectorIxNS0_10empty_typeEEEZZNS1_29radix_sort_onesweep_iterationIS3_Lb0EN6thrust23THRUST_200600_302600_NS6detail15normal_iteratorINS9_10device_ptrIxEEEESE_PS5_SF_jNS0_19identity_decomposerENS1_16block_id_wrapperIjLb0EEEEE10hipError_tT1_PNSt15iterator_traitsISK_E10value_typeET2_T3_PNSL_ISQ_E10value_typeET4_T5_PSV_SW_PNS1_23onesweep_lookback_stateEbbT6_jjT7_P12ihipStream_tbENKUlT_T0_SK_SP_E_clISE_PxSF_SF_EEDaS13_S14_SK_SP_EUlS13_E_NS1_11comp_targetILNS1_3genE5ELNS1_11target_archE942ELNS1_3gpuE9ELNS1_3repE0EEENS1_47radix_sort_onesweep_sort_config_static_selectorELNS0_4arch9wavefront6targetE1EEEvSK_, .Lfunc_end1580-_ZN7rocprim17ROCPRIM_400000_NS6detail17trampoline_kernelINS0_14default_configENS1_35radix_sort_onesweep_config_selectorIxNS0_10empty_typeEEEZZNS1_29radix_sort_onesweep_iterationIS3_Lb0EN6thrust23THRUST_200600_302600_NS6detail15normal_iteratorINS9_10device_ptrIxEEEESE_PS5_SF_jNS0_19identity_decomposerENS1_16block_id_wrapperIjLb0EEEEE10hipError_tT1_PNSt15iterator_traitsISK_E10value_typeET2_T3_PNSL_ISQ_E10value_typeET4_T5_PSV_SW_PNS1_23onesweep_lookback_stateEbbT6_jjT7_P12ihipStream_tbENKUlT_T0_SK_SP_E_clISE_PxSF_SF_EEDaS13_S14_SK_SP_EUlS13_E_NS1_11comp_targetILNS1_3genE5ELNS1_11target_archE942ELNS1_3gpuE9ELNS1_3repE0EEENS1_47radix_sort_onesweep_sort_config_static_selectorELNS0_4arch9wavefront6targetE1EEEvSK_
                                        ; -- End function
	.section	.AMDGPU.csdata,"",@progbits
; Kernel info:
; codeLenInByte = 15160
; NumSgprs: 38
; NumVgprs: 78
; NumAgprs: 0
; TotalNumVgprs: 78
; ScratchSize: 0
; MemoryBound: 0
; FloatMode: 240
; IeeeMode: 1
; LDSByteSize: 10280 bytes/workgroup (compile time only)
; SGPRBlocks: 4
; VGPRBlocks: 9
; NumSGPRsForWavesPerEU: 38
; NumVGPRsForWavesPerEU: 78
; AccumOffset: 80
; Occupancy: 6
; WaveLimiterHint : 1
; COMPUTE_PGM_RSRC2:SCRATCH_EN: 0
; COMPUTE_PGM_RSRC2:USER_SGPR: 2
; COMPUTE_PGM_RSRC2:TRAP_HANDLER: 0
; COMPUTE_PGM_RSRC2:TGID_X_EN: 1
; COMPUTE_PGM_RSRC2:TGID_Y_EN: 0
; COMPUTE_PGM_RSRC2:TGID_Z_EN: 0
; COMPUTE_PGM_RSRC2:TIDIG_COMP_CNT: 2
; COMPUTE_PGM_RSRC3_GFX90A:ACCUM_OFFSET: 19
; COMPUTE_PGM_RSRC3_GFX90A:TG_SPLIT: 0
	.section	.text._ZN7rocprim17ROCPRIM_400000_NS6detail17trampoline_kernelINS0_14default_configENS1_35radix_sort_onesweep_config_selectorIxNS0_10empty_typeEEEZZNS1_29radix_sort_onesweep_iterationIS3_Lb0EN6thrust23THRUST_200600_302600_NS6detail15normal_iteratorINS9_10device_ptrIxEEEESE_PS5_SF_jNS0_19identity_decomposerENS1_16block_id_wrapperIjLb0EEEEE10hipError_tT1_PNSt15iterator_traitsISK_E10value_typeET2_T3_PNSL_ISQ_E10value_typeET4_T5_PSV_SW_PNS1_23onesweep_lookback_stateEbbT6_jjT7_P12ihipStream_tbENKUlT_T0_SK_SP_E_clISE_PxSF_SF_EEDaS13_S14_SK_SP_EUlS13_E_NS1_11comp_targetILNS1_3genE2ELNS1_11target_archE906ELNS1_3gpuE6ELNS1_3repE0EEENS1_47radix_sort_onesweep_sort_config_static_selectorELNS0_4arch9wavefront6targetE1EEEvSK_,"axG",@progbits,_ZN7rocprim17ROCPRIM_400000_NS6detail17trampoline_kernelINS0_14default_configENS1_35radix_sort_onesweep_config_selectorIxNS0_10empty_typeEEEZZNS1_29radix_sort_onesweep_iterationIS3_Lb0EN6thrust23THRUST_200600_302600_NS6detail15normal_iteratorINS9_10device_ptrIxEEEESE_PS5_SF_jNS0_19identity_decomposerENS1_16block_id_wrapperIjLb0EEEEE10hipError_tT1_PNSt15iterator_traitsISK_E10value_typeET2_T3_PNSL_ISQ_E10value_typeET4_T5_PSV_SW_PNS1_23onesweep_lookback_stateEbbT6_jjT7_P12ihipStream_tbENKUlT_T0_SK_SP_E_clISE_PxSF_SF_EEDaS13_S14_SK_SP_EUlS13_E_NS1_11comp_targetILNS1_3genE2ELNS1_11target_archE906ELNS1_3gpuE6ELNS1_3repE0EEENS1_47radix_sort_onesweep_sort_config_static_selectorELNS0_4arch9wavefront6targetE1EEEvSK_,comdat
	.protected	_ZN7rocprim17ROCPRIM_400000_NS6detail17trampoline_kernelINS0_14default_configENS1_35radix_sort_onesweep_config_selectorIxNS0_10empty_typeEEEZZNS1_29radix_sort_onesweep_iterationIS3_Lb0EN6thrust23THRUST_200600_302600_NS6detail15normal_iteratorINS9_10device_ptrIxEEEESE_PS5_SF_jNS0_19identity_decomposerENS1_16block_id_wrapperIjLb0EEEEE10hipError_tT1_PNSt15iterator_traitsISK_E10value_typeET2_T3_PNSL_ISQ_E10value_typeET4_T5_PSV_SW_PNS1_23onesweep_lookback_stateEbbT6_jjT7_P12ihipStream_tbENKUlT_T0_SK_SP_E_clISE_PxSF_SF_EEDaS13_S14_SK_SP_EUlS13_E_NS1_11comp_targetILNS1_3genE2ELNS1_11target_archE906ELNS1_3gpuE6ELNS1_3repE0EEENS1_47radix_sort_onesweep_sort_config_static_selectorELNS0_4arch9wavefront6targetE1EEEvSK_ ; -- Begin function _ZN7rocprim17ROCPRIM_400000_NS6detail17trampoline_kernelINS0_14default_configENS1_35radix_sort_onesweep_config_selectorIxNS0_10empty_typeEEEZZNS1_29radix_sort_onesweep_iterationIS3_Lb0EN6thrust23THRUST_200600_302600_NS6detail15normal_iteratorINS9_10device_ptrIxEEEESE_PS5_SF_jNS0_19identity_decomposerENS1_16block_id_wrapperIjLb0EEEEE10hipError_tT1_PNSt15iterator_traitsISK_E10value_typeET2_T3_PNSL_ISQ_E10value_typeET4_T5_PSV_SW_PNS1_23onesweep_lookback_stateEbbT6_jjT7_P12ihipStream_tbENKUlT_T0_SK_SP_E_clISE_PxSF_SF_EEDaS13_S14_SK_SP_EUlS13_E_NS1_11comp_targetILNS1_3genE2ELNS1_11target_archE906ELNS1_3gpuE6ELNS1_3repE0EEENS1_47radix_sort_onesweep_sort_config_static_selectorELNS0_4arch9wavefront6targetE1EEEvSK_
	.globl	_ZN7rocprim17ROCPRIM_400000_NS6detail17trampoline_kernelINS0_14default_configENS1_35radix_sort_onesweep_config_selectorIxNS0_10empty_typeEEEZZNS1_29radix_sort_onesweep_iterationIS3_Lb0EN6thrust23THRUST_200600_302600_NS6detail15normal_iteratorINS9_10device_ptrIxEEEESE_PS5_SF_jNS0_19identity_decomposerENS1_16block_id_wrapperIjLb0EEEEE10hipError_tT1_PNSt15iterator_traitsISK_E10value_typeET2_T3_PNSL_ISQ_E10value_typeET4_T5_PSV_SW_PNS1_23onesweep_lookback_stateEbbT6_jjT7_P12ihipStream_tbENKUlT_T0_SK_SP_E_clISE_PxSF_SF_EEDaS13_S14_SK_SP_EUlS13_E_NS1_11comp_targetILNS1_3genE2ELNS1_11target_archE906ELNS1_3gpuE6ELNS1_3repE0EEENS1_47radix_sort_onesweep_sort_config_static_selectorELNS0_4arch9wavefront6targetE1EEEvSK_
	.p2align	8
	.type	_ZN7rocprim17ROCPRIM_400000_NS6detail17trampoline_kernelINS0_14default_configENS1_35radix_sort_onesweep_config_selectorIxNS0_10empty_typeEEEZZNS1_29radix_sort_onesweep_iterationIS3_Lb0EN6thrust23THRUST_200600_302600_NS6detail15normal_iteratorINS9_10device_ptrIxEEEESE_PS5_SF_jNS0_19identity_decomposerENS1_16block_id_wrapperIjLb0EEEEE10hipError_tT1_PNSt15iterator_traitsISK_E10value_typeET2_T3_PNSL_ISQ_E10value_typeET4_T5_PSV_SW_PNS1_23onesweep_lookback_stateEbbT6_jjT7_P12ihipStream_tbENKUlT_T0_SK_SP_E_clISE_PxSF_SF_EEDaS13_S14_SK_SP_EUlS13_E_NS1_11comp_targetILNS1_3genE2ELNS1_11target_archE906ELNS1_3gpuE6ELNS1_3repE0EEENS1_47radix_sort_onesweep_sort_config_static_selectorELNS0_4arch9wavefront6targetE1EEEvSK_,@function
_ZN7rocprim17ROCPRIM_400000_NS6detail17trampoline_kernelINS0_14default_configENS1_35radix_sort_onesweep_config_selectorIxNS0_10empty_typeEEEZZNS1_29radix_sort_onesweep_iterationIS3_Lb0EN6thrust23THRUST_200600_302600_NS6detail15normal_iteratorINS9_10device_ptrIxEEEESE_PS5_SF_jNS0_19identity_decomposerENS1_16block_id_wrapperIjLb0EEEEE10hipError_tT1_PNSt15iterator_traitsISK_E10value_typeET2_T3_PNSL_ISQ_E10value_typeET4_T5_PSV_SW_PNS1_23onesweep_lookback_stateEbbT6_jjT7_P12ihipStream_tbENKUlT_T0_SK_SP_E_clISE_PxSF_SF_EEDaS13_S14_SK_SP_EUlS13_E_NS1_11comp_targetILNS1_3genE2ELNS1_11target_archE906ELNS1_3gpuE6ELNS1_3repE0EEENS1_47radix_sort_onesweep_sort_config_static_selectorELNS0_4arch9wavefront6targetE1EEEvSK_: ; @_ZN7rocprim17ROCPRIM_400000_NS6detail17trampoline_kernelINS0_14default_configENS1_35radix_sort_onesweep_config_selectorIxNS0_10empty_typeEEEZZNS1_29radix_sort_onesweep_iterationIS3_Lb0EN6thrust23THRUST_200600_302600_NS6detail15normal_iteratorINS9_10device_ptrIxEEEESE_PS5_SF_jNS0_19identity_decomposerENS1_16block_id_wrapperIjLb0EEEEE10hipError_tT1_PNSt15iterator_traitsISK_E10value_typeET2_T3_PNSL_ISQ_E10value_typeET4_T5_PSV_SW_PNS1_23onesweep_lookback_stateEbbT6_jjT7_P12ihipStream_tbENKUlT_T0_SK_SP_E_clISE_PxSF_SF_EEDaS13_S14_SK_SP_EUlS13_E_NS1_11comp_targetILNS1_3genE2ELNS1_11target_archE906ELNS1_3gpuE6ELNS1_3repE0EEENS1_47radix_sort_onesweep_sort_config_static_selectorELNS0_4arch9wavefront6targetE1EEEvSK_
; %bb.0:
	.section	.rodata,"a",@progbits
	.p2align	6, 0x0
	.amdhsa_kernel _ZN7rocprim17ROCPRIM_400000_NS6detail17trampoline_kernelINS0_14default_configENS1_35radix_sort_onesweep_config_selectorIxNS0_10empty_typeEEEZZNS1_29radix_sort_onesweep_iterationIS3_Lb0EN6thrust23THRUST_200600_302600_NS6detail15normal_iteratorINS9_10device_ptrIxEEEESE_PS5_SF_jNS0_19identity_decomposerENS1_16block_id_wrapperIjLb0EEEEE10hipError_tT1_PNSt15iterator_traitsISK_E10value_typeET2_T3_PNSL_ISQ_E10value_typeET4_T5_PSV_SW_PNS1_23onesweep_lookback_stateEbbT6_jjT7_P12ihipStream_tbENKUlT_T0_SK_SP_E_clISE_PxSF_SF_EEDaS13_S14_SK_SP_EUlS13_E_NS1_11comp_targetILNS1_3genE2ELNS1_11target_archE906ELNS1_3gpuE6ELNS1_3repE0EEENS1_47radix_sort_onesweep_sort_config_static_selectorELNS0_4arch9wavefront6targetE1EEEvSK_
		.amdhsa_group_segment_fixed_size 0
		.amdhsa_private_segment_fixed_size 0
		.amdhsa_kernarg_size 88
		.amdhsa_user_sgpr_count 2
		.amdhsa_user_sgpr_dispatch_ptr 0
		.amdhsa_user_sgpr_queue_ptr 0
		.amdhsa_user_sgpr_kernarg_segment_ptr 1
		.amdhsa_user_sgpr_dispatch_id 0
		.amdhsa_user_sgpr_kernarg_preload_length 0
		.amdhsa_user_sgpr_kernarg_preload_offset 0
		.amdhsa_user_sgpr_private_segment_size 0
		.amdhsa_uses_dynamic_stack 0
		.amdhsa_enable_private_segment 0
		.amdhsa_system_sgpr_workgroup_id_x 1
		.amdhsa_system_sgpr_workgroup_id_y 0
		.amdhsa_system_sgpr_workgroup_id_z 0
		.amdhsa_system_sgpr_workgroup_info 0
		.amdhsa_system_vgpr_workitem_id 0
		.amdhsa_next_free_vgpr 1
		.amdhsa_next_free_sgpr 0
		.amdhsa_accum_offset 4
		.amdhsa_reserve_vcc 0
		.amdhsa_float_round_mode_32 0
		.amdhsa_float_round_mode_16_64 0
		.amdhsa_float_denorm_mode_32 3
		.amdhsa_float_denorm_mode_16_64 3
		.amdhsa_dx10_clamp 1
		.amdhsa_ieee_mode 1
		.amdhsa_fp16_overflow 0
		.amdhsa_tg_split 0
		.amdhsa_exception_fp_ieee_invalid_op 0
		.amdhsa_exception_fp_denorm_src 0
		.amdhsa_exception_fp_ieee_div_zero 0
		.amdhsa_exception_fp_ieee_overflow 0
		.amdhsa_exception_fp_ieee_underflow 0
		.amdhsa_exception_fp_ieee_inexact 0
		.amdhsa_exception_int_div_zero 0
	.end_amdhsa_kernel
	.section	.text._ZN7rocprim17ROCPRIM_400000_NS6detail17trampoline_kernelINS0_14default_configENS1_35radix_sort_onesweep_config_selectorIxNS0_10empty_typeEEEZZNS1_29radix_sort_onesweep_iterationIS3_Lb0EN6thrust23THRUST_200600_302600_NS6detail15normal_iteratorINS9_10device_ptrIxEEEESE_PS5_SF_jNS0_19identity_decomposerENS1_16block_id_wrapperIjLb0EEEEE10hipError_tT1_PNSt15iterator_traitsISK_E10value_typeET2_T3_PNSL_ISQ_E10value_typeET4_T5_PSV_SW_PNS1_23onesweep_lookback_stateEbbT6_jjT7_P12ihipStream_tbENKUlT_T0_SK_SP_E_clISE_PxSF_SF_EEDaS13_S14_SK_SP_EUlS13_E_NS1_11comp_targetILNS1_3genE2ELNS1_11target_archE906ELNS1_3gpuE6ELNS1_3repE0EEENS1_47radix_sort_onesweep_sort_config_static_selectorELNS0_4arch9wavefront6targetE1EEEvSK_,"axG",@progbits,_ZN7rocprim17ROCPRIM_400000_NS6detail17trampoline_kernelINS0_14default_configENS1_35radix_sort_onesweep_config_selectorIxNS0_10empty_typeEEEZZNS1_29radix_sort_onesweep_iterationIS3_Lb0EN6thrust23THRUST_200600_302600_NS6detail15normal_iteratorINS9_10device_ptrIxEEEESE_PS5_SF_jNS0_19identity_decomposerENS1_16block_id_wrapperIjLb0EEEEE10hipError_tT1_PNSt15iterator_traitsISK_E10value_typeET2_T3_PNSL_ISQ_E10value_typeET4_T5_PSV_SW_PNS1_23onesweep_lookback_stateEbbT6_jjT7_P12ihipStream_tbENKUlT_T0_SK_SP_E_clISE_PxSF_SF_EEDaS13_S14_SK_SP_EUlS13_E_NS1_11comp_targetILNS1_3genE2ELNS1_11target_archE906ELNS1_3gpuE6ELNS1_3repE0EEENS1_47radix_sort_onesweep_sort_config_static_selectorELNS0_4arch9wavefront6targetE1EEEvSK_,comdat
.Lfunc_end1581:
	.size	_ZN7rocprim17ROCPRIM_400000_NS6detail17trampoline_kernelINS0_14default_configENS1_35radix_sort_onesweep_config_selectorIxNS0_10empty_typeEEEZZNS1_29radix_sort_onesweep_iterationIS3_Lb0EN6thrust23THRUST_200600_302600_NS6detail15normal_iteratorINS9_10device_ptrIxEEEESE_PS5_SF_jNS0_19identity_decomposerENS1_16block_id_wrapperIjLb0EEEEE10hipError_tT1_PNSt15iterator_traitsISK_E10value_typeET2_T3_PNSL_ISQ_E10value_typeET4_T5_PSV_SW_PNS1_23onesweep_lookback_stateEbbT6_jjT7_P12ihipStream_tbENKUlT_T0_SK_SP_E_clISE_PxSF_SF_EEDaS13_S14_SK_SP_EUlS13_E_NS1_11comp_targetILNS1_3genE2ELNS1_11target_archE906ELNS1_3gpuE6ELNS1_3repE0EEENS1_47radix_sort_onesweep_sort_config_static_selectorELNS0_4arch9wavefront6targetE1EEEvSK_, .Lfunc_end1581-_ZN7rocprim17ROCPRIM_400000_NS6detail17trampoline_kernelINS0_14default_configENS1_35radix_sort_onesweep_config_selectorIxNS0_10empty_typeEEEZZNS1_29radix_sort_onesweep_iterationIS3_Lb0EN6thrust23THRUST_200600_302600_NS6detail15normal_iteratorINS9_10device_ptrIxEEEESE_PS5_SF_jNS0_19identity_decomposerENS1_16block_id_wrapperIjLb0EEEEE10hipError_tT1_PNSt15iterator_traitsISK_E10value_typeET2_T3_PNSL_ISQ_E10value_typeET4_T5_PSV_SW_PNS1_23onesweep_lookback_stateEbbT6_jjT7_P12ihipStream_tbENKUlT_T0_SK_SP_E_clISE_PxSF_SF_EEDaS13_S14_SK_SP_EUlS13_E_NS1_11comp_targetILNS1_3genE2ELNS1_11target_archE906ELNS1_3gpuE6ELNS1_3repE0EEENS1_47radix_sort_onesweep_sort_config_static_selectorELNS0_4arch9wavefront6targetE1EEEvSK_
                                        ; -- End function
	.section	.AMDGPU.csdata,"",@progbits
; Kernel info:
; codeLenInByte = 0
; NumSgprs: 6
; NumVgprs: 0
; NumAgprs: 0
; TotalNumVgprs: 0
; ScratchSize: 0
; MemoryBound: 0
; FloatMode: 240
; IeeeMode: 1
; LDSByteSize: 0 bytes/workgroup (compile time only)
; SGPRBlocks: 0
; VGPRBlocks: 0
; NumSGPRsForWavesPerEU: 6
; NumVGPRsForWavesPerEU: 1
; AccumOffset: 4
; Occupancy: 8
; WaveLimiterHint : 0
; COMPUTE_PGM_RSRC2:SCRATCH_EN: 0
; COMPUTE_PGM_RSRC2:USER_SGPR: 2
; COMPUTE_PGM_RSRC2:TRAP_HANDLER: 0
; COMPUTE_PGM_RSRC2:TGID_X_EN: 1
; COMPUTE_PGM_RSRC2:TGID_Y_EN: 0
; COMPUTE_PGM_RSRC2:TGID_Z_EN: 0
; COMPUTE_PGM_RSRC2:TIDIG_COMP_CNT: 0
; COMPUTE_PGM_RSRC3_GFX90A:ACCUM_OFFSET: 0
; COMPUTE_PGM_RSRC3_GFX90A:TG_SPLIT: 0
	.section	.text._ZN7rocprim17ROCPRIM_400000_NS6detail17trampoline_kernelINS0_14default_configENS1_35radix_sort_onesweep_config_selectorIxNS0_10empty_typeEEEZZNS1_29radix_sort_onesweep_iterationIS3_Lb0EN6thrust23THRUST_200600_302600_NS6detail15normal_iteratorINS9_10device_ptrIxEEEESE_PS5_SF_jNS0_19identity_decomposerENS1_16block_id_wrapperIjLb0EEEEE10hipError_tT1_PNSt15iterator_traitsISK_E10value_typeET2_T3_PNSL_ISQ_E10value_typeET4_T5_PSV_SW_PNS1_23onesweep_lookback_stateEbbT6_jjT7_P12ihipStream_tbENKUlT_T0_SK_SP_E_clISE_PxSF_SF_EEDaS13_S14_SK_SP_EUlS13_E_NS1_11comp_targetILNS1_3genE4ELNS1_11target_archE910ELNS1_3gpuE8ELNS1_3repE0EEENS1_47radix_sort_onesweep_sort_config_static_selectorELNS0_4arch9wavefront6targetE1EEEvSK_,"axG",@progbits,_ZN7rocprim17ROCPRIM_400000_NS6detail17trampoline_kernelINS0_14default_configENS1_35radix_sort_onesweep_config_selectorIxNS0_10empty_typeEEEZZNS1_29radix_sort_onesweep_iterationIS3_Lb0EN6thrust23THRUST_200600_302600_NS6detail15normal_iteratorINS9_10device_ptrIxEEEESE_PS5_SF_jNS0_19identity_decomposerENS1_16block_id_wrapperIjLb0EEEEE10hipError_tT1_PNSt15iterator_traitsISK_E10value_typeET2_T3_PNSL_ISQ_E10value_typeET4_T5_PSV_SW_PNS1_23onesweep_lookback_stateEbbT6_jjT7_P12ihipStream_tbENKUlT_T0_SK_SP_E_clISE_PxSF_SF_EEDaS13_S14_SK_SP_EUlS13_E_NS1_11comp_targetILNS1_3genE4ELNS1_11target_archE910ELNS1_3gpuE8ELNS1_3repE0EEENS1_47radix_sort_onesweep_sort_config_static_selectorELNS0_4arch9wavefront6targetE1EEEvSK_,comdat
	.protected	_ZN7rocprim17ROCPRIM_400000_NS6detail17trampoline_kernelINS0_14default_configENS1_35radix_sort_onesweep_config_selectorIxNS0_10empty_typeEEEZZNS1_29radix_sort_onesweep_iterationIS3_Lb0EN6thrust23THRUST_200600_302600_NS6detail15normal_iteratorINS9_10device_ptrIxEEEESE_PS5_SF_jNS0_19identity_decomposerENS1_16block_id_wrapperIjLb0EEEEE10hipError_tT1_PNSt15iterator_traitsISK_E10value_typeET2_T3_PNSL_ISQ_E10value_typeET4_T5_PSV_SW_PNS1_23onesweep_lookback_stateEbbT6_jjT7_P12ihipStream_tbENKUlT_T0_SK_SP_E_clISE_PxSF_SF_EEDaS13_S14_SK_SP_EUlS13_E_NS1_11comp_targetILNS1_3genE4ELNS1_11target_archE910ELNS1_3gpuE8ELNS1_3repE0EEENS1_47radix_sort_onesweep_sort_config_static_selectorELNS0_4arch9wavefront6targetE1EEEvSK_ ; -- Begin function _ZN7rocprim17ROCPRIM_400000_NS6detail17trampoline_kernelINS0_14default_configENS1_35radix_sort_onesweep_config_selectorIxNS0_10empty_typeEEEZZNS1_29radix_sort_onesweep_iterationIS3_Lb0EN6thrust23THRUST_200600_302600_NS6detail15normal_iteratorINS9_10device_ptrIxEEEESE_PS5_SF_jNS0_19identity_decomposerENS1_16block_id_wrapperIjLb0EEEEE10hipError_tT1_PNSt15iterator_traitsISK_E10value_typeET2_T3_PNSL_ISQ_E10value_typeET4_T5_PSV_SW_PNS1_23onesweep_lookback_stateEbbT6_jjT7_P12ihipStream_tbENKUlT_T0_SK_SP_E_clISE_PxSF_SF_EEDaS13_S14_SK_SP_EUlS13_E_NS1_11comp_targetILNS1_3genE4ELNS1_11target_archE910ELNS1_3gpuE8ELNS1_3repE0EEENS1_47radix_sort_onesweep_sort_config_static_selectorELNS0_4arch9wavefront6targetE1EEEvSK_
	.globl	_ZN7rocprim17ROCPRIM_400000_NS6detail17trampoline_kernelINS0_14default_configENS1_35radix_sort_onesweep_config_selectorIxNS0_10empty_typeEEEZZNS1_29radix_sort_onesweep_iterationIS3_Lb0EN6thrust23THRUST_200600_302600_NS6detail15normal_iteratorINS9_10device_ptrIxEEEESE_PS5_SF_jNS0_19identity_decomposerENS1_16block_id_wrapperIjLb0EEEEE10hipError_tT1_PNSt15iterator_traitsISK_E10value_typeET2_T3_PNSL_ISQ_E10value_typeET4_T5_PSV_SW_PNS1_23onesweep_lookback_stateEbbT6_jjT7_P12ihipStream_tbENKUlT_T0_SK_SP_E_clISE_PxSF_SF_EEDaS13_S14_SK_SP_EUlS13_E_NS1_11comp_targetILNS1_3genE4ELNS1_11target_archE910ELNS1_3gpuE8ELNS1_3repE0EEENS1_47radix_sort_onesweep_sort_config_static_selectorELNS0_4arch9wavefront6targetE1EEEvSK_
	.p2align	8
	.type	_ZN7rocprim17ROCPRIM_400000_NS6detail17trampoline_kernelINS0_14default_configENS1_35radix_sort_onesweep_config_selectorIxNS0_10empty_typeEEEZZNS1_29radix_sort_onesweep_iterationIS3_Lb0EN6thrust23THRUST_200600_302600_NS6detail15normal_iteratorINS9_10device_ptrIxEEEESE_PS5_SF_jNS0_19identity_decomposerENS1_16block_id_wrapperIjLb0EEEEE10hipError_tT1_PNSt15iterator_traitsISK_E10value_typeET2_T3_PNSL_ISQ_E10value_typeET4_T5_PSV_SW_PNS1_23onesweep_lookback_stateEbbT6_jjT7_P12ihipStream_tbENKUlT_T0_SK_SP_E_clISE_PxSF_SF_EEDaS13_S14_SK_SP_EUlS13_E_NS1_11comp_targetILNS1_3genE4ELNS1_11target_archE910ELNS1_3gpuE8ELNS1_3repE0EEENS1_47radix_sort_onesweep_sort_config_static_selectorELNS0_4arch9wavefront6targetE1EEEvSK_,@function
_ZN7rocprim17ROCPRIM_400000_NS6detail17trampoline_kernelINS0_14default_configENS1_35radix_sort_onesweep_config_selectorIxNS0_10empty_typeEEEZZNS1_29radix_sort_onesweep_iterationIS3_Lb0EN6thrust23THRUST_200600_302600_NS6detail15normal_iteratorINS9_10device_ptrIxEEEESE_PS5_SF_jNS0_19identity_decomposerENS1_16block_id_wrapperIjLb0EEEEE10hipError_tT1_PNSt15iterator_traitsISK_E10value_typeET2_T3_PNSL_ISQ_E10value_typeET4_T5_PSV_SW_PNS1_23onesweep_lookback_stateEbbT6_jjT7_P12ihipStream_tbENKUlT_T0_SK_SP_E_clISE_PxSF_SF_EEDaS13_S14_SK_SP_EUlS13_E_NS1_11comp_targetILNS1_3genE4ELNS1_11target_archE910ELNS1_3gpuE8ELNS1_3repE0EEENS1_47radix_sort_onesweep_sort_config_static_selectorELNS0_4arch9wavefront6targetE1EEEvSK_: ; @_ZN7rocprim17ROCPRIM_400000_NS6detail17trampoline_kernelINS0_14default_configENS1_35radix_sort_onesweep_config_selectorIxNS0_10empty_typeEEEZZNS1_29radix_sort_onesweep_iterationIS3_Lb0EN6thrust23THRUST_200600_302600_NS6detail15normal_iteratorINS9_10device_ptrIxEEEESE_PS5_SF_jNS0_19identity_decomposerENS1_16block_id_wrapperIjLb0EEEEE10hipError_tT1_PNSt15iterator_traitsISK_E10value_typeET2_T3_PNSL_ISQ_E10value_typeET4_T5_PSV_SW_PNS1_23onesweep_lookback_stateEbbT6_jjT7_P12ihipStream_tbENKUlT_T0_SK_SP_E_clISE_PxSF_SF_EEDaS13_S14_SK_SP_EUlS13_E_NS1_11comp_targetILNS1_3genE4ELNS1_11target_archE910ELNS1_3gpuE8ELNS1_3repE0EEENS1_47radix_sort_onesweep_sort_config_static_selectorELNS0_4arch9wavefront6targetE1EEEvSK_
; %bb.0:
	.section	.rodata,"a",@progbits
	.p2align	6, 0x0
	.amdhsa_kernel _ZN7rocprim17ROCPRIM_400000_NS6detail17trampoline_kernelINS0_14default_configENS1_35radix_sort_onesweep_config_selectorIxNS0_10empty_typeEEEZZNS1_29radix_sort_onesweep_iterationIS3_Lb0EN6thrust23THRUST_200600_302600_NS6detail15normal_iteratorINS9_10device_ptrIxEEEESE_PS5_SF_jNS0_19identity_decomposerENS1_16block_id_wrapperIjLb0EEEEE10hipError_tT1_PNSt15iterator_traitsISK_E10value_typeET2_T3_PNSL_ISQ_E10value_typeET4_T5_PSV_SW_PNS1_23onesweep_lookback_stateEbbT6_jjT7_P12ihipStream_tbENKUlT_T0_SK_SP_E_clISE_PxSF_SF_EEDaS13_S14_SK_SP_EUlS13_E_NS1_11comp_targetILNS1_3genE4ELNS1_11target_archE910ELNS1_3gpuE8ELNS1_3repE0EEENS1_47radix_sort_onesweep_sort_config_static_selectorELNS0_4arch9wavefront6targetE1EEEvSK_
		.amdhsa_group_segment_fixed_size 0
		.amdhsa_private_segment_fixed_size 0
		.amdhsa_kernarg_size 88
		.amdhsa_user_sgpr_count 2
		.amdhsa_user_sgpr_dispatch_ptr 0
		.amdhsa_user_sgpr_queue_ptr 0
		.amdhsa_user_sgpr_kernarg_segment_ptr 1
		.amdhsa_user_sgpr_dispatch_id 0
		.amdhsa_user_sgpr_kernarg_preload_length 0
		.amdhsa_user_sgpr_kernarg_preload_offset 0
		.amdhsa_user_sgpr_private_segment_size 0
		.amdhsa_uses_dynamic_stack 0
		.amdhsa_enable_private_segment 0
		.amdhsa_system_sgpr_workgroup_id_x 1
		.amdhsa_system_sgpr_workgroup_id_y 0
		.amdhsa_system_sgpr_workgroup_id_z 0
		.amdhsa_system_sgpr_workgroup_info 0
		.amdhsa_system_vgpr_workitem_id 0
		.amdhsa_next_free_vgpr 1
		.amdhsa_next_free_sgpr 0
		.amdhsa_accum_offset 4
		.amdhsa_reserve_vcc 0
		.amdhsa_float_round_mode_32 0
		.amdhsa_float_round_mode_16_64 0
		.amdhsa_float_denorm_mode_32 3
		.amdhsa_float_denorm_mode_16_64 3
		.amdhsa_dx10_clamp 1
		.amdhsa_ieee_mode 1
		.amdhsa_fp16_overflow 0
		.amdhsa_tg_split 0
		.amdhsa_exception_fp_ieee_invalid_op 0
		.amdhsa_exception_fp_denorm_src 0
		.amdhsa_exception_fp_ieee_div_zero 0
		.amdhsa_exception_fp_ieee_overflow 0
		.amdhsa_exception_fp_ieee_underflow 0
		.amdhsa_exception_fp_ieee_inexact 0
		.amdhsa_exception_int_div_zero 0
	.end_amdhsa_kernel
	.section	.text._ZN7rocprim17ROCPRIM_400000_NS6detail17trampoline_kernelINS0_14default_configENS1_35radix_sort_onesweep_config_selectorIxNS0_10empty_typeEEEZZNS1_29radix_sort_onesweep_iterationIS3_Lb0EN6thrust23THRUST_200600_302600_NS6detail15normal_iteratorINS9_10device_ptrIxEEEESE_PS5_SF_jNS0_19identity_decomposerENS1_16block_id_wrapperIjLb0EEEEE10hipError_tT1_PNSt15iterator_traitsISK_E10value_typeET2_T3_PNSL_ISQ_E10value_typeET4_T5_PSV_SW_PNS1_23onesweep_lookback_stateEbbT6_jjT7_P12ihipStream_tbENKUlT_T0_SK_SP_E_clISE_PxSF_SF_EEDaS13_S14_SK_SP_EUlS13_E_NS1_11comp_targetILNS1_3genE4ELNS1_11target_archE910ELNS1_3gpuE8ELNS1_3repE0EEENS1_47radix_sort_onesweep_sort_config_static_selectorELNS0_4arch9wavefront6targetE1EEEvSK_,"axG",@progbits,_ZN7rocprim17ROCPRIM_400000_NS6detail17trampoline_kernelINS0_14default_configENS1_35radix_sort_onesweep_config_selectorIxNS0_10empty_typeEEEZZNS1_29radix_sort_onesweep_iterationIS3_Lb0EN6thrust23THRUST_200600_302600_NS6detail15normal_iteratorINS9_10device_ptrIxEEEESE_PS5_SF_jNS0_19identity_decomposerENS1_16block_id_wrapperIjLb0EEEEE10hipError_tT1_PNSt15iterator_traitsISK_E10value_typeET2_T3_PNSL_ISQ_E10value_typeET4_T5_PSV_SW_PNS1_23onesweep_lookback_stateEbbT6_jjT7_P12ihipStream_tbENKUlT_T0_SK_SP_E_clISE_PxSF_SF_EEDaS13_S14_SK_SP_EUlS13_E_NS1_11comp_targetILNS1_3genE4ELNS1_11target_archE910ELNS1_3gpuE8ELNS1_3repE0EEENS1_47radix_sort_onesweep_sort_config_static_selectorELNS0_4arch9wavefront6targetE1EEEvSK_,comdat
.Lfunc_end1582:
	.size	_ZN7rocprim17ROCPRIM_400000_NS6detail17trampoline_kernelINS0_14default_configENS1_35radix_sort_onesweep_config_selectorIxNS0_10empty_typeEEEZZNS1_29radix_sort_onesweep_iterationIS3_Lb0EN6thrust23THRUST_200600_302600_NS6detail15normal_iteratorINS9_10device_ptrIxEEEESE_PS5_SF_jNS0_19identity_decomposerENS1_16block_id_wrapperIjLb0EEEEE10hipError_tT1_PNSt15iterator_traitsISK_E10value_typeET2_T3_PNSL_ISQ_E10value_typeET4_T5_PSV_SW_PNS1_23onesweep_lookback_stateEbbT6_jjT7_P12ihipStream_tbENKUlT_T0_SK_SP_E_clISE_PxSF_SF_EEDaS13_S14_SK_SP_EUlS13_E_NS1_11comp_targetILNS1_3genE4ELNS1_11target_archE910ELNS1_3gpuE8ELNS1_3repE0EEENS1_47radix_sort_onesweep_sort_config_static_selectorELNS0_4arch9wavefront6targetE1EEEvSK_, .Lfunc_end1582-_ZN7rocprim17ROCPRIM_400000_NS6detail17trampoline_kernelINS0_14default_configENS1_35radix_sort_onesweep_config_selectorIxNS0_10empty_typeEEEZZNS1_29radix_sort_onesweep_iterationIS3_Lb0EN6thrust23THRUST_200600_302600_NS6detail15normal_iteratorINS9_10device_ptrIxEEEESE_PS5_SF_jNS0_19identity_decomposerENS1_16block_id_wrapperIjLb0EEEEE10hipError_tT1_PNSt15iterator_traitsISK_E10value_typeET2_T3_PNSL_ISQ_E10value_typeET4_T5_PSV_SW_PNS1_23onesweep_lookback_stateEbbT6_jjT7_P12ihipStream_tbENKUlT_T0_SK_SP_E_clISE_PxSF_SF_EEDaS13_S14_SK_SP_EUlS13_E_NS1_11comp_targetILNS1_3genE4ELNS1_11target_archE910ELNS1_3gpuE8ELNS1_3repE0EEENS1_47radix_sort_onesweep_sort_config_static_selectorELNS0_4arch9wavefront6targetE1EEEvSK_
                                        ; -- End function
	.section	.AMDGPU.csdata,"",@progbits
; Kernel info:
; codeLenInByte = 0
; NumSgprs: 6
; NumVgprs: 0
; NumAgprs: 0
; TotalNumVgprs: 0
; ScratchSize: 0
; MemoryBound: 0
; FloatMode: 240
; IeeeMode: 1
; LDSByteSize: 0 bytes/workgroup (compile time only)
; SGPRBlocks: 0
; VGPRBlocks: 0
; NumSGPRsForWavesPerEU: 6
; NumVGPRsForWavesPerEU: 1
; AccumOffset: 4
; Occupancy: 8
; WaveLimiterHint : 0
; COMPUTE_PGM_RSRC2:SCRATCH_EN: 0
; COMPUTE_PGM_RSRC2:USER_SGPR: 2
; COMPUTE_PGM_RSRC2:TRAP_HANDLER: 0
; COMPUTE_PGM_RSRC2:TGID_X_EN: 1
; COMPUTE_PGM_RSRC2:TGID_Y_EN: 0
; COMPUTE_PGM_RSRC2:TGID_Z_EN: 0
; COMPUTE_PGM_RSRC2:TIDIG_COMP_CNT: 0
; COMPUTE_PGM_RSRC3_GFX90A:ACCUM_OFFSET: 0
; COMPUTE_PGM_RSRC3_GFX90A:TG_SPLIT: 0
	.section	.text._ZN7rocprim17ROCPRIM_400000_NS6detail17trampoline_kernelINS0_14default_configENS1_35radix_sort_onesweep_config_selectorIxNS0_10empty_typeEEEZZNS1_29radix_sort_onesweep_iterationIS3_Lb0EN6thrust23THRUST_200600_302600_NS6detail15normal_iteratorINS9_10device_ptrIxEEEESE_PS5_SF_jNS0_19identity_decomposerENS1_16block_id_wrapperIjLb0EEEEE10hipError_tT1_PNSt15iterator_traitsISK_E10value_typeET2_T3_PNSL_ISQ_E10value_typeET4_T5_PSV_SW_PNS1_23onesweep_lookback_stateEbbT6_jjT7_P12ihipStream_tbENKUlT_T0_SK_SP_E_clISE_PxSF_SF_EEDaS13_S14_SK_SP_EUlS13_E_NS1_11comp_targetILNS1_3genE3ELNS1_11target_archE908ELNS1_3gpuE7ELNS1_3repE0EEENS1_47radix_sort_onesweep_sort_config_static_selectorELNS0_4arch9wavefront6targetE1EEEvSK_,"axG",@progbits,_ZN7rocprim17ROCPRIM_400000_NS6detail17trampoline_kernelINS0_14default_configENS1_35radix_sort_onesweep_config_selectorIxNS0_10empty_typeEEEZZNS1_29radix_sort_onesweep_iterationIS3_Lb0EN6thrust23THRUST_200600_302600_NS6detail15normal_iteratorINS9_10device_ptrIxEEEESE_PS5_SF_jNS0_19identity_decomposerENS1_16block_id_wrapperIjLb0EEEEE10hipError_tT1_PNSt15iterator_traitsISK_E10value_typeET2_T3_PNSL_ISQ_E10value_typeET4_T5_PSV_SW_PNS1_23onesweep_lookback_stateEbbT6_jjT7_P12ihipStream_tbENKUlT_T0_SK_SP_E_clISE_PxSF_SF_EEDaS13_S14_SK_SP_EUlS13_E_NS1_11comp_targetILNS1_3genE3ELNS1_11target_archE908ELNS1_3gpuE7ELNS1_3repE0EEENS1_47radix_sort_onesweep_sort_config_static_selectorELNS0_4arch9wavefront6targetE1EEEvSK_,comdat
	.protected	_ZN7rocprim17ROCPRIM_400000_NS6detail17trampoline_kernelINS0_14default_configENS1_35radix_sort_onesweep_config_selectorIxNS0_10empty_typeEEEZZNS1_29radix_sort_onesweep_iterationIS3_Lb0EN6thrust23THRUST_200600_302600_NS6detail15normal_iteratorINS9_10device_ptrIxEEEESE_PS5_SF_jNS0_19identity_decomposerENS1_16block_id_wrapperIjLb0EEEEE10hipError_tT1_PNSt15iterator_traitsISK_E10value_typeET2_T3_PNSL_ISQ_E10value_typeET4_T5_PSV_SW_PNS1_23onesweep_lookback_stateEbbT6_jjT7_P12ihipStream_tbENKUlT_T0_SK_SP_E_clISE_PxSF_SF_EEDaS13_S14_SK_SP_EUlS13_E_NS1_11comp_targetILNS1_3genE3ELNS1_11target_archE908ELNS1_3gpuE7ELNS1_3repE0EEENS1_47radix_sort_onesweep_sort_config_static_selectorELNS0_4arch9wavefront6targetE1EEEvSK_ ; -- Begin function _ZN7rocprim17ROCPRIM_400000_NS6detail17trampoline_kernelINS0_14default_configENS1_35radix_sort_onesweep_config_selectorIxNS0_10empty_typeEEEZZNS1_29radix_sort_onesweep_iterationIS3_Lb0EN6thrust23THRUST_200600_302600_NS6detail15normal_iteratorINS9_10device_ptrIxEEEESE_PS5_SF_jNS0_19identity_decomposerENS1_16block_id_wrapperIjLb0EEEEE10hipError_tT1_PNSt15iterator_traitsISK_E10value_typeET2_T3_PNSL_ISQ_E10value_typeET4_T5_PSV_SW_PNS1_23onesweep_lookback_stateEbbT6_jjT7_P12ihipStream_tbENKUlT_T0_SK_SP_E_clISE_PxSF_SF_EEDaS13_S14_SK_SP_EUlS13_E_NS1_11comp_targetILNS1_3genE3ELNS1_11target_archE908ELNS1_3gpuE7ELNS1_3repE0EEENS1_47radix_sort_onesweep_sort_config_static_selectorELNS0_4arch9wavefront6targetE1EEEvSK_
	.globl	_ZN7rocprim17ROCPRIM_400000_NS6detail17trampoline_kernelINS0_14default_configENS1_35radix_sort_onesweep_config_selectorIxNS0_10empty_typeEEEZZNS1_29radix_sort_onesweep_iterationIS3_Lb0EN6thrust23THRUST_200600_302600_NS6detail15normal_iteratorINS9_10device_ptrIxEEEESE_PS5_SF_jNS0_19identity_decomposerENS1_16block_id_wrapperIjLb0EEEEE10hipError_tT1_PNSt15iterator_traitsISK_E10value_typeET2_T3_PNSL_ISQ_E10value_typeET4_T5_PSV_SW_PNS1_23onesweep_lookback_stateEbbT6_jjT7_P12ihipStream_tbENKUlT_T0_SK_SP_E_clISE_PxSF_SF_EEDaS13_S14_SK_SP_EUlS13_E_NS1_11comp_targetILNS1_3genE3ELNS1_11target_archE908ELNS1_3gpuE7ELNS1_3repE0EEENS1_47radix_sort_onesweep_sort_config_static_selectorELNS0_4arch9wavefront6targetE1EEEvSK_
	.p2align	8
	.type	_ZN7rocprim17ROCPRIM_400000_NS6detail17trampoline_kernelINS0_14default_configENS1_35radix_sort_onesweep_config_selectorIxNS0_10empty_typeEEEZZNS1_29radix_sort_onesweep_iterationIS3_Lb0EN6thrust23THRUST_200600_302600_NS6detail15normal_iteratorINS9_10device_ptrIxEEEESE_PS5_SF_jNS0_19identity_decomposerENS1_16block_id_wrapperIjLb0EEEEE10hipError_tT1_PNSt15iterator_traitsISK_E10value_typeET2_T3_PNSL_ISQ_E10value_typeET4_T5_PSV_SW_PNS1_23onesweep_lookback_stateEbbT6_jjT7_P12ihipStream_tbENKUlT_T0_SK_SP_E_clISE_PxSF_SF_EEDaS13_S14_SK_SP_EUlS13_E_NS1_11comp_targetILNS1_3genE3ELNS1_11target_archE908ELNS1_3gpuE7ELNS1_3repE0EEENS1_47radix_sort_onesweep_sort_config_static_selectorELNS0_4arch9wavefront6targetE1EEEvSK_,@function
_ZN7rocprim17ROCPRIM_400000_NS6detail17trampoline_kernelINS0_14default_configENS1_35radix_sort_onesweep_config_selectorIxNS0_10empty_typeEEEZZNS1_29radix_sort_onesweep_iterationIS3_Lb0EN6thrust23THRUST_200600_302600_NS6detail15normal_iteratorINS9_10device_ptrIxEEEESE_PS5_SF_jNS0_19identity_decomposerENS1_16block_id_wrapperIjLb0EEEEE10hipError_tT1_PNSt15iterator_traitsISK_E10value_typeET2_T3_PNSL_ISQ_E10value_typeET4_T5_PSV_SW_PNS1_23onesweep_lookback_stateEbbT6_jjT7_P12ihipStream_tbENKUlT_T0_SK_SP_E_clISE_PxSF_SF_EEDaS13_S14_SK_SP_EUlS13_E_NS1_11comp_targetILNS1_3genE3ELNS1_11target_archE908ELNS1_3gpuE7ELNS1_3repE0EEENS1_47radix_sort_onesweep_sort_config_static_selectorELNS0_4arch9wavefront6targetE1EEEvSK_: ; @_ZN7rocprim17ROCPRIM_400000_NS6detail17trampoline_kernelINS0_14default_configENS1_35radix_sort_onesweep_config_selectorIxNS0_10empty_typeEEEZZNS1_29radix_sort_onesweep_iterationIS3_Lb0EN6thrust23THRUST_200600_302600_NS6detail15normal_iteratorINS9_10device_ptrIxEEEESE_PS5_SF_jNS0_19identity_decomposerENS1_16block_id_wrapperIjLb0EEEEE10hipError_tT1_PNSt15iterator_traitsISK_E10value_typeET2_T3_PNSL_ISQ_E10value_typeET4_T5_PSV_SW_PNS1_23onesweep_lookback_stateEbbT6_jjT7_P12ihipStream_tbENKUlT_T0_SK_SP_E_clISE_PxSF_SF_EEDaS13_S14_SK_SP_EUlS13_E_NS1_11comp_targetILNS1_3genE3ELNS1_11target_archE908ELNS1_3gpuE7ELNS1_3repE0EEENS1_47radix_sort_onesweep_sort_config_static_selectorELNS0_4arch9wavefront6targetE1EEEvSK_
; %bb.0:
	.section	.rodata,"a",@progbits
	.p2align	6, 0x0
	.amdhsa_kernel _ZN7rocprim17ROCPRIM_400000_NS6detail17trampoline_kernelINS0_14default_configENS1_35radix_sort_onesweep_config_selectorIxNS0_10empty_typeEEEZZNS1_29radix_sort_onesweep_iterationIS3_Lb0EN6thrust23THRUST_200600_302600_NS6detail15normal_iteratorINS9_10device_ptrIxEEEESE_PS5_SF_jNS0_19identity_decomposerENS1_16block_id_wrapperIjLb0EEEEE10hipError_tT1_PNSt15iterator_traitsISK_E10value_typeET2_T3_PNSL_ISQ_E10value_typeET4_T5_PSV_SW_PNS1_23onesweep_lookback_stateEbbT6_jjT7_P12ihipStream_tbENKUlT_T0_SK_SP_E_clISE_PxSF_SF_EEDaS13_S14_SK_SP_EUlS13_E_NS1_11comp_targetILNS1_3genE3ELNS1_11target_archE908ELNS1_3gpuE7ELNS1_3repE0EEENS1_47radix_sort_onesweep_sort_config_static_selectorELNS0_4arch9wavefront6targetE1EEEvSK_
		.amdhsa_group_segment_fixed_size 0
		.amdhsa_private_segment_fixed_size 0
		.amdhsa_kernarg_size 88
		.amdhsa_user_sgpr_count 2
		.amdhsa_user_sgpr_dispatch_ptr 0
		.amdhsa_user_sgpr_queue_ptr 0
		.amdhsa_user_sgpr_kernarg_segment_ptr 1
		.amdhsa_user_sgpr_dispatch_id 0
		.amdhsa_user_sgpr_kernarg_preload_length 0
		.amdhsa_user_sgpr_kernarg_preload_offset 0
		.amdhsa_user_sgpr_private_segment_size 0
		.amdhsa_uses_dynamic_stack 0
		.amdhsa_enable_private_segment 0
		.amdhsa_system_sgpr_workgroup_id_x 1
		.amdhsa_system_sgpr_workgroup_id_y 0
		.amdhsa_system_sgpr_workgroup_id_z 0
		.amdhsa_system_sgpr_workgroup_info 0
		.amdhsa_system_vgpr_workitem_id 0
		.amdhsa_next_free_vgpr 1
		.amdhsa_next_free_sgpr 0
		.amdhsa_accum_offset 4
		.amdhsa_reserve_vcc 0
		.amdhsa_float_round_mode_32 0
		.amdhsa_float_round_mode_16_64 0
		.amdhsa_float_denorm_mode_32 3
		.amdhsa_float_denorm_mode_16_64 3
		.amdhsa_dx10_clamp 1
		.amdhsa_ieee_mode 1
		.amdhsa_fp16_overflow 0
		.amdhsa_tg_split 0
		.amdhsa_exception_fp_ieee_invalid_op 0
		.amdhsa_exception_fp_denorm_src 0
		.amdhsa_exception_fp_ieee_div_zero 0
		.amdhsa_exception_fp_ieee_overflow 0
		.amdhsa_exception_fp_ieee_underflow 0
		.amdhsa_exception_fp_ieee_inexact 0
		.amdhsa_exception_int_div_zero 0
	.end_amdhsa_kernel
	.section	.text._ZN7rocprim17ROCPRIM_400000_NS6detail17trampoline_kernelINS0_14default_configENS1_35radix_sort_onesweep_config_selectorIxNS0_10empty_typeEEEZZNS1_29radix_sort_onesweep_iterationIS3_Lb0EN6thrust23THRUST_200600_302600_NS6detail15normal_iteratorINS9_10device_ptrIxEEEESE_PS5_SF_jNS0_19identity_decomposerENS1_16block_id_wrapperIjLb0EEEEE10hipError_tT1_PNSt15iterator_traitsISK_E10value_typeET2_T3_PNSL_ISQ_E10value_typeET4_T5_PSV_SW_PNS1_23onesweep_lookback_stateEbbT6_jjT7_P12ihipStream_tbENKUlT_T0_SK_SP_E_clISE_PxSF_SF_EEDaS13_S14_SK_SP_EUlS13_E_NS1_11comp_targetILNS1_3genE3ELNS1_11target_archE908ELNS1_3gpuE7ELNS1_3repE0EEENS1_47radix_sort_onesweep_sort_config_static_selectorELNS0_4arch9wavefront6targetE1EEEvSK_,"axG",@progbits,_ZN7rocprim17ROCPRIM_400000_NS6detail17trampoline_kernelINS0_14default_configENS1_35radix_sort_onesweep_config_selectorIxNS0_10empty_typeEEEZZNS1_29radix_sort_onesweep_iterationIS3_Lb0EN6thrust23THRUST_200600_302600_NS6detail15normal_iteratorINS9_10device_ptrIxEEEESE_PS5_SF_jNS0_19identity_decomposerENS1_16block_id_wrapperIjLb0EEEEE10hipError_tT1_PNSt15iterator_traitsISK_E10value_typeET2_T3_PNSL_ISQ_E10value_typeET4_T5_PSV_SW_PNS1_23onesweep_lookback_stateEbbT6_jjT7_P12ihipStream_tbENKUlT_T0_SK_SP_E_clISE_PxSF_SF_EEDaS13_S14_SK_SP_EUlS13_E_NS1_11comp_targetILNS1_3genE3ELNS1_11target_archE908ELNS1_3gpuE7ELNS1_3repE0EEENS1_47radix_sort_onesweep_sort_config_static_selectorELNS0_4arch9wavefront6targetE1EEEvSK_,comdat
.Lfunc_end1583:
	.size	_ZN7rocprim17ROCPRIM_400000_NS6detail17trampoline_kernelINS0_14default_configENS1_35radix_sort_onesweep_config_selectorIxNS0_10empty_typeEEEZZNS1_29radix_sort_onesweep_iterationIS3_Lb0EN6thrust23THRUST_200600_302600_NS6detail15normal_iteratorINS9_10device_ptrIxEEEESE_PS5_SF_jNS0_19identity_decomposerENS1_16block_id_wrapperIjLb0EEEEE10hipError_tT1_PNSt15iterator_traitsISK_E10value_typeET2_T3_PNSL_ISQ_E10value_typeET4_T5_PSV_SW_PNS1_23onesweep_lookback_stateEbbT6_jjT7_P12ihipStream_tbENKUlT_T0_SK_SP_E_clISE_PxSF_SF_EEDaS13_S14_SK_SP_EUlS13_E_NS1_11comp_targetILNS1_3genE3ELNS1_11target_archE908ELNS1_3gpuE7ELNS1_3repE0EEENS1_47radix_sort_onesweep_sort_config_static_selectorELNS0_4arch9wavefront6targetE1EEEvSK_, .Lfunc_end1583-_ZN7rocprim17ROCPRIM_400000_NS6detail17trampoline_kernelINS0_14default_configENS1_35radix_sort_onesweep_config_selectorIxNS0_10empty_typeEEEZZNS1_29radix_sort_onesweep_iterationIS3_Lb0EN6thrust23THRUST_200600_302600_NS6detail15normal_iteratorINS9_10device_ptrIxEEEESE_PS5_SF_jNS0_19identity_decomposerENS1_16block_id_wrapperIjLb0EEEEE10hipError_tT1_PNSt15iterator_traitsISK_E10value_typeET2_T3_PNSL_ISQ_E10value_typeET4_T5_PSV_SW_PNS1_23onesweep_lookback_stateEbbT6_jjT7_P12ihipStream_tbENKUlT_T0_SK_SP_E_clISE_PxSF_SF_EEDaS13_S14_SK_SP_EUlS13_E_NS1_11comp_targetILNS1_3genE3ELNS1_11target_archE908ELNS1_3gpuE7ELNS1_3repE0EEENS1_47radix_sort_onesweep_sort_config_static_selectorELNS0_4arch9wavefront6targetE1EEEvSK_
                                        ; -- End function
	.section	.AMDGPU.csdata,"",@progbits
; Kernel info:
; codeLenInByte = 0
; NumSgprs: 6
; NumVgprs: 0
; NumAgprs: 0
; TotalNumVgprs: 0
; ScratchSize: 0
; MemoryBound: 0
; FloatMode: 240
; IeeeMode: 1
; LDSByteSize: 0 bytes/workgroup (compile time only)
; SGPRBlocks: 0
; VGPRBlocks: 0
; NumSGPRsForWavesPerEU: 6
; NumVGPRsForWavesPerEU: 1
; AccumOffset: 4
; Occupancy: 8
; WaveLimiterHint : 0
; COMPUTE_PGM_RSRC2:SCRATCH_EN: 0
; COMPUTE_PGM_RSRC2:USER_SGPR: 2
; COMPUTE_PGM_RSRC2:TRAP_HANDLER: 0
; COMPUTE_PGM_RSRC2:TGID_X_EN: 1
; COMPUTE_PGM_RSRC2:TGID_Y_EN: 0
; COMPUTE_PGM_RSRC2:TGID_Z_EN: 0
; COMPUTE_PGM_RSRC2:TIDIG_COMP_CNT: 0
; COMPUTE_PGM_RSRC3_GFX90A:ACCUM_OFFSET: 0
; COMPUTE_PGM_RSRC3_GFX90A:TG_SPLIT: 0
	.section	.text._ZN7rocprim17ROCPRIM_400000_NS6detail17trampoline_kernelINS0_14default_configENS1_35radix_sort_onesweep_config_selectorIxNS0_10empty_typeEEEZZNS1_29radix_sort_onesweep_iterationIS3_Lb0EN6thrust23THRUST_200600_302600_NS6detail15normal_iteratorINS9_10device_ptrIxEEEESE_PS5_SF_jNS0_19identity_decomposerENS1_16block_id_wrapperIjLb0EEEEE10hipError_tT1_PNSt15iterator_traitsISK_E10value_typeET2_T3_PNSL_ISQ_E10value_typeET4_T5_PSV_SW_PNS1_23onesweep_lookback_stateEbbT6_jjT7_P12ihipStream_tbENKUlT_T0_SK_SP_E_clISE_PxSF_SF_EEDaS13_S14_SK_SP_EUlS13_E_NS1_11comp_targetILNS1_3genE10ELNS1_11target_archE1201ELNS1_3gpuE5ELNS1_3repE0EEENS1_47radix_sort_onesweep_sort_config_static_selectorELNS0_4arch9wavefront6targetE1EEEvSK_,"axG",@progbits,_ZN7rocprim17ROCPRIM_400000_NS6detail17trampoline_kernelINS0_14default_configENS1_35radix_sort_onesweep_config_selectorIxNS0_10empty_typeEEEZZNS1_29radix_sort_onesweep_iterationIS3_Lb0EN6thrust23THRUST_200600_302600_NS6detail15normal_iteratorINS9_10device_ptrIxEEEESE_PS5_SF_jNS0_19identity_decomposerENS1_16block_id_wrapperIjLb0EEEEE10hipError_tT1_PNSt15iterator_traitsISK_E10value_typeET2_T3_PNSL_ISQ_E10value_typeET4_T5_PSV_SW_PNS1_23onesweep_lookback_stateEbbT6_jjT7_P12ihipStream_tbENKUlT_T0_SK_SP_E_clISE_PxSF_SF_EEDaS13_S14_SK_SP_EUlS13_E_NS1_11comp_targetILNS1_3genE10ELNS1_11target_archE1201ELNS1_3gpuE5ELNS1_3repE0EEENS1_47radix_sort_onesweep_sort_config_static_selectorELNS0_4arch9wavefront6targetE1EEEvSK_,comdat
	.protected	_ZN7rocprim17ROCPRIM_400000_NS6detail17trampoline_kernelINS0_14default_configENS1_35radix_sort_onesweep_config_selectorIxNS0_10empty_typeEEEZZNS1_29radix_sort_onesweep_iterationIS3_Lb0EN6thrust23THRUST_200600_302600_NS6detail15normal_iteratorINS9_10device_ptrIxEEEESE_PS5_SF_jNS0_19identity_decomposerENS1_16block_id_wrapperIjLb0EEEEE10hipError_tT1_PNSt15iterator_traitsISK_E10value_typeET2_T3_PNSL_ISQ_E10value_typeET4_T5_PSV_SW_PNS1_23onesweep_lookback_stateEbbT6_jjT7_P12ihipStream_tbENKUlT_T0_SK_SP_E_clISE_PxSF_SF_EEDaS13_S14_SK_SP_EUlS13_E_NS1_11comp_targetILNS1_3genE10ELNS1_11target_archE1201ELNS1_3gpuE5ELNS1_3repE0EEENS1_47radix_sort_onesweep_sort_config_static_selectorELNS0_4arch9wavefront6targetE1EEEvSK_ ; -- Begin function _ZN7rocprim17ROCPRIM_400000_NS6detail17trampoline_kernelINS0_14default_configENS1_35radix_sort_onesweep_config_selectorIxNS0_10empty_typeEEEZZNS1_29radix_sort_onesweep_iterationIS3_Lb0EN6thrust23THRUST_200600_302600_NS6detail15normal_iteratorINS9_10device_ptrIxEEEESE_PS5_SF_jNS0_19identity_decomposerENS1_16block_id_wrapperIjLb0EEEEE10hipError_tT1_PNSt15iterator_traitsISK_E10value_typeET2_T3_PNSL_ISQ_E10value_typeET4_T5_PSV_SW_PNS1_23onesweep_lookback_stateEbbT6_jjT7_P12ihipStream_tbENKUlT_T0_SK_SP_E_clISE_PxSF_SF_EEDaS13_S14_SK_SP_EUlS13_E_NS1_11comp_targetILNS1_3genE10ELNS1_11target_archE1201ELNS1_3gpuE5ELNS1_3repE0EEENS1_47radix_sort_onesweep_sort_config_static_selectorELNS0_4arch9wavefront6targetE1EEEvSK_
	.globl	_ZN7rocprim17ROCPRIM_400000_NS6detail17trampoline_kernelINS0_14default_configENS1_35radix_sort_onesweep_config_selectorIxNS0_10empty_typeEEEZZNS1_29radix_sort_onesweep_iterationIS3_Lb0EN6thrust23THRUST_200600_302600_NS6detail15normal_iteratorINS9_10device_ptrIxEEEESE_PS5_SF_jNS0_19identity_decomposerENS1_16block_id_wrapperIjLb0EEEEE10hipError_tT1_PNSt15iterator_traitsISK_E10value_typeET2_T3_PNSL_ISQ_E10value_typeET4_T5_PSV_SW_PNS1_23onesweep_lookback_stateEbbT6_jjT7_P12ihipStream_tbENKUlT_T0_SK_SP_E_clISE_PxSF_SF_EEDaS13_S14_SK_SP_EUlS13_E_NS1_11comp_targetILNS1_3genE10ELNS1_11target_archE1201ELNS1_3gpuE5ELNS1_3repE0EEENS1_47radix_sort_onesweep_sort_config_static_selectorELNS0_4arch9wavefront6targetE1EEEvSK_
	.p2align	8
	.type	_ZN7rocprim17ROCPRIM_400000_NS6detail17trampoline_kernelINS0_14default_configENS1_35radix_sort_onesweep_config_selectorIxNS0_10empty_typeEEEZZNS1_29radix_sort_onesweep_iterationIS3_Lb0EN6thrust23THRUST_200600_302600_NS6detail15normal_iteratorINS9_10device_ptrIxEEEESE_PS5_SF_jNS0_19identity_decomposerENS1_16block_id_wrapperIjLb0EEEEE10hipError_tT1_PNSt15iterator_traitsISK_E10value_typeET2_T3_PNSL_ISQ_E10value_typeET4_T5_PSV_SW_PNS1_23onesweep_lookback_stateEbbT6_jjT7_P12ihipStream_tbENKUlT_T0_SK_SP_E_clISE_PxSF_SF_EEDaS13_S14_SK_SP_EUlS13_E_NS1_11comp_targetILNS1_3genE10ELNS1_11target_archE1201ELNS1_3gpuE5ELNS1_3repE0EEENS1_47radix_sort_onesweep_sort_config_static_selectorELNS0_4arch9wavefront6targetE1EEEvSK_,@function
_ZN7rocprim17ROCPRIM_400000_NS6detail17trampoline_kernelINS0_14default_configENS1_35radix_sort_onesweep_config_selectorIxNS0_10empty_typeEEEZZNS1_29radix_sort_onesweep_iterationIS3_Lb0EN6thrust23THRUST_200600_302600_NS6detail15normal_iteratorINS9_10device_ptrIxEEEESE_PS5_SF_jNS0_19identity_decomposerENS1_16block_id_wrapperIjLb0EEEEE10hipError_tT1_PNSt15iterator_traitsISK_E10value_typeET2_T3_PNSL_ISQ_E10value_typeET4_T5_PSV_SW_PNS1_23onesweep_lookback_stateEbbT6_jjT7_P12ihipStream_tbENKUlT_T0_SK_SP_E_clISE_PxSF_SF_EEDaS13_S14_SK_SP_EUlS13_E_NS1_11comp_targetILNS1_3genE10ELNS1_11target_archE1201ELNS1_3gpuE5ELNS1_3repE0EEENS1_47radix_sort_onesweep_sort_config_static_selectorELNS0_4arch9wavefront6targetE1EEEvSK_: ; @_ZN7rocprim17ROCPRIM_400000_NS6detail17trampoline_kernelINS0_14default_configENS1_35radix_sort_onesweep_config_selectorIxNS0_10empty_typeEEEZZNS1_29radix_sort_onesweep_iterationIS3_Lb0EN6thrust23THRUST_200600_302600_NS6detail15normal_iteratorINS9_10device_ptrIxEEEESE_PS5_SF_jNS0_19identity_decomposerENS1_16block_id_wrapperIjLb0EEEEE10hipError_tT1_PNSt15iterator_traitsISK_E10value_typeET2_T3_PNSL_ISQ_E10value_typeET4_T5_PSV_SW_PNS1_23onesweep_lookback_stateEbbT6_jjT7_P12ihipStream_tbENKUlT_T0_SK_SP_E_clISE_PxSF_SF_EEDaS13_S14_SK_SP_EUlS13_E_NS1_11comp_targetILNS1_3genE10ELNS1_11target_archE1201ELNS1_3gpuE5ELNS1_3repE0EEENS1_47radix_sort_onesweep_sort_config_static_selectorELNS0_4arch9wavefront6targetE1EEEvSK_
; %bb.0:
	.section	.rodata,"a",@progbits
	.p2align	6, 0x0
	.amdhsa_kernel _ZN7rocprim17ROCPRIM_400000_NS6detail17trampoline_kernelINS0_14default_configENS1_35radix_sort_onesweep_config_selectorIxNS0_10empty_typeEEEZZNS1_29radix_sort_onesweep_iterationIS3_Lb0EN6thrust23THRUST_200600_302600_NS6detail15normal_iteratorINS9_10device_ptrIxEEEESE_PS5_SF_jNS0_19identity_decomposerENS1_16block_id_wrapperIjLb0EEEEE10hipError_tT1_PNSt15iterator_traitsISK_E10value_typeET2_T3_PNSL_ISQ_E10value_typeET4_T5_PSV_SW_PNS1_23onesweep_lookback_stateEbbT6_jjT7_P12ihipStream_tbENKUlT_T0_SK_SP_E_clISE_PxSF_SF_EEDaS13_S14_SK_SP_EUlS13_E_NS1_11comp_targetILNS1_3genE10ELNS1_11target_archE1201ELNS1_3gpuE5ELNS1_3repE0EEENS1_47radix_sort_onesweep_sort_config_static_selectorELNS0_4arch9wavefront6targetE1EEEvSK_
		.amdhsa_group_segment_fixed_size 0
		.amdhsa_private_segment_fixed_size 0
		.amdhsa_kernarg_size 88
		.amdhsa_user_sgpr_count 2
		.amdhsa_user_sgpr_dispatch_ptr 0
		.amdhsa_user_sgpr_queue_ptr 0
		.amdhsa_user_sgpr_kernarg_segment_ptr 1
		.amdhsa_user_sgpr_dispatch_id 0
		.amdhsa_user_sgpr_kernarg_preload_length 0
		.amdhsa_user_sgpr_kernarg_preload_offset 0
		.amdhsa_user_sgpr_private_segment_size 0
		.amdhsa_uses_dynamic_stack 0
		.amdhsa_enable_private_segment 0
		.amdhsa_system_sgpr_workgroup_id_x 1
		.amdhsa_system_sgpr_workgroup_id_y 0
		.amdhsa_system_sgpr_workgroup_id_z 0
		.amdhsa_system_sgpr_workgroup_info 0
		.amdhsa_system_vgpr_workitem_id 0
		.amdhsa_next_free_vgpr 1
		.amdhsa_next_free_sgpr 0
		.amdhsa_accum_offset 4
		.amdhsa_reserve_vcc 0
		.amdhsa_float_round_mode_32 0
		.amdhsa_float_round_mode_16_64 0
		.amdhsa_float_denorm_mode_32 3
		.amdhsa_float_denorm_mode_16_64 3
		.amdhsa_dx10_clamp 1
		.amdhsa_ieee_mode 1
		.amdhsa_fp16_overflow 0
		.amdhsa_tg_split 0
		.amdhsa_exception_fp_ieee_invalid_op 0
		.amdhsa_exception_fp_denorm_src 0
		.amdhsa_exception_fp_ieee_div_zero 0
		.amdhsa_exception_fp_ieee_overflow 0
		.amdhsa_exception_fp_ieee_underflow 0
		.amdhsa_exception_fp_ieee_inexact 0
		.amdhsa_exception_int_div_zero 0
	.end_amdhsa_kernel
	.section	.text._ZN7rocprim17ROCPRIM_400000_NS6detail17trampoline_kernelINS0_14default_configENS1_35radix_sort_onesweep_config_selectorIxNS0_10empty_typeEEEZZNS1_29radix_sort_onesweep_iterationIS3_Lb0EN6thrust23THRUST_200600_302600_NS6detail15normal_iteratorINS9_10device_ptrIxEEEESE_PS5_SF_jNS0_19identity_decomposerENS1_16block_id_wrapperIjLb0EEEEE10hipError_tT1_PNSt15iterator_traitsISK_E10value_typeET2_T3_PNSL_ISQ_E10value_typeET4_T5_PSV_SW_PNS1_23onesweep_lookback_stateEbbT6_jjT7_P12ihipStream_tbENKUlT_T0_SK_SP_E_clISE_PxSF_SF_EEDaS13_S14_SK_SP_EUlS13_E_NS1_11comp_targetILNS1_3genE10ELNS1_11target_archE1201ELNS1_3gpuE5ELNS1_3repE0EEENS1_47radix_sort_onesweep_sort_config_static_selectorELNS0_4arch9wavefront6targetE1EEEvSK_,"axG",@progbits,_ZN7rocprim17ROCPRIM_400000_NS6detail17trampoline_kernelINS0_14default_configENS1_35radix_sort_onesweep_config_selectorIxNS0_10empty_typeEEEZZNS1_29radix_sort_onesweep_iterationIS3_Lb0EN6thrust23THRUST_200600_302600_NS6detail15normal_iteratorINS9_10device_ptrIxEEEESE_PS5_SF_jNS0_19identity_decomposerENS1_16block_id_wrapperIjLb0EEEEE10hipError_tT1_PNSt15iterator_traitsISK_E10value_typeET2_T3_PNSL_ISQ_E10value_typeET4_T5_PSV_SW_PNS1_23onesweep_lookback_stateEbbT6_jjT7_P12ihipStream_tbENKUlT_T0_SK_SP_E_clISE_PxSF_SF_EEDaS13_S14_SK_SP_EUlS13_E_NS1_11comp_targetILNS1_3genE10ELNS1_11target_archE1201ELNS1_3gpuE5ELNS1_3repE0EEENS1_47radix_sort_onesweep_sort_config_static_selectorELNS0_4arch9wavefront6targetE1EEEvSK_,comdat
.Lfunc_end1584:
	.size	_ZN7rocprim17ROCPRIM_400000_NS6detail17trampoline_kernelINS0_14default_configENS1_35radix_sort_onesweep_config_selectorIxNS0_10empty_typeEEEZZNS1_29radix_sort_onesweep_iterationIS3_Lb0EN6thrust23THRUST_200600_302600_NS6detail15normal_iteratorINS9_10device_ptrIxEEEESE_PS5_SF_jNS0_19identity_decomposerENS1_16block_id_wrapperIjLb0EEEEE10hipError_tT1_PNSt15iterator_traitsISK_E10value_typeET2_T3_PNSL_ISQ_E10value_typeET4_T5_PSV_SW_PNS1_23onesweep_lookback_stateEbbT6_jjT7_P12ihipStream_tbENKUlT_T0_SK_SP_E_clISE_PxSF_SF_EEDaS13_S14_SK_SP_EUlS13_E_NS1_11comp_targetILNS1_3genE10ELNS1_11target_archE1201ELNS1_3gpuE5ELNS1_3repE0EEENS1_47radix_sort_onesweep_sort_config_static_selectorELNS0_4arch9wavefront6targetE1EEEvSK_, .Lfunc_end1584-_ZN7rocprim17ROCPRIM_400000_NS6detail17trampoline_kernelINS0_14default_configENS1_35radix_sort_onesweep_config_selectorIxNS0_10empty_typeEEEZZNS1_29radix_sort_onesweep_iterationIS3_Lb0EN6thrust23THRUST_200600_302600_NS6detail15normal_iteratorINS9_10device_ptrIxEEEESE_PS5_SF_jNS0_19identity_decomposerENS1_16block_id_wrapperIjLb0EEEEE10hipError_tT1_PNSt15iterator_traitsISK_E10value_typeET2_T3_PNSL_ISQ_E10value_typeET4_T5_PSV_SW_PNS1_23onesweep_lookback_stateEbbT6_jjT7_P12ihipStream_tbENKUlT_T0_SK_SP_E_clISE_PxSF_SF_EEDaS13_S14_SK_SP_EUlS13_E_NS1_11comp_targetILNS1_3genE10ELNS1_11target_archE1201ELNS1_3gpuE5ELNS1_3repE0EEENS1_47radix_sort_onesweep_sort_config_static_selectorELNS0_4arch9wavefront6targetE1EEEvSK_
                                        ; -- End function
	.section	.AMDGPU.csdata,"",@progbits
; Kernel info:
; codeLenInByte = 0
; NumSgprs: 6
; NumVgprs: 0
; NumAgprs: 0
; TotalNumVgprs: 0
; ScratchSize: 0
; MemoryBound: 0
; FloatMode: 240
; IeeeMode: 1
; LDSByteSize: 0 bytes/workgroup (compile time only)
; SGPRBlocks: 0
; VGPRBlocks: 0
; NumSGPRsForWavesPerEU: 6
; NumVGPRsForWavesPerEU: 1
; AccumOffset: 4
; Occupancy: 8
; WaveLimiterHint : 0
; COMPUTE_PGM_RSRC2:SCRATCH_EN: 0
; COMPUTE_PGM_RSRC2:USER_SGPR: 2
; COMPUTE_PGM_RSRC2:TRAP_HANDLER: 0
; COMPUTE_PGM_RSRC2:TGID_X_EN: 1
; COMPUTE_PGM_RSRC2:TGID_Y_EN: 0
; COMPUTE_PGM_RSRC2:TGID_Z_EN: 0
; COMPUTE_PGM_RSRC2:TIDIG_COMP_CNT: 0
; COMPUTE_PGM_RSRC3_GFX90A:ACCUM_OFFSET: 0
; COMPUTE_PGM_RSRC3_GFX90A:TG_SPLIT: 0
	.section	.text._ZN7rocprim17ROCPRIM_400000_NS6detail17trampoline_kernelINS0_14default_configENS1_35radix_sort_onesweep_config_selectorIxNS0_10empty_typeEEEZZNS1_29radix_sort_onesweep_iterationIS3_Lb0EN6thrust23THRUST_200600_302600_NS6detail15normal_iteratorINS9_10device_ptrIxEEEESE_PS5_SF_jNS0_19identity_decomposerENS1_16block_id_wrapperIjLb0EEEEE10hipError_tT1_PNSt15iterator_traitsISK_E10value_typeET2_T3_PNSL_ISQ_E10value_typeET4_T5_PSV_SW_PNS1_23onesweep_lookback_stateEbbT6_jjT7_P12ihipStream_tbENKUlT_T0_SK_SP_E_clISE_PxSF_SF_EEDaS13_S14_SK_SP_EUlS13_E_NS1_11comp_targetILNS1_3genE9ELNS1_11target_archE1100ELNS1_3gpuE3ELNS1_3repE0EEENS1_47radix_sort_onesweep_sort_config_static_selectorELNS0_4arch9wavefront6targetE1EEEvSK_,"axG",@progbits,_ZN7rocprim17ROCPRIM_400000_NS6detail17trampoline_kernelINS0_14default_configENS1_35radix_sort_onesweep_config_selectorIxNS0_10empty_typeEEEZZNS1_29radix_sort_onesweep_iterationIS3_Lb0EN6thrust23THRUST_200600_302600_NS6detail15normal_iteratorINS9_10device_ptrIxEEEESE_PS5_SF_jNS0_19identity_decomposerENS1_16block_id_wrapperIjLb0EEEEE10hipError_tT1_PNSt15iterator_traitsISK_E10value_typeET2_T3_PNSL_ISQ_E10value_typeET4_T5_PSV_SW_PNS1_23onesweep_lookback_stateEbbT6_jjT7_P12ihipStream_tbENKUlT_T0_SK_SP_E_clISE_PxSF_SF_EEDaS13_S14_SK_SP_EUlS13_E_NS1_11comp_targetILNS1_3genE9ELNS1_11target_archE1100ELNS1_3gpuE3ELNS1_3repE0EEENS1_47radix_sort_onesweep_sort_config_static_selectorELNS0_4arch9wavefront6targetE1EEEvSK_,comdat
	.protected	_ZN7rocprim17ROCPRIM_400000_NS6detail17trampoline_kernelINS0_14default_configENS1_35radix_sort_onesweep_config_selectorIxNS0_10empty_typeEEEZZNS1_29radix_sort_onesweep_iterationIS3_Lb0EN6thrust23THRUST_200600_302600_NS6detail15normal_iteratorINS9_10device_ptrIxEEEESE_PS5_SF_jNS0_19identity_decomposerENS1_16block_id_wrapperIjLb0EEEEE10hipError_tT1_PNSt15iterator_traitsISK_E10value_typeET2_T3_PNSL_ISQ_E10value_typeET4_T5_PSV_SW_PNS1_23onesweep_lookback_stateEbbT6_jjT7_P12ihipStream_tbENKUlT_T0_SK_SP_E_clISE_PxSF_SF_EEDaS13_S14_SK_SP_EUlS13_E_NS1_11comp_targetILNS1_3genE9ELNS1_11target_archE1100ELNS1_3gpuE3ELNS1_3repE0EEENS1_47radix_sort_onesweep_sort_config_static_selectorELNS0_4arch9wavefront6targetE1EEEvSK_ ; -- Begin function _ZN7rocprim17ROCPRIM_400000_NS6detail17trampoline_kernelINS0_14default_configENS1_35radix_sort_onesweep_config_selectorIxNS0_10empty_typeEEEZZNS1_29radix_sort_onesweep_iterationIS3_Lb0EN6thrust23THRUST_200600_302600_NS6detail15normal_iteratorINS9_10device_ptrIxEEEESE_PS5_SF_jNS0_19identity_decomposerENS1_16block_id_wrapperIjLb0EEEEE10hipError_tT1_PNSt15iterator_traitsISK_E10value_typeET2_T3_PNSL_ISQ_E10value_typeET4_T5_PSV_SW_PNS1_23onesweep_lookback_stateEbbT6_jjT7_P12ihipStream_tbENKUlT_T0_SK_SP_E_clISE_PxSF_SF_EEDaS13_S14_SK_SP_EUlS13_E_NS1_11comp_targetILNS1_3genE9ELNS1_11target_archE1100ELNS1_3gpuE3ELNS1_3repE0EEENS1_47radix_sort_onesweep_sort_config_static_selectorELNS0_4arch9wavefront6targetE1EEEvSK_
	.globl	_ZN7rocprim17ROCPRIM_400000_NS6detail17trampoline_kernelINS0_14default_configENS1_35radix_sort_onesweep_config_selectorIxNS0_10empty_typeEEEZZNS1_29radix_sort_onesweep_iterationIS3_Lb0EN6thrust23THRUST_200600_302600_NS6detail15normal_iteratorINS9_10device_ptrIxEEEESE_PS5_SF_jNS0_19identity_decomposerENS1_16block_id_wrapperIjLb0EEEEE10hipError_tT1_PNSt15iterator_traitsISK_E10value_typeET2_T3_PNSL_ISQ_E10value_typeET4_T5_PSV_SW_PNS1_23onesweep_lookback_stateEbbT6_jjT7_P12ihipStream_tbENKUlT_T0_SK_SP_E_clISE_PxSF_SF_EEDaS13_S14_SK_SP_EUlS13_E_NS1_11comp_targetILNS1_3genE9ELNS1_11target_archE1100ELNS1_3gpuE3ELNS1_3repE0EEENS1_47radix_sort_onesweep_sort_config_static_selectorELNS0_4arch9wavefront6targetE1EEEvSK_
	.p2align	8
	.type	_ZN7rocprim17ROCPRIM_400000_NS6detail17trampoline_kernelINS0_14default_configENS1_35radix_sort_onesweep_config_selectorIxNS0_10empty_typeEEEZZNS1_29radix_sort_onesweep_iterationIS3_Lb0EN6thrust23THRUST_200600_302600_NS6detail15normal_iteratorINS9_10device_ptrIxEEEESE_PS5_SF_jNS0_19identity_decomposerENS1_16block_id_wrapperIjLb0EEEEE10hipError_tT1_PNSt15iterator_traitsISK_E10value_typeET2_T3_PNSL_ISQ_E10value_typeET4_T5_PSV_SW_PNS1_23onesweep_lookback_stateEbbT6_jjT7_P12ihipStream_tbENKUlT_T0_SK_SP_E_clISE_PxSF_SF_EEDaS13_S14_SK_SP_EUlS13_E_NS1_11comp_targetILNS1_3genE9ELNS1_11target_archE1100ELNS1_3gpuE3ELNS1_3repE0EEENS1_47radix_sort_onesweep_sort_config_static_selectorELNS0_4arch9wavefront6targetE1EEEvSK_,@function
_ZN7rocprim17ROCPRIM_400000_NS6detail17trampoline_kernelINS0_14default_configENS1_35radix_sort_onesweep_config_selectorIxNS0_10empty_typeEEEZZNS1_29radix_sort_onesweep_iterationIS3_Lb0EN6thrust23THRUST_200600_302600_NS6detail15normal_iteratorINS9_10device_ptrIxEEEESE_PS5_SF_jNS0_19identity_decomposerENS1_16block_id_wrapperIjLb0EEEEE10hipError_tT1_PNSt15iterator_traitsISK_E10value_typeET2_T3_PNSL_ISQ_E10value_typeET4_T5_PSV_SW_PNS1_23onesweep_lookback_stateEbbT6_jjT7_P12ihipStream_tbENKUlT_T0_SK_SP_E_clISE_PxSF_SF_EEDaS13_S14_SK_SP_EUlS13_E_NS1_11comp_targetILNS1_3genE9ELNS1_11target_archE1100ELNS1_3gpuE3ELNS1_3repE0EEENS1_47radix_sort_onesweep_sort_config_static_selectorELNS0_4arch9wavefront6targetE1EEEvSK_: ; @_ZN7rocprim17ROCPRIM_400000_NS6detail17trampoline_kernelINS0_14default_configENS1_35radix_sort_onesweep_config_selectorIxNS0_10empty_typeEEEZZNS1_29radix_sort_onesweep_iterationIS3_Lb0EN6thrust23THRUST_200600_302600_NS6detail15normal_iteratorINS9_10device_ptrIxEEEESE_PS5_SF_jNS0_19identity_decomposerENS1_16block_id_wrapperIjLb0EEEEE10hipError_tT1_PNSt15iterator_traitsISK_E10value_typeET2_T3_PNSL_ISQ_E10value_typeET4_T5_PSV_SW_PNS1_23onesweep_lookback_stateEbbT6_jjT7_P12ihipStream_tbENKUlT_T0_SK_SP_E_clISE_PxSF_SF_EEDaS13_S14_SK_SP_EUlS13_E_NS1_11comp_targetILNS1_3genE9ELNS1_11target_archE1100ELNS1_3gpuE3ELNS1_3repE0EEENS1_47radix_sort_onesweep_sort_config_static_selectorELNS0_4arch9wavefront6targetE1EEEvSK_
; %bb.0:
	.section	.rodata,"a",@progbits
	.p2align	6, 0x0
	.amdhsa_kernel _ZN7rocprim17ROCPRIM_400000_NS6detail17trampoline_kernelINS0_14default_configENS1_35radix_sort_onesweep_config_selectorIxNS0_10empty_typeEEEZZNS1_29radix_sort_onesweep_iterationIS3_Lb0EN6thrust23THRUST_200600_302600_NS6detail15normal_iteratorINS9_10device_ptrIxEEEESE_PS5_SF_jNS0_19identity_decomposerENS1_16block_id_wrapperIjLb0EEEEE10hipError_tT1_PNSt15iterator_traitsISK_E10value_typeET2_T3_PNSL_ISQ_E10value_typeET4_T5_PSV_SW_PNS1_23onesweep_lookback_stateEbbT6_jjT7_P12ihipStream_tbENKUlT_T0_SK_SP_E_clISE_PxSF_SF_EEDaS13_S14_SK_SP_EUlS13_E_NS1_11comp_targetILNS1_3genE9ELNS1_11target_archE1100ELNS1_3gpuE3ELNS1_3repE0EEENS1_47radix_sort_onesweep_sort_config_static_selectorELNS0_4arch9wavefront6targetE1EEEvSK_
		.amdhsa_group_segment_fixed_size 0
		.amdhsa_private_segment_fixed_size 0
		.amdhsa_kernarg_size 88
		.amdhsa_user_sgpr_count 2
		.amdhsa_user_sgpr_dispatch_ptr 0
		.amdhsa_user_sgpr_queue_ptr 0
		.amdhsa_user_sgpr_kernarg_segment_ptr 1
		.amdhsa_user_sgpr_dispatch_id 0
		.amdhsa_user_sgpr_kernarg_preload_length 0
		.amdhsa_user_sgpr_kernarg_preload_offset 0
		.amdhsa_user_sgpr_private_segment_size 0
		.amdhsa_uses_dynamic_stack 0
		.amdhsa_enable_private_segment 0
		.amdhsa_system_sgpr_workgroup_id_x 1
		.amdhsa_system_sgpr_workgroup_id_y 0
		.amdhsa_system_sgpr_workgroup_id_z 0
		.amdhsa_system_sgpr_workgroup_info 0
		.amdhsa_system_vgpr_workitem_id 0
		.amdhsa_next_free_vgpr 1
		.amdhsa_next_free_sgpr 0
		.amdhsa_accum_offset 4
		.amdhsa_reserve_vcc 0
		.amdhsa_float_round_mode_32 0
		.amdhsa_float_round_mode_16_64 0
		.amdhsa_float_denorm_mode_32 3
		.amdhsa_float_denorm_mode_16_64 3
		.amdhsa_dx10_clamp 1
		.amdhsa_ieee_mode 1
		.amdhsa_fp16_overflow 0
		.amdhsa_tg_split 0
		.amdhsa_exception_fp_ieee_invalid_op 0
		.amdhsa_exception_fp_denorm_src 0
		.amdhsa_exception_fp_ieee_div_zero 0
		.amdhsa_exception_fp_ieee_overflow 0
		.amdhsa_exception_fp_ieee_underflow 0
		.amdhsa_exception_fp_ieee_inexact 0
		.amdhsa_exception_int_div_zero 0
	.end_amdhsa_kernel
	.section	.text._ZN7rocprim17ROCPRIM_400000_NS6detail17trampoline_kernelINS0_14default_configENS1_35radix_sort_onesweep_config_selectorIxNS0_10empty_typeEEEZZNS1_29radix_sort_onesweep_iterationIS3_Lb0EN6thrust23THRUST_200600_302600_NS6detail15normal_iteratorINS9_10device_ptrIxEEEESE_PS5_SF_jNS0_19identity_decomposerENS1_16block_id_wrapperIjLb0EEEEE10hipError_tT1_PNSt15iterator_traitsISK_E10value_typeET2_T3_PNSL_ISQ_E10value_typeET4_T5_PSV_SW_PNS1_23onesweep_lookback_stateEbbT6_jjT7_P12ihipStream_tbENKUlT_T0_SK_SP_E_clISE_PxSF_SF_EEDaS13_S14_SK_SP_EUlS13_E_NS1_11comp_targetILNS1_3genE9ELNS1_11target_archE1100ELNS1_3gpuE3ELNS1_3repE0EEENS1_47radix_sort_onesweep_sort_config_static_selectorELNS0_4arch9wavefront6targetE1EEEvSK_,"axG",@progbits,_ZN7rocprim17ROCPRIM_400000_NS6detail17trampoline_kernelINS0_14default_configENS1_35radix_sort_onesweep_config_selectorIxNS0_10empty_typeEEEZZNS1_29radix_sort_onesweep_iterationIS3_Lb0EN6thrust23THRUST_200600_302600_NS6detail15normal_iteratorINS9_10device_ptrIxEEEESE_PS5_SF_jNS0_19identity_decomposerENS1_16block_id_wrapperIjLb0EEEEE10hipError_tT1_PNSt15iterator_traitsISK_E10value_typeET2_T3_PNSL_ISQ_E10value_typeET4_T5_PSV_SW_PNS1_23onesweep_lookback_stateEbbT6_jjT7_P12ihipStream_tbENKUlT_T0_SK_SP_E_clISE_PxSF_SF_EEDaS13_S14_SK_SP_EUlS13_E_NS1_11comp_targetILNS1_3genE9ELNS1_11target_archE1100ELNS1_3gpuE3ELNS1_3repE0EEENS1_47radix_sort_onesweep_sort_config_static_selectorELNS0_4arch9wavefront6targetE1EEEvSK_,comdat
.Lfunc_end1585:
	.size	_ZN7rocprim17ROCPRIM_400000_NS6detail17trampoline_kernelINS0_14default_configENS1_35radix_sort_onesweep_config_selectorIxNS0_10empty_typeEEEZZNS1_29radix_sort_onesweep_iterationIS3_Lb0EN6thrust23THRUST_200600_302600_NS6detail15normal_iteratorINS9_10device_ptrIxEEEESE_PS5_SF_jNS0_19identity_decomposerENS1_16block_id_wrapperIjLb0EEEEE10hipError_tT1_PNSt15iterator_traitsISK_E10value_typeET2_T3_PNSL_ISQ_E10value_typeET4_T5_PSV_SW_PNS1_23onesweep_lookback_stateEbbT6_jjT7_P12ihipStream_tbENKUlT_T0_SK_SP_E_clISE_PxSF_SF_EEDaS13_S14_SK_SP_EUlS13_E_NS1_11comp_targetILNS1_3genE9ELNS1_11target_archE1100ELNS1_3gpuE3ELNS1_3repE0EEENS1_47radix_sort_onesweep_sort_config_static_selectorELNS0_4arch9wavefront6targetE1EEEvSK_, .Lfunc_end1585-_ZN7rocprim17ROCPRIM_400000_NS6detail17trampoline_kernelINS0_14default_configENS1_35radix_sort_onesweep_config_selectorIxNS0_10empty_typeEEEZZNS1_29radix_sort_onesweep_iterationIS3_Lb0EN6thrust23THRUST_200600_302600_NS6detail15normal_iteratorINS9_10device_ptrIxEEEESE_PS5_SF_jNS0_19identity_decomposerENS1_16block_id_wrapperIjLb0EEEEE10hipError_tT1_PNSt15iterator_traitsISK_E10value_typeET2_T3_PNSL_ISQ_E10value_typeET4_T5_PSV_SW_PNS1_23onesweep_lookback_stateEbbT6_jjT7_P12ihipStream_tbENKUlT_T0_SK_SP_E_clISE_PxSF_SF_EEDaS13_S14_SK_SP_EUlS13_E_NS1_11comp_targetILNS1_3genE9ELNS1_11target_archE1100ELNS1_3gpuE3ELNS1_3repE0EEENS1_47radix_sort_onesweep_sort_config_static_selectorELNS0_4arch9wavefront6targetE1EEEvSK_
                                        ; -- End function
	.section	.AMDGPU.csdata,"",@progbits
; Kernel info:
; codeLenInByte = 0
; NumSgprs: 6
; NumVgprs: 0
; NumAgprs: 0
; TotalNumVgprs: 0
; ScratchSize: 0
; MemoryBound: 0
; FloatMode: 240
; IeeeMode: 1
; LDSByteSize: 0 bytes/workgroup (compile time only)
; SGPRBlocks: 0
; VGPRBlocks: 0
; NumSGPRsForWavesPerEU: 6
; NumVGPRsForWavesPerEU: 1
; AccumOffset: 4
; Occupancy: 8
; WaveLimiterHint : 0
; COMPUTE_PGM_RSRC2:SCRATCH_EN: 0
; COMPUTE_PGM_RSRC2:USER_SGPR: 2
; COMPUTE_PGM_RSRC2:TRAP_HANDLER: 0
; COMPUTE_PGM_RSRC2:TGID_X_EN: 1
; COMPUTE_PGM_RSRC2:TGID_Y_EN: 0
; COMPUTE_PGM_RSRC2:TGID_Z_EN: 0
; COMPUTE_PGM_RSRC2:TIDIG_COMP_CNT: 0
; COMPUTE_PGM_RSRC3_GFX90A:ACCUM_OFFSET: 0
; COMPUTE_PGM_RSRC3_GFX90A:TG_SPLIT: 0
	.section	.text._ZN7rocprim17ROCPRIM_400000_NS6detail17trampoline_kernelINS0_14default_configENS1_35radix_sort_onesweep_config_selectorIxNS0_10empty_typeEEEZZNS1_29radix_sort_onesweep_iterationIS3_Lb0EN6thrust23THRUST_200600_302600_NS6detail15normal_iteratorINS9_10device_ptrIxEEEESE_PS5_SF_jNS0_19identity_decomposerENS1_16block_id_wrapperIjLb0EEEEE10hipError_tT1_PNSt15iterator_traitsISK_E10value_typeET2_T3_PNSL_ISQ_E10value_typeET4_T5_PSV_SW_PNS1_23onesweep_lookback_stateEbbT6_jjT7_P12ihipStream_tbENKUlT_T0_SK_SP_E_clISE_PxSF_SF_EEDaS13_S14_SK_SP_EUlS13_E_NS1_11comp_targetILNS1_3genE8ELNS1_11target_archE1030ELNS1_3gpuE2ELNS1_3repE0EEENS1_47radix_sort_onesweep_sort_config_static_selectorELNS0_4arch9wavefront6targetE1EEEvSK_,"axG",@progbits,_ZN7rocprim17ROCPRIM_400000_NS6detail17trampoline_kernelINS0_14default_configENS1_35radix_sort_onesweep_config_selectorIxNS0_10empty_typeEEEZZNS1_29radix_sort_onesweep_iterationIS3_Lb0EN6thrust23THRUST_200600_302600_NS6detail15normal_iteratorINS9_10device_ptrIxEEEESE_PS5_SF_jNS0_19identity_decomposerENS1_16block_id_wrapperIjLb0EEEEE10hipError_tT1_PNSt15iterator_traitsISK_E10value_typeET2_T3_PNSL_ISQ_E10value_typeET4_T5_PSV_SW_PNS1_23onesweep_lookback_stateEbbT6_jjT7_P12ihipStream_tbENKUlT_T0_SK_SP_E_clISE_PxSF_SF_EEDaS13_S14_SK_SP_EUlS13_E_NS1_11comp_targetILNS1_3genE8ELNS1_11target_archE1030ELNS1_3gpuE2ELNS1_3repE0EEENS1_47radix_sort_onesweep_sort_config_static_selectorELNS0_4arch9wavefront6targetE1EEEvSK_,comdat
	.protected	_ZN7rocprim17ROCPRIM_400000_NS6detail17trampoline_kernelINS0_14default_configENS1_35radix_sort_onesweep_config_selectorIxNS0_10empty_typeEEEZZNS1_29radix_sort_onesweep_iterationIS3_Lb0EN6thrust23THRUST_200600_302600_NS6detail15normal_iteratorINS9_10device_ptrIxEEEESE_PS5_SF_jNS0_19identity_decomposerENS1_16block_id_wrapperIjLb0EEEEE10hipError_tT1_PNSt15iterator_traitsISK_E10value_typeET2_T3_PNSL_ISQ_E10value_typeET4_T5_PSV_SW_PNS1_23onesweep_lookback_stateEbbT6_jjT7_P12ihipStream_tbENKUlT_T0_SK_SP_E_clISE_PxSF_SF_EEDaS13_S14_SK_SP_EUlS13_E_NS1_11comp_targetILNS1_3genE8ELNS1_11target_archE1030ELNS1_3gpuE2ELNS1_3repE0EEENS1_47radix_sort_onesweep_sort_config_static_selectorELNS0_4arch9wavefront6targetE1EEEvSK_ ; -- Begin function _ZN7rocprim17ROCPRIM_400000_NS6detail17trampoline_kernelINS0_14default_configENS1_35radix_sort_onesweep_config_selectorIxNS0_10empty_typeEEEZZNS1_29radix_sort_onesweep_iterationIS3_Lb0EN6thrust23THRUST_200600_302600_NS6detail15normal_iteratorINS9_10device_ptrIxEEEESE_PS5_SF_jNS0_19identity_decomposerENS1_16block_id_wrapperIjLb0EEEEE10hipError_tT1_PNSt15iterator_traitsISK_E10value_typeET2_T3_PNSL_ISQ_E10value_typeET4_T5_PSV_SW_PNS1_23onesweep_lookback_stateEbbT6_jjT7_P12ihipStream_tbENKUlT_T0_SK_SP_E_clISE_PxSF_SF_EEDaS13_S14_SK_SP_EUlS13_E_NS1_11comp_targetILNS1_3genE8ELNS1_11target_archE1030ELNS1_3gpuE2ELNS1_3repE0EEENS1_47radix_sort_onesweep_sort_config_static_selectorELNS0_4arch9wavefront6targetE1EEEvSK_
	.globl	_ZN7rocprim17ROCPRIM_400000_NS6detail17trampoline_kernelINS0_14default_configENS1_35radix_sort_onesweep_config_selectorIxNS0_10empty_typeEEEZZNS1_29radix_sort_onesweep_iterationIS3_Lb0EN6thrust23THRUST_200600_302600_NS6detail15normal_iteratorINS9_10device_ptrIxEEEESE_PS5_SF_jNS0_19identity_decomposerENS1_16block_id_wrapperIjLb0EEEEE10hipError_tT1_PNSt15iterator_traitsISK_E10value_typeET2_T3_PNSL_ISQ_E10value_typeET4_T5_PSV_SW_PNS1_23onesweep_lookback_stateEbbT6_jjT7_P12ihipStream_tbENKUlT_T0_SK_SP_E_clISE_PxSF_SF_EEDaS13_S14_SK_SP_EUlS13_E_NS1_11comp_targetILNS1_3genE8ELNS1_11target_archE1030ELNS1_3gpuE2ELNS1_3repE0EEENS1_47radix_sort_onesweep_sort_config_static_selectorELNS0_4arch9wavefront6targetE1EEEvSK_
	.p2align	8
	.type	_ZN7rocprim17ROCPRIM_400000_NS6detail17trampoline_kernelINS0_14default_configENS1_35radix_sort_onesweep_config_selectorIxNS0_10empty_typeEEEZZNS1_29radix_sort_onesweep_iterationIS3_Lb0EN6thrust23THRUST_200600_302600_NS6detail15normal_iteratorINS9_10device_ptrIxEEEESE_PS5_SF_jNS0_19identity_decomposerENS1_16block_id_wrapperIjLb0EEEEE10hipError_tT1_PNSt15iterator_traitsISK_E10value_typeET2_T3_PNSL_ISQ_E10value_typeET4_T5_PSV_SW_PNS1_23onesweep_lookback_stateEbbT6_jjT7_P12ihipStream_tbENKUlT_T0_SK_SP_E_clISE_PxSF_SF_EEDaS13_S14_SK_SP_EUlS13_E_NS1_11comp_targetILNS1_3genE8ELNS1_11target_archE1030ELNS1_3gpuE2ELNS1_3repE0EEENS1_47radix_sort_onesweep_sort_config_static_selectorELNS0_4arch9wavefront6targetE1EEEvSK_,@function
_ZN7rocprim17ROCPRIM_400000_NS6detail17trampoline_kernelINS0_14default_configENS1_35radix_sort_onesweep_config_selectorIxNS0_10empty_typeEEEZZNS1_29radix_sort_onesweep_iterationIS3_Lb0EN6thrust23THRUST_200600_302600_NS6detail15normal_iteratorINS9_10device_ptrIxEEEESE_PS5_SF_jNS0_19identity_decomposerENS1_16block_id_wrapperIjLb0EEEEE10hipError_tT1_PNSt15iterator_traitsISK_E10value_typeET2_T3_PNSL_ISQ_E10value_typeET4_T5_PSV_SW_PNS1_23onesweep_lookback_stateEbbT6_jjT7_P12ihipStream_tbENKUlT_T0_SK_SP_E_clISE_PxSF_SF_EEDaS13_S14_SK_SP_EUlS13_E_NS1_11comp_targetILNS1_3genE8ELNS1_11target_archE1030ELNS1_3gpuE2ELNS1_3repE0EEENS1_47radix_sort_onesweep_sort_config_static_selectorELNS0_4arch9wavefront6targetE1EEEvSK_: ; @_ZN7rocprim17ROCPRIM_400000_NS6detail17trampoline_kernelINS0_14default_configENS1_35radix_sort_onesweep_config_selectorIxNS0_10empty_typeEEEZZNS1_29radix_sort_onesweep_iterationIS3_Lb0EN6thrust23THRUST_200600_302600_NS6detail15normal_iteratorINS9_10device_ptrIxEEEESE_PS5_SF_jNS0_19identity_decomposerENS1_16block_id_wrapperIjLb0EEEEE10hipError_tT1_PNSt15iterator_traitsISK_E10value_typeET2_T3_PNSL_ISQ_E10value_typeET4_T5_PSV_SW_PNS1_23onesweep_lookback_stateEbbT6_jjT7_P12ihipStream_tbENKUlT_T0_SK_SP_E_clISE_PxSF_SF_EEDaS13_S14_SK_SP_EUlS13_E_NS1_11comp_targetILNS1_3genE8ELNS1_11target_archE1030ELNS1_3gpuE2ELNS1_3repE0EEENS1_47radix_sort_onesweep_sort_config_static_selectorELNS0_4arch9wavefront6targetE1EEEvSK_
; %bb.0:
	.section	.rodata,"a",@progbits
	.p2align	6, 0x0
	.amdhsa_kernel _ZN7rocprim17ROCPRIM_400000_NS6detail17trampoline_kernelINS0_14default_configENS1_35radix_sort_onesweep_config_selectorIxNS0_10empty_typeEEEZZNS1_29radix_sort_onesweep_iterationIS3_Lb0EN6thrust23THRUST_200600_302600_NS6detail15normal_iteratorINS9_10device_ptrIxEEEESE_PS5_SF_jNS0_19identity_decomposerENS1_16block_id_wrapperIjLb0EEEEE10hipError_tT1_PNSt15iterator_traitsISK_E10value_typeET2_T3_PNSL_ISQ_E10value_typeET4_T5_PSV_SW_PNS1_23onesweep_lookback_stateEbbT6_jjT7_P12ihipStream_tbENKUlT_T0_SK_SP_E_clISE_PxSF_SF_EEDaS13_S14_SK_SP_EUlS13_E_NS1_11comp_targetILNS1_3genE8ELNS1_11target_archE1030ELNS1_3gpuE2ELNS1_3repE0EEENS1_47radix_sort_onesweep_sort_config_static_selectorELNS0_4arch9wavefront6targetE1EEEvSK_
		.amdhsa_group_segment_fixed_size 0
		.amdhsa_private_segment_fixed_size 0
		.amdhsa_kernarg_size 88
		.amdhsa_user_sgpr_count 2
		.amdhsa_user_sgpr_dispatch_ptr 0
		.amdhsa_user_sgpr_queue_ptr 0
		.amdhsa_user_sgpr_kernarg_segment_ptr 1
		.amdhsa_user_sgpr_dispatch_id 0
		.amdhsa_user_sgpr_kernarg_preload_length 0
		.amdhsa_user_sgpr_kernarg_preload_offset 0
		.amdhsa_user_sgpr_private_segment_size 0
		.amdhsa_uses_dynamic_stack 0
		.amdhsa_enable_private_segment 0
		.amdhsa_system_sgpr_workgroup_id_x 1
		.amdhsa_system_sgpr_workgroup_id_y 0
		.amdhsa_system_sgpr_workgroup_id_z 0
		.amdhsa_system_sgpr_workgroup_info 0
		.amdhsa_system_vgpr_workitem_id 0
		.amdhsa_next_free_vgpr 1
		.amdhsa_next_free_sgpr 0
		.amdhsa_accum_offset 4
		.amdhsa_reserve_vcc 0
		.amdhsa_float_round_mode_32 0
		.amdhsa_float_round_mode_16_64 0
		.amdhsa_float_denorm_mode_32 3
		.amdhsa_float_denorm_mode_16_64 3
		.amdhsa_dx10_clamp 1
		.amdhsa_ieee_mode 1
		.amdhsa_fp16_overflow 0
		.amdhsa_tg_split 0
		.amdhsa_exception_fp_ieee_invalid_op 0
		.amdhsa_exception_fp_denorm_src 0
		.amdhsa_exception_fp_ieee_div_zero 0
		.amdhsa_exception_fp_ieee_overflow 0
		.amdhsa_exception_fp_ieee_underflow 0
		.amdhsa_exception_fp_ieee_inexact 0
		.amdhsa_exception_int_div_zero 0
	.end_amdhsa_kernel
	.section	.text._ZN7rocprim17ROCPRIM_400000_NS6detail17trampoline_kernelINS0_14default_configENS1_35radix_sort_onesweep_config_selectorIxNS0_10empty_typeEEEZZNS1_29radix_sort_onesweep_iterationIS3_Lb0EN6thrust23THRUST_200600_302600_NS6detail15normal_iteratorINS9_10device_ptrIxEEEESE_PS5_SF_jNS0_19identity_decomposerENS1_16block_id_wrapperIjLb0EEEEE10hipError_tT1_PNSt15iterator_traitsISK_E10value_typeET2_T3_PNSL_ISQ_E10value_typeET4_T5_PSV_SW_PNS1_23onesweep_lookback_stateEbbT6_jjT7_P12ihipStream_tbENKUlT_T0_SK_SP_E_clISE_PxSF_SF_EEDaS13_S14_SK_SP_EUlS13_E_NS1_11comp_targetILNS1_3genE8ELNS1_11target_archE1030ELNS1_3gpuE2ELNS1_3repE0EEENS1_47radix_sort_onesweep_sort_config_static_selectorELNS0_4arch9wavefront6targetE1EEEvSK_,"axG",@progbits,_ZN7rocprim17ROCPRIM_400000_NS6detail17trampoline_kernelINS0_14default_configENS1_35radix_sort_onesweep_config_selectorIxNS0_10empty_typeEEEZZNS1_29radix_sort_onesweep_iterationIS3_Lb0EN6thrust23THRUST_200600_302600_NS6detail15normal_iteratorINS9_10device_ptrIxEEEESE_PS5_SF_jNS0_19identity_decomposerENS1_16block_id_wrapperIjLb0EEEEE10hipError_tT1_PNSt15iterator_traitsISK_E10value_typeET2_T3_PNSL_ISQ_E10value_typeET4_T5_PSV_SW_PNS1_23onesweep_lookback_stateEbbT6_jjT7_P12ihipStream_tbENKUlT_T0_SK_SP_E_clISE_PxSF_SF_EEDaS13_S14_SK_SP_EUlS13_E_NS1_11comp_targetILNS1_3genE8ELNS1_11target_archE1030ELNS1_3gpuE2ELNS1_3repE0EEENS1_47radix_sort_onesweep_sort_config_static_selectorELNS0_4arch9wavefront6targetE1EEEvSK_,comdat
.Lfunc_end1586:
	.size	_ZN7rocprim17ROCPRIM_400000_NS6detail17trampoline_kernelINS0_14default_configENS1_35radix_sort_onesweep_config_selectorIxNS0_10empty_typeEEEZZNS1_29radix_sort_onesweep_iterationIS3_Lb0EN6thrust23THRUST_200600_302600_NS6detail15normal_iteratorINS9_10device_ptrIxEEEESE_PS5_SF_jNS0_19identity_decomposerENS1_16block_id_wrapperIjLb0EEEEE10hipError_tT1_PNSt15iterator_traitsISK_E10value_typeET2_T3_PNSL_ISQ_E10value_typeET4_T5_PSV_SW_PNS1_23onesweep_lookback_stateEbbT6_jjT7_P12ihipStream_tbENKUlT_T0_SK_SP_E_clISE_PxSF_SF_EEDaS13_S14_SK_SP_EUlS13_E_NS1_11comp_targetILNS1_3genE8ELNS1_11target_archE1030ELNS1_3gpuE2ELNS1_3repE0EEENS1_47radix_sort_onesweep_sort_config_static_selectorELNS0_4arch9wavefront6targetE1EEEvSK_, .Lfunc_end1586-_ZN7rocprim17ROCPRIM_400000_NS6detail17trampoline_kernelINS0_14default_configENS1_35radix_sort_onesweep_config_selectorIxNS0_10empty_typeEEEZZNS1_29radix_sort_onesweep_iterationIS3_Lb0EN6thrust23THRUST_200600_302600_NS6detail15normal_iteratorINS9_10device_ptrIxEEEESE_PS5_SF_jNS0_19identity_decomposerENS1_16block_id_wrapperIjLb0EEEEE10hipError_tT1_PNSt15iterator_traitsISK_E10value_typeET2_T3_PNSL_ISQ_E10value_typeET4_T5_PSV_SW_PNS1_23onesweep_lookback_stateEbbT6_jjT7_P12ihipStream_tbENKUlT_T0_SK_SP_E_clISE_PxSF_SF_EEDaS13_S14_SK_SP_EUlS13_E_NS1_11comp_targetILNS1_3genE8ELNS1_11target_archE1030ELNS1_3gpuE2ELNS1_3repE0EEENS1_47radix_sort_onesweep_sort_config_static_selectorELNS0_4arch9wavefront6targetE1EEEvSK_
                                        ; -- End function
	.section	.AMDGPU.csdata,"",@progbits
; Kernel info:
; codeLenInByte = 0
; NumSgprs: 6
; NumVgprs: 0
; NumAgprs: 0
; TotalNumVgprs: 0
; ScratchSize: 0
; MemoryBound: 0
; FloatMode: 240
; IeeeMode: 1
; LDSByteSize: 0 bytes/workgroup (compile time only)
; SGPRBlocks: 0
; VGPRBlocks: 0
; NumSGPRsForWavesPerEU: 6
; NumVGPRsForWavesPerEU: 1
; AccumOffset: 4
; Occupancy: 8
; WaveLimiterHint : 0
; COMPUTE_PGM_RSRC2:SCRATCH_EN: 0
; COMPUTE_PGM_RSRC2:USER_SGPR: 2
; COMPUTE_PGM_RSRC2:TRAP_HANDLER: 0
; COMPUTE_PGM_RSRC2:TGID_X_EN: 1
; COMPUTE_PGM_RSRC2:TGID_Y_EN: 0
; COMPUTE_PGM_RSRC2:TGID_Z_EN: 0
; COMPUTE_PGM_RSRC2:TIDIG_COMP_CNT: 0
; COMPUTE_PGM_RSRC3_GFX90A:ACCUM_OFFSET: 0
; COMPUTE_PGM_RSRC3_GFX90A:TG_SPLIT: 0
	.section	.text._ZN7rocprim17ROCPRIM_400000_NS6detail17trampoline_kernelINS0_14default_configENS1_35radix_sort_onesweep_config_selectorIxNS0_10empty_typeEEEZZNS1_29radix_sort_onesweep_iterationIS3_Lb0EN6thrust23THRUST_200600_302600_NS6detail15normal_iteratorINS9_10device_ptrIxEEEESE_PS5_SF_jNS0_19identity_decomposerENS1_16block_id_wrapperIjLb0EEEEE10hipError_tT1_PNSt15iterator_traitsISK_E10value_typeET2_T3_PNSL_ISQ_E10value_typeET4_T5_PSV_SW_PNS1_23onesweep_lookback_stateEbbT6_jjT7_P12ihipStream_tbENKUlT_T0_SK_SP_E_clIPxSE_SF_SF_EEDaS13_S14_SK_SP_EUlS13_E_NS1_11comp_targetILNS1_3genE0ELNS1_11target_archE4294967295ELNS1_3gpuE0ELNS1_3repE0EEENS1_47radix_sort_onesweep_sort_config_static_selectorELNS0_4arch9wavefront6targetE1EEEvSK_,"axG",@progbits,_ZN7rocprim17ROCPRIM_400000_NS6detail17trampoline_kernelINS0_14default_configENS1_35radix_sort_onesweep_config_selectorIxNS0_10empty_typeEEEZZNS1_29radix_sort_onesweep_iterationIS3_Lb0EN6thrust23THRUST_200600_302600_NS6detail15normal_iteratorINS9_10device_ptrIxEEEESE_PS5_SF_jNS0_19identity_decomposerENS1_16block_id_wrapperIjLb0EEEEE10hipError_tT1_PNSt15iterator_traitsISK_E10value_typeET2_T3_PNSL_ISQ_E10value_typeET4_T5_PSV_SW_PNS1_23onesweep_lookback_stateEbbT6_jjT7_P12ihipStream_tbENKUlT_T0_SK_SP_E_clIPxSE_SF_SF_EEDaS13_S14_SK_SP_EUlS13_E_NS1_11comp_targetILNS1_3genE0ELNS1_11target_archE4294967295ELNS1_3gpuE0ELNS1_3repE0EEENS1_47radix_sort_onesweep_sort_config_static_selectorELNS0_4arch9wavefront6targetE1EEEvSK_,comdat
	.protected	_ZN7rocprim17ROCPRIM_400000_NS6detail17trampoline_kernelINS0_14default_configENS1_35radix_sort_onesweep_config_selectorIxNS0_10empty_typeEEEZZNS1_29radix_sort_onesweep_iterationIS3_Lb0EN6thrust23THRUST_200600_302600_NS6detail15normal_iteratorINS9_10device_ptrIxEEEESE_PS5_SF_jNS0_19identity_decomposerENS1_16block_id_wrapperIjLb0EEEEE10hipError_tT1_PNSt15iterator_traitsISK_E10value_typeET2_T3_PNSL_ISQ_E10value_typeET4_T5_PSV_SW_PNS1_23onesweep_lookback_stateEbbT6_jjT7_P12ihipStream_tbENKUlT_T0_SK_SP_E_clIPxSE_SF_SF_EEDaS13_S14_SK_SP_EUlS13_E_NS1_11comp_targetILNS1_3genE0ELNS1_11target_archE4294967295ELNS1_3gpuE0ELNS1_3repE0EEENS1_47radix_sort_onesweep_sort_config_static_selectorELNS0_4arch9wavefront6targetE1EEEvSK_ ; -- Begin function _ZN7rocprim17ROCPRIM_400000_NS6detail17trampoline_kernelINS0_14default_configENS1_35radix_sort_onesweep_config_selectorIxNS0_10empty_typeEEEZZNS1_29radix_sort_onesweep_iterationIS3_Lb0EN6thrust23THRUST_200600_302600_NS6detail15normal_iteratorINS9_10device_ptrIxEEEESE_PS5_SF_jNS0_19identity_decomposerENS1_16block_id_wrapperIjLb0EEEEE10hipError_tT1_PNSt15iterator_traitsISK_E10value_typeET2_T3_PNSL_ISQ_E10value_typeET4_T5_PSV_SW_PNS1_23onesweep_lookback_stateEbbT6_jjT7_P12ihipStream_tbENKUlT_T0_SK_SP_E_clIPxSE_SF_SF_EEDaS13_S14_SK_SP_EUlS13_E_NS1_11comp_targetILNS1_3genE0ELNS1_11target_archE4294967295ELNS1_3gpuE0ELNS1_3repE0EEENS1_47radix_sort_onesweep_sort_config_static_selectorELNS0_4arch9wavefront6targetE1EEEvSK_
	.globl	_ZN7rocprim17ROCPRIM_400000_NS6detail17trampoline_kernelINS0_14default_configENS1_35radix_sort_onesweep_config_selectorIxNS0_10empty_typeEEEZZNS1_29radix_sort_onesweep_iterationIS3_Lb0EN6thrust23THRUST_200600_302600_NS6detail15normal_iteratorINS9_10device_ptrIxEEEESE_PS5_SF_jNS0_19identity_decomposerENS1_16block_id_wrapperIjLb0EEEEE10hipError_tT1_PNSt15iterator_traitsISK_E10value_typeET2_T3_PNSL_ISQ_E10value_typeET4_T5_PSV_SW_PNS1_23onesweep_lookback_stateEbbT6_jjT7_P12ihipStream_tbENKUlT_T0_SK_SP_E_clIPxSE_SF_SF_EEDaS13_S14_SK_SP_EUlS13_E_NS1_11comp_targetILNS1_3genE0ELNS1_11target_archE4294967295ELNS1_3gpuE0ELNS1_3repE0EEENS1_47radix_sort_onesweep_sort_config_static_selectorELNS0_4arch9wavefront6targetE1EEEvSK_
	.p2align	8
	.type	_ZN7rocprim17ROCPRIM_400000_NS6detail17trampoline_kernelINS0_14default_configENS1_35radix_sort_onesweep_config_selectorIxNS0_10empty_typeEEEZZNS1_29radix_sort_onesweep_iterationIS3_Lb0EN6thrust23THRUST_200600_302600_NS6detail15normal_iteratorINS9_10device_ptrIxEEEESE_PS5_SF_jNS0_19identity_decomposerENS1_16block_id_wrapperIjLb0EEEEE10hipError_tT1_PNSt15iterator_traitsISK_E10value_typeET2_T3_PNSL_ISQ_E10value_typeET4_T5_PSV_SW_PNS1_23onesweep_lookback_stateEbbT6_jjT7_P12ihipStream_tbENKUlT_T0_SK_SP_E_clIPxSE_SF_SF_EEDaS13_S14_SK_SP_EUlS13_E_NS1_11comp_targetILNS1_3genE0ELNS1_11target_archE4294967295ELNS1_3gpuE0ELNS1_3repE0EEENS1_47radix_sort_onesweep_sort_config_static_selectorELNS0_4arch9wavefront6targetE1EEEvSK_,@function
_ZN7rocprim17ROCPRIM_400000_NS6detail17trampoline_kernelINS0_14default_configENS1_35radix_sort_onesweep_config_selectorIxNS0_10empty_typeEEEZZNS1_29radix_sort_onesweep_iterationIS3_Lb0EN6thrust23THRUST_200600_302600_NS6detail15normal_iteratorINS9_10device_ptrIxEEEESE_PS5_SF_jNS0_19identity_decomposerENS1_16block_id_wrapperIjLb0EEEEE10hipError_tT1_PNSt15iterator_traitsISK_E10value_typeET2_T3_PNSL_ISQ_E10value_typeET4_T5_PSV_SW_PNS1_23onesweep_lookback_stateEbbT6_jjT7_P12ihipStream_tbENKUlT_T0_SK_SP_E_clIPxSE_SF_SF_EEDaS13_S14_SK_SP_EUlS13_E_NS1_11comp_targetILNS1_3genE0ELNS1_11target_archE4294967295ELNS1_3gpuE0ELNS1_3repE0EEENS1_47radix_sort_onesweep_sort_config_static_selectorELNS0_4arch9wavefront6targetE1EEEvSK_: ; @_ZN7rocprim17ROCPRIM_400000_NS6detail17trampoline_kernelINS0_14default_configENS1_35radix_sort_onesweep_config_selectorIxNS0_10empty_typeEEEZZNS1_29radix_sort_onesweep_iterationIS3_Lb0EN6thrust23THRUST_200600_302600_NS6detail15normal_iteratorINS9_10device_ptrIxEEEESE_PS5_SF_jNS0_19identity_decomposerENS1_16block_id_wrapperIjLb0EEEEE10hipError_tT1_PNSt15iterator_traitsISK_E10value_typeET2_T3_PNSL_ISQ_E10value_typeET4_T5_PSV_SW_PNS1_23onesweep_lookback_stateEbbT6_jjT7_P12ihipStream_tbENKUlT_T0_SK_SP_E_clIPxSE_SF_SF_EEDaS13_S14_SK_SP_EUlS13_E_NS1_11comp_targetILNS1_3genE0ELNS1_11target_archE4294967295ELNS1_3gpuE0ELNS1_3repE0EEENS1_47radix_sort_onesweep_sort_config_static_selectorELNS0_4arch9wavefront6targetE1EEEvSK_
; %bb.0:
	.section	.rodata,"a",@progbits
	.p2align	6, 0x0
	.amdhsa_kernel _ZN7rocprim17ROCPRIM_400000_NS6detail17trampoline_kernelINS0_14default_configENS1_35radix_sort_onesweep_config_selectorIxNS0_10empty_typeEEEZZNS1_29radix_sort_onesweep_iterationIS3_Lb0EN6thrust23THRUST_200600_302600_NS6detail15normal_iteratorINS9_10device_ptrIxEEEESE_PS5_SF_jNS0_19identity_decomposerENS1_16block_id_wrapperIjLb0EEEEE10hipError_tT1_PNSt15iterator_traitsISK_E10value_typeET2_T3_PNSL_ISQ_E10value_typeET4_T5_PSV_SW_PNS1_23onesweep_lookback_stateEbbT6_jjT7_P12ihipStream_tbENKUlT_T0_SK_SP_E_clIPxSE_SF_SF_EEDaS13_S14_SK_SP_EUlS13_E_NS1_11comp_targetILNS1_3genE0ELNS1_11target_archE4294967295ELNS1_3gpuE0ELNS1_3repE0EEENS1_47radix_sort_onesweep_sort_config_static_selectorELNS0_4arch9wavefront6targetE1EEEvSK_
		.amdhsa_group_segment_fixed_size 0
		.amdhsa_private_segment_fixed_size 0
		.amdhsa_kernarg_size 88
		.amdhsa_user_sgpr_count 2
		.amdhsa_user_sgpr_dispatch_ptr 0
		.amdhsa_user_sgpr_queue_ptr 0
		.amdhsa_user_sgpr_kernarg_segment_ptr 1
		.amdhsa_user_sgpr_dispatch_id 0
		.amdhsa_user_sgpr_kernarg_preload_length 0
		.amdhsa_user_sgpr_kernarg_preload_offset 0
		.amdhsa_user_sgpr_private_segment_size 0
		.amdhsa_uses_dynamic_stack 0
		.amdhsa_enable_private_segment 0
		.amdhsa_system_sgpr_workgroup_id_x 1
		.amdhsa_system_sgpr_workgroup_id_y 0
		.amdhsa_system_sgpr_workgroup_id_z 0
		.amdhsa_system_sgpr_workgroup_info 0
		.amdhsa_system_vgpr_workitem_id 0
		.amdhsa_next_free_vgpr 1
		.amdhsa_next_free_sgpr 0
		.amdhsa_accum_offset 4
		.amdhsa_reserve_vcc 0
		.amdhsa_float_round_mode_32 0
		.amdhsa_float_round_mode_16_64 0
		.amdhsa_float_denorm_mode_32 3
		.amdhsa_float_denorm_mode_16_64 3
		.amdhsa_dx10_clamp 1
		.amdhsa_ieee_mode 1
		.amdhsa_fp16_overflow 0
		.amdhsa_tg_split 0
		.amdhsa_exception_fp_ieee_invalid_op 0
		.amdhsa_exception_fp_denorm_src 0
		.amdhsa_exception_fp_ieee_div_zero 0
		.amdhsa_exception_fp_ieee_overflow 0
		.amdhsa_exception_fp_ieee_underflow 0
		.amdhsa_exception_fp_ieee_inexact 0
		.amdhsa_exception_int_div_zero 0
	.end_amdhsa_kernel
	.section	.text._ZN7rocprim17ROCPRIM_400000_NS6detail17trampoline_kernelINS0_14default_configENS1_35radix_sort_onesweep_config_selectorIxNS0_10empty_typeEEEZZNS1_29radix_sort_onesweep_iterationIS3_Lb0EN6thrust23THRUST_200600_302600_NS6detail15normal_iteratorINS9_10device_ptrIxEEEESE_PS5_SF_jNS0_19identity_decomposerENS1_16block_id_wrapperIjLb0EEEEE10hipError_tT1_PNSt15iterator_traitsISK_E10value_typeET2_T3_PNSL_ISQ_E10value_typeET4_T5_PSV_SW_PNS1_23onesweep_lookback_stateEbbT6_jjT7_P12ihipStream_tbENKUlT_T0_SK_SP_E_clIPxSE_SF_SF_EEDaS13_S14_SK_SP_EUlS13_E_NS1_11comp_targetILNS1_3genE0ELNS1_11target_archE4294967295ELNS1_3gpuE0ELNS1_3repE0EEENS1_47radix_sort_onesweep_sort_config_static_selectorELNS0_4arch9wavefront6targetE1EEEvSK_,"axG",@progbits,_ZN7rocprim17ROCPRIM_400000_NS6detail17trampoline_kernelINS0_14default_configENS1_35radix_sort_onesweep_config_selectorIxNS0_10empty_typeEEEZZNS1_29radix_sort_onesweep_iterationIS3_Lb0EN6thrust23THRUST_200600_302600_NS6detail15normal_iteratorINS9_10device_ptrIxEEEESE_PS5_SF_jNS0_19identity_decomposerENS1_16block_id_wrapperIjLb0EEEEE10hipError_tT1_PNSt15iterator_traitsISK_E10value_typeET2_T3_PNSL_ISQ_E10value_typeET4_T5_PSV_SW_PNS1_23onesweep_lookback_stateEbbT6_jjT7_P12ihipStream_tbENKUlT_T0_SK_SP_E_clIPxSE_SF_SF_EEDaS13_S14_SK_SP_EUlS13_E_NS1_11comp_targetILNS1_3genE0ELNS1_11target_archE4294967295ELNS1_3gpuE0ELNS1_3repE0EEENS1_47radix_sort_onesweep_sort_config_static_selectorELNS0_4arch9wavefront6targetE1EEEvSK_,comdat
.Lfunc_end1587:
	.size	_ZN7rocprim17ROCPRIM_400000_NS6detail17trampoline_kernelINS0_14default_configENS1_35radix_sort_onesweep_config_selectorIxNS0_10empty_typeEEEZZNS1_29radix_sort_onesweep_iterationIS3_Lb0EN6thrust23THRUST_200600_302600_NS6detail15normal_iteratorINS9_10device_ptrIxEEEESE_PS5_SF_jNS0_19identity_decomposerENS1_16block_id_wrapperIjLb0EEEEE10hipError_tT1_PNSt15iterator_traitsISK_E10value_typeET2_T3_PNSL_ISQ_E10value_typeET4_T5_PSV_SW_PNS1_23onesweep_lookback_stateEbbT6_jjT7_P12ihipStream_tbENKUlT_T0_SK_SP_E_clIPxSE_SF_SF_EEDaS13_S14_SK_SP_EUlS13_E_NS1_11comp_targetILNS1_3genE0ELNS1_11target_archE4294967295ELNS1_3gpuE0ELNS1_3repE0EEENS1_47radix_sort_onesweep_sort_config_static_selectorELNS0_4arch9wavefront6targetE1EEEvSK_, .Lfunc_end1587-_ZN7rocprim17ROCPRIM_400000_NS6detail17trampoline_kernelINS0_14default_configENS1_35radix_sort_onesweep_config_selectorIxNS0_10empty_typeEEEZZNS1_29radix_sort_onesweep_iterationIS3_Lb0EN6thrust23THRUST_200600_302600_NS6detail15normal_iteratorINS9_10device_ptrIxEEEESE_PS5_SF_jNS0_19identity_decomposerENS1_16block_id_wrapperIjLb0EEEEE10hipError_tT1_PNSt15iterator_traitsISK_E10value_typeET2_T3_PNSL_ISQ_E10value_typeET4_T5_PSV_SW_PNS1_23onesweep_lookback_stateEbbT6_jjT7_P12ihipStream_tbENKUlT_T0_SK_SP_E_clIPxSE_SF_SF_EEDaS13_S14_SK_SP_EUlS13_E_NS1_11comp_targetILNS1_3genE0ELNS1_11target_archE4294967295ELNS1_3gpuE0ELNS1_3repE0EEENS1_47radix_sort_onesweep_sort_config_static_selectorELNS0_4arch9wavefront6targetE1EEEvSK_
                                        ; -- End function
	.section	.AMDGPU.csdata,"",@progbits
; Kernel info:
; codeLenInByte = 0
; NumSgprs: 6
; NumVgprs: 0
; NumAgprs: 0
; TotalNumVgprs: 0
; ScratchSize: 0
; MemoryBound: 0
; FloatMode: 240
; IeeeMode: 1
; LDSByteSize: 0 bytes/workgroup (compile time only)
; SGPRBlocks: 0
; VGPRBlocks: 0
; NumSGPRsForWavesPerEU: 6
; NumVGPRsForWavesPerEU: 1
; AccumOffset: 4
; Occupancy: 8
; WaveLimiterHint : 0
; COMPUTE_PGM_RSRC2:SCRATCH_EN: 0
; COMPUTE_PGM_RSRC2:USER_SGPR: 2
; COMPUTE_PGM_RSRC2:TRAP_HANDLER: 0
; COMPUTE_PGM_RSRC2:TGID_X_EN: 1
; COMPUTE_PGM_RSRC2:TGID_Y_EN: 0
; COMPUTE_PGM_RSRC2:TGID_Z_EN: 0
; COMPUTE_PGM_RSRC2:TIDIG_COMP_CNT: 0
; COMPUTE_PGM_RSRC3_GFX90A:ACCUM_OFFSET: 0
; COMPUTE_PGM_RSRC3_GFX90A:TG_SPLIT: 0
	.section	.text._ZN7rocprim17ROCPRIM_400000_NS6detail17trampoline_kernelINS0_14default_configENS1_35radix_sort_onesweep_config_selectorIxNS0_10empty_typeEEEZZNS1_29radix_sort_onesweep_iterationIS3_Lb0EN6thrust23THRUST_200600_302600_NS6detail15normal_iteratorINS9_10device_ptrIxEEEESE_PS5_SF_jNS0_19identity_decomposerENS1_16block_id_wrapperIjLb0EEEEE10hipError_tT1_PNSt15iterator_traitsISK_E10value_typeET2_T3_PNSL_ISQ_E10value_typeET4_T5_PSV_SW_PNS1_23onesweep_lookback_stateEbbT6_jjT7_P12ihipStream_tbENKUlT_T0_SK_SP_E_clIPxSE_SF_SF_EEDaS13_S14_SK_SP_EUlS13_E_NS1_11comp_targetILNS1_3genE6ELNS1_11target_archE950ELNS1_3gpuE13ELNS1_3repE0EEENS1_47radix_sort_onesweep_sort_config_static_selectorELNS0_4arch9wavefront6targetE1EEEvSK_,"axG",@progbits,_ZN7rocprim17ROCPRIM_400000_NS6detail17trampoline_kernelINS0_14default_configENS1_35radix_sort_onesweep_config_selectorIxNS0_10empty_typeEEEZZNS1_29radix_sort_onesweep_iterationIS3_Lb0EN6thrust23THRUST_200600_302600_NS6detail15normal_iteratorINS9_10device_ptrIxEEEESE_PS5_SF_jNS0_19identity_decomposerENS1_16block_id_wrapperIjLb0EEEEE10hipError_tT1_PNSt15iterator_traitsISK_E10value_typeET2_T3_PNSL_ISQ_E10value_typeET4_T5_PSV_SW_PNS1_23onesweep_lookback_stateEbbT6_jjT7_P12ihipStream_tbENKUlT_T0_SK_SP_E_clIPxSE_SF_SF_EEDaS13_S14_SK_SP_EUlS13_E_NS1_11comp_targetILNS1_3genE6ELNS1_11target_archE950ELNS1_3gpuE13ELNS1_3repE0EEENS1_47radix_sort_onesweep_sort_config_static_selectorELNS0_4arch9wavefront6targetE1EEEvSK_,comdat
	.protected	_ZN7rocprim17ROCPRIM_400000_NS6detail17trampoline_kernelINS0_14default_configENS1_35radix_sort_onesweep_config_selectorIxNS0_10empty_typeEEEZZNS1_29radix_sort_onesweep_iterationIS3_Lb0EN6thrust23THRUST_200600_302600_NS6detail15normal_iteratorINS9_10device_ptrIxEEEESE_PS5_SF_jNS0_19identity_decomposerENS1_16block_id_wrapperIjLb0EEEEE10hipError_tT1_PNSt15iterator_traitsISK_E10value_typeET2_T3_PNSL_ISQ_E10value_typeET4_T5_PSV_SW_PNS1_23onesweep_lookback_stateEbbT6_jjT7_P12ihipStream_tbENKUlT_T0_SK_SP_E_clIPxSE_SF_SF_EEDaS13_S14_SK_SP_EUlS13_E_NS1_11comp_targetILNS1_3genE6ELNS1_11target_archE950ELNS1_3gpuE13ELNS1_3repE0EEENS1_47radix_sort_onesweep_sort_config_static_selectorELNS0_4arch9wavefront6targetE1EEEvSK_ ; -- Begin function _ZN7rocprim17ROCPRIM_400000_NS6detail17trampoline_kernelINS0_14default_configENS1_35radix_sort_onesweep_config_selectorIxNS0_10empty_typeEEEZZNS1_29radix_sort_onesweep_iterationIS3_Lb0EN6thrust23THRUST_200600_302600_NS6detail15normal_iteratorINS9_10device_ptrIxEEEESE_PS5_SF_jNS0_19identity_decomposerENS1_16block_id_wrapperIjLb0EEEEE10hipError_tT1_PNSt15iterator_traitsISK_E10value_typeET2_T3_PNSL_ISQ_E10value_typeET4_T5_PSV_SW_PNS1_23onesweep_lookback_stateEbbT6_jjT7_P12ihipStream_tbENKUlT_T0_SK_SP_E_clIPxSE_SF_SF_EEDaS13_S14_SK_SP_EUlS13_E_NS1_11comp_targetILNS1_3genE6ELNS1_11target_archE950ELNS1_3gpuE13ELNS1_3repE0EEENS1_47radix_sort_onesweep_sort_config_static_selectorELNS0_4arch9wavefront6targetE1EEEvSK_
	.globl	_ZN7rocprim17ROCPRIM_400000_NS6detail17trampoline_kernelINS0_14default_configENS1_35radix_sort_onesweep_config_selectorIxNS0_10empty_typeEEEZZNS1_29radix_sort_onesweep_iterationIS3_Lb0EN6thrust23THRUST_200600_302600_NS6detail15normal_iteratorINS9_10device_ptrIxEEEESE_PS5_SF_jNS0_19identity_decomposerENS1_16block_id_wrapperIjLb0EEEEE10hipError_tT1_PNSt15iterator_traitsISK_E10value_typeET2_T3_PNSL_ISQ_E10value_typeET4_T5_PSV_SW_PNS1_23onesweep_lookback_stateEbbT6_jjT7_P12ihipStream_tbENKUlT_T0_SK_SP_E_clIPxSE_SF_SF_EEDaS13_S14_SK_SP_EUlS13_E_NS1_11comp_targetILNS1_3genE6ELNS1_11target_archE950ELNS1_3gpuE13ELNS1_3repE0EEENS1_47radix_sort_onesweep_sort_config_static_selectorELNS0_4arch9wavefront6targetE1EEEvSK_
	.p2align	8
	.type	_ZN7rocprim17ROCPRIM_400000_NS6detail17trampoline_kernelINS0_14default_configENS1_35radix_sort_onesweep_config_selectorIxNS0_10empty_typeEEEZZNS1_29radix_sort_onesweep_iterationIS3_Lb0EN6thrust23THRUST_200600_302600_NS6detail15normal_iteratorINS9_10device_ptrIxEEEESE_PS5_SF_jNS0_19identity_decomposerENS1_16block_id_wrapperIjLb0EEEEE10hipError_tT1_PNSt15iterator_traitsISK_E10value_typeET2_T3_PNSL_ISQ_E10value_typeET4_T5_PSV_SW_PNS1_23onesweep_lookback_stateEbbT6_jjT7_P12ihipStream_tbENKUlT_T0_SK_SP_E_clIPxSE_SF_SF_EEDaS13_S14_SK_SP_EUlS13_E_NS1_11comp_targetILNS1_3genE6ELNS1_11target_archE950ELNS1_3gpuE13ELNS1_3repE0EEENS1_47radix_sort_onesweep_sort_config_static_selectorELNS0_4arch9wavefront6targetE1EEEvSK_,@function
_ZN7rocprim17ROCPRIM_400000_NS6detail17trampoline_kernelINS0_14default_configENS1_35radix_sort_onesweep_config_selectorIxNS0_10empty_typeEEEZZNS1_29radix_sort_onesweep_iterationIS3_Lb0EN6thrust23THRUST_200600_302600_NS6detail15normal_iteratorINS9_10device_ptrIxEEEESE_PS5_SF_jNS0_19identity_decomposerENS1_16block_id_wrapperIjLb0EEEEE10hipError_tT1_PNSt15iterator_traitsISK_E10value_typeET2_T3_PNSL_ISQ_E10value_typeET4_T5_PSV_SW_PNS1_23onesweep_lookback_stateEbbT6_jjT7_P12ihipStream_tbENKUlT_T0_SK_SP_E_clIPxSE_SF_SF_EEDaS13_S14_SK_SP_EUlS13_E_NS1_11comp_targetILNS1_3genE6ELNS1_11target_archE950ELNS1_3gpuE13ELNS1_3repE0EEENS1_47radix_sort_onesweep_sort_config_static_selectorELNS0_4arch9wavefront6targetE1EEEvSK_: ; @_ZN7rocprim17ROCPRIM_400000_NS6detail17trampoline_kernelINS0_14default_configENS1_35radix_sort_onesweep_config_selectorIxNS0_10empty_typeEEEZZNS1_29radix_sort_onesweep_iterationIS3_Lb0EN6thrust23THRUST_200600_302600_NS6detail15normal_iteratorINS9_10device_ptrIxEEEESE_PS5_SF_jNS0_19identity_decomposerENS1_16block_id_wrapperIjLb0EEEEE10hipError_tT1_PNSt15iterator_traitsISK_E10value_typeET2_T3_PNSL_ISQ_E10value_typeET4_T5_PSV_SW_PNS1_23onesweep_lookback_stateEbbT6_jjT7_P12ihipStream_tbENKUlT_T0_SK_SP_E_clIPxSE_SF_SF_EEDaS13_S14_SK_SP_EUlS13_E_NS1_11comp_targetILNS1_3genE6ELNS1_11target_archE950ELNS1_3gpuE13ELNS1_3repE0EEENS1_47radix_sort_onesweep_sort_config_static_selectorELNS0_4arch9wavefront6targetE1EEEvSK_
; %bb.0:
	.section	.rodata,"a",@progbits
	.p2align	6, 0x0
	.amdhsa_kernel _ZN7rocprim17ROCPRIM_400000_NS6detail17trampoline_kernelINS0_14default_configENS1_35radix_sort_onesweep_config_selectorIxNS0_10empty_typeEEEZZNS1_29radix_sort_onesweep_iterationIS3_Lb0EN6thrust23THRUST_200600_302600_NS6detail15normal_iteratorINS9_10device_ptrIxEEEESE_PS5_SF_jNS0_19identity_decomposerENS1_16block_id_wrapperIjLb0EEEEE10hipError_tT1_PNSt15iterator_traitsISK_E10value_typeET2_T3_PNSL_ISQ_E10value_typeET4_T5_PSV_SW_PNS1_23onesweep_lookback_stateEbbT6_jjT7_P12ihipStream_tbENKUlT_T0_SK_SP_E_clIPxSE_SF_SF_EEDaS13_S14_SK_SP_EUlS13_E_NS1_11comp_targetILNS1_3genE6ELNS1_11target_archE950ELNS1_3gpuE13ELNS1_3repE0EEENS1_47radix_sort_onesweep_sort_config_static_selectorELNS0_4arch9wavefront6targetE1EEEvSK_
		.amdhsa_group_segment_fixed_size 0
		.amdhsa_private_segment_fixed_size 0
		.amdhsa_kernarg_size 88
		.amdhsa_user_sgpr_count 2
		.amdhsa_user_sgpr_dispatch_ptr 0
		.amdhsa_user_sgpr_queue_ptr 0
		.amdhsa_user_sgpr_kernarg_segment_ptr 1
		.amdhsa_user_sgpr_dispatch_id 0
		.amdhsa_user_sgpr_kernarg_preload_length 0
		.amdhsa_user_sgpr_kernarg_preload_offset 0
		.amdhsa_user_sgpr_private_segment_size 0
		.amdhsa_uses_dynamic_stack 0
		.amdhsa_enable_private_segment 0
		.amdhsa_system_sgpr_workgroup_id_x 1
		.amdhsa_system_sgpr_workgroup_id_y 0
		.amdhsa_system_sgpr_workgroup_id_z 0
		.amdhsa_system_sgpr_workgroup_info 0
		.amdhsa_system_vgpr_workitem_id 0
		.amdhsa_next_free_vgpr 1
		.amdhsa_next_free_sgpr 0
		.amdhsa_accum_offset 4
		.amdhsa_reserve_vcc 0
		.amdhsa_float_round_mode_32 0
		.amdhsa_float_round_mode_16_64 0
		.amdhsa_float_denorm_mode_32 3
		.amdhsa_float_denorm_mode_16_64 3
		.amdhsa_dx10_clamp 1
		.amdhsa_ieee_mode 1
		.amdhsa_fp16_overflow 0
		.amdhsa_tg_split 0
		.amdhsa_exception_fp_ieee_invalid_op 0
		.amdhsa_exception_fp_denorm_src 0
		.amdhsa_exception_fp_ieee_div_zero 0
		.amdhsa_exception_fp_ieee_overflow 0
		.amdhsa_exception_fp_ieee_underflow 0
		.amdhsa_exception_fp_ieee_inexact 0
		.amdhsa_exception_int_div_zero 0
	.end_amdhsa_kernel
	.section	.text._ZN7rocprim17ROCPRIM_400000_NS6detail17trampoline_kernelINS0_14default_configENS1_35radix_sort_onesweep_config_selectorIxNS0_10empty_typeEEEZZNS1_29radix_sort_onesweep_iterationIS3_Lb0EN6thrust23THRUST_200600_302600_NS6detail15normal_iteratorINS9_10device_ptrIxEEEESE_PS5_SF_jNS0_19identity_decomposerENS1_16block_id_wrapperIjLb0EEEEE10hipError_tT1_PNSt15iterator_traitsISK_E10value_typeET2_T3_PNSL_ISQ_E10value_typeET4_T5_PSV_SW_PNS1_23onesweep_lookback_stateEbbT6_jjT7_P12ihipStream_tbENKUlT_T0_SK_SP_E_clIPxSE_SF_SF_EEDaS13_S14_SK_SP_EUlS13_E_NS1_11comp_targetILNS1_3genE6ELNS1_11target_archE950ELNS1_3gpuE13ELNS1_3repE0EEENS1_47radix_sort_onesweep_sort_config_static_selectorELNS0_4arch9wavefront6targetE1EEEvSK_,"axG",@progbits,_ZN7rocprim17ROCPRIM_400000_NS6detail17trampoline_kernelINS0_14default_configENS1_35radix_sort_onesweep_config_selectorIxNS0_10empty_typeEEEZZNS1_29radix_sort_onesweep_iterationIS3_Lb0EN6thrust23THRUST_200600_302600_NS6detail15normal_iteratorINS9_10device_ptrIxEEEESE_PS5_SF_jNS0_19identity_decomposerENS1_16block_id_wrapperIjLb0EEEEE10hipError_tT1_PNSt15iterator_traitsISK_E10value_typeET2_T3_PNSL_ISQ_E10value_typeET4_T5_PSV_SW_PNS1_23onesweep_lookback_stateEbbT6_jjT7_P12ihipStream_tbENKUlT_T0_SK_SP_E_clIPxSE_SF_SF_EEDaS13_S14_SK_SP_EUlS13_E_NS1_11comp_targetILNS1_3genE6ELNS1_11target_archE950ELNS1_3gpuE13ELNS1_3repE0EEENS1_47radix_sort_onesweep_sort_config_static_selectorELNS0_4arch9wavefront6targetE1EEEvSK_,comdat
.Lfunc_end1588:
	.size	_ZN7rocprim17ROCPRIM_400000_NS6detail17trampoline_kernelINS0_14default_configENS1_35radix_sort_onesweep_config_selectorIxNS0_10empty_typeEEEZZNS1_29radix_sort_onesweep_iterationIS3_Lb0EN6thrust23THRUST_200600_302600_NS6detail15normal_iteratorINS9_10device_ptrIxEEEESE_PS5_SF_jNS0_19identity_decomposerENS1_16block_id_wrapperIjLb0EEEEE10hipError_tT1_PNSt15iterator_traitsISK_E10value_typeET2_T3_PNSL_ISQ_E10value_typeET4_T5_PSV_SW_PNS1_23onesweep_lookback_stateEbbT6_jjT7_P12ihipStream_tbENKUlT_T0_SK_SP_E_clIPxSE_SF_SF_EEDaS13_S14_SK_SP_EUlS13_E_NS1_11comp_targetILNS1_3genE6ELNS1_11target_archE950ELNS1_3gpuE13ELNS1_3repE0EEENS1_47radix_sort_onesweep_sort_config_static_selectorELNS0_4arch9wavefront6targetE1EEEvSK_, .Lfunc_end1588-_ZN7rocprim17ROCPRIM_400000_NS6detail17trampoline_kernelINS0_14default_configENS1_35radix_sort_onesweep_config_selectorIxNS0_10empty_typeEEEZZNS1_29radix_sort_onesweep_iterationIS3_Lb0EN6thrust23THRUST_200600_302600_NS6detail15normal_iteratorINS9_10device_ptrIxEEEESE_PS5_SF_jNS0_19identity_decomposerENS1_16block_id_wrapperIjLb0EEEEE10hipError_tT1_PNSt15iterator_traitsISK_E10value_typeET2_T3_PNSL_ISQ_E10value_typeET4_T5_PSV_SW_PNS1_23onesweep_lookback_stateEbbT6_jjT7_P12ihipStream_tbENKUlT_T0_SK_SP_E_clIPxSE_SF_SF_EEDaS13_S14_SK_SP_EUlS13_E_NS1_11comp_targetILNS1_3genE6ELNS1_11target_archE950ELNS1_3gpuE13ELNS1_3repE0EEENS1_47radix_sort_onesweep_sort_config_static_selectorELNS0_4arch9wavefront6targetE1EEEvSK_
                                        ; -- End function
	.section	.AMDGPU.csdata,"",@progbits
; Kernel info:
; codeLenInByte = 0
; NumSgprs: 6
; NumVgprs: 0
; NumAgprs: 0
; TotalNumVgprs: 0
; ScratchSize: 0
; MemoryBound: 0
; FloatMode: 240
; IeeeMode: 1
; LDSByteSize: 0 bytes/workgroup (compile time only)
; SGPRBlocks: 0
; VGPRBlocks: 0
; NumSGPRsForWavesPerEU: 6
; NumVGPRsForWavesPerEU: 1
; AccumOffset: 4
; Occupancy: 8
; WaveLimiterHint : 0
; COMPUTE_PGM_RSRC2:SCRATCH_EN: 0
; COMPUTE_PGM_RSRC2:USER_SGPR: 2
; COMPUTE_PGM_RSRC2:TRAP_HANDLER: 0
; COMPUTE_PGM_RSRC2:TGID_X_EN: 1
; COMPUTE_PGM_RSRC2:TGID_Y_EN: 0
; COMPUTE_PGM_RSRC2:TGID_Z_EN: 0
; COMPUTE_PGM_RSRC2:TIDIG_COMP_CNT: 0
; COMPUTE_PGM_RSRC3_GFX90A:ACCUM_OFFSET: 0
; COMPUTE_PGM_RSRC3_GFX90A:TG_SPLIT: 0
	.section	.text._ZN7rocprim17ROCPRIM_400000_NS6detail17trampoline_kernelINS0_14default_configENS1_35radix_sort_onesweep_config_selectorIxNS0_10empty_typeEEEZZNS1_29radix_sort_onesweep_iterationIS3_Lb0EN6thrust23THRUST_200600_302600_NS6detail15normal_iteratorINS9_10device_ptrIxEEEESE_PS5_SF_jNS0_19identity_decomposerENS1_16block_id_wrapperIjLb0EEEEE10hipError_tT1_PNSt15iterator_traitsISK_E10value_typeET2_T3_PNSL_ISQ_E10value_typeET4_T5_PSV_SW_PNS1_23onesweep_lookback_stateEbbT6_jjT7_P12ihipStream_tbENKUlT_T0_SK_SP_E_clIPxSE_SF_SF_EEDaS13_S14_SK_SP_EUlS13_E_NS1_11comp_targetILNS1_3genE5ELNS1_11target_archE942ELNS1_3gpuE9ELNS1_3repE0EEENS1_47radix_sort_onesweep_sort_config_static_selectorELNS0_4arch9wavefront6targetE1EEEvSK_,"axG",@progbits,_ZN7rocprim17ROCPRIM_400000_NS6detail17trampoline_kernelINS0_14default_configENS1_35radix_sort_onesweep_config_selectorIxNS0_10empty_typeEEEZZNS1_29radix_sort_onesweep_iterationIS3_Lb0EN6thrust23THRUST_200600_302600_NS6detail15normal_iteratorINS9_10device_ptrIxEEEESE_PS5_SF_jNS0_19identity_decomposerENS1_16block_id_wrapperIjLb0EEEEE10hipError_tT1_PNSt15iterator_traitsISK_E10value_typeET2_T3_PNSL_ISQ_E10value_typeET4_T5_PSV_SW_PNS1_23onesweep_lookback_stateEbbT6_jjT7_P12ihipStream_tbENKUlT_T0_SK_SP_E_clIPxSE_SF_SF_EEDaS13_S14_SK_SP_EUlS13_E_NS1_11comp_targetILNS1_3genE5ELNS1_11target_archE942ELNS1_3gpuE9ELNS1_3repE0EEENS1_47radix_sort_onesweep_sort_config_static_selectorELNS0_4arch9wavefront6targetE1EEEvSK_,comdat
	.protected	_ZN7rocprim17ROCPRIM_400000_NS6detail17trampoline_kernelINS0_14default_configENS1_35radix_sort_onesweep_config_selectorIxNS0_10empty_typeEEEZZNS1_29radix_sort_onesweep_iterationIS3_Lb0EN6thrust23THRUST_200600_302600_NS6detail15normal_iteratorINS9_10device_ptrIxEEEESE_PS5_SF_jNS0_19identity_decomposerENS1_16block_id_wrapperIjLb0EEEEE10hipError_tT1_PNSt15iterator_traitsISK_E10value_typeET2_T3_PNSL_ISQ_E10value_typeET4_T5_PSV_SW_PNS1_23onesweep_lookback_stateEbbT6_jjT7_P12ihipStream_tbENKUlT_T0_SK_SP_E_clIPxSE_SF_SF_EEDaS13_S14_SK_SP_EUlS13_E_NS1_11comp_targetILNS1_3genE5ELNS1_11target_archE942ELNS1_3gpuE9ELNS1_3repE0EEENS1_47radix_sort_onesweep_sort_config_static_selectorELNS0_4arch9wavefront6targetE1EEEvSK_ ; -- Begin function _ZN7rocprim17ROCPRIM_400000_NS6detail17trampoline_kernelINS0_14default_configENS1_35radix_sort_onesweep_config_selectorIxNS0_10empty_typeEEEZZNS1_29radix_sort_onesweep_iterationIS3_Lb0EN6thrust23THRUST_200600_302600_NS6detail15normal_iteratorINS9_10device_ptrIxEEEESE_PS5_SF_jNS0_19identity_decomposerENS1_16block_id_wrapperIjLb0EEEEE10hipError_tT1_PNSt15iterator_traitsISK_E10value_typeET2_T3_PNSL_ISQ_E10value_typeET4_T5_PSV_SW_PNS1_23onesweep_lookback_stateEbbT6_jjT7_P12ihipStream_tbENKUlT_T0_SK_SP_E_clIPxSE_SF_SF_EEDaS13_S14_SK_SP_EUlS13_E_NS1_11comp_targetILNS1_3genE5ELNS1_11target_archE942ELNS1_3gpuE9ELNS1_3repE0EEENS1_47radix_sort_onesweep_sort_config_static_selectorELNS0_4arch9wavefront6targetE1EEEvSK_
	.globl	_ZN7rocprim17ROCPRIM_400000_NS6detail17trampoline_kernelINS0_14default_configENS1_35radix_sort_onesweep_config_selectorIxNS0_10empty_typeEEEZZNS1_29radix_sort_onesweep_iterationIS3_Lb0EN6thrust23THRUST_200600_302600_NS6detail15normal_iteratorINS9_10device_ptrIxEEEESE_PS5_SF_jNS0_19identity_decomposerENS1_16block_id_wrapperIjLb0EEEEE10hipError_tT1_PNSt15iterator_traitsISK_E10value_typeET2_T3_PNSL_ISQ_E10value_typeET4_T5_PSV_SW_PNS1_23onesweep_lookback_stateEbbT6_jjT7_P12ihipStream_tbENKUlT_T0_SK_SP_E_clIPxSE_SF_SF_EEDaS13_S14_SK_SP_EUlS13_E_NS1_11comp_targetILNS1_3genE5ELNS1_11target_archE942ELNS1_3gpuE9ELNS1_3repE0EEENS1_47radix_sort_onesweep_sort_config_static_selectorELNS0_4arch9wavefront6targetE1EEEvSK_
	.p2align	8
	.type	_ZN7rocprim17ROCPRIM_400000_NS6detail17trampoline_kernelINS0_14default_configENS1_35radix_sort_onesweep_config_selectorIxNS0_10empty_typeEEEZZNS1_29radix_sort_onesweep_iterationIS3_Lb0EN6thrust23THRUST_200600_302600_NS6detail15normal_iteratorINS9_10device_ptrIxEEEESE_PS5_SF_jNS0_19identity_decomposerENS1_16block_id_wrapperIjLb0EEEEE10hipError_tT1_PNSt15iterator_traitsISK_E10value_typeET2_T3_PNSL_ISQ_E10value_typeET4_T5_PSV_SW_PNS1_23onesweep_lookback_stateEbbT6_jjT7_P12ihipStream_tbENKUlT_T0_SK_SP_E_clIPxSE_SF_SF_EEDaS13_S14_SK_SP_EUlS13_E_NS1_11comp_targetILNS1_3genE5ELNS1_11target_archE942ELNS1_3gpuE9ELNS1_3repE0EEENS1_47radix_sort_onesweep_sort_config_static_selectorELNS0_4arch9wavefront6targetE1EEEvSK_,@function
_ZN7rocprim17ROCPRIM_400000_NS6detail17trampoline_kernelINS0_14default_configENS1_35radix_sort_onesweep_config_selectorIxNS0_10empty_typeEEEZZNS1_29radix_sort_onesweep_iterationIS3_Lb0EN6thrust23THRUST_200600_302600_NS6detail15normal_iteratorINS9_10device_ptrIxEEEESE_PS5_SF_jNS0_19identity_decomposerENS1_16block_id_wrapperIjLb0EEEEE10hipError_tT1_PNSt15iterator_traitsISK_E10value_typeET2_T3_PNSL_ISQ_E10value_typeET4_T5_PSV_SW_PNS1_23onesweep_lookback_stateEbbT6_jjT7_P12ihipStream_tbENKUlT_T0_SK_SP_E_clIPxSE_SF_SF_EEDaS13_S14_SK_SP_EUlS13_E_NS1_11comp_targetILNS1_3genE5ELNS1_11target_archE942ELNS1_3gpuE9ELNS1_3repE0EEENS1_47radix_sort_onesweep_sort_config_static_selectorELNS0_4arch9wavefront6targetE1EEEvSK_: ; @_ZN7rocprim17ROCPRIM_400000_NS6detail17trampoline_kernelINS0_14default_configENS1_35radix_sort_onesweep_config_selectorIxNS0_10empty_typeEEEZZNS1_29radix_sort_onesweep_iterationIS3_Lb0EN6thrust23THRUST_200600_302600_NS6detail15normal_iteratorINS9_10device_ptrIxEEEESE_PS5_SF_jNS0_19identity_decomposerENS1_16block_id_wrapperIjLb0EEEEE10hipError_tT1_PNSt15iterator_traitsISK_E10value_typeET2_T3_PNSL_ISQ_E10value_typeET4_T5_PSV_SW_PNS1_23onesweep_lookback_stateEbbT6_jjT7_P12ihipStream_tbENKUlT_T0_SK_SP_E_clIPxSE_SF_SF_EEDaS13_S14_SK_SP_EUlS13_E_NS1_11comp_targetILNS1_3genE5ELNS1_11target_archE942ELNS1_3gpuE9ELNS1_3repE0EEENS1_47radix_sort_onesweep_sort_config_static_selectorELNS0_4arch9wavefront6targetE1EEEvSK_
; %bb.0:
	s_load_dwordx4 s[20:23], s[0:1], 0x44
	s_load_dwordx2 s[28:29], s[0:1], 0x38
	s_load_dwordx4 s[24:27], s[0:1], 0x0
	s_load_dwordx4 s[16:19], s[0:1], 0x28
	s_mul_i32 s30, s2, 0x1800
	s_waitcnt lgkmcnt(0)
	s_cmp_ge_u32 s2, s22
	v_mbcnt_lo_u32_b32 v1, -1, 0
	s_cbranch_scc0 .LBB1589_99
; %bb.1:
	s_load_dword s3, s[0:1], 0x20
	s_mul_i32 s6, s22, 0xffffe800
	s_mov_b32 s31, 0
	v_and_b32_e32 v2, 0x3ff, v0
	s_lshl_b64 s[4:5], s[30:31], 3
	s_waitcnt lgkmcnt(0)
	s_add_i32 s3, s3, s6
	v_mbcnt_hi_u32_b32 v3, -1, v1
	s_add_u32 s6, s24, s4
	v_and_b32_e32 v8, 63, v3
	v_and_b32_e32 v32, 0x1c0, v2
	s_addc_u32 s7, s25, s5
	s_mov_b32 s4, -1
	v_mul_u32_u24_e32 v9, 12, v32
	v_lshlrev_b32_e32 v4, 3, v8
	v_mov_b32_e32 v5, 0
	s_brev_b32 s5, -2
	v_lshl_add_u64 v[6:7], s[6:7], 0, v[4:5]
	v_lshlrev_b32_e32 v4, 3, v9
	v_or_b32_e32 v26, v8, v9
	v_lshl_add_u64 v[28:29], v[6:7], 0, v[4:5]
	v_cmp_gt_u32_e32 vcc, s3, v26
	v_mov_b64_e32 v[4:5], s[4:5]
	s_and_saveexec_b64 s[6:7], vcc
	s_cbranch_execz .LBB1589_3
; %bb.2:
	global_load_dwordx2 v[4:5], v[28:29], off
.LBB1589_3:
	s_or_b64 exec, exec, s[6:7]
	v_or_b32_e32 v6, 64, v26
	v_cmp_gt_u32_e32 vcc, s3, v6
	v_mov_b64_e32 v[6:7], s[4:5]
	s_and_saveexec_b64 s[4:5], vcc
	s_cbranch_execz .LBB1589_5
; %bb.4:
	global_load_dwordx2 v[6:7], v[28:29], off offset:512
.LBB1589_5:
	s_or_b64 exec, exec, s[4:5]
	s_mov_b32 s4, -1
	v_or_b32_e32 v8, 0x80, v26
	s_brev_b32 s5, -2
	v_cmp_gt_u32_e32 vcc, s3, v8
	v_mov_b64_e32 v[8:9], s[4:5]
	s_and_saveexec_b64 s[6:7], vcc
	s_cbranch_execz .LBB1589_7
; %bb.6:
	global_load_dwordx2 v[8:9], v[28:29], off offset:1024
.LBB1589_7:
	s_or_b64 exec, exec, s[6:7]
	v_or_b32_e32 v10, 0xc0, v26
	v_cmp_gt_u32_e32 vcc, s3, v10
	v_mov_b64_e32 v[10:11], s[4:5]
	s_and_saveexec_b64 s[4:5], vcc
	s_cbranch_execz .LBB1589_9
; %bb.8:
	global_load_dwordx2 v[10:11], v[28:29], off offset:1536
.LBB1589_9:
	s_or_b64 exec, exec, s[4:5]
	s_mov_b32 s4, -1
	v_add_u32_e32 v12, 0x100, v26
	s_brev_b32 s5, -2
	v_cmp_gt_u32_e32 vcc, s3, v12
	v_mov_b64_e32 v[12:13], s[4:5]
	s_and_saveexec_b64 s[6:7], vcc
	s_cbranch_execz .LBB1589_11
; %bb.10:
	global_load_dwordx2 v[12:13], v[28:29], off offset:2048
.LBB1589_11:
	s_or_b64 exec, exec, s[6:7]
	v_add_u32_e32 v14, 0x140, v26
	v_cmp_gt_u32_e32 vcc, s3, v14
	v_mov_b64_e32 v[14:15], s[4:5]
	s_and_saveexec_b64 s[4:5], vcc
	s_cbranch_execz .LBB1589_13
; %bb.12:
	global_load_dwordx2 v[14:15], v[28:29], off offset:2560
.LBB1589_13:
	s_or_b64 exec, exec, s[4:5]
	s_mov_b32 s4, -1
	v_add_u32_e32 v16, 0x180, v26
	s_brev_b32 s5, -2
	v_cmp_gt_u32_e32 vcc, s3, v16
	v_mov_b64_e32 v[16:17], s[4:5]
	s_and_saveexec_b64 s[6:7], vcc
	s_cbranch_execz .LBB1589_15
; %bb.14:
	global_load_dwordx2 v[16:17], v[28:29], off offset:3072
.LBB1589_15:
	s_or_b64 exec, exec, s[6:7]
	v_add_u32_e32 v18, 0x1c0, v26
	v_cmp_gt_u32_e32 vcc, s3, v18
	v_mov_b64_e32 v[18:19], s[4:5]
	s_and_saveexec_b64 s[4:5], vcc
	s_cbranch_execz .LBB1589_17
; %bb.16:
	global_load_dwordx2 v[18:19], v[28:29], off offset:3584
.LBB1589_17:
	s_or_b64 exec, exec, s[4:5]
	s_mov_b32 s4, -1
	v_add_u32_e32 v20, 0x200, v26
	s_brev_b32 s5, -2
	v_cmp_gt_u32_e32 vcc, s3, v20
	v_mov_b64_e32 v[20:21], s[4:5]
	s_and_saveexec_b64 s[6:7], vcc
	s_cbranch_execz .LBB1589_19
; %bb.18:
	v_add_co_u32_e32 v20, vcc, 0x1000, v28
	s_nop 1
	v_addc_co_u32_e32 v21, vcc, 0, v29, vcc
	global_load_dwordx2 v[20:21], v[20:21], off
.LBB1589_19:
	s_or_b64 exec, exec, s[6:7]
	v_add_u32_e32 v22, 0x240, v26
	v_cmp_gt_u32_e32 vcc, s3, v22
	v_mov_b64_e32 v[22:23], s[4:5]
	s_and_saveexec_b64 s[4:5], vcc
	s_cbranch_execz .LBB1589_21
; %bb.20:
	v_add_co_u32_e32 v22, vcc, 0x1000, v28
	s_nop 1
	v_addc_co_u32_e32 v23, vcc, 0, v29, vcc
	global_load_dwordx2 v[22:23], v[22:23], off offset:512
.LBB1589_21:
	s_or_b64 exec, exec, s[4:5]
	s_mov_b32 s4, -1
	v_add_u32_e32 v24, 0x280, v26
	s_brev_b32 s5, -2
	v_cmp_gt_u32_e32 vcc, s3, v24
	v_mov_b64_e32 v[24:25], s[4:5]
	s_and_saveexec_b64 s[6:7], vcc
	s_cbranch_execz .LBB1589_23
; %bb.22:
	v_add_co_u32_e32 v24, vcc, 0x1000, v28
	s_nop 1
	v_addc_co_u32_e32 v25, vcc, 0, v29, vcc
	global_load_dwordx2 v[24:25], v[24:25], off offset:1024
.LBB1589_23:
	s_or_b64 exec, exec, s[6:7]
	v_add_u32_e32 v26, 0x2c0, v26
	v_cmp_gt_u32_e32 vcc, s3, v26
	v_mov_b64_e32 v[26:27], s[4:5]
	s_and_saveexec_b64 s[4:5], vcc
	s_cbranch_execz .LBB1589_25
; %bb.24:
	v_add_co_u32_e32 v26, vcc, 0x1000, v28
	s_nop 1
	v_addc_co_u32_e32 v27, vcc, 0, v29, vcc
	global_load_dwordx2 v[26:27], v[26:27], off offset:1536
.LBB1589_25:
	s_or_b64 exec, exec, s[4:5]
	s_load_dword s4, s[0:1], 0x64
	s_load_dword s22, s[0:1], 0x58
	s_add_u32 s5, s0, 0x58
	s_addc_u32 s6, s1, 0
	v_mov_b32_e32 v29, 0
	s_waitcnt lgkmcnt(0)
	s_lshr_b32 s7, s4, 16
	s_cmp_lt_u32 s2, s22
	s_cselect_b32 s4, 12, 18
	s_add_u32 s4, s5, s4
	s_addc_u32 s5, s6, 0
	global_load_ushort v46, v29, s[4:5]
	s_waitcnt vmcnt(1)
	v_xor_b32_e32 v5, 0x80000000, v5
	v_mul_u32_u24_e32 v30, 5, v2
	s_lshl_b32 s4, -1, s21
	v_lshlrev_b32_e32 v33, 2, v30
	v_lshrrev_b64 v[30:31], s20, v[4:5]
	s_not_b32 s23, s4
	v_bfe_u32 v28, v0, 10, 10
	v_bfe_u32 v35, v0, 20, 10
	v_and_b32_e32 v48, s23, v30
	v_mad_u32_u24 v47, v35, s7, v28
	v_and_b32_e32 v28, 1, v48
	v_lshlrev_b32_e32 v35, 30, v48
	v_mov_b32_e32 v34, v29
	v_lshlrev_b32_e32 v37, 29, v48
	v_lshl_add_u64 v[30:31], v[28:29], 0, -1
	v_cmp_ne_u32_e32 vcc, 0, v28
	v_not_b32_e32 v28, v35
	v_mov_b32_e32 v36, v29
	v_mov_b32_e32 v38, v29
	v_lshlrev_b32_e32 v39, 28, v48
	v_cmp_gt_i64_e64 s[4:5], 0, v[34:35]
	v_not_b32_e32 v34, v37
	v_xor_b32_e32 v31, vcc_hi, v31
	v_ashrrev_i32_e32 v28, 31, v28
	v_mov_b32_e32 v40, v29
	v_lshlrev_b32_e32 v41, 27, v48
	v_cmp_gt_i64_e64 s[6:7], 0, v[36:37]
	v_cmp_gt_i64_e64 s[8:9], 0, v[38:39]
	v_not_b32_e32 v35, v39
	v_xor_b32_e32 v30, vcc_lo, v30
	v_ashrrev_i32_e32 v34, 31, v34
	v_and_b32_e32 v31, exec_hi, v31
	v_xor_b32_e32 v39, s5, v28
	v_lshlrev_b32_e32 v43, 26, v48
	v_cmp_gt_i64_e64 s[10:11], 0, v[40:41]
	v_not_b32_e32 v36, v41
	v_ashrrev_i32_e32 v35, 31, v35
	v_and_b32_e32 v30, exec_lo, v30
	v_xor_b32_e32 v28, s4, v28
	v_xor_b32_e32 v40, s7, v34
	v_and_b32_e32 v31, v31, v39
	v_mov_b32_e32 v42, v29
	v_lshlrev_b32_e32 v45, 25, v48
	v_not_b32_e32 v37, v43
	v_ashrrev_i32_e32 v36, 31, v36
	v_xor_b32_e32 v41, s9, v35
	v_and_b32_e32 v28, v30, v28
	v_and_b32_e32 v30, v31, v40
	v_mov_b32_e32 v44, v29
	v_cmp_gt_i64_e64 s[12:13], 0, v[42:43]
	v_not_b32_e32 v38, v45
	v_ashrrev_i32_e32 v37, 31, v37
	v_xor_b32_e32 v42, s11, v36
	v_and_b32_e32 v30, v30, v41
	v_cmp_gt_i64_e64 s[14:15], 0, v[44:45]
	v_ashrrev_i32_e32 v38, 31, v38
	v_xor_b32_e32 v43, s13, v37
	v_and_b32_e32 v30, v30, v42
	v_xor_b32_e32 v34, s6, v34
	v_xor_b32_e32 v44, s15, v38
	v_and_b32_e32 v30, v30, v43
	v_xor_b32_e32 v35, s8, v35
	v_and_b32_e32 v28, v28, v34
	v_and_b32_e32 v34, v30, v44
	v_xor_b32_e32 v36, s10, v36
	v_and_b32_e32 v28, v28, v35
	v_xor_b32_e32 v37, s12, v37
	;; [unrolled: 2-line block ×3, first 2 shown]
	v_and_b32_e32 v28, v28, v37
	v_and_b32_e32 v28, v28, v38
	v_lshl_add_u32 v49, v48, 3, v48
	ds_write2_b32 v33, v29, v29 offset0:8 offset1:9
	ds_write2_b32 v33, v29, v29 offset0:10 offset1:11
	ds_write_b32 v33, v29 offset:48
	s_waitcnt lgkmcnt(0)
	s_barrier
	s_waitcnt lgkmcnt(0)
	; wave barrier
	s_waitcnt vmcnt(0)
	v_mad_u64_u32 v[30:31], s[4:5], v47, v46, v[2:3]
	v_lshrrev_b32_e32 v45, 6, v30
	v_lshlrev_b32_e32 v31, 24, v48
	v_mov_b32_e32 v30, v29
	v_cmp_gt_i64_e32 vcc, 0, v[30:31]
	v_not_b32_e32 v30, v31
	v_ashrrev_i32_e32 v30, 31, v30
	v_xor_b32_e32 v31, vcc_hi, v30
	v_xor_b32_e32 v30, vcc_lo, v30
	v_and_b32_e32 v30, v28, v30
	v_and_b32_e32 v31, v34, v31
	v_mbcnt_lo_u32_b32 v28, v30, 0
	v_mbcnt_hi_u32_b32 v35, v31, v28
	v_cmp_eq_u32_e32 vcc, 0, v35
	v_cmp_ne_u64_e64 s[4:5], 0, v[30:31]
	v_add_lshl_u32 v38, v45, v49, 2
	s_and_b64 s[6:7], s[4:5], vcc
	s_and_saveexec_b64 s[4:5], s[6:7]
	s_cbranch_execz .LBB1589_27
; %bb.26:
	v_bcnt_u32_b32 v28, v30, 0
	v_bcnt_u32_b32 v28, v31, v28
	ds_write_b32 v38, v28 offset:32
.LBB1589_27:
	s_or_b64 exec, exec, s[4:5]
	v_xor_b32_e32 v7, 0x80000000, v7
	v_lshrrev_b64 v[30:31], s20, v[6:7]
	v_and_b32_e32 v36, s23, v30
	v_lshl_add_u32 v28, v36, 3, v36
	v_add_lshl_u32 v39, v45, v28, 2
	v_and_b32_e32 v28, 1, v36
	v_lshl_add_u64 v[30:31], v[28:29], 0, -1
	v_cmp_ne_u32_e32 vcc, 0, v28
	; wave barrier
	s_nop 1
	v_xor_b32_e32 v30, vcc_lo, v30
	v_xor_b32_e32 v28, vcc_hi, v31
	v_and_b32_e32 v37, exec_lo, v30
	v_lshlrev_b32_e32 v31, 30, v36
	v_mov_b32_e32 v30, v29
	v_cmp_gt_i64_e32 vcc, 0, v[30:31]
	v_not_b32_e32 v30, v31
	v_ashrrev_i32_e32 v30, 31, v30
	v_and_b32_e32 v28, exec_hi, v28
	v_xor_b32_e32 v31, vcc_hi, v30
	v_xor_b32_e32 v30, vcc_lo, v30
	v_and_b32_e32 v28, v28, v31
	v_and_b32_e32 v37, v37, v30
	v_lshlrev_b32_e32 v31, 29, v36
	v_mov_b32_e32 v30, v29
	v_cmp_gt_i64_e32 vcc, 0, v[30:31]
	v_not_b32_e32 v30, v31
	v_ashrrev_i32_e32 v30, 31, v30
	v_xor_b32_e32 v31, vcc_hi, v30
	v_xor_b32_e32 v30, vcc_lo, v30
	v_and_b32_e32 v28, v28, v31
	v_and_b32_e32 v37, v37, v30
	v_lshlrev_b32_e32 v31, 28, v36
	v_mov_b32_e32 v30, v29
	v_cmp_gt_i64_e32 vcc, 0, v[30:31]
	v_not_b32_e32 v30, v31
	v_ashrrev_i32_e32 v30, 31, v30
	;; [unrolled: 9-line block ×5, first 2 shown]
	v_xor_b32_e32 v31, vcc_hi, v30
	v_xor_b32_e32 v30, vcc_lo, v30
	v_and_b32_e32 v28, v28, v31
	v_lshlrev_b32_e32 v31, 24, v36
	v_and_b32_e32 v37, v37, v30
	v_mov_b32_e32 v30, v29
	v_not_b32_e32 v29, v31
	v_cmp_gt_i64_e32 vcc, 0, v[30:31]
	v_ashrrev_i32_e32 v29, 31, v29
	ds_read_b32 v34, v39 offset:32
	v_xor_b32_e32 v30, vcc_hi, v29
	v_xor_b32_e32 v31, vcc_lo, v29
	v_and_b32_e32 v29, v28, v30
	v_and_b32_e32 v28, v37, v31
	v_mbcnt_lo_u32_b32 v30, v28, 0
	v_mbcnt_hi_u32_b32 v36, v29, v30
	v_cmp_eq_u32_e32 vcc, 0, v36
	v_cmp_ne_u64_e64 s[4:5], 0, v[28:29]
	s_and_b64 s[6:7], s[4:5], vcc
	; wave barrier
	s_and_saveexec_b64 s[4:5], s[6:7]
	s_cbranch_execz .LBB1589_29
; %bb.28:
	v_bcnt_u32_b32 v28, v28, 0
	v_bcnt_u32_b32 v28, v29, v28
	s_waitcnt lgkmcnt(0)
	v_add_u32_e32 v28, v34, v28
	ds_write_b32 v39, v28 offset:32
.LBB1589_29:
	s_or_b64 exec, exec, s[4:5]
	v_xor_b32_e32 v9, 0x80000000, v9
	v_lshrrev_b64 v[28:29], s20, v[8:9]
	v_and_b32_e32 v40, s23, v28
	v_lshl_add_u32 v28, v40, 3, v40
	v_add_lshl_u32 v42, v45, v28, 2
	v_and_b32_e32 v28, 1, v40
	v_mov_b32_e32 v29, 0
	v_lshl_add_u64 v[30:31], v[28:29], 0, -1
	v_cmp_ne_u32_e32 vcc, 0, v28
	; wave barrier
	s_nop 1
	v_xor_b32_e32 v30, vcc_lo, v30
	v_xor_b32_e32 v28, vcc_hi, v31
	v_and_b32_e32 v41, exec_lo, v30
	v_lshlrev_b32_e32 v31, 30, v40
	v_mov_b32_e32 v30, v29
	v_cmp_gt_i64_e32 vcc, 0, v[30:31]
	v_not_b32_e32 v30, v31
	v_ashrrev_i32_e32 v30, 31, v30
	v_and_b32_e32 v28, exec_hi, v28
	v_xor_b32_e32 v31, vcc_hi, v30
	v_xor_b32_e32 v30, vcc_lo, v30
	v_and_b32_e32 v28, v28, v31
	v_and_b32_e32 v41, v41, v30
	v_lshlrev_b32_e32 v31, 29, v40
	v_mov_b32_e32 v30, v29
	v_cmp_gt_i64_e32 vcc, 0, v[30:31]
	v_not_b32_e32 v30, v31
	v_ashrrev_i32_e32 v30, 31, v30
	v_xor_b32_e32 v31, vcc_hi, v30
	v_xor_b32_e32 v30, vcc_lo, v30
	v_and_b32_e32 v28, v28, v31
	v_and_b32_e32 v41, v41, v30
	v_lshlrev_b32_e32 v31, 28, v40
	v_mov_b32_e32 v30, v29
	v_cmp_gt_i64_e32 vcc, 0, v[30:31]
	v_not_b32_e32 v30, v31
	v_ashrrev_i32_e32 v30, 31, v30
	;; [unrolled: 9-line block ×6, first 2 shown]
	v_xor_b32_e32 v31, vcc_hi, v30
	v_xor_b32_e32 v30, vcc_lo, v30
	ds_read_b32 v37, v42 offset:32
	v_and_b32_e32 v30, v41, v30
	v_and_b32_e32 v31, v28, v31
	v_mbcnt_lo_u32_b32 v28, v30, 0
	v_mbcnt_hi_u32_b32 v40, v31, v28
	v_cmp_eq_u32_e32 vcc, 0, v40
	v_cmp_ne_u64_e64 s[4:5], 0, v[30:31]
	s_and_b64 s[6:7], s[4:5], vcc
	; wave barrier
	s_and_saveexec_b64 s[4:5], s[6:7]
	s_cbranch_execz .LBB1589_31
; %bb.30:
	v_bcnt_u32_b32 v28, v30, 0
	v_bcnt_u32_b32 v28, v31, v28
	s_waitcnt lgkmcnt(0)
	v_add_u32_e32 v28, v37, v28
	ds_write_b32 v42, v28 offset:32
.LBB1589_31:
	s_or_b64 exec, exec, s[4:5]
	v_xor_b32_e32 v11, 0x80000000, v11
	v_lshrrev_b64 v[30:31], s20, v[10:11]
	v_and_b32_e32 v43, s23, v30
	v_lshl_add_u32 v28, v43, 3, v43
	v_add_lshl_u32 v46, v45, v28, 2
	v_and_b32_e32 v28, 1, v43
	v_lshl_add_u64 v[30:31], v[28:29], 0, -1
	v_cmp_ne_u32_e32 vcc, 0, v28
	; wave barrier
	s_nop 1
	v_xor_b32_e32 v30, vcc_lo, v30
	v_xor_b32_e32 v28, vcc_hi, v31
	v_and_b32_e32 v44, exec_lo, v30
	v_lshlrev_b32_e32 v31, 30, v43
	v_mov_b32_e32 v30, v29
	v_cmp_gt_i64_e32 vcc, 0, v[30:31]
	v_not_b32_e32 v30, v31
	v_ashrrev_i32_e32 v30, 31, v30
	v_and_b32_e32 v28, exec_hi, v28
	v_xor_b32_e32 v31, vcc_hi, v30
	v_xor_b32_e32 v30, vcc_lo, v30
	v_and_b32_e32 v28, v28, v31
	v_and_b32_e32 v44, v44, v30
	v_lshlrev_b32_e32 v31, 29, v43
	v_mov_b32_e32 v30, v29
	v_cmp_gt_i64_e32 vcc, 0, v[30:31]
	v_not_b32_e32 v30, v31
	v_ashrrev_i32_e32 v30, 31, v30
	v_xor_b32_e32 v31, vcc_hi, v30
	v_xor_b32_e32 v30, vcc_lo, v30
	v_and_b32_e32 v28, v28, v31
	v_and_b32_e32 v44, v44, v30
	v_lshlrev_b32_e32 v31, 28, v43
	v_mov_b32_e32 v30, v29
	v_cmp_gt_i64_e32 vcc, 0, v[30:31]
	v_not_b32_e32 v30, v31
	v_ashrrev_i32_e32 v30, 31, v30
	;; [unrolled: 9-line block ×5, first 2 shown]
	v_xor_b32_e32 v31, vcc_hi, v30
	v_xor_b32_e32 v30, vcc_lo, v30
	v_and_b32_e32 v28, v28, v31
	v_lshlrev_b32_e32 v31, 24, v43
	v_and_b32_e32 v44, v44, v30
	v_mov_b32_e32 v30, v29
	v_not_b32_e32 v29, v31
	v_cmp_gt_i64_e32 vcc, 0, v[30:31]
	v_ashrrev_i32_e32 v29, 31, v29
	ds_read_b32 v41, v46 offset:32
	v_xor_b32_e32 v30, vcc_hi, v29
	v_xor_b32_e32 v31, vcc_lo, v29
	v_and_b32_e32 v29, v28, v30
	v_and_b32_e32 v28, v44, v31
	v_mbcnt_lo_u32_b32 v30, v28, 0
	v_mbcnt_hi_u32_b32 v43, v29, v30
	v_cmp_eq_u32_e32 vcc, 0, v43
	v_cmp_ne_u64_e64 s[4:5], 0, v[28:29]
	s_and_b64 s[6:7], s[4:5], vcc
	; wave barrier
	s_and_saveexec_b64 s[4:5], s[6:7]
	s_cbranch_execz .LBB1589_33
; %bb.32:
	v_bcnt_u32_b32 v28, v28, 0
	v_bcnt_u32_b32 v28, v29, v28
	s_waitcnt lgkmcnt(0)
	v_add_u32_e32 v28, v41, v28
	ds_write_b32 v46, v28 offset:32
.LBB1589_33:
	s_or_b64 exec, exec, s[4:5]
	v_xor_b32_e32 v13, 0x80000000, v13
	v_lshrrev_b64 v[28:29], s20, v[12:13]
	v_and_b32_e32 v47, s23, v28
	v_lshl_add_u32 v28, v47, 3, v47
	v_add_lshl_u32 v49, v45, v28, 2
	v_and_b32_e32 v28, 1, v47
	v_mov_b32_e32 v29, 0
	v_lshl_add_u64 v[30:31], v[28:29], 0, -1
	v_cmp_ne_u32_e32 vcc, 0, v28
	; wave barrier
	s_nop 1
	v_xor_b32_e32 v30, vcc_lo, v30
	v_xor_b32_e32 v28, vcc_hi, v31
	v_and_b32_e32 v48, exec_lo, v30
	v_lshlrev_b32_e32 v31, 30, v47
	v_mov_b32_e32 v30, v29
	v_cmp_gt_i64_e32 vcc, 0, v[30:31]
	v_not_b32_e32 v30, v31
	v_ashrrev_i32_e32 v30, 31, v30
	v_and_b32_e32 v28, exec_hi, v28
	v_xor_b32_e32 v31, vcc_hi, v30
	v_xor_b32_e32 v30, vcc_lo, v30
	v_and_b32_e32 v28, v28, v31
	v_and_b32_e32 v48, v48, v30
	v_lshlrev_b32_e32 v31, 29, v47
	v_mov_b32_e32 v30, v29
	v_cmp_gt_i64_e32 vcc, 0, v[30:31]
	v_not_b32_e32 v30, v31
	v_ashrrev_i32_e32 v30, 31, v30
	v_xor_b32_e32 v31, vcc_hi, v30
	v_xor_b32_e32 v30, vcc_lo, v30
	v_and_b32_e32 v28, v28, v31
	v_and_b32_e32 v48, v48, v30
	v_lshlrev_b32_e32 v31, 28, v47
	v_mov_b32_e32 v30, v29
	v_cmp_gt_i64_e32 vcc, 0, v[30:31]
	v_not_b32_e32 v30, v31
	v_ashrrev_i32_e32 v30, 31, v30
	;; [unrolled: 9-line block ×6, first 2 shown]
	v_xor_b32_e32 v31, vcc_hi, v30
	v_xor_b32_e32 v30, vcc_lo, v30
	ds_read_b32 v44, v49 offset:32
	v_and_b32_e32 v30, v48, v30
	v_and_b32_e32 v31, v28, v31
	v_mbcnt_lo_u32_b32 v28, v30, 0
	v_mbcnt_hi_u32_b32 v47, v31, v28
	v_cmp_eq_u32_e32 vcc, 0, v47
	v_cmp_ne_u64_e64 s[4:5], 0, v[30:31]
	s_and_b64 s[6:7], s[4:5], vcc
	; wave barrier
	s_and_saveexec_b64 s[4:5], s[6:7]
	s_cbranch_execz .LBB1589_35
; %bb.34:
	v_bcnt_u32_b32 v28, v30, 0
	v_bcnt_u32_b32 v28, v31, v28
	s_waitcnt lgkmcnt(0)
	v_add_u32_e32 v28, v44, v28
	ds_write_b32 v49, v28 offset:32
.LBB1589_35:
	s_or_b64 exec, exec, s[4:5]
	v_xor_b32_e32 v15, 0x80000000, v15
	v_lshrrev_b64 v[30:31], s20, v[14:15]
	v_and_b32_e32 v50, s23, v30
	v_lshl_add_u32 v28, v50, 3, v50
	v_add_lshl_u32 v52, v45, v28, 2
	v_and_b32_e32 v28, 1, v50
	v_lshl_add_u64 v[30:31], v[28:29], 0, -1
	v_cmp_ne_u32_e32 vcc, 0, v28
	; wave barrier
	s_nop 1
	v_xor_b32_e32 v30, vcc_lo, v30
	v_xor_b32_e32 v28, vcc_hi, v31
	v_and_b32_e32 v51, exec_lo, v30
	v_lshlrev_b32_e32 v31, 30, v50
	v_mov_b32_e32 v30, v29
	v_cmp_gt_i64_e32 vcc, 0, v[30:31]
	v_not_b32_e32 v30, v31
	v_ashrrev_i32_e32 v30, 31, v30
	v_and_b32_e32 v28, exec_hi, v28
	v_xor_b32_e32 v31, vcc_hi, v30
	v_xor_b32_e32 v30, vcc_lo, v30
	v_and_b32_e32 v28, v28, v31
	v_and_b32_e32 v51, v51, v30
	v_lshlrev_b32_e32 v31, 29, v50
	v_mov_b32_e32 v30, v29
	v_cmp_gt_i64_e32 vcc, 0, v[30:31]
	v_not_b32_e32 v30, v31
	v_ashrrev_i32_e32 v30, 31, v30
	v_xor_b32_e32 v31, vcc_hi, v30
	v_xor_b32_e32 v30, vcc_lo, v30
	v_and_b32_e32 v28, v28, v31
	v_and_b32_e32 v51, v51, v30
	v_lshlrev_b32_e32 v31, 28, v50
	v_mov_b32_e32 v30, v29
	v_cmp_gt_i64_e32 vcc, 0, v[30:31]
	v_not_b32_e32 v30, v31
	v_ashrrev_i32_e32 v30, 31, v30
	;; [unrolled: 9-line block ×5, first 2 shown]
	v_xor_b32_e32 v31, vcc_hi, v30
	v_xor_b32_e32 v30, vcc_lo, v30
	v_and_b32_e32 v28, v28, v31
	v_lshlrev_b32_e32 v31, 24, v50
	v_and_b32_e32 v51, v51, v30
	v_mov_b32_e32 v30, v29
	v_not_b32_e32 v29, v31
	v_cmp_gt_i64_e32 vcc, 0, v[30:31]
	v_ashrrev_i32_e32 v29, 31, v29
	ds_read_b32 v48, v52 offset:32
	v_xor_b32_e32 v30, vcc_hi, v29
	v_xor_b32_e32 v31, vcc_lo, v29
	v_and_b32_e32 v29, v28, v30
	v_and_b32_e32 v28, v51, v31
	v_mbcnt_lo_u32_b32 v30, v28, 0
	v_mbcnt_hi_u32_b32 v50, v29, v30
	v_cmp_eq_u32_e32 vcc, 0, v50
	v_cmp_ne_u64_e64 s[4:5], 0, v[28:29]
	s_and_b64 s[6:7], s[4:5], vcc
	; wave barrier
	s_and_saveexec_b64 s[4:5], s[6:7]
	s_cbranch_execz .LBB1589_37
; %bb.36:
	v_bcnt_u32_b32 v28, v28, 0
	v_bcnt_u32_b32 v28, v29, v28
	s_waitcnt lgkmcnt(0)
	v_add_u32_e32 v28, v48, v28
	ds_write_b32 v52, v28 offset:32
.LBB1589_37:
	s_or_b64 exec, exec, s[4:5]
	v_xor_b32_e32 v17, 0x80000000, v17
	v_lshrrev_b64 v[28:29], s20, v[16:17]
	v_and_b32_e32 v53, s23, v28
	v_lshl_add_u32 v28, v53, 3, v53
	v_add_lshl_u32 v55, v45, v28, 2
	v_and_b32_e32 v28, 1, v53
	v_mov_b32_e32 v29, 0
	v_lshl_add_u64 v[30:31], v[28:29], 0, -1
	v_cmp_ne_u32_e32 vcc, 0, v28
	; wave barrier
	s_nop 1
	v_xor_b32_e32 v30, vcc_lo, v30
	v_xor_b32_e32 v28, vcc_hi, v31
	v_and_b32_e32 v54, exec_lo, v30
	v_lshlrev_b32_e32 v31, 30, v53
	v_mov_b32_e32 v30, v29
	v_cmp_gt_i64_e32 vcc, 0, v[30:31]
	v_not_b32_e32 v30, v31
	v_ashrrev_i32_e32 v30, 31, v30
	v_and_b32_e32 v28, exec_hi, v28
	v_xor_b32_e32 v31, vcc_hi, v30
	v_xor_b32_e32 v30, vcc_lo, v30
	v_and_b32_e32 v28, v28, v31
	v_and_b32_e32 v54, v54, v30
	v_lshlrev_b32_e32 v31, 29, v53
	v_mov_b32_e32 v30, v29
	v_cmp_gt_i64_e32 vcc, 0, v[30:31]
	v_not_b32_e32 v30, v31
	v_ashrrev_i32_e32 v30, 31, v30
	v_xor_b32_e32 v31, vcc_hi, v30
	v_xor_b32_e32 v30, vcc_lo, v30
	v_and_b32_e32 v28, v28, v31
	v_and_b32_e32 v54, v54, v30
	v_lshlrev_b32_e32 v31, 28, v53
	v_mov_b32_e32 v30, v29
	v_cmp_gt_i64_e32 vcc, 0, v[30:31]
	v_not_b32_e32 v30, v31
	v_ashrrev_i32_e32 v30, 31, v30
	;; [unrolled: 9-line block ×6, first 2 shown]
	v_xor_b32_e32 v31, vcc_hi, v30
	v_xor_b32_e32 v30, vcc_lo, v30
	ds_read_b32 v51, v55 offset:32
	v_and_b32_e32 v30, v54, v30
	v_and_b32_e32 v31, v28, v31
	v_mbcnt_lo_u32_b32 v28, v30, 0
	v_mbcnt_hi_u32_b32 v53, v31, v28
	v_cmp_eq_u32_e32 vcc, 0, v53
	v_cmp_ne_u64_e64 s[4:5], 0, v[30:31]
	s_and_b64 s[6:7], s[4:5], vcc
	; wave barrier
	s_and_saveexec_b64 s[4:5], s[6:7]
	s_cbranch_execz .LBB1589_39
; %bb.38:
	v_bcnt_u32_b32 v28, v30, 0
	v_bcnt_u32_b32 v28, v31, v28
	s_waitcnt lgkmcnt(0)
	v_add_u32_e32 v28, v51, v28
	ds_write_b32 v55, v28 offset:32
.LBB1589_39:
	s_or_b64 exec, exec, s[4:5]
	v_xor_b32_e32 v19, 0x80000000, v19
	v_lshrrev_b64 v[30:31], s20, v[18:19]
	v_and_b32_e32 v56, s23, v30
	v_lshl_add_u32 v28, v56, 3, v56
	v_add_lshl_u32 v58, v45, v28, 2
	v_and_b32_e32 v28, 1, v56
	v_lshl_add_u64 v[30:31], v[28:29], 0, -1
	v_cmp_ne_u32_e32 vcc, 0, v28
	; wave barrier
	s_nop 1
	v_xor_b32_e32 v30, vcc_lo, v30
	v_xor_b32_e32 v28, vcc_hi, v31
	v_and_b32_e32 v57, exec_lo, v30
	v_lshlrev_b32_e32 v31, 30, v56
	v_mov_b32_e32 v30, v29
	v_cmp_gt_i64_e32 vcc, 0, v[30:31]
	v_not_b32_e32 v30, v31
	v_ashrrev_i32_e32 v30, 31, v30
	v_and_b32_e32 v28, exec_hi, v28
	v_xor_b32_e32 v31, vcc_hi, v30
	v_xor_b32_e32 v30, vcc_lo, v30
	v_and_b32_e32 v28, v28, v31
	v_and_b32_e32 v57, v57, v30
	v_lshlrev_b32_e32 v31, 29, v56
	v_mov_b32_e32 v30, v29
	v_cmp_gt_i64_e32 vcc, 0, v[30:31]
	v_not_b32_e32 v30, v31
	v_ashrrev_i32_e32 v30, 31, v30
	v_xor_b32_e32 v31, vcc_hi, v30
	v_xor_b32_e32 v30, vcc_lo, v30
	v_and_b32_e32 v28, v28, v31
	v_and_b32_e32 v57, v57, v30
	v_lshlrev_b32_e32 v31, 28, v56
	v_mov_b32_e32 v30, v29
	v_cmp_gt_i64_e32 vcc, 0, v[30:31]
	v_not_b32_e32 v30, v31
	v_ashrrev_i32_e32 v30, 31, v30
	;; [unrolled: 9-line block ×5, first 2 shown]
	v_xor_b32_e32 v31, vcc_hi, v30
	v_xor_b32_e32 v30, vcc_lo, v30
	v_and_b32_e32 v28, v28, v31
	v_lshlrev_b32_e32 v31, 24, v56
	v_and_b32_e32 v57, v57, v30
	v_mov_b32_e32 v30, v29
	v_not_b32_e32 v29, v31
	v_cmp_gt_i64_e32 vcc, 0, v[30:31]
	v_ashrrev_i32_e32 v29, 31, v29
	ds_read_b32 v54, v58 offset:32
	v_xor_b32_e32 v30, vcc_hi, v29
	v_xor_b32_e32 v31, vcc_lo, v29
	v_and_b32_e32 v29, v28, v30
	v_and_b32_e32 v28, v57, v31
	v_mbcnt_lo_u32_b32 v30, v28, 0
	v_mbcnt_hi_u32_b32 v56, v29, v30
	v_cmp_eq_u32_e32 vcc, 0, v56
	v_cmp_ne_u64_e64 s[4:5], 0, v[28:29]
	s_and_b64 s[6:7], s[4:5], vcc
	; wave barrier
	s_and_saveexec_b64 s[4:5], s[6:7]
	s_cbranch_execz .LBB1589_41
; %bb.40:
	v_bcnt_u32_b32 v28, v28, 0
	v_bcnt_u32_b32 v28, v29, v28
	s_waitcnt lgkmcnt(0)
	v_add_u32_e32 v28, v54, v28
	ds_write_b32 v58, v28 offset:32
.LBB1589_41:
	s_or_b64 exec, exec, s[4:5]
	v_xor_b32_e32 v21, 0x80000000, v21
	v_lshrrev_b64 v[28:29], s20, v[20:21]
	v_and_b32_e32 v59, s23, v28
	v_lshl_add_u32 v28, v59, 3, v59
	v_add_lshl_u32 v61, v45, v28, 2
	v_and_b32_e32 v28, 1, v59
	v_mov_b32_e32 v29, 0
	v_lshl_add_u64 v[30:31], v[28:29], 0, -1
	v_cmp_ne_u32_e32 vcc, 0, v28
	; wave barrier
	s_nop 1
	v_xor_b32_e32 v30, vcc_lo, v30
	v_xor_b32_e32 v28, vcc_hi, v31
	v_and_b32_e32 v60, exec_lo, v30
	v_lshlrev_b32_e32 v31, 30, v59
	v_mov_b32_e32 v30, v29
	v_cmp_gt_i64_e32 vcc, 0, v[30:31]
	v_not_b32_e32 v30, v31
	v_ashrrev_i32_e32 v30, 31, v30
	v_and_b32_e32 v28, exec_hi, v28
	v_xor_b32_e32 v31, vcc_hi, v30
	v_xor_b32_e32 v30, vcc_lo, v30
	v_and_b32_e32 v28, v28, v31
	v_and_b32_e32 v60, v60, v30
	v_lshlrev_b32_e32 v31, 29, v59
	v_mov_b32_e32 v30, v29
	v_cmp_gt_i64_e32 vcc, 0, v[30:31]
	v_not_b32_e32 v30, v31
	v_ashrrev_i32_e32 v30, 31, v30
	v_xor_b32_e32 v31, vcc_hi, v30
	v_xor_b32_e32 v30, vcc_lo, v30
	v_and_b32_e32 v28, v28, v31
	v_and_b32_e32 v60, v60, v30
	v_lshlrev_b32_e32 v31, 28, v59
	v_mov_b32_e32 v30, v29
	v_cmp_gt_i64_e32 vcc, 0, v[30:31]
	v_not_b32_e32 v30, v31
	v_ashrrev_i32_e32 v30, 31, v30
	;; [unrolled: 9-line block ×6, first 2 shown]
	v_xor_b32_e32 v31, vcc_hi, v30
	v_xor_b32_e32 v30, vcc_lo, v30
	ds_read_b32 v57, v61 offset:32
	v_and_b32_e32 v30, v60, v30
	v_and_b32_e32 v31, v28, v31
	v_mbcnt_lo_u32_b32 v28, v30, 0
	v_mbcnt_hi_u32_b32 v59, v31, v28
	v_cmp_eq_u32_e32 vcc, 0, v59
	v_cmp_ne_u64_e64 s[4:5], 0, v[30:31]
	s_and_b64 s[6:7], s[4:5], vcc
	; wave barrier
	s_and_saveexec_b64 s[4:5], s[6:7]
	s_cbranch_execz .LBB1589_43
; %bb.42:
	v_bcnt_u32_b32 v28, v30, 0
	v_bcnt_u32_b32 v28, v31, v28
	s_waitcnt lgkmcnt(0)
	v_add_u32_e32 v28, v57, v28
	ds_write_b32 v61, v28 offset:32
.LBB1589_43:
	s_or_b64 exec, exec, s[4:5]
	v_xor_b32_e32 v23, 0x80000000, v23
	v_lshrrev_b64 v[30:31], s20, v[22:23]
	v_and_b32_e32 v62, s23, v30
	v_lshl_add_u32 v28, v62, 3, v62
	v_add_lshl_u32 v64, v45, v28, 2
	v_and_b32_e32 v28, 1, v62
	v_lshl_add_u64 v[30:31], v[28:29], 0, -1
	v_cmp_ne_u32_e32 vcc, 0, v28
	; wave barrier
	s_nop 1
	v_xor_b32_e32 v30, vcc_lo, v30
	v_xor_b32_e32 v28, vcc_hi, v31
	v_and_b32_e32 v63, exec_lo, v30
	v_lshlrev_b32_e32 v31, 30, v62
	v_mov_b32_e32 v30, v29
	v_cmp_gt_i64_e32 vcc, 0, v[30:31]
	v_not_b32_e32 v30, v31
	v_ashrrev_i32_e32 v30, 31, v30
	v_and_b32_e32 v28, exec_hi, v28
	v_xor_b32_e32 v31, vcc_hi, v30
	v_xor_b32_e32 v30, vcc_lo, v30
	v_and_b32_e32 v28, v28, v31
	v_and_b32_e32 v63, v63, v30
	v_lshlrev_b32_e32 v31, 29, v62
	v_mov_b32_e32 v30, v29
	v_cmp_gt_i64_e32 vcc, 0, v[30:31]
	v_not_b32_e32 v30, v31
	v_ashrrev_i32_e32 v30, 31, v30
	v_xor_b32_e32 v31, vcc_hi, v30
	v_xor_b32_e32 v30, vcc_lo, v30
	v_and_b32_e32 v28, v28, v31
	v_and_b32_e32 v63, v63, v30
	v_lshlrev_b32_e32 v31, 28, v62
	v_mov_b32_e32 v30, v29
	v_cmp_gt_i64_e32 vcc, 0, v[30:31]
	v_not_b32_e32 v30, v31
	v_ashrrev_i32_e32 v30, 31, v30
	;; [unrolled: 9-line block ×5, first 2 shown]
	v_xor_b32_e32 v31, vcc_hi, v30
	v_xor_b32_e32 v30, vcc_lo, v30
	v_and_b32_e32 v28, v28, v31
	v_lshlrev_b32_e32 v31, 24, v62
	v_and_b32_e32 v63, v63, v30
	v_mov_b32_e32 v30, v29
	v_not_b32_e32 v29, v31
	v_cmp_gt_i64_e32 vcc, 0, v[30:31]
	v_ashrrev_i32_e32 v29, 31, v29
	ds_read_b32 v60, v64 offset:32
	v_xor_b32_e32 v30, vcc_hi, v29
	v_xor_b32_e32 v31, vcc_lo, v29
	v_and_b32_e32 v29, v28, v30
	v_and_b32_e32 v28, v63, v31
	v_mbcnt_lo_u32_b32 v30, v28, 0
	v_mbcnt_hi_u32_b32 v62, v29, v30
	v_cmp_eq_u32_e32 vcc, 0, v62
	v_cmp_ne_u64_e64 s[4:5], 0, v[28:29]
	s_and_b64 s[6:7], s[4:5], vcc
	; wave barrier
	s_and_saveexec_b64 s[4:5], s[6:7]
	s_cbranch_execz .LBB1589_45
; %bb.44:
	v_bcnt_u32_b32 v28, v28, 0
	v_bcnt_u32_b32 v28, v29, v28
	s_waitcnt lgkmcnt(0)
	v_add_u32_e32 v28, v60, v28
	ds_write_b32 v64, v28 offset:32
.LBB1589_45:
	s_or_b64 exec, exec, s[4:5]
	v_xor_b32_e32 v25, 0x80000000, v25
	v_lshrrev_b64 v[28:29], s20, v[24:25]
	v_and_b32_e32 v65, s23, v28
	v_lshl_add_u32 v28, v65, 3, v65
	v_add_lshl_u32 v66, v45, v28, 2
	v_and_b32_e32 v28, 1, v65
	v_mov_b32_e32 v29, 0
	v_lshl_add_u64 v[30:31], v[28:29], 0, -1
	v_cmp_ne_u32_e32 vcc, 0, v28
	; wave barrier
	s_nop 1
	v_xor_b32_e32 v30, vcc_lo, v30
	v_xor_b32_e32 v28, vcc_hi, v31
	v_and_b32_e32 v67, exec_lo, v30
	v_lshlrev_b32_e32 v31, 30, v65
	v_mov_b32_e32 v30, v29
	v_cmp_gt_i64_e32 vcc, 0, v[30:31]
	v_not_b32_e32 v30, v31
	v_ashrrev_i32_e32 v30, 31, v30
	v_and_b32_e32 v28, exec_hi, v28
	v_xor_b32_e32 v31, vcc_hi, v30
	v_xor_b32_e32 v30, vcc_lo, v30
	v_and_b32_e32 v28, v28, v31
	v_and_b32_e32 v67, v67, v30
	v_lshlrev_b32_e32 v31, 29, v65
	v_mov_b32_e32 v30, v29
	v_cmp_gt_i64_e32 vcc, 0, v[30:31]
	v_not_b32_e32 v30, v31
	v_ashrrev_i32_e32 v30, 31, v30
	v_xor_b32_e32 v31, vcc_hi, v30
	v_xor_b32_e32 v30, vcc_lo, v30
	v_and_b32_e32 v28, v28, v31
	v_and_b32_e32 v67, v67, v30
	v_lshlrev_b32_e32 v31, 28, v65
	v_mov_b32_e32 v30, v29
	v_cmp_gt_i64_e32 vcc, 0, v[30:31]
	v_not_b32_e32 v30, v31
	v_ashrrev_i32_e32 v30, 31, v30
	;; [unrolled: 9-line block ×6, first 2 shown]
	v_xor_b32_e32 v31, vcc_hi, v30
	v_xor_b32_e32 v30, vcc_lo, v30
	ds_read_b32 v63, v66 offset:32
	v_and_b32_e32 v30, v67, v30
	v_and_b32_e32 v31, v28, v31
	v_mbcnt_lo_u32_b32 v28, v30, 0
	v_mbcnt_hi_u32_b32 v65, v31, v28
	v_cmp_eq_u32_e32 vcc, 0, v65
	v_cmp_ne_u64_e64 s[4:5], 0, v[30:31]
	s_and_b64 s[6:7], s[4:5], vcc
	; wave barrier
	s_and_saveexec_b64 s[4:5], s[6:7]
	s_cbranch_execz .LBB1589_47
; %bb.46:
	v_bcnt_u32_b32 v28, v30, 0
	v_bcnt_u32_b32 v28, v31, v28
	s_waitcnt lgkmcnt(0)
	v_add_u32_e32 v28, v63, v28
	ds_write_b32 v66, v28 offset:32
.LBB1589_47:
	s_or_b64 exec, exec, s[4:5]
	v_xor_b32_e32 v27, 0x80000000, v27
	v_lshrrev_b64 v[30:31], s20, v[26:27]
	v_and_b32_e32 v67, s23, v30
	v_lshl_add_u32 v28, v67, 3, v67
	v_add_lshl_u32 v68, v45, v28, 2
	v_and_b32_e32 v28, 1, v67
	v_lshl_add_u64 v[30:31], v[28:29], 0, -1
	v_cmp_ne_u32_e32 vcc, 0, v28
	; wave barrier
	s_nop 1
	v_xor_b32_e32 v30, vcc_lo, v30
	v_xor_b32_e32 v28, vcc_hi, v31
	v_and_b32_e32 v70, exec_lo, v30
	v_lshlrev_b32_e32 v31, 30, v67
	v_mov_b32_e32 v30, v29
	v_cmp_gt_i64_e32 vcc, 0, v[30:31]
	v_not_b32_e32 v30, v31
	v_ashrrev_i32_e32 v30, 31, v30
	v_and_b32_e32 v28, exec_hi, v28
	v_xor_b32_e32 v31, vcc_hi, v30
	v_xor_b32_e32 v30, vcc_lo, v30
	v_and_b32_e32 v28, v28, v31
	v_and_b32_e32 v70, v70, v30
	v_lshlrev_b32_e32 v31, 29, v67
	v_mov_b32_e32 v30, v29
	v_cmp_gt_i64_e32 vcc, 0, v[30:31]
	v_not_b32_e32 v30, v31
	v_ashrrev_i32_e32 v30, 31, v30
	v_xor_b32_e32 v31, vcc_hi, v30
	v_xor_b32_e32 v30, vcc_lo, v30
	v_and_b32_e32 v28, v28, v31
	v_and_b32_e32 v70, v70, v30
	v_lshlrev_b32_e32 v31, 28, v67
	v_mov_b32_e32 v30, v29
	v_cmp_gt_i64_e32 vcc, 0, v[30:31]
	v_not_b32_e32 v30, v31
	v_ashrrev_i32_e32 v30, 31, v30
	;; [unrolled: 9-line block ×5, first 2 shown]
	v_xor_b32_e32 v31, vcc_hi, v30
	v_xor_b32_e32 v30, vcc_lo, v30
	v_and_b32_e32 v28, v28, v31
	v_lshlrev_b32_e32 v31, 24, v67
	v_and_b32_e32 v70, v70, v30
	v_mov_b32_e32 v30, v29
	v_not_b32_e32 v29, v31
	v_cmp_gt_i64_e32 vcc, 0, v[30:31]
	v_ashrrev_i32_e32 v29, 31, v29
	ds_read_b32 v45, v68 offset:32
	v_xor_b32_e32 v30, vcc_hi, v29
	v_xor_b32_e32 v31, vcc_lo, v29
	v_and_b32_e32 v29, v28, v30
	v_and_b32_e32 v28, v70, v31
	v_mbcnt_lo_u32_b32 v30, v28, 0
	v_mbcnt_hi_u32_b32 v67, v29, v30
	v_cmp_eq_u32_e32 vcc, 0, v67
	v_cmp_ne_u64_e64 s[4:5], 0, v[28:29]
	v_add_u32_e32 v69, 32, v33
	s_and_b64 s[6:7], s[4:5], vcc
	; wave barrier
	s_and_saveexec_b64 s[4:5], s[6:7]
	s_cbranch_execz .LBB1589_49
; %bb.48:
	v_bcnt_u32_b32 v28, v28, 0
	v_bcnt_u32_b32 v28, v29, v28
	s_waitcnt lgkmcnt(0)
	v_add_u32_e32 v28, v45, v28
	ds_write_b32 v68, v28 offset:32
.LBB1589_49:
	s_or_b64 exec, exec, s[4:5]
	; wave barrier
	s_waitcnt lgkmcnt(0)
	s_barrier
	ds_read2_b32 v[30:31], v33 offset0:8 offset1:9
	ds_read2_b32 v[28:29], v69 offset0:2 offset1:3
	ds_read_b32 v70, v69 offset:16
	v_min_u32_e32 v32, 0x1c0, v32
	v_or_b32_e32 v32, 63, v32
	s_waitcnt lgkmcnt(1)
	v_add3_u32 v71, v31, v30, v28
	s_waitcnt lgkmcnt(0)
	v_add3_u32 v70, v71, v29, v70
	v_and_b32_e32 v71, 15, v3
	v_cmp_ne_u32_e32 vcc, 0, v71
	v_mov_b32_dpp v72, v70 row_shr:1 row_mask:0xf bank_mask:0xf
	s_nop 0
	v_cndmask_b32_e32 v72, 0, v72, vcc
	v_add_u32_e32 v70, v72, v70
	v_cmp_lt_u32_e32 vcc, 1, v71
	s_nop 0
	v_mov_b32_dpp v72, v70 row_shr:2 row_mask:0xf bank_mask:0xf
	v_cndmask_b32_e32 v72, 0, v72, vcc
	v_add_u32_e32 v70, v70, v72
	v_cmp_lt_u32_e32 vcc, 3, v71
	s_nop 0
	v_mov_b32_dpp v72, v70 row_shr:4 row_mask:0xf bank_mask:0xf
	v_cndmask_b32_e32 v72, 0, v72, vcc
	v_add_u32_e32 v70, v70, v72
	v_cmp_lt_u32_e32 vcc, 7, v71
	s_nop 0
	v_mov_b32_dpp v72, v70 row_shr:8 row_mask:0xf bank_mask:0xf
	v_cndmask_b32_e32 v71, 0, v72, vcc
	v_add_u32_e32 v70, v70, v71
	v_bfe_i32 v72, v3, 4, 1
	v_cmp_lt_u32_e32 vcc, 31, v3
	v_mov_b32_dpp v71, v70 row_bcast:15 row_mask:0xf bank_mask:0xf
	v_and_b32_e32 v71, v72, v71
	v_add_u32_e32 v70, v70, v71
	v_lshrrev_b32_e32 v72, 6, v2
	s_nop 0
	v_mov_b32_dpp v71, v70 row_bcast:31 row_mask:0xf bank_mask:0xf
	v_cndmask_b32_e32 v71, 0, v71, vcc
	v_add_u32_e32 v71, v70, v71
	v_cmp_eq_u32_e32 vcc, v32, v2
	s_and_saveexec_b64 s[4:5], vcc
	s_cbranch_execz .LBB1589_51
; %bb.50:
	v_lshlrev_b32_e32 v32, 2, v72
	ds_write_b32 v32, v71
.LBB1589_51:
	s_or_b64 exec, exec, s[4:5]
	v_cmp_gt_u32_e32 vcc, 8, v2
	v_lshlrev_b32_e32 v70, 2, v2
	s_waitcnt lgkmcnt(0)
	s_barrier
	s_and_saveexec_b64 s[4:5], vcc
	s_cbranch_execz .LBB1589_53
; %bb.52:
	ds_read_b32 v32, v70
	v_and_b32_e32 v73, 7, v3
	v_cmp_ne_u32_e32 vcc, 0, v73
	s_waitcnt lgkmcnt(0)
	v_mov_b32_dpp v74, v32 row_shr:1 row_mask:0xf bank_mask:0xf
	v_cndmask_b32_e32 v74, 0, v74, vcc
	v_add_u32_e32 v32, v74, v32
	v_cmp_lt_u32_e32 vcc, 1, v73
	s_nop 0
	v_mov_b32_dpp v74, v32 row_shr:2 row_mask:0xf bank_mask:0xf
	v_cndmask_b32_e32 v74, 0, v74, vcc
	v_add_u32_e32 v32, v32, v74
	v_cmp_lt_u32_e32 vcc, 3, v73
	s_nop 0
	v_mov_b32_dpp v74, v32 row_shr:4 row_mask:0xf bank_mask:0xf
	v_cndmask_b32_e32 v73, 0, v74, vcc
	v_add_u32_e32 v32, v32, v73
	ds_write_b32 v70, v32
.LBB1589_53:
	s_or_b64 exec, exec, s[4:5]
	v_cmp_lt_u32_e32 vcc, 63, v2
	v_mov_b32_e32 v32, 0
	s_waitcnt lgkmcnt(0)
	s_barrier
	s_and_saveexec_b64 s[4:5], vcc
	s_cbranch_execz .LBB1589_55
; %bb.54:
	v_lshl_add_u32 v32, v72, 2, -4
	ds_read_b32 v32, v32
.LBB1589_55:
	s_or_b64 exec, exec, s[4:5]
	v_add_u32_e32 v72, -1, v3
	v_and_b32_e32 v73, 64, v3
	v_cmp_lt_i32_e32 vcc, v72, v73
	s_waitcnt lgkmcnt(0)
	v_add_u32_e32 v71, v32, v71
	s_movk_i32 s4, 0x100
	v_cndmask_b32_e32 v72, v72, v3, vcc
	v_lshlrev_b32_e32 v72, 2, v72
	ds_bpermute_b32 v71, v72, v71
	v_cmp_eq_u32_e32 vcc, 0, v3
	s_waitcnt lgkmcnt(0)
	s_nop 0
	v_cndmask_b32_e32 v3, v71, v32, vcc
	v_cmp_ne_u32_e32 vcc, 0, v2
	s_nop 1
	v_cndmask_b32_e32 v3, 0, v3, vcc
	v_add_u32_e32 v30, v3, v30
	v_add_u32_e32 v31, v30, v31
	;; [unrolled: 1-line block ×4, first 2 shown]
	ds_write2_b32 v33, v3, v30 offset0:8 offset1:9
	ds_write2_b32 v69, v31, v28 offset0:2 offset1:3
	ds_write_b32 v69, v29 offset:16
	s_waitcnt lgkmcnt(0)
	s_barrier
	ds_read_b32 v76, v38 offset:32
	ds_read_b32 v69, v39 offset:32
	;; [unrolled: 1-line block ×12, first 2 shown]
	v_cmp_gt_u32_e32 vcc, s4, v2
                                        ; implicit-def: $vgpr3
                                        ; implicit-def: $vgpr38
	s_and_saveexec_b64 s[6:7], vcc
	s_cbranch_execz .LBB1589_59
; %bb.56:
	v_mul_u32_u24_e32 v3, 9, v2
	v_lshlrev_b32_e32 v29, 2, v3
	ds_read_b32 v3, v29 offset:32
	s_movk_i32 s4, 0xff
	v_cmp_ne_u32_e64 s[4:5], s4, v2
	v_mov_b32_e32 v28, 0x1800
	s_and_saveexec_b64 s[8:9], s[4:5]
	s_cbranch_execz .LBB1589_58
; %bb.57:
	ds_read_b32 v28, v29 offset:68
.LBB1589_58:
	s_or_b64 exec, exec, s[8:9]
	s_waitcnt lgkmcnt(0)
	v_sub_u32_e32 v38, v28, v3
.LBB1589_59:
	s_or_b64 exec, exec, s[6:7]
	s_waitcnt lgkmcnt(0)
	s_barrier
	s_and_saveexec_b64 s[6:7], vcc
	s_cbranch_execz .LBB1589_69
; %bb.60:
	v_lshl_or_b32 v30, s2, 8, v2
	v_mov_b32_e32 v31, 0
	v_lshl_add_u64 v[28:29], v[30:31], 2, s[28:29]
	v_or_b32_e32 v30, 2.0, v38
	s_mov_b64 s[8:9], 0
	s_brev_b32 s14, 1
	s_mov_b32 s15, s2
	v_mov_b32_e32 v49, 0
	global_store_dword v[28:29], v30, off sc1
                                        ; implicit-def: $sgpr4_sgpr5
	s_branch .LBB1589_62
.LBB1589_61:                            ;   in Loop: Header=BB1589_62 Depth=1
	s_or_b64 exec, exec, s[10:11]
	v_and_b32_e32 v32, 0x3fffffff, v55
	v_add_u32_e32 v49, v32, v49
	v_cmp_eq_u32_e64 s[4:5], s14, v30
	s_and_b64 s[10:11], exec, s[4:5]
	s_or_b64 s[8:9], s[10:11], s[8:9]
	s_andn2_b64 exec, exec, s[8:9]
	s_cbranch_execz .LBB1589_68
.LBB1589_62:                            ; =>This Loop Header: Depth=1
                                        ;     Child Loop BB1589_65 Depth 2
	s_or_b64 s[4:5], s[4:5], exec
	s_cmp_eq_u32 s15, 0
	s_cbranch_scc1 .LBB1589_67
; %bb.63:                               ;   in Loop: Header=BB1589_62 Depth=1
	s_add_i32 s15, s15, -1
	v_lshl_or_b32 v30, s15, 8, v2
	v_lshl_add_u64 v[32:33], v[30:31], 2, s[28:29]
	global_load_dword v55, v[32:33], off sc1
	s_waitcnt vmcnt(0)
	v_and_b32_e32 v30, -2.0, v55
	v_cmp_eq_u32_e64 s[4:5], 0, v30
	s_and_saveexec_b64 s[10:11], s[4:5]
	s_cbranch_execz .LBB1589_61
; %bb.64:                               ;   in Loop: Header=BB1589_62 Depth=1
	s_mov_b64 s[12:13], 0
.LBB1589_65:                            ;   Parent Loop BB1589_62 Depth=1
                                        ; =>  This Inner Loop Header: Depth=2
	global_load_dword v55, v[32:33], off sc1
	s_waitcnt vmcnt(0)
	v_and_b32_e32 v30, -2.0, v55
	v_cmp_ne_u32_e64 s[4:5], 0, v30
	s_or_b64 s[12:13], s[4:5], s[12:13]
	s_andn2_b64 exec, exec, s[12:13]
	s_cbranch_execnz .LBB1589_65
; %bb.66:                               ;   in Loop: Header=BB1589_62 Depth=1
	s_or_b64 exec, exec, s[12:13]
	s_branch .LBB1589_61
.LBB1589_67:                            ;   in Loop: Header=BB1589_62 Depth=1
                                        ; implicit-def: $sgpr15
	s_and_b64 s[10:11], exec, s[4:5]
	s_or_b64 s[8:9], s[10:11], s[8:9]
	s_andn2_b64 exec, exec, s[8:9]
	s_cbranch_execnz .LBB1589_62
.LBB1589_68:
	s_or_b64 exec, exec, s[8:9]
	v_add_u32_e32 v30, v49, v38
	v_or_b32_e32 v30, 0x80000000, v30
	global_store_dword v[28:29], v30, off sc1
	global_load_dword v28, v70, s[16:17]
	v_sub_u32_e32 v29, v49, v3
	s_waitcnt vmcnt(0)
	v_add_u32_e32 v28, v29, v28
	ds_write_b32 v70, v28
.LBB1589_69:
	s_or_b64 exec, exec, s[6:7]
	v_add_u32_e32 v30, v76, v35
	v_add3_u32 v28, v36, v34, v69
	v_add3_u32 v29, v40, v37, v71
	;; [unrolled: 1-line block ×11, first 2 shown]
	v_lshlrev_b32_e32 v31, 3, v2
	v_mov_b32_e32 v77, 0x400
	s_movk_i32 s8, 0x400
	v_add_u32_e32 v32, 0x400, v31
	v_lshl_add_u32 v33, v33, 3, v77
	v_add3_u32 v35, v67, v39, v45
	v_lshl_add_u32 v39, v76, 3, v77
	v_add3_u32 v42, v65, v42, v63
	;; [unrolled: 2-line block ×11, first 2 shown]
	v_lshl_add_u32 v36, v30, 3, v77
	s_mov_b32 s9, 0
	v_mov_b32_e32 v29, 0
	s_movk_i32 s10, 0x200
	v_mov_b32_e32 v57, v2
	s_mov_b32 s11, 0
	s_branch .LBB1589_71
.LBB1589_70:                            ;   in Loop: Header=BB1589_71 Depth=1
	s_or_b64 exec, exec, s[6:7]
	s_addk_i32 s11, 0xe000
	s_addk_i32 s9, 0xfc00
	s_cmp_eq_u32 s11, 0xffff4000
	v_add_u32_e32 v57, 0x400, v57
	s_barrier
	s_cbranch_scc1 .LBB1589_100
.LBB1589_71:                            ; =>This Inner Loop Header: Depth=1
	v_add_u32_e32 v28, s9, v30
	v_cmp_gt_u32_e64 s[4:5], s8, v28
	s_and_saveexec_b64 s[6:7], s[4:5]
	s_cbranch_execz .LBB1589_73
; %bb.72:                               ;   in Loop: Header=BB1589_71 Depth=1
	v_add_u32_e32 v28, s11, v36
	ds_write_b64 v28, v[4:5]
.LBB1589_73:                            ;   in Loop: Header=BB1589_71 Depth=1
	s_or_b64 exec, exec, s[6:7]
	v_add_u32_e32 v28, s9, v34
	v_cmp_gt_u32_e64 s[4:5], s8, v28
	s_and_saveexec_b64 s[6:7], s[4:5]
	s_cbranch_execz .LBB1589_75
; %bb.74:                               ;   in Loop: Header=BB1589_71 Depth=1
	v_add_u32_e32 v28, s11, v40
	ds_write_b64 v28, v[6:7]
.LBB1589_75:                            ;   in Loop: Header=BB1589_71 Depth=1
	s_or_b64 exec, exec, s[6:7]
	;; [unrolled: 9-line block ×12, first 2 shown]
	v_cmp_gt_u32_e64 s[4:5], s3, v57
	s_waitcnt lgkmcnt(0)
	s_barrier
	s_and_saveexec_b64 s[6:7], s[4:5]
	s_cbranch_execz .LBB1589_97
; %bb.96:                               ;   in Loop: Header=BB1589_71 Depth=1
	ds_read_b64 v[58:59], v31 offset:1024
	s_waitcnt lgkmcnt(0)
	v_lshrrev_b64 v[60:61], s20, v[58:59]
	v_and_b32_e32 v28, s23, v60
	v_lshlrev_b32_e32 v28, 2, v28
	ds_read_b32 v28, v28
	v_xor_b32_e32 v59, 0x80000000, v59
	s_waitcnt lgkmcnt(0)
	v_add_u32_e32 v28, v57, v28
	v_lshl_add_u64 v[60:61], v[28:29], 3, s[26:27]
	global_store_dwordx2 v[60:61], v[58:59], off
.LBB1589_97:                            ;   in Loop: Header=BB1589_71 Depth=1
	s_or_b64 exec, exec, s[6:7]
	v_add_u32_e32 v28, 0x200, v57
	v_cmp_gt_u32_e64 s[4:5], s3, v28
	s_and_saveexec_b64 s[6:7], s[4:5]
	s_cbranch_execz .LBB1589_70
; %bb.98:                               ;   in Loop: Header=BB1589_71 Depth=1
	ds_read_b64 v[58:59], v32 offset:4096
	s_waitcnt lgkmcnt(0)
	v_lshrrev_b64 v[60:61], s20, v[58:59]
	v_and_b32_e32 v28, s23, v60
	v_lshlrev_b32_e32 v28, 2, v28
	ds_read_b32 v28, v28
	v_xor_b32_e32 v59, 0x80000000, v59
	s_waitcnt lgkmcnt(0)
	v_add3_u32 v28, v57, v28, s10
	v_lshl_add_u64 v[60:61], v[28:29], 3, s[26:27]
	global_store_dwordx2 v[60:61], v[58:59], off
	s_branch .LBB1589_70
.LBB1589_99:
	s_mov_b64 s[8:9], 0
                                        ; implicit-def: $vgpr4
                                        ; implicit-def: $vgpr2
	s_cbranch_execnz .LBB1589_103
	s_branch .LBB1589_176
.LBB1589_100:
	s_add_i32 s22, s22, -1
	s_cmp_eq_u32 s22, s2
	s_cselect_b64 s[4:5], -1, 0
	s_and_b64 s[6:7], vcc, s[4:5]
	s_mov_b64 s[4:5], 0
	s_mov_b64 s[8:9], 0
                                        ; implicit-def: $vgpr4
	s_and_saveexec_b64 s[10:11], s[6:7]
	s_xor_b64 s[6:7], exec, s[10:11]
; %bb.101:
	s_mov_b64 s[8:9], exec
	v_add_u32_e32 v4, v3, v38
; %bb.102:
	s_or_b64 exec, exec, s[6:7]
	s_and_b64 vcc, exec, s[4:5]
	s_cbranch_vccz .LBB1589_176
.LBB1589_103:
	s_mov_b32 s31, 0
	s_lshl_b64 s[4:5], s[30:31], 3
	v_mbcnt_hi_u32_b32 v3, -1, v1
	s_add_u32 s4, s24, s4
	v_and_b32_e32 v1, 63, v3
	s_addc_u32 s5, s25, s5
	v_mov_b32_e32 v27, 0
	v_lshlrev_b32_e32 v26, 3, v1
	v_lshl_add_u64 v[4:5], s[4:5], 0, v[26:27]
	s_load_dword s3, s[0:1], 0x58
	s_load_dword s4, s[0:1], 0x64
	v_and_b32_e32 v2, 0x3ff, v0
	v_and_b32_e32 v30, 0x1c0, v2
	v_mul_u32_u24_e32 v6, 12, v30
	v_lshlrev_b32_e32 v26, 3, v6
	s_add_u32 s0, s0, 0x58
	v_lshl_add_u64 v[18:19], v[4:5], 0, v[26:27]
	s_addc_u32 s1, s1, 0
	s_waitcnt lgkmcnt(0)
	s_lshr_b32 s4, s4, 16
	global_load_dwordx2 v[4:5], v[18:19], off
	s_cmp_lt_u32 s2, s3
	s_cselect_b32 s5, 12, 18
	s_add_u32 s0, s0, s5
	s_addc_u32 s1, s1, 0
	global_load_ushort v38, v27, s[0:1]
	v_bfe_u32 v20, v0, 10, 10
	v_bfe_u32 v21, v0, 20, 10
	v_mul_u32_u24_e32 v0, 5, v2
	v_lshlrev_b32_e32 v31, 2, v0
	ds_write2_b32 v31, v27, v27 offset0:8 offset1:9
	ds_write2_b32 v31, v27, v27 offset0:10 offset1:11
	ds_write_b32 v31, v27 offset:48
	s_movk_i32 s0, 0x1000
	global_load_dwordx2 v[0:1], v[18:19], off offset:512
	global_load_dwordx2 v[6:7], v[18:19], off offset:1024
	;; [unrolled: 1-line block ×7, first 2 shown]
	v_add_co_u32_e32 v36, vcc, s0, v18
	v_mad_u32_u24 v39, v21, s4, v20
	s_nop 0
	v_addc_co_u32_e32 v37, vcc, 0, v19, vcc
	global_load_dwordx2 v[18:19], v[36:37], off
	global_load_dwordx2 v[20:21], v[36:37], off offset:512
	global_load_dwordx2 v[22:23], v[36:37], off offset:1024
	;; [unrolled: 1-line block ×3, first 2 shown]
	s_lshl_b32 s0, -1, s21
	s_not_b32 s14, s0
	v_mov_b32_e32 v28, v27
	v_mov_b32_e32 v32, v27
	;; [unrolled: 1-line block ×3, first 2 shown]
	s_waitcnt lgkmcnt(0)
	s_barrier
	s_waitcnt lgkmcnt(0)
	; wave barrier
	s_waitcnt vmcnt(12)
	v_xor_b32_e32 v5, 0x80000000, v5
	v_lshrrev_b64 v[36:37], s20, v[4:5]
	v_and_b32_e32 v40, s14, v36
	v_and_b32_e32 v26, 1, v40
	v_lshlrev_b32_e32 v29, 30, v40
	v_lshlrev_b32_e32 v33, 29, v40
	s_waitcnt vmcnt(11)
	v_mad_u64_u32 v[36:37], s[0:1], v39, v38, v[2:3]
	v_lshl_add_u64 v[38:39], v[26:27], 0, -1
	v_cmp_ne_u32_e32 vcc, 0, v26
	v_not_b32_e32 v26, v29
	v_lshlrev_b32_e32 v35, 28, v40
	v_cmp_gt_i64_e64 s[0:1], 0, v[28:29]
	v_cmp_gt_i64_e64 s[4:5], 0, v[32:33]
	v_not_b32_e32 v28, v33
	v_xor_b32_e32 v33, vcc_lo, v38
	v_ashrrev_i32_e32 v26, 31, v26
	v_cmp_gt_i64_e64 s[6:7], 0, v[34:35]
	v_not_b32_e32 v29, v35
	v_ashrrev_i32_e32 v28, 31, v28
	v_and_b32_e32 v33, exec_lo, v33
	v_xor_b32_e32 v34, s1, v26
	v_xor_b32_e32 v26, s0, v26
	v_lshrrev_b32_e32 v42, 6, v36
	v_ashrrev_i32_e32 v29, 31, v29
	v_xor_b32_e32 v36, s5, v28
	v_xor_b32_e32 v28, s4, v28
	v_and_b32_e32 v26, v33, v26
	v_xor_b32_e32 v32, vcc_hi, v39
	v_xor_b32_e32 v37, s7, v29
	v_xor_b32_e32 v29, s6, v29
	v_and_b32_e32 v26, v26, v28
	v_and_b32_e32 v32, exec_hi, v32
	v_and_b32_e32 v26, v26, v29
	v_lshlrev_b32_e32 v29, 27, v40
	v_mov_b32_e32 v28, v27
	v_and_b32_e32 v32, v32, v34
	v_cmp_gt_i64_e32 vcc, 0, v[28:29]
	v_not_b32_e32 v28, v29
	v_and_b32_e32 v32, v32, v36
	v_ashrrev_i32_e32 v28, 31, v28
	v_and_b32_e32 v32, v32, v37
	v_xor_b32_e32 v29, vcc_hi, v28
	v_xor_b32_e32 v28, vcc_lo, v28
	v_and_b32_e32 v32, v32, v29
	v_and_b32_e32 v26, v26, v28
	v_lshlrev_b32_e32 v29, 26, v40
	v_mov_b32_e32 v28, v27
	v_cmp_gt_i64_e32 vcc, 0, v[28:29]
	v_not_b32_e32 v28, v29
	v_ashrrev_i32_e32 v28, 31, v28
	v_xor_b32_e32 v29, vcc_hi, v28
	v_xor_b32_e32 v28, vcc_lo, v28
	v_and_b32_e32 v32, v32, v29
	v_and_b32_e32 v26, v26, v28
	v_lshlrev_b32_e32 v29, 25, v40
	v_mov_b32_e32 v28, v27
	v_cmp_gt_i64_e32 vcc, 0, v[28:29]
	v_not_b32_e32 v28, v29
	v_ashrrev_i32_e32 v28, 31, v28
	;; [unrolled: 9-line block ×3, first 2 shown]
	v_xor_b32_e32 v29, vcc_hi, v28
	v_xor_b32_e32 v28, vcc_lo, v28
	v_and_b32_e32 v28, v26, v28
	v_and_b32_e32 v29, v32, v29
	v_mbcnt_lo_u32_b32 v26, v28, 0
	v_mbcnt_hi_u32_b32 v33, v29, v26
	v_lshl_add_u32 v41, v40, 3, v40
	v_cmp_eq_u32_e32 vcc, 0, v33
	v_cmp_ne_u64_e64 s[0:1], 0, v[28:29]
	v_add_lshl_u32 v35, v42, v41, 2
	s_and_b64 s[4:5], s[0:1], vcc
	s_and_saveexec_b64 s[0:1], s[4:5]
	s_cbranch_execz .LBB1589_105
; %bb.104:
	v_bcnt_u32_b32 v26, v28, 0
	v_bcnt_u32_b32 v26, v29, v26
	ds_write_b32 v35, v26 offset:32
.LBB1589_105:
	s_or_b64 exec, exec, s[0:1]
	s_waitcnt vmcnt(10)
	v_xor_b32_e32 v1, 0x80000000, v1
	v_lshrrev_b64 v[28:29], s20, v[0:1]
	v_and_b32_e32 v34, s14, v28
	v_lshl_add_u32 v26, v34, 3, v34
	v_add_lshl_u32 v37, v42, v26, 2
	v_and_b32_e32 v26, 1, v34
	v_lshl_add_u64 v[28:29], v[26:27], 0, -1
	v_cmp_ne_u32_e32 vcc, 0, v26
	; wave barrier
	s_nop 1
	v_xor_b32_e32 v28, vcc_lo, v28
	v_xor_b32_e32 v26, vcc_hi, v29
	v_and_b32_e32 v36, exec_lo, v28
	v_lshlrev_b32_e32 v29, 30, v34
	v_mov_b32_e32 v28, v27
	v_cmp_gt_i64_e32 vcc, 0, v[28:29]
	v_not_b32_e32 v28, v29
	v_ashrrev_i32_e32 v28, 31, v28
	v_and_b32_e32 v26, exec_hi, v26
	v_xor_b32_e32 v29, vcc_hi, v28
	v_xor_b32_e32 v28, vcc_lo, v28
	v_and_b32_e32 v26, v26, v29
	v_and_b32_e32 v36, v36, v28
	v_lshlrev_b32_e32 v29, 29, v34
	v_mov_b32_e32 v28, v27
	v_cmp_gt_i64_e32 vcc, 0, v[28:29]
	v_not_b32_e32 v28, v29
	v_ashrrev_i32_e32 v28, 31, v28
	v_xor_b32_e32 v29, vcc_hi, v28
	v_xor_b32_e32 v28, vcc_lo, v28
	v_and_b32_e32 v26, v26, v29
	v_and_b32_e32 v36, v36, v28
	v_lshlrev_b32_e32 v29, 28, v34
	v_mov_b32_e32 v28, v27
	v_cmp_gt_i64_e32 vcc, 0, v[28:29]
	v_not_b32_e32 v28, v29
	v_ashrrev_i32_e32 v28, 31, v28
	;; [unrolled: 9-line block ×5, first 2 shown]
	v_xor_b32_e32 v29, vcc_hi, v28
	v_xor_b32_e32 v28, vcc_lo, v28
	v_and_b32_e32 v26, v26, v29
	v_lshlrev_b32_e32 v29, 24, v34
	v_and_b32_e32 v36, v36, v28
	v_mov_b32_e32 v28, v27
	v_not_b32_e32 v27, v29
	v_cmp_gt_i64_e32 vcc, 0, v[28:29]
	v_ashrrev_i32_e32 v27, 31, v27
	ds_read_b32 v32, v37 offset:32
	v_xor_b32_e32 v28, vcc_hi, v27
	v_xor_b32_e32 v29, vcc_lo, v27
	v_and_b32_e32 v27, v26, v28
	v_and_b32_e32 v26, v36, v29
	v_mbcnt_lo_u32_b32 v28, v26, 0
	v_mbcnt_hi_u32_b32 v34, v27, v28
	v_cmp_eq_u32_e32 vcc, 0, v34
	v_cmp_ne_u64_e64 s[0:1], 0, v[26:27]
	s_and_b64 s[4:5], s[0:1], vcc
	; wave barrier
	s_and_saveexec_b64 s[0:1], s[4:5]
	s_cbranch_execz .LBB1589_107
; %bb.106:
	v_bcnt_u32_b32 v26, v26, 0
	v_bcnt_u32_b32 v26, v27, v26
	s_waitcnt lgkmcnt(0)
	v_add_u32_e32 v26, v32, v26
	ds_write_b32 v37, v26 offset:32
.LBB1589_107:
	s_or_b64 exec, exec, s[0:1]
	s_waitcnt vmcnt(9)
	v_xor_b32_e32 v7, 0x80000000, v7
	v_lshrrev_b64 v[26:27], s20, v[6:7]
	v_and_b32_e32 v38, s14, v26
	v_lshl_add_u32 v26, v38, 3, v38
	v_add_lshl_u32 v40, v42, v26, 2
	v_and_b32_e32 v26, 1, v38
	v_mov_b32_e32 v27, 0
	v_lshl_add_u64 v[28:29], v[26:27], 0, -1
	v_cmp_ne_u32_e32 vcc, 0, v26
	; wave barrier
	s_nop 1
	v_xor_b32_e32 v28, vcc_lo, v28
	v_xor_b32_e32 v26, vcc_hi, v29
	v_and_b32_e32 v39, exec_lo, v28
	v_lshlrev_b32_e32 v29, 30, v38
	v_mov_b32_e32 v28, v27
	v_cmp_gt_i64_e32 vcc, 0, v[28:29]
	v_not_b32_e32 v28, v29
	v_ashrrev_i32_e32 v28, 31, v28
	v_and_b32_e32 v26, exec_hi, v26
	v_xor_b32_e32 v29, vcc_hi, v28
	v_xor_b32_e32 v28, vcc_lo, v28
	v_and_b32_e32 v26, v26, v29
	v_and_b32_e32 v39, v39, v28
	v_lshlrev_b32_e32 v29, 29, v38
	v_mov_b32_e32 v28, v27
	v_cmp_gt_i64_e32 vcc, 0, v[28:29]
	v_not_b32_e32 v28, v29
	v_ashrrev_i32_e32 v28, 31, v28
	v_xor_b32_e32 v29, vcc_hi, v28
	v_xor_b32_e32 v28, vcc_lo, v28
	v_and_b32_e32 v26, v26, v29
	v_and_b32_e32 v39, v39, v28
	v_lshlrev_b32_e32 v29, 28, v38
	v_mov_b32_e32 v28, v27
	v_cmp_gt_i64_e32 vcc, 0, v[28:29]
	v_not_b32_e32 v28, v29
	v_ashrrev_i32_e32 v28, 31, v28
	;; [unrolled: 9-line block ×6, first 2 shown]
	v_xor_b32_e32 v29, vcc_hi, v28
	v_xor_b32_e32 v28, vcc_lo, v28
	ds_read_b32 v36, v40 offset:32
	v_and_b32_e32 v28, v39, v28
	v_and_b32_e32 v29, v26, v29
	v_mbcnt_lo_u32_b32 v26, v28, 0
	v_mbcnt_hi_u32_b32 v38, v29, v26
	v_cmp_eq_u32_e32 vcc, 0, v38
	v_cmp_ne_u64_e64 s[0:1], 0, v[28:29]
	s_and_b64 s[4:5], s[0:1], vcc
	; wave barrier
	s_and_saveexec_b64 s[0:1], s[4:5]
	s_cbranch_execz .LBB1589_109
; %bb.108:
	v_bcnt_u32_b32 v26, v28, 0
	v_bcnt_u32_b32 v26, v29, v26
	s_waitcnt lgkmcnt(0)
	v_add_u32_e32 v26, v36, v26
	ds_write_b32 v40, v26 offset:32
.LBB1589_109:
	s_or_b64 exec, exec, s[0:1]
	s_waitcnt vmcnt(8)
	v_xor_b32_e32 v9, 0x80000000, v9
	v_lshrrev_b64 v[28:29], s20, v[8:9]
	v_and_b32_e32 v41, s14, v28
	v_lshl_add_u32 v26, v41, 3, v41
	v_add_lshl_u32 v44, v42, v26, 2
	v_and_b32_e32 v26, 1, v41
	v_lshl_add_u64 v[28:29], v[26:27], 0, -1
	v_cmp_ne_u32_e32 vcc, 0, v26
	; wave barrier
	s_nop 1
	v_xor_b32_e32 v28, vcc_lo, v28
	v_xor_b32_e32 v26, vcc_hi, v29
	v_and_b32_e32 v43, exec_lo, v28
	v_lshlrev_b32_e32 v29, 30, v41
	v_mov_b32_e32 v28, v27
	v_cmp_gt_i64_e32 vcc, 0, v[28:29]
	v_not_b32_e32 v28, v29
	v_ashrrev_i32_e32 v28, 31, v28
	v_and_b32_e32 v26, exec_hi, v26
	v_xor_b32_e32 v29, vcc_hi, v28
	v_xor_b32_e32 v28, vcc_lo, v28
	v_and_b32_e32 v26, v26, v29
	v_and_b32_e32 v43, v43, v28
	v_lshlrev_b32_e32 v29, 29, v41
	v_mov_b32_e32 v28, v27
	v_cmp_gt_i64_e32 vcc, 0, v[28:29]
	v_not_b32_e32 v28, v29
	v_ashrrev_i32_e32 v28, 31, v28
	v_xor_b32_e32 v29, vcc_hi, v28
	v_xor_b32_e32 v28, vcc_lo, v28
	v_and_b32_e32 v26, v26, v29
	v_and_b32_e32 v43, v43, v28
	v_lshlrev_b32_e32 v29, 28, v41
	v_mov_b32_e32 v28, v27
	v_cmp_gt_i64_e32 vcc, 0, v[28:29]
	v_not_b32_e32 v28, v29
	v_ashrrev_i32_e32 v28, 31, v28
	;; [unrolled: 9-line block ×5, first 2 shown]
	v_xor_b32_e32 v29, vcc_hi, v28
	v_xor_b32_e32 v28, vcc_lo, v28
	v_and_b32_e32 v26, v26, v29
	v_lshlrev_b32_e32 v29, 24, v41
	v_and_b32_e32 v43, v43, v28
	v_mov_b32_e32 v28, v27
	v_not_b32_e32 v27, v29
	v_cmp_gt_i64_e32 vcc, 0, v[28:29]
	v_ashrrev_i32_e32 v27, 31, v27
	ds_read_b32 v39, v44 offset:32
	v_xor_b32_e32 v28, vcc_hi, v27
	v_xor_b32_e32 v29, vcc_lo, v27
	v_and_b32_e32 v27, v26, v28
	v_and_b32_e32 v26, v43, v29
	v_mbcnt_lo_u32_b32 v28, v26, 0
	v_mbcnt_hi_u32_b32 v41, v27, v28
	v_cmp_eq_u32_e32 vcc, 0, v41
	v_cmp_ne_u64_e64 s[0:1], 0, v[26:27]
	s_and_b64 s[4:5], s[0:1], vcc
	; wave barrier
	s_and_saveexec_b64 s[0:1], s[4:5]
	s_cbranch_execz .LBB1589_111
; %bb.110:
	v_bcnt_u32_b32 v26, v26, 0
	v_bcnt_u32_b32 v26, v27, v26
	s_waitcnt lgkmcnt(0)
	v_add_u32_e32 v26, v39, v26
	ds_write_b32 v44, v26 offset:32
.LBB1589_111:
	s_or_b64 exec, exec, s[0:1]
	s_waitcnt vmcnt(7)
	v_xor_b32_e32 v11, 0x80000000, v11
	v_lshrrev_b64 v[26:27], s20, v[10:11]
	v_and_b32_e32 v45, s14, v26
	v_lshl_add_u32 v26, v45, 3, v45
	v_add_lshl_u32 v47, v42, v26, 2
	v_and_b32_e32 v26, 1, v45
	v_mov_b32_e32 v27, 0
	v_lshl_add_u64 v[28:29], v[26:27], 0, -1
	v_cmp_ne_u32_e32 vcc, 0, v26
	; wave barrier
	s_nop 1
	v_xor_b32_e32 v28, vcc_lo, v28
	v_xor_b32_e32 v26, vcc_hi, v29
	v_and_b32_e32 v46, exec_lo, v28
	v_lshlrev_b32_e32 v29, 30, v45
	v_mov_b32_e32 v28, v27
	v_cmp_gt_i64_e32 vcc, 0, v[28:29]
	v_not_b32_e32 v28, v29
	v_ashrrev_i32_e32 v28, 31, v28
	v_and_b32_e32 v26, exec_hi, v26
	v_xor_b32_e32 v29, vcc_hi, v28
	v_xor_b32_e32 v28, vcc_lo, v28
	v_and_b32_e32 v26, v26, v29
	v_and_b32_e32 v46, v46, v28
	v_lshlrev_b32_e32 v29, 29, v45
	v_mov_b32_e32 v28, v27
	v_cmp_gt_i64_e32 vcc, 0, v[28:29]
	v_not_b32_e32 v28, v29
	v_ashrrev_i32_e32 v28, 31, v28
	v_xor_b32_e32 v29, vcc_hi, v28
	v_xor_b32_e32 v28, vcc_lo, v28
	v_and_b32_e32 v26, v26, v29
	v_and_b32_e32 v46, v46, v28
	v_lshlrev_b32_e32 v29, 28, v45
	v_mov_b32_e32 v28, v27
	v_cmp_gt_i64_e32 vcc, 0, v[28:29]
	v_not_b32_e32 v28, v29
	v_ashrrev_i32_e32 v28, 31, v28
	;; [unrolled: 9-line block ×6, first 2 shown]
	v_xor_b32_e32 v29, vcc_hi, v28
	v_xor_b32_e32 v28, vcc_lo, v28
	ds_read_b32 v43, v47 offset:32
	v_and_b32_e32 v28, v46, v28
	v_and_b32_e32 v29, v26, v29
	v_mbcnt_lo_u32_b32 v26, v28, 0
	v_mbcnt_hi_u32_b32 v45, v29, v26
	v_cmp_eq_u32_e32 vcc, 0, v45
	v_cmp_ne_u64_e64 s[0:1], 0, v[28:29]
	s_and_b64 s[4:5], s[0:1], vcc
	; wave barrier
	s_and_saveexec_b64 s[0:1], s[4:5]
	s_cbranch_execz .LBB1589_113
; %bb.112:
	v_bcnt_u32_b32 v26, v28, 0
	v_bcnt_u32_b32 v26, v29, v26
	s_waitcnt lgkmcnt(0)
	v_add_u32_e32 v26, v43, v26
	ds_write_b32 v47, v26 offset:32
.LBB1589_113:
	s_or_b64 exec, exec, s[0:1]
	s_waitcnt vmcnt(6)
	v_xor_b32_e32 v13, 0x80000000, v13
	v_lshrrev_b64 v[28:29], s20, v[12:13]
	v_and_b32_e32 v48, s14, v28
	v_lshl_add_u32 v26, v48, 3, v48
	v_add_lshl_u32 v50, v42, v26, 2
	v_and_b32_e32 v26, 1, v48
	v_lshl_add_u64 v[28:29], v[26:27], 0, -1
	v_cmp_ne_u32_e32 vcc, 0, v26
	; wave barrier
	s_nop 1
	v_xor_b32_e32 v28, vcc_lo, v28
	v_xor_b32_e32 v26, vcc_hi, v29
	v_and_b32_e32 v49, exec_lo, v28
	v_lshlrev_b32_e32 v29, 30, v48
	v_mov_b32_e32 v28, v27
	v_cmp_gt_i64_e32 vcc, 0, v[28:29]
	v_not_b32_e32 v28, v29
	v_ashrrev_i32_e32 v28, 31, v28
	v_and_b32_e32 v26, exec_hi, v26
	v_xor_b32_e32 v29, vcc_hi, v28
	v_xor_b32_e32 v28, vcc_lo, v28
	v_and_b32_e32 v26, v26, v29
	v_and_b32_e32 v49, v49, v28
	v_lshlrev_b32_e32 v29, 29, v48
	v_mov_b32_e32 v28, v27
	v_cmp_gt_i64_e32 vcc, 0, v[28:29]
	v_not_b32_e32 v28, v29
	v_ashrrev_i32_e32 v28, 31, v28
	v_xor_b32_e32 v29, vcc_hi, v28
	v_xor_b32_e32 v28, vcc_lo, v28
	v_and_b32_e32 v26, v26, v29
	v_and_b32_e32 v49, v49, v28
	v_lshlrev_b32_e32 v29, 28, v48
	v_mov_b32_e32 v28, v27
	v_cmp_gt_i64_e32 vcc, 0, v[28:29]
	v_not_b32_e32 v28, v29
	v_ashrrev_i32_e32 v28, 31, v28
	;; [unrolled: 9-line block ×5, first 2 shown]
	v_xor_b32_e32 v29, vcc_hi, v28
	v_xor_b32_e32 v28, vcc_lo, v28
	v_and_b32_e32 v26, v26, v29
	v_lshlrev_b32_e32 v29, 24, v48
	v_and_b32_e32 v49, v49, v28
	v_mov_b32_e32 v28, v27
	v_not_b32_e32 v27, v29
	v_cmp_gt_i64_e32 vcc, 0, v[28:29]
	v_ashrrev_i32_e32 v27, 31, v27
	ds_read_b32 v46, v50 offset:32
	v_xor_b32_e32 v28, vcc_hi, v27
	v_xor_b32_e32 v29, vcc_lo, v27
	v_and_b32_e32 v27, v26, v28
	v_and_b32_e32 v26, v49, v29
	v_mbcnt_lo_u32_b32 v28, v26, 0
	v_mbcnt_hi_u32_b32 v48, v27, v28
	v_cmp_eq_u32_e32 vcc, 0, v48
	v_cmp_ne_u64_e64 s[0:1], 0, v[26:27]
	s_and_b64 s[4:5], s[0:1], vcc
	; wave barrier
	s_and_saveexec_b64 s[0:1], s[4:5]
	s_cbranch_execz .LBB1589_115
; %bb.114:
	v_bcnt_u32_b32 v26, v26, 0
	v_bcnt_u32_b32 v26, v27, v26
	s_waitcnt lgkmcnt(0)
	v_add_u32_e32 v26, v46, v26
	ds_write_b32 v50, v26 offset:32
.LBB1589_115:
	s_or_b64 exec, exec, s[0:1]
	s_waitcnt vmcnt(5)
	v_xor_b32_e32 v15, 0x80000000, v15
	v_lshrrev_b64 v[26:27], s20, v[14:15]
	v_and_b32_e32 v51, s14, v26
	v_lshl_add_u32 v26, v51, 3, v51
	v_add_lshl_u32 v53, v42, v26, 2
	v_and_b32_e32 v26, 1, v51
	v_mov_b32_e32 v27, 0
	v_lshl_add_u64 v[28:29], v[26:27], 0, -1
	v_cmp_ne_u32_e32 vcc, 0, v26
	; wave barrier
	s_nop 1
	v_xor_b32_e32 v28, vcc_lo, v28
	v_xor_b32_e32 v26, vcc_hi, v29
	v_and_b32_e32 v52, exec_lo, v28
	v_lshlrev_b32_e32 v29, 30, v51
	v_mov_b32_e32 v28, v27
	v_cmp_gt_i64_e32 vcc, 0, v[28:29]
	v_not_b32_e32 v28, v29
	v_ashrrev_i32_e32 v28, 31, v28
	v_and_b32_e32 v26, exec_hi, v26
	v_xor_b32_e32 v29, vcc_hi, v28
	v_xor_b32_e32 v28, vcc_lo, v28
	v_and_b32_e32 v26, v26, v29
	v_and_b32_e32 v52, v52, v28
	v_lshlrev_b32_e32 v29, 29, v51
	v_mov_b32_e32 v28, v27
	v_cmp_gt_i64_e32 vcc, 0, v[28:29]
	v_not_b32_e32 v28, v29
	v_ashrrev_i32_e32 v28, 31, v28
	v_xor_b32_e32 v29, vcc_hi, v28
	v_xor_b32_e32 v28, vcc_lo, v28
	v_and_b32_e32 v26, v26, v29
	v_and_b32_e32 v52, v52, v28
	v_lshlrev_b32_e32 v29, 28, v51
	v_mov_b32_e32 v28, v27
	v_cmp_gt_i64_e32 vcc, 0, v[28:29]
	v_not_b32_e32 v28, v29
	v_ashrrev_i32_e32 v28, 31, v28
	;; [unrolled: 9-line block ×6, first 2 shown]
	v_xor_b32_e32 v29, vcc_hi, v28
	v_xor_b32_e32 v28, vcc_lo, v28
	ds_read_b32 v49, v53 offset:32
	v_and_b32_e32 v28, v52, v28
	v_and_b32_e32 v29, v26, v29
	v_mbcnt_lo_u32_b32 v26, v28, 0
	v_mbcnt_hi_u32_b32 v51, v29, v26
	v_cmp_eq_u32_e32 vcc, 0, v51
	v_cmp_ne_u64_e64 s[0:1], 0, v[28:29]
	s_and_b64 s[4:5], s[0:1], vcc
	; wave barrier
	s_and_saveexec_b64 s[0:1], s[4:5]
	s_cbranch_execz .LBB1589_117
; %bb.116:
	v_bcnt_u32_b32 v26, v28, 0
	v_bcnt_u32_b32 v26, v29, v26
	s_waitcnt lgkmcnt(0)
	v_add_u32_e32 v26, v49, v26
	ds_write_b32 v53, v26 offset:32
.LBB1589_117:
	s_or_b64 exec, exec, s[0:1]
	s_waitcnt vmcnt(4)
	v_xor_b32_e32 v17, 0x80000000, v17
	v_lshrrev_b64 v[28:29], s20, v[16:17]
	v_and_b32_e32 v54, s14, v28
	v_lshl_add_u32 v26, v54, 3, v54
	v_add_lshl_u32 v56, v42, v26, 2
	v_and_b32_e32 v26, 1, v54
	v_lshl_add_u64 v[28:29], v[26:27], 0, -1
	v_cmp_ne_u32_e32 vcc, 0, v26
	; wave barrier
	s_nop 1
	v_xor_b32_e32 v28, vcc_lo, v28
	v_xor_b32_e32 v26, vcc_hi, v29
	v_and_b32_e32 v55, exec_lo, v28
	v_lshlrev_b32_e32 v29, 30, v54
	v_mov_b32_e32 v28, v27
	v_cmp_gt_i64_e32 vcc, 0, v[28:29]
	v_not_b32_e32 v28, v29
	v_ashrrev_i32_e32 v28, 31, v28
	v_and_b32_e32 v26, exec_hi, v26
	v_xor_b32_e32 v29, vcc_hi, v28
	v_xor_b32_e32 v28, vcc_lo, v28
	v_and_b32_e32 v26, v26, v29
	v_and_b32_e32 v55, v55, v28
	v_lshlrev_b32_e32 v29, 29, v54
	v_mov_b32_e32 v28, v27
	v_cmp_gt_i64_e32 vcc, 0, v[28:29]
	v_not_b32_e32 v28, v29
	v_ashrrev_i32_e32 v28, 31, v28
	v_xor_b32_e32 v29, vcc_hi, v28
	v_xor_b32_e32 v28, vcc_lo, v28
	v_and_b32_e32 v26, v26, v29
	v_and_b32_e32 v55, v55, v28
	v_lshlrev_b32_e32 v29, 28, v54
	v_mov_b32_e32 v28, v27
	v_cmp_gt_i64_e32 vcc, 0, v[28:29]
	v_not_b32_e32 v28, v29
	v_ashrrev_i32_e32 v28, 31, v28
	;; [unrolled: 9-line block ×5, first 2 shown]
	v_xor_b32_e32 v29, vcc_hi, v28
	v_xor_b32_e32 v28, vcc_lo, v28
	v_and_b32_e32 v26, v26, v29
	v_lshlrev_b32_e32 v29, 24, v54
	v_and_b32_e32 v55, v55, v28
	v_mov_b32_e32 v28, v27
	v_not_b32_e32 v27, v29
	v_cmp_gt_i64_e32 vcc, 0, v[28:29]
	v_ashrrev_i32_e32 v27, 31, v27
	ds_read_b32 v52, v56 offset:32
	v_xor_b32_e32 v28, vcc_hi, v27
	v_xor_b32_e32 v29, vcc_lo, v27
	v_and_b32_e32 v27, v26, v28
	v_and_b32_e32 v26, v55, v29
	v_mbcnt_lo_u32_b32 v28, v26, 0
	v_mbcnt_hi_u32_b32 v54, v27, v28
	v_cmp_eq_u32_e32 vcc, 0, v54
	v_cmp_ne_u64_e64 s[0:1], 0, v[26:27]
	s_and_b64 s[4:5], s[0:1], vcc
	; wave barrier
	s_and_saveexec_b64 s[0:1], s[4:5]
	s_cbranch_execz .LBB1589_119
; %bb.118:
	v_bcnt_u32_b32 v26, v26, 0
	v_bcnt_u32_b32 v26, v27, v26
	s_waitcnt lgkmcnt(0)
	v_add_u32_e32 v26, v52, v26
	ds_write_b32 v56, v26 offset:32
.LBB1589_119:
	s_or_b64 exec, exec, s[0:1]
	s_waitcnt vmcnt(3)
	v_xor_b32_e32 v19, 0x80000000, v19
	v_lshrrev_b64 v[26:27], s20, v[18:19]
	v_and_b32_e32 v57, s14, v26
	v_lshl_add_u32 v26, v57, 3, v57
	v_add_lshl_u32 v59, v42, v26, 2
	v_and_b32_e32 v26, 1, v57
	v_mov_b32_e32 v27, 0
	v_lshl_add_u64 v[28:29], v[26:27], 0, -1
	v_cmp_ne_u32_e32 vcc, 0, v26
	; wave barrier
	s_nop 1
	v_xor_b32_e32 v28, vcc_lo, v28
	v_xor_b32_e32 v26, vcc_hi, v29
	v_and_b32_e32 v58, exec_lo, v28
	v_lshlrev_b32_e32 v29, 30, v57
	v_mov_b32_e32 v28, v27
	v_cmp_gt_i64_e32 vcc, 0, v[28:29]
	v_not_b32_e32 v28, v29
	v_ashrrev_i32_e32 v28, 31, v28
	v_and_b32_e32 v26, exec_hi, v26
	v_xor_b32_e32 v29, vcc_hi, v28
	v_xor_b32_e32 v28, vcc_lo, v28
	v_and_b32_e32 v26, v26, v29
	v_and_b32_e32 v58, v58, v28
	v_lshlrev_b32_e32 v29, 29, v57
	v_mov_b32_e32 v28, v27
	v_cmp_gt_i64_e32 vcc, 0, v[28:29]
	v_not_b32_e32 v28, v29
	v_ashrrev_i32_e32 v28, 31, v28
	v_xor_b32_e32 v29, vcc_hi, v28
	v_xor_b32_e32 v28, vcc_lo, v28
	v_and_b32_e32 v26, v26, v29
	v_and_b32_e32 v58, v58, v28
	v_lshlrev_b32_e32 v29, 28, v57
	v_mov_b32_e32 v28, v27
	v_cmp_gt_i64_e32 vcc, 0, v[28:29]
	v_not_b32_e32 v28, v29
	v_ashrrev_i32_e32 v28, 31, v28
	;; [unrolled: 9-line block ×6, first 2 shown]
	v_xor_b32_e32 v29, vcc_hi, v28
	v_xor_b32_e32 v28, vcc_lo, v28
	ds_read_b32 v55, v59 offset:32
	v_and_b32_e32 v28, v58, v28
	v_and_b32_e32 v29, v26, v29
	v_mbcnt_lo_u32_b32 v26, v28, 0
	v_mbcnt_hi_u32_b32 v57, v29, v26
	v_cmp_eq_u32_e32 vcc, 0, v57
	v_cmp_ne_u64_e64 s[0:1], 0, v[28:29]
	s_and_b64 s[4:5], s[0:1], vcc
	; wave barrier
	s_and_saveexec_b64 s[0:1], s[4:5]
	s_cbranch_execz .LBB1589_121
; %bb.120:
	v_bcnt_u32_b32 v26, v28, 0
	v_bcnt_u32_b32 v26, v29, v26
	s_waitcnt lgkmcnt(0)
	v_add_u32_e32 v26, v55, v26
	ds_write_b32 v59, v26 offset:32
.LBB1589_121:
	s_or_b64 exec, exec, s[0:1]
	s_waitcnt vmcnt(2)
	v_xor_b32_e32 v21, 0x80000000, v21
	v_lshrrev_b64 v[28:29], s20, v[20:21]
	v_and_b32_e32 v60, s14, v28
	v_lshl_add_u32 v26, v60, 3, v60
	v_add_lshl_u32 v62, v42, v26, 2
	v_and_b32_e32 v26, 1, v60
	v_lshl_add_u64 v[28:29], v[26:27], 0, -1
	v_cmp_ne_u32_e32 vcc, 0, v26
	; wave barrier
	s_nop 1
	v_xor_b32_e32 v28, vcc_lo, v28
	v_xor_b32_e32 v26, vcc_hi, v29
	v_and_b32_e32 v61, exec_lo, v28
	v_lshlrev_b32_e32 v29, 30, v60
	v_mov_b32_e32 v28, v27
	v_cmp_gt_i64_e32 vcc, 0, v[28:29]
	v_not_b32_e32 v28, v29
	v_ashrrev_i32_e32 v28, 31, v28
	v_and_b32_e32 v26, exec_hi, v26
	v_xor_b32_e32 v29, vcc_hi, v28
	v_xor_b32_e32 v28, vcc_lo, v28
	v_and_b32_e32 v26, v26, v29
	v_and_b32_e32 v61, v61, v28
	v_lshlrev_b32_e32 v29, 29, v60
	v_mov_b32_e32 v28, v27
	v_cmp_gt_i64_e32 vcc, 0, v[28:29]
	v_not_b32_e32 v28, v29
	v_ashrrev_i32_e32 v28, 31, v28
	v_xor_b32_e32 v29, vcc_hi, v28
	v_xor_b32_e32 v28, vcc_lo, v28
	v_and_b32_e32 v26, v26, v29
	v_and_b32_e32 v61, v61, v28
	v_lshlrev_b32_e32 v29, 28, v60
	v_mov_b32_e32 v28, v27
	v_cmp_gt_i64_e32 vcc, 0, v[28:29]
	v_not_b32_e32 v28, v29
	v_ashrrev_i32_e32 v28, 31, v28
	;; [unrolled: 9-line block ×5, first 2 shown]
	v_xor_b32_e32 v29, vcc_hi, v28
	v_xor_b32_e32 v28, vcc_lo, v28
	v_and_b32_e32 v26, v26, v29
	v_lshlrev_b32_e32 v29, 24, v60
	v_and_b32_e32 v61, v61, v28
	v_mov_b32_e32 v28, v27
	v_not_b32_e32 v27, v29
	v_cmp_gt_i64_e32 vcc, 0, v[28:29]
	v_ashrrev_i32_e32 v27, 31, v27
	ds_read_b32 v58, v62 offset:32
	v_xor_b32_e32 v28, vcc_hi, v27
	v_xor_b32_e32 v29, vcc_lo, v27
	v_and_b32_e32 v27, v26, v28
	v_and_b32_e32 v26, v61, v29
	v_mbcnt_lo_u32_b32 v28, v26, 0
	v_mbcnt_hi_u32_b32 v60, v27, v28
	v_cmp_eq_u32_e32 vcc, 0, v60
	v_cmp_ne_u64_e64 s[0:1], 0, v[26:27]
	s_and_b64 s[4:5], s[0:1], vcc
	; wave barrier
	s_and_saveexec_b64 s[0:1], s[4:5]
	s_cbranch_execz .LBB1589_123
; %bb.122:
	v_bcnt_u32_b32 v26, v26, 0
	v_bcnt_u32_b32 v26, v27, v26
	s_waitcnt lgkmcnt(0)
	v_add_u32_e32 v26, v58, v26
	ds_write_b32 v62, v26 offset:32
.LBB1589_123:
	s_or_b64 exec, exec, s[0:1]
	s_waitcnt vmcnt(1)
	v_xor_b32_e32 v23, 0x80000000, v23
	v_lshrrev_b64 v[26:27], s20, v[22:23]
	v_and_b32_e32 v63, s14, v26
	v_lshl_add_u32 v26, v63, 3, v63
	v_add_lshl_u32 v64, v42, v26, 2
	v_and_b32_e32 v26, 1, v63
	v_mov_b32_e32 v27, 0
	v_lshl_add_u64 v[28:29], v[26:27], 0, -1
	v_cmp_ne_u32_e32 vcc, 0, v26
	; wave barrier
	s_nop 1
	v_xor_b32_e32 v28, vcc_lo, v28
	v_xor_b32_e32 v26, vcc_hi, v29
	v_and_b32_e32 v65, exec_lo, v28
	v_lshlrev_b32_e32 v29, 30, v63
	v_mov_b32_e32 v28, v27
	v_cmp_gt_i64_e32 vcc, 0, v[28:29]
	v_not_b32_e32 v28, v29
	v_ashrrev_i32_e32 v28, 31, v28
	v_and_b32_e32 v26, exec_hi, v26
	v_xor_b32_e32 v29, vcc_hi, v28
	v_xor_b32_e32 v28, vcc_lo, v28
	v_and_b32_e32 v26, v26, v29
	v_and_b32_e32 v65, v65, v28
	v_lshlrev_b32_e32 v29, 29, v63
	v_mov_b32_e32 v28, v27
	v_cmp_gt_i64_e32 vcc, 0, v[28:29]
	v_not_b32_e32 v28, v29
	v_ashrrev_i32_e32 v28, 31, v28
	v_xor_b32_e32 v29, vcc_hi, v28
	v_xor_b32_e32 v28, vcc_lo, v28
	v_and_b32_e32 v26, v26, v29
	v_and_b32_e32 v65, v65, v28
	v_lshlrev_b32_e32 v29, 28, v63
	v_mov_b32_e32 v28, v27
	v_cmp_gt_i64_e32 vcc, 0, v[28:29]
	v_not_b32_e32 v28, v29
	v_ashrrev_i32_e32 v28, 31, v28
	;; [unrolled: 9-line block ×6, first 2 shown]
	v_xor_b32_e32 v29, vcc_hi, v28
	v_xor_b32_e32 v28, vcc_lo, v28
	ds_read_b32 v61, v64 offset:32
	v_and_b32_e32 v28, v65, v28
	v_and_b32_e32 v29, v26, v29
	v_mbcnt_lo_u32_b32 v26, v28, 0
	v_mbcnt_hi_u32_b32 v63, v29, v26
	v_cmp_eq_u32_e32 vcc, 0, v63
	v_cmp_ne_u64_e64 s[0:1], 0, v[28:29]
	s_and_b64 s[4:5], s[0:1], vcc
	; wave barrier
	s_and_saveexec_b64 s[0:1], s[4:5]
	s_cbranch_execz .LBB1589_125
; %bb.124:
	v_bcnt_u32_b32 v26, v28, 0
	v_bcnt_u32_b32 v26, v29, v26
	s_waitcnt lgkmcnt(0)
	v_add_u32_e32 v26, v61, v26
	ds_write_b32 v64, v26 offset:32
.LBB1589_125:
	s_or_b64 exec, exec, s[0:1]
	s_waitcnt vmcnt(0)
	v_xor_b32_e32 v25, 0x80000000, v25
	v_lshrrev_b64 v[28:29], s20, v[24:25]
	v_and_b32_e32 v65, s14, v28
	v_lshl_add_u32 v26, v65, 3, v65
	v_add_lshl_u32 v66, v42, v26, 2
	v_and_b32_e32 v26, 1, v65
	v_lshl_add_u64 v[28:29], v[26:27], 0, -1
	v_cmp_ne_u32_e32 vcc, 0, v26
	; wave barrier
	s_nop 1
	v_xor_b32_e32 v28, vcc_lo, v28
	v_xor_b32_e32 v26, vcc_hi, v29
	v_and_b32_e32 v68, exec_lo, v28
	v_lshlrev_b32_e32 v29, 30, v65
	v_mov_b32_e32 v28, v27
	v_cmp_gt_i64_e32 vcc, 0, v[28:29]
	v_not_b32_e32 v28, v29
	v_ashrrev_i32_e32 v28, 31, v28
	v_and_b32_e32 v26, exec_hi, v26
	v_xor_b32_e32 v29, vcc_hi, v28
	v_xor_b32_e32 v28, vcc_lo, v28
	v_and_b32_e32 v26, v26, v29
	v_and_b32_e32 v68, v68, v28
	v_lshlrev_b32_e32 v29, 29, v65
	v_mov_b32_e32 v28, v27
	v_cmp_gt_i64_e32 vcc, 0, v[28:29]
	v_not_b32_e32 v28, v29
	v_ashrrev_i32_e32 v28, 31, v28
	v_xor_b32_e32 v29, vcc_hi, v28
	v_xor_b32_e32 v28, vcc_lo, v28
	v_and_b32_e32 v26, v26, v29
	v_and_b32_e32 v68, v68, v28
	v_lshlrev_b32_e32 v29, 28, v65
	v_mov_b32_e32 v28, v27
	v_cmp_gt_i64_e32 vcc, 0, v[28:29]
	v_not_b32_e32 v28, v29
	v_ashrrev_i32_e32 v28, 31, v28
	;; [unrolled: 9-line block ×5, first 2 shown]
	v_xor_b32_e32 v29, vcc_hi, v28
	v_xor_b32_e32 v28, vcc_lo, v28
	v_and_b32_e32 v26, v26, v29
	v_lshlrev_b32_e32 v29, 24, v65
	v_and_b32_e32 v68, v68, v28
	v_mov_b32_e32 v28, v27
	v_not_b32_e32 v27, v29
	v_cmp_gt_i64_e32 vcc, 0, v[28:29]
	v_ashrrev_i32_e32 v27, 31, v27
	ds_read_b32 v42, v66 offset:32
	v_xor_b32_e32 v28, vcc_hi, v27
	v_xor_b32_e32 v29, vcc_lo, v27
	v_and_b32_e32 v27, v26, v28
	v_and_b32_e32 v26, v68, v29
	v_mbcnt_lo_u32_b32 v28, v26, 0
	v_mbcnt_hi_u32_b32 v65, v27, v28
	v_cmp_eq_u32_e32 vcc, 0, v65
	v_cmp_ne_u64_e64 s[0:1], 0, v[26:27]
	v_add_u32_e32 v67, 32, v31
	s_and_b64 s[4:5], s[0:1], vcc
	; wave barrier
	s_and_saveexec_b64 s[0:1], s[4:5]
	s_cbranch_execz .LBB1589_127
; %bb.126:
	v_bcnt_u32_b32 v26, v26, 0
	v_bcnt_u32_b32 v26, v27, v26
	s_waitcnt lgkmcnt(0)
	v_add_u32_e32 v26, v42, v26
	ds_write_b32 v66, v26 offset:32
.LBB1589_127:
	s_or_b64 exec, exec, s[0:1]
	; wave barrier
	s_waitcnt lgkmcnt(0)
	s_barrier
	ds_read2_b32 v[28:29], v31 offset0:8 offset1:9
	ds_read2_b32 v[26:27], v67 offset0:2 offset1:3
	ds_read_b32 v68, v67 offset:16
	v_min_u32_e32 v30, 0x1c0, v30
	v_or_b32_e32 v30, 63, v30
	s_waitcnt lgkmcnt(1)
	v_add3_u32 v69, v29, v28, v26
	s_waitcnt lgkmcnt(0)
	v_add3_u32 v68, v69, v27, v68
	v_and_b32_e32 v69, 15, v3
	v_cmp_ne_u32_e32 vcc, 0, v69
	v_mov_b32_dpp v70, v68 row_shr:1 row_mask:0xf bank_mask:0xf
	s_nop 0
	v_cndmask_b32_e32 v70, 0, v70, vcc
	v_add_u32_e32 v68, v70, v68
	v_cmp_lt_u32_e32 vcc, 1, v69
	s_nop 0
	v_mov_b32_dpp v70, v68 row_shr:2 row_mask:0xf bank_mask:0xf
	v_cndmask_b32_e32 v70, 0, v70, vcc
	v_add_u32_e32 v68, v68, v70
	v_cmp_lt_u32_e32 vcc, 3, v69
	s_nop 0
	v_mov_b32_dpp v70, v68 row_shr:4 row_mask:0xf bank_mask:0xf
	;; [unrolled: 5-line block ×3, first 2 shown]
	v_cndmask_b32_e32 v69, 0, v70, vcc
	v_add_u32_e32 v68, v68, v69
	v_bfe_i32 v70, v3, 4, 1
	v_cmp_lt_u32_e32 vcc, 31, v3
	v_mov_b32_dpp v69, v68 row_bcast:15 row_mask:0xf bank_mask:0xf
	v_and_b32_e32 v69, v70, v69
	v_add_u32_e32 v68, v68, v69
	v_lshrrev_b32_e32 v70, 6, v2
	s_nop 0
	v_mov_b32_dpp v69, v68 row_bcast:31 row_mask:0xf bank_mask:0xf
	v_cndmask_b32_e32 v69, 0, v69, vcc
	v_add_u32_e32 v69, v68, v69
	v_cmp_eq_u32_e32 vcc, v30, v2
	s_and_saveexec_b64 s[0:1], vcc
	s_cbranch_execz .LBB1589_129
; %bb.128:
	v_lshlrev_b32_e32 v30, 2, v70
	ds_write_b32 v30, v69
.LBB1589_129:
	s_or_b64 exec, exec, s[0:1]
	v_cmp_gt_u32_e32 vcc, 8, v2
	v_lshlrev_b32_e32 v68, 2, v2
	s_waitcnt lgkmcnt(0)
	s_barrier
	s_and_saveexec_b64 s[0:1], vcc
	s_cbranch_execz .LBB1589_131
; %bb.130:
	ds_read_b32 v30, v68
	v_and_b32_e32 v71, 7, v3
	v_cmp_ne_u32_e32 vcc, 0, v71
	s_waitcnt lgkmcnt(0)
	v_mov_b32_dpp v72, v30 row_shr:1 row_mask:0xf bank_mask:0xf
	v_cndmask_b32_e32 v72, 0, v72, vcc
	v_add_u32_e32 v30, v72, v30
	v_cmp_lt_u32_e32 vcc, 1, v71
	s_nop 0
	v_mov_b32_dpp v72, v30 row_shr:2 row_mask:0xf bank_mask:0xf
	v_cndmask_b32_e32 v72, 0, v72, vcc
	v_add_u32_e32 v30, v30, v72
	v_cmp_lt_u32_e32 vcc, 3, v71
	s_nop 0
	v_mov_b32_dpp v72, v30 row_shr:4 row_mask:0xf bank_mask:0xf
	v_cndmask_b32_e32 v71, 0, v72, vcc
	v_add_u32_e32 v30, v30, v71
	ds_write_b32 v68, v30
.LBB1589_131:
	s_or_b64 exec, exec, s[0:1]
	v_cmp_lt_u32_e32 vcc, 63, v2
	v_mov_b32_e32 v30, 0
	s_waitcnt lgkmcnt(0)
	s_barrier
	s_and_saveexec_b64 s[0:1], vcc
	s_cbranch_execz .LBB1589_133
; %bb.132:
	v_lshl_add_u32 v30, v70, 2, -4
	ds_read_b32 v30, v30
.LBB1589_133:
	s_or_b64 exec, exec, s[0:1]
	v_add_u32_e32 v70, -1, v3
	v_and_b32_e32 v71, 64, v3
	v_cmp_lt_i32_e32 vcc, v70, v71
	s_waitcnt lgkmcnt(0)
	v_add_u32_e32 v69, v30, v69
	s_movk_i32 s0, 0x100
	v_cndmask_b32_e32 v70, v70, v3, vcc
	v_lshlrev_b32_e32 v70, 2, v70
	ds_bpermute_b32 v69, v70, v69
	v_cmp_eq_u32_e32 vcc, 0, v3
	s_waitcnt lgkmcnt(0)
	s_nop 0
	v_cndmask_b32_e32 v3, v69, v30, vcc
	v_cmp_ne_u32_e32 vcc, 0, v2
	s_nop 1
	v_cndmask_b32_e32 v3, 0, v3, vcc
	v_add_u32_e32 v28, v3, v28
	v_add_u32_e32 v29, v28, v29
	v_add_u32_e32 v26, v29, v26
	v_add_u32_e32 v27, v26, v27
	ds_write2_b32 v31, v3, v28 offset0:8 offset1:9
	ds_write2_b32 v67, v29, v26 offset0:2 offset1:3
	ds_write_b32 v67, v27 offset:16
	s_waitcnt lgkmcnt(0)
	s_barrier
	ds_read_b32 v74, v35 offset:32
	ds_read_b32 v67, v37 offset:32
	ds_read_b32 v69, v40 offset:32
	ds_read_b32 v70, v44 offset:32
	ds_read_b32 v71, v47 offset:32
	ds_read_b32 v72, v50 offset:32
	ds_read_b32 v73, v53 offset:32
	ds_read_b32 v56, v56 offset:32
	ds_read_b32 v50, v59 offset:32
	ds_read_b32 v44, v62 offset:32
	ds_read_b32 v40, v64 offset:32
	ds_read_b32 v37, v66 offset:32
	v_cmp_gt_u32_e32 vcc, s0, v2
                                        ; implicit-def: $vgpr3
                                        ; implicit-def: $vgpr35
	s_and_saveexec_b64 s[4:5], vcc
	s_cbranch_execz .LBB1589_137
; %bb.134:
	v_mul_u32_u24_e32 v3, 9, v2
	v_lshlrev_b32_e32 v27, 2, v3
	ds_read_b32 v3, v27 offset:32
	s_movk_i32 s0, 0xff
	v_cmp_ne_u32_e64 s[0:1], s0, v2
	v_mov_b32_e32 v26, 0x1800
	s_and_saveexec_b64 s[6:7], s[0:1]
	s_cbranch_execz .LBB1589_136
; %bb.135:
	ds_read_b32 v26, v27 offset:68
.LBB1589_136:
	s_or_b64 exec, exec, s[6:7]
	s_waitcnt lgkmcnt(0)
	v_sub_u32_e32 v35, v26, v3
.LBB1589_137:
	s_or_b64 exec, exec, s[4:5]
	s_waitcnt lgkmcnt(0)
	s_barrier
	s_and_saveexec_b64 s[4:5], vcc
	s_cbranch_execz .LBB1589_147
; %bb.138:
	v_lshl_or_b32 v28, s2, 8, v2
	v_mov_b32_e32 v29, 0
	v_lshl_add_u64 v[26:27], v[28:29], 2, s[28:29]
	v_or_b32_e32 v28, 2.0, v35
	s_mov_b64 s[6:7], 0
	s_brev_b32 s15, 1
	s_mov_b32 s21, s2
	v_mov_b32_e32 v47, 0
	global_store_dword v[26:27], v28, off sc1
                                        ; implicit-def: $sgpr0_sgpr1
	s_branch .LBB1589_141
.LBB1589_139:                           ;   in Loop: Header=BB1589_141 Depth=1
	s_or_b64 exec, exec, s[12:13]
.LBB1589_140:                           ;   in Loop: Header=BB1589_141 Depth=1
	s_or_b64 exec, exec, s[10:11]
	v_and_b32_e32 v30, 0x3fffffff, v53
	v_add_u32_e32 v47, v30, v47
	v_cmp_eq_u32_e64 s[0:1], s15, v28
	s_and_b64 s[10:11], exec, s[0:1]
	s_or_b64 s[6:7], s[10:11], s[6:7]
	s_andn2_b64 exec, exec, s[6:7]
	s_cbranch_execz .LBB1589_146
.LBB1589_141:                           ; =>This Loop Header: Depth=1
                                        ;     Child Loop BB1589_144 Depth 2
	s_or_b64 s[0:1], s[0:1], exec
	s_cmp_eq_u32 s21, 0
	s_cbranch_scc1 .LBB1589_145
; %bb.142:                              ;   in Loop: Header=BB1589_141 Depth=1
	s_add_i32 s21, s21, -1
	v_lshl_or_b32 v28, s21, 8, v2
	v_lshl_add_u64 v[30:31], v[28:29], 2, s[28:29]
	global_load_dword v53, v[30:31], off sc1
	s_waitcnt vmcnt(0)
	v_and_b32_e32 v28, -2.0, v53
	v_cmp_eq_u32_e64 s[0:1], 0, v28
	s_and_saveexec_b64 s[10:11], s[0:1]
	s_cbranch_execz .LBB1589_140
; %bb.143:                              ;   in Loop: Header=BB1589_141 Depth=1
	s_mov_b64 s[12:13], 0
.LBB1589_144:                           ;   Parent Loop BB1589_141 Depth=1
                                        ; =>  This Inner Loop Header: Depth=2
	global_load_dword v53, v[30:31], off sc1
	s_waitcnt vmcnt(0)
	v_and_b32_e32 v28, -2.0, v53
	v_cmp_ne_u32_e64 s[0:1], 0, v28
	s_or_b64 s[12:13], s[0:1], s[12:13]
	s_andn2_b64 exec, exec, s[12:13]
	s_cbranch_execnz .LBB1589_144
	s_branch .LBB1589_139
.LBB1589_145:                           ;   in Loop: Header=BB1589_141 Depth=1
                                        ; implicit-def: $sgpr21
	s_and_b64 s[10:11], exec, s[0:1]
	s_or_b64 s[6:7], s[10:11], s[6:7]
	s_andn2_b64 exec, exec, s[6:7]
	s_cbranch_execnz .LBB1589_141
.LBB1589_146:
	s_or_b64 exec, exec, s[6:7]
	v_add_u32_e32 v28, v47, v35
	v_or_b32_e32 v28, 0x80000000, v28
	global_store_dword v[26:27], v28, off sc1
	global_load_dword v26, v68, s[16:17]
	v_sub_u32_e32 v27, v47, v3
	s_waitcnt vmcnt(0)
	v_add_u32_e32 v26, v27, v26
	ds_write_b32 v68, v26
.LBB1589_147:
	s_or_b64 exec, exec, s[4:5]
	v_add_u32_e32 v28, v74, v33
	v_add3_u32 v26, v34, v32, v67
	v_add3_u32 v27, v38, v36, v69
	;; [unrolled: 1-line block ×11, first 2 shown]
	v_lshlrev_b32_e32 v29, 3, v2
	v_mov_b32_e32 v75, 0x400
	s_movk_i32 s6, 0x400
	v_add_u32_e32 v30, 0x400, v29
	v_lshl_add_u32 v31, v31, 3, v75
	v_add3_u32 v33, v65, v37, v42
	v_lshl_add_u32 v37, v74, 3, v75
	v_add3_u32 v40, v63, v40, v61
	;; [unrolled: 2-line block ×11, first 2 shown]
	v_lshl_add_u32 v34, v28, 3, v75
	s_mov_b32 s7, 0
	s_movk_i32 s10, 0x200
	v_mov_b32_e32 v27, 0
	v_mov_b32_e32 v55, v2
	s_mov_b32 s11, 0
	s_branch .LBB1589_149
.LBB1589_148:                           ;   in Loop: Header=BB1589_149 Depth=1
	s_or_b64 exec, exec, s[4:5]
	s_waitcnt lgkmcnt(0)
	s_barrier
	ds_read_b64 v[56:57], v29 offset:1024
	ds_read_b64 v[58:59], v30 offset:4096
	s_addk_i32 s11, 0xe000
	s_addk_i32 s7, 0xfc00
	s_cmp_eq_u32 s11, 0xffff4000
	s_waitcnt lgkmcnt(1)
	v_lshrrev_b64 v[60:61], s20, v[56:57]
	v_and_b32_e32 v26, s14, v60
	s_waitcnt lgkmcnt(0)
	v_lshrrev_b64 v[60:61], s20, v[58:59]
	v_lshlrev_b32_e32 v26, 2, v26
	v_and_b32_e32 v60, s14, v60
	ds_read_b32 v26, v26
	v_lshlrev_b32_e32 v60, 2, v60
	ds_read_b32 v62, v60
	v_xor_b32_e32 v57, 0x80000000, v57
	v_xor_b32_e32 v59, 0x80000000, v59
	s_waitcnt lgkmcnt(1)
	v_add_u32_e32 v26, v55, v26
	v_lshl_add_u64 v[60:61], v[26:27], 3, s[26:27]
	s_waitcnt lgkmcnt(0)
	v_add3_u32 v26, v55, v62, s10
	global_store_dwordx2 v[60:61], v[56:57], off
	v_lshl_add_u64 v[56:57], v[26:27], 3, s[26:27]
	v_add_u32_e32 v55, 0x400, v55
	global_store_dwordx2 v[56:57], v[58:59], off
	s_barrier
	s_cbranch_scc1 .LBB1589_173
.LBB1589_149:                           ; =>This Inner Loop Header: Depth=1
	v_add_u32_e32 v26, s7, v28
	v_cmp_gt_u32_e64 s[0:1], s6, v26
	s_and_saveexec_b64 s[4:5], s[0:1]
	s_cbranch_execz .LBB1589_151
; %bb.150:                              ;   in Loop: Header=BB1589_149 Depth=1
	v_add_u32_e32 v26, s11, v34
	ds_write_b64 v26, v[4:5]
.LBB1589_151:                           ;   in Loop: Header=BB1589_149 Depth=1
	s_or_b64 exec, exec, s[4:5]
	v_add_u32_e32 v26, s7, v32
	v_cmp_gt_u32_e64 s[0:1], s6, v26
	s_and_saveexec_b64 s[4:5], s[0:1]
	s_cbranch_execz .LBB1589_153
; %bb.152:                              ;   in Loop: Header=BB1589_149 Depth=1
	v_add_u32_e32 v26, s11, v38
	ds_write_b64 v26, v[0:1]
.LBB1589_153:                           ;   in Loop: Header=BB1589_149 Depth=1
	s_or_b64 exec, exec, s[4:5]
	;; [unrolled: 9-line block ×11, first 2 shown]
	v_add_u32_e32 v26, s7, v33
	v_cmp_gt_u32_e64 s[0:1], s6, v26
	s_and_saveexec_b64 s[4:5], s[0:1]
	s_cbranch_execz .LBB1589_148
; %bb.172:                              ;   in Loop: Header=BB1589_149 Depth=1
	v_add_u32_e32 v26, s11, v31
	ds_write_b64 v26, v[24:25]
	s_branch .LBB1589_148
.LBB1589_173:
	s_add_i32 s3, s3, -1
	s_cmp_eq_u32 s3, s2
	s_cselect_b64 s[0:1], -1, 0
	s_and_b64 s[2:3], vcc, s[0:1]
                                        ; implicit-def: $vgpr4
	s_and_saveexec_b64 s[0:1], s[2:3]
; %bb.174:
	v_add_u32_e32 v4, v3, v35
	s_or_b64 s[8:9], s[8:9], exec
; %bb.175:
	s_or_b64 exec, exec, s[0:1]
.LBB1589_176:
	s_and_saveexec_b64 s[0:1], s[8:9]
	s_cbranch_execnz .LBB1589_178
; %bb.177:
	s_endpgm
.LBB1589_178:
	v_lshlrev_b32_e32 v0, 2, v2
	ds_read_b32 v5, v0
	v_mov_b32_e32 v0, s18
	v_mov_b32_e32 v1, s19
	;; [unrolled: 1-line block ×3, first 2 shown]
	v_lshl_add_u64 v[0:1], v[2:3], 2, v[0:1]
	s_waitcnt lgkmcnt(0)
	v_add_u32_e32 v2, v5, v4
	global_store_dword v[0:1], v2, off
	s_endpgm
	.section	.rodata,"a",@progbits
	.p2align	6, 0x0
	.amdhsa_kernel _ZN7rocprim17ROCPRIM_400000_NS6detail17trampoline_kernelINS0_14default_configENS1_35radix_sort_onesweep_config_selectorIxNS0_10empty_typeEEEZZNS1_29radix_sort_onesweep_iterationIS3_Lb0EN6thrust23THRUST_200600_302600_NS6detail15normal_iteratorINS9_10device_ptrIxEEEESE_PS5_SF_jNS0_19identity_decomposerENS1_16block_id_wrapperIjLb0EEEEE10hipError_tT1_PNSt15iterator_traitsISK_E10value_typeET2_T3_PNSL_ISQ_E10value_typeET4_T5_PSV_SW_PNS1_23onesweep_lookback_stateEbbT6_jjT7_P12ihipStream_tbENKUlT_T0_SK_SP_E_clIPxSE_SF_SF_EEDaS13_S14_SK_SP_EUlS13_E_NS1_11comp_targetILNS1_3genE5ELNS1_11target_archE942ELNS1_3gpuE9ELNS1_3repE0EEENS1_47radix_sort_onesweep_sort_config_static_selectorELNS0_4arch9wavefront6targetE1EEEvSK_
		.amdhsa_group_segment_fixed_size 10280
		.amdhsa_private_segment_fixed_size 0
		.amdhsa_kernarg_size 344
		.amdhsa_user_sgpr_count 2
		.amdhsa_user_sgpr_dispatch_ptr 0
		.amdhsa_user_sgpr_queue_ptr 0
		.amdhsa_user_sgpr_kernarg_segment_ptr 1
		.amdhsa_user_sgpr_dispatch_id 0
		.amdhsa_user_sgpr_kernarg_preload_length 0
		.amdhsa_user_sgpr_kernarg_preload_offset 0
		.amdhsa_user_sgpr_private_segment_size 0
		.amdhsa_uses_dynamic_stack 0
		.amdhsa_enable_private_segment 0
		.amdhsa_system_sgpr_workgroup_id_x 1
		.amdhsa_system_sgpr_workgroup_id_y 0
		.amdhsa_system_sgpr_workgroup_id_z 0
		.amdhsa_system_sgpr_workgroup_info 0
		.amdhsa_system_vgpr_workitem_id 2
		.amdhsa_next_free_vgpr 78
		.amdhsa_next_free_sgpr 32
		.amdhsa_accum_offset 80
		.amdhsa_reserve_vcc 1
		.amdhsa_float_round_mode_32 0
		.amdhsa_float_round_mode_16_64 0
		.amdhsa_float_denorm_mode_32 3
		.amdhsa_float_denorm_mode_16_64 3
		.amdhsa_dx10_clamp 1
		.amdhsa_ieee_mode 1
		.amdhsa_fp16_overflow 0
		.amdhsa_tg_split 0
		.amdhsa_exception_fp_ieee_invalid_op 0
		.amdhsa_exception_fp_denorm_src 0
		.amdhsa_exception_fp_ieee_div_zero 0
		.amdhsa_exception_fp_ieee_overflow 0
		.amdhsa_exception_fp_ieee_underflow 0
		.amdhsa_exception_fp_ieee_inexact 0
		.amdhsa_exception_int_div_zero 0
	.end_amdhsa_kernel
	.section	.text._ZN7rocprim17ROCPRIM_400000_NS6detail17trampoline_kernelINS0_14default_configENS1_35radix_sort_onesweep_config_selectorIxNS0_10empty_typeEEEZZNS1_29radix_sort_onesweep_iterationIS3_Lb0EN6thrust23THRUST_200600_302600_NS6detail15normal_iteratorINS9_10device_ptrIxEEEESE_PS5_SF_jNS0_19identity_decomposerENS1_16block_id_wrapperIjLb0EEEEE10hipError_tT1_PNSt15iterator_traitsISK_E10value_typeET2_T3_PNSL_ISQ_E10value_typeET4_T5_PSV_SW_PNS1_23onesweep_lookback_stateEbbT6_jjT7_P12ihipStream_tbENKUlT_T0_SK_SP_E_clIPxSE_SF_SF_EEDaS13_S14_SK_SP_EUlS13_E_NS1_11comp_targetILNS1_3genE5ELNS1_11target_archE942ELNS1_3gpuE9ELNS1_3repE0EEENS1_47radix_sort_onesweep_sort_config_static_selectorELNS0_4arch9wavefront6targetE1EEEvSK_,"axG",@progbits,_ZN7rocprim17ROCPRIM_400000_NS6detail17trampoline_kernelINS0_14default_configENS1_35radix_sort_onesweep_config_selectorIxNS0_10empty_typeEEEZZNS1_29radix_sort_onesweep_iterationIS3_Lb0EN6thrust23THRUST_200600_302600_NS6detail15normal_iteratorINS9_10device_ptrIxEEEESE_PS5_SF_jNS0_19identity_decomposerENS1_16block_id_wrapperIjLb0EEEEE10hipError_tT1_PNSt15iterator_traitsISK_E10value_typeET2_T3_PNSL_ISQ_E10value_typeET4_T5_PSV_SW_PNS1_23onesweep_lookback_stateEbbT6_jjT7_P12ihipStream_tbENKUlT_T0_SK_SP_E_clIPxSE_SF_SF_EEDaS13_S14_SK_SP_EUlS13_E_NS1_11comp_targetILNS1_3genE5ELNS1_11target_archE942ELNS1_3gpuE9ELNS1_3repE0EEENS1_47radix_sort_onesweep_sort_config_static_selectorELNS0_4arch9wavefront6targetE1EEEvSK_,comdat
.Lfunc_end1589:
	.size	_ZN7rocprim17ROCPRIM_400000_NS6detail17trampoline_kernelINS0_14default_configENS1_35radix_sort_onesweep_config_selectorIxNS0_10empty_typeEEEZZNS1_29radix_sort_onesweep_iterationIS3_Lb0EN6thrust23THRUST_200600_302600_NS6detail15normal_iteratorINS9_10device_ptrIxEEEESE_PS5_SF_jNS0_19identity_decomposerENS1_16block_id_wrapperIjLb0EEEEE10hipError_tT1_PNSt15iterator_traitsISK_E10value_typeET2_T3_PNSL_ISQ_E10value_typeET4_T5_PSV_SW_PNS1_23onesweep_lookback_stateEbbT6_jjT7_P12ihipStream_tbENKUlT_T0_SK_SP_E_clIPxSE_SF_SF_EEDaS13_S14_SK_SP_EUlS13_E_NS1_11comp_targetILNS1_3genE5ELNS1_11target_archE942ELNS1_3gpuE9ELNS1_3repE0EEENS1_47radix_sort_onesweep_sort_config_static_selectorELNS0_4arch9wavefront6targetE1EEEvSK_, .Lfunc_end1589-_ZN7rocprim17ROCPRIM_400000_NS6detail17trampoline_kernelINS0_14default_configENS1_35radix_sort_onesweep_config_selectorIxNS0_10empty_typeEEEZZNS1_29radix_sort_onesweep_iterationIS3_Lb0EN6thrust23THRUST_200600_302600_NS6detail15normal_iteratorINS9_10device_ptrIxEEEESE_PS5_SF_jNS0_19identity_decomposerENS1_16block_id_wrapperIjLb0EEEEE10hipError_tT1_PNSt15iterator_traitsISK_E10value_typeET2_T3_PNSL_ISQ_E10value_typeET4_T5_PSV_SW_PNS1_23onesweep_lookback_stateEbbT6_jjT7_P12ihipStream_tbENKUlT_T0_SK_SP_E_clIPxSE_SF_SF_EEDaS13_S14_SK_SP_EUlS13_E_NS1_11comp_targetILNS1_3genE5ELNS1_11target_archE942ELNS1_3gpuE9ELNS1_3repE0EEENS1_47radix_sort_onesweep_sort_config_static_selectorELNS0_4arch9wavefront6targetE1EEEvSK_
                                        ; -- End function
	.section	.AMDGPU.csdata,"",@progbits
; Kernel info:
; codeLenInByte = 15160
; NumSgprs: 38
; NumVgprs: 78
; NumAgprs: 0
; TotalNumVgprs: 78
; ScratchSize: 0
; MemoryBound: 0
; FloatMode: 240
; IeeeMode: 1
; LDSByteSize: 10280 bytes/workgroup (compile time only)
; SGPRBlocks: 4
; VGPRBlocks: 9
; NumSGPRsForWavesPerEU: 38
; NumVGPRsForWavesPerEU: 78
; AccumOffset: 80
; Occupancy: 6
; WaveLimiterHint : 1
; COMPUTE_PGM_RSRC2:SCRATCH_EN: 0
; COMPUTE_PGM_RSRC2:USER_SGPR: 2
; COMPUTE_PGM_RSRC2:TRAP_HANDLER: 0
; COMPUTE_PGM_RSRC2:TGID_X_EN: 1
; COMPUTE_PGM_RSRC2:TGID_Y_EN: 0
; COMPUTE_PGM_RSRC2:TGID_Z_EN: 0
; COMPUTE_PGM_RSRC2:TIDIG_COMP_CNT: 2
; COMPUTE_PGM_RSRC3_GFX90A:ACCUM_OFFSET: 19
; COMPUTE_PGM_RSRC3_GFX90A:TG_SPLIT: 0
	.section	.text._ZN7rocprim17ROCPRIM_400000_NS6detail17trampoline_kernelINS0_14default_configENS1_35radix_sort_onesweep_config_selectorIxNS0_10empty_typeEEEZZNS1_29radix_sort_onesweep_iterationIS3_Lb0EN6thrust23THRUST_200600_302600_NS6detail15normal_iteratorINS9_10device_ptrIxEEEESE_PS5_SF_jNS0_19identity_decomposerENS1_16block_id_wrapperIjLb0EEEEE10hipError_tT1_PNSt15iterator_traitsISK_E10value_typeET2_T3_PNSL_ISQ_E10value_typeET4_T5_PSV_SW_PNS1_23onesweep_lookback_stateEbbT6_jjT7_P12ihipStream_tbENKUlT_T0_SK_SP_E_clIPxSE_SF_SF_EEDaS13_S14_SK_SP_EUlS13_E_NS1_11comp_targetILNS1_3genE2ELNS1_11target_archE906ELNS1_3gpuE6ELNS1_3repE0EEENS1_47radix_sort_onesweep_sort_config_static_selectorELNS0_4arch9wavefront6targetE1EEEvSK_,"axG",@progbits,_ZN7rocprim17ROCPRIM_400000_NS6detail17trampoline_kernelINS0_14default_configENS1_35radix_sort_onesweep_config_selectorIxNS0_10empty_typeEEEZZNS1_29radix_sort_onesweep_iterationIS3_Lb0EN6thrust23THRUST_200600_302600_NS6detail15normal_iteratorINS9_10device_ptrIxEEEESE_PS5_SF_jNS0_19identity_decomposerENS1_16block_id_wrapperIjLb0EEEEE10hipError_tT1_PNSt15iterator_traitsISK_E10value_typeET2_T3_PNSL_ISQ_E10value_typeET4_T5_PSV_SW_PNS1_23onesweep_lookback_stateEbbT6_jjT7_P12ihipStream_tbENKUlT_T0_SK_SP_E_clIPxSE_SF_SF_EEDaS13_S14_SK_SP_EUlS13_E_NS1_11comp_targetILNS1_3genE2ELNS1_11target_archE906ELNS1_3gpuE6ELNS1_3repE0EEENS1_47radix_sort_onesweep_sort_config_static_selectorELNS0_4arch9wavefront6targetE1EEEvSK_,comdat
	.protected	_ZN7rocprim17ROCPRIM_400000_NS6detail17trampoline_kernelINS0_14default_configENS1_35radix_sort_onesweep_config_selectorIxNS0_10empty_typeEEEZZNS1_29radix_sort_onesweep_iterationIS3_Lb0EN6thrust23THRUST_200600_302600_NS6detail15normal_iteratorINS9_10device_ptrIxEEEESE_PS5_SF_jNS0_19identity_decomposerENS1_16block_id_wrapperIjLb0EEEEE10hipError_tT1_PNSt15iterator_traitsISK_E10value_typeET2_T3_PNSL_ISQ_E10value_typeET4_T5_PSV_SW_PNS1_23onesweep_lookback_stateEbbT6_jjT7_P12ihipStream_tbENKUlT_T0_SK_SP_E_clIPxSE_SF_SF_EEDaS13_S14_SK_SP_EUlS13_E_NS1_11comp_targetILNS1_3genE2ELNS1_11target_archE906ELNS1_3gpuE6ELNS1_3repE0EEENS1_47radix_sort_onesweep_sort_config_static_selectorELNS0_4arch9wavefront6targetE1EEEvSK_ ; -- Begin function _ZN7rocprim17ROCPRIM_400000_NS6detail17trampoline_kernelINS0_14default_configENS1_35radix_sort_onesweep_config_selectorIxNS0_10empty_typeEEEZZNS1_29radix_sort_onesweep_iterationIS3_Lb0EN6thrust23THRUST_200600_302600_NS6detail15normal_iteratorINS9_10device_ptrIxEEEESE_PS5_SF_jNS0_19identity_decomposerENS1_16block_id_wrapperIjLb0EEEEE10hipError_tT1_PNSt15iterator_traitsISK_E10value_typeET2_T3_PNSL_ISQ_E10value_typeET4_T5_PSV_SW_PNS1_23onesweep_lookback_stateEbbT6_jjT7_P12ihipStream_tbENKUlT_T0_SK_SP_E_clIPxSE_SF_SF_EEDaS13_S14_SK_SP_EUlS13_E_NS1_11comp_targetILNS1_3genE2ELNS1_11target_archE906ELNS1_3gpuE6ELNS1_3repE0EEENS1_47radix_sort_onesweep_sort_config_static_selectorELNS0_4arch9wavefront6targetE1EEEvSK_
	.globl	_ZN7rocprim17ROCPRIM_400000_NS6detail17trampoline_kernelINS0_14default_configENS1_35radix_sort_onesweep_config_selectorIxNS0_10empty_typeEEEZZNS1_29radix_sort_onesweep_iterationIS3_Lb0EN6thrust23THRUST_200600_302600_NS6detail15normal_iteratorINS9_10device_ptrIxEEEESE_PS5_SF_jNS0_19identity_decomposerENS1_16block_id_wrapperIjLb0EEEEE10hipError_tT1_PNSt15iterator_traitsISK_E10value_typeET2_T3_PNSL_ISQ_E10value_typeET4_T5_PSV_SW_PNS1_23onesweep_lookback_stateEbbT6_jjT7_P12ihipStream_tbENKUlT_T0_SK_SP_E_clIPxSE_SF_SF_EEDaS13_S14_SK_SP_EUlS13_E_NS1_11comp_targetILNS1_3genE2ELNS1_11target_archE906ELNS1_3gpuE6ELNS1_3repE0EEENS1_47radix_sort_onesweep_sort_config_static_selectorELNS0_4arch9wavefront6targetE1EEEvSK_
	.p2align	8
	.type	_ZN7rocprim17ROCPRIM_400000_NS6detail17trampoline_kernelINS0_14default_configENS1_35radix_sort_onesweep_config_selectorIxNS0_10empty_typeEEEZZNS1_29radix_sort_onesweep_iterationIS3_Lb0EN6thrust23THRUST_200600_302600_NS6detail15normal_iteratorINS9_10device_ptrIxEEEESE_PS5_SF_jNS0_19identity_decomposerENS1_16block_id_wrapperIjLb0EEEEE10hipError_tT1_PNSt15iterator_traitsISK_E10value_typeET2_T3_PNSL_ISQ_E10value_typeET4_T5_PSV_SW_PNS1_23onesweep_lookback_stateEbbT6_jjT7_P12ihipStream_tbENKUlT_T0_SK_SP_E_clIPxSE_SF_SF_EEDaS13_S14_SK_SP_EUlS13_E_NS1_11comp_targetILNS1_3genE2ELNS1_11target_archE906ELNS1_3gpuE6ELNS1_3repE0EEENS1_47radix_sort_onesweep_sort_config_static_selectorELNS0_4arch9wavefront6targetE1EEEvSK_,@function
_ZN7rocprim17ROCPRIM_400000_NS6detail17trampoline_kernelINS0_14default_configENS1_35radix_sort_onesweep_config_selectorIxNS0_10empty_typeEEEZZNS1_29radix_sort_onesweep_iterationIS3_Lb0EN6thrust23THRUST_200600_302600_NS6detail15normal_iteratorINS9_10device_ptrIxEEEESE_PS5_SF_jNS0_19identity_decomposerENS1_16block_id_wrapperIjLb0EEEEE10hipError_tT1_PNSt15iterator_traitsISK_E10value_typeET2_T3_PNSL_ISQ_E10value_typeET4_T5_PSV_SW_PNS1_23onesweep_lookback_stateEbbT6_jjT7_P12ihipStream_tbENKUlT_T0_SK_SP_E_clIPxSE_SF_SF_EEDaS13_S14_SK_SP_EUlS13_E_NS1_11comp_targetILNS1_3genE2ELNS1_11target_archE906ELNS1_3gpuE6ELNS1_3repE0EEENS1_47radix_sort_onesweep_sort_config_static_selectorELNS0_4arch9wavefront6targetE1EEEvSK_: ; @_ZN7rocprim17ROCPRIM_400000_NS6detail17trampoline_kernelINS0_14default_configENS1_35radix_sort_onesweep_config_selectorIxNS0_10empty_typeEEEZZNS1_29radix_sort_onesweep_iterationIS3_Lb0EN6thrust23THRUST_200600_302600_NS6detail15normal_iteratorINS9_10device_ptrIxEEEESE_PS5_SF_jNS0_19identity_decomposerENS1_16block_id_wrapperIjLb0EEEEE10hipError_tT1_PNSt15iterator_traitsISK_E10value_typeET2_T3_PNSL_ISQ_E10value_typeET4_T5_PSV_SW_PNS1_23onesweep_lookback_stateEbbT6_jjT7_P12ihipStream_tbENKUlT_T0_SK_SP_E_clIPxSE_SF_SF_EEDaS13_S14_SK_SP_EUlS13_E_NS1_11comp_targetILNS1_3genE2ELNS1_11target_archE906ELNS1_3gpuE6ELNS1_3repE0EEENS1_47radix_sort_onesweep_sort_config_static_selectorELNS0_4arch9wavefront6targetE1EEEvSK_
; %bb.0:
	.section	.rodata,"a",@progbits
	.p2align	6, 0x0
	.amdhsa_kernel _ZN7rocprim17ROCPRIM_400000_NS6detail17trampoline_kernelINS0_14default_configENS1_35radix_sort_onesweep_config_selectorIxNS0_10empty_typeEEEZZNS1_29radix_sort_onesweep_iterationIS3_Lb0EN6thrust23THRUST_200600_302600_NS6detail15normal_iteratorINS9_10device_ptrIxEEEESE_PS5_SF_jNS0_19identity_decomposerENS1_16block_id_wrapperIjLb0EEEEE10hipError_tT1_PNSt15iterator_traitsISK_E10value_typeET2_T3_PNSL_ISQ_E10value_typeET4_T5_PSV_SW_PNS1_23onesweep_lookback_stateEbbT6_jjT7_P12ihipStream_tbENKUlT_T0_SK_SP_E_clIPxSE_SF_SF_EEDaS13_S14_SK_SP_EUlS13_E_NS1_11comp_targetILNS1_3genE2ELNS1_11target_archE906ELNS1_3gpuE6ELNS1_3repE0EEENS1_47radix_sort_onesweep_sort_config_static_selectorELNS0_4arch9wavefront6targetE1EEEvSK_
		.amdhsa_group_segment_fixed_size 0
		.amdhsa_private_segment_fixed_size 0
		.amdhsa_kernarg_size 88
		.amdhsa_user_sgpr_count 2
		.amdhsa_user_sgpr_dispatch_ptr 0
		.amdhsa_user_sgpr_queue_ptr 0
		.amdhsa_user_sgpr_kernarg_segment_ptr 1
		.amdhsa_user_sgpr_dispatch_id 0
		.amdhsa_user_sgpr_kernarg_preload_length 0
		.amdhsa_user_sgpr_kernarg_preload_offset 0
		.amdhsa_user_sgpr_private_segment_size 0
		.amdhsa_uses_dynamic_stack 0
		.amdhsa_enable_private_segment 0
		.amdhsa_system_sgpr_workgroup_id_x 1
		.amdhsa_system_sgpr_workgroup_id_y 0
		.amdhsa_system_sgpr_workgroup_id_z 0
		.amdhsa_system_sgpr_workgroup_info 0
		.amdhsa_system_vgpr_workitem_id 0
		.amdhsa_next_free_vgpr 1
		.amdhsa_next_free_sgpr 0
		.amdhsa_accum_offset 4
		.amdhsa_reserve_vcc 0
		.amdhsa_float_round_mode_32 0
		.amdhsa_float_round_mode_16_64 0
		.amdhsa_float_denorm_mode_32 3
		.amdhsa_float_denorm_mode_16_64 3
		.amdhsa_dx10_clamp 1
		.amdhsa_ieee_mode 1
		.amdhsa_fp16_overflow 0
		.amdhsa_tg_split 0
		.amdhsa_exception_fp_ieee_invalid_op 0
		.amdhsa_exception_fp_denorm_src 0
		.amdhsa_exception_fp_ieee_div_zero 0
		.amdhsa_exception_fp_ieee_overflow 0
		.amdhsa_exception_fp_ieee_underflow 0
		.amdhsa_exception_fp_ieee_inexact 0
		.amdhsa_exception_int_div_zero 0
	.end_amdhsa_kernel
	.section	.text._ZN7rocprim17ROCPRIM_400000_NS6detail17trampoline_kernelINS0_14default_configENS1_35radix_sort_onesweep_config_selectorIxNS0_10empty_typeEEEZZNS1_29radix_sort_onesweep_iterationIS3_Lb0EN6thrust23THRUST_200600_302600_NS6detail15normal_iteratorINS9_10device_ptrIxEEEESE_PS5_SF_jNS0_19identity_decomposerENS1_16block_id_wrapperIjLb0EEEEE10hipError_tT1_PNSt15iterator_traitsISK_E10value_typeET2_T3_PNSL_ISQ_E10value_typeET4_T5_PSV_SW_PNS1_23onesweep_lookback_stateEbbT6_jjT7_P12ihipStream_tbENKUlT_T0_SK_SP_E_clIPxSE_SF_SF_EEDaS13_S14_SK_SP_EUlS13_E_NS1_11comp_targetILNS1_3genE2ELNS1_11target_archE906ELNS1_3gpuE6ELNS1_3repE0EEENS1_47radix_sort_onesweep_sort_config_static_selectorELNS0_4arch9wavefront6targetE1EEEvSK_,"axG",@progbits,_ZN7rocprim17ROCPRIM_400000_NS6detail17trampoline_kernelINS0_14default_configENS1_35radix_sort_onesweep_config_selectorIxNS0_10empty_typeEEEZZNS1_29radix_sort_onesweep_iterationIS3_Lb0EN6thrust23THRUST_200600_302600_NS6detail15normal_iteratorINS9_10device_ptrIxEEEESE_PS5_SF_jNS0_19identity_decomposerENS1_16block_id_wrapperIjLb0EEEEE10hipError_tT1_PNSt15iterator_traitsISK_E10value_typeET2_T3_PNSL_ISQ_E10value_typeET4_T5_PSV_SW_PNS1_23onesweep_lookback_stateEbbT6_jjT7_P12ihipStream_tbENKUlT_T0_SK_SP_E_clIPxSE_SF_SF_EEDaS13_S14_SK_SP_EUlS13_E_NS1_11comp_targetILNS1_3genE2ELNS1_11target_archE906ELNS1_3gpuE6ELNS1_3repE0EEENS1_47radix_sort_onesweep_sort_config_static_selectorELNS0_4arch9wavefront6targetE1EEEvSK_,comdat
.Lfunc_end1590:
	.size	_ZN7rocprim17ROCPRIM_400000_NS6detail17trampoline_kernelINS0_14default_configENS1_35radix_sort_onesweep_config_selectorIxNS0_10empty_typeEEEZZNS1_29radix_sort_onesweep_iterationIS3_Lb0EN6thrust23THRUST_200600_302600_NS6detail15normal_iteratorINS9_10device_ptrIxEEEESE_PS5_SF_jNS0_19identity_decomposerENS1_16block_id_wrapperIjLb0EEEEE10hipError_tT1_PNSt15iterator_traitsISK_E10value_typeET2_T3_PNSL_ISQ_E10value_typeET4_T5_PSV_SW_PNS1_23onesweep_lookback_stateEbbT6_jjT7_P12ihipStream_tbENKUlT_T0_SK_SP_E_clIPxSE_SF_SF_EEDaS13_S14_SK_SP_EUlS13_E_NS1_11comp_targetILNS1_3genE2ELNS1_11target_archE906ELNS1_3gpuE6ELNS1_3repE0EEENS1_47radix_sort_onesweep_sort_config_static_selectorELNS0_4arch9wavefront6targetE1EEEvSK_, .Lfunc_end1590-_ZN7rocprim17ROCPRIM_400000_NS6detail17trampoline_kernelINS0_14default_configENS1_35radix_sort_onesweep_config_selectorIxNS0_10empty_typeEEEZZNS1_29radix_sort_onesweep_iterationIS3_Lb0EN6thrust23THRUST_200600_302600_NS6detail15normal_iteratorINS9_10device_ptrIxEEEESE_PS5_SF_jNS0_19identity_decomposerENS1_16block_id_wrapperIjLb0EEEEE10hipError_tT1_PNSt15iterator_traitsISK_E10value_typeET2_T3_PNSL_ISQ_E10value_typeET4_T5_PSV_SW_PNS1_23onesweep_lookback_stateEbbT6_jjT7_P12ihipStream_tbENKUlT_T0_SK_SP_E_clIPxSE_SF_SF_EEDaS13_S14_SK_SP_EUlS13_E_NS1_11comp_targetILNS1_3genE2ELNS1_11target_archE906ELNS1_3gpuE6ELNS1_3repE0EEENS1_47radix_sort_onesweep_sort_config_static_selectorELNS0_4arch9wavefront6targetE1EEEvSK_
                                        ; -- End function
	.section	.AMDGPU.csdata,"",@progbits
; Kernel info:
; codeLenInByte = 0
; NumSgprs: 6
; NumVgprs: 0
; NumAgprs: 0
; TotalNumVgprs: 0
; ScratchSize: 0
; MemoryBound: 0
; FloatMode: 240
; IeeeMode: 1
; LDSByteSize: 0 bytes/workgroup (compile time only)
; SGPRBlocks: 0
; VGPRBlocks: 0
; NumSGPRsForWavesPerEU: 6
; NumVGPRsForWavesPerEU: 1
; AccumOffset: 4
; Occupancy: 8
; WaveLimiterHint : 0
; COMPUTE_PGM_RSRC2:SCRATCH_EN: 0
; COMPUTE_PGM_RSRC2:USER_SGPR: 2
; COMPUTE_PGM_RSRC2:TRAP_HANDLER: 0
; COMPUTE_PGM_RSRC2:TGID_X_EN: 1
; COMPUTE_PGM_RSRC2:TGID_Y_EN: 0
; COMPUTE_PGM_RSRC2:TGID_Z_EN: 0
; COMPUTE_PGM_RSRC2:TIDIG_COMP_CNT: 0
; COMPUTE_PGM_RSRC3_GFX90A:ACCUM_OFFSET: 0
; COMPUTE_PGM_RSRC3_GFX90A:TG_SPLIT: 0
	.section	.text._ZN7rocprim17ROCPRIM_400000_NS6detail17trampoline_kernelINS0_14default_configENS1_35radix_sort_onesweep_config_selectorIxNS0_10empty_typeEEEZZNS1_29radix_sort_onesweep_iterationIS3_Lb0EN6thrust23THRUST_200600_302600_NS6detail15normal_iteratorINS9_10device_ptrIxEEEESE_PS5_SF_jNS0_19identity_decomposerENS1_16block_id_wrapperIjLb0EEEEE10hipError_tT1_PNSt15iterator_traitsISK_E10value_typeET2_T3_PNSL_ISQ_E10value_typeET4_T5_PSV_SW_PNS1_23onesweep_lookback_stateEbbT6_jjT7_P12ihipStream_tbENKUlT_T0_SK_SP_E_clIPxSE_SF_SF_EEDaS13_S14_SK_SP_EUlS13_E_NS1_11comp_targetILNS1_3genE4ELNS1_11target_archE910ELNS1_3gpuE8ELNS1_3repE0EEENS1_47radix_sort_onesweep_sort_config_static_selectorELNS0_4arch9wavefront6targetE1EEEvSK_,"axG",@progbits,_ZN7rocprim17ROCPRIM_400000_NS6detail17trampoline_kernelINS0_14default_configENS1_35radix_sort_onesweep_config_selectorIxNS0_10empty_typeEEEZZNS1_29radix_sort_onesweep_iterationIS3_Lb0EN6thrust23THRUST_200600_302600_NS6detail15normal_iteratorINS9_10device_ptrIxEEEESE_PS5_SF_jNS0_19identity_decomposerENS1_16block_id_wrapperIjLb0EEEEE10hipError_tT1_PNSt15iterator_traitsISK_E10value_typeET2_T3_PNSL_ISQ_E10value_typeET4_T5_PSV_SW_PNS1_23onesweep_lookback_stateEbbT6_jjT7_P12ihipStream_tbENKUlT_T0_SK_SP_E_clIPxSE_SF_SF_EEDaS13_S14_SK_SP_EUlS13_E_NS1_11comp_targetILNS1_3genE4ELNS1_11target_archE910ELNS1_3gpuE8ELNS1_3repE0EEENS1_47radix_sort_onesweep_sort_config_static_selectorELNS0_4arch9wavefront6targetE1EEEvSK_,comdat
	.protected	_ZN7rocprim17ROCPRIM_400000_NS6detail17trampoline_kernelINS0_14default_configENS1_35radix_sort_onesweep_config_selectorIxNS0_10empty_typeEEEZZNS1_29radix_sort_onesweep_iterationIS3_Lb0EN6thrust23THRUST_200600_302600_NS6detail15normal_iteratorINS9_10device_ptrIxEEEESE_PS5_SF_jNS0_19identity_decomposerENS1_16block_id_wrapperIjLb0EEEEE10hipError_tT1_PNSt15iterator_traitsISK_E10value_typeET2_T3_PNSL_ISQ_E10value_typeET4_T5_PSV_SW_PNS1_23onesweep_lookback_stateEbbT6_jjT7_P12ihipStream_tbENKUlT_T0_SK_SP_E_clIPxSE_SF_SF_EEDaS13_S14_SK_SP_EUlS13_E_NS1_11comp_targetILNS1_3genE4ELNS1_11target_archE910ELNS1_3gpuE8ELNS1_3repE0EEENS1_47radix_sort_onesweep_sort_config_static_selectorELNS0_4arch9wavefront6targetE1EEEvSK_ ; -- Begin function _ZN7rocprim17ROCPRIM_400000_NS6detail17trampoline_kernelINS0_14default_configENS1_35radix_sort_onesweep_config_selectorIxNS0_10empty_typeEEEZZNS1_29radix_sort_onesweep_iterationIS3_Lb0EN6thrust23THRUST_200600_302600_NS6detail15normal_iteratorINS9_10device_ptrIxEEEESE_PS5_SF_jNS0_19identity_decomposerENS1_16block_id_wrapperIjLb0EEEEE10hipError_tT1_PNSt15iterator_traitsISK_E10value_typeET2_T3_PNSL_ISQ_E10value_typeET4_T5_PSV_SW_PNS1_23onesweep_lookback_stateEbbT6_jjT7_P12ihipStream_tbENKUlT_T0_SK_SP_E_clIPxSE_SF_SF_EEDaS13_S14_SK_SP_EUlS13_E_NS1_11comp_targetILNS1_3genE4ELNS1_11target_archE910ELNS1_3gpuE8ELNS1_3repE0EEENS1_47radix_sort_onesweep_sort_config_static_selectorELNS0_4arch9wavefront6targetE1EEEvSK_
	.globl	_ZN7rocprim17ROCPRIM_400000_NS6detail17trampoline_kernelINS0_14default_configENS1_35radix_sort_onesweep_config_selectorIxNS0_10empty_typeEEEZZNS1_29radix_sort_onesweep_iterationIS3_Lb0EN6thrust23THRUST_200600_302600_NS6detail15normal_iteratorINS9_10device_ptrIxEEEESE_PS5_SF_jNS0_19identity_decomposerENS1_16block_id_wrapperIjLb0EEEEE10hipError_tT1_PNSt15iterator_traitsISK_E10value_typeET2_T3_PNSL_ISQ_E10value_typeET4_T5_PSV_SW_PNS1_23onesweep_lookback_stateEbbT6_jjT7_P12ihipStream_tbENKUlT_T0_SK_SP_E_clIPxSE_SF_SF_EEDaS13_S14_SK_SP_EUlS13_E_NS1_11comp_targetILNS1_3genE4ELNS1_11target_archE910ELNS1_3gpuE8ELNS1_3repE0EEENS1_47radix_sort_onesweep_sort_config_static_selectorELNS0_4arch9wavefront6targetE1EEEvSK_
	.p2align	8
	.type	_ZN7rocprim17ROCPRIM_400000_NS6detail17trampoline_kernelINS0_14default_configENS1_35radix_sort_onesweep_config_selectorIxNS0_10empty_typeEEEZZNS1_29radix_sort_onesweep_iterationIS3_Lb0EN6thrust23THRUST_200600_302600_NS6detail15normal_iteratorINS9_10device_ptrIxEEEESE_PS5_SF_jNS0_19identity_decomposerENS1_16block_id_wrapperIjLb0EEEEE10hipError_tT1_PNSt15iterator_traitsISK_E10value_typeET2_T3_PNSL_ISQ_E10value_typeET4_T5_PSV_SW_PNS1_23onesweep_lookback_stateEbbT6_jjT7_P12ihipStream_tbENKUlT_T0_SK_SP_E_clIPxSE_SF_SF_EEDaS13_S14_SK_SP_EUlS13_E_NS1_11comp_targetILNS1_3genE4ELNS1_11target_archE910ELNS1_3gpuE8ELNS1_3repE0EEENS1_47radix_sort_onesweep_sort_config_static_selectorELNS0_4arch9wavefront6targetE1EEEvSK_,@function
_ZN7rocprim17ROCPRIM_400000_NS6detail17trampoline_kernelINS0_14default_configENS1_35radix_sort_onesweep_config_selectorIxNS0_10empty_typeEEEZZNS1_29radix_sort_onesweep_iterationIS3_Lb0EN6thrust23THRUST_200600_302600_NS6detail15normal_iteratorINS9_10device_ptrIxEEEESE_PS5_SF_jNS0_19identity_decomposerENS1_16block_id_wrapperIjLb0EEEEE10hipError_tT1_PNSt15iterator_traitsISK_E10value_typeET2_T3_PNSL_ISQ_E10value_typeET4_T5_PSV_SW_PNS1_23onesweep_lookback_stateEbbT6_jjT7_P12ihipStream_tbENKUlT_T0_SK_SP_E_clIPxSE_SF_SF_EEDaS13_S14_SK_SP_EUlS13_E_NS1_11comp_targetILNS1_3genE4ELNS1_11target_archE910ELNS1_3gpuE8ELNS1_3repE0EEENS1_47radix_sort_onesweep_sort_config_static_selectorELNS0_4arch9wavefront6targetE1EEEvSK_: ; @_ZN7rocprim17ROCPRIM_400000_NS6detail17trampoline_kernelINS0_14default_configENS1_35radix_sort_onesweep_config_selectorIxNS0_10empty_typeEEEZZNS1_29radix_sort_onesweep_iterationIS3_Lb0EN6thrust23THRUST_200600_302600_NS6detail15normal_iteratorINS9_10device_ptrIxEEEESE_PS5_SF_jNS0_19identity_decomposerENS1_16block_id_wrapperIjLb0EEEEE10hipError_tT1_PNSt15iterator_traitsISK_E10value_typeET2_T3_PNSL_ISQ_E10value_typeET4_T5_PSV_SW_PNS1_23onesweep_lookback_stateEbbT6_jjT7_P12ihipStream_tbENKUlT_T0_SK_SP_E_clIPxSE_SF_SF_EEDaS13_S14_SK_SP_EUlS13_E_NS1_11comp_targetILNS1_3genE4ELNS1_11target_archE910ELNS1_3gpuE8ELNS1_3repE0EEENS1_47radix_sort_onesweep_sort_config_static_selectorELNS0_4arch9wavefront6targetE1EEEvSK_
; %bb.0:
	.section	.rodata,"a",@progbits
	.p2align	6, 0x0
	.amdhsa_kernel _ZN7rocprim17ROCPRIM_400000_NS6detail17trampoline_kernelINS0_14default_configENS1_35radix_sort_onesweep_config_selectorIxNS0_10empty_typeEEEZZNS1_29radix_sort_onesweep_iterationIS3_Lb0EN6thrust23THRUST_200600_302600_NS6detail15normal_iteratorINS9_10device_ptrIxEEEESE_PS5_SF_jNS0_19identity_decomposerENS1_16block_id_wrapperIjLb0EEEEE10hipError_tT1_PNSt15iterator_traitsISK_E10value_typeET2_T3_PNSL_ISQ_E10value_typeET4_T5_PSV_SW_PNS1_23onesweep_lookback_stateEbbT6_jjT7_P12ihipStream_tbENKUlT_T0_SK_SP_E_clIPxSE_SF_SF_EEDaS13_S14_SK_SP_EUlS13_E_NS1_11comp_targetILNS1_3genE4ELNS1_11target_archE910ELNS1_3gpuE8ELNS1_3repE0EEENS1_47radix_sort_onesweep_sort_config_static_selectorELNS0_4arch9wavefront6targetE1EEEvSK_
		.amdhsa_group_segment_fixed_size 0
		.amdhsa_private_segment_fixed_size 0
		.amdhsa_kernarg_size 88
		.amdhsa_user_sgpr_count 2
		.amdhsa_user_sgpr_dispatch_ptr 0
		.amdhsa_user_sgpr_queue_ptr 0
		.amdhsa_user_sgpr_kernarg_segment_ptr 1
		.amdhsa_user_sgpr_dispatch_id 0
		.amdhsa_user_sgpr_kernarg_preload_length 0
		.amdhsa_user_sgpr_kernarg_preload_offset 0
		.amdhsa_user_sgpr_private_segment_size 0
		.amdhsa_uses_dynamic_stack 0
		.amdhsa_enable_private_segment 0
		.amdhsa_system_sgpr_workgroup_id_x 1
		.amdhsa_system_sgpr_workgroup_id_y 0
		.amdhsa_system_sgpr_workgroup_id_z 0
		.amdhsa_system_sgpr_workgroup_info 0
		.amdhsa_system_vgpr_workitem_id 0
		.amdhsa_next_free_vgpr 1
		.amdhsa_next_free_sgpr 0
		.amdhsa_accum_offset 4
		.amdhsa_reserve_vcc 0
		.amdhsa_float_round_mode_32 0
		.amdhsa_float_round_mode_16_64 0
		.amdhsa_float_denorm_mode_32 3
		.amdhsa_float_denorm_mode_16_64 3
		.amdhsa_dx10_clamp 1
		.amdhsa_ieee_mode 1
		.amdhsa_fp16_overflow 0
		.amdhsa_tg_split 0
		.amdhsa_exception_fp_ieee_invalid_op 0
		.amdhsa_exception_fp_denorm_src 0
		.amdhsa_exception_fp_ieee_div_zero 0
		.amdhsa_exception_fp_ieee_overflow 0
		.amdhsa_exception_fp_ieee_underflow 0
		.amdhsa_exception_fp_ieee_inexact 0
		.amdhsa_exception_int_div_zero 0
	.end_amdhsa_kernel
	.section	.text._ZN7rocprim17ROCPRIM_400000_NS6detail17trampoline_kernelINS0_14default_configENS1_35radix_sort_onesweep_config_selectorIxNS0_10empty_typeEEEZZNS1_29radix_sort_onesweep_iterationIS3_Lb0EN6thrust23THRUST_200600_302600_NS6detail15normal_iteratorINS9_10device_ptrIxEEEESE_PS5_SF_jNS0_19identity_decomposerENS1_16block_id_wrapperIjLb0EEEEE10hipError_tT1_PNSt15iterator_traitsISK_E10value_typeET2_T3_PNSL_ISQ_E10value_typeET4_T5_PSV_SW_PNS1_23onesweep_lookback_stateEbbT6_jjT7_P12ihipStream_tbENKUlT_T0_SK_SP_E_clIPxSE_SF_SF_EEDaS13_S14_SK_SP_EUlS13_E_NS1_11comp_targetILNS1_3genE4ELNS1_11target_archE910ELNS1_3gpuE8ELNS1_3repE0EEENS1_47radix_sort_onesweep_sort_config_static_selectorELNS0_4arch9wavefront6targetE1EEEvSK_,"axG",@progbits,_ZN7rocprim17ROCPRIM_400000_NS6detail17trampoline_kernelINS0_14default_configENS1_35radix_sort_onesweep_config_selectorIxNS0_10empty_typeEEEZZNS1_29radix_sort_onesweep_iterationIS3_Lb0EN6thrust23THRUST_200600_302600_NS6detail15normal_iteratorINS9_10device_ptrIxEEEESE_PS5_SF_jNS0_19identity_decomposerENS1_16block_id_wrapperIjLb0EEEEE10hipError_tT1_PNSt15iterator_traitsISK_E10value_typeET2_T3_PNSL_ISQ_E10value_typeET4_T5_PSV_SW_PNS1_23onesweep_lookback_stateEbbT6_jjT7_P12ihipStream_tbENKUlT_T0_SK_SP_E_clIPxSE_SF_SF_EEDaS13_S14_SK_SP_EUlS13_E_NS1_11comp_targetILNS1_3genE4ELNS1_11target_archE910ELNS1_3gpuE8ELNS1_3repE0EEENS1_47radix_sort_onesweep_sort_config_static_selectorELNS0_4arch9wavefront6targetE1EEEvSK_,comdat
.Lfunc_end1591:
	.size	_ZN7rocprim17ROCPRIM_400000_NS6detail17trampoline_kernelINS0_14default_configENS1_35radix_sort_onesweep_config_selectorIxNS0_10empty_typeEEEZZNS1_29radix_sort_onesweep_iterationIS3_Lb0EN6thrust23THRUST_200600_302600_NS6detail15normal_iteratorINS9_10device_ptrIxEEEESE_PS5_SF_jNS0_19identity_decomposerENS1_16block_id_wrapperIjLb0EEEEE10hipError_tT1_PNSt15iterator_traitsISK_E10value_typeET2_T3_PNSL_ISQ_E10value_typeET4_T5_PSV_SW_PNS1_23onesweep_lookback_stateEbbT6_jjT7_P12ihipStream_tbENKUlT_T0_SK_SP_E_clIPxSE_SF_SF_EEDaS13_S14_SK_SP_EUlS13_E_NS1_11comp_targetILNS1_3genE4ELNS1_11target_archE910ELNS1_3gpuE8ELNS1_3repE0EEENS1_47radix_sort_onesweep_sort_config_static_selectorELNS0_4arch9wavefront6targetE1EEEvSK_, .Lfunc_end1591-_ZN7rocprim17ROCPRIM_400000_NS6detail17trampoline_kernelINS0_14default_configENS1_35radix_sort_onesweep_config_selectorIxNS0_10empty_typeEEEZZNS1_29radix_sort_onesweep_iterationIS3_Lb0EN6thrust23THRUST_200600_302600_NS6detail15normal_iteratorINS9_10device_ptrIxEEEESE_PS5_SF_jNS0_19identity_decomposerENS1_16block_id_wrapperIjLb0EEEEE10hipError_tT1_PNSt15iterator_traitsISK_E10value_typeET2_T3_PNSL_ISQ_E10value_typeET4_T5_PSV_SW_PNS1_23onesweep_lookback_stateEbbT6_jjT7_P12ihipStream_tbENKUlT_T0_SK_SP_E_clIPxSE_SF_SF_EEDaS13_S14_SK_SP_EUlS13_E_NS1_11comp_targetILNS1_3genE4ELNS1_11target_archE910ELNS1_3gpuE8ELNS1_3repE0EEENS1_47radix_sort_onesweep_sort_config_static_selectorELNS0_4arch9wavefront6targetE1EEEvSK_
                                        ; -- End function
	.section	.AMDGPU.csdata,"",@progbits
; Kernel info:
; codeLenInByte = 0
; NumSgprs: 6
; NumVgprs: 0
; NumAgprs: 0
; TotalNumVgprs: 0
; ScratchSize: 0
; MemoryBound: 0
; FloatMode: 240
; IeeeMode: 1
; LDSByteSize: 0 bytes/workgroup (compile time only)
; SGPRBlocks: 0
; VGPRBlocks: 0
; NumSGPRsForWavesPerEU: 6
; NumVGPRsForWavesPerEU: 1
; AccumOffset: 4
; Occupancy: 8
; WaveLimiterHint : 0
; COMPUTE_PGM_RSRC2:SCRATCH_EN: 0
; COMPUTE_PGM_RSRC2:USER_SGPR: 2
; COMPUTE_PGM_RSRC2:TRAP_HANDLER: 0
; COMPUTE_PGM_RSRC2:TGID_X_EN: 1
; COMPUTE_PGM_RSRC2:TGID_Y_EN: 0
; COMPUTE_PGM_RSRC2:TGID_Z_EN: 0
; COMPUTE_PGM_RSRC2:TIDIG_COMP_CNT: 0
; COMPUTE_PGM_RSRC3_GFX90A:ACCUM_OFFSET: 0
; COMPUTE_PGM_RSRC3_GFX90A:TG_SPLIT: 0
	.section	.text._ZN7rocprim17ROCPRIM_400000_NS6detail17trampoline_kernelINS0_14default_configENS1_35radix_sort_onesweep_config_selectorIxNS0_10empty_typeEEEZZNS1_29radix_sort_onesweep_iterationIS3_Lb0EN6thrust23THRUST_200600_302600_NS6detail15normal_iteratorINS9_10device_ptrIxEEEESE_PS5_SF_jNS0_19identity_decomposerENS1_16block_id_wrapperIjLb0EEEEE10hipError_tT1_PNSt15iterator_traitsISK_E10value_typeET2_T3_PNSL_ISQ_E10value_typeET4_T5_PSV_SW_PNS1_23onesweep_lookback_stateEbbT6_jjT7_P12ihipStream_tbENKUlT_T0_SK_SP_E_clIPxSE_SF_SF_EEDaS13_S14_SK_SP_EUlS13_E_NS1_11comp_targetILNS1_3genE3ELNS1_11target_archE908ELNS1_3gpuE7ELNS1_3repE0EEENS1_47radix_sort_onesweep_sort_config_static_selectorELNS0_4arch9wavefront6targetE1EEEvSK_,"axG",@progbits,_ZN7rocprim17ROCPRIM_400000_NS6detail17trampoline_kernelINS0_14default_configENS1_35radix_sort_onesweep_config_selectorIxNS0_10empty_typeEEEZZNS1_29radix_sort_onesweep_iterationIS3_Lb0EN6thrust23THRUST_200600_302600_NS6detail15normal_iteratorINS9_10device_ptrIxEEEESE_PS5_SF_jNS0_19identity_decomposerENS1_16block_id_wrapperIjLb0EEEEE10hipError_tT1_PNSt15iterator_traitsISK_E10value_typeET2_T3_PNSL_ISQ_E10value_typeET4_T5_PSV_SW_PNS1_23onesweep_lookback_stateEbbT6_jjT7_P12ihipStream_tbENKUlT_T0_SK_SP_E_clIPxSE_SF_SF_EEDaS13_S14_SK_SP_EUlS13_E_NS1_11comp_targetILNS1_3genE3ELNS1_11target_archE908ELNS1_3gpuE7ELNS1_3repE0EEENS1_47radix_sort_onesweep_sort_config_static_selectorELNS0_4arch9wavefront6targetE1EEEvSK_,comdat
	.protected	_ZN7rocprim17ROCPRIM_400000_NS6detail17trampoline_kernelINS0_14default_configENS1_35radix_sort_onesweep_config_selectorIxNS0_10empty_typeEEEZZNS1_29radix_sort_onesweep_iterationIS3_Lb0EN6thrust23THRUST_200600_302600_NS6detail15normal_iteratorINS9_10device_ptrIxEEEESE_PS5_SF_jNS0_19identity_decomposerENS1_16block_id_wrapperIjLb0EEEEE10hipError_tT1_PNSt15iterator_traitsISK_E10value_typeET2_T3_PNSL_ISQ_E10value_typeET4_T5_PSV_SW_PNS1_23onesweep_lookback_stateEbbT6_jjT7_P12ihipStream_tbENKUlT_T0_SK_SP_E_clIPxSE_SF_SF_EEDaS13_S14_SK_SP_EUlS13_E_NS1_11comp_targetILNS1_3genE3ELNS1_11target_archE908ELNS1_3gpuE7ELNS1_3repE0EEENS1_47radix_sort_onesweep_sort_config_static_selectorELNS0_4arch9wavefront6targetE1EEEvSK_ ; -- Begin function _ZN7rocprim17ROCPRIM_400000_NS6detail17trampoline_kernelINS0_14default_configENS1_35radix_sort_onesweep_config_selectorIxNS0_10empty_typeEEEZZNS1_29radix_sort_onesweep_iterationIS3_Lb0EN6thrust23THRUST_200600_302600_NS6detail15normal_iteratorINS9_10device_ptrIxEEEESE_PS5_SF_jNS0_19identity_decomposerENS1_16block_id_wrapperIjLb0EEEEE10hipError_tT1_PNSt15iterator_traitsISK_E10value_typeET2_T3_PNSL_ISQ_E10value_typeET4_T5_PSV_SW_PNS1_23onesweep_lookback_stateEbbT6_jjT7_P12ihipStream_tbENKUlT_T0_SK_SP_E_clIPxSE_SF_SF_EEDaS13_S14_SK_SP_EUlS13_E_NS1_11comp_targetILNS1_3genE3ELNS1_11target_archE908ELNS1_3gpuE7ELNS1_3repE0EEENS1_47radix_sort_onesweep_sort_config_static_selectorELNS0_4arch9wavefront6targetE1EEEvSK_
	.globl	_ZN7rocprim17ROCPRIM_400000_NS6detail17trampoline_kernelINS0_14default_configENS1_35radix_sort_onesweep_config_selectorIxNS0_10empty_typeEEEZZNS1_29radix_sort_onesweep_iterationIS3_Lb0EN6thrust23THRUST_200600_302600_NS6detail15normal_iteratorINS9_10device_ptrIxEEEESE_PS5_SF_jNS0_19identity_decomposerENS1_16block_id_wrapperIjLb0EEEEE10hipError_tT1_PNSt15iterator_traitsISK_E10value_typeET2_T3_PNSL_ISQ_E10value_typeET4_T5_PSV_SW_PNS1_23onesweep_lookback_stateEbbT6_jjT7_P12ihipStream_tbENKUlT_T0_SK_SP_E_clIPxSE_SF_SF_EEDaS13_S14_SK_SP_EUlS13_E_NS1_11comp_targetILNS1_3genE3ELNS1_11target_archE908ELNS1_3gpuE7ELNS1_3repE0EEENS1_47radix_sort_onesweep_sort_config_static_selectorELNS0_4arch9wavefront6targetE1EEEvSK_
	.p2align	8
	.type	_ZN7rocprim17ROCPRIM_400000_NS6detail17trampoline_kernelINS0_14default_configENS1_35radix_sort_onesweep_config_selectorIxNS0_10empty_typeEEEZZNS1_29radix_sort_onesweep_iterationIS3_Lb0EN6thrust23THRUST_200600_302600_NS6detail15normal_iteratorINS9_10device_ptrIxEEEESE_PS5_SF_jNS0_19identity_decomposerENS1_16block_id_wrapperIjLb0EEEEE10hipError_tT1_PNSt15iterator_traitsISK_E10value_typeET2_T3_PNSL_ISQ_E10value_typeET4_T5_PSV_SW_PNS1_23onesweep_lookback_stateEbbT6_jjT7_P12ihipStream_tbENKUlT_T0_SK_SP_E_clIPxSE_SF_SF_EEDaS13_S14_SK_SP_EUlS13_E_NS1_11comp_targetILNS1_3genE3ELNS1_11target_archE908ELNS1_3gpuE7ELNS1_3repE0EEENS1_47radix_sort_onesweep_sort_config_static_selectorELNS0_4arch9wavefront6targetE1EEEvSK_,@function
_ZN7rocprim17ROCPRIM_400000_NS6detail17trampoline_kernelINS0_14default_configENS1_35radix_sort_onesweep_config_selectorIxNS0_10empty_typeEEEZZNS1_29radix_sort_onesweep_iterationIS3_Lb0EN6thrust23THRUST_200600_302600_NS6detail15normal_iteratorINS9_10device_ptrIxEEEESE_PS5_SF_jNS0_19identity_decomposerENS1_16block_id_wrapperIjLb0EEEEE10hipError_tT1_PNSt15iterator_traitsISK_E10value_typeET2_T3_PNSL_ISQ_E10value_typeET4_T5_PSV_SW_PNS1_23onesweep_lookback_stateEbbT6_jjT7_P12ihipStream_tbENKUlT_T0_SK_SP_E_clIPxSE_SF_SF_EEDaS13_S14_SK_SP_EUlS13_E_NS1_11comp_targetILNS1_3genE3ELNS1_11target_archE908ELNS1_3gpuE7ELNS1_3repE0EEENS1_47radix_sort_onesweep_sort_config_static_selectorELNS0_4arch9wavefront6targetE1EEEvSK_: ; @_ZN7rocprim17ROCPRIM_400000_NS6detail17trampoline_kernelINS0_14default_configENS1_35radix_sort_onesweep_config_selectorIxNS0_10empty_typeEEEZZNS1_29radix_sort_onesweep_iterationIS3_Lb0EN6thrust23THRUST_200600_302600_NS6detail15normal_iteratorINS9_10device_ptrIxEEEESE_PS5_SF_jNS0_19identity_decomposerENS1_16block_id_wrapperIjLb0EEEEE10hipError_tT1_PNSt15iterator_traitsISK_E10value_typeET2_T3_PNSL_ISQ_E10value_typeET4_T5_PSV_SW_PNS1_23onesweep_lookback_stateEbbT6_jjT7_P12ihipStream_tbENKUlT_T0_SK_SP_E_clIPxSE_SF_SF_EEDaS13_S14_SK_SP_EUlS13_E_NS1_11comp_targetILNS1_3genE3ELNS1_11target_archE908ELNS1_3gpuE7ELNS1_3repE0EEENS1_47radix_sort_onesweep_sort_config_static_selectorELNS0_4arch9wavefront6targetE1EEEvSK_
; %bb.0:
	.section	.rodata,"a",@progbits
	.p2align	6, 0x0
	.amdhsa_kernel _ZN7rocprim17ROCPRIM_400000_NS6detail17trampoline_kernelINS0_14default_configENS1_35radix_sort_onesweep_config_selectorIxNS0_10empty_typeEEEZZNS1_29radix_sort_onesweep_iterationIS3_Lb0EN6thrust23THRUST_200600_302600_NS6detail15normal_iteratorINS9_10device_ptrIxEEEESE_PS5_SF_jNS0_19identity_decomposerENS1_16block_id_wrapperIjLb0EEEEE10hipError_tT1_PNSt15iterator_traitsISK_E10value_typeET2_T3_PNSL_ISQ_E10value_typeET4_T5_PSV_SW_PNS1_23onesweep_lookback_stateEbbT6_jjT7_P12ihipStream_tbENKUlT_T0_SK_SP_E_clIPxSE_SF_SF_EEDaS13_S14_SK_SP_EUlS13_E_NS1_11comp_targetILNS1_3genE3ELNS1_11target_archE908ELNS1_3gpuE7ELNS1_3repE0EEENS1_47radix_sort_onesweep_sort_config_static_selectorELNS0_4arch9wavefront6targetE1EEEvSK_
		.amdhsa_group_segment_fixed_size 0
		.amdhsa_private_segment_fixed_size 0
		.amdhsa_kernarg_size 88
		.amdhsa_user_sgpr_count 2
		.amdhsa_user_sgpr_dispatch_ptr 0
		.amdhsa_user_sgpr_queue_ptr 0
		.amdhsa_user_sgpr_kernarg_segment_ptr 1
		.amdhsa_user_sgpr_dispatch_id 0
		.amdhsa_user_sgpr_kernarg_preload_length 0
		.amdhsa_user_sgpr_kernarg_preload_offset 0
		.amdhsa_user_sgpr_private_segment_size 0
		.amdhsa_uses_dynamic_stack 0
		.amdhsa_enable_private_segment 0
		.amdhsa_system_sgpr_workgroup_id_x 1
		.amdhsa_system_sgpr_workgroup_id_y 0
		.amdhsa_system_sgpr_workgroup_id_z 0
		.amdhsa_system_sgpr_workgroup_info 0
		.amdhsa_system_vgpr_workitem_id 0
		.amdhsa_next_free_vgpr 1
		.amdhsa_next_free_sgpr 0
		.amdhsa_accum_offset 4
		.amdhsa_reserve_vcc 0
		.amdhsa_float_round_mode_32 0
		.amdhsa_float_round_mode_16_64 0
		.amdhsa_float_denorm_mode_32 3
		.amdhsa_float_denorm_mode_16_64 3
		.amdhsa_dx10_clamp 1
		.amdhsa_ieee_mode 1
		.amdhsa_fp16_overflow 0
		.amdhsa_tg_split 0
		.amdhsa_exception_fp_ieee_invalid_op 0
		.amdhsa_exception_fp_denorm_src 0
		.amdhsa_exception_fp_ieee_div_zero 0
		.amdhsa_exception_fp_ieee_overflow 0
		.amdhsa_exception_fp_ieee_underflow 0
		.amdhsa_exception_fp_ieee_inexact 0
		.amdhsa_exception_int_div_zero 0
	.end_amdhsa_kernel
	.section	.text._ZN7rocprim17ROCPRIM_400000_NS6detail17trampoline_kernelINS0_14default_configENS1_35radix_sort_onesweep_config_selectorIxNS0_10empty_typeEEEZZNS1_29radix_sort_onesweep_iterationIS3_Lb0EN6thrust23THRUST_200600_302600_NS6detail15normal_iteratorINS9_10device_ptrIxEEEESE_PS5_SF_jNS0_19identity_decomposerENS1_16block_id_wrapperIjLb0EEEEE10hipError_tT1_PNSt15iterator_traitsISK_E10value_typeET2_T3_PNSL_ISQ_E10value_typeET4_T5_PSV_SW_PNS1_23onesweep_lookback_stateEbbT6_jjT7_P12ihipStream_tbENKUlT_T0_SK_SP_E_clIPxSE_SF_SF_EEDaS13_S14_SK_SP_EUlS13_E_NS1_11comp_targetILNS1_3genE3ELNS1_11target_archE908ELNS1_3gpuE7ELNS1_3repE0EEENS1_47radix_sort_onesweep_sort_config_static_selectorELNS0_4arch9wavefront6targetE1EEEvSK_,"axG",@progbits,_ZN7rocprim17ROCPRIM_400000_NS6detail17trampoline_kernelINS0_14default_configENS1_35radix_sort_onesweep_config_selectorIxNS0_10empty_typeEEEZZNS1_29radix_sort_onesweep_iterationIS3_Lb0EN6thrust23THRUST_200600_302600_NS6detail15normal_iteratorINS9_10device_ptrIxEEEESE_PS5_SF_jNS0_19identity_decomposerENS1_16block_id_wrapperIjLb0EEEEE10hipError_tT1_PNSt15iterator_traitsISK_E10value_typeET2_T3_PNSL_ISQ_E10value_typeET4_T5_PSV_SW_PNS1_23onesweep_lookback_stateEbbT6_jjT7_P12ihipStream_tbENKUlT_T0_SK_SP_E_clIPxSE_SF_SF_EEDaS13_S14_SK_SP_EUlS13_E_NS1_11comp_targetILNS1_3genE3ELNS1_11target_archE908ELNS1_3gpuE7ELNS1_3repE0EEENS1_47radix_sort_onesweep_sort_config_static_selectorELNS0_4arch9wavefront6targetE1EEEvSK_,comdat
.Lfunc_end1592:
	.size	_ZN7rocprim17ROCPRIM_400000_NS6detail17trampoline_kernelINS0_14default_configENS1_35radix_sort_onesweep_config_selectorIxNS0_10empty_typeEEEZZNS1_29radix_sort_onesweep_iterationIS3_Lb0EN6thrust23THRUST_200600_302600_NS6detail15normal_iteratorINS9_10device_ptrIxEEEESE_PS5_SF_jNS0_19identity_decomposerENS1_16block_id_wrapperIjLb0EEEEE10hipError_tT1_PNSt15iterator_traitsISK_E10value_typeET2_T3_PNSL_ISQ_E10value_typeET4_T5_PSV_SW_PNS1_23onesweep_lookback_stateEbbT6_jjT7_P12ihipStream_tbENKUlT_T0_SK_SP_E_clIPxSE_SF_SF_EEDaS13_S14_SK_SP_EUlS13_E_NS1_11comp_targetILNS1_3genE3ELNS1_11target_archE908ELNS1_3gpuE7ELNS1_3repE0EEENS1_47radix_sort_onesweep_sort_config_static_selectorELNS0_4arch9wavefront6targetE1EEEvSK_, .Lfunc_end1592-_ZN7rocprim17ROCPRIM_400000_NS6detail17trampoline_kernelINS0_14default_configENS1_35radix_sort_onesweep_config_selectorIxNS0_10empty_typeEEEZZNS1_29radix_sort_onesweep_iterationIS3_Lb0EN6thrust23THRUST_200600_302600_NS6detail15normal_iteratorINS9_10device_ptrIxEEEESE_PS5_SF_jNS0_19identity_decomposerENS1_16block_id_wrapperIjLb0EEEEE10hipError_tT1_PNSt15iterator_traitsISK_E10value_typeET2_T3_PNSL_ISQ_E10value_typeET4_T5_PSV_SW_PNS1_23onesweep_lookback_stateEbbT6_jjT7_P12ihipStream_tbENKUlT_T0_SK_SP_E_clIPxSE_SF_SF_EEDaS13_S14_SK_SP_EUlS13_E_NS1_11comp_targetILNS1_3genE3ELNS1_11target_archE908ELNS1_3gpuE7ELNS1_3repE0EEENS1_47radix_sort_onesweep_sort_config_static_selectorELNS0_4arch9wavefront6targetE1EEEvSK_
                                        ; -- End function
	.section	.AMDGPU.csdata,"",@progbits
; Kernel info:
; codeLenInByte = 0
; NumSgprs: 6
; NumVgprs: 0
; NumAgprs: 0
; TotalNumVgprs: 0
; ScratchSize: 0
; MemoryBound: 0
; FloatMode: 240
; IeeeMode: 1
; LDSByteSize: 0 bytes/workgroup (compile time only)
; SGPRBlocks: 0
; VGPRBlocks: 0
; NumSGPRsForWavesPerEU: 6
; NumVGPRsForWavesPerEU: 1
; AccumOffset: 4
; Occupancy: 8
; WaveLimiterHint : 0
; COMPUTE_PGM_RSRC2:SCRATCH_EN: 0
; COMPUTE_PGM_RSRC2:USER_SGPR: 2
; COMPUTE_PGM_RSRC2:TRAP_HANDLER: 0
; COMPUTE_PGM_RSRC2:TGID_X_EN: 1
; COMPUTE_PGM_RSRC2:TGID_Y_EN: 0
; COMPUTE_PGM_RSRC2:TGID_Z_EN: 0
; COMPUTE_PGM_RSRC2:TIDIG_COMP_CNT: 0
; COMPUTE_PGM_RSRC3_GFX90A:ACCUM_OFFSET: 0
; COMPUTE_PGM_RSRC3_GFX90A:TG_SPLIT: 0
	.section	.text._ZN7rocprim17ROCPRIM_400000_NS6detail17trampoline_kernelINS0_14default_configENS1_35radix_sort_onesweep_config_selectorIxNS0_10empty_typeEEEZZNS1_29radix_sort_onesweep_iterationIS3_Lb0EN6thrust23THRUST_200600_302600_NS6detail15normal_iteratorINS9_10device_ptrIxEEEESE_PS5_SF_jNS0_19identity_decomposerENS1_16block_id_wrapperIjLb0EEEEE10hipError_tT1_PNSt15iterator_traitsISK_E10value_typeET2_T3_PNSL_ISQ_E10value_typeET4_T5_PSV_SW_PNS1_23onesweep_lookback_stateEbbT6_jjT7_P12ihipStream_tbENKUlT_T0_SK_SP_E_clIPxSE_SF_SF_EEDaS13_S14_SK_SP_EUlS13_E_NS1_11comp_targetILNS1_3genE10ELNS1_11target_archE1201ELNS1_3gpuE5ELNS1_3repE0EEENS1_47radix_sort_onesweep_sort_config_static_selectorELNS0_4arch9wavefront6targetE1EEEvSK_,"axG",@progbits,_ZN7rocprim17ROCPRIM_400000_NS6detail17trampoline_kernelINS0_14default_configENS1_35radix_sort_onesweep_config_selectorIxNS0_10empty_typeEEEZZNS1_29radix_sort_onesweep_iterationIS3_Lb0EN6thrust23THRUST_200600_302600_NS6detail15normal_iteratorINS9_10device_ptrIxEEEESE_PS5_SF_jNS0_19identity_decomposerENS1_16block_id_wrapperIjLb0EEEEE10hipError_tT1_PNSt15iterator_traitsISK_E10value_typeET2_T3_PNSL_ISQ_E10value_typeET4_T5_PSV_SW_PNS1_23onesweep_lookback_stateEbbT6_jjT7_P12ihipStream_tbENKUlT_T0_SK_SP_E_clIPxSE_SF_SF_EEDaS13_S14_SK_SP_EUlS13_E_NS1_11comp_targetILNS1_3genE10ELNS1_11target_archE1201ELNS1_3gpuE5ELNS1_3repE0EEENS1_47radix_sort_onesweep_sort_config_static_selectorELNS0_4arch9wavefront6targetE1EEEvSK_,comdat
	.protected	_ZN7rocprim17ROCPRIM_400000_NS6detail17trampoline_kernelINS0_14default_configENS1_35radix_sort_onesweep_config_selectorIxNS0_10empty_typeEEEZZNS1_29radix_sort_onesweep_iterationIS3_Lb0EN6thrust23THRUST_200600_302600_NS6detail15normal_iteratorINS9_10device_ptrIxEEEESE_PS5_SF_jNS0_19identity_decomposerENS1_16block_id_wrapperIjLb0EEEEE10hipError_tT1_PNSt15iterator_traitsISK_E10value_typeET2_T3_PNSL_ISQ_E10value_typeET4_T5_PSV_SW_PNS1_23onesweep_lookback_stateEbbT6_jjT7_P12ihipStream_tbENKUlT_T0_SK_SP_E_clIPxSE_SF_SF_EEDaS13_S14_SK_SP_EUlS13_E_NS1_11comp_targetILNS1_3genE10ELNS1_11target_archE1201ELNS1_3gpuE5ELNS1_3repE0EEENS1_47radix_sort_onesweep_sort_config_static_selectorELNS0_4arch9wavefront6targetE1EEEvSK_ ; -- Begin function _ZN7rocprim17ROCPRIM_400000_NS6detail17trampoline_kernelINS0_14default_configENS1_35radix_sort_onesweep_config_selectorIxNS0_10empty_typeEEEZZNS1_29radix_sort_onesweep_iterationIS3_Lb0EN6thrust23THRUST_200600_302600_NS6detail15normal_iteratorINS9_10device_ptrIxEEEESE_PS5_SF_jNS0_19identity_decomposerENS1_16block_id_wrapperIjLb0EEEEE10hipError_tT1_PNSt15iterator_traitsISK_E10value_typeET2_T3_PNSL_ISQ_E10value_typeET4_T5_PSV_SW_PNS1_23onesweep_lookback_stateEbbT6_jjT7_P12ihipStream_tbENKUlT_T0_SK_SP_E_clIPxSE_SF_SF_EEDaS13_S14_SK_SP_EUlS13_E_NS1_11comp_targetILNS1_3genE10ELNS1_11target_archE1201ELNS1_3gpuE5ELNS1_3repE0EEENS1_47radix_sort_onesweep_sort_config_static_selectorELNS0_4arch9wavefront6targetE1EEEvSK_
	.globl	_ZN7rocprim17ROCPRIM_400000_NS6detail17trampoline_kernelINS0_14default_configENS1_35radix_sort_onesweep_config_selectorIxNS0_10empty_typeEEEZZNS1_29radix_sort_onesweep_iterationIS3_Lb0EN6thrust23THRUST_200600_302600_NS6detail15normal_iteratorINS9_10device_ptrIxEEEESE_PS5_SF_jNS0_19identity_decomposerENS1_16block_id_wrapperIjLb0EEEEE10hipError_tT1_PNSt15iterator_traitsISK_E10value_typeET2_T3_PNSL_ISQ_E10value_typeET4_T5_PSV_SW_PNS1_23onesweep_lookback_stateEbbT6_jjT7_P12ihipStream_tbENKUlT_T0_SK_SP_E_clIPxSE_SF_SF_EEDaS13_S14_SK_SP_EUlS13_E_NS1_11comp_targetILNS1_3genE10ELNS1_11target_archE1201ELNS1_3gpuE5ELNS1_3repE0EEENS1_47radix_sort_onesweep_sort_config_static_selectorELNS0_4arch9wavefront6targetE1EEEvSK_
	.p2align	8
	.type	_ZN7rocprim17ROCPRIM_400000_NS6detail17trampoline_kernelINS0_14default_configENS1_35radix_sort_onesweep_config_selectorIxNS0_10empty_typeEEEZZNS1_29radix_sort_onesweep_iterationIS3_Lb0EN6thrust23THRUST_200600_302600_NS6detail15normal_iteratorINS9_10device_ptrIxEEEESE_PS5_SF_jNS0_19identity_decomposerENS1_16block_id_wrapperIjLb0EEEEE10hipError_tT1_PNSt15iterator_traitsISK_E10value_typeET2_T3_PNSL_ISQ_E10value_typeET4_T5_PSV_SW_PNS1_23onesweep_lookback_stateEbbT6_jjT7_P12ihipStream_tbENKUlT_T0_SK_SP_E_clIPxSE_SF_SF_EEDaS13_S14_SK_SP_EUlS13_E_NS1_11comp_targetILNS1_3genE10ELNS1_11target_archE1201ELNS1_3gpuE5ELNS1_3repE0EEENS1_47radix_sort_onesweep_sort_config_static_selectorELNS0_4arch9wavefront6targetE1EEEvSK_,@function
_ZN7rocprim17ROCPRIM_400000_NS6detail17trampoline_kernelINS0_14default_configENS1_35radix_sort_onesweep_config_selectorIxNS0_10empty_typeEEEZZNS1_29radix_sort_onesweep_iterationIS3_Lb0EN6thrust23THRUST_200600_302600_NS6detail15normal_iteratorINS9_10device_ptrIxEEEESE_PS5_SF_jNS0_19identity_decomposerENS1_16block_id_wrapperIjLb0EEEEE10hipError_tT1_PNSt15iterator_traitsISK_E10value_typeET2_T3_PNSL_ISQ_E10value_typeET4_T5_PSV_SW_PNS1_23onesweep_lookback_stateEbbT6_jjT7_P12ihipStream_tbENKUlT_T0_SK_SP_E_clIPxSE_SF_SF_EEDaS13_S14_SK_SP_EUlS13_E_NS1_11comp_targetILNS1_3genE10ELNS1_11target_archE1201ELNS1_3gpuE5ELNS1_3repE0EEENS1_47radix_sort_onesweep_sort_config_static_selectorELNS0_4arch9wavefront6targetE1EEEvSK_: ; @_ZN7rocprim17ROCPRIM_400000_NS6detail17trampoline_kernelINS0_14default_configENS1_35radix_sort_onesweep_config_selectorIxNS0_10empty_typeEEEZZNS1_29radix_sort_onesweep_iterationIS3_Lb0EN6thrust23THRUST_200600_302600_NS6detail15normal_iteratorINS9_10device_ptrIxEEEESE_PS5_SF_jNS0_19identity_decomposerENS1_16block_id_wrapperIjLb0EEEEE10hipError_tT1_PNSt15iterator_traitsISK_E10value_typeET2_T3_PNSL_ISQ_E10value_typeET4_T5_PSV_SW_PNS1_23onesweep_lookback_stateEbbT6_jjT7_P12ihipStream_tbENKUlT_T0_SK_SP_E_clIPxSE_SF_SF_EEDaS13_S14_SK_SP_EUlS13_E_NS1_11comp_targetILNS1_3genE10ELNS1_11target_archE1201ELNS1_3gpuE5ELNS1_3repE0EEENS1_47radix_sort_onesweep_sort_config_static_selectorELNS0_4arch9wavefront6targetE1EEEvSK_
; %bb.0:
	.section	.rodata,"a",@progbits
	.p2align	6, 0x0
	.amdhsa_kernel _ZN7rocprim17ROCPRIM_400000_NS6detail17trampoline_kernelINS0_14default_configENS1_35radix_sort_onesweep_config_selectorIxNS0_10empty_typeEEEZZNS1_29radix_sort_onesweep_iterationIS3_Lb0EN6thrust23THRUST_200600_302600_NS6detail15normal_iteratorINS9_10device_ptrIxEEEESE_PS5_SF_jNS0_19identity_decomposerENS1_16block_id_wrapperIjLb0EEEEE10hipError_tT1_PNSt15iterator_traitsISK_E10value_typeET2_T3_PNSL_ISQ_E10value_typeET4_T5_PSV_SW_PNS1_23onesweep_lookback_stateEbbT6_jjT7_P12ihipStream_tbENKUlT_T0_SK_SP_E_clIPxSE_SF_SF_EEDaS13_S14_SK_SP_EUlS13_E_NS1_11comp_targetILNS1_3genE10ELNS1_11target_archE1201ELNS1_3gpuE5ELNS1_3repE0EEENS1_47radix_sort_onesweep_sort_config_static_selectorELNS0_4arch9wavefront6targetE1EEEvSK_
		.amdhsa_group_segment_fixed_size 0
		.amdhsa_private_segment_fixed_size 0
		.amdhsa_kernarg_size 88
		.amdhsa_user_sgpr_count 2
		.amdhsa_user_sgpr_dispatch_ptr 0
		.amdhsa_user_sgpr_queue_ptr 0
		.amdhsa_user_sgpr_kernarg_segment_ptr 1
		.amdhsa_user_sgpr_dispatch_id 0
		.amdhsa_user_sgpr_kernarg_preload_length 0
		.amdhsa_user_sgpr_kernarg_preload_offset 0
		.amdhsa_user_sgpr_private_segment_size 0
		.amdhsa_uses_dynamic_stack 0
		.amdhsa_enable_private_segment 0
		.amdhsa_system_sgpr_workgroup_id_x 1
		.amdhsa_system_sgpr_workgroup_id_y 0
		.amdhsa_system_sgpr_workgroup_id_z 0
		.amdhsa_system_sgpr_workgroup_info 0
		.amdhsa_system_vgpr_workitem_id 0
		.amdhsa_next_free_vgpr 1
		.amdhsa_next_free_sgpr 0
		.amdhsa_accum_offset 4
		.amdhsa_reserve_vcc 0
		.amdhsa_float_round_mode_32 0
		.amdhsa_float_round_mode_16_64 0
		.amdhsa_float_denorm_mode_32 3
		.amdhsa_float_denorm_mode_16_64 3
		.amdhsa_dx10_clamp 1
		.amdhsa_ieee_mode 1
		.amdhsa_fp16_overflow 0
		.amdhsa_tg_split 0
		.amdhsa_exception_fp_ieee_invalid_op 0
		.amdhsa_exception_fp_denorm_src 0
		.amdhsa_exception_fp_ieee_div_zero 0
		.amdhsa_exception_fp_ieee_overflow 0
		.amdhsa_exception_fp_ieee_underflow 0
		.amdhsa_exception_fp_ieee_inexact 0
		.amdhsa_exception_int_div_zero 0
	.end_amdhsa_kernel
	.section	.text._ZN7rocprim17ROCPRIM_400000_NS6detail17trampoline_kernelINS0_14default_configENS1_35radix_sort_onesweep_config_selectorIxNS0_10empty_typeEEEZZNS1_29radix_sort_onesweep_iterationIS3_Lb0EN6thrust23THRUST_200600_302600_NS6detail15normal_iteratorINS9_10device_ptrIxEEEESE_PS5_SF_jNS0_19identity_decomposerENS1_16block_id_wrapperIjLb0EEEEE10hipError_tT1_PNSt15iterator_traitsISK_E10value_typeET2_T3_PNSL_ISQ_E10value_typeET4_T5_PSV_SW_PNS1_23onesweep_lookback_stateEbbT6_jjT7_P12ihipStream_tbENKUlT_T0_SK_SP_E_clIPxSE_SF_SF_EEDaS13_S14_SK_SP_EUlS13_E_NS1_11comp_targetILNS1_3genE10ELNS1_11target_archE1201ELNS1_3gpuE5ELNS1_3repE0EEENS1_47radix_sort_onesweep_sort_config_static_selectorELNS0_4arch9wavefront6targetE1EEEvSK_,"axG",@progbits,_ZN7rocprim17ROCPRIM_400000_NS6detail17trampoline_kernelINS0_14default_configENS1_35radix_sort_onesweep_config_selectorIxNS0_10empty_typeEEEZZNS1_29radix_sort_onesweep_iterationIS3_Lb0EN6thrust23THRUST_200600_302600_NS6detail15normal_iteratorINS9_10device_ptrIxEEEESE_PS5_SF_jNS0_19identity_decomposerENS1_16block_id_wrapperIjLb0EEEEE10hipError_tT1_PNSt15iterator_traitsISK_E10value_typeET2_T3_PNSL_ISQ_E10value_typeET4_T5_PSV_SW_PNS1_23onesweep_lookback_stateEbbT6_jjT7_P12ihipStream_tbENKUlT_T0_SK_SP_E_clIPxSE_SF_SF_EEDaS13_S14_SK_SP_EUlS13_E_NS1_11comp_targetILNS1_3genE10ELNS1_11target_archE1201ELNS1_3gpuE5ELNS1_3repE0EEENS1_47radix_sort_onesweep_sort_config_static_selectorELNS0_4arch9wavefront6targetE1EEEvSK_,comdat
.Lfunc_end1593:
	.size	_ZN7rocprim17ROCPRIM_400000_NS6detail17trampoline_kernelINS0_14default_configENS1_35radix_sort_onesweep_config_selectorIxNS0_10empty_typeEEEZZNS1_29radix_sort_onesweep_iterationIS3_Lb0EN6thrust23THRUST_200600_302600_NS6detail15normal_iteratorINS9_10device_ptrIxEEEESE_PS5_SF_jNS0_19identity_decomposerENS1_16block_id_wrapperIjLb0EEEEE10hipError_tT1_PNSt15iterator_traitsISK_E10value_typeET2_T3_PNSL_ISQ_E10value_typeET4_T5_PSV_SW_PNS1_23onesweep_lookback_stateEbbT6_jjT7_P12ihipStream_tbENKUlT_T0_SK_SP_E_clIPxSE_SF_SF_EEDaS13_S14_SK_SP_EUlS13_E_NS1_11comp_targetILNS1_3genE10ELNS1_11target_archE1201ELNS1_3gpuE5ELNS1_3repE0EEENS1_47radix_sort_onesweep_sort_config_static_selectorELNS0_4arch9wavefront6targetE1EEEvSK_, .Lfunc_end1593-_ZN7rocprim17ROCPRIM_400000_NS6detail17trampoline_kernelINS0_14default_configENS1_35radix_sort_onesweep_config_selectorIxNS0_10empty_typeEEEZZNS1_29radix_sort_onesweep_iterationIS3_Lb0EN6thrust23THRUST_200600_302600_NS6detail15normal_iteratorINS9_10device_ptrIxEEEESE_PS5_SF_jNS0_19identity_decomposerENS1_16block_id_wrapperIjLb0EEEEE10hipError_tT1_PNSt15iterator_traitsISK_E10value_typeET2_T3_PNSL_ISQ_E10value_typeET4_T5_PSV_SW_PNS1_23onesweep_lookback_stateEbbT6_jjT7_P12ihipStream_tbENKUlT_T0_SK_SP_E_clIPxSE_SF_SF_EEDaS13_S14_SK_SP_EUlS13_E_NS1_11comp_targetILNS1_3genE10ELNS1_11target_archE1201ELNS1_3gpuE5ELNS1_3repE0EEENS1_47radix_sort_onesweep_sort_config_static_selectorELNS0_4arch9wavefront6targetE1EEEvSK_
                                        ; -- End function
	.section	.AMDGPU.csdata,"",@progbits
; Kernel info:
; codeLenInByte = 0
; NumSgprs: 6
; NumVgprs: 0
; NumAgprs: 0
; TotalNumVgprs: 0
; ScratchSize: 0
; MemoryBound: 0
; FloatMode: 240
; IeeeMode: 1
; LDSByteSize: 0 bytes/workgroup (compile time only)
; SGPRBlocks: 0
; VGPRBlocks: 0
; NumSGPRsForWavesPerEU: 6
; NumVGPRsForWavesPerEU: 1
; AccumOffset: 4
; Occupancy: 8
; WaveLimiterHint : 0
; COMPUTE_PGM_RSRC2:SCRATCH_EN: 0
; COMPUTE_PGM_RSRC2:USER_SGPR: 2
; COMPUTE_PGM_RSRC2:TRAP_HANDLER: 0
; COMPUTE_PGM_RSRC2:TGID_X_EN: 1
; COMPUTE_PGM_RSRC2:TGID_Y_EN: 0
; COMPUTE_PGM_RSRC2:TGID_Z_EN: 0
; COMPUTE_PGM_RSRC2:TIDIG_COMP_CNT: 0
; COMPUTE_PGM_RSRC3_GFX90A:ACCUM_OFFSET: 0
; COMPUTE_PGM_RSRC3_GFX90A:TG_SPLIT: 0
	.section	.text._ZN7rocprim17ROCPRIM_400000_NS6detail17trampoline_kernelINS0_14default_configENS1_35radix_sort_onesweep_config_selectorIxNS0_10empty_typeEEEZZNS1_29radix_sort_onesweep_iterationIS3_Lb0EN6thrust23THRUST_200600_302600_NS6detail15normal_iteratorINS9_10device_ptrIxEEEESE_PS5_SF_jNS0_19identity_decomposerENS1_16block_id_wrapperIjLb0EEEEE10hipError_tT1_PNSt15iterator_traitsISK_E10value_typeET2_T3_PNSL_ISQ_E10value_typeET4_T5_PSV_SW_PNS1_23onesweep_lookback_stateEbbT6_jjT7_P12ihipStream_tbENKUlT_T0_SK_SP_E_clIPxSE_SF_SF_EEDaS13_S14_SK_SP_EUlS13_E_NS1_11comp_targetILNS1_3genE9ELNS1_11target_archE1100ELNS1_3gpuE3ELNS1_3repE0EEENS1_47radix_sort_onesweep_sort_config_static_selectorELNS0_4arch9wavefront6targetE1EEEvSK_,"axG",@progbits,_ZN7rocprim17ROCPRIM_400000_NS6detail17trampoline_kernelINS0_14default_configENS1_35radix_sort_onesweep_config_selectorIxNS0_10empty_typeEEEZZNS1_29radix_sort_onesweep_iterationIS3_Lb0EN6thrust23THRUST_200600_302600_NS6detail15normal_iteratorINS9_10device_ptrIxEEEESE_PS5_SF_jNS0_19identity_decomposerENS1_16block_id_wrapperIjLb0EEEEE10hipError_tT1_PNSt15iterator_traitsISK_E10value_typeET2_T3_PNSL_ISQ_E10value_typeET4_T5_PSV_SW_PNS1_23onesweep_lookback_stateEbbT6_jjT7_P12ihipStream_tbENKUlT_T0_SK_SP_E_clIPxSE_SF_SF_EEDaS13_S14_SK_SP_EUlS13_E_NS1_11comp_targetILNS1_3genE9ELNS1_11target_archE1100ELNS1_3gpuE3ELNS1_3repE0EEENS1_47radix_sort_onesweep_sort_config_static_selectorELNS0_4arch9wavefront6targetE1EEEvSK_,comdat
	.protected	_ZN7rocprim17ROCPRIM_400000_NS6detail17trampoline_kernelINS0_14default_configENS1_35radix_sort_onesweep_config_selectorIxNS0_10empty_typeEEEZZNS1_29radix_sort_onesweep_iterationIS3_Lb0EN6thrust23THRUST_200600_302600_NS6detail15normal_iteratorINS9_10device_ptrIxEEEESE_PS5_SF_jNS0_19identity_decomposerENS1_16block_id_wrapperIjLb0EEEEE10hipError_tT1_PNSt15iterator_traitsISK_E10value_typeET2_T3_PNSL_ISQ_E10value_typeET4_T5_PSV_SW_PNS1_23onesweep_lookback_stateEbbT6_jjT7_P12ihipStream_tbENKUlT_T0_SK_SP_E_clIPxSE_SF_SF_EEDaS13_S14_SK_SP_EUlS13_E_NS1_11comp_targetILNS1_3genE9ELNS1_11target_archE1100ELNS1_3gpuE3ELNS1_3repE0EEENS1_47radix_sort_onesweep_sort_config_static_selectorELNS0_4arch9wavefront6targetE1EEEvSK_ ; -- Begin function _ZN7rocprim17ROCPRIM_400000_NS6detail17trampoline_kernelINS0_14default_configENS1_35radix_sort_onesweep_config_selectorIxNS0_10empty_typeEEEZZNS1_29radix_sort_onesweep_iterationIS3_Lb0EN6thrust23THRUST_200600_302600_NS6detail15normal_iteratorINS9_10device_ptrIxEEEESE_PS5_SF_jNS0_19identity_decomposerENS1_16block_id_wrapperIjLb0EEEEE10hipError_tT1_PNSt15iterator_traitsISK_E10value_typeET2_T3_PNSL_ISQ_E10value_typeET4_T5_PSV_SW_PNS1_23onesweep_lookback_stateEbbT6_jjT7_P12ihipStream_tbENKUlT_T0_SK_SP_E_clIPxSE_SF_SF_EEDaS13_S14_SK_SP_EUlS13_E_NS1_11comp_targetILNS1_3genE9ELNS1_11target_archE1100ELNS1_3gpuE3ELNS1_3repE0EEENS1_47radix_sort_onesweep_sort_config_static_selectorELNS0_4arch9wavefront6targetE1EEEvSK_
	.globl	_ZN7rocprim17ROCPRIM_400000_NS6detail17trampoline_kernelINS0_14default_configENS1_35radix_sort_onesweep_config_selectorIxNS0_10empty_typeEEEZZNS1_29radix_sort_onesweep_iterationIS3_Lb0EN6thrust23THRUST_200600_302600_NS6detail15normal_iteratorINS9_10device_ptrIxEEEESE_PS5_SF_jNS0_19identity_decomposerENS1_16block_id_wrapperIjLb0EEEEE10hipError_tT1_PNSt15iterator_traitsISK_E10value_typeET2_T3_PNSL_ISQ_E10value_typeET4_T5_PSV_SW_PNS1_23onesweep_lookback_stateEbbT6_jjT7_P12ihipStream_tbENKUlT_T0_SK_SP_E_clIPxSE_SF_SF_EEDaS13_S14_SK_SP_EUlS13_E_NS1_11comp_targetILNS1_3genE9ELNS1_11target_archE1100ELNS1_3gpuE3ELNS1_3repE0EEENS1_47radix_sort_onesweep_sort_config_static_selectorELNS0_4arch9wavefront6targetE1EEEvSK_
	.p2align	8
	.type	_ZN7rocprim17ROCPRIM_400000_NS6detail17trampoline_kernelINS0_14default_configENS1_35radix_sort_onesweep_config_selectorIxNS0_10empty_typeEEEZZNS1_29radix_sort_onesweep_iterationIS3_Lb0EN6thrust23THRUST_200600_302600_NS6detail15normal_iteratorINS9_10device_ptrIxEEEESE_PS5_SF_jNS0_19identity_decomposerENS1_16block_id_wrapperIjLb0EEEEE10hipError_tT1_PNSt15iterator_traitsISK_E10value_typeET2_T3_PNSL_ISQ_E10value_typeET4_T5_PSV_SW_PNS1_23onesweep_lookback_stateEbbT6_jjT7_P12ihipStream_tbENKUlT_T0_SK_SP_E_clIPxSE_SF_SF_EEDaS13_S14_SK_SP_EUlS13_E_NS1_11comp_targetILNS1_3genE9ELNS1_11target_archE1100ELNS1_3gpuE3ELNS1_3repE0EEENS1_47radix_sort_onesweep_sort_config_static_selectorELNS0_4arch9wavefront6targetE1EEEvSK_,@function
_ZN7rocprim17ROCPRIM_400000_NS6detail17trampoline_kernelINS0_14default_configENS1_35radix_sort_onesweep_config_selectorIxNS0_10empty_typeEEEZZNS1_29radix_sort_onesweep_iterationIS3_Lb0EN6thrust23THRUST_200600_302600_NS6detail15normal_iteratorINS9_10device_ptrIxEEEESE_PS5_SF_jNS0_19identity_decomposerENS1_16block_id_wrapperIjLb0EEEEE10hipError_tT1_PNSt15iterator_traitsISK_E10value_typeET2_T3_PNSL_ISQ_E10value_typeET4_T5_PSV_SW_PNS1_23onesweep_lookback_stateEbbT6_jjT7_P12ihipStream_tbENKUlT_T0_SK_SP_E_clIPxSE_SF_SF_EEDaS13_S14_SK_SP_EUlS13_E_NS1_11comp_targetILNS1_3genE9ELNS1_11target_archE1100ELNS1_3gpuE3ELNS1_3repE0EEENS1_47radix_sort_onesweep_sort_config_static_selectorELNS0_4arch9wavefront6targetE1EEEvSK_: ; @_ZN7rocprim17ROCPRIM_400000_NS6detail17trampoline_kernelINS0_14default_configENS1_35radix_sort_onesweep_config_selectorIxNS0_10empty_typeEEEZZNS1_29radix_sort_onesweep_iterationIS3_Lb0EN6thrust23THRUST_200600_302600_NS6detail15normal_iteratorINS9_10device_ptrIxEEEESE_PS5_SF_jNS0_19identity_decomposerENS1_16block_id_wrapperIjLb0EEEEE10hipError_tT1_PNSt15iterator_traitsISK_E10value_typeET2_T3_PNSL_ISQ_E10value_typeET4_T5_PSV_SW_PNS1_23onesweep_lookback_stateEbbT6_jjT7_P12ihipStream_tbENKUlT_T0_SK_SP_E_clIPxSE_SF_SF_EEDaS13_S14_SK_SP_EUlS13_E_NS1_11comp_targetILNS1_3genE9ELNS1_11target_archE1100ELNS1_3gpuE3ELNS1_3repE0EEENS1_47radix_sort_onesweep_sort_config_static_selectorELNS0_4arch9wavefront6targetE1EEEvSK_
; %bb.0:
	.section	.rodata,"a",@progbits
	.p2align	6, 0x0
	.amdhsa_kernel _ZN7rocprim17ROCPRIM_400000_NS6detail17trampoline_kernelINS0_14default_configENS1_35radix_sort_onesweep_config_selectorIxNS0_10empty_typeEEEZZNS1_29radix_sort_onesweep_iterationIS3_Lb0EN6thrust23THRUST_200600_302600_NS6detail15normal_iteratorINS9_10device_ptrIxEEEESE_PS5_SF_jNS0_19identity_decomposerENS1_16block_id_wrapperIjLb0EEEEE10hipError_tT1_PNSt15iterator_traitsISK_E10value_typeET2_T3_PNSL_ISQ_E10value_typeET4_T5_PSV_SW_PNS1_23onesweep_lookback_stateEbbT6_jjT7_P12ihipStream_tbENKUlT_T0_SK_SP_E_clIPxSE_SF_SF_EEDaS13_S14_SK_SP_EUlS13_E_NS1_11comp_targetILNS1_3genE9ELNS1_11target_archE1100ELNS1_3gpuE3ELNS1_3repE0EEENS1_47radix_sort_onesweep_sort_config_static_selectorELNS0_4arch9wavefront6targetE1EEEvSK_
		.amdhsa_group_segment_fixed_size 0
		.amdhsa_private_segment_fixed_size 0
		.amdhsa_kernarg_size 88
		.amdhsa_user_sgpr_count 2
		.amdhsa_user_sgpr_dispatch_ptr 0
		.amdhsa_user_sgpr_queue_ptr 0
		.amdhsa_user_sgpr_kernarg_segment_ptr 1
		.amdhsa_user_sgpr_dispatch_id 0
		.amdhsa_user_sgpr_kernarg_preload_length 0
		.amdhsa_user_sgpr_kernarg_preload_offset 0
		.amdhsa_user_sgpr_private_segment_size 0
		.amdhsa_uses_dynamic_stack 0
		.amdhsa_enable_private_segment 0
		.amdhsa_system_sgpr_workgroup_id_x 1
		.amdhsa_system_sgpr_workgroup_id_y 0
		.amdhsa_system_sgpr_workgroup_id_z 0
		.amdhsa_system_sgpr_workgroup_info 0
		.amdhsa_system_vgpr_workitem_id 0
		.amdhsa_next_free_vgpr 1
		.amdhsa_next_free_sgpr 0
		.amdhsa_accum_offset 4
		.amdhsa_reserve_vcc 0
		.amdhsa_float_round_mode_32 0
		.amdhsa_float_round_mode_16_64 0
		.amdhsa_float_denorm_mode_32 3
		.amdhsa_float_denorm_mode_16_64 3
		.amdhsa_dx10_clamp 1
		.amdhsa_ieee_mode 1
		.amdhsa_fp16_overflow 0
		.amdhsa_tg_split 0
		.amdhsa_exception_fp_ieee_invalid_op 0
		.amdhsa_exception_fp_denorm_src 0
		.amdhsa_exception_fp_ieee_div_zero 0
		.amdhsa_exception_fp_ieee_overflow 0
		.amdhsa_exception_fp_ieee_underflow 0
		.amdhsa_exception_fp_ieee_inexact 0
		.amdhsa_exception_int_div_zero 0
	.end_amdhsa_kernel
	.section	.text._ZN7rocprim17ROCPRIM_400000_NS6detail17trampoline_kernelINS0_14default_configENS1_35radix_sort_onesweep_config_selectorIxNS0_10empty_typeEEEZZNS1_29radix_sort_onesweep_iterationIS3_Lb0EN6thrust23THRUST_200600_302600_NS6detail15normal_iteratorINS9_10device_ptrIxEEEESE_PS5_SF_jNS0_19identity_decomposerENS1_16block_id_wrapperIjLb0EEEEE10hipError_tT1_PNSt15iterator_traitsISK_E10value_typeET2_T3_PNSL_ISQ_E10value_typeET4_T5_PSV_SW_PNS1_23onesweep_lookback_stateEbbT6_jjT7_P12ihipStream_tbENKUlT_T0_SK_SP_E_clIPxSE_SF_SF_EEDaS13_S14_SK_SP_EUlS13_E_NS1_11comp_targetILNS1_3genE9ELNS1_11target_archE1100ELNS1_3gpuE3ELNS1_3repE0EEENS1_47radix_sort_onesweep_sort_config_static_selectorELNS0_4arch9wavefront6targetE1EEEvSK_,"axG",@progbits,_ZN7rocprim17ROCPRIM_400000_NS6detail17trampoline_kernelINS0_14default_configENS1_35radix_sort_onesweep_config_selectorIxNS0_10empty_typeEEEZZNS1_29radix_sort_onesweep_iterationIS3_Lb0EN6thrust23THRUST_200600_302600_NS6detail15normal_iteratorINS9_10device_ptrIxEEEESE_PS5_SF_jNS0_19identity_decomposerENS1_16block_id_wrapperIjLb0EEEEE10hipError_tT1_PNSt15iterator_traitsISK_E10value_typeET2_T3_PNSL_ISQ_E10value_typeET4_T5_PSV_SW_PNS1_23onesweep_lookback_stateEbbT6_jjT7_P12ihipStream_tbENKUlT_T0_SK_SP_E_clIPxSE_SF_SF_EEDaS13_S14_SK_SP_EUlS13_E_NS1_11comp_targetILNS1_3genE9ELNS1_11target_archE1100ELNS1_3gpuE3ELNS1_3repE0EEENS1_47radix_sort_onesweep_sort_config_static_selectorELNS0_4arch9wavefront6targetE1EEEvSK_,comdat
.Lfunc_end1594:
	.size	_ZN7rocprim17ROCPRIM_400000_NS6detail17trampoline_kernelINS0_14default_configENS1_35radix_sort_onesweep_config_selectorIxNS0_10empty_typeEEEZZNS1_29radix_sort_onesweep_iterationIS3_Lb0EN6thrust23THRUST_200600_302600_NS6detail15normal_iteratorINS9_10device_ptrIxEEEESE_PS5_SF_jNS0_19identity_decomposerENS1_16block_id_wrapperIjLb0EEEEE10hipError_tT1_PNSt15iterator_traitsISK_E10value_typeET2_T3_PNSL_ISQ_E10value_typeET4_T5_PSV_SW_PNS1_23onesweep_lookback_stateEbbT6_jjT7_P12ihipStream_tbENKUlT_T0_SK_SP_E_clIPxSE_SF_SF_EEDaS13_S14_SK_SP_EUlS13_E_NS1_11comp_targetILNS1_3genE9ELNS1_11target_archE1100ELNS1_3gpuE3ELNS1_3repE0EEENS1_47radix_sort_onesweep_sort_config_static_selectorELNS0_4arch9wavefront6targetE1EEEvSK_, .Lfunc_end1594-_ZN7rocprim17ROCPRIM_400000_NS6detail17trampoline_kernelINS0_14default_configENS1_35radix_sort_onesweep_config_selectorIxNS0_10empty_typeEEEZZNS1_29radix_sort_onesweep_iterationIS3_Lb0EN6thrust23THRUST_200600_302600_NS6detail15normal_iteratorINS9_10device_ptrIxEEEESE_PS5_SF_jNS0_19identity_decomposerENS1_16block_id_wrapperIjLb0EEEEE10hipError_tT1_PNSt15iterator_traitsISK_E10value_typeET2_T3_PNSL_ISQ_E10value_typeET4_T5_PSV_SW_PNS1_23onesweep_lookback_stateEbbT6_jjT7_P12ihipStream_tbENKUlT_T0_SK_SP_E_clIPxSE_SF_SF_EEDaS13_S14_SK_SP_EUlS13_E_NS1_11comp_targetILNS1_3genE9ELNS1_11target_archE1100ELNS1_3gpuE3ELNS1_3repE0EEENS1_47radix_sort_onesweep_sort_config_static_selectorELNS0_4arch9wavefront6targetE1EEEvSK_
                                        ; -- End function
	.section	.AMDGPU.csdata,"",@progbits
; Kernel info:
; codeLenInByte = 0
; NumSgprs: 6
; NumVgprs: 0
; NumAgprs: 0
; TotalNumVgprs: 0
; ScratchSize: 0
; MemoryBound: 0
; FloatMode: 240
; IeeeMode: 1
; LDSByteSize: 0 bytes/workgroup (compile time only)
; SGPRBlocks: 0
; VGPRBlocks: 0
; NumSGPRsForWavesPerEU: 6
; NumVGPRsForWavesPerEU: 1
; AccumOffset: 4
; Occupancy: 8
; WaveLimiterHint : 0
; COMPUTE_PGM_RSRC2:SCRATCH_EN: 0
; COMPUTE_PGM_RSRC2:USER_SGPR: 2
; COMPUTE_PGM_RSRC2:TRAP_HANDLER: 0
; COMPUTE_PGM_RSRC2:TGID_X_EN: 1
; COMPUTE_PGM_RSRC2:TGID_Y_EN: 0
; COMPUTE_PGM_RSRC2:TGID_Z_EN: 0
; COMPUTE_PGM_RSRC2:TIDIG_COMP_CNT: 0
; COMPUTE_PGM_RSRC3_GFX90A:ACCUM_OFFSET: 0
; COMPUTE_PGM_RSRC3_GFX90A:TG_SPLIT: 0
	.section	.text._ZN7rocprim17ROCPRIM_400000_NS6detail17trampoline_kernelINS0_14default_configENS1_35radix_sort_onesweep_config_selectorIxNS0_10empty_typeEEEZZNS1_29radix_sort_onesweep_iterationIS3_Lb0EN6thrust23THRUST_200600_302600_NS6detail15normal_iteratorINS9_10device_ptrIxEEEESE_PS5_SF_jNS0_19identity_decomposerENS1_16block_id_wrapperIjLb0EEEEE10hipError_tT1_PNSt15iterator_traitsISK_E10value_typeET2_T3_PNSL_ISQ_E10value_typeET4_T5_PSV_SW_PNS1_23onesweep_lookback_stateEbbT6_jjT7_P12ihipStream_tbENKUlT_T0_SK_SP_E_clIPxSE_SF_SF_EEDaS13_S14_SK_SP_EUlS13_E_NS1_11comp_targetILNS1_3genE8ELNS1_11target_archE1030ELNS1_3gpuE2ELNS1_3repE0EEENS1_47radix_sort_onesweep_sort_config_static_selectorELNS0_4arch9wavefront6targetE1EEEvSK_,"axG",@progbits,_ZN7rocprim17ROCPRIM_400000_NS6detail17trampoline_kernelINS0_14default_configENS1_35radix_sort_onesweep_config_selectorIxNS0_10empty_typeEEEZZNS1_29radix_sort_onesweep_iterationIS3_Lb0EN6thrust23THRUST_200600_302600_NS6detail15normal_iteratorINS9_10device_ptrIxEEEESE_PS5_SF_jNS0_19identity_decomposerENS1_16block_id_wrapperIjLb0EEEEE10hipError_tT1_PNSt15iterator_traitsISK_E10value_typeET2_T3_PNSL_ISQ_E10value_typeET4_T5_PSV_SW_PNS1_23onesweep_lookback_stateEbbT6_jjT7_P12ihipStream_tbENKUlT_T0_SK_SP_E_clIPxSE_SF_SF_EEDaS13_S14_SK_SP_EUlS13_E_NS1_11comp_targetILNS1_3genE8ELNS1_11target_archE1030ELNS1_3gpuE2ELNS1_3repE0EEENS1_47radix_sort_onesweep_sort_config_static_selectorELNS0_4arch9wavefront6targetE1EEEvSK_,comdat
	.protected	_ZN7rocprim17ROCPRIM_400000_NS6detail17trampoline_kernelINS0_14default_configENS1_35radix_sort_onesweep_config_selectorIxNS0_10empty_typeEEEZZNS1_29radix_sort_onesweep_iterationIS3_Lb0EN6thrust23THRUST_200600_302600_NS6detail15normal_iteratorINS9_10device_ptrIxEEEESE_PS5_SF_jNS0_19identity_decomposerENS1_16block_id_wrapperIjLb0EEEEE10hipError_tT1_PNSt15iterator_traitsISK_E10value_typeET2_T3_PNSL_ISQ_E10value_typeET4_T5_PSV_SW_PNS1_23onesweep_lookback_stateEbbT6_jjT7_P12ihipStream_tbENKUlT_T0_SK_SP_E_clIPxSE_SF_SF_EEDaS13_S14_SK_SP_EUlS13_E_NS1_11comp_targetILNS1_3genE8ELNS1_11target_archE1030ELNS1_3gpuE2ELNS1_3repE0EEENS1_47radix_sort_onesweep_sort_config_static_selectorELNS0_4arch9wavefront6targetE1EEEvSK_ ; -- Begin function _ZN7rocprim17ROCPRIM_400000_NS6detail17trampoline_kernelINS0_14default_configENS1_35radix_sort_onesweep_config_selectorIxNS0_10empty_typeEEEZZNS1_29radix_sort_onesweep_iterationIS3_Lb0EN6thrust23THRUST_200600_302600_NS6detail15normal_iteratorINS9_10device_ptrIxEEEESE_PS5_SF_jNS0_19identity_decomposerENS1_16block_id_wrapperIjLb0EEEEE10hipError_tT1_PNSt15iterator_traitsISK_E10value_typeET2_T3_PNSL_ISQ_E10value_typeET4_T5_PSV_SW_PNS1_23onesweep_lookback_stateEbbT6_jjT7_P12ihipStream_tbENKUlT_T0_SK_SP_E_clIPxSE_SF_SF_EEDaS13_S14_SK_SP_EUlS13_E_NS1_11comp_targetILNS1_3genE8ELNS1_11target_archE1030ELNS1_3gpuE2ELNS1_3repE0EEENS1_47radix_sort_onesweep_sort_config_static_selectorELNS0_4arch9wavefront6targetE1EEEvSK_
	.globl	_ZN7rocprim17ROCPRIM_400000_NS6detail17trampoline_kernelINS0_14default_configENS1_35radix_sort_onesweep_config_selectorIxNS0_10empty_typeEEEZZNS1_29radix_sort_onesweep_iterationIS3_Lb0EN6thrust23THRUST_200600_302600_NS6detail15normal_iteratorINS9_10device_ptrIxEEEESE_PS5_SF_jNS0_19identity_decomposerENS1_16block_id_wrapperIjLb0EEEEE10hipError_tT1_PNSt15iterator_traitsISK_E10value_typeET2_T3_PNSL_ISQ_E10value_typeET4_T5_PSV_SW_PNS1_23onesweep_lookback_stateEbbT6_jjT7_P12ihipStream_tbENKUlT_T0_SK_SP_E_clIPxSE_SF_SF_EEDaS13_S14_SK_SP_EUlS13_E_NS1_11comp_targetILNS1_3genE8ELNS1_11target_archE1030ELNS1_3gpuE2ELNS1_3repE0EEENS1_47radix_sort_onesweep_sort_config_static_selectorELNS0_4arch9wavefront6targetE1EEEvSK_
	.p2align	8
	.type	_ZN7rocprim17ROCPRIM_400000_NS6detail17trampoline_kernelINS0_14default_configENS1_35radix_sort_onesweep_config_selectorIxNS0_10empty_typeEEEZZNS1_29radix_sort_onesweep_iterationIS3_Lb0EN6thrust23THRUST_200600_302600_NS6detail15normal_iteratorINS9_10device_ptrIxEEEESE_PS5_SF_jNS0_19identity_decomposerENS1_16block_id_wrapperIjLb0EEEEE10hipError_tT1_PNSt15iterator_traitsISK_E10value_typeET2_T3_PNSL_ISQ_E10value_typeET4_T5_PSV_SW_PNS1_23onesweep_lookback_stateEbbT6_jjT7_P12ihipStream_tbENKUlT_T0_SK_SP_E_clIPxSE_SF_SF_EEDaS13_S14_SK_SP_EUlS13_E_NS1_11comp_targetILNS1_3genE8ELNS1_11target_archE1030ELNS1_3gpuE2ELNS1_3repE0EEENS1_47radix_sort_onesweep_sort_config_static_selectorELNS0_4arch9wavefront6targetE1EEEvSK_,@function
_ZN7rocprim17ROCPRIM_400000_NS6detail17trampoline_kernelINS0_14default_configENS1_35radix_sort_onesweep_config_selectorIxNS0_10empty_typeEEEZZNS1_29radix_sort_onesweep_iterationIS3_Lb0EN6thrust23THRUST_200600_302600_NS6detail15normal_iteratorINS9_10device_ptrIxEEEESE_PS5_SF_jNS0_19identity_decomposerENS1_16block_id_wrapperIjLb0EEEEE10hipError_tT1_PNSt15iterator_traitsISK_E10value_typeET2_T3_PNSL_ISQ_E10value_typeET4_T5_PSV_SW_PNS1_23onesweep_lookback_stateEbbT6_jjT7_P12ihipStream_tbENKUlT_T0_SK_SP_E_clIPxSE_SF_SF_EEDaS13_S14_SK_SP_EUlS13_E_NS1_11comp_targetILNS1_3genE8ELNS1_11target_archE1030ELNS1_3gpuE2ELNS1_3repE0EEENS1_47radix_sort_onesweep_sort_config_static_selectorELNS0_4arch9wavefront6targetE1EEEvSK_: ; @_ZN7rocprim17ROCPRIM_400000_NS6detail17trampoline_kernelINS0_14default_configENS1_35radix_sort_onesweep_config_selectorIxNS0_10empty_typeEEEZZNS1_29radix_sort_onesweep_iterationIS3_Lb0EN6thrust23THRUST_200600_302600_NS6detail15normal_iteratorINS9_10device_ptrIxEEEESE_PS5_SF_jNS0_19identity_decomposerENS1_16block_id_wrapperIjLb0EEEEE10hipError_tT1_PNSt15iterator_traitsISK_E10value_typeET2_T3_PNSL_ISQ_E10value_typeET4_T5_PSV_SW_PNS1_23onesweep_lookback_stateEbbT6_jjT7_P12ihipStream_tbENKUlT_T0_SK_SP_E_clIPxSE_SF_SF_EEDaS13_S14_SK_SP_EUlS13_E_NS1_11comp_targetILNS1_3genE8ELNS1_11target_archE1030ELNS1_3gpuE2ELNS1_3repE0EEENS1_47radix_sort_onesweep_sort_config_static_selectorELNS0_4arch9wavefront6targetE1EEEvSK_
; %bb.0:
	.section	.rodata,"a",@progbits
	.p2align	6, 0x0
	.amdhsa_kernel _ZN7rocprim17ROCPRIM_400000_NS6detail17trampoline_kernelINS0_14default_configENS1_35radix_sort_onesweep_config_selectorIxNS0_10empty_typeEEEZZNS1_29radix_sort_onesweep_iterationIS3_Lb0EN6thrust23THRUST_200600_302600_NS6detail15normal_iteratorINS9_10device_ptrIxEEEESE_PS5_SF_jNS0_19identity_decomposerENS1_16block_id_wrapperIjLb0EEEEE10hipError_tT1_PNSt15iterator_traitsISK_E10value_typeET2_T3_PNSL_ISQ_E10value_typeET4_T5_PSV_SW_PNS1_23onesweep_lookback_stateEbbT6_jjT7_P12ihipStream_tbENKUlT_T0_SK_SP_E_clIPxSE_SF_SF_EEDaS13_S14_SK_SP_EUlS13_E_NS1_11comp_targetILNS1_3genE8ELNS1_11target_archE1030ELNS1_3gpuE2ELNS1_3repE0EEENS1_47radix_sort_onesweep_sort_config_static_selectorELNS0_4arch9wavefront6targetE1EEEvSK_
		.amdhsa_group_segment_fixed_size 0
		.amdhsa_private_segment_fixed_size 0
		.amdhsa_kernarg_size 88
		.amdhsa_user_sgpr_count 2
		.amdhsa_user_sgpr_dispatch_ptr 0
		.amdhsa_user_sgpr_queue_ptr 0
		.amdhsa_user_sgpr_kernarg_segment_ptr 1
		.amdhsa_user_sgpr_dispatch_id 0
		.amdhsa_user_sgpr_kernarg_preload_length 0
		.amdhsa_user_sgpr_kernarg_preload_offset 0
		.amdhsa_user_sgpr_private_segment_size 0
		.amdhsa_uses_dynamic_stack 0
		.amdhsa_enable_private_segment 0
		.amdhsa_system_sgpr_workgroup_id_x 1
		.amdhsa_system_sgpr_workgroup_id_y 0
		.amdhsa_system_sgpr_workgroup_id_z 0
		.amdhsa_system_sgpr_workgroup_info 0
		.amdhsa_system_vgpr_workitem_id 0
		.amdhsa_next_free_vgpr 1
		.amdhsa_next_free_sgpr 0
		.amdhsa_accum_offset 4
		.amdhsa_reserve_vcc 0
		.amdhsa_float_round_mode_32 0
		.amdhsa_float_round_mode_16_64 0
		.amdhsa_float_denorm_mode_32 3
		.amdhsa_float_denorm_mode_16_64 3
		.amdhsa_dx10_clamp 1
		.amdhsa_ieee_mode 1
		.amdhsa_fp16_overflow 0
		.amdhsa_tg_split 0
		.amdhsa_exception_fp_ieee_invalid_op 0
		.amdhsa_exception_fp_denorm_src 0
		.amdhsa_exception_fp_ieee_div_zero 0
		.amdhsa_exception_fp_ieee_overflow 0
		.amdhsa_exception_fp_ieee_underflow 0
		.amdhsa_exception_fp_ieee_inexact 0
		.amdhsa_exception_int_div_zero 0
	.end_amdhsa_kernel
	.section	.text._ZN7rocprim17ROCPRIM_400000_NS6detail17trampoline_kernelINS0_14default_configENS1_35radix_sort_onesweep_config_selectorIxNS0_10empty_typeEEEZZNS1_29radix_sort_onesweep_iterationIS3_Lb0EN6thrust23THRUST_200600_302600_NS6detail15normal_iteratorINS9_10device_ptrIxEEEESE_PS5_SF_jNS0_19identity_decomposerENS1_16block_id_wrapperIjLb0EEEEE10hipError_tT1_PNSt15iterator_traitsISK_E10value_typeET2_T3_PNSL_ISQ_E10value_typeET4_T5_PSV_SW_PNS1_23onesweep_lookback_stateEbbT6_jjT7_P12ihipStream_tbENKUlT_T0_SK_SP_E_clIPxSE_SF_SF_EEDaS13_S14_SK_SP_EUlS13_E_NS1_11comp_targetILNS1_3genE8ELNS1_11target_archE1030ELNS1_3gpuE2ELNS1_3repE0EEENS1_47radix_sort_onesweep_sort_config_static_selectorELNS0_4arch9wavefront6targetE1EEEvSK_,"axG",@progbits,_ZN7rocprim17ROCPRIM_400000_NS6detail17trampoline_kernelINS0_14default_configENS1_35radix_sort_onesweep_config_selectorIxNS0_10empty_typeEEEZZNS1_29radix_sort_onesweep_iterationIS3_Lb0EN6thrust23THRUST_200600_302600_NS6detail15normal_iteratorINS9_10device_ptrIxEEEESE_PS5_SF_jNS0_19identity_decomposerENS1_16block_id_wrapperIjLb0EEEEE10hipError_tT1_PNSt15iterator_traitsISK_E10value_typeET2_T3_PNSL_ISQ_E10value_typeET4_T5_PSV_SW_PNS1_23onesweep_lookback_stateEbbT6_jjT7_P12ihipStream_tbENKUlT_T0_SK_SP_E_clIPxSE_SF_SF_EEDaS13_S14_SK_SP_EUlS13_E_NS1_11comp_targetILNS1_3genE8ELNS1_11target_archE1030ELNS1_3gpuE2ELNS1_3repE0EEENS1_47radix_sort_onesweep_sort_config_static_selectorELNS0_4arch9wavefront6targetE1EEEvSK_,comdat
.Lfunc_end1595:
	.size	_ZN7rocprim17ROCPRIM_400000_NS6detail17trampoline_kernelINS0_14default_configENS1_35radix_sort_onesweep_config_selectorIxNS0_10empty_typeEEEZZNS1_29radix_sort_onesweep_iterationIS3_Lb0EN6thrust23THRUST_200600_302600_NS6detail15normal_iteratorINS9_10device_ptrIxEEEESE_PS5_SF_jNS0_19identity_decomposerENS1_16block_id_wrapperIjLb0EEEEE10hipError_tT1_PNSt15iterator_traitsISK_E10value_typeET2_T3_PNSL_ISQ_E10value_typeET4_T5_PSV_SW_PNS1_23onesweep_lookback_stateEbbT6_jjT7_P12ihipStream_tbENKUlT_T0_SK_SP_E_clIPxSE_SF_SF_EEDaS13_S14_SK_SP_EUlS13_E_NS1_11comp_targetILNS1_3genE8ELNS1_11target_archE1030ELNS1_3gpuE2ELNS1_3repE0EEENS1_47radix_sort_onesweep_sort_config_static_selectorELNS0_4arch9wavefront6targetE1EEEvSK_, .Lfunc_end1595-_ZN7rocprim17ROCPRIM_400000_NS6detail17trampoline_kernelINS0_14default_configENS1_35radix_sort_onesweep_config_selectorIxNS0_10empty_typeEEEZZNS1_29radix_sort_onesweep_iterationIS3_Lb0EN6thrust23THRUST_200600_302600_NS6detail15normal_iteratorINS9_10device_ptrIxEEEESE_PS5_SF_jNS0_19identity_decomposerENS1_16block_id_wrapperIjLb0EEEEE10hipError_tT1_PNSt15iterator_traitsISK_E10value_typeET2_T3_PNSL_ISQ_E10value_typeET4_T5_PSV_SW_PNS1_23onesweep_lookback_stateEbbT6_jjT7_P12ihipStream_tbENKUlT_T0_SK_SP_E_clIPxSE_SF_SF_EEDaS13_S14_SK_SP_EUlS13_E_NS1_11comp_targetILNS1_3genE8ELNS1_11target_archE1030ELNS1_3gpuE2ELNS1_3repE0EEENS1_47radix_sort_onesweep_sort_config_static_selectorELNS0_4arch9wavefront6targetE1EEEvSK_
                                        ; -- End function
	.section	.AMDGPU.csdata,"",@progbits
; Kernel info:
; codeLenInByte = 0
; NumSgprs: 6
; NumVgprs: 0
; NumAgprs: 0
; TotalNumVgprs: 0
; ScratchSize: 0
; MemoryBound: 0
; FloatMode: 240
; IeeeMode: 1
; LDSByteSize: 0 bytes/workgroup (compile time only)
; SGPRBlocks: 0
; VGPRBlocks: 0
; NumSGPRsForWavesPerEU: 6
; NumVGPRsForWavesPerEU: 1
; AccumOffset: 4
; Occupancy: 8
; WaveLimiterHint : 0
; COMPUTE_PGM_RSRC2:SCRATCH_EN: 0
; COMPUTE_PGM_RSRC2:USER_SGPR: 2
; COMPUTE_PGM_RSRC2:TRAP_HANDLER: 0
; COMPUTE_PGM_RSRC2:TGID_X_EN: 1
; COMPUTE_PGM_RSRC2:TGID_Y_EN: 0
; COMPUTE_PGM_RSRC2:TGID_Z_EN: 0
; COMPUTE_PGM_RSRC2:TIDIG_COMP_CNT: 0
; COMPUTE_PGM_RSRC3_GFX90A:ACCUM_OFFSET: 0
; COMPUTE_PGM_RSRC3_GFX90A:TG_SPLIT: 0
	.section	.text._ZN7rocprim17ROCPRIM_400000_NS6detail17trampoline_kernelINS0_13kernel_configILj256ELj4ELj4294967295EEENS1_37radix_sort_block_sort_config_selectorIiNS0_10empty_typeEEEZNS1_21radix_sort_block_sortIS4_Lb0EN6thrust23THRUST_200600_302600_NS6detail15normal_iteratorINSA_10device_ptrIiEEEESF_PS6_SG_NS0_19identity_decomposerEEE10hipError_tT1_T2_T3_T4_jRjT5_jjP12ihipStream_tbEUlT_E_NS1_11comp_targetILNS1_3genE0ELNS1_11target_archE4294967295ELNS1_3gpuE0ELNS1_3repE0EEENS1_44radix_sort_block_sort_config_static_selectorELNS0_4arch9wavefront6targetE1EEEvSJ_,"axG",@progbits,_ZN7rocprim17ROCPRIM_400000_NS6detail17trampoline_kernelINS0_13kernel_configILj256ELj4ELj4294967295EEENS1_37radix_sort_block_sort_config_selectorIiNS0_10empty_typeEEEZNS1_21radix_sort_block_sortIS4_Lb0EN6thrust23THRUST_200600_302600_NS6detail15normal_iteratorINSA_10device_ptrIiEEEESF_PS6_SG_NS0_19identity_decomposerEEE10hipError_tT1_T2_T3_T4_jRjT5_jjP12ihipStream_tbEUlT_E_NS1_11comp_targetILNS1_3genE0ELNS1_11target_archE4294967295ELNS1_3gpuE0ELNS1_3repE0EEENS1_44radix_sort_block_sort_config_static_selectorELNS0_4arch9wavefront6targetE1EEEvSJ_,comdat
	.protected	_ZN7rocprim17ROCPRIM_400000_NS6detail17trampoline_kernelINS0_13kernel_configILj256ELj4ELj4294967295EEENS1_37radix_sort_block_sort_config_selectorIiNS0_10empty_typeEEEZNS1_21radix_sort_block_sortIS4_Lb0EN6thrust23THRUST_200600_302600_NS6detail15normal_iteratorINSA_10device_ptrIiEEEESF_PS6_SG_NS0_19identity_decomposerEEE10hipError_tT1_T2_T3_T4_jRjT5_jjP12ihipStream_tbEUlT_E_NS1_11comp_targetILNS1_3genE0ELNS1_11target_archE4294967295ELNS1_3gpuE0ELNS1_3repE0EEENS1_44radix_sort_block_sort_config_static_selectorELNS0_4arch9wavefront6targetE1EEEvSJ_ ; -- Begin function _ZN7rocprim17ROCPRIM_400000_NS6detail17trampoline_kernelINS0_13kernel_configILj256ELj4ELj4294967295EEENS1_37radix_sort_block_sort_config_selectorIiNS0_10empty_typeEEEZNS1_21radix_sort_block_sortIS4_Lb0EN6thrust23THRUST_200600_302600_NS6detail15normal_iteratorINSA_10device_ptrIiEEEESF_PS6_SG_NS0_19identity_decomposerEEE10hipError_tT1_T2_T3_T4_jRjT5_jjP12ihipStream_tbEUlT_E_NS1_11comp_targetILNS1_3genE0ELNS1_11target_archE4294967295ELNS1_3gpuE0ELNS1_3repE0EEENS1_44radix_sort_block_sort_config_static_selectorELNS0_4arch9wavefront6targetE1EEEvSJ_
	.globl	_ZN7rocprim17ROCPRIM_400000_NS6detail17trampoline_kernelINS0_13kernel_configILj256ELj4ELj4294967295EEENS1_37radix_sort_block_sort_config_selectorIiNS0_10empty_typeEEEZNS1_21radix_sort_block_sortIS4_Lb0EN6thrust23THRUST_200600_302600_NS6detail15normal_iteratorINSA_10device_ptrIiEEEESF_PS6_SG_NS0_19identity_decomposerEEE10hipError_tT1_T2_T3_T4_jRjT5_jjP12ihipStream_tbEUlT_E_NS1_11comp_targetILNS1_3genE0ELNS1_11target_archE4294967295ELNS1_3gpuE0ELNS1_3repE0EEENS1_44radix_sort_block_sort_config_static_selectorELNS0_4arch9wavefront6targetE1EEEvSJ_
	.p2align	8
	.type	_ZN7rocprim17ROCPRIM_400000_NS6detail17trampoline_kernelINS0_13kernel_configILj256ELj4ELj4294967295EEENS1_37radix_sort_block_sort_config_selectorIiNS0_10empty_typeEEEZNS1_21radix_sort_block_sortIS4_Lb0EN6thrust23THRUST_200600_302600_NS6detail15normal_iteratorINSA_10device_ptrIiEEEESF_PS6_SG_NS0_19identity_decomposerEEE10hipError_tT1_T2_T3_T4_jRjT5_jjP12ihipStream_tbEUlT_E_NS1_11comp_targetILNS1_3genE0ELNS1_11target_archE4294967295ELNS1_3gpuE0ELNS1_3repE0EEENS1_44radix_sort_block_sort_config_static_selectorELNS0_4arch9wavefront6targetE1EEEvSJ_,@function
_ZN7rocprim17ROCPRIM_400000_NS6detail17trampoline_kernelINS0_13kernel_configILj256ELj4ELj4294967295EEENS1_37radix_sort_block_sort_config_selectorIiNS0_10empty_typeEEEZNS1_21radix_sort_block_sortIS4_Lb0EN6thrust23THRUST_200600_302600_NS6detail15normal_iteratorINSA_10device_ptrIiEEEESF_PS6_SG_NS0_19identity_decomposerEEE10hipError_tT1_T2_T3_T4_jRjT5_jjP12ihipStream_tbEUlT_E_NS1_11comp_targetILNS1_3genE0ELNS1_11target_archE4294967295ELNS1_3gpuE0ELNS1_3repE0EEENS1_44radix_sort_block_sort_config_static_selectorELNS0_4arch9wavefront6targetE1EEEvSJ_: ; @_ZN7rocprim17ROCPRIM_400000_NS6detail17trampoline_kernelINS0_13kernel_configILj256ELj4ELj4294967295EEENS1_37radix_sort_block_sort_config_selectorIiNS0_10empty_typeEEEZNS1_21radix_sort_block_sortIS4_Lb0EN6thrust23THRUST_200600_302600_NS6detail15normal_iteratorINSA_10device_ptrIiEEEESF_PS6_SG_NS0_19identity_decomposerEEE10hipError_tT1_T2_T3_T4_jRjT5_jjP12ihipStream_tbEUlT_E_NS1_11comp_targetILNS1_3genE0ELNS1_11target_archE4294967295ELNS1_3gpuE0ELNS1_3repE0EEENS1_44radix_sort_block_sort_config_static_selectorELNS0_4arch9wavefront6targetE1EEEvSJ_
; %bb.0:
	.section	.rodata,"a",@progbits
	.p2align	6, 0x0
	.amdhsa_kernel _ZN7rocprim17ROCPRIM_400000_NS6detail17trampoline_kernelINS0_13kernel_configILj256ELj4ELj4294967295EEENS1_37radix_sort_block_sort_config_selectorIiNS0_10empty_typeEEEZNS1_21radix_sort_block_sortIS4_Lb0EN6thrust23THRUST_200600_302600_NS6detail15normal_iteratorINSA_10device_ptrIiEEEESF_PS6_SG_NS0_19identity_decomposerEEE10hipError_tT1_T2_T3_T4_jRjT5_jjP12ihipStream_tbEUlT_E_NS1_11comp_targetILNS1_3genE0ELNS1_11target_archE4294967295ELNS1_3gpuE0ELNS1_3repE0EEENS1_44radix_sort_block_sort_config_static_selectorELNS0_4arch9wavefront6targetE1EEEvSJ_
		.amdhsa_group_segment_fixed_size 0
		.amdhsa_private_segment_fixed_size 0
		.amdhsa_kernarg_size 48
		.amdhsa_user_sgpr_count 2
		.amdhsa_user_sgpr_dispatch_ptr 0
		.amdhsa_user_sgpr_queue_ptr 0
		.amdhsa_user_sgpr_kernarg_segment_ptr 1
		.amdhsa_user_sgpr_dispatch_id 0
		.amdhsa_user_sgpr_kernarg_preload_length 0
		.amdhsa_user_sgpr_kernarg_preload_offset 0
		.amdhsa_user_sgpr_private_segment_size 0
		.amdhsa_uses_dynamic_stack 0
		.amdhsa_enable_private_segment 0
		.amdhsa_system_sgpr_workgroup_id_x 1
		.amdhsa_system_sgpr_workgroup_id_y 0
		.amdhsa_system_sgpr_workgroup_id_z 0
		.amdhsa_system_sgpr_workgroup_info 0
		.amdhsa_system_vgpr_workitem_id 0
		.amdhsa_next_free_vgpr 1
		.amdhsa_next_free_sgpr 0
		.amdhsa_accum_offset 4
		.amdhsa_reserve_vcc 0
		.amdhsa_float_round_mode_32 0
		.amdhsa_float_round_mode_16_64 0
		.amdhsa_float_denorm_mode_32 3
		.amdhsa_float_denorm_mode_16_64 3
		.amdhsa_dx10_clamp 1
		.amdhsa_ieee_mode 1
		.amdhsa_fp16_overflow 0
		.amdhsa_tg_split 0
		.amdhsa_exception_fp_ieee_invalid_op 0
		.amdhsa_exception_fp_denorm_src 0
		.amdhsa_exception_fp_ieee_div_zero 0
		.amdhsa_exception_fp_ieee_overflow 0
		.amdhsa_exception_fp_ieee_underflow 0
		.amdhsa_exception_fp_ieee_inexact 0
		.amdhsa_exception_int_div_zero 0
	.end_amdhsa_kernel
	.section	.text._ZN7rocprim17ROCPRIM_400000_NS6detail17trampoline_kernelINS0_13kernel_configILj256ELj4ELj4294967295EEENS1_37radix_sort_block_sort_config_selectorIiNS0_10empty_typeEEEZNS1_21radix_sort_block_sortIS4_Lb0EN6thrust23THRUST_200600_302600_NS6detail15normal_iteratorINSA_10device_ptrIiEEEESF_PS6_SG_NS0_19identity_decomposerEEE10hipError_tT1_T2_T3_T4_jRjT5_jjP12ihipStream_tbEUlT_E_NS1_11comp_targetILNS1_3genE0ELNS1_11target_archE4294967295ELNS1_3gpuE0ELNS1_3repE0EEENS1_44radix_sort_block_sort_config_static_selectorELNS0_4arch9wavefront6targetE1EEEvSJ_,"axG",@progbits,_ZN7rocprim17ROCPRIM_400000_NS6detail17trampoline_kernelINS0_13kernel_configILj256ELj4ELj4294967295EEENS1_37radix_sort_block_sort_config_selectorIiNS0_10empty_typeEEEZNS1_21radix_sort_block_sortIS4_Lb0EN6thrust23THRUST_200600_302600_NS6detail15normal_iteratorINSA_10device_ptrIiEEEESF_PS6_SG_NS0_19identity_decomposerEEE10hipError_tT1_T2_T3_T4_jRjT5_jjP12ihipStream_tbEUlT_E_NS1_11comp_targetILNS1_3genE0ELNS1_11target_archE4294967295ELNS1_3gpuE0ELNS1_3repE0EEENS1_44radix_sort_block_sort_config_static_selectorELNS0_4arch9wavefront6targetE1EEEvSJ_,comdat
.Lfunc_end1596:
	.size	_ZN7rocprim17ROCPRIM_400000_NS6detail17trampoline_kernelINS0_13kernel_configILj256ELj4ELj4294967295EEENS1_37radix_sort_block_sort_config_selectorIiNS0_10empty_typeEEEZNS1_21radix_sort_block_sortIS4_Lb0EN6thrust23THRUST_200600_302600_NS6detail15normal_iteratorINSA_10device_ptrIiEEEESF_PS6_SG_NS0_19identity_decomposerEEE10hipError_tT1_T2_T3_T4_jRjT5_jjP12ihipStream_tbEUlT_E_NS1_11comp_targetILNS1_3genE0ELNS1_11target_archE4294967295ELNS1_3gpuE0ELNS1_3repE0EEENS1_44radix_sort_block_sort_config_static_selectorELNS0_4arch9wavefront6targetE1EEEvSJ_, .Lfunc_end1596-_ZN7rocprim17ROCPRIM_400000_NS6detail17trampoline_kernelINS0_13kernel_configILj256ELj4ELj4294967295EEENS1_37radix_sort_block_sort_config_selectorIiNS0_10empty_typeEEEZNS1_21radix_sort_block_sortIS4_Lb0EN6thrust23THRUST_200600_302600_NS6detail15normal_iteratorINSA_10device_ptrIiEEEESF_PS6_SG_NS0_19identity_decomposerEEE10hipError_tT1_T2_T3_T4_jRjT5_jjP12ihipStream_tbEUlT_E_NS1_11comp_targetILNS1_3genE0ELNS1_11target_archE4294967295ELNS1_3gpuE0ELNS1_3repE0EEENS1_44radix_sort_block_sort_config_static_selectorELNS0_4arch9wavefront6targetE1EEEvSJ_
                                        ; -- End function
	.section	.AMDGPU.csdata,"",@progbits
; Kernel info:
; codeLenInByte = 0
; NumSgprs: 6
; NumVgprs: 0
; NumAgprs: 0
; TotalNumVgprs: 0
; ScratchSize: 0
; MemoryBound: 0
; FloatMode: 240
; IeeeMode: 1
; LDSByteSize: 0 bytes/workgroup (compile time only)
; SGPRBlocks: 0
; VGPRBlocks: 0
; NumSGPRsForWavesPerEU: 6
; NumVGPRsForWavesPerEU: 1
; AccumOffset: 4
; Occupancy: 8
; WaveLimiterHint : 0
; COMPUTE_PGM_RSRC2:SCRATCH_EN: 0
; COMPUTE_PGM_RSRC2:USER_SGPR: 2
; COMPUTE_PGM_RSRC2:TRAP_HANDLER: 0
; COMPUTE_PGM_RSRC2:TGID_X_EN: 1
; COMPUTE_PGM_RSRC2:TGID_Y_EN: 0
; COMPUTE_PGM_RSRC2:TGID_Z_EN: 0
; COMPUTE_PGM_RSRC2:TIDIG_COMP_CNT: 0
; COMPUTE_PGM_RSRC3_GFX90A:ACCUM_OFFSET: 0
; COMPUTE_PGM_RSRC3_GFX90A:TG_SPLIT: 0
	.section	.text._ZN7rocprim17ROCPRIM_400000_NS6detail17trampoline_kernelINS0_13kernel_configILj256ELj4ELj4294967295EEENS1_37radix_sort_block_sort_config_selectorIiNS0_10empty_typeEEEZNS1_21radix_sort_block_sortIS4_Lb0EN6thrust23THRUST_200600_302600_NS6detail15normal_iteratorINSA_10device_ptrIiEEEESF_PS6_SG_NS0_19identity_decomposerEEE10hipError_tT1_T2_T3_T4_jRjT5_jjP12ihipStream_tbEUlT_E_NS1_11comp_targetILNS1_3genE5ELNS1_11target_archE942ELNS1_3gpuE9ELNS1_3repE0EEENS1_44radix_sort_block_sort_config_static_selectorELNS0_4arch9wavefront6targetE1EEEvSJ_,"axG",@progbits,_ZN7rocprim17ROCPRIM_400000_NS6detail17trampoline_kernelINS0_13kernel_configILj256ELj4ELj4294967295EEENS1_37radix_sort_block_sort_config_selectorIiNS0_10empty_typeEEEZNS1_21radix_sort_block_sortIS4_Lb0EN6thrust23THRUST_200600_302600_NS6detail15normal_iteratorINSA_10device_ptrIiEEEESF_PS6_SG_NS0_19identity_decomposerEEE10hipError_tT1_T2_T3_T4_jRjT5_jjP12ihipStream_tbEUlT_E_NS1_11comp_targetILNS1_3genE5ELNS1_11target_archE942ELNS1_3gpuE9ELNS1_3repE0EEENS1_44radix_sort_block_sort_config_static_selectorELNS0_4arch9wavefront6targetE1EEEvSJ_,comdat
	.protected	_ZN7rocprim17ROCPRIM_400000_NS6detail17trampoline_kernelINS0_13kernel_configILj256ELj4ELj4294967295EEENS1_37radix_sort_block_sort_config_selectorIiNS0_10empty_typeEEEZNS1_21radix_sort_block_sortIS4_Lb0EN6thrust23THRUST_200600_302600_NS6detail15normal_iteratorINSA_10device_ptrIiEEEESF_PS6_SG_NS0_19identity_decomposerEEE10hipError_tT1_T2_T3_T4_jRjT5_jjP12ihipStream_tbEUlT_E_NS1_11comp_targetILNS1_3genE5ELNS1_11target_archE942ELNS1_3gpuE9ELNS1_3repE0EEENS1_44radix_sort_block_sort_config_static_selectorELNS0_4arch9wavefront6targetE1EEEvSJ_ ; -- Begin function _ZN7rocprim17ROCPRIM_400000_NS6detail17trampoline_kernelINS0_13kernel_configILj256ELj4ELj4294967295EEENS1_37radix_sort_block_sort_config_selectorIiNS0_10empty_typeEEEZNS1_21radix_sort_block_sortIS4_Lb0EN6thrust23THRUST_200600_302600_NS6detail15normal_iteratorINSA_10device_ptrIiEEEESF_PS6_SG_NS0_19identity_decomposerEEE10hipError_tT1_T2_T3_T4_jRjT5_jjP12ihipStream_tbEUlT_E_NS1_11comp_targetILNS1_3genE5ELNS1_11target_archE942ELNS1_3gpuE9ELNS1_3repE0EEENS1_44radix_sort_block_sort_config_static_selectorELNS0_4arch9wavefront6targetE1EEEvSJ_
	.globl	_ZN7rocprim17ROCPRIM_400000_NS6detail17trampoline_kernelINS0_13kernel_configILj256ELj4ELj4294967295EEENS1_37radix_sort_block_sort_config_selectorIiNS0_10empty_typeEEEZNS1_21radix_sort_block_sortIS4_Lb0EN6thrust23THRUST_200600_302600_NS6detail15normal_iteratorINSA_10device_ptrIiEEEESF_PS6_SG_NS0_19identity_decomposerEEE10hipError_tT1_T2_T3_T4_jRjT5_jjP12ihipStream_tbEUlT_E_NS1_11comp_targetILNS1_3genE5ELNS1_11target_archE942ELNS1_3gpuE9ELNS1_3repE0EEENS1_44radix_sort_block_sort_config_static_selectorELNS0_4arch9wavefront6targetE1EEEvSJ_
	.p2align	8
	.type	_ZN7rocprim17ROCPRIM_400000_NS6detail17trampoline_kernelINS0_13kernel_configILj256ELj4ELj4294967295EEENS1_37radix_sort_block_sort_config_selectorIiNS0_10empty_typeEEEZNS1_21radix_sort_block_sortIS4_Lb0EN6thrust23THRUST_200600_302600_NS6detail15normal_iteratorINSA_10device_ptrIiEEEESF_PS6_SG_NS0_19identity_decomposerEEE10hipError_tT1_T2_T3_T4_jRjT5_jjP12ihipStream_tbEUlT_E_NS1_11comp_targetILNS1_3genE5ELNS1_11target_archE942ELNS1_3gpuE9ELNS1_3repE0EEENS1_44radix_sort_block_sort_config_static_selectorELNS0_4arch9wavefront6targetE1EEEvSJ_,@function
_ZN7rocprim17ROCPRIM_400000_NS6detail17trampoline_kernelINS0_13kernel_configILj256ELj4ELj4294967295EEENS1_37radix_sort_block_sort_config_selectorIiNS0_10empty_typeEEEZNS1_21radix_sort_block_sortIS4_Lb0EN6thrust23THRUST_200600_302600_NS6detail15normal_iteratorINSA_10device_ptrIiEEEESF_PS6_SG_NS0_19identity_decomposerEEE10hipError_tT1_T2_T3_T4_jRjT5_jjP12ihipStream_tbEUlT_E_NS1_11comp_targetILNS1_3genE5ELNS1_11target_archE942ELNS1_3gpuE9ELNS1_3repE0EEENS1_44radix_sort_block_sort_config_static_selectorELNS0_4arch9wavefront6targetE1EEEvSJ_: ; @_ZN7rocprim17ROCPRIM_400000_NS6detail17trampoline_kernelINS0_13kernel_configILj256ELj4ELj4294967295EEENS1_37radix_sort_block_sort_config_selectorIiNS0_10empty_typeEEEZNS1_21radix_sort_block_sortIS4_Lb0EN6thrust23THRUST_200600_302600_NS6detail15normal_iteratorINSA_10device_ptrIiEEEESF_PS6_SG_NS0_19identity_decomposerEEE10hipError_tT1_T2_T3_T4_jRjT5_jjP12ihipStream_tbEUlT_E_NS1_11comp_targetILNS1_3genE5ELNS1_11target_archE942ELNS1_3gpuE9ELNS1_3repE0EEENS1_44radix_sort_block_sort_config_static_selectorELNS0_4arch9wavefront6targetE1EEEvSJ_
; %bb.0:
	s_load_dword s6, s[0:1], 0x20
	s_load_dwordx4 s[28:31], s[0:1], 0x0
	s_lshl_b32 s4, s2, 10
	s_mov_b32 s5, 0
	v_mbcnt_lo_u32_b32 v1, -1, 0
	s_waitcnt lgkmcnt(0)
	s_lshr_b32 s3, s6, 10
	s_cmp_lg_u32 s2, s3
	v_and_b32_e32 v6, 0x3ff, v0
	s_cselect_b64 s[34:35], -1, 0
	s_lshl_b64 s[36:37], s[4:5], 2
	v_mbcnt_hi_u32_b32 v1, -1, v1
	s_add_u32 s8, s28, s36
	v_and_b32_e32 v9, 63, v1
	v_lshlrev_b32_e32 v8, 2, v6
	s_addc_u32 s9, s29, s37
	v_and_b32_e32 v12, 0x300, v8
	v_lshlrev_b32_e32 v2, 2, v9
	v_mov_b32_e32 v3, 0
	v_lshl_add_u64 v[4:5], s[8:9], 0, v[2:3]
	v_lshlrev_b32_e32 v2, 2, v12
	s_cmp_eq_u32 s2, s3
	v_lshl_add_u64 v[10:11], v[4:5], 0, v[2:3]
	v_or_b32_e32 v7, v9, v12
	s_cbranch_scc1 .LBB1597_2
; %bb.1:
	global_load_dword v2, v[10:11], off
	global_load_dword v3, v[10:11], off offset:256
	global_load_dword v4, v[10:11], off offset:512
	;; [unrolled: 1-line block ×3, first 2 shown]
	v_or_b32_e32 v18, v9, v12
	v_or_b32_e32 v12, 64, v18
	;; [unrolled: 1-line block ×4, first 2 shown]
	s_load_dwordx2 s[28:29], s[0:1], 0x28
	s_sub_i32 s33, s6, s4
	s_cbranch_execz .LBB1597_3
	s_branch .LBB1597_12
.LBB1597_2:
                                        ; implicit-def: $vgpr2_vgpr3_vgpr4_vgpr5
                                        ; implicit-def: $vgpr18
                                        ; implicit-def: $vgpr12
                                        ; implicit-def: $vgpr13
                                        ; implicit-def: $vgpr21
	s_load_dwordx2 s[28:29], s[0:1], 0x28
	s_sub_i32 s33, s6, s4
.LBB1597_3:
	s_brev_b32 s4, -2
	s_mov_b32 s5, s4
	s_mov_b32 s6, s4
	;; [unrolled: 1-line block ×3, first 2 shown]
	s_waitcnt vmcnt(0)
	v_mov_b64_e32 v[2:3], s[4:5]
	v_cmp_gt_u32_e32 vcc, s33, v7
	v_mov_b64_e32 v[4:5], s[6:7]
	s_and_saveexec_b64 s[2:3], vcc
	s_cbranch_execz .LBB1597_5
; %bb.4:
	global_load_dword v2, v[10:11], off
	v_bfrev_b32_e32 v3, -2
	v_mov_b32_e32 v4, v3
	v_mov_b32_e32 v5, v3
.LBB1597_5:
	s_or_b64 exec, exec, s[2:3]
	v_or_b32_e32 v12, 64, v7
	v_cmp_gt_u32_e32 vcc, s33, v12
	s_and_saveexec_b64 s[2:3], vcc
	s_cbranch_execz .LBB1597_7
; %bb.6:
	global_load_dword v3, v[10:11], off offset:256
.LBB1597_7:
	s_or_b64 exec, exec, s[2:3]
	v_or_b32_e32 v13, 0x80, v7
	v_cmp_gt_u32_e32 vcc, s33, v13
	s_and_saveexec_b64 s[2:3], vcc
	s_cbranch_execz .LBB1597_9
; %bb.8:
	global_load_dword v4, v[10:11], off offset:512
.LBB1597_9:
	;; [unrolled: 8-line block ×3, first 2 shown]
	s_or_b64 exec, exec, s[2:3]
	v_mov_b32_e32 v18, v7
.LBB1597_12:
	s_load_dword s2, s[0:1], 0x3c
	s_waitcnt lgkmcnt(0)
	s_add_i32 s38, s29, s28
	s_getpc_b64 s[0:1]
	s_add_u32 s0, s0, _ZN7rocprim17ROCPRIM_400000_NS16block_radix_sortIiLj256ELj4ENS0_10empty_typeELj1ELj1ELj0ELNS0_26block_radix_rank_algorithmE1ELNS0_18block_padding_hintE2ELNS0_4arch9wavefront6targetE1EE19radix_bits_per_passE@rel32@lo+4
	s_addc_u32 s1, s1, _ZN7rocprim17ROCPRIM_400000_NS16block_radix_sortIiLj256ELj4ENS0_10empty_typeELj1ELj1ELj0ELNS0_26block_radix_rank_algorithmE1ELNS0_18block_padding_hintE2ELNS0_4arch9wavefront6targetE1EE19radix_bits_per_passE@rel32@hi+12
	s_waitcnt vmcnt(0)
	v_xor_b32_e32 v26, 0x80000000, v4
	s_load_dword s39, s[0:1], 0x0
	s_lshr_b32 s0, s2, 16
	v_bfe_u32 v4, v0, 10, 10
	v_bfe_u32 v0, v0, 20, 10
	s_and_b32 s1, s2, 0xffff
	v_mad_u32_u24 v0, v0, s0, v4
	v_xor_b32_e32 v27, 0x80000000, v5
	v_mad_u64_u32 v[4:5], s[0:1], v0, s1, v[6:7]
	v_and_b32_e32 v0, 15, v1
	v_cmp_eq_u32_e64 s[0:1], 0, v0
	v_cmp_lt_u32_e64 s[2:3], 1, v0
	v_cmp_lt_u32_e64 s[4:5], 3, v0
	;; [unrolled: 1-line block ×3, first 2 shown]
	v_and_b32_e32 v0, 16, v1
	v_cmp_eq_u32_e64 s[8:9], 0, v0
	v_and_b32_e32 v0, 0x3c0, v6
	v_min_u32_e32 v0, 0xc0, v0
	v_or_b32_e32 v0, 63, v0
	v_lshrrev_b32_e32 v9, 6, v4
	v_cmp_eq_u32_e64 s[12:13], v0, v6
	v_add_u32_e32 v0, -1, v1
	v_and_b32_e32 v4, 64, v1
	v_cmp_lt_i32_e32 vcc, v0, v4
	s_mov_b32 s26, 0
	s_mov_b32 s27, s26
	v_cndmask_b32_e32 v0, v0, v1, vcc
	v_lshlrev_b32_e32 v15, 2, v0
	v_lshrrev_b32_e32 v0, 4, v6
	v_and_b32_e32 v16, 60, v0
	v_and_b32_e32 v0, 3, v1
	s_mov_b32 s40, s26
	s_mov_b32 s41, s26
	v_xor_b32_e32 v2, 0x80000000, v2
	v_xor_b32_e32 v3, 0x80000000, v3
	v_lshlrev_b32_e32 v7, 2, v8
	v_cmp_lt_u32_e64 s[10:11], 31, v1
	v_cmp_gt_u32_e64 s[14:15], 4, v6
	v_cmp_lt_u32_e64 s[16:17], 63, v6
	v_cmp_eq_u32_e64 s[18:19], 0, v1
	v_cmp_eq_u32_e64 s[20:21], 0, v6
	v_mul_i32_i24_e32 v14, -12, v6
	v_cmp_eq_u32_e64 s[22:23], 0, v0
	v_cmp_lt_u32_e64 s[24:25], 1, v0
	v_add_u32_e32 v17, -4, v16
	v_lshlrev_b32_e32 v18, 2, v18
	v_lshlrev_b32_e32 v19, 2, v12
	;; [unrolled: 1-line block ×4, first 2 shown]
	v_mov_b64_e32 v[4:5], s[26:27]
	v_mov_b64_e32 v[10:11], s[40:41]
	v_mov_b32_e32 v13, 0
	s_branch .LBB1597_14
.LBB1597_13:                            ;   in Loop: Header=BB1597_14 Depth=1
	s_barrier
	ds_write_b32 v0, v25
	ds_write_b32 v1, v24
	;; [unrolled: 1-line block ×4, first 2 shown]
	s_waitcnt lgkmcnt(0)
	s_barrier
	ds_read_b32 v2, v18
	ds_read_b32 v3, v19
	;; [unrolled: 1-line block ×4, first 2 shown]
	s_add_i32 s29, s29, -8
	s_waitcnt lgkmcnt(0)
	s_barrier
	s_cbranch_execz .LBB1597_30
.LBB1597_14:                            ; =>This Inner Loop Header: Depth=1
	s_waitcnt lgkmcnt(0)
	s_min_u32 s26, s39, s29
	v_mov_b32_e32 v25, v2
	s_lshl_b32 s26, -1, s26
	s_not_b32 s40, s26
	v_lshrrev_b32_e32 v0, s28, v25
	v_and_b32_e32 v2, s40, v0
	v_lshl_add_u32 v0, v2, 2, v9
	v_and_b32_e32 v12, 1, v2
	v_mov_b32_e32 v23, v26
	v_lshl_add_u32 v26, v0, 2, 16
	v_lshl_add_u64 v[0:1], v[12:13], 0, -1
	v_cmp_ne_u32_e32 vcc, 0, v12
	v_mov_b32_e32 v24, v3
	v_mov_b32_e32 v22, v27
	v_xor_b32_e32 v1, vcc_hi, v1
	v_xor_b32_e32 v0, vcc_lo, v0
	v_and_b32_e32 v3, exec_hi, v1
	v_and_b32_e32 v12, exec_lo, v0
	v_lshlrev_b32_e32 v1, 30, v2
	v_mov_b32_e32 v0, v13
	v_cmp_gt_i64_e32 vcc, 0, v[0:1]
	v_not_b32_e32 v0, v1
	v_ashrrev_i32_e32 v0, 31, v0
	v_xor_b32_e32 v1, vcc_hi, v0
	v_xor_b32_e32 v0, vcc_lo, v0
	v_and_b32_e32 v3, v3, v1
	v_and_b32_e32 v12, v12, v0
	v_lshlrev_b32_e32 v1, 29, v2
	v_mov_b32_e32 v0, v13
	v_cmp_gt_i64_e32 vcc, 0, v[0:1]
	v_not_b32_e32 v0, v1
	v_ashrrev_i32_e32 v0, 31, v0
	v_xor_b32_e32 v1, vcc_hi, v0
	v_xor_b32_e32 v0, vcc_lo, v0
	v_and_b32_e32 v3, v3, v1
	v_and_b32_e32 v12, v12, v0
	;; [unrolled: 9-line block ×7, first 2 shown]
	v_mbcnt_lo_u32_b32 v2, v0, 0
	v_mbcnt_hi_u32_b32 v27, v1, v2
	v_cmp_eq_u32_e32 vcc, 0, v27
	v_cmp_ne_u64_e64 s[26:27], 0, v[0:1]
	s_and_b64 s[42:43], s[26:27], vcc
	ds_write2_b64 v7, v[4:5], v[10:11] offset0:2 offset1:3
	s_waitcnt lgkmcnt(0)
	s_barrier
	s_waitcnt lgkmcnt(0)
	; wave barrier
	s_and_saveexec_b64 s[26:27], s[42:43]
	s_cbranch_execz .LBB1597_16
; %bb.15:                               ;   in Loop: Header=BB1597_14 Depth=1
	v_bcnt_u32_b32 v0, v0, 0
	v_bcnt_u32_b32 v0, v1, v0
	ds_write_b32 v26, v0
.LBB1597_16:                            ;   in Loop: Header=BB1597_14 Depth=1
	s_or_b64 exec, exec, s[26:27]
	v_lshrrev_b32_e32 v0, s28, v24
	v_and_b32_e32 v2, s40, v0
	v_lshlrev_b32_e32 v0, 2, v2
	v_add_lshl_u32 v0, v0, v9, 2
	v_and_b32_e32 v12, 1, v2
	; wave barrier
	v_add_u32_e32 v29, 16, v0
	ds_read_b32 v28, v0 offset:16
	v_lshl_add_u64 v[0:1], v[12:13], 0, -1
	v_cmp_ne_u32_e32 vcc, 0, v12
	; wave barrier
	s_nop 1
	v_xor_b32_e32 v1, vcc_hi, v1
	v_xor_b32_e32 v0, vcc_lo, v0
	v_and_b32_e32 v3, exec_hi, v1
	v_and_b32_e32 v12, exec_lo, v0
	v_lshlrev_b32_e32 v1, 30, v2
	v_mov_b32_e32 v0, v13
	v_cmp_gt_i64_e32 vcc, 0, v[0:1]
	v_not_b32_e32 v0, v1
	v_ashrrev_i32_e32 v0, 31, v0
	v_xor_b32_e32 v1, vcc_hi, v0
	v_xor_b32_e32 v0, vcc_lo, v0
	v_and_b32_e32 v3, v3, v1
	v_and_b32_e32 v12, v12, v0
	v_lshlrev_b32_e32 v1, 29, v2
	v_mov_b32_e32 v0, v13
	v_cmp_gt_i64_e32 vcc, 0, v[0:1]
	v_not_b32_e32 v0, v1
	v_ashrrev_i32_e32 v0, 31, v0
	v_xor_b32_e32 v1, vcc_hi, v0
	v_xor_b32_e32 v0, vcc_lo, v0
	v_and_b32_e32 v3, v3, v1
	v_and_b32_e32 v12, v12, v0
	;; [unrolled: 9-line block ×7, first 2 shown]
	v_mbcnt_lo_u32_b32 v2, v0, 0
	v_mbcnt_hi_u32_b32 v30, v1, v2
	v_cmp_eq_u32_e32 vcc, 0, v30
	v_cmp_ne_u64_e64 s[26:27], 0, v[0:1]
	s_and_b64 s[42:43], s[26:27], vcc
	s_and_saveexec_b64 s[26:27], s[42:43]
	s_cbranch_execz .LBB1597_18
; %bb.17:                               ;   in Loop: Header=BB1597_14 Depth=1
	v_bcnt_u32_b32 v0, v0, 0
	v_bcnt_u32_b32 v0, v1, v0
	s_waitcnt lgkmcnt(0)
	v_add_u32_e32 v0, v28, v0
	ds_write_b32 v29, v0
.LBB1597_18:                            ;   in Loop: Header=BB1597_14 Depth=1
	s_or_b64 exec, exec, s[26:27]
	v_lshrrev_b32_e32 v0, s28, v23
	v_and_b32_e32 v2, s40, v0
	v_lshlrev_b32_e32 v0, 2, v2
	v_add_lshl_u32 v0, v0, v9, 2
	v_and_b32_e32 v12, 1, v2
	; wave barrier
	v_add_u32_e32 v32, 16, v0
	ds_read_b32 v31, v0 offset:16
	v_lshl_add_u64 v[0:1], v[12:13], 0, -1
	v_cmp_ne_u32_e32 vcc, 0, v12
	; wave barrier
	s_nop 1
	v_xor_b32_e32 v1, vcc_hi, v1
	v_xor_b32_e32 v0, vcc_lo, v0
	v_and_b32_e32 v3, exec_hi, v1
	v_and_b32_e32 v12, exec_lo, v0
	v_lshlrev_b32_e32 v1, 30, v2
	v_mov_b32_e32 v0, v13
	v_cmp_gt_i64_e32 vcc, 0, v[0:1]
	v_not_b32_e32 v0, v1
	v_ashrrev_i32_e32 v0, 31, v0
	v_xor_b32_e32 v1, vcc_hi, v0
	v_xor_b32_e32 v0, vcc_lo, v0
	v_and_b32_e32 v3, v3, v1
	v_and_b32_e32 v12, v12, v0
	v_lshlrev_b32_e32 v1, 29, v2
	v_mov_b32_e32 v0, v13
	v_cmp_gt_i64_e32 vcc, 0, v[0:1]
	v_not_b32_e32 v0, v1
	v_ashrrev_i32_e32 v0, 31, v0
	v_xor_b32_e32 v1, vcc_hi, v0
	v_xor_b32_e32 v0, vcc_lo, v0
	v_and_b32_e32 v3, v3, v1
	v_and_b32_e32 v12, v12, v0
	;; [unrolled: 9-line block ×7, first 2 shown]
	v_mbcnt_lo_u32_b32 v2, v0, 0
	v_mbcnt_hi_u32_b32 v33, v1, v2
	v_cmp_eq_u32_e32 vcc, 0, v33
	v_cmp_ne_u64_e64 s[26:27], 0, v[0:1]
	s_and_b64 s[42:43], s[26:27], vcc
	s_and_saveexec_b64 s[26:27], s[42:43]
	s_cbranch_execz .LBB1597_20
; %bb.19:                               ;   in Loop: Header=BB1597_14 Depth=1
	v_bcnt_u32_b32 v0, v0, 0
	v_bcnt_u32_b32 v0, v1, v0
	s_waitcnt lgkmcnt(0)
	v_add_u32_e32 v0, v31, v0
	ds_write_b32 v32, v0
.LBB1597_20:                            ;   in Loop: Header=BB1597_14 Depth=1
	s_or_b64 exec, exec, s[26:27]
	v_lshrrev_b32_e32 v0, s28, v22
	v_and_b32_e32 v2, s40, v0
	v_lshlrev_b32_e32 v0, 2, v2
	v_add_lshl_u32 v0, v0, v9, 2
	v_and_b32_e32 v12, 1, v2
	; wave barrier
	v_add_u32_e32 v35, 16, v0
	ds_read_b32 v34, v0 offset:16
	v_lshl_add_u64 v[0:1], v[12:13], 0, -1
	v_cmp_ne_u32_e32 vcc, 0, v12
	; wave barrier
	s_nop 1
	v_xor_b32_e32 v1, vcc_hi, v1
	v_xor_b32_e32 v0, vcc_lo, v0
	v_and_b32_e32 v3, exec_hi, v1
	v_and_b32_e32 v12, exec_lo, v0
	v_lshlrev_b32_e32 v1, 30, v2
	v_mov_b32_e32 v0, v13
	v_cmp_gt_i64_e32 vcc, 0, v[0:1]
	v_not_b32_e32 v0, v1
	v_ashrrev_i32_e32 v0, 31, v0
	v_xor_b32_e32 v1, vcc_hi, v0
	v_xor_b32_e32 v0, vcc_lo, v0
	v_and_b32_e32 v3, v3, v1
	v_and_b32_e32 v12, v12, v0
	v_lshlrev_b32_e32 v1, 29, v2
	v_mov_b32_e32 v0, v13
	v_cmp_gt_i64_e32 vcc, 0, v[0:1]
	v_not_b32_e32 v0, v1
	v_ashrrev_i32_e32 v0, 31, v0
	v_xor_b32_e32 v1, vcc_hi, v0
	v_xor_b32_e32 v0, vcc_lo, v0
	v_and_b32_e32 v3, v3, v1
	v_and_b32_e32 v12, v12, v0
	;; [unrolled: 9-line block ×7, first 2 shown]
	v_mbcnt_lo_u32_b32 v2, v0, 0
	v_mbcnt_hi_u32_b32 v12, v1, v2
	v_cmp_eq_u32_e32 vcc, 0, v12
	v_cmp_ne_u64_e64 s[26:27], 0, v[0:1]
	s_and_b64 s[40:41], s[26:27], vcc
	s_and_saveexec_b64 s[26:27], s[40:41]
	s_cbranch_execz .LBB1597_22
; %bb.21:                               ;   in Loop: Header=BB1597_14 Depth=1
	v_bcnt_u32_b32 v0, v0, 0
	v_bcnt_u32_b32 v0, v1, v0
	s_waitcnt lgkmcnt(0)
	v_add_u32_e32 v0, v34, v0
	ds_write_b32 v35, v0
.LBB1597_22:                            ;   in Loop: Header=BB1597_14 Depth=1
	s_or_b64 exec, exec, s[26:27]
	; wave barrier
	s_waitcnt lgkmcnt(0)
	s_barrier
	ds_read2_b64 v[0:3], v7 offset0:2 offset1:3
	s_waitcnt lgkmcnt(0)
	v_add_u32_e32 v36, v1, v0
	v_add3_u32 v3, v36, v2, v3
	s_nop 1
	v_mov_b32_dpp v36, v3 row_shr:1 row_mask:0xf bank_mask:0xf
	v_cndmask_b32_e64 v36, v36, 0, s[0:1]
	v_add_u32_e32 v3, v36, v3
	s_nop 1
	v_mov_b32_dpp v36, v3 row_shr:2 row_mask:0xf bank_mask:0xf
	v_cndmask_b32_e64 v36, 0, v36, s[2:3]
	v_add_u32_e32 v3, v3, v36
	;; [unrolled: 4-line block ×4, first 2 shown]
	s_nop 1
	v_mov_b32_dpp v36, v3 row_bcast:15 row_mask:0xf bank_mask:0xf
	v_cndmask_b32_e64 v36, v36, 0, s[8:9]
	v_add_u32_e32 v3, v3, v36
	s_nop 1
	v_mov_b32_dpp v36, v3 row_bcast:31 row_mask:0xf bank_mask:0xf
	v_cndmask_b32_e64 v36, 0, v36, s[10:11]
	v_add_u32_e32 v3, v3, v36
	s_and_saveexec_b64 s[26:27], s[12:13]
	s_cbranch_execz .LBB1597_24
; %bb.23:                               ;   in Loop: Header=BB1597_14 Depth=1
	ds_write_b32 v16, v3
.LBB1597_24:                            ;   in Loop: Header=BB1597_14 Depth=1
	s_or_b64 exec, exec, s[26:27]
	s_waitcnt lgkmcnt(0)
	s_barrier
	s_and_saveexec_b64 s[26:27], s[14:15]
	s_cbranch_execz .LBB1597_26
; %bb.25:                               ;   in Loop: Header=BB1597_14 Depth=1
	v_add_u32_e32 v36, v7, v14
	ds_read_b32 v37, v36
	s_waitcnt lgkmcnt(0)
	s_nop 0
	v_mov_b32_dpp v38, v37 row_shr:1 row_mask:0xf bank_mask:0xf
	v_cndmask_b32_e64 v38, v38, 0, s[22:23]
	v_add_u32_e32 v37, v38, v37
	s_nop 1
	v_mov_b32_dpp v38, v37 row_shr:2 row_mask:0xf bank_mask:0xf
	v_cndmask_b32_e64 v38, 0, v38, s[24:25]
	v_add_u32_e32 v37, v37, v38
	ds_write_b32 v36, v37
.LBB1597_26:                            ;   in Loop: Header=BB1597_14 Depth=1
	s_or_b64 exec, exec, s[26:27]
	v_mov_b32_e32 v36, 0
	s_waitcnt lgkmcnt(0)
	s_barrier
	s_and_saveexec_b64 s[26:27], s[16:17]
	s_cbranch_execz .LBB1597_28
; %bb.27:                               ;   in Loop: Header=BB1597_14 Depth=1
	ds_read_b32 v36, v17
.LBB1597_28:                            ;   in Loop: Header=BB1597_14 Depth=1
	s_or_b64 exec, exec, s[26:27]
	s_waitcnt lgkmcnt(0)
	v_add_u32_e32 v3, v36, v3
	ds_bpermute_b32 v3, v15, v3
	s_add_i32 s28, s28, 8
	s_cmp_ge_u32 s28, s38
	s_waitcnt lgkmcnt(0)
	v_cndmask_b32_e64 v3, v3, v36, s[18:19]
	v_cndmask_b32_e64 v36, v3, 0, s[20:21]
	v_add_u32_e32 v37, v36, v0
	v_add_u32_e32 v0, v37, v1
	;; [unrolled: 1-line block ×3, first 2 shown]
	ds_write2_b64 v7, v[36:37], v[0:1] offset0:2 offset1:3
	s_waitcnt lgkmcnt(0)
	s_barrier
	ds_read_b32 v0, v26
	ds_read_b32 v1, v29
	;; [unrolled: 1-line block ×4, first 2 shown]
	v_lshlrev_b32_e32 v26, 2, v27
	s_waitcnt lgkmcnt(3)
	v_lshl_add_u32 v0, v0, 2, v26
	v_lshlrev_b32_e32 v26, 2, v30
	v_lshlrev_b32_e32 v27, 2, v28
	s_waitcnt lgkmcnt(2)
	v_lshlrev_b32_e32 v1, 2, v1
	v_add3_u32 v1, v26, v27, v1
	v_lshlrev_b32_e32 v26, 2, v33
	v_lshlrev_b32_e32 v27, 2, v31
	s_waitcnt lgkmcnt(1)
	v_lshlrev_b32_e32 v2, 2, v2
	v_add3_u32 v28, v26, v27, v2
	;; [unrolled: 5-line block ×3, first 2 shown]
	s_cbranch_scc0 .LBB1597_13
; %bb.29:
                                        ; implicit-def: $vgpr27
                                        ; implicit-def: $vgpr26
                                        ; implicit-def: $vgpr3
                                        ; implicit-def: $vgpr2
                                        ; implicit-def: $sgpr28
.LBB1597_30:
	s_barrier
	ds_write_b32 v0, v25
	ds_write_b32 v1, v24
	;; [unrolled: 1-line block ×4, first 2 shown]
	v_add_u32_e32 v0, v7, v14
	s_waitcnt lgkmcnt(0)
	s_barrier
	ds_read_b32 v3, v0
	ds_read2st64_b32 v[0:1], v8 offset0:4 offset1:8
	ds_read_b32 v2, v8 offset:3072
	s_add_u32 s0, s30, s36
	s_addc_u32 s1, s31, s37
	v_mov_b32_e32 v9, 0
	s_waitcnt lgkmcnt(2)
	v_xor_b32_e32 v5, 0x80000000, v3
	s_waitcnt lgkmcnt(1)
	v_xor_b32_e32 v4, 0x80000000, v0
	v_xor_b32_e32 v3, 0x80000000, v1
	s_andn2_b64 vcc, exec, s[34:35]
	v_lshl_add_u64 v[0:1], s[0:1], 0, v[8:9]
	s_cbranch_vccnz .LBB1597_32
; %bb.31:
	s_mov_b64 s[0:1], -1
	global_store_dword v[0:1], v5, off
	global_store_dword v[0:1], v4, off offset:1024
	global_store_dword v[0:1], v3, off offset:2048
	s_cbranch_execz .LBB1597_33
	s_branch .LBB1597_40
.LBB1597_32:
	s_mov_b64 s[0:1], 0
.LBB1597_33:
	v_cmp_gt_u32_e32 vcc, s33, v6
	s_and_saveexec_b64 s[0:1], vcc
	s_cbranch_execz .LBB1597_35
; %bb.34:
	global_store_dword v[0:1], v5, off
.LBB1597_35:
	s_or_b64 exec, exec, s[0:1]
	v_add_u32_e32 v5, 0x100, v6
	v_cmp_gt_u32_e32 vcc, s33, v5
	s_and_saveexec_b64 s[0:1], vcc
	s_cbranch_execz .LBB1597_37
; %bb.36:
	global_store_dword v[0:1], v4, off offset:1024
.LBB1597_37:
	s_or_b64 exec, exec, s[0:1]
	v_add_u32_e32 v4, 0x200, v6
	v_cmp_gt_u32_e32 vcc, s33, v4
	s_and_saveexec_b64 s[0:1], vcc
	s_cbranch_execz .LBB1597_39
; %bb.38:
	global_store_dword v[0:1], v3, off offset:2048
.LBB1597_39:
	s_or_b64 exec, exec, s[0:1]
	v_add_u32_e32 v3, 0x300, v6
	v_cmp_gt_u32_e64 s[0:1], s33, v3
.LBB1597_40:
	s_and_saveexec_b64 s[2:3], s[0:1]
	s_cbranch_execnz .LBB1597_42
; %bb.41:
	s_endpgm
.LBB1597_42:
	s_waitcnt lgkmcnt(0)
	v_xor_b32_e32 v2, 0x80000000, v2
	global_store_dword v[0:1], v2, off offset:3072
	s_endpgm
	.section	.rodata,"a",@progbits
	.p2align	6, 0x0
	.amdhsa_kernel _ZN7rocprim17ROCPRIM_400000_NS6detail17trampoline_kernelINS0_13kernel_configILj256ELj4ELj4294967295EEENS1_37radix_sort_block_sort_config_selectorIiNS0_10empty_typeEEEZNS1_21radix_sort_block_sortIS4_Lb0EN6thrust23THRUST_200600_302600_NS6detail15normal_iteratorINSA_10device_ptrIiEEEESF_PS6_SG_NS0_19identity_decomposerEEE10hipError_tT1_T2_T3_T4_jRjT5_jjP12ihipStream_tbEUlT_E_NS1_11comp_targetILNS1_3genE5ELNS1_11target_archE942ELNS1_3gpuE9ELNS1_3repE0EEENS1_44radix_sort_block_sort_config_static_selectorELNS0_4arch9wavefront6targetE1EEEvSJ_
		.amdhsa_group_segment_fixed_size 4112
		.amdhsa_private_segment_fixed_size 0
		.amdhsa_kernarg_size 304
		.amdhsa_user_sgpr_count 2
		.amdhsa_user_sgpr_dispatch_ptr 0
		.amdhsa_user_sgpr_queue_ptr 0
		.amdhsa_user_sgpr_kernarg_segment_ptr 1
		.amdhsa_user_sgpr_dispatch_id 0
		.amdhsa_user_sgpr_kernarg_preload_length 0
		.amdhsa_user_sgpr_kernarg_preload_offset 0
		.amdhsa_user_sgpr_private_segment_size 0
		.amdhsa_uses_dynamic_stack 0
		.amdhsa_enable_private_segment 0
		.amdhsa_system_sgpr_workgroup_id_x 1
		.amdhsa_system_sgpr_workgroup_id_y 0
		.amdhsa_system_sgpr_workgroup_id_z 0
		.amdhsa_system_sgpr_workgroup_info 0
		.amdhsa_system_vgpr_workitem_id 2
		.amdhsa_next_free_vgpr 39
		.amdhsa_next_free_sgpr 44
		.amdhsa_accum_offset 40
		.amdhsa_reserve_vcc 1
		.amdhsa_float_round_mode_32 0
		.amdhsa_float_round_mode_16_64 0
		.amdhsa_float_denorm_mode_32 3
		.amdhsa_float_denorm_mode_16_64 3
		.amdhsa_dx10_clamp 1
		.amdhsa_ieee_mode 1
		.amdhsa_fp16_overflow 0
		.amdhsa_tg_split 0
		.amdhsa_exception_fp_ieee_invalid_op 0
		.amdhsa_exception_fp_denorm_src 0
		.amdhsa_exception_fp_ieee_div_zero 0
		.amdhsa_exception_fp_ieee_overflow 0
		.amdhsa_exception_fp_ieee_underflow 0
		.amdhsa_exception_fp_ieee_inexact 0
		.amdhsa_exception_int_div_zero 0
	.end_amdhsa_kernel
	.section	.text._ZN7rocprim17ROCPRIM_400000_NS6detail17trampoline_kernelINS0_13kernel_configILj256ELj4ELj4294967295EEENS1_37radix_sort_block_sort_config_selectorIiNS0_10empty_typeEEEZNS1_21radix_sort_block_sortIS4_Lb0EN6thrust23THRUST_200600_302600_NS6detail15normal_iteratorINSA_10device_ptrIiEEEESF_PS6_SG_NS0_19identity_decomposerEEE10hipError_tT1_T2_T3_T4_jRjT5_jjP12ihipStream_tbEUlT_E_NS1_11comp_targetILNS1_3genE5ELNS1_11target_archE942ELNS1_3gpuE9ELNS1_3repE0EEENS1_44radix_sort_block_sort_config_static_selectorELNS0_4arch9wavefront6targetE1EEEvSJ_,"axG",@progbits,_ZN7rocprim17ROCPRIM_400000_NS6detail17trampoline_kernelINS0_13kernel_configILj256ELj4ELj4294967295EEENS1_37radix_sort_block_sort_config_selectorIiNS0_10empty_typeEEEZNS1_21radix_sort_block_sortIS4_Lb0EN6thrust23THRUST_200600_302600_NS6detail15normal_iteratorINSA_10device_ptrIiEEEESF_PS6_SG_NS0_19identity_decomposerEEE10hipError_tT1_T2_T3_T4_jRjT5_jjP12ihipStream_tbEUlT_E_NS1_11comp_targetILNS1_3genE5ELNS1_11target_archE942ELNS1_3gpuE9ELNS1_3repE0EEENS1_44radix_sort_block_sort_config_static_selectorELNS0_4arch9wavefront6targetE1EEEvSJ_,comdat
.Lfunc_end1597:
	.size	_ZN7rocprim17ROCPRIM_400000_NS6detail17trampoline_kernelINS0_13kernel_configILj256ELj4ELj4294967295EEENS1_37radix_sort_block_sort_config_selectorIiNS0_10empty_typeEEEZNS1_21radix_sort_block_sortIS4_Lb0EN6thrust23THRUST_200600_302600_NS6detail15normal_iteratorINSA_10device_ptrIiEEEESF_PS6_SG_NS0_19identity_decomposerEEE10hipError_tT1_T2_T3_T4_jRjT5_jjP12ihipStream_tbEUlT_E_NS1_11comp_targetILNS1_3genE5ELNS1_11target_archE942ELNS1_3gpuE9ELNS1_3repE0EEENS1_44radix_sort_block_sort_config_static_selectorELNS0_4arch9wavefront6targetE1EEEvSJ_, .Lfunc_end1597-_ZN7rocprim17ROCPRIM_400000_NS6detail17trampoline_kernelINS0_13kernel_configILj256ELj4ELj4294967295EEENS1_37radix_sort_block_sort_config_selectorIiNS0_10empty_typeEEEZNS1_21radix_sort_block_sortIS4_Lb0EN6thrust23THRUST_200600_302600_NS6detail15normal_iteratorINSA_10device_ptrIiEEEESF_PS6_SG_NS0_19identity_decomposerEEE10hipError_tT1_T2_T3_T4_jRjT5_jjP12ihipStream_tbEUlT_E_NS1_11comp_targetILNS1_3genE5ELNS1_11target_archE942ELNS1_3gpuE9ELNS1_3repE0EEENS1_44radix_sort_block_sort_config_static_selectorELNS0_4arch9wavefront6targetE1EEEvSJ_
                                        ; -- End function
	.section	.AMDGPU.csdata,"",@progbits
; Kernel info:
; codeLenInByte = 3268
; NumSgprs: 50
; NumVgprs: 39
; NumAgprs: 0
; TotalNumVgprs: 39
; ScratchSize: 0
; MemoryBound: 0
; FloatMode: 240
; IeeeMode: 1
; LDSByteSize: 4112 bytes/workgroup (compile time only)
; SGPRBlocks: 6
; VGPRBlocks: 4
; NumSGPRsForWavesPerEU: 50
; NumVGPRsForWavesPerEU: 39
; AccumOffset: 40
; Occupancy: 8
; WaveLimiterHint : 1
; COMPUTE_PGM_RSRC2:SCRATCH_EN: 0
; COMPUTE_PGM_RSRC2:USER_SGPR: 2
; COMPUTE_PGM_RSRC2:TRAP_HANDLER: 0
; COMPUTE_PGM_RSRC2:TGID_X_EN: 1
; COMPUTE_PGM_RSRC2:TGID_Y_EN: 0
; COMPUTE_PGM_RSRC2:TGID_Z_EN: 0
; COMPUTE_PGM_RSRC2:TIDIG_COMP_CNT: 2
; COMPUTE_PGM_RSRC3_GFX90A:ACCUM_OFFSET: 9
; COMPUTE_PGM_RSRC3_GFX90A:TG_SPLIT: 0
	.section	.text._ZN7rocprim17ROCPRIM_400000_NS6detail17trampoline_kernelINS0_13kernel_configILj256ELj4ELj4294967295EEENS1_37radix_sort_block_sort_config_selectorIiNS0_10empty_typeEEEZNS1_21radix_sort_block_sortIS4_Lb0EN6thrust23THRUST_200600_302600_NS6detail15normal_iteratorINSA_10device_ptrIiEEEESF_PS6_SG_NS0_19identity_decomposerEEE10hipError_tT1_T2_T3_T4_jRjT5_jjP12ihipStream_tbEUlT_E_NS1_11comp_targetILNS1_3genE4ELNS1_11target_archE910ELNS1_3gpuE8ELNS1_3repE0EEENS1_44radix_sort_block_sort_config_static_selectorELNS0_4arch9wavefront6targetE1EEEvSJ_,"axG",@progbits,_ZN7rocprim17ROCPRIM_400000_NS6detail17trampoline_kernelINS0_13kernel_configILj256ELj4ELj4294967295EEENS1_37radix_sort_block_sort_config_selectorIiNS0_10empty_typeEEEZNS1_21radix_sort_block_sortIS4_Lb0EN6thrust23THRUST_200600_302600_NS6detail15normal_iteratorINSA_10device_ptrIiEEEESF_PS6_SG_NS0_19identity_decomposerEEE10hipError_tT1_T2_T3_T4_jRjT5_jjP12ihipStream_tbEUlT_E_NS1_11comp_targetILNS1_3genE4ELNS1_11target_archE910ELNS1_3gpuE8ELNS1_3repE0EEENS1_44radix_sort_block_sort_config_static_selectorELNS0_4arch9wavefront6targetE1EEEvSJ_,comdat
	.protected	_ZN7rocprim17ROCPRIM_400000_NS6detail17trampoline_kernelINS0_13kernel_configILj256ELj4ELj4294967295EEENS1_37radix_sort_block_sort_config_selectorIiNS0_10empty_typeEEEZNS1_21radix_sort_block_sortIS4_Lb0EN6thrust23THRUST_200600_302600_NS6detail15normal_iteratorINSA_10device_ptrIiEEEESF_PS6_SG_NS0_19identity_decomposerEEE10hipError_tT1_T2_T3_T4_jRjT5_jjP12ihipStream_tbEUlT_E_NS1_11comp_targetILNS1_3genE4ELNS1_11target_archE910ELNS1_3gpuE8ELNS1_3repE0EEENS1_44radix_sort_block_sort_config_static_selectorELNS0_4arch9wavefront6targetE1EEEvSJ_ ; -- Begin function _ZN7rocprim17ROCPRIM_400000_NS6detail17trampoline_kernelINS0_13kernel_configILj256ELj4ELj4294967295EEENS1_37radix_sort_block_sort_config_selectorIiNS0_10empty_typeEEEZNS1_21radix_sort_block_sortIS4_Lb0EN6thrust23THRUST_200600_302600_NS6detail15normal_iteratorINSA_10device_ptrIiEEEESF_PS6_SG_NS0_19identity_decomposerEEE10hipError_tT1_T2_T3_T4_jRjT5_jjP12ihipStream_tbEUlT_E_NS1_11comp_targetILNS1_3genE4ELNS1_11target_archE910ELNS1_3gpuE8ELNS1_3repE0EEENS1_44radix_sort_block_sort_config_static_selectorELNS0_4arch9wavefront6targetE1EEEvSJ_
	.globl	_ZN7rocprim17ROCPRIM_400000_NS6detail17trampoline_kernelINS0_13kernel_configILj256ELj4ELj4294967295EEENS1_37radix_sort_block_sort_config_selectorIiNS0_10empty_typeEEEZNS1_21radix_sort_block_sortIS4_Lb0EN6thrust23THRUST_200600_302600_NS6detail15normal_iteratorINSA_10device_ptrIiEEEESF_PS6_SG_NS0_19identity_decomposerEEE10hipError_tT1_T2_T3_T4_jRjT5_jjP12ihipStream_tbEUlT_E_NS1_11comp_targetILNS1_3genE4ELNS1_11target_archE910ELNS1_3gpuE8ELNS1_3repE0EEENS1_44radix_sort_block_sort_config_static_selectorELNS0_4arch9wavefront6targetE1EEEvSJ_
	.p2align	8
	.type	_ZN7rocprim17ROCPRIM_400000_NS6detail17trampoline_kernelINS0_13kernel_configILj256ELj4ELj4294967295EEENS1_37radix_sort_block_sort_config_selectorIiNS0_10empty_typeEEEZNS1_21radix_sort_block_sortIS4_Lb0EN6thrust23THRUST_200600_302600_NS6detail15normal_iteratorINSA_10device_ptrIiEEEESF_PS6_SG_NS0_19identity_decomposerEEE10hipError_tT1_T2_T3_T4_jRjT5_jjP12ihipStream_tbEUlT_E_NS1_11comp_targetILNS1_3genE4ELNS1_11target_archE910ELNS1_3gpuE8ELNS1_3repE0EEENS1_44radix_sort_block_sort_config_static_selectorELNS0_4arch9wavefront6targetE1EEEvSJ_,@function
_ZN7rocprim17ROCPRIM_400000_NS6detail17trampoline_kernelINS0_13kernel_configILj256ELj4ELj4294967295EEENS1_37radix_sort_block_sort_config_selectorIiNS0_10empty_typeEEEZNS1_21radix_sort_block_sortIS4_Lb0EN6thrust23THRUST_200600_302600_NS6detail15normal_iteratorINSA_10device_ptrIiEEEESF_PS6_SG_NS0_19identity_decomposerEEE10hipError_tT1_T2_T3_T4_jRjT5_jjP12ihipStream_tbEUlT_E_NS1_11comp_targetILNS1_3genE4ELNS1_11target_archE910ELNS1_3gpuE8ELNS1_3repE0EEENS1_44radix_sort_block_sort_config_static_selectorELNS0_4arch9wavefront6targetE1EEEvSJ_: ; @_ZN7rocprim17ROCPRIM_400000_NS6detail17trampoline_kernelINS0_13kernel_configILj256ELj4ELj4294967295EEENS1_37radix_sort_block_sort_config_selectorIiNS0_10empty_typeEEEZNS1_21radix_sort_block_sortIS4_Lb0EN6thrust23THRUST_200600_302600_NS6detail15normal_iteratorINSA_10device_ptrIiEEEESF_PS6_SG_NS0_19identity_decomposerEEE10hipError_tT1_T2_T3_T4_jRjT5_jjP12ihipStream_tbEUlT_E_NS1_11comp_targetILNS1_3genE4ELNS1_11target_archE910ELNS1_3gpuE8ELNS1_3repE0EEENS1_44radix_sort_block_sort_config_static_selectorELNS0_4arch9wavefront6targetE1EEEvSJ_
; %bb.0:
	.section	.rodata,"a",@progbits
	.p2align	6, 0x0
	.amdhsa_kernel _ZN7rocprim17ROCPRIM_400000_NS6detail17trampoline_kernelINS0_13kernel_configILj256ELj4ELj4294967295EEENS1_37radix_sort_block_sort_config_selectorIiNS0_10empty_typeEEEZNS1_21radix_sort_block_sortIS4_Lb0EN6thrust23THRUST_200600_302600_NS6detail15normal_iteratorINSA_10device_ptrIiEEEESF_PS6_SG_NS0_19identity_decomposerEEE10hipError_tT1_T2_T3_T4_jRjT5_jjP12ihipStream_tbEUlT_E_NS1_11comp_targetILNS1_3genE4ELNS1_11target_archE910ELNS1_3gpuE8ELNS1_3repE0EEENS1_44radix_sort_block_sort_config_static_selectorELNS0_4arch9wavefront6targetE1EEEvSJ_
		.amdhsa_group_segment_fixed_size 0
		.amdhsa_private_segment_fixed_size 0
		.amdhsa_kernarg_size 48
		.amdhsa_user_sgpr_count 2
		.amdhsa_user_sgpr_dispatch_ptr 0
		.amdhsa_user_sgpr_queue_ptr 0
		.amdhsa_user_sgpr_kernarg_segment_ptr 1
		.amdhsa_user_sgpr_dispatch_id 0
		.amdhsa_user_sgpr_kernarg_preload_length 0
		.amdhsa_user_sgpr_kernarg_preload_offset 0
		.amdhsa_user_sgpr_private_segment_size 0
		.amdhsa_uses_dynamic_stack 0
		.amdhsa_enable_private_segment 0
		.amdhsa_system_sgpr_workgroup_id_x 1
		.amdhsa_system_sgpr_workgroup_id_y 0
		.amdhsa_system_sgpr_workgroup_id_z 0
		.amdhsa_system_sgpr_workgroup_info 0
		.amdhsa_system_vgpr_workitem_id 0
		.amdhsa_next_free_vgpr 1
		.amdhsa_next_free_sgpr 0
		.amdhsa_accum_offset 4
		.amdhsa_reserve_vcc 0
		.amdhsa_float_round_mode_32 0
		.amdhsa_float_round_mode_16_64 0
		.amdhsa_float_denorm_mode_32 3
		.amdhsa_float_denorm_mode_16_64 3
		.amdhsa_dx10_clamp 1
		.amdhsa_ieee_mode 1
		.amdhsa_fp16_overflow 0
		.amdhsa_tg_split 0
		.amdhsa_exception_fp_ieee_invalid_op 0
		.amdhsa_exception_fp_denorm_src 0
		.amdhsa_exception_fp_ieee_div_zero 0
		.amdhsa_exception_fp_ieee_overflow 0
		.amdhsa_exception_fp_ieee_underflow 0
		.amdhsa_exception_fp_ieee_inexact 0
		.amdhsa_exception_int_div_zero 0
	.end_amdhsa_kernel
	.section	.text._ZN7rocprim17ROCPRIM_400000_NS6detail17trampoline_kernelINS0_13kernel_configILj256ELj4ELj4294967295EEENS1_37radix_sort_block_sort_config_selectorIiNS0_10empty_typeEEEZNS1_21radix_sort_block_sortIS4_Lb0EN6thrust23THRUST_200600_302600_NS6detail15normal_iteratorINSA_10device_ptrIiEEEESF_PS6_SG_NS0_19identity_decomposerEEE10hipError_tT1_T2_T3_T4_jRjT5_jjP12ihipStream_tbEUlT_E_NS1_11comp_targetILNS1_3genE4ELNS1_11target_archE910ELNS1_3gpuE8ELNS1_3repE0EEENS1_44radix_sort_block_sort_config_static_selectorELNS0_4arch9wavefront6targetE1EEEvSJ_,"axG",@progbits,_ZN7rocprim17ROCPRIM_400000_NS6detail17trampoline_kernelINS0_13kernel_configILj256ELj4ELj4294967295EEENS1_37radix_sort_block_sort_config_selectorIiNS0_10empty_typeEEEZNS1_21radix_sort_block_sortIS4_Lb0EN6thrust23THRUST_200600_302600_NS6detail15normal_iteratorINSA_10device_ptrIiEEEESF_PS6_SG_NS0_19identity_decomposerEEE10hipError_tT1_T2_T3_T4_jRjT5_jjP12ihipStream_tbEUlT_E_NS1_11comp_targetILNS1_3genE4ELNS1_11target_archE910ELNS1_3gpuE8ELNS1_3repE0EEENS1_44radix_sort_block_sort_config_static_selectorELNS0_4arch9wavefront6targetE1EEEvSJ_,comdat
.Lfunc_end1598:
	.size	_ZN7rocprim17ROCPRIM_400000_NS6detail17trampoline_kernelINS0_13kernel_configILj256ELj4ELj4294967295EEENS1_37radix_sort_block_sort_config_selectorIiNS0_10empty_typeEEEZNS1_21radix_sort_block_sortIS4_Lb0EN6thrust23THRUST_200600_302600_NS6detail15normal_iteratorINSA_10device_ptrIiEEEESF_PS6_SG_NS0_19identity_decomposerEEE10hipError_tT1_T2_T3_T4_jRjT5_jjP12ihipStream_tbEUlT_E_NS1_11comp_targetILNS1_3genE4ELNS1_11target_archE910ELNS1_3gpuE8ELNS1_3repE0EEENS1_44radix_sort_block_sort_config_static_selectorELNS0_4arch9wavefront6targetE1EEEvSJ_, .Lfunc_end1598-_ZN7rocprim17ROCPRIM_400000_NS6detail17trampoline_kernelINS0_13kernel_configILj256ELj4ELj4294967295EEENS1_37radix_sort_block_sort_config_selectorIiNS0_10empty_typeEEEZNS1_21radix_sort_block_sortIS4_Lb0EN6thrust23THRUST_200600_302600_NS6detail15normal_iteratorINSA_10device_ptrIiEEEESF_PS6_SG_NS0_19identity_decomposerEEE10hipError_tT1_T2_T3_T4_jRjT5_jjP12ihipStream_tbEUlT_E_NS1_11comp_targetILNS1_3genE4ELNS1_11target_archE910ELNS1_3gpuE8ELNS1_3repE0EEENS1_44radix_sort_block_sort_config_static_selectorELNS0_4arch9wavefront6targetE1EEEvSJ_
                                        ; -- End function
	.section	.AMDGPU.csdata,"",@progbits
; Kernel info:
; codeLenInByte = 0
; NumSgprs: 6
; NumVgprs: 0
; NumAgprs: 0
; TotalNumVgprs: 0
; ScratchSize: 0
; MemoryBound: 0
; FloatMode: 240
; IeeeMode: 1
; LDSByteSize: 0 bytes/workgroup (compile time only)
; SGPRBlocks: 0
; VGPRBlocks: 0
; NumSGPRsForWavesPerEU: 6
; NumVGPRsForWavesPerEU: 1
; AccumOffset: 4
; Occupancy: 8
; WaveLimiterHint : 0
; COMPUTE_PGM_RSRC2:SCRATCH_EN: 0
; COMPUTE_PGM_RSRC2:USER_SGPR: 2
; COMPUTE_PGM_RSRC2:TRAP_HANDLER: 0
; COMPUTE_PGM_RSRC2:TGID_X_EN: 1
; COMPUTE_PGM_RSRC2:TGID_Y_EN: 0
; COMPUTE_PGM_RSRC2:TGID_Z_EN: 0
; COMPUTE_PGM_RSRC2:TIDIG_COMP_CNT: 0
; COMPUTE_PGM_RSRC3_GFX90A:ACCUM_OFFSET: 0
; COMPUTE_PGM_RSRC3_GFX90A:TG_SPLIT: 0
	.section	.text._ZN7rocprim17ROCPRIM_400000_NS6detail17trampoline_kernelINS0_13kernel_configILj256ELj4ELj4294967295EEENS1_37radix_sort_block_sort_config_selectorIiNS0_10empty_typeEEEZNS1_21radix_sort_block_sortIS4_Lb0EN6thrust23THRUST_200600_302600_NS6detail15normal_iteratorINSA_10device_ptrIiEEEESF_PS6_SG_NS0_19identity_decomposerEEE10hipError_tT1_T2_T3_T4_jRjT5_jjP12ihipStream_tbEUlT_E_NS1_11comp_targetILNS1_3genE3ELNS1_11target_archE908ELNS1_3gpuE7ELNS1_3repE0EEENS1_44radix_sort_block_sort_config_static_selectorELNS0_4arch9wavefront6targetE1EEEvSJ_,"axG",@progbits,_ZN7rocprim17ROCPRIM_400000_NS6detail17trampoline_kernelINS0_13kernel_configILj256ELj4ELj4294967295EEENS1_37radix_sort_block_sort_config_selectorIiNS0_10empty_typeEEEZNS1_21radix_sort_block_sortIS4_Lb0EN6thrust23THRUST_200600_302600_NS6detail15normal_iteratorINSA_10device_ptrIiEEEESF_PS6_SG_NS0_19identity_decomposerEEE10hipError_tT1_T2_T3_T4_jRjT5_jjP12ihipStream_tbEUlT_E_NS1_11comp_targetILNS1_3genE3ELNS1_11target_archE908ELNS1_3gpuE7ELNS1_3repE0EEENS1_44radix_sort_block_sort_config_static_selectorELNS0_4arch9wavefront6targetE1EEEvSJ_,comdat
	.protected	_ZN7rocprim17ROCPRIM_400000_NS6detail17trampoline_kernelINS0_13kernel_configILj256ELj4ELj4294967295EEENS1_37radix_sort_block_sort_config_selectorIiNS0_10empty_typeEEEZNS1_21radix_sort_block_sortIS4_Lb0EN6thrust23THRUST_200600_302600_NS6detail15normal_iteratorINSA_10device_ptrIiEEEESF_PS6_SG_NS0_19identity_decomposerEEE10hipError_tT1_T2_T3_T4_jRjT5_jjP12ihipStream_tbEUlT_E_NS1_11comp_targetILNS1_3genE3ELNS1_11target_archE908ELNS1_3gpuE7ELNS1_3repE0EEENS1_44radix_sort_block_sort_config_static_selectorELNS0_4arch9wavefront6targetE1EEEvSJ_ ; -- Begin function _ZN7rocprim17ROCPRIM_400000_NS6detail17trampoline_kernelINS0_13kernel_configILj256ELj4ELj4294967295EEENS1_37radix_sort_block_sort_config_selectorIiNS0_10empty_typeEEEZNS1_21radix_sort_block_sortIS4_Lb0EN6thrust23THRUST_200600_302600_NS6detail15normal_iteratorINSA_10device_ptrIiEEEESF_PS6_SG_NS0_19identity_decomposerEEE10hipError_tT1_T2_T3_T4_jRjT5_jjP12ihipStream_tbEUlT_E_NS1_11comp_targetILNS1_3genE3ELNS1_11target_archE908ELNS1_3gpuE7ELNS1_3repE0EEENS1_44radix_sort_block_sort_config_static_selectorELNS0_4arch9wavefront6targetE1EEEvSJ_
	.globl	_ZN7rocprim17ROCPRIM_400000_NS6detail17trampoline_kernelINS0_13kernel_configILj256ELj4ELj4294967295EEENS1_37radix_sort_block_sort_config_selectorIiNS0_10empty_typeEEEZNS1_21radix_sort_block_sortIS4_Lb0EN6thrust23THRUST_200600_302600_NS6detail15normal_iteratorINSA_10device_ptrIiEEEESF_PS6_SG_NS0_19identity_decomposerEEE10hipError_tT1_T2_T3_T4_jRjT5_jjP12ihipStream_tbEUlT_E_NS1_11comp_targetILNS1_3genE3ELNS1_11target_archE908ELNS1_3gpuE7ELNS1_3repE0EEENS1_44radix_sort_block_sort_config_static_selectorELNS0_4arch9wavefront6targetE1EEEvSJ_
	.p2align	8
	.type	_ZN7rocprim17ROCPRIM_400000_NS6detail17trampoline_kernelINS0_13kernel_configILj256ELj4ELj4294967295EEENS1_37radix_sort_block_sort_config_selectorIiNS0_10empty_typeEEEZNS1_21radix_sort_block_sortIS4_Lb0EN6thrust23THRUST_200600_302600_NS6detail15normal_iteratorINSA_10device_ptrIiEEEESF_PS6_SG_NS0_19identity_decomposerEEE10hipError_tT1_T2_T3_T4_jRjT5_jjP12ihipStream_tbEUlT_E_NS1_11comp_targetILNS1_3genE3ELNS1_11target_archE908ELNS1_3gpuE7ELNS1_3repE0EEENS1_44radix_sort_block_sort_config_static_selectorELNS0_4arch9wavefront6targetE1EEEvSJ_,@function
_ZN7rocprim17ROCPRIM_400000_NS6detail17trampoline_kernelINS0_13kernel_configILj256ELj4ELj4294967295EEENS1_37radix_sort_block_sort_config_selectorIiNS0_10empty_typeEEEZNS1_21radix_sort_block_sortIS4_Lb0EN6thrust23THRUST_200600_302600_NS6detail15normal_iteratorINSA_10device_ptrIiEEEESF_PS6_SG_NS0_19identity_decomposerEEE10hipError_tT1_T2_T3_T4_jRjT5_jjP12ihipStream_tbEUlT_E_NS1_11comp_targetILNS1_3genE3ELNS1_11target_archE908ELNS1_3gpuE7ELNS1_3repE0EEENS1_44radix_sort_block_sort_config_static_selectorELNS0_4arch9wavefront6targetE1EEEvSJ_: ; @_ZN7rocprim17ROCPRIM_400000_NS6detail17trampoline_kernelINS0_13kernel_configILj256ELj4ELj4294967295EEENS1_37radix_sort_block_sort_config_selectorIiNS0_10empty_typeEEEZNS1_21radix_sort_block_sortIS4_Lb0EN6thrust23THRUST_200600_302600_NS6detail15normal_iteratorINSA_10device_ptrIiEEEESF_PS6_SG_NS0_19identity_decomposerEEE10hipError_tT1_T2_T3_T4_jRjT5_jjP12ihipStream_tbEUlT_E_NS1_11comp_targetILNS1_3genE3ELNS1_11target_archE908ELNS1_3gpuE7ELNS1_3repE0EEENS1_44radix_sort_block_sort_config_static_selectorELNS0_4arch9wavefront6targetE1EEEvSJ_
; %bb.0:
	.section	.rodata,"a",@progbits
	.p2align	6, 0x0
	.amdhsa_kernel _ZN7rocprim17ROCPRIM_400000_NS6detail17trampoline_kernelINS0_13kernel_configILj256ELj4ELj4294967295EEENS1_37radix_sort_block_sort_config_selectorIiNS0_10empty_typeEEEZNS1_21radix_sort_block_sortIS4_Lb0EN6thrust23THRUST_200600_302600_NS6detail15normal_iteratorINSA_10device_ptrIiEEEESF_PS6_SG_NS0_19identity_decomposerEEE10hipError_tT1_T2_T3_T4_jRjT5_jjP12ihipStream_tbEUlT_E_NS1_11comp_targetILNS1_3genE3ELNS1_11target_archE908ELNS1_3gpuE7ELNS1_3repE0EEENS1_44radix_sort_block_sort_config_static_selectorELNS0_4arch9wavefront6targetE1EEEvSJ_
		.amdhsa_group_segment_fixed_size 0
		.amdhsa_private_segment_fixed_size 0
		.amdhsa_kernarg_size 48
		.amdhsa_user_sgpr_count 2
		.amdhsa_user_sgpr_dispatch_ptr 0
		.amdhsa_user_sgpr_queue_ptr 0
		.amdhsa_user_sgpr_kernarg_segment_ptr 1
		.amdhsa_user_sgpr_dispatch_id 0
		.amdhsa_user_sgpr_kernarg_preload_length 0
		.amdhsa_user_sgpr_kernarg_preload_offset 0
		.amdhsa_user_sgpr_private_segment_size 0
		.amdhsa_uses_dynamic_stack 0
		.amdhsa_enable_private_segment 0
		.amdhsa_system_sgpr_workgroup_id_x 1
		.amdhsa_system_sgpr_workgroup_id_y 0
		.amdhsa_system_sgpr_workgroup_id_z 0
		.amdhsa_system_sgpr_workgroup_info 0
		.amdhsa_system_vgpr_workitem_id 0
		.amdhsa_next_free_vgpr 1
		.amdhsa_next_free_sgpr 0
		.amdhsa_accum_offset 4
		.amdhsa_reserve_vcc 0
		.amdhsa_float_round_mode_32 0
		.amdhsa_float_round_mode_16_64 0
		.amdhsa_float_denorm_mode_32 3
		.amdhsa_float_denorm_mode_16_64 3
		.amdhsa_dx10_clamp 1
		.amdhsa_ieee_mode 1
		.amdhsa_fp16_overflow 0
		.amdhsa_tg_split 0
		.amdhsa_exception_fp_ieee_invalid_op 0
		.amdhsa_exception_fp_denorm_src 0
		.amdhsa_exception_fp_ieee_div_zero 0
		.amdhsa_exception_fp_ieee_overflow 0
		.amdhsa_exception_fp_ieee_underflow 0
		.amdhsa_exception_fp_ieee_inexact 0
		.amdhsa_exception_int_div_zero 0
	.end_amdhsa_kernel
	.section	.text._ZN7rocprim17ROCPRIM_400000_NS6detail17trampoline_kernelINS0_13kernel_configILj256ELj4ELj4294967295EEENS1_37radix_sort_block_sort_config_selectorIiNS0_10empty_typeEEEZNS1_21radix_sort_block_sortIS4_Lb0EN6thrust23THRUST_200600_302600_NS6detail15normal_iteratorINSA_10device_ptrIiEEEESF_PS6_SG_NS0_19identity_decomposerEEE10hipError_tT1_T2_T3_T4_jRjT5_jjP12ihipStream_tbEUlT_E_NS1_11comp_targetILNS1_3genE3ELNS1_11target_archE908ELNS1_3gpuE7ELNS1_3repE0EEENS1_44radix_sort_block_sort_config_static_selectorELNS0_4arch9wavefront6targetE1EEEvSJ_,"axG",@progbits,_ZN7rocprim17ROCPRIM_400000_NS6detail17trampoline_kernelINS0_13kernel_configILj256ELj4ELj4294967295EEENS1_37radix_sort_block_sort_config_selectorIiNS0_10empty_typeEEEZNS1_21radix_sort_block_sortIS4_Lb0EN6thrust23THRUST_200600_302600_NS6detail15normal_iteratorINSA_10device_ptrIiEEEESF_PS6_SG_NS0_19identity_decomposerEEE10hipError_tT1_T2_T3_T4_jRjT5_jjP12ihipStream_tbEUlT_E_NS1_11comp_targetILNS1_3genE3ELNS1_11target_archE908ELNS1_3gpuE7ELNS1_3repE0EEENS1_44radix_sort_block_sort_config_static_selectorELNS0_4arch9wavefront6targetE1EEEvSJ_,comdat
.Lfunc_end1599:
	.size	_ZN7rocprim17ROCPRIM_400000_NS6detail17trampoline_kernelINS0_13kernel_configILj256ELj4ELj4294967295EEENS1_37radix_sort_block_sort_config_selectorIiNS0_10empty_typeEEEZNS1_21radix_sort_block_sortIS4_Lb0EN6thrust23THRUST_200600_302600_NS6detail15normal_iteratorINSA_10device_ptrIiEEEESF_PS6_SG_NS0_19identity_decomposerEEE10hipError_tT1_T2_T3_T4_jRjT5_jjP12ihipStream_tbEUlT_E_NS1_11comp_targetILNS1_3genE3ELNS1_11target_archE908ELNS1_3gpuE7ELNS1_3repE0EEENS1_44radix_sort_block_sort_config_static_selectorELNS0_4arch9wavefront6targetE1EEEvSJ_, .Lfunc_end1599-_ZN7rocprim17ROCPRIM_400000_NS6detail17trampoline_kernelINS0_13kernel_configILj256ELj4ELj4294967295EEENS1_37radix_sort_block_sort_config_selectorIiNS0_10empty_typeEEEZNS1_21radix_sort_block_sortIS4_Lb0EN6thrust23THRUST_200600_302600_NS6detail15normal_iteratorINSA_10device_ptrIiEEEESF_PS6_SG_NS0_19identity_decomposerEEE10hipError_tT1_T2_T3_T4_jRjT5_jjP12ihipStream_tbEUlT_E_NS1_11comp_targetILNS1_3genE3ELNS1_11target_archE908ELNS1_3gpuE7ELNS1_3repE0EEENS1_44radix_sort_block_sort_config_static_selectorELNS0_4arch9wavefront6targetE1EEEvSJ_
                                        ; -- End function
	.section	.AMDGPU.csdata,"",@progbits
; Kernel info:
; codeLenInByte = 0
; NumSgprs: 6
; NumVgprs: 0
; NumAgprs: 0
; TotalNumVgprs: 0
; ScratchSize: 0
; MemoryBound: 0
; FloatMode: 240
; IeeeMode: 1
; LDSByteSize: 0 bytes/workgroup (compile time only)
; SGPRBlocks: 0
; VGPRBlocks: 0
; NumSGPRsForWavesPerEU: 6
; NumVGPRsForWavesPerEU: 1
; AccumOffset: 4
; Occupancy: 8
; WaveLimiterHint : 0
; COMPUTE_PGM_RSRC2:SCRATCH_EN: 0
; COMPUTE_PGM_RSRC2:USER_SGPR: 2
; COMPUTE_PGM_RSRC2:TRAP_HANDLER: 0
; COMPUTE_PGM_RSRC2:TGID_X_EN: 1
; COMPUTE_PGM_RSRC2:TGID_Y_EN: 0
; COMPUTE_PGM_RSRC2:TGID_Z_EN: 0
; COMPUTE_PGM_RSRC2:TIDIG_COMP_CNT: 0
; COMPUTE_PGM_RSRC3_GFX90A:ACCUM_OFFSET: 0
; COMPUTE_PGM_RSRC3_GFX90A:TG_SPLIT: 0
	.section	.text._ZN7rocprim17ROCPRIM_400000_NS6detail17trampoline_kernelINS0_13kernel_configILj256ELj4ELj4294967295EEENS1_37radix_sort_block_sort_config_selectorIiNS0_10empty_typeEEEZNS1_21radix_sort_block_sortIS4_Lb0EN6thrust23THRUST_200600_302600_NS6detail15normal_iteratorINSA_10device_ptrIiEEEESF_PS6_SG_NS0_19identity_decomposerEEE10hipError_tT1_T2_T3_T4_jRjT5_jjP12ihipStream_tbEUlT_E_NS1_11comp_targetILNS1_3genE2ELNS1_11target_archE906ELNS1_3gpuE6ELNS1_3repE0EEENS1_44radix_sort_block_sort_config_static_selectorELNS0_4arch9wavefront6targetE1EEEvSJ_,"axG",@progbits,_ZN7rocprim17ROCPRIM_400000_NS6detail17trampoline_kernelINS0_13kernel_configILj256ELj4ELj4294967295EEENS1_37radix_sort_block_sort_config_selectorIiNS0_10empty_typeEEEZNS1_21radix_sort_block_sortIS4_Lb0EN6thrust23THRUST_200600_302600_NS6detail15normal_iteratorINSA_10device_ptrIiEEEESF_PS6_SG_NS0_19identity_decomposerEEE10hipError_tT1_T2_T3_T4_jRjT5_jjP12ihipStream_tbEUlT_E_NS1_11comp_targetILNS1_3genE2ELNS1_11target_archE906ELNS1_3gpuE6ELNS1_3repE0EEENS1_44radix_sort_block_sort_config_static_selectorELNS0_4arch9wavefront6targetE1EEEvSJ_,comdat
	.protected	_ZN7rocprim17ROCPRIM_400000_NS6detail17trampoline_kernelINS0_13kernel_configILj256ELj4ELj4294967295EEENS1_37radix_sort_block_sort_config_selectorIiNS0_10empty_typeEEEZNS1_21radix_sort_block_sortIS4_Lb0EN6thrust23THRUST_200600_302600_NS6detail15normal_iteratorINSA_10device_ptrIiEEEESF_PS6_SG_NS0_19identity_decomposerEEE10hipError_tT1_T2_T3_T4_jRjT5_jjP12ihipStream_tbEUlT_E_NS1_11comp_targetILNS1_3genE2ELNS1_11target_archE906ELNS1_3gpuE6ELNS1_3repE0EEENS1_44radix_sort_block_sort_config_static_selectorELNS0_4arch9wavefront6targetE1EEEvSJ_ ; -- Begin function _ZN7rocprim17ROCPRIM_400000_NS6detail17trampoline_kernelINS0_13kernel_configILj256ELj4ELj4294967295EEENS1_37radix_sort_block_sort_config_selectorIiNS0_10empty_typeEEEZNS1_21radix_sort_block_sortIS4_Lb0EN6thrust23THRUST_200600_302600_NS6detail15normal_iteratorINSA_10device_ptrIiEEEESF_PS6_SG_NS0_19identity_decomposerEEE10hipError_tT1_T2_T3_T4_jRjT5_jjP12ihipStream_tbEUlT_E_NS1_11comp_targetILNS1_3genE2ELNS1_11target_archE906ELNS1_3gpuE6ELNS1_3repE0EEENS1_44radix_sort_block_sort_config_static_selectorELNS0_4arch9wavefront6targetE1EEEvSJ_
	.globl	_ZN7rocprim17ROCPRIM_400000_NS6detail17trampoline_kernelINS0_13kernel_configILj256ELj4ELj4294967295EEENS1_37radix_sort_block_sort_config_selectorIiNS0_10empty_typeEEEZNS1_21radix_sort_block_sortIS4_Lb0EN6thrust23THRUST_200600_302600_NS6detail15normal_iteratorINSA_10device_ptrIiEEEESF_PS6_SG_NS0_19identity_decomposerEEE10hipError_tT1_T2_T3_T4_jRjT5_jjP12ihipStream_tbEUlT_E_NS1_11comp_targetILNS1_3genE2ELNS1_11target_archE906ELNS1_3gpuE6ELNS1_3repE0EEENS1_44radix_sort_block_sort_config_static_selectorELNS0_4arch9wavefront6targetE1EEEvSJ_
	.p2align	8
	.type	_ZN7rocprim17ROCPRIM_400000_NS6detail17trampoline_kernelINS0_13kernel_configILj256ELj4ELj4294967295EEENS1_37radix_sort_block_sort_config_selectorIiNS0_10empty_typeEEEZNS1_21radix_sort_block_sortIS4_Lb0EN6thrust23THRUST_200600_302600_NS6detail15normal_iteratorINSA_10device_ptrIiEEEESF_PS6_SG_NS0_19identity_decomposerEEE10hipError_tT1_T2_T3_T4_jRjT5_jjP12ihipStream_tbEUlT_E_NS1_11comp_targetILNS1_3genE2ELNS1_11target_archE906ELNS1_3gpuE6ELNS1_3repE0EEENS1_44radix_sort_block_sort_config_static_selectorELNS0_4arch9wavefront6targetE1EEEvSJ_,@function
_ZN7rocprim17ROCPRIM_400000_NS6detail17trampoline_kernelINS0_13kernel_configILj256ELj4ELj4294967295EEENS1_37radix_sort_block_sort_config_selectorIiNS0_10empty_typeEEEZNS1_21radix_sort_block_sortIS4_Lb0EN6thrust23THRUST_200600_302600_NS6detail15normal_iteratorINSA_10device_ptrIiEEEESF_PS6_SG_NS0_19identity_decomposerEEE10hipError_tT1_T2_T3_T4_jRjT5_jjP12ihipStream_tbEUlT_E_NS1_11comp_targetILNS1_3genE2ELNS1_11target_archE906ELNS1_3gpuE6ELNS1_3repE0EEENS1_44radix_sort_block_sort_config_static_selectorELNS0_4arch9wavefront6targetE1EEEvSJ_: ; @_ZN7rocprim17ROCPRIM_400000_NS6detail17trampoline_kernelINS0_13kernel_configILj256ELj4ELj4294967295EEENS1_37radix_sort_block_sort_config_selectorIiNS0_10empty_typeEEEZNS1_21radix_sort_block_sortIS4_Lb0EN6thrust23THRUST_200600_302600_NS6detail15normal_iteratorINSA_10device_ptrIiEEEESF_PS6_SG_NS0_19identity_decomposerEEE10hipError_tT1_T2_T3_T4_jRjT5_jjP12ihipStream_tbEUlT_E_NS1_11comp_targetILNS1_3genE2ELNS1_11target_archE906ELNS1_3gpuE6ELNS1_3repE0EEENS1_44radix_sort_block_sort_config_static_selectorELNS0_4arch9wavefront6targetE1EEEvSJ_
; %bb.0:
	.section	.rodata,"a",@progbits
	.p2align	6, 0x0
	.amdhsa_kernel _ZN7rocprim17ROCPRIM_400000_NS6detail17trampoline_kernelINS0_13kernel_configILj256ELj4ELj4294967295EEENS1_37radix_sort_block_sort_config_selectorIiNS0_10empty_typeEEEZNS1_21radix_sort_block_sortIS4_Lb0EN6thrust23THRUST_200600_302600_NS6detail15normal_iteratorINSA_10device_ptrIiEEEESF_PS6_SG_NS0_19identity_decomposerEEE10hipError_tT1_T2_T3_T4_jRjT5_jjP12ihipStream_tbEUlT_E_NS1_11comp_targetILNS1_3genE2ELNS1_11target_archE906ELNS1_3gpuE6ELNS1_3repE0EEENS1_44radix_sort_block_sort_config_static_selectorELNS0_4arch9wavefront6targetE1EEEvSJ_
		.amdhsa_group_segment_fixed_size 0
		.amdhsa_private_segment_fixed_size 0
		.amdhsa_kernarg_size 48
		.amdhsa_user_sgpr_count 2
		.amdhsa_user_sgpr_dispatch_ptr 0
		.amdhsa_user_sgpr_queue_ptr 0
		.amdhsa_user_sgpr_kernarg_segment_ptr 1
		.amdhsa_user_sgpr_dispatch_id 0
		.amdhsa_user_sgpr_kernarg_preload_length 0
		.amdhsa_user_sgpr_kernarg_preload_offset 0
		.amdhsa_user_sgpr_private_segment_size 0
		.amdhsa_uses_dynamic_stack 0
		.amdhsa_enable_private_segment 0
		.amdhsa_system_sgpr_workgroup_id_x 1
		.amdhsa_system_sgpr_workgroup_id_y 0
		.amdhsa_system_sgpr_workgroup_id_z 0
		.amdhsa_system_sgpr_workgroup_info 0
		.amdhsa_system_vgpr_workitem_id 0
		.amdhsa_next_free_vgpr 1
		.amdhsa_next_free_sgpr 0
		.amdhsa_accum_offset 4
		.amdhsa_reserve_vcc 0
		.amdhsa_float_round_mode_32 0
		.amdhsa_float_round_mode_16_64 0
		.amdhsa_float_denorm_mode_32 3
		.amdhsa_float_denorm_mode_16_64 3
		.amdhsa_dx10_clamp 1
		.amdhsa_ieee_mode 1
		.amdhsa_fp16_overflow 0
		.amdhsa_tg_split 0
		.amdhsa_exception_fp_ieee_invalid_op 0
		.amdhsa_exception_fp_denorm_src 0
		.amdhsa_exception_fp_ieee_div_zero 0
		.amdhsa_exception_fp_ieee_overflow 0
		.amdhsa_exception_fp_ieee_underflow 0
		.amdhsa_exception_fp_ieee_inexact 0
		.amdhsa_exception_int_div_zero 0
	.end_amdhsa_kernel
	.section	.text._ZN7rocprim17ROCPRIM_400000_NS6detail17trampoline_kernelINS0_13kernel_configILj256ELj4ELj4294967295EEENS1_37radix_sort_block_sort_config_selectorIiNS0_10empty_typeEEEZNS1_21radix_sort_block_sortIS4_Lb0EN6thrust23THRUST_200600_302600_NS6detail15normal_iteratorINSA_10device_ptrIiEEEESF_PS6_SG_NS0_19identity_decomposerEEE10hipError_tT1_T2_T3_T4_jRjT5_jjP12ihipStream_tbEUlT_E_NS1_11comp_targetILNS1_3genE2ELNS1_11target_archE906ELNS1_3gpuE6ELNS1_3repE0EEENS1_44radix_sort_block_sort_config_static_selectorELNS0_4arch9wavefront6targetE1EEEvSJ_,"axG",@progbits,_ZN7rocprim17ROCPRIM_400000_NS6detail17trampoline_kernelINS0_13kernel_configILj256ELj4ELj4294967295EEENS1_37radix_sort_block_sort_config_selectorIiNS0_10empty_typeEEEZNS1_21radix_sort_block_sortIS4_Lb0EN6thrust23THRUST_200600_302600_NS6detail15normal_iteratorINSA_10device_ptrIiEEEESF_PS6_SG_NS0_19identity_decomposerEEE10hipError_tT1_T2_T3_T4_jRjT5_jjP12ihipStream_tbEUlT_E_NS1_11comp_targetILNS1_3genE2ELNS1_11target_archE906ELNS1_3gpuE6ELNS1_3repE0EEENS1_44radix_sort_block_sort_config_static_selectorELNS0_4arch9wavefront6targetE1EEEvSJ_,comdat
.Lfunc_end1600:
	.size	_ZN7rocprim17ROCPRIM_400000_NS6detail17trampoline_kernelINS0_13kernel_configILj256ELj4ELj4294967295EEENS1_37radix_sort_block_sort_config_selectorIiNS0_10empty_typeEEEZNS1_21radix_sort_block_sortIS4_Lb0EN6thrust23THRUST_200600_302600_NS6detail15normal_iteratorINSA_10device_ptrIiEEEESF_PS6_SG_NS0_19identity_decomposerEEE10hipError_tT1_T2_T3_T4_jRjT5_jjP12ihipStream_tbEUlT_E_NS1_11comp_targetILNS1_3genE2ELNS1_11target_archE906ELNS1_3gpuE6ELNS1_3repE0EEENS1_44radix_sort_block_sort_config_static_selectorELNS0_4arch9wavefront6targetE1EEEvSJ_, .Lfunc_end1600-_ZN7rocprim17ROCPRIM_400000_NS6detail17trampoline_kernelINS0_13kernel_configILj256ELj4ELj4294967295EEENS1_37radix_sort_block_sort_config_selectorIiNS0_10empty_typeEEEZNS1_21radix_sort_block_sortIS4_Lb0EN6thrust23THRUST_200600_302600_NS6detail15normal_iteratorINSA_10device_ptrIiEEEESF_PS6_SG_NS0_19identity_decomposerEEE10hipError_tT1_T2_T3_T4_jRjT5_jjP12ihipStream_tbEUlT_E_NS1_11comp_targetILNS1_3genE2ELNS1_11target_archE906ELNS1_3gpuE6ELNS1_3repE0EEENS1_44radix_sort_block_sort_config_static_selectorELNS0_4arch9wavefront6targetE1EEEvSJ_
                                        ; -- End function
	.section	.AMDGPU.csdata,"",@progbits
; Kernel info:
; codeLenInByte = 0
; NumSgprs: 6
; NumVgprs: 0
; NumAgprs: 0
; TotalNumVgprs: 0
; ScratchSize: 0
; MemoryBound: 0
; FloatMode: 240
; IeeeMode: 1
; LDSByteSize: 0 bytes/workgroup (compile time only)
; SGPRBlocks: 0
; VGPRBlocks: 0
; NumSGPRsForWavesPerEU: 6
; NumVGPRsForWavesPerEU: 1
; AccumOffset: 4
; Occupancy: 8
; WaveLimiterHint : 0
; COMPUTE_PGM_RSRC2:SCRATCH_EN: 0
; COMPUTE_PGM_RSRC2:USER_SGPR: 2
; COMPUTE_PGM_RSRC2:TRAP_HANDLER: 0
; COMPUTE_PGM_RSRC2:TGID_X_EN: 1
; COMPUTE_PGM_RSRC2:TGID_Y_EN: 0
; COMPUTE_PGM_RSRC2:TGID_Z_EN: 0
; COMPUTE_PGM_RSRC2:TIDIG_COMP_CNT: 0
; COMPUTE_PGM_RSRC3_GFX90A:ACCUM_OFFSET: 0
; COMPUTE_PGM_RSRC3_GFX90A:TG_SPLIT: 0
	.section	.text._ZN7rocprim17ROCPRIM_400000_NS6detail17trampoline_kernelINS0_13kernel_configILj256ELj4ELj4294967295EEENS1_37radix_sort_block_sort_config_selectorIiNS0_10empty_typeEEEZNS1_21radix_sort_block_sortIS4_Lb0EN6thrust23THRUST_200600_302600_NS6detail15normal_iteratorINSA_10device_ptrIiEEEESF_PS6_SG_NS0_19identity_decomposerEEE10hipError_tT1_T2_T3_T4_jRjT5_jjP12ihipStream_tbEUlT_E_NS1_11comp_targetILNS1_3genE10ELNS1_11target_archE1201ELNS1_3gpuE5ELNS1_3repE0EEENS1_44radix_sort_block_sort_config_static_selectorELNS0_4arch9wavefront6targetE1EEEvSJ_,"axG",@progbits,_ZN7rocprim17ROCPRIM_400000_NS6detail17trampoline_kernelINS0_13kernel_configILj256ELj4ELj4294967295EEENS1_37radix_sort_block_sort_config_selectorIiNS0_10empty_typeEEEZNS1_21radix_sort_block_sortIS4_Lb0EN6thrust23THRUST_200600_302600_NS6detail15normal_iteratorINSA_10device_ptrIiEEEESF_PS6_SG_NS0_19identity_decomposerEEE10hipError_tT1_T2_T3_T4_jRjT5_jjP12ihipStream_tbEUlT_E_NS1_11comp_targetILNS1_3genE10ELNS1_11target_archE1201ELNS1_3gpuE5ELNS1_3repE0EEENS1_44radix_sort_block_sort_config_static_selectorELNS0_4arch9wavefront6targetE1EEEvSJ_,comdat
	.protected	_ZN7rocprim17ROCPRIM_400000_NS6detail17trampoline_kernelINS0_13kernel_configILj256ELj4ELj4294967295EEENS1_37radix_sort_block_sort_config_selectorIiNS0_10empty_typeEEEZNS1_21radix_sort_block_sortIS4_Lb0EN6thrust23THRUST_200600_302600_NS6detail15normal_iteratorINSA_10device_ptrIiEEEESF_PS6_SG_NS0_19identity_decomposerEEE10hipError_tT1_T2_T3_T4_jRjT5_jjP12ihipStream_tbEUlT_E_NS1_11comp_targetILNS1_3genE10ELNS1_11target_archE1201ELNS1_3gpuE5ELNS1_3repE0EEENS1_44radix_sort_block_sort_config_static_selectorELNS0_4arch9wavefront6targetE1EEEvSJ_ ; -- Begin function _ZN7rocprim17ROCPRIM_400000_NS6detail17trampoline_kernelINS0_13kernel_configILj256ELj4ELj4294967295EEENS1_37radix_sort_block_sort_config_selectorIiNS0_10empty_typeEEEZNS1_21radix_sort_block_sortIS4_Lb0EN6thrust23THRUST_200600_302600_NS6detail15normal_iteratorINSA_10device_ptrIiEEEESF_PS6_SG_NS0_19identity_decomposerEEE10hipError_tT1_T2_T3_T4_jRjT5_jjP12ihipStream_tbEUlT_E_NS1_11comp_targetILNS1_3genE10ELNS1_11target_archE1201ELNS1_3gpuE5ELNS1_3repE0EEENS1_44radix_sort_block_sort_config_static_selectorELNS0_4arch9wavefront6targetE1EEEvSJ_
	.globl	_ZN7rocprim17ROCPRIM_400000_NS6detail17trampoline_kernelINS0_13kernel_configILj256ELj4ELj4294967295EEENS1_37radix_sort_block_sort_config_selectorIiNS0_10empty_typeEEEZNS1_21radix_sort_block_sortIS4_Lb0EN6thrust23THRUST_200600_302600_NS6detail15normal_iteratorINSA_10device_ptrIiEEEESF_PS6_SG_NS0_19identity_decomposerEEE10hipError_tT1_T2_T3_T4_jRjT5_jjP12ihipStream_tbEUlT_E_NS1_11comp_targetILNS1_3genE10ELNS1_11target_archE1201ELNS1_3gpuE5ELNS1_3repE0EEENS1_44radix_sort_block_sort_config_static_selectorELNS0_4arch9wavefront6targetE1EEEvSJ_
	.p2align	8
	.type	_ZN7rocprim17ROCPRIM_400000_NS6detail17trampoline_kernelINS0_13kernel_configILj256ELj4ELj4294967295EEENS1_37radix_sort_block_sort_config_selectorIiNS0_10empty_typeEEEZNS1_21radix_sort_block_sortIS4_Lb0EN6thrust23THRUST_200600_302600_NS6detail15normal_iteratorINSA_10device_ptrIiEEEESF_PS6_SG_NS0_19identity_decomposerEEE10hipError_tT1_T2_T3_T4_jRjT5_jjP12ihipStream_tbEUlT_E_NS1_11comp_targetILNS1_3genE10ELNS1_11target_archE1201ELNS1_3gpuE5ELNS1_3repE0EEENS1_44radix_sort_block_sort_config_static_selectorELNS0_4arch9wavefront6targetE1EEEvSJ_,@function
_ZN7rocprim17ROCPRIM_400000_NS6detail17trampoline_kernelINS0_13kernel_configILj256ELj4ELj4294967295EEENS1_37radix_sort_block_sort_config_selectorIiNS0_10empty_typeEEEZNS1_21radix_sort_block_sortIS4_Lb0EN6thrust23THRUST_200600_302600_NS6detail15normal_iteratorINSA_10device_ptrIiEEEESF_PS6_SG_NS0_19identity_decomposerEEE10hipError_tT1_T2_T3_T4_jRjT5_jjP12ihipStream_tbEUlT_E_NS1_11comp_targetILNS1_3genE10ELNS1_11target_archE1201ELNS1_3gpuE5ELNS1_3repE0EEENS1_44radix_sort_block_sort_config_static_selectorELNS0_4arch9wavefront6targetE1EEEvSJ_: ; @_ZN7rocprim17ROCPRIM_400000_NS6detail17trampoline_kernelINS0_13kernel_configILj256ELj4ELj4294967295EEENS1_37radix_sort_block_sort_config_selectorIiNS0_10empty_typeEEEZNS1_21radix_sort_block_sortIS4_Lb0EN6thrust23THRUST_200600_302600_NS6detail15normal_iteratorINSA_10device_ptrIiEEEESF_PS6_SG_NS0_19identity_decomposerEEE10hipError_tT1_T2_T3_T4_jRjT5_jjP12ihipStream_tbEUlT_E_NS1_11comp_targetILNS1_3genE10ELNS1_11target_archE1201ELNS1_3gpuE5ELNS1_3repE0EEENS1_44radix_sort_block_sort_config_static_selectorELNS0_4arch9wavefront6targetE1EEEvSJ_
; %bb.0:
	.section	.rodata,"a",@progbits
	.p2align	6, 0x0
	.amdhsa_kernel _ZN7rocprim17ROCPRIM_400000_NS6detail17trampoline_kernelINS0_13kernel_configILj256ELj4ELj4294967295EEENS1_37radix_sort_block_sort_config_selectorIiNS0_10empty_typeEEEZNS1_21radix_sort_block_sortIS4_Lb0EN6thrust23THRUST_200600_302600_NS6detail15normal_iteratorINSA_10device_ptrIiEEEESF_PS6_SG_NS0_19identity_decomposerEEE10hipError_tT1_T2_T3_T4_jRjT5_jjP12ihipStream_tbEUlT_E_NS1_11comp_targetILNS1_3genE10ELNS1_11target_archE1201ELNS1_3gpuE5ELNS1_3repE0EEENS1_44radix_sort_block_sort_config_static_selectorELNS0_4arch9wavefront6targetE1EEEvSJ_
		.amdhsa_group_segment_fixed_size 0
		.amdhsa_private_segment_fixed_size 0
		.amdhsa_kernarg_size 48
		.amdhsa_user_sgpr_count 2
		.amdhsa_user_sgpr_dispatch_ptr 0
		.amdhsa_user_sgpr_queue_ptr 0
		.amdhsa_user_sgpr_kernarg_segment_ptr 1
		.amdhsa_user_sgpr_dispatch_id 0
		.amdhsa_user_sgpr_kernarg_preload_length 0
		.amdhsa_user_sgpr_kernarg_preload_offset 0
		.amdhsa_user_sgpr_private_segment_size 0
		.amdhsa_uses_dynamic_stack 0
		.amdhsa_enable_private_segment 0
		.amdhsa_system_sgpr_workgroup_id_x 1
		.amdhsa_system_sgpr_workgroup_id_y 0
		.amdhsa_system_sgpr_workgroup_id_z 0
		.amdhsa_system_sgpr_workgroup_info 0
		.amdhsa_system_vgpr_workitem_id 0
		.amdhsa_next_free_vgpr 1
		.amdhsa_next_free_sgpr 0
		.amdhsa_accum_offset 4
		.amdhsa_reserve_vcc 0
		.amdhsa_float_round_mode_32 0
		.amdhsa_float_round_mode_16_64 0
		.amdhsa_float_denorm_mode_32 3
		.amdhsa_float_denorm_mode_16_64 3
		.amdhsa_dx10_clamp 1
		.amdhsa_ieee_mode 1
		.amdhsa_fp16_overflow 0
		.amdhsa_tg_split 0
		.amdhsa_exception_fp_ieee_invalid_op 0
		.amdhsa_exception_fp_denorm_src 0
		.amdhsa_exception_fp_ieee_div_zero 0
		.amdhsa_exception_fp_ieee_overflow 0
		.amdhsa_exception_fp_ieee_underflow 0
		.amdhsa_exception_fp_ieee_inexact 0
		.amdhsa_exception_int_div_zero 0
	.end_amdhsa_kernel
	.section	.text._ZN7rocprim17ROCPRIM_400000_NS6detail17trampoline_kernelINS0_13kernel_configILj256ELj4ELj4294967295EEENS1_37radix_sort_block_sort_config_selectorIiNS0_10empty_typeEEEZNS1_21radix_sort_block_sortIS4_Lb0EN6thrust23THRUST_200600_302600_NS6detail15normal_iteratorINSA_10device_ptrIiEEEESF_PS6_SG_NS0_19identity_decomposerEEE10hipError_tT1_T2_T3_T4_jRjT5_jjP12ihipStream_tbEUlT_E_NS1_11comp_targetILNS1_3genE10ELNS1_11target_archE1201ELNS1_3gpuE5ELNS1_3repE0EEENS1_44radix_sort_block_sort_config_static_selectorELNS0_4arch9wavefront6targetE1EEEvSJ_,"axG",@progbits,_ZN7rocprim17ROCPRIM_400000_NS6detail17trampoline_kernelINS0_13kernel_configILj256ELj4ELj4294967295EEENS1_37radix_sort_block_sort_config_selectorIiNS0_10empty_typeEEEZNS1_21radix_sort_block_sortIS4_Lb0EN6thrust23THRUST_200600_302600_NS6detail15normal_iteratorINSA_10device_ptrIiEEEESF_PS6_SG_NS0_19identity_decomposerEEE10hipError_tT1_T2_T3_T4_jRjT5_jjP12ihipStream_tbEUlT_E_NS1_11comp_targetILNS1_3genE10ELNS1_11target_archE1201ELNS1_3gpuE5ELNS1_3repE0EEENS1_44radix_sort_block_sort_config_static_selectorELNS0_4arch9wavefront6targetE1EEEvSJ_,comdat
.Lfunc_end1601:
	.size	_ZN7rocprim17ROCPRIM_400000_NS6detail17trampoline_kernelINS0_13kernel_configILj256ELj4ELj4294967295EEENS1_37radix_sort_block_sort_config_selectorIiNS0_10empty_typeEEEZNS1_21radix_sort_block_sortIS4_Lb0EN6thrust23THRUST_200600_302600_NS6detail15normal_iteratorINSA_10device_ptrIiEEEESF_PS6_SG_NS0_19identity_decomposerEEE10hipError_tT1_T2_T3_T4_jRjT5_jjP12ihipStream_tbEUlT_E_NS1_11comp_targetILNS1_3genE10ELNS1_11target_archE1201ELNS1_3gpuE5ELNS1_3repE0EEENS1_44radix_sort_block_sort_config_static_selectorELNS0_4arch9wavefront6targetE1EEEvSJ_, .Lfunc_end1601-_ZN7rocprim17ROCPRIM_400000_NS6detail17trampoline_kernelINS0_13kernel_configILj256ELj4ELj4294967295EEENS1_37radix_sort_block_sort_config_selectorIiNS0_10empty_typeEEEZNS1_21radix_sort_block_sortIS4_Lb0EN6thrust23THRUST_200600_302600_NS6detail15normal_iteratorINSA_10device_ptrIiEEEESF_PS6_SG_NS0_19identity_decomposerEEE10hipError_tT1_T2_T3_T4_jRjT5_jjP12ihipStream_tbEUlT_E_NS1_11comp_targetILNS1_3genE10ELNS1_11target_archE1201ELNS1_3gpuE5ELNS1_3repE0EEENS1_44radix_sort_block_sort_config_static_selectorELNS0_4arch9wavefront6targetE1EEEvSJ_
                                        ; -- End function
	.section	.AMDGPU.csdata,"",@progbits
; Kernel info:
; codeLenInByte = 0
; NumSgprs: 6
; NumVgprs: 0
; NumAgprs: 0
; TotalNumVgprs: 0
; ScratchSize: 0
; MemoryBound: 0
; FloatMode: 240
; IeeeMode: 1
; LDSByteSize: 0 bytes/workgroup (compile time only)
; SGPRBlocks: 0
; VGPRBlocks: 0
; NumSGPRsForWavesPerEU: 6
; NumVGPRsForWavesPerEU: 1
; AccumOffset: 4
; Occupancy: 8
; WaveLimiterHint : 0
; COMPUTE_PGM_RSRC2:SCRATCH_EN: 0
; COMPUTE_PGM_RSRC2:USER_SGPR: 2
; COMPUTE_PGM_RSRC2:TRAP_HANDLER: 0
; COMPUTE_PGM_RSRC2:TGID_X_EN: 1
; COMPUTE_PGM_RSRC2:TGID_Y_EN: 0
; COMPUTE_PGM_RSRC2:TGID_Z_EN: 0
; COMPUTE_PGM_RSRC2:TIDIG_COMP_CNT: 0
; COMPUTE_PGM_RSRC3_GFX90A:ACCUM_OFFSET: 0
; COMPUTE_PGM_RSRC3_GFX90A:TG_SPLIT: 0
	.section	.text._ZN7rocprim17ROCPRIM_400000_NS6detail17trampoline_kernelINS0_13kernel_configILj256ELj4ELj4294967295EEENS1_37radix_sort_block_sort_config_selectorIiNS0_10empty_typeEEEZNS1_21radix_sort_block_sortIS4_Lb0EN6thrust23THRUST_200600_302600_NS6detail15normal_iteratorINSA_10device_ptrIiEEEESF_PS6_SG_NS0_19identity_decomposerEEE10hipError_tT1_T2_T3_T4_jRjT5_jjP12ihipStream_tbEUlT_E_NS1_11comp_targetILNS1_3genE10ELNS1_11target_archE1200ELNS1_3gpuE4ELNS1_3repE0EEENS1_44radix_sort_block_sort_config_static_selectorELNS0_4arch9wavefront6targetE1EEEvSJ_,"axG",@progbits,_ZN7rocprim17ROCPRIM_400000_NS6detail17trampoline_kernelINS0_13kernel_configILj256ELj4ELj4294967295EEENS1_37radix_sort_block_sort_config_selectorIiNS0_10empty_typeEEEZNS1_21radix_sort_block_sortIS4_Lb0EN6thrust23THRUST_200600_302600_NS6detail15normal_iteratorINSA_10device_ptrIiEEEESF_PS6_SG_NS0_19identity_decomposerEEE10hipError_tT1_T2_T3_T4_jRjT5_jjP12ihipStream_tbEUlT_E_NS1_11comp_targetILNS1_3genE10ELNS1_11target_archE1200ELNS1_3gpuE4ELNS1_3repE0EEENS1_44radix_sort_block_sort_config_static_selectorELNS0_4arch9wavefront6targetE1EEEvSJ_,comdat
	.protected	_ZN7rocprim17ROCPRIM_400000_NS6detail17trampoline_kernelINS0_13kernel_configILj256ELj4ELj4294967295EEENS1_37radix_sort_block_sort_config_selectorIiNS0_10empty_typeEEEZNS1_21radix_sort_block_sortIS4_Lb0EN6thrust23THRUST_200600_302600_NS6detail15normal_iteratorINSA_10device_ptrIiEEEESF_PS6_SG_NS0_19identity_decomposerEEE10hipError_tT1_T2_T3_T4_jRjT5_jjP12ihipStream_tbEUlT_E_NS1_11comp_targetILNS1_3genE10ELNS1_11target_archE1200ELNS1_3gpuE4ELNS1_3repE0EEENS1_44radix_sort_block_sort_config_static_selectorELNS0_4arch9wavefront6targetE1EEEvSJ_ ; -- Begin function _ZN7rocprim17ROCPRIM_400000_NS6detail17trampoline_kernelINS0_13kernel_configILj256ELj4ELj4294967295EEENS1_37radix_sort_block_sort_config_selectorIiNS0_10empty_typeEEEZNS1_21radix_sort_block_sortIS4_Lb0EN6thrust23THRUST_200600_302600_NS6detail15normal_iteratorINSA_10device_ptrIiEEEESF_PS6_SG_NS0_19identity_decomposerEEE10hipError_tT1_T2_T3_T4_jRjT5_jjP12ihipStream_tbEUlT_E_NS1_11comp_targetILNS1_3genE10ELNS1_11target_archE1200ELNS1_3gpuE4ELNS1_3repE0EEENS1_44radix_sort_block_sort_config_static_selectorELNS0_4arch9wavefront6targetE1EEEvSJ_
	.globl	_ZN7rocprim17ROCPRIM_400000_NS6detail17trampoline_kernelINS0_13kernel_configILj256ELj4ELj4294967295EEENS1_37radix_sort_block_sort_config_selectorIiNS0_10empty_typeEEEZNS1_21radix_sort_block_sortIS4_Lb0EN6thrust23THRUST_200600_302600_NS6detail15normal_iteratorINSA_10device_ptrIiEEEESF_PS6_SG_NS0_19identity_decomposerEEE10hipError_tT1_T2_T3_T4_jRjT5_jjP12ihipStream_tbEUlT_E_NS1_11comp_targetILNS1_3genE10ELNS1_11target_archE1200ELNS1_3gpuE4ELNS1_3repE0EEENS1_44radix_sort_block_sort_config_static_selectorELNS0_4arch9wavefront6targetE1EEEvSJ_
	.p2align	8
	.type	_ZN7rocprim17ROCPRIM_400000_NS6detail17trampoline_kernelINS0_13kernel_configILj256ELj4ELj4294967295EEENS1_37radix_sort_block_sort_config_selectorIiNS0_10empty_typeEEEZNS1_21radix_sort_block_sortIS4_Lb0EN6thrust23THRUST_200600_302600_NS6detail15normal_iteratorINSA_10device_ptrIiEEEESF_PS6_SG_NS0_19identity_decomposerEEE10hipError_tT1_T2_T3_T4_jRjT5_jjP12ihipStream_tbEUlT_E_NS1_11comp_targetILNS1_3genE10ELNS1_11target_archE1200ELNS1_3gpuE4ELNS1_3repE0EEENS1_44radix_sort_block_sort_config_static_selectorELNS0_4arch9wavefront6targetE1EEEvSJ_,@function
_ZN7rocprim17ROCPRIM_400000_NS6detail17trampoline_kernelINS0_13kernel_configILj256ELj4ELj4294967295EEENS1_37radix_sort_block_sort_config_selectorIiNS0_10empty_typeEEEZNS1_21radix_sort_block_sortIS4_Lb0EN6thrust23THRUST_200600_302600_NS6detail15normal_iteratorINSA_10device_ptrIiEEEESF_PS6_SG_NS0_19identity_decomposerEEE10hipError_tT1_T2_T3_T4_jRjT5_jjP12ihipStream_tbEUlT_E_NS1_11comp_targetILNS1_3genE10ELNS1_11target_archE1200ELNS1_3gpuE4ELNS1_3repE0EEENS1_44radix_sort_block_sort_config_static_selectorELNS0_4arch9wavefront6targetE1EEEvSJ_: ; @_ZN7rocprim17ROCPRIM_400000_NS6detail17trampoline_kernelINS0_13kernel_configILj256ELj4ELj4294967295EEENS1_37radix_sort_block_sort_config_selectorIiNS0_10empty_typeEEEZNS1_21radix_sort_block_sortIS4_Lb0EN6thrust23THRUST_200600_302600_NS6detail15normal_iteratorINSA_10device_ptrIiEEEESF_PS6_SG_NS0_19identity_decomposerEEE10hipError_tT1_T2_T3_T4_jRjT5_jjP12ihipStream_tbEUlT_E_NS1_11comp_targetILNS1_3genE10ELNS1_11target_archE1200ELNS1_3gpuE4ELNS1_3repE0EEENS1_44radix_sort_block_sort_config_static_selectorELNS0_4arch9wavefront6targetE1EEEvSJ_
; %bb.0:
	.section	.rodata,"a",@progbits
	.p2align	6, 0x0
	.amdhsa_kernel _ZN7rocprim17ROCPRIM_400000_NS6detail17trampoline_kernelINS0_13kernel_configILj256ELj4ELj4294967295EEENS1_37radix_sort_block_sort_config_selectorIiNS0_10empty_typeEEEZNS1_21radix_sort_block_sortIS4_Lb0EN6thrust23THRUST_200600_302600_NS6detail15normal_iteratorINSA_10device_ptrIiEEEESF_PS6_SG_NS0_19identity_decomposerEEE10hipError_tT1_T2_T3_T4_jRjT5_jjP12ihipStream_tbEUlT_E_NS1_11comp_targetILNS1_3genE10ELNS1_11target_archE1200ELNS1_3gpuE4ELNS1_3repE0EEENS1_44radix_sort_block_sort_config_static_selectorELNS0_4arch9wavefront6targetE1EEEvSJ_
		.amdhsa_group_segment_fixed_size 0
		.amdhsa_private_segment_fixed_size 0
		.amdhsa_kernarg_size 48
		.amdhsa_user_sgpr_count 2
		.amdhsa_user_sgpr_dispatch_ptr 0
		.amdhsa_user_sgpr_queue_ptr 0
		.amdhsa_user_sgpr_kernarg_segment_ptr 1
		.amdhsa_user_sgpr_dispatch_id 0
		.amdhsa_user_sgpr_kernarg_preload_length 0
		.amdhsa_user_sgpr_kernarg_preload_offset 0
		.amdhsa_user_sgpr_private_segment_size 0
		.amdhsa_uses_dynamic_stack 0
		.amdhsa_enable_private_segment 0
		.amdhsa_system_sgpr_workgroup_id_x 1
		.amdhsa_system_sgpr_workgroup_id_y 0
		.amdhsa_system_sgpr_workgroup_id_z 0
		.amdhsa_system_sgpr_workgroup_info 0
		.amdhsa_system_vgpr_workitem_id 0
		.amdhsa_next_free_vgpr 1
		.amdhsa_next_free_sgpr 0
		.amdhsa_accum_offset 4
		.amdhsa_reserve_vcc 0
		.amdhsa_float_round_mode_32 0
		.amdhsa_float_round_mode_16_64 0
		.amdhsa_float_denorm_mode_32 3
		.amdhsa_float_denorm_mode_16_64 3
		.amdhsa_dx10_clamp 1
		.amdhsa_ieee_mode 1
		.amdhsa_fp16_overflow 0
		.amdhsa_tg_split 0
		.amdhsa_exception_fp_ieee_invalid_op 0
		.amdhsa_exception_fp_denorm_src 0
		.amdhsa_exception_fp_ieee_div_zero 0
		.amdhsa_exception_fp_ieee_overflow 0
		.amdhsa_exception_fp_ieee_underflow 0
		.amdhsa_exception_fp_ieee_inexact 0
		.amdhsa_exception_int_div_zero 0
	.end_amdhsa_kernel
	.section	.text._ZN7rocprim17ROCPRIM_400000_NS6detail17trampoline_kernelINS0_13kernel_configILj256ELj4ELj4294967295EEENS1_37radix_sort_block_sort_config_selectorIiNS0_10empty_typeEEEZNS1_21radix_sort_block_sortIS4_Lb0EN6thrust23THRUST_200600_302600_NS6detail15normal_iteratorINSA_10device_ptrIiEEEESF_PS6_SG_NS0_19identity_decomposerEEE10hipError_tT1_T2_T3_T4_jRjT5_jjP12ihipStream_tbEUlT_E_NS1_11comp_targetILNS1_3genE10ELNS1_11target_archE1200ELNS1_3gpuE4ELNS1_3repE0EEENS1_44radix_sort_block_sort_config_static_selectorELNS0_4arch9wavefront6targetE1EEEvSJ_,"axG",@progbits,_ZN7rocprim17ROCPRIM_400000_NS6detail17trampoline_kernelINS0_13kernel_configILj256ELj4ELj4294967295EEENS1_37radix_sort_block_sort_config_selectorIiNS0_10empty_typeEEEZNS1_21radix_sort_block_sortIS4_Lb0EN6thrust23THRUST_200600_302600_NS6detail15normal_iteratorINSA_10device_ptrIiEEEESF_PS6_SG_NS0_19identity_decomposerEEE10hipError_tT1_T2_T3_T4_jRjT5_jjP12ihipStream_tbEUlT_E_NS1_11comp_targetILNS1_3genE10ELNS1_11target_archE1200ELNS1_3gpuE4ELNS1_3repE0EEENS1_44radix_sort_block_sort_config_static_selectorELNS0_4arch9wavefront6targetE1EEEvSJ_,comdat
.Lfunc_end1602:
	.size	_ZN7rocprim17ROCPRIM_400000_NS6detail17trampoline_kernelINS0_13kernel_configILj256ELj4ELj4294967295EEENS1_37radix_sort_block_sort_config_selectorIiNS0_10empty_typeEEEZNS1_21radix_sort_block_sortIS4_Lb0EN6thrust23THRUST_200600_302600_NS6detail15normal_iteratorINSA_10device_ptrIiEEEESF_PS6_SG_NS0_19identity_decomposerEEE10hipError_tT1_T2_T3_T4_jRjT5_jjP12ihipStream_tbEUlT_E_NS1_11comp_targetILNS1_3genE10ELNS1_11target_archE1200ELNS1_3gpuE4ELNS1_3repE0EEENS1_44radix_sort_block_sort_config_static_selectorELNS0_4arch9wavefront6targetE1EEEvSJ_, .Lfunc_end1602-_ZN7rocprim17ROCPRIM_400000_NS6detail17trampoline_kernelINS0_13kernel_configILj256ELj4ELj4294967295EEENS1_37radix_sort_block_sort_config_selectorIiNS0_10empty_typeEEEZNS1_21radix_sort_block_sortIS4_Lb0EN6thrust23THRUST_200600_302600_NS6detail15normal_iteratorINSA_10device_ptrIiEEEESF_PS6_SG_NS0_19identity_decomposerEEE10hipError_tT1_T2_T3_T4_jRjT5_jjP12ihipStream_tbEUlT_E_NS1_11comp_targetILNS1_3genE10ELNS1_11target_archE1200ELNS1_3gpuE4ELNS1_3repE0EEENS1_44radix_sort_block_sort_config_static_selectorELNS0_4arch9wavefront6targetE1EEEvSJ_
                                        ; -- End function
	.section	.AMDGPU.csdata,"",@progbits
; Kernel info:
; codeLenInByte = 0
; NumSgprs: 6
; NumVgprs: 0
; NumAgprs: 0
; TotalNumVgprs: 0
; ScratchSize: 0
; MemoryBound: 0
; FloatMode: 240
; IeeeMode: 1
; LDSByteSize: 0 bytes/workgroup (compile time only)
; SGPRBlocks: 0
; VGPRBlocks: 0
; NumSGPRsForWavesPerEU: 6
; NumVGPRsForWavesPerEU: 1
; AccumOffset: 4
; Occupancy: 8
; WaveLimiterHint : 0
; COMPUTE_PGM_RSRC2:SCRATCH_EN: 0
; COMPUTE_PGM_RSRC2:USER_SGPR: 2
; COMPUTE_PGM_RSRC2:TRAP_HANDLER: 0
; COMPUTE_PGM_RSRC2:TGID_X_EN: 1
; COMPUTE_PGM_RSRC2:TGID_Y_EN: 0
; COMPUTE_PGM_RSRC2:TGID_Z_EN: 0
; COMPUTE_PGM_RSRC2:TIDIG_COMP_CNT: 0
; COMPUTE_PGM_RSRC3_GFX90A:ACCUM_OFFSET: 0
; COMPUTE_PGM_RSRC3_GFX90A:TG_SPLIT: 0
	.section	.text._ZN7rocprim17ROCPRIM_400000_NS6detail17trampoline_kernelINS0_13kernel_configILj256ELj4ELj4294967295EEENS1_37radix_sort_block_sort_config_selectorIiNS0_10empty_typeEEEZNS1_21radix_sort_block_sortIS4_Lb0EN6thrust23THRUST_200600_302600_NS6detail15normal_iteratorINSA_10device_ptrIiEEEESF_PS6_SG_NS0_19identity_decomposerEEE10hipError_tT1_T2_T3_T4_jRjT5_jjP12ihipStream_tbEUlT_E_NS1_11comp_targetILNS1_3genE9ELNS1_11target_archE1100ELNS1_3gpuE3ELNS1_3repE0EEENS1_44radix_sort_block_sort_config_static_selectorELNS0_4arch9wavefront6targetE1EEEvSJ_,"axG",@progbits,_ZN7rocprim17ROCPRIM_400000_NS6detail17trampoline_kernelINS0_13kernel_configILj256ELj4ELj4294967295EEENS1_37radix_sort_block_sort_config_selectorIiNS0_10empty_typeEEEZNS1_21radix_sort_block_sortIS4_Lb0EN6thrust23THRUST_200600_302600_NS6detail15normal_iteratorINSA_10device_ptrIiEEEESF_PS6_SG_NS0_19identity_decomposerEEE10hipError_tT1_T2_T3_T4_jRjT5_jjP12ihipStream_tbEUlT_E_NS1_11comp_targetILNS1_3genE9ELNS1_11target_archE1100ELNS1_3gpuE3ELNS1_3repE0EEENS1_44radix_sort_block_sort_config_static_selectorELNS0_4arch9wavefront6targetE1EEEvSJ_,comdat
	.protected	_ZN7rocprim17ROCPRIM_400000_NS6detail17trampoline_kernelINS0_13kernel_configILj256ELj4ELj4294967295EEENS1_37radix_sort_block_sort_config_selectorIiNS0_10empty_typeEEEZNS1_21radix_sort_block_sortIS4_Lb0EN6thrust23THRUST_200600_302600_NS6detail15normal_iteratorINSA_10device_ptrIiEEEESF_PS6_SG_NS0_19identity_decomposerEEE10hipError_tT1_T2_T3_T4_jRjT5_jjP12ihipStream_tbEUlT_E_NS1_11comp_targetILNS1_3genE9ELNS1_11target_archE1100ELNS1_3gpuE3ELNS1_3repE0EEENS1_44radix_sort_block_sort_config_static_selectorELNS0_4arch9wavefront6targetE1EEEvSJ_ ; -- Begin function _ZN7rocprim17ROCPRIM_400000_NS6detail17trampoline_kernelINS0_13kernel_configILj256ELj4ELj4294967295EEENS1_37radix_sort_block_sort_config_selectorIiNS0_10empty_typeEEEZNS1_21radix_sort_block_sortIS4_Lb0EN6thrust23THRUST_200600_302600_NS6detail15normal_iteratorINSA_10device_ptrIiEEEESF_PS6_SG_NS0_19identity_decomposerEEE10hipError_tT1_T2_T3_T4_jRjT5_jjP12ihipStream_tbEUlT_E_NS1_11comp_targetILNS1_3genE9ELNS1_11target_archE1100ELNS1_3gpuE3ELNS1_3repE0EEENS1_44radix_sort_block_sort_config_static_selectorELNS0_4arch9wavefront6targetE1EEEvSJ_
	.globl	_ZN7rocprim17ROCPRIM_400000_NS6detail17trampoline_kernelINS0_13kernel_configILj256ELj4ELj4294967295EEENS1_37radix_sort_block_sort_config_selectorIiNS0_10empty_typeEEEZNS1_21radix_sort_block_sortIS4_Lb0EN6thrust23THRUST_200600_302600_NS6detail15normal_iteratorINSA_10device_ptrIiEEEESF_PS6_SG_NS0_19identity_decomposerEEE10hipError_tT1_T2_T3_T4_jRjT5_jjP12ihipStream_tbEUlT_E_NS1_11comp_targetILNS1_3genE9ELNS1_11target_archE1100ELNS1_3gpuE3ELNS1_3repE0EEENS1_44radix_sort_block_sort_config_static_selectorELNS0_4arch9wavefront6targetE1EEEvSJ_
	.p2align	8
	.type	_ZN7rocprim17ROCPRIM_400000_NS6detail17trampoline_kernelINS0_13kernel_configILj256ELj4ELj4294967295EEENS1_37radix_sort_block_sort_config_selectorIiNS0_10empty_typeEEEZNS1_21radix_sort_block_sortIS4_Lb0EN6thrust23THRUST_200600_302600_NS6detail15normal_iteratorINSA_10device_ptrIiEEEESF_PS6_SG_NS0_19identity_decomposerEEE10hipError_tT1_T2_T3_T4_jRjT5_jjP12ihipStream_tbEUlT_E_NS1_11comp_targetILNS1_3genE9ELNS1_11target_archE1100ELNS1_3gpuE3ELNS1_3repE0EEENS1_44radix_sort_block_sort_config_static_selectorELNS0_4arch9wavefront6targetE1EEEvSJ_,@function
_ZN7rocprim17ROCPRIM_400000_NS6detail17trampoline_kernelINS0_13kernel_configILj256ELj4ELj4294967295EEENS1_37radix_sort_block_sort_config_selectorIiNS0_10empty_typeEEEZNS1_21radix_sort_block_sortIS4_Lb0EN6thrust23THRUST_200600_302600_NS6detail15normal_iteratorINSA_10device_ptrIiEEEESF_PS6_SG_NS0_19identity_decomposerEEE10hipError_tT1_T2_T3_T4_jRjT5_jjP12ihipStream_tbEUlT_E_NS1_11comp_targetILNS1_3genE9ELNS1_11target_archE1100ELNS1_3gpuE3ELNS1_3repE0EEENS1_44radix_sort_block_sort_config_static_selectorELNS0_4arch9wavefront6targetE1EEEvSJ_: ; @_ZN7rocprim17ROCPRIM_400000_NS6detail17trampoline_kernelINS0_13kernel_configILj256ELj4ELj4294967295EEENS1_37radix_sort_block_sort_config_selectorIiNS0_10empty_typeEEEZNS1_21radix_sort_block_sortIS4_Lb0EN6thrust23THRUST_200600_302600_NS6detail15normal_iteratorINSA_10device_ptrIiEEEESF_PS6_SG_NS0_19identity_decomposerEEE10hipError_tT1_T2_T3_T4_jRjT5_jjP12ihipStream_tbEUlT_E_NS1_11comp_targetILNS1_3genE9ELNS1_11target_archE1100ELNS1_3gpuE3ELNS1_3repE0EEENS1_44radix_sort_block_sort_config_static_selectorELNS0_4arch9wavefront6targetE1EEEvSJ_
; %bb.0:
	.section	.rodata,"a",@progbits
	.p2align	6, 0x0
	.amdhsa_kernel _ZN7rocprim17ROCPRIM_400000_NS6detail17trampoline_kernelINS0_13kernel_configILj256ELj4ELj4294967295EEENS1_37radix_sort_block_sort_config_selectorIiNS0_10empty_typeEEEZNS1_21radix_sort_block_sortIS4_Lb0EN6thrust23THRUST_200600_302600_NS6detail15normal_iteratorINSA_10device_ptrIiEEEESF_PS6_SG_NS0_19identity_decomposerEEE10hipError_tT1_T2_T3_T4_jRjT5_jjP12ihipStream_tbEUlT_E_NS1_11comp_targetILNS1_3genE9ELNS1_11target_archE1100ELNS1_3gpuE3ELNS1_3repE0EEENS1_44radix_sort_block_sort_config_static_selectorELNS0_4arch9wavefront6targetE1EEEvSJ_
		.amdhsa_group_segment_fixed_size 0
		.amdhsa_private_segment_fixed_size 0
		.amdhsa_kernarg_size 48
		.amdhsa_user_sgpr_count 2
		.amdhsa_user_sgpr_dispatch_ptr 0
		.amdhsa_user_sgpr_queue_ptr 0
		.amdhsa_user_sgpr_kernarg_segment_ptr 1
		.amdhsa_user_sgpr_dispatch_id 0
		.amdhsa_user_sgpr_kernarg_preload_length 0
		.amdhsa_user_sgpr_kernarg_preload_offset 0
		.amdhsa_user_sgpr_private_segment_size 0
		.amdhsa_uses_dynamic_stack 0
		.amdhsa_enable_private_segment 0
		.amdhsa_system_sgpr_workgroup_id_x 1
		.amdhsa_system_sgpr_workgroup_id_y 0
		.amdhsa_system_sgpr_workgroup_id_z 0
		.amdhsa_system_sgpr_workgroup_info 0
		.amdhsa_system_vgpr_workitem_id 0
		.amdhsa_next_free_vgpr 1
		.amdhsa_next_free_sgpr 0
		.amdhsa_accum_offset 4
		.amdhsa_reserve_vcc 0
		.amdhsa_float_round_mode_32 0
		.amdhsa_float_round_mode_16_64 0
		.amdhsa_float_denorm_mode_32 3
		.amdhsa_float_denorm_mode_16_64 3
		.amdhsa_dx10_clamp 1
		.amdhsa_ieee_mode 1
		.amdhsa_fp16_overflow 0
		.amdhsa_tg_split 0
		.amdhsa_exception_fp_ieee_invalid_op 0
		.amdhsa_exception_fp_denorm_src 0
		.amdhsa_exception_fp_ieee_div_zero 0
		.amdhsa_exception_fp_ieee_overflow 0
		.amdhsa_exception_fp_ieee_underflow 0
		.amdhsa_exception_fp_ieee_inexact 0
		.amdhsa_exception_int_div_zero 0
	.end_amdhsa_kernel
	.section	.text._ZN7rocprim17ROCPRIM_400000_NS6detail17trampoline_kernelINS0_13kernel_configILj256ELj4ELj4294967295EEENS1_37radix_sort_block_sort_config_selectorIiNS0_10empty_typeEEEZNS1_21radix_sort_block_sortIS4_Lb0EN6thrust23THRUST_200600_302600_NS6detail15normal_iteratorINSA_10device_ptrIiEEEESF_PS6_SG_NS0_19identity_decomposerEEE10hipError_tT1_T2_T3_T4_jRjT5_jjP12ihipStream_tbEUlT_E_NS1_11comp_targetILNS1_3genE9ELNS1_11target_archE1100ELNS1_3gpuE3ELNS1_3repE0EEENS1_44radix_sort_block_sort_config_static_selectorELNS0_4arch9wavefront6targetE1EEEvSJ_,"axG",@progbits,_ZN7rocprim17ROCPRIM_400000_NS6detail17trampoline_kernelINS0_13kernel_configILj256ELj4ELj4294967295EEENS1_37radix_sort_block_sort_config_selectorIiNS0_10empty_typeEEEZNS1_21radix_sort_block_sortIS4_Lb0EN6thrust23THRUST_200600_302600_NS6detail15normal_iteratorINSA_10device_ptrIiEEEESF_PS6_SG_NS0_19identity_decomposerEEE10hipError_tT1_T2_T3_T4_jRjT5_jjP12ihipStream_tbEUlT_E_NS1_11comp_targetILNS1_3genE9ELNS1_11target_archE1100ELNS1_3gpuE3ELNS1_3repE0EEENS1_44radix_sort_block_sort_config_static_selectorELNS0_4arch9wavefront6targetE1EEEvSJ_,comdat
.Lfunc_end1603:
	.size	_ZN7rocprim17ROCPRIM_400000_NS6detail17trampoline_kernelINS0_13kernel_configILj256ELj4ELj4294967295EEENS1_37radix_sort_block_sort_config_selectorIiNS0_10empty_typeEEEZNS1_21radix_sort_block_sortIS4_Lb0EN6thrust23THRUST_200600_302600_NS6detail15normal_iteratorINSA_10device_ptrIiEEEESF_PS6_SG_NS0_19identity_decomposerEEE10hipError_tT1_T2_T3_T4_jRjT5_jjP12ihipStream_tbEUlT_E_NS1_11comp_targetILNS1_3genE9ELNS1_11target_archE1100ELNS1_3gpuE3ELNS1_3repE0EEENS1_44radix_sort_block_sort_config_static_selectorELNS0_4arch9wavefront6targetE1EEEvSJ_, .Lfunc_end1603-_ZN7rocprim17ROCPRIM_400000_NS6detail17trampoline_kernelINS0_13kernel_configILj256ELj4ELj4294967295EEENS1_37radix_sort_block_sort_config_selectorIiNS0_10empty_typeEEEZNS1_21radix_sort_block_sortIS4_Lb0EN6thrust23THRUST_200600_302600_NS6detail15normal_iteratorINSA_10device_ptrIiEEEESF_PS6_SG_NS0_19identity_decomposerEEE10hipError_tT1_T2_T3_T4_jRjT5_jjP12ihipStream_tbEUlT_E_NS1_11comp_targetILNS1_3genE9ELNS1_11target_archE1100ELNS1_3gpuE3ELNS1_3repE0EEENS1_44radix_sort_block_sort_config_static_selectorELNS0_4arch9wavefront6targetE1EEEvSJ_
                                        ; -- End function
	.section	.AMDGPU.csdata,"",@progbits
; Kernel info:
; codeLenInByte = 0
; NumSgprs: 6
; NumVgprs: 0
; NumAgprs: 0
; TotalNumVgprs: 0
; ScratchSize: 0
; MemoryBound: 0
; FloatMode: 240
; IeeeMode: 1
; LDSByteSize: 0 bytes/workgroup (compile time only)
; SGPRBlocks: 0
; VGPRBlocks: 0
; NumSGPRsForWavesPerEU: 6
; NumVGPRsForWavesPerEU: 1
; AccumOffset: 4
; Occupancy: 8
; WaveLimiterHint : 0
; COMPUTE_PGM_RSRC2:SCRATCH_EN: 0
; COMPUTE_PGM_RSRC2:USER_SGPR: 2
; COMPUTE_PGM_RSRC2:TRAP_HANDLER: 0
; COMPUTE_PGM_RSRC2:TGID_X_EN: 1
; COMPUTE_PGM_RSRC2:TGID_Y_EN: 0
; COMPUTE_PGM_RSRC2:TGID_Z_EN: 0
; COMPUTE_PGM_RSRC2:TIDIG_COMP_CNT: 0
; COMPUTE_PGM_RSRC3_GFX90A:ACCUM_OFFSET: 0
; COMPUTE_PGM_RSRC3_GFX90A:TG_SPLIT: 0
	.section	.text._ZN7rocprim17ROCPRIM_400000_NS6detail17trampoline_kernelINS0_13kernel_configILj256ELj4ELj4294967295EEENS1_37radix_sort_block_sort_config_selectorIiNS0_10empty_typeEEEZNS1_21radix_sort_block_sortIS4_Lb0EN6thrust23THRUST_200600_302600_NS6detail15normal_iteratorINSA_10device_ptrIiEEEESF_PS6_SG_NS0_19identity_decomposerEEE10hipError_tT1_T2_T3_T4_jRjT5_jjP12ihipStream_tbEUlT_E_NS1_11comp_targetILNS1_3genE8ELNS1_11target_archE1030ELNS1_3gpuE2ELNS1_3repE0EEENS1_44radix_sort_block_sort_config_static_selectorELNS0_4arch9wavefront6targetE1EEEvSJ_,"axG",@progbits,_ZN7rocprim17ROCPRIM_400000_NS6detail17trampoline_kernelINS0_13kernel_configILj256ELj4ELj4294967295EEENS1_37radix_sort_block_sort_config_selectorIiNS0_10empty_typeEEEZNS1_21radix_sort_block_sortIS4_Lb0EN6thrust23THRUST_200600_302600_NS6detail15normal_iteratorINSA_10device_ptrIiEEEESF_PS6_SG_NS0_19identity_decomposerEEE10hipError_tT1_T2_T3_T4_jRjT5_jjP12ihipStream_tbEUlT_E_NS1_11comp_targetILNS1_3genE8ELNS1_11target_archE1030ELNS1_3gpuE2ELNS1_3repE0EEENS1_44radix_sort_block_sort_config_static_selectorELNS0_4arch9wavefront6targetE1EEEvSJ_,comdat
	.protected	_ZN7rocprim17ROCPRIM_400000_NS6detail17trampoline_kernelINS0_13kernel_configILj256ELj4ELj4294967295EEENS1_37radix_sort_block_sort_config_selectorIiNS0_10empty_typeEEEZNS1_21radix_sort_block_sortIS4_Lb0EN6thrust23THRUST_200600_302600_NS6detail15normal_iteratorINSA_10device_ptrIiEEEESF_PS6_SG_NS0_19identity_decomposerEEE10hipError_tT1_T2_T3_T4_jRjT5_jjP12ihipStream_tbEUlT_E_NS1_11comp_targetILNS1_3genE8ELNS1_11target_archE1030ELNS1_3gpuE2ELNS1_3repE0EEENS1_44radix_sort_block_sort_config_static_selectorELNS0_4arch9wavefront6targetE1EEEvSJ_ ; -- Begin function _ZN7rocprim17ROCPRIM_400000_NS6detail17trampoline_kernelINS0_13kernel_configILj256ELj4ELj4294967295EEENS1_37radix_sort_block_sort_config_selectorIiNS0_10empty_typeEEEZNS1_21radix_sort_block_sortIS4_Lb0EN6thrust23THRUST_200600_302600_NS6detail15normal_iteratorINSA_10device_ptrIiEEEESF_PS6_SG_NS0_19identity_decomposerEEE10hipError_tT1_T2_T3_T4_jRjT5_jjP12ihipStream_tbEUlT_E_NS1_11comp_targetILNS1_3genE8ELNS1_11target_archE1030ELNS1_3gpuE2ELNS1_3repE0EEENS1_44radix_sort_block_sort_config_static_selectorELNS0_4arch9wavefront6targetE1EEEvSJ_
	.globl	_ZN7rocprim17ROCPRIM_400000_NS6detail17trampoline_kernelINS0_13kernel_configILj256ELj4ELj4294967295EEENS1_37radix_sort_block_sort_config_selectorIiNS0_10empty_typeEEEZNS1_21radix_sort_block_sortIS4_Lb0EN6thrust23THRUST_200600_302600_NS6detail15normal_iteratorINSA_10device_ptrIiEEEESF_PS6_SG_NS0_19identity_decomposerEEE10hipError_tT1_T2_T3_T4_jRjT5_jjP12ihipStream_tbEUlT_E_NS1_11comp_targetILNS1_3genE8ELNS1_11target_archE1030ELNS1_3gpuE2ELNS1_3repE0EEENS1_44radix_sort_block_sort_config_static_selectorELNS0_4arch9wavefront6targetE1EEEvSJ_
	.p2align	8
	.type	_ZN7rocprim17ROCPRIM_400000_NS6detail17trampoline_kernelINS0_13kernel_configILj256ELj4ELj4294967295EEENS1_37radix_sort_block_sort_config_selectorIiNS0_10empty_typeEEEZNS1_21radix_sort_block_sortIS4_Lb0EN6thrust23THRUST_200600_302600_NS6detail15normal_iteratorINSA_10device_ptrIiEEEESF_PS6_SG_NS0_19identity_decomposerEEE10hipError_tT1_T2_T3_T4_jRjT5_jjP12ihipStream_tbEUlT_E_NS1_11comp_targetILNS1_3genE8ELNS1_11target_archE1030ELNS1_3gpuE2ELNS1_3repE0EEENS1_44radix_sort_block_sort_config_static_selectorELNS0_4arch9wavefront6targetE1EEEvSJ_,@function
_ZN7rocprim17ROCPRIM_400000_NS6detail17trampoline_kernelINS0_13kernel_configILj256ELj4ELj4294967295EEENS1_37radix_sort_block_sort_config_selectorIiNS0_10empty_typeEEEZNS1_21radix_sort_block_sortIS4_Lb0EN6thrust23THRUST_200600_302600_NS6detail15normal_iteratorINSA_10device_ptrIiEEEESF_PS6_SG_NS0_19identity_decomposerEEE10hipError_tT1_T2_T3_T4_jRjT5_jjP12ihipStream_tbEUlT_E_NS1_11comp_targetILNS1_3genE8ELNS1_11target_archE1030ELNS1_3gpuE2ELNS1_3repE0EEENS1_44radix_sort_block_sort_config_static_selectorELNS0_4arch9wavefront6targetE1EEEvSJ_: ; @_ZN7rocprim17ROCPRIM_400000_NS6detail17trampoline_kernelINS0_13kernel_configILj256ELj4ELj4294967295EEENS1_37radix_sort_block_sort_config_selectorIiNS0_10empty_typeEEEZNS1_21radix_sort_block_sortIS4_Lb0EN6thrust23THRUST_200600_302600_NS6detail15normal_iteratorINSA_10device_ptrIiEEEESF_PS6_SG_NS0_19identity_decomposerEEE10hipError_tT1_T2_T3_T4_jRjT5_jjP12ihipStream_tbEUlT_E_NS1_11comp_targetILNS1_3genE8ELNS1_11target_archE1030ELNS1_3gpuE2ELNS1_3repE0EEENS1_44radix_sort_block_sort_config_static_selectorELNS0_4arch9wavefront6targetE1EEEvSJ_
; %bb.0:
	.section	.rodata,"a",@progbits
	.p2align	6, 0x0
	.amdhsa_kernel _ZN7rocprim17ROCPRIM_400000_NS6detail17trampoline_kernelINS0_13kernel_configILj256ELj4ELj4294967295EEENS1_37radix_sort_block_sort_config_selectorIiNS0_10empty_typeEEEZNS1_21radix_sort_block_sortIS4_Lb0EN6thrust23THRUST_200600_302600_NS6detail15normal_iteratorINSA_10device_ptrIiEEEESF_PS6_SG_NS0_19identity_decomposerEEE10hipError_tT1_T2_T3_T4_jRjT5_jjP12ihipStream_tbEUlT_E_NS1_11comp_targetILNS1_3genE8ELNS1_11target_archE1030ELNS1_3gpuE2ELNS1_3repE0EEENS1_44radix_sort_block_sort_config_static_selectorELNS0_4arch9wavefront6targetE1EEEvSJ_
		.amdhsa_group_segment_fixed_size 0
		.amdhsa_private_segment_fixed_size 0
		.amdhsa_kernarg_size 48
		.amdhsa_user_sgpr_count 2
		.amdhsa_user_sgpr_dispatch_ptr 0
		.amdhsa_user_sgpr_queue_ptr 0
		.amdhsa_user_sgpr_kernarg_segment_ptr 1
		.amdhsa_user_sgpr_dispatch_id 0
		.amdhsa_user_sgpr_kernarg_preload_length 0
		.amdhsa_user_sgpr_kernarg_preload_offset 0
		.amdhsa_user_sgpr_private_segment_size 0
		.amdhsa_uses_dynamic_stack 0
		.amdhsa_enable_private_segment 0
		.amdhsa_system_sgpr_workgroup_id_x 1
		.amdhsa_system_sgpr_workgroup_id_y 0
		.amdhsa_system_sgpr_workgroup_id_z 0
		.amdhsa_system_sgpr_workgroup_info 0
		.amdhsa_system_vgpr_workitem_id 0
		.amdhsa_next_free_vgpr 1
		.amdhsa_next_free_sgpr 0
		.amdhsa_accum_offset 4
		.amdhsa_reserve_vcc 0
		.amdhsa_float_round_mode_32 0
		.amdhsa_float_round_mode_16_64 0
		.amdhsa_float_denorm_mode_32 3
		.amdhsa_float_denorm_mode_16_64 3
		.amdhsa_dx10_clamp 1
		.amdhsa_ieee_mode 1
		.amdhsa_fp16_overflow 0
		.amdhsa_tg_split 0
		.amdhsa_exception_fp_ieee_invalid_op 0
		.amdhsa_exception_fp_denorm_src 0
		.amdhsa_exception_fp_ieee_div_zero 0
		.amdhsa_exception_fp_ieee_overflow 0
		.amdhsa_exception_fp_ieee_underflow 0
		.amdhsa_exception_fp_ieee_inexact 0
		.amdhsa_exception_int_div_zero 0
	.end_amdhsa_kernel
	.section	.text._ZN7rocprim17ROCPRIM_400000_NS6detail17trampoline_kernelINS0_13kernel_configILj256ELj4ELj4294967295EEENS1_37radix_sort_block_sort_config_selectorIiNS0_10empty_typeEEEZNS1_21radix_sort_block_sortIS4_Lb0EN6thrust23THRUST_200600_302600_NS6detail15normal_iteratorINSA_10device_ptrIiEEEESF_PS6_SG_NS0_19identity_decomposerEEE10hipError_tT1_T2_T3_T4_jRjT5_jjP12ihipStream_tbEUlT_E_NS1_11comp_targetILNS1_3genE8ELNS1_11target_archE1030ELNS1_3gpuE2ELNS1_3repE0EEENS1_44radix_sort_block_sort_config_static_selectorELNS0_4arch9wavefront6targetE1EEEvSJ_,"axG",@progbits,_ZN7rocprim17ROCPRIM_400000_NS6detail17trampoline_kernelINS0_13kernel_configILj256ELj4ELj4294967295EEENS1_37radix_sort_block_sort_config_selectorIiNS0_10empty_typeEEEZNS1_21radix_sort_block_sortIS4_Lb0EN6thrust23THRUST_200600_302600_NS6detail15normal_iteratorINSA_10device_ptrIiEEEESF_PS6_SG_NS0_19identity_decomposerEEE10hipError_tT1_T2_T3_T4_jRjT5_jjP12ihipStream_tbEUlT_E_NS1_11comp_targetILNS1_3genE8ELNS1_11target_archE1030ELNS1_3gpuE2ELNS1_3repE0EEENS1_44radix_sort_block_sort_config_static_selectorELNS0_4arch9wavefront6targetE1EEEvSJ_,comdat
.Lfunc_end1604:
	.size	_ZN7rocprim17ROCPRIM_400000_NS6detail17trampoline_kernelINS0_13kernel_configILj256ELj4ELj4294967295EEENS1_37radix_sort_block_sort_config_selectorIiNS0_10empty_typeEEEZNS1_21radix_sort_block_sortIS4_Lb0EN6thrust23THRUST_200600_302600_NS6detail15normal_iteratorINSA_10device_ptrIiEEEESF_PS6_SG_NS0_19identity_decomposerEEE10hipError_tT1_T2_T3_T4_jRjT5_jjP12ihipStream_tbEUlT_E_NS1_11comp_targetILNS1_3genE8ELNS1_11target_archE1030ELNS1_3gpuE2ELNS1_3repE0EEENS1_44radix_sort_block_sort_config_static_selectorELNS0_4arch9wavefront6targetE1EEEvSJ_, .Lfunc_end1604-_ZN7rocprim17ROCPRIM_400000_NS6detail17trampoline_kernelINS0_13kernel_configILj256ELj4ELj4294967295EEENS1_37radix_sort_block_sort_config_selectorIiNS0_10empty_typeEEEZNS1_21radix_sort_block_sortIS4_Lb0EN6thrust23THRUST_200600_302600_NS6detail15normal_iteratorINSA_10device_ptrIiEEEESF_PS6_SG_NS0_19identity_decomposerEEE10hipError_tT1_T2_T3_T4_jRjT5_jjP12ihipStream_tbEUlT_E_NS1_11comp_targetILNS1_3genE8ELNS1_11target_archE1030ELNS1_3gpuE2ELNS1_3repE0EEENS1_44radix_sort_block_sort_config_static_selectorELNS0_4arch9wavefront6targetE1EEEvSJ_
                                        ; -- End function
	.section	.AMDGPU.csdata,"",@progbits
; Kernel info:
; codeLenInByte = 0
; NumSgprs: 6
; NumVgprs: 0
; NumAgprs: 0
; TotalNumVgprs: 0
; ScratchSize: 0
; MemoryBound: 0
; FloatMode: 240
; IeeeMode: 1
; LDSByteSize: 0 bytes/workgroup (compile time only)
; SGPRBlocks: 0
; VGPRBlocks: 0
; NumSGPRsForWavesPerEU: 6
; NumVGPRsForWavesPerEU: 1
; AccumOffset: 4
; Occupancy: 8
; WaveLimiterHint : 0
; COMPUTE_PGM_RSRC2:SCRATCH_EN: 0
; COMPUTE_PGM_RSRC2:USER_SGPR: 2
; COMPUTE_PGM_RSRC2:TRAP_HANDLER: 0
; COMPUTE_PGM_RSRC2:TGID_X_EN: 1
; COMPUTE_PGM_RSRC2:TGID_Y_EN: 0
; COMPUTE_PGM_RSRC2:TGID_Z_EN: 0
; COMPUTE_PGM_RSRC2:TIDIG_COMP_CNT: 0
; COMPUTE_PGM_RSRC3_GFX90A:ACCUM_OFFSET: 0
; COMPUTE_PGM_RSRC3_GFX90A:TG_SPLIT: 0
	.section	.text._ZN7rocprim17ROCPRIM_400000_NS6detail44device_merge_sort_compile_time_verifier_archINS1_11comp_targetILNS1_3genE0ELNS1_11target_archE4294967295ELNS1_3gpuE0ELNS1_3repE0EEES8_NS1_28merge_sort_block_sort_configILj256ELj4ELNS0_20block_sort_algorithmE0EEENS0_14default_configENS1_37merge_sort_block_sort_config_selectorIiNS0_10empty_typeEEENS1_38merge_sort_block_merge_config_selectorIiSE_EEEEvv,"axG",@progbits,_ZN7rocprim17ROCPRIM_400000_NS6detail44device_merge_sort_compile_time_verifier_archINS1_11comp_targetILNS1_3genE0ELNS1_11target_archE4294967295ELNS1_3gpuE0ELNS1_3repE0EEES8_NS1_28merge_sort_block_sort_configILj256ELj4ELNS0_20block_sort_algorithmE0EEENS0_14default_configENS1_37merge_sort_block_sort_config_selectorIiNS0_10empty_typeEEENS1_38merge_sort_block_merge_config_selectorIiSE_EEEEvv,comdat
	.protected	_ZN7rocprim17ROCPRIM_400000_NS6detail44device_merge_sort_compile_time_verifier_archINS1_11comp_targetILNS1_3genE0ELNS1_11target_archE4294967295ELNS1_3gpuE0ELNS1_3repE0EEES8_NS1_28merge_sort_block_sort_configILj256ELj4ELNS0_20block_sort_algorithmE0EEENS0_14default_configENS1_37merge_sort_block_sort_config_selectorIiNS0_10empty_typeEEENS1_38merge_sort_block_merge_config_selectorIiSE_EEEEvv ; -- Begin function _ZN7rocprim17ROCPRIM_400000_NS6detail44device_merge_sort_compile_time_verifier_archINS1_11comp_targetILNS1_3genE0ELNS1_11target_archE4294967295ELNS1_3gpuE0ELNS1_3repE0EEES8_NS1_28merge_sort_block_sort_configILj256ELj4ELNS0_20block_sort_algorithmE0EEENS0_14default_configENS1_37merge_sort_block_sort_config_selectorIiNS0_10empty_typeEEENS1_38merge_sort_block_merge_config_selectorIiSE_EEEEvv
	.globl	_ZN7rocprim17ROCPRIM_400000_NS6detail44device_merge_sort_compile_time_verifier_archINS1_11comp_targetILNS1_3genE0ELNS1_11target_archE4294967295ELNS1_3gpuE0ELNS1_3repE0EEES8_NS1_28merge_sort_block_sort_configILj256ELj4ELNS0_20block_sort_algorithmE0EEENS0_14default_configENS1_37merge_sort_block_sort_config_selectorIiNS0_10empty_typeEEENS1_38merge_sort_block_merge_config_selectorIiSE_EEEEvv
	.p2align	8
	.type	_ZN7rocprim17ROCPRIM_400000_NS6detail44device_merge_sort_compile_time_verifier_archINS1_11comp_targetILNS1_3genE0ELNS1_11target_archE4294967295ELNS1_3gpuE0ELNS1_3repE0EEES8_NS1_28merge_sort_block_sort_configILj256ELj4ELNS0_20block_sort_algorithmE0EEENS0_14default_configENS1_37merge_sort_block_sort_config_selectorIiNS0_10empty_typeEEENS1_38merge_sort_block_merge_config_selectorIiSE_EEEEvv,@function
_ZN7rocprim17ROCPRIM_400000_NS6detail44device_merge_sort_compile_time_verifier_archINS1_11comp_targetILNS1_3genE0ELNS1_11target_archE4294967295ELNS1_3gpuE0ELNS1_3repE0EEES8_NS1_28merge_sort_block_sort_configILj256ELj4ELNS0_20block_sort_algorithmE0EEENS0_14default_configENS1_37merge_sort_block_sort_config_selectorIiNS0_10empty_typeEEENS1_38merge_sort_block_merge_config_selectorIiSE_EEEEvv: ; @_ZN7rocprim17ROCPRIM_400000_NS6detail44device_merge_sort_compile_time_verifier_archINS1_11comp_targetILNS1_3genE0ELNS1_11target_archE4294967295ELNS1_3gpuE0ELNS1_3repE0EEES8_NS1_28merge_sort_block_sort_configILj256ELj4ELNS0_20block_sort_algorithmE0EEENS0_14default_configENS1_37merge_sort_block_sort_config_selectorIiNS0_10empty_typeEEENS1_38merge_sort_block_merge_config_selectorIiSE_EEEEvv
; %bb.0:
	s_endpgm
	.section	.rodata,"a",@progbits
	.p2align	6, 0x0
	.amdhsa_kernel _ZN7rocprim17ROCPRIM_400000_NS6detail44device_merge_sort_compile_time_verifier_archINS1_11comp_targetILNS1_3genE0ELNS1_11target_archE4294967295ELNS1_3gpuE0ELNS1_3repE0EEES8_NS1_28merge_sort_block_sort_configILj256ELj4ELNS0_20block_sort_algorithmE0EEENS0_14default_configENS1_37merge_sort_block_sort_config_selectorIiNS0_10empty_typeEEENS1_38merge_sort_block_merge_config_selectorIiSE_EEEEvv
		.amdhsa_group_segment_fixed_size 0
		.amdhsa_private_segment_fixed_size 0
		.amdhsa_kernarg_size 0
		.amdhsa_user_sgpr_count 0
		.amdhsa_user_sgpr_dispatch_ptr 0
		.amdhsa_user_sgpr_queue_ptr 0
		.amdhsa_user_sgpr_kernarg_segment_ptr 0
		.amdhsa_user_sgpr_dispatch_id 0
		.amdhsa_user_sgpr_kernarg_preload_length 0
		.amdhsa_user_sgpr_kernarg_preload_offset 0
		.amdhsa_user_sgpr_private_segment_size 0
		.amdhsa_uses_dynamic_stack 0
		.amdhsa_enable_private_segment 0
		.amdhsa_system_sgpr_workgroup_id_x 1
		.amdhsa_system_sgpr_workgroup_id_y 0
		.amdhsa_system_sgpr_workgroup_id_z 0
		.amdhsa_system_sgpr_workgroup_info 0
		.amdhsa_system_vgpr_workitem_id 0
		.amdhsa_next_free_vgpr 1
		.amdhsa_next_free_sgpr 0
		.amdhsa_accum_offset 4
		.amdhsa_reserve_vcc 0
		.amdhsa_float_round_mode_32 0
		.amdhsa_float_round_mode_16_64 0
		.amdhsa_float_denorm_mode_32 3
		.amdhsa_float_denorm_mode_16_64 3
		.amdhsa_dx10_clamp 1
		.amdhsa_ieee_mode 1
		.amdhsa_fp16_overflow 0
		.amdhsa_tg_split 0
		.amdhsa_exception_fp_ieee_invalid_op 0
		.amdhsa_exception_fp_denorm_src 0
		.amdhsa_exception_fp_ieee_div_zero 0
		.amdhsa_exception_fp_ieee_overflow 0
		.amdhsa_exception_fp_ieee_underflow 0
		.amdhsa_exception_fp_ieee_inexact 0
		.amdhsa_exception_int_div_zero 0
	.end_amdhsa_kernel
	.section	.text._ZN7rocprim17ROCPRIM_400000_NS6detail44device_merge_sort_compile_time_verifier_archINS1_11comp_targetILNS1_3genE0ELNS1_11target_archE4294967295ELNS1_3gpuE0ELNS1_3repE0EEES8_NS1_28merge_sort_block_sort_configILj256ELj4ELNS0_20block_sort_algorithmE0EEENS0_14default_configENS1_37merge_sort_block_sort_config_selectorIiNS0_10empty_typeEEENS1_38merge_sort_block_merge_config_selectorIiSE_EEEEvv,"axG",@progbits,_ZN7rocprim17ROCPRIM_400000_NS6detail44device_merge_sort_compile_time_verifier_archINS1_11comp_targetILNS1_3genE0ELNS1_11target_archE4294967295ELNS1_3gpuE0ELNS1_3repE0EEES8_NS1_28merge_sort_block_sort_configILj256ELj4ELNS0_20block_sort_algorithmE0EEENS0_14default_configENS1_37merge_sort_block_sort_config_selectorIiNS0_10empty_typeEEENS1_38merge_sort_block_merge_config_selectorIiSE_EEEEvv,comdat
.Lfunc_end1605:
	.size	_ZN7rocprim17ROCPRIM_400000_NS6detail44device_merge_sort_compile_time_verifier_archINS1_11comp_targetILNS1_3genE0ELNS1_11target_archE4294967295ELNS1_3gpuE0ELNS1_3repE0EEES8_NS1_28merge_sort_block_sort_configILj256ELj4ELNS0_20block_sort_algorithmE0EEENS0_14default_configENS1_37merge_sort_block_sort_config_selectorIiNS0_10empty_typeEEENS1_38merge_sort_block_merge_config_selectorIiSE_EEEEvv, .Lfunc_end1605-_ZN7rocprim17ROCPRIM_400000_NS6detail44device_merge_sort_compile_time_verifier_archINS1_11comp_targetILNS1_3genE0ELNS1_11target_archE4294967295ELNS1_3gpuE0ELNS1_3repE0EEES8_NS1_28merge_sort_block_sort_configILj256ELj4ELNS0_20block_sort_algorithmE0EEENS0_14default_configENS1_37merge_sort_block_sort_config_selectorIiNS0_10empty_typeEEENS1_38merge_sort_block_merge_config_selectorIiSE_EEEEvv
                                        ; -- End function
	.section	.AMDGPU.csdata,"",@progbits
; Kernel info:
; codeLenInByte = 4
; NumSgprs: 6
; NumVgprs: 0
; NumAgprs: 0
; TotalNumVgprs: 0
; ScratchSize: 0
; MemoryBound: 0
; FloatMode: 240
; IeeeMode: 1
; LDSByteSize: 0 bytes/workgroup (compile time only)
; SGPRBlocks: 0
; VGPRBlocks: 0
; NumSGPRsForWavesPerEU: 6
; NumVGPRsForWavesPerEU: 1
; AccumOffset: 4
; Occupancy: 8
; WaveLimiterHint : 0
; COMPUTE_PGM_RSRC2:SCRATCH_EN: 0
; COMPUTE_PGM_RSRC2:USER_SGPR: 0
; COMPUTE_PGM_RSRC2:TRAP_HANDLER: 0
; COMPUTE_PGM_RSRC2:TGID_X_EN: 1
; COMPUTE_PGM_RSRC2:TGID_Y_EN: 0
; COMPUTE_PGM_RSRC2:TGID_Z_EN: 0
; COMPUTE_PGM_RSRC2:TIDIG_COMP_CNT: 0
; COMPUTE_PGM_RSRC3_GFX90A:ACCUM_OFFSET: 0
; COMPUTE_PGM_RSRC3_GFX90A:TG_SPLIT: 0
	.section	.text._ZN7rocprim17ROCPRIM_400000_NS6detail44device_merge_sort_compile_time_verifier_archINS1_11comp_targetILNS1_3genE5ELNS1_11target_archE942ELNS1_3gpuE9ELNS1_3repE0EEES8_NS1_28merge_sort_block_sort_configILj256ELj4ELNS0_20block_sort_algorithmE0EEENS0_14default_configENS1_37merge_sort_block_sort_config_selectorIiNS0_10empty_typeEEENS1_38merge_sort_block_merge_config_selectorIiSE_EEEEvv,"axG",@progbits,_ZN7rocprim17ROCPRIM_400000_NS6detail44device_merge_sort_compile_time_verifier_archINS1_11comp_targetILNS1_3genE5ELNS1_11target_archE942ELNS1_3gpuE9ELNS1_3repE0EEES8_NS1_28merge_sort_block_sort_configILj256ELj4ELNS0_20block_sort_algorithmE0EEENS0_14default_configENS1_37merge_sort_block_sort_config_selectorIiNS0_10empty_typeEEENS1_38merge_sort_block_merge_config_selectorIiSE_EEEEvv,comdat
	.protected	_ZN7rocprim17ROCPRIM_400000_NS6detail44device_merge_sort_compile_time_verifier_archINS1_11comp_targetILNS1_3genE5ELNS1_11target_archE942ELNS1_3gpuE9ELNS1_3repE0EEES8_NS1_28merge_sort_block_sort_configILj256ELj4ELNS0_20block_sort_algorithmE0EEENS0_14default_configENS1_37merge_sort_block_sort_config_selectorIiNS0_10empty_typeEEENS1_38merge_sort_block_merge_config_selectorIiSE_EEEEvv ; -- Begin function _ZN7rocprim17ROCPRIM_400000_NS6detail44device_merge_sort_compile_time_verifier_archINS1_11comp_targetILNS1_3genE5ELNS1_11target_archE942ELNS1_3gpuE9ELNS1_3repE0EEES8_NS1_28merge_sort_block_sort_configILj256ELj4ELNS0_20block_sort_algorithmE0EEENS0_14default_configENS1_37merge_sort_block_sort_config_selectorIiNS0_10empty_typeEEENS1_38merge_sort_block_merge_config_selectorIiSE_EEEEvv
	.globl	_ZN7rocprim17ROCPRIM_400000_NS6detail44device_merge_sort_compile_time_verifier_archINS1_11comp_targetILNS1_3genE5ELNS1_11target_archE942ELNS1_3gpuE9ELNS1_3repE0EEES8_NS1_28merge_sort_block_sort_configILj256ELj4ELNS0_20block_sort_algorithmE0EEENS0_14default_configENS1_37merge_sort_block_sort_config_selectorIiNS0_10empty_typeEEENS1_38merge_sort_block_merge_config_selectorIiSE_EEEEvv
	.p2align	8
	.type	_ZN7rocprim17ROCPRIM_400000_NS6detail44device_merge_sort_compile_time_verifier_archINS1_11comp_targetILNS1_3genE5ELNS1_11target_archE942ELNS1_3gpuE9ELNS1_3repE0EEES8_NS1_28merge_sort_block_sort_configILj256ELj4ELNS0_20block_sort_algorithmE0EEENS0_14default_configENS1_37merge_sort_block_sort_config_selectorIiNS0_10empty_typeEEENS1_38merge_sort_block_merge_config_selectorIiSE_EEEEvv,@function
_ZN7rocprim17ROCPRIM_400000_NS6detail44device_merge_sort_compile_time_verifier_archINS1_11comp_targetILNS1_3genE5ELNS1_11target_archE942ELNS1_3gpuE9ELNS1_3repE0EEES8_NS1_28merge_sort_block_sort_configILj256ELj4ELNS0_20block_sort_algorithmE0EEENS0_14default_configENS1_37merge_sort_block_sort_config_selectorIiNS0_10empty_typeEEENS1_38merge_sort_block_merge_config_selectorIiSE_EEEEvv: ; @_ZN7rocprim17ROCPRIM_400000_NS6detail44device_merge_sort_compile_time_verifier_archINS1_11comp_targetILNS1_3genE5ELNS1_11target_archE942ELNS1_3gpuE9ELNS1_3repE0EEES8_NS1_28merge_sort_block_sort_configILj256ELj4ELNS0_20block_sort_algorithmE0EEENS0_14default_configENS1_37merge_sort_block_sort_config_selectorIiNS0_10empty_typeEEENS1_38merge_sort_block_merge_config_selectorIiSE_EEEEvv
; %bb.0:
	s_endpgm
	.section	.rodata,"a",@progbits
	.p2align	6, 0x0
	.amdhsa_kernel _ZN7rocprim17ROCPRIM_400000_NS6detail44device_merge_sort_compile_time_verifier_archINS1_11comp_targetILNS1_3genE5ELNS1_11target_archE942ELNS1_3gpuE9ELNS1_3repE0EEES8_NS1_28merge_sort_block_sort_configILj256ELj4ELNS0_20block_sort_algorithmE0EEENS0_14default_configENS1_37merge_sort_block_sort_config_selectorIiNS0_10empty_typeEEENS1_38merge_sort_block_merge_config_selectorIiSE_EEEEvv
		.amdhsa_group_segment_fixed_size 0
		.amdhsa_private_segment_fixed_size 0
		.amdhsa_kernarg_size 0
		.amdhsa_user_sgpr_count 0
		.amdhsa_user_sgpr_dispatch_ptr 0
		.amdhsa_user_sgpr_queue_ptr 0
		.amdhsa_user_sgpr_kernarg_segment_ptr 0
		.amdhsa_user_sgpr_dispatch_id 0
		.amdhsa_user_sgpr_kernarg_preload_length 0
		.amdhsa_user_sgpr_kernarg_preload_offset 0
		.amdhsa_user_sgpr_private_segment_size 0
		.amdhsa_uses_dynamic_stack 0
		.amdhsa_enable_private_segment 0
		.amdhsa_system_sgpr_workgroup_id_x 1
		.amdhsa_system_sgpr_workgroup_id_y 0
		.amdhsa_system_sgpr_workgroup_id_z 0
		.amdhsa_system_sgpr_workgroup_info 0
		.amdhsa_system_vgpr_workitem_id 0
		.amdhsa_next_free_vgpr 1
		.amdhsa_next_free_sgpr 0
		.amdhsa_accum_offset 4
		.amdhsa_reserve_vcc 0
		.amdhsa_float_round_mode_32 0
		.amdhsa_float_round_mode_16_64 0
		.amdhsa_float_denorm_mode_32 3
		.amdhsa_float_denorm_mode_16_64 3
		.amdhsa_dx10_clamp 1
		.amdhsa_ieee_mode 1
		.amdhsa_fp16_overflow 0
		.amdhsa_tg_split 0
		.amdhsa_exception_fp_ieee_invalid_op 0
		.amdhsa_exception_fp_denorm_src 0
		.amdhsa_exception_fp_ieee_div_zero 0
		.amdhsa_exception_fp_ieee_overflow 0
		.amdhsa_exception_fp_ieee_underflow 0
		.amdhsa_exception_fp_ieee_inexact 0
		.amdhsa_exception_int_div_zero 0
	.end_amdhsa_kernel
	.section	.text._ZN7rocprim17ROCPRIM_400000_NS6detail44device_merge_sort_compile_time_verifier_archINS1_11comp_targetILNS1_3genE5ELNS1_11target_archE942ELNS1_3gpuE9ELNS1_3repE0EEES8_NS1_28merge_sort_block_sort_configILj256ELj4ELNS0_20block_sort_algorithmE0EEENS0_14default_configENS1_37merge_sort_block_sort_config_selectorIiNS0_10empty_typeEEENS1_38merge_sort_block_merge_config_selectorIiSE_EEEEvv,"axG",@progbits,_ZN7rocprim17ROCPRIM_400000_NS6detail44device_merge_sort_compile_time_verifier_archINS1_11comp_targetILNS1_3genE5ELNS1_11target_archE942ELNS1_3gpuE9ELNS1_3repE0EEES8_NS1_28merge_sort_block_sort_configILj256ELj4ELNS0_20block_sort_algorithmE0EEENS0_14default_configENS1_37merge_sort_block_sort_config_selectorIiNS0_10empty_typeEEENS1_38merge_sort_block_merge_config_selectorIiSE_EEEEvv,comdat
.Lfunc_end1606:
	.size	_ZN7rocprim17ROCPRIM_400000_NS6detail44device_merge_sort_compile_time_verifier_archINS1_11comp_targetILNS1_3genE5ELNS1_11target_archE942ELNS1_3gpuE9ELNS1_3repE0EEES8_NS1_28merge_sort_block_sort_configILj256ELj4ELNS0_20block_sort_algorithmE0EEENS0_14default_configENS1_37merge_sort_block_sort_config_selectorIiNS0_10empty_typeEEENS1_38merge_sort_block_merge_config_selectorIiSE_EEEEvv, .Lfunc_end1606-_ZN7rocprim17ROCPRIM_400000_NS6detail44device_merge_sort_compile_time_verifier_archINS1_11comp_targetILNS1_3genE5ELNS1_11target_archE942ELNS1_3gpuE9ELNS1_3repE0EEES8_NS1_28merge_sort_block_sort_configILj256ELj4ELNS0_20block_sort_algorithmE0EEENS0_14default_configENS1_37merge_sort_block_sort_config_selectorIiNS0_10empty_typeEEENS1_38merge_sort_block_merge_config_selectorIiSE_EEEEvv
                                        ; -- End function
	.section	.AMDGPU.csdata,"",@progbits
; Kernel info:
; codeLenInByte = 4
; NumSgprs: 6
; NumVgprs: 0
; NumAgprs: 0
; TotalNumVgprs: 0
; ScratchSize: 0
; MemoryBound: 0
; FloatMode: 240
; IeeeMode: 1
; LDSByteSize: 0 bytes/workgroup (compile time only)
; SGPRBlocks: 0
; VGPRBlocks: 0
; NumSGPRsForWavesPerEU: 6
; NumVGPRsForWavesPerEU: 1
; AccumOffset: 4
; Occupancy: 8
; WaveLimiterHint : 0
; COMPUTE_PGM_RSRC2:SCRATCH_EN: 0
; COMPUTE_PGM_RSRC2:USER_SGPR: 0
; COMPUTE_PGM_RSRC2:TRAP_HANDLER: 0
; COMPUTE_PGM_RSRC2:TGID_X_EN: 1
; COMPUTE_PGM_RSRC2:TGID_Y_EN: 0
; COMPUTE_PGM_RSRC2:TGID_Z_EN: 0
; COMPUTE_PGM_RSRC2:TIDIG_COMP_CNT: 0
; COMPUTE_PGM_RSRC3_GFX90A:ACCUM_OFFSET: 0
; COMPUTE_PGM_RSRC3_GFX90A:TG_SPLIT: 0
	.section	.text._ZN7rocprim17ROCPRIM_400000_NS6detail44device_merge_sort_compile_time_verifier_archINS1_11comp_targetILNS1_3genE4ELNS1_11target_archE910ELNS1_3gpuE8ELNS1_3repE0EEES8_NS1_28merge_sort_block_sort_configILj256ELj4ELNS0_20block_sort_algorithmE0EEENS0_14default_configENS1_37merge_sort_block_sort_config_selectorIiNS0_10empty_typeEEENS1_38merge_sort_block_merge_config_selectorIiSE_EEEEvv,"axG",@progbits,_ZN7rocprim17ROCPRIM_400000_NS6detail44device_merge_sort_compile_time_verifier_archINS1_11comp_targetILNS1_3genE4ELNS1_11target_archE910ELNS1_3gpuE8ELNS1_3repE0EEES8_NS1_28merge_sort_block_sort_configILj256ELj4ELNS0_20block_sort_algorithmE0EEENS0_14default_configENS1_37merge_sort_block_sort_config_selectorIiNS0_10empty_typeEEENS1_38merge_sort_block_merge_config_selectorIiSE_EEEEvv,comdat
	.protected	_ZN7rocprim17ROCPRIM_400000_NS6detail44device_merge_sort_compile_time_verifier_archINS1_11comp_targetILNS1_3genE4ELNS1_11target_archE910ELNS1_3gpuE8ELNS1_3repE0EEES8_NS1_28merge_sort_block_sort_configILj256ELj4ELNS0_20block_sort_algorithmE0EEENS0_14default_configENS1_37merge_sort_block_sort_config_selectorIiNS0_10empty_typeEEENS1_38merge_sort_block_merge_config_selectorIiSE_EEEEvv ; -- Begin function _ZN7rocprim17ROCPRIM_400000_NS6detail44device_merge_sort_compile_time_verifier_archINS1_11comp_targetILNS1_3genE4ELNS1_11target_archE910ELNS1_3gpuE8ELNS1_3repE0EEES8_NS1_28merge_sort_block_sort_configILj256ELj4ELNS0_20block_sort_algorithmE0EEENS0_14default_configENS1_37merge_sort_block_sort_config_selectorIiNS0_10empty_typeEEENS1_38merge_sort_block_merge_config_selectorIiSE_EEEEvv
	.globl	_ZN7rocprim17ROCPRIM_400000_NS6detail44device_merge_sort_compile_time_verifier_archINS1_11comp_targetILNS1_3genE4ELNS1_11target_archE910ELNS1_3gpuE8ELNS1_3repE0EEES8_NS1_28merge_sort_block_sort_configILj256ELj4ELNS0_20block_sort_algorithmE0EEENS0_14default_configENS1_37merge_sort_block_sort_config_selectorIiNS0_10empty_typeEEENS1_38merge_sort_block_merge_config_selectorIiSE_EEEEvv
	.p2align	8
	.type	_ZN7rocprim17ROCPRIM_400000_NS6detail44device_merge_sort_compile_time_verifier_archINS1_11comp_targetILNS1_3genE4ELNS1_11target_archE910ELNS1_3gpuE8ELNS1_3repE0EEES8_NS1_28merge_sort_block_sort_configILj256ELj4ELNS0_20block_sort_algorithmE0EEENS0_14default_configENS1_37merge_sort_block_sort_config_selectorIiNS0_10empty_typeEEENS1_38merge_sort_block_merge_config_selectorIiSE_EEEEvv,@function
_ZN7rocprim17ROCPRIM_400000_NS6detail44device_merge_sort_compile_time_verifier_archINS1_11comp_targetILNS1_3genE4ELNS1_11target_archE910ELNS1_3gpuE8ELNS1_3repE0EEES8_NS1_28merge_sort_block_sort_configILj256ELj4ELNS0_20block_sort_algorithmE0EEENS0_14default_configENS1_37merge_sort_block_sort_config_selectorIiNS0_10empty_typeEEENS1_38merge_sort_block_merge_config_selectorIiSE_EEEEvv: ; @_ZN7rocprim17ROCPRIM_400000_NS6detail44device_merge_sort_compile_time_verifier_archINS1_11comp_targetILNS1_3genE4ELNS1_11target_archE910ELNS1_3gpuE8ELNS1_3repE0EEES8_NS1_28merge_sort_block_sort_configILj256ELj4ELNS0_20block_sort_algorithmE0EEENS0_14default_configENS1_37merge_sort_block_sort_config_selectorIiNS0_10empty_typeEEENS1_38merge_sort_block_merge_config_selectorIiSE_EEEEvv
; %bb.0:
	s_endpgm
	.section	.rodata,"a",@progbits
	.p2align	6, 0x0
	.amdhsa_kernel _ZN7rocprim17ROCPRIM_400000_NS6detail44device_merge_sort_compile_time_verifier_archINS1_11comp_targetILNS1_3genE4ELNS1_11target_archE910ELNS1_3gpuE8ELNS1_3repE0EEES8_NS1_28merge_sort_block_sort_configILj256ELj4ELNS0_20block_sort_algorithmE0EEENS0_14default_configENS1_37merge_sort_block_sort_config_selectorIiNS0_10empty_typeEEENS1_38merge_sort_block_merge_config_selectorIiSE_EEEEvv
		.amdhsa_group_segment_fixed_size 0
		.amdhsa_private_segment_fixed_size 0
		.amdhsa_kernarg_size 0
		.amdhsa_user_sgpr_count 0
		.amdhsa_user_sgpr_dispatch_ptr 0
		.amdhsa_user_sgpr_queue_ptr 0
		.amdhsa_user_sgpr_kernarg_segment_ptr 0
		.amdhsa_user_sgpr_dispatch_id 0
		.amdhsa_user_sgpr_kernarg_preload_length 0
		.amdhsa_user_sgpr_kernarg_preload_offset 0
		.amdhsa_user_sgpr_private_segment_size 0
		.amdhsa_uses_dynamic_stack 0
		.amdhsa_enable_private_segment 0
		.amdhsa_system_sgpr_workgroup_id_x 1
		.amdhsa_system_sgpr_workgroup_id_y 0
		.amdhsa_system_sgpr_workgroup_id_z 0
		.amdhsa_system_sgpr_workgroup_info 0
		.amdhsa_system_vgpr_workitem_id 0
		.amdhsa_next_free_vgpr 1
		.amdhsa_next_free_sgpr 0
		.amdhsa_accum_offset 4
		.amdhsa_reserve_vcc 0
		.amdhsa_float_round_mode_32 0
		.amdhsa_float_round_mode_16_64 0
		.amdhsa_float_denorm_mode_32 3
		.amdhsa_float_denorm_mode_16_64 3
		.amdhsa_dx10_clamp 1
		.amdhsa_ieee_mode 1
		.amdhsa_fp16_overflow 0
		.amdhsa_tg_split 0
		.amdhsa_exception_fp_ieee_invalid_op 0
		.amdhsa_exception_fp_denorm_src 0
		.amdhsa_exception_fp_ieee_div_zero 0
		.amdhsa_exception_fp_ieee_overflow 0
		.amdhsa_exception_fp_ieee_underflow 0
		.amdhsa_exception_fp_ieee_inexact 0
		.amdhsa_exception_int_div_zero 0
	.end_amdhsa_kernel
	.section	.text._ZN7rocprim17ROCPRIM_400000_NS6detail44device_merge_sort_compile_time_verifier_archINS1_11comp_targetILNS1_3genE4ELNS1_11target_archE910ELNS1_3gpuE8ELNS1_3repE0EEES8_NS1_28merge_sort_block_sort_configILj256ELj4ELNS0_20block_sort_algorithmE0EEENS0_14default_configENS1_37merge_sort_block_sort_config_selectorIiNS0_10empty_typeEEENS1_38merge_sort_block_merge_config_selectorIiSE_EEEEvv,"axG",@progbits,_ZN7rocprim17ROCPRIM_400000_NS6detail44device_merge_sort_compile_time_verifier_archINS1_11comp_targetILNS1_3genE4ELNS1_11target_archE910ELNS1_3gpuE8ELNS1_3repE0EEES8_NS1_28merge_sort_block_sort_configILj256ELj4ELNS0_20block_sort_algorithmE0EEENS0_14default_configENS1_37merge_sort_block_sort_config_selectorIiNS0_10empty_typeEEENS1_38merge_sort_block_merge_config_selectorIiSE_EEEEvv,comdat
.Lfunc_end1607:
	.size	_ZN7rocprim17ROCPRIM_400000_NS6detail44device_merge_sort_compile_time_verifier_archINS1_11comp_targetILNS1_3genE4ELNS1_11target_archE910ELNS1_3gpuE8ELNS1_3repE0EEES8_NS1_28merge_sort_block_sort_configILj256ELj4ELNS0_20block_sort_algorithmE0EEENS0_14default_configENS1_37merge_sort_block_sort_config_selectorIiNS0_10empty_typeEEENS1_38merge_sort_block_merge_config_selectorIiSE_EEEEvv, .Lfunc_end1607-_ZN7rocprim17ROCPRIM_400000_NS6detail44device_merge_sort_compile_time_verifier_archINS1_11comp_targetILNS1_3genE4ELNS1_11target_archE910ELNS1_3gpuE8ELNS1_3repE0EEES8_NS1_28merge_sort_block_sort_configILj256ELj4ELNS0_20block_sort_algorithmE0EEENS0_14default_configENS1_37merge_sort_block_sort_config_selectorIiNS0_10empty_typeEEENS1_38merge_sort_block_merge_config_selectorIiSE_EEEEvv
                                        ; -- End function
	.section	.AMDGPU.csdata,"",@progbits
; Kernel info:
; codeLenInByte = 4
; NumSgprs: 6
; NumVgprs: 0
; NumAgprs: 0
; TotalNumVgprs: 0
; ScratchSize: 0
; MemoryBound: 0
; FloatMode: 240
; IeeeMode: 1
; LDSByteSize: 0 bytes/workgroup (compile time only)
; SGPRBlocks: 0
; VGPRBlocks: 0
; NumSGPRsForWavesPerEU: 6
; NumVGPRsForWavesPerEU: 1
; AccumOffset: 4
; Occupancy: 8
; WaveLimiterHint : 0
; COMPUTE_PGM_RSRC2:SCRATCH_EN: 0
; COMPUTE_PGM_RSRC2:USER_SGPR: 0
; COMPUTE_PGM_RSRC2:TRAP_HANDLER: 0
; COMPUTE_PGM_RSRC2:TGID_X_EN: 1
; COMPUTE_PGM_RSRC2:TGID_Y_EN: 0
; COMPUTE_PGM_RSRC2:TGID_Z_EN: 0
; COMPUTE_PGM_RSRC2:TIDIG_COMP_CNT: 0
; COMPUTE_PGM_RSRC3_GFX90A:ACCUM_OFFSET: 0
; COMPUTE_PGM_RSRC3_GFX90A:TG_SPLIT: 0
	.section	.text._ZN7rocprim17ROCPRIM_400000_NS6detail44device_merge_sort_compile_time_verifier_archINS1_11comp_targetILNS1_3genE3ELNS1_11target_archE908ELNS1_3gpuE7ELNS1_3repE0EEES8_NS1_28merge_sort_block_sort_configILj256ELj4ELNS0_20block_sort_algorithmE0EEENS0_14default_configENS1_37merge_sort_block_sort_config_selectorIiNS0_10empty_typeEEENS1_38merge_sort_block_merge_config_selectorIiSE_EEEEvv,"axG",@progbits,_ZN7rocprim17ROCPRIM_400000_NS6detail44device_merge_sort_compile_time_verifier_archINS1_11comp_targetILNS1_3genE3ELNS1_11target_archE908ELNS1_3gpuE7ELNS1_3repE0EEES8_NS1_28merge_sort_block_sort_configILj256ELj4ELNS0_20block_sort_algorithmE0EEENS0_14default_configENS1_37merge_sort_block_sort_config_selectorIiNS0_10empty_typeEEENS1_38merge_sort_block_merge_config_selectorIiSE_EEEEvv,comdat
	.protected	_ZN7rocprim17ROCPRIM_400000_NS6detail44device_merge_sort_compile_time_verifier_archINS1_11comp_targetILNS1_3genE3ELNS1_11target_archE908ELNS1_3gpuE7ELNS1_3repE0EEES8_NS1_28merge_sort_block_sort_configILj256ELj4ELNS0_20block_sort_algorithmE0EEENS0_14default_configENS1_37merge_sort_block_sort_config_selectorIiNS0_10empty_typeEEENS1_38merge_sort_block_merge_config_selectorIiSE_EEEEvv ; -- Begin function _ZN7rocprim17ROCPRIM_400000_NS6detail44device_merge_sort_compile_time_verifier_archINS1_11comp_targetILNS1_3genE3ELNS1_11target_archE908ELNS1_3gpuE7ELNS1_3repE0EEES8_NS1_28merge_sort_block_sort_configILj256ELj4ELNS0_20block_sort_algorithmE0EEENS0_14default_configENS1_37merge_sort_block_sort_config_selectorIiNS0_10empty_typeEEENS1_38merge_sort_block_merge_config_selectorIiSE_EEEEvv
	.globl	_ZN7rocprim17ROCPRIM_400000_NS6detail44device_merge_sort_compile_time_verifier_archINS1_11comp_targetILNS1_3genE3ELNS1_11target_archE908ELNS1_3gpuE7ELNS1_3repE0EEES8_NS1_28merge_sort_block_sort_configILj256ELj4ELNS0_20block_sort_algorithmE0EEENS0_14default_configENS1_37merge_sort_block_sort_config_selectorIiNS0_10empty_typeEEENS1_38merge_sort_block_merge_config_selectorIiSE_EEEEvv
	.p2align	8
	.type	_ZN7rocprim17ROCPRIM_400000_NS6detail44device_merge_sort_compile_time_verifier_archINS1_11comp_targetILNS1_3genE3ELNS1_11target_archE908ELNS1_3gpuE7ELNS1_3repE0EEES8_NS1_28merge_sort_block_sort_configILj256ELj4ELNS0_20block_sort_algorithmE0EEENS0_14default_configENS1_37merge_sort_block_sort_config_selectorIiNS0_10empty_typeEEENS1_38merge_sort_block_merge_config_selectorIiSE_EEEEvv,@function
_ZN7rocprim17ROCPRIM_400000_NS6detail44device_merge_sort_compile_time_verifier_archINS1_11comp_targetILNS1_3genE3ELNS1_11target_archE908ELNS1_3gpuE7ELNS1_3repE0EEES8_NS1_28merge_sort_block_sort_configILj256ELj4ELNS0_20block_sort_algorithmE0EEENS0_14default_configENS1_37merge_sort_block_sort_config_selectorIiNS0_10empty_typeEEENS1_38merge_sort_block_merge_config_selectorIiSE_EEEEvv: ; @_ZN7rocprim17ROCPRIM_400000_NS6detail44device_merge_sort_compile_time_verifier_archINS1_11comp_targetILNS1_3genE3ELNS1_11target_archE908ELNS1_3gpuE7ELNS1_3repE0EEES8_NS1_28merge_sort_block_sort_configILj256ELj4ELNS0_20block_sort_algorithmE0EEENS0_14default_configENS1_37merge_sort_block_sort_config_selectorIiNS0_10empty_typeEEENS1_38merge_sort_block_merge_config_selectorIiSE_EEEEvv
; %bb.0:
	s_endpgm
	.section	.rodata,"a",@progbits
	.p2align	6, 0x0
	.amdhsa_kernel _ZN7rocprim17ROCPRIM_400000_NS6detail44device_merge_sort_compile_time_verifier_archINS1_11comp_targetILNS1_3genE3ELNS1_11target_archE908ELNS1_3gpuE7ELNS1_3repE0EEES8_NS1_28merge_sort_block_sort_configILj256ELj4ELNS0_20block_sort_algorithmE0EEENS0_14default_configENS1_37merge_sort_block_sort_config_selectorIiNS0_10empty_typeEEENS1_38merge_sort_block_merge_config_selectorIiSE_EEEEvv
		.amdhsa_group_segment_fixed_size 0
		.amdhsa_private_segment_fixed_size 0
		.amdhsa_kernarg_size 0
		.amdhsa_user_sgpr_count 0
		.amdhsa_user_sgpr_dispatch_ptr 0
		.amdhsa_user_sgpr_queue_ptr 0
		.amdhsa_user_sgpr_kernarg_segment_ptr 0
		.amdhsa_user_sgpr_dispatch_id 0
		.amdhsa_user_sgpr_kernarg_preload_length 0
		.amdhsa_user_sgpr_kernarg_preload_offset 0
		.amdhsa_user_sgpr_private_segment_size 0
		.amdhsa_uses_dynamic_stack 0
		.amdhsa_enable_private_segment 0
		.amdhsa_system_sgpr_workgroup_id_x 1
		.amdhsa_system_sgpr_workgroup_id_y 0
		.amdhsa_system_sgpr_workgroup_id_z 0
		.amdhsa_system_sgpr_workgroup_info 0
		.amdhsa_system_vgpr_workitem_id 0
		.amdhsa_next_free_vgpr 1
		.amdhsa_next_free_sgpr 0
		.amdhsa_accum_offset 4
		.amdhsa_reserve_vcc 0
		.amdhsa_float_round_mode_32 0
		.amdhsa_float_round_mode_16_64 0
		.amdhsa_float_denorm_mode_32 3
		.amdhsa_float_denorm_mode_16_64 3
		.amdhsa_dx10_clamp 1
		.amdhsa_ieee_mode 1
		.amdhsa_fp16_overflow 0
		.amdhsa_tg_split 0
		.amdhsa_exception_fp_ieee_invalid_op 0
		.amdhsa_exception_fp_denorm_src 0
		.amdhsa_exception_fp_ieee_div_zero 0
		.amdhsa_exception_fp_ieee_overflow 0
		.amdhsa_exception_fp_ieee_underflow 0
		.amdhsa_exception_fp_ieee_inexact 0
		.amdhsa_exception_int_div_zero 0
	.end_amdhsa_kernel
	.section	.text._ZN7rocprim17ROCPRIM_400000_NS6detail44device_merge_sort_compile_time_verifier_archINS1_11comp_targetILNS1_3genE3ELNS1_11target_archE908ELNS1_3gpuE7ELNS1_3repE0EEES8_NS1_28merge_sort_block_sort_configILj256ELj4ELNS0_20block_sort_algorithmE0EEENS0_14default_configENS1_37merge_sort_block_sort_config_selectorIiNS0_10empty_typeEEENS1_38merge_sort_block_merge_config_selectorIiSE_EEEEvv,"axG",@progbits,_ZN7rocprim17ROCPRIM_400000_NS6detail44device_merge_sort_compile_time_verifier_archINS1_11comp_targetILNS1_3genE3ELNS1_11target_archE908ELNS1_3gpuE7ELNS1_3repE0EEES8_NS1_28merge_sort_block_sort_configILj256ELj4ELNS0_20block_sort_algorithmE0EEENS0_14default_configENS1_37merge_sort_block_sort_config_selectorIiNS0_10empty_typeEEENS1_38merge_sort_block_merge_config_selectorIiSE_EEEEvv,comdat
.Lfunc_end1608:
	.size	_ZN7rocprim17ROCPRIM_400000_NS6detail44device_merge_sort_compile_time_verifier_archINS1_11comp_targetILNS1_3genE3ELNS1_11target_archE908ELNS1_3gpuE7ELNS1_3repE0EEES8_NS1_28merge_sort_block_sort_configILj256ELj4ELNS0_20block_sort_algorithmE0EEENS0_14default_configENS1_37merge_sort_block_sort_config_selectorIiNS0_10empty_typeEEENS1_38merge_sort_block_merge_config_selectorIiSE_EEEEvv, .Lfunc_end1608-_ZN7rocprim17ROCPRIM_400000_NS6detail44device_merge_sort_compile_time_verifier_archINS1_11comp_targetILNS1_3genE3ELNS1_11target_archE908ELNS1_3gpuE7ELNS1_3repE0EEES8_NS1_28merge_sort_block_sort_configILj256ELj4ELNS0_20block_sort_algorithmE0EEENS0_14default_configENS1_37merge_sort_block_sort_config_selectorIiNS0_10empty_typeEEENS1_38merge_sort_block_merge_config_selectorIiSE_EEEEvv
                                        ; -- End function
	.section	.AMDGPU.csdata,"",@progbits
; Kernel info:
; codeLenInByte = 4
; NumSgprs: 6
; NumVgprs: 0
; NumAgprs: 0
; TotalNumVgprs: 0
; ScratchSize: 0
; MemoryBound: 0
; FloatMode: 240
; IeeeMode: 1
; LDSByteSize: 0 bytes/workgroup (compile time only)
; SGPRBlocks: 0
; VGPRBlocks: 0
; NumSGPRsForWavesPerEU: 6
; NumVGPRsForWavesPerEU: 1
; AccumOffset: 4
; Occupancy: 8
; WaveLimiterHint : 0
; COMPUTE_PGM_RSRC2:SCRATCH_EN: 0
; COMPUTE_PGM_RSRC2:USER_SGPR: 0
; COMPUTE_PGM_RSRC2:TRAP_HANDLER: 0
; COMPUTE_PGM_RSRC2:TGID_X_EN: 1
; COMPUTE_PGM_RSRC2:TGID_Y_EN: 0
; COMPUTE_PGM_RSRC2:TGID_Z_EN: 0
; COMPUTE_PGM_RSRC2:TIDIG_COMP_CNT: 0
; COMPUTE_PGM_RSRC3_GFX90A:ACCUM_OFFSET: 0
; COMPUTE_PGM_RSRC3_GFX90A:TG_SPLIT: 0
	.section	.text._ZN7rocprim17ROCPRIM_400000_NS6detail44device_merge_sort_compile_time_verifier_archINS1_11comp_targetILNS1_3genE2ELNS1_11target_archE906ELNS1_3gpuE6ELNS1_3repE0EEES8_NS1_28merge_sort_block_sort_configILj256ELj4ELNS0_20block_sort_algorithmE0EEENS0_14default_configENS1_37merge_sort_block_sort_config_selectorIiNS0_10empty_typeEEENS1_38merge_sort_block_merge_config_selectorIiSE_EEEEvv,"axG",@progbits,_ZN7rocprim17ROCPRIM_400000_NS6detail44device_merge_sort_compile_time_verifier_archINS1_11comp_targetILNS1_3genE2ELNS1_11target_archE906ELNS1_3gpuE6ELNS1_3repE0EEES8_NS1_28merge_sort_block_sort_configILj256ELj4ELNS0_20block_sort_algorithmE0EEENS0_14default_configENS1_37merge_sort_block_sort_config_selectorIiNS0_10empty_typeEEENS1_38merge_sort_block_merge_config_selectorIiSE_EEEEvv,comdat
	.protected	_ZN7rocprim17ROCPRIM_400000_NS6detail44device_merge_sort_compile_time_verifier_archINS1_11comp_targetILNS1_3genE2ELNS1_11target_archE906ELNS1_3gpuE6ELNS1_3repE0EEES8_NS1_28merge_sort_block_sort_configILj256ELj4ELNS0_20block_sort_algorithmE0EEENS0_14default_configENS1_37merge_sort_block_sort_config_selectorIiNS0_10empty_typeEEENS1_38merge_sort_block_merge_config_selectorIiSE_EEEEvv ; -- Begin function _ZN7rocprim17ROCPRIM_400000_NS6detail44device_merge_sort_compile_time_verifier_archINS1_11comp_targetILNS1_3genE2ELNS1_11target_archE906ELNS1_3gpuE6ELNS1_3repE0EEES8_NS1_28merge_sort_block_sort_configILj256ELj4ELNS0_20block_sort_algorithmE0EEENS0_14default_configENS1_37merge_sort_block_sort_config_selectorIiNS0_10empty_typeEEENS1_38merge_sort_block_merge_config_selectorIiSE_EEEEvv
	.globl	_ZN7rocprim17ROCPRIM_400000_NS6detail44device_merge_sort_compile_time_verifier_archINS1_11comp_targetILNS1_3genE2ELNS1_11target_archE906ELNS1_3gpuE6ELNS1_3repE0EEES8_NS1_28merge_sort_block_sort_configILj256ELj4ELNS0_20block_sort_algorithmE0EEENS0_14default_configENS1_37merge_sort_block_sort_config_selectorIiNS0_10empty_typeEEENS1_38merge_sort_block_merge_config_selectorIiSE_EEEEvv
	.p2align	8
	.type	_ZN7rocprim17ROCPRIM_400000_NS6detail44device_merge_sort_compile_time_verifier_archINS1_11comp_targetILNS1_3genE2ELNS1_11target_archE906ELNS1_3gpuE6ELNS1_3repE0EEES8_NS1_28merge_sort_block_sort_configILj256ELj4ELNS0_20block_sort_algorithmE0EEENS0_14default_configENS1_37merge_sort_block_sort_config_selectorIiNS0_10empty_typeEEENS1_38merge_sort_block_merge_config_selectorIiSE_EEEEvv,@function
_ZN7rocprim17ROCPRIM_400000_NS6detail44device_merge_sort_compile_time_verifier_archINS1_11comp_targetILNS1_3genE2ELNS1_11target_archE906ELNS1_3gpuE6ELNS1_3repE0EEES8_NS1_28merge_sort_block_sort_configILj256ELj4ELNS0_20block_sort_algorithmE0EEENS0_14default_configENS1_37merge_sort_block_sort_config_selectorIiNS0_10empty_typeEEENS1_38merge_sort_block_merge_config_selectorIiSE_EEEEvv: ; @_ZN7rocprim17ROCPRIM_400000_NS6detail44device_merge_sort_compile_time_verifier_archINS1_11comp_targetILNS1_3genE2ELNS1_11target_archE906ELNS1_3gpuE6ELNS1_3repE0EEES8_NS1_28merge_sort_block_sort_configILj256ELj4ELNS0_20block_sort_algorithmE0EEENS0_14default_configENS1_37merge_sort_block_sort_config_selectorIiNS0_10empty_typeEEENS1_38merge_sort_block_merge_config_selectorIiSE_EEEEvv
; %bb.0:
	s_endpgm
	.section	.rodata,"a",@progbits
	.p2align	6, 0x0
	.amdhsa_kernel _ZN7rocprim17ROCPRIM_400000_NS6detail44device_merge_sort_compile_time_verifier_archINS1_11comp_targetILNS1_3genE2ELNS1_11target_archE906ELNS1_3gpuE6ELNS1_3repE0EEES8_NS1_28merge_sort_block_sort_configILj256ELj4ELNS0_20block_sort_algorithmE0EEENS0_14default_configENS1_37merge_sort_block_sort_config_selectorIiNS0_10empty_typeEEENS1_38merge_sort_block_merge_config_selectorIiSE_EEEEvv
		.amdhsa_group_segment_fixed_size 0
		.amdhsa_private_segment_fixed_size 0
		.amdhsa_kernarg_size 0
		.amdhsa_user_sgpr_count 0
		.amdhsa_user_sgpr_dispatch_ptr 0
		.amdhsa_user_sgpr_queue_ptr 0
		.amdhsa_user_sgpr_kernarg_segment_ptr 0
		.amdhsa_user_sgpr_dispatch_id 0
		.amdhsa_user_sgpr_kernarg_preload_length 0
		.amdhsa_user_sgpr_kernarg_preload_offset 0
		.amdhsa_user_sgpr_private_segment_size 0
		.amdhsa_uses_dynamic_stack 0
		.amdhsa_enable_private_segment 0
		.amdhsa_system_sgpr_workgroup_id_x 1
		.amdhsa_system_sgpr_workgroup_id_y 0
		.amdhsa_system_sgpr_workgroup_id_z 0
		.amdhsa_system_sgpr_workgroup_info 0
		.amdhsa_system_vgpr_workitem_id 0
		.amdhsa_next_free_vgpr 1
		.amdhsa_next_free_sgpr 0
		.amdhsa_accum_offset 4
		.amdhsa_reserve_vcc 0
		.amdhsa_float_round_mode_32 0
		.amdhsa_float_round_mode_16_64 0
		.amdhsa_float_denorm_mode_32 3
		.amdhsa_float_denorm_mode_16_64 3
		.amdhsa_dx10_clamp 1
		.amdhsa_ieee_mode 1
		.amdhsa_fp16_overflow 0
		.amdhsa_tg_split 0
		.amdhsa_exception_fp_ieee_invalid_op 0
		.amdhsa_exception_fp_denorm_src 0
		.amdhsa_exception_fp_ieee_div_zero 0
		.amdhsa_exception_fp_ieee_overflow 0
		.amdhsa_exception_fp_ieee_underflow 0
		.amdhsa_exception_fp_ieee_inexact 0
		.amdhsa_exception_int_div_zero 0
	.end_amdhsa_kernel
	.section	.text._ZN7rocprim17ROCPRIM_400000_NS6detail44device_merge_sort_compile_time_verifier_archINS1_11comp_targetILNS1_3genE2ELNS1_11target_archE906ELNS1_3gpuE6ELNS1_3repE0EEES8_NS1_28merge_sort_block_sort_configILj256ELj4ELNS0_20block_sort_algorithmE0EEENS0_14default_configENS1_37merge_sort_block_sort_config_selectorIiNS0_10empty_typeEEENS1_38merge_sort_block_merge_config_selectorIiSE_EEEEvv,"axG",@progbits,_ZN7rocprim17ROCPRIM_400000_NS6detail44device_merge_sort_compile_time_verifier_archINS1_11comp_targetILNS1_3genE2ELNS1_11target_archE906ELNS1_3gpuE6ELNS1_3repE0EEES8_NS1_28merge_sort_block_sort_configILj256ELj4ELNS0_20block_sort_algorithmE0EEENS0_14default_configENS1_37merge_sort_block_sort_config_selectorIiNS0_10empty_typeEEENS1_38merge_sort_block_merge_config_selectorIiSE_EEEEvv,comdat
.Lfunc_end1609:
	.size	_ZN7rocprim17ROCPRIM_400000_NS6detail44device_merge_sort_compile_time_verifier_archINS1_11comp_targetILNS1_3genE2ELNS1_11target_archE906ELNS1_3gpuE6ELNS1_3repE0EEES8_NS1_28merge_sort_block_sort_configILj256ELj4ELNS0_20block_sort_algorithmE0EEENS0_14default_configENS1_37merge_sort_block_sort_config_selectorIiNS0_10empty_typeEEENS1_38merge_sort_block_merge_config_selectorIiSE_EEEEvv, .Lfunc_end1609-_ZN7rocprim17ROCPRIM_400000_NS6detail44device_merge_sort_compile_time_verifier_archINS1_11comp_targetILNS1_3genE2ELNS1_11target_archE906ELNS1_3gpuE6ELNS1_3repE0EEES8_NS1_28merge_sort_block_sort_configILj256ELj4ELNS0_20block_sort_algorithmE0EEENS0_14default_configENS1_37merge_sort_block_sort_config_selectorIiNS0_10empty_typeEEENS1_38merge_sort_block_merge_config_selectorIiSE_EEEEvv
                                        ; -- End function
	.section	.AMDGPU.csdata,"",@progbits
; Kernel info:
; codeLenInByte = 4
; NumSgprs: 6
; NumVgprs: 0
; NumAgprs: 0
; TotalNumVgprs: 0
; ScratchSize: 0
; MemoryBound: 0
; FloatMode: 240
; IeeeMode: 1
; LDSByteSize: 0 bytes/workgroup (compile time only)
; SGPRBlocks: 0
; VGPRBlocks: 0
; NumSGPRsForWavesPerEU: 6
; NumVGPRsForWavesPerEU: 1
; AccumOffset: 4
; Occupancy: 8
; WaveLimiterHint : 0
; COMPUTE_PGM_RSRC2:SCRATCH_EN: 0
; COMPUTE_PGM_RSRC2:USER_SGPR: 0
; COMPUTE_PGM_RSRC2:TRAP_HANDLER: 0
; COMPUTE_PGM_RSRC2:TGID_X_EN: 1
; COMPUTE_PGM_RSRC2:TGID_Y_EN: 0
; COMPUTE_PGM_RSRC2:TGID_Z_EN: 0
; COMPUTE_PGM_RSRC2:TIDIG_COMP_CNT: 0
; COMPUTE_PGM_RSRC3_GFX90A:ACCUM_OFFSET: 0
; COMPUTE_PGM_RSRC3_GFX90A:TG_SPLIT: 0
	.section	.text._ZN7rocprim17ROCPRIM_400000_NS6detail44device_merge_sort_compile_time_verifier_archINS1_11comp_targetILNS1_3genE10ELNS1_11target_archE1201ELNS1_3gpuE5ELNS1_3repE0EEES8_NS1_28merge_sort_block_sort_configILj256ELj4ELNS0_20block_sort_algorithmE0EEENS0_14default_configENS1_37merge_sort_block_sort_config_selectorIiNS0_10empty_typeEEENS1_38merge_sort_block_merge_config_selectorIiSE_EEEEvv,"axG",@progbits,_ZN7rocprim17ROCPRIM_400000_NS6detail44device_merge_sort_compile_time_verifier_archINS1_11comp_targetILNS1_3genE10ELNS1_11target_archE1201ELNS1_3gpuE5ELNS1_3repE0EEES8_NS1_28merge_sort_block_sort_configILj256ELj4ELNS0_20block_sort_algorithmE0EEENS0_14default_configENS1_37merge_sort_block_sort_config_selectorIiNS0_10empty_typeEEENS1_38merge_sort_block_merge_config_selectorIiSE_EEEEvv,comdat
	.protected	_ZN7rocprim17ROCPRIM_400000_NS6detail44device_merge_sort_compile_time_verifier_archINS1_11comp_targetILNS1_3genE10ELNS1_11target_archE1201ELNS1_3gpuE5ELNS1_3repE0EEES8_NS1_28merge_sort_block_sort_configILj256ELj4ELNS0_20block_sort_algorithmE0EEENS0_14default_configENS1_37merge_sort_block_sort_config_selectorIiNS0_10empty_typeEEENS1_38merge_sort_block_merge_config_selectorIiSE_EEEEvv ; -- Begin function _ZN7rocprim17ROCPRIM_400000_NS6detail44device_merge_sort_compile_time_verifier_archINS1_11comp_targetILNS1_3genE10ELNS1_11target_archE1201ELNS1_3gpuE5ELNS1_3repE0EEES8_NS1_28merge_sort_block_sort_configILj256ELj4ELNS0_20block_sort_algorithmE0EEENS0_14default_configENS1_37merge_sort_block_sort_config_selectorIiNS0_10empty_typeEEENS1_38merge_sort_block_merge_config_selectorIiSE_EEEEvv
	.globl	_ZN7rocprim17ROCPRIM_400000_NS6detail44device_merge_sort_compile_time_verifier_archINS1_11comp_targetILNS1_3genE10ELNS1_11target_archE1201ELNS1_3gpuE5ELNS1_3repE0EEES8_NS1_28merge_sort_block_sort_configILj256ELj4ELNS0_20block_sort_algorithmE0EEENS0_14default_configENS1_37merge_sort_block_sort_config_selectorIiNS0_10empty_typeEEENS1_38merge_sort_block_merge_config_selectorIiSE_EEEEvv
	.p2align	8
	.type	_ZN7rocprim17ROCPRIM_400000_NS6detail44device_merge_sort_compile_time_verifier_archINS1_11comp_targetILNS1_3genE10ELNS1_11target_archE1201ELNS1_3gpuE5ELNS1_3repE0EEES8_NS1_28merge_sort_block_sort_configILj256ELj4ELNS0_20block_sort_algorithmE0EEENS0_14default_configENS1_37merge_sort_block_sort_config_selectorIiNS0_10empty_typeEEENS1_38merge_sort_block_merge_config_selectorIiSE_EEEEvv,@function
_ZN7rocprim17ROCPRIM_400000_NS6detail44device_merge_sort_compile_time_verifier_archINS1_11comp_targetILNS1_3genE10ELNS1_11target_archE1201ELNS1_3gpuE5ELNS1_3repE0EEES8_NS1_28merge_sort_block_sort_configILj256ELj4ELNS0_20block_sort_algorithmE0EEENS0_14default_configENS1_37merge_sort_block_sort_config_selectorIiNS0_10empty_typeEEENS1_38merge_sort_block_merge_config_selectorIiSE_EEEEvv: ; @_ZN7rocprim17ROCPRIM_400000_NS6detail44device_merge_sort_compile_time_verifier_archINS1_11comp_targetILNS1_3genE10ELNS1_11target_archE1201ELNS1_3gpuE5ELNS1_3repE0EEES8_NS1_28merge_sort_block_sort_configILj256ELj4ELNS0_20block_sort_algorithmE0EEENS0_14default_configENS1_37merge_sort_block_sort_config_selectorIiNS0_10empty_typeEEENS1_38merge_sort_block_merge_config_selectorIiSE_EEEEvv
; %bb.0:
	s_endpgm
	.section	.rodata,"a",@progbits
	.p2align	6, 0x0
	.amdhsa_kernel _ZN7rocprim17ROCPRIM_400000_NS6detail44device_merge_sort_compile_time_verifier_archINS1_11comp_targetILNS1_3genE10ELNS1_11target_archE1201ELNS1_3gpuE5ELNS1_3repE0EEES8_NS1_28merge_sort_block_sort_configILj256ELj4ELNS0_20block_sort_algorithmE0EEENS0_14default_configENS1_37merge_sort_block_sort_config_selectorIiNS0_10empty_typeEEENS1_38merge_sort_block_merge_config_selectorIiSE_EEEEvv
		.amdhsa_group_segment_fixed_size 0
		.amdhsa_private_segment_fixed_size 0
		.amdhsa_kernarg_size 0
		.amdhsa_user_sgpr_count 0
		.amdhsa_user_sgpr_dispatch_ptr 0
		.amdhsa_user_sgpr_queue_ptr 0
		.amdhsa_user_sgpr_kernarg_segment_ptr 0
		.amdhsa_user_sgpr_dispatch_id 0
		.amdhsa_user_sgpr_kernarg_preload_length 0
		.amdhsa_user_sgpr_kernarg_preload_offset 0
		.amdhsa_user_sgpr_private_segment_size 0
		.amdhsa_uses_dynamic_stack 0
		.amdhsa_enable_private_segment 0
		.amdhsa_system_sgpr_workgroup_id_x 1
		.amdhsa_system_sgpr_workgroup_id_y 0
		.amdhsa_system_sgpr_workgroup_id_z 0
		.amdhsa_system_sgpr_workgroup_info 0
		.amdhsa_system_vgpr_workitem_id 0
		.amdhsa_next_free_vgpr 1
		.amdhsa_next_free_sgpr 0
		.amdhsa_accum_offset 4
		.amdhsa_reserve_vcc 0
		.amdhsa_float_round_mode_32 0
		.amdhsa_float_round_mode_16_64 0
		.amdhsa_float_denorm_mode_32 3
		.amdhsa_float_denorm_mode_16_64 3
		.amdhsa_dx10_clamp 1
		.amdhsa_ieee_mode 1
		.amdhsa_fp16_overflow 0
		.amdhsa_tg_split 0
		.amdhsa_exception_fp_ieee_invalid_op 0
		.amdhsa_exception_fp_denorm_src 0
		.amdhsa_exception_fp_ieee_div_zero 0
		.amdhsa_exception_fp_ieee_overflow 0
		.amdhsa_exception_fp_ieee_underflow 0
		.amdhsa_exception_fp_ieee_inexact 0
		.amdhsa_exception_int_div_zero 0
	.end_amdhsa_kernel
	.section	.text._ZN7rocprim17ROCPRIM_400000_NS6detail44device_merge_sort_compile_time_verifier_archINS1_11comp_targetILNS1_3genE10ELNS1_11target_archE1201ELNS1_3gpuE5ELNS1_3repE0EEES8_NS1_28merge_sort_block_sort_configILj256ELj4ELNS0_20block_sort_algorithmE0EEENS0_14default_configENS1_37merge_sort_block_sort_config_selectorIiNS0_10empty_typeEEENS1_38merge_sort_block_merge_config_selectorIiSE_EEEEvv,"axG",@progbits,_ZN7rocprim17ROCPRIM_400000_NS6detail44device_merge_sort_compile_time_verifier_archINS1_11comp_targetILNS1_3genE10ELNS1_11target_archE1201ELNS1_3gpuE5ELNS1_3repE0EEES8_NS1_28merge_sort_block_sort_configILj256ELj4ELNS0_20block_sort_algorithmE0EEENS0_14default_configENS1_37merge_sort_block_sort_config_selectorIiNS0_10empty_typeEEENS1_38merge_sort_block_merge_config_selectorIiSE_EEEEvv,comdat
.Lfunc_end1610:
	.size	_ZN7rocprim17ROCPRIM_400000_NS6detail44device_merge_sort_compile_time_verifier_archINS1_11comp_targetILNS1_3genE10ELNS1_11target_archE1201ELNS1_3gpuE5ELNS1_3repE0EEES8_NS1_28merge_sort_block_sort_configILj256ELj4ELNS0_20block_sort_algorithmE0EEENS0_14default_configENS1_37merge_sort_block_sort_config_selectorIiNS0_10empty_typeEEENS1_38merge_sort_block_merge_config_selectorIiSE_EEEEvv, .Lfunc_end1610-_ZN7rocprim17ROCPRIM_400000_NS6detail44device_merge_sort_compile_time_verifier_archINS1_11comp_targetILNS1_3genE10ELNS1_11target_archE1201ELNS1_3gpuE5ELNS1_3repE0EEES8_NS1_28merge_sort_block_sort_configILj256ELj4ELNS0_20block_sort_algorithmE0EEENS0_14default_configENS1_37merge_sort_block_sort_config_selectorIiNS0_10empty_typeEEENS1_38merge_sort_block_merge_config_selectorIiSE_EEEEvv
                                        ; -- End function
	.section	.AMDGPU.csdata,"",@progbits
; Kernel info:
; codeLenInByte = 4
; NumSgprs: 6
; NumVgprs: 0
; NumAgprs: 0
; TotalNumVgprs: 0
; ScratchSize: 0
; MemoryBound: 0
; FloatMode: 240
; IeeeMode: 1
; LDSByteSize: 0 bytes/workgroup (compile time only)
; SGPRBlocks: 0
; VGPRBlocks: 0
; NumSGPRsForWavesPerEU: 6
; NumVGPRsForWavesPerEU: 1
; AccumOffset: 4
; Occupancy: 8
; WaveLimiterHint : 0
; COMPUTE_PGM_RSRC2:SCRATCH_EN: 0
; COMPUTE_PGM_RSRC2:USER_SGPR: 0
; COMPUTE_PGM_RSRC2:TRAP_HANDLER: 0
; COMPUTE_PGM_RSRC2:TGID_X_EN: 1
; COMPUTE_PGM_RSRC2:TGID_Y_EN: 0
; COMPUTE_PGM_RSRC2:TGID_Z_EN: 0
; COMPUTE_PGM_RSRC2:TIDIG_COMP_CNT: 0
; COMPUTE_PGM_RSRC3_GFX90A:ACCUM_OFFSET: 0
; COMPUTE_PGM_RSRC3_GFX90A:TG_SPLIT: 0
	.section	.text._ZN7rocprim17ROCPRIM_400000_NS6detail44device_merge_sort_compile_time_verifier_archINS1_11comp_targetILNS1_3genE10ELNS1_11target_archE1200ELNS1_3gpuE4ELNS1_3repE0EEENS3_ILS4_10ELS5_1201ELS6_5ELS7_0EEENS1_28merge_sort_block_sort_configILj256ELj4ELNS0_20block_sort_algorithmE0EEENS0_14default_configENS1_37merge_sort_block_sort_config_selectorIiNS0_10empty_typeEEENS1_38merge_sort_block_merge_config_selectorIiSF_EEEEvv,"axG",@progbits,_ZN7rocprim17ROCPRIM_400000_NS6detail44device_merge_sort_compile_time_verifier_archINS1_11comp_targetILNS1_3genE10ELNS1_11target_archE1200ELNS1_3gpuE4ELNS1_3repE0EEENS3_ILS4_10ELS5_1201ELS6_5ELS7_0EEENS1_28merge_sort_block_sort_configILj256ELj4ELNS0_20block_sort_algorithmE0EEENS0_14default_configENS1_37merge_sort_block_sort_config_selectorIiNS0_10empty_typeEEENS1_38merge_sort_block_merge_config_selectorIiSF_EEEEvv,comdat
	.protected	_ZN7rocprim17ROCPRIM_400000_NS6detail44device_merge_sort_compile_time_verifier_archINS1_11comp_targetILNS1_3genE10ELNS1_11target_archE1200ELNS1_3gpuE4ELNS1_3repE0EEENS3_ILS4_10ELS5_1201ELS6_5ELS7_0EEENS1_28merge_sort_block_sort_configILj256ELj4ELNS0_20block_sort_algorithmE0EEENS0_14default_configENS1_37merge_sort_block_sort_config_selectorIiNS0_10empty_typeEEENS1_38merge_sort_block_merge_config_selectorIiSF_EEEEvv ; -- Begin function _ZN7rocprim17ROCPRIM_400000_NS6detail44device_merge_sort_compile_time_verifier_archINS1_11comp_targetILNS1_3genE10ELNS1_11target_archE1200ELNS1_3gpuE4ELNS1_3repE0EEENS3_ILS4_10ELS5_1201ELS6_5ELS7_0EEENS1_28merge_sort_block_sort_configILj256ELj4ELNS0_20block_sort_algorithmE0EEENS0_14default_configENS1_37merge_sort_block_sort_config_selectorIiNS0_10empty_typeEEENS1_38merge_sort_block_merge_config_selectorIiSF_EEEEvv
	.globl	_ZN7rocprim17ROCPRIM_400000_NS6detail44device_merge_sort_compile_time_verifier_archINS1_11comp_targetILNS1_3genE10ELNS1_11target_archE1200ELNS1_3gpuE4ELNS1_3repE0EEENS3_ILS4_10ELS5_1201ELS6_5ELS7_0EEENS1_28merge_sort_block_sort_configILj256ELj4ELNS0_20block_sort_algorithmE0EEENS0_14default_configENS1_37merge_sort_block_sort_config_selectorIiNS0_10empty_typeEEENS1_38merge_sort_block_merge_config_selectorIiSF_EEEEvv
	.p2align	8
	.type	_ZN7rocprim17ROCPRIM_400000_NS6detail44device_merge_sort_compile_time_verifier_archINS1_11comp_targetILNS1_3genE10ELNS1_11target_archE1200ELNS1_3gpuE4ELNS1_3repE0EEENS3_ILS4_10ELS5_1201ELS6_5ELS7_0EEENS1_28merge_sort_block_sort_configILj256ELj4ELNS0_20block_sort_algorithmE0EEENS0_14default_configENS1_37merge_sort_block_sort_config_selectorIiNS0_10empty_typeEEENS1_38merge_sort_block_merge_config_selectorIiSF_EEEEvv,@function
_ZN7rocprim17ROCPRIM_400000_NS6detail44device_merge_sort_compile_time_verifier_archINS1_11comp_targetILNS1_3genE10ELNS1_11target_archE1200ELNS1_3gpuE4ELNS1_3repE0EEENS3_ILS4_10ELS5_1201ELS6_5ELS7_0EEENS1_28merge_sort_block_sort_configILj256ELj4ELNS0_20block_sort_algorithmE0EEENS0_14default_configENS1_37merge_sort_block_sort_config_selectorIiNS0_10empty_typeEEENS1_38merge_sort_block_merge_config_selectorIiSF_EEEEvv: ; @_ZN7rocprim17ROCPRIM_400000_NS6detail44device_merge_sort_compile_time_verifier_archINS1_11comp_targetILNS1_3genE10ELNS1_11target_archE1200ELNS1_3gpuE4ELNS1_3repE0EEENS3_ILS4_10ELS5_1201ELS6_5ELS7_0EEENS1_28merge_sort_block_sort_configILj256ELj4ELNS0_20block_sort_algorithmE0EEENS0_14default_configENS1_37merge_sort_block_sort_config_selectorIiNS0_10empty_typeEEENS1_38merge_sort_block_merge_config_selectorIiSF_EEEEvv
; %bb.0:
	s_endpgm
	.section	.rodata,"a",@progbits
	.p2align	6, 0x0
	.amdhsa_kernel _ZN7rocprim17ROCPRIM_400000_NS6detail44device_merge_sort_compile_time_verifier_archINS1_11comp_targetILNS1_3genE10ELNS1_11target_archE1200ELNS1_3gpuE4ELNS1_3repE0EEENS3_ILS4_10ELS5_1201ELS6_5ELS7_0EEENS1_28merge_sort_block_sort_configILj256ELj4ELNS0_20block_sort_algorithmE0EEENS0_14default_configENS1_37merge_sort_block_sort_config_selectorIiNS0_10empty_typeEEENS1_38merge_sort_block_merge_config_selectorIiSF_EEEEvv
		.amdhsa_group_segment_fixed_size 0
		.amdhsa_private_segment_fixed_size 0
		.amdhsa_kernarg_size 0
		.amdhsa_user_sgpr_count 0
		.amdhsa_user_sgpr_dispatch_ptr 0
		.amdhsa_user_sgpr_queue_ptr 0
		.amdhsa_user_sgpr_kernarg_segment_ptr 0
		.amdhsa_user_sgpr_dispatch_id 0
		.amdhsa_user_sgpr_kernarg_preload_length 0
		.amdhsa_user_sgpr_kernarg_preload_offset 0
		.amdhsa_user_sgpr_private_segment_size 0
		.amdhsa_uses_dynamic_stack 0
		.amdhsa_enable_private_segment 0
		.amdhsa_system_sgpr_workgroup_id_x 1
		.amdhsa_system_sgpr_workgroup_id_y 0
		.amdhsa_system_sgpr_workgroup_id_z 0
		.amdhsa_system_sgpr_workgroup_info 0
		.amdhsa_system_vgpr_workitem_id 0
		.amdhsa_next_free_vgpr 1
		.amdhsa_next_free_sgpr 0
		.amdhsa_accum_offset 4
		.amdhsa_reserve_vcc 0
		.amdhsa_float_round_mode_32 0
		.amdhsa_float_round_mode_16_64 0
		.amdhsa_float_denorm_mode_32 3
		.amdhsa_float_denorm_mode_16_64 3
		.amdhsa_dx10_clamp 1
		.amdhsa_ieee_mode 1
		.amdhsa_fp16_overflow 0
		.amdhsa_tg_split 0
		.amdhsa_exception_fp_ieee_invalid_op 0
		.amdhsa_exception_fp_denorm_src 0
		.amdhsa_exception_fp_ieee_div_zero 0
		.amdhsa_exception_fp_ieee_overflow 0
		.amdhsa_exception_fp_ieee_underflow 0
		.amdhsa_exception_fp_ieee_inexact 0
		.amdhsa_exception_int_div_zero 0
	.end_amdhsa_kernel
	.section	.text._ZN7rocprim17ROCPRIM_400000_NS6detail44device_merge_sort_compile_time_verifier_archINS1_11comp_targetILNS1_3genE10ELNS1_11target_archE1200ELNS1_3gpuE4ELNS1_3repE0EEENS3_ILS4_10ELS5_1201ELS6_5ELS7_0EEENS1_28merge_sort_block_sort_configILj256ELj4ELNS0_20block_sort_algorithmE0EEENS0_14default_configENS1_37merge_sort_block_sort_config_selectorIiNS0_10empty_typeEEENS1_38merge_sort_block_merge_config_selectorIiSF_EEEEvv,"axG",@progbits,_ZN7rocprim17ROCPRIM_400000_NS6detail44device_merge_sort_compile_time_verifier_archINS1_11comp_targetILNS1_3genE10ELNS1_11target_archE1200ELNS1_3gpuE4ELNS1_3repE0EEENS3_ILS4_10ELS5_1201ELS6_5ELS7_0EEENS1_28merge_sort_block_sort_configILj256ELj4ELNS0_20block_sort_algorithmE0EEENS0_14default_configENS1_37merge_sort_block_sort_config_selectorIiNS0_10empty_typeEEENS1_38merge_sort_block_merge_config_selectorIiSF_EEEEvv,comdat
.Lfunc_end1611:
	.size	_ZN7rocprim17ROCPRIM_400000_NS6detail44device_merge_sort_compile_time_verifier_archINS1_11comp_targetILNS1_3genE10ELNS1_11target_archE1200ELNS1_3gpuE4ELNS1_3repE0EEENS3_ILS4_10ELS5_1201ELS6_5ELS7_0EEENS1_28merge_sort_block_sort_configILj256ELj4ELNS0_20block_sort_algorithmE0EEENS0_14default_configENS1_37merge_sort_block_sort_config_selectorIiNS0_10empty_typeEEENS1_38merge_sort_block_merge_config_selectorIiSF_EEEEvv, .Lfunc_end1611-_ZN7rocprim17ROCPRIM_400000_NS6detail44device_merge_sort_compile_time_verifier_archINS1_11comp_targetILNS1_3genE10ELNS1_11target_archE1200ELNS1_3gpuE4ELNS1_3repE0EEENS3_ILS4_10ELS5_1201ELS6_5ELS7_0EEENS1_28merge_sort_block_sort_configILj256ELj4ELNS0_20block_sort_algorithmE0EEENS0_14default_configENS1_37merge_sort_block_sort_config_selectorIiNS0_10empty_typeEEENS1_38merge_sort_block_merge_config_selectorIiSF_EEEEvv
                                        ; -- End function
	.section	.AMDGPU.csdata,"",@progbits
; Kernel info:
; codeLenInByte = 4
; NumSgprs: 6
; NumVgprs: 0
; NumAgprs: 0
; TotalNumVgprs: 0
; ScratchSize: 0
; MemoryBound: 0
; FloatMode: 240
; IeeeMode: 1
; LDSByteSize: 0 bytes/workgroup (compile time only)
; SGPRBlocks: 0
; VGPRBlocks: 0
; NumSGPRsForWavesPerEU: 6
; NumVGPRsForWavesPerEU: 1
; AccumOffset: 4
; Occupancy: 8
; WaveLimiterHint : 0
; COMPUTE_PGM_RSRC2:SCRATCH_EN: 0
; COMPUTE_PGM_RSRC2:USER_SGPR: 0
; COMPUTE_PGM_RSRC2:TRAP_HANDLER: 0
; COMPUTE_PGM_RSRC2:TGID_X_EN: 1
; COMPUTE_PGM_RSRC2:TGID_Y_EN: 0
; COMPUTE_PGM_RSRC2:TGID_Z_EN: 0
; COMPUTE_PGM_RSRC2:TIDIG_COMP_CNT: 0
; COMPUTE_PGM_RSRC3_GFX90A:ACCUM_OFFSET: 0
; COMPUTE_PGM_RSRC3_GFX90A:TG_SPLIT: 0
	.section	.text._ZN7rocprim17ROCPRIM_400000_NS6detail44device_merge_sort_compile_time_verifier_archINS1_11comp_targetILNS1_3genE9ELNS1_11target_archE1100ELNS1_3gpuE3ELNS1_3repE0EEES8_NS1_28merge_sort_block_sort_configILj256ELj4ELNS0_20block_sort_algorithmE0EEENS0_14default_configENS1_37merge_sort_block_sort_config_selectorIiNS0_10empty_typeEEENS1_38merge_sort_block_merge_config_selectorIiSE_EEEEvv,"axG",@progbits,_ZN7rocprim17ROCPRIM_400000_NS6detail44device_merge_sort_compile_time_verifier_archINS1_11comp_targetILNS1_3genE9ELNS1_11target_archE1100ELNS1_3gpuE3ELNS1_3repE0EEES8_NS1_28merge_sort_block_sort_configILj256ELj4ELNS0_20block_sort_algorithmE0EEENS0_14default_configENS1_37merge_sort_block_sort_config_selectorIiNS0_10empty_typeEEENS1_38merge_sort_block_merge_config_selectorIiSE_EEEEvv,comdat
	.protected	_ZN7rocprim17ROCPRIM_400000_NS6detail44device_merge_sort_compile_time_verifier_archINS1_11comp_targetILNS1_3genE9ELNS1_11target_archE1100ELNS1_3gpuE3ELNS1_3repE0EEES8_NS1_28merge_sort_block_sort_configILj256ELj4ELNS0_20block_sort_algorithmE0EEENS0_14default_configENS1_37merge_sort_block_sort_config_selectorIiNS0_10empty_typeEEENS1_38merge_sort_block_merge_config_selectorIiSE_EEEEvv ; -- Begin function _ZN7rocprim17ROCPRIM_400000_NS6detail44device_merge_sort_compile_time_verifier_archINS1_11comp_targetILNS1_3genE9ELNS1_11target_archE1100ELNS1_3gpuE3ELNS1_3repE0EEES8_NS1_28merge_sort_block_sort_configILj256ELj4ELNS0_20block_sort_algorithmE0EEENS0_14default_configENS1_37merge_sort_block_sort_config_selectorIiNS0_10empty_typeEEENS1_38merge_sort_block_merge_config_selectorIiSE_EEEEvv
	.globl	_ZN7rocprim17ROCPRIM_400000_NS6detail44device_merge_sort_compile_time_verifier_archINS1_11comp_targetILNS1_3genE9ELNS1_11target_archE1100ELNS1_3gpuE3ELNS1_3repE0EEES8_NS1_28merge_sort_block_sort_configILj256ELj4ELNS0_20block_sort_algorithmE0EEENS0_14default_configENS1_37merge_sort_block_sort_config_selectorIiNS0_10empty_typeEEENS1_38merge_sort_block_merge_config_selectorIiSE_EEEEvv
	.p2align	8
	.type	_ZN7rocprim17ROCPRIM_400000_NS6detail44device_merge_sort_compile_time_verifier_archINS1_11comp_targetILNS1_3genE9ELNS1_11target_archE1100ELNS1_3gpuE3ELNS1_3repE0EEES8_NS1_28merge_sort_block_sort_configILj256ELj4ELNS0_20block_sort_algorithmE0EEENS0_14default_configENS1_37merge_sort_block_sort_config_selectorIiNS0_10empty_typeEEENS1_38merge_sort_block_merge_config_selectorIiSE_EEEEvv,@function
_ZN7rocprim17ROCPRIM_400000_NS6detail44device_merge_sort_compile_time_verifier_archINS1_11comp_targetILNS1_3genE9ELNS1_11target_archE1100ELNS1_3gpuE3ELNS1_3repE0EEES8_NS1_28merge_sort_block_sort_configILj256ELj4ELNS0_20block_sort_algorithmE0EEENS0_14default_configENS1_37merge_sort_block_sort_config_selectorIiNS0_10empty_typeEEENS1_38merge_sort_block_merge_config_selectorIiSE_EEEEvv: ; @_ZN7rocprim17ROCPRIM_400000_NS6detail44device_merge_sort_compile_time_verifier_archINS1_11comp_targetILNS1_3genE9ELNS1_11target_archE1100ELNS1_3gpuE3ELNS1_3repE0EEES8_NS1_28merge_sort_block_sort_configILj256ELj4ELNS0_20block_sort_algorithmE0EEENS0_14default_configENS1_37merge_sort_block_sort_config_selectorIiNS0_10empty_typeEEENS1_38merge_sort_block_merge_config_selectorIiSE_EEEEvv
; %bb.0:
	s_endpgm
	.section	.rodata,"a",@progbits
	.p2align	6, 0x0
	.amdhsa_kernel _ZN7rocprim17ROCPRIM_400000_NS6detail44device_merge_sort_compile_time_verifier_archINS1_11comp_targetILNS1_3genE9ELNS1_11target_archE1100ELNS1_3gpuE3ELNS1_3repE0EEES8_NS1_28merge_sort_block_sort_configILj256ELj4ELNS0_20block_sort_algorithmE0EEENS0_14default_configENS1_37merge_sort_block_sort_config_selectorIiNS0_10empty_typeEEENS1_38merge_sort_block_merge_config_selectorIiSE_EEEEvv
		.amdhsa_group_segment_fixed_size 0
		.amdhsa_private_segment_fixed_size 0
		.amdhsa_kernarg_size 0
		.amdhsa_user_sgpr_count 0
		.amdhsa_user_sgpr_dispatch_ptr 0
		.amdhsa_user_sgpr_queue_ptr 0
		.amdhsa_user_sgpr_kernarg_segment_ptr 0
		.amdhsa_user_sgpr_dispatch_id 0
		.amdhsa_user_sgpr_kernarg_preload_length 0
		.amdhsa_user_sgpr_kernarg_preload_offset 0
		.amdhsa_user_sgpr_private_segment_size 0
		.amdhsa_uses_dynamic_stack 0
		.amdhsa_enable_private_segment 0
		.amdhsa_system_sgpr_workgroup_id_x 1
		.amdhsa_system_sgpr_workgroup_id_y 0
		.amdhsa_system_sgpr_workgroup_id_z 0
		.amdhsa_system_sgpr_workgroup_info 0
		.amdhsa_system_vgpr_workitem_id 0
		.amdhsa_next_free_vgpr 1
		.amdhsa_next_free_sgpr 0
		.amdhsa_accum_offset 4
		.amdhsa_reserve_vcc 0
		.amdhsa_float_round_mode_32 0
		.amdhsa_float_round_mode_16_64 0
		.amdhsa_float_denorm_mode_32 3
		.amdhsa_float_denorm_mode_16_64 3
		.amdhsa_dx10_clamp 1
		.amdhsa_ieee_mode 1
		.amdhsa_fp16_overflow 0
		.amdhsa_tg_split 0
		.amdhsa_exception_fp_ieee_invalid_op 0
		.amdhsa_exception_fp_denorm_src 0
		.amdhsa_exception_fp_ieee_div_zero 0
		.amdhsa_exception_fp_ieee_overflow 0
		.amdhsa_exception_fp_ieee_underflow 0
		.amdhsa_exception_fp_ieee_inexact 0
		.amdhsa_exception_int_div_zero 0
	.end_amdhsa_kernel
	.section	.text._ZN7rocprim17ROCPRIM_400000_NS6detail44device_merge_sort_compile_time_verifier_archINS1_11comp_targetILNS1_3genE9ELNS1_11target_archE1100ELNS1_3gpuE3ELNS1_3repE0EEES8_NS1_28merge_sort_block_sort_configILj256ELj4ELNS0_20block_sort_algorithmE0EEENS0_14default_configENS1_37merge_sort_block_sort_config_selectorIiNS0_10empty_typeEEENS1_38merge_sort_block_merge_config_selectorIiSE_EEEEvv,"axG",@progbits,_ZN7rocprim17ROCPRIM_400000_NS6detail44device_merge_sort_compile_time_verifier_archINS1_11comp_targetILNS1_3genE9ELNS1_11target_archE1100ELNS1_3gpuE3ELNS1_3repE0EEES8_NS1_28merge_sort_block_sort_configILj256ELj4ELNS0_20block_sort_algorithmE0EEENS0_14default_configENS1_37merge_sort_block_sort_config_selectorIiNS0_10empty_typeEEENS1_38merge_sort_block_merge_config_selectorIiSE_EEEEvv,comdat
.Lfunc_end1612:
	.size	_ZN7rocprim17ROCPRIM_400000_NS6detail44device_merge_sort_compile_time_verifier_archINS1_11comp_targetILNS1_3genE9ELNS1_11target_archE1100ELNS1_3gpuE3ELNS1_3repE0EEES8_NS1_28merge_sort_block_sort_configILj256ELj4ELNS0_20block_sort_algorithmE0EEENS0_14default_configENS1_37merge_sort_block_sort_config_selectorIiNS0_10empty_typeEEENS1_38merge_sort_block_merge_config_selectorIiSE_EEEEvv, .Lfunc_end1612-_ZN7rocprim17ROCPRIM_400000_NS6detail44device_merge_sort_compile_time_verifier_archINS1_11comp_targetILNS1_3genE9ELNS1_11target_archE1100ELNS1_3gpuE3ELNS1_3repE0EEES8_NS1_28merge_sort_block_sort_configILj256ELj4ELNS0_20block_sort_algorithmE0EEENS0_14default_configENS1_37merge_sort_block_sort_config_selectorIiNS0_10empty_typeEEENS1_38merge_sort_block_merge_config_selectorIiSE_EEEEvv
                                        ; -- End function
	.section	.AMDGPU.csdata,"",@progbits
; Kernel info:
; codeLenInByte = 4
; NumSgprs: 6
; NumVgprs: 0
; NumAgprs: 0
; TotalNumVgprs: 0
; ScratchSize: 0
; MemoryBound: 0
; FloatMode: 240
; IeeeMode: 1
; LDSByteSize: 0 bytes/workgroup (compile time only)
; SGPRBlocks: 0
; VGPRBlocks: 0
; NumSGPRsForWavesPerEU: 6
; NumVGPRsForWavesPerEU: 1
; AccumOffset: 4
; Occupancy: 8
; WaveLimiterHint : 0
; COMPUTE_PGM_RSRC2:SCRATCH_EN: 0
; COMPUTE_PGM_RSRC2:USER_SGPR: 0
; COMPUTE_PGM_RSRC2:TRAP_HANDLER: 0
; COMPUTE_PGM_RSRC2:TGID_X_EN: 1
; COMPUTE_PGM_RSRC2:TGID_Y_EN: 0
; COMPUTE_PGM_RSRC2:TGID_Z_EN: 0
; COMPUTE_PGM_RSRC2:TIDIG_COMP_CNT: 0
; COMPUTE_PGM_RSRC3_GFX90A:ACCUM_OFFSET: 0
; COMPUTE_PGM_RSRC3_GFX90A:TG_SPLIT: 0
	.section	.text._ZN7rocprim17ROCPRIM_400000_NS6detail44device_merge_sort_compile_time_verifier_archINS1_11comp_targetILNS1_3genE8ELNS1_11target_archE1030ELNS1_3gpuE2ELNS1_3repE0EEES8_NS1_28merge_sort_block_sort_configILj256ELj4ELNS0_20block_sort_algorithmE0EEENS0_14default_configENS1_37merge_sort_block_sort_config_selectorIiNS0_10empty_typeEEENS1_38merge_sort_block_merge_config_selectorIiSE_EEEEvv,"axG",@progbits,_ZN7rocprim17ROCPRIM_400000_NS6detail44device_merge_sort_compile_time_verifier_archINS1_11comp_targetILNS1_3genE8ELNS1_11target_archE1030ELNS1_3gpuE2ELNS1_3repE0EEES8_NS1_28merge_sort_block_sort_configILj256ELj4ELNS0_20block_sort_algorithmE0EEENS0_14default_configENS1_37merge_sort_block_sort_config_selectorIiNS0_10empty_typeEEENS1_38merge_sort_block_merge_config_selectorIiSE_EEEEvv,comdat
	.protected	_ZN7rocprim17ROCPRIM_400000_NS6detail44device_merge_sort_compile_time_verifier_archINS1_11comp_targetILNS1_3genE8ELNS1_11target_archE1030ELNS1_3gpuE2ELNS1_3repE0EEES8_NS1_28merge_sort_block_sort_configILj256ELj4ELNS0_20block_sort_algorithmE0EEENS0_14default_configENS1_37merge_sort_block_sort_config_selectorIiNS0_10empty_typeEEENS1_38merge_sort_block_merge_config_selectorIiSE_EEEEvv ; -- Begin function _ZN7rocprim17ROCPRIM_400000_NS6detail44device_merge_sort_compile_time_verifier_archINS1_11comp_targetILNS1_3genE8ELNS1_11target_archE1030ELNS1_3gpuE2ELNS1_3repE0EEES8_NS1_28merge_sort_block_sort_configILj256ELj4ELNS0_20block_sort_algorithmE0EEENS0_14default_configENS1_37merge_sort_block_sort_config_selectorIiNS0_10empty_typeEEENS1_38merge_sort_block_merge_config_selectorIiSE_EEEEvv
	.globl	_ZN7rocprim17ROCPRIM_400000_NS6detail44device_merge_sort_compile_time_verifier_archINS1_11comp_targetILNS1_3genE8ELNS1_11target_archE1030ELNS1_3gpuE2ELNS1_3repE0EEES8_NS1_28merge_sort_block_sort_configILj256ELj4ELNS0_20block_sort_algorithmE0EEENS0_14default_configENS1_37merge_sort_block_sort_config_selectorIiNS0_10empty_typeEEENS1_38merge_sort_block_merge_config_selectorIiSE_EEEEvv
	.p2align	8
	.type	_ZN7rocprim17ROCPRIM_400000_NS6detail44device_merge_sort_compile_time_verifier_archINS1_11comp_targetILNS1_3genE8ELNS1_11target_archE1030ELNS1_3gpuE2ELNS1_3repE0EEES8_NS1_28merge_sort_block_sort_configILj256ELj4ELNS0_20block_sort_algorithmE0EEENS0_14default_configENS1_37merge_sort_block_sort_config_selectorIiNS0_10empty_typeEEENS1_38merge_sort_block_merge_config_selectorIiSE_EEEEvv,@function
_ZN7rocprim17ROCPRIM_400000_NS6detail44device_merge_sort_compile_time_verifier_archINS1_11comp_targetILNS1_3genE8ELNS1_11target_archE1030ELNS1_3gpuE2ELNS1_3repE0EEES8_NS1_28merge_sort_block_sort_configILj256ELj4ELNS0_20block_sort_algorithmE0EEENS0_14default_configENS1_37merge_sort_block_sort_config_selectorIiNS0_10empty_typeEEENS1_38merge_sort_block_merge_config_selectorIiSE_EEEEvv: ; @_ZN7rocprim17ROCPRIM_400000_NS6detail44device_merge_sort_compile_time_verifier_archINS1_11comp_targetILNS1_3genE8ELNS1_11target_archE1030ELNS1_3gpuE2ELNS1_3repE0EEES8_NS1_28merge_sort_block_sort_configILj256ELj4ELNS0_20block_sort_algorithmE0EEENS0_14default_configENS1_37merge_sort_block_sort_config_selectorIiNS0_10empty_typeEEENS1_38merge_sort_block_merge_config_selectorIiSE_EEEEvv
; %bb.0:
	s_endpgm
	.section	.rodata,"a",@progbits
	.p2align	6, 0x0
	.amdhsa_kernel _ZN7rocprim17ROCPRIM_400000_NS6detail44device_merge_sort_compile_time_verifier_archINS1_11comp_targetILNS1_3genE8ELNS1_11target_archE1030ELNS1_3gpuE2ELNS1_3repE0EEES8_NS1_28merge_sort_block_sort_configILj256ELj4ELNS0_20block_sort_algorithmE0EEENS0_14default_configENS1_37merge_sort_block_sort_config_selectorIiNS0_10empty_typeEEENS1_38merge_sort_block_merge_config_selectorIiSE_EEEEvv
		.amdhsa_group_segment_fixed_size 0
		.amdhsa_private_segment_fixed_size 0
		.amdhsa_kernarg_size 0
		.amdhsa_user_sgpr_count 0
		.amdhsa_user_sgpr_dispatch_ptr 0
		.amdhsa_user_sgpr_queue_ptr 0
		.amdhsa_user_sgpr_kernarg_segment_ptr 0
		.amdhsa_user_sgpr_dispatch_id 0
		.amdhsa_user_sgpr_kernarg_preload_length 0
		.amdhsa_user_sgpr_kernarg_preload_offset 0
		.amdhsa_user_sgpr_private_segment_size 0
		.amdhsa_uses_dynamic_stack 0
		.amdhsa_enable_private_segment 0
		.amdhsa_system_sgpr_workgroup_id_x 1
		.amdhsa_system_sgpr_workgroup_id_y 0
		.amdhsa_system_sgpr_workgroup_id_z 0
		.amdhsa_system_sgpr_workgroup_info 0
		.amdhsa_system_vgpr_workitem_id 0
		.amdhsa_next_free_vgpr 1
		.amdhsa_next_free_sgpr 0
		.amdhsa_accum_offset 4
		.amdhsa_reserve_vcc 0
		.amdhsa_float_round_mode_32 0
		.amdhsa_float_round_mode_16_64 0
		.amdhsa_float_denorm_mode_32 3
		.amdhsa_float_denorm_mode_16_64 3
		.amdhsa_dx10_clamp 1
		.amdhsa_ieee_mode 1
		.amdhsa_fp16_overflow 0
		.amdhsa_tg_split 0
		.amdhsa_exception_fp_ieee_invalid_op 0
		.amdhsa_exception_fp_denorm_src 0
		.amdhsa_exception_fp_ieee_div_zero 0
		.amdhsa_exception_fp_ieee_overflow 0
		.amdhsa_exception_fp_ieee_underflow 0
		.amdhsa_exception_fp_ieee_inexact 0
		.amdhsa_exception_int_div_zero 0
	.end_amdhsa_kernel
	.section	.text._ZN7rocprim17ROCPRIM_400000_NS6detail44device_merge_sort_compile_time_verifier_archINS1_11comp_targetILNS1_3genE8ELNS1_11target_archE1030ELNS1_3gpuE2ELNS1_3repE0EEES8_NS1_28merge_sort_block_sort_configILj256ELj4ELNS0_20block_sort_algorithmE0EEENS0_14default_configENS1_37merge_sort_block_sort_config_selectorIiNS0_10empty_typeEEENS1_38merge_sort_block_merge_config_selectorIiSE_EEEEvv,"axG",@progbits,_ZN7rocprim17ROCPRIM_400000_NS6detail44device_merge_sort_compile_time_verifier_archINS1_11comp_targetILNS1_3genE8ELNS1_11target_archE1030ELNS1_3gpuE2ELNS1_3repE0EEES8_NS1_28merge_sort_block_sort_configILj256ELj4ELNS0_20block_sort_algorithmE0EEENS0_14default_configENS1_37merge_sort_block_sort_config_selectorIiNS0_10empty_typeEEENS1_38merge_sort_block_merge_config_selectorIiSE_EEEEvv,comdat
.Lfunc_end1613:
	.size	_ZN7rocprim17ROCPRIM_400000_NS6detail44device_merge_sort_compile_time_verifier_archINS1_11comp_targetILNS1_3genE8ELNS1_11target_archE1030ELNS1_3gpuE2ELNS1_3repE0EEES8_NS1_28merge_sort_block_sort_configILj256ELj4ELNS0_20block_sort_algorithmE0EEENS0_14default_configENS1_37merge_sort_block_sort_config_selectorIiNS0_10empty_typeEEENS1_38merge_sort_block_merge_config_selectorIiSE_EEEEvv, .Lfunc_end1613-_ZN7rocprim17ROCPRIM_400000_NS6detail44device_merge_sort_compile_time_verifier_archINS1_11comp_targetILNS1_3genE8ELNS1_11target_archE1030ELNS1_3gpuE2ELNS1_3repE0EEES8_NS1_28merge_sort_block_sort_configILj256ELj4ELNS0_20block_sort_algorithmE0EEENS0_14default_configENS1_37merge_sort_block_sort_config_selectorIiNS0_10empty_typeEEENS1_38merge_sort_block_merge_config_selectorIiSE_EEEEvv
                                        ; -- End function
	.section	.AMDGPU.csdata,"",@progbits
; Kernel info:
; codeLenInByte = 4
; NumSgprs: 6
; NumVgprs: 0
; NumAgprs: 0
; TotalNumVgprs: 0
; ScratchSize: 0
; MemoryBound: 0
; FloatMode: 240
; IeeeMode: 1
; LDSByteSize: 0 bytes/workgroup (compile time only)
; SGPRBlocks: 0
; VGPRBlocks: 0
; NumSGPRsForWavesPerEU: 6
; NumVGPRsForWavesPerEU: 1
; AccumOffset: 4
; Occupancy: 8
; WaveLimiterHint : 0
; COMPUTE_PGM_RSRC2:SCRATCH_EN: 0
; COMPUTE_PGM_RSRC2:USER_SGPR: 0
; COMPUTE_PGM_RSRC2:TRAP_HANDLER: 0
; COMPUTE_PGM_RSRC2:TGID_X_EN: 1
; COMPUTE_PGM_RSRC2:TGID_Y_EN: 0
; COMPUTE_PGM_RSRC2:TGID_Z_EN: 0
; COMPUTE_PGM_RSRC2:TIDIG_COMP_CNT: 0
; COMPUTE_PGM_RSRC3_GFX90A:ACCUM_OFFSET: 0
; COMPUTE_PGM_RSRC3_GFX90A:TG_SPLIT: 0
	.section	.text._ZN7rocprim17ROCPRIM_400000_NS6detail17trampoline_kernelINS0_14default_configENS1_38merge_sort_block_merge_config_selectorIiNS0_10empty_typeEEEZZNS1_27merge_sort_block_merge_implIS3_N6thrust23THRUST_200600_302600_NS6detail15normal_iteratorINS9_10device_ptrIiEEEEPS5_jNS1_19radix_merge_compareILb0ELb0EiNS0_19identity_decomposerEEEEE10hipError_tT0_T1_T2_jT3_P12ihipStream_tbPNSt15iterator_traitsISK_E10value_typeEPNSQ_ISL_E10value_typeEPSM_NS1_7vsmem_tEENKUlT_SK_SL_SM_E_clIPiSE_SF_SF_EESJ_SZ_SK_SL_SM_EUlSZ_E_NS1_11comp_targetILNS1_3genE0ELNS1_11target_archE4294967295ELNS1_3gpuE0ELNS1_3repE0EEENS1_48merge_mergepath_partition_config_static_selectorELNS0_4arch9wavefront6targetE1EEEvSL_,"axG",@progbits,_ZN7rocprim17ROCPRIM_400000_NS6detail17trampoline_kernelINS0_14default_configENS1_38merge_sort_block_merge_config_selectorIiNS0_10empty_typeEEEZZNS1_27merge_sort_block_merge_implIS3_N6thrust23THRUST_200600_302600_NS6detail15normal_iteratorINS9_10device_ptrIiEEEEPS5_jNS1_19radix_merge_compareILb0ELb0EiNS0_19identity_decomposerEEEEE10hipError_tT0_T1_T2_jT3_P12ihipStream_tbPNSt15iterator_traitsISK_E10value_typeEPNSQ_ISL_E10value_typeEPSM_NS1_7vsmem_tEENKUlT_SK_SL_SM_E_clIPiSE_SF_SF_EESJ_SZ_SK_SL_SM_EUlSZ_E_NS1_11comp_targetILNS1_3genE0ELNS1_11target_archE4294967295ELNS1_3gpuE0ELNS1_3repE0EEENS1_48merge_mergepath_partition_config_static_selectorELNS0_4arch9wavefront6targetE1EEEvSL_,comdat
	.protected	_ZN7rocprim17ROCPRIM_400000_NS6detail17trampoline_kernelINS0_14default_configENS1_38merge_sort_block_merge_config_selectorIiNS0_10empty_typeEEEZZNS1_27merge_sort_block_merge_implIS3_N6thrust23THRUST_200600_302600_NS6detail15normal_iteratorINS9_10device_ptrIiEEEEPS5_jNS1_19radix_merge_compareILb0ELb0EiNS0_19identity_decomposerEEEEE10hipError_tT0_T1_T2_jT3_P12ihipStream_tbPNSt15iterator_traitsISK_E10value_typeEPNSQ_ISL_E10value_typeEPSM_NS1_7vsmem_tEENKUlT_SK_SL_SM_E_clIPiSE_SF_SF_EESJ_SZ_SK_SL_SM_EUlSZ_E_NS1_11comp_targetILNS1_3genE0ELNS1_11target_archE4294967295ELNS1_3gpuE0ELNS1_3repE0EEENS1_48merge_mergepath_partition_config_static_selectorELNS0_4arch9wavefront6targetE1EEEvSL_ ; -- Begin function _ZN7rocprim17ROCPRIM_400000_NS6detail17trampoline_kernelINS0_14default_configENS1_38merge_sort_block_merge_config_selectorIiNS0_10empty_typeEEEZZNS1_27merge_sort_block_merge_implIS3_N6thrust23THRUST_200600_302600_NS6detail15normal_iteratorINS9_10device_ptrIiEEEEPS5_jNS1_19radix_merge_compareILb0ELb0EiNS0_19identity_decomposerEEEEE10hipError_tT0_T1_T2_jT3_P12ihipStream_tbPNSt15iterator_traitsISK_E10value_typeEPNSQ_ISL_E10value_typeEPSM_NS1_7vsmem_tEENKUlT_SK_SL_SM_E_clIPiSE_SF_SF_EESJ_SZ_SK_SL_SM_EUlSZ_E_NS1_11comp_targetILNS1_3genE0ELNS1_11target_archE4294967295ELNS1_3gpuE0ELNS1_3repE0EEENS1_48merge_mergepath_partition_config_static_selectorELNS0_4arch9wavefront6targetE1EEEvSL_
	.globl	_ZN7rocprim17ROCPRIM_400000_NS6detail17trampoline_kernelINS0_14default_configENS1_38merge_sort_block_merge_config_selectorIiNS0_10empty_typeEEEZZNS1_27merge_sort_block_merge_implIS3_N6thrust23THRUST_200600_302600_NS6detail15normal_iteratorINS9_10device_ptrIiEEEEPS5_jNS1_19radix_merge_compareILb0ELb0EiNS0_19identity_decomposerEEEEE10hipError_tT0_T1_T2_jT3_P12ihipStream_tbPNSt15iterator_traitsISK_E10value_typeEPNSQ_ISL_E10value_typeEPSM_NS1_7vsmem_tEENKUlT_SK_SL_SM_E_clIPiSE_SF_SF_EESJ_SZ_SK_SL_SM_EUlSZ_E_NS1_11comp_targetILNS1_3genE0ELNS1_11target_archE4294967295ELNS1_3gpuE0ELNS1_3repE0EEENS1_48merge_mergepath_partition_config_static_selectorELNS0_4arch9wavefront6targetE1EEEvSL_
	.p2align	8
	.type	_ZN7rocprim17ROCPRIM_400000_NS6detail17trampoline_kernelINS0_14default_configENS1_38merge_sort_block_merge_config_selectorIiNS0_10empty_typeEEEZZNS1_27merge_sort_block_merge_implIS3_N6thrust23THRUST_200600_302600_NS6detail15normal_iteratorINS9_10device_ptrIiEEEEPS5_jNS1_19radix_merge_compareILb0ELb0EiNS0_19identity_decomposerEEEEE10hipError_tT0_T1_T2_jT3_P12ihipStream_tbPNSt15iterator_traitsISK_E10value_typeEPNSQ_ISL_E10value_typeEPSM_NS1_7vsmem_tEENKUlT_SK_SL_SM_E_clIPiSE_SF_SF_EESJ_SZ_SK_SL_SM_EUlSZ_E_NS1_11comp_targetILNS1_3genE0ELNS1_11target_archE4294967295ELNS1_3gpuE0ELNS1_3repE0EEENS1_48merge_mergepath_partition_config_static_selectorELNS0_4arch9wavefront6targetE1EEEvSL_,@function
_ZN7rocprim17ROCPRIM_400000_NS6detail17trampoline_kernelINS0_14default_configENS1_38merge_sort_block_merge_config_selectorIiNS0_10empty_typeEEEZZNS1_27merge_sort_block_merge_implIS3_N6thrust23THRUST_200600_302600_NS6detail15normal_iteratorINS9_10device_ptrIiEEEEPS5_jNS1_19radix_merge_compareILb0ELb0EiNS0_19identity_decomposerEEEEE10hipError_tT0_T1_T2_jT3_P12ihipStream_tbPNSt15iterator_traitsISK_E10value_typeEPNSQ_ISL_E10value_typeEPSM_NS1_7vsmem_tEENKUlT_SK_SL_SM_E_clIPiSE_SF_SF_EESJ_SZ_SK_SL_SM_EUlSZ_E_NS1_11comp_targetILNS1_3genE0ELNS1_11target_archE4294967295ELNS1_3gpuE0ELNS1_3repE0EEENS1_48merge_mergepath_partition_config_static_selectorELNS0_4arch9wavefront6targetE1EEEvSL_: ; @_ZN7rocprim17ROCPRIM_400000_NS6detail17trampoline_kernelINS0_14default_configENS1_38merge_sort_block_merge_config_selectorIiNS0_10empty_typeEEEZZNS1_27merge_sort_block_merge_implIS3_N6thrust23THRUST_200600_302600_NS6detail15normal_iteratorINS9_10device_ptrIiEEEEPS5_jNS1_19radix_merge_compareILb0ELb0EiNS0_19identity_decomposerEEEEE10hipError_tT0_T1_T2_jT3_P12ihipStream_tbPNSt15iterator_traitsISK_E10value_typeEPNSQ_ISL_E10value_typeEPSM_NS1_7vsmem_tEENKUlT_SK_SL_SM_E_clIPiSE_SF_SF_EESJ_SZ_SK_SL_SM_EUlSZ_E_NS1_11comp_targetILNS1_3genE0ELNS1_11target_archE4294967295ELNS1_3gpuE0ELNS1_3repE0EEENS1_48merge_mergepath_partition_config_static_selectorELNS0_4arch9wavefront6targetE1EEEvSL_
; %bb.0:
	.section	.rodata,"a",@progbits
	.p2align	6, 0x0
	.amdhsa_kernel _ZN7rocprim17ROCPRIM_400000_NS6detail17trampoline_kernelINS0_14default_configENS1_38merge_sort_block_merge_config_selectorIiNS0_10empty_typeEEEZZNS1_27merge_sort_block_merge_implIS3_N6thrust23THRUST_200600_302600_NS6detail15normal_iteratorINS9_10device_ptrIiEEEEPS5_jNS1_19radix_merge_compareILb0ELb0EiNS0_19identity_decomposerEEEEE10hipError_tT0_T1_T2_jT3_P12ihipStream_tbPNSt15iterator_traitsISK_E10value_typeEPNSQ_ISL_E10value_typeEPSM_NS1_7vsmem_tEENKUlT_SK_SL_SM_E_clIPiSE_SF_SF_EESJ_SZ_SK_SL_SM_EUlSZ_E_NS1_11comp_targetILNS1_3genE0ELNS1_11target_archE4294967295ELNS1_3gpuE0ELNS1_3repE0EEENS1_48merge_mergepath_partition_config_static_selectorELNS0_4arch9wavefront6targetE1EEEvSL_
		.amdhsa_group_segment_fixed_size 0
		.amdhsa_private_segment_fixed_size 0
		.amdhsa_kernarg_size 40
		.amdhsa_user_sgpr_count 2
		.amdhsa_user_sgpr_dispatch_ptr 0
		.amdhsa_user_sgpr_queue_ptr 0
		.amdhsa_user_sgpr_kernarg_segment_ptr 1
		.amdhsa_user_sgpr_dispatch_id 0
		.amdhsa_user_sgpr_kernarg_preload_length 0
		.amdhsa_user_sgpr_kernarg_preload_offset 0
		.amdhsa_user_sgpr_private_segment_size 0
		.amdhsa_uses_dynamic_stack 0
		.amdhsa_enable_private_segment 0
		.amdhsa_system_sgpr_workgroup_id_x 1
		.amdhsa_system_sgpr_workgroup_id_y 0
		.amdhsa_system_sgpr_workgroup_id_z 0
		.amdhsa_system_sgpr_workgroup_info 0
		.amdhsa_system_vgpr_workitem_id 0
		.amdhsa_next_free_vgpr 1
		.amdhsa_next_free_sgpr 0
		.amdhsa_accum_offset 4
		.amdhsa_reserve_vcc 0
		.amdhsa_float_round_mode_32 0
		.amdhsa_float_round_mode_16_64 0
		.amdhsa_float_denorm_mode_32 3
		.amdhsa_float_denorm_mode_16_64 3
		.amdhsa_dx10_clamp 1
		.amdhsa_ieee_mode 1
		.amdhsa_fp16_overflow 0
		.amdhsa_tg_split 0
		.amdhsa_exception_fp_ieee_invalid_op 0
		.amdhsa_exception_fp_denorm_src 0
		.amdhsa_exception_fp_ieee_div_zero 0
		.amdhsa_exception_fp_ieee_overflow 0
		.amdhsa_exception_fp_ieee_underflow 0
		.amdhsa_exception_fp_ieee_inexact 0
		.amdhsa_exception_int_div_zero 0
	.end_amdhsa_kernel
	.section	.text._ZN7rocprim17ROCPRIM_400000_NS6detail17trampoline_kernelINS0_14default_configENS1_38merge_sort_block_merge_config_selectorIiNS0_10empty_typeEEEZZNS1_27merge_sort_block_merge_implIS3_N6thrust23THRUST_200600_302600_NS6detail15normal_iteratorINS9_10device_ptrIiEEEEPS5_jNS1_19radix_merge_compareILb0ELb0EiNS0_19identity_decomposerEEEEE10hipError_tT0_T1_T2_jT3_P12ihipStream_tbPNSt15iterator_traitsISK_E10value_typeEPNSQ_ISL_E10value_typeEPSM_NS1_7vsmem_tEENKUlT_SK_SL_SM_E_clIPiSE_SF_SF_EESJ_SZ_SK_SL_SM_EUlSZ_E_NS1_11comp_targetILNS1_3genE0ELNS1_11target_archE4294967295ELNS1_3gpuE0ELNS1_3repE0EEENS1_48merge_mergepath_partition_config_static_selectorELNS0_4arch9wavefront6targetE1EEEvSL_,"axG",@progbits,_ZN7rocprim17ROCPRIM_400000_NS6detail17trampoline_kernelINS0_14default_configENS1_38merge_sort_block_merge_config_selectorIiNS0_10empty_typeEEEZZNS1_27merge_sort_block_merge_implIS3_N6thrust23THRUST_200600_302600_NS6detail15normal_iteratorINS9_10device_ptrIiEEEEPS5_jNS1_19radix_merge_compareILb0ELb0EiNS0_19identity_decomposerEEEEE10hipError_tT0_T1_T2_jT3_P12ihipStream_tbPNSt15iterator_traitsISK_E10value_typeEPNSQ_ISL_E10value_typeEPSM_NS1_7vsmem_tEENKUlT_SK_SL_SM_E_clIPiSE_SF_SF_EESJ_SZ_SK_SL_SM_EUlSZ_E_NS1_11comp_targetILNS1_3genE0ELNS1_11target_archE4294967295ELNS1_3gpuE0ELNS1_3repE0EEENS1_48merge_mergepath_partition_config_static_selectorELNS0_4arch9wavefront6targetE1EEEvSL_,comdat
.Lfunc_end1614:
	.size	_ZN7rocprim17ROCPRIM_400000_NS6detail17trampoline_kernelINS0_14default_configENS1_38merge_sort_block_merge_config_selectorIiNS0_10empty_typeEEEZZNS1_27merge_sort_block_merge_implIS3_N6thrust23THRUST_200600_302600_NS6detail15normal_iteratorINS9_10device_ptrIiEEEEPS5_jNS1_19radix_merge_compareILb0ELb0EiNS0_19identity_decomposerEEEEE10hipError_tT0_T1_T2_jT3_P12ihipStream_tbPNSt15iterator_traitsISK_E10value_typeEPNSQ_ISL_E10value_typeEPSM_NS1_7vsmem_tEENKUlT_SK_SL_SM_E_clIPiSE_SF_SF_EESJ_SZ_SK_SL_SM_EUlSZ_E_NS1_11comp_targetILNS1_3genE0ELNS1_11target_archE4294967295ELNS1_3gpuE0ELNS1_3repE0EEENS1_48merge_mergepath_partition_config_static_selectorELNS0_4arch9wavefront6targetE1EEEvSL_, .Lfunc_end1614-_ZN7rocprim17ROCPRIM_400000_NS6detail17trampoline_kernelINS0_14default_configENS1_38merge_sort_block_merge_config_selectorIiNS0_10empty_typeEEEZZNS1_27merge_sort_block_merge_implIS3_N6thrust23THRUST_200600_302600_NS6detail15normal_iteratorINS9_10device_ptrIiEEEEPS5_jNS1_19radix_merge_compareILb0ELb0EiNS0_19identity_decomposerEEEEE10hipError_tT0_T1_T2_jT3_P12ihipStream_tbPNSt15iterator_traitsISK_E10value_typeEPNSQ_ISL_E10value_typeEPSM_NS1_7vsmem_tEENKUlT_SK_SL_SM_E_clIPiSE_SF_SF_EESJ_SZ_SK_SL_SM_EUlSZ_E_NS1_11comp_targetILNS1_3genE0ELNS1_11target_archE4294967295ELNS1_3gpuE0ELNS1_3repE0EEENS1_48merge_mergepath_partition_config_static_selectorELNS0_4arch9wavefront6targetE1EEEvSL_
                                        ; -- End function
	.section	.AMDGPU.csdata,"",@progbits
; Kernel info:
; codeLenInByte = 0
; NumSgprs: 6
; NumVgprs: 0
; NumAgprs: 0
; TotalNumVgprs: 0
; ScratchSize: 0
; MemoryBound: 0
; FloatMode: 240
; IeeeMode: 1
; LDSByteSize: 0 bytes/workgroup (compile time only)
; SGPRBlocks: 0
; VGPRBlocks: 0
; NumSGPRsForWavesPerEU: 6
; NumVGPRsForWavesPerEU: 1
; AccumOffset: 4
; Occupancy: 8
; WaveLimiterHint : 0
; COMPUTE_PGM_RSRC2:SCRATCH_EN: 0
; COMPUTE_PGM_RSRC2:USER_SGPR: 2
; COMPUTE_PGM_RSRC2:TRAP_HANDLER: 0
; COMPUTE_PGM_RSRC2:TGID_X_EN: 1
; COMPUTE_PGM_RSRC2:TGID_Y_EN: 0
; COMPUTE_PGM_RSRC2:TGID_Z_EN: 0
; COMPUTE_PGM_RSRC2:TIDIG_COMP_CNT: 0
; COMPUTE_PGM_RSRC3_GFX90A:ACCUM_OFFSET: 0
; COMPUTE_PGM_RSRC3_GFX90A:TG_SPLIT: 0
	.section	.text._ZN7rocprim17ROCPRIM_400000_NS6detail17trampoline_kernelINS0_14default_configENS1_38merge_sort_block_merge_config_selectorIiNS0_10empty_typeEEEZZNS1_27merge_sort_block_merge_implIS3_N6thrust23THRUST_200600_302600_NS6detail15normal_iteratorINS9_10device_ptrIiEEEEPS5_jNS1_19radix_merge_compareILb0ELb0EiNS0_19identity_decomposerEEEEE10hipError_tT0_T1_T2_jT3_P12ihipStream_tbPNSt15iterator_traitsISK_E10value_typeEPNSQ_ISL_E10value_typeEPSM_NS1_7vsmem_tEENKUlT_SK_SL_SM_E_clIPiSE_SF_SF_EESJ_SZ_SK_SL_SM_EUlSZ_E_NS1_11comp_targetILNS1_3genE10ELNS1_11target_archE1201ELNS1_3gpuE5ELNS1_3repE0EEENS1_48merge_mergepath_partition_config_static_selectorELNS0_4arch9wavefront6targetE1EEEvSL_,"axG",@progbits,_ZN7rocprim17ROCPRIM_400000_NS6detail17trampoline_kernelINS0_14default_configENS1_38merge_sort_block_merge_config_selectorIiNS0_10empty_typeEEEZZNS1_27merge_sort_block_merge_implIS3_N6thrust23THRUST_200600_302600_NS6detail15normal_iteratorINS9_10device_ptrIiEEEEPS5_jNS1_19radix_merge_compareILb0ELb0EiNS0_19identity_decomposerEEEEE10hipError_tT0_T1_T2_jT3_P12ihipStream_tbPNSt15iterator_traitsISK_E10value_typeEPNSQ_ISL_E10value_typeEPSM_NS1_7vsmem_tEENKUlT_SK_SL_SM_E_clIPiSE_SF_SF_EESJ_SZ_SK_SL_SM_EUlSZ_E_NS1_11comp_targetILNS1_3genE10ELNS1_11target_archE1201ELNS1_3gpuE5ELNS1_3repE0EEENS1_48merge_mergepath_partition_config_static_selectorELNS0_4arch9wavefront6targetE1EEEvSL_,comdat
	.protected	_ZN7rocprim17ROCPRIM_400000_NS6detail17trampoline_kernelINS0_14default_configENS1_38merge_sort_block_merge_config_selectorIiNS0_10empty_typeEEEZZNS1_27merge_sort_block_merge_implIS3_N6thrust23THRUST_200600_302600_NS6detail15normal_iteratorINS9_10device_ptrIiEEEEPS5_jNS1_19radix_merge_compareILb0ELb0EiNS0_19identity_decomposerEEEEE10hipError_tT0_T1_T2_jT3_P12ihipStream_tbPNSt15iterator_traitsISK_E10value_typeEPNSQ_ISL_E10value_typeEPSM_NS1_7vsmem_tEENKUlT_SK_SL_SM_E_clIPiSE_SF_SF_EESJ_SZ_SK_SL_SM_EUlSZ_E_NS1_11comp_targetILNS1_3genE10ELNS1_11target_archE1201ELNS1_3gpuE5ELNS1_3repE0EEENS1_48merge_mergepath_partition_config_static_selectorELNS0_4arch9wavefront6targetE1EEEvSL_ ; -- Begin function _ZN7rocprim17ROCPRIM_400000_NS6detail17trampoline_kernelINS0_14default_configENS1_38merge_sort_block_merge_config_selectorIiNS0_10empty_typeEEEZZNS1_27merge_sort_block_merge_implIS3_N6thrust23THRUST_200600_302600_NS6detail15normal_iteratorINS9_10device_ptrIiEEEEPS5_jNS1_19radix_merge_compareILb0ELb0EiNS0_19identity_decomposerEEEEE10hipError_tT0_T1_T2_jT3_P12ihipStream_tbPNSt15iterator_traitsISK_E10value_typeEPNSQ_ISL_E10value_typeEPSM_NS1_7vsmem_tEENKUlT_SK_SL_SM_E_clIPiSE_SF_SF_EESJ_SZ_SK_SL_SM_EUlSZ_E_NS1_11comp_targetILNS1_3genE10ELNS1_11target_archE1201ELNS1_3gpuE5ELNS1_3repE0EEENS1_48merge_mergepath_partition_config_static_selectorELNS0_4arch9wavefront6targetE1EEEvSL_
	.globl	_ZN7rocprim17ROCPRIM_400000_NS6detail17trampoline_kernelINS0_14default_configENS1_38merge_sort_block_merge_config_selectorIiNS0_10empty_typeEEEZZNS1_27merge_sort_block_merge_implIS3_N6thrust23THRUST_200600_302600_NS6detail15normal_iteratorINS9_10device_ptrIiEEEEPS5_jNS1_19radix_merge_compareILb0ELb0EiNS0_19identity_decomposerEEEEE10hipError_tT0_T1_T2_jT3_P12ihipStream_tbPNSt15iterator_traitsISK_E10value_typeEPNSQ_ISL_E10value_typeEPSM_NS1_7vsmem_tEENKUlT_SK_SL_SM_E_clIPiSE_SF_SF_EESJ_SZ_SK_SL_SM_EUlSZ_E_NS1_11comp_targetILNS1_3genE10ELNS1_11target_archE1201ELNS1_3gpuE5ELNS1_3repE0EEENS1_48merge_mergepath_partition_config_static_selectorELNS0_4arch9wavefront6targetE1EEEvSL_
	.p2align	8
	.type	_ZN7rocprim17ROCPRIM_400000_NS6detail17trampoline_kernelINS0_14default_configENS1_38merge_sort_block_merge_config_selectorIiNS0_10empty_typeEEEZZNS1_27merge_sort_block_merge_implIS3_N6thrust23THRUST_200600_302600_NS6detail15normal_iteratorINS9_10device_ptrIiEEEEPS5_jNS1_19radix_merge_compareILb0ELb0EiNS0_19identity_decomposerEEEEE10hipError_tT0_T1_T2_jT3_P12ihipStream_tbPNSt15iterator_traitsISK_E10value_typeEPNSQ_ISL_E10value_typeEPSM_NS1_7vsmem_tEENKUlT_SK_SL_SM_E_clIPiSE_SF_SF_EESJ_SZ_SK_SL_SM_EUlSZ_E_NS1_11comp_targetILNS1_3genE10ELNS1_11target_archE1201ELNS1_3gpuE5ELNS1_3repE0EEENS1_48merge_mergepath_partition_config_static_selectorELNS0_4arch9wavefront6targetE1EEEvSL_,@function
_ZN7rocprim17ROCPRIM_400000_NS6detail17trampoline_kernelINS0_14default_configENS1_38merge_sort_block_merge_config_selectorIiNS0_10empty_typeEEEZZNS1_27merge_sort_block_merge_implIS3_N6thrust23THRUST_200600_302600_NS6detail15normal_iteratorINS9_10device_ptrIiEEEEPS5_jNS1_19radix_merge_compareILb0ELb0EiNS0_19identity_decomposerEEEEE10hipError_tT0_T1_T2_jT3_P12ihipStream_tbPNSt15iterator_traitsISK_E10value_typeEPNSQ_ISL_E10value_typeEPSM_NS1_7vsmem_tEENKUlT_SK_SL_SM_E_clIPiSE_SF_SF_EESJ_SZ_SK_SL_SM_EUlSZ_E_NS1_11comp_targetILNS1_3genE10ELNS1_11target_archE1201ELNS1_3gpuE5ELNS1_3repE0EEENS1_48merge_mergepath_partition_config_static_selectorELNS0_4arch9wavefront6targetE1EEEvSL_: ; @_ZN7rocprim17ROCPRIM_400000_NS6detail17trampoline_kernelINS0_14default_configENS1_38merge_sort_block_merge_config_selectorIiNS0_10empty_typeEEEZZNS1_27merge_sort_block_merge_implIS3_N6thrust23THRUST_200600_302600_NS6detail15normal_iteratorINS9_10device_ptrIiEEEEPS5_jNS1_19radix_merge_compareILb0ELb0EiNS0_19identity_decomposerEEEEE10hipError_tT0_T1_T2_jT3_P12ihipStream_tbPNSt15iterator_traitsISK_E10value_typeEPNSQ_ISL_E10value_typeEPSM_NS1_7vsmem_tEENKUlT_SK_SL_SM_E_clIPiSE_SF_SF_EESJ_SZ_SK_SL_SM_EUlSZ_E_NS1_11comp_targetILNS1_3genE10ELNS1_11target_archE1201ELNS1_3gpuE5ELNS1_3repE0EEENS1_48merge_mergepath_partition_config_static_selectorELNS0_4arch9wavefront6targetE1EEEvSL_
; %bb.0:
	.section	.rodata,"a",@progbits
	.p2align	6, 0x0
	.amdhsa_kernel _ZN7rocprim17ROCPRIM_400000_NS6detail17trampoline_kernelINS0_14default_configENS1_38merge_sort_block_merge_config_selectorIiNS0_10empty_typeEEEZZNS1_27merge_sort_block_merge_implIS3_N6thrust23THRUST_200600_302600_NS6detail15normal_iteratorINS9_10device_ptrIiEEEEPS5_jNS1_19radix_merge_compareILb0ELb0EiNS0_19identity_decomposerEEEEE10hipError_tT0_T1_T2_jT3_P12ihipStream_tbPNSt15iterator_traitsISK_E10value_typeEPNSQ_ISL_E10value_typeEPSM_NS1_7vsmem_tEENKUlT_SK_SL_SM_E_clIPiSE_SF_SF_EESJ_SZ_SK_SL_SM_EUlSZ_E_NS1_11comp_targetILNS1_3genE10ELNS1_11target_archE1201ELNS1_3gpuE5ELNS1_3repE0EEENS1_48merge_mergepath_partition_config_static_selectorELNS0_4arch9wavefront6targetE1EEEvSL_
		.amdhsa_group_segment_fixed_size 0
		.amdhsa_private_segment_fixed_size 0
		.amdhsa_kernarg_size 40
		.amdhsa_user_sgpr_count 2
		.amdhsa_user_sgpr_dispatch_ptr 0
		.amdhsa_user_sgpr_queue_ptr 0
		.amdhsa_user_sgpr_kernarg_segment_ptr 1
		.amdhsa_user_sgpr_dispatch_id 0
		.amdhsa_user_sgpr_kernarg_preload_length 0
		.amdhsa_user_sgpr_kernarg_preload_offset 0
		.amdhsa_user_sgpr_private_segment_size 0
		.amdhsa_uses_dynamic_stack 0
		.amdhsa_enable_private_segment 0
		.amdhsa_system_sgpr_workgroup_id_x 1
		.amdhsa_system_sgpr_workgroup_id_y 0
		.amdhsa_system_sgpr_workgroup_id_z 0
		.amdhsa_system_sgpr_workgroup_info 0
		.amdhsa_system_vgpr_workitem_id 0
		.amdhsa_next_free_vgpr 1
		.amdhsa_next_free_sgpr 0
		.amdhsa_accum_offset 4
		.amdhsa_reserve_vcc 0
		.amdhsa_float_round_mode_32 0
		.amdhsa_float_round_mode_16_64 0
		.amdhsa_float_denorm_mode_32 3
		.amdhsa_float_denorm_mode_16_64 3
		.amdhsa_dx10_clamp 1
		.amdhsa_ieee_mode 1
		.amdhsa_fp16_overflow 0
		.amdhsa_tg_split 0
		.amdhsa_exception_fp_ieee_invalid_op 0
		.amdhsa_exception_fp_denorm_src 0
		.amdhsa_exception_fp_ieee_div_zero 0
		.amdhsa_exception_fp_ieee_overflow 0
		.amdhsa_exception_fp_ieee_underflow 0
		.amdhsa_exception_fp_ieee_inexact 0
		.amdhsa_exception_int_div_zero 0
	.end_amdhsa_kernel
	.section	.text._ZN7rocprim17ROCPRIM_400000_NS6detail17trampoline_kernelINS0_14default_configENS1_38merge_sort_block_merge_config_selectorIiNS0_10empty_typeEEEZZNS1_27merge_sort_block_merge_implIS3_N6thrust23THRUST_200600_302600_NS6detail15normal_iteratorINS9_10device_ptrIiEEEEPS5_jNS1_19radix_merge_compareILb0ELb0EiNS0_19identity_decomposerEEEEE10hipError_tT0_T1_T2_jT3_P12ihipStream_tbPNSt15iterator_traitsISK_E10value_typeEPNSQ_ISL_E10value_typeEPSM_NS1_7vsmem_tEENKUlT_SK_SL_SM_E_clIPiSE_SF_SF_EESJ_SZ_SK_SL_SM_EUlSZ_E_NS1_11comp_targetILNS1_3genE10ELNS1_11target_archE1201ELNS1_3gpuE5ELNS1_3repE0EEENS1_48merge_mergepath_partition_config_static_selectorELNS0_4arch9wavefront6targetE1EEEvSL_,"axG",@progbits,_ZN7rocprim17ROCPRIM_400000_NS6detail17trampoline_kernelINS0_14default_configENS1_38merge_sort_block_merge_config_selectorIiNS0_10empty_typeEEEZZNS1_27merge_sort_block_merge_implIS3_N6thrust23THRUST_200600_302600_NS6detail15normal_iteratorINS9_10device_ptrIiEEEEPS5_jNS1_19radix_merge_compareILb0ELb0EiNS0_19identity_decomposerEEEEE10hipError_tT0_T1_T2_jT3_P12ihipStream_tbPNSt15iterator_traitsISK_E10value_typeEPNSQ_ISL_E10value_typeEPSM_NS1_7vsmem_tEENKUlT_SK_SL_SM_E_clIPiSE_SF_SF_EESJ_SZ_SK_SL_SM_EUlSZ_E_NS1_11comp_targetILNS1_3genE10ELNS1_11target_archE1201ELNS1_3gpuE5ELNS1_3repE0EEENS1_48merge_mergepath_partition_config_static_selectorELNS0_4arch9wavefront6targetE1EEEvSL_,comdat
.Lfunc_end1615:
	.size	_ZN7rocprim17ROCPRIM_400000_NS6detail17trampoline_kernelINS0_14default_configENS1_38merge_sort_block_merge_config_selectorIiNS0_10empty_typeEEEZZNS1_27merge_sort_block_merge_implIS3_N6thrust23THRUST_200600_302600_NS6detail15normal_iteratorINS9_10device_ptrIiEEEEPS5_jNS1_19radix_merge_compareILb0ELb0EiNS0_19identity_decomposerEEEEE10hipError_tT0_T1_T2_jT3_P12ihipStream_tbPNSt15iterator_traitsISK_E10value_typeEPNSQ_ISL_E10value_typeEPSM_NS1_7vsmem_tEENKUlT_SK_SL_SM_E_clIPiSE_SF_SF_EESJ_SZ_SK_SL_SM_EUlSZ_E_NS1_11comp_targetILNS1_3genE10ELNS1_11target_archE1201ELNS1_3gpuE5ELNS1_3repE0EEENS1_48merge_mergepath_partition_config_static_selectorELNS0_4arch9wavefront6targetE1EEEvSL_, .Lfunc_end1615-_ZN7rocprim17ROCPRIM_400000_NS6detail17trampoline_kernelINS0_14default_configENS1_38merge_sort_block_merge_config_selectorIiNS0_10empty_typeEEEZZNS1_27merge_sort_block_merge_implIS3_N6thrust23THRUST_200600_302600_NS6detail15normal_iteratorINS9_10device_ptrIiEEEEPS5_jNS1_19radix_merge_compareILb0ELb0EiNS0_19identity_decomposerEEEEE10hipError_tT0_T1_T2_jT3_P12ihipStream_tbPNSt15iterator_traitsISK_E10value_typeEPNSQ_ISL_E10value_typeEPSM_NS1_7vsmem_tEENKUlT_SK_SL_SM_E_clIPiSE_SF_SF_EESJ_SZ_SK_SL_SM_EUlSZ_E_NS1_11comp_targetILNS1_3genE10ELNS1_11target_archE1201ELNS1_3gpuE5ELNS1_3repE0EEENS1_48merge_mergepath_partition_config_static_selectorELNS0_4arch9wavefront6targetE1EEEvSL_
                                        ; -- End function
	.section	.AMDGPU.csdata,"",@progbits
; Kernel info:
; codeLenInByte = 0
; NumSgprs: 6
; NumVgprs: 0
; NumAgprs: 0
; TotalNumVgprs: 0
; ScratchSize: 0
; MemoryBound: 0
; FloatMode: 240
; IeeeMode: 1
; LDSByteSize: 0 bytes/workgroup (compile time only)
; SGPRBlocks: 0
; VGPRBlocks: 0
; NumSGPRsForWavesPerEU: 6
; NumVGPRsForWavesPerEU: 1
; AccumOffset: 4
; Occupancy: 8
; WaveLimiterHint : 0
; COMPUTE_PGM_RSRC2:SCRATCH_EN: 0
; COMPUTE_PGM_RSRC2:USER_SGPR: 2
; COMPUTE_PGM_RSRC2:TRAP_HANDLER: 0
; COMPUTE_PGM_RSRC2:TGID_X_EN: 1
; COMPUTE_PGM_RSRC2:TGID_Y_EN: 0
; COMPUTE_PGM_RSRC2:TGID_Z_EN: 0
; COMPUTE_PGM_RSRC2:TIDIG_COMP_CNT: 0
; COMPUTE_PGM_RSRC3_GFX90A:ACCUM_OFFSET: 0
; COMPUTE_PGM_RSRC3_GFX90A:TG_SPLIT: 0
	.section	.text._ZN7rocprim17ROCPRIM_400000_NS6detail17trampoline_kernelINS0_14default_configENS1_38merge_sort_block_merge_config_selectorIiNS0_10empty_typeEEEZZNS1_27merge_sort_block_merge_implIS3_N6thrust23THRUST_200600_302600_NS6detail15normal_iteratorINS9_10device_ptrIiEEEEPS5_jNS1_19radix_merge_compareILb0ELb0EiNS0_19identity_decomposerEEEEE10hipError_tT0_T1_T2_jT3_P12ihipStream_tbPNSt15iterator_traitsISK_E10value_typeEPNSQ_ISL_E10value_typeEPSM_NS1_7vsmem_tEENKUlT_SK_SL_SM_E_clIPiSE_SF_SF_EESJ_SZ_SK_SL_SM_EUlSZ_E_NS1_11comp_targetILNS1_3genE5ELNS1_11target_archE942ELNS1_3gpuE9ELNS1_3repE0EEENS1_48merge_mergepath_partition_config_static_selectorELNS0_4arch9wavefront6targetE1EEEvSL_,"axG",@progbits,_ZN7rocprim17ROCPRIM_400000_NS6detail17trampoline_kernelINS0_14default_configENS1_38merge_sort_block_merge_config_selectorIiNS0_10empty_typeEEEZZNS1_27merge_sort_block_merge_implIS3_N6thrust23THRUST_200600_302600_NS6detail15normal_iteratorINS9_10device_ptrIiEEEEPS5_jNS1_19radix_merge_compareILb0ELb0EiNS0_19identity_decomposerEEEEE10hipError_tT0_T1_T2_jT3_P12ihipStream_tbPNSt15iterator_traitsISK_E10value_typeEPNSQ_ISL_E10value_typeEPSM_NS1_7vsmem_tEENKUlT_SK_SL_SM_E_clIPiSE_SF_SF_EESJ_SZ_SK_SL_SM_EUlSZ_E_NS1_11comp_targetILNS1_3genE5ELNS1_11target_archE942ELNS1_3gpuE9ELNS1_3repE0EEENS1_48merge_mergepath_partition_config_static_selectorELNS0_4arch9wavefront6targetE1EEEvSL_,comdat
	.protected	_ZN7rocprim17ROCPRIM_400000_NS6detail17trampoline_kernelINS0_14default_configENS1_38merge_sort_block_merge_config_selectorIiNS0_10empty_typeEEEZZNS1_27merge_sort_block_merge_implIS3_N6thrust23THRUST_200600_302600_NS6detail15normal_iteratorINS9_10device_ptrIiEEEEPS5_jNS1_19radix_merge_compareILb0ELb0EiNS0_19identity_decomposerEEEEE10hipError_tT0_T1_T2_jT3_P12ihipStream_tbPNSt15iterator_traitsISK_E10value_typeEPNSQ_ISL_E10value_typeEPSM_NS1_7vsmem_tEENKUlT_SK_SL_SM_E_clIPiSE_SF_SF_EESJ_SZ_SK_SL_SM_EUlSZ_E_NS1_11comp_targetILNS1_3genE5ELNS1_11target_archE942ELNS1_3gpuE9ELNS1_3repE0EEENS1_48merge_mergepath_partition_config_static_selectorELNS0_4arch9wavefront6targetE1EEEvSL_ ; -- Begin function _ZN7rocprim17ROCPRIM_400000_NS6detail17trampoline_kernelINS0_14default_configENS1_38merge_sort_block_merge_config_selectorIiNS0_10empty_typeEEEZZNS1_27merge_sort_block_merge_implIS3_N6thrust23THRUST_200600_302600_NS6detail15normal_iteratorINS9_10device_ptrIiEEEEPS5_jNS1_19radix_merge_compareILb0ELb0EiNS0_19identity_decomposerEEEEE10hipError_tT0_T1_T2_jT3_P12ihipStream_tbPNSt15iterator_traitsISK_E10value_typeEPNSQ_ISL_E10value_typeEPSM_NS1_7vsmem_tEENKUlT_SK_SL_SM_E_clIPiSE_SF_SF_EESJ_SZ_SK_SL_SM_EUlSZ_E_NS1_11comp_targetILNS1_3genE5ELNS1_11target_archE942ELNS1_3gpuE9ELNS1_3repE0EEENS1_48merge_mergepath_partition_config_static_selectorELNS0_4arch9wavefront6targetE1EEEvSL_
	.globl	_ZN7rocprim17ROCPRIM_400000_NS6detail17trampoline_kernelINS0_14default_configENS1_38merge_sort_block_merge_config_selectorIiNS0_10empty_typeEEEZZNS1_27merge_sort_block_merge_implIS3_N6thrust23THRUST_200600_302600_NS6detail15normal_iteratorINS9_10device_ptrIiEEEEPS5_jNS1_19radix_merge_compareILb0ELb0EiNS0_19identity_decomposerEEEEE10hipError_tT0_T1_T2_jT3_P12ihipStream_tbPNSt15iterator_traitsISK_E10value_typeEPNSQ_ISL_E10value_typeEPSM_NS1_7vsmem_tEENKUlT_SK_SL_SM_E_clIPiSE_SF_SF_EESJ_SZ_SK_SL_SM_EUlSZ_E_NS1_11comp_targetILNS1_3genE5ELNS1_11target_archE942ELNS1_3gpuE9ELNS1_3repE0EEENS1_48merge_mergepath_partition_config_static_selectorELNS0_4arch9wavefront6targetE1EEEvSL_
	.p2align	8
	.type	_ZN7rocprim17ROCPRIM_400000_NS6detail17trampoline_kernelINS0_14default_configENS1_38merge_sort_block_merge_config_selectorIiNS0_10empty_typeEEEZZNS1_27merge_sort_block_merge_implIS3_N6thrust23THRUST_200600_302600_NS6detail15normal_iteratorINS9_10device_ptrIiEEEEPS5_jNS1_19radix_merge_compareILb0ELb0EiNS0_19identity_decomposerEEEEE10hipError_tT0_T1_T2_jT3_P12ihipStream_tbPNSt15iterator_traitsISK_E10value_typeEPNSQ_ISL_E10value_typeEPSM_NS1_7vsmem_tEENKUlT_SK_SL_SM_E_clIPiSE_SF_SF_EESJ_SZ_SK_SL_SM_EUlSZ_E_NS1_11comp_targetILNS1_3genE5ELNS1_11target_archE942ELNS1_3gpuE9ELNS1_3repE0EEENS1_48merge_mergepath_partition_config_static_selectorELNS0_4arch9wavefront6targetE1EEEvSL_,@function
_ZN7rocprim17ROCPRIM_400000_NS6detail17trampoline_kernelINS0_14default_configENS1_38merge_sort_block_merge_config_selectorIiNS0_10empty_typeEEEZZNS1_27merge_sort_block_merge_implIS3_N6thrust23THRUST_200600_302600_NS6detail15normal_iteratorINS9_10device_ptrIiEEEEPS5_jNS1_19radix_merge_compareILb0ELb0EiNS0_19identity_decomposerEEEEE10hipError_tT0_T1_T2_jT3_P12ihipStream_tbPNSt15iterator_traitsISK_E10value_typeEPNSQ_ISL_E10value_typeEPSM_NS1_7vsmem_tEENKUlT_SK_SL_SM_E_clIPiSE_SF_SF_EESJ_SZ_SK_SL_SM_EUlSZ_E_NS1_11comp_targetILNS1_3genE5ELNS1_11target_archE942ELNS1_3gpuE9ELNS1_3repE0EEENS1_48merge_mergepath_partition_config_static_selectorELNS0_4arch9wavefront6targetE1EEEvSL_: ; @_ZN7rocprim17ROCPRIM_400000_NS6detail17trampoline_kernelINS0_14default_configENS1_38merge_sort_block_merge_config_selectorIiNS0_10empty_typeEEEZZNS1_27merge_sort_block_merge_implIS3_N6thrust23THRUST_200600_302600_NS6detail15normal_iteratorINS9_10device_ptrIiEEEEPS5_jNS1_19radix_merge_compareILb0ELb0EiNS0_19identity_decomposerEEEEE10hipError_tT0_T1_T2_jT3_P12ihipStream_tbPNSt15iterator_traitsISK_E10value_typeEPNSQ_ISL_E10value_typeEPSM_NS1_7vsmem_tEENKUlT_SK_SL_SM_E_clIPiSE_SF_SF_EESJ_SZ_SK_SL_SM_EUlSZ_E_NS1_11comp_targetILNS1_3genE5ELNS1_11target_archE942ELNS1_3gpuE9ELNS1_3repE0EEENS1_48merge_mergepath_partition_config_static_selectorELNS0_4arch9wavefront6targetE1EEEvSL_
; %bb.0:
	s_load_dword s3, s[0:1], 0x0
	v_lshl_or_b32 v0, s2, 7, v0
	s_waitcnt lgkmcnt(0)
	v_cmp_gt_u32_e32 vcc, s3, v0
	s_and_saveexec_b64 s[2:3], vcc
	s_cbranch_execz .LBB1616_6
; %bb.1:
	s_load_dwordx2 s[4:5], s[0:1], 0x4
	s_load_dwordx2 s[2:3], s[0:1], 0x20
	s_waitcnt lgkmcnt(0)
	s_lshr_b32 s6, s4, 9
	s_and_b32 s6, s6, 0x7ffffe
	s_add_i32 s7, s6, -1
	s_sub_i32 s6, 0, s6
	v_and_b32_e32 v1, s6, v0
	v_lshlrev_b32_e32 v1, 10, v1
	v_min_u32_e32 v2, s5, v1
	v_add_u32_e32 v1, s4, v1
	v_min_u32_e32 v4, s5, v1
	v_add_u32_e32 v1, s4, v4
	v_and_b32_e32 v3, s7, v0
	v_min_u32_e32 v1, s5, v1
	v_sub_u32_e32 v5, v1, v2
	v_lshlrev_b32_e32 v3, 10, v3
	v_min_u32_e32 v10, v5, v3
	v_sub_u32_e32 v3, v4, v2
	v_sub_u32_e32 v1, v1, v4
	v_sub_u32_e64 v1, v10, v1 clamp
	v_min_u32_e32 v11, v10, v3
	v_cmp_lt_u32_e32 vcc, v1, v11
	s_and_saveexec_b64 s[4:5], vcc
	s_cbranch_execz .LBB1616_5
; %bb.2:
	s_load_dwordx2 s[0:1], s[0:1], 0x10
	v_mov_b32_e32 v5, 0
	v_mov_b32_e32 v3, v5
	s_waitcnt lgkmcnt(0)
	v_lshl_add_u64 v[6:7], v[2:3], 2, s[0:1]
	v_lshl_add_u64 v[8:9], v[4:5], 2, s[0:1]
	s_mov_b64 s[0:1], 0
.LBB1616_3:                             ; =>This Inner Loop Header: Depth=1
	v_add_u32_e32 v3, v11, v1
	v_lshrrev_b32_e32 v4, 1, v3
	v_mov_b32_e32 v13, v5
	v_xad_u32 v12, v4, -1, v10
	v_lshl_add_u64 v[14:15], v[4:5], 2, v[6:7]
	v_lshl_add_u64 v[12:13], v[12:13], 2, v[8:9]
	global_load_dword v3, v[14:15], off
	global_load_dword v16, v[12:13], off
	v_add_u32_e32 v12, 1, v4
	s_waitcnt vmcnt(0)
	v_cmp_gt_i32_e32 vcc, v3, v16
	s_nop 1
	v_cndmask_b32_e32 v11, v11, v4, vcc
	v_cndmask_b32_e32 v1, v12, v1, vcc
	v_cmp_ge_u32_e32 vcc, v1, v11
	s_or_b64 s[0:1], vcc, s[0:1]
	s_andn2_b64 exec, exec, s[0:1]
	s_cbranch_execnz .LBB1616_3
; %bb.4:
	s_or_b64 exec, exec, s[0:1]
.LBB1616_5:
	s_or_b64 exec, exec, s[4:5]
	v_add_u32_e32 v2, v1, v2
	v_mov_b32_e32 v1, 0
	v_lshl_add_u64 v[0:1], v[0:1], 2, s[2:3]
	global_store_dword v[0:1], v2, off
.LBB1616_6:
	s_endpgm
	.section	.rodata,"a",@progbits
	.p2align	6, 0x0
	.amdhsa_kernel _ZN7rocprim17ROCPRIM_400000_NS6detail17trampoline_kernelINS0_14default_configENS1_38merge_sort_block_merge_config_selectorIiNS0_10empty_typeEEEZZNS1_27merge_sort_block_merge_implIS3_N6thrust23THRUST_200600_302600_NS6detail15normal_iteratorINS9_10device_ptrIiEEEEPS5_jNS1_19radix_merge_compareILb0ELb0EiNS0_19identity_decomposerEEEEE10hipError_tT0_T1_T2_jT3_P12ihipStream_tbPNSt15iterator_traitsISK_E10value_typeEPNSQ_ISL_E10value_typeEPSM_NS1_7vsmem_tEENKUlT_SK_SL_SM_E_clIPiSE_SF_SF_EESJ_SZ_SK_SL_SM_EUlSZ_E_NS1_11comp_targetILNS1_3genE5ELNS1_11target_archE942ELNS1_3gpuE9ELNS1_3repE0EEENS1_48merge_mergepath_partition_config_static_selectorELNS0_4arch9wavefront6targetE1EEEvSL_
		.amdhsa_group_segment_fixed_size 0
		.amdhsa_private_segment_fixed_size 0
		.amdhsa_kernarg_size 40
		.amdhsa_user_sgpr_count 2
		.amdhsa_user_sgpr_dispatch_ptr 0
		.amdhsa_user_sgpr_queue_ptr 0
		.amdhsa_user_sgpr_kernarg_segment_ptr 1
		.amdhsa_user_sgpr_dispatch_id 0
		.amdhsa_user_sgpr_kernarg_preload_length 0
		.amdhsa_user_sgpr_kernarg_preload_offset 0
		.amdhsa_user_sgpr_private_segment_size 0
		.amdhsa_uses_dynamic_stack 0
		.amdhsa_enable_private_segment 0
		.amdhsa_system_sgpr_workgroup_id_x 1
		.amdhsa_system_sgpr_workgroup_id_y 0
		.amdhsa_system_sgpr_workgroup_id_z 0
		.amdhsa_system_sgpr_workgroup_info 0
		.amdhsa_system_vgpr_workitem_id 0
		.amdhsa_next_free_vgpr 17
		.amdhsa_next_free_sgpr 8
		.amdhsa_accum_offset 20
		.amdhsa_reserve_vcc 1
		.amdhsa_float_round_mode_32 0
		.amdhsa_float_round_mode_16_64 0
		.amdhsa_float_denorm_mode_32 3
		.amdhsa_float_denorm_mode_16_64 3
		.amdhsa_dx10_clamp 1
		.amdhsa_ieee_mode 1
		.amdhsa_fp16_overflow 0
		.amdhsa_tg_split 0
		.amdhsa_exception_fp_ieee_invalid_op 0
		.amdhsa_exception_fp_denorm_src 0
		.amdhsa_exception_fp_ieee_div_zero 0
		.amdhsa_exception_fp_ieee_overflow 0
		.amdhsa_exception_fp_ieee_underflow 0
		.amdhsa_exception_fp_ieee_inexact 0
		.amdhsa_exception_int_div_zero 0
	.end_amdhsa_kernel
	.section	.text._ZN7rocprim17ROCPRIM_400000_NS6detail17trampoline_kernelINS0_14default_configENS1_38merge_sort_block_merge_config_selectorIiNS0_10empty_typeEEEZZNS1_27merge_sort_block_merge_implIS3_N6thrust23THRUST_200600_302600_NS6detail15normal_iteratorINS9_10device_ptrIiEEEEPS5_jNS1_19radix_merge_compareILb0ELb0EiNS0_19identity_decomposerEEEEE10hipError_tT0_T1_T2_jT3_P12ihipStream_tbPNSt15iterator_traitsISK_E10value_typeEPNSQ_ISL_E10value_typeEPSM_NS1_7vsmem_tEENKUlT_SK_SL_SM_E_clIPiSE_SF_SF_EESJ_SZ_SK_SL_SM_EUlSZ_E_NS1_11comp_targetILNS1_3genE5ELNS1_11target_archE942ELNS1_3gpuE9ELNS1_3repE0EEENS1_48merge_mergepath_partition_config_static_selectorELNS0_4arch9wavefront6targetE1EEEvSL_,"axG",@progbits,_ZN7rocprim17ROCPRIM_400000_NS6detail17trampoline_kernelINS0_14default_configENS1_38merge_sort_block_merge_config_selectorIiNS0_10empty_typeEEEZZNS1_27merge_sort_block_merge_implIS3_N6thrust23THRUST_200600_302600_NS6detail15normal_iteratorINS9_10device_ptrIiEEEEPS5_jNS1_19radix_merge_compareILb0ELb0EiNS0_19identity_decomposerEEEEE10hipError_tT0_T1_T2_jT3_P12ihipStream_tbPNSt15iterator_traitsISK_E10value_typeEPNSQ_ISL_E10value_typeEPSM_NS1_7vsmem_tEENKUlT_SK_SL_SM_E_clIPiSE_SF_SF_EESJ_SZ_SK_SL_SM_EUlSZ_E_NS1_11comp_targetILNS1_3genE5ELNS1_11target_archE942ELNS1_3gpuE9ELNS1_3repE0EEENS1_48merge_mergepath_partition_config_static_selectorELNS0_4arch9wavefront6targetE1EEEvSL_,comdat
.Lfunc_end1616:
	.size	_ZN7rocprim17ROCPRIM_400000_NS6detail17trampoline_kernelINS0_14default_configENS1_38merge_sort_block_merge_config_selectorIiNS0_10empty_typeEEEZZNS1_27merge_sort_block_merge_implIS3_N6thrust23THRUST_200600_302600_NS6detail15normal_iteratorINS9_10device_ptrIiEEEEPS5_jNS1_19radix_merge_compareILb0ELb0EiNS0_19identity_decomposerEEEEE10hipError_tT0_T1_T2_jT3_P12ihipStream_tbPNSt15iterator_traitsISK_E10value_typeEPNSQ_ISL_E10value_typeEPSM_NS1_7vsmem_tEENKUlT_SK_SL_SM_E_clIPiSE_SF_SF_EESJ_SZ_SK_SL_SM_EUlSZ_E_NS1_11comp_targetILNS1_3genE5ELNS1_11target_archE942ELNS1_3gpuE9ELNS1_3repE0EEENS1_48merge_mergepath_partition_config_static_selectorELNS0_4arch9wavefront6targetE1EEEvSL_, .Lfunc_end1616-_ZN7rocprim17ROCPRIM_400000_NS6detail17trampoline_kernelINS0_14default_configENS1_38merge_sort_block_merge_config_selectorIiNS0_10empty_typeEEEZZNS1_27merge_sort_block_merge_implIS3_N6thrust23THRUST_200600_302600_NS6detail15normal_iteratorINS9_10device_ptrIiEEEEPS5_jNS1_19radix_merge_compareILb0ELb0EiNS0_19identity_decomposerEEEEE10hipError_tT0_T1_T2_jT3_P12ihipStream_tbPNSt15iterator_traitsISK_E10value_typeEPNSQ_ISL_E10value_typeEPSM_NS1_7vsmem_tEENKUlT_SK_SL_SM_E_clIPiSE_SF_SF_EESJ_SZ_SK_SL_SM_EUlSZ_E_NS1_11comp_targetILNS1_3genE5ELNS1_11target_archE942ELNS1_3gpuE9ELNS1_3repE0EEENS1_48merge_mergepath_partition_config_static_selectorELNS0_4arch9wavefront6targetE1EEEvSL_
                                        ; -- End function
	.section	.AMDGPU.csdata,"",@progbits
; Kernel info:
; codeLenInByte = 316
; NumSgprs: 14
; NumVgprs: 17
; NumAgprs: 0
; TotalNumVgprs: 17
; ScratchSize: 0
; MemoryBound: 0
; FloatMode: 240
; IeeeMode: 1
; LDSByteSize: 0 bytes/workgroup (compile time only)
; SGPRBlocks: 1
; VGPRBlocks: 2
; NumSGPRsForWavesPerEU: 14
; NumVGPRsForWavesPerEU: 17
; AccumOffset: 20
; Occupancy: 8
; WaveLimiterHint : 0
; COMPUTE_PGM_RSRC2:SCRATCH_EN: 0
; COMPUTE_PGM_RSRC2:USER_SGPR: 2
; COMPUTE_PGM_RSRC2:TRAP_HANDLER: 0
; COMPUTE_PGM_RSRC2:TGID_X_EN: 1
; COMPUTE_PGM_RSRC2:TGID_Y_EN: 0
; COMPUTE_PGM_RSRC2:TGID_Z_EN: 0
; COMPUTE_PGM_RSRC2:TIDIG_COMP_CNT: 0
; COMPUTE_PGM_RSRC3_GFX90A:ACCUM_OFFSET: 4
; COMPUTE_PGM_RSRC3_GFX90A:TG_SPLIT: 0
	.section	.text._ZN7rocprim17ROCPRIM_400000_NS6detail17trampoline_kernelINS0_14default_configENS1_38merge_sort_block_merge_config_selectorIiNS0_10empty_typeEEEZZNS1_27merge_sort_block_merge_implIS3_N6thrust23THRUST_200600_302600_NS6detail15normal_iteratorINS9_10device_ptrIiEEEEPS5_jNS1_19radix_merge_compareILb0ELb0EiNS0_19identity_decomposerEEEEE10hipError_tT0_T1_T2_jT3_P12ihipStream_tbPNSt15iterator_traitsISK_E10value_typeEPNSQ_ISL_E10value_typeEPSM_NS1_7vsmem_tEENKUlT_SK_SL_SM_E_clIPiSE_SF_SF_EESJ_SZ_SK_SL_SM_EUlSZ_E_NS1_11comp_targetILNS1_3genE4ELNS1_11target_archE910ELNS1_3gpuE8ELNS1_3repE0EEENS1_48merge_mergepath_partition_config_static_selectorELNS0_4arch9wavefront6targetE1EEEvSL_,"axG",@progbits,_ZN7rocprim17ROCPRIM_400000_NS6detail17trampoline_kernelINS0_14default_configENS1_38merge_sort_block_merge_config_selectorIiNS0_10empty_typeEEEZZNS1_27merge_sort_block_merge_implIS3_N6thrust23THRUST_200600_302600_NS6detail15normal_iteratorINS9_10device_ptrIiEEEEPS5_jNS1_19radix_merge_compareILb0ELb0EiNS0_19identity_decomposerEEEEE10hipError_tT0_T1_T2_jT3_P12ihipStream_tbPNSt15iterator_traitsISK_E10value_typeEPNSQ_ISL_E10value_typeEPSM_NS1_7vsmem_tEENKUlT_SK_SL_SM_E_clIPiSE_SF_SF_EESJ_SZ_SK_SL_SM_EUlSZ_E_NS1_11comp_targetILNS1_3genE4ELNS1_11target_archE910ELNS1_3gpuE8ELNS1_3repE0EEENS1_48merge_mergepath_partition_config_static_selectorELNS0_4arch9wavefront6targetE1EEEvSL_,comdat
	.protected	_ZN7rocprim17ROCPRIM_400000_NS6detail17trampoline_kernelINS0_14default_configENS1_38merge_sort_block_merge_config_selectorIiNS0_10empty_typeEEEZZNS1_27merge_sort_block_merge_implIS3_N6thrust23THRUST_200600_302600_NS6detail15normal_iteratorINS9_10device_ptrIiEEEEPS5_jNS1_19radix_merge_compareILb0ELb0EiNS0_19identity_decomposerEEEEE10hipError_tT0_T1_T2_jT3_P12ihipStream_tbPNSt15iterator_traitsISK_E10value_typeEPNSQ_ISL_E10value_typeEPSM_NS1_7vsmem_tEENKUlT_SK_SL_SM_E_clIPiSE_SF_SF_EESJ_SZ_SK_SL_SM_EUlSZ_E_NS1_11comp_targetILNS1_3genE4ELNS1_11target_archE910ELNS1_3gpuE8ELNS1_3repE0EEENS1_48merge_mergepath_partition_config_static_selectorELNS0_4arch9wavefront6targetE1EEEvSL_ ; -- Begin function _ZN7rocprim17ROCPRIM_400000_NS6detail17trampoline_kernelINS0_14default_configENS1_38merge_sort_block_merge_config_selectorIiNS0_10empty_typeEEEZZNS1_27merge_sort_block_merge_implIS3_N6thrust23THRUST_200600_302600_NS6detail15normal_iteratorINS9_10device_ptrIiEEEEPS5_jNS1_19radix_merge_compareILb0ELb0EiNS0_19identity_decomposerEEEEE10hipError_tT0_T1_T2_jT3_P12ihipStream_tbPNSt15iterator_traitsISK_E10value_typeEPNSQ_ISL_E10value_typeEPSM_NS1_7vsmem_tEENKUlT_SK_SL_SM_E_clIPiSE_SF_SF_EESJ_SZ_SK_SL_SM_EUlSZ_E_NS1_11comp_targetILNS1_3genE4ELNS1_11target_archE910ELNS1_3gpuE8ELNS1_3repE0EEENS1_48merge_mergepath_partition_config_static_selectorELNS0_4arch9wavefront6targetE1EEEvSL_
	.globl	_ZN7rocprim17ROCPRIM_400000_NS6detail17trampoline_kernelINS0_14default_configENS1_38merge_sort_block_merge_config_selectorIiNS0_10empty_typeEEEZZNS1_27merge_sort_block_merge_implIS3_N6thrust23THRUST_200600_302600_NS6detail15normal_iteratorINS9_10device_ptrIiEEEEPS5_jNS1_19radix_merge_compareILb0ELb0EiNS0_19identity_decomposerEEEEE10hipError_tT0_T1_T2_jT3_P12ihipStream_tbPNSt15iterator_traitsISK_E10value_typeEPNSQ_ISL_E10value_typeEPSM_NS1_7vsmem_tEENKUlT_SK_SL_SM_E_clIPiSE_SF_SF_EESJ_SZ_SK_SL_SM_EUlSZ_E_NS1_11comp_targetILNS1_3genE4ELNS1_11target_archE910ELNS1_3gpuE8ELNS1_3repE0EEENS1_48merge_mergepath_partition_config_static_selectorELNS0_4arch9wavefront6targetE1EEEvSL_
	.p2align	8
	.type	_ZN7rocprim17ROCPRIM_400000_NS6detail17trampoline_kernelINS0_14default_configENS1_38merge_sort_block_merge_config_selectorIiNS0_10empty_typeEEEZZNS1_27merge_sort_block_merge_implIS3_N6thrust23THRUST_200600_302600_NS6detail15normal_iteratorINS9_10device_ptrIiEEEEPS5_jNS1_19radix_merge_compareILb0ELb0EiNS0_19identity_decomposerEEEEE10hipError_tT0_T1_T2_jT3_P12ihipStream_tbPNSt15iterator_traitsISK_E10value_typeEPNSQ_ISL_E10value_typeEPSM_NS1_7vsmem_tEENKUlT_SK_SL_SM_E_clIPiSE_SF_SF_EESJ_SZ_SK_SL_SM_EUlSZ_E_NS1_11comp_targetILNS1_3genE4ELNS1_11target_archE910ELNS1_3gpuE8ELNS1_3repE0EEENS1_48merge_mergepath_partition_config_static_selectorELNS0_4arch9wavefront6targetE1EEEvSL_,@function
_ZN7rocprim17ROCPRIM_400000_NS6detail17trampoline_kernelINS0_14default_configENS1_38merge_sort_block_merge_config_selectorIiNS0_10empty_typeEEEZZNS1_27merge_sort_block_merge_implIS3_N6thrust23THRUST_200600_302600_NS6detail15normal_iteratorINS9_10device_ptrIiEEEEPS5_jNS1_19radix_merge_compareILb0ELb0EiNS0_19identity_decomposerEEEEE10hipError_tT0_T1_T2_jT3_P12ihipStream_tbPNSt15iterator_traitsISK_E10value_typeEPNSQ_ISL_E10value_typeEPSM_NS1_7vsmem_tEENKUlT_SK_SL_SM_E_clIPiSE_SF_SF_EESJ_SZ_SK_SL_SM_EUlSZ_E_NS1_11comp_targetILNS1_3genE4ELNS1_11target_archE910ELNS1_3gpuE8ELNS1_3repE0EEENS1_48merge_mergepath_partition_config_static_selectorELNS0_4arch9wavefront6targetE1EEEvSL_: ; @_ZN7rocprim17ROCPRIM_400000_NS6detail17trampoline_kernelINS0_14default_configENS1_38merge_sort_block_merge_config_selectorIiNS0_10empty_typeEEEZZNS1_27merge_sort_block_merge_implIS3_N6thrust23THRUST_200600_302600_NS6detail15normal_iteratorINS9_10device_ptrIiEEEEPS5_jNS1_19radix_merge_compareILb0ELb0EiNS0_19identity_decomposerEEEEE10hipError_tT0_T1_T2_jT3_P12ihipStream_tbPNSt15iterator_traitsISK_E10value_typeEPNSQ_ISL_E10value_typeEPSM_NS1_7vsmem_tEENKUlT_SK_SL_SM_E_clIPiSE_SF_SF_EESJ_SZ_SK_SL_SM_EUlSZ_E_NS1_11comp_targetILNS1_3genE4ELNS1_11target_archE910ELNS1_3gpuE8ELNS1_3repE0EEENS1_48merge_mergepath_partition_config_static_selectorELNS0_4arch9wavefront6targetE1EEEvSL_
; %bb.0:
	.section	.rodata,"a",@progbits
	.p2align	6, 0x0
	.amdhsa_kernel _ZN7rocprim17ROCPRIM_400000_NS6detail17trampoline_kernelINS0_14default_configENS1_38merge_sort_block_merge_config_selectorIiNS0_10empty_typeEEEZZNS1_27merge_sort_block_merge_implIS3_N6thrust23THRUST_200600_302600_NS6detail15normal_iteratorINS9_10device_ptrIiEEEEPS5_jNS1_19radix_merge_compareILb0ELb0EiNS0_19identity_decomposerEEEEE10hipError_tT0_T1_T2_jT3_P12ihipStream_tbPNSt15iterator_traitsISK_E10value_typeEPNSQ_ISL_E10value_typeEPSM_NS1_7vsmem_tEENKUlT_SK_SL_SM_E_clIPiSE_SF_SF_EESJ_SZ_SK_SL_SM_EUlSZ_E_NS1_11comp_targetILNS1_3genE4ELNS1_11target_archE910ELNS1_3gpuE8ELNS1_3repE0EEENS1_48merge_mergepath_partition_config_static_selectorELNS0_4arch9wavefront6targetE1EEEvSL_
		.amdhsa_group_segment_fixed_size 0
		.amdhsa_private_segment_fixed_size 0
		.amdhsa_kernarg_size 40
		.amdhsa_user_sgpr_count 2
		.amdhsa_user_sgpr_dispatch_ptr 0
		.amdhsa_user_sgpr_queue_ptr 0
		.amdhsa_user_sgpr_kernarg_segment_ptr 1
		.amdhsa_user_sgpr_dispatch_id 0
		.amdhsa_user_sgpr_kernarg_preload_length 0
		.amdhsa_user_sgpr_kernarg_preload_offset 0
		.amdhsa_user_sgpr_private_segment_size 0
		.amdhsa_uses_dynamic_stack 0
		.amdhsa_enable_private_segment 0
		.amdhsa_system_sgpr_workgroup_id_x 1
		.amdhsa_system_sgpr_workgroup_id_y 0
		.amdhsa_system_sgpr_workgroup_id_z 0
		.amdhsa_system_sgpr_workgroup_info 0
		.amdhsa_system_vgpr_workitem_id 0
		.amdhsa_next_free_vgpr 1
		.amdhsa_next_free_sgpr 0
		.amdhsa_accum_offset 4
		.amdhsa_reserve_vcc 0
		.amdhsa_float_round_mode_32 0
		.amdhsa_float_round_mode_16_64 0
		.amdhsa_float_denorm_mode_32 3
		.amdhsa_float_denorm_mode_16_64 3
		.amdhsa_dx10_clamp 1
		.amdhsa_ieee_mode 1
		.amdhsa_fp16_overflow 0
		.amdhsa_tg_split 0
		.amdhsa_exception_fp_ieee_invalid_op 0
		.amdhsa_exception_fp_denorm_src 0
		.amdhsa_exception_fp_ieee_div_zero 0
		.amdhsa_exception_fp_ieee_overflow 0
		.amdhsa_exception_fp_ieee_underflow 0
		.amdhsa_exception_fp_ieee_inexact 0
		.amdhsa_exception_int_div_zero 0
	.end_amdhsa_kernel
	.section	.text._ZN7rocprim17ROCPRIM_400000_NS6detail17trampoline_kernelINS0_14default_configENS1_38merge_sort_block_merge_config_selectorIiNS0_10empty_typeEEEZZNS1_27merge_sort_block_merge_implIS3_N6thrust23THRUST_200600_302600_NS6detail15normal_iteratorINS9_10device_ptrIiEEEEPS5_jNS1_19radix_merge_compareILb0ELb0EiNS0_19identity_decomposerEEEEE10hipError_tT0_T1_T2_jT3_P12ihipStream_tbPNSt15iterator_traitsISK_E10value_typeEPNSQ_ISL_E10value_typeEPSM_NS1_7vsmem_tEENKUlT_SK_SL_SM_E_clIPiSE_SF_SF_EESJ_SZ_SK_SL_SM_EUlSZ_E_NS1_11comp_targetILNS1_3genE4ELNS1_11target_archE910ELNS1_3gpuE8ELNS1_3repE0EEENS1_48merge_mergepath_partition_config_static_selectorELNS0_4arch9wavefront6targetE1EEEvSL_,"axG",@progbits,_ZN7rocprim17ROCPRIM_400000_NS6detail17trampoline_kernelINS0_14default_configENS1_38merge_sort_block_merge_config_selectorIiNS0_10empty_typeEEEZZNS1_27merge_sort_block_merge_implIS3_N6thrust23THRUST_200600_302600_NS6detail15normal_iteratorINS9_10device_ptrIiEEEEPS5_jNS1_19radix_merge_compareILb0ELb0EiNS0_19identity_decomposerEEEEE10hipError_tT0_T1_T2_jT3_P12ihipStream_tbPNSt15iterator_traitsISK_E10value_typeEPNSQ_ISL_E10value_typeEPSM_NS1_7vsmem_tEENKUlT_SK_SL_SM_E_clIPiSE_SF_SF_EESJ_SZ_SK_SL_SM_EUlSZ_E_NS1_11comp_targetILNS1_3genE4ELNS1_11target_archE910ELNS1_3gpuE8ELNS1_3repE0EEENS1_48merge_mergepath_partition_config_static_selectorELNS0_4arch9wavefront6targetE1EEEvSL_,comdat
.Lfunc_end1617:
	.size	_ZN7rocprim17ROCPRIM_400000_NS6detail17trampoline_kernelINS0_14default_configENS1_38merge_sort_block_merge_config_selectorIiNS0_10empty_typeEEEZZNS1_27merge_sort_block_merge_implIS3_N6thrust23THRUST_200600_302600_NS6detail15normal_iteratorINS9_10device_ptrIiEEEEPS5_jNS1_19radix_merge_compareILb0ELb0EiNS0_19identity_decomposerEEEEE10hipError_tT0_T1_T2_jT3_P12ihipStream_tbPNSt15iterator_traitsISK_E10value_typeEPNSQ_ISL_E10value_typeEPSM_NS1_7vsmem_tEENKUlT_SK_SL_SM_E_clIPiSE_SF_SF_EESJ_SZ_SK_SL_SM_EUlSZ_E_NS1_11comp_targetILNS1_3genE4ELNS1_11target_archE910ELNS1_3gpuE8ELNS1_3repE0EEENS1_48merge_mergepath_partition_config_static_selectorELNS0_4arch9wavefront6targetE1EEEvSL_, .Lfunc_end1617-_ZN7rocprim17ROCPRIM_400000_NS6detail17trampoline_kernelINS0_14default_configENS1_38merge_sort_block_merge_config_selectorIiNS0_10empty_typeEEEZZNS1_27merge_sort_block_merge_implIS3_N6thrust23THRUST_200600_302600_NS6detail15normal_iteratorINS9_10device_ptrIiEEEEPS5_jNS1_19radix_merge_compareILb0ELb0EiNS0_19identity_decomposerEEEEE10hipError_tT0_T1_T2_jT3_P12ihipStream_tbPNSt15iterator_traitsISK_E10value_typeEPNSQ_ISL_E10value_typeEPSM_NS1_7vsmem_tEENKUlT_SK_SL_SM_E_clIPiSE_SF_SF_EESJ_SZ_SK_SL_SM_EUlSZ_E_NS1_11comp_targetILNS1_3genE4ELNS1_11target_archE910ELNS1_3gpuE8ELNS1_3repE0EEENS1_48merge_mergepath_partition_config_static_selectorELNS0_4arch9wavefront6targetE1EEEvSL_
                                        ; -- End function
	.section	.AMDGPU.csdata,"",@progbits
; Kernel info:
; codeLenInByte = 0
; NumSgprs: 6
; NumVgprs: 0
; NumAgprs: 0
; TotalNumVgprs: 0
; ScratchSize: 0
; MemoryBound: 0
; FloatMode: 240
; IeeeMode: 1
; LDSByteSize: 0 bytes/workgroup (compile time only)
; SGPRBlocks: 0
; VGPRBlocks: 0
; NumSGPRsForWavesPerEU: 6
; NumVGPRsForWavesPerEU: 1
; AccumOffset: 4
; Occupancy: 8
; WaveLimiterHint : 0
; COMPUTE_PGM_RSRC2:SCRATCH_EN: 0
; COMPUTE_PGM_RSRC2:USER_SGPR: 2
; COMPUTE_PGM_RSRC2:TRAP_HANDLER: 0
; COMPUTE_PGM_RSRC2:TGID_X_EN: 1
; COMPUTE_PGM_RSRC2:TGID_Y_EN: 0
; COMPUTE_PGM_RSRC2:TGID_Z_EN: 0
; COMPUTE_PGM_RSRC2:TIDIG_COMP_CNT: 0
; COMPUTE_PGM_RSRC3_GFX90A:ACCUM_OFFSET: 0
; COMPUTE_PGM_RSRC3_GFX90A:TG_SPLIT: 0
	.section	.text._ZN7rocprim17ROCPRIM_400000_NS6detail17trampoline_kernelINS0_14default_configENS1_38merge_sort_block_merge_config_selectorIiNS0_10empty_typeEEEZZNS1_27merge_sort_block_merge_implIS3_N6thrust23THRUST_200600_302600_NS6detail15normal_iteratorINS9_10device_ptrIiEEEEPS5_jNS1_19radix_merge_compareILb0ELb0EiNS0_19identity_decomposerEEEEE10hipError_tT0_T1_T2_jT3_P12ihipStream_tbPNSt15iterator_traitsISK_E10value_typeEPNSQ_ISL_E10value_typeEPSM_NS1_7vsmem_tEENKUlT_SK_SL_SM_E_clIPiSE_SF_SF_EESJ_SZ_SK_SL_SM_EUlSZ_E_NS1_11comp_targetILNS1_3genE3ELNS1_11target_archE908ELNS1_3gpuE7ELNS1_3repE0EEENS1_48merge_mergepath_partition_config_static_selectorELNS0_4arch9wavefront6targetE1EEEvSL_,"axG",@progbits,_ZN7rocprim17ROCPRIM_400000_NS6detail17trampoline_kernelINS0_14default_configENS1_38merge_sort_block_merge_config_selectorIiNS0_10empty_typeEEEZZNS1_27merge_sort_block_merge_implIS3_N6thrust23THRUST_200600_302600_NS6detail15normal_iteratorINS9_10device_ptrIiEEEEPS5_jNS1_19radix_merge_compareILb0ELb0EiNS0_19identity_decomposerEEEEE10hipError_tT0_T1_T2_jT3_P12ihipStream_tbPNSt15iterator_traitsISK_E10value_typeEPNSQ_ISL_E10value_typeEPSM_NS1_7vsmem_tEENKUlT_SK_SL_SM_E_clIPiSE_SF_SF_EESJ_SZ_SK_SL_SM_EUlSZ_E_NS1_11comp_targetILNS1_3genE3ELNS1_11target_archE908ELNS1_3gpuE7ELNS1_3repE0EEENS1_48merge_mergepath_partition_config_static_selectorELNS0_4arch9wavefront6targetE1EEEvSL_,comdat
	.protected	_ZN7rocprim17ROCPRIM_400000_NS6detail17trampoline_kernelINS0_14default_configENS1_38merge_sort_block_merge_config_selectorIiNS0_10empty_typeEEEZZNS1_27merge_sort_block_merge_implIS3_N6thrust23THRUST_200600_302600_NS6detail15normal_iteratorINS9_10device_ptrIiEEEEPS5_jNS1_19radix_merge_compareILb0ELb0EiNS0_19identity_decomposerEEEEE10hipError_tT0_T1_T2_jT3_P12ihipStream_tbPNSt15iterator_traitsISK_E10value_typeEPNSQ_ISL_E10value_typeEPSM_NS1_7vsmem_tEENKUlT_SK_SL_SM_E_clIPiSE_SF_SF_EESJ_SZ_SK_SL_SM_EUlSZ_E_NS1_11comp_targetILNS1_3genE3ELNS1_11target_archE908ELNS1_3gpuE7ELNS1_3repE0EEENS1_48merge_mergepath_partition_config_static_selectorELNS0_4arch9wavefront6targetE1EEEvSL_ ; -- Begin function _ZN7rocprim17ROCPRIM_400000_NS6detail17trampoline_kernelINS0_14default_configENS1_38merge_sort_block_merge_config_selectorIiNS0_10empty_typeEEEZZNS1_27merge_sort_block_merge_implIS3_N6thrust23THRUST_200600_302600_NS6detail15normal_iteratorINS9_10device_ptrIiEEEEPS5_jNS1_19radix_merge_compareILb0ELb0EiNS0_19identity_decomposerEEEEE10hipError_tT0_T1_T2_jT3_P12ihipStream_tbPNSt15iterator_traitsISK_E10value_typeEPNSQ_ISL_E10value_typeEPSM_NS1_7vsmem_tEENKUlT_SK_SL_SM_E_clIPiSE_SF_SF_EESJ_SZ_SK_SL_SM_EUlSZ_E_NS1_11comp_targetILNS1_3genE3ELNS1_11target_archE908ELNS1_3gpuE7ELNS1_3repE0EEENS1_48merge_mergepath_partition_config_static_selectorELNS0_4arch9wavefront6targetE1EEEvSL_
	.globl	_ZN7rocprim17ROCPRIM_400000_NS6detail17trampoline_kernelINS0_14default_configENS1_38merge_sort_block_merge_config_selectorIiNS0_10empty_typeEEEZZNS1_27merge_sort_block_merge_implIS3_N6thrust23THRUST_200600_302600_NS6detail15normal_iteratorINS9_10device_ptrIiEEEEPS5_jNS1_19radix_merge_compareILb0ELb0EiNS0_19identity_decomposerEEEEE10hipError_tT0_T1_T2_jT3_P12ihipStream_tbPNSt15iterator_traitsISK_E10value_typeEPNSQ_ISL_E10value_typeEPSM_NS1_7vsmem_tEENKUlT_SK_SL_SM_E_clIPiSE_SF_SF_EESJ_SZ_SK_SL_SM_EUlSZ_E_NS1_11comp_targetILNS1_3genE3ELNS1_11target_archE908ELNS1_3gpuE7ELNS1_3repE0EEENS1_48merge_mergepath_partition_config_static_selectorELNS0_4arch9wavefront6targetE1EEEvSL_
	.p2align	8
	.type	_ZN7rocprim17ROCPRIM_400000_NS6detail17trampoline_kernelINS0_14default_configENS1_38merge_sort_block_merge_config_selectorIiNS0_10empty_typeEEEZZNS1_27merge_sort_block_merge_implIS3_N6thrust23THRUST_200600_302600_NS6detail15normal_iteratorINS9_10device_ptrIiEEEEPS5_jNS1_19radix_merge_compareILb0ELb0EiNS0_19identity_decomposerEEEEE10hipError_tT0_T1_T2_jT3_P12ihipStream_tbPNSt15iterator_traitsISK_E10value_typeEPNSQ_ISL_E10value_typeEPSM_NS1_7vsmem_tEENKUlT_SK_SL_SM_E_clIPiSE_SF_SF_EESJ_SZ_SK_SL_SM_EUlSZ_E_NS1_11comp_targetILNS1_3genE3ELNS1_11target_archE908ELNS1_3gpuE7ELNS1_3repE0EEENS1_48merge_mergepath_partition_config_static_selectorELNS0_4arch9wavefront6targetE1EEEvSL_,@function
_ZN7rocprim17ROCPRIM_400000_NS6detail17trampoline_kernelINS0_14default_configENS1_38merge_sort_block_merge_config_selectorIiNS0_10empty_typeEEEZZNS1_27merge_sort_block_merge_implIS3_N6thrust23THRUST_200600_302600_NS6detail15normal_iteratorINS9_10device_ptrIiEEEEPS5_jNS1_19radix_merge_compareILb0ELb0EiNS0_19identity_decomposerEEEEE10hipError_tT0_T1_T2_jT3_P12ihipStream_tbPNSt15iterator_traitsISK_E10value_typeEPNSQ_ISL_E10value_typeEPSM_NS1_7vsmem_tEENKUlT_SK_SL_SM_E_clIPiSE_SF_SF_EESJ_SZ_SK_SL_SM_EUlSZ_E_NS1_11comp_targetILNS1_3genE3ELNS1_11target_archE908ELNS1_3gpuE7ELNS1_3repE0EEENS1_48merge_mergepath_partition_config_static_selectorELNS0_4arch9wavefront6targetE1EEEvSL_: ; @_ZN7rocprim17ROCPRIM_400000_NS6detail17trampoline_kernelINS0_14default_configENS1_38merge_sort_block_merge_config_selectorIiNS0_10empty_typeEEEZZNS1_27merge_sort_block_merge_implIS3_N6thrust23THRUST_200600_302600_NS6detail15normal_iteratorINS9_10device_ptrIiEEEEPS5_jNS1_19radix_merge_compareILb0ELb0EiNS0_19identity_decomposerEEEEE10hipError_tT0_T1_T2_jT3_P12ihipStream_tbPNSt15iterator_traitsISK_E10value_typeEPNSQ_ISL_E10value_typeEPSM_NS1_7vsmem_tEENKUlT_SK_SL_SM_E_clIPiSE_SF_SF_EESJ_SZ_SK_SL_SM_EUlSZ_E_NS1_11comp_targetILNS1_3genE3ELNS1_11target_archE908ELNS1_3gpuE7ELNS1_3repE0EEENS1_48merge_mergepath_partition_config_static_selectorELNS0_4arch9wavefront6targetE1EEEvSL_
; %bb.0:
	.section	.rodata,"a",@progbits
	.p2align	6, 0x0
	.amdhsa_kernel _ZN7rocprim17ROCPRIM_400000_NS6detail17trampoline_kernelINS0_14default_configENS1_38merge_sort_block_merge_config_selectorIiNS0_10empty_typeEEEZZNS1_27merge_sort_block_merge_implIS3_N6thrust23THRUST_200600_302600_NS6detail15normal_iteratorINS9_10device_ptrIiEEEEPS5_jNS1_19radix_merge_compareILb0ELb0EiNS0_19identity_decomposerEEEEE10hipError_tT0_T1_T2_jT3_P12ihipStream_tbPNSt15iterator_traitsISK_E10value_typeEPNSQ_ISL_E10value_typeEPSM_NS1_7vsmem_tEENKUlT_SK_SL_SM_E_clIPiSE_SF_SF_EESJ_SZ_SK_SL_SM_EUlSZ_E_NS1_11comp_targetILNS1_3genE3ELNS1_11target_archE908ELNS1_3gpuE7ELNS1_3repE0EEENS1_48merge_mergepath_partition_config_static_selectorELNS0_4arch9wavefront6targetE1EEEvSL_
		.amdhsa_group_segment_fixed_size 0
		.amdhsa_private_segment_fixed_size 0
		.amdhsa_kernarg_size 40
		.amdhsa_user_sgpr_count 2
		.amdhsa_user_sgpr_dispatch_ptr 0
		.amdhsa_user_sgpr_queue_ptr 0
		.amdhsa_user_sgpr_kernarg_segment_ptr 1
		.amdhsa_user_sgpr_dispatch_id 0
		.amdhsa_user_sgpr_kernarg_preload_length 0
		.amdhsa_user_sgpr_kernarg_preload_offset 0
		.amdhsa_user_sgpr_private_segment_size 0
		.amdhsa_uses_dynamic_stack 0
		.amdhsa_enable_private_segment 0
		.amdhsa_system_sgpr_workgroup_id_x 1
		.amdhsa_system_sgpr_workgroup_id_y 0
		.amdhsa_system_sgpr_workgroup_id_z 0
		.amdhsa_system_sgpr_workgroup_info 0
		.amdhsa_system_vgpr_workitem_id 0
		.amdhsa_next_free_vgpr 1
		.amdhsa_next_free_sgpr 0
		.amdhsa_accum_offset 4
		.amdhsa_reserve_vcc 0
		.amdhsa_float_round_mode_32 0
		.amdhsa_float_round_mode_16_64 0
		.amdhsa_float_denorm_mode_32 3
		.amdhsa_float_denorm_mode_16_64 3
		.amdhsa_dx10_clamp 1
		.amdhsa_ieee_mode 1
		.amdhsa_fp16_overflow 0
		.amdhsa_tg_split 0
		.amdhsa_exception_fp_ieee_invalid_op 0
		.amdhsa_exception_fp_denorm_src 0
		.amdhsa_exception_fp_ieee_div_zero 0
		.amdhsa_exception_fp_ieee_overflow 0
		.amdhsa_exception_fp_ieee_underflow 0
		.amdhsa_exception_fp_ieee_inexact 0
		.amdhsa_exception_int_div_zero 0
	.end_amdhsa_kernel
	.section	.text._ZN7rocprim17ROCPRIM_400000_NS6detail17trampoline_kernelINS0_14default_configENS1_38merge_sort_block_merge_config_selectorIiNS0_10empty_typeEEEZZNS1_27merge_sort_block_merge_implIS3_N6thrust23THRUST_200600_302600_NS6detail15normal_iteratorINS9_10device_ptrIiEEEEPS5_jNS1_19radix_merge_compareILb0ELb0EiNS0_19identity_decomposerEEEEE10hipError_tT0_T1_T2_jT3_P12ihipStream_tbPNSt15iterator_traitsISK_E10value_typeEPNSQ_ISL_E10value_typeEPSM_NS1_7vsmem_tEENKUlT_SK_SL_SM_E_clIPiSE_SF_SF_EESJ_SZ_SK_SL_SM_EUlSZ_E_NS1_11comp_targetILNS1_3genE3ELNS1_11target_archE908ELNS1_3gpuE7ELNS1_3repE0EEENS1_48merge_mergepath_partition_config_static_selectorELNS0_4arch9wavefront6targetE1EEEvSL_,"axG",@progbits,_ZN7rocprim17ROCPRIM_400000_NS6detail17trampoline_kernelINS0_14default_configENS1_38merge_sort_block_merge_config_selectorIiNS0_10empty_typeEEEZZNS1_27merge_sort_block_merge_implIS3_N6thrust23THRUST_200600_302600_NS6detail15normal_iteratorINS9_10device_ptrIiEEEEPS5_jNS1_19radix_merge_compareILb0ELb0EiNS0_19identity_decomposerEEEEE10hipError_tT0_T1_T2_jT3_P12ihipStream_tbPNSt15iterator_traitsISK_E10value_typeEPNSQ_ISL_E10value_typeEPSM_NS1_7vsmem_tEENKUlT_SK_SL_SM_E_clIPiSE_SF_SF_EESJ_SZ_SK_SL_SM_EUlSZ_E_NS1_11comp_targetILNS1_3genE3ELNS1_11target_archE908ELNS1_3gpuE7ELNS1_3repE0EEENS1_48merge_mergepath_partition_config_static_selectorELNS0_4arch9wavefront6targetE1EEEvSL_,comdat
.Lfunc_end1618:
	.size	_ZN7rocprim17ROCPRIM_400000_NS6detail17trampoline_kernelINS0_14default_configENS1_38merge_sort_block_merge_config_selectorIiNS0_10empty_typeEEEZZNS1_27merge_sort_block_merge_implIS3_N6thrust23THRUST_200600_302600_NS6detail15normal_iteratorINS9_10device_ptrIiEEEEPS5_jNS1_19radix_merge_compareILb0ELb0EiNS0_19identity_decomposerEEEEE10hipError_tT0_T1_T2_jT3_P12ihipStream_tbPNSt15iterator_traitsISK_E10value_typeEPNSQ_ISL_E10value_typeEPSM_NS1_7vsmem_tEENKUlT_SK_SL_SM_E_clIPiSE_SF_SF_EESJ_SZ_SK_SL_SM_EUlSZ_E_NS1_11comp_targetILNS1_3genE3ELNS1_11target_archE908ELNS1_3gpuE7ELNS1_3repE0EEENS1_48merge_mergepath_partition_config_static_selectorELNS0_4arch9wavefront6targetE1EEEvSL_, .Lfunc_end1618-_ZN7rocprim17ROCPRIM_400000_NS6detail17trampoline_kernelINS0_14default_configENS1_38merge_sort_block_merge_config_selectorIiNS0_10empty_typeEEEZZNS1_27merge_sort_block_merge_implIS3_N6thrust23THRUST_200600_302600_NS6detail15normal_iteratorINS9_10device_ptrIiEEEEPS5_jNS1_19radix_merge_compareILb0ELb0EiNS0_19identity_decomposerEEEEE10hipError_tT0_T1_T2_jT3_P12ihipStream_tbPNSt15iterator_traitsISK_E10value_typeEPNSQ_ISL_E10value_typeEPSM_NS1_7vsmem_tEENKUlT_SK_SL_SM_E_clIPiSE_SF_SF_EESJ_SZ_SK_SL_SM_EUlSZ_E_NS1_11comp_targetILNS1_3genE3ELNS1_11target_archE908ELNS1_3gpuE7ELNS1_3repE0EEENS1_48merge_mergepath_partition_config_static_selectorELNS0_4arch9wavefront6targetE1EEEvSL_
                                        ; -- End function
	.section	.AMDGPU.csdata,"",@progbits
; Kernel info:
; codeLenInByte = 0
; NumSgprs: 6
; NumVgprs: 0
; NumAgprs: 0
; TotalNumVgprs: 0
; ScratchSize: 0
; MemoryBound: 0
; FloatMode: 240
; IeeeMode: 1
; LDSByteSize: 0 bytes/workgroup (compile time only)
; SGPRBlocks: 0
; VGPRBlocks: 0
; NumSGPRsForWavesPerEU: 6
; NumVGPRsForWavesPerEU: 1
; AccumOffset: 4
; Occupancy: 8
; WaveLimiterHint : 0
; COMPUTE_PGM_RSRC2:SCRATCH_EN: 0
; COMPUTE_PGM_RSRC2:USER_SGPR: 2
; COMPUTE_PGM_RSRC2:TRAP_HANDLER: 0
; COMPUTE_PGM_RSRC2:TGID_X_EN: 1
; COMPUTE_PGM_RSRC2:TGID_Y_EN: 0
; COMPUTE_PGM_RSRC2:TGID_Z_EN: 0
; COMPUTE_PGM_RSRC2:TIDIG_COMP_CNT: 0
; COMPUTE_PGM_RSRC3_GFX90A:ACCUM_OFFSET: 0
; COMPUTE_PGM_RSRC3_GFX90A:TG_SPLIT: 0
	.section	.text._ZN7rocprim17ROCPRIM_400000_NS6detail17trampoline_kernelINS0_14default_configENS1_38merge_sort_block_merge_config_selectorIiNS0_10empty_typeEEEZZNS1_27merge_sort_block_merge_implIS3_N6thrust23THRUST_200600_302600_NS6detail15normal_iteratorINS9_10device_ptrIiEEEEPS5_jNS1_19radix_merge_compareILb0ELb0EiNS0_19identity_decomposerEEEEE10hipError_tT0_T1_T2_jT3_P12ihipStream_tbPNSt15iterator_traitsISK_E10value_typeEPNSQ_ISL_E10value_typeEPSM_NS1_7vsmem_tEENKUlT_SK_SL_SM_E_clIPiSE_SF_SF_EESJ_SZ_SK_SL_SM_EUlSZ_E_NS1_11comp_targetILNS1_3genE2ELNS1_11target_archE906ELNS1_3gpuE6ELNS1_3repE0EEENS1_48merge_mergepath_partition_config_static_selectorELNS0_4arch9wavefront6targetE1EEEvSL_,"axG",@progbits,_ZN7rocprim17ROCPRIM_400000_NS6detail17trampoline_kernelINS0_14default_configENS1_38merge_sort_block_merge_config_selectorIiNS0_10empty_typeEEEZZNS1_27merge_sort_block_merge_implIS3_N6thrust23THRUST_200600_302600_NS6detail15normal_iteratorINS9_10device_ptrIiEEEEPS5_jNS1_19radix_merge_compareILb0ELb0EiNS0_19identity_decomposerEEEEE10hipError_tT0_T1_T2_jT3_P12ihipStream_tbPNSt15iterator_traitsISK_E10value_typeEPNSQ_ISL_E10value_typeEPSM_NS1_7vsmem_tEENKUlT_SK_SL_SM_E_clIPiSE_SF_SF_EESJ_SZ_SK_SL_SM_EUlSZ_E_NS1_11comp_targetILNS1_3genE2ELNS1_11target_archE906ELNS1_3gpuE6ELNS1_3repE0EEENS1_48merge_mergepath_partition_config_static_selectorELNS0_4arch9wavefront6targetE1EEEvSL_,comdat
	.protected	_ZN7rocprim17ROCPRIM_400000_NS6detail17trampoline_kernelINS0_14default_configENS1_38merge_sort_block_merge_config_selectorIiNS0_10empty_typeEEEZZNS1_27merge_sort_block_merge_implIS3_N6thrust23THRUST_200600_302600_NS6detail15normal_iteratorINS9_10device_ptrIiEEEEPS5_jNS1_19radix_merge_compareILb0ELb0EiNS0_19identity_decomposerEEEEE10hipError_tT0_T1_T2_jT3_P12ihipStream_tbPNSt15iterator_traitsISK_E10value_typeEPNSQ_ISL_E10value_typeEPSM_NS1_7vsmem_tEENKUlT_SK_SL_SM_E_clIPiSE_SF_SF_EESJ_SZ_SK_SL_SM_EUlSZ_E_NS1_11comp_targetILNS1_3genE2ELNS1_11target_archE906ELNS1_3gpuE6ELNS1_3repE0EEENS1_48merge_mergepath_partition_config_static_selectorELNS0_4arch9wavefront6targetE1EEEvSL_ ; -- Begin function _ZN7rocprim17ROCPRIM_400000_NS6detail17trampoline_kernelINS0_14default_configENS1_38merge_sort_block_merge_config_selectorIiNS0_10empty_typeEEEZZNS1_27merge_sort_block_merge_implIS3_N6thrust23THRUST_200600_302600_NS6detail15normal_iteratorINS9_10device_ptrIiEEEEPS5_jNS1_19radix_merge_compareILb0ELb0EiNS0_19identity_decomposerEEEEE10hipError_tT0_T1_T2_jT3_P12ihipStream_tbPNSt15iterator_traitsISK_E10value_typeEPNSQ_ISL_E10value_typeEPSM_NS1_7vsmem_tEENKUlT_SK_SL_SM_E_clIPiSE_SF_SF_EESJ_SZ_SK_SL_SM_EUlSZ_E_NS1_11comp_targetILNS1_3genE2ELNS1_11target_archE906ELNS1_3gpuE6ELNS1_3repE0EEENS1_48merge_mergepath_partition_config_static_selectorELNS0_4arch9wavefront6targetE1EEEvSL_
	.globl	_ZN7rocprim17ROCPRIM_400000_NS6detail17trampoline_kernelINS0_14default_configENS1_38merge_sort_block_merge_config_selectorIiNS0_10empty_typeEEEZZNS1_27merge_sort_block_merge_implIS3_N6thrust23THRUST_200600_302600_NS6detail15normal_iteratorINS9_10device_ptrIiEEEEPS5_jNS1_19radix_merge_compareILb0ELb0EiNS0_19identity_decomposerEEEEE10hipError_tT0_T1_T2_jT3_P12ihipStream_tbPNSt15iterator_traitsISK_E10value_typeEPNSQ_ISL_E10value_typeEPSM_NS1_7vsmem_tEENKUlT_SK_SL_SM_E_clIPiSE_SF_SF_EESJ_SZ_SK_SL_SM_EUlSZ_E_NS1_11comp_targetILNS1_3genE2ELNS1_11target_archE906ELNS1_3gpuE6ELNS1_3repE0EEENS1_48merge_mergepath_partition_config_static_selectorELNS0_4arch9wavefront6targetE1EEEvSL_
	.p2align	8
	.type	_ZN7rocprim17ROCPRIM_400000_NS6detail17trampoline_kernelINS0_14default_configENS1_38merge_sort_block_merge_config_selectorIiNS0_10empty_typeEEEZZNS1_27merge_sort_block_merge_implIS3_N6thrust23THRUST_200600_302600_NS6detail15normal_iteratorINS9_10device_ptrIiEEEEPS5_jNS1_19radix_merge_compareILb0ELb0EiNS0_19identity_decomposerEEEEE10hipError_tT0_T1_T2_jT3_P12ihipStream_tbPNSt15iterator_traitsISK_E10value_typeEPNSQ_ISL_E10value_typeEPSM_NS1_7vsmem_tEENKUlT_SK_SL_SM_E_clIPiSE_SF_SF_EESJ_SZ_SK_SL_SM_EUlSZ_E_NS1_11comp_targetILNS1_3genE2ELNS1_11target_archE906ELNS1_3gpuE6ELNS1_3repE0EEENS1_48merge_mergepath_partition_config_static_selectorELNS0_4arch9wavefront6targetE1EEEvSL_,@function
_ZN7rocprim17ROCPRIM_400000_NS6detail17trampoline_kernelINS0_14default_configENS1_38merge_sort_block_merge_config_selectorIiNS0_10empty_typeEEEZZNS1_27merge_sort_block_merge_implIS3_N6thrust23THRUST_200600_302600_NS6detail15normal_iteratorINS9_10device_ptrIiEEEEPS5_jNS1_19radix_merge_compareILb0ELb0EiNS0_19identity_decomposerEEEEE10hipError_tT0_T1_T2_jT3_P12ihipStream_tbPNSt15iterator_traitsISK_E10value_typeEPNSQ_ISL_E10value_typeEPSM_NS1_7vsmem_tEENKUlT_SK_SL_SM_E_clIPiSE_SF_SF_EESJ_SZ_SK_SL_SM_EUlSZ_E_NS1_11comp_targetILNS1_3genE2ELNS1_11target_archE906ELNS1_3gpuE6ELNS1_3repE0EEENS1_48merge_mergepath_partition_config_static_selectorELNS0_4arch9wavefront6targetE1EEEvSL_: ; @_ZN7rocprim17ROCPRIM_400000_NS6detail17trampoline_kernelINS0_14default_configENS1_38merge_sort_block_merge_config_selectorIiNS0_10empty_typeEEEZZNS1_27merge_sort_block_merge_implIS3_N6thrust23THRUST_200600_302600_NS6detail15normal_iteratorINS9_10device_ptrIiEEEEPS5_jNS1_19radix_merge_compareILb0ELb0EiNS0_19identity_decomposerEEEEE10hipError_tT0_T1_T2_jT3_P12ihipStream_tbPNSt15iterator_traitsISK_E10value_typeEPNSQ_ISL_E10value_typeEPSM_NS1_7vsmem_tEENKUlT_SK_SL_SM_E_clIPiSE_SF_SF_EESJ_SZ_SK_SL_SM_EUlSZ_E_NS1_11comp_targetILNS1_3genE2ELNS1_11target_archE906ELNS1_3gpuE6ELNS1_3repE0EEENS1_48merge_mergepath_partition_config_static_selectorELNS0_4arch9wavefront6targetE1EEEvSL_
; %bb.0:
	.section	.rodata,"a",@progbits
	.p2align	6, 0x0
	.amdhsa_kernel _ZN7rocprim17ROCPRIM_400000_NS6detail17trampoline_kernelINS0_14default_configENS1_38merge_sort_block_merge_config_selectorIiNS0_10empty_typeEEEZZNS1_27merge_sort_block_merge_implIS3_N6thrust23THRUST_200600_302600_NS6detail15normal_iteratorINS9_10device_ptrIiEEEEPS5_jNS1_19radix_merge_compareILb0ELb0EiNS0_19identity_decomposerEEEEE10hipError_tT0_T1_T2_jT3_P12ihipStream_tbPNSt15iterator_traitsISK_E10value_typeEPNSQ_ISL_E10value_typeEPSM_NS1_7vsmem_tEENKUlT_SK_SL_SM_E_clIPiSE_SF_SF_EESJ_SZ_SK_SL_SM_EUlSZ_E_NS1_11comp_targetILNS1_3genE2ELNS1_11target_archE906ELNS1_3gpuE6ELNS1_3repE0EEENS1_48merge_mergepath_partition_config_static_selectorELNS0_4arch9wavefront6targetE1EEEvSL_
		.amdhsa_group_segment_fixed_size 0
		.amdhsa_private_segment_fixed_size 0
		.amdhsa_kernarg_size 40
		.amdhsa_user_sgpr_count 2
		.amdhsa_user_sgpr_dispatch_ptr 0
		.amdhsa_user_sgpr_queue_ptr 0
		.amdhsa_user_sgpr_kernarg_segment_ptr 1
		.amdhsa_user_sgpr_dispatch_id 0
		.amdhsa_user_sgpr_kernarg_preload_length 0
		.amdhsa_user_sgpr_kernarg_preload_offset 0
		.amdhsa_user_sgpr_private_segment_size 0
		.amdhsa_uses_dynamic_stack 0
		.amdhsa_enable_private_segment 0
		.amdhsa_system_sgpr_workgroup_id_x 1
		.amdhsa_system_sgpr_workgroup_id_y 0
		.amdhsa_system_sgpr_workgroup_id_z 0
		.amdhsa_system_sgpr_workgroup_info 0
		.amdhsa_system_vgpr_workitem_id 0
		.amdhsa_next_free_vgpr 1
		.amdhsa_next_free_sgpr 0
		.amdhsa_accum_offset 4
		.amdhsa_reserve_vcc 0
		.amdhsa_float_round_mode_32 0
		.amdhsa_float_round_mode_16_64 0
		.amdhsa_float_denorm_mode_32 3
		.amdhsa_float_denorm_mode_16_64 3
		.amdhsa_dx10_clamp 1
		.amdhsa_ieee_mode 1
		.amdhsa_fp16_overflow 0
		.amdhsa_tg_split 0
		.amdhsa_exception_fp_ieee_invalid_op 0
		.amdhsa_exception_fp_denorm_src 0
		.amdhsa_exception_fp_ieee_div_zero 0
		.amdhsa_exception_fp_ieee_overflow 0
		.amdhsa_exception_fp_ieee_underflow 0
		.amdhsa_exception_fp_ieee_inexact 0
		.amdhsa_exception_int_div_zero 0
	.end_amdhsa_kernel
	.section	.text._ZN7rocprim17ROCPRIM_400000_NS6detail17trampoline_kernelINS0_14default_configENS1_38merge_sort_block_merge_config_selectorIiNS0_10empty_typeEEEZZNS1_27merge_sort_block_merge_implIS3_N6thrust23THRUST_200600_302600_NS6detail15normal_iteratorINS9_10device_ptrIiEEEEPS5_jNS1_19radix_merge_compareILb0ELb0EiNS0_19identity_decomposerEEEEE10hipError_tT0_T1_T2_jT3_P12ihipStream_tbPNSt15iterator_traitsISK_E10value_typeEPNSQ_ISL_E10value_typeEPSM_NS1_7vsmem_tEENKUlT_SK_SL_SM_E_clIPiSE_SF_SF_EESJ_SZ_SK_SL_SM_EUlSZ_E_NS1_11comp_targetILNS1_3genE2ELNS1_11target_archE906ELNS1_3gpuE6ELNS1_3repE0EEENS1_48merge_mergepath_partition_config_static_selectorELNS0_4arch9wavefront6targetE1EEEvSL_,"axG",@progbits,_ZN7rocprim17ROCPRIM_400000_NS6detail17trampoline_kernelINS0_14default_configENS1_38merge_sort_block_merge_config_selectorIiNS0_10empty_typeEEEZZNS1_27merge_sort_block_merge_implIS3_N6thrust23THRUST_200600_302600_NS6detail15normal_iteratorINS9_10device_ptrIiEEEEPS5_jNS1_19radix_merge_compareILb0ELb0EiNS0_19identity_decomposerEEEEE10hipError_tT0_T1_T2_jT3_P12ihipStream_tbPNSt15iterator_traitsISK_E10value_typeEPNSQ_ISL_E10value_typeEPSM_NS1_7vsmem_tEENKUlT_SK_SL_SM_E_clIPiSE_SF_SF_EESJ_SZ_SK_SL_SM_EUlSZ_E_NS1_11comp_targetILNS1_3genE2ELNS1_11target_archE906ELNS1_3gpuE6ELNS1_3repE0EEENS1_48merge_mergepath_partition_config_static_selectorELNS0_4arch9wavefront6targetE1EEEvSL_,comdat
.Lfunc_end1619:
	.size	_ZN7rocprim17ROCPRIM_400000_NS6detail17trampoline_kernelINS0_14default_configENS1_38merge_sort_block_merge_config_selectorIiNS0_10empty_typeEEEZZNS1_27merge_sort_block_merge_implIS3_N6thrust23THRUST_200600_302600_NS6detail15normal_iteratorINS9_10device_ptrIiEEEEPS5_jNS1_19radix_merge_compareILb0ELb0EiNS0_19identity_decomposerEEEEE10hipError_tT0_T1_T2_jT3_P12ihipStream_tbPNSt15iterator_traitsISK_E10value_typeEPNSQ_ISL_E10value_typeEPSM_NS1_7vsmem_tEENKUlT_SK_SL_SM_E_clIPiSE_SF_SF_EESJ_SZ_SK_SL_SM_EUlSZ_E_NS1_11comp_targetILNS1_3genE2ELNS1_11target_archE906ELNS1_3gpuE6ELNS1_3repE0EEENS1_48merge_mergepath_partition_config_static_selectorELNS0_4arch9wavefront6targetE1EEEvSL_, .Lfunc_end1619-_ZN7rocprim17ROCPRIM_400000_NS6detail17trampoline_kernelINS0_14default_configENS1_38merge_sort_block_merge_config_selectorIiNS0_10empty_typeEEEZZNS1_27merge_sort_block_merge_implIS3_N6thrust23THRUST_200600_302600_NS6detail15normal_iteratorINS9_10device_ptrIiEEEEPS5_jNS1_19radix_merge_compareILb0ELb0EiNS0_19identity_decomposerEEEEE10hipError_tT0_T1_T2_jT3_P12ihipStream_tbPNSt15iterator_traitsISK_E10value_typeEPNSQ_ISL_E10value_typeEPSM_NS1_7vsmem_tEENKUlT_SK_SL_SM_E_clIPiSE_SF_SF_EESJ_SZ_SK_SL_SM_EUlSZ_E_NS1_11comp_targetILNS1_3genE2ELNS1_11target_archE906ELNS1_3gpuE6ELNS1_3repE0EEENS1_48merge_mergepath_partition_config_static_selectorELNS0_4arch9wavefront6targetE1EEEvSL_
                                        ; -- End function
	.section	.AMDGPU.csdata,"",@progbits
; Kernel info:
; codeLenInByte = 0
; NumSgprs: 6
; NumVgprs: 0
; NumAgprs: 0
; TotalNumVgprs: 0
; ScratchSize: 0
; MemoryBound: 0
; FloatMode: 240
; IeeeMode: 1
; LDSByteSize: 0 bytes/workgroup (compile time only)
; SGPRBlocks: 0
; VGPRBlocks: 0
; NumSGPRsForWavesPerEU: 6
; NumVGPRsForWavesPerEU: 1
; AccumOffset: 4
; Occupancy: 8
; WaveLimiterHint : 0
; COMPUTE_PGM_RSRC2:SCRATCH_EN: 0
; COMPUTE_PGM_RSRC2:USER_SGPR: 2
; COMPUTE_PGM_RSRC2:TRAP_HANDLER: 0
; COMPUTE_PGM_RSRC2:TGID_X_EN: 1
; COMPUTE_PGM_RSRC2:TGID_Y_EN: 0
; COMPUTE_PGM_RSRC2:TGID_Z_EN: 0
; COMPUTE_PGM_RSRC2:TIDIG_COMP_CNT: 0
; COMPUTE_PGM_RSRC3_GFX90A:ACCUM_OFFSET: 0
; COMPUTE_PGM_RSRC3_GFX90A:TG_SPLIT: 0
	.section	.text._ZN7rocprim17ROCPRIM_400000_NS6detail17trampoline_kernelINS0_14default_configENS1_38merge_sort_block_merge_config_selectorIiNS0_10empty_typeEEEZZNS1_27merge_sort_block_merge_implIS3_N6thrust23THRUST_200600_302600_NS6detail15normal_iteratorINS9_10device_ptrIiEEEEPS5_jNS1_19radix_merge_compareILb0ELb0EiNS0_19identity_decomposerEEEEE10hipError_tT0_T1_T2_jT3_P12ihipStream_tbPNSt15iterator_traitsISK_E10value_typeEPNSQ_ISL_E10value_typeEPSM_NS1_7vsmem_tEENKUlT_SK_SL_SM_E_clIPiSE_SF_SF_EESJ_SZ_SK_SL_SM_EUlSZ_E_NS1_11comp_targetILNS1_3genE9ELNS1_11target_archE1100ELNS1_3gpuE3ELNS1_3repE0EEENS1_48merge_mergepath_partition_config_static_selectorELNS0_4arch9wavefront6targetE1EEEvSL_,"axG",@progbits,_ZN7rocprim17ROCPRIM_400000_NS6detail17trampoline_kernelINS0_14default_configENS1_38merge_sort_block_merge_config_selectorIiNS0_10empty_typeEEEZZNS1_27merge_sort_block_merge_implIS3_N6thrust23THRUST_200600_302600_NS6detail15normal_iteratorINS9_10device_ptrIiEEEEPS5_jNS1_19radix_merge_compareILb0ELb0EiNS0_19identity_decomposerEEEEE10hipError_tT0_T1_T2_jT3_P12ihipStream_tbPNSt15iterator_traitsISK_E10value_typeEPNSQ_ISL_E10value_typeEPSM_NS1_7vsmem_tEENKUlT_SK_SL_SM_E_clIPiSE_SF_SF_EESJ_SZ_SK_SL_SM_EUlSZ_E_NS1_11comp_targetILNS1_3genE9ELNS1_11target_archE1100ELNS1_3gpuE3ELNS1_3repE0EEENS1_48merge_mergepath_partition_config_static_selectorELNS0_4arch9wavefront6targetE1EEEvSL_,comdat
	.protected	_ZN7rocprim17ROCPRIM_400000_NS6detail17trampoline_kernelINS0_14default_configENS1_38merge_sort_block_merge_config_selectorIiNS0_10empty_typeEEEZZNS1_27merge_sort_block_merge_implIS3_N6thrust23THRUST_200600_302600_NS6detail15normal_iteratorINS9_10device_ptrIiEEEEPS5_jNS1_19radix_merge_compareILb0ELb0EiNS0_19identity_decomposerEEEEE10hipError_tT0_T1_T2_jT3_P12ihipStream_tbPNSt15iterator_traitsISK_E10value_typeEPNSQ_ISL_E10value_typeEPSM_NS1_7vsmem_tEENKUlT_SK_SL_SM_E_clIPiSE_SF_SF_EESJ_SZ_SK_SL_SM_EUlSZ_E_NS1_11comp_targetILNS1_3genE9ELNS1_11target_archE1100ELNS1_3gpuE3ELNS1_3repE0EEENS1_48merge_mergepath_partition_config_static_selectorELNS0_4arch9wavefront6targetE1EEEvSL_ ; -- Begin function _ZN7rocprim17ROCPRIM_400000_NS6detail17trampoline_kernelINS0_14default_configENS1_38merge_sort_block_merge_config_selectorIiNS0_10empty_typeEEEZZNS1_27merge_sort_block_merge_implIS3_N6thrust23THRUST_200600_302600_NS6detail15normal_iteratorINS9_10device_ptrIiEEEEPS5_jNS1_19radix_merge_compareILb0ELb0EiNS0_19identity_decomposerEEEEE10hipError_tT0_T1_T2_jT3_P12ihipStream_tbPNSt15iterator_traitsISK_E10value_typeEPNSQ_ISL_E10value_typeEPSM_NS1_7vsmem_tEENKUlT_SK_SL_SM_E_clIPiSE_SF_SF_EESJ_SZ_SK_SL_SM_EUlSZ_E_NS1_11comp_targetILNS1_3genE9ELNS1_11target_archE1100ELNS1_3gpuE3ELNS1_3repE0EEENS1_48merge_mergepath_partition_config_static_selectorELNS0_4arch9wavefront6targetE1EEEvSL_
	.globl	_ZN7rocprim17ROCPRIM_400000_NS6detail17trampoline_kernelINS0_14default_configENS1_38merge_sort_block_merge_config_selectorIiNS0_10empty_typeEEEZZNS1_27merge_sort_block_merge_implIS3_N6thrust23THRUST_200600_302600_NS6detail15normal_iteratorINS9_10device_ptrIiEEEEPS5_jNS1_19radix_merge_compareILb0ELb0EiNS0_19identity_decomposerEEEEE10hipError_tT0_T1_T2_jT3_P12ihipStream_tbPNSt15iterator_traitsISK_E10value_typeEPNSQ_ISL_E10value_typeEPSM_NS1_7vsmem_tEENKUlT_SK_SL_SM_E_clIPiSE_SF_SF_EESJ_SZ_SK_SL_SM_EUlSZ_E_NS1_11comp_targetILNS1_3genE9ELNS1_11target_archE1100ELNS1_3gpuE3ELNS1_3repE0EEENS1_48merge_mergepath_partition_config_static_selectorELNS0_4arch9wavefront6targetE1EEEvSL_
	.p2align	8
	.type	_ZN7rocprim17ROCPRIM_400000_NS6detail17trampoline_kernelINS0_14default_configENS1_38merge_sort_block_merge_config_selectorIiNS0_10empty_typeEEEZZNS1_27merge_sort_block_merge_implIS3_N6thrust23THRUST_200600_302600_NS6detail15normal_iteratorINS9_10device_ptrIiEEEEPS5_jNS1_19radix_merge_compareILb0ELb0EiNS0_19identity_decomposerEEEEE10hipError_tT0_T1_T2_jT3_P12ihipStream_tbPNSt15iterator_traitsISK_E10value_typeEPNSQ_ISL_E10value_typeEPSM_NS1_7vsmem_tEENKUlT_SK_SL_SM_E_clIPiSE_SF_SF_EESJ_SZ_SK_SL_SM_EUlSZ_E_NS1_11comp_targetILNS1_3genE9ELNS1_11target_archE1100ELNS1_3gpuE3ELNS1_3repE0EEENS1_48merge_mergepath_partition_config_static_selectorELNS0_4arch9wavefront6targetE1EEEvSL_,@function
_ZN7rocprim17ROCPRIM_400000_NS6detail17trampoline_kernelINS0_14default_configENS1_38merge_sort_block_merge_config_selectorIiNS0_10empty_typeEEEZZNS1_27merge_sort_block_merge_implIS3_N6thrust23THRUST_200600_302600_NS6detail15normal_iteratorINS9_10device_ptrIiEEEEPS5_jNS1_19radix_merge_compareILb0ELb0EiNS0_19identity_decomposerEEEEE10hipError_tT0_T1_T2_jT3_P12ihipStream_tbPNSt15iterator_traitsISK_E10value_typeEPNSQ_ISL_E10value_typeEPSM_NS1_7vsmem_tEENKUlT_SK_SL_SM_E_clIPiSE_SF_SF_EESJ_SZ_SK_SL_SM_EUlSZ_E_NS1_11comp_targetILNS1_3genE9ELNS1_11target_archE1100ELNS1_3gpuE3ELNS1_3repE0EEENS1_48merge_mergepath_partition_config_static_selectorELNS0_4arch9wavefront6targetE1EEEvSL_: ; @_ZN7rocprim17ROCPRIM_400000_NS6detail17trampoline_kernelINS0_14default_configENS1_38merge_sort_block_merge_config_selectorIiNS0_10empty_typeEEEZZNS1_27merge_sort_block_merge_implIS3_N6thrust23THRUST_200600_302600_NS6detail15normal_iteratorINS9_10device_ptrIiEEEEPS5_jNS1_19radix_merge_compareILb0ELb0EiNS0_19identity_decomposerEEEEE10hipError_tT0_T1_T2_jT3_P12ihipStream_tbPNSt15iterator_traitsISK_E10value_typeEPNSQ_ISL_E10value_typeEPSM_NS1_7vsmem_tEENKUlT_SK_SL_SM_E_clIPiSE_SF_SF_EESJ_SZ_SK_SL_SM_EUlSZ_E_NS1_11comp_targetILNS1_3genE9ELNS1_11target_archE1100ELNS1_3gpuE3ELNS1_3repE0EEENS1_48merge_mergepath_partition_config_static_selectorELNS0_4arch9wavefront6targetE1EEEvSL_
; %bb.0:
	.section	.rodata,"a",@progbits
	.p2align	6, 0x0
	.amdhsa_kernel _ZN7rocprim17ROCPRIM_400000_NS6detail17trampoline_kernelINS0_14default_configENS1_38merge_sort_block_merge_config_selectorIiNS0_10empty_typeEEEZZNS1_27merge_sort_block_merge_implIS3_N6thrust23THRUST_200600_302600_NS6detail15normal_iteratorINS9_10device_ptrIiEEEEPS5_jNS1_19radix_merge_compareILb0ELb0EiNS0_19identity_decomposerEEEEE10hipError_tT0_T1_T2_jT3_P12ihipStream_tbPNSt15iterator_traitsISK_E10value_typeEPNSQ_ISL_E10value_typeEPSM_NS1_7vsmem_tEENKUlT_SK_SL_SM_E_clIPiSE_SF_SF_EESJ_SZ_SK_SL_SM_EUlSZ_E_NS1_11comp_targetILNS1_3genE9ELNS1_11target_archE1100ELNS1_3gpuE3ELNS1_3repE0EEENS1_48merge_mergepath_partition_config_static_selectorELNS0_4arch9wavefront6targetE1EEEvSL_
		.amdhsa_group_segment_fixed_size 0
		.amdhsa_private_segment_fixed_size 0
		.amdhsa_kernarg_size 40
		.amdhsa_user_sgpr_count 2
		.amdhsa_user_sgpr_dispatch_ptr 0
		.amdhsa_user_sgpr_queue_ptr 0
		.amdhsa_user_sgpr_kernarg_segment_ptr 1
		.amdhsa_user_sgpr_dispatch_id 0
		.amdhsa_user_sgpr_kernarg_preload_length 0
		.amdhsa_user_sgpr_kernarg_preload_offset 0
		.amdhsa_user_sgpr_private_segment_size 0
		.amdhsa_uses_dynamic_stack 0
		.amdhsa_enable_private_segment 0
		.amdhsa_system_sgpr_workgroup_id_x 1
		.amdhsa_system_sgpr_workgroup_id_y 0
		.amdhsa_system_sgpr_workgroup_id_z 0
		.amdhsa_system_sgpr_workgroup_info 0
		.amdhsa_system_vgpr_workitem_id 0
		.amdhsa_next_free_vgpr 1
		.amdhsa_next_free_sgpr 0
		.amdhsa_accum_offset 4
		.amdhsa_reserve_vcc 0
		.amdhsa_float_round_mode_32 0
		.amdhsa_float_round_mode_16_64 0
		.amdhsa_float_denorm_mode_32 3
		.amdhsa_float_denorm_mode_16_64 3
		.amdhsa_dx10_clamp 1
		.amdhsa_ieee_mode 1
		.amdhsa_fp16_overflow 0
		.amdhsa_tg_split 0
		.amdhsa_exception_fp_ieee_invalid_op 0
		.amdhsa_exception_fp_denorm_src 0
		.amdhsa_exception_fp_ieee_div_zero 0
		.amdhsa_exception_fp_ieee_overflow 0
		.amdhsa_exception_fp_ieee_underflow 0
		.amdhsa_exception_fp_ieee_inexact 0
		.amdhsa_exception_int_div_zero 0
	.end_amdhsa_kernel
	.section	.text._ZN7rocprim17ROCPRIM_400000_NS6detail17trampoline_kernelINS0_14default_configENS1_38merge_sort_block_merge_config_selectorIiNS0_10empty_typeEEEZZNS1_27merge_sort_block_merge_implIS3_N6thrust23THRUST_200600_302600_NS6detail15normal_iteratorINS9_10device_ptrIiEEEEPS5_jNS1_19radix_merge_compareILb0ELb0EiNS0_19identity_decomposerEEEEE10hipError_tT0_T1_T2_jT3_P12ihipStream_tbPNSt15iterator_traitsISK_E10value_typeEPNSQ_ISL_E10value_typeEPSM_NS1_7vsmem_tEENKUlT_SK_SL_SM_E_clIPiSE_SF_SF_EESJ_SZ_SK_SL_SM_EUlSZ_E_NS1_11comp_targetILNS1_3genE9ELNS1_11target_archE1100ELNS1_3gpuE3ELNS1_3repE0EEENS1_48merge_mergepath_partition_config_static_selectorELNS0_4arch9wavefront6targetE1EEEvSL_,"axG",@progbits,_ZN7rocprim17ROCPRIM_400000_NS6detail17trampoline_kernelINS0_14default_configENS1_38merge_sort_block_merge_config_selectorIiNS0_10empty_typeEEEZZNS1_27merge_sort_block_merge_implIS3_N6thrust23THRUST_200600_302600_NS6detail15normal_iteratorINS9_10device_ptrIiEEEEPS5_jNS1_19radix_merge_compareILb0ELb0EiNS0_19identity_decomposerEEEEE10hipError_tT0_T1_T2_jT3_P12ihipStream_tbPNSt15iterator_traitsISK_E10value_typeEPNSQ_ISL_E10value_typeEPSM_NS1_7vsmem_tEENKUlT_SK_SL_SM_E_clIPiSE_SF_SF_EESJ_SZ_SK_SL_SM_EUlSZ_E_NS1_11comp_targetILNS1_3genE9ELNS1_11target_archE1100ELNS1_3gpuE3ELNS1_3repE0EEENS1_48merge_mergepath_partition_config_static_selectorELNS0_4arch9wavefront6targetE1EEEvSL_,comdat
.Lfunc_end1620:
	.size	_ZN7rocprim17ROCPRIM_400000_NS6detail17trampoline_kernelINS0_14default_configENS1_38merge_sort_block_merge_config_selectorIiNS0_10empty_typeEEEZZNS1_27merge_sort_block_merge_implIS3_N6thrust23THRUST_200600_302600_NS6detail15normal_iteratorINS9_10device_ptrIiEEEEPS5_jNS1_19radix_merge_compareILb0ELb0EiNS0_19identity_decomposerEEEEE10hipError_tT0_T1_T2_jT3_P12ihipStream_tbPNSt15iterator_traitsISK_E10value_typeEPNSQ_ISL_E10value_typeEPSM_NS1_7vsmem_tEENKUlT_SK_SL_SM_E_clIPiSE_SF_SF_EESJ_SZ_SK_SL_SM_EUlSZ_E_NS1_11comp_targetILNS1_3genE9ELNS1_11target_archE1100ELNS1_3gpuE3ELNS1_3repE0EEENS1_48merge_mergepath_partition_config_static_selectorELNS0_4arch9wavefront6targetE1EEEvSL_, .Lfunc_end1620-_ZN7rocprim17ROCPRIM_400000_NS6detail17trampoline_kernelINS0_14default_configENS1_38merge_sort_block_merge_config_selectorIiNS0_10empty_typeEEEZZNS1_27merge_sort_block_merge_implIS3_N6thrust23THRUST_200600_302600_NS6detail15normal_iteratorINS9_10device_ptrIiEEEEPS5_jNS1_19radix_merge_compareILb0ELb0EiNS0_19identity_decomposerEEEEE10hipError_tT0_T1_T2_jT3_P12ihipStream_tbPNSt15iterator_traitsISK_E10value_typeEPNSQ_ISL_E10value_typeEPSM_NS1_7vsmem_tEENKUlT_SK_SL_SM_E_clIPiSE_SF_SF_EESJ_SZ_SK_SL_SM_EUlSZ_E_NS1_11comp_targetILNS1_3genE9ELNS1_11target_archE1100ELNS1_3gpuE3ELNS1_3repE0EEENS1_48merge_mergepath_partition_config_static_selectorELNS0_4arch9wavefront6targetE1EEEvSL_
                                        ; -- End function
	.section	.AMDGPU.csdata,"",@progbits
; Kernel info:
; codeLenInByte = 0
; NumSgprs: 6
; NumVgprs: 0
; NumAgprs: 0
; TotalNumVgprs: 0
; ScratchSize: 0
; MemoryBound: 0
; FloatMode: 240
; IeeeMode: 1
; LDSByteSize: 0 bytes/workgroup (compile time only)
; SGPRBlocks: 0
; VGPRBlocks: 0
; NumSGPRsForWavesPerEU: 6
; NumVGPRsForWavesPerEU: 1
; AccumOffset: 4
; Occupancy: 8
; WaveLimiterHint : 0
; COMPUTE_PGM_RSRC2:SCRATCH_EN: 0
; COMPUTE_PGM_RSRC2:USER_SGPR: 2
; COMPUTE_PGM_RSRC2:TRAP_HANDLER: 0
; COMPUTE_PGM_RSRC2:TGID_X_EN: 1
; COMPUTE_PGM_RSRC2:TGID_Y_EN: 0
; COMPUTE_PGM_RSRC2:TGID_Z_EN: 0
; COMPUTE_PGM_RSRC2:TIDIG_COMP_CNT: 0
; COMPUTE_PGM_RSRC3_GFX90A:ACCUM_OFFSET: 0
; COMPUTE_PGM_RSRC3_GFX90A:TG_SPLIT: 0
	.section	.text._ZN7rocprim17ROCPRIM_400000_NS6detail17trampoline_kernelINS0_14default_configENS1_38merge_sort_block_merge_config_selectorIiNS0_10empty_typeEEEZZNS1_27merge_sort_block_merge_implIS3_N6thrust23THRUST_200600_302600_NS6detail15normal_iteratorINS9_10device_ptrIiEEEEPS5_jNS1_19radix_merge_compareILb0ELb0EiNS0_19identity_decomposerEEEEE10hipError_tT0_T1_T2_jT3_P12ihipStream_tbPNSt15iterator_traitsISK_E10value_typeEPNSQ_ISL_E10value_typeEPSM_NS1_7vsmem_tEENKUlT_SK_SL_SM_E_clIPiSE_SF_SF_EESJ_SZ_SK_SL_SM_EUlSZ_E_NS1_11comp_targetILNS1_3genE8ELNS1_11target_archE1030ELNS1_3gpuE2ELNS1_3repE0EEENS1_48merge_mergepath_partition_config_static_selectorELNS0_4arch9wavefront6targetE1EEEvSL_,"axG",@progbits,_ZN7rocprim17ROCPRIM_400000_NS6detail17trampoline_kernelINS0_14default_configENS1_38merge_sort_block_merge_config_selectorIiNS0_10empty_typeEEEZZNS1_27merge_sort_block_merge_implIS3_N6thrust23THRUST_200600_302600_NS6detail15normal_iteratorINS9_10device_ptrIiEEEEPS5_jNS1_19radix_merge_compareILb0ELb0EiNS0_19identity_decomposerEEEEE10hipError_tT0_T1_T2_jT3_P12ihipStream_tbPNSt15iterator_traitsISK_E10value_typeEPNSQ_ISL_E10value_typeEPSM_NS1_7vsmem_tEENKUlT_SK_SL_SM_E_clIPiSE_SF_SF_EESJ_SZ_SK_SL_SM_EUlSZ_E_NS1_11comp_targetILNS1_3genE8ELNS1_11target_archE1030ELNS1_3gpuE2ELNS1_3repE0EEENS1_48merge_mergepath_partition_config_static_selectorELNS0_4arch9wavefront6targetE1EEEvSL_,comdat
	.protected	_ZN7rocprim17ROCPRIM_400000_NS6detail17trampoline_kernelINS0_14default_configENS1_38merge_sort_block_merge_config_selectorIiNS0_10empty_typeEEEZZNS1_27merge_sort_block_merge_implIS3_N6thrust23THRUST_200600_302600_NS6detail15normal_iteratorINS9_10device_ptrIiEEEEPS5_jNS1_19radix_merge_compareILb0ELb0EiNS0_19identity_decomposerEEEEE10hipError_tT0_T1_T2_jT3_P12ihipStream_tbPNSt15iterator_traitsISK_E10value_typeEPNSQ_ISL_E10value_typeEPSM_NS1_7vsmem_tEENKUlT_SK_SL_SM_E_clIPiSE_SF_SF_EESJ_SZ_SK_SL_SM_EUlSZ_E_NS1_11comp_targetILNS1_3genE8ELNS1_11target_archE1030ELNS1_3gpuE2ELNS1_3repE0EEENS1_48merge_mergepath_partition_config_static_selectorELNS0_4arch9wavefront6targetE1EEEvSL_ ; -- Begin function _ZN7rocprim17ROCPRIM_400000_NS6detail17trampoline_kernelINS0_14default_configENS1_38merge_sort_block_merge_config_selectorIiNS0_10empty_typeEEEZZNS1_27merge_sort_block_merge_implIS3_N6thrust23THRUST_200600_302600_NS6detail15normal_iteratorINS9_10device_ptrIiEEEEPS5_jNS1_19radix_merge_compareILb0ELb0EiNS0_19identity_decomposerEEEEE10hipError_tT0_T1_T2_jT3_P12ihipStream_tbPNSt15iterator_traitsISK_E10value_typeEPNSQ_ISL_E10value_typeEPSM_NS1_7vsmem_tEENKUlT_SK_SL_SM_E_clIPiSE_SF_SF_EESJ_SZ_SK_SL_SM_EUlSZ_E_NS1_11comp_targetILNS1_3genE8ELNS1_11target_archE1030ELNS1_3gpuE2ELNS1_3repE0EEENS1_48merge_mergepath_partition_config_static_selectorELNS0_4arch9wavefront6targetE1EEEvSL_
	.globl	_ZN7rocprim17ROCPRIM_400000_NS6detail17trampoline_kernelINS0_14default_configENS1_38merge_sort_block_merge_config_selectorIiNS0_10empty_typeEEEZZNS1_27merge_sort_block_merge_implIS3_N6thrust23THRUST_200600_302600_NS6detail15normal_iteratorINS9_10device_ptrIiEEEEPS5_jNS1_19radix_merge_compareILb0ELb0EiNS0_19identity_decomposerEEEEE10hipError_tT0_T1_T2_jT3_P12ihipStream_tbPNSt15iterator_traitsISK_E10value_typeEPNSQ_ISL_E10value_typeEPSM_NS1_7vsmem_tEENKUlT_SK_SL_SM_E_clIPiSE_SF_SF_EESJ_SZ_SK_SL_SM_EUlSZ_E_NS1_11comp_targetILNS1_3genE8ELNS1_11target_archE1030ELNS1_3gpuE2ELNS1_3repE0EEENS1_48merge_mergepath_partition_config_static_selectorELNS0_4arch9wavefront6targetE1EEEvSL_
	.p2align	8
	.type	_ZN7rocprim17ROCPRIM_400000_NS6detail17trampoline_kernelINS0_14default_configENS1_38merge_sort_block_merge_config_selectorIiNS0_10empty_typeEEEZZNS1_27merge_sort_block_merge_implIS3_N6thrust23THRUST_200600_302600_NS6detail15normal_iteratorINS9_10device_ptrIiEEEEPS5_jNS1_19radix_merge_compareILb0ELb0EiNS0_19identity_decomposerEEEEE10hipError_tT0_T1_T2_jT3_P12ihipStream_tbPNSt15iterator_traitsISK_E10value_typeEPNSQ_ISL_E10value_typeEPSM_NS1_7vsmem_tEENKUlT_SK_SL_SM_E_clIPiSE_SF_SF_EESJ_SZ_SK_SL_SM_EUlSZ_E_NS1_11comp_targetILNS1_3genE8ELNS1_11target_archE1030ELNS1_3gpuE2ELNS1_3repE0EEENS1_48merge_mergepath_partition_config_static_selectorELNS0_4arch9wavefront6targetE1EEEvSL_,@function
_ZN7rocprim17ROCPRIM_400000_NS6detail17trampoline_kernelINS0_14default_configENS1_38merge_sort_block_merge_config_selectorIiNS0_10empty_typeEEEZZNS1_27merge_sort_block_merge_implIS3_N6thrust23THRUST_200600_302600_NS6detail15normal_iteratorINS9_10device_ptrIiEEEEPS5_jNS1_19radix_merge_compareILb0ELb0EiNS0_19identity_decomposerEEEEE10hipError_tT0_T1_T2_jT3_P12ihipStream_tbPNSt15iterator_traitsISK_E10value_typeEPNSQ_ISL_E10value_typeEPSM_NS1_7vsmem_tEENKUlT_SK_SL_SM_E_clIPiSE_SF_SF_EESJ_SZ_SK_SL_SM_EUlSZ_E_NS1_11comp_targetILNS1_3genE8ELNS1_11target_archE1030ELNS1_3gpuE2ELNS1_3repE0EEENS1_48merge_mergepath_partition_config_static_selectorELNS0_4arch9wavefront6targetE1EEEvSL_: ; @_ZN7rocprim17ROCPRIM_400000_NS6detail17trampoline_kernelINS0_14default_configENS1_38merge_sort_block_merge_config_selectorIiNS0_10empty_typeEEEZZNS1_27merge_sort_block_merge_implIS3_N6thrust23THRUST_200600_302600_NS6detail15normal_iteratorINS9_10device_ptrIiEEEEPS5_jNS1_19radix_merge_compareILb0ELb0EiNS0_19identity_decomposerEEEEE10hipError_tT0_T1_T2_jT3_P12ihipStream_tbPNSt15iterator_traitsISK_E10value_typeEPNSQ_ISL_E10value_typeEPSM_NS1_7vsmem_tEENKUlT_SK_SL_SM_E_clIPiSE_SF_SF_EESJ_SZ_SK_SL_SM_EUlSZ_E_NS1_11comp_targetILNS1_3genE8ELNS1_11target_archE1030ELNS1_3gpuE2ELNS1_3repE0EEENS1_48merge_mergepath_partition_config_static_selectorELNS0_4arch9wavefront6targetE1EEEvSL_
; %bb.0:
	.section	.rodata,"a",@progbits
	.p2align	6, 0x0
	.amdhsa_kernel _ZN7rocprim17ROCPRIM_400000_NS6detail17trampoline_kernelINS0_14default_configENS1_38merge_sort_block_merge_config_selectorIiNS0_10empty_typeEEEZZNS1_27merge_sort_block_merge_implIS3_N6thrust23THRUST_200600_302600_NS6detail15normal_iteratorINS9_10device_ptrIiEEEEPS5_jNS1_19radix_merge_compareILb0ELb0EiNS0_19identity_decomposerEEEEE10hipError_tT0_T1_T2_jT3_P12ihipStream_tbPNSt15iterator_traitsISK_E10value_typeEPNSQ_ISL_E10value_typeEPSM_NS1_7vsmem_tEENKUlT_SK_SL_SM_E_clIPiSE_SF_SF_EESJ_SZ_SK_SL_SM_EUlSZ_E_NS1_11comp_targetILNS1_3genE8ELNS1_11target_archE1030ELNS1_3gpuE2ELNS1_3repE0EEENS1_48merge_mergepath_partition_config_static_selectorELNS0_4arch9wavefront6targetE1EEEvSL_
		.amdhsa_group_segment_fixed_size 0
		.amdhsa_private_segment_fixed_size 0
		.amdhsa_kernarg_size 40
		.amdhsa_user_sgpr_count 2
		.amdhsa_user_sgpr_dispatch_ptr 0
		.amdhsa_user_sgpr_queue_ptr 0
		.amdhsa_user_sgpr_kernarg_segment_ptr 1
		.amdhsa_user_sgpr_dispatch_id 0
		.amdhsa_user_sgpr_kernarg_preload_length 0
		.amdhsa_user_sgpr_kernarg_preload_offset 0
		.amdhsa_user_sgpr_private_segment_size 0
		.amdhsa_uses_dynamic_stack 0
		.amdhsa_enable_private_segment 0
		.amdhsa_system_sgpr_workgroup_id_x 1
		.amdhsa_system_sgpr_workgroup_id_y 0
		.amdhsa_system_sgpr_workgroup_id_z 0
		.amdhsa_system_sgpr_workgroup_info 0
		.amdhsa_system_vgpr_workitem_id 0
		.amdhsa_next_free_vgpr 1
		.amdhsa_next_free_sgpr 0
		.amdhsa_accum_offset 4
		.amdhsa_reserve_vcc 0
		.amdhsa_float_round_mode_32 0
		.amdhsa_float_round_mode_16_64 0
		.amdhsa_float_denorm_mode_32 3
		.amdhsa_float_denorm_mode_16_64 3
		.amdhsa_dx10_clamp 1
		.amdhsa_ieee_mode 1
		.amdhsa_fp16_overflow 0
		.amdhsa_tg_split 0
		.amdhsa_exception_fp_ieee_invalid_op 0
		.amdhsa_exception_fp_denorm_src 0
		.amdhsa_exception_fp_ieee_div_zero 0
		.amdhsa_exception_fp_ieee_overflow 0
		.amdhsa_exception_fp_ieee_underflow 0
		.amdhsa_exception_fp_ieee_inexact 0
		.amdhsa_exception_int_div_zero 0
	.end_amdhsa_kernel
	.section	.text._ZN7rocprim17ROCPRIM_400000_NS6detail17trampoline_kernelINS0_14default_configENS1_38merge_sort_block_merge_config_selectorIiNS0_10empty_typeEEEZZNS1_27merge_sort_block_merge_implIS3_N6thrust23THRUST_200600_302600_NS6detail15normal_iteratorINS9_10device_ptrIiEEEEPS5_jNS1_19radix_merge_compareILb0ELb0EiNS0_19identity_decomposerEEEEE10hipError_tT0_T1_T2_jT3_P12ihipStream_tbPNSt15iterator_traitsISK_E10value_typeEPNSQ_ISL_E10value_typeEPSM_NS1_7vsmem_tEENKUlT_SK_SL_SM_E_clIPiSE_SF_SF_EESJ_SZ_SK_SL_SM_EUlSZ_E_NS1_11comp_targetILNS1_3genE8ELNS1_11target_archE1030ELNS1_3gpuE2ELNS1_3repE0EEENS1_48merge_mergepath_partition_config_static_selectorELNS0_4arch9wavefront6targetE1EEEvSL_,"axG",@progbits,_ZN7rocprim17ROCPRIM_400000_NS6detail17trampoline_kernelINS0_14default_configENS1_38merge_sort_block_merge_config_selectorIiNS0_10empty_typeEEEZZNS1_27merge_sort_block_merge_implIS3_N6thrust23THRUST_200600_302600_NS6detail15normal_iteratorINS9_10device_ptrIiEEEEPS5_jNS1_19radix_merge_compareILb0ELb0EiNS0_19identity_decomposerEEEEE10hipError_tT0_T1_T2_jT3_P12ihipStream_tbPNSt15iterator_traitsISK_E10value_typeEPNSQ_ISL_E10value_typeEPSM_NS1_7vsmem_tEENKUlT_SK_SL_SM_E_clIPiSE_SF_SF_EESJ_SZ_SK_SL_SM_EUlSZ_E_NS1_11comp_targetILNS1_3genE8ELNS1_11target_archE1030ELNS1_3gpuE2ELNS1_3repE0EEENS1_48merge_mergepath_partition_config_static_selectorELNS0_4arch9wavefront6targetE1EEEvSL_,comdat
.Lfunc_end1621:
	.size	_ZN7rocprim17ROCPRIM_400000_NS6detail17trampoline_kernelINS0_14default_configENS1_38merge_sort_block_merge_config_selectorIiNS0_10empty_typeEEEZZNS1_27merge_sort_block_merge_implIS3_N6thrust23THRUST_200600_302600_NS6detail15normal_iteratorINS9_10device_ptrIiEEEEPS5_jNS1_19radix_merge_compareILb0ELb0EiNS0_19identity_decomposerEEEEE10hipError_tT0_T1_T2_jT3_P12ihipStream_tbPNSt15iterator_traitsISK_E10value_typeEPNSQ_ISL_E10value_typeEPSM_NS1_7vsmem_tEENKUlT_SK_SL_SM_E_clIPiSE_SF_SF_EESJ_SZ_SK_SL_SM_EUlSZ_E_NS1_11comp_targetILNS1_3genE8ELNS1_11target_archE1030ELNS1_3gpuE2ELNS1_3repE0EEENS1_48merge_mergepath_partition_config_static_selectorELNS0_4arch9wavefront6targetE1EEEvSL_, .Lfunc_end1621-_ZN7rocprim17ROCPRIM_400000_NS6detail17trampoline_kernelINS0_14default_configENS1_38merge_sort_block_merge_config_selectorIiNS0_10empty_typeEEEZZNS1_27merge_sort_block_merge_implIS3_N6thrust23THRUST_200600_302600_NS6detail15normal_iteratorINS9_10device_ptrIiEEEEPS5_jNS1_19radix_merge_compareILb0ELb0EiNS0_19identity_decomposerEEEEE10hipError_tT0_T1_T2_jT3_P12ihipStream_tbPNSt15iterator_traitsISK_E10value_typeEPNSQ_ISL_E10value_typeEPSM_NS1_7vsmem_tEENKUlT_SK_SL_SM_E_clIPiSE_SF_SF_EESJ_SZ_SK_SL_SM_EUlSZ_E_NS1_11comp_targetILNS1_3genE8ELNS1_11target_archE1030ELNS1_3gpuE2ELNS1_3repE0EEENS1_48merge_mergepath_partition_config_static_selectorELNS0_4arch9wavefront6targetE1EEEvSL_
                                        ; -- End function
	.section	.AMDGPU.csdata,"",@progbits
; Kernel info:
; codeLenInByte = 0
; NumSgprs: 6
; NumVgprs: 0
; NumAgprs: 0
; TotalNumVgprs: 0
; ScratchSize: 0
; MemoryBound: 0
; FloatMode: 240
; IeeeMode: 1
; LDSByteSize: 0 bytes/workgroup (compile time only)
; SGPRBlocks: 0
; VGPRBlocks: 0
; NumSGPRsForWavesPerEU: 6
; NumVGPRsForWavesPerEU: 1
; AccumOffset: 4
; Occupancy: 8
; WaveLimiterHint : 0
; COMPUTE_PGM_RSRC2:SCRATCH_EN: 0
; COMPUTE_PGM_RSRC2:USER_SGPR: 2
; COMPUTE_PGM_RSRC2:TRAP_HANDLER: 0
; COMPUTE_PGM_RSRC2:TGID_X_EN: 1
; COMPUTE_PGM_RSRC2:TGID_Y_EN: 0
; COMPUTE_PGM_RSRC2:TGID_Z_EN: 0
; COMPUTE_PGM_RSRC2:TIDIG_COMP_CNT: 0
; COMPUTE_PGM_RSRC3_GFX90A:ACCUM_OFFSET: 0
; COMPUTE_PGM_RSRC3_GFX90A:TG_SPLIT: 0
	.section	.text._ZN7rocprim17ROCPRIM_400000_NS6detail17trampoline_kernelINS0_14default_configENS1_38merge_sort_block_merge_config_selectorIiNS0_10empty_typeEEEZZNS1_27merge_sort_block_merge_implIS3_N6thrust23THRUST_200600_302600_NS6detail15normal_iteratorINS9_10device_ptrIiEEEEPS5_jNS1_19radix_merge_compareILb0ELb0EiNS0_19identity_decomposerEEEEE10hipError_tT0_T1_T2_jT3_P12ihipStream_tbPNSt15iterator_traitsISK_E10value_typeEPNSQ_ISL_E10value_typeEPSM_NS1_7vsmem_tEENKUlT_SK_SL_SM_E_clIPiSE_SF_SF_EESJ_SZ_SK_SL_SM_EUlSZ_E0_NS1_11comp_targetILNS1_3genE0ELNS1_11target_archE4294967295ELNS1_3gpuE0ELNS1_3repE0EEENS1_38merge_mergepath_config_static_selectorELNS0_4arch9wavefront6targetE1EEEvSL_,"axG",@progbits,_ZN7rocprim17ROCPRIM_400000_NS6detail17trampoline_kernelINS0_14default_configENS1_38merge_sort_block_merge_config_selectorIiNS0_10empty_typeEEEZZNS1_27merge_sort_block_merge_implIS3_N6thrust23THRUST_200600_302600_NS6detail15normal_iteratorINS9_10device_ptrIiEEEEPS5_jNS1_19radix_merge_compareILb0ELb0EiNS0_19identity_decomposerEEEEE10hipError_tT0_T1_T2_jT3_P12ihipStream_tbPNSt15iterator_traitsISK_E10value_typeEPNSQ_ISL_E10value_typeEPSM_NS1_7vsmem_tEENKUlT_SK_SL_SM_E_clIPiSE_SF_SF_EESJ_SZ_SK_SL_SM_EUlSZ_E0_NS1_11comp_targetILNS1_3genE0ELNS1_11target_archE4294967295ELNS1_3gpuE0ELNS1_3repE0EEENS1_38merge_mergepath_config_static_selectorELNS0_4arch9wavefront6targetE1EEEvSL_,comdat
	.protected	_ZN7rocprim17ROCPRIM_400000_NS6detail17trampoline_kernelINS0_14default_configENS1_38merge_sort_block_merge_config_selectorIiNS0_10empty_typeEEEZZNS1_27merge_sort_block_merge_implIS3_N6thrust23THRUST_200600_302600_NS6detail15normal_iteratorINS9_10device_ptrIiEEEEPS5_jNS1_19radix_merge_compareILb0ELb0EiNS0_19identity_decomposerEEEEE10hipError_tT0_T1_T2_jT3_P12ihipStream_tbPNSt15iterator_traitsISK_E10value_typeEPNSQ_ISL_E10value_typeEPSM_NS1_7vsmem_tEENKUlT_SK_SL_SM_E_clIPiSE_SF_SF_EESJ_SZ_SK_SL_SM_EUlSZ_E0_NS1_11comp_targetILNS1_3genE0ELNS1_11target_archE4294967295ELNS1_3gpuE0ELNS1_3repE0EEENS1_38merge_mergepath_config_static_selectorELNS0_4arch9wavefront6targetE1EEEvSL_ ; -- Begin function _ZN7rocprim17ROCPRIM_400000_NS6detail17trampoline_kernelINS0_14default_configENS1_38merge_sort_block_merge_config_selectorIiNS0_10empty_typeEEEZZNS1_27merge_sort_block_merge_implIS3_N6thrust23THRUST_200600_302600_NS6detail15normal_iteratorINS9_10device_ptrIiEEEEPS5_jNS1_19radix_merge_compareILb0ELb0EiNS0_19identity_decomposerEEEEE10hipError_tT0_T1_T2_jT3_P12ihipStream_tbPNSt15iterator_traitsISK_E10value_typeEPNSQ_ISL_E10value_typeEPSM_NS1_7vsmem_tEENKUlT_SK_SL_SM_E_clIPiSE_SF_SF_EESJ_SZ_SK_SL_SM_EUlSZ_E0_NS1_11comp_targetILNS1_3genE0ELNS1_11target_archE4294967295ELNS1_3gpuE0ELNS1_3repE0EEENS1_38merge_mergepath_config_static_selectorELNS0_4arch9wavefront6targetE1EEEvSL_
	.globl	_ZN7rocprim17ROCPRIM_400000_NS6detail17trampoline_kernelINS0_14default_configENS1_38merge_sort_block_merge_config_selectorIiNS0_10empty_typeEEEZZNS1_27merge_sort_block_merge_implIS3_N6thrust23THRUST_200600_302600_NS6detail15normal_iteratorINS9_10device_ptrIiEEEEPS5_jNS1_19radix_merge_compareILb0ELb0EiNS0_19identity_decomposerEEEEE10hipError_tT0_T1_T2_jT3_P12ihipStream_tbPNSt15iterator_traitsISK_E10value_typeEPNSQ_ISL_E10value_typeEPSM_NS1_7vsmem_tEENKUlT_SK_SL_SM_E_clIPiSE_SF_SF_EESJ_SZ_SK_SL_SM_EUlSZ_E0_NS1_11comp_targetILNS1_3genE0ELNS1_11target_archE4294967295ELNS1_3gpuE0ELNS1_3repE0EEENS1_38merge_mergepath_config_static_selectorELNS0_4arch9wavefront6targetE1EEEvSL_
	.p2align	8
	.type	_ZN7rocprim17ROCPRIM_400000_NS6detail17trampoline_kernelINS0_14default_configENS1_38merge_sort_block_merge_config_selectorIiNS0_10empty_typeEEEZZNS1_27merge_sort_block_merge_implIS3_N6thrust23THRUST_200600_302600_NS6detail15normal_iteratorINS9_10device_ptrIiEEEEPS5_jNS1_19radix_merge_compareILb0ELb0EiNS0_19identity_decomposerEEEEE10hipError_tT0_T1_T2_jT3_P12ihipStream_tbPNSt15iterator_traitsISK_E10value_typeEPNSQ_ISL_E10value_typeEPSM_NS1_7vsmem_tEENKUlT_SK_SL_SM_E_clIPiSE_SF_SF_EESJ_SZ_SK_SL_SM_EUlSZ_E0_NS1_11comp_targetILNS1_3genE0ELNS1_11target_archE4294967295ELNS1_3gpuE0ELNS1_3repE0EEENS1_38merge_mergepath_config_static_selectorELNS0_4arch9wavefront6targetE1EEEvSL_,@function
_ZN7rocprim17ROCPRIM_400000_NS6detail17trampoline_kernelINS0_14default_configENS1_38merge_sort_block_merge_config_selectorIiNS0_10empty_typeEEEZZNS1_27merge_sort_block_merge_implIS3_N6thrust23THRUST_200600_302600_NS6detail15normal_iteratorINS9_10device_ptrIiEEEEPS5_jNS1_19radix_merge_compareILb0ELb0EiNS0_19identity_decomposerEEEEE10hipError_tT0_T1_T2_jT3_P12ihipStream_tbPNSt15iterator_traitsISK_E10value_typeEPNSQ_ISL_E10value_typeEPSM_NS1_7vsmem_tEENKUlT_SK_SL_SM_E_clIPiSE_SF_SF_EESJ_SZ_SK_SL_SM_EUlSZ_E0_NS1_11comp_targetILNS1_3genE0ELNS1_11target_archE4294967295ELNS1_3gpuE0ELNS1_3repE0EEENS1_38merge_mergepath_config_static_selectorELNS0_4arch9wavefront6targetE1EEEvSL_: ; @_ZN7rocprim17ROCPRIM_400000_NS6detail17trampoline_kernelINS0_14default_configENS1_38merge_sort_block_merge_config_selectorIiNS0_10empty_typeEEEZZNS1_27merge_sort_block_merge_implIS3_N6thrust23THRUST_200600_302600_NS6detail15normal_iteratorINS9_10device_ptrIiEEEEPS5_jNS1_19radix_merge_compareILb0ELb0EiNS0_19identity_decomposerEEEEE10hipError_tT0_T1_T2_jT3_P12ihipStream_tbPNSt15iterator_traitsISK_E10value_typeEPNSQ_ISL_E10value_typeEPSM_NS1_7vsmem_tEENKUlT_SK_SL_SM_E_clIPiSE_SF_SF_EESJ_SZ_SK_SL_SM_EUlSZ_E0_NS1_11comp_targetILNS1_3genE0ELNS1_11target_archE4294967295ELNS1_3gpuE0ELNS1_3repE0EEENS1_38merge_mergepath_config_static_selectorELNS0_4arch9wavefront6targetE1EEEvSL_
; %bb.0:
	.section	.rodata,"a",@progbits
	.p2align	6, 0x0
	.amdhsa_kernel _ZN7rocprim17ROCPRIM_400000_NS6detail17trampoline_kernelINS0_14default_configENS1_38merge_sort_block_merge_config_selectorIiNS0_10empty_typeEEEZZNS1_27merge_sort_block_merge_implIS3_N6thrust23THRUST_200600_302600_NS6detail15normal_iteratorINS9_10device_ptrIiEEEEPS5_jNS1_19radix_merge_compareILb0ELb0EiNS0_19identity_decomposerEEEEE10hipError_tT0_T1_T2_jT3_P12ihipStream_tbPNSt15iterator_traitsISK_E10value_typeEPNSQ_ISL_E10value_typeEPSM_NS1_7vsmem_tEENKUlT_SK_SL_SM_E_clIPiSE_SF_SF_EESJ_SZ_SK_SL_SM_EUlSZ_E0_NS1_11comp_targetILNS1_3genE0ELNS1_11target_archE4294967295ELNS1_3gpuE0ELNS1_3repE0EEENS1_38merge_mergepath_config_static_selectorELNS0_4arch9wavefront6targetE1EEEvSL_
		.amdhsa_group_segment_fixed_size 0
		.amdhsa_private_segment_fixed_size 0
		.amdhsa_kernarg_size 64
		.amdhsa_user_sgpr_count 2
		.amdhsa_user_sgpr_dispatch_ptr 0
		.amdhsa_user_sgpr_queue_ptr 0
		.amdhsa_user_sgpr_kernarg_segment_ptr 1
		.amdhsa_user_sgpr_dispatch_id 0
		.amdhsa_user_sgpr_kernarg_preload_length 0
		.amdhsa_user_sgpr_kernarg_preload_offset 0
		.amdhsa_user_sgpr_private_segment_size 0
		.amdhsa_uses_dynamic_stack 0
		.amdhsa_enable_private_segment 0
		.amdhsa_system_sgpr_workgroup_id_x 1
		.amdhsa_system_sgpr_workgroup_id_y 0
		.amdhsa_system_sgpr_workgroup_id_z 0
		.amdhsa_system_sgpr_workgroup_info 0
		.amdhsa_system_vgpr_workitem_id 0
		.amdhsa_next_free_vgpr 1
		.amdhsa_next_free_sgpr 0
		.amdhsa_accum_offset 4
		.amdhsa_reserve_vcc 0
		.amdhsa_float_round_mode_32 0
		.amdhsa_float_round_mode_16_64 0
		.amdhsa_float_denorm_mode_32 3
		.amdhsa_float_denorm_mode_16_64 3
		.amdhsa_dx10_clamp 1
		.amdhsa_ieee_mode 1
		.amdhsa_fp16_overflow 0
		.amdhsa_tg_split 0
		.amdhsa_exception_fp_ieee_invalid_op 0
		.amdhsa_exception_fp_denorm_src 0
		.amdhsa_exception_fp_ieee_div_zero 0
		.amdhsa_exception_fp_ieee_overflow 0
		.amdhsa_exception_fp_ieee_underflow 0
		.amdhsa_exception_fp_ieee_inexact 0
		.amdhsa_exception_int_div_zero 0
	.end_amdhsa_kernel
	.section	.text._ZN7rocprim17ROCPRIM_400000_NS6detail17trampoline_kernelINS0_14default_configENS1_38merge_sort_block_merge_config_selectorIiNS0_10empty_typeEEEZZNS1_27merge_sort_block_merge_implIS3_N6thrust23THRUST_200600_302600_NS6detail15normal_iteratorINS9_10device_ptrIiEEEEPS5_jNS1_19radix_merge_compareILb0ELb0EiNS0_19identity_decomposerEEEEE10hipError_tT0_T1_T2_jT3_P12ihipStream_tbPNSt15iterator_traitsISK_E10value_typeEPNSQ_ISL_E10value_typeEPSM_NS1_7vsmem_tEENKUlT_SK_SL_SM_E_clIPiSE_SF_SF_EESJ_SZ_SK_SL_SM_EUlSZ_E0_NS1_11comp_targetILNS1_3genE0ELNS1_11target_archE4294967295ELNS1_3gpuE0ELNS1_3repE0EEENS1_38merge_mergepath_config_static_selectorELNS0_4arch9wavefront6targetE1EEEvSL_,"axG",@progbits,_ZN7rocprim17ROCPRIM_400000_NS6detail17trampoline_kernelINS0_14default_configENS1_38merge_sort_block_merge_config_selectorIiNS0_10empty_typeEEEZZNS1_27merge_sort_block_merge_implIS3_N6thrust23THRUST_200600_302600_NS6detail15normal_iteratorINS9_10device_ptrIiEEEEPS5_jNS1_19radix_merge_compareILb0ELb0EiNS0_19identity_decomposerEEEEE10hipError_tT0_T1_T2_jT3_P12ihipStream_tbPNSt15iterator_traitsISK_E10value_typeEPNSQ_ISL_E10value_typeEPSM_NS1_7vsmem_tEENKUlT_SK_SL_SM_E_clIPiSE_SF_SF_EESJ_SZ_SK_SL_SM_EUlSZ_E0_NS1_11comp_targetILNS1_3genE0ELNS1_11target_archE4294967295ELNS1_3gpuE0ELNS1_3repE0EEENS1_38merge_mergepath_config_static_selectorELNS0_4arch9wavefront6targetE1EEEvSL_,comdat
.Lfunc_end1622:
	.size	_ZN7rocprim17ROCPRIM_400000_NS6detail17trampoline_kernelINS0_14default_configENS1_38merge_sort_block_merge_config_selectorIiNS0_10empty_typeEEEZZNS1_27merge_sort_block_merge_implIS3_N6thrust23THRUST_200600_302600_NS6detail15normal_iteratorINS9_10device_ptrIiEEEEPS5_jNS1_19radix_merge_compareILb0ELb0EiNS0_19identity_decomposerEEEEE10hipError_tT0_T1_T2_jT3_P12ihipStream_tbPNSt15iterator_traitsISK_E10value_typeEPNSQ_ISL_E10value_typeEPSM_NS1_7vsmem_tEENKUlT_SK_SL_SM_E_clIPiSE_SF_SF_EESJ_SZ_SK_SL_SM_EUlSZ_E0_NS1_11comp_targetILNS1_3genE0ELNS1_11target_archE4294967295ELNS1_3gpuE0ELNS1_3repE0EEENS1_38merge_mergepath_config_static_selectorELNS0_4arch9wavefront6targetE1EEEvSL_, .Lfunc_end1622-_ZN7rocprim17ROCPRIM_400000_NS6detail17trampoline_kernelINS0_14default_configENS1_38merge_sort_block_merge_config_selectorIiNS0_10empty_typeEEEZZNS1_27merge_sort_block_merge_implIS3_N6thrust23THRUST_200600_302600_NS6detail15normal_iteratorINS9_10device_ptrIiEEEEPS5_jNS1_19radix_merge_compareILb0ELb0EiNS0_19identity_decomposerEEEEE10hipError_tT0_T1_T2_jT3_P12ihipStream_tbPNSt15iterator_traitsISK_E10value_typeEPNSQ_ISL_E10value_typeEPSM_NS1_7vsmem_tEENKUlT_SK_SL_SM_E_clIPiSE_SF_SF_EESJ_SZ_SK_SL_SM_EUlSZ_E0_NS1_11comp_targetILNS1_3genE0ELNS1_11target_archE4294967295ELNS1_3gpuE0ELNS1_3repE0EEENS1_38merge_mergepath_config_static_selectorELNS0_4arch9wavefront6targetE1EEEvSL_
                                        ; -- End function
	.section	.AMDGPU.csdata,"",@progbits
; Kernel info:
; codeLenInByte = 0
; NumSgprs: 6
; NumVgprs: 0
; NumAgprs: 0
; TotalNumVgprs: 0
; ScratchSize: 0
; MemoryBound: 0
; FloatMode: 240
; IeeeMode: 1
; LDSByteSize: 0 bytes/workgroup (compile time only)
; SGPRBlocks: 0
; VGPRBlocks: 0
; NumSGPRsForWavesPerEU: 6
; NumVGPRsForWavesPerEU: 1
; AccumOffset: 4
; Occupancy: 8
; WaveLimiterHint : 0
; COMPUTE_PGM_RSRC2:SCRATCH_EN: 0
; COMPUTE_PGM_RSRC2:USER_SGPR: 2
; COMPUTE_PGM_RSRC2:TRAP_HANDLER: 0
; COMPUTE_PGM_RSRC2:TGID_X_EN: 1
; COMPUTE_PGM_RSRC2:TGID_Y_EN: 0
; COMPUTE_PGM_RSRC2:TGID_Z_EN: 0
; COMPUTE_PGM_RSRC2:TIDIG_COMP_CNT: 0
; COMPUTE_PGM_RSRC3_GFX90A:ACCUM_OFFSET: 0
; COMPUTE_PGM_RSRC3_GFX90A:TG_SPLIT: 0
	.section	.text._ZN7rocprim17ROCPRIM_400000_NS6detail17trampoline_kernelINS0_14default_configENS1_38merge_sort_block_merge_config_selectorIiNS0_10empty_typeEEEZZNS1_27merge_sort_block_merge_implIS3_N6thrust23THRUST_200600_302600_NS6detail15normal_iteratorINS9_10device_ptrIiEEEEPS5_jNS1_19radix_merge_compareILb0ELb0EiNS0_19identity_decomposerEEEEE10hipError_tT0_T1_T2_jT3_P12ihipStream_tbPNSt15iterator_traitsISK_E10value_typeEPNSQ_ISL_E10value_typeEPSM_NS1_7vsmem_tEENKUlT_SK_SL_SM_E_clIPiSE_SF_SF_EESJ_SZ_SK_SL_SM_EUlSZ_E0_NS1_11comp_targetILNS1_3genE10ELNS1_11target_archE1201ELNS1_3gpuE5ELNS1_3repE0EEENS1_38merge_mergepath_config_static_selectorELNS0_4arch9wavefront6targetE1EEEvSL_,"axG",@progbits,_ZN7rocprim17ROCPRIM_400000_NS6detail17trampoline_kernelINS0_14default_configENS1_38merge_sort_block_merge_config_selectorIiNS0_10empty_typeEEEZZNS1_27merge_sort_block_merge_implIS3_N6thrust23THRUST_200600_302600_NS6detail15normal_iteratorINS9_10device_ptrIiEEEEPS5_jNS1_19radix_merge_compareILb0ELb0EiNS0_19identity_decomposerEEEEE10hipError_tT0_T1_T2_jT3_P12ihipStream_tbPNSt15iterator_traitsISK_E10value_typeEPNSQ_ISL_E10value_typeEPSM_NS1_7vsmem_tEENKUlT_SK_SL_SM_E_clIPiSE_SF_SF_EESJ_SZ_SK_SL_SM_EUlSZ_E0_NS1_11comp_targetILNS1_3genE10ELNS1_11target_archE1201ELNS1_3gpuE5ELNS1_3repE0EEENS1_38merge_mergepath_config_static_selectorELNS0_4arch9wavefront6targetE1EEEvSL_,comdat
	.protected	_ZN7rocprim17ROCPRIM_400000_NS6detail17trampoline_kernelINS0_14default_configENS1_38merge_sort_block_merge_config_selectorIiNS0_10empty_typeEEEZZNS1_27merge_sort_block_merge_implIS3_N6thrust23THRUST_200600_302600_NS6detail15normal_iteratorINS9_10device_ptrIiEEEEPS5_jNS1_19radix_merge_compareILb0ELb0EiNS0_19identity_decomposerEEEEE10hipError_tT0_T1_T2_jT3_P12ihipStream_tbPNSt15iterator_traitsISK_E10value_typeEPNSQ_ISL_E10value_typeEPSM_NS1_7vsmem_tEENKUlT_SK_SL_SM_E_clIPiSE_SF_SF_EESJ_SZ_SK_SL_SM_EUlSZ_E0_NS1_11comp_targetILNS1_3genE10ELNS1_11target_archE1201ELNS1_3gpuE5ELNS1_3repE0EEENS1_38merge_mergepath_config_static_selectorELNS0_4arch9wavefront6targetE1EEEvSL_ ; -- Begin function _ZN7rocprim17ROCPRIM_400000_NS6detail17trampoline_kernelINS0_14default_configENS1_38merge_sort_block_merge_config_selectorIiNS0_10empty_typeEEEZZNS1_27merge_sort_block_merge_implIS3_N6thrust23THRUST_200600_302600_NS6detail15normal_iteratorINS9_10device_ptrIiEEEEPS5_jNS1_19radix_merge_compareILb0ELb0EiNS0_19identity_decomposerEEEEE10hipError_tT0_T1_T2_jT3_P12ihipStream_tbPNSt15iterator_traitsISK_E10value_typeEPNSQ_ISL_E10value_typeEPSM_NS1_7vsmem_tEENKUlT_SK_SL_SM_E_clIPiSE_SF_SF_EESJ_SZ_SK_SL_SM_EUlSZ_E0_NS1_11comp_targetILNS1_3genE10ELNS1_11target_archE1201ELNS1_3gpuE5ELNS1_3repE0EEENS1_38merge_mergepath_config_static_selectorELNS0_4arch9wavefront6targetE1EEEvSL_
	.globl	_ZN7rocprim17ROCPRIM_400000_NS6detail17trampoline_kernelINS0_14default_configENS1_38merge_sort_block_merge_config_selectorIiNS0_10empty_typeEEEZZNS1_27merge_sort_block_merge_implIS3_N6thrust23THRUST_200600_302600_NS6detail15normal_iteratorINS9_10device_ptrIiEEEEPS5_jNS1_19radix_merge_compareILb0ELb0EiNS0_19identity_decomposerEEEEE10hipError_tT0_T1_T2_jT3_P12ihipStream_tbPNSt15iterator_traitsISK_E10value_typeEPNSQ_ISL_E10value_typeEPSM_NS1_7vsmem_tEENKUlT_SK_SL_SM_E_clIPiSE_SF_SF_EESJ_SZ_SK_SL_SM_EUlSZ_E0_NS1_11comp_targetILNS1_3genE10ELNS1_11target_archE1201ELNS1_3gpuE5ELNS1_3repE0EEENS1_38merge_mergepath_config_static_selectorELNS0_4arch9wavefront6targetE1EEEvSL_
	.p2align	8
	.type	_ZN7rocprim17ROCPRIM_400000_NS6detail17trampoline_kernelINS0_14default_configENS1_38merge_sort_block_merge_config_selectorIiNS0_10empty_typeEEEZZNS1_27merge_sort_block_merge_implIS3_N6thrust23THRUST_200600_302600_NS6detail15normal_iteratorINS9_10device_ptrIiEEEEPS5_jNS1_19radix_merge_compareILb0ELb0EiNS0_19identity_decomposerEEEEE10hipError_tT0_T1_T2_jT3_P12ihipStream_tbPNSt15iterator_traitsISK_E10value_typeEPNSQ_ISL_E10value_typeEPSM_NS1_7vsmem_tEENKUlT_SK_SL_SM_E_clIPiSE_SF_SF_EESJ_SZ_SK_SL_SM_EUlSZ_E0_NS1_11comp_targetILNS1_3genE10ELNS1_11target_archE1201ELNS1_3gpuE5ELNS1_3repE0EEENS1_38merge_mergepath_config_static_selectorELNS0_4arch9wavefront6targetE1EEEvSL_,@function
_ZN7rocprim17ROCPRIM_400000_NS6detail17trampoline_kernelINS0_14default_configENS1_38merge_sort_block_merge_config_selectorIiNS0_10empty_typeEEEZZNS1_27merge_sort_block_merge_implIS3_N6thrust23THRUST_200600_302600_NS6detail15normal_iteratorINS9_10device_ptrIiEEEEPS5_jNS1_19radix_merge_compareILb0ELb0EiNS0_19identity_decomposerEEEEE10hipError_tT0_T1_T2_jT3_P12ihipStream_tbPNSt15iterator_traitsISK_E10value_typeEPNSQ_ISL_E10value_typeEPSM_NS1_7vsmem_tEENKUlT_SK_SL_SM_E_clIPiSE_SF_SF_EESJ_SZ_SK_SL_SM_EUlSZ_E0_NS1_11comp_targetILNS1_3genE10ELNS1_11target_archE1201ELNS1_3gpuE5ELNS1_3repE0EEENS1_38merge_mergepath_config_static_selectorELNS0_4arch9wavefront6targetE1EEEvSL_: ; @_ZN7rocprim17ROCPRIM_400000_NS6detail17trampoline_kernelINS0_14default_configENS1_38merge_sort_block_merge_config_selectorIiNS0_10empty_typeEEEZZNS1_27merge_sort_block_merge_implIS3_N6thrust23THRUST_200600_302600_NS6detail15normal_iteratorINS9_10device_ptrIiEEEEPS5_jNS1_19radix_merge_compareILb0ELb0EiNS0_19identity_decomposerEEEEE10hipError_tT0_T1_T2_jT3_P12ihipStream_tbPNSt15iterator_traitsISK_E10value_typeEPNSQ_ISL_E10value_typeEPSM_NS1_7vsmem_tEENKUlT_SK_SL_SM_E_clIPiSE_SF_SF_EESJ_SZ_SK_SL_SM_EUlSZ_E0_NS1_11comp_targetILNS1_3genE10ELNS1_11target_archE1201ELNS1_3gpuE5ELNS1_3repE0EEENS1_38merge_mergepath_config_static_selectorELNS0_4arch9wavefront6targetE1EEEvSL_
; %bb.0:
	.section	.rodata,"a",@progbits
	.p2align	6, 0x0
	.amdhsa_kernel _ZN7rocprim17ROCPRIM_400000_NS6detail17trampoline_kernelINS0_14default_configENS1_38merge_sort_block_merge_config_selectorIiNS0_10empty_typeEEEZZNS1_27merge_sort_block_merge_implIS3_N6thrust23THRUST_200600_302600_NS6detail15normal_iteratorINS9_10device_ptrIiEEEEPS5_jNS1_19radix_merge_compareILb0ELb0EiNS0_19identity_decomposerEEEEE10hipError_tT0_T1_T2_jT3_P12ihipStream_tbPNSt15iterator_traitsISK_E10value_typeEPNSQ_ISL_E10value_typeEPSM_NS1_7vsmem_tEENKUlT_SK_SL_SM_E_clIPiSE_SF_SF_EESJ_SZ_SK_SL_SM_EUlSZ_E0_NS1_11comp_targetILNS1_3genE10ELNS1_11target_archE1201ELNS1_3gpuE5ELNS1_3repE0EEENS1_38merge_mergepath_config_static_selectorELNS0_4arch9wavefront6targetE1EEEvSL_
		.amdhsa_group_segment_fixed_size 0
		.amdhsa_private_segment_fixed_size 0
		.amdhsa_kernarg_size 64
		.amdhsa_user_sgpr_count 2
		.amdhsa_user_sgpr_dispatch_ptr 0
		.amdhsa_user_sgpr_queue_ptr 0
		.amdhsa_user_sgpr_kernarg_segment_ptr 1
		.amdhsa_user_sgpr_dispatch_id 0
		.amdhsa_user_sgpr_kernarg_preload_length 0
		.amdhsa_user_sgpr_kernarg_preload_offset 0
		.amdhsa_user_sgpr_private_segment_size 0
		.amdhsa_uses_dynamic_stack 0
		.amdhsa_enable_private_segment 0
		.amdhsa_system_sgpr_workgroup_id_x 1
		.amdhsa_system_sgpr_workgroup_id_y 0
		.amdhsa_system_sgpr_workgroup_id_z 0
		.amdhsa_system_sgpr_workgroup_info 0
		.amdhsa_system_vgpr_workitem_id 0
		.amdhsa_next_free_vgpr 1
		.amdhsa_next_free_sgpr 0
		.amdhsa_accum_offset 4
		.amdhsa_reserve_vcc 0
		.amdhsa_float_round_mode_32 0
		.amdhsa_float_round_mode_16_64 0
		.amdhsa_float_denorm_mode_32 3
		.amdhsa_float_denorm_mode_16_64 3
		.amdhsa_dx10_clamp 1
		.amdhsa_ieee_mode 1
		.amdhsa_fp16_overflow 0
		.amdhsa_tg_split 0
		.amdhsa_exception_fp_ieee_invalid_op 0
		.amdhsa_exception_fp_denorm_src 0
		.amdhsa_exception_fp_ieee_div_zero 0
		.amdhsa_exception_fp_ieee_overflow 0
		.amdhsa_exception_fp_ieee_underflow 0
		.amdhsa_exception_fp_ieee_inexact 0
		.amdhsa_exception_int_div_zero 0
	.end_amdhsa_kernel
	.section	.text._ZN7rocprim17ROCPRIM_400000_NS6detail17trampoline_kernelINS0_14default_configENS1_38merge_sort_block_merge_config_selectorIiNS0_10empty_typeEEEZZNS1_27merge_sort_block_merge_implIS3_N6thrust23THRUST_200600_302600_NS6detail15normal_iteratorINS9_10device_ptrIiEEEEPS5_jNS1_19radix_merge_compareILb0ELb0EiNS0_19identity_decomposerEEEEE10hipError_tT0_T1_T2_jT3_P12ihipStream_tbPNSt15iterator_traitsISK_E10value_typeEPNSQ_ISL_E10value_typeEPSM_NS1_7vsmem_tEENKUlT_SK_SL_SM_E_clIPiSE_SF_SF_EESJ_SZ_SK_SL_SM_EUlSZ_E0_NS1_11comp_targetILNS1_3genE10ELNS1_11target_archE1201ELNS1_3gpuE5ELNS1_3repE0EEENS1_38merge_mergepath_config_static_selectorELNS0_4arch9wavefront6targetE1EEEvSL_,"axG",@progbits,_ZN7rocprim17ROCPRIM_400000_NS6detail17trampoline_kernelINS0_14default_configENS1_38merge_sort_block_merge_config_selectorIiNS0_10empty_typeEEEZZNS1_27merge_sort_block_merge_implIS3_N6thrust23THRUST_200600_302600_NS6detail15normal_iteratorINS9_10device_ptrIiEEEEPS5_jNS1_19radix_merge_compareILb0ELb0EiNS0_19identity_decomposerEEEEE10hipError_tT0_T1_T2_jT3_P12ihipStream_tbPNSt15iterator_traitsISK_E10value_typeEPNSQ_ISL_E10value_typeEPSM_NS1_7vsmem_tEENKUlT_SK_SL_SM_E_clIPiSE_SF_SF_EESJ_SZ_SK_SL_SM_EUlSZ_E0_NS1_11comp_targetILNS1_3genE10ELNS1_11target_archE1201ELNS1_3gpuE5ELNS1_3repE0EEENS1_38merge_mergepath_config_static_selectorELNS0_4arch9wavefront6targetE1EEEvSL_,comdat
.Lfunc_end1623:
	.size	_ZN7rocprim17ROCPRIM_400000_NS6detail17trampoline_kernelINS0_14default_configENS1_38merge_sort_block_merge_config_selectorIiNS0_10empty_typeEEEZZNS1_27merge_sort_block_merge_implIS3_N6thrust23THRUST_200600_302600_NS6detail15normal_iteratorINS9_10device_ptrIiEEEEPS5_jNS1_19radix_merge_compareILb0ELb0EiNS0_19identity_decomposerEEEEE10hipError_tT0_T1_T2_jT3_P12ihipStream_tbPNSt15iterator_traitsISK_E10value_typeEPNSQ_ISL_E10value_typeEPSM_NS1_7vsmem_tEENKUlT_SK_SL_SM_E_clIPiSE_SF_SF_EESJ_SZ_SK_SL_SM_EUlSZ_E0_NS1_11comp_targetILNS1_3genE10ELNS1_11target_archE1201ELNS1_3gpuE5ELNS1_3repE0EEENS1_38merge_mergepath_config_static_selectorELNS0_4arch9wavefront6targetE1EEEvSL_, .Lfunc_end1623-_ZN7rocprim17ROCPRIM_400000_NS6detail17trampoline_kernelINS0_14default_configENS1_38merge_sort_block_merge_config_selectorIiNS0_10empty_typeEEEZZNS1_27merge_sort_block_merge_implIS3_N6thrust23THRUST_200600_302600_NS6detail15normal_iteratorINS9_10device_ptrIiEEEEPS5_jNS1_19radix_merge_compareILb0ELb0EiNS0_19identity_decomposerEEEEE10hipError_tT0_T1_T2_jT3_P12ihipStream_tbPNSt15iterator_traitsISK_E10value_typeEPNSQ_ISL_E10value_typeEPSM_NS1_7vsmem_tEENKUlT_SK_SL_SM_E_clIPiSE_SF_SF_EESJ_SZ_SK_SL_SM_EUlSZ_E0_NS1_11comp_targetILNS1_3genE10ELNS1_11target_archE1201ELNS1_3gpuE5ELNS1_3repE0EEENS1_38merge_mergepath_config_static_selectorELNS0_4arch9wavefront6targetE1EEEvSL_
                                        ; -- End function
	.section	.AMDGPU.csdata,"",@progbits
; Kernel info:
; codeLenInByte = 0
; NumSgprs: 6
; NumVgprs: 0
; NumAgprs: 0
; TotalNumVgprs: 0
; ScratchSize: 0
; MemoryBound: 0
; FloatMode: 240
; IeeeMode: 1
; LDSByteSize: 0 bytes/workgroup (compile time only)
; SGPRBlocks: 0
; VGPRBlocks: 0
; NumSGPRsForWavesPerEU: 6
; NumVGPRsForWavesPerEU: 1
; AccumOffset: 4
; Occupancy: 8
; WaveLimiterHint : 0
; COMPUTE_PGM_RSRC2:SCRATCH_EN: 0
; COMPUTE_PGM_RSRC2:USER_SGPR: 2
; COMPUTE_PGM_RSRC2:TRAP_HANDLER: 0
; COMPUTE_PGM_RSRC2:TGID_X_EN: 1
; COMPUTE_PGM_RSRC2:TGID_Y_EN: 0
; COMPUTE_PGM_RSRC2:TGID_Z_EN: 0
; COMPUTE_PGM_RSRC2:TIDIG_COMP_CNT: 0
; COMPUTE_PGM_RSRC3_GFX90A:ACCUM_OFFSET: 0
; COMPUTE_PGM_RSRC3_GFX90A:TG_SPLIT: 0
	.section	.text._ZN7rocprim17ROCPRIM_400000_NS6detail17trampoline_kernelINS0_14default_configENS1_38merge_sort_block_merge_config_selectorIiNS0_10empty_typeEEEZZNS1_27merge_sort_block_merge_implIS3_N6thrust23THRUST_200600_302600_NS6detail15normal_iteratorINS9_10device_ptrIiEEEEPS5_jNS1_19radix_merge_compareILb0ELb0EiNS0_19identity_decomposerEEEEE10hipError_tT0_T1_T2_jT3_P12ihipStream_tbPNSt15iterator_traitsISK_E10value_typeEPNSQ_ISL_E10value_typeEPSM_NS1_7vsmem_tEENKUlT_SK_SL_SM_E_clIPiSE_SF_SF_EESJ_SZ_SK_SL_SM_EUlSZ_E0_NS1_11comp_targetILNS1_3genE5ELNS1_11target_archE942ELNS1_3gpuE9ELNS1_3repE0EEENS1_38merge_mergepath_config_static_selectorELNS0_4arch9wavefront6targetE1EEEvSL_,"axG",@progbits,_ZN7rocprim17ROCPRIM_400000_NS6detail17trampoline_kernelINS0_14default_configENS1_38merge_sort_block_merge_config_selectorIiNS0_10empty_typeEEEZZNS1_27merge_sort_block_merge_implIS3_N6thrust23THRUST_200600_302600_NS6detail15normal_iteratorINS9_10device_ptrIiEEEEPS5_jNS1_19radix_merge_compareILb0ELb0EiNS0_19identity_decomposerEEEEE10hipError_tT0_T1_T2_jT3_P12ihipStream_tbPNSt15iterator_traitsISK_E10value_typeEPNSQ_ISL_E10value_typeEPSM_NS1_7vsmem_tEENKUlT_SK_SL_SM_E_clIPiSE_SF_SF_EESJ_SZ_SK_SL_SM_EUlSZ_E0_NS1_11comp_targetILNS1_3genE5ELNS1_11target_archE942ELNS1_3gpuE9ELNS1_3repE0EEENS1_38merge_mergepath_config_static_selectorELNS0_4arch9wavefront6targetE1EEEvSL_,comdat
	.protected	_ZN7rocprim17ROCPRIM_400000_NS6detail17trampoline_kernelINS0_14default_configENS1_38merge_sort_block_merge_config_selectorIiNS0_10empty_typeEEEZZNS1_27merge_sort_block_merge_implIS3_N6thrust23THRUST_200600_302600_NS6detail15normal_iteratorINS9_10device_ptrIiEEEEPS5_jNS1_19radix_merge_compareILb0ELb0EiNS0_19identity_decomposerEEEEE10hipError_tT0_T1_T2_jT3_P12ihipStream_tbPNSt15iterator_traitsISK_E10value_typeEPNSQ_ISL_E10value_typeEPSM_NS1_7vsmem_tEENKUlT_SK_SL_SM_E_clIPiSE_SF_SF_EESJ_SZ_SK_SL_SM_EUlSZ_E0_NS1_11comp_targetILNS1_3genE5ELNS1_11target_archE942ELNS1_3gpuE9ELNS1_3repE0EEENS1_38merge_mergepath_config_static_selectorELNS0_4arch9wavefront6targetE1EEEvSL_ ; -- Begin function _ZN7rocprim17ROCPRIM_400000_NS6detail17trampoline_kernelINS0_14default_configENS1_38merge_sort_block_merge_config_selectorIiNS0_10empty_typeEEEZZNS1_27merge_sort_block_merge_implIS3_N6thrust23THRUST_200600_302600_NS6detail15normal_iteratorINS9_10device_ptrIiEEEEPS5_jNS1_19radix_merge_compareILb0ELb0EiNS0_19identity_decomposerEEEEE10hipError_tT0_T1_T2_jT3_P12ihipStream_tbPNSt15iterator_traitsISK_E10value_typeEPNSQ_ISL_E10value_typeEPSM_NS1_7vsmem_tEENKUlT_SK_SL_SM_E_clIPiSE_SF_SF_EESJ_SZ_SK_SL_SM_EUlSZ_E0_NS1_11comp_targetILNS1_3genE5ELNS1_11target_archE942ELNS1_3gpuE9ELNS1_3repE0EEENS1_38merge_mergepath_config_static_selectorELNS0_4arch9wavefront6targetE1EEEvSL_
	.globl	_ZN7rocprim17ROCPRIM_400000_NS6detail17trampoline_kernelINS0_14default_configENS1_38merge_sort_block_merge_config_selectorIiNS0_10empty_typeEEEZZNS1_27merge_sort_block_merge_implIS3_N6thrust23THRUST_200600_302600_NS6detail15normal_iteratorINS9_10device_ptrIiEEEEPS5_jNS1_19radix_merge_compareILb0ELb0EiNS0_19identity_decomposerEEEEE10hipError_tT0_T1_T2_jT3_P12ihipStream_tbPNSt15iterator_traitsISK_E10value_typeEPNSQ_ISL_E10value_typeEPSM_NS1_7vsmem_tEENKUlT_SK_SL_SM_E_clIPiSE_SF_SF_EESJ_SZ_SK_SL_SM_EUlSZ_E0_NS1_11comp_targetILNS1_3genE5ELNS1_11target_archE942ELNS1_3gpuE9ELNS1_3repE0EEENS1_38merge_mergepath_config_static_selectorELNS0_4arch9wavefront6targetE1EEEvSL_
	.p2align	8
	.type	_ZN7rocprim17ROCPRIM_400000_NS6detail17trampoline_kernelINS0_14default_configENS1_38merge_sort_block_merge_config_selectorIiNS0_10empty_typeEEEZZNS1_27merge_sort_block_merge_implIS3_N6thrust23THRUST_200600_302600_NS6detail15normal_iteratorINS9_10device_ptrIiEEEEPS5_jNS1_19radix_merge_compareILb0ELb0EiNS0_19identity_decomposerEEEEE10hipError_tT0_T1_T2_jT3_P12ihipStream_tbPNSt15iterator_traitsISK_E10value_typeEPNSQ_ISL_E10value_typeEPSM_NS1_7vsmem_tEENKUlT_SK_SL_SM_E_clIPiSE_SF_SF_EESJ_SZ_SK_SL_SM_EUlSZ_E0_NS1_11comp_targetILNS1_3genE5ELNS1_11target_archE942ELNS1_3gpuE9ELNS1_3repE0EEENS1_38merge_mergepath_config_static_selectorELNS0_4arch9wavefront6targetE1EEEvSL_,@function
_ZN7rocprim17ROCPRIM_400000_NS6detail17trampoline_kernelINS0_14default_configENS1_38merge_sort_block_merge_config_selectorIiNS0_10empty_typeEEEZZNS1_27merge_sort_block_merge_implIS3_N6thrust23THRUST_200600_302600_NS6detail15normal_iteratorINS9_10device_ptrIiEEEEPS5_jNS1_19radix_merge_compareILb0ELb0EiNS0_19identity_decomposerEEEEE10hipError_tT0_T1_T2_jT3_P12ihipStream_tbPNSt15iterator_traitsISK_E10value_typeEPNSQ_ISL_E10value_typeEPSM_NS1_7vsmem_tEENKUlT_SK_SL_SM_E_clIPiSE_SF_SF_EESJ_SZ_SK_SL_SM_EUlSZ_E0_NS1_11comp_targetILNS1_3genE5ELNS1_11target_archE942ELNS1_3gpuE9ELNS1_3repE0EEENS1_38merge_mergepath_config_static_selectorELNS0_4arch9wavefront6targetE1EEEvSL_: ; @_ZN7rocprim17ROCPRIM_400000_NS6detail17trampoline_kernelINS0_14default_configENS1_38merge_sort_block_merge_config_selectorIiNS0_10empty_typeEEEZZNS1_27merge_sort_block_merge_implIS3_N6thrust23THRUST_200600_302600_NS6detail15normal_iteratorINS9_10device_ptrIiEEEEPS5_jNS1_19radix_merge_compareILb0ELb0EiNS0_19identity_decomposerEEEEE10hipError_tT0_T1_T2_jT3_P12ihipStream_tbPNSt15iterator_traitsISK_E10value_typeEPNSQ_ISL_E10value_typeEPSM_NS1_7vsmem_tEENKUlT_SK_SL_SM_E_clIPiSE_SF_SF_EESJ_SZ_SK_SL_SM_EUlSZ_E0_NS1_11comp_targetILNS1_3genE5ELNS1_11target_archE942ELNS1_3gpuE9ELNS1_3repE0EEENS1_38merge_mergepath_config_static_selectorELNS0_4arch9wavefront6targetE1EEEvSL_
; %bb.0:
	s_load_dwordx2 s[12:13], s[0:1], 0x40
	s_load_dword s5, s[0:1], 0x30
	s_add_u32 s8, s0, 64
	s_addc_u32 s9, s1, 0
	s_waitcnt lgkmcnt(0)
	s_mul_i32 s4, s13, s4
	s_add_i32 s3, s4, s3
	s_mul_i32 s3, s3, s12
	s_add_i32 s10, s3, s2
	s_cmp_ge_u32 s10, s5
	s_cbranch_scc1 .LBB1624_43
; %bb.1:
	s_load_dwordx2 s[14:15], s[0:1], 0x28
	s_load_dwordx2 s[4:5], s[0:1], 0x38
	;; [unrolled: 1-line block ×3, first 2 shown]
	s_mov_b32 s11, 0
	v_mov_b32_e32 v11, 0
	s_waitcnt lgkmcnt(0)
	s_lshr_b32 s22, s14, 10
	s_cmp_lg_u32 s10, s22
	s_cselect_b64 s[18:19], -1, 0
	s_lshl_b64 s[16:17], s[10:11], 2
	s_add_u32 s4, s4, s16
	s_addc_u32 s5, s5, s17
	s_lshr_b32 s3, s15, 9
	s_and_b32 s3, s3, 0x7ffffe
	s_load_dwordx2 s[4:5], s[4:5], 0x0
	s_sub_i32 s3, 0, s3
	s_and_b32 s13, s10, s3
	s_lshl_b32 s17, s13, 10
	s_lshl_b32 s16, s10, 10
	s_lshl_b32 s13, s13, 11
	s_sub_i32 s20, s16, s17
	s_add_i32 s13, s13, s15
	s_add_i32 s21, s13, s20
	s_waitcnt lgkmcnt(0)
	s_sub_i32 s20, s21, s4
	s_sub_i32 s21, s21, s5
	;; [unrolled: 1-line block ×3, first 2 shown]
	s_min_u32 s20, s14, s20
	s_addk_i32 s21, 0x400
	s_or_b32 s3, s10, s3
	s_min_u32 s17, s14, s13
	s_add_i32 s13, s13, s15
	s_cmp_eq_u32 s3, -1
	s_cselect_b32 s3, s13, s21
	s_cselect_b32 s5, s17, s5
	s_min_u32 s3, s3, s14
	s_sub_i32 s15, s5, s4
	s_mov_b32 s5, s11
	s_sub_i32 s13, s3, s20
	s_lshl_b64 s[4:5], s[4:5], 2
	s_add_u32 s4, s6, s4
	s_mov_b32 s21, s11
	s_addc_u32 s5, s7, s5
	s_lshl_b64 s[20:21], s[20:21], 2
	s_add_u32 s6, s6, s20
	s_addc_u32 s7, s7, s21
	s_cmp_lt_u32 s2, s12
	s_cselect_b32 s2, 12, 18
	global_load_dword v1, v11, s[8:9] offset:14
	s_add_u32 s2, s8, s2
	s_addc_u32 s3, s9, 0
	global_load_ushort v2, v11, s[2:3]
	s_cmp_eq_u32 s10, s22
	v_lshlrev_b32_e32 v10, 2, v0
	s_waitcnt vmcnt(1)
	v_lshrrev_b32_e32 v3, 16, v1
	v_and_b32_e32 v1, 0xffff, v1
	v_mul_lo_u32 v1, v1, v3
	s_waitcnt vmcnt(0)
	v_mul_lo_u32 v1, v1, v2
	v_add_u32_e32 v14, v1, v0
	v_add_u32_e32 v12, v14, v1
	s_cbranch_scc1 .LBB1624_3
; %bb.2:
	v_subrev_u32_e32 v4, s15, v0
	v_mov_b32_e32 v5, v11
	v_lshl_add_u64 v[2:3], s[4:5], 0, v[10:11]
	v_lshl_add_u64 v[4:5], v[4:5], 2, s[6:7]
	v_cmp_gt_u32_e32 vcc, s15, v0
	v_mov_b32_e32 v15, v11
	v_subrev_u32_e32 v6, s15, v14
	v_mov_b32_e32 v7, v11
	v_cndmask_b32_e32 v3, v5, v3, vcc
	v_cndmask_b32_e32 v2, v4, v2, vcc
	v_lshl_add_u64 v[4:5], v[14:15], 2, s[4:5]
	v_lshl_add_u64 v[6:7], v[6:7], 2, s[6:7]
	v_cmp_gt_u32_e32 vcc, s15, v14
	v_mov_b32_e32 v13, v11
	global_load_dword v2, v[2:3], off
	v_cndmask_b32_e32 v5, v7, v5, vcc
	v_cndmask_b32_e32 v4, v6, v4, vcc
	v_subrev_u32_e32 v6, s15, v12
	v_mov_b32_e32 v7, v11
	global_load_dword v3, v[4:5], off
	v_lshl_add_u64 v[4:5], v[12:13], 2, s[4:5]
	v_lshl_add_u64 v[6:7], v[6:7], 2, s[6:7]
	v_cmp_gt_u32_e32 vcc, s15, v12
	v_mov_b32_e32 v17, v11
	v_mov_b32_e32 v19, v11
	v_cndmask_b32_e32 v4, v6, v4, vcc
	v_add_u32_e32 v6, v12, v1
	v_cndmask_b32_e32 v5, v7, v5, vcc
	v_mov_b32_e32 v7, v11
	v_subrev_u32_e32 v16, s15, v6
	v_lshl_add_u64 v[8:9], v[6:7], 2, s[4:5]
	v_lshl_add_u64 v[16:17], v[16:17], 2, s[6:7]
	v_cmp_gt_u32_e32 vcc, s15, v6
	global_load_dword v4, v[4:5], off
	v_mov_b32_e32 v21, v11
	v_cndmask_b32_e32 v9, v17, v9, vcc
	v_cndmask_b32_e32 v8, v16, v8, vcc
	global_load_dword v5, v[8:9], off
	v_add_u32_e32 v8, v6, v1
	v_mov_b32_e32 v9, v11
	v_lshl_add_u64 v[6:7], v[8:9], 2, s[4:5]
	v_subrev_u32_e32 v16, s15, v8
	v_mov_b32_e32 v17, v11
	v_cmp_gt_u32_e32 vcc, s15, v8
	v_add_u32_e32 v8, v8, v1
	v_lshl_add_u64 v[16:17], v[16:17], 2, s[6:7]
	v_subrev_u32_e32 v18, s15, v8
	v_cndmask_b32_e32 v7, v17, v7, vcc
	v_cndmask_b32_e32 v6, v16, v6, vcc
	v_lshl_add_u64 v[16:17], v[8:9], 2, s[4:5]
	v_lshl_add_u64 v[18:19], v[18:19], 2, s[6:7]
	v_cmp_gt_u32_e32 vcc, s15, v8
	global_load_dword v6, v[6:7], off
	s_add_i32 s17, s13, s15
	v_cndmask_b32_e32 v17, v19, v17, vcc
	v_cndmask_b32_e32 v16, v18, v16, vcc
	global_load_dword v7, v[16:17], off
	v_add_u32_e32 v16, v8, v1
	v_mov_b32_e32 v17, v11
	v_lshl_add_u64 v[8:9], v[16:17], 2, s[4:5]
	v_subrev_u32_e32 v18, s15, v16
	v_mov_b32_e32 v19, v11
	v_cmp_gt_u32_e32 vcc, s15, v16
	v_add_u32_e32 v16, v16, v1
	v_lshl_add_u64 v[18:19], v[18:19], 2, s[6:7]
	v_subrev_u32_e32 v20, s15, v16
	v_cndmask_b32_e32 v9, v19, v9, vcc
	v_cndmask_b32_e32 v8, v18, v8, vcc
	v_lshl_add_u64 v[18:19], v[16:17], 2, s[4:5]
	v_lshl_add_u64 v[20:21], v[20:21], 2, s[6:7]
	v_cmp_gt_u32_e32 vcc, s15, v16
	global_load_dword v8, v[8:9], off
	s_nop 0
	v_cndmask_b32_e32 v17, v21, v19, vcc
	v_cndmask_b32_e32 v16, v20, v18, vcc
	global_load_dword v9, v[16:17], off
	s_load_dwordx2 s[20:21], s[0:1], 0x10
	s_cbranch_execz .LBB1624_4
	s_branch .LBB1624_19
.LBB1624_3:
                                        ; implicit-def: $vgpr2_vgpr3_vgpr4_vgpr5_vgpr6_vgpr7_vgpr8_vgpr9
                                        ; implicit-def: $sgpr17
	s_load_dwordx2 s[20:21], s[0:1], 0x10
.LBB1624_4:
	s_add_i32 s17, s13, s15
	v_cmp_gt_u32_e32 vcc, s17, v0
                                        ; implicit-def: $vgpr2_vgpr3_vgpr4_vgpr5_vgpr6_vgpr7_vgpr8_vgpr9
	s_and_saveexec_b64 s[0:1], vcc
	s_cbranch_execnz .LBB1624_44
; %bb.5:
	s_or_b64 exec, exec, s[0:1]
	v_cmp_gt_u32_e32 vcc, s17, v14
	s_and_saveexec_b64 s[0:1], vcc
	s_cbranch_execnz .LBB1624_45
.LBB1624_6:
	s_or_b64 exec, exec, s[0:1]
	v_cmp_gt_u32_e32 vcc, s17, v12
	s_and_saveexec_b64 s[0:1], vcc
	s_cbranch_execz .LBB1624_8
.LBB1624_7:
	v_mov_b32_e32 v13, 0
	v_subrev_u32_e32 v16, s15, v12
	v_mov_b32_e32 v17, v13
	v_lshl_add_u64 v[14:15], v[12:13], 2, s[4:5]
	v_lshl_add_u64 v[16:17], v[16:17], 2, s[6:7]
	v_cmp_gt_u32_e32 vcc, s15, v12
	s_nop 1
	v_cndmask_b32_e32 v15, v17, v15, vcc
	v_cndmask_b32_e32 v14, v16, v14, vcc
	global_load_dword v4, v[14:15], off
.LBB1624_8:
	s_or_b64 exec, exec, s[0:1]
	v_add_u32_e32 v12, v12, v1
	v_cmp_gt_u32_e32 vcc, s17, v12
	s_and_saveexec_b64 s[0:1], vcc
	s_cbranch_execz .LBB1624_10
; %bb.9:
	v_mov_b32_e32 v13, 0
	v_subrev_u32_e32 v16, s15, v12
	v_mov_b32_e32 v17, v13
	v_lshl_add_u64 v[14:15], v[12:13], 2, s[4:5]
	v_lshl_add_u64 v[16:17], v[16:17], 2, s[6:7]
	v_cmp_gt_u32_e32 vcc, s15, v12
	s_nop 1
	v_cndmask_b32_e32 v15, v17, v15, vcc
	v_cndmask_b32_e32 v14, v16, v14, vcc
	global_load_dword v5, v[14:15], off
.LBB1624_10:
	s_or_b64 exec, exec, s[0:1]
	v_add_u32_e32 v12, v12, v1
	v_cmp_gt_u32_e32 vcc, s17, v12
	s_and_saveexec_b64 s[0:1], vcc
	s_cbranch_execz .LBB1624_12
; %bb.11:
	v_mov_b32_e32 v13, 0
	v_subrev_u32_e32 v16, s15, v12
	v_mov_b32_e32 v17, v13
	v_lshl_add_u64 v[14:15], v[12:13], 2, s[4:5]
	v_lshl_add_u64 v[16:17], v[16:17], 2, s[6:7]
	v_cmp_gt_u32_e32 vcc, s15, v12
	s_nop 1
	v_cndmask_b32_e32 v15, v17, v15, vcc
	v_cndmask_b32_e32 v14, v16, v14, vcc
	global_load_dword v6, v[14:15], off
.LBB1624_12:
	;; [unrolled: 17-line block ×4, first 2 shown]
	s_or_b64 exec, exec, s[0:1]
	v_add_u32_e32 v12, v12, v1
	v_cmp_gt_u32_e32 vcc, s17, v12
	s_and_saveexec_b64 s[0:1], vcc
	s_cbranch_execz .LBB1624_18
; %bb.17:
	v_mov_b32_e32 v13, 0
	v_lshl_add_u64 v[14:15], v[12:13], 2, s[4:5]
	v_cmp_gt_u32_e32 vcc, s15, v12
	v_subrev_u32_e32 v12, s15, v12
	v_lshl_add_u64 v[12:13], v[12:13], 2, s[6:7]
	v_cndmask_b32_e32 v13, v13, v15, vcc
	v_cndmask_b32_e32 v12, v12, v14, vcc
	global_load_dword v9, v[12:13], off
.LBB1624_18:
	s_or_b64 exec, exec, s[0:1]
.LBB1624_19:
	v_lshlrev_b32_e32 v1, 3, v0
	v_min_u32_e32 v12, s17, v1
	v_sub_u32_e64 v11, v12, s13 clamp
	v_min_u32_e32 v13, s15, v12
	v_cmp_lt_u32_e32 vcc, v11, v13
	s_waitcnt vmcnt(0)
	ds_write2st64_b32 v10, v2, v3 offset1:2
	ds_write2st64_b32 v10, v4, v5 offset0:4 offset1:6
	ds_write2st64_b32 v10, v6, v7 offset0:8 offset1:10
	;; [unrolled: 1-line block ×3, first 2 shown]
	s_waitcnt lgkmcnt(0)
	s_barrier
	s_and_saveexec_b64 s[0:1], vcc
	s_cbranch_execz .LBB1624_23
; %bb.20:
	v_lshlrev_b32_e32 v14, 2, v12
	v_lshl_add_u32 v14, s15, 2, v14
	s_mov_b64 s[2:3], 0
.LBB1624_21:                            ; =>This Inner Loop Header: Depth=1
	v_add_u32_e32 v15, v13, v11
	v_lshrrev_b32_e32 v15, 1, v15
	v_not_b32_e32 v16, v15
	v_lshlrev_b32_e32 v17, 2, v15
	v_lshl_add_u32 v16, v16, 2, v14
	ds_read_b32 v17, v17
	ds_read_b32 v16, v16
	v_add_u32_e32 v18, 1, v15
	s_waitcnt lgkmcnt(0)
	v_cmp_gt_i32_e32 vcc, v17, v16
	s_nop 1
	v_cndmask_b32_e32 v13, v13, v15, vcc
	v_cndmask_b32_e32 v11, v18, v11, vcc
	v_cmp_ge_u32_e32 vcc, v11, v13
	s_or_b64 s[2:3], vcc, s[2:3]
	s_andn2_b64 exec, exec, s[2:3]
	s_cbranch_execnz .LBB1624_21
; %bb.22:
	s_or_b64 exec, exec, s[2:3]
.LBB1624_23:
	s_or_b64 exec, exec, s[0:1]
	v_sub_u32_e32 v12, v12, v11
	v_add_u32_e32 v12, s15, v12
	v_cmp_ge_u32_e32 vcc, s15, v11
	v_cmp_ge_u32_e64 s[0:1], s17, v12
	s_or_b64 s[0:1], vcc, s[0:1]
	s_and_saveexec_b64 s[22:23], s[0:1]
	s_cbranch_execz .LBB1624_29
; %bb.24:
	v_cmp_gt_u32_e32 vcc, s15, v11
                                        ; implicit-def: $vgpr2
	s_and_saveexec_b64 s[0:1], vcc
	s_cbranch_execz .LBB1624_26
; %bb.25:
	v_lshlrev_b32_e32 v2, 2, v11
	ds_read_b32 v2, v2
.LBB1624_26:
	s_or_b64 exec, exec, s[0:1]
	v_cmp_le_u32_e64 s[0:1], s17, v12
	v_cmp_gt_u32_e64 s[2:3], s17, v12
                                        ; implicit-def: $vgpr3
	s_and_saveexec_b64 s[4:5], s[2:3]
	s_cbranch_execz .LBB1624_28
; %bb.27:
	v_lshlrev_b32_e32 v3, 2, v12
	ds_read_b32 v3, v3
.LBB1624_28:
	s_or_b64 exec, exec, s[4:5]
	s_waitcnt lgkmcnt(0)
	v_cmp_le_i32_e64 s[2:3], v2, v3
	s_and_b64 s[2:3], vcc, s[2:3]
	s_or_b64 vcc, s[0:1], s[2:3]
	v_mov_b32_e32 v5, s17
	v_mov_b32_e32 v6, s15
	v_cndmask_b32_e32 v4, v12, v11, vcc
	v_cndmask_b32_e32 v7, v5, v6, vcc
	v_add_u32_e32 v4, 1, v4
	v_add_u32_e32 v7, -1, v7
	v_min_u32_e32 v7, v4, v7
	v_lshlrev_b32_e32 v7, 2, v7
	ds_read_b32 v7, v7
	v_cndmask_b32_e32 v9, v4, v12, vcc
	v_cndmask_b32_e32 v4, v11, v4, vcc
	v_cmp_gt_u32_e64 s[2:3], s15, v4
	v_cmp_le_u32_e64 s[0:1], s17, v9
	s_waitcnt lgkmcnt(0)
	v_cndmask_b32_e32 v8, v7, v3, vcc
	v_cndmask_b32_e32 v7, v2, v7, vcc
	v_cmp_le_i32_e64 s[4:5], v7, v8
	s_and_b64 s[2:3], s[2:3], s[4:5]
	s_or_b64 s[0:1], s[0:1], s[2:3]
	v_cndmask_b32_e64 v11, v9, v4, s[0:1]
	v_cndmask_b32_e64 v12, v5, v6, s[0:1]
	v_add_u32_e32 v11, 1, v11
	v_add_u32_e32 v12, -1, v12
	v_min_u32_e32 v12, v11, v12
	v_lshlrev_b32_e32 v12, 2, v12
	ds_read_b32 v12, v12
	v_cndmask_b32_e64 v4, v4, v11, s[0:1]
	v_cndmask_b32_e64 v9, v11, v9, s[0:1]
	v_cmp_gt_u32_e64 s[4:5], s15, v4
	v_cmp_le_u32_e64 s[2:3], s17, v9
	s_waitcnt lgkmcnt(0)
	v_cndmask_b32_e64 v13, v12, v8, s[0:1]
	v_cndmask_b32_e64 v12, v7, v12, s[0:1]
	v_cmp_le_i32_e64 s[6:7], v12, v13
	s_and_b64 s[4:5], s[4:5], s[6:7]
	s_or_b64 s[2:3], s[2:3], s[4:5]
	v_cndmask_b32_e64 v11, v9, v4, s[2:3]
	v_cndmask_b32_e64 v14, v5, v6, s[2:3]
	v_add_u32_e32 v11, 1, v11
	v_add_u32_e32 v14, -1, v14
	v_min_u32_e32 v14, v11, v14
	v_lshlrev_b32_e32 v14, 2, v14
	ds_read_b32 v14, v14
	v_cndmask_b32_e64 v4, v4, v11, s[2:3]
	v_cndmask_b32_e64 v9, v11, v9, s[2:3]
	v_cmp_gt_u32_e64 s[6:7], s15, v4
	v_cmp_le_u32_e64 s[4:5], s17, v9
	s_waitcnt lgkmcnt(0)
	v_cndmask_b32_e64 v15, v14, v13, s[2:3]
	v_cndmask_b32_e64 v14, v12, v14, s[2:3]
	;; [unrolled: 17-line block ×4, first 2 shown]
	v_cmp_le_i32_e64 s[12:13], v18, v19
	s_and_b64 s[10:11], s[10:11], s[12:13]
	s_or_b64 s[8:9], s[8:9], s[10:11]
	v_cndmask_b32_e64 v4, v9, v11, s[8:9]
	v_cndmask_b32_e64 v20, v5, v6, s[8:9]
	v_add_u32_e32 v21, 1, v4
	v_add_u32_e32 v4, -1, v20
	v_min_u32_e32 v4, v21, v4
	v_lshlrev_b32_e32 v4, 2, v4
	ds_read_b32 v20, v4
	v_cndmask_b32_e64 v4, v13, v12, s[2:3]
	v_cndmask_b32_e64 v11, v11, v21, s[8:9]
	v_cndmask_b32_e32 v2, v3, v2, vcc
	v_cndmask_b32_e64 v3, v8, v7, s[0:1]
	s_waitcnt lgkmcnt(0)
	v_cndmask_b32_e64 v12, v20, v19, s[8:9]
	v_cndmask_b32_e64 v13, v18, v20, s[8:9]
	;; [unrolled: 1-line block ×3, first 2 shown]
	v_cmp_gt_u32_e64 s[0:1], s15, v11
	v_cmp_le_i32_e64 s[2:3], v13, v12
	v_cmp_le_u32_e32 vcc, s17, v9
	s_and_b64 s[0:1], s[0:1], s[2:3]
	s_or_b64 vcc, vcc, s[0:1]
	v_cndmask_b32_e32 v7, v9, v11, vcc
	v_cndmask_b32_e32 v5, v5, v6, vcc
	v_add_u32_e32 v20, 1, v7
	v_add_u32_e32 v5, -1, v5
	v_min_u32_e32 v5, v20, v5
	v_lshlrev_b32_e32 v5, 2, v5
	ds_read_b32 v21, v5
	v_cndmask_b32_e32 v8, v12, v13, vcc
	v_cndmask_b32_e32 v11, v11, v20, vcc
	;; [unrolled: 1-line block ×3, first 2 shown]
	v_cmp_gt_u32_e64 s[0:1], s15, v11
	s_waitcnt lgkmcnt(0)
	v_cndmask_b32_e32 v12, v21, v12, vcc
	v_cndmask_b32_e32 v13, v13, v21, vcc
	v_cmp_le_i32_e64 s[2:3], v13, v12
	v_cmp_le_u32_e32 vcc, s17, v9
	s_and_b64 s[0:1], s[0:1], s[2:3]
	s_or_b64 vcc, vcc, s[0:1]
	v_cndmask_b32_e64 v5, v15, v14, s[4:5]
	v_cndmask_b32_e64 v6, v17, v16, s[6:7]
	;; [unrolled: 1-line block ×3, first 2 shown]
	v_cndmask_b32_e32 v9, v12, v13, vcc
.LBB1624_29:
	s_or_b64 exec, exec, s[22:23]
	v_and_b32_e32 v11, 0x7c, v0
	v_lshl_add_u32 v1, v1, 2, v11
	s_barrier
	s_barrier
	ds_write2_b32 v1, v2, v3 offset1:1
	ds_write2_b32 v1, v4, v5 offset0:2 offset1:3
	ds_write2_b32 v1, v6, v7 offset0:4 offset1:5
	ds_write2_b32 v1, v8, v9 offset0:6 offset1:7
	v_lshrrev_b32_e32 v1, 3, v0
	v_and_b32_e32 v1, 12, v1
	v_or_b32_e32 v12, 0x80, v0
	v_add_u32_e32 v13, v10, v1
	v_lshrrev_b32_e32 v1, 3, v12
	v_and_b32_e32 v1, 28, v1
	v_or_b32_e32 v9, 0x100, v0
	v_add_u32_e32 v14, v10, v1
	;; [unrolled: 4-line block ×6, first 2 shown]
	v_lshrrev_b32_e32 v1, 3, v4
	s_mov_b32 s17, 0
	v_and_b32_e32 v1, 0x6c, v1
	s_lshl_b64 s[0:1], s[16:17], 2
	v_add_u32_e32 v19, v10, v1
	v_or_b32_e32 v1, 0x380, v0
	s_add_u32 s0, s20, s0
	v_lshrrev_b32_e32 v2, 3, v1
	s_addc_u32 s1, s21, s1
	v_and_b32_e32 v2, 0x7c, v2
	v_mov_b32_e32 v11, 0
	v_add_u32_e32 v20, v10, v2
	v_lshl_add_u64 v[2:3], s[0:1], 0, v[10:11]
	s_and_b64 vcc, exec, s[18:19]
	s_waitcnt lgkmcnt(0)
	s_cbranch_vccz .LBB1624_31
; %bb.30:
	s_barrier
	ds_read_b32 v10, v13
	ds_read_b32 v11, v14 offset:512
	ds_read_b32 v21, v15 offset:1024
	;; [unrolled: 1-line block ×7, first 2 shown]
	s_waitcnt lgkmcnt(7)
	global_store_dword v[2:3], v10, off
	s_waitcnt lgkmcnt(6)
	global_store_dword v[2:3], v11, off offset:512
	s_waitcnt lgkmcnt(5)
	global_store_dword v[2:3], v21, off offset:1024
	;; [unrolled: 2-line block ×6, first 2 shown]
	s_mov_b64 s[0:1], -1
	s_cbranch_execz .LBB1624_32
	s_branch .LBB1624_41
.LBB1624_31:
	s_mov_b64 s[0:1], 0
                                        ; implicit-def: $vgpr7
.LBB1624_32:
	s_barrier
	s_waitcnt lgkmcnt(0)
	ds_read_b32 v22, v14 offset:512
	ds_read_b32 v21, v15 offset:1024
	;; [unrolled: 1-line block ×7, first 2 shown]
	s_sub_i32 s2, s14, s16
	v_cmp_gt_u32_e32 vcc, s2, v0
	s_and_saveexec_b64 s[0:1], vcc
	s_cbranch_execnz .LBB1624_46
; %bb.33:
	s_or_b64 exec, exec, s[0:1]
	v_cmp_gt_u32_e32 vcc, s2, v12
	s_and_saveexec_b64 s[0:1], vcc
	s_cbranch_execnz .LBB1624_47
.LBB1624_34:
	s_or_b64 exec, exec, s[0:1]
	v_cmp_gt_u32_e32 vcc, s2, v9
	s_and_saveexec_b64 s[0:1], vcc
	s_cbranch_execnz .LBB1624_48
.LBB1624_35:
	s_or_b64 exec, exec, s[0:1]
	v_cmp_gt_u32_e32 vcc, s2, v8
	s_and_saveexec_b64 s[0:1], vcc
	s_cbranch_execnz .LBB1624_49
.LBB1624_36:
	s_or_b64 exec, exec, s[0:1]
	v_cmp_gt_u32_e32 vcc, s2, v6
	s_and_saveexec_b64 s[0:1], vcc
	s_cbranch_execnz .LBB1624_50
.LBB1624_37:
	s_or_b64 exec, exec, s[0:1]
	v_cmp_gt_u32_e32 vcc, s2, v5
	s_and_saveexec_b64 s[0:1], vcc
	s_cbranch_execnz .LBB1624_51
.LBB1624_38:
	s_or_b64 exec, exec, s[0:1]
	v_cmp_gt_u32_e32 vcc, s2, v4
	s_and_saveexec_b64 s[0:1], vcc
	s_cbranch_execz .LBB1624_40
.LBB1624_39:
	s_waitcnt lgkmcnt(1)
	global_store_dword v[2:3], v10, off offset:3072
.LBB1624_40:
	s_or_b64 exec, exec, s[0:1]
	v_cmp_gt_u32_e64 s[0:1], s2, v1
.LBB1624_41:
	s_and_saveexec_b64 s[2:3], s[0:1]
	s_cbranch_execz .LBB1624_43
; %bb.42:
	s_waitcnt lgkmcnt(0)
	global_store_dword v[2:3], v7, off offset:3584
.LBB1624_43:
	s_endpgm
.LBB1624_44:
	v_mov_b32_e32 v11, 0
	s_waitcnt vmcnt(5)
	v_subrev_u32_e32 v4, s15, v0
	s_waitcnt vmcnt(4)
	v_mov_b32_e32 v5, v11
	v_lshl_add_u64 v[2:3], s[4:5], 0, v[10:11]
	v_lshl_add_u64 v[4:5], v[4:5], 2, s[6:7]
	v_cmp_gt_u32_e32 vcc, s15, v0
	s_nop 1
	v_cndmask_b32_e32 v3, v5, v3, vcc
	v_cndmask_b32_e32 v2, v4, v2, vcc
	global_load_dword v2, v[2:3], off
	s_or_b64 exec, exec, s[0:1]
	v_cmp_gt_u32_e32 vcc, s17, v14
	s_and_saveexec_b64 s[0:1], vcc
	s_cbranch_execz .LBB1624_6
.LBB1624_45:
	v_mov_b32_e32 v15, 0
	v_lshl_add_u64 v[16:17], v[14:15], 2, s[4:5]
	v_cmp_gt_u32_e32 vcc, s15, v14
	v_subrev_u32_e32 v14, s15, v14
	v_lshl_add_u64 v[14:15], v[14:15], 2, s[6:7]
	v_cndmask_b32_e32 v15, v15, v17, vcc
	v_cndmask_b32_e32 v14, v14, v16, vcc
	global_load_dword v3, v[14:15], off
	s_or_b64 exec, exec, s[0:1]
	v_cmp_gt_u32_e32 vcc, s17, v12
	s_and_saveexec_b64 s[0:1], vcc
	s_cbranch_execnz .LBB1624_7
	s_branch .LBB1624_8
.LBB1624_46:
	ds_read_b32 v0, v13
	s_waitcnt lgkmcnt(0)
	global_store_dword v[2:3], v0, off
	s_or_b64 exec, exec, s[0:1]
	v_cmp_gt_u32_e32 vcc, s2, v12
	s_and_saveexec_b64 s[0:1], vcc
	s_cbranch_execz .LBB1624_34
.LBB1624_47:
	s_waitcnt lgkmcnt(6)
	global_store_dword v[2:3], v22, off offset:512
	s_or_b64 exec, exec, s[0:1]
	v_cmp_gt_u32_e32 vcc, s2, v9
	s_and_saveexec_b64 s[0:1], vcc
	s_cbranch_execz .LBB1624_35
.LBB1624_48:
	s_waitcnt lgkmcnt(5)
	global_store_dword v[2:3], v21, off offset:1024
	s_or_b64 exec, exec, s[0:1]
	v_cmp_gt_u32_e32 vcc, s2, v8
	s_and_saveexec_b64 s[0:1], vcc
	s_cbranch_execz .LBB1624_36
.LBB1624_49:
	s_waitcnt lgkmcnt(4)
	global_store_dword v[2:3], v15, off offset:1536
	s_or_b64 exec, exec, s[0:1]
	v_cmp_gt_u32_e32 vcc, s2, v6
	s_and_saveexec_b64 s[0:1], vcc
	s_cbranch_execz .LBB1624_37
.LBB1624_50:
	s_waitcnt lgkmcnt(3)
	global_store_dword v[2:3], v14, off offset:2048
	s_or_b64 exec, exec, s[0:1]
	v_cmp_gt_u32_e32 vcc, s2, v5
	s_and_saveexec_b64 s[0:1], vcc
	s_cbranch_execz .LBB1624_38
.LBB1624_51:
	s_waitcnt lgkmcnt(2)
	global_store_dword v[2:3], v11, off offset:2560
	s_or_b64 exec, exec, s[0:1]
	v_cmp_gt_u32_e32 vcc, s2, v4
	s_and_saveexec_b64 s[0:1], vcc
	s_cbranch_execnz .LBB1624_39
	s_branch .LBB1624_40
	.section	.rodata,"a",@progbits
	.p2align	6, 0x0
	.amdhsa_kernel _ZN7rocprim17ROCPRIM_400000_NS6detail17trampoline_kernelINS0_14default_configENS1_38merge_sort_block_merge_config_selectorIiNS0_10empty_typeEEEZZNS1_27merge_sort_block_merge_implIS3_N6thrust23THRUST_200600_302600_NS6detail15normal_iteratorINS9_10device_ptrIiEEEEPS5_jNS1_19radix_merge_compareILb0ELb0EiNS0_19identity_decomposerEEEEE10hipError_tT0_T1_T2_jT3_P12ihipStream_tbPNSt15iterator_traitsISK_E10value_typeEPNSQ_ISL_E10value_typeEPSM_NS1_7vsmem_tEENKUlT_SK_SL_SM_E_clIPiSE_SF_SF_EESJ_SZ_SK_SL_SM_EUlSZ_E0_NS1_11comp_targetILNS1_3genE5ELNS1_11target_archE942ELNS1_3gpuE9ELNS1_3repE0EEENS1_38merge_mergepath_config_static_selectorELNS0_4arch9wavefront6targetE1EEEvSL_
		.amdhsa_group_segment_fixed_size 4224
		.amdhsa_private_segment_fixed_size 0
		.amdhsa_kernarg_size 320
		.amdhsa_user_sgpr_count 2
		.amdhsa_user_sgpr_dispatch_ptr 0
		.amdhsa_user_sgpr_queue_ptr 0
		.amdhsa_user_sgpr_kernarg_segment_ptr 1
		.amdhsa_user_sgpr_dispatch_id 0
		.amdhsa_user_sgpr_kernarg_preload_length 0
		.amdhsa_user_sgpr_kernarg_preload_offset 0
		.amdhsa_user_sgpr_private_segment_size 0
		.amdhsa_uses_dynamic_stack 0
		.amdhsa_enable_private_segment 0
		.amdhsa_system_sgpr_workgroup_id_x 1
		.amdhsa_system_sgpr_workgroup_id_y 1
		.amdhsa_system_sgpr_workgroup_id_z 1
		.amdhsa_system_sgpr_workgroup_info 0
		.amdhsa_system_vgpr_workitem_id 0
		.amdhsa_next_free_vgpr 26
		.amdhsa_next_free_sgpr 24
		.amdhsa_accum_offset 28
		.amdhsa_reserve_vcc 1
		.amdhsa_float_round_mode_32 0
		.amdhsa_float_round_mode_16_64 0
		.amdhsa_float_denorm_mode_32 3
		.amdhsa_float_denorm_mode_16_64 3
		.amdhsa_dx10_clamp 1
		.amdhsa_ieee_mode 1
		.amdhsa_fp16_overflow 0
		.amdhsa_tg_split 0
		.amdhsa_exception_fp_ieee_invalid_op 0
		.amdhsa_exception_fp_denorm_src 0
		.amdhsa_exception_fp_ieee_div_zero 0
		.amdhsa_exception_fp_ieee_overflow 0
		.amdhsa_exception_fp_ieee_underflow 0
		.amdhsa_exception_fp_ieee_inexact 0
		.amdhsa_exception_int_div_zero 0
	.end_amdhsa_kernel
	.section	.text._ZN7rocprim17ROCPRIM_400000_NS6detail17trampoline_kernelINS0_14default_configENS1_38merge_sort_block_merge_config_selectorIiNS0_10empty_typeEEEZZNS1_27merge_sort_block_merge_implIS3_N6thrust23THRUST_200600_302600_NS6detail15normal_iteratorINS9_10device_ptrIiEEEEPS5_jNS1_19radix_merge_compareILb0ELb0EiNS0_19identity_decomposerEEEEE10hipError_tT0_T1_T2_jT3_P12ihipStream_tbPNSt15iterator_traitsISK_E10value_typeEPNSQ_ISL_E10value_typeEPSM_NS1_7vsmem_tEENKUlT_SK_SL_SM_E_clIPiSE_SF_SF_EESJ_SZ_SK_SL_SM_EUlSZ_E0_NS1_11comp_targetILNS1_3genE5ELNS1_11target_archE942ELNS1_3gpuE9ELNS1_3repE0EEENS1_38merge_mergepath_config_static_selectorELNS0_4arch9wavefront6targetE1EEEvSL_,"axG",@progbits,_ZN7rocprim17ROCPRIM_400000_NS6detail17trampoline_kernelINS0_14default_configENS1_38merge_sort_block_merge_config_selectorIiNS0_10empty_typeEEEZZNS1_27merge_sort_block_merge_implIS3_N6thrust23THRUST_200600_302600_NS6detail15normal_iteratorINS9_10device_ptrIiEEEEPS5_jNS1_19radix_merge_compareILb0ELb0EiNS0_19identity_decomposerEEEEE10hipError_tT0_T1_T2_jT3_P12ihipStream_tbPNSt15iterator_traitsISK_E10value_typeEPNSQ_ISL_E10value_typeEPSM_NS1_7vsmem_tEENKUlT_SK_SL_SM_E_clIPiSE_SF_SF_EESJ_SZ_SK_SL_SM_EUlSZ_E0_NS1_11comp_targetILNS1_3genE5ELNS1_11target_archE942ELNS1_3gpuE9ELNS1_3repE0EEENS1_38merge_mergepath_config_static_selectorELNS0_4arch9wavefront6targetE1EEEvSL_,comdat
.Lfunc_end1624:
	.size	_ZN7rocprim17ROCPRIM_400000_NS6detail17trampoline_kernelINS0_14default_configENS1_38merge_sort_block_merge_config_selectorIiNS0_10empty_typeEEEZZNS1_27merge_sort_block_merge_implIS3_N6thrust23THRUST_200600_302600_NS6detail15normal_iteratorINS9_10device_ptrIiEEEEPS5_jNS1_19radix_merge_compareILb0ELb0EiNS0_19identity_decomposerEEEEE10hipError_tT0_T1_T2_jT3_P12ihipStream_tbPNSt15iterator_traitsISK_E10value_typeEPNSQ_ISL_E10value_typeEPSM_NS1_7vsmem_tEENKUlT_SK_SL_SM_E_clIPiSE_SF_SF_EESJ_SZ_SK_SL_SM_EUlSZ_E0_NS1_11comp_targetILNS1_3genE5ELNS1_11target_archE942ELNS1_3gpuE9ELNS1_3repE0EEENS1_38merge_mergepath_config_static_selectorELNS0_4arch9wavefront6targetE1EEEvSL_, .Lfunc_end1624-_ZN7rocprim17ROCPRIM_400000_NS6detail17trampoline_kernelINS0_14default_configENS1_38merge_sort_block_merge_config_selectorIiNS0_10empty_typeEEEZZNS1_27merge_sort_block_merge_implIS3_N6thrust23THRUST_200600_302600_NS6detail15normal_iteratorINS9_10device_ptrIiEEEEPS5_jNS1_19radix_merge_compareILb0ELb0EiNS0_19identity_decomposerEEEEE10hipError_tT0_T1_T2_jT3_P12ihipStream_tbPNSt15iterator_traitsISK_E10value_typeEPNSQ_ISL_E10value_typeEPSM_NS1_7vsmem_tEENKUlT_SK_SL_SM_E_clIPiSE_SF_SF_EESJ_SZ_SK_SL_SM_EUlSZ_E0_NS1_11comp_targetILNS1_3genE5ELNS1_11target_archE942ELNS1_3gpuE9ELNS1_3repE0EEENS1_38merge_mergepath_config_static_selectorELNS0_4arch9wavefront6targetE1EEEvSL_
                                        ; -- End function
	.section	.AMDGPU.csdata,"",@progbits
; Kernel info:
; codeLenInByte = 3264
; NumSgprs: 30
; NumVgprs: 26
; NumAgprs: 0
; TotalNumVgprs: 26
; ScratchSize: 0
; MemoryBound: 0
; FloatMode: 240
; IeeeMode: 1
; LDSByteSize: 4224 bytes/workgroup (compile time only)
; SGPRBlocks: 3
; VGPRBlocks: 3
; NumSGPRsForWavesPerEU: 30
; NumVGPRsForWavesPerEU: 26
; AccumOffset: 28
; Occupancy: 8
; WaveLimiterHint : 1
; COMPUTE_PGM_RSRC2:SCRATCH_EN: 0
; COMPUTE_PGM_RSRC2:USER_SGPR: 2
; COMPUTE_PGM_RSRC2:TRAP_HANDLER: 0
; COMPUTE_PGM_RSRC2:TGID_X_EN: 1
; COMPUTE_PGM_RSRC2:TGID_Y_EN: 1
; COMPUTE_PGM_RSRC2:TGID_Z_EN: 1
; COMPUTE_PGM_RSRC2:TIDIG_COMP_CNT: 0
; COMPUTE_PGM_RSRC3_GFX90A:ACCUM_OFFSET: 6
; COMPUTE_PGM_RSRC3_GFX90A:TG_SPLIT: 0
	.section	.text._ZN7rocprim17ROCPRIM_400000_NS6detail17trampoline_kernelINS0_14default_configENS1_38merge_sort_block_merge_config_selectorIiNS0_10empty_typeEEEZZNS1_27merge_sort_block_merge_implIS3_N6thrust23THRUST_200600_302600_NS6detail15normal_iteratorINS9_10device_ptrIiEEEEPS5_jNS1_19radix_merge_compareILb0ELb0EiNS0_19identity_decomposerEEEEE10hipError_tT0_T1_T2_jT3_P12ihipStream_tbPNSt15iterator_traitsISK_E10value_typeEPNSQ_ISL_E10value_typeEPSM_NS1_7vsmem_tEENKUlT_SK_SL_SM_E_clIPiSE_SF_SF_EESJ_SZ_SK_SL_SM_EUlSZ_E0_NS1_11comp_targetILNS1_3genE4ELNS1_11target_archE910ELNS1_3gpuE8ELNS1_3repE0EEENS1_38merge_mergepath_config_static_selectorELNS0_4arch9wavefront6targetE1EEEvSL_,"axG",@progbits,_ZN7rocprim17ROCPRIM_400000_NS6detail17trampoline_kernelINS0_14default_configENS1_38merge_sort_block_merge_config_selectorIiNS0_10empty_typeEEEZZNS1_27merge_sort_block_merge_implIS3_N6thrust23THRUST_200600_302600_NS6detail15normal_iteratorINS9_10device_ptrIiEEEEPS5_jNS1_19radix_merge_compareILb0ELb0EiNS0_19identity_decomposerEEEEE10hipError_tT0_T1_T2_jT3_P12ihipStream_tbPNSt15iterator_traitsISK_E10value_typeEPNSQ_ISL_E10value_typeEPSM_NS1_7vsmem_tEENKUlT_SK_SL_SM_E_clIPiSE_SF_SF_EESJ_SZ_SK_SL_SM_EUlSZ_E0_NS1_11comp_targetILNS1_3genE4ELNS1_11target_archE910ELNS1_3gpuE8ELNS1_3repE0EEENS1_38merge_mergepath_config_static_selectorELNS0_4arch9wavefront6targetE1EEEvSL_,comdat
	.protected	_ZN7rocprim17ROCPRIM_400000_NS6detail17trampoline_kernelINS0_14default_configENS1_38merge_sort_block_merge_config_selectorIiNS0_10empty_typeEEEZZNS1_27merge_sort_block_merge_implIS3_N6thrust23THRUST_200600_302600_NS6detail15normal_iteratorINS9_10device_ptrIiEEEEPS5_jNS1_19radix_merge_compareILb0ELb0EiNS0_19identity_decomposerEEEEE10hipError_tT0_T1_T2_jT3_P12ihipStream_tbPNSt15iterator_traitsISK_E10value_typeEPNSQ_ISL_E10value_typeEPSM_NS1_7vsmem_tEENKUlT_SK_SL_SM_E_clIPiSE_SF_SF_EESJ_SZ_SK_SL_SM_EUlSZ_E0_NS1_11comp_targetILNS1_3genE4ELNS1_11target_archE910ELNS1_3gpuE8ELNS1_3repE0EEENS1_38merge_mergepath_config_static_selectorELNS0_4arch9wavefront6targetE1EEEvSL_ ; -- Begin function _ZN7rocprim17ROCPRIM_400000_NS6detail17trampoline_kernelINS0_14default_configENS1_38merge_sort_block_merge_config_selectorIiNS0_10empty_typeEEEZZNS1_27merge_sort_block_merge_implIS3_N6thrust23THRUST_200600_302600_NS6detail15normal_iteratorINS9_10device_ptrIiEEEEPS5_jNS1_19radix_merge_compareILb0ELb0EiNS0_19identity_decomposerEEEEE10hipError_tT0_T1_T2_jT3_P12ihipStream_tbPNSt15iterator_traitsISK_E10value_typeEPNSQ_ISL_E10value_typeEPSM_NS1_7vsmem_tEENKUlT_SK_SL_SM_E_clIPiSE_SF_SF_EESJ_SZ_SK_SL_SM_EUlSZ_E0_NS1_11comp_targetILNS1_3genE4ELNS1_11target_archE910ELNS1_3gpuE8ELNS1_3repE0EEENS1_38merge_mergepath_config_static_selectorELNS0_4arch9wavefront6targetE1EEEvSL_
	.globl	_ZN7rocprim17ROCPRIM_400000_NS6detail17trampoline_kernelINS0_14default_configENS1_38merge_sort_block_merge_config_selectorIiNS0_10empty_typeEEEZZNS1_27merge_sort_block_merge_implIS3_N6thrust23THRUST_200600_302600_NS6detail15normal_iteratorINS9_10device_ptrIiEEEEPS5_jNS1_19radix_merge_compareILb0ELb0EiNS0_19identity_decomposerEEEEE10hipError_tT0_T1_T2_jT3_P12ihipStream_tbPNSt15iterator_traitsISK_E10value_typeEPNSQ_ISL_E10value_typeEPSM_NS1_7vsmem_tEENKUlT_SK_SL_SM_E_clIPiSE_SF_SF_EESJ_SZ_SK_SL_SM_EUlSZ_E0_NS1_11comp_targetILNS1_3genE4ELNS1_11target_archE910ELNS1_3gpuE8ELNS1_3repE0EEENS1_38merge_mergepath_config_static_selectorELNS0_4arch9wavefront6targetE1EEEvSL_
	.p2align	8
	.type	_ZN7rocprim17ROCPRIM_400000_NS6detail17trampoline_kernelINS0_14default_configENS1_38merge_sort_block_merge_config_selectorIiNS0_10empty_typeEEEZZNS1_27merge_sort_block_merge_implIS3_N6thrust23THRUST_200600_302600_NS6detail15normal_iteratorINS9_10device_ptrIiEEEEPS5_jNS1_19radix_merge_compareILb0ELb0EiNS0_19identity_decomposerEEEEE10hipError_tT0_T1_T2_jT3_P12ihipStream_tbPNSt15iterator_traitsISK_E10value_typeEPNSQ_ISL_E10value_typeEPSM_NS1_7vsmem_tEENKUlT_SK_SL_SM_E_clIPiSE_SF_SF_EESJ_SZ_SK_SL_SM_EUlSZ_E0_NS1_11comp_targetILNS1_3genE4ELNS1_11target_archE910ELNS1_3gpuE8ELNS1_3repE0EEENS1_38merge_mergepath_config_static_selectorELNS0_4arch9wavefront6targetE1EEEvSL_,@function
_ZN7rocprim17ROCPRIM_400000_NS6detail17trampoline_kernelINS0_14default_configENS1_38merge_sort_block_merge_config_selectorIiNS0_10empty_typeEEEZZNS1_27merge_sort_block_merge_implIS3_N6thrust23THRUST_200600_302600_NS6detail15normal_iteratorINS9_10device_ptrIiEEEEPS5_jNS1_19radix_merge_compareILb0ELb0EiNS0_19identity_decomposerEEEEE10hipError_tT0_T1_T2_jT3_P12ihipStream_tbPNSt15iterator_traitsISK_E10value_typeEPNSQ_ISL_E10value_typeEPSM_NS1_7vsmem_tEENKUlT_SK_SL_SM_E_clIPiSE_SF_SF_EESJ_SZ_SK_SL_SM_EUlSZ_E0_NS1_11comp_targetILNS1_3genE4ELNS1_11target_archE910ELNS1_3gpuE8ELNS1_3repE0EEENS1_38merge_mergepath_config_static_selectorELNS0_4arch9wavefront6targetE1EEEvSL_: ; @_ZN7rocprim17ROCPRIM_400000_NS6detail17trampoline_kernelINS0_14default_configENS1_38merge_sort_block_merge_config_selectorIiNS0_10empty_typeEEEZZNS1_27merge_sort_block_merge_implIS3_N6thrust23THRUST_200600_302600_NS6detail15normal_iteratorINS9_10device_ptrIiEEEEPS5_jNS1_19radix_merge_compareILb0ELb0EiNS0_19identity_decomposerEEEEE10hipError_tT0_T1_T2_jT3_P12ihipStream_tbPNSt15iterator_traitsISK_E10value_typeEPNSQ_ISL_E10value_typeEPSM_NS1_7vsmem_tEENKUlT_SK_SL_SM_E_clIPiSE_SF_SF_EESJ_SZ_SK_SL_SM_EUlSZ_E0_NS1_11comp_targetILNS1_3genE4ELNS1_11target_archE910ELNS1_3gpuE8ELNS1_3repE0EEENS1_38merge_mergepath_config_static_selectorELNS0_4arch9wavefront6targetE1EEEvSL_
; %bb.0:
	.section	.rodata,"a",@progbits
	.p2align	6, 0x0
	.amdhsa_kernel _ZN7rocprim17ROCPRIM_400000_NS6detail17trampoline_kernelINS0_14default_configENS1_38merge_sort_block_merge_config_selectorIiNS0_10empty_typeEEEZZNS1_27merge_sort_block_merge_implIS3_N6thrust23THRUST_200600_302600_NS6detail15normal_iteratorINS9_10device_ptrIiEEEEPS5_jNS1_19radix_merge_compareILb0ELb0EiNS0_19identity_decomposerEEEEE10hipError_tT0_T1_T2_jT3_P12ihipStream_tbPNSt15iterator_traitsISK_E10value_typeEPNSQ_ISL_E10value_typeEPSM_NS1_7vsmem_tEENKUlT_SK_SL_SM_E_clIPiSE_SF_SF_EESJ_SZ_SK_SL_SM_EUlSZ_E0_NS1_11comp_targetILNS1_3genE4ELNS1_11target_archE910ELNS1_3gpuE8ELNS1_3repE0EEENS1_38merge_mergepath_config_static_selectorELNS0_4arch9wavefront6targetE1EEEvSL_
		.amdhsa_group_segment_fixed_size 0
		.amdhsa_private_segment_fixed_size 0
		.amdhsa_kernarg_size 64
		.amdhsa_user_sgpr_count 2
		.amdhsa_user_sgpr_dispatch_ptr 0
		.amdhsa_user_sgpr_queue_ptr 0
		.amdhsa_user_sgpr_kernarg_segment_ptr 1
		.amdhsa_user_sgpr_dispatch_id 0
		.amdhsa_user_sgpr_kernarg_preload_length 0
		.amdhsa_user_sgpr_kernarg_preload_offset 0
		.amdhsa_user_sgpr_private_segment_size 0
		.amdhsa_uses_dynamic_stack 0
		.amdhsa_enable_private_segment 0
		.amdhsa_system_sgpr_workgroup_id_x 1
		.amdhsa_system_sgpr_workgroup_id_y 0
		.amdhsa_system_sgpr_workgroup_id_z 0
		.amdhsa_system_sgpr_workgroup_info 0
		.amdhsa_system_vgpr_workitem_id 0
		.amdhsa_next_free_vgpr 1
		.amdhsa_next_free_sgpr 0
		.amdhsa_accum_offset 4
		.amdhsa_reserve_vcc 0
		.amdhsa_float_round_mode_32 0
		.amdhsa_float_round_mode_16_64 0
		.amdhsa_float_denorm_mode_32 3
		.amdhsa_float_denorm_mode_16_64 3
		.amdhsa_dx10_clamp 1
		.amdhsa_ieee_mode 1
		.amdhsa_fp16_overflow 0
		.amdhsa_tg_split 0
		.amdhsa_exception_fp_ieee_invalid_op 0
		.amdhsa_exception_fp_denorm_src 0
		.amdhsa_exception_fp_ieee_div_zero 0
		.amdhsa_exception_fp_ieee_overflow 0
		.amdhsa_exception_fp_ieee_underflow 0
		.amdhsa_exception_fp_ieee_inexact 0
		.amdhsa_exception_int_div_zero 0
	.end_amdhsa_kernel
	.section	.text._ZN7rocprim17ROCPRIM_400000_NS6detail17trampoline_kernelINS0_14default_configENS1_38merge_sort_block_merge_config_selectorIiNS0_10empty_typeEEEZZNS1_27merge_sort_block_merge_implIS3_N6thrust23THRUST_200600_302600_NS6detail15normal_iteratorINS9_10device_ptrIiEEEEPS5_jNS1_19radix_merge_compareILb0ELb0EiNS0_19identity_decomposerEEEEE10hipError_tT0_T1_T2_jT3_P12ihipStream_tbPNSt15iterator_traitsISK_E10value_typeEPNSQ_ISL_E10value_typeEPSM_NS1_7vsmem_tEENKUlT_SK_SL_SM_E_clIPiSE_SF_SF_EESJ_SZ_SK_SL_SM_EUlSZ_E0_NS1_11comp_targetILNS1_3genE4ELNS1_11target_archE910ELNS1_3gpuE8ELNS1_3repE0EEENS1_38merge_mergepath_config_static_selectorELNS0_4arch9wavefront6targetE1EEEvSL_,"axG",@progbits,_ZN7rocprim17ROCPRIM_400000_NS6detail17trampoline_kernelINS0_14default_configENS1_38merge_sort_block_merge_config_selectorIiNS0_10empty_typeEEEZZNS1_27merge_sort_block_merge_implIS3_N6thrust23THRUST_200600_302600_NS6detail15normal_iteratorINS9_10device_ptrIiEEEEPS5_jNS1_19radix_merge_compareILb0ELb0EiNS0_19identity_decomposerEEEEE10hipError_tT0_T1_T2_jT3_P12ihipStream_tbPNSt15iterator_traitsISK_E10value_typeEPNSQ_ISL_E10value_typeEPSM_NS1_7vsmem_tEENKUlT_SK_SL_SM_E_clIPiSE_SF_SF_EESJ_SZ_SK_SL_SM_EUlSZ_E0_NS1_11comp_targetILNS1_3genE4ELNS1_11target_archE910ELNS1_3gpuE8ELNS1_3repE0EEENS1_38merge_mergepath_config_static_selectorELNS0_4arch9wavefront6targetE1EEEvSL_,comdat
.Lfunc_end1625:
	.size	_ZN7rocprim17ROCPRIM_400000_NS6detail17trampoline_kernelINS0_14default_configENS1_38merge_sort_block_merge_config_selectorIiNS0_10empty_typeEEEZZNS1_27merge_sort_block_merge_implIS3_N6thrust23THRUST_200600_302600_NS6detail15normal_iteratorINS9_10device_ptrIiEEEEPS5_jNS1_19radix_merge_compareILb0ELb0EiNS0_19identity_decomposerEEEEE10hipError_tT0_T1_T2_jT3_P12ihipStream_tbPNSt15iterator_traitsISK_E10value_typeEPNSQ_ISL_E10value_typeEPSM_NS1_7vsmem_tEENKUlT_SK_SL_SM_E_clIPiSE_SF_SF_EESJ_SZ_SK_SL_SM_EUlSZ_E0_NS1_11comp_targetILNS1_3genE4ELNS1_11target_archE910ELNS1_3gpuE8ELNS1_3repE0EEENS1_38merge_mergepath_config_static_selectorELNS0_4arch9wavefront6targetE1EEEvSL_, .Lfunc_end1625-_ZN7rocprim17ROCPRIM_400000_NS6detail17trampoline_kernelINS0_14default_configENS1_38merge_sort_block_merge_config_selectorIiNS0_10empty_typeEEEZZNS1_27merge_sort_block_merge_implIS3_N6thrust23THRUST_200600_302600_NS6detail15normal_iteratorINS9_10device_ptrIiEEEEPS5_jNS1_19radix_merge_compareILb0ELb0EiNS0_19identity_decomposerEEEEE10hipError_tT0_T1_T2_jT3_P12ihipStream_tbPNSt15iterator_traitsISK_E10value_typeEPNSQ_ISL_E10value_typeEPSM_NS1_7vsmem_tEENKUlT_SK_SL_SM_E_clIPiSE_SF_SF_EESJ_SZ_SK_SL_SM_EUlSZ_E0_NS1_11comp_targetILNS1_3genE4ELNS1_11target_archE910ELNS1_3gpuE8ELNS1_3repE0EEENS1_38merge_mergepath_config_static_selectorELNS0_4arch9wavefront6targetE1EEEvSL_
                                        ; -- End function
	.section	.AMDGPU.csdata,"",@progbits
; Kernel info:
; codeLenInByte = 0
; NumSgprs: 6
; NumVgprs: 0
; NumAgprs: 0
; TotalNumVgprs: 0
; ScratchSize: 0
; MemoryBound: 0
; FloatMode: 240
; IeeeMode: 1
; LDSByteSize: 0 bytes/workgroup (compile time only)
; SGPRBlocks: 0
; VGPRBlocks: 0
; NumSGPRsForWavesPerEU: 6
; NumVGPRsForWavesPerEU: 1
; AccumOffset: 4
; Occupancy: 8
; WaveLimiterHint : 0
; COMPUTE_PGM_RSRC2:SCRATCH_EN: 0
; COMPUTE_PGM_RSRC2:USER_SGPR: 2
; COMPUTE_PGM_RSRC2:TRAP_HANDLER: 0
; COMPUTE_PGM_RSRC2:TGID_X_EN: 1
; COMPUTE_PGM_RSRC2:TGID_Y_EN: 0
; COMPUTE_PGM_RSRC2:TGID_Z_EN: 0
; COMPUTE_PGM_RSRC2:TIDIG_COMP_CNT: 0
; COMPUTE_PGM_RSRC3_GFX90A:ACCUM_OFFSET: 0
; COMPUTE_PGM_RSRC3_GFX90A:TG_SPLIT: 0
	.section	.text._ZN7rocprim17ROCPRIM_400000_NS6detail17trampoline_kernelINS0_14default_configENS1_38merge_sort_block_merge_config_selectorIiNS0_10empty_typeEEEZZNS1_27merge_sort_block_merge_implIS3_N6thrust23THRUST_200600_302600_NS6detail15normal_iteratorINS9_10device_ptrIiEEEEPS5_jNS1_19radix_merge_compareILb0ELb0EiNS0_19identity_decomposerEEEEE10hipError_tT0_T1_T2_jT3_P12ihipStream_tbPNSt15iterator_traitsISK_E10value_typeEPNSQ_ISL_E10value_typeEPSM_NS1_7vsmem_tEENKUlT_SK_SL_SM_E_clIPiSE_SF_SF_EESJ_SZ_SK_SL_SM_EUlSZ_E0_NS1_11comp_targetILNS1_3genE3ELNS1_11target_archE908ELNS1_3gpuE7ELNS1_3repE0EEENS1_38merge_mergepath_config_static_selectorELNS0_4arch9wavefront6targetE1EEEvSL_,"axG",@progbits,_ZN7rocprim17ROCPRIM_400000_NS6detail17trampoline_kernelINS0_14default_configENS1_38merge_sort_block_merge_config_selectorIiNS0_10empty_typeEEEZZNS1_27merge_sort_block_merge_implIS3_N6thrust23THRUST_200600_302600_NS6detail15normal_iteratorINS9_10device_ptrIiEEEEPS5_jNS1_19radix_merge_compareILb0ELb0EiNS0_19identity_decomposerEEEEE10hipError_tT0_T1_T2_jT3_P12ihipStream_tbPNSt15iterator_traitsISK_E10value_typeEPNSQ_ISL_E10value_typeEPSM_NS1_7vsmem_tEENKUlT_SK_SL_SM_E_clIPiSE_SF_SF_EESJ_SZ_SK_SL_SM_EUlSZ_E0_NS1_11comp_targetILNS1_3genE3ELNS1_11target_archE908ELNS1_3gpuE7ELNS1_3repE0EEENS1_38merge_mergepath_config_static_selectorELNS0_4arch9wavefront6targetE1EEEvSL_,comdat
	.protected	_ZN7rocprim17ROCPRIM_400000_NS6detail17trampoline_kernelINS0_14default_configENS1_38merge_sort_block_merge_config_selectorIiNS0_10empty_typeEEEZZNS1_27merge_sort_block_merge_implIS3_N6thrust23THRUST_200600_302600_NS6detail15normal_iteratorINS9_10device_ptrIiEEEEPS5_jNS1_19radix_merge_compareILb0ELb0EiNS0_19identity_decomposerEEEEE10hipError_tT0_T1_T2_jT3_P12ihipStream_tbPNSt15iterator_traitsISK_E10value_typeEPNSQ_ISL_E10value_typeEPSM_NS1_7vsmem_tEENKUlT_SK_SL_SM_E_clIPiSE_SF_SF_EESJ_SZ_SK_SL_SM_EUlSZ_E0_NS1_11comp_targetILNS1_3genE3ELNS1_11target_archE908ELNS1_3gpuE7ELNS1_3repE0EEENS1_38merge_mergepath_config_static_selectorELNS0_4arch9wavefront6targetE1EEEvSL_ ; -- Begin function _ZN7rocprim17ROCPRIM_400000_NS6detail17trampoline_kernelINS0_14default_configENS1_38merge_sort_block_merge_config_selectorIiNS0_10empty_typeEEEZZNS1_27merge_sort_block_merge_implIS3_N6thrust23THRUST_200600_302600_NS6detail15normal_iteratorINS9_10device_ptrIiEEEEPS5_jNS1_19radix_merge_compareILb0ELb0EiNS0_19identity_decomposerEEEEE10hipError_tT0_T1_T2_jT3_P12ihipStream_tbPNSt15iterator_traitsISK_E10value_typeEPNSQ_ISL_E10value_typeEPSM_NS1_7vsmem_tEENKUlT_SK_SL_SM_E_clIPiSE_SF_SF_EESJ_SZ_SK_SL_SM_EUlSZ_E0_NS1_11comp_targetILNS1_3genE3ELNS1_11target_archE908ELNS1_3gpuE7ELNS1_3repE0EEENS1_38merge_mergepath_config_static_selectorELNS0_4arch9wavefront6targetE1EEEvSL_
	.globl	_ZN7rocprim17ROCPRIM_400000_NS6detail17trampoline_kernelINS0_14default_configENS1_38merge_sort_block_merge_config_selectorIiNS0_10empty_typeEEEZZNS1_27merge_sort_block_merge_implIS3_N6thrust23THRUST_200600_302600_NS6detail15normal_iteratorINS9_10device_ptrIiEEEEPS5_jNS1_19radix_merge_compareILb0ELb0EiNS0_19identity_decomposerEEEEE10hipError_tT0_T1_T2_jT3_P12ihipStream_tbPNSt15iterator_traitsISK_E10value_typeEPNSQ_ISL_E10value_typeEPSM_NS1_7vsmem_tEENKUlT_SK_SL_SM_E_clIPiSE_SF_SF_EESJ_SZ_SK_SL_SM_EUlSZ_E0_NS1_11comp_targetILNS1_3genE3ELNS1_11target_archE908ELNS1_3gpuE7ELNS1_3repE0EEENS1_38merge_mergepath_config_static_selectorELNS0_4arch9wavefront6targetE1EEEvSL_
	.p2align	8
	.type	_ZN7rocprim17ROCPRIM_400000_NS6detail17trampoline_kernelINS0_14default_configENS1_38merge_sort_block_merge_config_selectorIiNS0_10empty_typeEEEZZNS1_27merge_sort_block_merge_implIS3_N6thrust23THRUST_200600_302600_NS6detail15normal_iteratorINS9_10device_ptrIiEEEEPS5_jNS1_19radix_merge_compareILb0ELb0EiNS0_19identity_decomposerEEEEE10hipError_tT0_T1_T2_jT3_P12ihipStream_tbPNSt15iterator_traitsISK_E10value_typeEPNSQ_ISL_E10value_typeEPSM_NS1_7vsmem_tEENKUlT_SK_SL_SM_E_clIPiSE_SF_SF_EESJ_SZ_SK_SL_SM_EUlSZ_E0_NS1_11comp_targetILNS1_3genE3ELNS1_11target_archE908ELNS1_3gpuE7ELNS1_3repE0EEENS1_38merge_mergepath_config_static_selectorELNS0_4arch9wavefront6targetE1EEEvSL_,@function
_ZN7rocprim17ROCPRIM_400000_NS6detail17trampoline_kernelINS0_14default_configENS1_38merge_sort_block_merge_config_selectorIiNS0_10empty_typeEEEZZNS1_27merge_sort_block_merge_implIS3_N6thrust23THRUST_200600_302600_NS6detail15normal_iteratorINS9_10device_ptrIiEEEEPS5_jNS1_19radix_merge_compareILb0ELb0EiNS0_19identity_decomposerEEEEE10hipError_tT0_T1_T2_jT3_P12ihipStream_tbPNSt15iterator_traitsISK_E10value_typeEPNSQ_ISL_E10value_typeEPSM_NS1_7vsmem_tEENKUlT_SK_SL_SM_E_clIPiSE_SF_SF_EESJ_SZ_SK_SL_SM_EUlSZ_E0_NS1_11comp_targetILNS1_3genE3ELNS1_11target_archE908ELNS1_3gpuE7ELNS1_3repE0EEENS1_38merge_mergepath_config_static_selectorELNS0_4arch9wavefront6targetE1EEEvSL_: ; @_ZN7rocprim17ROCPRIM_400000_NS6detail17trampoline_kernelINS0_14default_configENS1_38merge_sort_block_merge_config_selectorIiNS0_10empty_typeEEEZZNS1_27merge_sort_block_merge_implIS3_N6thrust23THRUST_200600_302600_NS6detail15normal_iteratorINS9_10device_ptrIiEEEEPS5_jNS1_19radix_merge_compareILb0ELb0EiNS0_19identity_decomposerEEEEE10hipError_tT0_T1_T2_jT3_P12ihipStream_tbPNSt15iterator_traitsISK_E10value_typeEPNSQ_ISL_E10value_typeEPSM_NS1_7vsmem_tEENKUlT_SK_SL_SM_E_clIPiSE_SF_SF_EESJ_SZ_SK_SL_SM_EUlSZ_E0_NS1_11comp_targetILNS1_3genE3ELNS1_11target_archE908ELNS1_3gpuE7ELNS1_3repE0EEENS1_38merge_mergepath_config_static_selectorELNS0_4arch9wavefront6targetE1EEEvSL_
; %bb.0:
	.section	.rodata,"a",@progbits
	.p2align	6, 0x0
	.amdhsa_kernel _ZN7rocprim17ROCPRIM_400000_NS6detail17trampoline_kernelINS0_14default_configENS1_38merge_sort_block_merge_config_selectorIiNS0_10empty_typeEEEZZNS1_27merge_sort_block_merge_implIS3_N6thrust23THRUST_200600_302600_NS6detail15normal_iteratorINS9_10device_ptrIiEEEEPS5_jNS1_19radix_merge_compareILb0ELb0EiNS0_19identity_decomposerEEEEE10hipError_tT0_T1_T2_jT3_P12ihipStream_tbPNSt15iterator_traitsISK_E10value_typeEPNSQ_ISL_E10value_typeEPSM_NS1_7vsmem_tEENKUlT_SK_SL_SM_E_clIPiSE_SF_SF_EESJ_SZ_SK_SL_SM_EUlSZ_E0_NS1_11comp_targetILNS1_3genE3ELNS1_11target_archE908ELNS1_3gpuE7ELNS1_3repE0EEENS1_38merge_mergepath_config_static_selectorELNS0_4arch9wavefront6targetE1EEEvSL_
		.amdhsa_group_segment_fixed_size 0
		.amdhsa_private_segment_fixed_size 0
		.amdhsa_kernarg_size 64
		.amdhsa_user_sgpr_count 2
		.amdhsa_user_sgpr_dispatch_ptr 0
		.amdhsa_user_sgpr_queue_ptr 0
		.amdhsa_user_sgpr_kernarg_segment_ptr 1
		.amdhsa_user_sgpr_dispatch_id 0
		.amdhsa_user_sgpr_kernarg_preload_length 0
		.amdhsa_user_sgpr_kernarg_preload_offset 0
		.amdhsa_user_sgpr_private_segment_size 0
		.amdhsa_uses_dynamic_stack 0
		.amdhsa_enable_private_segment 0
		.amdhsa_system_sgpr_workgroup_id_x 1
		.amdhsa_system_sgpr_workgroup_id_y 0
		.amdhsa_system_sgpr_workgroup_id_z 0
		.amdhsa_system_sgpr_workgroup_info 0
		.amdhsa_system_vgpr_workitem_id 0
		.amdhsa_next_free_vgpr 1
		.amdhsa_next_free_sgpr 0
		.amdhsa_accum_offset 4
		.amdhsa_reserve_vcc 0
		.amdhsa_float_round_mode_32 0
		.amdhsa_float_round_mode_16_64 0
		.amdhsa_float_denorm_mode_32 3
		.amdhsa_float_denorm_mode_16_64 3
		.amdhsa_dx10_clamp 1
		.amdhsa_ieee_mode 1
		.amdhsa_fp16_overflow 0
		.amdhsa_tg_split 0
		.amdhsa_exception_fp_ieee_invalid_op 0
		.amdhsa_exception_fp_denorm_src 0
		.amdhsa_exception_fp_ieee_div_zero 0
		.amdhsa_exception_fp_ieee_overflow 0
		.amdhsa_exception_fp_ieee_underflow 0
		.amdhsa_exception_fp_ieee_inexact 0
		.amdhsa_exception_int_div_zero 0
	.end_amdhsa_kernel
	.section	.text._ZN7rocprim17ROCPRIM_400000_NS6detail17trampoline_kernelINS0_14default_configENS1_38merge_sort_block_merge_config_selectorIiNS0_10empty_typeEEEZZNS1_27merge_sort_block_merge_implIS3_N6thrust23THRUST_200600_302600_NS6detail15normal_iteratorINS9_10device_ptrIiEEEEPS5_jNS1_19radix_merge_compareILb0ELb0EiNS0_19identity_decomposerEEEEE10hipError_tT0_T1_T2_jT3_P12ihipStream_tbPNSt15iterator_traitsISK_E10value_typeEPNSQ_ISL_E10value_typeEPSM_NS1_7vsmem_tEENKUlT_SK_SL_SM_E_clIPiSE_SF_SF_EESJ_SZ_SK_SL_SM_EUlSZ_E0_NS1_11comp_targetILNS1_3genE3ELNS1_11target_archE908ELNS1_3gpuE7ELNS1_3repE0EEENS1_38merge_mergepath_config_static_selectorELNS0_4arch9wavefront6targetE1EEEvSL_,"axG",@progbits,_ZN7rocprim17ROCPRIM_400000_NS6detail17trampoline_kernelINS0_14default_configENS1_38merge_sort_block_merge_config_selectorIiNS0_10empty_typeEEEZZNS1_27merge_sort_block_merge_implIS3_N6thrust23THRUST_200600_302600_NS6detail15normal_iteratorINS9_10device_ptrIiEEEEPS5_jNS1_19radix_merge_compareILb0ELb0EiNS0_19identity_decomposerEEEEE10hipError_tT0_T1_T2_jT3_P12ihipStream_tbPNSt15iterator_traitsISK_E10value_typeEPNSQ_ISL_E10value_typeEPSM_NS1_7vsmem_tEENKUlT_SK_SL_SM_E_clIPiSE_SF_SF_EESJ_SZ_SK_SL_SM_EUlSZ_E0_NS1_11comp_targetILNS1_3genE3ELNS1_11target_archE908ELNS1_3gpuE7ELNS1_3repE0EEENS1_38merge_mergepath_config_static_selectorELNS0_4arch9wavefront6targetE1EEEvSL_,comdat
.Lfunc_end1626:
	.size	_ZN7rocprim17ROCPRIM_400000_NS6detail17trampoline_kernelINS0_14default_configENS1_38merge_sort_block_merge_config_selectorIiNS0_10empty_typeEEEZZNS1_27merge_sort_block_merge_implIS3_N6thrust23THRUST_200600_302600_NS6detail15normal_iteratorINS9_10device_ptrIiEEEEPS5_jNS1_19radix_merge_compareILb0ELb0EiNS0_19identity_decomposerEEEEE10hipError_tT0_T1_T2_jT3_P12ihipStream_tbPNSt15iterator_traitsISK_E10value_typeEPNSQ_ISL_E10value_typeEPSM_NS1_7vsmem_tEENKUlT_SK_SL_SM_E_clIPiSE_SF_SF_EESJ_SZ_SK_SL_SM_EUlSZ_E0_NS1_11comp_targetILNS1_3genE3ELNS1_11target_archE908ELNS1_3gpuE7ELNS1_3repE0EEENS1_38merge_mergepath_config_static_selectorELNS0_4arch9wavefront6targetE1EEEvSL_, .Lfunc_end1626-_ZN7rocprim17ROCPRIM_400000_NS6detail17trampoline_kernelINS0_14default_configENS1_38merge_sort_block_merge_config_selectorIiNS0_10empty_typeEEEZZNS1_27merge_sort_block_merge_implIS3_N6thrust23THRUST_200600_302600_NS6detail15normal_iteratorINS9_10device_ptrIiEEEEPS5_jNS1_19radix_merge_compareILb0ELb0EiNS0_19identity_decomposerEEEEE10hipError_tT0_T1_T2_jT3_P12ihipStream_tbPNSt15iterator_traitsISK_E10value_typeEPNSQ_ISL_E10value_typeEPSM_NS1_7vsmem_tEENKUlT_SK_SL_SM_E_clIPiSE_SF_SF_EESJ_SZ_SK_SL_SM_EUlSZ_E0_NS1_11comp_targetILNS1_3genE3ELNS1_11target_archE908ELNS1_3gpuE7ELNS1_3repE0EEENS1_38merge_mergepath_config_static_selectorELNS0_4arch9wavefront6targetE1EEEvSL_
                                        ; -- End function
	.section	.AMDGPU.csdata,"",@progbits
; Kernel info:
; codeLenInByte = 0
; NumSgprs: 6
; NumVgprs: 0
; NumAgprs: 0
; TotalNumVgprs: 0
; ScratchSize: 0
; MemoryBound: 0
; FloatMode: 240
; IeeeMode: 1
; LDSByteSize: 0 bytes/workgroup (compile time only)
; SGPRBlocks: 0
; VGPRBlocks: 0
; NumSGPRsForWavesPerEU: 6
; NumVGPRsForWavesPerEU: 1
; AccumOffset: 4
; Occupancy: 8
; WaveLimiterHint : 0
; COMPUTE_PGM_RSRC2:SCRATCH_EN: 0
; COMPUTE_PGM_RSRC2:USER_SGPR: 2
; COMPUTE_PGM_RSRC2:TRAP_HANDLER: 0
; COMPUTE_PGM_RSRC2:TGID_X_EN: 1
; COMPUTE_PGM_RSRC2:TGID_Y_EN: 0
; COMPUTE_PGM_RSRC2:TGID_Z_EN: 0
; COMPUTE_PGM_RSRC2:TIDIG_COMP_CNT: 0
; COMPUTE_PGM_RSRC3_GFX90A:ACCUM_OFFSET: 0
; COMPUTE_PGM_RSRC3_GFX90A:TG_SPLIT: 0
	.section	.text._ZN7rocprim17ROCPRIM_400000_NS6detail17trampoline_kernelINS0_14default_configENS1_38merge_sort_block_merge_config_selectorIiNS0_10empty_typeEEEZZNS1_27merge_sort_block_merge_implIS3_N6thrust23THRUST_200600_302600_NS6detail15normal_iteratorINS9_10device_ptrIiEEEEPS5_jNS1_19radix_merge_compareILb0ELb0EiNS0_19identity_decomposerEEEEE10hipError_tT0_T1_T2_jT3_P12ihipStream_tbPNSt15iterator_traitsISK_E10value_typeEPNSQ_ISL_E10value_typeEPSM_NS1_7vsmem_tEENKUlT_SK_SL_SM_E_clIPiSE_SF_SF_EESJ_SZ_SK_SL_SM_EUlSZ_E0_NS1_11comp_targetILNS1_3genE2ELNS1_11target_archE906ELNS1_3gpuE6ELNS1_3repE0EEENS1_38merge_mergepath_config_static_selectorELNS0_4arch9wavefront6targetE1EEEvSL_,"axG",@progbits,_ZN7rocprim17ROCPRIM_400000_NS6detail17trampoline_kernelINS0_14default_configENS1_38merge_sort_block_merge_config_selectorIiNS0_10empty_typeEEEZZNS1_27merge_sort_block_merge_implIS3_N6thrust23THRUST_200600_302600_NS6detail15normal_iteratorINS9_10device_ptrIiEEEEPS5_jNS1_19radix_merge_compareILb0ELb0EiNS0_19identity_decomposerEEEEE10hipError_tT0_T1_T2_jT3_P12ihipStream_tbPNSt15iterator_traitsISK_E10value_typeEPNSQ_ISL_E10value_typeEPSM_NS1_7vsmem_tEENKUlT_SK_SL_SM_E_clIPiSE_SF_SF_EESJ_SZ_SK_SL_SM_EUlSZ_E0_NS1_11comp_targetILNS1_3genE2ELNS1_11target_archE906ELNS1_3gpuE6ELNS1_3repE0EEENS1_38merge_mergepath_config_static_selectorELNS0_4arch9wavefront6targetE1EEEvSL_,comdat
	.protected	_ZN7rocprim17ROCPRIM_400000_NS6detail17trampoline_kernelINS0_14default_configENS1_38merge_sort_block_merge_config_selectorIiNS0_10empty_typeEEEZZNS1_27merge_sort_block_merge_implIS3_N6thrust23THRUST_200600_302600_NS6detail15normal_iteratorINS9_10device_ptrIiEEEEPS5_jNS1_19radix_merge_compareILb0ELb0EiNS0_19identity_decomposerEEEEE10hipError_tT0_T1_T2_jT3_P12ihipStream_tbPNSt15iterator_traitsISK_E10value_typeEPNSQ_ISL_E10value_typeEPSM_NS1_7vsmem_tEENKUlT_SK_SL_SM_E_clIPiSE_SF_SF_EESJ_SZ_SK_SL_SM_EUlSZ_E0_NS1_11comp_targetILNS1_3genE2ELNS1_11target_archE906ELNS1_3gpuE6ELNS1_3repE0EEENS1_38merge_mergepath_config_static_selectorELNS0_4arch9wavefront6targetE1EEEvSL_ ; -- Begin function _ZN7rocprim17ROCPRIM_400000_NS6detail17trampoline_kernelINS0_14default_configENS1_38merge_sort_block_merge_config_selectorIiNS0_10empty_typeEEEZZNS1_27merge_sort_block_merge_implIS3_N6thrust23THRUST_200600_302600_NS6detail15normal_iteratorINS9_10device_ptrIiEEEEPS5_jNS1_19radix_merge_compareILb0ELb0EiNS0_19identity_decomposerEEEEE10hipError_tT0_T1_T2_jT3_P12ihipStream_tbPNSt15iterator_traitsISK_E10value_typeEPNSQ_ISL_E10value_typeEPSM_NS1_7vsmem_tEENKUlT_SK_SL_SM_E_clIPiSE_SF_SF_EESJ_SZ_SK_SL_SM_EUlSZ_E0_NS1_11comp_targetILNS1_3genE2ELNS1_11target_archE906ELNS1_3gpuE6ELNS1_3repE0EEENS1_38merge_mergepath_config_static_selectorELNS0_4arch9wavefront6targetE1EEEvSL_
	.globl	_ZN7rocprim17ROCPRIM_400000_NS6detail17trampoline_kernelINS0_14default_configENS1_38merge_sort_block_merge_config_selectorIiNS0_10empty_typeEEEZZNS1_27merge_sort_block_merge_implIS3_N6thrust23THRUST_200600_302600_NS6detail15normal_iteratorINS9_10device_ptrIiEEEEPS5_jNS1_19radix_merge_compareILb0ELb0EiNS0_19identity_decomposerEEEEE10hipError_tT0_T1_T2_jT3_P12ihipStream_tbPNSt15iterator_traitsISK_E10value_typeEPNSQ_ISL_E10value_typeEPSM_NS1_7vsmem_tEENKUlT_SK_SL_SM_E_clIPiSE_SF_SF_EESJ_SZ_SK_SL_SM_EUlSZ_E0_NS1_11comp_targetILNS1_3genE2ELNS1_11target_archE906ELNS1_3gpuE6ELNS1_3repE0EEENS1_38merge_mergepath_config_static_selectorELNS0_4arch9wavefront6targetE1EEEvSL_
	.p2align	8
	.type	_ZN7rocprim17ROCPRIM_400000_NS6detail17trampoline_kernelINS0_14default_configENS1_38merge_sort_block_merge_config_selectorIiNS0_10empty_typeEEEZZNS1_27merge_sort_block_merge_implIS3_N6thrust23THRUST_200600_302600_NS6detail15normal_iteratorINS9_10device_ptrIiEEEEPS5_jNS1_19radix_merge_compareILb0ELb0EiNS0_19identity_decomposerEEEEE10hipError_tT0_T1_T2_jT3_P12ihipStream_tbPNSt15iterator_traitsISK_E10value_typeEPNSQ_ISL_E10value_typeEPSM_NS1_7vsmem_tEENKUlT_SK_SL_SM_E_clIPiSE_SF_SF_EESJ_SZ_SK_SL_SM_EUlSZ_E0_NS1_11comp_targetILNS1_3genE2ELNS1_11target_archE906ELNS1_3gpuE6ELNS1_3repE0EEENS1_38merge_mergepath_config_static_selectorELNS0_4arch9wavefront6targetE1EEEvSL_,@function
_ZN7rocprim17ROCPRIM_400000_NS6detail17trampoline_kernelINS0_14default_configENS1_38merge_sort_block_merge_config_selectorIiNS0_10empty_typeEEEZZNS1_27merge_sort_block_merge_implIS3_N6thrust23THRUST_200600_302600_NS6detail15normal_iteratorINS9_10device_ptrIiEEEEPS5_jNS1_19radix_merge_compareILb0ELb0EiNS0_19identity_decomposerEEEEE10hipError_tT0_T1_T2_jT3_P12ihipStream_tbPNSt15iterator_traitsISK_E10value_typeEPNSQ_ISL_E10value_typeEPSM_NS1_7vsmem_tEENKUlT_SK_SL_SM_E_clIPiSE_SF_SF_EESJ_SZ_SK_SL_SM_EUlSZ_E0_NS1_11comp_targetILNS1_3genE2ELNS1_11target_archE906ELNS1_3gpuE6ELNS1_3repE0EEENS1_38merge_mergepath_config_static_selectorELNS0_4arch9wavefront6targetE1EEEvSL_: ; @_ZN7rocprim17ROCPRIM_400000_NS6detail17trampoline_kernelINS0_14default_configENS1_38merge_sort_block_merge_config_selectorIiNS0_10empty_typeEEEZZNS1_27merge_sort_block_merge_implIS3_N6thrust23THRUST_200600_302600_NS6detail15normal_iteratorINS9_10device_ptrIiEEEEPS5_jNS1_19radix_merge_compareILb0ELb0EiNS0_19identity_decomposerEEEEE10hipError_tT0_T1_T2_jT3_P12ihipStream_tbPNSt15iterator_traitsISK_E10value_typeEPNSQ_ISL_E10value_typeEPSM_NS1_7vsmem_tEENKUlT_SK_SL_SM_E_clIPiSE_SF_SF_EESJ_SZ_SK_SL_SM_EUlSZ_E0_NS1_11comp_targetILNS1_3genE2ELNS1_11target_archE906ELNS1_3gpuE6ELNS1_3repE0EEENS1_38merge_mergepath_config_static_selectorELNS0_4arch9wavefront6targetE1EEEvSL_
; %bb.0:
	.section	.rodata,"a",@progbits
	.p2align	6, 0x0
	.amdhsa_kernel _ZN7rocprim17ROCPRIM_400000_NS6detail17trampoline_kernelINS0_14default_configENS1_38merge_sort_block_merge_config_selectorIiNS0_10empty_typeEEEZZNS1_27merge_sort_block_merge_implIS3_N6thrust23THRUST_200600_302600_NS6detail15normal_iteratorINS9_10device_ptrIiEEEEPS5_jNS1_19radix_merge_compareILb0ELb0EiNS0_19identity_decomposerEEEEE10hipError_tT0_T1_T2_jT3_P12ihipStream_tbPNSt15iterator_traitsISK_E10value_typeEPNSQ_ISL_E10value_typeEPSM_NS1_7vsmem_tEENKUlT_SK_SL_SM_E_clIPiSE_SF_SF_EESJ_SZ_SK_SL_SM_EUlSZ_E0_NS1_11comp_targetILNS1_3genE2ELNS1_11target_archE906ELNS1_3gpuE6ELNS1_3repE0EEENS1_38merge_mergepath_config_static_selectorELNS0_4arch9wavefront6targetE1EEEvSL_
		.amdhsa_group_segment_fixed_size 0
		.amdhsa_private_segment_fixed_size 0
		.amdhsa_kernarg_size 64
		.amdhsa_user_sgpr_count 2
		.amdhsa_user_sgpr_dispatch_ptr 0
		.amdhsa_user_sgpr_queue_ptr 0
		.amdhsa_user_sgpr_kernarg_segment_ptr 1
		.amdhsa_user_sgpr_dispatch_id 0
		.amdhsa_user_sgpr_kernarg_preload_length 0
		.amdhsa_user_sgpr_kernarg_preload_offset 0
		.amdhsa_user_sgpr_private_segment_size 0
		.amdhsa_uses_dynamic_stack 0
		.amdhsa_enable_private_segment 0
		.amdhsa_system_sgpr_workgroup_id_x 1
		.amdhsa_system_sgpr_workgroup_id_y 0
		.amdhsa_system_sgpr_workgroup_id_z 0
		.amdhsa_system_sgpr_workgroup_info 0
		.amdhsa_system_vgpr_workitem_id 0
		.amdhsa_next_free_vgpr 1
		.amdhsa_next_free_sgpr 0
		.amdhsa_accum_offset 4
		.amdhsa_reserve_vcc 0
		.amdhsa_float_round_mode_32 0
		.amdhsa_float_round_mode_16_64 0
		.amdhsa_float_denorm_mode_32 3
		.amdhsa_float_denorm_mode_16_64 3
		.amdhsa_dx10_clamp 1
		.amdhsa_ieee_mode 1
		.amdhsa_fp16_overflow 0
		.amdhsa_tg_split 0
		.amdhsa_exception_fp_ieee_invalid_op 0
		.amdhsa_exception_fp_denorm_src 0
		.amdhsa_exception_fp_ieee_div_zero 0
		.amdhsa_exception_fp_ieee_overflow 0
		.amdhsa_exception_fp_ieee_underflow 0
		.amdhsa_exception_fp_ieee_inexact 0
		.amdhsa_exception_int_div_zero 0
	.end_amdhsa_kernel
	.section	.text._ZN7rocprim17ROCPRIM_400000_NS6detail17trampoline_kernelINS0_14default_configENS1_38merge_sort_block_merge_config_selectorIiNS0_10empty_typeEEEZZNS1_27merge_sort_block_merge_implIS3_N6thrust23THRUST_200600_302600_NS6detail15normal_iteratorINS9_10device_ptrIiEEEEPS5_jNS1_19radix_merge_compareILb0ELb0EiNS0_19identity_decomposerEEEEE10hipError_tT0_T1_T2_jT3_P12ihipStream_tbPNSt15iterator_traitsISK_E10value_typeEPNSQ_ISL_E10value_typeEPSM_NS1_7vsmem_tEENKUlT_SK_SL_SM_E_clIPiSE_SF_SF_EESJ_SZ_SK_SL_SM_EUlSZ_E0_NS1_11comp_targetILNS1_3genE2ELNS1_11target_archE906ELNS1_3gpuE6ELNS1_3repE0EEENS1_38merge_mergepath_config_static_selectorELNS0_4arch9wavefront6targetE1EEEvSL_,"axG",@progbits,_ZN7rocprim17ROCPRIM_400000_NS6detail17trampoline_kernelINS0_14default_configENS1_38merge_sort_block_merge_config_selectorIiNS0_10empty_typeEEEZZNS1_27merge_sort_block_merge_implIS3_N6thrust23THRUST_200600_302600_NS6detail15normal_iteratorINS9_10device_ptrIiEEEEPS5_jNS1_19radix_merge_compareILb0ELb0EiNS0_19identity_decomposerEEEEE10hipError_tT0_T1_T2_jT3_P12ihipStream_tbPNSt15iterator_traitsISK_E10value_typeEPNSQ_ISL_E10value_typeEPSM_NS1_7vsmem_tEENKUlT_SK_SL_SM_E_clIPiSE_SF_SF_EESJ_SZ_SK_SL_SM_EUlSZ_E0_NS1_11comp_targetILNS1_3genE2ELNS1_11target_archE906ELNS1_3gpuE6ELNS1_3repE0EEENS1_38merge_mergepath_config_static_selectorELNS0_4arch9wavefront6targetE1EEEvSL_,comdat
.Lfunc_end1627:
	.size	_ZN7rocprim17ROCPRIM_400000_NS6detail17trampoline_kernelINS0_14default_configENS1_38merge_sort_block_merge_config_selectorIiNS0_10empty_typeEEEZZNS1_27merge_sort_block_merge_implIS3_N6thrust23THRUST_200600_302600_NS6detail15normal_iteratorINS9_10device_ptrIiEEEEPS5_jNS1_19radix_merge_compareILb0ELb0EiNS0_19identity_decomposerEEEEE10hipError_tT0_T1_T2_jT3_P12ihipStream_tbPNSt15iterator_traitsISK_E10value_typeEPNSQ_ISL_E10value_typeEPSM_NS1_7vsmem_tEENKUlT_SK_SL_SM_E_clIPiSE_SF_SF_EESJ_SZ_SK_SL_SM_EUlSZ_E0_NS1_11comp_targetILNS1_3genE2ELNS1_11target_archE906ELNS1_3gpuE6ELNS1_3repE0EEENS1_38merge_mergepath_config_static_selectorELNS0_4arch9wavefront6targetE1EEEvSL_, .Lfunc_end1627-_ZN7rocprim17ROCPRIM_400000_NS6detail17trampoline_kernelINS0_14default_configENS1_38merge_sort_block_merge_config_selectorIiNS0_10empty_typeEEEZZNS1_27merge_sort_block_merge_implIS3_N6thrust23THRUST_200600_302600_NS6detail15normal_iteratorINS9_10device_ptrIiEEEEPS5_jNS1_19radix_merge_compareILb0ELb0EiNS0_19identity_decomposerEEEEE10hipError_tT0_T1_T2_jT3_P12ihipStream_tbPNSt15iterator_traitsISK_E10value_typeEPNSQ_ISL_E10value_typeEPSM_NS1_7vsmem_tEENKUlT_SK_SL_SM_E_clIPiSE_SF_SF_EESJ_SZ_SK_SL_SM_EUlSZ_E0_NS1_11comp_targetILNS1_3genE2ELNS1_11target_archE906ELNS1_3gpuE6ELNS1_3repE0EEENS1_38merge_mergepath_config_static_selectorELNS0_4arch9wavefront6targetE1EEEvSL_
                                        ; -- End function
	.section	.AMDGPU.csdata,"",@progbits
; Kernel info:
; codeLenInByte = 0
; NumSgprs: 6
; NumVgprs: 0
; NumAgprs: 0
; TotalNumVgprs: 0
; ScratchSize: 0
; MemoryBound: 0
; FloatMode: 240
; IeeeMode: 1
; LDSByteSize: 0 bytes/workgroup (compile time only)
; SGPRBlocks: 0
; VGPRBlocks: 0
; NumSGPRsForWavesPerEU: 6
; NumVGPRsForWavesPerEU: 1
; AccumOffset: 4
; Occupancy: 8
; WaveLimiterHint : 0
; COMPUTE_PGM_RSRC2:SCRATCH_EN: 0
; COMPUTE_PGM_RSRC2:USER_SGPR: 2
; COMPUTE_PGM_RSRC2:TRAP_HANDLER: 0
; COMPUTE_PGM_RSRC2:TGID_X_EN: 1
; COMPUTE_PGM_RSRC2:TGID_Y_EN: 0
; COMPUTE_PGM_RSRC2:TGID_Z_EN: 0
; COMPUTE_PGM_RSRC2:TIDIG_COMP_CNT: 0
; COMPUTE_PGM_RSRC3_GFX90A:ACCUM_OFFSET: 0
; COMPUTE_PGM_RSRC3_GFX90A:TG_SPLIT: 0
	.section	.text._ZN7rocprim17ROCPRIM_400000_NS6detail17trampoline_kernelINS0_14default_configENS1_38merge_sort_block_merge_config_selectorIiNS0_10empty_typeEEEZZNS1_27merge_sort_block_merge_implIS3_N6thrust23THRUST_200600_302600_NS6detail15normal_iteratorINS9_10device_ptrIiEEEEPS5_jNS1_19radix_merge_compareILb0ELb0EiNS0_19identity_decomposerEEEEE10hipError_tT0_T1_T2_jT3_P12ihipStream_tbPNSt15iterator_traitsISK_E10value_typeEPNSQ_ISL_E10value_typeEPSM_NS1_7vsmem_tEENKUlT_SK_SL_SM_E_clIPiSE_SF_SF_EESJ_SZ_SK_SL_SM_EUlSZ_E0_NS1_11comp_targetILNS1_3genE9ELNS1_11target_archE1100ELNS1_3gpuE3ELNS1_3repE0EEENS1_38merge_mergepath_config_static_selectorELNS0_4arch9wavefront6targetE1EEEvSL_,"axG",@progbits,_ZN7rocprim17ROCPRIM_400000_NS6detail17trampoline_kernelINS0_14default_configENS1_38merge_sort_block_merge_config_selectorIiNS0_10empty_typeEEEZZNS1_27merge_sort_block_merge_implIS3_N6thrust23THRUST_200600_302600_NS6detail15normal_iteratorINS9_10device_ptrIiEEEEPS5_jNS1_19radix_merge_compareILb0ELb0EiNS0_19identity_decomposerEEEEE10hipError_tT0_T1_T2_jT3_P12ihipStream_tbPNSt15iterator_traitsISK_E10value_typeEPNSQ_ISL_E10value_typeEPSM_NS1_7vsmem_tEENKUlT_SK_SL_SM_E_clIPiSE_SF_SF_EESJ_SZ_SK_SL_SM_EUlSZ_E0_NS1_11comp_targetILNS1_3genE9ELNS1_11target_archE1100ELNS1_3gpuE3ELNS1_3repE0EEENS1_38merge_mergepath_config_static_selectorELNS0_4arch9wavefront6targetE1EEEvSL_,comdat
	.protected	_ZN7rocprim17ROCPRIM_400000_NS6detail17trampoline_kernelINS0_14default_configENS1_38merge_sort_block_merge_config_selectorIiNS0_10empty_typeEEEZZNS1_27merge_sort_block_merge_implIS3_N6thrust23THRUST_200600_302600_NS6detail15normal_iteratorINS9_10device_ptrIiEEEEPS5_jNS1_19radix_merge_compareILb0ELb0EiNS0_19identity_decomposerEEEEE10hipError_tT0_T1_T2_jT3_P12ihipStream_tbPNSt15iterator_traitsISK_E10value_typeEPNSQ_ISL_E10value_typeEPSM_NS1_7vsmem_tEENKUlT_SK_SL_SM_E_clIPiSE_SF_SF_EESJ_SZ_SK_SL_SM_EUlSZ_E0_NS1_11comp_targetILNS1_3genE9ELNS1_11target_archE1100ELNS1_3gpuE3ELNS1_3repE0EEENS1_38merge_mergepath_config_static_selectorELNS0_4arch9wavefront6targetE1EEEvSL_ ; -- Begin function _ZN7rocprim17ROCPRIM_400000_NS6detail17trampoline_kernelINS0_14default_configENS1_38merge_sort_block_merge_config_selectorIiNS0_10empty_typeEEEZZNS1_27merge_sort_block_merge_implIS3_N6thrust23THRUST_200600_302600_NS6detail15normal_iteratorINS9_10device_ptrIiEEEEPS5_jNS1_19radix_merge_compareILb0ELb0EiNS0_19identity_decomposerEEEEE10hipError_tT0_T1_T2_jT3_P12ihipStream_tbPNSt15iterator_traitsISK_E10value_typeEPNSQ_ISL_E10value_typeEPSM_NS1_7vsmem_tEENKUlT_SK_SL_SM_E_clIPiSE_SF_SF_EESJ_SZ_SK_SL_SM_EUlSZ_E0_NS1_11comp_targetILNS1_3genE9ELNS1_11target_archE1100ELNS1_3gpuE3ELNS1_3repE0EEENS1_38merge_mergepath_config_static_selectorELNS0_4arch9wavefront6targetE1EEEvSL_
	.globl	_ZN7rocprim17ROCPRIM_400000_NS6detail17trampoline_kernelINS0_14default_configENS1_38merge_sort_block_merge_config_selectorIiNS0_10empty_typeEEEZZNS1_27merge_sort_block_merge_implIS3_N6thrust23THRUST_200600_302600_NS6detail15normal_iteratorINS9_10device_ptrIiEEEEPS5_jNS1_19radix_merge_compareILb0ELb0EiNS0_19identity_decomposerEEEEE10hipError_tT0_T1_T2_jT3_P12ihipStream_tbPNSt15iterator_traitsISK_E10value_typeEPNSQ_ISL_E10value_typeEPSM_NS1_7vsmem_tEENKUlT_SK_SL_SM_E_clIPiSE_SF_SF_EESJ_SZ_SK_SL_SM_EUlSZ_E0_NS1_11comp_targetILNS1_3genE9ELNS1_11target_archE1100ELNS1_3gpuE3ELNS1_3repE0EEENS1_38merge_mergepath_config_static_selectorELNS0_4arch9wavefront6targetE1EEEvSL_
	.p2align	8
	.type	_ZN7rocprim17ROCPRIM_400000_NS6detail17trampoline_kernelINS0_14default_configENS1_38merge_sort_block_merge_config_selectorIiNS0_10empty_typeEEEZZNS1_27merge_sort_block_merge_implIS3_N6thrust23THRUST_200600_302600_NS6detail15normal_iteratorINS9_10device_ptrIiEEEEPS5_jNS1_19radix_merge_compareILb0ELb0EiNS0_19identity_decomposerEEEEE10hipError_tT0_T1_T2_jT3_P12ihipStream_tbPNSt15iterator_traitsISK_E10value_typeEPNSQ_ISL_E10value_typeEPSM_NS1_7vsmem_tEENKUlT_SK_SL_SM_E_clIPiSE_SF_SF_EESJ_SZ_SK_SL_SM_EUlSZ_E0_NS1_11comp_targetILNS1_3genE9ELNS1_11target_archE1100ELNS1_3gpuE3ELNS1_3repE0EEENS1_38merge_mergepath_config_static_selectorELNS0_4arch9wavefront6targetE1EEEvSL_,@function
_ZN7rocprim17ROCPRIM_400000_NS6detail17trampoline_kernelINS0_14default_configENS1_38merge_sort_block_merge_config_selectorIiNS0_10empty_typeEEEZZNS1_27merge_sort_block_merge_implIS3_N6thrust23THRUST_200600_302600_NS6detail15normal_iteratorINS9_10device_ptrIiEEEEPS5_jNS1_19radix_merge_compareILb0ELb0EiNS0_19identity_decomposerEEEEE10hipError_tT0_T1_T2_jT3_P12ihipStream_tbPNSt15iterator_traitsISK_E10value_typeEPNSQ_ISL_E10value_typeEPSM_NS1_7vsmem_tEENKUlT_SK_SL_SM_E_clIPiSE_SF_SF_EESJ_SZ_SK_SL_SM_EUlSZ_E0_NS1_11comp_targetILNS1_3genE9ELNS1_11target_archE1100ELNS1_3gpuE3ELNS1_3repE0EEENS1_38merge_mergepath_config_static_selectorELNS0_4arch9wavefront6targetE1EEEvSL_: ; @_ZN7rocprim17ROCPRIM_400000_NS6detail17trampoline_kernelINS0_14default_configENS1_38merge_sort_block_merge_config_selectorIiNS0_10empty_typeEEEZZNS1_27merge_sort_block_merge_implIS3_N6thrust23THRUST_200600_302600_NS6detail15normal_iteratorINS9_10device_ptrIiEEEEPS5_jNS1_19radix_merge_compareILb0ELb0EiNS0_19identity_decomposerEEEEE10hipError_tT0_T1_T2_jT3_P12ihipStream_tbPNSt15iterator_traitsISK_E10value_typeEPNSQ_ISL_E10value_typeEPSM_NS1_7vsmem_tEENKUlT_SK_SL_SM_E_clIPiSE_SF_SF_EESJ_SZ_SK_SL_SM_EUlSZ_E0_NS1_11comp_targetILNS1_3genE9ELNS1_11target_archE1100ELNS1_3gpuE3ELNS1_3repE0EEENS1_38merge_mergepath_config_static_selectorELNS0_4arch9wavefront6targetE1EEEvSL_
; %bb.0:
	.section	.rodata,"a",@progbits
	.p2align	6, 0x0
	.amdhsa_kernel _ZN7rocprim17ROCPRIM_400000_NS6detail17trampoline_kernelINS0_14default_configENS1_38merge_sort_block_merge_config_selectorIiNS0_10empty_typeEEEZZNS1_27merge_sort_block_merge_implIS3_N6thrust23THRUST_200600_302600_NS6detail15normal_iteratorINS9_10device_ptrIiEEEEPS5_jNS1_19radix_merge_compareILb0ELb0EiNS0_19identity_decomposerEEEEE10hipError_tT0_T1_T2_jT3_P12ihipStream_tbPNSt15iterator_traitsISK_E10value_typeEPNSQ_ISL_E10value_typeEPSM_NS1_7vsmem_tEENKUlT_SK_SL_SM_E_clIPiSE_SF_SF_EESJ_SZ_SK_SL_SM_EUlSZ_E0_NS1_11comp_targetILNS1_3genE9ELNS1_11target_archE1100ELNS1_3gpuE3ELNS1_3repE0EEENS1_38merge_mergepath_config_static_selectorELNS0_4arch9wavefront6targetE1EEEvSL_
		.amdhsa_group_segment_fixed_size 0
		.amdhsa_private_segment_fixed_size 0
		.amdhsa_kernarg_size 64
		.amdhsa_user_sgpr_count 2
		.amdhsa_user_sgpr_dispatch_ptr 0
		.amdhsa_user_sgpr_queue_ptr 0
		.amdhsa_user_sgpr_kernarg_segment_ptr 1
		.amdhsa_user_sgpr_dispatch_id 0
		.amdhsa_user_sgpr_kernarg_preload_length 0
		.amdhsa_user_sgpr_kernarg_preload_offset 0
		.amdhsa_user_sgpr_private_segment_size 0
		.amdhsa_uses_dynamic_stack 0
		.amdhsa_enable_private_segment 0
		.amdhsa_system_sgpr_workgroup_id_x 1
		.amdhsa_system_sgpr_workgroup_id_y 0
		.amdhsa_system_sgpr_workgroup_id_z 0
		.amdhsa_system_sgpr_workgroup_info 0
		.amdhsa_system_vgpr_workitem_id 0
		.amdhsa_next_free_vgpr 1
		.amdhsa_next_free_sgpr 0
		.amdhsa_accum_offset 4
		.amdhsa_reserve_vcc 0
		.amdhsa_float_round_mode_32 0
		.amdhsa_float_round_mode_16_64 0
		.amdhsa_float_denorm_mode_32 3
		.amdhsa_float_denorm_mode_16_64 3
		.amdhsa_dx10_clamp 1
		.amdhsa_ieee_mode 1
		.amdhsa_fp16_overflow 0
		.amdhsa_tg_split 0
		.amdhsa_exception_fp_ieee_invalid_op 0
		.amdhsa_exception_fp_denorm_src 0
		.amdhsa_exception_fp_ieee_div_zero 0
		.amdhsa_exception_fp_ieee_overflow 0
		.amdhsa_exception_fp_ieee_underflow 0
		.amdhsa_exception_fp_ieee_inexact 0
		.amdhsa_exception_int_div_zero 0
	.end_amdhsa_kernel
	.section	.text._ZN7rocprim17ROCPRIM_400000_NS6detail17trampoline_kernelINS0_14default_configENS1_38merge_sort_block_merge_config_selectorIiNS0_10empty_typeEEEZZNS1_27merge_sort_block_merge_implIS3_N6thrust23THRUST_200600_302600_NS6detail15normal_iteratorINS9_10device_ptrIiEEEEPS5_jNS1_19radix_merge_compareILb0ELb0EiNS0_19identity_decomposerEEEEE10hipError_tT0_T1_T2_jT3_P12ihipStream_tbPNSt15iterator_traitsISK_E10value_typeEPNSQ_ISL_E10value_typeEPSM_NS1_7vsmem_tEENKUlT_SK_SL_SM_E_clIPiSE_SF_SF_EESJ_SZ_SK_SL_SM_EUlSZ_E0_NS1_11comp_targetILNS1_3genE9ELNS1_11target_archE1100ELNS1_3gpuE3ELNS1_3repE0EEENS1_38merge_mergepath_config_static_selectorELNS0_4arch9wavefront6targetE1EEEvSL_,"axG",@progbits,_ZN7rocprim17ROCPRIM_400000_NS6detail17trampoline_kernelINS0_14default_configENS1_38merge_sort_block_merge_config_selectorIiNS0_10empty_typeEEEZZNS1_27merge_sort_block_merge_implIS3_N6thrust23THRUST_200600_302600_NS6detail15normal_iteratorINS9_10device_ptrIiEEEEPS5_jNS1_19radix_merge_compareILb0ELb0EiNS0_19identity_decomposerEEEEE10hipError_tT0_T1_T2_jT3_P12ihipStream_tbPNSt15iterator_traitsISK_E10value_typeEPNSQ_ISL_E10value_typeEPSM_NS1_7vsmem_tEENKUlT_SK_SL_SM_E_clIPiSE_SF_SF_EESJ_SZ_SK_SL_SM_EUlSZ_E0_NS1_11comp_targetILNS1_3genE9ELNS1_11target_archE1100ELNS1_3gpuE3ELNS1_3repE0EEENS1_38merge_mergepath_config_static_selectorELNS0_4arch9wavefront6targetE1EEEvSL_,comdat
.Lfunc_end1628:
	.size	_ZN7rocprim17ROCPRIM_400000_NS6detail17trampoline_kernelINS0_14default_configENS1_38merge_sort_block_merge_config_selectorIiNS0_10empty_typeEEEZZNS1_27merge_sort_block_merge_implIS3_N6thrust23THRUST_200600_302600_NS6detail15normal_iteratorINS9_10device_ptrIiEEEEPS5_jNS1_19radix_merge_compareILb0ELb0EiNS0_19identity_decomposerEEEEE10hipError_tT0_T1_T2_jT3_P12ihipStream_tbPNSt15iterator_traitsISK_E10value_typeEPNSQ_ISL_E10value_typeEPSM_NS1_7vsmem_tEENKUlT_SK_SL_SM_E_clIPiSE_SF_SF_EESJ_SZ_SK_SL_SM_EUlSZ_E0_NS1_11comp_targetILNS1_3genE9ELNS1_11target_archE1100ELNS1_3gpuE3ELNS1_3repE0EEENS1_38merge_mergepath_config_static_selectorELNS0_4arch9wavefront6targetE1EEEvSL_, .Lfunc_end1628-_ZN7rocprim17ROCPRIM_400000_NS6detail17trampoline_kernelINS0_14default_configENS1_38merge_sort_block_merge_config_selectorIiNS0_10empty_typeEEEZZNS1_27merge_sort_block_merge_implIS3_N6thrust23THRUST_200600_302600_NS6detail15normal_iteratorINS9_10device_ptrIiEEEEPS5_jNS1_19radix_merge_compareILb0ELb0EiNS0_19identity_decomposerEEEEE10hipError_tT0_T1_T2_jT3_P12ihipStream_tbPNSt15iterator_traitsISK_E10value_typeEPNSQ_ISL_E10value_typeEPSM_NS1_7vsmem_tEENKUlT_SK_SL_SM_E_clIPiSE_SF_SF_EESJ_SZ_SK_SL_SM_EUlSZ_E0_NS1_11comp_targetILNS1_3genE9ELNS1_11target_archE1100ELNS1_3gpuE3ELNS1_3repE0EEENS1_38merge_mergepath_config_static_selectorELNS0_4arch9wavefront6targetE1EEEvSL_
                                        ; -- End function
	.section	.AMDGPU.csdata,"",@progbits
; Kernel info:
; codeLenInByte = 0
; NumSgprs: 6
; NumVgprs: 0
; NumAgprs: 0
; TotalNumVgprs: 0
; ScratchSize: 0
; MemoryBound: 0
; FloatMode: 240
; IeeeMode: 1
; LDSByteSize: 0 bytes/workgroup (compile time only)
; SGPRBlocks: 0
; VGPRBlocks: 0
; NumSGPRsForWavesPerEU: 6
; NumVGPRsForWavesPerEU: 1
; AccumOffset: 4
; Occupancy: 8
; WaveLimiterHint : 0
; COMPUTE_PGM_RSRC2:SCRATCH_EN: 0
; COMPUTE_PGM_RSRC2:USER_SGPR: 2
; COMPUTE_PGM_RSRC2:TRAP_HANDLER: 0
; COMPUTE_PGM_RSRC2:TGID_X_EN: 1
; COMPUTE_PGM_RSRC2:TGID_Y_EN: 0
; COMPUTE_PGM_RSRC2:TGID_Z_EN: 0
; COMPUTE_PGM_RSRC2:TIDIG_COMP_CNT: 0
; COMPUTE_PGM_RSRC3_GFX90A:ACCUM_OFFSET: 0
; COMPUTE_PGM_RSRC3_GFX90A:TG_SPLIT: 0
	.section	.text._ZN7rocprim17ROCPRIM_400000_NS6detail17trampoline_kernelINS0_14default_configENS1_38merge_sort_block_merge_config_selectorIiNS0_10empty_typeEEEZZNS1_27merge_sort_block_merge_implIS3_N6thrust23THRUST_200600_302600_NS6detail15normal_iteratorINS9_10device_ptrIiEEEEPS5_jNS1_19radix_merge_compareILb0ELb0EiNS0_19identity_decomposerEEEEE10hipError_tT0_T1_T2_jT3_P12ihipStream_tbPNSt15iterator_traitsISK_E10value_typeEPNSQ_ISL_E10value_typeEPSM_NS1_7vsmem_tEENKUlT_SK_SL_SM_E_clIPiSE_SF_SF_EESJ_SZ_SK_SL_SM_EUlSZ_E0_NS1_11comp_targetILNS1_3genE8ELNS1_11target_archE1030ELNS1_3gpuE2ELNS1_3repE0EEENS1_38merge_mergepath_config_static_selectorELNS0_4arch9wavefront6targetE1EEEvSL_,"axG",@progbits,_ZN7rocprim17ROCPRIM_400000_NS6detail17trampoline_kernelINS0_14default_configENS1_38merge_sort_block_merge_config_selectorIiNS0_10empty_typeEEEZZNS1_27merge_sort_block_merge_implIS3_N6thrust23THRUST_200600_302600_NS6detail15normal_iteratorINS9_10device_ptrIiEEEEPS5_jNS1_19radix_merge_compareILb0ELb0EiNS0_19identity_decomposerEEEEE10hipError_tT0_T1_T2_jT3_P12ihipStream_tbPNSt15iterator_traitsISK_E10value_typeEPNSQ_ISL_E10value_typeEPSM_NS1_7vsmem_tEENKUlT_SK_SL_SM_E_clIPiSE_SF_SF_EESJ_SZ_SK_SL_SM_EUlSZ_E0_NS1_11comp_targetILNS1_3genE8ELNS1_11target_archE1030ELNS1_3gpuE2ELNS1_3repE0EEENS1_38merge_mergepath_config_static_selectorELNS0_4arch9wavefront6targetE1EEEvSL_,comdat
	.protected	_ZN7rocprim17ROCPRIM_400000_NS6detail17trampoline_kernelINS0_14default_configENS1_38merge_sort_block_merge_config_selectorIiNS0_10empty_typeEEEZZNS1_27merge_sort_block_merge_implIS3_N6thrust23THRUST_200600_302600_NS6detail15normal_iteratorINS9_10device_ptrIiEEEEPS5_jNS1_19radix_merge_compareILb0ELb0EiNS0_19identity_decomposerEEEEE10hipError_tT0_T1_T2_jT3_P12ihipStream_tbPNSt15iterator_traitsISK_E10value_typeEPNSQ_ISL_E10value_typeEPSM_NS1_7vsmem_tEENKUlT_SK_SL_SM_E_clIPiSE_SF_SF_EESJ_SZ_SK_SL_SM_EUlSZ_E0_NS1_11comp_targetILNS1_3genE8ELNS1_11target_archE1030ELNS1_3gpuE2ELNS1_3repE0EEENS1_38merge_mergepath_config_static_selectorELNS0_4arch9wavefront6targetE1EEEvSL_ ; -- Begin function _ZN7rocprim17ROCPRIM_400000_NS6detail17trampoline_kernelINS0_14default_configENS1_38merge_sort_block_merge_config_selectorIiNS0_10empty_typeEEEZZNS1_27merge_sort_block_merge_implIS3_N6thrust23THRUST_200600_302600_NS6detail15normal_iteratorINS9_10device_ptrIiEEEEPS5_jNS1_19radix_merge_compareILb0ELb0EiNS0_19identity_decomposerEEEEE10hipError_tT0_T1_T2_jT3_P12ihipStream_tbPNSt15iterator_traitsISK_E10value_typeEPNSQ_ISL_E10value_typeEPSM_NS1_7vsmem_tEENKUlT_SK_SL_SM_E_clIPiSE_SF_SF_EESJ_SZ_SK_SL_SM_EUlSZ_E0_NS1_11comp_targetILNS1_3genE8ELNS1_11target_archE1030ELNS1_3gpuE2ELNS1_3repE0EEENS1_38merge_mergepath_config_static_selectorELNS0_4arch9wavefront6targetE1EEEvSL_
	.globl	_ZN7rocprim17ROCPRIM_400000_NS6detail17trampoline_kernelINS0_14default_configENS1_38merge_sort_block_merge_config_selectorIiNS0_10empty_typeEEEZZNS1_27merge_sort_block_merge_implIS3_N6thrust23THRUST_200600_302600_NS6detail15normal_iteratorINS9_10device_ptrIiEEEEPS5_jNS1_19radix_merge_compareILb0ELb0EiNS0_19identity_decomposerEEEEE10hipError_tT0_T1_T2_jT3_P12ihipStream_tbPNSt15iterator_traitsISK_E10value_typeEPNSQ_ISL_E10value_typeEPSM_NS1_7vsmem_tEENKUlT_SK_SL_SM_E_clIPiSE_SF_SF_EESJ_SZ_SK_SL_SM_EUlSZ_E0_NS1_11comp_targetILNS1_3genE8ELNS1_11target_archE1030ELNS1_3gpuE2ELNS1_3repE0EEENS1_38merge_mergepath_config_static_selectorELNS0_4arch9wavefront6targetE1EEEvSL_
	.p2align	8
	.type	_ZN7rocprim17ROCPRIM_400000_NS6detail17trampoline_kernelINS0_14default_configENS1_38merge_sort_block_merge_config_selectorIiNS0_10empty_typeEEEZZNS1_27merge_sort_block_merge_implIS3_N6thrust23THRUST_200600_302600_NS6detail15normal_iteratorINS9_10device_ptrIiEEEEPS5_jNS1_19radix_merge_compareILb0ELb0EiNS0_19identity_decomposerEEEEE10hipError_tT0_T1_T2_jT3_P12ihipStream_tbPNSt15iterator_traitsISK_E10value_typeEPNSQ_ISL_E10value_typeEPSM_NS1_7vsmem_tEENKUlT_SK_SL_SM_E_clIPiSE_SF_SF_EESJ_SZ_SK_SL_SM_EUlSZ_E0_NS1_11comp_targetILNS1_3genE8ELNS1_11target_archE1030ELNS1_3gpuE2ELNS1_3repE0EEENS1_38merge_mergepath_config_static_selectorELNS0_4arch9wavefront6targetE1EEEvSL_,@function
_ZN7rocprim17ROCPRIM_400000_NS6detail17trampoline_kernelINS0_14default_configENS1_38merge_sort_block_merge_config_selectorIiNS0_10empty_typeEEEZZNS1_27merge_sort_block_merge_implIS3_N6thrust23THRUST_200600_302600_NS6detail15normal_iteratorINS9_10device_ptrIiEEEEPS5_jNS1_19radix_merge_compareILb0ELb0EiNS0_19identity_decomposerEEEEE10hipError_tT0_T1_T2_jT3_P12ihipStream_tbPNSt15iterator_traitsISK_E10value_typeEPNSQ_ISL_E10value_typeEPSM_NS1_7vsmem_tEENKUlT_SK_SL_SM_E_clIPiSE_SF_SF_EESJ_SZ_SK_SL_SM_EUlSZ_E0_NS1_11comp_targetILNS1_3genE8ELNS1_11target_archE1030ELNS1_3gpuE2ELNS1_3repE0EEENS1_38merge_mergepath_config_static_selectorELNS0_4arch9wavefront6targetE1EEEvSL_: ; @_ZN7rocprim17ROCPRIM_400000_NS6detail17trampoline_kernelINS0_14default_configENS1_38merge_sort_block_merge_config_selectorIiNS0_10empty_typeEEEZZNS1_27merge_sort_block_merge_implIS3_N6thrust23THRUST_200600_302600_NS6detail15normal_iteratorINS9_10device_ptrIiEEEEPS5_jNS1_19radix_merge_compareILb0ELb0EiNS0_19identity_decomposerEEEEE10hipError_tT0_T1_T2_jT3_P12ihipStream_tbPNSt15iterator_traitsISK_E10value_typeEPNSQ_ISL_E10value_typeEPSM_NS1_7vsmem_tEENKUlT_SK_SL_SM_E_clIPiSE_SF_SF_EESJ_SZ_SK_SL_SM_EUlSZ_E0_NS1_11comp_targetILNS1_3genE8ELNS1_11target_archE1030ELNS1_3gpuE2ELNS1_3repE0EEENS1_38merge_mergepath_config_static_selectorELNS0_4arch9wavefront6targetE1EEEvSL_
; %bb.0:
	.section	.rodata,"a",@progbits
	.p2align	6, 0x0
	.amdhsa_kernel _ZN7rocprim17ROCPRIM_400000_NS6detail17trampoline_kernelINS0_14default_configENS1_38merge_sort_block_merge_config_selectorIiNS0_10empty_typeEEEZZNS1_27merge_sort_block_merge_implIS3_N6thrust23THRUST_200600_302600_NS6detail15normal_iteratorINS9_10device_ptrIiEEEEPS5_jNS1_19radix_merge_compareILb0ELb0EiNS0_19identity_decomposerEEEEE10hipError_tT0_T1_T2_jT3_P12ihipStream_tbPNSt15iterator_traitsISK_E10value_typeEPNSQ_ISL_E10value_typeEPSM_NS1_7vsmem_tEENKUlT_SK_SL_SM_E_clIPiSE_SF_SF_EESJ_SZ_SK_SL_SM_EUlSZ_E0_NS1_11comp_targetILNS1_3genE8ELNS1_11target_archE1030ELNS1_3gpuE2ELNS1_3repE0EEENS1_38merge_mergepath_config_static_selectorELNS0_4arch9wavefront6targetE1EEEvSL_
		.amdhsa_group_segment_fixed_size 0
		.amdhsa_private_segment_fixed_size 0
		.amdhsa_kernarg_size 64
		.amdhsa_user_sgpr_count 2
		.amdhsa_user_sgpr_dispatch_ptr 0
		.amdhsa_user_sgpr_queue_ptr 0
		.amdhsa_user_sgpr_kernarg_segment_ptr 1
		.amdhsa_user_sgpr_dispatch_id 0
		.amdhsa_user_sgpr_kernarg_preload_length 0
		.amdhsa_user_sgpr_kernarg_preload_offset 0
		.amdhsa_user_sgpr_private_segment_size 0
		.amdhsa_uses_dynamic_stack 0
		.amdhsa_enable_private_segment 0
		.amdhsa_system_sgpr_workgroup_id_x 1
		.amdhsa_system_sgpr_workgroup_id_y 0
		.amdhsa_system_sgpr_workgroup_id_z 0
		.amdhsa_system_sgpr_workgroup_info 0
		.amdhsa_system_vgpr_workitem_id 0
		.amdhsa_next_free_vgpr 1
		.amdhsa_next_free_sgpr 0
		.amdhsa_accum_offset 4
		.amdhsa_reserve_vcc 0
		.amdhsa_float_round_mode_32 0
		.amdhsa_float_round_mode_16_64 0
		.amdhsa_float_denorm_mode_32 3
		.amdhsa_float_denorm_mode_16_64 3
		.amdhsa_dx10_clamp 1
		.amdhsa_ieee_mode 1
		.amdhsa_fp16_overflow 0
		.amdhsa_tg_split 0
		.amdhsa_exception_fp_ieee_invalid_op 0
		.amdhsa_exception_fp_denorm_src 0
		.amdhsa_exception_fp_ieee_div_zero 0
		.amdhsa_exception_fp_ieee_overflow 0
		.amdhsa_exception_fp_ieee_underflow 0
		.amdhsa_exception_fp_ieee_inexact 0
		.amdhsa_exception_int_div_zero 0
	.end_amdhsa_kernel
	.section	.text._ZN7rocprim17ROCPRIM_400000_NS6detail17trampoline_kernelINS0_14default_configENS1_38merge_sort_block_merge_config_selectorIiNS0_10empty_typeEEEZZNS1_27merge_sort_block_merge_implIS3_N6thrust23THRUST_200600_302600_NS6detail15normal_iteratorINS9_10device_ptrIiEEEEPS5_jNS1_19radix_merge_compareILb0ELb0EiNS0_19identity_decomposerEEEEE10hipError_tT0_T1_T2_jT3_P12ihipStream_tbPNSt15iterator_traitsISK_E10value_typeEPNSQ_ISL_E10value_typeEPSM_NS1_7vsmem_tEENKUlT_SK_SL_SM_E_clIPiSE_SF_SF_EESJ_SZ_SK_SL_SM_EUlSZ_E0_NS1_11comp_targetILNS1_3genE8ELNS1_11target_archE1030ELNS1_3gpuE2ELNS1_3repE0EEENS1_38merge_mergepath_config_static_selectorELNS0_4arch9wavefront6targetE1EEEvSL_,"axG",@progbits,_ZN7rocprim17ROCPRIM_400000_NS6detail17trampoline_kernelINS0_14default_configENS1_38merge_sort_block_merge_config_selectorIiNS0_10empty_typeEEEZZNS1_27merge_sort_block_merge_implIS3_N6thrust23THRUST_200600_302600_NS6detail15normal_iteratorINS9_10device_ptrIiEEEEPS5_jNS1_19radix_merge_compareILb0ELb0EiNS0_19identity_decomposerEEEEE10hipError_tT0_T1_T2_jT3_P12ihipStream_tbPNSt15iterator_traitsISK_E10value_typeEPNSQ_ISL_E10value_typeEPSM_NS1_7vsmem_tEENKUlT_SK_SL_SM_E_clIPiSE_SF_SF_EESJ_SZ_SK_SL_SM_EUlSZ_E0_NS1_11comp_targetILNS1_3genE8ELNS1_11target_archE1030ELNS1_3gpuE2ELNS1_3repE0EEENS1_38merge_mergepath_config_static_selectorELNS0_4arch9wavefront6targetE1EEEvSL_,comdat
.Lfunc_end1629:
	.size	_ZN7rocprim17ROCPRIM_400000_NS6detail17trampoline_kernelINS0_14default_configENS1_38merge_sort_block_merge_config_selectorIiNS0_10empty_typeEEEZZNS1_27merge_sort_block_merge_implIS3_N6thrust23THRUST_200600_302600_NS6detail15normal_iteratorINS9_10device_ptrIiEEEEPS5_jNS1_19radix_merge_compareILb0ELb0EiNS0_19identity_decomposerEEEEE10hipError_tT0_T1_T2_jT3_P12ihipStream_tbPNSt15iterator_traitsISK_E10value_typeEPNSQ_ISL_E10value_typeEPSM_NS1_7vsmem_tEENKUlT_SK_SL_SM_E_clIPiSE_SF_SF_EESJ_SZ_SK_SL_SM_EUlSZ_E0_NS1_11comp_targetILNS1_3genE8ELNS1_11target_archE1030ELNS1_3gpuE2ELNS1_3repE0EEENS1_38merge_mergepath_config_static_selectorELNS0_4arch9wavefront6targetE1EEEvSL_, .Lfunc_end1629-_ZN7rocprim17ROCPRIM_400000_NS6detail17trampoline_kernelINS0_14default_configENS1_38merge_sort_block_merge_config_selectorIiNS0_10empty_typeEEEZZNS1_27merge_sort_block_merge_implIS3_N6thrust23THRUST_200600_302600_NS6detail15normal_iteratorINS9_10device_ptrIiEEEEPS5_jNS1_19radix_merge_compareILb0ELb0EiNS0_19identity_decomposerEEEEE10hipError_tT0_T1_T2_jT3_P12ihipStream_tbPNSt15iterator_traitsISK_E10value_typeEPNSQ_ISL_E10value_typeEPSM_NS1_7vsmem_tEENKUlT_SK_SL_SM_E_clIPiSE_SF_SF_EESJ_SZ_SK_SL_SM_EUlSZ_E0_NS1_11comp_targetILNS1_3genE8ELNS1_11target_archE1030ELNS1_3gpuE2ELNS1_3repE0EEENS1_38merge_mergepath_config_static_selectorELNS0_4arch9wavefront6targetE1EEEvSL_
                                        ; -- End function
	.section	.AMDGPU.csdata,"",@progbits
; Kernel info:
; codeLenInByte = 0
; NumSgprs: 6
; NumVgprs: 0
; NumAgprs: 0
; TotalNumVgprs: 0
; ScratchSize: 0
; MemoryBound: 0
; FloatMode: 240
; IeeeMode: 1
; LDSByteSize: 0 bytes/workgroup (compile time only)
; SGPRBlocks: 0
; VGPRBlocks: 0
; NumSGPRsForWavesPerEU: 6
; NumVGPRsForWavesPerEU: 1
; AccumOffset: 4
; Occupancy: 8
; WaveLimiterHint : 0
; COMPUTE_PGM_RSRC2:SCRATCH_EN: 0
; COMPUTE_PGM_RSRC2:USER_SGPR: 2
; COMPUTE_PGM_RSRC2:TRAP_HANDLER: 0
; COMPUTE_PGM_RSRC2:TGID_X_EN: 1
; COMPUTE_PGM_RSRC2:TGID_Y_EN: 0
; COMPUTE_PGM_RSRC2:TGID_Z_EN: 0
; COMPUTE_PGM_RSRC2:TIDIG_COMP_CNT: 0
; COMPUTE_PGM_RSRC3_GFX90A:ACCUM_OFFSET: 0
; COMPUTE_PGM_RSRC3_GFX90A:TG_SPLIT: 0
	.section	.text._ZN7rocprim17ROCPRIM_400000_NS6detail17trampoline_kernelINS0_14default_configENS1_38merge_sort_block_merge_config_selectorIiNS0_10empty_typeEEEZZNS1_27merge_sort_block_merge_implIS3_N6thrust23THRUST_200600_302600_NS6detail15normal_iteratorINS9_10device_ptrIiEEEEPS5_jNS1_19radix_merge_compareILb0ELb0EiNS0_19identity_decomposerEEEEE10hipError_tT0_T1_T2_jT3_P12ihipStream_tbPNSt15iterator_traitsISK_E10value_typeEPNSQ_ISL_E10value_typeEPSM_NS1_7vsmem_tEENKUlT_SK_SL_SM_E_clIPiSE_SF_SF_EESJ_SZ_SK_SL_SM_EUlSZ_E1_NS1_11comp_targetILNS1_3genE0ELNS1_11target_archE4294967295ELNS1_3gpuE0ELNS1_3repE0EEENS1_36merge_oddeven_config_static_selectorELNS0_4arch9wavefront6targetE1EEEvSL_,"axG",@progbits,_ZN7rocprim17ROCPRIM_400000_NS6detail17trampoline_kernelINS0_14default_configENS1_38merge_sort_block_merge_config_selectorIiNS0_10empty_typeEEEZZNS1_27merge_sort_block_merge_implIS3_N6thrust23THRUST_200600_302600_NS6detail15normal_iteratorINS9_10device_ptrIiEEEEPS5_jNS1_19radix_merge_compareILb0ELb0EiNS0_19identity_decomposerEEEEE10hipError_tT0_T1_T2_jT3_P12ihipStream_tbPNSt15iterator_traitsISK_E10value_typeEPNSQ_ISL_E10value_typeEPSM_NS1_7vsmem_tEENKUlT_SK_SL_SM_E_clIPiSE_SF_SF_EESJ_SZ_SK_SL_SM_EUlSZ_E1_NS1_11comp_targetILNS1_3genE0ELNS1_11target_archE4294967295ELNS1_3gpuE0ELNS1_3repE0EEENS1_36merge_oddeven_config_static_selectorELNS0_4arch9wavefront6targetE1EEEvSL_,comdat
	.protected	_ZN7rocprim17ROCPRIM_400000_NS6detail17trampoline_kernelINS0_14default_configENS1_38merge_sort_block_merge_config_selectorIiNS0_10empty_typeEEEZZNS1_27merge_sort_block_merge_implIS3_N6thrust23THRUST_200600_302600_NS6detail15normal_iteratorINS9_10device_ptrIiEEEEPS5_jNS1_19radix_merge_compareILb0ELb0EiNS0_19identity_decomposerEEEEE10hipError_tT0_T1_T2_jT3_P12ihipStream_tbPNSt15iterator_traitsISK_E10value_typeEPNSQ_ISL_E10value_typeEPSM_NS1_7vsmem_tEENKUlT_SK_SL_SM_E_clIPiSE_SF_SF_EESJ_SZ_SK_SL_SM_EUlSZ_E1_NS1_11comp_targetILNS1_3genE0ELNS1_11target_archE4294967295ELNS1_3gpuE0ELNS1_3repE0EEENS1_36merge_oddeven_config_static_selectorELNS0_4arch9wavefront6targetE1EEEvSL_ ; -- Begin function _ZN7rocprim17ROCPRIM_400000_NS6detail17trampoline_kernelINS0_14default_configENS1_38merge_sort_block_merge_config_selectorIiNS0_10empty_typeEEEZZNS1_27merge_sort_block_merge_implIS3_N6thrust23THRUST_200600_302600_NS6detail15normal_iteratorINS9_10device_ptrIiEEEEPS5_jNS1_19radix_merge_compareILb0ELb0EiNS0_19identity_decomposerEEEEE10hipError_tT0_T1_T2_jT3_P12ihipStream_tbPNSt15iterator_traitsISK_E10value_typeEPNSQ_ISL_E10value_typeEPSM_NS1_7vsmem_tEENKUlT_SK_SL_SM_E_clIPiSE_SF_SF_EESJ_SZ_SK_SL_SM_EUlSZ_E1_NS1_11comp_targetILNS1_3genE0ELNS1_11target_archE4294967295ELNS1_3gpuE0ELNS1_3repE0EEENS1_36merge_oddeven_config_static_selectorELNS0_4arch9wavefront6targetE1EEEvSL_
	.globl	_ZN7rocprim17ROCPRIM_400000_NS6detail17trampoline_kernelINS0_14default_configENS1_38merge_sort_block_merge_config_selectorIiNS0_10empty_typeEEEZZNS1_27merge_sort_block_merge_implIS3_N6thrust23THRUST_200600_302600_NS6detail15normal_iteratorINS9_10device_ptrIiEEEEPS5_jNS1_19radix_merge_compareILb0ELb0EiNS0_19identity_decomposerEEEEE10hipError_tT0_T1_T2_jT3_P12ihipStream_tbPNSt15iterator_traitsISK_E10value_typeEPNSQ_ISL_E10value_typeEPSM_NS1_7vsmem_tEENKUlT_SK_SL_SM_E_clIPiSE_SF_SF_EESJ_SZ_SK_SL_SM_EUlSZ_E1_NS1_11comp_targetILNS1_3genE0ELNS1_11target_archE4294967295ELNS1_3gpuE0ELNS1_3repE0EEENS1_36merge_oddeven_config_static_selectorELNS0_4arch9wavefront6targetE1EEEvSL_
	.p2align	8
	.type	_ZN7rocprim17ROCPRIM_400000_NS6detail17trampoline_kernelINS0_14default_configENS1_38merge_sort_block_merge_config_selectorIiNS0_10empty_typeEEEZZNS1_27merge_sort_block_merge_implIS3_N6thrust23THRUST_200600_302600_NS6detail15normal_iteratorINS9_10device_ptrIiEEEEPS5_jNS1_19radix_merge_compareILb0ELb0EiNS0_19identity_decomposerEEEEE10hipError_tT0_T1_T2_jT3_P12ihipStream_tbPNSt15iterator_traitsISK_E10value_typeEPNSQ_ISL_E10value_typeEPSM_NS1_7vsmem_tEENKUlT_SK_SL_SM_E_clIPiSE_SF_SF_EESJ_SZ_SK_SL_SM_EUlSZ_E1_NS1_11comp_targetILNS1_3genE0ELNS1_11target_archE4294967295ELNS1_3gpuE0ELNS1_3repE0EEENS1_36merge_oddeven_config_static_selectorELNS0_4arch9wavefront6targetE1EEEvSL_,@function
_ZN7rocprim17ROCPRIM_400000_NS6detail17trampoline_kernelINS0_14default_configENS1_38merge_sort_block_merge_config_selectorIiNS0_10empty_typeEEEZZNS1_27merge_sort_block_merge_implIS3_N6thrust23THRUST_200600_302600_NS6detail15normal_iteratorINS9_10device_ptrIiEEEEPS5_jNS1_19radix_merge_compareILb0ELb0EiNS0_19identity_decomposerEEEEE10hipError_tT0_T1_T2_jT3_P12ihipStream_tbPNSt15iterator_traitsISK_E10value_typeEPNSQ_ISL_E10value_typeEPSM_NS1_7vsmem_tEENKUlT_SK_SL_SM_E_clIPiSE_SF_SF_EESJ_SZ_SK_SL_SM_EUlSZ_E1_NS1_11comp_targetILNS1_3genE0ELNS1_11target_archE4294967295ELNS1_3gpuE0ELNS1_3repE0EEENS1_36merge_oddeven_config_static_selectorELNS0_4arch9wavefront6targetE1EEEvSL_: ; @_ZN7rocprim17ROCPRIM_400000_NS6detail17trampoline_kernelINS0_14default_configENS1_38merge_sort_block_merge_config_selectorIiNS0_10empty_typeEEEZZNS1_27merge_sort_block_merge_implIS3_N6thrust23THRUST_200600_302600_NS6detail15normal_iteratorINS9_10device_ptrIiEEEEPS5_jNS1_19radix_merge_compareILb0ELb0EiNS0_19identity_decomposerEEEEE10hipError_tT0_T1_T2_jT3_P12ihipStream_tbPNSt15iterator_traitsISK_E10value_typeEPNSQ_ISL_E10value_typeEPSM_NS1_7vsmem_tEENKUlT_SK_SL_SM_E_clIPiSE_SF_SF_EESJ_SZ_SK_SL_SM_EUlSZ_E1_NS1_11comp_targetILNS1_3genE0ELNS1_11target_archE4294967295ELNS1_3gpuE0ELNS1_3repE0EEENS1_36merge_oddeven_config_static_selectorELNS0_4arch9wavefront6targetE1EEEvSL_
; %bb.0:
	.section	.rodata,"a",@progbits
	.p2align	6, 0x0
	.amdhsa_kernel _ZN7rocprim17ROCPRIM_400000_NS6detail17trampoline_kernelINS0_14default_configENS1_38merge_sort_block_merge_config_selectorIiNS0_10empty_typeEEEZZNS1_27merge_sort_block_merge_implIS3_N6thrust23THRUST_200600_302600_NS6detail15normal_iteratorINS9_10device_ptrIiEEEEPS5_jNS1_19radix_merge_compareILb0ELb0EiNS0_19identity_decomposerEEEEE10hipError_tT0_T1_T2_jT3_P12ihipStream_tbPNSt15iterator_traitsISK_E10value_typeEPNSQ_ISL_E10value_typeEPSM_NS1_7vsmem_tEENKUlT_SK_SL_SM_E_clIPiSE_SF_SF_EESJ_SZ_SK_SL_SM_EUlSZ_E1_NS1_11comp_targetILNS1_3genE0ELNS1_11target_archE4294967295ELNS1_3gpuE0ELNS1_3repE0EEENS1_36merge_oddeven_config_static_selectorELNS0_4arch9wavefront6targetE1EEEvSL_
		.amdhsa_group_segment_fixed_size 0
		.amdhsa_private_segment_fixed_size 0
		.amdhsa_kernarg_size 48
		.amdhsa_user_sgpr_count 2
		.amdhsa_user_sgpr_dispatch_ptr 0
		.amdhsa_user_sgpr_queue_ptr 0
		.amdhsa_user_sgpr_kernarg_segment_ptr 1
		.amdhsa_user_sgpr_dispatch_id 0
		.amdhsa_user_sgpr_kernarg_preload_length 0
		.amdhsa_user_sgpr_kernarg_preload_offset 0
		.amdhsa_user_sgpr_private_segment_size 0
		.amdhsa_uses_dynamic_stack 0
		.amdhsa_enable_private_segment 0
		.amdhsa_system_sgpr_workgroup_id_x 1
		.amdhsa_system_sgpr_workgroup_id_y 0
		.amdhsa_system_sgpr_workgroup_id_z 0
		.amdhsa_system_sgpr_workgroup_info 0
		.amdhsa_system_vgpr_workitem_id 0
		.amdhsa_next_free_vgpr 1
		.amdhsa_next_free_sgpr 0
		.amdhsa_accum_offset 4
		.amdhsa_reserve_vcc 0
		.amdhsa_float_round_mode_32 0
		.amdhsa_float_round_mode_16_64 0
		.amdhsa_float_denorm_mode_32 3
		.amdhsa_float_denorm_mode_16_64 3
		.amdhsa_dx10_clamp 1
		.amdhsa_ieee_mode 1
		.amdhsa_fp16_overflow 0
		.amdhsa_tg_split 0
		.amdhsa_exception_fp_ieee_invalid_op 0
		.amdhsa_exception_fp_denorm_src 0
		.amdhsa_exception_fp_ieee_div_zero 0
		.amdhsa_exception_fp_ieee_overflow 0
		.amdhsa_exception_fp_ieee_underflow 0
		.amdhsa_exception_fp_ieee_inexact 0
		.amdhsa_exception_int_div_zero 0
	.end_amdhsa_kernel
	.section	.text._ZN7rocprim17ROCPRIM_400000_NS6detail17trampoline_kernelINS0_14default_configENS1_38merge_sort_block_merge_config_selectorIiNS0_10empty_typeEEEZZNS1_27merge_sort_block_merge_implIS3_N6thrust23THRUST_200600_302600_NS6detail15normal_iteratorINS9_10device_ptrIiEEEEPS5_jNS1_19radix_merge_compareILb0ELb0EiNS0_19identity_decomposerEEEEE10hipError_tT0_T1_T2_jT3_P12ihipStream_tbPNSt15iterator_traitsISK_E10value_typeEPNSQ_ISL_E10value_typeEPSM_NS1_7vsmem_tEENKUlT_SK_SL_SM_E_clIPiSE_SF_SF_EESJ_SZ_SK_SL_SM_EUlSZ_E1_NS1_11comp_targetILNS1_3genE0ELNS1_11target_archE4294967295ELNS1_3gpuE0ELNS1_3repE0EEENS1_36merge_oddeven_config_static_selectorELNS0_4arch9wavefront6targetE1EEEvSL_,"axG",@progbits,_ZN7rocprim17ROCPRIM_400000_NS6detail17trampoline_kernelINS0_14default_configENS1_38merge_sort_block_merge_config_selectorIiNS0_10empty_typeEEEZZNS1_27merge_sort_block_merge_implIS3_N6thrust23THRUST_200600_302600_NS6detail15normal_iteratorINS9_10device_ptrIiEEEEPS5_jNS1_19radix_merge_compareILb0ELb0EiNS0_19identity_decomposerEEEEE10hipError_tT0_T1_T2_jT3_P12ihipStream_tbPNSt15iterator_traitsISK_E10value_typeEPNSQ_ISL_E10value_typeEPSM_NS1_7vsmem_tEENKUlT_SK_SL_SM_E_clIPiSE_SF_SF_EESJ_SZ_SK_SL_SM_EUlSZ_E1_NS1_11comp_targetILNS1_3genE0ELNS1_11target_archE4294967295ELNS1_3gpuE0ELNS1_3repE0EEENS1_36merge_oddeven_config_static_selectorELNS0_4arch9wavefront6targetE1EEEvSL_,comdat
.Lfunc_end1630:
	.size	_ZN7rocprim17ROCPRIM_400000_NS6detail17trampoline_kernelINS0_14default_configENS1_38merge_sort_block_merge_config_selectorIiNS0_10empty_typeEEEZZNS1_27merge_sort_block_merge_implIS3_N6thrust23THRUST_200600_302600_NS6detail15normal_iteratorINS9_10device_ptrIiEEEEPS5_jNS1_19radix_merge_compareILb0ELb0EiNS0_19identity_decomposerEEEEE10hipError_tT0_T1_T2_jT3_P12ihipStream_tbPNSt15iterator_traitsISK_E10value_typeEPNSQ_ISL_E10value_typeEPSM_NS1_7vsmem_tEENKUlT_SK_SL_SM_E_clIPiSE_SF_SF_EESJ_SZ_SK_SL_SM_EUlSZ_E1_NS1_11comp_targetILNS1_3genE0ELNS1_11target_archE4294967295ELNS1_3gpuE0ELNS1_3repE0EEENS1_36merge_oddeven_config_static_selectorELNS0_4arch9wavefront6targetE1EEEvSL_, .Lfunc_end1630-_ZN7rocprim17ROCPRIM_400000_NS6detail17trampoline_kernelINS0_14default_configENS1_38merge_sort_block_merge_config_selectorIiNS0_10empty_typeEEEZZNS1_27merge_sort_block_merge_implIS3_N6thrust23THRUST_200600_302600_NS6detail15normal_iteratorINS9_10device_ptrIiEEEEPS5_jNS1_19radix_merge_compareILb0ELb0EiNS0_19identity_decomposerEEEEE10hipError_tT0_T1_T2_jT3_P12ihipStream_tbPNSt15iterator_traitsISK_E10value_typeEPNSQ_ISL_E10value_typeEPSM_NS1_7vsmem_tEENKUlT_SK_SL_SM_E_clIPiSE_SF_SF_EESJ_SZ_SK_SL_SM_EUlSZ_E1_NS1_11comp_targetILNS1_3genE0ELNS1_11target_archE4294967295ELNS1_3gpuE0ELNS1_3repE0EEENS1_36merge_oddeven_config_static_selectorELNS0_4arch9wavefront6targetE1EEEvSL_
                                        ; -- End function
	.section	.AMDGPU.csdata,"",@progbits
; Kernel info:
; codeLenInByte = 0
; NumSgprs: 6
; NumVgprs: 0
; NumAgprs: 0
; TotalNumVgprs: 0
; ScratchSize: 0
; MemoryBound: 0
; FloatMode: 240
; IeeeMode: 1
; LDSByteSize: 0 bytes/workgroup (compile time only)
; SGPRBlocks: 0
; VGPRBlocks: 0
; NumSGPRsForWavesPerEU: 6
; NumVGPRsForWavesPerEU: 1
; AccumOffset: 4
; Occupancy: 8
; WaveLimiterHint : 0
; COMPUTE_PGM_RSRC2:SCRATCH_EN: 0
; COMPUTE_PGM_RSRC2:USER_SGPR: 2
; COMPUTE_PGM_RSRC2:TRAP_HANDLER: 0
; COMPUTE_PGM_RSRC2:TGID_X_EN: 1
; COMPUTE_PGM_RSRC2:TGID_Y_EN: 0
; COMPUTE_PGM_RSRC2:TGID_Z_EN: 0
; COMPUTE_PGM_RSRC2:TIDIG_COMP_CNT: 0
; COMPUTE_PGM_RSRC3_GFX90A:ACCUM_OFFSET: 0
; COMPUTE_PGM_RSRC3_GFX90A:TG_SPLIT: 0
	.section	.text._ZN7rocprim17ROCPRIM_400000_NS6detail17trampoline_kernelINS0_14default_configENS1_38merge_sort_block_merge_config_selectorIiNS0_10empty_typeEEEZZNS1_27merge_sort_block_merge_implIS3_N6thrust23THRUST_200600_302600_NS6detail15normal_iteratorINS9_10device_ptrIiEEEEPS5_jNS1_19radix_merge_compareILb0ELb0EiNS0_19identity_decomposerEEEEE10hipError_tT0_T1_T2_jT3_P12ihipStream_tbPNSt15iterator_traitsISK_E10value_typeEPNSQ_ISL_E10value_typeEPSM_NS1_7vsmem_tEENKUlT_SK_SL_SM_E_clIPiSE_SF_SF_EESJ_SZ_SK_SL_SM_EUlSZ_E1_NS1_11comp_targetILNS1_3genE10ELNS1_11target_archE1201ELNS1_3gpuE5ELNS1_3repE0EEENS1_36merge_oddeven_config_static_selectorELNS0_4arch9wavefront6targetE1EEEvSL_,"axG",@progbits,_ZN7rocprim17ROCPRIM_400000_NS6detail17trampoline_kernelINS0_14default_configENS1_38merge_sort_block_merge_config_selectorIiNS0_10empty_typeEEEZZNS1_27merge_sort_block_merge_implIS3_N6thrust23THRUST_200600_302600_NS6detail15normal_iteratorINS9_10device_ptrIiEEEEPS5_jNS1_19radix_merge_compareILb0ELb0EiNS0_19identity_decomposerEEEEE10hipError_tT0_T1_T2_jT3_P12ihipStream_tbPNSt15iterator_traitsISK_E10value_typeEPNSQ_ISL_E10value_typeEPSM_NS1_7vsmem_tEENKUlT_SK_SL_SM_E_clIPiSE_SF_SF_EESJ_SZ_SK_SL_SM_EUlSZ_E1_NS1_11comp_targetILNS1_3genE10ELNS1_11target_archE1201ELNS1_3gpuE5ELNS1_3repE0EEENS1_36merge_oddeven_config_static_selectorELNS0_4arch9wavefront6targetE1EEEvSL_,comdat
	.protected	_ZN7rocprim17ROCPRIM_400000_NS6detail17trampoline_kernelINS0_14default_configENS1_38merge_sort_block_merge_config_selectorIiNS0_10empty_typeEEEZZNS1_27merge_sort_block_merge_implIS3_N6thrust23THRUST_200600_302600_NS6detail15normal_iteratorINS9_10device_ptrIiEEEEPS5_jNS1_19radix_merge_compareILb0ELb0EiNS0_19identity_decomposerEEEEE10hipError_tT0_T1_T2_jT3_P12ihipStream_tbPNSt15iterator_traitsISK_E10value_typeEPNSQ_ISL_E10value_typeEPSM_NS1_7vsmem_tEENKUlT_SK_SL_SM_E_clIPiSE_SF_SF_EESJ_SZ_SK_SL_SM_EUlSZ_E1_NS1_11comp_targetILNS1_3genE10ELNS1_11target_archE1201ELNS1_3gpuE5ELNS1_3repE0EEENS1_36merge_oddeven_config_static_selectorELNS0_4arch9wavefront6targetE1EEEvSL_ ; -- Begin function _ZN7rocprim17ROCPRIM_400000_NS6detail17trampoline_kernelINS0_14default_configENS1_38merge_sort_block_merge_config_selectorIiNS0_10empty_typeEEEZZNS1_27merge_sort_block_merge_implIS3_N6thrust23THRUST_200600_302600_NS6detail15normal_iteratorINS9_10device_ptrIiEEEEPS5_jNS1_19radix_merge_compareILb0ELb0EiNS0_19identity_decomposerEEEEE10hipError_tT0_T1_T2_jT3_P12ihipStream_tbPNSt15iterator_traitsISK_E10value_typeEPNSQ_ISL_E10value_typeEPSM_NS1_7vsmem_tEENKUlT_SK_SL_SM_E_clIPiSE_SF_SF_EESJ_SZ_SK_SL_SM_EUlSZ_E1_NS1_11comp_targetILNS1_3genE10ELNS1_11target_archE1201ELNS1_3gpuE5ELNS1_3repE0EEENS1_36merge_oddeven_config_static_selectorELNS0_4arch9wavefront6targetE1EEEvSL_
	.globl	_ZN7rocprim17ROCPRIM_400000_NS6detail17trampoline_kernelINS0_14default_configENS1_38merge_sort_block_merge_config_selectorIiNS0_10empty_typeEEEZZNS1_27merge_sort_block_merge_implIS3_N6thrust23THRUST_200600_302600_NS6detail15normal_iteratorINS9_10device_ptrIiEEEEPS5_jNS1_19radix_merge_compareILb0ELb0EiNS0_19identity_decomposerEEEEE10hipError_tT0_T1_T2_jT3_P12ihipStream_tbPNSt15iterator_traitsISK_E10value_typeEPNSQ_ISL_E10value_typeEPSM_NS1_7vsmem_tEENKUlT_SK_SL_SM_E_clIPiSE_SF_SF_EESJ_SZ_SK_SL_SM_EUlSZ_E1_NS1_11comp_targetILNS1_3genE10ELNS1_11target_archE1201ELNS1_3gpuE5ELNS1_3repE0EEENS1_36merge_oddeven_config_static_selectorELNS0_4arch9wavefront6targetE1EEEvSL_
	.p2align	8
	.type	_ZN7rocprim17ROCPRIM_400000_NS6detail17trampoline_kernelINS0_14default_configENS1_38merge_sort_block_merge_config_selectorIiNS0_10empty_typeEEEZZNS1_27merge_sort_block_merge_implIS3_N6thrust23THRUST_200600_302600_NS6detail15normal_iteratorINS9_10device_ptrIiEEEEPS5_jNS1_19radix_merge_compareILb0ELb0EiNS0_19identity_decomposerEEEEE10hipError_tT0_T1_T2_jT3_P12ihipStream_tbPNSt15iterator_traitsISK_E10value_typeEPNSQ_ISL_E10value_typeEPSM_NS1_7vsmem_tEENKUlT_SK_SL_SM_E_clIPiSE_SF_SF_EESJ_SZ_SK_SL_SM_EUlSZ_E1_NS1_11comp_targetILNS1_3genE10ELNS1_11target_archE1201ELNS1_3gpuE5ELNS1_3repE0EEENS1_36merge_oddeven_config_static_selectorELNS0_4arch9wavefront6targetE1EEEvSL_,@function
_ZN7rocprim17ROCPRIM_400000_NS6detail17trampoline_kernelINS0_14default_configENS1_38merge_sort_block_merge_config_selectorIiNS0_10empty_typeEEEZZNS1_27merge_sort_block_merge_implIS3_N6thrust23THRUST_200600_302600_NS6detail15normal_iteratorINS9_10device_ptrIiEEEEPS5_jNS1_19radix_merge_compareILb0ELb0EiNS0_19identity_decomposerEEEEE10hipError_tT0_T1_T2_jT3_P12ihipStream_tbPNSt15iterator_traitsISK_E10value_typeEPNSQ_ISL_E10value_typeEPSM_NS1_7vsmem_tEENKUlT_SK_SL_SM_E_clIPiSE_SF_SF_EESJ_SZ_SK_SL_SM_EUlSZ_E1_NS1_11comp_targetILNS1_3genE10ELNS1_11target_archE1201ELNS1_3gpuE5ELNS1_3repE0EEENS1_36merge_oddeven_config_static_selectorELNS0_4arch9wavefront6targetE1EEEvSL_: ; @_ZN7rocprim17ROCPRIM_400000_NS6detail17trampoline_kernelINS0_14default_configENS1_38merge_sort_block_merge_config_selectorIiNS0_10empty_typeEEEZZNS1_27merge_sort_block_merge_implIS3_N6thrust23THRUST_200600_302600_NS6detail15normal_iteratorINS9_10device_ptrIiEEEEPS5_jNS1_19radix_merge_compareILb0ELb0EiNS0_19identity_decomposerEEEEE10hipError_tT0_T1_T2_jT3_P12ihipStream_tbPNSt15iterator_traitsISK_E10value_typeEPNSQ_ISL_E10value_typeEPSM_NS1_7vsmem_tEENKUlT_SK_SL_SM_E_clIPiSE_SF_SF_EESJ_SZ_SK_SL_SM_EUlSZ_E1_NS1_11comp_targetILNS1_3genE10ELNS1_11target_archE1201ELNS1_3gpuE5ELNS1_3repE0EEENS1_36merge_oddeven_config_static_selectorELNS0_4arch9wavefront6targetE1EEEvSL_
; %bb.0:
	.section	.rodata,"a",@progbits
	.p2align	6, 0x0
	.amdhsa_kernel _ZN7rocprim17ROCPRIM_400000_NS6detail17trampoline_kernelINS0_14default_configENS1_38merge_sort_block_merge_config_selectorIiNS0_10empty_typeEEEZZNS1_27merge_sort_block_merge_implIS3_N6thrust23THRUST_200600_302600_NS6detail15normal_iteratorINS9_10device_ptrIiEEEEPS5_jNS1_19radix_merge_compareILb0ELb0EiNS0_19identity_decomposerEEEEE10hipError_tT0_T1_T2_jT3_P12ihipStream_tbPNSt15iterator_traitsISK_E10value_typeEPNSQ_ISL_E10value_typeEPSM_NS1_7vsmem_tEENKUlT_SK_SL_SM_E_clIPiSE_SF_SF_EESJ_SZ_SK_SL_SM_EUlSZ_E1_NS1_11comp_targetILNS1_3genE10ELNS1_11target_archE1201ELNS1_3gpuE5ELNS1_3repE0EEENS1_36merge_oddeven_config_static_selectorELNS0_4arch9wavefront6targetE1EEEvSL_
		.amdhsa_group_segment_fixed_size 0
		.amdhsa_private_segment_fixed_size 0
		.amdhsa_kernarg_size 48
		.amdhsa_user_sgpr_count 2
		.amdhsa_user_sgpr_dispatch_ptr 0
		.amdhsa_user_sgpr_queue_ptr 0
		.amdhsa_user_sgpr_kernarg_segment_ptr 1
		.amdhsa_user_sgpr_dispatch_id 0
		.amdhsa_user_sgpr_kernarg_preload_length 0
		.amdhsa_user_sgpr_kernarg_preload_offset 0
		.amdhsa_user_sgpr_private_segment_size 0
		.amdhsa_uses_dynamic_stack 0
		.amdhsa_enable_private_segment 0
		.amdhsa_system_sgpr_workgroup_id_x 1
		.amdhsa_system_sgpr_workgroup_id_y 0
		.amdhsa_system_sgpr_workgroup_id_z 0
		.amdhsa_system_sgpr_workgroup_info 0
		.amdhsa_system_vgpr_workitem_id 0
		.amdhsa_next_free_vgpr 1
		.amdhsa_next_free_sgpr 0
		.amdhsa_accum_offset 4
		.amdhsa_reserve_vcc 0
		.amdhsa_float_round_mode_32 0
		.amdhsa_float_round_mode_16_64 0
		.amdhsa_float_denorm_mode_32 3
		.amdhsa_float_denorm_mode_16_64 3
		.amdhsa_dx10_clamp 1
		.amdhsa_ieee_mode 1
		.amdhsa_fp16_overflow 0
		.amdhsa_tg_split 0
		.amdhsa_exception_fp_ieee_invalid_op 0
		.amdhsa_exception_fp_denorm_src 0
		.amdhsa_exception_fp_ieee_div_zero 0
		.amdhsa_exception_fp_ieee_overflow 0
		.amdhsa_exception_fp_ieee_underflow 0
		.amdhsa_exception_fp_ieee_inexact 0
		.amdhsa_exception_int_div_zero 0
	.end_amdhsa_kernel
	.section	.text._ZN7rocprim17ROCPRIM_400000_NS6detail17trampoline_kernelINS0_14default_configENS1_38merge_sort_block_merge_config_selectorIiNS0_10empty_typeEEEZZNS1_27merge_sort_block_merge_implIS3_N6thrust23THRUST_200600_302600_NS6detail15normal_iteratorINS9_10device_ptrIiEEEEPS5_jNS1_19radix_merge_compareILb0ELb0EiNS0_19identity_decomposerEEEEE10hipError_tT0_T1_T2_jT3_P12ihipStream_tbPNSt15iterator_traitsISK_E10value_typeEPNSQ_ISL_E10value_typeEPSM_NS1_7vsmem_tEENKUlT_SK_SL_SM_E_clIPiSE_SF_SF_EESJ_SZ_SK_SL_SM_EUlSZ_E1_NS1_11comp_targetILNS1_3genE10ELNS1_11target_archE1201ELNS1_3gpuE5ELNS1_3repE0EEENS1_36merge_oddeven_config_static_selectorELNS0_4arch9wavefront6targetE1EEEvSL_,"axG",@progbits,_ZN7rocprim17ROCPRIM_400000_NS6detail17trampoline_kernelINS0_14default_configENS1_38merge_sort_block_merge_config_selectorIiNS0_10empty_typeEEEZZNS1_27merge_sort_block_merge_implIS3_N6thrust23THRUST_200600_302600_NS6detail15normal_iteratorINS9_10device_ptrIiEEEEPS5_jNS1_19radix_merge_compareILb0ELb0EiNS0_19identity_decomposerEEEEE10hipError_tT0_T1_T2_jT3_P12ihipStream_tbPNSt15iterator_traitsISK_E10value_typeEPNSQ_ISL_E10value_typeEPSM_NS1_7vsmem_tEENKUlT_SK_SL_SM_E_clIPiSE_SF_SF_EESJ_SZ_SK_SL_SM_EUlSZ_E1_NS1_11comp_targetILNS1_3genE10ELNS1_11target_archE1201ELNS1_3gpuE5ELNS1_3repE0EEENS1_36merge_oddeven_config_static_selectorELNS0_4arch9wavefront6targetE1EEEvSL_,comdat
.Lfunc_end1631:
	.size	_ZN7rocprim17ROCPRIM_400000_NS6detail17trampoline_kernelINS0_14default_configENS1_38merge_sort_block_merge_config_selectorIiNS0_10empty_typeEEEZZNS1_27merge_sort_block_merge_implIS3_N6thrust23THRUST_200600_302600_NS6detail15normal_iteratorINS9_10device_ptrIiEEEEPS5_jNS1_19radix_merge_compareILb0ELb0EiNS0_19identity_decomposerEEEEE10hipError_tT0_T1_T2_jT3_P12ihipStream_tbPNSt15iterator_traitsISK_E10value_typeEPNSQ_ISL_E10value_typeEPSM_NS1_7vsmem_tEENKUlT_SK_SL_SM_E_clIPiSE_SF_SF_EESJ_SZ_SK_SL_SM_EUlSZ_E1_NS1_11comp_targetILNS1_3genE10ELNS1_11target_archE1201ELNS1_3gpuE5ELNS1_3repE0EEENS1_36merge_oddeven_config_static_selectorELNS0_4arch9wavefront6targetE1EEEvSL_, .Lfunc_end1631-_ZN7rocprim17ROCPRIM_400000_NS6detail17trampoline_kernelINS0_14default_configENS1_38merge_sort_block_merge_config_selectorIiNS0_10empty_typeEEEZZNS1_27merge_sort_block_merge_implIS3_N6thrust23THRUST_200600_302600_NS6detail15normal_iteratorINS9_10device_ptrIiEEEEPS5_jNS1_19radix_merge_compareILb0ELb0EiNS0_19identity_decomposerEEEEE10hipError_tT0_T1_T2_jT3_P12ihipStream_tbPNSt15iterator_traitsISK_E10value_typeEPNSQ_ISL_E10value_typeEPSM_NS1_7vsmem_tEENKUlT_SK_SL_SM_E_clIPiSE_SF_SF_EESJ_SZ_SK_SL_SM_EUlSZ_E1_NS1_11comp_targetILNS1_3genE10ELNS1_11target_archE1201ELNS1_3gpuE5ELNS1_3repE0EEENS1_36merge_oddeven_config_static_selectorELNS0_4arch9wavefront6targetE1EEEvSL_
                                        ; -- End function
	.section	.AMDGPU.csdata,"",@progbits
; Kernel info:
; codeLenInByte = 0
; NumSgprs: 6
; NumVgprs: 0
; NumAgprs: 0
; TotalNumVgprs: 0
; ScratchSize: 0
; MemoryBound: 0
; FloatMode: 240
; IeeeMode: 1
; LDSByteSize: 0 bytes/workgroup (compile time only)
; SGPRBlocks: 0
; VGPRBlocks: 0
; NumSGPRsForWavesPerEU: 6
; NumVGPRsForWavesPerEU: 1
; AccumOffset: 4
; Occupancy: 8
; WaveLimiterHint : 0
; COMPUTE_PGM_RSRC2:SCRATCH_EN: 0
; COMPUTE_PGM_RSRC2:USER_SGPR: 2
; COMPUTE_PGM_RSRC2:TRAP_HANDLER: 0
; COMPUTE_PGM_RSRC2:TGID_X_EN: 1
; COMPUTE_PGM_RSRC2:TGID_Y_EN: 0
; COMPUTE_PGM_RSRC2:TGID_Z_EN: 0
; COMPUTE_PGM_RSRC2:TIDIG_COMP_CNT: 0
; COMPUTE_PGM_RSRC3_GFX90A:ACCUM_OFFSET: 0
; COMPUTE_PGM_RSRC3_GFX90A:TG_SPLIT: 0
	.section	.text._ZN7rocprim17ROCPRIM_400000_NS6detail17trampoline_kernelINS0_14default_configENS1_38merge_sort_block_merge_config_selectorIiNS0_10empty_typeEEEZZNS1_27merge_sort_block_merge_implIS3_N6thrust23THRUST_200600_302600_NS6detail15normal_iteratorINS9_10device_ptrIiEEEEPS5_jNS1_19radix_merge_compareILb0ELb0EiNS0_19identity_decomposerEEEEE10hipError_tT0_T1_T2_jT3_P12ihipStream_tbPNSt15iterator_traitsISK_E10value_typeEPNSQ_ISL_E10value_typeEPSM_NS1_7vsmem_tEENKUlT_SK_SL_SM_E_clIPiSE_SF_SF_EESJ_SZ_SK_SL_SM_EUlSZ_E1_NS1_11comp_targetILNS1_3genE5ELNS1_11target_archE942ELNS1_3gpuE9ELNS1_3repE0EEENS1_36merge_oddeven_config_static_selectorELNS0_4arch9wavefront6targetE1EEEvSL_,"axG",@progbits,_ZN7rocprim17ROCPRIM_400000_NS6detail17trampoline_kernelINS0_14default_configENS1_38merge_sort_block_merge_config_selectorIiNS0_10empty_typeEEEZZNS1_27merge_sort_block_merge_implIS3_N6thrust23THRUST_200600_302600_NS6detail15normal_iteratorINS9_10device_ptrIiEEEEPS5_jNS1_19radix_merge_compareILb0ELb0EiNS0_19identity_decomposerEEEEE10hipError_tT0_T1_T2_jT3_P12ihipStream_tbPNSt15iterator_traitsISK_E10value_typeEPNSQ_ISL_E10value_typeEPSM_NS1_7vsmem_tEENKUlT_SK_SL_SM_E_clIPiSE_SF_SF_EESJ_SZ_SK_SL_SM_EUlSZ_E1_NS1_11comp_targetILNS1_3genE5ELNS1_11target_archE942ELNS1_3gpuE9ELNS1_3repE0EEENS1_36merge_oddeven_config_static_selectorELNS0_4arch9wavefront6targetE1EEEvSL_,comdat
	.protected	_ZN7rocprim17ROCPRIM_400000_NS6detail17trampoline_kernelINS0_14default_configENS1_38merge_sort_block_merge_config_selectorIiNS0_10empty_typeEEEZZNS1_27merge_sort_block_merge_implIS3_N6thrust23THRUST_200600_302600_NS6detail15normal_iteratorINS9_10device_ptrIiEEEEPS5_jNS1_19radix_merge_compareILb0ELb0EiNS0_19identity_decomposerEEEEE10hipError_tT0_T1_T2_jT3_P12ihipStream_tbPNSt15iterator_traitsISK_E10value_typeEPNSQ_ISL_E10value_typeEPSM_NS1_7vsmem_tEENKUlT_SK_SL_SM_E_clIPiSE_SF_SF_EESJ_SZ_SK_SL_SM_EUlSZ_E1_NS1_11comp_targetILNS1_3genE5ELNS1_11target_archE942ELNS1_3gpuE9ELNS1_3repE0EEENS1_36merge_oddeven_config_static_selectorELNS0_4arch9wavefront6targetE1EEEvSL_ ; -- Begin function _ZN7rocprim17ROCPRIM_400000_NS6detail17trampoline_kernelINS0_14default_configENS1_38merge_sort_block_merge_config_selectorIiNS0_10empty_typeEEEZZNS1_27merge_sort_block_merge_implIS3_N6thrust23THRUST_200600_302600_NS6detail15normal_iteratorINS9_10device_ptrIiEEEEPS5_jNS1_19radix_merge_compareILb0ELb0EiNS0_19identity_decomposerEEEEE10hipError_tT0_T1_T2_jT3_P12ihipStream_tbPNSt15iterator_traitsISK_E10value_typeEPNSQ_ISL_E10value_typeEPSM_NS1_7vsmem_tEENKUlT_SK_SL_SM_E_clIPiSE_SF_SF_EESJ_SZ_SK_SL_SM_EUlSZ_E1_NS1_11comp_targetILNS1_3genE5ELNS1_11target_archE942ELNS1_3gpuE9ELNS1_3repE0EEENS1_36merge_oddeven_config_static_selectorELNS0_4arch9wavefront6targetE1EEEvSL_
	.globl	_ZN7rocprim17ROCPRIM_400000_NS6detail17trampoline_kernelINS0_14default_configENS1_38merge_sort_block_merge_config_selectorIiNS0_10empty_typeEEEZZNS1_27merge_sort_block_merge_implIS3_N6thrust23THRUST_200600_302600_NS6detail15normal_iteratorINS9_10device_ptrIiEEEEPS5_jNS1_19radix_merge_compareILb0ELb0EiNS0_19identity_decomposerEEEEE10hipError_tT0_T1_T2_jT3_P12ihipStream_tbPNSt15iterator_traitsISK_E10value_typeEPNSQ_ISL_E10value_typeEPSM_NS1_7vsmem_tEENKUlT_SK_SL_SM_E_clIPiSE_SF_SF_EESJ_SZ_SK_SL_SM_EUlSZ_E1_NS1_11comp_targetILNS1_3genE5ELNS1_11target_archE942ELNS1_3gpuE9ELNS1_3repE0EEENS1_36merge_oddeven_config_static_selectorELNS0_4arch9wavefront6targetE1EEEvSL_
	.p2align	8
	.type	_ZN7rocprim17ROCPRIM_400000_NS6detail17trampoline_kernelINS0_14default_configENS1_38merge_sort_block_merge_config_selectorIiNS0_10empty_typeEEEZZNS1_27merge_sort_block_merge_implIS3_N6thrust23THRUST_200600_302600_NS6detail15normal_iteratorINS9_10device_ptrIiEEEEPS5_jNS1_19radix_merge_compareILb0ELb0EiNS0_19identity_decomposerEEEEE10hipError_tT0_T1_T2_jT3_P12ihipStream_tbPNSt15iterator_traitsISK_E10value_typeEPNSQ_ISL_E10value_typeEPSM_NS1_7vsmem_tEENKUlT_SK_SL_SM_E_clIPiSE_SF_SF_EESJ_SZ_SK_SL_SM_EUlSZ_E1_NS1_11comp_targetILNS1_3genE5ELNS1_11target_archE942ELNS1_3gpuE9ELNS1_3repE0EEENS1_36merge_oddeven_config_static_selectorELNS0_4arch9wavefront6targetE1EEEvSL_,@function
_ZN7rocprim17ROCPRIM_400000_NS6detail17trampoline_kernelINS0_14default_configENS1_38merge_sort_block_merge_config_selectorIiNS0_10empty_typeEEEZZNS1_27merge_sort_block_merge_implIS3_N6thrust23THRUST_200600_302600_NS6detail15normal_iteratorINS9_10device_ptrIiEEEEPS5_jNS1_19radix_merge_compareILb0ELb0EiNS0_19identity_decomposerEEEEE10hipError_tT0_T1_T2_jT3_P12ihipStream_tbPNSt15iterator_traitsISK_E10value_typeEPNSQ_ISL_E10value_typeEPSM_NS1_7vsmem_tEENKUlT_SK_SL_SM_E_clIPiSE_SF_SF_EESJ_SZ_SK_SL_SM_EUlSZ_E1_NS1_11comp_targetILNS1_3genE5ELNS1_11target_archE942ELNS1_3gpuE9ELNS1_3repE0EEENS1_36merge_oddeven_config_static_selectorELNS0_4arch9wavefront6targetE1EEEvSL_: ; @_ZN7rocprim17ROCPRIM_400000_NS6detail17trampoline_kernelINS0_14default_configENS1_38merge_sort_block_merge_config_selectorIiNS0_10empty_typeEEEZZNS1_27merge_sort_block_merge_implIS3_N6thrust23THRUST_200600_302600_NS6detail15normal_iteratorINS9_10device_ptrIiEEEEPS5_jNS1_19radix_merge_compareILb0ELb0EiNS0_19identity_decomposerEEEEE10hipError_tT0_T1_T2_jT3_P12ihipStream_tbPNSt15iterator_traitsISK_E10value_typeEPNSQ_ISL_E10value_typeEPSM_NS1_7vsmem_tEENKUlT_SK_SL_SM_E_clIPiSE_SF_SF_EESJ_SZ_SK_SL_SM_EUlSZ_E1_NS1_11comp_targetILNS1_3genE5ELNS1_11target_archE942ELNS1_3gpuE9ELNS1_3repE0EEENS1_36merge_oddeven_config_static_selectorELNS0_4arch9wavefront6targetE1EEEvSL_
; %bb.0:
	s_load_dword s16, s[0:1], 0x20
	s_waitcnt lgkmcnt(0)
	s_lshr_b32 s3, s16, 8
	s_cmp_lg_u32 s2, s3
	s_cselect_b64 s[12:13], -1, 0
	s_cmp_eq_u32 s2, s3
	s_cselect_b64 s[6:7], -1, 0
	s_lshl_b32 s14, s2, 8
	s_sub_i32 s3, s16, s14
	v_cmp_gt_u32_e64 s[4:5], s3, v0
	s_or_b64 s[8:9], s[12:13], s[4:5]
	s_and_saveexec_b64 s[10:11], s[8:9]
	s_cbranch_execz .LBB1632_20
; %bb.1:
	s_load_dwordx4 s[8:11], s[0:1], 0x0
	s_load_dword s17, s[0:1], 0x24
	s_mov_b32 s15, 0
	s_lshl_b64 s[0:1], s[14:15], 2
	v_lshlrev_b32_e32 v1, 2, v0
	s_waitcnt lgkmcnt(0)
	s_add_u32 s0, s8, s0
	s_addc_u32 s1, s9, s1
	global_load_dword v2, v1, s[0:1]
	s_lshr_b32 s0, s17, 8
	s_sub_i32 s1, 0, s0
	s_and_b32 s1, s2, s1
	s_and_b32 s0, s1, s0
	s_lshl_b32 s18, s1, 8
	s_sub_i32 s15, 0, s17
	s_cmp_eq_u32 s0, 0
	s_cselect_b64 s[0:1], -1, 0
	s_and_b64 s[2:3], s[0:1], exec
	s_cselect_b32 s15, s17, s15
	s_add_i32 s15, s15, s18
	s_cmp_lt_u32 s15, s16
	v_add_u32_e32 v0, s14, v0
	s_cbranch_scc1 .LBB1632_3
; %bb.2:
	v_cmp_gt_u32_e32 vcc, s16, v0
	s_or_b64 s[2:3], vcc, s[12:13]
	s_and_b64 s[2:3], s[2:3], exec
	s_cbranch_execz .LBB1632_4
	s_branch .LBB1632_18
.LBB1632_3:
	s_mov_b64 s[2:3], 0
.LBB1632_4:
	s_min_u32 s12, s15, s16
	s_min_u32 s14, s18, s12
	s_add_i32 s18, s18, s12
	s_add_i32 s13, s12, s17
	v_subrev_u32_e32 v0, s18, v0
	s_min_u32 s13, s13, s16
	v_add_u32_e32 v3, s14, v0
	s_and_b64 vcc, exec, s[6:7]
	s_cbranch_vccz .LBB1632_12
; %bb.5:
                                        ; implicit-def: $vgpr0
	s_and_saveexec_b64 s[6:7], s[4:5]
	s_cbranch_execz .LBB1632_11
; %bb.6:
	s_cmp_ge_u32 s15, s13
	v_mov_b32_e32 v4, s12
	s_cbranch_scc1 .LBB1632_10
; %bb.7:
	s_mov_b64 s[4:5], 0
	v_mov_b32_e32 v5, s13
	v_mov_b32_e32 v4, s12
	;; [unrolled: 1-line block ×3, first 2 shown]
.LBB1632_8:                             ; =>This Inner Loop Header: Depth=1
	v_add_u32_e32 v0, v4, v5
	v_lshrrev_b32_e32 v0, 1, v0
	v_lshl_add_u64 v[6:7], v[0:1], 2, s[8:9]
	global_load_dword v6, v[6:7], off
	v_add_u32_e32 v7, 1, v0
	s_waitcnt vmcnt(0)
	v_cmp_gt_i32_e32 vcc, v2, v6
	s_nop 1
	v_cndmask_b32_e64 v8, 0, 1, vcc
	v_cmp_le_i32_e32 vcc, v6, v2
	s_nop 1
	v_cndmask_b32_e64 v6, 0, 1, vcc
	v_cndmask_b32_e64 v6, v6, v8, s[0:1]
	v_and_b32_e32 v6, 1, v6
	v_cmp_eq_u32_e32 vcc, 1, v6
	s_nop 1
	v_cndmask_b32_e32 v5, v0, v5, vcc
	v_cndmask_b32_e32 v4, v4, v7, vcc
	v_cmp_ge_u32_e32 vcc, v4, v5
	s_or_b64 s[4:5], vcc, s[4:5]
	s_andn2_b64 exec, exec, s[4:5]
	s_cbranch_execnz .LBB1632_8
; %bb.9:
	s_or_b64 exec, exec, s[4:5]
.LBB1632_10:
	v_add_u32_e32 v0, v4, v3
	s_or_b64 s[2:3], s[2:3], exec
.LBB1632_11:
	s_or_b64 exec, exec, s[6:7]
	s_branch .LBB1632_18
.LBB1632_12:
                                        ; implicit-def: $vgpr0
	s_cbranch_execz .LBB1632_18
; %bb.13:
	s_cmp_ge_u32 s15, s13
	v_mov_b32_e32 v4, s12
	s_cbranch_scc1 .LBB1632_17
; %bb.14:
	s_mov_b64 s[2:3], 0
	v_mov_b32_e32 v5, s13
	v_mov_b32_e32 v4, s12
	;; [unrolled: 1-line block ×3, first 2 shown]
.LBB1632_15:                            ; =>This Inner Loop Header: Depth=1
	v_add_u32_e32 v0, v4, v5
	v_lshrrev_b32_e32 v0, 1, v0
	v_lshl_add_u64 v[6:7], v[0:1], 2, s[8:9]
	global_load_dword v6, v[6:7], off
	v_add_u32_e32 v7, 1, v0
	s_waitcnt vmcnt(0)
	v_cmp_gt_i32_e32 vcc, v2, v6
	s_nop 1
	v_cndmask_b32_e64 v8, 0, 1, vcc
	v_cmp_le_i32_e32 vcc, v6, v2
	s_nop 1
	v_cndmask_b32_e64 v6, 0, 1, vcc
	v_cndmask_b32_e64 v6, v6, v8, s[0:1]
	v_and_b32_e32 v6, 1, v6
	v_cmp_eq_u32_e32 vcc, 1, v6
	s_nop 1
	v_cndmask_b32_e32 v5, v0, v5, vcc
	v_cndmask_b32_e32 v4, v4, v7, vcc
	v_cmp_ge_u32_e32 vcc, v4, v5
	s_or_b64 s[2:3], vcc, s[2:3]
	s_andn2_b64 exec, exec, s[2:3]
	s_cbranch_execnz .LBB1632_15
; %bb.16:
	s_or_b64 exec, exec, s[2:3]
.LBB1632_17:
	v_add_u32_e32 v0, v4, v3
	s_mov_b64 s[2:3], -1
.LBB1632_18:
	s_and_b64 exec, exec, s[2:3]
	s_cbranch_execz .LBB1632_20
; %bb.19:
	v_mov_b32_e32 v4, s10
	v_mov_b32_e32 v5, s11
	;; [unrolled: 1-line block ×3, first 2 shown]
	v_lshl_add_u64 v[0:1], v[0:1], 2, v[4:5]
	s_waitcnt vmcnt(0)
	global_store_dword v[0:1], v2, off
.LBB1632_20:
	s_endpgm
	.section	.rodata,"a",@progbits
	.p2align	6, 0x0
	.amdhsa_kernel _ZN7rocprim17ROCPRIM_400000_NS6detail17trampoline_kernelINS0_14default_configENS1_38merge_sort_block_merge_config_selectorIiNS0_10empty_typeEEEZZNS1_27merge_sort_block_merge_implIS3_N6thrust23THRUST_200600_302600_NS6detail15normal_iteratorINS9_10device_ptrIiEEEEPS5_jNS1_19radix_merge_compareILb0ELb0EiNS0_19identity_decomposerEEEEE10hipError_tT0_T1_T2_jT3_P12ihipStream_tbPNSt15iterator_traitsISK_E10value_typeEPNSQ_ISL_E10value_typeEPSM_NS1_7vsmem_tEENKUlT_SK_SL_SM_E_clIPiSE_SF_SF_EESJ_SZ_SK_SL_SM_EUlSZ_E1_NS1_11comp_targetILNS1_3genE5ELNS1_11target_archE942ELNS1_3gpuE9ELNS1_3repE0EEENS1_36merge_oddeven_config_static_selectorELNS0_4arch9wavefront6targetE1EEEvSL_
		.amdhsa_group_segment_fixed_size 0
		.amdhsa_private_segment_fixed_size 0
		.amdhsa_kernarg_size 48
		.amdhsa_user_sgpr_count 2
		.amdhsa_user_sgpr_dispatch_ptr 0
		.amdhsa_user_sgpr_queue_ptr 0
		.amdhsa_user_sgpr_kernarg_segment_ptr 1
		.amdhsa_user_sgpr_dispatch_id 0
		.amdhsa_user_sgpr_kernarg_preload_length 0
		.amdhsa_user_sgpr_kernarg_preload_offset 0
		.amdhsa_user_sgpr_private_segment_size 0
		.amdhsa_uses_dynamic_stack 0
		.amdhsa_enable_private_segment 0
		.amdhsa_system_sgpr_workgroup_id_x 1
		.amdhsa_system_sgpr_workgroup_id_y 0
		.amdhsa_system_sgpr_workgroup_id_z 0
		.amdhsa_system_sgpr_workgroup_info 0
		.amdhsa_system_vgpr_workitem_id 0
		.amdhsa_next_free_vgpr 9
		.amdhsa_next_free_sgpr 19
		.amdhsa_accum_offset 12
		.amdhsa_reserve_vcc 1
		.amdhsa_float_round_mode_32 0
		.amdhsa_float_round_mode_16_64 0
		.amdhsa_float_denorm_mode_32 3
		.amdhsa_float_denorm_mode_16_64 3
		.amdhsa_dx10_clamp 1
		.amdhsa_ieee_mode 1
		.amdhsa_fp16_overflow 0
		.amdhsa_tg_split 0
		.amdhsa_exception_fp_ieee_invalid_op 0
		.amdhsa_exception_fp_denorm_src 0
		.amdhsa_exception_fp_ieee_div_zero 0
		.amdhsa_exception_fp_ieee_overflow 0
		.amdhsa_exception_fp_ieee_underflow 0
		.amdhsa_exception_fp_ieee_inexact 0
		.amdhsa_exception_int_div_zero 0
	.end_amdhsa_kernel
	.section	.text._ZN7rocprim17ROCPRIM_400000_NS6detail17trampoline_kernelINS0_14default_configENS1_38merge_sort_block_merge_config_selectorIiNS0_10empty_typeEEEZZNS1_27merge_sort_block_merge_implIS3_N6thrust23THRUST_200600_302600_NS6detail15normal_iteratorINS9_10device_ptrIiEEEEPS5_jNS1_19radix_merge_compareILb0ELb0EiNS0_19identity_decomposerEEEEE10hipError_tT0_T1_T2_jT3_P12ihipStream_tbPNSt15iterator_traitsISK_E10value_typeEPNSQ_ISL_E10value_typeEPSM_NS1_7vsmem_tEENKUlT_SK_SL_SM_E_clIPiSE_SF_SF_EESJ_SZ_SK_SL_SM_EUlSZ_E1_NS1_11comp_targetILNS1_3genE5ELNS1_11target_archE942ELNS1_3gpuE9ELNS1_3repE0EEENS1_36merge_oddeven_config_static_selectorELNS0_4arch9wavefront6targetE1EEEvSL_,"axG",@progbits,_ZN7rocprim17ROCPRIM_400000_NS6detail17trampoline_kernelINS0_14default_configENS1_38merge_sort_block_merge_config_selectorIiNS0_10empty_typeEEEZZNS1_27merge_sort_block_merge_implIS3_N6thrust23THRUST_200600_302600_NS6detail15normal_iteratorINS9_10device_ptrIiEEEEPS5_jNS1_19radix_merge_compareILb0ELb0EiNS0_19identity_decomposerEEEEE10hipError_tT0_T1_T2_jT3_P12ihipStream_tbPNSt15iterator_traitsISK_E10value_typeEPNSQ_ISL_E10value_typeEPSM_NS1_7vsmem_tEENKUlT_SK_SL_SM_E_clIPiSE_SF_SF_EESJ_SZ_SK_SL_SM_EUlSZ_E1_NS1_11comp_targetILNS1_3genE5ELNS1_11target_archE942ELNS1_3gpuE9ELNS1_3repE0EEENS1_36merge_oddeven_config_static_selectorELNS0_4arch9wavefront6targetE1EEEvSL_,comdat
.Lfunc_end1632:
	.size	_ZN7rocprim17ROCPRIM_400000_NS6detail17trampoline_kernelINS0_14default_configENS1_38merge_sort_block_merge_config_selectorIiNS0_10empty_typeEEEZZNS1_27merge_sort_block_merge_implIS3_N6thrust23THRUST_200600_302600_NS6detail15normal_iteratorINS9_10device_ptrIiEEEEPS5_jNS1_19radix_merge_compareILb0ELb0EiNS0_19identity_decomposerEEEEE10hipError_tT0_T1_T2_jT3_P12ihipStream_tbPNSt15iterator_traitsISK_E10value_typeEPNSQ_ISL_E10value_typeEPSM_NS1_7vsmem_tEENKUlT_SK_SL_SM_E_clIPiSE_SF_SF_EESJ_SZ_SK_SL_SM_EUlSZ_E1_NS1_11comp_targetILNS1_3genE5ELNS1_11target_archE942ELNS1_3gpuE9ELNS1_3repE0EEENS1_36merge_oddeven_config_static_selectorELNS0_4arch9wavefront6targetE1EEEvSL_, .Lfunc_end1632-_ZN7rocprim17ROCPRIM_400000_NS6detail17trampoline_kernelINS0_14default_configENS1_38merge_sort_block_merge_config_selectorIiNS0_10empty_typeEEEZZNS1_27merge_sort_block_merge_implIS3_N6thrust23THRUST_200600_302600_NS6detail15normal_iteratorINS9_10device_ptrIiEEEEPS5_jNS1_19radix_merge_compareILb0ELb0EiNS0_19identity_decomposerEEEEE10hipError_tT0_T1_T2_jT3_P12ihipStream_tbPNSt15iterator_traitsISK_E10value_typeEPNSQ_ISL_E10value_typeEPSM_NS1_7vsmem_tEENKUlT_SK_SL_SM_E_clIPiSE_SF_SF_EESJ_SZ_SK_SL_SM_EUlSZ_E1_NS1_11comp_targetILNS1_3genE5ELNS1_11target_archE942ELNS1_3gpuE9ELNS1_3repE0EEENS1_36merge_oddeven_config_static_selectorELNS0_4arch9wavefront6targetE1EEEvSL_
                                        ; -- End function
	.section	.AMDGPU.csdata,"",@progbits
; Kernel info:
; codeLenInByte = 584
; NumSgprs: 25
; NumVgprs: 9
; NumAgprs: 0
; TotalNumVgprs: 9
; ScratchSize: 0
; MemoryBound: 0
; FloatMode: 240
; IeeeMode: 1
; LDSByteSize: 0 bytes/workgroup (compile time only)
; SGPRBlocks: 3
; VGPRBlocks: 1
; NumSGPRsForWavesPerEU: 25
; NumVGPRsForWavesPerEU: 9
; AccumOffset: 12
; Occupancy: 8
; WaveLimiterHint : 0
; COMPUTE_PGM_RSRC2:SCRATCH_EN: 0
; COMPUTE_PGM_RSRC2:USER_SGPR: 2
; COMPUTE_PGM_RSRC2:TRAP_HANDLER: 0
; COMPUTE_PGM_RSRC2:TGID_X_EN: 1
; COMPUTE_PGM_RSRC2:TGID_Y_EN: 0
; COMPUTE_PGM_RSRC2:TGID_Z_EN: 0
; COMPUTE_PGM_RSRC2:TIDIG_COMP_CNT: 0
; COMPUTE_PGM_RSRC3_GFX90A:ACCUM_OFFSET: 2
; COMPUTE_PGM_RSRC3_GFX90A:TG_SPLIT: 0
	.section	.text._ZN7rocprim17ROCPRIM_400000_NS6detail17trampoline_kernelINS0_14default_configENS1_38merge_sort_block_merge_config_selectorIiNS0_10empty_typeEEEZZNS1_27merge_sort_block_merge_implIS3_N6thrust23THRUST_200600_302600_NS6detail15normal_iteratorINS9_10device_ptrIiEEEEPS5_jNS1_19radix_merge_compareILb0ELb0EiNS0_19identity_decomposerEEEEE10hipError_tT0_T1_T2_jT3_P12ihipStream_tbPNSt15iterator_traitsISK_E10value_typeEPNSQ_ISL_E10value_typeEPSM_NS1_7vsmem_tEENKUlT_SK_SL_SM_E_clIPiSE_SF_SF_EESJ_SZ_SK_SL_SM_EUlSZ_E1_NS1_11comp_targetILNS1_3genE4ELNS1_11target_archE910ELNS1_3gpuE8ELNS1_3repE0EEENS1_36merge_oddeven_config_static_selectorELNS0_4arch9wavefront6targetE1EEEvSL_,"axG",@progbits,_ZN7rocprim17ROCPRIM_400000_NS6detail17trampoline_kernelINS0_14default_configENS1_38merge_sort_block_merge_config_selectorIiNS0_10empty_typeEEEZZNS1_27merge_sort_block_merge_implIS3_N6thrust23THRUST_200600_302600_NS6detail15normal_iteratorINS9_10device_ptrIiEEEEPS5_jNS1_19radix_merge_compareILb0ELb0EiNS0_19identity_decomposerEEEEE10hipError_tT0_T1_T2_jT3_P12ihipStream_tbPNSt15iterator_traitsISK_E10value_typeEPNSQ_ISL_E10value_typeEPSM_NS1_7vsmem_tEENKUlT_SK_SL_SM_E_clIPiSE_SF_SF_EESJ_SZ_SK_SL_SM_EUlSZ_E1_NS1_11comp_targetILNS1_3genE4ELNS1_11target_archE910ELNS1_3gpuE8ELNS1_3repE0EEENS1_36merge_oddeven_config_static_selectorELNS0_4arch9wavefront6targetE1EEEvSL_,comdat
	.protected	_ZN7rocprim17ROCPRIM_400000_NS6detail17trampoline_kernelINS0_14default_configENS1_38merge_sort_block_merge_config_selectorIiNS0_10empty_typeEEEZZNS1_27merge_sort_block_merge_implIS3_N6thrust23THRUST_200600_302600_NS6detail15normal_iteratorINS9_10device_ptrIiEEEEPS5_jNS1_19radix_merge_compareILb0ELb0EiNS0_19identity_decomposerEEEEE10hipError_tT0_T1_T2_jT3_P12ihipStream_tbPNSt15iterator_traitsISK_E10value_typeEPNSQ_ISL_E10value_typeEPSM_NS1_7vsmem_tEENKUlT_SK_SL_SM_E_clIPiSE_SF_SF_EESJ_SZ_SK_SL_SM_EUlSZ_E1_NS1_11comp_targetILNS1_3genE4ELNS1_11target_archE910ELNS1_3gpuE8ELNS1_3repE0EEENS1_36merge_oddeven_config_static_selectorELNS0_4arch9wavefront6targetE1EEEvSL_ ; -- Begin function _ZN7rocprim17ROCPRIM_400000_NS6detail17trampoline_kernelINS0_14default_configENS1_38merge_sort_block_merge_config_selectorIiNS0_10empty_typeEEEZZNS1_27merge_sort_block_merge_implIS3_N6thrust23THRUST_200600_302600_NS6detail15normal_iteratorINS9_10device_ptrIiEEEEPS5_jNS1_19radix_merge_compareILb0ELb0EiNS0_19identity_decomposerEEEEE10hipError_tT0_T1_T2_jT3_P12ihipStream_tbPNSt15iterator_traitsISK_E10value_typeEPNSQ_ISL_E10value_typeEPSM_NS1_7vsmem_tEENKUlT_SK_SL_SM_E_clIPiSE_SF_SF_EESJ_SZ_SK_SL_SM_EUlSZ_E1_NS1_11comp_targetILNS1_3genE4ELNS1_11target_archE910ELNS1_3gpuE8ELNS1_3repE0EEENS1_36merge_oddeven_config_static_selectorELNS0_4arch9wavefront6targetE1EEEvSL_
	.globl	_ZN7rocprim17ROCPRIM_400000_NS6detail17trampoline_kernelINS0_14default_configENS1_38merge_sort_block_merge_config_selectorIiNS0_10empty_typeEEEZZNS1_27merge_sort_block_merge_implIS3_N6thrust23THRUST_200600_302600_NS6detail15normal_iteratorINS9_10device_ptrIiEEEEPS5_jNS1_19radix_merge_compareILb0ELb0EiNS0_19identity_decomposerEEEEE10hipError_tT0_T1_T2_jT3_P12ihipStream_tbPNSt15iterator_traitsISK_E10value_typeEPNSQ_ISL_E10value_typeEPSM_NS1_7vsmem_tEENKUlT_SK_SL_SM_E_clIPiSE_SF_SF_EESJ_SZ_SK_SL_SM_EUlSZ_E1_NS1_11comp_targetILNS1_3genE4ELNS1_11target_archE910ELNS1_3gpuE8ELNS1_3repE0EEENS1_36merge_oddeven_config_static_selectorELNS0_4arch9wavefront6targetE1EEEvSL_
	.p2align	8
	.type	_ZN7rocprim17ROCPRIM_400000_NS6detail17trampoline_kernelINS0_14default_configENS1_38merge_sort_block_merge_config_selectorIiNS0_10empty_typeEEEZZNS1_27merge_sort_block_merge_implIS3_N6thrust23THRUST_200600_302600_NS6detail15normal_iteratorINS9_10device_ptrIiEEEEPS5_jNS1_19radix_merge_compareILb0ELb0EiNS0_19identity_decomposerEEEEE10hipError_tT0_T1_T2_jT3_P12ihipStream_tbPNSt15iterator_traitsISK_E10value_typeEPNSQ_ISL_E10value_typeEPSM_NS1_7vsmem_tEENKUlT_SK_SL_SM_E_clIPiSE_SF_SF_EESJ_SZ_SK_SL_SM_EUlSZ_E1_NS1_11comp_targetILNS1_3genE4ELNS1_11target_archE910ELNS1_3gpuE8ELNS1_3repE0EEENS1_36merge_oddeven_config_static_selectorELNS0_4arch9wavefront6targetE1EEEvSL_,@function
_ZN7rocprim17ROCPRIM_400000_NS6detail17trampoline_kernelINS0_14default_configENS1_38merge_sort_block_merge_config_selectorIiNS0_10empty_typeEEEZZNS1_27merge_sort_block_merge_implIS3_N6thrust23THRUST_200600_302600_NS6detail15normal_iteratorINS9_10device_ptrIiEEEEPS5_jNS1_19radix_merge_compareILb0ELb0EiNS0_19identity_decomposerEEEEE10hipError_tT0_T1_T2_jT3_P12ihipStream_tbPNSt15iterator_traitsISK_E10value_typeEPNSQ_ISL_E10value_typeEPSM_NS1_7vsmem_tEENKUlT_SK_SL_SM_E_clIPiSE_SF_SF_EESJ_SZ_SK_SL_SM_EUlSZ_E1_NS1_11comp_targetILNS1_3genE4ELNS1_11target_archE910ELNS1_3gpuE8ELNS1_3repE0EEENS1_36merge_oddeven_config_static_selectorELNS0_4arch9wavefront6targetE1EEEvSL_: ; @_ZN7rocprim17ROCPRIM_400000_NS6detail17trampoline_kernelINS0_14default_configENS1_38merge_sort_block_merge_config_selectorIiNS0_10empty_typeEEEZZNS1_27merge_sort_block_merge_implIS3_N6thrust23THRUST_200600_302600_NS6detail15normal_iteratorINS9_10device_ptrIiEEEEPS5_jNS1_19radix_merge_compareILb0ELb0EiNS0_19identity_decomposerEEEEE10hipError_tT0_T1_T2_jT3_P12ihipStream_tbPNSt15iterator_traitsISK_E10value_typeEPNSQ_ISL_E10value_typeEPSM_NS1_7vsmem_tEENKUlT_SK_SL_SM_E_clIPiSE_SF_SF_EESJ_SZ_SK_SL_SM_EUlSZ_E1_NS1_11comp_targetILNS1_3genE4ELNS1_11target_archE910ELNS1_3gpuE8ELNS1_3repE0EEENS1_36merge_oddeven_config_static_selectorELNS0_4arch9wavefront6targetE1EEEvSL_
; %bb.0:
	.section	.rodata,"a",@progbits
	.p2align	6, 0x0
	.amdhsa_kernel _ZN7rocprim17ROCPRIM_400000_NS6detail17trampoline_kernelINS0_14default_configENS1_38merge_sort_block_merge_config_selectorIiNS0_10empty_typeEEEZZNS1_27merge_sort_block_merge_implIS3_N6thrust23THRUST_200600_302600_NS6detail15normal_iteratorINS9_10device_ptrIiEEEEPS5_jNS1_19radix_merge_compareILb0ELb0EiNS0_19identity_decomposerEEEEE10hipError_tT0_T1_T2_jT3_P12ihipStream_tbPNSt15iterator_traitsISK_E10value_typeEPNSQ_ISL_E10value_typeEPSM_NS1_7vsmem_tEENKUlT_SK_SL_SM_E_clIPiSE_SF_SF_EESJ_SZ_SK_SL_SM_EUlSZ_E1_NS1_11comp_targetILNS1_3genE4ELNS1_11target_archE910ELNS1_3gpuE8ELNS1_3repE0EEENS1_36merge_oddeven_config_static_selectorELNS0_4arch9wavefront6targetE1EEEvSL_
		.amdhsa_group_segment_fixed_size 0
		.amdhsa_private_segment_fixed_size 0
		.amdhsa_kernarg_size 48
		.amdhsa_user_sgpr_count 2
		.amdhsa_user_sgpr_dispatch_ptr 0
		.amdhsa_user_sgpr_queue_ptr 0
		.amdhsa_user_sgpr_kernarg_segment_ptr 1
		.amdhsa_user_sgpr_dispatch_id 0
		.amdhsa_user_sgpr_kernarg_preload_length 0
		.amdhsa_user_sgpr_kernarg_preload_offset 0
		.amdhsa_user_sgpr_private_segment_size 0
		.amdhsa_uses_dynamic_stack 0
		.amdhsa_enable_private_segment 0
		.amdhsa_system_sgpr_workgroup_id_x 1
		.amdhsa_system_sgpr_workgroup_id_y 0
		.amdhsa_system_sgpr_workgroup_id_z 0
		.amdhsa_system_sgpr_workgroup_info 0
		.amdhsa_system_vgpr_workitem_id 0
		.amdhsa_next_free_vgpr 1
		.amdhsa_next_free_sgpr 0
		.amdhsa_accum_offset 4
		.amdhsa_reserve_vcc 0
		.amdhsa_float_round_mode_32 0
		.amdhsa_float_round_mode_16_64 0
		.amdhsa_float_denorm_mode_32 3
		.amdhsa_float_denorm_mode_16_64 3
		.amdhsa_dx10_clamp 1
		.amdhsa_ieee_mode 1
		.amdhsa_fp16_overflow 0
		.amdhsa_tg_split 0
		.amdhsa_exception_fp_ieee_invalid_op 0
		.amdhsa_exception_fp_denorm_src 0
		.amdhsa_exception_fp_ieee_div_zero 0
		.amdhsa_exception_fp_ieee_overflow 0
		.amdhsa_exception_fp_ieee_underflow 0
		.amdhsa_exception_fp_ieee_inexact 0
		.amdhsa_exception_int_div_zero 0
	.end_amdhsa_kernel
	.section	.text._ZN7rocprim17ROCPRIM_400000_NS6detail17trampoline_kernelINS0_14default_configENS1_38merge_sort_block_merge_config_selectorIiNS0_10empty_typeEEEZZNS1_27merge_sort_block_merge_implIS3_N6thrust23THRUST_200600_302600_NS6detail15normal_iteratorINS9_10device_ptrIiEEEEPS5_jNS1_19radix_merge_compareILb0ELb0EiNS0_19identity_decomposerEEEEE10hipError_tT0_T1_T2_jT3_P12ihipStream_tbPNSt15iterator_traitsISK_E10value_typeEPNSQ_ISL_E10value_typeEPSM_NS1_7vsmem_tEENKUlT_SK_SL_SM_E_clIPiSE_SF_SF_EESJ_SZ_SK_SL_SM_EUlSZ_E1_NS1_11comp_targetILNS1_3genE4ELNS1_11target_archE910ELNS1_3gpuE8ELNS1_3repE0EEENS1_36merge_oddeven_config_static_selectorELNS0_4arch9wavefront6targetE1EEEvSL_,"axG",@progbits,_ZN7rocprim17ROCPRIM_400000_NS6detail17trampoline_kernelINS0_14default_configENS1_38merge_sort_block_merge_config_selectorIiNS0_10empty_typeEEEZZNS1_27merge_sort_block_merge_implIS3_N6thrust23THRUST_200600_302600_NS6detail15normal_iteratorINS9_10device_ptrIiEEEEPS5_jNS1_19radix_merge_compareILb0ELb0EiNS0_19identity_decomposerEEEEE10hipError_tT0_T1_T2_jT3_P12ihipStream_tbPNSt15iterator_traitsISK_E10value_typeEPNSQ_ISL_E10value_typeEPSM_NS1_7vsmem_tEENKUlT_SK_SL_SM_E_clIPiSE_SF_SF_EESJ_SZ_SK_SL_SM_EUlSZ_E1_NS1_11comp_targetILNS1_3genE4ELNS1_11target_archE910ELNS1_3gpuE8ELNS1_3repE0EEENS1_36merge_oddeven_config_static_selectorELNS0_4arch9wavefront6targetE1EEEvSL_,comdat
.Lfunc_end1633:
	.size	_ZN7rocprim17ROCPRIM_400000_NS6detail17trampoline_kernelINS0_14default_configENS1_38merge_sort_block_merge_config_selectorIiNS0_10empty_typeEEEZZNS1_27merge_sort_block_merge_implIS3_N6thrust23THRUST_200600_302600_NS6detail15normal_iteratorINS9_10device_ptrIiEEEEPS5_jNS1_19radix_merge_compareILb0ELb0EiNS0_19identity_decomposerEEEEE10hipError_tT0_T1_T2_jT3_P12ihipStream_tbPNSt15iterator_traitsISK_E10value_typeEPNSQ_ISL_E10value_typeEPSM_NS1_7vsmem_tEENKUlT_SK_SL_SM_E_clIPiSE_SF_SF_EESJ_SZ_SK_SL_SM_EUlSZ_E1_NS1_11comp_targetILNS1_3genE4ELNS1_11target_archE910ELNS1_3gpuE8ELNS1_3repE0EEENS1_36merge_oddeven_config_static_selectorELNS0_4arch9wavefront6targetE1EEEvSL_, .Lfunc_end1633-_ZN7rocprim17ROCPRIM_400000_NS6detail17trampoline_kernelINS0_14default_configENS1_38merge_sort_block_merge_config_selectorIiNS0_10empty_typeEEEZZNS1_27merge_sort_block_merge_implIS3_N6thrust23THRUST_200600_302600_NS6detail15normal_iteratorINS9_10device_ptrIiEEEEPS5_jNS1_19radix_merge_compareILb0ELb0EiNS0_19identity_decomposerEEEEE10hipError_tT0_T1_T2_jT3_P12ihipStream_tbPNSt15iterator_traitsISK_E10value_typeEPNSQ_ISL_E10value_typeEPSM_NS1_7vsmem_tEENKUlT_SK_SL_SM_E_clIPiSE_SF_SF_EESJ_SZ_SK_SL_SM_EUlSZ_E1_NS1_11comp_targetILNS1_3genE4ELNS1_11target_archE910ELNS1_3gpuE8ELNS1_3repE0EEENS1_36merge_oddeven_config_static_selectorELNS0_4arch9wavefront6targetE1EEEvSL_
                                        ; -- End function
	.section	.AMDGPU.csdata,"",@progbits
; Kernel info:
; codeLenInByte = 0
; NumSgprs: 6
; NumVgprs: 0
; NumAgprs: 0
; TotalNumVgprs: 0
; ScratchSize: 0
; MemoryBound: 0
; FloatMode: 240
; IeeeMode: 1
; LDSByteSize: 0 bytes/workgroup (compile time only)
; SGPRBlocks: 0
; VGPRBlocks: 0
; NumSGPRsForWavesPerEU: 6
; NumVGPRsForWavesPerEU: 1
; AccumOffset: 4
; Occupancy: 8
; WaveLimiterHint : 0
; COMPUTE_PGM_RSRC2:SCRATCH_EN: 0
; COMPUTE_PGM_RSRC2:USER_SGPR: 2
; COMPUTE_PGM_RSRC2:TRAP_HANDLER: 0
; COMPUTE_PGM_RSRC2:TGID_X_EN: 1
; COMPUTE_PGM_RSRC2:TGID_Y_EN: 0
; COMPUTE_PGM_RSRC2:TGID_Z_EN: 0
; COMPUTE_PGM_RSRC2:TIDIG_COMP_CNT: 0
; COMPUTE_PGM_RSRC3_GFX90A:ACCUM_OFFSET: 0
; COMPUTE_PGM_RSRC3_GFX90A:TG_SPLIT: 0
	.section	.text._ZN7rocprim17ROCPRIM_400000_NS6detail17trampoline_kernelINS0_14default_configENS1_38merge_sort_block_merge_config_selectorIiNS0_10empty_typeEEEZZNS1_27merge_sort_block_merge_implIS3_N6thrust23THRUST_200600_302600_NS6detail15normal_iteratorINS9_10device_ptrIiEEEEPS5_jNS1_19radix_merge_compareILb0ELb0EiNS0_19identity_decomposerEEEEE10hipError_tT0_T1_T2_jT3_P12ihipStream_tbPNSt15iterator_traitsISK_E10value_typeEPNSQ_ISL_E10value_typeEPSM_NS1_7vsmem_tEENKUlT_SK_SL_SM_E_clIPiSE_SF_SF_EESJ_SZ_SK_SL_SM_EUlSZ_E1_NS1_11comp_targetILNS1_3genE3ELNS1_11target_archE908ELNS1_3gpuE7ELNS1_3repE0EEENS1_36merge_oddeven_config_static_selectorELNS0_4arch9wavefront6targetE1EEEvSL_,"axG",@progbits,_ZN7rocprim17ROCPRIM_400000_NS6detail17trampoline_kernelINS0_14default_configENS1_38merge_sort_block_merge_config_selectorIiNS0_10empty_typeEEEZZNS1_27merge_sort_block_merge_implIS3_N6thrust23THRUST_200600_302600_NS6detail15normal_iteratorINS9_10device_ptrIiEEEEPS5_jNS1_19radix_merge_compareILb0ELb0EiNS0_19identity_decomposerEEEEE10hipError_tT0_T1_T2_jT3_P12ihipStream_tbPNSt15iterator_traitsISK_E10value_typeEPNSQ_ISL_E10value_typeEPSM_NS1_7vsmem_tEENKUlT_SK_SL_SM_E_clIPiSE_SF_SF_EESJ_SZ_SK_SL_SM_EUlSZ_E1_NS1_11comp_targetILNS1_3genE3ELNS1_11target_archE908ELNS1_3gpuE7ELNS1_3repE0EEENS1_36merge_oddeven_config_static_selectorELNS0_4arch9wavefront6targetE1EEEvSL_,comdat
	.protected	_ZN7rocprim17ROCPRIM_400000_NS6detail17trampoline_kernelINS0_14default_configENS1_38merge_sort_block_merge_config_selectorIiNS0_10empty_typeEEEZZNS1_27merge_sort_block_merge_implIS3_N6thrust23THRUST_200600_302600_NS6detail15normal_iteratorINS9_10device_ptrIiEEEEPS5_jNS1_19radix_merge_compareILb0ELb0EiNS0_19identity_decomposerEEEEE10hipError_tT0_T1_T2_jT3_P12ihipStream_tbPNSt15iterator_traitsISK_E10value_typeEPNSQ_ISL_E10value_typeEPSM_NS1_7vsmem_tEENKUlT_SK_SL_SM_E_clIPiSE_SF_SF_EESJ_SZ_SK_SL_SM_EUlSZ_E1_NS1_11comp_targetILNS1_3genE3ELNS1_11target_archE908ELNS1_3gpuE7ELNS1_3repE0EEENS1_36merge_oddeven_config_static_selectorELNS0_4arch9wavefront6targetE1EEEvSL_ ; -- Begin function _ZN7rocprim17ROCPRIM_400000_NS6detail17trampoline_kernelINS0_14default_configENS1_38merge_sort_block_merge_config_selectorIiNS0_10empty_typeEEEZZNS1_27merge_sort_block_merge_implIS3_N6thrust23THRUST_200600_302600_NS6detail15normal_iteratorINS9_10device_ptrIiEEEEPS5_jNS1_19radix_merge_compareILb0ELb0EiNS0_19identity_decomposerEEEEE10hipError_tT0_T1_T2_jT3_P12ihipStream_tbPNSt15iterator_traitsISK_E10value_typeEPNSQ_ISL_E10value_typeEPSM_NS1_7vsmem_tEENKUlT_SK_SL_SM_E_clIPiSE_SF_SF_EESJ_SZ_SK_SL_SM_EUlSZ_E1_NS1_11comp_targetILNS1_3genE3ELNS1_11target_archE908ELNS1_3gpuE7ELNS1_3repE0EEENS1_36merge_oddeven_config_static_selectorELNS0_4arch9wavefront6targetE1EEEvSL_
	.globl	_ZN7rocprim17ROCPRIM_400000_NS6detail17trampoline_kernelINS0_14default_configENS1_38merge_sort_block_merge_config_selectorIiNS0_10empty_typeEEEZZNS1_27merge_sort_block_merge_implIS3_N6thrust23THRUST_200600_302600_NS6detail15normal_iteratorINS9_10device_ptrIiEEEEPS5_jNS1_19radix_merge_compareILb0ELb0EiNS0_19identity_decomposerEEEEE10hipError_tT0_T1_T2_jT3_P12ihipStream_tbPNSt15iterator_traitsISK_E10value_typeEPNSQ_ISL_E10value_typeEPSM_NS1_7vsmem_tEENKUlT_SK_SL_SM_E_clIPiSE_SF_SF_EESJ_SZ_SK_SL_SM_EUlSZ_E1_NS1_11comp_targetILNS1_3genE3ELNS1_11target_archE908ELNS1_3gpuE7ELNS1_3repE0EEENS1_36merge_oddeven_config_static_selectorELNS0_4arch9wavefront6targetE1EEEvSL_
	.p2align	8
	.type	_ZN7rocprim17ROCPRIM_400000_NS6detail17trampoline_kernelINS0_14default_configENS1_38merge_sort_block_merge_config_selectorIiNS0_10empty_typeEEEZZNS1_27merge_sort_block_merge_implIS3_N6thrust23THRUST_200600_302600_NS6detail15normal_iteratorINS9_10device_ptrIiEEEEPS5_jNS1_19radix_merge_compareILb0ELb0EiNS0_19identity_decomposerEEEEE10hipError_tT0_T1_T2_jT3_P12ihipStream_tbPNSt15iterator_traitsISK_E10value_typeEPNSQ_ISL_E10value_typeEPSM_NS1_7vsmem_tEENKUlT_SK_SL_SM_E_clIPiSE_SF_SF_EESJ_SZ_SK_SL_SM_EUlSZ_E1_NS1_11comp_targetILNS1_3genE3ELNS1_11target_archE908ELNS1_3gpuE7ELNS1_3repE0EEENS1_36merge_oddeven_config_static_selectorELNS0_4arch9wavefront6targetE1EEEvSL_,@function
_ZN7rocprim17ROCPRIM_400000_NS6detail17trampoline_kernelINS0_14default_configENS1_38merge_sort_block_merge_config_selectorIiNS0_10empty_typeEEEZZNS1_27merge_sort_block_merge_implIS3_N6thrust23THRUST_200600_302600_NS6detail15normal_iteratorINS9_10device_ptrIiEEEEPS5_jNS1_19radix_merge_compareILb0ELb0EiNS0_19identity_decomposerEEEEE10hipError_tT0_T1_T2_jT3_P12ihipStream_tbPNSt15iterator_traitsISK_E10value_typeEPNSQ_ISL_E10value_typeEPSM_NS1_7vsmem_tEENKUlT_SK_SL_SM_E_clIPiSE_SF_SF_EESJ_SZ_SK_SL_SM_EUlSZ_E1_NS1_11comp_targetILNS1_3genE3ELNS1_11target_archE908ELNS1_3gpuE7ELNS1_3repE0EEENS1_36merge_oddeven_config_static_selectorELNS0_4arch9wavefront6targetE1EEEvSL_: ; @_ZN7rocprim17ROCPRIM_400000_NS6detail17trampoline_kernelINS0_14default_configENS1_38merge_sort_block_merge_config_selectorIiNS0_10empty_typeEEEZZNS1_27merge_sort_block_merge_implIS3_N6thrust23THRUST_200600_302600_NS6detail15normal_iteratorINS9_10device_ptrIiEEEEPS5_jNS1_19radix_merge_compareILb0ELb0EiNS0_19identity_decomposerEEEEE10hipError_tT0_T1_T2_jT3_P12ihipStream_tbPNSt15iterator_traitsISK_E10value_typeEPNSQ_ISL_E10value_typeEPSM_NS1_7vsmem_tEENKUlT_SK_SL_SM_E_clIPiSE_SF_SF_EESJ_SZ_SK_SL_SM_EUlSZ_E1_NS1_11comp_targetILNS1_3genE3ELNS1_11target_archE908ELNS1_3gpuE7ELNS1_3repE0EEENS1_36merge_oddeven_config_static_selectorELNS0_4arch9wavefront6targetE1EEEvSL_
; %bb.0:
	.section	.rodata,"a",@progbits
	.p2align	6, 0x0
	.amdhsa_kernel _ZN7rocprim17ROCPRIM_400000_NS6detail17trampoline_kernelINS0_14default_configENS1_38merge_sort_block_merge_config_selectorIiNS0_10empty_typeEEEZZNS1_27merge_sort_block_merge_implIS3_N6thrust23THRUST_200600_302600_NS6detail15normal_iteratorINS9_10device_ptrIiEEEEPS5_jNS1_19radix_merge_compareILb0ELb0EiNS0_19identity_decomposerEEEEE10hipError_tT0_T1_T2_jT3_P12ihipStream_tbPNSt15iterator_traitsISK_E10value_typeEPNSQ_ISL_E10value_typeEPSM_NS1_7vsmem_tEENKUlT_SK_SL_SM_E_clIPiSE_SF_SF_EESJ_SZ_SK_SL_SM_EUlSZ_E1_NS1_11comp_targetILNS1_3genE3ELNS1_11target_archE908ELNS1_3gpuE7ELNS1_3repE0EEENS1_36merge_oddeven_config_static_selectorELNS0_4arch9wavefront6targetE1EEEvSL_
		.amdhsa_group_segment_fixed_size 0
		.amdhsa_private_segment_fixed_size 0
		.amdhsa_kernarg_size 48
		.amdhsa_user_sgpr_count 2
		.amdhsa_user_sgpr_dispatch_ptr 0
		.amdhsa_user_sgpr_queue_ptr 0
		.amdhsa_user_sgpr_kernarg_segment_ptr 1
		.amdhsa_user_sgpr_dispatch_id 0
		.amdhsa_user_sgpr_kernarg_preload_length 0
		.amdhsa_user_sgpr_kernarg_preload_offset 0
		.amdhsa_user_sgpr_private_segment_size 0
		.amdhsa_uses_dynamic_stack 0
		.amdhsa_enable_private_segment 0
		.amdhsa_system_sgpr_workgroup_id_x 1
		.amdhsa_system_sgpr_workgroup_id_y 0
		.amdhsa_system_sgpr_workgroup_id_z 0
		.amdhsa_system_sgpr_workgroup_info 0
		.amdhsa_system_vgpr_workitem_id 0
		.amdhsa_next_free_vgpr 1
		.amdhsa_next_free_sgpr 0
		.amdhsa_accum_offset 4
		.amdhsa_reserve_vcc 0
		.amdhsa_float_round_mode_32 0
		.amdhsa_float_round_mode_16_64 0
		.amdhsa_float_denorm_mode_32 3
		.amdhsa_float_denorm_mode_16_64 3
		.amdhsa_dx10_clamp 1
		.amdhsa_ieee_mode 1
		.amdhsa_fp16_overflow 0
		.amdhsa_tg_split 0
		.amdhsa_exception_fp_ieee_invalid_op 0
		.amdhsa_exception_fp_denorm_src 0
		.amdhsa_exception_fp_ieee_div_zero 0
		.amdhsa_exception_fp_ieee_overflow 0
		.amdhsa_exception_fp_ieee_underflow 0
		.amdhsa_exception_fp_ieee_inexact 0
		.amdhsa_exception_int_div_zero 0
	.end_amdhsa_kernel
	.section	.text._ZN7rocprim17ROCPRIM_400000_NS6detail17trampoline_kernelINS0_14default_configENS1_38merge_sort_block_merge_config_selectorIiNS0_10empty_typeEEEZZNS1_27merge_sort_block_merge_implIS3_N6thrust23THRUST_200600_302600_NS6detail15normal_iteratorINS9_10device_ptrIiEEEEPS5_jNS1_19radix_merge_compareILb0ELb0EiNS0_19identity_decomposerEEEEE10hipError_tT0_T1_T2_jT3_P12ihipStream_tbPNSt15iterator_traitsISK_E10value_typeEPNSQ_ISL_E10value_typeEPSM_NS1_7vsmem_tEENKUlT_SK_SL_SM_E_clIPiSE_SF_SF_EESJ_SZ_SK_SL_SM_EUlSZ_E1_NS1_11comp_targetILNS1_3genE3ELNS1_11target_archE908ELNS1_3gpuE7ELNS1_3repE0EEENS1_36merge_oddeven_config_static_selectorELNS0_4arch9wavefront6targetE1EEEvSL_,"axG",@progbits,_ZN7rocprim17ROCPRIM_400000_NS6detail17trampoline_kernelINS0_14default_configENS1_38merge_sort_block_merge_config_selectorIiNS0_10empty_typeEEEZZNS1_27merge_sort_block_merge_implIS3_N6thrust23THRUST_200600_302600_NS6detail15normal_iteratorINS9_10device_ptrIiEEEEPS5_jNS1_19radix_merge_compareILb0ELb0EiNS0_19identity_decomposerEEEEE10hipError_tT0_T1_T2_jT3_P12ihipStream_tbPNSt15iterator_traitsISK_E10value_typeEPNSQ_ISL_E10value_typeEPSM_NS1_7vsmem_tEENKUlT_SK_SL_SM_E_clIPiSE_SF_SF_EESJ_SZ_SK_SL_SM_EUlSZ_E1_NS1_11comp_targetILNS1_3genE3ELNS1_11target_archE908ELNS1_3gpuE7ELNS1_3repE0EEENS1_36merge_oddeven_config_static_selectorELNS0_4arch9wavefront6targetE1EEEvSL_,comdat
.Lfunc_end1634:
	.size	_ZN7rocprim17ROCPRIM_400000_NS6detail17trampoline_kernelINS0_14default_configENS1_38merge_sort_block_merge_config_selectorIiNS0_10empty_typeEEEZZNS1_27merge_sort_block_merge_implIS3_N6thrust23THRUST_200600_302600_NS6detail15normal_iteratorINS9_10device_ptrIiEEEEPS5_jNS1_19radix_merge_compareILb0ELb0EiNS0_19identity_decomposerEEEEE10hipError_tT0_T1_T2_jT3_P12ihipStream_tbPNSt15iterator_traitsISK_E10value_typeEPNSQ_ISL_E10value_typeEPSM_NS1_7vsmem_tEENKUlT_SK_SL_SM_E_clIPiSE_SF_SF_EESJ_SZ_SK_SL_SM_EUlSZ_E1_NS1_11comp_targetILNS1_3genE3ELNS1_11target_archE908ELNS1_3gpuE7ELNS1_3repE0EEENS1_36merge_oddeven_config_static_selectorELNS0_4arch9wavefront6targetE1EEEvSL_, .Lfunc_end1634-_ZN7rocprim17ROCPRIM_400000_NS6detail17trampoline_kernelINS0_14default_configENS1_38merge_sort_block_merge_config_selectorIiNS0_10empty_typeEEEZZNS1_27merge_sort_block_merge_implIS3_N6thrust23THRUST_200600_302600_NS6detail15normal_iteratorINS9_10device_ptrIiEEEEPS5_jNS1_19radix_merge_compareILb0ELb0EiNS0_19identity_decomposerEEEEE10hipError_tT0_T1_T2_jT3_P12ihipStream_tbPNSt15iterator_traitsISK_E10value_typeEPNSQ_ISL_E10value_typeEPSM_NS1_7vsmem_tEENKUlT_SK_SL_SM_E_clIPiSE_SF_SF_EESJ_SZ_SK_SL_SM_EUlSZ_E1_NS1_11comp_targetILNS1_3genE3ELNS1_11target_archE908ELNS1_3gpuE7ELNS1_3repE0EEENS1_36merge_oddeven_config_static_selectorELNS0_4arch9wavefront6targetE1EEEvSL_
                                        ; -- End function
	.section	.AMDGPU.csdata,"",@progbits
; Kernel info:
; codeLenInByte = 0
; NumSgprs: 6
; NumVgprs: 0
; NumAgprs: 0
; TotalNumVgprs: 0
; ScratchSize: 0
; MemoryBound: 0
; FloatMode: 240
; IeeeMode: 1
; LDSByteSize: 0 bytes/workgroup (compile time only)
; SGPRBlocks: 0
; VGPRBlocks: 0
; NumSGPRsForWavesPerEU: 6
; NumVGPRsForWavesPerEU: 1
; AccumOffset: 4
; Occupancy: 8
; WaveLimiterHint : 0
; COMPUTE_PGM_RSRC2:SCRATCH_EN: 0
; COMPUTE_PGM_RSRC2:USER_SGPR: 2
; COMPUTE_PGM_RSRC2:TRAP_HANDLER: 0
; COMPUTE_PGM_RSRC2:TGID_X_EN: 1
; COMPUTE_PGM_RSRC2:TGID_Y_EN: 0
; COMPUTE_PGM_RSRC2:TGID_Z_EN: 0
; COMPUTE_PGM_RSRC2:TIDIG_COMP_CNT: 0
; COMPUTE_PGM_RSRC3_GFX90A:ACCUM_OFFSET: 0
; COMPUTE_PGM_RSRC3_GFX90A:TG_SPLIT: 0
	.section	.text._ZN7rocprim17ROCPRIM_400000_NS6detail17trampoline_kernelINS0_14default_configENS1_38merge_sort_block_merge_config_selectorIiNS0_10empty_typeEEEZZNS1_27merge_sort_block_merge_implIS3_N6thrust23THRUST_200600_302600_NS6detail15normal_iteratorINS9_10device_ptrIiEEEEPS5_jNS1_19radix_merge_compareILb0ELb0EiNS0_19identity_decomposerEEEEE10hipError_tT0_T1_T2_jT3_P12ihipStream_tbPNSt15iterator_traitsISK_E10value_typeEPNSQ_ISL_E10value_typeEPSM_NS1_7vsmem_tEENKUlT_SK_SL_SM_E_clIPiSE_SF_SF_EESJ_SZ_SK_SL_SM_EUlSZ_E1_NS1_11comp_targetILNS1_3genE2ELNS1_11target_archE906ELNS1_3gpuE6ELNS1_3repE0EEENS1_36merge_oddeven_config_static_selectorELNS0_4arch9wavefront6targetE1EEEvSL_,"axG",@progbits,_ZN7rocprim17ROCPRIM_400000_NS6detail17trampoline_kernelINS0_14default_configENS1_38merge_sort_block_merge_config_selectorIiNS0_10empty_typeEEEZZNS1_27merge_sort_block_merge_implIS3_N6thrust23THRUST_200600_302600_NS6detail15normal_iteratorINS9_10device_ptrIiEEEEPS5_jNS1_19radix_merge_compareILb0ELb0EiNS0_19identity_decomposerEEEEE10hipError_tT0_T1_T2_jT3_P12ihipStream_tbPNSt15iterator_traitsISK_E10value_typeEPNSQ_ISL_E10value_typeEPSM_NS1_7vsmem_tEENKUlT_SK_SL_SM_E_clIPiSE_SF_SF_EESJ_SZ_SK_SL_SM_EUlSZ_E1_NS1_11comp_targetILNS1_3genE2ELNS1_11target_archE906ELNS1_3gpuE6ELNS1_3repE0EEENS1_36merge_oddeven_config_static_selectorELNS0_4arch9wavefront6targetE1EEEvSL_,comdat
	.protected	_ZN7rocprim17ROCPRIM_400000_NS6detail17trampoline_kernelINS0_14default_configENS1_38merge_sort_block_merge_config_selectorIiNS0_10empty_typeEEEZZNS1_27merge_sort_block_merge_implIS3_N6thrust23THRUST_200600_302600_NS6detail15normal_iteratorINS9_10device_ptrIiEEEEPS5_jNS1_19radix_merge_compareILb0ELb0EiNS0_19identity_decomposerEEEEE10hipError_tT0_T1_T2_jT3_P12ihipStream_tbPNSt15iterator_traitsISK_E10value_typeEPNSQ_ISL_E10value_typeEPSM_NS1_7vsmem_tEENKUlT_SK_SL_SM_E_clIPiSE_SF_SF_EESJ_SZ_SK_SL_SM_EUlSZ_E1_NS1_11comp_targetILNS1_3genE2ELNS1_11target_archE906ELNS1_3gpuE6ELNS1_3repE0EEENS1_36merge_oddeven_config_static_selectorELNS0_4arch9wavefront6targetE1EEEvSL_ ; -- Begin function _ZN7rocprim17ROCPRIM_400000_NS6detail17trampoline_kernelINS0_14default_configENS1_38merge_sort_block_merge_config_selectorIiNS0_10empty_typeEEEZZNS1_27merge_sort_block_merge_implIS3_N6thrust23THRUST_200600_302600_NS6detail15normal_iteratorINS9_10device_ptrIiEEEEPS5_jNS1_19radix_merge_compareILb0ELb0EiNS0_19identity_decomposerEEEEE10hipError_tT0_T1_T2_jT3_P12ihipStream_tbPNSt15iterator_traitsISK_E10value_typeEPNSQ_ISL_E10value_typeEPSM_NS1_7vsmem_tEENKUlT_SK_SL_SM_E_clIPiSE_SF_SF_EESJ_SZ_SK_SL_SM_EUlSZ_E1_NS1_11comp_targetILNS1_3genE2ELNS1_11target_archE906ELNS1_3gpuE6ELNS1_3repE0EEENS1_36merge_oddeven_config_static_selectorELNS0_4arch9wavefront6targetE1EEEvSL_
	.globl	_ZN7rocprim17ROCPRIM_400000_NS6detail17trampoline_kernelINS0_14default_configENS1_38merge_sort_block_merge_config_selectorIiNS0_10empty_typeEEEZZNS1_27merge_sort_block_merge_implIS3_N6thrust23THRUST_200600_302600_NS6detail15normal_iteratorINS9_10device_ptrIiEEEEPS5_jNS1_19radix_merge_compareILb0ELb0EiNS0_19identity_decomposerEEEEE10hipError_tT0_T1_T2_jT3_P12ihipStream_tbPNSt15iterator_traitsISK_E10value_typeEPNSQ_ISL_E10value_typeEPSM_NS1_7vsmem_tEENKUlT_SK_SL_SM_E_clIPiSE_SF_SF_EESJ_SZ_SK_SL_SM_EUlSZ_E1_NS1_11comp_targetILNS1_3genE2ELNS1_11target_archE906ELNS1_3gpuE6ELNS1_3repE0EEENS1_36merge_oddeven_config_static_selectorELNS0_4arch9wavefront6targetE1EEEvSL_
	.p2align	8
	.type	_ZN7rocprim17ROCPRIM_400000_NS6detail17trampoline_kernelINS0_14default_configENS1_38merge_sort_block_merge_config_selectorIiNS0_10empty_typeEEEZZNS1_27merge_sort_block_merge_implIS3_N6thrust23THRUST_200600_302600_NS6detail15normal_iteratorINS9_10device_ptrIiEEEEPS5_jNS1_19radix_merge_compareILb0ELb0EiNS0_19identity_decomposerEEEEE10hipError_tT0_T1_T2_jT3_P12ihipStream_tbPNSt15iterator_traitsISK_E10value_typeEPNSQ_ISL_E10value_typeEPSM_NS1_7vsmem_tEENKUlT_SK_SL_SM_E_clIPiSE_SF_SF_EESJ_SZ_SK_SL_SM_EUlSZ_E1_NS1_11comp_targetILNS1_3genE2ELNS1_11target_archE906ELNS1_3gpuE6ELNS1_3repE0EEENS1_36merge_oddeven_config_static_selectorELNS0_4arch9wavefront6targetE1EEEvSL_,@function
_ZN7rocprim17ROCPRIM_400000_NS6detail17trampoline_kernelINS0_14default_configENS1_38merge_sort_block_merge_config_selectorIiNS0_10empty_typeEEEZZNS1_27merge_sort_block_merge_implIS3_N6thrust23THRUST_200600_302600_NS6detail15normal_iteratorINS9_10device_ptrIiEEEEPS5_jNS1_19radix_merge_compareILb0ELb0EiNS0_19identity_decomposerEEEEE10hipError_tT0_T1_T2_jT3_P12ihipStream_tbPNSt15iterator_traitsISK_E10value_typeEPNSQ_ISL_E10value_typeEPSM_NS1_7vsmem_tEENKUlT_SK_SL_SM_E_clIPiSE_SF_SF_EESJ_SZ_SK_SL_SM_EUlSZ_E1_NS1_11comp_targetILNS1_3genE2ELNS1_11target_archE906ELNS1_3gpuE6ELNS1_3repE0EEENS1_36merge_oddeven_config_static_selectorELNS0_4arch9wavefront6targetE1EEEvSL_: ; @_ZN7rocprim17ROCPRIM_400000_NS6detail17trampoline_kernelINS0_14default_configENS1_38merge_sort_block_merge_config_selectorIiNS0_10empty_typeEEEZZNS1_27merge_sort_block_merge_implIS3_N6thrust23THRUST_200600_302600_NS6detail15normal_iteratorINS9_10device_ptrIiEEEEPS5_jNS1_19radix_merge_compareILb0ELb0EiNS0_19identity_decomposerEEEEE10hipError_tT0_T1_T2_jT3_P12ihipStream_tbPNSt15iterator_traitsISK_E10value_typeEPNSQ_ISL_E10value_typeEPSM_NS1_7vsmem_tEENKUlT_SK_SL_SM_E_clIPiSE_SF_SF_EESJ_SZ_SK_SL_SM_EUlSZ_E1_NS1_11comp_targetILNS1_3genE2ELNS1_11target_archE906ELNS1_3gpuE6ELNS1_3repE0EEENS1_36merge_oddeven_config_static_selectorELNS0_4arch9wavefront6targetE1EEEvSL_
; %bb.0:
	.section	.rodata,"a",@progbits
	.p2align	6, 0x0
	.amdhsa_kernel _ZN7rocprim17ROCPRIM_400000_NS6detail17trampoline_kernelINS0_14default_configENS1_38merge_sort_block_merge_config_selectorIiNS0_10empty_typeEEEZZNS1_27merge_sort_block_merge_implIS3_N6thrust23THRUST_200600_302600_NS6detail15normal_iteratorINS9_10device_ptrIiEEEEPS5_jNS1_19radix_merge_compareILb0ELb0EiNS0_19identity_decomposerEEEEE10hipError_tT0_T1_T2_jT3_P12ihipStream_tbPNSt15iterator_traitsISK_E10value_typeEPNSQ_ISL_E10value_typeEPSM_NS1_7vsmem_tEENKUlT_SK_SL_SM_E_clIPiSE_SF_SF_EESJ_SZ_SK_SL_SM_EUlSZ_E1_NS1_11comp_targetILNS1_3genE2ELNS1_11target_archE906ELNS1_3gpuE6ELNS1_3repE0EEENS1_36merge_oddeven_config_static_selectorELNS0_4arch9wavefront6targetE1EEEvSL_
		.amdhsa_group_segment_fixed_size 0
		.amdhsa_private_segment_fixed_size 0
		.amdhsa_kernarg_size 48
		.amdhsa_user_sgpr_count 2
		.amdhsa_user_sgpr_dispatch_ptr 0
		.amdhsa_user_sgpr_queue_ptr 0
		.amdhsa_user_sgpr_kernarg_segment_ptr 1
		.amdhsa_user_sgpr_dispatch_id 0
		.amdhsa_user_sgpr_kernarg_preload_length 0
		.amdhsa_user_sgpr_kernarg_preload_offset 0
		.amdhsa_user_sgpr_private_segment_size 0
		.amdhsa_uses_dynamic_stack 0
		.amdhsa_enable_private_segment 0
		.amdhsa_system_sgpr_workgroup_id_x 1
		.amdhsa_system_sgpr_workgroup_id_y 0
		.amdhsa_system_sgpr_workgroup_id_z 0
		.amdhsa_system_sgpr_workgroup_info 0
		.amdhsa_system_vgpr_workitem_id 0
		.amdhsa_next_free_vgpr 1
		.amdhsa_next_free_sgpr 0
		.amdhsa_accum_offset 4
		.amdhsa_reserve_vcc 0
		.amdhsa_float_round_mode_32 0
		.amdhsa_float_round_mode_16_64 0
		.amdhsa_float_denorm_mode_32 3
		.amdhsa_float_denorm_mode_16_64 3
		.amdhsa_dx10_clamp 1
		.amdhsa_ieee_mode 1
		.amdhsa_fp16_overflow 0
		.amdhsa_tg_split 0
		.amdhsa_exception_fp_ieee_invalid_op 0
		.amdhsa_exception_fp_denorm_src 0
		.amdhsa_exception_fp_ieee_div_zero 0
		.amdhsa_exception_fp_ieee_overflow 0
		.amdhsa_exception_fp_ieee_underflow 0
		.amdhsa_exception_fp_ieee_inexact 0
		.amdhsa_exception_int_div_zero 0
	.end_amdhsa_kernel
	.section	.text._ZN7rocprim17ROCPRIM_400000_NS6detail17trampoline_kernelINS0_14default_configENS1_38merge_sort_block_merge_config_selectorIiNS0_10empty_typeEEEZZNS1_27merge_sort_block_merge_implIS3_N6thrust23THRUST_200600_302600_NS6detail15normal_iteratorINS9_10device_ptrIiEEEEPS5_jNS1_19radix_merge_compareILb0ELb0EiNS0_19identity_decomposerEEEEE10hipError_tT0_T1_T2_jT3_P12ihipStream_tbPNSt15iterator_traitsISK_E10value_typeEPNSQ_ISL_E10value_typeEPSM_NS1_7vsmem_tEENKUlT_SK_SL_SM_E_clIPiSE_SF_SF_EESJ_SZ_SK_SL_SM_EUlSZ_E1_NS1_11comp_targetILNS1_3genE2ELNS1_11target_archE906ELNS1_3gpuE6ELNS1_3repE0EEENS1_36merge_oddeven_config_static_selectorELNS0_4arch9wavefront6targetE1EEEvSL_,"axG",@progbits,_ZN7rocprim17ROCPRIM_400000_NS6detail17trampoline_kernelINS0_14default_configENS1_38merge_sort_block_merge_config_selectorIiNS0_10empty_typeEEEZZNS1_27merge_sort_block_merge_implIS3_N6thrust23THRUST_200600_302600_NS6detail15normal_iteratorINS9_10device_ptrIiEEEEPS5_jNS1_19radix_merge_compareILb0ELb0EiNS0_19identity_decomposerEEEEE10hipError_tT0_T1_T2_jT3_P12ihipStream_tbPNSt15iterator_traitsISK_E10value_typeEPNSQ_ISL_E10value_typeEPSM_NS1_7vsmem_tEENKUlT_SK_SL_SM_E_clIPiSE_SF_SF_EESJ_SZ_SK_SL_SM_EUlSZ_E1_NS1_11comp_targetILNS1_3genE2ELNS1_11target_archE906ELNS1_3gpuE6ELNS1_3repE0EEENS1_36merge_oddeven_config_static_selectorELNS0_4arch9wavefront6targetE1EEEvSL_,comdat
.Lfunc_end1635:
	.size	_ZN7rocprim17ROCPRIM_400000_NS6detail17trampoline_kernelINS0_14default_configENS1_38merge_sort_block_merge_config_selectorIiNS0_10empty_typeEEEZZNS1_27merge_sort_block_merge_implIS3_N6thrust23THRUST_200600_302600_NS6detail15normal_iteratorINS9_10device_ptrIiEEEEPS5_jNS1_19radix_merge_compareILb0ELb0EiNS0_19identity_decomposerEEEEE10hipError_tT0_T1_T2_jT3_P12ihipStream_tbPNSt15iterator_traitsISK_E10value_typeEPNSQ_ISL_E10value_typeEPSM_NS1_7vsmem_tEENKUlT_SK_SL_SM_E_clIPiSE_SF_SF_EESJ_SZ_SK_SL_SM_EUlSZ_E1_NS1_11comp_targetILNS1_3genE2ELNS1_11target_archE906ELNS1_3gpuE6ELNS1_3repE0EEENS1_36merge_oddeven_config_static_selectorELNS0_4arch9wavefront6targetE1EEEvSL_, .Lfunc_end1635-_ZN7rocprim17ROCPRIM_400000_NS6detail17trampoline_kernelINS0_14default_configENS1_38merge_sort_block_merge_config_selectorIiNS0_10empty_typeEEEZZNS1_27merge_sort_block_merge_implIS3_N6thrust23THRUST_200600_302600_NS6detail15normal_iteratorINS9_10device_ptrIiEEEEPS5_jNS1_19radix_merge_compareILb0ELb0EiNS0_19identity_decomposerEEEEE10hipError_tT0_T1_T2_jT3_P12ihipStream_tbPNSt15iterator_traitsISK_E10value_typeEPNSQ_ISL_E10value_typeEPSM_NS1_7vsmem_tEENKUlT_SK_SL_SM_E_clIPiSE_SF_SF_EESJ_SZ_SK_SL_SM_EUlSZ_E1_NS1_11comp_targetILNS1_3genE2ELNS1_11target_archE906ELNS1_3gpuE6ELNS1_3repE0EEENS1_36merge_oddeven_config_static_selectorELNS0_4arch9wavefront6targetE1EEEvSL_
                                        ; -- End function
	.section	.AMDGPU.csdata,"",@progbits
; Kernel info:
; codeLenInByte = 0
; NumSgprs: 6
; NumVgprs: 0
; NumAgprs: 0
; TotalNumVgprs: 0
; ScratchSize: 0
; MemoryBound: 0
; FloatMode: 240
; IeeeMode: 1
; LDSByteSize: 0 bytes/workgroup (compile time only)
; SGPRBlocks: 0
; VGPRBlocks: 0
; NumSGPRsForWavesPerEU: 6
; NumVGPRsForWavesPerEU: 1
; AccumOffset: 4
; Occupancy: 8
; WaveLimiterHint : 0
; COMPUTE_PGM_RSRC2:SCRATCH_EN: 0
; COMPUTE_PGM_RSRC2:USER_SGPR: 2
; COMPUTE_PGM_RSRC2:TRAP_HANDLER: 0
; COMPUTE_PGM_RSRC2:TGID_X_EN: 1
; COMPUTE_PGM_RSRC2:TGID_Y_EN: 0
; COMPUTE_PGM_RSRC2:TGID_Z_EN: 0
; COMPUTE_PGM_RSRC2:TIDIG_COMP_CNT: 0
; COMPUTE_PGM_RSRC3_GFX90A:ACCUM_OFFSET: 0
; COMPUTE_PGM_RSRC3_GFX90A:TG_SPLIT: 0
	.section	.text._ZN7rocprim17ROCPRIM_400000_NS6detail17trampoline_kernelINS0_14default_configENS1_38merge_sort_block_merge_config_selectorIiNS0_10empty_typeEEEZZNS1_27merge_sort_block_merge_implIS3_N6thrust23THRUST_200600_302600_NS6detail15normal_iteratorINS9_10device_ptrIiEEEEPS5_jNS1_19radix_merge_compareILb0ELb0EiNS0_19identity_decomposerEEEEE10hipError_tT0_T1_T2_jT3_P12ihipStream_tbPNSt15iterator_traitsISK_E10value_typeEPNSQ_ISL_E10value_typeEPSM_NS1_7vsmem_tEENKUlT_SK_SL_SM_E_clIPiSE_SF_SF_EESJ_SZ_SK_SL_SM_EUlSZ_E1_NS1_11comp_targetILNS1_3genE9ELNS1_11target_archE1100ELNS1_3gpuE3ELNS1_3repE0EEENS1_36merge_oddeven_config_static_selectorELNS0_4arch9wavefront6targetE1EEEvSL_,"axG",@progbits,_ZN7rocprim17ROCPRIM_400000_NS6detail17trampoline_kernelINS0_14default_configENS1_38merge_sort_block_merge_config_selectorIiNS0_10empty_typeEEEZZNS1_27merge_sort_block_merge_implIS3_N6thrust23THRUST_200600_302600_NS6detail15normal_iteratorINS9_10device_ptrIiEEEEPS5_jNS1_19radix_merge_compareILb0ELb0EiNS0_19identity_decomposerEEEEE10hipError_tT0_T1_T2_jT3_P12ihipStream_tbPNSt15iterator_traitsISK_E10value_typeEPNSQ_ISL_E10value_typeEPSM_NS1_7vsmem_tEENKUlT_SK_SL_SM_E_clIPiSE_SF_SF_EESJ_SZ_SK_SL_SM_EUlSZ_E1_NS1_11comp_targetILNS1_3genE9ELNS1_11target_archE1100ELNS1_3gpuE3ELNS1_3repE0EEENS1_36merge_oddeven_config_static_selectorELNS0_4arch9wavefront6targetE1EEEvSL_,comdat
	.protected	_ZN7rocprim17ROCPRIM_400000_NS6detail17trampoline_kernelINS0_14default_configENS1_38merge_sort_block_merge_config_selectorIiNS0_10empty_typeEEEZZNS1_27merge_sort_block_merge_implIS3_N6thrust23THRUST_200600_302600_NS6detail15normal_iteratorINS9_10device_ptrIiEEEEPS5_jNS1_19radix_merge_compareILb0ELb0EiNS0_19identity_decomposerEEEEE10hipError_tT0_T1_T2_jT3_P12ihipStream_tbPNSt15iterator_traitsISK_E10value_typeEPNSQ_ISL_E10value_typeEPSM_NS1_7vsmem_tEENKUlT_SK_SL_SM_E_clIPiSE_SF_SF_EESJ_SZ_SK_SL_SM_EUlSZ_E1_NS1_11comp_targetILNS1_3genE9ELNS1_11target_archE1100ELNS1_3gpuE3ELNS1_3repE0EEENS1_36merge_oddeven_config_static_selectorELNS0_4arch9wavefront6targetE1EEEvSL_ ; -- Begin function _ZN7rocprim17ROCPRIM_400000_NS6detail17trampoline_kernelINS0_14default_configENS1_38merge_sort_block_merge_config_selectorIiNS0_10empty_typeEEEZZNS1_27merge_sort_block_merge_implIS3_N6thrust23THRUST_200600_302600_NS6detail15normal_iteratorINS9_10device_ptrIiEEEEPS5_jNS1_19radix_merge_compareILb0ELb0EiNS0_19identity_decomposerEEEEE10hipError_tT0_T1_T2_jT3_P12ihipStream_tbPNSt15iterator_traitsISK_E10value_typeEPNSQ_ISL_E10value_typeEPSM_NS1_7vsmem_tEENKUlT_SK_SL_SM_E_clIPiSE_SF_SF_EESJ_SZ_SK_SL_SM_EUlSZ_E1_NS1_11comp_targetILNS1_3genE9ELNS1_11target_archE1100ELNS1_3gpuE3ELNS1_3repE0EEENS1_36merge_oddeven_config_static_selectorELNS0_4arch9wavefront6targetE1EEEvSL_
	.globl	_ZN7rocprim17ROCPRIM_400000_NS6detail17trampoline_kernelINS0_14default_configENS1_38merge_sort_block_merge_config_selectorIiNS0_10empty_typeEEEZZNS1_27merge_sort_block_merge_implIS3_N6thrust23THRUST_200600_302600_NS6detail15normal_iteratorINS9_10device_ptrIiEEEEPS5_jNS1_19radix_merge_compareILb0ELb0EiNS0_19identity_decomposerEEEEE10hipError_tT0_T1_T2_jT3_P12ihipStream_tbPNSt15iterator_traitsISK_E10value_typeEPNSQ_ISL_E10value_typeEPSM_NS1_7vsmem_tEENKUlT_SK_SL_SM_E_clIPiSE_SF_SF_EESJ_SZ_SK_SL_SM_EUlSZ_E1_NS1_11comp_targetILNS1_3genE9ELNS1_11target_archE1100ELNS1_3gpuE3ELNS1_3repE0EEENS1_36merge_oddeven_config_static_selectorELNS0_4arch9wavefront6targetE1EEEvSL_
	.p2align	8
	.type	_ZN7rocprim17ROCPRIM_400000_NS6detail17trampoline_kernelINS0_14default_configENS1_38merge_sort_block_merge_config_selectorIiNS0_10empty_typeEEEZZNS1_27merge_sort_block_merge_implIS3_N6thrust23THRUST_200600_302600_NS6detail15normal_iteratorINS9_10device_ptrIiEEEEPS5_jNS1_19radix_merge_compareILb0ELb0EiNS0_19identity_decomposerEEEEE10hipError_tT0_T1_T2_jT3_P12ihipStream_tbPNSt15iterator_traitsISK_E10value_typeEPNSQ_ISL_E10value_typeEPSM_NS1_7vsmem_tEENKUlT_SK_SL_SM_E_clIPiSE_SF_SF_EESJ_SZ_SK_SL_SM_EUlSZ_E1_NS1_11comp_targetILNS1_3genE9ELNS1_11target_archE1100ELNS1_3gpuE3ELNS1_3repE0EEENS1_36merge_oddeven_config_static_selectorELNS0_4arch9wavefront6targetE1EEEvSL_,@function
_ZN7rocprim17ROCPRIM_400000_NS6detail17trampoline_kernelINS0_14default_configENS1_38merge_sort_block_merge_config_selectorIiNS0_10empty_typeEEEZZNS1_27merge_sort_block_merge_implIS3_N6thrust23THRUST_200600_302600_NS6detail15normal_iteratorINS9_10device_ptrIiEEEEPS5_jNS1_19radix_merge_compareILb0ELb0EiNS0_19identity_decomposerEEEEE10hipError_tT0_T1_T2_jT3_P12ihipStream_tbPNSt15iterator_traitsISK_E10value_typeEPNSQ_ISL_E10value_typeEPSM_NS1_7vsmem_tEENKUlT_SK_SL_SM_E_clIPiSE_SF_SF_EESJ_SZ_SK_SL_SM_EUlSZ_E1_NS1_11comp_targetILNS1_3genE9ELNS1_11target_archE1100ELNS1_3gpuE3ELNS1_3repE0EEENS1_36merge_oddeven_config_static_selectorELNS0_4arch9wavefront6targetE1EEEvSL_: ; @_ZN7rocprim17ROCPRIM_400000_NS6detail17trampoline_kernelINS0_14default_configENS1_38merge_sort_block_merge_config_selectorIiNS0_10empty_typeEEEZZNS1_27merge_sort_block_merge_implIS3_N6thrust23THRUST_200600_302600_NS6detail15normal_iteratorINS9_10device_ptrIiEEEEPS5_jNS1_19radix_merge_compareILb0ELb0EiNS0_19identity_decomposerEEEEE10hipError_tT0_T1_T2_jT3_P12ihipStream_tbPNSt15iterator_traitsISK_E10value_typeEPNSQ_ISL_E10value_typeEPSM_NS1_7vsmem_tEENKUlT_SK_SL_SM_E_clIPiSE_SF_SF_EESJ_SZ_SK_SL_SM_EUlSZ_E1_NS1_11comp_targetILNS1_3genE9ELNS1_11target_archE1100ELNS1_3gpuE3ELNS1_3repE0EEENS1_36merge_oddeven_config_static_selectorELNS0_4arch9wavefront6targetE1EEEvSL_
; %bb.0:
	.section	.rodata,"a",@progbits
	.p2align	6, 0x0
	.amdhsa_kernel _ZN7rocprim17ROCPRIM_400000_NS6detail17trampoline_kernelINS0_14default_configENS1_38merge_sort_block_merge_config_selectorIiNS0_10empty_typeEEEZZNS1_27merge_sort_block_merge_implIS3_N6thrust23THRUST_200600_302600_NS6detail15normal_iteratorINS9_10device_ptrIiEEEEPS5_jNS1_19radix_merge_compareILb0ELb0EiNS0_19identity_decomposerEEEEE10hipError_tT0_T1_T2_jT3_P12ihipStream_tbPNSt15iterator_traitsISK_E10value_typeEPNSQ_ISL_E10value_typeEPSM_NS1_7vsmem_tEENKUlT_SK_SL_SM_E_clIPiSE_SF_SF_EESJ_SZ_SK_SL_SM_EUlSZ_E1_NS1_11comp_targetILNS1_3genE9ELNS1_11target_archE1100ELNS1_3gpuE3ELNS1_3repE0EEENS1_36merge_oddeven_config_static_selectorELNS0_4arch9wavefront6targetE1EEEvSL_
		.amdhsa_group_segment_fixed_size 0
		.amdhsa_private_segment_fixed_size 0
		.amdhsa_kernarg_size 48
		.amdhsa_user_sgpr_count 2
		.amdhsa_user_sgpr_dispatch_ptr 0
		.amdhsa_user_sgpr_queue_ptr 0
		.amdhsa_user_sgpr_kernarg_segment_ptr 1
		.amdhsa_user_sgpr_dispatch_id 0
		.amdhsa_user_sgpr_kernarg_preload_length 0
		.amdhsa_user_sgpr_kernarg_preload_offset 0
		.amdhsa_user_sgpr_private_segment_size 0
		.amdhsa_uses_dynamic_stack 0
		.amdhsa_enable_private_segment 0
		.amdhsa_system_sgpr_workgroup_id_x 1
		.amdhsa_system_sgpr_workgroup_id_y 0
		.amdhsa_system_sgpr_workgroup_id_z 0
		.amdhsa_system_sgpr_workgroup_info 0
		.amdhsa_system_vgpr_workitem_id 0
		.amdhsa_next_free_vgpr 1
		.amdhsa_next_free_sgpr 0
		.amdhsa_accum_offset 4
		.amdhsa_reserve_vcc 0
		.amdhsa_float_round_mode_32 0
		.amdhsa_float_round_mode_16_64 0
		.amdhsa_float_denorm_mode_32 3
		.amdhsa_float_denorm_mode_16_64 3
		.amdhsa_dx10_clamp 1
		.amdhsa_ieee_mode 1
		.amdhsa_fp16_overflow 0
		.amdhsa_tg_split 0
		.amdhsa_exception_fp_ieee_invalid_op 0
		.amdhsa_exception_fp_denorm_src 0
		.amdhsa_exception_fp_ieee_div_zero 0
		.amdhsa_exception_fp_ieee_overflow 0
		.amdhsa_exception_fp_ieee_underflow 0
		.amdhsa_exception_fp_ieee_inexact 0
		.amdhsa_exception_int_div_zero 0
	.end_amdhsa_kernel
	.section	.text._ZN7rocprim17ROCPRIM_400000_NS6detail17trampoline_kernelINS0_14default_configENS1_38merge_sort_block_merge_config_selectorIiNS0_10empty_typeEEEZZNS1_27merge_sort_block_merge_implIS3_N6thrust23THRUST_200600_302600_NS6detail15normal_iteratorINS9_10device_ptrIiEEEEPS5_jNS1_19radix_merge_compareILb0ELb0EiNS0_19identity_decomposerEEEEE10hipError_tT0_T1_T2_jT3_P12ihipStream_tbPNSt15iterator_traitsISK_E10value_typeEPNSQ_ISL_E10value_typeEPSM_NS1_7vsmem_tEENKUlT_SK_SL_SM_E_clIPiSE_SF_SF_EESJ_SZ_SK_SL_SM_EUlSZ_E1_NS1_11comp_targetILNS1_3genE9ELNS1_11target_archE1100ELNS1_3gpuE3ELNS1_3repE0EEENS1_36merge_oddeven_config_static_selectorELNS0_4arch9wavefront6targetE1EEEvSL_,"axG",@progbits,_ZN7rocprim17ROCPRIM_400000_NS6detail17trampoline_kernelINS0_14default_configENS1_38merge_sort_block_merge_config_selectorIiNS0_10empty_typeEEEZZNS1_27merge_sort_block_merge_implIS3_N6thrust23THRUST_200600_302600_NS6detail15normal_iteratorINS9_10device_ptrIiEEEEPS5_jNS1_19radix_merge_compareILb0ELb0EiNS0_19identity_decomposerEEEEE10hipError_tT0_T1_T2_jT3_P12ihipStream_tbPNSt15iterator_traitsISK_E10value_typeEPNSQ_ISL_E10value_typeEPSM_NS1_7vsmem_tEENKUlT_SK_SL_SM_E_clIPiSE_SF_SF_EESJ_SZ_SK_SL_SM_EUlSZ_E1_NS1_11comp_targetILNS1_3genE9ELNS1_11target_archE1100ELNS1_3gpuE3ELNS1_3repE0EEENS1_36merge_oddeven_config_static_selectorELNS0_4arch9wavefront6targetE1EEEvSL_,comdat
.Lfunc_end1636:
	.size	_ZN7rocprim17ROCPRIM_400000_NS6detail17trampoline_kernelINS0_14default_configENS1_38merge_sort_block_merge_config_selectorIiNS0_10empty_typeEEEZZNS1_27merge_sort_block_merge_implIS3_N6thrust23THRUST_200600_302600_NS6detail15normal_iteratorINS9_10device_ptrIiEEEEPS5_jNS1_19radix_merge_compareILb0ELb0EiNS0_19identity_decomposerEEEEE10hipError_tT0_T1_T2_jT3_P12ihipStream_tbPNSt15iterator_traitsISK_E10value_typeEPNSQ_ISL_E10value_typeEPSM_NS1_7vsmem_tEENKUlT_SK_SL_SM_E_clIPiSE_SF_SF_EESJ_SZ_SK_SL_SM_EUlSZ_E1_NS1_11comp_targetILNS1_3genE9ELNS1_11target_archE1100ELNS1_3gpuE3ELNS1_3repE0EEENS1_36merge_oddeven_config_static_selectorELNS0_4arch9wavefront6targetE1EEEvSL_, .Lfunc_end1636-_ZN7rocprim17ROCPRIM_400000_NS6detail17trampoline_kernelINS0_14default_configENS1_38merge_sort_block_merge_config_selectorIiNS0_10empty_typeEEEZZNS1_27merge_sort_block_merge_implIS3_N6thrust23THRUST_200600_302600_NS6detail15normal_iteratorINS9_10device_ptrIiEEEEPS5_jNS1_19radix_merge_compareILb0ELb0EiNS0_19identity_decomposerEEEEE10hipError_tT0_T1_T2_jT3_P12ihipStream_tbPNSt15iterator_traitsISK_E10value_typeEPNSQ_ISL_E10value_typeEPSM_NS1_7vsmem_tEENKUlT_SK_SL_SM_E_clIPiSE_SF_SF_EESJ_SZ_SK_SL_SM_EUlSZ_E1_NS1_11comp_targetILNS1_3genE9ELNS1_11target_archE1100ELNS1_3gpuE3ELNS1_3repE0EEENS1_36merge_oddeven_config_static_selectorELNS0_4arch9wavefront6targetE1EEEvSL_
                                        ; -- End function
	.section	.AMDGPU.csdata,"",@progbits
; Kernel info:
; codeLenInByte = 0
; NumSgprs: 6
; NumVgprs: 0
; NumAgprs: 0
; TotalNumVgprs: 0
; ScratchSize: 0
; MemoryBound: 0
; FloatMode: 240
; IeeeMode: 1
; LDSByteSize: 0 bytes/workgroup (compile time only)
; SGPRBlocks: 0
; VGPRBlocks: 0
; NumSGPRsForWavesPerEU: 6
; NumVGPRsForWavesPerEU: 1
; AccumOffset: 4
; Occupancy: 8
; WaveLimiterHint : 0
; COMPUTE_PGM_RSRC2:SCRATCH_EN: 0
; COMPUTE_PGM_RSRC2:USER_SGPR: 2
; COMPUTE_PGM_RSRC2:TRAP_HANDLER: 0
; COMPUTE_PGM_RSRC2:TGID_X_EN: 1
; COMPUTE_PGM_RSRC2:TGID_Y_EN: 0
; COMPUTE_PGM_RSRC2:TGID_Z_EN: 0
; COMPUTE_PGM_RSRC2:TIDIG_COMP_CNT: 0
; COMPUTE_PGM_RSRC3_GFX90A:ACCUM_OFFSET: 0
; COMPUTE_PGM_RSRC3_GFX90A:TG_SPLIT: 0
	.section	.text._ZN7rocprim17ROCPRIM_400000_NS6detail17trampoline_kernelINS0_14default_configENS1_38merge_sort_block_merge_config_selectorIiNS0_10empty_typeEEEZZNS1_27merge_sort_block_merge_implIS3_N6thrust23THRUST_200600_302600_NS6detail15normal_iteratorINS9_10device_ptrIiEEEEPS5_jNS1_19radix_merge_compareILb0ELb0EiNS0_19identity_decomposerEEEEE10hipError_tT0_T1_T2_jT3_P12ihipStream_tbPNSt15iterator_traitsISK_E10value_typeEPNSQ_ISL_E10value_typeEPSM_NS1_7vsmem_tEENKUlT_SK_SL_SM_E_clIPiSE_SF_SF_EESJ_SZ_SK_SL_SM_EUlSZ_E1_NS1_11comp_targetILNS1_3genE8ELNS1_11target_archE1030ELNS1_3gpuE2ELNS1_3repE0EEENS1_36merge_oddeven_config_static_selectorELNS0_4arch9wavefront6targetE1EEEvSL_,"axG",@progbits,_ZN7rocprim17ROCPRIM_400000_NS6detail17trampoline_kernelINS0_14default_configENS1_38merge_sort_block_merge_config_selectorIiNS0_10empty_typeEEEZZNS1_27merge_sort_block_merge_implIS3_N6thrust23THRUST_200600_302600_NS6detail15normal_iteratorINS9_10device_ptrIiEEEEPS5_jNS1_19radix_merge_compareILb0ELb0EiNS0_19identity_decomposerEEEEE10hipError_tT0_T1_T2_jT3_P12ihipStream_tbPNSt15iterator_traitsISK_E10value_typeEPNSQ_ISL_E10value_typeEPSM_NS1_7vsmem_tEENKUlT_SK_SL_SM_E_clIPiSE_SF_SF_EESJ_SZ_SK_SL_SM_EUlSZ_E1_NS1_11comp_targetILNS1_3genE8ELNS1_11target_archE1030ELNS1_3gpuE2ELNS1_3repE0EEENS1_36merge_oddeven_config_static_selectorELNS0_4arch9wavefront6targetE1EEEvSL_,comdat
	.protected	_ZN7rocprim17ROCPRIM_400000_NS6detail17trampoline_kernelINS0_14default_configENS1_38merge_sort_block_merge_config_selectorIiNS0_10empty_typeEEEZZNS1_27merge_sort_block_merge_implIS3_N6thrust23THRUST_200600_302600_NS6detail15normal_iteratorINS9_10device_ptrIiEEEEPS5_jNS1_19radix_merge_compareILb0ELb0EiNS0_19identity_decomposerEEEEE10hipError_tT0_T1_T2_jT3_P12ihipStream_tbPNSt15iterator_traitsISK_E10value_typeEPNSQ_ISL_E10value_typeEPSM_NS1_7vsmem_tEENKUlT_SK_SL_SM_E_clIPiSE_SF_SF_EESJ_SZ_SK_SL_SM_EUlSZ_E1_NS1_11comp_targetILNS1_3genE8ELNS1_11target_archE1030ELNS1_3gpuE2ELNS1_3repE0EEENS1_36merge_oddeven_config_static_selectorELNS0_4arch9wavefront6targetE1EEEvSL_ ; -- Begin function _ZN7rocprim17ROCPRIM_400000_NS6detail17trampoline_kernelINS0_14default_configENS1_38merge_sort_block_merge_config_selectorIiNS0_10empty_typeEEEZZNS1_27merge_sort_block_merge_implIS3_N6thrust23THRUST_200600_302600_NS6detail15normal_iteratorINS9_10device_ptrIiEEEEPS5_jNS1_19radix_merge_compareILb0ELb0EiNS0_19identity_decomposerEEEEE10hipError_tT0_T1_T2_jT3_P12ihipStream_tbPNSt15iterator_traitsISK_E10value_typeEPNSQ_ISL_E10value_typeEPSM_NS1_7vsmem_tEENKUlT_SK_SL_SM_E_clIPiSE_SF_SF_EESJ_SZ_SK_SL_SM_EUlSZ_E1_NS1_11comp_targetILNS1_3genE8ELNS1_11target_archE1030ELNS1_3gpuE2ELNS1_3repE0EEENS1_36merge_oddeven_config_static_selectorELNS0_4arch9wavefront6targetE1EEEvSL_
	.globl	_ZN7rocprim17ROCPRIM_400000_NS6detail17trampoline_kernelINS0_14default_configENS1_38merge_sort_block_merge_config_selectorIiNS0_10empty_typeEEEZZNS1_27merge_sort_block_merge_implIS3_N6thrust23THRUST_200600_302600_NS6detail15normal_iteratorINS9_10device_ptrIiEEEEPS5_jNS1_19radix_merge_compareILb0ELb0EiNS0_19identity_decomposerEEEEE10hipError_tT0_T1_T2_jT3_P12ihipStream_tbPNSt15iterator_traitsISK_E10value_typeEPNSQ_ISL_E10value_typeEPSM_NS1_7vsmem_tEENKUlT_SK_SL_SM_E_clIPiSE_SF_SF_EESJ_SZ_SK_SL_SM_EUlSZ_E1_NS1_11comp_targetILNS1_3genE8ELNS1_11target_archE1030ELNS1_3gpuE2ELNS1_3repE0EEENS1_36merge_oddeven_config_static_selectorELNS0_4arch9wavefront6targetE1EEEvSL_
	.p2align	8
	.type	_ZN7rocprim17ROCPRIM_400000_NS6detail17trampoline_kernelINS0_14default_configENS1_38merge_sort_block_merge_config_selectorIiNS0_10empty_typeEEEZZNS1_27merge_sort_block_merge_implIS3_N6thrust23THRUST_200600_302600_NS6detail15normal_iteratorINS9_10device_ptrIiEEEEPS5_jNS1_19radix_merge_compareILb0ELb0EiNS0_19identity_decomposerEEEEE10hipError_tT0_T1_T2_jT3_P12ihipStream_tbPNSt15iterator_traitsISK_E10value_typeEPNSQ_ISL_E10value_typeEPSM_NS1_7vsmem_tEENKUlT_SK_SL_SM_E_clIPiSE_SF_SF_EESJ_SZ_SK_SL_SM_EUlSZ_E1_NS1_11comp_targetILNS1_3genE8ELNS1_11target_archE1030ELNS1_3gpuE2ELNS1_3repE0EEENS1_36merge_oddeven_config_static_selectorELNS0_4arch9wavefront6targetE1EEEvSL_,@function
_ZN7rocprim17ROCPRIM_400000_NS6detail17trampoline_kernelINS0_14default_configENS1_38merge_sort_block_merge_config_selectorIiNS0_10empty_typeEEEZZNS1_27merge_sort_block_merge_implIS3_N6thrust23THRUST_200600_302600_NS6detail15normal_iteratorINS9_10device_ptrIiEEEEPS5_jNS1_19radix_merge_compareILb0ELb0EiNS0_19identity_decomposerEEEEE10hipError_tT0_T1_T2_jT3_P12ihipStream_tbPNSt15iterator_traitsISK_E10value_typeEPNSQ_ISL_E10value_typeEPSM_NS1_7vsmem_tEENKUlT_SK_SL_SM_E_clIPiSE_SF_SF_EESJ_SZ_SK_SL_SM_EUlSZ_E1_NS1_11comp_targetILNS1_3genE8ELNS1_11target_archE1030ELNS1_3gpuE2ELNS1_3repE0EEENS1_36merge_oddeven_config_static_selectorELNS0_4arch9wavefront6targetE1EEEvSL_: ; @_ZN7rocprim17ROCPRIM_400000_NS6detail17trampoline_kernelINS0_14default_configENS1_38merge_sort_block_merge_config_selectorIiNS0_10empty_typeEEEZZNS1_27merge_sort_block_merge_implIS3_N6thrust23THRUST_200600_302600_NS6detail15normal_iteratorINS9_10device_ptrIiEEEEPS5_jNS1_19radix_merge_compareILb0ELb0EiNS0_19identity_decomposerEEEEE10hipError_tT0_T1_T2_jT3_P12ihipStream_tbPNSt15iterator_traitsISK_E10value_typeEPNSQ_ISL_E10value_typeEPSM_NS1_7vsmem_tEENKUlT_SK_SL_SM_E_clIPiSE_SF_SF_EESJ_SZ_SK_SL_SM_EUlSZ_E1_NS1_11comp_targetILNS1_3genE8ELNS1_11target_archE1030ELNS1_3gpuE2ELNS1_3repE0EEENS1_36merge_oddeven_config_static_selectorELNS0_4arch9wavefront6targetE1EEEvSL_
; %bb.0:
	.section	.rodata,"a",@progbits
	.p2align	6, 0x0
	.amdhsa_kernel _ZN7rocprim17ROCPRIM_400000_NS6detail17trampoline_kernelINS0_14default_configENS1_38merge_sort_block_merge_config_selectorIiNS0_10empty_typeEEEZZNS1_27merge_sort_block_merge_implIS3_N6thrust23THRUST_200600_302600_NS6detail15normal_iteratorINS9_10device_ptrIiEEEEPS5_jNS1_19radix_merge_compareILb0ELb0EiNS0_19identity_decomposerEEEEE10hipError_tT0_T1_T2_jT3_P12ihipStream_tbPNSt15iterator_traitsISK_E10value_typeEPNSQ_ISL_E10value_typeEPSM_NS1_7vsmem_tEENKUlT_SK_SL_SM_E_clIPiSE_SF_SF_EESJ_SZ_SK_SL_SM_EUlSZ_E1_NS1_11comp_targetILNS1_3genE8ELNS1_11target_archE1030ELNS1_3gpuE2ELNS1_3repE0EEENS1_36merge_oddeven_config_static_selectorELNS0_4arch9wavefront6targetE1EEEvSL_
		.amdhsa_group_segment_fixed_size 0
		.amdhsa_private_segment_fixed_size 0
		.amdhsa_kernarg_size 48
		.amdhsa_user_sgpr_count 2
		.amdhsa_user_sgpr_dispatch_ptr 0
		.amdhsa_user_sgpr_queue_ptr 0
		.amdhsa_user_sgpr_kernarg_segment_ptr 1
		.amdhsa_user_sgpr_dispatch_id 0
		.amdhsa_user_sgpr_kernarg_preload_length 0
		.amdhsa_user_sgpr_kernarg_preload_offset 0
		.amdhsa_user_sgpr_private_segment_size 0
		.amdhsa_uses_dynamic_stack 0
		.amdhsa_enable_private_segment 0
		.amdhsa_system_sgpr_workgroup_id_x 1
		.amdhsa_system_sgpr_workgroup_id_y 0
		.amdhsa_system_sgpr_workgroup_id_z 0
		.amdhsa_system_sgpr_workgroup_info 0
		.amdhsa_system_vgpr_workitem_id 0
		.amdhsa_next_free_vgpr 1
		.amdhsa_next_free_sgpr 0
		.amdhsa_accum_offset 4
		.amdhsa_reserve_vcc 0
		.amdhsa_float_round_mode_32 0
		.amdhsa_float_round_mode_16_64 0
		.amdhsa_float_denorm_mode_32 3
		.amdhsa_float_denorm_mode_16_64 3
		.amdhsa_dx10_clamp 1
		.amdhsa_ieee_mode 1
		.amdhsa_fp16_overflow 0
		.amdhsa_tg_split 0
		.amdhsa_exception_fp_ieee_invalid_op 0
		.amdhsa_exception_fp_denorm_src 0
		.amdhsa_exception_fp_ieee_div_zero 0
		.amdhsa_exception_fp_ieee_overflow 0
		.amdhsa_exception_fp_ieee_underflow 0
		.amdhsa_exception_fp_ieee_inexact 0
		.amdhsa_exception_int_div_zero 0
	.end_amdhsa_kernel
	.section	.text._ZN7rocprim17ROCPRIM_400000_NS6detail17trampoline_kernelINS0_14default_configENS1_38merge_sort_block_merge_config_selectorIiNS0_10empty_typeEEEZZNS1_27merge_sort_block_merge_implIS3_N6thrust23THRUST_200600_302600_NS6detail15normal_iteratorINS9_10device_ptrIiEEEEPS5_jNS1_19radix_merge_compareILb0ELb0EiNS0_19identity_decomposerEEEEE10hipError_tT0_T1_T2_jT3_P12ihipStream_tbPNSt15iterator_traitsISK_E10value_typeEPNSQ_ISL_E10value_typeEPSM_NS1_7vsmem_tEENKUlT_SK_SL_SM_E_clIPiSE_SF_SF_EESJ_SZ_SK_SL_SM_EUlSZ_E1_NS1_11comp_targetILNS1_3genE8ELNS1_11target_archE1030ELNS1_3gpuE2ELNS1_3repE0EEENS1_36merge_oddeven_config_static_selectorELNS0_4arch9wavefront6targetE1EEEvSL_,"axG",@progbits,_ZN7rocprim17ROCPRIM_400000_NS6detail17trampoline_kernelINS0_14default_configENS1_38merge_sort_block_merge_config_selectorIiNS0_10empty_typeEEEZZNS1_27merge_sort_block_merge_implIS3_N6thrust23THRUST_200600_302600_NS6detail15normal_iteratorINS9_10device_ptrIiEEEEPS5_jNS1_19radix_merge_compareILb0ELb0EiNS0_19identity_decomposerEEEEE10hipError_tT0_T1_T2_jT3_P12ihipStream_tbPNSt15iterator_traitsISK_E10value_typeEPNSQ_ISL_E10value_typeEPSM_NS1_7vsmem_tEENKUlT_SK_SL_SM_E_clIPiSE_SF_SF_EESJ_SZ_SK_SL_SM_EUlSZ_E1_NS1_11comp_targetILNS1_3genE8ELNS1_11target_archE1030ELNS1_3gpuE2ELNS1_3repE0EEENS1_36merge_oddeven_config_static_selectorELNS0_4arch9wavefront6targetE1EEEvSL_,comdat
.Lfunc_end1637:
	.size	_ZN7rocprim17ROCPRIM_400000_NS6detail17trampoline_kernelINS0_14default_configENS1_38merge_sort_block_merge_config_selectorIiNS0_10empty_typeEEEZZNS1_27merge_sort_block_merge_implIS3_N6thrust23THRUST_200600_302600_NS6detail15normal_iteratorINS9_10device_ptrIiEEEEPS5_jNS1_19radix_merge_compareILb0ELb0EiNS0_19identity_decomposerEEEEE10hipError_tT0_T1_T2_jT3_P12ihipStream_tbPNSt15iterator_traitsISK_E10value_typeEPNSQ_ISL_E10value_typeEPSM_NS1_7vsmem_tEENKUlT_SK_SL_SM_E_clIPiSE_SF_SF_EESJ_SZ_SK_SL_SM_EUlSZ_E1_NS1_11comp_targetILNS1_3genE8ELNS1_11target_archE1030ELNS1_3gpuE2ELNS1_3repE0EEENS1_36merge_oddeven_config_static_selectorELNS0_4arch9wavefront6targetE1EEEvSL_, .Lfunc_end1637-_ZN7rocprim17ROCPRIM_400000_NS6detail17trampoline_kernelINS0_14default_configENS1_38merge_sort_block_merge_config_selectorIiNS0_10empty_typeEEEZZNS1_27merge_sort_block_merge_implIS3_N6thrust23THRUST_200600_302600_NS6detail15normal_iteratorINS9_10device_ptrIiEEEEPS5_jNS1_19radix_merge_compareILb0ELb0EiNS0_19identity_decomposerEEEEE10hipError_tT0_T1_T2_jT3_P12ihipStream_tbPNSt15iterator_traitsISK_E10value_typeEPNSQ_ISL_E10value_typeEPSM_NS1_7vsmem_tEENKUlT_SK_SL_SM_E_clIPiSE_SF_SF_EESJ_SZ_SK_SL_SM_EUlSZ_E1_NS1_11comp_targetILNS1_3genE8ELNS1_11target_archE1030ELNS1_3gpuE2ELNS1_3repE0EEENS1_36merge_oddeven_config_static_selectorELNS0_4arch9wavefront6targetE1EEEvSL_
                                        ; -- End function
	.section	.AMDGPU.csdata,"",@progbits
; Kernel info:
; codeLenInByte = 0
; NumSgprs: 6
; NumVgprs: 0
; NumAgprs: 0
; TotalNumVgprs: 0
; ScratchSize: 0
; MemoryBound: 0
; FloatMode: 240
; IeeeMode: 1
; LDSByteSize: 0 bytes/workgroup (compile time only)
; SGPRBlocks: 0
; VGPRBlocks: 0
; NumSGPRsForWavesPerEU: 6
; NumVGPRsForWavesPerEU: 1
; AccumOffset: 4
; Occupancy: 8
; WaveLimiterHint : 0
; COMPUTE_PGM_RSRC2:SCRATCH_EN: 0
; COMPUTE_PGM_RSRC2:USER_SGPR: 2
; COMPUTE_PGM_RSRC2:TRAP_HANDLER: 0
; COMPUTE_PGM_RSRC2:TGID_X_EN: 1
; COMPUTE_PGM_RSRC2:TGID_Y_EN: 0
; COMPUTE_PGM_RSRC2:TGID_Z_EN: 0
; COMPUTE_PGM_RSRC2:TIDIG_COMP_CNT: 0
; COMPUTE_PGM_RSRC3_GFX90A:ACCUM_OFFSET: 0
; COMPUTE_PGM_RSRC3_GFX90A:TG_SPLIT: 0
	.section	.text._ZN7rocprim17ROCPRIM_400000_NS6detail17trampoline_kernelINS0_14default_configENS1_38merge_sort_block_merge_config_selectorIiNS0_10empty_typeEEEZZNS1_27merge_sort_block_merge_implIS3_N6thrust23THRUST_200600_302600_NS6detail15normal_iteratorINS9_10device_ptrIiEEEEPS5_jNS1_19radix_merge_compareILb0ELb0EiNS0_19identity_decomposerEEEEE10hipError_tT0_T1_T2_jT3_P12ihipStream_tbPNSt15iterator_traitsISK_E10value_typeEPNSQ_ISL_E10value_typeEPSM_NS1_7vsmem_tEENKUlT_SK_SL_SM_E_clISE_PiSF_SF_EESJ_SZ_SK_SL_SM_EUlSZ_E_NS1_11comp_targetILNS1_3genE0ELNS1_11target_archE4294967295ELNS1_3gpuE0ELNS1_3repE0EEENS1_48merge_mergepath_partition_config_static_selectorELNS0_4arch9wavefront6targetE1EEEvSL_,"axG",@progbits,_ZN7rocprim17ROCPRIM_400000_NS6detail17trampoline_kernelINS0_14default_configENS1_38merge_sort_block_merge_config_selectorIiNS0_10empty_typeEEEZZNS1_27merge_sort_block_merge_implIS3_N6thrust23THRUST_200600_302600_NS6detail15normal_iteratorINS9_10device_ptrIiEEEEPS5_jNS1_19radix_merge_compareILb0ELb0EiNS0_19identity_decomposerEEEEE10hipError_tT0_T1_T2_jT3_P12ihipStream_tbPNSt15iterator_traitsISK_E10value_typeEPNSQ_ISL_E10value_typeEPSM_NS1_7vsmem_tEENKUlT_SK_SL_SM_E_clISE_PiSF_SF_EESJ_SZ_SK_SL_SM_EUlSZ_E_NS1_11comp_targetILNS1_3genE0ELNS1_11target_archE4294967295ELNS1_3gpuE0ELNS1_3repE0EEENS1_48merge_mergepath_partition_config_static_selectorELNS0_4arch9wavefront6targetE1EEEvSL_,comdat
	.protected	_ZN7rocprim17ROCPRIM_400000_NS6detail17trampoline_kernelINS0_14default_configENS1_38merge_sort_block_merge_config_selectorIiNS0_10empty_typeEEEZZNS1_27merge_sort_block_merge_implIS3_N6thrust23THRUST_200600_302600_NS6detail15normal_iteratorINS9_10device_ptrIiEEEEPS5_jNS1_19radix_merge_compareILb0ELb0EiNS0_19identity_decomposerEEEEE10hipError_tT0_T1_T2_jT3_P12ihipStream_tbPNSt15iterator_traitsISK_E10value_typeEPNSQ_ISL_E10value_typeEPSM_NS1_7vsmem_tEENKUlT_SK_SL_SM_E_clISE_PiSF_SF_EESJ_SZ_SK_SL_SM_EUlSZ_E_NS1_11comp_targetILNS1_3genE0ELNS1_11target_archE4294967295ELNS1_3gpuE0ELNS1_3repE0EEENS1_48merge_mergepath_partition_config_static_selectorELNS0_4arch9wavefront6targetE1EEEvSL_ ; -- Begin function _ZN7rocprim17ROCPRIM_400000_NS6detail17trampoline_kernelINS0_14default_configENS1_38merge_sort_block_merge_config_selectorIiNS0_10empty_typeEEEZZNS1_27merge_sort_block_merge_implIS3_N6thrust23THRUST_200600_302600_NS6detail15normal_iteratorINS9_10device_ptrIiEEEEPS5_jNS1_19radix_merge_compareILb0ELb0EiNS0_19identity_decomposerEEEEE10hipError_tT0_T1_T2_jT3_P12ihipStream_tbPNSt15iterator_traitsISK_E10value_typeEPNSQ_ISL_E10value_typeEPSM_NS1_7vsmem_tEENKUlT_SK_SL_SM_E_clISE_PiSF_SF_EESJ_SZ_SK_SL_SM_EUlSZ_E_NS1_11comp_targetILNS1_3genE0ELNS1_11target_archE4294967295ELNS1_3gpuE0ELNS1_3repE0EEENS1_48merge_mergepath_partition_config_static_selectorELNS0_4arch9wavefront6targetE1EEEvSL_
	.globl	_ZN7rocprim17ROCPRIM_400000_NS6detail17trampoline_kernelINS0_14default_configENS1_38merge_sort_block_merge_config_selectorIiNS0_10empty_typeEEEZZNS1_27merge_sort_block_merge_implIS3_N6thrust23THRUST_200600_302600_NS6detail15normal_iteratorINS9_10device_ptrIiEEEEPS5_jNS1_19radix_merge_compareILb0ELb0EiNS0_19identity_decomposerEEEEE10hipError_tT0_T1_T2_jT3_P12ihipStream_tbPNSt15iterator_traitsISK_E10value_typeEPNSQ_ISL_E10value_typeEPSM_NS1_7vsmem_tEENKUlT_SK_SL_SM_E_clISE_PiSF_SF_EESJ_SZ_SK_SL_SM_EUlSZ_E_NS1_11comp_targetILNS1_3genE0ELNS1_11target_archE4294967295ELNS1_3gpuE0ELNS1_3repE0EEENS1_48merge_mergepath_partition_config_static_selectorELNS0_4arch9wavefront6targetE1EEEvSL_
	.p2align	8
	.type	_ZN7rocprim17ROCPRIM_400000_NS6detail17trampoline_kernelINS0_14default_configENS1_38merge_sort_block_merge_config_selectorIiNS0_10empty_typeEEEZZNS1_27merge_sort_block_merge_implIS3_N6thrust23THRUST_200600_302600_NS6detail15normal_iteratorINS9_10device_ptrIiEEEEPS5_jNS1_19radix_merge_compareILb0ELb0EiNS0_19identity_decomposerEEEEE10hipError_tT0_T1_T2_jT3_P12ihipStream_tbPNSt15iterator_traitsISK_E10value_typeEPNSQ_ISL_E10value_typeEPSM_NS1_7vsmem_tEENKUlT_SK_SL_SM_E_clISE_PiSF_SF_EESJ_SZ_SK_SL_SM_EUlSZ_E_NS1_11comp_targetILNS1_3genE0ELNS1_11target_archE4294967295ELNS1_3gpuE0ELNS1_3repE0EEENS1_48merge_mergepath_partition_config_static_selectorELNS0_4arch9wavefront6targetE1EEEvSL_,@function
_ZN7rocprim17ROCPRIM_400000_NS6detail17trampoline_kernelINS0_14default_configENS1_38merge_sort_block_merge_config_selectorIiNS0_10empty_typeEEEZZNS1_27merge_sort_block_merge_implIS3_N6thrust23THRUST_200600_302600_NS6detail15normal_iteratorINS9_10device_ptrIiEEEEPS5_jNS1_19radix_merge_compareILb0ELb0EiNS0_19identity_decomposerEEEEE10hipError_tT0_T1_T2_jT3_P12ihipStream_tbPNSt15iterator_traitsISK_E10value_typeEPNSQ_ISL_E10value_typeEPSM_NS1_7vsmem_tEENKUlT_SK_SL_SM_E_clISE_PiSF_SF_EESJ_SZ_SK_SL_SM_EUlSZ_E_NS1_11comp_targetILNS1_3genE0ELNS1_11target_archE4294967295ELNS1_3gpuE0ELNS1_3repE0EEENS1_48merge_mergepath_partition_config_static_selectorELNS0_4arch9wavefront6targetE1EEEvSL_: ; @_ZN7rocprim17ROCPRIM_400000_NS6detail17trampoline_kernelINS0_14default_configENS1_38merge_sort_block_merge_config_selectorIiNS0_10empty_typeEEEZZNS1_27merge_sort_block_merge_implIS3_N6thrust23THRUST_200600_302600_NS6detail15normal_iteratorINS9_10device_ptrIiEEEEPS5_jNS1_19radix_merge_compareILb0ELb0EiNS0_19identity_decomposerEEEEE10hipError_tT0_T1_T2_jT3_P12ihipStream_tbPNSt15iterator_traitsISK_E10value_typeEPNSQ_ISL_E10value_typeEPSM_NS1_7vsmem_tEENKUlT_SK_SL_SM_E_clISE_PiSF_SF_EESJ_SZ_SK_SL_SM_EUlSZ_E_NS1_11comp_targetILNS1_3genE0ELNS1_11target_archE4294967295ELNS1_3gpuE0ELNS1_3repE0EEENS1_48merge_mergepath_partition_config_static_selectorELNS0_4arch9wavefront6targetE1EEEvSL_
; %bb.0:
	.section	.rodata,"a",@progbits
	.p2align	6, 0x0
	.amdhsa_kernel _ZN7rocprim17ROCPRIM_400000_NS6detail17trampoline_kernelINS0_14default_configENS1_38merge_sort_block_merge_config_selectorIiNS0_10empty_typeEEEZZNS1_27merge_sort_block_merge_implIS3_N6thrust23THRUST_200600_302600_NS6detail15normal_iteratorINS9_10device_ptrIiEEEEPS5_jNS1_19radix_merge_compareILb0ELb0EiNS0_19identity_decomposerEEEEE10hipError_tT0_T1_T2_jT3_P12ihipStream_tbPNSt15iterator_traitsISK_E10value_typeEPNSQ_ISL_E10value_typeEPSM_NS1_7vsmem_tEENKUlT_SK_SL_SM_E_clISE_PiSF_SF_EESJ_SZ_SK_SL_SM_EUlSZ_E_NS1_11comp_targetILNS1_3genE0ELNS1_11target_archE4294967295ELNS1_3gpuE0ELNS1_3repE0EEENS1_48merge_mergepath_partition_config_static_selectorELNS0_4arch9wavefront6targetE1EEEvSL_
		.amdhsa_group_segment_fixed_size 0
		.amdhsa_private_segment_fixed_size 0
		.amdhsa_kernarg_size 40
		.amdhsa_user_sgpr_count 2
		.amdhsa_user_sgpr_dispatch_ptr 0
		.amdhsa_user_sgpr_queue_ptr 0
		.amdhsa_user_sgpr_kernarg_segment_ptr 1
		.amdhsa_user_sgpr_dispatch_id 0
		.amdhsa_user_sgpr_kernarg_preload_length 0
		.amdhsa_user_sgpr_kernarg_preload_offset 0
		.amdhsa_user_sgpr_private_segment_size 0
		.amdhsa_uses_dynamic_stack 0
		.amdhsa_enable_private_segment 0
		.amdhsa_system_sgpr_workgroup_id_x 1
		.amdhsa_system_sgpr_workgroup_id_y 0
		.amdhsa_system_sgpr_workgroup_id_z 0
		.amdhsa_system_sgpr_workgroup_info 0
		.amdhsa_system_vgpr_workitem_id 0
		.amdhsa_next_free_vgpr 1
		.amdhsa_next_free_sgpr 0
		.amdhsa_accum_offset 4
		.amdhsa_reserve_vcc 0
		.amdhsa_float_round_mode_32 0
		.amdhsa_float_round_mode_16_64 0
		.amdhsa_float_denorm_mode_32 3
		.amdhsa_float_denorm_mode_16_64 3
		.amdhsa_dx10_clamp 1
		.amdhsa_ieee_mode 1
		.amdhsa_fp16_overflow 0
		.amdhsa_tg_split 0
		.amdhsa_exception_fp_ieee_invalid_op 0
		.amdhsa_exception_fp_denorm_src 0
		.amdhsa_exception_fp_ieee_div_zero 0
		.amdhsa_exception_fp_ieee_overflow 0
		.amdhsa_exception_fp_ieee_underflow 0
		.amdhsa_exception_fp_ieee_inexact 0
		.amdhsa_exception_int_div_zero 0
	.end_amdhsa_kernel
	.section	.text._ZN7rocprim17ROCPRIM_400000_NS6detail17trampoline_kernelINS0_14default_configENS1_38merge_sort_block_merge_config_selectorIiNS0_10empty_typeEEEZZNS1_27merge_sort_block_merge_implIS3_N6thrust23THRUST_200600_302600_NS6detail15normal_iteratorINS9_10device_ptrIiEEEEPS5_jNS1_19radix_merge_compareILb0ELb0EiNS0_19identity_decomposerEEEEE10hipError_tT0_T1_T2_jT3_P12ihipStream_tbPNSt15iterator_traitsISK_E10value_typeEPNSQ_ISL_E10value_typeEPSM_NS1_7vsmem_tEENKUlT_SK_SL_SM_E_clISE_PiSF_SF_EESJ_SZ_SK_SL_SM_EUlSZ_E_NS1_11comp_targetILNS1_3genE0ELNS1_11target_archE4294967295ELNS1_3gpuE0ELNS1_3repE0EEENS1_48merge_mergepath_partition_config_static_selectorELNS0_4arch9wavefront6targetE1EEEvSL_,"axG",@progbits,_ZN7rocprim17ROCPRIM_400000_NS6detail17trampoline_kernelINS0_14default_configENS1_38merge_sort_block_merge_config_selectorIiNS0_10empty_typeEEEZZNS1_27merge_sort_block_merge_implIS3_N6thrust23THRUST_200600_302600_NS6detail15normal_iteratorINS9_10device_ptrIiEEEEPS5_jNS1_19radix_merge_compareILb0ELb0EiNS0_19identity_decomposerEEEEE10hipError_tT0_T1_T2_jT3_P12ihipStream_tbPNSt15iterator_traitsISK_E10value_typeEPNSQ_ISL_E10value_typeEPSM_NS1_7vsmem_tEENKUlT_SK_SL_SM_E_clISE_PiSF_SF_EESJ_SZ_SK_SL_SM_EUlSZ_E_NS1_11comp_targetILNS1_3genE0ELNS1_11target_archE4294967295ELNS1_3gpuE0ELNS1_3repE0EEENS1_48merge_mergepath_partition_config_static_selectorELNS0_4arch9wavefront6targetE1EEEvSL_,comdat
.Lfunc_end1638:
	.size	_ZN7rocprim17ROCPRIM_400000_NS6detail17trampoline_kernelINS0_14default_configENS1_38merge_sort_block_merge_config_selectorIiNS0_10empty_typeEEEZZNS1_27merge_sort_block_merge_implIS3_N6thrust23THRUST_200600_302600_NS6detail15normal_iteratorINS9_10device_ptrIiEEEEPS5_jNS1_19radix_merge_compareILb0ELb0EiNS0_19identity_decomposerEEEEE10hipError_tT0_T1_T2_jT3_P12ihipStream_tbPNSt15iterator_traitsISK_E10value_typeEPNSQ_ISL_E10value_typeEPSM_NS1_7vsmem_tEENKUlT_SK_SL_SM_E_clISE_PiSF_SF_EESJ_SZ_SK_SL_SM_EUlSZ_E_NS1_11comp_targetILNS1_3genE0ELNS1_11target_archE4294967295ELNS1_3gpuE0ELNS1_3repE0EEENS1_48merge_mergepath_partition_config_static_selectorELNS0_4arch9wavefront6targetE1EEEvSL_, .Lfunc_end1638-_ZN7rocprim17ROCPRIM_400000_NS6detail17trampoline_kernelINS0_14default_configENS1_38merge_sort_block_merge_config_selectorIiNS0_10empty_typeEEEZZNS1_27merge_sort_block_merge_implIS3_N6thrust23THRUST_200600_302600_NS6detail15normal_iteratorINS9_10device_ptrIiEEEEPS5_jNS1_19radix_merge_compareILb0ELb0EiNS0_19identity_decomposerEEEEE10hipError_tT0_T1_T2_jT3_P12ihipStream_tbPNSt15iterator_traitsISK_E10value_typeEPNSQ_ISL_E10value_typeEPSM_NS1_7vsmem_tEENKUlT_SK_SL_SM_E_clISE_PiSF_SF_EESJ_SZ_SK_SL_SM_EUlSZ_E_NS1_11comp_targetILNS1_3genE0ELNS1_11target_archE4294967295ELNS1_3gpuE0ELNS1_3repE0EEENS1_48merge_mergepath_partition_config_static_selectorELNS0_4arch9wavefront6targetE1EEEvSL_
                                        ; -- End function
	.section	.AMDGPU.csdata,"",@progbits
; Kernel info:
; codeLenInByte = 0
; NumSgprs: 6
; NumVgprs: 0
; NumAgprs: 0
; TotalNumVgprs: 0
; ScratchSize: 0
; MemoryBound: 0
; FloatMode: 240
; IeeeMode: 1
; LDSByteSize: 0 bytes/workgroup (compile time only)
; SGPRBlocks: 0
; VGPRBlocks: 0
; NumSGPRsForWavesPerEU: 6
; NumVGPRsForWavesPerEU: 1
; AccumOffset: 4
; Occupancy: 8
; WaveLimiterHint : 0
; COMPUTE_PGM_RSRC2:SCRATCH_EN: 0
; COMPUTE_PGM_RSRC2:USER_SGPR: 2
; COMPUTE_PGM_RSRC2:TRAP_HANDLER: 0
; COMPUTE_PGM_RSRC2:TGID_X_EN: 1
; COMPUTE_PGM_RSRC2:TGID_Y_EN: 0
; COMPUTE_PGM_RSRC2:TGID_Z_EN: 0
; COMPUTE_PGM_RSRC2:TIDIG_COMP_CNT: 0
; COMPUTE_PGM_RSRC3_GFX90A:ACCUM_OFFSET: 0
; COMPUTE_PGM_RSRC3_GFX90A:TG_SPLIT: 0
	.section	.text._ZN7rocprim17ROCPRIM_400000_NS6detail17trampoline_kernelINS0_14default_configENS1_38merge_sort_block_merge_config_selectorIiNS0_10empty_typeEEEZZNS1_27merge_sort_block_merge_implIS3_N6thrust23THRUST_200600_302600_NS6detail15normal_iteratorINS9_10device_ptrIiEEEEPS5_jNS1_19radix_merge_compareILb0ELb0EiNS0_19identity_decomposerEEEEE10hipError_tT0_T1_T2_jT3_P12ihipStream_tbPNSt15iterator_traitsISK_E10value_typeEPNSQ_ISL_E10value_typeEPSM_NS1_7vsmem_tEENKUlT_SK_SL_SM_E_clISE_PiSF_SF_EESJ_SZ_SK_SL_SM_EUlSZ_E_NS1_11comp_targetILNS1_3genE10ELNS1_11target_archE1201ELNS1_3gpuE5ELNS1_3repE0EEENS1_48merge_mergepath_partition_config_static_selectorELNS0_4arch9wavefront6targetE1EEEvSL_,"axG",@progbits,_ZN7rocprim17ROCPRIM_400000_NS6detail17trampoline_kernelINS0_14default_configENS1_38merge_sort_block_merge_config_selectorIiNS0_10empty_typeEEEZZNS1_27merge_sort_block_merge_implIS3_N6thrust23THRUST_200600_302600_NS6detail15normal_iteratorINS9_10device_ptrIiEEEEPS5_jNS1_19radix_merge_compareILb0ELb0EiNS0_19identity_decomposerEEEEE10hipError_tT0_T1_T2_jT3_P12ihipStream_tbPNSt15iterator_traitsISK_E10value_typeEPNSQ_ISL_E10value_typeEPSM_NS1_7vsmem_tEENKUlT_SK_SL_SM_E_clISE_PiSF_SF_EESJ_SZ_SK_SL_SM_EUlSZ_E_NS1_11comp_targetILNS1_3genE10ELNS1_11target_archE1201ELNS1_3gpuE5ELNS1_3repE0EEENS1_48merge_mergepath_partition_config_static_selectorELNS0_4arch9wavefront6targetE1EEEvSL_,comdat
	.protected	_ZN7rocprim17ROCPRIM_400000_NS6detail17trampoline_kernelINS0_14default_configENS1_38merge_sort_block_merge_config_selectorIiNS0_10empty_typeEEEZZNS1_27merge_sort_block_merge_implIS3_N6thrust23THRUST_200600_302600_NS6detail15normal_iteratorINS9_10device_ptrIiEEEEPS5_jNS1_19radix_merge_compareILb0ELb0EiNS0_19identity_decomposerEEEEE10hipError_tT0_T1_T2_jT3_P12ihipStream_tbPNSt15iterator_traitsISK_E10value_typeEPNSQ_ISL_E10value_typeEPSM_NS1_7vsmem_tEENKUlT_SK_SL_SM_E_clISE_PiSF_SF_EESJ_SZ_SK_SL_SM_EUlSZ_E_NS1_11comp_targetILNS1_3genE10ELNS1_11target_archE1201ELNS1_3gpuE5ELNS1_3repE0EEENS1_48merge_mergepath_partition_config_static_selectorELNS0_4arch9wavefront6targetE1EEEvSL_ ; -- Begin function _ZN7rocprim17ROCPRIM_400000_NS6detail17trampoline_kernelINS0_14default_configENS1_38merge_sort_block_merge_config_selectorIiNS0_10empty_typeEEEZZNS1_27merge_sort_block_merge_implIS3_N6thrust23THRUST_200600_302600_NS6detail15normal_iteratorINS9_10device_ptrIiEEEEPS5_jNS1_19radix_merge_compareILb0ELb0EiNS0_19identity_decomposerEEEEE10hipError_tT0_T1_T2_jT3_P12ihipStream_tbPNSt15iterator_traitsISK_E10value_typeEPNSQ_ISL_E10value_typeEPSM_NS1_7vsmem_tEENKUlT_SK_SL_SM_E_clISE_PiSF_SF_EESJ_SZ_SK_SL_SM_EUlSZ_E_NS1_11comp_targetILNS1_3genE10ELNS1_11target_archE1201ELNS1_3gpuE5ELNS1_3repE0EEENS1_48merge_mergepath_partition_config_static_selectorELNS0_4arch9wavefront6targetE1EEEvSL_
	.globl	_ZN7rocprim17ROCPRIM_400000_NS6detail17trampoline_kernelINS0_14default_configENS1_38merge_sort_block_merge_config_selectorIiNS0_10empty_typeEEEZZNS1_27merge_sort_block_merge_implIS3_N6thrust23THRUST_200600_302600_NS6detail15normal_iteratorINS9_10device_ptrIiEEEEPS5_jNS1_19radix_merge_compareILb0ELb0EiNS0_19identity_decomposerEEEEE10hipError_tT0_T1_T2_jT3_P12ihipStream_tbPNSt15iterator_traitsISK_E10value_typeEPNSQ_ISL_E10value_typeEPSM_NS1_7vsmem_tEENKUlT_SK_SL_SM_E_clISE_PiSF_SF_EESJ_SZ_SK_SL_SM_EUlSZ_E_NS1_11comp_targetILNS1_3genE10ELNS1_11target_archE1201ELNS1_3gpuE5ELNS1_3repE0EEENS1_48merge_mergepath_partition_config_static_selectorELNS0_4arch9wavefront6targetE1EEEvSL_
	.p2align	8
	.type	_ZN7rocprim17ROCPRIM_400000_NS6detail17trampoline_kernelINS0_14default_configENS1_38merge_sort_block_merge_config_selectorIiNS0_10empty_typeEEEZZNS1_27merge_sort_block_merge_implIS3_N6thrust23THRUST_200600_302600_NS6detail15normal_iteratorINS9_10device_ptrIiEEEEPS5_jNS1_19radix_merge_compareILb0ELb0EiNS0_19identity_decomposerEEEEE10hipError_tT0_T1_T2_jT3_P12ihipStream_tbPNSt15iterator_traitsISK_E10value_typeEPNSQ_ISL_E10value_typeEPSM_NS1_7vsmem_tEENKUlT_SK_SL_SM_E_clISE_PiSF_SF_EESJ_SZ_SK_SL_SM_EUlSZ_E_NS1_11comp_targetILNS1_3genE10ELNS1_11target_archE1201ELNS1_3gpuE5ELNS1_3repE0EEENS1_48merge_mergepath_partition_config_static_selectorELNS0_4arch9wavefront6targetE1EEEvSL_,@function
_ZN7rocprim17ROCPRIM_400000_NS6detail17trampoline_kernelINS0_14default_configENS1_38merge_sort_block_merge_config_selectorIiNS0_10empty_typeEEEZZNS1_27merge_sort_block_merge_implIS3_N6thrust23THRUST_200600_302600_NS6detail15normal_iteratorINS9_10device_ptrIiEEEEPS5_jNS1_19radix_merge_compareILb0ELb0EiNS0_19identity_decomposerEEEEE10hipError_tT0_T1_T2_jT3_P12ihipStream_tbPNSt15iterator_traitsISK_E10value_typeEPNSQ_ISL_E10value_typeEPSM_NS1_7vsmem_tEENKUlT_SK_SL_SM_E_clISE_PiSF_SF_EESJ_SZ_SK_SL_SM_EUlSZ_E_NS1_11comp_targetILNS1_3genE10ELNS1_11target_archE1201ELNS1_3gpuE5ELNS1_3repE0EEENS1_48merge_mergepath_partition_config_static_selectorELNS0_4arch9wavefront6targetE1EEEvSL_: ; @_ZN7rocprim17ROCPRIM_400000_NS6detail17trampoline_kernelINS0_14default_configENS1_38merge_sort_block_merge_config_selectorIiNS0_10empty_typeEEEZZNS1_27merge_sort_block_merge_implIS3_N6thrust23THRUST_200600_302600_NS6detail15normal_iteratorINS9_10device_ptrIiEEEEPS5_jNS1_19radix_merge_compareILb0ELb0EiNS0_19identity_decomposerEEEEE10hipError_tT0_T1_T2_jT3_P12ihipStream_tbPNSt15iterator_traitsISK_E10value_typeEPNSQ_ISL_E10value_typeEPSM_NS1_7vsmem_tEENKUlT_SK_SL_SM_E_clISE_PiSF_SF_EESJ_SZ_SK_SL_SM_EUlSZ_E_NS1_11comp_targetILNS1_3genE10ELNS1_11target_archE1201ELNS1_3gpuE5ELNS1_3repE0EEENS1_48merge_mergepath_partition_config_static_selectorELNS0_4arch9wavefront6targetE1EEEvSL_
; %bb.0:
	.section	.rodata,"a",@progbits
	.p2align	6, 0x0
	.amdhsa_kernel _ZN7rocprim17ROCPRIM_400000_NS6detail17trampoline_kernelINS0_14default_configENS1_38merge_sort_block_merge_config_selectorIiNS0_10empty_typeEEEZZNS1_27merge_sort_block_merge_implIS3_N6thrust23THRUST_200600_302600_NS6detail15normal_iteratorINS9_10device_ptrIiEEEEPS5_jNS1_19radix_merge_compareILb0ELb0EiNS0_19identity_decomposerEEEEE10hipError_tT0_T1_T2_jT3_P12ihipStream_tbPNSt15iterator_traitsISK_E10value_typeEPNSQ_ISL_E10value_typeEPSM_NS1_7vsmem_tEENKUlT_SK_SL_SM_E_clISE_PiSF_SF_EESJ_SZ_SK_SL_SM_EUlSZ_E_NS1_11comp_targetILNS1_3genE10ELNS1_11target_archE1201ELNS1_3gpuE5ELNS1_3repE0EEENS1_48merge_mergepath_partition_config_static_selectorELNS0_4arch9wavefront6targetE1EEEvSL_
		.amdhsa_group_segment_fixed_size 0
		.amdhsa_private_segment_fixed_size 0
		.amdhsa_kernarg_size 40
		.amdhsa_user_sgpr_count 2
		.amdhsa_user_sgpr_dispatch_ptr 0
		.amdhsa_user_sgpr_queue_ptr 0
		.amdhsa_user_sgpr_kernarg_segment_ptr 1
		.amdhsa_user_sgpr_dispatch_id 0
		.amdhsa_user_sgpr_kernarg_preload_length 0
		.amdhsa_user_sgpr_kernarg_preload_offset 0
		.amdhsa_user_sgpr_private_segment_size 0
		.amdhsa_uses_dynamic_stack 0
		.amdhsa_enable_private_segment 0
		.amdhsa_system_sgpr_workgroup_id_x 1
		.amdhsa_system_sgpr_workgroup_id_y 0
		.amdhsa_system_sgpr_workgroup_id_z 0
		.amdhsa_system_sgpr_workgroup_info 0
		.amdhsa_system_vgpr_workitem_id 0
		.amdhsa_next_free_vgpr 1
		.amdhsa_next_free_sgpr 0
		.amdhsa_accum_offset 4
		.amdhsa_reserve_vcc 0
		.amdhsa_float_round_mode_32 0
		.amdhsa_float_round_mode_16_64 0
		.amdhsa_float_denorm_mode_32 3
		.amdhsa_float_denorm_mode_16_64 3
		.amdhsa_dx10_clamp 1
		.amdhsa_ieee_mode 1
		.amdhsa_fp16_overflow 0
		.amdhsa_tg_split 0
		.amdhsa_exception_fp_ieee_invalid_op 0
		.amdhsa_exception_fp_denorm_src 0
		.amdhsa_exception_fp_ieee_div_zero 0
		.amdhsa_exception_fp_ieee_overflow 0
		.amdhsa_exception_fp_ieee_underflow 0
		.amdhsa_exception_fp_ieee_inexact 0
		.amdhsa_exception_int_div_zero 0
	.end_amdhsa_kernel
	.section	.text._ZN7rocprim17ROCPRIM_400000_NS6detail17trampoline_kernelINS0_14default_configENS1_38merge_sort_block_merge_config_selectorIiNS0_10empty_typeEEEZZNS1_27merge_sort_block_merge_implIS3_N6thrust23THRUST_200600_302600_NS6detail15normal_iteratorINS9_10device_ptrIiEEEEPS5_jNS1_19radix_merge_compareILb0ELb0EiNS0_19identity_decomposerEEEEE10hipError_tT0_T1_T2_jT3_P12ihipStream_tbPNSt15iterator_traitsISK_E10value_typeEPNSQ_ISL_E10value_typeEPSM_NS1_7vsmem_tEENKUlT_SK_SL_SM_E_clISE_PiSF_SF_EESJ_SZ_SK_SL_SM_EUlSZ_E_NS1_11comp_targetILNS1_3genE10ELNS1_11target_archE1201ELNS1_3gpuE5ELNS1_3repE0EEENS1_48merge_mergepath_partition_config_static_selectorELNS0_4arch9wavefront6targetE1EEEvSL_,"axG",@progbits,_ZN7rocprim17ROCPRIM_400000_NS6detail17trampoline_kernelINS0_14default_configENS1_38merge_sort_block_merge_config_selectorIiNS0_10empty_typeEEEZZNS1_27merge_sort_block_merge_implIS3_N6thrust23THRUST_200600_302600_NS6detail15normal_iteratorINS9_10device_ptrIiEEEEPS5_jNS1_19radix_merge_compareILb0ELb0EiNS0_19identity_decomposerEEEEE10hipError_tT0_T1_T2_jT3_P12ihipStream_tbPNSt15iterator_traitsISK_E10value_typeEPNSQ_ISL_E10value_typeEPSM_NS1_7vsmem_tEENKUlT_SK_SL_SM_E_clISE_PiSF_SF_EESJ_SZ_SK_SL_SM_EUlSZ_E_NS1_11comp_targetILNS1_3genE10ELNS1_11target_archE1201ELNS1_3gpuE5ELNS1_3repE0EEENS1_48merge_mergepath_partition_config_static_selectorELNS0_4arch9wavefront6targetE1EEEvSL_,comdat
.Lfunc_end1639:
	.size	_ZN7rocprim17ROCPRIM_400000_NS6detail17trampoline_kernelINS0_14default_configENS1_38merge_sort_block_merge_config_selectorIiNS0_10empty_typeEEEZZNS1_27merge_sort_block_merge_implIS3_N6thrust23THRUST_200600_302600_NS6detail15normal_iteratorINS9_10device_ptrIiEEEEPS5_jNS1_19radix_merge_compareILb0ELb0EiNS0_19identity_decomposerEEEEE10hipError_tT0_T1_T2_jT3_P12ihipStream_tbPNSt15iterator_traitsISK_E10value_typeEPNSQ_ISL_E10value_typeEPSM_NS1_7vsmem_tEENKUlT_SK_SL_SM_E_clISE_PiSF_SF_EESJ_SZ_SK_SL_SM_EUlSZ_E_NS1_11comp_targetILNS1_3genE10ELNS1_11target_archE1201ELNS1_3gpuE5ELNS1_3repE0EEENS1_48merge_mergepath_partition_config_static_selectorELNS0_4arch9wavefront6targetE1EEEvSL_, .Lfunc_end1639-_ZN7rocprim17ROCPRIM_400000_NS6detail17trampoline_kernelINS0_14default_configENS1_38merge_sort_block_merge_config_selectorIiNS0_10empty_typeEEEZZNS1_27merge_sort_block_merge_implIS3_N6thrust23THRUST_200600_302600_NS6detail15normal_iteratorINS9_10device_ptrIiEEEEPS5_jNS1_19radix_merge_compareILb0ELb0EiNS0_19identity_decomposerEEEEE10hipError_tT0_T1_T2_jT3_P12ihipStream_tbPNSt15iterator_traitsISK_E10value_typeEPNSQ_ISL_E10value_typeEPSM_NS1_7vsmem_tEENKUlT_SK_SL_SM_E_clISE_PiSF_SF_EESJ_SZ_SK_SL_SM_EUlSZ_E_NS1_11comp_targetILNS1_3genE10ELNS1_11target_archE1201ELNS1_3gpuE5ELNS1_3repE0EEENS1_48merge_mergepath_partition_config_static_selectorELNS0_4arch9wavefront6targetE1EEEvSL_
                                        ; -- End function
	.section	.AMDGPU.csdata,"",@progbits
; Kernel info:
; codeLenInByte = 0
; NumSgprs: 6
; NumVgprs: 0
; NumAgprs: 0
; TotalNumVgprs: 0
; ScratchSize: 0
; MemoryBound: 0
; FloatMode: 240
; IeeeMode: 1
; LDSByteSize: 0 bytes/workgroup (compile time only)
; SGPRBlocks: 0
; VGPRBlocks: 0
; NumSGPRsForWavesPerEU: 6
; NumVGPRsForWavesPerEU: 1
; AccumOffset: 4
; Occupancy: 8
; WaveLimiterHint : 0
; COMPUTE_PGM_RSRC2:SCRATCH_EN: 0
; COMPUTE_PGM_RSRC2:USER_SGPR: 2
; COMPUTE_PGM_RSRC2:TRAP_HANDLER: 0
; COMPUTE_PGM_RSRC2:TGID_X_EN: 1
; COMPUTE_PGM_RSRC2:TGID_Y_EN: 0
; COMPUTE_PGM_RSRC2:TGID_Z_EN: 0
; COMPUTE_PGM_RSRC2:TIDIG_COMP_CNT: 0
; COMPUTE_PGM_RSRC3_GFX90A:ACCUM_OFFSET: 0
; COMPUTE_PGM_RSRC3_GFX90A:TG_SPLIT: 0
	.section	.text._ZN7rocprim17ROCPRIM_400000_NS6detail17trampoline_kernelINS0_14default_configENS1_38merge_sort_block_merge_config_selectorIiNS0_10empty_typeEEEZZNS1_27merge_sort_block_merge_implIS3_N6thrust23THRUST_200600_302600_NS6detail15normal_iteratorINS9_10device_ptrIiEEEEPS5_jNS1_19radix_merge_compareILb0ELb0EiNS0_19identity_decomposerEEEEE10hipError_tT0_T1_T2_jT3_P12ihipStream_tbPNSt15iterator_traitsISK_E10value_typeEPNSQ_ISL_E10value_typeEPSM_NS1_7vsmem_tEENKUlT_SK_SL_SM_E_clISE_PiSF_SF_EESJ_SZ_SK_SL_SM_EUlSZ_E_NS1_11comp_targetILNS1_3genE5ELNS1_11target_archE942ELNS1_3gpuE9ELNS1_3repE0EEENS1_48merge_mergepath_partition_config_static_selectorELNS0_4arch9wavefront6targetE1EEEvSL_,"axG",@progbits,_ZN7rocprim17ROCPRIM_400000_NS6detail17trampoline_kernelINS0_14default_configENS1_38merge_sort_block_merge_config_selectorIiNS0_10empty_typeEEEZZNS1_27merge_sort_block_merge_implIS3_N6thrust23THRUST_200600_302600_NS6detail15normal_iteratorINS9_10device_ptrIiEEEEPS5_jNS1_19radix_merge_compareILb0ELb0EiNS0_19identity_decomposerEEEEE10hipError_tT0_T1_T2_jT3_P12ihipStream_tbPNSt15iterator_traitsISK_E10value_typeEPNSQ_ISL_E10value_typeEPSM_NS1_7vsmem_tEENKUlT_SK_SL_SM_E_clISE_PiSF_SF_EESJ_SZ_SK_SL_SM_EUlSZ_E_NS1_11comp_targetILNS1_3genE5ELNS1_11target_archE942ELNS1_3gpuE9ELNS1_3repE0EEENS1_48merge_mergepath_partition_config_static_selectorELNS0_4arch9wavefront6targetE1EEEvSL_,comdat
	.protected	_ZN7rocprim17ROCPRIM_400000_NS6detail17trampoline_kernelINS0_14default_configENS1_38merge_sort_block_merge_config_selectorIiNS0_10empty_typeEEEZZNS1_27merge_sort_block_merge_implIS3_N6thrust23THRUST_200600_302600_NS6detail15normal_iteratorINS9_10device_ptrIiEEEEPS5_jNS1_19radix_merge_compareILb0ELb0EiNS0_19identity_decomposerEEEEE10hipError_tT0_T1_T2_jT3_P12ihipStream_tbPNSt15iterator_traitsISK_E10value_typeEPNSQ_ISL_E10value_typeEPSM_NS1_7vsmem_tEENKUlT_SK_SL_SM_E_clISE_PiSF_SF_EESJ_SZ_SK_SL_SM_EUlSZ_E_NS1_11comp_targetILNS1_3genE5ELNS1_11target_archE942ELNS1_3gpuE9ELNS1_3repE0EEENS1_48merge_mergepath_partition_config_static_selectorELNS0_4arch9wavefront6targetE1EEEvSL_ ; -- Begin function _ZN7rocprim17ROCPRIM_400000_NS6detail17trampoline_kernelINS0_14default_configENS1_38merge_sort_block_merge_config_selectorIiNS0_10empty_typeEEEZZNS1_27merge_sort_block_merge_implIS3_N6thrust23THRUST_200600_302600_NS6detail15normal_iteratorINS9_10device_ptrIiEEEEPS5_jNS1_19radix_merge_compareILb0ELb0EiNS0_19identity_decomposerEEEEE10hipError_tT0_T1_T2_jT3_P12ihipStream_tbPNSt15iterator_traitsISK_E10value_typeEPNSQ_ISL_E10value_typeEPSM_NS1_7vsmem_tEENKUlT_SK_SL_SM_E_clISE_PiSF_SF_EESJ_SZ_SK_SL_SM_EUlSZ_E_NS1_11comp_targetILNS1_3genE5ELNS1_11target_archE942ELNS1_3gpuE9ELNS1_3repE0EEENS1_48merge_mergepath_partition_config_static_selectorELNS0_4arch9wavefront6targetE1EEEvSL_
	.globl	_ZN7rocprim17ROCPRIM_400000_NS6detail17trampoline_kernelINS0_14default_configENS1_38merge_sort_block_merge_config_selectorIiNS0_10empty_typeEEEZZNS1_27merge_sort_block_merge_implIS3_N6thrust23THRUST_200600_302600_NS6detail15normal_iteratorINS9_10device_ptrIiEEEEPS5_jNS1_19radix_merge_compareILb0ELb0EiNS0_19identity_decomposerEEEEE10hipError_tT0_T1_T2_jT3_P12ihipStream_tbPNSt15iterator_traitsISK_E10value_typeEPNSQ_ISL_E10value_typeEPSM_NS1_7vsmem_tEENKUlT_SK_SL_SM_E_clISE_PiSF_SF_EESJ_SZ_SK_SL_SM_EUlSZ_E_NS1_11comp_targetILNS1_3genE5ELNS1_11target_archE942ELNS1_3gpuE9ELNS1_3repE0EEENS1_48merge_mergepath_partition_config_static_selectorELNS0_4arch9wavefront6targetE1EEEvSL_
	.p2align	8
	.type	_ZN7rocprim17ROCPRIM_400000_NS6detail17trampoline_kernelINS0_14default_configENS1_38merge_sort_block_merge_config_selectorIiNS0_10empty_typeEEEZZNS1_27merge_sort_block_merge_implIS3_N6thrust23THRUST_200600_302600_NS6detail15normal_iteratorINS9_10device_ptrIiEEEEPS5_jNS1_19radix_merge_compareILb0ELb0EiNS0_19identity_decomposerEEEEE10hipError_tT0_T1_T2_jT3_P12ihipStream_tbPNSt15iterator_traitsISK_E10value_typeEPNSQ_ISL_E10value_typeEPSM_NS1_7vsmem_tEENKUlT_SK_SL_SM_E_clISE_PiSF_SF_EESJ_SZ_SK_SL_SM_EUlSZ_E_NS1_11comp_targetILNS1_3genE5ELNS1_11target_archE942ELNS1_3gpuE9ELNS1_3repE0EEENS1_48merge_mergepath_partition_config_static_selectorELNS0_4arch9wavefront6targetE1EEEvSL_,@function
_ZN7rocprim17ROCPRIM_400000_NS6detail17trampoline_kernelINS0_14default_configENS1_38merge_sort_block_merge_config_selectorIiNS0_10empty_typeEEEZZNS1_27merge_sort_block_merge_implIS3_N6thrust23THRUST_200600_302600_NS6detail15normal_iteratorINS9_10device_ptrIiEEEEPS5_jNS1_19radix_merge_compareILb0ELb0EiNS0_19identity_decomposerEEEEE10hipError_tT0_T1_T2_jT3_P12ihipStream_tbPNSt15iterator_traitsISK_E10value_typeEPNSQ_ISL_E10value_typeEPSM_NS1_7vsmem_tEENKUlT_SK_SL_SM_E_clISE_PiSF_SF_EESJ_SZ_SK_SL_SM_EUlSZ_E_NS1_11comp_targetILNS1_3genE5ELNS1_11target_archE942ELNS1_3gpuE9ELNS1_3repE0EEENS1_48merge_mergepath_partition_config_static_selectorELNS0_4arch9wavefront6targetE1EEEvSL_: ; @_ZN7rocprim17ROCPRIM_400000_NS6detail17trampoline_kernelINS0_14default_configENS1_38merge_sort_block_merge_config_selectorIiNS0_10empty_typeEEEZZNS1_27merge_sort_block_merge_implIS3_N6thrust23THRUST_200600_302600_NS6detail15normal_iteratorINS9_10device_ptrIiEEEEPS5_jNS1_19radix_merge_compareILb0ELb0EiNS0_19identity_decomposerEEEEE10hipError_tT0_T1_T2_jT3_P12ihipStream_tbPNSt15iterator_traitsISK_E10value_typeEPNSQ_ISL_E10value_typeEPSM_NS1_7vsmem_tEENKUlT_SK_SL_SM_E_clISE_PiSF_SF_EESJ_SZ_SK_SL_SM_EUlSZ_E_NS1_11comp_targetILNS1_3genE5ELNS1_11target_archE942ELNS1_3gpuE9ELNS1_3repE0EEENS1_48merge_mergepath_partition_config_static_selectorELNS0_4arch9wavefront6targetE1EEEvSL_
; %bb.0:
	s_load_dword s3, s[0:1], 0x0
	v_lshl_or_b32 v0, s2, 7, v0
	s_waitcnt lgkmcnt(0)
	v_cmp_gt_u32_e32 vcc, s3, v0
	s_and_saveexec_b64 s[2:3], vcc
	s_cbranch_execz .LBB1640_6
; %bb.1:
	s_load_dwordx2 s[4:5], s[0:1], 0x4
	s_load_dwordx2 s[2:3], s[0:1], 0x20
	s_waitcnt lgkmcnt(0)
	s_lshr_b32 s6, s4, 9
	s_and_b32 s6, s6, 0x7ffffe
	s_add_i32 s7, s6, -1
	s_sub_i32 s6, 0, s6
	v_and_b32_e32 v1, s6, v0
	v_lshlrev_b32_e32 v1, 10, v1
	v_min_u32_e32 v2, s5, v1
	v_add_u32_e32 v1, s4, v1
	v_min_u32_e32 v4, s5, v1
	v_add_u32_e32 v1, s4, v4
	v_and_b32_e32 v3, s7, v0
	v_min_u32_e32 v1, s5, v1
	v_sub_u32_e32 v5, v1, v2
	v_lshlrev_b32_e32 v3, 10, v3
	v_min_u32_e32 v10, v5, v3
	v_sub_u32_e32 v3, v4, v2
	v_sub_u32_e32 v1, v1, v4
	v_sub_u32_e64 v1, v10, v1 clamp
	v_min_u32_e32 v11, v10, v3
	v_cmp_lt_u32_e32 vcc, v1, v11
	s_and_saveexec_b64 s[4:5], vcc
	s_cbranch_execz .LBB1640_5
; %bb.2:
	s_load_dwordx2 s[0:1], s[0:1], 0x10
	v_mov_b32_e32 v5, 0
	v_mov_b32_e32 v3, v5
	s_waitcnt lgkmcnt(0)
	v_lshl_add_u64 v[6:7], v[2:3], 2, s[0:1]
	v_lshl_add_u64 v[8:9], v[4:5], 2, s[0:1]
	s_mov_b64 s[0:1], 0
.LBB1640_3:                             ; =>This Inner Loop Header: Depth=1
	v_add_u32_e32 v3, v11, v1
	v_lshrrev_b32_e32 v4, 1, v3
	v_mov_b32_e32 v13, v5
	v_xad_u32 v12, v4, -1, v10
	v_lshl_add_u64 v[14:15], v[4:5], 2, v[6:7]
	v_lshl_add_u64 v[12:13], v[12:13], 2, v[8:9]
	flat_load_dword v3, v[14:15]
	flat_load_dword v16, v[12:13]
	v_add_u32_e32 v12, 1, v4
	s_waitcnt vmcnt(0) lgkmcnt(0)
	v_cmp_gt_i32_e32 vcc, v3, v16
	s_nop 1
	v_cndmask_b32_e32 v11, v11, v4, vcc
	v_cndmask_b32_e32 v1, v12, v1, vcc
	v_cmp_ge_u32_e32 vcc, v1, v11
	s_or_b64 s[0:1], vcc, s[0:1]
	s_andn2_b64 exec, exec, s[0:1]
	s_cbranch_execnz .LBB1640_3
; %bb.4:
	s_or_b64 exec, exec, s[0:1]
.LBB1640_5:
	s_or_b64 exec, exec, s[4:5]
	v_add_u32_e32 v2, v1, v2
	v_mov_b32_e32 v1, 0
	v_lshl_add_u64 v[0:1], v[0:1], 2, s[2:3]
	global_store_dword v[0:1], v2, off
.LBB1640_6:
	s_endpgm
	.section	.rodata,"a",@progbits
	.p2align	6, 0x0
	.amdhsa_kernel _ZN7rocprim17ROCPRIM_400000_NS6detail17trampoline_kernelINS0_14default_configENS1_38merge_sort_block_merge_config_selectorIiNS0_10empty_typeEEEZZNS1_27merge_sort_block_merge_implIS3_N6thrust23THRUST_200600_302600_NS6detail15normal_iteratorINS9_10device_ptrIiEEEEPS5_jNS1_19radix_merge_compareILb0ELb0EiNS0_19identity_decomposerEEEEE10hipError_tT0_T1_T2_jT3_P12ihipStream_tbPNSt15iterator_traitsISK_E10value_typeEPNSQ_ISL_E10value_typeEPSM_NS1_7vsmem_tEENKUlT_SK_SL_SM_E_clISE_PiSF_SF_EESJ_SZ_SK_SL_SM_EUlSZ_E_NS1_11comp_targetILNS1_3genE5ELNS1_11target_archE942ELNS1_3gpuE9ELNS1_3repE0EEENS1_48merge_mergepath_partition_config_static_selectorELNS0_4arch9wavefront6targetE1EEEvSL_
		.amdhsa_group_segment_fixed_size 0
		.amdhsa_private_segment_fixed_size 0
		.amdhsa_kernarg_size 40
		.amdhsa_user_sgpr_count 2
		.amdhsa_user_sgpr_dispatch_ptr 0
		.amdhsa_user_sgpr_queue_ptr 0
		.amdhsa_user_sgpr_kernarg_segment_ptr 1
		.amdhsa_user_sgpr_dispatch_id 0
		.amdhsa_user_sgpr_kernarg_preload_length 0
		.amdhsa_user_sgpr_kernarg_preload_offset 0
		.amdhsa_user_sgpr_private_segment_size 0
		.amdhsa_uses_dynamic_stack 0
		.amdhsa_enable_private_segment 0
		.amdhsa_system_sgpr_workgroup_id_x 1
		.amdhsa_system_sgpr_workgroup_id_y 0
		.amdhsa_system_sgpr_workgroup_id_z 0
		.amdhsa_system_sgpr_workgroup_info 0
		.amdhsa_system_vgpr_workitem_id 0
		.amdhsa_next_free_vgpr 17
		.amdhsa_next_free_sgpr 8
		.amdhsa_accum_offset 20
		.amdhsa_reserve_vcc 1
		.amdhsa_float_round_mode_32 0
		.amdhsa_float_round_mode_16_64 0
		.amdhsa_float_denorm_mode_32 3
		.amdhsa_float_denorm_mode_16_64 3
		.amdhsa_dx10_clamp 1
		.amdhsa_ieee_mode 1
		.amdhsa_fp16_overflow 0
		.amdhsa_tg_split 0
		.amdhsa_exception_fp_ieee_invalid_op 0
		.amdhsa_exception_fp_denorm_src 0
		.amdhsa_exception_fp_ieee_div_zero 0
		.amdhsa_exception_fp_ieee_overflow 0
		.amdhsa_exception_fp_ieee_underflow 0
		.amdhsa_exception_fp_ieee_inexact 0
		.amdhsa_exception_int_div_zero 0
	.end_amdhsa_kernel
	.section	.text._ZN7rocprim17ROCPRIM_400000_NS6detail17trampoline_kernelINS0_14default_configENS1_38merge_sort_block_merge_config_selectorIiNS0_10empty_typeEEEZZNS1_27merge_sort_block_merge_implIS3_N6thrust23THRUST_200600_302600_NS6detail15normal_iteratorINS9_10device_ptrIiEEEEPS5_jNS1_19radix_merge_compareILb0ELb0EiNS0_19identity_decomposerEEEEE10hipError_tT0_T1_T2_jT3_P12ihipStream_tbPNSt15iterator_traitsISK_E10value_typeEPNSQ_ISL_E10value_typeEPSM_NS1_7vsmem_tEENKUlT_SK_SL_SM_E_clISE_PiSF_SF_EESJ_SZ_SK_SL_SM_EUlSZ_E_NS1_11comp_targetILNS1_3genE5ELNS1_11target_archE942ELNS1_3gpuE9ELNS1_3repE0EEENS1_48merge_mergepath_partition_config_static_selectorELNS0_4arch9wavefront6targetE1EEEvSL_,"axG",@progbits,_ZN7rocprim17ROCPRIM_400000_NS6detail17trampoline_kernelINS0_14default_configENS1_38merge_sort_block_merge_config_selectorIiNS0_10empty_typeEEEZZNS1_27merge_sort_block_merge_implIS3_N6thrust23THRUST_200600_302600_NS6detail15normal_iteratorINS9_10device_ptrIiEEEEPS5_jNS1_19radix_merge_compareILb0ELb0EiNS0_19identity_decomposerEEEEE10hipError_tT0_T1_T2_jT3_P12ihipStream_tbPNSt15iterator_traitsISK_E10value_typeEPNSQ_ISL_E10value_typeEPSM_NS1_7vsmem_tEENKUlT_SK_SL_SM_E_clISE_PiSF_SF_EESJ_SZ_SK_SL_SM_EUlSZ_E_NS1_11comp_targetILNS1_3genE5ELNS1_11target_archE942ELNS1_3gpuE9ELNS1_3repE0EEENS1_48merge_mergepath_partition_config_static_selectorELNS0_4arch9wavefront6targetE1EEEvSL_,comdat
.Lfunc_end1640:
	.size	_ZN7rocprim17ROCPRIM_400000_NS6detail17trampoline_kernelINS0_14default_configENS1_38merge_sort_block_merge_config_selectorIiNS0_10empty_typeEEEZZNS1_27merge_sort_block_merge_implIS3_N6thrust23THRUST_200600_302600_NS6detail15normal_iteratorINS9_10device_ptrIiEEEEPS5_jNS1_19radix_merge_compareILb0ELb0EiNS0_19identity_decomposerEEEEE10hipError_tT0_T1_T2_jT3_P12ihipStream_tbPNSt15iterator_traitsISK_E10value_typeEPNSQ_ISL_E10value_typeEPSM_NS1_7vsmem_tEENKUlT_SK_SL_SM_E_clISE_PiSF_SF_EESJ_SZ_SK_SL_SM_EUlSZ_E_NS1_11comp_targetILNS1_3genE5ELNS1_11target_archE942ELNS1_3gpuE9ELNS1_3repE0EEENS1_48merge_mergepath_partition_config_static_selectorELNS0_4arch9wavefront6targetE1EEEvSL_, .Lfunc_end1640-_ZN7rocprim17ROCPRIM_400000_NS6detail17trampoline_kernelINS0_14default_configENS1_38merge_sort_block_merge_config_selectorIiNS0_10empty_typeEEEZZNS1_27merge_sort_block_merge_implIS3_N6thrust23THRUST_200600_302600_NS6detail15normal_iteratorINS9_10device_ptrIiEEEEPS5_jNS1_19radix_merge_compareILb0ELb0EiNS0_19identity_decomposerEEEEE10hipError_tT0_T1_T2_jT3_P12ihipStream_tbPNSt15iterator_traitsISK_E10value_typeEPNSQ_ISL_E10value_typeEPSM_NS1_7vsmem_tEENKUlT_SK_SL_SM_E_clISE_PiSF_SF_EESJ_SZ_SK_SL_SM_EUlSZ_E_NS1_11comp_targetILNS1_3genE5ELNS1_11target_archE942ELNS1_3gpuE9ELNS1_3repE0EEENS1_48merge_mergepath_partition_config_static_selectorELNS0_4arch9wavefront6targetE1EEEvSL_
                                        ; -- End function
	.section	.AMDGPU.csdata,"",@progbits
; Kernel info:
; codeLenInByte = 316
; NumSgprs: 14
; NumVgprs: 17
; NumAgprs: 0
; TotalNumVgprs: 17
; ScratchSize: 0
; MemoryBound: 0
; FloatMode: 240
; IeeeMode: 1
; LDSByteSize: 0 bytes/workgroup (compile time only)
; SGPRBlocks: 1
; VGPRBlocks: 2
; NumSGPRsForWavesPerEU: 14
; NumVGPRsForWavesPerEU: 17
; AccumOffset: 20
; Occupancy: 8
; WaveLimiterHint : 0
; COMPUTE_PGM_RSRC2:SCRATCH_EN: 0
; COMPUTE_PGM_RSRC2:USER_SGPR: 2
; COMPUTE_PGM_RSRC2:TRAP_HANDLER: 0
; COMPUTE_PGM_RSRC2:TGID_X_EN: 1
; COMPUTE_PGM_RSRC2:TGID_Y_EN: 0
; COMPUTE_PGM_RSRC2:TGID_Z_EN: 0
; COMPUTE_PGM_RSRC2:TIDIG_COMP_CNT: 0
; COMPUTE_PGM_RSRC3_GFX90A:ACCUM_OFFSET: 4
; COMPUTE_PGM_RSRC3_GFX90A:TG_SPLIT: 0
	.section	.text._ZN7rocprim17ROCPRIM_400000_NS6detail17trampoline_kernelINS0_14default_configENS1_38merge_sort_block_merge_config_selectorIiNS0_10empty_typeEEEZZNS1_27merge_sort_block_merge_implIS3_N6thrust23THRUST_200600_302600_NS6detail15normal_iteratorINS9_10device_ptrIiEEEEPS5_jNS1_19radix_merge_compareILb0ELb0EiNS0_19identity_decomposerEEEEE10hipError_tT0_T1_T2_jT3_P12ihipStream_tbPNSt15iterator_traitsISK_E10value_typeEPNSQ_ISL_E10value_typeEPSM_NS1_7vsmem_tEENKUlT_SK_SL_SM_E_clISE_PiSF_SF_EESJ_SZ_SK_SL_SM_EUlSZ_E_NS1_11comp_targetILNS1_3genE4ELNS1_11target_archE910ELNS1_3gpuE8ELNS1_3repE0EEENS1_48merge_mergepath_partition_config_static_selectorELNS0_4arch9wavefront6targetE1EEEvSL_,"axG",@progbits,_ZN7rocprim17ROCPRIM_400000_NS6detail17trampoline_kernelINS0_14default_configENS1_38merge_sort_block_merge_config_selectorIiNS0_10empty_typeEEEZZNS1_27merge_sort_block_merge_implIS3_N6thrust23THRUST_200600_302600_NS6detail15normal_iteratorINS9_10device_ptrIiEEEEPS5_jNS1_19radix_merge_compareILb0ELb0EiNS0_19identity_decomposerEEEEE10hipError_tT0_T1_T2_jT3_P12ihipStream_tbPNSt15iterator_traitsISK_E10value_typeEPNSQ_ISL_E10value_typeEPSM_NS1_7vsmem_tEENKUlT_SK_SL_SM_E_clISE_PiSF_SF_EESJ_SZ_SK_SL_SM_EUlSZ_E_NS1_11comp_targetILNS1_3genE4ELNS1_11target_archE910ELNS1_3gpuE8ELNS1_3repE0EEENS1_48merge_mergepath_partition_config_static_selectorELNS0_4arch9wavefront6targetE1EEEvSL_,comdat
	.protected	_ZN7rocprim17ROCPRIM_400000_NS6detail17trampoline_kernelINS0_14default_configENS1_38merge_sort_block_merge_config_selectorIiNS0_10empty_typeEEEZZNS1_27merge_sort_block_merge_implIS3_N6thrust23THRUST_200600_302600_NS6detail15normal_iteratorINS9_10device_ptrIiEEEEPS5_jNS1_19radix_merge_compareILb0ELb0EiNS0_19identity_decomposerEEEEE10hipError_tT0_T1_T2_jT3_P12ihipStream_tbPNSt15iterator_traitsISK_E10value_typeEPNSQ_ISL_E10value_typeEPSM_NS1_7vsmem_tEENKUlT_SK_SL_SM_E_clISE_PiSF_SF_EESJ_SZ_SK_SL_SM_EUlSZ_E_NS1_11comp_targetILNS1_3genE4ELNS1_11target_archE910ELNS1_3gpuE8ELNS1_3repE0EEENS1_48merge_mergepath_partition_config_static_selectorELNS0_4arch9wavefront6targetE1EEEvSL_ ; -- Begin function _ZN7rocprim17ROCPRIM_400000_NS6detail17trampoline_kernelINS0_14default_configENS1_38merge_sort_block_merge_config_selectorIiNS0_10empty_typeEEEZZNS1_27merge_sort_block_merge_implIS3_N6thrust23THRUST_200600_302600_NS6detail15normal_iteratorINS9_10device_ptrIiEEEEPS5_jNS1_19radix_merge_compareILb0ELb0EiNS0_19identity_decomposerEEEEE10hipError_tT0_T1_T2_jT3_P12ihipStream_tbPNSt15iterator_traitsISK_E10value_typeEPNSQ_ISL_E10value_typeEPSM_NS1_7vsmem_tEENKUlT_SK_SL_SM_E_clISE_PiSF_SF_EESJ_SZ_SK_SL_SM_EUlSZ_E_NS1_11comp_targetILNS1_3genE4ELNS1_11target_archE910ELNS1_3gpuE8ELNS1_3repE0EEENS1_48merge_mergepath_partition_config_static_selectorELNS0_4arch9wavefront6targetE1EEEvSL_
	.globl	_ZN7rocprim17ROCPRIM_400000_NS6detail17trampoline_kernelINS0_14default_configENS1_38merge_sort_block_merge_config_selectorIiNS0_10empty_typeEEEZZNS1_27merge_sort_block_merge_implIS3_N6thrust23THRUST_200600_302600_NS6detail15normal_iteratorINS9_10device_ptrIiEEEEPS5_jNS1_19radix_merge_compareILb0ELb0EiNS0_19identity_decomposerEEEEE10hipError_tT0_T1_T2_jT3_P12ihipStream_tbPNSt15iterator_traitsISK_E10value_typeEPNSQ_ISL_E10value_typeEPSM_NS1_7vsmem_tEENKUlT_SK_SL_SM_E_clISE_PiSF_SF_EESJ_SZ_SK_SL_SM_EUlSZ_E_NS1_11comp_targetILNS1_3genE4ELNS1_11target_archE910ELNS1_3gpuE8ELNS1_3repE0EEENS1_48merge_mergepath_partition_config_static_selectorELNS0_4arch9wavefront6targetE1EEEvSL_
	.p2align	8
	.type	_ZN7rocprim17ROCPRIM_400000_NS6detail17trampoline_kernelINS0_14default_configENS1_38merge_sort_block_merge_config_selectorIiNS0_10empty_typeEEEZZNS1_27merge_sort_block_merge_implIS3_N6thrust23THRUST_200600_302600_NS6detail15normal_iteratorINS9_10device_ptrIiEEEEPS5_jNS1_19radix_merge_compareILb0ELb0EiNS0_19identity_decomposerEEEEE10hipError_tT0_T1_T2_jT3_P12ihipStream_tbPNSt15iterator_traitsISK_E10value_typeEPNSQ_ISL_E10value_typeEPSM_NS1_7vsmem_tEENKUlT_SK_SL_SM_E_clISE_PiSF_SF_EESJ_SZ_SK_SL_SM_EUlSZ_E_NS1_11comp_targetILNS1_3genE4ELNS1_11target_archE910ELNS1_3gpuE8ELNS1_3repE0EEENS1_48merge_mergepath_partition_config_static_selectorELNS0_4arch9wavefront6targetE1EEEvSL_,@function
_ZN7rocprim17ROCPRIM_400000_NS6detail17trampoline_kernelINS0_14default_configENS1_38merge_sort_block_merge_config_selectorIiNS0_10empty_typeEEEZZNS1_27merge_sort_block_merge_implIS3_N6thrust23THRUST_200600_302600_NS6detail15normal_iteratorINS9_10device_ptrIiEEEEPS5_jNS1_19radix_merge_compareILb0ELb0EiNS0_19identity_decomposerEEEEE10hipError_tT0_T1_T2_jT3_P12ihipStream_tbPNSt15iterator_traitsISK_E10value_typeEPNSQ_ISL_E10value_typeEPSM_NS1_7vsmem_tEENKUlT_SK_SL_SM_E_clISE_PiSF_SF_EESJ_SZ_SK_SL_SM_EUlSZ_E_NS1_11comp_targetILNS1_3genE4ELNS1_11target_archE910ELNS1_3gpuE8ELNS1_3repE0EEENS1_48merge_mergepath_partition_config_static_selectorELNS0_4arch9wavefront6targetE1EEEvSL_: ; @_ZN7rocprim17ROCPRIM_400000_NS6detail17trampoline_kernelINS0_14default_configENS1_38merge_sort_block_merge_config_selectorIiNS0_10empty_typeEEEZZNS1_27merge_sort_block_merge_implIS3_N6thrust23THRUST_200600_302600_NS6detail15normal_iteratorINS9_10device_ptrIiEEEEPS5_jNS1_19radix_merge_compareILb0ELb0EiNS0_19identity_decomposerEEEEE10hipError_tT0_T1_T2_jT3_P12ihipStream_tbPNSt15iterator_traitsISK_E10value_typeEPNSQ_ISL_E10value_typeEPSM_NS1_7vsmem_tEENKUlT_SK_SL_SM_E_clISE_PiSF_SF_EESJ_SZ_SK_SL_SM_EUlSZ_E_NS1_11comp_targetILNS1_3genE4ELNS1_11target_archE910ELNS1_3gpuE8ELNS1_3repE0EEENS1_48merge_mergepath_partition_config_static_selectorELNS0_4arch9wavefront6targetE1EEEvSL_
; %bb.0:
	.section	.rodata,"a",@progbits
	.p2align	6, 0x0
	.amdhsa_kernel _ZN7rocprim17ROCPRIM_400000_NS6detail17trampoline_kernelINS0_14default_configENS1_38merge_sort_block_merge_config_selectorIiNS0_10empty_typeEEEZZNS1_27merge_sort_block_merge_implIS3_N6thrust23THRUST_200600_302600_NS6detail15normal_iteratorINS9_10device_ptrIiEEEEPS5_jNS1_19radix_merge_compareILb0ELb0EiNS0_19identity_decomposerEEEEE10hipError_tT0_T1_T2_jT3_P12ihipStream_tbPNSt15iterator_traitsISK_E10value_typeEPNSQ_ISL_E10value_typeEPSM_NS1_7vsmem_tEENKUlT_SK_SL_SM_E_clISE_PiSF_SF_EESJ_SZ_SK_SL_SM_EUlSZ_E_NS1_11comp_targetILNS1_3genE4ELNS1_11target_archE910ELNS1_3gpuE8ELNS1_3repE0EEENS1_48merge_mergepath_partition_config_static_selectorELNS0_4arch9wavefront6targetE1EEEvSL_
		.amdhsa_group_segment_fixed_size 0
		.amdhsa_private_segment_fixed_size 0
		.amdhsa_kernarg_size 40
		.amdhsa_user_sgpr_count 2
		.amdhsa_user_sgpr_dispatch_ptr 0
		.amdhsa_user_sgpr_queue_ptr 0
		.amdhsa_user_sgpr_kernarg_segment_ptr 1
		.amdhsa_user_sgpr_dispatch_id 0
		.amdhsa_user_sgpr_kernarg_preload_length 0
		.amdhsa_user_sgpr_kernarg_preload_offset 0
		.amdhsa_user_sgpr_private_segment_size 0
		.amdhsa_uses_dynamic_stack 0
		.amdhsa_enable_private_segment 0
		.amdhsa_system_sgpr_workgroup_id_x 1
		.amdhsa_system_sgpr_workgroup_id_y 0
		.amdhsa_system_sgpr_workgroup_id_z 0
		.amdhsa_system_sgpr_workgroup_info 0
		.amdhsa_system_vgpr_workitem_id 0
		.amdhsa_next_free_vgpr 1
		.amdhsa_next_free_sgpr 0
		.amdhsa_accum_offset 4
		.amdhsa_reserve_vcc 0
		.amdhsa_float_round_mode_32 0
		.amdhsa_float_round_mode_16_64 0
		.amdhsa_float_denorm_mode_32 3
		.amdhsa_float_denorm_mode_16_64 3
		.amdhsa_dx10_clamp 1
		.amdhsa_ieee_mode 1
		.amdhsa_fp16_overflow 0
		.amdhsa_tg_split 0
		.amdhsa_exception_fp_ieee_invalid_op 0
		.amdhsa_exception_fp_denorm_src 0
		.amdhsa_exception_fp_ieee_div_zero 0
		.amdhsa_exception_fp_ieee_overflow 0
		.amdhsa_exception_fp_ieee_underflow 0
		.amdhsa_exception_fp_ieee_inexact 0
		.amdhsa_exception_int_div_zero 0
	.end_amdhsa_kernel
	.section	.text._ZN7rocprim17ROCPRIM_400000_NS6detail17trampoline_kernelINS0_14default_configENS1_38merge_sort_block_merge_config_selectorIiNS0_10empty_typeEEEZZNS1_27merge_sort_block_merge_implIS3_N6thrust23THRUST_200600_302600_NS6detail15normal_iteratorINS9_10device_ptrIiEEEEPS5_jNS1_19radix_merge_compareILb0ELb0EiNS0_19identity_decomposerEEEEE10hipError_tT0_T1_T2_jT3_P12ihipStream_tbPNSt15iterator_traitsISK_E10value_typeEPNSQ_ISL_E10value_typeEPSM_NS1_7vsmem_tEENKUlT_SK_SL_SM_E_clISE_PiSF_SF_EESJ_SZ_SK_SL_SM_EUlSZ_E_NS1_11comp_targetILNS1_3genE4ELNS1_11target_archE910ELNS1_3gpuE8ELNS1_3repE0EEENS1_48merge_mergepath_partition_config_static_selectorELNS0_4arch9wavefront6targetE1EEEvSL_,"axG",@progbits,_ZN7rocprim17ROCPRIM_400000_NS6detail17trampoline_kernelINS0_14default_configENS1_38merge_sort_block_merge_config_selectorIiNS0_10empty_typeEEEZZNS1_27merge_sort_block_merge_implIS3_N6thrust23THRUST_200600_302600_NS6detail15normal_iteratorINS9_10device_ptrIiEEEEPS5_jNS1_19radix_merge_compareILb0ELb0EiNS0_19identity_decomposerEEEEE10hipError_tT0_T1_T2_jT3_P12ihipStream_tbPNSt15iterator_traitsISK_E10value_typeEPNSQ_ISL_E10value_typeEPSM_NS1_7vsmem_tEENKUlT_SK_SL_SM_E_clISE_PiSF_SF_EESJ_SZ_SK_SL_SM_EUlSZ_E_NS1_11comp_targetILNS1_3genE4ELNS1_11target_archE910ELNS1_3gpuE8ELNS1_3repE0EEENS1_48merge_mergepath_partition_config_static_selectorELNS0_4arch9wavefront6targetE1EEEvSL_,comdat
.Lfunc_end1641:
	.size	_ZN7rocprim17ROCPRIM_400000_NS6detail17trampoline_kernelINS0_14default_configENS1_38merge_sort_block_merge_config_selectorIiNS0_10empty_typeEEEZZNS1_27merge_sort_block_merge_implIS3_N6thrust23THRUST_200600_302600_NS6detail15normal_iteratorINS9_10device_ptrIiEEEEPS5_jNS1_19radix_merge_compareILb0ELb0EiNS0_19identity_decomposerEEEEE10hipError_tT0_T1_T2_jT3_P12ihipStream_tbPNSt15iterator_traitsISK_E10value_typeEPNSQ_ISL_E10value_typeEPSM_NS1_7vsmem_tEENKUlT_SK_SL_SM_E_clISE_PiSF_SF_EESJ_SZ_SK_SL_SM_EUlSZ_E_NS1_11comp_targetILNS1_3genE4ELNS1_11target_archE910ELNS1_3gpuE8ELNS1_3repE0EEENS1_48merge_mergepath_partition_config_static_selectorELNS0_4arch9wavefront6targetE1EEEvSL_, .Lfunc_end1641-_ZN7rocprim17ROCPRIM_400000_NS6detail17trampoline_kernelINS0_14default_configENS1_38merge_sort_block_merge_config_selectorIiNS0_10empty_typeEEEZZNS1_27merge_sort_block_merge_implIS3_N6thrust23THRUST_200600_302600_NS6detail15normal_iteratorINS9_10device_ptrIiEEEEPS5_jNS1_19radix_merge_compareILb0ELb0EiNS0_19identity_decomposerEEEEE10hipError_tT0_T1_T2_jT3_P12ihipStream_tbPNSt15iterator_traitsISK_E10value_typeEPNSQ_ISL_E10value_typeEPSM_NS1_7vsmem_tEENKUlT_SK_SL_SM_E_clISE_PiSF_SF_EESJ_SZ_SK_SL_SM_EUlSZ_E_NS1_11comp_targetILNS1_3genE4ELNS1_11target_archE910ELNS1_3gpuE8ELNS1_3repE0EEENS1_48merge_mergepath_partition_config_static_selectorELNS0_4arch9wavefront6targetE1EEEvSL_
                                        ; -- End function
	.section	.AMDGPU.csdata,"",@progbits
; Kernel info:
; codeLenInByte = 0
; NumSgprs: 6
; NumVgprs: 0
; NumAgprs: 0
; TotalNumVgprs: 0
; ScratchSize: 0
; MemoryBound: 0
; FloatMode: 240
; IeeeMode: 1
; LDSByteSize: 0 bytes/workgroup (compile time only)
; SGPRBlocks: 0
; VGPRBlocks: 0
; NumSGPRsForWavesPerEU: 6
; NumVGPRsForWavesPerEU: 1
; AccumOffset: 4
; Occupancy: 8
; WaveLimiterHint : 0
; COMPUTE_PGM_RSRC2:SCRATCH_EN: 0
; COMPUTE_PGM_RSRC2:USER_SGPR: 2
; COMPUTE_PGM_RSRC2:TRAP_HANDLER: 0
; COMPUTE_PGM_RSRC2:TGID_X_EN: 1
; COMPUTE_PGM_RSRC2:TGID_Y_EN: 0
; COMPUTE_PGM_RSRC2:TGID_Z_EN: 0
; COMPUTE_PGM_RSRC2:TIDIG_COMP_CNT: 0
; COMPUTE_PGM_RSRC3_GFX90A:ACCUM_OFFSET: 0
; COMPUTE_PGM_RSRC3_GFX90A:TG_SPLIT: 0
	.section	.text._ZN7rocprim17ROCPRIM_400000_NS6detail17trampoline_kernelINS0_14default_configENS1_38merge_sort_block_merge_config_selectorIiNS0_10empty_typeEEEZZNS1_27merge_sort_block_merge_implIS3_N6thrust23THRUST_200600_302600_NS6detail15normal_iteratorINS9_10device_ptrIiEEEEPS5_jNS1_19radix_merge_compareILb0ELb0EiNS0_19identity_decomposerEEEEE10hipError_tT0_T1_T2_jT3_P12ihipStream_tbPNSt15iterator_traitsISK_E10value_typeEPNSQ_ISL_E10value_typeEPSM_NS1_7vsmem_tEENKUlT_SK_SL_SM_E_clISE_PiSF_SF_EESJ_SZ_SK_SL_SM_EUlSZ_E_NS1_11comp_targetILNS1_3genE3ELNS1_11target_archE908ELNS1_3gpuE7ELNS1_3repE0EEENS1_48merge_mergepath_partition_config_static_selectorELNS0_4arch9wavefront6targetE1EEEvSL_,"axG",@progbits,_ZN7rocprim17ROCPRIM_400000_NS6detail17trampoline_kernelINS0_14default_configENS1_38merge_sort_block_merge_config_selectorIiNS0_10empty_typeEEEZZNS1_27merge_sort_block_merge_implIS3_N6thrust23THRUST_200600_302600_NS6detail15normal_iteratorINS9_10device_ptrIiEEEEPS5_jNS1_19radix_merge_compareILb0ELb0EiNS0_19identity_decomposerEEEEE10hipError_tT0_T1_T2_jT3_P12ihipStream_tbPNSt15iterator_traitsISK_E10value_typeEPNSQ_ISL_E10value_typeEPSM_NS1_7vsmem_tEENKUlT_SK_SL_SM_E_clISE_PiSF_SF_EESJ_SZ_SK_SL_SM_EUlSZ_E_NS1_11comp_targetILNS1_3genE3ELNS1_11target_archE908ELNS1_3gpuE7ELNS1_3repE0EEENS1_48merge_mergepath_partition_config_static_selectorELNS0_4arch9wavefront6targetE1EEEvSL_,comdat
	.protected	_ZN7rocprim17ROCPRIM_400000_NS6detail17trampoline_kernelINS0_14default_configENS1_38merge_sort_block_merge_config_selectorIiNS0_10empty_typeEEEZZNS1_27merge_sort_block_merge_implIS3_N6thrust23THRUST_200600_302600_NS6detail15normal_iteratorINS9_10device_ptrIiEEEEPS5_jNS1_19radix_merge_compareILb0ELb0EiNS0_19identity_decomposerEEEEE10hipError_tT0_T1_T2_jT3_P12ihipStream_tbPNSt15iterator_traitsISK_E10value_typeEPNSQ_ISL_E10value_typeEPSM_NS1_7vsmem_tEENKUlT_SK_SL_SM_E_clISE_PiSF_SF_EESJ_SZ_SK_SL_SM_EUlSZ_E_NS1_11comp_targetILNS1_3genE3ELNS1_11target_archE908ELNS1_3gpuE7ELNS1_3repE0EEENS1_48merge_mergepath_partition_config_static_selectorELNS0_4arch9wavefront6targetE1EEEvSL_ ; -- Begin function _ZN7rocprim17ROCPRIM_400000_NS6detail17trampoline_kernelINS0_14default_configENS1_38merge_sort_block_merge_config_selectorIiNS0_10empty_typeEEEZZNS1_27merge_sort_block_merge_implIS3_N6thrust23THRUST_200600_302600_NS6detail15normal_iteratorINS9_10device_ptrIiEEEEPS5_jNS1_19radix_merge_compareILb0ELb0EiNS0_19identity_decomposerEEEEE10hipError_tT0_T1_T2_jT3_P12ihipStream_tbPNSt15iterator_traitsISK_E10value_typeEPNSQ_ISL_E10value_typeEPSM_NS1_7vsmem_tEENKUlT_SK_SL_SM_E_clISE_PiSF_SF_EESJ_SZ_SK_SL_SM_EUlSZ_E_NS1_11comp_targetILNS1_3genE3ELNS1_11target_archE908ELNS1_3gpuE7ELNS1_3repE0EEENS1_48merge_mergepath_partition_config_static_selectorELNS0_4arch9wavefront6targetE1EEEvSL_
	.globl	_ZN7rocprim17ROCPRIM_400000_NS6detail17trampoline_kernelINS0_14default_configENS1_38merge_sort_block_merge_config_selectorIiNS0_10empty_typeEEEZZNS1_27merge_sort_block_merge_implIS3_N6thrust23THRUST_200600_302600_NS6detail15normal_iteratorINS9_10device_ptrIiEEEEPS5_jNS1_19radix_merge_compareILb0ELb0EiNS0_19identity_decomposerEEEEE10hipError_tT0_T1_T2_jT3_P12ihipStream_tbPNSt15iterator_traitsISK_E10value_typeEPNSQ_ISL_E10value_typeEPSM_NS1_7vsmem_tEENKUlT_SK_SL_SM_E_clISE_PiSF_SF_EESJ_SZ_SK_SL_SM_EUlSZ_E_NS1_11comp_targetILNS1_3genE3ELNS1_11target_archE908ELNS1_3gpuE7ELNS1_3repE0EEENS1_48merge_mergepath_partition_config_static_selectorELNS0_4arch9wavefront6targetE1EEEvSL_
	.p2align	8
	.type	_ZN7rocprim17ROCPRIM_400000_NS6detail17trampoline_kernelINS0_14default_configENS1_38merge_sort_block_merge_config_selectorIiNS0_10empty_typeEEEZZNS1_27merge_sort_block_merge_implIS3_N6thrust23THRUST_200600_302600_NS6detail15normal_iteratorINS9_10device_ptrIiEEEEPS5_jNS1_19radix_merge_compareILb0ELb0EiNS0_19identity_decomposerEEEEE10hipError_tT0_T1_T2_jT3_P12ihipStream_tbPNSt15iterator_traitsISK_E10value_typeEPNSQ_ISL_E10value_typeEPSM_NS1_7vsmem_tEENKUlT_SK_SL_SM_E_clISE_PiSF_SF_EESJ_SZ_SK_SL_SM_EUlSZ_E_NS1_11comp_targetILNS1_3genE3ELNS1_11target_archE908ELNS1_3gpuE7ELNS1_3repE0EEENS1_48merge_mergepath_partition_config_static_selectorELNS0_4arch9wavefront6targetE1EEEvSL_,@function
_ZN7rocprim17ROCPRIM_400000_NS6detail17trampoline_kernelINS0_14default_configENS1_38merge_sort_block_merge_config_selectorIiNS0_10empty_typeEEEZZNS1_27merge_sort_block_merge_implIS3_N6thrust23THRUST_200600_302600_NS6detail15normal_iteratorINS9_10device_ptrIiEEEEPS5_jNS1_19radix_merge_compareILb0ELb0EiNS0_19identity_decomposerEEEEE10hipError_tT0_T1_T2_jT3_P12ihipStream_tbPNSt15iterator_traitsISK_E10value_typeEPNSQ_ISL_E10value_typeEPSM_NS1_7vsmem_tEENKUlT_SK_SL_SM_E_clISE_PiSF_SF_EESJ_SZ_SK_SL_SM_EUlSZ_E_NS1_11comp_targetILNS1_3genE3ELNS1_11target_archE908ELNS1_3gpuE7ELNS1_3repE0EEENS1_48merge_mergepath_partition_config_static_selectorELNS0_4arch9wavefront6targetE1EEEvSL_: ; @_ZN7rocprim17ROCPRIM_400000_NS6detail17trampoline_kernelINS0_14default_configENS1_38merge_sort_block_merge_config_selectorIiNS0_10empty_typeEEEZZNS1_27merge_sort_block_merge_implIS3_N6thrust23THRUST_200600_302600_NS6detail15normal_iteratorINS9_10device_ptrIiEEEEPS5_jNS1_19radix_merge_compareILb0ELb0EiNS0_19identity_decomposerEEEEE10hipError_tT0_T1_T2_jT3_P12ihipStream_tbPNSt15iterator_traitsISK_E10value_typeEPNSQ_ISL_E10value_typeEPSM_NS1_7vsmem_tEENKUlT_SK_SL_SM_E_clISE_PiSF_SF_EESJ_SZ_SK_SL_SM_EUlSZ_E_NS1_11comp_targetILNS1_3genE3ELNS1_11target_archE908ELNS1_3gpuE7ELNS1_3repE0EEENS1_48merge_mergepath_partition_config_static_selectorELNS0_4arch9wavefront6targetE1EEEvSL_
; %bb.0:
	.section	.rodata,"a",@progbits
	.p2align	6, 0x0
	.amdhsa_kernel _ZN7rocprim17ROCPRIM_400000_NS6detail17trampoline_kernelINS0_14default_configENS1_38merge_sort_block_merge_config_selectorIiNS0_10empty_typeEEEZZNS1_27merge_sort_block_merge_implIS3_N6thrust23THRUST_200600_302600_NS6detail15normal_iteratorINS9_10device_ptrIiEEEEPS5_jNS1_19radix_merge_compareILb0ELb0EiNS0_19identity_decomposerEEEEE10hipError_tT0_T1_T2_jT3_P12ihipStream_tbPNSt15iterator_traitsISK_E10value_typeEPNSQ_ISL_E10value_typeEPSM_NS1_7vsmem_tEENKUlT_SK_SL_SM_E_clISE_PiSF_SF_EESJ_SZ_SK_SL_SM_EUlSZ_E_NS1_11comp_targetILNS1_3genE3ELNS1_11target_archE908ELNS1_3gpuE7ELNS1_3repE0EEENS1_48merge_mergepath_partition_config_static_selectorELNS0_4arch9wavefront6targetE1EEEvSL_
		.amdhsa_group_segment_fixed_size 0
		.amdhsa_private_segment_fixed_size 0
		.amdhsa_kernarg_size 40
		.amdhsa_user_sgpr_count 2
		.amdhsa_user_sgpr_dispatch_ptr 0
		.amdhsa_user_sgpr_queue_ptr 0
		.amdhsa_user_sgpr_kernarg_segment_ptr 1
		.amdhsa_user_sgpr_dispatch_id 0
		.amdhsa_user_sgpr_kernarg_preload_length 0
		.amdhsa_user_sgpr_kernarg_preload_offset 0
		.amdhsa_user_sgpr_private_segment_size 0
		.amdhsa_uses_dynamic_stack 0
		.amdhsa_enable_private_segment 0
		.amdhsa_system_sgpr_workgroup_id_x 1
		.amdhsa_system_sgpr_workgroup_id_y 0
		.amdhsa_system_sgpr_workgroup_id_z 0
		.amdhsa_system_sgpr_workgroup_info 0
		.amdhsa_system_vgpr_workitem_id 0
		.amdhsa_next_free_vgpr 1
		.amdhsa_next_free_sgpr 0
		.amdhsa_accum_offset 4
		.amdhsa_reserve_vcc 0
		.amdhsa_float_round_mode_32 0
		.amdhsa_float_round_mode_16_64 0
		.amdhsa_float_denorm_mode_32 3
		.amdhsa_float_denorm_mode_16_64 3
		.amdhsa_dx10_clamp 1
		.amdhsa_ieee_mode 1
		.amdhsa_fp16_overflow 0
		.amdhsa_tg_split 0
		.amdhsa_exception_fp_ieee_invalid_op 0
		.amdhsa_exception_fp_denorm_src 0
		.amdhsa_exception_fp_ieee_div_zero 0
		.amdhsa_exception_fp_ieee_overflow 0
		.amdhsa_exception_fp_ieee_underflow 0
		.amdhsa_exception_fp_ieee_inexact 0
		.amdhsa_exception_int_div_zero 0
	.end_amdhsa_kernel
	.section	.text._ZN7rocprim17ROCPRIM_400000_NS6detail17trampoline_kernelINS0_14default_configENS1_38merge_sort_block_merge_config_selectorIiNS0_10empty_typeEEEZZNS1_27merge_sort_block_merge_implIS3_N6thrust23THRUST_200600_302600_NS6detail15normal_iteratorINS9_10device_ptrIiEEEEPS5_jNS1_19radix_merge_compareILb0ELb0EiNS0_19identity_decomposerEEEEE10hipError_tT0_T1_T2_jT3_P12ihipStream_tbPNSt15iterator_traitsISK_E10value_typeEPNSQ_ISL_E10value_typeEPSM_NS1_7vsmem_tEENKUlT_SK_SL_SM_E_clISE_PiSF_SF_EESJ_SZ_SK_SL_SM_EUlSZ_E_NS1_11comp_targetILNS1_3genE3ELNS1_11target_archE908ELNS1_3gpuE7ELNS1_3repE0EEENS1_48merge_mergepath_partition_config_static_selectorELNS0_4arch9wavefront6targetE1EEEvSL_,"axG",@progbits,_ZN7rocprim17ROCPRIM_400000_NS6detail17trampoline_kernelINS0_14default_configENS1_38merge_sort_block_merge_config_selectorIiNS0_10empty_typeEEEZZNS1_27merge_sort_block_merge_implIS3_N6thrust23THRUST_200600_302600_NS6detail15normal_iteratorINS9_10device_ptrIiEEEEPS5_jNS1_19radix_merge_compareILb0ELb0EiNS0_19identity_decomposerEEEEE10hipError_tT0_T1_T2_jT3_P12ihipStream_tbPNSt15iterator_traitsISK_E10value_typeEPNSQ_ISL_E10value_typeEPSM_NS1_7vsmem_tEENKUlT_SK_SL_SM_E_clISE_PiSF_SF_EESJ_SZ_SK_SL_SM_EUlSZ_E_NS1_11comp_targetILNS1_3genE3ELNS1_11target_archE908ELNS1_3gpuE7ELNS1_3repE0EEENS1_48merge_mergepath_partition_config_static_selectorELNS0_4arch9wavefront6targetE1EEEvSL_,comdat
.Lfunc_end1642:
	.size	_ZN7rocprim17ROCPRIM_400000_NS6detail17trampoline_kernelINS0_14default_configENS1_38merge_sort_block_merge_config_selectorIiNS0_10empty_typeEEEZZNS1_27merge_sort_block_merge_implIS3_N6thrust23THRUST_200600_302600_NS6detail15normal_iteratorINS9_10device_ptrIiEEEEPS5_jNS1_19radix_merge_compareILb0ELb0EiNS0_19identity_decomposerEEEEE10hipError_tT0_T1_T2_jT3_P12ihipStream_tbPNSt15iterator_traitsISK_E10value_typeEPNSQ_ISL_E10value_typeEPSM_NS1_7vsmem_tEENKUlT_SK_SL_SM_E_clISE_PiSF_SF_EESJ_SZ_SK_SL_SM_EUlSZ_E_NS1_11comp_targetILNS1_3genE3ELNS1_11target_archE908ELNS1_3gpuE7ELNS1_3repE0EEENS1_48merge_mergepath_partition_config_static_selectorELNS0_4arch9wavefront6targetE1EEEvSL_, .Lfunc_end1642-_ZN7rocprim17ROCPRIM_400000_NS6detail17trampoline_kernelINS0_14default_configENS1_38merge_sort_block_merge_config_selectorIiNS0_10empty_typeEEEZZNS1_27merge_sort_block_merge_implIS3_N6thrust23THRUST_200600_302600_NS6detail15normal_iteratorINS9_10device_ptrIiEEEEPS5_jNS1_19radix_merge_compareILb0ELb0EiNS0_19identity_decomposerEEEEE10hipError_tT0_T1_T2_jT3_P12ihipStream_tbPNSt15iterator_traitsISK_E10value_typeEPNSQ_ISL_E10value_typeEPSM_NS1_7vsmem_tEENKUlT_SK_SL_SM_E_clISE_PiSF_SF_EESJ_SZ_SK_SL_SM_EUlSZ_E_NS1_11comp_targetILNS1_3genE3ELNS1_11target_archE908ELNS1_3gpuE7ELNS1_3repE0EEENS1_48merge_mergepath_partition_config_static_selectorELNS0_4arch9wavefront6targetE1EEEvSL_
                                        ; -- End function
	.section	.AMDGPU.csdata,"",@progbits
; Kernel info:
; codeLenInByte = 0
; NumSgprs: 6
; NumVgprs: 0
; NumAgprs: 0
; TotalNumVgprs: 0
; ScratchSize: 0
; MemoryBound: 0
; FloatMode: 240
; IeeeMode: 1
; LDSByteSize: 0 bytes/workgroup (compile time only)
; SGPRBlocks: 0
; VGPRBlocks: 0
; NumSGPRsForWavesPerEU: 6
; NumVGPRsForWavesPerEU: 1
; AccumOffset: 4
; Occupancy: 8
; WaveLimiterHint : 0
; COMPUTE_PGM_RSRC2:SCRATCH_EN: 0
; COMPUTE_PGM_RSRC2:USER_SGPR: 2
; COMPUTE_PGM_RSRC2:TRAP_HANDLER: 0
; COMPUTE_PGM_RSRC2:TGID_X_EN: 1
; COMPUTE_PGM_RSRC2:TGID_Y_EN: 0
; COMPUTE_PGM_RSRC2:TGID_Z_EN: 0
; COMPUTE_PGM_RSRC2:TIDIG_COMP_CNT: 0
; COMPUTE_PGM_RSRC3_GFX90A:ACCUM_OFFSET: 0
; COMPUTE_PGM_RSRC3_GFX90A:TG_SPLIT: 0
	.section	.text._ZN7rocprim17ROCPRIM_400000_NS6detail17trampoline_kernelINS0_14default_configENS1_38merge_sort_block_merge_config_selectorIiNS0_10empty_typeEEEZZNS1_27merge_sort_block_merge_implIS3_N6thrust23THRUST_200600_302600_NS6detail15normal_iteratorINS9_10device_ptrIiEEEEPS5_jNS1_19radix_merge_compareILb0ELb0EiNS0_19identity_decomposerEEEEE10hipError_tT0_T1_T2_jT3_P12ihipStream_tbPNSt15iterator_traitsISK_E10value_typeEPNSQ_ISL_E10value_typeEPSM_NS1_7vsmem_tEENKUlT_SK_SL_SM_E_clISE_PiSF_SF_EESJ_SZ_SK_SL_SM_EUlSZ_E_NS1_11comp_targetILNS1_3genE2ELNS1_11target_archE906ELNS1_3gpuE6ELNS1_3repE0EEENS1_48merge_mergepath_partition_config_static_selectorELNS0_4arch9wavefront6targetE1EEEvSL_,"axG",@progbits,_ZN7rocprim17ROCPRIM_400000_NS6detail17trampoline_kernelINS0_14default_configENS1_38merge_sort_block_merge_config_selectorIiNS0_10empty_typeEEEZZNS1_27merge_sort_block_merge_implIS3_N6thrust23THRUST_200600_302600_NS6detail15normal_iteratorINS9_10device_ptrIiEEEEPS5_jNS1_19radix_merge_compareILb0ELb0EiNS0_19identity_decomposerEEEEE10hipError_tT0_T1_T2_jT3_P12ihipStream_tbPNSt15iterator_traitsISK_E10value_typeEPNSQ_ISL_E10value_typeEPSM_NS1_7vsmem_tEENKUlT_SK_SL_SM_E_clISE_PiSF_SF_EESJ_SZ_SK_SL_SM_EUlSZ_E_NS1_11comp_targetILNS1_3genE2ELNS1_11target_archE906ELNS1_3gpuE6ELNS1_3repE0EEENS1_48merge_mergepath_partition_config_static_selectorELNS0_4arch9wavefront6targetE1EEEvSL_,comdat
	.protected	_ZN7rocprim17ROCPRIM_400000_NS6detail17trampoline_kernelINS0_14default_configENS1_38merge_sort_block_merge_config_selectorIiNS0_10empty_typeEEEZZNS1_27merge_sort_block_merge_implIS3_N6thrust23THRUST_200600_302600_NS6detail15normal_iteratorINS9_10device_ptrIiEEEEPS5_jNS1_19radix_merge_compareILb0ELb0EiNS0_19identity_decomposerEEEEE10hipError_tT0_T1_T2_jT3_P12ihipStream_tbPNSt15iterator_traitsISK_E10value_typeEPNSQ_ISL_E10value_typeEPSM_NS1_7vsmem_tEENKUlT_SK_SL_SM_E_clISE_PiSF_SF_EESJ_SZ_SK_SL_SM_EUlSZ_E_NS1_11comp_targetILNS1_3genE2ELNS1_11target_archE906ELNS1_3gpuE6ELNS1_3repE0EEENS1_48merge_mergepath_partition_config_static_selectorELNS0_4arch9wavefront6targetE1EEEvSL_ ; -- Begin function _ZN7rocprim17ROCPRIM_400000_NS6detail17trampoline_kernelINS0_14default_configENS1_38merge_sort_block_merge_config_selectorIiNS0_10empty_typeEEEZZNS1_27merge_sort_block_merge_implIS3_N6thrust23THRUST_200600_302600_NS6detail15normal_iteratorINS9_10device_ptrIiEEEEPS5_jNS1_19radix_merge_compareILb0ELb0EiNS0_19identity_decomposerEEEEE10hipError_tT0_T1_T2_jT3_P12ihipStream_tbPNSt15iterator_traitsISK_E10value_typeEPNSQ_ISL_E10value_typeEPSM_NS1_7vsmem_tEENKUlT_SK_SL_SM_E_clISE_PiSF_SF_EESJ_SZ_SK_SL_SM_EUlSZ_E_NS1_11comp_targetILNS1_3genE2ELNS1_11target_archE906ELNS1_3gpuE6ELNS1_3repE0EEENS1_48merge_mergepath_partition_config_static_selectorELNS0_4arch9wavefront6targetE1EEEvSL_
	.globl	_ZN7rocprim17ROCPRIM_400000_NS6detail17trampoline_kernelINS0_14default_configENS1_38merge_sort_block_merge_config_selectorIiNS0_10empty_typeEEEZZNS1_27merge_sort_block_merge_implIS3_N6thrust23THRUST_200600_302600_NS6detail15normal_iteratorINS9_10device_ptrIiEEEEPS5_jNS1_19radix_merge_compareILb0ELb0EiNS0_19identity_decomposerEEEEE10hipError_tT0_T1_T2_jT3_P12ihipStream_tbPNSt15iterator_traitsISK_E10value_typeEPNSQ_ISL_E10value_typeEPSM_NS1_7vsmem_tEENKUlT_SK_SL_SM_E_clISE_PiSF_SF_EESJ_SZ_SK_SL_SM_EUlSZ_E_NS1_11comp_targetILNS1_3genE2ELNS1_11target_archE906ELNS1_3gpuE6ELNS1_3repE0EEENS1_48merge_mergepath_partition_config_static_selectorELNS0_4arch9wavefront6targetE1EEEvSL_
	.p2align	8
	.type	_ZN7rocprim17ROCPRIM_400000_NS6detail17trampoline_kernelINS0_14default_configENS1_38merge_sort_block_merge_config_selectorIiNS0_10empty_typeEEEZZNS1_27merge_sort_block_merge_implIS3_N6thrust23THRUST_200600_302600_NS6detail15normal_iteratorINS9_10device_ptrIiEEEEPS5_jNS1_19radix_merge_compareILb0ELb0EiNS0_19identity_decomposerEEEEE10hipError_tT0_T1_T2_jT3_P12ihipStream_tbPNSt15iterator_traitsISK_E10value_typeEPNSQ_ISL_E10value_typeEPSM_NS1_7vsmem_tEENKUlT_SK_SL_SM_E_clISE_PiSF_SF_EESJ_SZ_SK_SL_SM_EUlSZ_E_NS1_11comp_targetILNS1_3genE2ELNS1_11target_archE906ELNS1_3gpuE6ELNS1_3repE0EEENS1_48merge_mergepath_partition_config_static_selectorELNS0_4arch9wavefront6targetE1EEEvSL_,@function
_ZN7rocprim17ROCPRIM_400000_NS6detail17trampoline_kernelINS0_14default_configENS1_38merge_sort_block_merge_config_selectorIiNS0_10empty_typeEEEZZNS1_27merge_sort_block_merge_implIS3_N6thrust23THRUST_200600_302600_NS6detail15normal_iteratorINS9_10device_ptrIiEEEEPS5_jNS1_19radix_merge_compareILb0ELb0EiNS0_19identity_decomposerEEEEE10hipError_tT0_T1_T2_jT3_P12ihipStream_tbPNSt15iterator_traitsISK_E10value_typeEPNSQ_ISL_E10value_typeEPSM_NS1_7vsmem_tEENKUlT_SK_SL_SM_E_clISE_PiSF_SF_EESJ_SZ_SK_SL_SM_EUlSZ_E_NS1_11comp_targetILNS1_3genE2ELNS1_11target_archE906ELNS1_3gpuE6ELNS1_3repE0EEENS1_48merge_mergepath_partition_config_static_selectorELNS0_4arch9wavefront6targetE1EEEvSL_: ; @_ZN7rocprim17ROCPRIM_400000_NS6detail17trampoline_kernelINS0_14default_configENS1_38merge_sort_block_merge_config_selectorIiNS0_10empty_typeEEEZZNS1_27merge_sort_block_merge_implIS3_N6thrust23THRUST_200600_302600_NS6detail15normal_iteratorINS9_10device_ptrIiEEEEPS5_jNS1_19radix_merge_compareILb0ELb0EiNS0_19identity_decomposerEEEEE10hipError_tT0_T1_T2_jT3_P12ihipStream_tbPNSt15iterator_traitsISK_E10value_typeEPNSQ_ISL_E10value_typeEPSM_NS1_7vsmem_tEENKUlT_SK_SL_SM_E_clISE_PiSF_SF_EESJ_SZ_SK_SL_SM_EUlSZ_E_NS1_11comp_targetILNS1_3genE2ELNS1_11target_archE906ELNS1_3gpuE6ELNS1_3repE0EEENS1_48merge_mergepath_partition_config_static_selectorELNS0_4arch9wavefront6targetE1EEEvSL_
; %bb.0:
	.section	.rodata,"a",@progbits
	.p2align	6, 0x0
	.amdhsa_kernel _ZN7rocprim17ROCPRIM_400000_NS6detail17trampoline_kernelINS0_14default_configENS1_38merge_sort_block_merge_config_selectorIiNS0_10empty_typeEEEZZNS1_27merge_sort_block_merge_implIS3_N6thrust23THRUST_200600_302600_NS6detail15normal_iteratorINS9_10device_ptrIiEEEEPS5_jNS1_19radix_merge_compareILb0ELb0EiNS0_19identity_decomposerEEEEE10hipError_tT0_T1_T2_jT3_P12ihipStream_tbPNSt15iterator_traitsISK_E10value_typeEPNSQ_ISL_E10value_typeEPSM_NS1_7vsmem_tEENKUlT_SK_SL_SM_E_clISE_PiSF_SF_EESJ_SZ_SK_SL_SM_EUlSZ_E_NS1_11comp_targetILNS1_3genE2ELNS1_11target_archE906ELNS1_3gpuE6ELNS1_3repE0EEENS1_48merge_mergepath_partition_config_static_selectorELNS0_4arch9wavefront6targetE1EEEvSL_
		.amdhsa_group_segment_fixed_size 0
		.amdhsa_private_segment_fixed_size 0
		.amdhsa_kernarg_size 40
		.amdhsa_user_sgpr_count 2
		.amdhsa_user_sgpr_dispatch_ptr 0
		.amdhsa_user_sgpr_queue_ptr 0
		.amdhsa_user_sgpr_kernarg_segment_ptr 1
		.amdhsa_user_sgpr_dispatch_id 0
		.amdhsa_user_sgpr_kernarg_preload_length 0
		.amdhsa_user_sgpr_kernarg_preload_offset 0
		.amdhsa_user_sgpr_private_segment_size 0
		.amdhsa_uses_dynamic_stack 0
		.amdhsa_enable_private_segment 0
		.amdhsa_system_sgpr_workgroup_id_x 1
		.amdhsa_system_sgpr_workgroup_id_y 0
		.amdhsa_system_sgpr_workgroup_id_z 0
		.amdhsa_system_sgpr_workgroup_info 0
		.amdhsa_system_vgpr_workitem_id 0
		.amdhsa_next_free_vgpr 1
		.amdhsa_next_free_sgpr 0
		.amdhsa_accum_offset 4
		.amdhsa_reserve_vcc 0
		.amdhsa_float_round_mode_32 0
		.amdhsa_float_round_mode_16_64 0
		.amdhsa_float_denorm_mode_32 3
		.amdhsa_float_denorm_mode_16_64 3
		.amdhsa_dx10_clamp 1
		.amdhsa_ieee_mode 1
		.amdhsa_fp16_overflow 0
		.amdhsa_tg_split 0
		.amdhsa_exception_fp_ieee_invalid_op 0
		.amdhsa_exception_fp_denorm_src 0
		.amdhsa_exception_fp_ieee_div_zero 0
		.amdhsa_exception_fp_ieee_overflow 0
		.amdhsa_exception_fp_ieee_underflow 0
		.amdhsa_exception_fp_ieee_inexact 0
		.amdhsa_exception_int_div_zero 0
	.end_amdhsa_kernel
	.section	.text._ZN7rocprim17ROCPRIM_400000_NS6detail17trampoline_kernelINS0_14default_configENS1_38merge_sort_block_merge_config_selectorIiNS0_10empty_typeEEEZZNS1_27merge_sort_block_merge_implIS3_N6thrust23THRUST_200600_302600_NS6detail15normal_iteratorINS9_10device_ptrIiEEEEPS5_jNS1_19radix_merge_compareILb0ELb0EiNS0_19identity_decomposerEEEEE10hipError_tT0_T1_T2_jT3_P12ihipStream_tbPNSt15iterator_traitsISK_E10value_typeEPNSQ_ISL_E10value_typeEPSM_NS1_7vsmem_tEENKUlT_SK_SL_SM_E_clISE_PiSF_SF_EESJ_SZ_SK_SL_SM_EUlSZ_E_NS1_11comp_targetILNS1_3genE2ELNS1_11target_archE906ELNS1_3gpuE6ELNS1_3repE0EEENS1_48merge_mergepath_partition_config_static_selectorELNS0_4arch9wavefront6targetE1EEEvSL_,"axG",@progbits,_ZN7rocprim17ROCPRIM_400000_NS6detail17trampoline_kernelINS0_14default_configENS1_38merge_sort_block_merge_config_selectorIiNS0_10empty_typeEEEZZNS1_27merge_sort_block_merge_implIS3_N6thrust23THRUST_200600_302600_NS6detail15normal_iteratorINS9_10device_ptrIiEEEEPS5_jNS1_19radix_merge_compareILb0ELb0EiNS0_19identity_decomposerEEEEE10hipError_tT0_T1_T2_jT3_P12ihipStream_tbPNSt15iterator_traitsISK_E10value_typeEPNSQ_ISL_E10value_typeEPSM_NS1_7vsmem_tEENKUlT_SK_SL_SM_E_clISE_PiSF_SF_EESJ_SZ_SK_SL_SM_EUlSZ_E_NS1_11comp_targetILNS1_3genE2ELNS1_11target_archE906ELNS1_3gpuE6ELNS1_3repE0EEENS1_48merge_mergepath_partition_config_static_selectorELNS0_4arch9wavefront6targetE1EEEvSL_,comdat
.Lfunc_end1643:
	.size	_ZN7rocprim17ROCPRIM_400000_NS6detail17trampoline_kernelINS0_14default_configENS1_38merge_sort_block_merge_config_selectorIiNS0_10empty_typeEEEZZNS1_27merge_sort_block_merge_implIS3_N6thrust23THRUST_200600_302600_NS6detail15normal_iteratorINS9_10device_ptrIiEEEEPS5_jNS1_19radix_merge_compareILb0ELb0EiNS0_19identity_decomposerEEEEE10hipError_tT0_T1_T2_jT3_P12ihipStream_tbPNSt15iterator_traitsISK_E10value_typeEPNSQ_ISL_E10value_typeEPSM_NS1_7vsmem_tEENKUlT_SK_SL_SM_E_clISE_PiSF_SF_EESJ_SZ_SK_SL_SM_EUlSZ_E_NS1_11comp_targetILNS1_3genE2ELNS1_11target_archE906ELNS1_3gpuE6ELNS1_3repE0EEENS1_48merge_mergepath_partition_config_static_selectorELNS0_4arch9wavefront6targetE1EEEvSL_, .Lfunc_end1643-_ZN7rocprim17ROCPRIM_400000_NS6detail17trampoline_kernelINS0_14default_configENS1_38merge_sort_block_merge_config_selectorIiNS0_10empty_typeEEEZZNS1_27merge_sort_block_merge_implIS3_N6thrust23THRUST_200600_302600_NS6detail15normal_iteratorINS9_10device_ptrIiEEEEPS5_jNS1_19radix_merge_compareILb0ELb0EiNS0_19identity_decomposerEEEEE10hipError_tT0_T1_T2_jT3_P12ihipStream_tbPNSt15iterator_traitsISK_E10value_typeEPNSQ_ISL_E10value_typeEPSM_NS1_7vsmem_tEENKUlT_SK_SL_SM_E_clISE_PiSF_SF_EESJ_SZ_SK_SL_SM_EUlSZ_E_NS1_11comp_targetILNS1_3genE2ELNS1_11target_archE906ELNS1_3gpuE6ELNS1_3repE0EEENS1_48merge_mergepath_partition_config_static_selectorELNS0_4arch9wavefront6targetE1EEEvSL_
                                        ; -- End function
	.section	.AMDGPU.csdata,"",@progbits
; Kernel info:
; codeLenInByte = 0
; NumSgprs: 6
; NumVgprs: 0
; NumAgprs: 0
; TotalNumVgprs: 0
; ScratchSize: 0
; MemoryBound: 0
; FloatMode: 240
; IeeeMode: 1
; LDSByteSize: 0 bytes/workgroup (compile time only)
; SGPRBlocks: 0
; VGPRBlocks: 0
; NumSGPRsForWavesPerEU: 6
; NumVGPRsForWavesPerEU: 1
; AccumOffset: 4
; Occupancy: 8
; WaveLimiterHint : 0
; COMPUTE_PGM_RSRC2:SCRATCH_EN: 0
; COMPUTE_PGM_RSRC2:USER_SGPR: 2
; COMPUTE_PGM_RSRC2:TRAP_HANDLER: 0
; COMPUTE_PGM_RSRC2:TGID_X_EN: 1
; COMPUTE_PGM_RSRC2:TGID_Y_EN: 0
; COMPUTE_PGM_RSRC2:TGID_Z_EN: 0
; COMPUTE_PGM_RSRC2:TIDIG_COMP_CNT: 0
; COMPUTE_PGM_RSRC3_GFX90A:ACCUM_OFFSET: 0
; COMPUTE_PGM_RSRC3_GFX90A:TG_SPLIT: 0
	.section	.text._ZN7rocprim17ROCPRIM_400000_NS6detail17trampoline_kernelINS0_14default_configENS1_38merge_sort_block_merge_config_selectorIiNS0_10empty_typeEEEZZNS1_27merge_sort_block_merge_implIS3_N6thrust23THRUST_200600_302600_NS6detail15normal_iteratorINS9_10device_ptrIiEEEEPS5_jNS1_19radix_merge_compareILb0ELb0EiNS0_19identity_decomposerEEEEE10hipError_tT0_T1_T2_jT3_P12ihipStream_tbPNSt15iterator_traitsISK_E10value_typeEPNSQ_ISL_E10value_typeEPSM_NS1_7vsmem_tEENKUlT_SK_SL_SM_E_clISE_PiSF_SF_EESJ_SZ_SK_SL_SM_EUlSZ_E_NS1_11comp_targetILNS1_3genE9ELNS1_11target_archE1100ELNS1_3gpuE3ELNS1_3repE0EEENS1_48merge_mergepath_partition_config_static_selectorELNS0_4arch9wavefront6targetE1EEEvSL_,"axG",@progbits,_ZN7rocprim17ROCPRIM_400000_NS6detail17trampoline_kernelINS0_14default_configENS1_38merge_sort_block_merge_config_selectorIiNS0_10empty_typeEEEZZNS1_27merge_sort_block_merge_implIS3_N6thrust23THRUST_200600_302600_NS6detail15normal_iteratorINS9_10device_ptrIiEEEEPS5_jNS1_19radix_merge_compareILb0ELb0EiNS0_19identity_decomposerEEEEE10hipError_tT0_T1_T2_jT3_P12ihipStream_tbPNSt15iterator_traitsISK_E10value_typeEPNSQ_ISL_E10value_typeEPSM_NS1_7vsmem_tEENKUlT_SK_SL_SM_E_clISE_PiSF_SF_EESJ_SZ_SK_SL_SM_EUlSZ_E_NS1_11comp_targetILNS1_3genE9ELNS1_11target_archE1100ELNS1_3gpuE3ELNS1_3repE0EEENS1_48merge_mergepath_partition_config_static_selectorELNS0_4arch9wavefront6targetE1EEEvSL_,comdat
	.protected	_ZN7rocprim17ROCPRIM_400000_NS6detail17trampoline_kernelINS0_14default_configENS1_38merge_sort_block_merge_config_selectorIiNS0_10empty_typeEEEZZNS1_27merge_sort_block_merge_implIS3_N6thrust23THRUST_200600_302600_NS6detail15normal_iteratorINS9_10device_ptrIiEEEEPS5_jNS1_19radix_merge_compareILb0ELb0EiNS0_19identity_decomposerEEEEE10hipError_tT0_T1_T2_jT3_P12ihipStream_tbPNSt15iterator_traitsISK_E10value_typeEPNSQ_ISL_E10value_typeEPSM_NS1_7vsmem_tEENKUlT_SK_SL_SM_E_clISE_PiSF_SF_EESJ_SZ_SK_SL_SM_EUlSZ_E_NS1_11comp_targetILNS1_3genE9ELNS1_11target_archE1100ELNS1_3gpuE3ELNS1_3repE0EEENS1_48merge_mergepath_partition_config_static_selectorELNS0_4arch9wavefront6targetE1EEEvSL_ ; -- Begin function _ZN7rocprim17ROCPRIM_400000_NS6detail17trampoline_kernelINS0_14default_configENS1_38merge_sort_block_merge_config_selectorIiNS0_10empty_typeEEEZZNS1_27merge_sort_block_merge_implIS3_N6thrust23THRUST_200600_302600_NS6detail15normal_iteratorINS9_10device_ptrIiEEEEPS5_jNS1_19radix_merge_compareILb0ELb0EiNS0_19identity_decomposerEEEEE10hipError_tT0_T1_T2_jT3_P12ihipStream_tbPNSt15iterator_traitsISK_E10value_typeEPNSQ_ISL_E10value_typeEPSM_NS1_7vsmem_tEENKUlT_SK_SL_SM_E_clISE_PiSF_SF_EESJ_SZ_SK_SL_SM_EUlSZ_E_NS1_11comp_targetILNS1_3genE9ELNS1_11target_archE1100ELNS1_3gpuE3ELNS1_3repE0EEENS1_48merge_mergepath_partition_config_static_selectorELNS0_4arch9wavefront6targetE1EEEvSL_
	.globl	_ZN7rocprim17ROCPRIM_400000_NS6detail17trampoline_kernelINS0_14default_configENS1_38merge_sort_block_merge_config_selectorIiNS0_10empty_typeEEEZZNS1_27merge_sort_block_merge_implIS3_N6thrust23THRUST_200600_302600_NS6detail15normal_iteratorINS9_10device_ptrIiEEEEPS5_jNS1_19radix_merge_compareILb0ELb0EiNS0_19identity_decomposerEEEEE10hipError_tT0_T1_T2_jT3_P12ihipStream_tbPNSt15iterator_traitsISK_E10value_typeEPNSQ_ISL_E10value_typeEPSM_NS1_7vsmem_tEENKUlT_SK_SL_SM_E_clISE_PiSF_SF_EESJ_SZ_SK_SL_SM_EUlSZ_E_NS1_11comp_targetILNS1_3genE9ELNS1_11target_archE1100ELNS1_3gpuE3ELNS1_3repE0EEENS1_48merge_mergepath_partition_config_static_selectorELNS0_4arch9wavefront6targetE1EEEvSL_
	.p2align	8
	.type	_ZN7rocprim17ROCPRIM_400000_NS6detail17trampoline_kernelINS0_14default_configENS1_38merge_sort_block_merge_config_selectorIiNS0_10empty_typeEEEZZNS1_27merge_sort_block_merge_implIS3_N6thrust23THRUST_200600_302600_NS6detail15normal_iteratorINS9_10device_ptrIiEEEEPS5_jNS1_19radix_merge_compareILb0ELb0EiNS0_19identity_decomposerEEEEE10hipError_tT0_T1_T2_jT3_P12ihipStream_tbPNSt15iterator_traitsISK_E10value_typeEPNSQ_ISL_E10value_typeEPSM_NS1_7vsmem_tEENKUlT_SK_SL_SM_E_clISE_PiSF_SF_EESJ_SZ_SK_SL_SM_EUlSZ_E_NS1_11comp_targetILNS1_3genE9ELNS1_11target_archE1100ELNS1_3gpuE3ELNS1_3repE0EEENS1_48merge_mergepath_partition_config_static_selectorELNS0_4arch9wavefront6targetE1EEEvSL_,@function
_ZN7rocprim17ROCPRIM_400000_NS6detail17trampoline_kernelINS0_14default_configENS1_38merge_sort_block_merge_config_selectorIiNS0_10empty_typeEEEZZNS1_27merge_sort_block_merge_implIS3_N6thrust23THRUST_200600_302600_NS6detail15normal_iteratorINS9_10device_ptrIiEEEEPS5_jNS1_19radix_merge_compareILb0ELb0EiNS0_19identity_decomposerEEEEE10hipError_tT0_T1_T2_jT3_P12ihipStream_tbPNSt15iterator_traitsISK_E10value_typeEPNSQ_ISL_E10value_typeEPSM_NS1_7vsmem_tEENKUlT_SK_SL_SM_E_clISE_PiSF_SF_EESJ_SZ_SK_SL_SM_EUlSZ_E_NS1_11comp_targetILNS1_3genE9ELNS1_11target_archE1100ELNS1_3gpuE3ELNS1_3repE0EEENS1_48merge_mergepath_partition_config_static_selectorELNS0_4arch9wavefront6targetE1EEEvSL_: ; @_ZN7rocprim17ROCPRIM_400000_NS6detail17trampoline_kernelINS0_14default_configENS1_38merge_sort_block_merge_config_selectorIiNS0_10empty_typeEEEZZNS1_27merge_sort_block_merge_implIS3_N6thrust23THRUST_200600_302600_NS6detail15normal_iteratorINS9_10device_ptrIiEEEEPS5_jNS1_19radix_merge_compareILb0ELb0EiNS0_19identity_decomposerEEEEE10hipError_tT0_T1_T2_jT3_P12ihipStream_tbPNSt15iterator_traitsISK_E10value_typeEPNSQ_ISL_E10value_typeEPSM_NS1_7vsmem_tEENKUlT_SK_SL_SM_E_clISE_PiSF_SF_EESJ_SZ_SK_SL_SM_EUlSZ_E_NS1_11comp_targetILNS1_3genE9ELNS1_11target_archE1100ELNS1_3gpuE3ELNS1_3repE0EEENS1_48merge_mergepath_partition_config_static_selectorELNS0_4arch9wavefront6targetE1EEEvSL_
; %bb.0:
	.section	.rodata,"a",@progbits
	.p2align	6, 0x0
	.amdhsa_kernel _ZN7rocprim17ROCPRIM_400000_NS6detail17trampoline_kernelINS0_14default_configENS1_38merge_sort_block_merge_config_selectorIiNS0_10empty_typeEEEZZNS1_27merge_sort_block_merge_implIS3_N6thrust23THRUST_200600_302600_NS6detail15normal_iteratorINS9_10device_ptrIiEEEEPS5_jNS1_19radix_merge_compareILb0ELb0EiNS0_19identity_decomposerEEEEE10hipError_tT0_T1_T2_jT3_P12ihipStream_tbPNSt15iterator_traitsISK_E10value_typeEPNSQ_ISL_E10value_typeEPSM_NS1_7vsmem_tEENKUlT_SK_SL_SM_E_clISE_PiSF_SF_EESJ_SZ_SK_SL_SM_EUlSZ_E_NS1_11comp_targetILNS1_3genE9ELNS1_11target_archE1100ELNS1_3gpuE3ELNS1_3repE0EEENS1_48merge_mergepath_partition_config_static_selectorELNS0_4arch9wavefront6targetE1EEEvSL_
		.amdhsa_group_segment_fixed_size 0
		.amdhsa_private_segment_fixed_size 0
		.amdhsa_kernarg_size 40
		.amdhsa_user_sgpr_count 2
		.amdhsa_user_sgpr_dispatch_ptr 0
		.amdhsa_user_sgpr_queue_ptr 0
		.amdhsa_user_sgpr_kernarg_segment_ptr 1
		.amdhsa_user_sgpr_dispatch_id 0
		.amdhsa_user_sgpr_kernarg_preload_length 0
		.amdhsa_user_sgpr_kernarg_preload_offset 0
		.amdhsa_user_sgpr_private_segment_size 0
		.amdhsa_uses_dynamic_stack 0
		.amdhsa_enable_private_segment 0
		.amdhsa_system_sgpr_workgroup_id_x 1
		.amdhsa_system_sgpr_workgroup_id_y 0
		.amdhsa_system_sgpr_workgroup_id_z 0
		.amdhsa_system_sgpr_workgroup_info 0
		.amdhsa_system_vgpr_workitem_id 0
		.amdhsa_next_free_vgpr 1
		.amdhsa_next_free_sgpr 0
		.amdhsa_accum_offset 4
		.amdhsa_reserve_vcc 0
		.amdhsa_float_round_mode_32 0
		.amdhsa_float_round_mode_16_64 0
		.amdhsa_float_denorm_mode_32 3
		.amdhsa_float_denorm_mode_16_64 3
		.amdhsa_dx10_clamp 1
		.amdhsa_ieee_mode 1
		.amdhsa_fp16_overflow 0
		.amdhsa_tg_split 0
		.amdhsa_exception_fp_ieee_invalid_op 0
		.amdhsa_exception_fp_denorm_src 0
		.amdhsa_exception_fp_ieee_div_zero 0
		.amdhsa_exception_fp_ieee_overflow 0
		.amdhsa_exception_fp_ieee_underflow 0
		.amdhsa_exception_fp_ieee_inexact 0
		.amdhsa_exception_int_div_zero 0
	.end_amdhsa_kernel
	.section	.text._ZN7rocprim17ROCPRIM_400000_NS6detail17trampoline_kernelINS0_14default_configENS1_38merge_sort_block_merge_config_selectorIiNS0_10empty_typeEEEZZNS1_27merge_sort_block_merge_implIS3_N6thrust23THRUST_200600_302600_NS6detail15normal_iteratorINS9_10device_ptrIiEEEEPS5_jNS1_19radix_merge_compareILb0ELb0EiNS0_19identity_decomposerEEEEE10hipError_tT0_T1_T2_jT3_P12ihipStream_tbPNSt15iterator_traitsISK_E10value_typeEPNSQ_ISL_E10value_typeEPSM_NS1_7vsmem_tEENKUlT_SK_SL_SM_E_clISE_PiSF_SF_EESJ_SZ_SK_SL_SM_EUlSZ_E_NS1_11comp_targetILNS1_3genE9ELNS1_11target_archE1100ELNS1_3gpuE3ELNS1_3repE0EEENS1_48merge_mergepath_partition_config_static_selectorELNS0_4arch9wavefront6targetE1EEEvSL_,"axG",@progbits,_ZN7rocprim17ROCPRIM_400000_NS6detail17trampoline_kernelINS0_14default_configENS1_38merge_sort_block_merge_config_selectorIiNS0_10empty_typeEEEZZNS1_27merge_sort_block_merge_implIS3_N6thrust23THRUST_200600_302600_NS6detail15normal_iteratorINS9_10device_ptrIiEEEEPS5_jNS1_19radix_merge_compareILb0ELb0EiNS0_19identity_decomposerEEEEE10hipError_tT0_T1_T2_jT3_P12ihipStream_tbPNSt15iterator_traitsISK_E10value_typeEPNSQ_ISL_E10value_typeEPSM_NS1_7vsmem_tEENKUlT_SK_SL_SM_E_clISE_PiSF_SF_EESJ_SZ_SK_SL_SM_EUlSZ_E_NS1_11comp_targetILNS1_3genE9ELNS1_11target_archE1100ELNS1_3gpuE3ELNS1_3repE0EEENS1_48merge_mergepath_partition_config_static_selectorELNS0_4arch9wavefront6targetE1EEEvSL_,comdat
.Lfunc_end1644:
	.size	_ZN7rocprim17ROCPRIM_400000_NS6detail17trampoline_kernelINS0_14default_configENS1_38merge_sort_block_merge_config_selectorIiNS0_10empty_typeEEEZZNS1_27merge_sort_block_merge_implIS3_N6thrust23THRUST_200600_302600_NS6detail15normal_iteratorINS9_10device_ptrIiEEEEPS5_jNS1_19radix_merge_compareILb0ELb0EiNS0_19identity_decomposerEEEEE10hipError_tT0_T1_T2_jT3_P12ihipStream_tbPNSt15iterator_traitsISK_E10value_typeEPNSQ_ISL_E10value_typeEPSM_NS1_7vsmem_tEENKUlT_SK_SL_SM_E_clISE_PiSF_SF_EESJ_SZ_SK_SL_SM_EUlSZ_E_NS1_11comp_targetILNS1_3genE9ELNS1_11target_archE1100ELNS1_3gpuE3ELNS1_3repE0EEENS1_48merge_mergepath_partition_config_static_selectorELNS0_4arch9wavefront6targetE1EEEvSL_, .Lfunc_end1644-_ZN7rocprim17ROCPRIM_400000_NS6detail17trampoline_kernelINS0_14default_configENS1_38merge_sort_block_merge_config_selectorIiNS0_10empty_typeEEEZZNS1_27merge_sort_block_merge_implIS3_N6thrust23THRUST_200600_302600_NS6detail15normal_iteratorINS9_10device_ptrIiEEEEPS5_jNS1_19radix_merge_compareILb0ELb0EiNS0_19identity_decomposerEEEEE10hipError_tT0_T1_T2_jT3_P12ihipStream_tbPNSt15iterator_traitsISK_E10value_typeEPNSQ_ISL_E10value_typeEPSM_NS1_7vsmem_tEENKUlT_SK_SL_SM_E_clISE_PiSF_SF_EESJ_SZ_SK_SL_SM_EUlSZ_E_NS1_11comp_targetILNS1_3genE9ELNS1_11target_archE1100ELNS1_3gpuE3ELNS1_3repE0EEENS1_48merge_mergepath_partition_config_static_selectorELNS0_4arch9wavefront6targetE1EEEvSL_
                                        ; -- End function
	.section	.AMDGPU.csdata,"",@progbits
; Kernel info:
; codeLenInByte = 0
; NumSgprs: 6
; NumVgprs: 0
; NumAgprs: 0
; TotalNumVgprs: 0
; ScratchSize: 0
; MemoryBound: 0
; FloatMode: 240
; IeeeMode: 1
; LDSByteSize: 0 bytes/workgroup (compile time only)
; SGPRBlocks: 0
; VGPRBlocks: 0
; NumSGPRsForWavesPerEU: 6
; NumVGPRsForWavesPerEU: 1
; AccumOffset: 4
; Occupancy: 8
; WaveLimiterHint : 0
; COMPUTE_PGM_RSRC2:SCRATCH_EN: 0
; COMPUTE_PGM_RSRC2:USER_SGPR: 2
; COMPUTE_PGM_RSRC2:TRAP_HANDLER: 0
; COMPUTE_PGM_RSRC2:TGID_X_EN: 1
; COMPUTE_PGM_RSRC2:TGID_Y_EN: 0
; COMPUTE_PGM_RSRC2:TGID_Z_EN: 0
; COMPUTE_PGM_RSRC2:TIDIG_COMP_CNT: 0
; COMPUTE_PGM_RSRC3_GFX90A:ACCUM_OFFSET: 0
; COMPUTE_PGM_RSRC3_GFX90A:TG_SPLIT: 0
	.section	.text._ZN7rocprim17ROCPRIM_400000_NS6detail17trampoline_kernelINS0_14default_configENS1_38merge_sort_block_merge_config_selectorIiNS0_10empty_typeEEEZZNS1_27merge_sort_block_merge_implIS3_N6thrust23THRUST_200600_302600_NS6detail15normal_iteratorINS9_10device_ptrIiEEEEPS5_jNS1_19radix_merge_compareILb0ELb0EiNS0_19identity_decomposerEEEEE10hipError_tT0_T1_T2_jT3_P12ihipStream_tbPNSt15iterator_traitsISK_E10value_typeEPNSQ_ISL_E10value_typeEPSM_NS1_7vsmem_tEENKUlT_SK_SL_SM_E_clISE_PiSF_SF_EESJ_SZ_SK_SL_SM_EUlSZ_E_NS1_11comp_targetILNS1_3genE8ELNS1_11target_archE1030ELNS1_3gpuE2ELNS1_3repE0EEENS1_48merge_mergepath_partition_config_static_selectorELNS0_4arch9wavefront6targetE1EEEvSL_,"axG",@progbits,_ZN7rocprim17ROCPRIM_400000_NS6detail17trampoline_kernelINS0_14default_configENS1_38merge_sort_block_merge_config_selectorIiNS0_10empty_typeEEEZZNS1_27merge_sort_block_merge_implIS3_N6thrust23THRUST_200600_302600_NS6detail15normal_iteratorINS9_10device_ptrIiEEEEPS5_jNS1_19radix_merge_compareILb0ELb0EiNS0_19identity_decomposerEEEEE10hipError_tT0_T1_T2_jT3_P12ihipStream_tbPNSt15iterator_traitsISK_E10value_typeEPNSQ_ISL_E10value_typeEPSM_NS1_7vsmem_tEENKUlT_SK_SL_SM_E_clISE_PiSF_SF_EESJ_SZ_SK_SL_SM_EUlSZ_E_NS1_11comp_targetILNS1_3genE8ELNS1_11target_archE1030ELNS1_3gpuE2ELNS1_3repE0EEENS1_48merge_mergepath_partition_config_static_selectorELNS0_4arch9wavefront6targetE1EEEvSL_,comdat
	.protected	_ZN7rocprim17ROCPRIM_400000_NS6detail17trampoline_kernelINS0_14default_configENS1_38merge_sort_block_merge_config_selectorIiNS0_10empty_typeEEEZZNS1_27merge_sort_block_merge_implIS3_N6thrust23THRUST_200600_302600_NS6detail15normal_iteratorINS9_10device_ptrIiEEEEPS5_jNS1_19radix_merge_compareILb0ELb0EiNS0_19identity_decomposerEEEEE10hipError_tT0_T1_T2_jT3_P12ihipStream_tbPNSt15iterator_traitsISK_E10value_typeEPNSQ_ISL_E10value_typeEPSM_NS1_7vsmem_tEENKUlT_SK_SL_SM_E_clISE_PiSF_SF_EESJ_SZ_SK_SL_SM_EUlSZ_E_NS1_11comp_targetILNS1_3genE8ELNS1_11target_archE1030ELNS1_3gpuE2ELNS1_3repE0EEENS1_48merge_mergepath_partition_config_static_selectorELNS0_4arch9wavefront6targetE1EEEvSL_ ; -- Begin function _ZN7rocprim17ROCPRIM_400000_NS6detail17trampoline_kernelINS0_14default_configENS1_38merge_sort_block_merge_config_selectorIiNS0_10empty_typeEEEZZNS1_27merge_sort_block_merge_implIS3_N6thrust23THRUST_200600_302600_NS6detail15normal_iteratorINS9_10device_ptrIiEEEEPS5_jNS1_19radix_merge_compareILb0ELb0EiNS0_19identity_decomposerEEEEE10hipError_tT0_T1_T2_jT3_P12ihipStream_tbPNSt15iterator_traitsISK_E10value_typeEPNSQ_ISL_E10value_typeEPSM_NS1_7vsmem_tEENKUlT_SK_SL_SM_E_clISE_PiSF_SF_EESJ_SZ_SK_SL_SM_EUlSZ_E_NS1_11comp_targetILNS1_3genE8ELNS1_11target_archE1030ELNS1_3gpuE2ELNS1_3repE0EEENS1_48merge_mergepath_partition_config_static_selectorELNS0_4arch9wavefront6targetE1EEEvSL_
	.globl	_ZN7rocprim17ROCPRIM_400000_NS6detail17trampoline_kernelINS0_14default_configENS1_38merge_sort_block_merge_config_selectorIiNS0_10empty_typeEEEZZNS1_27merge_sort_block_merge_implIS3_N6thrust23THRUST_200600_302600_NS6detail15normal_iteratorINS9_10device_ptrIiEEEEPS5_jNS1_19radix_merge_compareILb0ELb0EiNS0_19identity_decomposerEEEEE10hipError_tT0_T1_T2_jT3_P12ihipStream_tbPNSt15iterator_traitsISK_E10value_typeEPNSQ_ISL_E10value_typeEPSM_NS1_7vsmem_tEENKUlT_SK_SL_SM_E_clISE_PiSF_SF_EESJ_SZ_SK_SL_SM_EUlSZ_E_NS1_11comp_targetILNS1_3genE8ELNS1_11target_archE1030ELNS1_3gpuE2ELNS1_3repE0EEENS1_48merge_mergepath_partition_config_static_selectorELNS0_4arch9wavefront6targetE1EEEvSL_
	.p2align	8
	.type	_ZN7rocprim17ROCPRIM_400000_NS6detail17trampoline_kernelINS0_14default_configENS1_38merge_sort_block_merge_config_selectorIiNS0_10empty_typeEEEZZNS1_27merge_sort_block_merge_implIS3_N6thrust23THRUST_200600_302600_NS6detail15normal_iteratorINS9_10device_ptrIiEEEEPS5_jNS1_19radix_merge_compareILb0ELb0EiNS0_19identity_decomposerEEEEE10hipError_tT0_T1_T2_jT3_P12ihipStream_tbPNSt15iterator_traitsISK_E10value_typeEPNSQ_ISL_E10value_typeEPSM_NS1_7vsmem_tEENKUlT_SK_SL_SM_E_clISE_PiSF_SF_EESJ_SZ_SK_SL_SM_EUlSZ_E_NS1_11comp_targetILNS1_3genE8ELNS1_11target_archE1030ELNS1_3gpuE2ELNS1_3repE0EEENS1_48merge_mergepath_partition_config_static_selectorELNS0_4arch9wavefront6targetE1EEEvSL_,@function
_ZN7rocprim17ROCPRIM_400000_NS6detail17trampoline_kernelINS0_14default_configENS1_38merge_sort_block_merge_config_selectorIiNS0_10empty_typeEEEZZNS1_27merge_sort_block_merge_implIS3_N6thrust23THRUST_200600_302600_NS6detail15normal_iteratorINS9_10device_ptrIiEEEEPS5_jNS1_19radix_merge_compareILb0ELb0EiNS0_19identity_decomposerEEEEE10hipError_tT0_T1_T2_jT3_P12ihipStream_tbPNSt15iterator_traitsISK_E10value_typeEPNSQ_ISL_E10value_typeEPSM_NS1_7vsmem_tEENKUlT_SK_SL_SM_E_clISE_PiSF_SF_EESJ_SZ_SK_SL_SM_EUlSZ_E_NS1_11comp_targetILNS1_3genE8ELNS1_11target_archE1030ELNS1_3gpuE2ELNS1_3repE0EEENS1_48merge_mergepath_partition_config_static_selectorELNS0_4arch9wavefront6targetE1EEEvSL_: ; @_ZN7rocprim17ROCPRIM_400000_NS6detail17trampoline_kernelINS0_14default_configENS1_38merge_sort_block_merge_config_selectorIiNS0_10empty_typeEEEZZNS1_27merge_sort_block_merge_implIS3_N6thrust23THRUST_200600_302600_NS6detail15normal_iteratorINS9_10device_ptrIiEEEEPS5_jNS1_19radix_merge_compareILb0ELb0EiNS0_19identity_decomposerEEEEE10hipError_tT0_T1_T2_jT3_P12ihipStream_tbPNSt15iterator_traitsISK_E10value_typeEPNSQ_ISL_E10value_typeEPSM_NS1_7vsmem_tEENKUlT_SK_SL_SM_E_clISE_PiSF_SF_EESJ_SZ_SK_SL_SM_EUlSZ_E_NS1_11comp_targetILNS1_3genE8ELNS1_11target_archE1030ELNS1_3gpuE2ELNS1_3repE0EEENS1_48merge_mergepath_partition_config_static_selectorELNS0_4arch9wavefront6targetE1EEEvSL_
; %bb.0:
	.section	.rodata,"a",@progbits
	.p2align	6, 0x0
	.amdhsa_kernel _ZN7rocprim17ROCPRIM_400000_NS6detail17trampoline_kernelINS0_14default_configENS1_38merge_sort_block_merge_config_selectorIiNS0_10empty_typeEEEZZNS1_27merge_sort_block_merge_implIS3_N6thrust23THRUST_200600_302600_NS6detail15normal_iteratorINS9_10device_ptrIiEEEEPS5_jNS1_19radix_merge_compareILb0ELb0EiNS0_19identity_decomposerEEEEE10hipError_tT0_T1_T2_jT3_P12ihipStream_tbPNSt15iterator_traitsISK_E10value_typeEPNSQ_ISL_E10value_typeEPSM_NS1_7vsmem_tEENKUlT_SK_SL_SM_E_clISE_PiSF_SF_EESJ_SZ_SK_SL_SM_EUlSZ_E_NS1_11comp_targetILNS1_3genE8ELNS1_11target_archE1030ELNS1_3gpuE2ELNS1_3repE0EEENS1_48merge_mergepath_partition_config_static_selectorELNS0_4arch9wavefront6targetE1EEEvSL_
		.amdhsa_group_segment_fixed_size 0
		.amdhsa_private_segment_fixed_size 0
		.amdhsa_kernarg_size 40
		.amdhsa_user_sgpr_count 2
		.amdhsa_user_sgpr_dispatch_ptr 0
		.amdhsa_user_sgpr_queue_ptr 0
		.amdhsa_user_sgpr_kernarg_segment_ptr 1
		.amdhsa_user_sgpr_dispatch_id 0
		.amdhsa_user_sgpr_kernarg_preload_length 0
		.amdhsa_user_sgpr_kernarg_preload_offset 0
		.amdhsa_user_sgpr_private_segment_size 0
		.amdhsa_uses_dynamic_stack 0
		.amdhsa_enable_private_segment 0
		.amdhsa_system_sgpr_workgroup_id_x 1
		.amdhsa_system_sgpr_workgroup_id_y 0
		.amdhsa_system_sgpr_workgroup_id_z 0
		.amdhsa_system_sgpr_workgroup_info 0
		.amdhsa_system_vgpr_workitem_id 0
		.amdhsa_next_free_vgpr 1
		.amdhsa_next_free_sgpr 0
		.amdhsa_accum_offset 4
		.amdhsa_reserve_vcc 0
		.amdhsa_float_round_mode_32 0
		.amdhsa_float_round_mode_16_64 0
		.amdhsa_float_denorm_mode_32 3
		.amdhsa_float_denorm_mode_16_64 3
		.amdhsa_dx10_clamp 1
		.amdhsa_ieee_mode 1
		.amdhsa_fp16_overflow 0
		.amdhsa_tg_split 0
		.amdhsa_exception_fp_ieee_invalid_op 0
		.amdhsa_exception_fp_denorm_src 0
		.amdhsa_exception_fp_ieee_div_zero 0
		.amdhsa_exception_fp_ieee_overflow 0
		.amdhsa_exception_fp_ieee_underflow 0
		.amdhsa_exception_fp_ieee_inexact 0
		.amdhsa_exception_int_div_zero 0
	.end_amdhsa_kernel
	.section	.text._ZN7rocprim17ROCPRIM_400000_NS6detail17trampoline_kernelINS0_14default_configENS1_38merge_sort_block_merge_config_selectorIiNS0_10empty_typeEEEZZNS1_27merge_sort_block_merge_implIS3_N6thrust23THRUST_200600_302600_NS6detail15normal_iteratorINS9_10device_ptrIiEEEEPS5_jNS1_19radix_merge_compareILb0ELb0EiNS0_19identity_decomposerEEEEE10hipError_tT0_T1_T2_jT3_P12ihipStream_tbPNSt15iterator_traitsISK_E10value_typeEPNSQ_ISL_E10value_typeEPSM_NS1_7vsmem_tEENKUlT_SK_SL_SM_E_clISE_PiSF_SF_EESJ_SZ_SK_SL_SM_EUlSZ_E_NS1_11comp_targetILNS1_3genE8ELNS1_11target_archE1030ELNS1_3gpuE2ELNS1_3repE0EEENS1_48merge_mergepath_partition_config_static_selectorELNS0_4arch9wavefront6targetE1EEEvSL_,"axG",@progbits,_ZN7rocprim17ROCPRIM_400000_NS6detail17trampoline_kernelINS0_14default_configENS1_38merge_sort_block_merge_config_selectorIiNS0_10empty_typeEEEZZNS1_27merge_sort_block_merge_implIS3_N6thrust23THRUST_200600_302600_NS6detail15normal_iteratorINS9_10device_ptrIiEEEEPS5_jNS1_19radix_merge_compareILb0ELb0EiNS0_19identity_decomposerEEEEE10hipError_tT0_T1_T2_jT3_P12ihipStream_tbPNSt15iterator_traitsISK_E10value_typeEPNSQ_ISL_E10value_typeEPSM_NS1_7vsmem_tEENKUlT_SK_SL_SM_E_clISE_PiSF_SF_EESJ_SZ_SK_SL_SM_EUlSZ_E_NS1_11comp_targetILNS1_3genE8ELNS1_11target_archE1030ELNS1_3gpuE2ELNS1_3repE0EEENS1_48merge_mergepath_partition_config_static_selectorELNS0_4arch9wavefront6targetE1EEEvSL_,comdat
.Lfunc_end1645:
	.size	_ZN7rocprim17ROCPRIM_400000_NS6detail17trampoline_kernelINS0_14default_configENS1_38merge_sort_block_merge_config_selectorIiNS0_10empty_typeEEEZZNS1_27merge_sort_block_merge_implIS3_N6thrust23THRUST_200600_302600_NS6detail15normal_iteratorINS9_10device_ptrIiEEEEPS5_jNS1_19radix_merge_compareILb0ELb0EiNS0_19identity_decomposerEEEEE10hipError_tT0_T1_T2_jT3_P12ihipStream_tbPNSt15iterator_traitsISK_E10value_typeEPNSQ_ISL_E10value_typeEPSM_NS1_7vsmem_tEENKUlT_SK_SL_SM_E_clISE_PiSF_SF_EESJ_SZ_SK_SL_SM_EUlSZ_E_NS1_11comp_targetILNS1_3genE8ELNS1_11target_archE1030ELNS1_3gpuE2ELNS1_3repE0EEENS1_48merge_mergepath_partition_config_static_selectorELNS0_4arch9wavefront6targetE1EEEvSL_, .Lfunc_end1645-_ZN7rocprim17ROCPRIM_400000_NS6detail17trampoline_kernelINS0_14default_configENS1_38merge_sort_block_merge_config_selectorIiNS0_10empty_typeEEEZZNS1_27merge_sort_block_merge_implIS3_N6thrust23THRUST_200600_302600_NS6detail15normal_iteratorINS9_10device_ptrIiEEEEPS5_jNS1_19radix_merge_compareILb0ELb0EiNS0_19identity_decomposerEEEEE10hipError_tT0_T1_T2_jT3_P12ihipStream_tbPNSt15iterator_traitsISK_E10value_typeEPNSQ_ISL_E10value_typeEPSM_NS1_7vsmem_tEENKUlT_SK_SL_SM_E_clISE_PiSF_SF_EESJ_SZ_SK_SL_SM_EUlSZ_E_NS1_11comp_targetILNS1_3genE8ELNS1_11target_archE1030ELNS1_3gpuE2ELNS1_3repE0EEENS1_48merge_mergepath_partition_config_static_selectorELNS0_4arch9wavefront6targetE1EEEvSL_
                                        ; -- End function
	.section	.AMDGPU.csdata,"",@progbits
; Kernel info:
; codeLenInByte = 0
; NumSgprs: 6
; NumVgprs: 0
; NumAgprs: 0
; TotalNumVgprs: 0
; ScratchSize: 0
; MemoryBound: 0
; FloatMode: 240
; IeeeMode: 1
; LDSByteSize: 0 bytes/workgroup (compile time only)
; SGPRBlocks: 0
; VGPRBlocks: 0
; NumSGPRsForWavesPerEU: 6
; NumVGPRsForWavesPerEU: 1
; AccumOffset: 4
; Occupancy: 8
; WaveLimiterHint : 0
; COMPUTE_PGM_RSRC2:SCRATCH_EN: 0
; COMPUTE_PGM_RSRC2:USER_SGPR: 2
; COMPUTE_PGM_RSRC2:TRAP_HANDLER: 0
; COMPUTE_PGM_RSRC2:TGID_X_EN: 1
; COMPUTE_PGM_RSRC2:TGID_Y_EN: 0
; COMPUTE_PGM_RSRC2:TGID_Z_EN: 0
; COMPUTE_PGM_RSRC2:TIDIG_COMP_CNT: 0
; COMPUTE_PGM_RSRC3_GFX90A:ACCUM_OFFSET: 0
; COMPUTE_PGM_RSRC3_GFX90A:TG_SPLIT: 0
	.section	.text._ZN7rocprim17ROCPRIM_400000_NS6detail17trampoline_kernelINS0_14default_configENS1_38merge_sort_block_merge_config_selectorIiNS0_10empty_typeEEEZZNS1_27merge_sort_block_merge_implIS3_N6thrust23THRUST_200600_302600_NS6detail15normal_iteratorINS9_10device_ptrIiEEEEPS5_jNS1_19radix_merge_compareILb0ELb0EiNS0_19identity_decomposerEEEEE10hipError_tT0_T1_T2_jT3_P12ihipStream_tbPNSt15iterator_traitsISK_E10value_typeEPNSQ_ISL_E10value_typeEPSM_NS1_7vsmem_tEENKUlT_SK_SL_SM_E_clISE_PiSF_SF_EESJ_SZ_SK_SL_SM_EUlSZ_E0_NS1_11comp_targetILNS1_3genE0ELNS1_11target_archE4294967295ELNS1_3gpuE0ELNS1_3repE0EEENS1_38merge_mergepath_config_static_selectorELNS0_4arch9wavefront6targetE1EEEvSL_,"axG",@progbits,_ZN7rocprim17ROCPRIM_400000_NS6detail17trampoline_kernelINS0_14default_configENS1_38merge_sort_block_merge_config_selectorIiNS0_10empty_typeEEEZZNS1_27merge_sort_block_merge_implIS3_N6thrust23THRUST_200600_302600_NS6detail15normal_iteratorINS9_10device_ptrIiEEEEPS5_jNS1_19radix_merge_compareILb0ELb0EiNS0_19identity_decomposerEEEEE10hipError_tT0_T1_T2_jT3_P12ihipStream_tbPNSt15iterator_traitsISK_E10value_typeEPNSQ_ISL_E10value_typeEPSM_NS1_7vsmem_tEENKUlT_SK_SL_SM_E_clISE_PiSF_SF_EESJ_SZ_SK_SL_SM_EUlSZ_E0_NS1_11comp_targetILNS1_3genE0ELNS1_11target_archE4294967295ELNS1_3gpuE0ELNS1_3repE0EEENS1_38merge_mergepath_config_static_selectorELNS0_4arch9wavefront6targetE1EEEvSL_,comdat
	.protected	_ZN7rocprim17ROCPRIM_400000_NS6detail17trampoline_kernelINS0_14default_configENS1_38merge_sort_block_merge_config_selectorIiNS0_10empty_typeEEEZZNS1_27merge_sort_block_merge_implIS3_N6thrust23THRUST_200600_302600_NS6detail15normal_iteratorINS9_10device_ptrIiEEEEPS5_jNS1_19radix_merge_compareILb0ELb0EiNS0_19identity_decomposerEEEEE10hipError_tT0_T1_T2_jT3_P12ihipStream_tbPNSt15iterator_traitsISK_E10value_typeEPNSQ_ISL_E10value_typeEPSM_NS1_7vsmem_tEENKUlT_SK_SL_SM_E_clISE_PiSF_SF_EESJ_SZ_SK_SL_SM_EUlSZ_E0_NS1_11comp_targetILNS1_3genE0ELNS1_11target_archE4294967295ELNS1_3gpuE0ELNS1_3repE0EEENS1_38merge_mergepath_config_static_selectorELNS0_4arch9wavefront6targetE1EEEvSL_ ; -- Begin function _ZN7rocprim17ROCPRIM_400000_NS6detail17trampoline_kernelINS0_14default_configENS1_38merge_sort_block_merge_config_selectorIiNS0_10empty_typeEEEZZNS1_27merge_sort_block_merge_implIS3_N6thrust23THRUST_200600_302600_NS6detail15normal_iteratorINS9_10device_ptrIiEEEEPS5_jNS1_19radix_merge_compareILb0ELb0EiNS0_19identity_decomposerEEEEE10hipError_tT0_T1_T2_jT3_P12ihipStream_tbPNSt15iterator_traitsISK_E10value_typeEPNSQ_ISL_E10value_typeEPSM_NS1_7vsmem_tEENKUlT_SK_SL_SM_E_clISE_PiSF_SF_EESJ_SZ_SK_SL_SM_EUlSZ_E0_NS1_11comp_targetILNS1_3genE0ELNS1_11target_archE4294967295ELNS1_3gpuE0ELNS1_3repE0EEENS1_38merge_mergepath_config_static_selectorELNS0_4arch9wavefront6targetE1EEEvSL_
	.globl	_ZN7rocprim17ROCPRIM_400000_NS6detail17trampoline_kernelINS0_14default_configENS1_38merge_sort_block_merge_config_selectorIiNS0_10empty_typeEEEZZNS1_27merge_sort_block_merge_implIS3_N6thrust23THRUST_200600_302600_NS6detail15normal_iteratorINS9_10device_ptrIiEEEEPS5_jNS1_19radix_merge_compareILb0ELb0EiNS0_19identity_decomposerEEEEE10hipError_tT0_T1_T2_jT3_P12ihipStream_tbPNSt15iterator_traitsISK_E10value_typeEPNSQ_ISL_E10value_typeEPSM_NS1_7vsmem_tEENKUlT_SK_SL_SM_E_clISE_PiSF_SF_EESJ_SZ_SK_SL_SM_EUlSZ_E0_NS1_11comp_targetILNS1_3genE0ELNS1_11target_archE4294967295ELNS1_3gpuE0ELNS1_3repE0EEENS1_38merge_mergepath_config_static_selectorELNS0_4arch9wavefront6targetE1EEEvSL_
	.p2align	8
	.type	_ZN7rocprim17ROCPRIM_400000_NS6detail17trampoline_kernelINS0_14default_configENS1_38merge_sort_block_merge_config_selectorIiNS0_10empty_typeEEEZZNS1_27merge_sort_block_merge_implIS3_N6thrust23THRUST_200600_302600_NS6detail15normal_iteratorINS9_10device_ptrIiEEEEPS5_jNS1_19radix_merge_compareILb0ELb0EiNS0_19identity_decomposerEEEEE10hipError_tT0_T1_T2_jT3_P12ihipStream_tbPNSt15iterator_traitsISK_E10value_typeEPNSQ_ISL_E10value_typeEPSM_NS1_7vsmem_tEENKUlT_SK_SL_SM_E_clISE_PiSF_SF_EESJ_SZ_SK_SL_SM_EUlSZ_E0_NS1_11comp_targetILNS1_3genE0ELNS1_11target_archE4294967295ELNS1_3gpuE0ELNS1_3repE0EEENS1_38merge_mergepath_config_static_selectorELNS0_4arch9wavefront6targetE1EEEvSL_,@function
_ZN7rocprim17ROCPRIM_400000_NS6detail17trampoline_kernelINS0_14default_configENS1_38merge_sort_block_merge_config_selectorIiNS0_10empty_typeEEEZZNS1_27merge_sort_block_merge_implIS3_N6thrust23THRUST_200600_302600_NS6detail15normal_iteratorINS9_10device_ptrIiEEEEPS5_jNS1_19radix_merge_compareILb0ELb0EiNS0_19identity_decomposerEEEEE10hipError_tT0_T1_T2_jT3_P12ihipStream_tbPNSt15iterator_traitsISK_E10value_typeEPNSQ_ISL_E10value_typeEPSM_NS1_7vsmem_tEENKUlT_SK_SL_SM_E_clISE_PiSF_SF_EESJ_SZ_SK_SL_SM_EUlSZ_E0_NS1_11comp_targetILNS1_3genE0ELNS1_11target_archE4294967295ELNS1_3gpuE0ELNS1_3repE0EEENS1_38merge_mergepath_config_static_selectorELNS0_4arch9wavefront6targetE1EEEvSL_: ; @_ZN7rocprim17ROCPRIM_400000_NS6detail17trampoline_kernelINS0_14default_configENS1_38merge_sort_block_merge_config_selectorIiNS0_10empty_typeEEEZZNS1_27merge_sort_block_merge_implIS3_N6thrust23THRUST_200600_302600_NS6detail15normal_iteratorINS9_10device_ptrIiEEEEPS5_jNS1_19radix_merge_compareILb0ELb0EiNS0_19identity_decomposerEEEEE10hipError_tT0_T1_T2_jT3_P12ihipStream_tbPNSt15iterator_traitsISK_E10value_typeEPNSQ_ISL_E10value_typeEPSM_NS1_7vsmem_tEENKUlT_SK_SL_SM_E_clISE_PiSF_SF_EESJ_SZ_SK_SL_SM_EUlSZ_E0_NS1_11comp_targetILNS1_3genE0ELNS1_11target_archE4294967295ELNS1_3gpuE0ELNS1_3repE0EEENS1_38merge_mergepath_config_static_selectorELNS0_4arch9wavefront6targetE1EEEvSL_
; %bb.0:
	.section	.rodata,"a",@progbits
	.p2align	6, 0x0
	.amdhsa_kernel _ZN7rocprim17ROCPRIM_400000_NS6detail17trampoline_kernelINS0_14default_configENS1_38merge_sort_block_merge_config_selectorIiNS0_10empty_typeEEEZZNS1_27merge_sort_block_merge_implIS3_N6thrust23THRUST_200600_302600_NS6detail15normal_iteratorINS9_10device_ptrIiEEEEPS5_jNS1_19radix_merge_compareILb0ELb0EiNS0_19identity_decomposerEEEEE10hipError_tT0_T1_T2_jT3_P12ihipStream_tbPNSt15iterator_traitsISK_E10value_typeEPNSQ_ISL_E10value_typeEPSM_NS1_7vsmem_tEENKUlT_SK_SL_SM_E_clISE_PiSF_SF_EESJ_SZ_SK_SL_SM_EUlSZ_E0_NS1_11comp_targetILNS1_3genE0ELNS1_11target_archE4294967295ELNS1_3gpuE0ELNS1_3repE0EEENS1_38merge_mergepath_config_static_selectorELNS0_4arch9wavefront6targetE1EEEvSL_
		.amdhsa_group_segment_fixed_size 0
		.amdhsa_private_segment_fixed_size 0
		.amdhsa_kernarg_size 64
		.amdhsa_user_sgpr_count 2
		.amdhsa_user_sgpr_dispatch_ptr 0
		.amdhsa_user_sgpr_queue_ptr 0
		.amdhsa_user_sgpr_kernarg_segment_ptr 1
		.amdhsa_user_sgpr_dispatch_id 0
		.amdhsa_user_sgpr_kernarg_preload_length 0
		.amdhsa_user_sgpr_kernarg_preload_offset 0
		.amdhsa_user_sgpr_private_segment_size 0
		.amdhsa_uses_dynamic_stack 0
		.amdhsa_enable_private_segment 0
		.amdhsa_system_sgpr_workgroup_id_x 1
		.amdhsa_system_sgpr_workgroup_id_y 0
		.amdhsa_system_sgpr_workgroup_id_z 0
		.amdhsa_system_sgpr_workgroup_info 0
		.amdhsa_system_vgpr_workitem_id 0
		.amdhsa_next_free_vgpr 1
		.amdhsa_next_free_sgpr 0
		.amdhsa_accum_offset 4
		.amdhsa_reserve_vcc 0
		.amdhsa_float_round_mode_32 0
		.amdhsa_float_round_mode_16_64 0
		.amdhsa_float_denorm_mode_32 3
		.amdhsa_float_denorm_mode_16_64 3
		.amdhsa_dx10_clamp 1
		.amdhsa_ieee_mode 1
		.amdhsa_fp16_overflow 0
		.amdhsa_tg_split 0
		.amdhsa_exception_fp_ieee_invalid_op 0
		.amdhsa_exception_fp_denorm_src 0
		.amdhsa_exception_fp_ieee_div_zero 0
		.amdhsa_exception_fp_ieee_overflow 0
		.amdhsa_exception_fp_ieee_underflow 0
		.amdhsa_exception_fp_ieee_inexact 0
		.amdhsa_exception_int_div_zero 0
	.end_amdhsa_kernel
	.section	.text._ZN7rocprim17ROCPRIM_400000_NS6detail17trampoline_kernelINS0_14default_configENS1_38merge_sort_block_merge_config_selectorIiNS0_10empty_typeEEEZZNS1_27merge_sort_block_merge_implIS3_N6thrust23THRUST_200600_302600_NS6detail15normal_iteratorINS9_10device_ptrIiEEEEPS5_jNS1_19radix_merge_compareILb0ELb0EiNS0_19identity_decomposerEEEEE10hipError_tT0_T1_T2_jT3_P12ihipStream_tbPNSt15iterator_traitsISK_E10value_typeEPNSQ_ISL_E10value_typeEPSM_NS1_7vsmem_tEENKUlT_SK_SL_SM_E_clISE_PiSF_SF_EESJ_SZ_SK_SL_SM_EUlSZ_E0_NS1_11comp_targetILNS1_3genE0ELNS1_11target_archE4294967295ELNS1_3gpuE0ELNS1_3repE0EEENS1_38merge_mergepath_config_static_selectorELNS0_4arch9wavefront6targetE1EEEvSL_,"axG",@progbits,_ZN7rocprim17ROCPRIM_400000_NS6detail17trampoline_kernelINS0_14default_configENS1_38merge_sort_block_merge_config_selectorIiNS0_10empty_typeEEEZZNS1_27merge_sort_block_merge_implIS3_N6thrust23THRUST_200600_302600_NS6detail15normal_iteratorINS9_10device_ptrIiEEEEPS5_jNS1_19radix_merge_compareILb0ELb0EiNS0_19identity_decomposerEEEEE10hipError_tT0_T1_T2_jT3_P12ihipStream_tbPNSt15iterator_traitsISK_E10value_typeEPNSQ_ISL_E10value_typeEPSM_NS1_7vsmem_tEENKUlT_SK_SL_SM_E_clISE_PiSF_SF_EESJ_SZ_SK_SL_SM_EUlSZ_E0_NS1_11comp_targetILNS1_3genE0ELNS1_11target_archE4294967295ELNS1_3gpuE0ELNS1_3repE0EEENS1_38merge_mergepath_config_static_selectorELNS0_4arch9wavefront6targetE1EEEvSL_,comdat
.Lfunc_end1646:
	.size	_ZN7rocprim17ROCPRIM_400000_NS6detail17trampoline_kernelINS0_14default_configENS1_38merge_sort_block_merge_config_selectorIiNS0_10empty_typeEEEZZNS1_27merge_sort_block_merge_implIS3_N6thrust23THRUST_200600_302600_NS6detail15normal_iteratorINS9_10device_ptrIiEEEEPS5_jNS1_19radix_merge_compareILb0ELb0EiNS0_19identity_decomposerEEEEE10hipError_tT0_T1_T2_jT3_P12ihipStream_tbPNSt15iterator_traitsISK_E10value_typeEPNSQ_ISL_E10value_typeEPSM_NS1_7vsmem_tEENKUlT_SK_SL_SM_E_clISE_PiSF_SF_EESJ_SZ_SK_SL_SM_EUlSZ_E0_NS1_11comp_targetILNS1_3genE0ELNS1_11target_archE4294967295ELNS1_3gpuE0ELNS1_3repE0EEENS1_38merge_mergepath_config_static_selectorELNS0_4arch9wavefront6targetE1EEEvSL_, .Lfunc_end1646-_ZN7rocprim17ROCPRIM_400000_NS6detail17trampoline_kernelINS0_14default_configENS1_38merge_sort_block_merge_config_selectorIiNS0_10empty_typeEEEZZNS1_27merge_sort_block_merge_implIS3_N6thrust23THRUST_200600_302600_NS6detail15normal_iteratorINS9_10device_ptrIiEEEEPS5_jNS1_19radix_merge_compareILb0ELb0EiNS0_19identity_decomposerEEEEE10hipError_tT0_T1_T2_jT3_P12ihipStream_tbPNSt15iterator_traitsISK_E10value_typeEPNSQ_ISL_E10value_typeEPSM_NS1_7vsmem_tEENKUlT_SK_SL_SM_E_clISE_PiSF_SF_EESJ_SZ_SK_SL_SM_EUlSZ_E0_NS1_11comp_targetILNS1_3genE0ELNS1_11target_archE4294967295ELNS1_3gpuE0ELNS1_3repE0EEENS1_38merge_mergepath_config_static_selectorELNS0_4arch9wavefront6targetE1EEEvSL_
                                        ; -- End function
	.section	.AMDGPU.csdata,"",@progbits
; Kernel info:
; codeLenInByte = 0
; NumSgprs: 6
; NumVgprs: 0
; NumAgprs: 0
; TotalNumVgprs: 0
; ScratchSize: 0
; MemoryBound: 0
; FloatMode: 240
; IeeeMode: 1
; LDSByteSize: 0 bytes/workgroup (compile time only)
; SGPRBlocks: 0
; VGPRBlocks: 0
; NumSGPRsForWavesPerEU: 6
; NumVGPRsForWavesPerEU: 1
; AccumOffset: 4
; Occupancy: 8
; WaveLimiterHint : 0
; COMPUTE_PGM_RSRC2:SCRATCH_EN: 0
; COMPUTE_PGM_RSRC2:USER_SGPR: 2
; COMPUTE_PGM_RSRC2:TRAP_HANDLER: 0
; COMPUTE_PGM_RSRC2:TGID_X_EN: 1
; COMPUTE_PGM_RSRC2:TGID_Y_EN: 0
; COMPUTE_PGM_RSRC2:TGID_Z_EN: 0
; COMPUTE_PGM_RSRC2:TIDIG_COMP_CNT: 0
; COMPUTE_PGM_RSRC3_GFX90A:ACCUM_OFFSET: 0
; COMPUTE_PGM_RSRC3_GFX90A:TG_SPLIT: 0
	.section	.text._ZN7rocprim17ROCPRIM_400000_NS6detail17trampoline_kernelINS0_14default_configENS1_38merge_sort_block_merge_config_selectorIiNS0_10empty_typeEEEZZNS1_27merge_sort_block_merge_implIS3_N6thrust23THRUST_200600_302600_NS6detail15normal_iteratorINS9_10device_ptrIiEEEEPS5_jNS1_19radix_merge_compareILb0ELb0EiNS0_19identity_decomposerEEEEE10hipError_tT0_T1_T2_jT3_P12ihipStream_tbPNSt15iterator_traitsISK_E10value_typeEPNSQ_ISL_E10value_typeEPSM_NS1_7vsmem_tEENKUlT_SK_SL_SM_E_clISE_PiSF_SF_EESJ_SZ_SK_SL_SM_EUlSZ_E0_NS1_11comp_targetILNS1_3genE10ELNS1_11target_archE1201ELNS1_3gpuE5ELNS1_3repE0EEENS1_38merge_mergepath_config_static_selectorELNS0_4arch9wavefront6targetE1EEEvSL_,"axG",@progbits,_ZN7rocprim17ROCPRIM_400000_NS6detail17trampoline_kernelINS0_14default_configENS1_38merge_sort_block_merge_config_selectorIiNS0_10empty_typeEEEZZNS1_27merge_sort_block_merge_implIS3_N6thrust23THRUST_200600_302600_NS6detail15normal_iteratorINS9_10device_ptrIiEEEEPS5_jNS1_19radix_merge_compareILb0ELb0EiNS0_19identity_decomposerEEEEE10hipError_tT0_T1_T2_jT3_P12ihipStream_tbPNSt15iterator_traitsISK_E10value_typeEPNSQ_ISL_E10value_typeEPSM_NS1_7vsmem_tEENKUlT_SK_SL_SM_E_clISE_PiSF_SF_EESJ_SZ_SK_SL_SM_EUlSZ_E0_NS1_11comp_targetILNS1_3genE10ELNS1_11target_archE1201ELNS1_3gpuE5ELNS1_3repE0EEENS1_38merge_mergepath_config_static_selectorELNS0_4arch9wavefront6targetE1EEEvSL_,comdat
	.protected	_ZN7rocprim17ROCPRIM_400000_NS6detail17trampoline_kernelINS0_14default_configENS1_38merge_sort_block_merge_config_selectorIiNS0_10empty_typeEEEZZNS1_27merge_sort_block_merge_implIS3_N6thrust23THRUST_200600_302600_NS6detail15normal_iteratorINS9_10device_ptrIiEEEEPS5_jNS1_19radix_merge_compareILb0ELb0EiNS0_19identity_decomposerEEEEE10hipError_tT0_T1_T2_jT3_P12ihipStream_tbPNSt15iterator_traitsISK_E10value_typeEPNSQ_ISL_E10value_typeEPSM_NS1_7vsmem_tEENKUlT_SK_SL_SM_E_clISE_PiSF_SF_EESJ_SZ_SK_SL_SM_EUlSZ_E0_NS1_11comp_targetILNS1_3genE10ELNS1_11target_archE1201ELNS1_3gpuE5ELNS1_3repE0EEENS1_38merge_mergepath_config_static_selectorELNS0_4arch9wavefront6targetE1EEEvSL_ ; -- Begin function _ZN7rocprim17ROCPRIM_400000_NS6detail17trampoline_kernelINS0_14default_configENS1_38merge_sort_block_merge_config_selectorIiNS0_10empty_typeEEEZZNS1_27merge_sort_block_merge_implIS3_N6thrust23THRUST_200600_302600_NS6detail15normal_iteratorINS9_10device_ptrIiEEEEPS5_jNS1_19radix_merge_compareILb0ELb0EiNS0_19identity_decomposerEEEEE10hipError_tT0_T1_T2_jT3_P12ihipStream_tbPNSt15iterator_traitsISK_E10value_typeEPNSQ_ISL_E10value_typeEPSM_NS1_7vsmem_tEENKUlT_SK_SL_SM_E_clISE_PiSF_SF_EESJ_SZ_SK_SL_SM_EUlSZ_E0_NS1_11comp_targetILNS1_3genE10ELNS1_11target_archE1201ELNS1_3gpuE5ELNS1_3repE0EEENS1_38merge_mergepath_config_static_selectorELNS0_4arch9wavefront6targetE1EEEvSL_
	.globl	_ZN7rocprim17ROCPRIM_400000_NS6detail17trampoline_kernelINS0_14default_configENS1_38merge_sort_block_merge_config_selectorIiNS0_10empty_typeEEEZZNS1_27merge_sort_block_merge_implIS3_N6thrust23THRUST_200600_302600_NS6detail15normal_iteratorINS9_10device_ptrIiEEEEPS5_jNS1_19radix_merge_compareILb0ELb0EiNS0_19identity_decomposerEEEEE10hipError_tT0_T1_T2_jT3_P12ihipStream_tbPNSt15iterator_traitsISK_E10value_typeEPNSQ_ISL_E10value_typeEPSM_NS1_7vsmem_tEENKUlT_SK_SL_SM_E_clISE_PiSF_SF_EESJ_SZ_SK_SL_SM_EUlSZ_E0_NS1_11comp_targetILNS1_3genE10ELNS1_11target_archE1201ELNS1_3gpuE5ELNS1_3repE0EEENS1_38merge_mergepath_config_static_selectorELNS0_4arch9wavefront6targetE1EEEvSL_
	.p2align	8
	.type	_ZN7rocprim17ROCPRIM_400000_NS6detail17trampoline_kernelINS0_14default_configENS1_38merge_sort_block_merge_config_selectorIiNS0_10empty_typeEEEZZNS1_27merge_sort_block_merge_implIS3_N6thrust23THRUST_200600_302600_NS6detail15normal_iteratorINS9_10device_ptrIiEEEEPS5_jNS1_19radix_merge_compareILb0ELb0EiNS0_19identity_decomposerEEEEE10hipError_tT0_T1_T2_jT3_P12ihipStream_tbPNSt15iterator_traitsISK_E10value_typeEPNSQ_ISL_E10value_typeEPSM_NS1_7vsmem_tEENKUlT_SK_SL_SM_E_clISE_PiSF_SF_EESJ_SZ_SK_SL_SM_EUlSZ_E0_NS1_11comp_targetILNS1_3genE10ELNS1_11target_archE1201ELNS1_3gpuE5ELNS1_3repE0EEENS1_38merge_mergepath_config_static_selectorELNS0_4arch9wavefront6targetE1EEEvSL_,@function
_ZN7rocprim17ROCPRIM_400000_NS6detail17trampoline_kernelINS0_14default_configENS1_38merge_sort_block_merge_config_selectorIiNS0_10empty_typeEEEZZNS1_27merge_sort_block_merge_implIS3_N6thrust23THRUST_200600_302600_NS6detail15normal_iteratorINS9_10device_ptrIiEEEEPS5_jNS1_19radix_merge_compareILb0ELb0EiNS0_19identity_decomposerEEEEE10hipError_tT0_T1_T2_jT3_P12ihipStream_tbPNSt15iterator_traitsISK_E10value_typeEPNSQ_ISL_E10value_typeEPSM_NS1_7vsmem_tEENKUlT_SK_SL_SM_E_clISE_PiSF_SF_EESJ_SZ_SK_SL_SM_EUlSZ_E0_NS1_11comp_targetILNS1_3genE10ELNS1_11target_archE1201ELNS1_3gpuE5ELNS1_3repE0EEENS1_38merge_mergepath_config_static_selectorELNS0_4arch9wavefront6targetE1EEEvSL_: ; @_ZN7rocprim17ROCPRIM_400000_NS6detail17trampoline_kernelINS0_14default_configENS1_38merge_sort_block_merge_config_selectorIiNS0_10empty_typeEEEZZNS1_27merge_sort_block_merge_implIS3_N6thrust23THRUST_200600_302600_NS6detail15normal_iteratorINS9_10device_ptrIiEEEEPS5_jNS1_19radix_merge_compareILb0ELb0EiNS0_19identity_decomposerEEEEE10hipError_tT0_T1_T2_jT3_P12ihipStream_tbPNSt15iterator_traitsISK_E10value_typeEPNSQ_ISL_E10value_typeEPSM_NS1_7vsmem_tEENKUlT_SK_SL_SM_E_clISE_PiSF_SF_EESJ_SZ_SK_SL_SM_EUlSZ_E0_NS1_11comp_targetILNS1_3genE10ELNS1_11target_archE1201ELNS1_3gpuE5ELNS1_3repE0EEENS1_38merge_mergepath_config_static_selectorELNS0_4arch9wavefront6targetE1EEEvSL_
; %bb.0:
	.section	.rodata,"a",@progbits
	.p2align	6, 0x0
	.amdhsa_kernel _ZN7rocprim17ROCPRIM_400000_NS6detail17trampoline_kernelINS0_14default_configENS1_38merge_sort_block_merge_config_selectorIiNS0_10empty_typeEEEZZNS1_27merge_sort_block_merge_implIS3_N6thrust23THRUST_200600_302600_NS6detail15normal_iteratorINS9_10device_ptrIiEEEEPS5_jNS1_19radix_merge_compareILb0ELb0EiNS0_19identity_decomposerEEEEE10hipError_tT0_T1_T2_jT3_P12ihipStream_tbPNSt15iterator_traitsISK_E10value_typeEPNSQ_ISL_E10value_typeEPSM_NS1_7vsmem_tEENKUlT_SK_SL_SM_E_clISE_PiSF_SF_EESJ_SZ_SK_SL_SM_EUlSZ_E0_NS1_11comp_targetILNS1_3genE10ELNS1_11target_archE1201ELNS1_3gpuE5ELNS1_3repE0EEENS1_38merge_mergepath_config_static_selectorELNS0_4arch9wavefront6targetE1EEEvSL_
		.amdhsa_group_segment_fixed_size 0
		.amdhsa_private_segment_fixed_size 0
		.amdhsa_kernarg_size 64
		.amdhsa_user_sgpr_count 2
		.amdhsa_user_sgpr_dispatch_ptr 0
		.amdhsa_user_sgpr_queue_ptr 0
		.amdhsa_user_sgpr_kernarg_segment_ptr 1
		.amdhsa_user_sgpr_dispatch_id 0
		.amdhsa_user_sgpr_kernarg_preload_length 0
		.amdhsa_user_sgpr_kernarg_preload_offset 0
		.amdhsa_user_sgpr_private_segment_size 0
		.amdhsa_uses_dynamic_stack 0
		.amdhsa_enable_private_segment 0
		.amdhsa_system_sgpr_workgroup_id_x 1
		.amdhsa_system_sgpr_workgroup_id_y 0
		.amdhsa_system_sgpr_workgroup_id_z 0
		.amdhsa_system_sgpr_workgroup_info 0
		.amdhsa_system_vgpr_workitem_id 0
		.amdhsa_next_free_vgpr 1
		.amdhsa_next_free_sgpr 0
		.amdhsa_accum_offset 4
		.amdhsa_reserve_vcc 0
		.amdhsa_float_round_mode_32 0
		.amdhsa_float_round_mode_16_64 0
		.amdhsa_float_denorm_mode_32 3
		.amdhsa_float_denorm_mode_16_64 3
		.amdhsa_dx10_clamp 1
		.amdhsa_ieee_mode 1
		.amdhsa_fp16_overflow 0
		.amdhsa_tg_split 0
		.amdhsa_exception_fp_ieee_invalid_op 0
		.amdhsa_exception_fp_denorm_src 0
		.amdhsa_exception_fp_ieee_div_zero 0
		.amdhsa_exception_fp_ieee_overflow 0
		.amdhsa_exception_fp_ieee_underflow 0
		.amdhsa_exception_fp_ieee_inexact 0
		.amdhsa_exception_int_div_zero 0
	.end_amdhsa_kernel
	.section	.text._ZN7rocprim17ROCPRIM_400000_NS6detail17trampoline_kernelINS0_14default_configENS1_38merge_sort_block_merge_config_selectorIiNS0_10empty_typeEEEZZNS1_27merge_sort_block_merge_implIS3_N6thrust23THRUST_200600_302600_NS6detail15normal_iteratorINS9_10device_ptrIiEEEEPS5_jNS1_19radix_merge_compareILb0ELb0EiNS0_19identity_decomposerEEEEE10hipError_tT0_T1_T2_jT3_P12ihipStream_tbPNSt15iterator_traitsISK_E10value_typeEPNSQ_ISL_E10value_typeEPSM_NS1_7vsmem_tEENKUlT_SK_SL_SM_E_clISE_PiSF_SF_EESJ_SZ_SK_SL_SM_EUlSZ_E0_NS1_11comp_targetILNS1_3genE10ELNS1_11target_archE1201ELNS1_3gpuE5ELNS1_3repE0EEENS1_38merge_mergepath_config_static_selectorELNS0_4arch9wavefront6targetE1EEEvSL_,"axG",@progbits,_ZN7rocprim17ROCPRIM_400000_NS6detail17trampoline_kernelINS0_14default_configENS1_38merge_sort_block_merge_config_selectorIiNS0_10empty_typeEEEZZNS1_27merge_sort_block_merge_implIS3_N6thrust23THRUST_200600_302600_NS6detail15normal_iteratorINS9_10device_ptrIiEEEEPS5_jNS1_19radix_merge_compareILb0ELb0EiNS0_19identity_decomposerEEEEE10hipError_tT0_T1_T2_jT3_P12ihipStream_tbPNSt15iterator_traitsISK_E10value_typeEPNSQ_ISL_E10value_typeEPSM_NS1_7vsmem_tEENKUlT_SK_SL_SM_E_clISE_PiSF_SF_EESJ_SZ_SK_SL_SM_EUlSZ_E0_NS1_11comp_targetILNS1_3genE10ELNS1_11target_archE1201ELNS1_3gpuE5ELNS1_3repE0EEENS1_38merge_mergepath_config_static_selectorELNS0_4arch9wavefront6targetE1EEEvSL_,comdat
.Lfunc_end1647:
	.size	_ZN7rocprim17ROCPRIM_400000_NS6detail17trampoline_kernelINS0_14default_configENS1_38merge_sort_block_merge_config_selectorIiNS0_10empty_typeEEEZZNS1_27merge_sort_block_merge_implIS3_N6thrust23THRUST_200600_302600_NS6detail15normal_iteratorINS9_10device_ptrIiEEEEPS5_jNS1_19radix_merge_compareILb0ELb0EiNS0_19identity_decomposerEEEEE10hipError_tT0_T1_T2_jT3_P12ihipStream_tbPNSt15iterator_traitsISK_E10value_typeEPNSQ_ISL_E10value_typeEPSM_NS1_7vsmem_tEENKUlT_SK_SL_SM_E_clISE_PiSF_SF_EESJ_SZ_SK_SL_SM_EUlSZ_E0_NS1_11comp_targetILNS1_3genE10ELNS1_11target_archE1201ELNS1_3gpuE5ELNS1_3repE0EEENS1_38merge_mergepath_config_static_selectorELNS0_4arch9wavefront6targetE1EEEvSL_, .Lfunc_end1647-_ZN7rocprim17ROCPRIM_400000_NS6detail17trampoline_kernelINS0_14default_configENS1_38merge_sort_block_merge_config_selectorIiNS0_10empty_typeEEEZZNS1_27merge_sort_block_merge_implIS3_N6thrust23THRUST_200600_302600_NS6detail15normal_iteratorINS9_10device_ptrIiEEEEPS5_jNS1_19radix_merge_compareILb0ELb0EiNS0_19identity_decomposerEEEEE10hipError_tT0_T1_T2_jT3_P12ihipStream_tbPNSt15iterator_traitsISK_E10value_typeEPNSQ_ISL_E10value_typeEPSM_NS1_7vsmem_tEENKUlT_SK_SL_SM_E_clISE_PiSF_SF_EESJ_SZ_SK_SL_SM_EUlSZ_E0_NS1_11comp_targetILNS1_3genE10ELNS1_11target_archE1201ELNS1_3gpuE5ELNS1_3repE0EEENS1_38merge_mergepath_config_static_selectorELNS0_4arch9wavefront6targetE1EEEvSL_
                                        ; -- End function
	.section	.AMDGPU.csdata,"",@progbits
; Kernel info:
; codeLenInByte = 0
; NumSgprs: 6
; NumVgprs: 0
; NumAgprs: 0
; TotalNumVgprs: 0
; ScratchSize: 0
; MemoryBound: 0
; FloatMode: 240
; IeeeMode: 1
; LDSByteSize: 0 bytes/workgroup (compile time only)
; SGPRBlocks: 0
; VGPRBlocks: 0
; NumSGPRsForWavesPerEU: 6
; NumVGPRsForWavesPerEU: 1
; AccumOffset: 4
; Occupancy: 8
; WaveLimiterHint : 0
; COMPUTE_PGM_RSRC2:SCRATCH_EN: 0
; COMPUTE_PGM_RSRC2:USER_SGPR: 2
; COMPUTE_PGM_RSRC2:TRAP_HANDLER: 0
; COMPUTE_PGM_RSRC2:TGID_X_EN: 1
; COMPUTE_PGM_RSRC2:TGID_Y_EN: 0
; COMPUTE_PGM_RSRC2:TGID_Z_EN: 0
; COMPUTE_PGM_RSRC2:TIDIG_COMP_CNT: 0
; COMPUTE_PGM_RSRC3_GFX90A:ACCUM_OFFSET: 0
; COMPUTE_PGM_RSRC3_GFX90A:TG_SPLIT: 0
	.section	.text._ZN7rocprim17ROCPRIM_400000_NS6detail17trampoline_kernelINS0_14default_configENS1_38merge_sort_block_merge_config_selectorIiNS0_10empty_typeEEEZZNS1_27merge_sort_block_merge_implIS3_N6thrust23THRUST_200600_302600_NS6detail15normal_iteratorINS9_10device_ptrIiEEEEPS5_jNS1_19radix_merge_compareILb0ELb0EiNS0_19identity_decomposerEEEEE10hipError_tT0_T1_T2_jT3_P12ihipStream_tbPNSt15iterator_traitsISK_E10value_typeEPNSQ_ISL_E10value_typeEPSM_NS1_7vsmem_tEENKUlT_SK_SL_SM_E_clISE_PiSF_SF_EESJ_SZ_SK_SL_SM_EUlSZ_E0_NS1_11comp_targetILNS1_3genE5ELNS1_11target_archE942ELNS1_3gpuE9ELNS1_3repE0EEENS1_38merge_mergepath_config_static_selectorELNS0_4arch9wavefront6targetE1EEEvSL_,"axG",@progbits,_ZN7rocprim17ROCPRIM_400000_NS6detail17trampoline_kernelINS0_14default_configENS1_38merge_sort_block_merge_config_selectorIiNS0_10empty_typeEEEZZNS1_27merge_sort_block_merge_implIS3_N6thrust23THRUST_200600_302600_NS6detail15normal_iteratorINS9_10device_ptrIiEEEEPS5_jNS1_19radix_merge_compareILb0ELb0EiNS0_19identity_decomposerEEEEE10hipError_tT0_T1_T2_jT3_P12ihipStream_tbPNSt15iterator_traitsISK_E10value_typeEPNSQ_ISL_E10value_typeEPSM_NS1_7vsmem_tEENKUlT_SK_SL_SM_E_clISE_PiSF_SF_EESJ_SZ_SK_SL_SM_EUlSZ_E0_NS1_11comp_targetILNS1_3genE5ELNS1_11target_archE942ELNS1_3gpuE9ELNS1_3repE0EEENS1_38merge_mergepath_config_static_selectorELNS0_4arch9wavefront6targetE1EEEvSL_,comdat
	.protected	_ZN7rocprim17ROCPRIM_400000_NS6detail17trampoline_kernelINS0_14default_configENS1_38merge_sort_block_merge_config_selectorIiNS0_10empty_typeEEEZZNS1_27merge_sort_block_merge_implIS3_N6thrust23THRUST_200600_302600_NS6detail15normal_iteratorINS9_10device_ptrIiEEEEPS5_jNS1_19radix_merge_compareILb0ELb0EiNS0_19identity_decomposerEEEEE10hipError_tT0_T1_T2_jT3_P12ihipStream_tbPNSt15iterator_traitsISK_E10value_typeEPNSQ_ISL_E10value_typeEPSM_NS1_7vsmem_tEENKUlT_SK_SL_SM_E_clISE_PiSF_SF_EESJ_SZ_SK_SL_SM_EUlSZ_E0_NS1_11comp_targetILNS1_3genE5ELNS1_11target_archE942ELNS1_3gpuE9ELNS1_3repE0EEENS1_38merge_mergepath_config_static_selectorELNS0_4arch9wavefront6targetE1EEEvSL_ ; -- Begin function _ZN7rocprim17ROCPRIM_400000_NS6detail17trampoline_kernelINS0_14default_configENS1_38merge_sort_block_merge_config_selectorIiNS0_10empty_typeEEEZZNS1_27merge_sort_block_merge_implIS3_N6thrust23THRUST_200600_302600_NS6detail15normal_iteratorINS9_10device_ptrIiEEEEPS5_jNS1_19radix_merge_compareILb0ELb0EiNS0_19identity_decomposerEEEEE10hipError_tT0_T1_T2_jT3_P12ihipStream_tbPNSt15iterator_traitsISK_E10value_typeEPNSQ_ISL_E10value_typeEPSM_NS1_7vsmem_tEENKUlT_SK_SL_SM_E_clISE_PiSF_SF_EESJ_SZ_SK_SL_SM_EUlSZ_E0_NS1_11comp_targetILNS1_3genE5ELNS1_11target_archE942ELNS1_3gpuE9ELNS1_3repE0EEENS1_38merge_mergepath_config_static_selectorELNS0_4arch9wavefront6targetE1EEEvSL_
	.globl	_ZN7rocprim17ROCPRIM_400000_NS6detail17trampoline_kernelINS0_14default_configENS1_38merge_sort_block_merge_config_selectorIiNS0_10empty_typeEEEZZNS1_27merge_sort_block_merge_implIS3_N6thrust23THRUST_200600_302600_NS6detail15normal_iteratorINS9_10device_ptrIiEEEEPS5_jNS1_19radix_merge_compareILb0ELb0EiNS0_19identity_decomposerEEEEE10hipError_tT0_T1_T2_jT3_P12ihipStream_tbPNSt15iterator_traitsISK_E10value_typeEPNSQ_ISL_E10value_typeEPSM_NS1_7vsmem_tEENKUlT_SK_SL_SM_E_clISE_PiSF_SF_EESJ_SZ_SK_SL_SM_EUlSZ_E0_NS1_11comp_targetILNS1_3genE5ELNS1_11target_archE942ELNS1_3gpuE9ELNS1_3repE0EEENS1_38merge_mergepath_config_static_selectorELNS0_4arch9wavefront6targetE1EEEvSL_
	.p2align	8
	.type	_ZN7rocprim17ROCPRIM_400000_NS6detail17trampoline_kernelINS0_14default_configENS1_38merge_sort_block_merge_config_selectorIiNS0_10empty_typeEEEZZNS1_27merge_sort_block_merge_implIS3_N6thrust23THRUST_200600_302600_NS6detail15normal_iteratorINS9_10device_ptrIiEEEEPS5_jNS1_19radix_merge_compareILb0ELb0EiNS0_19identity_decomposerEEEEE10hipError_tT0_T1_T2_jT3_P12ihipStream_tbPNSt15iterator_traitsISK_E10value_typeEPNSQ_ISL_E10value_typeEPSM_NS1_7vsmem_tEENKUlT_SK_SL_SM_E_clISE_PiSF_SF_EESJ_SZ_SK_SL_SM_EUlSZ_E0_NS1_11comp_targetILNS1_3genE5ELNS1_11target_archE942ELNS1_3gpuE9ELNS1_3repE0EEENS1_38merge_mergepath_config_static_selectorELNS0_4arch9wavefront6targetE1EEEvSL_,@function
_ZN7rocprim17ROCPRIM_400000_NS6detail17trampoline_kernelINS0_14default_configENS1_38merge_sort_block_merge_config_selectorIiNS0_10empty_typeEEEZZNS1_27merge_sort_block_merge_implIS3_N6thrust23THRUST_200600_302600_NS6detail15normal_iteratorINS9_10device_ptrIiEEEEPS5_jNS1_19radix_merge_compareILb0ELb0EiNS0_19identity_decomposerEEEEE10hipError_tT0_T1_T2_jT3_P12ihipStream_tbPNSt15iterator_traitsISK_E10value_typeEPNSQ_ISL_E10value_typeEPSM_NS1_7vsmem_tEENKUlT_SK_SL_SM_E_clISE_PiSF_SF_EESJ_SZ_SK_SL_SM_EUlSZ_E0_NS1_11comp_targetILNS1_3genE5ELNS1_11target_archE942ELNS1_3gpuE9ELNS1_3repE0EEENS1_38merge_mergepath_config_static_selectorELNS0_4arch9wavefront6targetE1EEEvSL_: ; @_ZN7rocprim17ROCPRIM_400000_NS6detail17trampoline_kernelINS0_14default_configENS1_38merge_sort_block_merge_config_selectorIiNS0_10empty_typeEEEZZNS1_27merge_sort_block_merge_implIS3_N6thrust23THRUST_200600_302600_NS6detail15normal_iteratorINS9_10device_ptrIiEEEEPS5_jNS1_19radix_merge_compareILb0ELb0EiNS0_19identity_decomposerEEEEE10hipError_tT0_T1_T2_jT3_P12ihipStream_tbPNSt15iterator_traitsISK_E10value_typeEPNSQ_ISL_E10value_typeEPSM_NS1_7vsmem_tEENKUlT_SK_SL_SM_E_clISE_PiSF_SF_EESJ_SZ_SK_SL_SM_EUlSZ_E0_NS1_11comp_targetILNS1_3genE5ELNS1_11target_archE942ELNS1_3gpuE9ELNS1_3repE0EEENS1_38merge_mergepath_config_static_selectorELNS0_4arch9wavefront6targetE1EEEvSL_
; %bb.0:
	s_load_dwordx2 s[12:13], s[0:1], 0x40
	s_load_dword s5, s[0:1], 0x30
	s_add_u32 s8, s0, 64
	s_addc_u32 s9, s1, 0
	s_waitcnt lgkmcnt(0)
	s_mul_i32 s4, s13, s4
	s_add_i32 s3, s4, s3
	s_mul_i32 s3, s3, s12
	s_add_i32 s10, s3, s2
	s_cmp_ge_u32 s10, s5
	s_cbranch_scc1 .LBB1648_43
; %bb.1:
	s_load_dwordx2 s[14:15], s[0:1], 0x28
	s_load_dwordx2 s[4:5], s[0:1], 0x38
	;; [unrolled: 1-line block ×3, first 2 shown]
	s_mov_b32 s11, 0
	v_mov_b32_e32 v9, 0
	s_waitcnt lgkmcnt(0)
	s_lshr_b32 s22, s14, 10
	s_cmp_lg_u32 s10, s22
	s_cselect_b64 s[18:19], -1, 0
	s_lshl_b64 s[16:17], s[10:11], 2
	s_add_u32 s4, s4, s16
	s_addc_u32 s5, s5, s17
	s_lshr_b32 s3, s15, 9
	s_and_b32 s3, s3, 0x7ffffe
	s_load_dwordx2 s[4:5], s[4:5], 0x0
	s_sub_i32 s3, 0, s3
	s_and_b32 s13, s10, s3
	s_lshl_b32 s17, s13, 10
	s_lshl_b32 s16, s10, 10
	;; [unrolled: 1-line block ×3, first 2 shown]
	s_sub_i32 s20, s16, s17
	s_add_i32 s13, s13, s15
	s_add_i32 s21, s13, s20
	s_waitcnt lgkmcnt(0)
	s_sub_i32 s20, s21, s4
	s_sub_i32 s21, s21, s5
	;; [unrolled: 1-line block ×3, first 2 shown]
	s_min_u32 s20, s14, s20
	s_addk_i32 s21, 0x400
	s_or_b32 s3, s10, s3
	s_min_u32 s17, s14, s13
	s_add_i32 s13, s13, s15
	s_cmp_eq_u32 s3, -1
	s_cselect_b32 s3, s13, s21
	s_cselect_b32 s5, s17, s5
	s_min_u32 s3, s3, s14
	s_sub_i32 s15, s5, s4
	s_mov_b32 s5, s11
	s_sub_i32 s13, s3, s20
	s_lshl_b64 s[4:5], s[4:5], 2
	s_add_u32 s4, s6, s4
	s_mov_b32 s21, s11
	s_addc_u32 s5, s7, s5
	s_lshl_b64 s[20:21], s[20:21], 2
	s_add_u32 s6, s6, s20
	s_addc_u32 s7, s7, s21
	s_cmp_lt_u32 s2, s12
	s_cselect_b32 s2, 12, 18
	global_load_dword v1, v9, s[8:9] offset:14
	s_add_u32 s2, s8, s2
	s_addc_u32 s3, s9, 0
	global_load_ushort v2, v9, s[2:3]
	s_cmp_eq_u32 s10, s22
	v_lshlrev_b32_e32 v10, 2, v0
	s_waitcnt vmcnt(1)
	v_lshrrev_b32_e32 v3, 16, v1
	v_and_b32_e32 v1, 0xffff, v1
	v_mul_lo_u32 v1, v1, v3
	s_waitcnt vmcnt(0)
	v_mul_lo_u32 v1, v1, v2
	v_add_u32_e32 v14, v1, v0
	v_add_u32_e32 v12, v14, v1
	s_cbranch_scc1 .LBB1648_3
; %bb.2:
	v_subrev_u32_e32 v8, s15, v0
	v_mov_b32_e32 v11, v9
	v_lshl_add_u64 v[2:3], v[8:9], 2, s[6:7]
	v_lshl_add_u64 v[4:5], s[4:5], 0, v[10:11]
	v_cmp_gt_u32_e32 vcc, s15, v0
	v_subrev_u32_e32 v8, s15, v14
	v_mov_b32_e32 v15, v9
	v_cndmask_b32_e32 v3, v3, v5, vcc
	v_cndmask_b32_e32 v2, v2, v4, vcc
	v_lshl_add_u64 v[4:5], v[8:9], 2, s[6:7]
	v_lshl_add_u64 v[6:7], v[14:15], 2, s[4:5]
	v_cmp_gt_u32_e32 vcc, s15, v14
	v_subrev_u32_e32 v8, s15, v12
	v_mov_b32_e32 v13, v9
	v_cndmask_b32_e32 v5, v5, v7, vcc
	v_cndmask_b32_e32 v4, v4, v6, vcc
	global_load_dword v2, v[2:3], off
	v_lshl_add_u64 v[6:7], v[12:13], 2, s[4:5]
	global_load_dword v3, v[4:5], off
	v_lshl_add_u64 v[4:5], v[8:9], 2, s[6:7]
	v_cmp_gt_u32_e32 vcc, s15, v12
	s_add_i32 s10, s13, s15
	s_nop 0
	v_cndmask_b32_e32 v4, v4, v6, vcc
	v_add_u32_e32 v6, v12, v1
	v_cndmask_b32_e32 v5, v5, v7, vcc
	v_subrev_u32_e32 v8, s15, v6
	v_mov_b32_e32 v7, v9
	v_lshl_add_u64 v[16:17], v[8:9], 2, s[6:7]
	v_lshl_add_u64 v[18:19], v[6:7], 2, s[4:5]
	v_cmp_gt_u32_e32 vcc, s15, v6
	global_load_dword v4, v[4:5], off
	s_mov_b64 s[2:3], -1
	v_cndmask_b32_e32 v17, v17, v19, vcc
	v_cndmask_b32_e32 v16, v16, v18, vcc
	global_load_dword v5, v[16:17], off
	v_add_u32_e32 v16, v6, v1
	v_mov_b32_e32 v17, v9
	v_subrev_u32_e32 v8, s15, v16
	v_lshl_add_u64 v[18:19], v[16:17], 2, s[4:5]
	v_cmp_gt_u32_e32 vcc, s15, v16
	v_add_u32_e32 v16, v16, v1
	v_lshl_add_u64 v[6:7], v[8:9], 2, s[6:7]
	v_subrev_u32_e32 v8, s15, v16
	v_cndmask_b32_e32 v7, v7, v19, vcc
	v_cndmask_b32_e32 v6, v6, v18, vcc
	v_lshl_add_u64 v[18:19], v[8:9], 2, s[6:7]
	v_lshl_add_u64 v[20:21], v[16:17], 2, s[4:5]
	v_cmp_gt_u32_e32 vcc, s15, v16
	v_add_u32_e32 v16, v16, v1
	v_subrev_u32_e32 v8, s15, v16
	v_cndmask_b32_e32 v19, v19, v21, vcc
	v_cndmask_b32_e32 v18, v18, v20, vcc
	global_load_dword v6, v[6:7], off
	v_cmp_gt_u32_e32 vcc, s15, v16
	global_load_dword v7, v[18:19], off
	v_lshl_add_u64 v[18:19], v[8:9], 2, s[6:7]
	v_lshl_add_u64 v[8:9], v[16:17], 2, s[4:5]
	v_cndmask_b32_e32 v9, v19, v9, vcc
	v_cndmask_b32_e32 v8, v18, v8, vcc
	global_load_dword v8, v[8:9], off
	v_add_u32_e32 v16, v16, v1
	s_cbranch_execz .LBB1648_4
	s_branch .LBB1648_17
.LBB1648_3:
	s_mov_b64 s[2:3], 0
                                        ; implicit-def: $vgpr16
                                        ; implicit-def: $vgpr2_vgpr3_vgpr4_vgpr5_vgpr6_vgpr7_vgpr8_vgpr9
                                        ; implicit-def: $sgpr10
.LBB1648_4:
	s_add_i32 s10, s13, s15
	v_cmp_gt_u32_e32 vcc, s10, v0
                                        ; implicit-def: $vgpr2_vgpr3_vgpr4_vgpr5_vgpr6_vgpr7_vgpr8_vgpr9
	s_and_saveexec_b64 s[2:3], vcc
	s_cbranch_execnz .LBB1648_44
; %bb.5:
	s_or_b64 exec, exec, s[2:3]
	v_cmp_gt_u32_e32 vcc, s10, v14
	s_and_saveexec_b64 s[2:3], vcc
	s_cbranch_execnz .LBB1648_45
.LBB1648_6:
	s_or_b64 exec, exec, s[2:3]
	v_cmp_gt_u32_e32 vcc, s10, v12
	s_and_saveexec_b64 s[2:3], vcc
	s_cbranch_execz .LBB1648_8
.LBB1648_7:
	v_mov_b32_e32 v13, 0
	v_subrev_u32_e32 v16, s15, v12
	v_mov_b32_e32 v17, v13
	v_lshl_add_u64 v[14:15], v[12:13], 2, s[4:5]
	v_lshl_add_u64 v[16:17], v[16:17], 2, s[6:7]
	v_cmp_gt_u32_e32 vcc, s15, v12
	s_nop 1
	v_cndmask_b32_e32 v15, v17, v15, vcc
	v_cndmask_b32_e32 v14, v16, v14, vcc
	global_load_dword v4, v[14:15], off
.LBB1648_8:
	s_or_b64 exec, exec, s[2:3]
	v_add_u32_e32 v12, v12, v1
	v_cmp_gt_u32_e32 vcc, s10, v12
	s_and_saveexec_b64 s[2:3], vcc
	s_cbranch_execz .LBB1648_10
; %bb.9:
	v_mov_b32_e32 v13, 0
	v_subrev_u32_e32 v16, s15, v12
	v_mov_b32_e32 v17, v13
	v_lshl_add_u64 v[14:15], v[12:13], 2, s[4:5]
	v_lshl_add_u64 v[16:17], v[16:17], 2, s[6:7]
	v_cmp_gt_u32_e32 vcc, s15, v12
	s_nop 1
	v_cndmask_b32_e32 v15, v17, v15, vcc
	v_cndmask_b32_e32 v14, v16, v14, vcc
	global_load_dword v5, v[14:15], off
.LBB1648_10:
	s_or_b64 exec, exec, s[2:3]
	v_add_u32_e32 v12, v12, v1
	v_cmp_gt_u32_e32 vcc, s10, v12
	s_and_saveexec_b64 s[2:3], vcc
	s_cbranch_execz .LBB1648_12
; %bb.11:
	v_mov_b32_e32 v13, 0
	v_subrev_u32_e32 v16, s15, v12
	v_mov_b32_e32 v17, v13
	v_lshl_add_u64 v[14:15], v[12:13], 2, s[4:5]
	v_lshl_add_u64 v[16:17], v[16:17], 2, s[6:7]
	v_cmp_gt_u32_e32 vcc, s15, v12
	s_nop 1
	v_cndmask_b32_e32 v15, v17, v15, vcc
	v_cndmask_b32_e32 v14, v16, v14, vcc
	global_load_dword v6, v[14:15], off
.LBB1648_12:
	;; [unrolled: 17-line block ×4, first 2 shown]
	s_or_b64 exec, exec, s[2:3]
	v_add_u32_e32 v16, v12, v1
	v_cmp_gt_u32_e64 s[2:3], s10, v16
.LBB1648_17:
	v_mov_b32_e32 v11, s10
	s_and_saveexec_b64 s[8:9], s[2:3]
	s_cbranch_execz .LBB1648_19
; %bb.18:
	v_mov_b32_e32 v13, 0
	v_subrev_u32_e32 v12, s15, v16
	v_mov_b32_e32 v17, v13
	v_lshl_add_u64 v[14:15], v[12:13], 2, s[6:7]
	v_lshl_add_u64 v[12:13], v[16:17], 2, s[4:5]
	v_cmp_gt_u32_e32 vcc, s15, v16
	v_mov_b32_e32 v11, s10
	s_nop 0
	v_cndmask_b32_e32 v13, v15, v13, vcc
	v_cndmask_b32_e32 v12, v14, v12, vcc
	global_load_dword v9, v[12:13], off
.LBB1648_19:
	s_or_b64 exec, exec, s[8:9]
	s_load_dwordx2 s[20:21], s[0:1], 0x10
	v_lshlrev_b32_e32 v1, 3, v0
	v_min_u32_e32 v13, v11, v1
	v_sub_u32_e64 v12, v13, s13 clamp
	v_min_u32_e32 v14, s15, v13
	v_cmp_lt_u32_e32 vcc, v12, v14
	s_waitcnt vmcnt(0)
	ds_write2st64_b32 v10, v2, v3 offset1:2
	ds_write2st64_b32 v10, v4, v5 offset0:4 offset1:6
	ds_write2st64_b32 v10, v6, v7 offset0:8 offset1:10
	;; [unrolled: 1-line block ×3, first 2 shown]
	s_waitcnt lgkmcnt(0)
	s_barrier
	s_and_saveexec_b64 s[0:1], vcc
	s_cbranch_execz .LBB1648_23
; %bb.20:
	v_lshlrev_b32_e32 v15, 2, v13
	v_lshl_add_u32 v15, s15, 2, v15
	s_mov_b64 s[2:3], 0
.LBB1648_21:                            ; =>This Inner Loop Header: Depth=1
	v_add_u32_e32 v16, v14, v12
	v_lshrrev_b32_e32 v16, 1, v16
	v_not_b32_e32 v17, v16
	v_lshlrev_b32_e32 v18, 2, v16
	v_lshl_add_u32 v17, v17, 2, v15
	ds_read_b32 v18, v18
	ds_read_b32 v17, v17
	v_add_u32_e32 v19, 1, v16
	s_waitcnt lgkmcnt(0)
	v_cmp_gt_i32_e32 vcc, v18, v17
	s_nop 1
	v_cndmask_b32_e32 v14, v14, v16, vcc
	v_cndmask_b32_e32 v12, v19, v12, vcc
	v_cmp_ge_u32_e32 vcc, v12, v14
	s_or_b64 s[2:3], vcc, s[2:3]
	s_andn2_b64 exec, exec, s[2:3]
	s_cbranch_execnz .LBB1648_21
; %bb.22:
	s_or_b64 exec, exec, s[2:3]
.LBB1648_23:
	s_or_b64 exec, exec, s[0:1]
	v_sub_u32_e32 v13, v13, v12
	v_add_u32_e32 v13, s15, v13
	v_cmp_ge_u32_e32 vcc, s15, v12
	v_cmp_le_u32_e64 s[0:1], v13, v11
	s_or_b64 s[0:1], vcc, s[0:1]
	s_and_saveexec_b64 s[22:23], s[0:1]
	s_cbranch_execz .LBB1648_29
; %bb.24:
	v_cmp_gt_u32_e32 vcc, s15, v12
                                        ; implicit-def: $vgpr2
	s_and_saveexec_b64 s[0:1], vcc
	s_cbranch_execz .LBB1648_26
; %bb.25:
	v_lshlrev_b32_e32 v2, 2, v12
	ds_read_b32 v2, v2
.LBB1648_26:
	s_or_b64 exec, exec, s[0:1]
	v_cmp_ge_u32_e64 s[0:1], v13, v11
	v_cmp_lt_u32_e64 s[2:3], v13, v11
                                        ; implicit-def: $vgpr3
	s_and_saveexec_b64 s[4:5], s[2:3]
	s_cbranch_execz .LBB1648_28
; %bb.27:
	v_lshlrev_b32_e32 v3, 2, v13
	ds_read_b32 v3, v3
.LBB1648_28:
	s_or_b64 exec, exec, s[4:5]
	s_waitcnt lgkmcnt(0)
	v_cmp_le_i32_e64 s[2:3], v2, v3
	s_and_b64 s[2:3], vcc, s[2:3]
	s_or_b64 vcc, s[0:1], s[2:3]
	v_mov_b32_e32 v5, s15
	v_cndmask_b32_e32 v4, v13, v12, vcc
	v_cndmask_b32_e32 v6, v11, v5, vcc
	v_add_u32_e32 v4, 1, v4
	v_add_u32_e32 v6, -1, v6
	v_min_u32_e32 v6, v4, v6
	v_lshlrev_b32_e32 v6, 2, v6
	ds_read_b32 v6, v6
	v_cndmask_b32_e32 v8, v4, v13, vcc
	v_cndmask_b32_e32 v4, v12, v4, vcc
	v_cmp_gt_u32_e64 s[2:3], s15, v4
	v_cmp_ge_u32_e64 s[0:1], v8, v11
	s_waitcnt lgkmcnt(0)
	v_cndmask_b32_e32 v7, v6, v3, vcc
	v_cndmask_b32_e32 v6, v2, v6, vcc
	v_cmp_le_i32_e64 s[4:5], v6, v7
	s_and_b64 s[2:3], s[2:3], s[4:5]
	s_or_b64 s[0:1], s[0:1], s[2:3]
	v_cndmask_b32_e64 v9, v8, v4, s[0:1]
	v_cndmask_b32_e64 v12, v11, v5, s[0:1]
	v_add_u32_e32 v9, 1, v9
	v_add_u32_e32 v12, -1, v12
	v_min_u32_e32 v12, v9, v12
	v_lshlrev_b32_e32 v12, 2, v12
	ds_read_b32 v12, v12
	v_cndmask_b32_e64 v4, v4, v9, s[0:1]
	v_cndmask_b32_e64 v8, v9, v8, s[0:1]
	v_cmp_gt_u32_e64 s[4:5], s15, v4
	v_cmp_ge_u32_e64 s[2:3], v8, v11
	s_waitcnt lgkmcnt(0)
	v_cndmask_b32_e64 v13, v12, v7, s[0:1]
	v_cndmask_b32_e64 v12, v6, v12, s[0:1]
	v_cmp_le_i32_e64 s[6:7], v12, v13
	s_and_b64 s[4:5], s[4:5], s[6:7]
	s_or_b64 s[2:3], s[2:3], s[4:5]
	v_cndmask_b32_e64 v9, v8, v4, s[2:3]
	v_cndmask_b32_e64 v14, v11, v5, s[2:3]
	v_add_u32_e32 v9, 1, v9
	v_add_u32_e32 v14, -1, v14
	v_min_u32_e32 v14, v9, v14
	v_lshlrev_b32_e32 v14, 2, v14
	ds_read_b32 v14, v14
	v_cndmask_b32_e64 v4, v4, v9, s[2:3]
	v_cndmask_b32_e64 v8, v9, v8, s[2:3]
	v_cmp_gt_u32_e64 s[6:7], s15, v4
	v_cmp_ge_u32_e64 s[4:5], v8, v11
	s_waitcnt lgkmcnt(0)
	v_cndmask_b32_e64 v15, v14, v13, s[2:3]
	v_cndmask_b32_e64 v14, v12, v14, s[2:3]
	;; [unrolled: 17-line block ×4, first 2 shown]
	v_cmp_le_i32_e64 s[12:13], v18, v19
	s_and_b64 s[10:11], s[10:11], s[12:13]
	s_or_b64 s[8:9], s[8:9], s[10:11]
	v_cndmask_b32_e64 v4, v8, v9, s[8:9]
	v_cndmask_b32_e64 v20, v11, v5, s[8:9]
	v_add_u32_e32 v21, 1, v4
	v_add_u32_e32 v4, -1, v20
	v_min_u32_e32 v4, v21, v4
	v_lshlrev_b32_e32 v4, 2, v4
	ds_read_b32 v20, v4
	v_cndmask_b32_e64 v4, v13, v12, s[2:3]
	v_cndmask_b32_e64 v9, v9, v21, s[8:9]
	v_cndmask_b32_e32 v2, v3, v2, vcc
	v_cndmask_b32_e64 v3, v7, v6, s[0:1]
	s_waitcnt lgkmcnt(0)
	v_cndmask_b32_e64 v12, v20, v19, s[8:9]
	v_cndmask_b32_e64 v13, v18, v20, s[8:9]
	;; [unrolled: 1-line block ×3, first 2 shown]
	v_cmp_gt_u32_e64 s[0:1], s15, v9
	v_cmp_le_i32_e64 s[2:3], v13, v12
	v_cmp_ge_u32_e32 vcc, v20, v11
	s_and_b64 s[0:1], s[0:1], s[2:3]
	s_or_b64 vcc, vcc, s[0:1]
	v_cndmask_b32_e32 v6, v20, v9, vcc
	v_cndmask_b32_e32 v5, v11, v5, vcc
	v_add_u32_e32 v21, 1, v6
	v_add_u32_e32 v5, -1, v5
	v_min_u32_e32 v5, v21, v5
	v_lshlrev_b32_e32 v5, 2, v5
	ds_read_b32 v22, v5
	v_cndmask_b32_e32 v8, v12, v13, vcc
	v_cndmask_b32_e32 v9, v9, v21, vcc
	v_cndmask_b32_e64 v5, v15, v14, s[4:5]
	v_cndmask_b32_e32 v14, v21, v20, vcc
	s_waitcnt lgkmcnt(0)
	v_cndmask_b32_e32 v12, v22, v12, vcc
	v_cndmask_b32_e32 v13, v13, v22, vcc
	v_cmp_gt_u32_e64 s[0:1], s15, v9
	v_cmp_le_i32_e64 s[2:3], v13, v12
	v_cmp_ge_u32_e32 vcc, v14, v11
	s_and_b64 s[0:1], s[0:1], s[2:3]
	s_or_b64 vcc, vcc, s[0:1]
	v_cndmask_b32_e64 v6, v17, v16, s[6:7]
	v_cndmask_b32_e64 v7, v19, v18, s[8:9]
	v_cndmask_b32_e32 v9, v12, v13, vcc
.LBB1648_29:
	s_or_b64 exec, exec, s[22:23]
	v_and_b32_e32 v11, 0x7c, v0
	v_lshl_add_u32 v1, v1, 2, v11
	s_barrier
	s_barrier
	ds_write2_b32 v1, v2, v3 offset1:1
	ds_write2_b32 v1, v4, v5 offset0:2 offset1:3
	ds_write2_b32 v1, v6, v7 offset0:4 offset1:5
	;; [unrolled: 1-line block ×3, first 2 shown]
	v_lshrrev_b32_e32 v1, 3, v0
	v_and_b32_e32 v1, 12, v1
	v_or_b32_e32 v12, 0x80, v0
	v_add_u32_e32 v13, v10, v1
	v_lshrrev_b32_e32 v1, 3, v12
	v_and_b32_e32 v1, 28, v1
	v_or_b32_e32 v9, 0x100, v0
	v_add_u32_e32 v14, v10, v1
	;; [unrolled: 4-line block ×6, first 2 shown]
	v_lshrrev_b32_e32 v1, 3, v4
	s_mov_b32 s17, 0
	v_and_b32_e32 v1, 0x6c, v1
	s_lshl_b64 s[0:1], s[16:17], 2
	v_add_u32_e32 v19, v10, v1
	v_or_b32_e32 v1, 0x380, v0
	s_add_u32 s0, s20, s0
	v_lshrrev_b32_e32 v2, 3, v1
	s_addc_u32 s1, s21, s1
	v_and_b32_e32 v2, 0x7c, v2
	v_mov_b32_e32 v11, 0
	v_add_u32_e32 v20, v10, v2
	v_lshl_add_u64 v[2:3], s[0:1], 0, v[10:11]
	s_and_b64 vcc, exec, s[18:19]
	s_waitcnt lgkmcnt(0)
	s_cbranch_vccz .LBB1648_31
; %bb.30:
	s_barrier
	ds_read_b32 v10, v13
	ds_read_b32 v11, v14 offset:512
	ds_read_b32 v21, v15 offset:1024
	;; [unrolled: 1-line block ×7, first 2 shown]
	s_waitcnt lgkmcnt(7)
	global_store_dword v[2:3], v10, off
	s_waitcnt lgkmcnt(6)
	global_store_dword v[2:3], v11, off offset:512
	s_waitcnt lgkmcnt(5)
	global_store_dword v[2:3], v21, off offset:1024
	;; [unrolled: 2-line block ×6, first 2 shown]
	s_mov_b64 s[0:1], -1
	s_cbranch_execz .LBB1648_32
	s_branch .LBB1648_41
.LBB1648_31:
	s_mov_b64 s[0:1], 0
                                        ; implicit-def: $vgpr7
.LBB1648_32:
	s_barrier
	s_waitcnt lgkmcnt(0)
	ds_read_b32 v22, v14 offset:512
	ds_read_b32 v21, v15 offset:1024
	;; [unrolled: 1-line block ×7, first 2 shown]
	s_sub_i32 s2, s14, s16
	v_cmp_gt_u32_e32 vcc, s2, v0
	s_and_saveexec_b64 s[0:1], vcc
	s_cbranch_execnz .LBB1648_46
; %bb.33:
	s_or_b64 exec, exec, s[0:1]
	v_cmp_gt_u32_e32 vcc, s2, v12
	s_and_saveexec_b64 s[0:1], vcc
	s_cbranch_execnz .LBB1648_47
.LBB1648_34:
	s_or_b64 exec, exec, s[0:1]
	v_cmp_gt_u32_e32 vcc, s2, v9
	s_and_saveexec_b64 s[0:1], vcc
	s_cbranch_execnz .LBB1648_48
.LBB1648_35:
	s_or_b64 exec, exec, s[0:1]
	v_cmp_gt_u32_e32 vcc, s2, v8
	s_and_saveexec_b64 s[0:1], vcc
	s_cbranch_execnz .LBB1648_49
.LBB1648_36:
	s_or_b64 exec, exec, s[0:1]
	v_cmp_gt_u32_e32 vcc, s2, v6
	s_and_saveexec_b64 s[0:1], vcc
	s_cbranch_execnz .LBB1648_50
.LBB1648_37:
	s_or_b64 exec, exec, s[0:1]
	v_cmp_gt_u32_e32 vcc, s2, v5
	s_and_saveexec_b64 s[0:1], vcc
	s_cbranch_execnz .LBB1648_51
.LBB1648_38:
	s_or_b64 exec, exec, s[0:1]
	v_cmp_gt_u32_e32 vcc, s2, v4
	s_and_saveexec_b64 s[0:1], vcc
	s_cbranch_execz .LBB1648_40
.LBB1648_39:
	s_waitcnt lgkmcnt(1)
	global_store_dword v[2:3], v10, off offset:3072
.LBB1648_40:
	s_or_b64 exec, exec, s[0:1]
	v_cmp_gt_u32_e64 s[0:1], s2, v1
.LBB1648_41:
	s_and_saveexec_b64 s[2:3], s[0:1]
	s_cbranch_execz .LBB1648_43
; %bb.42:
	s_waitcnt lgkmcnt(0)
	global_store_dword v[2:3], v7, off offset:3584
.LBB1648_43:
	s_endpgm
.LBB1648_44:
	v_mov_b32_e32 v11, 0
	s_waitcnt vmcnt(4)
	v_subrev_u32_e32 v4, s15, v0
	s_waitcnt vmcnt(3)
	v_mov_b32_e32 v5, v11
	v_lshl_add_u64 v[2:3], s[4:5], 0, v[10:11]
	v_lshl_add_u64 v[4:5], v[4:5], 2, s[6:7]
	v_cmp_gt_u32_e32 vcc, s15, v0
	s_nop 1
	v_cndmask_b32_e32 v3, v5, v3, vcc
	v_cndmask_b32_e32 v2, v4, v2, vcc
	global_load_dword v2, v[2:3], off
	s_or_b64 exec, exec, s[2:3]
	v_cmp_gt_u32_e32 vcc, s10, v14
	s_and_saveexec_b64 s[2:3], vcc
	s_cbranch_execz .LBB1648_6
.LBB1648_45:
	v_mov_b32_e32 v15, 0
	v_lshl_add_u64 v[16:17], v[14:15], 2, s[4:5]
	v_cmp_gt_u32_e32 vcc, s15, v14
	v_subrev_u32_e32 v14, s15, v14
	v_lshl_add_u64 v[14:15], v[14:15], 2, s[6:7]
	v_cndmask_b32_e32 v15, v15, v17, vcc
	v_cndmask_b32_e32 v14, v14, v16, vcc
	global_load_dword v3, v[14:15], off
	s_or_b64 exec, exec, s[2:3]
	v_cmp_gt_u32_e32 vcc, s10, v12
	s_and_saveexec_b64 s[2:3], vcc
	s_cbranch_execnz .LBB1648_7
	s_branch .LBB1648_8
.LBB1648_46:
	ds_read_b32 v0, v13
	s_waitcnt lgkmcnt(0)
	global_store_dword v[2:3], v0, off
	s_or_b64 exec, exec, s[0:1]
	v_cmp_gt_u32_e32 vcc, s2, v12
	s_and_saveexec_b64 s[0:1], vcc
	s_cbranch_execz .LBB1648_34
.LBB1648_47:
	s_waitcnt lgkmcnt(6)
	global_store_dword v[2:3], v22, off offset:512
	s_or_b64 exec, exec, s[0:1]
	v_cmp_gt_u32_e32 vcc, s2, v9
	s_and_saveexec_b64 s[0:1], vcc
	s_cbranch_execz .LBB1648_35
.LBB1648_48:
	s_waitcnt lgkmcnt(5)
	global_store_dword v[2:3], v21, off offset:1024
	s_or_b64 exec, exec, s[0:1]
	v_cmp_gt_u32_e32 vcc, s2, v8
	s_and_saveexec_b64 s[0:1], vcc
	s_cbranch_execz .LBB1648_36
.LBB1648_49:
	s_waitcnt lgkmcnt(4)
	global_store_dword v[2:3], v15, off offset:1536
	s_or_b64 exec, exec, s[0:1]
	v_cmp_gt_u32_e32 vcc, s2, v6
	s_and_saveexec_b64 s[0:1], vcc
	s_cbranch_execz .LBB1648_37
.LBB1648_50:
	s_waitcnt lgkmcnt(3)
	global_store_dword v[2:3], v14, off offset:2048
	s_or_b64 exec, exec, s[0:1]
	v_cmp_gt_u32_e32 vcc, s2, v5
	s_and_saveexec_b64 s[0:1], vcc
	s_cbranch_execz .LBB1648_38
.LBB1648_51:
	s_waitcnt lgkmcnt(2)
	global_store_dword v[2:3], v11, off offset:2560
	s_or_b64 exec, exec, s[0:1]
	v_cmp_gt_u32_e32 vcc, s2, v4
	s_and_saveexec_b64 s[0:1], vcc
	s_cbranch_execnz .LBB1648_39
	s_branch .LBB1648_40
	.section	.rodata,"a",@progbits
	.p2align	6, 0x0
	.amdhsa_kernel _ZN7rocprim17ROCPRIM_400000_NS6detail17trampoline_kernelINS0_14default_configENS1_38merge_sort_block_merge_config_selectorIiNS0_10empty_typeEEEZZNS1_27merge_sort_block_merge_implIS3_N6thrust23THRUST_200600_302600_NS6detail15normal_iteratorINS9_10device_ptrIiEEEEPS5_jNS1_19radix_merge_compareILb0ELb0EiNS0_19identity_decomposerEEEEE10hipError_tT0_T1_T2_jT3_P12ihipStream_tbPNSt15iterator_traitsISK_E10value_typeEPNSQ_ISL_E10value_typeEPSM_NS1_7vsmem_tEENKUlT_SK_SL_SM_E_clISE_PiSF_SF_EESJ_SZ_SK_SL_SM_EUlSZ_E0_NS1_11comp_targetILNS1_3genE5ELNS1_11target_archE942ELNS1_3gpuE9ELNS1_3repE0EEENS1_38merge_mergepath_config_static_selectorELNS0_4arch9wavefront6targetE1EEEvSL_
		.amdhsa_group_segment_fixed_size 4224
		.amdhsa_private_segment_fixed_size 0
		.amdhsa_kernarg_size 320
		.amdhsa_user_sgpr_count 2
		.amdhsa_user_sgpr_dispatch_ptr 0
		.amdhsa_user_sgpr_queue_ptr 0
		.amdhsa_user_sgpr_kernarg_segment_ptr 1
		.amdhsa_user_sgpr_dispatch_id 0
		.amdhsa_user_sgpr_kernarg_preload_length 0
		.amdhsa_user_sgpr_kernarg_preload_offset 0
		.amdhsa_user_sgpr_private_segment_size 0
		.amdhsa_uses_dynamic_stack 0
		.amdhsa_enable_private_segment 0
		.amdhsa_system_sgpr_workgroup_id_x 1
		.amdhsa_system_sgpr_workgroup_id_y 1
		.amdhsa_system_sgpr_workgroup_id_z 1
		.amdhsa_system_sgpr_workgroup_info 0
		.amdhsa_system_vgpr_workitem_id 0
		.amdhsa_next_free_vgpr 26
		.amdhsa_next_free_sgpr 24
		.amdhsa_accum_offset 28
		.amdhsa_reserve_vcc 1
		.amdhsa_float_round_mode_32 0
		.amdhsa_float_round_mode_16_64 0
		.amdhsa_float_denorm_mode_32 3
		.amdhsa_float_denorm_mode_16_64 3
		.amdhsa_dx10_clamp 1
		.amdhsa_ieee_mode 1
		.amdhsa_fp16_overflow 0
		.amdhsa_tg_split 0
		.amdhsa_exception_fp_ieee_invalid_op 0
		.amdhsa_exception_fp_denorm_src 0
		.amdhsa_exception_fp_ieee_div_zero 0
		.amdhsa_exception_fp_ieee_overflow 0
		.amdhsa_exception_fp_ieee_underflow 0
		.amdhsa_exception_fp_ieee_inexact 0
		.amdhsa_exception_int_div_zero 0
	.end_amdhsa_kernel
	.section	.text._ZN7rocprim17ROCPRIM_400000_NS6detail17trampoline_kernelINS0_14default_configENS1_38merge_sort_block_merge_config_selectorIiNS0_10empty_typeEEEZZNS1_27merge_sort_block_merge_implIS3_N6thrust23THRUST_200600_302600_NS6detail15normal_iteratorINS9_10device_ptrIiEEEEPS5_jNS1_19radix_merge_compareILb0ELb0EiNS0_19identity_decomposerEEEEE10hipError_tT0_T1_T2_jT3_P12ihipStream_tbPNSt15iterator_traitsISK_E10value_typeEPNSQ_ISL_E10value_typeEPSM_NS1_7vsmem_tEENKUlT_SK_SL_SM_E_clISE_PiSF_SF_EESJ_SZ_SK_SL_SM_EUlSZ_E0_NS1_11comp_targetILNS1_3genE5ELNS1_11target_archE942ELNS1_3gpuE9ELNS1_3repE0EEENS1_38merge_mergepath_config_static_selectorELNS0_4arch9wavefront6targetE1EEEvSL_,"axG",@progbits,_ZN7rocprim17ROCPRIM_400000_NS6detail17trampoline_kernelINS0_14default_configENS1_38merge_sort_block_merge_config_selectorIiNS0_10empty_typeEEEZZNS1_27merge_sort_block_merge_implIS3_N6thrust23THRUST_200600_302600_NS6detail15normal_iteratorINS9_10device_ptrIiEEEEPS5_jNS1_19radix_merge_compareILb0ELb0EiNS0_19identity_decomposerEEEEE10hipError_tT0_T1_T2_jT3_P12ihipStream_tbPNSt15iterator_traitsISK_E10value_typeEPNSQ_ISL_E10value_typeEPSM_NS1_7vsmem_tEENKUlT_SK_SL_SM_E_clISE_PiSF_SF_EESJ_SZ_SK_SL_SM_EUlSZ_E0_NS1_11comp_targetILNS1_3genE5ELNS1_11target_archE942ELNS1_3gpuE9ELNS1_3repE0EEENS1_38merge_mergepath_config_static_selectorELNS0_4arch9wavefront6targetE1EEEvSL_,comdat
.Lfunc_end1648:
	.size	_ZN7rocprim17ROCPRIM_400000_NS6detail17trampoline_kernelINS0_14default_configENS1_38merge_sort_block_merge_config_selectorIiNS0_10empty_typeEEEZZNS1_27merge_sort_block_merge_implIS3_N6thrust23THRUST_200600_302600_NS6detail15normal_iteratorINS9_10device_ptrIiEEEEPS5_jNS1_19radix_merge_compareILb0ELb0EiNS0_19identity_decomposerEEEEE10hipError_tT0_T1_T2_jT3_P12ihipStream_tbPNSt15iterator_traitsISK_E10value_typeEPNSQ_ISL_E10value_typeEPSM_NS1_7vsmem_tEENKUlT_SK_SL_SM_E_clISE_PiSF_SF_EESJ_SZ_SK_SL_SM_EUlSZ_E0_NS1_11comp_targetILNS1_3genE5ELNS1_11target_archE942ELNS1_3gpuE9ELNS1_3repE0EEENS1_38merge_mergepath_config_static_selectorELNS0_4arch9wavefront6targetE1EEEvSL_, .Lfunc_end1648-_ZN7rocprim17ROCPRIM_400000_NS6detail17trampoline_kernelINS0_14default_configENS1_38merge_sort_block_merge_config_selectorIiNS0_10empty_typeEEEZZNS1_27merge_sort_block_merge_implIS3_N6thrust23THRUST_200600_302600_NS6detail15normal_iteratorINS9_10device_ptrIiEEEEPS5_jNS1_19radix_merge_compareILb0ELb0EiNS0_19identity_decomposerEEEEE10hipError_tT0_T1_T2_jT3_P12ihipStream_tbPNSt15iterator_traitsISK_E10value_typeEPNSQ_ISL_E10value_typeEPSM_NS1_7vsmem_tEENKUlT_SK_SL_SM_E_clISE_PiSF_SF_EESJ_SZ_SK_SL_SM_EUlSZ_E0_NS1_11comp_targetILNS1_3genE5ELNS1_11target_archE942ELNS1_3gpuE9ELNS1_3repE0EEENS1_38merge_mergepath_config_static_selectorELNS0_4arch9wavefront6targetE1EEEvSL_
                                        ; -- End function
	.section	.AMDGPU.csdata,"",@progbits
; Kernel info:
; codeLenInByte = 3208
; NumSgprs: 30
; NumVgprs: 26
; NumAgprs: 0
; TotalNumVgprs: 26
; ScratchSize: 0
; MemoryBound: 0
; FloatMode: 240
; IeeeMode: 1
; LDSByteSize: 4224 bytes/workgroup (compile time only)
; SGPRBlocks: 3
; VGPRBlocks: 3
; NumSGPRsForWavesPerEU: 30
; NumVGPRsForWavesPerEU: 26
; AccumOffset: 28
; Occupancy: 8
; WaveLimiterHint : 1
; COMPUTE_PGM_RSRC2:SCRATCH_EN: 0
; COMPUTE_PGM_RSRC2:USER_SGPR: 2
; COMPUTE_PGM_RSRC2:TRAP_HANDLER: 0
; COMPUTE_PGM_RSRC2:TGID_X_EN: 1
; COMPUTE_PGM_RSRC2:TGID_Y_EN: 1
; COMPUTE_PGM_RSRC2:TGID_Z_EN: 1
; COMPUTE_PGM_RSRC2:TIDIG_COMP_CNT: 0
; COMPUTE_PGM_RSRC3_GFX90A:ACCUM_OFFSET: 6
; COMPUTE_PGM_RSRC3_GFX90A:TG_SPLIT: 0
	.section	.text._ZN7rocprim17ROCPRIM_400000_NS6detail17trampoline_kernelINS0_14default_configENS1_38merge_sort_block_merge_config_selectorIiNS0_10empty_typeEEEZZNS1_27merge_sort_block_merge_implIS3_N6thrust23THRUST_200600_302600_NS6detail15normal_iteratorINS9_10device_ptrIiEEEEPS5_jNS1_19radix_merge_compareILb0ELb0EiNS0_19identity_decomposerEEEEE10hipError_tT0_T1_T2_jT3_P12ihipStream_tbPNSt15iterator_traitsISK_E10value_typeEPNSQ_ISL_E10value_typeEPSM_NS1_7vsmem_tEENKUlT_SK_SL_SM_E_clISE_PiSF_SF_EESJ_SZ_SK_SL_SM_EUlSZ_E0_NS1_11comp_targetILNS1_3genE4ELNS1_11target_archE910ELNS1_3gpuE8ELNS1_3repE0EEENS1_38merge_mergepath_config_static_selectorELNS0_4arch9wavefront6targetE1EEEvSL_,"axG",@progbits,_ZN7rocprim17ROCPRIM_400000_NS6detail17trampoline_kernelINS0_14default_configENS1_38merge_sort_block_merge_config_selectorIiNS0_10empty_typeEEEZZNS1_27merge_sort_block_merge_implIS3_N6thrust23THRUST_200600_302600_NS6detail15normal_iteratorINS9_10device_ptrIiEEEEPS5_jNS1_19radix_merge_compareILb0ELb0EiNS0_19identity_decomposerEEEEE10hipError_tT0_T1_T2_jT3_P12ihipStream_tbPNSt15iterator_traitsISK_E10value_typeEPNSQ_ISL_E10value_typeEPSM_NS1_7vsmem_tEENKUlT_SK_SL_SM_E_clISE_PiSF_SF_EESJ_SZ_SK_SL_SM_EUlSZ_E0_NS1_11comp_targetILNS1_3genE4ELNS1_11target_archE910ELNS1_3gpuE8ELNS1_3repE0EEENS1_38merge_mergepath_config_static_selectorELNS0_4arch9wavefront6targetE1EEEvSL_,comdat
	.protected	_ZN7rocprim17ROCPRIM_400000_NS6detail17trampoline_kernelINS0_14default_configENS1_38merge_sort_block_merge_config_selectorIiNS0_10empty_typeEEEZZNS1_27merge_sort_block_merge_implIS3_N6thrust23THRUST_200600_302600_NS6detail15normal_iteratorINS9_10device_ptrIiEEEEPS5_jNS1_19radix_merge_compareILb0ELb0EiNS0_19identity_decomposerEEEEE10hipError_tT0_T1_T2_jT3_P12ihipStream_tbPNSt15iterator_traitsISK_E10value_typeEPNSQ_ISL_E10value_typeEPSM_NS1_7vsmem_tEENKUlT_SK_SL_SM_E_clISE_PiSF_SF_EESJ_SZ_SK_SL_SM_EUlSZ_E0_NS1_11comp_targetILNS1_3genE4ELNS1_11target_archE910ELNS1_3gpuE8ELNS1_3repE0EEENS1_38merge_mergepath_config_static_selectorELNS0_4arch9wavefront6targetE1EEEvSL_ ; -- Begin function _ZN7rocprim17ROCPRIM_400000_NS6detail17trampoline_kernelINS0_14default_configENS1_38merge_sort_block_merge_config_selectorIiNS0_10empty_typeEEEZZNS1_27merge_sort_block_merge_implIS3_N6thrust23THRUST_200600_302600_NS6detail15normal_iteratorINS9_10device_ptrIiEEEEPS5_jNS1_19radix_merge_compareILb0ELb0EiNS0_19identity_decomposerEEEEE10hipError_tT0_T1_T2_jT3_P12ihipStream_tbPNSt15iterator_traitsISK_E10value_typeEPNSQ_ISL_E10value_typeEPSM_NS1_7vsmem_tEENKUlT_SK_SL_SM_E_clISE_PiSF_SF_EESJ_SZ_SK_SL_SM_EUlSZ_E0_NS1_11comp_targetILNS1_3genE4ELNS1_11target_archE910ELNS1_3gpuE8ELNS1_3repE0EEENS1_38merge_mergepath_config_static_selectorELNS0_4arch9wavefront6targetE1EEEvSL_
	.globl	_ZN7rocprim17ROCPRIM_400000_NS6detail17trampoline_kernelINS0_14default_configENS1_38merge_sort_block_merge_config_selectorIiNS0_10empty_typeEEEZZNS1_27merge_sort_block_merge_implIS3_N6thrust23THRUST_200600_302600_NS6detail15normal_iteratorINS9_10device_ptrIiEEEEPS5_jNS1_19radix_merge_compareILb0ELb0EiNS0_19identity_decomposerEEEEE10hipError_tT0_T1_T2_jT3_P12ihipStream_tbPNSt15iterator_traitsISK_E10value_typeEPNSQ_ISL_E10value_typeEPSM_NS1_7vsmem_tEENKUlT_SK_SL_SM_E_clISE_PiSF_SF_EESJ_SZ_SK_SL_SM_EUlSZ_E0_NS1_11comp_targetILNS1_3genE4ELNS1_11target_archE910ELNS1_3gpuE8ELNS1_3repE0EEENS1_38merge_mergepath_config_static_selectorELNS0_4arch9wavefront6targetE1EEEvSL_
	.p2align	8
	.type	_ZN7rocprim17ROCPRIM_400000_NS6detail17trampoline_kernelINS0_14default_configENS1_38merge_sort_block_merge_config_selectorIiNS0_10empty_typeEEEZZNS1_27merge_sort_block_merge_implIS3_N6thrust23THRUST_200600_302600_NS6detail15normal_iteratorINS9_10device_ptrIiEEEEPS5_jNS1_19radix_merge_compareILb0ELb0EiNS0_19identity_decomposerEEEEE10hipError_tT0_T1_T2_jT3_P12ihipStream_tbPNSt15iterator_traitsISK_E10value_typeEPNSQ_ISL_E10value_typeEPSM_NS1_7vsmem_tEENKUlT_SK_SL_SM_E_clISE_PiSF_SF_EESJ_SZ_SK_SL_SM_EUlSZ_E0_NS1_11comp_targetILNS1_3genE4ELNS1_11target_archE910ELNS1_3gpuE8ELNS1_3repE0EEENS1_38merge_mergepath_config_static_selectorELNS0_4arch9wavefront6targetE1EEEvSL_,@function
_ZN7rocprim17ROCPRIM_400000_NS6detail17trampoline_kernelINS0_14default_configENS1_38merge_sort_block_merge_config_selectorIiNS0_10empty_typeEEEZZNS1_27merge_sort_block_merge_implIS3_N6thrust23THRUST_200600_302600_NS6detail15normal_iteratorINS9_10device_ptrIiEEEEPS5_jNS1_19radix_merge_compareILb0ELb0EiNS0_19identity_decomposerEEEEE10hipError_tT0_T1_T2_jT3_P12ihipStream_tbPNSt15iterator_traitsISK_E10value_typeEPNSQ_ISL_E10value_typeEPSM_NS1_7vsmem_tEENKUlT_SK_SL_SM_E_clISE_PiSF_SF_EESJ_SZ_SK_SL_SM_EUlSZ_E0_NS1_11comp_targetILNS1_3genE4ELNS1_11target_archE910ELNS1_3gpuE8ELNS1_3repE0EEENS1_38merge_mergepath_config_static_selectorELNS0_4arch9wavefront6targetE1EEEvSL_: ; @_ZN7rocprim17ROCPRIM_400000_NS6detail17trampoline_kernelINS0_14default_configENS1_38merge_sort_block_merge_config_selectorIiNS0_10empty_typeEEEZZNS1_27merge_sort_block_merge_implIS3_N6thrust23THRUST_200600_302600_NS6detail15normal_iteratorINS9_10device_ptrIiEEEEPS5_jNS1_19radix_merge_compareILb0ELb0EiNS0_19identity_decomposerEEEEE10hipError_tT0_T1_T2_jT3_P12ihipStream_tbPNSt15iterator_traitsISK_E10value_typeEPNSQ_ISL_E10value_typeEPSM_NS1_7vsmem_tEENKUlT_SK_SL_SM_E_clISE_PiSF_SF_EESJ_SZ_SK_SL_SM_EUlSZ_E0_NS1_11comp_targetILNS1_3genE4ELNS1_11target_archE910ELNS1_3gpuE8ELNS1_3repE0EEENS1_38merge_mergepath_config_static_selectorELNS0_4arch9wavefront6targetE1EEEvSL_
; %bb.0:
	.section	.rodata,"a",@progbits
	.p2align	6, 0x0
	.amdhsa_kernel _ZN7rocprim17ROCPRIM_400000_NS6detail17trampoline_kernelINS0_14default_configENS1_38merge_sort_block_merge_config_selectorIiNS0_10empty_typeEEEZZNS1_27merge_sort_block_merge_implIS3_N6thrust23THRUST_200600_302600_NS6detail15normal_iteratorINS9_10device_ptrIiEEEEPS5_jNS1_19radix_merge_compareILb0ELb0EiNS0_19identity_decomposerEEEEE10hipError_tT0_T1_T2_jT3_P12ihipStream_tbPNSt15iterator_traitsISK_E10value_typeEPNSQ_ISL_E10value_typeEPSM_NS1_7vsmem_tEENKUlT_SK_SL_SM_E_clISE_PiSF_SF_EESJ_SZ_SK_SL_SM_EUlSZ_E0_NS1_11comp_targetILNS1_3genE4ELNS1_11target_archE910ELNS1_3gpuE8ELNS1_3repE0EEENS1_38merge_mergepath_config_static_selectorELNS0_4arch9wavefront6targetE1EEEvSL_
		.amdhsa_group_segment_fixed_size 0
		.amdhsa_private_segment_fixed_size 0
		.amdhsa_kernarg_size 64
		.amdhsa_user_sgpr_count 2
		.amdhsa_user_sgpr_dispatch_ptr 0
		.amdhsa_user_sgpr_queue_ptr 0
		.amdhsa_user_sgpr_kernarg_segment_ptr 1
		.amdhsa_user_sgpr_dispatch_id 0
		.amdhsa_user_sgpr_kernarg_preload_length 0
		.amdhsa_user_sgpr_kernarg_preload_offset 0
		.amdhsa_user_sgpr_private_segment_size 0
		.amdhsa_uses_dynamic_stack 0
		.amdhsa_enable_private_segment 0
		.amdhsa_system_sgpr_workgroup_id_x 1
		.amdhsa_system_sgpr_workgroup_id_y 0
		.amdhsa_system_sgpr_workgroup_id_z 0
		.amdhsa_system_sgpr_workgroup_info 0
		.amdhsa_system_vgpr_workitem_id 0
		.amdhsa_next_free_vgpr 1
		.amdhsa_next_free_sgpr 0
		.amdhsa_accum_offset 4
		.amdhsa_reserve_vcc 0
		.amdhsa_float_round_mode_32 0
		.amdhsa_float_round_mode_16_64 0
		.amdhsa_float_denorm_mode_32 3
		.amdhsa_float_denorm_mode_16_64 3
		.amdhsa_dx10_clamp 1
		.amdhsa_ieee_mode 1
		.amdhsa_fp16_overflow 0
		.amdhsa_tg_split 0
		.amdhsa_exception_fp_ieee_invalid_op 0
		.amdhsa_exception_fp_denorm_src 0
		.amdhsa_exception_fp_ieee_div_zero 0
		.amdhsa_exception_fp_ieee_overflow 0
		.amdhsa_exception_fp_ieee_underflow 0
		.amdhsa_exception_fp_ieee_inexact 0
		.amdhsa_exception_int_div_zero 0
	.end_amdhsa_kernel
	.section	.text._ZN7rocprim17ROCPRIM_400000_NS6detail17trampoline_kernelINS0_14default_configENS1_38merge_sort_block_merge_config_selectorIiNS0_10empty_typeEEEZZNS1_27merge_sort_block_merge_implIS3_N6thrust23THRUST_200600_302600_NS6detail15normal_iteratorINS9_10device_ptrIiEEEEPS5_jNS1_19radix_merge_compareILb0ELb0EiNS0_19identity_decomposerEEEEE10hipError_tT0_T1_T2_jT3_P12ihipStream_tbPNSt15iterator_traitsISK_E10value_typeEPNSQ_ISL_E10value_typeEPSM_NS1_7vsmem_tEENKUlT_SK_SL_SM_E_clISE_PiSF_SF_EESJ_SZ_SK_SL_SM_EUlSZ_E0_NS1_11comp_targetILNS1_3genE4ELNS1_11target_archE910ELNS1_3gpuE8ELNS1_3repE0EEENS1_38merge_mergepath_config_static_selectorELNS0_4arch9wavefront6targetE1EEEvSL_,"axG",@progbits,_ZN7rocprim17ROCPRIM_400000_NS6detail17trampoline_kernelINS0_14default_configENS1_38merge_sort_block_merge_config_selectorIiNS0_10empty_typeEEEZZNS1_27merge_sort_block_merge_implIS3_N6thrust23THRUST_200600_302600_NS6detail15normal_iteratorINS9_10device_ptrIiEEEEPS5_jNS1_19radix_merge_compareILb0ELb0EiNS0_19identity_decomposerEEEEE10hipError_tT0_T1_T2_jT3_P12ihipStream_tbPNSt15iterator_traitsISK_E10value_typeEPNSQ_ISL_E10value_typeEPSM_NS1_7vsmem_tEENKUlT_SK_SL_SM_E_clISE_PiSF_SF_EESJ_SZ_SK_SL_SM_EUlSZ_E0_NS1_11comp_targetILNS1_3genE4ELNS1_11target_archE910ELNS1_3gpuE8ELNS1_3repE0EEENS1_38merge_mergepath_config_static_selectorELNS0_4arch9wavefront6targetE1EEEvSL_,comdat
.Lfunc_end1649:
	.size	_ZN7rocprim17ROCPRIM_400000_NS6detail17trampoline_kernelINS0_14default_configENS1_38merge_sort_block_merge_config_selectorIiNS0_10empty_typeEEEZZNS1_27merge_sort_block_merge_implIS3_N6thrust23THRUST_200600_302600_NS6detail15normal_iteratorINS9_10device_ptrIiEEEEPS5_jNS1_19radix_merge_compareILb0ELb0EiNS0_19identity_decomposerEEEEE10hipError_tT0_T1_T2_jT3_P12ihipStream_tbPNSt15iterator_traitsISK_E10value_typeEPNSQ_ISL_E10value_typeEPSM_NS1_7vsmem_tEENKUlT_SK_SL_SM_E_clISE_PiSF_SF_EESJ_SZ_SK_SL_SM_EUlSZ_E0_NS1_11comp_targetILNS1_3genE4ELNS1_11target_archE910ELNS1_3gpuE8ELNS1_3repE0EEENS1_38merge_mergepath_config_static_selectorELNS0_4arch9wavefront6targetE1EEEvSL_, .Lfunc_end1649-_ZN7rocprim17ROCPRIM_400000_NS6detail17trampoline_kernelINS0_14default_configENS1_38merge_sort_block_merge_config_selectorIiNS0_10empty_typeEEEZZNS1_27merge_sort_block_merge_implIS3_N6thrust23THRUST_200600_302600_NS6detail15normal_iteratorINS9_10device_ptrIiEEEEPS5_jNS1_19radix_merge_compareILb0ELb0EiNS0_19identity_decomposerEEEEE10hipError_tT0_T1_T2_jT3_P12ihipStream_tbPNSt15iterator_traitsISK_E10value_typeEPNSQ_ISL_E10value_typeEPSM_NS1_7vsmem_tEENKUlT_SK_SL_SM_E_clISE_PiSF_SF_EESJ_SZ_SK_SL_SM_EUlSZ_E0_NS1_11comp_targetILNS1_3genE4ELNS1_11target_archE910ELNS1_3gpuE8ELNS1_3repE0EEENS1_38merge_mergepath_config_static_selectorELNS0_4arch9wavefront6targetE1EEEvSL_
                                        ; -- End function
	.section	.AMDGPU.csdata,"",@progbits
; Kernel info:
; codeLenInByte = 0
; NumSgprs: 6
; NumVgprs: 0
; NumAgprs: 0
; TotalNumVgprs: 0
; ScratchSize: 0
; MemoryBound: 0
; FloatMode: 240
; IeeeMode: 1
; LDSByteSize: 0 bytes/workgroup (compile time only)
; SGPRBlocks: 0
; VGPRBlocks: 0
; NumSGPRsForWavesPerEU: 6
; NumVGPRsForWavesPerEU: 1
; AccumOffset: 4
; Occupancy: 8
; WaveLimiterHint : 0
; COMPUTE_PGM_RSRC2:SCRATCH_EN: 0
; COMPUTE_PGM_RSRC2:USER_SGPR: 2
; COMPUTE_PGM_RSRC2:TRAP_HANDLER: 0
; COMPUTE_PGM_RSRC2:TGID_X_EN: 1
; COMPUTE_PGM_RSRC2:TGID_Y_EN: 0
; COMPUTE_PGM_RSRC2:TGID_Z_EN: 0
; COMPUTE_PGM_RSRC2:TIDIG_COMP_CNT: 0
; COMPUTE_PGM_RSRC3_GFX90A:ACCUM_OFFSET: 0
; COMPUTE_PGM_RSRC3_GFX90A:TG_SPLIT: 0
	.section	.text._ZN7rocprim17ROCPRIM_400000_NS6detail17trampoline_kernelINS0_14default_configENS1_38merge_sort_block_merge_config_selectorIiNS0_10empty_typeEEEZZNS1_27merge_sort_block_merge_implIS3_N6thrust23THRUST_200600_302600_NS6detail15normal_iteratorINS9_10device_ptrIiEEEEPS5_jNS1_19radix_merge_compareILb0ELb0EiNS0_19identity_decomposerEEEEE10hipError_tT0_T1_T2_jT3_P12ihipStream_tbPNSt15iterator_traitsISK_E10value_typeEPNSQ_ISL_E10value_typeEPSM_NS1_7vsmem_tEENKUlT_SK_SL_SM_E_clISE_PiSF_SF_EESJ_SZ_SK_SL_SM_EUlSZ_E0_NS1_11comp_targetILNS1_3genE3ELNS1_11target_archE908ELNS1_3gpuE7ELNS1_3repE0EEENS1_38merge_mergepath_config_static_selectorELNS0_4arch9wavefront6targetE1EEEvSL_,"axG",@progbits,_ZN7rocprim17ROCPRIM_400000_NS6detail17trampoline_kernelINS0_14default_configENS1_38merge_sort_block_merge_config_selectorIiNS0_10empty_typeEEEZZNS1_27merge_sort_block_merge_implIS3_N6thrust23THRUST_200600_302600_NS6detail15normal_iteratorINS9_10device_ptrIiEEEEPS5_jNS1_19radix_merge_compareILb0ELb0EiNS0_19identity_decomposerEEEEE10hipError_tT0_T1_T2_jT3_P12ihipStream_tbPNSt15iterator_traitsISK_E10value_typeEPNSQ_ISL_E10value_typeEPSM_NS1_7vsmem_tEENKUlT_SK_SL_SM_E_clISE_PiSF_SF_EESJ_SZ_SK_SL_SM_EUlSZ_E0_NS1_11comp_targetILNS1_3genE3ELNS1_11target_archE908ELNS1_3gpuE7ELNS1_3repE0EEENS1_38merge_mergepath_config_static_selectorELNS0_4arch9wavefront6targetE1EEEvSL_,comdat
	.protected	_ZN7rocprim17ROCPRIM_400000_NS6detail17trampoline_kernelINS0_14default_configENS1_38merge_sort_block_merge_config_selectorIiNS0_10empty_typeEEEZZNS1_27merge_sort_block_merge_implIS3_N6thrust23THRUST_200600_302600_NS6detail15normal_iteratorINS9_10device_ptrIiEEEEPS5_jNS1_19radix_merge_compareILb0ELb0EiNS0_19identity_decomposerEEEEE10hipError_tT0_T1_T2_jT3_P12ihipStream_tbPNSt15iterator_traitsISK_E10value_typeEPNSQ_ISL_E10value_typeEPSM_NS1_7vsmem_tEENKUlT_SK_SL_SM_E_clISE_PiSF_SF_EESJ_SZ_SK_SL_SM_EUlSZ_E0_NS1_11comp_targetILNS1_3genE3ELNS1_11target_archE908ELNS1_3gpuE7ELNS1_3repE0EEENS1_38merge_mergepath_config_static_selectorELNS0_4arch9wavefront6targetE1EEEvSL_ ; -- Begin function _ZN7rocprim17ROCPRIM_400000_NS6detail17trampoline_kernelINS0_14default_configENS1_38merge_sort_block_merge_config_selectorIiNS0_10empty_typeEEEZZNS1_27merge_sort_block_merge_implIS3_N6thrust23THRUST_200600_302600_NS6detail15normal_iteratorINS9_10device_ptrIiEEEEPS5_jNS1_19radix_merge_compareILb0ELb0EiNS0_19identity_decomposerEEEEE10hipError_tT0_T1_T2_jT3_P12ihipStream_tbPNSt15iterator_traitsISK_E10value_typeEPNSQ_ISL_E10value_typeEPSM_NS1_7vsmem_tEENKUlT_SK_SL_SM_E_clISE_PiSF_SF_EESJ_SZ_SK_SL_SM_EUlSZ_E0_NS1_11comp_targetILNS1_3genE3ELNS1_11target_archE908ELNS1_3gpuE7ELNS1_3repE0EEENS1_38merge_mergepath_config_static_selectorELNS0_4arch9wavefront6targetE1EEEvSL_
	.globl	_ZN7rocprim17ROCPRIM_400000_NS6detail17trampoline_kernelINS0_14default_configENS1_38merge_sort_block_merge_config_selectorIiNS0_10empty_typeEEEZZNS1_27merge_sort_block_merge_implIS3_N6thrust23THRUST_200600_302600_NS6detail15normal_iteratorINS9_10device_ptrIiEEEEPS5_jNS1_19radix_merge_compareILb0ELb0EiNS0_19identity_decomposerEEEEE10hipError_tT0_T1_T2_jT3_P12ihipStream_tbPNSt15iterator_traitsISK_E10value_typeEPNSQ_ISL_E10value_typeEPSM_NS1_7vsmem_tEENKUlT_SK_SL_SM_E_clISE_PiSF_SF_EESJ_SZ_SK_SL_SM_EUlSZ_E0_NS1_11comp_targetILNS1_3genE3ELNS1_11target_archE908ELNS1_3gpuE7ELNS1_3repE0EEENS1_38merge_mergepath_config_static_selectorELNS0_4arch9wavefront6targetE1EEEvSL_
	.p2align	8
	.type	_ZN7rocprim17ROCPRIM_400000_NS6detail17trampoline_kernelINS0_14default_configENS1_38merge_sort_block_merge_config_selectorIiNS0_10empty_typeEEEZZNS1_27merge_sort_block_merge_implIS3_N6thrust23THRUST_200600_302600_NS6detail15normal_iteratorINS9_10device_ptrIiEEEEPS5_jNS1_19radix_merge_compareILb0ELb0EiNS0_19identity_decomposerEEEEE10hipError_tT0_T1_T2_jT3_P12ihipStream_tbPNSt15iterator_traitsISK_E10value_typeEPNSQ_ISL_E10value_typeEPSM_NS1_7vsmem_tEENKUlT_SK_SL_SM_E_clISE_PiSF_SF_EESJ_SZ_SK_SL_SM_EUlSZ_E0_NS1_11comp_targetILNS1_3genE3ELNS1_11target_archE908ELNS1_3gpuE7ELNS1_3repE0EEENS1_38merge_mergepath_config_static_selectorELNS0_4arch9wavefront6targetE1EEEvSL_,@function
_ZN7rocprim17ROCPRIM_400000_NS6detail17trampoline_kernelINS0_14default_configENS1_38merge_sort_block_merge_config_selectorIiNS0_10empty_typeEEEZZNS1_27merge_sort_block_merge_implIS3_N6thrust23THRUST_200600_302600_NS6detail15normal_iteratorINS9_10device_ptrIiEEEEPS5_jNS1_19radix_merge_compareILb0ELb0EiNS0_19identity_decomposerEEEEE10hipError_tT0_T1_T2_jT3_P12ihipStream_tbPNSt15iterator_traitsISK_E10value_typeEPNSQ_ISL_E10value_typeEPSM_NS1_7vsmem_tEENKUlT_SK_SL_SM_E_clISE_PiSF_SF_EESJ_SZ_SK_SL_SM_EUlSZ_E0_NS1_11comp_targetILNS1_3genE3ELNS1_11target_archE908ELNS1_3gpuE7ELNS1_3repE0EEENS1_38merge_mergepath_config_static_selectorELNS0_4arch9wavefront6targetE1EEEvSL_: ; @_ZN7rocprim17ROCPRIM_400000_NS6detail17trampoline_kernelINS0_14default_configENS1_38merge_sort_block_merge_config_selectorIiNS0_10empty_typeEEEZZNS1_27merge_sort_block_merge_implIS3_N6thrust23THRUST_200600_302600_NS6detail15normal_iteratorINS9_10device_ptrIiEEEEPS5_jNS1_19radix_merge_compareILb0ELb0EiNS0_19identity_decomposerEEEEE10hipError_tT0_T1_T2_jT3_P12ihipStream_tbPNSt15iterator_traitsISK_E10value_typeEPNSQ_ISL_E10value_typeEPSM_NS1_7vsmem_tEENKUlT_SK_SL_SM_E_clISE_PiSF_SF_EESJ_SZ_SK_SL_SM_EUlSZ_E0_NS1_11comp_targetILNS1_3genE3ELNS1_11target_archE908ELNS1_3gpuE7ELNS1_3repE0EEENS1_38merge_mergepath_config_static_selectorELNS0_4arch9wavefront6targetE1EEEvSL_
; %bb.0:
	.section	.rodata,"a",@progbits
	.p2align	6, 0x0
	.amdhsa_kernel _ZN7rocprim17ROCPRIM_400000_NS6detail17trampoline_kernelINS0_14default_configENS1_38merge_sort_block_merge_config_selectorIiNS0_10empty_typeEEEZZNS1_27merge_sort_block_merge_implIS3_N6thrust23THRUST_200600_302600_NS6detail15normal_iteratorINS9_10device_ptrIiEEEEPS5_jNS1_19radix_merge_compareILb0ELb0EiNS0_19identity_decomposerEEEEE10hipError_tT0_T1_T2_jT3_P12ihipStream_tbPNSt15iterator_traitsISK_E10value_typeEPNSQ_ISL_E10value_typeEPSM_NS1_7vsmem_tEENKUlT_SK_SL_SM_E_clISE_PiSF_SF_EESJ_SZ_SK_SL_SM_EUlSZ_E0_NS1_11comp_targetILNS1_3genE3ELNS1_11target_archE908ELNS1_3gpuE7ELNS1_3repE0EEENS1_38merge_mergepath_config_static_selectorELNS0_4arch9wavefront6targetE1EEEvSL_
		.amdhsa_group_segment_fixed_size 0
		.amdhsa_private_segment_fixed_size 0
		.amdhsa_kernarg_size 64
		.amdhsa_user_sgpr_count 2
		.amdhsa_user_sgpr_dispatch_ptr 0
		.amdhsa_user_sgpr_queue_ptr 0
		.amdhsa_user_sgpr_kernarg_segment_ptr 1
		.amdhsa_user_sgpr_dispatch_id 0
		.amdhsa_user_sgpr_kernarg_preload_length 0
		.amdhsa_user_sgpr_kernarg_preload_offset 0
		.amdhsa_user_sgpr_private_segment_size 0
		.amdhsa_uses_dynamic_stack 0
		.amdhsa_enable_private_segment 0
		.amdhsa_system_sgpr_workgroup_id_x 1
		.amdhsa_system_sgpr_workgroup_id_y 0
		.amdhsa_system_sgpr_workgroup_id_z 0
		.amdhsa_system_sgpr_workgroup_info 0
		.amdhsa_system_vgpr_workitem_id 0
		.amdhsa_next_free_vgpr 1
		.amdhsa_next_free_sgpr 0
		.amdhsa_accum_offset 4
		.amdhsa_reserve_vcc 0
		.amdhsa_float_round_mode_32 0
		.amdhsa_float_round_mode_16_64 0
		.amdhsa_float_denorm_mode_32 3
		.amdhsa_float_denorm_mode_16_64 3
		.amdhsa_dx10_clamp 1
		.amdhsa_ieee_mode 1
		.amdhsa_fp16_overflow 0
		.amdhsa_tg_split 0
		.amdhsa_exception_fp_ieee_invalid_op 0
		.amdhsa_exception_fp_denorm_src 0
		.amdhsa_exception_fp_ieee_div_zero 0
		.amdhsa_exception_fp_ieee_overflow 0
		.amdhsa_exception_fp_ieee_underflow 0
		.amdhsa_exception_fp_ieee_inexact 0
		.amdhsa_exception_int_div_zero 0
	.end_amdhsa_kernel
	.section	.text._ZN7rocprim17ROCPRIM_400000_NS6detail17trampoline_kernelINS0_14default_configENS1_38merge_sort_block_merge_config_selectorIiNS0_10empty_typeEEEZZNS1_27merge_sort_block_merge_implIS3_N6thrust23THRUST_200600_302600_NS6detail15normal_iteratorINS9_10device_ptrIiEEEEPS5_jNS1_19radix_merge_compareILb0ELb0EiNS0_19identity_decomposerEEEEE10hipError_tT0_T1_T2_jT3_P12ihipStream_tbPNSt15iterator_traitsISK_E10value_typeEPNSQ_ISL_E10value_typeEPSM_NS1_7vsmem_tEENKUlT_SK_SL_SM_E_clISE_PiSF_SF_EESJ_SZ_SK_SL_SM_EUlSZ_E0_NS1_11comp_targetILNS1_3genE3ELNS1_11target_archE908ELNS1_3gpuE7ELNS1_3repE0EEENS1_38merge_mergepath_config_static_selectorELNS0_4arch9wavefront6targetE1EEEvSL_,"axG",@progbits,_ZN7rocprim17ROCPRIM_400000_NS6detail17trampoline_kernelINS0_14default_configENS1_38merge_sort_block_merge_config_selectorIiNS0_10empty_typeEEEZZNS1_27merge_sort_block_merge_implIS3_N6thrust23THRUST_200600_302600_NS6detail15normal_iteratorINS9_10device_ptrIiEEEEPS5_jNS1_19radix_merge_compareILb0ELb0EiNS0_19identity_decomposerEEEEE10hipError_tT0_T1_T2_jT3_P12ihipStream_tbPNSt15iterator_traitsISK_E10value_typeEPNSQ_ISL_E10value_typeEPSM_NS1_7vsmem_tEENKUlT_SK_SL_SM_E_clISE_PiSF_SF_EESJ_SZ_SK_SL_SM_EUlSZ_E0_NS1_11comp_targetILNS1_3genE3ELNS1_11target_archE908ELNS1_3gpuE7ELNS1_3repE0EEENS1_38merge_mergepath_config_static_selectorELNS0_4arch9wavefront6targetE1EEEvSL_,comdat
.Lfunc_end1650:
	.size	_ZN7rocprim17ROCPRIM_400000_NS6detail17trampoline_kernelINS0_14default_configENS1_38merge_sort_block_merge_config_selectorIiNS0_10empty_typeEEEZZNS1_27merge_sort_block_merge_implIS3_N6thrust23THRUST_200600_302600_NS6detail15normal_iteratorINS9_10device_ptrIiEEEEPS5_jNS1_19radix_merge_compareILb0ELb0EiNS0_19identity_decomposerEEEEE10hipError_tT0_T1_T2_jT3_P12ihipStream_tbPNSt15iterator_traitsISK_E10value_typeEPNSQ_ISL_E10value_typeEPSM_NS1_7vsmem_tEENKUlT_SK_SL_SM_E_clISE_PiSF_SF_EESJ_SZ_SK_SL_SM_EUlSZ_E0_NS1_11comp_targetILNS1_3genE3ELNS1_11target_archE908ELNS1_3gpuE7ELNS1_3repE0EEENS1_38merge_mergepath_config_static_selectorELNS0_4arch9wavefront6targetE1EEEvSL_, .Lfunc_end1650-_ZN7rocprim17ROCPRIM_400000_NS6detail17trampoline_kernelINS0_14default_configENS1_38merge_sort_block_merge_config_selectorIiNS0_10empty_typeEEEZZNS1_27merge_sort_block_merge_implIS3_N6thrust23THRUST_200600_302600_NS6detail15normal_iteratorINS9_10device_ptrIiEEEEPS5_jNS1_19radix_merge_compareILb0ELb0EiNS0_19identity_decomposerEEEEE10hipError_tT0_T1_T2_jT3_P12ihipStream_tbPNSt15iterator_traitsISK_E10value_typeEPNSQ_ISL_E10value_typeEPSM_NS1_7vsmem_tEENKUlT_SK_SL_SM_E_clISE_PiSF_SF_EESJ_SZ_SK_SL_SM_EUlSZ_E0_NS1_11comp_targetILNS1_3genE3ELNS1_11target_archE908ELNS1_3gpuE7ELNS1_3repE0EEENS1_38merge_mergepath_config_static_selectorELNS0_4arch9wavefront6targetE1EEEvSL_
                                        ; -- End function
	.section	.AMDGPU.csdata,"",@progbits
; Kernel info:
; codeLenInByte = 0
; NumSgprs: 6
; NumVgprs: 0
; NumAgprs: 0
; TotalNumVgprs: 0
; ScratchSize: 0
; MemoryBound: 0
; FloatMode: 240
; IeeeMode: 1
; LDSByteSize: 0 bytes/workgroup (compile time only)
; SGPRBlocks: 0
; VGPRBlocks: 0
; NumSGPRsForWavesPerEU: 6
; NumVGPRsForWavesPerEU: 1
; AccumOffset: 4
; Occupancy: 8
; WaveLimiterHint : 0
; COMPUTE_PGM_RSRC2:SCRATCH_EN: 0
; COMPUTE_PGM_RSRC2:USER_SGPR: 2
; COMPUTE_PGM_RSRC2:TRAP_HANDLER: 0
; COMPUTE_PGM_RSRC2:TGID_X_EN: 1
; COMPUTE_PGM_RSRC2:TGID_Y_EN: 0
; COMPUTE_PGM_RSRC2:TGID_Z_EN: 0
; COMPUTE_PGM_RSRC2:TIDIG_COMP_CNT: 0
; COMPUTE_PGM_RSRC3_GFX90A:ACCUM_OFFSET: 0
; COMPUTE_PGM_RSRC3_GFX90A:TG_SPLIT: 0
	.section	.text._ZN7rocprim17ROCPRIM_400000_NS6detail17trampoline_kernelINS0_14default_configENS1_38merge_sort_block_merge_config_selectorIiNS0_10empty_typeEEEZZNS1_27merge_sort_block_merge_implIS3_N6thrust23THRUST_200600_302600_NS6detail15normal_iteratorINS9_10device_ptrIiEEEEPS5_jNS1_19radix_merge_compareILb0ELb0EiNS0_19identity_decomposerEEEEE10hipError_tT0_T1_T2_jT3_P12ihipStream_tbPNSt15iterator_traitsISK_E10value_typeEPNSQ_ISL_E10value_typeEPSM_NS1_7vsmem_tEENKUlT_SK_SL_SM_E_clISE_PiSF_SF_EESJ_SZ_SK_SL_SM_EUlSZ_E0_NS1_11comp_targetILNS1_3genE2ELNS1_11target_archE906ELNS1_3gpuE6ELNS1_3repE0EEENS1_38merge_mergepath_config_static_selectorELNS0_4arch9wavefront6targetE1EEEvSL_,"axG",@progbits,_ZN7rocprim17ROCPRIM_400000_NS6detail17trampoline_kernelINS0_14default_configENS1_38merge_sort_block_merge_config_selectorIiNS0_10empty_typeEEEZZNS1_27merge_sort_block_merge_implIS3_N6thrust23THRUST_200600_302600_NS6detail15normal_iteratorINS9_10device_ptrIiEEEEPS5_jNS1_19radix_merge_compareILb0ELb0EiNS0_19identity_decomposerEEEEE10hipError_tT0_T1_T2_jT3_P12ihipStream_tbPNSt15iterator_traitsISK_E10value_typeEPNSQ_ISL_E10value_typeEPSM_NS1_7vsmem_tEENKUlT_SK_SL_SM_E_clISE_PiSF_SF_EESJ_SZ_SK_SL_SM_EUlSZ_E0_NS1_11comp_targetILNS1_3genE2ELNS1_11target_archE906ELNS1_3gpuE6ELNS1_3repE0EEENS1_38merge_mergepath_config_static_selectorELNS0_4arch9wavefront6targetE1EEEvSL_,comdat
	.protected	_ZN7rocprim17ROCPRIM_400000_NS6detail17trampoline_kernelINS0_14default_configENS1_38merge_sort_block_merge_config_selectorIiNS0_10empty_typeEEEZZNS1_27merge_sort_block_merge_implIS3_N6thrust23THRUST_200600_302600_NS6detail15normal_iteratorINS9_10device_ptrIiEEEEPS5_jNS1_19radix_merge_compareILb0ELb0EiNS0_19identity_decomposerEEEEE10hipError_tT0_T1_T2_jT3_P12ihipStream_tbPNSt15iterator_traitsISK_E10value_typeEPNSQ_ISL_E10value_typeEPSM_NS1_7vsmem_tEENKUlT_SK_SL_SM_E_clISE_PiSF_SF_EESJ_SZ_SK_SL_SM_EUlSZ_E0_NS1_11comp_targetILNS1_3genE2ELNS1_11target_archE906ELNS1_3gpuE6ELNS1_3repE0EEENS1_38merge_mergepath_config_static_selectorELNS0_4arch9wavefront6targetE1EEEvSL_ ; -- Begin function _ZN7rocprim17ROCPRIM_400000_NS6detail17trampoline_kernelINS0_14default_configENS1_38merge_sort_block_merge_config_selectorIiNS0_10empty_typeEEEZZNS1_27merge_sort_block_merge_implIS3_N6thrust23THRUST_200600_302600_NS6detail15normal_iteratorINS9_10device_ptrIiEEEEPS5_jNS1_19radix_merge_compareILb0ELb0EiNS0_19identity_decomposerEEEEE10hipError_tT0_T1_T2_jT3_P12ihipStream_tbPNSt15iterator_traitsISK_E10value_typeEPNSQ_ISL_E10value_typeEPSM_NS1_7vsmem_tEENKUlT_SK_SL_SM_E_clISE_PiSF_SF_EESJ_SZ_SK_SL_SM_EUlSZ_E0_NS1_11comp_targetILNS1_3genE2ELNS1_11target_archE906ELNS1_3gpuE6ELNS1_3repE0EEENS1_38merge_mergepath_config_static_selectorELNS0_4arch9wavefront6targetE1EEEvSL_
	.globl	_ZN7rocprim17ROCPRIM_400000_NS6detail17trampoline_kernelINS0_14default_configENS1_38merge_sort_block_merge_config_selectorIiNS0_10empty_typeEEEZZNS1_27merge_sort_block_merge_implIS3_N6thrust23THRUST_200600_302600_NS6detail15normal_iteratorINS9_10device_ptrIiEEEEPS5_jNS1_19radix_merge_compareILb0ELb0EiNS0_19identity_decomposerEEEEE10hipError_tT0_T1_T2_jT3_P12ihipStream_tbPNSt15iterator_traitsISK_E10value_typeEPNSQ_ISL_E10value_typeEPSM_NS1_7vsmem_tEENKUlT_SK_SL_SM_E_clISE_PiSF_SF_EESJ_SZ_SK_SL_SM_EUlSZ_E0_NS1_11comp_targetILNS1_3genE2ELNS1_11target_archE906ELNS1_3gpuE6ELNS1_3repE0EEENS1_38merge_mergepath_config_static_selectorELNS0_4arch9wavefront6targetE1EEEvSL_
	.p2align	8
	.type	_ZN7rocprim17ROCPRIM_400000_NS6detail17trampoline_kernelINS0_14default_configENS1_38merge_sort_block_merge_config_selectorIiNS0_10empty_typeEEEZZNS1_27merge_sort_block_merge_implIS3_N6thrust23THRUST_200600_302600_NS6detail15normal_iteratorINS9_10device_ptrIiEEEEPS5_jNS1_19radix_merge_compareILb0ELb0EiNS0_19identity_decomposerEEEEE10hipError_tT0_T1_T2_jT3_P12ihipStream_tbPNSt15iterator_traitsISK_E10value_typeEPNSQ_ISL_E10value_typeEPSM_NS1_7vsmem_tEENKUlT_SK_SL_SM_E_clISE_PiSF_SF_EESJ_SZ_SK_SL_SM_EUlSZ_E0_NS1_11comp_targetILNS1_3genE2ELNS1_11target_archE906ELNS1_3gpuE6ELNS1_3repE0EEENS1_38merge_mergepath_config_static_selectorELNS0_4arch9wavefront6targetE1EEEvSL_,@function
_ZN7rocprim17ROCPRIM_400000_NS6detail17trampoline_kernelINS0_14default_configENS1_38merge_sort_block_merge_config_selectorIiNS0_10empty_typeEEEZZNS1_27merge_sort_block_merge_implIS3_N6thrust23THRUST_200600_302600_NS6detail15normal_iteratorINS9_10device_ptrIiEEEEPS5_jNS1_19radix_merge_compareILb0ELb0EiNS0_19identity_decomposerEEEEE10hipError_tT0_T1_T2_jT3_P12ihipStream_tbPNSt15iterator_traitsISK_E10value_typeEPNSQ_ISL_E10value_typeEPSM_NS1_7vsmem_tEENKUlT_SK_SL_SM_E_clISE_PiSF_SF_EESJ_SZ_SK_SL_SM_EUlSZ_E0_NS1_11comp_targetILNS1_3genE2ELNS1_11target_archE906ELNS1_3gpuE6ELNS1_3repE0EEENS1_38merge_mergepath_config_static_selectorELNS0_4arch9wavefront6targetE1EEEvSL_: ; @_ZN7rocprim17ROCPRIM_400000_NS6detail17trampoline_kernelINS0_14default_configENS1_38merge_sort_block_merge_config_selectorIiNS0_10empty_typeEEEZZNS1_27merge_sort_block_merge_implIS3_N6thrust23THRUST_200600_302600_NS6detail15normal_iteratorINS9_10device_ptrIiEEEEPS5_jNS1_19radix_merge_compareILb0ELb0EiNS0_19identity_decomposerEEEEE10hipError_tT0_T1_T2_jT3_P12ihipStream_tbPNSt15iterator_traitsISK_E10value_typeEPNSQ_ISL_E10value_typeEPSM_NS1_7vsmem_tEENKUlT_SK_SL_SM_E_clISE_PiSF_SF_EESJ_SZ_SK_SL_SM_EUlSZ_E0_NS1_11comp_targetILNS1_3genE2ELNS1_11target_archE906ELNS1_3gpuE6ELNS1_3repE0EEENS1_38merge_mergepath_config_static_selectorELNS0_4arch9wavefront6targetE1EEEvSL_
; %bb.0:
	.section	.rodata,"a",@progbits
	.p2align	6, 0x0
	.amdhsa_kernel _ZN7rocprim17ROCPRIM_400000_NS6detail17trampoline_kernelINS0_14default_configENS1_38merge_sort_block_merge_config_selectorIiNS0_10empty_typeEEEZZNS1_27merge_sort_block_merge_implIS3_N6thrust23THRUST_200600_302600_NS6detail15normal_iteratorINS9_10device_ptrIiEEEEPS5_jNS1_19radix_merge_compareILb0ELb0EiNS0_19identity_decomposerEEEEE10hipError_tT0_T1_T2_jT3_P12ihipStream_tbPNSt15iterator_traitsISK_E10value_typeEPNSQ_ISL_E10value_typeEPSM_NS1_7vsmem_tEENKUlT_SK_SL_SM_E_clISE_PiSF_SF_EESJ_SZ_SK_SL_SM_EUlSZ_E0_NS1_11comp_targetILNS1_3genE2ELNS1_11target_archE906ELNS1_3gpuE6ELNS1_3repE0EEENS1_38merge_mergepath_config_static_selectorELNS0_4arch9wavefront6targetE1EEEvSL_
		.amdhsa_group_segment_fixed_size 0
		.amdhsa_private_segment_fixed_size 0
		.amdhsa_kernarg_size 64
		.amdhsa_user_sgpr_count 2
		.amdhsa_user_sgpr_dispatch_ptr 0
		.amdhsa_user_sgpr_queue_ptr 0
		.amdhsa_user_sgpr_kernarg_segment_ptr 1
		.amdhsa_user_sgpr_dispatch_id 0
		.amdhsa_user_sgpr_kernarg_preload_length 0
		.amdhsa_user_sgpr_kernarg_preload_offset 0
		.amdhsa_user_sgpr_private_segment_size 0
		.amdhsa_uses_dynamic_stack 0
		.amdhsa_enable_private_segment 0
		.amdhsa_system_sgpr_workgroup_id_x 1
		.amdhsa_system_sgpr_workgroup_id_y 0
		.amdhsa_system_sgpr_workgroup_id_z 0
		.amdhsa_system_sgpr_workgroup_info 0
		.amdhsa_system_vgpr_workitem_id 0
		.amdhsa_next_free_vgpr 1
		.amdhsa_next_free_sgpr 0
		.amdhsa_accum_offset 4
		.amdhsa_reserve_vcc 0
		.amdhsa_float_round_mode_32 0
		.amdhsa_float_round_mode_16_64 0
		.amdhsa_float_denorm_mode_32 3
		.amdhsa_float_denorm_mode_16_64 3
		.amdhsa_dx10_clamp 1
		.amdhsa_ieee_mode 1
		.amdhsa_fp16_overflow 0
		.amdhsa_tg_split 0
		.amdhsa_exception_fp_ieee_invalid_op 0
		.amdhsa_exception_fp_denorm_src 0
		.amdhsa_exception_fp_ieee_div_zero 0
		.amdhsa_exception_fp_ieee_overflow 0
		.amdhsa_exception_fp_ieee_underflow 0
		.amdhsa_exception_fp_ieee_inexact 0
		.amdhsa_exception_int_div_zero 0
	.end_amdhsa_kernel
	.section	.text._ZN7rocprim17ROCPRIM_400000_NS6detail17trampoline_kernelINS0_14default_configENS1_38merge_sort_block_merge_config_selectorIiNS0_10empty_typeEEEZZNS1_27merge_sort_block_merge_implIS3_N6thrust23THRUST_200600_302600_NS6detail15normal_iteratorINS9_10device_ptrIiEEEEPS5_jNS1_19radix_merge_compareILb0ELb0EiNS0_19identity_decomposerEEEEE10hipError_tT0_T1_T2_jT3_P12ihipStream_tbPNSt15iterator_traitsISK_E10value_typeEPNSQ_ISL_E10value_typeEPSM_NS1_7vsmem_tEENKUlT_SK_SL_SM_E_clISE_PiSF_SF_EESJ_SZ_SK_SL_SM_EUlSZ_E0_NS1_11comp_targetILNS1_3genE2ELNS1_11target_archE906ELNS1_3gpuE6ELNS1_3repE0EEENS1_38merge_mergepath_config_static_selectorELNS0_4arch9wavefront6targetE1EEEvSL_,"axG",@progbits,_ZN7rocprim17ROCPRIM_400000_NS6detail17trampoline_kernelINS0_14default_configENS1_38merge_sort_block_merge_config_selectorIiNS0_10empty_typeEEEZZNS1_27merge_sort_block_merge_implIS3_N6thrust23THRUST_200600_302600_NS6detail15normal_iteratorINS9_10device_ptrIiEEEEPS5_jNS1_19radix_merge_compareILb0ELb0EiNS0_19identity_decomposerEEEEE10hipError_tT0_T1_T2_jT3_P12ihipStream_tbPNSt15iterator_traitsISK_E10value_typeEPNSQ_ISL_E10value_typeEPSM_NS1_7vsmem_tEENKUlT_SK_SL_SM_E_clISE_PiSF_SF_EESJ_SZ_SK_SL_SM_EUlSZ_E0_NS1_11comp_targetILNS1_3genE2ELNS1_11target_archE906ELNS1_3gpuE6ELNS1_3repE0EEENS1_38merge_mergepath_config_static_selectorELNS0_4arch9wavefront6targetE1EEEvSL_,comdat
.Lfunc_end1651:
	.size	_ZN7rocprim17ROCPRIM_400000_NS6detail17trampoline_kernelINS0_14default_configENS1_38merge_sort_block_merge_config_selectorIiNS0_10empty_typeEEEZZNS1_27merge_sort_block_merge_implIS3_N6thrust23THRUST_200600_302600_NS6detail15normal_iteratorINS9_10device_ptrIiEEEEPS5_jNS1_19radix_merge_compareILb0ELb0EiNS0_19identity_decomposerEEEEE10hipError_tT0_T1_T2_jT3_P12ihipStream_tbPNSt15iterator_traitsISK_E10value_typeEPNSQ_ISL_E10value_typeEPSM_NS1_7vsmem_tEENKUlT_SK_SL_SM_E_clISE_PiSF_SF_EESJ_SZ_SK_SL_SM_EUlSZ_E0_NS1_11comp_targetILNS1_3genE2ELNS1_11target_archE906ELNS1_3gpuE6ELNS1_3repE0EEENS1_38merge_mergepath_config_static_selectorELNS0_4arch9wavefront6targetE1EEEvSL_, .Lfunc_end1651-_ZN7rocprim17ROCPRIM_400000_NS6detail17trampoline_kernelINS0_14default_configENS1_38merge_sort_block_merge_config_selectorIiNS0_10empty_typeEEEZZNS1_27merge_sort_block_merge_implIS3_N6thrust23THRUST_200600_302600_NS6detail15normal_iteratorINS9_10device_ptrIiEEEEPS5_jNS1_19radix_merge_compareILb0ELb0EiNS0_19identity_decomposerEEEEE10hipError_tT0_T1_T2_jT3_P12ihipStream_tbPNSt15iterator_traitsISK_E10value_typeEPNSQ_ISL_E10value_typeEPSM_NS1_7vsmem_tEENKUlT_SK_SL_SM_E_clISE_PiSF_SF_EESJ_SZ_SK_SL_SM_EUlSZ_E0_NS1_11comp_targetILNS1_3genE2ELNS1_11target_archE906ELNS1_3gpuE6ELNS1_3repE0EEENS1_38merge_mergepath_config_static_selectorELNS0_4arch9wavefront6targetE1EEEvSL_
                                        ; -- End function
	.section	.AMDGPU.csdata,"",@progbits
; Kernel info:
; codeLenInByte = 0
; NumSgprs: 6
; NumVgprs: 0
; NumAgprs: 0
; TotalNumVgprs: 0
; ScratchSize: 0
; MemoryBound: 0
; FloatMode: 240
; IeeeMode: 1
; LDSByteSize: 0 bytes/workgroup (compile time only)
; SGPRBlocks: 0
; VGPRBlocks: 0
; NumSGPRsForWavesPerEU: 6
; NumVGPRsForWavesPerEU: 1
; AccumOffset: 4
; Occupancy: 8
; WaveLimiterHint : 0
; COMPUTE_PGM_RSRC2:SCRATCH_EN: 0
; COMPUTE_PGM_RSRC2:USER_SGPR: 2
; COMPUTE_PGM_RSRC2:TRAP_HANDLER: 0
; COMPUTE_PGM_RSRC2:TGID_X_EN: 1
; COMPUTE_PGM_RSRC2:TGID_Y_EN: 0
; COMPUTE_PGM_RSRC2:TGID_Z_EN: 0
; COMPUTE_PGM_RSRC2:TIDIG_COMP_CNT: 0
; COMPUTE_PGM_RSRC3_GFX90A:ACCUM_OFFSET: 0
; COMPUTE_PGM_RSRC3_GFX90A:TG_SPLIT: 0
	.section	.text._ZN7rocprim17ROCPRIM_400000_NS6detail17trampoline_kernelINS0_14default_configENS1_38merge_sort_block_merge_config_selectorIiNS0_10empty_typeEEEZZNS1_27merge_sort_block_merge_implIS3_N6thrust23THRUST_200600_302600_NS6detail15normal_iteratorINS9_10device_ptrIiEEEEPS5_jNS1_19radix_merge_compareILb0ELb0EiNS0_19identity_decomposerEEEEE10hipError_tT0_T1_T2_jT3_P12ihipStream_tbPNSt15iterator_traitsISK_E10value_typeEPNSQ_ISL_E10value_typeEPSM_NS1_7vsmem_tEENKUlT_SK_SL_SM_E_clISE_PiSF_SF_EESJ_SZ_SK_SL_SM_EUlSZ_E0_NS1_11comp_targetILNS1_3genE9ELNS1_11target_archE1100ELNS1_3gpuE3ELNS1_3repE0EEENS1_38merge_mergepath_config_static_selectorELNS0_4arch9wavefront6targetE1EEEvSL_,"axG",@progbits,_ZN7rocprim17ROCPRIM_400000_NS6detail17trampoline_kernelINS0_14default_configENS1_38merge_sort_block_merge_config_selectorIiNS0_10empty_typeEEEZZNS1_27merge_sort_block_merge_implIS3_N6thrust23THRUST_200600_302600_NS6detail15normal_iteratorINS9_10device_ptrIiEEEEPS5_jNS1_19radix_merge_compareILb0ELb0EiNS0_19identity_decomposerEEEEE10hipError_tT0_T1_T2_jT3_P12ihipStream_tbPNSt15iterator_traitsISK_E10value_typeEPNSQ_ISL_E10value_typeEPSM_NS1_7vsmem_tEENKUlT_SK_SL_SM_E_clISE_PiSF_SF_EESJ_SZ_SK_SL_SM_EUlSZ_E0_NS1_11comp_targetILNS1_3genE9ELNS1_11target_archE1100ELNS1_3gpuE3ELNS1_3repE0EEENS1_38merge_mergepath_config_static_selectorELNS0_4arch9wavefront6targetE1EEEvSL_,comdat
	.protected	_ZN7rocprim17ROCPRIM_400000_NS6detail17trampoline_kernelINS0_14default_configENS1_38merge_sort_block_merge_config_selectorIiNS0_10empty_typeEEEZZNS1_27merge_sort_block_merge_implIS3_N6thrust23THRUST_200600_302600_NS6detail15normal_iteratorINS9_10device_ptrIiEEEEPS5_jNS1_19radix_merge_compareILb0ELb0EiNS0_19identity_decomposerEEEEE10hipError_tT0_T1_T2_jT3_P12ihipStream_tbPNSt15iterator_traitsISK_E10value_typeEPNSQ_ISL_E10value_typeEPSM_NS1_7vsmem_tEENKUlT_SK_SL_SM_E_clISE_PiSF_SF_EESJ_SZ_SK_SL_SM_EUlSZ_E0_NS1_11comp_targetILNS1_3genE9ELNS1_11target_archE1100ELNS1_3gpuE3ELNS1_3repE0EEENS1_38merge_mergepath_config_static_selectorELNS0_4arch9wavefront6targetE1EEEvSL_ ; -- Begin function _ZN7rocprim17ROCPRIM_400000_NS6detail17trampoline_kernelINS0_14default_configENS1_38merge_sort_block_merge_config_selectorIiNS0_10empty_typeEEEZZNS1_27merge_sort_block_merge_implIS3_N6thrust23THRUST_200600_302600_NS6detail15normal_iteratorINS9_10device_ptrIiEEEEPS5_jNS1_19radix_merge_compareILb0ELb0EiNS0_19identity_decomposerEEEEE10hipError_tT0_T1_T2_jT3_P12ihipStream_tbPNSt15iterator_traitsISK_E10value_typeEPNSQ_ISL_E10value_typeEPSM_NS1_7vsmem_tEENKUlT_SK_SL_SM_E_clISE_PiSF_SF_EESJ_SZ_SK_SL_SM_EUlSZ_E0_NS1_11comp_targetILNS1_3genE9ELNS1_11target_archE1100ELNS1_3gpuE3ELNS1_3repE0EEENS1_38merge_mergepath_config_static_selectorELNS0_4arch9wavefront6targetE1EEEvSL_
	.globl	_ZN7rocprim17ROCPRIM_400000_NS6detail17trampoline_kernelINS0_14default_configENS1_38merge_sort_block_merge_config_selectorIiNS0_10empty_typeEEEZZNS1_27merge_sort_block_merge_implIS3_N6thrust23THRUST_200600_302600_NS6detail15normal_iteratorINS9_10device_ptrIiEEEEPS5_jNS1_19radix_merge_compareILb0ELb0EiNS0_19identity_decomposerEEEEE10hipError_tT0_T1_T2_jT3_P12ihipStream_tbPNSt15iterator_traitsISK_E10value_typeEPNSQ_ISL_E10value_typeEPSM_NS1_7vsmem_tEENKUlT_SK_SL_SM_E_clISE_PiSF_SF_EESJ_SZ_SK_SL_SM_EUlSZ_E0_NS1_11comp_targetILNS1_3genE9ELNS1_11target_archE1100ELNS1_3gpuE3ELNS1_3repE0EEENS1_38merge_mergepath_config_static_selectorELNS0_4arch9wavefront6targetE1EEEvSL_
	.p2align	8
	.type	_ZN7rocprim17ROCPRIM_400000_NS6detail17trampoline_kernelINS0_14default_configENS1_38merge_sort_block_merge_config_selectorIiNS0_10empty_typeEEEZZNS1_27merge_sort_block_merge_implIS3_N6thrust23THRUST_200600_302600_NS6detail15normal_iteratorINS9_10device_ptrIiEEEEPS5_jNS1_19radix_merge_compareILb0ELb0EiNS0_19identity_decomposerEEEEE10hipError_tT0_T1_T2_jT3_P12ihipStream_tbPNSt15iterator_traitsISK_E10value_typeEPNSQ_ISL_E10value_typeEPSM_NS1_7vsmem_tEENKUlT_SK_SL_SM_E_clISE_PiSF_SF_EESJ_SZ_SK_SL_SM_EUlSZ_E0_NS1_11comp_targetILNS1_3genE9ELNS1_11target_archE1100ELNS1_3gpuE3ELNS1_3repE0EEENS1_38merge_mergepath_config_static_selectorELNS0_4arch9wavefront6targetE1EEEvSL_,@function
_ZN7rocprim17ROCPRIM_400000_NS6detail17trampoline_kernelINS0_14default_configENS1_38merge_sort_block_merge_config_selectorIiNS0_10empty_typeEEEZZNS1_27merge_sort_block_merge_implIS3_N6thrust23THRUST_200600_302600_NS6detail15normal_iteratorINS9_10device_ptrIiEEEEPS5_jNS1_19radix_merge_compareILb0ELb0EiNS0_19identity_decomposerEEEEE10hipError_tT0_T1_T2_jT3_P12ihipStream_tbPNSt15iterator_traitsISK_E10value_typeEPNSQ_ISL_E10value_typeEPSM_NS1_7vsmem_tEENKUlT_SK_SL_SM_E_clISE_PiSF_SF_EESJ_SZ_SK_SL_SM_EUlSZ_E0_NS1_11comp_targetILNS1_3genE9ELNS1_11target_archE1100ELNS1_3gpuE3ELNS1_3repE0EEENS1_38merge_mergepath_config_static_selectorELNS0_4arch9wavefront6targetE1EEEvSL_: ; @_ZN7rocprim17ROCPRIM_400000_NS6detail17trampoline_kernelINS0_14default_configENS1_38merge_sort_block_merge_config_selectorIiNS0_10empty_typeEEEZZNS1_27merge_sort_block_merge_implIS3_N6thrust23THRUST_200600_302600_NS6detail15normal_iteratorINS9_10device_ptrIiEEEEPS5_jNS1_19radix_merge_compareILb0ELb0EiNS0_19identity_decomposerEEEEE10hipError_tT0_T1_T2_jT3_P12ihipStream_tbPNSt15iterator_traitsISK_E10value_typeEPNSQ_ISL_E10value_typeEPSM_NS1_7vsmem_tEENKUlT_SK_SL_SM_E_clISE_PiSF_SF_EESJ_SZ_SK_SL_SM_EUlSZ_E0_NS1_11comp_targetILNS1_3genE9ELNS1_11target_archE1100ELNS1_3gpuE3ELNS1_3repE0EEENS1_38merge_mergepath_config_static_selectorELNS0_4arch9wavefront6targetE1EEEvSL_
; %bb.0:
	.section	.rodata,"a",@progbits
	.p2align	6, 0x0
	.amdhsa_kernel _ZN7rocprim17ROCPRIM_400000_NS6detail17trampoline_kernelINS0_14default_configENS1_38merge_sort_block_merge_config_selectorIiNS0_10empty_typeEEEZZNS1_27merge_sort_block_merge_implIS3_N6thrust23THRUST_200600_302600_NS6detail15normal_iteratorINS9_10device_ptrIiEEEEPS5_jNS1_19radix_merge_compareILb0ELb0EiNS0_19identity_decomposerEEEEE10hipError_tT0_T1_T2_jT3_P12ihipStream_tbPNSt15iterator_traitsISK_E10value_typeEPNSQ_ISL_E10value_typeEPSM_NS1_7vsmem_tEENKUlT_SK_SL_SM_E_clISE_PiSF_SF_EESJ_SZ_SK_SL_SM_EUlSZ_E0_NS1_11comp_targetILNS1_3genE9ELNS1_11target_archE1100ELNS1_3gpuE3ELNS1_3repE0EEENS1_38merge_mergepath_config_static_selectorELNS0_4arch9wavefront6targetE1EEEvSL_
		.amdhsa_group_segment_fixed_size 0
		.amdhsa_private_segment_fixed_size 0
		.amdhsa_kernarg_size 64
		.amdhsa_user_sgpr_count 2
		.amdhsa_user_sgpr_dispatch_ptr 0
		.amdhsa_user_sgpr_queue_ptr 0
		.amdhsa_user_sgpr_kernarg_segment_ptr 1
		.amdhsa_user_sgpr_dispatch_id 0
		.amdhsa_user_sgpr_kernarg_preload_length 0
		.amdhsa_user_sgpr_kernarg_preload_offset 0
		.amdhsa_user_sgpr_private_segment_size 0
		.amdhsa_uses_dynamic_stack 0
		.amdhsa_enable_private_segment 0
		.amdhsa_system_sgpr_workgroup_id_x 1
		.amdhsa_system_sgpr_workgroup_id_y 0
		.amdhsa_system_sgpr_workgroup_id_z 0
		.amdhsa_system_sgpr_workgroup_info 0
		.amdhsa_system_vgpr_workitem_id 0
		.amdhsa_next_free_vgpr 1
		.amdhsa_next_free_sgpr 0
		.amdhsa_accum_offset 4
		.amdhsa_reserve_vcc 0
		.amdhsa_float_round_mode_32 0
		.amdhsa_float_round_mode_16_64 0
		.amdhsa_float_denorm_mode_32 3
		.amdhsa_float_denorm_mode_16_64 3
		.amdhsa_dx10_clamp 1
		.amdhsa_ieee_mode 1
		.amdhsa_fp16_overflow 0
		.amdhsa_tg_split 0
		.amdhsa_exception_fp_ieee_invalid_op 0
		.amdhsa_exception_fp_denorm_src 0
		.amdhsa_exception_fp_ieee_div_zero 0
		.amdhsa_exception_fp_ieee_overflow 0
		.amdhsa_exception_fp_ieee_underflow 0
		.amdhsa_exception_fp_ieee_inexact 0
		.amdhsa_exception_int_div_zero 0
	.end_amdhsa_kernel
	.section	.text._ZN7rocprim17ROCPRIM_400000_NS6detail17trampoline_kernelINS0_14default_configENS1_38merge_sort_block_merge_config_selectorIiNS0_10empty_typeEEEZZNS1_27merge_sort_block_merge_implIS3_N6thrust23THRUST_200600_302600_NS6detail15normal_iteratorINS9_10device_ptrIiEEEEPS5_jNS1_19radix_merge_compareILb0ELb0EiNS0_19identity_decomposerEEEEE10hipError_tT0_T1_T2_jT3_P12ihipStream_tbPNSt15iterator_traitsISK_E10value_typeEPNSQ_ISL_E10value_typeEPSM_NS1_7vsmem_tEENKUlT_SK_SL_SM_E_clISE_PiSF_SF_EESJ_SZ_SK_SL_SM_EUlSZ_E0_NS1_11comp_targetILNS1_3genE9ELNS1_11target_archE1100ELNS1_3gpuE3ELNS1_3repE0EEENS1_38merge_mergepath_config_static_selectorELNS0_4arch9wavefront6targetE1EEEvSL_,"axG",@progbits,_ZN7rocprim17ROCPRIM_400000_NS6detail17trampoline_kernelINS0_14default_configENS1_38merge_sort_block_merge_config_selectorIiNS0_10empty_typeEEEZZNS1_27merge_sort_block_merge_implIS3_N6thrust23THRUST_200600_302600_NS6detail15normal_iteratorINS9_10device_ptrIiEEEEPS5_jNS1_19radix_merge_compareILb0ELb0EiNS0_19identity_decomposerEEEEE10hipError_tT0_T1_T2_jT3_P12ihipStream_tbPNSt15iterator_traitsISK_E10value_typeEPNSQ_ISL_E10value_typeEPSM_NS1_7vsmem_tEENKUlT_SK_SL_SM_E_clISE_PiSF_SF_EESJ_SZ_SK_SL_SM_EUlSZ_E0_NS1_11comp_targetILNS1_3genE9ELNS1_11target_archE1100ELNS1_3gpuE3ELNS1_3repE0EEENS1_38merge_mergepath_config_static_selectorELNS0_4arch9wavefront6targetE1EEEvSL_,comdat
.Lfunc_end1652:
	.size	_ZN7rocprim17ROCPRIM_400000_NS6detail17trampoline_kernelINS0_14default_configENS1_38merge_sort_block_merge_config_selectorIiNS0_10empty_typeEEEZZNS1_27merge_sort_block_merge_implIS3_N6thrust23THRUST_200600_302600_NS6detail15normal_iteratorINS9_10device_ptrIiEEEEPS5_jNS1_19radix_merge_compareILb0ELb0EiNS0_19identity_decomposerEEEEE10hipError_tT0_T1_T2_jT3_P12ihipStream_tbPNSt15iterator_traitsISK_E10value_typeEPNSQ_ISL_E10value_typeEPSM_NS1_7vsmem_tEENKUlT_SK_SL_SM_E_clISE_PiSF_SF_EESJ_SZ_SK_SL_SM_EUlSZ_E0_NS1_11comp_targetILNS1_3genE9ELNS1_11target_archE1100ELNS1_3gpuE3ELNS1_3repE0EEENS1_38merge_mergepath_config_static_selectorELNS0_4arch9wavefront6targetE1EEEvSL_, .Lfunc_end1652-_ZN7rocprim17ROCPRIM_400000_NS6detail17trampoline_kernelINS0_14default_configENS1_38merge_sort_block_merge_config_selectorIiNS0_10empty_typeEEEZZNS1_27merge_sort_block_merge_implIS3_N6thrust23THRUST_200600_302600_NS6detail15normal_iteratorINS9_10device_ptrIiEEEEPS5_jNS1_19radix_merge_compareILb0ELb0EiNS0_19identity_decomposerEEEEE10hipError_tT0_T1_T2_jT3_P12ihipStream_tbPNSt15iterator_traitsISK_E10value_typeEPNSQ_ISL_E10value_typeEPSM_NS1_7vsmem_tEENKUlT_SK_SL_SM_E_clISE_PiSF_SF_EESJ_SZ_SK_SL_SM_EUlSZ_E0_NS1_11comp_targetILNS1_3genE9ELNS1_11target_archE1100ELNS1_3gpuE3ELNS1_3repE0EEENS1_38merge_mergepath_config_static_selectorELNS0_4arch9wavefront6targetE1EEEvSL_
                                        ; -- End function
	.section	.AMDGPU.csdata,"",@progbits
; Kernel info:
; codeLenInByte = 0
; NumSgprs: 6
; NumVgprs: 0
; NumAgprs: 0
; TotalNumVgprs: 0
; ScratchSize: 0
; MemoryBound: 0
; FloatMode: 240
; IeeeMode: 1
; LDSByteSize: 0 bytes/workgroup (compile time only)
; SGPRBlocks: 0
; VGPRBlocks: 0
; NumSGPRsForWavesPerEU: 6
; NumVGPRsForWavesPerEU: 1
; AccumOffset: 4
; Occupancy: 8
; WaveLimiterHint : 0
; COMPUTE_PGM_RSRC2:SCRATCH_EN: 0
; COMPUTE_PGM_RSRC2:USER_SGPR: 2
; COMPUTE_PGM_RSRC2:TRAP_HANDLER: 0
; COMPUTE_PGM_RSRC2:TGID_X_EN: 1
; COMPUTE_PGM_RSRC2:TGID_Y_EN: 0
; COMPUTE_PGM_RSRC2:TGID_Z_EN: 0
; COMPUTE_PGM_RSRC2:TIDIG_COMP_CNT: 0
; COMPUTE_PGM_RSRC3_GFX90A:ACCUM_OFFSET: 0
; COMPUTE_PGM_RSRC3_GFX90A:TG_SPLIT: 0
	.section	.text._ZN7rocprim17ROCPRIM_400000_NS6detail17trampoline_kernelINS0_14default_configENS1_38merge_sort_block_merge_config_selectorIiNS0_10empty_typeEEEZZNS1_27merge_sort_block_merge_implIS3_N6thrust23THRUST_200600_302600_NS6detail15normal_iteratorINS9_10device_ptrIiEEEEPS5_jNS1_19radix_merge_compareILb0ELb0EiNS0_19identity_decomposerEEEEE10hipError_tT0_T1_T2_jT3_P12ihipStream_tbPNSt15iterator_traitsISK_E10value_typeEPNSQ_ISL_E10value_typeEPSM_NS1_7vsmem_tEENKUlT_SK_SL_SM_E_clISE_PiSF_SF_EESJ_SZ_SK_SL_SM_EUlSZ_E0_NS1_11comp_targetILNS1_3genE8ELNS1_11target_archE1030ELNS1_3gpuE2ELNS1_3repE0EEENS1_38merge_mergepath_config_static_selectorELNS0_4arch9wavefront6targetE1EEEvSL_,"axG",@progbits,_ZN7rocprim17ROCPRIM_400000_NS6detail17trampoline_kernelINS0_14default_configENS1_38merge_sort_block_merge_config_selectorIiNS0_10empty_typeEEEZZNS1_27merge_sort_block_merge_implIS3_N6thrust23THRUST_200600_302600_NS6detail15normal_iteratorINS9_10device_ptrIiEEEEPS5_jNS1_19radix_merge_compareILb0ELb0EiNS0_19identity_decomposerEEEEE10hipError_tT0_T1_T2_jT3_P12ihipStream_tbPNSt15iterator_traitsISK_E10value_typeEPNSQ_ISL_E10value_typeEPSM_NS1_7vsmem_tEENKUlT_SK_SL_SM_E_clISE_PiSF_SF_EESJ_SZ_SK_SL_SM_EUlSZ_E0_NS1_11comp_targetILNS1_3genE8ELNS1_11target_archE1030ELNS1_3gpuE2ELNS1_3repE0EEENS1_38merge_mergepath_config_static_selectorELNS0_4arch9wavefront6targetE1EEEvSL_,comdat
	.protected	_ZN7rocprim17ROCPRIM_400000_NS6detail17trampoline_kernelINS0_14default_configENS1_38merge_sort_block_merge_config_selectorIiNS0_10empty_typeEEEZZNS1_27merge_sort_block_merge_implIS3_N6thrust23THRUST_200600_302600_NS6detail15normal_iteratorINS9_10device_ptrIiEEEEPS5_jNS1_19radix_merge_compareILb0ELb0EiNS0_19identity_decomposerEEEEE10hipError_tT0_T1_T2_jT3_P12ihipStream_tbPNSt15iterator_traitsISK_E10value_typeEPNSQ_ISL_E10value_typeEPSM_NS1_7vsmem_tEENKUlT_SK_SL_SM_E_clISE_PiSF_SF_EESJ_SZ_SK_SL_SM_EUlSZ_E0_NS1_11comp_targetILNS1_3genE8ELNS1_11target_archE1030ELNS1_3gpuE2ELNS1_3repE0EEENS1_38merge_mergepath_config_static_selectorELNS0_4arch9wavefront6targetE1EEEvSL_ ; -- Begin function _ZN7rocprim17ROCPRIM_400000_NS6detail17trampoline_kernelINS0_14default_configENS1_38merge_sort_block_merge_config_selectorIiNS0_10empty_typeEEEZZNS1_27merge_sort_block_merge_implIS3_N6thrust23THRUST_200600_302600_NS6detail15normal_iteratorINS9_10device_ptrIiEEEEPS5_jNS1_19radix_merge_compareILb0ELb0EiNS0_19identity_decomposerEEEEE10hipError_tT0_T1_T2_jT3_P12ihipStream_tbPNSt15iterator_traitsISK_E10value_typeEPNSQ_ISL_E10value_typeEPSM_NS1_7vsmem_tEENKUlT_SK_SL_SM_E_clISE_PiSF_SF_EESJ_SZ_SK_SL_SM_EUlSZ_E0_NS1_11comp_targetILNS1_3genE8ELNS1_11target_archE1030ELNS1_3gpuE2ELNS1_3repE0EEENS1_38merge_mergepath_config_static_selectorELNS0_4arch9wavefront6targetE1EEEvSL_
	.globl	_ZN7rocprim17ROCPRIM_400000_NS6detail17trampoline_kernelINS0_14default_configENS1_38merge_sort_block_merge_config_selectorIiNS0_10empty_typeEEEZZNS1_27merge_sort_block_merge_implIS3_N6thrust23THRUST_200600_302600_NS6detail15normal_iteratorINS9_10device_ptrIiEEEEPS5_jNS1_19radix_merge_compareILb0ELb0EiNS0_19identity_decomposerEEEEE10hipError_tT0_T1_T2_jT3_P12ihipStream_tbPNSt15iterator_traitsISK_E10value_typeEPNSQ_ISL_E10value_typeEPSM_NS1_7vsmem_tEENKUlT_SK_SL_SM_E_clISE_PiSF_SF_EESJ_SZ_SK_SL_SM_EUlSZ_E0_NS1_11comp_targetILNS1_3genE8ELNS1_11target_archE1030ELNS1_3gpuE2ELNS1_3repE0EEENS1_38merge_mergepath_config_static_selectorELNS0_4arch9wavefront6targetE1EEEvSL_
	.p2align	8
	.type	_ZN7rocprim17ROCPRIM_400000_NS6detail17trampoline_kernelINS0_14default_configENS1_38merge_sort_block_merge_config_selectorIiNS0_10empty_typeEEEZZNS1_27merge_sort_block_merge_implIS3_N6thrust23THRUST_200600_302600_NS6detail15normal_iteratorINS9_10device_ptrIiEEEEPS5_jNS1_19radix_merge_compareILb0ELb0EiNS0_19identity_decomposerEEEEE10hipError_tT0_T1_T2_jT3_P12ihipStream_tbPNSt15iterator_traitsISK_E10value_typeEPNSQ_ISL_E10value_typeEPSM_NS1_7vsmem_tEENKUlT_SK_SL_SM_E_clISE_PiSF_SF_EESJ_SZ_SK_SL_SM_EUlSZ_E0_NS1_11comp_targetILNS1_3genE8ELNS1_11target_archE1030ELNS1_3gpuE2ELNS1_3repE0EEENS1_38merge_mergepath_config_static_selectorELNS0_4arch9wavefront6targetE1EEEvSL_,@function
_ZN7rocprim17ROCPRIM_400000_NS6detail17trampoline_kernelINS0_14default_configENS1_38merge_sort_block_merge_config_selectorIiNS0_10empty_typeEEEZZNS1_27merge_sort_block_merge_implIS3_N6thrust23THRUST_200600_302600_NS6detail15normal_iteratorINS9_10device_ptrIiEEEEPS5_jNS1_19radix_merge_compareILb0ELb0EiNS0_19identity_decomposerEEEEE10hipError_tT0_T1_T2_jT3_P12ihipStream_tbPNSt15iterator_traitsISK_E10value_typeEPNSQ_ISL_E10value_typeEPSM_NS1_7vsmem_tEENKUlT_SK_SL_SM_E_clISE_PiSF_SF_EESJ_SZ_SK_SL_SM_EUlSZ_E0_NS1_11comp_targetILNS1_3genE8ELNS1_11target_archE1030ELNS1_3gpuE2ELNS1_3repE0EEENS1_38merge_mergepath_config_static_selectorELNS0_4arch9wavefront6targetE1EEEvSL_: ; @_ZN7rocprim17ROCPRIM_400000_NS6detail17trampoline_kernelINS0_14default_configENS1_38merge_sort_block_merge_config_selectorIiNS0_10empty_typeEEEZZNS1_27merge_sort_block_merge_implIS3_N6thrust23THRUST_200600_302600_NS6detail15normal_iteratorINS9_10device_ptrIiEEEEPS5_jNS1_19radix_merge_compareILb0ELb0EiNS0_19identity_decomposerEEEEE10hipError_tT0_T1_T2_jT3_P12ihipStream_tbPNSt15iterator_traitsISK_E10value_typeEPNSQ_ISL_E10value_typeEPSM_NS1_7vsmem_tEENKUlT_SK_SL_SM_E_clISE_PiSF_SF_EESJ_SZ_SK_SL_SM_EUlSZ_E0_NS1_11comp_targetILNS1_3genE8ELNS1_11target_archE1030ELNS1_3gpuE2ELNS1_3repE0EEENS1_38merge_mergepath_config_static_selectorELNS0_4arch9wavefront6targetE1EEEvSL_
; %bb.0:
	.section	.rodata,"a",@progbits
	.p2align	6, 0x0
	.amdhsa_kernel _ZN7rocprim17ROCPRIM_400000_NS6detail17trampoline_kernelINS0_14default_configENS1_38merge_sort_block_merge_config_selectorIiNS0_10empty_typeEEEZZNS1_27merge_sort_block_merge_implIS3_N6thrust23THRUST_200600_302600_NS6detail15normal_iteratorINS9_10device_ptrIiEEEEPS5_jNS1_19radix_merge_compareILb0ELb0EiNS0_19identity_decomposerEEEEE10hipError_tT0_T1_T2_jT3_P12ihipStream_tbPNSt15iterator_traitsISK_E10value_typeEPNSQ_ISL_E10value_typeEPSM_NS1_7vsmem_tEENKUlT_SK_SL_SM_E_clISE_PiSF_SF_EESJ_SZ_SK_SL_SM_EUlSZ_E0_NS1_11comp_targetILNS1_3genE8ELNS1_11target_archE1030ELNS1_3gpuE2ELNS1_3repE0EEENS1_38merge_mergepath_config_static_selectorELNS0_4arch9wavefront6targetE1EEEvSL_
		.amdhsa_group_segment_fixed_size 0
		.amdhsa_private_segment_fixed_size 0
		.amdhsa_kernarg_size 64
		.amdhsa_user_sgpr_count 2
		.amdhsa_user_sgpr_dispatch_ptr 0
		.amdhsa_user_sgpr_queue_ptr 0
		.amdhsa_user_sgpr_kernarg_segment_ptr 1
		.amdhsa_user_sgpr_dispatch_id 0
		.amdhsa_user_sgpr_kernarg_preload_length 0
		.amdhsa_user_sgpr_kernarg_preload_offset 0
		.amdhsa_user_sgpr_private_segment_size 0
		.amdhsa_uses_dynamic_stack 0
		.amdhsa_enable_private_segment 0
		.amdhsa_system_sgpr_workgroup_id_x 1
		.amdhsa_system_sgpr_workgroup_id_y 0
		.amdhsa_system_sgpr_workgroup_id_z 0
		.amdhsa_system_sgpr_workgroup_info 0
		.amdhsa_system_vgpr_workitem_id 0
		.amdhsa_next_free_vgpr 1
		.amdhsa_next_free_sgpr 0
		.amdhsa_accum_offset 4
		.amdhsa_reserve_vcc 0
		.amdhsa_float_round_mode_32 0
		.amdhsa_float_round_mode_16_64 0
		.amdhsa_float_denorm_mode_32 3
		.amdhsa_float_denorm_mode_16_64 3
		.amdhsa_dx10_clamp 1
		.amdhsa_ieee_mode 1
		.amdhsa_fp16_overflow 0
		.amdhsa_tg_split 0
		.amdhsa_exception_fp_ieee_invalid_op 0
		.amdhsa_exception_fp_denorm_src 0
		.amdhsa_exception_fp_ieee_div_zero 0
		.amdhsa_exception_fp_ieee_overflow 0
		.amdhsa_exception_fp_ieee_underflow 0
		.amdhsa_exception_fp_ieee_inexact 0
		.amdhsa_exception_int_div_zero 0
	.end_amdhsa_kernel
	.section	.text._ZN7rocprim17ROCPRIM_400000_NS6detail17trampoline_kernelINS0_14default_configENS1_38merge_sort_block_merge_config_selectorIiNS0_10empty_typeEEEZZNS1_27merge_sort_block_merge_implIS3_N6thrust23THRUST_200600_302600_NS6detail15normal_iteratorINS9_10device_ptrIiEEEEPS5_jNS1_19radix_merge_compareILb0ELb0EiNS0_19identity_decomposerEEEEE10hipError_tT0_T1_T2_jT3_P12ihipStream_tbPNSt15iterator_traitsISK_E10value_typeEPNSQ_ISL_E10value_typeEPSM_NS1_7vsmem_tEENKUlT_SK_SL_SM_E_clISE_PiSF_SF_EESJ_SZ_SK_SL_SM_EUlSZ_E0_NS1_11comp_targetILNS1_3genE8ELNS1_11target_archE1030ELNS1_3gpuE2ELNS1_3repE0EEENS1_38merge_mergepath_config_static_selectorELNS0_4arch9wavefront6targetE1EEEvSL_,"axG",@progbits,_ZN7rocprim17ROCPRIM_400000_NS6detail17trampoline_kernelINS0_14default_configENS1_38merge_sort_block_merge_config_selectorIiNS0_10empty_typeEEEZZNS1_27merge_sort_block_merge_implIS3_N6thrust23THRUST_200600_302600_NS6detail15normal_iteratorINS9_10device_ptrIiEEEEPS5_jNS1_19radix_merge_compareILb0ELb0EiNS0_19identity_decomposerEEEEE10hipError_tT0_T1_T2_jT3_P12ihipStream_tbPNSt15iterator_traitsISK_E10value_typeEPNSQ_ISL_E10value_typeEPSM_NS1_7vsmem_tEENKUlT_SK_SL_SM_E_clISE_PiSF_SF_EESJ_SZ_SK_SL_SM_EUlSZ_E0_NS1_11comp_targetILNS1_3genE8ELNS1_11target_archE1030ELNS1_3gpuE2ELNS1_3repE0EEENS1_38merge_mergepath_config_static_selectorELNS0_4arch9wavefront6targetE1EEEvSL_,comdat
.Lfunc_end1653:
	.size	_ZN7rocprim17ROCPRIM_400000_NS6detail17trampoline_kernelINS0_14default_configENS1_38merge_sort_block_merge_config_selectorIiNS0_10empty_typeEEEZZNS1_27merge_sort_block_merge_implIS3_N6thrust23THRUST_200600_302600_NS6detail15normal_iteratorINS9_10device_ptrIiEEEEPS5_jNS1_19radix_merge_compareILb0ELb0EiNS0_19identity_decomposerEEEEE10hipError_tT0_T1_T2_jT3_P12ihipStream_tbPNSt15iterator_traitsISK_E10value_typeEPNSQ_ISL_E10value_typeEPSM_NS1_7vsmem_tEENKUlT_SK_SL_SM_E_clISE_PiSF_SF_EESJ_SZ_SK_SL_SM_EUlSZ_E0_NS1_11comp_targetILNS1_3genE8ELNS1_11target_archE1030ELNS1_3gpuE2ELNS1_3repE0EEENS1_38merge_mergepath_config_static_selectorELNS0_4arch9wavefront6targetE1EEEvSL_, .Lfunc_end1653-_ZN7rocprim17ROCPRIM_400000_NS6detail17trampoline_kernelINS0_14default_configENS1_38merge_sort_block_merge_config_selectorIiNS0_10empty_typeEEEZZNS1_27merge_sort_block_merge_implIS3_N6thrust23THRUST_200600_302600_NS6detail15normal_iteratorINS9_10device_ptrIiEEEEPS5_jNS1_19radix_merge_compareILb0ELb0EiNS0_19identity_decomposerEEEEE10hipError_tT0_T1_T2_jT3_P12ihipStream_tbPNSt15iterator_traitsISK_E10value_typeEPNSQ_ISL_E10value_typeEPSM_NS1_7vsmem_tEENKUlT_SK_SL_SM_E_clISE_PiSF_SF_EESJ_SZ_SK_SL_SM_EUlSZ_E0_NS1_11comp_targetILNS1_3genE8ELNS1_11target_archE1030ELNS1_3gpuE2ELNS1_3repE0EEENS1_38merge_mergepath_config_static_selectorELNS0_4arch9wavefront6targetE1EEEvSL_
                                        ; -- End function
	.section	.AMDGPU.csdata,"",@progbits
; Kernel info:
; codeLenInByte = 0
; NumSgprs: 6
; NumVgprs: 0
; NumAgprs: 0
; TotalNumVgprs: 0
; ScratchSize: 0
; MemoryBound: 0
; FloatMode: 240
; IeeeMode: 1
; LDSByteSize: 0 bytes/workgroup (compile time only)
; SGPRBlocks: 0
; VGPRBlocks: 0
; NumSGPRsForWavesPerEU: 6
; NumVGPRsForWavesPerEU: 1
; AccumOffset: 4
; Occupancy: 8
; WaveLimiterHint : 0
; COMPUTE_PGM_RSRC2:SCRATCH_EN: 0
; COMPUTE_PGM_RSRC2:USER_SGPR: 2
; COMPUTE_PGM_RSRC2:TRAP_HANDLER: 0
; COMPUTE_PGM_RSRC2:TGID_X_EN: 1
; COMPUTE_PGM_RSRC2:TGID_Y_EN: 0
; COMPUTE_PGM_RSRC2:TGID_Z_EN: 0
; COMPUTE_PGM_RSRC2:TIDIG_COMP_CNT: 0
; COMPUTE_PGM_RSRC3_GFX90A:ACCUM_OFFSET: 0
; COMPUTE_PGM_RSRC3_GFX90A:TG_SPLIT: 0
	.section	.text._ZN7rocprim17ROCPRIM_400000_NS6detail17trampoline_kernelINS0_14default_configENS1_38merge_sort_block_merge_config_selectorIiNS0_10empty_typeEEEZZNS1_27merge_sort_block_merge_implIS3_N6thrust23THRUST_200600_302600_NS6detail15normal_iteratorINS9_10device_ptrIiEEEEPS5_jNS1_19radix_merge_compareILb0ELb0EiNS0_19identity_decomposerEEEEE10hipError_tT0_T1_T2_jT3_P12ihipStream_tbPNSt15iterator_traitsISK_E10value_typeEPNSQ_ISL_E10value_typeEPSM_NS1_7vsmem_tEENKUlT_SK_SL_SM_E_clISE_PiSF_SF_EESJ_SZ_SK_SL_SM_EUlSZ_E1_NS1_11comp_targetILNS1_3genE0ELNS1_11target_archE4294967295ELNS1_3gpuE0ELNS1_3repE0EEENS1_36merge_oddeven_config_static_selectorELNS0_4arch9wavefront6targetE1EEEvSL_,"axG",@progbits,_ZN7rocprim17ROCPRIM_400000_NS6detail17trampoline_kernelINS0_14default_configENS1_38merge_sort_block_merge_config_selectorIiNS0_10empty_typeEEEZZNS1_27merge_sort_block_merge_implIS3_N6thrust23THRUST_200600_302600_NS6detail15normal_iteratorINS9_10device_ptrIiEEEEPS5_jNS1_19radix_merge_compareILb0ELb0EiNS0_19identity_decomposerEEEEE10hipError_tT0_T1_T2_jT3_P12ihipStream_tbPNSt15iterator_traitsISK_E10value_typeEPNSQ_ISL_E10value_typeEPSM_NS1_7vsmem_tEENKUlT_SK_SL_SM_E_clISE_PiSF_SF_EESJ_SZ_SK_SL_SM_EUlSZ_E1_NS1_11comp_targetILNS1_3genE0ELNS1_11target_archE4294967295ELNS1_3gpuE0ELNS1_3repE0EEENS1_36merge_oddeven_config_static_selectorELNS0_4arch9wavefront6targetE1EEEvSL_,comdat
	.protected	_ZN7rocprim17ROCPRIM_400000_NS6detail17trampoline_kernelINS0_14default_configENS1_38merge_sort_block_merge_config_selectorIiNS0_10empty_typeEEEZZNS1_27merge_sort_block_merge_implIS3_N6thrust23THRUST_200600_302600_NS6detail15normal_iteratorINS9_10device_ptrIiEEEEPS5_jNS1_19radix_merge_compareILb0ELb0EiNS0_19identity_decomposerEEEEE10hipError_tT0_T1_T2_jT3_P12ihipStream_tbPNSt15iterator_traitsISK_E10value_typeEPNSQ_ISL_E10value_typeEPSM_NS1_7vsmem_tEENKUlT_SK_SL_SM_E_clISE_PiSF_SF_EESJ_SZ_SK_SL_SM_EUlSZ_E1_NS1_11comp_targetILNS1_3genE0ELNS1_11target_archE4294967295ELNS1_3gpuE0ELNS1_3repE0EEENS1_36merge_oddeven_config_static_selectorELNS0_4arch9wavefront6targetE1EEEvSL_ ; -- Begin function _ZN7rocprim17ROCPRIM_400000_NS6detail17trampoline_kernelINS0_14default_configENS1_38merge_sort_block_merge_config_selectorIiNS0_10empty_typeEEEZZNS1_27merge_sort_block_merge_implIS3_N6thrust23THRUST_200600_302600_NS6detail15normal_iteratorINS9_10device_ptrIiEEEEPS5_jNS1_19radix_merge_compareILb0ELb0EiNS0_19identity_decomposerEEEEE10hipError_tT0_T1_T2_jT3_P12ihipStream_tbPNSt15iterator_traitsISK_E10value_typeEPNSQ_ISL_E10value_typeEPSM_NS1_7vsmem_tEENKUlT_SK_SL_SM_E_clISE_PiSF_SF_EESJ_SZ_SK_SL_SM_EUlSZ_E1_NS1_11comp_targetILNS1_3genE0ELNS1_11target_archE4294967295ELNS1_3gpuE0ELNS1_3repE0EEENS1_36merge_oddeven_config_static_selectorELNS0_4arch9wavefront6targetE1EEEvSL_
	.globl	_ZN7rocprim17ROCPRIM_400000_NS6detail17trampoline_kernelINS0_14default_configENS1_38merge_sort_block_merge_config_selectorIiNS0_10empty_typeEEEZZNS1_27merge_sort_block_merge_implIS3_N6thrust23THRUST_200600_302600_NS6detail15normal_iteratorINS9_10device_ptrIiEEEEPS5_jNS1_19radix_merge_compareILb0ELb0EiNS0_19identity_decomposerEEEEE10hipError_tT0_T1_T2_jT3_P12ihipStream_tbPNSt15iterator_traitsISK_E10value_typeEPNSQ_ISL_E10value_typeEPSM_NS1_7vsmem_tEENKUlT_SK_SL_SM_E_clISE_PiSF_SF_EESJ_SZ_SK_SL_SM_EUlSZ_E1_NS1_11comp_targetILNS1_3genE0ELNS1_11target_archE4294967295ELNS1_3gpuE0ELNS1_3repE0EEENS1_36merge_oddeven_config_static_selectorELNS0_4arch9wavefront6targetE1EEEvSL_
	.p2align	8
	.type	_ZN7rocprim17ROCPRIM_400000_NS6detail17trampoline_kernelINS0_14default_configENS1_38merge_sort_block_merge_config_selectorIiNS0_10empty_typeEEEZZNS1_27merge_sort_block_merge_implIS3_N6thrust23THRUST_200600_302600_NS6detail15normal_iteratorINS9_10device_ptrIiEEEEPS5_jNS1_19radix_merge_compareILb0ELb0EiNS0_19identity_decomposerEEEEE10hipError_tT0_T1_T2_jT3_P12ihipStream_tbPNSt15iterator_traitsISK_E10value_typeEPNSQ_ISL_E10value_typeEPSM_NS1_7vsmem_tEENKUlT_SK_SL_SM_E_clISE_PiSF_SF_EESJ_SZ_SK_SL_SM_EUlSZ_E1_NS1_11comp_targetILNS1_3genE0ELNS1_11target_archE4294967295ELNS1_3gpuE0ELNS1_3repE0EEENS1_36merge_oddeven_config_static_selectorELNS0_4arch9wavefront6targetE1EEEvSL_,@function
_ZN7rocprim17ROCPRIM_400000_NS6detail17trampoline_kernelINS0_14default_configENS1_38merge_sort_block_merge_config_selectorIiNS0_10empty_typeEEEZZNS1_27merge_sort_block_merge_implIS3_N6thrust23THRUST_200600_302600_NS6detail15normal_iteratorINS9_10device_ptrIiEEEEPS5_jNS1_19radix_merge_compareILb0ELb0EiNS0_19identity_decomposerEEEEE10hipError_tT0_T1_T2_jT3_P12ihipStream_tbPNSt15iterator_traitsISK_E10value_typeEPNSQ_ISL_E10value_typeEPSM_NS1_7vsmem_tEENKUlT_SK_SL_SM_E_clISE_PiSF_SF_EESJ_SZ_SK_SL_SM_EUlSZ_E1_NS1_11comp_targetILNS1_3genE0ELNS1_11target_archE4294967295ELNS1_3gpuE0ELNS1_3repE0EEENS1_36merge_oddeven_config_static_selectorELNS0_4arch9wavefront6targetE1EEEvSL_: ; @_ZN7rocprim17ROCPRIM_400000_NS6detail17trampoline_kernelINS0_14default_configENS1_38merge_sort_block_merge_config_selectorIiNS0_10empty_typeEEEZZNS1_27merge_sort_block_merge_implIS3_N6thrust23THRUST_200600_302600_NS6detail15normal_iteratorINS9_10device_ptrIiEEEEPS5_jNS1_19radix_merge_compareILb0ELb0EiNS0_19identity_decomposerEEEEE10hipError_tT0_T1_T2_jT3_P12ihipStream_tbPNSt15iterator_traitsISK_E10value_typeEPNSQ_ISL_E10value_typeEPSM_NS1_7vsmem_tEENKUlT_SK_SL_SM_E_clISE_PiSF_SF_EESJ_SZ_SK_SL_SM_EUlSZ_E1_NS1_11comp_targetILNS1_3genE0ELNS1_11target_archE4294967295ELNS1_3gpuE0ELNS1_3repE0EEENS1_36merge_oddeven_config_static_selectorELNS0_4arch9wavefront6targetE1EEEvSL_
; %bb.0:
	.section	.rodata,"a",@progbits
	.p2align	6, 0x0
	.amdhsa_kernel _ZN7rocprim17ROCPRIM_400000_NS6detail17trampoline_kernelINS0_14default_configENS1_38merge_sort_block_merge_config_selectorIiNS0_10empty_typeEEEZZNS1_27merge_sort_block_merge_implIS3_N6thrust23THRUST_200600_302600_NS6detail15normal_iteratorINS9_10device_ptrIiEEEEPS5_jNS1_19radix_merge_compareILb0ELb0EiNS0_19identity_decomposerEEEEE10hipError_tT0_T1_T2_jT3_P12ihipStream_tbPNSt15iterator_traitsISK_E10value_typeEPNSQ_ISL_E10value_typeEPSM_NS1_7vsmem_tEENKUlT_SK_SL_SM_E_clISE_PiSF_SF_EESJ_SZ_SK_SL_SM_EUlSZ_E1_NS1_11comp_targetILNS1_3genE0ELNS1_11target_archE4294967295ELNS1_3gpuE0ELNS1_3repE0EEENS1_36merge_oddeven_config_static_selectorELNS0_4arch9wavefront6targetE1EEEvSL_
		.amdhsa_group_segment_fixed_size 0
		.amdhsa_private_segment_fixed_size 0
		.amdhsa_kernarg_size 48
		.amdhsa_user_sgpr_count 2
		.amdhsa_user_sgpr_dispatch_ptr 0
		.amdhsa_user_sgpr_queue_ptr 0
		.amdhsa_user_sgpr_kernarg_segment_ptr 1
		.amdhsa_user_sgpr_dispatch_id 0
		.amdhsa_user_sgpr_kernarg_preload_length 0
		.amdhsa_user_sgpr_kernarg_preload_offset 0
		.amdhsa_user_sgpr_private_segment_size 0
		.amdhsa_uses_dynamic_stack 0
		.amdhsa_enable_private_segment 0
		.amdhsa_system_sgpr_workgroup_id_x 1
		.amdhsa_system_sgpr_workgroup_id_y 0
		.amdhsa_system_sgpr_workgroup_id_z 0
		.amdhsa_system_sgpr_workgroup_info 0
		.amdhsa_system_vgpr_workitem_id 0
		.amdhsa_next_free_vgpr 1
		.amdhsa_next_free_sgpr 0
		.amdhsa_accum_offset 4
		.amdhsa_reserve_vcc 0
		.amdhsa_float_round_mode_32 0
		.amdhsa_float_round_mode_16_64 0
		.amdhsa_float_denorm_mode_32 3
		.amdhsa_float_denorm_mode_16_64 3
		.amdhsa_dx10_clamp 1
		.amdhsa_ieee_mode 1
		.amdhsa_fp16_overflow 0
		.amdhsa_tg_split 0
		.amdhsa_exception_fp_ieee_invalid_op 0
		.amdhsa_exception_fp_denorm_src 0
		.amdhsa_exception_fp_ieee_div_zero 0
		.amdhsa_exception_fp_ieee_overflow 0
		.amdhsa_exception_fp_ieee_underflow 0
		.amdhsa_exception_fp_ieee_inexact 0
		.amdhsa_exception_int_div_zero 0
	.end_amdhsa_kernel
	.section	.text._ZN7rocprim17ROCPRIM_400000_NS6detail17trampoline_kernelINS0_14default_configENS1_38merge_sort_block_merge_config_selectorIiNS0_10empty_typeEEEZZNS1_27merge_sort_block_merge_implIS3_N6thrust23THRUST_200600_302600_NS6detail15normal_iteratorINS9_10device_ptrIiEEEEPS5_jNS1_19radix_merge_compareILb0ELb0EiNS0_19identity_decomposerEEEEE10hipError_tT0_T1_T2_jT3_P12ihipStream_tbPNSt15iterator_traitsISK_E10value_typeEPNSQ_ISL_E10value_typeEPSM_NS1_7vsmem_tEENKUlT_SK_SL_SM_E_clISE_PiSF_SF_EESJ_SZ_SK_SL_SM_EUlSZ_E1_NS1_11comp_targetILNS1_3genE0ELNS1_11target_archE4294967295ELNS1_3gpuE0ELNS1_3repE0EEENS1_36merge_oddeven_config_static_selectorELNS0_4arch9wavefront6targetE1EEEvSL_,"axG",@progbits,_ZN7rocprim17ROCPRIM_400000_NS6detail17trampoline_kernelINS0_14default_configENS1_38merge_sort_block_merge_config_selectorIiNS0_10empty_typeEEEZZNS1_27merge_sort_block_merge_implIS3_N6thrust23THRUST_200600_302600_NS6detail15normal_iteratorINS9_10device_ptrIiEEEEPS5_jNS1_19radix_merge_compareILb0ELb0EiNS0_19identity_decomposerEEEEE10hipError_tT0_T1_T2_jT3_P12ihipStream_tbPNSt15iterator_traitsISK_E10value_typeEPNSQ_ISL_E10value_typeEPSM_NS1_7vsmem_tEENKUlT_SK_SL_SM_E_clISE_PiSF_SF_EESJ_SZ_SK_SL_SM_EUlSZ_E1_NS1_11comp_targetILNS1_3genE0ELNS1_11target_archE4294967295ELNS1_3gpuE0ELNS1_3repE0EEENS1_36merge_oddeven_config_static_selectorELNS0_4arch9wavefront6targetE1EEEvSL_,comdat
.Lfunc_end1654:
	.size	_ZN7rocprim17ROCPRIM_400000_NS6detail17trampoline_kernelINS0_14default_configENS1_38merge_sort_block_merge_config_selectorIiNS0_10empty_typeEEEZZNS1_27merge_sort_block_merge_implIS3_N6thrust23THRUST_200600_302600_NS6detail15normal_iteratorINS9_10device_ptrIiEEEEPS5_jNS1_19radix_merge_compareILb0ELb0EiNS0_19identity_decomposerEEEEE10hipError_tT0_T1_T2_jT3_P12ihipStream_tbPNSt15iterator_traitsISK_E10value_typeEPNSQ_ISL_E10value_typeEPSM_NS1_7vsmem_tEENKUlT_SK_SL_SM_E_clISE_PiSF_SF_EESJ_SZ_SK_SL_SM_EUlSZ_E1_NS1_11comp_targetILNS1_3genE0ELNS1_11target_archE4294967295ELNS1_3gpuE0ELNS1_3repE0EEENS1_36merge_oddeven_config_static_selectorELNS0_4arch9wavefront6targetE1EEEvSL_, .Lfunc_end1654-_ZN7rocprim17ROCPRIM_400000_NS6detail17trampoline_kernelINS0_14default_configENS1_38merge_sort_block_merge_config_selectorIiNS0_10empty_typeEEEZZNS1_27merge_sort_block_merge_implIS3_N6thrust23THRUST_200600_302600_NS6detail15normal_iteratorINS9_10device_ptrIiEEEEPS5_jNS1_19radix_merge_compareILb0ELb0EiNS0_19identity_decomposerEEEEE10hipError_tT0_T1_T2_jT3_P12ihipStream_tbPNSt15iterator_traitsISK_E10value_typeEPNSQ_ISL_E10value_typeEPSM_NS1_7vsmem_tEENKUlT_SK_SL_SM_E_clISE_PiSF_SF_EESJ_SZ_SK_SL_SM_EUlSZ_E1_NS1_11comp_targetILNS1_3genE0ELNS1_11target_archE4294967295ELNS1_3gpuE0ELNS1_3repE0EEENS1_36merge_oddeven_config_static_selectorELNS0_4arch9wavefront6targetE1EEEvSL_
                                        ; -- End function
	.section	.AMDGPU.csdata,"",@progbits
; Kernel info:
; codeLenInByte = 0
; NumSgprs: 6
; NumVgprs: 0
; NumAgprs: 0
; TotalNumVgprs: 0
; ScratchSize: 0
; MemoryBound: 0
; FloatMode: 240
; IeeeMode: 1
; LDSByteSize: 0 bytes/workgroup (compile time only)
; SGPRBlocks: 0
; VGPRBlocks: 0
; NumSGPRsForWavesPerEU: 6
; NumVGPRsForWavesPerEU: 1
; AccumOffset: 4
; Occupancy: 8
; WaveLimiterHint : 0
; COMPUTE_PGM_RSRC2:SCRATCH_EN: 0
; COMPUTE_PGM_RSRC2:USER_SGPR: 2
; COMPUTE_PGM_RSRC2:TRAP_HANDLER: 0
; COMPUTE_PGM_RSRC2:TGID_X_EN: 1
; COMPUTE_PGM_RSRC2:TGID_Y_EN: 0
; COMPUTE_PGM_RSRC2:TGID_Z_EN: 0
; COMPUTE_PGM_RSRC2:TIDIG_COMP_CNT: 0
; COMPUTE_PGM_RSRC3_GFX90A:ACCUM_OFFSET: 0
; COMPUTE_PGM_RSRC3_GFX90A:TG_SPLIT: 0
	.section	.text._ZN7rocprim17ROCPRIM_400000_NS6detail17trampoline_kernelINS0_14default_configENS1_38merge_sort_block_merge_config_selectorIiNS0_10empty_typeEEEZZNS1_27merge_sort_block_merge_implIS3_N6thrust23THRUST_200600_302600_NS6detail15normal_iteratorINS9_10device_ptrIiEEEEPS5_jNS1_19radix_merge_compareILb0ELb0EiNS0_19identity_decomposerEEEEE10hipError_tT0_T1_T2_jT3_P12ihipStream_tbPNSt15iterator_traitsISK_E10value_typeEPNSQ_ISL_E10value_typeEPSM_NS1_7vsmem_tEENKUlT_SK_SL_SM_E_clISE_PiSF_SF_EESJ_SZ_SK_SL_SM_EUlSZ_E1_NS1_11comp_targetILNS1_3genE10ELNS1_11target_archE1201ELNS1_3gpuE5ELNS1_3repE0EEENS1_36merge_oddeven_config_static_selectorELNS0_4arch9wavefront6targetE1EEEvSL_,"axG",@progbits,_ZN7rocprim17ROCPRIM_400000_NS6detail17trampoline_kernelINS0_14default_configENS1_38merge_sort_block_merge_config_selectorIiNS0_10empty_typeEEEZZNS1_27merge_sort_block_merge_implIS3_N6thrust23THRUST_200600_302600_NS6detail15normal_iteratorINS9_10device_ptrIiEEEEPS5_jNS1_19radix_merge_compareILb0ELb0EiNS0_19identity_decomposerEEEEE10hipError_tT0_T1_T2_jT3_P12ihipStream_tbPNSt15iterator_traitsISK_E10value_typeEPNSQ_ISL_E10value_typeEPSM_NS1_7vsmem_tEENKUlT_SK_SL_SM_E_clISE_PiSF_SF_EESJ_SZ_SK_SL_SM_EUlSZ_E1_NS1_11comp_targetILNS1_3genE10ELNS1_11target_archE1201ELNS1_3gpuE5ELNS1_3repE0EEENS1_36merge_oddeven_config_static_selectorELNS0_4arch9wavefront6targetE1EEEvSL_,comdat
	.protected	_ZN7rocprim17ROCPRIM_400000_NS6detail17trampoline_kernelINS0_14default_configENS1_38merge_sort_block_merge_config_selectorIiNS0_10empty_typeEEEZZNS1_27merge_sort_block_merge_implIS3_N6thrust23THRUST_200600_302600_NS6detail15normal_iteratorINS9_10device_ptrIiEEEEPS5_jNS1_19radix_merge_compareILb0ELb0EiNS0_19identity_decomposerEEEEE10hipError_tT0_T1_T2_jT3_P12ihipStream_tbPNSt15iterator_traitsISK_E10value_typeEPNSQ_ISL_E10value_typeEPSM_NS1_7vsmem_tEENKUlT_SK_SL_SM_E_clISE_PiSF_SF_EESJ_SZ_SK_SL_SM_EUlSZ_E1_NS1_11comp_targetILNS1_3genE10ELNS1_11target_archE1201ELNS1_3gpuE5ELNS1_3repE0EEENS1_36merge_oddeven_config_static_selectorELNS0_4arch9wavefront6targetE1EEEvSL_ ; -- Begin function _ZN7rocprim17ROCPRIM_400000_NS6detail17trampoline_kernelINS0_14default_configENS1_38merge_sort_block_merge_config_selectorIiNS0_10empty_typeEEEZZNS1_27merge_sort_block_merge_implIS3_N6thrust23THRUST_200600_302600_NS6detail15normal_iteratorINS9_10device_ptrIiEEEEPS5_jNS1_19radix_merge_compareILb0ELb0EiNS0_19identity_decomposerEEEEE10hipError_tT0_T1_T2_jT3_P12ihipStream_tbPNSt15iterator_traitsISK_E10value_typeEPNSQ_ISL_E10value_typeEPSM_NS1_7vsmem_tEENKUlT_SK_SL_SM_E_clISE_PiSF_SF_EESJ_SZ_SK_SL_SM_EUlSZ_E1_NS1_11comp_targetILNS1_3genE10ELNS1_11target_archE1201ELNS1_3gpuE5ELNS1_3repE0EEENS1_36merge_oddeven_config_static_selectorELNS0_4arch9wavefront6targetE1EEEvSL_
	.globl	_ZN7rocprim17ROCPRIM_400000_NS6detail17trampoline_kernelINS0_14default_configENS1_38merge_sort_block_merge_config_selectorIiNS0_10empty_typeEEEZZNS1_27merge_sort_block_merge_implIS3_N6thrust23THRUST_200600_302600_NS6detail15normal_iteratorINS9_10device_ptrIiEEEEPS5_jNS1_19radix_merge_compareILb0ELb0EiNS0_19identity_decomposerEEEEE10hipError_tT0_T1_T2_jT3_P12ihipStream_tbPNSt15iterator_traitsISK_E10value_typeEPNSQ_ISL_E10value_typeEPSM_NS1_7vsmem_tEENKUlT_SK_SL_SM_E_clISE_PiSF_SF_EESJ_SZ_SK_SL_SM_EUlSZ_E1_NS1_11comp_targetILNS1_3genE10ELNS1_11target_archE1201ELNS1_3gpuE5ELNS1_3repE0EEENS1_36merge_oddeven_config_static_selectorELNS0_4arch9wavefront6targetE1EEEvSL_
	.p2align	8
	.type	_ZN7rocprim17ROCPRIM_400000_NS6detail17trampoline_kernelINS0_14default_configENS1_38merge_sort_block_merge_config_selectorIiNS0_10empty_typeEEEZZNS1_27merge_sort_block_merge_implIS3_N6thrust23THRUST_200600_302600_NS6detail15normal_iteratorINS9_10device_ptrIiEEEEPS5_jNS1_19radix_merge_compareILb0ELb0EiNS0_19identity_decomposerEEEEE10hipError_tT0_T1_T2_jT3_P12ihipStream_tbPNSt15iterator_traitsISK_E10value_typeEPNSQ_ISL_E10value_typeEPSM_NS1_7vsmem_tEENKUlT_SK_SL_SM_E_clISE_PiSF_SF_EESJ_SZ_SK_SL_SM_EUlSZ_E1_NS1_11comp_targetILNS1_3genE10ELNS1_11target_archE1201ELNS1_3gpuE5ELNS1_3repE0EEENS1_36merge_oddeven_config_static_selectorELNS0_4arch9wavefront6targetE1EEEvSL_,@function
_ZN7rocprim17ROCPRIM_400000_NS6detail17trampoline_kernelINS0_14default_configENS1_38merge_sort_block_merge_config_selectorIiNS0_10empty_typeEEEZZNS1_27merge_sort_block_merge_implIS3_N6thrust23THRUST_200600_302600_NS6detail15normal_iteratorINS9_10device_ptrIiEEEEPS5_jNS1_19radix_merge_compareILb0ELb0EiNS0_19identity_decomposerEEEEE10hipError_tT0_T1_T2_jT3_P12ihipStream_tbPNSt15iterator_traitsISK_E10value_typeEPNSQ_ISL_E10value_typeEPSM_NS1_7vsmem_tEENKUlT_SK_SL_SM_E_clISE_PiSF_SF_EESJ_SZ_SK_SL_SM_EUlSZ_E1_NS1_11comp_targetILNS1_3genE10ELNS1_11target_archE1201ELNS1_3gpuE5ELNS1_3repE0EEENS1_36merge_oddeven_config_static_selectorELNS0_4arch9wavefront6targetE1EEEvSL_: ; @_ZN7rocprim17ROCPRIM_400000_NS6detail17trampoline_kernelINS0_14default_configENS1_38merge_sort_block_merge_config_selectorIiNS0_10empty_typeEEEZZNS1_27merge_sort_block_merge_implIS3_N6thrust23THRUST_200600_302600_NS6detail15normal_iteratorINS9_10device_ptrIiEEEEPS5_jNS1_19radix_merge_compareILb0ELb0EiNS0_19identity_decomposerEEEEE10hipError_tT0_T1_T2_jT3_P12ihipStream_tbPNSt15iterator_traitsISK_E10value_typeEPNSQ_ISL_E10value_typeEPSM_NS1_7vsmem_tEENKUlT_SK_SL_SM_E_clISE_PiSF_SF_EESJ_SZ_SK_SL_SM_EUlSZ_E1_NS1_11comp_targetILNS1_3genE10ELNS1_11target_archE1201ELNS1_3gpuE5ELNS1_3repE0EEENS1_36merge_oddeven_config_static_selectorELNS0_4arch9wavefront6targetE1EEEvSL_
; %bb.0:
	.section	.rodata,"a",@progbits
	.p2align	6, 0x0
	.amdhsa_kernel _ZN7rocprim17ROCPRIM_400000_NS6detail17trampoline_kernelINS0_14default_configENS1_38merge_sort_block_merge_config_selectorIiNS0_10empty_typeEEEZZNS1_27merge_sort_block_merge_implIS3_N6thrust23THRUST_200600_302600_NS6detail15normal_iteratorINS9_10device_ptrIiEEEEPS5_jNS1_19radix_merge_compareILb0ELb0EiNS0_19identity_decomposerEEEEE10hipError_tT0_T1_T2_jT3_P12ihipStream_tbPNSt15iterator_traitsISK_E10value_typeEPNSQ_ISL_E10value_typeEPSM_NS1_7vsmem_tEENKUlT_SK_SL_SM_E_clISE_PiSF_SF_EESJ_SZ_SK_SL_SM_EUlSZ_E1_NS1_11comp_targetILNS1_3genE10ELNS1_11target_archE1201ELNS1_3gpuE5ELNS1_3repE0EEENS1_36merge_oddeven_config_static_selectorELNS0_4arch9wavefront6targetE1EEEvSL_
		.amdhsa_group_segment_fixed_size 0
		.amdhsa_private_segment_fixed_size 0
		.amdhsa_kernarg_size 48
		.amdhsa_user_sgpr_count 2
		.amdhsa_user_sgpr_dispatch_ptr 0
		.amdhsa_user_sgpr_queue_ptr 0
		.amdhsa_user_sgpr_kernarg_segment_ptr 1
		.amdhsa_user_sgpr_dispatch_id 0
		.amdhsa_user_sgpr_kernarg_preload_length 0
		.amdhsa_user_sgpr_kernarg_preload_offset 0
		.amdhsa_user_sgpr_private_segment_size 0
		.amdhsa_uses_dynamic_stack 0
		.amdhsa_enable_private_segment 0
		.amdhsa_system_sgpr_workgroup_id_x 1
		.amdhsa_system_sgpr_workgroup_id_y 0
		.amdhsa_system_sgpr_workgroup_id_z 0
		.amdhsa_system_sgpr_workgroup_info 0
		.amdhsa_system_vgpr_workitem_id 0
		.amdhsa_next_free_vgpr 1
		.amdhsa_next_free_sgpr 0
		.amdhsa_accum_offset 4
		.amdhsa_reserve_vcc 0
		.amdhsa_float_round_mode_32 0
		.amdhsa_float_round_mode_16_64 0
		.amdhsa_float_denorm_mode_32 3
		.amdhsa_float_denorm_mode_16_64 3
		.amdhsa_dx10_clamp 1
		.amdhsa_ieee_mode 1
		.amdhsa_fp16_overflow 0
		.amdhsa_tg_split 0
		.amdhsa_exception_fp_ieee_invalid_op 0
		.amdhsa_exception_fp_denorm_src 0
		.amdhsa_exception_fp_ieee_div_zero 0
		.amdhsa_exception_fp_ieee_overflow 0
		.amdhsa_exception_fp_ieee_underflow 0
		.amdhsa_exception_fp_ieee_inexact 0
		.amdhsa_exception_int_div_zero 0
	.end_amdhsa_kernel
	.section	.text._ZN7rocprim17ROCPRIM_400000_NS6detail17trampoline_kernelINS0_14default_configENS1_38merge_sort_block_merge_config_selectorIiNS0_10empty_typeEEEZZNS1_27merge_sort_block_merge_implIS3_N6thrust23THRUST_200600_302600_NS6detail15normal_iteratorINS9_10device_ptrIiEEEEPS5_jNS1_19radix_merge_compareILb0ELb0EiNS0_19identity_decomposerEEEEE10hipError_tT0_T1_T2_jT3_P12ihipStream_tbPNSt15iterator_traitsISK_E10value_typeEPNSQ_ISL_E10value_typeEPSM_NS1_7vsmem_tEENKUlT_SK_SL_SM_E_clISE_PiSF_SF_EESJ_SZ_SK_SL_SM_EUlSZ_E1_NS1_11comp_targetILNS1_3genE10ELNS1_11target_archE1201ELNS1_3gpuE5ELNS1_3repE0EEENS1_36merge_oddeven_config_static_selectorELNS0_4arch9wavefront6targetE1EEEvSL_,"axG",@progbits,_ZN7rocprim17ROCPRIM_400000_NS6detail17trampoline_kernelINS0_14default_configENS1_38merge_sort_block_merge_config_selectorIiNS0_10empty_typeEEEZZNS1_27merge_sort_block_merge_implIS3_N6thrust23THRUST_200600_302600_NS6detail15normal_iteratorINS9_10device_ptrIiEEEEPS5_jNS1_19radix_merge_compareILb0ELb0EiNS0_19identity_decomposerEEEEE10hipError_tT0_T1_T2_jT3_P12ihipStream_tbPNSt15iterator_traitsISK_E10value_typeEPNSQ_ISL_E10value_typeEPSM_NS1_7vsmem_tEENKUlT_SK_SL_SM_E_clISE_PiSF_SF_EESJ_SZ_SK_SL_SM_EUlSZ_E1_NS1_11comp_targetILNS1_3genE10ELNS1_11target_archE1201ELNS1_3gpuE5ELNS1_3repE0EEENS1_36merge_oddeven_config_static_selectorELNS0_4arch9wavefront6targetE1EEEvSL_,comdat
.Lfunc_end1655:
	.size	_ZN7rocprim17ROCPRIM_400000_NS6detail17trampoline_kernelINS0_14default_configENS1_38merge_sort_block_merge_config_selectorIiNS0_10empty_typeEEEZZNS1_27merge_sort_block_merge_implIS3_N6thrust23THRUST_200600_302600_NS6detail15normal_iteratorINS9_10device_ptrIiEEEEPS5_jNS1_19radix_merge_compareILb0ELb0EiNS0_19identity_decomposerEEEEE10hipError_tT0_T1_T2_jT3_P12ihipStream_tbPNSt15iterator_traitsISK_E10value_typeEPNSQ_ISL_E10value_typeEPSM_NS1_7vsmem_tEENKUlT_SK_SL_SM_E_clISE_PiSF_SF_EESJ_SZ_SK_SL_SM_EUlSZ_E1_NS1_11comp_targetILNS1_3genE10ELNS1_11target_archE1201ELNS1_3gpuE5ELNS1_3repE0EEENS1_36merge_oddeven_config_static_selectorELNS0_4arch9wavefront6targetE1EEEvSL_, .Lfunc_end1655-_ZN7rocprim17ROCPRIM_400000_NS6detail17trampoline_kernelINS0_14default_configENS1_38merge_sort_block_merge_config_selectorIiNS0_10empty_typeEEEZZNS1_27merge_sort_block_merge_implIS3_N6thrust23THRUST_200600_302600_NS6detail15normal_iteratorINS9_10device_ptrIiEEEEPS5_jNS1_19radix_merge_compareILb0ELb0EiNS0_19identity_decomposerEEEEE10hipError_tT0_T1_T2_jT3_P12ihipStream_tbPNSt15iterator_traitsISK_E10value_typeEPNSQ_ISL_E10value_typeEPSM_NS1_7vsmem_tEENKUlT_SK_SL_SM_E_clISE_PiSF_SF_EESJ_SZ_SK_SL_SM_EUlSZ_E1_NS1_11comp_targetILNS1_3genE10ELNS1_11target_archE1201ELNS1_3gpuE5ELNS1_3repE0EEENS1_36merge_oddeven_config_static_selectorELNS0_4arch9wavefront6targetE1EEEvSL_
                                        ; -- End function
	.section	.AMDGPU.csdata,"",@progbits
; Kernel info:
; codeLenInByte = 0
; NumSgprs: 6
; NumVgprs: 0
; NumAgprs: 0
; TotalNumVgprs: 0
; ScratchSize: 0
; MemoryBound: 0
; FloatMode: 240
; IeeeMode: 1
; LDSByteSize: 0 bytes/workgroup (compile time only)
; SGPRBlocks: 0
; VGPRBlocks: 0
; NumSGPRsForWavesPerEU: 6
; NumVGPRsForWavesPerEU: 1
; AccumOffset: 4
; Occupancy: 8
; WaveLimiterHint : 0
; COMPUTE_PGM_RSRC2:SCRATCH_EN: 0
; COMPUTE_PGM_RSRC2:USER_SGPR: 2
; COMPUTE_PGM_RSRC2:TRAP_HANDLER: 0
; COMPUTE_PGM_RSRC2:TGID_X_EN: 1
; COMPUTE_PGM_RSRC2:TGID_Y_EN: 0
; COMPUTE_PGM_RSRC2:TGID_Z_EN: 0
; COMPUTE_PGM_RSRC2:TIDIG_COMP_CNT: 0
; COMPUTE_PGM_RSRC3_GFX90A:ACCUM_OFFSET: 0
; COMPUTE_PGM_RSRC3_GFX90A:TG_SPLIT: 0
	.section	.text._ZN7rocprim17ROCPRIM_400000_NS6detail17trampoline_kernelINS0_14default_configENS1_38merge_sort_block_merge_config_selectorIiNS0_10empty_typeEEEZZNS1_27merge_sort_block_merge_implIS3_N6thrust23THRUST_200600_302600_NS6detail15normal_iteratorINS9_10device_ptrIiEEEEPS5_jNS1_19radix_merge_compareILb0ELb0EiNS0_19identity_decomposerEEEEE10hipError_tT0_T1_T2_jT3_P12ihipStream_tbPNSt15iterator_traitsISK_E10value_typeEPNSQ_ISL_E10value_typeEPSM_NS1_7vsmem_tEENKUlT_SK_SL_SM_E_clISE_PiSF_SF_EESJ_SZ_SK_SL_SM_EUlSZ_E1_NS1_11comp_targetILNS1_3genE5ELNS1_11target_archE942ELNS1_3gpuE9ELNS1_3repE0EEENS1_36merge_oddeven_config_static_selectorELNS0_4arch9wavefront6targetE1EEEvSL_,"axG",@progbits,_ZN7rocprim17ROCPRIM_400000_NS6detail17trampoline_kernelINS0_14default_configENS1_38merge_sort_block_merge_config_selectorIiNS0_10empty_typeEEEZZNS1_27merge_sort_block_merge_implIS3_N6thrust23THRUST_200600_302600_NS6detail15normal_iteratorINS9_10device_ptrIiEEEEPS5_jNS1_19radix_merge_compareILb0ELb0EiNS0_19identity_decomposerEEEEE10hipError_tT0_T1_T2_jT3_P12ihipStream_tbPNSt15iterator_traitsISK_E10value_typeEPNSQ_ISL_E10value_typeEPSM_NS1_7vsmem_tEENKUlT_SK_SL_SM_E_clISE_PiSF_SF_EESJ_SZ_SK_SL_SM_EUlSZ_E1_NS1_11comp_targetILNS1_3genE5ELNS1_11target_archE942ELNS1_3gpuE9ELNS1_3repE0EEENS1_36merge_oddeven_config_static_selectorELNS0_4arch9wavefront6targetE1EEEvSL_,comdat
	.protected	_ZN7rocprim17ROCPRIM_400000_NS6detail17trampoline_kernelINS0_14default_configENS1_38merge_sort_block_merge_config_selectorIiNS0_10empty_typeEEEZZNS1_27merge_sort_block_merge_implIS3_N6thrust23THRUST_200600_302600_NS6detail15normal_iteratorINS9_10device_ptrIiEEEEPS5_jNS1_19radix_merge_compareILb0ELb0EiNS0_19identity_decomposerEEEEE10hipError_tT0_T1_T2_jT3_P12ihipStream_tbPNSt15iterator_traitsISK_E10value_typeEPNSQ_ISL_E10value_typeEPSM_NS1_7vsmem_tEENKUlT_SK_SL_SM_E_clISE_PiSF_SF_EESJ_SZ_SK_SL_SM_EUlSZ_E1_NS1_11comp_targetILNS1_3genE5ELNS1_11target_archE942ELNS1_3gpuE9ELNS1_3repE0EEENS1_36merge_oddeven_config_static_selectorELNS0_4arch9wavefront6targetE1EEEvSL_ ; -- Begin function _ZN7rocprim17ROCPRIM_400000_NS6detail17trampoline_kernelINS0_14default_configENS1_38merge_sort_block_merge_config_selectorIiNS0_10empty_typeEEEZZNS1_27merge_sort_block_merge_implIS3_N6thrust23THRUST_200600_302600_NS6detail15normal_iteratorINS9_10device_ptrIiEEEEPS5_jNS1_19radix_merge_compareILb0ELb0EiNS0_19identity_decomposerEEEEE10hipError_tT0_T1_T2_jT3_P12ihipStream_tbPNSt15iterator_traitsISK_E10value_typeEPNSQ_ISL_E10value_typeEPSM_NS1_7vsmem_tEENKUlT_SK_SL_SM_E_clISE_PiSF_SF_EESJ_SZ_SK_SL_SM_EUlSZ_E1_NS1_11comp_targetILNS1_3genE5ELNS1_11target_archE942ELNS1_3gpuE9ELNS1_3repE0EEENS1_36merge_oddeven_config_static_selectorELNS0_4arch9wavefront6targetE1EEEvSL_
	.globl	_ZN7rocprim17ROCPRIM_400000_NS6detail17trampoline_kernelINS0_14default_configENS1_38merge_sort_block_merge_config_selectorIiNS0_10empty_typeEEEZZNS1_27merge_sort_block_merge_implIS3_N6thrust23THRUST_200600_302600_NS6detail15normal_iteratorINS9_10device_ptrIiEEEEPS5_jNS1_19radix_merge_compareILb0ELb0EiNS0_19identity_decomposerEEEEE10hipError_tT0_T1_T2_jT3_P12ihipStream_tbPNSt15iterator_traitsISK_E10value_typeEPNSQ_ISL_E10value_typeEPSM_NS1_7vsmem_tEENKUlT_SK_SL_SM_E_clISE_PiSF_SF_EESJ_SZ_SK_SL_SM_EUlSZ_E1_NS1_11comp_targetILNS1_3genE5ELNS1_11target_archE942ELNS1_3gpuE9ELNS1_3repE0EEENS1_36merge_oddeven_config_static_selectorELNS0_4arch9wavefront6targetE1EEEvSL_
	.p2align	8
	.type	_ZN7rocprim17ROCPRIM_400000_NS6detail17trampoline_kernelINS0_14default_configENS1_38merge_sort_block_merge_config_selectorIiNS0_10empty_typeEEEZZNS1_27merge_sort_block_merge_implIS3_N6thrust23THRUST_200600_302600_NS6detail15normal_iteratorINS9_10device_ptrIiEEEEPS5_jNS1_19radix_merge_compareILb0ELb0EiNS0_19identity_decomposerEEEEE10hipError_tT0_T1_T2_jT3_P12ihipStream_tbPNSt15iterator_traitsISK_E10value_typeEPNSQ_ISL_E10value_typeEPSM_NS1_7vsmem_tEENKUlT_SK_SL_SM_E_clISE_PiSF_SF_EESJ_SZ_SK_SL_SM_EUlSZ_E1_NS1_11comp_targetILNS1_3genE5ELNS1_11target_archE942ELNS1_3gpuE9ELNS1_3repE0EEENS1_36merge_oddeven_config_static_selectorELNS0_4arch9wavefront6targetE1EEEvSL_,@function
_ZN7rocprim17ROCPRIM_400000_NS6detail17trampoline_kernelINS0_14default_configENS1_38merge_sort_block_merge_config_selectorIiNS0_10empty_typeEEEZZNS1_27merge_sort_block_merge_implIS3_N6thrust23THRUST_200600_302600_NS6detail15normal_iteratorINS9_10device_ptrIiEEEEPS5_jNS1_19radix_merge_compareILb0ELb0EiNS0_19identity_decomposerEEEEE10hipError_tT0_T1_T2_jT3_P12ihipStream_tbPNSt15iterator_traitsISK_E10value_typeEPNSQ_ISL_E10value_typeEPSM_NS1_7vsmem_tEENKUlT_SK_SL_SM_E_clISE_PiSF_SF_EESJ_SZ_SK_SL_SM_EUlSZ_E1_NS1_11comp_targetILNS1_3genE5ELNS1_11target_archE942ELNS1_3gpuE9ELNS1_3repE0EEENS1_36merge_oddeven_config_static_selectorELNS0_4arch9wavefront6targetE1EEEvSL_: ; @_ZN7rocprim17ROCPRIM_400000_NS6detail17trampoline_kernelINS0_14default_configENS1_38merge_sort_block_merge_config_selectorIiNS0_10empty_typeEEEZZNS1_27merge_sort_block_merge_implIS3_N6thrust23THRUST_200600_302600_NS6detail15normal_iteratorINS9_10device_ptrIiEEEEPS5_jNS1_19radix_merge_compareILb0ELb0EiNS0_19identity_decomposerEEEEE10hipError_tT0_T1_T2_jT3_P12ihipStream_tbPNSt15iterator_traitsISK_E10value_typeEPNSQ_ISL_E10value_typeEPSM_NS1_7vsmem_tEENKUlT_SK_SL_SM_E_clISE_PiSF_SF_EESJ_SZ_SK_SL_SM_EUlSZ_E1_NS1_11comp_targetILNS1_3genE5ELNS1_11target_archE942ELNS1_3gpuE9ELNS1_3repE0EEENS1_36merge_oddeven_config_static_selectorELNS0_4arch9wavefront6targetE1EEEvSL_
; %bb.0:
	s_load_dword s16, s[0:1], 0x20
	s_waitcnt lgkmcnt(0)
	s_lshr_b32 s3, s16, 8
	s_cmp_lg_u32 s2, s3
	s_cselect_b64 s[12:13], -1, 0
	s_cmp_eq_u32 s2, s3
	s_cselect_b64 s[6:7], -1, 0
	s_lshl_b32 s14, s2, 8
	s_sub_i32 s3, s16, s14
	v_cmp_gt_u32_e64 s[4:5], s3, v0
	s_or_b64 s[8:9], s[12:13], s[4:5]
	s_and_saveexec_b64 s[10:11], s[8:9]
	s_cbranch_execz .LBB1656_20
; %bb.1:
	s_load_dwordx4 s[8:11], s[0:1], 0x0
	s_load_dword s17, s[0:1], 0x24
	s_mov_b32 s15, 0
	s_lshl_b64 s[0:1], s[14:15], 2
	v_lshlrev_b32_e32 v1, 2, v0
	s_waitcnt lgkmcnt(0)
	s_add_u32 s0, s8, s0
	s_addc_u32 s1, s9, s1
	global_load_dword v2, v1, s[0:1]
	s_lshr_b32 s0, s17, 8
	s_sub_i32 s1, 0, s0
	s_and_b32 s1, s2, s1
	s_and_b32 s0, s1, s0
	s_lshl_b32 s18, s1, 8
	s_sub_i32 s15, 0, s17
	s_cmp_eq_u32 s0, 0
	s_cselect_b64 s[0:1], -1, 0
	s_and_b64 s[2:3], s[0:1], exec
	s_cselect_b32 s15, s17, s15
	s_add_i32 s15, s15, s18
	s_cmp_lt_u32 s15, s16
	v_add_u32_e32 v0, s14, v0
	s_cbranch_scc1 .LBB1656_3
; %bb.2:
	v_cmp_gt_u32_e32 vcc, s16, v0
	s_or_b64 s[2:3], vcc, s[12:13]
	s_and_b64 s[2:3], s[2:3], exec
	s_cbranch_execz .LBB1656_4
	s_branch .LBB1656_18
.LBB1656_3:
	s_mov_b64 s[2:3], 0
.LBB1656_4:
	s_min_u32 s12, s15, s16
	s_min_u32 s14, s18, s12
	s_add_i32 s18, s18, s12
	s_add_i32 s13, s12, s17
	v_subrev_u32_e32 v0, s18, v0
	s_min_u32 s13, s13, s16
	v_add_u32_e32 v3, s14, v0
	s_and_b64 vcc, exec, s[6:7]
	s_cbranch_vccz .LBB1656_12
; %bb.5:
                                        ; implicit-def: $vgpr0
	s_and_saveexec_b64 s[6:7], s[4:5]
	s_cbranch_execz .LBB1656_11
; %bb.6:
	s_cmp_ge_u32 s15, s13
	v_mov_b32_e32 v4, s12
	s_cbranch_scc1 .LBB1656_10
; %bb.7:
	s_mov_b64 s[4:5], 0
	v_mov_b32_e32 v5, s13
	v_mov_b32_e32 v4, s12
	;; [unrolled: 1-line block ×3, first 2 shown]
.LBB1656_8:                             ; =>This Inner Loop Header: Depth=1
	v_add_u32_e32 v0, v4, v5
	v_lshrrev_b32_e32 v0, 1, v0
	v_lshl_add_u64 v[6:7], v[0:1], 2, s[8:9]
	global_load_dword v6, v[6:7], off
	v_add_u32_e32 v7, 1, v0
	s_waitcnt vmcnt(0)
	v_cmp_gt_i32_e32 vcc, v2, v6
	s_nop 1
	v_cndmask_b32_e64 v8, 0, 1, vcc
	v_cmp_le_i32_e32 vcc, v6, v2
	s_nop 1
	v_cndmask_b32_e64 v6, 0, 1, vcc
	v_cndmask_b32_e64 v6, v6, v8, s[0:1]
	v_and_b32_e32 v6, 1, v6
	v_cmp_eq_u32_e32 vcc, 1, v6
	s_nop 1
	v_cndmask_b32_e32 v5, v0, v5, vcc
	v_cndmask_b32_e32 v4, v4, v7, vcc
	v_cmp_ge_u32_e32 vcc, v4, v5
	s_or_b64 s[4:5], vcc, s[4:5]
	s_andn2_b64 exec, exec, s[4:5]
	s_cbranch_execnz .LBB1656_8
; %bb.9:
	s_or_b64 exec, exec, s[4:5]
.LBB1656_10:
	v_add_u32_e32 v0, v4, v3
	s_or_b64 s[2:3], s[2:3], exec
.LBB1656_11:
	s_or_b64 exec, exec, s[6:7]
	s_branch .LBB1656_18
.LBB1656_12:
                                        ; implicit-def: $vgpr0
	s_cbranch_execz .LBB1656_18
; %bb.13:
	s_cmp_ge_u32 s15, s13
	v_mov_b32_e32 v4, s12
	s_cbranch_scc1 .LBB1656_17
; %bb.14:
	s_mov_b64 s[2:3], 0
	v_mov_b32_e32 v5, s13
	v_mov_b32_e32 v4, s12
	;; [unrolled: 1-line block ×3, first 2 shown]
.LBB1656_15:                            ; =>This Inner Loop Header: Depth=1
	v_add_u32_e32 v0, v4, v5
	v_lshrrev_b32_e32 v0, 1, v0
	v_lshl_add_u64 v[6:7], v[0:1], 2, s[8:9]
	global_load_dword v6, v[6:7], off
	v_add_u32_e32 v7, 1, v0
	s_waitcnt vmcnt(0)
	v_cmp_gt_i32_e32 vcc, v2, v6
	s_nop 1
	v_cndmask_b32_e64 v8, 0, 1, vcc
	v_cmp_le_i32_e32 vcc, v6, v2
	s_nop 1
	v_cndmask_b32_e64 v6, 0, 1, vcc
	v_cndmask_b32_e64 v6, v6, v8, s[0:1]
	v_and_b32_e32 v6, 1, v6
	v_cmp_eq_u32_e32 vcc, 1, v6
	s_nop 1
	v_cndmask_b32_e32 v5, v0, v5, vcc
	v_cndmask_b32_e32 v4, v4, v7, vcc
	v_cmp_ge_u32_e32 vcc, v4, v5
	s_or_b64 s[2:3], vcc, s[2:3]
	s_andn2_b64 exec, exec, s[2:3]
	s_cbranch_execnz .LBB1656_15
; %bb.16:
	s_or_b64 exec, exec, s[2:3]
.LBB1656_17:
	v_add_u32_e32 v0, v4, v3
	s_mov_b64 s[2:3], -1
.LBB1656_18:
	s_and_b64 exec, exec, s[2:3]
	s_cbranch_execz .LBB1656_20
; %bb.19:
	v_mov_b32_e32 v4, s10
	v_mov_b32_e32 v5, s11
	;; [unrolled: 1-line block ×3, first 2 shown]
	v_lshl_add_u64 v[0:1], v[0:1], 2, v[4:5]
	s_waitcnt vmcnt(0)
	global_store_dword v[0:1], v2, off
.LBB1656_20:
	s_endpgm
	.section	.rodata,"a",@progbits
	.p2align	6, 0x0
	.amdhsa_kernel _ZN7rocprim17ROCPRIM_400000_NS6detail17trampoline_kernelINS0_14default_configENS1_38merge_sort_block_merge_config_selectorIiNS0_10empty_typeEEEZZNS1_27merge_sort_block_merge_implIS3_N6thrust23THRUST_200600_302600_NS6detail15normal_iteratorINS9_10device_ptrIiEEEEPS5_jNS1_19radix_merge_compareILb0ELb0EiNS0_19identity_decomposerEEEEE10hipError_tT0_T1_T2_jT3_P12ihipStream_tbPNSt15iterator_traitsISK_E10value_typeEPNSQ_ISL_E10value_typeEPSM_NS1_7vsmem_tEENKUlT_SK_SL_SM_E_clISE_PiSF_SF_EESJ_SZ_SK_SL_SM_EUlSZ_E1_NS1_11comp_targetILNS1_3genE5ELNS1_11target_archE942ELNS1_3gpuE9ELNS1_3repE0EEENS1_36merge_oddeven_config_static_selectorELNS0_4arch9wavefront6targetE1EEEvSL_
		.amdhsa_group_segment_fixed_size 0
		.amdhsa_private_segment_fixed_size 0
		.amdhsa_kernarg_size 48
		.amdhsa_user_sgpr_count 2
		.amdhsa_user_sgpr_dispatch_ptr 0
		.amdhsa_user_sgpr_queue_ptr 0
		.amdhsa_user_sgpr_kernarg_segment_ptr 1
		.amdhsa_user_sgpr_dispatch_id 0
		.amdhsa_user_sgpr_kernarg_preload_length 0
		.amdhsa_user_sgpr_kernarg_preload_offset 0
		.amdhsa_user_sgpr_private_segment_size 0
		.amdhsa_uses_dynamic_stack 0
		.amdhsa_enable_private_segment 0
		.amdhsa_system_sgpr_workgroup_id_x 1
		.amdhsa_system_sgpr_workgroup_id_y 0
		.amdhsa_system_sgpr_workgroup_id_z 0
		.amdhsa_system_sgpr_workgroup_info 0
		.amdhsa_system_vgpr_workitem_id 0
		.amdhsa_next_free_vgpr 9
		.amdhsa_next_free_sgpr 19
		.amdhsa_accum_offset 12
		.amdhsa_reserve_vcc 1
		.amdhsa_float_round_mode_32 0
		.amdhsa_float_round_mode_16_64 0
		.amdhsa_float_denorm_mode_32 3
		.amdhsa_float_denorm_mode_16_64 3
		.amdhsa_dx10_clamp 1
		.amdhsa_ieee_mode 1
		.amdhsa_fp16_overflow 0
		.amdhsa_tg_split 0
		.amdhsa_exception_fp_ieee_invalid_op 0
		.amdhsa_exception_fp_denorm_src 0
		.amdhsa_exception_fp_ieee_div_zero 0
		.amdhsa_exception_fp_ieee_overflow 0
		.amdhsa_exception_fp_ieee_underflow 0
		.amdhsa_exception_fp_ieee_inexact 0
		.amdhsa_exception_int_div_zero 0
	.end_amdhsa_kernel
	.section	.text._ZN7rocprim17ROCPRIM_400000_NS6detail17trampoline_kernelINS0_14default_configENS1_38merge_sort_block_merge_config_selectorIiNS0_10empty_typeEEEZZNS1_27merge_sort_block_merge_implIS3_N6thrust23THRUST_200600_302600_NS6detail15normal_iteratorINS9_10device_ptrIiEEEEPS5_jNS1_19radix_merge_compareILb0ELb0EiNS0_19identity_decomposerEEEEE10hipError_tT0_T1_T2_jT3_P12ihipStream_tbPNSt15iterator_traitsISK_E10value_typeEPNSQ_ISL_E10value_typeEPSM_NS1_7vsmem_tEENKUlT_SK_SL_SM_E_clISE_PiSF_SF_EESJ_SZ_SK_SL_SM_EUlSZ_E1_NS1_11comp_targetILNS1_3genE5ELNS1_11target_archE942ELNS1_3gpuE9ELNS1_3repE0EEENS1_36merge_oddeven_config_static_selectorELNS0_4arch9wavefront6targetE1EEEvSL_,"axG",@progbits,_ZN7rocprim17ROCPRIM_400000_NS6detail17trampoline_kernelINS0_14default_configENS1_38merge_sort_block_merge_config_selectorIiNS0_10empty_typeEEEZZNS1_27merge_sort_block_merge_implIS3_N6thrust23THRUST_200600_302600_NS6detail15normal_iteratorINS9_10device_ptrIiEEEEPS5_jNS1_19radix_merge_compareILb0ELb0EiNS0_19identity_decomposerEEEEE10hipError_tT0_T1_T2_jT3_P12ihipStream_tbPNSt15iterator_traitsISK_E10value_typeEPNSQ_ISL_E10value_typeEPSM_NS1_7vsmem_tEENKUlT_SK_SL_SM_E_clISE_PiSF_SF_EESJ_SZ_SK_SL_SM_EUlSZ_E1_NS1_11comp_targetILNS1_3genE5ELNS1_11target_archE942ELNS1_3gpuE9ELNS1_3repE0EEENS1_36merge_oddeven_config_static_selectorELNS0_4arch9wavefront6targetE1EEEvSL_,comdat
.Lfunc_end1656:
	.size	_ZN7rocprim17ROCPRIM_400000_NS6detail17trampoline_kernelINS0_14default_configENS1_38merge_sort_block_merge_config_selectorIiNS0_10empty_typeEEEZZNS1_27merge_sort_block_merge_implIS3_N6thrust23THRUST_200600_302600_NS6detail15normal_iteratorINS9_10device_ptrIiEEEEPS5_jNS1_19radix_merge_compareILb0ELb0EiNS0_19identity_decomposerEEEEE10hipError_tT0_T1_T2_jT3_P12ihipStream_tbPNSt15iterator_traitsISK_E10value_typeEPNSQ_ISL_E10value_typeEPSM_NS1_7vsmem_tEENKUlT_SK_SL_SM_E_clISE_PiSF_SF_EESJ_SZ_SK_SL_SM_EUlSZ_E1_NS1_11comp_targetILNS1_3genE5ELNS1_11target_archE942ELNS1_3gpuE9ELNS1_3repE0EEENS1_36merge_oddeven_config_static_selectorELNS0_4arch9wavefront6targetE1EEEvSL_, .Lfunc_end1656-_ZN7rocprim17ROCPRIM_400000_NS6detail17trampoline_kernelINS0_14default_configENS1_38merge_sort_block_merge_config_selectorIiNS0_10empty_typeEEEZZNS1_27merge_sort_block_merge_implIS3_N6thrust23THRUST_200600_302600_NS6detail15normal_iteratorINS9_10device_ptrIiEEEEPS5_jNS1_19radix_merge_compareILb0ELb0EiNS0_19identity_decomposerEEEEE10hipError_tT0_T1_T2_jT3_P12ihipStream_tbPNSt15iterator_traitsISK_E10value_typeEPNSQ_ISL_E10value_typeEPSM_NS1_7vsmem_tEENKUlT_SK_SL_SM_E_clISE_PiSF_SF_EESJ_SZ_SK_SL_SM_EUlSZ_E1_NS1_11comp_targetILNS1_3genE5ELNS1_11target_archE942ELNS1_3gpuE9ELNS1_3repE0EEENS1_36merge_oddeven_config_static_selectorELNS0_4arch9wavefront6targetE1EEEvSL_
                                        ; -- End function
	.section	.AMDGPU.csdata,"",@progbits
; Kernel info:
; codeLenInByte = 584
; NumSgprs: 25
; NumVgprs: 9
; NumAgprs: 0
; TotalNumVgprs: 9
; ScratchSize: 0
; MemoryBound: 0
; FloatMode: 240
; IeeeMode: 1
; LDSByteSize: 0 bytes/workgroup (compile time only)
; SGPRBlocks: 3
; VGPRBlocks: 1
; NumSGPRsForWavesPerEU: 25
; NumVGPRsForWavesPerEU: 9
; AccumOffset: 12
; Occupancy: 8
; WaveLimiterHint : 0
; COMPUTE_PGM_RSRC2:SCRATCH_EN: 0
; COMPUTE_PGM_RSRC2:USER_SGPR: 2
; COMPUTE_PGM_RSRC2:TRAP_HANDLER: 0
; COMPUTE_PGM_RSRC2:TGID_X_EN: 1
; COMPUTE_PGM_RSRC2:TGID_Y_EN: 0
; COMPUTE_PGM_RSRC2:TGID_Z_EN: 0
; COMPUTE_PGM_RSRC2:TIDIG_COMP_CNT: 0
; COMPUTE_PGM_RSRC3_GFX90A:ACCUM_OFFSET: 2
; COMPUTE_PGM_RSRC3_GFX90A:TG_SPLIT: 0
	.section	.text._ZN7rocprim17ROCPRIM_400000_NS6detail17trampoline_kernelINS0_14default_configENS1_38merge_sort_block_merge_config_selectorIiNS0_10empty_typeEEEZZNS1_27merge_sort_block_merge_implIS3_N6thrust23THRUST_200600_302600_NS6detail15normal_iteratorINS9_10device_ptrIiEEEEPS5_jNS1_19radix_merge_compareILb0ELb0EiNS0_19identity_decomposerEEEEE10hipError_tT0_T1_T2_jT3_P12ihipStream_tbPNSt15iterator_traitsISK_E10value_typeEPNSQ_ISL_E10value_typeEPSM_NS1_7vsmem_tEENKUlT_SK_SL_SM_E_clISE_PiSF_SF_EESJ_SZ_SK_SL_SM_EUlSZ_E1_NS1_11comp_targetILNS1_3genE4ELNS1_11target_archE910ELNS1_3gpuE8ELNS1_3repE0EEENS1_36merge_oddeven_config_static_selectorELNS0_4arch9wavefront6targetE1EEEvSL_,"axG",@progbits,_ZN7rocprim17ROCPRIM_400000_NS6detail17trampoline_kernelINS0_14default_configENS1_38merge_sort_block_merge_config_selectorIiNS0_10empty_typeEEEZZNS1_27merge_sort_block_merge_implIS3_N6thrust23THRUST_200600_302600_NS6detail15normal_iteratorINS9_10device_ptrIiEEEEPS5_jNS1_19radix_merge_compareILb0ELb0EiNS0_19identity_decomposerEEEEE10hipError_tT0_T1_T2_jT3_P12ihipStream_tbPNSt15iterator_traitsISK_E10value_typeEPNSQ_ISL_E10value_typeEPSM_NS1_7vsmem_tEENKUlT_SK_SL_SM_E_clISE_PiSF_SF_EESJ_SZ_SK_SL_SM_EUlSZ_E1_NS1_11comp_targetILNS1_3genE4ELNS1_11target_archE910ELNS1_3gpuE8ELNS1_3repE0EEENS1_36merge_oddeven_config_static_selectorELNS0_4arch9wavefront6targetE1EEEvSL_,comdat
	.protected	_ZN7rocprim17ROCPRIM_400000_NS6detail17trampoline_kernelINS0_14default_configENS1_38merge_sort_block_merge_config_selectorIiNS0_10empty_typeEEEZZNS1_27merge_sort_block_merge_implIS3_N6thrust23THRUST_200600_302600_NS6detail15normal_iteratorINS9_10device_ptrIiEEEEPS5_jNS1_19radix_merge_compareILb0ELb0EiNS0_19identity_decomposerEEEEE10hipError_tT0_T1_T2_jT3_P12ihipStream_tbPNSt15iterator_traitsISK_E10value_typeEPNSQ_ISL_E10value_typeEPSM_NS1_7vsmem_tEENKUlT_SK_SL_SM_E_clISE_PiSF_SF_EESJ_SZ_SK_SL_SM_EUlSZ_E1_NS1_11comp_targetILNS1_3genE4ELNS1_11target_archE910ELNS1_3gpuE8ELNS1_3repE0EEENS1_36merge_oddeven_config_static_selectorELNS0_4arch9wavefront6targetE1EEEvSL_ ; -- Begin function _ZN7rocprim17ROCPRIM_400000_NS6detail17trampoline_kernelINS0_14default_configENS1_38merge_sort_block_merge_config_selectorIiNS0_10empty_typeEEEZZNS1_27merge_sort_block_merge_implIS3_N6thrust23THRUST_200600_302600_NS6detail15normal_iteratorINS9_10device_ptrIiEEEEPS5_jNS1_19radix_merge_compareILb0ELb0EiNS0_19identity_decomposerEEEEE10hipError_tT0_T1_T2_jT3_P12ihipStream_tbPNSt15iterator_traitsISK_E10value_typeEPNSQ_ISL_E10value_typeEPSM_NS1_7vsmem_tEENKUlT_SK_SL_SM_E_clISE_PiSF_SF_EESJ_SZ_SK_SL_SM_EUlSZ_E1_NS1_11comp_targetILNS1_3genE4ELNS1_11target_archE910ELNS1_3gpuE8ELNS1_3repE0EEENS1_36merge_oddeven_config_static_selectorELNS0_4arch9wavefront6targetE1EEEvSL_
	.globl	_ZN7rocprim17ROCPRIM_400000_NS6detail17trampoline_kernelINS0_14default_configENS1_38merge_sort_block_merge_config_selectorIiNS0_10empty_typeEEEZZNS1_27merge_sort_block_merge_implIS3_N6thrust23THRUST_200600_302600_NS6detail15normal_iteratorINS9_10device_ptrIiEEEEPS5_jNS1_19radix_merge_compareILb0ELb0EiNS0_19identity_decomposerEEEEE10hipError_tT0_T1_T2_jT3_P12ihipStream_tbPNSt15iterator_traitsISK_E10value_typeEPNSQ_ISL_E10value_typeEPSM_NS1_7vsmem_tEENKUlT_SK_SL_SM_E_clISE_PiSF_SF_EESJ_SZ_SK_SL_SM_EUlSZ_E1_NS1_11comp_targetILNS1_3genE4ELNS1_11target_archE910ELNS1_3gpuE8ELNS1_3repE0EEENS1_36merge_oddeven_config_static_selectorELNS0_4arch9wavefront6targetE1EEEvSL_
	.p2align	8
	.type	_ZN7rocprim17ROCPRIM_400000_NS6detail17trampoline_kernelINS0_14default_configENS1_38merge_sort_block_merge_config_selectorIiNS0_10empty_typeEEEZZNS1_27merge_sort_block_merge_implIS3_N6thrust23THRUST_200600_302600_NS6detail15normal_iteratorINS9_10device_ptrIiEEEEPS5_jNS1_19radix_merge_compareILb0ELb0EiNS0_19identity_decomposerEEEEE10hipError_tT0_T1_T2_jT3_P12ihipStream_tbPNSt15iterator_traitsISK_E10value_typeEPNSQ_ISL_E10value_typeEPSM_NS1_7vsmem_tEENKUlT_SK_SL_SM_E_clISE_PiSF_SF_EESJ_SZ_SK_SL_SM_EUlSZ_E1_NS1_11comp_targetILNS1_3genE4ELNS1_11target_archE910ELNS1_3gpuE8ELNS1_3repE0EEENS1_36merge_oddeven_config_static_selectorELNS0_4arch9wavefront6targetE1EEEvSL_,@function
_ZN7rocprim17ROCPRIM_400000_NS6detail17trampoline_kernelINS0_14default_configENS1_38merge_sort_block_merge_config_selectorIiNS0_10empty_typeEEEZZNS1_27merge_sort_block_merge_implIS3_N6thrust23THRUST_200600_302600_NS6detail15normal_iteratorINS9_10device_ptrIiEEEEPS5_jNS1_19radix_merge_compareILb0ELb0EiNS0_19identity_decomposerEEEEE10hipError_tT0_T1_T2_jT3_P12ihipStream_tbPNSt15iterator_traitsISK_E10value_typeEPNSQ_ISL_E10value_typeEPSM_NS1_7vsmem_tEENKUlT_SK_SL_SM_E_clISE_PiSF_SF_EESJ_SZ_SK_SL_SM_EUlSZ_E1_NS1_11comp_targetILNS1_3genE4ELNS1_11target_archE910ELNS1_3gpuE8ELNS1_3repE0EEENS1_36merge_oddeven_config_static_selectorELNS0_4arch9wavefront6targetE1EEEvSL_: ; @_ZN7rocprim17ROCPRIM_400000_NS6detail17trampoline_kernelINS0_14default_configENS1_38merge_sort_block_merge_config_selectorIiNS0_10empty_typeEEEZZNS1_27merge_sort_block_merge_implIS3_N6thrust23THRUST_200600_302600_NS6detail15normal_iteratorINS9_10device_ptrIiEEEEPS5_jNS1_19radix_merge_compareILb0ELb0EiNS0_19identity_decomposerEEEEE10hipError_tT0_T1_T2_jT3_P12ihipStream_tbPNSt15iterator_traitsISK_E10value_typeEPNSQ_ISL_E10value_typeEPSM_NS1_7vsmem_tEENKUlT_SK_SL_SM_E_clISE_PiSF_SF_EESJ_SZ_SK_SL_SM_EUlSZ_E1_NS1_11comp_targetILNS1_3genE4ELNS1_11target_archE910ELNS1_3gpuE8ELNS1_3repE0EEENS1_36merge_oddeven_config_static_selectorELNS0_4arch9wavefront6targetE1EEEvSL_
; %bb.0:
	.section	.rodata,"a",@progbits
	.p2align	6, 0x0
	.amdhsa_kernel _ZN7rocprim17ROCPRIM_400000_NS6detail17trampoline_kernelINS0_14default_configENS1_38merge_sort_block_merge_config_selectorIiNS0_10empty_typeEEEZZNS1_27merge_sort_block_merge_implIS3_N6thrust23THRUST_200600_302600_NS6detail15normal_iteratorINS9_10device_ptrIiEEEEPS5_jNS1_19radix_merge_compareILb0ELb0EiNS0_19identity_decomposerEEEEE10hipError_tT0_T1_T2_jT3_P12ihipStream_tbPNSt15iterator_traitsISK_E10value_typeEPNSQ_ISL_E10value_typeEPSM_NS1_7vsmem_tEENKUlT_SK_SL_SM_E_clISE_PiSF_SF_EESJ_SZ_SK_SL_SM_EUlSZ_E1_NS1_11comp_targetILNS1_3genE4ELNS1_11target_archE910ELNS1_3gpuE8ELNS1_3repE0EEENS1_36merge_oddeven_config_static_selectorELNS0_4arch9wavefront6targetE1EEEvSL_
		.amdhsa_group_segment_fixed_size 0
		.amdhsa_private_segment_fixed_size 0
		.amdhsa_kernarg_size 48
		.amdhsa_user_sgpr_count 2
		.amdhsa_user_sgpr_dispatch_ptr 0
		.amdhsa_user_sgpr_queue_ptr 0
		.amdhsa_user_sgpr_kernarg_segment_ptr 1
		.amdhsa_user_sgpr_dispatch_id 0
		.amdhsa_user_sgpr_kernarg_preload_length 0
		.amdhsa_user_sgpr_kernarg_preload_offset 0
		.amdhsa_user_sgpr_private_segment_size 0
		.amdhsa_uses_dynamic_stack 0
		.amdhsa_enable_private_segment 0
		.amdhsa_system_sgpr_workgroup_id_x 1
		.amdhsa_system_sgpr_workgroup_id_y 0
		.amdhsa_system_sgpr_workgroup_id_z 0
		.amdhsa_system_sgpr_workgroup_info 0
		.amdhsa_system_vgpr_workitem_id 0
		.amdhsa_next_free_vgpr 1
		.amdhsa_next_free_sgpr 0
		.amdhsa_accum_offset 4
		.amdhsa_reserve_vcc 0
		.amdhsa_float_round_mode_32 0
		.amdhsa_float_round_mode_16_64 0
		.amdhsa_float_denorm_mode_32 3
		.amdhsa_float_denorm_mode_16_64 3
		.amdhsa_dx10_clamp 1
		.amdhsa_ieee_mode 1
		.amdhsa_fp16_overflow 0
		.amdhsa_tg_split 0
		.amdhsa_exception_fp_ieee_invalid_op 0
		.amdhsa_exception_fp_denorm_src 0
		.amdhsa_exception_fp_ieee_div_zero 0
		.amdhsa_exception_fp_ieee_overflow 0
		.amdhsa_exception_fp_ieee_underflow 0
		.amdhsa_exception_fp_ieee_inexact 0
		.amdhsa_exception_int_div_zero 0
	.end_amdhsa_kernel
	.section	.text._ZN7rocprim17ROCPRIM_400000_NS6detail17trampoline_kernelINS0_14default_configENS1_38merge_sort_block_merge_config_selectorIiNS0_10empty_typeEEEZZNS1_27merge_sort_block_merge_implIS3_N6thrust23THRUST_200600_302600_NS6detail15normal_iteratorINS9_10device_ptrIiEEEEPS5_jNS1_19radix_merge_compareILb0ELb0EiNS0_19identity_decomposerEEEEE10hipError_tT0_T1_T2_jT3_P12ihipStream_tbPNSt15iterator_traitsISK_E10value_typeEPNSQ_ISL_E10value_typeEPSM_NS1_7vsmem_tEENKUlT_SK_SL_SM_E_clISE_PiSF_SF_EESJ_SZ_SK_SL_SM_EUlSZ_E1_NS1_11comp_targetILNS1_3genE4ELNS1_11target_archE910ELNS1_3gpuE8ELNS1_3repE0EEENS1_36merge_oddeven_config_static_selectorELNS0_4arch9wavefront6targetE1EEEvSL_,"axG",@progbits,_ZN7rocprim17ROCPRIM_400000_NS6detail17trampoline_kernelINS0_14default_configENS1_38merge_sort_block_merge_config_selectorIiNS0_10empty_typeEEEZZNS1_27merge_sort_block_merge_implIS3_N6thrust23THRUST_200600_302600_NS6detail15normal_iteratorINS9_10device_ptrIiEEEEPS5_jNS1_19radix_merge_compareILb0ELb0EiNS0_19identity_decomposerEEEEE10hipError_tT0_T1_T2_jT3_P12ihipStream_tbPNSt15iterator_traitsISK_E10value_typeEPNSQ_ISL_E10value_typeEPSM_NS1_7vsmem_tEENKUlT_SK_SL_SM_E_clISE_PiSF_SF_EESJ_SZ_SK_SL_SM_EUlSZ_E1_NS1_11comp_targetILNS1_3genE4ELNS1_11target_archE910ELNS1_3gpuE8ELNS1_3repE0EEENS1_36merge_oddeven_config_static_selectorELNS0_4arch9wavefront6targetE1EEEvSL_,comdat
.Lfunc_end1657:
	.size	_ZN7rocprim17ROCPRIM_400000_NS6detail17trampoline_kernelINS0_14default_configENS1_38merge_sort_block_merge_config_selectorIiNS0_10empty_typeEEEZZNS1_27merge_sort_block_merge_implIS3_N6thrust23THRUST_200600_302600_NS6detail15normal_iteratorINS9_10device_ptrIiEEEEPS5_jNS1_19radix_merge_compareILb0ELb0EiNS0_19identity_decomposerEEEEE10hipError_tT0_T1_T2_jT3_P12ihipStream_tbPNSt15iterator_traitsISK_E10value_typeEPNSQ_ISL_E10value_typeEPSM_NS1_7vsmem_tEENKUlT_SK_SL_SM_E_clISE_PiSF_SF_EESJ_SZ_SK_SL_SM_EUlSZ_E1_NS1_11comp_targetILNS1_3genE4ELNS1_11target_archE910ELNS1_3gpuE8ELNS1_3repE0EEENS1_36merge_oddeven_config_static_selectorELNS0_4arch9wavefront6targetE1EEEvSL_, .Lfunc_end1657-_ZN7rocprim17ROCPRIM_400000_NS6detail17trampoline_kernelINS0_14default_configENS1_38merge_sort_block_merge_config_selectorIiNS0_10empty_typeEEEZZNS1_27merge_sort_block_merge_implIS3_N6thrust23THRUST_200600_302600_NS6detail15normal_iteratorINS9_10device_ptrIiEEEEPS5_jNS1_19radix_merge_compareILb0ELb0EiNS0_19identity_decomposerEEEEE10hipError_tT0_T1_T2_jT3_P12ihipStream_tbPNSt15iterator_traitsISK_E10value_typeEPNSQ_ISL_E10value_typeEPSM_NS1_7vsmem_tEENKUlT_SK_SL_SM_E_clISE_PiSF_SF_EESJ_SZ_SK_SL_SM_EUlSZ_E1_NS1_11comp_targetILNS1_3genE4ELNS1_11target_archE910ELNS1_3gpuE8ELNS1_3repE0EEENS1_36merge_oddeven_config_static_selectorELNS0_4arch9wavefront6targetE1EEEvSL_
                                        ; -- End function
	.section	.AMDGPU.csdata,"",@progbits
; Kernel info:
; codeLenInByte = 0
; NumSgprs: 6
; NumVgprs: 0
; NumAgprs: 0
; TotalNumVgprs: 0
; ScratchSize: 0
; MemoryBound: 0
; FloatMode: 240
; IeeeMode: 1
; LDSByteSize: 0 bytes/workgroup (compile time only)
; SGPRBlocks: 0
; VGPRBlocks: 0
; NumSGPRsForWavesPerEU: 6
; NumVGPRsForWavesPerEU: 1
; AccumOffset: 4
; Occupancy: 8
; WaveLimiterHint : 0
; COMPUTE_PGM_RSRC2:SCRATCH_EN: 0
; COMPUTE_PGM_RSRC2:USER_SGPR: 2
; COMPUTE_PGM_RSRC2:TRAP_HANDLER: 0
; COMPUTE_PGM_RSRC2:TGID_X_EN: 1
; COMPUTE_PGM_RSRC2:TGID_Y_EN: 0
; COMPUTE_PGM_RSRC2:TGID_Z_EN: 0
; COMPUTE_PGM_RSRC2:TIDIG_COMP_CNT: 0
; COMPUTE_PGM_RSRC3_GFX90A:ACCUM_OFFSET: 0
; COMPUTE_PGM_RSRC3_GFX90A:TG_SPLIT: 0
	.section	.text._ZN7rocprim17ROCPRIM_400000_NS6detail17trampoline_kernelINS0_14default_configENS1_38merge_sort_block_merge_config_selectorIiNS0_10empty_typeEEEZZNS1_27merge_sort_block_merge_implIS3_N6thrust23THRUST_200600_302600_NS6detail15normal_iteratorINS9_10device_ptrIiEEEEPS5_jNS1_19radix_merge_compareILb0ELb0EiNS0_19identity_decomposerEEEEE10hipError_tT0_T1_T2_jT3_P12ihipStream_tbPNSt15iterator_traitsISK_E10value_typeEPNSQ_ISL_E10value_typeEPSM_NS1_7vsmem_tEENKUlT_SK_SL_SM_E_clISE_PiSF_SF_EESJ_SZ_SK_SL_SM_EUlSZ_E1_NS1_11comp_targetILNS1_3genE3ELNS1_11target_archE908ELNS1_3gpuE7ELNS1_3repE0EEENS1_36merge_oddeven_config_static_selectorELNS0_4arch9wavefront6targetE1EEEvSL_,"axG",@progbits,_ZN7rocprim17ROCPRIM_400000_NS6detail17trampoline_kernelINS0_14default_configENS1_38merge_sort_block_merge_config_selectorIiNS0_10empty_typeEEEZZNS1_27merge_sort_block_merge_implIS3_N6thrust23THRUST_200600_302600_NS6detail15normal_iteratorINS9_10device_ptrIiEEEEPS5_jNS1_19radix_merge_compareILb0ELb0EiNS0_19identity_decomposerEEEEE10hipError_tT0_T1_T2_jT3_P12ihipStream_tbPNSt15iterator_traitsISK_E10value_typeEPNSQ_ISL_E10value_typeEPSM_NS1_7vsmem_tEENKUlT_SK_SL_SM_E_clISE_PiSF_SF_EESJ_SZ_SK_SL_SM_EUlSZ_E1_NS1_11comp_targetILNS1_3genE3ELNS1_11target_archE908ELNS1_3gpuE7ELNS1_3repE0EEENS1_36merge_oddeven_config_static_selectorELNS0_4arch9wavefront6targetE1EEEvSL_,comdat
	.protected	_ZN7rocprim17ROCPRIM_400000_NS6detail17trampoline_kernelINS0_14default_configENS1_38merge_sort_block_merge_config_selectorIiNS0_10empty_typeEEEZZNS1_27merge_sort_block_merge_implIS3_N6thrust23THRUST_200600_302600_NS6detail15normal_iteratorINS9_10device_ptrIiEEEEPS5_jNS1_19radix_merge_compareILb0ELb0EiNS0_19identity_decomposerEEEEE10hipError_tT0_T1_T2_jT3_P12ihipStream_tbPNSt15iterator_traitsISK_E10value_typeEPNSQ_ISL_E10value_typeEPSM_NS1_7vsmem_tEENKUlT_SK_SL_SM_E_clISE_PiSF_SF_EESJ_SZ_SK_SL_SM_EUlSZ_E1_NS1_11comp_targetILNS1_3genE3ELNS1_11target_archE908ELNS1_3gpuE7ELNS1_3repE0EEENS1_36merge_oddeven_config_static_selectorELNS0_4arch9wavefront6targetE1EEEvSL_ ; -- Begin function _ZN7rocprim17ROCPRIM_400000_NS6detail17trampoline_kernelINS0_14default_configENS1_38merge_sort_block_merge_config_selectorIiNS0_10empty_typeEEEZZNS1_27merge_sort_block_merge_implIS3_N6thrust23THRUST_200600_302600_NS6detail15normal_iteratorINS9_10device_ptrIiEEEEPS5_jNS1_19radix_merge_compareILb0ELb0EiNS0_19identity_decomposerEEEEE10hipError_tT0_T1_T2_jT3_P12ihipStream_tbPNSt15iterator_traitsISK_E10value_typeEPNSQ_ISL_E10value_typeEPSM_NS1_7vsmem_tEENKUlT_SK_SL_SM_E_clISE_PiSF_SF_EESJ_SZ_SK_SL_SM_EUlSZ_E1_NS1_11comp_targetILNS1_3genE3ELNS1_11target_archE908ELNS1_3gpuE7ELNS1_3repE0EEENS1_36merge_oddeven_config_static_selectorELNS0_4arch9wavefront6targetE1EEEvSL_
	.globl	_ZN7rocprim17ROCPRIM_400000_NS6detail17trampoline_kernelINS0_14default_configENS1_38merge_sort_block_merge_config_selectorIiNS0_10empty_typeEEEZZNS1_27merge_sort_block_merge_implIS3_N6thrust23THRUST_200600_302600_NS6detail15normal_iteratorINS9_10device_ptrIiEEEEPS5_jNS1_19radix_merge_compareILb0ELb0EiNS0_19identity_decomposerEEEEE10hipError_tT0_T1_T2_jT3_P12ihipStream_tbPNSt15iterator_traitsISK_E10value_typeEPNSQ_ISL_E10value_typeEPSM_NS1_7vsmem_tEENKUlT_SK_SL_SM_E_clISE_PiSF_SF_EESJ_SZ_SK_SL_SM_EUlSZ_E1_NS1_11comp_targetILNS1_3genE3ELNS1_11target_archE908ELNS1_3gpuE7ELNS1_3repE0EEENS1_36merge_oddeven_config_static_selectorELNS0_4arch9wavefront6targetE1EEEvSL_
	.p2align	8
	.type	_ZN7rocprim17ROCPRIM_400000_NS6detail17trampoline_kernelINS0_14default_configENS1_38merge_sort_block_merge_config_selectorIiNS0_10empty_typeEEEZZNS1_27merge_sort_block_merge_implIS3_N6thrust23THRUST_200600_302600_NS6detail15normal_iteratorINS9_10device_ptrIiEEEEPS5_jNS1_19radix_merge_compareILb0ELb0EiNS0_19identity_decomposerEEEEE10hipError_tT0_T1_T2_jT3_P12ihipStream_tbPNSt15iterator_traitsISK_E10value_typeEPNSQ_ISL_E10value_typeEPSM_NS1_7vsmem_tEENKUlT_SK_SL_SM_E_clISE_PiSF_SF_EESJ_SZ_SK_SL_SM_EUlSZ_E1_NS1_11comp_targetILNS1_3genE3ELNS1_11target_archE908ELNS1_3gpuE7ELNS1_3repE0EEENS1_36merge_oddeven_config_static_selectorELNS0_4arch9wavefront6targetE1EEEvSL_,@function
_ZN7rocprim17ROCPRIM_400000_NS6detail17trampoline_kernelINS0_14default_configENS1_38merge_sort_block_merge_config_selectorIiNS0_10empty_typeEEEZZNS1_27merge_sort_block_merge_implIS3_N6thrust23THRUST_200600_302600_NS6detail15normal_iteratorINS9_10device_ptrIiEEEEPS5_jNS1_19radix_merge_compareILb0ELb0EiNS0_19identity_decomposerEEEEE10hipError_tT0_T1_T2_jT3_P12ihipStream_tbPNSt15iterator_traitsISK_E10value_typeEPNSQ_ISL_E10value_typeEPSM_NS1_7vsmem_tEENKUlT_SK_SL_SM_E_clISE_PiSF_SF_EESJ_SZ_SK_SL_SM_EUlSZ_E1_NS1_11comp_targetILNS1_3genE3ELNS1_11target_archE908ELNS1_3gpuE7ELNS1_3repE0EEENS1_36merge_oddeven_config_static_selectorELNS0_4arch9wavefront6targetE1EEEvSL_: ; @_ZN7rocprim17ROCPRIM_400000_NS6detail17trampoline_kernelINS0_14default_configENS1_38merge_sort_block_merge_config_selectorIiNS0_10empty_typeEEEZZNS1_27merge_sort_block_merge_implIS3_N6thrust23THRUST_200600_302600_NS6detail15normal_iteratorINS9_10device_ptrIiEEEEPS5_jNS1_19radix_merge_compareILb0ELb0EiNS0_19identity_decomposerEEEEE10hipError_tT0_T1_T2_jT3_P12ihipStream_tbPNSt15iterator_traitsISK_E10value_typeEPNSQ_ISL_E10value_typeEPSM_NS1_7vsmem_tEENKUlT_SK_SL_SM_E_clISE_PiSF_SF_EESJ_SZ_SK_SL_SM_EUlSZ_E1_NS1_11comp_targetILNS1_3genE3ELNS1_11target_archE908ELNS1_3gpuE7ELNS1_3repE0EEENS1_36merge_oddeven_config_static_selectorELNS0_4arch9wavefront6targetE1EEEvSL_
; %bb.0:
	.section	.rodata,"a",@progbits
	.p2align	6, 0x0
	.amdhsa_kernel _ZN7rocprim17ROCPRIM_400000_NS6detail17trampoline_kernelINS0_14default_configENS1_38merge_sort_block_merge_config_selectorIiNS0_10empty_typeEEEZZNS1_27merge_sort_block_merge_implIS3_N6thrust23THRUST_200600_302600_NS6detail15normal_iteratorINS9_10device_ptrIiEEEEPS5_jNS1_19radix_merge_compareILb0ELb0EiNS0_19identity_decomposerEEEEE10hipError_tT0_T1_T2_jT3_P12ihipStream_tbPNSt15iterator_traitsISK_E10value_typeEPNSQ_ISL_E10value_typeEPSM_NS1_7vsmem_tEENKUlT_SK_SL_SM_E_clISE_PiSF_SF_EESJ_SZ_SK_SL_SM_EUlSZ_E1_NS1_11comp_targetILNS1_3genE3ELNS1_11target_archE908ELNS1_3gpuE7ELNS1_3repE0EEENS1_36merge_oddeven_config_static_selectorELNS0_4arch9wavefront6targetE1EEEvSL_
		.amdhsa_group_segment_fixed_size 0
		.amdhsa_private_segment_fixed_size 0
		.amdhsa_kernarg_size 48
		.amdhsa_user_sgpr_count 2
		.amdhsa_user_sgpr_dispatch_ptr 0
		.amdhsa_user_sgpr_queue_ptr 0
		.amdhsa_user_sgpr_kernarg_segment_ptr 1
		.amdhsa_user_sgpr_dispatch_id 0
		.amdhsa_user_sgpr_kernarg_preload_length 0
		.amdhsa_user_sgpr_kernarg_preload_offset 0
		.amdhsa_user_sgpr_private_segment_size 0
		.amdhsa_uses_dynamic_stack 0
		.amdhsa_enable_private_segment 0
		.amdhsa_system_sgpr_workgroup_id_x 1
		.amdhsa_system_sgpr_workgroup_id_y 0
		.amdhsa_system_sgpr_workgroup_id_z 0
		.amdhsa_system_sgpr_workgroup_info 0
		.amdhsa_system_vgpr_workitem_id 0
		.amdhsa_next_free_vgpr 1
		.amdhsa_next_free_sgpr 0
		.amdhsa_accum_offset 4
		.amdhsa_reserve_vcc 0
		.amdhsa_float_round_mode_32 0
		.amdhsa_float_round_mode_16_64 0
		.amdhsa_float_denorm_mode_32 3
		.amdhsa_float_denorm_mode_16_64 3
		.amdhsa_dx10_clamp 1
		.amdhsa_ieee_mode 1
		.amdhsa_fp16_overflow 0
		.amdhsa_tg_split 0
		.amdhsa_exception_fp_ieee_invalid_op 0
		.amdhsa_exception_fp_denorm_src 0
		.amdhsa_exception_fp_ieee_div_zero 0
		.amdhsa_exception_fp_ieee_overflow 0
		.amdhsa_exception_fp_ieee_underflow 0
		.amdhsa_exception_fp_ieee_inexact 0
		.amdhsa_exception_int_div_zero 0
	.end_amdhsa_kernel
	.section	.text._ZN7rocprim17ROCPRIM_400000_NS6detail17trampoline_kernelINS0_14default_configENS1_38merge_sort_block_merge_config_selectorIiNS0_10empty_typeEEEZZNS1_27merge_sort_block_merge_implIS3_N6thrust23THRUST_200600_302600_NS6detail15normal_iteratorINS9_10device_ptrIiEEEEPS5_jNS1_19radix_merge_compareILb0ELb0EiNS0_19identity_decomposerEEEEE10hipError_tT0_T1_T2_jT3_P12ihipStream_tbPNSt15iterator_traitsISK_E10value_typeEPNSQ_ISL_E10value_typeEPSM_NS1_7vsmem_tEENKUlT_SK_SL_SM_E_clISE_PiSF_SF_EESJ_SZ_SK_SL_SM_EUlSZ_E1_NS1_11comp_targetILNS1_3genE3ELNS1_11target_archE908ELNS1_3gpuE7ELNS1_3repE0EEENS1_36merge_oddeven_config_static_selectorELNS0_4arch9wavefront6targetE1EEEvSL_,"axG",@progbits,_ZN7rocprim17ROCPRIM_400000_NS6detail17trampoline_kernelINS0_14default_configENS1_38merge_sort_block_merge_config_selectorIiNS0_10empty_typeEEEZZNS1_27merge_sort_block_merge_implIS3_N6thrust23THRUST_200600_302600_NS6detail15normal_iteratorINS9_10device_ptrIiEEEEPS5_jNS1_19radix_merge_compareILb0ELb0EiNS0_19identity_decomposerEEEEE10hipError_tT0_T1_T2_jT3_P12ihipStream_tbPNSt15iterator_traitsISK_E10value_typeEPNSQ_ISL_E10value_typeEPSM_NS1_7vsmem_tEENKUlT_SK_SL_SM_E_clISE_PiSF_SF_EESJ_SZ_SK_SL_SM_EUlSZ_E1_NS1_11comp_targetILNS1_3genE3ELNS1_11target_archE908ELNS1_3gpuE7ELNS1_3repE0EEENS1_36merge_oddeven_config_static_selectorELNS0_4arch9wavefront6targetE1EEEvSL_,comdat
.Lfunc_end1658:
	.size	_ZN7rocprim17ROCPRIM_400000_NS6detail17trampoline_kernelINS0_14default_configENS1_38merge_sort_block_merge_config_selectorIiNS0_10empty_typeEEEZZNS1_27merge_sort_block_merge_implIS3_N6thrust23THRUST_200600_302600_NS6detail15normal_iteratorINS9_10device_ptrIiEEEEPS5_jNS1_19radix_merge_compareILb0ELb0EiNS0_19identity_decomposerEEEEE10hipError_tT0_T1_T2_jT3_P12ihipStream_tbPNSt15iterator_traitsISK_E10value_typeEPNSQ_ISL_E10value_typeEPSM_NS1_7vsmem_tEENKUlT_SK_SL_SM_E_clISE_PiSF_SF_EESJ_SZ_SK_SL_SM_EUlSZ_E1_NS1_11comp_targetILNS1_3genE3ELNS1_11target_archE908ELNS1_3gpuE7ELNS1_3repE0EEENS1_36merge_oddeven_config_static_selectorELNS0_4arch9wavefront6targetE1EEEvSL_, .Lfunc_end1658-_ZN7rocprim17ROCPRIM_400000_NS6detail17trampoline_kernelINS0_14default_configENS1_38merge_sort_block_merge_config_selectorIiNS0_10empty_typeEEEZZNS1_27merge_sort_block_merge_implIS3_N6thrust23THRUST_200600_302600_NS6detail15normal_iteratorINS9_10device_ptrIiEEEEPS5_jNS1_19radix_merge_compareILb0ELb0EiNS0_19identity_decomposerEEEEE10hipError_tT0_T1_T2_jT3_P12ihipStream_tbPNSt15iterator_traitsISK_E10value_typeEPNSQ_ISL_E10value_typeEPSM_NS1_7vsmem_tEENKUlT_SK_SL_SM_E_clISE_PiSF_SF_EESJ_SZ_SK_SL_SM_EUlSZ_E1_NS1_11comp_targetILNS1_3genE3ELNS1_11target_archE908ELNS1_3gpuE7ELNS1_3repE0EEENS1_36merge_oddeven_config_static_selectorELNS0_4arch9wavefront6targetE1EEEvSL_
                                        ; -- End function
	.section	.AMDGPU.csdata,"",@progbits
; Kernel info:
; codeLenInByte = 0
; NumSgprs: 6
; NumVgprs: 0
; NumAgprs: 0
; TotalNumVgprs: 0
; ScratchSize: 0
; MemoryBound: 0
; FloatMode: 240
; IeeeMode: 1
; LDSByteSize: 0 bytes/workgroup (compile time only)
; SGPRBlocks: 0
; VGPRBlocks: 0
; NumSGPRsForWavesPerEU: 6
; NumVGPRsForWavesPerEU: 1
; AccumOffset: 4
; Occupancy: 8
; WaveLimiterHint : 0
; COMPUTE_PGM_RSRC2:SCRATCH_EN: 0
; COMPUTE_PGM_RSRC2:USER_SGPR: 2
; COMPUTE_PGM_RSRC2:TRAP_HANDLER: 0
; COMPUTE_PGM_RSRC2:TGID_X_EN: 1
; COMPUTE_PGM_RSRC2:TGID_Y_EN: 0
; COMPUTE_PGM_RSRC2:TGID_Z_EN: 0
; COMPUTE_PGM_RSRC2:TIDIG_COMP_CNT: 0
; COMPUTE_PGM_RSRC3_GFX90A:ACCUM_OFFSET: 0
; COMPUTE_PGM_RSRC3_GFX90A:TG_SPLIT: 0
	.section	.text._ZN7rocprim17ROCPRIM_400000_NS6detail17trampoline_kernelINS0_14default_configENS1_38merge_sort_block_merge_config_selectorIiNS0_10empty_typeEEEZZNS1_27merge_sort_block_merge_implIS3_N6thrust23THRUST_200600_302600_NS6detail15normal_iteratorINS9_10device_ptrIiEEEEPS5_jNS1_19radix_merge_compareILb0ELb0EiNS0_19identity_decomposerEEEEE10hipError_tT0_T1_T2_jT3_P12ihipStream_tbPNSt15iterator_traitsISK_E10value_typeEPNSQ_ISL_E10value_typeEPSM_NS1_7vsmem_tEENKUlT_SK_SL_SM_E_clISE_PiSF_SF_EESJ_SZ_SK_SL_SM_EUlSZ_E1_NS1_11comp_targetILNS1_3genE2ELNS1_11target_archE906ELNS1_3gpuE6ELNS1_3repE0EEENS1_36merge_oddeven_config_static_selectorELNS0_4arch9wavefront6targetE1EEEvSL_,"axG",@progbits,_ZN7rocprim17ROCPRIM_400000_NS6detail17trampoline_kernelINS0_14default_configENS1_38merge_sort_block_merge_config_selectorIiNS0_10empty_typeEEEZZNS1_27merge_sort_block_merge_implIS3_N6thrust23THRUST_200600_302600_NS6detail15normal_iteratorINS9_10device_ptrIiEEEEPS5_jNS1_19radix_merge_compareILb0ELb0EiNS0_19identity_decomposerEEEEE10hipError_tT0_T1_T2_jT3_P12ihipStream_tbPNSt15iterator_traitsISK_E10value_typeEPNSQ_ISL_E10value_typeEPSM_NS1_7vsmem_tEENKUlT_SK_SL_SM_E_clISE_PiSF_SF_EESJ_SZ_SK_SL_SM_EUlSZ_E1_NS1_11comp_targetILNS1_3genE2ELNS1_11target_archE906ELNS1_3gpuE6ELNS1_3repE0EEENS1_36merge_oddeven_config_static_selectorELNS0_4arch9wavefront6targetE1EEEvSL_,comdat
	.protected	_ZN7rocprim17ROCPRIM_400000_NS6detail17trampoline_kernelINS0_14default_configENS1_38merge_sort_block_merge_config_selectorIiNS0_10empty_typeEEEZZNS1_27merge_sort_block_merge_implIS3_N6thrust23THRUST_200600_302600_NS6detail15normal_iteratorINS9_10device_ptrIiEEEEPS5_jNS1_19radix_merge_compareILb0ELb0EiNS0_19identity_decomposerEEEEE10hipError_tT0_T1_T2_jT3_P12ihipStream_tbPNSt15iterator_traitsISK_E10value_typeEPNSQ_ISL_E10value_typeEPSM_NS1_7vsmem_tEENKUlT_SK_SL_SM_E_clISE_PiSF_SF_EESJ_SZ_SK_SL_SM_EUlSZ_E1_NS1_11comp_targetILNS1_3genE2ELNS1_11target_archE906ELNS1_3gpuE6ELNS1_3repE0EEENS1_36merge_oddeven_config_static_selectorELNS0_4arch9wavefront6targetE1EEEvSL_ ; -- Begin function _ZN7rocprim17ROCPRIM_400000_NS6detail17trampoline_kernelINS0_14default_configENS1_38merge_sort_block_merge_config_selectorIiNS0_10empty_typeEEEZZNS1_27merge_sort_block_merge_implIS3_N6thrust23THRUST_200600_302600_NS6detail15normal_iteratorINS9_10device_ptrIiEEEEPS5_jNS1_19radix_merge_compareILb0ELb0EiNS0_19identity_decomposerEEEEE10hipError_tT0_T1_T2_jT3_P12ihipStream_tbPNSt15iterator_traitsISK_E10value_typeEPNSQ_ISL_E10value_typeEPSM_NS1_7vsmem_tEENKUlT_SK_SL_SM_E_clISE_PiSF_SF_EESJ_SZ_SK_SL_SM_EUlSZ_E1_NS1_11comp_targetILNS1_3genE2ELNS1_11target_archE906ELNS1_3gpuE6ELNS1_3repE0EEENS1_36merge_oddeven_config_static_selectorELNS0_4arch9wavefront6targetE1EEEvSL_
	.globl	_ZN7rocprim17ROCPRIM_400000_NS6detail17trampoline_kernelINS0_14default_configENS1_38merge_sort_block_merge_config_selectorIiNS0_10empty_typeEEEZZNS1_27merge_sort_block_merge_implIS3_N6thrust23THRUST_200600_302600_NS6detail15normal_iteratorINS9_10device_ptrIiEEEEPS5_jNS1_19radix_merge_compareILb0ELb0EiNS0_19identity_decomposerEEEEE10hipError_tT0_T1_T2_jT3_P12ihipStream_tbPNSt15iterator_traitsISK_E10value_typeEPNSQ_ISL_E10value_typeEPSM_NS1_7vsmem_tEENKUlT_SK_SL_SM_E_clISE_PiSF_SF_EESJ_SZ_SK_SL_SM_EUlSZ_E1_NS1_11comp_targetILNS1_3genE2ELNS1_11target_archE906ELNS1_3gpuE6ELNS1_3repE0EEENS1_36merge_oddeven_config_static_selectorELNS0_4arch9wavefront6targetE1EEEvSL_
	.p2align	8
	.type	_ZN7rocprim17ROCPRIM_400000_NS6detail17trampoline_kernelINS0_14default_configENS1_38merge_sort_block_merge_config_selectorIiNS0_10empty_typeEEEZZNS1_27merge_sort_block_merge_implIS3_N6thrust23THRUST_200600_302600_NS6detail15normal_iteratorINS9_10device_ptrIiEEEEPS5_jNS1_19radix_merge_compareILb0ELb0EiNS0_19identity_decomposerEEEEE10hipError_tT0_T1_T2_jT3_P12ihipStream_tbPNSt15iterator_traitsISK_E10value_typeEPNSQ_ISL_E10value_typeEPSM_NS1_7vsmem_tEENKUlT_SK_SL_SM_E_clISE_PiSF_SF_EESJ_SZ_SK_SL_SM_EUlSZ_E1_NS1_11comp_targetILNS1_3genE2ELNS1_11target_archE906ELNS1_3gpuE6ELNS1_3repE0EEENS1_36merge_oddeven_config_static_selectorELNS0_4arch9wavefront6targetE1EEEvSL_,@function
_ZN7rocprim17ROCPRIM_400000_NS6detail17trampoline_kernelINS0_14default_configENS1_38merge_sort_block_merge_config_selectorIiNS0_10empty_typeEEEZZNS1_27merge_sort_block_merge_implIS3_N6thrust23THRUST_200600_302600_NS6detail15normal_iteratorINS9_10device_ptrIiEEEEPS5_jNS1_19radix_merge_compareILb0ELb0EiNS0_19identity_decomposerEEEEE10hipError_tT0_T1_T2_jT3_P12ihipStream_tbPNSt15iterator_traitsISK_E10value_typeEPNSQ_ISL_E10value_typeEPSM_NS1_7vsmem_tEENKUlT_SK_SL_SM_E_clISE_PiSF_SF_EESJ_SZ_SK_SL_SM_EUlSZ_E1_NS1_11comp_targetILNS1_3genE2ELNS1_11target_archE906ELNS1_3gpuE6ELNS1_3repE0EEENS1_36merge_oddeven_config_static_selectorELNS0_4arch9wavefront6targetE1EEEvSL_: ; @_ZN7rocprim17ROCPRIM_400000_NS6detail17trampoline_kernelINS0_14default_configENS1_38merge_sort_block_merge_config_selectorIiNS0_10empty_typeEEEZZNS1_27merge_sort_block_merge_implIS3_N6thrust23THRUST_200600_302600_NS6detail15normal_iteratorINS9_10device_ptrIiEEEEPS5_jNS1_19radix_merge_compareILb0ELb0EiNS0_19identity_decomposerEEEEE10hipError_tT0_T1_T2_jT3_P12ihipStream_tbPNSt15iterator_traitsISK_E10value_typeEPNSQ_ISL_E10value_typeEPSM_NS1_7vsmem_tEENKUlT_SK_SL_SM_E_clISE_PiSF_SF_EESJ_SZ_SK_SL_SM_EUlSZ_E1_NS1_11comp_targetILNS1_3genE2ELNS1_11target_archE906ELNS1_3gpuE6ELNS1_3repE0EEENS1_36merge_oddeven_config_static_selectorELNS0_4arch9wavefront6targetE1EEEvSL_
; %bb.0:
	.section	.rodata,"a",@progbits
	.p2align	6, 0x0
	.amdhsa_kernel _ZN7rocprim17ROCPRIM_400000_NS6detail17trampoline_kernelINS0_14default_configENS1_38merge_sort_block_merge_config_selectorIiNS0_10empty_typeEEEZZNS1_27merge_sort_block_merge_implIS3_N6thrust23THRUST_200600_302600_NS6detail15normal_iteratorINS9_10device_ptrIiEEEEPS5_jNS1_19radix_merge_compareILb0ELb0EiNS0_19identity_decomposerEEEEE10hipError_tT0_T1_T2_jT3_P12ihipStream_tbPNSt15iterator_traitsISK_E10value_typeEPNSQ_ISL_E10value_typeEPSM_NS1_7vsmem_tEENKUlT_SK_SL_SM_E_clISE_PiSF_SF_EESJ_SZ_SK_SL_SM_EUlSZ_E1_NS1_11comp_targetILNS1_3genE2ELNS1_11target_archE906ELNS1_3gpuE6ELNS1_3repE0EEENS1_36merge_oddeven_config_static_selectorELNS0_4arch9wavefront6targetE1EEEvSL_
		.amdhsa_group_segment_fixed_size 0
		.amdhsa_private_segment_fixed_size 0
		.amdhsa_kernarg_size 48
		.amdhsa_user_sgpr_count 2
		.amdhsa_user_sgpr_dispatch_ptr 0
		.amdhsa_user_sgpr_queue_ptr 0
		.amdhsa_user_sgpr_kernarg_segment_ptr 1
		.amdhsa_user_sgpr_dispatch_id 0
		.amdhsa_user_sgpr_kernarg_preload_length 0
		.amdhsa_user_sgpr_kernarg_preload_offset 0
		.amdhsa_user_sgpr_private_segment_size 0
		.amdhsa_uses_dynamic_stack 0
		.amdhsa_enable_private_segment 0
		.amdhsa_system_sgpr_workgroup_id_x 1
		.amdhsa_system_sgpr_workgroup_id_y 0
		.amdhsa_system_sgpr_workgroup_id_z 0
		.amdhsa_system_sgpr_workgroup_info 0
		.amdhsa_system_vgpr_workitem_id 0
		.amdhsa_next_free_vgpr 1
		.amdhsa_next_free_sgpr 0
		.amdhsa_accum_offset 4
		.amdhsa_reserve_vcc 0
		.amdhsa_float_round_mode_32 0
		.amdhsa_float_round_mode_16_64 0
		.amdhsa_float_denorm_mode_32 3
		.amdhsa_float_denorm_mode_16_64 3
		.amdhsa_dx10_clamp 1
		.amdhsa_ieee_mode 1
		.amdhsa_fp16_overflow 0
		.amdhsa_tg_split 0
		.amdhsa_exception_fp_ieee_invalid_op 0
		.amdhsa_exception_fp_denorm_src 0
		.amdhsa_exception_fp_ieee_div_zero 0
		.amdhsa_exception_fp_ieee_overflow 0
		.amdhsa_exception_fp_ieee_underflow 0
		.amdhsa_exception_fp_ieee_inexact 0
		.amdhsa_exception_int_div_zero 0
	.end_amdhsa_kernel
	.section	.text._ZN7rocprim17ROCPRIM_400000_NS6detail17trampoline_kernelINS0_14default_configENS1_38merge_sort_block_merge_config_selectorIiNS0_10empty_typeEEEZZNS1_27merge_sort_block_merge_implIS3_N6thrust23THRUST_200600_302600_NS6detail15normal_iteratorINS9_10device_ptrIiEEEEPS5_jNS1_19radix_merge_compareILb0ELb0EiNS0_19identity_decomposerEEEEE10hipError_tT0_T1_T2_jT3_P12ihipStream_tbPNSt15iterator_traitsISK_E10value_typeEPNSQ_ISL_E10value_typeEPSM_NS1_7vsmem_tEENKUlT_SK_SL_SM_E_clISE_PiSF_SF_EESJ_SZ_SK_SL_SM_EUlSZ_E1_NS1_11comp_targetILNS1_3genE2ELNS1_11target_archE906ELNS1_3gpuE6ELNS1_3repE0EEENS1_36merge_oddeven_config_static_selectorELNS0_4arch9wavefront6targetE1EEEvSL_,"axG",@progbits,_ZN7rocprim17ROCPRIM_400000_NS6detail17trampoline_kernelINS0_14default_configENS1_38merge_sort_block_merge_config_selectorIiNS0_10empty_typeEEEZZNS1_27merge_sort_block_merge_implIS3_N6thrust23THRUST_200600_302600_NS6detail15normal_iteratorINS9_10device_ptrIiEEEEPS5_jNS1_19radix_merge_compareILb0ELb0EiNS0_19identity_decomposerEEEEE10hipError_tT0_T1_T2_jT3_P12ihipStream_tbPNSt15iterator_traitsISK_E10value_typeEPNSQ_ISL_E10value_typeEPSM_NS1_7vsmem_tEENKUlT_SK_SL_SM_E_clISE_PiSF_SF_EESJ_SZ_SK_SL_SM_EUlSZ_E1_NS1_11comp_targetILNS1_3genE2ELNS1_11target_archE906ELNS1_3gpuE6ELNS1_3repE0EEENS1_36merge_oddeven_config_static_selectorELNS0_4arch9wavefront6targetE1EEEvSL_,comdat
.Lfunc_end1659:
	.size	_ZN7rocprim17ROCPRIM_400000_NS6detail17trampoline_kernelINS0_14default_configENS1_38merge_sort_block_merge_config_selectorIiNS0_10empty_typeEEEZZNS1_27merge_sort_block_merge_implIS3_N6thrust23THRUST_200600_302600_NS6detail15normal_iteratorINS9_10device_ptrIiEEEEPS5_jNS1_19radix_merge_compareILb0ELb0EiNS0_19identity_decomposerEEEEE10hipError_tT0_T1_T2_jT3_P12ihipStream_tbPNSt15iterator_traitsISK_E10value_typeEPNSQ_ISL_E10value_typeEPSM_NS1_7vsmem_tEENKUlT_SK_SL_SM_E_clISE_PiSF_SF_EESJ_SZ_SK_SL_SM_EUlSZ_E1_NS1_11comp_targetILNS1_3genE2ELNS1_11target_archE906ELNS1_3gpuE6ELNS1_3repE0EEENS1_36merge_oddeven_config_static_selectorELNS0_4arch9wavefront6targetE1EEEvSL_, .Lfunc_end1659-_ZN7rocprim17ROCPRIM_400000_NS6detail17trampoline_kernelINS0_14default_configENS1_38merge_sort_block_merge_config_selectorIiNS0_10empty_typeEEEZZNS1_27merge_sort_block_merge_implIS3_N6thrust23THRUST_200600_302600_NS6detail15normal_iteratorINS9_10device_ptrIiEEEEPS5_jNS1_19radix_merge_compareILb0ELb0EiNS0_19identity_decomposerEEEEE10hipError_tT0_T1_T2_jT3_P12ihipStream_tbPNSt15iterator_traitsISK_E10value_typeEPNSQ_ISL_E10value_typeEPSM_NS1_7vsmem_tEENKUlT_SK_SL_SM_E_clISE_PiSF_SF_EESJ_SZ_SK_SL_SM_EUlSZ_E1_NS1_11comp_targetILNS1_3genE2ELNS1_11target_archE906ELNS1_3gpuE6ELNS1_3repE0EEENS1_36merge_oddeven_config_static_selectorELNS0_4arch9wavefront6targetE1EEEvSL_
                                        ; -- End function
	.section	.AMDGPU.csdata,"",@progbits
; Kernel info:
; codeLenInByte = 0
; NumSgprs: 6
; NumVgprs: 0
; NumAgprs: 0
; TotalNumVgprs: 0
; ScratchSize: 0
; MemoryBound: 0
; FloatMode: 240
; IeeeMode: 1
; LDSByteSize: 0 bytes/workgroup (compile time only)
; SGPRBlocks: 0
; VGPRBlocks: 0
; NumSGPRsForWavesPerEU: 6
; NumVGPRsForWavesPerEU: 1
; AccumOffset: 4
; Occupancy: 8
; WaveLimiterHint : 0
; COMPUTE_PGM_RSRC2:SCRATCH_EN: 0
; COMPUTE_PGM_RSRC2:USER_SGPR: 2
; COMPUTE_PGM_RSRC2:TRAP_HANDLER: 0
; COMPUTE_PGM_RSRC2:TGID_X_EN: 1
; COMPUTE_PGM_RSRC2:TGID_Y_EN: 0
; COMPUTE_PGM_RSRC2:TGID_Z_EN: 0
; COMPUTE_PGM_RSRC2:TIDIG_COMP_CNT: 0
; COMPUTE_PGM_RSRC3_GFX90A:ACCUM_OFFSET: 0
; COMPUTE_PGM_RSRC3_GFX90A:TG_SPLIT: 0
	.section	.text._ZN7rocprim17ROCPRIM_400000_NS6detail17trampoline_kernelINS0_14default_configENS1_38merge_sort_block_merge_config_selectorIiNS0_10empty_typeEEEZZNS1_27merge_sort_block_merge_implIS3_N6thrust23THRUST_200600_302600_NS6detail15normal_iteratorINS9_10device_ptrIiEEEEPS5_jNS1_19radix_merge_compareILb0ELb0EiNS0_19identity_decomposerEEEEE10hipError_tT0_T1_T2_jT3_P12ihipStream_tbPNSt15iterator_traitsISK_E10value_typeEPNSQ_ISL_E10value_typeEPSM_NS1_7vsmem_tEENKUlT_SK_SL_SM_E_clISE_PiSF_SF_EESJ_SZ_SK_SL_SM_EUlSZ_E1_NS1_11comp_targetILNS1_3genE9ELNS1_11target_archE1100ELNS1_3gpuE3ELNS1_3repE0EEENS1_36merge_oddeven_config_static_selectorELNS0_4arch9wavefront6targetE1EEEvSL_,"axG",@progbits,_ZN7rocprim17ROCPRIM_400000_NS6detail17trampoline_kernelINS0_14default_configENS1_38merge_sort_block_merge_config_selectorIiNS0_10empty_typeEEEZZNS1_27merge_sort_block_merge_implIS3_N6thrust23THRUST_200600_302600_NS6detail15normal_iteratorINS9_10device_ptrIiEEEEPS5_jNS1_19radix_merge_compareILb0ELb0EiNS0_19identity_decomposerEEEEE10hipError_tT0_T1_T2_jT3_P12ihipStream_tbPNSt15iterator_traitsISK_E10value_typeEPNSQ_ISL_E10value_typeEPSM_NS1_7vsmem_tEENKUlT_SK_SL_SM_E_clISE_PiSF_SF_EESJ_SZ_SK_SL_SM_EUlSZ_E1_NS1_11comp_targetILNS1_3genE9ELNS1_11target_archE1100ELNS1_3gpuE3ELNS1_3repE0EEENS1_36merge_oddeven_config_static_selectorELNS0_4arch9wavefront6targetE1EEEvSL_,comdat
	.protected	_ZN7rocprim17ROCPRIM_400000_NS6detail17trampoline_kernelINS0_14default_configENS1_38merge_sort_block_merge_config_selectorIiNS0_10empty_typeEEEZZNS1_27merge_sort_block_merge_implIS3_N6thrust23THRUST_200600_302600_NS6detail15normal_iteratorINS9_10device_ptrIiEEEEPS5_jNS1_19radix_merge_compareILb0ELb0EiNS0_19identity_decomposerEEEEE10hipError_tT0_T1_T2_jT3_P12ihipStream_tbPNSt15iterator_traitsISK_E10value_typeEPNSQ_ISL_E10value_typeEPSM_NS1_7vsmem_tEENKUlT_SK_SL_SM_E_clISE_PiSF_SF_EESJ_SZ_SK_SL_SM_EUlSZ_E1_NS1_11comp_targetILNS1_3genE9ELNS1_11target_archE1100ELNS1_3gpuE3ELNS1_3repE0EEENS1_36merge_oddeven_config_static_selectorELNS0_4arch9wavefront6targetE1EEEvSL_ ; -- Begin function _ZN7rocprim17ROCPRIM_400000_NS6detail17trampoline_kernelINS0_14default_configENS1_38merge_sort_block_merge_config_selectorIiNS0_10empty_typeEEEZZNS1_27merge_sort_block_merge_implIS3_N6thrust23THRUST_200600_302600_NS6detail15normal_iteratorINS9_10device_ptrIiEEEEPS5_jNS1_19radix_merge_compareILb0ELb0EiNS0_19identity_decomposerEEEEE10hipError_tT0_T1_T2_jT3_P12ihipStream_tbPNSt15iterator_traitsISK_E10value_typeEPNSQ_ISL_E10value_typeEPSM_NS1_7vsmem_tEENKUlT_SK_SL_SM_E_clISE_PiSF_SF_EESJ_SZ_SK_SL_SM_EUlSZ_E1_NS1_11comp_targetILNS1_3genE9ELNS1_11target_archE1100ELNS1_3gpuE3ELNS1_3repE0EEENS1_36merge_oddeven_config_static_selectorELNS0_4arch9wavefront6targetE1EEEvSL_
	.globl	_ZN7rocprim17ROCPRIM_400000_NS6detail17trampoline_kernelINS0_14default_configENS1_38merge_sort_block_merge_config_selectorIiNS0_10empty_typeEEEZZNS1_27merge_sort_block_merge_implIS3_N6thrust23THRUST_200600_302600_NS6detail15normal_iteratorINS9_10device_ptrIiEEEEPS5_jNS1_19radix_merge_compareILb0ELb0EiNS0_19identity_decomposerEEEEE10hipError_tT0_T1_T2_jT3_P12ihipStream_tbPNSt15iterator_traitsISK_E10value_typeEPNSQ_ISL_E10value_typeEPSM_NS1_7vsmem_tEENKUlT_SK_SL_SM_E_clISE_PiSF_SF_EESJ_SZ_SK_SL_SM_EUlSZ_E1_NS1_11comp_targetILNS1_3genE9ELNS1_11target_archE1100ELNS1_3gpuE3ELNS1_3repE0EEENS1_36merge_oddeven_config_static_selectorELNS0_4arch9wavefront6targetE1EEEvSL_
	.p2align	8
	.type	_ZN7rocprim17ROCPRIM_400000_NS6detail17trampoline_kernelINS0_14default_configENS1_38merge_sort_block_merge_config_selectorIiNS0_10empty_typeEEEZZNS1_27merge_sort_block_merge_implIS3_N6thrust23THRUST_200600_302600_NS6detail15normal_iteratorINS9_10device_ptrIiEEEEPS5_jNS1_19radix_merge_compareILb0ELb0EiNS0_19identity_decomposerEEEEE10hipError_tT0_T1_T2_jT3_P12ihipStream_tbPNSt15iterator_traitsISK_E10value_typeEPNSQ_ISL_E10value_typeEPSM_NS1_7vsmem_tEENKUlT_SK_SL_SM_E_clISE_PiSF_SF_EESJ_SZ_SK_SL_SM_EUlSZ_E1_NS1_11comp_targetILNS1_3genE9ELNS1_11target_archE1100ELNS1_3gpuE3ELNS1_3repE0EEENS1_36merge_oddeven_config_static_selectorELNS0_4arch9wavefront6targetE1EEEvSL_,@function
_ZN7rocprim17ROCPRIM_400000_NS6detail17trampoline_kernelINS0_14default_configENS1_38merge_sort_block_merge_config_selectorIiNS0_10empty_typeEEEZZNS1_27merge_sort_block_merge_implIS3_N6thrust23THRUST_200600_302600_NS6detail15normal_iteratorINS9_10device_ptrIiEEEEPS5_jNS1_19radix_merge_compareILb0ELb0EiNS0_19identity_decomposerEEEEE10hipError_tT0_T1_T2_jT3_P12ihipStream_tbPNSt15iterator_traitsISK_E10value_typeEPNSQ_ISL_E10value_typeEPSM_NS1_7vsmem_tEENKUlT_SK_SL_SM_E_clISE_PiSF_SF_EESJ_SZ_SK_SL_SM_EUlSZ_E1_NS1_11comp_targetILNS1_3genE9ELNS1_11target_archE1100ELNS1_3gpuE3ELNS1_3repE0EEENS1_36merge_oddeven_config_static_selectorELNS0_4arch9wavefront6targetE1EEEvSL_: ; @_ZN7rocprim17ROCPRIM_400000_NS6detail17trampoline_kernelINS0_14default_configENS1_38merge_sort_block_merge_config_selectorIiNS0_10empty_typeEEEZZNS1_27merge_sort_block_merge_implIS3_N6thrust23THRUST_200600_302600_NS6detail15normal_iteratorINS9_10device_ptrIiEEEEPS5_jNS1_19radix_merge_compareILb0ELb0EiNS0_19identity_decomposerEEEEE10hipError_tT0_T1_T2_jT3_P12ihipStream_tbPNSt15iterator_traitsISK_E10value_typeEPNSQ_ISL_E10value_typeEPSM_NS1_7vsmem_tEENKUlT_SK_SL_SM_E_clISE_PiSF_SF_EESJ_SZ_SK_SL_SM_EUlSZ_E1_NS1_11comp_targetILNS1_3genE9ELNS1_11target_archE1100ELNS1_3gpuE3ELNS1_3repE0EEENS1_36merge_oddeven_config_static_selectorELNS0_4arch9wavefront6targetE1EEEvSL_
; %bb.0:
	.section	.rodata,"a",@progbits
	.p2align	6, 0x0
	.amdhsa_kernel _ZN7rocprim17ROCPRIM_400000_NS6detail17trampoline_kernelINS0_14default_configENS1_38merge_sort_block_merge_config_selectorIiNS0_10empty_typeEEEZZNS1_27merge_sort_block_merge_implIS3_N6thrust23THRUST_200600_302600_NS6detail15normal_iteratorINS9_10device_ptrIiEEEEPS5_jNS1_19radix_merge_compareILb0ELb0EiNS0_19identity_decomposerEEEEE10hipError_tT0_T1_T2_jT3_P12ihipStream_tbPNSt15iterator_traitsISK_E10value_typeEPNSQ_ISL_E10value_typeEPSM_NS1_7vsmem_tEENKUlT_SK_SL_SM_E_clISE_PiSF_SF_EESJ_SZ_SK_SL_SM_EUlSZ_E1_NS1_11comp_targetILNS1_3genE9ELNS1_11target_archE1100ELNS1_3gpuE3ELNS1_3repE0EEENS1_36merge_oddeven_config_static_selectorELNS0_4arch9wavefront6targetE1EEEvSL_
		.amdhsa_group_segment_fixed_size 0
		.amdhsa_private_segment_fixed_size 0
		.amdhsa_kernarg_size 48
		.amdhsa_user_sgpr_count 2
		.amdhsa_user_sgpr_dispatch_ptr 0
		.amdhsa_user_sgpr_queue_ptr 0
		.amdhsa_user_sgpr_kernarg_segment_ptr 1
		.amdhsa_user_sgpr_dispatch_id 0
		.amdhsa_user_sgpr_kernarg_preload_length 0
		.amdhsa_user_sgpr_kernarg_preload_offset 0
		.amdhsa_user_sgpr_private_segment_size 0
		.amdhsa_uses_dynamic_stack 0
		.amdhsa_enable_private_segment 0
		.amdhsa_system_sgpr_workgroup_id_x 1
		.amdhsa_system_sgpr_workgroup_id_y 0
		.amdhsa_system_sgpr_workgroup_id_z 0
		.amdhsa_system_sgpr_workgroup_info 0
		.amdhsa_system_vgpr_workitem_id 0
		.amdhsa_next_free_vgpr 1
		.amdhsa_next_free_sgpr 0
		.amdhsa_accum_offset 4
		.amdhsa_reserve_vcc 0
		.amdhsa_float_round_mode_32 0
		.amdhsa_float_round_mode_16_64 0
		.amdhsa_float_denorm_mode_32 3
		.amdhsa_float_denorm_mode_16_64 3
		.amdhsa_dx10_clamp 1
		.amdhsa_ieee_mode 1
		.amdhsa_fp16_overflow 0
		.amdhsa_tg_split 0
		.amdhsa_exception_fp_ieee_invalid_op 0
		.amdhsa_exception_fp_denorm_src 0
		.amdhsa_exception_fp_ieee_div_zero 0
		.amdhsa_exception_fp_ieee_overflow 0
		.amdhsa_exception_fp_ieee_underflow 0
		.amdhsa_exception_fp_ieee_inexact 0
		.amdhsa_exception_int_div_zero 0
	.end_amdhsa_kernel
	.section	.text._ZN7rocprim17ROCPRIM_400000_NS6detail17trampoline_kernelINS0_14default_configENS1_38merge_sort_block_merge_config_selectorIiNS0_10empty_typeEEEZZNS1_27merge_sort_block_merge_implIS3_N6thrust23THRUST_200600_302600_NS6detail15normal_iteratorINS9_10device_ptrIiEEEEPS5_jNS1_19radix_merge_compareILb0ELb0EiNS0_19identity_decomposerEEEEE10hipError_tT0_T1_T2_jT3_P12ihipStream_tbPNSt15iterator_traitsISK_E10value_typeEPNSQ_ISL_E10value_typeEPSM_NS1_7vsmem_tEENKUlT_SK_SL_SM_E_clISE_PiSF_SF_EESJ_SZ_SK_SL_SM_EUlSZ_E1_NS1_11comp_targetILNS1_3genE9ELNS1_11target_archE1100ELNS1_3gpuE3ELNS1_3repE0EEENS1_36merge_oddeven_config_static_selectorELNS0_4arch9wavefront6targetE1EEEvSL_,"axG",@progbits,_ZN7rocprim17ROCPRIM_400000_NS6detail17trampoline_kernelINS0_14default_configENS1_38merge_sort_block_merge_config_selectorIiNS0_10empty_typeEEEZZNS1_27merge_sort_block_merge_implIS3_N6thrust23THRUST_200600_302600_NS6detail15normal_iteratorINS9_10device_ptrIiEEEEPS5_jNS1_19radix_merge_compareILb0ELb0EiNS0_19identity_decomposerEEEEE10hipError_tT0_T1_T2_jT3_P12ihipStream_tbPNSt15iterator_traitsISK_E10value_typeEPNSQ_ISL_E10value_typeEPSM_NS1_7vsmem_tEENKUlT_SK_SL_SM_E_clISE_PiSF_SF_EESJ_SZ_SK_SL_SM_EUlSZ_E1_NS1_11comp_targetILNS1_3genE9ELNS1_11target_archE1100ELNS1_3gpuE3ELNS1_3repE0EEENS1_36merge_oddeven_config_static_selectorELNS0_4arch9wavefront6targetE1EEEvSL_,comdat
.Lfunc_end1660:
	.size	_ZN7rocprim17ROCPRIM_400000_NS6detail17trampoline_kernelINS0_14default_configENS1_38merge_sort_block_merge_config_selectorIiNS0_10empty_typeEEEZZNS1_27merge_sort_block_merge_implIS3_N6thrust23THRUST_200600_302600_NS6detail15normal_iteratorINS9_10device_ptrIiEEEEPS5_jNS1_19radix_merge_compareILb0ELb0EiNS0_19identity_decomposerEEEEE10hipError_tT0_T1_T2_jT3_P12ihipStream_tbPNSt15iterator_traitsISK_E10value_typeEPNSQ_ISL_E10value_typeEPSM_NS1_7vsmem_tEENKUlT_SK_SL_SM_E_clISE_PiSF_SF_EESJ_SZ_SK_SL_SM_EUlSZ_E1_NS1_11comp_targetILNS1_3genE9ELNS1_11target_archE1100ELNS1_3gpuE3ELNS1_3repE0EEENS1_36merge_oddeven_config_static_selectorELNS0_4arch9wavefront6targetE1EEEvSL_, .Lfunc_end1660-_ZN7rocprim17ROCPRIM_400000_NS6detail17trampoline_kernelINS0_14default_configENS1_38merge_sort_block_merge_config_selectorIiNS0_10empty_typeEEEZZNS1_27merge_sort_block_merge_implIS3_N6thrust23THRUST_200600_302600_NS6detail15normal_iteratorINS9_10device_ptrIiEEEEPS5_jNS1_19radix_merge_compareILb0ELb0EiNS0_19identity_decomposerEEEEE10hipError_tT0_T1_T2_jT3_P12ihipStream_tbPNSt15iterator_traitsISK_E10value_typeEPNSQ_ISL_E10value_typeEPSM_NS1_7vsmem_tEENKUlT_SK_SL_SM_E_clISE_PiSF_SF_EESJ_SZ_SK_SL_SM_EUlSZ_E1_NS1_11comp_targetILNS1_3genE9ELNS1_11target_archE1100ELNS1_3gpuE3ELNS1_3repE0EEENS1_36merge_oddeven_config_static_selectorELNS0_4arch9wavefront6targetE1EEEvSL_
                                        ; -- End function
	.section	.AMDGPU.csdata,"",@progbits
; Kernel info:
; codeLenInByte = 0
; NumSgprs: 6
; NumVgprs: 0
; NumAgprs: 0
; TotalNumVgprs: 0
; ScratchSize: 0
; MemoryBound: 0
; FloatMode: 240
; IeeeMode: 1
; LDSByteSize: 0 bytes/workgroup (compile time only)
; SGPRBlocks: 0
; VGPRBlocks: 0
; NumSGPRsForWavesPerEU: 6
; NumVGPRsForWavesPerEU: 1
; AccumOffset: 4
; Occupancy: 8
; WaveLimiterHint : 0
; COMPUTE_PGM_RSRC2:SCRATCH_EN: 0
; COMPUTE_PGM_RSRC2:USER_SGPR: 2
; COMPUTE_PGM_RSRC2:TRAP_HANDLER: 0
; COMPUTE_PGM_RSRC2:TGID_X_EN: 1
; COMPUTE_PGM_RSRC2:TGID_Y_EN: 0
; COMPUTE_PGM_RSRC2:TGID_Z_EN: 0
; COMPUTE_PGM_RSRC2:TIDIG_COMP_CNT: 0
; COMPUTE_PGM_RSRC3_GFX90A:ACCUM_OFFSET: 0
; COMPUTE_PGM_RSRC3_GFX90A:TG_SPLIT: 0
	.section	.text._ZN7rocprim17ROCPRIM_400000_NS6detail17trampoline_kernelINS0_14default_configENS1_38merge_sort_block_merge_config_selectorIiNS0_10empty_typeEEEZZNS1_27merge_sort_block_merge_implIS3_N6thrust23THRUST_200600_302600_NS6detail15normal_iteratorINS9_10device_ptrIiEEEEPS5_jNS1_19radix_merge_compareILb0ELb0EiNS0_19identity_decomposerEEEEE10hipError_tT0_T1_T2_jT3_P12ihipStream_tbPNSt15iterator_traitsISK_E10value_typeEPNSQ_ISL_E10value_typeEPSM_NS1_7vsmem_tEENKUlT_SK_SL_SM_E_clISE_PiSF_SF_EESJ_SZ_SK_SL_SM_EUlSZ_E1_NS1_11comp_targetILNS1_3genE8ELNS1_11target_archE1030ELNS1_3gpuE2ELNS1_3repE0EEENS1_36merge_oddeven_config_static_selectorELNS0_4arch9wavefront6targetE1EEEvSL_,"axG",@progbits,_ZN7rocprim17ROCPRIM_400000_NS6detail17trampoline_kernelINS0_14default_configENS1_38merge_sort_block_merge_config_selectorIiNS0_10empty_typeEEEZZNS1_27merge_sort_block_merge_implIS3_N6thrust23THRUST_200600_302600_NS6detail15normal_iteratorINS9_10device_ptrIiEEEEPS5_jNS1_19radix_merge_compareILb0ELb0EiNS0_19identity_decomposerEEEEE10hipError_tT0_T1_T2_jT3_P12ihipStream_tbPNSt15iterator_traitsISK_E10value_typeEPNSQ_ISL_E10value_typeEPSM_NS1_7vsmem_tEENKUlT_SK_SL_SM_E_clISE_PiSF_SF_EESJ_SZ_SK_SL_SM_EUlSZ_E1_NS1_11comp_targetILNS1_3genE8ELNS1_11target_archE1030ELNS1_3gpuE2ELNS1_3repE0EEENS1_36merge_oddeven_config_static_selectorELNS0_4arch9wavefront6targetE1EEEvSL_,comdat
	.protected	_ZN7rocprim17ROCPRIM_400000_NS6detail17trampoline_kernelINS0_14default_configENS1_38merge_sort_block_merge_config_selectorIiNS0_10empty_typeEEEZZNS1_27merge_sort_block_merge_implIS3_N6thrust23THRUST_200600_302600_NS6detail15normal_iteratorINS9_10device_ptrIiEEEEPS5_jNS1_19radix_merge_compareILb0ELb0EiNS0_19identity_decomposerEEEEE10hipError_tT0_T1_T2_jT3_P12ihipStream_tbPNSt15iterator_traitsISK_E10value_typeEPNSQ_ISL_E10value_typeEPSM_NS1_7vsmem_tEENKUlT_SK_SL_SM_E_clISE_PiSF_SF_EESJ_SZ_SK_SL_SM_EUlSZ_E1_NS1_11comp_targetILNS1_3genE8ELNS1_11target_archE1030ELNS1_3gpuE2ELNS1_3repE0EEENS1_36merge_oddeven_config_static_selectorELNS0_4arch9wavefront6targetE1EEEvSL_ ; -- Begin function _ZN7rocprim17ROCPRIM_400000_NS6detail17trampoline_kernelINS0_14default_configENS1_38merge_sort_block_merge_config_selectorIiNS0_10empty_typeEEEZZNS1_27merge_sort_block_merge_implIS3_N6thrust23THRUST_200600_302600_NS6detail15normal_iteratorINS9_10device_ptrIiEEEEPS5_jNS1_19radix_merge_compareILb0ELb0EiNS0_19identity_decomposerEEEEE10hipError_tT0_T1_T2_jT3_P12ihipStream_tbPNSt15iterator_traitsISK_E10value_typeEPNSQ_ISL_E10value_typeEPSM_NS1_7vsmem_tEENKUlT_SK_SL_SM_E_clISE_PiSF_SF_EESJ_SZ_SK_SL_SM_EUlSZ_E1_NS1_11comp_targetILNS1_3genE8ELNS1_11target_archE1030ELNS1_3gpuE2ELNS1_3repE0EEENS1_36merge_oddeven_config_static_selectorELNS0_4arch9wavefront6targetE1EEEvSL_
	.globl	_ZN7rocprim17ROCPRIM_400000_NS6detail17trampoline_kernelINS0_14default_configENS1_38merge_sort_block_merge_config_selectorIiNS0_10empty_typeEEEZZNS1_27merge_sort_block_merge_implIS3_N6thrust23THRUST_200600_302600_NS6detail15normal_iteratorINS9_10device_ptrIiEEEEPS5_jNS1_19radix_merge_compareILb0ELb0EiNS0_19identity_decomposerEEEEE10hipError_tT0_T1_T2_jT3_P12ihipStream_tbPNSt15iterator_traitsISK_E10value_typeEPNSQ_ISL_E10value_typeEPSM_NS1_7vsmem_tEENKUlT_SK_SL_SM_E_clISE_PiSF_SF_EESJ_SZ_SK_SL_SM_EUlSZ_E1_NS1_11comp_targetILNS1_3genE8ELNS1_11target_archE1030ELNS1_3gpuE2ELNS1_3repE0EEENS1_36merge_oddeven_config_static_selectorELNS0_4arch9wavefront6targetE1EEEvSL_
	.p2align	8
	.type	_ZN7rocprim17ROCPRIM_400000_NS6detail17trampoline_kernelINS0_14default_configENS1_38merge_sort_block_merge_config_selectorIiNS0_10empty_typeEEEZZNS1_27merge_sort_block_merge_implIS3_N6thrust23THRUST_200600_302600_NS6detail15normal_iteratorINS9_10device_ptrIiEEEEPS5_jNS1_19radix_merge_compareILb0ELb0EiNS0_19identity_decomposerEEEEE10hipError_tT0_T1_T2_jT3_P12ihipStream_tbPNSt15iterator_traitsISK_E10value_typeEPNSQ_ISL_E10value_typeEPSM_NS1_7vsmem_tEENKUlT_SK_SL_SM_E_clISE_PiSF_SF_EESJ_SZ_SK_SL_SM_EUlSZ_E1_NS1_11comp_targetILNS1_3genE8ELNS1_11target_archE1030ELNS1_3gpuE2ELNS1_3repE0EEENS1_36merge_oddeven_config_static_selectorELNS0_4arch9wavefront6targetE1EEEvSL_,@function
_ZN7rocprim17ROCPRIM_400000_NS6detail17trampoline_kernelINS0_14default_configENS1_38merge_sort_block_merge_config_selectorIiNS0_10empty_typeEEEZZNS1_27merge_sort_block_merge_implIS3_N6thrust23THRUST_200600_302600_NS6detail15normal_iteratorINS9_10device_ptrIiEEEEPS5_jNS1_19radix_merge_compareILb0ELb0EiNS0_19identity_decomposerEEEEE10hipError_tT0_T1_T2_jT3_P12ihipStream_tbPNSt15iterator_traitsISK_E10value_typeEPNSQ_ISL_E10value_typeEPSM_NS1_7vsmem_tEENKUlT_SK_SL_SM_E_clISE_PiSF_SF_EESJ_SZ_SK_SL_SM_EUlSZ_E1_NS1_11comp_targetILNS1_3genE8ELNS1_11target_archE1030ELNS1_3gpuE2ELNS1_3repE0EEENS1_36merge_oddeven_config_static_selectorELNS0_4arch9wavefront6targetE1EEEvSL_: ; @_ZN7rocprim17ROCPRIM_400000_NS6detail17trampoline_kernelINS0_14default_configENS1_38merge_sort_block_merge_config_selectorIiNS0_10empty_typeEEEZZNS1_27merge_sort_block_merge_implIS3_N6thrust23THRUST_200600_302600_NS6detail15normal_iteratorINS9_10device_ptrIiEEEEPS5_jNS1_19radix_merge_compareILb0ELb0EiNS0_19identity_decomposerEEEEE10hipError_tT0_T1_T2_jT3_P12ihipStream_tbPNSt15iterator_traitsISK_E10value_typeEPNSQ_ISL_E10value_typeEPSM_NS1_7vsmem_tEENKUlT_SK_SL_SM_E_clISE_PiSF_SF_EESJ_SZ_SK_SL_SM_EUlSZ_E1_NS1_11comp_targetILNS1_3genE8ELNS1_11target_archE1030ELNS1_3gpuE2ELNS1_3repE0EEENS1_36merge_oddeven_config_static_selectorELNS0_4arch9wavefront6targetE1EEEvSL_
; %bb.0:
	.section	.rodata,"a",@progbits
	.p2align	6, 0x0
	.amdhsa_kernel _ZN7rocprim17ROCPRIM_400000_NS6detail17trampoline_kernelINS0_14default_configENS1_38merge_sort_block_merge_config_selectorIiNS0_10empty_typeEEEZZNS1_27merge_sort_block_merge_implIS3_N6thrust23THRUST_200600_302600_NS6detail15normal_iteratorINS9_10device_ptrIiEEEEPS5_jNS1_19radix_merge_compareILb0ELb0EiNS0_19identity_decomposerEEEEE10hipError_tT0_T1_T2_jT3_P12ihipStream_tbPNSt15iterator_traitsISK_E10value_typeEPNSQ_ISL_E10value_typeEPSM_NS1_7vsmem_tEENKUlT_SK_SL_SM_E_clISE_PiSF_SF_EESJ_SZ_SK_SL_SM_EUlSZ_E1_NS1_11comp_targetILNS1_3genE8ELNS1_11target_archE1030ELNS1_3gpuE2ELNS1_3repE0EEENS1_36merge_oddeven_config_static_selectorELNS0_4arch9wavefront6targetE1EEEvSL_
		.amdhsa_group_segment_fixed_size 0
		.amdhsa_private_segment_fixed_size 0
		.amdhsa_kernarg_size 48
		.amdhsa_user_sgpr_count 2
		.amdhsa_user_sgpr_dispatch_ptr 0
		.amdhsa_user_sgpr_queue_ptr 0
		.amdhsa_user_sgpr_kernarg_segment_ptr 1
		.amdhsa_user_sgpr_dispatch_id 0
		.amdhsa_user_sgpr_kernarg_preload_length 0
		.amdhsa_user_sgpr_kernarg_preload_offset 0
		.amdhsa_user_sgpr_private_segment_size 0
		.amdhsa_uses_dynamic_stack 0
		.amdhsa_enable_private_segment 0
		.amdhsa_system_sgpr_workgroup_id_x 1
		.amdhsa_system_sgpr_workgroup_id_y 0
		.amdhsa_system_sgpr_workgroup_id_z 0
		.amdhsa_system_sgpr_workgroup_info 0
		.amdhsa_system_vgpr_workitem_id 0
		.amdhsa_next_free_vgpr 1
		.amdhsa_next_free_sgpr 0
		.amdhsa_accum_offset 4
		.amdhsa_reserve_vcc 0
		.amdhsa_float_round_mode_32 0
		.amdhsa_float_round_mode_16_64 0
		.amdhsa_float_denorm_mode_32 3
		.amdhsa_float_denorm_mode_16_64 3
		.amdhsa_dx10_clamp 1
		.amdhsa_ieee_mode 1
		.amdhsa_fp16_overflow 0
		.amdhsa_tg_split 0
		.amdhsa_exception_fp_ieee_invalid_op 0
		.amdhsa_exception_fp_denorm_src 0
		.amdhsa_exception_fp_ieee_div_zero 0
		.amdhsa_exception_fp_ieee_overflow 0
		.amdhsa_exception_fp_ieee_underflow 0
		.amdhsa_exception_fp_ieee_inexact 0
		.amdhsa_exception_int_div_zero 0
	.end_amdhsa_kernel
	.section	.text._ZN7rocprim17ROCPRIM_400000_NS6detail17trampoline_kernelINS0_14default_configENS1_38merge_sort_block_merge_config_selectorIiNS0_10empty_typeEEEZZNS1_27merge_sort_block_merge_implIS3_N6thrust23THRUST_200600_302600_NS6detail15normal_iteratorINS9_10device_ptrIiEEEEPS5_jNS1_19radix_merge_compareILb0ELb0EiNS0_19identity_decomposerEEEEE10hipError_tT0_T1_T2_jT3_P12ihipStream_tbPNSt15iterator_traitsISK_E10value_typeEPNSQ_ISL_E10value_typeEPSM_NS1_7vsmem_tEENKUlT_SK_SL_SM_E_clISE_PiSF_SF_EESJ_SZ_SK_SL_SM_EUlSZ_E1_NS1_11comp_targetILNS1_3genE8ELNS1_11target_archE1030ELNS1_3gpuE2ELNS1_3repE0EEENS1_36merge_oddeven_config_static_selectorELNS0_4arch9wavefront6targetE1EEEvSL_,"axG",@progbits,_ZN7rocprim17ROCPRIM_400000_NS6detail17trampoline_kernelINS0_14default_configENS1_38merge_sort_block_merge_config_selectorIiNS0_10empty_typeEEEZZNS1_27merge_sort_block_merge_implIS3_N6thrust23THRUST_200600_302600_NS6detail15normal_iteratorINS9_10device_ptrIiEEEEPS5_jNS1_19radix_merge_compareILb0ELb0EiNS0_19identity_decomposerEEEEE10hipError_tT0_T1_T2_jT3_P12ihipStream_tbPNSt15iterator_traitsISK_E10value_typeEPNSQ_ISL_E10value_typeEPSM_NS1_7vsmem_tEENKUlT_SK_SL_SM_E_clISE_PiSF_SF_EESJ_SZ_SK_SL_SM_EUlSZ_E1_NS1_11comp_targetILNS1_3genE8ELNS1_11target_archE1030ELNS1_3gpuE2ELNS1_3repE0EEENS1_36merge_oddeven_config_static_selectorELNS0_4arch9wavefront6targetE1EEEvSL_,comdat
.Lfunc_end1661:
	.size	_ZN7rocprim17ROCPRIM_400000_NS6detail17trampoline_kernelINS0_14default_configENS1_38merge_sort_block_merge_config_selectorIiNS0_10empty_typeEEEZZNS1_27merge_sort_block_merge_implIS3_N6thrust23THRUST_200600_302600_NS6detail15normal_iteratorINS9_10device_ptrIiEEEEPS5_jNS1_19radix_merge_compareILb0ELb0EiNS0_19identity_decomposerEEEEE10hipError_tT0_T1_T2_jT3_P12ihipStream_tbPNSt15iterator_traitsISK_E10value_typeEPNSQ_ISL_E10value_typeEPSM_NS1_7vsmem_tEENKUlT_SK_SL_SM_E_clISE_PiSF_SF_EESJ_SZ_SK_SL_SM_EUlSZ_E1_NS1_11comp_targetILNS1_3genE8ELNS1_11target_archE1030ELNS1_3gpuE2ELNS1_3repE0EEENS1_36merge_oddeven_config_static_selectorELNS0_4arch9wavefront6targetE1EEEvSL_, .Lfunc_end1661-_ZN7rocprim17ROCPRIM_400000_NS6detail17trampoline_kernelINS0_14default_configENS1_38merge_sort_block_merge_config_selectorIiNS0_10empty_typeEEEZZNS1_27merge_sort_block_merge_implIS3_N6thrust23THRUST_200600_302600_NS6detail15normal_iteratorINS9_10device_ptrIiEEEEPS5_jNS1_19radix_merge_compareILb0ELb0EiNS0_19identity_decomposerEEEEE10hipError_tT0_T1_T2_jT3_P12ihipStream_tbPNSt15iterator_traitsISK_E10value_typeEPNSQ_ISL_E10value_typeEPSM_NS1_7vsmem_tEENKUlT_SK_SL_SM_E_clISE_PiSF_SF_EESJ_SZ_SK_SL_SM_EUlSZ_E1_NS1_11comp_targetILNS1_3genE8ELNS1_11target_archE1030ELNS1_3gpuE2ELNS1_3repE0EEENS1_36merge_oddeven_config_static_selectorELNS0_4arch9wavefront6targetE1EEEvSL_
                                        ; -- End function
	.section	.AMDGPU.csdata,"",@progbits
; Kernel info:
; codeLenInByte = 0
; NumSgprs: 6
; NumVgprs: 0
; NumAgprs: 0
; TotalNumVgprs: 0
; ScratchSize: 0
; MemoryBound: 0
; FloatMode: 240
; IeeeMode: 1
; LDSByteSize: 0 bytes/workgroup (compile time only)
; SGPRBlocks: 0
; VGPRBlocks: 0
; NumSGPRsForWavesPerEU: 6
; NumVGPRsForWavesPerEU: 1
; AccumOffset: 4
; Occupancy: 8
; WaveLimiterHint : 0
; COMPUTE_PGM_RSRC2:SCRATCH_EN: 0
; COMPUTE_PGM_RSRC2:USER_SGPR: 2
; COMPUTE_PGM_RSRC2:TRAP_HANDLER: 0
; COMPUTE_PGM_RSRC2:TGID_X_EN: 1
; COMPUTE_PGM_RSRC2:TGID_Y_EN: 0
; COMPUTE_PGM_RSRC2:TGID_Z_EN: 0
; COMPUTE_PGM_RSRC2:TIDIG_COMP_CNT: 0
; COMPUTE_PGM_RSRC3_GFX90A:ACCUM_OFFSET: 0
; COMPUTE_PGM_RSRC3_GFX90A:TG_SPLIT: 0
	.section	.text._ZN7rocprim17ROCPRIM_400000_NS6detail17trampoline_kernelINS0_14default_configENS1_25transform_config_selectorIiLb0EEEZNS1_14transform_implILb0ES3_S5_PiN6thrust23THRUST_200600_302600_NS6detail15normal_iteratorINS9_10device_ptrIiEEEENS0_8identityIiEEEE10hipError_tT2_T3_mT4_P12ihipStream_tbEUlT_E_NS1_11comp_targetILNS1_3genE0ELNS1_11target_archE4294967295ELNS1_3gpuE0ELNS1_3repE0EEENS1_30default_config_static_selectorELNS0_4arch9wavefront6targetE1EEEvT1_,"axG",@progbits,_ZN7rocprim17ROCPRIM_400000_NS6detail17trampoline_kernelINS0_14default_configENS1_25transform_config_selectorIiLb0EEEZNS1_14transform_implILb0ES3_S5_PiN6thrust23THRUST_200600_302600_NS6detail15normal_iteratorINS9_10device_ptrIiEEEENS0_8identityIiEEEE10hipError_tT2_T3_mT4_P12ihipStream_tbEUlT_E_NS1_11comp_targetILNS1_3genE0ELNS1_11target_archE4294967295ELNS1_3gpuE0ELNS1_3repE0EEENS1_30default_config_static_selectorELNS0_4arch9wavefront6targetE1EEEvT1_,comdat
	.protected	_ZN7rocprim17ROCPRIM_400000_NS6detail17trampoline_kernelINS0_14default_configENS1_25transform_config_selectorIiLb0EEEZNS1_14transform_implILb0ES3_S5_PiN6thrust23THRUST_200600_302600_NS6detail15normal_iteratorINS9_10device_ptrIiEEEENS0_8identityIiEEEE10hipError_tT2_T3_mT4_P12ihipStream_tbEUlT_E_NS1_11comp_targetILNS1_3genE0ELNS1_11target_archE4294967295ELNS1_3gpuE0ELNS1_3repE0EEENS1_30default_config_static_selectorELNS0_4arch9wavefront6targetE1EEEvT1_ ; -- Begin function _ZN7rocprim17ROCPRIM_400000_NS6detail17trampoline_kernelINS0_14default_configENS1_25transform_config_selectorIiLb0EEEZNS1_14transform_implILb0ES3_S5_PiN6thrust23THRUST_200600_302600_NS6detail15normal_iteratorINS9_10device_ptrIiEEEENS0_8identityIiEEEE10hipError_tT2_T3_mT4_P12ihipStream_tbEUlT_E_NS1_11comp_targetILNS1_3genE0ELNS1_11target_archE4294967295ELNS1_3gpuE0ELNS1_3repE0EEENS1_30default_config_static_selectorELNS0_4arch9wavefront6targetE1EEEvT1_
	.globl	_ZN7rocprim17ROCPRIM_400000_NS6detail17trampoline_kernelINS0_14default_configENS1_25transform_config_selectorIiLb0EEEZNS1_14transform_implILb0ES3_S5_PiN6thrust23THRUST_200600_302600_NS6detail15normal_iteratorINS9_10device_ptrIiEEEENS0_8identityIiEEEE10hipError_tT2_T3_mT4_P12ihipStream_tbEUlT_E_NS1_11comp_targetILNS1_3genE0ELNS1_11target_archE4294967295ELNS1_3gpuE0ELNS1_3repE0EEENS1_30default_config_static_selectorELNS0_4arch9wavefront6targetE1EEEvT1_
	.p2align	8
	.type	_ZN7rocprim17ROCPRIM_400000_NS6detail17trampoline_kernelINS0_14default_configENS1_25transform_config_selectorIiLb0EEEZNS1_14transform_implILb0ES3_S5_PiN6thrust23THRUST_200600_302600_NS6detail15normal_iteratorINS9_10device_ptrIiEEEENS0_8identityIiEEEE10hipError_tT2_T3_mT4_P12ihipStream_tbEUlT_E_NS1_11comp_targetILNS1_3genE0ELNS1_11target_archE4294967295ELNS1_3gpuE0ELNS1_3repE0EEENS1_30default_config_static_selectorELNS0_4arch9wavefront6targetE1EEEvT1_,@function
_ZN7rocprim17ROCPRIM_400000_NS6detail17trampoline_kernelINS0_14default_configENS1_25transform_config_selectorIiLb0EEEZNS1_14transform_implILb0ES3_S5_PiN6thrust23THRUST_200600_302600_NS6detail15normal_iteratorINS9_10device_ptrIiEEEENS0_8identityIiEEEE10hipError_tT2_T3_mT4_P12ihipStream_tbEUlT_E_NS1_11comp_targetILNS1_3genE0ELNS1_11target_archE4294967295ELNS1_3gpuE0ELNS1_3repE0EEENS1_30default_config_static_selectorELNS0_4arch9wavefront6targetE1EEEvT1_: ; @_ZN7rocprim17ROCPRIM_400000_NS6detail17trampoline_kernelINS0_14default_configENS1_25transform_config_selectorIiLb0EEEZNS1_14transform_implILb0ES3_S5_PiN6thrust23THRUST_200600_302600_NS6detail15normal_iteratorINS9_10device_ptrIiEEEENS0_8identityIiEEEE10hipError_tT2_T3_mT4_P12ihipStream_tbEUlT_E_NS1_11comp_targetILNS1_3genE0ELNS1_11target_archE4294967295ELNS1_3gpuE0ELNS1_3repE0EEENS1_30default_config_static_selectorELNS0_4arch9wavefront6targetE1EEEvT1_
; %bb.0:
	.section	.rodata,"a",@progbits
	.p2align	6, 0x0
	.amdhsa_kernel _ZN7rocprim17ROCPRIM_400000_NS6detail17trampoline_kernelINS0_14default_configENS1_25transform_config_selectorIiLb0EEEZNS1_14transform_implILb0ES3_S5_PiN6thrust23THRUST_200600_302600_NS6detail15normal_iteratorINS9_10device_ptrIiEEEENS0_8identityIiEEEE10hipError_tT2_T3_mT4_P12ihipStream_tbEUlT_E_NS1_11comp_targetILNS1_3genE0ELNS1_11target_archE4294967295ELNS1_3gpuE0ELNS1_3repE0EEENS1_30default_config_static_selectorELNS0_4arch9wavefront6targetE1EEEvT1_
		.amdhsa_group_segment_fixed_size 0
		.amdhsa_private_segment_fixed_size 0
		.amdhsa_kernarg_size 40
		.amdhsa_user_sgpr_count 2
		.amdhsa_user_sgpr_dispatch_ptr 0
		.amdhsa_user_sgpr_queue_ptr 0
		.amdhsa_user_sgpr_kernarg_segment_ptr 1
		.amdhsa_user_sgpr_dispatch_id 0
		.amdhsa_user_sgpr_kernarg_preload_length 0
		.amdhsa_user_sgpr_kernarg_preload_offset 0
		.amdhsa_user_sgpr_private_segment_size 0
		.amdhsa_uses_dynamic_stack 0
		.amdhsa_enable_private_segment 0
		.amdhsa_system_sgpr_workgroup_id_x 1
		.amdhsa_system_sgpr_workgroup_id_y 0
		.amdhsa_system_sgpr_workgroup_id_z 0
		.amdhsa_system_sgpr_workgroup_info 0
		.amdhsa_system_vgpr_workitem_id 0
		.amdhsa_next_free_vgpr 1
		.amdhsa_next_free_sgpr 0
		.amdhsa_accum_offset 4
		.amdhsa_reserve_vcc 0
		.amdhsa_float_round_mode_32 0
		.amdhsa_float_round_mode_16_64 0
		.amdhsa_float_denorm_mode_32 3
		.amdhsa_float_denorm_mode_16_64 3
		.amdhsa_dx10_clamp 1
		.amdhsa_ieee_mode 1
		.amdhsa_fp16_overflow 0
		.amdhsa_tg_split 0
		.amdhsa_exception_fp_ieee_invalid_op 0
		.amdhsa_exception_fp_denorm_src 0
		.amdhsa_exception_fp_ieee_div_zero 0
		.amdhsa_exception_fp_ieee_overflow 0
		.amdhsa_exception_fp_ieee_underflow 0
		.amdhsa_exception_fp_ieee_inexact 0
		.amdhsa_exception_int_div_zero 0
	.end_amdhsa_kernel
	.section	.text._ZN7rocprim17ROCPRIM_400000_NS6detail17trampoline_kernelINS0_14default_configENS1_25transform_config_selectorIiLb0EEEZNS1_14transform_implILb0ES3_S5_PiN6thrust23THRUST_200600_302600_NS6detail15normal_iteratorINS9_10device_ptrIiEEEENS0_8identityIiEEEE10hipError_tT2_T3_mT4_P12ihipStream_tbEUlT_E_NS1_11comp_targetILNS1_3genE0ELNS1_11target_archE4294967295ELNS1_3gpuE0ELNS1_3repE0EEENS1_30default_config_static_selectorELNS0_4arch9wavefront6targetE1EEEvT1_,"axG",@progbits,_ZN7rocprim17ROCPRIM_400000_NS6detail17trampoline_kernelINS0_14default_configENS1_25transform_config_selectorIiLb0EEEZNS1_14transform_implILb0ES3_S5_PiN6thrust23THRUST_200600_302600_NS6detail15normal_iteratorINS9_10device_ptrIiEEEENS0_8identityIiEEEE10hipError_tT2_T3_mT4_P12ihipStream_tbEUlT_E_NS1_11comp_targetILNS1_3genE0ELNS1_11target_archE4294967295ELNS1_3gpuE0ELNS1_3repE0EEENS1_30default_config_static_selectorELNS0_4arch9wavefront6targetE1EEEvT1_,comdat
.Lfunc_end1662:
	.size	_ZN7rocprim17ROCPRIM_400000_NS6detail17trampoline_kernelINS0_14default_configENS1_25transform_config_selectorIiLb0EEEZNS1_14transform_implILb0ES3_S5_PiN6thrust23THRUST_200600_302600_NS6detail15normal_iteratorINS9_10device_ptrIiEEEENS0_8identityIiEEEE10hipError_tT2_T3_mT4_P12ihipStream_tbEUlT_E_NS1_11comp_targetILNS1_3genE0ELNS1_11target_archE4294967295ELNS1_3gpuE0ELNS1_3repE0EEENS1_30default_config_static_selectorELNS0_4arch9wavefront6targetE1EEEvT1_, .Lfunc_end1662-_ZN7rocprim17ROCPRIM_400000_NS6detail17trampoline_kernelINS0_14default_configENS1_25transform_config_selectorIiLb0EEEZNS1_14transform_implILb0ES3_S5_PiN6thrust23THRUST_200600_302600_NS6detail15normal_iteratorINS9_10device_ptrIiEEEENS0_8identityIiEEEE10hipError_tT2_T3_mT4_P12ihipStream_tbEUlT_E_NS1_11comp_targetILNS1_3genE0ELNS1_11target_archE4294967295ELNS1_3gpuE0ELNS1_3repE0EEENS1_30default_config_static_selectorELNS0_4arch9wavefront6targetE1EEEvT1_
                                        ; -- End function
	.section	.AMDGPU.csdata,"",@progbits
; Kernel info:
; codeLenInByte = 0
; NumSgprs: 6
; NumVgprs: 0
; NumAgprs: 0
; TotalNumVgprs: 0
; ScratchSize: 0
; MemoryBound: 0
; FloatMode: 240
; IeeeMode: 1
; LDSByteSize: 0 bytes/workgroup (compile time only)
; SGPRBlocks: 0
; VGPRBlocks: 0
; NumSGPRsForWavesPerEU: 6
; NumVGPRsForWavesPerEU: 1
; AccumOffset: 4
; Occupancy: 8
; WaveLimiterHint : 0
; COMPUTE_PGM_RSRC2:SCRATCH_EN: 0
; COMPUTE_PGM_RSRC2:USER_SGPR: 2
; COMPUTE_PGM_RSRC2:TRAP_HANDLER: 0
; COMPUTE_PGM_RSRC2:TGID_X_EN: 1
; COMPUTE_PGM_RSRC2:TGID_Y_EN: 0
; COMPUTE_PGM_RSRC2:TGID_Z_EN: 0
; COMPUTE_PGM_RSRC2:TIDIG_COMP_CNT: 0
; COMPUTE_PGM_RSRC3_GFX90A:ACCUM_OFFSET: 0
; COMPUTE_PGM_RSRC3_GFX90A:TG_SPLIT: 0
	.section	.text._ZN7rocprim17ROCPRIM_400000_NS6detail17trampoline_kernelINS0_14default_configENS1_25transform_config_selectorIiLb0EEEZNS1_14transform_implILb0ES3_S5_PiN6thrust23THRUST_200600_302600_NS6detail15normal_iteratorINS9_10device_ptrIiEEEENS0_8identityIiEEEE10hipError_tT2_T3_mT4_P12ihipStream_tbEUlT_E_NS1_11comp_targetILNS1_3genE5ELNS1_11target_archE942ELNS1_3gpuE9ELNS1_3repE0EEENS1_30default_config_static_selectorELNS0_4arch9wavefront6targetE1EEEvT1_,"axG",@progbits,_ZN7rocprim17ROCPRIM_400000_NS6detail17trampoline_kernelINS0_14default_configENS1_25transform_config_selectorIiLb0EEEZNS1_14transform_implILb0ES3_S5_PiN6thrust23THRUST_200600_302600_NS6detail15normal_iteratorINS9_10device_ptrIiEEEENS0_8identityIiEEEE10hipError_tT2_T3_mT4_P12ihipStream_tbEUlT_E_NS1_11comp_targetILNS1_3genE5ELNS1_11target_archE942ELNS1_3gpuE9ELNS1_3repE0EEENS1_30default_config_static_selectorELNS0_4arch9wavefront6targetE1EEEvT1_,comdat
	.protected	_ZN7rocprim17ROCPRIM_400000_NS6detail17trampoline_kernelINS0_14default_configENS1_25transform_config_selectorIiLb0EEEZNS1_14transform_implILb0ES3_S5_PiN6thrust23THRUST_200600_302600_NS6detail15normal_iteratorINS9_10device_ptrIiEEEENS0_8identityIiEEEE10hipError_tT2_T3_mT4_P12ihipStream_tbEUlT_E_NS1_11comp_targetILNS1_3genE5ELNS1_11target_archE942ELNS1_3gpuE9ELNS1_3repE0EEENS1_30default_config_static_selectorELNS0_4arch9wavefront6targetE1EEEvT1_ ; -- Begin function _ZN7rocprim17ROCPRIM_400000_NS6detail17trampoline_kernelINS0_14default_configENS1_25transform_config_selectorIiLb0EEEZNS1_14transform_implILb0ES3_S5_PiN6thrust23THRUST_200600_302600_NS6detail15normal_iteratorINS9_10device_ptrIiEEEENS0_8identityIiEEEE10hipError_tT2_T3_mT4_P12ihipStream_tbEUlT_E_NS1_11comp_targetILNS1_3genE5ELNS1_11target_archE942ELNS1_3gpuE9ELNS1_3repE0EEENS1_30default_config_static_selectorELNS0_4arch9wavefront6targetE1EEEvT1_
	.globl	_ZN7rocprim17ROCPRIM_400000_NS6detail17trampoline_kernelINS0_14default_configENS1_25transform_config_selectorIiLb0EEEZNS1_14transform_implILb0ES3_S5_PiN6thrust23THRUST_200600_302600_NS6detail15normal_iteratorINS9_10device_ptrIiEEEENS0_8identityIiEEEE10hipError_tT2_T3_mT4_P12ihipStream_tbEUlT_E_NS1_11comp_targetILNS1_3genE5ELNS1_11target_archE942ELNS1_3gpuE9ELNS1_3repE0EEENS1_30default_config_static_selectorELNS0_4arch9wavefront6targetE1EEEvT1_
	.p2align	8
	.type	_ZN7rocprim17ROCPRIM_400000_NS6detail17trampoline_kernelINS0_14default_configENS1_25transform_config_selectorIiLb0EEEZNS1_14transform_implILb0ES3_S5_PiN6thrust23THRUST_200600_302600_NS6detail15normal_iteratorINS9_10device_ptrIiEEEENS0_8identityIiEEEE10hipError_tT2_T3_mT4_P12ihipStream_tbEUlT_E_NS1_11comp_targetILNS1_3genE5ELNS1_11target_archE942ELNS1_3gpuE9ELNS1_3repE0EEENS1_30default_config_static_selectorELNS0_4arch9wavefront6targetE1EEEvT1_,@function
_ZN7rocprim17ROCPRIM_400000_NS6detail17trampoline_kernelINS0_14default_configENS1_25transform_config_selectorIiLb0EEEZNS1_14transform_implILb0ES3_S5_PiN6thrust23THRUST_200600_302600_NS6detail15normal_iteratorINS9_10device_ptrIiEEEENS0_8identityIiEEEE10hipError_tT2_T3_mT4_P12ihipStream_tbEUlT_E_NS1_11comp_targetILNS1_3genE5ELNS1_11target_archE942ELNS1_3gpuE9ELNS1_3repE0EEENS1_30default_config_static_selectorELNS0_4arch9wavefront6targetE1EEEvT1_: ; @_ZN7rocprim17ROCPRIM_400000_NS6detail17trampoline_kernelINS0_14default_configENS1_25transform_config_selectorIiLb0EEEZNS1_14transform_implILb0ES3_S5_PiN6thrust23THRUST_200600_302600_NS6detail15normal_iteratorINS9_10device_ptrIiEEEENS0_8identityIiEEEE10hipError_tT2_T3_mT4_P12ihipStream_tbEUlT_E_NS1_11comp_targetILNS1_3genE5ELNS1_11target_archE942ELNS1_3gpuE9ELNS1_3repE0EEENS1_30default_config_static_selectorELNS0_4arch9wavefront6targetE1EEEvT1_
; %bb.0:
	s_load_dwordx8 s[4:11], s[0:1], 0x0
	s_load_dword s3, s[0:1], 0x28
	v_lshlrev_b32_e32 v6, 2, v0
	s_waitcnt lgkmcnt(0)
	s_lshl_b64 s[0:1], s[6:7], 2
	s_add_u32 s4, s4, s0
	s_addc_u32 s5, s5, s1
	s_add_u32 s14, s10, s0
	s_addc_u32 s15, s11, s1
	s_lshl_b32 s0, s2, 11
	s_mov_b32 s1, 0
	s_add_i32 s3, s3, -1
	s_lshl_b64 s[10:11], s[0:1], 2
	s_add_u32 s12, s4, s10
	s_addc_u32 s13, s5, s11
	s_cmp_lg_u32 s2, s3
	s_cbranch_scc0 .LBB1663_2
; %bb.1:
	v_mov_b32_e32 v7, 0
	v_lshl_add_u64 v[2:3], s[12:13], 0, v[6:7]
	v_add_co_u32_e32 v2, vcc, 0x1000, v2
	global_load_dword v4, v6, s[12:13]
	global_load_dword v5, v6, s[12:13] offset:2048
	v_addc_co_u32_e32 v3, vcc, 0, v3, vcc
	global_load_dword v10, v[2:3], off
	global_load_dword v1, v[2:3], off offset:2048
	s_add_u32 s4, s14, s10
	s_addc_u32 s5, s15, s11
	v_lshl_add_u64 v[8:9], s[4:5], 0, v[6:7]
	v_add_co_u32_e32 v2, vcc, 0x1000, v8
	s_nop 1
	v_addc_co_u32_e32 v3, vcc, 0, v9, vcc
	s_mov_b64 s[6:7], -1
	s_waitcnt vmcnt(3)
	flat_store_dword v[8:9], v4
	s_waitcnt vmcnt(0)
	flat_store_dword v[8:9], v5 offset:2048
	flat_store_dword v[2:3], v10
	s_cbranch_execz .LBB1663_3
	s_branch .LBB1663_17
.LBB1663_2:
	s_mov_b64 s[6:7], 0
                                        ; implicit-def: $vgpr1
                                        ; implicit-def: $vgpr8_vgpr9
.LBB1663_3:
	s_sub_i32 s8, s8, s0
	v_cmp_gt_u32_e32 vcc, s8, v0
                                        ; implicit-def: $vgpr2_vgpr3_vgpr4_vgpr5
	s_and_saveexec_b64 s[0:1], vcc
	s_cbranch_execz .LBB1663_5
; %bb.4:
	global_load_dword v2, v6, s[12:13]
.LBB1663_5:
	s_or_b64 exec, exec, s[0:1]
	v_or_b32_e32 v1, 0x200, v0
	v_cmp_gt_u32_e64 s[2:3], s8, v1
	s_and_saveexec_b64 s[0:1], s[2:3]
	s_cbranch_execz .LBB1663_7
; %bb.6:
	global_load_dword v3, v6, s[12:13] offset:2048
.LBB1663_7:
	s_or_b64 exec, exec, s[0:1]
	v_or_b32_e32 v1, 0x400, v0
	v_cmp_gt_u32_e64 s[4:5], s8, v1
	s_and_saveexec_b64 s[0:1], s[4:5]
	s_cbranch_execz .LBB1663_9
; %bb.8:
	v_lshlrev_b32_e32 v1, 2, v1
	global_load_dword v4, v1, s[12:13]
.LBB1663_9:
	s_or_b64 exec, exec, s[0:1]
	v_or_b32_e32 v0, 0x600, v0
	v_cmp_gt_u32_e64 s[0:1], s8, v0
	s_and_saveexec_b64 s[8:9], s[0:1]
	s_cbranch_execz .LBB1663_11
; %bb.10:
	v_lshlrev_b32_e32 v0, 2, v0
	global_load_dword v5, v0, s[12:13]
.LBB1663_11:
	s_or_b64 exec, exec, s[8:9]
	s_add_u32 s8, s14, s10
	s_addc_u32 s9, s15, s11
	v_mov_b32_e32 v7, 0
	v_lshl_add_u64 v[8:9], s[8:9], 0, v[6:7]
	s_and_saveexec_b64 s[8:9], vcc
	s_cbranch_execnz .LBB1663_20
; %bb.12:
	s_or_b64 exec, exec, s[8:9]
	s_and_saveexec_b64 s[8:9], s[2:3]
	s_cbranch_execnz .LBB1663_21
.LBB1663_13:
	s_or_b64 exec, exec, s[8:9]
	s_and_saveexec_b64 s[2:3], s[4:5]
	s_cbranch_execnz .LBB1663_22
.LBB1663_14:
	s_or_b64 exec, exec, s[2:3]
                                        ; implicit-def: $vgpr1
	s_and_saveexec_b64 s[2:3], s[0:1]
	s_cbranch_execz .LBB1663_16
.LBB1663_15:
	s_waitcnt vmcnt(0)
	v_cndmask_b32_e64 v1, v5, v5, s[0:1]
	s_or_b64 s[6:7], s[6:7], exec
.LBB1663_16:
	s_or_b64 exec, exec, s[2:3]
.LBB1663_17:
	s_and_saveexec_b64 s[0:1], s[6:7]
	s_cbranch_execnz .LBB1663_19
; %bb.18:
	s_endpgm
.LBB1663_19:
	s_waitcnt vmcnt(0)
	v_add_co_u32_e32 v2, vcc, 0x1000, v8
	s_nop 1
	v_addc_co_u32_e32 v3, vcc, 0, v9, vcc
	flat_store_dword v[2:3], v1 offset:2048
	s_endpgm
.LBB1663_20:
	s_waitcnt vmcnt(0)
	flat_store_dword v[8:9], v2
	s_or_b64 exec, exec, s[8:9]
	s_and_saveexec_b64 s[8:9], s[2:3]
	s_cbranch_execz .LBB1663_13
.LBB1663_21:
	s_waitcnt vmcnt(0)
	flat_store_dword v[8:9], v3 offset:2048
	s_or_b64 exec, exec, s[8:9]
	s_and_saveexec_b64 s[2:3], s[4:5]
	s_cbranch_execz .LBB1663_14
.LBB1663_22:
	v_add_co_u32_e32 v0, vcc, 0x1000, v8
	s_waitcnt vmcnt(0)
	v_cndmask_b32_e64 v2, v4, v4, s[4:5]
	v_addc_co_u32_e32 v1, vcc, 0, v9, vcc
	flat_store_dword v[0:1], v2
	s_or_b64 exec, exec, s[2:3]
                                        ; implicit-def: $vgpr1
	s_and_saveexec_b64 s[2:3], s[0:1]
	s_cbranch_execnz .LBB1663_15
	s_branch .LBB1663_16
	.section	.rodata,"a",@progbits
	.p2align	6, 0x0
	.amdhsa_kernel _ZN7rocprim17ROCPRIM_400000_NS6detail17trampoline_kernelINS0_14default_configENS1_25transform_config_selectorIiLb0EEEZNS1_14transform_implILb0ES3_S5_PiN6thrust23THRUST_200600_302600_NS6detail15normal_iteratorINS9_10device_ptrIiEEEENS0_8identityIiEEEE10hipError_tT2_T3_mT4_P12ihipStream_tbEUlT_E_NS1_11comp_targetILNS1_3genE5ELNS1_11target_archE942ELNS1_3gpuE9ELNS1_3repE0EEENS1_30default_config_static_selectorELNS0_4arch9wavefront6targetE1EEEvT1_
		.amdhsa_group_segment_fixed_size 0
		.amdhsa_private_segment_fixed_size 0
		.amdhsa_kernarg_size 296
		.amdhsa_user_sgpr_count 2
		.amdhsa_user_sgpr_dispatch_ptr 0
		.amdhsa_user_sgpr_queue_ptr 0
		.amdhsa_user_sgpr_kernarg_segment_ptr 1
		.amdhsa_user_sgpr_dispatch_id 0
		.amdhsa_user_sgpr_kernarg_preload_length 0
		.amdhsa_user_sgpr_kernarg_preload_offset 0
		.amdhsa_user_sgpr_private_segment_size 0
		.amdhsa_uses_dynamic_stack 0
		.amdhsa_enable_private_segment 0
		.amdhsa_system_sgpr_workgroup_id_x 1
		.amdhsa_system_sgpr_workgroup_id_y 0
		.amdhsa_system_sgpr_workgroup_id_z 0
		.amdhsa_system_sgpr_workgroup_info 0
		.amdhsa_system_vgpr_workitem_id 0
		.amdhsa_next_free_vgpr 11
		.amdhsa_next_free_sgpr 16
		.amdhsa_accum_offset 12
		.amdhsa_reserve_vcc 1
		.amdhsa_float_round_mode_32 0
		.amdhsa_float_round_mode_16_64 0
		.amdhsa_float_denorm_mode_32 3
		.amdhsa_float_denorm_mode_16_64 3
		.amdhsa_dx10_clamp 1
		.amdhsa_ieee_mode 1
		.amdhsa_fp16_overflow 0
		.amdhsa_tg_split 0
		.amdhsa_exception_fp_ieee_invalid_op 0
		.amdhsa_exception_fp_denorm_src 0
		.amdhsa_exception_fp_ieee_div_zero 0
		.amdhsa_exception_fp_ieee_overflow 0
		.amdhsa_exception_fp_ieee_underflow 0
		.amdhsa_exception_fp_ieee_inexact 0
		.amdhsa_exception_int_div_zero 0
	.end_amdhsa_kernel
	.section	.text._ZN7rocprim17ROCPRIM_400000_NS6detail17trampoline_kernelINS0_14default_configENS1_25transform_config_selectorIiLb0EEEZNS1_14transform_implILb0ES3_S5_PiN6thrust23THRUST_200600_302600_NS6detail15normal_iteratorINS9_10device_ptrIiEEEENS0_8identityIiEEEE10hipError_tT2_T3_mT4_P12ihipStream_tbEUlT_E_NS1_11comp_targetILNS1_3genE5ELNS1_11target_archE942ELNS1_3gpuE9ELNS1_3repE0EEENS1_30default_config_static_selectorELNS0_4arch9wavefront6targetE1EEEvT1_,"axG",@progbits,_ZN7rocprim17ROCPRIM_400000_NS6detail17trampoline_kernelINS0_14default_configENS1_25transform_config_selectorIiLb0EEEZNS1_14transform_implILb0ES3_S5_PiN6thrust23THRUST_200600_302600_NS6detail15normal_iteratorINS9_10device_ptrIiEEEENS0_8identityIiEEEE10hipError_tT2_T3_mT4_P12ihipStream_tbEUlT_E_NS1_11comp_targetILNS1_3genE5ELNS1_11target_archE942ELNS1_3gpuE9ELNS1_3repE0EEENS1_30default_config_static_selectorELNS0_4arch9wavefront6targetE1EEEvT1_,comdat
.Lfunc_end1663:
	.size	_ZN7rocprim17ROCPRIM_400000_NS6detail17trampoline_kernelINS0_14default_configENS1_25transform_config_selectorIiLb0EEEZNS1_14transform_implILb0ES3_S5_PiN6thrust23THRUST_200600_302600_NS6detail15normal_iteratorINS9_10device_ptrIiEEEENS0_8identityIiEEEE10hipError_tT2_T3_mT4_P12ihipStream_tbEUlT_E_NS1_11comp_targetILNS1_3genE5ELNS1_11target_archE942ELNS1_3gpuE9ELNS1_3repE0EEENS1_30default_config_static_selectorELNS0_4arch9wavefront6targetE1EEEvT1_, .Lfunc_end1663-_ZN7rocprim17ROCPRIM_400000_NS6detail17trampoline_kernelINS0_14default_configENS1_25transform_config_selectorIiLb0EEEZNS1_14transform_implILb0ES3_S5_PiN6thrust23THRUST_200600_302600_NS6detail15normal_iteratorINS9_10device_ptrIiEEEENS0_8identityIiEEEE10hipError_tT2_T3_mT4_P12ihipStream_tbEUlT_E_NS1_11comp_targetILNS1_3genE5ELNS1_11target_archE942ELNS1_3gpuE9ELNS1_3repE0EEENS1_30default_config_static_selectorELNS0_4arch9wavefront6targetE1EEEvT1_
                                        ; -- End function
	.section	.AMDGPU.csdata,"",@progbits
; Kernel info:
; codeLenInByte = 580
; NumSgprs: 22
; NumVgprs: 11
; NumAgprs: 0
; TotalNumVgprs: 11
; ScratchSize: 0
; MemoryBound: 0
; FloatMode: 240
; IeeeMode: 1
; LDSByteSize: 0 bytes/workgroup (compile time only)
; SGPRBlocks: 2
; VGPRBlocks: 1
; NumSGPRsForWavesPerEU: 22
; NumVGPRsForWavesPerEU: 11
; AccumOffset: 12
; Occupancy: 8
; WaveLimiterHint : 1
; COMPUTE_PGM_RSRC2:SCRATCH_EN: 0
; COMPUTE_PGM_RSRC2:USER_SGPR: 2
; COMPUTE_PGM_RSRC2:TRAP_HANDLER: 0
; COMPUTE_PGM_RSRC2:TGID_X_EN: 1
; COMPUTE_PGM_RSRC2:TGID_Y_EN: 0
; COMPUTE_PGM_RSRC2:TGID_Z_EN: 0
; COMPUTE_PGM_RSRC2:TIDIG_COMP_CNT: 0
; COMPUTE_PGM_RSRC3_GFX90A:ACCUM_OFFSET: 2
; COMPUTE_PGM_RSRC3_GFX90A:TG_SPLIT: 0
	.section	.text._ZN7rocprim17ROCPRIM_400000_NS6detail17trampoline_kernelINS0_14default_configENS1_25transform_config_selectorIiLb0EEEZNS1_14transform_implILb0ES3_S5_PiN6thrust23THRUST_200600_302600_NS6detail15normal_iteratorINS9_10device_ptrIiEEEENS0_8identityIiEEEE10hipError_tT2_T3_mT4_P12ihipStream_tbEUlT_E_NS1_11comp_targetILNS1_3genE4ELNS1_11target_archE910ELNS1_3gpuE8ELNS1_3repE0EEENS1_30default_config_static_selectorELNS0_4arch9wavefront6targetE1EEEvT1_,"axG",@progbits,_ZN7rocprim17ROCPRIM_400000_NS6detail17trampoline_kernelINS0_14default_configENS1_25transform_config_selectorIiLb0EEEZNS1_14transform_implILb0ES3_S5_PiN6thrust23THRUST_200600_302600_NS6detail15normal_iteratorINS9_10device_ptrIiEEEENS0_8identityIiEEEE10hipError_tT2_T3_mT4_P12ihipStream_tbEUlT_E_NS1_11comp_targetILNS1_3genE4ELNS1_11target_archE910ELNS1_3gpuE8ELNS1_3repE0EEENS1_30default_config_static_selectorELNS0_4arch9wavefront6targetE1EEEvT1_,comdat
	.protected	_ZN7rocprim17ROCPRIM_400000_NS6detail17trampoline_kernelINS0_14default_configENS1_25transform_config_selectorIiLb0EEEZNS1_14transform_implILb0ES3_S5_PiN6thrust23THRUST_200600_302600_NS6detail15normal_iteratorINS9_10device_ptrIiEEEENS0_8identityIiEEEE10hipError_tT2_T3_mT4_P12ihipStream_tbEUlT_E_NS1_11comp_targetILNS1_3genE4ELNS1_11target_archE910ELNS1_3gpuE8ELNS1_3repE0EEENS1_30default_config_static_selectorELNS0_4arch9wavefront6targetE1EEEvT1_ ; -- Begin function _ZN7rocprim17ROCPRIM_400000_NS6detail17trampoline_kernelINS0_14default_configENS1_25transform_config_selectorIiLb0EEEZNS1_14transform_implILb0ES3_S5_PiN6thrust23THRUST_200600_302600_NS6detail15normal_iteratorINS9_10device_ptrIiEEEENS0_8identityIiEEEE10hipError_tT2_T3_mT4_P12ihipStream_tbEUlT_E_NS1_11comp_targetILNS1_3genE4ELNS1_11target_archE910ELNS1_3gpuE8ELNS1_3repE0EEENS1_30default_config_static_selectorELNS0_4arch9wavefront6targetE1EEEvT1_
	.globl	_ZN7rocprim17ROCPRIM_400000_NS6detail17trampoline_kernelINS0_14default_configENS1_25transform_config_selectorIiLb0EEEZNS1_14transform_implILb0ES3_S5_PiN6thrust23THRUST_200600_302600_NS6detail15normal_iteratorINS9_10device_ptrIiEEEENS0_8identityIiEEEE10hipError_tT2_T3_mT4_P12ihipStream_tbEUlT_E_NS1_11comp_targetILNS1_3genE4ELNS1_11target_archE910ELNS1_3gpuE8ELNS1_3repE0EEENS1_30default_config_static_selectorELNS0_4arch9wavefront6targetE1EEEvT1_
	.p2align	8
	.type	_ZN7rocprim17ROCPRIM_400000_NS6detail17trampoline_kernelINS0_14default_configENS1_25transform_config_selectorIiLb0EEEZNS1_14transform_implILb0ES3_S5_PiN6thrust23THRUST_200600_302600_NS6detail15normal_iteratorINS9_10device_ptrIiEEEENS0_8identityIiEEEE10hipError_tT2_T3_mT4_P12ihipStream_tbEUlT_E_NS1_11comp_targetILNS1_3genE4ELNS1_11target_archE910ELNS1_3gpuE8ELNS1_3repE0EEENS1_30default_config_static_selectorELNS0_4arch9wavefront6targetE1EEEvT1_,@function
_ZN7rocprim17ROCPRIM_400000_NS6detail17trampoline_kernelINS0_14default_configENS1_25transform_config_selectorIiLb0EEEZNS1_14transform_implILb0ES3_S5_PiN6thrust23THRUST_200600_302600_NS6detail15normal_iteratorINS9_10device_ptrIiEEEENS0_8identityIiEEEE10hipError_tT2_T3_mT4_P12ihipStream_tbEUlT_E_NS1_11comp_targetILNS1_3genE4ELNS1_11target_archE910ELNS1_3gpuE8ELNS1_3repE0EEENS1_30default_config_static_selectorELNS0_4arch9wavefront6targetE1EEEvT1_: ; @_ZN7rocprim17ROCPRIM_400000_NS6detail17trampoline_kernelINS0_14default_configENS1_25transform_config_selectorIiLb0EEEZNS1_14transform_implILb0ES3_S5_PiN6thrust23THRUST_200600_302600_NS6detail15normal_iteratorINS9_10device_ptrIiEEEENS0_8identityIiEEEE10hipError_tT2_T3_mT4_P12ihipStream_tbEUlT_E_NS1_11comp_targetILNS1_3genE4ELNS1_11target_archE910ELNS1_3gpuE8ELNS1_3repE0EEENS1_30default_config_static_selectorELNS0_4arch9wavefront6targetE1EEEvT1_
; %bb.0:
	.section	.rodata,"a",@progbits
	.p2align	6, 0x0
	.amdhsa_kernel _ZN7rocprim17ROCPRIM_400000_NS6detail17trampoline_kernelINS0_14default_configENS1_25transform_config_selectorIiLb0EEEZNS1_14transform_implILb0ES3_S5_PiN6thrust23THRUST_200600_302600_NS6detail15normal_iteratorINS9_10device_ptrIiEEEENS0_8identityIiEEEE10hipError_tT2_T3_mT4_P12ihipStream_tbEUlT_E_NS1_11comp_targetILNS1_3genE4ELNS1_11target_archE910ELNS1_3gpuE8ELNS1_3repE0EEENS1_30default_config_static_selectorELNS0_4arch9wavefront6targetE1EEEvT1_
		.amdhsa_group_segment_fixed_size 0
		.amdhsa_private_segment_fixed_size 0
		.amdhsa_kernarg_size 40
		.amdhsa_user_sgpr_count 2
		.amdhsa_user_sgpr_dispatch_ptr 0
		.amdhsa_user_sgpr_queue_ptr 0
		.amdhsa_user_sgpr_kernarg_segment_ptr 1
		.amdhsa_user_sgpr_dispatch_id 0
		.amdhsa_user_sgpr_kernarg_preload_length 0
		.amdhsa_user_sgpr_kernarg_preload_offset 0
		.amdhsa_user_sgpr_private_segment_size 0
		.amdhsa_uses_dynamic_stack 0
		.amdhsa_enable_private_segment 0
		.amdhsa_system_sgpr_workgroup_id_x 1
		.amdhsa_system_sgpr_workgroup_id_y 0
		.amdhsa_system_sgpr_workgroup_id_z 0
		.amdhsa_system_sgpr_workgroup_info 0
		.amdhsa_system_vgpr_workitem_id 0
		.amdhsa_next_free_vgpr 1
		.amdhsa_next_free_sgpr 0
		.amdhsa_accum_offset 4
		.amdhsa_reserve_vcc 0
		.amdhsa_float_round_mode_32 0
		.amdhsa_float_round_mode_16_64 0
		.amdhsa_float_denorm_mode_32 3
		.amdhsa_float_denorm_mode_16_64 3
		.amdhsa_dx10_clamp 1
		.amdhsa_ieee_mode 1
		.amdhsa_fp16_overflow 0
		.amdhsa_tg_split 0
		.amdhsa_exception_fp_ieee_invalid_op 0
		.amdhsa_exception_fp_denorm_src 0
		.amdhsa_exception_fp_ieee_div_zero 0
		.amdhsa_exception_fp_ieee_overflow 0
		.amdhsa_exception_fp_ieee_underflow 0
		.amdhsa_exception_fp_ieee_inexact 0
		.amdhsa_exception_int_div_zero 0
	.end_amdhsa_kernel
	.section	.text._ZN7rocprim17ROCPRIM_400000_NS6detail17trampoline_kernelINS0_14default_configENS1_25transform_config_selectorIiLb0EEEZNS1_14transform_implILb0ES3_S5_PiN6thrust23THRUST_200600_302600_NS6detail15normal_iteratorINS9_10device_ptrIiEEEENS0_8identityIiEEEE10hipError_tT2_T3_mT4_P12ihipStream_tbEUlT_E_NS1_11comp_targetILNS1_3genE4ELNS1_11target_archE910ELNS1_3gpuE8ELNS1_3repE0EEENS1_30default_config_static_selectorELNS0_4arch9wavefront6targetE1EEEvT1_,"axG",@progbits,_ZN7rocprim17ROCPRIM_400000_NS6detail17trampoline_kernelINS0_14default_configENS1_25transform_config_selectorIiLb0EEEZNS1_14transform_implILb0ES3_S5_PiN6thrust23THRUST_200600_302600_NS6detail15normal_iteratorINS9_10device_ptrIiEEEENS0_8identityIiEEEE10hipError_tT2_T3_mT4_P12ihipStream_tbEUlT_E_NS1_11comp_targetILNS1_3genE4ELNS1_11target_archE910ELNS1_3gpuE8ELNS1_3repE0EEENS1_30default_config_static_selectorELNS0_4arch9wavefront6targetE1EEEvT1_,comdat
.Lfunc_end1664:
	.size	_ZN7rocprim17ROCPRIM_400000_NS6detail17trampoline_kernelINS0_14default_configENS1_25transform_config_selectorIiLb0EEEZNS1_14transform_implILb0ES3_S5_PiN6thrust23THRUST_200600_302600_NS6detail15normal_iteratorINS9_10device_ptrIiEEEENS0_8identityIiEEEE10hipError_tT2_T3_mT4_P12ihipStream_tbEUlT_E_NS1_11comp_targetILNS1_3genE4ELNS1_11target_archE910ELNS1_3gpuE8ELNS1_3repE0EEENS1_30default_config_static_selectorELNS0_4arch9wavefront6targetE1EEEvT1_, .Lfunc_end1664-_ZN7rocprim17ROCPRIM_400000_NS6detail17trampoline_kernelINS0_14default_configENS1_25transform_config_selectorIiLb0EEEZNS1_14transform_implILb0ES3_S5_PiN6thrust23THRUST_200600_302600_NS6detail15normal_iteratorINS9_10device_ptrIiEEEENS0_8identityIiEEEE10hipError_tT2_T3_mT4_P12ihipStream_tbEUlT_E_NS1_11comp_targetILNS1_3genE4ELNS1_11target_archE910ELNS1_3gpuE8ELNS1_3repE0EEENS1_30default_config_static_selectorELNS0_4arch9wavefront6targetE1EEEvT1_
                                        ; -- End function
	.section	.AMDGPU.csdata,"",@progbits
; Kernel info:
; codeLenInByte = 0
; NumSgprs: 6
; NumVgprs: 0
; NumAgprs: 0
; TotalNumVgprs: 0
; ScratchSize: 0
; MemoryBound: 0
; FloatMode: 240
; IeeeMode: 1
; LDSByteSize: 0 bytes/workgroup (compile time only)
; SGPRBlocks: 0
; VGPRBlocks: 0
; NumSGPRsForWavesPerEU: 6
; NumVGPRsForWavesPerEU: 1
; AccumOffset: 4
; Occupancy: 8
; WaveLimiterHint : 0
; COMPUTE_PGM_RSRC2:SCRATCH_EN: 0
; COMPUTE_PGM_RSRC2:USER_SGPR: 2
; COMPUTE_PGM_RSRC2:TRAP_HANDLER: 0
; COMPUTE_PGM_RSRC2:TGID_X_EN: 1
; COMPUTE_PGM_RSRC2:TGID_Y_EN: 0
; COMPUTE_PGM_RSRC2:TGID_Z_EN: 0
; COMPUTE_PGM_RSRC2:TIDIG_COMP_CNT: 0
; COMPUTE_PGM_RSRC3_GFX90A:ACCUM_OFFSET: 0
; COMPUTE_PGM_RSRC3_GFX90A:TG_SPLIT: 0
	.section	.text._ZN7rocprim17ROCPRIM_400000_NS6detail17trampoline_kernelINS0_14default_configENS1_25transform_config_selectorIiLb0EEEZNS1_14transform_implILb0ES3_S5_PiN6thrust23THRUST_200600_302600_NS6detail15normal_iteratorINS9_10device_ptrIiEEEENS0_8identityIiEEEE10hipError_tT2_T3_mT4_P12ihipStream_tbEUlT_E_NS1_11comp_targetILNS1_3genE3ELNS1_11target_archE908ELNS1_3gpuE7ELNS1_3repE0EEENS1_30default_config_static_selectorELNS0_4arch9wavefront6targetE1EEEvT1_,"axG",@progbits,_ZN7rocprim17ROCPRIM_400000_NS6detail17trampoline_kernelINS0_14default_configENS1_25transform_config_selectorIiLb0EEEZNS1_14transform_implILb0ES3_S5_PiN6thrust23THRUST_200600_302600_NS6detail15normal_iteratorINS9_10device_ptrIiEEEENS0_8identityIiEEEE10hipError_tT2_T3_mT4_P12ihipStream_tbEUlT_E_NS1_11comp_targetILNS1_3genE3ELNS1_11target_archE908ELNS1_3gpuE7ELNS1_3repE0EEENS1_30default_config_static_selectorELNS0_4arch9wavefront6targetE1EEEvT1_,comdat
	.protected	_ZN7rocprim17ROCPRIM_400000_NS6detail17trampoline_kernelINS0_14default_configENS1_25transform_config_selectorIiLb0EEEZNS1_14transform_implILb0ES3_S5_PiN6thrust23THRUST_200600_302600_NS6detail15normal_iteratorINS9_10device_ptrIiEEEENS0_8identityIiEEEE10hipError_tT2_T3_mT4_P12ihipStream_tbEUlT_E_NS1_11comp_targetILNS1_3genE3ELNS1_11target_archE908ELNS1_3gpuE7ELNS1_3repE0EEENS1_30default_config_static_selectorELNS0_4arch9wavefront6targetE1EEEvT1_ ; -- Begin function _ZN7rocprim17ROCPRIM_400000_NS6detail17trampoline_kernelINS0_14default_configENS1_25transform_config_selectorIiLb0EEEZNS1_14transform_implILb0ES3_S5_PiN6thrust23THRUST_200600_302600_NS6detail15normal_iteratorINS9_10device_ptrIiEEEENS0_8identityIiEEEE10hipError_tT2_T3_mT4_P12ihipStream_tbEUlT_E_NS1_11comp_targetILNS1_3genE3ELNS1_11target_archE908ELNS1_3gpuE7ELNS1_3repE0EEENS1_30default_config_static_selectorELNS0_4arch9wavefront6targetE1EEEvT1_
	.globl	_ZN7rocprim17ROCPRIM_400000_NS6detail17trampoline_kernelINS0_14default_configENS1_25transform_config_selectorIiLb0EEEZNS1_14transform_implILb0ES3_S5_PiN6thrust23THRUST_200600_302600_NS6detail15normal_iteratorINS9_10device_ptrIiEEEENS0_8identityIiEEEE10hipError_tT2_T3_mT4_P12ihipStream_tbEUlT_E_NS1_11comp_targetILNS1_3genE3ELNS1_11target_archE908ELNS1_3gpuE7ELNS1_3repE0EEENS1_30default_config_static_selectorELNS0_4arch9wavefront6targetE1EEEvT1_
	.p2align	8
	.type	_ZN7rocprim17ROCPRIM_400000_NS6detail17trampoline_kernelINS0_14default_configENS1_25transform_config_selectorIiLb0EEEZNS1_14transform_implILb0ES3_S5_PiN6thrust23THRUST_200600_302600_NS6detail15normal_iteratorINS9_10device_ptrIiEEEENS0_8identityIiEEEE10hipError_tT2_T3_mT4_P12ihipStream_tbEUlT_E_NS1_11comp_targetILNS1_3genE3ELNS1_11target_archE908ELNS1_3gpuE7ELNS1_3repE0EEENS1_30default_config_static_selectorELNS0_4arch9wavefront6targetE1EEEvT1_,@function
_ZN7rocprim17ROCPRIM_400000_NS6detail17trampoline_kernelINS0_14default_configENS1_25transform_config_selectorIiLb0EEEZNS1_14transform_implILb0ES3_S5_PiN6thrust23THRUST_200600_302600_NS6detail15normal_iteratorINS9_10device_ptrIiEEEENS0_8identityIiEEEE10hipError_tT2_T3_mT4_P12ihipStream_tbEUlT_E_NS1_11comp_targetILNS1_3genE3ELNS1_11target_archE908ELNS1_3gpuE7ELNS1_3repE0EEENS1_30default_config_static_selectorELNS0_4arch9wavefront6targetE1EEEvT1_: ; @_ZN7rocprim17ROCPRIM_400000_NS6detail17trampoline_kernelINS0_14default_configENS1_25transform_config_selectorIiLb0EEEZNS1_14transform_implILb0ES3_S5_PiN6thrust23THRUST_200600_302600_NS6detail15normal_iteratorINS9_10device_ptrIiEEEENS0_8identityIiEEEE10hipError_tT2_T3_mT4_P12ihipStream_tbEUlT_E_NS1_11comp_targetILNS1_3genE3ELNS1_11target_archE908ELNS1_3gpuE7ELNS1_3repE0EEENS1_30default_config_static_selectorELNS0_4arch9wavefront6targetE1EEEvT1_
; %bb.0:
	.section	.rodata,"a",@progbits
	.p2align	6, 0x0
	.amdhsa_kernel _ZN7rocprim17ROCPRIM_400000_NS6detail17trampoline_kernelINS0_14default_configENS1_25transform_config_selectorIiLb0EEEZNS1_14transform_implILb0ES3_S5_PiN6thrust23THRUST_200600_302600_NS6detail15normal_iteratorINS9_10device_ptrIiEEEENS0_8identityIiEEEE10hipError_tT2_T3_mT4_P12ihipStream_tbEUlT_E_NS1_11comp_targetILNS1_3genE3ELNS1_11target_archE908ELNS1_3gpuE7ELNS1_3repE0EEENS1_30default_config_static_selectorELNS0_4arch9wavefront6targetE1EEEvT1_
		.amdhsa_group_segment_fixed_size 0
		.amdhsa_private_segment_fixed_size 0
		.amdhsa_kernarg_size 40
		.amdhsa_user_sgpr_count 2
		.amdhsa_user_sgpr_dispatch_ptr 0
		.amdhsa_user_sgpr_queue_ptr 0
		.amdhsa_user_sgpr_kernarg_segment_ptr 1
		.amdhsa_user_sgpr_dispatch_id 0
		.amdhsa_user_sgpr_kernarg_preload_length 0
		.amdhsa_user_sgpr_kernarg_preload_offset 0
		.amdhsa_user_sgpr_private_segment_size 0
		.amdhsa_uses_dynamic_stack 0
		.amdhsa_enable_private_segment 0
		.amdhsa_system_sgpr_workgroup_id_x 1
		.amdhsa_system_sgpr_workgroup_id_y 0
		.amdhsa_system_sgpr_workgroup_id_z 0
		.amdhsa_system_sgpr_workgroup_info 0
		.amdhsa_system_vgpr_workitem_id 0
		.amdhsa_next_free_vgpr 1
		.amdhsa_next_free_sgpr 0
		.amdhsa_accum_offset 4
		.amdhsa_reserve_vcc 0
		.amdhsa_float_round_mode_32 0
		.amdhsa_float_round_mode_16_64 0
		.amdhsa_float_denorm_mode_32 3
		.amdhsa_float_denorm_mode_16_64 3
		.amdhsa_dx10_clamp 1
		.amdhsa_ieee_mode 1
		.amdhsa_fp16_overflow 0
		.amdhsa_tg_split 0
		.amdhsa_exception_fp_ieee_invalid_op 0
		.amdhsa_exception_fp_denorm_src 0
		.amdhsa_exception_fp_ieee_div_zero 0
		.amdhsa_exception_fp_ieee_overflow 0
		.amdhsa_exception_fp_ieee_underflow 0
		.amdhsa_exception_fp_ieee_inexact 0
		.amdhsa_exception_int_div_zero 0
	.end_amdhsa_kernel
	.section	.text._ZN7rocprim17ROCPRIM_400000_NS6detail17trampoline_kernelINS0_14default_configENS1_25transform_config_selectorIiLb0EEEZNS1_14transform_implILb0ES3_S5_PiN6thrust23THRUST_200600_302600_NS6detail15normal_iteratorINS9_10device_ptrIiEEEENS0_8identityIiEEEE10hipError_tT2_T3_mT4_P12ihipStream_tbEUlT_E_NS1_11comp_targetILNS1_3genE3ELNS1_11target_archE908ELNS1_3gpuE7ELNS1_3repE0EEENS1_30default_config_static_selectorELNS0_4arch9wavefront6targetE1EEEvT1_,"axG",@progbits,_ZN7rocprim17ROCPRIM_400000_NS6detail17trampoline_kernelINS0_14default_configENS1_25transform_config_selectorIiLb0EEEZNS1_14transform_implILb0ES3_S5_PiN6thrust23THRUST_200600_302600_NS6detail15normal_iteratorINS9_10device_ptrIiEEEENS0_8identityIiEEEE10hipError_tT2_T3_mT4_P12ihipStream_tbEUlT_E_NS1_11comp_targetILNS1_3genE3ELNS1_11target_archE908ELNS1_3gpuE7ELNS1_3repE0EEENS1_30default_config_static_selectorELNS0_4arch9wavefront6targetE1EEEvT1_,comdat
.Lfunc_end1665:
	.size	_ZN7rocprim17ROCPRIM_400000_NS6detail17trampoline_kernelINS0_14default_configENS1_25transform_config_selectorIiLb0EEEZNS1_14transform_implILb0ES3_S5_PiN6thrust23THRUST_200600_302600_NS6detail15normal_iteratorINS9_10device_ptrIiEEEENS0_8identityIiEEEE10hipError_tT2_T3_mT4_P12ihipStream_tbEUlT_E_NS1_11comp_targetILNS1_3genE3ELNS1_11target_archE908ELNS1_3gpuE7ELNS1_3repE0EEENS1_30default_config_static_selectorELNS0_4arch9wavefront6targetE1EEEvT1_, .Lfunc_end1665-_ZN7rocprim17ROCPRIM_400000_NS6detail17trampoline_kernelINS0_14default_configENS1_25transform_config_selectorIiLb0EEEZNS1_14transform_implILb0ES3_S5_PiN6thrust23THRUST_200600_302600_NS6detail15normal_iteratorINS9_10device_ptrIiEEEENS0_8identityIiEEEE10hipError_tT2_T3_mT4_P12ihipStream_tbEUlT_E_NS1_11comp_targetILNS1_3genE3ELNS1_11target_archE908ELNS1_3gpuE7ELNS1_3repE0EEENS1_30default_config_static_selectorELNS0_4arch9wavefront6targetE1EEEvT1_
                                        ; -- End function
	.section	.AMDGPU.csdata,"",@progbits
; Kernel info:
; codeLenInByte = 0
; NumSgprs: 6
; NumVgprs: 0
; NumAgprs: 0
; TotalNumVgprs: 0
; ScratchSize: 0
; MemoryBound: 0
; FloatMode: 240
; IeeeMode: 1
; LDSByteSize: 0 bytes/workgroup (compile time only)
; SGPRBlocks: 0
; VGPRBlocks: 0
; NumSGPRsForWavesPerEU: 6
; NumVGPRsForWavesPerEU: 1
; AccumOffset: 4
; Occupancy: 8
; WaveLimiterHint : 0
; COMPUTE_PGM_RSRC2:SCRATCH_EN: 0
; COMPUTE_PGM_RSRC2:USER_SGPR: 2
; COMPUTE_PGM_RSRC2:TRAP_HANDLER: 0
; COMPUTE_PGM_RSRC2:TGID_X_EN: 1
; COMPUTE_PGM_RSRC2:TGID_Y_EN: 0
; COMPUTE_PGM_RSRC2:TGID_Z_EN: 0
; COMPUTE_PGM_RSRC2:TIDIG_COMP_CNT: 0
; COMPUTE_PGM_RSRC3_GFX90A:ACCUM_OFFSET: 0
; COMPUTE_PGM_RSRC3_GFX90A:TG_SPLIT: 0
	.section	.text._ZN7rocprim17ROCPRIM_400000_NS6detail17trampoline_kernelINS0_14default_configENS1_25transform_config_selectorIiLb0EEEZNS1_14transform_implILb0ES3_S5_PiN6thrust23THRUST_200600_302600_NS6detail15normal_iteratorINS9_10device_ptrIiEEEENS0_8identityIiEEEE10hipError_tT2_T3_mT4_P12ihipStream_tbEUlT_E_NS1_11comp_targetILNS1_3genE2ELNS1_11target_archE906ELNS1_3gpuE6ELNS1_3repE0EEENS1_30default_config_static_selectorELNS0_4arch9wavefront6targetE1EEEvT1_,"axG",@progbits,_ZN7rocprim17ROCPRIM_400000_NS6detail17trampoline_kernelINS0_14default_configENS1_25transform_config_selectorIiLb0EEEZNS1_14transform_implILb0ES3_S5_PiN6thrust23THRUST_200600_302600_NS6detail15normal_iteratorINS9_10device_ptrIiEEEENS0_8identityIiEEEE10hipError_tT2_T3_mT4_P12ihipStream_tbEUlT_E_NS1_11comp_targetILNS1_3genE2ELNS1_11target_archE906ELNS1_3gpuE6ELNS1_3repE0EEENS1_30default_config_static_selectorELNS0_4arch9wavefront6targetE1EEEvT1_,comdat
	.protected	_ZN7rocprim17ROCPRIM_400000_NS6detail17trampoline_kernelINS0_14default_configENS1_25transform_config_selectorIiLb0EEEZNS1_14transform_implILb0ES3_S5_PiN6thrust23THRUST_200600_302600_NS6detail15normal_iteratorINS9_10device_ptrIiEEEENS0_8identityIiEEEE10hipError_tT2_T3_mT4_P12ihipStream_tbEUlT_E_NS1_11comp_targetILNS1_3genE2ELNS1_11target_archE906ELNS1_3gpuE6ELNS1_3repE0EEENS1_30default_config_static_selectorELNS0_4arch9wavefront6targetE1EEEvT1_ ; -- Begin function _ZN7rocprim17ROCPRIM_400000_NS6detail17trampoline_kernelINS0_14default_configENS1_25transform_config_selectorIiLb0EEEZNS1_14transform_implILb0ES3_S5_PiN6thrust23THRUST_200600_302600_NS6detail15normal_iteratorINS9_10device_ptrIiEEEENS0_8identityIiEEEE10hipError_tT2_T3_mT4_P12ihipStream_tbEUlT_E_NS1_11comp_targetILNS1_3genE2ELNS1_11target_archE906ELNS1_3gpuE6ELNS1_3repE0EEENS1_30default_config_static_selectorELNS0_4arch9wavefront6targetE1EEEvT1_
	.globl	_ZN7rocprim17ROCPRIM_400000_NS6detail17trampoline_kernelINS0_14default_configENS1_25transform_config_selectorIiLb0EEEZNS1_14transform_implILb0ES3_S5_PiN6thrust23THRUST_200600_302600_NS6detail15normal_iteratorINS9_10device_ptrIiEEEENS0_8identityIiEEEE10hipError_tT2_T3_mT4_P12ihipStream_tbEUlT_E_NS1_11comp_targetILNS1_3genE2ELNS1_11target_archE906ELNS1_3gpuE6ELNS1_3repE0EEENS1_30default_config_static_selectorELNS0_4arch9wavefront6targetE1EEEvT1_
	.p2align	8
	.type	_ZN7rocprim17ROCPRIM_400000_NS6detail17trampoline_kernelINS0_14default_configENS1_25transform_config_selectorIiLb0EEEZNS1_14transform_implILb0ES3_S5_PiN6thrust23THRUST_200600_302600_NS6detail15normal_iteratorINS9_10device_ptrIiEEEENS0_8identityIiEEEE10hipError_tT2_T3_mT4_P12ihipStream_tbEUlT_E_NS1_11comp_targetILNS1_3genE2ELNS1_11target_archE906ELNS1_3gpuE6ELNS1_3repE0EEENS1_30default_config_static_selectorELNS0_4arch9wavefront6targetE1EEEvT1_,@function
_ZN7rocprim17ROCPRIM_400000_NS6detail17trampoline_kernelINS0_14default_configENS1_25transform_config_selectorIiLb0EEEZNS1_14transform_implILb0ES3_S5_PiN6thrust23THRUST_200600_302600_NS6detail15normal_iteratorINS9_10device_ptrIiEEEENS0_8identityIiEEEE10hipError_tT2_T3_mT4_P12ihipStream_tbEUlT_E_NS1_11comp_targetILNS1_3genE2ELNS1_11target_archE906ELNS1_3gpuE6ELNS1_3repE0EEENS1_30default_config_static_selectorELNS0_4arch9wavefront6targetE1EEEvT1_: ; @_ZN7rocprim17ROCPRIM_400000_NS6detail17trampoline_kernelINS0_14default_configENS1_25transform_config_selectorIiLb0EEEZNS1_14transform_implILb0ES3_S5_PiN6thrust23THRUST_200600_302600_NS6detail15normal_iteratorINS9_10device_ptrIiEEEENS0_8identityIiEEEE10hipError_tT2_T3_mT4_P12ihipStream_tbEUlT_E_NS1_11comp_targetILNS1_3genE2ELNS1_11target_archE906ELNS1_3gpuE6ELNS1_3repE0EEENS1_30default_config_static_selectorELNS0_4arch9wavefront6targetE1EEEvT1_
; %bb.0:
	.section	.rodata,"a",@progbits
	.p2align	6, 0x0
	.amdhsa_kernel _ZN7rocprim17ROCPRIM_400000_NS6detail17trampoline_kernelINS0_14default_configENS1_25transform_config_selectorIiLb0EEEZNS1_14transform_implILb0ES3_S5_PiN6thrust23THRUST_200600_302600_NS6detail15normal_iteratorINS9_10device_ptrIiEEEENS0_8identityIiEEEE10hipError_tT2_T3_mT4_P12ihipStream_tbEUlT_E_NS1_11comp_targetILNS1_3genE2ELNS1_11target_archE906ELNS1_3gpuE6ELNS1_3repE0EEENS1_30default_config_static_selectorELNS0_4arch9wavefront6targetE1EEEvT1_
		.amdhsa_group_segment_fixed_size 0
		.amdhsa_private_segment_fixed_size 0
		.amdhsa_kernarg_size 40
		.amdhsa_user_sgpr_count 2
		.amdhsa_user_sgpr_dispatch_ptr 0
		.amdhsa_user_sgpr_queue_ptr 0
		.amdhsa_user_sgpr_kernarg_segment_ptr 1
		.amdhsa_user_sgpr_dispatch_id 0
		.amdhsa_user_sgpr_kernarg_preload_length 0
		.amdhsa_user_sgpr_kernarg_preload_offset 0
		.amdhsa_user_sgpr_private_segment_size 0
		.amdhsa_uses_dynamic_stack 0
		.amdhsa_enable_private_segment 0
		.amdhsa_system_sgpr_workgroup_id_x 1
		.amdhsa_system_sgpr_workgroup_id_y 0
		.amdhsa_system_sgpr_workgroup_id_z 0
		.amdhsa_system_sgpr_workgroup_info 0
		.amdhsa_system_vgpr_workitem_id 0
		.amdhsa_next_free_vgpr 1
		.amdhsa_next_free_sgpr 0
		.amdhsa_accum_offset 4
		.amdhsa_reserve_vcc 0
		.amdhsa_float_round_mode_32 0
		.amdhsa_float_round_mode_16_64 0
		.amdhsa_float_denorm_mode_32 3
		.amdhsa_float_denorm_mode_16_64 3
		.amdhsa_dx10_clamp 1
		.amdhsa_ieee_mode 1
		.amdhsa_fp16_overflow 0
		.amdhsa_tg_split 0
		.amdhsa_exception_fp_ieee_invalid_op 0
		.amdhsa_exception_fp_denorm_src 0
		.amdhsa_exception_fp_ieee_div_zero 0
		.amdhsa_exception_fp_ieee_overflow 0
		.amdhsa_exception_fp_ieee_underflow 0
		.amdhsa_exception_fp_ieee_inexact 0
		.amdhsa_exception_int_div_zero 0
	.end_amdhsa_kernel
	.section	.text._ZN7rocprim17ROCPRIM_400000_NS6detail17trampoline_kernelINS0_14default_configENS1_25transform_config_selectorIiLb0EEEZNS1_14transform_implILb0ES3_S5_PiN6thrust23THRUST_200600_302600_NS6detail15normal_iteratorINS9_10device_ptrIiEEEENS0_8identityIiEEEE10hipError_tT2_T3_mT4_P12ihipStream_tbEUlT_E_NS1_11comp_targetILNS1_3genE2ELNS1_11target_archE906ELNS1_3gpuE6ELNS1_3repE0EEENS1_30default_config_static_selectorELNS0_4arch9wavefront6targetE1EEEvT1_,"axG",@progbits,_ZN7rocprim17ROCPRIM_400000_NS6detail17trampoline_kernelINS0_14default_configENS1_25transform_config_selectorIiLb0EEEZNS1_14transform_implILb0ES3_S5_PiN6thrust23THRUST_200600_302600_NS6detail15normal_iteratorINS9_10device_ptrIiEEEENS0_8identityIiEEEE10hipError_tT2_T3_mT4_P12ihipStream_tbEUlT_E_NS1_11comp_targetILNS1_3genE2ELNS1_11target_archE906ELNS1_3gpuE6ELNS1_3repE0EEENS1_30default_config_static_selectorELNS0_4arch9wavefront6targetE1EEEvT1_,comdat
.Lfunc_end1666:
	.size	_ZN7rocprim17ROCPRIM_400000_NS6detail17trampoline_kernelINS0_14default_configENS1_25transform_config_selectorIiLb0EEEZNS1_14transform_implILb0ES3_S5_PiN6thrust23THRUST_200600_302600_NS6detail15normal_iteratorINS9_10device_ptrIiEEEENS0_8identityIiEEEE10hipError_tT2_T3_mT4_P12ihipStream_tbEUlT_E_NS1_11comp_targetILNS1_3genE2ELNS1_11target_archE906ELNS1_3gpuE6ELNS1_3repE0EEENS1_30default_config_static_selectorELNS0_4arch9wavefront6targetE1EEEvT1_, .Lfunc_end1666-_ZN7rocprim17ROCPRIM_400000_NS6detail17trampoline_kernelINS0_14default_configENS1_25transform_config_selectorIiLb0EEEZNS1_14transform_implILb0ES3_S5_PiN6thrust23THRUST_200600_302600_NS6detail15normal_iteratorINS9_10device_ptrIiEEEENS0_8identityIiEEEE10hipError_tT2_T3_mT4_P12ihipStream_tbEUlT_E_NS1_11comp_targetILNS1_3genE2ELNS1_11target_archE906ELNS1_3gpuE6ELNS1_3repE0EEENS1_30default_config_static_selectorELNS0_4arch9wavefront6targetE1EEEvT1_
                                        ; -- End function
	.section	.AMDGPU.csdata,"",@progbits
; Kernel info:
; codeLenInByte = 0
; NumSgprs: 6
; NumVgprs: 0
; NumAgprs: 0
; TotalNumVgprs: 0
; ScratchSize: 0
; MemoryBound: 0
; FloatMode: 240
; IeeeMode: 1
; LDSByteSize: 0 bytes/workgroup (compile time only)
; SGPRBlocks: 0
; VGPRBlocks: 0
; NumSGPRsForWavesPerEU: 6
; NumVGPRsForWavesPerEU: 1
; AccumOffset: 4
; Occupancy: 8
; WaveLimiterHint : 0
; COMPUTE_PGM_RSRC2:SCRATCH_EN: 0
; COMPUTE_PGM_RSRC2:USER_SGPR: 2
; COMPUTE_PGM_RSRC2:TRAP_HANDLER: 0
; COMPUTE_PGM_RSRC2:TGID_X_EN: 1
; COMPUTE_PGM_RSRC2:TGID_Y_EN: 0
; COMPUTE_PGM_RSRC2:TGID_Z_EN: 0
; COMPUTE_PGM_RSRC2:TIDIG_COMP_CNT: 0
; COMPUTE_PGM_RSRC3_GFX90A:ACCUM_OFFSET: 0
; COMPUTE_PGM_RSRC3_GFX90A:TG_SPLIT: 0
	.section	.text._ZN7rocprim17ROCPRIM_400000_NS6detail17trampoline_kernelINS0_14default_configENS1_25transform_config_selectorIiLb0EEEZNS1_14transform_implILb0ES3_S5_PiN6thrust23THRUST_200600_302600_NS6detail15normal_iteratorINS9_10device_ptrIiEEEENS0_8identityIiEEEE10hipError_tT2_T3_mT4_P12ihipStream_tbEUlT_E_NS1_11comp_targetILNS1_3genE10ELNS1_11target_archE1201ELNS1_3gpuE5ELNS1_3repE0EEENS1_30default_config_static_selectorELNS0_4arch9wavefront6targetE1EEEvT1_,"axG",@progbits,_ZN7rocprim17ROCPRIM_400000_NS6detail17trampoline_kernelINS0_14default_configENS1_25transform_config_selectorIiLb0EEEZNS1_14transform_implILb0ES3_S5_PiN6thrust23THRUST_200600_302600_NS6detail15normal_iteratorINS9_10device_ptrIiEEEENS0_8identityIiEEEE10hipError_tT2_T3_mT4_P12ihipStream_tbEUlT_E_NS1_11comp_targetILNS1_3genE10ELNS1_11target_archE1201ELNS1_3gpuE5ELNS1_3repE0EEENS1_30default_config_static_selectorELNS0_4arch9wavefront6targetE1EEEvT1_,comdat
	.protected	_ZN7rocprim17ROCPRIM_400000_NS6detail17trampoline_kernelINS0_14default_configENS1_25transform_config_selectorIiLb0EEEZNS1_14transform_implILb0ES3_S5_PiN6thrust23THRUST_200600_302600_NS6detail15normal_iteratorINS9_10device_ptrIiEEEENS0_8identityIiEEEE10hipError_tT2_T3_mT4_P12ihipStream_tbEUlT_E_NS1_11comp_targetILNS1_3genE10ELNS1_11target_archE1201ELNS1_3gpuE5ELNS1_3repE0EEENS1_30default_config_static_selectorELNS0_4arch9wavefront6targetE1EEEvT1_ ; -- Begin function _ZN7rocprim17ROCPRIM_400000_NS6detail17trampoline_kernelINS0_14default_configENS1_25transform_config_selectorIiLb0EEEZNS1_14transform_implILb0ES3_S5_PiN6thrust23THRUST_200600_302600_NS6detail15normal_iteratorINS9_10device_ptrIiEEEENS0_8identityIiEEEE10hipError_tT2_T3_mT4_P12ihipStream_tbEUlT_E_NS1_11comp_targetILNS1_3genE10ELNS1_11target_archE1201ELNS1_3gpuE5ELNS1_3repE0EEENS1_30default_config_static_selectorELNS0_4arch9wavefront6targetE1EEEvT1_
	.globl	_ZN7rocprim17ROCPRIM_400000_NS6detail17trampoline_kernelINS0_14default_configENS1_25transform_config_selectorIiLb0EEEZNS1_14transform_implILb0ES3_S5_PiN6thrust23THRUST_200600_302600_NS6detail15normal_iteratorINS9_10device_ptrIiEEEENS0_8identityIiEEEE10hipError_tT2_T3_mT4_P12ihipStream_tbEUlT_E_NS1_11comp_targetILNS1_3genE10ELNS1_11target_archE1201ELNS1_3gpuE5ELNS1_3repE0EEENS1_30default_config_static_selectorELNS0_4arch9wavefront6targetE1EEEvT1_
	.p2align	8
	.type	_ZN7rocprim17ROCPRIM_400000_NS6detail17trampoline_kernelINS0_14default_configENS1_25transform_config_selectorIiLb0EEEZNS1_14transform_implILb0ES3_S5_PiN6thrust23THRUST_200600_302600_NS6detail15normal_iteratorINS9_10device_ptrIiEEEENS0_8identityIiEEEE10hipError_tT2_T3_mT4_P12ihipStream_tbEUlT_E_NS1_11comp_targetILNS1_3genE10ELNS1_11target_archE1201ELNS1_3gpuE5ELNS1_3repE0EEENS1_30default_config_static_selectorELNS0_4arch9wavefront6targetE1EEEvT1_,@function
_ZN7rocprim17ROCPRIM_400000_NS6detail17trampoline_kernelINS0_14default_configENS1_25transform_config_selectorIiLb0EEEZNS1_14transform_implILb0ES3_S5_PiN6thrust23THRUST_200600_302600_NS6detail15normal_iteratorINS9_10device_ptrIiEEEENS0_8identityIiEEEE10hipError_tT2_T3_mT4_P12ihipStream_tbEUlT_E_NS1_11comp_targetILNS1_3genE10ELNS1_11target_archE1201ELNS1_3gpuE5ELNS1_3repE0EEENS1_30default_config_static_selectorELNS0_4arch9wavefront6targetE1EEEvT1_: ; @_ZN7rocprim17ROCPRIM_400000_NS6detail17trampoline_kernelINS0_14default_configENS1_25transform_config_selectorIiLb0EEEZNS1_14transform_implILb0ES3_S5_PiN6thrust23THRUST_200600_302600_NS6detail15normal_iteratorINS9_10device_ptrIiEEEENS0_8identityIiEEEE10hipError_tT2_T3_mT4_P12ihipStream_tbEUlT_E_NS1_11comp_targetILNS1_3genE10ELNS1_11target_archE1201ELNS1_3gpuE5ELNS1_3repE0EEENS1_30default_config_static_selectorELNS0_4arch9wavefront6targetE1EEEvT1_
; %bb.0:
	.section	.rodata,"a",@progbits
	.p2align	6, 0x0
	.amdhsa_kernel _ZN7rocprim17ROCPRIM_400000_NS6detail17trampoline_kernelINS0_14default_configENS1_25transform_config_selectorIiLb0EEEZNS1_14transform_implILb0ES3_S5_PiN6thrust23THRUST_200600_302600_NS6detail15normal_iteratorINS9_10device_ptrIiEEEENS0_8identityIiEEEE10hipError_tT2_T3_mT4_P12ihipStream_tbEUlT_E_NS1_11comp_targetILNS1_3genE10ELNS1_11target_archE1201ELNS1_3gpuE5ELNS1_3repE0EEENS1_30default_config_static_selectorELNS0_4arch9wavefront6targetE1EEEvT1_
		.amdhsa_group_segment_fixed_size 0
		.amdhsa_private_segment_fixed_size 0
		.amdhsa_kernarg_size 40
		.amdhsa_user_sgpr_count 2
		.amdhsa_user_sgpr_dispatch_ptr 0
		.amdhsa_user_sgpr_queue_ptr 0
		.amdhsa_user_sgpr_kernarg_segment_ptr 1
		.amdhsa_user_sgpr_dispatch_id 0
		.amdhsa_user_sgpr_kernarg_preload_length 0
		.amdhsa_user_sgpr_kernarg_preload_offset 0
		.amdhsa_user_sgpr_private_segment_size 0
		.amdhsa_uses_dynamic_stack 0
		.amdhsa_enable_private_segment 0
		.amdhsa_system_sgpr_workgroup_id_x 1
		.amdhsa_system_sgpr_workgroup_id_y 0
		.amdhsa_system_sgpr_workgroup_id_z 0
		.amdhsa_system_sgpr_workgroup_info 0
		.amdhsa_system_vgpr_workitem_id 0
		.amdhsa_next_free_vgpr 1
		.amdhsa_next_free_sgpr 0
		.amdhsa_accum_offset 4
		.amdhsa_reserve_vcc 0
		.amdhsa_float_round_mode_32 0
		.amdhsa_float_round_mode_16_64 0
		.amdhsa_float_denorm_mode_32 3
		.amdhsa_float_denorm_mode_16_64 3
		.amdhsa_dx10_clamp 1
		.amdhsa_ieee_mode 1
		.amdhsa_fp16_overflow 0
		.amdhsa_tg_split 0
		.amdhsa_exception_fp_ieee_invalid_op 0
		.amdhsa_exception_fp_denorm_src 0
		.amdhsa_exception_fp_ieee_div_zero 0
		.amdhsa_exception_fp_ieee_overflow 0
		.amdhsa_exception_fp_ieee_underflow 0
		.amdhsa_exception_fp_ieee_inexact 0
		.amdhsa_exception_int_div_zero 0
	.end_amdhsa_kernel
	.section	.text._ZN7rocprim17ROCPRIM_400000_NS6detail17trampoline_kernelINS0_14default_configENS1_25transform_config_selectorIiLb0EEEZNS1_14transform_implILb0ES3_S5_PiN6thrust23THRUST_200600_302600_NS6detail15normal_iteratorINS9_10device_ptrIiEEEENS0_8identityIiEEEE10hipError_tT2_T3_mT4_P12ihipStream_tbEUlT_E_NS1_11comp_targetILNS1_3genE10ELNS1_11target_archE1201ELNS1_3gpuE5ELNS1_3repE0EEENS1_30default_config_static_selectorELNS0_4arch9wavefront6targetE1EEEvT1_,"axG",@progbits,_ZN7rocprim17ROCPRIM_400000_NS6detail17trampoline_kernelINS0_14default_configENS1_25transform_config_selectorIiLb0EEEZNS1_14transform_implILb0ES3_S5_PiN6thrust23THRUST_200600_302600_NS6detail15normal_iteratorINS9_10device_ptrIiEEEENS0_8identityIiEEEE10hipError_tT2_T3_mT4_P12ihipStream_tbEUlT_E_NS1_11comp_targetILNS1_3genE10ELNS1_11target_archE1201ELNS1_3gpuE5ELNS1_3repE0EEENS1_30default_config_static_selectorELNS0_4arch9wavefront6targetE1EEEvT1_,comdat
.Lfunc_end1667:
	.size	_ZN7rocprim17ROCPRIM_400000_NS6detail17trampoline_kernelINS0_14default_configENS1_25transform_config_selectorIiLb0EEEZNS1_14transform_implILb0ES3_S5_PiN6thrust23THRUST_200600_302600_NS6detail15normal_iteratorINS9_10device_ptrIiEEEENS0_8identityIiEEEE10hipError_tT2_T3_mT4_P12ihipStream_tbEUlT_E_NS1_11comp_targetILNS1_3genE10ELNS1_11target_archE1201ELNS1_3gpuE5ELNS1_3repE0EEENS1_30default_config_static_selectorELNS0_4arch9wavefront6targetE1EEEvT1_, .Lfunc_end1667-_ZN7rocprim17ROCPRIM_400000_NS6detail17trampoline_kernelINS0_14default_configENS1_25transform_config_selectorIiLb0EEEZNS1_14transform_implILb0ES3_S5_PiN6thrust23THRUST_200600_302600_NS6detail15normal_iteratorINS9_10device_ptrIiEEEENS0_8identityIiEEEE10hipError_tT2_T3_mT4_P12ihipStream_tbEUlT_E_NS1_11comp_targetILNS1_3genE10ELNS1_11target_archE1201ELNS1_3gpuE5ELNS1_3repE0EEENS1_30default_config_static_selectorELNS0_4arch9wavefront6targetE1EEEvT1_
                                        ; -- End function
	.section	.AMDGPU.csdata,"",@progbits
; Kernel info:
; codeLenInByte = 0
; NumSgprs: 6
; NumVgprs: 0
; NumAgprs: 0
; TotalNumVgprs: 0
; ScratchSize: 0
; MemoryBound: 0
; FloatMode: 240
; IeeeMode: 1
; LDSByteSize: 0 bytes/workgroup (compile time only)
; SGPRBlocks: 0
; VGPRBlocks: 0
; NumSGPRsForWavesPerEU: 6
; NumVGPRsForWavesPerEU: 1
; AccumOffset: 4
; Occupancy: 8
; WaveLimiterHint : 0
; COMPUTE_PGM_RSRC2:SCRATCH_EN: 0
; COMPUTE_PGM_RSRC2:USER_SGPR: 2
; COMPUTE_PGM_RSRC2:TRAP_HANDLER: 0
; COMPUTE_PGM_RSRC2:TGID_X_EN: 1
; COMPUTE_PGM_RSRC2:TGID_Y_EN: 0
; COMPUTE_PGM_RSRC2:TGID_Z_EN: 0
; COMPUTE_PGM_RSRC2:TIDIG_COMP_CNT: 0
; COMPUTE_PGM_RSRC3_GFX90A:ACCUM_OFFSET: 0
; COMPUTE_PGM_RSRC3_GFX90A:TG_SPLIT: 0
	.section	.text._ZN7rocprim17ROCPRIM_400000_NS6detail17trampoline_kernelINS0_14default_configENS1_25transform_config_selectorIiLb0EEEZNS1_14transform_implILb0ES3_S5_PiN6thrust23THRUST_200600_302600_NS6detail15normal_iteratorINS9_10device_ptrIiEEEENS0_8identityIiEEEE10hipError_tT2_T3_mT4_P12ihipStream_tbEUlT_E_NS1_11comp_targetILNS1_3genE10ELNS1_11target_archE1200ELNS1_3gpuE4ELNS1_3repE0EEENS1_30default_config_static_selectorELNS0_4arch9wavefront6targetE1EEEvT1_,"axG",@progbits,_ZN7rocprim17ROCPRIM_400000_NS6detail17trampoline_kernelINS0_14default_configENS1_25transform_config_selectorIiLb0EEEZNS1_14transform_implILb0ES3_S5_PiN6thrust23THRUST_200600_302600_NS6detail15normal_iteratorINS9_10device_ptrIiEEEENS0_8identityIiEEEE10hipError_tT2_T3_mT4_P12ihipStream_tbEUlT_E_NS1_11comp_targetILNS1_3genE10ELNS1_11target_archE1200ELNS1_3gpuE4ELNS1_3repE0EEENS1_30default_config_static_selectorELNS0_4arch9wavefront6targetE1EEEvT1_,comdat
	.protected	_ZN7rocprim17ROCPRIM_400000_NS6detail17trampoline_kernelINS0_14default_configENS1_25transform_config_selectorIiLb0EEEZNS1_14transform_implILb0ES3_S5_PiN6thrust23THRUST_200600_302600_NS6detail15normal_iteratorINS9_10device_ptrIiEEEENS0_8identityIiEEEE10hipError_tT2_T3_mT4_P12ihipStream_tbEUlT_E_NS1_11comp_targetILNS1_3genE10ELNS1_11target_archE1200ELNS1_3gpuE4ELNS1_3repE0EEENS1_30default_config_static_selectorELNS0_4arch9wavefront6targetE1EEEvT1_ ; -- Begin function _ZN7rocprim17ROCPRIM_400000_NS6detail17trampoline_kernelINS0_14default_configENS1_25transform_config_selectorIiLb0EEEZNS1_14transform_implILb0ES3_S5_PiN6thrust23THRUST_200600_302600_NS6detail15normal_iteratorINS9_10device_ptrIiEEEENS0_8identityIiEEEE10hipError_tT2_T3_mT4_P12ihipStream_tbEUlT_E_NS1_11comp_targetILNS1_3genE10ELNS1_11target_archE1200ELNS1_3gpuE4ELNS1_3repE0EEENS1_30default_config_static_selectorELNS0_4arch9wavefront6targetE1EEEvT1_
	.globl	_ZN7rocprim17ROCPRIM_400000_NS6detail17trampoline_kernelINS0_14default_configENS1_25transform_config_selectorIiLb0EEEZNS1_14transform_implILb0ES3_S5_PiN6thrust23THRUST_200600_302600_NS6detail15normal_iteratorINS9_10device_ptrIiEEEENS0_8identityIiEEEE10hipError_tT2_T3_mT4_P12ihipStream_tbEUlT_E_NS1_11comp_targetILNS1_3genE10ELNS1_11target_archE1200ELNS1_3gpuE4ELNS1_3repE0EEENS1_30default_config_static_selectorELNS0_4arch9wavefront6targetE1EEEvT1_
	.p2align	8
	.type	_ZN7rocprim17ROCPRIM_400000_NS6detail17trampoline_kernelINS0_14default_configENS1_25transform_config_selectorIiLb0EEEZNS1_14transform_implILb0ES3_S5_PiN6thrust23THRUST_200600_302600_NS6detail15normal_iteratorINS9_10device_ptrIiEEEENS0_8identityIiEEEE10hipError_tT2_T3_mT4_P12ihipStream_tbEUlT_E_NS1_11comp_targetILNS1_3genE10ELNS1_11target_archE1200ELNS1_3gpuE4ELNS1_3repE0EEENS1_30default_config_static_selectorELNS0_4arch9wavefront6targetE1EEEvT1_,@function
_ZN7rocprim17ROCPRIM_400000_NS6detail17trampoline_kernelINS0_14default_configENS1_25transform_config_selectorIiLb0EEEZNS1_14transform_implILb0ES3_S5_PiN6thrust23THRUST_200600_302600_NS6detail15normal_iteratorINS9_10device_ptrIiEEEENS0_8identityIiEEEE10hipError_tT2_T3_mT4_P12ihipStream_tbEUlT_E_NS1_11comp_targetILNS1_3genE10ELNS1_11target_archE1200ELNS1_3gpuE4ELNS1_3repE0EEENS1_30default_config_static_selectorELNS0_4arch9wavefront6targetE1EEEvT1_: ; @_ZN7rocprim17ROCPRIM_400000_NS6detail17trampoline_kernelINS0_14default_configENS1_25transform_config_selectorIiLb0EEEZNS1_14transform_implILb0ES3_S5_PiN6thrust23THRUST_200600_302600_NS6detail15normal_iteratorINS9_10device_ptrIiEEEENS0_8identityIiEEEE10hipError_tT2_T3_mT4_P12ihipStream_tbEUlT_E_NS1_11comp_targetILNS1_3genE10ELNS1_11target_archE1200ELNS1_3gpuE4ELNS1_3repE0EEENS1_30default_config_static_selectorELNS0_4arch9wavefront6targetE1EEEvT1_
; %bb.0:
	.section	.rodata,"a",@progbits
	.p2align	6, 0x0
	.amdhsa_kernel _ZN7rocprim17ROCPRIM_400000_NS6detail17trampoline_kernelINS0_14default_configENS1_25transform_config_selectorIiLb0EEEZNS1_14transform_implILb0ES3_S5_PiN6thrust23THRUST_200600_302600_NS6detail15normal_iteratorINS9_10device_ptrIiEEEENS0_8identityIiEEEE10hipError_tT2_T3_mT4_P12ihipStream_tbEUlT_E_NS1_11comp_targetILNS1_3genE10ELNS1_11target_archE1200ELNS1_3gpuE4ELNS1_3repE0EEENS1_30default_config_static_selectorELNS0_4arch9wavefront6targetE1EEEvT1_
		.amdhsa_group_segment_fixed_size 0
		.amdhsa_private_segment_fixed_size 0
		.amdhsa_kernarg_size 40
		.amdhsa_user_sgpr_count 2
		.amdhsa_user_sgpr_dispatch_ptr 0
		.amdhsa_user_sgpr_queue_ptr 0
		.amdhsa_user_sgpr_kernarg_segment_ptr 1
		.amdhsa_user_sgpr_dispatch_id 0
		.amdhsa_user_sgpr_kernarg_preload_length 0
		.amdhsa_user_sgpr_kernarg_preload_offset 0
		.amdhsa_user_sgpr_private_segment_size 0
		.amdhsa_uses_dynamic_stack 0
		.amdhsa_enable_private_segment 0
		.amdhsa_system_sgpr_workgroup_id_x 1
		.amdhsa_system_sgpr_workgroup_id_y 0
		.amdhsa_system_sgpr_workgroup_id_z 0
		.amdhsa_system_sgpr_workgroup_info 0
		.amdhsa_system_vgpr_workitem_id 0
		.amdhsa_next_free_vgpr 1
		.amdhsa_next_free_sgpr 0
		.amdhsa_accum_offset 4
		.amdhsa_reserve_vcc 0
		.amdhsa_float_round_mode_32 0
		.amdhsa_float_round_mode_16_64 0
		.amdhsa_float_denorm_mode_32 3
		.amdhsa_float_denorm_mode_16_64 3
		.amdhsa_dx10_clamp 1
		.amdhsa_ieee_mode 1
		.amdhsa_fp16_overflow 0
		.amdhsa_tg_split 0
		.amdhsa_exception_fp_ieee_invalid_op 0
		.amdhsa_exception_fp_denorm_src 0
		.amdhsa_exception_fp_ieee_div_zero 0
		.amdhsa_exception_fp_ieee_overflow 0
		.amdhsa_exception_fp_ieee_underflow 0
		.amdhsa_exception_fp_ieee_inexact 0
		.amdhsa_exception_int_div_zero 0
	.end_amdhsa_kernel
	.section	.text._ZN7rocprim17ROCPRIM_400000_NS6detail17trampoline_kernelINS0_14default_configENS1_25transform_config_selectorIiLb0EEEZNS1_14transform_implILb0ES3_S5_PiN6thrust23THRUST_200600_302600_NS6detail15normal_iteratorINS9_10device_ptrIiEEEENS0_8identityIiEEEE10hipError_tT2_T3_mT4_P12ihipStream_tbEUlT_E_NS1_11comp_targetILNS1_3genE10ELNS1_11target_archE1200ELNS1_3gpuE4ELNS1_3repE0EEENS1_30default_config_static_selectorELNS0_4arch9wavefront6targetE1EEEvT1_,"axG",@progbits,_ZN7rocprim17ROCPRIM_400000_NS6detail17trampoline_kernelINS0_14default_configENS1_25transform_config_selectorIiLb0EEEZNS1_14transform_implILb0ES3_S5_PiN6thrust23THRUST_200600_302600_NS6detail15normal_iteratorINS9_10device_ptrIiEEEENS0_8identityIiEEEE10hipError_tT2_T3_mT4_P12ihipStream_tbEUlT_E_NS1_11comp_targetILNS1_3genE10ELNS1_11target_archE1200ELNS1_3gpuE4ELNS1_3repE0EEENS1_30default_config_static_selectorELNS0_4arch9wavefront6targetE1EEEvT1_,comdat
.Lfunc_end1668:
	.size	_ZN7rocprim17ROCPRIM_400000_NS6detail17trampoline_kernelINS0_14default_configENS1_25transform_config_selectorIiLb0EEEZNS1_14transform_implILb0ES3_S5_PiN6thrust23THRUST_200600_302600_NS6detail15normal_iteratorINS9_10device_ptrIiEEEENS0_8identityIiEEEE10hipError_tT2_T3_mT4_P12ihipStream_tbEUlT_E_NS1_11comp_targetILNS1_3genE10ELNS1_11target_archE1200ELNS1_3gpuE4ELNS1_3repE0EEENS1_30default_config_static_selectorELNS0_4arch9wavefront6targetE1EEEvT1_, .Lfunc_end1668-_ZN7rocprim17ROCPRIM_400000_NS6detail17trampoline_kernelINS0_14default_configENS1_25transform_config_selectorIiLb0EEEZNS1_14transform_implILb0ES3_S5_PiN6thrust23THRUST_200600_302600_NS6detail15normal_iteratorINS9_10device_ptrIiEEEENS0_8identityIiEEEE10hipError_tT2_T3_mT4_P12ihipStream_tbEUlT_E_NS1_11comp_targetILNS1_3genE10ELNS1_11target_archE1200ELNS1_3gpuE4ELNS1_3repE0EEENS1_30default_config_static_selectorELNS0_4arch9wavefront6targetE1EEEvT1_
                                        ; -- End function
	.section	.AMDGPU.csdata,"",@progbits
; Kernel info:
; codeLenInByte = 0
; NumSgprs: 6
; NumVgprs: 0
; NumAgprs: 0
; TotalNumVgprs: 0
; ScratchSize: 0
; MemoryBound: 0
; FloatMode: 240
; IeeeMode: 1
; LDSByteSize: 0 bytes/workgroup (compile time only)
; SGPRBlocks: 0
; VGPRBlocks: 0
; NumSGPRsForWavesPerEU: 6
; NumVGPRsForWavesPerEU: 1
; AccumOffset: 4
; Occupancy: 8
; WaveLimiterHint : 0
; COMPUTE_PGM_RSRC2:SCRATCH_EN: 0
; COMPUTE_PGM_RSRC2:USER_SGPR: 2
; COMPUTE_PGM_RSRC2:TRAP_HANDLER: 0
; COMPUTE_PGM_RSRC2:TGID_X_EN: 1
; COMPUTE_PGM_RSRC2:TGID_Y_EN: 0
; COMPUTE_PGM_RSRC2:TGID_Z_EN: 0
; COMPUTE_PGM_RSRC2:TIDIG_COMP_CNT: 0
; COMPUTE_PGM_RSRC3_GFX90A:ACCUM_OFFSET: 0
; COMPUTE_PGM_RSRC3_GFX90A:TG_SPLIT: 0
	.section	.text._ZN7rocprim17ROCPRIM_400000_NS6detail17trampoline_kernelINS0_14default_configENS1_25transform_config_selectorIiLb0EEEZNS1_14transform_implILb0ES3_S5_PiN6thrust23THRUST_200600_302600_NS6detail15normal_iteratorINS9_10device_ptrIiEEEENS0_8identityIiEEEE10hipError_tT2_T3_mT4_P12ihipStream_tbEUlT_E_NS1_11comp_targetILNS1_3genE9ELNS1_11target_archE1100ELNS1_3gpuE3ELNS1_3repE0EEENS1_30default_config_static_selectorELNS0_4arch9wavefront6targetE1EEEvT1_,"axG",@progbits,_ZN7rocprim17ROCPRIM_400000_NS6detail17trampoline_kernelINS0_14default_configENS1_25transform_config_selectorIiLb0EEEZNS1_14transform_implILb0ES3_S5_PiN6thrust23THRUST_200600_302600_NS6detail15normal_iteratorINS9_10device_ptrIiEEEENS0_8identityIiEEEE10hipError_tT2_T3_mT4_P12ihipStream_tbEUlT_E_NS1_11comp_targetILNS1_3genE9ELNS1_11target_archE1100ELNS1_3gpuE3ELNS1_3repE0EEENS1_30default_config_static_selectorELNS0_4arch9wavefront6targetE1EEEvT1_,comdat
	.protected	_ZN7rocprim17ROCPRIM_400000_NS6detail17trampoline_kernelINS0_14default_configENS1_25transform_config_selectorIiLb0EEEZNS1_14transform_implILb0ES3_S5_PiN6thrust23THRUST_200600_302600_NS6detail15normal_iteratorINS9_10device_ptrIiEEEENS0_8identityIiEEEE10hipError_tT2_T3_mT4_P12ihipStream_tbEUlT_E_NS1_11comp_targetILNS1_3genE9ELNS1_11target_archE1100ELNS1_3gpuE3ELNS1_3repE0EEENS1_30default_config_static_selectorELNS0_4arch9wavefront6targetE1EEEvT1_ ; -- Begin function _ZN7rocprim17ROCPRIM_400000_NS6detail17trampoline_kernelINS0_14default_configENS1_25transform_config_selectorIiLb0EEEZNS1_14transform_implILb0ES3_S5_PiN6thrust23THRUST_200600_302600_NS6detail15normal_iteratorINS9_10device_ptrIiEEEENS0_8identityIiEEEE10hipError_tT2_T3_mT4_P12ihipStream_tbEUlT_E_NS1_11comp_targetILNS1_3genE9ELNS1_11target_archE1100ELNS1_3gpuE3ELNS1_3repE0EEENS1_30default_config_static_selectorELNS0_4arch9wavefront6targetE1EEEvT1_
	.globl	_ZN7rocprim17ROCPRIM_400000_NS6detail17trampoline_kernelINS0_14default_configENS1_25transform_config_selectorIiLb0EEEZNS1_14transform_implILb0ES3_S5_PiN6thrust23THRUST_200600_302600_NS6detail15normal_iteratorINS9_10device_ptrIiEEEENS0_8identityIiEEEE10hipError_tT2_T3_mT4_P12ihipStream_tbEUlT_E_NS1_11comp_targetILNS1_3genE9ELNS1_11target_archE1100ELNS1_3gpuE3ELNS1_3repE0EEENS1_30default_config_static_selectorELNS0_4arch9wavefront6targetE1EEEvT1_
	.p2align	8
	.type	_ZN7rocprim17ROCPRIM_400000_NS6detail17trampoline_kernelINS0_14default_configENS1_25transform_config_selectorIiLb0EEEZNS1_14transform_implILb0ES3_S5_PiN6thrust23THRUST_200600_302600_NS6detail15normal_iteratorINS9_10device_ptrIiEEEENS0_8identityIiEEEE10hipError_tT2_T3_mT4_P12ihipStream_tbEUlT_E_NS1_11comp_targetILNS1_3genE9ELNS1_11target_archE1100ELNS1_3gpuE3ELNS1_3repE0EEENS1_30default_config_static_selectorELNS0_4arch9wavefront6targetE1EEEvT1_,@function
_ZN7rocprim17ROCPRIM_400000_NS6detail17trampoline_kernelINS0_14default_configENS1_25transform_config_selectorIiLb0EEEZNS1_14transform_implILb0ES3_S5_PiN6thrust23THRUST_200600_302600_NS6detail15normal_iteratorINS9_10device_ptrIiEEEENS0_8identityIiEEEE10hipError_tT2_T3_mT4_P12ihipStream_tbEUlT_E_NS1_11comp_targetILNS1_3genE9ELNS1_11target_archE1100ELNS1_3gpuE3ELNS1_3repE0EEENS1_30default_config_static_selectorELNS0_4arch9wavefront6targetE1EEEvT1_: ; @_ZN7rocprim17ROCPRIM_400000_NS6detail17trampoline_kernelINS0_14default_configENS1_25transform_config_selectorIiLb0EEEZNS1_14transform_implILb0ES3_S5_PiN6thrust23THRUST_200600_302600_NS6detail15normal_iteratorINS9_10device_ptrIiEEEENS0_8identityIiEEEE10hipError_tT2_T3_mT4_P12ihipStream_tbEUlT_E_NS1_11comp_targetILNS1_3genE9ELNS1_11target_archE1100ELNS1_3gpuE3ELNS1_3repE0EEENS1_30default_config_static_selectorELNS0_4arch9wavefront6targetE1EEEvT1_
; %bb.0:
	.section	.rodata,"a",@progbits
	.p2align	6, 0x0
	.amdhsa_kernel _ZN7rocprim17ROCPRIM_400000_NS6detail17trampoline_kernelINS0_14default_configENS1_25transform_config_selectorIiLb0EEEZNS1_14transform_implILb0ES3_S5_PiN6thrust23THRUST_200600_302600_NS6detail15normal_iteratorINS9_10device_ptrIiEEEENS0_8identityIiEEEE10hipError_tT2_T3_mT4_P12ihipStream_tbEUlT_E_NS1_11comp_targetILNS1_3genE9ELNS1_11target_archE1100ELNS1_3gpuE3ELNS1_3repE0EEENS1_30default_config_static_selectorELNS0_4arch9wavefront6targetE1EEEvT1_
		.amdhsa_group_segment_fixed_size 0
		.amdhsa_private_segment_fixed_size 0
		.amdhsa_kernarg_size 40
		.amdhsa_user_sgpr_count 2
		.amdhsa_user_sgpr_dispatch_ptr 0
		.amdhsa_user_sgpr_queue_ptr 0
		.amdhsa_user_sgpr_kernarg_segment_ptr 1
		.amdhsa_user_sgpr_dispatch_id 0
		.amdhsa_user_sgpr_kernarg_preload_length 0
		.amdhsa_user_sgpr_kernarg_preload_offset 0
		.amdhsa_user_sgpr_private_segment_size 0
		.amdhsa_uses_dynamic_stack 0
		.amdhsa_enable_private_segment 0
		.amdhsa_system_sgpr_workgroup_id_x 1
		.amdhsa_system_sgpr_workgroup_id_y 0
		.amdhsa_system_sgpr_workgroup_id_z 0
		.amdhsa_system_sgpr_workgroup_info 0
		.amdhsa_system_vgpr_workitem_id 0
		.amdhsa_next_free_vgpr 1
		.amdhsa_next_free_sgpr 0
		.amdhsa_accum_offset 4
		.amdhsa_reserve_vcc 0
		.amdhsa_float_round_mode_32 0
		.amdhsa_float_round_mode_16_64 0
		.amdhsa_float_denorm_mode_32 3
		.amdhsa_float_denorm_mode_16_64 3
		.amdhsa_dx10_clamp 1
		.amdhsa_ieee_mode 1
		.amdhsa_fp16_overflow 0
		.amdhsa_tg_split 0
		.amdhsa_exception_fp_ieee_invalid_op 0
		.amdhsa_exception_fp_denorm_src 0
		.amdhsa_exception_fp_ieee_div_zero 0
		.amdhsa_exception_fp_ieee_overflow 0
		.amdhsa_exception_fp_ieee_underflow 0
		.amdhsa_exception_fp_ieee_inexact 0
		.amdhsa_exception_int_div_zero 0
	.end_amdhsa_kernel
	.section	.text._ZN7rocprim17ROCPRIM_400000_NS6detail17trampoline_kernelINS0_14default_configENS1_25transform_config_selectorIiLb0EEEZNS1_14transform_implILb0ES3_S5_PiN6thrust23THRUST_200600_302600_NS6detail15normal_iteratorINS9_10device_ptrIiEEEENS0_8identityIiEEEE10hipError_tT2_T3_mT4_P12ihipStream_tbEUlT_E_NS1_11comp_targetILNS1_3genE9ELNS1_11target_archE1100ELNS1_3gpuE3ELNS1_3repE0EEENS1_30default_config_static_selectorELNS0_4arch9wavefront6targetE1EEEvT1_,"axG",@progbits,_ZN7rocprim17ROCPRIM_400000_NS6detail17trampoline_kernelINS0_14default_configENS1_25transform_config_selectorIiLb0EEEZNS1_14transform_implILb0ES3_S5_PiN6thrust23THRUST_200600_302600_NS6detail15normal_iteratorINS9_10device_ptrIiEEEENS0_8identityIiEEEE10hipError_tT2_T3_mT4_P12ihipStream_tbEUlT_E_NS1_11comp_targetILNS1_3genE9ELNS1_11target_archE1100ELNS1_3gpuE3ELNS1_3repE0EEENS1_30default_config_static_selectorELNS0_4arch9wavefront6targetE1EEEvT1_,comdat
.Lfunc_end1669:
	.size	_ZN7rocprim17ROCPRIM_400000_NS6detail17trampoline_kernelINS0_14default_configENS1_25transform_config_selectorIiLb0EEEZNS1_14transform_implILb0ES3_S5_PiN6thrust23THRUST_200600_302600_NS6detail15normal_iteratorINS9_10device_ptrIiEEEENS0_8identityIiEEEE10hipError_tT2_T3_mT4_P12ihipStream_tbEUlT_E_NS1_11comp_targetILNS1_3genE9ELNS1_11target_archE1100ELNS1_3gpuE3ELNS1_3repE0EEENS1_30default_config_static_selectorELNS0_4arch9wavefront6targetE1EEEvT1_, .Lfunc_end1669-_ZN7rocprim17ROCPRIM_400000_NS6detail17trampoline_kernelINS0_14default_configENS1_25transform_config_selectorIiLb0EEEZNS1_14transform_implILb0ES3_S5_PiN6thrust23THRUST_200600_302600_NS6detail15normal_iteratorINS9_10device_ptrIiEEEENS0_8identityIiEEEE10hipError_tT2_T3_mT4_P12ihipStream_tbEUlT_E_NS1_11comp_targetILNS1_3genE9ELNS1_11target_archE1100ELNS1_3gpuE3ELNS1_3repE0EEENS1_30default_config_static_selectorELNS0_4arch9wavefront6targetE1EEEvT1_
                                        ; -- End function
	.section	.AMDGPU.csdata,"",@progbits
; Kernel info:
; codeLenInByte = 0
; NumSgprs: 6
; NumVgprs: 0
; NumAgprs: 0
; TotalNumVgprs: 0
; ScratchSize: 0
; MemoryBound: 0
; FloatMode: 240
; IeeeMode: 1
; LDSByteSize: 0 bytes/workgroup (compile time only)
; SGPRBlocks: 0
; VGPRBlocks: 0
; NumSGPRsForWavesPerEU: 6
; NumVGPRsForWavesPerEU: 1
; AccumOffset: 4
; Occupancy: 8
; WaveLimiterHint : 0
; COMPUTE_PGM_RSRC2:SCRATCH_EN: 0
; COMPUTE_PGM_RSRC2:USER_SGPR: 2
; COMPUTE_PGM_RSRC2:TRAP_HANDLER: 0
; COMPUTE_PGM_RSRC2:TGID_X_EN: 1
; COMPUTE_PGM_RSRC2:TGID_Y_EN: 0
; COMPUTE_PGM_RSRC2:TGID_Z_EN: 0
; COMPUTE_PGM_RSRC2:TIDIG_COMP_CNT: 0
; COMPUTE_PGM_RSRC3_GFX90A:ACCUM_OFFSET: 0
; COMPUTE_PGM_RSRC3_GFX90A:TG_SPLIT: 0
	.section	.text._ZN7rocprim17ROCPRIM_400000_NS6detail17trampoline_kernelINS0_14default_configENS1_25transform_config_selectorIiLb0EEEZNS1_14transform_implILb0ES3_S5_PiN6thrust23THRUST_200600_302600_NS6detail15normal_iteratorINS9_10device_ptrIiEEEENS0_8identityIiEEEE10hipError_tT2_T3_mT4_P12ihipStream_tbEUlT_E_NS1_11comp_targetILNS1_3genE8ELNS1_11target_archE1030ELNS1_3gpuE2ELNS1_3repE0EEENS1_30default_config_static_selectorELNS0_4arch9wavefront6targetE1EEEvT1_,"axG",@progbits,_ZN7rocprim17ROCPRIM_400000_NS6detail17trampoline_kernelINS0_14default_configENS1_25transform_config_selectorIiLb0EEEZNS1_14transform_implILb0ES3_S5_PiN6thrust23THRUST_200600_302600_NS6detail15normal_iteratorINS9_10device_ptrIiEEEENS0_8identityIiEEEE10hipError_tT2_T3_mT4_P12ihipStream_tbEUlT_E_NS1_11comp_targetILNS1_3genE8ELNS1_11target_archE1030ELNS1_3gpuE2ELNS1_3repE0EEENS1_30default_config_static_selectorELNS0_4arch9wavefront6targetE1EEEvT1_,comdat
	.protected	_ZN7rocprim17ROCPRIM_400000_NS6detail17trampoline_kernelINS0_14default_configENS1_25transform_config_selectorIiLb0EEEZNS1_14transform_implILb0ES3_S5_PiN6thrust23THRUST_200600_302600_NS6detail15normal_iteratorINS9_10device_ptrIiEEEENS0_8identityIiEEEE10hipError_tT2_T3_mT4_P12ihipStream_tbEUlT_E_NS1_11comp_targetILNS1_3genE8ELNS1_11target_archE1030ELNS1_3gpuE2ELNS1_3repE0EEENS1_30default_config_static_selectorELNS0_4arch9wavefront6targetE1EEEvT1_ ; -- Begin function _ZN7rocprim17ROCPRIM_400000_NS6detail17trampoline_kernelINS0_14default_configENS1_25transform_config_selectorIiLb0EEEZNS1_14transform_implILb0ES3_S5_PiN6thrust23THRUST_200600_302600_NS6detail15normal_iteratorINS9_10device_ptrIiEEEENS0_8identityIiEEEE10hipError_tT2_T3_mT4_P12ihipStream_tbEUlT_E_NS1_11comp_targetILNS1_3genE8ELNS1_11target_archE1030ELNS1_3gpuE2ELNS1_3repE0EEENS1_30default_config_static_selectorELNS0_4arch9wavefront6targetE1EEEvT1_
	.globl	_ZN7rocprim17ROCPRIM_400000_NS6detail17trampoline_kernelINS0_14default_configENS1_25transform_config_selectorIiLb0EEEZNS1_14transform_implILb0ES3_S5_PiN6thrust23THRUST_200600_302600_NS6detail15normal_iteratorINS9_10device_ptrIiEEEENS0_8identityIiEEEE10hipError_tT2_T3_mT4_P12ihipStream_tbEUlT_E_NS1_11comp_targetILNS1_3genE8ELNS1_11target_archE1030ELNS1_3gpuE2ELNS1_3repE0EEENS1_30default_config_static_selectorELNS0_4arch9wavefront6targetE1EEEvT1_
	.p2align	8
	.type	_ZN7rocprim17ROCPRIM_400000_NS6detail17trampoline_kernelINS0_14default_configENS1_25transform_config_selectorIiLb0EEEZNS1_14transform_implILb0ES3_S5_PiN6thrust23THRUST_200600_302600_NS6detail15normal_iteratorINS9_10device_ptrIiEEEENS0_8identityIiEEEE10hipError_tT2_T3_mT4_P12ihipStream_tbEUlT_E_NS1_11comp_targetILNS1_3genE8ELNS1_11target_archE1030ELNS1_3gpuE2ELNS1_3repE0EEENS1_30default_config_static_selectorELNS0_4arch9wavefront6targetE1EEEvT1_,@function
_ZN7rocprim17ROCPRIM_400000_NS6detail17trampoline_kernelINS0_14default_configENS1_25transform_config_selectorIiLb0EEEZNS1_14transform_implILb0ES3_S5_PiN6thrust23THRUST_200600_302600_NS6detail15normal_iteratorINS9_10device_ptrIiEEEENS0_8identityIiEEEE10hipError_tT2_T3_mT4_P12ihipStream_tbEUlT_E_NS1_11comp_targetILNS1_3genE8ELNS1_11target_archE1030ELNS1_3gpuE2ELNS1_3repE0EEENS1_30default_config_static_selectorELNS0_4arch9wavefront6targetE1EEEvT1_: ; @_ZN7rocprim17ROCPRIM_400000_NS6detail17trampoline_kernelINS0_14default_configENS1_25transform_config_selectorIiLb0EEEZNS1_14transform_implILb0ES3_S5_PiN6thrust23THRUST_200600_302600_NS6detail15normal_iteratorINS9_10device_ptrIiEEEENS0_8identityIiEEEE10hipError_tT2_T3_mT4_P12ihipStream_tbEUlT_E_NS1_11comp_targetILNS1_3genE8ELNS1_11target_archE1030ELNS1_3gpuE2ELNS1_3repE0EEENS1_30default_config_static_selectorELNS0_4arch9wavefront6targetE1EEEvT1_
; %bb.0:
	.section	.rodata,"a",@progbits
	.p2align	6, 0x0
	.amdhsa_kernel _ZN7rocprim17ROCPRIM_400000_NS6detail17trampoline_kernelINS0_14default_configENS1_25transform_config_selectorIiLb0EEEZNS1_14transform_implILb0ES3_S5_PiN6thrust23THRUST_200600_302600_NS6detail15normal_iteratorINS9_10device_ptrIiEEEENS0_8identityIiEEEE10hipError_tT2_T3_mT4_P12ihipStream_tbEUlT_E_NS1_11comp_targetILNS1_3genE8ELNS1_11target_archE1030ELNS1_3gpuE2ELNS1_3repE0EEENS1_30default_config_static_selectorELNS0_4arch9wavefront6targetE1EEEvT1_
		.amdhsa_group_segment_fixed_size 0
		.amdhsa_private_segment_fixed_size 0
		.amdhsa_kernarg_size 40
		.amdhsa_user_sgpr_count 2
		.amdhsa_user_sgpr_dispatch_ptr 0
		.amdhsa_user_sgpr_queue_ptr 0
		.amdhsa_user_sgpr_kernarg_segment_ptr 1
		.amdhsa_user_sgpr_dispatch_id 0
		.amdhsa_user_sgpr_kernarg_preload_length 0
		.amdhsa_user_sgpr_kernarg_preload_offset 0
		.amdhsa_user_sgpr_private_segment_size 0
		.amdhsa_uses_dynamic_stack 0
		.amdhsa_enable_private_segment 0
		.amdhsa_system_sgpr_workgroup_id_x 1
		.amdhsa_system_sgpr_workgroup_id_y 0
		.amdhsa_system_sgpr_workgroup_id_z 0
		.amdhsa_system_sgpr_workgroup_info 0
		.amdhsa_system_vgpr_workitem_id 0
		.amdhsa_next_free_vgpr 1
		.amdhsa_next_free_sgpr 0
		.amdhsa_accum_offset 4
		.amdhsa_reserve_vcc 0
		.amdhsa_float_round_mode_32 0
		.amdhsa_float_round_mode_16_64 0
		.amdhsa_float_denorm_mode_32 3
		.amdhsa_float_denorm_mode_16_64 3
		.amdhsa_dx10_clamp 1
		.amdhsa_ieee_mode 1
		.amdhsa_fp16_overflow 0
		.amdhsa_tg_split 0
		.amdhsa_exception_fp_ieee_invalid_op 0
		.amdhsa_exception_fp_denorm_src 0
		.amdhsa_exception_fp_ieee_div_zero 0
		.amdhsa_exception_fp_ieee_overflow 0
		.amdhsa_exception_fp_ieee_underflow 0
		.amdhsa_exception_fp_ieee_inexact 0
		.amdhsa_exception_int_div_zero 0
	.end_amdhsa_kernel
	.section	.text._ZN7rocprim17ROCPRIM_400000_NS6detail17trampoline_kernelINS0_14default_configENS1_25transform_config_selectorIiLb0EEEZNS1_14transform_implILb0ES3_S5_PiN6thrust23THRUST_200600_302600_NS6detail15normal_iteratorINS9_10device_ptrIiEEEENS0_8identityIiEEEE10hipError_tT2_T3_mT4_P12ihipStream_tbEUlT_E_NS1_11comp_targetILNS1_3genE8ELNS1_11target_archE1030ELNS1_3gpuE2ELNS1_3repE0EEENS1_30default_config_static_selectorELNS0_4arch9wavefront6targetE1EEEvT1_,"axG",@progbits,_ZN7rocprim17ROCPRIM_400000_NS6detail17trampoline_kernelINS0_14default_configENS1_25transform_config_selectorIiLb0EEEZNS1_14transform_implILb0ES3_S5_PiN6thrust23THRUST_200600_302600_NS6detail15normal_iteratorINS9_10device_ptrIiEEEENS0_8identityIiEEEE10hipError_tT2_T3_mT4_P12ihipStream_tbEUlT_E_NS1_11comp_targetILNS1_3genE8ELNS1_11target_archE1030ELNS1_3gpuE2ELNS1_3repE0EEENS1_30default_config_static_selectorELNS0_4arch9wavefront6targetE1EEEvT1_,comdat
.Lfunc_end1670:
	.size	_ZN7rocprim17ROCPRIM_400000_NS6detail17trampoline_kernelINS0_14default_configENS1_25transform_config_selectorIiLb0EEEZNS1_14transform_implILb0ES3_S5_PiN6thrust23THRUST_200600_302600_NS6detail15normal_iteratorINS9_10device_ptrIiEEEENS0_8identityIiEEEE10hipError_tT2_T3_mT4_P12ihipStream_tbEUlT_E_NS1_11comp_targetILNS1_3genE8ELNS1_11target_archE1030ELNS1_3gpuE2ELNS1_3repE0EEENS1_30default_config_static_selectorELNS0_4arch9wavefront6targetE1EEEvT1_, .Lfunc_end1670-_ZN7rocprim17ROCPRIM_400000_NS6detail17trampoline_kernelINS0_14default_configENS1_25transform_config_selectorIiLb0EEEZNS1_14transform_implILb0ES3_S5_PiN6thrust23THRUST_200600_302600_NS6detail15normal_iteratorINS9_10device_ptrIiEEEENS0_8identityIiEEEE10hipError_tT2_T3_mT4_P12ihipStream_tbEUlT_E_NS1_11comp_targetILNS1_3genE8ELNS1_11target_archE1030ELNS1_3gpuE2ELNS1_3repE0EEENS1_30default_config_static_selectorELNS0_4arch9wavefront6targetE1EEEvT1_
                                        ; -- End function
	.section	.AMDGPU.csdata,"",@progbits
; Kernel info:
; codeLenInByte = 0
; NumSgprs: 6
; NumVgprs: 0
; NumAgprs: 0
; TotalNumVgprs: 0
; ScratchSize: 0
; MemoryBound: 0
; FloatMode: 240
; IeeeMode: 1
; LDSByteSize: 0 bytes/workgroup (compile time only)
; SGPRBlocks: 0
; VGPRBlocks: 0
; NumSGPRsForWavesPerEU: 6
; NumVGPRsForWavesPerEU: 1
; AccumOffset: 4
; Occupancy: 8
; WaveLimiterHint : 0
; COMPUTE_PGM_RSRC2:SCRATCH_EN: 0
; COMPUTE_PGM_RSRC2:USER_SGPR: 2
; COMPUTE_PGM_RSRC2:TRAP_HANDLER: 0
; COMPUTE_PGM_RSRC2:TGID_X_EN: 1
; COMPUTE_PGM_RSRC2:TGID_Y_EN: 0
; COMPUTE_PGM_RSRC2:TGID_Z_EN: 0
; COMPUTE_PGM_RSRC2:TIDIG_COMP_CNT: 0
; COMPUTE_PGM_RSRC3_GFX90A:ACCUM_OFFSET: 0
; COMPUTE_PGM_RSRC3_GFX90A:TG_SPLIT: 0
	.section	.text._ZN7rocprim17ROCPRIM_400000_NS6detail17trampoline_kernelINS0_14default_configENS1_38merge_sort_block_merge_config_selectorIiNS0_10empty_typeEEEZZNS1_27merge_sort_block_merge_implIS3_N6thrust23THRUST_200600_302600_NS6detail15normal_iteratorINS9_10device_ptrIiEEEEPS5_jNS1_19radix_merge_compareILb0ELb1EiNS0_19identity_decomposerEEEEE10hipError_tT0_T1_T2_jT3_P12ihipStream_tbPNSt15iterator_traitsISK_E10value_typeEPNSQ_ISL_E10value_typeEPSM_NS1_7vsmem_tEENKUlT_SK_SL_SM_E_clIPiSE_SF_SF_EESJ_SZ_SK_SL_SM_EUlSZ_E_NS1_11comp_targetILNS1_3genE0ELNS1_11target_archE4294967295ELNS1_3gpuE0ELNS1_3repE0EEENS1_48merge_mergepath_partition_config_static_selectorELNS0_4arch9wavefront6targetE1EEEvSL_,"axG",@progbits,_ZN7rocprim17ROCPRIM_400000_NS6detail17trampoline_kernelINS0_14default_configENS1_38merge_sort_block_merge_config_selectorIiNS0_10empty_typeEEEZZNS1_27merge_sort_block_merge_implIS3_N6thrust23THRUST_200600_302600_NS6detail15normal_iteratorINS9_10device_ptrIiEEEEPS5_jNS1_19radix_merge_compareILb0ELb1EiNS0_19identity_decomposerEEEEE10hipError_tT0_T1_T2_jT3_P12ihipStream_tbPNSt15iterator_traitsISK_E10value_typeEPNSQ_ISL_E10value_typeEPSM_NS1_7vsmem_tEENKUlT_SK_SL_SM_E_clIPiSE_SF_SF_EESJ_SZ_SK_SL_SM_EUlSZ_E_NS1_11comp_targetILNS1_3genE0ELNS1_11target_archE4294967295ELNS1_3gpuE0ELNS1_3repE0EEENS1_48merge_mergepath_partition_config_static_selectorELNS0_4arch9wavefront6targetE1EEEvSL_,comdat
	.protected	_ZN7rocprim17ROCPRIM_400000_NS6detail17trampoline_kernelINS0_14default_configENS1_38merge_sort_block_merge_config_selectorIiNS0_10empty_typeEEEZZNS1_27merge_sort_block_merge_implIS3_N6thrust23THRUST_200600_302600_NS6detail15normal_iteratorINS9_10device_ptrIiEEEEPS5_jNS1_19radix_merge_compareILb0ELb1EiNS0_19identity_decomposerEEEEE10hipError_tT0_T1_T2_jT3_P12ihipStream_tbPNSt15iterator_traitsISK_E10value_typeEPNSQ_ISL_E10value_typeEPSM_NS1_7vsmem_tEENKUlT_SK_SL_SM_E_clIPiSE_SF_SF_EESJ_SZ_SK_SL_SM_EUlSZ_E_NS1_11comp_targetILNS1_3genE0ELNS1_11target_archE4294967295ELNS1_3gpuE0ELNS1_3repE0EEENS1_48merge_mergepath_partition_config_static_selectorELNS0_4arch9wavefront6targetE1EEEvSL_ ; -- Begin function _ZN7rocprim17ROCPRIM_400000_NS6detail17trampoline_kernelINS0_14default_configENS1_38merge_sort_block_merge_config_selectorIiNS0_10empty_typeEEEZZNS1_27merge_sort_block_merge_implIS3_N6thrust23THRUST_200600_302600_NS6detail15normal_iteratorINS9_10device_ptrIiEEEEPS5_jNS1_19radix_merge_compareILb0ELb1EiNS0_19identity_decomposerEEEEE10hipError_tT0_T1_T2_jT3_P12ihipStream_tbPNSt15iterator_traitsISK_E10value_typeEPNSQ_ISL_E10value_typeEPSM_NS1_7vsmem_tEENKUlT_SK_SL_SM_E_clIPiSE_SF_SF_EESJ_SZ_SK_SL_SM_EUlSZ_E_NS1_11comp_targetILNS1_3genE0ELNS1_11target_archE4294967295ELNS1_3gpuE0ELNS1_3repE0EEENS1_48merge_mergepath_partition_config_static_selectorELNS0_4arch9wavefront6targetE1EEEvSL_
	.globl	_ZN7rocprim17ROCPRIM_400000_NS6detail17trampoline_kernelINS0_14default_configENS1_38merge_sort_block_merge_config_selectorIiNS0_10empty_typeEEEZZNS1_27merge_sort_block_merge_implIS3_N6thrust23THRUST_200600_302600_NS6detail15normal_iteratorINS9_10device_ptrIiEEEEPS5_jNS1_19radix_merge_compareILb0ELb1EiNS0_19identity_decomposerEEEEE10hipError_tT0_T1_T2_jT3_P12ihipStream_tbPNSt15iterator_traitsISK_E10value_typeEPNSQ_ISL_E10value_typeEPSM_NS1_7vsmem_tEENKUlT_SK_SL_SM_E_clIPiSE_SF_SF_EESJ_SZ_SK_SL_SM_EUlSZ_E_NS1_11comp_targetILNS1_3genE0ELNS1_11target_archE4294967295ELNS1_3gpuE0ELNS1_3repE0EEENS1_48merge_mergepath_partition_config_static_selectorELNS0_4arch9wavefront6targetE1EEEvSL_
	.p2align	8
	.type	_ZN7rocprim17ROCPRIM_400000_NS6detail17trampoline_kernelINS0_14default_configENS1_38merge_sort_block_merge_config_selectorIiNS0_10empty_typeEEEZZNS1_27merge_sort_block_merge_implIS3_N6thrust23THRUST_200600_302600_NS6detail15normal_iteratorINS9_10device_ptrIiEEEEPS5_jNS1_19radix_merge_compareILb0ELb1EiNS0_19identity_decomposerEEEEE10hipError_tT0_T1_T2_jT3_P12ihipStream_tbPNSt15iterator_traitsISK_E10value_typeEPNSQ_ISL_E10value_typeEPSM_NS1_7vsmem_tEENKUlT_SK_SL_SM_E_clIPiSE_SF_SF_EESJ_SZ_SK_SL_SM_EUlSZ_E_NS1_11comp_targetILNS1_3genE0ELNS1_11target_archE4294967295ELNS1_3gpuE0ELNS1_3repE0EEENS1_48merge_mergepath_partition_config_static_selectorELNS0_4arch9wavefront6targetE1EEEvSL_,@function
_ZN7rocprim17ROCPRIM_400000_NS6detail17trampoline_kernelINS0_14default_configENS1_38merge_sort_block_merge_config_selectorIiNS0_10empty_typeEEEZZNS1_27merge_sort_block_merge_implIS3_N6thrust23THRUST_200600_302600_NS6detail15normal_iteratorINS9_10device_ptrIiEEEEPS5_jNS1_19radix_merge_compareILb0ELb1EiNS0_19identity_decomposerEEEEE10hipError_tT0_T1_T2_jT3_P12ihipStream_tbPNSt15iterator_traitsISK_E10value_typeEPNSQ_ISL_E10value_typeEPSM_NS1_7vsmem_tEENKUlT_SK_SL_SM_E_clIPiSE_SF_SF_EESJ_SZ_SK_SL_SM_EUlSZ_E_NS1_11comp_targetILNS1_3genE0ELNS1_11target_archE4294967295ELNS1_3gpuE0ELNS1_3repE0EEENS1_48merge_mergepath_partition_config_static_selectorELNS0_4arch9wavefront6targetE1EEEvSL_: ; @_ZN7rocprim17ROCPRIM_400000_NS6detail17trampoline_kernelINS0_14default_configENS1_38merge_sort_block_merge_config_selectorIiNS0_10empty_typeEEEZZNS1_27merge_sort_block_merge_implIS3_N6thrust23THRUST_200600_302600_NS6detail15normal_iteratorINS9_10device_ptrIiEEEEPS5_jNS1_19radix_merge_compareILb0ELb1EiNS0_19identity_decomposerEEEEE10hipError_tT0_T1_T2_jT3_P12ihipStream_tbPNSt15iterator_traitsISK_E10value_typeEPNSQ_ISL_E10value_typeEPSM_NS1_7vsmem_tEENKUlT_SK_SL_SM_E_clIPiSE_SF_SF_EESJ_SZ_SK_SL_SM_EUlSZ_E_NS1_11comp_targetILNS1_3genE0ELNS1_11target_archE4294967295ELNS1_3gpuE0ELNS1_3repE0EEENS1_48merge_mergepath_partition_config_static_selectorELNS0_4arch9wavefront6targetE1EEEvSL_
; %bb.0:
	.section	.rodata,"a",@progbits
	.p2align	6, 0x0
	.amdhsa_kernel _ZN7rocprim17ROCPRIM_400000_NS6detail17trampoline_kernelINS0_14default_configENS1_38merge_sort_block_merge_config_selectorIiNS0_10empty_typeEEEZZNS1_27merge_sort_block_merge_implIS3_N6thrust23THRUST_200600_302600_NS6detail15normal_iteratorINS9_10device_ptrIiEEEEPS5_jNS1_19radix_merge_compareILb0ELb1EiNS0_19identity_decomposerEEEEE10hipError_tT0_T1_T2_jT3_P12ihipStream_tbPNSt15iterator_traitsISK_E10value_typeEPNSQ_ISL_E10value_typeEPSM_NS1_7vsmem_tEENKUlT_SK_SL_SM_E_clIPiSE_SF_SF_EESJ_SZ_SK_SL_SM_EUlSZ_E_NS1_11comp_targetILNS1_3genE0ELNS1_11target_archE4294967295ELNS1_3gpuE0ELNS1_3repE0EEENS1_48merge_mergepath_partition_config_static_selectorELNS0_4arch9wavefront6targetE1EEEvSL_
		.amdhsa_group_segment_fixed_size 0
		.amdhsa_private_segment_fixed_size 0
		.amdhsa_kernarg_size 40
		.amdhsa_user_sgpr_count 2
		.amdhsa_user_sgpr_dispatch_ptr 0
		.amdhsa_user_sgpr_queue_ptr 0
		.amdhsa_user_sgpr_kernarg_segment_ptr 1
		.amdhsa_user_sgpr_dispatch_id 0
		.amdhsa_user_sgpr_kernarg_preload_length 0
		.amdhsa_user_sgpr_kernarg_preload_offset 0
		.amdhsa_user_sgpr_private_segment_size 0
		.amdhsa_uses_dynamic_stack 0
		.amdhsa_enable_private_segment 0
		.amdhsa_system_sgpr_workgroup_id_x 1
		.amdhsa_system_sgpr_workgroup_id_y 0
		.amdhsa_system_sgpr_workgroup_id_z 0
		.amdhsa_system_sgpr_workgroup_info 0
		.amdhsa_system_vgpr_workitem_id 0
		.amdhsa_next_free_vgpr 1
		.amdhsa_next_free_sgpr 0
		.amdhsa_accum_offset 4
		.amdhsa_reserve_vcc 0
		.amdhsa_float_round_mode_32 0
		.amdhsa_float_round_mode_16_64 0
		.amdhsa_float_denorm_mode_32 3
		.amdhsa_float_denorm_mode_16_64 3
		.amdhsa_dx10_clamp 1
		.amdhsa_ieee_mode 1
		.amdhsa_fp16_overflow 0
		.amdhsa_tg_split 0
		.amdhsa_exception_fp_ieee_invalid_op 0
		.amdhsa_exception_fp_denorm_src 0
		.amdhsa_exception_fp_ieee_div_zero 0
		.amdhsa_exception_fp_ieee_overflow 0
		.amdhsa_exception_fp_ieee_underflow 0
		.amdhsa_exception_fp_ieee_inexact 0
		.amdhsa_exception_int_div_zero 0
	.end_amdhsa_kernel
	.section	.text._ZN7rocprim17ROCPRIM_400000_NS6detail17trampoline_kernelINS0_14default_configENS1_38merge_sort_block_merge_config_selectorIiNS0_10empty_typeEEEZZNS1_27merge_sort_block_merge_implIS3_N6thrust23THRUST_200600_302600_NS6detail15normal_iteratorINS9_10device_ptrIiEEEEPS5_jNS1_19radix_merge_compareILb0ELb1EiNS0_19identity_decomposerEEEEE10hipError_tT0_T1_T2_jT3_P12ihipStream_tbPNSt15iterator_traitsISK_E10value_typeEPNSQ_ISL_E10value_typeEPSM_NS1_7vsmem_tEENKUlT_SK_SL_SM_E_clIPiSE_SF_SF_EESJ_SZ_SK_SL_SM_EUlSZ_E_NS1_11comp_targetILNS1_3genE0ELNS1_11target_archE4294967295ELNS1_3gpuE0ELNS1_3repE0EEENS1_48merge_mergepath_partition_config_static_selectorELNS0_4arch9wavefront6targetE1EEEvSL_,"axG",@progbits,_ZN7rocprim17ROCPRIM_400000_NS6detail17trampoline_kernelINS0_14default_configENS1_38merge_sort_block_merge_config_selectorIiNS0_10empty_typeEEEZZNS1_27merge_sort_block_merge_implIS3_N6thrust23THRUST_200600_302600_NS6detail15normal_iteratorINS9_10device_ptrIiEEEEPS5_jNS1_19radix_merge_compareILb0ELb1EiNS0_19identity_decomposerEEEEE10hipError_tT0_T1_T2_jT3_P12ihipStream_tbPNSt15iterator_traitsISK_E10value_typeEPNSQ_ISL_E10value_typeEPSM_NS1_7vsmem_tEENKUlT_SK_SL_SM_E_clIPiSE_SF_SF_EESJ_SZ_SK_SL_SM_EUlSZ_E_NS1_11comp_targetILNS1_3genE0ELNS1_11target_archE4294967295ELNS1_3gpuE0ELNS1_3repE0EEENS1_48merge_mergepath_partition_config_static_selectorELNS0_4arch9wavefront6targetE1EEEvSL_,comdat
.Lfunc_end1671:
	.size	_ZN7rocprim17ROCPRIM_400000_NS6detail17trampoline_kernelINS0_14default_configENS1_38merge_sort_block_merge_config_selectorIiNS0_10empty_typeEEEZZNS1_27merge_sort_block_merge_implIS3_N6thrust23THRUST_200600_302600_NS6detail15normal_iteratorINS9_10device_ptrIiEEEEPS5_jNS1_19radix_merge_compareILb0ELb1EiNS0_19identity_decomposerEEEEE10hipError_tT0_T1_T2_jT3_P12ihipStream_tbPNSt15iterator_traitsISK_E10value_typeEPNSQ_ISL_E10value_typeEPSM_NS1_7vsmem_tEENKUlT_SK_SL_SM_E_clIPiSE_SF_SF_EESJ_SZ_SK_SL_SM_EUlSZ_E_NS1_11comp_targetILNS1_3genE0ELNS1_11target_archE4294967295ELNS1_3gpuE0ELNS1_3repE0EEENS1_48merge_mergepath_partition_config_static_selectorELNS0_4arch9wavefront6targetE1EEEvSL_, .Lfunc_end1671-_ZN7rocprim17ROCPRIM_400000_NS6detail17trampoline_kernelINS0_14default_configENS1_38merge_sort_block_merge_config_selectorIiNS0_10empty_typeEEEZZNS1_27merge_sort_block_merge_implIS3_N6thrust23THRUST_200600_302600_NS6detail15normal_iteratorINS9_10device_ptrIiEEEEPS5_jNS1_19radix_merge_compareILb0ELb1EiNS0_19identity_decomposerEEEEE10hipError_tT0_T1_T2_jT3_P12ihipStream_tbPNSt15iterator_traitsISK_E10value_typeEPNSQ_ISL_E10value_typeEPSM_NS1_7vsmem_tEENKUlT_SK_SL_SM_E_clIPiSE_SF_SF_EESJ_SZ_SK_SL_SM_EUlSZ_E_NS1_11comp_targetILNS1_3genE0ELNS1_11target_archE4294967295ELNS1_3gpuE0ELNS1_3repE0EEENS1_48merge_mergepath_partition_config_static_selectorELNS0_4arch9wavefront6targetE1EEEvSL_
                                        ; -- End function
	.section	.AMDGPU.csdata,"",@progbits
; Kernel info:
; codeLenInByte = 0
; NumSgprs: 6
; NumVgprs: 0
; NumAgprs: 0
; TotalNumVgprs: 0
; ScratchSize: 0
; MemoryBound: 0
; FloatMode: 240
; IeeeMode: 1
; LDSByteSize: 0 bytes/workgroup (compile time only)
; SGPRBlocks: 0
; VGPRBlocks: 0
; NumSGPRsForWavesPerEU: 6
; NumVGPRsForWavesPerEU: 1
; AccumOffset: 4
; Occupancy: 8
; WaveLimiterHint : 0
; COMPUTE_PGM_RSRC2:SCRATCH_EN: 0
; COMPUTE_PGM_RSRC2:USER_SGPR: 2
; COMPUTE_PGM_RSRC2:TRAP_HANDLER: 0
; COMPUTE_PGM_RSRC2:TGID_X_EN: 1
; COMPUTE_PGM_RSRC2:TGID_Y_EN: 0
; COMPUTE_PGM_RSRC2:TGID_Z_EN: 0
; COMPUTE_PGM_RSRC2:TIDIG_COMP_CNT: 0
; COMPUTE_PGM_RSRC3_GFX90A:ACCUM_OFFSET: 0
; COMPUTE_PGM_RSRC3_GFX90A:TG_SPLIT: 0
	.section	.text._ZN7rocprim17ROCPRIM_400000_NS6detail17trampoline_kernelINS0_14default_configENS1_38merge_sort_block_merge_config_selectorIiNS0_10empty_typeEEEZZNS1_27merge_sort_block_merge_implIS3_N6thrust23THRUST_200600_302600_NS6detail15normal_iteratorINS9_10device_ptrIiEEEEPS5_jNS1_19radix_merge_compareILb0ELb1EiNS0_19identity_decomposerEEEEE10hipError_tT0_T1_T2_jT3_P12ihipStream_tbPNSt15iterator_traitsISK_E10value_typeEPNSQ_ISL_E10value_typeEPSM_NS1_7vsmem_tEENKUlT_SK_SL_SM_E_clIPiSE_SF_SF_EESJ_SZ_SK_SL_SM_EUlSZ_E_NS1_11comp_targetILNS1_3genE10ELNS1_11target_archE1201ELNS1_3gpuE5ELNS1_3repE0EEENS1_48merge_mergepath_partition_config_static_selectorELNS0_4arch9wavefront6targetE1EEEvSL_,"axG",@progbits,_ZN7rocprim17ROCPRIM_400000_NS6detail17trampoline_kernelINS0_14default_configENS1_38merge_sort_block_merge_config_selectorIiNS0_10empty_typeEEEZZNS1_27merge_sort_block_merge_implIS3_N6thrust23THRUST_200600_302600_NS6detail15normal_iteratorINS9_10device_ptrIiEEEEPS5_jNS1_19radix_merge_compareILb0ELb1EiNS0_19identity_decomposerEEEEE10hipError_tT0_T1_T2_jT3_P12ihipStream_tbPNSt15iterator_traitsISK_E10value_typeEPNSQ_ISL_E10value_typeEPSM_NS1_7vsmem_tEENKUlT_SK_SL_SM_E_clIPiSE_SF_SF_EESJ_SZ_SK_SL_SM_EUlSZ_E_NS1_11comp_targetILNS1_3genE10ELNS1_11target_archE1201ELNS1_3gpuE5ELNS1_3repE0EEENS1_48merge_mergepath_partition_config_static_selectorELNS0_4arch9wavefront6targetE1EEEvSL_,comdat
	.protected	_ZN7rocprim17ROCPRIM_400000_NS6detail17trampoline_kernelINS0_14default_configENS1_38merge_sort_block_merge_config_selectorIiNS0_10empty_typeEEEZZNS1_27merge_sort_block_merge_implIS3_N6thrust23THRUST_200600_302600_NS6detail15normal_iteratorINS9_10device_ptrIiEEEEPS5_jNS1_19radix_merge_compareILb0ELb1EiNS0_19identity_decomposerEEEEE10hipError_tT0_T1_T2_jT3_P12ihipStream_tbPNSt15iterator_traitsISK_E10value_typeEPNSQ_ISL_E10value_typeEPSM_NS1_7vsmem_tEENKUlT_SK_SL_SM_E_clIPiSE_SF_SF_EESJ_SZ_SK_SL_SM_EUlSZ_E_NS1_11comp_targetILNS1_3genE10ELNS1_11target_archE1201ELNS1_3gpuE5ELNS1_3repE0EEENS1_48merge_mergepath_partition_config_static_selectorELNS0_4arch9wavefront6targetE1EEEvSL_ ; -- Begin function _ZN7rocprim17ROCPRIM_400000_NS6detail17trampoline_kernelINS0_14default_configENS1_38merge_sort_block_merge_config_selectorIiNS0_10empty_typeEEEZZNS1_27merge_sort_block_merge_implIS3_N6thrust23THRUST_200600_302600_NS6detail15normal_iteratorINS9_10device_ptrIiEEEEPS5_jNS1_19radix_merge_compareILb0ELb1EiNS0_19identity_decomposerEEEEE10hipError_tT0_T1_T2_jT3_P12ihipStream_tbPNSt15iterator_traitsISK_E10value_typeEPNSQ_ISL_E10value_typeEPSM_NS1_7vsmem_tEENKUlT_SK_SL_SM_E_clIPiSE_SF_SF_EESJ_SZ_SK_SL_SM_EUlSZ_E_NS1_11comp_targetILNS1_3genE10ELNS1_11target_archE1201ELNS1_3gpuE5ELNS1_3repE0EEENS1_48merge_mergepath_partition_config_static_selectorELNS0_4arch9wavefront6targetE1EEEvSL_
	.globl	_ZN7rocprim17ROCPRIM_400000_NS6detail17trampoline_kernelINS0_14default_configENS1_38merge_sort_block_merge_config_selectorIiNS0_10empty_typeEEEZZNS1_27merge_sort_block_merge_implIS3_N6thrust23THRUST_200600_302600_NS6detail15normal_iteratorINS9_10device_ptrIiEEEEPS5_jNS1_19radix_merge_compareILb0ELb1EiNS0_19identity_decomposerEEEEE10hipError_tT0_T1_T2_jT3_P12ihipStream_tbPNSt15iterator_traitsISK_E10value_typeEPNSQ_ISL_E10value_typeEPSM_NS1_7vsmem_tEENKUlT_SK_SL_SM_E_clIPiSE_SF_SF_EESJ_SZ_SK_SL_SM_EUlSZ_E_NS1_11comp_targetILNS1_3genE10ELNS1_11target_archE1201ELNS1_3gpuE5ELNS1_3repE0EEENS1_48merge_mergepath_partition_config_static_selectorELNS0_4arch9wavefront6targetE1EEEvSL_
	.p2align	8
	.type	_ZN7rocprim17ROCPRIM_400000_NS6detail17trampoline_kernelINS0_14default_configENS1_38merge_sort_block_merge_config_selectorIiNS0_10empty_typeEEEZZNS1_27merge_sort_block_merge_implIS3_N6thrust23THRUST_200600_302600_NS6detail15normal_iteratorINS9_10device_ptrIiEEEEPS5_jNS1_19radix_merge_compareILb0ELb1EiNS0_19identity_decomposerEEEEE10hipError_tT0_T1_T2_jT3_P12ihipStream_tbPNSt15iterator_traitsISK_E10value_typeEPNSQ_ISL_E10value_typeEPSM_NS1_7vsmem_tEENKUlT_SK_SL_SM_E_clIPiSE_SF_SF_EESJ_SZ_SK_SL_SM_EUlSZ_E_NS1_11comp_targetILNS1_3genE10ELNS1_11target_archE1201ELNS1_3gpuE5ELNS1_3repE0EEENS1_48merge_mergepath_partition_config_static_selectorELNS0_4arch9wavefront6targetE1EEEvSL_,@function
_ZN7rocprim17ROCPRIM_400000_NS6detail17trampoline_kernelINS0_14default_configENS1_38merge_sort_block_merge_config_selectorIiNS0_10empty_typeEEEZZNS1_27merge_sort_block_merge_implIS3_N6thrust23THRUST_200600_302600_NS6detail15normal_iteratorINS9_10device_ptrIiEEEEPS5_jNS1_19radix_merge_compareILb0ELb1EiNS0_19identity_decomposerEEEEE10hipError_tT0_T1_T2_jT3_P12ihipStream_tbPNSt15iterator_traitsISK_E10value_typeEPNSQ_ISL_E10value_typeEPSM_NS1_7vsmem_tEENKUlT_SK_SL_SM_E_clIPiSE_SF_SF_EESJ_SZ_SK_SL_SM_EUlSZ_E_NS1_11comp_targetILNS1_3genE10ELNS1_11target_archE1201ELNS1_3gpuE5ELNS1_3repE0EEENS1_48merge_mergepath_partition_config_static_selectorELNS0_4arch9wavefront6targetE1EEEvSL_: ; @_ZN7rocprim17ROCPRIM_400000_NS6detail17trampoline_kernelINS0_14default_configENS1_38merge_sort_block_merge_config_selectorIiNS0_10empty_typeEEEZZNS1_27merge_sort_block_merge_implIS3_N6thrust23THRUST_200600_302600_NS6detail15normal_iteratorINS9_10device_ptrIiEEEEPS5_jNS1_19radix_merge_compareILb0ELb1EiNS0_19identity_decomposerEEEEE10hipError_tT0_T1_T2_jT3_P12ihipStream_tbPNSt15iterator_traitsISK_E10value_typeEPNSQ_ISL_E10value_typeEPSM_NS1_7vsmem_tEENKUlT_SK_SL_SM_E_clIPiSE_SF_SF_EESJ_SZ_SK_SL_SM_EUlSZ_E_NS1_11comp_targetILNS1_3genE10ELNS1_11target_archE1201ELNS1_3gpuE5ELNS1_3repE0EEENS1_48merge_mergepath_partition_config_static_selectorELNS0_4arch9wavefront6targetE1EEEvSL_
; %bb.0:
	.section	.rodata,"a",@progbits
	.p2align	6, 0x0
	.amdhsa_kernel _ZN7rocprim17ROCPRIM_400000_NS6detail17trampoline_kernelINS0_14default_configENS1_38merge_sort_block_merge_config_selectorIiNS0_10empty_typeEEEZZNS1_27merge_sort_block_merge_implIS3_N6thrust23THRUST_200600_302600_NS6detail15normal_iteratorINS9_10device_ptrIiEEEEPS5_jNS1_19radix_merge_compareILb0ELb1EiNS0_19identity_decomposerEEEEE10hipError_tT0_T1_T2_jT3_P12ihipStream_tbPNSt15iterator_traitsISK_E10value_typeEPNSQ_ISL_E10value_typeEPSM_NS1_7vsmem_tEENKUlT_SK_SL_SM_E_clIPiSE_SF_SF_EESJ_SZ_SK_SL_SM_EUlSZ_E_NS1_11comp_targetILNS1_3genE10ELNS1_11target_archE1201ELNS1_3gpuE5ELNS1_3repE0EEENS1_48merge_mergepath_partition_config_static_selectorELNS0_4arch9wavefront6targetE1EEEvSL_
		.amdhsa_group_segment_fixed_size 0
		.amdhsa_private_segment_fixed_size 0
		.amdhsa_kernarg_size 40
		.amdhsa_user_sgpr_count 2
		.amdhsa_user_sgpr_dispatch_ptr 0
		.amdhsa_user_sgpr_queue_ptr 0
		.amdhsa_user_sgpr_kernarg_segment_ptr 1
		.amdhsa_user_sgpr_dispatch_id 0
		.amdhsa_user_sgpr_kernarg_preload_length 0
		.amdhsa_user_sgpr_kernarg_preload_offset 0
		.amdhsa_user_sgpr_private_segment_size 0
		.amdhsa_uses_dynamic_stack 0
		.amdhsa_enable_private_segment 0
		.amdhsa_system_sgpr_workgroup_id_x 1
		.amdhsa_system_sgpr_workgroup_id_y 0
		.amdhsa_system_sgpr_workgroup_id_z 0
		.amdhsa_system_sgpr_workgroup_info 0
		.amdhsa_system_vgpr_workitem_id 0
		.amdhsa_next_free_vgpr 1
		.amdhsa_next_free_sgpr 0
		.amdhsa_accum_offset 4
		.amdhsa_reserve_vcc 0
		.amdhsa_float_round_mode_32 0
		.amdhsa_float_round_mode_16_64 0
		.amdhsa_float_denorm_mode_32 3
		.amdhsa_float_denorm_mode_16_64 3
		.amdhsa_dx10_clamp 1
		.amdhsa_ieee_mode 1
		.amdhsa_fp16_overflow 0
		.amdhsa_tg_split 0
		.amdhsa_exception_fp_ieee_invalid_op 0
		.amdhsa_exception_fp_denorm_src 0
		.amdhsa_exception_fp_ieee_div_zero 0
		.amdhsa_exception_fp_ieee_overflow 0
		.amdhsa_exception_fp_ieee_underflow 0
		.amdhsa_exception_fp_ieee_inexact 0
		.amdhsa_exception_int_div_zero 0
	.end_amdhsa_kernel
	.section	.text._ZN7rocprim17ROCPRIM_400000_NS6detail17trampoline_kernelINS0_14default_configENS1_38merge_sort_block_merge_config_selectorIiNS0_10empty_typeEEEZZNS1_27merge_sort_block_merge_implIS3_N6thrust23THRUST_200600_302600_NS6detail15normal_iteratorINS9_10device_ptrIiEEEEPS5_jNS1_19radix_merge_compareILb0ELb1EiNS0_19identity_decomposerEEEEE10hipError_tT0_T1_T2_jT3_P12ihipStream_tbPNSt15iterator_traitsISK_E10value_typeEPNSQ_ISL_E10value_typeEPSM_NS1_7vsmem_tEENKUlT_SK_SL_SM_E_clIPiSE_SF_SF_EESJ_SZ_SK_SL_SM_EUlSZ_E_NS1_11comp_targetILNS1_3genE10ELNS1_11target_archE1201ELNS1_3gpuE5ELNS1_3repE0EEENS1_48merge_mergepath_partition_config_static_selectorELNS0_4arch9wavefront6targetE1EEEvSL_,"axG",@progbits,_ZN7rocprim17ROCPRIM_400000_NS6detail17trampoline_kernelINS0_14default_configENS1_38merge_sort_block_merge_config_selectorIiNS0_10empty_typeEEEZZNS1_27merge_sort_block_merge_implIS3_N6thrust23THRUST_200600_302600_NS6detail15normal_iteratorINS9_10device_ptrIiEEEEPS5_jNS1_19radix_merge_compareILb0ELb1EiNS0_19identity_decomposerEEEEE10hipError_tT0_T1_T2_jT3_P12ihipStream_tbPNSt15iterator_traitsISK_E10value_typeEPNSQ_ISL_E10value_typeEPSM_NS1_7vsmem_tEENKUlT_SK_SL_SM_E_clIPiSE_SF_SF_EESJ_SZ_SK_SL_SM_EUlSZ_E_NS1_11comp_targetILNS1_3genE10ELNS1_11target_archE1201ELNS1_3gpuE5ELNS1_3repE0EEENS1_48merge_mergepath_partition_config_static_selectorELNS0_4arch9wavefront6targetE1EEEvSL_,comdat
.Lfunc_end1672:
	.size	_ZN7rocprim17ROCPRIM_400000_NS6detail17trampoline_kernelINS0_14default_configENS1_38merge_sort_block_merge_config_selectorIiNS0_10empty_typeEEEZZNS1_27merge_sort_block_merge_implIS3_N6thrust23THRUST_200600_302600_NS6detail15normal_iteratorINS9_10device_ptrIiEEEEPS5_jNS1_19radix_merge_compareILb0ELb1EiNS0_19identity_decomposerEEEEE10hipError_tT0_T1_T2_jT3_P12ihipStream_tbPNSt15iterator_traitsISK_E10value_typeEPNSQ_ISL_E10value_typeEPSM_NS1_7vsmem_tEENKUlT_SK_SL_SM_E_clIPiSE_SF_SF_EESJ_SZ_SK_SL_SM_EUlSZ_E_NS1_11comp_targetILNS1_3genE10ELNS1_11target_archE1201ELNS1_3gpuE5ELNS1_3repE0EEENS1_48merge_mergepath_partition_config_static_selectorELNS0_4arch9wavefront6targetE1EEEvSL_, .Lfunc_end1672-_ZN7rocprim17ROCPRIM_400000_NS6detail17trampoline_kernelINS0_14default_configENS1_38merge_sort_block_merge_config_selectorIiNS0_10empty_typeEEEZZNS1_27merge_sort_block_merge_implIS3_N6thrust23THRUST_200600_302600_NS6detail15normal_iteratorINS9_10device_ptrIiEEEEPS5_jNS1_19radix_merge_compareILb0ELb1EiNS0_19identity_decomposerEEEEE10hipError_tT0_T1_T2_jT3_P12ihipStream_tbPNSt15iterator_traitsISK_E10value_typeEPNSQ_ISL_E10value_typeEPSM_NS1_7vsmem_tEENKUlT_SK_SL_SM_E_clIPiSE_SF_SF_EESJ_SZ_SK_SL_SM_EUlSZ_E_NS1_11comp_targetILNS1_3genE10ELNS1_11target_archE1201ELNS1_3gpuE5ELNS1_3repE0EEENS1_48merge_mergepath_partition_config_static_selectorELNS0_4arch9wavefront6targetE1EEEvSL_
                                        ; -- End function
	.section	.AMDGPU.csdata,"",@progbits
; Kernel info:
; codeLenInByte = 0
; NumSgprs: 6
; NumVgprs: 0
; NumAgprs: 0
; TotalNumVgprs: 0
; ScratchSize: 0
; MemoryBound: 0
; FloatMode: 240
; IeeeMode: 1
; LDSByteSize: 0 bytes/workgroup (compile time only)
; SGPRBlocks: 0
; VGPRBlocks: 0
; NumSGPRsForWavesPerEU: 6
; NumVGPRsForWavesPerEU: 1
; AccumOffset: 4
; Occupancy: 8
; WaveLimiterHint : 0
; COMPUTE_PGM_RSRC2:SCRATCH_EN: 0
; COMPUTE_PGM_RSRC2:USER_SGPR: 2
; COMPUTE_PGM_RSRC2:TRAP_HANDLER: 0
; COMPUTE_PGM_RSRC2:TGID_X_EN: 1
; COMPUTE_PGM_RSRC2:TGID_Y_EN: 0
; COMPUTE_PGM_RSRC2:TGID_Z_EN: 0
; COMPUTE_PGM_RSRC2:TIDIG_COMP_CNT: 0
; COMPUTE_PGM_RSRC3_GFX90A:ACCUM_OFFSET: 0
; COMPUTE_PGM_RSRC3_GFX90A:TG_SPLIT: 0
	.section	.text._ZN7rocprim17ROCPRIM_400000_NS6detail17trampoline_kernelINS0_14default_configENS1_38merge_sort_block_merge_config_selectorIiNS0_10empty_typeEEEZZNS1_27merge_sort_block_merge_implIS3_N6thrust23THRUST_200600_302600_NS6detail15normal_iteratorINS9_10device_ptrIiEEEEPS5_jNS1_19radix_merge_compareILb0ELb1EiNS0_19identity_decomposerEEEEE10hipError_tT0_T1_T2_jT3_P12ihipStream_tbPNSt15iterator_traitsISK_E10value_typeEPNSQ_ISL_E10value_typeEPSM_NS1_7vsmem_tEENKUlT_SK_SL_SM_E_clIPiSE_SF_SF_EESJ_SZ_SK_SL_SM_EUlSZ_E_NS1_11comp_targetILNS1_3genE5ELNS1_11target_archE942ELNS1_3gpuE9ELNS1_3repE0EEENS1_48merge_mergepath_partition_config_static_selectorELNS0_4arch9wavefront6targetE1EEEvSL_,"axG",@progbits,_ZN7rocprim17ROCPRIM_400000_NS6detail17trampoline_kernelINS0_14default_configENS1_38merge_sort_block_merge_config_selectorIiNS0_10empty_typeEEEZZNS1_27merge_sort_block_merge_implIS3_N6thrust23THRUST_200600_302600_NS6detail15normal_iteratorINS9_10device_ptrIiEEEEPS5_jNS1_19radix_merge_compareILb0ELb1EiNS0_19identity_decomposerEEEEE10hipError_tT0_T1_T2_jT3_P12ihipStream_tbPNSt15iterator_traitsISK_E10value_typeEPNSQ_ISL_E10value_typeEPSM_NS1_7vsmem_tEENKUlT_SK_SL_SM_E_clIPiSE_SF_SF_EESJ_SZ_SK_SL_SM_EUlSZ_E_NS1_11comp_targetILNS1_3genE5ELNS1_11target_archE942ELNS1_3gpuE9ELNS1_3repE0EEENS1_48merge_mergepath_partition_config_static_selectorELNS0_4arch9wavefront6targetE1EEEvSL_,comdat
	.protected	_ZN7rocprim17ROCPRIM_400000_NS6detail17trampoline_kernelINS0_14default_configENS1_38merge_sort_block_merge_config_selectorIiNS0_10empty_typeEEEZZNS1_27merge_sort_block_merge_implIS3_N6thrust23THRUST_200600_302600_NS6detail15normal_iteratorINS9_10device_ptrIiEEEEPS5_jNS1_19radix_merge_compareILb0ELb1EiNS0_19identity_decomposerEEEEE10hipError_tT0_T1_T2_jT3_P12ihipStream_tbPNSt15iterator_traitsISK_E10value_typeEPNSQ_ISL_E10value_typeEPSM_NS1_7vsmem_tEENKUlT_SK_SL_SM_E_clIPiSE_SF_SF_EESJ_SZ_SK_SL_SM_EUlSZ_E_NS1_11comp_targetILNS1_3genE5ELNS1_11target_archE942ELNS1_3gpuE9ELNS1_3repE0EEENS1_48merge_mergepath_partition_config_static_selectorELNS0_4arch9wavefront6targetE1EEEvSL_ ; -- Begin function _ZN7rocprim17ROCPRIM_400000_NS6detail17trampoline_kernelINS0_14default_configENS1_38merge_sort_block_merge_config_selectorIiNS0_10empty_typeEEEZZNS1_27merge_sort_block_merge_implIS3_N6thrust23THRUST_200600_302600_NS6detail15normal_iteratorINS9_10device_ptrIiEEEEPS5_jNS1_19radix_merge_compareILb0ELb1EiNS0_19identity_decomposerEEEEE10hipError_tT0_T1_T2_jT3_P12ihipStream_tbPNSt15iterator_traitsISK_E10value_typeEPNSQ_ISL_E10value_typeEPSM_NS1_7vsmem_tEENKUlT_SK_SL_SM_E_clIPiSE_SF_SF_EESJ_SZ_SK_SL_SM_EUlSZ_E_NS1_11comp_targetILNS1_3genE5ELNS1_11target_archE942ELNS1_3gpuE9ELNS1_3repE0EEENS1_48merge_mergepath_partition_config_static_selectorELNS0_4arch9wavefront6targetE1EEEvSL_
	.globl	_ZN7rocprim17ROCPRIM_400000_NS6detail17trampoline_kernelINS0_14default_configENS1_38merge_sort_block_merge_config_selectorIiNS0_10empty_typeEEEZZNS1_27merge_sort_block_merge_implIS3_N6thrust23THRUST_200600_302600_NS6detail15normal_iteratorINS9_10device_ptrIiEEEEPS5_jNS1_19radix_merge_compareILb0ELb1EiNS0_19identity_decomposerEEEEE10hipError_tT0_T1_T2_jT3_P12ihipStream_tbPNSt15iterator_traitsISK_E10value_typeEPNSQ_ISL_E10value_typeEPSM_NS1_7vsmem_tEENKUlT_SK_SL_SM_E_clIPiSE_SF_SF_EESJ_SZ_SK_SL_SM_EUlSZ_E_NS1_11comp_targetILNS1_3genE5ELNS1_11target_archE942ELNS1_3gpuE9ELNS1_3repE0EEENS1_48merge_mergepath_partition_config_static_selectorELNS0_4arch9wavefront6targetE1EEEvSL_
	.p2align	8
	.type	_ZN7rocprim17ROCPRIM_400000_NS6detail17trampoline_kernelINS0_14default_configENS1_38merge_sort_block_merge_config_selectorIiNS0_10empty_typeEEEZZNS1_27merge_sort_block_merge_implIS3_N6thrust23THRUST_200600_302600_NS6detail15normal_iteratorINS9_10device_ptrIiEEEEPS5_jNS1_19radix_merge_compareILb0ELb1EiNS0_19identity_decomposerEEEEE10hipError_tT0_T1_T2_jT3_P12ihipStream_tbPNSt15iterator_traitsISK_E10value_typeEPNSQ_ISL_E10value_typeEPSM_NS1_7vsmem_tEENKUlT_SK_SL_SM_E_clIPiSE_SF_SF_EESJ_SZ_SK_SL_SM_EUlSZ_E_NS1_11comp_targetILNS1_3genE5ELNS1_11target_archE942ELNS1_3gpuE9ELNS1_3repE0EEENS1_48merge_mergepath_partition_config_static_selectorELNS0_4arch9wavefront6targetE1EEEvSL_,@function
_ZN7rocprim17ROCPRIM_400000_NS6detail17trampoline_kernelINS0_14default_configENS1_38merge_sort_block_merge_config_selectorIiNS0_10empty_typeEEEZZNS1_27merge_sort_block_merge_implIS3_N6thrust23THRUST_200600_302600_NS6detail15normal_iteratorINS9_10device_ptrIiEEEEPS5_jNS1_19radix_merge_compareILb0ELb1EiNS0_19identity_decomposerEEEEE10hipError_tT0_T1_T2_jT3_P12ihipStream_tbPNSt15iterator_traitsISK_E10value_typeEPNSQ_ISL_E10value_typeEPSM_NS1_7vsmem_tEENKUlT_SK_SL_SM_E_clIPiSE_SF_SF_EESJ_SZ_SK_SL_SM_EUlSZ_E_NS1_11comp_targetILNS1_3genE5ELNS1_11target_archE942ELNS1_3gpuE9ELNS1_3repE0EEENS1_48merge_mergepath_partition_config_static_selectorELNS0_4arch9wavefront6targetE1EEEvSL_: ; @_ZN7rocprim17ROCPRIM_400000_NS6detail17trampoline_kernelINS0_14default_configENS1_38merge_sort_block_merge_config_selectorIiNS0_10empty_typeEEEZZNS1_27merge_sort_block_merge_implIS3_N6thrust23THRUST_200600_302600_NS6detail15normal_iteratorINS9_10device_ptrIiEEEEPS5_jNS1_19radix_merge_compareILb0ELb1EiNS0_19identity_decomposerEEEEE10hipError_tT0_T1_T2_jT3_P12ihipStream_tbPNSt15iterator_traitsISK_E10value_typeEPNSQ_ISL_E10value_typeEPSM_NS1_7vsmem_tEENKUlT_SK_SL_SM_E_clIPiSE_SF_SF_EESJ_SZ_SK_SL_SM_EUlSZ_E_NS1_11comp_targetILNS1_3genE5ELNS1_11target_archE942ELNS1_3gpuE9ELNS1_3repE0EEENS1_48merge_mergepath_partition_config_static_selectorELNS0_4arch9wavefront6targetE1EEEvSL_
; %bb.0:
	s_load_dword s3, s[0:1], 0x0
	v_lshl_or_b32 v0, s2, 7, v0
	s_waitcnt lgkmcnt(0)
	v_cmp_gt_u32_e32 vcc, s3, v0
	s_and_saveexec_b64 s[2:3], vcc
	s_cbranch_execz .LBB1673_6
; %bb.1:
	s_load_dwordx2 s[4:5], s[0:1], 0x4
	s_load_dwordx2 s[2:3], s[0:1], 0x20
	s_waitcnt lgkmcnt(0)
	s_lshr_b32 s6, s4, 9
	s_and_b32 s6, s6, 0x7ffffe
	s_add_i32 s7, s6, -1
	s_sub_i32 s6, 0, s6
	v_and_b32_e32 v1, s6, v0
	v_lshlrev_b32_e32 v1, 10, v1
	v_min_u32_e32 v2, s5, v1
	v_add_u32_e32 v1, s4, v1
	v_min_u32_e32 v4, s5, v1
	v_add_u32_e32 v1, s4, v4
	v_and_b32_e32 v3, s7, v0
	v_min_u32_e32 v1, s5, v1
	v_sub_u32_e32 v5, v1, v2
	v_lshlrev_b32_e32 v3, 10, v3
	v_min_u32_e32 v10, v5, v3
	v_sub_u32_e32 v3, v4, v2
	v_sub_u32_e32 v1, v1, v4
	v_sub_u32_e64 v1, v10, v1 clamp
	v_min_u32_e32 v11, v10, v3
	v_cmp_lt_u32_e32 vcc, v1, v11
	s_and_saveexec_b64 s[4:5], vcc
	s_cbranch_execz .LBB1673_5
; %bb.2:
	s_load_dwordx2 s[8:9], s[0:1], 0x10
	s_load_dword s6, s[0:1], 0x18
	v_mov_b32_e32 v5, 0
	v_mov_b32_e32 v3, v5
	s_mov_b64 s[0:1], 0
	s_waitcnt lgkmcnt(0)
	v_lshl_add_u64 v[6:7], v[2:3], 2, s[8:9]
	v_lshl_add_u64 v[8:9], v[4:5], 2, s[8:9]
.LBB1673_3:                             ; =>This Inner Loop Header: Depth=1
	v_add_u32_e32 v3, v11, v1
	v_lshrrev_b32_e32 v4, 1, v3
	v_mov_b32_e32 v13, v5
	v_xad_u32 v12, v4, -1, v10
	v_lshl_add_u64 v[14:15], v[4:5], 2, v[6:7]
	v_lshl_add_u64 v[12:13], v[12:13], 2, v[8:9]
	global_load_dword v3, v[14:15], off
	global_load_dword v16, v[12:13], off
	v_add_u32_e32 v12, 1, v4
	s_waitcnt vmcnt(1)
	v_and_b32_e32 v3, s6, v3
	s_waitcnt vmcnt(0)
	v_and_b32_e32 v13, s6, v16
	v_cmp_gt_i32_e32 vcc, v3, v13
	s_nop 1
	v_cndmask_b32_e32 v11, v11, v4, vcc
	v_cndmask_b32_e32 v1, v12, v1, vcc
	v_cmp_ge_u32_e32 vcc, v1, v11
	s_or_b64 s[0:1], vcc, s[0:1]
	s_andn2_b64 exec, exec, s[0:1]
	s_cbranch_execnz .LBB1673_3
; %bb.4:
	s_or_b64 exec, exec, s[0:1]
.LBB1673_5:
	s_or_b64 exec, exec, s[4:5]
	v_add_u32_e32 v2, v1, v2
	v_mov_b32_e32 v1, 0
	v_lshl_add_u64 v[0:1], v[0:1], 2, s[2:3]
	global_store_dword v[0:1], v2, off
.LBB1673_6:
	s_endpgm
	.section	.rodata,"a",@progbits
	.p2align	6, 0x0
	.amdhsa_kernel _ZN7rocprim17ROCPRIM_400000_NS6detail17trampoline_kernelINS0_14default_configENS1_38merge_sort_block_merge_config_selectorIiNS0_10empty_typeEEEZZNS1_27merge_sort_block_merge_implIS3_N6thrust23THRUST_200600_302600_NS6detail15normal_iteratorINS9_10device_ptrIiEEEEPS5_jNS1_19radix_merge_compareILb0ELb1EiNS0_19identity_decomposerEEEEE10hipError_tT0_T1_T2_jT3_P12ihipStream_tbPNSt15iterator_traitsISK_E10value_typeEPNSQ_ISL_E10value_typeEPSM_NS1_7vsmem_tEENKUlT_SK_SL_SM_E_clIPiSE_SF_SF_EESJ_SZ_SK_SL_SM_EUlSZ_E_NS1_11comp_targetILNS1_3genE5ELNS1_11target_archE942ELNS1_3gpuE9ELNS1_3repE0EEENS1_48merge_mergepath_partition_config_static_selectorELNS0_4arch9wavefront6targetE1EEEvSL_
		.amdhsa_group_segment_fixed_size 0
		.amdhsa_private_segment_fixed_size 0
		.amdhsa_kernarg_size 40
		.amdhsa_user_sgpr_count 2
		.amdhsa_user_sgpr_dispatch_ptr 0
		.amdhsa_user_sgpr_queue_ptr 0
		.amdhsa_user_sgpr_kernarg_segment_ptr 1
		.amdhsa_user_sgpr_dispatch_id 0
		.amdhsa_user_sgpr_kernarg_preload_length 0
		.amdhsa_user_sgpr_kernarg_preload_offset 0
		.amdhsa_user_sgpr_private_segment_size 0
		.amdhsa_uses_dynamic_stack 0
		.amdhsa_enable_private_segment 0
		.amdhsa_system_sgpr_workgroup_id_x 1
		.amdhsa_system_sgpr_workgroup_id_y 0
		.amdhsa_system_sgpr_workgroup_id_z 0
		.amdhsa_system_sgpr_workgroup_info 0
		.amdhsa_system_vgpr_workitem_id 0
		.amdhsa_next_free_vgpr 17
		.amdhsa_next_free_sgpr 10
		.amdhsa_accum_offset 20
		.amdhsa_reserve_vcc 1
		.amdhsa_float_round_mode_32 0
		.amdhsa_float_round_mode_16_64 0
		.amdhsa_float_denorm_mode_32 3
		.amdhsa_float_denorm_mode_16_64 3
		.amdhsa_dx10_clamp 1
		.amdhsa_ieee_mode 1
		.amdhsa_fp16_overflow 0
		.amdhsa_tg_split 0
		.amdhsa_exception_fp_ieee_invalid_op 0
		.amdhsa_exception_fp_denorm_src 0
		.amdhsa_exception_fp_ieee_div_zero 0
		.amdhsa_exception_fp_ieee_overflow 0
		.amdhsa_exception_fp_ieee_underflow 0
		.amdhsa_exception_fp_ieee_inexact 0
		.amdhsa_exception_int_div_zero 0
	.end_amdhsa_kernel
	.section	.text._ZN7rocprim17ROCPRIM_400000_NS6detail17trampoline_kernelINS0_14default_configENS1_38merge_sort_block_merge_config_selectorIiNS0_10empty_typeEEEZZNS1_27merge_sort_block_merge_implIS3_N6thrust23THRUST_200600_302600_NS6detail15normal_iteratorINS9_10device_ptrIiEEEEPS5_jNS1_19radix_merge_compareILb0ELb1EiNS0_19identity_decomposerEEEEE10hipError_tT0_T1_T2_jT3_P12ihipStream_tbPNSt15iterator_traitsISK_E10value_typeEPNSQ_ISL_E10value_typeEPSM_NS1_7vsmem_tEENKUlT_SK_SL_SM_E_clIPiSE_SF_SF_EESJ_SZ_SK_SL_SM_EUlSZ_E_NS1_11comp_targetILNS1_3genE5ELNS1_11target_archE942ELNS1_3gpuE9ELNS1_3repE0EEENS1_48merge_mergepath_partition_config_static_selectorELNS0_4arch9wavefront6targetE1EEEvSL_,"axG",@progbits,_ZN7rocprim17ROCPRIM_400000_NS6detail17trampoline_kernelINS0_14default_configENS1_38merge_sort_block_merge_config_selectorIiNS0_10empty_typeEEEZZNS1_27merge_sort_block_merge_implIS3_N6thrust23THRUST_200600_302600_NS6detail15normal_iteratorINS9_10device_ptrIiEEEEPS5_jNS1_19radix_merge_compareILb0ELb1EiNS0_19identity_decomposerEEEEE10hipError_tT0_T1_T2_jT3_P12ihipStream_tbPNSt15iterator_traitsISK_E10value_typeEPNSQ_ISL_E10value_typeEPSM_NS1_7vsmem_tEENKUlT_SK_SL_SM_E_clIPiSE_SF_SF_EESJ_SZ_SK_SL_SM_EUlSZ_E_NS1_11comp_targetILNS1_3genE5ELNS1_11target_archE942ELNS1_3gpuE9ELNS1_3repE0EEENS1_48merge_mergepath_partition_config_static_selectorELNS0_4arch9wavefront6targetE1EEEvSL_,comdat
.Lfunc_end1673:
	.size	_ZN7rocprim17ROCPRIM_400000_NS6detail17trampoline_kernelINS0_14default_configENS1_38merge_sort_block_merge_config_selectorIiNS0_10empty_typeEEEZZNS1_27merge_sort_block_merge_implIS3_N6thrust23THRUST_200600_302600_NS6detail15normal_iteratorINS9_10device_ptrIiEEEEPS5_jNS1_19radix_merge_compareILb0ELb1EiNS0_19identity_decomposerEEEEE10hipError_tT0_T1_T2_jT3_P12ihipStream_tbPNSt15iterator_traitsISK_E10value_typeEPNSQ_ISL_E10value_typeEPSM_NS1_7vsmem_tEENKUlT_SK_SL_SM_E_clIPiSE_SF_SF_EESJ_SZ_SK_SL_SM_EUlSZ_E_NS1_11comp_targetILNS1_3genE5ELNS1_11target_archE942ELNS1_3gpuE9ELNS1_3repE0EEENS1_48merge_mergepath_partition_config_static_selectorELNS0_4arch9wavefront6targetE1EEEvSL_, .Lfunc_end1673-_ZN7rocprim17ROCPRIM_400000_NS6detail17trampoline_kernelINS0_14default_configENS1_38merge_sort_block_merge_config_selectorIiNS0_10empty_typeEEEZZNS1_27merge_sort_block_merge_implIS3_N6thrust23THRUST_200600_302600_NS6detail15normal_iteratorINS9_10device_ptrIiEEEEPS5_jNS1_19radix_merge_compareILb0ELb1EiNS0_19identity_decomposerEEEEE10hipError_tT0_T1_T2_jT3_P12ihipStream_tbPNSt15iterator_traitsISK_E10value_typeEPNSQ_ISL_E10value_typeEPSM_NS1_7vsmem_tEENKUlT_SK_SL_SM_E_clIPiSE_SF_SF_EESJ_SZ_SK_SL_SM_EUlSZ_E_NS1_11comp_targetILNS1_3genE5ELNS1_11target_archE942ELNS1_3gpuE9ELNS1_3repE0EEENS1_48merge_mergepath_partition_config_static_selectorELNS0_4arch9wavefront6targetE1EEEvSL_
                                        ; -- End function
	.section	.AMDGPU.csdata,"",@progbits
; Kernel info:
; codeLenInByte = 336
; NumSgprs: 16
; NumVgprs: 17
; NumAgprs: 0
; TotalNumVgprs: 17
; ScratchSize: 0
; MemoryBound: 0
; FloatMode: 240
; IeeeMode: 1
; LDSByteSize: 0 bytes/workgroup (compile time only)
; SGPRBlocks: 1
; VGPRBlocks: 2
; NumSGPRsForWavesPerEU: 16
; NumVGPRsForWavesPerEU: 17
; AccumOffset: 20
; Occupancy: 8
; WaveLimiterHint : 0
; COMPUTE_PGM_RSRC2:SCRATCH_EN: 0
; COMPUTE_PGM_RSRC2:USER_SGPR: 2
; COMPUTE_PGM_RSRC2:TRAP_HANDLER: 0
; COMPUTE_PGM_RSRC2:TGID_X_EN: 1
; COMPUTE_PGM_RSRC2:TGID_Y_EN: 0
; COMPUTE_PGM_RSRC2:TGID_Z_EN: 0
; COMPUTE_PGM_RSRC2:TIDIG_COMP_CNT: 0
; COMPUTE_PGM_RSRC3_GFX90A:ACCUM_OFFSET: 4
; COMPUTE_PGM_RSRC3_GFX90A:TG_SPLIT: 0
	.section	.text._ZN7rocprim17ROCPRIM_400000_NS6detail17trampoline_kernelINS0_14default_configENS1_38merge_sort_block_merge_config_selectorIiNS0_10empty_typeEEEZZNS1_27merge_sort_block_merge_implIS3_N6thrust23THRUST_200600_302600_NS6detail15normal_iteratorINS9_10device_ptrIiEEEEPS5_jNS1_19radix_merge_compareILb0ELb1EiNS0_19identity_decomposerEEEEE10hipError_tT0_T1_T2_jT3_P12ihipStream_tbPNSt15iterator_traitsISK_E10value_typeEPNSQ_ISL_E10value_typeEPSM_NS1_7vsmem_tEENKUlT_SK_SL_SM_E_clIPiSE_SF_SF_EESJ_SZ_SK_SL_SM_EUlSZ_E_NS1_11comp_targetILNS1_3genE4ELNS1_11target_archE910ELNS1_3gpuE8ELNS1_3repE0EEENS1_48merge_mergepath_partition_config_static_selectorELNS0_4arch9wavefront6targetE1EEEvSL_,"axG",@progbits,_ZN7rocprim17ROCPRIM_400000_NS6detail17trampoline_kernelINS0_14default_configENS1_38merge_sort_block_merge_config_selectorIiNS0_10empty_typeEEEZZNS1_27merge_sort_block_merge_implIS3_N6thrust23THRUST_200600_302600_NS6detail15normal_iteratorINS9_10device_ptrIiEEEEPS5_jNS1_19radix_merge_compareILb0ELb1EiNS0_19identity_decomposerEEEEE10hipError_tT0_T1_T2_jT3_P12ihipStream_tbPNSt15iterator_traitsISK_E10value_typeEPNSQ_ISL_E10value_typeEPSM_NS1_7vsmem_tEENKUlT_SK_SL_SM_E_clIPiSE_SF_SF_EESJ_SZ_SK_SL_SM_EUlSZ_E_NS1_11comp_targetILNS1_3genE4ELNS1_11target_archE910ELNS1_3gpuE8ELNS1_3repE0EEENS1_48merge_mergepath_partition_config_static_selectorELNS0_4arch9wavefront6targetE1EEEvSL_,comdat
	.protected	_ZN7rocprim17ROCPRIM_400000_NS6detail17trampoline_kernelINS0_14default_configENS1_38merge_sort_block_merge_config_selectorIiNS0_10empty_typeEEEZZNS1_27merge_sort_block_merge_implIS3_N6thrust23THRUST_200600_302600_NS6detail15normal_iteratorINS9_10device_ptrIiEEEEPS5_jNS1_19radix_merge_compareILb0ELb1EiNS0_19identity_decomposerEEEEE10hipError_tT0_T1_T2_jT3_P12ihipStream_tbPNSt15iterator_traitsISK_E10value_typeEPNSQ_ISL_E10value_typeEPSM_NS1_7vsmem_tEENKUlT_SK_SL_SM_E_clIPiSE_SF_SF_EESJ_SZ_SK_SL_SM_EUlSZ_E_NS1_11comp_targetILNS1_3genE4ELNS1_11target_archE910ELNS1_3gpuE8ELNS1_3repE0EEENS1_48merge_mergepath_partition_config_static_selectorELNS0_4arch9wavefront6targetE1EEEvSL_ ; -- Begin function _ZN7rocprim17ROCPRIM_400000_NS6detail17trampoline_kernelINS0_14default_configENS1_38merge_sort_block_merge_config_selectorIiNS0_10empty_typeEEEZZNS1_27merge_sort_block_merge_implIS3_N6thrust23THRUST_200600_302600_NS6detail15normal_iteratorINS9_10device_ptrIiEEEEPS5_jNS1_19radix_merge_compareILb0ELb1EiNS0_19identity_decomposerEEEEE10hipError_tT0_T1_T2_jT3_P12ihipStream_tbPNSt15iterator_traitsISK_E10value_typeEPNSQ_ISL_E10value_typeEPSM_NS1_7vsmem_tEENKUlT_SK_SL_SM_E_clIPiSE_SF_SF_EESJ_SZ_SK_SL_SM_EUlSZ_E_NS1_11comp_targetILNS1_3genE4ELNS1_11target_archE910ELNS1_3gpuE8ELNS1_3repE0EEENS1_48merge_mergepath_partition_config_static_selectorELNS0_4arch9wavefront6targetE1EEEvSL_
	.globl	_ZN7rocprim17ROCPRIM_400000_NS6detail17trampoline_kernelINS0_14default_configENS1_38merge_sort_block_merge_config_selectorIiNS0_10empty_typeEEEZZNS1_27merge_sort_block_merge_implIS3_N6thrust23THRUST_200600_302600_NS6detail15normal_iteratorINS9_10device_ptrIiEEEEPS5_jNS1_19radix_merge_compareILb0ELb1EiNS0_19identity_decomposerEEEEE10hipError_tT0_T1_T2_jT3_P12ihipStream_tbPNSt15iterator_traitsISK_E10value_typeEPNSQ_ISL_E10value_typeEPSM_NS1_7vsmem_tEENKUlT_SK_SL_SM_E_clIPiSE_SF_SF_EESJ_SZ_SK_SL_SM_EUlSZ_E_NS1_11comp_targetILNS1_3genE4ELNS1_11target_archE910ELNS1_3gpuE8ELNS1_3repE0EEENS1_48merge_mergepath_partition_config_static_selectorELNS0_4arch9wavefront6targetE1EEEvSL_
	.p2align	8
	.type	_ZN7rocprim17ROCPRIM_400000_NS6detail17trampoline_kernelINS0_14default_configENS1_38merge_sort_block_merge_config_selectorIiNS0_10empty_typeEEEZZNS1_27merge_sort_block_merge_implIS3_N6thrust23THRUST_200600_302600_NS6detail15normal_iteratorINS9_10device_ptrIiEEEEPS5_jNS1_19radix_merge_compareILb0ELb1EiNS0_19identity_decomposerEEEEE10hipError_tT0_T1_T2_jT3_P12ihipStream_tbPNSt15iterator_traitsISK_E10value_typeEPNSQ_ISL_E10value_typeEPSM_NS1_7vsmem_tEENKUlT_SK_SL_SM_E_clIPiSE_SF_SF_EESJ_SZ_SK_SL_SM_EUlSZ_E_NS1_11comp_targetILNS1_3genE4ELNS1_11target_archE910ELNS1_3gpuE8ELNS1_3repE0EEENS1_48merge_mergepath_partition_config_static_selectorELNS0_4arch9wavefront6targetE1EEEvSL_,@function
_ZN7rocprim17ROCPRIM_400000_NS6detail17trampoline_kernelINS0_14default_configENS1_38merge_sort_block_merge_config_selectorIiNS0_10empty_typeEEEZZNS1_27merge_sort_block_merge_implIS3_N6thrust23THRUST_200600_302600_NS6detail15normal_iteratorINS9_10device_ptrIiEEEEPS5_jNS1_19radix_merge_compareILb0ELb1EiNS0_19identity_decomposerEEEEE10hipError_tT0_T1_T2_jT3_P12ihipStream_tbPNSt15iterator_traitsISK_E10value_typeEPNSQ_ISL_E10value_typeEPSM_NS1_7vsmem_tEENKUlT_SK_SL_SM_E_clIPiSE_SF_SF_EESJ_SZ_SK_SL_SM_EUlSZ_E_NS1_11comp_targetILNS1_3genE4ELNS1_11target_archE910ELNS1_3gpuE8ELNS1_3repE0EEENS1_48merge_mergepath_partition_config_static_selectorELNS0_4arch9wavefront6targetE1EEEvSL_: ; @_ZN7rocprim17ROCPRIM_400000_NS6detail17trampoline_kernelINS0_14default_configENS1_38merge_sort_block_merge_config_selectorIiNS0_10empty_typeEEEZZNS1_27merge_sort_block_merge_implIS3_N6thrust23THRUST_200600_302600_NS6detail15normal_iteratorINS9_10device_ptrIiEEEEPS5_jNS1_19radix_merge_compareILb0ELb1EiNS0_19identity_decomposerEEEEE10hipError_tT0_T1_T2_jT3_P12ihipStream_tbPNSt15iterator_traitsISK_E10value_typeEPNSQ_ISL_E10value_typeEPSM_NS1_7vsmem_tEENKUlT_SK_SL_SM_E_clIPiSE_SF_SF_EESJ_SZ_SK_SL_SM_EUlSZ_E_NS1_11comp_targetILNS1_3genE4ELNS1_11target_archE910ELNS1_3gpuE8ELNS1_3repE0EEENS1_48merge_mergepath_partition_config_static_selectorELNS0_4arch9wavefront6targetE1EEEvSL_
; %bb.0:
	.section	.rodata,"a",@progbits
	.p2align	6, 0x0
	.amdhsa_kernel _ZN7rocprim17ROCPRIM_400000_NS6detail17trampoline_kernelINS0_14default_configENS1_38merge_sort_block_merge_config_selectorIiNS0_10empty_typeEEEZZNS1_27merge_sort_block_merge_implIS3_N6thrust23THRUST_200600_302600_NS6detail15normal_iteratorINS9_10device_ptrIiEEEEPS5_jNS1_19radix_merge_compareILb0ELb1EiNS0_19identity_decomposerEEEEE10hipError_tT0_T1_T2_jT3_P12ihipStream_tbPNSt15iterator_traitsISK_E10value_typeEPNSQ_ISL_E10value_typeEPSM_NS1_7vsmem_tEENKUlT_SK_SL_SM_E_clIPiSE_SF_SF_EESJ_SZ_SK_SL_SM_EUlSZ_E_NS1_11comp_targetILNS1_3genE4ELNS1_11target_archE910ELNS1_3gpuE8ELNS1_3repE0EEENS1_48merge_mergepath_partition_config_static_selectorELNS0_4arch9wavefront6targetE1EEEvSL_
		.amdhsa_group_segment_fixed_size 0
		.amdhsa_private_segment_fixed_size 0
		.amdhsa_kernarg_size 40
		.amdhsa_user_sgpr_count 2
		.amdhsa_user_sgpr_dispatch_ptr 0
		.amdhsa_user_sgpr_queue_ptr 0
		.amdhsa_user_sgpr_kernarg_segment_ptr 1
		.amdhsa_user_sgpr_dispatch_id 0
		.amdhsa_user_sgpr_kernarg_preload_length 0
		.amdhsa_user_sgpr_kernarg_preload_offset 0
		.amdhsa_user_sgpr_private_segment_size 0
		.amdhsa_uses_dynamic_stack 0
		.amdhsa_enable_private_segment 0
		.amdhsa_system_sgpr_workgroup_id_x 1
		.amdhsa_system_sgpr_workgroup_id_y 0
		.amdhsa_system_sgpr_workgroup_id_z 0
		.amdhsa_system_sgpr_workgroup_info 0
		.amdhsa_system_vgpr_workitem_id 0
		.amdhsa_next_free_vgpr 1
		.amdhsa_next_free_sgpr 0
		.amdhsa_accum_offset 4
		.amdhsa_reserve_vcc 0
		.amdhsa_float_round_mode_32 0
		.amdhsa_float_round_mode_16_64 0
		.amdhsa_float_denorm_mode_32 3
		.amdhsa_float_denorm_mode_16_64 3
		.amdhsa_dx10_clamp 1
		.amdhsa_ieee_mode 1
		.amdhsa_fp16_overflow 0
		.amdhsa_tg_split 0
		.amdhsa_exception_fp_ieee_invalid_op 0
		.amdhsa_exception_fp_denorm_src 0
		.amdhsa_exception_fp_ieee_div_zero 0
		.amdhsa_exception_fp_ieee_overflow 0
		.amdhsa_exception_fp_ieee_underflow 0
		.amdhsa_exception_fp_ieee_inexact 0
		.amdhsa_exception_int_div_zero 0
	.end_amdhsa_kernel
	.section	.text._ZN7rocprim17ROCPRIM_400000_NS6detail17trampoline_kernelINS0_14default_configENS1_38merge_sort_block_merge_config_selectorIiNS0_10empty_typeEEEZZNS1_27merge_sort_block_merge_implIS3_N6thrust23THRUST_200600_302600_NS6detail15normal_iteratorINS9_10device_ptrIiEEEEPS5_jNS1_19radix_merge_compareILb0ELb1EiNS0_19identity_decomposerEEEEE10hipError_tT0_T1_T2_jT3_P12ihipStream_tbPNSt15iterator_traitsISK_E10value_typeEPNSQ_ISL_E10value_typeEPSM_NS1_7vsmem_tEENKUlT_SK_SL_SM_E_clIPiSE_SF_SF_EESJ_SZ_SK_SL_SM_EUlSZ_E_NS1_11comp_targetILNS1_3genE4ELNS1_11target_archE910ELNS1_3gpuE8ELNS1_3repE0EEENS1_48merge_mergepath_partition_config_static_selectorELNS0_4arch9wavefront6targetE1EEEvSL_,"axG",@progbits,_ZN7rocprim17ROCPRIM_400000_NS6detail17trampoline_kernelINS0_14default_configENS1_38merge_sort_block_merge_config_selectorIiNS0_10empty_typeEEEZZNS1_27merge_sort_block_merge_implIS3_N6thrust23THRUST_200600_302600_NS6detail15normal_iteratorINS9_10device_ptrIiEEEEPS5_jNS1_19radix_merge_compareILb0ELb1EiNS0_19identity_decomposerEEEEE10hipError_tT0_T1_T2_jT3_P12ihipStream_tbPNSt15iterator_traitsISK_E10value_typeEPNSQ_ISL_E10value_typeEPSM_NS1_7vsmem_tEENKUlT_SK_SL_SM_E_clIPiSE_SF_SF_EESJ_SZ_SK_SL_SM_EUlSZ_E_NS1_11comp_targetILNS1_3genE4ELNS1_11target_archE910ELNS1_3gpuE8ELNS1_3repE0EEENS1_48merge_mergepath_partition_config_static_selectorELNS0_4arch9wavefront6targetE1EEEvSL_,comdat
.Lfunc_end1674:
	.size	_ZN7rocprim17ROCPRIM_400000_NS6detail17trampoline_kernelINS0_14default_configENS1_38merge_sort_block_merge_config_selectorIiNS0_10empty_typeEEEZZNS1_27merge_sort_block_merge_implIS3_N6thrust23THRUST_200600_302600_NS6detail15normal_iteratorINS9_10device_ptrIiEEEEPS5_jNS1_19radix_merge_compareILb0ELb1EiNS0_19identity_decomposerEEEEE10hipError_tT0_T1_T2_jT3_P12ihipStream_tbPNSt15iterator_traitsISK_E10value_typeEPNSQ_ISL_E10value_typeEPSM_NS1_7vsmem_tEENKUlT_SK_SL_SM_E_clIPiSE_SF_SF_EESJ_SZ_SK_SL_SM_EUlSZ_E_NS1_11comp_targetILNS1_3genE4ELNS1_11target_archE910ELNS1_3gpuE8ELNS1_3repE0EEENS1_48merge_mergepath_partition_config_static_selectorELNS0_4arch9wavefront6targetE1EEEvSL_, .Lfunc_end1674-_ZN7rocprim17ROCPRIM_400000_NS6detail17trampoline_kernelINS0_14default_configENS1_38merge_sort_block_merge_config_selectorIiNS0_10empty_typeEEEZZNS1_27merge_sort_block_merge_implIS3_N6thrust23THRUST_200600_302600_NS6detail15normal_iteratorINS9_10device_ptrIiEEEEPS5_jNS1_19radix_merge_compareILb0ELb1EiNS0_19identity_decomposerEEEEE10hipError_tT0_T1_T2_jT3_P12ihipStream_tbPNSt15iterator_traitsISK_E10value_typeEPNSQ_ISL_E10value_typeEPSM_NS1_7vsmem_tEENKUlT_SK_SL_SM_E_clIPiSE_SF_SF_EESJ_SZ_SK_SL_SM_EUlSZ_E_NS1_11comp_targetILNS1_3genE4ELNS1_11target_archE910ELNS1_3gpuE8ELNS1_3repE0EEENS1_48merge_mergepath_partition_config_static_selectorELNS0_4arch9wavefront6targetE1EEEvSL_
                                        ; -- End function
	.section	.AMDGPU.csdata,"",@progbits
; Kernel info:
; codeLenInByte = 0
; NumSgprs: 6
; NumVgprs: 0
; NumAgprs: 0
; TotalNumVgprs: 0
; ScratchSize: 0
; MemoryBound: 0
; FloatMode: 240
; IeeeMode: 1
; LDSByteSize: 0 bytes/workgroup (compile time only)
; SGPRBlocks: 0
; VGPRBlocks: 0
; NumSGPRsForWavesPerEU: 6
; NumVGPRsForWavesPerEU: 1
; AccumOffset: 4
; Occupancy: 8
; WaveLimiterHint : 0
; COMPUTE_PGM_RSRC2:SCRATCH_EN: 0
; COMPUTE_PGM_RSRC2:USER_SGPR: 2
; COMPUTE_PGM_RSRC2:TRAP_HANDLER: 0
; COMPUTE_PGM_RSRC2:TGID_X_EN: 1
; COMPUTE_PGM_RSRC2:TGID_Y_EN: 0
; COMPUTE_PGM_RSRC2:TGID_Z_EN: 0
; COMPUTE_PGM_RSRC2:TIDIG_COMP_CNT: 0
; COMPUTE_PGM_RSRC3_GFX90A:ACCUM_OFFSET: 0
; COMPUTE_PGM_RSRC3_GFX90A:TG_SPLIT: 0
	.section	.text._ZN7rocprim17ROCPRIM_400000_NS6detail17trampoline_kernelINS0_14default_configENS1_38merge_sort_block_merge_config_selectorIiNS0_10empty_typeEEEZZNS1_27merge_sort_block_merge_implIS3_N6thrust23THRUST_200600_302600_NS6detail15normal_iteratorINS9_10device_ptrIiEEEEPS5_jNS1_19radix_merge_compareILb0ELb1EiNS0_19identity_decomposerEEEEE10hipError_tT0_T1_T2_jT3_P12ihipStream_tbPNSt15iterator_traitsISK_E10value_typeEPNSQ_ISL_E10value_typeEPSM_NS1_7vsmem_tEENKUlT_SK_SL_SM_E_clIPiSE_SF_SF_EESJ_SZ_SK_SL_SM_EUlSZ_E_NS1_11comp_targetILNS1_3genE3ELNS1_11target_archE908ELNS1_3gpuE7ELNS1_3repE0EEENS1_48merge_mergepath_partition_config_static_selectorELNS0_4arch9wavefront6targetE1EEEvSL_,"axG",@progbits,_ZN7rocprim17ROCPRIM_400000_NS6detail17trampoline_kernelINS0_14default_configENS1_38merge_sort_block_merge_config_selectorIiNS0_10empty_typeEEEZZNS1_27merge_sort_block_merge_implIS3_N6thrust23THRUST_200600_302600_NS6detail15normal_iteratorINS9_10device_ptrIiEEEEPS5_jNS1_19radix_merge_compareILb0ELb1EiNS0_19identity_decomposerEEEEE10hipError_tT0_T1_T2_jT3_P12ihipStream_tbPNSt15iterator_traitsISK_E10value_typeEPNSQ_ISL_E10value_typeEPSM_NS1_7vsmem_tEENKUlT_SK_SL_SM_E_clIPiSE_SF_SF_EESJ_SZ_SK_SL_SM_EUlSZ_E_NS1_11comp_targetILNS1_3genE3ELNS1_11target_archE908ELNS1_3gpuE7ELNS1_3repE0EEENS1_48merge_mergepath_partition_config_static_selectorELNS0_4arch9wavefront6targetE1EEEvSL_,comdat
	.protected	_ZN7rocprim17ROCPRIM_400000_NS6detail17trampoline_kernelINS0_14default_configENS1_38merge_sort_block_merge_config_selectorIiNS0_10empty_typeEEEZZNS1_27merge_sort_block_merge_implIS3_N6thrust23THRUST_200600_302600_NS6detail15normal_iteratorINS9_10device_ptrIiEEEEPS5_jNS1_19radix_merge_compareILb0ELb1EiNS0_19identity_decomposerEEEEE10hipError_tT0_T1_T2_jT3_P12ihipStream_tbPNSt15iterator_traitsISK_E10value_typeEPNSQ_ISL_E10value_typeEPSM_NS1_7vsmem_tEENKUlT_SK_SL_SM_E_clIPiSE_SF_SF_EESJ_SZ_SK_SL_SM_EUlSZ_E_NS1_11comp_targetILNS1_3genE3ELNS1_11target_archE908ELNS1_3gpuE7ELNS1_3repE0EEENS1_48merge_mergepath_partition_config_static_selectorELNS0_4arch9wavefront6targetE1EEEvSL_ ; -- Begin function _ZN7rocprim17ROCPRIM_400000_NS6detail17trampoline_kernelINS0_14default_configENS1_38merge_sort_block_merge_config_selectorIiNS0_10empty_typeEEEZZNS1_27merge_sort_block_merge_implIS3_N6thrust23THRUST_200600_302600_NS6detail15normal_iteratorINS9_10device_ptrIiEEEEPS5_jNS1_19radix_merge_compareILb0ELb1EiNS0_19identity_decomposerEEEEE10hipError_tT0_T1_T2_jT3_P12ihipStream_tbPNSt15iterator_traitsISK_E10value_typeEPNSQ_ISL_E10value_typeEPSM_NS1_7vsmem_tEENKUlT_SK_SL_SM_E_clIPiSE_SF_SF_EESJ_SZ_SK_SL_SM_EUlSZ_E_NS1_11comp_targetILNS1_3genE3ELNS1_11target_archE908ELNS1_3gpuE7ELNS1_3repE0EEENS1_48merge_mergepath_partition_config_static_selectorELNS0_4arch9wavefront6targetE1EEEvSL_
	.globl	_ZN7rocprim17ROCPRIM_400000_NS6detail17trampoline_kernelINS0_14default_configENS1_38merge_sort_block_merge_config_selectorIiNS0_10empty_typeEEEZZNS1_27merge_sort_block_merge_implIS3_N6thrust23THRUST_200600_302600_NS6detail15normal_iteratorINS9_10device_ptrIiEEEEPS5_jNS1_19radix_merge_compareILb0ELb1EiNS0_19identity_decomposerEEEEE10hipError_tT0_T1_T2_jT3_P12ihipStream_tbPNSt15iterator_traitsISK_E10value_typeEPNSQ_ISL_E10value_typeEPSM_NS1_7vsmem_tEENKUlT_SK_SL_SM_E_clIPiSE_SF_SF_EESJ_SZ_SK_SL_SM_EUlSZ_E_NS1_11comp_targetILNS1_3genE3ELNS1_11target_archE908ELNS1_3gpuE7ELNS1_3repE0EEENS1_48merge_mergepath_partition_config_static_selectorELNS0_4arch9wavefront6targetE1EEEvSL_
	.p2align	8
	.type	_ZN7rocprim17ROCPRIM_400000_NS6detail17trampoline_kernelINS0_14default_configENS1_38merge_sort_block_merge_config_selectorIiNS0_10empty_typeEEEZZNS1_27merge_sort_block_merge_implIS3_N6thrust23THRUST_200600_302600_NS6detail15normal_iteratorINS9_10device_ptrIiEEEEPS5_jNS1_19radix_merge_compareILb0ELb1EiNS0_19identity_decomposerEEEEE10hipError_tT0_T1_T2_jT3_P12ihipStream_tbPNSt15iterator_traitsISK_E10value_typeEPNSQ_ISL_E10value_typeEPSM_NS1_7vsmem_tEENKUlT_SK_SL_SM_E_clIPiSE_SF_SF_EESJ_SZ_SK_SL_SM_EUlSZ_E_NS1_11comp_targetILNS1_3genE3ELNS1_11target_archE908ELNS1_3gpuE7ELNS1_3repE0EEENS1_48merge_mergepath_partition_config_static_selectorELNS0_4arch9wavefront6targetE1EEEvSL_,@function
_ZN7rocprim17ROCPRIM_400000_NS6detail17trampoline_kernelINS0_14default_configENS1_38merge_sort_block_merge_config_selectorIiNS0_10empty_typeEEEZZNS1_27merge_sort_block_merge_implIS3_N6thrust23THRUST_200600_302600_NS6detail15normal_iteratorINS9_10device_ptrIiEEEEPS5_jNS1_19radix_merge_compareILb0ELb1EiNS0_19identity_decomposerEEEEE10hipError_tT0_T1_T2_jT3_P12ihipStream_tbPNSt15iterator_traitsISK_E10value_typeEPNSQ_ISL_E10value_typeEPSM_NS1_7vsmem_tEENKUlT_SK_SL_SM_E_clIPiSE_SF_SF_EESJ_SZ_SK_SL_SM_EUlSZ_E_NS1_11comp_targetILNS1_3genE3ELNS1_11target_archE908ELNS1_3gpuE7ELNS1_3repE0EEENS1_48merge_mergepath_partition_config_static_selectorELNS0_4arch9wavefront6targetE1EEEvSL_: ; @_ZN7rocprim17ROCPRIM_400000_NS6detail17trampoline_kernelINS0_14default_configENS1_38merge_sort_block_merge_config_selectorIiNS0_10empty_typeEEEZZNS1_27merge_sort_block_merge_implIS3_N6thrust23THRUST_200600_302600_NS6detail15normal_iteratorINS9_10device_ptrIiEEEEPS5_jNS1_19radix_merge_compareILb0ELb1EiNS0_19identity_decomposerEEEEE10hipError_tT0_T1_T2_jT3_P12ihipStream_tbPNSt15iterator_traitsISK_E10value_typeEPNSQ_ISL_E10value_typeEPSM_NS1_7vsmem_tEENKUlT_SK_SL_SM_E_clIPiSE_SF_SF_EESJ_SZ_SK_SL_SM_EUlSZ_E_NS1_11comp_targetILNS1_3genE3ELNS1_11target_archE908ELNS1_3gpuE7ELNS1_3repE0EEENS1_48merge_mergepath_partition_config_static_selectorELNS0_4arch9wavefront6targetE1EEEvSL_
; %bb.0:
	.section	.rodata,"a",@progbits
	.p2align	6, 0x0
	.amdhsa_kernel _ZN7rocprim17ROCPRIM_400000_NS6detail17trampoline_kernelINS0_14default_configENS1_38merge_sort_block_merge_config_selectorIiNS0_10empty_typeEEEZZNS1_27merge_sort_block_merge_implIS3_N6thrust23THRUST_200600_302600_NS6detail15normal_iteratorINS9_10device_ptrIiEEEEPS5_jNS1_19radix_merge_compareILb0ELb1EiNS0_19identity_decomposerEEEEE10hipError_tT0_T1_T2_jT3_P12ihipStream_tbPNSt15iterator_traitsISK_E10value_typeEPNSQ_ISL_E10value_typeEPSM_NS1_7vsmem_tEENKUlT_SK_SL_SM_E_clIPiSE_SF_SF_EESJ_SZ_SK_SL_SM_EUlSZ_E_NS1_11comp_targetILNS1_3genE3ELNS1_11target_archE908ELNS1_3gpuE7ELNS1_3repE0EEENS1_48merge_mergepath_partition_config_static_selectorELNS0_4arch9wavefront6targetE1EEEvSL_
		.amdhsa_group_segment_fixed_size 0
		.amdhsa_private_segment_fixed_size 0
		.amdhsa_kernarg_size 40
		.amdhsa_user_sgpr_count 2
		.amdhsa_user_sgpr_dispatch_ptr 0
		.amdhsa_user_sgpr_queue_ptr 0
		.amdhsa_user_sgpr_kernarg_segment_ptr 1
		.amdhsa_user_sgpr_dispatch_id 0
		.amdhsa_user_sgpr_kernarg_preload_length 0
		.amdhsa_user_sgpr_kernarg_preload_offset 0
		.amdhsa_user_sgpr_private_segment_size 0
		.amdhsa_uses_dynamic_stack 0
		.amdhsa_enable_private_segment 0
		.amdhsa_system_sgpr_workgroup_id_x 1
		.amdhsa_system_sgpr_workgroup_id_y 0
		.amdhsa_system_sgpr_workgroup_id_z 0
		.amdhsa_system_sgpr_workgroup_info 0
		.amdhsa_system_vgpr_workitem_id 0
		.amdhsa_next_free_vgpr 1
		.amdhsa_next_free_sgpr 0
		.amdhsa_accum_offset 4
		.amdhsa_reserve_vcc 0
		.amdhsa_float_round_mode_32 0
		.amdhsa_float_round_mode_16_64 0
		.amdhsa_float_denorm_mode_32 3
		.amdhsa_float_denorm_mode_16_64 3
		.amdhsa_dx10_clamp 1
		.amdhsa_ieee_mode 1
		.amdhsa_fp16_overflow 0
		.amdhsa_tg_split 0
		.amdhsa_exception_fp_ieee_invalid_op 0
		.amdhsa_exception_fp_denorm_src 0
		.amdhsa_exception_fp_ieee_div_zero 0
		.amdhsa_exception_fp_ieee_overflow 0
		.amdhsa_exception_fp_ieee_underflow 0
		.amdhsa_exception_fp_ieee_inexact 0
		.amdhsa_exception_int_div_zero 0
	.end_amdhsa_kernel
	.section	.text._ZN7rocprim17ROCPRIM_400000_NS6detail17trampoline_kernelINS0_14default_configENS1_38merge_sort_block_merge_config_selectorIiNS0_10empty_typeEEEZZNS1_27merge_sort_block_merge_implIS3_N6thrust23THRUST_200600_302600_NS6detail15normal_iteratorINS9_10device_ptrIiEEEEPS5_jNS1_19radix_merge_compareILb0ELb1EiNS0_19identity_decomposerEEEEE10hipError_tT0_T1_T2_jT3_P12ihipStream_tbPNSt15iterator_traitsISK_E10value_typeEPNSQ_ISL_E10value_typeEPSM_NS1_7vsmem_tEENKUlT_SK_SL_SM_E_clIPiSE_SF_SF_EESJ_SZ_SK_SL_SM_EUlSZ_E_NS1_11comp_targetILNS1_3genE3ELNS1_11target_archE908ELNS1_3gpuE7ELNS1_3repE0EEENS1_48merge_mergepath_partition_config_static_selectorELNS0_4arch9wavefront6targetE1EEEvSL_,"axG",@progbits,_ZN7rocprim17ROCPRIM_400000_NS6detail17trampoline_kernelINS0_14default_configENS1_38merge_sort_block_merge_config_selectorIiNS0_10empty_typeEEEZZNS1_27merge_sort_block_merge_implIS3_N6thrust23THRUST_200600_302600_NS6detail15normal_iteratorINS9_10device_ptrIiEEEEPS5_jNS1_19radix_merge_compareILb0ELb1EiNS0_19identity_decomposerEEEEE10hipError_tT0_T1_T2_jT3_P12ihipStream_tbPNSt15iterator_traitsISK_E10value_typeEPNSQ_ISL_E10value_typeEPSM_NS1_7vsmem_tEENKUlT_SK_SL_SM_E_clIPiSE_SF_SF_EESJ_SZ_SK_SL_SM_EUlSZ_E_NS1_11comp_targetILNS1_3genE3ELNS1_11target_archE908ELNS1_3gpuE7ELNS1_3repE0EEENS1_48merge_mergepath_partition_config_static_selectorELNS0_4arch9wavefront6targetE1EEEvSL_,comdat
.Lfunc_end1675:
	.size	_ZN7rocprim17ROCPRIM_400000_NS6detail17trampoline_kernelINS0_14default_configENS1_38merge_sort_block_merge_config_selectorIiNS0_10empty_typeEEEZZNS1_27merge_sort_block_merge_implIS3_N6thrust23THRUST_200600_302600_NS6detail15normal_iteratorINS9_10device_ptrIiEEEEPS5_jNS1_19radix_merge_compareILb0ELb1EiNS0_19identity_decomposerEEEEE10hipError_tT0_T1_T2_jT3_P12ihipStream_tbPNSt15iterator_traitsISK_E10value_typeEPNSQ_ISL_E10value_typeEPSM_NS1_7vsmem_tEENKUlT_SK_SL_SM_E_clIPiSE_SF_SF_EESJ_SZ_SK_SL_SM_EUlSZ_E_NS1_11comp_targetILNS1_3genE3ELNS1_11target_archE908ELNS1_3gpuE7ELNS1_3repE0EEENS1_48merge_mergepath_partition_config_static_selectorELNS0_4arch9wavefront6targetE1EEEvSL_, .Lfunc_end1675-_ZN7rocprim17ROCPRIM_400000_NS6detail17trampoline_kernelINS0_14default_configENS1_38merge_sort_block_merge_config_selectorIiNS0_10empty_typeEEEZZNS1_27merge_sort_block_merge_implIS3_N6thrust23THRUST_200600_302600_NS6detail15normal_iteratorINS9_10device_ptrIiEEEEPS5_jNS1_19radix_merge_compareILb0ELb1EiNS0_19identity_decomposerEEEEE10hipError_tT0_T1_T2_jT3_P12ihipStream_tbPNSt15iterator_traitsISK_E10value_typeEPNSQ_ISL_E10value_typeEPSM_NS1_7vsmem_tEENKUlT_SK_SL_SM_E_clIPiSE_SF_SF_EESJ_SZ_SK_SL_SM_EUlSZ_E_NS1_11comp_targetILNS1_3genE3ELNS1_11target_archE908ELNS1_3gpuE7ELNS1_3repE0EEENS1_48merge_mergepath_partition_config_static_selectorELNS0_4arch9wavefront6targetE1EEEvSL_
                                        ; -- End function
	.section	.AMDGPU.csdata,"",@progbits
; Kernel info:
; codeLenInByte = 0
; NumSgprs: 6
; NumVgprs: 0
; NumAgprs: 0
; TotalNumVgprs: 0
; ScratchSize: 0
; MemoryBound: 0
; FloatMode: 240
; IeeeMode: 1
; LDSByteSize: 0 bytes/workgroup (compile time only)
; SGPRBlocks: 0
; VGPRBlocks: 0
; NumSGPRsForWavesPerEU: 6
; NumVGPRsForWavesPerEU: 1
; AccumOffset: 4
; Occupancy: 8
; WaveLimiterHint : 0
; COMPUTE_PGM_RSRC2:SCRATCH_EN: 0
; COMPUTE_PGM_RSRC2:USER_SGPR: 2
; COMPUTE_PGM_RSRC2:TRAP_HANDLER: 0
; COMPUTE_PGM_RSRC2:TGID_X_EN: 1
; COMPUTE_PGM_RSRC2:TGID_Y_EN: 0
; COMPUTE_PGM_RSRC2:TGID_Z_EN: 0
; COMPUTE_PGM_RSRC2:TIDIG_COMP_CNT: 0
; COMPUTE_PGM_RSRC3_GFX90A:ACCUM_OFFSET: 0
; COMPUTE_PGM_RSRC3_GFX90A:TG_SPLIT: 0
	.section	.text._ZN7rocprim17ROCPRIM_400000_NS6detail17trampoline_kernelINS0_14default_configENS1_38merge_sort_block_merge_config_selectorIiNS0_10empty_typeEEEZZNS1_27merge_sort_block_merge_implIS3_N6thrust23THRUST_200600_302600_NS6detail15normal_iteratorINS9_10device_ptrIiEEEEPS5_jNS1_19radix_merge_compareILb0ELb1EiNS0_19identity_decomposerEEEEE10hipError_tT0_T1_T2_jT3_P12ihipStream_tbPNSt15iterator_traitsISK_E10value_typeEPNSQ_ISL_E10value_typeEPSM_NS1_7vsmem_tEENKUlT_SK_SL_SM_E_clIPiSE_SF_SF_EESJ_SZ_SK_SL_SM_EUlSZ_E_NS1_11comp_targetILNS1_3genE2ELNS1_11target_archE906ELNS1_3gpuE6ELNS1_3repE0EEENS1_48merge_mergepath_partition_config_static_selectorELNS0_4arch9wavefront6targetE1EEEvSL_,"axG",@progbits,_ZN7rocprim17ROCPRIM_400000_NS6detail17trampoline_kernelINS0_14default_configENS1_38merge_sort_block_merge_config_selectorIiNS0_10empty_typeEEEZZNS1_27merge_sort_block_merge_implIS3_N6thrust23THRUST_200600_302600_NS6detail15normal_iteratorINS9_10device_ptrIiEEEEPS5_jNS1_19radix_merge_compareILb0ELb1EiNS0_19identity_decomposerEEEEE10hipError_tT0_T1_T2_jT3_P12ihipStream_tbPNSt15iterator_traitsISK_E10value_typeEPNSQ_ISL_E10value_typeEPSM_NS1_7vsmem_tEENKUlT_SK_SL_SM_E_clIPiSE_SF_SF_EESJ_SZ_SK_SL_SM_EUlSZ_E_NS1_11comp_targetILNS1_3genE2ELNS1_11target_archE906ELNS1_3gpuE6ELNS1_3repE0EEENS1_48merge_mergepath_partition_config_static_selectorELNS0_4arch9wavefront6targetE1EEEvSL_,comdat
	.protected	_ZN7rocprim17ROCPRIM_400000_NS6detail17trampoline_kernelINS0_14default_configENS1_38merge_sort_block_merge_config_selectorIiNS0_10empty_typeEEEZZNS1_27merge_sort_block_merge_implIS3_N6thrust23THRUST_200600_302600_NS6detail15normal_iteratorINS9_10device_ptrIiEEEEPS5_jNS1_19radix_merge_compareILb0ELb1EiNS0_19identity_decomposerEEEEE10hipError_tT0_T1_T2_jT3_P12ihipStream_tbPNSt15iterator_traitsISK_E10value_typeEPNSQ_ISL_E10value_typeEPSM_NS1_7vsmem_tEENKUlT_SK_SL_SM_E_clIPiSE_SF_SF_EESJ_SZ_SK_SL_SM_EUlSZ_E_NS1_11comp_targetILNS1_3genE2ELNS1_11target_archE906ELNS1_3gpuE6ELNS1_3repE0EEENS1_48merge_mergepath_partition_config_static_selectorELNS0_4arch9wavefront6targetE1EEEvSL_ ; -- Begin function _ZN7rocprim17ROCPRIM_400000_NS6detail17trampoline_kernelINS0_14default_configENS1_38merge_sort_block_merge_config_selectorIiNS0_10empty_typeEEEZZNS1_27merge_sort_block_merge_implIS3_N6thrust23THRUST_200600_302600_NS6detail15normal_iteratorINS9_10device_ptrIiEEEEPS5_jNS1_19radix_merge_compareILb0ELb1EiNS0_19identity_decomposerEEEEE10hipError_tT0_T1_T2_jT3_P12ihipStream_tbPNSt15iterator_traitsISK_E10value_typeEPNSQ_ISL_E10value_typeEPSM_NS1_7vsmem_tEENKUlT_SK_SL_SM_E_clIPiSE_SF_SF_EESJ_SZ_SK_SL_SM_EUlSZ_E_NS1_11comp_targetILNS1_3genE2ELNS1_11target_archE906ELNS1_3gpuE6ELNS1_3repE0EEENS1_48merge_mergepath_partition_config_static_selectorELNS0_4arch9wavefront6targetE1EEEvSL_
	.globl	_ZN7rocprim17ROCPRIM_400000_NS6detail17trampoline_kernelINS0_14default_configENS1_38merge_sort_block_merge_config_selectorIiNS0_10empty_typeEEEZZNS1_27merge_sort_block_merge_implIS3_N6thrust23THRUST_200600_302600_NS6detail15normal_iteratorINS9_10device_ptrIiEEEEPS5_jNS1_19radix_merge_compareILb0ELb1EiNS0_19identity_decomposerEEEEE10hipError_tT0_T1_T2_jT3_P12ihipStream_tbPNSt15iterator_traitsISK_E10value_typeEPNSQ_ISL_E10value_typeEPSM_NS1_7vsmem_tEENKUlT_SK_SL_SM_E_clIPiSE_SF_SF_EESJ_SZ_SK_SL_SM_EUlSZ_E_NS1_11comp_targetILNS1_3genE2ELNS1_11target_archE906ELNS1_3gpuE6ELNS1_3repE0EEENS1_48merge_mergepath_partition_config_static_selectorELNS0_4arch9wavefront6targetE1EEEvSL_
	.p2align	8
	.type	_ZN7rocprim17ROCPRIM_400000_NS6detail17trampoline_kernelINS0_14default_configENS1_38merge_sort_block_merge_config_selectorIiNS0_10empty_typeEEEZZNS1_27merge_sort_block_merge_implIS3_N6thrust23THRUST_200600_302600_NS6detail15normal_iteratorINS9_10device_ptrIiEEEEPS5_jNS1_19radix_merge_compareILb0ELb1EiNS0_19identity_decomposerEEEEE10hipError_tT0_T1_T2_jT3_P12ihipStream_tbPNSt15iterator_traitsISK_E10value_typeEPNSQ_ISL_E10value_typeEPSM_NS1_7vsmem_tEENKUlT_SK_SL_SM_E_clIPiSE_SF_SF_EESJ_SZ_SK_SL_SM_EUlSZ_E_NS1_11comp_targetILNS1_3genE2ELNS1_11target_archE906ELNS1_3gpuE6ELNS1_3repE0EEENS1_48merge_mergepath_partition_config_static_selectorELNS0_4arch9wavefront6targetE1EEEvSL_,@function
_ZN7rocprim17ROCPRIM_400000_NS6detail17trampoline_kernelINS0_14default_configENS1_38merge_sort_block_merge_config_selectorIiNS0_10empty_typeEEEZZNS1_27merge_sort_block_merge_implIS3_N6thrust23THRUST_200600_302600_NS6detail15normal_iteratorINS9_10device_ptrIiEEEEPS5_jNS1_19radix_merge_compareILb0ELb1EiNS0_19identity_decomposerEEEEE10hipError_tT0_T1_T2_jT3_P12ihipStream_tbPNSt15iterator_traitsISK_E10value_typeEPNSQ_ISL_E10value_typeEPSM_NS1_7vsmem_tEENKUlT_SK_SL_SM_E_clIPiSE_SF_SF_EESJ_SZ_SK_SL_SM_EUlSZ_E_NS1_11comp_targetILNS1_3genE2ELNS1_11target_archE906ELNS1_3gpuE6ELNS1_3repE0EEENS1_48merge_mergepath_partition_config_static_selectorELNS0_4arch9wavefront6targetE1EEEvSL_: ; @_ZN7rocprim17ROCPRIM_400000_NS6detail17trampoline_kernelINS0_14default_configENS1_38merge_sort_block_merge_config_selectorIiNS0_10empty_typeEEEZZNS1_27merge_sort_block_merge_implIS3_N6thrust23THRUST_200600_302600_NS6detail15normal_iteratorINS9_10device_ptrIiEEEEPS5_jNS1_19radix_merge_compareILb0ELb1EiNS0_19identity_decomposerEEEEE10hipError_tT0_T1_T2_jT3_P12ihipStream_tbPNSt15iterator_traitsISK_E10value_typeEPNSQ_ISL_E10value_typeEPSM_NS1_7vsmem_tEENKUlT_SK_SL_SM_E_clIPiSE_SF_SF_EESJ_SZ_SK_SL_SM_EUlSZ_E_NS1_11comp_targetILNS1_3genE2ELNS1_11target_archE906ELNS1_3gpuE6ELNS1_3repE0EEENS1_48merge_mergepath_partition_config_static_selectorELNS0_4arch9wavefront6targetE1EEEvSL_
; %bb.0:
	.section	.rodata,"a",@progbits
	.p2align	6, 0x0
	.amdhsa_kernel _ZN7rocprim17ROCPRIM_400000_NS6detail17trampoline_kernelINS0_14default_configENS1_38merge_sort_block_merge_config_selectorIiNS0_10empty_typeEEEZZNS1_27merge_sort_block_merge_implIS3_N6thrust23THRUST_200600_302600_NS6detail15normal_iteratorINS9_10device_ptrIiEEEEPS5_jNS1_19radix_merge_compareILb0ELb1EiNS0_19identity_decomposerEEEEE10hipError_tT0_T1_T2_jT3_P12ihipStream_tbPNSt15iterator_traitsISK_E10value_typeEPNSQ_ISL_E10value_typeEPSM_NS1_7vsmem_tEENKUlT_SK_SL_SM_E_clIPiSE_SF_SF_EESJ_SZ_SK_SL_SM_EUlSZ_E_NS1_11comp_targetILNS1_3genE2ELNS1_11target_archE906ELNS1_3gpuE6ELNS1_3repE0EEENS1_48merge_mergepath_partition_config_static_selectorELNS0_4arch9wavefront6targetE1EEEvSL_
		.amdhsa_group_segment_fixed_size 0
		.amdhsa_private_segment_fixed_size 0
		.amdhsa_kernarg_size 40
		.amdhsa_user_sgpr_count 2
		.amdhsa_user_sgpr_dispatch_ptr 0
		.amdhsa_user_sgpr_queue_ptr 0
		.amdhsa_user_sgpr_kernarg_segment_ptr 1
		.amdhsa_user_sgpr_dispatch_id 0
		.amdhsa_user_sgpr_kernarg_preload_length 0
		.amdhsa_user_sgpr_kernarg_preload_offset 0
		.amdhsa_user_sgpr_private_segment_size 0
		.amdhsa_uses_dynamic_stack 0
		.amdhsa_enable_private_segment 0
		.amdhsa_system_sgpr_workgroup_id_x 1
		.amdhsa_system_sgpr_workgroup_id_y 0
		.amdhsa_system_sgpr_workgroup_id_z 0
		.amdhsa_system_sgpr_workgroup_info 0
		.amdhsa_system_vgpr_workitem_id 0
		.amdhsa_next_free_vgpr 1
		.amdhsa_next_free_sgpr 0
		.amdhsa_accum_offset 4
		.amdhsa_reserve_vcc 0
		.amdhsa_float_round_mode_32 0
		.amdhsa_float_round_mode_16_64 0
		.amdhsa_float_denorm_mode_32 3
		.amdhsa_float_denorm_mode_16_64 3
		.amdhsa_dx10_clamp 1
		.amdhsa_ieee_mode 1
		.amdhsa_fp16_overflow 0
		.amdhsa_tg_split 0
		.amdhsa_exception_fp_ieee_invalid_op 0
		.amdhsa_exception_fp_denorm_src 0
		.amdhsa_exception_fp_ieee_div_zero 0
		.amdhsa_exception_fp_ieee_overflow 0
		.amdhsa_exception_fp_ieee_underflow 0
		.amdhsa_exception_fp_ieee_inexact 0
		.amdhsa_exception_int_div_zero 0
	.end_amdhsa_kernel
	.section	.text._ZN7rocprim17ROCPRIM_400000_NS6detail17trampoline_kernelINS0_14default_configENS1_38merge_sort_block_merge_config_selectorIiNS0_10empty_typeEEEZZNS1_27merge_sort_block_merge_implIS3_N6thrust23THRUST_200600_302600_NS6detail15normal_iteratorINS9_10device_ptrIiEEEEPS5_jNS1_19radix_merge_compareILb0ELb1EiNS0_19identity_decomposerEEEEE10hipError_tT0_T1_T2_jT3_P12ihipStream_tbPNSt15iterator_traitsISK_E10value_typeEPNSQ_ISL_E10value_typeEPSM_NS1_7vsmem_tEENKUlT_SK_SL_SM_E_clIPiSE_SF_SF_EESJ_SZ_SK_SL_SM_EUlSZ_E_NS1_11comp_targetILNS1_3genE2ELNS1_11target_archE906ELNS1_3gpuE6ELNS1_3repE0EEENS1_48merge_mergepath_partition_config_static_selectorELNS0_4arch9wavefront6targetE1EEEvSL_,"axG",@progbits,_ZN7rocprim17ROCPRIM_400000_NS6detail17trampoline_kernelINS0_14default_configENS1_38merge_sort_block_merge_config_selectorIiNS0_10empty_typeEEEZZNS1_27merge_sort_block_merge_implIS3_N6thrust23THRUST_200600_302600_NS6detail15normal_iteratorINS9_10device_ptrIiEEEEPS5_jNS1_19radix_merge_compareILb0ELb1EiNS0_19identity_decomposerEEEEE10hipError_tT0_T1_T2_jT3_P12ihipStream_tbPNSt15iterator_traitsISK_E10value_typeEPNSQ_ISL_E10value_typeEPSM_NS1_7vsmem_tEENKUlT_SK_SL_SM_E_clIPiSE_SF_SF_EESJ_SZ_SK_SL_SM_EUlSZ_E_NS1_11comp_targetILNS1_3genE2ELNS1_11target_archE906ELNS1_3gpuE6ELNS1_3repE0EEENS1_48merge_mergepath_partition_config_static_selectorELNS0_4arch9wavefront6targetE1EEEvSL_,comdat
.Lfunc_end1676:
	.size	_ZN7rocprim17ROCPRIM_400000_NS6detail17trampoline_kernelINS0_14default_configENS1_38merge_sort_block_merge_config_selectorIiNS0_10empty_typeEEEZZNS1_27merge_sort_block_merge_implIS3_N6thrust23THRUST_200600_302600_NS6detail15normal_iteratorINS9_10device_ptrIiEEEEPS5_jNS1_19radix_merge_compareILb0ELb1EiNS0_19identity_decomposerEEEEE10hipError_tT0_T1_T2_jT3_P12ihipStream_tbPNSt15iterator_traitsISK_E10value_typeEPNSQ_ISL_E10value_typeEPSM_NS1_7vsmem_tEENKUlT_SK_SL_SM_E_clIPiSE_SF_SF_EESJ_SZ_SK_SL_SM_EUlSZ_E_NS1_11comp_targetILNS1_3genE2ELNS1_11target_archE906ELNS1_3gpuE6ELNS1_3repE0EEENS1_48merge_mergepath_partition_config_static_selectorELNS0_4arch9wavefront6targetE1EEEvSL_, .Lfunc_end1676-_ZN7rocprim17ROCPRIM_400000_NS6detail17trampoline_kernelINS0_14default_configENS1_38merge_sort_block_merge_config_selectorIiNS0_10empty_typeEEEZZNS1_27merge_sort_block_merge_implIS3_N6thrust23THRUST_200600_302600_NS6detail15normal_iteratorINS9_10device_ptrIiEEEEPS5_jNS1_19radix_merge_compareILb0ELb1EiNS0_19identity_decomposerEEEEE10hipError_tT0_T1_T2_jT3_P12ihipStream_tbPNSt15iterator_traitsISK_E10value_typeEPNSQ_ISL_E10value_typeEPSM_NS1_7vsmem_tEENKUlT_SK_SL_SM_E_clIPiSE_SF_SF_EESJ_SZ_SK_SL_SM_EUlSZ_E_NS1_11comp_targetILNS1_3genE2ELNS1_11target_archE906ELNS1_3gpuE6ELNS1_3repE0EEENS1_48merge_mergepath_partition_config_static_selectorELNS0_4arch9wavefront6targetE1EEEvSL_
                                        ; -- End function
	.section	.AMDGPU.csdata,"",@progbits
; Kernel info:
; codeLenInByte = 0
; NumSgprs: 6
; NumVgprs: 0
; NumAgprs: 0
; TotalNumVgprs: 0
; ScratchSize: 0
; MemoryBound: 0
; FloatMode: 240
; IeeeMode: 1
; LDSByteSize: 0 bytes/workgroup (compile time only)
; SGPRBlocks: 0
; VGPRBlocks: 0
; NumSGPRsForWavesPerEU: 6
; NumVGPRsForWavesPerEU: 1
; AccumOffset: 4
; Occupancy: 8
; WaveLimiterHint : 0
; COMPUTE_PGM_RSRC2:SCRATCH_EN: 0
; COMPUTE_PGM_RSRC2:USER_SGPR: 2
; COMPUTE_PGM_RSRC2:TRAP_HANDLER: 0
; COMPUTE_PGM_RSRC2:TGID_X_EN: 1
; COMPUTE_PGM_RSRC2:TGID_Y_EN: 0
; COMPUTE_PGM_RSRC2:TGID_Z_EN: 0
; COMPUTE_PGM_RSRC2:TIDIG_COMP_CNT: 0
; COMPUTE_PGM_RSRC3_GFX90A:ACCUM_OFFSET: 0
; COMPUTE_PGM_RSRC3_GFX90A:TG_SPLIT: 0
	.section	.text._ZN7rocprim17ROCPRIM_400000_NS6detail17trampoline_kernelINS0_14default_configENS1_38merge_sort_block_merge_config_selectorIiNS0_10empty_typeEEEZZNS1_27merge_sort_block_merge_implIS3_N6thrust23THRUST_200600_302600_NS6detail15normal_iteratorINS9_10device_ptrIiEEEEPS5_jNS1_19radix_merge_compareILb0ELb1EiNS0_19identity_decomposerEEEEE10hipError_tT0_T1_T2_jT3_P12ihipStream_tbPNSt15iterator_traitsISK_E10value_typeEPNSQ_ISL_E10value_typeEPSM_NS1_7vsmem_tEENKUlT_SK_SL_SM_E_clIPiSE_SF_SF_EESJ_SZ_SK_SL_SM_EUlSZ_E_NS1_11comp_targetILNS1_3genE9ELNS1_11target_archE1100ELNS1_3gpuE3ELNS1_3repE0EEENS1_48merge_mergepath_partition_config_static_selectorELNS0_4arch9wavefront6targetE1EEEvSL_,"axG",@progbits,_ZN7rocprim17ROCPRIM_400000_NS6detail17trampoline_kernelINS0_14default_configENS1_38merge_sort_block_merge_config_selectorIiNS0_10empty_typeEEEZZNS1_27merge_sort_block_merge_implIS3_N6thrust23THRUST_200600_302600_NS6detail15normal_iteratorINS9_10device_ptrIiEEEEPS5_jNS1_19radix_merge_compareILb0ELb1EiNS0_19identity_decomposerEEEEE10hipError_tT0_T1_T2_jT3_P12ihipStream_tbPNSt15iterator_traitsISK_E10value_typeEPNSQ_ISL_E10value_typeEPSM_NS1_7vsmem_tEENKUlT_SK_SL_SM_E_clIPiSE_SF_SF_EESJ_SZ_SK_SL_SM_EUlSZ_E_NS1_11comp_targetILNS1_3genE9ELNS1_11target_archE1100ELNS1_3gpuE3ELNS1_3repE0EEENS1_48merge_mergepath_partition_config_static_selectorELNS0_4arch9wavefront6targetE1EEEvSL_,comdat
	.protected	_ZN7rocprim17ROCPRIM_400000_NS6detail17trampoline_kernelINS0_14default_configENS1_38merge_sort_block_merge_config_selectorIiNS0_10empty_typeEEEZZNS1_27merge_sort_block_merge_implIS3_N6thrust23THRUST_200600_302600_NS6detail15normal_iteratorINS9_10device_ptrIiEEEEPS5_jNS1_19radix_merge_compareILb0ELb1EiNS0_19identity_decomposerEEEEE10hipError_tT0_T1_T2_jT3_P12ihipStream_tbPNSt15iterator_traitsISK_E10value_typeEPNSQ_ISL_E10value_typeEPSM_NS1_7vsmem_tEENKUlT_SK_SL_SM_E_clIPiSE_SF_SF_EESJ_SZ_SK_SL_SM_EUlSZ_E_NS1_11comp_targetILNS1_3genE9ELNS1_11target_archE1100ELNS1_3gpuE3ELNS1_3repE0EEENS1_48merge_mergepath_partition_config_static_selectorELNS0_4arch9wavefront6targetE1EEEvSL_ ; -- Begin function _ZN7rocprim17ROCPRIM_400000_NS6detail17trampoline_kernelINS0_14default_configENS1_38merge_sort_block_merge_config_selectorIiNS0_10empty_typeEEEZZNS1_27merge_sort_block_merge_implIS3_N6thrust23THRUST_200600_302600_NS6detail15normal_iteratorINS9_10device_ptrIiEEEEPS5_jNS1_19radix_merge_compareILb0ELb1EiNS0_19identity_decomposerEEEEE10hipError_tT0_T1_T2_jT3_P12ihipStream_tbPNSt15iterator_traitsISK_E10value_typeEPNSQ_ISL_E10value_typeEPSM_NS1_7vsmem_tEENKUlT_SK_SL_SM_E_clIPiSE_SF_SF_EESJ_SZ_SK_SL_SM_EUlSZ_E_NS1_11comp_targetILNS1_3genE9ELNS1_11target_archE1100ELNS1_3gpuE3ELNS1_3repE0EEENS1_48merge_mergepath_partition_config_static_selectorELNS0_4arch9wavefront6targetE1EEEvSL_
	.globl	_ZN7rocprim17ROCPRIM_400000_NS6detail17trampoline_kernelINS0_14default_configENS1_38merge_sort_block_merge_config_selectorIiNS0_10empty_typeEEEZZNS1_27merge_sort_block_merge_implIS3_N6thrust23THRUST_200600_302600_NS6detail15normal_iteratorINS9_10device_ptrIiEEEEPS5_jNS1_19radix_merge_compareILb0ELb1EiNS0_19identity_decomposerEEEEE10hipError_tT0_T1_T2_jT3_P12ihipStream_tbPNSt15iterator_traitsISK_E10value_typeEPNSQ_ISL_E10value_typeEPSM_NS1_7vsmem_tEENKUlT_SK_SL_SM_E_clIPiSE_SF_SF_EESJ_SZ_SK_SL_SM_EUlSZ_E_NS1_11comp_targetILNS1_3genE9ELNS1_11target_archE1100ELNS1_3gpuE3ELNS1_3repE0EEENS1_48merge_mergepath_partition_config_static_selectorELNS0_4arch9wavefront6targetE1EEEvSL_
	.p2align	8
	.type	_ZN7rocprim17ROCPRIM_400000_NS6detail17trampoline_kernelINS0_14default_configENS1_38merge_sort_block_merge_config_selectorIiNS0_10empty_typeEEEZZNS1_27merge_sort_block_merge_implIS3_N6thrust23THRUST_200600_302600_NS6detail15normal_iteratorINS9_10device_ptrIiEEEEPS5_jNS1_19radix_merge_compareILb0ELb1EiNS0_19identity_decomposerEEEEE10hipError_tT0_T1_T2_jT3_P12ihipStream_tbPNSt15iterator_traitsISK_E10value_typeEPNSQ_ISL_E10value_typeEPSM_NS1_7vsmem_tEENKUlT_SK_SL_SM_E_clIPiSE_SF_SF_EESJ_SZ_SK_SL_SM_EUlSZ_E_NS1_11comp_targetILNS1_3genE9ELNS1_11target_archE1100ELNS1_3gpuE3ELNS1_3repE0EEENS1_48merge_mergepath_partition_config_static_selectorELNS0_4arch9wavefront6targetE1EEEvSL_,@function
_ZN7rocprim17ROCPRIM_400000_NS6detail17trampoline_kernelINS0_14default_configENS1_38merge_sort_block_merge_config_selectorIiNS0_10empty_typeEEEZZNS1_27merge_sort_block_merge_implIS3_N6thrust23THRUST_200600_302600_NS6detail15normal_iteratorINS9_10device_ptrIiEEEEPS5_jNS1_19radix_merge_compareILb0ELb1EiNS0_19identity_decomposerEEEEE10hipError_tT0_T1_T2_jT3_P12ihipStream_tbPNSt15iterator_traitsISK_E10value_typeEPNSQ_ISL_E10value_typeEPSM_NS1_7vsmem_tEENKUlT_SK_SL_SM_E_clIPiSE_SF_SF_EESJ_SZ_SK_SL_SM_EUlSZ_E_NS1_11comp_targetILNS1_3genE9ELNS1_11target_archE1100ELNS1_3gpuE3ELNS1_3repE0EEENS1_48merge_mergepath_partition_config_static_selectorELNS0_4arch9wavefront6targetE1EEEvSL_: ; @_ZN7rocprim17ROCPRIM_400000_NS6detail17trampoline_kernelINS0_14default_configENS1_38merge_sort_block_merge_config_selectorIiNS0_10empty_typeEEEZZNS1_27merge_sort_block_merge_implIS3_N6thrust23THRUST_200600_302600_NS6detail15normal_iteratorINS9_10device_ptrIiEEEEPS5_jNS1_19radix_merge_compareILb0ELb1EiNS0_19identity_decomposerEEEEE10hipError_tT0_T1_T2_jT3_P12ihipStream_tbPNSt15iterator_traitsISK_E10value_typeEPNSQ_ISL_E10value_typeEPSM_NS1_7vsmem_tEENKUlT_SK_SL_SM_E_clIPiSE_SF_SF_EESJ_SZ_SK_SL_SM_EUlSZ_E_NS1_11comp_targetILNS1_3genE9ELNS1_11target_archE1100ELNS1_3gpuE3ELNS1_3repE0EEENS1_48merge_mergepath_partition_config_static_selectorELNS0_4arch9wavefront6targetE1EEEvSL_
; %bb.0:
	.section	.rodata,"a",@progbits
	.p2align	6, 0x0
	.amdhsa_kernel _ZN7rocprim17ROCPRIM_400000_NS6detail17trampoline_kernelINS0_14default_configENS1_38merge_sort_block_merge_config_selectorIiNS0_10empty_typeEEEZZNS1_27merge_sort_block_merge_implIS3_N6thrust23THRUST_200600_302600_NS6detail15normal_iteratorINS9_10device_ptrIiEEEEPS5_jNS1_19radix_merge_compareILb0ELb1EiNS0_19identity_decomposerEEEEE10hipError_tT0_T1_T2_jT3_P12ihipStream_tbPNSt15iterator_traitsISK_E10value_typeEPNSQ_ISL_E10value_typeEPSM_NS1_7vsmem_tEENKUlT_SK_SL_SM_E_clIPiSE_SF_SF_EESJ_SZ_SK_SL_SM_EUlSZ_E_NS1_11comp_targetILNS1_3genE9ELNS1_11target_archE1100ELNS1_3gpuE3ELNS1_3repE0EEENS1_48merge_mergepath_partition_config_static_selectorELNS0_4arch9wavefront6targetE1EEEvSL_
		.amdhsa_group_segment_fixed_size 0
		.amdhsa_private_segment_fixed_size 0
		.amdhsa_kernarg_size 40
		.amdhsa_user_sgpr_count 2
		.amdhsa_user_sgpr_dispatch_ptr 0
		.amdhsa_user_sgpr_queue_ptr 0
		.amdhsa_user_sgpr_kernarg_segment_ptr 1
		.amdhsa_user_sgpr_dispatch_id 0
		.amdhsa_user_sgpr_kernarg_preload_length 0
		.amdhsa_user_sgpr_kernarg_preload_offset 0
		.amdhsa_user_sgpr_private_segment_size 0
		.amdhsa_uses_dynamic_stack 0
		.amdhsa_enable_private_segment 0
		.amdhsa_system_sgpr_workgroup_id_x 1
		.amdhsa_system_sgpr_workgroup_id_y 0
		.amdhsa_system_sgpr_workgroup_id_z 0
		.amdhsa_system_sgpr_workgroup_info 0
		.amdhsa_system_vgpr_workitem_id 0
		.amdhsa_next_free_vgpr 1
		.amdhsa_next_free_sgpr 0
		.amdhsa_accum_offset 4
		.amdhsa_reserve_vcc 0
		.amdhsa_float_round_mode_32 0
		.amdhsa_float_round_mode_16_64 0
		.amdhsa_float_denorm_mode_32 3
		.amdhsa_float_denorm_mode_16_64 3
		.amdhsa_dx10_clamp 1
		.amdhsa_ieee_mode 1
		.amdhsa_fp16_overflow 0
		.amdhsa_tg_split 0
		.amdhsa_exception_fp_ieee_invalid_op 0
		.amdhsa_exception_fp_denorm_src 0
		.amdhsa_exception_fp_ieee_div_zero 0
		.amdhsa_exception_fp_ieee_overflow 0
		.amdhsa_exception_fp_ieee_underflow 0
		.amdhsa_exception_fp_ieee_inexact 0
		.amdhsa_exception_int_div_zero 0
	.end_amdhsa_kernel
	.section	.text._ZN7rocprim17ROCPRIM_400000_NS6detail17trampoline_kernelINS0_14default_configENS1_38merge_sort_block_merge_config_selectorIiNS0_10empty_typeEEEZZNS1_27merge_sort_block_merge_implIS3_N6thrust23THRUST_200600_302600_NS6detail15normal_iteratorINS9_10device_ptrIiEEEEPS5_jNS1_19radix_merge_compareILb0ELb1EiNS0_19identity_decomposerEEEEE10hipError_tT0_T1_T2_jT3_P12ihipStream_tbPNSt15iterator_traitsISK_E10value_typeEPNSQ_ISL_E10value_typeEPSM_NS1_7vsmem_tEENKUlT_SK_SL_SM_E_clIPiSE_SF_SF_EESJ_SZ_SK_SL_SM_EUlSZ_E_NS1_11comp_targetILNS1_3genE9ELNS1_11target_archE1100ELNS1_3gpuE3ELNS1_3repE0EEENS1_48merge_mergepath_partition_config_static_selectorELNS0_4arch9wavefront6targetE1EEEvSL_,"axG",@progbits,_ZN7rocprim17ROCPRIM_400000_NS6detail17trampoline_kernelINS0_14default_configENS1_38merge_sort_block_merge_config_selectorIiNS0_10empty_typeEEEZZNS1_27merge_sort_block_merge_implIS3_N6thrust23THRUST_200600_302600_NS6detail15normal_iteratorINS9_10device_ptrIiEEEEPS5_jNS1_19radix_merge_compareILb0ELb1EiNS0_19identity_decomposerEEEEE10hipError_tT0_T1_T2_jT3_P12ihipStream_tbPNSt15iterator_traitsISK_E10value_typeEPNSQ_ISL_E10value_typeEPSM_NS1_7vsmem_tEENKUlT_SK_SL_SM_E_clIPiSE_SF_SF_EESJ_SZ_SK_SL_SM_EUlSZ_E_NS1_11comp_targetILNS1_3genE9ELNS1_11target_archE1100ELNS1_3gpuE3ELNS1_3repE0EEENS1_48merge_mergepath_partition_config_static_selectorELNS0_4arch9wavefront6targetE1EEEvSL_,comdat
.Lfunc_end1677:
	.size	_ZN7rocprim17ROCPRIM_400000_NS6detail17trampoline_kernelINS0_14default_configENS1_38merge_sort_block_merge_config_selectorIiNS0_10empty_typeEEEZZNS1_27merge_sort_block_merge_implIS3_N6thrust23THRUST_200600_302600_NS6detail15normal_iteratorINS9_10device_ptrIiEEEEPS5_jNS1_19radix_merge_compareILb0ELb1EiNS0_19identity_decomposerEEEEE10hipError_tT0_T1_T2_jT3_P12ihipStream_tbPNSt15iterator_traitsISK_E10value_typeEPNSQ_ISL_E10value_typeEPSM_NS1_7vsmem_tEENKUlT_SK_SL_SM_E_clIPiSE_SF_SF_EESJ_SZ_SK_SL_SM_EUlSZ_E_NS1_11comp_targetILNS1_3genE9ELNS1_11target_archE1100ELNS1_3gpuE3ELNS1_3repE0EEENS1_48merge_mergepath_partition_config_static_selectorELNS0_4arch9wavefront6targetE1EEEvSL_, .Lfunc_end1677-_ZN7rocprim17ROCPRIM_400000_NS6detail17trampoline_kernelINS0_14default_configENS1_38merge_sort_block_merge_config_selectorIiNS0_10empty_typeEEEZZNS1_27merge_sort_block_merge_implIS3_N6thrust23THRUST_200600_302600_NS6detail15normal_iteratorINS9_10device_ptrIiEEEEPS5_jNS1_19radix_merge_compareILb0ELb1EiNS0_19identity_decomposerEEEEE10hipError_tT0_T1_T2_jT3_P12ihipStream_tbPNSt15iterator_traitsISK_E10value_typeEPNSQ_ISL_E10value_typeEPSM_NS1_7vsmem_tEENKUlT_SK_SL_SM_E_clIPiSE_SF_SF_EESJ_SZ_SK_SL_SM_EUlSZ_E_NS1_11comp_targetILNS1_3genE9ELNS1_11target_archE1100ELNS1_3gpuE3ELNS1_3repE0EEENS1_48merge_mergepath_partition_config_static_selectorELNS0_4arch9wavefront6targetE1EEEvSL_
                                        ; -- End function
	.section	.AMDGPU.csdata,"",@progbits
; Kernel info:
; codeLenInByte = 0
; NumSgprs: 6
; NumVgprs: 0
; NumAgprs: 0
; TotalNumVgprs: 0
; ScratchSize: 0
; MemoryBound: 0
; FloatMode: 240
; IeeeMode: 1
; LDSByteSize: 0 bytes/workgroup (compile time only)
; SGPRBlocks: 0
; VGPRBlocks: 0
; NumSGPRsForWavesPerEU: 6
; NumVGPRsForWavesPerEU: 1
; AccumOffset: 4
; Occupancy: 8
; WaveLimiterHint : 0
; COMPUTE_PGM_RSRC2:SCRATCH_EN: 0
; COMPUTE_PGM_RSRC2:USER_SGPR: 2
; COMPUTE_PGM_RSRC2:TRAP_HANDLER: 0
; COMPUTE_PGM_RSRC2:TGID_X_EN: 1
; COMPUTE_PGM_RSRC2:TGID_Y_EN: 0
; COMPUTE_PGM_RSRC2:TGID_Z_EN: 0
; COMPUTE_PGM_RSRC2:TIDIG_COMP_CNT: 0
; COMPUTE_PGM_RSRC3_GFX90A:ACCUM_OFFSET: 0
; COMPUTE_PGM_RSRC3_GFX90A:TG_SPLIT: 0
	.section	.text._ZN7rocprim17ROCPRIM_400000_NS6detail17trampoline_kernelINS0_14default_configENS1_38merge_sort_block_merge_config_selectorIiNS0_10empty_typeEEEZZNS1_27merge_sort_block_merge_implIS3_N6thrust23THRUST_200600_302600_NS6detail15normal_iteratorINS9_10device_ptrIiEEEEPS5_jNS1_19radix_merge_compareILb0ELb1EiNS0_19identity_decomposerEEEEE10hipError_tT0_T1_T2_jT3_P12ihipStream_tbPNSt15iterator_traitsISK_E10value_typeEPNSQ_ISL_E10value_typeEPSM_NS1_7vsmem_tEENKUlT_SK_SL_SM_E_clIPiSE_SF_SF_EESJ_SZ_SK_SL_SM_EUlSZ_E_NS1_11comp_targetILNS1_3genE8ELNS1_11target_archE1030ELNS1_3gpuE2ELNS1_3repE0EEENS1_48merge_mergepath_partition_config_static_selectorELNS0_4arch9wavefront6targetE1EEEvSL_,"axG",@progbits,_ZN7rocprim17ROCPRIM_400000_NS6detail17trampoline_kernelINS0_14default_configENS1_38merge_sort_block_merge_config_selectorIiNS0_10empty_typeEEEZZNS1_27merge_sort_block_merge_implIS3_N6thrust23THRUST_200600_302600_NS6detail15normal_iteratorINS9_10device_ptrIiEEEEPS5_jNS1_19radix_merge_compareILb0ELb1EiNS0_19identity_decomposerEEEEE10hipError_tT0_T1_T2_jT3_P12ihipStream_tbPNSt15iterator_traitsISK_E10value_typeEPNSQ_ISL_E10value_typeEPSM_NS1_7vsmem_tEENKUlT_SK_SL_SM_E_clIPiSE_SF_SF_EESJ_SZ_SK_SL_SM_EUlSZ_E_NS1_11comp_targetILNS1_3genE8ELNS1_11target_archE1030ELNS1_3gpuE2ELNS1_3repE0EEENS1_48merge_mergepath_partition_config_static_selectorELNS0_4arch9wavefront6targetE1EEEvSL_,comdat
	.protected	_ZN7rocprim17ROCPRIM_400000_NS6detail17trampoline_kernelINS0_14default_configENS1_38merge_sort_block_merge_config_selectorIiNS0_10empty_typeEEEZZNS1_27merge_sort_block_merge_implIS3_N6thrust23THRUST_200600_302600_NS6detail15normal_iteratorINS9_10device_ptrIiEEEEPS5_jNS1_19radix_merge_compareILb0ELb1EiNS0_19identity_decomposerEEEEE10hipError_tT0_T1_T2_jT3_P12ihipStream_tbPNSt15iterator_traitsISK_E10value_typeEPNSQ_ISL_E10value_typeEPSM_NS1_7vsmem_tEENKUlT_SK_SL_SM_E_clIPiSE_SF_SF_EESJ_SZ_SK_SL_SM_EUlSZ_E_NS1_11comp_targetILNS1_3genE8ELNS1_11target_archE1030ELNS1_3gpuE2ELNS1_3repE0EEENS1_48merge_mergepath_partition_config_static_selectorELNS0_4arch9wavefront6targetE1EEEvSL_ ; -- Begin function _ZN7rocprim17ROCPRIM_400000_NS6detail17trampoline_kernelINS0_14default_configENS1_38merge_sort_block_merge_config_selectorIiNS0_10empty_typeEEEZZNS1_27merge_sort_block_merge_implIS3_N6thrust23THRUST_200600_302600_NS6detail15normal_iteratorINS9_10device_ptrIiEEEEPS5_jNS1_19radix_merge_compareILb0ELb1EiNS0_19identity_decomposerEEEEE10hipError_tT0_T1_T2_jT3_P12ihipStream_tbPNSt15iterator_traitsISK_E10value_typeEPNSQ_ISL_E10value_typeEPSM_NS1_7vsmem_tEENKUlT_SK_SL_SM_E_clIPiSE_SF_SF_EESJ_SZ_SK_SL_SM_EUlSZ_E_NS1_11comp_targetILNS1_3genE8ELNS1_11target_archE1030ELNS1_3gpuE2ELNS1_3repE0EEENS1_48merge_mergepath_partition_config_static_selectorELNS0_4arch9wavefront6targetE1EEEvSL_
	.globl	_ZN7rocprim17ROCPRIM_400000_NS6detail17trampoline_kernelINS0_14default_configENS1_38merge_sort_block_merge_config_selectorIiNS0_10empty_typeEEEZZNS1_27merge_sort_block_merge_implIS3_N6thrust23THRUST_200600_302600_NS6detail15normal_iteratorINS9_10device_ptrIiEEEEPS5_jNS1_19radix_merge_compareILb0ELb1EiNS0_19identity_decomposerEEEEE10hipError_tT0_T1_T2_jT3_P12ihipStream_tbPNSt15iterator_traitsISK_E10value_typeEPNSQ_ISL_E10value_typeEPSM_NS1_7vsmem_tEENKUlT_SK_SL_SM_E_clIPiSE_SF_SF_EESJ_SZ_SK_SL_SM_EUlSZ_E_NS1_11comp_targetILNS1_3genE8ELNS1_11target_archE1030ELNS1_3gpuE2ELNS1_3repE0EEENS1_48merge_mergepath_partition_config_static_selectorELNS0_4arch9wavefront6targetE1EEEvSL_
	.p2align	8
	.type	_ZN7rocprim17ROCPRIM_400000_NS6detail17trampoline_kernelINS0_14default_configENS1_38merge_sort_block_merge_config_selectorIiNS0_10empty_typeEEEZZNS1_27merge_sort_block_merge_implIS3_N6thrust23THRUST_200600_302600_NS6detail15normal_iteratorINS9_10device_ptrIiEEEEPS5_jNS1_19radix_merge_compareILb0ELb1EiNS0_19identity_decomposerEEEEE10hipError_tT0_T1_T2_jT3_P12ihipStream_tbPNSt15iterator_traitsISK_E10value_typeEPNSQ_ISL_E10value_typeEPSM_NS1_7vsmem_tEENKUlT_SK_SL_SM_E_clIPiSE_SF_SF_EESJ_SZ_SK_SL_SM_EUlSZ_E_NS1_11comp_targetILNS1_3genE8ELNS1_11target_archE1030ELNS1_3gpuE2ELNS1_3repE0EEENS1_48merge_mergepath_partition_config_static_selectorELNS0_4arch9wavefront6targetE1EEEvSL_,@function
_ZN7rocprim17ROCPRIM_400000_NS6detail17trampoline_kernelINS0_14default_configENS1_38merge_sort_block_merge_config_selectorIiNS0_10empty_typeEEEZZNS1_27merge_sort_block_merge_implIS3_N6thrust23THRUST_200600_302600_NS6detail15normal_iteratorINS9_10device_ptrIiEEEEPS5_jNS1_19radix_merge_compareILb0ELb1EiNS0_19identity_decomposerEEEEE10hipError_tT0_T1_T2_jT3_P12ihipStream_tbPNSt15iterator_traitsISK_E10value_typeEPNSQ_ISL_E10value_typeEPSM_NS1_7vsmem_tEENKUlT_SK_SL_SM_E_clIPiSE_SF_SF_EESJ_SZ_SK_SL_SM_EUlSZ_E_NS1_11comp_targetILNS1_3genE8ELNS1_11target_archE1030ELNS1_3gpuE2ELNS1_3repE0EEENS1_48merge_mergepath_partition_config_static_selectorELNS0_4arch9wavefront6targetE1EEEvSL_: ; @_ZN7rocprim17ROCPRIM_400000_NS6detail17trampoline_kernelINS0_14default_configENS1_38merge_sort_block_merge_config_selectorIiNS0_10empty_typeEEEZZNS1_27merge_sort_block_merge_implIS3_N6thrust23THRUST_200600_302600_NS6detail15normal_iteratorINS9_10device_ptrIiEEEEPS5_jNS1_19radix_merge_compareILb0ELb1EiNS0_19identity_decomposerEEEEE10hipError_tT0_T1_T2_jT3_P12ihipStream_tbPNSt15iterator_traitsISK_E10value_typeEPNSQ_ISL_E10value_typeEPSM_NS1_7vsmem_tEENKUlT_SK_SL_SM_E_clIPiSE_SF_SF_EESJ_SZ_SK_SL_SM_EUlSZ_E_NS1_11comp_targetILNS1_3genE8ELNS1_11target_archE1030ELNS1_3gpuE2ELNS1_3repE0EEENS1_48merge_mergepath_partition_config_static_selectorELNS0_4arch9wavefront6targetE1EEEvSL_
; %bb.0:
	.section	.rodata,"a",@progbits
	.p2align	6, 0x0
	.amdhsa_kernel _ZN7rocprim17ROCPRIM_400000_NS6detail17trampoline_kernelINS0_14default_configENS1_38merge_sort_block_merge_config_selectorIiNS0_10empty_typeEEEZZNS1_27merge_sort_block_merge_implIS3_N6thrust23THRUST_200600_302600_NS6detail15normal_iteratorINS9_10device_ptrIiEEEEPS5_jNS1_19radix_merge_compareILb0ELb1EiNS0_19identity_decomposerEEEEE10hipError_tT0_T1_T2_jT3_P12ihipStream_tbPNSt15iterator_traitsISK_E10value_typeEPNSQ_ISL_E10value_typeEPSM_NS1_7vsmem_tEENKUlT_SK_SL_SM_E_clIPiSE_SF_SF_EESJ_SZ_SK_SL_SM_EUlSZ_E_NS1_11comp_targetILNS1_3genE8ELNS1_11target_archE1030ELNS1_3gpuE2ELNS1_3repE0EEENS1_48merge_mergepath_partition_config_static_selectorELNS0_4arch9wavefront6targetE1EEEvSL_
		.amdhsa_group_segment_fixed_size 0
		.amdhsa_private_segment_fixed_size 0
		.amdhsa_kernarg_size 40
		.amdhsa_user_sgpr_count 2
		.amdhsa_user_sgpr_dispatch_ptr 0
		.amdhsa_user_sgpr_queue_ptr 0
		.amdhsa_user_sgpr_kernarg_segment_ptr 1
		.amdhsa_user_sgpr_dispatch_id 0
		.amdhsa_user_sgpr_kernarg_preload_length 0
		.amdhsa_user_sgpr_kernarg_preload_offset 0
		.amdhsa_user_sgpr_private_segment_size 0
		.amdhsa_uses_dynamic_stack 0
		.amdhsa_enable_private_segment 0
		.amdhsa_system_sgpr_workgroup_id_x 1
		.amdhsa_system_sgpr_workgroup_id_y 0
		.amdhsa_system_sgpr_workgroup_id_z 0
		.amdhsa_system_sgpr_workgroup_info 0
		.amdhsa_system_vgpr_workitem_id 0
		.amdhsa_next_free_vgpr 1
		.amdhsa_next_free_sgpr 0
		.amdhsa_accum_offset 4
		.amdhsa_reserve_vcc 0
		.amdhsa_float_round_mode_32 0
		.amdhsa_float_round_mode_16_64 0
		.amdhsa_float_denorm_mode_32 3
		.amdhsa_float_denorm_mode_16_64 3
		.amdhsa_dx10_clamp 1
		.amdhsa_ieee_mode 1
		.amdhsa_fp16_overflow 0
		.amdhsa_tg_split 0
		.amdhsa_exception_fp_ieee_invalid_op 0
		.amdhsa_exception_fp_denorm_src 0
		.amdhsa_exception_fp_ieee_div_zero 0
		.amdhsa_exception_fp_ieee_overflow 0
		.amdhsa_exception_fp_ieee_underflow 0
		.amdhsa_exception_fp_ieee_inexact 0
		.amdhsa_exception_int_div_zero 0
	.end_amdhsa_kernel
	.section	.text._ZN7rocprim17ROCPRIM_400000_NS6detail17trampoline_kernelINS0_14default_configENS1_38merge_sort_block_merge_config_selectorIiNS0_10empty_typeEEEZZNS1_27merge_sort_block_merge_implIS3_N6thrust23THRUST_200600_302600_NS6detail15normal_iteratorINS9_10device_ptrIiEEEEPS5_jNS1_19radix_merge_compareILb0ELb1EiNS0_19identity_decomposerEEEEE10hipError_tT0_T1_T2_jT3_P12ihipStream_tbPNSt15iterator_traitsISK_E10value_typeEPNSQ_ISL_E10value_typeEPSM_NS1_7vsmem_tEENKUlT_SK_SL_SM_E_clIPiSE_SF_SF_EESJ_SZ_SK_SL_SM_EUlSZ_E_NS1_11comp_targetILNS1_3genE8ELNS1_11target_archE1030ELNS1_3gpuE2ELNS1_3repE0EEENS1_48merge_mergepath_partition_config_static_selectorELNS0_4arch9wavefront6targetE1EEEvSL_,"axG",@progbits,_ZN7rocprim17ROCPRIM_400000_NS6detail17trampoline_kernelINS0_14default_configENS1_38merge_sort_block_merge_config_selectorIiNS0_10empty_typeEEEZZNS1_27merge_sort_block_merge_implIS3_N6thrust23THRUST_200600_302600_NS6detail15normal_iteratorINS9_10device_ptrIiEEEEPS5_jNS1_19radix_merge_compareILb0ELb1EiNS0_19identity_decomposerEEEEE10hipError_tT0_T1_T2_jT3_P12ihipStream_tbPNSt15iterator_traitsISK_E10value_typeEPNSQ_ISL_E10value_typeEPSM_NS1_7vsmem_tEENKUlT_SK_SL_SM_E_clIPiSE_SF_SF_EESJ_SZ_SK_SL_SM_EUlSZ_E_NS1_11comp_targetILNS1_3genE8ELNS1_11target_archE1030ELNS1_3gpuE2ELNS1_3repE0EEENS1_48merge_mergepath_partition_config_static_selectorELNS0_4arch9wavefront6targetE1EEEvSL_,comdat
.Lfunc_end1678:
	.size	_ZN7rocprim17ROCPRIM_400000_NS6detail17trampoline_kernelINS0_14default_configENS1_38merge_sort_block_merge_config_selectorIiNS0_10empty_typeEEEZZNS1_27merge_sort_block_merge_implIS3_N6thrust23THRUST_200600_302600_NS6detail15normal_iteratorINS9_10device_ptrIiEEEEPS5_jNS1_19radix_merge_compareILb0ELb1EiNS0_19identity_decomposerEEEEE10hipError_tT0_T1_T2_jT3_P12ihipStream_tbPNSt15iterator_traitsISK_E10value_typeEPNSQ_ISL_E10value_typeEPSM_NS1_7vsmem_tEENKUlT_SK_SL_SM_E_clIPiSE_SF_SF_EESJ_SZ_SK_SL_SM_EUlSZ_E_NS1_11comp_targetILNS1_3genE8ELNS1_11target_archE1030ELNS1_3gpuE2ELNS1_3repE0EEENS1_48merge_mergepath_partition_config_static_selectorELNS0_4arch9wavefront6targetE1EEEvSL_, .Lfunc_end1678-_ZN7rocprim17ROCPRIM_400000_NS6detail17trampoline_kernelINS0_14default_configENS1_38merge_sort_block_merge_config_selectorIiNS0_10empty_typeEEEZZNS1_27merge_sort_block_merge_implIS3_N6thrust23THRUST_200600_302600_NS6detail15normal_iteratorINS9_10device_ptrIiEEEEPS5_jNS1_19radix_merge_compareILb0ELb1EiNS0_19identity_decomposerEEEEE10hipError_tT0_T1_T2_jT3_P12ihipStream_tbPNSt15iterator_traitsISK_E10value_typeEPNSQ_ISL_E10value_typeEPSM_NS1_7vsmem_tEENKUlT_SK_SL_SM_E_clIPiSE_SF_SF_EESJ_SZ_SK_SL_SM_EUlSZ_E_NS1_11comp_targetILNS1_3genE8ELNS1_11target_archE1030ELNS1_3gpuE2ELNS1_3repE0EEENS1_48merge_mergepath_partition_config_static_selectorELNS0_4arch9wavefront6targetE1EEEvSL_
                                        ; -- End function
	.section	.AMDGPU.csdata,"",@progbits
; Kernel info:
; codeLenInByte = 0
; NumSgprs: 6
; NumVgprs: 0
; NumAgprs: 0
; TotalNumVgprs: 0
; ScratchSize: 0
; MemoryBound: 0
; FloatMode: 240
; IeeeMode: 1
; LDSByteSize: 0 bytes/workgroup (compile time only)
; SGPRBlocks: 0
; VGPRBlocks: 0
; NumSGPRsForWavesPerEU: 6
; NumVGPRsForWavesPerEU: 1
; AccumOffset: 4
; Occupancy: 8
; WaveLimiterHint : 0
; COMPUTE_PGM_RSRC2:SCRATCH_EN: 0
; COMPUTE_PGM_RSRC2:USER_SGPR: 2
; COMPUTE_PGM_RSRC2:TRAP_HANDLER: 0
; COMPUTE_PGM_RSRC2:TGID_X_EN: 1
; COMPUTE_PGM_RSRC2:TGID_Y_EN: 0
; COMPUTE_PGM_RSRC2:TGID_Z_EN: 0
; COMPUTE_PGM_RSRC2:TIDIG_COMP_CNT: 0
; COMPUTE_PGM_RSRC3_GFX90A:ACCUM_OFFSET: 0
; COMPUTE_PGM_RSRC3_GFX90A:TG_SPLIT: 0
	.section	.text._ZN7rocprim17ROCPRIM_400000_NS6detail17trampoline_kernelINS0_14default_configENS1_38merge_sort_block_merge_config_selectorIiNS0_10empty_typeEEEZZNS1_27merge_sort_block_merge_implIS3_N6thrust23THRUST_200600_302600_NS6detail15normal_iteratorINS9_10device_ptrIiEEEEPS5_jNS1_19radix_merge_compareILb0ELb1EiNS0_19identity_decomposerEEEEE10hipError_tT0_T1_T2_jT3_P12ihipStream_tbPNSt15iterator_traitsISK_E10value_typeEPNSQ_ISL_E10value_typeEPSM_NS1_7vsmem_tEENKUlT_SK_SL_SM_E_clIPiSE_SF_SF_EESJ_SZ_SK_SL_SM_EUlSZ_E0_NS1_11comp_targetILNS1_3genE0ELNS1_11target_archE4294967295ELNS1_3gpuE0ELNS1_3repE0EEENS1_38merge_mergepath_config_static_selectorELNS0_4arch9wavefront6targetE1EEEvSL_,"axG",@progbits,_ZN7rocprim17ROCPRIM_400000_NS6detail17trampoline_kernelINS0_14default_configENS1_38merge_sort_block_merge_config_selectorIiNS0_10empty_typeEEEZZNS1_27merge_sort_block_merge_implIS3_N6thrust23THRUST_200600_302600_NS6detail15normal_iteratorINS9_10device_ptrIiEEEEPS5_jNS1_19radix_merge_compareILb0ELb1EiNS0_19identity_decomposerEEEEE10hipError_tT0_T1_T2_jT3_P12ihipStream_tbPNSt15iterator_traitsISK_E10value_typeEPNSQ_ISL_E10value_typeEPSM_NS1_7vsmem_tEENKUlT_SK_SL_SM_E_clIPiSE_SF_SF_EESJ_SZ_SK_SL_SM_EUlSZ_E0_NS1_11comp_targetILNS1_3genE0ELNS1_11target_archE4294967295ELNS1_3gpuE0ELNS1_3repE0EEENS1_38merge_mergepath_config_static_selectorELNS0_4arch9wavefront6targetE1EEEvSL_,comdat
	.protected	_ZN7rocprim17ROCPRIM_400000_NS6detail17trampoline_kernelINS0_14default_configENS1_38merge_sort_block_merge_config_selectorIiNS0_10empty_typeEEEZZNS1_27merge_sort_block_merge_implIS3_N6thrust23THRUST_200600_302600_NS6detail15normal_iteratorINS9_10device_ptrIiEEEEPS5_jNS1_19radix_merge_compareILb0ELb1EiNS0_19identity_decomposerEEEEE10hipError_tT0_T1_T2_jT3_P12ihipStream_tbPNSt15iterator_traitsISK_E10value_typeEPNSQ_ISL_E10value_typeEPSM_NS1_7vsmem_tEENKUlT_SK_SL_SM_E_clIPiSE_SF_SF_EESJ_SZ_SK_SL_SM_EUlSZ_E0_NS1_11comp_targetILNS1_3genE0ELNS1_11target_archE4294967295ELNS1_3gpuE0ELNS1_3repE0EEENS1_38merge_mergepath_config_static_selectorELNS0_4arch9wavefront6targetE1EEEvSL_ ; -- Begin function _ZN7rocprim17ROCPRIM_400000_NS6detail17trampoline_kernelINS0_14default_configENS1_38merge_sort_block_merge_config_selectorIiNS0_10empty_typeEEEZZNS1_27merge_sort_block_merge_implIS3_N6thrust23THRUST_200600_302600_NS6detail15normal_iteratorINS9_10device_ptrIiEEEEPS5_jNS1_19radix_merge_compareILb0ELb1EiNS0_19identity_decomposerEEEEE10hipError_tT0_T1_T2_jT3_P12ihipStream_tbPNSt15iterator_traitsISK_E10value_typeEPNSQ_ISL_E10value_typeEPSM_NS1_7vsmem_tEENKUlT_SK_SL_SM_E_clIPiSE_SF_SF_EESJ_SZ_SK_SL_SM_EUlSZ_E0_NS1_11comp_targetILNS1_3genE0ELNS1_11target_archE4294967295ELNS1_3gpuE0ELNS1_3repE0EEENS1_38merge_mergepath_config_static_selectorELNS0_4arch9wavefront6targetE1EEEvSL_
	.globl	_ZN7rocprim17ROCPRIM_400000_NS6detail17trampoline_kernelINS0_14default_configENS1_38merge_sort_block_merge_config_selectorIiNS0_10empty_typeEEEZZNS1_27merge_sort_block_merge_implIS3_N6thrust23THRUST_200600_302600_NS6detail15normal_iteratorINS9_10device_ptrIiEEEEPS5_jNS1_19radix_merge_compareILb0ELb1EiNS0_19identity_decomposerEEEEE10hipError_tT0_T1_T2_jT3_P12ihipStream_tbPNSt15iterator_traitsISK_E10value_typeEPNSQ_ISL_E10value_typeEPSM_NS1_7vsmem_tEENKUlT_SK_SL_SM_E_clIPiSE_SF_SF_EESJ_SZ_SK_SL_SM_EUlSZ_E0_NS1_11comp_targetILNS1_3genE0ELNS1_11target_archE4294967295ELNS1_3gpuE0ELNS1_3repE0EEENS1_38merge_mergepath_config_static_selectorELNS0_4arch9wavefront6targetE1EEEvSL_
	.p2align	8
	.type	_ZN7rocprim17ROCPRIM_400000_NS6detail17trampoline_kernelINS0_14default_configENS1_38merge_sort_block_merge_config_selectorIiNS0_10empty_typeEEEZZNS1_27merge_sort_block_merge_implIS3_N6thrust23THRUST_200600_302600_NS6detail15normal_iteratorINS9_10device_ptrIiEEEEPS5_jNS1_19radix_merge_compareILb0ELb1EiNS0_19identity_decomposerEEEEE10hipError_tT0_T1_T2_jT3_P12ihipStream_tbPNSt15iterator_traitsISK_E10value_typeEPNSQ_ISL_E10value_typeEPSM_NS1_7vsmem_tEENKUlT_SK_SL_SM_E_clIPiSE_SF_SF_EESJ_SZ_SK_SL_SM_EUlSZ_E0_NS1_11comp_targetILNS1_3genE0ELNS1_11target_archE4294967295ELNS1_3gpuE0ELNS1_3repE0EEENS1_38merge_mergepath_config_static_selectorELNS0_4arch9wavefront6targetE1EEEvSL_,@function
_ZN7rocprim17ROCPRIM_400000_NS6detail17trampoline_kernelINS0_14default_configENS1_38merge_sort_block_merge_config_selectorIiNS0_10empty_typeEEEZZNS1_27merge_sort_block_merge_implIS3_N6thrust23THRUST_200600_302600_NS6detail15normal_iteratorINS9_10device_ptrIiEEEEPS5_jNS1_19radix_merge_compareILb0ELb1EiNS0_19identity_decomposerEEEEE10hipError_tT0_T1_T2_jT3_P12ihipStream_tbPNSt15iterator_traitsISK_E10value_typeEPNSQ_ISL_E10value_typeEPSM_NS1_7vsmem_tEENKUlT_SK_SL_SM_E_clIPiSE_SF_SF_EESJ_SZ_SK_SL_SM_EUlSZ_E0_NS1_11comp_targetILNS1_3genE0ELNS1_11target_archE4294967295ELNS1_3gpuE0ELNS1_3repE0EEENS1_38merge_mergepath_config_static_selectorELNS0_4arch9wavefront6targetE1EEEvSL_: ; @_ZN7rocprim17ROCPRIM_400000_NS6detail17trampoline_kernelINS0_14default_configENS1_38merge_sort_block_merge_config_selectorIiNS0_10empty_typeEEEZZNS1_27merge_sort_block_merge_implIS3_N6thrust23THRUST_200600_302600_NS6detail15normal_iteratorINS9_10device_ptrIiEEEEPS5_jNS1_19radix_merge_compareILb0ELb1EiNS0_19identity_decomposerEEEEE10hipError_tT0_T1_T2_jT3_P12ihipStream_tbPNSt15iterator_traitsISK_E10value_typeEPNSQ_ISL_E10value_typeEPSM_NS1_7vsmem_tEENKUlT_SK_SL_SM_E_clIPiSE_SF_SF_EESJ_SZ_SK_SL_SM_EUlSZ_E0_NS1_11comp_targetILNS1_3genE0ELNS1_11target_archE4294967295ELNS1_3gpuE0ELNS1_3repE0EEENS1_38merge_mergepath_config_static_selectorELNS0_4arch9wavefront6targetE1EEEvSL_
; %bb.0:
	.section	.rodata,"a",@progbits
	.p2align	6, 0x0
	.amdhsa_kernel _ZN7rocprim17ROCPRIM_400000_NS6detail17trampoline_kernelINS0_14default_configENS1_38merge_sort_block_merge_config_selectorIiNS0_10empty_typeEEEZZNS1_27merge_sort_block_merge_implIS3_N6thrust23THRUST_200600_302600_NS6detail15normal_iteratorINS9_10device_ptrIiEEEEPS5_jNS1_19radix_merge_compareILb0ELb1EiNS0_19identity_decomposerEEEEE10hipError_tT0_T1_T2_jT3_P12ihipStream_tbPNSt15iterator_traitsISK_E10value_typeEPNSQ_ISL_E10value_typeEPSM_NS1_7vsmem_tEENKUlT_SK_SL_SM_E_clIPiSE_SF_SF_EESJ_SZ_SK_SL_SM_EUlSZ_E0_NS1_11comp_targetILNS1_3genE0ELNS1_11target_archE4294967295ELNS1_3gpuE0ELNS1_3repE0EEENS1_38merge_mergepath_config_static_selectorELNS0_4arch9wavefront6targetE1EEEvSL_
		.amdhsa_group_segment_fixed_size 0
		.amdhsa_private_segment_fixed_size 0
		.amdhsa_kernarg_size 64
		.amdhsa_user_sgpr_count 2
		.amdhsa_user_sgpr_dispatch_ptr 0
		.amdhsa_user_sgpr_queue_ptr 0
		.amdhsa_user_sgpr_kernarg_segment_ptr 1
		.amdhsa_user_sgpr_dispatch_id 0
		.amdhsa_user_sgpr_kernarg_preload_length 0
		.amdhsa_user_sgpr_kernarg_preload_offset 0
		.amdhsa_user_sgpr_private_segment_size 0
		.amdhsa_uses_dynamic_stack 0
		.amdhsa_enable_private_segment 0
		.amdhsa_system_sgpr_workgroup_id_x 1
		.amdhsa_system_sgpr_workgroup_id_y 0
		.amdhsa_system_sgpr_workgroup_id_z 0
		.amdhsa_system_sgpr_workgroup_info 0
		.amdhsa_system_vgpr_workitem_id 0
		.amdhsa_next_free_vgpr 1
		.amdhsa_next_free_sgpr 0
		.amdhsa_accum_offset 4
		.amdhsa_reserve_vcc 0
		.amdhsa_float_round_mode_32 0
		.amdhsa_float_round_mode_16_64 0
		.amdhsa_float_denorm_mode_32 3
		.amdhsa_float_denorm_mode_16_64 3
		.amdhsa_dx10_clamp 1
		.amdhsa_ieee_mode 1
		.amdhsa_fp16_overflow 0
		.amdhsa_tg_split 0
		.amdhsa_exception_fp_ieee_invalid_op 0
		.amdhsa_exception_fp_denorm_src 0
		.amdhsa_exception_fp_ieee_div_zero 0
		.amdhsa_exception_fp_ieee_overflow 0
		.amdhsa_exception_fp_ieee_underflow 0
		.amdhsa_exception_fp_ieee_inexact 0
		.amdhsa_exception_int_div_zero 0
	.end_amdhsa_kernel
	.section	.text._ZN7rocprim17ROCPRIM_400000_NS6detail17trampoline_kernelINS0_14default_configENS1_38merge_sort_block_merge_config_selectorIiNS0_10empty_typeEEEZZNS1_27merge_sort_block_merge_implIS3_N6thrust23THRUST_200600_302600_NS6detail15normal_iteratorINS9_10device_ptrIiEEEEPS5_jNS1_19radix_merge_compareILb0ELb1EiNS0_19identity_decomposerEEEEE10hipError_tT0_T1_T2_jT3_P12ihipStream_tbPNSt15iterator_traitsISK_E10value_typeEPNSQ_ISL_E10value_typeEPSM_NS1_7vsmem_tEENKUlT_SK_SL_SM_E_clIPiSE_SF_SF_EESJ_SZ_SK_SL_SM_EUlSZ_E0_NS1_11comp_targetILNS1_3genE0ELNS1_11target_archE4294967295ELNS1_3gpuE0ELNS1_3repE0EEENS1_38merge_mergepath_config_static_selectorELNS0_4arch9wavefront6targetE1EEEvSL_,"axG",@progbits,_ZN7rocprim17ROCPRIM_400000_NS6detail17trampoline_kernelINS0_14default_configENS1_38merge_sort_block_merge_config_selectorIiNS0_10empty_typeEEEZZNS1_27merge_sort_block_merge_implIS3_N6thrust23THRUST_200600_302600_NS6detail15normal_iteratorINS9_10device_ptrIiEEEEPS5_jNS1_19radix_merge_compareILb0ELb1EiNS0_19identity_decomposerEEEEE10hipError_tT0_T1_T2_jT3_P12ihipStream_tbPNSt15iterator_traitsISK_E10value_typeEPNSQ_ISL_E10value_typeEPSM_NS1_7vsmem_tEENKUlT_SK_SL_SM_E_clIPiSE_SF_SF_EESJ_SZ_SK_SL_SM_EUlSZ_E0_NS1_11comp_targetILNS1_3genE0ELNS1_11target_archE4294967295ELNS1_3gpuE0ELNS1_3repE0EEENS1_38merge_mergepath_config_static_selectorELNS0_4arch9wavefront6targetE1EEEvSL_,comdat
.Lfunc_end1679:
	.size	_ZN7rocprim17ROCPRIM_400000_NS6detail17trampoline_kernelINS0_14default_configENS1_38merge_sort_block_merge_config_selectorIiNS0_10empty_typeEEEZZNS1_27merge_sort_block_merge_implIS3_N6thrust23THRUST_200600_302600_NS6detail15normal_iteratorINS9_10device_ptrIiEEEEPS5_jNS1_19radix_merge_compareILb0ELb1EiNS0_19identity_decomposerEEEEE10hipError_tT0_T1_T2_jT3_P12ihipStream_tbPNSt15iterator_traitsISK_E10value_typeEPNSQ_ISL_E10value_typeEPSM_NS1_7vsmem_tEENKUlT_SK_SL_SM_E_clIPiSE_SF_SF_EESJ_SZ_SK_SL_SM_EUlSZ_E0_NS1_11comp_targetILNS1_3genE0ELNS1_11target_archE4294967295ELNS1_3gpuE0ELNS1_3repE0EEENS1_38merge_mergepath_config_static_selectorELNS0_4arch9wavefront6targetE1EEEvSL_, .Lfunc_end1679-_ZN7rocprim17ROCPRIM_400000_NS6detail17trampoline_kernelINS0_14default_configENS1_38merge_sort_block_merge_config_selectorIiNS0_10empty_typeEEEZZNS1_27merge_sort_block_merge_implIS3_N6thrust23THRUST_200600_302600_NS6detail15normal_iteratorINS9_10device_ptrIiEEEEPS5_jNS1_19radix_merge_compareILb0ELb1EiNS0_19identity_decomposerEEEEE10hipError_tT0_T1_T2_jT3_P12ihipStream_tbPNSt15iterator_traitsISK_E10value_typeEPNSQ_ISL_E10value_typeEPSM_NS1_7vsmem_tEENKUlT_SK_SL_SM_E_clIPiSE_SF_SF_EESJ_SZ_SK_SL_SM_EUlSZ_E0_NS1_11comp_targetILNS1_3genE0ELNS1_11target_archE4294967295ELNS1_3gpuE0ELNS1_3repE0EEENS1_38merge_mergepath_config_static_selectorELNS0_4arch9wavefront6targetE1EEEvSL_
                                        ; -- End function
	.section	.AMDGPU.csdata,"",@progbits
; Kernel info:
; codeLenInByte = 0
; NumSgprs: 6
; NumVgprs: 0
; NumAgprs: 0
; TotalNumVgprs: 0
; ScratchSize: 0
; MemoryBound: 0
; FloatMode: 240
; IeeeMode: 1
; LDSByteSize: 0 bytes/workgroup (compile time only)
; SGPRBlocks: 0
; VGPRBlocks: 0
; NumSGPRsForWavesPerEU: 6
; NumVGPRsForWavesPerEU: 1
; AccumOffset: 4
; Occupancy: 8
; WaveLimiterHint : 0
; COMPUTE_PGM_RSRC2:SCRATCH_EN: 0
; COMPUTE_PGM_RSRC2:USER_SGPR: 2
; COMPUTE_PGM_RSRC2:TRAP_HANDLER: 0
; COMPUTE_PGM_RSRC2:TGID_X_EN: 1
; COMPUTE_PGM_RSRC2:TGID_Y_EN: 0
; COMPUTE_PGM_RSRC2:TGID_Z_EN: 0
; COMPUTE_PGM_RSRC2:TIDIG_COMP_CNT: 0
; COMPUTE_PGM_RSRC3_GFX90A:ACCUM_OFFSET: 0
; COMPUTE_PGM_RSRC3_GFX90A:TG_SPLIT: 0
	.section	.text._ZN7rocprim17ROCPRIM_400000_NS6detail17trampoline_kernelINS0_14default_configENS1_38merge_sort_block_merge_config_selectorIiNS0_10empty_typeEEEZZNS1_27merge_sort_block_merge_implIS3_N6thrust23THRUST_200600_302600_NS6detail15normal_iteratorINS9_10device_ptrIiEEEEPS5_jNS1_19radix_merge_compareILb0ELb1EiNS0_19identity_decomposerEEEEE10hipError_tT0_T1_T2_jT3_P12ihipStream_tbPNSt15iterator_traitsISK_E10value_typeEPNSQ_ISL_E10value_typeEPSM_NS1_7vsmem_tEENKUlT_SK_SL_SM_E_clIPiSE_SF_SF_EESJ_SZ_SK_SL_SM_EUlSZ_E0_NS1_11comp_targetILNS1_3genE10ELNS1_11target_archE1201ELNS1_3gpuE5ELNS1_3repE0EEENS1_38merge_mergepath_config_static_selectorELNS0_4arch9wavefront6targetE1EEEvSL_,"axG",@progbits,_ZN7rocprim17ROCPRIM_400000_NS6detail17trampoline_kernelINS0_14default_configENS1_38merge_sort_block_merge_config_selectorIiNS0_10empty_typeEEEZZNS1_27merge_sort_block_merge_implIS3_N6thrust23THRUST_200600_302600_NS6detail15normal_iteratorINS9_10device_ptrIiEEEEPS5_jNS1_19radix_merge_compareILb0ELb1EiNS0_19identity_decomposerEEEEE10hipError_tT0_T1_T2_jT3_P12ihipStream_tbPNSt15iterator_traitsISK_E10value_typeEPNSQ_ISL_E10value_typeEPSM_NS1_7vsmem_tEENKUlT_SK_SL_SM_E_clIPiSE_SF_SF_EESJ_SZ_SK_SL_SM_EUlSZ_E0_NS1_11comp_targetILNS1_3genE10ELNS1_11target_archE1201ELNS1_3gpuE5ELNS1_3repE0EEENS1_38merge_mergepath_config_static_selectorELNS0_4arch9wavefront6targetE1EEEvSL_,comdat
	.protected	_ZN7rocprim17ROCPRIM_400000_NS6detail17trampoline_kernelINS0_14default_configENS1_38merge_sort_block_merge_config_selectorIiNS0_10empty_typeEEEZZNS1_27merge_sort_block_merge_implIS3_N6thrust23THRUST_200600_302600_NS6detail15normal_iteratorINS9_10device_ptrIiEEEEPS5_jNS1_19radix_merge_compareILb0ELb1EiNS0_19identity_decomposerEEEEE10hipError_tT0_T1_T2_jT3_P12ihipStream_tbPNSt15iterator_traitsISK_E10value_typeEPNSQ_ISL_E10value_typeEPSM_NS1_7vsmem_tEENKUlT_SK_SL_SM_E_clIPiSE_SF_SF_EESJ_SZ_SK_SL_SM_EUlSZ_E0_NS1_11comp_targetILNS1_3genE10ELNS1_11target_archE1201ELNS1_3gpuE5ELNS1_3repE0EEENS1_38merge_mergepath_config_static_selectorELNS0_4arch9wavefront6targetE1EEEvSL_ ; -- Begin function _ZN7rocprim17ROCPRIM_400000_NS6detail17trampoline_kernelINS0_14default_configENS1_38merge_sort_block_merge_config_selectorIiNS0_10empty_typeEEEZZNS1_27merge_sort_block_merge_implIS3_N6thrust23THRUST_200600_302600_NS6detail15normal_iteratorINS9_10device_ptrIiEEEEPS5_jNS1_19radix_merge_compareILb0ELb1EiNS0_19identity_decomposerEEEEE10hipError_tT0_T1_T2_jT3_P12ihipStream_tbPNSt15iterator_traitsISK_E10value_typeEPNSQ_ISL_E10value_typeEPSM_NS1_7vsmem_tEENKUlT_SK_SL_SM_E_clIPiSE_SF_SF_EESJ_SZ_SK_SL_SM_EUlSZ_E0_NS1_11comp_targetILNS1_3genE10ELNS1_11target_archE1201ELNS1_3gpuE5ELNS1_3repE0EEENS1_38merge_mergepath_config_static_selectorELNS0_4arch9wavefront6targetE1EEEvSL_
	.globl	_ZN7rocprim17ROCPRIM_400000_NS6detail17trampoline_kernelINS0_14default_configENS1_38merge_sort_block_merge_config_selectorIiNS0_10empty_typeEEEZZNS1_27merge_sort_block_merge_implIS3_N6thrust23THRUST_200600_302600_NS6detail15normal_iteratorINS9_10device_ptrIiEEEEPS5_jNS1_19radix_merge_compareILb0ELb1EiNS0_19identity_decomposerEEEEE10hipError_tT0_T1_T2_jT3_P12ihipStream_tbPNSt15iterator_traitsISK_E10value_typeEPNSQ_ISL_E10value_typeEPSM_NS1_7vsmem_tEENKUlT_SK_SL_SM_E_clIPiSE_SF_SF_EESJ_SZ_SK_SL_SM_EUlSZ_E0_NS1_11comp_targetILNS1_3genE10ELNS1_11target_archE1201ELNS1_3gpuE5ELNS1_3repE0EEENS1_38merge_mergepath_config_static_selectorELNS0_4arch9wavefront6targetE1EEEvSL_
	.p2align	8
	.type	_ZN7rocprim17ROCPRIM_400000_NS6detail17trampoline_kernelINS0_14default_configENS1_38merge_sort_block_merge_config_selectorIiNS0_10empty_typeEEEZZNS1_27merge_sort_block_merge_implIS3_N6thrust23THRUST_200600_302600_NS6detail15normal_iteratorINS9_10device_ptrIiEEEEPS5_jNS1_19radix_merge_compareILb0ELb1EiNS0_19identity_decomposerEEEEE10hipError_tT0_T1_T2_jT3_P12ihipStream_tbPNSt15iterator_traitsISK_E10value_typeEPNSQ_ISL_E10value_typeEPSM_NS1_7vsmem_tEENKUlT_SK_SL_SM_E_clIPiSE_SF_SF_EESJ_SZ_SK_SL_SM_EUlSZ_E0_NS1_11comp_targetILNS1_3genE10ELNS1_11target_archE1201ELNS1_3gpuE5ELNS1_3repE0EEENS1_38merge_mergepath_config_static_selectorELNS0_4arch9wavefront6targetE1EEEvSL_,@function
_ZN7rocprim17ROCPRIM_400000_NS6detail17trampoline_kernelINS0_14default_configENS1_38merge_sort_block_merge_config_selectorIiNS0_10empty_typeEEEZZNS1_27merge_sort_block_merge_implIS3_N6thrust23THRUST_200600_302600_NS6detail15normal_iteratorINS9_10device_ptrIiEEEEPS5_jNS1_19radix_merge_compareILb0ELb1EiNS0_19identity_decomposerEEEEE10hipError_tT0_T1_T2_jT3_P12ihipStream_tbPNSt15iterator_traitsISK_E10value_typeEPNSQ_ISL_E10value_typeEPSM_NS1_7vsmem_tEENKUlT_SK_SL_SM_E_clIPiSE_SF_SF_EESJ_SZ_SK_SL_SM_EUlSZ_E0_NS1_11comp_targetILNS1_3genE10ELNS1_11target_archE1201ELNS1_3gpuE5ELNS1_3repE0EEENS1_38merge_mergepath_config_static_selectorELNS0_4arch9wavefront6targetE1EEEvSL_: ; @_ZN7rocprim17ROCPRIM_400000_NS6detail17trampoline_kernelINS0_14default_configENS1_38merge_sort_block_merge_config_selectorIiNS0_10empty_typeEEEZZNS1_27merge_sort_block_merge_implIS3_N6thrust23THRUST_200600_302600_NS6detail15normal_iteratorINS9_10device_ptrIiEEEEPS5_jNS1_19radix_merge_compareILb0ELb1EiNS0_19identity_decomposerEEEEE10hipError_tT0_T1_T2_jT3_P12ihipStream_tbPNSt15iterator_traitsISK_E10value_typeEPNSQ_ISL_E10value_typeEPSM_NS1_7vsmem_tEENKUlT_SK_SL_SM_E_clIPiSE_SF_SF_EESJ_SZ_SK_SL_SM_EUlSZ_E0_NS1_11comp_targetILNS1_3genE10ELNS1_11target_archE1201ELNS1_3gpuE5ELNS1_3repE0EEENS1_38merge_mergepath_config_static_selectorELNS0_4arch9wavefront6targetE1EEEvSL_
; %bb.0:
	.section	.rodata,"a",@progbits
	.p2align	6, 0x0
	.amdhsa_kernel _ZN7rocprim17ROCPRIM_400000_NS6detail17trampoline_kernelINS0_14default_configENS1_38merge_sort_block_merge_config_selectorIiNS0_10empty_typeEEEZZNS1_27merge_sort_block_merge_implIS3_N6thrust23THRUST_200600_302600_NS6detail15normal_iteratorINS9_10device_ptrIiEEEEPS5_jNS1_19radix_merge_compareILb0ELb1EiNS0_19identity_decomposerEEEEE10hipError_tT0_T1_T2_jT3_P12ihipStream_tbPNSt15iterator_traitsISK_E10value_typeEPNSQ_ISL_E10value_typeEPSM_NS1_7vsmem_tEENKUlT_SK_SL_SM_E_clIPiSE_SF_SF_EESJ_SZ_SK_SL_SM_EUlSZ_E0_NS1_11comp_targetILNS1_3genE10ELNS1_11target_archE1201ELNS1_3gpuE5ELNS1_3repE0EEENS1_38merge_mergepath_config_static_selectorELNS0_4arch9wavefront6targetE1EEEvSL_
		.amdhsa_group_segment_fixed_size 0
		.amdhsa_private_segment_fixed_size 0
		.amdhsa_kernarg_size 64
		.amdhsa_user_sgpr_count 2
		.amdhsa_user_sgpr_dispatch_ptr 0
		.amdhsa_user_sgpr_queue_ptr 0
		.amdhsa_user_sgpr_kernarg_segment_ptr 1
		.amdhsa_user_sgpr_dispatch_id 0
		.amdhsa_user_sgpr_kernarg_preload_length 0
		.amdhsa_user_sgpr_kernarg_preload_offset 0
		.amdhsa_user_sgpr_private_segment_size 0
		.amdhsa_uses_dynamic_stack 0
		.amdhsa_enable_private_segment 0
		.amdhsa_system_sgpr_workgroup_id_x 1
		.amdhsa_system_sgpr_workgroup_id_y 0
		.amdhsa_system_sgpr_workgroup_id_z 0
		.amdhsa_system_sgpr_workgroup_info 0
		.amdhsa_system_vgpr_workitem_id 0
		.amdhsa_next_free_vgpr 1
		.amdhsa_next_free_sgpr 0
		.amdhsa_accum_offset 4
		.amdhsa_reserve_vcc 0
		.amdhsa_float_round_mode_32 0
		.amdhsa_float_round_mode_16_64 0
		.amdhsa_float_denorm_mode_32 3
		.amdhsa_float_denorm_mode_16_64 3
		.amdhsa_dx10_clamp 1
		.amdhsa_ieee_mode 1
		.amdhsa_fp16_overflow 0
		.amdhsa_tg_split 0
		.amdhsa_exception_fp_ieee_invalid_op 0
		.amdhsa_exception_fp_denorm_src 0
		.amdhsa_exception_fp_ieee_div_zero 0
		.amdhsa_exception_fp_ieee_overflow 0
		.amdhsa_exception_fp_ieee_underflow 0
		.amdhsa_exception_fp_ieee_inexact 0
		.amdhsa_exception_int_div_zero 0
	.end_amdhsa_kernel
	.section	.text._ZN7rocprim17ROCPRIM_400000_NS6detail17trampoline_kernelINS0_14default_configENS1_38merge_sort_block_merge_config_selectorIiNS0_10empty_typeEEEZZNS1_27merge_sort_block_merge_implIS3_N6thrust23THRUST_200600_302600_NS6detail15normal_iteratorINS9_10device_ptrIiEEEEPS5_jNS1_19radix_merge_compareILb0ELb1EiNS0_19identity_decomposerEEEEE10hipError_tT0_T1_T2_jT3_P12ihipStream_tbPNSt15iterator_traitsISK_E10value_typeEPNSQ_ISL_E10value_typeEPSM_NS1_7vsmem_tEENKUlT_SK_SL_SM_E_clIPiSE_SF_SF_EESJ_SZ_SK_SL_SM_EUlSZ_E0_NS1_11comp_targetILNS1_3genE10ELNS1_11target_archE1201ELNS1_3gpuE5ELNS1_3repE0EEENS1_38merge_mergepath_config_static_selectorELNS0_4arch9wavefront6targetE1EEEvSL_,"axG",@progbits,_ZN7rocprim17ROCPRIM_400000_NS6detail17trampoline_kernelINS0_14default_configENS1_38merge_sort_block_merge_config_selectorIiNS0_10empty_typeEEEZZNS1_27merge_sort_block_merge_implIS3_N6thrust23THRUST_200600_302600_NS6detail15normal_iteratorINS9_10device_ptrIiEEEEPS5_jNS1_19radix_merge_compareILb0ELb1EiNS0_19identity_decomposerEEEEE10hipError_tT0_T1_T2_jT3_P12ihipStream_tbPNSt15iterator_traitsISK_E10value_typeEPNSQ_ISL_E10value_typeEPSM_NS1_7vsmem_tEENKUlT_SK_SL_SM_E_clIPiSE_SF_SF_EESJ_SZ_SK_SL_SM_EUlSZ_E0_NS1_11comp_targetILNS1_3genE10ELNS1_11target_archE1201ELNS1_3gpuE5ELNS1_3repE0EEENS1_38merge_mergepath_config_static_selectorELNS0_4arch9wavefront6targetE1EEEvSL_,comdat
.Lfunc_end1680:
	.size	_ZN7rocprim17ROCPRIM_400000_NS6detail17trampoline_kernelINS0_14default_configENS1_38merge_sort_block_merge_config_selectorIiNS0_10empty_typeEEEZZNS1_27merge_sort_block_merge_implIS3_N6thrust23THRUST_200600_302600_NS6detail15normal_iteratorINS9_10device_ptrIiEEEEPS5_jNS1_19radix_merge_compareILb0ELb1EiNS0_19identity_decomposerEEEEE10hipError_tT0_T1_T2_jT3_P12ihipStream_tbPNSt15iterator_traitsISK_E10value_typeEPNSQ_ISL_E10value_typeEPSM_NS1_7vsmem_tEENKUlT_SK_SL_SM_E_clIPiSE_SF_SF_EESJ_SZ_SK_SL_SM_EUlSZ_E0_NS1_11comp_targetILNS1_3genE10ELNS1_11target_archE1201ELNS1_3gpuE5ELNS1_3repE0EEENS1_38merge_mergepath_config_static_selectorELNS0_4arch9wavefront6targetE1EEEvSL_, .Lfunc_end1680-_ZN7rocprim17ROCPRIM_400000_NS6detail17trampoline_kernelINS0_14default_configENS1_38merge_sort_block_merge_config_selectorIiNS0_10empty_typeEEEZZNS1_27merge_sort_block_merge_implIS3_N6thrust23THRUST_200600_302600_NS6detail15normal_iteratorINS9_10device_ptrIiEEEEPS5_jNS1_19radix_merge_compareILb0ELb1EiNS0_19identity_decomposerEEEEE10hipError_tT0_T1_T2_jT3_P12ihipStream_tbPNSt15iterator_traitsISK_E10value_typeEPNSQ_ISL_E10value_typeEPSM_NS1_7vsmem_tEENKUlT_SK_SL_SM_E_clIPiSE_SF_SF_EESJ_SZ_SK_SL_SM_EUlSZ_E0_NS1_11comp_targetILNS1_3genE10ELNS1_11target_archE1201ELNS1_3gpuE5ELNS1_3repE0EEENS1_38merge_mergepath_config_static_selectorELNS0_4arch9wavefront6targetE1EEEvSL_
                                        ; -- End function
	.section	.AMDGPU.csdata,"",@progbits
; Kernel info:
; codeLenInByte = 0
; NumSgprs: 6
; NumVgprs: 0
; NumAgprs: 0
; TotalNumVgprs: 0
; ScratchSize: 0
; MemoryBound: 0
; FloatMode: 240
; IeeeMode: 1
; LDSByteSize: 0 bytes/workgroup (compile time only)
; SGPRBlocks: 0
; VGPRBlocks: 0
; NumSGPRsForWavesPerEU: 6
; NumVGPRsForWavesPerEU: 1
; AccumOffset: 4
; Occupancy: 8
; WaveLimiterHint : 0
; COMPUTE_PGM_RSRC2:SCRATCH_EN: 0
; COMPUTE_PGM_RSRC2:USER_SGPR: 2
; COMPUTE_PGM_RSRC2:TRAP_HANDLER: 0
; COMPUTE_PGM_RSRC2:TGID_X_EN: 1
; COMPUTE_PGM_RSRC2:TGID_Y_EN: 0
; COMPUTE_PGM_RSRC2:TGID_Z_EN: 0
; COMPUTE_PGM_RSRC2:TIDIG_COMP_CNT: 0
; COMPUTE_PGM_RSRC3_GFX90A:ACCUM_OFFSET: 0
; COMPUTE_PGM_RSRC3_GFX90A:TG_SPLIT: 0
	.section	.text._ZN7rocprim17ROCPRIM_400000_NS6detail17trampoline_kernelINS0_14default_configENS1_38merge_sort_block_merge_config_selectorIiNS0_10empty_typeEEEZZNS1_27merge_sort_block_merge_implIS3_N6thrust23THRUST_200600_302600_NS6detail15normal_iteratorINS9_10device_ptrIiEEEEPS5_jNS1_19radix_merge_compareILb0ELb1EiNS0_19identity_decomposerEEEEE10hipError_tT0_T1_T2_jT3_P12ihipStream_tbPNSt15iterator_traitsISK_E10value_typeEPNSQ_ISL_E10value_typeEPSM_NS1_7vsmem_tEENKUlT_SK_SL_SM_E_clIPiSE_SF_SF_EESJ_SZ_SK_SL_SM_EUlSZ_E0_NS1_11comp_targetILNS1_3genE5ELNS1_11target_archE942ELNS1_3gpuE9ELNS1_3repE0EEENS1_38merge_mergepath_config_static_selectorELNS0_4arch9wavefront6targetE1EEEvSL_,"axG",@progbits,_ZN7rocprim17ROCPRIM_400000_NS6detail17trampoline_kernelINS0_14default_configENS1_38merge_sort_block_merge_config_selectorIiNS0_10empty_typeEEEZZNS1_27merge_sort_block_merge_implIS3_N6thrust23THRUST_200600_302600_NS6detail15normal_iteratorINS9_10device_ptrIiEEEEPS5_jNS1_19radix_merge_compareILb0ELb1EiNS0_19identity_decomposerEEEEE10hipError_tT0_T1_T2_jT3_P12ihipStream_tbPNSt15iterator_traitsISK_E10value_typeEPNSQ_ISL_E10value_typeEPSM_NS1_7vsmem_tEENKUlT_SK_SL_SM_E_clIPiSE_SF_SF_EESJ_SZ_SK_SL_SM_EUlSZ_E0_NS1_11comp_targetILNS1_3genE5ELNS1_11target_archE942ELNS1_3gpuE9ELNS1_3repE0EEENS1_38merge_mergepath_config_static_selectorELNS0_4arch9wavefront6targetE1EEEvSL_,comdat
	.protected	_ZN7rocprim17ROCPRIM_400000_NS6detail17trampoline_kernelINS0_14default_configENS1_38merge_sort_block_merge_config_selectorIiNS0_10empty_typeEEEZZNS1_27merge_sort_block_merge_implIS3_N6thrust23THRUST_200600_302600_NS6detail15normal_iteratorINS9_10device_ptrIiEEEEPS5_jNS1_19radix_merge_compareILb0ELb1EiNS0_19identity_decomposerEEEEE10hipError_tT0_T1_T2_jT3_P12ihipStream_tbPNSt15iterator_traitsISK_E10value_typeEPNSQ_ISL_E10value_typeEPSM_NS1_7vsmem_tEENKUlT_SK_SL_SM_E_clIPiSE_SF_SF_EESJ_SZ_SK_SL_SM_EUlSZ_E0_NS1_11comp_targetILNS1_3genE5ELNS1_11target_archE942ELNS1_3gpuE9ELNS1_3repE0EEENS1_38merge_mergepath_config_static_selectorELNS0_4arch9wavefront6targetE1EEEvSL_ ; -- Begin function _ZN7rocprim17ROCPRIM_400000_NS6detail17trampoline_kernelINS0_14default_configENS1_38merge_sort_block_merge_config_selectorIiNS0_10empty_typeEEEZZNS1_27merge_sort_block_merge_implIS3_N6thrust23THRUST_200600_302600_NS6detail15normal_iteratorINS9_10device_ptrIiEEEEPS5_jNS1_19radix_merge_compareILb0ELb1EiNS0_19identity_decomposerEEEEE10hipError_tT0_T1_T2_jT3_P12ihipStream_tbPNSt15iterator_traitsISK_E10value_typeEPNSQ_ISL_E10value_typeEPSM_NS1_7vsmem_tEENKUlT_SK_SL_SM_E_clIPiSE_SF_SF_EESJ_SZ_SK_SL_SM_EUlSZ_E0_NS1_11comp_targetILNS1_3genE5ELNS1_11target_archE942ELNS1_3gpuE9ELNS1_3repE0EEENS1_38merge_mergepath_config_static_selectorELNS0_4arch9wavefront6targetE1EEEvSL_
	.globl	_ZN7rocprim17ROCPRIM_400000_NS6detail17trampoline_kernelINS0_14default_configENS1_38merge_sort_block_merge_config_selectorIiNS0_10empty_typeEEEZZNS1_27merge_sort_block_merge_implIS3_N6thrust23THRUST_200600_302600_NS6detail15normal_iteratorINS9_10device_ptrIiEEEEPS5_jNS1_19radix_merge_compareILb0ELb1EiNS0_19identity_decomposerEEEEE10hipError_tT0_T1_T2_jT3_P12ihipStream_tbPNSt15iterator_traitsISK_E10value_typeEPNSQ_ISL_E10value_typeEPSM_NS1_7vsmem_tEENKUlT_SK_SL_SM_E_clIPiSE_SF_SF_EESJ_SZ_SK_SL_SM_EUlSZ_E0_NS1_11comp_targetILNS1_3genE5ELNS1_11target_archE942ELNS1_3gpuE9ELNS1_3repE0EEENS1_38merge_mergepath_config_static_selectorELNS0_4arch9wavefront6targetE1EEEvSL_
	.p2align	8
	.type	_ZN7rocprim17ROCPRIM_400000_NS6detail17trampoline_kernelINS0_14default_configENS1_38merge_sort_block_merge_config_selectorIiNS0_10empty_typeEEEZZNS1_27merge_sort_block_merge_implIS3_N6thrust23THRUST_200600_302600_NS6detail15normal_iteratorINS9_10device_ptrIiEEEEPS5_jNS1_19radix_merge_compareILb0ELb1EiNS0_19identity_decomposerEEEEE10hipError_tT0_T1_T2_jT3_P12ihipStream_tbPNSt15iterator_traitsISK_E10value_typeEPNSQ_ISL_E10value_typeEPSM_NS1_7vsmem_tEENKUlT_SK_SL_SM_E_clIPiSE_SF_SF_EESJ_SZ_SK_SL_SM_EUlSZ_E0_NS1_11comp_targetILNS1_3genE5ELNS1_11target_archE942ELNS1_3gpuE9ELNS1_3repE0EEENS1_38merge_mergepath_config_static_selectorELNS0_4arch9wavefront6targetE1EEEvSL_,@function
_ZN7rocprim17ROCPRIM_400000_NS6detail17trampoline_kernelINS0_14default_configENS1_38merge_sort_block_merge_config_selectorIiNS0_10empty_typeEEEZZNS1_27merge_sort_block_merge_implIS3_N6thrust23THRUST_200600_302600_NS6detail15normal_iteratorINS9_10device_ptrIiEEEEPS5_jNS1_19radix_merge_compareILb0ELb1EiNS0_19identity_decomposerEEEEE10hipError_tT0_T1_T2_jT3_P12ihipStream_tbPNSt15iterator_traitsISK_E10value_typeEPNSQ_ISL_E10value_typeEPSM_NS1_7vsmem_tEENKUlT_SK_SL_SM_E_clIPiSE_SF_SF_EESJ_SZ_SK_SL_SM_EUlSZ_E0_NS1_11comp_targetILNS1_3genE5ELNS1_11target_archE942ELNS1_3gpuE9ELNS1_3repE0EEENS1_38merge_mergepath_config_static_selectorELNS0_4arch9wavefront6targetE1EEEvSL_: ; @_ZN7rocprim17ROCPRIM_400000_NS6detail17trampoline_kernelINS0_14default_configENS1_38merge_sort_block_merge_config_selectorIiNS0_10empty_typeEEEZZNS1_27merge_sort_block_merge_implIS3_N6thrust23THRUST_200600_302600_NS6detail15normal_iteratorINS9_10device_ptrIiEEEEPS5_jNS1_19radix_merge_compareILb0ELb1EiNS0_19identity_decomposerEEEEE10hipError_tT0_T1_T2_jT3_P12ihipStream_tbPNSt15iterator_traitsISK_E10value_typeEPNSQ_ISL_E10value_typeEPSM_NS1_7vsmem_tEENKUlT_SK_SL_SM_E_clIPiSE_SF_SF_EESJ_SZ_SK_SL_SM_EUlSZ_E0_NS1_11comp_targetILNS1_3genE5ELNS1_11target_archE942ELNS1_3gpuE9ELNS1_3repE0EEENS1_38merge_mergepath_config_static_selectorELNS0_4arch9wavefront6targetE1EEEvSL_
; %bb.0:
	s_load_dwordx2 s[12:13], s[0:1], 0x40
	s_load_dwordx2 s[16:17], s[0:1], 0x30
	s_add_u32 s8, s0, 64
	s_addc_u32 s9, s1, 0
	s_waitcnt lgkmcnt(0)
	s_mul_i32 s4, s13, s4
	s_add_i32 s3, s4, s3
	s_mul_i32 s3, s3, s12
	s_add_i32 s10, s3, s2
	s_cmp_ge_u32 s10, s16
	s_cbranch_scc1 .LBB1681_43
; %bb.1:
	s_load_dwordx2 s[14:15], s[0:1], 0x28
	s_load_dwordx2 s[4:5], s[0:1], 0x38
	;; [unrolled: 1-line block ×3, first 2 shown]
	s_mov_b32 s11, 0
	v_mov_b32_e32 v11, 0
	s_waitcnt lgkmcnt(0)
	s_lshr_b32 s22, s14, 10
	s_cmp_lg_u32 s10, s22
	s_cselect_b64 s[18:19], -1, 0
	s_lshl_b64 s[20:21], s[10:11], 2
	s_add_u32 s4, s4, s20
	s_addc_u32 s5, s5, s21
	s_lshr_b32 s3, s15, 9
	s_and_b32 s3, s3, 0x7ffffe
	s_load_dwordx2 s[4:5], s[4:5], 0x0
	s_sub_i32 s3, 0, s3
	s_and_b32 s13, s10, s3
	s_lshl_b32 s21, s13, 10
	s_lshl_b32 s16, s10, 10
	;; [unrolled: 1-line block ×3, first 2 shown]
	s_sub_i32 s20, s16, s21
	s_add_i32 s13, s13, s15
	s_add_i32 s23, s13, s20
	s_waitcnt lgkmcnt(0)
	s_sub_i32 s20, s23, s4
	s_sub_i32 s23, s23, s5
	;; [unrolled: 1-line block ×3, first 2 shown]
	s_min_u32 s20, s14, s20
	s_addk_i32 s23, 0x400
	s_or_b32 s3, s10, s3
	s_min_u32 s21, s14, s13
	s_add_i32 s13, s13, s15
	s_cmp_eq_u32 s3, -1
	s_cselect_b32 s3, s13, s23
	s_cselect_b32 s5, s21, s5
	s_min_u32 s3, s3, s14
	s_sub_i32 s15, s5, s4
	s_mov_b32 s5, s11
	s_sub_i32 s13, s3, s20
	s_lshl_b64 s[4:5], s[4:5], 2
	s_add_u32 s4, s6, s4
	s_mov_b32 s21, s11
	s_addc_u32 s5, s7, s5
	s_lshl_b64 s[20:21], s[20:21], 2
	s_add_u32 s6, s6, s20
	s_addc_u32 s7, s7, s21
	s_cmp_lt_u32 s2, s12
	s_cselect_b32 s2, 12, 18
	global_load_dword v1, v11, s[8:9] offset:14
	s_add_u32 s2, s8, s2
	s_addc_u32 s3, s9, 0
	global_load_ushort v2, v11, s[2:3]
	s_cmp_eq_u32 s10, s22
	v_lshlrev_b32_e32 v10, 2, v0
	s_waitcnt vmcnt(1)
	v_lshrrev_b32_e32 v3, 16, v1
	v_and_b32_e32 v1, 0xffff, v1
	v_mul_lo_u32 v1, v1, v3
	s_waitcnt vmcnt(0)
	v_mul_lo_u32 v1, v1, v2
	v_add_u32_e32 v14, v1, v0
	v_add_u32_e32 v12, v14, v1
	s_cbranch_scc1 .LBB1681_3
; %bb.2:
	v_subrev_u32_e32 v4, s15, v0
	v_mov_b32_e32 v5, v11
	v_lshl_add_u64 v[2:3], s[4:5], 0, v[10:11]
	v_lshl_add_u64 v[4:5], v[4:5], 2, s[6:7]
	v_cmp_gt_u32_e32 vcc, s15, v0
	v_mov_b32_e32 v15, v11
	v_subrev_u32_e32 v6, s15, v14
	v_mov_b32_e32 v7, v11
	v_cndmask_b32_e32 v3, v5, v3, vcc
	v_cndmask_b32_e32 v2, v4, v2, vcc
	v_lshl_add_u64 v[4:5], v[14:15], 2, s[4:5]
	v_lshl_add_u64 v[6:7], v[6:7], 2, s[6:7]
	v_cmp_gt_u32_e32 vcc, s15, v14
	v_mov_b32_e32 v13, v11
	global_load_dword v2, v[2:3], off
	v_cndmask_b32_e32 v5, v7, v5, vcc
	v_cndmask_b32_e32 v4, v6, v4, vcc
	v_subrev_u32_e32 v6, s15, v12
	v_mov_b32_e32 v7, v11
	global_load_dword v3, v[4:5], off
	v_lshl_add_u64 v[4:5], v[12:13], 2, s[4:5]
	v_lshl_add_u64 v[6:7], v[6:7], 2, s[6:7]
	v_cmp_gt_u32_e32 vcc, s15, v12
	v_mov_b32_e32 v17, v11
	v_mov_b32_e32 v19, v11
	v_cndmask_b32_e32 v4, v6, v4, vcc
	v_add_u32_e32 v6, v12, v1
	v_cndmask_b32_e32 v5, v7, v5, vcc
	v_mov_b32_e32 v7, v11
	v_subrev_u32_e32 v16, s15, v6
	v_lshl_add_u64 v[8:9], v[6:7], 2, s[4:5]
	v_lshl_add_u64 v[16:17], v[16:17], 2, s[6:7]
	v_cmp_gt_u32_e32 vcc, s15, v6
	global_load_dword v4, v[4:5], off
	v_mov_b32_e32 v21, v11
	v_cndmask_b32_e32 v9, v17, v9, vcc
	v_cndmask_b32_e32 v8, v16, v8, vcc
	global_load_dword v5, v[8:9], off
	v_add_u32_e32 v8, v6, v1
	v_mov_b32_e32 v9, v11
	v_lshl_add_u64 v[6:7], v[8:9], 2, s[4:5]
	v_subrev_u32_e32 v16, s15, v8
	v_mov_b32_e32 v17, v11
	v_cmp_gt_u32_e32 vcc, s15, v8
	v_add_u32_e32 v8, v8, v1
	v_lshl_add_u64 v[16:17], v[16:17], 2, s[6:7]
	v_subrev_u32_e32 v18, s15, v8
	v_cndmask_b32_e32 v7, v17, v7, vcc
	v_cndmask_b32_e32 v6, v16, v6, vcc
	v_lshl_add_u64 v[16:17], v[8:9], 2, s[4:5]
	v_lshl_add_u64 v[18:19], v[18:19], 2, s[6:7]
	v_cmp_gt_u32_e32 vcc, s15, v8
	global_load_dword v6, v[6:7], off
	s_add_i32 s24, s13, s15
	v_cndmask_b32_e32 v17, v19, v17, vcc
	v_cndmask_b32_e32 v16, v18, v16, vcc
	global_load_dword v7, v[16:17], off
	v_add_u32_e32 v16, v8, v1
	v_mov_b32_e32 v17, v11
	v_lshl_add_u64 v[8:9], v[16:17], 2, s[4:5]
	v_subrev_u32_e32 v18, s15, v16
	v_mov_b32_e32 v19, v11
	v_cmp_gt_u32_e32 vcc, s15, v16
	v_add_u32_e32 v16, v16, v1
	v_lshl_add_u64 v[18:19], v[18:19], 2, s[6:7]
	v_subrev_u32_e32 v20, s15, v16
	v_cndmask_b32_e32 v9, v19, v9, vcc
	v_cndmask_b32_e32 v8, v18, v8, vcc
	v_lshl_add_u64 v[18:19], v[16:17], 2, s[4:5]
	v_lshl_add_u64 v[20:21], v[20:21], 2, s[6:7]
	v_cmp_gt_u32_e32 vcc, s15, v16
	global_load_dword v8, v[8:9], off
	s_nop 0
	v_cndmask_b32_e32 v17, v21, v19, vcc
	v_cndmask_b32_e32 v16, v20, v18, vcc
	global_load_dword v9, v[16:17], off
	s_load_dwordx2 s[20:21], s[0:1], 0x10
	s_cbranch_execz .LBB1681_4
	s_branch .LBB1681_19
.LBB1681_3:
                                        ; implicit-def: $vgpr2_vgpr3_vgpr4_vgpr5_vgpr6_vgpr7_vgpr8_vgpr9
                                        ; implicit-def: $sgpr24
	s_load_dwordx2 s[20:21], s[0:1], 0x10
.LBB1681_4:
	s_add_i32 s24, s13, s15
	v_cmp_gt_u32_e32 vcc, s24, v0
                                        ; implicit-def: $vgpr2_vgpr3_vgpr4_vgpr5_vgpr6_vgpr7_vgpr8_vgpr9
	s_and_saveexec_b64 s[0:1], vcc
	s_cbranch_execnz .LBB1681_44
; %bb.5:
	s_or_b64 exec, exec, s[0:1]
	v_cmp_gt_u32_e32 vcc, s24, v14
	s_and_saveexec_b64 s[0:1], vcc
	s_cbranch_execnz .LBB1681_45
.LBB1681_6:
	s_or_b64 exec, exec, s[0:1]
	v_cmp_gt_u32_e32 vcc, s24, v12
	s_and_saveexec_b64 s[0:1], vcc
	s_cbranch_execz .LBB1681_8
.LBB1681_7:
	v_mov_b32_e32 v13, 0
	v_subrev_u32_e32 v16, s15, v12
	v_mov_b32_e32 v17, v13
	v_lshl_add_u64 v[14:15], v[12:13], 2, s[4:5]
	v_lshl_add_u64 v[16:17], v[16:17], 2, s[6:7]
	v_cmp_gt_u32_e32 vcc, s15, v12
	s_nop 1
	v_cndmask_b32_e32 v15, v17, v15, vcc
	v_cndmask_b32_e32 v14, v16, v14, vcc
	global_load_dword v4, v[14:15], off
.LBB1681_8:
	s_or_b64 exec, exec, s[0:1]
	v_add_u32_e32 v12, v12, v1
	v_cmp_gt_u32_e32 vcc, s24, v12
	s_and_saveexec_b64 s[0:1], vcc
	s_cbranch_execz .LBB1681_10
; %bb.9:
	v_mov_b32_e32 v13, 0
	v_subrev_u32_e32 v16, s15, v12
	v_mov_b32_e32 v17, v13
	v_lshl_add_u64 v[14:15], v[12:13], 2, s[4:5]
	v_lshl_add_u64 v[16:17], v[16:17], 2, s[6:7]
	v_cmp_gt_u32_e32 vcc, s15, v12
	s_nop 1
	v_cndmask_b32_e32 v15, v17, v15, vcc
	v_cndmask_b32_e32 v14, v16, v14, vcc
	global_load_dword v5, v[14:15], off
.LBB1681_10:
	s_or_b64 exec, exec, s[0:1]
	v_add_u32_e32 v12, v12, v1
	v_cmp_gt_u32_e32 vcc, s24, v12
	s_and_saveexec_b64 s[0:1], vcc
	s_cbranch_execz .LBB1681_12
; %bb.11:
	v_mov_b32_e32 v13, 0
	v_subrev_u32_e32 v16, s15, v12
	v_mov_b32_e32 v17, v13
	v_lshl_add_u64 v[14:15], v[12:13], 2, s[4:5]
	v_lshl_add_u64 v[16:17], v[16:17], 2, s[6:7]
	v_cmp_gt_u32_e32 vcc, s15, v12
	s_nop 1
	v_cndmask_b32_e32 v15, v17, v15, vcc
	v_cndmask_b32_e32 v14, v16, v14, vcc
	global_load_dword v6, v[14:15], off
.LBB1681_12:
	;; [unrolled: 17-line block ×4, first 2 shown]
	s_or_b64 exec, exec, s[0:1]
	v_add_u32_e32 v12, v12, v1
	v_cmp_gt_u32_e32 vcc, s24, v12
	s_and_saveexec_b64 s[0:1], vcc
	s_cbranch_execz .LBB1681_18
; %bb.17:
	v_mov_b32_e32 v13, 0
	v_lshl_add_u64 v[14:15], v[12:13], 2, s[4:5]
	v_cmp_gt_u32_e32 vcc, s15, v12
	v_subrev_u32_e32 v12, s15, v12
	v_lshl_add_u64 v[12:13], v[12:13], 2, s[6:7]
	v_cndmask_b32_e32 v13, v13, v15, vcc
	v_cndmask_b32_e32 v12, v12, v14, vcc
	global_load_dword v9, v[12:13], off
.LBB1681_18:
	s_or_b64 exec, exec, s[0:1]
.LBB1681_19:
	v_lshlrev_b32_e32 v1, 3, v0
	v_min_u32_e32 v12, s24, v1
	v_sub_u32_e64 v11, v12, s13 clamp
	v_min_u32_e32 v13, s15, v12
	v_cmp_lt_u32_e32 vcc, v11, v13
	s_waitcnt vmcnt(0)
	ds_write2st64_b32 v10, v2, v3 offset1:2
	ds_write2st64_b32 v10, v4, v5 offset0:4 offset1:6
	ds_write2st64_b32 v10, v6, v7 offset0:8 offset1:10
	;; [unrolled: 1-line block ×3, first 2 shown]
	s_waitcnt lgkmcnt(0)
	s_barrier
	s_and_saveexec_b64 s[0:1], vcc
	s_cbranch_execz .LBB1681_23
; %bb.20:
	v_lshlrev_b32_e32 v14, 2, v12
	v_lshl_add_u32 v14, s15, 2, v14
	s_mov_b64 s[2:3], 0
.LBB1681_21:                            ; =>This Inner Loop Header: Depth=1
	v_add_u32_e32 v15, v13, v11
	v_lshrrev_b32_e32 v15, 1, v15
	v_not_b32_e32 v16, v15
	v_lshlrev_b32_e32 v17, 2, v15
	v_lshl_add_u32 v16, v16, 2, v14
	ds_read_b32 v17, v17
	ds_read_b32 v16, v16
	v_add_u32_e32 v18, 1, v15
	s_waitcnt lgkmcnt(1)
	v_and_b32_e32 v17, s17, v17
	s_waitcnt lgkmcnt(0)
	v_and_b32_e32 v16, s17, v16
	v_cmp_gt_i32_e32 vcc, v17, v16
	s_nop 1
	v_cndmask_b32_e32 v13, v13, v15, vcc
	v_cndmask_b32_e32 v11, v18, v11, vcc
	v_cmp_ge_u32_e32 vcc, v11, v13
	s_or_b64 s[2:3], vcc, s[2:3]
	s_andn2_b64 exec, exec, s[2:3]
	s_cbranch_execnz .LBB1681_21
; %bb.22:
	s_or_b64 exec, exec, s[2:3]
.LBB1681_23:
	s_or_b64 exec, exec, s[0:1]
	v_sub_u32_e32 v12, v12, v11
	v_add_u32_e32 v12, s15, v12
	v_cmp_ge_u32_e32 vcc, s15, v11
	v_cmp_ge_u32_e64 s[0:1], s24, v12
	s_or_b64 s[0:1], vcc, s[0:1]
	s_and_saveexec_b64 s[22:23], s[0:1]
	s_cbranch_execz .LBB1681_29
; %bb.24:
	v_cmp_gt_u32_e32 vcc, s15, v11
                                        ; implicit-def: $vgpr2
	s_and_saveexec_b64 s[0:1], vcc
	s_cbranch_execz .LBB1681_26
; %bb.25:
	v_lshlrev_b32_e32 v2, 2, v11
	ds_read_b32 v2, v2
.LBB1681_26:
	s_or_b64 exec, exec, s[0:1]
	v_cmp_le_u32_e64 s[0:1], s24, v12
	v_cmp_gt_u32_e64 s[2:3], s24, v12
                                        ; implicit-def: $vgpr3
	s_and_saveexec_b64 s[4:5], s[2:3]
	s_cbranch_execz .LBB1681_28
; %bb.27:
	v_lshlrev_b32_e32 v3, 2, v12
	ds_read_b32 v3, v3
.LBB1681_28:
	s_or_b64 exec, exec, s[4:5]
	s_waitcnt lgkmcnt(0)
	v_and_b32_e32 v4, s17, v3
	v_and_b32_e32 v5, s17, v2
	v_cmp_le_i32_e64 s[2:3], v5, v4
	s_and_b64 s[2:3], vcc, s[2:3]
	s_or_b64 vcc, s[0:1], s[2:3]
	v_mov_b32_e32 v5, s24
	v_mov_b32_e32 v6, s15
	v_cndmask_b32_e32 v4, v12, v11, vcc
	v_cndmask_b32_e32 v7, v5, v6, vcc
	v_add_u32_e32 v4, 1, v4
	v_add_u32_e32 v7, -1, v7
	v_min_u32_e32 v7, v4, v7
	v_lshlrev_b32_e32 v7, 2, v7
	ds_read_b32 v7, v7
	v_cndmask_b32_e32 v9, v4, v12, vcc
	v_cndmask_b32_e32 v4, v11, v4, vcc
	v_cmp_gt_u32_e64 s[2:3], s15, v4
	v_cmp_le_u32_e64 s[0:1], s24, v9
	s_waitcnt lgkmcnt(0)
	v_cndmask_b32_e32 v8, v7, v3, vcc
	v_cndmask_b32_e32 v7, v2, v7, vcc
	v_and_b32_e32 v11, s17, v8
	v_and_b32_e32 v12, s17, v7
	v_cmp_le_i32_e64 s[4:5], v12, v11
	s_and_b64 s[2:3], s[2:3], s[4:5]
	s_or_b64 s[0:1], s[0:1], s[2:3]
	v_cndmask_b32_e64 v11, v9, v4, s[0:1]
	v_cndmask_b32_e64 v12, v5, v6, s[0:1]
	v_add_u32_e32 v11, 1, v11
	v_add_u32_e32 v12, -1, v12
	v_min_u32_e32 v12, v11, v12
	v_lshlrev_b32_e32 v12, 2, v12
	ds_read_b32 v12, v12
	v_cndmask_b32_e64 v9, v11, v9, s[0:1]
	v_cndmask_b32_e64 v4, v4, v11, s[0:1]
	v_cmp_gt_u32_e64 s[4:5], s15, v4
	v_cmp_le_u32_e64 s[2:3], s24, v9
	s_waitcnt lgkmcnt(0)
	v_cndmask_b32_e64 v13, v12, v8, s[0:1]
	v_cndmask_b32_e64 v12, v7, v12, s[0:1]
	v_and_b32_e32 v11, s17, v13
	v_and_b32_e32 v14, s17, v12
	v_cmp_le_i32_e64 s[6:7], v14, v11
	s_and_b64 s[4:5], s[4:5], s[6:7]
	s_or_b64 s[2:3], s[2:3], s[4:5]
	v_cndmask_b32_e64 v11, v9, v4, s[2:3]
	v_cndmask_b32_e64 v14, v5, v6, s[2:3]
	v_add_u32_e32 v11, 1, v11
	v_add_u32_e32 v14, -1, v14
	v_min_u32_e32 v14, v11, v14
	v_lshlrev_b32_e32 v14, 2, v14
	ds_read_b32 v14, v14
	v_cndmask_b32_e64 v9, v11, v9, s[2:3]
	v_cndmask_b32_e64 v4, v4, v11, s[2:3]
	v_cmp_gt_u32_e64 s[6:7], s15, v4
	v_cmp_le_u32_e64 s[4:5], s24, v9
	s_waitcnt lgkmcnt(0)
	v_cndmask_b32_e64 v15, v14, v13, s[2:3]
	v_cndmask_b32_e64 v14, v12, v14, s[2:3]
	v_and_b32_e32 v11, s17, v15
	v_and_b32_e32 v16, s17, v14
	v_cmp_le_i32_e64 s[8:9], v16, v11
	s_and_b64 s[6:7], s[6:7], s[8:9]
	s_or_b64 s[4:5], s[4:5], s[6:7]
	v_cndmask_b32_e64 v11, v9, v4, s[4:5]
	v_cndmask_b32_e64 v16, v5, v6, s[4:5]
	v_add_u32_e32 v11, 1, v11
	v_add_u32_e32 v16, -1, v16
	v_min_u32_e32 v16, v11, v16
	v_lshlrev_b32_e32 v16, 2, v16
	ds_read_b32 v16, v16
	v_cndmask_b32_e64 v9, v11, v9, s[4:5]
	v_cndmask_b32_e64 v4, v4, v11, s[4:5]
	v_cmp_gt_u32_e64 s[8:9], s15, v4
	v_cmp_le_u32_e64 s[6:7], s24, v9
	s_waitcnt lgkmcnt(0)
	v_cndmask_b32_e64 v17, v16, v15, s[4:5]
	v_cndmask_b32_e64 v16, v14, v16, s[4:5]
	v_and_b32_e32 v11, s17, v17
	v_and_b32_e32 v18, s17, v16
	v_cmp_le_i32_e64 s[10:11], v18, v11
	s_and_b64 s[8:9], s[8:9], s[10:11]
	s_or_b64 s[6:7], s[6:7], s[8:9]
	v_cndmask_b32_e64 v11, v9, v4, s[6:7]
	v_cndmask_b32_e64 v18, v5, v6, s[6:7]
	v_add_u32_e32 v11, 1, v11
	v_add_u32_e32 v18, -1, v18
	v_min_u32_e32 v18, v11, v18
	v_lshlrev_b32_e32 v18, 2, v18
	ds_read_b32 v18, v18
	v_cndmask_b32_e64 v9, v11, v9, s[6:7]
	v_cndmask_b32_e64 v11, v4, v11, s[6:7]
	v_cmp_gt_u32_e64 s[10:11], s15, v11
	v_cmp_le_u32_e64 s[8:9], s24, v9
	s_waitcnt lgkmcnt(0)
	v_cndmask_b32_e64 v19, v18, v17, s[6:7]
	v_cndmask_b32_e64 v18, v16, v18, s[6:7]
	v_and_b32_e32 v4, s17, v19
	v_and_b32_e32 v20, s17, v18
	v_cmp_le_i32_e64 s[12:13], v20, v4
	s_and_b64 s[10:11], s[10:11], s[12:13]
	s_or_b64 s[8:9], s[8:9], s[10:11]
	v_cndmask_b32_e64 v4, v9, v11, s[8:9]
	v_cndmask_b32_e64 v20, v5, v6, s[8:9]
	v_add_u32_e32 v21, 1, v4
	v_add_u32_e32 v4, -1, v20
	v_min_u32_e32 v4, v21, v4
	v_lshlrev_b32_e32 v4, 2, v4
	ds_read_b32 v20, v4
	v_cndmask_b32_e64 v4, v13, v12, s[2:3]
	v_cndmask_b32_e32 v2, v3, v2, vcc
	v_cndmask_b32_e64 v3, v8, v7, s[0:1]
	v_cndmask_b32_e64 v11, v11, v21, s[8:9]
	s_waitcnt lgkmcnt(0)
	v_cndmask_b32_e64 v12, v20, v19, s[8:9]
	v_cndmask_b32_e64 v13, v18, v20, s[8:9]
	v_and_b32_e32 v7, s17, v12
	v_and_b32_e32 v8, s17, v13
	v_cndmask_b32_e64 v9, v21, v9, s[8:9]
	v_cmp_gt_u32_e64 s[0:1], s15, v11
	v_cmp_le_i32_e64 s[2:3], v8, v7
	v_cmp_le_u32_e32 vcc, s24, v9
	s_and_b64 s[0:1], s[0:1], s[2:3]
	s_or_b64 vcc, vcc, s[0:1]
	v_cndmask_b32_e32 v7, v9, v11, vcc
	v_cndmask_b32_e32 v5, v5, v6, vcc
	v_add_u32_e32 v20, 1, v7
	v_add_u32_e32 v5, -1, v5
	v_min_u32_e32 v5, v20, v5
	v_lshlrev_b32_e32 v5, 2, v5
	ds_read_b32 v21, v5
	v_cndmask_b32_e32 v8, v12, v13, vcc
	v_cndmask_b32_e32 v9, v20, v9, vcc
	v_cndmask_b32_e32 v11, v11, v20, vcc
	v_cmp_gt_u32_e64 s[0:1], s15, v11
	s_waitcnt lgkmcnt(0)
	v_cndmask_b32_e32 v12, v21, v12, vcc
	v_cndmask_b32_e32 v13, v13, v21, vcc
	v_cmp_le_u32_e32 vcc, s24, v9
	v_and_b32_e32 v9, s17, v12
	v_and_b32_e32 v11, s17, v13
	v_cmp_le_i32_e64 s[2:3], v11, v9
	s_and_b64 s[0:1], s[0:1], s[2:3]
	s_or_b64 vcc, vcc, s[0:1]
	v_cndmask_b32_e64 v5, v15, v14, s[4:5]
	v_cndmask_b32_e64 v6, v17, v16, s[6:7]
	v_cndmask_b32_e64 v7, v19, v18, s[8:9]
	v_cndmask_b32_e32 v9, v12, v13, vcc
.LBB1681_29:
	s_or_b64 exec, exec, s[22:23]
	v_and_b32_e32 v11, 0x7c, v0
	v_lshl_add_u32 v1, v1, 2, v11
	s_barrier
	s_barrier
	ds_write2_b32 v1, v2, v3 offset1:1
	ds_write2_b32 v1, v4, v5 offset0:2 offset1:3
	ds_write2_b32 v1, v6, v7 offset0:4 offset1:5
	;; [unrolled: 1-line block ×3, first 2 shown]
	v_lshrrev_b32_e32 v1, 3, v0
	v_and_b32_e32 v1, 12, v1
	v_or_b32_e32 v12, 0x80, v0
	v_add_u32_e32 v13, v10, v1
	v_lshrrev_b32_e32 v1, 3, v12
	v_and_b32_e32 v1, 28, v1
	v_or_b32_e32 v9, 0x100, v0
	v_add_u32_e32 v14, v10, v1
	;; [unrolled: 4-line block ×6, first 2 shown]
	v_lshrrev_b32_e32 v1, 3, v4
	s_mov_b32 s17, 0
	v_and_b32_e32 v1, 0x6c, v1
	s_lshl_b64 s[0:1], s[16:17], 2
	v_add_u32_e32 v19, v10, v1
	v_or_b32_e32 v1, 0x380, v0
	s_add_u32 s0, s20, s0
	v_lshrrev_b32_e32 v2, 3, v1
	s_addc_u32 s1, s21, s1
	v_and_b32_e32 v2, 0x7c, v2
	v_mov_b32_e32 v11, 0
	v_add_u32_e32 v20, v10, v2
	v_lshl_add_u64 v[2:3], s[0:1], 0, v[10:11]
	s_and_b64 vcc, exec, s[18:19]
	s_waitcnt lgkmcnt(0)
	s_cbranch_vccz .LBB1681_31
; %bb.30:
	s_barrier
	ds_read_b32 v10, v13
	ds_read_b32 v11, v14 offset:512
	ds_read_b32 v21, v15 offset:1024
	;; [unrolled: 1-line block ×7, first 2 shown]
	s_waitcnt lgkmcnt(7)
	global_store_dword v[2:3], v10, off
	s_waitcnt lgkmcnt(6)
	global_store_dword v[2:3], v11, off offset:512
	s_waitcnt lgkmcnt(5)
	global_store_dword v[2:3], v21, off offset:1024
	;; [unrolled: 2-line block ×6, first 2 shown]
	s_mov_b64 s[0:1], -1
	s_cbranch_execz .LBB1681_32
	s_branch .LBB1681_41
.LBB1681_31:
	s_mov_b64 s[0:1], 0
                                        ; implicit-def: $vgpr7
.LBB1681_32:
	s_barrier
	s_waitcnt lgkmcnt(0)
	ds_read_b32 v22, v14 offset:512
	ds_read_b32 v21, v15 offset:1024
	;; [unrolled: 1-line block ×7, first 2 shown]
	s_sub_i32 s2, s14, s16
	v_cmp_gt_u32_e32 vcc, s2, v0
	s_and_saveexec_b64 s[0:1], vcc
	s_cbranch_execnz .LBB1681_46
; %bb.33:
	s_or_b64 exec, exec, s[0:1]
	v_cmp_gt_u32_e32 vcc, s2, v12
	s_and_saveexec_b64 s[0:1], vcc
	s_cbranch_execnz .LBB1681_47
.LBB1681_34:
	s_or_b64 exec, exec, s[0:1]
	v_cmp_gt_u32_e32 vcc, s2, v9
	s_and_saveexec_b64 s[0:1], vcc
	s_cbranch_execnz .LBB1681_48
.LBB1681_35:
	s_or_b64 exec, exec, s[0:1]
	v_cmp_gt_u32_e32 vcc, s2, v8
	s_and_saveexec_b64 s[0:1], vcc
	s_cbranch_execnz .LBB1681_49
.LBB1681_36:
	s_or_b64 exec, exec, s[0:1]
	v_cmp_gt_u32_e32 vcc, s2, v6
	s_and_saveexec_b64 s[0:1], vcc
	s_cbranch_execnz .LBB1681_50
.LBB1681_37:
	s_or_b64 exec, exec, s[0:1]
	v_cmp_gt_u32_e32 vcc, s2, v5
	s_and_saveexec_b64 s[0:1], vcc
	s_cbranch_execnz .LBB1681_51
.LBB1681_38:
	s_or_b64 exec, exec, s[0:1]
	v_cmp_gt_u32_e32 vcc, s2, v4
	s_and_saveexec_b64 s[0:1], vcc
	s_cbranch_execz .LBB1681_40
.LBB1681_39:
	s_waitcnt lgkmcnt(1)
	global_store_dword v[2:3], v10, off offset:3072
.LBB1681_40:
	s_or_b64 exec, exec, s[0:1]
	v_cmp_gt_u32_e64 s[0:1], s2, v1
.LBB1681_41:
	s_and_saveexec_b64 s[2:3], s[0:1]
	s_cbranch_execz .LBB1681_43
; %bb.42:
	s_waitcnt lgkmcnt(0)
	global_store_dword v[2:3], v7, off offset:3584
.LBB1681_43:
	s_endpgm
.LBB1681_44:
	v_mov_b32_e32 v11, 0
	s_waitcnt vmcnt(5)
	v_subrev_u32_e32 v4, s15, v0
	s_waitcnt vmcnt(4)
	v_mov_b32_e32 v5, v11
	v_lshl_add_u64 v[2:3], s[4:5], 0, v[10:11]
	v_lshl_add_u64 v[4:5], v[4:5], 2, s[6:7]
	v_cmp_gt_u32_e32 vcc, s15, v0
	s_nop 1
	v_cndmask_b32_e32 v3, v5, v3, vcc
	v_cndmask_b32_e32 v2, v4, v2, vcc
	global_load_dword v2, v[2:3], off
	s_or_b64 exec, exec, s[0:1]
	v_cmp_gt_u32_e32 vcc, s24, v14
	s_and_saveexec_b64 s[0:1], vcc
	s_cbranch_execz .LBB1681_6
.LBB1681_45:
	v_mov_b32_e32 v15, 0
	v_lshl_add_u64 v[16:17], v[14:15], 2, s[4:5]
	v_cmp_gt_u32_e32 vcc, s15, v14
	v_subrev_u32_e32 v14, s15, v14
	v_lshl_add_u64 v[14:15], v[14:15], 2, s[6:7]
	v_cndmask_b32_e32 v15, v15, v17, vcc
	v_cndmask_b32_e32 v14, v14, v16, vcc
	global_load_dword v3, v[14:15], off
	s_or_b64 exec, exec, s[0:1]
	v_cmp_gt_u32_e32 vcc, s24, v12
	s_and_saveexec_b64 s[0:1], vcc
	s_cbranch_execnz .LBB1681_7
	s_branch .LBB1681_8
.LBB1681_46:
	ds_read_b32 v0, v13
	s_waitcnt lgkmcnt(0)
	global_store_dword v[2:3], v0, off
	s_or_b64 exec, exec, s[0:1]
	v_cmp_gt_u32_e32 vcc, s2, v12
	s_and_saveexec_b64 s[0:1], vcc
	s_cbranch_execz .LBB1681_34
.LBB1681_47:
	s_waitcnt lgkmcnt(6)
	global_store_dword v[2:3], v22, off offset:512
	s_or_b64 exec, exec, s[0:1]
	v_cmp_gt_u32_e32 vcc, s2, v9
	s_and_saveexec_b64 s[0:1], vcc
	s_cbranch_execz .LBB1681_35
.LBB1681_48:
	s_waitcnt lgkmcnt(5)
	global_store_dword v[2:3], v21, off offset:1024
	s_or_b64 exec, exec, s[0:1]
	v_cmp_gt_u32_e32 vcc, s2, v8
	s_and_saveexec_b64 s[0:1], vcc
	s_cbranch_execz .LBB1681_36
.LBB1681_49:
	s_waitcnt lgkmcnt(4)
	global_store_dword v[2:3], v15, off offset:1536
	s_or_b64 exec, exec, s[0:1]
	v_cmp_gt_u32_e32 vcc, s2, v6
	s_and_saveexec_b64 s[0:1], vcc
	s_cbranch_execz .LBB1681_37
.LBB1681_50:
	s_waitcnt lgkmcnt(3)
	global_store_dword v[2:3], v14, off offset:2048
	s_or_b64 exec, exec, s[0:1]
	v_cmp_gt_u32_e32 vcc, s2, v5
	s_and_saveexec_b64 s[0:1], vcc
	s_cbranch_execz .LBB1681_38
.LBB1681_51:
	s_waitcnt lgkmcnt(2)
	global_store_dword v[2:3], v11, off offset:2560
	s_or_b64 exec, exec, s[0:1]
	v_cmp_gt_u32_e32 vcc, s2, v4
	s_and_saveexec_b64 s[0:1], vcc
	s_cbranch_execnz .LBB1681_39
	s_branch .LBB1681_40
	.section	.rodata,"a",@progbits
	.p2align	6, 0x0
	.amdhsa_kernel _ZN7rocprim17ROCPRIM_400000_NS6detail17trampoline_kernelINS0_14default_configENS1_38merge_sort_block_merge_config_selectorIiNS0_10empty_typeEEEZZNS1_27merge_sort_block_merge_implIS3_N6thrust23THRUST_200600_302600_NS6detail15normal_iteratorINS9_10device_ptrIiEEEEPS5_jNS1_19radix_merge_compareILb0ELb1EiNS0_19identity_decomposerEEEEE10hipError_tT0_T1_T2_jT3_P12ihipStream_tbPNSt15iterator_traitsISK_E10value_typeEPNSQ_ISL_E10value_typeEPSM_NS1_7vsmem_tEENKUlT_SK_SL_SM_E_clIPiSE_SF_SF_EESJ_SZ_SK_SL_SM_EUlSZ_E0_NS1_11comp_targetILNS1_3genE5ELNS1_11target_archE942ELNS1_3gpuE9ELNS1_3repE0EEENS1_38merge_mergepath_config_static_selectorELNS0_4arch9wavefront6targetE1EEEvSL_
		.amdhsa_group_segment_fixed_size 4224
		.amdhsa_private_segment_fixed_size 0
		.amdhsa_kernarg_size 320
		.amdhsa_user_sgpr_count 2
		.amdhsa_user_sgpr_dispatch_ptr 0
		.amdhsa_user_sgpr_queue_ptr 0
		.amdhsa_user_sgpr_kernarg_segment_ptr 1
		.amdhsa_user_sgpr_dispatch_id 0
		.amdhsa_user_sgpr_kernarg_preload_length 0
		.amdhsa_user_sgpr_kernarg_preload_offset 0
		.amdhsa_user_sgpr_private_segment_size 0
		.amdhsa_uses_dynamic_stack 0
		.amdhsa_enable_private_segment 0
		.amdhsa_system_sgpr_workgroup_id_x 1
		.amdhsa_system_sgpr_workgroup_id_y 1
		.amdhsa_system_sgpr_workgroup_id_z 1
		.amdhsa_system_sgpr_workgroup_info 0
		.amdhsa_system_vgpr_workitem_id 0
		.amdhsa_next_free_vgpr 26
		.amdhsa_next_free_sgpr 25
		.amdhsa_accum_offset 28
		.amdhsa_reserve_vcc 1
		.amdhsa_float_round_mode_32 0
		.amdhsa_float_round_mode_16_64 0
		.amdhsa_float_denorm_mode_32 3
		.amdhsa_float_denorm_mode_16_64 3
		.amdhsa_dx10_clamp 1
		.amdhsa_ieee_mode 1
		.amdhsa_fp16_overflow 0
		.amdhsa_tg_split 0
		.amdhsa_exception_fp_ieee_invalid_op 0
		.amdhsa_exception_fp_denorm_src 0
		.amdhsa_exception_fp_ieee_div_zero 0
		.amdhsa_exception_fp_ieee_overflow 0
		.amdhsa_exception_fp_ieee_underflow 0
		.amdhsa_exception_fp_ieee_inexact 0
		.amdhsa_exception_int_div_zero 0
	.end_amdhsa_kernel
	.section	.text._ZN7rocprim17ROCPRIM_400000_NS6detail17trampoline_kernelINS0_14default_configENS1_38merge_sort_block_merge_config_selectorIiNS0_10empty_typeEEEZZNS1_27merge_sort_block_merge_implIS3_N6thrust23THRUST_200600_302600_NS6detail15normal_iteratorINS9_10device_ptrIiEEEEPS5_jNS1_19radix_merge_compareILb0ELb1EiNS0_19identity_decomposerEEEEE10hipError_tT0_T1_T2_jT3_P12ihipStream_tbPNSt15iterator_traitsISK_E10value_typeEPNSQ_ISL_E10value_typeEPSM_NS1_7vsmem_tEENKUlT_SK_SL_SM_E_clIPiSE_SF_SF_EESJ_SZ_SK_SL_SM_EUlSZ_E0_NS1_11comp_targetILNS1_3genE5ELNS1_11target_archE942ELNS1_3gpuE9ELNS1_3repE0EEENS1_38merge_mergepath_config_static_selectorELNS0_4arch9wavefront6targetE1EEEvSL_,"axG",@progbits,_ZN7rocprim17ROCPRIM_400000_NS6detail17trampoline_kernelINS0_14default_configENS1_38merge_sort_block_merge_config_selectorIiNS0_10empty_typeEEEZZNS1_27merge_sort_block_merge_implIS3_N6thrust23THRUST_200600_302600_NS6detail15normal_iteratorINS9_10device_ptrIiEEEEPS5_jNS1_19radix_merge_compareILb0ELb1EiNS0_19identity_decomposerEEEEE10hipError_tT0_T1_T2_jT3_P12ihipStream_tbPNSt15iterator_traitsISK_E10value_typeEPNSQ_ISL_E10value_typeEPSM_NS1_7vsmem_tEENKUlT_SK_SL_SM_E_clIPiSE_SF_SF_EESJ_SZ_SK_SL_SM_EUlSZ_E0_NS1_11comp_targetILNS1_3genE5ELNS1_11target_archE942ELNS1_3gpuE9ELNS1_3repE0EEENS1_38merge_mergepath_config_static_selectorELNS0_4arch9wavefront6targetE1EEEvSL_,comdat
.Lfunc_end1681:
	.size	_ZN7rocprim17ROCPRIM_400000_NS6detail17trampoline_kernelINS0_14default_configENS1_38merge_sort_block_merge_config_selectorIiNS0_10empty_typeEEEZZNS1_27merge_sort_block_merge_implIS3_N6thrust23THRUST_200600_302600_NS6detail15normal_iteratorINS9_10device_ptrIiEEEEPS5_jNS1_19radix_merge_compareILb0ELb1EiNS0_19identity_decomposerEEEEE10hipError_tT0_T1_T2_jT3_P12ihipStream_tbPNSt15iterator_traitsISK_E10value_typeEPNSQ_ISL_E10value_typeEPSM_NS1_7vsmem_tEENKUlT_SK_SL_SM_E_clIPiSE_SF_SF_EESJ_SZ_SK_SL_SM_EUlSZ_E0_NS1_11comp_targetILNS1_3genE5ELNS1_11target_archE942ELNS1_3gpuE9ELNS1_3repE0EEENS1_38merge_mergepath_config_static_selectorELNS0_4arch9wavefront6targetE1EEEvSL_, .Lfunc_end1681-_ZN7rocprim17ROCPRIM_400000_NS6detail17trampoline_kernelINS0_14default_configENS1_38merge_sort_block_merge_config_selectorIiNS0_10empty_typeEEEZZNS1_27merge_sort_block_merge_implIS3_N6thrust23THRUST_200600_302600_NS6detail15normal_iteratorINS9_10device_ptrIiEEEEPS5_jNS1_19radix_merge_compareILb0ELb1EiNS0_19identity_decomposerEEEEE10hipError_tT0_T1_T2_jT3_P12ihipStream_tbPNSt15iterator_traitsISK_E10value_typeEPNSQ_ISL_E10value_typeEPSM_NS1_7vsmem_tEENKUlT_SK_SL_SM_E_clIPiSE_SF_SF_EESJ_SZ_SK_SL_SM_EUlSZ_E0_NS1_11comp_targetILNS1_3genE5ELNS1_11target_archE942ELNS1_3gpuE9ELNS1_3repE0EEENS1_38merge_mergepath_config_static_selectorELNS0_4arch9wavefront6targetE1EEEvSL_
                                        ; -- End function
	.section	.AMDGPU.csdata,"",@progbits
; Kernel info:
; codeLenInByte = 3340
; NumSgprs: 31
; NumVgprs: 26
; NumAgprs: 0
; TotalNumVgprs: 26
; ScratchSize: 0
; MemoryBound: 0
; FloatMode: 240
; IeeeMode: 1
; LDSByteSize: 4224 bytes/workgroup (compile time only)
; SGPRBlocks: 3
; VGPRBlocks: 3
; NumSGPRsForWavesPerEU: 31
; NumVGPRsForWavesPerEU: 26
; AccumOffset: 28
; Occupancy: 8
; WaveLimiterHint : 1
; COMPUTE_PGM_RSRC2:SCRATCH_EN: 0
; COMPUTE_PGM_RSRC2:USER_SGPR: 2
; COMPUTE_PGM_RSRC2:TRAP_HANDLER: 0
; COMPUTE_PGM_RSRC2:TGID_X_EN: 1
; COMPUTE_PGM_RSRC2:TGID_Y_EN: 1
; COMPUTE_PGM_RSRC2:TGID_Z_EN: 1
; COMPUTE_PGM_RSRC2:TIDIG_COMP_CNT: 0
; COMPUTE_PGM_RSRC3_GFX90A:ACCUM_OFFSET: 6
; COMPUTE_PGM_RSRC3_GFX90A:TG_SPLIT: 0
	.section	.text._ZN7rocprim17ROCPRIM_400000_NS6detail17trampoline_kernelINS0_14default_configENS1_38merge_sort_block_merge_config_selectorIiNS0_10empty_typeEEEZZNS1_27merge_sort_block_merge_implIS3_N6thrust23THRUST_200600_302600_NS6detail15normal_iteratorINS9_10device_ptrIiEEEEPS5_jNS1_19radix_merge_compareILb0ELb1EiNS0_19identity_decomposerEEEEE10hipError_tT0_T1_T2_jT3_P12ihipStream_tbPNSt15iterator_traitsISK_E10value_typeEPNSQ_ISL_E10value_typeEPSM_NS1_7vsmem_tEENKUlT_SK_SL_SM_E_clIPiSE_SF_SF_EESJ_SZ_SK_SL_SM_EUlSZ_E0_NS1_11comp_targetILNS1_3genE4ELNS1_11target_archE910ELNS1_3gpuE8ELNS1_3repE0EEENS1_38merge_mergepath_config_static_selectorELNS0_4arch9wavefront6targetE1EEEvSL_,"axG",@progbits,_ZN7rocprim17ROCPRIM_400000_NS6detail17trampoline_kernelINS0_14default_configENS1_38merge_sort_block_merge_config_selectorIiNS0_10empty_typeEEEZZNS1_27merge_sort_block_merge_implIS3_N6thrust23THRUST_200600_302600_NS6detail15normal_iteratorINS9_10device_ptrIiEEEEPS5_jNS1_19radix_merge_compareILb0ELb1EiNS0_19identity_decomposerEEEEE10hipError_tT0_T1_T2_jT3_P12ihipStream_tbPNSt15iterator_traitsISK_E10value_typeEPNSQ_ISL_E10value_typeEPSM_NS1_7vsmem_tEENKUlT_SK_SL_SM_E_clIPiSE_SF_SF_EESJ_SZ_SK_SL_SM_EUlSZ_E0_NS1_11comp_targetILNS1_3genE4ELNS1_11target_archE910ELNS1_3gpuE8ELNS1_3repE0EEENS1_38merge_mergepath_config_static_selectorELNS0_4arch9wavefront6targetE1EEEvSL_,comdat
	.protected	_ZN7rocprim17ROCPRIM_400000_NS6detail17trampoline_kernelINS0_14default_configENS1_38merge_sort_block_merge_config_selectorIiNS0_10empty_typeEEEZZNS1_27merge_sort_block_merge_implIS3_N6thrust23THRUST_200600_302600_NS6detail15normal_iteratorINS9_10device_ptrIiEEEEPS5_jNS1_19radix_merge_compareILb0ELb1EiNS0_19identity_decomposerEEEEE10hipError_tT0_T1_T2_jT3_P12ihipStream_tbPNSt15iterator_traitsISK_E10value_typeEPNSQ_ISL_E10value_typeEPSM_NS1_7vsmem_tEENKUlT_SK_SL_SM_E_clIPiSE_SF_SF_EESJ_SZ_SK_SL_SM_EUlSZ_E0_NS1_11comp_targetILNS1_3genE4ELNS1_11target_archE910ELNS1_3gpuE8ELNS1_3repE0EEENS1_38merge_mergepath_config_static_selectorELNS0_4arch9wavefront6targetE1EEEvSL_ ; -- Begin function _ZN7rocprim17ROCPRIM_400000_NS6detail17trampoline_kernelINS0_14default_configENS1_38merge_sort_block_merge_config_selectorIiNS0_10empty_typeEEEZZNS1_27merge_sort_block_merge_implIS3_N6thrust23THRUST_200600_302600_NS6detail15normal_iteratorINS9_10device_ptrIiEEEEPS5_jNS1_19radix_merge_compareILb0ELb1EiNS0_19identity_decomposerEEEEE10hipError_tT0_T1_T2_jT3_P12ihipStream_tbPNSt15iterator_traitsISK_E10value_typeEPNSQ_ISL_E10value_typeEPSM_NS1_7vsmem_tEENKUlT_SK_SL_SM_E_clIPiSE_SF_SF_EESJ_SZ_SK_SL_SM_EUlSZ_E0_NS1_11comp_targetILNS1_3genE4ELNS1_11target_archE910ELNS1_3gpuE8ELNS1_3repE0EEENS1_38merge_mergepath_config_static_selectorELNS0_4arch9wavefront6targetE1EEEvSL_
	.globl	_ZN7rocprim17ROCPRIM_400000_NS6detail17trampoline_kernelINS0_14default_configENS1_38merge_sort_block_merge_config_selectorIiNS0_10empty_typeEEEZZNS1_27merge_sort_block_merge_implIS3_N6thrust23THRUST_200600_302600_NS6detail15normal_iteratorINS9_10device_ptrIiEEEEPS5_jNS1_19radix_merge_compareILb0ELb1EiNS0_19identity_decomposerEEEEE10hipError_tT0_T1_T2_jT3_P12ihipStream_tbPNSt15iterator_traitsISK_E10value_typeEPNSQ_ISL_E10value_typeEPSM_NS1_7vsmem_tEENKUlT_SK_SL_SM_E_clIPiSE_SF_SF_EESJ_SZ_SK_SL_SM_EUlSZ_E0_NS1_11comp_targetILNS1_3genE4ELNS1_11target_archE910ELNS1_3gpuE8ELNS1_3repE0EEENS1_38merge_mergepath_config_static_selectorELNS0_4arch9wavefront6targetE1EEEvSL_
	.p2align	8
	.type	_ZN7rocprim17ROCPRIM_400000_NS6detail17trampoline_kernelINS0_14default_configENS1_38merge_sort_block_merge_config_selectorIiNS0_10empty_typeEEEZZNS1_27merge_sort_block_merge_implIS3_N6thrust23THRUST_200600_302600_NS6detail15normal_iteratorINS9_10device_ptrIiEEEEPS5_jNS1_19radix_merge_compareILb0ELb1EiNS0_19identity_decomposerEEEEE10hipError_tT0_T1_T2_jT3_P12ihipStream_tbPNSt15iterator_traitsISK_E10value_typeEPNSQ_ISL_E10value_typeEPSM_NS1_7vsmem_tEENKUlT_SK_SL_SM_E_clIPiSE_SF_SF_EESJ_SZ_SK_SL_SM_EUlSZ_E0_NS1_11comp_targetILNS1_3genE4ELNS1_11target_archE910ELNS1_3gpuE8ELNS1_3repE0EEENS1_38merge_mergepath_config_static_selectorELNS0_4arch9wavefront6targetE1EEEvSL_,@function
_ZN7rocprim17ROCPRIM_400000_NS6detail17trampoline_kernelINS0_14default_configENS1_38merge_sort_block_merge_config_selectorIiNS0_10empty_typeEEEZZNS1_27merge_sort_block_merge_implIS3_N6thrust23THRUST_200600_302600_NS6detail15normal_iteratorINS9_10device_ptrIiEEEEPS5_jNS1_19radix_merge_compareILb0ELb1EiNS0_19identity_decomposerEEEEE10hipError_tT0_T1_T2_jT3_P12ihipStream_tbPNSt15iterator_traitsISK_E10value_typeEPNSQ_ISL_E10value_typeEPSM_NS1_7vsmem_tEENKUlT_SK_SL_SM_E_clIPiSE_SF_SF_EESJ_SZ_SK_SL_SM_EUlSZ_E0_NS1_11comp_targetILNS1_3genE4ELNS1_11target_archE910ELNS1_3gpuE8ELNS1_3repE0EEENS1_38merge_mergepath_config_static_selectorELNS0_4arch9wavefront6targetE1EEEvSL_: ; @_ZN7rocprim17ROCPRIM_400000_NS6detail17trampoline_kernelINS0_14default_configENS1_38merge_sort_block_merge_config_selectorIiNS0_10empty_typeEEEZZNS1_27merge_sort_block_merge_implIS3_N6thrust23THRUST_200600_302600_NS6detail15normal_iteratorINS9_10device_ptrIiEEEEPS5_jNS1_19radix_merge_compareILb0ELb1EiNS0_19identity_decomposerEEEEE10hipError_tT0_T1_T2_jT3_P12ihipStream_tbPNSt15iterator_traitsISK_E10value_typeEPNSQ_ISL_E10value_typeEPSM_NS1_7vsmem_tEENKUlT_SK_SL_SM_E_clIPiSE_SF_SF_EESJ_SZ_SK_SL_SM_EUlSZ_E0_NS1_11comp_targetILNS1_3genE4ELNS1_11target_archE910ELNS1_3gpuE8ELNS1_3repE0EEENS1_38merge_mergepath_config_static_selectorELNS0_4arch9wavefront6targetE1EEEvSL_
; %bb.0:
	.section	.rodata,"a",@progbits
	.p2align	6, 0x0
	.amdhsa_kernel _ZN7rocprim17ROCPRIM_400000_NS6detail17trampoline_kernelINS0_14default_configENS1_38merge_sort_block_merge_config_selectorIiNS0_10empty_typeEEEZZNS1_27merge_sort_block_merge_implIS3_N6thrust23THRUST_200600_302600_NS6detail15normal_iteratorINS9_10device_ptrIiEEEEPS5_jNS1_19radix_merge_compareILb0ELb1EiNS0_19identity_decomposerEEEEE10hipError_tT0_T1_T2_jT3_P12ihipStream_tbPNSt15iterator_traitsISK_E10value_typeEPNSQ_ISL_E10value_typeEPSM_NS1_7vsmem_tEENKUlT_SK_SL_SM_E_clIPiSE_SF_SF_EESJ_SZ_SK_SL_SM_EUlSZ_E0_NS1_11comp_targetILNS1_3genE4ELNS1_11target_archE910ELNS1_3gpuE8ELNS1_3repE0EEENS1_38merge_mergepath_config_static_selectorELNS0_4arch9wavefront6targetE1EEEvSL_
		.amdhsa_group_segment_fixed_size 0
		.amdhsa_private_segment_fixed_size 0
		.amdhsa_kernarg_size 64
		.amdhsa_user_sgpr_count 2
		.amdhsa_user_sgpr_dispatch_ptr 0
		.amdhsa_user_sgpr_queue_ptr 0
		.amdhsa_user_sgpr_kernarg_segment_ptr 1
		.amdhsa_user_sgpr_dispatch_id 0
		.amdhsa_user_sgpr_kernarg_preload_length 0
		.amdhsa_user_sgpr_kernarg_preload_offset 0
		.amdhsa_user_sgpr_private_segment_size 0
		.amdhsa_uses_dynamic_stack 0
		.amdhsa_enable_private_segment 0
		.amdhsa_system_sgpr_workgroup_id_x 1
		.amdhsa_system_sgpr_workgroup_id_y 0
		.amdhsa_system_sgpr_workgroup_id_z 0
		.amdhsa_system_sgpr_workgroup_info 0
		.amdhsa_system_vgpr_workitem_id 0
		.amdhsa_next_free_vgpr 1
		.amdhsa_next_free_sgpr 0
		.amdhsa_accum_offset 4
		.amdhsa_reserve_vcc 0
		.amdhsa_float_round_mode_32 0
		.amdhsa_float_round_mode_16_64 0
		.amdhsa_float_denorm_mode_32 3
		.amdhsa_float_denorm_mode_16_64 3
		.amdhsa_dx10_clamp 1
		.amdhsa_ieee_mode 1
		.amdhsa_fp16_overflow 0
		.amdhsa_tg_split 0
		.amdhsa_exception_fp_ieee_invalid_op 0
		.amdhsa_exception_fp_denorm_src 0
		.amdhsa_exception_fp_ieee_div_zero 0
		.amdhsa_exception_fp_ieee_overflow 0
		.amdhsa_exception_fp_ieee_underflow 0
		.amdhsa_exception_fp_ieee_inexact 0
		.amdhsa_exception_int_div_zero 0
	.end_amdhsa_kernel
	.section	.text._ZN7rocprim17ROCPRIM_400000_NS6detail17trampoline_kernelINS0_14default_configENS1_38merge_sort_block_merge_config_selectorIiNS0_10empty_typeEEEZZNS1_27merge_sort_block_merge_implIS3_N6thrust23THRUST_200600_302600_NS6detail15normal_iteratorINS9_10device_ptrIiEEEEPS5_jNS1_19radix_merge_compareILb0ELb1EiNS0_19identity_decomposerEEEEE10hipError_tT0_T1_T2_jT3_P12ihipStream_tbPNSt15iterator_traitsISK_E10value_typeEPNSQ_ISL_E10value_typeEPSM_NS1_7vsmem_tEENKUlT_SK_SL_SM_E_clIPiSE_SF_SF_EESJ_SZ_SK_SL_SM_EUlSZ_E0_NS1_11comp_targetILNS1_3genE4ELNS1_11target_archE910ELNS1_3gpuE8ELNS1_3repE0EEENS1_38merge_mergepath_config_static_selectorELNS0_4arch9wavefront6targetE1EEEvSL_,"axG",@progbits,_ZN7rocprim17ROCPRIM_400000_NS6detail17trampoline_kernelINS0_14default_configENS1_38merge_sort_block_merge_config_selectorIiNS0_10empty_typeEEEZZNS1_27merge_sort_block_merge_implIS3_N6thrust23THRUST_200600_302600_NS6detail15normal_iteratorINS9_10device_ptrIiEEEEPS5_jNS1_19radix_merge_compareILb0ELb1EiNS0_19identity_decomposerEEEEE10hipError_tT0_T1_T2_jT3_P12ihipStream_tbPNSt15iterator_traitsISK_E10value_typeEPNSQ_ISL_E10value_typeEPSM_NS1_7vsmem_tEENKUlT_SK_SL_SM_E_clIPiSE_SF_SF_EESJ_SZ_SK_SL_SM_EUlSZ_E0_NS1_11comp_targetILNS1_3genE4ELNS1_11target_archE910ELNS1_3gpuE8ELNS1_3repE0EEENS1_38merge_mergepath_config_static_selectorELNS0_4arch9wavefront6targetE1EEEvSL_,comdat
.Lfunc_end1682:
	.size	_ZN7rocprim17ROCPRIM_400000_NS6detail17trampoline_kernelINS0_14default_configENS1_38merge_sort_block_merge_config_selectorIiNS0_10empty_typeEEEZZNS1_27merge_sort_block_merge_implIS3_N6thrust23THRUST_200600_302600_NS6detail15normal_iteratorINS9_10device_ptrIiEEEEPS5_jNS1_19radix_merge_compareILb0ELb1EiNS0_19identity_decomposerEEEEE10hipError_tT0_T1_T2_jT3_P12ihipStream_tbPNSt15iterator_traitsISK_E10value_typeEPNSQ_ISL_E10value_typeEPSM_NS1_7vsmem_tEENKUlT_SK_SL_SM_E_clIPiSE_SF_SF_EESJ_SZ_SK_SL_SM_EUlSZ_E0_NS1_11comp_targetILNS1_3genE4ELNS1_11target_archE910ELNS1_3gpuE8ELNS1_3repE0EEENS1_38merge_mergepath_config_static_selectorELNS0_4arch9wavefront6targetE1EEEvSL_, .Lfunc_end1682-_ZN7rocprim17ROCPRIM_400000_NS6detail17trampoline_kernelINS0_14default_configENS1_38merge_sort_block_merge_config_selectorIiNS0_10empty_typeEEEZZNS1_27merge_sort_block_merge_implIS3_N6thrust23THRUST_200600_302600_NS6detail15normal_iteratorINS9_10device_ptrIiEEEEPS5_jNS1_19radix_merge_compareILb0ELb1EiNS0_19identity_decomposerEEEEE10hipError_tT0_T1_T2_jT3_P12ihipStream_tbPNSt15iterator_traitsISK_E10value_typeEPNSQ_ISL_E10value_typeEPSM_NS1_7vsmem_tEENKUlT_SK_SL_SM_E_clIPiSE_SF_SF_EESJ_SZ_SK_SL_SM_EUlSZ_E0_NS1_11comp_targetILNS1_3genE4ELNS1_11target_archE910ELNS1_3gpuE8ELNS1_3repE0EEENS1_38merge_mergepath_config_static_selectorELNS0_4arch9wavefront6targetE1EEEvSL_
                                        ; -- End function
	.section	.AMDGPU.csdata,"",@progbits
; Kernel info:
; codeLenInByte = 0
; NumSgprs: 6
; NumVgprs: 0
; NumAgprs: 0
; TotalNumVgprs: 0
; ScratchSize: 0
; MemoryBound: 0
; FloatMode: 240
; IeeeMode: 1
; LDSByteSize: 0 bytes/workgroup (compile time only)
; SGPRBlocks: 0
; VGPRBlocks: 0
; NumSGPRsForWavesPerEU: 6
; NumVGPRsForWavesPerEU: 1
; AccumOffset: 4
; Occupancy: 8
; WaveLimiterHint : 0
; COMPUTE_PGM_RSRC2:SCRATCH_EN: 0
; COMPUTE_PGM_RSRC2:USER_SGPR: 2
; COMPUTE_PGM_RSRC2:TRAP_HANDLER: 0
; COMPUTE_PGM_RSRC2:TGID_X_EN: 1
; COMPUTE_PGM_RSRC2:TGID_Y_EN: 0
; COMPUTE_PGM_RSRC2:TGID_Z_EN: 0
; COMPUTE_PGM_RSRC2:TIDIG_COMP_CNT: 0
; COMPUTE_PGM_RSRC3_GFX90A:ACCUM_OFFSET: 0
; COMPUTE_PGM_RSRC3_GFX90A:TG_SPLIT: 0
	.section	.text._ZN7rocprim17ROCPRIM_400000_NS6detail17trampoline_kernelINS0_14default_configENS1_38merge_sort_block_merge_config_selectorIiNS0_10empty_typeEEEZZNS1_27merge_sort_block_merge_implIS3_N6thrust23THRUST_200600_302600_NS6detail15normal_iteratorINS9_10device_ptrIiEEEEPS5_jNS1_19radix_merge_compareILb0ELb1EiNS0_19identity_decomposerEEEEE10hipError_tT0_T1_T2_jT3_P12ihipStream_tbPNSt15iterator_traitsISK_E10value_typeEPNSQ_ISL_E10value_typeEPSM_NS1_7vsmem_tEENKUlT_SK_SL_SM_E_clIPiSE_SF_SF_EESJ_SZ_SK_SL_SM_EUlSZ_E0_NS1_11comp_targetILNS1_3genE3ELNS1_11target_archE908ELNS1_3gpuE7ELNS1_3repE0EEENS1_38merge_mergepath_config_static_selectorELNS0_4arch9wavefront6targetE1EEEvSL_,"axG",@progbits,_ZN7rocprim17ROCPRIM_400000_NS6detail17trampoline_kernelINS0_14default_configENS1_38merge_sort_block_merge_config_selectorIiNS0_10empty_typeEEEZZNS1_27merge_sort_block_merge_implIS3_N6thrust23THRUST_200600_302600_NS6detail15normal_iteratorINS9_10device_ptrIiEEEEPS5_jNS1_19radix_merge_compareILb0ELb1EiNS0_19identity_decomposerEEEEE10hipError_tT0_T1_T2_jT3_P12ihipStream_tbPNSt15iterator_traitsISK_E10value_typeEPNSQ_ISL_E10value_typeEPSM_NS1_7vsmem_tEENKUlT_SK_SL_SM_E_clIPiSE_SF_SF_EESJ_SZ_SK_SL_SM_EUlSZ_E0_NS1_11comp_targetILNS1_3genE3ELNS1_11target_archE908ELNS1_3gpuE7ELNS1_3repE0EEENS1_38merge_mergepath_config_static_selectorELNS0_4arch9wavefront6targetE1EEEvSL_,comdat
	.protected	_ZN7rocprim17ROCPRIM_400000_NS6detail17trampoline_kernelINS0_14default_configENS1_38merge_sort_block_merge_config_selectorIiNS0_10empty_typeEEEZZNS1_27merge_sort_block_merge_implIS3_N6thrust23THRUST_200600_302600_NS6detail15normal_iteratorINS9_10device_ptrIiEEEEPS5_jNS1_19radix_merge_compareILb0ELb1EiNS0_19identity_decomposerEEEEE10hipError_tT0_T1_T2_jT3_P12ihipStream_tbPNSt15iterator_traitsISK_E10value_typeEPNSQ_ISL_E10value_typeEPSM_NS1_7vsmem_tEENKUlT_SK_SL_SM_E_clIPiSE_SF_SF_EESJ_SZ_SK_SL_SM_EUlSZ_E0_NS1_11comp_targetILNS1_3genE3ELNS1_11target_archE908ELNS1_3gpuE7ELNS1_3repE0EEENS1_38merge_mergepath_config_static_selectorELNS0_4arch9wavefront6targetE1EEEvSL_ ; -- Begin function _ZN7rocprim17ROCPRIM_400000_NS6detail17trampoline_kernelINS0_14default_configENS1_38merge_sort_block_merge_config_selectorIiNS0_10empty_typeEEEZZNS1_27merge_sort_block_merge_implIS3_N6thrust23THRUST_200600_302600_NS6detail15normal_iteratorINS9_10device_ptrIiEEEEPS5_jNS1_19radix_merge_compareILb0ELb1EiNS0_19identity_decomposerEEEEE10hipError_tT0_T1_T2_jT3_P12ihipStream_tbPNSt15iterator_traitsISK_E10value_typeEPNSQ_ISL_E10value_typeEPSM_NS1_7vsmem_tEENKUlT_SK_SL_SM_E_clIPiSE_SF_SF_EESJ_SZ_SK_SL_SM_EUlSZ_E0_NS1_11comp_targetILNS1_3genE3ELNS1_11target_archE908ELNS1_3gpuE7ELNS1_3repE0EEENS1_38merge_mergepath_config_static_selectorELNS0_4arch9wavefront6targetE1EEEvSL_
	.globl	_ZN7rocprim17ROCPRIM_400000_NS6detail17trampoline_kernelINS0_14default_configENS1_38merge_sort_block_merge_config_selectorIiNS0_10empty_typeEEEZZNS1_27merge_sort_block_merge_implIS3_N6thrust23THRUST_200600_302600_NS6detail15normal_iteratorINS9_10device_ptrIiEEEEPS5_jNS1_19radix_merge_compareILb0ELb1EiNS0_19identity_decomposerEEEEE10hipError_tT0_T1_T2_jT3_P12ihipStream_tbPNSt15iterator_traitsISK_E10value_typeEPNSQ_ISL_E10value_typeEPSM_NS1_7vsmem_tEENKUlT_SK_SL_SM_E_clIPiSE_SF_SF_EESJ_SZ_SK_SL_SM_EUlSZ_E0_NS1_11comp_targetILNS1_3genE3ELNS1_11target_archE908ELNS1_3gpuE7ELNS1_3repE0EEENS1_38merge_mergepath_config_static_selectorELNS0_4arch9wavefront6targetE1EEEvSL_
	.p2align	8
	.type	_ZN7rocprim17ROCPRIM_400000_NS6detail17trampoline_kernelINS0_14default_configENS1_38merge_sort_block_merge_config_selectorIiNS0_10empty_typeEEEZZNS1_27merge_sort_block_merge_implIS3_N6thrust23THRUST_200600_302600_NS6detail15normal_iteratorINS9_10device_ptrIiEEEEPS5_jNS1_19radix_merge_compareILb0ELb1EiNS0_19identity_decomposerEEEEE10hipError_tT0_T1_T2_jT3_P12ihipStream_tbPNSt15iterator_traitsISK_E10value_typeEPNSQ_ISL_E10value_typeEPSM_NS1_7vsmem_tEENKUlT_SK_SL_SM_E_clIPiSE_SF_SF_EESJ_SZ_SK_SL_SM_EUlSZ_E0_NS1_11comp_targetILNS1_3genE3ELNS1_11target_archE908ELNS1_3gpuE7ELNS1_3repE0EEENS1_38merge_mergepath_config_static_selectorELNS0_4arch9wavefront6targetE1EEEvSL_,@function
_ZN7rocprim17ROCPRIM_400000_NS6detail17trampoline_kernelINS0_14default_configENS1_38merge_sort_block_merge_config_selectorIiNS0_10empty_typeEEEZZNS1_27merge_sort_block_merge_implIS3_N6thrust23THRUST_200600_302600_NS6detail15normal_iteratorINS9_10device_ptrIiEEEEPS5_jNS1_19radix_merge_compareILb0ELb1EiNS0_19identity_decomposerEEEEE10hipError_tT0_T1_T2_jT3_P12ihipStream_tbPNSt15iterator_traitsISK_E10value_typeEPNSQ_ISL_E10value_typeEPSM_NS1_7vsmem_tEENKUlT_SK_SL_SM_E_clIPiSE_SF_SF_EESJ_SZ_SK_SL_SM_EUlSZ_E0_NS1_11comp_targetILNS1_3genE3ELNS1_11target_archE908ELNS1_3gpuE7ELNS1_3repE0EEENS1_38merge_mergepath_config_static_selectorELNS0_4arch9wavefront6targetE1EEEvSL_: ; @_ZN7rocprim17ROCPRIM_400000_NS6detail17trampoline_kernelINS0_14default_configENS1_38merge_sort_block_merge_config_selectorIiNS0_10empty_typeEEEZZNS1_27merge_sort_block_merge_implIS3_N6thrust23THRUST_200600_302600_NS6detail15normal_iteratorINS9_10device_ptrIiEEEEPS5_jNS1_19radix_merge_compareILb0ELb1EiNS0_19identity_decomposerEEEEE10hipError_tT0_T1_T2_jT3_P12ihipStream_tbPNSt15iterator_traitsISK_E10value_typeEPNSQ_ISL_E10value_typeEPSM_NS1_7vsmem_tEENKUlT_SK_SL_SM_E_clIPiSE_SF_SF_EESJ_SZ_SK_SL_SM_EUlSZ_E0_NS1_11comp_targetILNS1_3genE3ELNS1_11target_archE908ELNS1_3gpuE7ELNS1_3repE0EEENS1_38merge_mergepath_config_static_selectorELNS0_4arch9wavefront6targetE1EEEvSL_
; %bb.0:
	.section	.rodata,"a",@progbits
	.p2align	6, 0x0
	.amdhsa_kernel _ZN7rocprim17ROCPRIM_400000_NS6detail17trampoline_kernelINS0_14default_configENS1_38merge_sort_block_merge_config_selectorIiNS0_10empty_typeEEEZZNS1_27merge_sort_block_merge_implIS3_N6thrust23THRUST_200600_302600_NS6detail15normal_iteratorINS9_10device_ptrIiEEEEPS5_jNS1_19radix_merge_compareILb0ELb1EiNS0_19identity_decomposerEEEEE10hipError_tT0_T1_T2_jT3_P12ihipStream_tbPNSt15iterator_traitsISK_E10value_typeEPNSQ_ISL_E10value_typeEPSM_NS1_7vsmem_tEENKUlT_SK_SL_SM_E_clIPiSE_SF_SF_EESJ_SZ_SK_SL_SM_EUlSZ_E0_NS1_11comp_targetILNS1_3genE3ELNS1_11target_archE908ELNS1_3gpuE7ELNS1_3repE0EEENS1_38merge_mergepath_config_static_selectorELNS0_4arch9wavefront6targetE1EEEvSL_
		.amdhsa_group_segment_fixed_size 0
		.amdhsa_private_segment_fixed_size 0
		.amdhsa_kernarg_size 64
		.amdhsa_user_sgpr_count 2
		.amdhsa_user_sgpr_dispatch_ptr 0
		.amdhsa_user_sgpr_queue_ptr 0
		.amdhsa_user_sgpr_kernarg_segment_ptr 1
		.amdhsa_user_sgpr_dispatch_id 0
		.amdhsa_user_sgpr_kernarg_preload_length 0
		.amdhsa_user_sgpr_kernarg_preload_offset 0
		.amdhsa_user_sgpr_private_segment_size 0
		.amdhsa_uses_dynamic_stack 0
		.amdhsa_enable_private_segment 0
		.amdhsa_system_sgpr_workgroup_id_x 1
		.amdhsa_system_sgpr_workgroup_id_y 0
		.amdhsa_system_sgpr_workgroup_id_z 0
		.amdhsa_system_sgpr_workgroup_info 0
		.amdhsa_system_vgpr_workitem_id 0
		.amdhsa_next_free_vgpr 1
		.amdhsa_next_free_sgpr 0
		.amdhsa_accum_offset 4
		.amdhsa_reserve_vcc 0
		.amdhsa_float_round_mode_32 0
		.amdhsa_float_round_mode_16_64 0
		.amdhsa_float_denorm_mode_32 3
		.amdhsa_float_denorm_mode_16_64 3
		.amdhsa_dx10_clamp 1
		.amdhsa_ieee_mode 1
		.amdhsa_fp16_overflow 0
		.amdhsa_tg_split 0
		.amdhsa_exception_fp_ieee_invalid_op 0
		.amdhsa_exception_fp_denorm_src 0
		.amdhsa_exception_fp_ieee_div_zero 0
		.amdhsa_exception_fp_ieee_overflow 0
		.amdhsa_exception_fp_ieee_underflow 0
		.amdhsa_exception_fp_ieee_inexact 0
		.amdhsa_exception_int_div_zero 0
	.end_amdhsa_kernel
	.section	.text._ZN7rocprim17ROCPRIM_400000_NS6detail17trampoline_kernelINS0_14default_configENS1_38merge_sort_block_merge_config_selectorIiNS0_10empty_typeEEEZZNS1_27merge_sort_block_merge_implIS3_N6thrust23THRUST_200600_302600_NS6detail15normal_iteratorINS9_10device_ptrIiEEEEPS5_jNS1_19radix_merge_compareILb0ELb1EiNS0_19identity_decomposerEEEEE10hipError_tT0_T1_T2_jT3_P12ihipStream_tbPNSt15iterator_traitsISK_E10value_typeEPNSQ_ISL_E10value_typeEPSM_NS1_7vsmem_tEENKUlT_SK_SL_SM_E_clIPiSE_SF_SF_EESJ_SZ_SK_SL_SM_EUlSZ_E0_NS1_11comp_targetILNS1_3genE3ELNS1_11target_archE908ELNS1_3gpuE7ELNS1_3repE0EEENS1_38merge_mergepath_config_static_selectorELNS0_4arch9wavefront6targetE1EEEvSL_,"axG",@progbits,_ZN7rocprim17ROCPRIM_400000_NS6detail17trampoline_kernelINS0_14default_configENS1_38merge_sort_block_merge_config_selectorIiNS0_10empty_typeEEEZZNS1_27merge_sort_block_merge_implIS3_N6thrust23THRUST_200600_302600_NS6detail15normal_iteratorINS9_10device_ptrIiEEEEPS5_jNS1_19radix_merge_compareILb0ELb1EiNS0_19identity_decomposerEEEEE10hipError_tT0_T1_T2_jT3_P12ihipStream_tbPNSt15iterator_traitsISK_E10value_typeEPNSQ_ISL_E10value_typeEPSM_NS1_7vsmem_tEENKUlT_SK_SL_SM_E_clIPiSE_SF_SF_EESJ_SZ_SK_SL_SM_EUlSZ_E0_NS1_11comp_targetILNS1_3genE3ELNS1_11target_archE908ELNS1_3gpuE7ELNS1_3repE0EEENS1_38merge_mergepath_config_static_selectorELNS0_4arch9wavefront6targetE1EEEvSL_,comdat
.Lfunc_end1683:
	.size	_ZN7rocprim17ROCPRIM_400000_NS6detail17trampoline_kernelINS0_14default_configENS1_38merge_sort_block_merge_config_selectorIiNS0_10empty_typeEEEZZNS1_27merge_sort_block_merge_implIS3_N6thrust23THRUST_200600_302600_NS6detail15normal_iteratorINS9_10device_ptrIiEEEEPS5_jNS1_19radix_merge_compareILb0ELb1EiNS0_19identity_decomposerEEEEE10hipError_tT0_T1_T2_jT3_P12ihipStream_tbPNSt15iterator_traitsISK_E10value_typeEPNSQ_ISL_E10value_typeEPSM_NS1_7vsmem_tEENKUlT_SK_SL_SM_E_clIPiSE_SF_SF_EESJ_SZ_SK_SL_SM_EUlSZ_E0_NS1_11comp_targetILNS1_3genE3ELNS1_11target_archE908ELNS1_3gpuE7ELNS1_3repE0EEENS1_38merge_mergepath_config_static_selectorELNS0_4arch9wavefront6targetE1EEEvSL_, .Lfunc_end1683-_ZN7rocprim17ROCPRIM_400000_NS6detail17trampoline_kernelINS0_14default_configENS1_38merge_sort_block_merge_config_selectorIiNS0_10empty_typeEEEZZNS1_27merge_sort_block_merge_implIS3_N6thrust23THRUST_200600_302600_NS6detail15normal_iteratorINS9_10device_ptrIiEEEEPS5_jNS1_19radix_merge_compareILb0ELb1EiNS0_19identity_decomposerEEEEE10hipError_tT0_T1_T2_jT3_P12ihipStream_tbPNSt15iterator_traitsISK_E10value_typeEPNSQ_ISL_E10value_typeEPSM_NS1_7vsmem_tEENKUlT_SK_SL_SM_E_clIPiSE_SF_SF_EESJ_SZ_SK_SL_SM_EUlSZ_E0_NS1_11comp_targetILNS1_3genE3ELNS1_11target_archE908ELNS1_3gpuE7ELNS1_3repE0EEENS1_38merge_mergepath_config_static_selectorELNS0_4arch9wavefront6targetE1EEEvSL_
                                        ; -- End function
	.section	.AMDGPU.csdata,"",@progbits
; Kernel info:
; codeLenInByte = 0
; NumSgprs: 6
; NumVgprs: 0
; NumAgprs: 0
; TotalNumVgprs: 0
; ScratchSize: 0
; MemoryBound: 0
; FloatMode: 240
; IeeeMode: 1
; LDSByteSize: 0 bytes/workgroup (compile time only)
; SGPRBlocks: 0
; VGPRBlocks: 0
; NumSGPRsForWavesPerEU: 6
; NumVGPRsForWavesPerEU: 1
; AccumOffset: 4
; Occupancy: 8
; WaveLimiterHint : 0
; COMPUTE_PGM_RSRC2:SCRATCH_EN: 0
; COMPUTE_PGM_RSRC2:USER_SGPR: 2
; COMPUTE_PGM_RSRC2:TRAP_HANDLER: 0
; COMPUTE_PGM_RSRC2:TGID_X_EN: 1
; COMPUTE_PGM_RSRC2:TGID_Y_EN: 0
; COMPUTE_PGM_RSRC2:TGID_Z_EN: 0
; COMPUTE_PGM_RSRC2:TIDIG_COMP_CNT: 0
; COMPUTE_PGM_RSRC3_GFX90A:ACCUM_OFFSET: 0
; COMPUTE_PGM_RSRC3_GFX90A:TG_SPLIT: 0
	.section	.text._ZN7rocprim17ROCPRIM_400000_NS6detail17trampoline_kernelINS0_14default_configENS1_38merge_sort_block_merge_config_selectorIiNS0_10empty_typeEEEZZNS1_27merge_sort_block_merge_implIS3_N6thrust23THRUST_200600_302600_NS6detail15normal_iteratorINS9_10device_ptrIiEEEEPS5_jNS1_19radix_merge_compareILb0ELb1EiNS0_19identity_decomposerEEEEE10hipError_tT0_T1_T2_jT3_P12ihipStream_tbPNSt15iterator_traitsISK_E10value_typeEPNSQ_ISL_E10value_typeEPSM_NS1_7vsmem_tEENKUlT_SK_SL_SM_E_clIPiSE_SF_SF_EESJ_SZ_SK_SL_SM_EUlSZ_E0_NS1_11comp_targetILNS1_3genE2ELNS1_11target_archE906ELNS1_3gpuE6ELNS1_3repE0EEENS1_38merge_mergepath_config_static_selectorELNS0_4arch9wavefront6targetE1EEEvSL_,"axG",@progbits,_ZN7rocprim17ROCPRIM_400000_NS6detail17trampoline_kernelINS0_14default_configENS1_38merge_sort_block_merge_config_selectorIiNS0_10empty_typeEEEZZNS1_27merge_sort_block_merge_implIS3_N6thrust23THRUST_200600_302600_NS6detail15normal_iteratorINS9_10device_ptrIiEEEEPS5_jNS1_19radix_merge_compareILb0ELb1EiNS0_19identity_decomposerEEEEE10hipError_tT0_T1_T2_jT3_P12ihipStream_tbPNSt15iterator_traitsISK_E10value_typeEPNSQ_ISL_E10value_typeEPSM_NS1_7vsmem_tEENKUlT_SK_SL_SM_E_clIPiSE_SF_SF_EESJ_SZ_SK_SL_SM_EUlSZ_E0_NS1_11comp_targetILNS1_3genE2ELNS1_11target_archE906ELNS1_3gpuE6ELNS1_3repE0EEENS1_38merge_mergepath_config_static_selectorELNS0_4arch9wavefront6targetE1EEEvSL_,comdat
	.protected	_ZN7rocprim17ROCPRIM_400000_NS6detail17trampoline_kernelINS0_14default_configENS1_38merge_sort_block_merge_config_selectorIiNS0_10empty_typeEEEZZNS1_27merge_sort_block_merge_implIS3_N6thrust23THRUST_200600_302600_NS6detail15normal_iteratorINS9_10device_ptrIiEEEEPS5_jNS1_19radix_merge_compareILb0ELb1EiNS0_19identity_decomposerEEEEE10hipError_tT0_T1_T2_jT3_P12ihipStream_tbPNSt15iterator_traitsISK_E10value_typeEPNSQ_ISL_E10value_typeEPSM_NS1_7vsmem_tEENKUlT_SK_SL_SM_E_clIPiSE_SF_SF_EESJ_SZ_SK_SL_SM_EUlSZ_E0_NS1_11comp_targetILNS1_3genE2ELNS1_11target_archE906ELNS1_3gpuE6ELNS1_3repE0EEENS1_38merge_mergepath_config_static_selectorELNS0_4arch9wavefront6targetE1EEEvSL_ ; -- Begin function _ZN7rocprim17ROCPRIM_400000_NS6detail17trampoline_kernelINS0_14default_configENS1_38merge_sort_block_merge_config_selectorIiNS0_10empty_typeEEEZZNS1_27merge_sort_block_merge_implIS3_N6thrust23THRUST_200600_302600_NS6detail15normal_iteratorINS9_10device_ptrIiEEEEPS5_jNS1_19radix_merge_compareILb0ELb1EiNS0_19identity_decomposerEEEEE10hipError_tT0_T1_T2_jT3_P12ihipStream_tbPNSt15iterator_traitsISK_E10value_typeEPNSQ_ISL_E10value_typeEPSM_NS1_7vsmem_tEENKUlT_SK_SL_SM_E_clIPiSE_SF_SF_EESJ_SZ_SK_SL_SM_EUlSZ_E0_NS1_11comp_targetILNS1_3genE2ELNS1_11target_archE906ELNS1_3gpuE6ELNS1_3repE0EEENS1_38merge_mergepath_config_static_selectorELNS0_4arch9wavefront6targetE1EEEvSL_
	.globl	_ZN7rocprim17ROCPRIM_400000_NS6detail17trampoline_kernelINS0_14default_configENS1_38merge_sort_block_merge_config_selectorIiNS0_10empty_typeEEEZZNS1_27merge_sort_block_merge_implIS3_N6thrust23THRUST_200600_302600_NS6detail15normal_iteratorINS9_10device_ptrIiEEEEPS5_jNS1_19radix_merge_compareILb0ELb1EiNS0_19identity_decomposerEEEEE10hipError_tT0_T1_T2_jT3_P12ihipStream_tbPNSt15iterator_traitsISK_E10value_typeEPNSQ_ISL_E10value_typeEPSM_NS1_7vsmem_tEENKUlT_SK_SL_SM_E_clIPiSE_SF_SF_EESJ_SZ_SK_SL_SM_EUlSZ_E0_NS1_11comp_targetILNS1_3genE2ELNS1_11target_archE906ELNS1_3gpuE6ELNS1_3repE0EEENS1_38merge_mergepath_config_static_selectorELNS0_4arch9wavefront6targetE1EEEvSL_
	.p2align	8
	.type	_ZN7rocprim17ROCPRIM_400000_NS6detail17trampoline_kernelINS0_14default_configENS1_38merge_sort_block_merge_config_selectorIiNS0_10empty_typeEEEZZNS1_27merge_sort_block_merge_implIS3_N6thrust23THRUST_200600_302600_NS6detail15normal_iteratorINS9_10device_ptrIiEEEEPS5_jNS1_19radix_merge_compareILb0ELb1EiNS0_19identity_decomposerEEEEE10hipError_tT0_T1_T2_jT3_P12ihipStream_tbPNSt15iterator_traitsISK_E10value_typeEPNSQ_ISL_E10value_typeEPSM_NS1_7vsmem_tEENKUlT_SK_SL_SM_E_clIPiSE_SF_SF_EESJ_SZ_SK_SL_SM_EUlSZ_E0_NS1_11comp_targetILNS1_3genE2ELNS1_11target_archE906ELNS1_3gpuE6ELNS1_3repE0EEENS1_38merge_mergepath_config_static_selectorELNS0_4arch9wavefront6targetE1EEEvSL_,@function
_ZN7rocprim17ROCPRIM_400000_NS6detail17trampoline_kernelINS0_14default_configENS1_38merge_sort_block_merge_config_selectorIiNS0_10empty_typeEEEZZNS1_27merge_sort_block_merge_implIS3_N6thrust23THRUST_200600_302600_NS6detail15normal_iteratorINS9_10device_ptrIiEEEEPS5_jNS1_19radix_merge_compareILb0ELb1EiNS0_19identity_decomposerEEEEE10hipError_tT0_T1_T2_jT3_P12ihipStream_tbPNSt15iterator_traitsISK_E10value_typeEPNSQ_ISL_E10value_typeEPSM_NS1_7vsmem_tEENKUlT_SK_SL_SM_E_clIPiSE_SF_SF_EESJ_SZ_SK_SL_SM_EUlSZ_E0_NS1_11comp_targetILNS1_3genE2ELNS1_11target_archE906ELNS1_3gpuE6ELNS1_3repE0EEENS1_38merge_mergepath_config_static_selectorELNS0_4arch9wavefront6targetE1EEEvSL_: ; @_ZN7rocprim17ROCPRIM_400000_NS6detail17trampoline_kernelINS0_14default_configENS1_38merge_sort_block_merge_config_selectorIiNS0_10empty_typeEEEZZNS1_27merge_sort_block_merge_implIS3_N6thrust23THRUST_200600_302600_NS6detail15normal_iteratorINS9_10device_ptrIiEEEEPS5_jNS1_19radix_merge_compareILb0ELb1EiNS0_19identity_decomposerEEEEE10hipError_tT0_T1_T2_jT3_P12ihipStream_tbPNSt15iterator_traitsISK_E10value_typeEPNSQ_ISL_E10value_typeEPSM_NS1_7vsmem_tEENKUlT_SK_SL_SM_E_clIPiSE_SF_SF_EESJ_SZ_SK_SL_SM_EUlSZ_E0_NS1_11comp_targetILNS1_3genE2ELNS1_11target_archE906ELNS1_3gpuE6ELNS1_3repE0EEENS1_38merge_mergepath_config_static_selectorELNS0_4arch9wavefront6targetE1EEEvSL_
; %bb.0:
	.section	.rodata,"a",@progbits
	.p2align	6, 0x0
	.amdhsa_kernel _ZN7rocprim17ROCPRIM_400000_NS6detail17trampoline_kernelINS0_14default_configENS1_38merge_sort_block_merge_config_selectorIiNS0_10empty_typeEEEZZNS1_27merge_sort_block_merge_implIS3_N6thrust23THRUST_200600_302600_NS6detail15normal_iteratorINS9_10device_ptrIiEEEEPS5_jNS1_19radix_merge_compareILb0ELb1EiNS0_19identity_decomposerEEEEE10hipError_tT0_T1_T2_jT3_P12ihipStream_tbPNSt15iterator_traitsISK_E10value_typeEPNSQ_ISL_E10value_typeEPSM_NS1_7vsmem_tEENKUlT_SK_SL_SM_E_clIPiSE_SF_SF_EESJ_SZ_SK_SL_SM_EUlSZ_E0_NS1_11comp_targetILNS1_3genE2ELNS1_11target_archE906ELNS1_3gpuE6ELNS1_3repE0EEENS1_38merge_mergepath_config_static_selectorELNS0_4arch9wavefront6targetE1EEEvSL_
		.amdhsa_group_segment_fixed_size 0
		.amdhsa_private_segment_fixed_size 0
		.amdhsa_kernarg_size 64
		.amdhsa_user_sgpr_count 2
		.amdhsa_user_sgpr_dispatch_ptr 0
		.amdhsa_user_sgpr_queue_ptr 0
		.amdhsa_user_sgpr_kernarg_segment_ptr 1
		.amdhsa_user_sgpr_dispatch_id 0
		.amdhsa_user_sgpr_kernarg_preload_length 0
		.amdhsa_user_sgpr_kernarg_preload_offset 0
		.amdhsa_user_sgpr_private_segment_size 0
		.amdhsa_uses_dynamic_stack 0
		.amdhsa_enable_private_segment 0
		.amdhsa_system_sgpr_workgroup_id_x 1
		.amdhsa_system_sgpr_workgroup_id_y 0
		.amdhsa_system_sgpr_workgroup_id_z 0
		.amdhsa_system_sgpr_workgroup_info 0
		.amdhsa_system_vgpr_workitem_id 0
		.amdhsa_next_free_vgpr 1
		.amdhsa_next_free_sgpr 0
		.amdhsa_accum_offset 4
		.amdhsa_reserve_vcc 0
		.amdhsa_float_round_mode_32 0
		.amdhsa_float_round_mode_16_64 0
		.amdhsa_float_denorm_mode_32 3
		.amdhsa_float_denorm_mode_16_64 3
		.amdhsa_dx10_clamp 1
		.amdhsa_ieee_mode 1
		.amdhsa_fp16_overflow 0
		.amdhsa_tg_split 0
		.amdhsa_exception_fp_ieee_invalid_op 0
		.amdhsa_exception_fp_denorm_src 0
		.amdhsa_exception_fp_ieee_div_zero 0
		.amdhsa_exception_fp_ieee_overflow 0
		.amdhsa_exception_fp_ieee_underflow 0
		.amdhsa_exception_fp_ieee_inexact 0
		.amdhsa_exception_int_div_zero 0
	.end_amdhsa_kernel
	.section	.text._ZN7rocprim17ROCPRIM_400000_NS6detail17trampoline_kernelINS0_14default_configENS1_38merge_sort_block_merge_config_selectorIiNS0_10empty_typeEEEZZNS1_27merge_sort_block_merge_implIS3_N6thrust23THRUST_200600_302600_NS6detail15normal_iteratorINS9_10device_ptrIiEEEEPS5_jNS1_19radix_merge_compareILb0ELb1EiNS0_19identity_decomposerEEEEE10hipError_tT0_T1_T2_jT3_P12ihipStream_tbPNSt15iterator_traitsISK_E10value_typeEPNSQ_ISL_E10value_typeEPSM_NS1_7vsmem_tEENKUlT_SK_SL_SM_E_clIPiSE_SF_SF_EESJ_SZ_SK_SL_SM_EUlSZ_E0_NS1_11comp_targetILNS1_3genE2ELNS1_11target_archE906ELNS1_3gpuE6ELNS1_3repE0EEENS1_38merge_mergepath_config_static_selectorELNS0_4arch9wavefront6targetE1EEEvSL_,"axG",@progbits,_ZN7rocprim17ROCPRIM_400000_NS6detail17trampoline_kernelINS0_14default_configENS1_38merge_sort_block_merge_config_selectorIiNS0_10empty_typeEEEZZNS1_27merge_sort_block_merge_implIS3_N6thrust23THRUST_200600_302600_NS6detail15normal_iteratorINS9_10device_ptrIiEEEEPS5_jNS1_19radix_merge_compareILb0ELb1EiNS0_19identity_decomposerEEEEE10hipError_tT0_T1_T2_jT3_P12ihipStream_tbPNSt15iterator_traitsISK_E10value_typeEPNSQ_ISL_E10value_typeEPSM_NS1_7vsmem_tEENKUlT_SK_SL_SM_E_clIPiSE_SF_SF_EESJ_SZ_SK_SL_SM_EUlSZ_E0_NS1_11comp_targetILNS1_3genE2ELNS1_11target_archE906ELNS1_3gpuE6ELNS1_3repE0EEENS1_38merge_mergepath_config_static_selectorELNS0_4arch9wavefront6targetE1EEEvSL_,comdat
.Lfunc_end1684:
	.size	_ZN7rocprim17ROCPRIM_400000_NS6detail17trampoline_kernelINS0_14default_configENS1_38merge_sort_block_merge_config_selectorIiNS0_10empty_typeEEEZZNS1_27merge_sort_block_merge_implIS3_N6thrust23THRUST_200600_302600_NS6detail15normal_iteratorINS9_10device_ptrIiEEEEPS5_jNS1_19radix_merge_compareILb0ELb1EiNS0_19identity_decomposerEEEEE10hipError_tT0_T1_T2_jT3_P12ihipStream_tbPNSt15iterator_traitsISK_E10value_typeEPNSQ_ISL_E10value_typeEPSM_NS1_7vsmem_tEENKUlT_SK_SL_SM_E_clIPiSE_SF_SF_EESJ_SZ_SK_SL_SM_EUlSZ_E0_NS1_11comp_targetILNS1_3genE2ELNS1_11target_archE906ELNS1_3gpuE6ELNS1_3repE0EEENS1_38merge_mergepath_config_static_selectorELNS0_4arch9wavefront6targetE1EEEvSL_, .Lfunc_end1684-_ZN7rocprim17ROCPRIM_400000_NS6detail17trampoline_kernelINS0_14default_configENS1_38merge_sort_block_merge_config_selectorIiNS0_10empty_typeEEEZZNS1_27merge_sort_block_merge_implIS3_N6thrust23THRUST_200600_302600_NS6detail15normal_iteratorINS9_10device_ptrIiEEEEPS5_jNS1_19radix_merge_compareILb0ELb1EiNS0_19identity_decomposerEEEEE10hipError_tT0_T1_T2_jT3_P12ihipStream_tbPNSt15iterator_traitsISK_E10value_typeEPNSQ_ISL_E10value_typeEPSM_NS1_7vsmem_tEENKUlT_SK_SL_SM_E_clIPiSE_SF_SF_EESJ_SZ_SK_SL_SM_EUlSZ_E0_NS1_11comp_targetILNS1_3genE2ELNS1_11target_archE906ELNS1_3gpuE6ELNS1_3repE0EEENS1_38merge_mergepath_config_static_selectorELNS0_4arch9wavefront6targetE1EEEvSL_
                                        ; -- End function
	.section	.AMDGPU.csdata,"",@progbits
; Kernel info:
; codeLenInByte = 0
; NumSgprs: 6
; NumVgprs: 0
; NumAgprs: 0
; TotalNumVgprs: 0
; ScratchSize: 0
; MemoryBound: 0
; FloatMode: 240
; IeeeMode: 1
; LDSByteSize: 0 bytes/workgroup (compile time only)
; SGPRBlocks: 0
; VGPRBlocks: 0
; NumSGPRsForWavesPerEU: 6
; NumVGPRsForWavesPerEU: 1
; AccumOffset: 4
; Occupancy: 8
; WaveLimiterHint : 0
; COMPUTE_PGM_RSRC2:SCRATCH_EN: 0
; COMPUTE_PGM_RSRC2:USER_SGPR: 2
; COMPUTE_PGM_RSRC2:TRAP_HANDLER: 0
; COMPUTE_PGM_RSRC2:TGID_X_EN: 1
; COMPUTE_PGM_RSRC2:TGID_Y_EN: 0
; COMPUTE_PGM_RSRC2:TGID_Z_EN: 0
; COMPUTE_PGM_RSRC2:TIDIG_COMP_CNT: 0
; COMPUTE_PGM_RSRC3_GFX90A:ACCUM_OFFSET: 0
; COMPUTE_PGM_RSRC3_GFX90A:TG_SPLIT: 0
	.section	.text._ZN7rocprim17ROCPRIM_400000_NS6detail17trampoline_kernelINS0_14default_configENS1_38merge_sort_block_merge_config_selectorIiNS0_10empty_typeEEEZZNS1_27merge_sort_block_merge_implIS3_N6thrust23THRUST_200600_302600_NS6detail15normal_iteratorINS9_10device_ptrIiEEEEPS5_jNS1_19radix_merge_compareILb0ELb1EiNS0_19identity_decomposerEEEEE10hipError_tT0_T1_T2_jT3_P12ihipStream_tbPNSt15iterator_traitsISK_E10value_typeEPNSQ_ISL_E10value_typeEPSM_NS1_7vsmem_tEENKUlT_SK_SL_SM_E_clIPiSE_SF_SF_EESJ_SZ_SK_SL_SM_EUlSZ_E0_NS1_11comp_targetILNS1_3genE9ELNS1_11target_archE1100ELNS1_3gpuE3ELNS1_3repE0EEENS1_38merge_mergepath_config_static_selectorELNS0_4arch9wavefront6targetE1EEEvSL_,"axG",@progbits,_ZN7rocprim17ROCPRIM_400000_NS6detail17trampoline_kernelINS0_14default_configENS1_38merge_sort_block_merge_config_selectorIiNS0_10empty_typeEEEZZNS1_27merge_sort_block_merge_implIS3_N6thrust23THRUST_200600_302600_NS6detail15normal_iteratorINS9_10device_ptrIiEEEEPS5_jNS1_19radix_merge_compareILb0ELb1EiNS0_19identity_decomposerEEEEE10hipError_tT0_T1_T2_jT3_P12ihipStream_tbPNSt15iterator_traitsISK_E10value_typeEPNSQ_ISL_E10value_typeEPSM_NS1_7vsmem_tEENKUlT_SK_SL_SM_E_clIPiSE_SF_SF_EESJ_SZ_SK_SL_SM_EUlSZ_E0_NS1_11comp_targetILNS1_3genE9ELNS1_11target_archE1100ELNS1_3gpuE3ELNS1_3repE0EEENS1_38merge_mergepath_config_static_selectorELNS0_4arch9wavefront6targetE1EEEvSL_,comdat
	.protected	_ZN7rocprim17ROCPRIM_400000_NS6detail17trampoline_kernelINS0_14default_configENS1_38merge_sort_block_merge_config_selectorIiNS0_10empty_typeEEEZZNS1_27merge_sort_block_merge_implIS3_N6thrust23THRUST_200600_302600_NS6detail15normal_iteratorINS9_10device_ptrIiEEEEPS5_jNS1_19radix_merge_compareILb0ELb1EiNS0_19identity_decomposerEEEEE10hipError_tT0_T1_T2_jT3_P12ihipStream_tbPNSt15iterator_traitsISK_E10value_typeEPNSQ_ISL_E10value_typeEPSM_NS1_7vsmem_tEENKUlT_SK_SL_SM_E_clIPiSE_SF_SF_EESJ_SZ_SK_SL_SM_EUlSZ_E0_NS1_11comp_targetILNS1_3genE9ELNS1_11target_archE1100ELNS1_3gpuE3ELNS1_3repE0EEENS1_38merge_mergepath_config_static_selectorELNS0_4arch9wavefront6targetE1EEEvSL_ ; -- Begin function _ZN7rocprim17ROCPRIM_400000_NS6detail17trampoline_kernelINS0_14default_configENS1_38merge_sort_block_merge_config_selectorIiNS0_10empty_typeEEEZZNS1_27merge_sort_block_merge_implIS3_N6thrust23THRUST_200600_302600_NS6detail15normal_iteratorINS9_10device_ptrIiEEEEPS5_jNS1_19radix_merge_compareILb0ELb1EiNS0_19identity_decomposerEEEEE10hipError_tT0_T1_T2_jT3_P12ihipStream_tbPNSt15iterator_traitsISK_E10value_typeEPNSQ_ISL_E10value_typeEPSM_NS1_7vsmem_tEENKUlT_SK_SL_SM_E_clIPiSE_SF_SF_EESJ_SZ_SK_SL_SM_EUlSZ_E0_NS1_11comp_targetILNS1_3genE9ELNS1_11target_archE1100ELNS1_3gpuE3ELNS1_3repE0EEENS1_38merge_mergepath_config_static_selectorELNS0_4arch9wavefront6targetE1EEEvSL_
	.globl	_ZN7rocprim17ROCPRIM_400000_NS6detail17trampoline_kernelINS0_14default_configENS1_38merge_sort_block_merge_config_selectorIiNS0_10empty_typeEEEZZNS1_27merge_sort_block_merge_implIS3_N6thrust23THRUST_200600_302600_NS6detail15normal_iteratorINS9_10device_ptrIiEEEEPS5_jNS1_19radix_merge_compareILb0ELb1EiNS0_19identity_decomposerEEEEE10hipError_tT0_T1_T2_jT3_P12ihipStream_tbPNSt15iterator_traitsISK_E10value_typeEPNSQ_ISL_E10value_typeEPSM_NS1_7vsmem_tEENKUlT_SK_SL_SM_E_clIPiSE_SF_SF_EESJ_SZ_SK_SL_SM_EUlSZ_E0_NS1_11comp_targetILNS1_3genE9ELNS1_11target_archE1100ELNS1_3gpuE3ELNS1_3repE0EEENS1_38merge_mergepath_config_static_selectorELNS0_4arch9wavefront6targetE1EEEvSL_
	.p2align	8
	.type	_ZN7rocprim17ROCPRIM_400000_NS6detail17trampoline_kernelINS0_14default_configENS1_38merge_sort_block_merge_config_selectorIiNS0_10empty_typeEEEZZNS1_27merge_sort_block_merge_implIS3_N6thrust23THRUST_200600_302600_NS6detail15normal_iteratorINS9_10device_ptrIiEEEEPS5_jNS1_19radix_merge_compareILb0ELb1EiNS0_19identity_decomposerEEEEE10hipError_tT0_T1_T2_jT3_P12ihipStream_tbPNSt15iterator_traitsISK_E10value_typeEPNSQ_ISL_E10value_typeEPSM_NS1_7vsmem_tEENKUlT_SK_SL_SM_E_clIPiSE_SF_SF_EESJ_SZ_SK_SL_SM_EUlSZ_E0_NS1_11comp_targetILNS1_3genE9ELNS1_11target_archE1100ELNS1_3gpuE3ELNS1_3repE0EEENS1_38merge_mergepath_config_static_selectorELNS0_4arch9wavefront6targetE1EEEvSL_,@function
_ZN7rocprim17ROCPRIM_400000_NS6detail17trampoline_kernelINS0_14default_configENS1_38merge_sort_block_merge_config_selectorIiNS0_10empty_typeEEEZZNS1_27merge_sort_block_merge_implIS3_N6thrust23THRUST_200600_302600_NS6detail15normal_iteratorINS9_10device_ptrIiEEEEPS5_jNS1_19radix_merge_compareILb0ELb1EiNS0_19identity_decomposerEEEEE10hipError_tT0_T1_T2_jT3_P12ihipStream_tbPNSt15iterator_traitsISK_E10value_typeEPNSQ_ISL_E10value_typeEPSM_NS1_7vsmem_tEENKUlT_SK_SL_SM_E_clIPiSE_SF_SF_EESJ_SZ_SK_SL_SM_EUlSZ_E0_NS1_11comp_targetILNS1_3genE9ELNS1_11target_archE1100ELNS1_3gpuE3ELNS1_3repE0EEENS1_38merge_mergepath_config_static_selectorELNS0_4arch9wavefront6targetE1EEEvSL_: ; @_ZN7rocprim17ROCPRIM_400000_NS6detail17trampoline_kernelINS0_14default_configENS1_38merge_sort_block_merge_config_selectorIiNS0_10empty_typeEEEZZNS1_27merge_sort_block_merge_implIS3_N6thrust23THRUST_200600_302600_NS6detail15normal_iteratorINS9_10device_ptrIiEEEEPS5_jNS1_19radix_merge_compareILb0ELb1EiNS0_19identity_decomposerEEEEE10hipError_tT0_T1_T2_jT3_P12ihipStream_tbPNSt15iterator_traitsISK_E10value_typeEPNSQ_ISL_E10value_typeEPSM_NS1_7vsmem_tEENKUlT_SK_SL_SM_E_clIPiSE_SF_SF_EESJ_SZ_SK_SL_SM_EUlSZ_E0_NS1_11comp_targetILNS1_3genE9ELNS1_11target_archE1100ELNS1_3gpuE3ELNS1_3repE0EEENS1_38merge_mergepath_config_static_selectorELNS0_4arch9wavefront6targetE1EEEvSL_
; %bb.0:
	.section	.rodata,"a",@progbits
	.p2align	6, 0x0
	.amdhsa_kernel _ZN7rocprim17ROCPRIM_400000_NS6detail17trampoline_kernelINS0_14default_configENS1_38merge_sort_block_merge_config_selectorIiNS0_10empty_typeEEEZZNS1_27merge_sort_block_merge_implIS3_N6thrust23THRUST_200600_302600_NS6detail15normal_iteratorINS9_10device_ptrIiEEEEPS5_jNS1_19radix_merge_compareILb0ELb1EiNS0_19identity_decomposerEEEEE10hipError_tT0_T1_T2_jT3_P12ihipStream_tbPNSt15iterator_traitsISK_E10value_typeEPNSQ_ISL_E10value_typeEPSM_NS1_7vsmem_tEENKUlT_SK_SL_SM_E_clIPiSE_SF_SF_EESJ_SZ_SK_SL_SM_EUlSZ_E0_NS1_11comp_targetILNS1_3genE9ELNS1_11target_archE1100ELNS1_3gpuE3ELNS1_3repE0EEENS1_38merge_mergepath_config_static_selectorELNS0_4arch9wavefront6targetE1EEEvSL_
		.amdhsa_group_segment_fixed_size 0
		.amdhsa_private_segment_fixed_size 0
		.amdhsa_kernarg_size 64
		.amdhsa_user_sgpr_count 2
		.amdhsa_user_sgpr_dispatch_ptr 0
		.amdhsa_user_sgpr_queue_ptr 0
		.amdhsa_user_sgpr_kernarg_segment_ptr 1
		.amdhsa_user_sgpr_dispatch_id 0
		.amdhsa_user_sgpr_kernarg_preload_length 0
		.amdhsa_user_sgpr_kernarg_preload_offset 0
		.amdhsa_user_sgpr_private_segment_size 0
		.amdhsa_uses_dynamic_stack 0
		.amdhsa_enable_private_segment 0
		.amdhsa_system_sgpr_workgroup_id_x 1
		.amdhsa_system_sgpr_workgroup_id_y 0
		.amdhsa_system_sgpr_workgroup_id_z 0
		.amdhsa_system_sgpr_workgroup_info 0
		.amdhsa_system_vgpr_workitem_id 0
		.amdhsa_next_free_vgpr 1
		.amdhsa_next_free_sgpr 0
		.amdhsa_accum_offset 4
		.amdhsa_reserve_vcc 0
		.amdhsa_float_round_mode_32 0
		.amdhsa_float_round_mode_16_64 0
		.amdhsa_float_denorm_mode_32 3
		.amdhsa_float_denorm_mode_16_64 3
		.amdhsa_dx10_clamp 1
		.amdhsa_ieee_mode 1
		.amdhsa_fp16_overflow 0
		.amdhsa_tg_split 0
		.amdhsa_exception_fp_ieee_invalid_op 0
		.amdhsa_exception_fp_denorm_src 0
		.amdhsa_exception_fp_ieee_div_zero 0
		.amdhsa_exception_fp_ieee_overflow 0
		.amdhsa_exception_fp_ieee_underflow 0
		.amdhsa_exception_fp_ieee_inexact 0
		.amdhsa_exception_int_div_zero 0
	.end_amdhsa_kernel
	.section	.text._ZN7rocprim17ROCPRIM_400000_NS6detail17trampoline_kernelINS0_14default_configENS1_38merge_sort_block_merge_config_selectorIiNS0_10empty_typeEEEZZNS1_27merge_sort_block_merge_implIS3_N6thrust23THRUST_200600_302600_NS6detail15normal_iteratorINS9_10device_ptrIiEEEEPS5_jNS1_19radix_merge_compareILb0ELb1EiNS0_19identity_decomposerEEEEE10hipError_tT0_T1_T2_jT3_P12ihipStream_tbPNSt15iterator_traitsISK_E10value_typeEPNSQ_ISL_E10value_typeEPSM_NS1_7vsmem_tEENKUlT_SK_SL_SM_E_clIPiSE_SF_SF_EESJ_SZ_SK_SL_SM_EUlSZ_E0_NS1_11comp_targetILNS1_3genE9ELNS1_11target_archE1100ELNS1_3gpuE3ELNS1_3repE0EEENS1_38merge_mergepath_config_static_selectorELNS0_4arch9wavefront6targetE1EEEvSL_,"axG",@progbits,_ZN7rocprim17ROCPRIM_400000_NS6detail17trampoline_kernelINS0_14default_configENS1_38merge_sort_block_merge_config_selectorIiNS0_10empty_typeEEEZZNS1_27merge_sort_block_merge_implIS3_N6thrust23THRUST_200600_302600_NS6detail15normal_iteratorINS9_10device_ptrIiEEEEPS5_jNS1_19radix_merge_compareILb0ELb1EiNS0_19identity_decomposerEEEEE10hipError_tT0_T1_T2_jT3_P12ihipStream_tbPNSt15iterator_traitsISK_E10value_typeEPNSQ_ISL_E10value_typeEPSM_NS1_7vsmem_tEENKUlT_SK_SL_SM_E_clIPiSE_SF_SF_EESJ_SZ_SK_SL_SM_EUlSZ_E0_NS1_11comp_targetILNS1_3genE9ELNS1_11target_archE1100ELNS1_3gpuE3ELNS1_3repE0EEENS1_38merge_mergepath_config_static_selectorELNS0_4arch9wavefront6targetE1EEEvSL_,comdat
.Lfunc_end1685:
	.size	_ZN7rocprim17ROCPRIM_400000_NS6detail17trampoline_kernelINS0_14default_configENS1_38merge_sort_block_merge_config_selectorIiNS0_10empty_typeEEEZZNS1_27merge_sort_block_merge_implIS3_N6thrust23THRUST_200600_302600_NS6detail15normal_iteratorINS9_10device_ptrIiEEEEPS5_jNS1_19radix_merge_compareILb0ELb1EiNS0_19identity_decomposerEEEEE10hipError_tT0_T1_T2_jT3_P12ihipStream_tbPNSt15iterator_traitsISK_E10value_typeEPNSQ_ISL_E10value_typeEPSM_NS1_7vsmem_tEENKUlT_SK_SL_SM_E_clIPiSE_SF_SF_EESJ_SZ_SK_SL_SM_EUlSZ_E0_NS1_11comp_targetILNS1_3genE9ELNS1_11target_archE1100ELNS1_3gpuE3ELNS1_3repE0EEENS1_38merge_mergepath_config_static_selectorELNS0_4arch9wavefront6targetE1EEEvSL_, .Lfunc_end1685-_ZN7rocprim17ROCPRIM_400000_NS6detail17trampoline_kernelINS0_14default_configENS1_38merge_sort_block_merge_config_selectorIiNS0_10empty_typeEEEZZNS1_27merge_sort_block_merge_implIS3_N6thrust23THRUST_200600_302600_NS6detail15normal_iteratorINS9_10device_ptrIiEEEEPS5_jNS1_19radix_merge_compareILb0ELb1EiNS0_19identity_decomposerEEEEE10hipError_tT0_T1_T2_jT3_P12ihipStream_tbPNSt15iterator_traitsISK_E10value_typeEPNSQ_ISL_E10value_typeEPSM_NS1_7vsmem_tEENKUlT_SK_SL_SM_E_clIPiSE_SF_SF_EESJ_SZ_SK_SL_SM_EUlSZ_E0_NS1_11comp_targetILNS1_3genE9ELNS1_11target_archE1100ELNS1_3gpuE3ELNS1_3repE0EEENS1_38merge_mergepath_config_static_selectorELNS0_4arch9wavefront6targetE1EEEvSL_
                                        ; -- End function
	.section	.AMDGPU.csdata,"",@progbits
; Kernel info:
; codeLenInByte = 0
; NumSgprs: 6
; NumVgprs: 0
; NumAgprs: 0
; TotalNumVgprs: 0
; ScratchSize: 0
; MemoryBound: 0
; FloatMode: 240
; IeeeMode: 1
; LDSByteSize: 0 bytes/workgroup (compile time only)
; SGPRBlocks: 0
; VGPRBlocks: 0
; NumSGPRsForWavesPerEU: 6
; NumVGPRsForWavesPerEU: 1
; AccumOffset: 4
; Occupancy: 8
; WaveLimiterHint : 0
; COMPUTE_PGM_RSRC2:SCRATCH_EN: 0
; COMPUTE_PGM_RSRC2:USER_SGPR: 2
; COMPUTE_PGM_RSRC2:TRAP_HANDLER: 0
; COMPUTE_PGM_RSRC2:TGID_X_EN: 1
; COMPUTE_PGM_RSRC2:TGID_Y_EN: 0
; COMPUTE_PGM_RSRC2:TGID_Z_EN: 0
; COMPUTE_PGM_RSRC2:TIDIG_COMP_CNT: 0
; COMPUTE_PGM_RSRC3_GFX90A:ACCUM_OFFSET: 0
; COMPUTE_PGM_RSRC3_GFX90A:TG_SPLIT: 0
	.section	.text._ZN7rocprim17ROCPRIM_400000_NS6detail17trampoline_kernelINS0_14default_configENS1_38merge_sort_block_merge_config_selectorIiNS0_10empty_typeEEEZZNS1_27merge_sort_block_merge_implIS3_N6thrust23THRUST_200600_302600_NS6detail15normal_iteratorINS9_10device_ptrIiEEEEPS5_jNS1_19radix_merge_compareILb0ELb1EiNS0_19identity_decomposerEEEEE10hipError_tT0_T1_T2_jT3_P12ihipStream_tbPNSt15iterator_traitsISK_E10value_typeEPNSQ_ISL_E10value_typeEPSM_NS1_7vsmem_tEENKUlT_SK_SL_SM_E_clIPiSE_SF_SF_EESJ_SZ_SK_SL_SM_EUlSZ_E0_NS1_11comp_targetILNS1_3genE8ELNS1_11target_archE1030ELNS1_3gpuE2ELNS1_3repE0EEENS1_38merge_mergepath_config_static_selectorELNS0_4arch9wavefront6targetE1EEEvSL_,"axG",@progbits,_ZN7rocprim17ROCPRIM_400000_NS6detail17trampoline_kernelINS0_14default_configENS1_38merge_sort_block_merge_config_selectorIiNS0_10empty_typeEEEZZNS1_27merge_sort_block_merge_implIS3_N6thrust23THRUST_200600_302600_NS6detail15normal_iteratorINS9_10device_ptrIiEEEEPS5_jNS1_19radix_merge_compareILb0ELb1EiNS0_19identity_decomposerEEEEE10hipError_tT0_T1_T2_jT3_P12ihipStream_tbPNSt15iterator_traitsISK_E10value_typeEPNSQ_ISL_E10value_typeEPSM_NS1_7vsmem_tEENKUlT_SK_SL_SM_E_clIPiSE_SF_SF_EESJ_SZ_SK_SL_SM_EUlSZ_E0_NS1_11comp_targetILNS1_3genE8ELNS1_11target_archE1030ELNS1_3gpuE2ELNS1_3repE0EEENS1_38merge_mergepath_config_static_selectorELNS0_4arch9wavefront6targetE1EEEvSL_,comdat
	.protected	_ZN7rocprim17ROCPRIM_400000_NS6detail17trampoline_kernelINS0_14default_configENS1_38merge_sort_block_merge_config_selectorIiNS0_10empty_typeEEEZZNS1_27merge_sort_block_merge_implIS3_N6thrust23THRUST_200600_302600_NS6detail15normal_iteratorINS9_10device_ptrIiEEEEPS5_jNS1_19radix_merge_compareILb0ELb1EiNS0_19identity_decomposerEEEEE10hipError_tT0_T1_T2_jT3_P12ihipStream_tbPNSt15iterator_traitsISK_E10value_typeEPNSQ_ISL_E10value_typeEPSM_NS1_7vsmem_tEENKUlT_SK_SL_SM_E_clIPiSE_SF_SF_EESJ_SZ_SK_SL_SM_EUlSZ_E0_NS1_11comp_targetILNS1_3genE8ELNS1_11target_archE1030ELNS1_3gpuE2ELNS1_3repE0EEENS1_38merge_mergepath_config_static_selectorELNS0_4arch9wavefront6targetE1EEEvSL_ ; -- Begin function _ZN7rocprim17ROCPRIM_400000_NS6detail17trampoline_kernelINS0_14default_configENS1_38merge_sort_block_merge_config_selectorIiNS0_10empty_typeEEEZZNS1_27merge_sort_block_merge_implIS3_N6thrust23THRUST_200600_302600_NS6detail15normal_iteratorINS9_10device_ptrIiEEEEPS5_jNS1_19radix_merge_compareILb0ELb1EiNS0_19identity_decomposerEEEEE10hipError_tT0_T1_T2_jT3_P12ihipStream_tbPNSt15iterator_traitsISK_E10value_typeEPNSQ_ISL_E10value_typeEPSM_NS1_7vsmem_tEENKUlT_SK_SL_SM_E_clIPiSE_SF_SF_EESJ_SZ_SK_SL_SM_EUlSZ_E0_NS1_11comp_targetILNS1_3genE8ELNS1_11target_archE1030ELNS1_3gpuE2ELNS1_3repE0EEENS1_38merge_mergepath_config_static_selectorELNS0_4arch9wavefront6targetE1EEEvSL_
	.globl	_ZN7rocprim17ROCPRIM_400000_NS6detail17trampoline_kernelINS0_14default_configENS1_38merge_sort_block_merge_config_selectorIiNS0_10empty_typeEEEZZNS1_27merge_sort_block_merge_implIS3_N6thrust23THRUST_200600_302600_NS6detail15normal_iteratorINS9_10device_ptrIiEEEEPS5_jNS1_19radix_merge_compareILb0ELb1EiNS0_19identity_decomposerEEEEE10hipError_tT0_T1_T2_jT3_P12ihipStream_tbPNSt15iterator_traitsISK_E10value_typeEPNSQ_ISL_E10value_typeEPSM_NS1_7vsmem_tEENKUlT_SK_SL_SM_E_clIPiSE_SF_SF_EESJ_SZ_SK_SL_SM_EUlSZ_E0_NS1_11comp_targetILNS1_3genE8ELNS1_11target_archE1030ELNS1_3gpuE2ELNS1_3repE0EEENS1_38merge_mergepath_config_static_selectorELNS0_4arch9wavefront6targetE1EEEvSL_
	.p2align	8
	.type	_ZN7rocprim17ROCPRIM_400000_NS6detail17trampoline_kernelINS0_14default_configENS1_38merge_sort_block_merge_config_selectorIiNS0_10empty_typeEEEZZNS1_27merge_sort_block_merge_implIS3_N6thrust23THRUST_200600_302600_NS6detail15normal_iteratorINS9_10device_ptrIiEEEEPS5_jNS1_19radix_merge_compareILb0ELb1EiNS0_19identity_decomposerEEEEE10hipError_tT0_T1_T2_jT3_P12ihipStream_tbPNSt15iterator_traitsISK_E10value_typeEPNSQ_ISL_E10value_typeEPSM_NS1_7vsmem_tEENKUlT_SK_SL_SM_E_clIPiSE_SF_SF_EESJ_SZ_SK_SL_SM_EUlSZ_E0_NS1_11comp_targetILNS1_3genE8ELNS1_11target_archE1030ELNS1_3gpuE2ELNS1_3repE0EEENS1_38merge_mergepath_config_static_selectorELNS0_4arch9wavefront6targetE1EEEvSL_,@function
_ZN7rocprim17ROCPRIM_400000_NS6detail17trampoline_kernelINS0_14default_configENS1_38merge_sort_block_merge_config_selectorIiNS0_10empty_typeEEEZZNS1_27merge_sort_block_merge_implIS3_N6thrust23THRUST_200600_302600_NS6detail15normal_iteratorINS9_10device_ptrIiEEEEPS5_jNS1_19radix_merge_compareILb0ELb1EiNS0_19identity_decomposerEEEEE10hipError_tT0_T1_T2_jT3_P12ihipStream_tbPNSt15iterator_traitsISK_E10value_typeEPNSQ_ISL_E10value_typeEPSM_NS1_7vsmem_tEENKUlT_SK_SL_SM_E_clIPiSE_SF_SF_EESJ_SZ_SK_SL_SM_EUlSZ_E0_NS1_11comp_targetILNS1_3genE8ELNS1_11target_archE1030ELNS1_3gpuE2ELNS1_3repE0EEENS1_38merge_mergepath_config_static_selectorELNS0_4arch9wavefront6targetE1EEEvSL_: ; @_ZN7rocprim17ROCPRIM_400000_NS6detail17trampoline_kernelINS0_14default_configENS1_38merge_sort_block_merge_config_selectorIiNS0_10empty_typeEEEZZNS1_27merge_sort_block_merge_implIS3_N6thrust23THRUST_200600_302600_NS6detail15normal_iteratorINS9_10device_ptrIiEEEEPS5_jNS1_19radix_merge_compareILb0ELb1EiNS0_19identity_decomposerEEEEE10hipError_tT0_T1_T2_jT3_P12ihipStream_tbPNSt15iterator_traitsISK_E10value_typeEPNSQ_ISL_E10value_typeEPSM_NS1_7vsmem_tEENKUlT_SK_SL_SM_E_clIPiSE_SF_SF_EESJ_SZ_SK_SL_SM_EUlSZ_E0_NS1_11comp_targetILNS1_3genE8ELNS1_11target_archE1030ELNS1_3gpuE2ELNS1_3repE0EEENS1_38merge_mergepath_config_static_selectorELNS0_4arch9wavefront6targetE1EEEvSL_
; %bb.0:
	.section	.rodata,"a",@progbits
	.p2align	6, 0x0
	.amdhsa_kernel _ZN7rocprim17ROCPRIM_400000_NS6detail17trampoline_kernelINS0_14default_configENS1_38merge_sort_block_merge_config_selectorIiNS0_10empty_typeEEEZZNS1_27merge_sort_block_merge_implIS3_N6thrust23THRUST_200600_302600_NS6detail15normal_iteratorINS9_10device_ptrIiEEEEPS5_jNS1_19radix_merge_compareILb0ELb1EiNS0_19identity_decomposerEEEEE10hipError_tT0_T1_T2_jT3_P12ihipStream_tbPNSt15iterator_traitsISK_E10value_typeEPNSQ_ISL_E10value_typeEPSM_NS1_7vsmem_tEENKUlT_SK_SL_SM_E_clIPiSE_SF_SF_EESJ_SZ_SK_SL_SM_EUlSZ_E0_NS1_11comp_targetILNS1_3genE8ELNS1_11target_archE1030ELNS1_3gpuE2ELNS1_3repE0EEENS1_38merge_mergepath_config_static_selectorELNS0_4arch9wavefront6targetE1EEEvSL_
		.amdhsa_group_segment_fixed_size 0
		.amdhsa_private_segment_fixed_size 0
		.amdhsa_kernarg_size 64
		.amdhsa_user_sgpr_count 2
		.amdhsa_user_sgpr_dispatch_ptr 0
		.amdhsa_user_sgpr_queue_ptr 0
		.amdhsa_user_sgpr_kernarg_segment_ptr 1
		.amdhsa_user_sgpr_dispatch_id 0
		.amdhsa_user_sgpr_kernarg_preload_length 0
		.amdhsa_user_sgpr_kernarg_preload_offset 0
		.amdhsa_user_sgpr_private_segment_size 0
		.amdhsa_uses_dynamic_stack 0
		.amdhsa_enable_private_segment 0
		.amdhsa_system_sgpr_workgroup_id_x 1
		.amdhsa_system_sgpr_workgroup_id_y 0
		.amdhsa_system_sgpr_workgroup_id_z 0
		.amdhsa_system_sgpr_workgroup_info 0
		.amdhsa_system_vgpr_workitem_id 0
		.amdhsa_next_free_vgpr 1
		.amdhsa_next_free_sgpr 0
		.amdhsa_accum_offset 4
		.amdhsa_reserve_vcc 0
		.amdhsa_float_round_mode_32 0
		.amdhsa_float_round_mode_16_64 0
		.amdhsa_float_denorm_mode_32 3
		.amdhsa_float_denorm_mode_16_64 3
		.amdhsa_dx10_clamp 1
		.amdhsa_ieee_mode 1
		.amdhsa_fp16_overflow 0
		.amdhsa_tg_split 0
		.amdhsa_exception_fp_ieee_invalid_op 0
		.amdhsa_exception_fp_denorm_src 0
		.amdhsa_exception_fp_ieee_div_zero 0
		.amdhsa_exception_fp_ieee_overflow 0
		.amdhsa_exception_fp_ieee_underflow 0
		.amdhsa_exception_fp_ieee_inexact 0
		.amdhsa_exception_int_div_zero 0
	.end_amdhsa_kernel
	.section	.text._ZN7rocprim17ROCPRIM_400000_NS6detail17trampoline_kernelINS0_14default_configENS1_38merge_sort_block_merge_config_selectorIiNS0_10empty_typeEEEZZNS1_27merge_sort_block_merge_implIS3_N6thrust23THRUST_200600_302600_NS6detail15normal_iteratorINS9_10device_ptrIiEEEEPS5_jNS1_19radix_merge_compareILb0ELb1EiNS0_19identity_decomposerEEEEE10hipError_tT0_T1_T2_jT3_P12ihipStream_tbPNSt15iterator_traitsISK_E10value_typeEPNSQ_ISL_E10value_typeEPSM_NS1_7vsmem_tEENKUlT_SK_SL_SM_E_clIPiSE_SF_SF_EESJ_SZ_SK_SL_SM_EUlSZ_E0_NS1_11comp_targetILNS1_3genE8ELNS1_11target_archE1030ELNS1_3gpuE2ELNS1_3repE0EEENS1_38merge_mergepath_config_static_selectorELNS0_4arch9wavefront6targetE1EEEvSL_,"axG",@progbits,_ZN7rocprim17ROCPRIM_400000_NS6detail17trampoline_kernelINS0_14default_configENS1_38merge_sort_block_merge_config_selectorIiNS0_10empty_typeEEEZZNS1_27merge_sort_block_merge_implIS3_N6thrust23THRUST_200600_302600_NS6detail15normal_iteratorINS9_10device_ptrIiEEEEPS5_jNS1_19radix_merge_compareILb0ELb1EiNS0_19identity_decomposerEEEEE10hipError_tT0_T1_T2_jT3_P12ihipStream_tbPNSt15iterator_traitsISK_E10value_typeEPNSQ_ISL_E10value_typeEPSM_NS1_7vsmem_tEENKUlT_SK_SL_SM_E_clIPiSE_SF_SF_EESJ_SZ_SK_SL_SM_EUlSZ_E0_NS1_11comp_targetILNS1_3genE8ELNS1_11target_archE1030ELNS1_3gpuE2ELNS1_3repE0EEENS1_38merge_mergepath_config_static_selectorELNS0_4arch9wavefront6targetE1EEEvSL_,comdat
.Lfunc_end1686:
	.size	_ZN7rocprim17ROCPRIM_400000_NS6detail17trampoline_kernelINS0_14default_configENS1_38merge_sort_block_merge_config_selectorIiNS0_10empty_typeEEEZZNS1_27merge_sort_block_merge_implIS3_N6thrust23THRUST_200600_302600_NS6detail15normal_iteratorINS9_10device_ptrIiEEEEPS5_jNS1_19radix_merge_compareILb0ELb1EiNS0_19identity_decomposerEEEEE10hipError_tT0_T1_T2_jT3_P12ihipStream_tbPNSt15iterator_traitsISK_E10value_typeEPNSQ_ISL_E10value_typeEPSM_NS1_7vsmem_tEENKUlT_SK_SL_SM_E_clIPiSE_SF_SF_EESJ_SZ_SK_SL_SM_EUlSZ_E0_NS1_11comp_targetILNS1_3genE8ELNS1_11target_archE1030ELNS1_3gpuE2ELNS1_3repE0EEENS1_38merge_mergepath_config_static_selectorELNS0_4arch9wavefront6targetE1EEEvSL_, .Lfunc_end1686-_ZN7rocprim17ROCPRIM_400000_NS6detail17trampoline_kernelINS0_14default_configENS1_38merge_sort_block_merge_config_selectorIiNS0_10empty_typeEEEZZNS1_27merge_sort_block_merge_implIS3_N6thrust23THRUST_200600_302600_NS6detail15normal_iteratorINS9_10device_ptrIiEEEEPS5_jNS1_19radix_merge_compareILb0ELb1EiNS0_19identity_decomposerEEEEE10hipError_tT0_T1_T2_jT3_P12ihipStream_tbPNSt15iterator_traitsISK_E10value_typeEPNSQ_ISL_E10value_typeEPSM_NS1_7vsmem_tEENKUlT_SK_SL_SM_E_clIPiSE_SF_SF_EESJ_SZ_SK_SL_SM_EUlSZ_E0_NS1_11comp_targetILNS1_3genE8ELNS1_11target_archE1030ELNS1_3gpuE2ELNS1_3repE0EEENS1_38merge_mergepath_config_static_selectorELNS0_4arch9wavefront6targetE1EEEvSL_
                                        ; -- End function
	.section	.AMDGPU.csdata,"",@progbits
; Kernel info:
; codeLenInByte = 0
; NumSgprs: 6
; NumVgprs: 0
; NumAgprs: 0
; TotalNumVgprs: 0
; ScratchSize: 0
; MemoryBound: 0
; FloatMode: 240
; IeeeMode: 1
; LDSByteSize: 0 bytes/workgroup (compile time only)
; SGPRBlocks: 0
; VGPRBlocks: 0
; NumSGPRsForWavesPerEU: 6
; NumVGPRsForWavesPerEU: 1
; AccumOffset: 4
; Occupancy: 8
; WaveLimiterHint : 0
; COMPUTE_PGM_RSRC2:SCRATCH_EN: 0
; COMPUTE_PGM_RSRC2:USER_SGPR: 2
; COMPUTE_PGM_RSRC2:TRAP_HANDLER: 0
; COMPUTE_PGM_RSRC2:TGID_X_EN: 1
; COMPUTE_PGM_RSRC2:TGID_Y_EN: 0
; COMPUTE_PGM_RSRC2:TGID_Z_EN: 0
; COMPUTE_PGM_RSRC2:TIDIG_COMP_CNT: 0
; COMPUTE_PGM_RSRC3_GFX90A:ACCUM_OFFSET: 0
; COMPUTE_PGM_RSRC3_GFX90A:TG_SPLIT: 0
	.section	.text._ZN7rocprim17ROCPRIM_400000_NS6detail17trampoline_kernelINS0_14default_configENS1_38merge_sort_block_merge_config_selectorIiNS0_10empty_typeEEEZZNS1_27merge_sort_block_merge_implIS3_N6thrust23THRUST_200600_302600_NS6detail15normal_iteratorINS9_10device_ptrIiEEEEPS5_jNS1_19radix_merge_compareILb0ELb1EiNS0_19identity_decomposerEEEEE10hipError_tT0_T1_T2_jT3_P12ihipStream_tbPNSt15iterator_traitsISK_E10value_typeEPNSQ_ISL_E10value_typeEPSM_NS1_7vsmem_tEENKUlT_SK_SL_SM_E_clIPiSE_SF_SF_EESJ_SZ_SK_SL_SM_EUlSZ_E1_NS1_11comp_targetILNS1_3genE0ELNS1_11target_archE4294967295ELNS1_3gpuE0ELNS1_3repE0EEENS1_36merge_oddeven_config_static_selectorELNS0_4arch9wavefront6targetE1EEEvSL_,"axG",@progbits,_ZN7rocprim17ROCPRIM_400000_NS6detail17trampoline_kernelINS0_14default_configENS1_38merge_sort_block_merge_config_selectorIiNS0_10empty_typeEEEZZNS1_27merge_sort_block_merge_implIS3_N6thrust23THRUST_200600_302600_NS6detail15normal_iteratorINS9_10device_ptrIiEEEEPS5_jNS1_19radix_merge_compareILb0ELb1EiNS0_19identity_decomposerEEEEE10hipError_tT0_T1_T2_jT3_P12ihipStream_tbPNSt15iterator_traitsISK_E10value_typeEPNSQ_ISL_E10value_typeEPSM_NS1_7vsmem_tEENKUlT_SK_SL_SM_E_clIPiSE_SF_SF_EESJ_SZ_SK_SL_SM_EUlSZ_E1_NS1_11comp_targetILNS1_3genE0ELNS1_11target_archE4294967295ELNS1_3gpuE0ELNS1_3repE0EEENS1_36merge_oddeven_config_static_selectorELNS0_4arch9wavefront6targetE1EEEvSL_,comdat
	.protected	_ZN7rocprim17ROCPRIM_400000_NS6detail17trampoline_kernelINS0_14default_configENS1_38merge_sort_block_merge_config_selectorIiNS0_10empty_typeEEEZZNS1_27merge_sort_block_merge_implIS3_N6thrust23THRUST_200600_302600_NS6detail15normal_iteratorINS9_10device_ptrIiEEEEPS5_jNS1_19radix_merge_compareILb0ELb1EiNS0_19identity_decomposerEEEEE10hipError_tT0_T1_T2_jT3_P12ihipStream_tbPNSt15iterator_traitsISK_E10value_typeEPNSQ_ISL_E10value_typeEPSM_NS1_7vsmem_tEENKUlT_SK_SL_SM_E_clIPiSE_SF_SF_EESJ_SZ_SK_SL_SM_EUlSZ_E1_NS1_11comp_targetILNS1_3genE0ELNS1_11target_archE4294967295ELNS1_3gpuE0ELNS1_3repE0EEENS1_36merge_oddeven_config_static_selectorELNS0_4arch9wavefront6targetE1EEEvSL_ ; -- Begin function _ZN7rocprim17ROCPRIM_400000_NS6detail17trampoline_kernelINS0_14default_configENS1_38merge_sort_block_merge_config_selectorIiNS0_10empty_typeEEEZZNS1_27merge_sort_block_merge_implIS3_N6thrust23THRUST_200600_302600_NS6detail15normal_iteratorINS9_10device_ptrIiEEEEPS5_jNS1_19radix_merge_compareILb0ELb1EiNS0_19identity_decomposerEEEEE10hipError_tT0_T1_T2_jT3_P12ihipStream_tbPNSt15iterator_traitsISK_E10value_typeEPNSQ_ISL_E10value_typeEPSM_NS1_7vsmem_tEENKUlT_SK_SL_SM_E_clIPiSE_SF_SF_EESJ_SZ_SK_SL_SM_EUlSZ_E1_NS1_11comp_targetILNS1_3genE0ELNS1_11target_archE4294967295ELNS1_3gpuE0ELNS1_3repE0EEENS1_36merge_oddeven_config_static_selectorELNS0_4arch9wavefront6targetE1EEEvSL_
	.globl	_ZN7rocprim17ROCPRIM_400000_NS6detail17trampoline_kernelINS0_14default_configENS1_38merge_sort_block_merge_config_selectorIiNS0_10empty_typeEEEZZNS1_27merge_sort_block_merge_implIS3_N6thrust23THRUST_200600_302600_NS6detail15normal_iteratorINS9_10device_ptrIiEEEEPS5_jNS1_19radix_merge_compareILb0ELb1EiNS0_19identity_decomposerEEEEE10hipError_tT0_T1_T2_jT3_P12ihipStream_tbPNSt15iterator_traitsISK_E10value_typeEPNSQ_ISL_E10value_typeEPSM_NS1_7vsmem_tEENKUlT_SK_SL_SM_E_clIPiSE_SF_SF_EESJ_SZ_SK_SL_SM_EUlSZ_E1_NS1_11comp_targetILNS1_3genE0ELNS1_11target_archE4294967295ELNS1_3gpuE0ELNS1_3repE0EEENS1_36merge_oddeven_config_static_selectorELNS0_4arch9wavefront6targetE1EEEvSL_
	.p2align	8
	.type	_ZN7rocprim17ROCPRIM_400000_NS6detail17trampoline_kernelINS0_14default_configENS1_38merge_sort_block_merge_config_selectorIiNS0_10empty_typeEEEZZNS1_27merge_sort_block_merge_implIS3_N6thrust23THRUST_200600_302600_NS6detail15normal_iteratorINS9_10device_ptrIiEEEEPS5_jNS1_19radix_merge_compareILb0ELb1EiNS0_19identity_decomposerEEEEE10hipError_tT0_T1_T2_jT3_P12ihipStream_tbPNSt15iterator_traitsISK_E10value_typeEPNSQ_ISL_E10value_typeEPSM_NS1_7vsmem_tEENKUlT_SK_SL_SM_E_clIPiSE_SF_SF_EESJ_SZ_SK_SL_SM_EUlSZ_E1_NS1_11comp_targetILNS1_3genE0ELNS1_11target_archE4294967295ELNS1_3gpuE0ELNS1_3repE0EEENS1_36merge_oddeven_config_static_selectorELNS0_4arch9wavefront6targetE1EEEvSL_,@function
_ZN7rocprim17ROCPRIM_400000_NS6detail17trampoline_kernelINS0_14default_configENS1_38merge_sort_block_merge_config_selectorIiNS0_10empty_typeEEEZZNS1_27merge_sort_block_merge_implIS3_N6thrust23THRUST_200600_302600_NS6detail15normal_iteratorINS9_10device_ptrIiEEEEPS5_jNS1_19radix_merge_compareILb0ELb1EiNS0_19identity_decomposerEEEEE10hipError_tT0_T1_T2_jT3_P12ihipStream_tbPNSt15iterator_traitsISK_E10value_typeEPNSQ_ISL_E10value_typeEPSM_NS1_7vsmem_tEENKUlT_SK_SL_SM_E_clIPiSE_SF_SF_EESJ_SZ_SK_SL_SM_EUlSZ_E1_NS1_11comp_targetILNS1_3genE0ELNS1_11target_archE4294967295ELNS1_3gpuE0ELNS1_3repE0EEENS1_36merge_oddeven_config_static_selectorELNS0_4arch9wavefront6targetE1EEEvSL_: ; @_ZN7rocprim17ROCPRIM_400000_NS6detail17trampoline_kernelINS0_14default_configENS1_38merge_sort_block_merge_config_selectorIiNS0_10empty_typeEEEZZNS1_27merge_sort_block_merge_implIS3_N6thrust23THRUST_200600_302600_NS6detail15normal_iteratorINS9_10device_ptrIiEEEEPS5_jNS1_19radix_merge_compareILb0ELb1EiNS0_19identity_decomposerEEEEE10hipError_tT0_T1_T2_jT3_P12ihipStream_tbPNSt15iterator_traitsISK_E10value_typeEPNSQ_ISL_E10value_typeEPSM_NS1_7vsmem_tEENKUlT_SK_SL_SM_E_clIPiSE_SF_SF_EESJ_SZ_SK_SL_SM_EUlSZ_E1_NS1_11comp_targetILNS1_3genE0ELNS1_11target_archE4294967295ELNS1_3gpuE0ELNS1_3repE0EEENS1_36merge_oddeven_config_static_selectorELNS0_4arch9wavefront6targetE1EEEvSL_
; %bb.0:
	.section	.rodata,"a",@progbits
	.p2align	6, 0x0
	.amdhsa_kernel _ZN7rocprim17ROCPRIM_400000_NS6detail17trampoline_kernelINS0_14default_configENS1_38merge_sort_block_merge_config_selectorIiNS0_10empty_typeEEEZZNS1_27merge_sort_block_merge_implIS3_N6thrust23THRUST_200600_302600_NS6detail15normal_iteratorINS9_10device_ptrIiEEEEPS5_jNS1_19radix_merge_compareILb0ELb1EiNS0_19identity_decomposerEEEEE10hipError_tT0_T1_T2_jT3_P12ihipStream_tbPNSt15iterator_traitsISK_E10value_typeEPNSQ_ISL_E10value_typeEPSM_NS1_7vsmem_tEENKUlT_SK_SL_SM_E_clIPiSE_SF_SF_EESJ_SZ_SK_SL_SM_EUlSZ_E1_NS1_11comp_targetILNS1_3genE0ELNS1_11target_archE4294967295ELNS1_3gpuE0ELNS1_3repE0EEENS1_36merge_oddeven_config_static_selectorELNS0_4arch9wavefront6targetE1EEEvSL_
		.amdhsa_group_segment_fixed_size 0
		.amdhsa_private_segment_fixed_size 0
		.amdhsa_kernarg_size 48
		.amdhsa_user_sgpr_count 2
		.amdhsa_user_sgpr_dispatch_ptr 0
		.amdhsa_user_sgpr_queue_ptr 0
		.amdhsa_user_sgpr_kernarg_segment_ptr 1
		.amdhsa_user_sgpr_dispatch_id 0
		.amdhsa_user_sgpr_kernarg_preload_length 0
		.amdhsa_user_sgpr_kernarg_preload_offset 0
		.amdhsa_user_sgpr_private_segment_size 0
		.amdhsa_uses_dynamic_stack 0
		.amdhsa_enable_private_segment 0
		.amdhsa_system_sgpr_workgroup_id_x 1
		.amdhsa_system_sgpr_workgroup_id_y 0
		.amdhsa_system_sgpr_workgroup_id_z 0
		.amdhsa_system_sgpr_workgroup_info 0
		.amdhsa_system_vgpr_workitem_id 0
		.amdhsa_next_free_vgpr 1
		.amdhsa_next_free_sgpr 0
		.amdhsa_accum_offset 4
		.amdhsa_reserve_vcc 0
		.amdhsa_float_round_mode_32 0
		.amdhsa_float_round_mode_16_64 0
		.amdhsa_float_denorm_mode_32 3
		.amdhsa_float_denorm_mode_16_64 3
		.amdhsa_dx10_clamp 1
		.amdhsa_ieee_mode 1
		.amdhsa_fp16_overflow 0
		.amdhsa_tg_split 0
		.amdhsa_exception_fp_ieee_invalid_op 0
		.amdhsa_exception_fp_denorm_src 0
		.amdhsa_exception_fp_ieee_div_zero 0
		.amdhsa_exception_fp_ieee_overflow 0
		.amdhsa_exception_fp_ieee_underflow 0
		.amdhsa_exception_fp_ieee_inexact 0
		.amdhsa_exception_int_div_zero 0
	.end_amdhsa_kernel
	.section	.text._ZN7rocprim17ROCPRIM_400000_NS6detail17trampoline_kernelINS0_14default_configENS1_38merge_sort_block_merge_config_selectorIiNS0_10empty_typeEEEZZNS1_27merge_sort_block_merge_implIS3_N6thrust23THRUST_200600_302600_NS6detail15normal_iteratorINS9_10device_ptrIiEEEEPS5_jNS1_19radix_merge_compareILb0ELb1EiNS0_19identity_decomposerEEEEE10hipError_tT0_T1_T2_jT3_P12ihipStream_tbPNSt15iterator_traitsISK_E10value_typeEPNSQ_ISL_E10value_typeEPSM_NS1_7vsmem_tEENKUlT_SK_SL_SM_E_clIPiSE_SF_SF_EESJ_SZ_SK_SL_SM_EUlSZ_E1_NS1_11comp_targetILNS1_3genE0ELNS1_11target_archE4294967295ELNS1_3gpuE0ELNS1_3repE0EEENS1_36merge_oddeven_config_static_selectorELNS0_4arch9wavefront6targetE1EEEvSL_,"axG",@progbits,_ZN7rocprim17ROCPRIM_400000_NS6detail17trampoline_kernelINS0_14default_configENS1_38merge_sort_block_merge_config_selectorIiNS0_10empty_typeEEEZZNS1_27merge_sort_block_merge_implIS3_N6thrust23THRUST_200600_302600_NS6detail15normal_iteratorINS9_10device_ptrIiEEEEPS5_jNS1_19radix_merge_compareILb0ELb1EiNS0_19identity_decomposerEEEEE10hipError_tT0_T1_T2_jT3_P12ihipStream_tbPNSt15iterator_traitsISK_E10value_typeEPNSQ_ISL_E10value_typeEPSM_NS1_7vsmem_tEENKUlT_SK_SL_SM_E_clIPiSE_SF_SF_EESJ_SZ_SK_SL_SM_EUlSZ_E1_NS1_11comp_targetILNS1_3genE0ELNS1_11target_archE4294967295ELNS1_3gpuE0ELNS1_3repE0EEENS1_36merge_oddeven_config_static_selectorELNS0_4arch9wavefront6targetE1EEEvSL_,comdat
.Lfunc_end1687:
	.size	_ZN7rocprim17ROCPRIM_400000_NS6detail17trampoline_kernelINS0_14default_configENS1_38merge_sort_block_merge_config_selectorIiNS0_10empty_typeEEEZZNS1_27merge_sort_block_merge_implIS3_N6thrust23THRUST_200600_302600_NS6detail15normal_iteratorINS9_10device_ptrIiEEEEPS5_jNS1_19radix_merge_compareILb0ELb1EiNS0_19identity_decomposerEEEEE10hipError_tT0_T1_T2_jT3_P12ihipStream_tbPNSt15iterator_traitsISK_E10value_typeEPNSQ_ISL_E10value_typeEPSM_NS1_7vsmem_tEENKUlT_SK_SL_SM_E_clIPiSE_SF_SF_EESJ_SZ_SK_SL_SM_EUlSZ_E1_NS1_11comp_targetILNS1_3genE0ELNS1_11target_archE4294967295ELNS1_3gpuE0ELNS1_3repE0EEENS1_36merge_oddeven_config_static_selectorELNS0_4arch9wavefront6targetE1EEEvSL_, .Lfunc_end1687-_ZN7rocprim17ROCPRIM_400000_NS6detail17trampoline_kernelINS0_14default_configENS1_38merge_sort_block_merge_config_selectorIiNS0_10empty_typeEEEZZNS1_27merge_sort_block_merge_implIS3_N6thrust23THRUST_200600_302600_NS6detail15normal_iteratorINS9_10device_ptrIiEEEEPS5_jNS1_19radix_merge_compareILb0ELb1EiNS0_19identity_decomposerEEEEE10hipError_tT0_T1_T2_jT3_P12ihipStream_tbPNSt15iterator_traitsISK_E10value_typeEPNSQ_ISL_E10value_typeEPSM_NS1_7vsmem_tEENKUlT_SK_SL_SM_E_clIPiSE_SF_SF_EESJ_SZ_SK_SL_SM_EUlSZ_E1_NS1_11comp_targetILNS1_3genE0ELNS1_11target_archE4294967295ELNS1_3gpuE0ELNS1_3repE0EEENS1_36merge_oddeven_config_static_selectorELNS0_4arch9wavefront6targetE1EEEvSL_
                                        ; -- End function
	.section	.AMDGPU.csdata,"",@progbits
; Kernel info:
; codeLenInByte = 0
; NumSgprs: 6
; NumVgprs: 0
; NumAgprs: 0
; TotalNumVgprs: 0
; ScratchSize: 0
; MemoryBound: 0
; FloatMode: 240
; IeeeMode: 1
; LDSByteSize: 0 bytes/workgroup (compile time only)
; SGPRBlocks: 0
; VGPRBlocks: 0
; NumSGPRsForWavesPerEU: 6
; NumVGPRsForWavesPerEU: 1
; AccumOffset: 4
; Occupancy: 8
; WaveLimiterHint : 0
; COMPUTE_PGM_RSRC2:SCRATCH_EN: 0
; COMPUTE_PGM_RSRC2:USER_SGPR: 2
; COMPUTE_PGM_RSRC2:TRAP_HANDLER: 0
; COMPUTE_PGM_RSRC2:TGID_X_EN: 1
; COMPUTE_PGM_RSRC2:TGID_Y_EN: 0
; COMPUTE_PGM_RSRC2:TGID_Z_EN: 0
; COMPUTE_PGM_RSRC2:TIDIG_COMP_CNT: 0
; COMPUTE_PGM_RSRC3_GFX90A:ACCUM_OFFSET: 0
; COMPUTE_PGM_RSRC3_GFX90A:TG_SPLIT: 0
	.section	.text._ZN7rocprim17ROCPRIM_400000_NS6detail17trampoline_kernelINS0_14default_configENS1_38merge_sort_block_merge_config_selectorIiNS0_10empty_typeEEEZZNS1_27merge_sort_block_merge_implIS3_N6thrust23THRUST_200600_302600_NS6detail15normal_iteratorINS9_10device_ptrIiEEEEPS5_jNS1_19radix_merge_compareILb0ELb1EiNS0_19identity_decomposerEEEEE10hipError_tT0_T1_T2_jT3_P12ihipStream_tbPNSt15iterator_traitsISK_E10value_typeEPNSQ_ISL_E10value_typeEPSM_NS1_7vsmem_tEENKUlT_SK_SL_SM_E_clIPiSE_SF_SF_EESJ_SZ_SK_SL_SM_EUlSZ_E1_NS1_11comp_targetILNS1_3genE10ELNS1_11target_archE1201ELNS1_3gpuE5ELNS1_3repE0EEENS1_36merge_oddeven_config_static_selectorELNS0_4arch9wavefront6targetE1EEEvSL_,"axG",@progbits,_ZN7rocprim17ROCPRIM_400000_NS6detail17trampoline_kernelINS0_14default_configENS1_38merge_sort_block_merge_config_selectorIiNS0_10empty_typeEEEZZNS1_27merge_sort_block_merge_implIS3_N6thrust23THRUST_200600_302600_NS6detail15normal_iteratorINS9_10device_ptrIiEEEEPS5_jNS1_19radix_merge_compareILb0ELb1EiNS0_19identity_decomposerEEEEE10hipError_tT0_T1_T2_jT3_P12ihipStream_tbPNSt15iterator_traitsISK_E10value_typeEPNSQ_ISL_E10value_typeEPSM_NS1_7vsmem_tEENKUlT_SK_SL_SM_E_clIPiSE_SF_SF_EESJ_SZ_SK_SL_SM_EUlSZ_E1_NS1_11comp_targetILNS1_3genE10ELNS1_11target_archE1201ELNS1_3gpuE5ELNS1_3repE0EEENS1_36merge_oddeven_config_static_selectorELNS0_4arch9wavefront6targetE1EEEvSL_,comdat
	.protected	_ZN7rocprim17ROCPRIM_400000_NS6detail17trampoline_kernelINS0_14default_configENS1_38merge_sort_block_merge_config_selectorIiNS0_10empty_typeEEEZZNS1_27merge_sort_block_merge_implIS3_N6thrust23THRUST_200600_302600_NS6detail15normal_iteratorINS9_10device_ptrIiEEEEPS5_jNS1_19radix_merge_compareILb0ELb1EiNS0_19identity_decomposerEEEEE10hipError_tT0_T1_T2_jT3_P12ihipStream_tbPNSt15iterator_traitsISK_E10value_typeEPNSQ_ISL_E10value_typeEPSM_NS1_7vsmem_tEENKUlT_SK_SL_SM_E_clIPiSE_SF_SF_EESJ_SZ_SK_SL_SM_EUlSZ_E1_NS1_11comp_targetILNS1_3genE10ELNS1_11target_archE1201ELNS1_3gpuE5ELNS1_3repE0EEENS1_36merge_oddeven_config_static_selectorELNS0_4arch9wavefront6targetE1EEEvSL_ ; -- Begin function _ZN7rocprim17ROCPRIM_400000_NS6detail17trampoline_kernelINS0_14default_configENS1_38merge_sort_block_merge_config_selectorIiNS0_10empty_typeEEEZZNS1_27merge_sort_block_merge_implIS3_N6thrust23THRUST_200600_302600_NS6detail15normal_iteratorINS9_10device_ptrIiEEEEPS5_jNS1_19radix_merge_compareILb0ELb1EiNS0_19identity_decomposerEEEEE10hipError_tT0_T1_T2_jT3_P12ihipStream_tbPNSt15iterator_traitsISK_E10value_typeEPNSQ_ISL_E10value_typeEPSM_NS1_7vsmem_tEENKUlT_SK_SL_SM_E_clIPiSE_SF_SF_EESJ_SZ_SK_SL_SM_EUlSZ_E1_NS1_11comp_targetILNS1_3genE10ELNS1_11target_archE1201ELNS1_3gpuE5ELNS1_3repE0EEENS1_36merge_oddeven_config_static_selectorELNS0_4arch9wavefront6targetE1EEEvSL_
	.globl	_ZN7rocprim17ROCPRIM_400000_NS6detail17trampoline_kernelINS0_14default_configENS1_38merge_sort_block_merge_config_selectorIiNS0_10empty_typeEEEZZNS1_27merge_sort_block_merge_implIS3_N6thrust23THRUST_200600_302600_NS6detail15normal_iteratorINS9_10device_ptrIiEEEEPS5_jNS1_19radix_merge_compareILb0ELb1EiNS0_19identity_decomposerEEEEE10hipError_tT0_T1_T2_jT3_P12ihipStream_tbPNSt15iterator_traitsISK_E10value_typeEPNSQ_ISL_E10value_typeEPSM_NS1_7vsmem_tEENKUlT_SK_SL_SM_E_clIPiSE_SF_SF_EESJ_SZ_SK_SL_SM_EUlSZ_E1_NS1_11comp_targetILNS1_3genE10ELNS1_11target_archE1201ELNS1_3gpuE5ELNS1_3repE0EEENS1_36merge_oddeven_config_static_selectorELNS0_4arch9wavefront6targetE1EEEvSL_
	.p2align	8
	.type	_ZN7rocprim17ROCPRIM_400000_NS6detail17trampoline_kernelINS0_14default_configENS1_38merge_sort_block_merge_config_selectorIiNS0_10empty_typeEEEZZNS1_27merge_sort_block_merge_implIS3_N6thrust23THRUST_200600_302600_NS6detail15normal_iteratorINS9_10device_ptrIiEEEEPS5_jNS1_19radix_merge_compareILb0ELb1EiNS0_19identity_decomposerEEEEE10hipError_tT0_T1_T2_jT3_P12ihipStream_tbPNSt15iterator_traitsISK_E10value_typeEPNSQ_ISL_E10value_typeEPSM_NS1_7vsmem_tEENKUlT_SK_SL_SM_E_clIPiSE_SF_SF_EESJ_SZ_SK_SL_SM_EUlSZ_E1_NS1_11comp_targetILNS1_3genE10ELNS1_11target_archE1201ELNS1_3gpuE5ELNS1_3repE0EEENS1_36merge_oddeven_config_static_selectorELNS0_4arch9wavefront6targetE1EEEvSL_,@function
_ZN7rocprim17ROCPRIM_400000_NS6detail17trampoline_kernelINS0_14default_configENS1_38merge_sort_block_merge_config_selectorIiNS0_10empty_typeEEEZZNS1_27merge_sort_block_merge_implIS3_N6thrust23THRUST_200600_302600_NS6detail15normal_iteratorINS9_10device_ptrIiEEEEPS5_jNS1_19radix_merge_compareILb0ELb1EiNS0_19identity_decomposerEEEEE10hipError_tT0_T1_T2_jT3_P12ihipStream_tbPNSt15iterator_traitsISK_E10value_typeEPNSQ_ISL_E10value_typeEPSM_NS1_7vsmem_tEENKUlT_SK_SL_SM_E_clIPiSE_SF_SF_EESJ_SZ_SK_SL_SM_EUlSZ_E1_NS1_11comp_targetILNS1_3genE10ELNS1_11target_archE1201ELNS1_3gpuE5ELNS1_3repE0EEENS1_36merge_oddeven_config_static_selectorELNS0_4arch9wavefront6targetE1EEEvSL_: ; @_ZN7rocprim17ROCPRIM_400000_NS6detail17trampoline_kernelINS0_14default_configENS1_38merge_sort_block_merge_config_selectorIiNS0_10empty_typeEEEZZNS1_27merge_sort_block_merge_implIS3_N6thrust23THRUST_200600_302600_NS6detail15normal_iteratorINS9_10device_ptrIiEEEEPS5_jNS1_19radix_merge_compareILb0ELb1EiNS0_19identity_decomposerEEEEE10hipError_tT0_T1_T2_jT3_P12ihipStream_tbPNSt15iterator_traitsISK_E10value_typeEPNSQ_ISL_E10value_typeEPSM_NS1_7vsmem_tEENKUlT_SK_SL_SM_E_clIPiSE_SF_SF_EESJ_SZ_SK_SL_SM_EUlSZ_E1_NS1_11comp_targetILNS1_3genE10ELNS1_11target_archE1201ELNS1_3gpuE5ELNS1_3repE0EEENS1_36merge_oddeven_config_static_selectorELNS0_4arch9wavefront6targetE1EEEvSL_
; %bb.0:
	.section	.rodata,"a",@progbits
	.p2align	6, 0x0
	.amdhsa_kernel _ZN7rocprim17ROCPRIM_400000_NS6detail17trampoline_kernelINS0_14default_configENS1_38merge_sort_block_merge_config_selectorIiNS0_10empty_typeEEEZZNS1_27merge_sort_block_merge_implIS3_N6thrust23THRUST_200600_302600_NS6detail15normal_iteratorINS9_10device_ptrIiEEEEPS5_jNS1_19radix_merge_compareILb0ELb1EiNS0_19identity_decomposerEEEEE10hipError_tT0_T1_T2_jT3_P12ihipStream_tbPNSt15iterator_traitsISK_E10value_typeEPNSQ_ISL_E10value_typeEPSM_NS1_7vsmem_tEENKUlT_SK_SL_SM_E_clIPiSE_SF_SF_EESJ_SZ_SK_SL_SM_EUlSZ_E1_NS1_11comp_targetILNS1_3genE10ELNS1_11target_archE1201ELNS1_3gpuE5ELNS1_3repE0EEENS1_36merge_oddeven_config_static_selectorELNS0_4arch9wavefront6targetE1EEEvSL_
		.amdhsa_group_segment_fixed_size 0
		.amdhsa_private_segment_fixed_size 0
		.amdhsa_kernarg_size 48
		.amdhsa_user_sgpr_count 2
		.amdhsa_user_sgpr_dispatch_ptr 0
		.amdhsa_user_sgpr_queue_ptr 0
		.amdhsa_user_sgpr_kernarg_segment_ptr 1
		.amdhsa_user_sgpr_dispatch_id 0
		.amdhsa_user_sgpr_kernarg_preload_length 0
		.amdhsa_user_sgpr_kernarg_preload_offset 0
		.amdhsa_user_sgpr_private_segment_size 0
		.amdhsa_uses_dynamic_stack 0
		.amdhsa_enable_private_segment 0
		.amdhsa_system_sgpr_workgroup_id_x 1
		.amdhsa_system_sgpr_workgroup_id_y 0
		.amdhsa_system_sgpr_workgroup_id_z 0
		.amdhsa_system_sgpr_workgroup_info 0
		.amdhsa_system_vgpr_workitem_id 0
		.amdhsa_next_free_vgpr 1
		.amdhsa_next_free_sgpr 0
		.amdhsa_accum_offset 4
		.amdhsa_reserve_vcc 0
		.amdhsa_float_round_mode_32 0
		.amdhsa_float_round_mode_16_64 0
		.amdhsa_float_denorm_mode_32 3
		.amdhsa_float_denorm_mode_16_64 3
		.amdhsa_dx10_clamp 1
		.amdhsa_ieee_mode 1
		.amdhsa_fp16_overflow 0
		.amdhsa_tg_split 0
		.amdhsa_exception_fp_ieee_invalid_op 0
		.amdhsa_exception_fp_denorm_src 0
		.amdhsa_exception_fp_ieee_div_zero 0
		.amdhsa_exception_fp_ieee_overflow 0
		.amdhsa_exception_fp_ieee_underflow 0
		.amdhsa_exception_fp_ieee_inexact 0
		.amdhsa_exception_int_div_zero 0
	.end_amdhsa_kernel
	.section	.text._ZN7rocprim17ROCPRIM_400000_NS6detail17trampoline_kernelINS0_14default_configENS1_38merge_sort_block_merge_config_selectorIiNS0_10empty_typeEEEZZNS1_27merge_sort_block_merge_implIS3_N6thrust23THRUST_200600_302600_NS6detail15normal_iteratorINS9_10device_ptrIiEEEEPS5_jNS1_19radix_merge_compareILb0ELb1EiNS0_19identity_decomposerEEEEE10hipError_tT0_T1_T2_jT3_P12ihipStream_tbPNSt15iterator_traitsISK_E10value_typeEPNSQ_ISL_E10value_typeEPSM_NS1_7vsmem_tEENKUlT_SK_SL_SM_E_clIPiSE_SF_SF_EESJ_SZ_SK_SL_SM_EUlSZ_E1_NS1_11comp_targetILNS1_3genE10ELNS1_11target_archE1201ELNS1_3gpuE5ELNS1_3repE0EEENS1_36merge_oddeven_config_static_selectorELNS0_4arch9wavefront6targetE1EEEvSL_,"axG",@progbits,_ZN7rocprim17ROCPRIM_400000_NS6detail17trampoline_kernelINS0_14default_configENS1_38merge_sort_block_merge_config_selectorIiNS0_10empty_typeEEEZZNS1_27merge_sort_block_merge_implIS3_N6thrust23THRUST_200600_302600_NS6detail15normal_iteratorINS9_10device_ptrIiEEEEPS5_jNS1_19radix_merge_compareILb0ELb1EiNS0_19identity_decomposerEEEEE10hipError_tT0_T1_T2_jT3_P12ihipStream_tbPNSt15iterator_traitsISK_E10value_typeEPNSQ_ISL_E10value_typeEPSM_NS1_7vsmem_tEENKUlT_SK_SL_SM_E_clIPiSE_SF_SF_EESJ_SZ_SK_SL_SM_EUlSZ_E1_NS1_11comp_targetILNS1_3genE10ELNS1_11target_archE1201ELNS1_3gpuE5ELNS1_3repE0EEENS1_36merge_oddeven_config_static_selectorELNS0_4arch9wavefront6targetE1EEEvSL_,comdat
.Lfunc_end1688:
	.size	_ZN7rocprim17ROCPRIM_400000_NS6detail17trampoline_kernelINS0_14default_configENS1_38merge_sort_block_merge_config_selectorIiNS0_10empty_typeEEEZZNS1_27merge_sort_block_merge_implIS3_N6thrust23THRUST_200600_302600_NS6detail15normal_iteratorINS9_10device_ptrIiEEEEPS5_jNS1_19radix_merge_compareILb0ELb1EiNS0_19identity_decomposerEEEEE10hipError_tT0_T1_T2_jT3_P12ihipStream_tbPNSt15iterator_traitsISK_E10value_typeEPNSQ_ISL_E10value_typeEPSM_NS1_7vsmem_tEENKUlT_SK_SL_SM_E_clIPiSE_SF_SF_EESJ_SZ_SK_SL_SM_EUlSZ_E1_NS1_11comp_targetILNS1_3genE10ELNS1_11target_archE1201ELNS1_3gpuE5ELNS1_3repE0EEENS1_36merge_oddeven_config_static_selectorELNS0_4arch9wavefront6targetE1EEEvSL_, .Lfunc_end1688-_ZN7rocprim17ROCPRIM_400000_NS6detail17trampoline_kernelINS0_14default_configENS1_38merge_sort_block_merge_config_selectorIiNS0_10empty_typeEEEZZNS1_27merge_sort_block_merge_implIS3_N6thrust23THRUST_200600_302600_NS6detail15normal_iteratorINS9_10device_ptrIiEEEEPS5_jNS1_19radix_merge_compareILb0ELb1EiNS0_19identity_decomposerEEEEE10hipError_tT0_T1_T2_jT3_P12ihipStream_tbPNSt15iterator_traitsISK_E10value_typeEPNSQ_ISL_E10value_typeEPSM_NS1_7vsmem_tEENKUlT_SK_SL_SM_E_clIPiSE_SF_SF_EESJ_SZ_SK_SL_SM_EUlSZ_E1_NS1_11comp_targetILNS1_3genE10ELNS1_11target_archE1201ELNS1_3gpuE5ELNS1_3repE0EEENS1_36merge_oddeven_config_static_selectorELNS0_4arch9wavefront6targetE1EEEvSL_
                                        ; -- End function
	.section	.AMDGPU.csdata,"",@progbits
; Kernel info:
; codeLenInByte = 0
; NumSgprs: 6
; NumVgprs: 0
; NumAgprs: 0
; TotalNumVgprs: 0
; ScratchSize: 0
; MemoryBound: 0
; FloatMode: 240
; IeeeMode: 1
; LDSByteSize: 0 bytes/workgroup (compile time only)
; SGPRBlocks: 0
; VGPRBlocks: 0
; NumSGPRsForWavesPerEU: 6
; NumVGPRsForWavesPerEU: 1
; AccumOffset: 4
; Occupancy: 8
; WaveLimiterHint : 0
; COMPUTE_PGM_RSRC2:SCRATCH_EN: 0
; COMPUTE_PGM_RSRC2:USER_SGPR: 2
; COMPUTE_PGM_RSRC2:TRAP_HANDLER: 0
; COMPUTE_PGM_RSRC2:TGID_X_EN: 1
; COMPUTE_PGM_RSRC2:TGID_Y_EN: 0
; COMPUTE_PGM_RSRC2:TGID_Z_EN: 0
; COMPUTE_PGM_RSRC2:TIDIG_COMP_CNT: 0
; COMPUTE_PGM_RSRC3_GFX90A:ACCUM_OFFSET: 0
; COMPUTE_PGM_RSRC3_GFX90A:TG_SPLIT: 0
	.section	.text._ZN7rocprim17ROCPRIM_400000_NS6detail17trampoline_kernelINS0_14default_configENS1_38merge_sort_block_merge_config_selectorIiNS0_10empty_typeEEEZZNS1_27merge_sort_block_merge_implIS3_N6thrust23THRUST_200600_302600_NS6detail15normal_iteratorINS9_10device_ptrIiEEEEPS5_jNS1_19radix_merge_compareILb0ELb1EiNS0_19identity_decomposerEEEEE10hipError_tT0_T1_T2_jT3_P12ihipStream_tbPNSt15iterator_traitsISK_E10value_typeEPNSQ_ISL_E10value_typeEPSM_NS1_7vsmem_tEENKUlT_SK_SL_SM_E_clIPiSE_SF_SF_EESJ_SZ_SK_SL_SM_EUlSZ_E1_NS1_11comp_targetILNS1_3genE5ELNS1_11target_archE942ELNS1_3gpuE9ELNS1_3repE0EEENS1_36merge_oddeven_config_static_selectorELNS0_4arch9wavefront6targetE1EEEvSL_,"axG",@progbits,_ZN7rocprim17ROCPRIM_400000_NS6detail17trampoline_kernelINS0_14default_configENS1_38merge_sort_block_merge_config_selectorIiNS0_10empty_typeEEEZZNS1_27merge_sort_block_merge_implIS3_N6thrust23THRUST_200600_302600_NS6detail15normal_iteratorINS9_10device_ptrIiEEEEPS5_jNS1_19radix_merge_compareILb0ELb1EiNS0_19identity_decomposerEEEEE10hipError_tT0_T1_T2_jT3_P12ihipStream_tbPNSt15iterator_traitsISK_E10value_typeEPNSQ_ISL_E10value_typeEPSM_NS1_7vsmem_tEENKUlT_SK_SL_SM_E_clIPiSE_SF_SF_EESJ_SZ_SK_SL_SM_EUlSZ_E1_NS1_11comp_targetILNS1_3genE5ELNS1_11target_archE942ELNS1_3gpuE9ELNS1_3repE0EEENS1_36merge_oddeven_config_static_selectorELNS0_4arch9wavefront6targetE1EEEvSL_,comdat
	.protected	_ZN7rocprim17ROCPRIM_400000_NS6detail17trampoline_kernelINS0_14default_configENS1_38merge_sort_block_merge_config_selectorIiNS0_10empty_typeEEEZZNS1_27merge_sort_block_merge_implIS3_N6thrust23THRUST_200600_302600_NS6detail15normal_iteratorINS9_10device_ptrIiEEEEPS5_jNS1_19radix_merge_compareILb0ELb1EiNS0_19identity_decomposerEEEEE10hipError_tT0_T1_T2_jT3_P12ihipStream_tbPNSt15iterator_traitsISK_E10value_typeEPNSQ_ISL_E10value_typeEPSM_NS1_7vsmem_tEENKUlT_SK_SL_SM_E_clIPiSE_SF_SF_EESJ_SZ_SK_SL_SM_EUlSZ_E1_NS1_11comp_targetILNS1_3genE5ELNS1_11target_archE942ELNS1_3gpuE9ELNS1_3repE0EEENS1_36merge_oddeven_config_static_selectorELNS0_4arch9wavefront6targetE1EEEvSL_ ; -- Begin function _ZN7rocprim17ROCPRIM_400000_NS6detail17trampoline_kernelINS0_14default_configENS1_38merge_sort_block_merge_config_selectorIiNS0_10empty_typeEEEZZNS1_27merge_sort_block_merge_implIS3_N6thrust23THRUST_200600_302600_NS6detail15normal_iteratorINS9_10device_ptrIiEEEEPS5_jNS1_19radix_merge_compareILb0ELb1EiNS0_19identity_decomposerEEEEE10hipError_tT0_T1_T2_jT3_P12ihipStream_tbPNSt15iterator_traitsISK_E10value_typeEPNSQ_ISL_E10value_typeEPSM_NS1_7vsmem_tEENKUlT_SK_SL_SM_E_clIPiSE_SF_SF_EESJ_SZ_SK_SL_SM_EUlSZ_E1_NS1_11comp_targetILNS1_3genE5ELNS1_11target_archE942ELNS1_3gpuE9ELNS1_3repE0EEENS1_36merge_oddeven_config_static_selectorELNS0_4arch9wavefront6targetE1EEEvSL_
	.globl	_ZN7rocprim17ROCPRIM_400000_NS6detail17trampoline_kernelINS0_14default_configENS1_38merge_sort_block_merge_config_selectorIiNS0_10empty_typeEEEZZNS1_27merge_sort_block_merge_implIS3_N6thrust23THRUST_200600_302600_NS6detail15normal_iteratorINS9_10device_ptrIiEEEEPS5_jNS1_19radix_merge_compareILb0ELb1EiNS0_19identity_decomposerEEEEE10hipError_tT0_T1_T2_jT3_P12ihipStream_tbPNSt15iterator_traitsISK_E10value_typeEPNSQ_ISL_E10value_typeEPSM_NS1_7vsmem_tEENKUlT_SK_SL_SM_E_clIPiSE_SF_SF_EESJ_SZ_SK_SL_SM_EUlSZ_E1_NS1_11comp_targetILNS1_3genE5ELNS1_11target_archE942ELNS1_3gpuE9ELNS1_3repE0EEENS1_36merge_oddeven_config_static_selectorELNS0_4arch9wavefront6targetE1EEEvSL_
	.p2align	8
	.type	_ZN7rocprim17ROCPRIM_400000_NS6detail17trampoline_kernelINS0_14default_configENS1_38merge_sort_block_merge_config_selectorIiNS0_10empty_typeEEEZZNS1_27merge_sort_block_merge_implIS3_N6thrust23THRUST_200600_302600_NS6detail15normal_iteratorINS9_10device_ptrIiEEEEPS5_jNS1_19radix_merge_compareILb0ELb1EiNS0_19identity_decomposerEEEEE10hipError_tT0_T1_T2_jT3_P12ihipStream_tbPNSt15iterator_traitsISK_E10value_typeEPNSQ_ISL_E10value_typeEPSM_NS1_7vsmem_tEENKUlT_SK_SL_SM_E_clIPiSE_SF_SF_EESJ_SZ_SK_SL_SM_EUlSZ_E1_NS1_11comp_targetILNS1_3genE5ELNS1_11target_archE942ELNS1_3gpuE9ELNS1_3repE0EEENS1_36merge_oddeven_config_static_selectorELNS0_4arch9wavefront6targetE1EEEvSL_,@function
_ZN7rocprim17ROCPRIM_400000_NS6detail17trampoline_kernelINS0_14default_configENS1_38merge_sort_block_merge_config_selectorIiNS0_10empty_typeEEEZZNS1_27merge_sort_block_merge_implIS3_N6thrust23THRUST_200600_302600_NS6detail15normal_iteratorINS9_10device_ptrIiEEEEPS5_jNS1_19radix_merge_compareILb0ELb1EiNS0_19identity_decomposerEEEEE10hipError_tT0_T1_T2_jT3_P12ihipStream_tbPNSt15iterator_traitsISK_E10value_typeEPNSQ_ISL_E10value_typeEPSM_NS1_7vsmem_tEENKUlT_SK_SL_SM_E_clIPiSE_SF_SF_EESJ_SZ_SK_SL_SM_EUlSZ_E1_NS1_11comp_targetILNS1_3genE5ELNS1_11target_archE942ELNS1_3gpuE9ELNS1_3repE0EEENS1_36merge_oddeven_config_static_selectorELNS0_4arch9wavefront6targetE1EEEvSL_: ; @_ZN7rocprim17ROCPRIM_400000_NS6detail17trampoline_kernelINS0_14default_configENS1_38merge_sort_block_merge_config_selectorIiNS0_10empty_typeEEEZZNS1_27merge_sort_block_merge_implIS3_N6thrust23THRUST_200600_302600_NS6detail15normal_iteratorINS9_10device_ptrIiEEEEPS5_jNS1_19radix_merge_compareILb0ELb1EiNS0_19identity_decomposerEEEEE10hipError_tT0_T1_T2_jT3_P12ihipStream_tbPNSt15iterator_traitsISK_E10value_typeEPNSQ_ISL_E10value_typeEPSM_NS1_7vsmem_tEENKUlT_SK_SL_SM_E_clIPiSE_SF_SF_EESJ_SZ_SK_SL_SM_EUlSZ_E1_NS1_11comp_targetILNS1_3genE5ELNS1_11target_archE942ELNS1_3gpuE9ELNS1_3repE0EEENS1_36merge_oddeven_config_static_selectorELNS0_4arch9wavefront6targetE1EEEvSL_
; %bb.0:
	s_load_dword s18, s[0:1], 0x20
	s_waitcnt lgkmcnt(0)
	s_lshr_b32 s3, s18, 8
	s_cmp_lg_u32 s2, s3
	s_cselect_b64 s[14:15], -1, 0
	s_cmp_eq_u32 s2, s3
	s_cselect_b64 s[12:13], -1, 0
	s_lshl_b32 s16, s2, 8
	s_sub_i32 s3, s18, s16
	v_cmp_gt_u32_e64 s[6:7], s3, v0
	s_or_b64 s[4:5], s[14:15], s[6:7]
	s_and_saveexec_b64 s[8:9], s[4:5]
	s_cbranch_execz .LBB1689_20
; %bb.1:
	s_load_dwordx4 s[8:11], s[0:1], 0x0
	s_load_dword s19, s[0:1], 0x24
	s_mov_b32 s17, 0
	s_lshl_b64 s[4:5], s[16:17], 2
	v_lshlrev_b32_e32 v1, 2, v0
	s_waitcnt lgkmcnt(0)
	s_add_u32 s4, s8, s4
	s_addc_u32 s5, s9, s5
	global_load_dword v2, v1, s[4:5]
	s_lshr_b32 s3, s19, 8
	s_sub_i32 s4, 0, s3
	s_and_b32 s2, s2, s4
	s_and_b32 s3, s2, s3
	s_lshl_b32 s20, s2, 8
	s_sub_i32 s17, 0, s19
	s_cmp_eq_u32 s3, 0
	s_cselect_b64 s[4:5], -1, 0
	s_and_b64 s[2:3], s[4:5], exec
	s_cselect_b32 s17, s19, s17
	s_add_i32 s17, s17, s20
	s_cmp_lt_u32 s17, s18
	v_add_u32_e32 v0, s16, v0
	s_cbranch_scc1 .LBB1689_3
; %bb.2:
	v_cmp_gt_u32_e32 vcc, s18, v0
	s_or_b64 s[2:3], vcc, s[14:15]
	s_and_b64 s[2:3], s[2:3], exec
	s_cbranch_execz .LBB1689_4
	s_branch .LBB1689_18
.LBB1689_3:
	s_mov_b64 s[2:3], 0
.LBB1689_4:
	s_load_dword s14, s[0:1], 0x28
	s_min_u32 s15, s17, s18
	s_add_i32 s0, s15, s19
	s_min_u32 s16, s0, s18
	s_min_u32 s0, s20, s15
	s_add_i32 s20, s20, s15
	v_subrev_u32_e32 v0, s20, v0
	v_add_u32_e32 v3, s0, v0
	s_and_b64 vcc, exec, s[12:13]
	s_cbranch_vccz .LBB1689_12
; %bb.5:
                                        ; implicit-def: $vgpr0
	s_and_saveexec_b64 s[0:1], s[6:7]
	s_cbranch_execz .LBB1689_11
; %bb.6:
	s_cmp_ge_u32 s17, s16
	v_mov_b32_e32 v4, s15
	s_cbranch_scc1 .LBB1689_10
; %bb.7:
	s_waitcnt vmcnt(0) lgkmcnt(0)
	v_and_b32_e32 v5, s14, v2
	s_mov_b64 s[6:7], 0
	v_mov_b32_e32 v6, s16
	v_mov_b32_e32 v4, s15
	;; [unrolled: 1-line block ×3, first 2 shown]
.LBB1689_8:                             ; =>This Inner Loop Header: Depth=1
	v_add_u32_e32 v0, v4, v6
	v_lshrrev_b32_e32 v0, 1, v0
	v_lshl_add_u64 v[8:9], v[0:1], 2, s[8:9]
	global_load_dword v7, v[8:9], off
	v_add_u32_e32 v8, 1, v0
	s_waitcnt vmcnt(0)
	v_and_b32_e32 v7, s14, v7
	v_cmp_gt_i32_e32 vcc, v5, v7
	s_nop 1
	v_cndmask_b32_e64 v9, 0, 1, vcc
	v_cmp_le_i32_e32 vcc, v7, v5
	s_nop 1
	v_cndmask_b32_e64 v7, 0, 1, vcc
	v_cndmask_b32_e64 v7, v7, v9, s[4:5]
	v_and_b32_e32 v7, 1, v7
	v_cmp_eq_u32_e32 vcc, 1, v7
	s_nop 1
	v_cndmask_b32_e32 v6, v0, v6, vcc
	v_cndmask_b32_e32 v4, v4, v8, vcc
	v_cmp_ge_u32_e32 vcc, v4, v6
	s_or_b64 s[6:7], vcc, s[6:7]
	s_andn2_b64 exec, exec, s[6:7]
	s_cbranch_execnz .LBB1689_8
; %bb.9:
	s_or_b64 exec, exec, s[6:7]
.LBB1689_10:
	v_add_u32_e32 v0, v4, v3
	s_or_b64 s[2:3], s[2:3], exec
.LBB1689_11:
	s_or_b64 exec, exec, s[0:1]
	s_branch .LBB1689_18
.LBB1689_12:
                                        ; implicit-def: $vgpr0
	s_cbranch_execz .LBB1689_18
; %bb.13:
	s_cmp_ge_u32 s17, s16
	v_mov_b32_e32 v4, s15
	s_cbranch_scc1 .LBB1689_17
; %bb.14:
	s_waitcnt vmcnt(0) lgkmcnt(0)
	v_and_b32_e32 v5, s14, v2
	s_mov_b64 s[0:1], 0
	v_mov_b32_e32 v6, s16
	v_mov_b32_e32 v4, s15
	;; [unrolled: 1-line block ×3, first 2 shown]
.LBB1689_15:                            ; =>This Inner Loop Header: Depth=1
	v_add_u32_e32 v0, v4, v6
	v_lshrrev_b32_e32 v0, 1, v0
	v_lshl_add_u64 v[8:9], v[0:1], 2, s[8:9]
	global_load_dword v7, v[8:9], off
	v_add_u32_e32 v8, 1, v0
	s_waitcnt vmcnt(0)
	v_and_b32_e32 v7, s14, v7
	v_cmp_gt_i32_e32 vcc, v5, v7
	s_nop 1
	v_cndmask_b32_e64 v9, 0, 1, vcc
	v_cmp_le_i32_e32 vcc, v7, v5
	s_nop 1
	v_cndmask_b32_e64 v7, 0, 1, vcc
	v_cndmask_b32_e64 v7, v7, v9, s[4:5]
	v_and_b32_e32 v7, 1, v7
	v_cmp_eq_u32_e32 vcc, 1, v7
	s_nop 1
	v_cndmask_b32_e32 v6, v0, v6, vcc
	v_cndmask_b32_e32 v4, v4, v8, vcc
	v_cmp_ge_u32_e32 vcc, v4, v6
	s_or_b64 s[0:1], vcc, s[0:1]
	s_andn2_b64 exec, exec, s[0:1]
	s_cbranch_execnz .LBB1689_15
; %bb.16:
	s_or_b64 exec, exec, s[0:1]
.LBB1689_17:
	v_add_u32_e32 v0, v4, v3
	s_mov_b64 s[2:3], -1
.LBB1689_18:
	s_and_b64 exec, exec, s[2:3]
	s_cbranch_execz .LBB1689_20
; %bb.19:
	v_mov_b32_e32 v4, s10
	v_mov_b32_e32 v5, s11
	;; [unrolled: 1-line block ×3, first 2 shown]
	v_lshl_add_u64 v[0:1], v[0:1], 2, v[4:5]
	s_waitcnt vmcnt(0)
	global_store_dword v[0:1], v2, off
.LBB1689_20:
	s_endpgm
	.section	.rodata,"a",@progbits
	.p2align	6, 0x0
	.amdhsa_kernel _ZN7rocprim17ROCPRIM_400000_NS6detail17trampoline_kernelINS0_14default_configENS1_38merge_sort_block_merge_config_selectorIiNS0_10empty_typeEEEZZNS1_27merge_sort_block_merge_implIS3_N6thrust23THRUST_200600_302600_NS6detail15normal_iteratorINS9_10device_ptrIiEEEEPS5_jNS1_19radix_merge_compareILb0ELb1EiNS0_19identity_decomposerEEEEE10hipError_tT0_T1_T2_jT3_P12ihipStream_tbPNSt15iterator_traitsISK_E10value_typeEPNSQ_ISL_E10value_typeEPSM_NS1_7vsmem_tEENKUlT_SK_SL_SM_E_clIPiSE_SF_SF_EESJ_SZ_SK_SL_SM_EUlSZ_E1_NS1_11comp_targetILNS1_3genE5ELNS1_11target_archE942ELNS1_3gpuE9ELNS1_3repE0EEENS1_36merge_oddeven_config_static_selectorELNS0_4arch9wavefront6targetE1EEEvSL_
		.amdhsa_group_segment_fixed_size 0
		.amdhsa_private_segment_fixed_size 0
		.amdhsa_kernarg_size 48
		.amdhsa_user_sgpr_count 2
		.amdhsa_user_sgpr_dispatch_ptr 0
		.amdhsa_user_sgpr_queue_ptr 0
		.amdhsa_user_sgpr_kernarg_segment_ptr 1
		.amdhsa_user_sgpr_dispatch_id 0
		.amdhsa_user_sgpr_kernarg_preload_length 0
		.amdhsa_user_sgpr_kernarg_preload_offset 0
		.amdhsa_user_sgpr_private_segment_size 0
		.amdhsa_uses_dynamic_stack 0
		.amdhsa_enable_private_segment 0
		.amdhsa_system_sgpr_workgroup_id_x 1
		.amdhsa_system_sgpr_workgroup_id_y 0
		.amdhsa_system_sgpr_workgroup_id_z 0
		.amdhsa_system_sgpr_workgroup_info 0
		.amdhsa_system_vgpr_workitem_id 0
		.amdhsa_next_free_vgpr 10
		.amdhsa_next_free_sgpr 21
		.amdhsa_accum_offset 12
		.amdhsa_reserve_vcc 1
		.amdhsa_float_round_mode_32 0
		.amdhsa_float_round_mode_16_64 0
		.amdhsa_float_denorm_mode_32 3
		.amdhsa_float_denorm_mode_16_64 3
		.amdhsa_dx10_clamp 1
		.amdhsa_ieee_mode 1
		.amdhsa_fp16_overflow 0
		.amdhsa_tg_split 0
		.amdhsa_exception_fp_ieee_invalid_op 0
		.amdhsa_exception_fp_denorm_src 0
		.amdhsa_exception_fp_ieee_div_zero 0
		.amdhsa_exception_fp_ieee_overflow 0
		.amdhsa_exception_fp_ieee_underflow 0
		.amdhsa_exception_fp_ieee_inexact 0
		.amdhsa_exception_int_div_zero 0
	.end_amdhsa_kernel
	.section	.text._ZN7rocprim17ROCPRIM_400000_NS6detail17trampoline_kernelINS0_14default_configENS1_38merge_sort_block_merge_config_selectorIiNS0_10empty_typeEEEZZNS1_27merge_sort_block_merge_implIS3_N6thrust23THRUST_200600_302600_NS6detail15normal_iteratorINS9_10device_ptrIiEEEEPS5_jNS1_19radix_merge_compareILb0ELb1EiNS0_19identity_decomposerEEEEE10hipError_tT0_T1_T2_jT3_P12ihipStream_tbPNSt15iterator_traitsISK_E10value_typeEPNSQ_ISL_E10value_typeEPSM_NS1_7vsmem_tEENKUlT_SK_SL_SM_E_clIPiSE_SF_SF_EESJ_SZ_SK_SL_SM_EUlSZ_E1_NS1_11comp_targetILNS1_3genE5ELNS1_11target_archE942ELNS1_3gpuE9ELNS1_3repE0EEENS1_36merge_oddeven_config_static_selectorELNS0_4arch9wavefront6targetE1EEEvSL_,"axG",@progbits,_ZN7rocprim17ROCPRIM_400000_NS6detail17trampoline_kernelINS0_14default_configENS1_38merge_sort_block_merge_config_selectorIiNS0_10empty_typeEEEZZNS1_27merge_sort_block_merge_implIS3_N6thrust23THRUST_200600_302600_NS6detail15normal_iteratorINS9_10device_ptrIiEEEEPS5_jNS1_19radix_merge_compareILb0ELb1EiNS0_19identity_decomposerEEEEE10hipError_tT0_T1_T2_jT3_P12ihipStream_tbPNSt15iterator_traitsISK_E10value_typeEPNSQ_ISL_E10value_typeEPSM_NS1_7vsmem_tEENKUlT_SK_SL_SM_E_clIPiSE_SF_SF_EESJ_SZ_SK_SL_SM_EUlSZ_E1_NS1_11comp_targetILNS1_3genE5ELNS1_11target_archE942ELNS1_3gpuE9ELNS1_3repE0EEENS1_36merge_oddeven_config_static_selectorELNS0_4arch9wavefront6targetE1EEEvSL_,comdat
.Lfunc_end1689:
	.size	_ZN7rocprim17ROCPRIM_400000_NS6detail17trampoline_kernelINS0_14default_configENS1_38merge_sort_block_merge_config_selectorIiNS0_10empty_typeEEEZZNS1_27merge_sort_block_merge_implIS3_N6thrust23THRUST_200600_302600_NS6detail15normal_iteratorINS9_10device_ptrIiEEEEPS5_jNS1_19radix_merge_compareILb0ELb1EiNS0_19identity_decomposerEEEEE10hipError_tT0_T1_T2_jT3_P12ihipStream_tbPNSt15iterator_traitsISK_E10value_typeEPNSQ_ISL_E10value_typeEPSM_NS1_7vsmem_tEENKUlT_SK_SL_SM_E_clIPiSE_SF_SF_EESJ_SZ_SK_SL_SM_EUlSZ_E1_NS1_11comp_targetILNS1_3genE5ELNS1_11target_archE942ELNS1_3gpuE9ELNS1_3repE0EEENS1_36merge_oddeven_config_static_selectorELNS0_4arch9wavefront6targetE1EEEvSL_, .Lfunc_end1689-_ZN7rocprim17ROCPRIM_400000_NS6detail17trampoline_kernelINS0_14default_configENS1_38merge_sort_block_merge_config_selectorIiNS0_10empty_typeEEEZZNS1_27merge_sort_block_merge_implIS3_N6thrust23THRUST_200600_302600_NS6detail15normal_iteratorINS9_10device_ptrIiEEEEPS5_jNS1_19radix_merge_compareILb0ELb1EiNS0_19identity_decomposerEEEEE10hipError_tT0_T1_T2_jT3_P12ihipStream_tbPNSt15iterator_traitsISK_E10value_typeEPNSQ_ISL_E10value_typeEPSM_NS1_7vsmem_tEENKUlT_SK_SL_SM_E_clIPiSE_SF_SF_EESJ_SZ_SK_SL_SM_EUlSZ_E1_NS1_11comp_targetILNS1_3genE5ELNS1_11target_archE942ELNS1_3gpuE9ELNS1_3repE0EEENS1_36merge_oddeven_config_static_selectorELNS0_4arch9wavefront6targetE1EEEvSL_
                                        ; -- End function
	.section	.AMDGPU.csdata,"",@progbits
; Kernel info:
; codeLenInByte = 616
; NumSgprs: 27
; NumVgprs: 10
; NumAgprs: 0
; TotalNumVgprs: 10
; ScratchSize: 0
; MemoryBound: 0
; FloatMode: 240
; IeeeMode: 1
; LDSByteSize: 0 bytes/workgroup (compile time only)
; SGPRBlocks: 3
; VGPRBlocks: 1
; NumSGPRsForWavesPerEU: 27
; NumVGPRsForWavesPerEU: 10
; AccumOffset: 12
; Occupancy: 8
; WaveLimiterHint : 0
; COMPUTE_PGM_RSRC2:SCRATCH_EN: 0
; COMPUTE_PGM_RSRC2:USER_SGPR: 2
; COMPUTE_PGM_RSRC2:TRAP_HANDLER: 0
; COMPUTE_PGM_RSRC2:TGID_X_EN: 1
; COMPUTE_PGM_RSRC2:TGID_Y_EN: 0
; COMPUTE_PGM_RSRC2:TGID_Z_EN: 0
; COMPUTE_PGM_RSRC2:TIDIG_COMP_CNT: 0
; COMPUTE_PGM_RSRC3_GFX90A:ACCUM_OFFSET: 2
; COMPUTE_PGM_RSRC3_GFX90A:TG_SPLIT: 0
	.section	.text._ZN7rocprim17ROCPRIM_400000_NS6detail17trampoline_kernelINS0_14default_configENS1_38merge_sort_block_merge_config_selectorIiNS0_10empty_typeEEEZZNS1_27merge_sort_block_merge_implIS3_N6thrust23THRUST_200600_302600_NS6detail15normal_iteratorINS9_10device_ptrIiEEEEPS5_jNS1_19radix_merge_compareILb0ELb1EiNS0_19identity_decomposerEEEEE10hipError_tT0_T1_T2_jT3_P12ihipStream_tbPNSt15iterator_traitsISK_E10value_typeEPNSQ_ISL_E10value_typeEPSM_NS1_7vsmem_tEENKUlT_SK_SL_SM_E_clIPiSE_SF_SF_EESJ_SZ_SK_SL_SM_EUlSZ_E1_NS1_11comp_targetILNS1_3genE4ELNS1_11target_archE910ELNS1_3gpuE8ELNS1_3repE0EEENS1_36merge_oddeven_config_static_selectorELNS0_4arch9wavefront6targetE1EEEvSL_,"axG",@progbits,_ZN7rocprim17ROCPRIM_400000_NS6detail17trampoline_kernelINS0_14default_configENS1_38merge_sort_block_merge_config_selectorIiNS0_10empty_typeEEEZZNS1_27merge_sort_block_merge_implIS3_N6thrust23THRUST_200600_302600_NS6detail15normal_iteratorINS9_10device_ptrIiEEEEPS5_jNS1_19radix_merge_compareILb0ELb1EiNS0_19identity_decomposerEEEEE10hipError_tT0_T1_T2_jT3_P12ihipStream_tbPNSt15iterator_traitsISK_E10value_typeEPNSQ_ISL_E10value_typeEPSM_NS1_7vsmem_tEENKUlT_SK_SL_SM_E_clIPiSE_SF_SF_EESJ_SZ_SK_SL_SM_EUlSZ_E1_NS1_11comp_targetILNS1_3genE4ELNS1_11target_archE910ELNS1_3gpuE8ELNS1_3repE0EEENS1_36merge_oddeven_config_static_selectorELNS0_4arch9wavefront6targetE1EEEvSL_,comdat
	.protected	_ZN7rocprim17ROCPRIM_400000_NS6detail17trampoline_kernelINS0_14default_configENS1_38merge_sort_block_merge_config_selectorIiNS0_10empty_typeEEEZZNS1_27merge_sort_block_merge_implIS3_N6thrust23THRUST_200600_302600_NS6detail15normal_iteratorINS9_10device_ptrIiEEEEPS5_jNS1_19radix_merge_compareILb0ELb1EiNS0_19identity_decomposerEEEEE10hipError_tT0_T1_T2_jT3_P12ihipStream_tbPNSt15iterator_traitsISK_E10value_typeEPNSQ_ISL_E10value_typeEPSM_NS1_7vsmem_tEENKUlT_SK_SL_SM_E_clIPiSE_SF_SF_EESJ_SZ_SK_SL_SM_EUlSZ_E1_NS1_11comp_targetILNS1_3genE4ELNS1_11target_archE910ELNS1_3gpuE8ELNS1_3repE0EEENS1_36merge_oddeven_config_static_selectorELNS0_4arch9wavefront6targetE1EEEvSL_ ; -- Begin function _ZN7rocprim17ROCPRIM_400000_NS6detail17trampoline_kernelINS0_14default_configENS1_38merge_sort_block_merge_config_selectorIiNS0_10empty_typeEEEZZNS1_27merge_sort_block_merge_implIS3_N6thrust23THRUST_200600_302600_NS6detail15normal_iteratorINS9_10device_ptrIiEEEEPS5_jNS1_19radix_merge_compareILb0ELb1EiNS0_19identity_decomposerEEEEE10hipError_tT0_T1_T2_jT3_P12ihipStream_tbPNSt15iterator_traitsISK_E10value_typeEPNSQ_ISL_E10value_typeEPSM_NS1_7vsmem_tEENKUlT_SK_SL_SM_E_clIPiSE_SF_SF_EESJ_SZ_SK_SL_SM_EUlSZ_E1_NS1_11comp_targetILNS1_3genE4ELNS1_11target_archE910ELNS1_3gpuE8ELNS1_3repE0EEENS1_36merge_oddeven_config_static_selectorELNS0_4arch9wavefront6targetE1EEEvSL_
	.globl	_ZN7rocprim17ROCPRIM_400000_NS6detail17trampoline_kernelINS0_14default_configENS1_38merge_sort_block_merge_config_selectorIiNS0_10empty_typeEEEZZNS1_27merge_sort_block_merge_implIS3_N6thrust23THRUST_200600_302600_NS6detail15normal_iteratorINS9_10device_ptrIiEEEEPS5_jNS1_19radix_merge_compareILb0ELb1EiNS0_19identity_decomposerEEEEE10hipError_tT0_T1_T2_jT3_P12ihipStream_tbPNSt15iterator_traitsISK_E10value_typeEPNSQ_ISL_E10value_typeEPSM_NS1_7vsmem_tEENKUlT_SK_SL_SM_E_clIPiSE_SF_SF_EESJ_SZ_SK_SL_SM_EUlSZ_E1_NS1_11comp_targetILNS1_3genE4ELNS1_11target_archE910ELNS1_3gpuE8ELNS1_3repE0EEENS1_36merge_oddeven_config_static_selectorELNS0_4arch9wavefront6targetE1EEEvSL_
	.p2align	8
	.type	_ZN7rocprim17ROCPRIM_400000_NS6detail17trampoline_kernelINS0_14default_configENS1_38merge_sort_block_merge_config_selectorIiNS0_10empty_typeEEEZZNS1_27merge_sort_block_merge_implIS3_N6thrust23THRUST_200600_302600_NS6detail15normal_iteratorINS9_10device_ptrIiEEEEPS5_jNS1_19radix_merge_compareILb0ELb1EiNS0_19identity_decomposerEEEEE10hipError_tT0_T1_T2_jT3_P12ihipStream_tbPNSt15iterator_traitsISK_E10value_typeEPNSQ_ISL_E10value_typeEPSM_NS1_7vsmem_tEENKUlT_SK_SL_SM_E_clIPiSE_SF_SF_EESJ_SZ_SK_SL_SM_EUlSZ_E1_NS1_11comp_targetILNS1_3genE4ELNS1_11target_archE910ELNS1_3gpuE8ELNS1_3repE0EEENS1_36merge_oddeven_config_static_selectorELNS0_4arch9wavefront6targetE1EEEvSL_,@function
_ZN7rocprim17ROCPRIM_400000_NS6detail17trampoline_kernelINS0_14default_configENS1_38merge_sort_block_merge_config_selectorIiNS0_10empty_typeEEEZZNS1_27merge_sort_block_merge_implIS3_N6thrust23THRUST_200600_302600_NS6detail15normal_iteratorINS9_10device_ptrIiEEEEPS5_jNS1_19radix_merge_compareILb0ELb1EiNS0_19identity_decomposerEEEEE10hipError_tT0_T1_T2_jT3_P12ihipStream_tbPNSt15iterator_traitsISK_E10value_typeEPNSQ_ISL_E10value_typeEPSM_NS1_7vsmem_tEENKUlT_SK_SL_SM_E_clIPiSE_SF_SF_EESJ_SZ_SK_SL_SM_EUlSZ_E1_NS1_11comp_targetILNS1_3genE4ELNS1_11target_archE910ELNS1_3gpuE8ELNS1_3repE0EEENS1_36merge_oddeven_config_static_selectorELNS0_4arch9wavefront6targetE1EEEvSL_: ; @_ZN7rocprim17ROCPRIM_400000_NS6detail17trampoline_kernelINS0_14default_configENS1_38merge_sort_block_merge_config_selectorIiNS0_10empty_typeEEEZZNS1_27merge_sort_block_merge_implIS3_N6thrust23THRUST_200600_302600_NS6detail15normal_iteratorINS9_10device_ptrIiEEEEPS5_jNS1_19radix_merge_compareILb0ELb1EiNS0_19identity_decomposerEEEEE10hipError_tT0_T1_T2_jT3_P12ihipStream_tbPNSt15iterator_traitsISK_E10value_typeEPNSQ_ISL_E10value_typeEPSM_NS1_7vsmem_tEENKUlT_SK_SL_SM_E_clIPiSE_SF_SF_EESJ_SZ_SK_SL_SM_EUlSZ_E1_NS1_11comp_targetILNS1_3genE4ELNS1_11target_archE910ELNS1_3gpuE8ELNS1_3repE0EEENS1_36merge_oddeven_config_static_selectorELNS0_4arch9wavefront6targetE1EEEvSL_
; %bb.0:
	.section	.rodata,"a",@progbits
	.p2align	6, 0x0
	.amdhsa_kernel _ZN7rocprim17ROCPRIM_400000_NS6detail17trampoline_kernelINS0_14default_configENS1_38merge_sort_block_merge_config_selectorIiNS0_10empty_typeEEEZZNS1_27merge_sort_block_merge_implIS3_N6thrust23THRUST_200600_302600_NS6detail15normal_iteratorINS9_10device_ptrIiEEEEPS5_jNS1_19radix_merge_compareILb0ELb1EiNS0_19identity_decomposerEEEEE10hipError_tT0_T1_T2_jT3_P12ihipStream_tbPNSt15iterator_traitsISK_E10value_typeEPNSQ_ISL_E10value_typeEPSM_NS1_7vsmem_tEENKUlT_SK_SL_SM_E_clIPiSE_SF_SF_EESJ_SZ_SK_SL_SM_EUlSZ_E1_NS1_11comp_targetILNS1_3genE4ELNS1_11target_archE910ELNS1_3gpuE8ELNS1_3repE0EEENS1_36merge_oddeven_config_static_selectorELNS0_4arch9wavefront6targetE1EEEvSL_
		.amdhsa_group_segment_fixed_size 0
		.amdhsa_private_segment_fixed_size 0
		.amdhsa_kernarg_size 48
		.amdhsa_user_sgpr_count 2
		.amdhsa_user_sgpr_dispatch_ptr 0
		.amdhsa_user_sgpr_queue_ptr 0
		.amdhsa_user_sgpr_kernarg_segment_ptr 1
		.amdhsa_user_sgpr_dispatch_id 0
		.amdhsa_user_sgpr_kernarg_preload_length 0
		.amdhsa_user_sgpr_kernarg_preload_offset 0
		.amdhsa_user_sgpr_private_segment_size 0
		.amdhsa_uses_dynamic_stack 0
		.amdhsa_enable_private_segment 0
		.amdhsa_system_sgpr_workgroup_id_x 1
		.amdhsa_system_sgpr_workgroup_id_y 0
		.amdhsa_system_sgpr_workgroup_id_z 0
		.amdhsa_system_sgpr_workgroup_info 0
		.amdhsa_system_vgpr_workitem_id 0
		.amdhsa_next_free_vgpr 1
		.amdhsa_next_free_sgpr 0
		.amdhsa_accum_offset 4
		.amdhsa_reserve_vcc 0
		.amdhsa_float_round_mode_32 0
		.amdhsa_float_round_mode_16_64 0
		.amdhsa_float_denorm_mode_32 3
		.amdhsa_float_denorm_mode_16_64 3
		.amdhsa_dx10_clamp 1
		.amdhsa_ieee_mode 1
		.amdhsa_fp16_overflow 0
		.amdhsa_tg_split 0
		.amdhsa_exception_fp_ieee_invalid_op 0
		.amdhsa_exception_fp_denorm_src 0
		.amdhsa_exception_fp_ieee_div_zero 0
		.amdhsa_exception_fp_ieee_overflow 0
		.amdhsa_exception_fp_ieee_underflow 0
		.amdhsa_exception_fp_ieee_inexact 0
		.amdhsa_exception_int_div_zero 0
	.end_amdhsa_kernel
	.section	.text._ZN7rocprim17ROCPRIM_400000_NS6detail17trampoline_kernelINS0_14default_configENS1_38merge_sort_block_merge_config_selectorIiNS0_10empty_typeEEEZZNS1_27merge_sort_block_merge_implIS3_N6thrust23THRUST_200600_302600_NS6detail15normal_iteratorINS9_10device_ptrIiEEEEPS5_jNS1_19radix_merge_compareILb0ELb1EiNS0_19identity_decomposerEEEEE10hipError_tT0_T1_T2_jT3_P12ihipStream_tbPNSt15iterator_traitsISK_E10value_typeEPNSQ_ISL_E10value_typeEPSM_NS1_7vsmem_tEENKUlT_SK_SL_SM_E_clIPiSE_SF_SF_EESJ_SZ_SK_SL_SM_EUlSZ_E1_NS1_11comp_targetILNS1_3genE4ELNS1_11target_archE910ELNS1_3gpuE8ELNS1_3repE0EEENS1_36merge_oddeven_config_static_selectorELNS0_4arch9wavefront6targetE1EEEvSL_,"axG",@progbits,_ZN7rocprim17ROCPRIM_400000_NS6detail17trampoline_kernelINS0_14default_configENS1_38merge_sort_block_merge_config_selectorIiNS0_10empty_typeEEEZZNS1_27merge_sort_block_merge_implIS3_N6thrust23THRUST_200600_302600_NS6detail15normal_iteratorINS9_10device_ptrIiEEEEPS5_jNS1_19radix_merge_compareILb0ELb1EiNS0_19identity_decomposerEEEEE10hipError_tT0_T1_T2_jT3_P12ihipStream_tbPNSt15iterator_traitsISK_E10value_typeEPNSQ_ISL_E10value_typeEPSM_NS1_7vsmem_tEENKUlT_SK_SL_SM_E_clIPiSE_SF_SF_EESJ_SZ_SK_SL_SM_EUlSZ_E1_NS1_11comp_targetILNS1_3genE4ELNS1_11target_archE910ELNS1_3gpuE8ELNS1_3repE0EEENS1_36merge_oddeven_config_static_selectorELNS0_4arch9wavefront6targetE1EEEvSL_,comdat
.Lfunc_end1690:
	.size	_ZN7rocprim17ROCPRIM_400000_NS6detail17trampoline_kernelINS0_14default_configENS1_38merge_sort_block_merge_config_selectorIiNS0_10empty_typeEEEZZNS1_27merge_sort_block_merge_implIS3_N6thrust23THRUST_200600_302600_NS6detail15normal_iteratorINS9_10device_ptrIiEEEEPS5_jNS1_19radix_merge_compareILb0ELb1EiNS0_19identity_decomposerEEEEE10hipError_tT0_T1_T2_jT3_P12ihipStream_tbPNSt15iterator_traitsISK_E10value_typeEPNSQ_ISL_E10value_typeEPSM_NS1_7vsmem_tEENKUlT_SK_SL_SM_E_clIPiSE_SF_SF_EESJ_SZ_SK_SL_SM_EUlSZ_E1_NS1_11comp_targetILNS1_3genE4ELNS1_11target_archE910ELNS1_3gpuE8ELNS1_3repE0EEENS1_36merge_oddeven_config_static_selectorELNS0_4arch9wavefront6targetE1EEEvSL_, .Lfunc_end1690-_ZN7rocprim17ROCPRIM_400000_NS6detail17trampoline_kernelINS0_14default_configENS1_38merge_sort_block_merge_config_selectorIiNS0_10empty_typeEEEZZNS1_27merge_sort_block_merge_implIS3_N6thrust23THRUST_200600_302600_NS6detail15normal_iteratorINS9_10device_ptrIiEEEEPS5_jNS1_19radix_merge_compareILb0ELb1EiNS0_19identity_decomposerEEEEE10hipError_tT0_T1_T2_jT3_P12ihipStream_tbPNSt15iterator_traitsISK_E10value_typeEPNSQ_ISL_E10value_typeEPSM_NS1_7vsmem_tEENKUlT_SK_SL_SM_E_clIPiSE_SF_SF_EESJ_SZ_SK_SL_SM_EUlSZ_E1_NS1_11comp_targetILNS1_3genE4ELNS1_11target_archE910ELNS1_3gpuE8ELNS1_3repE0EEENS1_36merge_oddeven_config_static_selectorELNS0_4arch9wavefront6targetE1EEEvSL_
                                        ; -- End function
	.section	.AMDGPU.csdata,"",@progbits
; Kernel info:
; codeLenInByte = 0
; NumSgprs: 6
; NumVgprs: 0
; NumAgprs: 0
; TotalNumVgprs: 0
; ScratchSize: 0
; MemoryBound: 0
; FloatMode: 240
; IeeeMode: 1
; LDSByteSize: 0 bytes/workgroup (compile time only)
; SGPRBlocks: 0
; VGPRBlocks: 0
; NumSGPRsForWavesPerEU: 6
; NumVGPRsForWavesPerEU: 1
; AccumOffset: 4
; Occupancy: 8
; WaveLimiterHint : 0
; COMPUTE_PGM_RSRC2:SCRATCH_EN: 0
; COMPUTE_PGM_RSRC2:USER_SGPR: 2
; COMPUTE_PGM_RSRC2:TRAP_HANDLER: 0
; COMPUTE_PGM_RSRC2:TGID_X_EN: 1
; COMPUTE_PGM_RSRC2:TGID_Y_EN: 0
; COMPUTE_PGM_RSRC2:TGID_Z_EN: 0
; COMPUTE_PGM_RSRC2:TIDIG_COMP_CNT: 0
; COMPUTE_PGM_RSRC3_GFX90A:ACCUM_OFFSET: 0
; COMPUTE_PGM_RSRC3_GFX90A:TG_SPLIT: 0
	.section	.text._ZN7rocprim17ROCPRIM_400000_NS6detail17trampoline_kernelINS0_14default_configENS1_38merge_sort_block_merge_config_selectorIiNS0_10empty_typeEEEZZNS1_27merge_sort_block_merge_implIS3_N6thrust23THRUST_200600_302600_NS6detail15normal_iteratorINS9_10device_ptrIiEEEEPS5_jNS1_19radix_merge_compareILb0ELb1EiNS0_19identity_decomposerEEEEE10hipError_tT0_T1_T2_jT3_P12ihipStream_tbPNSt15iterator_traitsISK_E10value_typeEPNSQ_ISL_E10value_typeEPSM_NS1_7vsmem_tEENKUlT_SK_SL_SM_E_clIPiSE_SF_SF_EESJ_SZ_SK_SL_SM_EUlSZ_E1_NS1_11comp_targetILNS1_3genE3ELNS1_11target_archE908ELNS1_3gpuE7ELNS1_3repE0EEENS1_36merge_oddeven_config_static_selectorELNS0_4arch9wavefront6targetE1EEEvSL_,"axG",@progbits,_ZN7rocprim17ROCPRIM_400000_NS6detail17trampoline_kernelINS0_14default_configENS1_38merge_sort_block_merge_config_selectorIiNS0_10empty_typeEEEZZNS1_27merge_sort_block_merge_implIS3_N6thrust23THRUST_200600_302600_NS6detail15normal_iteratorINS9_10device_ptrIiEEEEPS5_jNS1_19radix_merge_compareILb0ELb1EiNS0_19identity_decomposerEEEEE10hipError_tT0_T1_T2_jT3_P12ihipStream_tbPNSt15iterator_traitsISK_E10value_typeEPNSQ_ISL_E10value_typeEPSM_NS1_7vsmem_tEENKUlT_SK_SL_SM_E_clIPiSE_SF_SF_EESJ_SZ_SK_SL_SM_EUlSZ_E1_NS1_11comp_targetILNS1_3genE3ELNS1_11target_archE908ELNS1_3gpuE7ELNS1_3repE0EEENS1_36merge_oddeven_config_static_selectorELNS0_4arch9wavefront6targetE1EEEvSL_,comdat
	.protected	_ZN7rocprim17ROCPRIM_400000_NS6detail17trampoline_kernelINS0_14default_configENS1_38merge_sort_block_merge_config_selectorIiNS0_10empty_typeEEEZZNS1_27merge_sort_block_merge_implIS3_N6thrust23THRUST_200600_302600_NS6detail15normal_iteratorINS9_10device_ptrIiEEEEPS5_jNS1_19radix_merge_compareILb0ELb1EiNS0_19identity_decomposerEEEEE10hipError_tT0_T1_T2_jT3_P12ihipStream_tbPNSt15iterator_traitsISK_E10value_typeEPNSQ_ISL_E10value_typeEPSM_NS1_7vsmem_tEENKUlT_SK_SL_SM_E_clIPiSE_SF_SF_EESJ_SZ_SK_SL_SM_EUlSZ_E1_NS1_11comp_targetILNS1_3genE3ELNS1_11target_archE908ELNS1_3gpuE7ELNS1_3repE0EEENS1_36merge_oddeven_config_static_selectorELNS0_4arch9wavefront6targetE1EEEvSL_ ; -- Begin function _ZN7rocprim17ROCPRIM_400000_NS6detail17trampoline_kernelINS0_14default_configENS1_38merge_sort_block_merge_config_selectorIiNS0_10empty_typeEEEZZNS1_27merge_sort_block_merge_implIS3_N6thrust23THRUST_200600_302600_NS6detail15normal_iteratorINS9_10device_ptrIiEEEEPS5_jNS1_19radix_merge_compareILb0ELb1EiNS0_19identity_decomposerEEEEE10hipError_tT0_T1_T2_jT3_P12ihipStream_tbPNSt15iterator_traitsISK_E10value_typeEPNSQ_ISL_E10value_typeEPSM_NS1_7vsmem_tEENKUlT_SK_SL_SM_E_clIPiSE_SF_SF_EESJ_SZ_SK_SL_SM_EUlSZ_E1_NS1_11comp_targetILNS1_3genE3ELNS1_11target_archE908ELNS1_3gpuE7ELNS1_3repE0EEENS1_36merge_oddeven_config_static_selectorELNS0_4arch9wavefront6targetE1EEEvSL_
	.globl	_ZN7rocprim17ROCPRIM_400000_NS6detail17trampoline_kernelINS0_14default_configENS1_38merge_sort_block_merge_config_selectorIiNS0_10empty_typeEEEZZNS1_27merge_sort_block_merge_implIS3_N6thrust23THRUST_200600_302600_NS6detail15normal_iteratorINS9_10device_ptrIiEEEEPS5_jNS1_19radix_merge_compareILb0ELb1EiNS0_19identity_decomposerEEEEE10hipError_tT0_T1_T2_jT3_P12ihipStream_tbPNSt15iterator_traitsISK_E10value_typeEPNSQ_ISL_E10value_typeEPSM_NS1_7vsmem_tEENKUlT_SK_SL_SM_E_clIPiSE_SF_SF_EESJ_SZ_SK_SL_SM_EUlSZ_E1_NS1_11comp_targetILNS1_3genE3ELNS1_11target_archE908ELNS1_3gpuE7ELNS1_3repE0EEENS1_36merge_oddeven_config_static_selectorELNS0_4arch9wavefront6targetE1EEEvSL_
	.p2align	8
	.type	_ZN7rocprim17ROCPRIM_400000_NS6detail17trampoline_kernelINS0_14default_configENS1_38merge_sort_block_merge_config_selectorIiNS0_10empty_typeEEEZZNS1_27merge_sort_block_merge_implIS3_N6thrust23THRUST_200600_302600_NS6detail15normal_iteratorINS9_10device_ptrIiEEEEPS5_jNS1_19radix_merge_compareILb0ELb1EiNS0_19identity_decomposerEEEEE10hipError_tT0_T1_T2_jT3_P12ihipStream_tbPNSt15iterator_traitsISK_E10value_typeEPNSQ_ISL_E10value_typeEPSM_NS1_7vsmem_tEENKUlT_SK_SL_SM_E_clIPiSE_SF_SF_EESJ_SZ_SK_SL_SM_EUlSZ_E1_NS1_11comp_targetILNS1_3genE3ELNS1_11target_archE908ELNS1_3gpuE7ELNS1_3repE0EEENS1_36merge_oddeven_config_static_selectorELNS0_4arch9wavefront6targetE1EEEvSL_,@function
_ZN7rocprim17ROCPRIM_400000_NS6detail17trampoline_kernelINS0_14default_configENS1_38merge_sort_block_merge_config_selectorIiNS0_10empty_typeEEEZZNS1_27merge_sort_block_merge_implIS3_N6thrust23THRUST_200600_302600_NS6detail15normal_iteratorINS9_10device_ptrIiEEEEPS5_jNS1_19radix_merge_compareILb0ELb1EiNS0_19identity_decomposerEEEEE10hipError_tT0_T1_T2_jT3_P12ihipStream_tbPNSt15iterator_traitsISK_E10value_typeEPNSQ_ISL_E10value_typeEPSM_NS1_7vsmem_tEENKUlT_SK_SL_SM_E_clIPiSE_SF_SF_EESJ_SZ_SK_SL_SM_EUlSZ_E1_NS1_11comp_targetILNS1_3genE3ELNS1_11target_archE908ELNS1_3gpuE7ELNS1_3repE0EEENS1_36merge_oddeven_config_static_selectorELNS0_4arch9wavefront6targetE1EEEvSL_: ; @_ZN7rocprim17ROCPRIM_400000_NS6detail17trampoline_kernelINS0_14default_configENS1_38merge_sort_block_merge_config_selectorIiNS0_10empty_typeEEEZZNS1_27merge_sort_block_merge_implIS3_N6thrust23THRUST_200600_302600_NS6detail15normal_iteratorINS9_10device_ptrIiEEEEPS5_jNS1_19radix_merge_compareILb0ELb1EiNS0_19identity_decomposerEEEEE10hipError_tT0_T1_T2_jT3_P12ihipStream_tbPNSt15iterator_traitsISK_E10value_typeEPNSQ_ISL_E10value_typeEPSM_NS1_7vsmem_tEENKUlT_SK_SL_SM_E_clIPiSE_SF_SF_EESJ_SZ_SK_SL_SM_EUlSZ_E1_NS1_11comp_targetILNS1_3genE3ELNS1_11target_archE908ELNS1_3gpuE7ELNS1_3repE0EEENS1_36merge_oddeven_config_static_selectorELNS0_4arch9wavefront6targetE1EEEvSL_
; %bb.0:
	.section	.rodata,"a",@progbits
	.p2align	6, 0x0
	.amdhsa_kernel _ZN7rocprim17ROCPRIM_400000_NS6detail17trampoline_kernelINS0_14default_configENS1_38merge_sort_block_merge_config_selectorIiNS0_10empty_typeEEEZZNS1_27merge_sort_block_merge_implIS3_N6thrust23THRUST_200600_302600_NS6detail15normal_iteratorINS9_10device_ptrIiEEEEPS5_jNS1_19radix_merge_compareILb0ELb1EiNS0_19identity_decomposerEEEEE10hipError_tT0_T1_T2_jT3_P12ihipStream_tbPNSt15iterator_traitsISK_E10value_typeEPNSQ_ISL_E10value_typeEPSM_NS1_7vsmem_tEENKUlT_SK_SL_SM_E_clIPiSE_SF_SF_EESJ_SZ_SK_SL_SM_EUlSZ_E1_NS1_11comp_targetILNS1_3genE3ELNS1_11target_archE908ELNS1_3gpuE7ELNS1_3repE0EEENS1_36merge_oddeven_config_static_selectorELNS0_4arch9wavefront6targetE1EEEvSL_
		.amdhsa_group_segment_fixed_size 0
		.amdhsa_private_segment_fixed_size 0
		.amdhsa_kernarg_size 48
		.amdhsa_user_sgpr_count 2
		.amdhsa_user_sgpr_dispatch_ptr 0
		.amdhsa_user_sgpr_queue_ptr 0
		.amdhsa_user_sgpr_kernarg_segment_ptr 1
		.amdhsa_user_sgpr_dispatch_id 0
		.amdhsa_user_sgpr_kernarg_preload_length 0
		.amdhsa_user_sgpr_kernarg_preload_offset 0
		.amdhsa_user_sgpr_private_segment_size 0
		.amdhsa_uses_dynamic_stack 0
		.amdhsa_enable_private_segment 0
		.amdhsa_system_sgpr_workgroup_id_x 1
		.amdhsa_system_sgpr_workgroup_id_y 0
		.amdhsa_system_sgpr_workgroup_id_z 0
		.amdhsa_system_sgpr_workgroup_info 0
		.amdhsa_system_vgpr_workitem_id 0
		.amdhsa_next_free_vgpr 1
		.amdhsa_next_free_sgpr 0
		.amdhsa_accum_offset 4
		.amdhsa_reserve_vcc 0
		.amdhsa_float_round_mode_32 0
		.amdhsa_float_round_mode_16_64 0
		.amdhsa_float_denorm_mode_32 3
		.amdhsa_float_denorm_mode_16_64 3
		.amdhsa_dx10_clamp 1
		.amdhsa_ieee_mode 1
		.amdhsa_fp16_overflow 0
		.amdhsa_tg_split 0
		.amdhsa_exception_fp_ieee_invalid_op 0
		.amdhsa_exception_fp_denorm_src 0
		.amdhsa_exception_fp_ieee_div_zero 0
		.amdhsa_exception_fp_ieee_overflow 0
		.amdhsa_exception_fp_ieee_underflow 0
		.amdhsa_exception_fp_ieee_inexact 0
		.amdhsa_exception_int_div_zero 0
	.end_amdhsa_kernel
	.section	.text._ZN7rocprim17ROCPRIM_400000_NS6detail17trampoline_kernelINS0_14default_configENS1_38merge_sort_block_merge_config_selectorIiNS0_10empty_typeEEEZZNS1_27merge_sort_block_merge_implIS3_N6thrust23THRUST_200600_302600_NS6detail15normal_iteratorINS9_10device_ptrIiEEEEPS5_jNS1_19radix_merge_compareILb0ELb1EiNS0_19identity_decomposerEEEEE10hipError_tT0_T1_T2_jT3_P12ihipStream_tbPNSt15iterator_traitsISK_E10value_typeEPNSQ_ISL_E10value_typeEPSM_NS1_7vsmem_tEENKUlT_SK_SL_SM_E_clIPiSE_SF_SF_EESJ_SZ_SK_SL_SM_EUlSZ_E1_NS1_11comp_targetILNS1_3genE3ELNS1_11target_archE908ELNS1_3gpuE7ELNS1_3repE0EEENS1_36merge_oddeven_config_static_selectorELNS0_4arch9wavefront6targetE1EEEvSL_,"axG",@progbits,_ZN7rocprim17ROCPRIM_400000_NS6detail17trampoline_kernelINS0_14default_configENS1_38merge_sort_block_merge_config_selectorIiNS0_10empty_typeEEEZZNS1_27merge_sort_block_merge_implIS3_N6thrust23THRUST_200600_302600_NS6detail15normal_iteratorINS9_10device_ptrIiEEEEPS5_jNS1_19radix_merge_compareILb0ELb1EiNS0_19identity_decomposerEEEEE10hipError_tT0_T1_T2_jT3_P12ihipStream_tbPNSt15iterator_traitsISK_E10value_typeEPNSQ_ISL_E10value_typeEPSM_NS1_7vsmem_tEENKUlT_SK_SL_SM_E_clIPiSE_SF_SF_EESJ_SZ_SK_SL_SM_EUlSZ_E1_NS1_11comp_targetILNS1_3genE3ELNS1_11target_archE908ELNS1_3gpuE7ELNS1_3repE0EEENS1_36merge_oddeven_config_static_selectorELNS0_4arch9wavefront6targetE1EEEvSL_,comdat
.Lfunc_end1691:
	.size	_ZN7rocprim17ROCPRIM_400000_NS6detail17trampoline_kernelINS0_14default_configENS1_38merge_sort_block_merge_config_selectorIiNS0_10empty_typeEEEZZNS1_27merge_sort_block_merge_implIS3_N6thrust23THRUST_200600_302600_NS6detail15normal_iteratorINS9_10device_ptrIiEEEEPS5_jNS1_19radix_merge_compareILb0ELb1EiNS0_19identity_decomposerEEEEE10hipError_tT0_T1_T2_jT3_P12ihipStream_tbPNSt15iterator_traitsISK_E10value_typeEPNSQ_ISL_E10value_typeEPSM_NS1_7vsmem_tEENKUlT_SK_SL_SM_E_clIPiSE_SF_SF_EESJ_SZ_SK_SL_SM_EUlSZ_E1_NS1_11comp_targetILNS1_3genE3ELNS1_11target_archE908ELNS1_3gpuE7ELNS1_3repE0EEENS1_36merge_oddeven_config_static_selectorELNS0_4arch9wavefront6targetE1EEEvSL_, .Lfunc_end1691-_ZN7rocprim17ROCPRIM_400000_NS6detail17trampoline_kernelINS0_14default_configENS1_38merge_sort_block_merge_config_selectorIiNS0_10empty_typeEEEZZNS1_27merge_sort_block_merge_implIS3_N6thrust23THRUST_200600_302600_NS6detail15normal_iteratorINS9_10device_ptrIiEEEEPS5_jNS1_19radix_merge_compareILb0ELb1EiNS0_19identity_decomposerEEEEE10hipError_tT0_T1_T2_jT3_P12ihipStream_tbPNSt15iterator_traitsISK_E10value_typeEPNSQ_ISL_E10value_typeEPSM_NS1_7vsmem_tEENKUlT_SK_SL_SM_E_clIPiSE_SF_SF_EESJ_SZ_SK_SL_SM_EUlSZ_E1_NS1_11comp_targetILNS1_3genE3ELNS1_11target_archE908ELNS1_3gpuE7ELNS1_3repE0EEENS1_36merge_oddeven_config_static_selectorELNS0_4arch9wavefront6targetE1EEEvSL_
                                        ; -- End function
	.section	.AMDGPU.csdata,"",@progbits
; Kernel info:
; codeLenInByte = 0
; NumSgprs: 6
; NumVgprs: 0
; NumAgprs: 0
; TotalNumVgprs: 0
; ScratchSize: 0
; MemoryBound: 0
; FloatMode: 240
; IeeeMode: 1
; LDSByteSize: 0 bytes/workgroup (compile time only)
; SGPRBlocks: 0
; VGPRBlocks: 0
; NumSGPRsForWavesPerEU: 6
; NumVGPRsForWavesPerEU: 1
; AccumOffset: 4
; Occupancy: 8
; WaveLimiterHint : 0
; COMPUTE_PGM_RSRC2:SCRATCH_EN: 0
; COMPUTE_PGM_RSRC2:USER_SGPR: 2
; COMPUTE_PGM_RSRC2:TRAP_HANDLER: 0
; COMPUTE_PGM_RSRC2:TGID_X_EN: 1
; COMPUTE_PGM_RSRC2:TGID_Y_EN: 0
; COMPUTE_PGM_RSRC2:TGID_Z_EN: 0
; COMPUTE_PGM_RSRC2:TIDIG_COMP_CNT: 0
; COMPUTE_PGM_RSRC3_GFX90A:ACCUM_OFFSET: 0
; COMPUTE_PGM_RSRC3_GFX90A:TG_SPLIT: 0
	.section	.text._ZN7rocprim17ROCPRIM_400000_NS6detail17trampoline_kernelINS0_14default_configENS1_38merge_sort_block_merge_config_selectorIiNS0_10empty_typeEEEZZNS1_27merge_sort_block_merge_implIS3_N6thrust23THRUST_200600_302600_NS6detail15normal_iteratorINS9_10device_ptrIiEEEEPS5_jNS1_19radix_merge_compareILb0ELb1EiNS0_19identity_decomposerEEEEE10hipError_tT0_T1_T2_jT3_P12ihipStream_tbPNSt15iterator_traitsISK_E10value_typeEPNSQ_ISL_E10value_typeEPSM_NS1_7vsmem_tEENKUlT_SK_SL_SM_E_clIPiSE_SF_SF_EESJ_SZ_SK_SL_SM_EUlSZ_E1_NS1_11comp_targetILNS1_3genE2ELNS1_11target_archE906ELNS1_3gpuE6ELNS1_3repE0EEENS1_36merge_oddeven_config_static_selectorELNS0_4arch9wavefront6targetE1EEEvSL_,"axG",@progbits,_ZN7rocprim17ROCPRIM_400000_NS6detail17trampoline_kernelINS0_14default_configENS1_38merge_sort_block_merge_config_selectorIiNS0_10empty_typeEEEZZNS1_27merge_sort_block_merge_implIS3_N6thrust23THRUST_200600_302600_NS6detail15normal_iteratorINS9_10device_ptrIiEEEEPS5_jNS1_19radix_merge_compareILb0ELb1EiNS0_19identity_decomposerEEEEE10hipError_tT0_T1_T2_jT3_P12ihipStream_tbPNSt15iterator_traitsISK_E10value_typeEPNSQ_ISL_E10value_typeEPSM_NS1_7vsmem_tEENKUlT_SK_SL_SM_E_clIPiSE_SF_SF_EESJ_SZ_SK_SL_SM_EUlSZ_E1_NS1_11comp_targetILNS1_3genE2ELNS1_11target_archE906ELNS1_3gpuE6ELNS1_3repE0EEENS1_36merge_oddeven_config_static_selectorELNS0_4arch9wavefront6targetE1EEEvSL_,comdat
	.protected	_ZN7rocprim17ROCPRIM_400000_NS6detail17trampoline_kernelINS0_14default_configENS1_38merge_sort_block_merge_config_selectorIiNS0_10empty_typeEEEZZNS1_27merge_sort_block_merge_implIS3_N6thrust23THRUST_200600_302600_NS6detail15normal_iteratorINS9_10device_ptrIiEEEEPS5_jNS1_19radix_merge_compareILb0ELb1EiNS0_19identity_decomposerEEEEE10hipError_tT0_T1_T2_jT3_P12ihipStream_tbPNSt15iterator_traitsISK_E10value_typeEPNSQ_ISL_E10value_typeEPSM_NS1_7vsmem_tEENKUlT_SK_SL_SM_E_clIPiSE_SF_SF_EESJ_SZ_SK_SL_SM_EUlSZ_E1_NS1_11comp_targetILNS1_3genE2ELNS1_11target_archE906ELNS1_3gpuE6ELNS1_3repE0EEENS1_36merge_oddeven_config_static_selectorELNS0_4arch9wavefront6targetE1EEEvSL_ ; -- Begin function _ZN7rocprim17ROCPRIM_400000_NS6detail17trampoline_kernelINS0_14default_configENS1_38merge_sort_block_merge_config_selectorIiNS0_10empty_typeEEEZZNS1_27merge_sort_block_merge_implIS3_N6thrust23THRUST_200600_302600_NS6detail15normal_iteratorINS9_10device_ptrIiEEEEPS5_jNS1_19radix_merge_compareILb0ELb1EiNS0_19identity_decomposerEEEEE10hipError_tT0_T1_T2_jT3_P12ihipStream_tbPNSt15iterator_traitsISK_E10value_typeEPNSQ_ISL_E10value_typeEPSM_NS1_7vsmem_tEENKUlT_SK_SL_SM_E_clIPiSE_SF_SF_EESJ_SZ_SK_SL_SM_EUlSZ_E1_NS1_11comp_targetILNS1_3genE2ELNS1_11target_archE906ELNS1_3gpuE6ELNS1_3repE0EEENS1_36merge_oddeven_config_static_selectorELNS0_4arch9wavefront6targetE1EEEvSL_
	.globl	_ZN7rocprim17ROCPRIM_400000_NS6detail17trampoline_kernelINS0_14default_configENS1_38merge_sort_block_merge_config_selectorIiNS0_10empty_typeEEEZZNS1_27merge_sort_block_merge_implIS3_N6thrust23THRUST_200600_302600_NS6detail15normal_iteratorINS9_10device_ptrIiEEEEPS5_jNS1_19radix_merge_compareILb0ELb1EiNS0_19identity_decomposerEEEEE10hipError_tT0_T1_T2_jT3_P12ihipStream_tbPNSt15iterator_traitsISK_E10value_typeEPNSQ_ISL_E10value_typeEPSM_NS1_7vsmem_tEENKUlT_SK_SL_SM_E_clIPiSE_SF_SF_EESJ_SZ_SK_SL_SM_EUlSZ_E1_NS1_11comp_targetILNS1_3genE2ELNS1_11target_archE906ELNS1_3gpuE6ELNS1_3repE0EEENS1_36merge_oddeven_config_static_selectorELNS0_4arch9wavefront6targetE1EEEvSL_
	.p2align	8
	.type	_ZN7rocprim17ROCPRIM_400000_NS6detail17trampoline_kernelINS0_14default_configENS1_38merge_sort_block_merge_config_selectorIiNS0_10empty_typeEEEZZNS1_27merge_sort_block_merge_implIS3_N6thrust23THRUST_200600_302600_NS6detail15normal_iteratorINS9_10device_ptrIiEEEEPS5_jNS1_19radix_merge_compareILb0ELb1EiNS0_19identity_decomposerEEEEE10hipError_tT0_T1_T2_jT3_P12ihipStream_tbPNSt15iterator_traitsISK_E10value_typeEPNSQ_ISL_E10value_typeEPSM_NS1_7vsmem_tEENKUlT_SK_SL_SM_E_clIPiSE_SF_SF_EESJ_SZ_SK_SL_SM_EUlSZ_E1_NS1_11comp_targetILNS1_3genE2ELNS1_11target_archE906ELNS1_3gpuE6ELNS1_3repE0EEENS1_36merge_oddeven_config_static_selectorELNS0_4arch9wavefront6targetE1EEEvSL_,@function
_ZN7rocprim17ROCPRIM_400000_NS6detail17trampoline_kernelINS0_14default_configENS1_38merge_sort_block_merge_config_selectorIiNS0_10empty_typeEEEZZNS1_27merge_sort_block_merge_implIS3_N6thrust23THRUST_200600_302600_NS6detail15normal_iteratorINS9_10device_ptrIiEEEEPS5_jNS1_19radix_merge_compareILb0ELb1EiNS0_19identity_decomposerEEEEE10hipError_tT0_T1_T2_jT3_P12ihipStream_tbPNSt15iterator_traitsISK_E10value_typeEPNSQ_ISL_E10value_typeEPSM_NS1_7vsmem_tEENKUlT_SK_SL_SM_E_clIPiSE_SF_SF_EESJ_SZ_SK_SL_SM_EUlSZ_E1_NS1_11comp_targetILNS1_3genE2ELNS1_11target_archE906ELNS1_3gpuE6ELNS1_3repE0EEENS1_36merge_oddeven_config_static_selectorELNS0_4arch9wavefront6targetE1EEEvSL_: ; @_ZN7rocprim17ROCPRIM_400000_NS6detail17trampoline_kernelINS0_14default_configENS1_38merge_sort_block_merge_config_selectorIiNS0_10empty_typeEEEZZNS1_27merge_sort_block_merge_implIS3_N6thrust23THRUST_200600_302600_NS6detail15normal_iteratorINS9_10device_ptrIiEEEEPS5_jNS1_19radix_merge_compareILb0ELb1EiNS0_19identity_decomposerEEEEE10hipError_tT0_T1_T2_jT3_P12ihipStream_tbPNSt15iterator_traitsISK_E10value_typeEPNSQ_ISL_E10value_typeEPSM_NS1_7vsmem_tEENKUlT_SK_SL_SM_E_clIPiSE_SF_SF_EESJ_SZ_SK_SL_SM_EUlSZ_E1_NS1_11comp_targetILNS1_3genE2ELNS1_11target_archE906ELNS1_3gpuE6ELNS1_3repE0EEENS1_36merge_oddeven_config_static_selectorELNS0_4arch9wavefront6targetE1EEEvSL_
; %bb.0:
	.section	.rodata,"a",@progbits
	.p2align	6, 0x0
	.amdhsa_kernel _ZN7rocprim17ROCPRIM_400000_NS6detail17trampoline_kernelINS0_14default_configENS1_38merge_sort_block_merge_config_selectorIiNS0_10empty_typeEEEZZNS1_27merge_sort_block_merge_implIS3_N6thrust23THRUST_200600_302600_NS6detail15normal_iteratorINS9_10device_ptrIiEEEEPS5_jNS1_19radix_merge_compareILb0ELb1EiNS0_19identity_decomposerEEEEE10hipError_tT0_T1_T2_jT3_P12ihipStream_tbPNSt15iterator_traitsISK_E10value_typeEPNSQ_ISL_E10value_typeEPSM_NS1_7vsmem_tEENKUlT_SK_SL_SM_E_clIPiSE_SF_SF_EESJ_SZ_SK_SL_SM_EUlSZ_E1_NS1_11comp_targetILNS1_3genE2ELNS1_11target_archE906ELNS1_3gpuE6ELNS1_3repE0EEENS1_36merge_oddeven_config_static_selectorELNS0_4arch9wavefront6targetE1EEEvSL_
		.amdhsa_group_segment_fixed_size 0
		.amdhsa_private_segment_fixed_size 0
		.amdhsa_kernarg_size 48
		.amdhsa_user_sgpr_count 2
		.amdhsa_user_sgpr_dispatch_ptr 0
		.amdhsa_user_sgpr_queue_ptr 0
		.amdhsa_user_sgpr_kernarg_segment_ptr 1
		.amdhsa_user_sgpr_dispatch_id 0
		.amdhsa_user_sgpr_kernarg_preload_length 0
		.amdhsa_user_sgpr_kernarg_preload_offset 0
		.amdhsa_user_sgpr_private_segment_size 0
		.amdhsa_uses_dynamic_stack 0
		.amdhsa_enable_private_segment 0
		.amdhsa_system_sgpr_workgroup_id_x 1
		.amdhsa_system_sgpr_workgroup_id_y 0
		.amdhsa_system_sgpr_workgroup_id_z 0
		.amdhsa_system_sgpr_workgroup_info 0
		.amdhsa_system_vgpr_workitem_id 0
		.amdhsa_next_free_vgpr 1
		.amdhsa_next_free_sgpr 0
		.amdhsa_accum_offset 4
		.amdhsa_reserve_vcc 0
		.amdhsa_float_round_mode_32 0
		.amdhsa_float_round_mode_16_64 0
		.amdhsa_float_denorm_mode_32 3
		.amdhsa_float_denorm_mode_16_64 3
		.amdhsa_dx10_clamp 1
		.amdhsa_ieee_mode 1
		.amdhsa_fp16_overflow 0
		.amdhsa_tg_split 0
		.amdhsa_exception_fp_ieee_invalid_op 0
		.amdhsa_exception_fp_denorm_src 0
		.amdhsa_exception_fp_ieee_div_zero 0
		.amdhsa_exception_fp_ieee_overflow 0
		.amdhsa_exception_fp_ieee_underflow 0
		.amdhsa_exception_fp_ieee_inexact 0
		.amdhsa_exception_int_div_zero 0
	.end_amdhsa_kernel
	.section	.text._ZN7rocprim17ROCPRIM_400000_NS6detail17trampoline_kernelINS0_14default_configENS1_38merge_sort_block_merge_config_selectorIiNS0_10empty_typeEEEZZNS1_27merge_sort_block_merge_implIS3_N6thrust23THRUST_200600_302600_NS6detail15normal_iteratorINS9_10device_ptrIiEEEEPS5_jNS1_19radix_merge_compareILb0ELb1EiNS0_19identity_decomposerEEEEE10hipError_tT0_T1_T2_jT3_P12ihipStream_tbPNSt15iterator_traitsISK_E10value_typeEPNSQ_ISL_E10value_typeEPSM_NS1_7vsmem_tEENKUlT_SK_SL_SM_E_clIPiSE_SF_SF_EESJ_SZ_SK_SL_SM_EUlSZ_E1_NS1_11comp_targetILNS1_3genE2ELNS1_11target_archE906ELNS1_3gpuE6ELNS1_3repE0EEENS1_36merge_oddeven_config_static_selectorELNS0_4arch9wavefront6targetE1EEEvSL_,"axG",@progbits,_ZN7rocprim17ROCPRIM_400000_NS6detail17trampoline_kernelINS0_14default_configENS1_38merge_sort_block_merge_config_selectorIiNS0_10empty_typeEEEZZNS1_27merge_sort_block_merge_implIS3_N6thrust23THRUST_200600_302600_NS6detail15normal_iteratorINS9_10device_ptrIiEEEEPS5_jNS1_19radix_merge_compareILb0ELb1EiNS0_19identity_decomposerEEEEE10hipError_tT0_T1_T2_jT3_P12ihipStream_tbPNSt15iterator_traitsISK_E10value_typeEPNSQ_ISL_E10value_typeEPSM_NS1_7vsmem_tEENKUlT_SK_SL_SM_E_clIPiSE_SF_SF_EESJ_SZ_SK_SL_SM_EUlSZ_E1_NS1_11comp_targetILNS1_3genE2ELNS1_11target_archE906ELNS1_3gpuE6ELNS1_3repE0EEENS1_36merge_oddeven_config_static_selectorELNS0_4arch9wavefront6targetE1EEEvSL_,comdat
.Lfunc_end1692:
	.size	_ZN7rocprim17ROCPRIM_400000_NS6detail17trampoline_kernelINS0_14default_configENS1_38merge_sort_block_merge_config_selectorIiNS0_10empty_typeEEEZZNS1_27merge_sort_block_merge_implIS3_N6thrust23THRUST_200600_302600_NS6detail15normal_iteratorINS9_10device_ptrIiEEEEPS5_jNS1_19radix_merge_compareILb0ELb1EiNS0_19identity_decomposerEEEEE10hipError_tT0_T1_T2_jT3_P12ihipStream_tbPNSt15iterator_traitsISK_E10value_typeEPNSQ_ISL_E10value_typeEPSM_NS1_7vsmem_tEENKUlT_SK_SL_SM_E_clIPiSE_SF_SF_EESJ_SZ_SK_SL_SM_EUlSZ_E1_NS1_11comp_targetILNS1_3genE2ELNS1_11target_archE906ELNS1_3gpuE6ELNS1_3repE0EEENS1_36merge_oddeven_config_static_selectorELNS0_4arch9wavefront6targetE1EEEvSL_, .Lfunc_end1692-_ZN7rocprim17ROCPRIM_400000_NS6detail17trampoline_kernelINS0_14default_configENS1_38merge_sort_block_merge_config_selectorIiNS0_10empty_typeEEEZZNS1_27merge_sort_block_merge_implIS3_N6thrust23THRUST_200600_302600_NS6detail15normal_iteratorINS9_10device_ptrIiEEEEPS5_jNS1_19radix_merge_compareILb0ELb1EiNS0_19identity_decomposerEEEEE10hipError_tT0_T1_T2_jT3_P12ihipStream_tbPNSt15iterator_traitsISK_E10value_typeEPNSQ_ISL_E10value_typeEPSM_NS1_7vsmem_tEENKUlT_SK_SL_SM_E_clIPiSE_SF_SF_EESJ_SZ_SK_SL_SM_EUlSZ_E1_NS1_11comp_targetILNS1_3genE2ELNS1_11target_archE906ELNS1_3gpuE6ELNS1_3repE0EEENS1_36merge_oddeven_config_static_selectorELNS0_4arch9wavefront6targetE1EEEvSL_
                                        ; -- End function
	.section	.AMDGPU.csdata,"",@progbits
; Kernel info:
; codeLenInByte = 0
; NumSgprs: 6
; NumVgprs: 0
; NumAgprs: 0
; TotalNumVgprs: 0
; ScratchSize: 0
; MemoryBound: 0
; FloatMode: 240
; IeeeMode: 1
; LDSByteSize: 0 bytes/workgroup (compile time only)
; SGPRBlocks: 0
; VGPRBlocks: 0
; NumSGPRsForWavesPerEU: 6
; NumVGPRsForWavesPerEU: 1
; AccumOffset: 4
; Occupancy: 8
; WaveLimiterHint : 0
; COMPUTE_PGM_RSRC2:SCRATCH_EN: 0
; COMPUTE_PGM_RSRC2:USER_SGPR: 2
; COMPUTE_PGM_RSRC2:TRAP_HANDLER: 0
; COMPUTE_PGM_RSRC2:TGID_X_EN: 1
; COMPUTE_PGM_RSRC2:TGID_Y_EN: 0
; COMPUTE_PGM_RSRC2:TGID_Z_EN: 0
; COMPUTE_PGM_RSRC2:TIDIG_COMP_CNT: 0
; COMPUTE_PGM_RSRC3_GFX90A:ACCUM_OFFSET: 0
; COMPUTE_PGM_RSRC3_GFX90A:TG_SPLIT: 0
	.section	.text._ZN7rocprim17ROCPRIM_400000_NS6detail17trampoline_kernelINS0_14default_configENS1_38merge_sort_block_merge_config_selectorIiNS0_10empty_typeEEEZZNS1_27merge_sort_block_merge_implIS3_N6thrust23THRUST_200600_302600_NS6detail15normal_iteratorINS9_10device_ptrIiEEEEPS5_jNS1_19radix_merge_compareILb0ELb1EiNS0_19identity_decomposerEEEEE10hipError_tT0_T1_T2_jT3_P12ihipStream_tbPNSt15iterator_traitsISK_E10value_typeEPNSQ_ISL_E10value_typeEPSM_NS1_7vsmem_tEENKUlT_SK_SL_SM_E_clIPiSE_SF_SF_EESJ_SZ_SK_SL_SM_EUlSZ_E1_NS1_11comp_targetILNS1_3genE9ELNS1_11target_archE1100ELNS1_3gpuE3ELNS1_3repE0EEENS1_36merge_oddeven_config_static_selectorELNS0_4arch9wavefront6targetE1EEEvSL_,"axG",@progbits,_ZN7rocprim17ROCPRIM_400000_NS6detail17trampoline_kernelINS0_14default_configENS1_38merge_sort_block_merge_config_selectorIiNS0_10empty_typeEEEZZNS1_27merge_sort_block_merge_implIS3_N6thrust23THRUST_200600_302600_NS6detail15normal_iteratorINS9_10device_ptrIiEEEEPS5_jNS1_19radix_merge_compareILb0ELb1EiNS0_19identity_decomposerEEEEE10hipError_tT0_T1_T2_jT3_P12ihipStream_tbPNSt15iterator_traitsISK_E10value_typeEPNSQ_ISL_E10value_typeEPSM_NS1_7vsmem_tEENKUlT_SK_SL_SM_E_clIPiSE_SF_SF_EESJ_SZ_SK_SL_SM_EUlSZ_E1_NS1_11comp_targetILNS1_3genE9ELNS1_11target_archE1100ELNS1_3gpuE3ELNS1_3repE0EEENS1_36merge_oddeven_config_static_selectorELNS0_4arch9wavefront6targetE1EEEvSL_,comdat
	.protected	_ZN7rocprim17ROCPRIM_400000_NS6detail17trampoline_kernelINS0_14default_configENS1_38merge_sort_block_merge_config_selectorIiNS0_10empty_typeEEEZZNS1_27merge_sort_block_merge_implIS3_N6thrust23THRUST_200600_302600_NS6detail15normal_iteratorINS9_10device_ptrIiEEEEPS5_jNS1_19radix_merge_compareILb0ELb1EiNS0_19identity_decomposerEEEEE10hipError_tT0_T1_T2_jT3_P12ihipStream_tbPNSt15iterator_traitsISK_E10value_typeEPNSQ_ISL_E10value_typeEPSM_NS1_7vsmem_tEENKUlT_SK_SL_SM_E_clIPiSE_SF_SF_EESJ_SZ_SK_SL_SM_EUlSZ_E1_NS1_11comp_targetILNS1_3genE9ELNS1_11target_archE1100ELNS1_3gpuE3ELNS1_3repE0EEENS1_36merge_oddeven_config_static_selectorELNS0_4arch9wavefront6targetE1EEEvSL_ ; -- Begin function _ZN7rocprim17ROCPRIM_400000_NS6detail17trampoline_kernelINS0_14default_configENS1_38merge_sort_block_merge_config_selectorIiNS0_10empty_typeEEEZZNS1_27merge_sort_block_merge_implIS3_N6thrust23THRUST_200600_302600_NS6detail15normal_iteratorINS9_10device_ptrIiEEEEPS5_jNS1_19radix_merge_compareILb0ELb1EiNS0_19identity_decomposerEEEEE10hipError_tT0_T1_T2_jT3_P12ihipStream_tbPNSt15iterator_traitsISK_E10value_typeEPNSQ_ISL_E10value_typeEPSM_NS1_7vsmem_tEENKUlT_SK_SL_SM_E_clIPiSE_SF_SF_EESJ_SZ_SK_SL_SM_EUlSZ_E1_NS1_11comp_targetILNS1_3genE9ELNS1_11target_archE1100ELNS1_3gpuE3ELNS1_3repE0EEENS1_36merge_oddeven_config_static_selectorELNS0_4arch9wavefront6targetE1EEEvSL_
	.globl	_ZN7rocprim17ROCPRIM_400000_NS6detail17trampoline_kernelINS0_14default_configENS1_38merge_sort_block_merge_config_selectorIiNS0_10empty_typeEEEZZNS1_27merge_sort_block_merge_implIS3_N6thrust23THRUST_200600_302600_NS6detail15normal_iteratorINS9_10device_ptrIiEEEEPS5_jNS1_19radix_merge_compareILb0ELb1EiNS0_19identity_decomposerEEEEE10hipError_tT0_T1_T2_jT3_P12ihipStream_tbPNSt15iterator_traitsISK_E10value_typeEPNSQ_ISL_E10value_typeEPSM_NS1_7vsmem_tEENKUlT_SK_SL_SM_E_clIPiSE_SF_SF_EESJ_SZ_SK_SL_SM_EUlSZ_E1_NS1_11comp_targetILNS1_3genE9ELNS1_11target_archE1100ELNS1_3gpuE3ELNS1_3repE0EEENS1_36merge_oddeven_config_static_selectorELNS0_4arch9wavefront6targetE1EEEvSL_
	.p2align	8
	.type	_ZN7rocprim17ROCPRIM_400000_NS6detail17trampoline_kernelINS0_14default_configENS1_38merge_sort_block_merge_config_selectorIiNS0_10empty_typeEEEZZNS1_27merge_sort_block_merge_implIS3_N6thrust23THRUST_200600_302600_NS6detail15normal_iteratorINS9_10device_ptrIiEEEEPS5_jNS1_19radix_merge_compareILb0ELb1EiNS0_19identity_decomposerEEEEE10hipError_tT0_T1_T2_jT3_P12ihipStream_tbPNSt15iterator_traitsISK_E10value_typeEPNSQ_ISL_E10value_typeEPSM_NS1_7vsmem_tEENKUlT_SK_SL_SM_E_clIPiSE_SF_SF_EESJ_SZ_SK_SL_SM_EUlSZ_E1_NS1_11comp_targetILNS1_3genE9ELNS1_11target_archE1100ELNS1_3gpuE3ELNS1_3repE0EEENS1_36merge_oddeven_config_static_selectorELNS0_4arch9wavefront6targetE1EEEvSL_,@function
_ZN7rocprim17ROCPRIM_400000_NS6detail17trampoline_kernelINS0_14default_configENS1_38merge_sort_block_merge_config_selectorIiNS0_10empty_typeEEEZZNS1_27merge_sort_block_merge_implIS3_N6thrust23THRUST_200600_302600_NS6detail15normal_iteratorINS9_10device_ptrIiEEEEPS5_jNS1_19radix_merge_compareILb0ELb1EiNS0_19identity_decomposerEEEEE10hipError_tT0_T1_T2_jT3_P12ihipStream_tbPNSt15iterator_traitsISK_E10value_typeEPNSQ_ISL_E10value_typeEPSM_NS1_7vsmem_tEENKUlT_SK_SL_SM_E_clIPiSE_SF_SF_EESJ_SZ_SK_SL_SM_EUlSZ_E1_NS1_11comp_targetILNS1_3genE9ELNS1_11target_archE1100ELNS1_3gpuE3ELNS1_3repE0EEENS1_36merge_oddeven_config_static_selectorELNS0_4arch9wavefront6targetE1EEEvSL_: ; @_ZN7rocprim17ROCPRIM_400000_NS6detail17trampoline_kernelINS0_14default_configENS1_38merge_sort_block_merge_config_selectorIiNS0_10empty_typeEEEZZNS1_27merge_sort_block_merge_implIS3_N6thrust23THRUST_200600_302600_NS6detail15normal_iteratorINS9_10device_ptrIiEEEEPS5_jNS1_19radix_merge_compareILb0ELb1EiNS0_19identity_decomposerEEEEE10hipError_tT0_T1_T2_jT3_P12ihipStream_tbPNSt15iterator_traitsISK_E10value_typeEPNSQ_ISL_E10value_typeEPSM_NS1_7vsmem_tEENKUlT_SK_SL_SM_E_clIPiSE_SF_SF_EESJ_SZ_SK_SL_SM_EUlSZ_E1_NS1_11comp_targetILNS1_3genE9ELNS1_11target_archE1100ELNS1_3gpuE3ELNS1_3repE0EEENS1_36merge_oddeven_config_static_selectorELNS0_4arch9wavefront6targetE1EEEvSL_
; %bb.0:
	.section	.rodata,"a",@progbits
	.p2align	6, 0x0
	.amdhsa_kernel _ZN7rocprim17ROCPRIM_400000_NS6detail17trampoline_kernelINS0_14default_configENS1_38merge_sort_block_merge_config_selectorIiNS0_10empty_typeEEEZZNS1_27merge_sort_block_merge_implIS3_N6thrust23THRUST_200600_302600_NS6detail15normal_iteratorINS9_10device_ptrIiEEEEPS5_jNS1_19radix_merge_compareILb0ELb1EiNS0_19identity_decomposerEEEEE10hipError_tT0_T1_T2_jT3_P12ihipStream_tbPNSt15iterator_traitsISK_E10value_typeEPNSQ_ISL_E10value_typeEPSM_NS1_7vsmem_tEENKUlT_SK_SL_SM_E_clIPiSE_SF_SF_EESJ_SZ_SK_SL_SM_EUlSZ_E1_NS1_11comp_targetILNS1_3genE9ELNS1_11target_archE1100ELNS1_3gpuE3ELNS1_3repE0EEENS1_36merge_oddeven_config_static_selectorELNS0_4arch9wavefront6targetE1EEEvSL_
		.amdhsa_group_segment_fixed_size 0
		.amdhsa_private_segment_fixed_size 0
		.amdhsa_kernarg_size 48
		.amdhsa_user_sgpr_count 2
		.amdhsa_user_sgpr_dispatch_ptr 0
		.amdhsa_user_sgpr_queue_ptr 0
		.amdhsa_user_sgpr_kernarg_segment_ptr 1
		.amdhsa_user_sgpr_dispatch_id 0
		.amdhsa_user_sgpr_kernarg_preload_length 0
		.amdhsa_user_sgpr_kernarg_preload_offset 0
		.amdhsa_user_sgpr_private_segment_size 0
		.amdhsa_uses_dynamic_stack 0
		.amdhsa_enable_private_segment 0
		.amdhsa_system_sgpr_workgroup_id_x 1
		.amdhsa_system_sgpr_workgroup_id_y 0
		.amdhsa_system_sgpr_workgroup_id_z 0
		.amdhsa_system_sgpr_workgroup_info 0
		.amdhsa_system_vgpr_workitem_id 0
		.amdhsa_next_free_vgpr 1
		.amdhsa_next_free_sgpr 0
		.amdhsa_accum_offset 4
		.amdhsa_reserve_vcc 0
		.amdhsa_float_round_mode_32 0
		.amdhsa_float_round_mode_16_64 0
		.amdhsa_float_denorm_mode_32 3
		.amdhsa_float_denorm_mode_16_64 3
		.amdhsa_dx10_clamp 1
		.amdhsa_ieee_mode 1
		.amdhsa_fp16_overflow 0
		.amdhsa_tg_split 0
		.amdhsa_exception_fp_ieee_invalid_op 0
		.amdhsa_exception_fp_denorm_src 0
		.amdhsa_exception_fp_ieee_div_zero 0
		.amdhsa_exception_fp_ieee_overflow 0
		.amdhsa_exception_fp_ieee_underflow 0
		.amdhsa_exception_fp_ieee_inexact 0
		.amdhsa_exception_int_div_zero 0
	.end_amdhsa_kernel
	.section	.text._ZN7rocprim17ROCPRIM_400000_NS6detail17trampoline_kernelINS0_14default_configENS1_38merge_sort_block_merge_config_selectorIiNS0_10empty_typeEEEZZNS1_27merge_sort_block_merge_implIS3_N6thrust23THRUST_200600_302600_NS6detail15normal_iteratorINS9_10device_ptrIiEEEEPS5_jNS1_19radix_merge_compareILb0ELb1EiNS0_19identity_decomposerEEEEE10hipError_tT0_T1_T2_jT3_P12ihipStream_tbPNSt15iterator_traitsISK_E10value_typeEPNSQ_ISL_E10value_typeEPSM_NS1_7vsmem_tEENKUlT_SK_SL_SM_E_clIPiSE_SF_SF_EESJ_SZ_SK_SL_SM_EUlSZ_E1_NS1_11comp_targetILNS1_3genE9ELNS1_11target_archE1100ELNS1_3gpuE3ELNS1_3repE0EEENS1_36merge_oddeven_config_static_selectorELNS0_4arch9wavefront6targetE1EEEvSL_,"axG",@progbits,_ZN7rocprim17ROCPRIM_400000_NS6detail17trampoline_kernelINS0_14default_configENS1_38merge_sort_block_merge_config_selectorIiNS0_10empty_typeEEEZZNS1_27merge_sort_block_merge_implIS3_N6thrust23THRUST_200600_302600_NS6detail15normal_iteratorINS9_10device_ptrIiEEEEPS5_jNS1_19radix_merge_compareILb0ELb1EiNS0_19identity_decomposerEEEEE10hipError_tT0_T1_T2_jT3_P12ihipStream_tbPNSt15iterator_traitsISK_E10value_typeEPNSQ_ISL_E10value_typeEPSM_NS1_7vsmem_tEENKUlT_SK_SL_SM_E_clIPiSE_SF_SF_EESJ_SZ_SK_SL_SM_EUlSZ_E1_NS1_11comp_targetILNS1_3genE9ELNS1_11target_archE1100ELNS1_3gpuE3ELNS1_3repE0EEENS1_36merge_oddeven_config_static_selectorELNS0_4arch9wavefront6targetE1EEEvSL_,comdat
.Lfunc_end1693:
	.size	_ZN7rocprim17ROCPRIM_400000_NS6detail17trampoline_kernelINS0_14default_configENS1_38merge_sort_block_merge_config_selectorIiNS0_10empty_typeEEEZZNS1_27merge_sort_block_merge_implIS3_N6thrust23THRUST_200600_302600_NS6detail15normal_iteratorINS9_10device_ptrIiEEEEPS5_jNS1_19radix_merge_compareILb0ELb1EiNS0_19identity_decomposerEEEEE10hipError_tT0_T1_T2_jT3_P12ihipStream_tbPNSt15iterator_traitsISK_E10value_typeEPNSQ_ISL_E10value_typeEPSM_NS1_7vsmem_tEENKUlT_SK_SL_SM_E_clIPiSE_SF_SF_EESJ_SZ_SK_SL_SM_EUlSZ_E1_NS1_11comp_targetILNS1_3genE9ELNS1_11target_archE1100ELNS1_3gpuE3ELNS1_3repE0EEENS1_36merge_oddeven_config_static_selectorELNS0_4arch9wavefront6targetE1EEEvSL_, .Lfunc_end1693-_ZN7rocprim17ROCPRIM_400000_NS6detail17trampoline_kernelINS0_14default_configENS1_38merge_sort_block_merge_config_selectorIiNS0_10empty_typeEEEZZNS1_27merge_sort_block_merge_implIS3_N6thrust23THRUST_200600_302600_NS6detail15normal_iteratorINS9_10device_ptrIiEEEEPS5_jNS1_19radix_merge_compareILb0ELb1EiNS0_19identity_decomposerEEEEE10hipError_tT0_T1_T2_jT3_P12ihipStream_tbPNSt15iterator_traitsISK_E10value_typeEPNSQ_ISL_E10value_typeEPSM_NS1_7vsmem_tEENKUlT_SK_SL_SM_E_clIPiSE_SF_SF_EESJ_SZ_SK_SL_SM_EUlSZ_E1_NS1_11comp_targetILNS1_3genE9ELNS1_11target_archE1100ELNS1_3gpuE3ELNS1_3repE0EEENS1_36merge_oddeven_config_static_selectorELNS0_4arch9wavefront6targetE1EEEvSL_
                                        ; -- End function
	.section	.AMDGPU.csdata,"",@progbits
; Kernel info:
; codeLenInByte = 0
; NumSgprs: 6
; NumVgprs: 0
; NumAgprs: 0
; TotalNumVgprs: 0
; ScratchSize: 0
; MemoryBound: 0
; FloatMode: 240
; IeeeMode: 1
; LDSByteSize: 0 bytes/workgroup (compile time only)
; SGPRBlocks: 0
; VGPRBlocks: 0
; NumSGPRsForWavesPerEU: 6
; NumVGPRsForWavesPerEU: 1
; AccumOffset: 4
; Occupancy: 8
; WaveLimiterHint : 0
; COMPUTE_PGM_RSRC2:SCRATCH_EN: 0
; COMPUTE_PGM_RSRC2:USER_SGPR: 2
; COMPUTE_PGM_RSRC2:TRAP_HANDLER: 0
; COMPUTE_PGM_RSRC2:TGID_X_EN: 1
; COMPUTE_PGM_RSRC2:TGID_Y_EN: 0
; COMPUTE_PGM_RSRC2:TGID_Z_EN: 0
; COMPUTE_PGM_RSRC2:TIDIG_COMP_CNT: 0
; COMPUTE_PGM_RSRC3_GFX90A:ACCUM_OFFSET: 0
; COMPUTE_PGM_RSRC3_GFX90A:TG_SPLIT: 0
	.section	.text._ZN7rocprim17ROCPRIM_400000_NS6detail17trampoline_kernelINS0_14default_configENS1_38merge_sort_block_merge_config_selectorIiNS0_10empty_typeEEEZZNS1_27merge_sort_block_merge_implIS3_N6thrust23THRUST_200600_302600_NS6detail15normal_iteratorINS9_10device_ptrIiEEEEPS5_jNS1_19radix_merge_compareILb0ELb1EiNS0_19identity_decomposerEEEEE10hipError_tT0_T1_T2_jT3_P12ihipStream_tbPNSt15iterator_traitsISK_E10value_typeEPNSQ_ISL_E10value_typeEPSM_NS1_7vsmem_tEENKUlT_SK_SL_SM_E_clIPiSE_SF_SF_EESJ_SZ_SK_SL_SM_EUlSZ_E1_NS1_11comp_targetILNS1_3genE8ELNS1_11target_archE1030ELNS1_3gpuE2ELNS1_3repE0EEENS1_36merge_oddeven_config_static_selectorELNS0_4arch9wavefront6targetE1EEEvSL_,"axG",@progbits,_ZN7rocprim17ROCPRIM_400000_NS6detail17trampoline_kernelINS0_14default_configENS1_38merge_sort_block_merge_config_selectorIiNS0_10empty_typeEEEZZNS1_27merge_sort_block_merge_implIS3_N6thrust23THRUST_200600_302600_NS6detail15normal_iteratorINS9_10device_ptrIiEEEEPS5_jNS1_19radix_merge_compareILb0ELb1EiNS0_19identity_decomposerEEEEE10hipError_tT0_T1_T2_jT3_P12ihipStream_tbPNSt15iterator_traitsISK_E10value_typeEPNSQ_ISL_E10value_typeEPSM_NS1_7vsmem_tEENKUlT_SK_SL_SM_E_clIPiSE_SF_SF_EESJ_SZ_SK_SL_SM_EUlSZ_E1_NS1_11comp_targetILNS1_3genE8ELNS1_11target_archE1030ELNS1_3gpuE2ELNS1_3repE0EEENS1_36merge_oddeven_config_static_selectorELNS0_4arch9wavefront6targetE1EEEvSL_,comdat
	.protected	_ZN7rocprim17ROCPRIM_400000_NS6detail17trampoline_kernelINS0_14default_configENS1_38merge_sort_block_merge_config_selectorIiNS0_10empty_typeEEEZZNS1_27merge_sort_block_merge_implIS3_N6thrust23THRUST_200600_302600_NS6detail15normal_iteratorINS9_10device_ptrIiEEEEPS5_jNS1_19radix_merge_compareILb0ELb1EiNS0_19identity_decomposerEEEEE10hipError_tT0_T1_T2_jT3_P12ihipStream_tbPNSt15iterator_traitsISK_E10value_typeEPNSQ_ISL_E10value_typeEPSM_NS1_7vsmem_tEENKUlT_SK_SL_SM_E_clIPiSE_SF_SF_EESJ_SZ_SK_SL_SM_EUlSZ_E1_NS1_11comp_targetILNS1_3genE8ELNS1_11target_archE1030ELNS1_3gpuE2ELNS1_3repE0EEENS1_36merge_oddeven_config_static_selectorELNS0_4arch9wavefront6targetE1EEEvSL_ ; -- Begin function _ZN7rocprim17ROCPRIM_400000_NS6detail17trampoline_kernelINS0_14default_configENS1_38merge_sort_block_merge_config_selectorIiNS0_10empty_typeEEEZZNS1_27merge_sort_block_merge_implIS3_N6thrust23THRUST_200600_302600_NS6detail15normal_iteratorINS9_10device_ptrIiEEEEPS5_jNS1_19radix_merge_compareILb0ELb1EiNS0_19identity_decomposerEEEEE10hipError_tT0_T1_T2_jT3_P12ihipStream_tbPNSt15iterator_traitsISK_E10value_typeEPNSQ_ISL_E10value_typeEPSM_NS1_7vsmem_tEENKUlT_SK_SL_SM_E_clIPiSE_SF_SF_EESJ_SZ_SK_SL_SM_EUlSZ_E1_NS1_11comp_targetILNS1_3genE8ELNS1_11target_archE1030ELNS1_3gpuE2ELNS1_3repE0EEENS1_36merge_oddeven_config_static_selectorELNS0_4arch9wavefront6targetE1EEEvSL_
	.globl	_ZN7rocprim17ROCPRIM_400000_NS6detail17trampoline_kernelINS0_14default_configENS1_38merge_sort_block_merge_config_selectorIiNS0_10empty_typeEEEZZNS1_27merge_sort_block_merge_implIS3_N6thrust23THRUST_200600_302600_NS6detail15normal_iteratorINS9_10device_ptrIiEEEEPS5_jNS1_19radix_merge_compareILb0ELb1EiNS0_19identity_decomposerEEEEE10hipError_tT0_T1_T2_jT3_P12ihipStream_tbPNSt15iterator_traitsISK_E10value_typeEPNSQ_ISL_E10value_typeEPSM_NS1_7vsmem_tEENKUlT_SK_SL_SM_E_clIPiSE_SF_SF_EESJ_SZ_SK_SL_SM_EUlSZ_E1_NS1_11comp_targetILNS1_3genE8ELNS1_11target_archE1030ELNS1_3gpuE2ELNS1_3repE0EEENS1_36merge_oddeven_config_static_selectorELNS0_4arch9wavefront6targetE1EEEvSL_
	.p2align	8
	.type	_ZN7rocprim17ROCPRIM_400000_NS6detail17trampoline_kernelINS0_14default_configENS1_38merge_sort_block_merge_config_selectorIiNS0_10empty_typeEEEZZNS1_27merge_sort_block_merge_implIS3_N6thrust23THRUST_200600_302600_NS6detail15normal_iteratorINS9_10device_ptrIiEEEEPS5_jNS1_19radix_merge_compareILb0ELb1EiNS0_19identity_decomposerEEEEE10hipError_tT0_T1_T2_jT3_P12ihipStream_tbPNSt15iterator_traitsISK_E10value_typeEPNSQ_ISL_E10value_typeEPSM_NS1_7vsmem_tEENKUlT_SK_SL_SM_E_clIPiSE_SF_SF_EESJ_SZ_SK_SL_SM_EUlSZ_E1_NS1_11comp_targetILNS1_3genE8ELNS1_11target_archE1030ELNS1_3gpuE2ELNS1_3repE0EEENS1_36merge_oddeven_config_static_selectorELNS0_4arch9wavefront6targetE1EEEvSL_,@function
_ZN7rocprim17ROCPRIM_400000_NS6detail17trampoline_kernelINS0_14default_configENS1_38merge_sort_block_merge_config_selectorIiNS0_10empty_typeEEEZZNS1_27merge_sort_block_merge_implIS3_N6thrust23THRUST_200600_302600_NS6detail15normal_iteratorINS9_10device_ptrIiEEEEPS5_jNS1_19radix_merge_compareILb0ELb1EiNS0_19identity_decomposerEEEEE10hipError_tT0_T1_T2_jT3_P12ihipStream_tbPNSt15iterator_traitsISK_E10value_typeEPNSQ_ISL_E10value_typeEPSM_NS1_7vsmem_tEENKUlT_SK_SL_SM_E_clIPiSE_SF_SF_EESJ_SZ_SK_SL_SM_EUlSZ_E1_NS1_11comp_targetILNS1_3genE8ELNS1_11target_archE1030ELNS1_3gpuE2ELNS1_3repE0EEENS1_36merge_oddeven_config_static_selectorELNS0_4arch9wavefront6targetE1EEEvSL_: ; @_ZN7rocprim17ROCPRIM_400000_NS6detail17trampoline_kernelINS0_14default_configENS1_38merge_sort_block_merge_config_selectorIiNS0_10empty_typeEEEZZNS1_27merge_sort_block_merge_implIS3_N6thrust23THRUST_200600_302600_NS6detail15normal_iteratorINS9_10device_ptrIiEEEEPS5_jNS1_19radix_merge_compareILb0ELb1EiNS0_19identity_decomposerEEEEE10hipError_tT0_T1_T2_jT3_P12ihipStream_tbPNSt15iterator_traitsISK_E10value_typeEPNSQ_ISL_E10value_typeEPSM_NS1_7vsmem_tEENKUlT_SK_SL_SM_E_clIPiSE_SF_SF_EESJ_SZ_SK_SL_SM_EUlSZ_E1_NS1_11comp_targetILNS1_3genE8ELNS1_11target_archE1030ELNS1_3gpuE2ELNS1_3repE0EEENS1_36merge_oddeven_config_static_selectorELNS0_4arch9wavefront6targetE1EEEvSL_
; %bb.0:
	.section	.rodata,"a",@progbits
	.p2align	6, 0x0
	.amdhsa_kernel _ZN7rocprim17ROCPRIM_400000_NS6detail17trampoline_kernelINS0_14default_configENS1_38merge_sort_block_merge_config_selectorIiNS0_10empty_typeEEEZZNS1_27merge_sort_block_merge_implIS3_N6thrust23THRUST_200600_302600_NS6detail15normal_iteratorINS9_10device_ptrIiEEEEPS5_jNS1_19radix_merge_compareILb0ELb1EiNS0_19identity_decomposerEEEEE10hipError_tT0_T1_T2_jT3_P12ihipStream_tbPNSt15iterator_traitsISK_E10value_typeEPNSQ_ISL_E10value_typeEPSM_NS1_7vsmem_tEENKUlT_SK_SL_SM_E_clIPiSE_SF_SF_EESJ_SZ_SK_SL_SM_EUlSZ_E1_NS1_11comp_targetILNS1_3genE8ELNS1_11target_archE1030ELNS1_3gpuE2ELNS1_3repE0EEENS1_36merge_oddeven_config_static_selectorELNS0_4arch9wavefront6targetE1EEEvSL_
		.amdhsa_group_segment_fixed_size 0
		.amdhsa_private_segment_fixed_size 0
		.amdhsa_kernarg_size 48
		.amdhsa_user_sgpr_count 2
		.amdhsa_user_sgpr_dispatch_ptr 0
		.amdhsa_user_sgpr_queue_ptr 0
		.amdhsa_user_sgpr_kernarg_segment_ptr 1
		.amdhsa_user_sgpr_dispatch_id 0
		.amdhsa_user_sgpr_kernarg_preload_length 0
		.amdhsa_user_sgpr_kernarg_preload_offset 0
		.amdhsa_user_sgpr_private_segment_size 0
		.amdhsa_uses_dynamic_stack 0
		.amdhsa_enable_private_segment 0
		.amdhsa_system_sgpr_workgroup_id_x 1
		.amdhsa_system_sgpr_workgroup_id_y 0
		.amdhsa_system_sgpr_workgroup_id_z 0
		.amdhsa_system_sgpr_workgroup_info 0
		.amdhsa_system_vgpr_workitem_id 0
		.amdhsa_next_free_vgpr 1
		.amdhsa_next_free_sgpr 0
		.amdhsa_accum_offset 4
		.amdhsa_reserve_vcc 0
		.amdhsa_float_round_mode_32 0
		.amdhsa_float_round_mode_16_64 0
		.amdhsa_float_denorm_mode_32 3
		.amdhsa_float_denorm_mode_16_64 3
		.amdhsa_dx10_clamp 1
		.amdhsa_ieee_mode 1
		.amdhsa_fp16_overflow 0
		.amdhsa_tg_split 0
		.amdhsa_exception_fp_ieee_invalid_op 0
		.amdhsa_exception_fp_denorm_src 0
		.amdhsa_exception_fp_ieee_div_zero 0
		.amdhsa_exception_fp_ieee_overflow 0
		.amdhsa_exception_fp_ieee_underflow 0
		.amdhsa_exception_fp_ieee_inexact 0
		.amdhsa_exception_int_div_zero 0
	.end_amdhsa_kernel
	.section	.text._ZN7rocprim17ROCPRIM_400000_NS6detail17trampoline_kernelINS0_14default_configENS1_38merge_sort_block_merge_config_selectorIiNS0_10empty_typeEEEZZNS1_27merge_sort_block_merge_implIS3_N6thrust23THRUST_200600_302600_NS6detail15normal_iteratorINS9_10device_ptrIiEEEEPS5_jNS1_19radix_merge_compareILb0ELb1EiNS0_19identity_decomposerEEEEE10hipError_tT0_T1_T2_jT3_P12ihipStream_tbPNSt15iterator_traitsISK_E10value_typeEPNSQ_ISL_E10value_typeEPSM_NS1_7vsmem_tEENKUlT_SK_SL_SM_E_clIPiSE_SF_SF_EESJ_SZ_SK_SL_SM_EUlSZ_E1_NS1_11comp_targetILNS1_3genE8ELNS1_11target_archE1030ELNS1_3gpuE2ELNS1_3repE0EEENS1_36merge_oddeven_config_static_selectorELNS0_4arch9wavefront6targetE1EEEvSL_,"axG",@progbits,_ZN7rocprim17ROCPRIM_400000_NS6detail17trampoline_kernelINS0_14default_configENS1_38merge_sort_block_merge_config_selectorIiNS0_10empty_typeEEEZZNS1_27merge_sort_block_merge_implIS3_N6thrust23THRUST_200600_302600_NS6detail15normal_iteratorINS9_10device_ptrIiEEEEPS5_jNS1_19radix_merge_compareILb0ELb1EiNS0_19identity_decomposerEEEEE10hipError_tT0_T1_T2_jT3_P12ihipStream_tbPNSt15iterator_traitsISK_E10value_typeEPNSQ_ISL_E10value_typeEPSM_NS1_7vsmem_tEENKUlT_SK_SL_SM_E_clIPiSE_SF_SF_EESJ_SZ_SK_SL_SM_EUlSZ_E1_NS1_11comp_targetILNS1_3genE8ELNS1_11target_archE1030ELNS1_3gpuE2ELNS1_3repE0EEENS1_36merge_oddeven_config_static_selectorELNS0_4arch9wavefront6targetE1EEEvSL_,comdat
.Lfunc_end1694:
	.size	_ZN7rocprim17ROCPRIM_400000_NS6detail17trampoline_kernelINS0_14default_configENS1_38merge_sort_block_merge_config_selectorIiNS0_10empty_typeEEEZZNS1_27merge_sort_block_merge_implIS3_N6thrust23THRUST_200600_302600_NS6detail15normal_iteratorINS9_10device_ptrIiEEEEPS5_jNS1_19radix_merge_compareILb0ELb1EiNS0_19identity_decomposerEEEEE10hipError_tT0_T1_T2_jT3_P12ihipStream_tbPNSt15iterator_traitsISK_E10value_typeEPNSQ_ISL_E10value_typeEPSM_NS1_7vsmem_tEENKUlT_SK_SL_SM_E_clIPiSE_SF_SF_EESJ_SZ_SK_SL_SM_EUlSZ_E1_NS1_11comp_targetILNS1_3genE8ELNS1_11target_archE1030ELNS1_3gpuE2ELNS1_3repE0EEENS1_36merge_oddeven_config_static_selectorELNS0_4arch9wavefront6targetE1EEEvSL_, .Lfunc_end1694-_ZN7rocprim17ROCPRIM_400000_NS6detail17trampoline_kernelINS0_14default_configENS1_38merge_sort_block_merge_config_selectorIiNS0_10empty_typeEEEZZNS1_27merge_sort_block_merge_implIS3_N6thrust23THRUST_200600_302600_NS6detail15normal_iteratorINS9_10device_ptrIiEEEEPS5_jNS1_19radix_merge_compareILb0ELb1EiNS0_19identity_decomposerEEEEE10hipError_tT0_T1_T2_jT3_P12ihipStream_tbPNSt15iterator_traitsISK_E10value_typeEPNSQ_ISL_E10value_typeEPSM_NS1_7vsmem_tEENKUlT_SK_SL_SM_E_clIPiSE_SF_SF_EESJ_SZ_SK_SL_SM_EUlSZ_E1_NS1_11comp_targetILNS1_3genE8ELNS1_11target_archE1030ELNS1_3gpuE2ELNS1_3repE0EEENS1_36merge_oddeven_config_static_selectorELNS0_4arch9wavefront6targetE1EEEvSL_
                                        ; -- End function
	.section	.AMDGPU.csdata,"",@progbits
; Kernel info:
; codeLenInByte = 0
; NumSgprs: 6
; NumVgprs: 0
; NumAgprs: 0
; TotalNumVgprs: 0
; ScratchSize: 0
; MemoryBound: 0
; FloatMode: 240
; IeeeMode: 1
; LDSByteSize: 0 bytes/workgroup (compile time only)
; SGPRBlocks: 0
; VGPRBlocks: 0
; NumSGPRsForWavesPerEU: 6
; NumVGPRsForWavesPerEU: 1
; AccumOffset: 4
; Occupancy: 8
; WaveLimiterHint : 0
; COMPUTE_PGM_RSRC2:SCRATCH_EN: 0
; COMPUTE_PGM_RSRC2:USER_SGPR: 2
; COMPUTE_PGM_RSRC2:TRAP_HANDLER: 0
; COMPUTE_PGM_RSRC2:TGID_X_EN: 1
; COMPUTE_PGM_RSRC2:TGID_Y_EN: 0
; COMPUTE_PGM_RSRC2:TGID_Z_EN: 0
; COMPUTE_PGM_RSRC2:TIDIG_COMP_CNT: 0
; COMPUTE_PGM_RSRC3_GFX90A:ACCUM_OFFSET: 0
; COMPUTE_PGM_RSRC3_GFX90A:TG_SPLIT: 0
	.section	.text._ZN7rocprim17ROCPRIM_400000_NS6detail17trampoline_kernelINS0_14default_configENS1_38merge_sort_block_merge_config_selectorIiNS0_10empty_typeEEEZZNS1_27merge_sort_block_merge_implIS3_N6thrust23THRUST_200600_302600_NS6detail15normal_iteratorINS9_10device_ptrIiEEEEPS5_jNS1_19radix_merge_compareILb0ELb1EiNS0_19identity_decomposerEEEEE10hipError_tT0_T1_T2_jT3_P12ihipStream_tbPNSt15iterator_traitsISK_E10value_typeEPNSQ_ISL_E10value_typeEPSM_NS1_7vsmem_tEENKUlT_SK_SL_SM_E_clISE_PiSF_SF_EESJ_SZ_SK_SL_SM_EUlSZ_E_NS1_11comp_targetILNS1_3genE0ELNS1_11target_archE4294967295ELNS1_3gpuE0ELNS1_3repE0EEENS1_48merge_mergepath_partition_config_static_selectorELNS0_4arch9wavefront6targetE1EEEvSL_,"axG",@progbits,_ZN7rocprim17ROCPRIM_400000_NS6detail17trampoline_kernelINS0_14default_configENS1_38merge_sort_block_merge_config_selectorIiNS0_10empty_typeEEEZZNS1_27merge_sort_block_merge_implIS3_N6thrust23THRUST_200600_302600_NS6detail15normal_iteratorINS9_10device_ptrIiEEEEPS5_jNS1_19radix_merge_compareILb0ELb1EiNS0_19identity_decomposerEEEEE10hipError_tT0_T1_T2_jT3_P12ihipStream_tbPNSt15iterator_traitsISK_E10value_typeEPNSQ_ISL_E10value_typeEPSM_NS1_7vsmem_tEENKUlT_SK_SL_SM_E_clISE_PiSF_SF_EESJ_SZ_SK_SL_SM_EUlSZ_E_NS1_11comp_targetILNS1_3genE0ELNS1_11target_archE4294967295ELNS1_3gpuE0ELNS1_3repE0EEENS1_48merge_mergepath_partition_config_static_selectorELNS0_4arch9wavefront6targetE1EEEvSL_,comdat
	.protected	_ZN7rocprim17ROCPRIM_400000_NS6detail17trampoline_kernelINS0_14default_configENS1_38merge_sort_block_merge_config_selectorIiNS0_10empty_typeEEEZZNS1_27merge_sort_block_merge_implIS3_N6thrust23THRUST_200600_302600_NS6detail15normal_iteratorINS9_10device_ptrIiEEEEPS5_jNS1_19radix_merge_compareILb0ELb1EiNS0_19identity_decomposerEEEEE10hipError_tT0_T1_T2_jT3_P12ihipStream_tbPNSt15iterator_traitsISK_E10value_typeEPNSQ_ISL_E10value_typeEPSM_NS1_7vsmem_tEENKUlT_SK_SL_SM_E_clISE_PiSF_SF_EESJ_SZ_SK_SL_SM_EUlSZ_E_NS1_11comp_targetILNS1_3genE0ELNS1_11target_archE4294967295ELNS1_3gpuE0ELNS1_3repE0EEENS1_48merge_mergepath_partition_config_static_selectorELNS0_4arch9wavefront6targetE1EEEvSL_ ; -- Begin function _ZN7rocprim17ROCPRIM_400000_NS6detail17trampoline_kernelINS0_14default_configENS1_38merge_sort_block_merge_config_selectorIiNS0_10empty_typeEEEZZNS1_27merge_sort_block_merge_implIS3_N6thrust23THRUST_200600_302600_NS6detail15normal_iteratorINS9_10device_ptrIiEEEEPS5_jNS1_19radix_merge_compareILb0ELb1EiNS0_19identity_decomposerEEEEE10hipError_tT0_T1_T2_jT3_P12ihipStream_tbPNSt15iterator_traitsISK_E10value_typeEPNSQ_ISL_E10value_typeEPSM_NS1_7vsmem_tEENKUlT_SK_SL_SM_E_clISE_PiSF_SF_EESJ_SZ_SK_SL_SM_EUlSZ_E_NS1_11comp_targetILNS1_3genE0ELNS1_11target_archE4294967295ELNS1_3gpuE0ELNS1_3repE0EEENS1_48merge_mergepath_partition_config_static_selectorELNS0_4arch9wavefront6targetE1EEEvSL_
	.globl	_ZN7rocprim17ROCPRIM_400000_NS6detail17trampoline_kernelINS0_14default_configENS1_38merge_sort_block_merge_config_selectorIiNS0_10empty_typeEEEZZNS1_27merge_sort_block_merge_implIS3_N6thrust23THRUST_200600_302600_NS6detail15normal_iteratorINS9_10device_ptrIiEEEEPS5_jNS1_19radix_merge_compareILb0ELb1EiNS0_19identity_decomposerEEEEE10hipError_tT0_T1_T2_jT3_P12ihipStream_tbPNSt15iterator_traitsISK_E10value_typeEPNSQ_ISL_E10value_typeEPSM_NS1_7vsmem_tEENKUlT_SK_SL_SM_E_clISE_PiSF_SF_EESJ_SZ_SK_SL_SM_EUlSZ_E_NS1_11comp_targetILNS1_3genE0ELNS1_11target_archE4294967295ELNS1_3gpuE0ELNS1_3repE0EEENS1_48merge_mergepath_partition_config_static_selectorELNS0_4arch9wavefront6targetE1EEEvSL_
	.p2align	8
	.type	_ZN7rocprim17ROCPRIM_400000_NS6detail17trampoline_kernelINS0_14default_configENS1_38merge_sort_block_merge_config_selectorIiNS0_10empty_typeEEEZZNS1_27merge_sort_block_merge_implIS3_N6thrust23THRUST_200600_302600_NS6detail15normal_iteratorINS9_10device_ptrIiEEEEPS5_jNS1_19radix_merge_compareILb0ELb1EiNS0_19identity_decomposerEEEEE10hipError_tT0_T1_T2_jT3_P12ihipStream_tbPNSt15iterator_traitsISK_E10value_typeEPNSQ_ISL_E10value_typeEPSM_NS1_7vsmem_tEENKUlT_SK_SL_SM_E_clISE_PiSF_SF_EESJ_SZ_SK_SL_SM_EUlSZ_E_NS1_11comp_targetILNS1_3genE0ELNS1_11target_archE4294967295ELNS1_3gpuE0ELNS1_3repE0EEENS1_48merge_mergepath_partition_config_static_selectorELNS0_4arch9wavefront6targetE1EEEvSL_,@function
_ZN7rocprim17ROCPRIM_400000_NS6detail17trampoline_kernelINS0_14default_configENS1_38merge_sort_block_merge_config_selectorIiNS0_10empty_typeEEEZZNS1_27merge_sort_block_merge_implIS3_N6thrust23THRUST_200600_302600_NS6detail15normal_iteratorINS9_10device_ptrIiEEEEPS5_jNS1_19radix_merge_compareILb0ELb1EiNS0_19identity_decomposerEEEEE10hipError_tT0_T1_T2_jT3_P12ihipStream_tbPNSt15iterator_traitsISK_E10value_typeEPNSQ_ISL_E10value_typeEPSM_NS1_7vsmem_tEENKUlT_SK_SL_SM_E_clISE_PiSF_SF_EESJ_SZ_SK_SL_SM_EUlSZ_E_NS1_11comp_targetILNS1_3genE0ELNS1_11target_archE4294967295ELNS1_3gpuE0ELNS1_3repE0EEENS1_48merge_mergepath_partition_config_static_selectorELNS0_4arch9wavefront6targetE1EEEvSL_: ; @_ZN7rocprim17ROCPRIM_400000_NS6detail17trampoline_kernelINS0_14default_configENS1_38merge_sort_block_merge_config_selectorIiNS0_10empty_typeEEEZZNS1_27merge_sort_block_merge_implIS3_N6thrust23THRUST_200600_302600_NS6detail15normal_iteratorINS9_10device_ptrIiEEEEPS5_jNS1_19radix_merge_compareILb0ELb1EiNS0_19identity_decomposerEEEEE10hipError_tT0_T1_T2_jT3_P12ihipStream_tbPNSt15iterator_traitsISK_E10value_typeEPNSQ_ISL_E10value_typeEPSM_NS1_7vsmem_tEENKUlT_SK_SL_SM_E_clISE_PiSF_SF_EESJ_SZ_SK_SL_SM_EUlSZ_E_NS1_11comp_targetILNS1_3genE0ELNS1_11target_archE4294967295ELNS1_3gpuE0ELNS1_3repE0EEENS1_48merge_mergepath_partition_config_static_selectorELNS0_4arch9wavefront6targetE1EEEvSL_
; %bb.0:
	.section	.rodata,"a",@progbits
	.p2align	6, 0x0
	.amdhsa_kernel _ZN7rocprim17ROCPRIM_400000_NS6detail17trampoline_kernelINS0_14default_configENS1_38merge_sort_block_merge_config_selectorIiNS0_10empty_typeEEEZZNS1_27merge_sort_block_merge_implIS3_N6thrust23THRUST_200600_302600_NS6detail15normal_iteratorINS9_10device_ptrIiEEEEPS5_jNS1_19radix_merge_compareILb0ELb1EiNS0_19identity_decomposerEEEEE10hipError_tT0_T1_T2_jT3_P12ihipStream_tbPNSt15iterator_traitsISK_E10value_typeEPNSQ_ISL_E10value_typeEPSM_NS1_7vsmem_tEENKUlT_SK_SL_SM_E_clISE_PiSF_SF_EESJ_SZ_SK_SL_SM_EUlSZ_E_NS1_11comp_targetILNS1_3genE0ELNS1_11target_archE4294967295ELNS1_3gpuE0ELNS1_3repE0EEENS1_48merge_mergepath_partition_config_static_selectorELNS0_4arch9wavefront6targetE1EEEvSL_
		.amdhsa_group_segment_fixed_size 0
		.amdhsa_private_segment_fixed_size 0
		.amdhsa_kernarg_size 40
		.amdhsa_user_sgpr_count 2
		.amdhsa_user_sgpr_dispatch_ptr 0
		.amdhsa_user_sgpr_queue_ptr 0
		.amdhsa_user_sgpr_kernarg_segment_ptr 1
		.amdhsa_user_sgpr_dispatch_id 0
		.amdhsa_user_sgpr_kernarg_preload_length 0
		.amdhsa_user_sgpr_kernarg_preload_offset 0
		.amdhsa_user_sgpr_private_segment_size 0
		.amdhsa_uses_dynamic_stack 0
		.amdhsa_enable_private_segment 0
		.amdhsa_system_sgpr_workgroup_id_x 1
		.amdhsa_system_sgpr_workgroup_id_y 0
		.amdhsa_system_sgpr_workgroup_id_z 0
		.amdhsa_system_sgpr_workgroup_info 0
		.amdhsa_system_vgpr_workitem_id 0
		.amdhsa_next_free_vgpr 1
		.amdhsa_next_free_sgpr 0
		.amdhsa_accum_offset 4
		.amdhsa_reserve_vcc 0
		.amdhsa_float_round_mode_32 0
		.amdhsa_float_round_mode_16_64 0
		.amdhsa_float_denorm_mode_32 3
		.amdhsa_float_denorm_mode_16_64 3
		.amdhsa_dx10_clamp 1
		.amdhsa_ieee_mode 1
		.amdhsa_fp16_overflow 0
		.amdhsa_tg_split 0
		.amdhsa_exception_fp_ieee_invalid_op 0
		.amdhsa_exception_fp_denorm_src 0
		.amdhsa_exception_fp_ieee_div_zero 0
		.amdhsa_exception_fp_ieee_overflow 0
		.amdhsa_exception_fp_ieee_underflow 0
		.amdhsa_exception_fp_ieee_inexact 0
		.amdhsa_exception_int_div_zero 0
	.end_amdhsa_kernel
	.section	.text._ZN7rocprim17ROCPRIM_400000_NS6detail17trampoline_kernelINS0_14default_configENS1_38merge_sort_block_merge_config_selectorIiNS0_10empty_typeEEEZZNS1_27merge_sort_block_merge_implIS3_N6thrust23THRUST_200600_302600_NS6detail15normal_iteratorINS9_10device_ptrIiEEEEPS5_jNS1_19radix_merge_compareILb0ELb1EiNS0_19identity_decomposerEEEEE10hipError_tT0_T1_T2_jT3_P12ihipStream_tbPNSt15iterator_traitsISK_E10value_typeEPNSQ_ISL_E10value_typeEPSM_NS1_7vsmem_tEENKUlT_SK_SL_SM_E_clISE_PiSF_SF_EESJ_SZ_SK_SL_SM_EUlSZ_E_NS1_11comp_targetILNS1_3genE0ELNS1_11target_archE4294967295ELNS1_3gpuE0ELNS1_3repE0EEENS1_48merge_mergepath_partition_config_static_selectorELNS0_4arch9wavefront6targetE1EEEvSL_,"axG",@progbits,_ZN7rocprim17ROCPRIM_400000_NS6detail17trampoline_kernelINS0_14default_configENS1_38merge_sort_block_merge_config_selectorIiNS0_10empty_typeEEEZZNS1_27merge_sort_block_merge_implIS3_N6thrust23THRUST_200600_302600_NS6detail15normal_iteratorINS9_10device_ptrIiEEEEPS5_jNS1_19radix_merge_compareILb0ELb1EiNS0_19identity_decomposerEEEEE10hipError_tT0_T1_T2_jT3_P12ihipStream_tbPNSt15iterator_traitsISK_E10value_typeEPNSQ_ISL_E10value_typeEPSM_NS1_7vsmem_tEENKUlT_SK_SL_SM_E_clISE_PiSF_SF_EESJ_SZ_SK_SL_SM_EUlSZ_E_NS1_11comp_targetILNS1_3genE0ELNS1_11target_archE4294967295ELNS1_3gpuE0ELNS1_3repE0EEENS1_48merge_mergepath_partition_config_static_selectorELNS0_4arch9wavefront6targetE1EEEvSL_,comdat
.Lfunc_end1695:
	.size	_ZN7rocprim17ROCPRIM_400000_NS6detail17trampoline_kernelINS0_14default_configENS1_38merge_sort_block_merge_config_selectorIiNS0_10empty_typeEEEZZNS1_27merge_sort_block_merge_implIS3_N6thrust23THRUST_200600_302600_NS6detail15normal_iteratorINS9_10device_ptrIiEEEEPS5_jNS1_19radix_merge_compareILb0ELb1EiNS0_19identity_decomposerEEEEE10hipError_tT0_T1_T2_jT3_P12ihipStream_tbPNSt15iterator_traitsISK_E10value_typeEPNSQ_ISL_E10value_typeEPSM_NS1_7vsmem_tEENKUlT_SK_SL_SM_E_clISE_PiSF_SF_EESJ_SZ_SK_SL_SM_EUlSZ_E_NS1_11comp_targetILNS1_3genE0ELNS1_11target_archE4294967295ELNS1_3gpuE0ELNS1_3repE0EEENS1_48merge_mergepath_partition_config_static_selectorELNS0_4arch9wavefront6targetE1EEEvSL_, .Lfunc_end1695-_ZN7rocprim17ROCPRIM_400000_NS6detail17trampoline_kernelINS0_14default_configENS1_38merge_sort_block_merge_config_selectorIiNS0_10empty_typeEEEZZNS1_27merge_sort_block_merge_implIS3_N6thrust23THRUST_200600_302600_NS6detail15normal_iteratorINS9_10device_ptrIiEEEEPS5_jNS1_19radix_merge_compareILb0ELb1EiNS0_19identity_decomposerEEEEE10hipError_tT0_T1_T2_jT3_P12ihipStream_tbPNSt15iterator_traitsISK_E10value_typeEPNSQ_ISL_E10value_typeEPSM_NS1_7vsmem_tEENKUlT_SK_SL_SM_E_clISE_PiSF_SF_EESJ_SZ_SK_SL_SM_EUlSZ_E_NS1_11comp_targetILNS1_3genE0ELNS1_11target_archE4294967295ELNS1_3gpuE0ELNS1_3repE0EEENS1_48merge_mergepath_partition_config_static_selectorELNS0_4arch9wavefront6targetE1EEEvSL_
                                        ; -- End function
	.section	.AMDGPU.csdata,"",@progbits
; Kernel info:
; codeLenInByte = 0
; NumSgprs: 6
; NumVgprs: 0
; NumAgprs: 0
; TotalNumVgprs: 0
; ScratchSize: 0
; MemoryBound: 0
; FloatMode: 240
; IeeeMode: 1
; LDSByteSize: 0 bytes/workgroup (compile time only)
; SGPRBlocks: 0
; VGPRBlocks: 0
; NumSGPRsForWavesPerEU: 6
; NumVGPRsForWavesPerEU: 1
; AccumOffset: 4
; Occupancy: 8
; WaveLimiterHint : 0
; COMPUTE_PGM_RSRC2:SCRATCH_EN: 0
; COMPUTE_PGM_RSRC2:USER_SGPR: 2
; COMPUTE_PGM_RSRC2:TRAP_HANDLER: 0
; COMPUTE_PGM_RSRC2:TGID_X_EN: 1
; COMPUTE_PGM_RSRC2:TGID_Y_EN: 0
; COMPUTE_PGM_RSRC2:TGID_Z_EN: 0
; COMPUTE_PGM_RSRC2:TIDIG_COMP_CNT: 0
; COMPUTE_PGM_RSRC3_GFX90A:ACCUM_OFFSET: 0
; COMPUTE_PGM_RSRC3_GFX90A:TG_SPLIT: 0
	.section	.text._ZN7rocprim17ROCPRIM_400000_NS6detail17trampoline_kernelINS0_14default_configENS1_38merge_sort_block_merge_config_selectorIiNS0_10empty_typeEEEZZNS1_27merge_sort_block_merge_implIS3_N6thrust23THRUST_200600_302600_NS6detail15normal_iteratorINS9_10device_ptrIiEEEEPS5_jNS1_19radix_merge_compareILb0ELb1EiNS0_19identity_decomposerEEEEE10hipError_tT0_T1_T2_jT3_P12ihipStream_tbPNSt15iterator_traitsISK_E10value_typeEPNSQ_ISL_E10value_typeEPSM_NS1_7vsmem_tEENKUlT_SK_SL_SM_E_clISE_PiSF_SF_EESJ_SZ_SK_SL_SM_EUlSZ_E_NS1_11comp_targetILNS1_3genE10ELNS1_11target_archE1201ELNS1_3gpuE5ELNS1_3repE0EEENS1_48merge_mergepath_partition_config_static_selectorELNS0_4arch9wavefront6targetE1EEEvSL_,"axG",@progbits,_ZN7rocprim17ROCPRIM_400000_NS6detail17trampoline_kernelINS0_14default_configENS1_38merge_sort_block_merge_config_selectorIiNS0_10empty_typeEEEZZNS1_27merge_sort_block_merge_implIS3_N6thrust23THRUST_200600_302600_NS6detail15normal_iteratorINS9_10device_ptrIiEEEEPS5_jNS1_19radix_merge_compareILb0ELb1EiNS0_19identity_decomposerEEEEE10hipError_tT0_T1_T2_jT3_P12ihipStream_tbPNSt15iterator_traitsISK_E10value_typeEPNSQ_ISL_E10value_typeEPSM_NS1_7vsmem_tEENKUlT_SK_SL_SM_E_clISE_PiSF_SF_EESJ_SZ_SK_SL_SM_EUlSZ_E_NS1_11comp_targetILNS1_3genE10ELNS1_11target_archE1201ELNS1_3gpuE5ELNS1_3repE0EEENS1_48merge_mergepath_partition_config_static_selectorELNS0_4arch9wavefront6targetE1EEEvSL_,comdat
	.protected	_ZN7rocprim17ROCPRIM_400000_NS6detail17trampoline_kernelINS0_14default_configENS1_38merge_sort_block_merge_config_selectorIiNS0_10empty_typeEEEZZNS1_27merge_sort_block_merge_implIS3_N6thrust23THRUST_200600_302600_NS6detail15normal_iteratorINS9_10device_ptrIiEEEEPS5_jNS1_19radix_merge_compareILb0ELb1EiNS0_19identity_decomposerEEEEE10hipError_tT0_T1_T2_jT3_P12ihipStream_tbPNSt15iterator_traitsISK_E10value_typeEPNSQ_ISL_E10value_typeEPSM_NS1_7vsmem_tEENKUlT_SK_SL_SM_E_clISE_PiSF_SF_EESJ_SZ_SK_SL_SM_EUlSZ_E_NS1_11comp_targetILNS1_3genE10ELNS1_11target_archE1201ELNS1_3gpuE5ELNS1_3repE0EEENS1_48merge_mergepath_partition_config_static_selectorELNS0_4arch9wavefront6targetE1EEEvSL_ ; -- Begin function _ZN7rocprim17ROCPRIM_400000_NS6detail17trampoline_kernelINS0_14default_configENS1_38merge_sort_block_merge_config_selectorIiNS0_10empty_typeEEEZZNS1_27merge_sort_block_merge_implIS3_N6thrust23THRUST_200600_302600_NS6detail15normal_iteratorINS9_10device_ptrIiEEEEPS5_jNS1_19radix_merge_compareILb0ELb1EiNS0_19identity_decomposerEEEEE10hipError_tT0_T1_T2_jT3_P12ihipStream_tbPNSt15iterator_traitsISK_E10value_typeEPNSQ_ISL_E10value_typeEPSM_NS1_7vsmem_tEENKUlT_SK_SL_SM_E_clISE_PiSF_SF_EESJ_SZ_SK_SL_SM_EUlSZ_E_NS1_11comp_targetILNS1_3genE10ELNS1_11target_archE1201ELNS1_3gpuE5ELNS1_3repE0EEENS1_48merge_mergepath_partition_config_static_selectorELNS0_4arch9wavefront6targetE1EEEvSL_
	.globl	_ZN7rocprim17ROCPRIM_400000_NS6detail17trampoline_kernelINS0_14default_configENS1_38merge_sort_block_merge_config_selectorIiNS0_10empty_typeEEEZZNS1_27merge_sort_block_merge_implIS3_N6thrust23THRUST_200600_302600_NS6detail15normal_iteratorINS9_10device_ptrIiEEEEPS5_jNS1_19radix_merge_compareILb0ELb1EiNS0_19identity_decomposerEEEEE10hipError_tT0_T1_T2_jT3_P12ihipStream_tbPNSt15iterator_traitsISK_E10value_typeEPNSQ_ISL_E10value_typeEPSM_NS1_7vsmem_tEENKUlT_SK_SL_SM_E_clISE_PiSF_SF_EESJ_SZ_SK_SL_SM_EUlSZ_E_NS1_11comp_targetILNS1_3genE10ELNS1_11target_archE1201ELNS1_3gpuE5ELNS1_3repE0EEENS1_48merge_mergepath_partition_config_static_selectorELNS0_4arch9wavefront6targetE1EEEvSL_
	.p2align	8
	.type	_ZN7rocprim17ROCPRIM_400000_NS6detail17trampoline_kernelINS0_14default_configENS1_38merge_sort_block_merge_config_selectorIiNS0_10empty_typeEEEZZNS1_27merge_sort_block_merge_implIS3_N6thrust23THRUST_200600_302600_NS6detail15normal_iteratorINS9_10device_ptrIiEEEEPS5_jNS1_19radix_merge_compareILb0ELb1EiNS0_19identity_decomposerEEEEE10hipError_tT0_T1_T2_jT3_P12ihipStream_tbPNSt15iterator_traitsISK_E10value_typeEPNSQ_ISL_E10value_typeEPSM_NS1_7vsmem_tEENKUlT_SK_SL_SM_E_clISE_PiSF_SF_EESJ_SZ_SK_SL_SM_EUlSZ_E_NS1_11comp_targetILNS1_3genE10ELNS1_11target_archE1201ELNS1_3gpuE5ELNS1_3repE0EEENS1_48merge_mergepath_partition_config_static_selectorELNS0_4arch9wavefront6targetE1EEEvSL_,@function
_ZN7rocprim17ROCPRIM_400000_NS6detail17trampoline_kernelINS0_14default_configENS1_38merge_sort_block_merge_config_selectorIiNS0_10empty_typeEEEZZNS1_27merge_sort_block_merge_implIS3_N6thrust23THRUST_200600_302600_NS6detail15normal_iteratorINS9_10device_ptrIiEEEEPS5_jNS1_19radix_merge_compareILb0ELb1EiNS0_19identity_decomposerEEEEE10hipError_tT0_T1_T2_jT3_P12ihipStream_tbPNSt15iterator_traitsISK_E10value_typeEPNSQ_ISL_E10value_typeEPSM_NS1_7vsmem_tEENKUlT_SK_SL_SM_E_clISE_PiSF_SF_EESJ_SZ_SK_SL_SM_EUlSZ_E_NS1_11comp_targetILNS1_3genE10ELNS1_11target_archE1201ELNS1_3gpuE5ELNS1_3repE0EEENS1_48merge_mergepath_partition_config_static_selectorELNS0_4arch9wavefront6targetE1EEEvSL_: ; @_ZN7rocprim17ROCPRIM_400000_NS6detail17trampoline_kernelINS0_14default_configENS1_38merge_sort_block_merge_config_selectorIiNS0_10empty_typeEEEZZNS1_27merge_sort_block_merge_implIS3_N6thrust23THRUST_200600_302600_NS6detail15normal_iteratorINS9_10device_ptrIiEEEEPS5_jNS1_19radix_merge_compareILb0ELb1EiNS0_19identity_decomposerEEEEE10hipError_tT0_T1_T2_jT3_P12ihipStream_tbPNSt15iterator_traitsISK_E10value_typeEPNSQ_ISL_E10value_typeEPSM_NS1_7vsmem_tEENKUlT_SK_SL_SM_E_clISE_PiSF_SF_EESJ_SZ_SK_SL_SM_EUlSZ_E_NS1_11comp_targetILNS1_3genE10ELNS1_11target_archE1201ELNS1_3gpuE5ELNS1_3repE0EEENS1_48merge_mergepath_partition_config_static_selectorELNS0_4arch9wavefront6targetE1EEEvSL_
; %bb.0:
	.section	.rodata,"a",@progbits
	.p2align	6, 0x0
	.amdhsa_kernel _ZN7rocprim17ROCPRIM_400000_NS6detail17trampoline_kernelINS0_14default_configENS1_38merge_sort_block_merge_config_selectorIiNS0_10empty_typeEEEZZNS1_27merge_sort_block_merge_implIS3_N6thrust23THRUST_200600_302600_NS6detail15normal_iteratorINS9_10device_ptrIiEEEEPS5_jNS1_19radix_merge_compareILb0ELb1EiNS0_19identity_decomposerEEEEE10hipError_tT0_T1_T2_jT3_P12ihipStream_tbPNSt15iterator_traitsISK_E10value_typeEPNSQ_ISL_E10value_typeEPSM_NS1_7vsmem_tEENKUlT_SK_SL_SM_E_clISE_PiSF_SF_EESJ_SZ_SK_SL_SM_EUlSZ_E_NS1_11comp_targetILNS1_3genE10ELNS1_11target_archE1201ELNS1_3gpuE5ELNS1_3repE0EEENS1_48merge_mergepath_partition_config_static_selectorELNS0_4arch9wavefront6targetE1EEEvSL_
		.amdhsa_group_segment_fixed_size 0
		.amdhsa_private_segment_fixed_size 0
		.amdhsa_kernarg_size 40
		.amdhsa_user_sgpr_count 2
		.amdhsa_user_sgpr_dispatch_ptr 0
		.amdhsa_user_sgpr_queue_ptr 0
		.amdhsa_user_sgpr_kernarg_segment_ptr 1
		.amdhsa_user_sgpr_dispatch_id 0
		.amdhsa_user_sgpr_kernarg_preload_length 0
		.amdhsa_user_sgpr_kernarg_preload_offset 0
		.amdhsa_user_sgpr_private_segment_size 0
		.amdhsa_uses_dynamic_stack 0
		.amdhsa_enable_private_segment 0
		.amdhsa_system_sgpr_workgroup_id_x 1
		.amdhsa_system_sgpr_workgroup_id_y 0
		.amdhsa_system_sgpr_workgroup_id_z 0
		.amdhsa_system_sgpr_workgroup_info 0
		.amdhsa_system_vgpr_workitem_id 0
		.amdhsa_next_free_vgpr 1
		.amdhsa_next_free_sgpr 0
		.amdhsa_accum_offset 4
		.amdhsa_reserve_vcc 0
		.amdhsa_float_round_mode_32 0
		.amdhsa_float_round_mode_16_64 0
		.amdhsa_float_denorm_mode_32 3
		.amdhsa_float_denorm_mode_16_64 3
		.amdhsa_dx10_clamp 1
		.amdhsa_ieee_mode 1
		.amdhsa_fp16_overflow 0
		.amdhsa_tg_split 0
		.amdhsa_exception_fp_ieee_invalid_op 0
		.amdhsa_exception_fp_denorm_src 0
		.amdhsa_exception_fp_ieee_div_zero 0
		.amdhsa_exception_fp_ieee_overflow 0
		.amdhsa_exception_fp_ieee_underflow 0
		.amdhsa_exception_fp_ieee_inexact 0
		.amdhsa_exception_int_div_zero 0
	.end_amdhsa_kernel
	.section	.text._ZN7rocprim17ROCPRIM_400000_NS6detail17trampoline_kernelINS0_14default_configENS1_38merge_sort_block_merge_config_selectorIiNS0_10empty_typeEEEZZNS1_27merge_sort_block_merge_implIS3_N6thrust23THRUST_200600_302600_NS6detail15normal_iteratorINS9_10device_ptrIiEEEEPS5_jNS1_19radix_merge_compareILb0ELb1EiNS0_19identity_decomposerEEEEE10hipError_tT0_T1_T2_jT3_P12ihipStream_tbPNSt15iterator_traitsISK_E10value_typeEPNSQ_ISL_E10value_typeEPSM_NS1_7vsmem_tEENKUlT_SK_SL_SM_E_clISE_PiSF_SF_EESJ_SZ_SK_SL_SM_EUlSZ_E_NS1_11comp_targetILNS1_3genE10ELNS1_11target_archE1201ELNS1_3gpuE5ELNS1_3repE0EEENS1_48merge_mergepath_partition_config_static_selectorELNS0_4arch9wavefront6targetE1EEEvSL_,"axG",@progbits,_ZN7rocprim17ROCPRIM_400000_NS6detail17trampoline_kernelINS0_14default_configENS1_38merge_sort_block_merge_config_selectorIiNS0_10empty_typeEEEZZNS1_27merge_sort_block_merge_implIS3_N6thrust23THRUST_200600_302600_NS6detail15normal_iteratorINS9_10device_ptrIiEEEEPS5_jNS1_19radix_merge_compareILb0ELb1EiNS0_19identity_decomposerEEEEE10hipError_tT0_T1_T2_jT3_P12ihipStream_tbPNSt15iterator_traitsISK_E10value_typeEPNSQ_ISL_E10value_typeEPSM_NS1_7vsmem_tEENKUlT_SK_SL_SM_E_clISE_PiSF_SF_EESJ_SZ_SK_SL_SM_EUlSZ_E_NS1_11comp_targetILNS1_3genE10ELNS1_11target_archE1201ELNS1_3gpuE5ELNS1_3repE0EEENS1_48merge_mergepath_partition_config_static_selectorELNS0_4arch9wavefront6targetE1EEEvSL_,comdat
.Lfunc_end1696:
	.size	_ZN7rocprim17ROCPRIM_400000_NS6detail17trampoline_kernelINS0_14default_configENS1_38merge_sort_block_merge_config_selectorIiNS0_10empty_typeEEEZZNS1_27merge_sort_block_merge_implIS3_N6thrust23THRUST_200600_302600_NS6detail15normal_iteratorINS9_10device_ptrIiEEEEPS5_jNS1_19radix_merge_compareILb0ELb1EiNS0_19identity_decomposerEEEEE10hipError_tT0_T1_T2_jT3_P12ihipStream_tbPNSt15iterator_traitsISK_E10value_typeEPNSQ_ISL_E10value_typeEPSM_NS1_7vsmem_tEENKUlT_SK_SL_SM_E_clISE_PiSF_SF_EESJ_SZ_SK_SL_SM_EUlSZ_E_NS1_11comp_targetILNS1_3genE10ELNS1_11target_archE1201ELNS1_3gpuE5ELNS1_3repE0EEENS1_48merge_mergepath_partition_config_static_selectorELNS0_4arch9wavefront6targetE1EEEvSL_, .Lfunc_end1696-_ZN7rocprim17ROCPRIM_400000_NS6detail17trampoline_kernelINS0_14default_configENS1_38merge_sort_block_merge_config_selectorIiNS0_10empty_typeEEEZZNS1_27merge_sort_block_merge_implIS3_N6thrust23THRUST_200600_302600_NS6detail15normal_iteratorINS9_10device_ptrIiEEEEPS5_jNS1_19radix_merge_compareILb0ELb1EiNS0_19identity_decomposerEEEEE10hipError_tT0_T1_T2_jT3_P12ihipStream_tbPNSt15iterator_traitsISK_E10value_typeEPNSQ_ISL_E10value_typeEPSM_NS1_7vsmem_tEENKUlT_SK_SL_SM_E_clISE_PiSF_SF_EESJ_SZ_SK_SL_SM_EUlSZ_E_NS1_11comp_targetILNS1_3genE10ELNS1_11target_archE1201ELNS1_3gpuE5ELNS1_3repE0EEENS1_48merge_mergepath_partition_config_static_selectorELNS0_4arch9wavefront6targetE1EEEvSL_
                                        ; -- End function
	.section	.AMDGPU.csdata,"",@progbits
; Kernel info:
; codeLenInByte = 0
; NumSgprs: 6
; NumVgprs: 0
; NumAgprs: 0
; TotalNumVgprs: 0
; ScratchSize: 0
; MemoryBound: 0
; FloatMode: 240
; IeeeMode: 1
; LDSByteSize: 0 bytes/workgroup (compile time only)
; SGPRBlocks: 0
; VGPRBlocks: 0
; NumSGPRsForWavesPerEU: 6
; NumVGPRsForWavesPerEU: 1
; AccumOffset: 4
; Occupancy: 8
; WaveLimiterHint : 0
; COMPUTE_PGM_RSRC2:SCRATCH_EN: 0
; COMPUTE_PGM_RSRC2:USER_SGPR: 2
; COMPUTE_PGM_RSRC2:TRAP_HANDLER: 0
; COMPUTE_PGM_RSRC2:TGID_X_EN: 1
; COMPUTE_PGM_RSRC2:TGID_Y_EN: 0
; COMPUTE_PGM_RSRC2:TGID_Z_EN: 0
; COMPUTE_PGM_RSRC2:TIDIG_COMP_CNT: 0
; COMPUTE_PGM_RSRC3_GFX90A:ACCUM_OFFSET: 0
; COMPUTE_PGM_RSRC3_GFX90A:TG_SPLIT: 0
	.section	.text._ZN7rocprim17ROCPRIM_400000_NS6detail17trampoline_kernelINS0_14default_configENS1_38merge_sort_block_merge_config_selectorIiNS0_10empty_typeEEEZZNS1_27merge_sort_block_merge_implIS3_N6thrust23THRUST_200600_302600_NS6detail15normal_iteratorINS9_10device_ptrIiEEEEPS5_jNS1_19radix_merge_compareILb0ELb1EiNS0_19identity_decomposerEEEEE10hipError_tT0_T1_T2_jT3_P12ihipStream_tbPNSt15iterator_traitsISK_E10value_typeEPNSQ_ISL_E10value_typeEPSM_NS1_7vsmem_tEENKUlT_SK_SL_SM_E_clISE_PiSF_SF_EESJ_SZ_SK_SL_SM_EUlSZ_E_NS1_11comp_targetILNS1_3genE5ELNS1_11target_archE942ELNS1_3gpuE9ELNS1_3repE0EEENS1_48merge_mergepath_partition_config_static_selectorELNS0_4arch9wavefront6targetE1EEEvSL_,"axG",@progbits,_ZN7rocprim17ROCPRIM_400000_NS6detail17trampoline_kernelINS0_14default_configENS1_38merge_sort_block_merge_config_selectorIiNS0_10empty_typeEEEZZNS1_27merge_sort_block_merge_implIS3_N6thrust23THRUST_200600_302600_NS6detail15normal_iteratorINS9_10device_ptrIiEEEEPS5_jNS1_19radix_merge_compareILb0ELb1EiNS0_19identity_decomposerEEEEE10hipError_tT0_T1_T2_jT3_P12ihipStream_tbPNSt15iterator_traitsISK_E10value_typeEPNSQ_ISL_E10value_typeEPSM_NS1_7vsmem_tEENKUlT_SK_SL_SM_E_clISE_PiSF_SF_EESJ_SZ_SK_SL_SM_EUlSZ_E_NS1_11comp_targetILNS1_3genE5ELNS1_11target_archE942ELNS1_3gpuE9ELNS1_3repE0EEENS1_48merge_mergepath_partition_config_static_selectorELNS0_4arch9wavefront6targetE1EEEvSL_,comdat
	.protected	_ZN7rocprim17ROCPRIM_400000_NS6detail17trampoline_kernelINS0_14default_configENS1_38merge_sort_block_merge_config_selectorIiNS0_10empty_typeEEEZZNS1_27merge_sort_block_merge_implIS3_N6thrust23THRUST_200600_302600_NS6detail15normal_iteratorINS9_10device_ptrIiEEEEPS5_jNS1_19radix_merge_compareILb0ELb1EiNS0_19identity_decomposerEEEEE10hipError_tT0_T1_T2_jT3_P12ihipStream_tbPNSt15iterator_traitsISK_E10value_typeEPNSQ_ISL_E10value_typeEPSM_NS1_7vsmem_tEENKUlT_SK_SL_SM_E_clISE_PiSF_SF_EESJ_SZ_SK_SL_SM_EUlSZ_E_NS1_11comp_targetILNS1_3genE5ELNS1_11target_archE942ELNS1_3gpuE9ELNS1_3repE0EEENS1_48merge_mergepath_partition_config_static_selectorELNS0_4arch9wavefront6targetE1EEEvSL_ ; -- Begin function _ZN7rocprim17ROCPRIM_400000_NS6detail17trampoline_kernelINS0_14default_configENS1_38merge_sort_block_merge_config_selectorIiNS0_10empty_typeEEEZZNS1_27merge_sort_block_merge_implIS3_N6thrust23THRUST_200600_302600_NS6detail15normal_iteratorINS9_10device_ptrIiEEEEPS5_jNS1_19radix_merge_compareILb0ELb1EiNS0_19identity_decomposerEEEEE10hipError_tT0_T1_T2_jT3_P12ihipStream_tbPNSt15iterator_traitsISK_E10value_typeEPNSQ_ISL_E10value_typeEPSM_NS1_7vsmem_tEENKUlT_SK_SL_SM_E_clISE_PiSF_SF_EESJ_SZ_SK_SL_SM_EUlSZ_E_NS1_11comp_targetILNS1_3genE5ELNS1_11target_archE942ELNS1_3gpuE9ELNS1_3repE0EEENS1_48merge_mergepath_partition_config_static_selectorELNS0_4arch9wavefront6targetE1EEEvSL_
	.globl	_ZN7rocprim17ROCPRIM_400000_NS6detail17trampoline_kernelINS0_14default_configENS1_38merge_sort_block_merge_config_selectorIiNS0_10empty_typeEEEZZNS1_27merge_sort_block_merge_implIS3_N6thrust23THRUST_200600_302600_NS6detail15normal_iteratorINS9_10device_ptrIiEEEEPS5_jNS1_19radix_merge_compareILb0ELb1EiNS0_19identity_decomposerEEEEE10hipError_tT0_T1_T2_jT3_P12ihipStream_tbPNSt15iterator_traitsISK_E10value_typeEPNSQ_ISL_E10value_typeEPSM_NS1_7vsmem_tEENKUlT_SK_SL_SM_E_clISE_PiSF_SF_EESJ_SZ_SK_SL_SM_EUlSZ_E_NS1_11comp_targetILNS1_3genE5ELNS1_11target_archE942ELNS1_3gpuE9ELNS1_3repE0EEENS1_48merge_mergepath_partition_config_static_selectorELNS0_4arch9wavefront6targetE1EEEvSL_
	.p2align	8
	.type	_ZN7rocprim17ROCPRIM_400000_NS6detail17trampoline_kernelINS0_14default_configENS1_38merge_sort_block_merge_config_selectorIiNS0_10empty_typeEEEZZNS1_27merge_sort_block_merge_implIS3_N6thrust23THRUST_200600_302600_NS6detail15normal_iteratorINS9_10device_ptrIiEEEEPS5_jNS1_19radix_merge_compareILb0ELb1EiNS0_19identity_decomposerEEEEE10hipError_tT0_T1_T2_jT3_P12ihipStream_tbPNSt15iterator_traitsISK_E10value_typeEPNSQ_ISL_E10value_typeEPSM_NS1_7vsmem_tEENKUlT_SK_SL_SM_E_clISE_PiSF_SF_EESJ_SZ_SK_SL_SM_EUlSZ_E_NS1_11comp_targetILNS1_3genE5ELNS1_11target_archE942ELNS1_3gpuE9ELNS1_3repE0EEENS1_48merge_mergepath_partition_config_static_selectorELNS0_4arch9wavefront6targetE1EEEvSL_,@function
_ZN7rocprim17ROCPRIM_400000_NS6detail17trampoline_kernelINS0_14default_configENS1_38merge_sort_block_merge_config_selectorIiNS0_10empty_typeEEEZZNS1_27merge_sort_block_merge_implIS3_N6thrust23THRUST_200600_302600_NS6detail15normal_iteratorINS9_10device_ptrIiEEEEPS5_jNS1_19radix_merge_compareILb0ELb1EiNS0_19identity_decomposerEEEEE10hipError_tT0_T1_T2_jT3_P12ihipStream_tbPNSt15iterator_traitsISK_E10value_typeEPNSQ_ISL_E10value_typeEPSM_NS1_7vsmem_tEENKUlT_SK_SL_SM_E_clISE_PiSF_SF_EESJ_SZ_SK_SL_SM_EUlSZ_E_NS1_11comp_targetILNS1_3genE5ELNS1_11target_archE942ELNS1_3gpuE9ELNS1_3repE0EEENS1_48merge_mergepath_partition_config_static_selectorELNS0_4arch9wavefront6targetE1EEEvSL_: ; @_ZN7rocprim17ROCPRIM_400000_NS6detail17trampoline_kernelINS0_14default_configENS1_38merge_sort_block_merge_config_selectorIiNS0_10empty_typeEEEZZNS1_27merge_sort_block_merge_implIS3_N6thrust23THRUST_200600_302600_NS6detail15normal_iteratorINS9_10device_ptrIiEEEEPS5_jNS1_19radix_merge_compareILb0ELb1EiNS0_19identity_decomposerEEEEE10hipError_tT0_T1_T2_jT3_P12ihipStream_tbPNSt15iterator_traitsISK_E10value_typeEPNSQ_ISL_E10value_typeEPSM_NS1_7vsmem_tEENKUlT_SK_SL_SM_E_clISE_PiSF_SF_EESJ_SZ_SK_SL_SM_EUlSZ_E_NS1_11comp_targetILNS1_3genE5ELNS1_11target_archE942ELNS1_3gpuE9ELNS1_3repE0EEENS1_48merge_mergepath_partition_config_static_selectorELNS0_4arch9wavefront6targetE1EEEvSL_
; %bb.0:
	s_load_dword s3, s[0:1], 0x0
	v_lshl_or_b32 v0, s2, 7, v0
	s_waitcnt lgkmcnt(0)
	v_cmp_gt_u32_e32 vcc, s3, v0
	s_and_saveexec_b64 s[2:3], vcc
	s_cbranch_execz .LBB1697_6
; %bb.1:
	s_load_dwordx2 s[4:5], s[0:1], 0x4
	s_load_dwordx2 s[2:3], s[0:1], 0x20
	s_waitcnt lgkmcnt(0)
	s_lshr_b32 s6, s4, 9
	s_and_b32 s6, s6, 0x7ffffe
	s_add_i32 s7, s6, -1
	s_sub_i32 s6, 0, s6
	v_and_b32_e32 v1, s6, v0
	v_lshlrev_b32_e32 v1, 10, v1
	v_min_u32_e32 v2, s5, v1
	v_add_u32_e32 v1, s4, v1
	v_min_u32_e32 v4, s5, v1
	v_add_u32_e32 v1, s4, v4
	v_and_b32_e32 v3, s7, v0
	v_min_u32_e32 v1, s5, v1
	v_sub_u32_e32 v5, v1, v2
	v_lshlrev_b32_e32 v3, 10, v3
	v_min_u32_e32 v10, v5, v3
	v_sub_u32_e32 v3, v4, v2
	v_sub_u32_e32 v1, v1, v4
	v_sub_u32_e64 v1, v10, v1 clamp
	v_min_u32_e32 v11, v10, v3
	v_cmp_lt_u32_e32 vcc, v1, v11
	s_and_saveexec_b64 s[4:5], vcc
	s_cbranch_execz .LBB1697_5
; %bb.2:
	s_load_dwordx2 s[8:9], s[0:1], 0x10
	s_load_dword s6, s[0:1], 0x18
	v_mov_b32_e32 v5, 0
	v_mov_b32_e32 v3, v5
	s_mov_b64 s[0:1], 0
	s_waitcnt lgkmcnt(0)
	v_lshl_add_u64 v[6:7], v[2:3], 2, s[8:9]
	v_lshl_add_u64 v[8:9], v[4:5], 2, s[8:9]
.LBB1697_3:                             ; =>This Inner Loop Header: Depth=1
	v_add_u32_e32 v3, v11, v1
	v_lshrrev_b32_e32 v4, 1, v3
	v_mov_b32_e32 v13, v5
	v_xad_u32 v12, v4, -1, v10
	v_lshl_add_u64 v[14:15], v[4:5], 2, v[6:7]
	v_lshl_add_u64 v[12:13], v[12:13], 2, v[8:9]
	flat_load_dword v3, v[14:15]
	flat_load_dword v16, v[12:13]
	v_add_u32_e32 v12, 1, v4
	s_waitcnt vmcnt(0) lgkmcnt(0)
	v_and_b32_e32 v3, s6, v3
	v_and_b32_e32 v13, s6, v16
	v_cmp_gt_i32_e32 vcc, v3, v13
	s_nop 1
	v_cndmask_b32_e32 v11, v11, v4, vcc
	v_cndmask_b32_e32 v1, v12, v1, vcc
	v_cmp_ge_u32_e32 vcc, v1, v11
	s_or_b64 s[0:1], vcc, s[0:1]
	s_andn2_b64 exec, exec, s[0:1]
	s_cbranch_execnz .LBB1697_3
; %bb.4:
	s_or_b64 exec, exec, s[0:1]
.LBB1697_5:
	s_or_b64 exec, exec, s[4:5]
	v_add_u32_e32 v2, v1, v2
	v_mov_b32_e32 v1, 0
	v_lshl_add_u64 v[0:1], v[0:1], 2, s[2:3]
	global_store_dword v[0:1], v2, off
.LBB1697_6:
	s_endpgm
	.section	.rodata,"a",@progbits
	.p2align	6, 0x0
	.amdhsa_kernel _ZN7rocprim17ROCPRIM_400000_NS6detail17trampoline_kernelINS0_14default_configENS1_38merge_sort_block_merge_config_selectorIiNS0_10empty_typeEEEZZNS1_27merge_sort_block_merge_implIS3_N6thrust23THRUST_200600_302600_NS6detail15normal_iteratorINS9_10device_ptrIiEEEEPS5_jNS1_19radix_merge_compareILb0ELb1EiNS0_19identity_decomposerEEEEE10hipError_tT0_T1_T2_jT3_P12ihipStream_tbPNSt15iterator_traitsISK_E10value_typeEPNSQ_ISL_E10value_typeEPSM_NS1_7vsmem_tEENKUlT_SK_SL_SM_E_clISE_PiSF_SF_EESJ_SZ_SK_SL_SM_EUlSZ_E_NS1_11comp_targetILNS1_3genE5ELNS1_11target_archE942ELNS1_3gpuE9ELNS1_3repE0EEENS1_48merge_mergepath_partition_config_static_selectorELNS0_4arch9wavefront6targetE1EEEvSL_
		.amdhsa_group_segment_fixed_size 0
		.amdhsa_private_segment_fixed_size 0
		.amdhsa_kernarg_size 40
		.amdhsa_user_sgpr_count 2
		.amdhsa_user_sgpr_dispatch_ptr 0
		.amdhsa_user_sgpr_queue_ptr 0
		.amdhsa_user_sgpr_kernarg_segment_ptr 1
		.amdhsa_user_sgpr_dispatch_id 0
		.amdhsa_user_sgpr_kernarg_preload_length 0
		.amdhsa_user_sgpr_kernarg_preload_offset 0
		.amdhsa_user_sgpr_private_segment_size 0
		.amdhsa_uses_dynamic_stack 0
		.amdhsa_enable_private_segment 0
		.amdhsa_system_sgpr_workgroup_id_x 1
		.amdhsa_system_sgpr_workgroup_id_y 0
		.amdhsa_system_sgpr_workgroup_id_z 0
		.amdhsa_system_sgpr_workgroup_info 0
		.amdhsa_system_vgpr_workitem_id 0
		.amdhsa_next_free_vgpr 17
		.amdhsa_next_free_sgpr 10
		.amdhsa_accum_offset 20
		.amdhsa_reserve_vcc 1
		.amdhsa_float_round_mode_32 0
		.amdhsa_float_round_mode_16_64 0
		.amdhsa_float_denorm_mode_32 3
		.amdhsa_float_denorm_mode_16_64 3
		.amdhsa_dx10_clamp 1
		.amdhsa_ieee_mode 1
		.amdhsa_fp16_overflow 0
		.amdhsa_tg_split 0
		.amdhsa_exception_fp_ieee_invalid_op 0
		.amdhsa_exception_fp_denorm_src 0
		.amdhsa_exception_fp_ieee_div_zero 0
		.amdhsa_exception_fp_ieee_overflow 0
		.amdhsa_exception_fp_ieee_underflow 0
		.amdhsa_exception_fp_ieee_inexact 0
		.amdhsa_exception_int_div_zero 0
	.end_amdhsa_kernel
	.section	.text._ZN7rocprim17ROCPRIM_400000_NS6detail17trampoline_kernelINS0_14default_configENS1_38merge_sort_block_merge_config_selectorIiNS0_10empty_typeEEEZZNS1_27merge_sort_block_merge_implIS3_N6thrust23THRUST_200600_302600_NS6detail15normal_iteratorINS9_10device_ptrIiEEEEPS5_jNS1_19radix_merge_compareILb0ELb1EiNS0_19identity_decomposerEEEEE10hipError_tT0_T1_T2_jT3_P12ihipStream_tbPNSt15iterator_traitsISK_E10value_typeEPNSQ_ISL_E10value_typeEPSM_NS1_7vsmem_tEENKUlT_SK_SL_SM_E_clISE_PiSF_SF_EESJ_SZ_SK_SL_SM_EUlSZ_E_NS1_11comp_targetILNS1_3genE5ELNS1_11target_archE942ELNS1_3gpuE9ELNS1_3repE0EEENS1_48merge_mergepath_partition_config_static_selectorELNS0_4arch9wavefront6targetE1EEEvSL_,"axG",@progbits,_ZN7rocprim17ROCPRIM_400000_NS6detail17trampoline_kernelINS0_14default_configENS1_38merge_sort_block_merge_config_selectorIiNS0_10empty_typeEEEZZNS1_27merge_sort_block_merge_implIS3_N6thrust23THRUST_200600_302600_NS6detail15normal_iteratorINS9_10device_ptrIiEEEEPS5_jNS1_19radix_merge_compareILb0ELb1EiNS0_19identity_decomposerEEEEE10hipError_tT0_T1_T2_jT3_P12ihipStream_tbPNSt15iterator_traitsISK_E10value_typeEPNSQ_ISL_E10value_typeEPSM_NS1_7vsmem_tEENKUlT_SK_SL_SM_E_clISE_PiSF_SF_EESJ_SZ_SK_SL_SM_EUlSZ_E_NS1_11comp_targetILNS1_3genE5ELNS1_11target_archE942ELNS1_3gpuE9ELNS1_3repE0EEENS1_48merge_mergepath_partition_config_static_selectorELNS0_4arch9wavefront6targetE1EEEvSL_,comdat
.Lfunc_end1697:
	.size	_ZN7rocprim17ROCPRIM_400000_NS6detail17trampoline_kernelINS0_14default_configENS1_38merge_sort_block_merge_config_selectorIiNS0_10empty_typeEEEZZNS1_27merge_sort_block_merge_implIS3_N6thrust23THRUST_200600_302600_NS6detail15normal_iteratorINS9_10device_ptrIiEEEEPS5_jNS1_19radix_merge_compareILb0ELb1EiNS0_19identity_decomposerEEEEE10hipError_tT0_T1_T2_jT3_P12ihipStream_tbPNSt15iterator_traitsISK_E10value_typeEPNSQ_ISL_E10value_typeEPSM_NS1_7vsmem_tEENKUlT_SK_SL_SM_E_clISE_PiSF_SF_EESJ_SZ_SK_SL_SM_EUlSZ_E_NS1_11comp_targetILNS1_3genE5ELNS1_11target_archE942ELNS1_3gpuE9ELNS1_3repE0EEENS1_48merge_mergepath_partition_config_static_selectorELNS0_4arch9wavefront6targetE1EEEvSL_, .Lfunc_end1697-_ZN7rocprim17ROCPRIM_400000_NS6detail17trampoline_kernelINS0_14default_configENS1_38merge_sort_block_merge_config_selectorIiNS0_10empty_typeEEEZZNS1_27merge_sort_block_merge_implIS3_N6thrust23THRUST_200600_302600_NS6detail15normal_iteratorINS9_10device_ptrIiEEEEPS5_jNS1_19radix_merge_compareILb0ELb1EiNS0_19identity_decomposerEEEEE10hipError_tT0_T1_T2_jT3_P12ihipStream_tbPNSt15iterator_traitsISK_E10value_typeEPNSQ_ISL_E10value_typeEPSM_NS1_7vsmem_tEENKUlT_SK_SL_SM_E_clISE_PiSF_SF_EESJ_SZ_SK_SL_SM_EUlSZ_E_NS1_11comp_targetILNS1_3genE5ELNS1_11target_archE942ELNS1_3gpuE9ELNS1_3repE0EEENS1_48merge_mergepath_partition_config_static_selectorELNS0_4arch9wavefront6targetE1EEEvSL_
                                        ; -- End function
	.section	.AMDGPU.csdata,"",@progbits
; Kernel info:
; codeLenInByte = 332
; NumSgprs: 16
; NumVgprs: 17
; NumAgprs: 0
; TotalNumVgprs: 17
; ScratchSize: 0
; MemoryBound: 0
; FloatMode: 240
; IeeeMode: 1
; LDSByteSize: 0 bytes/workgroup (compile time only)
; SGPRBlocks: 1
; VGPRBlocks: 2
; NumSGPRsForWavesPerEU: 16
; NumVGPRsForWavesPerEU: 17
; AccumOffset: 20
; Occupancy: 8
; WaveLimiterHint : 0
; COMPUTE_PGM_RSRC2:SCRATCH_EN: 0
; COMPUTE_PGM_RSRC2:USER_SGPR: 2
; COMPUTE_PGM_RSRC2:TRAP_HANDLER: 0
; COMPUTE_PGM_RSRC2:TGID_X_EN: 1
; COMPUTE_PGM_RSRC2:TGID_Y_EN: 0
; COMPUTE_PGM_RSRC2:TGID_Z_EN: 0
; COMPUTE_PGM_RSRC2:TIDIG_COMP_CNT: 0
; COMPUTE_PGM_RSRC3_GFX90A:ACCUM_OFFSET: 4
; COMPUTE_PGM_RSRC3_GFX90A:TG_SPLIT: 0
	.section	.text._ZN7rocprim17ROCPRIM_400000_NS6detail17trampoline_kernelINS0_14default_configENS1_38merge_sort_block_merge_config_selectorIiNS0_10empty_typeEEEZZNS1_27merge_sort_block_merge_implIS3_N6thrust23THRUST_200600_302600_NS6detail15normal_iteratorINS9_10device_ptrIiEEEEPS5_jNS1_19radix_merge_compareILb0ELb1EiNS0_19identity_decomposerEEEEE10hipError_tT0_T1_T2_jT3_P12ihipStream_tbPNSt15iterator_traitsISK_E10value_typeEPNSQ_ISL_E10value_typeEPSM_NS1_7vsmem_tEENKUlT_SK_SL_SM_E_clISE_PiSF_SF_EESJ_SZ_SK_SL_SM_EUlSZ_E_NS1_11comp_targetILNS1_3genE4ELNS1_11target_archE910ELNS1_3gpuE8ELNS1_3repE0EEENS1_48merge_mergepath_partition_config_static_selectorELNS0_4arch9wavefront6targetE1EEEvSL_,"axG",@progbits,_ZN7rocprim17ROCPRIM_400000_NS6detail17trampoline_kernelINS0_14default_configENS1_38merge_sort_block_merge_config_selectorIiNS0_10empty_typeEEEZZNS1_27merge_sort_block_merge_implIS3_N6thrust23THRUST_200600_302600_NS6detail15normal_iteratorINS9_10device_ptrIiEEEEPS5_jNS1_19radix_merge_compareILb0ELb1EiNS0_19identity_decomposerEEEEE10hipError_tT0_T1_T2_jT3_P12ihipStream_tbPNSt15iterator_traitsISK_E10value_typeEPNSQ_ISL_E10value_typeEPSM_NS1_7vsmem_tEENKUlT_SK_SL_SM_E_clISE_PiSF_SF_EESJ_SZ_SK_SL_SM_EUlSZ_E_NS1_11comp_targetILNS1_3genE4ELNS1_11target_archE910ELNS1_3gpuE8ELNS1_3repE0EEENS1_48merge_mergepath_partition_config_static_selectorELNS0_4arch9wavefront6targetE1EEEvSL_,comdat
	.protected	_ZN7rocprim17ROCPRIM_400000_NS6detail17trampoline_kernelINS0_14default_configENS1_38merge_sort_block_merge_config_selectorIiNS0_10empty_typeEEEZZNS1_27merge_sort_block_merge_implIS3_N6thrust23THRUST_200600_302600_NS6detail15normal_iteratorINS9_10device_ptrIiEEEEPS5_jNS1_19radix_merge_compareILb0ELb1EiNS0_19identity_decomposerEEEEE10hipError_tT0_T1_T2_jT3_P12ihipStream_tbPNSt15iterator_traitsISK_E10value_typeEPNSQ_ISL_E10value_typeEPSM_NS1_7vsmem_tEENKUlT_SK_SL_SM_E_clISE_PiSF_SF_EESJ_SZ_SK_SL_SM_EUlSZ_E_NS1_11comp_targetILNS1_3genE4ELNS1_11target_archE910ELNS1_3gpuE8ELNS1_3repE0EEENS1_48merge_mergepath_partition_config_static_selectorELNS0_4arch9wavefront6targetE1EEEvSL_ ; -- Begin function _ZN7rocprim17ROCPRIM_400000_NS6detail17trampoline_kernelINS0_14default_configENS1_38merge_sort_block_merge_config_selectorIiNS0_10empty_typeEEEZZNS1_27merge_sort_block_merge_implIS3_N6thrust23THRUST_200600_302600_NS6detail15normal_iteratorINS9_10device_ptrIiEEEEPS5_jNS1_19radix_merge_compareILb0ELb1EiNS0_19identity_decomposerEEEEE10hipError_tT0_T1_T2_jT3_P12ihipStream_tbPNSt15iterator_traitsISK_E10value_typeEPNSQ_ISL_E10value_typeEPSM_NS1_7vsmem_tEENKUlT_SK_SL_SM_E_clISE_PiSF_SF_EESJ_SZ_SK_SL_SM_EUlSZ_E_NS1_11comp_targetILNS1_3genE4ELNS1_11target_archE910ELNS1_3gpuE8ELNS1_3repE0EEENS1_48merge_mergepath_partition_config_static_selectorELNS0_4arch9wavefront6targetE1EEEvSL_
	.globl	_ZN7rocprim17ROCPRIM_400000_NS6detail17trampoline_kernelINS0_14default_configENS1_38merge_sort_block_merge_config_selectorIiNS0_10empty_typeEEEZZNS1_27merge_sort_block_merge_implIS3_N6thrust23THRUST_200600_302600_NS6detail15normal_iteratorINS9_10device_ptrIiEEEEPS5_jNS1_19radix_merge_compareILb0ELb1EiNS0_19identity_decomposerEEEEE10hipError_tT0_T1_T2_jT3_P12ihipStream_tbPNSt15iterator_traitsISK_E10value_typeEPNSQ_ISL_E10value_typeEPSM_NS1_7vsmem_tEENKUlT_SK_SL_SM_E_clISE_PiSF_SF_EESJ_SZ_SK_SL_SM_EUlSZ_E_NS1_11comp_targetILNS1_3genE4ELNS1_11target_archE910ELNS1_3gpuE8ELNS1_3repE0EEENS1_48merge_mergepath_partition_config_static_selectorELNS0_4arch9wavefront6targetE1EEEvSL_
	.p2align	8
	.type	_ZN7rocprim17ROCPRIM_400000_NS6detail17trampoline_kernelINS0_14default_configENS1_38merge_sort_block_merge_config_selectorIiNS0_10empty_typeEEEZZNS1_27merge_sort_block_merge_implIS3_N6thrust23THRUST_200600_302600_NS6detail15normal_iteratorINS9_10device_ptrIiEEEEPS5_jNS1_19radix_merge_compareILb0ELb1EiNS0_19identity_decomposerEEEEE10hipError_tT0_T1_T2_jT3_P12ihipStream_tbPNSt15iterator_traitsISK_E10value_typeEPNSQ_ISL_E10value_typeEPSM_NS1_7vsmem_tEENKUlT_SK_SL_SM_E_clISE_PiSF_SF_EESJ_SZ_SK_SL_SM_EUlSZ_E_NS1_11comp_targetILNS1_3genE4ELNS1_11target_archE910ELNS1_3gpuE8ELNS1_3repE0EEENS1_48merge_mergepath_partition_config_static_selectorELNS0_4arch9wavefront6targetE1EEEvSL_,@function
_ZN7rocprim17ROCPRIM_400000_NS6detail17trampoline_kernelINS0_14default_configENS1_38merge_sort_block_merge_config_selectorIiNS0_10empty_typeEEEZZNS1_27merge_sort_block_merge_implIS3_N6thrust23THRUST_200600_302600_NS6detail15normal_iteratorINS9_10device_ptrIiEEEEPS5_jNS1_19radix_merge_compareILb0ELb1EiNS0_19identity_decomposerEEEEE10hipError_tT0_T1_T2_jT3_P12ihipStream_tbPNSt15iterator_traitsISK_E10value_typeEPNSQ_ISL_E10value_typeEPSM_NS1_7vsmem_tEENKUlT_SK_SL_SM_E_clISE_PiSF_SF_EESJ_SZ_SK_SL_SM_EUlSZ_E_NS1_11comp_targetILNS1_3genE4ELNS1_11target_archE910ELNS1_3gpuE8ELNS1_3repE0EEENS1_48merge_mergepath_partition_config_static_selectorELNS0_4arch9wavefront6targetE1EEEvSL_: ; @_ZN7rocprim17ROCPRIM_400000_NS6detail17trampoline_kernelINS0_14default_configENS1_38merge_sort_block_merge_config_selectorIiNS0_10empty_typeEEEZZNS1_27merge_sort_block_merge_implIS3_N6thrust23THRUST_200600_302600_NS6detail15normal_iteratorINS9_10device_ptrIiEEEEPS5_jNS1_19radix_merge_compareILb0ELb1EiNS0_19identity_decomposerEEEEE10hipError_tT0_T1_T2_jT3_P12ihipStream_tbPNSt15iterator_traitsISK_E10value_typeEPNSQ_ISL_E10value_typeEPSM_NS1_7vsmem_tEENKUlT_SK_SL_SM_E_clISE_PiSF_SF_EESJ_SZ_SK_SL_SM_EUlSZ_E_NS1_11comp_targetILNS1_3genE4ELNS1_11target_archE910ELNS1_3gpuE8ELNS1_3repE0EEENS1_48merge_mergepath_partition_config_static_selectorELNS0_4arch9wavefront6targetE1EEEvSL_
; %bb.0:
	.section	.rodata,"a",@progbits
	.p2align	6, 0x0
	.amdhsa_kernel _ZN7rocprim17ROCPRIM_400000_NS6detail17trampoline_kernelINS0_14default_configENS1_38merge_sort_block_merge_config_selectorIiNS0_10empty_typeEEEZZNS1_27merge_sort_block_merge_implIS3_N6thrust23THRUST_200600_302600_NS6detail15normal_iteratorINS9_10device_ptrIiEEEEPS5_jNS1_19radix_merge_compareILb0ELb1EiNS0_19identity_decomposerEEEEE10hipError_tT0_T1_T2_jT3_P12ihipStream_tbPNSt15iterator_traitsISK_E10value_typeEPNSQ_ISL_E10value_typeEPSM_NS1_7vsmem_tEENKUlT_SK_SL_SM_E_clISE_PiSF_SF_EESJ_SZ_SK_SL_SM_EUlSZ_E_NS1_11comp_targetILNS1_3genE4ELNS1_11target_archE910ELNS1_3gpuE8ELNS1_3repE0EEENS1_48merge_mergepath_partition_config_static_selectorELNS0_4arch9wavefront6targetE1EEEvSL_
		.amdhsa_group_segment_fixed_size 0
		.amdhsa_private_segment_fixed_size 0
		.amdhsa_kernarg_size 40
		.amdhsa_user_sgpr_count 2
		.amdhsa_user_sgpr_dispatch_ptr 0
		.amdhsa_user_sgpr_queue_ptr 0
		.amdhsa_user_sgpr_kernarg_segment_ptr 1
		.amdhsa_user_sgpr_dispatch_id 0
		.amdhsa_user_sgpr_kernarg_preload_length 0
		.amdhsa_user_sgpr_kernarg_preload_offset 0
		.amdhsa_user_sgpr_private_segment_size 0
		.amdhsa_uses_dynamic_stack 0
		.amdhsa_enable_private_segment 0
		.amdhsa_system_sgpr_workgroup_id_x 1
		.amdhsa_system_sgpr_workgroup_id_y 0
		.amdhsa_system_sgpr_workgroup_id_z 0
		.amdhsa_system_sgpr_workgroup_info 0
		.amdhsa_system_vgpr_workitem_id 0
		.amdhsa_next_free_vgpr 1
		.amdhsa_next_free_sgpr 0
		.amdhsa_accum_offset 4
		.amdhsa_reserve_vcc 0
		.amdhsa_float_round_mode_32 0
		.amdhsa_float_round_mode_16_64 0
		.amdhsa_float_denorm_mode_32 3
		.amdhsa_float_denorm_mode_16_64 3
		.amdhsa_dx10_clamp 1
		.amdhsa_ieee_mode 1
		.amdhsa_fp16_overflow 0
		.amdhsa_tg_split 0
		.amdhsa_exception_fp_ieee_invalid_op 0
		.amdhsa_exception_fp_denorm_src 0
		.amdhsa_exception_fp_ieee_div_zero 0
		.amdhsa_exception_fp_ieee_overflow 0
		.amdhsa_exception_fp_ieee_underflow 0
		.amdhsa_exception_fp_ieee_inexact 0
		.amdhsa_exception_int_div_zero 0
	.end_amdhsa_kernel
	.section	.text._ZN7rocprim17ROCPRIM_400000_NS6detail17trampoline_kernelINS0_14default_configENS1_38merge_sort_block_merge_config_selectorIiNS0_10empty_typeEEEZZNS1_27merge_sort_block_merge_implIS3_N6thrust23THRUST_200600_302600_NS6detail15normal_iteratorINS9_10device_ptrIiEEEEPS5_jNS1_19radix_merge_compareILb0ELb1EiNS0_19identity_decomposerEEEEE10hipError_tT0_T1_T2_jT3_P12ihipStream_tbPNSt15iterator_traitsISK_E10value_typeEPNSQ_ISL_E10value_typeEPSM_NS1_7vsmem_tEENKUlT_SK_SL_SM_E_clISE_PiSF_SF_EESJ_SZ_SK_SL_SM_EUlSZ_E_NS1_11comp_targetILNS1_3genE4ELNS1_11target_archE910ELNS1_3gpuE8ELNS1_3repE0EEENS1_48merge_mergepath_partition_config_static_selectorELNS0_4arch9wavefront6targetE1EEEvSL_,"axG",@progbits,_ZN7rocprim17ROCPRIM_400000_NS6detail17trampoline_kernelINS0_14default_configENS1_38merge_sort_block_merge_config_selectorIiNS0_10empty_typeEEEZZNS1_27merge_sort_block_merge_implIS3_N6thrust23THRUST_200600_302600_NS6detail15normal_iteratorINS9_10device_ptrIiEEEEPS5_jNS1_19radix_merge_compareILb0ELb1EiNS0_19identity_decomposerEEEEE10hipError_tT0_T1_T2_jT3_P12ihipStream_tbPNSt15iterator_traitsISK_E10value_typeEPNSQ_ISL_E10value_typeEPSM_NS1_7vsmem_tEENKUlT_SK_SL_SM_E_clISE_PiSF_SF_EESJ_SZ_SK_SL_SM_EUlSZ_E_NS1_11comp_targetILNS1_3genE4ELNS1_11target_archE910ELNS1_3gpuE8ELNS1_3repE0EEENS1_48merge_mergepath_partition_config_static_selectorELNS0_4arch9wavefront6targetE1EEEvSL_,comdat
.Lfunc_end1698:
	.size	_ZN7rocprim17ROCPRIM_400000_NS6detail17trampoline_kernelINS0_14default_configENS1_38merge_sort_block_merge_config_selectorIiNS0_10empty_typeEEEZZNS1_27merge_sort_block_merge_implIS3_N6thrust23THRUST_200600_302600_NS6detail15normal_iteratorINS9_10device_ptrIiEEEEPS5_jNS1_19radix_merge_compareILb0ELb1EiNS0_19identity_decomposerEEEEE10hipError_tT0_T1_T2_jT3_P12ihipStream_tbPNSt15iterator_traitsISK_E10value_typeEPNSQ_ISL_E10value_typeEPSM_NS1_7vsmem_tEENKUlT_SK_SL_SM_E_clISE_PiSF_SF_EESJ_SZ_SK_SL_SM_EUlSZ_E_NS1_11comp_targetILNS1_3genE4ELNS1_11target_archE910ELNS1_3gpuE8ELNS1_3repE0EEENS1_48merge_mergepath_partition_config_static_selectorELNS0_4arch9wavefront6targetE1EEEvSL_, .Lfunc_end1698-_ZN7rocprim17ROCPRIM_400000_NS6detail17trampoline_kernelINS0_14default_configENS1_38merge_sort_block_merge_config_selectorIiNS0_10empty_typeEEEZZNS1_27merge_sort_block_merge_implIS3_N6thrust23THRUST_200600_302600_NS6detail15normal_iteratorINS9_10device_ptrIiEEEEPS5_jNS1_19radix_merge_compareILb0ELb1EiNS0_19identity_decomposerEEEEE10hipError_tT0_T1_T2_jT3_P12ihipStream_tbPNSt15iterator_traitsISK_E10value_typeEPNSQ_ISL_E10value_typeEPSM_NS1_7vsmem_tEENKUlT_SK_SL_SM_E_clISE_PiSF_SF_EESJ_SZ_SK_SL_SM_EUlSZ_E_NS1_11comp_targetILNS1_3genE4ELNS1_11target_archE910ELNS1_3gpuE8ELNS1_3repE0EEENS1_48merge_mergepath_partition_config_static_selectorELNS0_4arch9wavefront6targetE1EEEvSL_
                                        ; -- End function
	.section	.AMDGPU.csdata,"",@progbits
; Kernel info:
; codeLenInByte = 0
; NumSgprs: 6
; NumVgprs: 0
; NumAgprs: 0
; TotalNumVgprs: 0
; ScratchSize: 0
; MemoryBound: 0
; FloatMode: 240
; IeeeMode: 1
; LDSByteSize: 0 bytes/workgroup (compile time only)
; SGPRBlocks: 0
; VGPRBlocks: 0
; NumSGPRsForWavesPerEU: 6
; NumVGPRsForWavesPerEU: 1
; AccumOffset: 4
; Occupancy: 8
; WaveLimiterHint : 0
; COMPUTE_PGM_RSRC2:SCRATCH_EN: 0
; COMPUTE_PGM_RSRC2:USER_SGPR: 2
; COMPUTE_PGM_RSRC2:TRAP_HANDLER: 0
; COMPUTE_PGM_RSRC2:TGID_X_EN: 1
; COMPUTE_PGM_RSRC2:TGID_Y_EN: 0
; COMPUTE_PGM_RSRC2:TGID_Z_EN: 0
; COMPUTE_PGM_RSRC2:TIDIG_COMP_CNT: 0
; COMPUTE_PGM_RSRC3_GFX90A:ACCUM_OFFSET: 0
; COMPUTE_PGM_RSRC3_GFX90A:TG_SPLIT: 0
	.section	.text._ZN7rocprim17ROCPRIM_400000_NS6detail17trampoline_kernelINS0_14default_configENS1_38merge_sort_block_merge_config_selectorIiNS0_10empty_typeEEEZZNS1_27merge_sort_block_merge_implIS3_N6thrust23THRUST_200600_302600_NS6detail15normal_iteratorINS9_10device_ptrIiEEEEPS5_jNS1_19radix_merge_compareILb0ELb1EiNS0_19identity_decomposerEEEEE10hipError_tT0_T1_T2_jT3_P12ihipStream_tbPNSt15iterator_traitsISK_E10value_typeEPNSQ_ISL_E10value_typeEPSM_NS1_7vsmem_tEENKUlT_SK_SL_SM_E_clISE_PiSF_SF_EESJ_SZ_SK_SL_SM_EUlSZ_E_NS1_11comp_targetILNS1_3genE3ELNS1_11target_archE908ELNS1_3gpuE7ELNS1_3repE0EEENS1_48merge_mergepath_partition_config_static_selectorELNS0_4arch9wavefront6targetE1EEEvSL_,"axG",@progbits,_ZN7rocprim17ROCPRIM_400000_NS6detail17trampoline_kernelINS0_14default_configENS1_38merge_sort_block_merge_config_selectorIiNS0_10empty_typeEEEZZNS1_27merge_sort_block_merge_implIS3_N6thrust23THRUST_200600_302600_NS6detail15normal_iteratorINS9_10device_ptrIiEEEEPS5_jNS1_19radix_merge_compareILb0ELb1EiNS0_19identity_decomposerEEEEE10hipError_tT0_T1_T2_jT3_P12ihipStream_tbPNSt15iterator_traitsISK_E10value_typeEPNSQ_ISL_E10value_typeEPSM_NS1_7vsmem_tEENKUlT_SK_SL_SM_E_clISE_PiSF_SF_EESJ_SZ_SK_SL_SM_EUlSZ_E_NS1_11comp_targetILNS1_3genE3ELNS1_11target_archE908ELNS1_3gpuE7ELNS1_3repE0EEENS1_48merge_mergepath_partition_config_static_selectorELNS0_4arch9wavefront6targetE1EEEvSL_,comdat
	.protected	_ZN7rocprim17ROCPRIM_400000_NS6detail17trampoline_kernelINS0_14default_configENS1_38merge_sort_block_merge_config_selectorIiNS0_10empty_typeEEEZZNS1_27merge_sort_block_merge_implIS3_N6thrust23THRUST_200600_302600_NS6detail15normal_iteratorINS9_10device_ptrIiEEEEPS5_jNS1_19radix_merge_compareILb0ELb1EiNS0_19identity_decomposerEEEEE10hipError_tT0_T1_T2_jT3_P12ihipStream_tbPNSt15iterator_traitsISK_E10value_typeEPNSQ_ISL_E10value_typeEPSM_NS1_7vsmem_tEENKUlT_SK_SL_SM_E_clISE_PiSF_SF_EESJ_SZ_SK_SL_SM_EUlSZ_E_NS1_11comp_targetILNS1_3genE3ELNS1_11target_archE908ELNS1_3gpuE7ELNS1_3repE0EEENS1_48merge_mergepath_partition_config_static_selectorELNS0_4arch9wavefront6targetE1EEEvSL_ ; -- Begin function _ZN7rocprim17ROCPRIM_400000_NS6detail17trampoline_kernelINS0_14default_configENS1_38merge_sort_block_merge_config_selectorIiNS0_10empty_typeEEEZZNS1_27merge_sort_block_merge_implIS3_N6thrust23THRUST_200600_302600_NS6detail15normal_iteratorINS9_10device_ptrIiEEEEPS5_jNS1_19radix_merge_compareILb0ELb1EiNS0_19identity_decomposerEEEEE10hipError_tT0_T1_T2_jT3_P12ihipStream_tbPNSt15iterator_traitsISK_E10value_typeEPNSQ_ISL_E10value_typeEPSM_NS1_7vsmem_tEENKUlT_SK_SL_SM_E_clISE_PiSF_SF_EESJ_SZ_SK_SL_SM_EUlSZ_E_NS1_11comp_targetILNS1_3genE3ELNS1_11target_archE908ELNS1_3gpuE7ELNS1_3repE0EEENS1_48merge_mergepath_partition_config_static_selectorELNS0_4arch9wavefront6targetE1EEEvSL_
	.globl	_ZN7rocprim17ROCPRIM_400000_NS6detail17trampoline_kernelINS0_14default_configENS1_38merge_sort_block_merge_config_selectorIiNS0_10empty_typeEEEZZNS1_27merge_sort_block_merge_implIS3_N6thrust23THRUST_200600_302600_NS6detail15normal_iteratorINS9_10device_ptrIiEEEEPS5_jNS1_19radix_merge_compareILb0ELb1EiNS0_19identity_decomposerEEEEE10hipError_tT0_T1_T2_jT3_P12ihipStream_tbPNSt15iterator_traitsISK_E10value_typeEPNSQ_ISL_E10value_typeEPSM_NS1_7vsmem_tEENKUlT_SK_SL_SM_E_clISE_PiSF_SF_EESJ_SZ_SK_SL_SM_EUlSZ_E_NS1_11comp_targetILNS1_3genE3ELNS1_11target_archE908ELNS1_3gpuE7ELNS1_3repE0EEENS1_48merge_mergepath_partition_config_static_selectorELNS0_4arch9wavefront6targetE1EEEvSL_
	.p2align	8
	.type	_ZN7rocprim17ROCPRIM_400000_NS6detail17trampoline_kernelINS0_14default_configENS1_38merge_sort_block_merge_config_selectorIiNS0_10empty_typeEEEZZNS1_27merge_sort_block_merge_implIS3_N6thrust23THRUST_200600_302600_NS6detail15normal_iteratorINS9_10device_ptrIiEEEEPS5_jNS1_19radix_merge_compareILb0ELb1EiNS0_19identity_decomposerEEEEE10hipError_tT0_T1_T2_jT3_P12ihipStream_tbPNSt15iterator_traitsISK_E10value_typeEPNSQ_ISL_E10value_typeEPSM_NS1_7vsmem_tEENKUlT_SK_SL_SM_E_clISE_PiSF_SF_EESJ_SZ_SK_SL_SM_EUlSZ_E_NS1_11comp_targetILNS1_3genE3ELNS1_11target_archE908ELNS1_3gpuE7ELNS1_3repE0EEENS1_48merge_mergepath_partition_config_static_selectorELNS0_4arch9wavefront6targetE1EEEvSL_,@function
_ZN7rocprim17ROCPRIM_400000_NS6detail17trampoline_kernelINS0_14default_configENS1_38merge_sort_block_merge_config_selectorIiNS0_10empty_typeEEEZZNS1_27merge_sort_block_merge_implIS3_N6thrust23THRUST_200600_302600_NS6detail15normal_iteratorINS9_10device_ptrIiEEEEPS5_jNS1_19radix_merge_compareILb0ELb1EiNS0_19identity_decomposerEEEEE10hipError_tT0_T1_T2_jT3_P12ihipStream_tbPNSt15iterator_traitsISK_E10value_typeEPNSQ_ISL_E10value_typeEPSM_NS1_7vsmem_tEENKUlT_SK_SL_SM_E_clISE_PiSF_SF_EESJ_SZ_SK_SL_SM_EUlSZ_E_NS1_11comp_targetILNS1_3genE3ELNS1_11target_archE908ELNS1_3gpuE7ELNS1_3repE0EEENS1_48merge_mergepath_partition_config_static_selectorELNS0_4arch9wavefront6targetE1EEEvSL_: ; @_ZN7rocprim17ROCPRIM_400000_NS6detail17trampoline_kernelINS0_14default_configENS1_38merge_sort_block_merge_config_selectorIiNS0_10empty_typeEEEZZNS1_27merge_sort_block_merge_implIS3_N6thrust23THRUST_200600_302600_NS6detail15normal_iteratorINS9_10device_ptrIiEEEEPS5_jNS1_19radix_merge_compareILb0ELb1EiNS0_19identity_decomposerEEEEE10hipError_tT0_T1_T2_jT3_P12ihipStream_tbPNSt15iterator_traitsISK_E10value_typeEPNSQ_ISL_E10value_typeEPSM_NS1_7vsmem_tEENKUlT_SK_SL_SM_E_clISE_PiSF_SF_EESJ_SZ_SK_SL_SM_EUlSZ_E_NS1_11comp_targetILNS1_3genE3ELNS1_11target_archE908ELNS1_3gpuE7ELNS1_3repE0EEENS1_48merge_mergepath_partition_config_static_selectorELNS0_4arch9wavefront6targetE1EEEvSL_
; %bb.0:
	.section	.rodata,"a",@progbits
	.p2align	6, 0x0
	.amdhsa_kernel _ZN7rocprim17ROCPRIM_400000_NS6detail17trampoline_kernelINS0_14default_configENS1_38merge_sort_block_merge_config_selectorIiNS0_10empty_typeEEEZZNS1_27merge_sort_block_merge_implIS3_N6thrust23THRUST_200600_302600_NS6detail15normal_iteratorINS9_10device_ptrIiEEEEPS5_jNS1_19radix_merge_compareILb0ELb1EiNS0_19identity_decomposerEEEEE10hipError_tT0_T1_T2_jT3_P12ihipStream_tbPNSt15iterator_traitsISK_E10value_typeEPNSQ_ISL_E10value_typeEPSM_NS1_7vsmem_tEENKUlT_SK_SL_SM_E_clISE_PiSF_SF_EESJ_SZ_SK_SL_SM_EUlSZ_E_NS1_11comp_targetILNS1_3genE3ELNS1_11target_archE908ELNS1_3gpuE7ELNS1_3repE0EEENS1_48merge_mergepath_partition_config_static_selectorELNS0_4arch9wavefront6targetE1EEEvSL_
		.amdhsa_group_segment_fixed_size 0
		.amdhsa_private_segment_fixed_size 0
		.amdhsa_kernarg_size 40
		.amdhsa_user_sgpr_count 2
		.amdhsa_user_sgpr_dispatch_ptr 0
		.amdhsa_user_sgpr_queue_ptr 0
		.amdhsa_user_sgpr_kernarg_segment_ptr 1
		.amdhsa_user_sgpr_dispatch_id 0
		.amdhsa_user_sgpr_kernarg_preload_length 0
		.amdhsa_user_sgpr_kernarg_preload_offset 0
		.amdhsa_user_sgpr_private_segment_size 0
		.amdhsa_uses_dynamic_stack 0
		.amdhsa_enable_private_segment 0
		.amdhsa_system_sgpr_workgroup_id_x 1
		.amdhsa_system_sgpr_workgroup_id_y 0
		.amdhsa_system_sgpr_workgroup_id_z 0
		.amdhsa_system_sgpr_workgroup_info 0
		.amdhsa_system_vgpr_workitem_id 0
		.amdhsa_next_free_vgpr 1
		.amdhsa_next_free_sgpr 0
		.amdhsa_accum_offset 4
		.amdhsa_reserve_vcc 0
		.amdhsa_float_round_mode_32 0
		.amdhsa_float_round_mode_16_64 0
		.amdhsa_float_denorm_mode_32 3
		.amdhsa_float_denorm_mode_16_64 3
		.amdhsa_dx10_clamp 1
		.amdhsa_ieee_mode 1
		.amdhsa_fp16_overflow 0
		.amdhsa_tg_split 0
		.amdhsa_exception_fp_ieee_invalid_op 0
		.amdhsa_exception_fp_denorm_src 0
		.amdhsa_exception_fp_ieee_div_zero 0
		.amdhsa_exception_fp_ieee_overflow 0
		.amdhsa_exception_fp_ieee_underflow 0
		.amdhsa_exception_fp_ieee_inexact 0
		.amdhsa_exception_int_div_zero 0
	.end_amdhsa_kernel
	.section	.text._ZN7rocprim17ROCPRIM_400000_NS6detail17trampoline_kernelINS0_14default_configENS1_38merge_sort_block_merge_config_selectorIiNS0_10empty_typeEEEZZNS1_27merge_sort_block_merge_implIS3_N6thrust23THRUST_200600_302600_NS6detail15normal_iteratorINS9_10device_ptrIiEEEEPS5_jNS1_19radix_merge_compareILb0ELb1EiNS0_19identity_decomposerEEEEE10hipError_tT0_T1_T2_jT3_P12ihipStream_tbPNSt15iterator_traitsISK_E10value_typeEPNSQ_ISL_E10value_typeEPSM_NS1_7vsmem_tEENKUlT_SK_SL_SM_E_clISE_PiSF_SF_EESJ_SZ_SK_SL_SM_EUlSZ_E_NS1_11comp_targetILNS1_3genE3ELNS1_11target_archE908ELNS1_3gpuE7ELNS1_3repE0EEENS1_48merge_mergepath_partition_config_static_selectorELNS0_4arch9wavefront6targetE1EEEvSL_,"axG",@progbits,_ZN7rocprim17ROCPRIM_400000_NS6detail17trampoline_kernelINS0_14default_configENS1_38merge_sort_block_merge_config_selectorIiNS0_10empty_typeEEEZZNS1_27merge_sort_block_merge_implIS3_N6thrust23THRUST_200600_302600_NS6detail15normal_iteratorINS9_10device_ptrIiEEEEPS5_jNS1_19radix_merge_compareILb0ELb1EiNS0_19identity_decomposerEEEEE10hipError_tT0_T1_T2_jT3_P12ihipStream_tbPNSt15iterator_traitsISK_E10value_typeEPNSQ_ISL_E10value_typeEPSM_NS1_7vsmem_tEENKUlT_SK_SL_SM_E_clISE_PiSF_SF_EESJ_SZ_SK_SL_SM_EUlSZ_E_NS1_11comp_targetILNS1_3genE3ELNS1_11target_archE908ELNS1_3gpuE7ELNS1_3repE0EEENS1_48merge_mergepath_partition_config_static_selectorELNS0_4arch9wavefront6targetE1EEEvSL_,comdat
.Lfunc_end1699:
	.size	_ZN7rocprim17ROCPRIM_400000_NS6detail17trampoline_kernelINS0_14default_configENS1_38merge_sort_block_merge_config_selectorIiNS0_10empty_typeEEEZZNS1_27merge_sort_block_merge_implIS3_N6thrust23THRUST_200600_302600_NS6detail15normal_iteratorINS9_10device_ptrIiEEEEPS5_jNS1_19radix_merge_compareILb0ELb1EiNS0_19identity_decomposerEEEEE10hipError_tT0_T1_T2_jT3_P12ihipStream_tbPNSt15iterator_traitsISK_E10value_typeEPNSQ_ISL_E10value_typeEPSM_NS1_7vsmem_tEENKUlT_SK_SL_SM_E_clISE_PiSF_SF_EESJ_SZ_SK_SL_SM_EUlSZ_E_NS1_11comp_targetILNS1_3genE3ELNS1_11target_archE908ELNS1_3gpuE7ELNS1_3repE0EEENS1_48merge_mergepath_partition_config_static_selectorELNS0_4arch9wavefront6targetE1EEEvSL_, .Lfunc_end1699-_ZN7rocprim17ROCPRIM_400000_NS6detail17trampoline_kernelINS0_14default_configENS1_38merge_sort_block_merge_config_selectorIiNS0_10empty_typeEEEZZNS1_27merge_sort_block_merge_implIS3_N6thrust23THRUST_200600_302600_NS6detail15normal_iteratorINS9_10device_ptrIiEEEEPS5_jNS1_19radix_merge_compareILb0ELb1EiNS0_19identity_decomposerEEEEE10hipError_tT0_T1_T2_jT3_P12ihipStream_tbPNSt15iterator_traitsISK_E10value_typeEPNSQ_ISL_E10value_typeEPSM_NS1_7vsmem_tEENKUlT_SK_SL_SM_E_clISE_PiSF_SF_EESJ_SZ_SK_SL_SM_EUlSZ_E_NS1_11comp_targetILNS1_3genE3ELNS1_11target_archE908ELNS1_3gpuE7ELNS1_3repE0EEENS1_48merge_mergepath_partition_config_static_selectorELNS0_4arch9wavefront6targetE1EEEvSL_
                                        ; -- End function
	.section	.AMDGPU.csdata,"",@progbits
; Kernel info:
; codeLenInByte = 0
; NumSgprs: 6
; NumVgprs: 0
; NumAgprs: 0
; TotalNumVgprs: 0
; ScratchSize: 0
; MemoryBound: 0
; FloatMode: 240
; IeeeMode: 1
; LDSByteSize: 0 bytes/workgroup (compile time only)
; SGPRBlocks: 0
; VGPRBlocks: 0
; NumSGPRsForWavesPerEU: 6
; NumVGPRsForWavesPerEU: 1
; AccumOffset: 4
; Occupancy: 8
; WaveLimiterHint : 0
; COMPUTE_PGM_RSRC2:SCRATCH_EN: 0
; COMPUTE_PGM_RSRC2:USER_SGPR: 2
; COMPUTE_PGM_RSRC2:TRAP_HANDLER: 0
; COMPUTE_PGM_RSRC2:TGID_X_EN: 1
; COMPUTE_PGM_RSRC2:TGID_Y_EN: 0
; COMPUTE_PGM_RSRC2:TGID_Z_EN: 0
; COMPUTE_PGM_RSRC2:TIDIG_COMP_CNT: 0
; COMPUTE_PGM_RSRC3_GFX90A:ACCUM_OFFSET: 0
; COMPUTE_PGM_RSRC3_GFX90A:TG_SPLIT: 0
	.section	.text._ZN7rocprim17ROCPRIM_400000_NS6detail17trampoline_kernelINS0_14default_configENS1_38merge_sort_block_merge_config_selectorIiNS0_10empty_typeEEEZZNS1_27merge_sort_block_merge_implIS3_N6thrust23THRUST_200600_302600_NS6detail15normal_iteratorINS9_10device_ptrIiEEEEPS5_jNS1_19radix_merge_compareILb0ELb1EiNS0_19identity_decomposerEEEEE10hipError_tT0_T1_T2_jT3_P12ihipStream_tbPNSt15iterator_traitsISK_E10value_typeEPNSQ_ISL_E10value_typeEPSM_NS1_7vsmem_tEENKUlT_SK_SL_SM_E_clISE_PiSF_SF_EESJ_SZ_SK_SL_SM_EUlSZ_E_NS1_11comp_targetILNS1_3genE2ELNS1_11target_archE906ELNS1_3gpuE6ELNS1_3repE0EEENS1_48merge_mergepath_partition_config_static_selectorELNS0_4arch9wavefront6targetE1EEEvSL_,"axG",@progbits,_ZN7rocprim17ROCPRIM_400000_NS6detail17trampoline_kernelINS0_14default_configENS1_38merge_sort_block_merge_config_selectorIiNS0_10empty_typeEEEZZNS1_27merge_sort_block_merge_implIS3_N6thrust23THRUST_200600_302600_NS6detail15normal_iteratorINS9_10device_ptrIiEEEEPS5_jNS1_19radix_merge_compareILb0ELb1EiNS0_19identity_decomposerEEEEE10hipError_tT0_T1_T2_jT3_P12ihipStream_tbPNSt15iterator_traitsISK_E10value_typeEPNSQ_ISL_E10value_typeEPSM_NS1_7vsmem_tEENKUlT_SK_SL_SM_E_clISE_PiSF_SF_EESJ_SZ_SK_SL_SM_EUlSZ_E_NS1_11comp_targetILNS1_3genE2ELNS1_11target_archE906ELNS1_3gpuE6ELNS1_3repE0EEENS1_48merge_mergepath_partition_config_static_selectorELNS0_4arch9wavefront6targetE1EEEvSL_,comdat
	.protected	_ZN7rocprim17ROCPRIM_400000_NS6detail17trampoline_kernelINS0_14default_configENS1_38merge_sort_block_merge_config_selectorIiNS0_10empty_typeEEEZZNS1_27merge_sort_block_merge_implIS3_N6thrust23THRUST_200600_302600_NS6detail15normal_iteratorINS9_10device_ptrIiEEEEPS5_jNS1_19radix_merge_compareILb0ELb1EiNS0_19identity_decomposerEEEEE10hipError_tT0_T1_T2_jT3_P12ihipStream_tbPNSt15iterator_traitsISK_E10value_typeEPNSQ_ISL_E10value_typeEPSM_NS1_7vsmem_tEENKUlT_SK_SL_SM_E_clISE_PiSF_SF_EESJ_SZ_SK_SL_SM_EUlSZ_E_NS1_11comp_targetILNS1_3genE2ELNS1_11target_archE906ELNS1_3gpuE6ELNS1_3repE0EEENS1_48merge_mergepath_partition_config_static_selectorELNS0_4arch9wavefront6targetE1EEEvSL_ ; -- Begin function _ZN7rocprim17ROCPRIM_400000_NS6detail17trampoline_kernelINS0_14default_configENS1_38merge_sort_block_merge_config_selectorIiNS0_10empty_typeEEEZZNS1_27merge_sort_block_merge_implIS3_N6thrust23THRUST_200600_302600_NS6detail15normal_iteratorINS9_10device_ptrIiEEEEPS5_jNS1_19radix_merge_compareILb0ELb1EiNS0_19identity_decomposerEEEEE10hipError_tT0_T1_T2_jT3_P12ihipStream_tbPNSt15iterator_traitsISK_E10value_typeEPNSQ_ISL_E10value_typeEPSM_NS1_7vsmem_tEENKUlT_SK_SL_SM_E_clISE_PiSF_SF_EESJ_SZ_SK_SL_SM_EUlSZ_E_NS1_11comp_targetILNS1_3genE2ELNS1_11target_archE906ELNS1_3gpuE6ELNS1_3repE0EEENS1_48merge_mergepath_partition_config_static_selectorELNS0_4arch9wavefront6targetE1EEEvSL_
	.globl	_ZN7rocprim17ROCPRIM_400000_NS6detail17trampoline_kernelINS0_14default_configENS1_38merge_sort_block_merge_config_selectorIiNS0_10empty_typeEEEZZNS1_27merge_sort_block_merge_implIS3_N6thrust23THRUST_200600_302600_NS6detail15normal_iteratorINS9_10device_ptrIiEEEEPS5_jNS1_19radix_merge_compareILb0ELb1EiNS0_19identity_decomposerEEEEE10hipError_tT0_T1_T2_jT3_P12ihipStream_tbPNSt15iterator_traitsISK_E10value_typeEPNSQ_ISL_E10value_typeEPSM_NS1_7vsmem_tEENKUlT_SK_SL_SM_E_clISE_PiSF_SF_EESJ_SZ_SK_SL_SM_EUlSZ_E_NS1_11comp_targetILNS1_3genE2ELNS1_11target_archE906ELNS1_3gpuE6ELNS1_3repE0EEENS1_48merge_mergepath_partition_config_static_selectorELNS0_4arch9wavefront6targetE1EEEvSL_
	.p2align	8
	.type	_ZN7rocprim17ROCPRIM_400000_NS6detail17trampoline_kernelINS0_14default_configENS1_38merge_sort_block_merge_config_selectorIiNS0_10empty_typeEEEZZNS1_27merge_sort_block_merge_implIS3_N6thrust23THRUST_200600_302600_NS6detail15normal_iteratorINS9_10device_ptrIiEEEEPS5_jNS1_19radix_merge_compareILb0ELb1EiNS0_19identity_decomposerEEEEE10hipError_tT0_T1_T2_jT3_P12ihipStream_tbPNSt15iterator_traitsISK_E10value_typeEPNSQ_ISL_E10value_typeEPSM_NS1_7vsmem_tEENKUlT_SK_SL_SM_E_clISE_PiSF_SF_EESJ_SZ_SK_SL_SM_EUlSZ_E_NS1_11comp_targetILNS1_3genE2ELNS1_11target_archE906ELNS1_3gpuE6ELNS1_3repE0EEENS1_48merge_mergepath_partition_config_static_selectorELNS0_4arch9wavefront6targetE1EEEvSL_,@function
_ZN7rocprim17ROCPRIM_400000_NS6detail17trampoline_kernelINS0_14default_configENS1_38merge_sort_block_merge_config_selectorIiNS0_10empty_typeEEEZZNS1_27merge_sort_block_merge_implIS3_N6thrust23THRUST_200600_302600_NS6detail15normal_iteratorINS9_10device_ptrIiEEEEPS5_jNS1_19radix_merge_compareILb0ELb1EiNS0_19identity_decomposerEEEEE10hipError_tT0_T1_T2_jT3_P12ihipStream_tbPNSt15iterator_traitsISK_E10value_typeEPNSQ_ISL_E10value_typeEPSM_NS1_7vsmem_tEENKUlT_SK_SL_SM_E_clISE_PiSF_SF_EESJ_SZ_SK_SL_SM_EUlSZ_E_NS1_11comp_targetILNS1_3genE2ELNS1_11target_archE906ELNS1_3gpuE6ELNS1_3repE0EEENS1_48merge_mergepath_partition_config_static_selectorELNS0_4arch9wavefront6targetE1EEEvSL_: ; @_ZN7rocprim17ROCPRIM_400000_NS6detail17trampoline_kernelINS0_14default_configENS1_38merge_sort_block_merge_config_selectorIiNS0_10empty_typeEEEZZNS1_27merge_sort_block_merge_implIS3_N6thrust23THRUST_200600_302600_NS6detail15normal_iteratorINS9_10device_ptrIiEEEEPS5_jNS1_19radix_merge_compareILb0ELb1EiNS0_19identity_decomposerEEEEE10hipError_tT0_T1_T2_jT3_P12ihipStream_tbPNSt15iterator_traitsISK_E10value_typeEPNSQ_ISL_E10value_typeEPSM_NS1_7vsmem_tEENKUlT_SK_SL_SM_E_clISE_PiSF_SF_EESJ_SZ_SK_SL_SM_EUlSZ_E_NS1_11comp_targetILNS1_3genE2ELNS1_11target_archE906ELNS1_3gpuE6ELNS1_3repE0EEENS1_48merge_mergepath_partition_config_static_selectorELNS0_4arch9wavefront6targetE1EEEvSL_
; %bb.0:
	.section	.rodata,"a",@progbits
	.p2align	6, 0x0
	.amdhsa_kernel _ZN7rocprim17ROCPRIM_400000_NS6detail17trampoline_kernelINS0_14default_configENS1_38merge_sort_block_merge_config_selectorIiNS0_10empty_typeEEEZZNS1_27merge_sort_block_merge_implIS3_N6thrust23THRUST_200600_302600_NS6detail15normal_iteratorINS9_10device_ptrIiEEEEPS5_jNS1_19radix_merge_compareILb0ELb1EiNS0_19identity_decomposerEEEEE10hipError_tT0_T1_T2_jT3_P12ihipStream_tbPNSt15iterator_traitsISK_E10value_typeEPNSQ_ISL_E10value_typeEPSM_NS1_7vsmem_tEENKUlT_SK_SL_SM_E_clISE_PiSF_SF_EESJ_SZ_SK_SL_SM_EUlSZ_E_NS1_11comp_targetILNS1_3genE2ELNS1_11target_archE906ELNS1_3gpuE6ELNS1_3repE0EEENS1_48merge_mergepath_partition_config_static_selectorELNS0_4arch9wavefront6targetE1EEEvSL_
		.amdhsa_group_segment_fixed_size 0
		.amdhsa_private_segment_fixed_size 0
		.amdhsa_kernarg_size 40
		.amdhsa_user_sgpr_count 2
		.amdhsa_user_sgpr_dispatch_ptr 0
		.amdhsa_user_sgpr_queue_ptr 0
		.amdhsa_user_sgpr_kernarg_segment_ptr 1
		.amdhsa_user_sgpr_dispatch_id 0
		.amdhsa_user_sgpr_kernarg_preload_length 0
		.amdhsa_user_sgpr_kernarg_preload_offset 0
		.amdhsa_user_sgpr_private_segment_size 0
		.amdhsa_uses_dynamic_stack 0
		.amdhsa_enable_private_segment 0
		.amdhsa_system_sgpr_workgroup_id_x 1
		.amdhsa_system_sgpr_workgroup_id_y 0
		.amdhsa_system_sgpr_workgroup_id_z 0
		.amdhsa_system_sgpr_workgroup_info 0
		.amdhsa_system_vgpr_workitem_id 0
		.amdhsa_next_free_vgpr 1
		.amdhsa_next_free_sgpr 0
		.amdhsa_accum_offset 4
		.amdhsa_reserve_vcc 0
		.amdhsa_float_round_mode_32 0
		.amdhsa_float_round_mode_16_64 0
		.amdhsa_float_denorm_mode_32 3
		.amdhsa_float_denorm_mode_16_64 3
		.amdhsa_dx10_clamp 1
		.amdhsa_ieee_mode 1
		.amdhsa_fp16_overflow 0
		.amdhsa_tg_split 0
		.amdhsa_exception_fp_ieee_invalid_op 0
		.amdhsa_exception_fp_denorm_src 0
		.amdhsa_exception_fp_ieee_div_zero 0
		.amdhsa_exception_fp_ieee_overflow 0
		.amdhsa_exception_fp_ieee_underflow 0
		.amdhsa_exception_fp_ieee_inexact 0
		.amdhsa_exception_int_div_zero 0
	.end_amdhsa_kernel
	.section	.text._ZN7rocprim17ROCPRIM_400000_NS6detail17trampoline_kernelINS0_14default_configENS1_38merge_sort_block_merge_config_selectorIiNS0_10empty_typeEEEZZNS1_27merge_sort_block_merge_implIS3_N6thrust23THRUST_200600_302600_NS6detail15normal_iteratorINS9_10device_ptrIiEEEEPS5_jNS1_19radix_merge_compareILb0ELb1EiNS0_19identity_decomposerEEEEE10hipError_tT0_T1_T2_jT3_P12ihipStream_tbPNSt15iterator_traitsISK_E10value_typeEPNSQ_ISL_E10value_typeEPSM_NS1_7vsmem_tEENKUlT_SK_SL_SM_E_clISE_PiSF_SF_EESJ_SZ_SK_SL_SM_EUlSZ_E_NS1_11comp_targetILNS1_3genE2ELNS1_11target_archE906ELNS1_3gpuE6ELNS1_3repE0EEENS1_48merge_mergepath_partition_config_static_selectorELNS0_4arch9wavefront6targetE1EEEvSL_,"axG",@progbits,_ZN7rocprim17ROCPRIM_400000_NS6detail17trampoline_kernelINS0_14default_configENS1_38merge_sort_block_merge_config_selectorIiNS0_10empty_typeEEEZZNS1_27merge_sort_block_merge_implIS3_N6thrust23THRUST_200600_302600_NS6detail15normal_iteratorINS9_10device_ptrIiEEEEPS5_jNS1_19radix_merge_compareILb0ELb1EiNS0_19identity_decomposerEEEEE10hipError_tT0_T1_T2_jT3_P12ihipStream_tbPNSt15iterator_traitsISK_E10value_typeEPNSQ_ISL_E10value_typeEPSM_NS1_7vsmem_tEENKUlT_SK_SL_SM_E_clISE_PiSF_SF_EESJ_SZ_SK_SL_SM_EUlSZ_E_NS1_11comp_targetILNS1_3genE2ELNS1_11target_archE906ELNS1_3gpuE6ELNS1_3repE0EEENS1_48merge_mergepath_partition_config_static_selectorELNS0_4arch9wavefront6targetE1EEEvSL_,comdat
.Lfunc_end1700:
	.size	_ZN7rocprim17ROCPRIM_400000_NS6detail17trampoline_kernelINS0_14default_configENS1_38merge_sort_block_merge_config_selectorIiNS0_10empty_typeEEEZZNS1_27merge_sort_block_merge_implIS3_N6thrust23THRUST_200600_302600_NS6detail15normal_iteratorINS9_10device_ptrIiEEEEPS5_jNS1_19radix_merge_compareILb0ELb1EiNS0_19identity_decomposerEEEEE10hipError_tT0_T1_T2_jT3_P12ihipStream_tbPNSt15iterator_traitsISK_E10value_typeEPNSQ_ISL_E10value_typeEPSM_NS1_7vsmem_tEENKUlT_SK_SL_SM_E_clISE_PiSF_SF_EESJ_SZ_SK_SL_SM_EUlSZ_E_NS1_11comp_targetILNS1_3genE2ELNS1_11target_archE906ELNS1_3gpuE6ELNS1_3repE0EEENS1_48merge_mergepath_partition_config_static_selectorELNS0_4arch9wavefront6targetE1EEEvSL_, .Lfunc_end1700-_ZN7rocprim17ROCPRIM_400000_NS6detail17trampoline_kernelINS0_14default_configENS1_38merge_sort_block_merge_config_selectorIiNS0_10empty_typeEEEZZNS1_27merge_sort_block_merge_implIS3_N6thrust23THRUST_200600_302600_NS6detail15normal_iteratorINS9_10device_ptrIiEEEEPS5_jNS1_19radix_merge_compareILb0ELb1EiNS0_19identity_decomposerEEEEE10hipError_tT0_T1_T2_jT3_P12ihipStream_tbPNSt15iterator_traitsISK_E10value_typeEPNSQ_ISL_E10value_typeEPSM_NS1_7vsmem_tEENKUlT_SK_SL_SM_E_clISE_PiSF_SF_EESJ_SZ_SK_SL_SM_EUlSZ_E_NS1_11comp_targetILNS1_3genE2ELNS1_11target_archE906ELNS1_3gpuE6ELNS1_3repE0EEENS1_48merge_mergepath_partition_config_static_selectorELNS0_4arch9wavefront6targetE1EEEvSL_
                                        ; -- End function
	.section	.AMDGPU.csdata,"",@progbits
; Kernel info:
; codeLenInByte = 0
; NumSgprs: 6
; NumVgprs: 0
; NumAgprs: 0
; TotalNumVgprs: 0
; ScratchSize: 0
; MemoryBound: 0
; FloatMode: 240
; IeeeMode: 1
; LDSByteSize: 0 bytes/workgroup (compile time only)
; SGPRBlocks: 0
; VGPRBlocks: 0
; NumSGPRsForWavesPerEU: 6
; NumVGPRsForWavesPerEU: 1
; AccumOffset: 4
; Occupancy: 8
; WaveLimiterHint : 0
; COMPUTE_PGM_RSRC2:SCRATCH_EN: 0
; COMPUTE_PGM_RSRC2:USER_SGPR: 2
; COMPUTE_PGM_RSRC2:TRAP_HANDLER: 0
; COMPUTE_PGM_RSRC2:TGID_X_EN: 1
; COMPUTE_PGM_RSRC2:TGID_Y_EN: 0
; COMPUTE_PGM_RSRC2:TGID_Z_EN: 0
; COMPUTE_PGM_RSRC2:TIDIG_COMP_CNT: 0
; COMPUTE_PGM_RSRC3_GFX90A:ACCUM_OFFSET: 0
; COMPUTE_PGM_RSRC3_GFX90A:TG_SPLIT: 0
	.section	.text._ZN7rocprim17ROCPRIM_400000_NS6detail17trampoline_kernelINS0_14default_configENS1_38merge_sort_block_merge_config_selectorIiNS0_10empty_typeEEEZZNS1_27merge_sort_block_merge_implIS3_N6thrust23THRUST_200600_302600_NS6detail15normal_iteratorINS9_10device_ptrIiEEEEPS5_jNS1_19radix_merge_compareILb0ELb1EiNS0_19identity_decomposerEEEEE10hipError_tT0_T1_T2_jT3_P12ihipStream_tbPNSt15iterator_traitsISK_E10value_typeEPNSQ_ISL_E10value_typeEPSM_NS1_7vsmem_tEENKUlT_SK_SL_SM_E_clISE_PiSF_SF_EESJ_SZ_SK_SL_SM_EUlSZ_E_NS1_11comp_targetILNS1_3genE9ELNS1_11target_archE1100ELNS1_3gpuE3ELNS1_3repE0EEENS1_48merge_mergepath_partition_config_static_selectorELNS0_4arch9wavefront6targetE1EEEvSL_,"axG",@progbits,_ZN7rocprim17ROCPRIM_400000_NS6detail17trampoline_kernelINS0_14default_configENS1_38merge_sort_block_merge_config_selectorIiNS0_10empty_typeEEEZZNS1_27merge_sort_block_merge_implIS3_N6thrust23THRUST_200600_302600_NS6detail15normal_iteratorINS9_10device_ptrIiEEEEPS5_jNS1_19radix_merge_compareILb0ELb1EiNS0_19identity_decomposerEEEEE10hipError_tT0_T1_T2_jT3_P12ihipStream_tbPNSt15iterator_traitsISK_E10value_typeEPNSQ_ISL_E10value_typeEPSM_NS1_7vsmem_tEENKUlT_SK_SL_SM_E_clISE_PiSF_SF_EESJ_SZ_SK_SL_SM_EUlSZ_E_NS1_11comp_targetILNS1_3genE9ELNS1_11target_archE1100ELNS1_3gpuE3ELNS1_3repE0EEENS1_48merge_mergepath_partition_config_static_selectorELNS0_4arch9wavefront6targetE1EEEvSL_,comdat
	.protected	_ZN7rocprim17ROCPRIM_400000_NS6detail17trampoline_kernelINS0_14default_configENS1_38merge_sort_block_merge_config_selectorIiNS0_10empty_typeEEEZZNS1_27merge_sort_block_merge_implIS3_N6thrust23THRUST_200600_302600_NS6detail15normal_iteratorINS9_10device_ptrIiEEEEPS5_jNS1_19radix_merge_compareILb0ELb1EiNS0_19identity_decomposerEEEEE10hipError_tT0_T1_T2_jT3_P12ihipStream_tbPNSt15iterator_traitsISK_E10value_typeEPNSQ_ISL_E10value_typeEPSM_NS1_7vsmem_tEENKUlT_SK_SL_SM_E_clISE_PiSF_SF_EESJ_SZ_SK_SL_SM_EUlSZ_E_NS1_11comp_targetILNS1_3genE9ELNS1_11target_archE1100ELNS1_3gpuE3ELNS1_3repE0EEENS1_48merge_mergepath_partition_config_static_selectorELNS0_4arch9wavefront6targetE1EEEvSL_ ; -- Begin function _ZN7rocprim17ROCPRIM_400000_NS6detail17trampoline_kernelINS0_14default_configENS1_38merge_sort_block_merge_config_selectorIiNS0_10empty_typeEEEZZNS1_27merge_sort_block_merge_implIS3_N6thrust23THRUST_200600_302600_NS6detail15normal_iteratorINS9_10device_ptrIiEEEEPS5_jNS1_19radix_merge_compareILb0ELb1EiNS0_19identity_decomposerEEEEE10hipError_tT0_T1_T2_jT3_P12ihipStream_tbPNSt15iterator_traitsISK_E10value_typeEPNSQ_ISL_E10value_typeEPSM_NS1_7vsmem_tEENKUlT_SK_SL_SM_E_clISE_PiSF_SF_EESJ_SZ_SK_SL_SM_EUlSZ_E_NS1_11comp_targetILNS1_3genE9ELNS1_11target_archE1100ELNS1_3gpuE3ELNS1_3repE0EEENS1_48merge_mergepath_partition_config_static_selectorELNS0_4arch9wavefront6targetE1EEEvSL_
	.globl	_ZN7rocprim17ROCPRIM_400000_NS6detail17trampoline_kernelINS0_14default_configENS1_38merge_sort_block_merge_config_selectorIiNS0_10empty_typeEEEZZNS1_27merge_sort_block_merge_implIS3_N6thrust23THRUST_200600_302600_NS6detail15normal_iteratorINS9_10device_ptrIiEEEEPS5_jNS1_19radix_merge_compareILb0ELb1EiNS0_19identity_decomposerEEEEE10hipError_tT0_T1_T2_jT3_P12ihipStream_tbPNSt15iterator_traitsISK_E10value_typeEPNSQ_ISL_E10value_typeEPSM_NS1_7vsmem_tEENKUlT_SK_SL_SM_E_clISE_PiSF_SF_EESJ_SZ_SK_SL_SM_EUlSZ_E_NS1_11comp_targetILNS1_3genE9ELNS1_11target_archE1100ELNS1_3gpuE3ELNS1_3repE0EEENS1_48merge_mergepath_partition_config_static_selectorELNS0_4arch9wavefront6targetE1EEEvSL_
	.p2align	8
	.type	_ZN7rocprim17ROCPRIM_400000_NS6detail17trampoline_kernelINS0_14default_configENS1_38merge_sort_block_merge_config_selectorIiNS0_10empty_typeEEEZZNS1_27merge_sort_block_merge_implIS3_N6thrust23THRUST_200600_302600_NS6detail15normal_iteratorINS9_10device_ptrIiEEEEPS5_jNS1_19radix_merge_compareILb0ELb1EiNS0_19identity_decomposerEEEEE10hipError_tT0_T1_T2_jT3_P12ihipStream_tbPNSt15iterator_traitsISK_E10value_typeEPNSQ_ISL_E10value_typeEPSM_NS1_7vsmem_tEENKUlT_SK_SL_SM_E_clISE_PiSF_SF_EESJ_SZ_SK_SL_SM_EUlSZ_E_NS1_11comp_targetILNS1_3genE9ELNS1_11target_archE1100ELNS1_3gpuE3ELNS1_3repE0EEENS1_48merge_mergepath_partition_config_static_selectorELNS0_4arch9wavefront6targetE1EEEvSL_,@function
_ZN7rocprim17ROCPRIM_400000_NS6detail17trampoline_kernelINS0_14default_configENS1_38merge_sort_block_merge_config_selectorIiNS0_10empty_typeEEEZZNS1_27merge_sort_block_merge_implIS3_N6thrust23THRUST_200600_302600_NS6detail15normal_iteratorINS9_10device_ptrIiEEEEPS5_jNS1_19radix_merge_compareILb0ELb1EiNS0_19identity_decomposerEEEEE10hipError_tT0_T1_T2_jT3_P12ihipStream_tbPNSt15iterator_traitsISK_E10value_typeEPNSQ_ISL_E10value_typeEPSM_NS1_7vsmem_tEENKUlT_SK_SL_SM_E_clISE_PiSF_SF_EESJ_SZ_SK_SL_SM_EUlSZ_E_NS1_11comp_targetILNS1_3genE9ELNS1_11target_archE1100ELNS1_3gpuE3ELNS1_3repE0EEENS1_48merge_mergepath_partition_config_static_selectorELNS0_4arch9wavefront6targetE1EEEvSL_: ; @_ZN7rocprim17ROCPRIM_400000_NS6detail17trampoline_kernelINS0_14default_configENS1_38merge_sort_block_merge_config_selectorIiNS0_10empty_typeEEEZZNS1_27merge_sort_block_merge_implIS3_N6thrust23THRUST_200600_302600_NS6detail15normal_iteratorINS9_10device_ptrIiEEEEPS5_jNS1_19radix_merge_compareILb0ELb1EiNS0_19identity_decomposerEEEEE10hipError_tT0_T1_T2_jT3_P12ihipStream_tbPNSt15iterator_traitsISK_E10value_typeEPNSQ_ISL_E10value_typeEPSM_NS1_7vsmem_tEENKUlT_SK_SL_SM_E_clISE_PiSF_SF_EESJ_SZ_SK_SL_SM_EUlSZ_E_NS1_11comp_targetILNS1_3genE9ELNS1_11target_archE1100ELNS1_3gpuE3ELNS1_3repE0EEENS1_48merge_mergepath_partition_config_static_selectorELNS0_4arch9wavefront6targetE1EEEvSL_
; %bb.0:
	.section	.rodata,"a",@progbits
	.p2align	6, 0x0
	.amdhsa_kernel _ZN7rocprim17ROCPRIM_400000_NS6detail17trampoline_kernelINS0_14default_configENS1_38merge_sort_block_merge_config_selectorIiNS0_10empty_typeEEEZZNS1_27merge_sort_block_merge_implIS3_N6thrust23THRUST_200600_302600_NS6detail15normal_iteratorINS9_10device_ptrIiEEEEPS5_jNS1_19radix_merge_compareILb0ELb1EiNS0_19identity_decomposerEEEEE10hipError_tT0_T1_T2_jT3_P12ihipStream_tbPNSt15iterator_traitsISK_E10value_typeEPNSQ_ISL_E10value_typeEPSM_NS1_7vsmem_tEENKUlT_SK_SL_SM_E_clISE_PiSF_SF_EESJ_SZ_SK_SL_SM_EUlSZ_E_NS1_11comp_targetILNS1_3genE9ELNS1_11target_archE1100ELNS1_3gpuE3ELNS1_3repE0EEENS1_48merge_mergepath_partition_config_static_selectorELNS0_4arch9wavefront6targetE1EEEvSL_
		.amdhsa_group_segment_fixed_size 0
		.amdhsa_private_segment_fixed_size 0
		.amdhsa_kernarg_size 40
		.amdhsa_user_sgpr_count 2
		.amdhsa_user_sgpr_dispatch_ptr 0
		.amdhsa_user_sgpr_queue_ptr 0
		.amdhsa_user_sgpr_kernarg_segment_ptr 1
		.amdhsa_user_sgpr_dispatch_id 0
		.amdhsa_user_sgpr_kernarg_preload_length 0
		.amdhsa_user_sgpr_kernarg_preload_offset 0
		.amdhsa_user_sgpr_private_segment_size 0
		.amdhsa_uses_dynamic_stack 0
		.amdhsa_enable_private_segment 0
		.amdhsa_system_sgpr_workgroup_id_x 1
		.amdhsa_system_sgpr_workgroup_id_y 0
		.amdhsa_system_sgpr_workgroup_id_z 0
		.amdhsa_system_sgpr_workgroup_info 0
		.amdhsa_system_vgpr_workitem_id 0
		.amdhsa_next_free_vgpr 1
		.amdhsa_next_free_sgpr 0
		.amdhsa_accum_offset 4
		.amdhsa_reserve_vcc 0
		.amdhsa_float_round_mode_32 0
		.amdhsa_float_round_mode_16_64 0
		.amdhsa_float_denorm_mode_32 3
		.amdhsa_float_denorm_mode_16_64 3
		.amdhsa_dx10_clamp 1
		.amdhsa_ieee_mode 1
		.amdhsa_fp16_overflow 0
		.amdhsa_tg_split 0
		.amdhsa_exception_fp_ieee_invalid_op 0
		.amdhsa_exception_fp_denorm_src 0
		.amdhsa_exception_fp_ieee_div_zero 0
		.amdhsa_exception_fp_ieee_overflow 0
		.amdhsa_exception_fp_ieee_underflow 0
		.amdhsa_exception_fp_ieee_inexact 0
		.amdhsa_exception_int_div_zero 0
	.end_amdhsa_kernel
	.section	.text._ZN7rocprim17ROCPRIM_400000_NS6detail17trampoline_kernelINS0_14default_configENS1_38merge_sort_block_merge_config_selectorIiNS0_10empty_typeEEEZZNS1_27merge_sort_block_merge_implIS3_N6thrust23THRUST_200600_302600_NS6detail15normal_iteratorINS9_10device_ptrIiEEEEPS5_jNS1_19radix_merge_compareILb0ELb1EiNS0_19identity_decomposerEEEEE10hipError_tT0_T1_T2_jT3_P12ihipStream_tbPNSt15iterator_traitsISK_E10value_typeEPNSQ_ISL_E10value_typeEPSM_NS1_7vsmem_tEENKUlT_SK_SL_SM_E_clISE_PiSF_SF_EESJ_SZ_SK_SL_SM_EUlSZ_E_NS1_11comp_targetILNS1_3genE9ELNS1_11target_archE1100ELNS1_3gpuE3ELNS1_3repE0EEENS1_48merge_mergepath_partition_config_static_selectorELNS0_4arch9wavefront6targetE1EEEvSL_,"axG",@progbits,_ZN7rocprim17ROCPRIM_400000_NS6detail17trampoline_kernelINS0_14default_configENS1_38merge_sort_block_merge_config_selectorIiNS0_10empty_typeEEEZZNS1_27merge_sort_block_merge_implIS3_N6thrust23THRUST_200600_302600_NS6detail15normal_iteratorINS9_10device_ptrIiEEEEPS5_jNS1_19radix_merge_compareILb0ELb1EiNS0_19identity_decomposerEEEEE10hipError_tT0_T1_T2_jT3_P12ihipStream_tbPNSt15iterator_traitsISK_E10value_typeEPNSQ_ISL_E10value_typeEPSM_NS1_7vsmem_tEENKUlT_SK_SL_SM_E_clISE_PiSF_SF_EESJ_SZ_SK_SL_SM_EUlSZ_E_NS1_11comp_targetILNS1_3genE9ELNS1_11target_archE1100ELNS1_3gpuE3ELNS1_3repE0EEENS1_48merge_mergepath_partition_config_static_selectorELNS0_4arch9wavefront6targetE1EEEvSL_,comdat
.Lfunc_end1701:
	.size	_ZN7rocprim17ROCPRIM_400000_NS6detail17trampoline_kernelINS0_14default_configENS1_38merge_sort_block_merge_config_selectorIiNS0_10empty_typeEEEZZNS1_27merge_sort_block_merge_implIS3_N6thrust23THRUST_200600_302600_NS6detail15normal_iteratorINS9_10device_ptrIiEEEEPS5_jNS1_19radix_merge_compareILb0ELb1EiNS0_19identity_decomposerEEEEE10hipError_tT0_T1_T2_jT3_P12ihipStream_tbPNSt15iterator_traitsISK_E10value_typeEPNSQ_ISL_E10value_typeEPSM_NS1_7vsmem_tEENKUlT_SK_SL_SM_E_clISE_PiSF_SF_EESJ_SZ_SK_SL_SM_EUlSZ_E_NS1_11comp_targetILNS1_3genE9ELNS1_11target_archE1100ELNS1_3gpuE3ELNS1_3repE0EEENS1_48merge_mergepath_partition_config_static_selectorELNS0_4arch9wavefront6targetE1EEEvSL_, .Lfunc_end1701-_ZN7rocprim17ROCPRIM_400000_NS6detail17trampoline_kernelINS0_14default_configENS1_38merge_sort_block_merge_config_selectorIiNS0_10empty_typeEEEZZNS1_27merge_sort_block_merge_implIS3_N6thrust23THRUST_200600_302600_NS6detail15normal_iteratorINS9_10device_ptrIiEEEEPS5_jNS1_19radix_merge_compareILb0ELb1EiNS0_19identity_decomposerEEEEE10hipError_tT0_T1_T2_jT3_P12ihipStream_tbPNSt15iterator_traitsISK_E10value_typeEPNSQ_ISL_E10value_typeEPSM_NS1_7vsmem_tEENKUlT_SK_SL_SM_E_clISE_PiSF_SF_EESJ_SZ_SK_SL_SM_EUlSZ_E_NS1_11comp_targetILNS1_3genE9ELNS1_11target_archE1100ELNS1_3gpuE3ELNS1_3repE0EEENS1_48merge_mergepath_partition_config_static_selectorELNS0_4arch9wavefront6targetE1EEEvSL_
                                        ; -- End function
	.section	.AMDGPU.csdata,"",@progbits
; Kernel info:
; codeLenInByte = 0
; NumSgprs: 6
; NumVgprs: 0
; NumAgprs: 0
; TotalNumVgprs: 0
; ScratchSize: 0
; MemoryBound: 0
; FloatMode: 240
; IeeeMode: 1
; LDSByteSize: 0 bytes/workgroup (compile time only)
; SGPRBlocks: 0
; VGPRBlocks: 0
; NumSGPRsForWavesPerEU: 6
; NumVGPRsForWavesPerEU: 1
; AccumOffset: 4
; Occupancy: 8
; WaveLimiterHint : 0
; COMPUTE_PGM_RSRC2:SCRATCH_EN: 0
; COMPUTE_PGM_RSRC2:USER_SGPR: 2
; COMPUTE_PGM_RSRC2:TRAP_HANDLER: 0
; COMPUTE_PGM_RSRC2:TGID_X_EN: 1
; COMPUTE_PGM_RSRC2:TGID_Y_EN: 0
; COMPUTE_PGM_RSRC2:TGID_Z_EN: 0
; COMPUTE_PGM_RSRC2:TIDIG_COMP_CNT: 0
; COMPUTE_PGM_RSRC3_GFX90A:ACCUM_OFFSET: 0
; COMPUTE_PGM_RSRC3_GFX90A:TG_SPLIT: 0
	.section	.text._ZN7rocprim17ROCPRIM_400000_NS6detail17trampoline_kernelINS0_14default_configENS1_38merge_sort_block_merge_config_selectorIiNS0_10empty_typeEEEZZNS1_27merge_sort_block_merge_implIS3_N6thrust23THRUST_200600_302600_NS6detail15normal_iteratorINS9_10device_ptrIiEEEEPS5_jNS1_19radix_merge_compareILb0ELb1EiNS0_19identity_decomposerEEEEE10hipError_tT0_T1_T2_jT3_P12ihipStream_tbPNSt15iterator_traitsISK_E10value_typeEPNSQ_ISL_E10value_typeEPSM_NS1_7vsmem_tEENKUlT_SK_SL_SM_E_clISE_PiSF_SF_EESJ_SZ_SK_SL_SM_EUlSZ_E_NS1_11comp_targetILNS1_3genE8ELNS1_11target_archE1030ELNS1_3gpuE2ELNS1_3repE0EEENS1_48merge_mergepath_partition_config_static_selectorELNS0_4arch9wavefront6targetE1EEEvSL_,"axG",@progbits,_ZN7rocprim17ROCPRIM_400000_NS6detail17trampoline_kernelINS0_14default_configENS1_38merge_sort_block_merge_config_selectorIiNS0_10empty_typeEEEZZNS1_27merge_sort_block_merge_implIS3_N6thrust23THRUST_200600_302600_NS6detail15normal_iteratorINS9_10device_ptrIiEEEEPS5_jNS1_19radix_merge_compareILb0ELb1EiNS0_19identity_decomposerEEEEE10hipError_tT0_T1_T2_jT3_P12ihipStream_tbPNSt15iterator_traitsISK_E10value_typeEPNSQ_ISL_E10value_typeEPSM_NS1_7vsmem_tEENKUlT_SK_SL_SM_E_clISE_PiSF_SF_EESJ_SZ_SK_SL_SM_EUlSZ_E_NS1_11comp_targetILNS1_3genE8ELNS1_11target_archE1030ELNS1_3gpuE2ELNS1_3repE0EEENS1_48merge_mergepath_partition_config_static_selectorELNS0_4arch9wavefront6targetE1EEEvSL_,comdat
	.protected	_ZN7rocprim17ROCPRIM_400000_NS6detail17trampoline_kernelINS0_14default_configENS1_38merge_sort_block_merge_config_selectorIiNS0_10empty_typeEEEZZNS1_27merge_sort_block_merge_implIS3_N6thrust23THRUST_200600_302600_NS6detail15normal_iteratorINS9_10device_ptrIiEEEEPS5_jNS1_19radix_merge_compareILb0ELb1EiNS0_19identity_decomposerEEEEE10hipError_tT0_T1_T2_jT3_P12ihipStream_tbPNSt15iterator_traitsISK_E10value_typeEPNSQ_ISL_E10value_typeEPSM_NS1_7vsmem_tEENKUlT_SK_SL_SM_E_clISE_PiSF_SF_EESJ_SZ_SK_SL_SM_EUlSZ_E_NS1_11comp_targetILNS1_3genE8ELNS1_11target_archE1030ELNS1_3gpuE2ELNS1_3repE0EEENS1_48merge_mergepath_partition_config_static_selectorELNS0_4arch9wavefront6targetE1EEEvSL_ ; -- Begin function _ZN7rocprim17ROCPRIM_400000_NS6detail17trampoline_kernelINS0_14default_configENS1_38merge_sort_block_merge_config_selectorIiNS0_10empty_typeEEEZZNS1_27merge_sort_block_merge_implIS3_N6thrust23THRUST_200600_302600_NS6detail15normal_iteratorINS9_10device_ptrIiEEEEPS5_jNS1_19radix_merge_compareILb0ELb1EiNS0_19identity_decomposerEEEEE10hipError_tT0_T1_T2_jT3_P12ihipStream_tbPNSt15iterator_traitsISK_E10value_typeEPNSQ_ISL_E10value_typeEPSM_NS1_7vsmem_tEENKUlT_SK_SL_SM_E_clISE_PiSF_SF_EESJ_SZ_SK_SL_SM_EUlSZ_E_NS1_11comp_targetILNS1_3genE8ELNS1_11target_archE1030ELNS1_3gpuE2ELNS1_3repE0EEENS1_48merge_mergepath_partition_config_static_selectorELNS0_4arch9wavefront6targetE1EEEvSL_
	.globl	_ZN7rocprim17ROCPRIM_400000_NS6detail17trampoline_kernelINS0_14default_configENS1_38merge_sort_block_merge_config_selectorIiNS0_10empty_typeEEEZZNS1_27merge_sort_block_merge_implIS3_N6thrust23THRUST_200600_302600_NS6detail15normal_iteratorINS9_10device_ptrIiEEEEPS5_jNS1_19radix_merge_compareILb0ELb1EiNS0_19identity_decomposerEEEEE10hipError_tT0_T1_T2_jT3_P12ihipStream_tbPNSt15iterator_traitsISK_E10value_typeEPNSQ_ISL_E10value_typeEPSM_NS1_7vsmem_tEENKUlT_SK_SL_SM_E_clISE_PiSF_SF_EESJ_SZ_SK_SL_SM_EUlSZ_E_NS1_11comp_targetILNS1_3genE8ELNS1_11target_archE1030ELNS1_3gpuE2ELNS1_3repE0EEENS1_48merge_mergepath_partition_config_static_selectorELNS0_4arch9wavefront6targetE1EEEvSL_
	.p2align	8
	.type	_ZN7rocprim17ROCPRIM_400000_NS6detail17trampoline_kernelINS0_14default_configENS1_38merge_sort_block_merge_config_selectorIiNS0_10empty_typeEEEZZNS1_27merge_sort_block_merge_implIS3_N6thrust23THRUST_200600_302600_NS6detail15normal_iteratorINS9_10device_ptrIiEEEEPS5_jNS1_19radix_merge_compareILb0ELb1EiNS0_19identity_decomposerEEEEE10hipError_tT0_T1_T2_jT3_P12ihipStream_tbPNSt15iterator_traitsISK_E10value_typeEPNSQ_ISL_E10value_typeEPSM_NS1_7vsmem_tEENKUlT_SK_SL_SM_E_clISE_PiSF_SF_EESJ_SZ_SK_SL_SM_EUlSZ_E_NS1_11comp_targetILNS1_3genE8ELNS1_11target_archE1030ELNS1_3gpuE2ELNS1_3repE0EEENS1_48merge_mergepath_partition_config_static_selectorELNS0_4arch9wavefront6targetE1EEEvSL_,@function
_ZN7rocprim17ROCPRIM_400000_NS6detail17trampoline_kernelINS0_14default_configENS1_38merge_sort_block_merge_config_selectorIiNS0_10empty_typeEEEZZNS1_27merge_sort_block_merge_implIS3_N6thrust23THRUST_200600_302600_NS6detail15normal_iteratorINS9_10device_ptrIiEEEEPS5_jNS1_19radix_merge_compareILb0ELb1EiNS0_19identity_decomposerEEEEE10hipError_tT0_T1_T2_jT3_P12ihipStream_tbPNSt15iterator_traitsISK_E10value_typeEPNSQ_ISL_E10value_typeEPSM_NS1_7vsmem_tEENKUlT_SK_SL_SM_E_clISE_PiSF_SF_EESJ_SZ_SK_SL_SM_EUlSZ_E_NS1_11comp_targetILNS1_3genE8ELNS1_11target_archE1030ELNS1_3gpuE2ELNS1_3repE0EEENS1_48merge_mergepath_partition_config_static_selectorELNS0_4arch9wavefront6targetE1EEEvSL_: ; @_ZN7rocprim17ROCPRIM_400000_NS6detail17trampoline_kernelINS0_14default_configENS1_38merge_sort_block_merge_config_selectorIiNS0_10empty_typeEEEZZNS1_27merge_sort_block_merge_implIS3_N6thrust23THRUST_200600_302600_NS6detail15normal_iteratorINS9_10device_ptrIiEEEEPS5_jNS1_19radix_merge_compareILb0ELb1EiNS0_19identity_decomposerEEEEE10hipError_tT0_T1_T2_jT3_P12ihipStream_tbPNSt15iterator_traitsISK_E10value_typeEPNSQ_ISL_E10value_typeEPSM_NS1_7vsmem_tEENKUlT_SK_SL_SM_E_clISE_PiSF_SF_EESJ_SZ_SK_SL_SM_EUlSZ_E_NS1_11comp_targetILNS1_3genE8ELNS1_11target_archE1030ELNS1_3gpuE2ELNS1_3repE0EEENS1_48merge_mergepath_partition_config_static_selectorELNS0_4arch9wavefront6targetE1EEEvSL_
; %bb.0:
	.section	.rodata,"a",@progbits
	.p2align	6, 0x0
	.amdhsa_kernel _ZN7rocprim17ROCPRIM_400000_NS6detail17trampoline_kernelINS0_14default_configENS1_38merge_sort_block_merge_config_selectorIiNS0_10empty_typeEEEZZNS1_27merge_sort_block_merge_implIS3_N6thrust23THRUST_200600_302600_NS6detail15normal_iteratorINS9_10device_ptrIiEEEEPS5_jNS1_19radix_merge_compareILb0ELb1EiNS0_19identity_decomposerEEEEE10hipError_tT0_T1_T2_jT3_P12ihipStream_tbPNSt15iterator_traitsISK_E10value_typeEPNSQ_ISL_E10value_typeEPSM_NS1_7vsmem_tEENKUlT_SK_SL_SM_E_clISE_PiSF_SF_EESJ_SZ_SK_SL_SM_EUlSZ_E_NS1_11comp_targetILNS1_3genE8ELNS1_11target_archE1030ELNS1_3gpuE2ELNS1_3repE0EEENS1_48merge_mergepath_partition_config_static_selectorELNS0_4arch9wavefront6targetE1EEEvSL_
		.amdhsa_group_segment_fixed_size 0
		.amdhsa_private_segment_fixed_size 0
		.amdhsa_kernarg_size 40
		.amdhsa_user_sgpr_count 2
		.amdhsa_user_sgpr_dispatch_ptr 0
		.amdhsa_user_sgpr_queue_ptr 0
		.amdhsa_user_sgpr_kernarg_segment_ptr 1
		.amdhsa_user_sgpr_dispatch_id 0
		.amdhsa_user_sgpr_kernarg_preload_length 0
		.amdhsa_user_sgpr_kernarg_preload_offset 0
		.amdhsa_user_sgpr_private_segment_size 0
		.amdhsa_uses_dynamic_stack 0
		.amdhsa_enable_private_segment 0
		.amdhsa_system_sgpr_workgroup_id_x 1
		.amdhsa_system_sgpr_workgroup_id_y 0
		.amdhsa_system_sgpr_workgroup_id_z 0
		.amdhsa_system_sgpr_workgroup_info 0
		.amdhsa_system_vgpr_workitem_id 0
		.amdhsa_next_free_vgpr 1
		.amdhsa_next_free_sgpr 0
		.amdhsa_accum_offset 4
		.amdhsa_reserve_vcc 0
		.amdhsa_float_round_mode_32 0
		.amdhsa_float_round_mode_16_64 0
		.amdhsa_float_denorm_mode_32 3
		.amdhsa_float_denorm_mode_16_64 3
		.amdhsa_dx10_clamp 1
		.amdhsa_ieee_mode 1
		.amdhsa_fp16_overflow 0
		.amdhsa_tg_split 0
		.amdhsa_exception_fp_ieee_invalid_op 0
		.amdhsa_exception_fp_denorm_src 0
		.amdhsa_exception_fp_ieee_div_zero 0
		.amdhsa_exception_fp_ieee_overflow 0
		.amdhsa_exception_fp_ieee_underflow 0
		.amdhsa_exception_fp_ieee_inexact 0
		.amdhsa_exception_int_div_zero 0
	.end_amdhsa_kernel
	.section	.text._ZN7rocprim17ROCPRIM_400000_NS6detail17trampoline_kernelINS0_14default_configENS1_38merge_sort_block_merge_config_selectorIiNS0_10empty_typeEEEZZNS1_27merge_sort_block_merge_implIS3_N6thrust23THRUST_200600_302600_NS6detail15normal_iteratorINS9_10device_ptrIiEEEEPS5_jNS1_19radix_merge_compareILb0ELb1EiNS0_19identity_decomposerEEEEE10hipError_tT0_T1_T2_jT3_P12ihipStream_tbPNSt15iterator_traitsISK_E10value_typeEPNSQ_ISL_E10value_typeEPSM_NS1_7vsmem_tEENKUlT_SK_SL_SM_E_clISE_PiSF_SF_EESJ_SZ_SK_SL_SM_EUlSZ_E_NS1_11comp_targetILNS1_3genE8ELNS1_11target_archE1030ELNS1_3gpuE2ELNS1_3repE0EEENS1_48merge_mergepath_partition_config_static_selectorELNS0_4arch9wavefront6targetE1EEEvSL_,"axG",@progbits,_ZN7rocprim17ROCPRIM_400000_NS6detail17trampoline_kernelINS0_14default_configENS1_38merge_sort_block_merge_config_selectorIiNS0_10empty_typeEEEZZNS1_27merge_sort_block_merge_implIS3_N6thrust23THRUST_200600_302600_NS6detail15normal_iteratorINS9_10device_ptrIiEEEEPS5_jNS1_19radix_merge_compareILb0ELb1EiNS0_19identity_decomposerEEEEE10hipError_tT0_T1_T2_jT3_P12ihipStream_tbPNSt15iterator_traitsISK_E10value_typeEPNSQ_ISL_E10value_typeEPSM_NS1_7vsmem_tEENKUlT_SK_SL_SM_E_clISE_PiSF_SF_EESJ_SZ_SK_SL_SM_EUlSZ_E_NS1_11comp_targetILNS1_3genE8ELNS1_11target_archE1030ELNS1_3gpuE2ELNS1_3repE0EEENS1_48merge_mergepath_partition_config_static_selectorELNS0_4arch9wavefront6targetE1EEEvSL_,comdat
.Lfunc_end1702:
	.size	_ZN7rocprim17ROCPRIM_400000_NS6detail17trampoline_kernelINS0_14default_configENS1_38merge_sort_block_merge_config_selectorIiNS0_10empty_typeEEEZZNS1_27merge_sort_block_merge_implIS3_N6thrust23THRUST_200600_302600_NS6detail15normal_iteratorINS9_10device_ptrIiEEEEPS5_jNS1_19radix_merge_compareILb0ELb1EiNS0_19identity_decomposerEEEEE10hipError_tT0_T1_T2_jT3_P12ihipStream_tbPNSt15iterator_traitsISK_E10value_typeEPNSQ_ISL_E10value_typeEPSM_NS1_7vsmem_tEENKUlT_SK_SL_SM_E_clISE_PiSF_SF_EESJ_SZ_SK_SL_SM_EUlSZ_E_NS1_11comp_targetILNS1_3genE8ELNS1_11target_archE1030ELNS1_3gpuE2ELNS1_3repE0EEENS1_48merge_mergepath_partition_config_static_selectorELNS0_4arch9wavefront6targetE1EEEvSL_, .Lfunc_end1702-_ZN7rocprim17ROCPRIM_400000_NS6detail17trampoline_kernelINS0_14default_configENS1_38merge_sort_block_merge_config_selectorIiNS0_10empty_typeEEEZZNS1_27merge_sort_block_merge_implIS3_N6thrust23THRUST_200600_302600_NS6detail15normal_iteratorINS9_10device_ptrIiEEEEPS5_jNS1_19radix_merge_compareILb0ELb1EiNS0_19identity_decomposerEEEEE10hipError_tT0_T1_T2_jT3_P12ihipStream_tbPNSt15iterator_traitsISK_E10value_typeEPNSQ_ISL_E10value_typeEPSM_NS1_7vsmem_tEENKUlT_SK_SL_SM_E_clISE_PiSF_SF_EESJ_SZ_SK_SL_SM_EUlSZ_E_NS1_11comp_targetILNS1_3genE8ELNS1_11target_archE1030ELNS1_3gpuE2ELNS1_3repE0EEENS1_48merge_mergepath_partition_config_static_selectorELNS0_4arch9wavefront6targetE1EEEvSL_
                                        ; -- End function
	.section	.AMDGPU.csdata,"",@progbits
; Kernel info:
; codeLenInByte = 0
; NumSgprs: 6
; NumVgprs: 0
; NumAgprs: 0
; TotalNumVgprs: 0
; ScratchSize: 0
; MemoryBound: 0
; FloatMode: 240
; IeeeMode: 1
; LDSByteSize: 0 bytes/workgroup (compile time only)
; SGPRBlocks: 0
; VGPRBlocks: 0
; NumSGPRsForWavesPerEU: 6
; NumVGPRsForWavesPerEU: 1
; AccumOffset: 4
; Occupancy: 8
; WaveLimiterHint : 0
; COMPUTE_PGM_RSRC2:SCRATCH_EN: 0
; COMPUTE_PGM_RSRC2:USER_SGPR: 2
; COMPUTE_PGM_RSRC2:TRAP_HANDLER: 0
; COMPUTE_PGM_RSRC2:TGID_X_EN: 1
; COMPUTE_PGM_RSRC2:TGID_Y_EN: 0
; COMPUTE_PGM_RSRC2:TGID_Z_EN: 0
; COMPUTE_PGM_RSRC2:TIDIG_COMP_CNT: 0
; COMPUTE_PGM_RSRC3_GFX90A:ACCUM_OFFSET: 0
; COMPUTE_PGM_RSRC3_GFX90A:TG_SPLIT: 0
	.section	.text._ZN7rocprim17ROCPRIM_400000_NS6detail17trampoline_kernelINS0_14default_configENS1_38merge_sort_block_merge_config_selectorIiNS0_10empty_typeEEEZZNS1_27merge_sort_block_merge_implIS3_N6thrust23THRUST_200600_302600_NS6detail15normal_iteratorINS9_10device_ptrIiEEEEPS5_jNS1_19radix_merge_compareILb0ELb1EiNS0_19identity_decomposerEEEEE10hipError_tT0_T1_T2_jT3_P12ihipStream_tbPNSt15iterator_traitsISK_E10value_typeEPNSQ_ISL_E10value_typeEPSM_NS1_7vsmem_tEENKUlT_SK_SL_SM_E_clISE_PiSF_SF_EESJ_SZ_SK_SL_SM_EUlSZ_E0_NS1_11comp_targetILNS1_3genE0ELNS1_11target_archE4294967295ELNS1_3gpuE0ELNS1_3repE0EEENS1_38merge_mergepath_config_static_selectorELNS0_4arch9wavefront6targetE1EEEvSL_,"axG",@progbits,_ZN7rocprim17ROCPRIM_400000_NS6detail17trampoline_kernelINS0_14default_configENS1_38merge_sort_block_merge_config_selectorIiNS0_10empty_typeEEEZZNS1_27merge_sort_block_merge_implIS3_N6thrust23THRUST_200600_302600_NS6detail15normal_iteratorINS9_10device_ptrIiEEEEPS5_jNS1_19radix_merge_compareILb0ELb1EiNS0_19identity_decomposerEEEEE10hipError_tT0_T1_T2_jT3_P12ihipStream_tbPNSt15iterator_traitsISK_E10value_typeEPNSQ_ISL_E10value_typeEPSM_NS1_7vsmem_tEENKUlT_SK_SL_SM_E_clISE_PiSF_SF_EESJ_SZ_SK_SL_SM_EUlSZ_E0_NS1_11comp_targetILNS1_3genE0ELNS1_11target_archE4294967295ELNS1_3gpuE0ELNS1_3repE0EEENS1_38merge_mergepath_config_static_selectorELNS0_4arch9wavefront6targetE1EEEvSL_,comdat
	.protected	_ZN7rocprim17ROCPRIM_400000_NS6detail17trampoline_kernelINS0_14default_configENS1_38merge_sort_block_merge_config_selectorIiNS0_10empty_typeEEEZZNS1_27merge_sort_block_merge_implIS3_N6thrust23THRUST_200600_302600_NS6detail15normal_iteratorINS9_10device_ptrIiEEEEPS5_jNS1_19radix_merge_compareILb0ELb1EiNS0_19identity_decomposerEEEEE10hipError_tT0_T1_T2_jT3_P12ihipStream_tbPNSt15iterator_traitsISK_E10value_typeEPNSQ_ISL_E10value_typeEPSM_NS1_7vsmem_tEENKUlT_SK_SL_SM_E_clISE_PiSF_SF_EESJ_SZ_SK_SL_SM_EUlSZ_E0_NS1_11comp_targetILNS1_3genE0ELNS1_11target_archE4294967295ELNS1_3gpuE0ELNS1_3repE0EEENS1_38merge_mergepath_config_static_selectorELNS0_4arch9wavefront6targetE1EEEvSL_ ; -- Begin function _ZN7rocprim17ROCPRIM_400000_NS6detail17trampoline_kernelINS0_14default_configENS1_38merge_sort_block_merge_config_selectorIiNS0_10empty_typeEEEZZNS1_27merge_sort_block_merge_implIS3_N6thrust23THRUST_200600_302600_NS6detail15normal_iteratorINS9_10device_ptrIiEEEEPS5_jNS1_19radix_merge_compareILb0ELb1EiNS0_19identity_decomposerEEEEE10hipError_tT0_T1_T2_jT3_P12ihipStream_tbPNSt15iterator_traitsISK_E10value_typeEPNSQ_ISL_E10value_typeEPSM_NS1_7vsmem_tEENKUlT_SK_SL_SM_E_clISE_PiSF_SF_EESJ_SZ_SK_SL_SM_EUlSZ_E0_NS1_11comp_targetILNS1_3genE0ELNS1_11target_archE4294967295ELNS1_3gpuE0ELNS1_3repE0EEENS1_38merge_mergepath_config_static_selectorELNS0_4arch9wavefront6targetE1EEEvSL_
	.globl	_ZN7rocprim17ROCPRIM_400000_NS6detail17trampoline_kernelINS0_14default_configENS1_38merge_sort_block_merge_config_selectorIiNS0_10empty_typeEEEZZNS1_27merge_sort_block_merge_implIS3_N6thrust23THRUST_200600_302600_NS6detail15normal_iteratorINS9_10device_ptrIiEEEEPS5_jNS1_19radix_merge_compareILb0ELb1EiNS0_19identity_decomposerEEEEE10hipError_tT0_T1_T2_jT3_P12ihipStream_tbPNSt15iterator_traitsISK_E10value_typeEPNSQ_ISL_E10value_typeEPSM_NS1_7vsmem_tEENKUlT_SK_SL_SM_E_clISE_PiSF_SF_EESJ_SZ_SK_SL_SM_EUlSZ_E0_NS1_11comp_targetILNS1_3genE0ELNS1_11target_archE4294967295ELNS1_3gpuE0ELNS1_3repE0EEENS1_38merge_mergepath_config_static_selectorELNS0_4arch9wavefront6targetE1EEEvSL_
	.p2align	8
	.type	_ZN7rocprim17ROCPRIM_400000_NS6detail17trampoline_kernelINS0_14default_configENS1_38merge_sort_block_merge_config_selectorIiNS0_10empty_typeEEEZZNS1_27merge_sort_block_merge_implIS3_N6thrust23THRUST_200600_302600_NS6detail15normal_iteratorINS9_10device_ptrIiEEEEPS5_jNS1_19radix_merge_compareILb0ELb1EiNS0_19identity_decomposerEEEEE10hipError_tT0_T1_T2_jT3_P12ihipStream_tbPNSt15iterator_traitsISK_E10value_typeEPNSQ_ISL_E10value_typeEPSM_NS1_7vsmem_tEENKUlT_SK_SL_SM_E_clISE_PiSF_SF_EESJ_SZ_SK_SL_SM_EUlSZ_E0_NS1_11comp_targetILNS1_3genE0ELNS1_11target_archE4294967295ELNS1_3gpuE0ELNS1_3repE0EEENS1_38merge_mergepath_config_static_selectorELNS0_4arch9wavefront6targetE1EEEvSL_,@function
_ZN7rocprim17ROCPRIM_400000_NS6detail17trampoline_kernelINS0_14default_configENS1_38merge_sort_block_merge_config_selectorIiNS0_10empty_typeEEEZZNS1_27merge_sort_block_merge_implIS3_N6thrust23THRUST_200600_302600_NS6detail15normal_iteratorINS9_10device_ptrIiEEEEPS5_jNS1_19radix_merge_compareILb0ELb1EiNS0_19identity_decomposerEEEEE10hipError_tT0_T1_T2_jT3_P12ihipStream_tbPNSt15iterator_traitsISK_E10value_typeEPNSQ_ISL_E10value_typeEPSM_NS1_7vsmem_tEENKUlT_SK_SL_SM_E_clISE_PiSF_SF_EESJ_SZ_SK_SL_SM_EUlSZ_E0_NS1_11comp_targetILNS1_3genE0ELNS1_11target_archE4294967295ELNS1_3gpuE0ELNS1_3repE0EEENS1_38merge_mergepath_config_static_selectorELNS0_4arch9wavefront6targetE1EEEvSL_: ; @_ZN7rocprim17ROCPRIM_400000_NS6detail17trampoline_kernelINS0_14default_configENS1_38merge_sort_block_merge_config_selectorIiNS0_10empty_typeEEEZZNS1_27merge_sort_block_merge_implIS3_N6thrust23THRUST_200600_302600_NS6detail15normal_iteratorINS9_10device_ptrIiEEEEPS5_jNS1_19radix_merge_compareILb0ELb1EiNS0_19identity_decomposerEEEEE10hipError_tT0_T1_T2_jT3_P12ihipStream_tbPNSt15iterator_traitsISK_E10value_typeEPNSQ_ISL_E10value_typeEPSM_NS1_7vsmem_tEENKUlT_SK_SL_SM_E_clISE_PiSF_SF_EESJ_SZ_SK_SL_SM_EUlSZ_E0_NS1_11comp_targetILNS1_3genE0ELNS1_11target_archE4294967295ELNS1_3gpuE0ELNS1_3repE0EEENS1_38merge_mergepath_config_static_selectorELNS0_4arch9wavefront6targetE1EEEvSL_
; %bb.0:
	.section	.rodata,"a",@progbits
	.p2align	6, 0x0
	.amdhsa_kernel _ZN7rocprim17ROCPRIM_400000_NS6detail17trampoline_kernelINS0_14default_configENS1_38merge_sort_block_merge_config_selectorIiNS0_10empty_typeEEEZZNS1_27merge_sort_block_merge_implIS3_N6thrust23THRUST_200600_302600_NS6detail15normal_iteratorINS9_10device_ptrIiEEEEPS5_jNS1_19radix_merge_compareILb0ELb1EiNS0_19identity_decomposerEEEEE10hipError_tT0_T1_T2_jT3_P12ihipStream_tbPNSt15iterator_traitsISK_E10value_typeEPNSQ_ISL_E10value_typeEPSM_NS1_7vsmem_tEENKUlT_SK_SL_SM_E_clISE_PiSF_SF_EESJ_SZ_SK_SL_SM_EUlSZ_E0_NS1_11comp_targetILNS1_3genE0ELNS1_11target_archE4294967295ELNS1_3gpuE0ELNS1_3repE0EEENS1_38merge_mergepath_config_static_selectorELNS0_4arch9wavefront6targetE1EEEvSL_
		.amdhsa_group_segment_fixed_size 0
		.amdhsa_private_segment_fixed_size 0
		.amdhsa_kernarg_size 64
		.amdhsa_user_sgpr_count 2
		.amdhsa_user_sgpr_dispatch_ptr 0
		.amdhsa_user_sgpr_queue_ptr 0
		.amdhsa_user_sgpr_kernarg_segment_ptr 1
		.amdhsa_user_sgpr_dispatch_id 0
		.amdhsa_user_sgpr_kernarg_preload_length 0
		.amdhsa_user_sgpr_kernarg_preload_offset 0
		.amdhsa_user_sgpr_private_segment_size 0
		.amdhsa_uses_dynamic_stack 0
		.amdhsa_enable_private_segment 0
		.amdhsa_system_sgpr_workgroup_id_x 1
		.amdhsa_system_sgpr_workgroup_id_y 0
		.amdhsa_system_sgpr_workgroup_id_z 0
		.amdhsa_system_sgpr_workgroup_info 0
		.amdhsa_system_vgpr_workitem_id 0
		.amdhsa_next_free_vgpr 1
		.amdhsa_next_free_sgpr 0
		.amdhsa_accum_offset 4
		.amdhsa_reserve_vcc 0
		.amdhsa_float_round_mode_32 0
		.amdhsa_float_round_mode_16_64 0
		.amdhsa_float_denorm_mode_32 3
		.amdhsa_float_denorm_mode_16_64 3
		.amdhsa_dx10_clamp 1
		.amdhsa_ieee_mode 1
		.amdhsa_fp16_overflow 0
		.amdhsa_tg_split 0
		.amdhsa_exception_fp_ieee_invalid_op 0
		.amdhsa_exception_fp_denorm_src 0
		.amdhsa_exception_fp_ieee_div_zero 0
		.amdhsa_exception_fp_ieee_overflow 0
		.amdhsa_exception_fp_ieee_underflow 0
		.amdhsa_exception_fp_ieee_inexact 0
		.amdhsa_exception_int_div_zero 0
	.end_amdhsa_kernel
	.section	.text._ZN7rocprim17ROCPRIM_400000_NS6detail17trampoline_kernelINS0_14default_configENS1_38merge_sort_block_merge_config_selectorIiNS0_10empty_typeEEEZZNS1_27merge_sort_block_merge_implIS3_N6thrust23THRUST_200600_302600_NS6detail15normal_iteratorINS9_10device_ptrIiEEEEPS5_jNS1_19radix_merge_compareILb0ELb1EiNS0_19identity_decomposerEEEEE10hipError_tT0_T1_T2_jT3_P12ihipStream_tbPNSt15iterator_traitsISK_E10value_typeEPNSQ_ISL_E10value_typeEPSM_NS1_7vsmem_tEENKUlT_SK_SL_SM_E_clISE_PiSF_SF_EESJ_SZ_SK_SL_SM_EUlSZ_E0_NS1_11comp_targetILNS1_3genE0ELNS1_11target_archE4294967295ELNS1_3gpuE0ELNS1_3repE0EEENS1_38merge_mergepath_config_static_selectorELNS0_4arch9wavefront6targetE1EEEvSL_,"axG",@progbits,_ZN7rocprim17ROCPRIM_400000_NS6detail17trampoline_kernelINS0_14default_configENS1_38merge_sort_block_merge_config_selectorIiNS0_10empty_typeEEEZZNS1_27merge_sort_block_merge_implIS3_N6thrust23THRUST_200600_302600_NS6detail15normal_iteratorINS9_10device_ptrIiEEEEPS5_jNS1_19radix_merge_compareILb0ELb1EiNS0_19identity_decomposerEEEEE10hipError_tT0_T1_T2_jT3_P12ihipStream_tbPNSt15iterator_traitsISK_E10value_typeEPNSQ_ISL_E10value_typeEPSM_NS1_7vsmem_tEENKUlT_SK_SL_SM_E_clISE_PiSF_SF_EESJ_SZ_SK_SL_SM_EUlSZ_E0_NS1_11comp_targetILNS1_3genE0ELNS1_11target_archE4294967295ELNS1_3gpuE0ELNS1_3repE0EEENS1_38merge_mergepath_config_static_selectorELNS0_4arch9wavefront6targetE1EEEvSL_,comdat
.Lfunc_end1703:
	.size	_ZN7rocprim17ROCPRIM_400000_NS6detail17trampoline_kernelINS0_14default_configENS1_38merge_sort_block_merge_config_selectorIiNS0_10empty_typeEEEZZNS1_27merge_sort_block_merge_implIS3_N6thrust23THRUST_200600_302600_NS6detail15normal_iteratorINS9_10device_ptrIiEEEEPS5_jNS1_19radix_merge_compareILb0ELb1EiNS0_19identity_decomposerEEEEE10hipError_tT0_T1_T2_jT3_P12ihipStream_tbPNSt15iterator_traitsISK_E10value_typeEPNSQ_ISL_E10value_typeEPSM_NS1_7vsmem_tEENKUlT_SK_SL_SM_E_clISE_PiSF_SF_EESJ_SZ_SK_SL_SM_EUlSZ_E0_NS1_11comp_targetILNS1_3genE0ELNS1_11target_archE4294967295ELNS1_3gpuE0ELNS1_3repE0EEENS1_38merge_mergepath_config_static_selectorELNS0_4arch9wavefront6targetE1EEEvSL_, .Lfunc_end1703-_ZN7rocprim17ROCPRIM_400000_NS6detail17trampoline_kernelINS0_14default_configENS1_38merge_sort_block_merge_config_selectorIiNS0_10empty_typeEEEZZNS1_27merge_sort_block_merge_implIS3_N6thrust23THRUST_200600_302600_NS6detail15normal_iteratorINS9_10device_ptrIiEEEEPS5_jNS1_19radix_merge_compareILb0ELb1EiNS0_19identity_decomposerEEEEE10hipError_tT0_T1_T2_jT3_P12ihipStream_tbPNSt15iterator_traitsISK_E10value_typeEPNSQ_ISL_E10value_typeEPSM_NS1_7vsmem_tEENKUlT_SK_SL_SM_E_clISE_PiSF_SF_EESJ_SZ_SK_SL_SM_EUlSZ_E0_NS1_11comp_targetILNS1_3genE0ELNS1_11target_archE4294967295ELNS1_3gpuE0ELNS1_3repE0EEENS1_38merge_mergepath_config_static_selectorELNS0_4arch9wavefront6targetE1EEEvSL_
                                        ; -- End function
	.section	.AMDGPU.csdata,"",@progbits
; Kernel info:
; codeLenInByte = 0
; NumSgprs: 6
; NumVgprs: 0
; NumAgprs: 0
; TotalNumVgprs: 0
; ScratchSize: 0
; MemoryBound: 0
; FloatMode: 240
; IeeeMode: 1
; LDSByteSize: 0 bytes/workgroup (compile time only)
; SGPRBlocks: 0
; VGPRBlocks: 0
; NumSGPRsForWavesPerEU: 6
; NumVGPRsForWavesPerEU: 1
; AccumOffset: 4
; Occupancy: 8
; WaveLimiterHint : 0
; COMPUTE_PGM_RSRC2:SCRATCH_EN: 0
; COMPUTE_PGM_RSRC2:USER_SGPR: 2
; COMPUTE_PGM_RSRC2:TRAP_HANDLER: 0
; COMPUTE_PGM_RSRC2:TGID_X_EN: 1
; COMPUTE_PGM_RSRC2:TGID_Y_EN: 0
; COMPUTE_PGM_RSRC2:TGID_Z_EN: 0
; COMPUTE_PGM_RSRC2:TIDIG_COMP_CNT: 0
; COMPUTE_PGM_RSRC3_GFX90A:ACCUM_OFFSET: 0
; COMPUTE_PGM_RSRC3_GFX90A:TG_SPLIT: 0
	.section	.text._ZN7rocprim17ROCPRIM_400000_NS6detail17trampoline_kernelINS0_14default_configENS1_38merge_sort_block_merge_config_selectorIiNS0_10empty_typeEEEZZNS1_27merge_sort_block_merge_implIS3_N6thrust23THRUST_200600_302600_NS6detail15normal_iteratorINS9_10device_ptrIiEEEEPS5_jNS1_19radix_merge_compareILb0ELb1EiNS0_19identity_decomposerEEEEE10hipError_tT0_T1_T2_jT3_P12ihipStream_tbPNSt15iterator_traitsISK_E10value_typeEPNSQ_ISL_E10value_typeEPSM_NS1_7vsmem_tEENKUlT_SK_SL_SM_E_clISE_PiSF_SF_EESJ_SZ_SK_SL_SM_EUlSZ_E0_NS1_11comp_targetILNS1_3genE10ELNS1_11target_archE1201ELNS1_3gpuE5ELNS1_3repE0EEENS1_38merge_mergepath_config_static_selectorELNS0_4arch9wavefront6targetE1EEEvSL_,"axG",@progbits,_ZN7rocprim17ROCPRIM_400000_NS6detail17trampoline_kernelINS0_14default_configENS1_38merge_sort_block_merge_config_selectorIiNS0_10empty_typeEEEZZNS1_27merge_sort_block_merge_implIS3_N6thrust23THRUST_200600_302600_NS6detail15normal_iteratorINS9_10device_ptrIiEEEEPS5_jNS1_19radix_merge_compareILb0ELb1EiNS0_19identity_decomposerEEEEE10hipError_tT0_T1_T2_jT3_P12ihipStream_tbPNSt15iterator_traitsISK_E10value_typeEPNSQ_ISL_E10value_typeEPSM_NS1_7vsmem_tEENKUlT_SK_SL_SM_E_clISE_PiSF_SF_EESJ_SZ_SK_SL_SM_EUlSZ_E0_NS1_11comp_targetILNS1_3genE10ELNS1_11target_archE1201ELNS1_3gpuE5ELNS1_3repE0EEENS1_38merge_mergepath_config_static_selectorELNS0_4arch9wavefront6targetE1EEEvSL_,comdat
	.protected	_ZN7rocprim17ROCPRIM_400000_NS6detail17trampoline_kernelINS0_14default_configENS1_38merge_sort_block_merge_config_selectorIiNS0_10empty_typeEEEZZNS1_27merge_sort_block_merge_implIS3_N6thrust23THRUST_200600_302600_NS6detail15normal_iteratorINS9_10device_ptrIiEEEEPS5_jNS1_19radix_merge_compareILb0ELb1EiNS0_19identity_decomposerEEEEE10hipError_tT0_T1_T2_jT3_P12ihipStream_tbPNSt15iterator_traitsISK_E10value_typeEPNSQ_ISL_E10value_typeEPSM_NS1_7vsmem_tEENKUlT_SK_SL_SM_E_clISE_PiSF_SF_EESJ_SZ_SK_SL_SM_EUlSZ_E0_NS1_11comp_targetILNS1_3genE10ELNS1_11target_archE1201ELNS1_3gpuE5ELNS1_3repE0EEENS1_38merge_mergepath_config_static_selectorELNS0_4arch9wavefront6targetE1EEEvSL_ ; -- Begin function _ZN7rocprim17ROCPRIM_400000_NS6detail17trampoline_kernelINS0_14default_configENS1_38merge_sort_block_merge_config_selectorIiNS0_10empty_typeEEEZZNS1_27merge_sort_block_merge_implIS3_N6thrust23THRUST_200600_302600_NS6detail15normal_iteratorINS9_10device_ptrIiEEEEPS5_jNS1_19radix_merge_compareILb0ELb1EiNS0_19identity_decomposerEEEEE10hipError_tT0_T1_T2_jT3_P12ihipStream_tbPNSt15iterator_traitsISK_E10value_typeEPNSQ_ISL_E10value_typeEPSM_NS1_7vsmem_tEENKUlT_SK_SL_SM_E_clISE_PiSF_SF_EESJ_SZ_SK_SL_SM_EUlSZ_E0_NS1_11comp_targetILNS1_3genE10ELNS1_11target_archE1201ELNS1_3gpuE5ELNS1_3repE0EEENS1_38merge_mergepath_config_static_selectorELNS0_4arch9wavefront6targetE1EEEvSL_
	.globl	_ZN7rocprim17ROCPRIM_400000_NS6detail17trampoline_kernelINS0_14default_configENS1_38merge_sort_block_merge_config_selectorIiNS0_10empty_typeEEEZZNS1_27merge_sort_block_merge_implIS3_N6thrust23THRUST_200600_302600_NS6detail15normal_iteratorINS9_10device_ptrIiEEEEPS5_jNS1_19radix_merge_compareILb0ELb1EiNS0_19identity_decomposerEEEEE10hipError_tT0_T1_T2_jT3_P12ihipStream_tbPNSt15iterator_traitsISK_E10value_typeEPNSQ_ISL_E10value_typeEPSM_NS1_7vsmem_tEENKUlT_SK_SL_SM_E_clISE_PiSF_SF_EESJ_SZ_SK_SL_SM_EUlSZ_E0_NS1_11comp_targetILNS1_3genE10ELNS1_11target_archE1201ELNS1_3gpuE5ELNS1_3repE0EEENS1_38merge_mergepath_config_static_selectorELNS0_4arch9wavefront6targetE1EEEvSL_
	.p2align	8
	.type	_ZN7rocprim17ROCPRIM_400000_NS6detail17trampoline_kernelINS0_14default_configENS1_38merge_sort_block_merge_config_selectorIiNS0_10empty_typeEEEZZNS1_27merge_sort_block_merge_implIS3_N6thrust23THRUST_200600_302600_NS6detail15normal_iteratorINS9_10device_ptrIiEEEEPS5_jNS1_19radix_merge_compareILb0ELb1EiNS0_19identity_decomposerEEEEE10hipError_tT0_T1_T2_jT3_P12ihipStream_tbPNSt15iterator_traitsISK_E10value_typeEPNSQ_ISL_E10value_typeEPSM_NS1_7vsmem_tEENKUlT_SK_SL_SM_E_clISE_PiSF_SF_EESJ_SZ_SK_SL_SM_EUlSZ_E0_NS1_11comp_targetILNS1_3genE10ELNS1_11target_archE1201ELNS1_3gpuE5ELNS1_3repE0EEENS1_38merge_mergepath_config_static_selectorELNS0_4arch9wavefront6targetE1EEEvSL_,@function
_ZN7rocprim17ROCPRIM_400000_NS6detail17trampoline_kernelINS0_14default_configENS1_38merge_sort_block_merge_config_selectorIiNS0_10empty_typeEEEZZNS1_27merge_sort_block_merge_implIS3_N6thrust23THRUST_200600_302600_NS6detail15normal_iteratorINS9_10device_ptrIiEEEEPS5_jNS1_19radix_merge_compareILb0ELb1EiNS0_19identity_decomposerEEEEE10hipError_tT0_T1_T2_jT3_P12ihipStream_tbPNSt15iterator_traitsISK_E10value_typeEPNSQ_ISL_E10value_typeEPSM_NS1_7vsmem_tEENKUlT_SK_SL_SM_E_clISE_PiSF_SF_EESJ_SZ_SK_SL_SM_EUlSZ_E0_NS1_11comp_targetILNS1_3genE10ELNS1_11target_archE1201ELNS1_3gpuE5ELNS1_3repE0EEENS1_38merge_mergepath_config_static_selectorELNS0_4arch9wavefront6targetE1EEEvSL_: ; @_ZN7rocprim17ROCPRIM_400000_NS6detail17trampoline_kernelINS0_14default_configENS1_38merge_sort_block_merge_config_selectorIiNS0_10empty_typeEEEZZNS1_27merge_sort_block_merge_implIS3_N6thrust23THRUST_200600_302600_NS6detail15normal_iteratorINS9_10device_ptrIiEEEEPS5_jNS1_19radix_merge_compareILb0ELb1EiNS0_19identity_decomposerEEEEE10hipError_tT0_T1_T2_jT3_P12ihipStream_tbPNSt15iterator_traitsISK_E10value_typeEPNSQ_ISL_E10value_typeEPSM_NS1_7vsmem_tEENKUlT_SK_SL_SM_E_clISE_PiSF_SF_EESJ_SZ_SK_SL_SM_EUlSZ_E0_NS1_11comp_targetILNS1_3genE10ELNS1_11target_archE1201ELNS1_3gpuE5ELNS1_3repE0EEENS1_38merge_mergepath_config_static_selectorELNS0_4arch9wavefront6targetE1EEEvSL_
; %bb.0:
	.section	.rodata,"a",@progbits
	.p2align	6, 0x0
	.amdhsa_kernel _ZN7rocprim17ROCPRIM_400000_NS6detail17trampoline_kernelINS0_14default_configENS1_38merge_sort_block_merge_config_selectorIiNS0_10empty_typeEEEZZNS1_27merge_sort_block_merge_implIS3_N6thrust23THRUST_200600_302600_NS6detail15normal_iteratorINS9_10device_ptrIiEEEEPS5_jNS1_19radix_merge_compareILb0ELb1EiNS0_19identity_decomposerEEEEE10hipError_tT0_T1_T2_jT3_P12ihipStream_tbPNSt15iterator_traitsISK_E10value_typeEPNSQ_ISL_E10value_typeEPSM_NS1_7vsmem_tEENKUlT_SK_SL_SM_E_clISE_PiSF_SF_EESJ_SZ_SK_SL_SM_EUlSZ_E0_NS1_11comp_targetILNS1_3genE10ELNS1_11target_archE1201ELNS1_3gpuE5ELNS1_3repE0EEENS1_38merge_mergepath_config_static_selectorELNS0_4arch9wavefront6targetE1EEEvSL_
		.amdhsa_group_segment_fixed_size 0
		.amdhsa_private_segment_fixed_size 0
		.amdhsa_kernarg_size 64
		.amdhsa_user_sgpr_count 2
		.amdhsa_user_sgpr_dispatch_ptr 0
		.amdhsa_user_sgpr_queue_ptr 0
		.amdhsa_user_sgpr_kernarg_segment_ptr 1
		.amdhsa_user_sgpr_dispatch_id 0
		.amdhsa_user_sgpr_kernarg_preload_length 0
		.amdhsa_user_sgpr_kernarg_preload_offset 0
		.amdhsa_user_sgpr_private_segment_size 0
		.amdhsa_uses_dynamic_stack 0
		.amdhsa_enable_private_segment 0
		.amdhsa_system_sgpr_workgroup_id_x 1
		.amdhsa_system_sgpr_workgroup_id_y 0
		.amdhsa_system_sgpr_workgroup_id_z 0
		.amdhsa_system_sgpr_workgroup_info 0
		.amdhsa_system_vgpr_workitem_id 0
		.amdhsa_next_free_vgpr 1
		.amdhsa_next_free_sgpr 0
		.amdhsa_accum_offset 4
		.amdhsa_reserve_vcc 0
		.amdhsa_float_round_mode_32 0
		.amdhsa_float_round_mode_16_64 0
		.amdhsa_float_denorm_mode_32 3
		.amdhsa_float_denorm_mode_16_64 3
		.amdhsa_dx10_clamp 1
		.amdhsa_ieee_mode 1
		.amdhsa_fp16_overflow 0
		.amdhsa_tg_split 0
		.amdhsa_exception_fp_ieee_invalid_op 0
		.amdhsa_exception_fp_denorm_src 0
		.amdhsa_exception_fp_ieee_div_zero 0
		.amdhsa_exception_fp_ieee_overflow 0
		.amdhsa_exception_fp_ieee_underflow 0
		.amdhsa_exception_fp_ieee_inexact 0
		.amdhsa_exception_int_div_zero 0
	.end_amdhsa_kernel
	.section	.text._ZN7rocprim17ROCPRIM_400000_NS6detail17trampoline_kernelINS0_14default_configENS1_38merge_sort_block_merge_config_selectorIiNS0_10empty_typeEEEZZNS1_27merge_sort_block_merge_implIS3_N6thrust23THRUST_200600_302600_NS6detail15normal_iteratorINS9_10device_ptrIiEEEEPS5_jNS1_19radix_merge_compareILb0ELb1EiNS0_19identity_decomposerEEEEE10hipError_tT0_T1_T2_jT3_P12ihipStream_tbPNSt15iterator_traitsISK_E10value_typeEPNSQ_ISL_E10value_typeEPSM_NS1_7vsmem_tEENKUlT_SK_SL_SM_E_clISE_PiSF_SF_EESJ_SZ_SK_SL_SM_EUlSZ_E0_NS1_11comp_targetILNS1_3genE10ELNS1_11target_archE1201ELNS1_3gpuE5ELNS1_3repE0EEENS1_38merge_mergepath_config_static_selectorELNS0_4arch9wavefront6targetE1EEEvSL_,"axG",@progbits,_ZN7rocprim17ROCPRIM_400000_NS6detail17trampoline_kernelINS0_14default_configENS1_38merge_sort_block_merge_config_selectorIiNS0_10empty_typeEEEZZNS1_27merge_sort_block_merge_implIS3_N6thrust23THRUST_200600_302600_NS6detail15normal_iteratorINS9_10device_ptrIiEEEEPS5_jNS1_19radix_merge_compareILb0ELb1EiNS0_19identity_decomposerEEEEE10hipError_tT0_T1_T2_jT3_P12ihipStream_tbPNSt15iterator_traitsISK_E10value_typeEPNSQ_ISL_E10value_typeEPSM_NS1_7vsmem_tEENKUlT_SK_SL_SM_E_clISE_PiSF_SF_EESJ_SZ_SK_SL_SM_EUlSZ_E0_NS1_11comp_targetILNS1_3genE10ELNS1_11target_archE1201ELNS1_3gpuE5ELNS1_3repE0EEENS1_38merge_mergepath_config_static_selectorELNS0_4arch9wavefront6targetE1EEEvSL_,comdat
.Lfunc_end1704:
	.size	_ZN7rocprim17ROCPRIM_400000_NS6detail17trampoline_kernelINS0_14default_configENS1_38merge_sort_block_merge_config_selectorIiNS0_10empty_typeEEEZZNS1_27merge_sort_block_merge_implIS3_N6thrust23THRUST_200600_302600_NS6detail15normal_iteratorINS9_10device_ptrIiEEEEPS5_jNS1_19radix_merge_compareILb0ELb1EiNS0_19identity_decomposerEEEEE10hipError_tT0_T1_T2_jT3_P12ihipStream_tbPNSt15iterator_traitsISK_E10value_typeEPNSQ_ISL_E10value_typeEPSM_NS1_7vsmem_tEENKUlT_SK_SL_SM_E_clISE_PiSF_SF_EESJ_SZ_SK_SL_SM_EUlSZ_E0_NS1_11comp_targetILNS1_3genE10ELNS1_11target_archE1201ELNS1_3gpuE5ELNS1_3repE0EEENS1_38merge_mergepath_config_static_selectorELNS0_4arch9wavefront6targetE1EEEvSL_, .Lfunc_end1704-_ZN7rocprim17ROCPRIM_400000_NS6detail17trampoline_kernelINS0_14default_configENS1_38merge_sort_block_merge_config_selectorIiNS0_10empty_typeEEEZZNS1_27merge_sort_block_merge_implIS3_N6thrust23THRUST_200600_302600_NS6detail15normal_iteratorINS9_10device_ptrIiEEEEPS5_jNS1_19radix_merge_compareILb0ELb1EiNS0_19identity_decomposerEEEEE10hipError_tT0_T1_T2_jT3_P12ihipStream_tbPNSt15iterator_traitsISK_E10value_typeEPNSQ_ISL_E10value_typeEPSM_NS1_7vsmem_tEENKUlT_SK_SL_SM_E_clISE_PiSF_SF_EESJ_SZ_SK_SL_SM_EUlSZ_E0_NS1_11comp_targetILNS1_3genE10ELNS1_11target_archE1201ELNS1_3gpuE5ELNS1_3repE0EEENS1_38merge_mergepath_config_static_selectorELNS0_4arch9wavefront6targetE1EEEvSL_
                                        ; -- End function
	.section	.AMDGPU.csdata,"",@progbits
; Kernel info:
; codeLenInByte = 0
; NumSgprs: 6
; NumVgprs: 0
; NumAgprs: 0
; TotalNumVgprs: 0
; ScratchSize: 0
; MemoryBound: 0
; FloatMode: 240
; IeeeMode: 1
; LDSByteSize: 0 bytes/workgroup (compile time only)
; SGPRBlocks: 0
; VGPRBlocks: 0
; NumSGPRsForWavesPerEU: 6
; NumVGPRsForWavesPerEU: 1
; AccumOffset: 4
; Occupancy: 8
; WaveLimiterHint : 0
; COMPUTE_PGM_RSRC2:SCRATCH_EN: 0
; COMPUTE_PGM_RSRC2:USER_SGPR: 2
; COMPUTE_PGM_RSRC2:TRAP_HANDLER: 0
; COMPUTE_PGM_RSRC2:TGID_X_EN: 1
; COMPUTE_PGM_RSRC2:TGID_Y_EN: 0
; COMPUTE_PGM_RSRC2:TGID_Z_EN: 0
; COMPUTE_PGM_RSRC2:TIDIG_COMP_CNT: 0
; COMPUTE_PGM_RSRC3_GFX90A:ACCUM_OFFSET: 0
; COMPUTE_PGM_RSRC3_GFX90A:TG_SPLIT: 0
	.section	.text._ZN7rocprim17ROCPRIM_400000_NS6detail17trampoline_kernelINS0_14default_configENS1_38merge_sort_block_merge_config_selectorIiNS0_10empty_typeEEEZZNS1_27merge_sort_block_merge_implIS3_N6thrust23THRUST_200600_302600_NS6detail15normal_iteratorINS9_10device_ptrIiEEEEPS5_jNS1_19radix_merge_compareILb0ELb1EiNS0_19identity_decomposerEEEEE10hipError_tT0_T1_T2_jT3_P12ihipStream_tbPNSt15iterator_traitsISK_E10value_typeEPNSQ_ISL_E10value_typeEPSM_NS1_7vsmem_tEENKUlT_SK_SL_SM_E_clISE_PiSF_SF_EESJ_SZ_SK_SL_SM_EUlSZ_E0_NS1_11comp_targetILNS1_3genE5ELNS1_11target_archE942ELNS1_3gpuE9ELNS1_3repE0EEENS1_38merge_mergepath_config_static_selectorELNS0_4arch9wavefront6targetE1EEEvSL_,"axG",@progbits,_ZN7rocprim17ROCPRIM_400000_NS6detail17trampoline_kernelINS0_14default_configENS1_38merge_sort_block_merge_config_selectorIiNS0_10empty_typeEEEZZNS1_27merge_sort_block_merge_implIS3_N6thrust23THRUST_200600_302600_NS6detail15normal_iteratorINS9_10device_ptrIiEEEEPS5_jNS1_19radix_merge_compareILb0ELb1EiNS0_19identity_decomposerEEEEE10hipError_tT0_T1_T2_jT3_P12ihipStream_tbPNSt15iterator_traitsISK_E10value_typeEPNSQ_ISL_E10value_typeEPSM_NS1_7vsmem_tEENKUlT_SK_SL_SM_E_clISE_PiSF_SF_EESJ_SZ_SK_SL_SM_EUlSZ_E0_NS1_11comp_targetILNS1_3genE5ELNS1_11target_archE942ELNS1_3gpuE9ELNS1_3repE0EEENS1_38merge_mergepath_config_static_selectorELNS0_4arch9wavefront6targetE1EEEvSL_,comdat
	.protected	_ZN7rocprim17ROCPRIM_400000_NS6detail17trampoline_kernelINS0_14default_configENS1_38merge_sort_block_merge_config_selectorIiNS0_10empty_typeEEEZZNS1_27merge_sort_block_merge_implIS3_N6thrust23THRUST_200600_302600_NS6detail15normal_iteratorINS9_10device_ptrIiEEEEPS5_jNS1_19radix_merge_compareILb0ELb1EiNS0_19identity_decomposerEEEEE10hipError_tT0_T1_T2_jT3_P12ihipStream_tbPNSt15iterator_traitsISK_E10value_typeEPNSQ_ISL_E10value_typeEPSM_NS1_7vsmem_tEENKUlT_SK_SL_SM_E_clISE_PiSF_SF_EESJ_SZ_SK_SL_SM_EUlSZ_E0_NS1_11comp_targetILNS1_3genE5ELNS1_11target_archE942ELNS1_3gpuE9ELNS1_3repE0EEENS1_38merge_mergepath_config_static_selectorELNS0_4arch9wavefront6targetE1EEEvSL_ ; -- Begin function _ZN7rocprim17ROCPRIM_400000_NS6detail17trampoline_kernelINS0_14default_configENS1_38merge_sort_block_merge_config_selectorIiNS0_10empty_typeEEEZZNS1_27merge_sort_block_merge_implIS3_N6thrust23THRUST_200600_302600_NS6detail15normal_iteratorINS9_10device_ptrIiEEEEPS5_jNS1_19radix_merge_compareILb0ELb1EiNS0_19identity_decomposerEEEEE10hipError_tT0_T1_T2_jT3_P12ihipStream_tbPNSt15iterator_traitsISK_E10value_typeEPNSQ_ISL_E10value_typeEPSM_NS1_7vsmem_tEENKUlT_SK_SL_SM_E_clISE_PiSF_SF_EESJ_SZ_SK_SL_SM_EUlSZ_E0_NS1_11comp_targetILNS1_3genE5ELNS1_11target_archE942ELNS1_3gpuE9ELNS1_3repE0EEENS1_38merge_mergepath_config_static_selectorELNS0_4arch9wavefront6targetE1EEEvSL_
	.globl	_ZN7rocprim17ROCPRIM_400000_NS6detail17trampoline_kernelINS0_14default_configENS1_38merge_sort_block_merge_config_selectorIiNS0_10empty_typeEEEZZNS1_27merge_sort_block_merge_implIS3_N6thrust23THRUST_200600_302600_NS6detail15normal_iteratorINS9_10device_ptrIiEEEEPS5_jNS1_19radix_merge_compareILb0ELb1EiNS0_19identity_decomposerEEEEE10hipError_tT0_T1_T2_jT3_P12ihipStream_tbPNSt15iterator_traitsISK_E10value_typeEPNSQ_ISL_E10value_typeEPSM_NS1_7vsmem_tEENKUlT_SK_SL_SM_E_clISE_PiSF_SF_EESJ_SZ_SK_SL_SM_EUlSZ_E0_NS1_11comp_targetILNS1_3genE5ELNS1_11target_archE942ELNS1_3gpuE9ELNS1_3repE0EEENS1_38merge_mergepath_config_static_selectorELNS0_4arch9wavefront6targetE1EEEvSL_
	.p2align	8
	.type	_ZN7rocprim17ROCPRIM_400000_NS6detail17trampoline_kernelINS0_14default_configENS1_38merge_sort_block_merge_config_selectorIiNS0_10empty_typeEEEZZNS1_27merge_sort_block_merge_implIS3_N6thrust23THRUST_200600_302600_NS6detail15normal_iteratorINS9_10device_ptrIiEEEEPS5_jNS1_19radix_merge_compareILb0ELb1EiNS0_19identity_decomposerEEEEE10hipError_tT0_T1_T2_jT3_P12ihipStream_tbPNSt15iterator_traitsISK_E10value_typeEPNSQ_ISL_E10value_typeEPSM_NS1_7vsmem_tEENKUlT_SK_SL_SM_E_clISE_PiSF_SF_EESJ_SZ_SK_SL_SM_EUlSZ_E0_NS1_11comp_targetILNS1_3genE5ELNS1_11target_archE942ELNS1_3gpuE9ELNS1_3repE0EEENS1_38merge_mergepath_config_static_selectorELNS0_4arch9wavefront6targetE1EEEvSL_,@function
_ZN7rocprim17ROCPRIM_400000_NS6detail17trampoline_kernelINS0_14default_configENS1_38merge_sort_block_merge_config_selectorIiNS0_10empty_typeEEEZZNS1_27merge_sort_block_merge_implIS3_N6thrust23THRUST_200600_302600_NS6detail15normal_iteratorINS9_10device_ptrIiEEEEPS5_jNS1_19radix_merge_compareILb0ELb1EiNS0_19identity_decomposerEEEEE10hipError_tT0_T1_T2_jT3_P12ihipStream_tbPNSt15iterator_traitsISK_E10value_typeEPNSQ_ISL_E10value_typeEPSM_NS1_7vsmem_tEENKUlT_SK_SL_SM_E_clISE_PiSF_SF_EESJ_SZ_SK_SL_SM_EUlSZ_E0_NS1_11comp_targetILNS1_3genE5ELNS1_11target_archE942ELNS1_3gpuE9ELNS1_3repE0EEENS1_38merge_mergepath_config_static_selectorELNS0_4arch9wavefront6targetE1EEEvSL_: ; @_ZN7rocprim17ROCPRIM_400000_NS6detail17trampoline_kernelINS0_14default_configENS1_38merge_sort_block_merge_config_selectorIiNS0_10empty_typeEEEZZNS1_27merge_sort_block_merge_implIS3_N6thrust23THRUST_200600_302600_NS6detail15normal_iteratorINS9_10device_ptrIiEEEEPS5_jNS1_19radix_merge_compareILb0ELb1EiNS0_19identity_decomposerEEEEE10hipError_tT0_T1_T2_jT3_P12ihipStream_tbPNSt15iterator_traitsISK_E10value_typeEPNSQ_ISL_E10value_typeEPSM_NS1_7vsmem_tEENKUlT_SK_SL_SM_E_clISE_PiSF_SF_EESJ_SZ_SK_SL_SM_EUlSZ_E0_NS1_11comp_targetILNS1_3genE5ELNS1_11target_archE942ELNS1_3gpuE9ELNS1_3repE0EEENS1_38merge_mergepath_config_static_selectorELNS0_4arch9wavefront6targetE1EEEvSL_
; %bb.0:
	s_load_dwordx2 s[12:13], s[0:1], 0x40
	s_load_dwordx2 s[16:17], s[0:1], 0x30
	s_add_u32 s8, s0, 64
	s_addc_u32 s9, s1, 0
	s_waitcnt lgkmcnt(0)
	s_mul_i32 s4, s13, s4
	s_add_i32 s3, s4, s3
	s_mul_i32 s3, s3, s12
	s_add_i32 s10, s3, s2
	s_cmp_ge_u32 s10, s16
	s_cbranch_scc1 .LBB1705_43
; %bb.1:
	s_load_dwordx2 s[14:15], s[0:1], 0x28
	s_load_dwordx2 s[4:5], s[0:1], 0x38
	;; [unrolled: 1-line block ×3, first 2 shown]
	s_mov_b32 s11, 0
	v_mov_b32_e32 v9, 0
	s_waitcnt lgkmcnt(0)
	s_lshr_b32 s22, s14, 10
	s_cmp_lg_u32 s10, s22
	s_cselect_b64 s[18:19], -1, 0
	s_lshl_b64 s[20:21], s[10:11], 2
	s_add_u32 s4, s4, s20
	s_addc_u32 s5, s5, s21
	s_lshr_b32 s3, s15, 9
	s_and_b32 s3, s3, 0x7ffffe
	s_load_dwordx2 s[4:5], s[4:5], 0x0
	s_sub_i32 s3, 0, s3
	s_and_b32 s13, s10, s3
	s_lshl_b32 s21, s13, 10
	s_lshl_b32 s16, s10, 10
	;; [unrolled: 1-line block ×3, first 2 shown]
	s_sub_i32 s20, s16, s21
	s_add_i32 s13, s13, s15
	s_add_i32 s23, s13, s20
	s_waitcnt lgkmcnt(0)
	s_sub_i32 s20, s23, s4
	s_sub_i32 s23, s23, s5
	;; [unrolled: 1-line block ×3, first 2 shown]
	s_min_u32 s20, s14, s20
	s_addk_i32 s23, 0x400
	s_or_b32 s3, s10, s3
	s_min_u32 s21, s14, s13
	s_add_i32 s13, s13, s15
	s_cmp_eq_u32 s3, -1
	s_cselect_b32 s3, s13, s23
	s_cselect_b32 s5, s21, s5
	s_min_u32 s3, s3, s14
	s_sub_i32 s15, s5, s4
	s_mov_b32 s5, s11
	s_sub_i32 s13, s3, s20
	s_lshl_b64 s[4:5], s[4:5], 2
	s_add_u32 s4, s6, s4
	s_mov_b32 s21, s11
	s_addc_u32 s5, s7, s5
	s_lshl_b64 s[20:21], s[20:21], 2
	s_add_u32 s6, s6, s20
	s_addc_u32 s7, s7, s21
	s_cmp_lt_u32 s2, s12
	s_cselect_b32 s2, 12, 18
	global_load_dword v1, v9, s[8:9] offset:14
	s_add_u32 s2, s8, s2
	s_addc_u32 s3, s9, 0
	global_load_ushort v2, v9, s[2:3]
	s_cmp_eq_u32 s10, s22
	v_lshlrev_b32_e32 v10, 2, v0
	s_waitcnt vmcnt(1)
	v_lshrrev_b32_e32 v3, 16, v1
	v_and_b32_e32 v1, 0xffff, v1
	v_mul_lo_u32 v1, v1, v3
	s_waitcnt vmcnt(0)
	v_mul_lo_u32 v1, v1, v2
	v_add_u32_e32 v14, v1, v0
	v_add_u32_e32 v12, v14, v1
	s_cbranch_scc1 .LBB1705_3
; %bb.2:
	v_subrev_u32_e32 v8, s15, v0
	v_mov_b32_e32 v11, v9
	v_lshl_add_u64 v[2:3], v[8:9], 2, s[6:7]
	v_lshl_add_u64 v[4:5], s[4:5], 0, v[10:11]
	v_cmp_gt_u32_e32 vcc, s15, v0
	v_subrev_u32_e32 v8, s15, v14
	v_mov_b32_e32 v15, v9
	v_cndmask_b32_e32 v3, v3, v5, vcc
	v_cndmask_b32_e32 v2, v2, v4, vcc
	v_lshl_add_u64 v[4:5], v[8:9], 2, s[6:7]
	v_lshl_add_u64 v[6:7], v[14:15], 2, s[4:5]
	v_cmp_gt_u32_e32 vcc, s15, v14
	v_subrev_u32_e32 v8, s15, v12
	v_mov_b32_e32 v13, v9
	v_cndmask_b32_e32 v5, v5, v7, vcc
	v_cndmask_b32_e32 v4, v4, v6, vcc
	global_load_dword v2, v[2:3], off
	v_lshl_add_u64 v[6:7], v[12:13], 2, s[4:5]
	global_load_dword v3, v[4:5], off
	v_lshl_add_u64 v[4:5], v[8:9], 2, s[6:7]
	v_cmp_gt_u32_e32 vcc, s15, v12
	s_add_i32 s10, s13, s15
	s_nop 0
	v_cndmask_b32_e32 v4, v4, v6, vcc
	v_add_u32_e32 v6, v12, v1
	v_cndmask_b32_e32 v5, v5, v7, vcc
	v_subrev_u32_e32 v8, s15, v6
	v_mov_b32_e32 v7, v9
	v_lshl_add_u64 v[16:17], v[8:9], 2, s[6:7]
	v_lshl_add_u64 v[18:19], v[6:7], 2, s[4:5]
	v_cmp_gt_u32_e32 vcc, s15, v6
	global_load_dword v4, v[4:5], off
	s_mov_b64 s[2:3], -1
	v_cndmask_b32_e32 v17, v17, v19, vcc
	v_cndmask_b32_e32 v16, v16, v18, vcc
	global_load_dword v5, v[16:17], off
	v_add_u32_e32 v16, v6, v1
	v_mov_b32_e32 v17, v9
	v_subrev_u32_e32 v8, s15, v16
	v_lshl_add_u64 v[18:19], v[16:17], 2, s[4:5]
	v_cmp_gt_u32_e32 vcc, s15, v16
	v_add_u32_e32 v16, v16, v1
	v_lshl_add_u64 v[6:7], v[8:9], 2, s[6:7]
	v_subrev_u32_e32 v8, s15, v16
	v_cndmask_b32_e32 v7, v7, v19, vcc
	v_cndmask_b32_e32 v6, v6, v18, vcc
	v_lshl_add_u64 v[18:19], v[8:9], 2, s[6:7]
	v_lshl_add_u64 v[20:21], v[16:17], 2, s[4:5]
	v_cmp_gt_u32_e32 vcc, s15, v16
	v_add_u32_e32 v16, v16, v1
	v_subrev_u32_e32 v8, s15, v16
	v_cndmask_b32_e32 v19, v19, v21, vcc
	v_cndmask_b32_e32 v18, v18, v20, vcc
	global_load_dword v6, v[6:7], off
	v_cmp_gt_u32_e32 vcc, s15, v16
	global_load_dword v7, v[18:19], off
	v_lshl_add_u64 v[18:19], v[8:9], 2, s[6:7]
	v_lshl_add_u64 v[8:9], v[16:17], 2, s[4:5]
	v_cndmask_b32_e32 v9, v19, v9, vcc
	v_cndmask_b32_e32 v8, v18, v8, vcc
	global_load_dword v8, v[8:9], off
	v_add_u32_e32 v16, v16, v1
	s_cbranch_execz .LBB1705_4
	s_branch .LBB1705_17
.LBB1705_3:
	s_mov_b64 s[2:3], 0
                                        ; implicit-def: $vgpr16
                                        ; implicit-def: $vgpr2_vgpr3_vgpr4_vgpr5_vgpr6_vgpr7_vgpr8_vgpr9
                                        ; implicit-def: $sgpr10
.LBB1705_4:
	s_add_i32 s10, s13, s15
	v_cmp_gt_u32_e32 vcc, s10, v0
                                        ; implicit-def: $vgpr2_vgpr3_vgpr4_vgpr5_vgpr6_vgpr7_vgpr8_vgpr9
	s_and_saveexec_b64 s[2:3], vcc
	s_cbranch_execnz .LBB1705_44
; %bb.5:
	s_or_b64 exec, exec, s[2:3]
	v_cmp_gt_u32_e32 vcc, s10, v14
	s_and_saveexec_b64 s[2:3], vcc
	s_cbranch_execnz .LBB1705_45
.LBB1705_6:
	s_or_b64 exec, exec, s[2:3]
	v_cmp_gt_u32_e32 vcc, s10, v12
	s_and_saveexec_b64 s[2:3], vcc
	s_cbranch_execz .LBB1705_8
.LBB1705_7:
	v_mov_b32_e32 v13, 0
	v_subrev_u32_e32 v16, s15, v12
	v_mov_b32_e32 v17, v13
	v_lshl_add_u64 v[14:15], v[12:13], 2, s[4:5]
	v_lshl_add_u64 v[16:17], v[16:17], 2, s[6:7]
	v_cmp_gt_u32_e32 vcc, s15, v12
	s_nop 1
	v_cndmask_b32_e32 v15, v17, v15, vcc
	v_cndmask_b32_e32 v14, v16, v14, vcc
	global_load_dword v4, v[14:15], off
.LBB1705_8:
	s_or_b64 exec, exec, s[2:3]
	v_add_u32_e32 v12, v12, v1
	v_cmp_gt_u32_e32 vcc, s10, v12
	s_and_saveexec_b64 s[2:3], vcc
	s_cbranch_execz .LBB1705_10
; %bb.9:
	v_mov_b32_e32 v13, 0
	v_subrev_u32_e32 v16, s15, v12
	v_mov_b32_e32 v17, v13
	v_lshl_add_u64 v[14:15], v[12:13], 2, s[4:5]
	v_lshl_add_u64 v[16:17], v[16:17], 2, s[6:7]
	v_cmp_gt_u32_e32 vcc, s15, v12
	s_nop 1
	v_cndmask_b32_e32 v15, v17, v15, vcc
	v_cndmask_b32_e32 v14, v16, v14, vcc
	global_load_dword v5, v[14:15], off
.LBB1705_10:
	s_or_b64 exec, exec, s[2:3]
	v_add_u32_e32 v12, v12, v1
	v_cmp_gt_u32_e32 vcc, s10, v12
	s_and_saveexec_b64 s[2:3], vcc
	s_cbranch_execz .LBB1705_12
; %bb.11:
	v_mov_b32_e32 v13, 0
	v_subrev_u32_e32 v16, s15, v12
	v_mov_b32_e32 v17, v13
	v_lshl_add_u64 v[14:15], v[12:13], 2, s[4:5]
	v_lshl_add_u64 v[16:17], v[16:17], 2, s[6:7]
	v_cmp_gt_u32_e32 vcc, s15, v12
	s_nop 1
	v_cndmask_b32_e32 v15, v17, v15, vcc
	v_cndmask_b32_e32 v14, v16, v14, vcc
	global_load_dword v6, v[14:15], off
.LBB1705_12:
	;; [unrolled: 17-line block ×4, first 2 shown]
	s_or_b64 exec, exec, s[2:3]
	v_add_u32_e32 v16, v12, v1
	v_cmp_gt_u32_e64 s[2:3], s10, v16
.LBB1705_17:
	v_mov_b32_e32 v11, s10
	s_and_saveexec_b64 s[8:9], s[2:3]
	s_cbranch_execz .LBB1705_19
; %bb.18:
	v_mov_b32_e32 v13, 0
	v_subrev_u32_e32 v12, s15, v16
	v_mov_b32_e32 v17, v13
	v_lshl_add_u64 v[14:15], v[12:13], 2, s[6:7]
	v_lshl_add_u64 v[12:13], v[16:17], 2, s[4:5]
	v_cmp_gt_u32_e32 vcc, s15, v16
	v_mov_b32_e32 v11, s10
	s_nop 0
	v_cndmask_b32_e32 v13, v15, v13, vcc
	v_cndmask_b32_e32 v12, v14, v12, vcc
	global_load_dword v9, v[12:13], off
.LBB1705_19:
	s_or_b64 exec, exec, s[8:9]
	s_load_dwordx2 s[20:21], s[0:1], 0x10
	v_lshlrev_b32_e32 v1, 3, v0
	v_min_u32_e32 v13, v11, v1
	v_sub_u32_e64 v12, v13, s13 clamp
	v_min_u32_e32 v14, s15, v13
	v_cmp_lt_u32_e32 vcc, v12, v14
	s_waitcnt vmcnt(0)
	ds_write2st64_b32 v10, v2, v3 offset1:2
	ds_write2st64_b32 v10, v4, v5 offset0:4 offset1:6
	ds_write2st64_b32 v10, v6, v7 offset0:8 offset1:10
	;; [unrolled: 1-line block ×3, first 2 shown]
	s_waitcnt lgkmcnt(0)
	s_barrier
	s_and_saveexec_b64 s[0:1], vcc
	s_cbranch_execz .LBB1705_23
; %bb.20:
	v_lshlrev_b32_e32 v15, 2, v13
	v_lshl_add_u32 v15, s15, 2, v15
	s_mov_b64 s[2:3], 0
.LBB1705_21:                            ; =>This Inner Loop Header: Depth=1
	v_add_u32_e32 v16, v14, v12
	v_lshrrev_b32_e32 v16, 1, v16
	v_not_b32_e32 v17, v16
	v_lshlrev_b32_e32 v18, 2, v16
	v_lshl_add_u32 v17, v17, 2, v15
	ds_read_b32 v18, v18
	ds_read_b32 v17, v17
	v_add_u32_e32 v19, 1, v16
	s_waitcnt lgkmcnt(1)
	v_and_b32_e32 v18, s17, v18
	s_waitcnt lgkmcnt(0)
	v_and_b32_e32 v17, s17, v17
	v_cmp_gt_i32_e32 vcc, v18, v17
	s_nop 1
	v_cndmask_b32_e32 v14, v14, v16, vcc
	v_cndmask_b32_e32 v12, v19, v12, vcc
	v_cmp_ge_u32_e32 vcc, v12, v14
	s_or_b64 s[2:3], vcc, s[2:3]
	s_andn2_b64 exec, exec, s[2:3]
	s_cbranch_execnz .LBB1705_21
; %bb.22:
	s_or_b64 exec, exec, s[2:3]
.LBB1705_23:
	s_or_b64 exec, exec, s[0:1]
	v_sub_u32_e32 v13, v13, v12
	v_add_u32_e32 v13, s15, v13
	v_cmp_ge_u32_e32 vcc, s15, v12
	v_cmp_le_u32_e64 s[0:1], v13, v11
	s_or_b64 s[0:1], vcc, s[0:1]
	s_and_saveexec_b64 s[22:23], s[0:1]
	s_cbranch_execz .LBB1705_29
; %bb.24:
	v_cmp_gt_u32_e32 vcc, s15, v12
                                        ; implicit-def: $vgpr2
	s_and_saveexec_b64 s[0:1], vcc
	s_cbranch_execz .LBB1705_26
; %bb.25:
	v_lshlrev_b32_e32 v2, 2, v12
	ds_read_b32 v2, v2
.LBB1705_26:
	s_or_b64 exec, exec, s[0:1]
	v_cmp_ge_u32_e64 s[0:1], v13, v11
	v_cmp_lt_u32_e64 s[2:3], v13, v11
                                        ; implicit-def: $vgpr3
	s_and_saveexec_b64 s[4:5], s[2:3]
	s_cbranch_execz .LBB1705_28
; %bb.27:
	v_lshlrev_b32_e32 v3, 2, v13
	ds_read_b32 v3, v3
.LBB1705_28:
	s_or_b64 exec, exec, s[4:5]
	s_waitcnt lgkmcnt(0)
	v_and_b32_e32 v4, s17, v3
	v_and_b32_e32 v5, s17, v2
	v_cmp_le_i32_e64 s[2:3], v5, v4
	s_and_b64 s[2:3], vcc, s[2:3]
	s_or_b64 vcc, s[0:1], s[2:3]
	v_mov_b32_e32 v5, s15
	v_cndmask_b32_e32 v4, v13, v12, vcc
	v_cndmask_b32_e32 v6, v11, v5, vcc
	v_add_u32_e32 v4, 1, v4
	v_add_u32_e32 v6, -1, v6
	v_min_u32_e32 v6, v4, v6
	v_lshlrev_b32_e32 v6, 2, v6
	ds_read_b32 v6, v6
	v_cndmask_b32_e32 v8, v4, v13, vcc
	v_cndmask_b32_e32 v4, v12, v4, vcc
	v_cmp_gt_u32_e64 s[2:3], s15, v4
	v_cmp_ge_u32_e64 s[0:1], v8, v11
	s_waitcnt lgkmcnt(0)
	v_cndmask_b32_e32 v7, v6, v3, vcc
	v_cndmask_b32_e32 v6, v2, v6, vcc
	v_and_b32_e32 v9, s17, v7
	v_and_b32_e32 v12, s17, v6
	v_cmp_le_i32_e64 s[4:5], v12, v9
	s_and_b64 s[2:3], s[2:3], s[4:5]
	s_or_b64 s[0:1], s[0:1], s[2:3]
	v_cndmask_b32_e64 v9, v8, v4, s[0:1]
	v_cndmask_b32_e64 v12, v11, v5, s[0:1]
	v_add_u32_e32 v9, 1, v9
	v_add_u32_e32 v12, -1, v12
	v_min_u32_e32 v12, v9, v12
	v_lshlrev_b32_e32 v12, 2, v12
	ds_read_b32 v12, v12
	v_cndmask_b32_e64 v8, v9, v8, s[0:1]
	v_cndmask_b32_e64 v4, v4, v9, s[0:1]
	v_cmp_gt_u32_e64 s[4:5], s15, v4
	v_cmp_ge_u32_e64 s[2:3], v8, v11
	s_waitcnt lgkmcnt(0)
	v_cndmask_b32_e64 v13, v12, v7, s[0:1]
	v_cndmask_b32_e64 v12, v6, v12, s[0:1]
	v_and_b32_e32 v9, s17, v13
	v_and_b32_e32 v14, s17, v12
	v_cmp_le_i32_e64 s[6:7], v14, v9
	s_and_b64 s[4:5], s[4:5], s[6:7]
	s_or_b64 s[2:3], s[2:3], s[4:5]
	v_cndmask_b32_e64 v9, v8, v4, s[2:3]
	v_cndmask_b32_e64 v14, v11, v5, s[2:3]
	v_add_u32_e32 v9, 1, v9
	v_add_u32_e32 v14, -1, v14
	v_min_u32_e32 v14, v9, v14
	v_lshlrev_b32_e32 v14, 2, v14
	ds_read_b32 v14, v14
	v_cndmask_b32_e64 v8, v9, v8, s[2:3]
	v_cndmask_b32_e64 v4, v4, v9, s[2:3]
	v_cmp_gt_u32_e64 s[6:7], s15, v4
	v_cmp_ge_u32_e64 s[4:5], v8, v11
	s_waitcnt lgkmcnt(0)
	v_cndmask_b32_e64 v15, v14, v13, s[2:3]
	v_cndmask_b32_e64 v14, v12, v14, s[2:3]
	;; [unrolled: 19-line block ×4, first 2 shown]
	v_and_b32_e32 v4, s17, v19
	v_and_b32_e32 v20, s17, v18
	v_cmp_le_i32_e64 s[12:13], v20, v4
	s_and_b64 s[10:11], s[10:11], s[12:13]
	s_or_b64 s[8:9], s[8:9], s[10:11]
	v_cndmask_b32_e64 v4, v8, v9, s[8:9]
	v_cndmask_b32_e64 v20, v11, v5, s[8:9]
	v_add_u32_e32 v21, 1, v4
	v_add_u32_e32 v4, -1, v20
	v_min_u32_e32 v4, v21, v4
	v_lshlrev_b32_e32 v4, 2, v4
	ds_read_b32 v20, v4
	v_cndmask_b32_e64 v4, v13, v12, s[2:3]
	v_cndmask_b32_e32 v2, v3, v2, vcc
	v_cndmask_b32_e64 v3, v7, v6, s[0:1]
	v_cndmask_b32_e64 v9, v9, v21, s[8:9]
	s_waitcnt lgkmcnt(0)
	v_cndmask_b32_e64 v12, v20, v19, s[8:9]
	v_cndmask_b32_e64 v13, v18, v20, s[8:9]
	v_and_b32_e32 v6, s17, v12
	v_and_b32_e32 v7, s17, v13
	v_cndmask_b32_e64 v20, v21, v8, s[8:9]
	v_cmp_gt_u32_e64 s[0:1], s15, v9
	v_cmp_le_i32_e64 s[2:3], v7, v6
	v_cmp_ge_u32_e32 vcc, v20, v11
	s_and_b64 s[0:1], s[0:1], s[2:3]
	s_or_b64 vcc, vcc, s[0:1]
	v_cndmask_b32_e32 v6, v20, v9, vcc
	v_cndmask_b32_e32 v5, v11, v5, vcc
	v_add_u32_e32 v21, 1, v6
	v_add_u32_e32 v5, -1, v5
	v_min_u32_e32 v5, v21, v5
	v_lshlrev_b32_e32 v5, 2, v5
	ds_read_b32 v22, v5
	v_cndmask_b32_e64 v5, v15, v14, s[4:5]
	v_cndmask_b32_e32 v8, v12, v13, vcc
	v_cndmask_b32_e32 v14, v21, v20, vcc
	v_cndmask_b32_e32 v9, v9, v21, vcc
	s_waitcnt lgkmcnt(0)
	v_cndmask_b32_e32 v12, v22, v12, vcc
	v_cndmask_b32_e32 v13, v13, v22, vcc
	v_cmp_ge_u32_e32 vcc, v14, v11
	v_cmp_gt_u32_e64 s[0:1], s15, v9
	v_and_b32_e32 v9, s17, v12
	v_and_b32_e32 v11, s17, v13
	v_cmp_le_i32_e64 s[2:3], v11, v9
	s_and_b64 s[0:1], s[0:1], s[2:3]
	s_or_b64 vcc, vcc, s[0:1]
	v_cndmask_b32_e64 v6, v17, v16, s[6:7]
	v_cndmask_b32_e64 v7, v19, v18, s[8:9]
	v_cndmask_b32_e32 v9, v12, v13, vcc
.LBB1705_29:
	s_or_b64 exec, exec, s[22:23]
	v_and_b32_e32 v11, 0x7c, v0
	v_lshl_add_u32 v1, v1, 2, v11
	s_barrier
	s_barrier
	ds_write2_b32 v1, v2, v3 offset1:1
	ds_write2_b32 v1, v4, v5 offset0:2 offset1:3
	ds_write2_b32 v1, v6, v7 offset0:4 offset1:5
	;; [unrolled: 1-line block ×3, first 2 shown]
	v_lshrrev_b32_e32 v1, 3, v0
	v_and_b32_e32 v1, 12, v1
	v_or_b32_e32 v12, 0x80, v0
	v_add_u32_e32 v13, v10, v1
	v_lshrrev_b32_e32 v1, 3, v12
	v_and_b32_e32 v1, 28, v1
	v_or_b32_e32 v9, 0x100, v0
	v_add_u32_e32 v14, v10, v1
	;; [unrolled: 4-line block ×6, first 2 shown]
	v_lshrrev_b32_e32 v1, 3, v4
	s_mov_b32 s17, 0
	v_and_b32_e32 v1, 0x6c, v1
	s_lshl_b64 s[0:1], s[16:17], 2
	v_add_u32_e32 v19, v10, v1
	v_or_b32_e32 v1, 0x380, v0
	s_add_u32 s0, s20, s0
	v_lshrrev_b32_e32 v2, 3, v1
	s_addc_u32 s1, s21, s1
	v_and_b32_e32 v2, 0x7c, v2
	v_mov_b32_e32 v11, 0
	v_add_u32_e32 v20, v10, v2
	v_lshl_add_u64 v[2:3], s[0:1], 0, v[10:11]
	s_and_b64 vcc, exec, s[18:19]
	s_waitcnt lgkmcnt(0)
	s_cbranch_vccz .LBB1705_31
; %bb.30:
	s_barrier
	ds_read_b32 v10, v13
	ds_read_b32 v11, v14 offset:512
	ds_read_b32 v21, v15 offset:1024
	;; [unrolled: 1-line block ×7, first 2 shown]
	s_waitcnt lgkmcnt(7)
	global_store_dword v[2:3], v10, off
	s_waitcnt lgkmcnt(6)
	global_store_dword v[2:3], v11, off offset:512
	s_waitcnt lgkmcnt(5)
	global_store_dword v[2:3], v21, off offset:1024
	;; [unrolled: 2-line block ×6, first 2 shown]
	s_mov_b64 s[0:1], -1
	s_cbranch_execz .LBB1705_32
	s_branch .LBB1705_41
.LBB1705_31:
	s_mov_b64 s[0:1], 0
                                        ; implicit-def: $vgpr7
.LBB1705_32:
	s_barrier
	s_waitcnt lgkmcnt(0)
	ds_read_b32 v22, v14 offset:512
	ds_read_b32 v21, v15 offset:1024
	ds_read_b32 v15, v16 offset:1536
	ds_read_b32 v14, v17 offset:2048
	ds_read_b32 v11, v18 offset:2560
	ds_read_b32 v10, v19 offset:3072
	ds_read_b32 v7, v20 offset:3584
	s_sub_i32 s2, s14, s16
	v_cmp_gt_u32_e32 vcc, s2, v0
	s_and_saveexec_b64 s[0:1], vcc
	s_cbranch_execnz .LBB1705_46
; %bb.33:
	s_or_b64 exec, exec, s[0:1]
	v_cmp_gt_u32_e32 vcc, s2, v12
	s_and_saveexec_b64 s[0:1], vcc
	s_cbranch_execnz .LBB1705_47
.LBB1705_34:
	s_or_b64 exec, exec, s[0:1]
	v_cmp_gt_u32_e32 vcc, s2, v9
	s_and_saveexec_b64 s[0:1], vcc
	s_cbranch_execnz .LBB1705_48
.LBB1705_35:
	s_or_b64 exec, exec, s[0:1]
	v_cmp_gt_u32_e32 vcc, s2, v8
	s_and_saveexec_b64 s[0:1], vcc
	s_cbranch_execnz .LBB1705_49
.LBB1705_36:
	s_or_b64 exec, exec, s[0:1]
	v_cmp_gt_u32_e32 vcc, s2, v6
	s_and_saveexec_b64 s[0:1], vcc
	s_cbranch_execnz .LBB1705_50
.LBB1705_37:
	s_or_b64 exec, exec, s[0:1]
	v_cmp_gt_u32_e32 vcc, s2, v5
	s_and_saveexec_b64 s[0:1], vcc
	s_cbranch_execnz .LBB1705_51
.LBB1705_38:
	s_or_b64 exec, exec, s[0:1]
	v_cmp_gt_u32_e32 vcc, s2, v4
	s_and_saveexec_b64 s[0:1], vcc
	s_cbranch_execz .LBB1705_40
.LBB1705_39:
	s_waitcnt lgkmcnt(1)
	global_store_dword v[2:3], v10, off offset:3072
.LBB1705_40:
	s_or_b64 exec, exec, s[0:1]
	v_cmp_gt_u32_e64 s[0:1], s2, v1
.LBB1705_41:
	s_and_saveexec_b64 s[2:3], s[0:1]
	s_cbranch_execz .LBB1705_43
; %bb.42:
	s_waitcnt lgkmcnt(0)
	global_store_dword v[2:3], v7, off offset:3584
.LBB1705_43:
	s_endpgm
.LBB1705_44:
	v_mov_b32_e32 v11, 0
	s_waitcnt vmcnt(4)
	v_subrev_u32_e32 v4, s15, v0
	s_waitcnt vmcnt(3)
	v_mov_b32_e32 v5, v11
	v_lshl_add_u64 v[2:3], s[4:5], 0, v[10:11]
	v_lshl_add_u64 v[4:5], v[4:5], 2, s[6:7]
	v_cmp_gt_u32_e32 vcc, s15, v0
	s_nop 1
	v_cndmask_b32_e32 v3, v5, v3, vcc
	v_cndmask_b32_e32 v2, v4, v2, vcc
	global_load_dword v2, v[2:3], off
	s_or_b64 exec, exec, s[2:3]
	v_cmp_gt_u32_e32 vcc, s10, v14
	s_and_saveexec_b64 s[2:3], vcc
	s_cbranch_execz .LBB1705_6
.LBB1705_45:
	v_mov_b32_e32 v15, 0
	v_lshl_add_u64 v[16:17], v[14:15], 2, s[4:5]
	v_cmp_gt_u32_e32 vcc, s15, v14
	v_subrev_u32_e32 v14, s15, v14
	v_lshl_add_u64 v[14:15], v[14:15], 2, s[6:7]
	v_cndmask_b32_e32 v15, v15, v17, vcc
	v_cndmask_b32_e32 v14, v14, v16, vcc
	global_load_dword v3, v[14:15], off
	s_or_b64 exec, exec, s[2:3]
	v_cmp_gt_u32_e32 vcc, s10, v12
	s_and_saveexec_b64 s[2:3], vcc
	s_cbranch_execnz .LBB1705_7
	s_branch .LBB1705_8
.LBB1705_46:
	ds_read_b32 v0, v13
	s_waitcnt lgkmcnt(0)
	global_store_dword v[2:3], v0, off
	s_or_b64 exec, exec, s[0:1]
	v_cmp_gt_u32_e32 vcc, s2, v12
	s_and_saveexec_b64 s[0:1], vcc
	s_cbranch_execz .LBB1705_34
.LBB1705_47:
	s_waitcnt lgkmcnt(6)
	global_store_dword v[2:3], v22, off offset:512
	s_or_b64 exec, exec, s[0:1]
	v_cmp_gt_u32_e32 vcc, s2, v9
	s_and_saveexec_b64 s[0:1], vcc
	s_cbranch_execz .LBB1705_35
.LBB1705_48:
	s_waitcnt lgkmcnt(5)
	global_store_dword v[2:3], v21, off offset:1024
	s_or_b64 exec, exec, s[0:1]
	v_cmp_gt_u32_e32 vcc, s2, v8
	s_and_saveexec_b64 s[0:1], vcc
	s_cbranch_execz .LBB1705_36
.LBB1705_49:
	s_waitcnt lgkmcnt(4)
	global_store_dword v[2:3], v15, off offset:1536
	s_or_b64 exec, exec, s[0:1]
	v_cmp_gt_u32_e32 vcc, s2, v6
	s_and_saveexec_b64 s[0:1], vcc
	s_cbranch_execz .LBB1705_37
.LBB1705_50:
	s_waitcnt lgkmcnt(3)
	global_store_dword v[2:3], v14, off offset:2048
	s_or_b64 exec, exec, s[0:1]
	v_cmp_gt_u32_e32 vcc, s2, v5
	s_and_saveexec_b64 s[0:1], vcc
	s_cbranch_execz .LBB1705_38
.LBB1705_51:
	s_waitcnt lgkmcnt(2)
	global_store_dword v[2:3], v11, off offset:2560
	s_or_b64 exec, exec, s[0:1]
	v_cmp_gt_u32_e32 vcc, s2, v4
	s_and_saveexec_b64 s[0:1], vcc
	s_cbranch_execnz .LBB1705_39
	s_branch .LBB1705_40
	.section	.rodata,"a",@progbits
	.p2align	6, 0x0
	.amdhsa_kernel _ZN7rocprim17ROCPRIM_400000_NS6detail17trampoline_kernelINS0_14default_configENS1_38merge_sort_block_merge_config_selectorIiNS0_10empty_typeEEEZZNS1_27merge_sort_block_merge_implIS3_N6thrust23THRUST_200600_302600_NS6detail15normal_iteratorINS9_10device_ptrIiEEEEPS5_jNS1_19radix_merge_compareILb0ELb1EiNS0_19identity_decomposerEEEEE10hipError_tT0_T1_T2_jT3_P12ihipStream_tbPNSt15iterator_traitsISK_E10value_typeEPNSQ_ISL_E10value_typeEPSM_NS1_7vsmem_tEENKUlT_SK_SL_SM_E_clISE_PiSF_SF_EESJ_SZ_SK_SL_SM_EUlSZ_E0_NS1_11comp_targetILNS1_3genE5ELNS1_11target_archE942ELNS1_3gpuE9ELNS1_3repE0EEENS1_38merge_mergepath_config_static_selectorELNS0_4arch9wavefront6targetE1EEEvSL_
		.amdhsa_group_segment_fixed_size 4224
		.amdhsa_private_segment_fixed_size 0
		.amdhsa_kernarg_size 320
		.amdhsa_user_sgpr_count 2
		.amdhsa_user_sgpr_dispatch_ptr 0
		.amdhsa_user_sgpr_queue_ptr 0
		.amdhsa_user_sgpr_kernarg_segment_ptr 1
		.amdhsa_user_sgpr_dispatch_id 0
		.amdhsa_user_sgpr_kernarg_preload_length 0
		.amdhsa_user_sgpr_kernarg_preload_offset 0
		.amdhsa_user_sgpr_private_segment_size 0
		.amdhsa_uses_dynamic_stack 0
		.amdhsa_enable_private_segment 0
		.amdhsa_system_sgpr_workgroup_id_x 1
		.amdhsa_system_sgpr_workgroup_id_y 1
		.amdhsa_system_sgpr_workgroup_id_z 1
		.amdhsa_system_sgpr_workgroup_info 0
		.amdhsa_system_vgpr_workitem_id 0
		.amdhsa_next_free_vgpr 26
		.amdhsa_next_free_sgpr 24
		.amdhsa_accum_offset 28
		.amdhsa_reserve_vcc 1
		.amdhsa_float_round_mode_32 0
		.amdhsa_float_round_mode_16_64 0
		.amdhsa_float_denorm_mode_32 3
		.amdhsa_float_denorm_mode_16_64 3
		.amdhsa_dx10_clamp 1
		.amdhsa_ieee_mode 1
		.amdhsa_fp16_overflow 0
		.amdhsa_tg_split 0
		.amdhsa_exception_fp_ieee_invalid_op 0
		.amdhsa_exception_fp_denorm_src 0
		.amdhsa_exception_fp_ieee_div_zero 0
		.amdhsa_exception_fp_ieee_overflow 0
		.amdhsa_exception_fp_ieee_underflow 0
		.amdhsa_exception_fp_ieee_inexact 0
		.amdhsa_exception_int_div_zero 0
	.end_amdhsa_kernel
	.section	.text._ZN7rocprim17ROCPRIM_400000_NS6detail17trampoline_kernelINS0_14default_configENS1_38merge_sort_block_merge_config_selectorIiNS0_10empty_typeEEEZZNS1_27merge_sort_block_merge_implIS3_N6thrust23THRUST_200600_302600_NS6detail15normal_iteratorINS9_10device_ptrIiEEEEPS5_jNS1_19radix_merge_compareILb0ELb1EiNS0_19identity_decomposerEEEEE10hipError_tT0_T1_T2_jT3_P12ihipStream_tbPNSt15iterator_traitsISK_E10value_typeEPNSQ_ISL_E10value_typeEPSM_NS1_7vsmem_tEENKUlT_SK_SL_SM_E_clISE_PiSF_SF_EESJ_SZ_SK_SL_SM_EUlSZ_E0_NS1_11comp_targetILNS1_3genE5ELNS1_11target_archE942ELNS1_3gpuE9ELNS1_3repE0EEENS1_38merge_mergepath_config_static_selectorELNS0_4arch9wavefront6targetE1EEEvSL_,"axG",@progbits,_ZN7rocprim17ROCPRIM_400000_NS6detail17trampoline_kernelINS0_14default_configENS1_38merge_sort_block_merge_config_selectorIiNS0_10empty_typeEEEZZNS1_27merge_sort_block_merge_implIS3_N6thrust23THRUST_200600_302600_NS6detail15normal_iteratorINS9_10device_ptrIiEEEEPS5_jNS1_19radix_merge_compareILb0ELb1EiNS0_19identity_decomposerEEEEE10hipError_tT0_T1_T2_jT3_P12ihipStream_tbPNSt15iterator_traitsISK_E10value_typeEPNSQ_ISL_E10value_typeEPSM_NS1_7vsmem_tEENKUlT_SK_SL_SM_E_clISE_PiSF_SF_EESJ_SZ_SK_SL_SM_EUlSZ_E0_NS1_11comp_targetILNS1_3genE5ELNS1_11target_archE942ELNS1_3gpuE9ELNS1_3repE0EEENS1_38merge_mergepath_config_static_selectorELNS0_4arch9wavefront6targetE1EEEvSL_,comdat
.Lfunc_end1705:
	.size	_ZN7rocprim17ROCPRIM_400000_NS6detail17trampoline_kernelINS0_14default_configENS1_38merge_sort_block_merge_config_selectorIiNS0_10empty_typeEEEZZNS1_27merge_sort_block_merge_implIS3_N6thrust23THRUST_200600_302600_NS6detail15normal_iteratorINS9_10device_ptrIiEEEEPS5_jNS1_19radix_merge_compareILb0ELb1EiNS0_19identity_decomposerEEEEE10hipError_tT0_T1_T2_jT3_P12ihipStream_tbPNSt15iterator_traitsISK_E10value_typeEPNSQ_ISL_E10value_typeEPSM_NS1_7vsmem_tEENKUlT_SK_SL_SM_E_clISE_PiSF_SF_EESJ_SZ_SK_SL_SM_EUlSZ_E0_NS1_11comp_targetILNS1_3genE5ELNS1_11target_archE942ELNS1_3gpuE9ELNS1_3repE0EEENS1_38merge_mergepath_config_static_selectorELNS0_4arch9wavefront6targetE1EEEvSL_, .Lfunc_end1705-_ZN7rocprim17ROCPRIM_400000_NS6detail17trampoline_kernelINS0_14default_configENS1_38merge_sort_block_merge_config_selectorIiNS0_10empty_typeEEEZZNS1_27merge_sort_block_merge_implIS3_N6thrust23THRUST_200600_302600_NS6detail15normal_iteratorINS9_10device_ptrIiEEEEPS5_jNS1_19radix_merge_compareILb0ELb1EiNS0_19identity_decomposerEEEEE10hipError_tT0_T1_T2_jT3_P12ihipStream_tbPNSt15iterator_traitsISK_E10value_typeEPNSQ_ISL_E10value_typeEPSM_NS1_7vsmem_tEENKUlT_SK_SL_SM_E_clISE_PiSF_SF_EESJ_SZ_SK_SL_SM_EUlSZ_E0_NS1_11comp_targetILNS1_3genE5ELNS1_11target_archE942ELNS1_3gpuE9ELNS1_3repE0EEENS1_38merge_mergepath_config_static_selectorELNS0_4arch9wavefront6targetE1EEEvSL_
                                        ; -- End function
	.section	.AMDGPU.csdata,"",@progbits
; Kernel info:
; codeLenInByte = 3284
; NumSgprs: 30
; NumVgprs: 26
; NumAgprs: 0
; TotalNumVgprs: 26
; ScratchSize: 0
; MemoryBound: 0
; FloatMode: 240
; IeeeMode: 1
; LDSByteSize: 4224 bytes/workgroup (compile time only)
; SGPRBlocks: 3
; VGPRBlocks: 3
; NumSGPRsForWavesPerEU: 30
; NumVGPRsForWavesPerEU: 26
; AccumOffset: 28
; Occupancy: 8
; WaveLimiterHint : 1
; COMPUTE_PGM_RSRC2:SCRATCH_EN: 0
; COMPUTE_PGM_RSRC2:USER_SGPR: 2
; COMPUTE_PGM_RSRC2:TRAP_HANDLER: 0
; COMPUTE_PGM_RSRC2:TGID_X_EN: 1
; COMPUTE_PGM_RSRC2:TGID_Y_EN: 1
; COMPUTE_PGM_RSRC2:TGID_Z_EN: 1
; COMPUTE_PGM_RSRC2:TIDIG_COMP_CNT: 0
; COMPUTE_PGM_RSRC3_GFX90A:ACCUM_OFFSET: 6
; COMPUTE_PGM_RSRC3_GFX90A:TG_SPLIT: 0
	.section	.text._ZN7rocprim17ROCPRIM_400000_NS6detail17trampoline_kernelINS0_14default_configENS1_38merge_sort_block_merge_config_selectorIiNS0_10empty_typeEEEZZNS1_27merge_sort_block_merge_implIS3_N6thrust23THRUST_200600_302600_NS6detail15normal_iteratorINS9_10device_ptrIiEEEEPS5_jNS1_19radix_merge_compareILb0ELb1EiNS0_19identity_decomposerEEEEE10hipError_tT0_T1_T2_jT3_P12ihipStream_tbPNSt15iterator_traitsISK_E10value_typeEPNSQ_ISL_E10value_typeEPSM_NS1_7vsmem_tEENKUlT_SK_SL_SM_E_clISE_PiSF_SF_EESJ_SZ_SK_SL_SM_EUlSZ_E0_NS1_11comp_targetILNS1_3genE4ELNS1_11target_archE910ELNS1_3gpuE8ELNS1_3repE0EEENS1_38merge_mergepath_config_static_selectorELNS0_4arch9wavefront6targetE1EEEvSL_,"axG",@progbits,_ZN7rocprim17ROCPRIM_400000_NS6detail17trampoline_kernelINS0_14default_configENS1_38merge_sort_block_merge_config_selectorIiNS0_10empty_typeEEEZZNS1_27merge_sort_block_merge_implIS3_N6thrust23THRUST_200600_302600_NS6detail15normal_iteratorINS9_10device_ptrIiEEEEPS5_jNS1_19radix_merge_compareILb0ELb1EiNS0_19identity_decomposerEEEEE10hipError_tT0_T1_T2_jT3_P12ihipStream_tbPNSt15iterator_traitsISK_E10value_typeEPNSQ_ISL_E10value_typeEPSM_NS1_7vsmem_tEENKUlT_SK_SL_SM_E_clISE_PiSF_SF_EESJ_SZ_SK_SL_SM_EUlSZ_E0_NS1_11comp_targetILNS1_3genE4ELNS1_11target_archE910ELNS1_3gpuE8ELNS1_3repE0EEENS1_38merge_mergepath_config_static_selectorELNS0_4arch9wavefront6targetE1EEEvSL_,comdat
	.protected	_ZN7rocprim17ROCPRIM_400000_NS6detail17trampoline_kernelINS0_14default_configENS1_38merge_sort_block_merge_config_selectorIiNS0_10empty_typeEEEZZNS1_27merge_sort_block_merge_implIS3_N6thrust23THRUST_200600_302600_NS6detail15normal_iteratorINS9_10device_ptrIiEEEEPS5_jNS1_19radix_merge_compareILb0ELb1EiNS0_19identity_decomposerEEEEE10hipError_tT0_T1_T2_jT3_P12ihipStream_tbPNSt15iterator_traitsISK_E10value_typeEPNSQ_ISL_E10value_typeEPSM_NS1_7vsmem_tEENKUlT_SK_SL_SM_E_clISE_PiSF_SF_EESJ_SZ_SK_SL_SM_EUlSZ_E0_NS1_11comp_targetILNS1_3genE4ELNS1_11target_archE910ELNS1_3gpuE8ELNS1_3repE0EEENS1_38merge_mergepath_config_static_selectorELNS0_4arch9wavefront6targetE1EEEvSL_ ; -- Begin function _ZN7rocprim17ROCPRIM_400000_NS6detail17trampoline_kernelINS0_14default_configENS1_38merge_sort_block_merge_config_selectorIiNS0_10empty_typeEEEZZNS1_27merge_sort_block_merge_implIS3_N6thrust23THRUST_200600_302600_NS6detail15normal_iteratorINS9_10device_ptrIiEEEEPS5_jNS1_19radix_merge_compareILb0ELb1EiNS0_19identity_decomposerEEEEE10hipError_tT0_T1_T2_jT3_P12ihipStream_tbPNSt15iterator_traitsISK_E10value_typeEPNSQ_ISL_E10value_typeEPSM_NS1_7vsmem_tEENKUlT_SK_SL_SM_E_clISE_PiSF_SF_EESJ_SZ_SK_SL_SM_EUlSZ_E0_NS1_11comp_targetILNS1_3genE4ELNS1_11target_archE910ELNS1_3gpuE8ELNS1_3repE0EEENS1_38merge_mergepath_config_static_selectorELNS0_4arch9wavefront6targetE1EEEvSL_
	.globl	_ZN7rocprim17ROCPRIM_400000_NS6detail17trampoline_kernelINS0_14default_configENS1_38merge_sort_block_merge_config_selectorIiNS0_10empty_typeEEEZZNS1_27merge_sort_block_merge_implIS3_N6thrust23THRUST_200600_302600_NS6detail15normal_iteratorINS9_10device_ptrIiEEEEPS5_jNS1_19radix_merge_compareILb0ELb1EiNS0_19identity_decomposerEEEEE10hipError_tT0_T1_T2_jT3_P12ihipStream_tbPNSt15iterator_traitsISK_E10value_typeEPNSQ_ISL_E10value_typeEPSM_NS1_7vsmem_tEENKUlT_SK_SL_SM_E_clISE_PiSF_SF_EESJ_SZ_SK_SL_SM_EUlSZ_E0_NS1_11comp_targetILNS1_3genE4ELNS1_11target_archE910ELNS1_3gpuE8ELNS1_3repE0EEENS1_38merge_mergepath_config_static_selectorELNS0_4arch9wavefront6targetE1EEEvSL_
	.p2align	8
	.type	_ZN7rocprim17ROCPRIM_400000_NS6detail17trampoline_kernelINS0_14default_configENS1_38merge_sort_block_merge_config_selectorIiNS0_10empty_typeEEEZZNS1_27merge_sort_block_merge_implIS3_N6thrust23THRUST_200600_302600_NS6detail15normal_iteratorINS9_10device_ptrIiEEEEPS5_jNS1_19radix_merge_compareILb0ELb1EiNS0_19identity_decomposerEEEEE10hipError_tT0_T1_T2_jT3_P12ihipStream_tbPNSt15iterator_traitsISK_E10value_typeEPNSQ_ISL_E10value_typeEPSM_NS1_7vsmem_tEENKUlT_SK_SL_SM_E_clISE_PiSF_SF_EESJ_SZ_SK_SL_SM_EUlSZ_E0_NS1_11comp_targetILNS1_3genE4ELNS1_11target_archE910ELNS1_3gpuE8ELNS1_3repE0EEENS1_38merge_mergepath_config_static_selectorELNS0_4arch9wavefront6targetE1EEEvSL_,@function
_ZN7rocprim17ROCPRIM_400000_NS6detail17trampoline_kernelINS0_14default_configENS1_38merge_sort_block_merge_config_selectorIiNS0_10empty_typeEEEZZNS1_27merge_sort_block_merge_implIS3_N6thrust23THRUST_200600_302600_NS6detail15normal_iteratorINS9_10device_ptrIiEEEEPS5_jNS1_19radix_merge_compareILb0ELb1EiNS0_19identity_decomposerEEEEE10hipError_tT0_T1_T2_jT3_P12ihipStream_tbPNSt15iterator_traitsISK_E10value_typeEPNSQ_ISL_E10value_typeEPSM_NS1_7vsmem_tEENKUlT_SK_SL_SM_E_clISE_PiSF_SF_EESJ_SZ_SK_SL_SM_EUlSZ_E0_NS1_11comp_targetILNS1_3genE4ELNS1_11target_archE910ELNS1_3gpuE8ELNS1_3repE0EEENS1_38merge_mergepath_config_static_selectorELNS0_4arch9wavefront6targetE1EEEvSL_: ; @_ZN7rocprim17ROCPRIM_400000_NS6detail17trampoline_kernelINS0_14default_configENS1_38merge_sort_block_merge_config_selectorIiNS0_10empty_typeEEEZZNS1_27merge_sort_block_merge_implIS3_N6thrust23THRUST_200600_302600_NS6detail15normal_iteratorINS9_10device_ptrIiEEEEPS5_jNS1_19radix_merge_compareILb0ELb1EiNS0_19identity_decomposerEEEEE10hipError_tT0_T1_T2_jT3_P12ihipStream_tbPNSt15iterator_traitsISK_E10value_typeEPNSQ_ISL_E10value_typeEPSM_NS1_7vsmem_tEENKUlT_SK_SL_SM_E_clISE_PiSF_SF_EESJ_SZ_SK_SL_SM_EUlSZ_E0_NS1_11comp_targetILNS1_3genE4ELNS1_11target_archE910ELNS1_3gpuE8ELNS1_3repE0EEENS1_38merge_mergepath_config_static_selectorELNS0_4arch9wavefront6targetE1EEEvSL_
; %bb.0:
	.section	.rodata,"a",@progbits
	.p2align	6, 0x0
	.amdhsa_kernel _ZN7rocprim17ROCPRIM_400000_NS6detail17trampoline_kernelINS0_14default_configENS1_38merge_sort_block_merge_config_selectorIiNS0_10empty_typeEEEZZNS1_27merge_sort_block_merge_implIS3_N6thrust23THRUST_200600_302600_NS6detail15normal_iteratorINS9_10device_ptrIiEEEEPS5_jNS1_19radix_merge_compareILb0ELb1EiNS0_19identity_decomposerEEEEE10hipError_tT0_T1_T2_jT3_P12ihipStream_tbPNSt15iterator_traitsISK_E10value_typeEPNSQ_ISL_E10value_typeEPSM_NS1_7vsmem_tEENKUlT_SK_SL_SM_E_clISE_PiSF_SF_EESJ_SZ_SK_SL_SM_EUlSZ_E0_NS1_11comp_targetILNS1_3genE4ELNS1_11target_archE910ELNS1_3gpuE8ELNS1_3repE0EEENS1_38merge_mergepath_config_static_selectorELNS0_4arch9wavefront6targetE1EEEvSL_
		.amdhsa_group_segment_fixed_size 0
		.amdhsa_private_segment_fixed_size 0
		.amdhsa_kernarg_size 64
		.amdhsa_user_sgpr_count 2
		.amdhsa_user_sgpr_dispatch_ptr 0
		.amdhsa_user_sgpr_queue_ptr 0
		.amdhsa_user_sgpr_kernarg_segment_ptr 1
		.amdhsa_user_sgpr_dispatch_id 0
		.amdhsa_user_sgpr_kernarg_preload_length 0
		.amdhsa_user_sgpr_kernarg_preload_offset 0
		.amdhsa_user_sgpr_private_segment_size 0
		.amdhsa_uses_dynamic_stack 0
		.amdhsa_enable_private_segment 0
		.amdhsa_system_sgpr_workgroup_id_x 1
		.amdhsa_system_sgpr_workgroup_id_y 0
		.amdhsa_system_sgpr_workgroup_id_z 0
		.amdhsa_system_sgpr_workgroup_info 0
		.amdhsa_system_vgpr_workitem_id 0
		.amdhsa_next_free_vgpr 1
		.amdhsa_next_free_sgpr 0
		.amdhsa_accum_offset 4
		.amdhsa_reserve_vcc 0
		.amdhsa_float_round_mode_32 0
		.amdhsa_float_round_mode_16_64 0
		.amdhsa_float_denorm_mode_32 3
		.amdhsa_float_denorm_mode_16_64 3
		.amdhsa_dx10_clamp 1
		.amdhsa_ieee_mode 1
		.amdhsa_fp16_overflow 0
		.amdhsa_tg_split 0
		.amdhsa_exception_fp_ieee_invalid_op 0
		.amdhsa_exception_fp_denorm_src 0
		.amdhsa_exception_fp_ieee_div_zero 0
		.amdhsa_exception_fp_ieee_overflow 0
		.amdhsa_exception_fp_ieee_underflow 0
		.amdhsa_exception_fp_ieee_inexact 0
		.amdhsa_exception_int_div_zero 0
	.end_amdhsa_kernel
	.section	.text._ZN7rocprim17ROCPRIM_400000_NS6detail17trampoline_kernelINS0_14default_configENS1_38merge_sort_block_merge_config_selectorIiNS0_10empty_typeEEEZZNS1_27merge_sort_block_merge_implIS3_N6thrust23THRUST_200600_302600_NS6detail15normal_iteratorINS9_10device_ptrIiEEEEPS5_jNS1_19radix_merge_compareILb0ELb1EiNS0_19identity_decomposerEEEEE10hipError_tT0_T1_T2_jT3_P12ihipStream_tbPNSt15iterator_traitsISK_E10value_typeEPNSQ_ISL_E10value_typeEPSM_NS1_7vsmem_tEENKUlT_SK_SL_SM_E_clISE_PiSF_SF_EESJ_SZ_SK_SL_SM_EUlSZ_E0_NS1_11comp_targetILNS1_3genE4ELNS1_11target_archE910ELNS1_3gpuE8ELNS1_3repE0EEENS1_38merge_mergepath_config_static_selectorELNS0_4arch9wavefront6targetE1EEEvSL_,"axG",@progbits,_ZN7rocprim17ROCPRIM_400000_NS6detail17trampoline_kernelINS0_14default_configENS1_38merge_sort_block_merge_config_selectorIiNS0_10empty_typeEEEZZNS1_27merge_sort_block_merge_implIS3_N6thrust23THRUST_200600_302600_NS6detail15normal_iteratorINS9_10device_ptrIiEEEEPS5_jNS1_19radix_merge_compareILb0ELb1EiNS0_19identity_decomposerEEEEE10hipError_tT0_T1_T2_jT3_P12ihipStream_tbPNSt15iterator_traitsISK_E10value_typeEPNSQ_ISL_E10value_typeEPSM_NS1_7vsmem_tEENKUlT_SK_SL_SM_E_clISE_PiSF_SF_EESJ_SZ_SK_SL_SM_EUlSZ_E0_NS1_11comp_targetILNS1_3genE4ELNS1_11target_archE910ELNS1_3gpuE8ELNS1_3repE0EEENS1_38merge_mergepath_config_static_selectorELNS0_4arch9wavefront6targetE1EEEvSL_,comdat
.Lfunc_end1706:
	.size	_ZN7rocprim17ROCPRIM_400000_NS6detail17trampoline_kernelINS0_14default_configENS1_38merge_sort_block_merge_config_selectorIiNS0_10empty_typeEEEZZNS1_27merge_sort_block_merge_implIS3_N6thrust23THRUST_200600_302600_NS6detail15normal_iteratorINS9_10device_ptrIiEEEEPS5_jNS1_19radix_merge_compareILb0ELb1EiNS0_19identity_decomposerEEEEE10hipError_tT0_T1_T2_jT3_P12ihipStream_tbPNSt15iterator_traitsISK_E10value_typeEPNSQ_ISL_E10value_typeEPSM_NS1_7vsmem_tEENKUlT_SK_SL_SM_E_clISE_PiSF_SF_EESJ_SZ_SK_SL_SM_EUlSZ_E0_NS1_11comp_targetILNS1_3genE4ELNS1_11target_archE910ELNS1_3gpuE8ELNS1_3repE0EEENS1_38merge_mergepath_config_static_selectorELNS0_4arch9wavefront6targetE1EEEvSL_, .Lfunc_end1706-_ZN7rocprim17ROCPRIM_400000_NS6detail17trampoline_kernelINS0_14default_configENS1_38merge_sort_block_merge_config_selectorIiNS0_10empty_typeEEEZZNS1_27merge_sort_block_merge_implIS3_N6thrust23THRUST_200600_302600_NS6detail15normal_iteratorINS9_10device_ptrIiEEEEPS5_jNS1_19radix_merge_compareILb0ELb1EiNS0_19identity_decomposerEEEEE10hipError_tT0_T1_T2_jT3_P12ihipStream_tbPNSt15iterator_traitsISK_E10value_typeEPNSQ_ISL_E10value_typeEPSM_NS1_7vsmem_tEENKUlT_SK_SL_SM_E_clISE_PiSF_SF_EESJ_SZ_SK_SL_SM_EUlSZ_E0_NS1_11comp_targetILNS1_3genE4ELNS1_11target_archE910ELNS1_3gpuE8ELNS1_3repE0EEENS1_38merge_mergepath_config_static_selectorELNS0_4arch9wavefront6targetE1EEEvSL_
                                        ; -- End function
	.section	.AMDGPU.csdata,"",@progbits
; Kernel info:
; codeLenInByte = 0
; NumSgprs: 6
; NumVgprs: 0
; NumAgprs: 0
; TotalNumVgprs: 0
; ScratchSize: 0
; MemoryBound: 0
; FloatMode: 240
; IeeeMode: 1
; LDSByteSize: 0 bytes/workgroup (compile time only)
; SGPRBlocks: 0
; VGPRBlocks: 0
; NumSGPRsForWavesPerEU: 6
; NumVGPRsForWavesPerEU: 1
; AccumOffset: 4
; Occupancy: 8
; WaveLimiterHint : 0
; COMPUTE_PGM_RSRC2:SCRATCH_EN: 0
; COMPUTE_PGM_RSRC2:USER_SGPR: 2
; COMPUTE_PGM_RSRC2:TRAP_HANDLER: 0
; COMPUTE_PGM_RSRC2:TGID_X_EN: 1
; COMPUTE_PGM_RSRC2:TGID_Y_EN: 0
; COMPUTE_PGM_RSRC2:TGID_Z_EN: 0
; COMPUTE_PGM_RSRC2:TIDIG_COMP_CNT: 0
; COMPUTE_PGM_RSRC3_GFX90A:ACCUM_OFFSET: 0
; COMPUTE_PGM_RSRC3_GFX90A:TG_SPLIT: 0
	.section	.text._ZN7rocprim17ROCPRIM_400000_NS6detail17trampoline_kernelINS0_14default_configENS1_38merge_sort_block_merge_config_selectorIiNS0_10empty_typeEEEZZNS1_27merge_sort_block_merge_implIS3_N6thrust23THRUST_200600_302600_NS6detail15normal_iteratorINS9_10device_ptrIiEEEEPS5_jNS1_19radix_merge_compareILb0ELb1EiNS0_19identity_decomposerEEEEE10hipError_tT0_T1_T2_jT3_P12ihipStream_tbPNSt15iterator_traitsISK_E10value_typeEPNSQ_ISL_E10value_typeEPSM_NS1_7vsmem_tEENKUlT_SK_SL_SM_E_clISE_PiSF_SF_EESJ_SZ_SK_SL_SM_EUlSZ_E0_NS1_11comp_targetILNS1_3genE3ELNS1_11target_archE908ELNS1_3gpuE7ELNS1_3repE0EEENS1_38merge_mergepath_config_static_selectorELNS0_4arch9wavefront6targetE1EEEvSL_,"axG",@progbits,_ZN7rocprim17ROCPRIM_400000_NS6detail17trampoline_kernelINS0_14default_configENS1_38merge_sort_block_merge_config_selectorIiNS0_10empty_typeEEEZZNS1_27merge_sort_block_merge_implIS3_N6thrust23THRUST_200600_302600_NS6detail15normal_iteratorINS9_10device_ptrIiEEEEPS5_jNS1_19radix_merge_compareILb0ELb1EiNS0_19identity_decomposerEEEEE10hipError_tT0_T1_T2_jT3_P12ihipStream_tbPNSt15iterator_traitsISK_E10value_typeEPNSQ_ISL_E10value_typeEPSM_NS1_7vsmem_tEENKUlT_SK_SL_SM_E_clISE_PiSF_SF_EESJ_SZ_SK_SL_SM_EUlSZ_E0_NS1_11comp_targetILNS1_3genE3ELNS1_11target_archE908ELNS1_3gpuE7ELNS1_3repE0EEENS1_38merge_mergepath_config_static_selectorELNS0_4arch9wavefront6targetE1EEEvSL_,comdat
	.protected	_ZN7rocprim17ROCPRIM_400000_NS6detail17trampoline_kernelINS0_14default_configENS1_38merge_sort_block_merge_config_selectorIiNS0_10empty_typeEEEZZNS1_27merge_sort_block_merge_implIS3_N6thrust23THRUST_200600_302600_NS6detail15normal_iteratorINS9_10device_ptrIiEEEEPS5_jNS1_19radix_merge_compareILb0ELb1EiNS0_19identity_decomposerEEEEE10hipError_tT0_T1_T2_jT3_P12ihipStream_tbPNSt15iterator_traitsISK_E10value_typeEPNSQ_ISL_E10value_typeEPSM_NS1_7vsmem_tEENKUlT_SK_SL_SM_E_clISE_PiSF_SF_EESJ_SZ_SK_SL_SM_EUlSZ_E0_NS1_11comp_targetILNS1_3genE3ELNS1_11target_archE908ELNS1_3gpuE7ELNS1_3repE0EEENS1_38merge_mergepath_config_static_selectorELNS0_4arch9wavefront6targetE1EEEvSL_ ; -- Begin function _ZN7rocprim17ROCPRIM_400000_NS6detail17trampoline_kernelINS0_14default_configENS1_38merge_sort_block_merge_config_selectorIiNS0_10empty_typeEEEZZNS1_27merge_sort_block_merge_implIS3_N6thrust23THRUST_200600_302600_NS6detail15normal_iteratorINS9_10device_ptrIiEEEEPS5_jNS1_19radix_merge_compareILb0ELb1EiNS0_19identity_decomposerEEEEE10hipError_tT0_T1_T2_jT3_P12ihipStream_tbPNSt15iterator_traitsISK_E10value_typeEPNSQ_ISL_E10value_typeEPSM_NS1_7vsmem_tEENKUlT_SK_SL_SM_E_clISE_PiSF_SF_EESJ_SZ_SK_SL_SM_EUlSZ_E0_NS1_11comp_targetILNS1_3genE3ELNS1_11target_archE908ELNS1_3gpuE7ELNS1_3repE0EEENS1_38merge_mergepath_config_static_selectorELNS0_4arch9wavefront6targetE1EEEvSL_
	.globl	_ZN7rocprim17ROCPRIM_400000_NS6detail17trampoline_kernelINS0_14default_configENS1_38merge_sort_block_merge_config_selectorIiNS0_10empty_typeEEEZZNS1_27merge_sort_block_merge_implIS3_N6thrust23THRUST_200600_302600_NS6detail15normal_iteratorINS9_10device_ptrIiEEEEPS5_jNS1_19radix_merge_compareILb0ELb1EiNS0_19identity_decomposerEEEEE10hipError_tT0_T1_T2_jT3_P12ihipStream_tbPNSt15iterator_traitsISK_E10value_typeEPNSQ_ISL_E10value_typeEPSM_NS1_7vsmem_tEENKUlT_SK_SL_SM_E_clISE_PiSF_SF_EESJ_SZ_SK_SL_SM_EUlSZ_E0_NS1_11comp_targetILNS1_3genE3ELNS1_11target_archE908ELNS1_3gpuE7ELNS1_3repE0EEENS1_38merge_mergepath_config_static_selectorELNS0_4arch9wavefront6targetE1EEEvSL_
	.p2align	8
	.type	_ZN7rocprim17ROCPRIM_400000_NS6detail17trampoline_kernelINS0_14default_configENS1_38merge_sort_block_merge_config_selectorIiNS0_10empty_typeEEEZZNS1_27merge_sort_block_merge_implIS3_N6thrust23THRUST_200600_302600_NS6detail15normal_iteratorINS9_10device_ptrIiEEEEPS5_jNS1_19radix_merge_compareILb0ELb1EiNS0_19identity_decomposerEEEEE10hipError_tT0_T1_T2_jT3_P12ihipStream_tbPNSt15iterator_traitsISK_E10value_typeEPNSQ_ISL_E10value_typeEPSM_NS1_7vsmem_tEENKUlT_SK_SL_SM_E_clISE_PiSF_SF_EESJ_SZ_SK_SL_SM_EUlSZ_E0_NS1_11comp_targetILNS1_3genE3ELNS1_11target_archE908ELNS1_3gpuE7ELNS1_3repE0EEENS1_38merge_mergepath_config_static_selectorELNS0_4arch9wavefront6targetE1EEEvSL_,@function
_ZN7rocprim17ROCPRIM_400000_NS6detail17trampoline_kernelINS0_14default_configENS1_38merge_sort_block_merge_config_selectorIiNS0_10empty_typeEEEZZNS1_27merge_sort_block_merge_implIS3_N6thrust23THRUST_200600_302600_NS6detail15normal_iteratorINS9_10device_ptrIiEEEEPS5_jNS1_19radix_merge_compareILb0ELb1EiNS0_19identity_decomposerEEEEE10hipError_tT0_T1_T2_jT3_P12ihipStream_tbPNSt15iterator_traitsISK_E10value_typeEPNSQ_ISL_E10value_typeEPSM_NS1_7vsmem_tEENKUlT_SK_SL_SM_E_clISE_PiSF_SF_EESJ_SZ_SK_SL_SM_EUlSZ_E0_NS1_11comp_targetILNS1_3genE3ELNS1_11target_archE908ELNS1_3gpuE7ELNS1_3repE0EEENS1_38merge_mergepath_config_static_selectorELNS0_4arch9wavefront6targetE1EEEvSL_: ; @_ZN7rocprim17ROCPRIM_400000_NS6detail17trampoline_kernelINS0_14default_configENS1_38merge_sort_block_merge_config_selectorIiNS0_10empty_typeEEEZZNS1_27merge_sort_block_merge_implIS3_N6thrust23THRUST_200600_302600_NS6detail15normal_iteratorINS9_10device_ptrIiEEEEPS5_jNS1_19radix_merge_compareILb0ELb1EiNS0_19identity_decomposerEEEEE10hipError_tT0_T1_T2_jT3_P12ihipStream_tbPNSt15iterator_traitsISK_E10value_typeEPNSQ_ISL_E10value_typeEPSM_NS1_7vsmem_tEENKUlT_SK_SL_SM_E_clISE_PiSF_SF_EESJ_SZ_SK_SL_SM_EUlSZ_E0_NS1_11comp_targetILNS1_3genE3ELNS1_11target_archE908ELNS1_3gpuE7ELNS1_3repE0EEENS1_38merge_mergepath_config_static_selectorELNS0_4arch9wavefront6targetE1EEEvSL_
; %bb.0:
	.section	.rodata,"a",@progbits
	.p2align	6, 0x0
	.amdhsa_kernel _ZN7rocprim17ROCPRIM_400000_NS6detail17trampoline_kernelINS0_14default_configENS1_38merge_sort_block_merge_config_selectorIiNS0_10empty_typeEEEZZNS1_27merge_sort_block_merge_implIS3_N6thrust23THRUST_200600_302600_NS6detail15normal_iteratorINS9_10device_ptrIiEEEEPS5_jNS1_19radix_merge_compareILb0ELb1EiNS0_19identity_decomposerEEEEE10hipError_tT0_T1_T2_jT3_P12ihipStream_tbPNSt15iterator_traitsISK_E10value_typeEPNSQ_ISL_E10value_typeEPSM_NS1_7vsmem_tEENKUlT_SK_SL_SM_E_clISE_PiSF_SF_EESJ_SZ_SK_SL_SM_EUlSZ_E0_NS1_11comp_targetILNS1_3genE3ELNS1_11target_archE908ELNS1_3gpuE7ELNS1_3repE0EEENS1_38merge_mergepath_config_static_selectorELNS0_4arch9wavefront6targetE1EEEvSL_
		.amdhsa_group_segment_fixed_size 0
		.amdhsa_private_segment_fixed_size 0
		.amdhsa_kernarg_size 64
		.amdhsa_user_sgpr_count 2
		.amdhsa_user_sgpr_dispatch_ptr 0
		.amdhsa_user_sgpr_queue_ptr 0
		.amdhsa_user_sgpr_kernarg_segment_ptr 1
		.amdhsa_user_sgpr_dispatch_id 0
		.amdhsa_user_sgpr_kernarg_preload_length 0
		.amdhsa_user_sgpr_kernarg_preload_offset 0
		.amdhsa_user_sgpr_private_segment_size 0
		.amdhsa_uses_dynamic_stack 0
		.amdhsa_enable_private_segment 0
		.amdhsa_system_sgpr_workgroup_id_x 1
		.amdhsa_system_sgpr_workgroup_id_y 0
		.amdhsa_system_sgpr_workgroup_id_z 0
		.amdhsa_system_sgpr_workgroup_info 0
		.amdhsa_system_vgpr_workitem_id 0
		.amdhsa_next_free_vgpr 1
		.amdhsa_next_free_sgpr 0
		.amdhsa_accum_offset 4
		.amdhsa_reserve_vcc 0
		.amdhsa_float_round_mode_32 0
		.amdhsa_float_round_mode_16_64 0
		.amdhsa_float_denorm_mode_32 3
		.amdhsa_float_denorm_mode_16_64 3
		.amdhsa_dx10_clamp 1
		.amdhsa_ieee_mode 1
		.amdhsa_fp16_overflow 0
		.amdhsa_tg_split 0
		.amdhsa_exception_fp_ieee_invalid_op 0
		.amdhsa_exception_fp_denorm_src 0
		.amdhsa_exception_fp_ieee_div_zero 0
		.amdhsa_exception_fp_ieee_overflow 0
		.amdhsa_exception_fp_ieee_underflow 0
		.amdhsa_exception_fp_ieee_inexact 0
		.amdhsa_exception_int_div_zero 0
	.end_amdhsa_kernel
	.section	.text._ZN7rocprim17ROCPRIM_400000_NS6detail17trampoline_kernelINS0_14default_configENS1_38merge_sort_block_merge_config_selectorIiNS0_10empty_typeEEEZZNS1_27merge_sort_block_merge_implIS3_N6thrust23THRUST_200600_302600_NS6detail15normal_iteratorINS9_10device_ptrIiEEEEPS5_jNS1_19radix_merge_compareILb0ELb1EiNS0_19identity_decomposerEEEEE10hipError_tT0_T1_T2_jT3_P12ihipStream_tbPNSt15iterator_traitsISK_E10value_typeEPNSQ_ISL_E10value_typeEPSM_NS1_7vsmem_tEENKUlT_SK_SL_SM_E_clISE_PiSF_SF_EESJ_SZ_SK_SL_SM_EUlSZ_E0_NS1_11comp_targetILNS1_3genE3ELNS1_11target_archE908ELNS1_3gpuE7ELNS1_3repE0EEENS1_38merge_mergepath_config_static_selectorELNS0_4arch9wavefront6targetE1EEEvSL_,"axG",@progbits,_ZN7rocprim17ROCPRIM_400000_NS6detail17trampoline_kernelINS0_14default_configENS1_38merge_sort_block_merge_config_selectorIiNS0_10empty_typeEEEZZNS1_27merge_sort_block_merge_implIS3_N6thrust23THRUST_200600_302600_NS6detail15normal_iteratorINS9_10device_ptrIiEEEEPS5_jNS1_19radix_merge_compareILb0ELb1EiNS0_19identity_decomposerEEEEE10hipError_tT0_T1_T2_jT3_P12ihipStream_tbPNSt15iterator_traitsISK_E10value_typeEPNSQ_ISL_E10value_typeEPSM_NS1_7vsmem_tEENKUlT_SK_SL_SM_E_clISE_PiSF_SF_EESJ_SZ_SK_SL_SM_EUlSZ_E0_NS1_11comp_targetILNS1_3genE3ELNS1_11target_archE908ELNS1_3gpuE7ELNS1_3repE0EEENS1_38merge_mergepath_config_static_selectorELNS0_4arch9wavefront6targetE1EEEvSL_,comdat
.Lfunc_end1707:
	.size	_ZN7rocprim17ROCPRIM_400000_NS6detail17trampoline_kernelINS0_14default_configENS1_38merge_sort_block_merge_config_selectorIiNS0_10empty_typeEEEZZNS1_27merge_sort_block_merge_implIS3_N6thrust23THRUST_200600_302600_NS6detail15normal_iteratorINS9_10device_ptrIiEEEEPS5_jNS1_19radix_merge_compareILb0ELb1EiNS0_19identity_decomposerEEEEE10hipError_tT0_T1_T2_jT3_P12ihipStream_tbPNSt15iterator_traitsISK_E10value_typeEPNSQ_ISL_E10value_typeEPSM_NS1_7vsmem_tEENKUlT_SK_SL_SM_E_clISE_PiSF_SF_EESJ_SZ_SK_SL_SM_EUlSZ_E0_NS1_11comp_targetILNS1_3genE3ELNS1_11target_archE908ELNS1_3gpuE7ELNS1_3repE0EEENS1_38merge_mergepath_config_static_selectorELNS0_4arch9wavefront6targetE1EEEvSL_, .Lfunc_end1707-_ZN7rocprim17ROCPRIM_400000_NS6detail17trampoline_kernelINS0_14default_configENS1_38merge_sort_block_merge_config_selectorIiNS0_10empty_typeEEEZZNS1_27merge_sort_block_merge_implIS3_N6thrust23THRUST_200600_302600_NS6detail15normal_iteratorINS9_10device_ptrIiEEEEPS5_jNS1_19radix_merge_compareILb0ELb1EiNS0_19identity_decomposerEEEEE10hipError_tT0_T1_T2_jT3_P12ihipStream_tbPNSt15iterator_traitsISK_E10value_typeEPNSQ_ISL_E10value_typeEPSM_NS1_7vsmem_tEENKUlT_SK_SL_SM_E_clISE_PiSF_SF_EESJ_SZ_SK_SL_SM_EUlSZ_E0_NS1_11comp_targetILNS1_3genE3ELNS1_11target_archE908ELNS1_3gpuE7ELNS1_3repE0EEENS1_38merge_mergepath_config_static_selectorELNS0_4arch9wavefront6targetE1EEEvSL_
                                        ; -- End function
	.section	.AMDGPU.csdata,"",@progbits
; Kernel info:
; codeLenInByte = 0
; NumSgprs: 6
; NumVgprs: 0
; NumAgprs: 0
; TotalNumVgprs: 0
; ScratchSize: 0
; MemoryBound: 0
; FloatMode: 240
; IeeeMode: 1
; LDSByteSize: 0 bytes/workgroup (compile time only)
; SGPRBlocks: 0
; VGPRBlocks: 0
; NumSGPRsForWavesPerEU: 6
; NumVGPRsForWavesPerEU: 1
; AccumOffset: 4
; Occupancy: 8
; WaveLimiterHint : 0
; COMPUTE_PGM_RSRC2:SCRATCH_EN: 0
; COMPUTE_PGM_RSRC2:USER_SGPR: 2
; COMPUTE_PGM_RSRC2:TRAP_HANDLER: 0
; COMPUTE_PGM_RSRC2:TGID_X_EN: 1
; COMPUTE_PGM_RSRC2:TGID_Y_EN: 0
; COMPUTE_PGM_RSRC2:TGID_Z_EN: 0
; COMPUTE_PGM_RSRC2:TIDIG_COMP_CNT: 0
; COMPUTE_PGM_RSRC3_GFX90A:ACCUM_OFFSET: 0
; COMPUTE_PGM_RSRC3_GFX90A:TG_SPLIT: 0
	.section	.text._ZN7rocprim17ROCPRIM_400000_NS6detail17trampoline_kernelINS0_14default_configENS1_38merge_sort_block_merge_config_selectorIiNS0_10empty_typeEEEZZNS1_27merge_sort_block_merge_implIS3_N6thrust23THRUST_200600_302600_NS6detail15normal_iteratorINS9_10device_ptrIiEEEEPS5_jNS1_19radix_merge_compareILb0ELb1EiNS0_19identity_decomposerEEEEE10hipError_tT0_T1_T2_jT3_P12ihipStream_tbPNSt15iterator_traitsISK_E10value_typeEPNSQ_ISL_E10value_typeEPSM_NS1_7vsmem_tEENKUlT_SK_SL_SM_E_clISE_PiSF_SF_EESJ_SZ_SK_SL_SM_EUlSZ_E0_NS1_11comp_targetILNS1_3genE2ELNS1_11target_archE906ELNS1_3gpuE6ELNS1_3repE0EEENS1_38merge_mergepath_config_static_selectorELNS0_4arch9wavefront6targetE1EEEvSL_,"axG",@progbits,_ZN7rocprim17ROCPRIM_400000_NS6detail17trampoline_kernelINS0_14default_configENS1_38merge_sort_block_merge_config_selectorIiNS0_10empty_typeEEEZZNS1_27merge_sort_block_merge_implIS3_N6thrust23THRUST_200600_302600_NS6detail15normal_iteratorINS9_10device_ptrIiEEEEPS5_jNS1_19radix_merge_compareILb0ELb1EiNS0_19identity_decomposerEEEEE10hipError_tT0_T1_T2_jT3_P12ihipStream_tbPNSt15iterator_traitsISK_E10value_typeEPNSQ_ISL_E10value_typeEPSM_NS1_7vsmem_tEENKUlT_SK_SL_SM_E_clISE_PiSF_SF_EESJ_SZ_SK_SL_SM_EUlSZ_E0_NS1_11comp_targetILNS1_3genE2ELNS1_11target_archE906ELNS1_3gpuE6ELNS1_3repE0EEENS1_38merge_mergepath_config_static_selectorELNS0_4arch9wavefront6targetE1EEEvSL_,comdat
	.protected	_ZN7rocprim17ROCPRIM_400000_NS6detail17trampoline_kernelINS0_14default_configENS1_38merge_sort_block_merge_config_selectorIiNS0_10empty_typeEEEZZNS1_27merge_sort_block_merge_implIS3_N6thrust23THRUST_200600_302600_NS6detail15normal_iteratorINS9_10device_ptrIiEEEEPS5_jNS1_19radix_merge_compareILb0ELb1EiNS0_19identity_decomposerEEEEE10hipError_tT0_T1_T2_jT3_P12ihipStream_tbPNSt15iterator_traitsISK_E10value_typeEPNSQ_ISL_E10value_typeEPSM_NS1_7vsmem_tEENKUlT_SK_SL_SM_E_clISE_PiSF_SF_EESJ_SZ_SK_SL_SM_EUlSZ_E0_NS1_11comp_targetILNS1_3genE2ELNS1_11target_archE906ELNS1_3gpuE6ELNS1_3repE0EEENS1_38merge_mergepath_config_static_selectorELNS0_4arch9wavefront6targetE1EEEvSL_ ; -- Begin function _ZN7rocprim17ROCPRIM_400000_NS6detail17trampoline_kernelINS0_14default_configENS1_38merge_sort_block_merge_config_selectorIiNS0_10empty_typeEEEZZNS1_27merge_sort_block_merge_implIS3_N6thrust23THRUST_200600_302600_NS6detail15normal_iteratorINS9_10device_ptrIiEEEEPS5_jNS1_19radix_merge_compareILb0ELb1EiNS0_19identity_decomposerEEEEE10hipError_tT0_T1_T2_jT3_P12ihipStream_tbPNSt15iterator_traitsISK_E10value_typeEPNSQ_ISL_E10value_typeEPSM_NS1_7vsmem_tEENKUlT_SK_SL_SM_E_clISE_PiSF_SF_EESJ_SZ_SK_SL_SM_EUlSZ_E0_NS1_11comp_targetILNS1_3genE2ELNS1_11target_archE906ELNS1_3gpuE6ELNS1_3repE0EEENS1_38merge_mergepath_config_static_selectorELNS0_4arch9wavefront6targetE1EEEvSL_
	.globl	_ZN7rocprim17ROCPRIM_400000_NS6detail17trampoline_kernelINS0_14default_configENS1_38merge_sort_block_merge_config_selectorIiNS0_10empty_typeEEEZZNS1_27merge_sort_block_merge_implIS3_N6thrust23THRUST_200600_302600_NS6detail15normal_iteratorINS9_10device_ptrIiEEEEPS5_jNS1_19radix_merge_compareILb0ELb1EiNS0_19identity_decomposerEEEEE10hipError_tT0_T1_T2_jT3_P12ihipStream_tbPNSt15iterator_traitsISK_E10value_typeEPNSQ_ISL_E10value_typeEPSM_NS1_7vsmem_tEENKUlT_SK_SL_SM_E_clISE_PiSF_SF_EESJ_SZ_SK_SL_SM_EUlSZ_E0_NS1_11comp_targetILNS1_3genE2ELNS1_11target_archE906ELNS1_3gpuE6ELNS1_3repE0EEENS1_38merge_mergepath_config_static_selectorELNS0_4arch9wavefront6targetE1EEEvSL_
	.p2align	8
	.type	_ZN7rocprim17ROCPRIM_400000_NS6detail17trampoline_kernelINS0_14default_configENS1_38merge_sort_block_merge_config_selectorIiNS0_10empty_typeEEEZZNS1_27merge_sort_block_merge_implIS3_N6thrust23THRUST_200600_302600_NS6detail15normal_iteratorINS9_10device_ptrIiEEEEPS5_jNS1_19radix_merge_compareILb0ELb1EiNS0_19identity_decomposerEEEEE10hipError_tT0_T1_T2_jT3_P12ihipStream_tbPNSt15iterator_traitsISK_E10value_typeEPNSQ_ISL_E10value_typeEPSM_NS1_7vsmem_tEENKUlT_SK_SL_SM_E_clISE_PiSF_SF_EESJ_SZ_SK_SL_SM_EUlSZ_E0_NS1_11comp_targetILNS1_3genE2ELNS1_11target_archE906ELNS1_3gpuE6ELNS1_3repE0EEENS1_38merge_mergepath_config_static_selectorELNS0_4arch9wavefront6targetE1EEEvSL_,@function
_ZN7rocprim17ROCPRIM_400000_NS6detail17trampoline_kernelINS0_14default_configENS1_38merge_sort_block_merge_config_selectorIiNS0_10empty_typeEEEZZNS1_27merge_sort_block_merge_implIS3_N6thrust23THRUST_200600_302600_NS6detail15normal_iteratorINS9_10device_ptrIiEEEEPS5_jNS1_19radix_merge_compareILb0ELb1EiNS0_19identity_decomposerEEEEE10hipError_tT0_T1_T2_jT3_P12ihipStream_tbPNSt15iterator_traitsISK_E10value_typeEPNSQ_ISL_E10value_typeEPSM_NS1_7vsmem_tEENKUlT_SK_SL_SM_E_clISE_PiSF_SF_EESJ_SZ_SK_SL_SM_EUlSZ_E0_NS1_11comp_targetILNS1_3genE2ELNS1_11target_archE906ELNS1_3gpuE6ELNS1_3repE0EEENS1_38merge_mergepath_config_static_selectorELNS0_4arch9wavefront6targetE1EEEvSL_: ; @_ZN7rocprim17ROCPRIM_400000_NS6detail17trampoline_kernelINS0_14default_configENS1_38merge_sort_block_merge_config_selectorIiNS0_10empty_typeEEEZZNS1_27merge_sort_block_merge_implIS3_N6thrust23THRUST_200600_302600_NS6detail15normal_iteratorINS9_10device_ptrIiEEEEPS5_jNS1_19radix_merge_compareILb0ELb1EiNS0_19identity_decomposerEEEEE10hipError_tT0_T1_T2_jT3_P12ihipStream_tbPNSt15iterator_traitsISK_E10value_typeEPNSQ_ISL_E10value_typeEPSM_NS1_7vsmem_tEENKUlT_SK_SL_SM_E_clISE_PiSF_SF_EESJ_SZ_SK_SL_SM_EUlSZ_E0_NS1_11comp_targetILNS1_3genE2ELNS1_11target_archE906ELNS1_3gpuE6ELNS1_3repE0EEENS1_38merge_mergepath_config_static_selectorELNS0_4arch9wavefront6targetE1EEEvSL_
; %bb.0:
	.section	.rodata,"a",@progbits
	.p2align	6, 0x0
	.amdhsa_kernel _ZN7rocprim17ROCPRIM_400000_NS6detail17trampoline_kernelINS0_14default_configENS1_38merge_sort_block_merge_config_selectorIiNS0_10empty_typeEEEZZNS1_27merge_sort_block_merge_implIS3_N6thrust23THRUST_200600_302600_NS6detail15normal_iteratorINS9_10device_ptrIiEEEEPS5_jNS1_19radix_merge_compareILb0ELb1EiNS0_19identity_decomposerEEEEE10hipError_tT0_T1_T2_jT3_P12ihipStream_tbPNSt15iterator_traitsISK_E10value_typeEPNSQ_ISL_E10value_typeEPSM_NS1_7vsmem_tEENKUlT_SK_SL_SM_E_clISE_PiSF_SF_EESJ_SZ_SK_SL_SM_EUlSZ_E0_NS1_11comp_targetILNS1_3genE2ELNS1_11target_archE906ELNS1_3gpuE6ELNS1_3repE0EEENS1_38merge_mergepath_config_static_selectorELNS0_4arch9wavefront6targetE1EEEvSL_
		.amdhsa_group_segment_fixed_size 0
		.amdhsa_private_segment_fixed_size 0
		.amdhsa_kernarg_size 64
		.amdhsa_user_sgpr_count 2
		.amdhsa_user_sgpr_dispatch_ptr 0
		.amdhsa_user_sgpr_queue_ptr 0
		.amdhsa_user_sgpr_kernarg_segment_ptr 1
		.amdhsa_user_sgpr_dispatch_id 0
		.amdhsa_user_sgpr_kernarg_preload_length 0
		.amdhsa_user_sgpr_kernarg_preload_offset 0
		.amdhsa_user_sgpr_private_segment_size 0
		.amdhsa_uses_dynamic_stack 0
		.amdhsa_enable_private_segment 0
		.amdhsa_system_sgpr_workgroup_id_x 1
		.amdhsa_system_sgpr_workgroup_id_y 0
		.amdhsa_system_sgpr_workgroup_id_z 0
		.amdhsa_system_sgpr_workgroup_info 0
		.amdhsa_system_vgpr_workitem_id 0
		.amdhsa_next_free_vgpr 1
		.amdhsa_next_free_sgpr 0
		.amdhsa_accum_offset 4
		.amdhsa_reserve_vcc 0
		.amdhsa_float_round_mode_32 0
		.amdhsa_float_round_mode_16_64 0
		.amdhsa_float_denorm_mode_32 3
		.amdhsa_float_denorm_mode_16_64 3
		.amdhsa_dx10_clamp 1
		.amdhsa_ieee_mode 1
		.amdhsa_fp16_overflow 0
		.amdhsa_tg_split 0
		.amdhsa_exception_fp_ieee_invalid_op 0
		.amdhsa_exception_fp_denorm_src 0
		.amdhsa_exception_fp_ieee_div_zero 0
		.amdhsa_exception_fp_ieee_overflow 0
		.amdhsa_exception_fp_ieee_underflow 0
		.amdhsa_exception_fp_ieee_inexact 0
		.amdhsa_exception_int_div_zero 0
	.end_amdhsa_kernel
	.section	.text._ZN7rocprim17ROCPRIM_400000_NS6detail17trampoline_kernelINS0_14default_configENS1_38merge_sort_block_merge_config_selectorIiNS0_10empty_typeEEEZZNS1_27merge_sort_block_merge_implIS3_N6thrust23THRUST_200600_302600_NS6detail15normal_iteratorINS9_10device_ptrIiEEEEPS5_jNS1_19radix_merge_compareILb0ELb1EiNS0_19identity_decomposerEEEEE10hipError_tT0_T1_T2_jT3_P12ihipStream_tbPNSt15iterator_traitsISK_E10value_typeEPNSQ_ISL_E10value_typeEPSM_NS1_7vsmem_tEENKUlT_SK_SL_SM_E_clISE_PiSF_SF_EESJ_SZ_SK_SL_SM_EUlSZ_E0_NS1_11comp_targetILNS1_3genE2ELNS1_11target_archE906ELNS1_3gpuE6ELNS1_3repE0EEENS1_38merge_mergepath_config_static_selectorELNS0_4arch9wavefront6targetE1EEEvSL_,"axG",@progbits,_ZN7rocprim17ROCPRIM_400000_NS6detail17trampoline_kernelINS0_14default_configENS1_38merge_sort_block_merge_config_selectorIiNS0_10empty_typeEEEZZNS1_27merge_sort_block_merge_implIS3_N6thrust23THRUST_200600_302600_NS6detail15normal_iteratorINS9_10device_ptrIiEEEEPS5_jNS1_19radix_merge_compareILb0ELb1EiNS0_19identity_decomposerEEEEE10hipError_tT0_T1_T2_jT3_P12ihipStream_tbPNSt15iterator_traitsISK_E10value_typeEPNSQ_ISL_E10value_typeEPSM_NS1_7vsmem_tEENKUlT_SK_SL_SM_E_clISE_PiSF_SF_EESJ_SZ_SK_SL_SM_EUlSZ_E0_NS1_11comp_targetILNS1_3genE2ELNS1_11target_archE906ELNS1_3gpuE6ELNS1_3repE0EEENS1_38merge_mergepath_config_static_selectorELNS0_4arch9wavefront6targetE1EEEvSL_,comdat
.Lfunc_end1708:
	.size	_ZN7rocprim17ROCPRIM_400000_NS6detail17trampoline_kernelINS0_14default_configENS1_38merge_sort_block_merge_config_selectorIiNS0_10empty_typeEEEZZNS1_27merge_sort_block_merge_implIS3_N6thrust23THRUST_200600_302600_NS6detail15normal_iteratorINS9_10device_ptrIiEEEEPS5_jNS1_19radix_merge_compareILb0ELb1EiNS0_19identity_decomposerEEEEE10hipError_tT0_T1_T2_jT3_P12ihipStream_tbPNSt15iterator_traitsISK_E10value_typeEPNSQ_ISL_E10value_typeEPSM_NS1_7vsmem_tEENKUlT_SK_SL_SM_E_clISE_PiSF_SF_EESJ_SZ_SK_SL_SM_EUlSZ_E0_NS1_11comp_targetILNS1_3genE2ELNS1_11target_archE906ELNS1_3gpuE6ELNS1_3repE0EEENS1_38merge_mergepath_config_static_selectorELNS0_4arch9wavefront6targetE1EEEvSL_, .Lfunc_end1708-_ZN7rocprim17ROCPRIM_400000_NS6detail17trampoline_kernelINS0_14default_configENS1_38merge_sort_block_merge_config_selectorIiNS0_10empty_typeEEEZZNS1_27merge_sort_block_merge_implIS3_N6thrust23THRUST_200600_302600_NS6detail15normal_iteratorINS9_10device_ptrIiEEEEPS5_jNS1_19radix_merge_compareILb0ELb1EiNS0_19identity_decomposerEEEEE10hipError_tT0_T1_T2_jT3_P12ihipStream_tbPNSt15iterator_traitsISK_E10value_typeEPNSQ_ISL_E10value_typeEPSM_NS1_7vsmem_tEENKUlT_SK_SL_SM_E_clISE_PiSF_SF_EESJ_SZ_SK_SL_SM_EUlSZ_E0_NS1_11comp_targetILNS1_3genE2ELNS1_11target_archE906ELNS1_3gpuE6ELNS1_3repE0EEENS1_38merge_mergepath_config_static_selectorELNS0_4arch9wavefront6targetE1EEEvSL_
                                        ; -- End function
	.section	.AMDGPU.csdata,"",@progbits
; Kernel info:
; codeLenInByte = 0
; NumSgprs: 6
; NumVgprs: 0
; NumAgprs: 0
; TotalNumVgprs: 0
; ScratchSize: 0
; MemoryBound: 0
; FloatMode: 240
; IeeeMode: 1
; LDSByteSize: 0 bytes/workgroup (compile time only)
; SGPRBlocks: 0
; VGPRBlocks: 0
; NumSGPRsForWavesPerEU: 6
; NumVGPRsForWavesPerEU: 1
; AccumOffset: 4
; Occupancy: 8
; WaveLimiterHint : 0
; COMPUTE_PGM_RSRC2:SCRATCH_EN: 0
; COMPUTE_PGM_RSRC2:USER_SGPR: 2
; COMPUTE_PGM_RSRC2:TRAP_HANDLER: 0
; COMPUTE_PGM_RSRC2:TGID_X_EN: 1
; COMPUTE_PGM_RSRC2:TGID_Y_EN: 0
; COMPUTE_PGM_RSRC2:TGID_Z_EN: 0
; COMPUTE_PGM_RSRC2:TIDIG_COMP_CNT: 0
; COMPUTE_PGM_RSRC3_GFX90A:ACCUM_OFFSET: 0
; COMPUTE_PGM_RSRC3_GFX90A:TG_SPLIT: 0
	.section	.text._ZN7rocprim17ROCPRIM_400000_NS6detail17trampoline_kernelINS0_14default_configENS1_38merge_sort_block_merge_config_selectorIiNS0_10empty_typeEEEZZNS1_27merge_sort_block_merge_implIS3_N6thrust23THRUST_200600_302600_NS6detail15normal_iteratorINS9_10device_ptrIiEEEEPS5_jNS1_19radix_merge_compareILb0ELb1EiNS0_19identity_decomposerEEEEE10hipError_tT0_T1_T2_jT3_P12ihipStream_tbPNSt15iterator_traitsISK_E10value_typeEPNSQ_ISL_E10value_typeEPSM_NS1_7vsmem_tEENKUlT_SK_SL_SM_E_clISE_PiSF_SF_EESJ_SZ_SK_SL_SM_EUlSZ_E0_NS1_11comp_targetILNS1_3genE9ELNS1_11target_archE1100ELNS1_3gpuE3ELNS1_3repE0EEENS1_38merge_mergepath_config_static_selectorELNS0_4arch9wavefront6targetE1EEEvSL_,"axG",@progbits,_ZN7rocprim17ROCPRIM_400000_NS6detail17trampoline_kernelINS0_14default_configENS1_38merge_sort_block_merge_config_selectorIiNS0_10empty_typeEEEZZNS1_27merge_sort_block_merge_implIS3_N6thrust23THRUST_200600_302600_NS6detail15normal_iteratorINS9_10device_ptrIiEEEEPS5_jNS1_19radix_merge_compareILb0ELb1EiNS0_19identity_decomposerEEEEE10hipError_tT0_T1_T2_jT3_P12ihipStream_tbPNSt15iterator_traitsISK_E10value_typeEPNSQ_ISL_E10value_typeEPSM_NS1_7vsmem_tEENKUlT_SK_SL_SM_E_clISE_PiSF_SF_EESJ_SZ_SK_SL_SM_EUlSZ_E0_NS1_11comp_targetILNS1_3genE9ELNS1_11target_archE1100ELNS1_3gpuE3ELNS1_3repE0EEENS1_38merge_mergepath_config_static_selectorELNS0_4arch9wavefront6targetE1EEEvSL_,comdat
	.protected	_ZN7rocprim17ROCPRIM_400000_NS6detail17trampoline_kernelINS0_14default_configENS1_38merge_sort_block_merge_config_selectorIiNS0_10empty_typeEEEZZNS1_27merge_sort_block_merge_implIS3_N6thrust23THRUST_200600_302600_NS6detail15normal_iteratorINS9_10device_ptrIiEEEEPS5_jNS1_19radix_merge_compareILb0ELb1EiNS0_19identity_decomposerEEEEE10hipError_tT0_T1_T2_jT3_P12ihipStream_tbPNSt15iterator_traitsISK_E10value_typeEPNSQ_ISL_E10value_typeEPSM_NS1_7vsmem_tEENKUlT_SK_SL_SM_E_clISE_PiSF_SF_EESJ_SZ_SK_SL_SM_EUlSZ_E0_NS1_11comp_targetILNS1_3genE9ELNS1_11target_archE1100ELNS1_3gpuE3ELNS1_3repE0EEENS1_38merge_mergepath_config_static_selectorELNS0_4arch9wavefront6targetE1EEEvSL_ ; -- Begin function _ZN7rocprim17ROCPRIM_400000_NS6detail17trampoline_kernelINS0_14default_configENS1_38merge_sort_block_merge_config_selectorIiNS0_10empty_typeEEEZZNS1_27merge_sort_block_merge_implIS3_N6thrust23THRUST_200600_302600_NS6detail15normal_iteratorINS9_10device_ptrIiEEEEPS5_jNS1_19radix_merge_compareILb0ELb1EiNS0_19identity_decomposerEEEEE10hipError_tT0_T1_T2_jT3_P12ihipStream_tbPNSt15iterator_traitsISK_E10value_typeEPNSQ_ISL_E10value_typeEPSM_NS1_7vsmem_tEENKUlT_SK_SL_SM_E_clISE_PiSF_SF_EESJ_SZ_SK_SL_SM_EUlSZ_E0_NS1_11comp_targetILNS1_3genE9ELNS1_11target_archE1100ELNS1_3gpuE3ELNS1_3repE0EEENS1_38merge_mergepath_config_static_selectorELNS0_4arch9wavefront6targetE1EEEvSL_
	.globl	_ZN7rocprim17ROCPRIM_400000_NS6detail17trampoline_kernelINS0_14default_configENS1_38merge_sort_block_merge_config_selectorIiNS0_10empty_typeEEEZZNS1_27merge_sort_block_merge_implIS3_N6thrust23THRUST_200600_302600_NS6detail15normal_iteratorINS9_10device_ptrIiEEEEPS5_jNS1_19radix_merge_compareILb0ELb1EiNS0_19identity_decomposerEEEEE10hipError_tT0_T1_T2_jT3_P12ihipStream_tbPNSt15iterator_traitsISK_E10value_typeEPNSQ_ISL_E10value_typeEPSM_NS1_7vsmem_tEENKUlT_SK_SL_SM_E_clISE_PiSF_SF_EESJ_SZ_SK_SL_SM_EUlSZ_E0_NS1_11comp_targetILNS1_3genE9ELNS1_11target_archE1100ELNS1_3gpuE3ELNS1_3repE0EEENS1_38merge_mergepath_config_static_selectorELNS0_4arch9wavefront6targetE1EEEvSL_
	.p2align	8
	.type	_ZN7rocprim17ROCPRIM_400000_NS6detail17trampoline_kernelINS0_14default_configENS1_38merge_sort_block_merge_config_selectorIiNS0_10empty_typeEEEZZNS1_27merge_sort_block_merge_implIS3_N6thrust23THRUST_200600_302600_NS6detail15normal_iteratorINS9_10device_ptrIiEEEEPS5_jNS1_19radix_merge_compareILb0ELb1EiNS0_19identity_decomposerEEEEE10hipError_tT0_T1_T2_jT3_P12ihipStream_tbPNSt15iterator_traitsISK_E10value_typeEPNSQ_ISL_E10value_typeEPSM_NS1_7vsmem_tEENKUlT_SK_SL_SM_E_clISE_PiSF_SF_EESJ_SZ_SK_SL_SM_EUlSZ_E0_NS1_11comp_targetILNS1_3genE9ELNS1_11target_archE1100ELNS1_3gpuE3ELNS1_3repE0EEENS1_38merge_mergepath_config_static_selectorELNS0_4arch9wavefront6targetE1EEEvSL_,@function
_ZN7rocprim17ROCPRIM_400000_NS6detail17trampoline_kernelINS0_14default_configENS1_38merge_sort_block_merge_config_selectorIiNS0_10empty_typeEEEZZNS1_27merge_sort_block_merge_implIS3_N6thrust23THRUST_200600_302600_NS6detail15normal_iteratorINS9_10device_ptrIiEEEEPS5_jNS1_19radix_merge_compareILb0ELb1EiNS0_19identity_decomposerEEEEE10hipError_tT0_T1_T2_jT3_P12ihipStream_tbPNSt15iterator_traitsISK_E10value_typeEPNSQ_ISL_E10value_typeEPSM_NS1_7vsmem_tEENKUlT_SK_SL_SM_E_clISE_PiSF_SF_EESJ_SZ_SK_SL_SM_EUlSZ_E0_NS1_11comp_targetILNS1_3genE9ELNS1_11target_archE1100ELNS1_3gpuE3ELNS1_3repE0EEENS1_38merge_mergepath_config_static_selectorELNS0_4arch9wavefront6targetE1EEEvSL_: ; @_ZN7rocprim17ROCPRIM_400000_NS6detail17trampoline_kernelINS0_14default_configENS1_38merge_sort_block_merge_config_selectorIiNS0_10empty_typeEEEZZNS1_27merge_sort_block_merge_implIS3_N6thrust23THRUST_200600_302600_NS6detail15normal_iteratorINS9_10device_ptrIiEEEEPS5_jNS1_19radix_merge_compareILb0ELb1EiNS0_19identity_decomposerEEEEE10hipError_tT0_T1_T2_jT3_P12ihipStream_tbPNSt15iterator_traitsISK_E10value_typeEPNSQ_ISL_E10value_typeEPSM_NS1_7vsmem_tEENKUlT_SK_SL_SM_E_clISE_PiSF_SF_EESJ_SZ_SK_SL_SM_EUlSZ_E0_NS1_11comp_targetILNS1_3genE9ELNS1_11target_archE1100ELNS1_3gpuE3ELNS1_3repE0EEENS1_38merge_mergepath_config_static_selectorELNS0_4arch9wavefront6targetE1EEEvSL_
; %bb.0:
	.section	.rodata,"a",@progbits
	.p2align	6, 0x0
	.amdhsa_kernel _ZN7rocprim17ROCPRIM_400000_NS6detail17trampoline_kernelINS0_14default_configENS1_38merge_sort_block_merge_config_selectorIiNS0_10empty_typeEEEZZNS1_27merge_sort_block_merge_implIS3_N6thrust23THRUST_200600_302600_NS6detail15normal_iteratorINS9_10device_ptrIiEEEEPS5_jNS1_19radix_merge_compareILb0ELb1EiNS0_19identity_decomposerEEEEE10hipError_tT0_T1_T2_jT3_P12ihipStream_tbPNSt15iterator_traitsISK_E10value_typeEPNSQ_ISL_E10value_typeEPSM_NS1_7vsmem_tEENKUlT_SK_SL_SM_E_clISE_PiSF_SF_EESJ_SZ_SK_SL_SM_EUlSZ_E0_NS1_11comp_targetILNS1_3genE9ELNS1_11target_archE1100ELNS1_3gpuE3ELNS1_3repE0EEENS1_38merge_mergepath_config_static_selectorELNS0_4arch9wavefront6targetE1EEEvSL_
		.amdhsa_group_segment_fixed_size 0
		.amdhsa_private_segment_fixed_size 0
		.amdhsa_kernarg_size 64
		.amdhsa_user_sgpr_count 2
		.amdhsa_user_sgpr_dispatch_ptr 0
		.amdhsa_user_sgpr_queue_ptr 0
		.amdhsa_user_sgpr_kernarg_segment_ptr 1
		.amdhsa_user_sgpr_dispatch_id 0
		.amdhsa_user_sgpr_kernarg_preload_length 0
		.amdhsa_user_sgpr_kernarg_preload_offset 0
		.amdhsa_user_sgpr_private_segment_size 0
		.amdhsa_uses_dynamic_stack 0
		.amdhsa_enable_private_segment 0
		.amdhsa_system_sgpr_workgroup_id_x 1
		.amdhsa_system_sgpr_workgroup_id_y 0
		.amdhsa_system_sgpr_workgroup_id_z 0
		.amdhsa_system_sgpr_workgroup_info 0
		.amdhsa_system_vgpr_workitem_id 0
		.amdhsa_next_free_vgpr 1
		.amdhsa_next_free_sgpr 0
		.amdhsa_accum_offset 4
		.amdhsa_reserve_vcc 0
		.amdhsa_float_round_mode_32 0
		.amdhsa_float_round_mode_16_64 0
		.amdhsa_float_denorm_mode_32 3
		.amdhsa_float_denorm_mode_16_64 3
		.amdhsa_dx10_clamp 1
		.amdhsa_ieee_mode 1
		.amdhsa_fp16_overflow 0
		.amdhsa_tg_split 0
		.amdhsa_exception_fp_ieee_invalid_op 0
		.amdhsa_exception_fp_denorm_src 0
		.amdhsa_exception_fp_ieee_div_zero 0
		.amdhsa_exception_fp_ieee_overflow 0
		.amdhsa_exception_fp_ieee_underflow 0
		.amdhsa_exception_fp_ieee_inexact 0
		.amdhsa_exception_int_div_zero 0
	.end_amdhsa_kernel
	.section	.text._ZN7rocprim17ROCPRIM_400000_NS6detail17trampoline_kernelINS0_14default_configENS1_38merge_sort_block_merge_config_selectorIiNS0_10empty_typeEEEZZNS1_27merge_sort_block_merge_implIS3_N6thrust23THRUST_200600_302600_NS6detail15normal_iteratorINS9_10device_ptrIiEEEEPS5_jNS1_19radix_merge_compareILb0ELb1EiNS0_19identity_decomposerEEEEE10hipError_tT0_T1_T2_jT3_P12ihipStream_tbPNSt15iterator_traitsISK_E10value_typeEPNSQ_ISL_E10value_typeEPSM_NS1_7vsmem_tEENKUlT_SK_SL_SM_E_clISE_PiSF_SF_EESJ_SZ_SK_SL_SM_EUlSZ_E0_NS1_11comp_targetILNS1_3genE9ELNS1_11target_archE1100ELNS1_3gpuE3ELNS1_3repE0EEENS1_38merge_mergepath_config_static_selectorELNS0_4arch9wavefront6targetE1EEEvSL_,"axG",@progbits,_ZN7rocprim17ROCPRIM_400000_NS6detail17trampoline_kernelINS0_14default_configENS1_38merge_sort_block_merge_config_selectorIiNS0_10empty_typeEEEZZNS1_27merge_sort_block_merge_implIS3_N6thrust23THRUST_200600_302600_NS6detail15normal_iteratorINS9_10device_ptrIiEEEEPS5_jNS1_19radix_merge_compareILb0ELb1EiNS0_19identity_decomposerEEEEE10hipError_tT0_T1_T2_jT3_P12ihipStream_tbPNSt15iterator_traitsISK_E10value_typeEPNSQ_ISL_E10value_typeEPSM_NS1_7vsmem_tEENKUlT_SK_SL_SM_E_clISE_PiSF_SF_EESJ_SZ_SK_SL_SM_EUlSZ_E0_NS1_11comp_targetILNS1_3genE9ELNS1_11target_archE1100ELNS1_3gpuE3ELNS1_3repE0EEENS1_38merge_mergepath_config_static_selectorELNS0_4arch9wavefront6targetE1EEEvSL_,comdat
.Lfunc_end1709:
	.size	_ZN7rocprim17ROCPRIM_400000_NS6detail17trampoline_kernelINS0_14default_configENS1_38merge_sort_block_merge_config_selectorIiNS0_10empty_typeEEEZZNS1_27merge_sort_block_merge_implIS3_N6thrust23THRUST_200600_302600_NS6detail15normal_iteratorINS9_10device_ptrIiEEEEPS5_jNS1_19radix_merge_compareILb0ELb1EiNS0_19identity_decomposerEEEEE10hipError_tT0_T1_T2_jT3_P12ihipStream_tbPNSt15iterator_traitsISK_E10value_typeEPNSQ_ISL_E10value_typeEPSM_NS1_7vsmem_tEENKUlT_SK_SL_SM_E_clISE_PiSF_SF_EESJ_SZ_SK_SL_SM_EUlSZ_E0_NS1_11comp_targetILNS1_3genE9ELNS1_11target_archE1100ELNS1_3gpuE3ELNS1_3repE0EEENS1_38merge_mergepath_config_static_selectorELNS0_4arch9wavefront6targetE1EEEvSL_, .Lfunc_end1709-_ZN7rocprim17ROCPRIM_400000_NS6detail17trampoline_kernelINS0_14default_configENS1_38merge_sort_block_merge_config_selectorIiNS0_10empty_typeEEEZZNS1_27merge_sort_block_merge_implIS3_N6thrust23THRUST_200600_302600_NS6detail15normal_iteratorINS9_10device_ptrIiEEEEPS5_jNS1_19radix_merge_compareILb0ELb1EiNS0_19identity_decomposerEEEEE10hipError_tT0_T1_T2_jT3_P12ihipStream_tbPNSt15iterator_traitsISK_E10value_typeEPNSQ_ISL_E10value_typeEPSM_NS1_7vsmem_tEENKUlT_SK_SL_SM_E_clISE_PiSF_SF_EESJ_SZ_SK_SL_SM_EUlSZ_E0_NS1_11comp_targetILNS1_3genE9ELNS1_11target_archE1100ELNS1_3gpuE3ELNS1_3repE0EEENS1_38merge_mergepath_config_static_selectorELNS0_4arch9wavefront6targetE1EEEvSL_
                                        ; -- End function
	.section	.AMDGPU.csdata,"",@progbits
; Kernel info:
; codeLenInByte = 0
; NumSgprs: 6
; NumVgprs: 0
; NumAgprs: 0
; TotalNumVgprs: 0
; ScratchSize: 0
; MemoryBound: 0
; FloatMode: 240
; IeeeMode: 1
; LDSByteSize: 0 bytes/workgroup (compile time only)
; SGPRBlocks: 0
; VGPRBlocks: 0
; NumSGPRsForWavesPerEU: 6
; NumVGPRsForWavesPerEU: 1
; AccumOffset: 4
; Occupancy: 8
; WaveLimiterHint : 0
; COMPUTE_PGM_RSRC2:SCRATCH_EN: 0
; COMPUTE_PGM_RSRC2:USER_SGPR: 2
; COMPUTE_PGM_RSRC2:TRAP_HANDLER: 0
; COMPUTE_PGM_RSRC2:TGID_X_EN: 1
; COMPUTE_PGM_RSRC2:TGID_Y_EN: 0
; COMPUTE_PGM_RSRC2:TGID_Z_EN: 0
; COMPUTE_PGM_RSRC2:TIDIG_COMP_CNT: 0
; COMPUTE_PGM_RSRC3_GFX90A:ACCUM_OFFSET: 0
; COMPUTE_PGM_RSRC3_GFX90A:TG_SPLIT: 0
	.section	.text._ZN7rocprim17ROCPRIM_400000_NS6detail17trampoline_kernelINS0_14default_configENS1_38merge_sort_block_merge_config_selectorIiNS0_10empty_typeEEEZZNS1_27merge_sort_block_merge_implIS3_N6thrust23THRUST_200600_302600_NS6detail15normal_iteratorINS9_10device_ptrIiEEEEPS5_jNS1_19radix_merge_compareILb0ELb1EiNS0_19identity_decomposerEEEEE10hipError_tT0_T1_T2_jT3_P12ihipStream_tbPNSt15iterator_traitsISK_E10value_typeEPNSQ_ISL_E10value_typeEPSM_NS1_7vsmem_tEENKUlT_SK_SL_SM_E_clISE_PiSF_SF_EESJ_SZ_SK_SL_SM_EUlSZ_E0_NS1_11comp_targetILNS1_3genE8ELNS1_11target_archE1030ELNS1_3gpuE2ELNS1_3repE0EEENS1_38merge_mergepath_config_static_selectorELNS0_4arch9wavefront6targetE1EEEvSL_,"axG",@progbits,_ZN7rocprim17ROCPRIM_400000_NS6detail17trampoline_kernelINS0_14default_configENS1_38merge_sort_block_merge_config_selectorIiNS0_10empty_typeEEEZZNS1_27merge_sort_block_merge_implIS3_N6thrust23THRUST_200600_302600_NS6detail15normal_iteratorINS9_10device_ptrIiEEEEPS5_jNS1_19radix_merge_compareILb0ELb1EiNS0_19identity_decomposerEEEEE10hipError_tT0_T1_T2_jT3_P12ihipStream_tbPNSt15iterator_traitsISK_E10value_typeEPNSQ_ISL_E10value_typeEPSM_NS1_7vsmem_tEENKUlT_SK_SL_SM_E_clISE_PiSF_SF_EESJ_SZ_SK_SL_SM_EUlSZ_E0_NS1_11comp_targetILNS1_3genE8ELNS1_11target_archE1030ELNS1_3gpuE2ELNS1_3repE0EEENS1_38merge_mergepath_config_static_selectorELNS0_4arch9wavefront6targetE1EEEvSL_,comdat
	.protected	_ZN7rocprim17ROCPRIM_400000_NS6detail17trampoline_kernelINS0_14default_configENS1_38merge_sort_block_merge_config_selectorIiNS0_10empty_typeEEEZZNS1_27merge_sort_block_merge_implIS3_N6thrust23THRUST_200600_302600_NS6detail15normal_iteratorINS9_10device_ptrIiEEEEPS5_jNS1_19radix_merge_compareILb0ELb1EiNS0_19identity_decomposerEEEEE10hipError_tT0_T1_T2_jT3_P12ihipStream_tbPNSt15iterator_traitsISK_E10value_typeEPNSQ_ISL_E10value_typeEPSM_NS1_7vsmem_tEENKUlT_SK_SL_SM_E_clISE_PiSF_SF_EESJ_SZ_SK_SL_SM_EUlSZ_E0_NS1_11comp_targetILNS1_3genE8ELNS1_11target_archE1030ELNS1_3gpuE2ELNS1_3repE0EEENS1_38merge_mergepath_config_static_selectorELNS0_4arch9wavefront6targetE1EEEvSL_ ; -- Begin function _ZN7rocprim17ROCPRIM_400000_NS6detail17trampoline_kernelINS0_14default_configENS1_38merge_sort_block_merge_config_selectorIiNS0_10empty_typeEEEZZNS1_27merge_sort_block_merge_implIS3_N6thrust23THRUST_200600_302600_NS6detail15normal_iteratorINS9_10device_ptrIiEEEEPS5_jNS1_19radix_merge_compareILb0ELb1EiNS0_19identity_decomposerEEEEE10hipError_tT0_T1_T2_jT3_P12ihipStream_tbPNSt15iterator_traitsISK_E10value_typeEPNSQ_ISL_E10value_typeEPSM_NS1_7vsmem_tEENKUlT_SK_SL_SM_E_clISE_PiSF_SF_EESJ_SZ_SK_SL_SM_EUlSZ_E0_NS1_11comp_targetILNS1_3genE8ELNS1_11target_archE1030ELNS1_3gpuE2ELNS1_3repE0EEENS1_38merge_mergepath_config_static_selectorELNS0_4arch9wavefront6targetE1EEEvSL_
	.globl	_ZN7rocprim17ROCPRIM_400000_NS6detail17trampoline_kernelINS0_14default_configENS1_38merge_sort_block_merge_config_selectorIiNS0_10empty_typeEEEZZNS1_27merge_sort_block_merge_implIS3_N6thrust23THRUST_200600_302600_NS6detail15normal_iteratorINS9_10device_ptrIiEEEEPS5_jNS1_19radix_merge_compareILb0ELb1EiNS0_19identity_decomposerEEEEE10hipError_tT0_T1_T2_jT3_P12ihipStream_tbPNSt15iterator_traitsISK_E10value_typeEPNSQ_ISL_E10value_typeEPSM_NS1_7vsmem_tEENKUlT_SK_SL_SM_E_clISE_PiSF_SF_EESJ_SZ_SK_SL_SM_EUlSZ_E0_NS1_11comp_targetILNS1_3genE8ELNS1_11target_archE1030ELNS1_3gpuE2ELNS1_3repE0EEENS1_38merge_mergepath_config_static_selectorELNS0_4arch9wavefront6targetE1EEEvSL_
	.p2align	8
	.type	_ZN7rocprim17ROCPRIM_400000_NS6detail17trampoline_kernelINS0_14default_configENS1_38merge_sort_block_merge_config_selectorIiNS0_10empty_typeEEEZZNS1_27merge_sort_block_merge_implIS3_N6thrust23THRUST_200600_302600_NS6detail15normal_iteratorINS9_10device_ptrIiEEEEPS5_jNS1_19radix_merge_compareILb0ELb1EiNS0_19identity_decomposerEEEEE10hipError_tT0_T1_T2_jT3_P12ihipStream_tbPNSt15iterator_traitsISK_E10value_typeEPNSQ_ISL_E10value_typeEPSM_NS1_7vsmem_tEENKUlT_SK_SL_SM_E_clISE_PiSF_SF_EESJ_SZ_SK_SL_SM_EUlSZ_E0_NS1_11comp_targetILNS1_3genE8ELNS1_11target_archE1030ELNS1_3gpuE2ELNS1_3repE0EEENS1_38merge_mergepath_config_static_selectorELNS0_4arch9wavefront6targetE1EEEvSL_,@function
_ZN7rocprim17ROCPRIM_400000_NS6detail17trampoline_kernelINS0_14default_configENS1_38merge_sort_block_merge_config_selectorIiNS0_10empty_typeEEEZZNS1_27merge_sort_block_merge_implIS3_N6thrust23THRUST_200600_302600_NS6detail15normal_iteratorINS9_10device_ptrIiEEEEPS5_jNS1_19radix_merge_compareILb0ELb1EiNS0_19identity_decomposerEEEEE10hipError_tT0_T1_T2_jT3_P12ihipStream_tbPNSt15iterator_traitsISK_E10value_typeEPNSQ_ISL_E10value_typeEPSM_NS1_7vsmem_tEENKUlT_SK_SL_SM_E_clISE_PiSF_SF_EESJ_SZ_SK_SL_SM_EUlSZ_E0_NS1_11comp_targetILNS1_3genE8ELNS1_11target_archE1030ELNS1_3gpuE2ELNS1_3repE0EEENS1_38merge_mergepath_config_static_selectorELNS0_4arch9wavefront6targetE1EEEvSL_: ; @_ZN7rocprim17ROCPRIM_400000_NS6detail17trampoline_kernelINS0_14default_configENS1_38merge_sort_block_merge_config_selectorIiNS0_10empty_typeEEEZZNS1_27merge_sort_block_merge_implIS3_N6thrust23THRUST_200600_302600_NS6detail15normal_iteratorINS9_10device_ptrIiEEEEPS5_jNS1_19radix_merge_compareILb0ELb1EiNS0_19identity_decomposerEEEEE10hipError_tT0_T1_T2_jT3_P12ihipStream_tbPNSt15iterator_traitsISK_E10value_typeEPNSQ_ISL_E10value_typeEPSM_NS1_7vsmem_tEENKUlT_SK_SL_SM_E_clISE_PiSF_SF_EESJ_SZ_SK_SL_SM_EUlSZ_E0_NS1_11comp_targetILNS1_3genE8ELNS1_11target_archE1030ELNS1_3gpuE2ELNS1_3repE0EEENS1_38merge_mergepath_config_static_selectorELNS0_4arch9wavefront6targetE1EEEvSL_
; %bb.0:
	.section	.rodata,"a",@progbits
	.p2align	6, 0x0
	.amdhsa_kernel _ZN7rocprim17ROCPRIM_400000_NS6detail17trampoline_kernelINS0_14default_configENS1_38merge_sort_block_merge_config_selectorIiNS0_10empty_typeEEEZZNS1_27merge_sort_block_merge_implIS3_N6thrust23THRUST_200600_302600_NS6detail15normal_iteratorINS9_10device_ptrIiEEEEPS5_jNS1_19radix_merge_compareILb0ELb1EiNS0_19identity_decomposerEEEEE10hipError_tT0_T1_T2_jT3_P12ihipStream_tbPNSt15iterator_traitsISK_E10value_typeEPNSQ_ISL_E10value_typeEPSM_NS1_7vsmem_tEENKUlT_SK_SL_SM_E_clISE_PiSF_SF_EESJ_SZ_SK_SL_SM_EUlSZ_E0_NS1_11comp_targetILNS1_3genE8ELNS1_11target_archE1030ELNS1_3gpuE2ELNS1_3repE0EEENS1_38merge_mergepath_config_static_selectorELNS0_4arch9wavefront6targetE1EEEvSL_
		.amdhsa_group_segment_fixed_size 0
		.amdhsa_private_segment_fixed_size 0
		.amdhsa_kernarg_size 64
		.amdhsa_user_sgpr_count 2
		.amdhsa_user_sgpr_dispatch_ptr 0
		.amdhsa_user_sgpr_queue_ptr 0
		.amdhsa_user_sgpr_kernarg_segment_ptr 1
		.amdhsa_user_sgpr_dispatch_id 0
		.amdhsa_user_sgpr_kernarg_preload_length 0
		.amdhsa_user_sgpr_kernarg_preload_offset 0
		.amdhsa_user_sgpr_private_segment_size 0
		.amdhsa_uses_dynamic_stack 0
		.amdhsa_enable_private_segment 0
		.amdhsa_system_sgpr_workgroup_id_x 1
		.amdhsa_system_sgpr_workgroup_id_y 0
		.amdhsa_system_sgpr_workgroup_id_z 0
		.amdhsa_system_sgpr_workgroup_info 0
		.amdhsa_system_vgpr_workitem_id 0
		.amdhsa_next_free_vgpr 1
		.amdhsa_next_free_sgpr 0
		.amdhsa_accum_offset 4
		.amdhsa_reserve_vcc 0
		.amdhsa_float_round_mode_32 0
		.amdhsa_float_round_mode_16_64 0
		.amdhsa_float_denorm_mode_32 3
		.amdhsa_float_denorm_mode_16_64 3
		.amdhsa_dx10_clamp 1
		.amdhsa_ieee_mode 1
		.amdhsa_fp16_overflow 0
		.amdhsa_tg_split 0
		.amdhsa_exception_fp_ieee_invalid_op 0
		.amdhsa_exception_fp_denorm_src 0
		.amdhsa_exception_fp_ieee_div_zero 0
		.amdhsa_exception_fp_ieee_overflow 0
		.amdhsa_exception_fp_ieee_underflow 0
		.amdhsa_exception_fp_ieee_inexact 0
		.amdhsa_exception_int_div_zero 0
	.end_amdhsa_kernel
	.section	.text._ZN7rocprim17ROCPRIM_400000_NS6detail17trampoline_kernelINS0_14default_configENS1_38merge_sort_block_merge_config_selectorIiNS0_10empty_typeEEEZZNS1_27merge_sort_block_merge_implIS3_N6thrust23THRUST_200600_302600_NS6detail15normal_iteratorINS9_10device_ptrIiEEEEPS5_jNS1_19radix_merge_compareILb0ELb1EiNS0_19identity_decomposerEEEEE10hipError_tT0_T1_T2_jT3_P12ihipStream_tbPNSt15iterator_traitsISK_E10value_typeEPNSQ_ISL_E10value_typeEPSM_NS1_7vsmem_tEENKUlT_SK_SL_SM_E_clISE_PiSF_SF_EESJ_SZ_SK_SL_SM_EUlSZ_E0_NS1_11comp_targetILNS1_3genE8ELNS1_11target_archE1030ELNS1_3gpuE2ELNS1_3repE0EEENS1_38merge_mergepath_config_static_selectorELNS0_4arch9wavefront6targetE1EEEvSL_,"axG",@progbits,_ZN7rocprim17ROCPRIM_400000_NS6detail17trampoline_kernelINS0_14default_configENS1_38merge_sort_block_merge_config_selectorIiNS0_10empty_typeEEEZZNS1_27merge_sort_block_merge_implIS3_N6thrust23THRUST_200600_302600_NS6detail15normal_iteratorINS9_10device_ptrIiEEEEPS5_jNS1_19radix_merge_compareILb0ELb1EiNS0_19identity_decomposerEEEEE10hipError_tT0_T1_T2_jT3_P12ihipStream_tbPNSt15iterator_traitsISK_E10value_typeEPNSQ_ISL_E10value_typeEPSM_NS1_7vsmem_tEENKUlT_SK_SL_SM_E_clISE_PiSF_SF_EESJ_SZ_SK_SL_SM_EUlSZ_E0_NS1_11comp_targetILNS1_3genE8ELNS1_11target_archE1030ELNS1_3gpuE2ELNS1_3repE0EEENS1_38merge_mergepath_config_static_selectorELNS0_4arch9wavefront6targetE1EEEvSL_,comdat
.Lfunc_end1710:
	.size	_ZN7rocprim17ROCPRIM_400000_NS6detail17trampoline_kernelINS0_14default_configENS1_38merge_sort_block_merge_config_selectorIiNS0_10empty_typeEEEZZNS1_27merge_sort_block_merge_implIS3_N6thrust23THRUST_200600_302600_NS6detail15normal_iteratorINS9_10device_ptrIiEEEEPS5_jNS1_19radix_merge_compareILb0ELb1EiNS0_19identity_decomposerEEEEE10hipError_tT0_T1_T2_jT3_P12ihipStream_tbPNSt15iterator_traitsISK_E10value_typeEPNSQ_ISL_E10value_typeEPSM_NS1_7vsmem_tEENKUlT_SK_SL_SM_E_clISE_PiSF_SF_EESJ_SZ_SK_SL_SM_EUlSZ_E0_NS1_11comp_targetILNS1_3genE8ELNS1_11target_archE1030ELNS1_3gpuE2ELNS1_3repE0EEENS1_38merge_mergepath_config_static_selectorELNS0_4arch9wavefront6targetE1EEEvSL_, .Lfunc_end1710-_ZN7rocprim17ROCPRIM_400000_NS6detail17trampoline_kernelINS0_14default_configENS1_38merge_sort_block_merge_config_selectorIiNS0_10empty_typeEEEZZNS1_27merge_sort_block_merge_implIS3_N6thrust23THRUST_200600_302600_NS6detail15normal_iteratorINS9_10device_ptrIiEEEEPS5_jNS1_19radix_merge_compareILb0ELb1EiNS0_19identity_decomposerEEEEE10hipError_tT0_T1_T2_jT3_P12ihipStream_tbPNSt15iterator_traitsISK_E10value_typeEPNSQ_ISL_E10value_typeEPSM_NS1_7vsmem_tEENKUlT_SK_SL_SM_E_clISE_PiSF_SF_EESJ_SZ_SK_SL_SM_EUlSZ_E0_NS1_11comp_targetILNS1_3genE8ELNS1_11target_archE1030ELNS1_3gpuE2ELNS1_3repE0EEENS1_38merge_mergepath_config_static_selectorELNS0_4arch9wavefront6targetE1EEEvSL_
                                        ; -- End function
	.section	.AMDGPU.csdata,"",@progbits
; Kernel info:
; codeLenInByte = 0
; NumSgprs: 6
; NumVgprs: 0
; NumAgprs: 0
; TotalNumVgprs: 0
; ScratchSize: 0
; MemoryBound: 0
; FloatMode: 240
; IeeeMode: 1
; LDSByteSize: 0 bytes/workgroup (compile time only)
; SGPRBlocks: 0
; VGPRBlocks: 0
; NumSGPRsForWavesPerEU: 6
; NumVGPRsForWavesPerEU: 1
; AccumOffset: 4
; Occupancy: 8
; WaveLimiterHint : 0
; COMPUTE_PGM_RSRC2:SCRATCH_EN: 0
; COMPUTE_PGM_RSRC2:USER_SGPR: 2
; COMPUTE_PGM_RSRC2:TRAP_HANDLER: 0
; COMPUTE_PGM_RSRC2:TGID_X_EN: 1
; COMPUTE_PGM_RSRC2:TGID_Y_EN: 0
; COMPUTE_PGM_RSRC2:TGID_Z_EN: 0
; COMPUTE_PGM_RSRC2:TIDIG_COMP_CNT: 0
; COMPUTE_PGM_RSRC3_GFX90A:ACCUM_OFFSET: 0
; COMPUTE_PGM_RSRC3_GFX90A:TG_SPLIT: 0
	.section	.text._ZN7rocprim17ROCPRIM_400000_NS6detail17trampoline_kernelINS0_14default_configENS1_38merge_sort_block_merge_config_selectorIiNS0_10empty_typeEEEZZNS1_27merge_sort_block_merge_implIS3_N6thrust23THRUST_200600_302600_NS6detail15normal_iteratorINS9_10device_ptrIiEEEEPS5_jNS1_19radix_merge_compareILb0ELb1EiNS0_19identity_decomposerEEEEE10hipError_tT0_T1_T2_jT3_P12ihipStream_tbPNSt15iterator_traitsISK_E10value_typeEPNSQ_ISL_E10value_typeEPSM_NS1_7vsmem_tEENKUlT_SK_SL_SM_E_clISE_PiSF_SF_EESJ_SZ_SK_SL_SM_EUlSZ_E1_NS1_11comp_targetILNS1_3genE0ELNS1_11target_archE4294967295ELNS1_3gpuE0ELNS1_3repE0EEENS1_36merge_oddeven_config_static_selectorELNS0_4arch9wavefront6targetE1EEEvSL_,"axG",@progbits,_ZN7rocprim17ROCPRIM_400000_NS6detail17trampoline_kernelINS0_14default_configENS1_38merge_sort_block_merge_config_selectorIiNS0_10empty_typeEEEZZNS1_27merge_sort_block_merge_implIS3_N6thrust23THRUST_200600_302600_NS6detail15normal_iteratorINS9_10device_ptrIiEEEEPS5_jNS1_19radix_merge_compareILb0ELb1EiNS0_19identity_decomposerEEEEE10hipError_tT0_T1_T2_jT3_P12ihipStream_tbPNSt15iterator_traitsISK_E10value_typeEPNSQ_ISL_E10value_typeEPSM_NS1_7vsmem_tEENKUlT_SK_SL_SM_E_clISE_PiSF_SF_EESJ_SZ_SK_SL_SM_EUlSZ_E1_NS1_11comp_targetILNS1_3genE0ELNS1_11target_archE4294967295ELNS1_3gpuE0ELNS1_3repE0EEENS1_36merge_oddeven_config_static_selectorELNS0_4arch9wavefront6targetE1EEEvSL_,comdat
	.protected	_ZN7rocprim17ROCPRIM_400000_NS6detail17trampoline_kernelINS0_14default_configENS1_38merge_sort_block_merge_config_selectorIiNS0_10empty_typeEEEZZNS1_27merge_sort_block_merge_implIS3_N6thrust23THRUST_200600_302600_NS6detail15normal_iteratorINS9_10device_ptrIiEEEEPS5_jNS1_19radix_merge_compareILb0ELb1EiNS0_19identity_decomposerEEEEE10hipError_tT0_T1_T2_jT3_P12ihipStream_tbPNSt15iterator_traitsISK_E10value_typeEPNSQ_ISL_E10value_typeEPSM_NS1_7vsmem_tEENKUlT_SK_SL_SM_E_clISE_PiSF_SF_EESJ_SZ_SK_SL_SM_EUlSZ_E1_NS1_11comp_targetILNS1_3genE0ELNS1_11target_archE4294967295ELNS1_3gpuE0ELNS1_3repE0EEENS1_36merge_oddeven_config_static_selectorELNS0_4arch9wavefront6targetE1EEEvSL_ ; -- Begin function _ZN7rocprim17ROCPRIM_400000_NS6detail17trampoline_kernelINS0_14default_configENS1_38merge_sort_block_merge_config_selectorIiNS0_10empty_typeEEEZZNS1_27merge_sort_block_merge_implIS3_N6thrust23THRUST_200600_302600_NS6detail15normal_iteratorINS9_10device_ptrIiEEEEPS5_jNS1_19radix_merge_compareILb0ELb1EiNS0_19identity_decomposerEEEEE10hipError_tT0_T1_T2_jT3_P12ihipStream_tbPNSt15iterator_traitsISK_E10value_typeEPNSQ_ISL_E10value_typeEPSM_NS1_7vsmem_tEENKUlT_SK_SL_SM_E_clISE_PiSF_SF_EESJ_SZ_SK_SL_SM_EUlSZ_E1_NS1_11comp_targetILNS1_3genE0ELNS1_11target_archE4294967295ELNS1_3gpuE0ELNS1_3repE0EEENS1_36merge_oddeven_config_static_selectorELNS0_4arch9wavefront6targetE1EEEvSL_
	.globl	_ZN7rocprim17ROCPRIM_400000_NS6detail17trampoline_kernelINS0_14default_configENS1_38merge_sort_block_merge_config_selectorIiNS0_10empty_typeEEEZZNS1_27merge_sort_block_merge_implIS3_N6thrust23THRUST_200600_302600_NS6detail15normal_iteratorINS9_10device_ptrIiEEEEPS5_jNS1_19radix_merge_compareILb0ELb1EiNS0_19identity_decomposerEEEEE10hipError_tT0_T1_T2_jT3_P12ihipStream_tbPNSt15iterator_traitsISK_E10value_typeEPNSQ_ISL_E10value_typeEPSM_NS1_7vsmem_tEENKUlT_SK_SL_SM_E_clISE_PiSF_SF_EESJ_SZ_SK_SL_SM_EUlSZ_E1_NS1_11comp_targetILNS1_3genE0ELNS1_11target_archE4294967295ELNS1_3gpuE0ELNS1_3repE0EEENS1_36merge_oddeven_config_static_selectorELNS0_4arch9wavefront6targetE1EEEvSL_
	.p2align	8
	.type	_ZN7rocprim17ROCPRIM_400000_NS6detail17trampoline_kernelINS0_14default_configENS1_38merge_sort_block_merge_config_selectorIiNS0_10empty_typeEEEZZNS1_27merge_sort_block_merge_implIS3_N6thrust23THRUST_200600_302600_NS6detail15normal_iteratorINS9_10device_ptrIiEEEEPS5_jNS1_19radix_merge_compareILb0ELb1EiNS0_19identity_decomposerEEEEE10hipError_tT0_T1_T2_jT3_P12ihipStream_tbPNSt15iterator_traitsISK_E10value_typeEPNSQ_ISL_E10value_typeEPSM_NS1_7vsmem_tEENKUlT_SK_SL_SM_E_clISE_PiSF_SF_EESJ_SZ_SK_SL_SM_EUlSZ_E1_NS1_11comp_targetILNS1_3genE0ELNS1_11target_archE4294967295ELNS1_3gpuE0ELNS1_3repE0EEENS1_36merge_oddeven_config_static_selectorELNS0_4arch9wavefront6targetE1EEEvSL_,@function
_ZN7rocprim17ROCPRIM_400000_NS6detail17trampoline_kernelINS0_14default_configENS1_38merge_sort_block_merge_config_selectorIiNS0_10empty_typeEEEZZNS1_27merge_sort_block_merge_implIS3_N6thrust23THRUST_200600_302600_NS6detail15normal_iteratorINS9_10device_ptrIiEEEEPS5_jNS1_19radix_merge_compareILb0ELb1EiNS0_19identity_decomposerEEEEE10hipError_tT0_T1_T2_jT3_P12ihipStream_tbPNSt15iterator_traitsISK_E10value_typeEPNSQ_ISL_E10value_typeEPSM_NS1_7vsmem_tEENKUlT_SK_SL_SM_E_clISE_PiSF_SF_EESJ_SZ_SK_SL_SM_EUlSZ_E1_NS1_11comp_targetILNS1_3genE0ELNS1_11target_archE4294967295ELNS1_3gpuE0ELNS1_3repE0EEENS1_36merge_oddeven_config_static_selectorELNS0_4arch9wavefront6targetE1EEEvSL_: ; @_ZN7rocprim17ROCPRIM_400000_NS6detail17trampoline_kernelINS0_14default_configENS1_38merge_sort_block_merge_config_selectorIiNS0_10empty_typeEEEZZNS1_27merge_sort_block_merge_implIS3_N6thrust23THRUST_200600_302600_NS6detail15normal_iteratorINS9_10device_ptrIiEEEEPS5_jNS1_19radix_merge_compareILb0ELb1EiNS0_19identity_decomposerEEEEE10hipError_tT0_T1_T2_jT3_P12ihipStream_tbPNSt15iterator_traitsISK_E10value_typeEPNSQ_ISL_E10value_typeEPSM_NS1_7vsmem_tEENKUlT_SK_SL_SM_E_clISE_PiSF_SF_EESJ_SZ_SK_SL_SM_EUlSZ_E1_NS1_11comp_targetILNS1_3genE0ELNS1_11target_archE4294967295ELNS1_3gpuE0ELNS1_3repE0EEENS1_36merge_oddeven_config_static_selectorELNS0_4arch9wavefront6targetE1EEEvSL_
; %bb.0:
	.section	.rodata,"a",@progbits
	.p2align	6, 0x0
	.amdhsa_kernel _ZN7rocprim17ROCPRIM_400000_NS6detail17trampoline_kernelINS0_14default_configENS1_38merge_sort_block_merge_config_selectorIiNS0_10empty_typeEEEZZNS1_27merge_sort_block_merge_implIS3_N6thrust23THRUST_200600_302600_NS6detail15normal_iteratorINS9_10device_ptrIiEEEEPS5_jNS1_19radix_merge_compareILb0ELb1EiNS0_19identity_decomposerEEEEE10hipError_tT0_T1_T2_jT3_P12ihipStream_tbPNSt15iterator_traitsISK_E10value_typeEPNSQ_ISL_E10value_typeEPSM_NS1_7vsmem_tEENKUlT_SK_SL_SM_E_clISE_PiSF_SF_EESJ_SZ_SK_SL_SM_EUlSZ_E1_NS1_11comp_targetILNS1_3genE0ELNS1_11target_archE4294967295ELNS1_3gpuE0ELNS1_3repE0EEENS1_36merge_oddeven_config_static_selectorELNS0_4arch9wavefront6targetE1EEEvSL_
		.amdhsa_group_segment_fixed_size 0
		.amdhsa_private_segment_fixed_size 0
		.amdhsa_kernarg_size 48
		.amdhsa_user_sgpr_count 2
		.amdhsa_user_sgpr_dispatch_ptr 0
		.amdhsa_user_sgpr_queue_ptr 0
		.amdhsa_user_sgpr_kernarg_segment_ptr 1
		.amdhsa_user_sgpr_dispatch_id 0
		.amdhsa_user_sgpr_kernarg_preload_length 0
		.amdhsa_user_sgpr_kernarg_preload_offset 0
		.amdhsa_user_sgpr_private_segment_size 0
		.amdhsa_uses_dynamic_stack 0
		.amdhsa_enable_private_segment 0
		.amdhsa_system_sgpr_workgroup_id_x 1
		.amdhsa_system_sgpr_workgroup_id_y 0
		.amdhsa_system_sgpr_workgroup_id_z 0
		.amdhsa_system_sgpr_workgroup_info 0
		.amdhsa_system_vgpr_workitem_id 0
		.amdhsa_next_free_vgpr 1
		.amdhsa_next_free_sgpr 0
		.amdhsa_accum_offset 4
		.amdhsa_reserve_vcc 0
		.amdhsa_float_round_mode_32 0
		.amdhsa_float_round_mode_16_64 0
		.amdhsa_float_denorm_mode_32 3
		.amdhsa_float_denorm_mode_16_64 3
		.amdhsa_dx10_clamp 1
		.amdhsa_ieee_mode 1
		.amdhsa_fp16_overflow 0
		.amdhsa_tg_split 0
		.amdhsa_exception_fp_ieee_invalid_op 0
		.amdhsa_exception_fp_denorm_src 0
		.amdhsa_exception_fp_ieee_div_zero 0
		.amdhsa_exception_fp_ieee_overflow 0
		.amdhsa_exception_fp_ieee_underflow 0
		.amdhsa_exception_fp_ieee_inexact 0
		.amdhsa_exception_int_div_zero 0
	.end_amdhsa_kernel
	.section	.text._ZN7rocprim17ROCPRIM_400000_NS6detail17trampoline_kernelINS0_14default_configENS1_38merge_sort_block_merge_config_selectorIiNS0_10empty_typeEEEZZNS1_27merge_sort_block_merge_implIS3_N6thrust23THRUST_200600_302600_NS6detail15normal_iteratorINS9_10device_ptrIiEEEEPS5_jNS1_19radix_merge_compareILb0ELb1EiNS0_19identity_decomposerEEEEE10hipError_tT0_T1_T2_jT3_P12ihipStream_tbPNSt15iterator_traitsISK_E10value_typeEPNSQ_ISL_E10value_typeEPSM_NS1_7vsmem_tEENKUlT_SK_SL_SM_E_clISE_PiSF_SF_EESJ_SZ_SK_SL_SM_EUlSZ_E1_NS1_11comp_targetILNS1_3genE0ELNS1_11target_archE4294967295ELNS1_3gpuE0ELNS1_3repE0EEENS1_36merge_oddeven_config_static_selectorELNS0_4arch9wavefront6targetE1EEEvSL_,"axG",@progbits,_ZN7rocprim17ROCPRIM_400000_NS6detail17trampoline_kernelINS0_14default_configENS1_38merge_sort_block_merge_config_selectorIiNS0_10empty_typeEEEZZNS1_27merge_sort_block_merge_implIS3_N6thrust23THRUST_200600_302600_NS6detail15normal_iteratorINS9_10device_ptrIiEEEEPS5_jNS1_19radix_merge_compareILb0ELb1EiNS0_19identity_decomposerEEEEE10hipError_tT0_T1_T2_jT3_P12ihipStream_tbPNSt15iterator_traitsISK_E10value_typeEPNSQ_ISL_E10value_typeEPSM_NS1_7vsmem_tEENKUlT_SK_SL_SM_E_clISE_PiSF_SF_EESJ_SZ_SK_SL_SM_EUlSZ_E1_NS1_11comp_targetILNS1_3genE0ELNS1_11target_archE4294967295ELNS1_3gpuE0ELNS1_3repE0EEENS1_36merge_oddeven_config_static_selectorELNS0_4arch9wavefront6targetE1EEEvSL_,comdat
.Lfunc_end1711:
	.size	_ZN7rocprim17ROCPRIM_400000_NS6detail17trampoline_kernelINS0_14default_configENS1_38merge_sort_block_merge_config_selectorIiNS0_10empty_typeEEEZZNS1_27merge_sort_block_merge_implIS3_N6thrust23THRUST_200600_302600_NS6detail15normal_iteratorINS9_10device_ptrIiEEEEPS5_jNS1_19radix_merge_compareILb0ELb1EiNS0_19identity_decomposerEEEEE10hipError_tT0_T1_T2_jT3_P12ihipStream_tbPNSt15iterator_traitsISK_E10value_typeEPNSQ_ISL_E10value_typeEPSM_NS1_7vsmem_tEENKUlT_SK_SL_SM_E_clISE_PiSF_SF_EESJ_SZ_SK_SL_SM_EUlSZ_E1_NS1_11comp_targetILNS1_3genE0ELNS1_11target_archE4294967295ELNS1_3gpuE0ELNS1_3repE0EEENS1_36merge_oddeven_config_static_selectorELNS0_4arch9wavefront6targetE1EEEvSL_, .Lfunc_end1711-_ZN7rocprim17ROCPRIM_400000_NS6detail17trampoline_kernelINS0_14default_configENS1_38merge_sort_block_merge_config_selectorIiNS0_10empty_typeEEEZZNS1_27merge_sort_block_merge_implIS3_N6thrust23THRUST_200600_302600_NS6detail15normal_iteratorINS9_10device_ptrIiEEEEPS5_jNS1_19radix_merge_compareILb0ELb1EiNS0_19identity_decomposerEEEEE10hipError_tT0_T1_T2_jT3_P12ihipStream_tbPNSt15iterator_traitsISK_E10value_typeEPNSQ_ISL_E10value_typeEPSM_NS1_7vsmem_tEENKUlT_SK_SL_SM_E_clISE_PiSF_SF_EESJ_SZ_SK_SL_SM_EUlSZ_E1_NS1_11comp_targetILNS1_3genE0ELNS1_11target_archE4294967295ELNS1_3gpuE0ELNS1_3repE0EEENS1_36merge_oddeven_config_static_selectorELNS0_4arch9wavefront6targetE1EEEvSL_
                                        ; -- End function
	.section	.AMDGPU.csdata,"",@progbits
; Kernel info:
; codeLenInByte = 0
; NumSgprs: 6
; NumVgprs: 0
; NumAgprs: 0
; TotalNumVgprs: 0
; ScratchSize: 0
; MemoryBound: 0
; FloatMode: 240
; IeeeMode: 1
; LDSByteSize: 0 bytes/workgroup (compile time only)
; SGPRBlocks: 0
; VGPRBlocks: 0
; NumSGPRsForWavesPerEU: 6
; NumVGPRsForWavesPerEU: 1
; AccumOffset: 4
; Occupancy: 8
; WaveLimiterHint : 0
; COMPUTE_PGM_RSRC2:SCRATCH_EN: 0
; COMPUTE_PGM_RSRC2:USER_SGPR: 2
; COMPUTE_PGM_RSRC2:TRAP_HANDLER: 0
; COMPUTE_PGM_RSRC2:TGID_X_EN: 1
; COMPUTE_PGM_RSRC2:TGID_Y_EN: 0
; COMPUTE_PGM_RSRC2:TGID_Z_EN: 0
; COMPUTE_PGM_RSRC2:TIDIG_COMP_CNT: 0
; COMPUTE_PGM_RSRC3_GFX90A:ACCUM_OFFSET: 0
; COMPUTE_PGM_RSRC3_GFX90A:TG_SPLIT: 0
	.section	.text._ZN7rocprim17ROCPRIM_400000_NS6detail17trampoline_kernelINS0_14default_configENS1_38merge_sort_block_merge_config_selectorIiNS0_10empty_typeEEEZZNS1_27merge_sort_block_merge_implIS3_N6thrust23THRUST_200600_302600_NS6detail15normal_iteratorINS9_10device_ptrIiEEEEPS5_jNS1_19radix_merge_compareILb0ELb1EiNS0_19identity_decomposerEEEEE10hipError_tT0_T1_T2_jT3_P12ihipStream_tbPNSt15iterator_traitsISK_E10value_typeEPNSQ_ISL_E10value_typeEPSM_NS1_7vsmem_tEENKUlT_SK_SL_SM_E_clISE_PiSF_SF_EESJ_SZ_SK_SL_SM_EUlSZ_E1_NS1_11comp_targetILNS1_3genE10ELNS1_11target_archE1201ELNS1_3gpuE5ELNS1_3repE0EEENS1_36merge_oddeven_config_static_selectorELNS0_4arch9wavefront6targetE1EEEvSL_,"axG",@progbits,_ZN7rocprim17ROCPRIM_400000_NS6detail17trampoline_kernelINS0_14default_configENS1_38merge_sort_block_merge_config_selectorIiNS0_10empty_typeEEEZZNS1_27merge_sort_block_merge_implIS3_N6thrust23THRUST_200600_302600_NS6detail15normal_iteratorINS9_10device_ptrIiEEEEPS5_jNS1_19radix_merge_compareILb0ELb1EiNS0_19identity_decomposerEEEEE10hipError_tT0_T1_T2_jT3_P12ihipStream_tbPNSt15iterator_traitsISK_E10value_typeEPNSQ_ISL_E10value_typeEPSM_NS1_7vsmem_tEENKUlT_SK_SL_SM_E_clISE_PiSF_SF_EESJ_SZ_SK_SL_SM_EUlSZ_E1_NS1_11comp_targetILNS1_3genE10ELNS1_11target_archE1201ELNS1_3gpuE5ELNS1_3repE0EEENS1_36merge_oddeven_config_static_selectorELNS0_4arch9wavefront6targetE1EEEvSL_,comdat
	.protected	_ZN7rocprim17ROCPRIM_400000_NS6detail17trampoline_kernelINS0_14default_configENS1_38merge_sort_block_merge_config_selectorIiNS0_10empty_typeEEEZZNS1_27merge_sort_block_merge_implIS3_N6thrust23THRUST_200600_302600_NS6detail15normal_iteratorINS9_10device_ptrIiEEEEPS5_jNS1_19radix_merge_compareILb0ELb1EiNS0_19identity_decomposerEEEEE10hipError_tT0_T1_T2_jT3_P12ihipStream_tbPNSt15iterator_traitsISK_E10value_typeEPNSQ_ISL_E10value_typeEPSM_NS1_7vsmem_tEENKUlT_SK_SL_SM_E_clISE_PiSF_SF_EESJ_SZ_SK_SL_SM_EUlSZ_E1_NS1_11comp_targetILNS1_3genE10ELNS1_11target_archE1201ELNS1_3gpuE5ELNS1_3repE0EEENS1_36merge_oddeven_config_static_selectorELNS0_4arch9wavefront6targetE1EEEvSL_ ; -- Begin function _ZN7rocprim17ROCPRIM_400000_NS6detail17trampoline_kernelINS0_14default_configENS1_38merge_sort_block_merge_config_selectorIiNS0_10empty_typeEEEZZNS1_27merge_sort_block_merge_implIS3_N6thrust23THRUST_200600_302600_NS6detail15normal_iteratorINS9_10device_ptrIiEEEEPS5_jNS1_19radix_merge_compareILb0ELb1EiNS0_19identity_decomposerEEEEE10hipError_tT0_T1_T2_jT3_P12ihipStream_tbPNSt15iterator_traitsISK_E10value_typeEPNSQ_ISL_E10value_typeEPSM_NS1_7vsmem_tEENKUlT_SK_SL_SM_E_clISE_PiSF_SF_EESJ_SZ_SK_SL_SM_EUlSZ_E1_NS1_11comp_targetILNS1_3genE10ELNS1_11target_archE1201ELNS1_3gpuE5ELNS1_3repE0EEENS1_36merge_oddeven_config_static_selectorELNS0_4arch9wavefront6targetE1EEEvSL_
	.globl	_ZN7rocprim17ROCPRIM_400000_NS6detail17trampoline_kernelINS0_14default_configENS1_38merge_sort_block_merge_config_selectorIiNS0_10empty_typeEEEZZNS1_27merge_sort_block_merge_implIS3_N6thrust23THRUST_200600_302600_NS6detail15normal_iteratorINS9_10device_ptrIiEEEEPS5_jNS1_19radix_merge_compareILb0ELb1EiNS0_19identity_decomposerEEEEE10hipError_tT0_T1_T2_jT3_P12ihipStream_tbPNSt15iterator_traitsISK_E10value_typeEPNSQ_ISL_E10value_typeEPSM_NS1_7vsmem_tEENKUlT_SK_SL_SM_E_clISE_PiSF_SF_EESJ_SZ_SK_SL_SM_EUlSZ_E1_NS1_11comp_targetILNS1_3genE10ELNS1_11target_archE1201ELNS1_3gpuE5ELNS1_3repE0EEENS1_36merge_oddeven_config_static_selectorELNS0_4arch9wavefront6targetE1EEEvSL_
	.p2align	8
	.type	_ZN7rocprim17ROCPRIM_400000_NS6detail17trampoline_kernelINS0_14default_configENS1_38merge_sort_block_merge_config_selectorIiNS0_10empty_typeEEEZZNS1_27merge_sort_block_merge_implIS3_N6thrust23THRUST_200600_302600_NS6detail15normal_iteratorINS9_10device_ptrIiEEEEPS5_jNS1_19radix_merge_compareILb0ELb1EiNS0_19identity_decomposerEEEEE10hipError_tT0_T1_T2_jT3_P12ihipStream_tbPNSt15iterator_traitsISK_E10value_typeEPNSQ_ISL_E10value_typeEPSM_NS1_7vsmem_tEENKUlT_SK_SL_SM_E_clISE_PiSF_SF_EESJ_SZ_SK_SL_SM_EUlSZ_E1_NS1_11comp_targetILNS1_3genE10ELNS1_11target_archE1201ELNS1_3gpuE5ELNS1_3repE0EEENS1_36merge_oddeven_config_static_selectorELNS0_4arch9wavefront6targetE1EEEvSL_,@function
_ZN7rocprim17ROCPRIM_400000_NS6detail17trampoline_kernelINS0_14default_configENS1_38merge_sort_block_merge_config_selectorIiNS0_10empty_typeEEEZZNS1_27merge_sort_block_merge_implIS3_N6thrust23THRUST_200600_302600_NS6detail15normal_iteratorINS9_10device_ptrIiEEEEPS5_jNS1_19radix_merge_compareILb0ELb1EiNS0_19identity_decomposerEEEEE10hipError_tT0_T1_T2_jT3_P12ihipStream_tbPNSt15iterator_traitsISK_E10value_typeEPNSQ_ISL_E10value_typeEPSM_NS1_7vsmem_tEENKUlT_SK_SL_SM_E_clISE_PiSF_SF_EESJ_SZ_SK_SL_SM_EUlSZ_E1_NS1_11comp_targetILNS1_3genE10ELNS1_11target_archE1201ELNS1_3gpuE5ELNS1_3repE0EEENS1_36merge_oddeven_config_static_selectorELNS0_4arch9wavefront6targetE1EEEvSL_: ; @_ZN7rocprim17ROCPRIM_400000_NS6detail17trampoline_kernelINS0_14default_configENS1_38merge_sort_block_merge_config_selectorIiNS0_10empty_typeEEEZZNS1_27merge_sort_block_merge_implIS3_N6thrust23THRUST_200600_302600_NS6detail15normal_iteratorINS9_10device_ptrIiEEEEPS5_jNS1_19radix_merge_compareILb0ELb1EiNS0_19identity_decomposerEEEEE10hipError_tT0_T1_T2_jT3_P12ihipStream_tbPNSt15iterator_traitsISK_E10value_typeEPNSQ_ISL_E10value_typeEPSM_NS1_7vsmem_tEENKUlT_SK_SL_SM_E_clISE_PiSF_SF_EESJ_SZ_SK_SL_SM_EUlSZ_E1_NS1_11comp_targetILNS1_3genE10ELNS1_11target_archE1201ELNS1_3gpuE5ELNS1_3repE0EEENS1_36merge_oddeven_config_static_selectorELNS0_4arch9wavefront6targetE1EEEvSL_
; %bb.0:
	.section	.rodata,"a",@progbits
	.p2align	6, 0x0
	.amdhsa_kernel _ZN7rocprim17ROCPRIM_400000_NS6detail17trampoline_kernelINS0_14default_configENS1_38merge_sort_block_merge_config_selectorIiNS0_10empty_typeEEEZZNS1_27merge_sort_block_merge_implIS3_N6thrust23THRUST_200600_302600_NS6detail15normal_iteratorINS9_10device_ptrIiEEEEPS5_jNS1_19radix_merge_compareILb0ELb1EiNS0_19identity_decomposerEEEEE10hipError_tT0_T1_T2_jT3_P12ihipStream_tbPNSt15iterator_traitsISK_E10value_typeEPNSQ_ISL_E10value_typeEPSM_NS1_7vsmem_tEENKUlT_SK_SL_SM_E_clISE_PiSF_SF_EESJ_SZ_SK_SL_SM_EUlSZ_E1_NS1_11comp_targetILNS1_3genE10ELNS1_11target_archE1201ELNS1_3gpuE5ELNS1_3repE0EEENS1_36merge_oddeven_config_static_selectorELNS0_4arch9wavefront6targetE1EEEvSL_
		.amdhsa_group_segment_fixed_size 0
		.amdhsa_private_segment_fixed_size 0
		.amdhsa_kernarg_size 48
		.amdhsa_user_sgpr_count 2
		.amdhsa_user_sgpr_dispatch_ptr 0
		.amdhsa_user_sgpr_queue_ptr 0
		.amdhsa_user_sgpr_kernarg_segment_ptr 1
		.amdhsa_user_sgpr_dispatch_id 0
		.amdhsa_user_sgpr_kernarg_preload_length 0
		.amdhsa_user_sgpr_kernarg_preload_offset 0
		.amdhsa_user_sgpr_private_segment_size 0
		.amdhsa_uses_dynamic_stack 0
		.amdhsa_enable_private_segment 0
		.amdhsa_system_sgpr_workgroup_id_x 1
		.amdhsa_system_sgpr_workgroup_id_y 0
		.amdhsa_system_sgpr_workgroup_id_z 0
		.amdhsa_system_sgpr_workgroup_info 0
		.amdhsa_system_vgpr_workitem_id 0
		.amdhsa_next_free_vgpr 1
		.amdhsa_next_free_sgpr 0
		.amdhsa_accum_offset 4
		.amdhsa_reserve_vcc 0
		.amdhsa_float_round_mode_32 0
		.amdhsa_float_round_mode_16_64 0
		.amdhsa_float_denorm_mode_32 3
		.amdhsa_float_denorm_mode_16_64 3
		.amdhsa_dx10_clamp 1
		.amdhsa_ieee_mode 1
		.amdhsa_fp16_overflow 0
		.amdhsa_tg_split 0
		.amdhsa_exception_fp_ieee_invalid_op 0
		.amdhsa_exception_fp_denorm_src 0
		.amdhsa_exception_fp_ieee_div_zero 0
		.amdhsa_exception_fp_ieee_overflow 0
		.amdhsa_exception_fp_ieee_underflow 0
		.amdhsa_exception_fp_ieee_inexact 0
		.amdhsa_exception_int_div_zero 0
	.end_amdhsa_kernel
	.section	.text._ZN7rocprim17ROCPRIM_400000_NS6detail17trampoline_kernelINS0_14default_configENS1_38merge_sort_block_merge_config_selectorIiNS0_10empty_typeEEEZZNS1_27merge_sort_block_merge_implIS3_N6thrust23THRUST_200600_302600_NS6detail15normal_iteratorINS9_10device_ptrIiEEEEPS5_jNS1_19radix_merge_compareILb0ELb1EiNS0_19identity_decomposerEEEEE10hipError_tT0_T1_T2_jT3_P12ihipStream_tbPNSt15iterator_traitsISK_E10value_typeEPNSQ_ISL_E10value_typeEPSM_NS1_7vsmem_tEENKUlT_SK_SL_SM_E_clISE_PiSF_SF_EESJ_SZ_SK_SL_SM_EUlSZ_E1_NS1_11comp_targetILNS1_3genE10ELNS1_11target_archE1201ELNS1_3gpuE5ELNS1_3repE0EEENS1_36merge_oddeven_config_static_selectorELNS0_4arch9wavefront6targetE1EEEvSL_,"axG",@progbits,_ZN7rocprim17ROCPRIM_400000_NS6detail17trampoline_kernelINS0_14default_configENS1_38merge_sort_block_merge_config_selectorIiNS0_10empty_typeEEEZZNS1_27merge_sort_block_merge_implIS3_N6thrust23THRUST_200600_302600_NS6detail15normal_iteratorINS9_10device_ptrIiEEEEPS5_jNS1_19radix_merge_compareILb0ELb1EiNS0_19identity_decomposerEEEEE10hipError_tT0_T1_T2_jT3_P12ihipStream_tbPNSt15iterator_traitsISK_E10value_typeEPNSQ_ISL_E10value_typeEPSM_NS1_7vsmem_tEENKUlT_SK_SL_SM_E_clISE_PiSF_SF_EESJ_SZ_SK_SL_SM_EUlSZ_E1_NS1_11comp_targetILNS1_3genE10ELNS1_11target_archE1201ELNS1_3gpuE5ELNS1_3repE0EEENS1_36merge_oddeven_config_static_selectorELNS0_4arch9wavefront6targetE1EEEvSL_,comdat
.Lfunc_end1712:
	.size	_ZN7rocprim17ROCPRIM_400000_NS6detail17trampoline_kernelINS0_14default_configENS1_38merge_sort_block_merge_config_selectorIiNS0_10empty_typeEEEZZNS1_27merge_sort_block_merge_implIS3_N6thrust23THRUST_200600_302600_NS6detail15normal_iteratorINS9_10device_ptrIiEEEEPS5_jNS1_19radix_merge_compareILb0ELb1EiNS0_19identity_decomposerEEEEE10hipError_tT0_T1_T2_jT3_P12ihipStream_tbPNSt15iterator_traitsISK_E10value_typeEPNSQ_ISL_E10value_typeEPSM_NS1_7vsmem_tEENKUlT_SK_SL_SM_E_clISE_PiSF_SF_EESJ_SZ_SK_SL_SM_EUlSZ_E1_NS1_11comp_targetILNS1_3genE10ELNS1_11target_archE1201ELNS1_3gpuE5ELNS1_3repE0EEENS1_36merge_oddeven_config_static_selectorELNS0_4arch9wavefront6targetE1EEEvSL_, .Lfunc_end1712-_ZN7rocprim17ROCPRIM_400000_NS6detail17trampoline_kernelINS0_14default_configENS1_38merge_sort_block_merge_config_selectorIiNS0_10empty_typeEEEZZNS1_27merge_sort_block_merge_implIS3_N6thrust23THRUST_200600_302600_NS6detail15normal_iteratorINS9_10device_ptrIiEEEEPS5_jNS1_19radix_merge_compareILb0ELb1EiNS0_19identity_decomposerEEEEE10hipError_tT0_T1_T2_jT3_P12ihipStream_tbPNSt15iterator_traitsISK_E10value_typeEPNSQ_ISL_E10value_typeEPSM_NS1_7vsmem_tEENKUlT_SK_SL_SM_E_clISE_PiSF_SF_EESJ_SZ_SK_SL_SM_EUlSZ_E1_NS1_11comp_targetILNS1_3genE10ELNS1_11target_archE1201ELNS1_3gpuE5ELNS1_3repE0EEENS1_36merge_oddeven_config_static_selectorELNS0_4arch9wavefront6targetE1EEEvSL_
                                        ; -- End function
	.section	.AMDGPU.csdata,"",@progbits
; Kernel info:
; codeLenInByte = 0
; NumSgprs: 6
; NumVgprs: 0
; NumAgprs: 0
; TotalNumVgprs: 0
; ScratchSize: 0
; MemoryBound: 0
; FloatMode: 240
; IeeeMode: 1
; LDSByteSize: 0 bytes/workgroup (compile time only)
; SGPRBlocks: 0
; VGPRBlocks: 0
; NumSGPRsForWavesPerEU: 6
; NumVGPRsForWavesPerEU: 1
; AccumOffset: 4
; Occupancy: 8
; WaveLimiterHint : 0
; COMPUTE_PGM_RSRC2:SCRATCH_EN: 0
; COMPUTE_PGM_RSRC2:USER_SGPR: 2
; COMPUTE_PGM_RSRC2:TRAP_HANDLER: 0
; COMPUTE_PGM_RSRC2:TGID_X_EN: 1
; COMPUTE_PGM_RSRC2:TGID_Y_EN: 0
; COMPUTE_PGM_RSRC2:TGID_Z_EN: 0
; COMPUTE_PGM_RSRC2:TIDIG_COMP_CNT: 0
; COMPUTE_PGM_RSRC3_GFX90A:ACCUM_OFFSET: 0
; COMPUTE_PGM_RSRC3_GFX90A:TG_SPLIT: 0
	.section	.text._ZN7rocprim17ROCPRIM_400000_NS6detail17trampoline_kernelINS0_14default_configENS1_38merge_sort_block_merge_config_selectorIiNS0_10empty_typeEEEZZNS1_27merge_sort_block_merge_implIS3_N6thrust23THRUST_200600_302600_NS6detail15normal_iteratorINS9_10device_ptrIiEEEEPS5_jNS1_19radix_merge_compareILb0ELb1EiNS0_19identity_decomposerEEEEE10hipError_tT0_T1_T2_jT3_P12ihipStream_tbPNSt15iterator_traitsISK_E10value_typeEPNSQ_ISL_E10value_typeEPSM_NS1_7vsmem_tEENKUlT_SK_SL_SM_E_clISE_PiSF_SF_EESJ_SZ_SK_SL_SM_EUlSZ_E1_NS1_11comp_targetILNS1_3genE5ELNS1_11target_archE942ELNS1_3gpuE9ELNS1_3repE0EEENS1_36merge_oddeven_config_static_selectorELNS0_4arch9wavefront6targetE1EEEvSL_,"axG",@progbits,_ZN7rocprim17ROCPRIM_400000_NS6detail17trampoline_kernelINS0_14default_configENS1_38merge_sort_block_merge_config_selectorIiNS0_10empty_typeEEEZZNS1_27merge_sort_block_merge_implIS3_N6thrust23THRUST_200600_302600_NS6detail15normal_iteratorINS9_10device_ptrIiEEEEPS5_jNS1_19radix_merge_compareILb0ELb1EiNS0_19identity_decomposerEEEEE10hipError_tT0_T1_T2_jT3_P12ihipStream_tbPNSt15iterator_traitsISK_E10value_typeEPNSQ_ISL_E10value_typeEPSM_NS1_7vsmem_tEENKUlT_SK_SL_SM_E_clISE_PiSF_SF_EESJ_SZ_SK_SL_SM_EUlSZ_E1_NS1_11comp_targetILNS1_3genE5ELNS1_11target_archE942ELNS1_3gpuE9ELNS1_3repE0EEENS1_36merge_oddeven_config_static_selectorELNS0_4arch9wavefront6targetE1EEEvSL_,comdat
	.protected	_ZN7rocprim17ROCPRIM_400000_NS6detail17trampoline_kernelINS0_14default_configENS1_38merge_sort_block_merge_config_selectorIiNS0_10empty_typeEEEZZNS1_27merge_sort_block_merge_implIS3_N6thrust23THRUST_200600_302600_NS6detail15normal_iteratorINS9_10device_ptrIiEEEEPS5_jNS1_19radix_merge_compareILb0ELb1EiNS0_19identity_decomposerEEEEE10hipError_tT0_T1_T2_jT3_P12ihipStream_tbPNSt15iterator_traitsISK_E10value_typeEPNSQ_ISL_E10value_typeEPSM_NS1_7vsmem_tEENKUlT_SK_SL_SM_E_clISE_PiSF_SF_EESJ_SZ_SK_SL_SM_EUlSZ_E1_NS1_11comp_targetILNS1_3genE5ELNS1_11target_archE942ELNS1_3gpuE9ELNS1_3repE0EEENS1_36merge_oddeven_config_static_selectorELNS0_4arch9wavefront6targetE1EEEvSL_ ; -- Begin function _ZN7rocprim17ROCPRIM_400000_NS6detail17trampoline_kernelINS0_14default_configENS1_38merge_sort_block_merge_config_selectorIiNS0_10empty_typeEEEZZNS1_27merge_sort_block_merge_implIS3_N6thrust23THRUST_200600_302600_NS6detail15normal_iteratorINS9_10device_ptrIiEEEEPS5_jNS1_19radix_merge_compareILb0ELb1EiNS0_19identity_decomposerEEEEE10hipError_tT0_T1_T2_jT3_P12ihipStream_tbPNSt15iterator_traitsISK_E10value_typeEPNSQ_ISL_E10value_typeEPSM_NS1_7vsmem_tEENKUlT_SK_SL_SM_E_clISE_PiSF_SF_EESJ_SZ_SK_SL_SM_EUlSZ_E1_NS1_11comp_targetILNS1_3genE5ELNS1_11target_archE942ELNS1_3gpuE9ELNS1_3repE0EEENS1_36merge_oddeven_config_static_selectorELNS0_4arch9wavefront6targetE1EEEvSL_
	.globl	_ZN7rocprim17ROCPRIM_400000_NS6detail17trampoline_kernelINS0_14default_configENS1_38merge_sort_block_merge_config_selectorIiNS0_10empty_typeEEEZZNS1_27merge_sort_block_merge_implIS3_N6thrust23THRUST_200600_302600_NS6detail15normal_iteratorINS9_10device_ptrIiEEEEPS5_jNS1_19radix_merge_compareILb0ELb1EiNS0_19identity_decomposerEEEEE10hipError_tT0_T1_T2_jT3_P12ihipStream_tbPNSt15iterator_traitsISK_E10value_typeEPNSQ_ISL_E10value_typeEPSM_NS1_7vsmem_tEENKUlT_SK_SL_SM_E_clISE_PiSF_SF_EESJ_SZ_SK_SL_SM_EUlSZ_E1_NS1_11comp_targetILNS1_3genE5ELNS1_11target_archE942ELNS1_3gpuE9ELNS1_3repE0EEENS1_36merge_oddeven_config_static_selectorELNS0_4arch9wavefront6targetE1EEEvSL_
	.p2align	8
	.type	_ZN7rocprim17ROCPRIM_400000_NS6detail17trampoline_kernelINS0_14default_configENS1_38merge_sort_block_merge_config_selectorIiNS0_10empty_typeEEEZZNS1_27merge_sort_block_merge_implIS3_N6thrust23THRUST_200600_302600_NS6detail15normal_iteratorINS9_10device_ptrIiEEEEPS5_jNS1_19radix_merge_compareILb0ELb1EiNS0_19identity_decomposerEEEEE10hipError_tT0_T1_T2_jT3_P12ihipStream_tbPNSt15iterator_traitsISK_E10value_typeEPNSQ_ISL_E10value_typeEPSM_NS1_7vsmem_tEENKUlT_SK_SL_SM_E_clISE_PiSF_SF_EESJ_SZ_SK_SL_SM_EUlSZ_E1_NS1_11comp_targetILNS1_3genE5ELNS1_11target_archE942ELNS1_3gpuE9ELNS1_3repE0EEENS1_36merge_oddeven_config_static_selectorELNS0_4arch9wavefront6targetE1EEEvSL_,@function
_ZN7rocprim17ROCPRIM_400000_NS6detail17trampoline_kernelINS0_14default_configENS1_38merge_sort_block_merge_config_selectorIiNS0_10empty_typeEEEZZNS1_27merge_sort_block_merge_implIS3_N6thrust23THRUST_200600_302600_NS6detail15normal_iteratorINS9_10device_ptrIiEEEEPS5_jNS1_19radix_merge_compareILb0ELb1EiNS0_19identity_decomposerEEEEE10hipError_tT0_T1_T2_jT3_P12ihipStream_tbPNSt15iterator_traitsISK_E10value_typeEPNSQ_ISL_E10value_typeEPSM_NS1_7vsmem_tEENKUlT_SK_SL_SM_E_clISE_PiSF_SF_EESJ_SZ_SK_SL_SM_EUlSZ_E1_NS1_11comp_targetILNS1_3genE5ELNS1_11target_archE942ELNS1_3gpuE9ELNS1_3repE0EEENS1_36merge_oddeven_config_static_selectorELNS0_4arch9wavefront6targetE1EEEvSL_: ; @_ZN7rocprim17ROCPRIM_400000_NS6detail17trampoline_kernelINS0_14default_configENS1_38merge_sort_block_merge_config_selectorIiNS0_10empty_typeEEEZZNS1_27merge_sort_block_merge_implIS3_N6thrust23THRUST_200600_302600_NS6detail15normal_iteratorINS9_10device_ptrIiEEEEPS5_jNS1_19radix_merge_compareILb0ELb1EiNS0_19identity_decomposerEEEEE10hipError_tT0_T1_T2_jT3_P12ihipStream_tbPNSt15iterator_traitsISK_E10value_typeEPNSQ_ISL_E10value_typeEPSM_NS1_7vsmem_tEENKUlT_SK_SL_SM_E_clISE_PiSF_SF_EESJ_SZ_SK_SL_SM_EUlSZ_E1_NS1_11comp_targetILNS1_3genE5ELNS1_11target_archE942ELNS1_3gpuE9ELNS1_3repE0EEENS1_36merge_oddeven_config_static_selectorELNS0_4arch9wavefront6targetE1EEEvSL_
; %bb.0:
	s_load_dword s18, s[0:1], 0x20
	s_waitcnt lgkmcnt(0)
	s_lshr_b32 s3, s18, 8
	s_cmp_lg_u32 s2, s3
	s_cselect_b64 s[14:15], -1, 0
	s_cmp_eq_u32 s2, s3
	s_cselect_b64 s[12:13], -1, 0
	s_lshl_b32 s16, s2, 8
	s_sub_i32 s3, s18, s16
	v_cmp_gt_u32_e64 s[6:7], s3, v0
	s_or_b64 s[4:5], s[14:15], s[6:7]
	s_and_saveexec_b64 s[8:9], s[4:5]
	s_cbranch_execz .LBB1713_20
; %bb.1:
	s_load_dwordx4 s[8:11], s[0:1], 0x0
	s_load_dword s19, s[0:1], 0x24
	s_mov_b32 s17, 0
	s_lshl_b64 s[4:5], s[16:17], 2
	v_lshlrev_b32_e32 v1, 2, v0
	s_waitcnt lgkmcnt(0)
	s_add_u32 s4, s8, s4
	s_addc_u32 s5, s9, s5
	global_load_dword v2, v1, s[4:5]
	s_lshr_b32 s3, s19, 8
	s_sub_i32 s4, 0, s3
	s_and_b32 s2, s2, s4
	s_and_b32 s3, s2, s3
	s_lshl_b32 s20, s2, 8
	s_sub_i32 s17, 0, s19
	s_cmp_eq_u32 s3, 0
	s_cselect_b64 s[4:5], -1, 0
	s_and_b64 s[2:3], s[4:5], exec
	s_cselect_b32 s17, s19, s17
	s_add_i32 s17, s17, s20
	s_cmp_lt_u32 s17, s18
	v_add_u32_e32 v0, s16, v0
	s_cbranch_scc1 .LBB1713_3
; %bb.2:
	v_cmp_gt_u32_e32 vcc, s18, v0
	s_or_b64 s[2:3], vcc, s[14:15]
	s_and_b64 s[2:3], s[2:3], exec
	s_cbranch_execz .LBB1713_4
	s_branch .LBB1713_18
.LBB1713_3:
	s_mov_b64 s[2:3], 0
.LBB1713_4:
	s_load_dword s14, s[0:1], 0x28
	s_min_u32 s15, s17, s18
	s_add_i32 s0, s15, s19
	s_min_u32 s16, s0, s18
	s_min_u32 s0, s20, s15
	s_add_i32 s20, s20, s15
	v_subrev_u32_e32 v0, s20, v0
	v_add_u32_e32 v3, s0, v0
	s_and_b64 vcc, exec, s[12:13]
	s_cbranch_vccz .LBB1713_12
; %bb.5:
                                        ; implicit-def: $vgpr0
	s_and_saveexec_b64 s[0:1], s[6:7]
	s_cbranch_execz .LBB1713_11
; %bb.6:
	s_cmp_ge_u32 s17, s16
	v_mov_b32_e32 v4, s15
	s_cbranch_scc1 .LBB1713_10
; %bb.7:
	s_waitcnt vmcnt(0) lgkmcnt(0)
	v_and_b32_e32 v5, s14, v2
	s_mov_b64 s[6:7], 0
	v_mov_b32_e32 v6, s16
	v_mov_b32_e32 v4, s15
	;; [unrolled: 1-line block ×3, first 2 shown]
.LBB1713_8:                             ; =>This Inner Loop Header: Depth=1
	v_add_u32_e32 v0, v4, v6
	v_lshrrev_b32_e32 v0, 1, v0
	v_lshl_add_u64 v[8:9], v[0:1], 2, s[8:9]
	global_load_dword v7, v[8:9], off
	v_add_u32_e32 v8, 1, v0
	s_waitcnt vmcnt(0)
	v_and_b32_e32 v7, s14, v7
	v_cmp_gt_i32_e32 vcc, v5, v7
	s_nop 1
	v_cndmask_b32_e64 v9, 0, 1, vcc
	v_cmp_le_i32_e32 vcc, v7, v5
	s_nop 1
	v_cndmask_b32_e64 v7, 0, 1, vcc
	v_cndmask_b32_e64 v7, v7, v9, s[4:5]
	v_and_b32_e32 v7, 1, v7
	v_cmp_eq_u32_e32 vcc, 1, v7
	s_nop 1
	v_cndmask_b32_e32 v6, v0, v6, vcc
	v_cndmask_b32_e32 v4, v4, v8, vcc
	v_cmp_ge_u32_e32 vcc, v4, v6
	s_or_b64 s[6:7], vcc, s[6:7]
	s_andn2_b64 exec, exec, s[6:7]
	s_cbranch_execnz .LBB1713_8
; %bb.9:
	s_or_b64 exec, exec, s[6:7]
.LBB1713_10:
	v_add_u32_e32 v0, v4, v3
	s_or_b64 s[2:3], s[2:3], exec
.LBB1713_11:
	s_or_b64 exec, exec, s[0:1]
	s_branch .LBB1713_18
.LBB1713_12:
                                        ; implicit-def: $vgpr0
	s_cbranch_execz .LBB1713_18
; %bb.13:
	s_cmp_ge_u32 s17, s16
	v_mov_b32_e32 v4, s15
	s_cbranch_scc1 .LBB1713_17
; %bb.14:
	s_waitcnt vmcnt(0) lgkmcnt(0)
	v_and_b32_e32 v5, s14, v2
	s_mov_b64 s[0:1], 0
	v_mov_b32_e32 v6, s16
	v_mov_b32_e32 v4, s15
	;; [unrolled: 1-line block ×3, first 2 shown]
.LBB1713_15:                            ; =>This Inner Loop Header: Depth=1
	v_add_u32_e32 v0, v4, v6
	v_lshrrev_b32_e32 v0, 1, v0
	v_lshl_add_u64 v[8:9], v[0:1], 2, s[8:9]
	global_load_dword v7, v[8:9], off
	v_add_u32_e32 v8, 1, v0
	s_waitcnt vmcnt(0)
	v_and_b32_e32 v7, s14, v7
	v_cmp_gt_i32_e32 vcc, v5, v7
	s_nop 1
	v_cndmask_b32_e64 v9, 0, 1, vcc
	v_cmp_le_i32_e32 vcc, v7, v5
	s_nop 1
	v_cndmask_b32_e64 v7, 0, 1, vcc
	v_cndmask_b32_e64 v7, v7, v9, s[4:5]
	v_and_b32_e32 v7, 1, v7
	v_cmp_eq_u32_e32 vcc, 1, v7
	s_nop 1
	v_cndmask_b32_e32 v6, v0, v6, vcc
	v_cndmask_b32_e32 v4, v4, v8, vcc
	v_cmp_ge_u32_e32 vcc, v4, v6
	s_or_b64 s[0:1], vcc, s[0:1]
	s_andn2_b64 exec, exec, s[0:1]
	s_cbranch_execnz .LBB1713_15
; %bb.16:
	s_or_b64 exec, exec, s[0:1]
.LBB1713_17:
	v_add_u32_e32 v0, v4, v3
	s_mov_b64 s[2:3], -1
.LBB1713_18:
	s_and_b64 exec, exec, s[2:3]
	s_cbranch_execz .LBB1713_20
; %bb.19:
	v_mov_b32_e32 v4, s10
	v_mov_b32_e32 v5, s11
	;; [unrolled: 1-line block ×3, first 2 shown]
	v_lshl_add_u64 v[0:1], v[0:1], 2, v[4:5]
	s_waitcnt vmcnt(0)
	global_store_dword v[0:1], v2, off
.LBB1713_20:
	s_endpgm
	.section	.rodata,"a",@progbits
	.p2align	6, 0x0
	.amdhsa_kernel _ZN7rocprim17ROCPRIM_400000_NS6detail17trampoline_kernelINS0_14default_configENS1_38merge_sort_block_merge_config_selectorIiNS0_10empty_typeEEEZZNS1_27merge_sort_block_merge_implIS3_N6thrust23THRUST_200600_302600_NS6detail15normal_iteratorINS9_10device_ptrIiEEEEPS5_jNS1_19radix_merge_compareILb0ELb1EiNS0_19identity_decomposerEEEEE10hipError_tT0_T1_T2_jT3_P12ihipStream_tbPNSt15iterator_traitsISK_E10value_typeEPNSQ_ISL_E10value_typeEPSM_NS1_7vsmem_tEENKUlT_SK_SL_SM_E_clISE_PiSF_SF_EESJ_SZ_SK_SL_SM_EUlSZ_E1_NS1_11comp_targetILNS1_3genE5ELNS1_11target_archE942ELNS1_3gpuE9ELNS1_3repE0EEENS1_36merge_oddeven_config_static_selectorELNS0_4arch9wavefront6targetE1EEEvSL_
		.amdhsa_group_segment_fixed_size 0
		.amdhsa_private_segment_fixed_size 0
		.amdhsa_kernarg_size 48
		.amdhsa_user_sgpr_count 2
		.amdhsa_user_sgpr_dispatch_ptr 0
		.amdhsa_user_sgpr_queue_ptr 0
		.amdhsa_user_sgpr_kernarg_segment_ptr 1
		.amdhsa_user_sgpr_dispatch_id 0
		.amdhsa_user_sgpr_kernarg_preload_length 0
		.amdhsa_user_sgpr_kernarg_preload_offset 0
		.amdhsa_user_sgpr_private_segment_size 0
		.amdhsa_uses_dynamic_stack 0
		.amdhsa_enable_private_segment 0
		.amdhsa_system_sgpr_workgroup_id_x 1
		.amdhsa_system_sgpr_workgroup_id_y 0
		.amdhsa_system_sgpr_workgroup_id_z 0
		.amdhsa_system_sgpr_workgroup_info 0
		.amdhsa_system_vgpr_workitem_id 0
		.amdhsa_next_free_vgpr 10
		.amdhsa_next_free_sgpr 21
		.amdhsa_accum_offset 12
		.amdhsa_reserve_vcc 1
		.amdhsa_float_round_mode_32 0
		.amdhsa_float_round_mode_16_64 0
		.amdhsa_float_denorm_mode_32 3
		.amdhsa_float_denorm_mode_16_64 3
		.amdhsa_dx10_clamp 1
		.amdhsa_ieee_mode 1
		.amdhsa_fp16_overflow 0
		.amdhsa_tg_split 0
		.amdhsa_exception_fp_ieee_invalid_op 0
		.amdhsa_exception_fp_denorm_src 0
		.amdhsa_exception_fp_ieee_div_zero 0
		.amdhsa_exception_fp_ieee_overflow 0
		.amdhsa_exception_fp_ieee_underflow 0
		.amdhsa_exception_fp_ieee_inexact 0
		.amdhsa_exception_int_div_zero 0
	.end_amdhsa_kernel
	.section	.text._ZN7rocprim17ROCPRIM_400000_NS6detail17trampoline_kernelINS0_14default_configENS1_38merge_sort_block_merge_config_selectorIiNS0_10empty_typeEEEZZNS1_27merge_sort_block_merge_implIS3_N6thrust23THRUST_200600_302600_NS6detail15normal_iteratorINS9_10device_ptrIiEEEEPS5_jNS1_19radix_merge_compareILb0ELb1EiNS0_19identity_decomposerEEEEE10hipError_tT0_T1_T2_jT3_P12ihipStream_tbPNSt15iterator_traitsISK_E10value_typeEPNSQ_ISL_E10value_typeEPSM_NS1_7vsmem_tEENKUlT_SK_SL_SM_E_clISE_PiSF_SF_EESJ_SZ_SK_SL_SM_EUlSZ_E1_NS1_11comp_targetILNS1_3genE5ELNS1_11target_archE942ELNS1_3gpuE9ELNS1_3repE0EEENS1_36merge_oddeven_config_static_selectorELNS0_4arch9wavefront6targetE1EEEvSL_,"axG",@progbits,_ZN7rocprim17ROCPRIM_400000_NS6detail17trampoline_kernelINS0_14default_configENS1_38merge_sort_block_merge_config_selectorIiNS0_10empty_typeEEEZZNS1_27merge_sort_block_merge_implIS3_N6thrust23THRUST_200600_302600_NS6detail15normal_iteratorINS9_10device_ptrIiEEEEPS5_jNS1_19radix_merge_compareILb0ELb1EiNS0_19identity_decomposerEEEEE10hipError_tT0_T1_T2_jT3_P12ihipStream_tbPNSt15iterator_traitsISK_E10value_typeEPNSQ_ISL_E10value_typeEPSM_NS1_7vsmem_tEENKUlT_SK_SL_SM_E_clISE_PiSF_SF_EESJ_SZ_SK_SL_SM_EUlSZ_E1_NS1_11comp_targetILNS1_3genE5ELNS1_11target_archE942ELNS1_3gpuE9ELNS1_3repE0EEENS1_36merge_oddeven_config_static_selectorELNS0_4arch9wavefront6targetE1EEEvSL_,comdat
.Lfunc_end1713:
	.size	_ZN7rocprim17ROCPRIM_400000_NS6detail17trampoline_kernelINS0_14default_configENS1_38merge_sort_block_merge_config_selectorIiNS0_10empty_typeEEEZZNS1_27merge_sort_block_merge_implIS3_N6thrust23THRUST_200600_302600_NS6detail15normal_iteratorINS9_10device_ptrIiEEEEPS5_jNS1_19radix_merge_compareILb0ELb1EiNS0_19identity_decomposerEEEEE10hipError_tT0_T1_T2_jT3_P12ihipStream_tbPNSt15iterator_traitsISK_E10value_typeEPNSQ_ISL_E10value_typeEPSM_NS1_7vsmem_tEENKUlT_SK_SL_SM_E_clISE_PiSF_SF_EESJ_SZ_SK_SL_SM_EUlSZ_E1_NS1_11comp_targetILNS1_3genE5ELNS1_11target_archE942ELNS1_3gpuE9ELNS1_3repE0EEENS1_36merge_oddeven_config_static_selectorELNS0_4arch9wavefront6targetE1EEEvSL_, .Lfunc_end1713-_ZN7rocprim17ROCPRIM_400000_NS6detail17trampoline_kernelINS0_14default_configENS1_38merge_sort_block_merge_config_selectorIiNS0_10empty_typeEEEZZNS1_27merge_sort_block_merge_implIS3_N6thrust23THRUST_200600_302600_NS6detail15normal_iteratorINS9_10device_ptrIiEEEEPS5_jNS1_19radix_merge_compareILb0ELb1EiNS0_19identity_decomposerEEEEE10hipError_tT0_T1_T2_jT3_P12ihipStream_tbPNSt15iterator_traitsISK_E10value_typeEPNSQ_ISL_E10value_typeEPSM_NS1_7vsmem_tEENKUlT_SK_SL_SM_E_clISE_PiSF_SF_EESJ_SZ_SK_SL_SM_EUlSZ_E1_NS1_11comp_targetILNS1_3genE5ELNS1_11target_archE942ELNS1_3gpuE9ELNS1_3repE0EEENS1_36merge_oddeven_config_static_selectorELNS0_4arch9wavefront6targetE1EEEvSL_
                                        ; -- End function
	.section	.AMDGPU.csdata,"",@progbits
; Kernel info:
; codeLenInByte = 616
; NumSgprs: 27
; NumVgprs: 10
; NumAgprs: 0
; TotalNumVgprs: 10
; ScratchSize: 0
; MemoryBound: 0
; FloatMode: 240
; IeeeMode: 1
; LDSByteSize: 0 bytes/workgroup (compile time only)
; SGPRBlocks: 3
; VGPRBlocks: 1
; NumSGPRsForWavesPerEU: 27
; NumVGPRsForWavesPerEU: 10
; AccumOffset: 12
; Occupancy: 8
; WaveLimiterHint : 0
; COMPUTE_PGM_RSRC2:SCRATCH_EN: 0
; COMPUTE_PGM_RSRC2:USER_SGPR: 2
; COMPUTE_PGM_RSRC2:TRAP_HANDLER: 0
; COMPUTE_PGM_RSRC2:TGID_X_EN: 1
; COMPUTE_PGM_RSRC2:TGID_Y_EN: 0
; COMPUTE_PGM_RSRC2:TGID_Z_EN: 0
; COMPUTE_PGM_RSRC2:TIDIG_COMP_CNT: 0
; COMPUTE_PGM_RSRC3_GFX90A:ACCUM_OFFSET: 2
; COMPUTE_PGM_RSRC3_GFX90A:TG_SPLIT: 0
	.section	.text._ZN7rocprim17ROCPRIM_400000_NS6detail17trampoline_kernelINS0_14default_configENS1_38merge_sort_block_merge_config_selectorIiNS0_10empty_typeEEEZZNS1_27merge_sort_block_merge_implIS3_N6thrust23THRUST_200600_302600_NS6detail15normal_iteratorINS9_10device_ptrIiEEEEPS5_jNS1_19radix_merge_compareILb0ELb1EiNS0_19identity_decomposerEEEEE10hipError_tT0_T1_T2_jT3_P12ihipStream_tbPNSt15iterator_traitsISK_E10value_typeEPNSQ_ISL_E10value_typeEPSM_NS1_7vsmem_tEENKUlT_SK_SL_SM_E_clISE_PiSF_SF_EESJ_SZ_SK_SL_SM_EUlSZ_E1_NS1_11comp_targetILNS1_3genE4ELNS1_11target_archE910ELNS1_3gpuE8ELNS1_3repE0EEENS1_36merge_oddeven_config_static_selectorELNS0_4arch9wavefront6targetE1EEEvSL_,"axG",@progbits,_ZN7rocprim17ROCPRIM_400000_NS6detail17trampoline_kernelINS0_14default_configENS1_38merge_sort_block_merge_config_selectorIiNS0_10empty_typeEEEZZNS1_27merge_sort_block_merge_implIS3_N6thrust23THRUST_200600_302600_NS6detail15normal_iteratorINS9_10device_ptrIiEEEEPS5_jNS1_19radix_merge_compareILb0ELb1EiNS0_19identity_decomposerEEEEE10hipError_tT0_T1_T2_jT3_P12ihipStream_tbPNSt15iterator_traitsISK_E10value_typeEPNSQ_ISL_E10value_typeEPSM_NS1_7vsmem_tEENKUlT_SK_SL_SM_E_clISE_PiSF_SF_EESJ_SZ_SK_SL_SM_EUlSZ_E1_NS1_11comp_targetILNS1_3genE4ELNS1_11target_archE910ELNS1_3gpuE8ELNS1_3repE0EEENS1_36merge_oddeven_config_static_selectorELNS0_4arch9wavefront6targetE1EEEvSL_,comdat
	.protected	_ZN7rocprim17ROCPRIM_400000_NS6detail17trampoline_kernelINS0_14default_configENS1_38merge_sort_block_merge_config_selectorIiNS0_10empty_typeEEEZZNS1_27merge_sort_block_merge_implIS3_N6thrust23THRUST_200600_302600_NS6detail15normal_iteratorINS9_10device_ptrIiEEEEPS5_jNS1_19radix_merge_compareILb0ELb1EiNS0_19identity_decomposerEEEEE10hipError_tT0_T1_T2_jT3_P12ihipStream_tbPNSt15iterator_traitsISK_E10value_typeEPNSQ_ISL_E10value_typeEPSM_NS1_7vsmem_tEENKUlT_SK_SL_SM_E_clISE_PiSF_SF_EESJ_SZ_SK_SL_SM_EUlSZ_E1_NS1_11comp_targetILNS1_3genE4ELNS1_11target_archE910ELNS1_3gpuE8ELNS1_3repE0EEENS1_36merge_oddeven_config_static_selectorELNS0_4arch9wavefront6targetE1EEEvSL_ ; -- Begin function _ZN7rocprim17ROCPRIM_400000_NS6detail17trampoline_kernelINS0_14default_configENS1_38merge_sort_block_merge_config_selectorIiNS0_10empty_typeEEEZZNS1_27merge_sort_block_merge_implIS3_N6thrust23THRUST_200600_302600_NS6detail15normal_iteratorINS9_10device_ptrIiEEEEPS5_jNS1_19radix_merge_compareILb0ELb1EiNS0_19identity_decomposerEEEEE10hipError_tT0_T1_T2_jT3_P12ihipStream_tbPNSt15iterator_traitsISK_E10value_typeEPNSQ_ISL_E10value_typeEPSM_NS1_7vsmem_tEENKUlT_SK_SL_SM_E_clISE_PiSF_SF_EESJ_SZ_SK_SL_SM_EUlSZ_E1_NS1_11comp_targetILNS1_3genE4ELNS1_11target_archE910ELNS1_3gpuE8ELNS1_3repE0EEENS1_36merge_oddeven_config_static_selectorELNS0_4arch9wavefront6targetE1EEEvSL_
	.globl	_ZN7rocprim17ROCPRIM_400000_NS6detail17trampoline_kernelINS0_14default_configENS1_38merge_sort_block_merge_config_selectorIiNS0_10empty_typeEEEZZNS1_27merge_sort_block_merge_implIS3_N6thrust23THRUST_200600_302600_NS6detail15normal_iteratorINS9_10device_ptrIiEEEEPS5_jNS1_19radix_merge_compareILb0ELb1EiNS0_19identity_decomposerEEEEE10hipError_tT0_T1_T2_jT3_P12ihipStream_tbPNSt15iterator_traitsISK_E10value_typeEPNSQ_ISL_E10value_typeEPSM_NS1_7vsmem_tEENKUlT_SK_SL_SM_E_clISE_PiSF_SF_EESJ_SZ_SK_SL_SM_EUlSZ_E1_NS1_11comp_targetILNS1_3genE4ELNS1_11target_archE910ELNS1_3gpuE8ELNS1_3repE0EEENS1_36merge_oddeven_config_static_selectorELNS0_4arch9wavefront6targetE1EEEvSL_
	.p2align	8
	.type	_ZN7rocprim17ROCPRIM_400000_NS6detail17trampoline_kernelINS0_14default_configENS1_38merge_sort_block_merge_config_selectorIiNS0_10empty_typeEEEZZNS1_27merge_sort_block_merge_implIS3_N6thrust23THRUST_200600_302600_NS6detail15normal_iteratorINS9_10device_ptrIiEEEEPS5_jNS1_19radix_merge_compareILb0ELb1EiNS0_19identity_decomposerEEEEE10hipError_tT0_T1_T2_jT3_P12ihipStream_tbPNSt15iterator_traitsISK_E10value_typeEPNSQ_ISL_E10value_typeEPSM_NS1_7vsmem_tEENKUlT_SK_SL_SM_E_clISE_PiSF_SF_EESJ_SZ_SK_SL_SM_EUlSZ_E1_NS1_11comp_targetILNS1_3genE4ELNS1_11target_archE910ELNS1_3gpuE8ELNS1_3repE0EEENS1_36merge_oddeven_config_static_selectorELNS0_4arch9wavefront6targetE1EEEvSL_,@function
_ZN7rocprim17ROCPRIM_400000_NS6detail17trampoline_kernelINS0_14default_configENS1_38merge_sort_block_merge_config_selectorIiNS0_10empty_typeEEEZZNS1_27merge_sort_block_merge_implIS3_N6thrust23THRUST_200600_302600_NS6detail15normal_iteratorINS9_10device_ptrIiEEEEPS5_jNS1_19radix_merge_compareILb0ELb1EiNS0_19identity_decomposerEEEEE10hipError_tT0_T1_T2_jT3_P12ihipStream_tbPNSt15iterator_traitsISK_E10value_typeEPNSQ_ISL_E10value_typeEPSM_NS1_7vsmem_tEENKUlT_SK_SL_SM_E_clISE_PiSF_SF_EESJ_SZ_SK_SL_SM_EUlSZ_E1_NS1_11comp_targetILNS1_3genE4ELNS1_11target_archE910ELNS1_3gpuE8ELNS1_3repE0EEENS1_36merge_oddeven_config_static_selectorELNS0_4arch9wavefront6targetE1EEEvSL_: ; @_ZN7rocprim17ROCPRIM_400000_NS6detail17trampoline_kernelINS0_14default_configENS1_38merge_sort_block_merge_config_selectorIiNS0_10empty_typeEEEZZNS1_27merge_sort_block_merge_implIS3_N6thrust23THRUST_200600_302600_NS6detail15normal_iteratorINS9_10device_ptrIiEEEEPS5_jNS1_19radix_merge_compareILb0ELb1EiNS0_19identity_decomposerEEEEE10hipError_tT0_T1_T2_jT3_P12ihipStream_tbPNSt15iterator_traitsISK_E10value_typeEPNSQ_ISL_E10value_typeEPSM_NS1_7vsmem_tEENKUlT_SK_SL_SM_E_clISE_PiSF_SF_EESJ_SZ_SK_SL_SM_EUlSZ_E1_NS1_11comp_targetILNS1_3genE4ELNS1_11target_archE910ELNS1_3gpuE8ELNS1_3repE0EEENS1_36merge_oddeven_config_static_selectorELNS0_4arch9wavefront6targetE1EEEvSL_
; %bb.0:
	.section	.rodata,"a",@progbits
	.p2align	6, 0x0
	.amdhsa_kernel _ZN7rocprim17ROCPRIM_400000_NS6detail17trampoline_kernelINS0_14default_configENS1_38merge_sort_block_merge_config_selectorIiNS0_10empty_typeEEEZZNS1_27merge_sort_block_merge_implIS3_N6thrust23THRUST_200600_302600_NS6detail15normal_iteratorINS9_10device_ptrIiEEEEPS5_jNS1_19radix_merge_compareILb0ELb1EiNS0_19identity_decomposerEEEEE10hipError_tT0_T1_T2_jT3_P12ihipStream_tbPNSt15iterator_traitsISK_E10value_typeEPNSQ_ISL_E10value_typeEPSM_NS1_7vsmem_tEENKUlT_SK_SL_SM_E_clISE_PiSF_SF_EESJ_SZ_SK_SL_SM_EUlSZ_E1_NS1_11comp_targetILNS1_3genE4ELNS1_11target_archE910ELNS1_3gpuE8ELNS1_3repE0EEENS1_36merge_oddeven_config_static_selectorELNS0_4arch9wavefront6targetE1EEEvSL_
		.amdhsa_group_segment_fixed_size 0
		.amdhsa_private_segment_fixed_size 0
		.amdhsa_kernarg_size 48
		.amdhsa_user_sgpr_count 2
		.amdhsa_user_sgpr_dispatch_ptr 0
		.amdhsa_user_sgpr_queue_ptr 0
		.amdhsa_user_sgpr_kernarg_segment_ptr 1
		.amdhsa_user_sgpr_dispatch_id 0
		.amdhsa_user_sgpr_kernarg_preload_length 0
		.amdhsa_user_sgpr_kernarg_preload_offset 0
		.amdhsa_user_sgpr_private_segment_size 0
		.amdhsa_uses_dynamic_stack 0
		.amdhsa_enable_private_segment 0
		.amdhsa_system_sgpr_workgroup_id_x 1
		.amdhsa_system_sgpr_workgroup_id_y 0
		.amdhsa_system_sgpr_workgroup_id_z 0
		.amdhsa_system_sgpr_workgroup_info 0
		.amdhsa_system_vgpr_workitem_id 0
		.amdhsa_next_free_vgpr 1
		.amdhsa_next_free_sgpr 0
		.amdhsa_accum_offset 4
		.amdhsa_reserve_vcc 0
		.amdhsa_float_round_mode_32 0
		.amdhsa_float_round_mode_16_64 0
		.amdhsa_float_denorm_mode_32 3
		.amdhsa_float_denorm_mode_16_64 3
		.amdhsa_dx10_clamp 1
		.amdhsa_ieee_mode 1
		.amdhsa_fp16_overflow 0
		.amdhsa_tg_split 0
		.amdhsa_exception_fp_ieee_invalid_op 0
		.amdhsa_exception_fp_denorm_src 0
		.amdhsa_exception_fp_ieee_div_zero 0
		.amdhsa_exception_fp_ieee_overflow 0
		.amdhsa_exception_fp_ieee_underflow 0
		.amdhsa_exception_fp_ieee_inexact 0
		.amdhsa_exception_int_div_zero 0
	.end_amdhsa_kernel
	.section	.text._ZN7rocprim17ROCPRIM_400000_NS6detail17trampoline_kernelINS0_14default_configENS1_38merge_sort_block_merge_config_selectorIiNS0_10empty_typeEEEZZNS1_27merge_sort_block_merge_implIS3_N6thrust23THRUST_200600_302600_NS6detail15normal_iteratorINS9_10device_ptrIiEEEEPS5_jNS1_19radix_merge_compareILb0ELb1EiNS0_19identity_decomposerEEEEE10hipError_tT0_T1_T2_jT3_P12ihipStream_tbPNSt15iterator_traitsISK_E10value_typeEPNSQ_ISL_E10value_typeEPSM_NS1_7vsmem_tEENKUlT_SK_SL_SM_E_clISE_PiSF_SF_EESJ_SZ_SK_SL_SM_EUlSZ_E1_NS1_11comp_targetILNS1_3genE4ELNS1_11target_archE910ELNS1_3gpuE8ELNS1_3repE0EEENS1_36merge_oddeven_config_static_selectorELNS0_4arch9wavefront6targetE1EEEvSL_,"axG",@progbits,_ZN7rocprim17ROCPRIM_400000_NS6detail17trampoline_kernelINS0_14default_configENS1_38merge_sort_block_merge_config_selectorIiNS0_10empty_typeEEEZZNS1_27merge_sort_block_merge_implIS3_N6thrust23THRUST_200600_302600_NS6detail15normal_iteratorINS9_10device_ptrIiEEEEPS5_jNS1_19radix_merge_compareILb0ELb1EiNS0_19identity_decomposerEEEEE10hipError_tT0_T1_T2_jT3_P12ihipStream_tbPNSt15iterator_traitsISK_E10value_typeEPNSQ_ISL_E10value_typeEPSM_NS1_7vsmem_tEENKUlT_SK_SL_SM_E_clISE_PiSF_SF_EESJ_SZ_SK_SL_SM_EUlSZ_E1_NS1_11comp_targetILNS1_3genE4ELNS1_11target_archE910ELNS1_3gpuE8ELNS1_3repE0EEENS1_36merge_oddeven_config_static_selectorELNS0_4arch9wavefront6targetE1EEEvSL_,comdat
.Lfunc_end1714:
	.size	_ZN7rocprim17ROCPRIM_400000_NS6detail17trampoline_kernelINS0_14default_configENS1_38merge_sort_block_merge_config_selectorIiNS0_10empty_typeEEEZZNS1_27merge_sort_block_merge_implIS3_N6thrust23THRUST_200600_302600_NS6detail15normal_iteratorINS9_10device_ptrIiEEEEPS5_jNS1_19radix_merge_compareILb0ELb1EiNS0_19identity_decomposerEEEEE10hipError_tT0_T1_T2_jT3_P12ihipStream_tbPNSt15iterator_traitsISK_E10value_typeEPNSQ_ISL_E10value_typeEPSM_NS1_7vsmem_tEENKUlT_SK_SL_SM_E_clISE_PiSF_SF_EESJ_SZ_SK_SL_SM_EUlSZ_E1_NS1_11comp_targetILNS1_3genE4ELNS1_11target_archE910ELNS1_3gpuE8ELNS1_3repE0EEENS1_36merge_oddeven_config_static_selectorELNS0_4arch9wavefront6targetE1EEEvSL_, .Lfunc_end1714-_ZN7rocprim17ROCPRIM_400000_NS6detail17trampoline_kernelINS0_14default_configENS1_38merge_sort_block_merge_config_selectorIiNS0_10empty_typeEEEZZNS1_27merge_sort_block_merge_implIS3_N6thrust23THRUST_200600_302600_NS6detail15normal_iteratorINS9_10device_ptrIiEEEEPS5_jNS1_19radix_merge_compareILb0ELb1EiNS0_19identity_decomposerEEEEE10hipError_tT0_T1_T2_jT3_P12ihipStream_tbPNSt15iterator_traitsISK_E10value_typeEPNSQ_ISL_E10value_typeEPSM_NS1_7vsmem_tEENKUlT_SK_SL_SM_E_clISE_PiSF_SF_EESJ_SZ_SK_SL_SM_EUlSZ_E1_NS1_11comp_targetILNS1_3genE4ELNS1_11target_archE910ELNS1_3gpuE8ELNS1_3repE0EEENS1_36merge_oddeven_config_static_selectorELNS0_4arch9wavefront6targetE1EEEvSL_
                                        ; -- End function
	.section	.AMDGPU.csdata,"",@progbits
; Kernel info:
; codeLenInByte = 0
; NumSgprs: 6
; NumVgprs: 0
; NumAgprs: 0
; TotalNumVgprs: 0
; ScratchSize: 0
; MemoryBound: 0
; FloatMode: 240
; IeeeMode: 1
; LDSByteSize: 0 bytes/workgroup (compile time only)
; SGPRBlocks: 0
; VGPRBlocks: 0
; NumSGPRsForWavesPerEU: 6
; NumVGPRsForWavesPerEU: 1
; AccumOffset: 4
; Occupancy: 8
; WaveLimiterHint : 0
; COMPUTE_PGM_RSRC2:SCRATCH_EN: 0
; COMPUTE_PGM_RSRC2:USER_SGPR: 2
; COMPUTE_PGM_RSRC2:TRAP_HANDLER: 0
; COMPUTE_PGM_RSRC2:TGID_X_EN: 1
; COMPUTE_PGM_RSRC2:TGID_Y_EN: 0
; COMPUTE_PGM_RSRC2:TGID_Z_EN: 0
; COMPUTE_PGM_RSRC2:TIDIG_COMP_CNT: 0
; COMPUTE_PGM_RSRC3_GFX90A:ACCUM_OFFSET: 0
; COMPUTE_PGM_RSRC3_GFX90A:TG_SPLIT: 0
	.section	.text._ZN7rocprim17ROCPRIM_400000_NS6detail17trampoline_kernelINS0_14default_configENS1_38merge_sort_block_merge_config_selectorIiNS0_10empty_typeEEEZZNS1_27merge_sort_block_merge_implIS3_N6thrust23THRUST_200600_302600_NS6detail15normal_iteratorINS9_10device_ptrIiEEEEPS5_jNS1_19radix_merge_compareILb0ELb1EiNS0_19identity_decomposerEEEEE10hipError_tT0_T1_T2_jT3_P12ihipStream_tbPNSt15iterator_traitsISK_E10value_typeEPNSQ_ISL_E10value_typeEPSM_NS1_7vsmem_tEENKUlT_SK_SL_SM_E_clISE_PiSF_SF_EESJ_SZ_SK_SL_SM_EUlSZ_E1_NS1_11comp_targetILNS1_3genE3ELNS1_11target_archE908ELNS1_3gpuE7ELNS1_3repE0EEENS1_36merge_oddeven_config_static_selectorELNS0_4arch9wavefront6targetE1EEEvSL_,"axG",@progbits,_ZN7rocprim17ROCPRIM_400000_NS6detail17trampoline_kernelINS0_14default_configENS1_38merge_sort_block_merge_config_selectorIiNS0_10empty_typeEEEZZNS1_27merge_sort_block_merge_implIS3_N6thrust23THRUST_200600_302600_NS6detail15normal_iteratorINS9_10device_ptrIiEEEEPS5_jNS1_19radix_merge_compareILb0ELb1EiNS0_19identity_decomposerEEEEE10hipError_tT0_T1_T2_jT3_P12ihipStream_tbPNSt15iterator_traitsISK_E10value_typeEPNSQ_ISL_E10value_typeEPSM_NS1_7vsmem_tEENKUlT_SK_SL_SM_E_clISE_PiSF_SF_EESJ_SZ_SK_SL_SM_EUlSZ_E1_NS1_11comp_targetILNS1_3genE3ELNS1_11target_archE908ELNS1_3gpuE7ELNS1_3repE0EEENS1_36merge_oddeven_config_static_selectorELNS0_4arch9wavefront6targetE1EEEvSL_,comdat
	.protected	_ZN7rocprim17ROCPRIM_400000_NS6detail17trampoline_kernelINS0_14default_configENS1_38merge_sort_block_merge_config_selectorIiNS0_10empty_typeEEEZZNS1_27merge_sort_block_merge_implIS3_N6thrust23THRUST_200600_302600_NS6detail15normal_iteratorINS9_10device_ptrIiEEEEPS5_jNS1_19radix_merge_compareILb0ELb1EiNS0_19identity_decomposerEEEEE10hipError_tT0_T1_T2_jT3_P12ihipStream_tbPNSt15iterator_traitsISK_E10value_typeEPNSQ_ISL_E10value_typeEPSM_NS1_7vsmem_tEENKUlT_SK_SL_SM_E_clISE_PiSF_SF_EESJ_SZ_SK_SL_SM_EUlSZ_E1_NS1_11comp_targetILNS1_3genE3ELNS1_11target_archE908ELNS1_3gpuE7ELNS1_3repE0EEENS1_36merge_oddeven_config_static_selectorELNS0_4arch9wavefront6targetE1EEEvSL_ ; -- Begin function _ZN7rocprim17ROCPRIM_400000_NS6detail17trampoline_kernelINS0_14default_configENS1_38merge_sort_block_merge_config_selectorIiNS0_10empty_typeEEEZZNS1_27merge_sort_block_merge_implIS3_N6thrust23THRUST_200600_302600_NS6detail15normal_iteratorINS9_10device_ptrIiEEEEPS5_jNS1_19radix_merge_compareILb0ELb1EiNS0_19identity_decomposerEEEEE10hipError_tT0_T1_T2_jT3_P12ihipStream_tbPNSt15iterator_traitsISK_E10value_typeEPNSQ_ISL_E10value_typeEPSM_NS1_7vsmem_tEENKUlT_SK_SL_SM_E_clISE_PiSF_SF_EESJ_SZ_SK_SL_SM_EUlSZ_E1_NS1_11comp_targetILNS1_3genE3ELNS1_11target_archE908ELNS1_3gpuE7ELNS1_3repE0EEENS1_36merge_oddeven_config_static_selectorELNS0_4arch9wavefront6targetE1EEEvSL_
	.globl	_ZN7rocprim17ROCPRIM_400000_NS6detail17trampoline_kernelINS0_14default_configENS1_38merge_sort_block_merge_config_selectorIiNS0_10empty_typeEEEZZNS1_27merge_sort_block_merge_implIS3_N6thrust23THRUST_200600_302600_NS6detail15normal_iteratorINS9_10device_ptrIiEEEEPS5_jNS1_19radix_merge_compareILb0ELb1EiNS0_19identity_decomposerEEEEE10hipError_tT0_T1_T2_jT3_P12ihipStream_tbPNSt15iterator_traitsISK_E10value_typeEPNSQ_ISL_E10value_typeEPSM_NS1_7vsmem_tEENKUlT_SK_SL_SM_E_clISE_PiSF_SF_EESJ_SZ_SK_SL_SM_EUlSZ_E1_NS1_11comp_targetILNS1_3genE3ELNS1_11target_archE908ELNS1_3gpuE7ELNS1_3repE0EEENS1_36merge_oddeven_config_static_selectorELNS0_4arch9wavefront6targetE1EEEvSL_
	.p2align	8
	.type	_ZN7rocprim17ROCPRIM_400000_NS6detail17trampoline_kernelINS0_14default_configENS1_38merge_sort_block_merge_config_selectorIiNS0_10empty_typeEEEZZNS1_27merge_sort_block_merge_implIS3_N6thrust23THRUST_200600_302600_NS6detail15normal_iteratorINS9_10device_ptrIiEEEEPS5_jNS1_19radix_merge_compareILb0ELb1EiNS0_19identity_decomposerEEEEE10hipError_tT0_T1_T2_jT3_P12ihipStream_tbPNSt15iterator_traitsISK_E10value_typeEPNSQ_ISL_E10value_typeEPSM_NS1_7vsmem_tEENKUlT_SK_SL_SM_E_clISE_PiSF_SF_EESJ_SZ_SK_SL_SM_EUlSZ_E1_NS1_11comp_targetILNS1_3genE3ELNS1_11target_archE908ELNS1_3gpuE7ELNS1_3repE0EEENS1_36merge_oddeven_config_static_selectorELNS0_4arch9wavefront6targetE1EEEvSL_,@function
_ZN7rocprim17ROCPRIM_400000_NS6detail17trampoline_kernelINS0_14default_configENS1_38merge_sort_block_merge_config_selectorIiNS0_10empty_typeEEEZZNS1_27merge_sort_block_merge_implIS3_N6thrust23THRUST_200600_302600_NS6detail15normal_iteratorINS9_10device_ptrIiEEEEPS5_jNS1_19radix_merge_compareILb0ELb1EiNS0_19identity_decomposerEEEEE10hipError_tT0_T1_T2_jT3_P12ihipStream_tbPNSt15iterator_traitsISK_E10value_typeEPNSQ_ISL_E10value_typeEPSM_NS1_7vsmem_tEENKUlT_SK_SL_SM_E_clISE_PiSF_SF_EESJ_SZ_SK_SL_SM_EUlSZ_E1_NS1_11comp_targetILNS1_3genE3ELNS1_11target_archE908ELNS1_3gpuE7ELNS1_3repE0EEENS1_36merge_oddeven_config_static_selectorELNS0_4arch9wavefront6targetE1EEEvSL_: ; @_ZN7rocprim17ROCPRIM_400000_NS6detail17trampoline_kernelINS0_14default_configENS1_38merge_sort_block_merge_config_selectorIiNS0_10empty_typeEEEZZNS1_27merge_sort_block_merge_implIS3_N6thrust23THRUST_200600_302600_NS6detail15normal_iteratorINS9_10device_ptrIiEEEEPS5_jNS1_19radix_merge_compareILb0ELb1EiNS0_19identity_decomposerEEEEE10hipError_tT0_T1_T2_jT3_P12ihipStream_tbPNSt15iterator_traitsISK_E10value_typeEPNSQ_ISL_E10value_typeEPSM_NS1_7vsmem_tEENKUlT_SK_SL_SM_E_clISE_PiSF_SF_EESJ_SZ_SK_SL_SM_EUlSZ_E1_NS1_11comp_targetILNS1_3genE3ELNS1_11target_archE908ELNS1_3gpuE7ELNS1_3repE0EEENS1_36merge_oddeven_config_static_selectorELNS0_4arch9wavefront6targetE1EEEvSL_
; %bb.0:
	.section	.rodata,"a",@progbits
	.p2align	6, 0x0
	.amdhsa_kernel _ZN7rocprim17ROCPRIM_400000_NS6detail17trampoline_kernelINS0_14default_configENS1_38merge_sort_block_merge_config_selectorIiNS0_10empty_typeEEEZZNS1_27merge_sort_block_merge_implIS3_N6thrust23THRUST_200600_302600_NS6detail15normal_iteratorINS9_10device_ptrIiEEEEPS5_jNS1_19radix_merge_compareILb0ELb1EiNS0_19identity_decomposerEEEEE10hipError_tT0_T1_T2_jT3_P12ihipStream_tbPNSt15iterator_traitsISK_E10value_typeEPNSQ_ISL_E10value_typeEPSM_NS1_7vsmem_tEENKUlT_SK_SL_SM_E_clISE_PiSF_SF_EESJ_SZ_SK_SL_SM_EUlSZ_E1_NS1_11comp_targetILNS1_3genE3ELNS1_11target_archE908ELNS1_3gpuE7ELNS1_3repE0EEENS1_36merge_oddeven_config_static_selectorELNS0_4arch9wavefront6targetE1EEEvSL_
		.amdhsa_group_segment_fixed_size 0
		.amdhsa_private_segment_fixed_size 0
		.amdhsa_kernarg_size 48
		.amdhsa_user_sgpr_count 2
		.amdhsa_user_sgpr_dispatch_ptr 0
		.amdhsa_user_sgpr_queue_ptr 0
		.amdhsa_user_sgpr_kernarg_segment_ptr 1
		.amdhsa_user_sgpr_dispatch_id 0
		.amdhsa_user_sgpr_kernarg_preload_length 0
		.amdhsa_user_sgpr_kernarg_preload_offset 0
		.amdhsa_user_sgpr_private_segment_size 0
		.amdhsa_uses_dynamic_stack 0
		.amdhsa_enable_private_segment 0
		.amdhsa_system_sgpr_workgroup_id_x 1
		.amdhsa_system_sgpr_workgroup_id_y 0
		.amdhsa_system_sgpr_workgroup_id_z 0
		.amdhsa_system_sgpr_workgroup_info 0
		.amdhsa_system_vgpr_workitem_id 0
		.amdhsa_next_free_vgpr 1
		.amdhsa_next_free_sgpr 0
		.amdhsa_accum_offset 4
		.amdhsa_reserve_vcc 0
		.amdhsa_float_round_mode_32 0
		.amdhsa_float_round_mode_16_64 0
		.amdhsa_float_denorm_mode_32 3
		.amdhsa_float_denorm_mode_16_64 3
		.amdhsa_dx10_clamp 1
		.amdhsa_ieee_mode 1
		.amdhsa_fp16_overflow 0
		.amdhsa_tg_split 0
		.amdhsa_exception_fp_ieee_invalid_op 0
		.amdhsa_exception_fp_denorm_src 0
		.amdhsa_exception_fp_ieee_div_zero 0
		.amdhsa_exception_fp_ieee_overflow 0
		.amdhsa_exception_fp_ieee_underflow 0
		.amdhsa_exception_fp_ieee_inexact 0
		.amdhsa_exception_int_div_zero 0
	.end_amdhsa_kernel
	.section	.text._ZN7rocprim17ROCPRIM_400000_NS6detail17trampoline_kernelINS0_14default_configENS1_38merge_sort_block_merge_config_selectorIiNS0_10empty_typeEEEZZNS1_27merge_sort_block_merge_implIS3_N6thrust23THRUST_200600_302600_NS6detail15normal_iteratorINS9_10device_ptrIiEEEEPS5_jNS1_19radix_merge_compareILb0ELb1EiNS0_19identity_decomposerEEEEE10hipError_tT0_T1_T2_jT3_P12ihipStream_tbPNSt15iterator_traitsISK_E10value_typeEPNSQ_ISL_E10value_typeEPSM_NS1_7vsmem_tEENKUlT_SK_SL_SM_E_clISE_PiSF_SF_EESJ_SZ_SK_SL_SM_EUlSZ_E1_NS1_11comp_targetILNS1_3genE3ELNS1_11target_archE908ELNS1_3gpuE7ELNS1_3repE0EEENS1_36merge_oddeven_config_static_selectorELNS0_4arch9wavefront6targetE1EEEvSL_,"axG",@progbits,_ZN7rocprim17ROCPRIM_400000_NS6detail17trampoline_kernelINS0_14default_configENS1_38merge_sort_block_merge_config_selectorIiNS0_10empty_typeEEEZZNS1_27merge_sort_block_merge_implIS3_N6thrust23THRUST_200600_302600_NS6detail15normal_iteratorINS9_10device_ptrIiEEEEPS5_jNS1_19radix_merge_compareILb0ELb1EiNS0_19identity_decomposerEEEEE10hipError_tT0_T1_T2_jT3_P12ihipStream_tbPNSt15iterator_traitsISK_E10value_typeEPNSQ_ISL_E10value_typeEPSM_NS1_7vsmem_tEENKUlT_SK_SL_SM_E_clISE_PiSF_SF_EESJ_SZ_SK_SL_SM_EUlSZ_E1_NS1_11comp_targetILNS1_3genE3ELNS1_11target_archE908ELNS1_3gpuE7ELNS1_3repE0EEENS1_36merge_oddeven_config_static_selectorELNS0_4arch9wavefront6targetE1EEEvSL_,comdat
.Lfunc_end1715:
	.size	_ZN7rocprim17ROCPRIM_400000_NS6detail17trampoline_kernelINS0_14default_configENS1_38merge_sort_block_merge_config_selectorIiNS0_10empty_typeEEEZZNS1_27merge_sort_block_merge_implIS3_N6thrust23THRUST_200600_302600_NS6detail15normal_iteratorINS9_10device_ptrIiEEEEPS5_jNS1_19radix_merge_compareILb0ELb1EiNS0_19identity_decomposerEEEEE10hipError_tT0_T1_T2_jT3_P12ihipStream_tbPNSt15iterator_traitsISK_E10value_typeEPNSQ_ISL_E10value_typeEPSM_NS1_7vsmem_tEENKUlT_SK_SL_SM_E_clISE_PiSF_SF_EESJ_SZ_SK_SL_SM_EUlSZ_E1_NS1_11comp_targetILNS1_3genE3ELNS1_11target_archE908ELNS1_3gpuE7ELNS1_3repE0EEENS1_36merge_oddeven_config_static_selectorELNS0_4arch9wavefront6targetE1EEEvSL_, .Lfunc_end1715-_ZN7rocprim17ROCPRIM_400000_NS6detail17trampoline_kernelINS0_14default_configENS1_38merge_sort_block_merge_config_selectorIiNS0_10empty_typeEEEZZNS1_27merge_sort_block_merge_implIS3_N6thrust23THRUST_200600_302600_NS6detail15normal_iteratorINS9_10device_ptrIiEEEEPS5_jNS1_19radix_merge_compareILb0ELb1EiNS0_19identity_decomposerEEEEE10hipError_tT0_T1_T2_jT3_P12ihipStream_tbPNSt15iterator_traitsISK_E10value_typeEPNSQ_ISL_E10value_typeEPSM_NS1_7vsmem_tEENKUlT_SK_SL_SM_E_clISE_PiSF_SF_EESJ_SZ_SK_SL_SM_EUlSZ_E1_NS1_11comp_targetILNS1_3genE3ELNS1_11target_archE908ELNS1_3gpuE7ELNS1_3repE0EEENS1_36merge_oddeven_config_static_selectorELNS0_4arch9wavefront6targetE1EEEvSL_
                                        ; -- End function
	.section	.AMDGPU.csdata,"",@progbits
; Kernel info:
; codeLenInByte = 0
; NumSgprs: 6
; NumVgprs: 0
; NumAgprs: 0
; TotalNumVgprs: 0
; ScratchSize: 0
; MemoryBound: 0
; FloatMode: 240
; IeeeMode: 1
; LDSByteSize: 0 bytes/workgroup (compile time only)
; SGPRBlocks: 0
; VGPRBlocks: 0
; NumSGPRsForWavesPerEU: 6
; NumVGPRsForWavesPerEU: 1
; AccumOffset: 4
; Occupancy: 8
; WaveLimiterHint : 0
; COMPUTE_PGM_RSRC2:SCRATCH_EN: 0
; COMPUTE_PGM_RSRC2:USER_SGPR: 2
; COMPUTE_PGM_RSRC2:TRAP_HANDLER: 0
; COMPUTE_PGM_RSRC2:TGID_X_EN: 1
; COMPUTE_PGM_RSRC2:TGID_Y_EN: 0
; COMPUTE_PGM_RSRC2:TGID_Z_EN: 0
; COMPUTE_PGM_RSRC2:TIDIG_COMP_CNT: 0
; COMPUTE_PGM_RSRC3_GFX90A:ACCUM_OFFSET: 0
; COMPUTE_PGM_RSRC3_GFX90A:TG_SPLIT: 0
	.section	.text._ZN7rocprim17ROCPRIM_400000_NS6detail17trampoline_kernelINS0_14default_configENS1_38merge_sort_block_merge_config_selectorIiNS0_10empty_typeEEEZZNS1_27merge_sort_block_merge_implIS3_N6thrust23THRUST_200600_302600_NS6detail15normal_iteratorINS9_10device_ptrIiEEEEPS5_jNS1_19radix_merge_compareILb0ELb1EiNS0_19identity_decomposerEEEEE10hipError_tT0_T1_T2_jT3_P12ihipStream_tbPNSt15iterator_traitsISK_E10value_typeEPNSQ_ISL_E10value_typeEPSM_NS1_7vsmem_tEENKUlT_SK_SL_SM_E_clISE_PiSF_SF_EESJ_SZ_SK_SL_SM_EUlSZ_E1_NS1_11comp_targetILNS1_3genE2ELNS1_11target_archE906ELNS1_3gpuE6ELNS1_3repE0EEENS1_36merge_oddeven_config_static_selectorELNS0_4arch9wavefront6targetE1EEEvSL_,"axG",@progbits,_ZN7rocprim17ROCPRIM_400000_NS6detail17trampoline_kernelINS0_14default_configENS1_38merge_sort_block_merge_config_selectorIiNS0_10empty_typeEEEZZNS1_27merge_sort_block_merge_implIS3_N6thrust23THRUST_200600_302600_NS6detail15normal_iteratorINS9_10device_ptrIiEEEEPS5_jNS1_19radix_merge_compareILb0ELb1EiNS0_19identity_decomposerEEEEE10hipError_tT0_T1_T2_jT3_P12ihipStream_tbPNSt15iterator_traitsISK_E10value_typeEPNSQ_ISL_E10value_typeEPSM_NS1_7vsmem_tEENKUlT_SK_SL_SM_E_clISE_PiSF_SF_EESJ_SZ_SK_SL_SM_EUlSZ_E1_NS1_11comp_targetILNS1_3genE2ELNS1_11target_archE906ELNS1_3gpuE6ELNS1_3repE0EEENS1_36merge_oddeven_config_static_selectorELNS0_4arch9wavefront6targetE1EEEvSL_,comdat
	.protected	_ZN7rocprim17ROCPRIM_400000_NS6detail17trampoline_kernelINS0_14default_configENS1_38merge_sort_block_merge_config_selectorIiNS0_10empty_typeEEEZZNS1_27merge_sort_block_merge_implIS3_N6thrust23THRUST_200600_302600_NS6detail15normal_iteratorINS9_10device_ptrIiEEEEPS5_jNS1_19radix_merge_compareILb0ELb1EiNS0_19identity_decomposerEEEEE10hipError_tT0_T1_T2_jT3_P12ihipStream_tbPNSt15iterator_traitsISK_E10value_typeEPNSQ_ISL_E10value_typeEPSM_NS1_7vsmem_tEENKUlT_SK_SL_SM_E_clISE_PiSF_SF_EESJ_SZ_SK_SL_SM_EUlSZ_E1_NS1_11comp_targetILNS1_3genE2ELNS1_11target_archE906ELNS1_3gpuE6ELNS1_3repE0EEENS1_36merge_oddeven_config_static_selectorELNS0_4arch9wavefront6targetE1EEEvSL_ ; -- Begin function _ZN7rocprim17ROCPRIM_400000_NS6detail17trampoline_kernelINS0_14default_configENS1_38merge_sort_block_merge_config_selectorIiNS0_10empty_typeEEEZZNS1_27merge_sort_block_merge_implIS3_N6thrust23THRUST_200600_302600_NS6detail15normal_iteratorINS9_10device_ptrIiEEEEPS5_jNS1_19radix_merge_compareILb0ELb1EiNS0_19identity_decomposerEEEEE10hipError_tT0_T1_T2_jT3_P12ihipStream_tbPNSt15iterator_traitsISK_E10value_typeEPNSQ_ISL_E10value_typeEPSM_NS1_7vsmem_tEENKUlT_SK_SL_SM_E_clISE_PiSF_SF_EESJ_SZ_SK_SL_SM_EUlSZ_E1_NS1_11comp_targetILNS1_3genE2ELNS1_11target_archE906ELNS1_3gpuE6ELNS1_3repE0EEENS1_36merge_oddeven_config_static_selectorELNS0_4arch9wavefront6targetE1EEEvSL_
	.globl	_ZN7rocprim17ROCPRIM_400000_NS6detail17trampoline_kernelINS0_14default_configENS1_38merge_sort_block_merge_config_selectorIiNS0_10empty_typeEEEZZNS1_27merge_sort_block_merge_implIS3_N6thrust23THRUST_200600_302600_NS6detail15normal_iteratorINS9_10device_ptrIiEEEEPS5_jNS1_19radix_merge_compareILb0ELb1EiNS0_19identity_decomposerEEEEE10hipError_tT0_T1_T2_jT3_P12ihipStream_tbPNSt15iterator_traitsISK_E10value_typeEPNSQ_ISL_E10value_typeEPSM_NS1_7vsmem_tEENKUlT_SK_SL_SM_E_clISE_PiSF_SF_EESJ_SZ_SK_SL_SM_EUlSZ_E1_NS1_11comp_targetILNS1_3genE2ELNS1_11target_archE906ELNS1_3gpuE6ELNS1_3repE0EEENS1_36merge_oddeven_config_static_selectorELNS0_4arch9wavefront6targetE1EEEvSL_
	.p2align	8
	.type	_ZN7rocprim17ROCPRIM_400000_NS6detail17trampoline_kernelINS0_14default_configENS1_38merge_sort_block_merge_config_selectorIiNS0_10empty_typeEEEZZNS1_27merge_sort_block_merge_implIS3_N6thrust23THRUST_200600_302600_NS6detail15normal_iteratorINS9_10device_ptrIiEEEEPS5_jNS1_19radix_merge_compareILb0ELb1EiNS0_19identity_decomposerEEEEE10hipError_tT0_T1_T2_jT3_P12ihipStream_tbPNSt15iterator_traitsISK_E10value_typeEPNSQ_ISL_E10value_typeEPSM_NS1_7vsmem_tEENKUlT_SK_SL_SM_E_clISE_PiSF_SF_EESJ_SZ_SK_SL_SM_EUlSZ_E1_NS1_11comp_targetILNS1_3genE2ELNS1_11target_archE906ELNS1_3gpuE6ELNS1_3repE0EEENS1_36merge_oddeven_config_static_selectorELNS0_4arch9wavefront6targetE1EEEvSL_,@function
_ZN7rocprim17ROCPRIM_400000_NS6detail17trampoline_kernelINS0_14default_configENS1_38merge_sort_block_merge_config_selectorIiNS0_10empty_typeEEEZZNS1_27merge_sort_block_merge_implIS3_N6thrust23THRUST_200600_302600_NS6detail15normal_iteratorINS9_10device_ptrIiEEEEPS5_jNS1_19radix_merge_compareILb0ELb1EiNS0_19identity_decomposerEEEEE10hipError_tT0_T1_T2_jT3_P12ihipStream_tbPNSt15iterator_traitsISK_E10value_typeEPNSQ_ISL_E10value_typeEPSM_NS1_7vsmem_tEENKUlT_SK_SL_SM_E_clISE_PiSF_SF_EESJ_SZ_SK_SL_SM_EUlSZ_E1_NS1_11comp_targetILNS1_3genE2ELNS1_11target_archE906ELNS1_3gpuE6ELNS1_3repE0EEENS1_36merge_oddeven_config_static_selectorELNS0_4arch9wavefront6targetE1EEEvSL_: ; @_ZN7rocprim17ROCPRIM_400000_NS6detail17trampoline_kernelINS0_14default_configENS1_38merge_sort_block_merge_config_selectorIiNS0_10empty_typeEEEZZNS1_27merge_sort_block_merge_implIS3_N6thrust23THRUST_200600_302600_NS6detail15normal_iteratorINS9_10device_ptrIiEEEEPS5_jNS1_19radix_merge_compareILb0ELb1EiNS0_19identity_decomposerEEEEE10hipError_tT0_T1_T2_jT3_P12ihipStream_tbPNSt15iterator_traitsISK_E10value_typeEPNSQ_ISL_E10value_typeEPSM_NS1_7vsmem_tEENKUlT_SK_SL_SM_E_clISE_PiSF_SF_EESJ_SZ_SK_SL_SM_EUlSZ_E1_NS1_11comp_targetILNS1_3genE2ELNS1_11target_archE906ELNS1_3gpuE6ELNS1_3repE0EEENS1_36merge_oddeven_config_static_selectorELNS0_4arch9wavefront6targetE1EEEvSL_
; %bb.0:
	.section	.rodata,"a",@progbits
	.p2align	6, 0x0
	.amdhsa_kernel _ZN7rocprim17ROCPRIM_400000_NS6detail17trampoline_kernelINS0_14default_configENS1_38merge_sort_block_merge_config_selectorIiNS0_10empty_typeEEEZZNS1_27merge_sort_block_merge_implIS3_N6thrust23THRUST_200600_302600_NS6detail15normal_iteratorINS9_10device_ptrIiEEEEPS5_jNS1_19radix_merge_compareILb0ELb1EiNS0_19identity_decomposerEEEEE10hipError_tT0_T1_T2_jT3_P12ihipStream_tbPNSt15iterator_traitsISK_E10value_typeEPNSQ_ISL_E10value_typeEPSM_NS1_7vsmem_tEENKUlT_SK_SL_SM_E_clISE_PiSF_SF_EESJ_SZ_SK_SL_SM_EUlSZ_E1_NS1_11comp_targetILNS1_3genE2ELNS1_11target_archE906ELNS1_3gpuE6ELNS1_3repE0EEENS1_36merge_oddeven_config_static_selectorELNS0_4arch9wavefront6targetE1EEEvSL_
		.amdhsa_group_segment_fixed_size 0
		.amdhsa_private_segment_fixed_size 0
		.amdhsa_kernarg_size 48
		.amdhsa_user_sgpr_count 2
		.amdhsa_user_sgpr_dispatch_ptr 0
		.amdhsa_user_sgpr_queue_ptr 0
		.amdhsa_user_sgpr_kernarg_segment_ptr 1
		.amdhsa_user_sgpr_dispatch_id 0
		.amdhsa_user_sgpr_kernarg_preload_length 0
		.amdhsa_user_sgpr_kernarg_preload_offset 0
		.amdhsa_user_sgpr_private_segment_size 0
		.amdhsa_uses_dynamic_stack 0
		.amdhsa_enable_private_segment 0
		.amdhsa_system_sgpr_workgroup_id_x 1
		.amdhsa_system_sgpr_workgroup_id_y 0
		.amdhsa_system_sgpr_workgroup_id_z 0
		.amdhsa_system_sgpr_workgroup_info 0
		.amdhsa_system_vgpr_workitem_id 0
		.amdhsa_next_free_vgpr 1
		.amdhsa_next_free_sgpr 0
		.amdhsa_accum_offset 4
		.amdhsa_reserve_vcc 0
		.amdhsa_float_round_mode_32 0
		.amdhsa_float_round_mode_16_64 0
		.amdhsa_float_denorm_mode_32 3
		.amdhsa_float_denorm_mode_16_64 3
		.amdhsa_dx10_clamp 1
		.amdhsa_ieee_mode 1
		.amdhsa_fp16_overflow 0
		.amdhsa_tg_split 0
		.amdhsa_exception_fp_ieee_invalid_op 0
		.amdhsa_exception_fp_denorm_src 0
		.amdhsa_exception_fp_ieee_div_zero 0
		.amdhsa_exception_fp_ieee_overflow 0
		.amdhsa_exception_fp_ieee_underflow 0
		.amdhsa_exception_fp_ieee_inexact 0
		.amdhsa_exception_int_div_zero 0
	.end_amdhsa_kernel
	.section	.text._ZN7rocprim17ROCPRIM_400000_NS6detail17trampoline_kernelINS0_14default_configENS1_38merge_sort_block_merge_config_selectorIiNS0_10empty_typeEEEZZNS1_27merge_sort_block_merge_implIS3_N6thrust23THRUST_200600_302600_NS6detail15normal_iteratorINS9_10device_ptrIiEEEEPS5_jNS1_19radix_merge_compareILb0ELb1EiNS0_19identity_decomposerEEEEE10hipError_tT0_T1_T2_jT3_P12ihipStream_tbPNSt15iterator_traitsISK_E10value_typeEPNSQ_ISL_E10value_typeEPSM_NS1_7vsmem_tEENKUlT_SK_SL_SM_E_clISE_PiSF_SF_EESJ_SZ_SK_SL_SM_EUlSZ_E1_NS1_11comp_targetILNS1_3genE2ELNS1_11target_archE906ELNS1_3gpuE6ELNS1_3repE0EEENS1_36merge_oddeven_config_static_selectorELNS0_4arch9wavefront6targetE1EEEvSL_,"axG",@progbits,_ZN7rocprim17ROCPRIM_400000_NS6detail17trampoline_kernelINS0_14default_configENS1_38merge_sort_block_merge_config_selectorIiNS0_10empty_typeEEEZZNS1_27merge_sort_block_merge_implIS3_N6thrust23THRUST_200600_302600_NS6detail15normal_iteratorINS9_10device_ptrIiEEEEPS5_jNS1_19radix_merge_compareILb0ELb1EiNS0_19identity_decomposerEEEEE10hipError_tT0_T1_T2_jT3_P12ihipStream_tbPNSt15iterator_traitsISK_E10value_typeEPNSQ_ISL_E10value_typeEPSM_NS1_7vsmem_tEENKUlT_SK_SL_SM_E_clISE_PiSF_SF_EESJ_SZ_SK_SL_SM_EUlSZ_E1_NS1_11comp_targetILNS1_3genE2ELNS1_11target_archE906ELNS1_3gpuE6ELNS1_3repE0EEENS1_36merge_oddeven_config_static_selectorELNS0_4arch9wavefront6targetE1EEEvSL_,comdat
.Lfunc_end1716:
	.size	_ZN7rocprim17ROCPRIM_400000_NS6detail17trampoline_kernelINS0_14default_configENS1_38merge_sort_block_merge_config_selectorIiNS0_10empty_typeEEEZZNS1_27merge_sort_block_merge_implIS3_N6thrust23THRUST_200600_302600_NS6detail15normal_iteratorINS9_10device_ptrIiEEEEPS5_jNS1_19radix_merge_compareILb0ELb1EiNS0_19identity_decomposerEEEEE10hipError_tT0_T1_T2_jT3_P12ihipStream_tbPNSt15iterator_traitsISK_E10value_typeEPNSQ_ISL_E10value_typeEPSM_NS1_7vsmem_tEENKUlT_SK_SL_SM_E_clISE_PiSF_SF_EESJ_SZ_SK_SL_SM_EUlSZ_E1_NS1_11comp_targetILNS1_3genE2ELNS1_11target_archE906ELNS1_3gpuE6ELNS1_3repE0EEENS1_36merge_oddeven_config_static_selectorELNS0_4arch9wavefront6targetE1EEEvSL_, .Lfunc_end1716-_ZN7rocprim17ROCPRIM_400000_NS6detail17trampoline_kernelINS0_14default_configENS1_38merge_sort_block_merge_config_selectorIiNS0_10empty_typeEEEZZNS1_27merge_sort_block_merge_implIS3_N6thrust23THRUST_200600_302600_NS6detail15normal_iteratorINS9_10device_ptrIiEEEEPS5_jNS1_19radix_merge_compareILb0ELb1EiNS0_19identity_decomposerEEEEE10hipError_tT0_T1_T2_jT3_P12ihipStream_tbPNSt15iterator_traitsISK_E10value_typeEPNSQ_ISL_E10value_typeEPSM_NS1_7vsmem_tEENKUlT_SK_SL_SM_E_clISE_PiSF_SF_EESJ_SZ_SK_SL_SM_EUlSZ_E1_NS1_11comp_targetILNS1_3genE2ELNS1_11target_archE906ELNS1_3gpuE6ELNS1_3repE0EEENS1_36merge_oddeven_config_static_selectorELNS0_4arch9wavefront6targetE1EEEvSL_
                                        ; -- End function
	.section	.AMDGPU.csdata,"",@progbits
; Kernel info:
; codeLenInByte = 0
; NumSgprs: 6
; NumVgprs: 0
; NumAgprs: 0
; TotalNumVgprs: 0
; ScratchSize: 0
; MemoryBound: 0
; FloatMode: 240
; IeeeMode: 1
; LDSByteSize: 0 bytes/workgroup (compile time only)
; SGPRBlocks: 0
; VGPRBlocks: 0
; NumSGPRsForWavesPerEU: 6
; NumVGPRsForWavesPerEU: 1
; AccumOffset: 4
; Occupancy: 8
; WaveLimiterHint : 0
; COMPUTE_PGM_RSRC2:SCRATCH_EN: 0
; COMPUTE_PGM_RSRC2:USER_SGPR: 2
; COMPUTE_PGM_RSRC2:TRAP_HANDLER: 0
; COMPUTE_PGM_RSRC2:TGID_X_EN: 1
; COMPUTE_PGM_RSRC2:TGID_Y_EN: 0
; COMPUTE_PGM_RSRC2:TGID_Z_EN: 0
; COMPUTE_PGM_RSRC2:TIDIG_COMP_CNT: 0
; COMPUTE_PGM_RSRC3_GFX90A:ACCUM_OFFSET: 0
; COMPUTE_PGM_RSRC3_GFX90A:TG_SPLIT: 0
	.section	.text._ZN7rocprim17ROCPRIM_400000_NS6detail17trampoline_kernelINS0_14default_configENS1_38merge_sort_block_merge_config_selectorIiNS0_10empty_typeEEEZZNS1_27merge_sort_block_merge_implIS3_N6thrust23THRUST_200600_302600_NS6detail15normal_iteratorINS9_10device_ptrIiEEEEPS5_jNS1_19radix_merge_compareILb0ELb1EiNS0_19identity_decomposerEEEEE10hipError_tT0_T1_T2_jT3_P12ihipStream_tbPNSt15iterator_traitsISK_E10value_typeEPNSQ_ISL_E10value_typeEPSM_NS1_7vsmem_tEENKUlT_SK_SL_SM_E_clISE_PiSF_SF_EESJ_SZ_SK_SL_SM_EUlSZ_E1_NS1_11comp_targetILNS1_3genE9ELNS1_11target_archE1100ELNS1_3gpuE3ELNS1_3repE0EEENS1_36merge_oddeven_config_static_selectorELNS0_4arch9wavefront6targetE1EEEvSL_,"axG",@progbits,_ZN7rocprim17ROCPRIM_400000_NS6detail17trampoline_kernelINS0_14default_configENS1_38merge_sort_block_merge_config_selectorIiNS0_10empty_typeEEEZZNS1_27merge_sort_block_merge_implIS3_N6thrust23THRUST_200600_302600_NS6detail15normal_iteratorINS9_10device_ptrIiEEEEPS5_jNS1_19radix_merge_compareILb0ELb1EiNS0_19identity_decomposerEEEEE10hipError_tT0_T1_T2_jT3_P12ihipStream_tbPNSt15iterator_traitsISK_E10value_typeEPNSQ_ISL_E10value_typeEPSM_NS1_7vsmem_tEENKUlT_SK_SL_SM_E_clISE_PiSF_SF_EESJ_SZ_SK_SL_SM_EUlSZ_E1_NS1_11comp_targetILNS1_3genE9ELNS1_11target_archE1100ELNS1_3gpuE3ELNS1_3repE0EEENS1_36merge_oddeven_config_static_selectorELNS0_4arch9wavefront6targetE1EEEvSL_,comdat
	.protected	_ZN7rocprim17ROCPRIM_400000_NS6detail17trampoline_kernelINS0_14default_configENS1_38merge_sort_block_merge_config_selectorIiNS0_10empty_typeEEEZZNS1_27merge_sort_block_merge_implIS3_N6thrust23THRUST_200600_302600_NS6detail15normal_iteratorINS9_10device_ptrIiEEEEPS5_jNS1_19radix_merge_compareILb0ELb1EiNS0_19identity_decomposerEEEEE10hipError_tT0_T1_T2_jT3_P12ihipStream_tbPNSt15iterator_traitsISK_E10value_typeEPNSQ_ISL_E10value_typeEPSM_NS1_7vsmem_tEENKUlT_SK_SL_SM_E_clISE_PiSF_SF_EESJ_SZ_SK_SL_SM_EUlSZ_E1_NS1_11comp_targetILNS1_3genE9ELNS1_11target_archE1100ELNS1_3gpuE3ELNS1_3repE0EEENS1_36merge_oddeven_config_static_selectorELNS0_4arch9wavefront6targetE1EEEvSL_ ; -- Begin function _ZN7rocprim17ROCPRIM_400000_NS6detail17trampoline_kernelINS0_14default_configENS1_38merge_sort_block_merge_config_selectorIiNS0_10empty_typeEEEZZNS1_27merge_sort_block_merge_implIS3_N6thrust23THRUST_200600_302600_NS6detail15normal_iteratorINS9_10device_ptrIiEEEEPS5_jNS1_19radix_merge_compareILb0ELb1EiNS0_19identity_decomposerEEEEE10hipError_tT0_T1_T2_jT3_P12ihipStream_tbPNSt15iterator_traitsISK_E10value_typeEPNSQ_ISL_E10value_typeEPSM_NS1_7vsmem_tEENKUlT_SK_SL_SM_E_clISE_PiSF_SF_EESJ_SZ_SK_SL_SM_EUlSZ_E1_NS1_11comp_targetILNS1_3genE9ELNS1_11target_archE1100ELNS1_3gpuE3ELNS1_3repE0EEENS1_36merge_oddeven_config_static_selectorELNS0_4arch9wavefront6targetE1EEEvSL_
	.globl	_ZN7rocprim17ROCPRIM_400000_NS6detail17trampoline_kernelINS0_14default_configENS1_38merge_sort_block_merge_config_selectorIiNS0_10empty_typeEEEZZNS1_27merge_sort_block_merge_implIS3_N6thrust23THRUST_200600_302600_NS6detail15normal_iteratorINS9_10device_ptrIiEEEEPS5_jNS1_19radix_merge_compareILb0ELb1EiNS0_19identity_decomposerEEEEE10hipError_tT0_T1_T2_jT3_P12ihipStream_tbPNSt15iterator_traitsISK_E10value_typeEPNSQ_ISL_E10value_typeEPSM_NS1_7vsmem_tEENKUlT_SK_SL_SM_E_clISE_PiSF_SF_EESJ_SZ_SK_SL_SM_EUlSZ_E1_NS1_11comp_targetILNS1_3genE9ELNS1_11target_archE1100ELNS1_3gpuE3ELNS1_3repE0EEENS1_36merge_oddeven_config_static_selectorELNS0_4arch9wavefront6targetE1EEEvSL_
	.p2align	8
	.type	_ZN7rocprim17ROCPRIM_400000_NS6detail17trampoline_kernelINS0_14default_configENS1_38merge_sort_block_merge_config_selectorIiNS0_10empty_typeEEEZZNS1_27merge_sort_block_merge_implIS3_N6thrust23THRUST_200600_302600_NS6detail15normal_iteratorINS9_10device_ptrIiEEEEPS5_jNS1_19radix_merge_compareILb0ELb1EiNS0_19identity_decomposerEEEEE10hipError_tT0_T1_T2_jT3_P12ihipStream_tbPNSt15iterator_traitsISK_E10value_typeEPNSQ_ISL_E10value_typeEPSM_NS1_7vsmem_tEENKUlT_SK_SL_SM_E_clISE_PiSF_SF_EESJ_SZ_SK_SL_SM_EUlSZ_E1_NS1_11comp_targetILNS1_3genE9ELNS1_11target_archE1100ELNS1_3gpuE3ELNS1_3repE0EEENS1_36merge_oddeven_config_static_selectorELNS0_4arch9wavefront6targetE1EEEvSL_,@function
_ZN7rocprim17ROCPRIM_400000_NS6detail17trampoline_kernelINS0_14default_configENS1_38merge_sort_block_merge_config_selectorIiNS0_10empty_typeEEEZZNS1_27merge_sort_block_merge_implIS3_N6thrust23THRUST_200600_302600_NS6detail15normal_iteratorINS9_10device_ptrIiEEEEPS5_jNS1_19radix_merge_compareILb0ELb1EiNS0_19identity_decomposerEEEEE10hipError_tT0_T1_T2_jT3_P12ihipStream_tbPNSt15iterator_traitsISK_E10value_typeEPNSQ_ISL_E10value_typeEPSM_NS1_7vsmem_tEENKUlT_SK_SL_SM_E_clISE_PiSF_SF_EESJ_SZ_SK_SL_SM_EUlSZ_E1_NS1_11comp_targetILNS1_3genE9ELNS1_11target_archE1100ELNS1_3gpuE3ELNS1_3repE0EEENS1_36merge_oddeven_config_static_selectorELNS0_4arch9wavefront6targetE1EEEvSL_: ; @_ZN7rocprim17ROCPRIM_400000_NS6detail17trampoline_kernelINS0_14default_configENS1_38merge_sort_block_merge_config_selectorIiNS0_10empty_typeEEEZZNS1_27merge_sort_block_merge_implIS3_N6thrust23THRUST_200600_302600_NS6detail15normal_iteratorINS9_10device_ptrIiEEEEPS5_jNS1_19radix_merge_compareILb0ELb1EiNS0_19identity_decomposerEEEEE10hipError_tT0_T1_T2_jT3_P12ihipStream_tbPNSt15iterator_traitsISK_E10value_typeEPNSQ_ISL_E10value_typeEPSM_NS1_7vsmem_tEENKUlT_SK_SL_SM_E_clISE_PiSF_SF_EESJ_SZ_SK_SL_SM_EUlSZ_E1_NS1_11comp_targetILNS1_3genE9ELNS1_11target_archE1100ELNS1_3gpuE3ELNS1_3repE0EEENS1_36merge_oddeven_config_static_selectorELNS0_4arch9wavefront6targetE1EEEvSL_
; %bb.0:
	.section	.rodata,"a",@progbits
	.p2align	6, 0x0
	.amdhsa_kernel _ZN7rocprim17ROCPRIM_400000_NS6detail17trampoline_kernelINS0_14default_configENS1_38merge_sort_block_merge_config_selectorIiNS0_10empty_typeEEEZZNS1_27merge_sort_block_merge_implIS3_N6thrust23THRUST_200600_302600_NS6detail15normal_iteratorINS9_10device_ptrIiEEEEPS5_jNS1_19radix_merge_compareILb0ELb1EiNS0_19identity_decomposerEEEEE10hipError_tT0_T1_T2_jT3_P12ihipStream_tbPNSt15iterator_traitsISK_E10value_typeEPNSQ_ISL_E10value_typeEPSM_NS1_7vsmem_tEENKUlT_SK_SL_SM_E_clISE_PiSF_SF_EESJ_SZ_SK_SL_SM_EUlSZ_E1_NS1_11comp_targetILNS1_3genE9ELNS1_11target_archE1100ELNS1_3gpuE3ELNS1_3repE0EEENS1_36merge_oddeven_config_static_selectorELNS0_4arch9wavefront6targetE1EEEvSL_
		.amdhsa_group_segment_fixed_size 0
		.amdhsa_private_segment_fixed_size 0
		.amdhsa_kernarg_size 48
		.amdhsa_user_sgpr_count 2
		.amdhsa_user_sgpr_dispatch_ptr 0
		.amdhsa_user_sgpr_queue_ptr 0
		.amdhsa_user_sgpr_kernarg_segment_ptr 1
		.amdhsa_user_sgpr_dispatch_id 0
		.amdhsa_user_sgpr_kernarg_preload_length 0
		.amdhsa_user_sgpr_kernarg_preload_offset 0
		.amdhsa_user_sgpr_private_segment_size 0
		.amdhsa_uses_dynamic_stack 0
		.amdhsa_enable_private_segment 0
		.amdhsa_system_sgpr_workgroup_id_x 1
		.amdhsa_system_sgpr_workgroup_id_y 0
		.amdhsa_system_sgpr_workgroup_id_z 0
		.amdhsa_system_sgpr_workgroup_info 0
		.amdhsa_system_vgpr_workitem_id 0
		.amdhsa_next_free_vgpr 1
		.amdhsa_next_free_sgpr 0
		.amdhsa_accum_offset 4
		.amdhsa_reserve_vcc 0
		.amdhsa_float_round_mode_32 0
		.amdhsa_float_round_mode_16_64 0
		.amdhsa_float_denorm_mode_32 3
		.amdhsa_float_denorm_mode_16_64 3
		.amdhsa_dx10_clamp 1
		.amdhsa_ieee_mode 1
		.amdhsa_fp16_overflow 0
		.amdhsa_tg_split 0
		.amdhsa_exception_fp_ieee_invalid_op 0
		.amdhsa_exception_fp_denorm_src 0
		.amdhsa_exception_fp_ieee_div_zero 0
		.amdhsa_exception_fp_ieee_overflow 0
		.amdhsa_exception_fp_ieee_underflow 0
		.amdhsa_exception_fp_ieee_inexact 0
		.amdhsa_exception_int_div_zero 0
	.end_amdhsa_kernel
	.section	.text._ZN7rocprim17ROCPRIM_400000_NS6detail17trampoline_kernelINS0_14default_configENS1_38merge_sort_block_merge_config_selectorIiNS0_10empty_typeEEEZZNS1_27merge_sort_block_merge_implIS3_N6thrust23THRUST_200600_302600_NS6detail15normal_iteratorINS9_10device_ptrIiEEEEPS5_jNS1_19radix_merge_compareILb0ELb1EiNS0_19identity_decomposerEEEEE10hipError_tT0_T1_T2_jT3_P12ihipStream_tbPNSt15iterator_traitsISK_E10value_typeEPNSQ_ISL_E10value_typeEPSM_NS1_7vsmem_tEENKUlT_SK_SL_SM_E_clISE_PiSF_SF_EESJ_SZ_SK_SL_SM_EUlSZ_E1_NS1_11comp_targetILNS1_3genE9ELNS1_11target_archE1100ELNS1_3gpuE3ELNS1_3repE0EEENS1_36merge_oddeven_config_static_selectorELNS0_4arch9wavefront6targetE1EEEvSL_,"axG",@progbits,_ZN7rocprim17ROCPRIM_400000_NS6detail17trampoline_kernelINS0_14default_configENS1_38merge_sort_block_merge_config_selectorIiNS0_10empty_typeEEEZZNS1_27merge_sort_block_merge_implIS3_N6thrust23THRUST_200600_302600_NS6detail15normal_iteratorINS9_10device_ptrIiEEEEPS5_jNS1_19radix_merge_compareILb0ELb1EiNS0_19identity_decomposerEEEEE10hipError_tT0_T1_T2_jT3_P12ihipStream_tbPNSt15iterator_traitsISK_E10value_typeEPNSQ_ISL_E10value_typeEPSM_NS1_7vsmem_tEENKUlT_SK_SL_SM_E_clISE_PiSF_SF_EESJ_SZ_SK_SL_SM_EUlSZ_E1_NS1_11comp_targetILNS1_3genE9ELNS1_11target_archE1100ELNS1_3gpuE3ELNS1_3repE0EEENS1_36merge_oddeven_config_static_selectorELNS0_4arch9wavefront6targetE1EEEvSL_,comdat
.Lfunc_end1717:
	.size	_ZN7rocprim17ROCPRIM_400000_NS6detail17trampoline_kernelINS0_14default_configENS1_38merge_sort_block_merge_config_selectorIiNS0_10empty_typeEEEZZNS1_27merge_sort_block_merge_implIS3_N6thrust23THRUST_200600_302600_NS6detail15normal_iteratorINS9_10device_ptrIiEEEEPS5_jNS1_19radix_merge_compareILb0ELb1EiNS0_19identity_decomposerEEEEE10hipError_tT0_T1_T2_jT3_P12ihipStream_tbPNSt15iterator_traitsISK_E10value_typeEPNSQ_ISL_E10value_typeEPSM_NS1_7vsmem_tEENKUlT_SK_SL_SM_E_clISE_PiSF_SF_EESJ_SZ_SK_SL_SM_EUlSZ_E1_NS1_11comp_targetILNS1_3genE9ELNS1_11target_archE1100ELNS1_3gpuE3ELNS1_3repE0EEENS1_36merge_oddeven_config_static_selectorELNS0_4arch9wavefront6targetE1EEEvSL_, .Lfunc_end1717-_ZN7rocprim17ROCPRIM_400000_NS6detail17trampoline_kernelINS0_14default_configENS1_38merge_sort_block_merge_config_selectorIiNS0_10empty_typeEEEZZNS1_27merge_sort_block_merge_implIS3_N6thrust23THRUST_200600_302600_NS6detail15normal_iteratorINS9_10device_ptrIiEEEEPS5_jNS1_19radix_merge_compareILb0ELb1EiNS0_19identity_decomposerEEEEE10hipError_tT0_T1_T2_jT3_P12ihipStream_tbPNSt15iterator_traitsISK_E10value_typeEPNSQ_ISL_E10value_typeEPSM_NS1_7vsmem_tEENKUlT_SK_SL_SM_E_clISE_PiSF_SF_EESJ_SZ_SK_SL_SM_EUlSZ_E1_NS1_11comp_targetILNS1_3genE9ELNS1_11target_archE1100ELNS1_3gpuE3ELNS1_3repE0EEENS1_36merge_oddeven_config_static_selectorELNS0_4arch9wavefront6targetE1EEEvSL_
                                        ; -- End function
	.section	.AMDGPU.csdata,"",@progbits
; Kernel info:
; codeLenInByte = 0
; NumSgprs: 6
; NumVgprs: 0
; NumAgprs: 0
; TotalNumVgprs: 0
; ScratchSize: 0
; MemoryBound: 0
; FloatMode: 240
; IeeeMode: 1
; LDSByteSize: 0 bytes/workgroup (compile time only)
; SGPRBlocks: 0
; VGPRBlocks: 0
; NumSGPRsForWavesPerEU: 6
; NumVGPRsForWavesPerEU: 1
; AccumOffset: 4
; Occupancy: 8
; WaveLimiterHint : 0
; COMPUTE_PGM_RSRC2:SCRATCH_EN: 0
; COMPUTE_PGM_RSRC2:USER_SGPR: 2
; COMPUTE_PGM_RSRC2:TRAP_HANDLER: 0
; COMPUTE_PGM_RSRC2:TGID_X_EN: 1
; COMPUTE_PGM_RSRC2:TGID_Y_EN: 0
; COMPUTE_PGM_RSRC2:TGID_Z_EN: 0
; COMPUTE_PGM_RSRC2:TIDIG_COMP_CNT: 0
; COMPUTE_PGM_RSRC3_GFX90A:ACCUM_OFFSET: 0
; COMPUTE_PGM_RSRC3_GFX90A:TG_SPLIT: 0
	.section	.text._ZN7rocprim17ROCPRIM_400000_NS6detail17trampoline_kernelINS0_14default_configENS1_38merge_sort_block_merge_config_selectorIiNS0_10empty_typeEEEZZNS1_27merge_sort_block_merge_implIS3_N6thrust23THRUST_200600_302600_NS6detail15normal_iteratorINS9_10device_ptrIiEEEEPS5_jNS1_19radix_merge_compareILb0ELb1EiNS0_19identity_decomposerEEEEE10hipError_tT0_T1_T2_jT3_P12ihipStream_tbPNSt15iterator_traitsISK_E10value_typeEPNSQ_ISL_E10value_typeEPSM_NS1_7vsmem_tEENKUlT_SK_SL_SM_E_clISE_PiSF_SF_EESJ_SZ_SK_SL_SM_EUlSZ_E1_NS1_11comp_targetILNS1_3genE8ELNS1_11target_archE1030ELNS1_3gpuE2ELNS1_3repE0EEENS1_36merge_oddeven_config_static_selectorELNS0_4arch9wavefront6targetE1EEEvSL_,"axG",@progbits,_ZN7rocprim17ROCPRIM_400000_NS6detail17trampoline_kernelINS0_14default_configENS1_38merge_sort_block_merge_config_selectorIiNS0_10empty_typeEEEZZNS1_27merge_sort_block_merge_implIS3_N6thrust23THRUST_200600_302600_NS6detail15normal_iteratorINS9_10device_ptrIiEEEEPS5_jNS1_19radix_merge_compareILb0ELb1EiNS0_19identity_decomposerEEEEE10hipError_tT0_T1_T2_jT3_P12ihipStream_tbPNSt15iterator_traitsISK_E10value_typeEPNSQ_ISL_E10value_typeEPSM_NS1_7vsmem_tEENKUlT_SK_SL_SM_E_clISE_PiSF_SF_EESJ_SZ_SK_SL_SM_EUlSZ_E1_NS1_11comp_targetILNS1_3genE8ELNS1_11target_archE1030ELNS1_3gpuE2ELNS1_3repE0EEENS1_36merge_oddeven_config_static_selectorELNS0_4arch9wavefront6targetE1EEEvSL_,comdat
	.protected	_ZN7rocprim17ROCPRIM_400000_NS6detail17trampoline_kernelINS0_14default_configENS1_38merge_sort_block_merge_config_selectorIiNS0_10empty_typeEEEZZNS1_27merge_sort_block_merge_implIS3_N6thrust23THRUST_200600_302600_NS6detail15normal_iteratorINS9_10device_ptrIiEEEEPS5_jNS1_19radix_merge_compareILb0ELb1EiNS0_19identity_decomposerEEEEE10hipError_tT0_T1_T2_jT3_P12ihipStream_tbPNSt15iterator_traitsISK_E10value_typeEPNSQ_ISL_E10value_typeEPSM_NS1_7vsmem_tEENKUlT_SK_SL_SM_E_clISE_PiSF_SF_EESJ_SZ_SK_SL_SM_EUlSZ_E1_NS1_11comp_targetILNS1_3genE8ELNS1_11target_archE1030ELNS1_3gpuE2ELNS1_3repE0EEENS1_36merge_oddeven_config_static_selectorELNS0_4arch9wavefront6targetE1EEEvSL_ ; -- Begin function _ZN7rocprim17ROCPRIM_400000_NS6detail17trampoline_kernelINS0_14default_configENS1_38merge_sort_block_merge_config_selectorIiNS0_10empty_typeEEEZZNS1_27merge_sort_block_merge_implIS3_N6thrust23THRUST_200600_302600_NS6detail15normal_iteratorINS9_10device_ptrIiEEEEPS5_jNS1_19radix_merge_compareILb0ELb1EiNS0_19identity_decomposerEEEEE10hipError_tT0_T1_T2_jT3_P12ihipStream_tbPNSt15iterator_traitsISK_E10value_typeEPNSQ_ISL_E10value_typeEPSM_NS1_7vsmem_tEENKUlT_SK_SL_SM_E_clISE_PiSF_SF_EESJ_SZ_SK_SL_SM_EUlSZ_E1_NS1_11comp_targetILNS1_3genE8ELNS1_11target_archE1030ELNS1_3gpuE2ELNS1_3repE0EEENS1_36merge_oddeven_config_static_selectorELNS0_4arch9wavefront6targetE1EEEvSL_
	.globl	_ZN7rocprim17ROCPRIM_400000_NS6detail17trampoline_kernelINS0_14default_configENS1_38merge_sort_block_merge_config_selectorIiNS0_10empty_typeEEEZZNS1_27merge_sort_block_merge_implIS3_N6thrust23THRUST_200600_302600_NS6detail15normal_iteratorINS9_10device_ptrIiEEEEPS5_jNS1_19radix_merge_compareILb0ELb1EiNS0_19identity_decomposerEEEEE10hipError_tT0_T1_T2_jT3_P12ihipStream_tbPNSt15iterator_traitsISK_E10value_typeEPNSQ_ISL_E10value_typeEPSM_NS1_7vsmem_tEENKUlT_SK_SL_SM_E_clISE_PiSF_SF_EESJ_SZ_SK_SL_SM_EUlSZ_E1_NS1_11comp_targetILNS1_3genE8ELNS1_11target_archE1030ELNS1_3gpuE2ELNS1_3repE0EEENS1_36merge_oddeven_config_static_selectorELNS0_4arch9wavefront6targetE1EEEvSL_
	.p2align	8
	.type	_ZN7rocprim17ROCPRIM_400000_NS6detail17trampoline_kernelINS0_14default_configENS1_38merge_sort_block_merge_config_selectorIiNS0_10empty_typeEEEZZNS1_27merge_sort_block_merge_implIS3_N6thrust23THRUST_200600_302600_NS6detail15normal_iteratorINS9_10device_ptrIiEEEEPS5_jNS1_19radix_merge_compareILb0ELb1EiNS0_19identity_decomposerEEEEE10hipError_tT0_T1_T2_jT3_P12ihipStream_tbPNSt15iterator_traitsISK_E10value_typeEPNSQ_ISL_E10value_typeEPSM_NS1_7vsmem_tEENKUlT_SK_SL_SM_E_clISE_PiSF_SF_EESJ_SZ_SK_SL_SM_EUlSZ_E1_NS1_11comp_targetILNS1_3genE8ELNS1_11target_archE1030ELNS1_3gpuE2ELNS1_3repE0EEENS1_36merge_oddeven_config_static_selectorELNS0_4arch9wavefront6targetE1EEEvSL_,@function
_ZN7rocprim17ROCPRIM_400000_NS6detail17trampoline_kernelINS0_14default_configENS1_38merge_sort_block_merge_config_selectorIiNS0_10empty_typeEEEZZNS1_27merge_sort_block_merge_implIS3_N6thrust23THRUST_200600_302600_NS6detail15normal_iteratorINS9_10device_ptrIiEEEEPS5_jNS1_19radix_merge_compareILb0ELb1EiNS0_19identity_decomposerEEEEE10hipError_tT0_T1_T2_jT3_P12ihipStream_tbPNSt15iterator_traitsISK_E10value_typeEPNSQ_ISL_E10value_typeEPSM_NS1_7vsmem_tEENKUlT_SK_SL_SM_E_clISE_PiSF_SF_EESJ_SZ_SK_SL_SM_EUlSZ_E1_NS1_11comp_targetILNS1_3genE8ELNS1_11target_archE1030ELNS1_3gpuE2ELNS1_3repE0EEENS1_36merge_oddeven_config_static_selectorELNS0_4arch9wavefront6targetE1EEEvSL_: ; @_ZN7rocprim17ROCPRIM_400000_NS6detail17trampoline_kernelINS0_14default_configENS1_38merge_sort_block_merge_config_selectorIiNS0_10empty_typeEEEZZNS1_27merge_sort_block_merge_implIS3_N6thrust23THRUST_200600_302600_NS6detail15normal_iteratorINS9_10device_ptrIiEEEEPS5_jNS1_19radix_merge_compareILb0ELb1EiNS0_19identity_decomposerEEEEE10hipError_tT0_T1_T2_jT3_P12ihipStream_tbPNSt15iterator_traitsISK_E10value_typeEPNSQ_ISL_E10value_typeEPSM_NS1_7vsmem_tEENKUlT_SK_SL_SM_E_clISE_PiSF_SF_EESJ_SZ_SK_SL_SM_EUlSZ_E1_NS1_11comp_targetILNS1_3genE8ELNS1_11target_archE1030ELNS1_3gpuE2ELNS1_3repE0EEENS1_36merge_oddeven_config_static_selectorELNS0_4arch9wavefront6targetE1EEEvSL_
; %bb.0:
	.section	.rodata,"a",@progbits
	.p2align	6, 0x0
	.amdhsa_kernel _ZN7rocprim17ROCPRIM_400000_NS6detail17trampoline_kernelINS0_14default_configENS1_38merge_sort_block_merge_config_selectorIiNS0_10empty_typeEEEZZNS1_27merge_sort_block_merge_implIS3_N6thrust23THRUST_200600_302600_NS6detail15normal_iteratorINS9_10device_ptrIiEEEEPS5_jNS1_19radix_merge_compareILb0ELb1EiNS0_19identity_decomposerEEEEE10hipError_tT0_T1_T2_jT3_P12ihipStream_tbPNSt15iterator_traitsISK_E10value_typeEPNSQ_ISL_E10value_typeEPSM_NS1_7vsmem_tEENKUlT_SK_SL_SM_E_clISE_PiSF_SF_EESJ_SZ_SK_SL_SM_EUlSZ_E1_NS1_11comp_targetILNS1_3genE8ELNS1_11target_archE1030ELNS1_3gpuE2ELNS1_3repE0EEENS1_36merge_oddeven_config_static_selectorELNS0_4arch9wavefront6targetE1EEEvSL_
		.amdhsa_group_segment_fixed_size 0
		.amdhsa_private_segment_fixed_size 0
		.amdhsa_kernarg_size 48
		.amdhsa_user_sgpr_count 2
		.amdhsa_user_sgpr_dispatch_ptr 0
		.amdhsa_user_sgpr_queue_ptr 0
		.amdhsa_user_sgpr_kernarg_segment_ptr 1
		.amdhsa_user_sgpr_dispatch_id 0
		.amdhsa_user_sgpr_kernarg_preload_length 0
		.amdhsa_user_sgpr_kernarg_preload_offset 0
		.amdhsa_user_sgpr_private_segment_size 0
		.amdhsa_uses_dynamic_stack 0
		.amdhsa_enable_private_segment 0
		.amdhsa_system_sgpr_workgroup_id_x 1
		.amdhsa_system_sgpr_workgroup_id_y 0
		.amdhsa_system_sgpr_workgroup_id_z 0
		.amdhsa_system_sgpr_workgroup_info 0
		.amdhsa_system_vgpr_workitem_id 0
		.amdhsa_next_free_vgpr 1
		.amdhsa_next_free_sgpr 0
		.amdhsa_accum_offset 4
		.amdhsa_reserve_vcc 0
		.amdhsa_float_round_mode_32 0
		.amdhsa_float_round_mode_16_64 0
		.amdhsa_float_denorm_mode_32 3
		.amdhsa_float_denorm_mode_16_64 3
		.amdhsa_dx10_clamp 1
		.amdhsa_ieee_mode 1
		.amdhsa_fp16_overflow 0
		.amdhsa_tg_split 0
		.amdhsa_exception_fp_ieee_invalid_op 0
		.amdhsa_exception_fp_denorm_src 0
		.amdhsa_exception_fp_ieee_div_zero 0
		.amdhsa_exception_fp_ieee_overflow 0
		.amdhsa_exception_fp_ieee_underflow 0
		.amdhsa_exception_fp_ieee_inexact 0
		.amdhsa_exception_int_div_zero 0
	.end_amdhsa_kernel
	.section	.text._ZN7rocprim17ROCPRIM_400000_NS6detail17trampoline_kernelINS0_14default_configENS1_38merge_sort_block_merge_config_selectorIiNS0_10empty_typeEEEZZNS1_27merge_sort_block_merge_implIS3_N6thrust23THRUST_200600_302600_NS6detail15normal_iteratorINS9_10device_ptrIiEEEEPS5_jNS1_19radix_merge_compareILb0ELb1EiNS0_19identity_decomposerEEEEE10hipError_tT0_T1_T2_jT3_P12ihipStream_tbPNSt15iterator_traitsISK_E10value_typeEPNSQ_ISL_E10value_typeEPSM_NS1_7vsmem_tEENKUlT_SK_SL_SM_E_clISE_PiSF_SF_EESJ_SZ_SK_SL_SM_EUlSZ_E1_NS1_11comp_targetILNS1_3genE8ELNS1_11target_archE1030ELNS1_3gpuE2ELNS1_3repE0EEENS1_36merge_oddeven_config_static_selectorELNS0_4arch9wavefront6targetE1EEEvSL_,"axG",@progbits,_ZN7rocprim17ROCPRIM_400000_NS6detail17trampoline_kernelINS0_14default_configENS1_38merge_sort_block_merge_config_selectorIiNS0_10empty_typeEEEZZNS1_27merge_sort_block_merge_implIS3_N6thrust23THRUST_200600_302600_NS6detail15normal_iteratorINS9_10device_ptrIiEEEEPS5_jNS1_19radix_merge_compareILb0ELb1EiNS0_19identity_decomposerEEEEE10hipError_tT0_T1_T2_jT3_P12ihipStream_tbPNSt15iterator_traitsISK_E10value_typeEPNSQ_ISL_E10value_typeEPSM_NS1_7vsmem_tEENKUlT_SK_SL_SM_E_clISE_PiSF_SF_EESJ_SZ_SK_SL_SM_EUlSZ_E1_NS1_11comp_targetILNS1_3genE8ELNS1_11target_archE1030ELNS1_3gpuE2ELNS1_3repE0EEENS1_36merge_oddeven_config_static_selectorELNS0_4arch9wavefront6targetE1EEEvSL_,comdat
.Lfunc_end1718:
	.size	_ZN7rocprim17ROCPRIM_400000_NS6detail17trampoline_kernelINS0_14default_configENS1_38merge_sort_block_merge_config_selectorIiNS0_10empty_typeEEEZZNS1_27merge_sort_block_merge_implIS3_N6thrust23THRUST_200600_302600_NS6detail15normal_iteratorINS9_10device_ptrIiEEEEPS5_jNS1_19radix_merge_compareILb0ELb1EiNS0_19identity_decomposerEEEEE10hipError_tT0_T1_T2_jT3_P12ihipStream_tbPNSt15iterator_traitsISK_E10value_typeEPNSQ_ISL_E10value_typeEPSM_NS1_7vsmem_tEENKUlT_SK_SL_SM_E_clISE_PiSF_SF_EESJ_SZ_SK_SL_SM_EUlSZ_E1_NS1_11comp_targetILNS1_3genE8ELNS1_11target_archE1030ELNS1_3gpuE2ELNS1_3repE0EEENS1_36merge_oddeven_config_static_selectorELNS0_4arch9wavefront6targetE1EEEvSL_, .Lfunc_end1718-_ZN7rocprim17ROCPRIM_400000_NS6detail17trampoline_kernelINS0_14default_configENS1_38merge_sort_block_merge_config_selectorIiNS0_10empty_typeEEEZZNS1_27merge_sort_block_merge_implIS3_N6thrust23THRUST_200600_302600_NS6detail15normal_iteratorINS9_10device_ptrIiEEEEPS5_jNS1_19radix_merge_compareILb0ELb1EiNS0_19identity_decomposerEEEEE10hipError_tT0_T1_T2_jT3_P12ihipStream_tbPNSt15iterator_traitsISK_E10value_typeEPNSQ_ISL_E10value_typeEPSM_NS1_7vsmem_tEENKUlT_SK_SL_SM_E_clISE_PiSF_SF_EESJ_SZ_SK_SL_SM_EUlSZ_E1_NS1_11comp_targetILNS1_3genE8ELNS1_11target_archE1030ELNS1_3gpuE2ELNS1_3repE0EEENS1_36merge_oddeven_config_static_selectorELNS0_4arch9wavefront6targetE1EEEvSL_
                                        ; -- End function
	.section	.AMDGPU.csdata,"",@progbits
; Kernel info:
; codeLenInByte = 0
; NumSgprs: 6
; NumVgprs: 0
; NumAgprs: 0
; TotalNumVgprs: 0
; ScratchSize: 0
; MemoryBound: 0
; FloatMode: 240
; IeeeMode: 1
; LDSByteSize: 0 bytes/workgroup (compile time only)
; SGPRBlocks: 0
; VGPRBlocks: 0
; NumSGPRsForWavesPerEU: 6
; NumVGPRsForWavesPerEU: 1
; AccumOffset: 4
; Occupancy: 8
; WaveLimiterHint : 0
; COMPUTE_PGM_RSRC2:SCRATCH_EN: 0
; COMPUTE_PGM_RSRC2:USER_SGPR: 2
; COMPUTE_PGM_RSRC2:TRAP_HANDLER: 0
; COMPUTE_PGM_RSRC2:TGID_X_EN: 1
; COMPUTE_PGM_RSRC2:TGID_Y_EN: 0
; COMPUTE_PGM_RSRC2:TGID_Z_EN: 0
; COMPUTE_PGM_RSRC2:TIDIG_COMP_CNT: 0
; COMPUTE_PGM_RSRC3_GFX90A:ACCUM_OFFSET: 0
; COMPUTE_PGM_RSRC3_GFX90A:TG_SPLIT: 0
	.section	.text._ZN7rocprim17ROCPRIM_400000_NS6detail17trampoline_kernelINS0_14default_configENS1_35radix_sort_onesweep_config_selectorIiNS0_10empty_typeEEEZNS1_34radix_sort_onesweep_global_offsetsIS3_Lb0EN6thrust23THRUST_200600_302600_NS6detail15normal_iteratorINS9_10device_ptrIiEEEEPS5_jNS0_19identity_decomposerEEE10hipError_tT1_T2_PT3_SK_jT4_jjP12ihipStream_tbEUlT_E_NS1_11comp_targetILNS1_3genE0ELNS1_11target_archE4294967295ELNS1_3gpuE0ELNS1_3repE0EEENS1_52radix_sort_onesweep_histogram_config_static_selectorELNS0_4arch9wavefront6targetE1EEEvSI_,"axG",@progbits,_ZN7rocprim17ROCPRIM_400000_NS6detail17trampoline_kernelINS0_14default_configENS1_35radix_sort_onesweep_config_selectorIiNS0_10empty_typeEEEZNS1_34radix_sort_onesweep_global_offsetsIS3_Lb0EN6thrust23THRUST_200600_302600_NS6detail15normal_iteratorINS9_10device_ptrIiEEEEPS5_jNS0_19identity_decomposerEEE10hipError_tT1_T2_PT3_SK_jT4_jjP12ihipStream_tbEUlT_E_NS1_11comp_targetILNS1_3genE0ELNS1_11target_archE4294967295ELNS1_3gpuE0ELNS1_3repE0EEENS1_52radix_sort_onesweep_histogram_config_static_selectorELNS0_4arch9wavefront6targetE1EEEvSI_,comdat
	.protected	_ZN7rocprim17ROCPRIM_400000_NS6detail17trampoline_kernelINS0_14default_configENS1_35radix_sort_onesweep_config_selectorIiNS0_10empty_typeEEEZNS1_34radix_sort_onesweep_global_offsetsIS3_Lb0EN6thrust23THRUST_200600_302600_NS6detail15normal_iteratorINS9_10device_ptrIiEEEEPS5_jNS0_19identity_decomposerEEE10hipError_tT1_T2_PT3_SK_jT4_jjP12ihipStream_tbEUlT_E_NS1_11comp_targetILNS1_3genE0ELNS1_11target_archE4294967295ELNS1_3gpuE0ELNS1_3repE0EEENS1_52radix_sort_onesweep_histogram_config_static_selectorELNS0_4arch9wavefront6targetE1EEEvSI_ ; -- Begin function _ZN7rocprim17ROCPRIM_400000_NS6detail17trampoline_kernelINS0_14default_configENS1_35radix_sort_onesweep_config_selectorIiNS0_10empty_typeEEEZNS1_34radix_sort_onesweep_global_offsetsIS3_Lb0EN6thrust23THRUST_200600_302600_NS6detail15normal_iteratorINS9_10device_ptrIiEEEEPS5_jNS0_19identity_decomposerEEE10hipError_tT1_T2_PT3_SK_jT4_jjP12ihipStream_tbEUlT_E_NS1_11comp_targetILNS1_3genE0ELNS1_11target_archE4294967295ELNS1_3gpuE0ELNS1_3repE0EEENS1_52radix_sort_onesweep_histogram_config_static_selectorELNS0_4arch9wavefront6targetE1EEEvSI_
	.globl	_ZN7rocprim17ROCPRIM_400000_NS6detail17trampoline_kernelINS0_14default_configENS1_35radix_sort_onesweep_config_selectorIiNS0_10empty_typeEEEZNS1_34radix_sort_onesweep_global_offsetsIS3_Lb0EN6thrust23THRUST_200600_302600_NS6detail15normal_iteratorINS9_10device_ptrIiEEEEPS5_jNS0_19identity_decomposerEEE10hipError_tT1_T2_PT3_SK_jT4_jjP12ihipStream_tbEUlT_E_NS1_11comp_targetILNS1_3genE0ELNS1_11target_archE4294967295ELNS1_3gpuE0ELNS1_3repE0EEENS1_52radix_sort_onesweep_histogram_config_static_selectorELNS0_4arch9wavefront6targetE1EEEvSI_
	.p2align	8
	.type	_ZN7rocprim17ROCPRIM_400000_NS6detail17trampoline_kernelINS0_14default_configENS1_35radix_sort_onesweep_config_selectorIiNS0_10empty_typeEEEZNS1_34radix_sort_onesweep_global_offsetsIS3_Lb0EN6thrust23THRUST_200600_302600_NS6detail15normal_iteratorINS9_10device_ptrIiEEEEPS5_jNS0_19identity_decomposerEEE10hipError_tT1_T2_PT3_SK_jT4_jjP12ihipStream_tbEUlT_E_NS1_11comp_targetILNS1_3genE0ELNS1_11target_archE4294967295ELNS1_3gpuE0ELNS1_3repE0EEENS1_52radix_sort_onesweep_histogram_config_static_selectorELNS0_4arch9wavefront6targetE1EEEvSI_,@function
_ZN7rocprim17ROCPRIM_400000_NS6detail17trampoline_kernelINS0_14default_configENS1_35radix_sort_onesweep_config_selectorIiNS0_10empty_typeEEEZNS1_34radix_sort_onesweep_global_offsetsIS3_Lb0EN6thrust23THRUST_200600_302600_NS6detail15normal_iteratorINS9_10device_ptrIiEEEEPS5_jNS0_19identity_decomposerEEE10hipError_tT1_T2_PT3_SK_jT4_jjP12ihipStream_tbEUlT_E_NS1_11comp_targetILNS1_3genE0ELNS1_11target_archE4294967295ELNS1_3gpuE0ELNS1_3repE0EEENS1_52radix_sort_onesweep_histogram_config_static_selectorELNS0_4arch9wavefront6targetE1EEEvSI_: ; @_ZN7rocprim17ROCPRIM_400000_NS6detail17trampoline_kernelINS0_14default_configENS1_35radix_sort_onesweep_config_selectorIiNS0_10empty_typeEEEZNS1_34radix_sort_onesweep_global_offsetsIS3_Lb0EN6thrust23THRUST_200600_302600_NS6detail15normal_iteratorINS9_10device_ptrIiEEEEPS5_jNS0_19identity_decomposerEEE10hipError_tT1_T2_PT3_SK_jT4_jjP12ihipStream_tbEUlT_E_NS1_11comp_targetILNS1_3genE0ELNS1_11target_archE4294967295ELNS1_3gpuE0ELNS1_3repE0EEENS1_52radix_sort_onesweep_histogram_config_static_selectorELNS0_4arch9wavefront6targetE1EEEvSI_
; %bb.0:
	.section	.rodata,"a",@progbits
	.p2align	6, 0x0
	.amdhsa_kernel _ZN7rocprim17ROCPRIM_400000_NS6detail17trampoline_kernelINS0_14default_configENS1_35radix_sort_onesweep_config_selectorIiNS0_10empty_typeEEEZNS1_34radix_sort_onesweep_global_offsetsIS3_Lb0EN6thrust23THRUST_200600_302600_NS6detail15normal_iteratorINS9_10device_ptrIiEEEEPS5_jNS0_19identity_decomposerEEE10hipError_tT1_T2_PT3_SK_jT4_jjP12ihipStream_tbEUlT_E_NS1_11comp_targetILNS1_3genE0ELNS1_11target_archE4294967295ELNS1_3gpuE0ELNS1_3repE0EEENS1_52radix_sort_onesweep_histogram_config_static_selectorELNS0_4arch9wavefront6targetE1EEEvSI_
		.amdhsa_group_segment_fixed_size 0
		.amdhsa_private_segment_fixed_size 0
		.amdhsa_kernarg_size 40
		.amdhsa_user_sgpr_count 2
		.amdhsa_user_sgpr_dispatch_ptr 0
		.amdhsa_user_sgpr_queue_ptr 0
		.amdhsa_user_sgpr_kernarg_segment_ptr 1
		.amdhsa_user_sgpr_dispatch_id 0
		.amdhsa_user_sgpr_kernarg_preload_length 0
		.amdhsa_user_sgpr_kernarg_preload_offset 0
		.amdhsa_user_sgpr_private_segment_size 0
		.amdhsa_uses_dynamic_stack 0
		.amdhsa_enable_private_segment 0
		.amdhsa_system_sgpr_workgroup_id_x 1
		.amdhsa_system_sgpr_workgroup_id_y 0
		.amdhsa_system_sgpr_workgroup_id_z 0
		.amdhsa_system_sgpr_workgroup_info 0
		.amdhsa_system_vgpr_workitem_id 0
		.amdhsa_next_free_vgpr 1
		.amdhsa_next_free_sgpr 0
		.amdhsa_accum_offset 4
		.amdhsa_reserve_vcc 0
		.amdhsa_float_round_mode_32 0
		.amdhsa_float_round_mode_16_64 0
		.amdhsa_float_denorm_mode_32 3
		.amdhsa_float_denorm_mode_16_64 3
		.amdhsa_dx10_clamp 1
		.amdhsa_ieee_mode 1
		.amdhsa_fp16_overflow 0
		.amdhsa_tg_split 0
		.amdhsa_exception_fp_ieee_invalid_op 0
		.amdhsa_exception_fp_denorm_src 0
		.amdhsa_exception_fp_ieee_div_zero 0
		.amdhsa_exception_fp_ieee_overflow 0
		.amdhsa_exception_fp_ieee_underflow 0
		.amdhsa_exception_fp_ieee_inexact 0
		.amdhsa_exception_int_div_zero 0
	.end_amdhsa_kernel
	.section	.text._ZN7rocprim17ROCPRIM_400000_NS6detail17trampoline_kernelINS0_14default_configENS1_35radix_sort_onesweep_config_selectorIiNS0_10empty_typeEEEZNS1_34radix_sort_onesweep_global_offsetsIS3_Lb0EN6thrust23THRUST_200600_302600_NS6detail15normal_iteratorINS9_10device_ptrIiEEEEPS5_jNS0_19identity_decomposerEEE10hipError_tT1_T2_PT3_SK_jT4_jjP12ihipStream_tbEUlT_E_NS1_11comp_targetILNS1_3genE0ELNS1_11target_archE4294967295ELNS1_3gpuE0ELNS1_3repE0EEENS1_52radix_sort_onesweep_histogram_config_static_selectorELNS0_4arch9wavefront6targetE1EEEvSI_,"axG",@progbits,_ZN7rocprim17ROCPRIM_400000_NS6detail17trampoline_kernelINS0_14default_configENS1_35radix_sort_onesweep_config_selectorIiNS0_10empty_typeEEEZNS1_34radix_sort_onesweep_global_offsetsIS3_Lb0EN6thrust23THRUST_200600_302600_NS6detail15normal_iteratorINS9_10device_ptrIiEEEEPS5_jNS0_19identity_decomposerEEE10hipError_tT1_T2_PT3_SK_jT4_jjP12ihipStream_tbEUlT_E_NS1_11comp_targetILNS1_3genE0ELNS1_11target_archE4294967295ELNS1_3gpuE0ELNS1_3repE0EEENS1_52radix_sort_onesweep_histogram_config_static_selectorELNS0_4arch9wavefront6targetE1EEEvSI_,comdat
.Lfunc_end1719:
	.size	_ZN7rocprim17ROCPRIM_400000_NS6detail17trampoline_kernelINS0_14default_configENS1_35radix_sort_onesweep_config_selectorIiNS0_10empty_typeEEEZNS1_34radix_sort_onesweep_global_offsetsIS3_Lb0EN6thrust23THRUST_200600_302600_NS6detail15normal_iteratorINS9_10device_ptrIiEEEEPS5_jNS0_19identity_decomposerEEE10hipError_tT1_T2_PT3_SK_jT4_jjP12ihipStream_tbEUlT_E_NS1_11comp_targetILNS1_3genE0ELNS1_11target_archE4294967295ELNS1_3gpuE0ELNS1_3repE0EEENS1_52radix_sort_onesweep_histogram_config_static_selectorELNS0_4arch9wavefront6targetE1EEEvSI_, .Lfunc_end1719-_ZN7rocprim17ROCPRIM_400000_NS6detail17trampoline_kernelINS0_14default_configENS1_35radix_sort_onesweep_config_selectorIiNS0_10empty_typeEEEZNS1_34radix_sort_onesweep_global_offsetsIS3_Lb0EN6thrust23THRUST_200600_302600_NS6detail15normal_iteratorINS9_10device_ptrIiEEEEPS5_jNS0_19identity_decomposerEEE10hipError_tT1_T2_PT3_SK_jT4_jjP12ihipStream_tbEUlT_E_NS1_11comp_targetILNS1_3genE0ELNS1_11target_archE4294967295ELNS1_3gpuE0ELNS1_3repE0EEENS1_52radix_sort_onesweep_histogram_config_static_selectorELNS0_4arch9wavefront6targetE1EEEvSI_
                                        ; -- End function
	.section	.AMDGPU.csdata,"",@progbits
; Kernel info:
; codeLenInByte = 0
; NumSgprs: 6
; NumVgprs: 0
; NumAgprs: 0
; TotalNumVgprs: 0
; ScratchSize: 0
; MemoryBound: 0
; FloatMode: 240
; IeeeMode: 1
; LDSByteSize: 0 bytes/workgroup (compile time only)
; SGPRBlocks: 0
; VGPRBlocks: 0
; NumSGPRsForWavesPerEU: 6
; NumVGPRsForWavesPerEU: 1
; AccumOffset: 4
; Occupancy: 8
; WaveLimiterHint : 0
; COMPUTE_PGM_RSRC2:SCRATCH_EN: 0
; COMPUTE_PGM_RSRC2:USER_SGPR: 2
; COMPUTE_PGM_RSRC2:TRAP_HANDLER: 0
; COMPUTE_PGM_RSRC2:TGID_X_EN: 1
; COMPUTE_PGM_RSRC2:TGID_Y_EN: 0
; COMPUTE_PGM_RSRC2:TGID_Z_EN: 0
; COMPUTE_PGM_RSRC2:TIDIG_COMP_CNT: 0
; COMPUTE_PGM_RSRC3_GFX90A:ACCUM_OFFSET: 0
; COMPUTE_PGM_RSRC3_GFX90A:TG_SPLIT: 0
	.section	.text._ZN7rocprim17ROCPRIM_400000_NS6detail17trampoline_kernelINS0_14default_configENS1_35radix_sort_onesweep_config_selectorIiNS0_10empty_typeEEEZNS1_34radix_sort_onesweep_global_offsetsIS3_Lb0EN6thrust23THRUST_200600_302600_NS6detail15normal_iteratorINS9_10device_ptrIiEEEEPS5_jNS0_19identity_decomposerEEE10hipError_tT1_T2_PT3_SK_jT4_jjP12ihipStream_tbEUlT_E_NS1_11comp_targetILNS1_3genE6ELNS1_11target_archE950ELNS1_3gpuE13ELNS1_3repE0EEENS1_52radix_sort_onesweep_histogram_config_static_selectorELNS0_4arch9wavefront6targetE1EEEvSI_,"axG",@progbits,_ZN7rocprim17ROCPRIM_400000_NS6detail17trampoline_kernelINS0_14default_configENS1_35radix_sort_onesweep_config_selectorIiNS0_10empty_typeEEEZNS1_34radix_sort_onesweep_global_offsetsIS3_Lb0EN6thrust23THRUST_200600_302600_NS6detail15normal_iteratorINS9_10device_ptrIiEEEEPS5_jNS0_19identity_decomposerEEE10hipError_tT1_T2_PT3_SK_jT4_jjP12ihipStream_tbEUlT_E_NS1_11comp_targetILNS1_3genE6ELNS1_11target_archE950ELNS1_3gpuE13ELNS1_3repE0EEENS1_52radix_sort_onesweep_histogram_config_static_selectorELNS0_4arch9wavefront6targetE1EEEvSI_,comdat
	.protected	_ZN7rocprim17ROCPRIM_400000_NS6detail17trampoline_kernelINS0_14default_configENS1_35radix_sort_onesweep_config_selectorIiNS0_10empty_typeEEEZNS1_34radix_sort_onesweep_global_offsetsIS3_Lb0EN6thrust23THRUST_200600_302600_NS6detail15normal_iteratorINS9_10device_ptrIiEEEEPS5_jNS0_19identity_decomposerEEE10hipError_tT1_T2_PT3_SK_jT4_jjP12ihipStream_tbEUlT_E_NS1_11comp_targetILNS1_3genE6ELNS1_11target_archE950ELNS1_3gpuE13ELNS1_3repE0EEENS1_52radix_sort_onesweep_histogram_config_static_selectorELNS0_4arch9wavefront6targetE1EEEvSI_ ; -- Begin function _ZN7rocprim17ROCPRIM_400000_NS6detail17trampoline_kernelINS0_14default_configENS1_35radix_sort_onesweep_config_selectorIiNS0_10empty_typeEEEZNS1_34radix_sort_onesweep_global_offsetsIS3_Lb0EN6thrust23THRUST_200600_302600_NS6detail15normal_iteratorINS9_10device_ptrIiEEEEPS5_jNS0_19identity_decomposerEEE10hipError_tT1_T2_PT3_SK_jT4_jjP12ihipStream_tbEUlT_E_NS1_11comp_targetILNS1_3genE6ELNS1_11target_archE950ELNS1_3gpuE13ELNS1_3repE0EEENS1_52radix_sort_onesweep_histogram_config_static_selectorELNS0_4arch9wavefront6targetE1EEEvSI_
	.globl	_ZN7rocprim17ROCPRIM_400000_NS6detail17trampoline_kernelINS0_14default_configENS1_35radix_sort_onesweep_config_selectorIiNS0_10empty_typeEEEZNS1_34radix_sort_onesweep_global_offsetsIS3_Lb0EN6thrust23THRUST_200600_302600_NS6detail15normal_iteratorINS9_10device_ptrIiEEEEPS5_jNS0_19identity_decomposerEEE10hipError_tT1_T2_PT3_SK_jT4_jjP12ihipStream_tbEUlT_E_NS1_11comp_targetILNS1_3genE6ELNS1_11target_archE950ELNS1_3gpuE13ELNS1_3repE0EEENS1_52radix_sort_onesweep_histogram_config_static_selectorELNS0_4arch9wavefront6targetE1EEEvSI_
	.p2align	8
	.type	_ZN7rocprim17ROCPRIM_400000_NS6detail17trampoline_kernelINS0_14default_configENS1_35radix_sort_onesweep_config_selectorIiNS0_10empty_typeEEEZNS1_34radix_sort_onesweep_global_offsetsIS3_Lb0EN6thrust23THRUST_200600_302600_NS6detail15normal_iteratorINS9_10device_ptrIiEEEEPS5_jNS0_19identity_decomposerEEE10hipError_tT1_T2_PT3_SK_jT4_jjP12ihipStream_tbEUlT_E_NS1_11comp_targetILNS1_3genE6ELNS1_11target_archE950ELNS1_3gpuE13ELNS1_3repE0EEENS1_52radix_sort_onesweep_histogram_config_static_selectorELNS0_4arch9wavefront6targetE1EEEvSI_,@function
_ZN7rocprim17ROCPRIM_400000_NS6detail17trampoline_kernelINS0_14default_configENS1_35radix_sort_onesweep_config_selectorIiNS0_10empty_typeEEEZNS1_34radix_sort_onesweep_global_offsetsIS3_Lb0EN6thrust23THRUST_200600_302600_NS6detail15normal_iteratorINS9_10device_ptrIiEEEEPS5_jNS0_19identity_decomposerEEE10hipError_tT1_T2_PT3_SK_jT4_jjP12ihipStream_tbEUlT_E_NS1_11comp_targetILNS1_3genE6ELNS1_11target_archE950ELNS1_3gpuE13ELNS1_3repE0EEENS1_52radix_sort_onesweep_histogram_config_static_selectorELNS0_4arch9wavefront6targetE1EEEvSI_: ; @_ZN7rocprim17ROCPRIM_400000_NS6detail17trampoline_kernelINS0_14default_configENS1_35radix_sort_onesweep_config_selectorIiNS0_10empty_typeEEEZNS1_34radix_sort_onesweep_global_offsetsIS3_Lb0EN6thrust23THRUST_200600_302600_NS6detail15normal_iteratorINS9_10device_ptrIiEEEEPS5_jNS0_19identity_decomposerEEE10hipError_tT1_T2_PT3_SK_jT4_jjP12ihipStream_tbEUlT_E_NS1_11comp_targetILNS1_3genE6ELNS1_11target_archE950ELNS1_3gpuE13ELNS1_3repE0EEENS1_52radix_sort_onesweep_histogram_config_static_selectorELNS0_4arch9wavefront6targetE1EEEvSI_
; %bb.0:
	.section	.rodata,"a",@progbits
	.p2align	6, 0x0
	.amdhsa_kernel _ZN7rocprim17ROCPRIM_400000_NS6detail17trampoline_kernelINS0_14default_configENS1_35radix_sort_onesweep_config_selectorIiNS0_10empty_typeEEEZNS1_34radix_sort_onesweep_global_offsetsIS3_Lb0EN6thrust23THRUST_200600_302600_NS6detail15normal_iteratorINS9_10device_ptrIiEEEEPS5_jNS0_19identity_decomposerEEE10hipError_tT1_T2_PT3_SK_jT4_jjP12ihipStream_tbEUlT_E_NS1_11comp_targetILNS1_3genE6ELNS1_11target_archE950ELNS1_3gpuE13ELNS1_3repE0EEENS1_52radix_sort_onesweep_histogram_config_static_selectorELNS0_4arch9wavefront6targetE1EEEvSI_
		.amdhsa_group_segment_fixed_size 0
		.amdhsa_private_segment_fixed_size 0
		.amdhsa_kernarg_size 40
		.amdhsa_user_sgpr_count 2
		.amdhsa_user_sgpr_dispatch_ptr 0
		.amdhsa_user_sgpr_queue_ptr 0
		.amdhsa_user_sgpr_kernarg_segment_ptr 1
		.amdhsa_user_sgpr_dispatch_id 0
		.amdhsa_user_sgpr_kernarg_preload_length 0
		.amdhsa_user_sgpr_kernarg_preload_offset 0
		.amdhsa_user_sgpr_private_segment_size 0
		.amdhsa_uses_dynamic_stack 0
		.amdhsa_enable_private_segment 0
		.amdhsa_system_sgpr_workgroup_id_x 1
		.amdhsa_system_sgpr_workgroup_id_y 0
		.amdhsa_system_sgpr_workgroup_id_z 0
		.amdhsa_system_sgpr_workgroup_info 0
		.amdhsa_system_vgpr_workitem_id 0
		.amdhsa_next_free_vgpr 1
		.amdhsa_next_free_sgpr 0
		.amdhsa_accum_offset 4
		.amdhsa_reserve_vcc 0
		.amdhsa_float_round_mode_32 0
		.amdhsa_float_round_mode_16_64 0
		.amdhsa_float_denorm_mode_32 3
		.amdhsa_float_denorm_mode_16_64 3
		.amdhsa_dx10_clamp 1
		.amdhsa_ieee_mode 1
		.amdhsa_fp16_overflow 0
		.amdhsa_tg_split 0
		.amdhsa_exception_fp_ieee_invalid_op 0
		.amdhsa_exception_fp_denorm_src 0
		.amdhsa_exception_fp_ieee_div_zero 0
		.amdhsa_exception_fp_ieee_overflow 0
		.amdhsa_exception_fp_ieee_underflow 0
		.amdhsa_exception_fp_ieee_inexact 0
		.amdhsa_exception_int_div_zero 0
	.end_amdhsa_kernel
	.section	.text._ZN7rocprim17ROCPRIM_400000_NS6detail17trampoline_kernelINS0_14default_configENS1_35radix_sort_onesweep_config_selectorIiNS0_10empty_typeEEEZNS1_34radix_sort_onesweep_global_offsetsIS3_Lb0EN6thrust23THRUST_200600_302600_NS6detail15normal_iteratorINS9_10device_ptrIiEEEEPS5_jNS0_19identity_decomposerEEE10hipError_tT1_T2_PT3_SK_jT4_jjP12ihipStream_tbEUlT_E_NS1_11comp_targetILNS1_3genE6ELNS1_11target_archE950ELNS1_3gpuE13ELNS1_3repE0EEENS1_52radix_sort_onesweep_histogram_config_static_selectorELNS0_4arch9wavefront6targetE1EEEvSI_,"axG",@progbits,_ZN7rocprim17ROCPRIM_400000_NS6detail17trampoline_kernelINS0_14default_configENS1_35radix_sort_onesweep_config_selectorIiNS0_10empty_typeEEEZNS1_34radix_sort_onesweep_global_offsetsIS3_Lb0EN6thrust23THRUST_200600_302600_NS6detail15normal_iteratorINS9_10device_ptrIiEEEEPS5_jNS0_19identity_decomposerEEE10hipError_tT1_T2_PT3_SK_jT4_jjP12ihipStream_tbEUlT_E_NS1_11comp_targetILNS1_3genE6ELNS1_11target_archE950ELNS1_3gpuE13ELNS1_3repE0EEENS1_52radix_sort_onesweep_histogram_config_static_selectorELNS0_4arch9wavefront6targetE1EEEvSI_,comdat
.Lfunc_end1720:
	.size	_ZN7rocprim17ROCPRIM_400000_NS6detail17trampoline_kernelINS0_14default_configENS1_35radix_sort_onesweep_config_selectorIiNS0_10empty_typeEEEZNS1_34radix_sort_onesweep_global_offsetsIS3_Lb0EN6thrust23THRUST_200600_302600_NS6detail15normal_iteratorINS9_10device_ptrIiEEEEPS5_jNS0_19identity_decomposerEEE10hipError_tT1_T2_PT3_SK_jT4_jjP12ihipStream_tbEUlT_E_NS1_11comp_targetILNS1_3genE6ELNS1_11target_archE950ELNS1_3gpuE13ELNS1_3repE0EEENS1_52radix_sort_onesweep_histogram_config_static_selectorELNS0_4arch9wavefront6targetE1EEEvSI_, .Lfunc_end1720-_ZN7rocprim17ROCPRIM_400000_NS6detail17trampoline_kernelINS0_14default_configENS1_35radix_sort_onesweep_config_selectorIiNS0_10empty_typeEEEZNS1_34radix_sort_onesweep_global_offsetsIS3_Lb0EN6thrust23THRUST_200600_302600_NS6detail15normal_iteratorINS9_10device_ptrIiEEEEPS5_jNS0_19identity_decomposerEEE10hipError_tT1_T2_PT3_SK_jT4_jjP12ihipStream_tbEUlT_E_NS1_11comp_targetILNS1_3genE6ELNS1_11target_archE950ELNS1_3gpuE13ELNS1_3repE0EEENS1_52radix_sort_onesweep_histogram_config_static_selectorELNS0_4arch9wavefront6targetE1EEEvSI_
                                        ; -- End function
	.section	.AMDGPU.csdata,"",@progbits
; Kernel info:
; codeLenInByte = 0
; NumSgprs: 6
; NumVgprs: 0
; NumAgprs: 0
; TotalNumVgprs: 0
; ScratchSize: 0
; MemoryBound: 0
; FloatMode: 240
; IeeeMode: 1
; LDSByteSize: 0 bytes/workgroup (compile time only)
; SGPRBlocks: 0
; VGPRBlocks: 0
; NumSGPRsForWavesPerEU: 6
; NumVGPRsForWavesPerEU: 1
; AccumOffset: 4
; Occupancy: 8
; WaveLimiterHint : 0
; COMPUTE_PGM_RSRC2:SCRATCH_EN: 0
; COMPUTE_PGM_RSRC2:USER_SGPR: 2
; COMPUTE_PGM_RSRC2:TRAP_HANDLER: 0
; COMPUTE_PGM_RSRC2:TGID_X_EN: 1
; COMPUTE_PGM_RSRC2:TGID_Y_EN: 0
; COMPUTE_PGM_RSRC2:TGID_Z_EN: 0
; COMPUTE_PGM_RSRC2:TIDIG_COMP_CNT: 0
; COMPUTE_PGM_RSRC3_GFX90A:ACCUM_OFFSET: 0
; COMPUTE_PGM_RSRC3_GFX90A:TG_SPLIT: 0
	.section	.text._ZN7rocprim17ROCPRIM_400000_NS6detail17trampoline_kernelINS0_14default_configENS1_35radix_sort_onesweep_config_selectorIiNS0_10empty_typeEEEZNS1_34radix_sort_onesweep_global_offsetsIS3_Lb0EN6thrust23THRUST_200600_302600_NS6detail15normal_iteratorINS9_10device_ptrIiEEEEPS5_jNS0_19identity_decomposerEEE10hipError_tT1_T2_PT3_SK_jT4_jjP12ihipStream_tbEUlT_E_NS1_11comp_targetILNS1_3genE5ELNS1_11target_archE942ELNS1_3gpuE9ELNS1_3repE0EEENS1_52radix_sort_onesweep_histogram_config_static_selectorELNS0_4arch9wavefront6targetE1EEEvSI_,"axG",@progbits,_ZN7rocprim17ROCPRIM_400000_NS6detail17trampoline_kernelINS0_14default_configENS1_35radix_sort_onesweep_config_selectorIiNS0_10empty_typeEEEZNS1_34radix_sort_onesweep_global_offsetsIS3_Lb0EN6thrust23THRUST_200600_302600_NS6detail15normal_iteratorINS9_10device_ptrIiEEEEPS5_jNS0_19identity_decomposerEEE10hipError_tT1_T2_PT3_SK_jT4_jjP12ihipStream_tbEUlT_E_NS1_11comp_targetILNS1_3genE5ELNS1_11target_archE942ELNS1_3gpuE9ELNS1_3repE0EEENS1_52radix_sort_onesweep_histogram_config_static_selectorELNS0_4arch9wavefront6targetE1EEEvSI_,comdat
	.protected	_ZN7rocprim17ROCPRIM_400000_NS6detail17trampoline_kernelINS0_14default_configENS1_35radix_sort_onesweep_config_selectorIiNS0_10empty_typeEEEZNS1_34radix_sort_onesweep_global_offsetsIS3_Lb0EN6thrust23THRUST_200600_302600_NS6detail15normal_iteratorINS9_10device_ptrIiEEEEPS5_jNS0_19identity_decomposerEEE10hipError_tT1_T2_PT3_SK_jT4_jjP12ihipStream_tbEUlT_E_NS1_11comp_targetILNS1_3genE5ELNS1_11target_archE942ELNS1_3gpuE9ELNS1_3repE0EEENS1_52radix_sort_onesweep_histogram_config_static_selectorELNS0_4arch9wavefront6targetE1EEEvSI_ ; -- Begin function _ZN7rocprim17ROCPRIM_400000_NS6detail17trampoline_kernelINS0_14default_configENS1_35radix_sort_onesweep_config_selectorIiNS0_10empty_typeEEEZNS1_34radix_sort_onesweep_global_offsetsIS3_Lb0EN6thrust23THRUST_200600_302600_NS6detail15normal_iteratorINS9_10device_ptrIiEEEEPS5_jNS0_19identity_decomposerEEE10hipError_tT1_T2_PT3_SK_jT4_jjP12ihipStream_tbEUlT_E_NS1_11comp_targetILNS1_3genE5ELNS1_11target_archE942ELNS1_3gpuE9ELNS1_3repE0EEENS1_52radix_sort_onesweep_histogram_config_static_selectorELNS0_4arch9wavefront6targetE1EEEvSI_
	.globl	_ZN7rocprim17ROCPRIM_400000_NS6detail17trampoline_kernelINS0_14default_configENS1_35radix_sort_onesweep_config_selectorIiNS0_10empty_typeEEEZNS1_34radix_sort_onesweep_global_offsetsIS3_Lb0EN6thrust23THRUST_200600_302600_NS6detail15normal_iteratorINS9_10device_ptrIiEEEEPS5_jNS0_19identity_decomposerEEE10hipError_tT1_T2_PT3_SK_jT4_jjP12ihipStream_tbEUlT_E_NS1_11comp_targetILNS1_3genE5ELNS1_11target_archE942ELNS1_3gpuE9ELNS1_3repE0EEENS1_52radix_sort_onesweep_histogram_config_static_selectorELNS0_4arch9wavefront6targetE1EEEvSI_
	.p2align	8
	.type	_ZN7rocprim17ROCPRIM_400000_NS6detail17trampoline_kernelINS0_14default_configENS1_35radix_sort_onesweep_config_selectorIiNS0_10empty_typeEEEZNS1_34radix_sort_onesweep_global_offsetsIS3_Lb0EN6thrust23THRUST_200600_302600_NS6detail15normal_iteratorINS9_10device_ptrIiEEEEPS5_jNS0_19identity_decomposerEEE10hipError_tT1_T2_PT3_SK_jT4_jjP12ihipStream_tbEUlT_E_NS1_11comp_targetILNS1_3genE5ELNS1_11target_archE942ELNS1_3gpuE9ELNS1_3repE0EEENS1_52radix_sort_onesweep_histogram_config_static_selectorELNS0_4arch9wavefront6targetE1EEEvSI_,@function
_ZN7rocprim17ROCPRIM_400000_NS6detail17trampoline_kernelINS0_14default_configENS1_35radix_sort_onesweep_config_selectorIiNS0_10empty_typeEEEZNS1_34radix_sort_onesweep_global_offsetsIS3_Lb0EN6thrust23THRUST_200600_302600_NS6detail15normal_iteratorINS9_10device_ptrIiEEEEPS5_jNS0_19identity_decomposerEEE10hipError_tT1_T2_PT3_SK_jT4_jjP12ihipStream_tbEUlT_E_NS1_11comp_targetILNS1_3genE5ELNS1_11target_archE942ELNS1_3gpuE9ELNS1_3repE0EEENS1_52radix_sort_onesweep_histogram_config_static_selectorELNS0_4arch9wavefront6targetE1EEEvSI_: ; @_ZN7rocprim17ROCPRIM_400000_NS6detail17trampoline_kernelINS0_14default_configENS1_35radix_sort_onesweep_config_selectorIiNS0_10empty_typeEEEZNS1_34radix_sort_onesweep_global_offsetsIS3_Lb0EN6thrust23THRUST_200600_302600_NS6detail15normal_iteratorINS9_10device_ptrIiEEEEPS5_jNS0_19identity_decomposerEEE10hipError_tT1_T2_PT3_SK_jT4_jjP12ihipStream_tbEUlT_E_NS1_11comp_targetILNS1_3genE5ELNS1_11target_archE942ELNS1_3gpuE9ELNS1_3repE0EEENS1_52radix_sort_onesweep_histogram_config_static_selectorELNS0_4arch9wavefront6targetE1EEEvSI_
; %bb.0:
	s_load_dword s11, s[0:1], 0x14
	s_load_dwordx4 s[4:7], s[0:1], 0x0
	s_load_dwordx2 s[8:9], s[0:1], 0x1c
	s_lshl_b32 s10, s2, 13
	s_waitcnt lgkmcnt(0)
	s_cmp_ge_u32 s2, s11
	s_mov_b64 s[2:3], -1
	s_cbranch_scc0 .LBB1721_159
; %bb.1:
	s_load_dword s2, s[0:1], 0x10
	s_lshl_b32 s3, s11, 13
	s_mov_b32 s11, 0
	s_lshl_b64 s[0:1], s[10:11], 2
                                        ; implicit-def: $vgpr2_vgpr3_vgpr4_vgpr5_vgpr6_vgpr7_vgpr8_vgpr9
	s_waitcnt lgkmcnt(0)
	s_sub_i32 s11, s2, s3
	s_add_u32 s0, s4, s0
	s_addc_u32 s1, s5, s1
	v_cmp_gt_u32_e32 vcc, s11, v0
	s_and_saveexec_b64 s[2:3], vcc
	s_cbranch_execz .LBB1721_3
; %bb.2:
	v_lshlrev_b32_e32 v1, 2, v0
	global_load_dword v2, v1, s[0:1]
.LBB1721_3:
	s_or_b64 exec, exec, s[2:3]
	v_or_b32_e32 v16, 0x400, v0
	v_cmp_gt_u32_e32 vcc, s11, v16
	s_and_saveexec_b64 s[2:3], vcc
	s_cbranch_execz .LBB1721_5
; %bb.4:
	v_lshlrev_b32_e32 v1, 2, v16
	global_load_dword v3, v1, s[0:1]
.LBB1721_5:
	s_or_b64 exec, exec, s[2:3]
	v_or_b32_e32 v15, 0x800, v0
	;; [unrolled: 9-line block ×7, first 2 shown]
	v_cmp_gt_u32_e32 vcc, s11, v10
	s_and_saveexec_b64 s[2:3], vcc
	s_cbranch_execz .LBB1721_17
; %bb.16:
	v_lshlrev_b32_e32 v1, 2, v10
	global_load_dword v9, v1, s[0:1]
.LBB1721_17:
	s_or_b64 exec, exec, s[2:3]
	s_cmp_le_u32 s9, s8
	s_cselect_b64 s[2:3], -1, 0
	v_cmp_le_u32_e32 vcc, s11, v0
	s_and_b64 s[0:1], s[2:3], exec
	v_lshlrev_b32_e32 v17, 2, v0
	v_mov_b32_e32 v18, 0
	s_cselect_b32 s18, 8, 10
	s_or_b64 s[0:1], s[2:3], vcc
	v_and_b32_e32 v1, 3, v0
	ds_write2st64_b32 v17, v18, v18 offset1:16
	ds_write2st64_b32 v17, v18, v18 offset0:32 offset1:48
	s_waitcnt vmcnt(0)
	v_xor_b32_e32 v2, 0x80000000, v2
	s_xor_b64 s[12:13], s[0:1], -1
	v_mov_b32_e32 v17, s18
	s_waitcnt lgkmcnt(0)
	s_barrier
	s_and_saveexec_b64 s[0:1], s[12:13]
	s_cbranch_execz .LBB1721_19
; %bb.18:
	s_sub_i32 s12, s9, s8
	s_min_u32 s12, s12, 8
	v_lshrrev_b32_e32 v17, s8, v2
	v_bfe_u32 v17, v17, 0, s12
	v_lshlrev_b32_e32 v18, 2, v1
	v_lshl_or_b32 v17, v17, 4, v18
	v_mov_b32_e32 v18, 1
	ds_add_u32 v17, v18
	v_mov_b32_e32 v17, 0
.LBB1721_19:
	s_or_b64 exec, exec, s[0:1]
	v_cmp_gt_i32_e64 s[0:1], 10, v17
	s_mov_b64 s[14:15], -1
	s_and_saveexec_b64 s[12:13], s[0:1]
; %bb.20:
	v_cmp_eq_u32_e64 s[0:1], 0, v17
	s_orn2_b64 s[14:15], s[0:1], exec
; %bb.21:
	s_or_b64 exec, exec, s[12:13]
	s_and_saveexec_b64 s[12:13], s[14:15]
	s_cbranch_execz .LBB1721_34
; %bb.22:
	s_add_i32 s14, s8, 8
	s_cmp_le_u32 s9, s14
	s_cselect_b64 s[0:1], -1, 0
	s_and_b64 s[16:17], s[0:1], exec
	s_cselect_b32 s15, 8, 10
	s_or_b64 s[0:1], s[0:1], vcc
	s_xor_b64 s[16:17], s[0:1], -1
	v_mov_b32_e32 v17, s15
	s_and_saveexec_b64 s[0:1], s[16:17]
	s_cbranch_execz .LBB1721_24
; %bb.23:
	s_sub_i32 s15, s9, s14
	s_min_u32 s15, s15, 8
	v_lshrrev_b32_e32 v17, s14, v2
	v_bfe_u32 v17, v17, 0, s15
	v_lshlrev_b32_e32 v18, 2, v1
	v_lshl_or_b32 v17, v17, 4, v18
	v_mov_b32_e32 v18, 1
	ds_add_u32 v17, v18 offset:4096
	v_mov_b32_e32 v17, 0
.LBB1721_24:
	s_or_b64 exec, exec, s[0:1]
	v_cmp_gt_i32_e64 s[0:1], 10, v17
	s_mov_b64 s[14:15], -1
	s_and_saveexec_b64 s[16:17], s[0:1]
; %bb.25:
	v_cmp_eq_u32_e64 s[0:1], 0, v17
	s_orn2_b64 s[14:15], s[0:1], exec
; %bb.26:
	s_or_b64 exec, exec, s[16:17]
	s_and_b64 exec, exec, s[14:15]
	s_cbranch_execz .LBB1721_34
; %bb.27:
	s_add_i32 s14, s8, 16
	s_cmp_le_u32 s9, s14
	s_cselect_b64 s[0:1], -1, 0
	s_and_b64 s[16:17], s[0:1], exec
	s_cselect_b32 s15, 8, 10
	s_or_b64 s[0:1], s[0:1], vcc
	s_xor_b64 s[16:17], s[0:1], -1
	v_mov_b32_e32 v17, s15
	s_and_saveexec_b64 s[0:1], s[16:17]
	s_cbranch_execz .LBB1721_29
; %bb.28:
	s_sub_i32 s15, s9, s14
	s_min_u32 s15, s15, 8
	v_lshrrev_b32_e32 v17, s14, v2
	v_bfe_u32 v17, v17, 0, s15
	v_lshlrev_b32_e32 v18, 2, v1
	v_lshl_or_b32 v17, v17, 4, v18
	v_mov_b32_e32 v18, 1
	ds_add_u32 v17, v18 offset:8192
	v_mov_b32_e32 v17, 0
.LBB1721_29:
	s_or_b64 exec, exec, s[0:1]
	v_cmp_gt_i32_e64 s[0:1], 10, v17
	s_mov_b64 s[14:15], -1
	s_and_saveexec_b64 s[16:17], s[0:1]
; %bb.30:
	v_cmp_eq_u32_e64 s[0:1], 0, v17
	s_orn2_b64 s[14:15], s[0:1], exec
; %bb.31:
	s_or_b64 exec, exec, s[16:17]
	s_and_b64 exec, exec, s[14:15]
	s_cbranch_execz .LBB1721_34
; %bb.32:
	s_add_i32 s0, s8, 24
	s_cmp_gt_u32 s9, s0
	s_cselect_b64 s[14:15], -1, 0
	s_xor_b64 s[16:17], vcc, -1
	s_and_b64 s[14:15], s[14:15], s[16:17]
	s_and_b64 exec, exec, s[14:15]
	s_cbranch_execz .LBB1721_34
; %bb.33:
	s_sub_i32 s1, s9, s0
	s_min_u32 s1, s1, 8
	v_lshrrev_b32_e32 v2, s0, v2
	v_bfe_u32 v2, v2, 0, s1
	v_lshlrev_b32_e32 v17, 2, v1
	v_lshl_or_b32 v2, v2, 4, v17
	v_mov_b32_e32 v17, 1
	ds_add_u32 v2, v17 offset:12288
.LBB1721_34:
	s_or_b64 exec, exec, s[12:13]
	v_cmp_le_u32_e32 vcc, s11, v16
	s_or_b64 s[0:1], s[2:3], vcc
	v_xor_b32_e32 v2, 0x80000000, v3
	s_xor_b64 s[12:13], s[0:1], -1
	v_mov_b32_e32 v3, s18
	s_and_saveexec_b64 s[0:1], s[12:13]
	s_cbranch_execz .LBB1721_36
; %bb.35:
	s_sub_i32 s12, s9, s8
	s_min_u32 s12, s12, 8
	v_lshrrev_b32_e32 v3, s8, v2
	v_bfe_u32 v3, v3, 0, s12
	v_lshlrev_b32_e32 v16, 2, v1
	v_lshl_or_b32 v3, v3, 4, v16
	v_mov_b32_e32 v16, 1
	ds_add_u32 v3, v16
	v_mov_b32_e32 v3, 0
.LBB1721_36:
	s_or_b64 exec, exec, s[0:1]
	v_cmp_gt_i32_e64 s[0:1], 10, v3
	s_mov_b64 s[14:15], -1
	s_and_saveexec_b64 s[12:13], s[0:1]
; %bb.37:
	v_cmp_eq_u32_e64 s[0:1], 0, v3
	s_orn2_b64 s[14:15], s[0:1], exec
; %bb.38:
	s_or_b64 exec, exec, s[12:13]
	s_and_saveexec_b64 s[12:13], s[14:15]
	s_cbranch_execz .LBB1721_51
; %bb.39:
	s_add_i32 s14, s8, 8
	s_cmp_le_u32 s9, s14
	s_cselect_b64 s[0:1], -1, 0
	s_and_b64 s[16:17], s[0:1], exec
	s_cselect_b32 s15, 8, 10
	s_or_b64 s[0:1], s[0:1], vcc
	s_xor_b64 s[16:17], s[0:1], -1
	v_mov_b32_e32 v3, s15
	s_and_saveexec_b64 s[0:1], s[16:17]
	s_cbranch_execz .LBB1721_41
; %bb.40:
	s_sub_i32 s15, s9, s14
	s_min_u32 s15, s15, 8
	v_lshrrev_b32_e32 v3, s14, v2
	v_bfe_u32 v3, v3, 0, s15
	v_lshlrev_b32_e32 v16, 2, v1
	v_lshl_or_b32 v3, v3, 4, v16
	v_mov_b32_e32 v16, 1
	ds_add_u32 v3, v16 offset:4096
	v_mov_b32_e32 v3, 0
.LBB1721_41:
	s_or_b64 exec, exec, s[0:1]
	v_cmp_gt_i32_e64 s[0:1], 10, v3
	s_mov_b64 s[14:15], -1
	s_and_saveexec_b64 s[16:17], s[0:1]
; %bb.42:
	v_cmp_eq_u32_e64 s[0:1], 0, v3
	s_orn2_b64 s[14:15], s[0:1], exec
; %bb.43:
	s_or_b64 exec, exec, s[16:17]
	s_and_b64 exec, exec, s[14:15]
	s_cbranch_execz .LBB1721_51
; %bb.44:
	s_add_i32 s14, s8, 16
	s_cmp_le_u32 s9, s14
	s_cselect_b64 s[0:1], -1, 0
	s_and_b64 s[16:17], s[0:1], exec
	s_cselect_b32 s15, 8, 10
	s_or_b64 s[0:1], s[0:1], vcc
	s_xor_b64 s[16:17], s[0:1], -1
	v_mov_b32_e32 v3, s15
	s_and_saveexec_b64 s[0:1], s[16:17]
	s_cbranch_execz .LBB1721_46
; %bb.45:
	s_sub_i32 s15, s9, s14
	s_min_u32 s15, s15, 8
	v_lshrrev_b32_e32 v3, s14, v2
	v_bfe_u32 v3, v3, 0, s15
	v_lshlrev_b32_e32 v16, 2, v1
	v_lshl_or_b32 v3, v3, 4, v16
	v_mov_b32_e32 v16, 1
	ds_add_u32 v3, v16 offset:8192
	v_mov_b32_e32 v3, 0
.LBB1721_46:
	s_or_b64 exec, exec, s[0:1]
	v_cmp_gt_i32_e64 s[0:1], 10, v3
	s_mov_b64 s[14:15], -1
	s_and_saveexec_b64 s[16:17], s[0:1]
; %bb.47:
	v_cmp_eq_u32_e64 s[0:1], 0, v3
	s_orn2_b64 s[14:15], s[0:1], exec
; %bb.48:
	s_or_b64 exec, exec, s[16:17]
	s_and_b64 exec, exec, s[14:15]
	s_cbranch_execz .LBB1721_51
; %bb.49:
	s_add_i32 s0, s8, 24
	s_cmp_gt_u32 s9, s0
	s_cselect_b64 s[14:15], -1, 0
	s_xor_b64 s[16:17], vcc, -1
	s_and_b64 s[14:15], s[14:15], s[16:17]
	s_and_b64 exec, exec, s[14:15]
	s_cbranch_execz .LBB1721_51
; %bb.50:
	s_sub_i32 s1, s9, s0
	s_min_u32 s1, s1, 8
	v_lshrrev_b32_e32 v2, s0, v2
	v_bfe_u32 v2, v2, 0, s1
	v_lshlrev_b32_e32 v3, 2, v1
	v_lshl_or_b32 v2, v2, 4, v3
	v_mov_b32_e32 v3, 1
	ds_add_u32 v2, v3 offset:12288
.LBB1721_51:
	s_or_b64 exec, exec, s[12:13]
	v_cmp_le_u32_e32 vcc, s11, v15
	s_or_b64 s[0:1], s[2:3], vcc
	v_xor_b32_e32 v2, 0x80000000, v4
	s_xor_b64 s[12:13], s[0:1], -1
	v_mov_b32_e32 v3, s18
	s_and_saveexec_b64 s[0:1], s[12:13]
	s_cbranch_execz .LBB1721_53
; %bb.52:
	s_sub_i32 s12, s9, s8
	s_min_u32 s12, s12, 8
	v_lshrrev_b32_e32 v3, s8, v2
	v_bfe_u32 v3, v3, 0, s12
	v_lshlrev_b32_e32 v4, 2, v1
	v_lshl_or_b32 v3, v3, 4, v4
	v_mov_b32_e32 v4, 1
	ds_add_u32 v3, v4
	v_mov_b32_e32 v3, 0
.LBB1721_53:
	s_or_b64 exec, exec, s[0:1]
	v_cmp_gt_i32_e64 s[0:1], 10, v3
	s_mov_b64 s[14:15], -1
	s_and_saveexec_b64 s[12:13], s[0:1]
; %bb.54:
	v_cmp_eq_u32_e64 s[0:1], 0, v3
	s_orn2_b64 s[14:15], s[0:1], exec
; %bb.55:
	s_or_b64 exec, exec, s[12:13]
	s_and_saveexec_b64 s[12:13], s[14:15]
	s_cbranch_execz .LBB1721_68
; %bb.56:
	s_add_i32 s14, s8, 8
	s_cmp_le_u32 s9, s14
	s_cselect_b64 s[0:1], -1, 0
	s_and_b64 s[16:17], s[0:1], exec
	s_cselect_b32 s15, 8, 10
	s_or_b64 s[0:1], s[0:1], vcc
	s_xor_b64 s[16:17], s[0:1], -1
	v_mov_b32_e32 v3, s15
	s_and_saveexec_b64 s[0:1], s[16:17]
	s_cbranch_execz .LBB1721_58
; %bb.57:
	s_sub_i32 s15, s9, s14
	s_min_u32 s15, s15, 8
	v_lshrrev_b32_e32 v3, s14, v2
	v_bfe_u32 v3, v3, 0, s15
	v_lshlrev_b32_e32 v4, 2, v1
	v_lshl_or_b32 v3, v3, 4, v4
	v_mov_b32_e32 v4, 1
	ds_add_u32 v3, v4 offset:4096
	v_mov_b32_e32 v3, 0
.LBB1721_58:
	s_or_b64 exec, exec, s[0:1]
	v_cmp_gt_i32_e64 s[0:1], 10, v3
	s_mov_b64 s[14:15], -1
	s_and_saveexec_b64 s[16:17], s[0:1]
; %bb.59:
	v_cmp_eq_u32_e64 s[0:1], 0, v3
	s_orn2_b64 s[14:15], s[0:1], exec
; %bb.60:
	s_or_b64 exec, exec, s[16:17]
	s_and_b64 exec, exec, s[14:15]
	s_cbranch_execz .LBB1721_68
; %bb.61:
	s_add_i32 s14, s8, 16
	s_cmp_le_u32 s9, s14
	s_cselect_b64 s[0:1], -1, 0
	s_and_b64 s[16:17], s[0:1], exec
	s_cselect_b32 s15, 8, 10
	s_or_b64 s[0:1], s[0:1], vcc
	s_xor_b64 s[16:17], s[0:1], -1
	v_mov_b32_e32 v3, s15
	s_and_saveexec_b64 s[0:1], s[16:17]
	s_cbranch_execz .LBB1721_63
; %bb.62:
	s_sub_i32 s15, s9, s14
	s_min_u32 s15, s15, 8
	v_lshrrev_b32_e32 v3, s14, v2
	v_bfe_u32 v3, v3, 0, s15
	v_lshlrev_b32_e32 v4, 2, v1
	v_lshl_or_b32 v3, v3, 4, v4
	v_mov_b32_e32 v4, 1
	ds_add_u32 v3, v4 offset:8192
	v_mov_b32_e32 v3, 0
.LBB1721_63:
	s_or_b64 exec, exec, s[0:1]
	v_cmp_gt_i32_e64 s[0:1], 10, v3
	s_mov_b64 s[14:15], -1
	s_and_saveexec_b64 s[16:17], s[0:1]
; %bb.64:
	v_cmp_eq_u32_e64 s[0:1], 0, v3
	s_orn2_b64 s[14:15], s[0:1], exec
; %bb.65:
	s_or_b64 exec, exec, s[16:17]
	s_and_b64 exec, exec, s[14:15]
	s_cbranch_execz .LBB1721_68
; %bb.66:
	s_add_i32 s0, s8, 24
	s_cmp_gt_u32 s9, s0
	s_cselect_b64 s[14:15], -1, 0
	s_xor_b64 s[16:17], vcc, -1
	s_and_b64 s[14:15], s[14:15], s[16:17]
	s_and_b64 exec, exec, s[14:15]
	s_cbranch_execz .LBB1721_68
; %bb.67:
	s_sub_i32 s1, s9, s0
	s_min_u32 s1, s1, 8
	v_lshrrev_b32_e32 v2, s0, v2
	v_bfe_u32 v2, v2, 0, s1
	v_lshlrev_b32_e32 v3, 2, v1
	v_lshl_or_b32 v2, v2, 4, v3
	v_mov_b32_e32 v3, 1
	ds_add_u32 v2, v3 offset:12288
.LBB1721_68:
	s_or_b64 exec, exec, s[12:13]
	v_cmp_le_u32_e32 vcc, s11, v14
	s_or_b64 s[0:1], s[2:3], vcc
	v_xor_b32_e32 v2, 0x80000000, v5
	s_xor_b64 s[12:13], s[0:1], -1
	v_mov_b32_e32 v3, s18
	s_and_saveexec_b64 s[0:1], s[12:13]
	s_cbranch_execz .LBB1721_70
; %bb.69:
	s_sub_i32 s12, s9, s8
	s_min_u32 s12, s12, 8
	v_lshrrev_b32_e32 v3, s8, v2
	v_bfe_u32 v3, v3, 0, s12
	v_lshlrev_b32_e32 v4, 2, v1
	v_lshl_or_b32 v3, v3, 4, v4
	v_mov_b32_e32 v4, 1
	ds_add_u32 v3, v4
	v_mov_b32_e32 v3, 0
.LBB1721_70:
	s_or_b64 exec, exec, s[0:1]
	v_cmp_gt_i32_e64 s[0:1], 10, v3
	s_mov_b64 s[14:15], -1
	s_and_saveexec_b64 s[12:13], s[0:1]
; %bb.71:
	v_cmp_eq_u32_e64 s[0:1], 0, v3
	s_orn2_b64 s[14:15], s[0:1], exec
; %bb.72:
	s_or_b64 exec, exec, s[12:13]
	s_and_saveexec_b64 s[12:13], s[14:15]
	s_cbranch_execz .LBB1721_85
; %bb.73:
	s_add_i32 s14, s8, 8
	s_cmp_le_u32 s9, s14
	s_cselect_b64 s[0:1], -1, 0
	s_and_b64 s[16:17], s[0:1], exec
	s_cselect_b32 s15, 8, 10
	s_or_b64 s[0:1], s[0:1], vcc
	s_xor_b64 s[16:17], s[0:1], -1
	v_mov_b32_e32 v3, s15
	s_and_saveexec_b64 s[0:1], s[16:17]
	s_cbranch_execz .LBB1721_75
; %bb.74:
	s_sub_i32 s15, s9, s14
	s_min_u32 s15, s15, 8
	v_lshrrev_b32_e32 v3, s14, v2
	v_bfe_u32 v3, v3, 0, s15
	v_lshlrev_b32_e32 v4, 2, v1
	v_lshl_or_b32 v3, v3, 4, v4
	v_mov_b32_e32 v4, 1
	ds_add_u32 v3, v4 offset:4096
	v_mov_b32_e32 v3, 0
.LBB1721_75:
	s_or_b64 exec, exec, s[0:1]
	v_cmp_gt_i32_e64 s[0:1], 10, v3
	s_mov_b64 s[14:15], -1
	s_and_saveexec_b64 s[16:17], s[0:1]
; %bb.76:
	v_cmp_eq_u32_e64 s[0:1], 0, v3
	s_orn2_b64 s[14:15], s[0:1], exec
; %bb.77:
	s_or_b64 exec, exec, s[16:17]
	s_and_b64 exec, exec, s[14:15]
	s_cbranch_execz .LBB1721_85
; %bb.78:
	s_add_i32 s14, s8, 16
	s_cmp_le_u32 s9, s14
	s_cselect_b64 s[0:1], -1, 0
	s_and_b64 s[16:17], s[0:1], exec
	s_cselect_b32 s15, 8, 10
	s_or_b64 s[0:1], s[0:1], vcc
	s_xor_b64 s[16:17], s[0:1], -1
	v_mov_b32_e32 v3, s15
	s_and_saveexec_b64 s[0:1], s[16:17]
	s_cbranch_execz .LBB1721_80
; %bb.79:
	s_sub_i32 s15, s9, s14
	s_min_u32 s15, s15, 8
	v_lshrrev_b32_e32 v3, s14, v2
	v_bfe_u32 v3, v3, 0, s15
	v_lshlrev_b32_e32 v4, 2, v1
	v_lshl_or_b32 v3, v3, 4, v4
	v_mov_b32_e32 v4, 1
	ds_add_u32 v3, v4 offset:8192
	v_mov_b32_e32 v3, 0
.LBB1721_80:
	s_or_b64 exec, exec, s[0:1]
	v_cmp_gt_i32_e64 s[0:1], 10, v3
	s_mov_b64 s[14:15], -1
	s_and_saveexec_b64 s[16:17], s[0:1]
; %bb.81:
	v_cmp_eq_u32_e64 s[0:1], 0, v3
	s_orn2_b64 s[14:15], s[0:1], exec
; %bb.82:
	s_or_b64 exec, exec, s[16:17]
	s_and_b64 exec, exec, s[14:15]
	s_cbranch_execz .LBB1721_85
; %bb.83:
	s_add_i32 s0, s8, 24
	s_cmp_gt_u32 s9, s0
	s_cselect_b64 s[14:15], -1, 0
	s_xor_b64 s[16:17], vcc, -1
	s_and_b64 s[14:15], s[14:15], s[16:17]
	s_and_b64 exec, exec, s[14:15]
	s_cbranch_execz .LBB1721_85
; %bb.84:
	s_sub_i32 s1, s9, s0
	s_min_u32 s1, s1, 8
	v_lshrrev_b32_e32 v2, s0, v2
	v_bfe_u32 v2, v2, 0, s1
	v_lshlrev_b32_e32 v3, 2, v1
	v_lshl_or_b32 v2, v2, 4, v3
	v_mov_b32_e32 v3, 1
	ds_add_u32 v2, v3 offset:12288
.LBB1721_85:
	s_or_b64 exec, exec, s[12:13]
	v_cmp_le_u32_e32 vcc, s11, v13
	s_or_b64 s[0:1], s[2:3], vcc
	v_xor_b32_e32 v2, 0x80000000, v6
	s_xor_b64 s[12:13], s[0:1], -1
	v_mov_b32_e32 v3, s18
	s_and_saveexec_b64 s[0:1], s[12:13]
	s_cbranch_execz .LBB1721_87
; %bb.86:
	s_sub_i32 s12, s9, s8
	s_min_u32 s12, s12, 8
	v_lshrrev_b32_e32 v3, s8, v2
	v_bfe_u32 v3, v3, 0, s12
	v_lshlrev_b32_e32 v4, 2, v1
	v_lshl_or_b32 v3, v3, 4, v4
	v_mov_b32_e32 v4, 1
	ds_add_u32 v3, v4
	v_mov_b32_e32 v3, 0
.LBB1721_87:
	s_or_b64 exec, exec, s[0:1]
	v_cmp_gt_i32_e64 s[0:1], 10, v3
	s_mov_b64 s[14:15], -1
	s_and_saveexec_b64 s[12:13], s[0:1]
; %bb.88:
	v_cmp_eq_u32_e64 s[0:1], 0, v3
	s_orn2_b64 s[14:15], s[0:1], exec
; %bb.89:
	s_or_b64 exec, exec, s[12:13]
	s_and_saveexec_b64 s[12:13], s[14:15]
	s_cbranch_execz .LBB1721_102
; %bb.90:
	s_add_i32 s14, s8, 8
	s_cmp_le_u32 s9, s14
	s_cselect_b64 s[0:1], -1, 0
	s_and_b64 s[16:17], s[0:1], exec
	s_cselect_b32 s15, 8, 10
	s_or_b64 s[0:1], s[0:1], vcc
	s_xor_b64 s[16:17], s[0:1], -1
	v_mov_b32_e32 v3, s15
	s_and_saveexec_b64 s[0:1], s[16:17]
	s_cbranch_execz .LBB1721_92
; %bb.91:
	s_sub_i32 s15, s9, s14
	s_min_u32 s15, s15, 8
	v_lshrrev_b32_e32 v3, s14, v2
	v_bfe_u32 v3, v3, 0, s15
	v_lshlrev_b32_e32 v4, 2, v1
	v_lshl_or_b32 v3, v3, 4, v4
	v_mov_b32_e32 v4, 1
	ds_add_u32 v3, v4 offset:4096
	v_mov_b32_e32 v3, 0
.LBB1721_92:
	s_or_b64 exec, exec, s[0:1]
	v_cmp_gt_i32_e64 s[0:1], 10, v3
	s_mov_b64 s[14:15], -1
	s_and_saveexec_b64 s[16:17], s[0:1]
; %bb.93:
	v_cmp_eq_u32_e64 s[0:1], 0, v3
	s_orn2_b64 s[14:15], s[0:1], exec
; %bb.94:
	s_or_b64 exec, exec, s[16:17]
	s_and_b64 exec, exec, s[14:15]
	s_cbranch_execz .LBB1721_102
; %bb.95:
	s_add_i32 s14, s8, 16
	s_cmp_le_u32 s9, s14
	s_cselect_b64 s[0:1], -1, 0
	s_and_b64 s[16:17], s[0:1], exec
	s_cselect_b32 s15, 8, 10
	s_or_b64 s[0:1], s[0:1], vcc
	s_xor_b64 s[16:17], s[0:1], -1
	v_mov_b32_e32 v3, s15
	s_and_saveexec_b64 s[0:1], s[16:17]
	s_cbranch_execz .LBB1721_97
; %bb.96:
	s_sub_i32 s15, s9, s14
	s_min_u32 s15, s15, 8
	v_lshrrev_b32_e32 v3, s14, v2
	v_bfe_u32 v3, v3, 0, s15
	v_lshlrev_b32_e32 v4, 2, v1
	v_lshl_or_b32 v3, v3, 4, v4
	v_mov_b32_e32 v4, 1
	ds_add_u32 v3, v4 offset:8192
	v_mov_b32_e32 v3, 0
.LBB1721_97:
	s_or_b64 exec, exec, s[0:1]
	v_cmp_gt_i32_e64 s[0:1], 10, v3
	s_mov_b64 s[14:15], -1
	s_and_saveexec_b64 s[16:17], s[0:1]
; %bb.98:
	v_cmp_eq_u32_e64 s[0:1], 0, v3
	s_orn2_b64 s[14:15], s[0:1], exec
; %bb.99:
	s_or_b64 exec, exec, s[16:17]
	s_and_b64 exec, exec, s[14:15]
	s_cbranch_execz .LBB1721_102
; %bb.100:
	s_add_i32 s0, s8, 24
	s_cmp_gt_u32 s9, s0
	s_cselect_b64 s[14:15], -1, 0
	s_xor_b64 s[16:17], vcc, -1
	s_and_b64 s[14:15], s[14:15], s[16:17]
	s_and_b64 exec, exec, s[14:15]
	s_cbranch_execz .LBB1721_102
; %bb.101:
	s_sub_i32 s1, s9, s0
	s_min_u32 s1, s1, 8
	v_lshrrev_b32_e32 v2, s0, v2
	v_bfe_u32 v2, v2, 0, s1
	v_lshlrev_b32_e32 v3, 2, v1
	v_lshl_or_b32 v2, v2, 4, v3
	v_mov_b32_e32 v3, 1
	ds_add_u32 v2, v3 offset:12288
.LBB1721_102:
	s_or_b64 exec, exec, s[12:13]
	v_cmp_le_u32_e32 vcc, s11, v12
	s_or_b64 s[0:1], s[2:3], vcc
	v_xor_b32_e32 v2, 0x80000000, v7
	s_xor_b64 s[12:13], s[0:1], -1
	v_mov_b32_e32 v3, s18
	s_and_saveexec_b64 s[0:1], s[12:13]
	s_cbranch_execz .LBB1721_104
; %bb.103:
	s_sub_i32 s12, s9, s8
	s_min_u32 s12, s12, 8
	v_lshrrev_b32_e32 v3, s8, v2
	v_bfe_u32 v3, v3, 0, s12
	v_lshlrev_b32_e32 v4, 2, v1
	v_lshl_or_b32 v3, v3, 4, v4
	v_mov_b32_e32 v4, 1
	ds_add_u32 v3, v4
	v_mov_b32_e32 v3, 0
.LBB1721_104:
	s_or_b64 exec, exec, s[0:1]
	v_cmp_gt_i32_e64 s[0:1], 10, v3
	s_mov_b64 s[14:15], -1
	s_and_saveexec_b64 s[12:13], s[0:1]
; %bb.105:
	v_cmp_eq_u32_e64 s[0:1], 0, v3
	s_orn2_b64 s[14:15], s[0:1], exec
; %bb.106:
	s_or_b64 exec, exec, s[12:13]
	s_and_saveexec_b64 s[12:13], s[14:15]
	s_cbranch_execz .LBB1721_119
; %bb.107:
	s_add_i32 s14, s8, 8
	s_cmp_le_u32 s9, s14
	s_cselect_b64 s[0:1], -1, 0
	s_and_b64 s[16:17], s[0:1], exec
	s_cselect_b32 s15, 8, 10
	s_or_b64 s[0:1], s[0:1], vcc
	s_xor_b64 s[16:17], s[0:1], -1
	v_mov_b32_e32 v3, s15
	s_and_saveexec_b64 s[0:1], s[16:17]
	s_cbranch_execz .LBB1721_109
; %bb.108:
	s_sub_i32 s15, s9, s14
	s_min_u32 s15, s15, 8
	v_lshrrev_b32_e32 v3, s14, v2
	v_bfe_u32 v3, v3, 0, s15
	v_lshlrev_b32_e32 v4, 2, v1
	v_lshl_or_b32 v3, v3, 4, v4
	v_mov_b32_e32 v4, 1
	ds_add_u32 v3, v4 offset:4096
	v_mov_b32_e32 v3, 0
.LBB1721_109:
	s_or_b64 exec, exec, s[0:1]
	v_cmp_gt_i32_e64 s[0:1], 10, v3
	s_mov_b64 s[14:15], -1
	s_and_saveexec_b64 s[16:17], s[0:1]
; %bb.110:
	v_cmp_eq_u32_e64 s[0:1], 0, v3
	s_orn2_b64 s[14:15], s[0:1], exec
; %bb.111:
	s_or_b64 exec, exec, s[16:17]
	s_and_b64 exec, exec, s[14:15]
	s_cbranch_execz .LBB1721_119
; %bb.112:
	s_add_i32 s14, s8, 16
	s_cmp_le_u32 s9, s14
	s_cselect_b64 s[0:1], -1, 0
	s_and_b64 s[16:17], s[0:1], exec
	s_cselect_b32 s15, 8, 10
	s_or_b64 s[0:1], s[0:1], vcc
	s_xor_b64 s[16:17], s[0:1], -1
	v_mov_b32_e32 v3, s15
	s_and_saveexec_b64 s[0:1], s[16:17]
	s_cbranch_execz .LBB1721_114
; %bb.113:
	s_sub_i32 s15, s9, s14
	s_min_u32 s15, s15, 8
	v_lshrrev_b32_e32 v3, s14, v2
	v_bfe_u32 v3, v3, 0, s15
	v_lshlrev_b32_e32 v4, 2, v1
	v_lshl_or_b32 v3, v3, 4, v4
	v_mov_b32_e32 v4, 1
	ds_add_u32 v3, v4 offset:8192
	v_mov_b32_e32 v3, 0
.LBB1721_114:
	s_or_b64 exec, exec, s[0:1]
	v_cmp_gt_i32_e64 s[0:1], 10, v3
	s_mov_b64 s[14:15], -1
	s_and_saveexec_b64 s[16:17], s[0:1]
; %bb.115:
	v_cmp_eq_u32_e64 s[0:1], 0, v3
	s_orn2_b64 s[14:15], s[0:1], exec
; %bb.116:
	s_or_b64 exec, exec, s[16:17]
	s_and_b64 exec, exec, s[14:15]
	s_cbranch_execz .LBB1721_119
; %bb.117:
	s_add_i32 s0, s8, 24
	s_cmp_gt_u32 s9, s0
	s_cselect_b64 s[14:15], -1, 0
	s_xor_b64 s[16:17], vcc, -1
	s_and_b64 s[14:15], s[14:15], s[16:17]
	s_and_b64 exec, exec, s[14:15]
	s_cbranch_execz .LBB1721_119
; %bb.118:
	s_sub_i32 s1, s9, s0
	s_min_u32 s1, s1, 8
	v_lshrrev_b32_e32 v2, s0, v2
	v_bfe_u32 v2, v2, 0, s1
	v_lshlrev_b32_e32 v3, 2, v1
	v_lshl_or_b32 v2, v2, 4, v3
	v_mov_b32_e32 v3, 1
	ds_add_u32 v2, v3 offset:12288
.LBB1721_119:
	s_or_b64 exec, exec, s[12:13]
	v_cmp_le_u32_e32 vcc, s11, v11
	s_or_b64 s[0:1], s[2:3], vcc
	v_xor_b32_e32 v2, 0x80000000, v8
	s_xor_b64 s[12:13], s[0:1], -1
	v_mov_b32_e32 v3, s18
	s_and_saveexec_b64 s[0:1], s[12:13]
	s_cbranch_execz .LBB1721_121
; %bb.120:
	s_sub_i32 s12, s9, s8
	s_min_u32 s12, s12, 8
	v_lshrrev_b32_e32 v3, s8, v2
	v_bfe_u32 v3, v3, 0, s12
	v_lshlrev_b32_e32 v4, 2, v1
	v_lshl_or_b32 v3, v3, 4, v4
	v_mov_b32_e32 v4, 1
	ds_add_u32 v3, v4
	v_mov_b32_e32 v3, 0
.LBB1721_121:
	s_or_b64 exec, exec, s[0:1]
	v_cmp_gt_i32_e64 s[0:1], 10, v3
	s_mov_b64 s[14:15], -1
	s_and_saveexec_b64 s[12:13], s[0:1]
; %bb.122:
	v_cmp_eq_u32_e64 s[0:1], 0, v3
	s_orn2_b64 s[14:15], s[0:1], exec
; %bb.123:
	s_or_b64 exec, exec, s[12:13]
	s_and_saveexec_b64 s[12:13], s[14:15]
	s_cbranch_execz .LBB1721_136
; %bb.124:
	s_add_i32 s14, s8, 8
	s_cmp_le_u32 s9, s14
	s_cselect_b64 s[0:1], -1, 0
	s_and_b64 s[16:17], s[0:1], exec
	s_cselect_b32 s15, 8, 10
	s_or_b64 s[0:1], s[0:1], vcc
	s_xor_b64 s[16:17], s[0:1], -1
	v_mov_b32_e32 v3, s15
	s_and_saveexec_b64 s[0:1], s[16:17]
	s_cbranch_execz .LBB1721_126
; %bb.125:
	s_sub_i32 s15, s9, s14
	s_min_u32 s15, s15, 8
	v_lshrrev_b32_e32 v3, s14, v2
	v_bfe_u32 v3, v3, 0, s15
	v_lshlrev_b32_e32 v4, 2, v1
	v_lshl_or_b32 v3, v3, 4, v4
	v_mov_b32_e32 v4, 1
	ds_add_u32 v3, v4 offset:4096
	v_mov_b32_e32 v3, 0
.LBB1721_126:
	s_or_b64 exec, exec, s[0:1]
	v_cmp_gt_i32_e64 s[0:1], 10, v3
	s_mov_b64 s[14:15], -1
	s_and_saveexec_b64 s[16:17], s[0:1]
; %bb.127:
	v_cmp_eq_u32_e64 s[0:1], 0, v3
	s_orn2_b64 s[14:15], s[0:1], exec
; %bb.128:
	s_or_b64 exec, exec, s[16:17]
	s_and_b64 exec, exec, s[14:15]
	s_cbranch_execz .LBB1721_136
; %bb.129:
	s_add_i32 s14, s8, 16
	s_cmp_le_u32 s9, s14
	s_cselect_b64 s[0:1], -1, 0
	s_and_b64 s[16:17], s[0:1], exec
	s_cselect_b32 s15, 8, 10
	s_or_b64 s[0:1], s[0:1], vcc
	s_xor_b64 s[16:17], s[0:1], -1
	v_mov_b32_e32 v3, s15
	s_and_saveexec_b64 s[0:1], s[16:17]
	s_cbranch_execz .LBB1721_131
; %bb.130:
	s_sub_i32 s15, s9, s14
	s_min_u32 s15, s15, 8
	v_lshrrev_b32_e32 v3, s14, v2
	v_bfe_u32 v3, v3, 0, s15
	v_lshlrev_b32_e32 v4, 2, v1
	v_lshl_or_b32 v3, v3, 4, v4
	v_mov_b32_e32 v4, 1
	ds_add_u32 v3, v4 offset:8192
	v_mov_b32_e32 v3, 0
.LBB1721_131:
	s_or_b64 exec, exec, s[0:1]
	v_cmp_gt_i32_e64 s[0:1], 10, v3
	s_mov_b64 s[14:15], -1
	s_and_saveexec_b64 s[16:17], s[0:1]
; %bb.132:
	v_cmp_eq_u32_e64 s[0:1], 0, v3
	s_orn2_b64 s[14:15], s[0:1], exec
; %bb.133:
	s_or_b64 exec, exec, s[16:17]
	s_and_b64 exec, exec, s[14:15]
	s_cbranch_execz .LBB1721_136
; %bb.134:
	s_add_i32 s0, s8, 24
	s_cmp_gt_u32 s9, s0
	s_cselect_b64 s[14:15], -1, 0
	s_xor_b64 s[16:17], vcc, -1
	s_and_b64 s[14:15], s[14:15], s[16:17]
	s_and_b64 exec, exec, s[14:15]
	s_cbranch_execz .LBB1721_136
; %bb.135:
	s_sub_i32 s1, s9, s0
	s_min_u32 s1, s1, 8
	v_lshrrev_b32_e32 v2, s0, v2
	v_bfe_u32 v2, v2, 0, s1
	v_lshlrev_b32_e32 v3, 2, v1
	v_lshl_or_b32 v2, v2, 4, v3
	v_mov_b32_e32 v3, 1
	ds_add_u32 v2, v3 offset:12288
.LBB1721_136:
	s_or_b64 exec, exec, s[12:13]
	v_cmp_le_u32_e32 vcc, s11, v10
	s_or_b64 s[0:1], s[2:3], vcc
	v_xor_b32_e32 v2, 0x80000000, v9
	s_xor_b64 s[2:3], s[0:1], -1
	v_mov_b32_e32 v3, s18
	s_and_saveexec_b64 s[0:1], s[2:3]
	s_cbranch_execz .LBB1721_138
; %bb.137:
	s_sub_i32 s2, s9, s8
	s_min_u32 s2, s2, 8
	v_lshrrev_b32_e32 v3, s8, v2
	v_bfe_u32 v3, v3, 0, s2
	v_lshlrev_b32_e32 v4, 2, v1
	v_lshl_or_b32 v3, v3, 4, v4
	v_mov_b32_e32 v4, 1
	ds_add_u32 v3, v4
	v_mov_b32_e32 v3, 0
.LBB1721_138:
	s_or_b64 exec, exec, s[0:1]
	v_cmp_gt_i32_e64 s[0:1], 10, v3
	s_mov_b64 s[12:13], -1
	s_and_saveexec_b64 s[2:3], s[0:1]
; %bb.139:
	v_cmp_eq_u32_e64 s[0:1], 0, v3
	s_orn2_b64 s[12:13], s[0:1], exec
; %bb.140:
	s_or_b64 exec, exec, s[2:3]
	s_and_saveexec_b64 s[2:3], s[12:13]
	s_cbranch_execz .LBB1721_153
; %bb.141:
	s_add_i32 s11, s8, 8
	s_cmp_le_u32 s9, s11
	s_cselect_b64 s[0:1], -1, 0
	s_and_b64 s[12:13], s[0:1], exec
	s_cselect_b32 s14, 8, 10
	s_or_b64 s[0:1], s[0:1], vcc
	s_xor_b64 s[12:13], s[0:1], -1
	v_mov_b32_e32 v3, s14
	s_and_saveexec_b64 s[0:1], s[12:13]
	s_cbranch_execz .LBB1721_143
; %bb.142:
	s_sub_i32 s12, s9, s11
	s_min_u32 s12, s12, 8
	v_lshrrev_b32_e32 v3, s11, v2
	v_bfe_u32 v3, v3, 0, s12
	v_lshlrev_b32_e32 v4, 2, v1
	v_lshl_or_b32 v3, v3, 4, v4
	v_mov_b32_e32 v4, 1
	ds_add_u32 v3, v4 offset:4096
	v_mov_b32_e32 v3, 0
.LBB1721_143:
	s_or_b64 exec, exec, s[0:1]
	v_cmp_gt_i32_e64 s[0:1], 10, v3
	s_mov_b64 s[12:13], -1
	s_and_saveexec_b64 s[14:15], s[0:1]
; %bb.144:
	v_cmp_eq_u32_e64 s[0:1], 0, v3
	s_orn2_b64 s[12:13], s[0:1], exec
; %bb.145:
	s_or_b64 exec, exec, s[14:15]
	s_and_b64 exec, exec, s[12:13]
	s_cbranch_execz .LBB1721_153
; %bb.146:
	s_add_i32 s11, s8, 16
	s_cmp_le_u32 s9, s11
	s_cselect_b64 s[0:1], -1, 0
	s_and_b64 s[12:13], s[0:1], exec
	s_cselect_b32 s14, 8, 10
	s_or_b64 s[0:1], s[0:1], vcc
	s_xor_b64 s[12:13], s[0:1], -1
	v_mov_b32_e32 v3, s14
	s_and_saveexec_b64 s[0:1], s[12:13]
	s_cbranch_execz .LBB1721_148
; %bb.147:
	s_sub_i32 s12, s9, s11
	s_min_u32 s12, s12, 8
	v_lshrrev_b32_e32 v3, s11, v2
	v_bfe_u32 v3, v3, 0, s12
	v_lshlrev_b32_e32 v4, 2, v1
	v_lshl_or_b32 v3, v3, 4, v4
	v_mov_b32_e32 v4, 1
	ds_add_u32 v3, v4 offset:8192
	v_mov_b32_e32 v3, 0
.LBB1721_148:
	s_or_b64 exec, exec, s[0:1]
	v_cmp_gt_i32_e64 s[0:1], 10, v3
	s_mov_b64 s[12:13], -1
	s_and_saveexec_b64 s[14:15], s[0:1]
; %bb.149:
	v_cmp_eq_u32_e64 s[0:1], 0, v3
	s_orn2_b64 s[12:13], s[0:1], exec
; %bb.150:
	s_or_b64 exec, exec, s[14:15]
	s_and_b64 exec, exec, s[12:13]
	s_cbranch_execz .LBB1721_153
; %bb.151:
	s_add_i32 s0, s8, 24
	s_cmp_gt_u32 s9, s0
	s_cselect_b64 s[12:13], -1, 0
	s_xor_b64 s[14:15], vcc, -1
	s_and_b64 s[12:13], s[12:13], s[14:15]
	s_and_b64 exec, exec, s[12:13]
	s_cbranch_execz .LBB1721_153
; %bb.152:
	s_sub_i32 s1, s9, s0
	s_min_u32 s1, s1, 8
	v_lshrrev_b32_e32 v2, s0, v2
	v_bfe_u32 v2, v2, 0, s1
	v_lshlrev_b32_e32 v1, 2, v1
	v_lshl_or_b32 v1, v2, 4, v1
	v_mov_b32_e32 v2, 1
	ds_add_u32 v1, v2 offset:12288
.LBB1721_153:
	s_or_b64 exec, exec, s[2:3]
	s_cmp_gt_u32 s9, s8
	s_waitcnt lgkmcnt(0)
	s_barrier
	s_cbranch_scc0 .LBB1721_158
; %bb.154:
	s_movk_i32 s0, 0x100
	v_cmp_gt_u32_e32 vcc, s0, v0
	v_lshlrev_b32_e32 v1, 4, v0
	v_mov_b32_e32 v3, 0
	v_mov_b32_e32 v2, v0
	s_mov_b32 s2, s8
	s_branch .LBB1721_156
.LBB1721_155:                           ;   in Loop: Header=BB1721_156 Depth=1
	s_or_b64 exec, exec, s[0:1]
	s_add_i32 s2, s2, 8
	v_add_u32_e32 v2, 0x100, v2
	s_cmp_lt_u32 s2, s9
	v_add_u32_e32 v1, 0x1000, v1
	s_cbranch_scc0 .LBB1721_158
.LBB1721_156:                           ; =>This Inner Loop Header: Depth=1
	s_and_saveexec_b64 s[0:1], vcc
	s_cbranch_execz .LBB1721_155
; %bb.157:                              ;   in Loop: Header=BB1721_156 Depth=1
	ds_read2_b32 v[4:5], v1 offset1:1
	ds_read2_b32 v[6:7], v1 offset0:2 offset1:3
	s_waitcnt lgkmcnt(1)
	v_add_u32_e32 v4, v5, v4
	s_waitcnt lgkmcnt(0)
	v_add3_u32 v6, v4, v6, v7
	v_lshl_add_u64 v[4:5], v[2:3], 2, s[6:7]
	global_atomic_add v[4:5], v6, off
	s_branch .LBB1721_155
.LBB1721_158:
	s_mov_b64 s[2:3], 0
.LBB1721_159:
	s_and_b64 vcc, exec, s[2:3]
	s_cbranch_vccz .LBB1721_219
; %bb.160:
	s_cmp_eq_u32 s8, 0
	s_cselect_b64 s[0:1], -1, 0
	s_cmp_eq_u32 s9, 32
	s_mov_b32 s11, 0
	s_cselect_b64 s[2:3], -1, 0
	s_and_b64 s[2:3], s[0:1], s[2:3]
	s_lshl_b64 s[0:1], s[10:11], 2
	s_add_u32 s0, s4, s0
	s_addc_u32 s1, s5, s1
	v_mov_b32_e32 v3, 0
	v_lshlrev_b32_e32 v2, 2, v0
	v_lshl_add_u64 v[4:5], s[0:1], 0, v[2:3]
	s_movk_i32 s4, 0x2000
	v_add_co_u32_e32 v6, vcc, s4, v4
	s_movk_i32 s4, 0x4000
	s_nop 0
	v_addc_co_u32_e32 v7, vcc, 0, v5, vcc
	v_add_co_u32_e32 v12, vcc, s4, v4
	s_movk_i32 s4, 0x5000
	s_nop 0
	v_addc_co_u32_e32 v13, vcc, 0, v5, vcc
	global_load_dword v11, v[6:7], off offset:-4096
	global_load_dword v10, v[6:7], off
	global_load_dword v9, v[12:13], off offset:-4096
	global_load_dword v8, v[12:13], off
	v_add_co_u32_e32 v12, vcc, s4, v4
	s_nop 1
	v_addc_co_u32_e32 v13, vcc, 0, v5, vcc
	v_add_co_u32_e32 v14, vcc, 0x6000, v4
	s_nop 1
	v_addc_co_u32_e32 v15, vcc, 0, v5, vcc
	v_add_co_u32_e32 v4, vcc, 0x7000, v4
	global_load_dword v7, v[12:13], off
	global_load_dword v6, v[14:15], off
	v_addc_co_u32_e32 v5, vcc, 0, v5, vcc
	global_load_dword v12, v2, s[0:1]
	global_load_dword v1, v[4:5], off
	s_mov_b64 s[0:1], -1
	s_and_b64 vcc, exec, s[2:3]
	s_cbranch_vccnz .LBB1721_216
; %bb.161:
	s_cmp_gt_u32 s9, s8
	s_cselect_b64 s[0:1], -1, 0
	s_and_b64 vcc, exec, s[0:1]
	ds_write2st64_b32 v2, v3, v3 offset1:16
	ds_write2st64_b32 v2, v3, v3 offset0:32 offset1:48
	s_waitcnt lgkmcnt(0)
	s_barrier
	s_cbranch_vccz .LBB1721_210
; %bb.162:
	s_sub_i32 s2, s9, s8
	s_min_u32 s2, s2, 8
	s_waitcnt vmcnt(1)
	v_xor_b32_e32 v13, 0x80000000, v12
	s_lshl_b32 s2, -1, s2
	v_and_b32_e32 v3, 3, v0
	s_not_b32 s13, s2
	v_lshrrev_b32_e32 v4, s8, v13
	v_and_b32_e32 v14, s13, v4
	v_lshlrev_b32_e32 v4, 2, v3
	v_lshl_or_b32 v14, v14, 4, v4
	v_mov_b32_e32 v15, 1
	ds_add_u32 v14, v15
	s_add_i32 s12, s8, 8
	v_xor_b32_e32 v5, 0x80000000, v11
	s_cmp_le_u32 s9, s12
	s_cselect_b64 s[2:3], -1, 0
	v_lshrrev_b32_e32 v14, s8, v5
	s_and_b64 vcc, exec, s[2:3]
	v_and_b32_e32 v14, s13, v14
	s_cbranch_vccz .LBB1721_164
; %bb.163:
	v_lshl_or_b32 v15, v14, 2, v3
	s_mov_b64 s[4:5], -1
	s_cbranch_execz .LBB1721_165
	s_branch .LBB1721_172
.LBB1721_164:
	s_mov_b64 s[4:5], 0
                                        ; implicit-def: $vgpr15
.LBB1721_165:
	s_sub_i32 s10, s9, s12
	s_min_u32 s10, s10, 8
	s_lshl_b32 s10, -1, s10
	s_not_b32 s15, s10
	v_lshrrev_b32_e32 v15, s12, v13
	v_and_b32_e32 v15, s15, v15
	v_lshl_or_b32 v16, v15, 4, v4
	v_mov_b32_e32 v15, 1
	ds_add_u32 v16, v15 offset:4096
	s_add_i32 s14, s8, 16
	s_cmp_gt_u32 s9, s14
	s_cselect_b64 s[10:11], -1, 0
	s_cmp_le_u32 s9, s14
	s_cbranch_scc1 .LBB1721_168
; %bb.166:
	s_sub_i32 s16, s9, s14
	s_min_u32 s16, s16, 8
	v_lshrrev_b32_e32 v16, s14, v13
	v_bfe_u32 v16, v16, 0, s16
	v_lshl_or_b32 v16, v16, 4, v4
	ds_add_u32 v16, v15 offset:8192
	s_add_i32 s16, s8, 24
	s_cmp_le_u32 s9, s16
	s_cbranch_scc1 .LBB1721_168
; %bb.167:
	s_sub_i32 s17, s9, s16
	s_min_u32 s17, s17, 8
	v_lshrrev_b32_e32 v13, s16, v13
	v_bfe_u32 v13, v13, 0, s17
	v_lshl_or_b32 v13, v13, 4, v4
	v_mov_b32_e32 v16, 1
	ds_add_u32 v13, v16 offset:12288
.LBB1721_168:
	v_lshl_or_b32 v13, v14, 4, v4
	ds_add_u32 v13, v15
	v_lshrrev_b32_e32 v13, s12, v5
	v_and_b32_e32 v13, s15, v13
	v_lshl_or_b32 v13, v13, 4, v4
	ds_add_u32 v13, v15 offset:4096
	s_andn2_b64 vcc, exec, s[10:11]
	s_cbranch_vccnz .LBB1721_171
; %bb.169:
	s_sub_i32 s10, s9, s14
	s_min_u32 s10, s10, 8
	v_lshrrev_b32_e32 v13, s14, v5
	v_bfe_u32 v13, v13, 0, s10
	v_lshl_or_b32 v13, v13, 4, v4
	v_mov_b32_e32 v14, 1
	ds_add_u32 v13, v14 offset:8192
	s_add_i32 s10, s8, 24
	s_cmp_gt_u32 s9, s10
	s_cbranch_scc0 .LBB1721_171
; %bb.170:
	s_sub_i32 s4, s9, s10
	s_min_u32 s4, s4, 8
	v_lshrrev_b32_e32 v5, s10, v5
	v_bfe_u32 v5, v5, 0, s4
	v_lshl_or_b32 v5, v5, 2, v3
	v_add_u32_e32 v15, 0xc00, v5
	s_mov_b64 s[4:5], -1
	s_branch .LBB1721_172
.LBB1721_171:
                                        ; implicit-def: $vgpr15
.LBB1721_172:
	s_and_b64 vcc, exec, s[4:5]
	s_cbranch_vccz .LBB1721_174
; %bb.173:
	v_lshlrev_b32_e32 v5, 2, v15
	v_mov_b32_e32 v13, 1
	ds_add_u32 v5, v13
.LBB1721_174:
	v_xor_b32_e32 v13, 0x80000000, v10
	v_lshrrev_b32_e32 v14, s8, v13
	v_and_b32_e32 v14, s13, v14
	v_lshl_or_b32 v14, v14, 4, v4
	v_mov_b32_e32 v15, 1
	ds_add_u32 v14, v15
	v_xor_b32_e32 v5, 0x80000000, v9
	v_lshrrev_b32_e32 v14, s8, v5
	s_and_b64 vcc, exec, s[2:3]
	v_and_b32_e32 v14, s13, v14
	s_cbranch_vccz .LBB1721_176
; %bb.175:
	v_lshl_or_b32 v15, v14, 2, v3
	s_mov_b64 s[4:5], -1
	s_cbranch_execz .LBB1721_177
	s_branch .LBB1721_184
.LBB1721_176:
	s_mov_b64 s[4:5], 0
                                        ; implicit-def: $vgpr15
.LBB1721_177:
	s_sub_i32 s10, s9, s12
	s_min_u32 s10, s10, 8
	s_lshl_b32 s10, -1, s10
	s_not_b32 s15, s10
	v_lshrrev_b32_e32 v15, s12, v13
	v_and_b32_e32 v15, s15, v15
	v_lshl_or_b32 v16, v15, 4, v4
	v_mov_b32_e32 v15, 1
	ds_add_u32 v16, v15 offset:4096
	s_add_i32 s14, s8, 16
	s_cmp_gt_u32 s9, s14
	s_cselect_b64 s[10:11], -1, 0
	s_cmp_le_u32 s9, s14
	s_cbranch_scc1 .LBB1721_180
; %bb.178:
	s_sub_i32 s16, s9, s14
	s_min_u32 s16, s16, 8
	v_lshrrev_b32_e32 v16, s14, v13
	v_bfe_u32 v16, v16, 0, s16
	v_lshl_or_b32 v16, v16, 4, v4
	ds_add_u32 v16, v15 offset:8192
	s_add_i32 s16, s8, 24
	s_cmp_le_u32 s9, s16
	s_cbranch_scc1 .LBB1721_180
; %bb.179:
	s_sub_i32 s17, s9, s16
	s_min_u32 s17, s17, 8
	v_lshrrev_b32_e32 v13, s16, v13
	v_bfe_u32 v13, v13, 0, s17
	v_lshl_or_b32 v13, v13, 4, v4
	v_mov_b32_e32 v16, 1
	ds_add_u32 v13, v16 offset:12288
.LBB1721_180:
	v_lshl_or_b32 v13, v14, 4, v4
	ds_add_u32 v13, v15
	v_lshrrev_b32_e32 v13, s12, v5
	v_and_b32_e32 v13, s15, v13
	v_lshl_or_b32 v13, v13, 4, v4
	ds_add_u32 v13, v15 offset:4096
	s_andn2_b64 vcc, exec, s[10:11]
	s_cbranch_vccnz .LBB1721_183
; %bb.181:
	s_sub_i32 s10, s9, s14
	s_min_u32 s10, s10, 8
	v_lshrrev_b32_e32 v13, s14, v5
	v_bfe_u32 v13, v13, 0, s10
	v_lshl_or_b32 v13, v13, 4, v4
	v_mov_b32_e32 v14, 1
	ds_add_u32 v13, v14 offset:8192
	s_add_i32 s10, s8, 24
	s_cmp_gt_u32 s9, s10
	s_cbranch_scc0 .LBB1721_183
; %bb.182:
	s_sub_i32 s4, s9, s10
	s_min_u32 s4, s4, 8
	v_lshrrev_b32_e32 v5, s10, v5
	v_bfe_u32 v5, v5, 0, s4
	v_lshl_or_b32 v5, v5, 2, v3
	v_add_u32_e32 v15, 0xc00, v5
	s_mov_b64 s[4:5], -1
	s_branch .LBB1721_184
.LBB1721_183:
                                        ; implicit-def: $vgpr15
.LBB1721_184:
	s_and_b64 vcc, exec, s[4:5]
	s_cbranch_vccz .LBB1721_186
; %bb.185:
	v_lshlrev_b32_e32 v5, 2, v15
	v_mov_b32_e32 v13, 1
	ds_add_u32 v5, v13
.LBB1721_186:
	v_xor_b32_e32 v13, 0x80000000, v8
	v_lshrrev_b32_e32 v14, s8, v13
	v_and_b32_e32 v14, s13, v14
	v_lshl_or_b32 v14, v14, 4, v4
	v_mov_b32_e32 v15, 1
	ds_add_u32 v14, v15
	v_xor_b32_e32 v5, 0x80000000, v7
	v_lshrrev_b32_e32 v14, s8, v5
	s_and_b64 vcc, exec, s[2:3]
	v_and_b32_e32 v14, s13, v14
	s_cbranch_vccz .LBB1721_188
; %bb.187:
	v_lshl_or_b32 v15, v14, 2, v3
	s_mov_b64 s[4:5], -1
	s_cbranch_execz .LBB1721_189
	s_branch .LBB1721_196
.LBB1721_188:
	s_mov_b64 s[4:5], 0
                                        ; implicit-def: $vgpr15
.LBB1721_189:
	s_sub_i32 s10, s9, s12
	s_min_u32 s10, s10, 8
	s_lshl_b32 s10, -1, s10
	s_not_b32 s15, s10
	v_lshrrev_b32_e32 v15, s12, v13
	v_and_b32_e32 v15, s15, v15
	v_lshl_or_b32 v16, v15, 4, v4
	v_mov_b32_e32 v15, 1
	ds_add_u32 v16, v15 offset:4096
	s_add_i32 s14, s8, 16
	s_cmp_gt_u32 s9, s14
	s_cselect_b64 s[10:11], -1, 0
	s_cmp_le_u32 s9, s14
	s_cbranch_scc1 .LBB1721_192
; %bb.190:
	s_sub_i32 s16, s9, s14
	s_min_u32 s16, s16, 8
	v_lshrrev_b32_e32 v16, s14, v13
	v_bfe_u32 v16, v16, 0, s16
	v_lshl_or_b32 v16, v16, 4, v4
	ds_add_u32 v16, v15 offset:8192
	s_add_i32 s16, s8, 24
	s_cmp_le_u32 s9, s16
	s_cbranch_scc1 .LBB1721_192
; %bb.191:
	s_sub_i32 s17, s9, s16
	s_min_u32 s17, s17, 8
	v_lshrrev_b32_e32 v13, s16, v13
	v_bfe_u32 v13, v13, 0, s17
	v_lshl_or_b32 v13, v13, 4, v4
	v_mov_b32_e32 v16, 1
	ds_add_u32 v13, v16 offset:12288
.LBB1721_192:
	v_lshl_or_b32 v13, v14, 4, v4
	ds_add_u32 v13, v15
	v_lshrrev_b32_e32 v13, s12, v5
	v_and_b32_e32 v13, s15, v13
	v_lshl_or_b32 v13, v13, 4, v4
	ds_add_u32 v13, v15 offset:4096
	s_andn2_b64 vcc, exec, s[10:11]
	s_cbranch_vccnz .LBB1721_195
; %bb.193:
	s_sub_i32 s10, s9, s14
	s_min_u32 s10, s10, 8
	v_lshrrev_b32_e32 v13, s14, v5
	v_bfe_u32 v13, v13, 0, s10
	v_lshl_or_b32 v13, v13, 4, v4
	v_mov_b32_e32 v14, 1
	ds_add_u32 v13, v14 offset:8192
	s_add_i32 s10, s8, 24
	s_cmp_gt_u32 s9, s10
	s_cbranch_scc0 .LBB1721_195
; %bb.194:
	s_sub_i32 s4, s9, s10
	s_min_u32 s4, s4, 8
	v_lshrrev_b32_e32 v5, s10, v5
	v_bfe_u32 v5, v5, 0, s4
	v_lshl_or_b32 v5, v5, 2, v3
	v_add_u32_e32 v15, 0xc00, v5
	s_mov_b64 s[4:5], -1
	s_branch .LBB1721_196
.LBB1721_195:
                                        ; implicit-def: $vgpr15
.LBB1721_196:
	s_and_b64 vcc, exec, s[4:5]
	s_cbranch_vccz .LBB1721_198
; %bb.197:
	v_lshlrev_b32_e32 v5, 2, v15
	v_mov_b32_e32 v13, 1
	ds_add_u32 v5, v13
.LBB1721_198:
	v_xor_b32_e32 v13, 0x80000000, v6
	v_lshrrev_b32_e32 v14, s8, v13
	v_and_b32_e32 v14, s13, v14
	v_lshl_or_b32 v14, v14, 4, v4
	v_mov_b32_e32 v15, 1
	ds_add_u32 v14, v15
	s_waitcnt vmcnt(0)
	v_xor_b32_e32 v5, 0x80000000, v1
	v_lshrrev_b32_e32 v14, s8, v5
	s_and_b64 vcc, exec, s[2:3]
	v_and_b32_e32 v14, s13, v14
	s_cbranch_vccz .LBB1721_200
; %bb.199:
	v_lshl_or_b32 v15, v14, 2, v3
	s_mov_b64 s[2:3], -1
	s_cbranch_execz .LBB1721_201
	s_branch .LBB1721_208
.LBB1721_200:
	s_mov_b64 s[2:3], 0
                                        ; implicit-def: $vgpr15
.LBB1721_201:
	s_sub_i32 s4, s9, s12
	s_min_u32 s4, s4, 8
	s_lshl_b32 s4, -1, s4
	s_not_b32 s11, s4
	v_lshrrev_b32_e32 v15, s12, v13
	v_and_b32_e32 v15, s11, v15
	v_lshl_or_b32 v16, v15, 4, v4
	v_mov_b32_e32 v15, 1
	ds_add_u32 v16, v15 offset:4096
	s_add_i32 s10, s8, 16
	s_cmp_gt_u32 s9, s10
	s_cselect_b64 s[4:5], -1, 0
	s_cmp_le_u32 s9, s10
	s_cbranch_scc1 .LBB1721_204
; %bb.202:
	s_sub_i32 s13, s9, s10
	s_min_u32 s13, s13, 8
	v_lshrrev_b32_e32 v16, s10, v13
	v_bfe_u32 v16, v16, 0, s13
	v_lshl_or_b32 v16, v16, 4, v4
	ds_add_u32 v16, v15 offset:8192
	s_add_i32 s13, s8, 24
	s_cmp_le_u32 s9, s13
	s_cbranch_scc1 .LBB1721_204
; %bb.203:
	s_sub_i32 s14, s9, s13
	s_min_u32 s14, s14, 8
	v_lshrrev_b32_e32 v13, s13, v13
	v_bfe_u32 v13, v13, 0, s14
	v_lshl_or_b32 v13, v13, 4, v4
	v_mov_b32_e32 v16, 1
	ds_add_u32 v13, v16 offset:12288
.LBB1721_204:
	v_lshl_or_b32 v13, v14, 4, v4
	ds_add_u32 v13, v15
	v_lshrrev_b32_e32 v13, s12, v5
	v_and_b32_e32 v13, s11, v13
	v_lshl_or_b32 v13, v13, 4, v4
	ds_add_u32 v13, v15 offset:4096
	s_andn2_b64 vcc, exec, s[4:5]
	s_cbranch_vccnz .LBB1721_207
; %bb.205:
	s_sub_i32 s4, s9, s10
	s_min_u32 s4, s4, 8
	v_lshrrev_b32_e32 v13, s10, v5
	v_bfe_u32 v13, v13, 0, s4
	v_lshl_or_b32 v4, v13, 4, v4
	v_mov_b32_e32 v13, 1
	ds_add_u32 v4, v13 offset:8192
	s_add_i32 s4, s8, 24
	s_cmp_gt_u32 s9, s4
	s_cbranch_scc0 .LBB1721_207
; %bb.206:
	s_sub_i32 s2, s9, s4
	s_min_u32 s2, s2, 8
	v_lshrrev_b32_e32 v4, s4, v5
	v_bfe_u32 v4, v4, 0, s2
	v_lshl_or_b32 v3, v4, 2, v3
	v_add_u32_e32 v15, 0xc00, v3
	s_mov_b64 s[2:3], -1
	s_branch .LBB1721_208
.LBB1721_207:
                                        ; implicit-def: $vgpr15
.LBB1721_208:
	s_and_b64 vcc, exec, s[2:3]
	s_cbranch_vccz .LBB1721_210
; %bb.209:
	v_lshlrev_b32_e32 v3, 2, v15
	v_mov_b32_e32 v4, 1
	ds_add_u32 v3, v4
.LBB1721_210:
	s_and_b64 vcc, exec, s[0:1]
	s_waitcnt lgkmcnt(0)
	s_barrier
	s_cbranch_vccz .LBB1721_215
; %bb.211:
	s_movk_i32 s0, 0x100
	v_cmp_gt_u32_e32 vcc, s0, v0
	v_lshlrev_b32_e32 v3, 4, v0
	v_mov_b32_e32 v5, 0
	v_mov_b32_e32 v4, v0
	s_branch .LBB1721_213
.LBB1721_212:                           ;   in Loop: Header=BB1721_213 Depth=1
	s_or_b64 exec, exec, s[0:1]
	s_add_i32 s8, s8, 8
	v_add_u32_e32 v4, 0x100, v4
	s_cmp_ge_u32 s8, s9
	v_add_u32_e32 v3, 0x1000, v3
	s_cbranch_scc1 .LBB1721_215
.LBB1721_213:                           ; =>This Inner Loop Header: Depth=1
	s_and_saveexec_b64 s[0:1], vcc
	s_cbranch_execz .LBB1721_212
; %bb.214:                              ;   in Loop: Header=BB1721_213 Depth=1
	ds_read2_b32 v[14:15], v3 offset1:1
	ds_read2_b32 v[16:17], v3 offset0:2 offset1:3
	s_waitcnt lgkmcnt(1)
	v_add_u32_e32 v13, v15, v14
	s_waitcnt lgkmcnt(0)
	v_add3_u32 v13, v13, v16, v17
	v_lshl_add_u64 v[14:15], v[4:5], 2, s[6:7]
	global_atomic_add v[14:15], v13, off
	s_branch .LBB1721_212
.LBB1721_215:
	s_mov_b64 s[0:1], 0
.LBB1721_216:
	s_and_b64 vcc, exec, s[0:1]
	s_cbranch_vccz .LBB1721_219
; %bb.217:
	v_mov_b32_e32 v3, 0
	ds_write2st64_b32 v2, v3, v3 offset1:16
	ds_write2st64_b32 v2, v3, v3 offset0:32 offset1:48
	v_and_b32_e32 v3, 3, v0
	s_waitcnt vmcnt(1)
	v_lshlrev_b32_e32 v4, 2, v12
	s_movk_i32 s0, 0x3fc
	v_and_or_b32 v4, v4, s0, v3
	v_lshlrev_b32_e32 v4, 2, v4
	v_mov_b32_e32 v5, 1
	s_waitcnt lgkmcnt(0)
	s_barrier
	ds_add_u32 v4, v5
	v_bfe_u32 v4, v12, 8, 8
	v_lshl_or_b32 v4, v4, 2, v3
	v_lshlrev_b32_e32 v4, 2, v4
	ds_add_u32 v4, v5 offset:4096
	v_bfe_u32 v4, v12, 16, 8
	v_lshl_or_b32 v4, v4, 2, v3
	v_lshlrev_b32_e32 v4, 2, v4
	ds_add_u32 v4, v5 offset:8192
	v_lshrrev_b32_e32 v4, 24, v12
	v_or_b32_e32 v12, 0xc00, v3
	v_lshl_or_b32 v4, v4, 2, v12
	v_xor_b32_e32 v4, 0x200, v4
	v_lshlrev_b32_e32 v4, 2, v4
	ds_add_u32 v4, v5
	v_lshlrev_b32_e32 v4, 2, v11
	v_and_or_b32 v4, v4, s0, v3
	v_lshlrev_b32_e32 v4, 2, v4
	ds_add_u32 v4, v5
	v_bfe_u32 v4, v11, 8, 8
	v_lshl_or_b32 v4, v4, 2, v3
	v_lshlrev_b32_e32 v4, 2, v4
	ds_add_u32 v4, v5 offset:4096
	v_bfe_u32 v4, v11, 16, 8
	v_lshl_or_b32 v4, v4, 2, v3
	v_lshlrev_b32_e32 v4, 2, v4
	ds_add_u32 v4, v5 offset:8192
	v_lshrrev_b32_e32 v4, 24, v11
	v_lshl_or_b32 v4, v4, 2, v12
	v_xor_b32_e32 v4, 0x200, v4
	v_lshlrev_b32_e32 v4, 2, v4
	ds_add_u32 v4, v5
	v_lshlrev_b32_e32 v4, 2, v10
	v_and_or_b32 v4, v4, s0, v3
	v_lshlrev_b32_e32 v4, 2, v4
	ds_add_u32 v4, v5
	v_bfe_u32 v4, v10, 8, 8
	v_lshl_or_b32 v4, v4, 2, v3
	v_lshlrev_b32_e32 v4, 2, v4
	ds_add_u32 v4, v5 offset:4096
	v_bfe_u32 v4, v10, 16, 8
	v_lshl_or_b32 v4, v4, 2, v3
	v_lshlrev_b32_e32 v4, 2, v4
	ds_add_u32 v4, v5 offset:8192
	v_lshrrev_b32_e32 v4, 24, v10
	v_lshl_or_b32 v4, v4, 2, v12
	v_xor_b32_e32 v4, 0x200, v4
	v_lshlrev_b32_e32 v4, 2, v4
	ds_add_u32 v4, v5
	v_lshlrev_b32_e32 v4, 2, v9
	v_and_or_b32 v4, v4, s0, v3
	v_lshlrev_b32_e32 v4, 2, v4
	ds_add_u32 v4, v5
	v_bfe_u32 v4, v9, 8, 8
	v_lshl_or_b32 v4, v4, 2, v3
	v_lshlrev_b32_e32 v4, 2, v4
	ds_add_u32 v4, v5 offset:4096
	v_bfe_u32 v4, v9, 16, 8
	v_lshl_or_b32 v4, v4, 2, v3
	v_lshlrev_b32_e32 v4, 2, v4
	ds_add_u32 v4, v5 offset:8192
	v_lshrrev_b32_e32 v4, 24, v9
	v_lshl_or_b32 v4, v4, 2, v12
	v_xor_b32_e32 v4, 0x200, v4
	v_lshlrev_b32_e32 v4, 2, v4
	ds_add_u32 v4, v5
	v_lshlrev_b32_e32 v4, 2, v8
	v_and_or_b32 v4, v4, s0, v3
	v_lshlrev_b32_e32 v4, 2, v4
	ds_add_u32 v4, v5
	v_bfe_u32 v4, v8, 8, 8
	v_lshl_or_b32 v4, v4, 2, v3
	v_lshlrev_b32_e32 v4, 2, v4
	ds_add_u32 v4, v5 offset:4096
	v_bfe_u32 v4, v8, 16, 8
	v_lshl_or_b32 v4, v4, 2, v3
	v_lshlrev_b32_e32 v4, 2, v4
	ds_add_u32 v4, v5 offset:8192
	v_lshrrev_b32_e32 v4, 24, v8
	v_lshl_or_b32 v4, v4, 2, v12
	v_xor_b32_e32 v4, 0x200, v4
	v_lshlrev_b32_e32 v4, 2, v4
	ds_add_u32 v4, v5
	v_lshlrev_b32_e32 v4, 2, v7
	v_and_or_b32 v4, v4, s0, v3
	v_lshlrev_b32_e32 v4, 2, v4
	ds_add_u32 v4, v5
	v_bfe_u32 v4, v7, 8, 8
	v_lshl_or_b32 v4, v4, 2, v3
	v_lshlrev_b32_e32 v4, 2, v4
	ds_add_u32 v4, v5 offset:4096
	v_bfe_u32 v4, v7, 16, 8
	v_lshl_or_b32 v4, v4, 2, v3
	v_lshlrev_b32_e32 v4, 2, v4
	ds_add_u32 v4, v5 offset:8192
	v_lshrrev_b32_e32 v4, 24, v7
	v_lshl_or_b32 v4, v4, 2, v12
	v_xor_b32_e32 v4, 0x200, v4
	v_lshlrev_b32_e32 v4, 2, v4
	ds_add_u32 v4, v5
	v_lshlrev_b32_e32 v4, 2, v6
	v_and_or_b32 v4, v4, s0, v3
	v_lshlrev_b32_e32 v4, 2, v4
	ds_add_u32 v4, v5
	v_bfe_u32 v4, v6, 8, 8
	v_lshl_or_b32 v4, v4, 2, v3
	v_lshlrev_b32_e32 v4, 2, v4
	ds_add_u32 v4, v5 offset:4096
	v_bfe_u32 v4, v6, 16, 8
	v_lshl_or_b32 v4, v4, 2, v3
	v_lshlrev_b32_e32 v4, 2, v4
	ds_add_u32 v4, v5 offset:8192
	v_lshrrev_b32_e32 v4, 24, v6
	v_lshl_or_b32 v4, v4, 2, v12
	v_xor_b32_e32 v4, 0x200, v4
	v_lshlrev_b32_e32 v4, 2, v4
	ds_add_u32 v4, v5
	s_waitcnt vmcnt(0)
	v_lshlrev_b32_e32 v4, 2, v1
	v_and_or_b32 v4, v4, s0, v3
	v_lshlrev_b32_e32 v4, 2, v4
	ds_add_u32 v4, v5
	v_bfe_u32 v4, v1, 8, 8
	v_lshl_or_b32 v4, v4, 2, v3
	v_lshlrev_b32_e32 v4, 2, v4
	ds_add_u32 v4, v5 offset:4096
	v_bfe_u32 v4, v1, 16, 8
	v_lshrrev_b32_e32 v1, 24, v1
	v_lshl_or_b32 v3, v4, 2, v3
	v_lshl_or_b32 v1, v1, 2, v12
	v_lshlrev_b32_e32 v3, 2, v3
	v_xor_b32_e32 v1, 0x200, v1
	ds_add_u32 v3, v5 offset:8192
	v_lshlrev_b32_e32 v1, 2, v1
	ds_add_u32 v1, v5
	s_movk_i32 s0, 0x100
	v_cmp_gt_u32_e32 vcc, s0, v0
	s_waitcnt lgkmcnt(0)
	s_barrier
	s_and_saveexec_b64 s[0:1], vcc
	s_cbranch_execz .LBB1721_219
; %bb.218:
	v_lshlrev_b32_e32 v3, 4, v0
	ds_read2_b32 v[0:1], v3 offset1:1
	ds_read2_b32 v[4:5], v3 offset0:2 offset1:3
	v_add_u32_e32 v6, 0x1000, v3
	v_add_u32_e32 v7, 0x1008, v3
	s_waitcnt lgkmcnt(1)
	v_add_u32_e32 v0, v1, v0
	s_waitcnt lgkmcnt(0)
	v_add3_u32 v0, v0, v4, v5
	global_atomic_add v2, v0, s[6:7]
	ds_read2_b32 v[0:1], v6 offset1:1
	ds_read2_b32 v[4:5], v7 offset1:1
	v_add_u32_e32 v6, 0x2000, v3
	v_add_u32_e32 v7, 0x2008, v3
	s_waitcnt lgkmcnt(1)
	v_add_u32_e32 v0, v1, v0
	s_waitcnt lgkmcnt(0)
	v_add3_u32 v0, v0, v4, v5
	global_atomic_add v2, v0, s[6:7] offset:1024
	ds_read2_b32 v[0:1], v6 offset1:1
	ds_read2_b32 v[4:5], v7 offset1:1
	v_add_u32_e32 v6, 0x3000, v3
	v_add_u32_e32 v3, 0x3008, v3
	s_waitcnt lgkmcnt(1)
	v_add_u32_e32 v0, v1, v0
	s_waitcnt lgkmcnt(0)
	v_add3_u32 v0, v0, v4, v5
	global_atomic_add v2, v0, s[6:7] offset:2048
	ds_read2_b32 v[0:1], v6 offset1:1
	ds_read2_b32 v[4:5], v3 offset1:1
	s_waitcnt lgkmcnt(1)
	v_add_u32_e32 v0, v1, v0
	s_waitcnt lgkmcnt(0)
	v_add3_u32 v0, v0, v4, v5
	global_atomic_add v2, v0, s[6:7] offset:3072
.LBB1721_219:
	s_endpgm
	.section	.rodata,"a",@progbits
	.p2align	6, 0x0
	.amdhsa_kernel _ZN7rocprim17ROCPRIM_400000_NS6detail17trampoline_kernelINS0_14default_configENS1_35radix_sort_onesweep_config_selectorIiNS0_10empty_typeEEEZNS1_34radix_sort_onesweep_global_offsetsIS3_Lb0EN6thrust23THRUST_200600_302600_NS6detail15normal_iteratorINS9_10device_ptrIiEEEEPS5_jNS0_19identity_decomposerEEE10hipError_tT1_T2_PT3_SK_jT4_jjP12ihipStream_tbEUlT_E_NS1_11comp_targetILNS1_3genE5ELNS1_11target_archE942ELNS1_3gpuE9ELNS1_3repE0EEENS1_52radix_sort_onesweep_histogram_config_static_selectorELNS0_4arch9wavefront6targetE1EEEvSI_
		.amdhsa_group_segment_fixed_size 16384
		.amdhsa_private_segment_fixed_size 0
		.amdhsa_kernarg_size 40
		.amdhsa_user_sgpr_count 2
		.amdhsa_user_sgpr_dispatch_ptr 0
		.amdhsa_user_sgpr_queue_ptr 0
		.amdhsa_user_sgpr_kernarg_segment_ptr 1
		.amdhsa_user_sgpr_dispatch_id 0
		.amdhsa_user_sgpr_kernarg_preload_length 0
		.amdhsa_user_sgpr_kernarg_preload_offset 0
		.amdhsa_user_sgpr_private_segment_size 0
		.amdhsa_uses_dynamic_stack 0
		.amdhsa_enable_private_segment 0
		.amdhsa_system_sgpr_workgroup_id_x 1
		.amdhsa_system_sgpr_workgroup_id_y 0
		.amdhsa_system_sgpr_workgroup_id_z 0
		.amdhsa_system_sgpr_workgroup_info 0
		.amdhsa_system_vgpr_workitem_id 0
		.amdhsa_next_free_vgpr 19
		.amdhsa_next_free_sgpr 19
		.amdhsa_accum_offset 20
		.amdhsa_reserve_vcc 1
		.amdhsa_float_round_mode_32 0
		.amdhsa_float_round_mode_16_64 0
		.amdhsa_float_denorm_mode_32 3
		.amdhsa_float_denorm_mode_16_64 3
		.amdhsa_dx10_clamp 1
		.amdhsa_ieee_mode 1
		.amdhsa_fp16_overflow 0
		.amdhsa_tg_split 0
		.amdhsa_exception_fp_ieee_invalid_op 0
		.amdhsa_exception_fp_denorm_src 0
		.amdhsa_exception_fp_ieee_div_zero 0
		.amdhsa_exception_fp_ieee_overflow 0
		.amdhsa_exception_fp_ieee_underflow 0
		.amdhsa_exception_fp_ieee_inexact 0
		.amdhsa_exception_int_div_zero 0
	.end_amdhsa_kernel
	.section	.text._ZN7rocprim17ROCPRIM_400000_NS6detail17trampoline_kernelINS0_14default_configENS1_35radix_sort_onesweep_config_selectorIiNS0_10empty_typeEEEZNS1_34radix_sort_onesweep_global_offsetsIS3_Lb0EN6thrust23THRUST_200600_302600_NS6detail15normal_iteratorINS9_10device_ptrIiEEEEPS5_jNS0_19identity_decomposerEEE10hipError_tT1_T2_PT3_SK_jT4_jjP12ihipStream_tbEUlT_E_NS1_11comp_targetILNS1_3genE5ELNS1_11target_archE942ELNS1_3gpuE9ELNS1_3repE0EEENS1_52radix_sort_onesweep_histogram_config_static_selectorELNS0_4arch9wavefront6targetE1EEEvSI_,"axG",@progbits,_ZN7rocprim17ROCPRIM_400000_NS6detail17trampoline_kernelINS0_14default_configENS1_35radix_sort_onesweep_config_selectorIiNS0_10empty_typeEEEZNS1_34radix_sort_onesweep_global_offsetsIS3_Lb0EN6thrust23THRUST_200600_302600_NS6detail15normal_iteratorINS9_10device_ptrIiEEEEPS5_jNS0_19identity_decomposerEEE10hipError_tT1_T2_PT3_SK_jT4_jjP12ihipStream_tbEUlT_E_NS1_11comp_targetILNS1_3genE5ELNS1_11target_archE942ELNS1_3gpuE9ELNS1_3repE0EEENS1_52radix_sort_onesweep_histogram_config_static_selectorELNS0_4arch9wavefront6targetE1EEEvSI_,comdat
.Lfunc_end1721:
	.size	_ZN7rocprim17ROCPRIM_400000_NS6detail17trampoline_kernelINS0_14default_configENS1_35radix_sort_onesweep_config_selectorIiNS0_10empty_typeEEEZNS1_34radix_sort_onesweep_global_offsetsIS3_Lb0EN6thrust23THRUST_200600_302600_NS6detail15normal_iteratorINS9_10device_ptrIiEEEEPS5_jNS0_19identity_decomposerEEE10hipError_tT1_T2_PT3_SK_jT4_jjP12ihipStream_tbEUlT_E_NS1_11comp_targetILNS1_3genE5ELNS1_11target_archE942ELNS1_3gpuE9ELNS1_3repE0EEENS1_52radix_sort_onesweep_histogram_config_static_selectorELNS0_4arch9wavefront6targetE1EEEvSI_, .Lfunc_end1721-_ZN7rocprim17ROCPRIM_400000_NS6detail17trampoline_kernelINS0_14default_configENS1_35radix_sort_onesweep_config_selectorIiNS0_10empty_typeEEEZNS1_34radix_sort_onesweep_global_offsetsIS3_Lb0EN6thrust23THRUST_200600_302600_NS6detail15normal_iteratorINS9_10device_ptrIiEEEEPS5_jNS0_19identity_decomposerEEE10hipError_tT1_T2_PT3_SK_jT4_jjP12ihipStream_tbEUlT_E_NS1_11comp_targetILNS1_3genE5ELNS1_11target_archE942ELNS1_3gpuE9ELNS1_3repE0EEENS1_52radix_sort_onesweep_histogram_config_static_selectorELNS0_4arch9wavefront6targetE1EEEvSI_
                                        ; -- End function
	.section	.AMDGPU.csdata,"",@progbits
; Kernel info:
; codeLenInByte = 7540
; NumSgprs: 25
; NumVgprs: 19
; NumAgprs: 0
; TotalNumVgprs: 19
; ScratchSize: 0
; MemoryBound: 0
; FloatMode: 240
; IeeeMode: 1
; LDSByteSize: 16384 bytes/workgroup (compile time only)
; SGPRBlocks: 3
; VGPRBlocks: 2
; NumSGPRsForWavesPerEU: 25
; NumVGPRsForWavesPerEU: 19
; AccumOffset: 20
; Occupancy: 8
; WaveLimiterHint : 1
; COMPUTE_PGM_RSRC2:SCRATCH_EN: 0
; COMPUTE_PGM_RSRC2:USER_SGPR: 2
; COMPUTE_PGM_RSRC2:TRAP_HANDLER: 0
; COMPUTE_PGM_RSRC2:TGID_X_EN: 1
; COMPUTE_PGM_RSRC2:TGID_Y_EN: 0
; COMPUTE_PGM_RSRC2:TGID_Z_EN: 0
; COMPUTE_PGM_RSRC2:TIDIG_COMP_CNT: 0
; COMPUTE_PGM_RSRC3_GFX90A:ACCUM_OFFSET: 4
; COMPUTE_PGM_RSRC3_GFX90A:TG_SPLIT: 0
	.section	.text._ZN7rocprim17ROCPRIM_400000_NS6detail17trampoline_kernelINS0_14default_configENS1_35radix_sort_onesweep_config_selectorIiNS0_10empty_typeEEEZNS1_34radix_sort_onesweep_global_offsetsIS3_Lb0EN6thrust23THRUST_200600_302600_NS6detail15normal_iteratorINS9_10device_ptrIiEEEEPS5_jNS0_19identity_decomposerEEE10hipError_tT1_T2_PT3_SK_jT4_jjP12ihipStream_tbEUlT_E_NS1_11comp_targetILNS1_3genE2ELNS1_11target_archE906ELNS1_3gpuE6ELNS1_3repE0EEENS1_52radix_sort_onesweep_histogram_config_static_selectorELNS0_4arch9wavefront6targetE1EEEvSI_,"axG",@progbits,_ZN7rocprim17ROCPRIM_400000_NS6detail17trampoline_kernelINS0_14default_configENS1_35radix_sort_onesweep_config_selectorIiNS0_10empty_typeEEEZNS1_34radix_sort_onesweep_global_offsetsIS3_Lb0EN6thrust23THRUST_200600_302600_NS6detail15normal_iteratorINS9_10device_ptrIiEEEEPS5_jNS0_19identity_decomposerEEE10hipError_tT1_T2_PT3_SK_jT4_jjP12ihipStream_tbEUlT_E_NS1_11comp_targetILNS1_3genE2ELNS1_11target_archE906ELNS1_3gpuE6ELNS1_3repE0EEENS1_52radix_sort_onesweep_histogram_config_static_selectorELNS0_4arch9wavefront6targetE1EEEvSI_,comdat
	.protected	_ZN7rocprim17ROCPRIM_400000_NS6detail17trampoline_kernelINS0_14default_configENS1_35radix_sort_onesweep_config_selectorIiNS0_10empty_typeEEEZNS1_34radix_sort_onesweep_global_offsetsIS3_Lb0EN6thrust23THRUST_200600_302600_NS6detail15normal_iteratorINS9_10device_ptrIiEEEEPS5_jNS0_19identity_decomposerEEE10hipError_tT1_T2_PT3_SK_jT4_jjP12ihipStream_tbEUlT_E_NS1_11comp_targetILNS1_3genE2ELNS1_11target_archE906ELNS1_3gpuE6ELNS1_3repE0EEENS1_52radix_sort_onesweep_histogram_config_static_selectorELNS0_4arch9wavefront6targetE1EEEvSI_ ; -- Begin function _ZN7rocprim17ROCPRIM_400000_NS6detail17trampoline_kernelINS0_14default_configENS1_35radix_sort_onesweep_config_selectorIiNS0_10empty_typeEEEZNS1_34radix_sort_onesweep_global_offsetsIS3_Lb0EN6thrust23THRUST_200600_302600_NS6detail15normal_iteratorINS9_10device_ptrIiEEEEPS5_jNS0_19identity_decomposerEEE10hipError_tT1_T2_PT3_SK_jT4_jjP12ihipStream_tbEUlT_E_NS1_11comp_targetILNS1_3genE2ELNS1_11target_archE906ELNS1_3gpuE6ELNS1_3repE0EEENS1_52radix_sort_onesweep_histogram_config_static_selectorELNS0_4arch9wavefront6targetE1EEEvSI_
	.globl	_ZN7rocprim17ROCPRIM_400000_NS6detail17trampoline_kernelINS0_14default_configENS1_35radix_sort_onesweep_config_selectorIiNS0_10empty_typeEEEZNS1_34radix_sort_onesweep_global_offsetsIS3_Lb0EN6thrust23THRUST_200600_302600_NS6detail15normal_iteratorINS9_10device_ptrIiEEEEPS5_jNS0_19identity_decomposerEEE10hipError_tT1_T2_PT3_SK_jT4_jjP12ihipStream_tbEUlT_E_NS1_11comp_targetILNS1_3genE2ELNS1_11target_archE906ELNS1_3gpuE6ELNS1_3repE0EEENS1_52radix_sort_onesweep_histogram_config_static_selectorELNS0_4arch9wavefront6targetE1EEEvSI_
	.p2align	8
	.type	_ZN7rocprim17ROCPRIM_400000_NS6detail17trampoline_kernelINS0_14default_configENS1_35radix_sort_onesweep_config_selectorIiNS0_10empty_typeEEEZNS1_34radix_sort_onesweep_global_offsetsIS3_Lb0EN6thrust23THRUST_200600_302600_NS6detail15normal_iteratorINS9_10device_ptrIiEEEEPS5_jNS0_19identity_decomposerEEE10hipError_tT1_T2_PT3_SK_jT4_jjP12ihipStream_tbEUlT_E_NS1_11comp_targetILNS1_3genE2ELNS1_11target_archE906ELNS1_3gpuE6ELNS1_3repE0EEENS1_52radix_sort_onesweep_histogram_config_static_selectorELNS0_4arch9wavefront6targetE1EEEvSI_,@function
_ZN7rocprim17ROCPRIM_400000_NS6detail17trampoline_kernelINS0_14default_configENS1_35radix_sort_onesweep_config_selectorIiNS0_10empty_typeEEEZNS1_34radix_sort_onesweep_global_offsetsIS3_Lb0EN6thrust23THRUST_200600_302600_NS6detail15normal_iteratorINS9_10device_ptrIiEEEEPS5_jNS0_19identity_decomposerEEE10hipError_tT1_T2_PT3_SK_jT4_jjP12ihipStream_tbEUlT_E_NS1_11comp_targetILNS1_3genE2ELNS1_11target_archE906ELNS1_3gpuE6ELNS1_3repE0EEENS1_52radix_sort_onesweep_histogram_config_static_selectorELNS0_4arch9wavefront6targetE1EEEvSI_: ; @_ZN7rocprim17ROCPRIM_400000_NS6detail17trampoline_kernelINS0_14default_configENS1_35radix_sort_onesweep_config_selectorIiNS0_10empty_typeEEEZNS1_34radix_sort_onesweep_global_offsetsIS3_Lb0EN6thrust23THRUST_200600_302600_NS6detail15normal_iteratorINS9_10device_ptrIiEEEEPS5_jNS0_19identity_decomposerEEE10hipError_tT1_T2_PT3_SK_jT4_jjP12ihipStream_tbEUlT_E_NS1_11comp_targetILNS1_3genE2ELNS1_11target_archE906ELNS1_3gpuE6ELNS1_3repE0EEENS1_52radix_sort_onesweep_histogram_config_static_selectorELNS0_4arch9wavefront6targetE1EEEvSI_
; %bb.0:
	.section	.rodata,"a",@progbits
	.p2align	6, 0x0
	.amdhsa_kernel _ZN7rocprim17ROCPRIM_400000_NS6detail17trampoline_kernelINS0_14default_configENS1_35radix_sort_onesweep_config_selectorIiNS0_10empty_typeEEEZNS1_34radix_sort_onesweep_global_offsetsIS3_Lb0EN6thrust23THRUST_200600_302600_NS6detail15normal_iteratorINS9_10device_ptrIiEEEEPS5_jNS0_19identity_decomposerEEE10hipError_tT1_T2_PT3_SK_jT4_jjP12ihipStream_tbEUlT_E_NS1_11comp_targetILNS1_3genE2ELNS1_11target_archE906ELNS1_3gpuE6ELNS1_3repE0EEENS1_52radix_sort_onesweep_histogram_config_static_selectorELNS0_4arch9wavefront6targetE1EEEvSI_
		.amdhsa_group_segment_fixed_size 0
		.amdhsa_private_segment_fixed_size 0
		.amdhsa_kernarg_size 40
		.amdhsa_user_sgpr_count 2
		.amdhsa_user_sgpr_dispatch_ptr 0
		.amdhsa_user_sgpr_queue_ptr 0
		.amdhsa_user_sgpr_kernarg_segment_ptr 1
		.amdhsa_user_sgpr_dispatch_id 0
		.amdhsa_user_sgpr_kernarg_preload_length 0
		.amdhsa_user_sgpr_kernarg_preload_offset 0
		.amdhsa_user_sgpr_private_segment_size 0
		.amdhsa_uses_dynamic_stack 0
		.amdhsa_enable_private_segment 0
		.amdhsa_system_sgpr_workgroup_id_x 1
		.amdhsa_system_sgpr_workgroup_id_y 0
		.amdhsa_system_sgpr_workgroup_id_z 0
		.amdhsa_system_sgpr_workgroup_info 0
		.amdhsa_system_vgpr_workitem_id 0
		.amdhsa_next_free_vgpr 1
		.amdhsa_next_free_sgpr 0
		.amdhsa_accum_offset 4
		.amdhsa_reserve_vcc 0
		.amdhsa_float_round_mode_32 0
		.amdhsa_float_round_mode_16_64 0
		.amdhsa_float_denorm_mode_32 3
		.amdhsa_float_denorm_mode_16_64 3
		.amdhsa_dx10_clamp 1
		.amdhsa_ieee_mode 1
		.amdhsa_fp16_overflow 0
		.amdhsa_tg_split 0
		.amdhsa_exception_fp_ieee_invalid_op 0
		.amdhsa_exception_fp_denorm_src 0
		.amdhsa_exception_fp_ieee_div_zero 0
		.amdhsa_exception_fp_ieee_overflow 0
		.amdhsa_exception_fp_ieee_underflow 0
		.amdhsa_exception_fp_ieee_inexact 0
		.amdhsa_exception_int_div_zero 0
	.end_amdhsa_kernel
	.section	.text._ZN7rocprim17ROCPRIM_400000_NS6detail17trampoline_kernelINS0_14default_configENS1_35radix_sort_onesweep_config_selectorIiNS0_10empty_typeEEEZNS1_34radix_sort_onesweep_global_offsetsIS3_Lb0EN6thrust23THRUST_200600_302600_NS6detail15normal_iteratorINS9_10device_ptrIiEEEEPS5_jNS0_19identity_decomposerEEE10hipError_tT1_T2_PT3_SK_jT4_jjP12ihipStream_tbEUlT_E_NS1_11comp_targetILNS1_3genE2ELNS1_11target_archE906ELNS1_3gpuE6ELNS1_3repE0EEENS1_52radix_sort_onesweep_histogram_config_static_selectorELNS0_4arch9wavefront6targetE1EEEvSI_,"axG",@progbits,_ZN7rocprim17ROCPRIM_400000_NS6detail17trampoline_kernelINS0_14default_configENS1_35radix_sort_onesweep_config_selectorIiNS0_10empty_typeEEEZNS1_34radix_sort_onesweep_global_offsetsIS3_Lb0EN6thrust23THRUST_200600_302600_NS6detail15normal_iteratorINS9_10device_ptrIiEEEEPS5_jNS0_19identity_decomposerEEE10hipError_tT1_T2_PT3_SK_jT4_jjP12ihipStream_tbEUlT_E_NS1_11comp_targetILNS1_3genE2ELNS1_11target_archE906ELNS1_3gpuE6ELNS1_3repE0EEENS1_52radix_sort_onesweep_histogram_config_static_selectorELNS0_4arch9wavefront6targetE1EEEvSI_,comdat
.Lfunc_end1722:
	.size	_ZN7rocprim17ROCPRIM_400000_NS6detail17trampoline_kernelINS0_14default_configENS1_35radix_sort_onesweep_config_selectorIiNS0_10empty_typeEEEZNS1_34radix_sort_onesweep_global_offsetsIS3_Lb0EN6thrust23THRUST_200600_302600_NS6detail15normal_iteratorINS9_10device_ptrIiEEEEPS5_jNS0_19identity_decomposerEEE10hipError_tT1_T2_PT3_SK_jT4_jjP12ihipStream_tbEUlT_E_NS1_11comp_targetILNS1_3genE2ELNS1_11target_archE906ELNS1_3gpuE6ELNS1_3repE0EEENS1_52radix_sort_onesweep_histogram_config_static_selectorELNS0_4arch9wavefront6targetE1EEEvSI_, .Lfunc_end1722-_ZN7rocprim17ROCPRIM_400000_NS6detail17trampoline_kernelINS0_14default_configENS1_35radix_sort_onesweep_config_selectorIiNS0_10empty_typeEEEZNS1_34radix_sort_onesweep_global_offsetsIS3_Lb0EN6thrust23THRUST_200600_302600_NS6detail15normal_iteratorINS9_10device_ptrIiEEEEPS5_jNS0_19identity_decomposerEEE10hipError_tT1_T2_PT3_SK_jT4_jjP12ihipStream_tbEUlT_E_NS1_11comp_targetILNS1_3genE2ELNS1_11target_archE906ELNS1_3gpuE6ELNS1_3repE0EEENS1_52radix_sort_onesweep_histogram_config_static_selectorELNS0_4arch9wavefront6targetE1EEEvSI_
                                        ; -- End function
	.section	.AMDGPU.csdata,"",@progbits
; Kernel info:
; codeLenInByte = 0
; NumSgprs: 6
; NumVgprs: 0
; NumAgprs: 0
; TotalNumVgprs: 0
; ScratchSize: 0
; MemoryBound: 0
; FloatMode: 240
; IeeeMode: 1
; LDSByteSize: 0 bytes/workgroup (compile time only)
; SGPRBlocks: 0
; VGPRBlocks: 0
; NumSGPRsForWavesPerEU: 6
; NumVGPRsForWavesPerEU: 1
; AccumOffset: 4
; Occupancy: 8
; WaveLimiterHint : 0
; COMPUTE_PGM_RSRC2:SCRATCH_EN: 0
; COMPUTE_PGM_RSRC2:USER_SGPR: 2
; COMPUTE_PGM_RSRC2:TRAP_HANDLER: 0
; COMPUTE_PGM_RSRC2:TGID_X_EN: 1
; COMPUTE_PGM_RSRC2:TGID_Y_EN: 0
; COMPUTE_PGM_RSRC2:TGID_Z_EN: 0
; COMPUTE_PGM_RSRC2:TIDIG_COMP_CNT: 0
; COMPUTE_PGM_RSRC3_GFX90A:ACCUM_OFFSET: 0
; COMPUTE_PGM_RSRC3_GFX90A:TG_SPLIT: 0
	.section	.text._ZN7rocprim17ROCPRIM_400000_NS6detail17trampoline_kernelINS0_14default_configENS1_35radix_sort_onesweep_config_selectorIiNS0_10empty_typeEEEZNS1_34radix_sort_onesweep_global_offsetsIS3_Lb0EN6thrust23THRUST_200600_302600_NS6detail15normal_iteratorINS9_10device_ptrIiEEEEPS5_jNS0_19identity_decomposerEEE10hipError_tT1_T2_PT3_SK_jT4_jjP12ihipStream_tbEUlT_E_NS1_11comp_targetILNS1_3genE4ELNS1_11target_archE910ELNS1_3gpuE8ELNS1_3repE0EEENS1_52radix_sort_onesweep_histogram_config_static_selectorELNS0_4arch9wavefront6targetE1EEEvSI_,"axG",@progbits,_ZN7rocprim17ROCPRIM_400000_NS6detail17trampoline_kernelINS0_14default_configENS1_35radix_sort_onesweep_config_selectorIiNS0_10empty_typeEEEZNS1_34radix_sort_onesweep_global_offsetsIS3_Lb0EN6thrust23THRUST_200600_302600_NS6detail15normal_iteratorINS9_10device_ptrIiEEEEPS5_jNS0_19identity_decomposerEEE10hipError_tT1_T2_PT3_SK_jT4_jjP12ihipStream_tbEUlT_E_NS1_11comp_targetILNS1_3genE4ELNS1_11target_archE910ELNS1_3gpuE8ELNS1_3repE0EEENS1_52radix_sort_onesweep_histogram_config_static_selectorELNS0_4arch9wavefront6targetE1EEEvSI_,comdat
	.protected	_ZN7rocprim17ROCPRIM_400000_NS6detail17trampoline_kernelINS0_14default_configENS1_35radix_sort_onesweep_config_selectorIiNS0_10empty_typeEEEZNS1_34radix_sort_onesweep_global_offsetsIS3_Lb0EN6thrust23THRUST_200600_302600_NS6detail15normal_iteratorINS9_10device_ptrIiEEEEPS5_jNS0_19identity_decomposerEEE10hipError_tT1_T2_PT3_SK_jT4_jjP12ihipStream_tbEUlT_E_NS1_11comp_targetILNS1_3genE4ELNS1_11target_archE910ELNS1_3gpuE8ELNS1_3repE0EEENS1_52radix_sort_onesweep_histogram_config_static_selectorELNS0_4arch9wavefront6targetE1EEEvSI_ ; -- Begin function _ZN7rocprim17ROCPRIM_400000_NS6detail17trampoline_kernelINS0_14default_configENS1_35radix_sort_onesweep_config_selectorIiNS0_10empty_typeEEEZNS1_34radix_sort_onesweep_global_offsetsIS3_Lb0EN6thrust23THRUST_200600_302600_NS6detail15normal_iteratorINS9_10device_ptrIiEEEEPS5_jNS0_19identity_decomposerEEE10hipError_tT1_T2_PT3_SK_jT4_jjP12ihipStream_tbEUlT_E_NS1_11comp_targetILNS1_3genE4ELNS1_11target_archE910ELNS1_3gpuE8ELNS1_3repE0EEENS1_52radix_sort_onesweep_histogram_config_static_selectorELNS0_4arch9wavefront6targetE1EEEvSI_
	.globl	_ZN7rocprim17ROCPRIM_400000_NS6detail17trampoline_kernelINS0_14default_configENS1_35radix_sort_onesweep_config_selectorIiNS0_10empty_typeEEEZNS1_34radix_sort_onesweep_global_offsetsIS3_Lb0EN6thrust23THRUST_200600_302600_NS6detail15normal_iteratorINS9_10device_ptrIiEEEEPS5_jNS0_19identity_decomposerEEE10hipError_tT1_T2_PT3_SK_jT4_jjP12ihipStream_tbEUlT_E_NS1_11comp_targetILNS1_3genE4ELNS1_11target_archE910ELNS1_3gpuE8ELNS1_3repE0EEENS1_52radix_sort_onesweep_histogram_config_static_selectorELNS0_4arch9wavefront6targetE1EEEvSI_
	.p2align	8
	.type	_ZN7rocprim17ROCPRIM_400000_NS6detail17trampoline_kernelINS0_14default_configENS1_35radix_sort_onesweep_config_selectorIiNS0_10empty_typeEEEZNS1_34radix_sort_onesweep_global_offsetsIS3_Lb0EN6thrust23THRUST_200600_302600_NS6detail15normal_iteratorINS9_10device_ptrIiEEEEPS5_jNS0_19identity_decomposerEEE10hipError_tT1_T2_PT3_SK_jT4_jjP12ihipStream_tbEUlT_E_NS1_11comp_targetILNS1_3genE4ELNS1_11target_archE910ELNS1_3gpuE8ELNS1_3repE0EEENS1_52radix_sort_onesweep_histogram_config_static_selectorELNS0_4arch9wavefront6targetE1EEEvSI_,@function
_ZN7rocprim17ROCPRIM_400000_NS6detail17trampoline_kernelINS0_14default_configENS1_35radix_sort_onesweep_config_selectorIiNS0_10empty_typeEEEZNS1_34radix_sort_onesweep_global_offsetsIS3_Lb0EN6thrust23THRUST_200600_302600_NS6detail15normal_iteratorINS9_10device_ptrIiEEEEPS5_jNS0_19identity_decomposerEEE10hipError_tT1_T2_PT3_SK_jT4_jjP12ihipStream_tbEUlT_E_NS1_11comp_targetILNS1_3genE4ELNS1_11target_archE910ELNS1_3gpuE8ELNS1_3repE0EEENS1_52radix_sort_onesweep_histogram_config_static_selectorELNS0_4arch9wavefront6targetE1EEEvSI_: ; @_ZN7rocprim17ROCPRIM_400000_NS6detail17trampoline_kernelINS0_14default_configENS1_35radix_sort_onesweep_config_selectorIiNS0_10empty_typeEEEZNS1_34radix_sort_onesweep_global_offsetsIS3_Lb0EN6thrust23THRUST_200600_302600_NS6detail15normal_iteratorINS9_10device_ptrIiEEEEPS5_jNS0_19identity_decomposerEEE10hipError_tT1_T2_PT3_SK_jT4_jjP12ihipStream_tbEUlT_E_NS1_11comp_targetILNS1_3genE4ELNS1_11target_archE910ELNS1_3gpuE8ELNS1_3repE0EEENS1_52radix_sort_onesweep_histogram_config_static_selectorELNS0_4arch9wavefront6targetE1EEEvSI_
; %bb.0:
	.section	.rodata,"a",@progbits
	.p2align	6, 0x0
	.amdhsa_kernel _ZN7rocprim17ROCPRIM_400000_NS6detail17trampoline_kernelINS0_14default_configENS1_35radix_sort_onesweep_config_selectorIiNS0_10empty_typeEEEZNS1_34radix_sort_onesweep_global_offsetsIS3_Lb0EN6thrust23THRUST_200600_302600_NS6detail15normal_iteratorINS9_10device_ptrIiEEEEPS5_jNS0_19identity_decomposerEEE10hipError_tT1_T2_PT3_SK_jT4_jjP12ihipStream_tbEUlT_E_NS1_11comp_targetILNS1_3genE4ELNS1_11target_archE910ELNS1_3gpuE8ELNS1_3repE0EEENS1_52radix_sort_onesweep_histogram_config_static_selectorELNS0_4arch9wavefront6targetE1EEEvSI_
		.amdhsa_group_segment_fixed_size 0
		.amdhsa_private_segment_fixed_size 0
		.amdhsa_kernarg_size 40
		.amdhsa_user_sgpr_count 2
		.amdhsa_user_sgpr_dispatch_ptr 0
		.amdhsa_user_sgpr_queue_ptr 0
		.amdhsa_user_sgpr_kernarg_segment_ptr 1
		.amdhsa_user_sgpr_dispatch_id 0
		.amdhsa_user_sgpr_kernarg_preload_length 0
		.amdhsa_user_sgpr_kernarg_preload_offset 0
		.amdhsa_user_sgpr_private_segment_size 0
		.amdhsa_uses_dynamic_stack 0
		.amdhsa_enable_private_segment 0
		.amdhsa_system_sgpr_workgroup_id_x 1
		.amdhsa_system_sgpr_workgroup_id_y 0
		.amdhsa_system_sgpr_workgroup_id_z 0
		.amdhsa_system_sgpr_workgroup_info 0
		.amdhsa_system_vgpr_workitem_id 0
		.amdhsa_next_free_vgpr 1
		.amdhsa_next_free_sgpr 0
		.amdhsa_accum_offset 4
		.amdhsa_reserve_vcc 0
		.amdhsa_float_round_mode_32 0
		.amdhsa_float_round_mode_16_64 0
		.amdhsa_float_denorm_mode_32 3
		.amdhsa_float_denorm_mode_16_64 3
		.amdhsa_dx10_clamp 1
		.amdhsa_ieee_mode 1
		.amdhsa_fp16_overflow 0
		.amdhsa_tg_split 0
		.amdhsa_exception_fp_ieee_invalid_op 0
		.amdhsa_exception_fp_denorm_src 0
		.amdhsa_exception_fp_ieee_div_zero 0
		.amdhsa_exception_fp_ieee_overflow 0
		.amdhsa_exception_fp_ieee_underflow 0
		.amdhsa_exception_fp_ieee_inexact 0
		.amdhsa_exception_int_div_zero 0
	.end_amdhsa_kernel
	.section	.text._ZN7rocprim17ROCPRIM_400000_NS6detail17trampoline_kernelINS0_14default_configENS1_35radix_sort_onesweep_config_selectorIiNS0_10empty_typeEEEZNS1_34radix_sort_onesweep_global_offsetsIS3_Lb0EN6thrust23THRUST_200600_302600_NS6detail15normal_iteratorINS9_10device_ptrIiEEEEPS5_jNS0_19identity_decomposerEEE10hipError_tT1_T2_PT3_SK_jT4_jjP12ihipStream_tbEUlT_E_NS1_11comp_targetILNS1_3genE4ELNS1_11target_archE910ELNS1_3gpuE8ELNS1_3repE0EEENS1_52radix_sort_onesweep_histogram_config_static_selectorELNS0_4arch9wavefront6targetE1EEEvSI_,"axG",@progbits,_ZN7rocprim17ROCPRIM_400000_NS6detail17trampoline_kernelINS0_14default_configENS1_35radix_sort_onesweep_config_selectorIiNS0_10empty_typeEEEZNS1_34radix_sort_onesweep_global_offsetsIS3_Lb0EN6thrust23THRUST_200600_302600_NS6detail15normal_iteratorINS9_10device_ptrIiEEEEPS5_jNS0_19identity_decomposerEEE10hipError_tT1_T2_PT3_SK_jT4_jjP12ihipStream_tbEUlT_E_NS1_11comp_targetILNS1_3genE4ELNS1_11target_archE910ELNS1_3gpuE8ELNS1_3repE0EEENS1_52radix_sort_onesweep_histogram_config_static_selectorELNS0_4arch9wavefront6targetE1EEEvSI_,comdat
.Lfunc_end1723:
	.size	_ZN7rocprim17ROCPRIM_400000_NS6detail17trampoline_kernelINS0_14default_configENS1_35radix_sort_onesweep_config_selectorIiNS0_10empty_typeEEEZNS1_34radix_sort_onesweep_global_offsetsIS3_Lb0EN6thrust23THRUST_200600_302600_NS6detail15normal_iteratorINS9_10device_ptrIiEEEEPS5_jNS0_19identity_decomposerEEE10hipError_tT1_T2_PT3_SK_jT4_jjP12ihipStream_tbEUlT_E_NS1_11comp_targetILNS1_3genE4ELNS1_11target_archE910ELNS1_3gpuE8ELNS1_3repE0EEENS1_52radix_sort_onesweep_histogram_config_static_selectorELNS0_4arch9wavefront6targetE1EEEvSI_, .Lfunc_end1723-_ZN7rocprim17ROCPRIM_400000_NS6detail17trampoline_kernelINS0_14default_configENS1_35radix_sort_onesweep_config_selectorIiNS0_10empty_typeEEEZNS1_34radix_sort_onesweep_global_offsetsIS3_Lb0EN6thrust23THRUST_200600_302600_NS6detail15normal_iteratorINS9_10device_ptrIiEEEEPS5_jNS0_19identity_decomposerEEE10hipError_tT1_T2_PT3_SK_jT4_jjP12ihipStream_tbEUlT_E_NS1_11comp_targetILNS1_3genE4ELNS1_11target_archE910ELNS1_3gpuE8ELNS1_3repE0EEENS1_52radix_sort_onesweep_histogram_config_static_selectorELNS0_4arch9wavefront6targetE1EEEvSI_
                                        ; -- End function
	.section	.AMDGPU.csdata,"",@progbits
; Kernel info:
; codeLenInByte = 0
; NumSgprs: 6
; NumVgprs: 0
; NumAgprs: 0
; TotalNumVgprs: 0
; ScratchSize: 0
; MemoryBound: 0
; FloatMode: 240
; IeeeMode: 1
; LDSByteSize: 0 bytes/workgroup (compile time only)
; SGPRBlocks: 0
; VGPRBlocks: 0
; NumSGPRsForWavesPerEU: 6
; NumVGPRsForWavesPerEU: 1
; AccumOffset: 4
; Occupancy: 8
; WaveLimiterHint : 0
; COMPUTE_PGM_RSRC2:SCRATCH_EN: 0
; COMPUTE_PGM_RSRC2:USER_SGPR: 2
; COMPUTE_PGM_RSRC2:TRAP_HANDLER: 0
; COMPUTE_PGM_RSRC2:TGID_X_EN: 1
; COMPUTE_PGM_RSRC2:TGID_Y_EN: 0
; COMPUTE_PGM_RSRC2:TGID_Z_EN: 0
; COMPUTE_PGM_RSRC2:TIDIG_COMP_CNT: 0
; COMPUTE_PGM_RSRC3_GFX90A:ACCUM_OFFSET: 0
; COMPUTE_PGM_RSRC3_GFX90A:TG_SPLIT: 0
	.section	.text._ZN7rocprim17ROCPRIM_400000_NS6detail17trampoline_kernelINS0_14default_configENS1_35radix_sort_onesweep_config_selectorIiNS0_10empty_typeEEEZNS1_34radix_sort_onesweep_global_offsetsIS3_Lb0EN6thrust23THRUST_200600_302600_NS6detail15normal_iteratorINS9_10device_ptrIiEEEEPS5_jNS0_19identity_decomposerEEE10hipError_tT1_T2_PT3_SK_jT4_jjP12ihipStream_tbEUlT_E_NS1_11comp_targetILNS1_3genE3ELNS1_11target_archE908ELNS1_3gpuE7ELNS1_3repE0EEENS1_52radix_sort_onesweep_histogram_config_static_selectorELNS0_4arch9wavefront6targetE1EEEvSI_,"axG",@progbits,_ZN7rocprim17ROCPRIM_400000_NS6detail17trampoline_kernelINS0_14default_configENS1_35radix_sort_onesweep_config_selectorIiNS0_10empty_typeEEEZNS1_34radix_sort_onesweep_global_offsetsIS3_Lb0EN6thrust23THRUST_200600_302600_NS6detail15normal_iteratorINS9_10device_ptrIiEEEEPS5_jNS0_19identity_decomposerEEE10hipError_tT1_T2_PT3_SK_jT4_jjP12ihipStream_tbEUlT_E_NS1_11comp_targetILNS1_3genE3ELNS1_11target_archE908ELNS1_3gpuE7ELNS1_3repE0EEENS1_52radix_sort_onesweep_histogram_config_static_selectorELNS0_4arch9wavefront6targetE1EEEvSI_,comdat
	.protected	_ZN7rocprim17ROCPRIM_400000_NS6detail17trampoline_kernelINS0_14default_configENS1_35radix_sort_onesweep_config_selectorIiNS0_10empty_typeEEEZNS1_34radix_sort_onesweep_global_offsetsIS3_Lb0EN6thrust23THRUST_200600_302600_NS6detail15normal_iteratorINS9_10device_ptrIiEEEEPS5_jNS0_19identity_decomposerEEE10hipError_tT1_T2_PT3_SK_jT4_jjP12ihipStream_tbEUlT_E_NS1_11comp_targetILNS1_3genE3ELNS1_11target_archE908ELNS1_3gpuE7ELNS1_3repE0EEENS1_52radix_sort_onesweep_histogram_config_static_selectorELNS0_4arch9wavefront6targetE1EEEvSI_ ; -- Begin function _ZN7rocprim17ROCPRIM_400000_NS6detail17trampoline_kernelINS0_14default_configENS1_35radix_sort_onesweep_config_selectorIiNS0_10empty_typeEEEZNS1_34radix_sort_onesweep_global_offsetsIS3_Lb0EN6thrust23THRUST_200600_302600_NS6detail15normal_iteratorINS9_10device_ptrIiEEEEPS5_jNS0_19identity_decomposerEEE10hipError_tT1_T2_PT3_SK_jT4_jjP12ihipStream_tbEUlT_E_NS1_11comp_targetILNS1_3genE3ELNS1_11target_archE908ELNS1_3gpuE7ELNS1_3repE0EEENS1_52radix_sort_onesweep_histogram_config_static_selectorELNS0_4arch9wavefront6targetE1EEEvSI_
	.globl	_ZN7rocprim17ROCPRIM_400000_NS6detail17trampoline_kernelINS0_14default_configENS1_35radix_sort_onesweep_config_selectorIiNS0_10empty_typeEEEZNS1_34radix_sort_onesweep_global_offsetsIS3_Lb0EN6thrust23THRUST_200600_302600_NS6detail15normal_iteratorINS9_10device_ptrIiEEEEPS5_jNS0_19identity_decomposerEEE10hipError_tT1_T2_PT3_SK_jT4_jjP12ihipStream_tbEUlT_E_NS1_11comp_targetILNS1_3genE3ELNS1_11target_archE908ELNS1_3gpuE7ELNS1_3repE0EEENS1_52radix_sort_onesweep_histogram_config_static_selectorELNS0_4arch9wavefront6targetE1EEEvSI_
	.p2align	8
	.type	_ZN7rocprim17ROCPRIM_400000_NS6detail17trampoline_kernelINS0_14default_configENS1_35radix_sort_onesweep_config_selectorIiNS0_10empty_typeEEEZNS1_34radix_sort_onesweep_global_offsetsIS3_Lb0EN6thrust23THRUST_200600_302600_NS6detail15normal_iteratorINS9_10device_ptrIiEEEEPS5_jNS0_19identity_decomposerEEE10hipError_tT1_T2_PT3_SK_jT4_jjP12ihipStream_tbEUlT_E_NS1_11comp_targetILNS1_3genE3ELNS1_11target_archE908ELNS1_3gpuE7ELNS1_3repE0EEENS1_52radix_sort_onesweep_histogram_config_static_selectorELNS0_4arch9wavefront6targetE1EEEvSI_,@function
_ZN7rocprim17ROCPRIM_400000_NS6detail17trampoline_kernelINS0_14default_configENS1_35radix_sort_onesweep_config_selectorIiNS0_10empty_typeEEEZNS1_34radix_sort_onesweep_global_offsetsIS3_Lb0EN6thrust23THRUST_200600_302600_NS6detail15normal_iteratorINS9_10device_ptrIiEEEEPS5_jNS0_19identity_decomposerEEE10hipError_tT1_T2_PT3_SK_jT4_jjP12ihipStream_tbEUlT_E_NS1_11comp_targetILNS1_3genE3ELNS1_11target_archE908ELNS1_3gpuE7ELNS1_3repE0EEENS1_52radix_sort_onesweep_histogram_config_static_selectorELNS0_4arch9wavefront6targetE1EEEvSI_: ; @_ZN7rocprim17ROCPRIM_400000_NS6detail17trampoline_kernelINS0_14default_configENS1_35radix_sort_onesweep_config_selectorIiNS0_10empty_typeEEEZNS1_34radix_sort_onesweep_global_offsetsIS3_Lb0EN6thrust23THRUST_200600_302600_NS6detail15normal_iteratorINS9_10device_ptrIiEEEEPS5_jNS0_19identity_decomposerEEE10hipError_tT1_T2_PT3_SK_jT4_jjP12ihipStream_tbEUlT_E_NS1_11comp_targetILNS1_3genE3ELNS1_11target_archE908ELNS1_3gpuE7ELNS1_3repE0EEENS1_52radix_sort_onesweep_histogram_config_static_selectorELNS0_4arch9wavefront6targetE1EEEvSI_
; %bb.0:
	.section	.rodata,"a",@progbits
	.p2align	6, 0x0
	.amdhsa_kernel _ZN7rocprim17ROCPRIM_400000_NS6detail17trampoline_kernelINS0_14default_configENS1_35radix_sort_onesweep_config_selectorIiNS0_10empty_typeEEEZNS1_34radix_sort_onesweep_global_offsetsIS3_Lb0EN6thrust23THRUST_200600_302600_NS6detail15normal_iteratorINS9_10device_ptrIiEEEEPS5_jNS0_19identity_decomposerEEE10hipError_tT1_T2_PT3_SK_jT4_jjP12ihipStream_tbEUlT_E_NS1_11comp_targetILNS1_3genE3ELNS1_11target_archE908ELNS1_3gpuE7ELNS1_3repE0EEENS1_52radix_sort_onesweep_histogram_config_static_selectorELNS0_4arch9wavefront6targetE1EEEvSI_
		.amdhsa_group_segment_fixed_size 0
		.amdhsa_private_segment_fixed_size 0
		.amdhsa_kernarg_size 40
		.amdhsa_user_sgpr_count 2
		.amdhsa_user_sgpr_dispatch_ptr 0
		.amdhsa_user_sgpr_queue_ptr 0
		.amdhsa_user_sgpr_kernarg_segment_ptr 1
		.amdhsa_user_sgpr_dispatch_id 0
		.amdhsa_user_sgpr_kernarg_preload_length 0
		.amdhsa_user_sgpr_kernarg_preload_offset 0
		.amdhsa_user_sgpr_private_segment_size 0
		.amdhsa_uses_dynamic_stack 0
		.amdhsa_enable_private_segment 0
		.amdhsa_system_sgpr_workgroup_id_x 1
		.amdhsa_system_sgpr_workgroup_id_y 0
		.amdhsa_system_sgpr_workgroup_id_z 0
		.amdhsa_system_sgpr_workgroup_info 0
		.amdhsa_system_vgpr_workitem_id 0
		.amdhsa_next_free_vgpr 1
		.amdhsa_next_free_sgpr 0
		.amdhsa_accum_offset 4
		.amdhsa_reserve_vcc 0
		.amdhsa_float_round_mode_32 0
		.amdhsa_float_round_mode_16_64 0
		.amdhsa_float_denorm_mode_32 3
		.amdhsa_float_denorm_mode_16_64 3
		.amdhsa_dx10_clamp 1
		.amdhsa_ieee_mode 1
		.amdhsa_fp16_overflow 0
		.amdhsa_tg_split 0
		.amdhsa_exception_fp_ieee_invalid_op 0
		.amdhsa_exception_fp_denorm_src 0
		.amdhsa_exception_fp_ieee_div_zero 0
		.amdhsa_exception_fp_ieee_overflow 0
		.amdhsa_exception_fp_ieee_underflow 0
		.amdhsa_exception_fp_ieee_inexact 0
		.amdhsa_exception_int_div_zero 0
	.end_amdhsa_kernel
	.section	.text._ZN7rocprim17ROCPRIM_400000_NS6detail17trampoline_kernelINS0_14default_configENS1_35radix_sort_onesweep_config_selectorIiNS0_10empty_typeEEEZNS1_34radix_sort_onesweep_global_offsetsIS3_Lb0EN6thrust23THRUST_200600_302600_NS6detail15normal_iteratorINS9_10device_ptrIiEEEEPS5_jNS0_19identity_decomposerEEE10hipError_tT1_T2_PT3_SK_jT4_jjP12ihipStream_tbEUlT_E_NS1_11comp_targetILNS1_3genE3ELNS1_11target_archE908ELNS1_3gpuE7ELNS1_3repE0EEENS1_52radix_sort_onesweep_histogram_config_static_selectorELNS0_4arch9wavefront6targetE1EEEvSI_,"axG",@progbits,_ZN7rocprim17ROCPRIM_400000_NS6detail17trampoline_kernelINS0_14default_configENS1_35radix_sort_onesweep_config_selectorIiNS0_10empty_typeEEEZNS1_34radix_sort_onesweep_global_offsetsIS3_Lb0EN6thrust23THRUST_200600_302600_NS6detail15normal_iteratorINS9_10device_ptrIiEEEEPS5_jNS0_19identity_decomposerEEE10hipError_tT1_T2_PT3_SK_jT4_jjP12ihipStream_tbEUlT_E_NS1_11comp_targetILNS1_3genE3ELNS1_11target_archE908ELNS1_3gpuE7ELNS1_3repE0EEENS1_52radix_sort_onesweep_histogram_config_static_selectorELNS0_4arch9wavefront6targetE1EEEvSI_,comdat
.Lfunc_end1724:
	.size	_ZN7rocprim17ROCPRIM_400000_NS6detail17trampoline_kernelINS0_14default_configENS1_35radix_sort_onesweep_config_selectorIiNS0_10empty_typeEEEZNS1_34radix_sort_onesweep_global_offsetsIS3_Lb0EN6thrust23THRUST_200600_302600_NS6detail15normal_iteratorINS9_10device_ptrIiEEEEPS5_jNS0_19identity_decomposerEEE10hipError_tT1_T2_PT3_SK_jT4_jjP12ihipStream_tbEUlT_E_NS1_11comp_targetILNS1_3genE3ELNS1_11target_archE908ELNS1_3gpuE7ELNS1_3repE0EEENS1_52radix_sort_onesweep_histogram_config_static_selectorELNS0_4arch9wavefront6targetE1EEEvSI_, .Lfunc_end1724-_ZN7rocprim17ROCPRIM_400000_NS6detail17trampoline_kernelINS0_14default_configENS1_35radix_sort_onesweep_config_selectorIiNS0_10empty_typeEEEZNS1_34radix_sort_onesweep_global_offsetsIS3_Lb0EN6thrust23THRUST_200600_302600_NS6detail15normal_iteratorINS9_10device_ptrIiEEEEPS5_jNS0_19identity_decomposerEEE10hipError_tT1_T2_PT3_SK_jT4_jjP12ihipStream_tbEUlT_E_NS1_11comp_targetILNS1_3genE3ELNS1_11target_archE908ELNS1_3gpuE7ELNS1_3repE0EEENS1_52radix_sort_onesweep_histogram_config_static_selectorELNS0_4arch9wavefront6targetE1EEEvSI_
                                        ; -- End function
	.section	.AMDGPU.csdata,"",@progbits
; Kernel info:
; codeLenInByte = 0
; NumSgprs: 6
; NumVgprs: 0
; NumAgprs: 0
; TotalNumVgprs: 0
; ScratchSize: 0
; MemoryBound: 0
; FloatMode: 240
; IeeeMode: 1
; LDSByteSize: 0 bytes/workgroup (compile time only)
; SGPRBlocks: 0
; VGPRBlocks: 0
; NumSGPRsForWavesPerEU: 6
; NumVGPRsForWavesPerEU: 1
; AccumOffset: 4
; Occupancy: 8
; WaveLimiterHint : 0
; COMPUTE_PGM_RSRC2:SCRATCH_EN: 0
; COMPUTE_PGM_RSRC2:USER_SGPR: 2
; COMPUTE_PGM_RSRC2:TRAP_HANDLER: 0
; COMPUTE_PGM_RSRC2:TGID_X_EN: 1
; COMPUTE_PGM_RSRC2:TGID_Y_EN: 0
; COMPUTE_PGM_RSRC2:TGID_Z_EN: 0
; COMPUTE_PGM_RSRC2:TIDIG_COMP_CNT: 0
; COMPUTE_PGM_RSRC3_GFX90A:ACCUM_OFFSET: 0
; COMPUTE_PGM_RSRC3_GFX90A:TG_SPLIT: 0
	.section	.text._ZN7rocprim17ROCPRIM_400000_NS6detail17trampoline_kernelINS0_14default_configENS1_35radix_sort_onesweep_config_selectorIiNS0_10empty_typeEEEZNS1_34radix_sort_onesweep_global_offsetsIS3_Lb0EN6thrust23THRUST_200600_302600_NS6detail15normal_iteratorINS9_10device_ptrIiEEEEPS5_jNS0_19identity_decomposerEEE10hipError_tT1_T2_PT3_SK_jT4_jjP12ihipStream_tbEUlT_E_NS1_11comp_targetILNS1_3genE10ELNS1_11target_archE1201ELNS1_3gpuE5ELNS1_3repE0EEENS1_52radix_sort_onesweep_histogram_config_static_selectorELNS0_4arch9wavefront6targetE1EEEvSI_,"axG",@progbits,_ZN7rocprim17ROCPRIM_400000_NS6detail17trampoline_kernelINS0_14default_configENS1_35radix_sort_onesweep_config_selectorIiNS0_10empty_typeEEEZNS1_34radix_sort_onesweep_global_offsetsIS3_Lb0EN6thrust23THRUST_200600_302600_NS6detail15normal_iteratorINS9_10device_ptrIiEEEEPS5_jNS0_19identity_decomposerEEE10hipError_tT1_T2_PT3_SK_jT4_jjP12ihipStream_tbEUlT_E_NS1_11comp_targetILNS1_3genE10ELNS1_11target_archE1201ELNS1_3gpuE5ELNS1_3repE0EEENS1_52radix_sort_onesweep_histogram_config_static_selectorELNS0_4arch9wavefront6targetE1EEEvSI_,comdat
	.protected	_ZN7rocprim17ROCPRIM_400000_NS6detail17trampoline_kernelINS0_14default_configENS1_35radix_sort_onesweep_config_selectorIiNS0_10empty_typeEEEZNS1_34radix_sort_onesweep_global_offsetsIS3_Lb0EN6thrust23THRUST_200600_302600_NS6detail15normal_iteratorINS9_10device_ptrIiEEEEPS5_jNS0_19identity_decomposerEEE10hipError_tT1_T2_PT3_SK_jT4_jjP12ihipStream_tbEUlT_E_NS1_11comp_targetILNS1_3genE10ELNS1_11target_archE1201ELNS1_3gpuE5ELNS1_3repE0EEENS1_52radix_sort_onesweep_histogram_config_static_selectorELNS0_4arch9wavefront6targetE1EEEvSI_ ; -- Begin function _ZN7rocprim17ROCPRIM_400000_NS6detail17trampoline_kernelINS0_14default_configENS1_35radix_sort_onesweep_config_selectorIiNS0_10empty_typeEEEZNS1_34radix_sort_onesweep_global_offsetsIS3_Lb0EN6thrust23THRUST_200600_302600_NS6detail15normal_iteratorINS9_10device_ptrIiEEEEPS5_jNS0_19identity_decomposerEEE10hipError_tT1_T2_PT3_SK_jT4_jjP12ihipStream_tbEUlT_E_NS1_11comp_targetILNS1_3genE10ELNS1_11target_archE1201ELNS1_3gpuE5ELNS1_3repE0EEENS1_52radix_sort_onesweep_histogram_config_static_selectorELNS0_4arch9wavefront6targetE1EEEvSI_
	.globl	_ZN7rocprim17ROCPRIM_400000_NS6detail17trampoline_kernelINS0_14default_configENS1_35radix_sort_onesweep_config_selectorIiNS0_10empty_typeEEEZNS1_34radix_sort_onesweep_global_offsetsIS3_Lb0EN6thrust23THRUST_200600_302600_NS6detail15normal_iteratorINS9_10device_ptrIiEEEEPS5_jNS0_19identity_decomposerEEE10hipError_tT1_T2_PT3_SK_jT4_jjP12ihipStream_tbEUlT_E_NS1_11comp_targetILNS1_3genE10ELNS1_11target_archE1201ELNS1_3gpuE5ELNS1_3repE0EEENS1_52radix_sort_onesweep_histogram_config_static_selectorELNS0_4arch9wavefront6targetE1EEEvSI_
	.p2align	8
	.type	_ZN7rocprim17ROCPRIM_400000_NS6detail17trampoline_kernelINS0_14default_configENS1_35radix_sort_onesweep_config_selectorIiNS0_10empty_typeEEEZNS1_34radix_sort_onesweep_global_offsetsIS3_Lb0EN6thrust23THRUST_200600_302600_NS6detail15normal_iteratorINS9_10device_ptrIiEEEEPS5_jNS0_19identity_decomposerEEE10hipError_tT1_T2_PT3_SK_jT4_jjP12ihipStream_tbEUlT_E_NS1_11comp_targetILNS1_3genE10ELNS1_11target_archE1201ELNS1_3gpuE5ELNS1_3repE0EEENS1_52radix_sort_onesweep_histogram_config_static_selectorELNS0_4arch9wavefront6targetE1EEEvSI_,@function
_ZN7rocprim17ROCPRIM_400000_NS6detail17trampoline_kernelINS0_14default_configENS1_35radix_sort_onesweep_config_selectorIiNS0_10empty_typeEEEZNS1_34radix_sort_onesweep_global_offsetsIS3_Lb0EN6thrust23THRUST_200600_302600_NS6detail15normal_iteratorINS9_10device_ptrIiEEEEPS5_jNS0_19identity_decomposerEEE10hipError_tT1_T2_PT3_SK_jT4_jjP12ihipStream_tbEUlT_E_NS1_11comp_targetILNS1_3genE10ELNS1_11target_archE1201ELNS1_3gpuE5ELNS1_3repE0EEENS1_52radix_sort_onesweep_histogram_config_static_selectorELNS0_4arch9wavefront6targetE1EEEvSI_: ; @_ZN7rocprim17ROCPRIM_400000_NS6detail17trampoline_kernelINS0_14default_configENS1_35radix_sort_onesweep_config_selectorIiNS0_10empty_typeEEEZNS1_34radix_sort_onesweep_global_offsetsIS3_Lb0EN6thrust23THRUST_200600_302600_NS6detail15normal_iteratorINS9_10device_ptrIiEEEEPS5_jNS0_19identity_decomposerEEE10hipError_tT1_T2_PT3_SK_jT4_jjP12ihipStream_tbEUlT_E_NS1_11comp_targetILNS1_3genE10ELNS1_11target_archE1201ELNS1_3gpuE5ELNS1_3repE0EEENS1_52radix_sort_onesweep_histogram_config_static_selectorELNS0_4arch9wavefront6targetE1EEEvSI_
; %bb.0:
	.section	.rodata,"a",@progbits
	.p2align	6, 0x0
	.amdhsa_kernel _ZN7rocprim17ROCPRIM_400000_NS6detail17trampoline_kernelINS0_14default_configENS1_35radix_sort_onesweep_config_selectorIiNS0_10empty_typeEEEZNS1_34radix_sort_onesweep_global_offsetsIS3_Lb0EN6thrust23THRUST_200600_302600_NS6detail15normal_iteratorINS9_10device_ptrIiEEEEPS5_jNS0_19identity_decomposerEEE10hipError_tT1_T2_PT3_SK_jT4_jjP12ihipStream_tbEUlT_E_NS1_11comp_targetILNS1_3genE10ELNS1_11target_archE1201ELNS1_3gpuE5ELNS1_3repE0EEENS1_52radix_sort_onesweep_histogram_config_static_selectorELNS0_4arch9wavefront6targetE1EEEvSI_
		.amdhsa_group_segment_fixed_size 0
		.amdhsa_private_segment_fixed_size 0
		.amdhsa_kernarg_size 40
		.amdhsa_user_sgpr_count 2
		.amdhsa_user_sgpr_dispatch_ptr 0
		.amdhsa_user_sgpr_queue_ptr 0
		.amdhsa_user_sgpr_kernarg_segment_ptr 1
		.amdhsa_user_sgpr_dispatch_id 0
		.amdhsa_user_sgpr_kernarg_preload_length 0
		.amdhsa_user_sgpr_kernarg_preload_offset 0
		.amdhsa_user_sgpr_private_segment_size 0
		.amdhsa_uses_dynamic_stack 0
		.amdhsa_enable_private_segment 0
		.amdhsa_system_sgpr_workgroup_id_x 1
		.amdhsa_system_sgpr_workgroup_id_y 0
		.amdhsa_system_sgpr_workgroup_id_z 0
		.amdhsa_system_sgpr_workgroup_info 0
		.amdhsa_system_vgpr_workitem_id 0
		.amdhsa_next_free_vgpr 1
		.amdhsa_next_free_sgpr 0
		.amdhsa_accum_offset 4
		.amdhsa_reserve_vcc 0
		.amdhsa_float_round_mode_32 0
		.amdhsa_float_round_mode_16_64 0
		.amdhsa_float_denorm_mode_32 3
		.amdhsa_float_denorm_mode_16_64 3
		.amdhsa_dx10_clamp 1
		.amdhsa_ieee_mode 1
		.amdhsa_fp16_overflow 0
		.amdhsa_tg_split 0
		.amdhsa_exception_fp_ieee_invalid_op 0
		.amdhsa_exception_fp_denorm_src 0
		.amdhsa_exception_fp_ieee_div_zero 0
		.amdhsa_exception_fp_ieee_overflow 0
		.amdhsa_exception_fp_ieee_underflow 0
		.amdhsa_exception_fp_ieee_inexact 0
		.amdhsa_exception_int_div_zero 0
	.end_amdhsa_kernel
	.section	.text._ZN7rocprim17ROCPRIM_400000_NS6detail17trampoline_kernelINS0_14default_configENS1_35radix_sort_onesweep_config_selectorIiNS0_10empty_typeEEEZNS1_34radix_sort_onesweep_global_offsetsIS3_Lb0EN6thrust23THRUST_200600_302600_NS6detail15normal_iteratorINS9_10device_ptrIiEEEEPS5_jNS0_19identity_decomposerEEE10hipError_tT1_T2_PT3_SK_jT4_jjP12ihipStream_tbEUlT_E_NS1_11comp_targetILNS1_3genE10ELNS1_11target_archE1201ELNS1_3gpuE5ELNS1_3repE0EEENS1_52radix_sort_onesweep_histogram_config_static_selectorELNS0_4arch9wavefront6targetE1EEEvSI_,"axG",@progbits,_ZN7rocprim17ROCPRIM_400000_NS6detail17trampoline_kernelINS0_14default_configENS1_35radix_sort_onesweep_config_selectorIiNS0_10empty_typeEEEZNS1_34radix_sort_onesweep_global_offsetsIS3_Lb0EN6thrust23THRUST_200600_302600_NS6detail15normal_iteratorINS9_10device_ptrIiEEEEPS5_jNS0_19identity_decomposerEEE10hipError_tT1_T2_PT3_SK_jT4_jjP12ihipStream_tbEUlT_E_NS1_11comp_targetILNS1_3genE10ELNS1_11target_archE1201ELNS1_3gpuE5ELNS1_3repE0EEENS1_52radix_sort_onesweep_histogram_config_static_selectorELNS0_4arch9wavefront6targetE1EEEvSI_,comdat
.Lfunc_end1725:
	.size	_ZN7rocprim17ROCPRIM_400000_NS6detail17trampoline_kernelINS0_14default_configENS1_35radix_sort_onesweep_config_selectorIiNS0_10empty_typeEEEZNS1_34radix_sort_onesweep_global_offsetsIS3_Lb0EN6thrust23THRUST_200600_302600_NS6detail15normal_iteratorINS9_10device_ptrIiEEEEPS5_jNS0_19identity_decomposerEEE10hipError_tT1_T2_PT3_SK_jT4_jjP12ihipStream_tbEUlT_E_NS1_11comp_targetILNS1_3genE10ELNS1_11target_archE1201ELNS1_3gpuE5ELNS1_3repE0EEENS1_52radix_sort_onesweep_histogram_config_static_selectorELNS0_4arch9wavefront6targetE1EEEvSI_, .Lfunc_end1725-_ZN7rocprim17ROCPRIM_400000_NS6detail17trampoline_kernelINS0_14default_configENS1_35radix_sort_onesweep_config_selectorIiNS0_10empty_typeEEEZNS1_34radix_sort_onesweep_global_offsetsIS3_Lb0EN6thrust23THRUST_200600_302600_NS6detail15normal_iteratorINS9_10device_ptrIiEEEEPS5_jNS0_19identity_decomposerEEE10hipError_tT1_T2_PT3_SK_jT4_jjP12ihipStream_tbEUlT_E_NS1_11comp_targetILNS1_3genE10ELNS1_11target_archE1201ELNS1_3gpuE5ELNS1_3repE0EEENS1_52radix_sort_onesweep_histogram_config_static_selectorELNS0_4arch9wavefront6targetE1EEEvSI_
                                        ; -- End function
	.section	.AMDGPU.csdata,"",@progbits
; Kernel info:
; codeLenInByte = 0
; NumSgprs: 6
; NumVgprs: 0
; NumAgprs: 0
; TotalNumVgprs: 0
; ScratchSize: 0
; MemoryBound: 0
; FloatMode: 240
; IeeeMode: 1
; LDSByteSize: 0 bytes/workgroup (compile time only)
; SGPRBlocks: 0
; VGPRBlocks: 0
; NumSGPRsForWavesPerEU: 6
; NumVGPRsForWavesPerEU: 1
; AccumOffset: 4
; Occupancy: 8
; WaveLimiterHint : 0
; COMPUTE_PGM_RSRC2:SCRATCH_EN: 0
; COMPUTE_PGM_RSRC2:USER_SGPR: 2
; COMPUTE_PGM_RSRC2:TRAP_HANDLER: 0
; COMPUTE_PGM_RSRC2:TGID_X_EN: 1
; COMPUTE_PGM_RSRC2:TGID_Y_EN: 0
; COMPUTE_PGM_RSRC2:TGID_Z_EN: 0
; COMPUTE_PGM_RSRC2:TIDIG_COMP_CNT: 0
; COMPUTE_PGM_RSRC3_GFX90A:ACCUM_OFFSET: 0
; COMPUTE_PGM_RSRC3_GFX90A:TG_SPLIT: 0
	.section	.text._ZN7rocprim17ROCPRIM_400000_NS6detail17trampoline_kernelINS0_14default_configENS1_35radix_sort_onesweep_config_selectorIiNS0_10empty_typeEEEZNS1_34radix_sort_onesweep_global_offsetsIS3_Lb0EN6thrust23THRUST_200600_302600_NS6detail15normal_iteratorINS9_10device_ptrIiEEEEPS5_jNS0_19identity_decomposerEEE10hipError_tT1_T2_PT3_SK_jT4_jjP12ihipStream_tbEUlT_E_NS1_11comp_targetILNS1_3genE9ELNS1_11target_archE1100ELNS1_3gpuE3ELNS1_3repE0EEENS1_52radix_sort_onesweep_histogram_config_static_selectorELNS0_4arch9wavefront6targetE1EEEvSI_,"axG",@progbits,_ZN7rocprim17ROCPRIM_400000_NS6detail17trampoline_kernelINS0_14default_configENS1_35radix_sort_onesweep_config_selectorIiNS0_10empty_typeEEEZNS1_34radix_sort_onesweep_global_offsetsIS3_Lb0EN6thrust23THRUST_200600_302600_NS6detail15normal_iteratorINS9_10device_ptrIiEEEEPS5_jNS0_19identity_decomposerEEE10hipError_tT1_T2_PT3_SK_jT4_jjP12ihipStream_tbEUlT_E_NS1_11comp_targetILNS1_3genE9ELNS1_11target_archE1100ELNS1_3gpuE3ELNS1_3repE0EEENS1_52radix_sort_onesweep_histogram_config_static_selectorELNS0_4arch9wavefront6targetE1EEEvSI_,comdat
	.protected	_ZN7rocprim17ROCPRIM_400000_NS6detail17trampoline_kernelINS0_14default_configENS1_35radix_sort_onesweep_config_selectorIiNS0_10empty_typeEEEZNS1_34radix_sort_onesweep_global_offsetsIS3_Lb0EN6thrust23THRUST_200600_302600_NS6detail15normal_iteratorINS9_10device_ptrIiEEEEPS5_jNS0_19identity_decomposerEEE10hipError_tT1_T2_PT3_SK_jT4_jjP12ihipStream_tbEUlT_E_NS1_11comp_targetILNS1_3genE9ELNS1_11target_archE1100ELNS1_3gpuE3ELNS1_3repE0EEENS1_52radix_sort_onesweep_histogram_config_static_selectorELNS0_4arch9wavefront6targetE1EEEvSI_ ; -- Begin function _ZN7rocprim17ROCPRIM_400000_NS6detail17trampoline_kernelINS0_14default_configENS1_35radix_sort_onesweep_config_selectorIiNS0_10empty_typeEEEZNS1_34radix_sort_onesweep_global_offsetsIS3_Lb0EN6thrust23THRUST_200600_302600_NS6detail15normal_iteratorINS9_10device_ptrIiEEEEPS5_jNS0_19identity_decomposerEEE10hipError_tT1_T2_PT3_SK_jT4_jjP12ihipStream_tbEUlT_E_NS1_11comp_targetILNS1_3genE9ELNS1_11target_archE1100ELNS1_3gpuE3ELNS1_3repE0EEENS1_52radix_sort_onesweep_histogram_config_static_selectorELNS0_4arch9wavefront6targetE1EEEvSI_
	.globl	_ZN7rocprim17ROCPRIM_400000_NS6detail17trampoline_kernelINS0_14default_configENS1_35radix_sort_onesweep_config_selectorIiNS0_10empty_typeEEEZNS1_34radix_sort_onesweep_global_offsetsIS3_Lb0EN6thrust23THRUST_200600_302600_NS6detail15normal_iteratorINS9_10device_ptrIiEEEEPS5_jNS0_19identity_decomposerEEE10hipError_tT1_T2_PT3_SK_jT4_jjP12ihipStream_tbEUlT_E_NS1_11comp_targetILNS1_3genE9ELNS1_11target_archE1100ELNS1_3gpuE3ELNS1_3repE0EEENS1_52radix_sort_onesweep_histogram_config_static_selectorELNS0_4arch9wavefront6targetE1EEEvSI_
	.p2align	8
	.type	_ZN7rocprim17ROCPRIM_400000_NS6detail17trampoline_kernelINS0_14default_configENS1_35radix_sort_onesweep_config_selectorIiNS0_10empty_typeEEEZNS1_34radix_sort_onesweep_global_offsetsIS3_Lb0EN6thrust23THRUST_200600_302600_NS6detail15normal_iteratorINS9_10device_ptrIiEEEEPS5_jNS0_19identity_decomposerEEE10hipError_tT1_T2_PT3_SK_jT4_jjP12ihipStream_tbEUlT_E_NS1_11comp_targetILNS1_3genE9ELNS1_11target_archE1100ELNS1_3gpuE3ELNS1_3repE0EEENS1_52radix_sort_onesweep_histogram_config_static_selectorELNS0_4arch9wavefront6targetE1EEEvSI_,@function
_ZN7rocprim17ROCPRIM_400000_NS6detail17trampoline_kernelINS0_14default_configENS1_35radix_sort_onesweep_config_selectorIiNS0_10empty_typeEEEZNS1_34radix_sort_onesweep_global_offsetsIS3_Lb0EN6thrust23THRUST_200600_302600_NS6detail15normal_iteratorINS9_10device_ptrIiEEEEPS5_jNS0_19identity_decomposerEEE10hipError_tT1_T2_PT3_SK_jT4_jjP12ihipStream_tbEUlT_E_NS1_11comp_targetILNS1_3genE9ELNS1_11target_archE1100ELNS1_3gpuE3ELNS1_3repE0EEENS1_52radix_sort_onesweep_histogram_config_static_selectorELNS0_4arch9wavefront6targetE1EEEvSI_: ; @_ZN7rocprim17ROCPRIM_400000_NS6detail17trampoline_kernelINS0_14default_configENS1_35radix_sort_onesweep_config_selectorIiNS0_10empty_typeEEEZNS1_34radix_sort_onesweep_global_offsetsIS3_Lb0EN6thrust23THRUST_200600_302600_NS6detail15normal_iteratorINS9_10device_ptrIiEEEEPS5_jNS0_19identity_decomposerEEE10hipError_tT1_T2_PT3_SK_jT4_jjP12ihipStream_tbEUlT_E_NS1_11comp_targetILNS1_3genE9ELNS1_11target_archE1100ELNS1_3gpuE3ELNS1_3repE0EEENS1_52radix_sort_onesweep_histogram_config_static_selectorELNS0_4arch9wavefront6targetE1EEEvSI_
; %bb.0:
	.section	.rodata,"a",@progbits
	.p2align	6, 0x0
	.amdhsa_kernel _ZN7rocprim17ROCPRIM_400000_NS6detail17trampoline_kernelINS0_14default_configENS1_35radix_sort_onesweep_config_selectorIiNS0_10empty_typeEEEZNS1_34radix_sort_onesweep_global_offsetsIS3_Lb0EN6thrust23THRUST_200600_302600_NS6detail15normal_iteratorINS9_10device_ptrIiEEEEPS5_jNS0_19identity_decomposerEEE10hipError_tT1_T2_PT3_SK_jT4_jjP12ihipStream_tbEUlT_E_NS1_11comp_targetILNS1_3genE9ELNS1_11target_archE1100ELNS1_3gpuE3ELNS1_3repE0EEENS1_52radix_sort_onesweep_histogram_config_static_selectorELNS0_4arch9wavefront6targetE1EEEvSI_
		.amdhsa_group_segment_fixed_size 0
		.amdhsa_private_segment_fixed_size 0
		.amdhsa_kernarg_size 40
		.amdhsa_user_sgpr_count 2
		.amdhsa_user_sgpr_dispatch_ptr 0
		.amdhsa_user_sgpr_queue_ptr 0
		.amdhsa_user_sgpr_kernarg_segment_ptr 1
		.amdhsa_user_sgpr_dispatch_id 0
		.amdhsa_user_sgpr_kernarg_preload_length 0
		.amdhsa_user_sgpr_kernarg_preload_offset 0
		.amdhsa_user_sgpr_private_segment_size 0
		.amdhsa_uses_dynamic_stack 0
		.amdhsa_enable_private_segment 0
		.amdhsa_system_sgpr_workgroup_id_x 1
		.amdhsa_system_sgpr_workgroup_id_y 0
		.amdhsa_system_sgpr_workgroup_id_z 0
		.amdhsa_system_sgpr_workgroup_info 0
		.amdhsa_system_vgpr_workitem_id 0
		.amdhsa_next_free_vgpr 1
		.amdhsa_next_free_sgpr 0
		.amdhsa_accum_offset 4
		.amdhsa_reserve_vcc 0
		.amdhsa_float_round_mode_32 0
		.amdhsa_float_round_mode_16_64 0
		.amdhsa_float_denorm_mode_32 3
		.amdhsa_float_denorm_mode_16_64 3
		.amdhsa_dx10_clamp 1
		.amdhsa_ieee_mode 1
		.amdhsa_fp16_overflow 0
		.amdhsa_tg_split 0
		.amdhsa_exception_fp_ieee_invalid_op 0
		.amdhsa_exception_fp_denorm_src 0
		.amdhsa_exception_fp_ieee_div_zero 0
		.amdhsa_exception_fp_ieee_overflow 0
		.amdhsa_exception_fp_ieee_underflow 0
		.amdhsa_exception_fp_ieee_inexact 0
		.amdhsa_exception_int_div_zero 0
	.end_amdhsa_kernel
	.section	.text._ZN7rocprim17ROCPRIM_400000_NS6detail17trampoline_kernelINS0_14default_configENS1_35radix_sort_onesweep_config_selectorIiNS0_10empty_typeEEEZNS1_34radix_sort_onesweep_global_offsetsIS3_Lb0EN6thrust23THRUST_200600_302600_NS6detail15normal_iteratorINS9_10device_ptrIiEEEEPS5_jNS0_19identity_decomposerEEE10hipError_tT1_T2_PT3_SK_jT4_jjP12ihipStream_tbEUlT_E_NS1_11comp_targetILNS1_3genE9ELNS1_11target_archE1100ELNS1_3gpuE3ELNS1_3repE0EEENS1_52radix_sort_onesweep_histogram_config_static_selectorELNS0_4arch9wavefront6targetE1EEEvSI_,"axG",@progbits,_ZN7rocprim17ROCPRIM_400000_NS6detail17trampoline_kernelINS0_14default_configENS1_35radix_sort_onesweep_config_selectorIiNS0_10empty_typeEEEZNS1_34radix_sort_onesweep_global_offsetsIS3_Lb0EN6thrust23THRUST_200600_302600_NS6detail15normal_iteratorINS9_10device_ptrIiEEEEPS5_jNS0_19identity_decomposerEEE10hipError_tT1_T2_PT3_SK_jT4_jjP12ihipStream_tbEUlT_E_NS1_11comp_targetILNS1_3genE9ELNS1_11target_archE1100ELNS1_3gpuE3ELNS1_3repE0EEENS1_52radix_sort_onesweep_histogram_config_static_selectorELNS0_4arch9wavefront6targetE1EEEvSI_,comdat
.Lfunc_end1726:
	.size	_ZN7rocprim17ROCPRIM_400000_NS6detail17trampoline_kernelINS0_14default_configENS1_35radix_sort_onesweep_config_selectorIiNS0_10empty_typeEEEZNS1_34radix_sort_onesweep_global_offsetsIS3_Lb0EN6thrust23THRUST_200600_302600_NS6detail15normal_iteratorINS9_10device_ptrIiEEEEPS5_jNS0_19identity_decomposerEEE10hipError_tT1_T2_PT3_SK_jT4_jjP12ihipStream_tbEUlT_E_NS1_11comp_targetILNS1_3genE9ELNS1_11target_archE1100ELNS1_3gpuE3ELNS1_3repE0EEENS1_52radix_sort_onesweep_histogram_config_static_selectorELNS0_4arch9wavefront6targetE1EEEvSI_, .Lfunc_end1726-_ZN7rocprim17ROCPRIM_400000_NS6detail17trampoline_kernelINS0_14default_configENS1_35radix_sort_onesweep_config_selectorIiNS0_10empty_typeEEEZNS1_34radix_sort_onesweep_global_offsetsIS3_Lb0EN6thrust23THRUST_200600_302600_NS6detail15normal_iteratorINS9_10device_ptrIiEEEEPS5_jNS0_19identity_decomposerEEE10hipError_tT1_T2_PT3_SK_jT4_jjP12ihipStream_tbEUlT_E_NS1_11comp_targetILNS1_3genE9ELNS1_11target_archE1100ELNS1_3gpuE3ELNS1_3repE0EEENS1_52radix_sort_onesweep_histogram_config_static_selectorELNS0_4arch9wavefront6targetE1EEEvSI_
                                        ; -- End function
	.section	.AMDGPU.csdata,"",@progbits
; Kernel info:
; codeLenInByte = 0
; NumSgprs: 6
; NumVgprs: 0
; NumAgprs: 0
; TotalNumVgprs: 0
; ScratchSize: 0
; MemoryBound: 0
; FloatMode: 240
; IeeeMode: 1
; LDSByteSize: 0 bytes/workgroup (compile time only)
; SGPRBlocks: 0
; VGPRBlocks: 0
; NumSGPRsForWavesPerEU: 6
; NumVGPRsForWavesPerEU: 1
; AccumOffset: 4
; Occupancy: 8
; WaveLimiterHint : 0
; COMPUTE_PGM_RSRC2:SCRATCH_EN: 0
; COMPUTE_PGM_RSRC2:USER_SGPR: 2
; COMPUTE_PGM_RSRC2:TRAP_HANDLER: 0
; COMPUTE_PGM_RSRC2:TGID_X_EN: 1
; COMPUTE_PGM_RSRC2:TGID_Y_EN: 0
; COMPUTE_PGM_RSRC2:TGID_Z_EN: 0
; COMPUTE_PGM_RSRC2:TIDIG_COMP_CNT: 0
; COMPUTE_PGM_RSRC3_GFX90A:ACCUM_OFFSET: 0
; COMPUTE_PGM_RSRC3_GFX90A:TG_SPLIT: 0
	.section	.text._ZN7rocprim17ROCPRIM_400000_NS6detail17trampoline_kernelINS0_14default_configENS1_35radix_sort_onesweep_config_selectorIiNS0_10empty_typeEEEZNS1_34radix_sort_onesweep_global_offsetsIS3_Lb0EN6thrust23THRUST_200600_302600_NS6detail15normal_iteratorINS9_10device_ptrIiEEEEPS5_jNS0_19identity_decomposerEEE10hipError_tT1_T2_PT3_SK_jT4_jjP12ihipStream_tbEUlT_E_NS1_11comp_targetILNS1_3genE8ELNS1_11target_archE1030ELNS1_3gpuE2ELNS1_3repE0EEENS1_52radix_sort_onesweep_histogram_config_static_selectorELNS0_4arch9wavefront6targetE1EEEvSI_,"axG",@progbits,_ZN7rocprim17ROCPRIM_400000_NS6detail17trampoline_kernelINS0_14default_configENS1_35radix_sort_onesweep_config_selectorIiNS0_10empty_typeEEEZNS1_34radix_sort_onesweep_global_offsetsIS3_Lb0EN6thrust23THRUST_200600_302600_NS6detail15normal_iteratorINS9_10device_ptrIiEEEEPS5_jNS0_19identity_decomposerEEE10hipError_tT1_T2_PT3_SK_jT4_jjP12ihipStream_tbEUlT_E_NS1_11comp_targetILNS1_3genE8ELNS1_11target_archE1030ELNS1_3gpuE2ELNS1_3repE0EEENS1_52radix_sort_onesweep_histogram_config_static_selectorELNS0_4arch9wavefront6targetE1EEEvSI_,comdat
	.protected	_ZN7rocprim17ROCPRIM_400000_NS6detail17trampoline_kernelINS0_14default_configENS1_35radix_sort_onesweep_config_selectorIiNS0_10empty_typeEEEZNS1_34radix_sort_onesweep_global_offsetsIS3_Lb0EN6thrust23THRUST_200600_302600_NS6detail15normal_iteratorINS9_10device_ptrIiEEEEPS5_jNS0_19identity_decomposerEEE10hipError_tT1_T2_PT3_SK_jT4_jjP12ihipStream_tbEUlT_E_NS1_11comp_targetILNS1_3genE8ELNS1_11target_archE1030ELNS1_3gpuE2ELNS1_3repE0EEENS1_52radix_sort_onesweep_histogram_config_static_selectorELNS0_4arch9wavefront6targetE1EEEvSI_ ; -- Begin function _ZN7rocprim17ROCPRIM_400000_NS6detail17trampoline_kernelINS0_14default_configENS1_35radix_sort_onesweep_config_selectorIiNS0_10empty_typeEEEZNS1_34radix_sort_onesweep_global_offsetsIS3_Lb0EN6thrust23THRUST_200600_302600_NS6detail15normal_iteratorINS9_10device_ptrIiEEEEPS5_jNS0_19identity_decomposerEEE10hipError_tT1_T2_PT3_SK_jT4_jjP12ihipStream_tbEUlT_E_NS1_11comp_targetILNS1_3genE8ELNS1_11target_archE1030ELNS1_3gpuE2ELNS1_3repE0EEENS1_52radix_sort_onesweep_histogram_config_static_selectorELNS0_4arch9wavefront6targetE1EEEvSI_
	.globl	_ZN7rocprim17ROCPRIM_400000_NS6detail17trampoline_kernelINS0_14default_configENS1_35radix_sort_onesweep_config_selectorIiNS0_10empty_typeEEEZNS1_34radix_sort_onesweep_global_offsetsIS3_Lb0EN6thrust23THRUST_200600_302600_NS6detail15normal_iteratorINS9_10device_ptrIiEEEEPS5_jNS0_19identity_decomposerEEE10hipError_tT1_T2_PT3_SK_jT4_jjP12ihipStream_tbEUlT_E_NS1_11comp_targetILNS1_3genE8ELNS1_11target_archE1030ELNS1_3gpuE2ELNS1_3repE0EEENS1_52radix_sort_onesweep_histogram_config_static_selectorELNS0_4arch9wavefront6targetE1EEEvSI_
	.p2align	8
	.type	_ZN7rocprim17ROCPRIM_400000_NS6detail17trampoline_kernelINS0_14default_configENS1_35radix_sort_onesweep_config_selectorIiNS0_10empty_typeEEEZNS1_34radix_sort_onesweep_global_offsetsIS3_Lb0EN6thrust23THRUST_200600_302600_NS6detail15normal_iteratorINS9_10device_ptrIiEEEEPS5_jNS0_19identity_decomposerEEE10hipError_tT1_T2_PT3_SK_jT4_jjP12ihipStream_tbEUlT_E_NS1_11comp_targetILNS1_3genE8ELNS1_11target_archE1030ELNS1_3gpuE2ELNS1_3repE0EEENS1_52radix_sort_onesweep_histogram_config_static_selectorELNS0_4arch9wavefront6targetE1EEEvSI_,@function
_ZN7rocprim17ROCPRIM_400000_NS6detail17trampoline_kernelINS0_14default_configENS1_35radix_sort_onesweep_config_selectorIiNS0_10empty_typeEEEZNS1_34radix_sort_onesweep_global_offsetsIS3_Lb0EN6thrust23THRUST_200600_302600_NS6detail15normal_iteratorINS9_10device_ptrIiEEEEPS5_jNS0_19identity_decomposerEEE10hipError_tT1_T2_PT3_SK_jT4_jjP12ihipStream_tbEUlT_E_NS1_11comp_targetILNS1_3genE8ELNS1_11target_archE1030ELNS1_3gpuE2ELNS1_3repE0EEENS1_52radix_sort_onesweep_histogram_config_static_selectorELNS0_4arch9wavefront6targetE1EEEvSI_: ; @_ZN7rocprim17ROCPRIM_400000_NS6detail17trampoline_kernelINS0_14default_configENS1_35radix_sort_onesweep_config_selectorIiNS0_10empty_typeEEEZNS1_34radix_sort_onesweep_global_offsetsIS3_Lb0EN6thrust23THRUST_200600_302600_NS6detail15normal_iteratorINS9_10device_ptrIiEEEEPS5_jNS0_19identity_decomposerEEE10hipError_tT1_T2_PT3_SK_jT4_jjP12ihipStream_tbEUlT_E_NS1_11comp_targetILNS1_3genE8ELNS1_11target_archE1030ELNS1_3gpuE2ELNS1_3repE0EEENS1_52radix_sort_onesweep_histogram_config_static_selectorELNS0_4arch9wavefront6targetE1EEEvSI_
; %bb.0:
	.section	.rodata,"a",@progbits
	.p2align	6, 0x0
	.amdhsa_kernel _ZN7rocprim17ROCPRIM_400000_NS6detail17trampoline_kernelINS0_14default_configENS1_35radix_sort_onesweep_config_selectorIiNS0_10empty_typeEEEZNS1_34radix_sort_onesweep_global_offsetsIS3_Lb0EN6thrust23THRUST_200600_302600_NS6detail15normal_iteratorINS9_10device_ptrIiEEEEPS5_jNS0_19identity_decomposerEEE10hipError_tT1_T2_PT3_SK_jT4_jjP12ihipStream_tbEUlT_E_NS1_11comp_targetILNS1_3genE8ELNS1_11target_archE1030ELNS1_3gpuE2ELNS1_3repE0EEENS1_52radix_sort_onesweep_histogram_config_static_selectorELNS0_4arch9wavefront6targetE1EEEvSI_
		.amdhsa_group_segment_fixed_size 0
		.amdhsa_private_segment_fixed_size 0
		.amdhsa_kernarg_size 40
		.amdhsa_user_sgpr_count 2
		.amdhsa_user_sgpr_dispatch_ptr 0
		.amdhsa_user_sgpr_queue_ptr 0
		.amdhsa_user_sgpr_kernarg_segment_ptr 1
		.amdhsa_user_sgpr_dispatch_id 0
		.amdhsa_user_sgpr_kernarg_preload_length 0
		.amdhsa_user_sgpr_kernarg_preload_offset 0
		.amdhsa_user_sgpr_private_segment_size 0
		.amdhsa_uses_dynamic_stack 0
		.amdhsa_enable_private_segment 0
		.amdhsa_system_sgpr_workgroup_id_x 1
		.amdhsa_system_sgpr_workgroup_id_y 0
		.amdhsa_system_sgpr_workgroup_id_z 0
		.amdhsa_system_sgpr_workgroup_info 0
		.amdhsa_system_vgpr_workitem_id 0
		.amdhsa_next_free_vgpr 1
		.amdhsa_next_free_sgpr 0
		.amdhsa_accum_offset 4
		.amdhsa_reserve_vcc 0
		.amdhsa_float_round_mode_32 0
		.amdhsa_float_round_mode_16_64 0
		.amdhsa_float_denorm_mode_32 3
		.amdhsa_float_denorm_mode_16_64 3
		.amdhsa_dx10_clamp 1
		.amdhsa_ieee_mode 1
		.amdhsa_fp16_overflow 0
		.amdhsa_tg_split 0
		.amdhsa_exception_fp_ieee_invalid_op 0
		.amdhsa_exception_fp_denorm_src 0
		.amdhsa_exception_fp_ieee_div_zero 0
		.amdhsa_exception_fp_ieee_overflow 0
		.amdhsa_exception_fp_ieee_underflow 0
		.amdhsa_exception_fp_ieee_inexact 0
		.amdhsa_exception_int_div_zero 0
	.end_amdhsa_kernel
	.section	.text._ZN7rocprim17ROCPRIM_400000_NS6detail17trampoline_kernelINS0_14default_configENS1_35radix_sort_onesweep_config_selectorIiNS0_10empty_typeEEEZNS1_34radix_sort_onesweep_global_offsetsIS3_Lb0EN6thrust23THRUST_200600_302600_NS6detail15normal_iteratorINS9_10device_ptrIiEEEEPS5_jNS0_19identity_decomposerEEE10hipError_tT1_T2_PT3_SK_jT4_jjP12ihipStream_tbEUlT_E_NS1_11comp_targetILNS1_3genE8ELNS1_11target_archE1030ELNS1_3gpuE2ELNS1_3repE0EEENS1_52radix_sort_onesweep_histogram_config_static_selectorELNS0_4arch9wavefront6targetE1EEEvSI_,"axG",@progbits,_ZN7rocprim17ROCPRIM_400000_NS6detail17trampoline_kernelINS0_14default_configENS1_35radix_sort_onesweep_config_selectorIiNS0_10empty_typeEEEZNS1_34radix_sort_onesweep_global_offsetsIS3_Lb0EN6thrust23THRUST_200600_302600_NS6detail15normal_iteratorINS9_10device_ptrIiEEEEPS5_jNS0_19identity_decomposerEEE10hipError_tT1_T2_PT3_SK_jT4_jjP12ihipStream_tbEUlT_E_NS1_11comp_targetILNS1_3genE8ELNS1_11target_archE1030ELNS1_3gpuE2ELNS1_3repE0EEENS1_52radix_sort_onesweep_histogram_config_static_selectorELNS0_4arch9wavefront6targetE1EEEvSI_,comdat
.Lfunc_end1727:
	.size	_ZN7rocprim17ROCPRIM_400000_NS6detail17trampoline_kernelINS0_14default_configENS1_35radix_sort_onesweep_config_selectorIiNS0_10empty_typeEEEZNS1_34radix_sort_onesweep_global_offsetsIS3_Lb0EN6thrust23THRUST_200600_302600_NS6detail15normal_iteratorINS9_10device_ptrIiEEEEPS5_jNS0_19identity_decomposerEEE10hipError_tT1_T2_PT3_SK_jT4_jjP12ihipStream_tbEUlT_E_NS1_11comp_targetILNS1_3genE8ELNS1_11target_archE1030ELNS1_3gpuE2ELNS1_3repE0EEENS1_52radix_sort_onesweep_histogram_config_static_selectorELNS0_4arch9wavefront6targetE1EEEvSI_, .Lfunc_end1727-_ZN7rocprim17ROCPRIM_400000_NS6detail17trampoline_kernelINS0_14default_configENS1_35radix_sort_onesweep_config_selectorIiNS0_10empty_typeEEEZNS1_34radix_sort_onesweep_global_offsetsIS3_Lb0EN6thrust23THRUST_200600_302600_NS6detail15normal_iteratorINS9_10device_ptrIiEEEEPS5_jNS0_19identity_decomposerEEE10hipError_tT1_T2_PT3_SK_jT4_jjP12ihipStream_tbEUlT_E_NS1_11comp_targetILNS1_3genE8ELNS1_11target_archE1030ELNS1_3gpuE2ELNS1_3repE0EEENS1_52radix_sort_onesweep_histogram_config_static_selectorELNS0_4arch9wavefront6targetE1EEEvSI_
                                        ; -- End function
	.section	.AMDGPU.csdata,"",@progbits
; Kernel info:
; codeLenInByte = 0
; NumSgprs: 6
; NumVgprs: 0
; NumAgprs: 0
; TotalNumVgprs: 0
; ScratchSize: 0
; MemoryBound: 0
; FloatMode: 240
; IeeeMode: 1
; LDSByteSize: 0 bytes/workgroup (compile time only)
; SGPRBlocks: 0
; VGPRBlocks: 0
; NumSGPRsForWavesPerEU: 6
; NumVGPRsForWavesPerEU: 1
; AccumOffset: 4
; Occupancy: 8
; WaveLimiterHint : 0
; COMPUTE_PGM_RSRC2:SCRATCH_EN: 0
; COMPUTE_PGM_RSRC2:USER_SGPR: 2
; COMPUTE_PGM_RSRC2:TRAP_HANDLER: 0
; COMPUTE_PGM_RSRC2:TGID_X_EN: 1
; COMPUTE_PGM_RSRC2:TGID_Y_EN: 0
; COMPUTE_PGM_RSRC2:TGID_Z_EN: 0
; COMPUTE_PGM_RSRC2:TIDIG_COMP_CNT: 0
; COMPUTE_PGM_RSRC3_GFX90A:ACCUM_OFFSET: 0
; COMPUTE_PGM_RSRC3_GFX90A:TG_SPLIT: 0
	.section	.text._ZN7rocprim17ROCPRIM_400000_NS6detail17trampoline_kernelINS0_14default_configENS1_35radix_sort_onesweep_config_selectorIiNS0_10empty_typeEEEZNS1_34radix_sort_onesweep_global_offsetsIS3_Lb0EN6thrust23THRUST_200600_302600_NS6detail15normal_iteratorINS9_10device_ptrIiEEEEPS5_jNS0_19identity_decomposerEEE10hipError_tT1_T2_PT3_SK_jT4_jjP12ihipStream_tbEUlT_E0_NS1_11comp_targetILNS1_3genE0ELNS1_11target_archE4294967295ELNS1_3gpuE0ELNS1_3repE0EEENS1_52radix_sort_onesweep_histogram_config_static_selectorELNS0_4arch9wavefront6targetE1EEEvSI_,"axG",@progbits,_ZN7rocprim17ROCPRIM_400000_NS6detail17trampoline_kernelINS0_14default_configENS1_35radix_sort_onesweep_config_selectorIiNS0_10empty_typeEEEZNS1_34radix_sort_onesweep_global_offsetsIS3_Lb0EN6thrust23THRUST_200600_302600_NS6detail15normal_iteratorINS9_10device_ptrIiEEEEPS5_jNS0_19identity_decomposerEEE10hipError_tT1_T2_PT3_SK_jT4_jjP12ihipStream_tbEUlT_E0_NS1_11comp_targetILNS1_3genE0ELNS1_11target_archE4294967295ELNS1_3gpuE0ELNS1_3repE0EEENS1_52radix_sort_onesweep_histogram_config_static_selectorELNS0_4arch9wavefront6targetE1EEEvSI_,comdat
	.protected	_ZN7rocprim17ROCPRIM_400000_NS6detail17trampoline_kernelINS0_14default_configENS1_35radix_sort_onesweep_config_selectorIiNS0_10empty_typeEEEZNS1_34radix_sort_onesweep_global_offsetsIS3_Lb0EN6thrust23THRUST_200600_302600_NS6detail15normal_iteratorINS9_10device_ptrIiEEEEPS5_jNS0_19identity_decomposerEEE10hipError_tT1_T2_PT3_SK_jT4_jjP12ihipStream_tbEUlT_E0_NS1_11comp_targetILNS1_3genE0ELNS1_11target_archE4294967295ELNS1_3gpuE0ELNS1_3repE0EEENS1_52radix_sort_onesweep_histogram_config_static_selectorELNS0_4arch9wavefront6targetE1EEEvSI_ ; -- Begin function _ZN7rocprim17ROCPRIM_400000_NS6detail17trampoline_kernelINS0_14default_configENS1_35radix_sort_onesweep_config_selectorIiNS0_10empty_typeEEEZNS1_34radix_sort_onesweep_global_offsetsIS3_Lb0EN6thrust23THRUST_200600_302600_NS6detail15normal_iteratorINS9_10device_ptrIiEEEEPS5_jNS0_19identity_decomposerEEE10hipError_tT1_T2_PT3_SK_jT4_jjP12ihipStream_tbEUlT_E0_NS1_11comp_targetILNS1_3genE0ELNS1_11target_archE4294967295ELNS1_3gpuE0ELNS1_3repE0EEENS1_52radix_sort_onesweep_histogram_config_static_selectorELNS0_4arch9wavefront6targetE1EEEvSI_
	.globl	_ZN7rocprim17ROCPRIM_400000_NS6detail17trampoline_kernelINS0_14default_configENS1_35radix_sort_onesweep_config_selectorIiNS0_10empty_typeEEEZNS1_34radix_sort_onesweep_global_offsetsIS3_Lb0EN6thrust23THRUST_200600_302600_NS6detail15normal_iteratorINS9_10device_ptrIiEEEEPS5_jNS0_19identity_decomposerEEE10hipError_tT1_T2_PT3_SK_jT4_jjP12ihipStream_tbEUlT_E0_NS1_11comp_targetILNS1_3genE0ELNS1_11target_archE4294967295ELNS1_3gpuE0ELNS1_3repE0EEENS1_52radix_sort_onesweep_histogram_config_static_selectorELNS0_4arch9wavefront6targetE1EEEvSI_
	.p2align	8
	.type	_ZN7rocprim17ROCPRIM_400000_NS6detail17trampoline_kernelINS0_14default_configENS1_35radix_sort_onesweep_config_selectorIiNS0_10empty_typeEEEZNS1_34radix_sort_onesweep_global_offsetsIS3_Lb0EN6thrust23THRUST_200600_302600_NS6detail15normal_iteratorINS9_10device_ptrIiEEEEPS5_jNS0_19identity_decomposerEEE10hipError_tT1_T2_PT3_SK_jT4_jjP12ihipStream_tbEUlT_E0_NS1_11comp_targetILNS1_3genE0ELNS1_11target_archE4294967295ELNS1_3gpuE0ELNS1_3repE0EEENS1_52radix_sort_onesweep_histogram_config_static_selectorELNS0_4arch9wavefront6targetE1EEEvSI_,@function
_ZN7rocprim17ROCPRIM_400000_NS6detail17trampoline_kernelINS0_14default_configENS1_35radix_sort_onesweep_config_selectorIiNS0_10empty_typeEEEZNS1_34radix_sort_onesweep_global_offsetsIS3_Lb0EN6thrust23THRUST_200600_302600_NS6detail15normal_iteratorINS9_10device_ptrIiEEEEPS5_jNS0_19identity_decomposerEEE10hipError_tT1_T2_PT3_SK_jT4_jjP12ihipStream_tbEUlT_E0_NS1_11comp_targetILNS1_3genE0ELNS1_11target_archE4294967295ELNS1_3gpuE0ELNS1_3repE0EEENS1_52radix_sort_onesweep_histogram_config_static_selectorELNS0_4arch9wavefront6targetE1EEEvSI_: ; @_ZN7rocprim17ROCPRIM_400000_NS6detail17trampoline_kernelINS0_14default_configENS1_35radix_sort_onesweep_config_selectorIiNS0_10empty_typeEEEZNS1_34radix_sort_onesweep_global_offsetsIS3_Lb0EN6thrust23THRUST_200600_302600_NS6detail15normal_iteratorINS9_10device_ptrIiEEEEPS5_jNS0_19identity_decomposerEEE10hipError_tT1_T2_PT3_SK_jT4_jjP12ihipStream_tbEUlT_E0_NS1_11comp_targetILNS1_3genE0ELNS1_11target_archE4294967295ELNS1_3gpuE0ELNS1_3repE0EEENS1_52radix_sort_onesweep_histogram_config_static_selectorELNS0_4arch9wavefront6targetE1EEEvSI_
; %bb.0:
	.section	.rodata,"a",@progbits
	.p2align	6, 0x0
	.amdhsa_kernel _ZN7rocprim17ROCPRIM_400000_NS6detail17trampoline_kernelINS0_14default_configENS1_35radix_sort_onesweep_config_selectorIiNS0_10empty_typeEEEZNS1_34radix_sort_onesweep_global_offsetsIS3_Lb0EN6thrust23THRUST_200600_302600_NS6detail15normal_iteratorINS9_10device_ptrIiEEEEPS5_jNS0_19identity_decomposerEEE10hipError_tT1_T2_PT3_SK_jT4_jjP12ihipStream_tbEUlT_E0_NS1_11comp_targetILNS1_3genE0ELNS1_11target_archE4294967295ELNS1_3gpuE0ELNS1_3repE0EEENS1_52radix_sort_onesweep_histogram_config_static_selectorELNS0_4arch9wavefront6targetE1EEEvSI_
		.amdhsa_group_segment_fixed_size 0
		.amdhsa_private_segment_fixed_size 0
		.amdhsa_kernarg_size 8
		.amdhsa_user_sgpr_count 2
		.amdhsa_user_sgpr_dispatch_ptr 0
		.amdhsa_user_sgpr_queue_ptr 0
		.amdhsa_user_sgpr_kernarg_segment_ptr 1
		.amdhsa_user_sgpr_dispatch_id 0
		.amdhsa_user_sgpr_kernarg_preload_length 0
		.amdhsa_user_sgpr_kernarg_preload_offset 0
		.amdhsa_user_sgpr_private_segment_size 0
		.amdhsa_uses_dynamic_stack 0
		.amdhsa_enable_private_segment 0
		.amdhsa_system_sgpr_workgroup_id_x 1
		.amdhsa_system_sgpr_workgroup_id_y 0
		.amdhsa_system_sgpr_workgroup_id_z 0
		.amdhsa_system_sgpr_workgroup_info 0
		.amdhsa_system_vgpr_workitem_id 0
		.amdhsa_next_free_vgpr 1
		.amdhsa_next_free_sgpr 0
		.amdhsa_accum_offset 4
		.amdhsa_reserve_vcc 0
		.amdhsa_float_round_mode_32 0
		.amdhsa_float_round_mode_16_64 0
		.amdhsa_float_denorm_mode_32 3
		.amdhsa_float_denorm_mode_16_64 3
		.amdhsa_dx10_clamp 1
		.amdhsa_ieee_mode 1
		.amdhsa_fp16_overflow 0
		.amdhsa_tg_split 0
		.amdhsa_exception_fp_ieee_invalid_op 0
		.amdhsa_exception_fp_denorm_src 0
		.amdhsa_exception_fp_ieee_div_zero 0
		.amdhsa_exception_fp_ieee_overflow 0
		.amdhsa_exception_fp_ieee_underflow 0
		.amdhsa_exception_fp_ieee_inexact 0
		.amdhsa_exception_int_div_zero 0
	.end_amdhsa_kernel
	.section	.text._ZN7rocprim17ROCPRIM_400000_NS6detail17trampoline_kernelINS0_14default_configENS1_35radix_sort_onesweep_config_selectorIiNS0_10empty_typeEEEZNS1_34radix_sort_onesweep_global_offsetsIS3_Lb0EN6thrust23THRUST_200600_302600_NS6detail15normal_iteratorINS9_10device_ptrIiEEEEPS5_jNS0_19identity_decomposerEEE10hipError_tT1_T2_PT3_SK_jT4_jjP12ihipStream_tbEUlT_E0_NS1_11comp_targetILNS1_3genE0ELNS1_11target_archE4294967295ELNS1_3gpuE0ELNS1_3repE0EEENS1_52radix_sort_onesweep_histogram_config_static_selectorELNS0_4arch9wavefront6targetE1EEEvSI_,"axG",@progbits,_ZN7rocprim17ROCPRIM_400000_NS6detail17trampoline_kernelINS0_14default_configENS1_35radix_sort_onesweep_config_selectorIiNS0_10empty_typeEEEZNS1_34radix_sort_onesweep_global_offsetsIS3_Lb0EN6thrust23THRUST_200600_302600_NS6detail15normal_iteratorINS9_10device_ptrIiEEEEPS5_jNS0_19identity_decomposerEEE10hipError_tT1_T2_PT3_SK_jT4_jjP12ihipStream_tbEUlT_E0_NS1_11comp_targetILNS1_3genE0ELNS1_11target_archE4294967295ELNS1_3gpuE0ELNS1_3repE0EEENS1_52radix_sort_onesweep_histogram_config_static_selectorELNS0_4arch9wavefront6targetE1EEEvSI_,comdat
.Lfunc_end1728:
	.size	_ZN7rocprim17ROCPRIM_400000_NS6detail17trampoline_kernelINS0_14default_configENS1_35radix_sort_onesweep_config_selectorIiNS0_10empty_typeEEEZNS1_34radix_sort_onesweep_global_offsetsIS3_Lb0EN6thrust23THRUST_200600_302600_NS6detail15normal_iteratorINS9_10device_ptrIiEEEEPS5_jNS0_19identity_decomposerEEE10hipError_tT1_T2_PT3_SK_jT4_jjP12ihipStream_tbEUlT_E0_NS1_11comp_targetILNS1_3genE0ELNS1_11target_archE4294967295ELNS1_3gpuE0ELNS1_3repE0EEENS1_52radix_sort_onesweep_histogram_config_static_selectorELNS0_4arch9wavefront6targetE1EEEvSI_, .Lfunc_end1728-_ZN7rocprim17ROCPRIM_400000_NS6detail17trampoline_kernelINS0_14default_configENS1_35radix_sort_onesweep_config_selectorIiNS0_10empty_typeEEEZNS1_34radix_sort_onesweep_global_offsetsIS3_Lb0EN6thrust23THRUST_200600_302600_NS6detail15normal_iteratorINS9_10device_ptrIiEEEEPS5_jNS0_19identity_decomposerEEE10hipError_tT1_T2_PT3_SK_jT4_jjP12ihipStream_tbEUlT_E0_NS1_11comp_targetILNS1_3genE0ELNS1_11target_archE4294967295ELNS1_3gpuE0ELNS1_3repE0EEENS1_52radix_sort_onesweep_histogram_config_static_selectorELNS0_4arch9wavefront6targetE1EEEvSI_
                                        ; -- End function
	.section	.AMDGPU.csdata,"",@progbits
; Kernel info:
; codeLenInByte = 0
; NumSgprs: 6
; NumVgprs: 0
; NumAgprs: 0
; TotalNumVgprs: 0
; ScratchSize: 0
; MemoryBound: 0
; FloatMode: 240
; IeeeMode: 1
; LDSByteSize: 0 bytes/workgroup (compile time only)
; SGPRBlocks: 0
; VGPRBlocks: 0
; NumSGPRsForWavesPerEU: 6
; NumVGPRsForWavesPerEU: 1
; AccumOffset: 4
; Occupancy: 8
; WaveLimiterHint : 0
; COMPUTE_PGM_RSRC2:SCRATCH_EN: 0
; COMPUTE_PGM_RSRC2:USER_SGPR: 2
; COMPUTE_PGM_RSRC2:TRAP_HANDLER: 0
; COMPUTE_PGM_RSRC2:TGID_X_EN: 1
; COMPUTE_PGM_RSRC2:TGID_Y_EN: 0
; COMPUTE_PGM_RSRC2:TGID_Z_EN: 0
; COMPUTE_PGM_RSRC2:TIDIG_COMP_CNT: 0
; COMPUTE_PGM_RSRC3_GFX90A:ACCUM_OFFSET: 0
; COMPUTE_PGM_RSRC3_GFX90A:TG_SPLIT: 0
	.section	.text._ZN7rocprim17ROCPRIM_400000_NS6detail17trampoline_kernelINS0_14default_configENS1_35radix_sort_onesweep_config_selectorIiNS0_10empty_typeEEEZNS1_34radix_sort_onesweep_global_offsetsIS3_Lb0EN6thrust23THRUST_200600_302600_NS6detail15normal_iteratorINS9_10device_ptrIiEEEEPS5_jNS0_19identity_decomposerEEE10hipError_tT1_T2_PT3_SK_jT4_jjP12ihipStream_tbEUlT_E0_NS1_11comp_targetILNS1_3genE6ELNS1_11target_archE950ELNS1_3gpuE13ELNS1_3repE0EEENS1_52radix_sort_onesweep_histogram_config_static_selectorELNS0_4arch9wavefront6targetE1EEEvSI_,"axG",@progbits,_ZN7rocprim17ROCPRIM_400000_NS6detail17trampoline_kernelINS0_14default_configENS1_35radix_sort_onesweep_config_selectorIiNS0_10empty_typeEEEZNS1_34radix_sort_onesweep_global_offsetsIS3_Lb0EN6thrust23THRUST_200600_302600_NS6detail15normal_iteratorINS9_10device_ptrIiEEEEPS5_jNS0_19identity_decomposerEEE10hipError_tT1_T2_PT3_SK_jT4_jjP12ihipStream_tbEUlT_E0_NS1_11comp_targetILNS1_3genE6ELNS1_11target_archE950ELNS1_3gpuE13ELNS1_3repE0EEENS1_52radix_sort_onesweep_histogram_config_static_selectorELNS0_4arch9wavefront6targetE1EEEvSI_,comdat
	.protected	_ZN7rocprim17ROCPRIM_400000_NS6detail17trampoline_kernelINS0_14default_configENS1_35radix_sort_onesweep_config_selectorIiNS0_10empty_typeEEEZNS1_34radix_sort_onesweep_global_offsetsIS3_Lb0EN6thrust23THRUST_200600_302600_NS6detail15normal_iteratorINS9_10device_ptrIiEEEEPS5_jNS0_19identity_decomposerEEE10hipError_tT1_T2_PT3_SK_jT4_jjP12ihipStream_tbEUlT_E0_NS1_11comp_targetILNS1_3genE6ELNS1_11target_archE950ELNS1_3gpuE13ELNS1_3repE0EEENS1_52radix_sort_onesweep_histogram_config_static_selectorELNS0_4arch9wavefront6targetE1EEEvSI_ ; -- Begin function _ZN7rocprim17ROCPRIM_400000_NS6detail17trampoline_kernelINS0_14default_configENS1_35radix_sort_onesweep_config_selectorIiNS0_10empty_typeEEEZNS1_34radix_sort_onesweep_global_offsetsIS3_Lb0EN6thrust23THRUST_200600_302600_NS6detail15normal_iteratorINS9_10device_ptrIiEEEEPS5_jNS0_19identity_decomposerEEE10hipError_tT1_T2_PT3_SK_jT4_jjP12ihipStream_tbEUlT_E0_NS1_11comp_targetILNS1_3genE6ELNS1_11target_archE950ELNS1_3gpuE13ELNS1_3repE0EEENS1_52radix_sort_onesweep_histogram_config_static_selectorELNS0_4arch9wavefront6targetE1EEEvSI_
	.globl	_ZN7rocprim17ROCPRIM_400000_NS6detail17trampoline_kernelINS0_14default_configENS1_35radix_sort_onesweep_config_selectorIiNS0_10empty_typeEEEZNS1_34radix_sort_onesweep_global_offsetsIS3_Lb0EN6thrust23THRUST_200600_302600_NS6detail15normal_iteratorINS9_10device_ptrIiEEEEPS5_jNS0_19identity_decomposerEEE10hipError_tT1_T2_PT3_SK_jT4_jjP12ihipStream_tbEUlT_E0_NS1_11comp_targetILNS1_3genE6ELNS1_11target_archE950ELNS1_3gpuE13ELNS1_3repE0EEENS1_52radix_sort_onesweep_histogram_config_static_selectorELNS0_4arch9wavefront6targetE1EEEvSI_
	.p2align	8
	.type	_ZN7rocprim17ROCPRIM_400000_NS6detail17trampoline_kernelINS0_14default_configENS1_35radix_sort_onesweep_config_selectorIiNS0_10empty_typeEEEZNS1_34radix_sort_onesweep_global_offsetsIS3_Lb0EN6thrust23THRUST_200600_302600_NS6detail15normal_iteratorINS9_10device_ptrIiEEEEPS5_jNS0_19identity_decomposerEEE10hipError_tT1_T2_PT3_SK_jT4_jjP12ihipStream_tbEUlT_E0_NS1_11comp_targetILNS1_3genE6ELNS1_11target_archE950ELNS1_3gpuE13ELNS1_3repE0EEENS1_52radix_sort_onesweep_histogram_config_static_selectorELNS0_4arch9wavefront6targetE1EEEvSI_,@function
_ZN7rocprim17ROCPRIM_400000_NS6detail17trampoline_kernelINS0_14default_configENS1_35radix_sort_onesweep_config_selectorIiNS0_10empty_typeEEEZNS1_34radix_sort_onesweep_global_offsetsIS3_Lb0EN6thrust23THRUST_200600_302600_NS6detail15normal_iteratorINS9_10device_ptrIiEEEEPS5_jNS0_19identity_decomposerEEE10hipError_tT1_T2_PT3_SK_jT4_jjP12ihipStream_tbEUlT_E0_NS1_11comp_targetILNS1_3genE6ELNS1_11target_archE950ELNS1_3gpuE13ELNS1_3repE0EEENS1_52radix_sort_onesweep_histogram_config_static_selectorELNS0_4arch9wavefront6targetE1EEEvSI_: ; @_ZN7rocprim17ROCPRIM_400000_NS6detail17trampoline_kernelINS0_14default_configENS1_35radix_sort_onesweep_config_selectorIiNS0_10empty_typeEEEZNS1_34radix_sort_onesweep_global_offsetsIS3_Lb0EN6thrust23THRUST_200600_302600_NS6detail15normal_iteratorINS9_10device_ptrIiEEEEPS5_jNS0_19identity_decomposerEEE10hipError_tT1_T2_PT3_SK_jT4_jjP12ihipStream_tbEUlT_E0_NS1_11comp_targetILNS1_3genE6ELNS1_11target_archE950ELNS1_3gpuE13ELNS1_3repE0EEENS1_52radix_sort_onesweep_histogram_config_static_selectorELNS0_4arch9wavefront6targetE1EEEvSI_
; %bb.0:
	.section	.rodata,"a",@progbits
	.p2align	6, 0x0
	.amdhsa_kernel _ZN7rocprim17ROCPRIM_400000_NS6detail17trampoline_kernelINS0_14default_configENS1_35radix_sort_onesweep_config_selectorIiNS0_10empty_typeEEEZNS1_34radix_sort_onesweep_global_offsetsIS3_Lb0EN6thrust23THRUST_200600_302600_NS6detail15normal_iteratorINS9_10device_ptrIiEEEEPS5_jNS0_19identity_decomposerEEE10hipError_tT1_T2_PT3_SK_jT4_jjP12ihipStream_tbEUlT_E0_NS1_11comp_targetILNS1_3genE6ELNS1_11target_archE950ELNS1_3gpuE13ELNS1_3repE0EEENS1_52radix_sort_onesweep_histogram_config_static_selectorELNS0_4arch9wavefront6targetE1EEEvSI_
		.amdhsa_group_segment_fixed_size 0
		.amdhsa_private_segment_fixed_size 0
		.amdhsa_kernarg_size 8
		.amdhsa_user_sgpr_count 2
		.amdhsa_user_sgpr_dispatch_ptr 0
		.amdhsa_user_sgpr_queue_ptr 0
		.amdhsa_user_sgpr_kernarg_segment_ptr 1
		.amdhsa_user_sgpr_dispatch_id 0
		.amdhsa_user_sgpr_kernarg_preload_length 0
		.amdhsa_user_sgpr_kernarg_preload_offset 0
		.amdhsa_user_sgpr_private_segment_size 0
		.amdhsa_uses_dynamic_stack 0
		.amdhsa_enable_private_segment 0
		.amdhsa_system_sgpr_workgroup_id_x 1
		.amdhsa_system_sgpr_workgroup_id_y 0
		.amdhsa_system_sgpr_workgroup_id_z 0
		.amdhsa_system_sgpr_workgroup_info 0
		.amdhsa_system_vgpr_workitem_id 0
		.amdhsa_next_free_vgpr 1
		.amdhsa_next_free_sgpr 0
		.amdhsa_accum_offset 4
		.amdhsa_reserve_vcc 0
		.amdhsa_float_round_mode_32 0
		.amdhsa_float_round_mode_16_64 0
		.amdhsa_float_denorm_mode_32 3
		.amdhsa_float_denorm_mode_16_64 3
		.amdhsa_dx10_clamp 1
		.amdhsa_ieee_mode 1
		.amdhsa_fp16_overflow 0
		.amdhsa_tg_split 0
		.amdhsa_exception_fp_ieee_invalid_op 0
		.amdhsa_exception_fp_denorm_src 0
		.amdhsa_exception_fp_ieee_div_zero 0
		.amdhsa_exception_fp_ieee_overflow 0
		.amdhsa_exception_fp_ieee_underflow 0
		.amdhsa_exception_fp_ieee_inexact 0
		.amdhsa_exception_int_div_zero 0
	.end_amdhsa_kernel
	.section	.text._ZN7rocprim17ROCPRIM_400000_NS6detail17trampoline_kernelINS0_14default_configENS1_35radix_sort_onesweep_config_selectorIiNS0_10empty_typeEEEZNS1_34radix_sort_onesweep_global_offsetsIS3_Lb0EN6thrust23THRUST_200600_302600_NS6detail15normal_iteratorINS9_10device_ptrIiEEEEPS5_jNS0_19identity_decomposerEEE10hipError_tT1_T2_PT3_SK_jT4_jjP12ihipStream_tbEUlT_E0_NS1_11comp_targetILNS1_3genE6ELNS1_11target_archE950ELNS1_3gpuE13ELNS1_3repE0EEENS1_52radix_sort_onesweep_histogram_config_static_selectorELNS0_4arch9wavefront6targetE1EEEvSI_,"axG",@progbits,_ZN7rocprim17ROCPRIM_400000_NS6detail17trampoline_kernelINS0_14default_configENS1_35radix_sort_onesweep_config_selectorIiNS0_10empty_typeEEEZNS1_34radix_sort_onesweep_global_offsetsIS3_Lb0EN6thrust23THRUST_200600_302600_NS6detail15normal_iteratorINS9_10device_ptrIiEEEEPS5_jNS0_19identity_decomposerEEE10hipError_tT1_T2_PT3_SK_jT4_jjP12ihipStream_tbEUlT_E0_NS1_11comp_targetILNS1_3genE6ELNS1_11target_archE950ELNS1_3gpuE13ELNS1_3repE0EEENS1_52radix_sort_onesweep_histogram_config_static_selectorELNS0_4arch9wavefront6targetE1EEEvSI_,comdat
.Lfunc_end1729:
	.size	_ZN7rocprim17ROCPRIM_400000_NS6detail17trampoline_kernelINS0_14default_configENS1_35radix_sort_onesweep_config_selectorIiNS0_10empty_typeEEEZNS1_34radix_sort_onesweep_global_offsetsIS3_Lb0EN6thrust23THRUST_200600_302600_NS6detail15normal_iteratorINS9_10device_ptrIiEEEEPS5_jNS0_19identity_decomposerEEE10hipError_tT1_T2_PT3_SK_jT4_jjP12ihipStream_tbEUlT_E0_NS1_11comp_targetILNS1_3genE6ELNS1_11target_archE950ELNS1_3gpuE13ELNS1_3repE0EEENS1_52radix_sort_onesweep_histogram_config_static_selectorELNS0_4arch9wavefront6targetE1EEEvSI_, .Lfunc_end1729-_ZN7rocprim17ROCPRIM_400000_NS6detail17trampoline_kernelINS0_14default_configENS1_35radix_sort_onesweep_config_selectorIiNS0_10empty_typeEEEZNS1_34radix_sort_onesweep_global_offsetsIS3_Lb0EN6thrust23THRUST_200600_302600_NS6detail15normal_iteratorINS9_10device_ptrIiEEEEPS5_jNS0_19identity_decomposerEEE10hipError_tT1_T2_PT3_SK_jT4_jjP12ihipStream_tbEUlT_E0_NS1_11comp_targetILNS1_3genE6ELNS1_11target_archE950ELNS1_3gpuE13ELNS1_3repE0EEENS1_52radix_sort_onesweep_histogram_config_static_selectorELNS0_4arch9wavefront6targetE1EEEvSI_
                                        ; -- End function
	.section	.AMDGPU.csdata,"",@progbits
; Kernel info:
; codeLenInByte = 0
; NumSgprs: 6
; NumVgprs: 0
; NumAgprs: 0
; TotalNumVgprs: 0
; ScratchSize: 0
; MemoryBound: 0
; FloatMode: 240
; IeeeMode: 1
; LDSByteSize: 0 bytes/workgroup (compile time only)
; SGPRBlocks: 0
; VGPRBlocks: 0
; NumSGPRsForWavesPerEU: 6
; NumVGPRsForWavesPerEU: 1
; AccumOffset: 4
; Occupancy: 8
; WaveLimiterHint : 0
; COMPUTE_PGM_RSRC2:SCRATCH_EN: 0
; COMPUTE_PGM_RSRC2:USER_SGPR: 2
; COMPUTE_PGM_RSRC2:TRAP_HANDLER: 0
; COMPUTE_PGM_RSRC2:TGID_X_EN: 1
; COMPUTE_PGM_RSRC2:TGID_Y_EN: 0
; COMPUTE_PGM_RSRC2:TGID_Z_EN: 0
; COMPUTE_PGM_RSRC2:TIDIG_COMP_CNT: 0
; COMPUTE_PGM_RSRC3_GFX90A:ACCUM_OFFSET: 0
; COMPUTE_PGM_RSRC3_GFX90A:TG_SPLIT: 0
	.section	.text._ZN7rocprim17ROCPRIM_400000_NS6detail17trampoline_kernelINS0_14default_configENS1_35radix_sort_onesweep_config_selectorIiNS0_10empty_typeEEEZNS1_34radix_sort_onesweep_global_offsetsIS3_Lb0EN6thrust23THRUST_200600_302600_NS6detail15normal_iteratorINS9_10device_ptrIiEEEEPS5_jNS0_19identity_decomposerEEE10hipError_tT1_T2_PT3_SK_jT4_jjP12ihipStream_tbEUlT_E0_NS1_11comp_targetILNS1_3genE5ELNS1_11target_archE942ELNS1_3gpuE9ELNS1_3repE0EEENS1_52radix_sort_onesweep_histogram_config_static_selectorELNS0_4arch9wavefront6targetE1EEEvSI_,"axG",@progbits,_ZN7rocprim17ROCPRIM_400000_NS6detail17trampoline_kernelINS0_14default_configENS1_35radix_sort_onesweep_config_selectorIiNS0_10empty_typeEEEZNS1_34radix_sort_onesweep_global_offsetsIS3_Lb0EN6thrust23THRUST_200600_302600_NS6detail15normal_iteratorINS9_10device_ptrIiEEEEPS5_jNS0_19identity_decomposerEEE10hipError_tT1_T2_PT3_SK_jT4_jjP12ihipStream_tbEUlT_E0_NS1_11comp_targetILNS1_3genE5ELNS1_11target_archE942ELNS1_3gpuE9ELNS1_3repE0EEENS1_52radix_sort_onesweep_histogram_config_static_selectorELNS0_4arch9wavefront6targetE1EEEvSI_,comdat
	.protected	_ZN7rocprim17ROCPRIM_400000_NS6detail17trampoline_kernelINS0_14default_configENS1_35radix_sort_onesweep_config_selectorIiNS0_10empty_typeEEEZNS1_34radix_sort_onesweep_global_offsetsIS3_Lb0EN6thrust23THRUST_200600_302600_NS6detail15normal_iteratorINS9_10device_ptrIiEEEEPS5_jNS0_19identity_decomposerEEE10hipError_tT1_T2_PT3_SK_jT4_jjP12ihipStream_tbEUlT_E0_NS1_11comp_targetILNS1_3genE5ELNS1_11target_archE942ELNS1_3gpuE9ELNS1_3repE0EEENS1_52radix_sort_onesweep_histogram_config_static_selectorELNS0_4arch9wavefront6targetE1EEEvSI_ ; -- Begin function _ZN7rocprim17ROCPRIM_400000_NS6detail17trampoline_kernelINS0_14default_configENS1_35radix_sort_onesweep_config_selectorIiNS0_10empty_typeEEEZNS1_34radix_sort_onesweep_global_offsetsIS3_Lb0EN6thrust23THRUST_200600_302600_NS6detail15normal_iteratorINS9_10device_ptrIiEEEEPS5_jNS0_19identity_decomposerEEE10hipError_tT1_T2_PT3_SK_jT4_jjP12ihipStream_tbEUlT_E0_NS1_11comp_targetILNS1_3genE5ELNS1_11target_archE942ELNS1_3gpuE9ELNS1_3repE0EEENS1_52radix_sort_onesweep_histogram_config_static_selectorELNS0_4arch9wavefront6targetE1EEEvSI_
	.globl	_ZN7rocprim17ROCPRIM_400000_NS6detail17trampoline_kernelINS0_14default_configENS1_35radix_sort_onesweep_config_selectorIiNS0_10empty_typeEEEZNS1_34radix_sort_onesweep_global_offsetsIS3_Lb0EN6thrust23THRUST_200600_302600_NS6detail15normal_iteratorINS9_10device_ptrIiEEEEPS5_jNS0_19identity_decomposerEEE10hipError_tT1_T2_PT3_SK_jT4_jjP12ihipStream_tbEUlT_E0_NS1_11comp_targetILNS1_3genE5ELNS1_11target_archE942ELNS1_3gpuE9ELNS1_3repE0EEENS1_52radix_sort_onesweep_histogram_config_static_selectorELNS0_4arch9wavefront6targetE1EEEvSI_
	.p2align	8
	.type	_ZN7rocprim17ROCPRIM_400000_NS6detail17trampoline_kernelINS0_14default_configENS1_35radix_sort_onesweep_config_selectorIiNS0_10empty_typeEEEZNS1_34radix_sort_onesweep_global_offsetsIS3_Lb0EN6thrust23THRUST_200600_302600_NS6detail15normal_iteratorINS9_10device_ptrIiEEEEPS5_jNS0_19identity_decomposerEEE10hipError_tT1_T2_PT3_SK_jT4_jjP12ihipStream_tbEUlT_E0_NS1_11comp_targetILNS1_3genE5ELNS1_11target_archE942ELNS1_3gpuE9ELNS1_3repE0EEENS1_52radix_sort_onesweep_histogram_config_static_selectorELNS0_4arch9wavefront6targetE1EEEvSI_,@function
_ZN7rocprim17ROCPRIM_400000_NS6detail17trampoline_kernelINS0_14default_configENS1_35radix_sort_onesweep_config_selectorIiNS0_10empty_typeEEEZNS1_34radix_sort_onesweep_global_offsetsIS3_Lb0EN6thrust23THRUST_200600_302600_NS6detail15normal_iteratorINS9_10device_ptrIiEEEEPS5_jNS0_19identity_decomposerEEE10hipError_tT1_T2_PT3_SK_jT4_jjP12ihipStream_tbEUlT_E0_NS1_11comp_targetILNS1_3genE5ELNS1_11target_archE942ELNS1_3gpuE9ELNS1_3repE0EEENS1_52radix_sort_onesweep_histogram_config_static_selectorELNS0_4arch9wavefront6targetE1EEEvSI_: ; @_ZN7rocprim17ROCPRIM_400000_NS6detail17trampoline_kernelINS0_14default_configENS1_35radix_sort_onesweep_config_selectorIiNS0_10empty_typeEEEZNS1_34radix_sort_onesweep_global_offsetsIS3_Lb0EN6thrust23THRUST_200600_302600_NS6detail15normal_iteratorINS9_10device_ptrIiEEEEPS5_jNS0_19identity_decomposerEEE10hipError_tT1_T2_PT3_SK_jT4_jjP12ihipStream_tbEUlT_E0_NS1_11comp_targetILNS1_3genE5ELNS1_11target_archE942ELNS1_3gpuE9ELNS1_3repE0EEENS1_52radix_sort_onesweep_histogram_config_static_selectorELNS0_4arch9wavefront6targetE1EEEvSI_
; %bb.0:
	s_load_dwordx2 s[0:1], s[0:1], 0x0
	s_lshl_b32 s2, s2, 8
	s_mov_b32 s3, 0
	s_lshl_b64 s[2:3], s[2:3], 2
	v_lshlrev_b32_e32 v1, 2, v0
	s_waitcnt lgkmcnt(0)
	s_add_u32 s10, s0, s2
	s_movk_i32 s0, 0x100
	s_addc_u32 s11, s1, s3
	v_cmp_gt_u32_e32 vcc, s0, v0
                                        ; implicit-def: $vgpr3
	s_and_saveexec_b64 s[0:1], vcc
	s_cbranch_execz .LBB1730_2
; %bb.1:
	global_load_dword v3, v1, s[10:11]
.LBB1730_2:
	s_or_b64 exec, exec, s[0:1]
	v_mbcnt_lo_u32_b32 v2, -1, 0
	v_mbcnt_hi_u32_b32 v2, -1, v2
	v_and_b32_e32 v4, 15, v2
	s_waitcnt vmcnt(0)
	v_mov_b32_dpp v5, v3 row_shr:1 row_mask:0xf bank_mask:0xf
	v_cmp_eq_u32_e64 s[0:1], 0, v4
	v_cmp_lt_u32_e64 s[2:3], 1, v4
	v_cmp_lt_u32_e64 s[4:5], 3, v4
	v_cndmask_b32_e64 v5, v5, 0, s[0:1]
	v_add_u32_e32 v3, v5, v3
	v_cmp_lt_u32_e64 s[6:7], 7, v4
	v_cmp_lt_u32_e64 s[8:9], 31, v2
	v_mov_b32_dpp v5, v3 row_shr:2 row_mask:0xf bank_mask:0xf
	v_cndmask_b32_e64 v5, 0, v5, s[2:3]
	v_add_u32_e32 v3, v3, v5
	s_nop 1
	v_mov_b32_dpp v5, v3 row_shr:4 row_mask:0xf bank_mask:0xf
	v_cndmask_b32_e64 v5, 0, v5, s[4:5]
	v_add_u32_e32 v3, v3, v5
	s_nop 1
	v_mov_b32_dpp v5, v3 row_shr:8 row_mask:0xf bank_mask:0xf
	v_cndmask_b32_e64 v4, 0, v5, s[6:7]
	v_add_u32_e32 v3, v3, v4
	v_bfe_i32 v5, v2, 4, 1
	s_nop 0
	v_mov_b32_dpp v4, v3 row_bcast:15 row_mask:0xf bank_mask:0xf
	v_and_b32_e32 v4, v5, v4
	v_add_u32_e32 v3, v3, v4
	v_and_b32_e32 v5, 63, v0
	s_nop 0
	v_mov_b32_dpp v4, v3 row_bcast:31 row_mask:0xf bank_mask:0xf
	v_cndmask_b32_e64 v4, 0, v4, s[8:9]
	v_add_u32_e32 v3, v3, v4
	v_lshrrev_b32_e32 v4, 6, v0
	v_cmp_eq_u32_e64 s[8:9], 63, v5
	s_and_saveexec_b64 s[12:13], s[8:9]
	s_cbranch_execz .LBB1730_4
; %bb.3:
	v_lshlrev_b32_e32 v5, 2, v4
	ds_write_b32 v5, v3
.LBB1730_4:
	s_or_b64 exec, exec, s[12:13]
	v_cmp_gt_u32_e64 s[8:9], 16, v0
	s_waitcnt lgkmcnt(0)
	s_barrier
	s_and_saveexec_b64 s[12:13], s[8:9]
	s_cbranch_execz .LBB1730_6
; %bb.5:
	ds_read_b32 v5, v1
	s_waitcnt lgkmcnt(0)
	s_nop 0
	v_mov_b32_dpp v6, v5 row_shr:1 row_mask:0xf bank_mask:0xf
	v_cndmask_b32_e64 v6, v6, 0, s[0:1]
	v_add_u32_e32 v5, v6, v5
	s_nop 1
	v_mov_b32_dpp v6, v5 row_shr:2 row_mask:0xf bank_mask:0xf
	v_cndmask_b32_e64 v6, 0, v6, s[2:3]
	v_add_u32_e32 v5, v5, v6
	;; [unrolled: 4-line block ×4, first 2 shown]
	ds_write_b32 v1, v5
.LBB1730_6:
	s_or_b64 exec, exec, s[12:13]
	v_cmp_lt_u32_e64 s[0:1], 63, v0
	v_mov_b32_e32 v0, 0
	s_waitcnt lgkmcnt(0)
	s_barrier
	s_and_saveexec_b64 s[2:3], s[0:1]
	s_cbranch_execz .LBB1730_8
; %bb.7:
	v_lshl_add_u32 v0, v4, 2, -4
	ds_read_b32 v0, v0
.LBB1730_8:
	s_or_b64 exec, exec, s[2:3]
	v_add_u32_e32 v4, -1, v2
	v_and_b32_e32 v5, 64, v2
	v_cmp_lt_i32_e64 s[0:1], v4, v5
	s_waitcnt lgkmcnt(0)
	v_add_u32_e32 v3, v0, v3
	v_cndmask_b32_e64 v4, v4, v2, s[0:1]
	v_lshlrev_b32_e32 v4, 2, v4
	ds_bpermute_b32 v3, v4, v3
	s_and_saveexec_b64 s[0:1], vcc
	s_cbranch_execz .LBB1730_10
; %bb.9:
	v_cmp_eq_u32_e32 vcc, 0, v2
	s_waitcnt lgkmcnt(0)
	s_nop 0
	v_cndmask_b32_e32 v0, v3, v0, vcc
	global_store_dword v1, v0, s[10:11]
.LBB1730_10:
	s_endpgm
	.section	.rodata,"a",@progbits
	.p2align	6, 0x0
	.amdhsa_kernel _ZN7rocprim17ROCPRIM_400000_NS6detail17trampoline_kernelINS0_14default_configENS1_35radix_sort_onesweep_config_selectorIiNS0_10empty_typeEEEZNS1_34radix_sort_onesweep_global_offsetsIS3_Lb0EN6thrust23THRUST_200600_302600_NS6detail15normal_iteratorINS9_10device_ptrIiEEEEPS5_jNS0_19identity_decomposerEEE10hipError_tT1_T2_PT3_SK_jT4_jjP12ihipStream_tbEUlT_E0_NS1_11comp_targetILNS1_3genE5ELNS1_11target_archE942ELNS1_3gpuE9ELNS1_3repE0EEENS1_52radix_sort_onesweep_histogram_config_static_selectorELNS0_4arch9wavefront6targetE1EEEvSI_
		.amdhsa_group_segment_fixed_size 64
		.amdhsa_private_segment_fixed_size 0
		.amdhsa_kernarg_size 8
		.amdhsa_user_sgpr_count 2
		.amdhsa_user_sgpr_dispatch_ptr 0
		.amdhsa_user_sgpr_queue_ptr 0
		.amdhsa_user_sgpr_kernarg_segment_ptr 1
		.amdhsa_user_sgpr_dispatch_id 0
		.amdhsa_user_sgpr_kernarg_preload_length 0
		.amdhsa_user_sgpr_kernarg_preload_offset 0
		.amdhsa_user_sgpr_private_segment_size 0
		.amdhsa_uses_dynamic_stack 0
		.amdhsa_enable_private_segment 0
		.amdhsa_system_sgpr_workgroup_id_x 1
		.amdhsa_system_sgpr_workgroup_id_y 0
		.amdhsa_system_sgpr_workgroup_id_z 0
		.amdhsa_system_sgpr_workgroup_info 0
		.amdhsa_system_vgpr_workitem_id 0
		.amdhsa_next_free_vgpr 7
		.amdhsa_next_free_sgpr 14
		.amdhsa_accum_offset 8
		.amdhsa_reserve_vcc 1
		.amdhsa_float_round_mode_32 0
		.amdhsa_float_round_mode_16_64 0
		.amdhsa_float_denorm_mode_32 3
		.amdhsa_float_denorm_mode_16_64 3
		.amdhsa_dx10_clamp 1
		.amdhsa_ieee_mode 1
		.amdhsa_fp16_overflow 0
		.amdhsa_tg_split 0
		.amdhsa_exception_fp_ieee_invalid_op 0
		.amdhsa_exception_fp_denorm_src 0
		.amdhsa_exception_fp_ieee_div_zero 0
		.amdhsa_exception_fp_ieee_overflow 0
		.amdhsa_exception_fp_ieee_underflow 0
		.amdhsa_exception_fp_ieee_inexact 0
		.amdhsa_exception_int_div_zero 0
	.end_amdhsa_kernel
	.section	.text._ZN7rocprim17ROCPRIM_400000_NS6detail17trampoline_kernelINS0_14default_configENS1_35radix_sort_onesweep_config_selectorIiNS0_10empty_typeEEEZNS1_34radix_sort_onesweep_global_offsetsIS3_Lb0EN6thrust23THRUST_200600_302600_NS6detail15normal_iteratorINS9_10device_ptrIiEEEEPS5_jNS0_19identity_decomposerEEE10hipError_tT1_T2_PT3_SK_jT4_jjP12ihipStream_tbEUlT_E0_NS1_11comp_targetILNS1_3genE5ELNS1_11target_archE942ELNS1_3gpuE9ELNS1_3repE0EEENS1_52radix_sort_onesweep_histogram_config_static_selectorELNS0_4arch9wavefront6targetE1EEEvSI_,"axG",@progbits,_ZN7rocprim17ROCPRIM_400000_NS6detail17trampoline_kernelINS0_14default_configENS1_35radix_sort_onesweep_config_selectorIiNS0_10empty_typeEEEZNS1_34radix_sort_onesweep_global_offsetsIS3_Lb0EN6thrust23THRUST_200600_302600_NS6detail15normal_iteratorINS9_10device_ptrIiEEEEPS5_jNS0_19identity_decomposerEEE10hipError_tT1_T2_PT3_SK_jT4_jjP12ihipStream_tbEUlT_E0_NS1_11comp_targetILNS1_3genE5ELNS1_11target_archE942ELNS1_3gpuE9ELNS1_3repE0EEENS1_52radix_sort_onesweep_histogram_config_static_selectorELNS0_4arch9wavefront6targetE1EEEvSI_,comdat
.Lfunc_end1730:
	.size	_ZN7rocprim17ROCPRIM_400000_NS6detail17trampoline_kernelINS0_14default_configENS1_35radix_sort_onesweep_config_selectorIiNS0_10empty_typeEEEZNS1_34radix_sort_onesweep_global_offsetsIS3_Lb0EN6thrust23THRUST_200600_302600_NS6detail15normal_iteratorINS9_10device_ptrIiEEEEPS5_jNS0_19identity_decomposerEEE10hipError_tT1_T2_PT3_SK_jT4_jjP12ihipStream_tbEUlT_E0_NS1_11comp_targetILNS1_3genE5ELNS1_11target_archE942ELNS1_3gpuE9ELNS1_3repE0EEENS1_52radix_sort_onesweep_histogram_config_static_selectorELNS0_4arch9wavefront6targetE1EEEvSI_, .Lfunc_end1730-_ZN7rocprim17ROCPRIM_400000_NS6detail17trampoline_kernelINS0_14default_configENS1_35radix_sort_onesweep_config_selectorIiNS0_10empty_typeEEEZNS1_34radix_sort_onesweep_global_offsetsIS3_Lb0EN6thrust23THRUST_200600_302600_NS6detail15normal_iteratorINS9_10device_ptrIiEEEEPS5_jNS0_19identity_decomposerEEE10hipError_tT1_T2_PT3_SK_jT4_jjP12ihipStream_tbEUlT_E0_NS1_11comp_targetILNS1_3genE5ELNS1_11target_archE942ELNS1_3gpuE9ELNS1_3repE0EEENS1_52radix_sort_onesweep_histogram_config_static_selectorELNS0_4arch9wavefront6targetE1EEEvSI_
                                        ; -- End function
	.section	.AMDGPU.csdata,"",@progbits
; Kernel info:
; codeLenInByte = 580
; NumSgprs: 20
; NumVgprs: 7
; NumAgprs: 0
; TotalNumVgprs: 7
; ScratchSize: 0
; MemoryBound: 0
; FloatMode: 240
; IeeeMode: 1
; LDSByteSize: 64 bytes/workgroup (compile time only)
; SGPRBlocks: 2
; VGPRBlocks: 0
; NumSGPRsForWavesPerEU: 20
; NumVGPRsForWavesPerEU: 7
; AccumOffset: 8
; Occupancy: 8
; WaveLimiterHint : 0
; COMPUTE_PGM_RSRC2:SCRATCH_EN: 0
; COMPUTE_PGM_RSRC2:USER_SGPR: 2
; COMPUTE_PGM_RSRC2:TRAP_HANDLER: 0
; COMPUTE_PGM_RSRC2:TGID_X_EN: 1
; COMPUTE_PGM_RSRC2:TGID_Y_EN: 0
; COMPUTE_PGM_RSRC2:TGID_Z_EN: 0
; COMPUTE_PGM_RSRC2:TIDIG_COMP_CNT: 0
; COMPUTE_PGM_RSRC3_GFX90A:ACCUM_OFFSET: 1
; COMPUTE_PGM_RSRC3_GFX90A:TG_SPLIT: 0
	.section	.text._ZN7rocprim17ROCPRIM_400000_NS6detail17trampoline_kernelINS0_14default_configENS1_35radix_sort_onesweep_config_selectorIiNS0_10empty_typeEEEZNS1_34radix_sort_onesweep_global_offsetsIS3_Lb0EN6thrust23THRUST_200600_302600_NS6detail15normal_iteratorINS9_10device_ptrIiEEEEPS5_jNS0_19identity_decomposerEEE10hipError_tT1_T2_PT3_SK_jT4_jjP12ihipStream_tbEUlT_E0_NS1_11comp_targetILNS1_3genE2ELNS1_11target_archE906ELNS1_3gpuE6ELNS1_3repE0EEENS1_52radix_sort_onesweep_histogram_config_static_selectorELNS0_4arch9wavefront6targetE1EEEvSI_,"axG",@progbits,_ZN7rocprim17ROCPRIM_400000_NS6detail17trampoline_kernelINS0_14default_configENS1_35radix_sort_onesweep_config_selectorIiNS0_10empty_typeEEEZNS1_34radix_sort_onesweep_global_offsetsIS3_Lb0EN6thrust23THRUST_200600_302600_NS6detail15normal_iteratorINS9_10device_ptrIiEEEEPS5_jNS0_19identity_decomposerEEE10hipError_tT1_T2_PT3_SK_jT4_jjP12ihipStream_tbEUlT_E0_NS1_11comp_targetILNS1_3genE2ELNS1_11target_archE906ELNS1_3gpuE6ELNS1_3repE0EEENS1_52radix_sort_onesweep_histogram_config_static_selectorELNS0_4arch9wavefront6targetE1EEEvSI_,comdat
	.protected	_ZN7rocprim17ROCPRIM_400000_NS6detail17trampoline_kernelINS0_14default_configENS1_35radix_sort_onesweep_config_selectorIiNS0_10empty_typeEEEZNS1_34radix_sort_onesweep_global_offsetsIS3_Lb0EN6thrust23THRUST_200600_302600_NS6detail15normal_iteratorINS9_10device_ptrIiEEEEPS5_jNS0_19identity_decomposerEEE10hipError_tT1_T2_PT3_SK_jT4_jjP12ihipStream_tbEUlT_E0_NS1_11comp_targetILNS1_3genE2ELNS1_11target_archE906ELNS1_3gpuE6ELNS1_3repE0EEENS1_52radix_sort_onesweep_histogram_config_static_selectorELNS0_4arch9wavefront6targetE1EEEvSI_ ; -- Begin function _ZN7rocprim17ROCPRIM_400000_NS6detail17trampoline_kernelINS0_14default_configENS1_35radix_sort_onesweep_config_selectorIiNS0_10empty_typeEEEZNS1_34radix_sort_onesweep_global_offsetsIS3_Lb0EN6thrust23THRUST_200600_302600_NS6detail15normal_iteratorINS9_10device_ptrIiEEEEPS5_jNS0_19identity_decomposerEEE10hipError_tT1_T2_PT3_SK_jT4_jjP12ihipStream_tbEUlT_E0_NS1_11comp_targetILNS1_3genE2ELNS1_11target_archE906ELNS1_3gpuE6ELNS1_3repE0EEENS1_52radix_sort_onesweep_histogram_config_static_selectorELNS0_4arch9wavefront6targetE1EEEvSI_
	.globl	_ZN7rocprim17ROCPRIM_400000_NS6detail17trampoline_kernelINS0_14default_configENS1_35radix_sort_onesweep_config_selectorIiNS0_10empty_typeEEEZNS1_34radix_sort_onesweep_global_offsetsIS3_Lb0EN6thrust23THRUST_200600_302600_NS6detail15normal_iteratorINS9_10device_ptrIiEEEEPS5_jNS0_19identity_decomposerEEE10hipError_tT1_T2_PT3_SK_jT4_jjP12ihipStream_tbEUlT_E0_NS1_11comp_targetILNS1_3genE2ELNS1_11target_archE906ELNS1_3gpuE6ELNS1_3repE0EEENS1_52radix_sort_onesweep_histogram_config_static_selectorELNS0_4arch9wavefront6targetE1EEEvSI_
	.p2align	8
	.type	_ZN7rocprim17ROCPRIM_400000_NS6detail17trampoline_kernelINS0_14default_configENS1_35radix_sort_onesweep_config_selectorIiNS0_10empty_typeEEEZNS1_34radix_sort_onesweep_global_offsetsIS3_Lb0EN6thrust23THRUST_200600_302600_NS6detail15normal_iteratorINS9_10device_ptrIiEEEEPS5_jNS0_19identity_decomposerEEE10hipError_tT1_T2_PT3_SK_jT4_jjP12ihipStream_tbEUlT_E0_NS1_11comp_targetILNS1_3genE2ELNS1_11target_archE906ELNS1_3gpuE6ELNS1_3repE0EEENS1_52radix_sort_onesweep_histogram_config_static_selectorELNS0_4arch9wavefront6targetE1EEEvSI_,@function
_ZN7rocprim17ROCPRIM_400000_NS6detail17trampoline_kernelINS0_14default_configENS1_35radix_sort_onesweep_config_selectorIiNS0_10empty_typeEEEZNS1_34radix_sort_onesweep_global_offsetsIS3_Lb0EN6thrust23THRUST_200600_302600_NS6detail15normal_iteratorINS9_10device_ptrIiEEEEPS5_jNS0_19identity_decomposerEEE10hipError_tT1_T2_PT3_SK_jT4_jjP12ihipStream_tbEUlT_E0_NS1_11comp_targetILNS1_3genE2ELNS1_11target_archE906ELNS1_3gpuE6ELNS1_3repE0EEENS1_52radix_sort_onesweep_histogram_config_static_selectorELNS0_4arch9wavefront6targetE1EEEvSI_: ; @_ZN7rocprim17ROCPRIM_400000_NS6detail17trampoline_kernelINS0_14default_configENS1_35radix_sort_onesweep_config_selectorIiNS0_10empty_typeEEEZNS1_34radix_sort_onesweep_global_offsetsIS3_Lb0EN6thrust23THRUST_200600_302600_NS6detail15normal_iteratorINS9_10device_ptrIiEEEEPS5_jNS0_19identity_decomposerEEE10hipError_tT1_T2_PT3_SK_jT4_jjP12ihipStream_tbEUlT_E0_NS1_11comp_targetILNS1_3genE2ELNS1_11target_archE906ELNS1_3gpuE6ELNS1_3repE0EEENS1_52radix_sort_onesweep_histogram_config_static_selectorELNS0_4arch9wavefront6targetE1EEEvSI_
; %bb.0:
	.section	.rodata,"a",@progbits
	.p2align	6, 0x0
	.amdhsa_kernel _ZN7rocprim17ROCPRIM_400000_NS6detail17trampoline_kernelINS0_14default_configENS1_35radix_sort_onesweep_config_selectorIiNS0_10empty_typeEEEZNS1_34radix_sort_onesweep_global_offsetsIS3_Lb0EN6thrust23THRUST_200600_302600_NS6detail15normal_iteratorINS9_10device_ptrIiEEEEPS5_jNS0_19identity_decomposerEEE10hipError_tT1_T2_PT3_SK_jT4_jjP12ihipStream_tbEUlT_E0_NS1_11comp_targetILNS1_3genE2ELNS1_11target_archE906ELNS1_3gpuE6ELNS1_3repE0EEENS1_52radix_sort_onesweep_histogram_config_static_selectorELNS0_4arch9wavefront6targetE1EEEvSI_
		.amdhsa_group_segment_fixed_size 0
		.amdhsa_private_segment_fixed_size 0
		.amdhsa_kernarg_size 8
		.amdhsa_user_sgpr_count 2
		.amdhsa_user_sgpr_dispatch_ptr 0
		.amdhsa_user_sgpr_queue_ptr 0
		.amdhsa_user_sgpr_kernarg_segment_ptr 1
		.amdhsa_user_sgpr_dispatch_id 0
		.amdhsa_user_sgpr_kernarg_preload_length 0
		.amdhsa_user_sgpr_kernarg_preload_offset 0
		.amdhsa_user_sgpr_private_segment_size 0
		.amdhsa_uses_dynamic_stack 0
		.amdhsa_enable_private_segment 0
		.amdhsa_system_sgpr_workgroup_id_x 1
		.amdhsa_system_sgpr_workgroup_id_y 0
		.amdhsa_system_sgpr_workgroup_id_z 0
		.amdhsa_system_sgpr_workgroup_info 0
		.amdhsa_system_vgpr_workitem_id 0
		.amdhsa_next_free_vgpr 1
		.amdhsa_next_free_sgpr 0
		.amdhsa_accum_offset 4
		.amdhsa_reserve_vcc 0
		.amdhsa_float_round_mode_32 0
		.amdhsa_float_round_mode_16_64 0
		.amdhsa_float_denorm_mode_32 3
		.amdhsa_float_denorm_mode_16_64 3
		.amdhsa_dx10_clamp 1
		.amdhsa_ieee_mode 1
		.amdhsa_fp16_overflow 0
		.amdhsa_tg_split 0
		.amdhsa_exception_fp_ieee_invalid_op 0
		.amdhsa_exception_fp_denorm_src 0
		.amdhsa_exception_fp_ieee_div_zero 0
		.amdhsa_exception_fp_ieee_overflow 0
		.amdhsa_exception_fp_ieee_underflow 0
		.amdhsa_exception_fp_ieee_inexact 0
		.amdhsa_exception_int_div_zero 0
	.end_amdhsa_kernel
	.section	.text._ZN7rocprim17ROCPRIM_400000_NS6detail17trampoline_kernelINS0_14default_configENS1_35radix_sort_onesweep_config_selectorIiNS0_10empty_typeEEEZNS1_34radix_sort_onesweep_global_offsetsIS3_Lb0EN6thrust23THRUST_200600_302600_NS6detail15normal_iteratorINS9_10device_ptrIiEEEEPS5_jNS0_19identity_decomposerEEE10hipError_tT1_T2_PT3_SK_jT4_jjP12ihipStream_tbEUlT_E0_NS1_11comp_targetILNS1_3genE2ELNS1_11target_archE906ELNS1_3gpuE6ELNS1_3repE0EEENS1_52radix_sort_onesweep_histogram_config_static_selectorELNS0_4arch9wavefront6targetE1EEEvSI_,"axG",@progbits,_ZN7rocprim17ROCPRIM_400000_NS6detail17trampoline_kernelINS0_14default_configENS1_35radix_sort_onesweep_config_selectorIiNS0_10empty_typeEEEZNS1_34radix_sort_onesweep_global_offsetsIS3_Lb0EN6thrust23THRUST_200600_302600_NS6detail15normal_iteratorINS9_10device_ptrIiEEEEPS5_jNS0_19identity_decomposerEEE10hipError_tT1_T2_PT3_SK_jT4_jjP12ihipStream_tbEUlT_E0_NS1_11comp_targetILNS1_3genE2ELNS1_11target_archE906ELNS1_3gpuE6ELNS1_3repE0EEENS1_52radix_sort_onesweep_histogram_config_static_selectorELNS0_4arch9wavefront6targetE1EEEvSI_,comdat
.Lfunc_end1731:
	.size	_ZN7rocprim17ROCPRIM_400000_NS6detail17trampoline_kernelINS0_14default_configENS1_35radix_sort_onesweep_config_selectorIiNS0_10empty_typeEEEZNS1_34radix_sort_onesweep_global_offsetsIS3_Lb0EN6thrust23THRUST_200600_302600_NS6detail15normal_iteratorINS9_10device_ptrIiEEEEPS5_jNS0_19identity_decomposerEEE10hipError_tT1_T2_PT3_SK_jT4_jjP12ihipStream_tbEUlT_E0_NS1_11comp_targetILNS1_3genE2ELNS1_11target_archE906ELNS1_3gpuE6ELNS1_3repE0EEENS1_52radix_sort_onesweep_histogram_config_static_selectorELNS0_4arch9wavefront6targetE1EEEvSI_, .Lfunc_end1731-_ZN7rocprim17ROCPRIM_400000_NS6detail17trampoline_kernelINS0_14default_configENS1_35radix_sort_onesweep_config_selectorIiNS0_10empty_typeEEEZNS1_34radix_sort_onesweep_global_offsetsIS3_Lb0EN6thrust23THRUST_200600_302600_NS6detail15normal_iteratorINS9_10device_ptrIiEEEEPS5_jNS0_19identity_decomposerEEE10hipError_tT1_T2_PT3_SK_jT4_jjP12ihipStream_tbEUlT_E0_NS1_11comp_targetILNS1_3genE2ELNS1_11target_archE906ELNS1_3gpuE6ELNS1_3repE0EEENS1_52radix_sort_onesweep_histogram_config_static_selectorELNS0_4arch9wavefront6targetE1EEEvSI_
                                        ; -- End function
	.section	.AMDGPU.csdata,"",@progbits
; Kernel info:
; codeLenInByte = 0
; NumSgprs: 6
; NumVgprs: 0
; NumAgprs: 0
; TotalNumVgprs: 0
; ScratchSize: 0
; MemoryBound: 0
; FloatMode: 240
; IeeeMode: 1
; LDSByteSize: 0 bytes/workgroup (compile time only)
; SGPRBlocks: 0
; VGPRBlocks: 0
; NumSGPRsForWavesPerEU: 6
; NumVGPRsForWavesPerEU: 1
; AccumOffset: 4
; Occupancy: 8
; WaveLimiterHint : 0
; COMPUTE_PGM_RSRC2:SCRATCH_EN: 0
; COMPUTE_PGM_RSRC2:USER_SGPR: 2
; COMPUTE_PGM_RSRC2:TRAP_HANDLER: 0
; COMPUTE_PGM_RSRC2:TGID_X_EN: 1
; COMPUTE_PGM_RSRC2:TGID_Y_EN: 0
; COMPUTE_PGM_RSRC2:TGID_Z_EN: 0
; COMPUTE_PGM_RSRC2:TIDIG_COMP_CNT: 0
; COMPUTE_PGM_RSRC3_GFX90A:ACCUM_OFFSET: 0
; COMPUTE_PGM_RSRC3_GFX90A:TG_SPLIT: 0
	.section	.text._ZN7rocprim17ROCPRIM_400000_NS6detail17trampoline_kernelINS0_14default_configENS1_35radix_sort_onesweep_config_selectorIiNS0_10empty_typeEEEZNS1_34radix_sort_onesweep_global_offsetsIS3_Lb0EN6thrust23THRUST_200600_302600_NS6detail15normal_iteratorINS9_10device_ptrIiEEEEPS5_jNS0_19identity_decomposerEEE10hipError_tT1_T2_PT3_SK_jT4_jjP12ihipStream_tbEUlT_E0_NS1_11comp_targetILNS1_3genE4ELNS1_11target_archE910ELNS1_3gpuE8ELNS1_3repE0EEENS1_52radix_sort_onesweep_histogram_config_static_selectorELNS0_4arch9wavefront6targetE1EEEvSI_,"axG",@progbits,_ZN7rocprim17ROCPRIM_400000_NS6detail17trampoline_kernelINS0_14default_configENS1_35radix_sort_onesweep_config_selectorIiNS0_10empty_typeEEEZNS1_34radix_sort_onesweep_global_offsetsIS3_Lb0EN6thrust23THRUST_200600_302600_NS6detail15normal_iteratorINS9_10device_ptrIiEEEEPS5_jNS0_19identity_decomposerEEE10hipError_tT1_T2_PT3_SK_jT4_jjP12ihipStream_tbEUlT_E0_NS1_11comp_targetILNS1_3genE4ELNS1_11target_archE910ELNS1_3gpuE8ELNS1_3repE0EEENS1_52radix_sort_onesweep_histogram_config_static_selectorELNS0_4arch9wavefront6targetE1EEEvSI_,comdat
	.protected	_ZN7rocprim17ROCPRIM_400000_NS6detail17trampoline_kernelINS0_14default_configENS1_35radix_sort_onesweep_config_selectorIiNS0_10empty_typeEEEZNS1_34radix_sort_onesweep_global_offsetsIS3_Lb0EN6thrust23THRUST_200600_302600_NS6detail15normal_iteratorINS9_10device_ptrIiEEEEPS5_jNS0_19identity_decomposerEEE10hipError_tT1_T2_PT3_SK_jT4_jjP12ihipStream_tbEUlT_E0_NS1_11comp_targetILNS1_3genE4ELNS1_11target_archE910ELNS1_3gpuE8ELNS1_3repE0EEENS1_52radix_sort_onesweep_histogram_config_static_selectorELNS0_4arch9wavefront6targetE1EEEvSI_ ; -- Begin function _ZN7rocprim17ROCPRIM_400000_NS6detail17trampoline_kernelINS0_14default_configENS1_35radix_sort_onesweep_config_selectorIiNS0_10empty_typeEEEZNS1_34radix_sort_onesweep_global_offsetsIS3_Lb0EN6thrust23THRUST_200600_302600_NS6detail15normal_iteratorINS9_10device_ptrIiEEEEPS5_jNS0_19identity_decomposerEEE10hipError_tT1_T2_PT3_SK_jT4_jjP12ihipStream_tbEUlT_E0_NS1_11comp_targetILNS1_3genE4ELNS1_11target_archE910ELNS1_3gpuE8ELNS1_3repE0EEENS1_52radix_sort_onesweep_histogram_config_static_selectorELNS0_4arch9wavefront6targetE1EEEvSI_
	.globl	_ZN7rocprim17ROCPRIM_400000_NS6detail17trampoline_kernelINS0_14default_configENS1_35radix_sort_onesweep_config_selectorIiNS0_10empty_typeEEEZNS1_34radix_sort_onesweep_global_offsetsIS3_Lb0EN6thrust23THRUST_200600_302600_NS6detail15normal_iteratorINS9_10device_ptrIiEEEEPS5_jNS0_19identity_decomposerEEE10hipError_tT1_T2_PT3_SK_jT4_jjP12ihipStream_tbEUlT_E0_NS1_11comp_targetILNS1_3genE4ELNS1_11target_archE910ELNS1_3gpuE8ELNS1_3repE0EEENS1_52radix_sort_onesweep_histogram_config_static_selectorELNS0_4arch9wavefront6targetE1EEEvSI_
	.p2align	8
	.type	_ZN7rocprim17ROCPRIM_400000_NS6detail17trampoline_kernelINS0_14default_configENS1_35radix_sort_onesweep_config_selectorIiNS0_10empty_typeEEEZNS1_34radix_sort_onesweep_global_offsetsIS3_Lb0EN6thrust23THRUST_200600_302600_NS6detail15normal_iteratorINS9_10device_ptrIiEEEEPS5_jNS0_19identity_decomposerEEE10hipError_tT1_T2_PT3_SK_jT4_jjP12ihipStream_tbEUlT_E0_NS1_11comp_targetILNS1_3genE4ELNS1_11target_archE910ELNS1_3gpuE8ELNS1_3repE0EEENS1_52radix_sort_onesweep_histogram_config_static_selectorELNS0_4arch9wavefront6targetE1EEEvSI_,@function
_ZN7rocprim17ROCPRIM_400000_NS6detail17trampoline_kernelINS0_14default_configENS1_35radix_sort_onesweep_config_selectorIiNS0_10empty_typeEEEZNS1_34radix_sort_onesweep_global_offsetsIS3_Lb0EN6thrust23THRUST_200600_302600_NS6detail15normal_iteratorINS9_10device_ptrIiEEEEPS5_jNS0_19identity_decomposerEEE10hipError_tT1_T2_PT3_SK_jT4_jjP12ihipStream_tbEUlT_E0_NS1_11comp_targetILNS1_3genE4ELNS1_11target_archE910ELNS1_3gpuE8ELNS1_3repE0EEENS1_52radix_sort_onesweep_histogram_config_static_selectorELNS0_4arch9wavefront6targetE1EEEvSI_: ; @_ZN7rocprim17ROCPRIM_400000_NS6detail17trampoline_kernelINS0_14default_configENS1_35radix_sort_onesweep_config_selectorIiNS0_10empty_typeEEEZNS1_34radix_sort_onesweep_global_offsetsIS3_Lb0EN6thrust23THRUST_200600_302600_NS6detail15normal_iteratorINS9_10device_ptrIiEEEEPS5_jNS0_19identity_decomposerEEE10hipError_tT1_T2_PT3_SK_jT4_jjP12ihipStream_tbEUlT_E0_NS1_11comp_targetILNS1_3genE4ELNS1_11target_archE910ELNS1_3gpuE8ELNS1_3repE0EEENS1_52radix_sort_onesweep_histogram_config_static_selectorELNS0_4arch9wavefront6targetE1EEEvSI_
; %bb.0:
	.section	.rodata,"a",@progbits
	.p2align	6, 0x0
	.amdhsa_kernel _ZN7rocprim17ROCPRIM_400000_NS6detail17trampoline_kernelINS0_14default_configENS1_35radix_sort_onesweep_config_selectorIiNS0_10empty_typeEEEZNS1_34radix_sort_onesweep_global_offsetsIS3_Lb0EN6thrust23THRUST_200600_302600_NS6detail15normal_iteratorINS9_10device_ptrIiEEEEPS5_jNS0_19identity_decomposerEEE10hipError_tT1_T2_PT3_SK_jT4_jjP12ihipStream_tbEUlT_E0_NS1_11comp_targetILNS1_3genE4ELNS1_11target_archE910ELNS1_3gpuE8ELNS1_3repE0EEENS1_52radix_sort_onesweep_histogram_config_static_selectorELNS0_4arch9wavefront6targetE1EEEvSI_
		.amdhsa_group_segment_fixed_size 0
		.amdhsa_private_segment_fixed_size 0
		.amdhsa_kernarg_size 8
		.amdhsa_user_sgpr_count 2
		.amdhsa_user_sgpr_dispatch_ptr 0
		.amdhsa_user_sgpr_queue_ptr 0
		.amdhsa_user_sgpr_kernarg_segment_ptr 1
		.amdhsa_user_sgpr_dispatch_id 0
		.amdhsa_user_sgpr_kernarg_preload_length 0
		.amdhsa_user_sgpr_kernarg_preload_offset 0
		.amdhsa_user_sgpr_private_segment_size 0
		.amdhsa_uses_dynamic_stack 0
		.amdhsa_enable_private_segment 0
		.amdhsa_system_sgpr_workgroup_id_x 1
		.amdhsa_system_sgpr_workgroup_id_y 0
		.amdhsa_system_sgpr_workgroup_id_z 0
		.amdhsa_system_sgpr_workgroup_info 0
		.amdhsa_system_vgpr_workitem_id 0
		.amdhsa_next_free_vgpr 1
		.amdhsa_next_free_sgpr 0
		.amdhsa_accum_offset 4
		.amdhsa_reserve_vcc 0
		.amdhsa_float_round_mode_32 0
		.amdhsa_float_round_mode_16_64 0
		.amdhsa_float_denorm_mode_32 3
		.amdhsa_float_denorm_mode_16_64 3
		.amdhsa_dx10_clamp 1
		.amdhsa_ieee_mode 1
		.amdhsa_fp16_overflow 0
		.amdhsa_tg_split 0
		.amdhsa_exception_fp_ieee_invalid_op 0
		.amdhsa_exception_fp_denorm_src 0
		.amdhsa_exception_fp_ieee_div_zero 0
		.amdhsa_exception_fp_ieee_overflow 0
		.amdhsa_exception_fp_ieee_underflow 0
		.amdhsa_exception_fp_ieee_inexact 0
		.amdhsa_exception_int_div_zero 0
	.end_amdhsa_kernel
	.section	.text._ZN7rocprim17ROCPRIM_400000_NS6detail17trampoline_kernelINS0_14default_configENS1_35radix_sort_onesweep_config_selectorIiNS0_10empty_typeEEEZNS1_34radix_sort_onesweep_global_offsetsIS3_Lb0EN6thrust23THRUST_200600_302600_NS6detail15normal_iteratorINS9_10device_ptrIiEEEEPS5_jNS0_19identity_decomposerEEE10hipError_tT1_T2_PT3_SK_jT4_jjP12ihipStream_tbEUlT_E0_NS1_11comp_targetILNS1_3genE4ELNS1_11target_archE910ELNS1_3gpuE8ELNS1_3repE0EEENS1_52radix_sort_onesweep_histogram_config_static_selectorELNS0_4arch9wavefront6targetE1EEEvSI_,"axG",@progbits,_ZN7rocprim17ROCPRIM_400000_NS6detail17trampoline_kernelINS0_14default_configENS1_35radix_sort_onesweep_config_selectorIiNS0_10empty_typeEEEZNS1_34radix_sort_onesweep_global_offsetsIS3_Lb0EN6thrust23THRUST_200600_302600_NS6detail15normal_iteratorINS9_10device_ptrIiEEEEPS5_jNS0_19identity_decomposerEEE10hipError_tT1_T2_PT3_SK_jT4_jjP12ihipStream_tbEUlT_E0_NS1_11comp_targetILNS1_3genE4ELNS1_11target_archE910ELNS1_3gpuE8ELNS1_3repE0EEENS1_52radix_sort_onesweep_histogram_config_static_selectorELNS0_4arch9wavefront6targetE1EEEvSI_,comdat
.Lfunc_end1732:
	.size	_ZN7rocprim17ROCPRIM_400000_NS6detail17trampoline_kernelINS0_14default_configENS1_35radix_sort_onesweep_config_selectorIiNS0_10empty_typeEEEZNS1_34radix_sort_onesweep_global_offsetsIS3_Lb0EN6thrust23THRUST_200600_302600_NS6detail15normal_iteratorINS9_10device_ptrIiEEEEPS5_jNS0_19identity_decomposerEEE10hipError_tT1_T2_PT3_SK_jT4_jjP12ihipStream_tbEUlT_E0_NS1_11comp_targetILNS1_3genE4ELNS1_11target_archE910ELNS1_3gpuE8ELNS1_3repE0EEENS1_52radix_sort_onesweep_histogram_config_static_selectorELNS0_4arch9wavefront6targetE1EEEvSI_, .Lfunc_end1732-_ZN7rocprim17ROCPRIM_400000_NS6detail17trampoline_kernelINS0_14default_configENS1_35radix_sort_onesweep_config_selectorIiNS0_10empty_typeEEEZNS1_34radix_sort_onesweep_global_offsetsIS3_Lb0EN6thrust23THRUST_200600_302600_NS6detail15normal_iteratorINS9_10device_ptrIiEEEEPS5_jNS0_19identity_decomposerEEE10hipError_tT1_T2_PT3_SK_jT4_jjP12ihipStream_tbEUlT_E0_NS1_11comp_targetILNS1_3genE4ELNS1_11target_archE910ELNS1_3gpuE8ELNS1_3repE0EEENS1_52radix_sort_onesweep_histogram_config_static_selectorELNS0_4arch9wavefront6targetE1EEEvSI_
                                        ; -- End function
	.section	.AMDGPU.csdata,"",@progbits
; Kernel info:
; codeLenInByte = 0
; NumSgprs: 6
; NumVgprs: 0
; NumAgprs: 0
; TotalNumVgprs: 0
; ScratchSize: 0
; MemoryBound: 0
; FloatMode: 240
; IeeeMode: 1
; LDSByteSize: 0 bytes/workgroup (compile time only)
; SGPRBlocks: 0
; VGPRBlocks: 0
; NumSGPRsForWavesPerEU: 6
; NumVGPRsForWavesPerEU: 1
; AccumOffset: 4
; Occupancy: 8
; WaveLimiterHint : 0
; COMPUTE_PGM_RSRC2:SCRATCH_EN: 0
; COMPUTE_PGM_RSRC2:USER_SGPR: 2
; COMPUTE_PGM_RSRC2:TRAP_HANDLER: 0
; COMPUTE_PGM_RSRC2:TGID_X_EN: 1
; COMPUTE_PGM_RSRC2:TGID_Y_EN: 0
; COMPUTE_PGM_RSRC2:TGID_Z_EN: 0
; COMPUTE_PGM_RSRC2:TIDIG_COMP_CNT: 0
; COMPUTE_PGM_RSRC3_GFX90A:ACCUM_OFFSET: 0
; COMPUTE_PGM_RSRC3_GFX90A:TG_SPLIT: 0
	.section	.text._ZN7rocprim17ROCPRIM_400000_NS6detail17trampoline_kernelINS0_14default_configENS1_35radix_sort_onesweep_config_selectorIiNS0_10empty_typeEEEZNS1_34radix_sort_onesweep_global_offsetsIS3_Lb0EN6thrust23THRUST_200600_302600_NS6detail15normal_iteratorINS9_10device_ptrIiEEEEPS5_jNS0_19identity_decomposerEEE10hipError_tT1_T2_PT3_SK_jT4_jjP12ihipStream_tbEUlT_E0_NS1_11comp_targetILNS1_3genE3ELNS1_11target_archE908ELNS1_3gpuE7ELNS1_3repE0EEENS1_52radix_sort_onesweep_histogram_config_static_selectorELNS0_4arch9wavefront6targetE1EEEvSI_,"axG",@progbits,_ZN7rocprim17ROCPRIM_400000_NS6detail17trampoline_kernelINS0_14default_configENS1_35radix_sort_onesweep_config_selectorIiNS0_10empty_typeEEEZNS1_34radix_sort_onesweep_global_offsetsIS3_Lb0EN6thrust23THRUST_200600_302600_NS6detail15normal_iteratorINS9_10device_ptrIiEEEEPS5_jNS0_19identity_decomposerEEE10hipError_tT1_T2_PT3_SK_jT4_jjP12ihipStream_tbEUlT_E0_NS1_11comp_targetILNS1_3genE3ELNS1_11target_archE908ELNS1_3gpuE7ELNS1_3repE0EEENS1_52radix_sort_onesweep_histogram_config_static_selectorELNS0_4arch9wavefront6targetE1EEEvSI_,comdat
	.protected	_ZN7rocprim17ROCPRIM_400000_NS6detail17trampoline_kernelINS0_14default_configENS1_35radix_sort_onesweep_config_selectorIiNS0_10empty_typeEEEZNS1_34radix_sort_onesweep_global_offsetsIS3_Lb0EN6thrust23THRUST_200600_302600_NS6detail15normal_iteratorINS9_10device_ptrIiEEEEPS5_jNS0_19identity_decomposerEEE10hipError_tT1_T2_PT3_SK_jT4_jjP12ihipStream_tbEUlT_E0_NS1_11comp_targetILNS1_3genE3ELNS1_11target_archE908ELNS1_3gpuE7ELNS1_3repE0EEENS1_52radix_sort_onesweep_histogram_config_static_selectorELNS0_4arch9wavefront6targetE1EEEvSI_ ; -- Begin function _ZN7rocprim17ROCPRIM_400000_NS6detail17trampoline_kernelINS0_14default_configENS1_35radix_sort_onesweep_config_selectorIiNS0_10empty_typeEEEZNS1_34radix_sort_onesweep_global_offsetsIS3_Lb0EN6thrust23THRUST_200600_302600_NS6detail15normal_iteratorINS9_10device_ptrIiEEEEPS5_jNS0_19identity_decomposerEEE10hipError_tT1_T2_PT3_SK_jT4_jjP12ihipStream_tbEUlT_E0_NS1_11comp_targetILNS1_3genE3ELNS1_11target_archE908ELNS1_3gpuE7ELNS1_3repE0EEENS1_52radix_sort_onesweep_histogram_config_static_selectorELNS0_4arch9wavefront6targetE1EEEvSI_
	.globl	_ZN7rocprim17ROCPRIM_400000_NS6detail17trampoline_kernelINS0_14default_configENS1_35radix_sort_onesweep_config_selectorIiNS0_10empty_typeEEEZNS1_34radix_sort_onesweep_global_offsetsIS3_Lb0EN6thrust23THRUST_200600_302600_NS6detail15normal_iteratorINS9_10device_ptrIiEEEEPS5_jNS0_19identity_decomposerEEE10hipError_tT1_T2_PT3_SK_jT4_jjP12ihipStream_tbEUlT_E0_NS1_11comp_targetILNS1_3genE3ELNS1_11target_archE908ELNS1_3gpuE7ELNS1_3repE0EEENS1_52radix_sort_onesweep_histogram_config_static_selectorELNS0_4arch9wavefront6targetE1EEEvSI_
	.p2align	8
	.type	_ZN7rocprim17ROCPRIM_400000_NS6detail17trampoline_kernelINS0_14default_configENS1_35radix_sort_onesweep_config_selectorIiNS0_10empty_typeEEEZNS1_34radix_sort_onesweep_global_offsetsIS3_Lb0EN6thrust23THRUST_200600_302600_NS6detail15normal_iteratorINS9_10device_ptrIiEEEEPS5_jNS0_19identity_decomposerEEE10hipError_tT1_T2_PT3_SK_jT4_jjP12ihipStream_tbEUlT_E0_NS1_11comp_targetILNS1_3genE3ELNS1_11target_archE908ELNS1_3gpuE7ELNS1_3repE0EEENS1_52radix_sort_onesweep_histogram_config_static_selectorELNS0_4arch9wavefront6targetE1EEEvSI_,@function
_ZN7rocprim17ROCPRIM_400000_NS6detail17trampoline_kernelINS0_14default_configENS1_35radix_sort_onesweep_config_selectorIiNS0_10empty_typeEEEZNS1_34radix_sort_onesweep_global_offsetsIS3_Lb0EN6thrust23THRUST_200600_302600_NS6detail15normal_iteratorINS9_10device_ptrIiEEEEPS5_jNS0_19identity_decomposerEEE10hipError_tT1_T2_PT3_SK_jT4_jjP12ihipStream_tbEUlT_E0_NS1_11comp_targetILNS1_3genE3ELNS1_11target_archE908ELNS1_3gpuE7ELNS1_3repE0EEENS1_52radix_sort_onesweep_histogram_config_static_selectorELNS0_4arch9wavefront6targetE1EEEvSI_: ; @_ZN7rocprim17ROCPRIM_400000_NS6detail17trampoline_kernelINS0_14default_configENS1_35radix_sort_onesweep_config_selectorIiNS0_10empty_typeEEEZNS1_34radix_sort_onesweep_global_offsetsIS3_Lb0EN6thrust23THRUST_200600_302600_NS6detail15normal_iteratorINS9_10device_ptrIiEEEEPS5_jNS0_19identity_decomposerEEE10hipError_tT1_T2_PT3_SK_jT4_jjP12ihipStream_tbEUlT_E0_NS1_11comp_targetILNS1_3genE3ELNS1_11target_archE908ELNS1_3gpuE7ELNS1_3repE0EEENS1_52radix_sort_onesweep_histogram_config_static_selectorELNS0_4arch9wavefront6targetE1EEEvSI_
; %bb.0:
	.section	.rodata,"a",@progbits
	.p2align	6, 0x0
	.amdhsa_kernel _ZN7rocprim17ROCPRIM_400000_NS6detail17trampoline_kernelINS0_14default_configENS1_35radix_sort_onesweep_config_selectorIiNS0_10empty_typeEEEZNS1_34radix_sort_onesweep_global_offsetsIS3_Lb0EN6thrust23THRUST_200600_302600_NS6detail15normal_iteratorINS9_10device_ptrIiEEEEPS5_jNS0_19identity_decomposerEEE10hipError_tT1_T2_PT3_SK_jT4_jjP12ihipStream_tbEUlT_E0_NS1_11comp_targetILNS1_3genE3ELNS1_11target_archE908ELNS1_3gpuE7ELNS1_3repE0EEENS1_52radix_sort_onesweep_histogram_config_static_selectorELNS0_4arch9wavefront6targetE1EEEvSI_
		.amdhsa_group_segment_fixed_size 0
		.amdhsa_private_segment_fixed_size 0
		.amdhsa_kernarg_size 8
		.amdhsa_user_sgpr_count 2
		.amdhsa_user_sgpr_dispatch_ptr 0
		.amdhsa_user_sgpr_queue_ptr 0
		.amdhsa_user_sgpr_kernarg_segment_ptr 1
		.amdhsa_user_sgpr_dispatch_id 0
		.amdhsa_user_sgpr_kernarg_preload_length 0
		.amdhsa_user_sgpr_kernarg_preload_offset 0
		.amdhsa_user_sgpr_private_segment_size 0
		.amdhsa_uses_dynamic_stack 0
		.amdhsa_enable_private_segment 0
		.amdhsa_system_sgpr_workgroup_id_x 1
		.amdhsa_system_sgpr_workgroup_id_y 0
		.amdhsa_system_sgpr_workgroup_id_z 0
		.amdhsa_system_sgpr_workgroup_info 0
		.amdhsa_system_vgpr_workitem_id 0
		.amdhsa_next_free_vgpr 1
		.amdhsa_next_free_sgpr 0
		.amdhsa_accum_offset 4
		.amdhsa_reserve_vcc 0
		.amdhsa_float_round_mode_32 0
		.amdhsa_float_round_mode_16_64 0
		.amdhsa_float_denorm_mode_32 3
		.amdhsa_float_denorm_mode_16_64 3
		.amdhsa_dx10_clamp 1
		.amdhsa_ieee_mode 1
		.amdhsa_fp16_overflow 0
		.amdhsa_tg_split 0
		.amdhsa_exception_fp_ieee_invalid_op 0
		.amdhsa_exception_fp_denorm_src 0
		.amdhsa_exception_fp_ieee_div_zero 0
		.amdhsa_exception_fp_ieee_overflow 0
		.amdhsa_exception_fp_ieee_underflow 0
		.amdhsa_exception_fp_ieee_inexact 0
		.amdhsa_exception_int_div_zero 0
	.end_amdhsa_kernel
	.section	.text._ZN7rocprim17ROCPRIM_400000_NS6detail17trampoline_kernelINS0_14default_configENS1_35radix_sort_onesweep_config_selectorIiNS0_10empty_typeEEEZNS1_34radix_sort_onesweep_global_offsetsIS3_Lb0EN6thrust23THRUST_200600_302600_NS6detail15normal_iteratorINS9_10device_ptrIiEEEEPS5_jNS0_19identity_decomposerEEE10hipError_tT1_T2_PT3_SK_jT4_jjP12ihipStream_tbEUlT_E0_NS1_11comp_targetILNS1_3genE3ELNS1_11target_archE908ELNS1_3gpuE7ELNS1_3repE0EEENS1_52radix_sort_onesweep_histogram_config_static_selectorELNS0_4arch9wavefront6targetE1EEEvSI_,"axG",@progbits,_ZN7rocprim17ROCPRIM_400000_NS6detail17trampoline_kernelINS0_14default_configENS1_35radix_sort_onesweep_config_selectorIiNS0_10empty_typeEEEZNS1_34radix_sort_onesweep_global_offsetsIS3_Lb0EN6thrust23THRUST_200600_302600_NS6detail15normal_iteratorINS9_10device_ptrIiEEEEPS5_jNS0_19identity_decomposerEEE10hipError_tT1_T2_PT3_SK_jT4_jjP12ihipStream_tbEUlT_E0_NS1_11comp_targetILNS1_3genE3ELNS1_11target_archE908ELNS1_3gpuE7ELNS1_3repE0EEENS1_52radix_sort_onesweep_histogram_config_static_selectorELNS0_4arch9wavefront6targetE1EEEvSI_,comdat
.Lfunc_end1733:
	.size	_ZN7rocprim17ROCPRIM_400000_NS6detail17trampoline_kernelINS0_14default_configENS1_35radix_sort_onesweep_config_selectorIiNS0_10empty_typeEEEZNS1_34radix_sort_onesweep_global_offsetsIS3_Lb0EN6thrust23THRUST_200600_302600_NS6detail15normal_iteratorINS9_10device_ptrIiEEEEPS5_jNS0_19identity_decomposerEEE10hipError_tT1_T2_PT3_SK_jT4_jjP12ihipStream_tbEUlT_E0_NS1_11comp_targetILNS1_3genE3ELNS1_11target_archE908ELNS1_3gpuE7ELNS1_3repE0EEENS1_52radix_sort_onesweep_histogram_config_static_selectorELNS0_4arch9wavefront6targetE1EEEvSI_, .Lfunc_end1733-_ZN7rocprim17ROCPRIM_400000_NS6detail17trampoline_kernelINS0_14default_configENS1_35radix_sort_onesweep_config_selectorIiNS0_10empty_typeEEEZNS1_34radix_sort_onesweep_global_offsetsIS3_Lb0EN6thrust23THRUST_200600_302600_NS6detail15normal_iteratorINS9_10device_ptrIiEEEEPS5_jNS0_19identity_decomposerEEE10hipError_tT1_T2_PT3_SK_jT4_jjP12ihipStream_tbEUlT_E0_NS1_11comp_targetILNS1_3genE3ELNS1_11target_archE908ELNS1_3gpuE7ELNS1_3repE0EEENS1_52radix_sort_onesweep_histogram_config_static_selectorELNS0_4arch9wavefront6targetE1EEEvSI_
                                        ; -- End function
	.section	.AMDGPU.csdata,"",@progbits
; Kernel info:
; codeLenInByte = 0
; NumSgprs: 6
; NumVgprs: 0
; NumAgprs: 0
; TotalNumVgprs: 0
; ScratchSize: 0
; MemoryBound: 0
; FloatMode: 240
; IeeeMode: 1
; LDSByteSize: 0 bytes/workgroup (compile time only)
; SGPRBlocks: 0
; VGPRBlocks: 0
; NumSGPRsForWavesPerEU: 6
; NumVGPRsForWavesPerEU: 1
; AccumOffset: 4
; Occupancy: 8
; WaveLimiterHint : 0
; COMPUTE_PGM_RSRC2:SCRATCH_EN: 0
; COMPUTE_PGM_RSRC2:USER_SGPR: 2
; COMPUTE_PGM_RSRC2:TRAP_HANDLER: 0
; COMPUTE_PGM_RSRC2:TGID_X_EN: 1
; COMPUTE_PGM_RSRC2:TGID_Y_EN: 0
; COMPUTE_PGM_RSRC2:TGID_Z_EN: 0
; COMPUTE_PGM_RSRC2:TIDIG_COMP_CNT: 0
; COMPUTE_PGM_RSRC3_GFX90A:ACCUM_OFFSET: 0
; COMPUTE_PGM_RSRC3_GFX90A:TG_SPLIT: 0
	.section	.text._ZN7rocprim17ROCPRIM_400000_NS6detail17trampoline_kernelINS0_14default_configENS1_35radix_sort_onesweep_config_selectorIiNS0_10empty_typeEEEZNS1_34radix_sort_onesweep_global_offsetsIS3_Lb0EN6thrust23THRUST_200600_302600_NS6detail15normal_iteratorINS9_10device_ptrIiEEEEPS5_jNS0_19identity_decomposerEEE10hipError_tT1_T2_PT3_SK_jT4_jjP12ihipStream_tbEUlT_E0_NS1_11comp_targetILNS1_3genE10ELNS1_11target_archE1201ELNS1_3gpuE5ELNS1_3repE0EEENS1_52radix_sort_onesweep_histogram_config_static_selectorELNS0_4arch9wavefront6targetE1EEEvSI_,"axG",@progbits,_ZN7rocprim17ROCPRIM_400000_NS6detail17trampoline_kernelINS0_14default_configENS1_35radix_sort_onesweep_config_selectorIiNS0_10empty_typeEEEZNS1_34radix_sort_onesweep_global_offsetsIS3_Lb0EN6thrust23THRUST_200600_302600_NS6detail15normal_iteratorINS9_10device_ptrIiEEEEPS5_jNS0_19identity_decomposerEEE10hipError_tT1_T2_PT3_SK_jT4_jjP12ihipStream_tbEUlT_E0_NS1_11comp_targetILNS1_3genE10ELNS1_11target_archE1201ELNS1_3gpuE5ELNS1_3repE0EEENS1_52radix_sort_onesweep_histogram_config_static_selectorELNS0_4arch9wavefront6targetE1EEEvSI_,comdat
	.protected	_ZN7rocprim17ROCPRIM_400000_NS6detail17trampoline_kernelINS0_14default_configENS1_35radix_sort_onesweep_config_selectorIiNS0_10empty_typeEEEZNS1_34radix_sort_onesweep_global_offsetsIS3_Lb0EN6thrust23THRUST_200600_302600_NS6detail15normal_iteratorINS9_10device_ptrIiEEEEPS5_jNS0_19identity_decomposerEEE10hipError_tT1_T2_PT3_SK_jT4_jjP12ihipStream_tbEUlT_E0_NS1_11comp_targetILNS1_3genE10ELNS1_11target_archE1201ELNS1_3gpuE5ELNS1_3repE0EEENS1_52radix_sort_onesweep_histogram_config_static_selectorELNS0_4arch9wavefront6targetE1EEEvSI_ ; -- Begin function _ZN7rocprim17ROCPRIM_400000_NS6detail17trampoline_kernelINS0_14default_configENS1_35radix_sort_onesweep_config_selectorIiNS0_10empty_typeEEEZNS1_34radix_sort_onesweep_global_offsetsIS3_Lb0EN6thrust23THRUST_200600_302600_NS6detail15normal_iteratorINS9_10device_ptrIiEEEEPS5_jNS0_19identity_decomposerEEE10hipError_tT1_T2_PT3_SK_jT4_jjP12ihipStream_tbEUlT_E0_NS1_11comp_targetILNS1_3genE10ELNS1_11target_archE1201ELNS1_3gpuE5ELNS1_3repE0EEENS1_52radix_sort_onesweep_histogram_config_static_selectorELNS0_4arch9wavefront6targetE1EEEvSI_
	.globl	_ZN7rocprim17ROCPRIM_400000_NS6detail17trampoline_kernelINS0_14default_configENS1_35radix_sort_onesweep_config_selectorIiNS0_10empty_typeEEEZNS1_34radix_sort_onesweep_global_offsetsIS3_Lb0EN6thrust23THRUST_200600_302600_NS6detail15normal_iteratorINS9_10device_ptrIiEEEEPS5_jNS0_19identity_decomposerEEE10hipError_tT1_T2_PT3_SK_jT4_jjP12ihipStream_tbEUlT_E0_NS1_11comp_targetILNS1_3genE10ELNS1_11target_archE1201ELNS1_3gpuE5ELNS1_3repE0EEENS1_52radix_sort_onesweep_histogram_config_static_selectorELNS0_4arch9wavefront6targetE1EEEvSI_
	.p2align	8
	.type	_ZN7rocprim17ROCPRIM_400000_NS6detail17trampoline_kernelINS0_14default_configENS1_35radix_sort_onesweep_config_selectorIiNS0_10empty_typeEEEZNS1_34radix_sort_onesweep_global_offsetsIS3_Lb0EN6thrust23THRUST_200600_302600_NS6detail15normal_iteratorINS9_10device_ptrIiEEEEPS5_jNS0_19identity_decomposerEEE10hipError_tT1_T2_PT3_SK_jT4_jjP12ihipStream_tbEUlT_E0_NS1_11comp_targetILNS1_3genE10ELNS1_11target_archE1201ELNS1_3gpuE5ELNS1_3repE0EEENS1_52radix_sort_onesweep_histogram_config_static_selectorELNS0_4arch9wavefront6targetE1EEEvSI_,@function
_ZN7rocprim17ROCPRIM_400000_NS6detail17trampoline_kernelINS0_14default_configENS1_35radix_sort_onesweep_config_selectorIiNS0_10empty_typeEEEZNS1_34radix_sort_onesweep_global_offsetsIS3_Lb0EN6thrust23THRUST_200600_302600_NS6detail15normal_iteratorINS9_10device_ptrIiEEEEPS5_jNS0_19identity_decomposerEEE10hipError_tT1_T2_PT3_SK_jT4_jjP12ihipStream_tbEUlT_E0_NS1_11comp_targetILNS1_3genE10ELNS1_11target_archE1201ELNS1_3gpuE5ELNS1_3repE0EEENS1_52radix_sort_onesweep_histogram_config_static_selectorELNS0_4arch9wavefront6targetE1EEEvSI_: ; @_ZN7rocprim17ROCPRIM_400000_NS6detail17trampoline_kernelINS0_14default_configENS1_35radix_sort_onesweep_config_selectorIiNS0_10empty_typeEEEZNS1_34radix_sort_onesweep_global_offsetsIS3_Lb0EN6thrust23THRUST_200600_302600_NS6detail15normal_iteratorINS9_10device_ptrIiEEEEPS5_jNS0_19identity_decomposerEEE10hipError_tT1_T2_PT3_SK_jT4_jjP12ihipStream_tbEUlT_E0_NS1_11comp_targetILNS1_3genE10ELNS1_11target_archE1201ELNS1_3gpuE5ELNS1_3repE0EEENS1_52radix_sort_onesweep_histogram_config_static_selectorELNS0_4arch9wavefront6targetE1EEEvSI_
; %bb.0:
	.section	.rodata,"a",@progbits
	.p2align	6, 0x0
	.amdhsa_kernel _ZN7rocprim17ROCPRIM_400000_NS6detail17trampoline_kernelINS0_14default_configENS1_35radix_sort_onesweep_config_selectorIiNS0_10empty_typeEEEZNS1_34radix_sort_onesweep_global_offsetsIS3_Lb0EN6thrust23THRUST_200600_302600_NS6detail15normal_iteratorINS9_10device_ptrIiEEEEPS5_jNS0_19identity_decomposerEEE10hipError_tT1_T2_PT3_SK_jT4_jjP12ihipStream_tbEUlT_E0_NS1_11comp_targetILNS1_3genE10ELNS1_11target_archE1201ELNS1_3gpuE5ELNS1_3repE0EEENS1_52radix_sort_onesweep_histogram_config_static_selectorELNS0_4arch9wavefront6targetE1EEEvSI_
		.amdhsa_group_segment_fixed_size 0
		.amdhsa_private_segment_fixed_size 0
		.amdhsa_kernarg_size 8
		.amdhsa_user_sgpr_count 2
		.amdhsa_user_sgpr_dispatch_ptr 0
		.amdhsa_user_sgpr_queue_ptr 0
		.amdhsa_user_sgpr_kernarg_segment_ptr 1
		.amdhsa_user_sgpr_dispatch_id 0
		.amdhsa_user_sgpr_kernarg_preload_length 0
		.amdhsa_user_sgpr_kernarg_preload_offset 0
		.amdhsa_user_sgpr_private_segment_size 0
		.amdhsa_uses_dynamic_stack 0
		.amdhsa_enable_private_segment 0
		.amdhsa_system_sgpr_workgroup_id_x 1
		.amdhsa_system_sgpr_workgroup_id_y 0
		.amdhsa_system_sgpr_workgroup_id_z 0
		.amdhsa_system_sgpr_workgroup_info 0
		.amdhsa_system_vgpr_workitem_id 0
		.amdhsa_next_free_vgpr 1
		.amdhsa_next_free_sgpr 0
		.amdhsa_accum_offset 4
		.amdhsa_reserve_vcc 0
		.amdhsa_float_round_mode_32 0
		.amdhsa_float_round_mode_16_64 0
		.amdhsa_float_denorm_mode_32 3
		.amdhsa_float_denorm_mode_16_64 3
		.amdhsa_dx10_clamp 1
		.amdhsa_ieee_mode 1
		.amdhsa_fp16_overflow 0
		.amdhsa_tg_split 0
		.amdhsa_exception_fp_ieee_invalid_op 0
		.amdhsa_exception_fp_denorm_src 0
		.amdhsa_exception_fp_ieee_div_zero 0
		.amdhsa_exception_fp_ieee_overflow 0
		.amdhsa_exception_fp_ieee_underflow 0
		.amdhsa_exception_fp_ieee_inexact 0
		.amdhsa_exception_int_div_zero 0
	.end_amdhsa_kernel
	.section	.text._ZN7rocprim17ROCPRIM_400000_NS6detail17trampoline_kernelINS0_14default_configENS1_35radix_sort_onesweep_config_selectorIiNS0_10empty_typeEEEZNS1_34radix_sort_onesweep_global_offsetsIS3_Lb0EN6thrust23THRUST_200600_302600_NS6detail15normal_iteratorINS9_10device_ptrIiEEEEPS5_jNS0_19identity_decomposerEEE10hipError_tT1_T2_PT3_SK_jT4_jjP12ihipStream_tbEUlT_E0_NS1_11comp_targetILNS1_3genE10ELNS1_11target_archE1201ELNS1_3gpuE5ELNS1_3repE0EEENS1_52radix_sort_onesweep_histogram_config_static_selectorELNS0_4arch9wavefront6targetE1EEEvSI_,"axG",@progbits,_ZN7rocprim17ROCPRIM_400000_NS6detail17trampoline_kernelINS0_14default_configENS1_35radix_sort_onesweep_config_selectorIiNS0_10empty_typeEEEZNS1_34radix_sort_onesweep_global_offsetsIS3_Lb0EN6thrust23THRUST_200600_302600_NS6detail15normal_iteratorINS9_10device_ptrIiEEEEPS5_jNS0_19identity_decomposerEEE10hipError_tT1_T2_PT3_SK_jT4_jjP12ihipStream_tbEUlT_E0_NS1_11comp_targetILNS1_3genE10ELNS1_11target_archE1201ELNS1_3gpuE5ELNS1_3repE0EEENS1_52radix_sort_onesweep_histogram_config_static_selectorELNS0_4arch9wavefront6targetE1EEEvSI_,comdat
.Lfunc_end1734:
	.size	_ZN7rocprim17ROCPRIM_400000_NS6detail17trampoline_kernelINS0_14default_configENS1_35radix_sort_onesweep_config_selectorIiNS0_10empty_typeEEEZNS1_34radix_sort_onesweep_global_offsetsIS3_Lb0EN6thrust23THRUST_200600_302600_NS6detail15normal_iteratorINS9_10device_ptrIiEEEEPS5_jNS0_19identity_decomposerEEE10hipError_tT1_T2_PT3_SK_jT4_jjP12ihipStream_tbEUlT_E0_NS1_11comp_targetILNS1_3genE10ELNS1_11target_archE1201ELNS1_3gpuE5ELNS1_3repE0EEENS1_52radix_sort_onesweep_histogram_config_static_selectorELNS0_4arch9wavefront6targetE1EEEvSI_, .Lfunc_end1734-_ZN7rocprim17ROCPRIM_400000_NS6detail17trampoline_kernelINS0_14default_configENS1_35radix_sort_onesweep_config_selectorIiNS0_10empty_typeEEEZNS1_34radix_sort_onesweep_global_offsetsIS3_Lb0EN6thrust23THRUST_200600_302600_NS6detail15normal_iteratorINS9_10device_ptrIiEEEEPS5_jNS0_19identity_decomposerEEE10hipError_tT1_T2_PT3_SK_jT4_jjP12ihipStream_tbEUlT_E0_NS1_11comp_targetILNS1_3genE10ELNS1_11target_archE1201ELNS1_3gpuE5ELNS1_3repE0EEENS1_52radix_sort_onesweep_histogram_config_static_selectorELNS0_4arch9wavefront6targetE1EEEvSI_
                                        ; -- End function
	.section	.AMDGPU.csdata,"",@progbits
; Kernel info:
; codeLenInByte = 0
; NumSgprs: 6
; NumVgprs: 0
; NumAgprs: 0
; TotalNumVgprs: 0
; ScratchSize: 0
; MemoryBound: 0
; FloatMode: 240
; IeeeMode: 1
; LDSByteSize: 0 bytes/workgroup (compile time only)
; SGPRBlocks: 0
; VGPRBlocks: 0
; NumSGPRsForWavesPerEU: 6
; NumVGPRsForWavesPerEU: 1
; AccumOffset: 4
; Occupancy: 8
; WaveLimiterHint : 0
; COMPUTE_PGM_RSRC2:SCRATCH_EN: 0
; COMPUTE_PGM_RSRC2:USER_SGPR: 2
; COMPUTE_PGM_RSRC2:TRAP_HANDLER: 0
; COMPUTE_PGM_RSRC2:TGID_X_EN: 1
; COMPUTE_PGM_RSRC2:TGID_Y_EN: 0
; COMPUTE_PGM_RSRC2:TGID_Z_EN: 0
; COMPUTE_PGM_RSRC2:TIDIG_COMP_CNT: 0
; COMPUTE_PGM_RSRC3_GFX90A:ACCUM_OFFSET: 0
; COMPUTE_PGM_RSRC3_GFX90A:TG_SPLIT: 0
	.section	.text._ZN7rocprim17ROCPRIM_400000_NS6detail17trampoline_kernelINS0_14default_configENS1_35radix_sort_onesweep_config_selectorIiNS0_10empty_typeEEEZNS1_34radix_sort_onesweep_global_offsetsIS3_Lb0EN6thrust23THRUST_200600_302600_NS6detail15normal_iteratorINS9_10device_ptrIiEEEEPS5_jNS0_19identity_decomposerEEE10hipError_tT1_T2_PT3_SK_jT4_jjP12ihipStream_tbEUlT_E0_NS1_11comp_targetILNS1_3genE9ELNS1_11target_archE1100ELNS1_3gpuE3ELNS1_3repE0EEENS1_52radix_sort_onesweep_histogram_config_static_selectorELNS0_4arch9wavefront6targetE1EEEvSI_,"axG",@progbits,_ZN7rocprim17ROCPRIM_400000_NS6detail17trampoline_kernelINS0_14default_configENS1_35radix_sort_onesweep_config_selectorIiNS0_10empty_typeEEEZNS1_34radix_sort_onesweep_global_offsetsIS3_Lb0EN6thrust23THRUST_200600_302600_NS6detail15normal_iteratorINS9_10device_ptrIiEEEEPS5_jNS0_19identity_decomposerEEE10hipError_tT1_T2_PT3_SK_jT4_jjP12ihipStream_tbEUlT_E0_NS1_11comp_targetILNS1_3genE9ELNS1_11target_archE1100ELNS1_3gpuE3ELNS1_3repE0EEENS1_52radix_sort_onesweep_histogram_config_static_selectorELNS0_4arch9wavefront6targetE1EEEvSI_,comdat
	.protected	_ZN7rocprim17ROCPRIM_400000_NS6detail17trampoline_kernelINS0_14default_configENS1_35radix_sort_onesweep_config_selectorIiNS0_10empty_typeEEEZNS1_34radix_sort_onesweep_global_offsetsIS3_Lb0EN6thrust23THRUST_200600_302600_NS6detail15normal_iteratorINS9_10device_ptrIiEEEEPS5_jNS0_19identity_decomposerEEE10hipError_tT1_T2_PT3_SK_jT4_jjP12ihipStream_tbEUlT_E0_NS1_11comp_targetILNS1_3genE9ELNS1_11target_archE1100ELNS1_3gpuE3ELNS1_3repE0EEENS1_52radix_sort_onesweep_histogram_config_static_selectorELNS0_4arch9wavefront6targetE1EEEvSI_ ; -- Begin function _ZN7rocprim17ROCPRIM_400000_NS6detail17trampoline_kernelINS0_14default_configENS1_35radix_sort_onesweep_config_selectorIiNS0_10empty_typeEEEZNS1_34radix_sort_onesweep_global_offsetsIS3_Lb0EN6thrust23THRUST_200600_302600_NS6detail15normal_iteratorINS9_10device_ptrIiEEEEPS5_jNS0_19identity_decomposerEEE10hipError_tT1_T2_PT3_SK_jT4_jjP12ihipStream_tbEUlT_E0_NS1_11comp_targetILNS1_3genE9ELNS1_11target_archE1100ELNS1_3gpuE3ELNS1_3repE0EEENS1_52radix_sort_onesweep_histogram_config_static_selectorELNS0_4arch9wavefront6targetE1EEEvSI_
	.globl	_ZN7rocprim17ROCPRIM_400000_NS6detail17trampoline_kernelINS0_14default_configENS1_35radix_sort_onesweep_config_selectorIiNS0_10empty_typeEEEZNS1_34radix_sort_onesweep_global_offsetsIS3_Lb0EN6thrust23THRUST_200600_302600_NS6detail15normal_iteratorINS9_10device_ptrIiEEEEPS5_jNS0_19identity_decomposerEEE10hipError_tT1_T2_PT3_SK_jT4_jjP12ihipStream_tbEUlT_E0_NS1_11comp_targetILNS1_3genE9ELNS1_11target_archE1100ELNS1_3gpuE3ELNS1_3repE0EEENS1_52radix_sort_onesweep_histogram_config_static_selectorELNS0_4arch9wavefront6targetE1EEEvSI_
	.p2align	8
	.type	_ZN7rocprim17ROCPRIM_400000_NS6detail17trampoline_kernelINS0_14default_configENS1_35radix_sort_onesweep_config_selectorIiNS0_10empty_typeEEEZNS1_34radix_sort_onesweep_global_offsetsIS3_Lb0EN6thrust23THRUST_200600_302600_NS6detail15normal_iteratorINS9_10device_ptrIiEEEEPS5_jNS0_19identity_decomposerEEE10hipError_tT1_T2_PT3_SK_jT4_jjP12ihipStream_tbEUlT_E0_NS1_11comp_targetILNS1_3genE9ELNS1_11target_archE1100ELNS1_3gpuE3ELNS1_3repE0EEENS1_52radix_sort_onesweep_histogram_config_static_selectorELNS0_4arch9wavefront6targetE1EEEvSI_,@function
_ZN7rocprim17ROCPRIM_400000_NS6detail17trampoline_kernelINS0_14default_configENS1_35radix_sort_onesweep_config_selectorIiNS0_10empty_typeEEEZNS1_34radix_sort_onesweep_global_offsetsIS3_Lb0EN6thrust23THRUST_200600_302600_NS6detail15normal_iteratorINS9_10device_ptrIiEEEEPS5_jNS0_19identity_decomposerEEE10hipError_tT1_T2_PT3_SK_jT4_jjP12ihipStream_tbEUlT_E0_NS1_11comp_targetILNS1_3genE9ELNS1_11target_archE1100ELNS1_3gpuE3ELNS1_3repE0EEENS1_52radix_sort_onesweep_histogram_config_static_selectorELNS0_4arch9wavefront6targetE1EEEvSI_: ; @_ZN7rocprim17ROCPRIM_400000_NS6detail17trampoline_kernelINS0_14default_configENS1_35radix_sort_onesweep_config_selectorIiNS0_10empty_typeEEEZNS1_34radix_sort_onesweep_global_offsetsIS3_Lb0EN6thrust23THRUST_200600_302600_NS6detail15normal_iteratorINS9_10device_ptrIiEEEEPS5_jNS0_19identity_decomposerEEE10hipError_tT1_T2_PT3_SK_jT4_jjP12ihipStream_tbEUlT_E0_NS1_11comp_targetILNS1_3genE9ELNS1_11target_archE1100ELNS1_3gpuE3ELNS1_3repE0EEENS1_52radix_sort_onesweep_histogram_config_static_selectorELNS0_4arch9wavefront6targetE1EEEvSI_
; %bb.0:
	.section	.rodata,"a",@progbits
	.p2align	6, 0x0
	.amdhsa_kernel _ZN7rocprim17ROCPRIM_400000_NS6detail17trampoline_kernelINS0_14default_configENS1_35radix_sort_onesweep_config_selectorIiNS0_10empty_typeEEEZNS1_34radix_sort_onesweep_global_offsetsIS3_Lb0EN6thrust23THRUST_200600_302600_NS6detail15normal_iteratorINS9_10device_ptrIiEEEEPS5_jNS0_19identity_decomposerEEE10hipError_tT1_T2_PT3_SK_jT4_jjP12ihipStream_tbEUlT_E0_NS1_11comp_targetILNS1_3genE9ELNS1_11target_archE1100ELNS1_3gpuE3ELNS1_3repE0EEENS1_52radix_sort_onesweep_histogram_config_static_selectorELNS0_4arch9wavefront6targetE1EEEvSI_
		.amdhsa_group_segment_fixed_size 0
		.amdhsa_private_segment_fixed_size 0
		.amdhsa_kernarg_size 8
		.amdhsa_user_sgpr_count 2
		.amdhsa_user_sgpr_dispatch_ptr 0
		.amdhsa_user_sgpr_queue_ptr 0
		.amdhsa_user_sgpr_kernarg_segment_ptr 1
		.amdhsa_user_sgpr_dispatch_id 0
		.amdhsa_user_sgpr_kernarg_preload_length 0
		.amdhsa_user_sgpr_kernarg_preload_offset 0
		.amdhsa_user_sgpr_private_segment_size 0
		.amdhsa_uses_dynamic_stack 0
		.amdhsa_enable_private_segment 0
		.amdhsa_system_sgpr_workgroup_id_x 1
		.amdhsa_system_sgpr_workgroup_id_y 0
		.amdhsa_system_sgpr_workgroup_id_z 0
		.amdhsa_system_sgpr_workgroup_info 0
		.amdhsa_system_vgpr_workitem_id 0
		.amdhsa_next_free_vgpr 1
		.amdhsa_next_free_sgpr 0
		.amdhsa_accum_offset 4
		.amdhsa_reserve_vcc 0
		.amdhsa_float_round_mode_32 0
		.amdhsa_float_round_mode_16_64 0
		.amdhsa_float_denorm_mode_32 3
		.amdhsa_float_denorm_mode_16_64 3
		.amdhsa_dx10_clamp 1
		.amdhsa_ieee_mode 1
		.amdhsa_fp16_overflow 0
		.amdhsa_tg_split 0
		.amdhsa_exception_fp_ieee_invalid_op 0
		.amdhsa_exception_fp_denorm_src 0
		.amdhsa_exception_fp_ieee_div_zero 0
		.amdhsa_exception_fp_ieee_overflow 0
		.amdhsa_exception_fp_ieee_underflow 0
		.amdhsa_exception_fp_ieee_inexact 0
		.amdhsa_exception_int_div_zero 0
	.end_amdhsa_kernel
	.section	.text._ZN7rocprim17ROCPRIM_400000_NS6detail17trampoline_kernelINS0_14default_configENS1_35radix_sort_onesweep_config_selectorIiNS0_10empty_typeEEEZNS1_34radix_sort_onesweep_global_offsetsIS3_Lb0EN6thrust23THRUST_200600_302600_NS6detail15normal_iteratorINS9_10device_ptrIiEEEEPS5_jNS0_19identity_decomposerEEE10hipError_tT1_T2_PT3_SK_jT4_jjP12ihipStream_tbEUlT_E0_NS1_11comp_targetILNS1_3genE9ELNS1_11target_archE1100ELNS1_3gpuE3ELNS1_3repE0EEENS1_52radix_sort_onesweep_histogram_config_static_selectorELNS0_4arch9wavefront6targetE1EEEvSI_,"axG",@progbits,_ZN7rocprim17ROCPRIM_400000_NS6detail17trampoline_kernelINS0_14default_configENS1_35radix_sort_onesweep_config_selectorIiNS0_10empty_typeEEEZNS1_34radix_sort_onesweep_global_offsetsIS3_Lb0EN6thrust23THRUST_200600_302600_NS6detail15normal_iteratorINS9_10device_ptrIiEEEEPS5_jNS0_19identity_decomposerEEE10hipError_tT1_T2_PT3_SK_jT4_jjP12ihipStream_tbEUlT_E0_NS1_11comp_targetILNS1_3genE9ELNS1_11target_archE1100ELNS1_3gpuE3ELNS1_3repE0EEENS1_52radix_sort_onesweep_histogram_config_static_selectorELNS0_4arch9wavefront6targetE1EEEvSI_,comdat
.Lfunc_end1735:
	.size	_ZN7rocprim17ROCPRIM_400000_NS6detail17trampoline_kernelINS0_14default_configENS1_35radix_sort_onesweep_config_selectorIiNS0_10empty_typeEEEZNS1_34radix_sort_onesweep_global_offsetsIS3_Lb0EN6thrust23THRUST_200600_302600_NS6detail15normal_iteratorINS9_10device_ptrIiEEEEPS5_jNS0_19identity_decomposerEEE10hipError_tT1_T2_PT3_SK_jT4_jjP12ihipStream_tbEUlT_E0_NS1_11comp_targetILNS1_3genE9ELNS1_11target_archE1100ELNS1_3gpuE3ELNS1_3repE0EEENS1_52radix_sort_onesweep_histogram_config_static_selectorELNS0_4arch9wavefront6targetE1EEEvSI_, .Lfunc_end1735-_ZN7rocprim17ROCPRIM_400000_NS6detail17trampoline_kernelINS0_14default_configENS1_35radix_sort_onesweep_config_selectorIiNS0_10empty_typeEEEZNS1_34radix_sort_onesweep_global_offsetsIS3_Lb0EN6thrust23THRUST_200600_302600_NS6detail15normal_iteratorINS9_10device_ptrIiEEEEPS5_jNS0_19identity_decomposerEEE10hipError_tT1_T2_PT3_SK_jT4_jjP12ihipStream_tbEUlT_E0_NS1_11comp_targetILNS1_3genE9ELNS1_11target_archE1100ELNS1_3gpuE3ELNS1_3repE0EEENS1_52radix_sort_onesweep_histogram_config_static_selectorELNS0_4arch9wavefront6targetE1EEEvSI_
                                        ; -- End function
	.section	.AMDGPU.csdata,"",@progbits
; Kernel info:
; codeLenInByte = 0
; NumSgprs: 6
; NumVgprs: 0
; NumAgprs: 0
; TotalNumVgprs: 0
; ScratchSize: 0
; MemoryBound: 0
; FloatMode: 240
; IeeeMode: 1
; LDSByteSize: 0 bytes/workgroup (compile time only)
; SGPRBlocks: 0
; VGPRBlocks: 0
; NumSGPRsForWavesPerEU: 6
; NumVGPRsForWavesPerEU: 1
; AccumOffset: 4
; Occupancy: 8
; WaveLimiterHint : 0
; COMPUTE_PGM_RSRC2:SCRATCH_EN: 0
; COMPUTE_PGM_RSRC2:USER_SGPR: 2
; COMPUTE_PGM_RSRC2:TRAP_HANDLER: 0
; COMPUTE_PGM_RSRC2:TGID_X_EN: 1
; COMPUTE_PGM_RSRC2:TGID_Y_EN: 0
; COMPUTE_PGM_RSRC2:TGID_Z_EN: 0
; COMPUTE_PGM_RSRC2:TIDIG_COMP_CNT: 0
; COMPUTE_PGM_RSRC3_GFX90A:ACCUM_OFFSET: 0
; COMPUTE_PGM_RSRC3_GFX90A:TG_SPLIT: 0
	.section	.text._ZN7rocprim17ROCPRIM_400000_NS6detail17trampoline_kernelINS0_14default_configENS1_35radix_sort_onesweep_config_selectorIiNS0_10empty_typeEEEZNS1_34radix_sort_onesweep_global_offsetsIS3_Lb0EN6thrust23THRUST_200600_302600_NS6detail15normal_iteratorINS9_10device_ptrIiEEEEPS5_jNS0_19identity_decomposerEEE10hipError_tT1_T2_PT3_SK_jT4_jjP12ihipStream_tbEUlT_E0_NS1_11comp_targetILNS1_3genE8ELNS1_11target_archE1030ELNS1_3gpuE2ELNS1_3repE0EEENS1_52radix_sort_onesweep_histogram_config_static_selectorELNS0_4arch9wavefront6targetE1EEEvSI_,"axG",@progbits,_ZN7rocprim17ROCPRIM_400000_NS6detail17trampoline_kernelINS0_14default_configENS1_35radix_sort_onesweep_config_selectorIiNS0_10empty_typeEEEZNS1_34radix_sort_onesweep_global_offsetsIS3_Lb0EN6thrust23THRUST_200600_302600_NS6detail15normal_iteratorINS9_10device_ptrIiEEEEPS5_jNS0_19identity_decomposerEEE10hipError_tT1_T2_PT3_SK_jT4_jjP12ihipStream_tbEUlT_E0_NS1_11comp_targetILNS1_3genE8ELNS1_11target_archE1030ELNS1_3gpuE2ELNS1_3repE0EEENS1_52radix_sort_onesweep_histogram_config_static_selectorELNS0_4arch9wavefront6targetE1EEEvSI_,comdat
	.protected	_ZN7rocprim17ROCPRIM_400000_NS6detail17trampoline_kernelINS0_14default_configENS1_35radix_sort_onesweep_config_selectorIiNS0_10empty_typeEEEZNS1_34radix_sort_onesweep_global_offsetsIS3_Lb0EN6thrust23THRUST_200600_302600_NS6detail15normal_iteratorINS9_10device_ptrIiEEEEPS5_jNS0_19identity_decomposerEEE10hipError_tT1_T2_PT3_SK_jT4_jjP12ihipStream_tbEUlT_E0_NS1_11comp_targetILNS1_3genE8ELNS1_11target_archE1030ELNS1_3gpuE2ELNS1_3repE0EEENS1_52radix_sort_onesweep_histogram_config_static_selectorELNS0_4arch9wavefront6targetE1EEEvSI_ ; -- Begin function _ZN7rocprim17ROCPRIM_400000_NS6detail17trampoline_kernelINS0_14default_configENS1_35radix_sort_onesweep_config_selectorIiNS0_10empty_typeEEEZNS1_34radix_sort_onesweep_global_offsetsIS3_Lb0EN6thrust23THRUST_200600_302600_NS6detail15normal_iteratorINS9_10device_ptrIiEEEEPS5_jNS0_19identity_decomposerEEE10hipError_tT1_T2_PT3_SK_jT4_jjP12ihipStream_tbEUlT_E0_NS1_11comp_targetILNS1_3genE8ELNS1_11target_archE1030ELNS1_3gpuE2ELNS1_3repE0EEENS1_52radix_sort_onesweep_histogram_config_static_selectorELNS0_4arch9wavefront6targetE1EEEvSI_
	.globl	_ZN7rocprim17ROCPRIM_400000_NS6detail17trampoline_kernelINS0_14default_configENS1_35radix_sort_onesweep_config_selectorIiNS0_10empty_typeEEEZNS1_34radix_sort_onesweep_global_offsetsIS3_Lb0EN6thrust23THRUST_200600_302600_NS6detail15normal_iteratorINS9_10device_ptrIiEEEEPS5_jNS0_19identity_decomposerEEE10hipError_tT1_T2_PT3_SK_jT4_jjP12ihipStream_tbEUlT_E0_NS1_11comp_targetILNS1_3genE8ELNS1_11target_archE1030ELNS1_3gpuE2ELNS1_3repE0EEENS1_52radix_sort_onesweep_histogram_config_static_selectorELNS0_4arch9wavefront6targetE1EEEvSI_
	.p2align	8
	.type	_ZN7rocprim17ROCPRIM_400000_NS6detail17trampoline_kernelINS0_14default_configENS1_35radix_sort_onesweep_config_selectorIiNS0_10empty_typeEEEZNS1_34radix_sort_onesweep_global_offsetsIS3_Lb0EN6thrust23THRUST_200600_302600_NS6detail15normal_iteratorINS9_10device_ptrIiEEEEPS5_jNS0_19identity_decomposerEEE10hipError_tT1_T2_PT3_SK_jT4_jjP12ihipStream_tbEUlT_E0_NS1_11comp_targetILNS1_3genE8ELNS1_11target_archE1030ELNS1_3gpuE2ELNS1_3repE0EEENS1_52radix_sort_onesweep_histogram_config_static_selectorELNS0_4arch9wavefront6targetE1EEEvSI_,@function
_ZN7rocprim17ROCPRIM_400000_NS6detail17trampoline_kernelINS0_14default_configENS1_35radix_sort_onesweep_config_selectorIiNS0_10empty_typeEEEZNS1_34radix_sort_onesweep_global_offsetsIS3_Lb0EN6thrust23THRUST_200600_302600_NS6detail15normal_iteratorINS9_10device_ptrIiEEEEPS5_jNS0_19identity_decomposerEEE10hipError_tT1_T2_PT3_SK_jT4_jjP12ihipStream_tbEUlT_E0_NS1_11comp_targetILNS1_3genE8ELNS1_11target_archE1030ELNS1_3gpuE2ELNS1_3repE0EEENS1_52radix_sort_onesweep_histogram_config_static_selectorELNS0_4arch9wavefront6targetE1EEEvSI_: ; @_ZN7rocprim17ROCPRIM_400000_NS6detail17trampoline_kernelINS0_14default_configENS1_35radix_sort_onesweep_config_selectorIiNS0_10empty_typeEEEZNS1_34radix_sort_onesweep_global_offsetsIS3_Lb0EN6thrust23THRUST_200600_302600_NS6detail15normal_iteratorINS9_10device_ptrIiEEEEPS5_jNS0_19identity_decomposerEEE10hipError_tT1_T2_PT3_SK_jT4_jjP12ihipStream_tbEUlT_E0_NS1_11comp_targetILNS1_3genE8ELNS1_11target_archE1030ELNS1_3gpuE2ELNS1_3repE0EEENS1_52radix_sort_onesweep_histogram_config_static_selectorELNS0_4arch9wavefront6targetE1EEEvSI_
; %bb.0:
	.section	.rodata,"a",@progbits
	.p2align	6, 0x0
	.amdhsa_kernel _ZN7rocprim17ROCPRIM_400000_NS6detail17trampoline_kernelINS0_14default_configENS1_35radix_sort_onesweep_config_selectorIiNS0_10empty_typeEEEZNS1_34radix_sort_onesweep_global_offsetsIS3_Lb0EN6thrust23THRUST_200600_302600_NS6detail15normal_iteratorINS9_10device_ptrIiEEEEPS5_jNS0_19identity_decomposerEEE10hipError_tT1_T2_PT3_SK_jT4_jjP12ihipStream_tbEUlT_E0_NS1_11comp_targetILNS1_3genE8ELNS1_11target_archE1030ELNS1_3gpuE2ELNS1_3repE0EEENS1_52radix_sort_onesweep_histogram_config_static_selectorELNS0_4arch9wavefront6targetE1EEEvSI_
		.amdhsa_group_segment_fixed_size 0
		.amdhsa_private_segment_fixed_size 0
		.amdhsa_kernarg_size 8
		.amdhsa_user_sgpr_count 2
		.amdhsa_user_sgpr_dispatch_ptr 0
		.amdhsa_user_sgpr_queue_ptr 0
		.amdhsa_user_sgpr_kernarg_segment_ptr 1
		.amdhsa_user_sgpr_dispatch_id 0
		.amdhsa_user_sgpr_kernarg_preload_length 0
		.amdhsa_user_sgpr_kernarg_preload_offset 0
		.amdhsa_user_sgpr_private_segment_size 0
		.amdhsa_uses_dynamic_stack 0
		.amdhsa_enable_private_segment 0
		.amdhsa_system_sgpr_workgroup_id_x 1
		.amdhsa_system_sgpr_workgroup_id_y 0
		.amdhsa_system_sgpr_workgroup_id_z 0
		.amdhsa_system_sgpr_workgroup_info 0
		.amdhsa_system_vgpr_workitem_id 0
		.amdhsa_next_free_vgpr 1
		.amdhsa_next_free_sgpr 0
		.amdhsa_accum_offset 4
		.amdhsa_reserve_vcc 0
		.amdhsa_float_round_mode_32 0
		.amdhsa_float_round_mode_16_64 0
		.amdhsa_float_denorm_mode_32 3
		.amdhsa_float_denorm_mode_16_64 3
		.amdhsa_dx10_clamp 1
		.amdhsa_ieee_mode 1
		.amdhsa_fp16_overflow 0
		.amdhsa_tg_split 0
		.amdhsa_exception_fp_ieee_invalid_op 0
		.amdhsa_exception_fp_denorm_src 0
		.amdhsa_exception_fp_ieee_div_zero 0
		.amdhsa_exception_fp_ieee_overflow 0
		.amdhsa_exception_fp_ieee_underflow 0
		.amdhsa_exception_fp_ieee_inexact 0
		.amdhsa_exception_int_div_zero 0
	.end_amdhsa_kernel
	.section	.text._ZN7rocprim17ROCPRIM_400000_NS6detail17trampoline_kernelINS0_14default_configENS1_35radix_sort_onesweep_config_selectorIiNS0_10empty_typeEEEZNS1_34radix_sort_onesweep_global_offsetsIS3_Lb0EN6thrust23THRUST_200600_302600_NS6detail15normal_iteratorINS9_10device_ptrIiEEEEPS5_jNS0_19identity_decomposerEEE10hipError_tT1_T2_PT3_SK_jT4_jjP12ihipStream_tbEUlT_E0_NS1_11comp_targetILNS1_3genE8ELNS1_11target_archE1030ELNS1_3gpuE2ELNS1_3repE0EEENS1_52radix_sort_onesweep_histogram_config_static_selectorELNS0_4arch9wavefront6targetE1EEEvSI_,"axG",@progbits,_ZN7rocprim17ROCPRIM_400000_NS6detail17trampoline_kernelINS0_14default_configENS1_35radix_sort_onesweep_config_selectorIiNS0_10empty_typeEEEZNS1_34radix_sort_onesweep_global_offsetsIS3_Lb0EN6thrust23THRUST_200600_302600_NS6detail15normal_iteratorINS9_10device_ptrIiEEEEPS5_jNS0_19identity_decomposerEEE10hipError_tT1_T2_PT3_SK_jT4_jjP12ihipStream_tbEUlT_E0_NS1_11comp_targetILNS1_3genE8ELNS1_11target_archE1030ELNS1_3gpuE2ELNS1_3repE0EEENS1_52radix_sort_onesweep_histogram_config_static_selectorELNS0_4arch9wavefront6targetE1EEEvSI_,comdat
.Lfunc_end1736:
	.size	_ZN7rocprim17ROCPRIM_400000_NS6detail17trampoline_kernelINS0_14default_configENS1_35radix_sort_onesweep_config_selectorIiNS0_10empty_typeEEEZNS1_34radix_sort_onesweep_global_offsetsIS3_Lb0EN6thrust23THRUST_200600_302600_NS6detail15normal_iteratorINS9_10device_ptrIiEEEEPS5_jNS0_19identity_decomposerEEE10hipError_tT1_T2_PT3_SK_jT4_jjP12ihipStream_tbEUlT_E0_NS1_11comp_targetILNS1_3genE8ELNS1_11target_archE1030ELNS1_3gpuE2ELNS1_3repE0EEENS1_52radix_sort_onesweep_histogram_config_static_selectorELNS0_4arch9wavefront6targetE1EEEvSI_, .Lfunc_end1736-_ZN7rocprim17ROCPRIM_400000_NS6detail17trampoline_kernelINS0_14default_configENS1_35radix_sort_onesweep_config_selectorIiNS0_10empty_typeEEEZNS1_34radix_sort_onesweep_global_offsetsIS3_Lb0EN6thrust23THRUST_200600_302600_NS6detail15normal_iteratorINS9_10device_ptrIiEEEEPS5_jNS0_19identity_decomposerEEE10hipError_tT1_T2_PT3_SK_jT4_jjP12ihipStream_tbEUlT_E0_NS1_11comp_targetILNS1_3genE8ELNS1_11target_archE1030ELNS1_3gpuE2ELNS1_3repE0EEENS1_52radix_sort_onesweep_histogram_config_static_selectorELNS0_4arch9wavefront6targetE1EEEvSI_
                                        ; -- End function
	.section	.AMDGPU.csdata,"",@progbits
; Kernel info:
; codeLenInByte = 0
; NumSgprs: 6
; NumVgprs: 0
; NumAgprs: 0
; TotalNumVgprs: 0
; ScratchSize: 0
; MemoryBound: 0
; FloatMode: 240
; IeeeMode: 1
; LDSByteSize: 0 bytes/workgroup (compile time only)
; SGPRBlocks: 0
; VGPRBlocks: 0
; NumSGPRsForWavesPerEU: 6
; NumVGPRsForWavesPerEU: 1
; AccumOffset: 4
; Occupancy: 8
; WaveLimiterHint : 0
; COMPUTE_PGM_RSRC2:SCRATCH_EN: 0
; COMPUTE_PGM_RSRC2:USER_SGPR: 2
; COMPUTE_PGM_RSRC2:TRAP_HANDLER: 0
; COMPUTE_PGM_RSRC2:TGID_X_EN: 1
; COMPUTE_PGM_RSRC2:TGID_Y_EN: 0
; COMPUTE_PGM_RSRC2:TGID_Z_EN: 0
; COMPUTE_PGM_RSRC2:TIDIG_COMP_CNT: 0
; COMPUTE_PGM_RSRC3_GFX90A:ACCUM_OFFSET: 0
; COMPUTE_PGM_RSRC3_GFX90A:TG_SPLIT: 0
	.section	.text._ZN7rocprim17ROCPRIM_400000_NS6detail17trampoline_kernelINS0_14default_configENS1_25transform_config_selectorIiLb0EEEZNS1_14transform_implILb0ES3_S5_N6thrust23THRUST_200600_302600_NS6detail15normal_iteratorINS8_10device_ptrIiEEEEPiNS0_8identityIiEEEE10hipError_tT2_T3_mT4_P12ihipStream_tbEUlT_E_NS1_11comp_targetILNS1_3genE0ELNS1_11target_archE4294967295ELNS1_3gpuE0ELNS1_3repE0EEENS1_30default_config_static_selectorELNS0_4arch9wavefront6targetE1EEEvT1_,"axG",@progbits,_ZN7rocprim17ROCPRIM_400000_NS6detail17trampoline_kernelINS0_14default_configENS1_25transform_config_selectorIiLb0EEEZNS1_14transform_implILb0ES3_S5_N6thrust23THRUST_200600_302600_NS6detail15normal_iteratorINS8_10device_ptrIiEEEEPiNS0_8identityIiEEEE10hipError_tT2_T3_mT4_P12ihipStream_tbEUlT_E_NS1_11comp_targetILNS1_3genE0ELNS1_11target_archE4294967295ELNS1_3gpuE0ELNS1_3repE0EEENS1_30default_config_static_selectorELNS0_4arch9wavefront6targetE1EEEvT1_,comdat
	.protected	_ZN7rocprim17ROCPRIM_400000_NS6detail17trampoline_kernelINS0_14default_configENS1_25transform_config_selectorIiLb0EEEZNS1_14transform_implILb0ES3_S5_N6thrust23THRUST_200600_302600_NS6detail15normal_iteratorINS8_10device_ptrIiEEEEPiNS0_8identityIiEEEE10hipError_tT2_T3_mT4_P12ihipStream_tbEUlT_E_NS1_11comp_targetILNS1_3genE0ELNS1_11target_archE4294967295ELNS1_3gpuE0ELNS1_3repE0EEENS1_30default_config_static_selectorELNS0_4arch9wavefront6targetE1EEEvT1_ ; -- Begin function _ZN7rocprim17ROCPRIM_400000_NS6detail17trampoline_kernelINS0_14default_configENS1_25transform_config_selectorIiLb0EEEZNS1_14transform_implILb0ES3_S5_N6thrust23THRUST_200600_302600_NS6detail15normal_iteratorINS8_10device_ptrIiEEEEPiNS0_8identityIiEEEE10hipError_tT2_T3_mT4_P12ihipStream_tbEUlT_E_NS1_11comp_targetILNS1_3genE0ELNS1_11target_archE4294967295ELNS1_3gpuE0ELNS1_3repE0EEENS1_30default_config_static_selectorELNS0_4arch9wavefront6targetE1EEEvT1_
	.globl	_ZN7rocprim17ROCPRIM_400000_NS6detail17trampoline_kernelINS0_14default_configENS1_25transform_config_selectorIiLb0EEEZNS1_14transform_implILb0ES3_S5_N6thrust23THRUST_200600_302600_NS6detail15normal_iteratorINS8_10device_ptrIiEEEEPiNS0_8identityIiEEEE10hipError_tT2_T3_mT4_P12ihipStream_tbEUlT_E_NS1_11comp_targetILNS1_3genE0ELNS1_11target_archE4294967295ELNS1_3gpuE0ELNS1_3repE0EEENS1_30default_config_static_selectorELNS0_4arch9wavefront6targetE1EEEvT1_
	.p2align	8
	.type	_ZN7rocprim17ROCPRIM_400000_NS6detail17trampoline_kernelINS0_14default_configENS1_25transform_config_selectorIiLb0EEEZNS1_14transform_implILb0ES3_S5_N6thrust23THRUST_200600_302600_NS6detail15normal_iteratorINS8_10device_ptrIiEEEEPiNS0_8identityIiEEEE10hipError_tT2_T3_mT4_P12ihipStream_tbEUlT_E_NS1_11comp_targetILNS1_3genE0ELNS1_11target_archE4294967295ELNS1_3gpuE0ELNS1_3repE0EEENS1_30default_config_static_selectorELNS0_4arch9wavefront6targetE1EEEvT1_,@function
_ZN7rocprim17ROCPRIM_400000_NS6detail17trampoline_kernelINS0_14default_configENS1_25transform_config_selectorIiLb0EEEZNS1_14transform_implILb0ES3_S5_N6thrust23THRUST_200600_302600_NS6detail15normal_iteratorINS8_10device_ptrIiEEEEPiNS0_8identityIiEEEE10hipError_tT2_T3_mT4_P12ihipStream_tbEUlT_E_NS1_11comp_targetILNS1_3genE0ELNS1_11target_archE4294967295ELNS1_3gpuE0ELNS1_3repE0EEENS1_30default_config_static_selectorELNS0_4arch9wavefront6targetE1EEEvT1_: ; @_ZN7rocprim17ROCPRIM_400000_NS6detail17trampoline_kernelINS0_14default_configENS1_25transform_config_selectorIiLb0EEEZNS1_14transform_implILb0ES3_S5_N6thrust23THRUST_200600_302600_NS6detail15normal_iteratorINS8_10device_ptrIiEEEEPiNS0_8identityIiEEEE10hipError_tT2_T3_mT4_P12ihipStream_tbEUlT_E_NS1_11comp_targetILNS1_3genE0ELNS1_11target_archE4294967295ELNS1_3gpuE0ELNS1_3repE0EEENS1_30default_config_static_selectorELNS0_4arch9wavefront6targetE1EEEvT1_
; %bb.0:
	.section	.rodata,"a",@progbits
	.p2align	6, 0x0
	.amdhsa_kernel _ZN7rocprim17ROCPRIM_400000_NS6detail17trampoline_kernelINS0_14default_configENS1_25transform_config_selectorIiLb0EEEZNS1_14transform_implILb0ES3_S5_N6thrust23THRUST_200600_302600_NS6detail15normal_iteratorINS8_10device_ptrIiEEEEPiNS0_8identityIiEEEE10hipError_tT2_T3_mT4_P12ihipStream_tbEUlT_E_NS1_11comp_targetILNS1_3genE0ELNS1_11target_archE4294967295ELNS1_3gpuE0ELNS1_3repE0EEENS1_30default_config_static_selectorELNS0_4arch9wavefront6targetE1EEEvT1_
		.amdhsa_group_segment_fixed_size 0
		.amdhsa_private_segment_fixed_size 0
		.amdhsa_kernarg_size 40
		.amdhsa_user_sgpr_count 2
		.amdhsa_user_sgpr_dispatch_ptr 0
		.amdhsa_user_sgpr_queue_ptr 0
		.amdhsa_user_sgpr_kernarg_segment_ptr 1
		.amdhsa_user_sgpr_dispatch_id 0
		.amdhsa_user_sgpr_kernarg_preload_length 0
		.amdhsa_user_sgpr_kernarg_preload_offset 0
		.amdhsa_user_sgpr_private_segment_size 0
		.amdhsa_uses_dynamic_stack 0
		.amdhsa_enable_private_segment 0
		.amdhsa_system_sgpr_workgroup_id_x 1
		.amdhsa_system_sgpr_workgroup_id_y 0
		.amdhsa_system_sgpr_workgroup_id_z 0
		.amdhsa_system_sgpr_workgroup_info 0
		.amdhsa_system_vgpr_workitem_id 0
		.amdhsa_next_free_vgpr 1
		.amdhsa_next_free_sgpr 0
		.amdhsa_accum_offset 4
		.amdhsa_reserve_vcc 0
		.amdhsa_float_round_mode_32 0
		.amdhsa_float_round_mode_16_64 0
		.amdhsa_float_denorm_mode_32 3
		.amdhsa_float_denorm_mode_16_64 3
		.amdhsa_dx10_clamp 1
		.amdhsa_ieee_mode 1
		.amdhsa_fp16_overflow 0
		.amdhsa_tg_split 0
		.amdhsa_exception_fp_ieee_invalid_op 0
		.amdhsa_exception_fp_denorm_src 0
		.amdhsa_exception_fp_ieee_div_zero 0
		.amdhsa_exception_fp_ieee_overflow 0
		.amdhsa_exception_fp_ieee_underflow 0
		.amdhsa_exception_fp_ieee_inexact 0
		.amdhsa_exception_int_div_zero 0
	.end_amdhsa_kernel
	.section	.text._ZN7rocprim17ROCPRIM_400000_NS6detail17trampoline_kernelINS0_14default_configENS1_25transform_config_selectorIiLb0EEEZNS1_14transform_implILb0ES3_S5_N6thrust23THRUST_200600_302600_NS6detail15normal_iteratorINS8_10device_ptrIiEEEEPiNS0_8identityIiEEEE10hipError_tT2_T3_mT4_P12ihipStream_tbEUlT_E_NS1_11comp_targetILNS1_3genE0ELNS1_11target_archE4294967295ELNS1_3gpuE0ELNS1_3repE0EEENS1_30default_config_static_selectorELNS0_4arch9wavefront6targetE1EEEvT1_,"axG",@progbits,_ZN7rocprim17ROCPRIM_400000_NS6detail17trampoline_kernelINS0_14default_configENS1_25transform_config_selectorIiLb0EEEZNS1_14transform_implILb0ES3_S5_N6thrust23THRUST_200600_302600_NS6detail15normal_iteratorINS8_10device_ptrIiEEEEPiNS0_8identityIiEEEE10hipError_tT2_T3_mT4_P12ihipStream_tbEUlT_E_NS1_11comp_targetILNS1_3genE0ELNS1_11target_archE4294967295ELNS1_3gpuE0ELNS1_3repE0EEENS1_30default_config_static_selectorELNS0_4arch9wavefront6targetE1EEEvT1_,comdat
.Lfunc_end1737:
	.size	_ZN7rocprim17ROCPRIM_400000_NS6detail17trampoline_kernelINS0_14default_configENS1_25transform_config_selectorIiLb0EEEZNS1_14transform_implILb0ES3_S5_N6thrust23THRUST_200600_302600_NS6detail15normal_iteratorINS8_10device_ptrIiEEEEPiNS0_8identityIiEEEE10hipError_tT2_T3_mT4_P12ihipStream_tbEUlT_E_NS1_11comp_targetILNS1_3genE0ELNS1_11target_archE4294967295ELNS1_3gpuE0ELNS1_3repE0EEENS1_30default_config_static_selectorELNS0_4arch9wavefront6targetE1EEEvT1_, .Lfunc_end1737-_ZN7rocprim17ROCPRIM_400000_NS6detail17trampoline_kernelINS0_14default_configENS1_25transform_config_selectorIiLb0EEEZNS1_14transform_implILb0ES3_S5_N6thrust23THRUST_200600_302600_NS6detail15normal_iteratorINS8_10device_ptrIiEEEEPiNS0_8identityIiEEEE10hipError_tT2_T3_mT4_P12ihipStream_tbEUlT_E_NS1_11comp_targetILNS1_3genE0ELNS1_11target_archE4294967295ELNS1_3gpuE0ELNS1_3repE0EEENS1_30default_config_static_selectorELNS0_4arch9wavefront6targetE1EEEvT1_
                                        ; -- End function
	.section	.AMDGPU.csdata,"",@progbits
; Kernel info:
; codeLenInByte = 0
; NumSgprs: 6
; NumVgprs: 0
; NumAgprs: 0
; TotalNumVgprs: 0
; ScratchSize: 0
; MemoryBound: 0
; FloatMode: 240
; IeeeMode: 1
; LDSByteSize: 0 bytes/workgroup (compile time only)
; SGPRBlocks: 0
; VGPRBlocks: 0
; NumSGPRsForWavesPerEU: 6
; NumVGPRsForWavesPerEU: 1
; AccumOffset: 4
; Occupancy: 8
; WaveLimiterHint : 0
; COMPUTE_PGM_RSRC2:SCRATCH_EN: 0
; COMPUTE_PGM_RSRC2:USER_SGPR: 2
; COMPUTE_PGM_RSRC2:TRAP_HANDLER: 0
; COMPUTE_PGM_RSRC2:TGID_X_EN: 1
; COMPUTE_PGM_RSRC2:TGID_Y_EN: 0
; COMPUTE_PGM_RSRC2:TGID_Z_EN: 0
; COMPUTE_PGM_RSRC2:TIDIG_COMP_CNT: 0
; COMPUTE_PGM_RSRC3_GFX90A:ACCUM_OFFSET: 0
; COMPUTE_PGM_RSRC3_GFX90A:TG_SPLIT: 0
	.section	.text._ZN7rocprim17ROCPRIM_400000_NS6detail17trampoline_kernelINS0_14default_configENS1_25transform_config_selectorIiLb0EEEZNS1_14transform_implILb0ES3_S5_N6thrust23THRUST_200600_302600_NS6detail15normal_iteratorINS8_10device_ptrIiEEEEPiNS0_8identityIiEEEE10hipError_tT2_T3_mT4_P12ihipStream_tbEUlT_E_NS1_11comp_targetILNS1_3genE5ELNS1_11target_archE942ELNS1_3gpuE9ELNS1_3repE0EEENS1_30default_config_static_selectorELNS0_4arch9wavefront6targetE1EEEvT1_,"axG",@progbits,_ZN7rocprim17ROCPRIM_400000_NS6detail17trampoline_kernelINS0_14default_configENS1_25transform_config_selectorIiLb0EEEZNS1_14transform_implILb0ES3_S5_N6thrust23THRUST_200600_302600_NS6detail15normal_iteratorINS8_10device_ptrIiEEEEPiNS0_8identityIiEEEE10hipError_tT2_T3_mT4_P12ihipStream_tbEUlT_E_NS1_11comp_targetILNS1_3genE5ELNS1_11target_archE942ELNS1_3gpuE9ELNS1_3repE0EEENS1_30default_config_static_selectorELNS0_4arch9wavefront6targetE1EEEvT1_,comdat
	.protected	_ZN7rocprim17ROCPRIM_400000_NS6detail17trampoline_kernelINS0_14default_configENS1_25transform_config_selectorIiLb0EEEZNS1_14transform_implILb0ES3_S5_N6thrust23THRUST_200600_302600_NS6detail15normal_iteratorINS8_10device_ptrIiEEEEPiNS0_8identityIiEEEE10hipError_tT2_T3_mT4_P12ihipStream_tbEUlT_E_NS1_11comp_targetILNS1_3genE5ELNS1_11target_archE942ELNS1_3gpuE9ELNS1_3repE0EEENS1_30default_config_static_selectorELNS0_4arch9wavefront6targetE1EEEvT1_ ; -- Begin function _ZN7rocprim17ROCPRIM_400000_NS6detail17trampoline_kernelINS0_14default_configENS1_25transform_config_selectorIiLb0EEEZNS1_14transform_implILb0ES3_S5_N6thrust23THRUST_200600_302600_NS6detail15normal_iteratorINS8_10device_ptrIiEEEEPiNS0_8identityIiEEEE10hipError_tT2_T3_mT4_P12ihipStream_tbEUlT_E_NS1_11comp_targetILNS1_3genE5ELNS1_11target_archE942ELNS1_3gpuE9ELNS1_3repE0EEENS1_30default_config_static_selectorELNS0_4arch9wavefront6targetE1EEEvT1_
	.globl	_ZN7rocprim17ROCPRIM_400000_NS6detail17trampoline_kernelINS0_14default_configENS1_25transform_config_selectorIiLb0EEEZNS1_14transform_implILb0ES3_S5_N6thrust23THRUST_200600_302600_NS6detail15normal_iteratorINS8_10device_ptrIiEEEEPiNS0_8identityIiEEEE10hipError_tT2_T3_mT4_P12ihipStream_tbEUlT_E_NS1_11comp_targetILNS1_3genE5ELNS1_11target_archE942ELNS1_3gpuE9ELNS1_3repE0EEENS1_30default_config_static_selectorELNS0_4arch9wavefront6targetE1EEEvT1_
	.p2align	8
	.type	_ZN7rocprim17ROCPRIM_400000_NS6detail17trampoline_kernelINS0_14default_configENS1_25transform_config_selectorIiLb0EEEZNS1_14transform_implILb0ES3_S5_N6thrust23THRUST_200600_302600_NS6detail15normal_iteratorINS8_10device_ptrIiEEEEPiNS0_8identityIiEEEE10hipError_tT2_T3_mT4_P12ihipStream_tbEUlT_E_NS1_11comp_targetILNS1_3genE5ELNS1_11target_archE942ELNS1_3gpuE9ELNS1_3repE0EEENS1_30default_config_static_selectorELNS0_4arch9wavefront6targetE1EEEvT1_,@function
_ZN7rocprim17ROCPRIM_400000_NS6detail17trampoline_kernelINS0_14default_configENS1_25transform_config_selectorIiLb0EEEZNS1_14transform_implILb0ES3_S5_N6thrust23THRUST_200600_302600_NS6detail15normal_iteratorINS8_10device_ptrIiEEEEPiNS0_8identityIiEEEE10hipError_tT2_T3_mT4_P12ihipStream_tbEUlT_E_NS1_11comp_targetILNS1_3genE5ELNS1_11target_archE942ELNS1_3gpuE9ELNS1_3repE0EEENS1_30default_config_static_selectorELNS0_4arch9wavefront6targetE1EEEvT1_: ; @_ZN7rocprim17ROCPRIM_400000_NS6detail17trampoline_kernelINS0_14default_configENS1_25transform_config_selectorIiLb0EEEZNS1_14transform_implILb0ES3_S5_N6thrust23THRUST_200600_302600_NS6detail15normal_iteratorINS8_10device_ptrIiEEEEPiNS0_8identityIiEEEE10hipError_tT2_T3_mT4_P12ihipStream_tbEUlT_E_NS1_11comp_targetILNS1_3genE5ELNS1_11target_archE942ELNS1_3gpuE9ELNS1_3repE0EEENS1_30default_config_static_selectorELNS0_4arch9wavefront6targetE1EEEvT1_
; %bb.0:
	s_load_dwordx8 s[4:11], s[0:1], 0x0
	s_load_dword s3, s[0:1], 0x28
	v_lshlrev_b32_e32 v6, 2, v0
	s_waitcnt lgkmcnt(0)
	s_lshl_b64 s[0:1], s[6:7], 2
	s_add_u32 s4, s4, s0
	s_addc_u32 s5, s5, s1
	s_add_u32 s14, s10, s0
	s_addc_u32 s15, s11, s1
	s_lshl_b32 s0, s2, 11
	s_mov_b32 s1, 0
	s_add_i32 s3, s3, -1
	s_lshl_b64 s[10:11], s[0:1], 2
	s_add_u32 s12, s4, s10
	s_addc_u32 s13, s5, s11
	s_cmp_lg_u32 s2, s3
	s_cbranch_scc0 .LBB1738_2
; %bb.1:
	v_mov_b32_e32 v7, 0
	v_lshl_add_u64 v[2:3], s[12:13], 0, v[6:7]
	v_add_co_u32_e32 v4, vcc, 0x1000, v2
	s_add_u32 s4, s14, s10
	s_nop 0
	v_addc_co_u32_e32 v5, vcc, 0, v3, vcc
	flat_load_dword v10, v[2:3]
	flat_load_dword v11, v[2:3] offset:2048
	flat_load_dword v12, v[4:5]
	flat_load_dword v1, v[4:5] offset:2048
	s_addc_u32 s5, s15, s11
	v_lshl_add_u64 v[8:9], s[4:5], 0, v[6:7]
	v_add_co_u32_e32 v2, vcc, 0x1000, v8
	s_nop 1
	v_addc_co_u32_e32 v3, vcc, 0, v9, vcc
	s_mov_b64 s[6:7], -1
	s_waitcnt vmcnt(0) lgkmcnt(0)
	global_store_dword v6, v10, s[4:5]
	global_store_dword v6, v11, s[4:5] offset:2048
	global_store_dword v[2:3], v12, off
	s_cbranch_execz .LBB1738_3
	s_branch .LBB1738_17
.LBB1738_2:
	s_mov_b64 s[6:7], 0
                                        ; implicit-def: $vgpr1
                                        ; implicit-def: $vgpr8_vgpr9
.LBB1738_3:
	s_sub_i32 s8, s8, s0
	v_cmp_gt_u32_e32 vcc, s8, v0
                                        ; implicit-def: $vgpr2_vgpr3_vgpr4_vgpr5
	s_and_saveexec_b64 s[0:1], vcc
	s_cbranch_execz .LBB1738_5
; %bb.4:
	v_mov_b32_e32 v7, 0
	v_lshl_add_u64 v[2:3], s[12:13], 0, v[6:7]
	flat_load_dword v2, v[2:3]
.LBB1738_5:
	s_or_b64 exec, exec, s[0:1]
	v_or_b32_e32 v1, 0x200, v0
	v_cmp_gt_u32_e64 s[0:1], s8, v1
	s_and_saveexec_b64 s[2:3], s[0:1]
	s_cbranch_execz .LBB1738_7
; %bb.6:
	v_mov_b32_e32 v7, 0
	v_lshl_add_u64 v[8:9], s[12:13], 0, v[6:7]
	flat_load_dword v3, v[8:9] offset:2048
.LBB1738_7:
	s_or_b64 exec, exec, s[2:3]
	v_or_b32_e32 v1, 0x400, v0
	v_cmp_gt_u32_e64 s[2:3], s8, v1
	s_and_saveexec_b64 s[4:5], s[2:3]
	s_cbranch_execz .LBB1738_9
; %bb.8:
	v_lshlrev_b32_e32 v8, 2, v1
	v_mov_b32_e32 v9, 0
	v_lshl_add_u64 v[8:9], s[12:13], 0, v[8:9]
	flat_load_dword v4, v[8:9]
.LBB1738_9:
	s_or_b64 exec, exec, s[4:5]
	v_or_b32_e32 v0, 0x600, v0
	v_cmp_gt_u32_e64 s[4:5], s8, v0
	s_and_saveexec_b64 s[8:9], s[4:5]
	s_cbranch_execz .LBB1738_11
; %bb.10:
	v_lshlrev_b32_e32 v0, 2, v0
	v_mov_b32_e32 v1, 0
	v_lshl_add_u64 v[0:1], s[12:13], 0, v[0:1]
	flat_load_dword v5, v[0:1]
.LBB1738_11:
	s_or_b64 exec, exec, s[8:9]
	s_add_u32 s8, s14, s10
	s_addc_u32 s9, s15, s11
	v_mov_b32_e32 v7, 0
	v_lshl_add_u64 v[8:9], s[8:9], 0, v[6:7]
	s_and_saveexec_b64 s[8:9], vcc
	s_cbranch_execnz .LBB1738_20
; %bb.12:
	s_or_b64 exec, exec, s[8:9]
	s_and_saveexec_b64 s[8:9], s[0:1]
	s_cbranch_execnz .LBB1738_21
.LBB1738_13:
	s_or_b64 exec, exec, s[8:9]
	s_and_saveexec_b64 s[0:1], s[2:3]
	s_cbranch_execnz .LBB1738_22
.LBB1738_14:
	s_or_b64 exec, exec, s[0:1]
                                        ; implicit-def: $vgpr1
	s_and_saveexec_b64 s[0:1], s[4:5]
	s_cbranch_execz .LBB1738_16
.LBB1738_15:
	s_waitcnt vmcnt(0) lgkmcnt(0)
	v_cndmask_b32_e64 v1, v5, v5, s[4:5]
	s_or_b64 s[6:7], s[6:7], exec
.LBB1738_16:
	s_or_b64 exec, exec, s[0:1]
.LBB1738_17:
	s_and_saveexec_b64 s[0:1], s[6:7]
	s_cbranch_execnz .LBB1738_19
; %bb.18:
	s_endpgm
.LBB1738_19:
	s_waitcnt vmcnt(0) lgkmcnt(0)
	v_add_co_u32_e32 v2, vcc, 0x1000, v8
	s_nop 1
	v_addc_co_u32_e32 v3, vcc, 0, v9, vcc
	global_store_dword v[2:3], v1, off offset:2048
	s_endpgm
.LBB1738_20:
	s_waitcnt vmcnt(0) lgkmcnt(0)
	global_store_dword v[8:9], v2, off
	s_or_b64 exec, exec, s[8:9]
	s_and_saveexec_b64 s[8:9], s[0:1]
	s_cbranch_execz .LBB1738_13
.LBB1738_21:
	s_waitcnt vmcnt(0) lgkmcnt(0)
	global_store_dword v[8:9], v3, off offset:2048
	s_or_b64 exec, exec, s[8:9]
	s_and_saveexec_b64 s[0:1], s[2:3]
	s_cbranch_execz .LBB1738_14
.LBB1738_22:
	v_add_co_u32_e32 v0, vcc, 0x1000, v8
	s_waitcnt vmcnt(0) lgkmcnt(0)
	v_cndmask_b32_e64 v2, v4, v4, s[2:3]
	v_addc_co_u32_e32 v1, vcc, 0, v9, vcc
	global_store_dword v[0:1], v2, off
	s_or_b64 exec, exec, s[0:1]
                                        ; implicit-def: $vgpr1
	s_and_saveexec_b64 s[0:1], s[4:5]
	s_cbranch_execnz .LBB1738_15
	s_branch .LBB1738_16
	.section	.rodata,"a",@progbits
	.p2align	6, 0x0
	.amdhsa_kernel _ZN7rocprim17ROCPRIM_400000_NS6detail17trampoline_kernelINS0_14default_configENS1_25transform_config_selectorIiLb0EEEZNS1_14transform_implILb0ES3_S5_N6thrust23THRUST_200600_302600_NS6detail15normal_iteratorINS8_10device_ptrIiEEEEPiNS0_8identityIiEEEE10hipError_tT2_T3_mT4_P12ihipStream_tbEUlT_E_NS1_11comp_targetILNS1_3genE5ELNS1_11target_archE942ELNS1_3gpuE9ELNS1_3repE0EEENS1_30default_config_static_selectorELNS0_4arch9wavefront6targetE1EEEvT1_
		.amdhsa_group_segment_fixed_size 0
		.amdhsa_private_segment_fixed_size 0
		.amdhsa_kernarg_size 296
		.amdhsa_user_sgpr_count 2
		.amdhsa_user_sgpr_dispatch_ptr 0
		.amdhsa_user_sgpr_queue_ptr 0
		.amdhsa_user_sgpr_kernarg_segment_ptr 1
		.amdhsa_user_sgpr_dispatch_id 0
		.amdhsa_user_sgpr_kernarg_preload_length 0
		.amdhsa_user_sgpr_kernarg_preload_offset 0
		.amdhsa_user_sgpr_private_segment_size 0
		.amdhsa_uses_dynamic_stack 0
		.amdhsa_enable_private_segment 0
		.amdhsa_system_sgpr_workgroup_id_x 1
		.amdhsa_system_sgpr_workgroup_id_y 0
		.amdhsa_system_sgpr_workgroup_id_z 0
		.amdhsa_system_sgpr_workgroup_info 0
		.amdhsa_system_vgpr_workitem_id 0
		.amdhsa_next_free_vgpr 13
		.amdhsa_next_free_sgpr 16
		.amdhsa_accum_offset 16
		.amdhsa_reserve_vcc 1
		.amdhsa_float_round_mode_32 0
		.amdhsa_float_round_mode_16_64 0
		.amdhsa_float_denorm_mode_32 3
		.amdhsa_float_denorm_mode_16_64 3
		.amdhsa_dx10_clamp 1
		.amdhsa_ieee_mode 1
		.amdhsa_fp16_overflow 0
		.amdhsa_tg_split 0
		.amdhsa_exception_fp_ieee_invalid_op 0
		.amdhsa_exception_fp_denorm_src 0
		.amdhsa_exception_fp_ieee_div_zero 0
		.amdhsa_exception_fp_ieee_overflow 0
		.amdhsa_exception_fp_ieee_underflow 0
		.amdhsa_exception_fp_ieee_inexact 0
		.amdhsa_exception_int_div_zero 0
	.end_amdhsa_kernel
	.section	.text._ZN7rocprim17ROCPRIM_400000_NS6detail17trampoline_kernelINS0_14default_configENS1_25transform_config_selectorIiLb0EEEZNS1_14transform_implILb0ES3_S5_N6thrust23THRUST_200600_302600_NS6detail15normal_iteratorINS8_10device_ptrIiEEEEPiNS0_8identityIiEEEE10hipError_tT2_T3_mT4_P12ihipStream_tbEUlT_E_NS1_11comp_targetILNS1_3genE5ELNS1_11target_archE942ELNS1_3gpuE9ELNS1_3repE0EEENS1_30default_config_static_selectorELNS0_4arch9wavefront6targetE1EEEvT1_,"axG",@progbits,_ZN7rocprim17ROCPRIM_400000_NS6detail17trampoline_kernelINS0_14default_configENS1_25transform_config_selectorIiLb0EEEZNS1_14transform_implILb0ES3_S5_N6thrust23THRUST_200600_302600_NS6detail15normal_iteratorINS8_10device_ptrIiEEEEPiNS0_8identityIiEEEE10hipError_tT2_T3_mT4_P12ihipStream_tbEUlT_E_NS1_11comp_targetILNS1_3genE5ELNS1_11target_archE942ELNS1_3gpuE9ELNS1_3repE0EEENS1_30default_config_static_selectorELNS0_4arch9wavefront6targetE1EEEvT1_,comdat
.Lfunc_end1738:
	.size	_ZN7rocprim17ROCPRIM_400000_NS6detail17trampoline_kernelINS0_14default_configENS1_25transform_config_selectorIiLb0EEEZNS1_14transform_implILb0ES3_S5_N6thrust23THRUST_200600_302600_NS6detail15normal_iteratorINS8_10device_ptrIiEEEEPiNS0_8identityIiEEEE10hipError_tT2_T3_mT4_P12ihipStream_tbEUlT_E_NS1_11comp_targetILNS1_3genE5ELNS1_11target_archE942ELNS1_3gpuE9ELNS1_3repE0EEENS1_30default_config_static_selectorELNS0_4arch9wavefront6targetE1EEEvT1_, .Lfunc_end1738-_ZN7rocprim17ROCPRIM_400000_NS6detail17trampoline_kernelINS0_14default_configENS1_25transform_config_selectorIiLb0EEEZNS1_14transform_implILb0ES3_S5_N6thrust23THRUST_200600_302600_NS6detail15normal_iteratorINS8_10device_ptrIiEEEEPiNS0_8identityIiEEEE10hipError_tT2_T3_mT4_P12ihipStream_tbEUlT_E_NS1_11comp_targetILNS1_3genE5ELNS1_11target_archE942ELNS1_3gpuE9ELNS1_3repE0EEENS1_30default_config_static_selectorELNS0_4arch9wavefront6targetE1EEEvT1_
                                        ; -- End function
	.section	.AMDGPU.csdata,"",@progbits
; Kernel info:
; codeLenInByte = 628
; NumSgprs: 22
; NumVgprs: 13
; NumAgprs: 0
; TotalNumVgprs: 13
; ScratchSize: 0
; MemoryBound: 0
; FloatMode: 240
; IeeeMode: 1
; LDSByteSize: 0 bytes/workgroup (compile time only)
; SGPRBlocks: 2
; VGPRBlocks: 1
; NumSGPRsForWavesPerEU: 22
; NumVGPRsForWavesPerEU: 13
; AccumOffset: 16
; Occupancy: 8
; WaveLimiterHint : 1
; COMPUTE_PGM_RSRC2:SCRATCH_EN: 0
; COMPUTE_PGM_RSRC2:USER_SGPR: 2
; COMPUTE_PGM_RSRC2:TRAP_HANDLER: 0
; COMPUTE_PGM_RSRC2:TGID_X_EN: 1
; COMPUTE_PGM_RSRC2:TGID_Y_EN: 0
; COMPUTE_PGM_RSRC2:TGID_Z_EN: 0
; COMPUTE_PGM_RSRC2:TIDIG_COMP_CNT: 0
; COMPUTE_PGM_RSRC3_GFX90A:ACCUM_OFFSET: 3
; COMPUTE_PGM_RSRC3_GFX90A:TG_SPLIT: 0
	.section	.text._ZN7rocprim17ROCPRIM_400000_NS6detail17trampoline_kernelINS0_14default_configENS1_25transform_config_selectorIiLb0EEEZNS1_14transform_implILb0ES3_S5_N6thrust23THRUST_200600_302600_NS6detail15normal_iteratorINS8_10device_ptrIiEEEEPiNS0_8identityIiEEEE10hipError_tT2_T3_mT4_P12ihipStream_tbEUlT_E_NS1_11comp_targetILNS1_3genE4ELNS1_11target_archE910ELNS1_3gpuE8ELNS1_3repE0EEENS1_30default_config_static_selectorELNS0_4arch9wavefront6targetE1EEEvT1_,"axG",@progbits,_ZN7rocprim17ROCPRIM_400000_NS6detail17trampoline_kernelINS0_14default_configENS1_25transform_config_selectorIiLb0EEEZNS1_14transform_implILb0ES3_S5_N6thrust23THRUST_200600_302600_NS6detail15normal_iteratorINS8_10device_ptrIiEEEEPiNS0_8identityIiEEEE10hipError_tT2_T3_mT4_P12ihipStream_tbEUlT_E_NS1_11comp_targetILNS1_3genE4ELNS1_11target_archE910ELNS1_3gpuE8ELNS1_3repE0EEENS1_30default_config_static_selectorELNS0_4arch9wavefront6targetE1EEEvT1_,comdat
	.protected	_ZN7rocprim17ROCPRIM_400000_NS6detail17trampoline_kernelINS0_14default_configENS1_25transform_config_selectorIiLb0EEEZNS1_14transform_implILb0ES3_S5_N6thrust23THRUST_200600_302600_NS6detail15normal_iteratorINS8_10device_ptrIiEEEEPiNS0_8identityIiEEEE10hipError_tT2_T3_mT4_P12ihipStream_tbEUlT_E_NS1_11comp_targetILNS1_3genE4ELNS1_11target_archE910ELNS1_3gpuE8ELNS1_3repE0EEENS1_30default_config_static_selectorELNS0_4arch9wavefront6targetE1EEEvT1_ ; -- Begin function _ZN7rocprim17ROCPRIM_400000_NS6detail17trampoline_kernelINS0_14default_configENS1_25transform_config_selectorIiLb0EEEZNS1_14transform_implILb0ES3_S5_N6thrust23THRUST_200600_302600_NS6detail15normal_iteratorINS8_10device_ptrIiEEEEPiNS0_8identityIiEEEE10hipError_tT2_T3_mT4_P12ihipStream_tbEUlT_E_NS1_11comp_targetILNS1_3genE4ELNS1_11target_archE910ELNS1_3gpuE8ELNS1_3repE0EEENS1_30default_config_static_selectorELNS0_4arch9wavefront6targetE1EEEvT1_
	.globl	_ZN7rocprim17ROCPRIM_400000_NS6detail17trampoline_kernelINS0_14default_configENS1_25transform_config_selectorIiLb0EEEZNS1_14transform_implILb0ES3_S5_N6thrust23THRUST_200600_302600_NS6detail15normal_iteratorINS8_10device_ptrIiEEEEPiNS0_8identityIiEEEE10hipError_tT2_T3_mT4_P12ihipStream_tbEUlT_E_NS1_11comp_targetILNS1_3genE4ELNS1_11target_archE910ELNS1_3gpuE8ELNS1_3repE0EEENS1_30default_config_static_selectorELNS0_4arch9wavefront6targetE1EEEvT1_
	.p2align	8
	.type	_ZN7rocprim17ROCPRIM_400000_NS6detail17trampoline_kernelINS0_14default_configENS1_25transform_config_selectorIiLb0EEEZNS1_14transform_implILb0ES3_S5_N6thrust23THRUST_200600_302600_NS6detail15normal_iteratorINS8_10device_ptrIiEEEEPiNS0_8identityIiEEEE10hipError_tT2_T3_mT4_P12ihipStream_tbEUlT_E_NS1_11comp_targetILNS1_3genE4ELNS1_11target_archE910ELNS1_3gpuE8ELNS1_3repE0EEENS1_30default_config_static_selectorELNS0_4arch9wavefront6targetE1EEEvT1_,@function
_ZN7rocprim17ROCPRIM_400000_NS6detail17trampoline_kernelINS0_14default_configENS1_25transform_config_selectorIiLb0EEEZNS1_14transform_implILb0ES3_S5_N6thrust23THRUST_200600_302600_NS6detail15normal_iteratorINS8_10device_ptrIiEEEEPiNS0_8identityIiEEEE10hipError_tT2_T3_mT4_P12ihipStream_tbEUlT_E_NS1_11comp_targetILNS1_3genE4ELNS1_11target_archE910ELNS1_3gpuE8ELNS1_3repE0EEENS1_30default_config_static_selectorELNS0_4arch9wavefront6targetE1EEEvT1_: ; @_ZN7rocprim17ROCPRIM_400000_NS6detail17trampoline_kernelINS0_14default_configENS1_25transform_config_selectorIiLb0EEEZNS1_14transform_implILb0ES3_S5_N6thrust23THRUST_200600_302600_NS6detail15normal_iteratorINS8_10device_ptrIiEEEEPiNS0_8identityIiEEEE10hipError_tT2_T3_mT4_P12ihipStream_tbEUlT_E_NS1_11comp_targetILNS1_3genE4ELNS1_11target_archE910ELNS1_3gpuE8ELNS1_3repE0EEENS1_30default_config_static_selectorELNS0_4arch9wavefront6targetE1EEEvT1_
; %bb.0:
	.section	.rodata,"a",@progbits
	.p2align	6, 0x0
	.amdhsa_kernel _ZN7rocprim17ROCPRIM_400000_NS6detail17trampoline_kernelINS0_14default_configENS1_25transform_config_selectorIiLb0EEEZNS1_14transform_implILb0ES3_S5_N6thrust23THRUST_200600_302600_NS6detail15normal_iteratorINS8_10device_ptrIiEEEEPiNS0_8identityIiEEEE10hipError_tT2_T3_mT4_P12ihipStream_tbEUlT_E_NS1_11comp_targetILNS1_3genE4ELNS1_11target_archE910ELNS1_3gpuE8ELNS1_3repE0EEENS1_30default_config_static_selectorELNS0_4arch9wavefront6targetE1EEEvT1_
		.amdhsa_group_segment_fixed_size 0
		.amdhsa_private_segment_fixed_size 0
		.amdhsa_kernarg_size 40
		.amdhsa_user_sgpr_count 2
		.amdhsa_user_sgpr_dispatch_ptr 0
		.amdhsa_user_sgpr_queue_ptr 0
		.amdhsa_user_sgpr_kernarg_segment_ptr 1
		.amdhsa_user_sgpr_dispatch_id 0
		.amdhsa_user_sgpr_kernarg_preload_length 0
		.amdhsa_user_sgpr_kernarg_preload_offset 0
		.amdhsa_user_sgpr_private_segment_size 0
		.amdhsa_uses_dynamic_stack 0
		.amdhsa_enable_private_segment 0
		.amdhsa_system_sgpr_workgroup_id_x 1
		.amdhsa_system_sgpr_workgroup_id_y 0
		.amdhsa_system_sgpr_workgroup_id_z 0
		.amdhsa_system_sgpr_workgroup_info 0
		.amdhsa_system_vgpr_workitem_id 0
		.amdhsa_next_free_vgpr 1
		.amdhsa_next_free_sgpr 0
		.amdhsa_accum_offset 4
		.amdhsa_reserve_vcc 0
		.amdhsa_float_round_mode_32 0
		.amdhsa_float_round_mode_16_64 0
		.amdhsa_float_denorm_mode_32 3
		.amdhsa_float_denorm_mode_16_64 3
		.amdhsa_dx10_clamp 1
		.amdhsa_ieee_mode 1
		.amdhsa_fp16_overflow 0
		.amdhsa_tg_split 0
		.amdhsa_exception_fp_ieee_invalid_op 0
		.amdhsa_exception_fp_denorm_src 0
		.amdhsa_exception_fp_ieee_div_zero 0
		.amdhsa_exception_fp_ieee_overflow 0
		.amdhsa_exception_fp_ieee_underflow 0
		.amdhsa_exception_fp_ieee_inexact 0
		.amdhsa_exception_int_div_zero 0
	.end_amdhsa_kernel
	.section	.text._ZN7rocprim17ROCPRIM_400000_NS6detail17trampoline_kernelINS0_14default_configENS1_25transform_config_selectorIiLb0EEEZNS1_14transform_implILb0ES3_S5_N6thrust23THRUST_200600_302600_NS6detail15normal_iteratorINS8_10device_ptrIiEEEEPiNS0_8identityIiEEEE10hipError_tT2_T3_mT4_P12ihipStream_tbEUlT_E_NS1_11comp_targetILNS1_3genE4ELNS1_11target_archE910ELNS1_3gpuE8ELNS1_3repE0EEENS1_30default_config_static_selectorELNS0_4arch9wavefront6targetE1EEEvT1_,"axG",@progbits,_ZN7rocprim17ROCPRIM_400000_NS6detail17trampoline_kernelINS0_14default_configENS1_25transform_config_selectorIiLb0EEEZNS1_14transform_implILb0ES3_S5_N6thrust23THRUST_200600_302600_NS6detail15normal_iteratorINS8_10device_ptrIiEEEEPiNS0_8identityIiEEEE10hipError_tT2_T3_mT4_P12ihipStream_tbEUlT_E_NS1_11comp_targetILNS1_3genE4ELNS1_11target_archE910ELNS1_3gpuE8ELNS1_3repE0EEENS1_30default_config_static_selectorELNS0_4arch9wavefront6targetE1EEEvT1_,comdat
.Lfunc_end1739:
	.size	_ZN7rocprim17ROCPRIM_400000_NS6detail17trampoline_kernelINS0_14default_configENS1_25transform_config_selectorIiLb0EEEZNS1_14transform_implILb0ES3_S5_N6thrust23THRUST_200600_302600_NS6detail15normal_iteratorINS8_10device_ptrIiEEEEPiNS0_8identityIiEEEE10hipError_tT2_T3_mT4_P12ihipStream_tbEUlT_E_NS1_11comp_targetILNS1_3genE4ELNS1_11target_archE910ELNS1_3gpuE8ELNS1_3repE0EEENS1_30default_config_static_selectorELNS0_4arch9wavefront6targetE1EEEvT1_, .Lfunc_end1739-_ZN7rocprim17ROCPRIM_400000_NS6detail17trampoline_kernelINS0_14default_configENS1_25transform_config_selectorIiLb0EEEZNS1_14transform_implILb0ES3_S5_N6thrust23THRUST_200600_302600_NS6detail15normal_iteratorINS8_10device_ptrIiEEEEPiNS0_8identityIiEEEE10hipError_tT2_T3_mT4_P12ihipStream_tbEUlT_E_NS1_11comp_targetILNS1_3genE4ELNS1_11target_archE910ELNS1_3gpuE8ELNS1_3repE0EEENS1_30default_config_static_selectorELNS0_4arch9wavefront6targetE1EEEvT1_
                                        ; -- End function
	.section	.AMDGPU.csdata,"",@progbits
; Kernel info:
; codeLenInByte = 0
; NumSgprs: 6
; NumVgprs: 0
; NumAgprs: 0
; TotalNumVgprs: 0
; ScratchSize: 0
; MemoryBound: 0
; FloatMode: 240
; IeeeMode: 1
; LDSByteSize: 0 bytes/workgroup (compile time only)
; SGPRBlocks: 0
; VGPRBlocks: 0
; NumSGPRsForWavesPerEU: 6
; NumVGPRsForWavesPerEU: 1
; AccumOffset: 4
; Occupancy: 8
; WaveLimiterHint : 0
; COMPUTE_PGM_RSRC2:SCRATCH_EN: 0
; COMPUTE_PGM_RSRC2:USER_SGPR: 2
; COMPUTE_PGM_RSRC2:TRAP_HANDLER: 0
; COMPUTE_PGM_RSRC2:TGID_X_EN: 1
; COMPUTE_PGM_RSRC2:TGID_Y_EN: 0
; COMPUTE_PGM_RSRC2:TGID_Z_EN: 0
; COMPUTE_PGM_RSRC2:TIDIG_COMP_CNT: 0
; COMPUTE_PGM_RSRC3_GFX90A:ACCUM_OFFSET: 0
; COMPUTE_PGM_RSRC3_GFX90A:TG_SPLIT: 0
	.section	.text._ZN7rocprim17ROCPRIM_400000_NS6detail17trampoline_kernelINS0_14default_configENS1_25transform_config_selectorIiLb0EEEZNS1_14transform_implILb0ES3_S5_N6thrust23THRUST_200600_302600_NS6detail15normal_iteratorINS8_10device_ptrIiEEEEPiNS0_8identityIiEEEE10hipError_tT2_T3_mT4_P12ihipStream_tbEUlT_E_NS1_11comp_targetILNS1_3genE3ELNS1_11target_archE908ELNS1_3gpuE7ELNS1_3repE0EEENS1_30default_config_static_selectorELNS0_4arch9wavefront6targetE1EEEvT1_,"axG",@progbits,_ZN7rocprim17ROCPRIM_400000_NS6detail17trampoline_kernelINS0_14default_configENS1_25transform_config_selectorIiLb0EEEZNS1_14transform_implILb0ES3_S5_N6thrust23THRUST_200600_302600_NS6detail15normal_iteratorINS8_10device_ptrIiEEEEPiNS0_8identityIiEEEE10hipError_tT2_T3_mT4_P12ihipStream_tbEUlT_E_NS1_11comp_targetILNS1_3genE3ELNS1_11target_archE908ELNS1_3gpuE7ELNS1_3repE0EEENS1_30default_config_static_selectorELNS0_4arch9wavefront6targetE1EEEvT1_,comdat
	.protected	_ZN7rocprim17ROCPRIM_400000_NS6detail17trampoline_kernelINS0_14default_configENS1_25transform_config_selectorIiLb0EEEZNS1_14transform_implILb0ES3_S5_N6thrust23THRUST_200600_302600_NS6detail15normal_iteratorINS8_10device_ptrIiEEEEPiNS0_8identityIiEEEE10hipError_tT2_T3_mT4_P12ihipStream_tbEUlT_E_NS1_11comp_targetILNS1_3genE3ELNS1_11target_archE908ELNS1_3gpuE7ELNS1_3repE0EEENS1_30default_config_static_selectorELNS0_4arch9wavefront6targetE1EEEvT1_ ; -- Begin function _ZN7rocprim17ROCPRIM_400000_NS6detail17trampoline_kernelINS0_14default_configENS1_25transform_config_selectorIiLb0EEEZNS1_14transform_implILb0ES3_S5_N6thrust23THRUST_200600_302600_NS6detail15normal_iteratorINS8_10device_ptrIiEEEEPiNS0_8identityIiEEEE10hipError_tT2_T3_mT4_P12ihipStream_tbEUlT_E_NS1_11comp_targetILNS1_3genE3ELNS1_11target_archE908ELNS1_3gpuE7ELNS1_3repE0EEENS1_30default_config_static_selectorELNS0_4arch9wavefront6targetE1EEEvT1_
	.globl	_ZN7rocprim17ROCPRIM_400000_NS6detail17trampoline_kernelINS0_14default_configENS1_25transform_config_selectorIiLb0EEEZNS1_14transform_implILb0ES3_S5_N6thrust23THRUST_200600_302600_NS6detail15normal_iteratorINS8_10device_ptrIiEEEEPiNS0_8identityIiEEEE10hipError_tT2_T3_mT4_P12ihipStream_tbEUlT_E_NS1_11comp_targetILNS1_3genE3ELNS1_11target_archE908ELNS1_3gpuE7ELNS1_3repE0EEENS1_30default_config_static_selectorELNS0_4arch9wavefront6targetE1EEEvT1_
	.p2align	8
	.type	_ZN7rocprim17ROCPRIM_400000_NS6detail17trampoline_kernelINS0_14default_configENS1_25transform_config_selectorIiLb0EEEZNS1_14transform_implILb0ES3_S5_N6thrust23THRUST_200600_302600_NS6detail15normal_iteratorINS8_10device_ptrIiEEEEPiNS0_8identityIiEEEE10hipError_tT2_T3_mT4_P12ihipStream_tbEUlT_E_NS1_11comp_targetILNS1_3genE3ELNS1_11target_archE908ELNS1_3gpuE7ELNS1_3repE0EEENS1_30default_config_static_selectorELNS0_4arch9wavefront6targetE1EEEvT1_,@function
_ZN7rocprim17ROCPRIM_400000_NS6detail17trampoline_kernelINS0_14default_configENS1_25transform_config_selectorIiLb0EEEZNS1_14transform_implILb0ES3_S5_N6thrust23THRUST_200600_302600_NS6detail15normal_iteratorINS8_10device_ptrIiEEEEPiNS0_8identityIiEEEE10hipError_tT2_T3_mT4_P12ihipStream_tbEUlT_E_NS1_11comp_targetILNS1_3genE3ELNS1_11target_archE908ELNS1_3gpuE7ELNS1_3repE0EEENS1_30default_config_static_selectorELNS0_4arch9wavefront6targetE1EEEvT1_: ; @_ZN7rocprim17ROCPRIM_400000_NS6detail17trampoline_kernelINS0_14default_configENS1_25transform_config_selectorIiLb0EEEZNS1_14transform_implILb0ES3_S5_N6thrust23THRUST_200600_302600_NS6detail15normal_iteratorINS8_10device_ptrIiEEEEPiNS0_8identityIiEEEE10hipError_tT2_T3_mT4_P12ihipStream_tbEUlT_E_NS1_11comp_targetILNS1_3genE3ELNS1_11target_archE908ELNS1_3gpuE7ELNS1_3repE0EEENS1_30default_config_static_selectorELNS0_4arch9wavefront6targetE1EEEvT1_
; %bb.0:
	.section	.rodata,"a",@progbits
	.p2align	6, 0x0
	.amdhsa_kernel _ZN7rocprim17ROCPRIM_400000_NS6detail17trampoline_kernelINS0_14default_configENS1_25transform_config_selectorIiLb0EEEZNS1_14transform_implILb0ES3_S5_N6thrust23THRUST_200600_302600_NS6detail15normal_iteratorINS8_10device_ptrIiEEEEPiNS0_8identityIiEEEE10hipError_tT2_T3_mT4_P12ihipStream_tbEUlT_E_NS1_11comp_targetILNS1_3genE3ELNS1_11target_archE908ELNS1_3gpuE7ELNS1_3repE0EEENS1_30default_config_static_selectorELNS0_4arch9wavefront6targetE1EEEvT1_
		.amdhsa_group_segment_fixed_size 0
		.amdhsa_private_segment_fixed_size 0
		.amdhsa_kernarg_size 40
		.amdhsa_user_sgpr_count 2
		.amdhsa_user_sgpr_dispatch_ptr 0
		.amdhsa_user_sgpr_queue_ptr 0
		.amdhsa_user_sgpr_kernarg_segment_ptr 1
		.amdhsa_user_sgpr_dispatch_id 0
		.amdhsa_user_sgpr_kernarg_preload_length 0
		.amdhsa_user_sgpr_kernarg_preload_offset 0
		.amdhsa_user_sgpr_private_segment_size 0
		.amdhsa_uses_dynamic_stack 0
		.amdhsa_enable_private_segment 0
		.amdhsa_system_sgpr_workgroup_id_x 1
		.amdhsa_system_sgpr_workgroup_id_y 0
		.amdhsa_system_sgpr_workgroup_id_z 0
		.amdhsa_system_sgpr_workgroup_info 0
		.amdhsa_system_vgpr_workitem_id 0
		.amdhsa_next_free_vgpr 1
		.amdhsa_next_free_sgpr 0
		.amdhsa_accum_offset 4
		.amdhsa_reserve_vcc 0
		.amdhsa_float_round_mode_32 0
		.amdhsa_float_round_mode_16_64 0
		.amdhsa_float_denorm_mode_32 3
		.amdhsa_float_denorm_mode_16_64 3
		.amdhsa_dx10_clamp 1
		.amdhsa_ieee_mode 1
		.amdhsa_fp16_overflow 0
		.amdhsa_tg_split 0
		.amdhsa_exception_fp_ieee_invalid_op 0
		.amdhsa_exception_fp_denorm_src 0
		.amdhsa_exception_fp_ieee_div_zero 0
		.amdhsa_exception_fp_ieee_overflow 0
		.amdhsa_exception_fp_ieee_underflow 0
		.amdhsa_exception_fp_ieee_inexact 0
		.amdhsa_exception_int_div_zero 0
	.end_amdhsa_kernel
	.section	.text._ZN7rocprim17ROCPRIM_400000_NS6detail17trampoline_kernelINS0_14default_configENS1_25transform_config_selectorIiLb0EEEZNS1_14transform_implILb0ES3_S5_N6thrust23THRUST_200600_302600_NS6detail15normal_iteratorINS8_10device_ptrIiEEEEPiNS0_8identityIiEEEE10hipError_tT2_T3_mT4_P12ihipStream_tbEUlT_E_NS1_11comp_targetILNS1_3genE3ELNS1_11target_archE908ELNS1_3gpuE7ELNS1_3repE0EEENS1_30default_config_static_selectorELNS0_4arch9wavefront6targetE1EEEvT1_,"axG",@progbits,_ZN7rocprim17ROCPRIM_400000_NS6detail17trampoline_kernelINS0_14default_configENS1_25transform_config_selectorIiLb0EEEZNS1_14transform_implILb0ES3_S5_N6thrust23THRUST_200600_302600_NS6detail15normal_iteratorINS8_10device_ptrIiEEEEPiNS0_8identityIiEEEE10hipError_tT2_T3_mT4_P12ihipStream_tbEUlT_E_NS1_11comp_targetILNS1_3genE3ELNS1_11target_archE908ELNS1_3gpuE7ELNS1_3repE0EEENS1_30default_config_static_selectorELNS0_4arch9wavefront6targetE1EEEvT1_,comdat
.Lfunc_end1740:
	.size	_ZN7rocprim17ROCPRIM_400000_NS6detail17trampoline_kernelINS0_14default_configENS1_25transform_config_selectorIiLb0EEEZNS1_14transform_implILb0ES3_S5_N6thrust23THRUST_200600_302600_NS6detail15normal_iteratorINS8_10device_ptrIiEEEEPiNS0_8identityIiEEEE10hipError_tT2_T3_mT4_P12ihipStream_tbEUlT_E_NS1_11comp_targetILNS1_3genE3ELNS1_11target_archE908ELNS1_3gpuE7ELNS1_3repE0EEENS1_30default_config_static_selectorELNS0_4arch9wavefront6targetE1EEEvT1_, .Lfunc_end1740-_ZN7rocprim17ROCPRIM_400000_NS6detail17trampoline_kernelINS0_14default_configENS1_25transform_config_selectorIiLb0EEEZNS1_14transform_implILb0ES3_S5_N6thrust23THRUST_200600_302600_NS6detail15normal_iteratorINS8_10device_ptrIiEEEEPiNS0_8identityIiEEEE10hipError_tT2_T3_mT4_P12ihipStream_tbEUlT_E_NS1_11comp_targetILNS1_3genE3ELNS1_11target_archE908ELNS1_3gpuE7ELNS1_3repE0EEENS1_30default_config_static_selectorELNS0_4arch9wavefront6targetE1EEEvT1_
                                        ; -- End function
	.section	.AMDGPU.csdata,"",@progbits
; Kernel info:
; codeLenInByte = 0
; NumSgprs: 6
; NumVgprs: 0
; NumAgprs: 0
; TotalNumVgprs: 0
; ScratchSize: 0
; MemoryBound: 0
; FloatMode: 240
; IeeeMode: 1
; LDSByteSize: 0 bytes/workgroup (compile time only)
; SGPRBlocks: 0
; VGPRBlocks: 0
; NumSGPRsForWavesPerEU: 6
; NumVGPRsForWavesPerEU: 1
; AccumOffset: 4
; Occupancy: 8
; WaveLimiterHint : 0
; COMPUTE_PGM_RSRC2:SCRATCH_EN: 0
; COMPUTE_PGM_RSRC2:USER_SGPR: 2
; COMPUTE_PGM_RSRC2:TRAP_HANDLER: 0
; COMPUTE_PGM_RSRC2:TGID_X_EN: 1
; COMPUTE_PGM_RSRC2:TGID_Y_EN: 0
; COMPUTE_PGM_RSRC2:TGID_Z_EN: 0
; COMPUTE_PGM_RSRC2:TIDIG_COMP_CNT: 0
; COMPUTE_PGM_RSRC3_GFX90A:ACCUM_OFFSET: 0
; COMPUTE_PGM_RSRC3_GFX90A:TG_SPLIT: 0
	.section	.text._ZN7rocprim17ROCPRIM_400000_NS6detail17trampoline_kernelINS0_14default_configENS1_25transform_config_selectorIiLb0EEEZNS1_14transform_implILb0ES3_S5_N6thrust23THRUST_200600_302600_NS6detail15normal_iteratorINS8_10device_ptrIiEEEEPiNS0_8identityIiEEEE10hipError_tT2_T3_mT4_P12ihipStream_tbEUlT_E_NS1_11comp_targetILNS1_3genE2ELNS1_11target_archE906ELNS1_3gpuE6ELNS1_3repE0EEENS1_30default_config_static_selectorELNS0_4arch9wavefront6targetE1EEEvT1_,"axG",@progbits,_ZN7rocprim17ROCPRIM_400000_NS6detail17trampoline_kernelINS0_14default_configENS1_25transform_config_selectorIiLb0EEEZNS1_14transform_implILb0ES3_S5_N6thrust23THRUST_200600_302600_NS6detail15normal_iteratorINS8_10device_ptrIiEEEEPiNS0_8identityIiEEEE10hipError_tT2_T3_mT4_P12ihipStream_tbEUlT_E_NS1_11comp_targetILNS1_3genE2ELNS1_11target_archE906ELNS1_3gpuE6ELNS1_3repE0EEENS1_30default_config_static_selectorELNS0_4arch9wavefront6targetE1EEEvT1_,comdat
	.protected	_ZN7rocprim17ROCPRIM_400000_NS6detail17trampoline_kernelINS0_14default_configENS1_25transform_config_selectorIiLb0EEEZNS1_14transform_implILb0ES3_S5_N6thrust23THRUST_200600_302600_NS6detail15normal_iteratorINS8_10device_ptrIiEEEEPiNS0_8identityIiEEEE10hipError_tT2_T3_mT4_P12ihipStream_tbEUlT_E_NS1_11comp_targetILNS1_3genE2ELNS1_11target_archE906ELNS1_3gpuE6ELNS1_3repE0EEENS1_30default_config_static_selectorELNS0_4arch9wavefront6targetE1EEEvT1_ ; -- Begin function _ZN7rocprim17ROCPRIM_400000_NS6detail17trampoline_kernelINS0_14default_configENS1_25transform_config_selectorIiLb0EEEZNS1_14transform_implILb0ES3_S5_N6thrust23THRUST_200600_302600_NS6detail15normal_iteratorINS8_10device_ptrIiEEEEPiNS0_8identityIiEEEE10hipError_tT2_T3_mT4_P12ihipStream_tbEUlT_E_NS1_11comp_targetILNS1_3genE2ELNS1_11target_archE906ELNS1_3gpuE6ELNS1_3repE0EEENS1_30default_config_static_selectorELNS0_4arch9wavefront6targetE1EEEvT1_
	.globl	_ZN7rocprim17ROCPRIM_400000_NS6detail17trampoline_kernelINS0_14default_configENS1_25transform_config_selectorIiLb0EEEZNS1_14transform_implILb0ES3_S5_N6thrust23THRUST_200600_302600_NS6detail15normal_iteratorINS8_10device_ptrIiEEEEPiNS0_8identityIiEEEE10hipError_tT2_T3_mT4_P12ihipStream_tbEUlT_E_NS1_11comp_targetILNS1_3genE2ELNS1_11target_archE906ELNS1_3gpuE6ELNS1_3repE0EEENS1_30default_config_static_selectorELNS0_4arch9wavefront6targetE1EEEvT1_
	.p2align	8
	.type	_ZN7rocprim17ROCPRIM_400000_NS6detail17trampoline_kernelINS0_14default_configENS1_25transform_config_selectorIiLb0EEEZNS1_14transform_implILb0ES3_S5_N6thrust23THRUST_200600_302600_NS6detail15normal_iteratorINS8_10device_ptrIiEEEEPiNS0_8identityIiEEEE10hipError_tT2_T3_mT4_P12ihipStream_tbEUlT_E_NS1_11comp_targetILNS1_3genE2ELNS1_11target_archE906ELNS1_3gpuE6ELNS1_3repE0EEENS1_30default_config_static_selectorELNS0_4arch9wavefront6targetE1EEEvT1_,@function
_ZN7rocprim17ROCPRIM_400000_NS6detail17trampoline_kernelINS0_14default_configENS1_25transform_config_selectorIiLb0EEEZNS1_14transform_implILb0ES3_S5_N6thrust23THRUST_200600_302600_NS6detail15normal_iteratorINS8_10device_ptrIiEEEEPiNS0_8identityIiEEEE10hipError_tT2_T3_mT4_P12ihipStream_tbEUlT_E_NS1_11comp_targetILNS1_3genE2ELNS1_11target_archE906ELNS1_3gpuE6ELNS1_3repE0EEENS1_30default_config_static_selectorELNS0_4arch9wavefront6targetE1EEEvT1_: ; @_ZN7rocprim17ROCPRIM_400000_NS6detail17trampoline_kernelINS0_14default_configENS1_25transform_config_selectorIiLb0EEEZNS1_14transform_implILb0ES3_S5_N6thrust23THRUST_200600_302600_NS6detail15normal_iteratorINS8_10device_ptrIiEEEEPiNS0_8identityIiEEEE10hipError_tT2_T3_mT4_P12ihipStream_tbEUlT_E_NS1_11comp_targetILNS1_3genE2ELNS1_11target_archE906ELNS1_3gpuE6ELNS1_3repE0EEENS1_30default_config_static_selectorELNS0_4arch9wavefront6targetE1EEEvT1_
; %bb.0:
	.section	.rodata,"a",@progbits
	.p2align	6, 0x0
	.amdhsa_kernel _ZN7rocprim17ROCPRIM_400000_NS6detail17trampoline_kernelINS0_14default_configENS1_25transform_config_selectorIiLb0EEEZNS1_14transform_implILb0ES3_S5_N6thrust23THRUST_200600_302600_NS6detail15normal_iteratorINS8_10device_ptrIiEEEEPiNS0_8identityIiEEEE10hipError_tT2_T3_mT4_P12ihipStream_tbEUlT_E_NS1_11comp_targetILNS1_3genE2ELNS1_11target_archE906ELNS1_3gpuE6ELNS1_3repE0EEENS1_30default_config_static_selectorELNS0_4arch9wavefront6targetE1EEEvT1_
		.amdhsa_group_segment_fixed_size 0
		.amdhsa_private_segment_fixed_size 0
		.amdhsa_kernarg_size 40
		.amdhsa_user_sgpr_count 2
		.amdhsa_user_sgpr_dispatch_ptr 0
		.amdhsa_user_sgpr_queue_ptr 0
		.amdhsa_user_sgpr_kernarg_segment_ptr 1
		.amdhsa_user_sgpr_dispatch_id 0
		.amdhsa_user_sgpr_kernarg_preload_length 0
		.amdhsa_user_sgpr_kernarg_preload_offset 0
		.amdhsa_user_sgpr_private_segment_size 0
		.amdhsa_uses_dynamic_stack 0
		.amdhsa_enable_private_segment 0
		.amdhsa_system_sgpr_workgroup_id_x 1
		.amdhsa_system_sgpr_workgroup_id_y 0
		.amdhsa_system_sgpr_workgroup_id_z 0
		.amdhsa_system_sgpr_workgroup_info 0
		.amdhsa_system_vgpr_workitem_id 0
		.amdhsa_next_free_vgpr 1
		.amdhsa_next_free_sgpr 0
		.amdhsa_accum_offset 4
		.amdhsa_reserve_vcc 0
		.amdhsa_float_round_mode_32 0
		.amdhsa_float_round_mode_16_64 0
		.amdhsa_float_denorm_mode_32 3
		.amdhsa_float_denorm_mode_16_64 3
		.amdhsa_dx10_clamp 1
		.amdhsa_ieee_mode 1
		.amdhsa_fp16_overflow 0
		.amdhsa_tg_split 0
		.amdhsa_exception_fp_ieee_invalid_op 0
		.amdhsa_exception_fp_denorm_src 0
		.amdhsa_exception_fp_ieee_div_zero 0
		.amdhsa_exception_fp_ieee_overflow 0
		.amdhsa_exception_fp_ieee_underflow 0
		.amdhsa_exception_fp_ieee_inexact 0
		.amdhsa_exception_int_div_zero 0
	.end_amdhsa_kernel
	.section	.text._ZN7rocprim17ROCPRIM_400000_NS6detail17trampoline_kernelINS0_14default_configENS1_25transform_config_selectorIiLb0EEEZNS1_14transform_implILb0ES3_S5_N6thrust23THRUST_200600_302600_NS6detail15normal_iteratorINS8_10device_ptrIiEEEEPiNS0_8identityIiEEEE10hipError_tT2_T3_mT4_P12ihipStream_tbEUlT_E_NS1_11comp_targetILNS1_3genE2ELNS1_11target_archE906ELNS1_3gpuE6ELNS1_3repE0EEENS1_30default_config_static_selectorELNS0_4arch9wavefront6targetE1EEEvT1_,"axG",@progbits,_ZN7rocprim17ROCPRIM_400000_NS6detail17trampoline_kernelINS0_14default_configENS1_25transform_config_selectorIiLb0EEEZNS1_14transform_implILb0ES3_S5_N6thrust23THRUST_200600_302600_NS6detail15normal_iteratorINS8_10device_ptrIiEEEEPiNS0_8identityIiEEEE10hipError_tT2_T3_mT4_P12ihipStream_tbEUlT_E_NS1_11comp_targetILNS1_3genE2ELNS1_11target_archE906ELNS1_3gpuE6ELNS1_3repE0EEENS1_30default_config_static_selectorELNS0_4arch9wavefront6targetE1EEEvT1_,comdat
.Lfunc_end1741:
	.size	_ZN7rocprim17ROCPRIM_400000_NS6detail17trampoline_kernelINS0_14default_configENS1_25transform_config_selectorIiLb0EEEZNS1_14transform_implILb0ES3_S5_N6thrust23THRUST_200600_302600_NS6detail15normal_iteratorINS8_10device_ptrIiEEEEPiNS0_8identityIiEEEE10hipError_tT2_T3_mT4_P12ihipStream_tbEUlT_E_NS1_11comp_targetILNS1_3genE2ELNS1_11target_archE906ELNS1_3gpuE6ELNS1_3repE0EEENS1_30default_config_static_selectorELNS0_4arch9wavefront6targetE1EEEvT1_, .Lfunc_end1741-_ZN7rocprim17ROCPRIM_400000_NS6detail17trampoline_kernelINS0_14default_configENS1_25transform_config_selectorIiLb0EEEZNS1_14transform_implILb0ES3_S5_N6thrust23THRUST_200600_302600_NS6detail15normal_iteratorINS8_10device_ptrIiEEEEPiNS0_8identityIiEEEE10hipError_tT2_T3_mT4_P12ihipStream_tbEUlT_E_NS1_11comp_targetILNS1_3genE2ELNS1_11target_archE906ELNS1_3gpuE6ELNS1_3repE0EEENS1_30default_config_static_selectorELNS0_4arch9wavefront6targetE1EEEvT1_
                                        ; -- End function
	.section	.AMDGPU.csdata,"",@progbits
; Kernel info:
; codeLenInByte = 0
; NumSgprs: 6
; NumVgprs: 0
; NumAgprs: 0
; TotalNumVgprs: 0
; ScratchSize: 0
; MemoryBound: 0
; FloatMode: 240
; IeeeMode: 1
; LDSByteSize: 0 bytes/workgroup (compile time only)
; SGPRBlocks: 0
; VGPRBlocks: 0
; NumSGPRsForWavesPerEU: 6
; NumVGPRsForWavesPerEU: 1
; AccumOffset: 4
; Occupancy: 8
; WaveLimiterHint : 0
; COMPUTE_PGM_RSRC2:SCRATCH_EN: 0
; COMPUTE_PGM_RSRC2:USER_SGPR: 2
; COMPUTE_PGM_RSRC2:TRAP_HANDLER: 0
; COMPUTE_PGM_RSRC2:TGID_X_EN: 1
; COMPUTE_PGM_RSRC2:TGID_Y_EN: 0
; COMPUTE_PGM_RSRC2:TGID_Z_EN: 0
; COMPUTE_PGM_RSRC2:TIDIG_COMP_CNT: 0
; COMPUTE_PGM_RSRC3_GFX90A:ACCUM_OFFSET: 0
; COMPUTE_PGM_RSRC3_GFX90A:TG_SPLIT: 0
	.section	.text._ZN7rocprim17ROCPRIM_400000_NS6detail17trampoline_kernelINS0_14default_configENS1_25transform_config_selectorIiLb0EEEZNS1_14transform_implILb0ES3_S5_N6thrust23THRUST_200600_302600_NS6detail15normal_iteratorINS8_10device_ptrIiEEEEPiNS0_8identityIiEEEE10hipError_tT2_T3_mT4_P12ihipStream_tbEUlT_E_NS1_11comp_targetILNS1_3genE10ELNS1_11target_archE1201ELNS1_3gpuE5ELNS1_3repE0EEENS1_30default_config_static_selectorELNS0_4arch9wavefront6targetE1EEEvT1_,"axG",@progbits,_ZN7rocprim17ROCPRIM_400000_NS6detail17trampoline_kernelINS0_14default_configENS1_25transform_config_selectorIiLb0EEEZNS1_14transform_implILb0ES3_S5_N6thrust23THRUST_200600_302600_NS6detail15normal_iteratorINS8_10device_ptrIiEEEEPiNS0_8identityIiEEEE10hipError_tT2_T3_mT4_P12ihipStream_tbEUlT_E_NS1_11comp_targetILNS1_3genE10ELNS1_11target_archE1201ELNS1_3gpuE5ELNS1_3repE0EEENS1_30default_config_static_selectorELNS0_4arch9wavefront6targetE1EEEvT1_,comdat
	.protected	_ZN7rocprim17ROCPRIM_400000_NS6detail17trampoline_kernelINS0_14default_configENS1_25transform_config_selectorIiLb0EEEZNS1_14transform_implILb0ES3_S5_N6thrust23THRUST_200600_302600_NS6detail15normal_iteratorINS8_10device_ptrIiEEEEPiNS0_8identityIiEEEE10hipError_tT2_T3_mT4_P12ihipStream_tbEUlT_E_NS1_11comp_targetILNS1_3genE10ELNS1_11target_archE1201ELNS1_3gpuE5ELNS1_3repE0EEENS1_30default_config_static_selectorELNS0_4arch9wavefront6targetE1EEEvT1_ ; -- Begin function _ZN7rocprim17ROCPRIM_400000_NS6detail17trampoline_kernelINS0_14default_configENS1_25transform_config_selectorIiLb0EEEZNS1_14transform_implILb0ES3_S5_N6thrust23THRUST_200600_302600_NS6detail15normal_iteratorINS8_10device_ptrIiEEEEPiNS0_8identityIiEEEE10hipError_tT2_T3_mT4_P12ihipStream_tbEUlT_E_NS1_11comp_targetILNS1_3genE10ELNS1_11target_archE1201ELNS1_3gpuE5ELNS1_3repE0EEENS1_30default_config_static_selectorELNS0_4arch9wavefront6targetE1EEEvT1_
	.globl	_ZN7rocprim17ROCPRIM_400000_NS6detail17trampoline_kernelINS0_14default_configENS1_25transform_config_selectorIiLb0EEEZNS1_14transform_implILb0ES3_S5_N6thrust23THRUST_200600_302600_NS6detail15normal_iteratorINS8_10device_ptrIiEEEEPiNS0_8identityIiEEEE10hipError_tT2_T3_mT4_P12ihipStream_tbEUlT_E_NS1_11comp_targetILNS1_3genE10ELNS1_11target_archE1201ELNS1_3gpuE5ELNS1_3repE0EEENS1_30default_config_static_selectorELNS0_4arch9wavefront6targetE1EEEvT1_
	.p2align	8
	.type	_ZN7rocprim17ROCPRIM_400000_NS6detail17trampoline_kernelINS0_14default_configENS1_25transform_config_selectorIiLb0EEEZNS1_14transform_implILb0ES3_S5_N6thrust23THRUST_200600_302600_NS6detail15normal_iteratorINS8_10device_ptrIiEEEEPiNS0_8identityIiEEEE10hipError_tT2_T3_mT4_P12ihipStream_tbEUlT_E_NS1_11comp_targetILNS1_3genE10ELNS1_11target_archE1201ELNS1_3gpuE5ELNS1_3repE0EEENS1_30default_config_static_selectorELNS0_4arch9wavefront6targetE1EEEvT1_,@function
_ZN7rocprim17ROCPRIM_400000_NS6detail17trampoline_kernelINS0_14default_configENS1_25transform_config_selectorIiLb0EEEZNS1_14transform_implILb0ES3_S5_N6thrust23THRUST_200600_302600_NS6detail15normal_iteratorINS8_10device_ptrIiEEEEPiNS0_8identityIiEEEE10hipError_tT2_T3_mT4_P12ihipStream_tbEUlT_E_NS1_11comp_targetILNS1_3genE10ELNS1_11target_archE1201ELNS1_3gpuE5ELNS1_3repE0EEENS1_30default_config_static_selectorELNS0_4arch9wavefront6targetE1EEEvT1_: ; @_ZN7rocprim17ROCPRIM_400000_NS6detail17trampoline_kernelINS0_14default_configENS1_25transform_config_selectorIiLb0EEEZNS1_14transform_implILb0ES3_S5_N6thrust23THRUST_200600_302600_NS6detail15normal_iteratorINS8_10device_ptrIiEEEEPiNS0_8identityIiEEEE10hipError_tT2_T3_mT4_P12ihipStream_tbEUlT_E_NS1_11comp_targetILNS1_3genE10ELNS1_11target_archE1201ELNS1_3gpuE5ELNS1_3repE0EEENS1_30default_config_static_selectorELNS0_4arch9wavefront6targetE1EEEvT1_
; %bb.0:
	.section	.rodata,"a",@progbits
	.p2align	6, 0x0
	.amdhsa_kernel _ZN7rocprim17ROCPRIM_400000_NS6detail17trampoline_kernelINS0_14default_configENS1_25transform_config_selectorIiLb0EEEZNS1_14transform_implILb0ES3_S5_N6thrust23THRUST_200600_302600_NS6detail15normal_iteratorINS8_10device_ptrIiEEEEPiNS0_8identityIiEEEE10hipError_tT2_T3_mT4_P12ihipStream_tbEUlT_E_NS1_11comp_targetILNS1_3genE10ELNS1_11target_archE1201ELNS1_3gpuE5ELNS1_3repE0EEENS1_30default_config_static_selectorELNS0_4arch9wavefront6targetE1EEEvT1_
		.amdhsa_group_segment_fixed_size 0
		.amdhsa_private_segment_fixed_size 0
		.amdhsa_kernarg_size 40
		.amdhsa_user_sgpr_count 2
		.amdhsa_user_sgpr_dispatch_ptr 0
		.amdhsa_user_sgpr_queue_ptr 0
		.amdhsa_user_sgpr_kernarg_segment_ptr 1
		.amdhsa_user_sgpr_dispatch_id 0
		.amdhsa_user_sgpr_kernarg_preload_length 0
		.amdhsa_user_sgpr_kernarg_preload_offset 0
		.amdhsa_user_sgpr_private_segment_size 0
		.amdhsa_uses_dynamic_stack 0
		.amdhsa_enable_private_segment 0
		.amdhsa_system_sgpr_workgroup_id_x 1
		.amdhsa_system_sgpr_workgroup_id_y 0
		.amdhsa_system_sgpr_workgroup_id_z 0
		.amdhsa_system_sgpr_workgroup_info 0
		.amdhsa_system_vgpr_workitem_id 0
		.amdhsa_next_free_vgpr 1
		.amdhsa_next_free_sgpr 0
		.amdhsa_accum_offset 4
		.amdhsa_reserve_vcc 0
		.amdhsa_float_round_mode_32 0
		.amdhsa_float_round_mode_16_64 0
		.amdhsa_float_denorm_mode_32 3
		.amdhsa_float_denorm_mode_16_64 3
		.amdhsa_dx10_clamp 1
		.amdhsa_ieee_mode 1
		.amdhsa_fp16_overflow 0
		.amdhsa_tg_split 0
		.amdhsa_exception_fp_ieee_invalid_op 0
		.amdhsa_exception_fp_denorm_src 0
		.amdhsa_exception_fp_ieee_div_zero 0
		.amdhsa_exception_fp_ieee_overflow 0
		.amdhsa_exception_fp_ieee_underflow 0
		.amdhsa_exception_fp_ieee_inexact 0
		.amdhsa_exception_int_div_zero 0
	.end_amdhsa_kernel
	.section	.text._ZN7rocprim17ROCPRIM_400000_NS6detail17trampoline_kernelINS0_14default_configENS1_25transform_config_selectorIiLb0EEEZNS1_14transform_implILb0ES3_S5_N6thrust23THRUST_200600_302600_NS6detail15normal_iteratorINS8_10device_ptrIiEEEEPiNS0_8identityIiEEEE10hipError_tT2_T3_mT4_P12ihipStream_tbEUlT_E_NS1_11comp_targetILNS1_3genE10ELNS1_11target_archE1201ELNS1_3gpuE5ELNS1_3repE0EEENS1_30default_config_static_selectorELNS0_4arch9wavefront6targetE1EEEvT1_,"axG",@progbits,_ZN7rocprim17ROCPRIM_400000_NS6detail17trampoline_kernelINS0_14default_configENS1_25transform_config_selectorIiLb0EEEZNS1_14transform_implILb0ES3_S5_N6thrust23THRUST_200600_302600_NS6detail15normal_iteratorINS8_10device_ptrIiEEEEPiNS0_8identityIiEEEE10hipError_tT2_T3_mT4_P12ihipStream_tbEUlT_E_NS1_11comp_targetILNS1_3genE10ELNS1_11target_archE1201ELNS1_3gpuE5ELNS1_3repE0EEENS1_30default_config_static_selectorELNS0_4arch9wavefront6targetE1EEEvT1_,comdat
.Lfunc_end1742:
	.size	_ZN7rocprim17ROCPRIM_400000_NS6detail17trampoline_kernelINS0_14default_configENS1_25transform_config_selectorIiLb0EEEZNS1_14transform_implILb0ES3_S5_N6thrust23THRUST_200600_302600_NS6detail15normal_iteratorINS8_10device_ptrIiEEEEPiNS0_8identityIiEEEE10hipError_tT2_T3_mT4_P12ihipStream_tbEUlT_E_NS1_11comp_targetILNS1_3genE10ELNS1_11target_archE1201ELNS1_3gpuE5ELNS1_3repE0EEENS1_30default_config_static_selectorELNS0_4arch9wavefront6targetE1EEEvT1_, .Lfunc_end1742-_ZN7rocprim17ROCPRIM_400000_NS6detail17trampoline_kernelINS0_14default_configENS1_25transform_config_selectorIiLb0EEEZNS1_14transform_implILb0ES3_S5_N6thrust23THRUST_200600_302600_NS6detail15normal_iteratorINS8_10device_ptrIiEEEEPiNS0_8identityIiEEEE10hipError_tT2_T3_mT4_P12ihipStream_tbEUlT_E_NS1_11comp_targetILNS1_3genE10ELNS1_11target_archE1201ELNS1_3gpuE5ELNS1_3repE0EEENS1_30default_config_static_selectorELNS0_4arch9wavefront6targetE1EEEvT1_
                                        ; -- End function
	.section	.AMDGPU.csdata,"",@progbits
; Kernel info:
; codeLenInByte = 0
; NumSgprs: 6
; NumVgprs: 0
; NumAgprs: 0
; TotalNumVgprs: 0
; ScratchSize: 0
; MemoryBound: 0
; FloatMode: 240
; IeeeMode: 1
; LDSByteSize: 0 bytes/workgroup (compile time only)
; SGPRBlocks: 0
; VGPRBlocks: 0
; NumSGPRsForWavesPerEU: 6
; NumVGPRsForWavesPerEU: 1
; AccumOffset: 4
; Occupancy: 8
; WaveLimiterHint : 0
; COMPUTE_PGM_RSRC2:SCRATCH_EN: 0
; COMPUTE_PGM_RSRC2:USER_SGPR: 2
; COMPUTE_PGM_RSRC2:TRAP_HANDLER: 0
; COMPUTE_PGM_RSRC2:TGID_X_EN: 1
; COMPUTE_PGM_RSRC2:TGID_Y_EN: 0
; COMPUTE_PGM_RSRC2:TGID_Z_EN: 0
; COMPUTE_PGM_RSRC2:TIDIG_COMP_CNT: 0
; COMPUTE_PGM_RSRC3_GFX90A:ACCUM_OFFSET: 0
; COMPUTE_PGM_RSRC3_GFX90A:TG_SPLIT: 0
	.section	.text._ZN7rocprim17ROCPRIM_400000_NS6detail17trampoline_kernelINS0_14default_configENS1_25transform_config_selectorIiLb0EEEZNS1_14transform_implILb0ES3_S5_N6thrust23THRUST_200600_302600_NS6detail15normal_iteratorINS8_10device_ptrIiEEEEPiNS0_8identityIiEEEE10hipError_tT2_T3_mT4_P12ihipStream_tbEUlT_E_NS1_11comp_targetILNS1_3genE10ELNS1_11target_archE1200ELNS1_3gpuE4ELNS1_3repE0EEENS1_30default_config_static_selectorELNS0_4arch9wavefront6targetE1EEEvT1_,"axG",@progbits,_ZN7rocprim17ROCPRIM_400000_NS6detail17trampoline_kernelINS0_14default_configENS1_25transform_config_selectorIiLb0EEEZNS1_14transform_implILb0ES3_S5_N6thrust23THRUST_200600_302600_NS6detail15normal_iteratorINS8_10device_ptrIiEEEEPiNS0_8identityIiEEEE10hipError_tT2_T3_mT4_P12ihipStream_tbEUlT_E_NS1_11comp_targetILNS1_3genE10ELNS1_11target_archE1200ELNS1_3gpuE4ELNS1_3repE0EEENS1_30default_config_static_selectorELNS0_4arch9wavefront6targetE1EEEvT1_,comdat
	.protected	_ZN7rocprim17ROCPRIM_400000_NS6detail17trampoline_kernelINS0_14default_configENS1_25transform_config_selectorIiLb0EEEZNS1_14transform_implILb0ES3_S5_N6thrust23THRUST_200600_302600_NS6detail15normal_iteratorINS8_10device_ptrIiEEEEPiNS0_8identityIiEEEE10hipError_tT2_T3_mT4_P12ihipStream_tbEUlT_E_NS1_11comp_targetILNS1_3genE10ELNS1_11target_archE1200ELNS1_3gpuE4ELNS1_3repE0EEENS1_30default_config_static_selectorELNS0_4arch9wavefront6targetE1EEEvT1_ ; -- Begin function _ZN7rocprim17ROCPRIM_400000_NS6detail17trampoline_kernelINS0_14default_configENS1_25transform_config_selectorIiLb0EEEZNS1_14transform_implILb0ES3_S5_N6thrust23THRUST_200600_302600_NS6detail15normal_iteratorINS8_10device_ptrIiEEEEPiNS0_8identityIiEEEE10hipError_tT2_T3_mT4_P12ihipStream_tbEUlT_E_NS1_11comp_targetILNS1_3genE10ELNS1_11target_archE1200ELNS1_3gpuE4ELNS1_3repE0EEENS1_30default_config_static_selectorELNS0_4arch9wavefront6targetE1EEEvT1_
	.globl	_ZN7rocprim17ROCPRIM_400000_NS6detail17trampoline_kernelINS0_14default_configENS1_25transform_config_selectorIiLb0EEEZNS1_14transform_implILb0ES3_S5_N6thrust23THRUST_200600_302600_NS6detail15normal_iteratorINS8_10device_ptrIiEEEEPiNS0_8identityIiEEEE10hipError_tT2_T3_mT4_P12ihipStream_tbEUlT_E_NS1_11comp_targetILNS1_3genE10ELNS1_11target_archE1200ELNS1_3gpuE4ELNS1_3repE0EEENS1_30default_config_static_selectorELNS0_4arch9wavefront6targetE1EEEvT1_
	.p2align	8
	.type	_ZN7rocprim17ROCPRIM_400000_NS6detail17trampoline_kernelINS0_14default_configENS1_25transform_config_selectorIiLb0EEEZNS1_14transform_implILb0ES3_S5_N6thrust23THRUST_200600_302600_NS6detail15normal_iteratorINS8_10device_ptrIiEEEEPiNS0_8identityIiEEEE10hipError_tT2_T3_mT4_P12ihipStream_tbEUlT_E_NS1_11comp_targetILNS1_3genE10ELNS1_11target_archE1200ELNS1_3gpuE4ELNS1_3repE0EEENS1_30default_config_static_selectorELNS0_4arch9wavefront6targetE1EEEvT1_,@function
_ZN7rocprim17ROCPRIM_400000_NS6detail17trampoline_kernelINS0_14default_configENS1_25transform_config_selectorIiLb0EEEZNS1_14transform_implILb0ES3_S5_N6thrust23THRUST_200600_302600_NS6detail15normal_iteratorINS8_10device_ptrIiEEEEPiNS0_8identityIiEEEE10hipError_tT2_T3_mT4_P12ihipStream_tbEUlT_E_NS1_11comp_targetILNS1_3genE10ELNS1_11target_archE1200ELNS1_3gpuE4ELNS1_3repE0EEENS1_30default_config_static_selectorELNS0_4arch9wavefront6targetE1EEEvT1_: ; @_ZN7rocprim17ROCPRIM_400000_NS6detail17trampoline_kernelINS0_14default_configENS1_25transform_config_selectorIiLb0EEEZNS1_14transform_implILb0ES3_S5_N6thrust23THRUST_200600_302600_NS6detail15normal_iteratorINS8_10device_ptrIiEEEEPiNS0_8identityIiEEEE10hipError_tT2_T3_mT4_P12ihipStream_tbEUlT_E_NS1_11comp_targetILNS1_3genE10ELNS1_11target_archE1200ELNS1_3gpuE4ELNS1_3repE0EEENS1_30default_config_static_selectorELNS0_4arch9wavefront6targetE1EEEvT1_
; %bb.0:
	.section	.rodata,"a",@progbits
	.p2align	6, 0x0
	.amdhsa_kernel _ZN7rocprim17ROCPRIM_400000_NS6detail17trampoline_kernelINS0_14default_configENS1_25transform_config_selectorIiLb0EEEZNS1_14transform_implILb0ES3_S5_N6thrust23THRUST_200600_302600_NS6detail15normal_iteratorINS8_10device_ptrIiEEEEPiNS0_8identityIiEEEE10hipError_tT2_T3_mT4_P12ihipStream_tbEUlT_E_NS1_11comp_targetILNS1_3genE10ELNS1_11target_archE1200ELNS1_3gpuE4ELNS1_3repE0EEENS1_30default_config_static_selectorELNS0_4arch9wavefront6targetE1EEEvT1_
		.amdhsa_group_segment_fixed_size 0
		.amdhsa_private_segment_fixed_size 0
		.amdhsa_kernarg_size 40
		.amdhsa_user_sgpr_count 2
		.amdhsa_user_sgpr_dispatch_ptr 0
		.amdhsa_user_sgpr_queue_ptr 0
		.amdhsa_user_sgpr_kernarg_segment_ptr 1
		.amdhsa_user_sgpr_dispatch_id 0
		.amdhsa_user_sgpr_kernarg_preload_length 0
		.amdhsa_user_sgpr_kernarg_preload_offset 0
		.amdhsa_user_sgpr_private_segment_size 0
		.amdhsa_uses_dynamic_stack 0
		.amdhsa_enable_private_segment 0
		.amdhsa_system_sgpr_workgroup_id_x 1
		.amdhsa_system_sgpr_workgroup_id_y 0
		.amdhsa_system_sgpr_workgroup_id_z 0
		.amdhsa_system_sgpr_workgroup_info 0
		.amdhsa_system_vgpr_workitem_id 0
		.amdhsa_next_free_vgpr 1
		.amdhsa_next_free_sgpr 0
		.amdhsa_accum_offset 4
		.amdhsa_reserve_vcc 0
		.amdhsa_float_round_mode_32 0
		.amdhsa_float_round_mode_16_64 0
		.amdhsa_float_denorm_mode_32 3
		.amdhsa_float_denorm_mode_16_64 3
		.amdhsa_dx10_clamp 1
		.amdhsa_ieee_mode 1
		.amdhsa_fp16_overflow 0
		.amdhsa_tg_split 0
		.amdhsa_exception_fp_ieee_invalid_op 0
		.amdhsa_exception_fp_denorm_src 0
		.amdhsa_exception_fp_ieee_div_zero 0
		.amdhsa_exception_fp_ieee_overflow 0
		.amdhsa_exception_fp_ieee_underflow 0
		.amdhsa_exception_fp_ieee_inexact 0
		.amdhsa_exception_int_div_zero 0
	.end_amdhsa_kernel
	.section	.text._ZN7rocprim17ROCPRIM_400000_NS6detail17trampoline_kernelINS0_14default_configENS1_25transform_config_selectorIiLb0EEEZNS1_14transform_implILb0ES3_S5_N6thrust23THRUST_200600_302600_NS6detail15normal_iteratorINS8_10device_ptrIiEEEEPiNS0_8identityIiEEEE10hipError_tT2_T3_mT4_P12ihipStream_tbEUlT_E_NS1_11comp_targetILNS1_3genE10ELNS1_11target_archE1200ELNS1_3gpuE4ELNS1_3repE0EEENS1_30default_config_static_selectorELNS0_4arch9wavefront6targetE1EEEvT1_,"axG",@progbits,_ZN7rocprim17ROCPRIM_400000_NS6detail17trampoline_kernelINS0_14default_configENS1_25transform_config_selectorIiLb0EEEZNS1_14transform_implILb0ES3_S5_N6thrust23THRUST_200600_302600_NS6detail15normal_iteratorINS8_10device_ptrIiEEEEPiNS0_8identityIiEEEE10hipError_tT2_T3_mT4_P12ihipStream_tbEUlT_E_NS1_11comp_targetILNS1_3genE10ELNS1_11target_archE1200ELNS1_3gpuE4ELNS1_3repE0EEENS1_30default_config_static_selectorELNS0_4arch9wavefront6targetE1EEEvT1_,comdat
.Lfunc_end1743:
	.size	_ZN7rocprim17ROCPRIM_400000_NS6detail17trampoline_kernelINS0_14default_configENS1_25transform_config_selectorIiLb0EEEZNS1_14transform_implILb0ES3_S5_N6thrust23THRUST_200600_302600_NS6detail15normal_iteratorINS8_10device_ptrIiEEEEPiNS0_8identityIiEEEE10hipError_tT2_T3_mT4_P12ihipStream_tbEUlT_E_NS1_11comp_targetILNS1_3genE10ELNS1_11target_archE1200ELNS1_3gpuE4ELNS1_3repE0EEENS1_30default_config_static_selectorELNS0_4arch9wavefront6targetE1EEEvT1_, .Lfunc_end1743-_ZN7rocprim17ROCPRIM_400000_NS6detail17trampoline_kernelINS0_14default_configENS1_25transform_config_selectorIiLb0EEEZNS1_14transform_implILb0ES3_S5_N6thrust23THRUST_200600_302600_NS6detail15normal_iteratorINS8_10device_ptrIiEEEEPiNS0_8identityIiEEEE10hipError_tT2_T3_mT4_P12ihipStream_tbEUlT_E_NS1_11comp_targetILNS1_3genE10ELNS1_11target_archE1200ELNS1_3gpuE4ELNS1_3repE0EEENS1_30default_config_static_selectorELNS0_4arch9wavefront6targetE1EEEvT1_
                                        ; -- End function
	.section	.AMDGPU.csdata,"",@progbits
; Kernel info:
; codeLenInByte = 0
; NumSgprs: 6
; NumVgprs: 0
; NumAgprs: 0
; TotalNumVgprs: 0
; ScratchSize: 0
; MemoryBound: 0
; FloatMode: 240
; IeeeMode: 1
; LDSByteSize: 0 bytes/workgroup (compile time only)
; SGPRBlocks: 0
; VGPRBlocks: 0
; NumSGPRsForWavesPerEU: 6
; NumVGPRsForWavesPerEU: 1
; AccumOffset: 4
; Occupancy: 8
; WaveLimiterHint : 0
; COMPUTE_PGM_RSRC2:SCRATCH_EN: 0
; COMPUTE_PGM_RSRC2:USER_SGPR: 2
; COMPUTE_PGM_RSRC2:TRAP_HANDLER: 0
; COMPUTE_PGM_RSRC2:TGID_X_EN: 1
; COMPUTE_PGM_RSRC2:TGID_Y_EN: 0
; COMPUTE_PGM_RSRC2:TGID_Z_EN: 0
; COMPUTE_PGM_RSRC2:TIDIG_COMP_CNT: 0
; COMPUTE_PGM_RSRC3_GFX90A:ACCUM_OFFSET: 0
; COMPUTE_PGM_RSRC3_GFX90A:TG_SPLIT: 0
	.section	.text._ZN7rocprim17ROCPRIM_400000_NS6detail17trampoline_kernelINS0_14default_configENS1_25transform_config_selectorIiLb0EEEZNS1_14transform_implILb0ES3_S5_N6thrust23THRUST_200600_302600_NS6detail15normal_iteratorINS8_10device_ptrIiEEEEPiNS0_8identityIiEEEE10hipError_tT2_T3_mT4_P12ihipStream_tbEUlT_E_NS1_11comp_targetILNS1_3genE9ELNS1_11target_archE1100ELNS1_3gpuE3ELNS1_3repE0EEENS1_30default_config_static_selectorELNS0_4arch9wavefront6targetE1EEEvT1_,"axG",@progbits,_ZN7rocprim17ROCPRIM_400000_NS6detail17trampoline_kernelINS0_14default_configENS1_25transform_config_selectorIiLb0EEEZNS1_14transform_implILb0ES3_S5_N6thrust23THRUST_200600_302600_NS6detail15normal_iteratorINS8_10device_ptrIiEEEEPiNS0_8identityIiEEEE10hipError_tT2_T3_mT4_P12ihipStream_tbEUlT_E_NS1_11comp_targetILNS1_3genE9ELNS1_11target_archE1100ELNS1_3gpuE3ELNS1_3repE0EEENS1_30default_config_static_selectorELNS0_4arch9wavefront6targetE1EEEvT1_,comdat
	.protected	_ZN7rocprim17ROCPRIM_400000_NS6detail17trampoline_kernelINS0_14default_configENS1_25transform_config_selectorIiLb0EEEZNS1_14transform_implILb0ES3_S5_N6thrust23THRUST_200600_302600_NS6detail15normal_iteratorINS8_10device_ptrIiEEEEPiNS0_8identityIiEEEE10hipError_tT2_T3_mT4_P12ihipStream_tbEUlT_E_NS1_11comp_targetILNS1_3genE9ELNS1_11target_archE1100ELNS1_3gpuE3ELNS1_3repE0EEENS1_30default_config_static_selectorELNS0_4arch9wavefront6targetE1EEEvT1_ ; -- Begin function _ZN7rocprim17ROCPRIM_400000_NS6detail17trampoline_kernelINS0_14default_configENS1_25transform_config_selectorIiLb0EEEZNS1_14transform_implILb0ES3_S5_N6thrust23THRUST_200600_302600_NS6detail15normal_iteratorINS8_10device_ptrIiEEEEPiNS0_8identityIiEEEE10hipError_tT2_T3_mT4_P12ihipStream_tbEUlT_E_NS1_11comp_targetILNS1_3genE9ELNS1_11target_archE1100ELNS1_3gpuE3ELNS1_3repE0EEENS1_30default_config_static_selectorELNS0_4arch9wavefront6targetE1EEEvT1_
	.globl	_ZN7rocprim17ROCPRIM_400000_NS6detail17trampoline_kernelINS0_14default_configENS1_25transform_config_selectorIiLb0EEEZNS1_14transform_implILb0ES3_S5_N6thrust23THRUST_200600_302600_NS6detail15normal_iteratorINS8_10device_ptrIiEEEEPiNS0_8identityIiEEEE10hipError_tT2_T3_mT4_P12ihipStream_tbEUlT_E_NS1_11comp_targetILNS1_3genE9ELNS1_11target_archE1100ELNS1_3gpuE3ELNS1_3repE0EEENS1_30default_config_static_selectorELNS0_4arch9wavefront6targetE1EEEvT1_
	.p2align	8
	.type	_ZN7rocprim17ROCPRIM_400000_NS6detail17trampoline_kernelINS0_14default_configENS1_25transform_config_selectorIiLb0EEEZNS1_14transform_implILb0ES3_S5_N6thrust23THRUST_200600_302600_NS6detail15normal_iteratorINS8_10device_ptrIiEEEEPiNS0_8identityIiEEEE10hipError_tT2_T3_mT4_P12ihipStream_tbEUlT_E_NS1_11comp_targetILNS1_3genE9ELNS1_11target_archE1100ELNS1_3gpuE3ELNS1_3repE0EEENS1_30default_config_static_selectorELNS0_4arch9wavefront6targetE1EEEvT1_,@function
_ZN7rocprim17ROCPRIM_400000_NS6detail17trampoline_kernelINS0_14default_configENS1_25transform_config_selectorIiLb0EEEZNS1_14transform_implILb0ES3_S5_N6thrust23THRUST_200600_302600_NS6detail15normal_iteratorINS8_10device_ptrIiEEEEPiNS0_8identityIiEEEE10hipError_tT2_T3_mT4_P12ihipStream_tbEUlT_E_NS1_11comp_targetILNS1_3genE9ELNS1_11target_archE1100ELNS1_3gpuE3ELNS1_3repE0EEENS1_30default_config_static_selectorELNS0_4arch9wavefront6targetE1EEEvT1_: ; @_ZN7rocprim17ROCPRIM_400000_NS6detail17trampoline_kernelINS0_14default_configENS1_25transform_config_selectorIiLb0EEEZNS1_14transform_implILb0ES3_S5_N6thrust23THRUST_200600_302600_NS6detail15normal_iteratorINS8_10device_ptrIiEEEEPiNS0_8identityIiEEEE10hipError_tT2_T3_mT4_P12ihipStream_tbEUlT_E_NS1_11comp_targetILNS1_3genE9ELNS1_11target_archE1100ELNS1_3gpuE3ELNS1_3repE0EEENS1_30default_config_static_selectorELNS0_4arch9wavefront6targetE1EEEvT1_
; %bb.0:
	.section	.rodata,"a",@progbits
	.p2align	6, 0x0
	.amdhsa_kernel _ZN7rocprim17ROCPRIM_400000_NS6detail17trampoline_kernelINS0_14default_configENS1_25transform_config_selectorIiLb0EEEZNS1_14transform_implILb0ES3_S5_N6thrust23THRUST_200600_302600_NS6detail15normal_iteratorINS8_10device_ptrIiEEEEPiNS0_8identityIiEEEE10hipError_tT2_T3_mT4_P12ihipStream_tbEUlT_E_NS1_11comp_targetILNS1_3genE9ELNS1_11target_archE1100ELNS1_3gpuE3ELNS1_3repE0EEENS1_30default_config_static_selectorELNS0_4arch9wavefront6targetE1EEEvT1_
		.amdhsa_group_segment_fixed_size 0
		.amdhsa_private_segment_fixed_size 0
		.amdhsa_kernarg_size 40
		.amdhsa_user_sgpr_count 2
		.amdhsa_user_sgpr_dispatch_ptr 0
		.amdhsa_user_sgpr_queue_ptr 0
		.amdhsa_user_sgpr_kernarg_segment_ptr 1
		.amdhsa_user_sgpr_dispatch_id 0
		.amdhsa_user_sgpr_kernarg_preload_length 0
		.amdhsa_user_sgpr_kernarg_preload_offset 0
		.amdhsa_user_sgpr_private_segment_size 0
		.amdhsa_uses_dynamic_stack 0
		.amdhsa_enable_private_segment 0
		.amdhsa_system_sgpr_workgroup_id_x 1
		.amdhsa_system_sgpr_workgroup_id_y 0
		.amdhsa_system_sgpr_workgroup_id_z 0
		.amdhsa_system_sgpr_workgroup_info 0
		.amdhsa_system_vgpr_workitem_id 0
		.amdhsa_next_free_vgpr 1
		.amdhsa_next_free_sgpr 0
		.amdhsa_accum_offset 4
		.amdhsa_reserve_vcc 0
		.amdhsa_float_round_mode_32 0
		.amdhsa_float_round_mode_16_64 0
		.amdhsa_float_denorm_mode_32 3
		.amdhsa_float_denorm_mode_16_64 3
		.amdhsa_dx10_clamp 1
		.amdhsa_ieee_mode 1
		.amdhsa_fp16_overflow 0
		.amdhsa_tg_split 0
		.amdhsa_exception_fp_ieee_invalid_op 0
		.amdhsa_exception_fp_denorm_src 0
		.amdhsa_exception_fp_ieee_div_zero 0
		.amdhsa_exception_fp_ieee_overflow 0
		.amdhsa_exception_fp_ieee_underflow 0
		.amdhsa_exception_fp_ieee_inexact 0
		.amdhsa_exception_int_div_zero 0
	.end_amdhsa_kernel
	.section	.text._ZN7rocprim17ROCPRIM_400000_NS6detail17trampoline_kernelINS0_14default_configENS1_25transform_config_selectorIiLb0EEEZNS1_14transform_implILb0ES3_S5_N6thrust23THRUST_200600_302600_NS6detail15normal_iteratorINS8_10device_ptrIiEEEEPiNS0_8identityIiEEEE10hipError_tT2_T3_mT4_P12ihipStream_tbEUlT_E_NS1_11comp_targetILNS1_3genE9ELNS1_11target_archE1100ELNS1_3gpuE3ELNS1_3repE0EEENS1_30default_config_static_selectorELNS0_4arch9wavefront6targetE1EEEvT1_,"axG",@progbits,_ZN7rocprim17ROCPRIM_400000_NS6detail17trampoline_kernelINS0_14default_configENS1_25transform_config_selectorIiLb0EEEZNS1_14transform_implILb0ES3_S5_N6thrust23THRUST_200600_302600_NS6detail15normal_iteratorINS8_10device_ptrIiEEEEPiNS0_8identityIiEEEE10hipError_tT2_T3_mT4_P12ihipStream_tbEUlT_E_NS1_11comp_targetILNS1_3genE9ELNS1_11target_archE1100ELNS1_3gpuE3ELNS1_3repE0EEENS1_30default_config_static_selectorELNS0_4arch9wavefront6targetE1EEEvT1_,comdat
.Lfunc_end1744:
	.size	_ZN7rocprim17ROCPRIM_400000_NS6detail17trampoline_kernelINS0_14default_configENS1_25transform_config_selectorIiLb0EEEZNS1_14transform_implILb0ES3_S5_N6thrust23THRUST_200600_302600_NS6detail15normal_iteratorINS8_10device_ptrIiEEEEPiNS0_8identityIiEEEE10hipError_tT2_T3_mT4_P12ihipStream_tbEUlT_E_NS1_11comp_targetILNS1_3genE9ELNS1_11target_archE1100ELNS1_3gpuE3ELNS1_3repE0EEENS1_30default_config_static_selectorELNS0_4arch9wavefront6targetE1EEEvT1_, .Lfunc_end1744-_ZN7rocprim17ROCPRIM_400000_NS6detail17trampoline_kernelINS0_14default_configENS1_25transform_config_selectorIiLb0EEEZNS1_14transform_implILb0ES3_S5_N6thrust23THRUST_200600_302600_NS6detail15normal_iteratorINS8_10device_ptrIiEEEEPiNS0_8identityIiEEEE10hipError_tT2_T3_mT4_P12ihipStream_tbEUlT_E_NS1_11comp_targetILNS1_3genE9ELNS1_11target_archE1100ELNS1_3gpuE3ELNS1_3repE0EEENS1_30default_config_static_selectorELNS0_4arch9wavefront6targetE1EEEvT1_
                                        ; -- End function
	.section	.AMDGPU.csdata,"",@progbits
; Kernel info:
; codeLenInByte = 0
; NumSgprs: 6
; NumVgprs: 0
; NumAgprs: 0
; TotalNumVgprs: 0
; ScratchSize: 0
; MemoryBound: 0
; FloatMode: 240
; IeeeMode: 1
; LDSByteSize: 0 bytes/workgroup (compile time only)
; SGPRBlocks: 0
; VGPRBlocks: 0
; NumSGPRsForWavesPerEU: 6
; NumVGPRsForWavesPerEU: 1
; AccumOffset: 4
; Occupancy: 8
; WaveLimiterHint : 0
; COMPUTE_PGM_RSRC2:SCRATCH_EN: 0
; COMPUTE_PGM_RSRC2:USER_SGPR: 2
; COMPUTE_PGM_RSRC2:TRAP_HANDLER: 0
; COMPUTE_PGM_RSRC2:TGID_X_EN: 1
; COMPUTE_PGM_RSRC2:TGID_Y_EN: 0
; COMPUTE_PGM_RSRC2:TGID_Z_EN: 0
; COMPUTE_PGM_RSRC2:TIDIG_COMP_CNT: 0
; COMPUTE_PGM_RSRC3_GFX90A:ACCUM_OFFSET: 0
; COMPUTE_PGM_RSRC3_GFX90A:TG_SPLIT: 0
	.section	.text._ZN7rocprim17ROCPRIM_400000_NS6detail17trampoline_kernelINS0_14default_configENS1_25transform_config_selectorIiLb0EEEZNS1_14transform_implILb0ES3_S5_N6thrust23THRUST_200600_302600_NS6detail15normal_iteratorINS8_10device_ptrIiEEEEPiNS0_8identityIiEEEE10hipError_tT2_T3_mT4_P12ihipStream_tbEUlT_E_NS1_11comp_targetILNS1_3genE8ELNS1_11target_archE1030ELNS1_3gpuE2ELNS1_3repE0EEENS1_30default_config_static_selectorELNS0_4arch9wavefront6targetE1EEEvT1_,"axG",@progbits,_ZN7rocprim17ROCPRIM_400000_NS6detail17trampoline_kernelINS0_14default_configENS1_25transform_config_selectorIiLb0EEEZNS1_14transform_implILb0ES3_S5_N6thrust23THRUST_200600_302600_NS6detail15normal_iteratorINS8_10device_ptrIiEEEEPiNS0_8identityIiEEEE10hipError_tT2_T3_mT4_P12ihipStream_tbEUlT_E_NS1_11comp_targetILNS1_3genE8ELNS1_11target_archE1030ELNS1_3gpuE2ELNS1_3repE0EEENS1_30default_config_static_selectorELNS0_4arch9wavefront6targetE1EEEvT1_,comdat
	.protected	_ZN7rocprim17ROCPRIM_400000_NS6detail17trampoline_kernelINS0_14default_configENS1_25transform_config_selectorIiLb0EEEZNS1_14transform_implILb0ES3_S5_N6thrust23THRUST_200600_302600_NS6detail15normal_iteratorINS8_10device_ptrIiEEEEPiNS0_8identityIiEEEE10hipError_tT2_T3_mT4_P12ihipStream_tbEUlT_E_NS1_11comp_targetILNS1_3genE8ELNS1_11target_archE1030ELNS1_3gpuE2ELNS1_3repE0EEENS1_30default_config_static_selectorELNS0_4arch9wavefront6targetE1EEEvT1_ ; -- Begin function _ZN7rocprim17ROCPRIM_400000_NS6detail17trampoline_kernelINS0_14default_configENS1_25transform_config_selectorIiLb0EEEZNS1_14transform_implILb0ES3_S5_N6thrust23THRUST_200600_302600_NS6detail15normal_iteratorINS8_10device_ptrIiEEEEPiNS0_8identityIiEEEE10hipError_tT2_T3_mT4_P12ihipStream_tbEUlT_E_NS1_11comp_targetILNS1_3genE8ELNS1_11target_archE1030ELNS1_3gpuE2ELNS1_3repE0EEENS1_30default_config_static_selectorELNS0_4arch9wavefront6targetE1EEEvT1_
	.globl	_ZN7rocprim17ROCPRIM_400000_NS6detail17trampoline_kernelINS0_14default_configENS1_25transform_config_selectorIiLb0EEEZNS1_14transform_implILb0ES3_S5_N6thrust23THRUST_200600_302600_NS6detail15normal_iteratorINS8_10device_ptrIiEEEEPiNS0_8identityIiEEEE10hipError_tT2_T3_mT4_P12ihipStream_tbEUlT_E_NS1_11comp_targetILNS1_3genE8ELNS1_11target_archE1030ELNS1_3gpuE2ELNS1_3repE0EEENS1_30default_config_static_selectorELNS0_4arch9wavefront6targetE1EEEvT1_
	.p2align	8
	.type	_ZN7rocprim17ROCPRIM_400000_NS6detail17trampoline_kernelINS0_14default_configENS1_25transform_config_selectorIiLb0EEEZNS1_14transform_implILb0ES3_S5_N6thrust23THRUST_200600_302600_NS6detail15normal_iteratorINS8_10device_ptrIiEEEEPiNS0_8identityIiEEEE10hipError_tT2_T3_mT4_P12ihipStream_tbEUlT_E_NS1_11comp_targetILNS1_3genE8ELNS1_11target_archE1030ELNS1_3gpuE2ELNS1_3repE0EEENS1_30default_config_static_selectorELNS0_4arch9wavefront6targetE1EEEvT1_,@function
_ZN7rocprim17ROCPRIM_400000_NS6detail17trampoline_kernelINS0_14default_configENS1_25transform_config_selectorIiLb0EEEZNS1_14transform_implILb0ES3_S5_N6thrust23THRUST_200600_302600_NS6detail15normal_iteratorINS8_10device_ptrIiEEEEPiNS0_8identityIiEEEE10hipError_tT2_T3_mT4_P12ihipStream_tbEUlT_E_NS1_11comp_targetILNS1_3genE8ELNS1_11target_archE1030ELNS1_3gpuE2ELNS1_3repE0EEENS1_30default_config_static_selectorELNS0_4arch9wavefront6targetE1EEEvT1_: ; @_ZN7rocprim17ROCPRIM_400000_NS6detail17trampoline_kernelINS0_14default_configENS1_25transform_config_selectorIiLb0EEEZNS1_14transform_implILb0ES3_S5_N6thrust23THRUST_200600_302600_NS6detail15normal_iteratorINS8_10device_ptrIiEEEEPiNS0_8identityIiEEEE10hipError_tT2_T3_mT4_P12ihipStream_tbEUlT_E_NS1_11comp_targetILNS1_3genE8ELNS1_11target_archE1030ELNS1_3gpuE2ELNS1_3repE0EEENS1_30default_config_static_selectorELNS0_4arch9wavefront6targetE1EEEvT1_
; %bb.0:
	.section	.rodata,"a",@progbits
	.p2align	6, 0x0
	.amdhsa_kernel _ZN7rocprim17ROCPRIM_400000_NS6detail17trampoline_kernelINS0_14default_configENS1_25transform_config_selectorIiLb0EEEZNS1_14transform_implILb0ES3_S5_N6thrust23THRUST_200600_302600_NS6detail15normal_iteratorINS8_10device_ptrIiEEEEPiNS0_8identityIiEEEE10hipError_tT2_T3_mT4_P12ihipStream_tbEUlT_E_NS1_11comp_targetILNS1_3genE8ELNS1_11target_archE1030ELNS1_3gpuE2ELNS1_3repE0EEENS1_30default_config_static_selectorELNS0_4arch9wavefront6targetE1EEEvT1_
		.amdhsa_group_segment_fixed_size 0
		.amdhsa_private_segment_fixed_size 0
		.amdhsa_kernarg_size 40
		.amdhsa_user_sgpr_count 2
		.amdhsa_user_sgpr_dispatch_ptr 0
		.amdhsa_user_sgpr_queue_ptr 0
		.amdhsa_user_sgpr_kernarg_segment_ptr 1
		.amdhsa_user_sgpr_dispatch_id 0
		.amdhsa_user_sgpr_kernarg_preload_length 0
		.amdhsa_user_sgpr_kernarg_preload_offset 0
		.amdhsa_user_sgpr_private_segment_size 0
		.amdhsa_uses_dynamic_stack 0
		.amdhsa_enable_private_segment 0
		.amdhsa_system_sgpr_workgroup_id_x 1
		.amdhsa_system_sgpr_workgroup_id_y 0
		.amdhsa_system_sgpr_workgroup_id_z 0
		.amdhsa_system_sgpr_workgroup_info 0
		.amdhsa_system_vgpr_workitem_id 0
		.amdhsa_next_free_vgpr 1
		.amdhsa_next_free_sgpr 0
		.amdhsa_accum_offset 4
		.amdhsa_reserve_vcc 0
		.amdhsa_float_round_mode_32 0
		.amdhsa_float_round_mode_16_64 0
		.amdhsa_float_denorm_mode_32 3
		.amdhsa_float_denorm_mode_16_64 3
		.amdhsa_dx10_clamp 1
		.amdhsa_ieee_mode 1
		.amdhsa_fp16_overflow 0
		.amdhsa_tg_split 0
		.amdhsa_exception_fp_ieee_invalid_op 0
		.amdhsa_exception_fp_denorm_src 0
		.amdhsa_exception_fp_ieee_div_zero 0
		.amdhsa_exception_fp_ieee_overflow 0
		.amdhsa_exception_fp_ieee_underflow 0
		.amdhsa_exception_fp_ieee_inexact 0
		.amdhsa_exception_int_div_zero 0
	.end_amdhsa_kernel
	.section	.text._ZN7rocprim17ROCPRIM_400000_NS6detail17trampoline_kernelINS0_14default_configENS1_25transform_config_selectorIiLb0EEEZNS1_14transform_implILb0ES3_S5_N6thrust23THRUST_200600_302600_NS6detail15normal_iteratorINS8_10device_ptrIiEEEEPiNS0_8identityIiEEEE10hipError_tT2_T3_mT4_P12ihipStream_tbEUlT_E_NS1_11comp_targetILNS1_3genE8ELNS1_11target_archE1030ELNS1_3gpuE2ELNS1_3repE0EEENS1_30default_config_static_selectorELNS0_4arch9wavefront6targetE1EEEvT1_,"axG",@progbits,_ZN7rocprim17ROCPRIM_400000_NS6detail17trampoline_kernelINS0_14default_configENS1_25transform_config_selectorIiLb0EEEZNS1_14transform_implILb0ES3_S5_N6thrust23THRUST_200600_302600_NS6detail15normal_iteratorINS8_10device_ptrIiEEEEPiNS0_8identityIiEEEE10hipError_tT2_T3_mT4_P12ihipStream_tbEUlT_E_NS1_11comp_targetILNS1_3genE8ELNS1_11target_archE1030ELNS1_3gpuE2ELNS1_3repE0EEENS1_30default_config_static_selectorELNS0_4arch9wavefront6targetE1EEEvT1_,comdat
.Lfunc_end1745:
	.size	_ZN7rocprim17ROCPRIM_400000_NS6detail17trampoline_kernelINS0_14default_configENS1_25transform_config_selectorIiLb0EEEZNS1_14transform_implILb0ES3_S5_N6thrust23THRUST_200600_302600_NS6detail15normal_iteratorINS8_10device_ptrIiEEEEPiNS0_8identityIiEEEE10hipError_tT2_T3_mT4_P12ihipStream_tbEUlT_E_NS1_11comp_targetILNS1_3genE8ELNS1_11target_archE1030ELNS1_3gpuE2ELNS1_3repE0EEENS1_30default_config_static_selectorELNS0_4arch9wavefront6targetE1EEEvT1_, .Lfunc_end1745-_ZN7rocprim17ROCPRIM_400000_NS6detail17trampoline_kernelINS0_14default_configENS1_25transform_config_selectorIiLb0EEEZNS1_14transform_implILb0ES3_S5_N6thrust23THRUST_200600_302600_NS6detail15normal_iteratorINS8_10device_ptrIiEEEEPiNS0_8identityIiEEEE10hipError_tT2_T3_mT4_P12ihipStream_tbEUlT_E_NS1_11comp_targetILNS1_3genE8ELNS1_11target_archE1030ELNS1_3gpuE2ELNS1_3repE0EEENS1_30default_config_static_selectorELNS0_4arch9wavefront6targetE1EEEvT1_
                                        ; -- End function
	.section	.AMDGPU.csdata,"",@progbits
; Kernel info:
; codeLenInByte = 0
; NumSgprs: 6
; NumVgprs: 0
; NumAgprs: 0
; TotalNumVgprs: 0
; ScratchSize: 0
; MemoryBound: 0
; FloatMode: 240
; IeeeMode: 1
; LDSByteSize: 0 bytes/workgroup (compile time only)
; SGPRBlocks: 0
; VGPRBlocks: 0
; NumSGPRsForWavesPerEU: 6
; NumVGPRsForWavesPerEU: 1
; AccumOffset: 4
; Occupancy: 8
; WaveLimiterHint : 0
; COMPUTE_PGM_RSRC2:SCRATCH_EN: 0
; COMPUTE_PGM_RSRC2:USER_SGPR: 2
; COMPUTE_PGM_RSRC2:TRAP_HANDLER: 0
; COMPUTE_PGM_RSRC2:TGID_X_EN: 1
; COMPUTE_PGM_RSRC2:TGID_Y_EN: 0
; COMPUTE_PGM_RSRC2:TGID_Z_EN: 0
; COMPUTE_PGM_RSRC2:TIDIG_COMP_CNT: 0
; COMPUTE_PGM_RSRC3_GFX90A:ACCUM_OFFSET: 0
; COMPUTE_PGM_RSRC3_GFX90A:TG_SPLIT: 0
	.section	.text._ZN7rocprim17ROCPRIM_400000_NS6detail17trampoline_kernelINS0_14default_configENS1_35radix_sort_onesweep_config_selectorIiNS0_10empty_typeEEEZZNS1_29radix_sort_onesweep_iterationIS3_Lb0EN6thrust23THRUST_200600_302600_NS6detail15normal_iteratorINS9_10device_ptrIiEEEESE_PS5_SF_jNS0_19identity_decomposerENS1_16block_id_wrapperIjLb1EEEEE10hipError_tT1_PNSt15iterator_traitsISK_E10value_typeET2_T3_PNSL_ISQ_E10value_typeET4_T5_PSV_SW_PNS1_23onesweep_lookback_stateEbbT6_jjT7_P12ihipStream_tbENKUlT_T0_SK_SP_E_clISE_SE_SF_SF_EEDaS13_S14_SK_SP_EUlS13_E_NS1_11comp_targetILNS1_3genE0ELNS1_11target_archE4294967295ELNS1_3gpuE0ELNS1_3repE0EEENS1_47radix_sort_onesweep_sort_config_static_selectorELNS0_4arch9wavefront6targetE1EEEvSK_,"axG",@progbits,_ZN7rocprim17ROCPRIM_400000_NS6detail17trampoline_kernelINS0_14default_configENS1_35radix_sort_onesweep_config_selectorIiNS0_10empty_typeEEEZZNS1_29radix_sort_onesweep_iterationIS3_Lb0EN6thrust23THRUST_200600_302600_NS6detail15normal_iteratorINS9_10device_ptrIiEEEESE_PS5_SF_jNS0_19identity_decomposerENS1_16block_id_wrapperIjLb1EEEEE10hipError_tT1_PNSt15iterator_traitsISK_E10value_typeET2_T3_PNSL_ISQ_E10value_typeET4_T5_PSV_SW_PNS1_23onesweep_lookback_stateEbbT6_jjT7_P12ihipStream_tbENKUlT_T0_SK_SP_E_clISE_SE_SF_SF_EEDaS13_S14_SK_SP_EUlS13_E_NS1_11comp_targetILNS1_3genE0ELNS1_11target_archE4294967295ELNS1_3gpuE0ELNS1_3repE0EEENS1_47radix_sort_onesweep_sort_config_static_selectorELNS0_4arch9wavefront6targetE1EEEvSK_,comdat
	.protected	_ZN7rocprim17ROCPRIM_400000_NS6detail17trampoline_kernelINS0_14default_configENS1_35radix_sort_onesweep_config_selectorIiNS0_10empty_typeEEEZZNS1_29radix_sort_onesweep_iterationIS3_Lb0EN6thrust23THRUST_200600_302600_NS6detail15normal_iteratorINS9_10device_ptrIiEEEESE_PS5_SF_jNS0_19identity_decomposerENS1_16block_id_wrapperIjLb1EEEEE10hipError_tT1_PNSt15iterator_traitsISK_E10value_typeET2_T3_PNSL_ISQ_E10value_typeET4_T5_PSV_SW_PNS1_23onesweep_lookback_stateEbbT6_jjT7_P12ihipStream_tbENKUlT_T0_SK_SP_E_clISE_SE_SF_SF_EEDaS13_S14_SK_SP_EUlS13_E_NS1_11comp_targetILNS1_3genE0ELNS1_11target_archE4294967295ELNS1_3gpuE0ELNS1_3repE0EEENS1_47radix_sort_onesweep_sort_config_static_selectorELNS0_4arch9wavefront6targetE1EEEvSK_ ; -- Begin function _ZN7rocprim17ROCPRIM_400000_NS6detail17trampoline_kernelINS0_14default_configENS1_35radix_sort_onesweep_config_selectorIiNS0_10empty_typeEEEZZNS1_29radix_sort_onesweep_iterationIS3_Lb0EN6thrust23THRUST_200600_302600_NS6detail15normal_iteratorINS9_10device_ptrIiEEEESE_PS5_SF_jNS0_19identity_decomposerENS1_16block_id_wrapperIjLb1EEEEE10hipError_tT1_PNSt15iterator_traitsISK_E10value_typeET2_T3_PNSL_ISQ_E10value_typeET4_T5_PSV_SW_PNS1_23onesweep_lookback_stateEbbT6_jjT7_P12ihipStream_tbENKUlT_T0_SK_SP_E_clISE_SE_SF_SF_EEDaS13_S14_SK_SP_EUlS13_E_NS1_11comp_targetILNS1_3genE0ELNS1_11target_archE4294967295ELNS1_3gpuE0ELNS1_3repE0EEENS1_47radix_sort_onesweep_sort_config_static_selectorELNS0_4arch9wavefront6targetE1EEEvSK_
	.globl	_ZN7rocprim17ROCPRIM_400000_NS6detail17trampoline_kernelINS0_14default_configENS1_35radix_sort_onesweep_config_selectorIiNS0_10empty_typeEEEZZNS1_29radix_sort_onesweep_iterationIS3_Lb0EN6thrust23THRUST_200600_302600_NS6detail15normal_iteratorINS9_10device_ptrIiEEEESE_PS5_SF_jNS0_19identity_decomposerENS1_16block_id_wrapperIjLb1EEEEE10hipError_tT1_PNSt15iterator_traitsISK_E10value_typeET2_T3_PNSL_ISQ_E10value_typeET4_T5_PSV_SW_PNS1_23onesweep_lookback_stateEbbT6_jjT7_P12ihipStream_tbENKUlT_T0_SK_SP_E_clISE_SE_SF_SF_EEDaS13_S14_SK_SP_EUlS13_E_NS1_11comp_targetILNS1_3genE0ELNS1_11target_archE4294967295ELNS1_3gpuE0ELNS1_3repE0EEENS1_47radix_sort_onesweep_sort_config_static_selectorELNS0_4arch9wavefront6targetE1EEEvSK_
	.p2align	8
	.type	_ZN7rocprim17ROCPRIM_400000_NS6detail17trampoline_kernelINS0_14default_configENS1_35radix_sort_onesweep_config_selectorIiNS0_10empty_typeEEEZZNS1_29radix_sort_onesweep_iterationIS3_Lb0EN6thrust23THRUST_200600_302600_NS6detail15normal_iteratorINS9_10device_ptrIiEEEESE_PS5_SF_jNS0_19identity_decomposerENS1_16block_id_wrapperIjLb1EEEEE10hipError_tT1_PNSt15iterator_traitsISK_E10value_typeET2_T3_PNSL_ISQ_E10value_typeET4_T5_PSV_SW_PNS1_23onesweep_lookback_stateEbbT6_jjT7_P12ihipStream_tbENKUlT_T0_SK_SP_E_clISE_SE_SF_SF_EEDaS13_S14_SK_SP_EUlS13_E_NS1_11comp_targetILNS1_3genE0ELNS1_11target_archE4294967295ELNS1_3gpuE0ELNS1_3repE0EEENS1_47radix_sort_onesweep_sort_config_static_selectorELNS0_4arch9wavefront6targetE1EEEvSK_,@function
_ZN7rocprim17ROCPRIM_400000_NS6detail17trampoline_kernelINS0_14default_configENS1_35radix_sort_onesweep_config_selectorIiNS0_10empty_typeEEEZZNS1_29radix_sort_onesweep_iterationIS3_Lb0EN6thrust23THRUST_200600_302600_NS6detail15normal_iteratorINS9_10device_ptrIiEEEESE_PS5_SF_jNS0_19identity_decomposerENS1_16block_id_wrapperIjLb1EEEEE10hipError_tT1_PNSt15iterator_traitsISK_E10value_typeET2_T3_PNSL_ISQ_E10value_typeET4_T5_PSV_SW_PNS1_23onesweep_lookback_stateEbbT6_jjT7_P12ihipStream_tbENKUlT_T0_SK_SP_E_clISE_SE_SF_SF_EEDaS13_S14_SK_SP_EUlS13_E_NS1_11comp_targetILNS1_3genE0ELNS1_11target_archE4294967295ELNS1_3gpuE0ELNS1_3repE0EEENS1_47radix_sort_onesweep_sort_config_static_selectorELNS0_4arch9wavefront6targetE1EEEvSK_: ; @_ZN7rocprim17ROCPRIM_400000_NS6detail17trampoline_kernelINS0_14default_configENS1_35radix_sort_onesweep_config_selectorIiNS0_10empty_typeEEEZZNS1_29radix_sort_onesweep_iterationIS3_Lb0EN6thrust23THRUST_200600_302600_NS6detail15normal_iteratorINS9_10device_ptrIiEEEESE_PS5_SF_jNS0_19identity_decomposerENS1_16block_id_wrapperIjLb1EEEEE10hipError_tT1_PNSt15iterator_traitsISK_E10value_typeET2_T3_PNSL_ISQ_E10value_typeET4_T5_PSV_SW_PNS1_23onesweep_lookback_stateEbbT6_jjT7_P12ihipStream_tbENKUlT_T0_SK_SP_E_clISE_SE_SF_SF_EEDaS13_S14_SK_SP_EUlS13_E_NS1_11comp_targetILNS1_3genE0ELNS1_11target_archE4294967295ELNS1_3gpuE0ELNS1_3repE0EEENS1_47radix_sort_onesweep_sort_config_static_selectorELNS0_4arch9wavefront6targetE1EEEvSK_
; %bb.0:
	.section	.rodata,"a",@progbits
	.p2align	6, 0x0
	.amdhsa_kernel _ZN7rocprim17ROCPRIM_400000_NS6detail17trampoline_kernelINS0_14default_configENS1_35radix_sort_onesweep_config_selectorIiNS0_10empty_typeEEEZZNS1_29radix_sort_onesweep_iterationIS3_Lb0EN6thrust23THRUST_200600_302600_NS6detail15normal_iteratorINS9_10device_ptrIiEEEESE_PS5_SF_jNS0_19identity_decomposerENS1_16block_id_wrapperIjLb1EEEEE10hipError_tT1_PNSt15iterator_traitsISK_E10value_typeET2_T3_PNSL_ISQ_E10value_typeET4_T5_PSV_SW_PNS1_23onesweep_lookback_stateEbbT6_jjT7_P12ihipStream_tbENKUlT_T0_SK_SP_E_clISE_SE_SF_SF_EEDaS13_S14_SK_SP_EUlS13_E_NS1_11comp_targetILNS1_3genE0ELNS1_11target_archE4294967295ELNS1_3gpuE0ELNS1_3repE0EEENS1_47radix_sort_onesweep_sort_config_static_selectorELNS0_4arch9wavefront6targetE1EEEvSK_
		.amdhsa_group_segment_fixed_size 0
		.amdhsa_private_segment_fixed_size 0
		.amdhsa_kernarg_size 88
		.amdhsa_user_sgpr_count 2
		.amdhsa_user_sgpr_dispatch_ptr 0
		.amdhsa_user_sgpr_queue_ptr 0
		.amdhsa_user_sgpr_kernarg_segment_ptr 1
		.amdhsa_user_sgpr_dispatch_id 0
		.amdhsa_user_sgpr_kernarg_preload_length 0
		.amdhsa_user_sgpr_kernarg_preload_offset 0
		.amdhsa_user_sgpr_private_segment_size 0
		.amdhsa_uses_dynamic_stack 0
		.amdhsa_enable_private_segment 0
		.amdhsa_system_sgpr_workgroup_id_x 1
		.amdhsa_system_sgpr_workgroup_id_y 0
		.amdhsa_system_sgpr_workgroup_id_z 0
		.amdhsa_system_sgpr_workgroup_info 0
		.amdhsa_system_vgpr_workitem_id 0
		.amdhsa_next_free_vgpr 1
		.amdhsa_next_free_sgpr 0
		.amdhsa_accum_offset 4
		.amdhsa_reserve_vcc 0
		.amdhsa_float_round_mode_32 0
		.amdhsa_float_round_mode_16_64 0
		.amdhsa_float_denorm_mode_32 3
		.amdhsa_float_denorm_mode_16_64 3
		.amdhsa_dx10_clamp 1
		.amdhsa_ieee_mode 1
		.amdhsa_fp16_overflow 0
		.amdhsa_tg_split 0
		.amdhsa_exception_fp_ieee_invalid_op 0
		.amdhsa_exception_fp_denorm_src 0
		.amdhsa_exception_fp_ieee_div_zero 0
		.amdhsa_exception_fp_ieee_overflow 0
		.amdhsa_exception_fp_ieee_underflow 0
		.amdhsa_exception_fp_ieee_inexact 0
		.amdhsa_exception_int_div_zero 0
	.end_amdhsa_kernel
	.section	.text._ZN7rocprim17ROCPRIM_400000_NS6detail17trampoline_kernelINS0_14default_configENS1_35radix_sort_onesweep_config_selectorIiNS0_10empty_typeEEEZZNS1_29radix_sort_onesweep_iterationIS3_Lb0EN6thrust23THRUST_200600_302600_NS6detail15normal_iteratorINS9_10device_ptrIiEEEESE_PS5_SF_jNS0_19identity_decomposerENS1_16block_id_wrapperIjLb1EEEEE10hipError_tT1_PNSt15iterator_traitsISK_E10value_typeET2_T3_PNSL_ISQ_E10value_typeET4_T5_PSV_SW_PNS1_23onesweep_lookback_stateEbbT6_jjT7_P12ihipStream_tbENKUlT_T0_SK_SP_E_clISE_SE_SF_SF_EEDaS13_S14_SK_SP_EUlS13_E_NS1_11comp_targetILNS1_3genE0ELNS1_11target_archE4294967295ELNS1_3gpuE0ELNS1_3repE0EEENS1_47radix_sort_onesweep_sort_config_static_selectorELNS0_4arch9wavefront6targetE1EEEvSK_,"axG",@progbits,_ZN7rocprim17ROCPRIM_400000_NS6detail17trampoline_kernelINS0_14default_configENS1_35radix_sort_onesweep_config_selectorIiNS0_10empty_typeEEEZZNS1_29radix_sort_onesweep_iterationIS3_Lb0EN6thrust23THRUST_200600_302600_NS6detail15normal_iteratorINS9_10device_ptrIiEEEESE_PS5_SF_jNS0_19identity_decomposerENS1_16block_id_wrapperIjLb1EEEEE10hipError_tT1_PNSt15iterator_traitsISK_E10value_typeET2_T3_PNSL_ISQ_E10value_typeET4_T5_PSV_SW_PNS1_23onesweep_lookback_stateEbbT6_jjT7_P12ihipStream_tbENKUlT_T0_SK_SP_E_clISE_SE_SF_SF_EEDaS13_S14_SK_SP_EUlS13_E_NS1_11comp_targetILNS1_3genE0ELNS1_11target_archE4294967295ELNS1_3gpuE0ELNS1_3repE0EEENS1_47radix_sort_onesweep_sort_config_static_selectorELNS0_4arch9wavefront6targetE1EEEvSK_,comdat
.Lfunc_end1746:
	.size	_ZN7rocprim17ROCPRIM_400000_NS6detail17trampoline_kernelINS0_14default_configENS1_35radix_sort_onesweep_config_selectorIiNS0_10empty_typeEEEZZNS1_29radix_sort_onesweep_iterationIS3_Lb0EN6thrust23THRUST_200600_302600_NS6detail15normal_iteratorINS9_10device_ptrIiEEEESE_PS5_SF_jNS0_19identity_decomposerENS1_16block_id_wrapperIjLb1EEEEE10hipError_tT1_PNSt15iterator_traitsISK_E10value_typeET2_T3_PNSL_ISQ_E10value_typeET4_T5_PSV_SW_PNS1_23onesweep_lookback_stateEbbT6_jjT7_P12ihipStream_tbENKUlT_T0_SK_SP_E_clISE_SE_SF_SF_EEDaS13_S14_SK_SP_EUlS13_E_NS1_11comp_targetILNS1_3genE0ELNS1_11target_archE4294967295ELNS1_3gpuE0ELNS1_3repE0EEENS1_47radix_sort_onesweep_sort_config_static_selectorELNS0_4arch9wavefront6targetE1EEEvSK_, .Lfunc_end1746-_ZN7rocprim17ROCPRIM_400000_NS6detail17trampoline_kernelINS0_14default_configENS1_35radix_sort_onesweep_config_selectorIiNS0_10empty_typeEEEZZNS1_29radix_sort_onesweep_iterationIS3_Lb0EN6thrust23THRUST_200600_302600_NS6detail15normal_iteratorINS9_10device_ptrIiEEEESE_PS5_SF_jNS0_19identity_decomposerENS1_16block_id_wrapperIjLb1EEEEE10hipError_tT1_PNSt15iterator_traitsISK_E10value_typeET2_T3_PNSL_ISQ_E10value_typeET4_T5_PSV_SW_PNS1_23onesweep_lookback_stateEbbT6_jjT7_P12ihipStream_tbENKUlT_T0_SK_SP_E_clISE_SE_SF_SF_EEDaS13_S14_SK_SP_EUlS13_E_NS1_11comp_targetILNS1_3genE0ELNS1_11target_archE4294967295ELNS1_3gpuE0ELNS1_3repE0EEENS1_47radix_sort_onesweep_sort_config_static_selectorELNS0_4arch9wavefront6targetE1EEEvSK_
                                        ; -- End function
	.section	.AMDGPU.csdata,"",@progbits
; Kernel info:
; codeLenInByte = 0
; NumSgprs: 6
; NumVgprs: 0
; NumAgprs: 0
; TotalNumVgprs: 0
; ScratchSize: 0
; MemoryBound: 0
; FloatMode: 240
; IeeeMode: 1
; LDSByteSize: 0 bytes/workgroup (compile time only)
; SGPRBlocks: 0
; VGPRBlocks: 0
; NumSGPRsForWavesPerEU: 6
; NumVGPRsForWavesPerEU: 1
; AccumOffset: 4
; Occupancy: 8
; WaveLimiterHint : 0
; COMPUTE_PGM_RSRC2:SCRATCH_EN: 0
; COMPUTE_PGM_RSRC2:USER_SGPR: 2
; COMPUTE_PGM_RSRC2:TRAP_HANDLER: 0
; COMPUTE_PGM_RSRC2:TGID_X_EN: 1
; COMPUTE_PGM_RSRC2:TGID_Y_EN: 0
; COMPUTE_PGM_RSRC2:TGID_Z_EN: 0
; COMPUTE_PGM_RSRC2:TIDIG_COMP_CNT: 0
; COMPUTE_PGM_RSRC3_GFX90A:ACCUM_OFFSET: 0
; COMPUTE_PGM_RSRC3_GFX90A:TG_SPLIT: 0
	.section	.text._ZN7rocprim17ROCPRIM_400000_NS6detail17trampoline_kernelINS0_14default_configENS1_35radix_sort_onesweep_config_selectorIiNS0_10empty_typeEEEZZNS1_29radix_sort_onesweep_iterationIS3_Lb0EN6thrust23THRUST_200600_302600_NS6detail15normal_iteratorINS9_10device_ptrIiEEEESE_PS5_SF_jNS0_19identity_decomposerENS1_16block_id_wrapperIjLb1EEEEE10hipError_tT1_PNSt15iterator_traitsISK_E10value_typeET2_T3_PNSL_ISQ_E10value_typeET4_T5_PSV_SW_PNS1_23onesweep_lookback_stateEbbT6_jjT7_P12ihipStream_tbENKUlT_T0_SK_SP_E_clISE_SE_SF_SF_EEDaS13_S14_SK_SP_EUlS13_E_NS1_11comp_targetILNS1_3genE6ELNS1_11target_archE950ELNS1_3gpuE13ELNS1_3repE0EEENS1_47radix_sort_onesweep_sort_config_static_selectorELNS0_4arch9wavefront6targetE1EEEvSK_,"axG",@progbits,_ZN7rocprim17ROCPRIM_400000_NS6detail17trampoline_kernelINS0_14default_configENS1_35radix_sort_onesweep_config_selectorIiNS0_10empty_typeEEEZZNS1_29radix_sort_onesweep_iterationIS3_Lb0EN6thrust23THRUST_200600_302600_NS6detail15normal_iteratorINS9_10device_ptrIiEEEESE_PS5_SF_jNS0_19identity_decomposerENS1_16block_id_wrapperIjLb1EEEEE10hipError_tT1_PNSt15iterator_traitsISK_E10value_typeET2_T3_PNSL_ISQ_E10value_typeET4_T5_PSV_SW_PNS1_23onesweep_lookback_stateEbbT6_jjT7_P12ihipStream_tbENKUlT_T0_SK_SP_E_clISE_SE_SF_SF_EEDaS13_S14_SK_SP_EUlS13_E_NS1_11comp_targetILNS1_3genE6ELNS1_11target_archE950ELNS1_3gpuE13ELNS1_3repE0EEENS1_47radix_sort_onesweep_sort_config_static_selectorELNS0_4arch9wavefront6targetE1EEEvSK_,comdat
	.protected	_ZN7rocprim17ROCPRIM_400000_NS6detail17trampoline_kernelINS0_14default_configENS1_35radix_sort_onesweep_config_selectorIiNS0_10empty_typeEEEZZNS1_29radix_sort_onesweep_iterationIS3_Lb0EN6thrust23THRUST_200600_302600_NS6detail15normal_iteratorINS9_10device_ptrIiEEEESE_PS5_SF_jNS0_19identity_decomposerENS1_16block_id_wrapperIjLb1EEEEE10hipError_tT1_PNSt15iterator_traitsISK_E10value_typeET2_T3_PNSL_ISQ_E10value_typeET4_T5_PSV_SW_PNS1_23onesweep_lookback_stateEbbT6_jjT7_P12ihipStream_tbENKUlT_T0_SK_SP_E_clISE_SE_SF_SF_EEDaS13_S14_SK_SP_EUlS13_E_NS1_11comp_targetILNS1_3genE6ELNS1_11target_archE950ELNS1_3gpuE13ELNS1_3repE0EEENS1_47radix_sort_onesweep_sort_config_static_selectorELNS0_4arch9wavefront6targetE1EEEvSK_ ; -- Begin function _ZN7rocprim17ROCPRIM_400000_NS6detail17trampoline_kernelINS0_14default_configENS1_35radix_sort_onesweep_config_selectorIiNS0_10empty_typeEEEZZNS1_29radix_sort_onesweep_iterationIS3_Lb0EN6thrust23THRUST_200600_302600_NS6detail15normal_iteratorINS9_10device_ptrIiEEEESE_PS5_SF_jNS0_19identity_decomposerENS1_16block_id_wrapperIjLb1EEEEE10hipError_tT1_PNSt15iterator_traitsISK_E10value_typeET2_T3_PNSL_ISQ_E10value_typeET4_T5_PSV_SW_PNS1_23onesweep_lookback_stateEbbT6_jjT7_P12ihipStream_tbENKUlT_T0_SK_SP_E_clISE_SE_SF_SF_EEDaS13_S14_SK_SP_EUlS13_E_NS1_11comp_targetILNS1_3genE6ELNS1_11target_archE950ELNS1_3gpuE13ELNS1_3repE0EEENS1_47radix_sort_onesweep_sort_config_static_selectorELNS0_4arch9wavefront6targetE1EEEvSK_
	.globl	_ZN7rocprim17ROCPRIM_400000_NS6detail17trampoline_kernelINS0_14default_configENS1_35radix_sort_onesweep_config_selectorIiNS0_10empty_typeEEEZZNS1_29radix_sort_onesweep_iterationIS3_Lb0EN6thrust23THRUST_200600_302600_NS6detail15normal_iteratorINS9_10device_ptrIiEEEESE_PS5_SF_jNS0_19identity_decomposerENS1_16block_id_wrapperIjLb1EEEEE10hipError_tT1_PNSt15iterator_traitsISK_E10value_typeET2_T3_PNSL_ISQ_E10value_typeET4_T5_PSV_SW_PNS1_23onesweep_lookback_stateEbbT6_jjT7_P12ihipStream_tbENKUlT_T0_SK_SP_E_clISE_SE_SF_SF_EEDaS13_S14_SK_SP_EUlS13_E_NS1_11comp_targetILNS1_3genE6ELNS1_11target_archE950ELNS1_3gpuE13ELNS1_3repE0EEENS1_47radix_sort_onesweep_sort_config_static_selectorELNS0_4arch9wavefront6targetE1EEEvSK_
	.p2align	8
	.type	_ZN7rocprim17ROCPRIM_400000_NS6detail17trampoline_kernelINS0_14default_configENS1_35radix_sort_onesweep_config_selectorIiNS0_10empty_typeEEEZZNS1_29radix_sort_onesweep_iterationIS3_Lb0EN6thrust23THRUST_200600_302600_NS6detail15normal_iteratorINS9_10device_ptrIiEEEESE_PS5_SF_jNS0_19identity_decomposerENS1_16block_id_wrapperIjLb1EEEEE10hipError_tT1_PNSt15iterator_traitsISK_E10value_typeET2_T3_PNSL_ISQ_E10value_typeET4_T5_PSV_SW_PNS1_23onesweep_lookback_stateEbbT6_jjT7_P12ihipStream_tbENKUlT_T0_SK_SP_E_clISE_SE_SF_SF_EEDaS13_S14_SK_SP_EUlS13_E_NS1_11comp_targetILNS1_3genE6ELNS1_11target_archE950ELNS1_3gpuE13ELNS1_3repE0EEENS1_47radix_sort_onesweep_sort_config_static_selectorELNS0_4arch9wavefront6targetE1EEEvSK_,@function
_ZN7rocprim17ROCPRIM_400000_NS6detail17trampoline_kernelINS0_14default_configENS1_35radix_sort_onesweep_config_selectorIiNS0_10empty_typeEEEZZNS1_29radix_sort_onesweep_iterationIS3_Lb0EN6thrust23THRUST_200600_302600_NS6detail15normal_iteratorINS9_10device_ptrIiEEEESE_PS5_SF_jNS0_19identity_decomposerENS1_16block_id_wrapperIjLb1EEEEE10hipError_tT1_PNSt15iterator_traitsISK_E10value_typeET2_T3_PNSL_ISQ_E10value_typeET4_T5_PSV_SW_PNS1_23onesweep_lookback_stateEbbT6_jjT7_P12ihipStream_tbENKUlT_T0_SK_SP_E_clISE_SE_SF_SF_EEDaS13_S14_SK_SP_EUlS13_E_NS1_11comp_targetILNS1_3genE6ELNS1_11target_archE950ELNS1_3gpuE13ELNS1_3repE0EEENS1_47radix_sort_onesweep_sort_config_static_selectorELNS0_4arch9wavefront6targetE1EEEvSK_: ; @_ZN7rocprim17ROCPRIM_400000_NS6detail17trampoline_kernelINS0_14default_configENS1_35radix_sort_onesweep_config_selectorIiNS0_10empty_typeEEEZZNS1_29radix_sort_onesweep_iterationIS3_Lb0EN6thrust23THRUST_200600_302600_NS6detail15normal_iteratorINS9_10device_ptrIiEEEESE_PS5_SF_jNS0_19identity_decomposerENS1_16block_id_wrapperIjLb1EEEEE10hipError_tT1_PNSt15iterator_traitsISK_E10value_typeET2_T3_PNSL_ISQ_E10value_typeET4_T5_PSV_SW_PNS1_23onesweep_lookback_stateEbbT6_jjT7_P12ihipStream_tbENKUlT_T0_SK_SP_E_clISE_SE_SF_SF_EEDaS13_S14_SK_SP_EUlS13_E_NS1_11comp_targetILNS1_3genE6ELNS1_11target_archE950ELNS1_3gpuE13ELNS1_3repE0EEENS1_47radix_sort_onesweep_sort_config_static_selectorELNS0_4arch9wavefront6targetE1EEEvSK_
; %bb.0:
	.section	.rodata,"a",@progbits
	.p2align	6, 0x0
	.amdhsa_kernel _ZN7rocprim17ROCPRIM_400000_NS6detail17trampoline_kernelINS0_14default_configENS1_35radix_sort_onesweep_config_selectorIiNS0_10empty_typeEEEZZNS1_29radix_sort_onesweep_iterationIS3_Lb0EN6thrust23THRUST_200600_302600_NS6detail15normal_iteratorINS9_10device_ptrIiEEEESE_PS5_SF_jNS0_19identity_decomposerENS1_16block_id_wrapperIjLb1EEEEE10hipError_tT1_PNSt15iterator_traitsISK_E10value_typeET2_T3_PNSL_ISQ_E10value_typeET4_T5_PSV_SW_PNS1_23onesweep_lookback_stateEbbT6_jjT7_P12ihipStream_tbENKUlT_T0_SK_SP_E_clISE_SE_SF_SF_EEDaS13_S14_SK_SP_EUlS13_E_NS1_11comp_targetILNS1_3genE6ELNS1_11target_archE950ELNS1_3gpuE13ELNS1_3repE0EEENS1_47radix_sort_onesweep_sort_config_static_selectorELNS0_4arch9wavefront6targetE1EEEvSK_
		.amdhsa_group_segment_fixed_size 0
		.amdhsa_private_segment_fixed_size 0
		.amdhsa_kernarg_size 88
		.amdhsa_user_sgpr_count 2
		.amdhsa_user_sgpr_dispatch_ptr 0
		.amdhsa_user_sgpr_queue_ptr 0
		.amdhsa_user_sgpr_kernarg_segment_ptr 1
		.amdhsa_user_sgpr_dispatch_id 0
		.amdhsa_user_sgpr_kernarg_preload_length 0
		.amdhsa_user_sgpr_kernarg_preload_offset 0
		.amdhsa_user_sgpr_private_segment_size 0
		.amdhsa_uses_dynamic_stack 0
		.amdhsa_enable_private_segment 0
		.amdhsa_system_sgpr_workgroup_id_x 1
		.amdhsa_system_sgpr_workgroup_id_y 0
		.amdhsa_system_sgpr_workgroup_id_z 0
		.amdhsa_system_sgpr_workgroup_info 0
		.amdhsa_system_vgpr_workitem_id 0
		.amdhsa_next_free_vgpr 1
		.amdhsa_next_free_sgpr 0
		.amdhsa_accum_offset 4
		.amdhsa_reserve_vcc 0
		.amdhsa_float_round_mode_32 0
		.amdhsa_float_round_mode_16_64 0
		.amdhsa_float_denorm_mode_32 3
		.amdhsa_float_denorm_mode_16_64 3
		.amdhsa_dx10_clamp 1
		.amdhsa_ieee_mode 1
		.amdhsa_fp16_overflow 0
		.amdhsa_tg_split 0
		.amdhsa_exception_fp_ieee_invalid_op 0
		.amdhsa_exception_fp_denorm_src 0
		.amdhsa_exception_fp_ieee_div_zero 0
		.amdhsa_exception_fp_ieee_overflow 0
		.amdhsa_exception_fp_ieee_underflow 0
		.amdhsa_exception_fp_ieee_inexact 0
		.amdhsa_exception_int_div_zero 0
	.end_amdhsa_kernel
	.section	.text._ZN7rocprim17ROCPRIM_400000_NS6detail17trampoline_kernelINS0_14default_configENS1_35radix_sort_onesweep_config_selectorIiNS0_10empty_typeEEEZZNS1_29radix_sort_onesweep_iterationIS3_Lb0EN6thrust23THRUST_200600_302600_NS6detail15normal_iteratorINS9_10device_ptrIiEEEESE_PS5_SF_jNS0_19identity_decomposerENS1_16block_id_wrapperIjLb1EEEEE10hipError_tT1_PNSt15iterator_traitsISK_E10value_typeET2_T3_PNSL_ISQ_E10value_typeET4_T5_PSV_SW_PNS1_23onesweep_lookback_stateEbbT6_jjT7_P12ihipStream_tbENKUlT_T0_SK_SP_E_clISE_SE_SF_SF_EEDaS13_S14_SK_SP_EUlS13_E_NS1_11comp_targetILNS1_3genE6ELNS1_11target_archE950ELNS1_3gpuE13ELNS1_3repE0EEENS1_47radix_sort_onesweep_sort_config_static_selectorELNS0_4arch9wavefront6targetE1EEEvSK_,"axG",@progbits,_ZN7rocprim17ROCPRIM_400000_NS6detail17trampoline_kernelINS0_14default_configENS1_35radix_sort_onesweep_config_selectorIiNS0_10empty_typeEEEZZNS1_29radix_sort_onesweep_iterationIS3_Lb0EN6thrust23THRUST_200600_302600_NS6detail15normal_iteratorINS9_10device_ptrIiEEEESE_PS5_SF_jNS0_19identity_decomposerENS1_16block_id_wrapperIjLb1EEEEE10hipError_tT1_PNSt15iterator_traitsISK_E10value_typeET2_T3_PNSL_ISQ_E10value_typeET4_T5_PSV_SW_PNS1_23onesweep_lookback_stateEbbT6_jjT7_P12ihipStream_tbENKUlT_T0_SK_SP_E_clISE_SE_SF_SF_EEDaS13_S14_SK_SP_EUlS13_E_NS1_11comp_targetILNS1_3genE6ELNS1_11target_archE950ELNS1_3gpuE13ELNS1_3repE0EEENS1_47radix_sort_onesweep_sort_config_static_selectorELNS0_4arch9wavefront6targetE1EEEvSK_,comdat
.Lfunc_end1747:
	.size	_ZN7rocprim17ROCPRIM_400000_NS6detail17trampoline_kernelINS0_14default_configENS1_35radix_sort_onesweep_config_selectorIiNS0_10empty_typeEEEZZNS1_29radix_sort_onesweep_iterationIS3_Lb0EN6thrust23THRUST_200600_302600_NS6detail15normal_iteratorINS9_10device_ptrIiEEEESE_PS5_SF_jNS0_19identity_decomposerENS1_16block_id_wrapperIjLb1EEEEE10hipError_tT1_PNSt15iterator_traitsISK_E10value_typeET2_T3_PNSL_ISQ_E10value_typeET4_T5_PSV_SW_PNS1_23onesweep_lookback_stateEbbT6_jjT7_P12ihipStream_tbENKUlT_T0_SK_SP_E_clISE_SE_SF_SF_EEDaS13_S14_SK_SP_EUlS13_E_NS1_11comp_targetILNS1_3genE6ELNS1_11target_archE950ELNS1_3gpuE13ELNS1_3repE0EEENS1_47radix_sort_onesweep_sort_config_static_selectorELNS0_4arch9wavefront6targetE1EEEvSK_, .Lfunc_end1747-_ZN7rocprim17ROCPRIM_400000_NS6detail17trampoline_kernelINS0_14default_configENS1_35radix_sort_onesweep_config_selectorIiNS0_10empty_typeEEEZZNS1_29radix_sort_onesweep_iterationIS3_Lb0EN6thrust23THRUST_200600_302600_NS6detail15normal_iteratorINS9_10device_ptrIiEEEESE_PS5_SF_jNS0_19identity_decomposerENS1_16block_id_wrapperIjLb1EEEEE10hipError_tT1_PNSt15iterator_traitsISK_E10value_typeET2_T3_PNSL_ISQ_E10value_typeET4_T5_PSV_SW_PNS1_23onesweep_lookback_stateEbbT6_jjT7_P12ihipStream_tbENKUlT_T0_SK_SP_E_clISE_SE_SF_SF_EEDaS13_S14_SK_SP_EUlS13_E_NS1_11comp_targetILNS1_3genE6ELNS1_11target_archE950ELNS1_3gpuE13ELNS1_3repE0EEENS1_47radix_sort_onesweep_sort_config_static_selectorELNS0_4arch9wavefront6targetE1EEEvSK_
                                        ; -- End function
	.section	.AMDGPU.csdata,"",@progbits
; Kernel info:
; codeLenInByte = 0
; NumSgprs: 6
; NumVgprs: 0
; NumAgprs: 0
; TotalNumVgprs: 0
; ScratchSize: 0
; MemoryBound: 0
; FloatMode: 240
; IeeeMode: 1
; LDSByteSize: 0 bytes/workgroup (compile time only)
; SGPRBlocks: 0
; VGPRBlocks: 0
; NumSGPRsForWavesPerEU: 6
; NumVGPRsForWavesPerEU: 1
; AccumOffset: 4
; Occupancy: 8
; WaveLimiterHint : 0
; COMPUTE_PGM_RSRC2:SCRATCH_EN: 0
; COMPUTE_PGM_RSRC2:USER_SGPR: 2
; COMPUTE_PGM_RSRC2:TRAP_HANDLER: 0
; COMPUTE_PGM_RSRC2:TGID_X_EN: 1
; COMPUTE_PGM_RSRC2:TGID_Y_EN: 0
; COMPUTE_PGM_RSRC2:TGID_Z_EN: 0
; COMPUTE_PGM_RSRC2:TIDIG_COMP_CNT: 0
; COMPUTE_PGM_RSRC3_GFX90A:ACCUM_OFFSET: 0
; COMPUTE_PGM_RSRC3_GFX90A:TG_SPLIT: 0
	.section	.text._ZN7rocprim17ROCPRIM_400000_NS6detail17trampoline_kernelINS0_14default_configENS1_35radix_sort_onesweep_config_selectorIiNS0_10empty_typeEEEZZNS1_29radix_sort_onesweep_iterationIS3_Lb0EN6thrust23THRUST_200600_302600_NS6detail15normal_iteratorINS9_10device_ptrIiEEEESE_PS5_SF_jNS0_19identity_decomposerENS1_16block_id_wrapperIjLb1EEEEE10hipError_tT1_PNSt15iterator_traitsISK_E10value_typeET2_T3_PNSL_ISQ_E10value_typeET4_T5_PSV_SW_PNS1_23onesweep_lookback_stateEbbT6_jjT7_P12ihipStream_tbENKUlT_T0_SK_SP_E_clISE_SE_SF_SF_EEDaS13_S14_SK_SP_EUlS13_E_NS1_11comp_targetILNS1_3genE5ELNS1_11target_archE942ELNS1_3gpuE9ELNS1_3repE0EEENS1_47radix_sort_onesweep_sort_config_static_selectorELNS0_4arch9wavefront6targetE1EEEvSK_,"axG",@progbits,_ZN7rocprim17ROCPRIM_400000_NS6detail17trampoline_kernelINS0_14default_configENS1_35radix_sort_onesweep_config_selectorIiNS0_10empty_typeEEEZZNS1_29radix_sort_onesweep_iterationIS3_Lb0EN6thrust23THRUST_200600_302600_NS6detail15normal_iteratorINS9_10device_ptrIiEEEESE_PS5_SF_jNS0_19identity_decomposerENS1_16block_id_wrapperIjLb1EEEEE10hipError_tT1_PNSt15iterator_traitsISK_E10value_typeET2_T3_PNSL_ISQ_E10value_typeET4_T5_PSV_SW_PNS1_23onesweep_lookback_stateEbbT6_jjT7_P12ihipStream_tbENKUlT_T0_SK_SP_E_clISE_SE_SF_SF_EEDaS13_S14_SK_SP_EUlS13_E_NS1_11comp_targetILNS1_3genE5ELNS1_11target_archE942ELNS1_3gpuE9ELNS1_3repE0EEENS1_47radix_sort_onesweep_sort_config_static_selectorELNS0_4arch9wavefront6targetE1EEEvSK_,comdat
	.protected	_ZN7rocprim17ROCPRIM_400000_NS6detail17trampoline_kernelINS0_14default_configENS1_35radix_sort_onesweep_config_selectorIiNS0_10empty_typeEEEZZNS1_29radix_sort_onesweep_iterationIS3_Lb0EN6thrust23THRUST_200600_302600_NS6detail15normal_iteratorINS9_10device_ptrIiEEEESE_PS5_SF_jNS0_19identity_decomposerENS1_16block_id_wrapperIjLb1EEEEE10hipError_tT1_PNSt15iterator_traitsISK_E10value_typeET2_T3_PNSL_ISQ_E10value_typeET4_T5_PSV_SW_PNS1_23onesweep_lookback_stateEbbT6_jjT7_P12ihipStream_tbENKUlT_T0_SK_SP_E_clISE_SE_SF_SF_EEDaS13_S14_SK_SP_EUlS13_E_NS1_11comp_targetILNS1_3genE5ELNS1_11target_archE942ELNS1_3gpuE9ELNS1_3repE0EEENS1_47radix_sort_onesweep_sort_config_static_selectorELNS0_4arch9wavefront6targetE1EEEvSK_ ; -- Begin function _ZN7rocprim17ROCPRIM_400000_NS6detail17trampoline_kernelINS0_14default_configENS1_35radix_sort_onesweep_config_selectorIiNS0_10empty_typeEEEZZNS1_29radix_sort_onesweep_iterationIS3_Lb0EN6thrust23THRUST_200600_302600_NS6detail15normal_iteratorINS9_10device_ptrIiEEEESE_PS5_SF_jNS0_19identity_decomposerENS1_16block_id_wrapperIjLb1EEEEE10hipError_tT1_PNSt15iterator_traitsISK_E10value_typeET2_T3_PNSL_ISQ_E10value_typeET4_T5_PSV_SW_PNS1_23onesweep_lookback_stateEbbT6_jjT7_P12ihipStream_tbENKUlT_T0_SK_SP_E_clISE_SE_SF_SF_EEDaS13_S14_SK_SP_EUlS13_E_NS1_11comp_targetILNS1_3genE5ELNS1_11target_archE942ELNS1_3gpuE9ELNS1_3repE0EEENS1_47radix_sort_onesweep_sort_config_static_selectorELNS0_4arch9wavefront6targetE1EEEvSK_
	.globl	_ZN7rocprim17ROCPRIM_400000_NS6detail17trampoline_kernelINS0_14default_configENS1_35radix_sort_onesweep_config_selectorIiNS0_10empty_typeEEEZZNS1_29radix_sort_onesweep_iterationIS3_Lb0EN6thrust23THRUST_200600_302600_NS6detail15normal_iteratorINS9_10device_ptrIiEEEESE_PS5_SF_jNS0_19identity_decomposerENS1_16block_id_wrapperIjLb1EEEEE10hipError_tT1_PNSt15iterator_traitsISK_E10value_typeET2_T3_PNSL_ISQ_E10value_typeET4_T5_PSV_SW_PNS1_23onesweep_lookback_stateEbbT6_jjT7_P12ihipStream_tbENKUlT_T0_SK_SP_E_clISE_SE_SF_SF_EEDaS13_S14_SK_SP_EUlS13_E_NS1_11comp_targetILNS1_3genE5ELNS1_11target_archE942ELNS1_3gpuE9ELNS1_3repE0EEENS1_47radix_sort_onesweep_sort_config_static_selectorELNS0_4arch9wavefront6targetE1EEEvSK_
	.p2align	8
	.type	_ZN7rocprim17ROCPRIM_400000_NS6detail17trampoline_kernelINS0_14default_configENS1_35radix_sort_onesweep_config_selectorIiNS0_10empty_typeEEEZZNS1_29radix_sort_onesweep_iterationIS3_Lb0EN6thrust23THRUST_200600_302600_NS6detail15normal_iteratorINS9_10device_ptrIiEEEESE_PS5_SF_jNS0_19identity_decomposerENS1_16block_id_wrapperIjLb1EEEEE10hipError_tT1_PNSt15iterator_traitsISK_E10value_typeET2_T3_PNSL_ISQ_E10value_typeET4_T5_PSV_SW_PNS1_23onesweep_lookback_stateEbbT6_jjT7_P12ihipStream_tbENKUlT_T0_SK_SP_E_clISE_SE_SF_SF_EEDaS13_S14_SK_SP_EUlS13_E_NS1_11comp_targetILNS1_3genE5ELNS1_11target_archE942ELNS1_3gpuE9ELNS1_3repE0EEENS1_47radix_sort_onesweep_sort_config_static_selectorELNS0_4arch9wavefront6targetE1EEEvSK_,@function
_ZN7rocprim17ROCPRIM_400000_NS6detail17trampoline_kernelINS0_14default_configENS1_35radix_sort_onesweep_config_selectorIiNS0_10empty_typeEEEZZNS1_29radix_sort_onesweep_iterationIS3_Lb0EN6thrust23THRUST_200600_302600_NS6detail15normal_iteratorINS9_10device_ptrIiEEEESE_PS5_SF_jNS0_19identity_decomposerENS1_16block_id_wrapperIjLb1EEEEE10hipError_tT1_PNSt15iterator_traitsISK_E10value_typeET2_T3_PNSL_ISQ_E10value_typeET4_T5_PSV_SW_PNS1_23onesweep_lookback_stateEbbT6_jjT7_P12ihipStream_tbENKUlT_T0_SK_SP_E_clISE_SE_SF_SF_EEDaS13_S14_SK_SP_EUlS13_E_NS1_11comp_targetILNS1_3genE5ELNS1_11target_archE942ELNS1_3gpuE9ELNS1_3repE0EEENS1_47radix_sort_onesweep_sort_config_static_selectorELNS0_4arch9wavefront6targetE1EEEvSK_: ; @_ZN7rocprim17ROCPRIM_400000_NS6detail17trampoline_kernelINS0_14default_configENS1_35radix_sort_onesweep_config_selectorIiNS0_10empty_typeEEEZZNS1_29radix_sort_onesweep_iterationIS3_Lb0EN6thrust23THRUST_200600_302600_NS6detail15normal_iteratorINS9_10device_ptrIiEEEESE_PS5_SF_jNS0_19identity_decomposerENS1_16block_id_wrapperIjLb1EEEEE10hipError_tT1_PNSt15iterator_traitsISK_E10value_typeET2_T3_PNSL_ISQ_E10value_typeET4_T5_PSV_SW_PNS1_23onesweep_lookback_stateEbbT6_jjT7_P12ihipStream_tbENKUlT_T0_SK_SP_E_clISE_SE_SF_SF_EEDaS13_S14_SK_SP_EUlS13_E_NS1_11comp_targetILNS1_3genE5ELNS1_11target_archE942ELNS1_3gpuE9ELNS1_3repE0EEENS1_47radix_sort_onesweep_sort_config_static_selectorELNS0_4arch9wavefront6targetE1EEEvSK_
; %bb.0:
	s_load_dwordx4 s[20:23], s[0:1], 0x28
	s_load_dwordx2 s[18:19], s[0:1], 0x38
	s_load_dwordx4 s[24:27], s[0:1], 0x44
	v_and_b32_e32 v10, 0x3ff, v0
	v_cmp_eq_u32_e64 s[10:11], 0, v10
	s_and_saveexec_b64 s[4:5], s[10:11]
	s_cbranch_execz .LBB1748_4
; %bb.1:
	s_mov_b64 s[8:9], exec
	v_mbcnt_lo_u32_b32 v1, s8, 0
	v_mbcnt_hi_u32_b32 v1, s9, v1
	v_cmp_eq_u32_e32 vcc, 0, v1
                                        ; implicit-def: $vgpr2
	s_and_saveexec_b64 s[6:7], vcc
	s_cbranch_execz .LBB1748_3
; %bb.2:
	s_load_dwordx2 s[12:13], s[0:1], 0x50
	s_bcnt1_i32_b64 s3, s[8:9]
	v_mov_b32_e32 v2, 0
	v_mov_b32_e32 v3, s3
	s_waitcnt lgkmcnt(0)
	global_atomic_add v2, v2, v3, s[12:13] sc0
.LBB1748_3:
	s_or_b64 exec, exec, s[6:7]
	s_waitcnt vmcnt(0)
	v_readfirstlane_b32 s3, v2
	v_mov_b32_e32 v2, 0
	s_nop 0
	v_add_u32_e32 v1, s3, v1
	ds_write_b32 v2, v1 offset:20544
.LBB1748_4:
	s_or_b64 exec, exec, s[4:5]
	v_mov_b32_e32 v3, 0
	s_load_dwordx4 s[28:31], s[0:1], 0x0
	s_load_dword s3, s[0:1], 0x20
	s_waitcnt lgkmcnt(0)
	s_barrier
	ds_read_b32 v1, v3 offset:20544
	s_waitcnt lgkmcnt(0)
	s_barrier
	v_cmp_le_u32_e32 vcc, s26, v1
	v_readfirstlane_b32 s27, v1
	v_mbcnt_lo_u32_b32 v1, -1, 0
	s_cbranch_vccz .LBB1748_83
; %bb.5:
	s_lshl_b32 s4, s26, 13
	s_sub_i32 s3, s3, s4
	s_lshl_b32 s4, s27, 13
	s_mov_b32 s5, 0
	s_lshl_b64 s[4:5], s[4:5], 2
	v_mbcnt_hi_u32_b32 v16, -1, v1
	s_add_u32 s4, s28, s4
	v_and_b32_e32 v6, 63, v16
	v_lshlrev_b32_e32 v2, 3, v10
	s_addc_u32 s5, s29, s5
	v_and_b32_e32 v7, 0x1e00, v2
	v_lshlrev_b32_e32 v2, 2, v6
	s_brev_b32 s36, -2
	v_lshl_add_u64 v[4:5], s[4:5], 0, v[2:3]
	v_lshlrev_b32_e32 v2, 2, v7
	s_mov_b32 s37, s36
	v_lshl_add_u64 v[12:13], v[4:5], 0, v[2:3]
	v_or_b32_e32 v11, v6, v7
	s_mov_b32 s38, s36
	s_mov_b32 s39, s36
	;; [unrolled: 1-line block ×6, first 2 shown]
	v_mov_b64_e32 v[2:3], s[36:37]
	v_cmp_gt_u32_e32 vcc, s3, v11
	v_mov_b64_e32 v[4:5], s[38:39]
	v_mov_b64_e32 v[6:7], s[40:41]
	;; [unrolled: 1-line block ×3, first 2 shown]
	s_and_saveexec_b64 s[4:5], vcc
	s_cbranch_execz .LBB1748_7
; %bb.6:
	global_load_dword v2, v[12:13], off
	v_bfrev_b32_e32 v3, -2
	v_mov_b32_e32 v4, v3
	v_mov_b32_e32 v5, v3
	;; [unrolled: 1-line block ×6, first 2 shown]
.LBB1748_7:
	s_or_b64 exec, exec, s[4:5]
	v_or_b32_e32 v14, 64, v11
	v_cmp_gt_u32_e32 vcc, s3, v14
	s_and_saveexec_b64 s[4:5], vcc
	s_cbranch_execz .LBB1748_9
; %bb.8:
	global_load_dword v3, v[12:13], off offset:256
.LBB1748_9:
	s_or_b64 exec, exec, s[4:5]
	v_or_b32_e32 v14, 0x80, v11
	v_cmp_gt_u32_e32 vcc, s3, v14
	s_and_saveexec_b64 s[4:5], vcc
	s_cbranch_execz .LBB1748_11
; %bb.10:
	global_load_dword v4, v[12:13], off offset:512
.LBB1748_11:
	;; [unrolled: 8-line block ×7, first 2 shown]
	s_or_b64 exec, exec, s[4:5]
	s_load_dword s4, s[0:1], 0x64
	s_load_dword s26, s[0:1], 0x58
	s_add_u32 s5, s0, 0x58
	s_addc_u32 s6, s1, 0
	v_mov_b32_e32 v13, 0
	s_waitcnt lgkmcnt(0)
	s_lshr_b32 s7, s4, 16
	s_cmp_lt_u32 s2, s26
	s_cselect_b32 s4, 12, 18
	s_add_u32 s4, s5, s4
	s_addc_u32 s5, s6, 0
	global_load_ushort v17, v13, s[4:5]
	s_waitcnt vmcnt(1)
	v_xor_b32_e32 v11, 0x80000000, v2
	s_lshl_b32 s4, -1, s25
	v_lshrrev_b32_e32 v15, s24, v11
	s_not_b32 s33, s4
	v_bfe_u32 v2, v0, 10, 10
	v_bfe_u32 v12, v0, 20, 10
	v_and_b32_e32 v19, s33, v15
	v_mul_u32_u24_e32 v14, 5, v10
	v_mad_u32_u24 v2, v12, s7, v2
	v_and_b32_e32 v12, 1, v19
	v_lshlrev_b32_e32 v15, 30, v19
	v_lshlrev_b32_e32 v18, 2, v14
	v_mov_b32_e32 v14, v13
	v_mov_b32_e32 v22, v13
	v_lshlrev_b32_e32 v21, 29, v19
	v_lshlrev_b32_e32 v23, 28, v19
	v_lshl_add_u64 v[30:31], v[12:13], 0, -1
	v_cmp_ne_u32_e32 vcc, 0, v12
	v_not_b32_e32 v12, v15
	v_mov_b32_e32 v20, v13
	v_mov_b32_e32 v24, v13
	v_lshlrev_b32_e32 v25, 27, v19
	v_cmp_gt_i64_e64 s[4:5], 0, v[14:15]
	v_not_b32_e32 v14, v21
	v_cmp_gt_i64_e64 s[8:9], 0, v[22:23]
	v_not_b32_e32 v15, v23
	v_xor_b32_e32 v23, vcc_hi, v31
	v_ashrrev_i32_e32 v12, 31, v12
	v_mov_b32_e32 v26, v13
	v_lshlrev_b32_e32 v27, 26, v19
	v_cmp_gt_i64_e64 s[6:7], 0, v[20:21]
	v_cmp_gt_i64_e64 s[12:13], 0, v[24:25]
	v_not_b32_e32 v20, v25
	v_xor_b32_e32 v24, vcc_lo, v30
	v_ashrrev_i32_e32 v14, 31, v14
	v_and_b32_e32 v23, exec_hi, v23
	v_xor_b32_e32 v25, s5, v12
	v_cmp_gt_i64_e64 s[14:15], 0, v[26:27]
	v_ashrrev_i32_e32 v15, 31, v15
	v_and_b32_e32 v24, exec_lo, v24
	v_xor_b32_e32 v12, s4, v12
	v_xor_b32_e32 v26, s7, v14
	v_and_b32_e32 v23, v23, v25
	v_mov_b32_e32 v28, v13
	v_lshlrev_b32_e32 v29, 25, v19
	v_not_b32_e32 v21, v27
	v_ashrrev_i32_e32 v20, 31, v20
	v_xor_b32_e32 v14, s6, v14
	v_xor_b32_e32 v27, s9, v15
	v_and_b32_e32 v12, v24, v12
	v_and_b32_e32 v23, v23, v26
	v_cmp_gt_i64_e64 s[16:17], 0, v[28:29]
	v_not_b32_e32 v22, v29
	v_ashrrev_i32_e32 v21, 31, v21
	v_xor_b32_e32 v28, s13, v20
	v_and_b32_e32 v12, v12, v14
	v_and_b32_e32 v14, v23, v27
	v_ashrrev_i32_e32 v22, 31, v22
	v_xor_b32_e32 v15, s8, v15
	v_xor_b32_e32 v29, s15, v21
	v_and_b32_e32 v14, v14, v28
	v_xor_b32_e32 v20, s12, v20
	v_xor_b32_e32 v30, s17, v22
	v_and_b32_e32 v12, v12, v15
	v_and_b32_e32 v14, v14, v29
	;; [unrolled: 1-line block ×4, first 2 shown]
	v_xor_b32_e32 v21, s14, v21
	v_xor_b32_e32 v22, s16, v22
	v_and_b32_e32 v12, v12, v21
	v_and_b32_e32 v12, v12, v22
	v_lshl_add_u32 v32, v19, 4, v19
	ds_write2_b32 v18, v13, v13 offset0:16 offset1:17
	ds_write2_b32 v18, v13, v13 offset0:18 offset1:19
	ds_write_b32 v18, v13 offset:80
	s_waitcnt lgkmcnt(0)
	s_barrier
	s_waitcnt lgkmcnt(0)
	; wave barrier
	s_waitcnt vmcnt(0)
	v_mad_u64_u32 v[14:15], s[4:5], v2, v17, v[10:11]
	v_lshlrev_b32_e32 v15, 24, v19
	v_lshrrev_b32_e32 v30, 6, v14
	v_mov_b32_e32 v14, v13
	v_not_b32_e32 v2, v15
	v_cmp_gt_i64_e32 vcc, 0, v[14:15]
	v_ashrrev_i32_e32 v2, 31, v2
	v_add_lshl_u32 v22, v30, v32, 2
	v_xor_b32_e32 v14, vcc_hi, v2
	v_xor_b32_e32 v2, vcc_lo, v2
	v_and_b32_e32 v15, v20, v14
	v_and_b32_e32 v14, v12, v2
	v_mbcnt_lo_u32_b32 v2, v14, 0
	v_mbcnt_hi_u32_b32 v17, v15, v2
	v_cmp_eq_u32_e32 vcc, 0, v17
	v_cmp_ne_u64_e64 s[4:5], 0, v[14:15]
	s_and_b64 s[6:7], s[4:5], vcc
	s_and_saveexec_b64 s[4:5], s[6:7]
	s_cbranch_execz .LBB1748_23
; %bb.22:
	v_bcnt_u32_b32 v2, v14, 0
	v_bcnt_u32_b32 v2, v15, v2
	ds_write_b32 v22, v2 offset:64
.LBB1748_23:
	s_or_b64 exec, exec, s[4:5]
	v_xor_b32_e32 v14, 0x80000000, v3
	v_lshrrev_b32_e32 v2, s24, v14
	v_and_b32_e32 v15, s33, v2
	v_lshl_add_u32 v2, v15, 4, v15
	v_and_b32_e32 v12, 1, v15
	v_add_lshl_u32 v23, v30, v2, 2
	v_lshl_add_u64 v[2:3], v[12:13], 0, -1
	v_cmp_ne_u32_e32 vcc, 0, v12
	; wave barrier
	s_nop 1
	v_xor_b32_e32 v3, vcc_hi, v3
	v_xor_b32_e32 v2, vcc_lo, v2
	v_and_b32_e32 v12, exec_hi, v3
	v_and_b32_e32 v20, exec_lo, v2
	v_lshlrev_b32_e32 v3, 30, v15
	v_mov_b32_e32 v2, v13
	v_cmp_gt_i64_e32 vcc, 0, v[2:3]
	v_not_b32_e32 v2, v3
	v_ashrrev_i32_e32 v2, 31, v2
	v_xor_b32_e32 v3, vcc_hi, v2
	v_xor_b32_e32 v2, vcc_lo, v2
	v_and_b32_e32 v12, v12, v3
	v_and_b32_e32 v20, v20, v2
	v_lshlrev_b32_e32 v3, 29, v15
	v_mov_b32_e32 v2, v13
	v_cmp_gt_i64_e32 vcc, 0, v[2:3]
	v_not_b32_e32 v2, v3
	v_ashrrev_i32_e32 v2, 31, v2
	v_xor_b32_e32 v3, vcc_hi, v2
	v_xor_b32_e32 v2, vcc_lo, v2
	v_and_b32_e32 v12, v12, v3
	v_and_b32_e32 v20, v20, v2
	;; [unrolled: 9-line block ×6, first 2 shown]
	v_lshlrev_b32_e32 v3, 24, v15
	v_mov_b32_e32 v2, v13
	v_cmp_gt_i64_e32 vcc, 0, v[2:3]
	v_not_b32_e32 v2, v3
	v_ashrrev_i32_e32 v2, 31, v2
	v_xor_b32_e32 v3, vcc_hi, v2
	v_xor_b32_e32 v2, vcc_lo, v2
	ds_read_b32 v19, v23 offset:64
	v_and_b32_e32 v2, v20, v2
	v_and_b32_e32 v3, v12, v3
	v_mbcnt_lo_u32_b32 v12, v2, 0
	v_mbcnt_hi_u32_b32 v20, v3, v12
	v_cmp_eq_u32_e32 vcc, 0, v20
	v_cmp_ne_u64_e64 s[4:5], 0, v[2:3]
	s_and_b64 s[6:7], s[4:5], vcc
	; wave barrier
	s_and_saveexec_b64 s[4:5], s[6:7]
	s_cbranch_execz .LBB1748_25
; %bb.24:
	v_bcnt_u32_b32 v2, v2, 0
	v_bcnt_u32_b32 v2, v3, v2
	s_waitcnt lgkmcnt(0)
	v_add_u32_e32 v2, v19, v2
	ds_write_b32 v23, v2 offset:64
.LBB1748_25:
	s_or_b64 exec, exec, s[4:5]
	v_xor_b32_e32 v15, 0x80000000, v4
	v_lshrrev_b32_e32 v2, s24, v15
	v_and_b32_e32 v4, s33, v2
	v_lshl_add_u32 v2, v4, 4, v4
	v_add_lshl_u32 v27, v30, v2, 2
	v_and_b32_e32 v2, 1, v4
	v_mov_b32_e32 v3, 0
	v_lshl_add_u64 v[12:13], v[2:3], 0, -1
	v_cmp_ne_u32_e32 vcc, 0, v2
	; wave barrier
	s_nop 1
	v_xor_b32_e32 v12, vcc_lo, v12
	v_xor_b32_e32 v2, vcc_hi, v13
	v_and_b32_e32 v24, exec_lo, v12
	v_lshlrev_b32_e32 v13, 30, v4
	v_mov_b32_e32 v12, v3
	v_cmp_gt_i64_e32 vcc, 0, v[12:13]
	v_not_b32_e32 v12, v13
	v_ashrrev_i32_e32 v12, 31, v12
	v_and_b32_e32 v2, exec_hi, v2
	v_xor_b32_e32 v13, vcc_hi, v12
	v_xor_b32_e32 v12, vcc_lo, v12
	v_and_b32_e32 v2, v2, v13
	v_and_b32_e32 v24, v24, v12
	v_lshlrev_b32_e32 v13, 29, v4
	v_mov_b32_e32 v12, v3
	v_cmp_gt_i64_e32 vcc, 0, v[12:13]
	v_not_b32_e32 v12, v13
	v_ashrrev_i32_e32 v12, 31, v12
	v_xor_b32_e32 v13, vcc_hi, v12
	v_xor_b32_e32 v12, vcc_lo, v12
	v_and_b32_e32 v2, v2, v13
	v_and_b32_e32 v24, v24, v12
	v_lshlrev_b32_e32 v13, 28, v4
	v_mov_b32_e32 v12, v3
	v_cmp_gt_i64_e32 vcc, 0, v[12:13]
	v_not_b32_e32 v12, v13
	v_ashrrev_i32_e32 v12, 31, v12
	;; [unrolled: 9-line block ×5, first 2 shown]
	v_xor_b32_e32 v13, vcc_hi, v12
	v_xor_b32_e32 v12, vcc_lo, v12
	v_and_b32_e32 v2, v2, v13
	v_lshlrev_b32_e32 v13, 24, v4
	v_and_b32_e32 v24, v24, v12
	v_mov_b32_e32 v12, v3
	v_not_b32_e32 v4, v13
	v_cmp_gt_i64_e32 vcc, 0, v[12:13]
	v_ashrrev_i32_e32 v4, 31, v4
	ds_read_b32 v21, v27 offset:64
	v_xor_b32_e32 v12, vcc_hi, v4
	v_xor_b32_e32 v4, vcc_lo, v4
	v_and_b32_e32 v13, v2, v12
	v_and_b32_e32 v12, v24, v4
	v_mbcnt_lo_u32_b32 v2, v12, 0
	v_mbcnt_hi_u32_b32 v25, v13, v2
	v_cmp_eq_u32_e32 vcc, 0, v25
	v_cmp_ne_u64_e64 s[4:5], 0, v[12:13]
	s_and_b64 s[6:7], s[4:5], vcc
	; wave barrier
	s_and_saveexec_b64 s[4:5], s[6:7]
	s_cbranch_execz .LBB1748_27
; %bb.26:
	v_bcnt_u32_b32 v2, v12, 0
	v_bcnt_u32_b32 v2, v13, v2
	s_waitcnt lgkmcnt(0)
	v_add_u32_e32 v2, v21, v2
	ds_write_b32 v27, v2 offset:64
.LBB1748_27:
	s_or_b64 exec, exec, s[4:5]
	v_xor_b32_e32 v12, 0x80000000, v5
	v_lshrrev_b32_e32 v2, s24, v12
	v_and_b32_e32 v13, s33, v2
	v_lshl_add_u32 v2, v13, 4, v13
	v_add_lshl_u32 v31, v30, v2, 2
	v_and_b32_e32 v2, 1, v13
	v_lshl_add_u64 v[4:5], v[2:3], 0, -1
	v_cmp_ne_u32_e32 vcc, 0, v2
	; wave barrier
	s_nop 1
	v_xor_b32_e32 v4, vcc_lo, v4
	v_xor_b32_e32 v2, vcc_hi, v5
	v_and_b32_e32 v24, exec_lo, v4
	v_lshlrev_b32_e32 v5, 30, v13
	v_mov_b32_e32 v4, v3
	v_cmp_gt_i64_e32 vcc, 0, v[4:5]
	v_not_b32_e32 v4, v5
	v_ashrrev_i32_e32 v4, 31, v4
	v_and_b32_e32 v2, exec_hi, v2
	v_xor_b32_e32 v5, vcc_hi, v4
	v_xor_b32_e32 v4, vcc_lo, v4
	v_and_b32_e32 v2, v2, v5
	v_and_b32_e32 v24, v24, v4
	v_lshlrev_b32_e32 v5, 29, v13
	v_mov_b32_e32 v4, v3
	v_cmp_gt_i64_e32 vcc, 0, v[4:5]
	v_not_b32_e32 v4, v5
	v_ashrrev_i32_e32 v4, 31, v4
	v_xor_b32_e32 v5, vcc_hi, v4
	v_xor_b32_e32 v4, vcc_lo, v4
	v_and_b32_e32 v2, v2, v5
	v_and_b32_e32 v24, v24, v4
	v_lshlrev_b32_e32 v5, 28, v13
	v_mov_b32_e32 v4, v3
	v_cmp_gt_i64_e32 vcc, 0, v[4:5]
	v_not_b32_e32 v4, v5
	v_ashrrev_i32_e32 v4, 31, v4
	;; [unrolled: 9-line block ×5, first 2 shown]
	v_xor_b32_e32 v5, vcc_hi, v4
	v_xor_b32_e32 v4, vcc_lo, v4
	v_and_b32_e32 v2, v2, v5
	v_lshlrev_b32_e32 v5, 24, v13
	v_and_b32_e32 v24, v24, v4
	v_mov_b32_e32 v4, v3
	v_not_b32_e32 v3, v5
	v_cmp_gt_i64_e32 vcc, 0, v[4:5]
	v_ashrrev_i32_e32 v3, 31, v3
	ds_read_b32 v26, v31 offset:64
	v_xor_b32_e32 v4, vcc_hi, v3
	v_xor_b32_e32 v5, vcc_lo, v3
	v_and_b32_e32 v3, v2, v4
	v_and_b32_e32 v2, v24, v5
	v_mbcnt_lo_u32_b32 v4, v2, 0
	v_mbcnt_hi_u32_b32 v28, v3, v4
	v_cmp_eq_u32_e32 vcc, 0, v28
	v_cmp_ne_u64_e64 s[4:5], 0, v[2:3]
	s_and_b64 s[6:7], s[4:5], vcc
	; wave barrier
	s_and_saveexec_b64 s[4:5], s[6:7]
	s_cbranch_execz .LBB1748_29
; %bb.28:
	v_bcnt_u32_b32 v2, v2, 0
	v_bcnt_u32_b32 v2, v3, v2
	s_waitcnt lgkmcnt(0)
	v_add_u32_e32 v2, v26, v2
	ds_write_b32 v31, v2 offset:64
.LBB1748_29:
	s_or_b64 exec, exec, s[4:5]
	v_xor_b32_e32 v13, 0x80000000, v6
	v_lshrrev_b32_e32 v2, s24, v13
	v_and_b32_e32 v24, s33, v2
	v_lshl_add_u32 v2, v24, 4, v24
	v_add_lshl_u32 v6, v30, v2, 2
	v_and_b32_e32 v2, 1, v24
	v_mov_b32_e32 v3, 0
	v_lshl_add_u64 v[4:5], v[2:3], 0, -1
	v_cmp_ne_u32_e32 vcc, 0, v2
	; wave barrier
	s_nop 1
	v_xor_b32_e32 v4, vcc_lo, v4
	v_xor_b32_e32 v2, vcc_hi, v5
	v_and_b32_e32 v32, exec_lo, v4
	v_lshlrev_b32_e32 v5, 30, v24
	v_mov_b32_e32 v4, v3
	v_cmp_gt_i64_e32 vcc, 0, v[4:5]
	v_not_b32_e32 v4, v5
	v_ashrrev_i32_e32 v4, 31, v4
	v_and_b32_e32 v2, exec_hi, v2
	v_xor_b32_e32 v5, vcc_hi, v4
	v_xor_b32_e32 v4, vcc_lo, v4
	v_and_b32_e32 v2, v2, v5
	v_and_b32_e32 v32, v32, v4
	v_lshlrev_b32_e32 v5, 29, v24
	v_mov_b32_e32 v4, v3
	v_cmp_gt_i64_e32 vcc, 0, v[4:5]
	v_not_b32_e32 v4, v5
	v_ashrrev_i32_e32 v4, 31, v4
	v_xor_b32_e32 v5, vcc_hi, v4
	v_xor_b32_e32 v4, vcc_lo, v4
	v_and_b32_e32 v2, v2, v5
	v_and_b32_e32 v32, v32, v4
	v_lshlrev_b32_e32 v5, 28, v24
	v_mov_b32_e32 v4, v3
	v_cmp_gt_i64_e32 vcc, 0, v[4:5]
	v_not_b32_e32 v4, v5
	v_ashrrev_i32_e32 v4, 31, v4
	;; [unrolled: 9-line block ×6, first 2 shown]
	v_xor_b32_e32 v5, vcc_hi, v4
	v_xor_b32_e32 v4, vcc_lo, v4
	ds_read_b32 v29, v6 offset:64
	v_and_b32_e32 v4, v32, v4
	v_and_b32_e32 v5, v2, v5
	v_mbcnt_lo_u32_b32 v2, v4, 0
	v_mbcnt_hi_u32_b32 v32, v5, v2
	v_cmp_eq_u32_e32 vcc, 0, v32
	v_cmp_ne_u64_e64 s[4:5], 0, v[4:5]
	s_and_b64 s[6:7], s[4:5], vcc
	; wave barrier
	s_and_saveexec_b64 s[4:5], s[6:7]
	s_cbranch_execz .LBB1748_31
; %bb.30:
	v_bcnt_u32_b32 v2, v4, 0
	v_bcnt_u32_b32 v2, v5, v2
	s_waitcnt lgkmcnt(0)
	v_add_u32_e32 v2, v29, v2
	ds_write_b32 v6, v2 offset:64
.LBB1748_31:
	s_or_b64 exec, exec, s[4:5]
	v_xor_b32_e32 v24, 0x80000000, v7
	v_lshrrev_b32_e32 v2, s24, v24
	v_and_b32_e32 v34, s33, v2
	v_lshl_add_u32 v2, v34, 4, v34
	v_add_lshl_u32 v7, v30, v2, 2
	v_and_b32_e32 v2, 1, v34
	v_lshl_add_u64 v[4:5], v[2:3], 0, -1
	v_cmp_ne_u32_e32 vcc, 0, v2
	; wave barrier
	s_nop 1
	v_xor_b32_e32 v4, vcc_lo, v4
	v_xor_b32_e32 v2, vcc_hi, v5
	v_and_b32_e32 v35, exec_lo, v4
	v_lshlrev_b32_e32 v5, 30, v34
	v_mov_b32_e32 v4, v3
	v_cmp_gt_i64_e32 vcc, 0, v[4:5]
	v_not_b32_e32 v4, v5
	v_ashrrev_i32_e32 v4, 31, v4
	v_and_b32_e32 v2, exec_hi, v2
	v_xor_b32_e32 v5, vcc_hi, v4
	v_xor_b32_e32 v4, vcc_lo, v4
	v_and_b32_e32 v2, v2, v5
	v_and_b32_e32 v35, v35, v4
	v_lshlrev_b32_e32 v5, 29, v34
	v_mov_b32_e32 v4, v3
	v_cmp_gt_i64_e32 vcc, 0, v[4:5]
	v_not_b32_e32 v4, v5
	v_ashrrev_i32_e32 v4, 31, v4
	v_xor_b32_e32 v5, vcc_hi, v4
	v_xor_b32_e32 v4, vcc_lo, v4
	v_and_b32_e32 v2, v2, v5
	v_and_b32_e32 v35, v35, v4
	v_lshlrev_b32_e32 v5, 28, v34
	v_mov_b32_e32 v4, v3
	v_cmp_gt_i64_e32 vcc, 0, v[4:5]
	v_not_b32_e32 v4, v5
	v_ashrrev_i32_e32 v4, 31, v4
	;; [unrolled: 9-line block ×5, first 2 shown]
	v_xor_b32_e32 v5, vcc_hi, v4
	v_xor_b32_e32 v4, vcc_lo, v4
	v_and_b32_e32 v2, v2, v5
	v_lshlrev_b32_e32 v5, 24, v34
	v_and_b32_e32 v35, v35, v4
	v_mov_b32_e32 v4, v3
	v_not_b32_e32 v3, v5
	v_cmp_gt_i64_e32 vcc, 0, v[4:5]
	v_ashrrev_i32_e32 v3, 31, v3
	ds_read_b32 v33, v7 offset:64
	v_xor_b32_e32 v4, vcc_hi, v3
	v_xor_b32_e32 v5, vcc_lo, v3
	v_and_b32_e32 v3, v2, v4
	v_and_b32_e32 v2, v35, v5
	v_mbcnt_lo_u32_b32 v4, v2, 0
	v_mbcnt_hi_u32_b32 v34, v3, v4
	v_cmp_eq_u32_e32 vcc, 0, v34
	v_cmp_ne_u64_e64 s[4:5], 0, v[2:3]
	s_and_b64 s[6:7], s[4:5], vcc
	; wave barrier
	s_and_saveexec_b64 s[4:5], s[6:7]
	s_cbranch_execz .LBB1748_33
; %bb.32:
	v_bcnt_u32_b32 v2, v2, 0
	v_bcnt_u32_b32 v2, v3, v2
	s_waitcnt lgkmcnt(0)
	v_add_u32_e32 v2, v33, v2
	ds_write_b32 v7, v2 offset:64
.LBB1748_33:
	s_or_b64 exec, exec, s[4:5]
	v_xor_b32_e32 v8, 0x80000000, v8
	v_lshrrev_b32_e32 v2, s24, v8
	v_and_b32_e32 v36, s33, v2
	v_lshl_add_u32 v2, v36, 4, v36
	v_add_lshl_u32 v37, v30, v2, 2
	v_and_b32_e32 v2, 1, v36
	v_mov_b32_e32 v3, 0
	v_lshl_add_u64 v[4:5], v[2:3], 0, -1
	v_cmp_ne_u32_e32 vcc, 0, v2
	; wave barrier
	s_nop 1
	v_xor_b32_e32 v4, vcc_lo, v4
	v_xor_b32_e32 v2, vcc_hi, v5
	v_and_b32_e32 v38, exec_lo, v4
	v_lshlrev_b32_e32 v5, 30, v36
	v_mov_b32_e32 v4, v3
	v_cmp_gt_i64_e32 vcc, 0, v[4:5]
	v_not_b32_e32 v4, v5
	v_ashrrev_i32_e32 v4, 31, v4
	v_and_b32_e32 v2, exec_hi, v2
	v_xor_b32_e32 v5, vcc_hi, v4
	v_xor_b32_e32 v4, vcc_lo, v4
	v_and_b32_e32 v2, v2, v5
	v_and_b32_e32 v38, v38, v4
	v_lshlrev_b32_e32 v5, 29, v36
	v_mov_b32_e32 v4, v3
	v_cmp_gt_i64_e32 vcc, 0, v[4:5]
	v_not_b32_e32 v4, v5
	v_ashrrev_i32_e32 v4, 31, v4
	v_xor_b32_e32 v5, vcc_hi, v4
	v_xor_b32_e32 v4, vcc_lo, v4
	v_and_b32_e32 v2, v2, v5
	v_and_b32_e32 v38, v38, v4
	v_lshlrev_b32_e32 v5, 28, v36
	v_mov_b32_e32 v4, v3
	v_cmp_gt_i64_e32 vcc, 0, v[4:5]
	v_not_b32_e32 v4, v5
	v_ashrrev_i32_e32 v4, 31, v4
	;; [unrolled: 9-line block ×6, first 2 shown]
	v_xor_b32_e32 v5, vcc_hi, v4
	v_xor_b32_e32 v4, vcc_lo, v4
	ds_read_b32 v35, v37 offset:64
	v_and_b32_e32 v4, v38, v4
	v_and_b32_e32 v5, v2, v5
	v_mbcnt_lo_u32_b32 v2, v4, 0
	v_mbcnt_hi_u32_b32 v36, v5, v2
	v_cmp_eq_u32_e32 vcc, 0, v36
	v_cmp_ne_u64_e64 s[4:5], 0, v[4:5]
	s_and_b64 s[6:7], s[4:5], vcc
	; wave barrier
	s_and_saveexec_b64 s[4:5], s[6:7]
	s_cbranch_execz .LBB1748_35
; %bb.34:
	v_bcnt_u32_b32 v2, v4, 0
	v_bcnt_u32_b32 v2, v5, v2
	s_waitcnt lgkmcnt(0)
	v_add_u32_e32 v2, v35, v2
	ds_write_b32 v37, v2 offset:64
.LBB1748_35:
	s_or_b64 exec, exec, s[4:5]
	v_xor_b32_e32 v9, 0x80000000, v9
	v_lshrrev_b32_e32 v2, s24, v9
	v_and_b32_e32 v38, s33, v2
	v_lshl_add_u32 v2, v38, 4, v38
	v_add_lshl_u32 v39, v30, v2, 2
	v_and_b32_e32 v2, 1, v38
	v_lshl_add_u64 v[4:5], v[2:3], 0, -1
	v_cmp_ne_u32_e32 vcc, 0, v2
	; wave barrier
	s_nop 1
	v_xor_b32_e32 v4, vcc_lo, v4
	v_xor_b32_e32 v2, vcc_hi, v5
	v_and_b32_e32 v41, exec_lo, v4
	v_lshlrev_b32_e32 v5, 30, v38
	v_mov_b32_e32 v4, v3
	v_cmp_gt_i64_e32 vcc, 0, v[4:5]
	v_not_b32_e32 v4, v5
	v_ashrrev_i32_e32 v4, 31, v4
	v_and_b32_e32 v2, exec_hi, v2
	v_xor_b32_e32 v5, vcc_hi, v4
	v_xor_b32_e32 v4, vcc_lo, v4
	v_and_b32_e32 v2, v2, v5
	v_and_b32_e32 v41, v41, v4
	v_lshlrev_b32_e32 v5, 29, v38
	v_mov_b32_e32 v4, v3
	v_cmp_gt_i64_e32 vcc, 0, v[4:5]
	v_not_b32_e32 v4, v5
	v_ashrrev_i32_e32 v4, 31, v4
	v_xor_b32_e32 v5, vcc_hi, v4
	v_xor_b32_e32 v4, vcc_lo, v4
	v_and_b32_e32 v2, v2, v5
	v_and_b32_e32 v41, v41, v4
	v_lshlrev_b32_e32 v5, 28, v38
	v_mov_b32_e32 v4, v3
	v_cmp_gt_i64_e32 vcc, 0, v[4:5]
	v_not_b32_e32 v4, v5
	v_ashrrev_i32_e32 v4, 31, v4
	;; [unrolled: 9-line block ×5, first 2 shown]
	v_xor_b32_e32 v5, vcc_hi, v4
	v_xor_b32_e32 v4, vcc_lo, v4
	v_and_b32_e32 v2, v2, v5
	v_lshlrev_b32_e32 v5, 24, v38
	v_and_b32_e32 v41, v41, v4
	v_mov_b32_e32 v4, v3
	v_not_b32_e32 v3, v5
	v_cmp_gt_i64_e32 vcc, 0, v[4:5]
	v_ashrrev_i32_e32 v3, 31, v3
	ds_read_b32 v30, v39 offset:64
	v_xor_b32_e32 v4, vcc_hi, v3
	v_xor_b32_e32 v5, vcc_lo, v3
	v_and_b32_e32 v3, v2, v4
	v_and_b32_e32 v2, v41, v5
	v_mbcnt_lo_u32_b32 v4, v2, 0
	v_mbcnt_hi_u32_b32 v38, v3, v4
	v_cmp_eq_u32_e32 vcc, 0, v38
	v_cmp_ne_u64_e64 s[4:5], 0, v[2:3]
	v_add_u32_e32 v40, 64, v18
	s_and_b64 s[6:7], s[4:5], vcc
	; wave barrier
	s_and_saveexec_b64 s[4:5], s[6:7]
	s_cbranch_execz .LBB1748_37
; %bb.36:
	v_bcnt_u32_b32 v2, v2, 0
	v_bcnt_u32_b32 v2, v3, v2
	s_waitcnt lgkmcnt(0)
	v_add_u32_e32 v2, v30, v2
	ds_write_b32 v39, v2 offset:64
.LBB1748_37:
	s_or_b64 exec, exec, s[4:5]
	; wave barrier
	s_waitcnt lgkmcnt(0)
	s_barrier
	ds_read2_b32 v[4:5], v18 offset0:16 offset1:17
	ds_read2_b32 v[2:3], v40 offset0:2 offset1:3
	ds_read_b32 v41, v40 offset:16
	v_cmp_lt_u32_e64 s[12:13], 31, v16
	s_waitcnt lgkmcnt(1)
	v_add3_u32 v42, v5, v4, v2
	s_waitcnt lgkmcnt(0)
	v_add3_u32 v41, v42, v3, v41
	v_and_b32_e32 v42, 15, v16
	v_cmp_eq_u32_e32 vcc, 0, v42
	v_mov_b32_dpp v43, v41 row_shr:1 row_mask:0xf bank_mask:0xf
	v_cmp_lt_u32_e64 s[4:5], 1, v42
	v_cndmask_b32_e64 v43, v43, 0, vcc
	v_add_u32_e32 v41, v43, v41
	v_cmp_lt_u32_e64 s[6:7], 3, v42
	v_cmp_lt_u32_e64 s[8:9], 7, v42
	v_mov_b32_dpp v43, v41 row_shr:2 row_mask:0xf bank_mask:0xf
	v_cndmask_b32_e64 v43, 0, v43, s[4:5]
	v_add_u32_e32 v41, v41, v43
	s_nop 1
	v_mov_b32_dpp v43, v41 row_shr:4 row_mask:0xf bank_mask:0xf
	v_cndmask_b32_e64 v43, 0, v43, s[6:7]
	v_add_u32_e32 v41, v41, v43
	s_nop 1
	v_mov_b32_dpp v43, v41 row_shr:8 row_mask:0xf bank_mask:0xf
	v_cndmask_b32_e64 v42, 0, v43, s[8:9]
	v_add_u32_e32 v41, v41, v42
	v_bfe_i32 v43, v16, 4, 1
	s_nop 0
	v_mov_b32_dpp v42, v41 row_bcast:15 row_mask:0xf bank_mask:0xf
	v_and_b32_e32 v42, v43, v42
	v_add_u32_e32 v41, v41, v42
	v_and_b32_e32 v43, 63, v10
	s_nop 0
	v_mov_b32_dpp v42, v41 row_bcast:31 row_mask:0xf bank_mask:0xf
	v_cndmask_b32_e64 v42, 0, v42, s[12:13]
	v_add_u32_e32 v41, v41, v42
	v_lshrrev_b32_e32 v42, 6, v10
	v_cmp_eq_u32_e64 s[12:13], 63, v43
	s_and_saveexec_b64 s[14:15], s[12:13]
	s_cbranch_execz .LBB1748_39
; %bb.38:
	v_lshlrev_b32_e32 v43, 2, v42
	ds_write_b32 v43, v41
.LBB1748_39:
	s_or_b64 exec, exec, s[14:15]
	v_cmp_gt_u32_e64 s[12:13], 16, v10
	s_waitcnt lgkmcnt(0)
	s_barrier
	s_and_saveexec_b64 s[14:15], s[12:13]
	s_cbranch_execz .LBB1748_41
; %bb.40:
	v_lshlrev_b32_e32 v43, 2, v10
	ds_read_b32 v44, v43
	s_waitcnt lgkmcnt(0)
	s_nop 0
	v_mov_b32_dpp v45, v44 row_shr:1 row_mask:0xf bank_mask:0xf
	v_cndmask_b32_e64 v45, v45, 0, vcc
	v_add_u32_e32 v44, v45, v44
	s_nop 1
	v_mov_b32_dpp v45, v44 row_shr:2 row_mask:0xf bank_mask:0xf
	v_cndmask_b32_e64 v45, 0, v45, s[4:5]
	v_add_u32_e32 v44, v44, v45
	s_nop 1
	v_mov_b32_dpp v45, v44 row_shr:4 row_mask:0xf bank_mask:0xf
	v_cndmask_b32_e64 v45, 0, v45, s[6:7]
	;; [unrolled: 4-line block ×3, first 2 shown]
	v_add_u32_e32 v44, v44, v45
	ds_write_b32 v43, v44
.LBB1748_41:
	s_or_b64 exec, exec, s[14:15]
	v_cmp_lt_u32_e32 vcc, 63, v10
	v_mov_b32_e32 v43, 0
	s_waitcnt lgkmcnt(0)
	s_barrier
	s_and_saveexec_b64 s[4:5], vcc
	s_cbranch_execz .LBB1748_43
; %bb.42:
	v_lshl_add_u32 v42, v42, 2, -4
	ds_read_b32 v43, v42
.LBB1748_43:
	s_or_b64 exec, exec, s[4:5]
	v_add_u32_e32 v42, -1, v16
	v_and_b32_e32 v44, 64, v16
	v_cmp_lt_i32_e32 vcc, v42, v44
	s_waitcnt lgkmcnt(0)
	v_add_u32_e32 v41, v43, v41
	s_movk_i32 s4, 0x100
	v_cndmask_b32_e32 v42, v42, v16, vcc
	v_lshlrev_b32_e32 v42, 2, v42
	ds_bpermute_b32 v41, v42, v41
	v_cmp_eq_u32_e32 vcc, 0, v16
	v_cmp_gt_u32_e64 s[4:5], s4, v10
	s_waitcnt lgkmcnt(0)
	v_cndmask_b32_e32 v16, v41, v43, vcc
	v_cndmask_b32_e64 v16, v16, 0, s[10:11]
	v_add_u32_e32 v4, v16, v4
	v_add_u32_e32 v5, v4, v5
	;; [unrolled: 1-line block ×4, first 2 shown]
	ds_write2_b32 v18, v16, v4 offset0:16 offset1:17
	ds_write2_b32 v40, v5, v2 offset0:2 offset1:3
	ds_write_b32 v40, v3 offset:16
	s_waitcnt lgkmcnt(0)
	s_barrier
	ds_read_b32 v22, v22 offset:64
	ds_read_b32 v23, v23 offset:64
	;; [unrolled: 1-line block ×8, first 2 shown]
                                        ; implicit-def: $vgpr16
                                        ; implicit-def: $vgpr18
	s_and_saveexec_b64 s[6:7], s[4:5]
	s_cbranch_execz .LBB1748_47
; %bb.44:
	v_mul_u32_u24_e32 v2, 17, v10
	v_lshlrev_b32_e32 v3, 2, v2
	ds_read_b32 v16, v3 offset:64
	s_movk_i32 s8, 0xff
	v_cmp_ne_u32_e32 vcc, s8, v10
	v_mov_b32_e32 v2, 0x2000
	s_and_saveexec_b64 s[8:9], vcc
	s_cbranch_execz .LBB1748_46
; %bb.45:
	ds_read_b32 v2, v3 offset:132
.LBB1748_46:
	s_or_b64 exec, exec, s[8:9]
	s_waitcnt lgkmcnt(0)
	v_sub_u32_e32 v18, v2, v16
.LBB1748_47:
	s_or_b64 exec, exec, s[6:7]
	s_waitcnt lgkmcnt(0)
	s_barrier
	s_and_saveexec_b64 s[6:7], s[4:5]
	s_cbranch_execz .LBB1748_57
; %bb.48:
	v_lshl_or_b32 v4, s27, 8, v10
	v_mov_b32_e32 v5, 0
	v_lshl_add_u64 v[2:3], v[4:5], 2, s[18:19]
	v_or_b32_e32 v4, 2.0, v18
	s_mov_b64 s[8:9], 0
	s_brev_b32 s16, 1
	s_mov_b32 s17, s27
	v_mov_b32_e32 v42, 0
	global_store_dword v[2:3], v4, off sc1
                                        ; implicit-def: $sgpr12_sgpr13
	s_branch .LBB1748_50
.LBB1748_49:                            ;   in Loop: Header=BB1748_50 Depth=1
	s_or_b64 exec, exec, s[12:13]
	v_and_b32_e32 v6, 0x3fffffff, v43
	v_add_u32_e32 v42, v6, v42
	v_cmp_eq_u32_e64 s[12:13], s16, v4
	s_and_b64 s[14:15], exec, s[12:13]
	s_or_b64 s[8:9], s[14:15], s[8:9]
	s_andn2_b64 exec, exec, s[8:9]
	s_cbranch_execz .LBB1748_56
.LBB1748_50:                            ; =>This Loop Header: Depth=1
                                        ;     Child Loop BB1748_53 Depth 2
	s_or_b64 s[12:13], s[12:13], exec
	s_cmp_eq_u32 s17, 0
	s_cbranch_scc1 .LBB1748_55
; %bb.51:                               ;   in Loop: Header=BB1748_50 Depth=1
	s_add_i32 s17, s17, -1
	v_lshl_or_b32 v4, s17, 8, v10
	v_lshl_add_u64 v[6:7], v[4:5], 2, s[18:19]
	global_load_dword v43, v[6:7], off sc1
	s_waitcnt vmcnt(0)
	v_and_b32_e32 v4, -2.0, v43
	v_cmp_eq_u32_e32 vcc, 0, v4
	s_and_saveexec_b64 s[12:13], vcc
	s_cbranch_execz .LBB1748_49
; %bb.52:                               ;   in Loop: Header=BB1748_50 Depth=1
	s_mov_b64 s[14:15], 0
.LBB1748_53:                            ;   Parent Loop BB1748_50 Depth=1
                                        ; =>  This Inner Loop Header: Depth=2
	global_load_dword v43, v[6:7], off sc1
	s_waitcnt vmcnt(0)
	v_and_b32_e32 v4, -2.0, v43
	v_cmp_ne_u32_e32 vcc, 0, v4
	s_or_b64 s[14:15], vcc, s[14:15]
	s_andn2_b64 exec, exec, s[14:15]
	s_cbranch_execnz .LBB1748_53
; %bb.54:                               ;   in Loop: Header=BB1748_50 Depth=1
	s_or_b64 exec, exec, s[14:15]
	s_branch .LBB1748_49
.LBB1748_55:                            ;   in Loop: Header=BB1748_50 Depth=1
                                        ; implicit-def: $sgpr17
	s_and_b64 s[14:15], exec, s[12:13]
	s_or_b64 s[8:9], s[14:15], s[8:9]
	s_andn2_b64 exec, exec, s[8:9]
	s_cbranch_execnz .LBB1748_50
.LBB1748_56:
	s_or_b64 exec, exec, s[8:9]
	v_add_u32_e32 v4, v42, v18
	v_or_b32_e32 v4, 0x80000000, v4
	global_store_dword v[2:3], v4, off sc1
	v_lshlrev_b32_e32 v2, 2, v10
	global_load_dword v3, v2, s[20:21]
	v_sub_u32_e32 v4, v42, v16
	s_waitcnt vmcnt(0)
	v_add_u32_e32 v3, v4, v3
	ds_write_b32 v2, v3
.LBB1748_57:
	s_or_b64 exec, exec, s[6:7]
	v_add_u32_e32 v4, v22, v17
	v_add3_u32 v5, v20, v19, v23
	v_add3_u32 v6, v25, v21, v27
	;; [unrolled: 1-line block ×7, first 2 shown]
	v_lshlrev_b32_e32 v22, 2, v10
	s_movk_i32 s12, 0x400
	v_add_u32_e32 v23, 0x400, v22
	v_lshlrev_b32_e32 v25, 2, v21
	v_lshlrev_b32_e32 v26, 2, v20
	;; [unrolled: 1-line block ×8, first 2 shown]
	s_mov_b64 s[6:7], -1
	s_mov_b32 s13, 0
	s_movk_i32 s14, 0x1000
	v_mov_b32_e32 v3, 0
	s_movk_i32 s15, 0x800
	s_movk_i32 s16, 0xc00
	v_mov_b32_e32 v33, v10
	s_branch .LBB1748_59
.LBB1748_58:                            ;   in Loop: Header=BB1748_59 Depth=1
	s_or_b64 exec, exec, s[8:9]
	s_xor_b64 s[8:9], s[6:7], -1
	s_addk_i32 s13, 0xc000
	v_add_u32_e32 v21, 0xfffff000, v21
	v_add_u32_e32 v20, 0xfffff000, v20
	;; [unrolled: 1-line block ×9, first 2 shown]
	s_mov_b64 s[6:7], 0
	s_and_b64 vcc, exec, s[8:9]
	s_barrier
	s_cbranch_vccnz .LBB1748_84
.LBB1748_59:                            ; =>This Inner Loop Header: Depth=1
	v_cmp_gt_u32_e32 vcc, s14, v4
	s_and_saveexec_b64 s[8:9], vcc
	s_cbranch_execnz .LBB1748_76
; %bb.60:                               ;   in Loop: Header=BB1748_59 Depth=1
	s_or_b64 exec, exec, s[8:9]
	v_cmp_gt_u32_e32 vcc, s14, v5
	s_and_saveexec_b64 s[8:9], vcc
	s_cbranch_execnz .LBB1748_77
.LBB1748_61:                            ;   in Loop: Header=BB1748_59 Depth=1
	s_or_b64 exec, exec, s[8:9]
	v_cmp_gt_u32_e32 vcc, s14, v6
	s_and_saveexec_b64 s[8:9], vcc
	s_cbranch_execnz .LBB1748_78
.LBB1748_62:                            ;   in Loop: Header=BB1748_59 Depth=1
	s_or_b64 exec, exec, s[8:9]
	v_cmp_gt_u32_e32 vcc, s14, v7
	s_and_saveexec_b64 s[8:9], vcc
	s_cbranch_execnz .LBB1748_79
.LBB1748_63:                            ;   in Loop: Header=BB1748_59 Depth=1
	s_or_b64 exec, exec, s[8:9]
	v_cmp_gt_u32_e32 vcc, s14, v17
	s_and_saveexec_b64 s[8:9], vcc
	s_cbranch_execnz .LBB1748_80
.LBB1748_64:                            ;   in Loop: Header=BB1748_59 Depth=1
	s_or_b64 exec, exec, s[8:9]
	v_cmp_gt_u32_e32 vcc, s14, v19
	s_and_saveexec_b64 s[8:9], vcc
	s_cbranch_execnz .LBB1748_81
.LBB1748_65:                            ;   in Loop: Header=BB1748_59 Depth=1
	s_or_b64 exec, exec, s[8:9]
	v_cmp_gt_u32_e32 vcc, s14, v20
	s_and_saveexec_b64 s[8:9], vcc
	s_cbranch_execnz .LBB1748_82
.LBB1748_66:                            ;   in Loop: Header=BB1748_59 Depth=1
	s_or_b64 exec, exec, s[8:9]
	v_cmp_gt_u32_e32 vcc, s14, v21
	s_and_saveexec_b64 s[8:9], vcc
	s_cbranch_execz .LBB1748_68
.LBB1748_67:                            ;   in Loop: Header=BB1748_59 Depth=1
	v_add_u32_e32 v2, s13, v25
	ds_write_b32 v2, v9 offset:1024
.LBB1748_68:                            ;   in Loop: Header=BB1748_59 Depth=1
	s_or_b64 exec, exec, s[8:9]
	v_cmp_gt_u32_e32 vcc, s3, v33
	s_waitcnt lgkmcnt(0)
	s_barrier
	s_and_saveexec_b64 s[8:9], vcc
	s_cbranch_execz .LBB1748_70
; %bb.69:                               ;   in Loop: Header=BB1748_59 Depth=1
	ds_read_b32 v2, v22 offset:1024
	s_waitcnt lgkmcnt(0)
	v_lshrrev_b32_e32 v34, s24, v2
	v_and_b32_e32 v34, s33, v34
	v_lshlrev_b32_e32 v34, 2, v34
	ds_read_b32 v34, v34
	v_xor_b32_e32 v36, 0x80000000, v2
	s_waitcnt lgkmcnt(0)
	v_add_u32_e32 v2, v33, v34
	v_lshl_add_u64 v[34:35], v[2:3], 2, s[30:31]
	global_store_dword v[34:35], v36, off
.LBB1748_70:                            ;   in Loop: Header=BB1748_59 Depth=1
	s_or_b64 exec, exec, s[8:9]
	v_add_u32_e32 v2, 0x400, v33
	v_cmp_gt_u32_e32 vcc, s3, v2
	s_and_saveexec_b64 s[8:9], vcc
	s_cbranch_execz .LBB1748_72
; %bb.71:                               ;   in Loop: Header=BB1748_59 Depth=1
	ds_read_b32 v2, v23 offset:4096
	s_waitcnt lgkmcnt(0)
	v_lshrrev_b32_e32 v34, s24, v2
	v_and_b32_e32 v34, s33, v34
	v_lshlrev_b32_e32 v34, 2, v34
	ds_read_b32 v34, v34
	v_xor_b32_e32 v36, 0x80000000, v2
	s_waitcnt lgkmcnt(0)
	v_add3_u32 v2, v33, v34, s12
	v_lshl_add_u64 v[34:35], v[2:3], 2, s[30:31]
	global_store_dword v[34:35], v36, off
.LBB1748_72:                            ;   in Loop: Header=BB1748_59 Depth=1
	s_or_b64 exec, exec, s[8:9]
	v_add_u32_e32 v2, 0x800, v33
	v_cmp_gt_u32_e32 vcc, s3, v2
	s_and_saveexec_b64 s[8:9], vcc
	s_cbranch_execz .LBB1748_74
; %bb.73:                               ;   in Loop: Header=BB1748_59 Depth=1
	ds_read_b32 v2, v23 offset:8192
	s_waitcnt lgkmcnt(0)
	v_lshrrev_b32_e32 v34, s24, v2
	v_and_b32_e32 v34, s33, v34
	v_lshlrev_b32_e32 v34, 2, v34
	ds_read_b32 v34, v34
	v_xor_b32_e32 v36, 0x80000000, v2
	s_waitcnt lgkmcnt(0)
	v_add3_u32 v2, v33, v34, s15
	v_lshl_add_u64 v[34:35], v[2:3], 2, s[30:31]
	global_store_dword v[34:35], v36, off
.LBB1748_74:                            ;   in Loop: Header=BB1748_59 Depth=1
	s_or_b64 exec, exec, s[8:9]
	v_add_u32_e32 v2, 0xc00, v33
	v_cmp_gt_u32_e32 vcc, s3, v2
	s_and_saveexec_b64 s[8:9], vcc
	s_cbranch_execz .LBB1748_58
; %bb.75:                               ;   in Loop: Header=BB1748_59 Depth=1
	ds_read_b32 v2, v23 offset:12288
	s_waitcnt lgkmcnt(0)
	v_lshrrev_b32_e32 v34, s24, v2
	v_and_b32_e32 v34, s33, v34
	v_lshlrev_b32_e32 v34, 2, v34
	ds_read_b32 v34, v34
	v_xor_b32_e32 v36, 0x80000000, v2
	s_waitcnt lgkmcnt(0)
	v_add3_u32 v2, v33, v34, s16
	v_lshl_add_u64 v[34:35], v[2:3], 2, s[30:31]
	global_store_dword v[34:35], v36, off
	s_branch .LBB1748_58
.LBB1748_76:                            ;   in Loop: Header=BB1748_59 Depth=1
	v_add_u32_e32 v2, s13, v32
	ds_write_b32 v2, v11 offset:1024
	s_or_b64 exec, exec, s[8:9]
	v_cmp_gt_u32_e32 vcc, s14, v5
	s_and_saveexec_b64 s[8:9], vcc
	s_cbranch_execz .LBB1748_61
.LBB1748_77:                            ;   in Loop: Header=BB1748_59 Depth=1
	v_add_u32_e32 v2, s13, v31
	ds_write_b32 v2, v14 offset:1024
	s_or_b64 exec, exec, s[8:9]
	v_cmp_gt_u32_e32 vcc, s14, v6
	s_and_saveexec_b64 s[8:9], vcc
	s_cbranch_execz .LBB1748_62
.LBB1748_78:                            ;   in Loop: Header=BB1748_59 Depth=1
	v_add_u32_e32 v2, s13, v30
	ds_write_b32 v2, v15 offset:1024
	s_or_b64 exec, exec, s[8:9]
	v_cmp_gt_u32_e32 vcc, s14, v7
	s_and_saveexec_b64 s[8:9], vcc
	s_cbranch_execz .LBB1748_63
.LBB1748_79:                            ;   in Loop: Header=BB1748_59 Depth=1
	v_add_u32_e32 v2, s13, v29
	ds_write_b32 v2, v12 offset:1024
	s_or_b64 exec, exec, s[8:9]
	v_cmp_gt_u32_e32 vcc, s14, v17
	s_and_saveexec_b64 s[8:9], vcc
	s_cbranch_execz .LBB1748_64
.LBB1748_80:                            ;   in Loop: Header=BB1748_59 Depth=1
	v_add_u32_e32 v2, s13, v28
	ds_write_b32 v2, v13 offset:1024
	s_or_b64 exec, exec, s[8:9]
	v_cmp_gt_u32_e32 vcc, s14, v19
	s_and_saveexec_b64 s[8:9], vcc
	s_cbranch_execz .LBB1748_65
.LBB1748_81:                            ;   in Loop: Header=BB1748_59 Depth=1
	v_add_u32_e32 v2, s13, v27
	ds_write_b32 v2, v24 offset:1024
	s_or_b64 exec, exec, s[8:9]
	v_cmp_gt_u32_e32 vcc, s14, v20
	s_and_saveexec_b64 s[8:9], vcc
	s_cbranch_execz .LBB1748_66
.LBB1748_82:                            ;   in Loop: Header=BB1748_59 Depth=1
	v_add_u32_e32 v2, s13, v26
	ds_write_b32 v2, v8 offset:1024
	s_or_b64 exec, exec, s[8:9]
	v_cmp_gt_u32_e32 vcc, s14, v21
	s_and_saveexec_b64 s[8:9], vcc
	s_cbranch_execnz .LBB1748_67
	s_branch .LBB1748_68
.LBB1748_83:
	s_mov_b64 s[8:9], 0
                                        ; implicit-def: $vgpr2
	s_cbranch_execnz .LBB1748_87
	s_branch .LBB1748_144
.LBB1748_84:
	s_add_i32 s26, s26, -1
	s_cmp_eq_u32 s26, s27
	s_cselect_b64 s[6:7], -1, 0
	s_and_b64 s[6:7], s[4:5], s[6:7]
	s_mov_b64 s[4:5], 0
	s_mov_b64 s[8:9], 0
                                        ; implicit-def: $vgpr2
	s_and_saveexec_b64 s[12:13], s[6:7]
	s_xor_b64 s[6:7], exec, s[12:13]
; %bb.85:
	s_mov_b64 s[8:9], exec
	v_add_u32_e32 v2, v16, v18
; %bb.86:
	s_or_b64 exec, exec, s[6:7]
	s_and_b64 vcc, exec, s[4:5]
	s_cbranch_vccz .LBB1748_144
.LBB1748_87:
	s_lshl_b32 s4, s27, 13
	s_mov_b32 s5, 0
	s_lshl_b64 s[4:5], s[4:5], 2
	v_mbcnt_hi_u32_b32 v4, -1, v1
	s_add_u32 s4, s28, s4
	v_and_b32_e32 v1, 63, v4
	s_addc_u32 s5, s29, s5
	v_mov_b32_e32 v3, 0
	v_lshlrev_b32_e32 v2, 2, v1
	v_lshlrev_b32_e32 v1, 5, v10
	v_lshl_add_u64 v[6:7], s[4:5], 0, v[2:3]
	v_and_b32_e32 v2, 0x7800, v1
	v_lshl_add_u64 v[14:15], v[6:7], 0, v[2:3]
	global_load_dword v1, v[14:15], off
	s_load_dword s3, s[0:1], 0x64
	s_load_dword s14, s[0:1], 0x58
	s_add_u32 s0, s0, 0x58
	s_addc_u32 s1, s1, 0
	v_bfe_u32 v2, v0, 10, 10
	s_waitcnt lgkmcnt(0)
	s_lshr_b32 s3, s3, 16
	s_cmp_lt_u32 s2, s14
	s_cselect_b32 s2, 12, 18
	s_add_u32 s0, s0, s2
	s_addc_u32 s1, s1, 0
	global_load_ushort v9, v3, s[0:1]
	v_bfe_u32 v6, v0, 20, 10
	v_mul_u32_u24_e32 v0, 5, v10
	v_lshlrev_b32_e32 v5, 2, v0
	ds_write2_b32 v5, v3, v3 offset0:16 offset1:17
	ds_write2_b32 v5, v3, v3 offset0:18 offset1:19
	ds_write_b32 v5, v3 offset:80
	global_load_dword v7, v[14:15], off offset:256
	global_load_dword v8, v[14:15], off offset:512
	global_load_dword v12, v[14:15], off offset:768
	global_load_dword v16, v[14:15], off offset:1024
	global_load_dword v20, v[14:15], off offset:1280
	global_load_dword v26, v[14:15], off offset:1536
	global_load_dword v22, v[14:15], off offset:1792
	v_mad_u32_u24 v11, v6, s3, v2
	s_lshl_b32 s0, -1, s25
	s_not_b32 s15, s0
	v_mov_b32_e32 v0, v3
	v_mov_b32_e32 v24, v3
	v_mov_b32_e32 v18, v3
	v_mov_b32_e32 v28, v3
	v_mov_b32_e32 v30, v3
	s_waitcnt lgkmcnt(0)
	s_barrier
	s_waitcnt lgkmcnt(0)
	; wave barrier
	s_waitcnt vmcnt(8)
	v_xor_b32_e32 v6, 0x80000000, v1
	v_lshrrev_b32_e32 v1, s24, v6
	v_and_b32_e32 v13, s15, v1
	v_and_b32_e32 v2, 1, v13
	v_lshlrev_b32_e32 v1, 30, v13
	v_lshlrev_b32_e32 v19, 29, v13
	;; [unrolled: 1-line block ×3, first 2 shown]
	v_lshl_add_u64 v[32:33], v[2:3], 0, -1
	v_cmp_ne_u32_e32 vcc, 0, v2
	v_lshl_add_u32 v17, v13, 4, v13
	s_waitcnt vmcnt(7)
	v_mad_u64_u32 v[14:15], s[0:1], v11, v9, v[10:11]
	v_cmp_gt_i64_e64 s[0:1], 0, v[0:1]
	v_not_b32_e32 v0, v1
	v_not_b32_e32 v1, v19
	v_cmp_gt_i64_e64 s[4:5], 0, v[24:25]
	v_lshrrev_b32_e32 v24, 6, v14
	v_xor_b32_e32 v15, vcc_lo, v32
	v_ashrrev_i32_e32 v0, 31, v0
	v_cmp_gt_i64_e64 s[2:3], 0, v[18:19]
	v_not_b32_e32 v2, v25
	v_xor_b32_e32 v11, vcc_hi, v33
	v_ashrrev_i32_e32 v1, 31, v1
	v_add_lshl_u32 v14, v24, v17, 2
	v_and_b32_e32 v15, exec_lo, v15
	v_xor_b32_e32 v17, s1, v0
	v_xor_b32_e32 v0, s0, v0
	v_lshlrev_b32_e32 v29, 27, v13
	v_ashrrev_i32_e32 v2, 31, v2
	v_and_b32_e32 v11, exec_hi, v11
	v_xor_b32_e32 v18, s3, v1
	v_xor_b32_e32 v1, s2, v1
	v_and_b32_e32 v0, v15, v0
	v_lshlrev_b32_e32 v31, 26, v13
	v_not_b32_e32 v9, v29
	v_xor_b32_e32 v19, s5, v2
	v_xor_b32_e32 v2, s4, v2
	v_and_b32_e32 v11, v11, v17
	v_and_b32_e32 v0, v0, v1
	v_cmp_gt_i64_e64 s[6:7], 0, v[28:29]
	v_ashrrev_i32_e32 v9, 31, v9
	v_and_b32_e32 v11, v11, v18
	v_and_b32_e32 v0, v0, v2
	v_not_b32_e32 v2, v31
	v_xor_b32_e32 v21, s7, v9
	v_xor_b32_e32 v9, s6, v9
	v_and_b32_e32 v1, v11, v19
	v_cmp_gt_i64_e32 vcc, 0, v[30:31]
	v_ashrrev_i32_e32 v2, 31, v2
	v_and_b32_e32 v1, v1, v21
	v_and_b32_e32 v0, v0, v9
	v_xor_b32_e32 v9, vcc_hi, v2
	v_xor_b32_e32 v2, vcc_lo, v2
	v_and_b32_e32 v9, v1, v9
	v_and_b32_e32 v2, v0, v2
	v_lshlrev_b32_e32 v1, 25, v13
	v_mov_b32_e32 v0, v3
	v_cmp_gt_i64_e32 vcc, 0, v[0:1]
	v_not_b32_e32 v0, v1
	v_ashrrev_i32_e32 v0, 31, v0
	v_xor_b32_e32 v1, vcc_hi, v0
	v_xor_b32_e32 v0, vcc_lo, v0
	v_and_b32_e32 v9, v9, v1
	v_and_b32_e32 v2, v2, v0
	v_lshlrev_b32_e32 v1, 24, v13
	v_mov_b32_e32 v0, v3
	v_cmp_gt_i64_e32 vcc, 0, v[0:1]
	v_not_b32_e32 v0, v1
	v_ashrrev_i32_e32 v0, 31, v0
	v_xor_b32_e32 v1, vcc_hi, v0
	v_xor_b32_e32 v0, vcc_lo, v0
	v_and_b32_e32 v0, v2, v0
	v_and_b32_e32 v1, v9, v1
	v_mbcnt_lo_u32_b32 v2, v0, 0
	v_mbcnt_hi_u32_b32 v9, v1, v2
	v_cmp_eq_u32_e32 vcc, 0, v9
	v_cmp_ne_u64_e64 s[0:1], 0, v[0:1]
	s_and_b64 s[2:3], s[0:1], vcc
	s_and_saveexec_b64 s[0:1], s[2:3]
	s_cbranch_execz .LBB1748_89
; %bb.88:
	v_bcnt_u32_b32 v0, v0, 0
	v_bcnt_u32_b32 v0, v1, v0
	ds_write_b32 v14, v0 offset:64
.LBB1748_89:
	s_or_b64 exec, exec, s[0:1]
	s_waitcnt vmcnt(6)
	v_xor_b32_e32 v7, 0x80000000, v7
	v_lshrrev_b32_e32 v0, s24, v7
	v_and_b32_e32 v13, s15, v0
	v_lshl_add_u32 v0, v13, 4, v13
	v_and_b32_e32 v2, 1, v13
	v_add_lshl_u32 v17, v24, v0, 2
	v_lshl_add_u64 v[0:1], v[2:3], 0, -1
	v_cmp_ne_u32_e32 vcc, 0, v2
	; wave barrier
	s_nop 1
	v_xor_b32_e32 v1, vcc_hi, v1
	v_xor_b32_e32 v0, vcc_lo, v0
	v_and_b32_e32 v2, exec_hi, v1
	v_and_b32_e32 v15, exec_lo, v0
	v_lshlrev_b32_e32 v1, 30, v13
	v_mov_b32_e32 v0, v3
	v_cmp_gt_i64_e32 vcc, 0, v[0:1]
	v_not_b32_e32 v0, v1
	v_ashrrev_i32_e32 v0, 31, v0
	v_xor_b32_e32 v1, vcc_hi, v0
	v_xor_b32_e32 v0, vcc_lo, v0
	v_and_b32_e32 v2, v2, v1
	v_and_b32_e32 v15, v15, v0
	v_lshlrev_b32_e32 v1, 29, v13
	v_mov_b32_e32 v0, v3
	v_cmp_gt_i64_e32 vcc, 0, v[0:1]
	v_not_b32_e32 v0, v1
	v_ashrrev_i32_e32 v0, 31, v0
	v_xor_b32_e32 v1, vcc_hi, v0
	v_xor_b32_e32 v0, vcc_lo, v0
	v_and_b32_e32 v2, v2, v1
	v_and_b32_e32 v15, v15, v0
	;; [unrolled: 9-line block ×6, first 2 shown]
	v_lshlrev_b32_e32 v1, 24, v13
	v_mov_b32_e32 v0, v3
	v_cmp_gt_i64_e32 vcc, 0, v[0:1]
	v_not_b32_e32 v0, v1
	v_ashrrev_i32_e32 v0, 31, v0
	v_xor_b32_e32 v1, vcc_hi, v0
	v_xor_b32_e32 v0, vcc_lo, v0
	ds_read_b32 v11, v17 offset:64
	v_and_b32_e32 v0, v15, v0
	v_and_b32_e32 v1, v2, v1
	v_mbcnt_lo_u32_b32 v2, v0, 0
	v_mbcnt_hi_u32_b32 v13, v1, v2
	v_cmp_eq_u32_e32 vcc, 0, v13
	v_cmp_ne_u64_e64 s[0:1], 0, v[0:1]
	s_and_b64 s[2:3], s[0:1], vcc
	; wave barrier
	s_and_saveexec_b64 s[0:1], s[2:3]
	s_cbranch_execz .LBB1748_91
; %bb.90:
	v_bcnt_u32_b32 v0, v0, 0
	v_bcnt_u32_b32 v0, v1, v0
	s_waitcnt lgkmcnt(0)
	v_add_u32_e32 v0, v11, v0
	ds_write_b32 v17, v0 offset:64
.LBB1748_91:
	s_or_b64 exec, exec, s[0:1]
	s_waitcnt vmcnt(5)
	v_xor_b32_e32 v8, 0x80000000, v8
	v_lshrrev_b32_e32 v0, s24, v8
	v_and_b32_e32 v18, s15, v0
	v_lshl_add_u32 v0, v18, 4, v18
	v_add_lshl_u32 v21, v24, v0, 2
	v_and_b32_e32 v0, 1, v18
	v_mov_b32_e32 v1, 0
	v_lshl_add_u64 v[2:3], v[0:1], 0, -1
	v_cmp_ne_u32_e32 vcc, 0, v0
	; wave barrier
	s_nop 1
	v_xor_b32_e32 v2, vcc_lo, v2
	v_xor_b32_e32 v0, vcc_hi, v3
	v_and_b32_e32 v19, exec_lo, v2
	v_lshlrev_b32_e32 v3, 30, v18
	v_mov_b32_e32 v2, v1
	v_cmp_gt_i64_e32 vcc, 0, v[2:3]
	v_not_b32_e32 v2, v3
	v_ashrrev_i32_e32 v2, 31, v2
	v_and_b32_e32 v0, exec_hi, v0
	v_xor_b32_e32 v3, vcc_hi, v2
	v_xor_b32_e32 v2, vcc_lo, v2
	v_and_b32_e32 v0, v0, v3
	v_and_b32_e32 v19, v19, v2
	v_lshlrev_b32_e32 v3, 29, v18
	v_mov_b32_e32 v2, v1
	v_cmp_gt_i64_e32 vcc, 0, v[2:3]
	v_not_b32_e32 v2, v3
	v_ashrrev_i32_e32 v2, 31, v2
	v_xor_b32_e32 v3, vcc_hi, v2
	v_xor_b32_e32 v2, vcc_lo, v2
	v_and_b32_e32 v0, v0, v3
	v_and_b32_e32 v19, v19, v2
	v_lshlrev_b32_e32 v3, 28, v18
	v_mov_b32_e32 v2, v1
	v_cmp_gt_i64_e32 vcc, 0, v[2:3]
	v_not_b32_e32 v2, v3
	v_ashrrev_i32_e32 v2, 31, v2
	;; [unrolled: 9-line block ×6, first 2 shown]
	v_xor_b32_e32 v3, vcc_hi, v2
	v_xor_b32_e32 v2, vcc_lo, v2
	ds_read_b32 v15, v21 offset:64
	v_and_b32_e32 v2, v19, v2
	v_and_b32_e32 v3, v0, v3
	v_mbcnt_lo_u32_b32 v0, v2, 0
	v_mbcnt_hi_u32_b32 v18, v3, v0
	v_cmp_eq_u32_e32 vcc, 0, v18
	v_cmp_ne_u64_e64 s[0:1], 0, v[2:3]
	s_and_b64 s[2:3], s[0:1], vcc
	; wave barrier
	s_and_saveexec_b64 s[0:1], s[2:3]
	s_cbranch_execz .LBB1748_93
; %bb.92:
	v_bcnt_u32_b32 v0, v2, 0
	v_bcnt_u32_b32 v0, v3, v0
	s_waitcnt lgkmcnt(0)
	v_add_u32_e32 v0, v15, v0
	ds_write_b32 v21, v0 offset:64
.LBB1748_93:
	s_or_b64 exec, exec, s[0:1]
	s_waitcnt vmcnt(4)
	v_xor_b32_e32 v12, 0x80000000, v12
	v_lshrrev_b32_e32 v0, s24, v12
	v_and_b32_e32 v23, s15, v0
	v_lshl_add_u32 v0, v23, 4, v23
	v_add_lshl_u32 v27, v24, v0, 2
	v_and_b32_e32 v0, 1, v23
	v_lshl_add_u64 v[2:3], v[0:1], 0, -1
	v_cmp_ne_u32_e32 vcc, 0, v0
	; wave barrier
	s_nop 1
	v_xor_b32_e32 v2, vcc_lo, v2
	v_xor_b32_e32 v0, vcc_hi, v3
	v_and_b32_e32 v25, exec_lo, v2
	v_lshlrev_b32_e32 v3, 30, v23
	v_mov_b32_e32 v2, v1
	v_cmp_gt_i64_e32 vcc, 0, v[2:3]
	v_not_b32_e32 v2, v3
	v_ashrrev_i32_e32 v2, 31, v2
	v_and_b32_e32 v0, exec_hi, v0
	v_xor_b32_e32 v3, vcc_hi, v2
	v_xor_b32_e32 v2, vcc_lo, v2
	v_and_b32_e32 v0, v0, v3
	v_and_b32_e32 v25, v25, v2
	v_lshlrev_b32_e32 v3, 29, v23
	v_mov_b32_e32 v2, v1
	v_cmp_gt_i64_e32 vcc, 0, v[2:3]
	v_not_b32_e32 v2, v3
	v_ashrrev_i32_e32 v2, 31, v2
	v_xor_b32_e32 v3, vcc_hi, v2
	v_xor_b32_e32 v2, vcc_lo, v2
	v_and_b32_e32 v0, v0, v3
	v_and_b32_e32 v25, v25, v2
	v_lshlrev_b32_e32 v3, 28, v23
	v_mov_b32_e32 v2, v1
	v_cmp_gt_i64_e32 vcc, 0, v[2:3]
	v_not_b32_e32 v2, v3
	v_ashrrev_i32_e32 v2, 31, v2
	v_xor_b32_e32 v3, vcc_hi, v2
	v_xor_b32_e32 v2, vcc_lo, v2
	v_and_b32_e32 v0, v0, v3
	v_and_b32_e32 v25, v25, v2
	v_lshlrev_b32_e32 v3, 27, v23
	v_mov_b32_e32 v2, v1
	v_cmp_gt_i64_e32 vcc, 0, v[2:3]
	v_not_b32_e32 v2, v3
	v_ashrrev_i32_e32 v2, 31, v2
	v_xor_b32_e32 v3, vcc_hi, v2
	v_xor_b32_e32 v2, vcc_lo, v2
	v_and_b32_e32 v0, v0, v3
	v_and_b32_e32 v25, v25, v2
	v_lshlrev_b32_e32 v3, 26, v23
	v_mov_b32_e32 v2, v1
	v_cmp_gt_i64_e32 vcc, 0, v[2:3]
	v_not_b32_e32 v2, v3
	v_ashrrev_i32_e32 v2, 31, v2
	v_xor_b32_e32 v3, vcc_hi, v2
	v_xor_b32_e32 v2, vcc_lo, v2
	v_and_b32_e32 v0, v0, v3
	v_and_b32_e32 v25, v25, v2
	v_lshlrev_b32_e32 v3, 25, v23
	v_mov_b32_e32 v2, v1
	v_cmp_gt_i64_e32 vcc, 0, v[2:3]
	v_not_b32_e32 v2, v3
	v_ashrrev_i32_e32 v2, 31, v2
	v_xor_b32_e32 v3, vcc_hi, v2
	v_xor_b32_e32 v2, vcc_lo, v2
	v_and_b32_e32 v0, v0, v3
	v_lshlrev_b32_e32 v3, 24, v23
	v_and_b32_e32 v25, v25, v2
	v_mov_b32_e32 v2, v1
	v_not_b32_e32 v1, v3
	v_cmp_gt_i64_e32 vcc, 0, v[2:3]
	v_ashrrev_i32_e32 v1, 31, v1
	ds_read_b32 v19, v27 offset:64
	v_xor_b32_e32 v2, vcc_hi, v1
	v_xor_b32_e32 v3, vcc_lo, v1
	v_and_b32_e32 v1, v0, v2
	v_and_b32_e32 v0, v25, v3
	v_mbcnt_lo_u32_b32 v2, v0, 0
	v_mbcnt_hi_u32_b32 v23, v1, v2
	v_cmp_eq_u32_e32 vcc, 0, v23
	v_cmp_ne_u64_e64 s[0:1], 0, v[0:1]
	s_and_b64 s[2:3], s[0:1], vcc
	; wave barrier
	s_and_saveexec_b64 s[0:1], s[2:3]
	s_cbranch_execz .LBB1748_95
; %bb.94:
	v_bcnt_u32_b32 v0, v0, 0
	v_bcnt_u32_b32 v0, v1, v0
	s_waitcnt lgkmcnt(0)
	v_add_u32_e32 v0, v19, v0
	ds_write_b32 v27, v0 offset:64
.LBB1748_95:
	s_or_b64 exec, exec, s[0:1]
	s_waitcnt vmcnt(3)
	v_xor_b32_e32 v16, 0x80000000, v16
	v_lshrrev_b32_e32 v0, s24, v16
	v_and_b32_e32 v28, s15, v0
	v_lshl_add_u32 v0, v28, 4, v28
	v_add_lshl_u32 v30, v24, v0, 2
	v_and_b32_e32 v0, 1, v28
	v_mov_b32_e32 v1, 0
	v_lshl_add_u64 v[2:3], v[0:1], 0, -1
	v_cmp_ne_u32_e32 vcc, 0, v0
	; wave barrier
	s_nop 1
	v_xor_b32_e32 v2, vcc_lo, v2
	v_xor_b32_e32 v0, vcc_hi, v3
	v_and_b32_e32 v29, exec_lo, v2
	v_lshlrev_b32_e32 v3, 30, v28
	v_mov_b32_e32 v2, v1
	v_cmp_gt_i64_e32 vcc, 0, v[2:3]
	v_not_b32_e32 v2, v3
	v_ashrrev_i32_e32 v2, 31, v2
	v_and_b32_e32 v0, exec_hi, v0
	v_xor_b32_e32 v3, vcc_hi, v2
	v_xor_b32_e32 v2, vcc_lo, v2
	v_and_b32_e32 v0, v0, v3
	v_and_b32_e32 v29, v29, v2
	v_lshlrev_b32_e32 v3, 29, v28
	v_mov_b32_e32 v2, v1
	v_cmp_gt_i64_e32 vcc, 0, v[2:3]
	v_not_b32_e32 v2, v3
	v_ashrrev_i32_e32 v2, 31, v2
	v_xor_b32_e32 v3, vcc_hi, v2
	v_xor_b32_e32 v2, vcc_lo, v2
	v_and_b32_e32 v0, v0, v3
	v_and_b32_e32 v29, v29, v2
	v_lshlrev_b32_e32 v3, 28, v28
	v_mov_b32_e32 v2, v1
	v_cmp_gt_i64_e32 vcc, 0, v[2:3]
	v_not_b32_e32 v2, v3
	v_ashrrev_i32_e32 v2, 31, v2
	;; [unrolled: 9-line block ×6, first 2 shown]
	v_xor_b32_e32 v3, vcc_hi, v2
	v_xor_b32_e32 v2, vcc_lo, v2
	ds_read_b32 v25, v30 offset:64
	v_and_b32_e32 v2, v29, v2
	v_and_b32_e32 v3, v0, v3
	v_mbcnt_lo_u32_b32 v0, v2, 0
	v_mbcnt_hi_u32_b32 v28, v3, v0
	v_cmp_eq_u32_e32 vcc, 0, v28
	v_cmp_ne_u64_e64 s[0:1], 0, v[2:3]
	s_and_b64 s[2:3], s[0:1], vcc
	; wave barrier
	s_and_saveexec_b64 s[0:1], s[2:3]
	s_cbranch_execz .LBB1748_97
; %bb.96:
	v_bcnt_u32_b32 v0, v2, 0
	v_bcnt_u32_b32 v0, v3, v0
	s_waitcnt lgkmcnt(0)
	v_add_u32_e32 v0, v25, v0
	ds_write_b32 v30, v0 offset:64
.LBB1748_97:
	s_or_b64 exec, exec, s[0:1]
	s_waitcnt vmcnt(2)
	v_xor_b32_e32 v20, 0x80000000, v20
	v_lshrrev_b32_e32 v0, s24, v20
	v_and_b32_e32 v31, s15, v0
	v_lshl_add_u32 v0, v31, 4, v31
	v_add_lshl_u32 v33, v24, v0, 2
	v_and_b32_e32 v0, 1, v31
	v_lshl_add_u64 v[2:3], v[0:1], 0, -1
	v_cmp_ne_u32_e32 vcc, 0, v0
	; wave barrier
	s_nop 1
	v_xor_b32_e32 v2, vcc_lo, v2
	v_xor_b32_e32 v0, vcc_hi, v3
	v_and_b32_e32 v32, exec_lo, v2
	v_lshlrev_b32_e32 v3, 30, v31
	v_mov_b32_e32 v2, v1
	v_cmp_gt_i64_e32 vcc, 0, v[2:3]
	v_not_b32_e32 v2, v3
	v_ashrrev_i32_e32 v2, 31, v2
	v_and_b32_e32 v0, exec_hi, v0
	v_xor_b32_e32 v3, vcc_hi, v2
	v_xor_b32_e32 v2, vcc_lo, v2
	v_and_b32_e32 v0, v0, v3
	v_and_b32_e32 v32, v32, v2
	v_lshlrev_b32_e32 v3, 29, v31
	v_mov_b32_e32 v2, v1
	v_cmp_gt_i64_e32 vcc, 0, v[2:3]
	v_not_b32_e32 v2, v3
	v_ashrrev_i32_e32 v2, 31, v2
	v_xor_b32_e32 v3, vcc_hi, v2
	v_xor_b32_e32 v2, vcc_lo, v2
	v_and_b32_e32 v0, v0, v3
	v_and_b32_e32 v32, v32, v2
	v_lshlrev_b32_e32 v3, 28, v31
	v_mov_b32_e32 v2, v1
	v_cmp_gt_i64_e32 vcc, 0, v[2:3]
	v_not_b32_e32 v2, v3
	v_ashrrev_i32_e32 v2, 31, v2
	;; [unrolled: 9-line block ×5, first 2 shown]
	v_xor_b32_e32 v3, vcc_hi, v2
	v_xor_b32_e32 v2, vcc_lo, v2
	v_and_b32_e32 v0, v0, v3
	v_lshlrev_b32_e32 v3, 24, v31
	v_and_b32_e32 v32, v32, v2
	v_mov_b32_e32 v2, v1
	v_not_b32_e32 v1, v3
	v_cmp_gt_i64_e32 vcc, 0, v[2:3]
	v_ashrrev_i32_e32 v1, 31, v1
	ds_read_b32 v29, v33 offset:64
	v_xor_b32_e32 v2, vcc_hi, v1
	v_xor_b32_e32 v3, vcc_lo, v1
	v_and_b32_e32 v1, v0, v2
	v_and_b32_e32 v0, v32, v3
	v_mbcnt_lo_u32_b32 v2, v0, 0
	v_mbcnt_hi_u32_b32 v31, v1, v2
	v_cmp_eq_u32_e32 vcc, 0, v31
	v_cmp_ne_u64_e64 s[0:1], 0, v[0:1]
	s_and_b64 s[2:3], s[0:1], vcc
	; wave barrier
	s_and_saveexec_b64 s[0:1], s[2:3]
	s_cbranch_execz .LBB1748_99
; %bb.98:
	v_bcnt_u32_b32 v0, v0, 0
	v_bcnt_u32_b32 v0, v1, v0
	s_waitcnt lgkmcnt(0)
	v_add_u32_e32 v0, v29, v0
	ds_write_b32 v33, v0 offset:64
.LBB1748_99:
	s_or_b64 exec, exec, s[0:1]
	s_waitcnt vmcnt(1)
	v_xor_b32_e32 v26, 0x80000000, v26
	v_lshrrev_b32_e32 v0, s24, v26
	v_and_b32_e32 v34, s15, v0
	v_lshl_add_u32 v0, v34, 4, v34
	v_add_lshl_u32 v35, v24, v0, 2
	v_and_b32_e32 v0, 1, v34
	v_mov_b32_e32 v1, 0
	v_lshl_add_u64 v[2:3], v[0:1], 0, -1
	v_cmp_ne_u32_e32 vcc, 0, v0
	; wave barrier
	s_nop 1
	v_xor_b32_e32 v2, vcc_lo, v2
	v_xor_b32_e32 v0, vcc_hi, v3
	v_and_b32_e32 v36, exec_lo, v2
	v_lshlrev_b32_e32 v3, 30, v34
	v_mov_b32_e32 v2, v1
	v_cmp_gt_i64_e32 vcc, 0, v[2:3]
	v_not_b32_e32 v2, v3
	v_ashrrev_i32_e32 v2, 31, v2
	v_and_b32_e32 v0, exec_hi, v0
	v_xor_b32_e32 v3, vcc_hi, v2
	v_xor_b32_e32 v2, vcc_lo, v2
	v_and_b32_e32 v0, v0, v3
	v_and_b32_e32 v36, v36, v2
	v_lshlrev_b32_e32 v3, 29, v34
	v_mov_b32_e32 v2, v1
	v_cmp_gt_i64_e32 vcc, 0, v[2:3]
	v_not_b32_e32 v2, v3
	v_ashrrev_i32_e32 v2, 31, v2
	v_xor_b32_e32 v3, vcc_hi, v2
	v_xor_b32_e32 v2, vcc_lo, v2
	v_and_b32_e32 v0, v0, v3
	v_and_b32_e32 v36, v36, v2
	v_lshlrev_b32_e32 v3, 28, v34
	v_mov_b32_e32 v2, v1
	v_cmp_gt_i64_e32 vcc, 0, v[2:3]
	v_not_b32_e32 v2, v3
	v_ashrrev_i32_e32 v2, 31, v2
	;; [unrolled: 9-line block ×6, first 2 shown]
	v_xor_b32_e32 v3, vcc_hi, v2
	v_xor_b32_e32 v2, vcc_lo, v2
	ds_read_b32 v32, v35 offset:64
	v_and_b32_e32 v2, v36, v2
	v_and_b32_e32 v3, v0, v3
	v_mbcnt_lo_u32_b32 v0, v2, 0
	v_mbcnt_hi_u32_b32 v34, v3, v0
	v_cmp_eq_u32_e32 vcc, 0, v34
	v_cmp_ne_u64_e64 s[0:1], 0, v[2:3]
	s_and_b64 s[2:3], s[0:1], vcc
	; wave barrier
	s_and_saveexec_b64 s[0:1], s[2:3]
	s_cbranch_execz .LBB1748_101
; %bb.100:
	v_bcnt_u32_b32 v0, v2, 0
	v_bcnt_u32_b32 v0, v3, v0
	s_waitcnt lgkmcnt(0)
	v_add_u32_e32 v0, v32, v0
	ds_write_b32 v35, v0 offset:64
.LBB1748_101:
	s_or_b64 exec, exec, s[0:1]
	s_waitcnt vmcnt(0)
	v_xor_b32_e32 v22, 0x80000000, v22
	v_lshrrev_b32_e32 v0, s24, v22
	v_and_b32_e32 v36, s15, v0
	v_lshl_add_u32 v0, v36, 4, v36
	v_add_lshl_u32 v37, v24, v0, 2
	v_and_b32_e32 v0, 1, v36
	v_lshl_add_u64 v[2:3], v[0:1], 0, -1
	v_cmp_ne_u32_e32 vcc, 0, v0
	; wave barrier
	s_nop 1
	v_xor_b32_e32 v2, vcc_lo, v2
	v_xor_b32_e32 v0, vcc_hi, v3
	v_and_b32_e32 v39, exec_lo, v2
	v_lshlrev_b32_e32 v3, 30, v36
	v_mov_b32_e32 v2, v1
	v_cmp_gt_i64_e32 vcc, 0, v[2:3]
	v_not_b32_e32 v2, v3
	v_ashrrev_i32_e32 v2, 31, v2
	v_and_b32_e32 v0, exec_hi, v0
	v_xor_b32_e32 v3, vcc_hi, v2
	v_xor_b32_e32 v2, vcc_lo, v2
	v_and_b32_e32 v0, v0, v3
	v_and_b32_e32 v39, v39, v2
	v_lshlrev_b32_e32 v3, 29, v36
	v_mov_b32_e32 v2, v1
	v_cmp_gt_i64_e32 vcc, 0, v[2:3]
	v_not_b32_e32 v2, v3
	v_ashrrev_i32_e32 v2, 31, v2
	v_xor_b32_e32 v3, vcc_hi, v2
	v_xor_b32_e32 v2, vcc_lo, v2
	v_and_b32_e32 v0, v0, v3
	v_and_b32_e32 v39, v39, v2
	v_lshlrev_b32_e32 v3, 28, v36
	v_mov_b32_e32 v2, v1
	v_cmp_gt_i64_e32 vcc, 0, v[2:3]
	v_not_b32_e32 v2, v3
	v_ashrrev_i32_e32 v2, 31, v2
	;; [unrolled: 9-line block ×5, first 2 shown]
	v_xor_b32_e32 v3, vcc_hi, v2
	v_xor_b32_e32 v2, vcc_lo, v2
	v_and_b32_e32 v0, v0, v3
	v_lshlrev_b32_e32 v3, 24, v36
	v_and_b32_e32 v39, v39, v2
	v_mov_b32_e32 v2, v1
	v_not_b32_e32 v1, v3
	v_cmp_gt_i64_e32 vcc, 0, v[2:3]
	v_ashrrev_i32_e32 v1, 31, v1
	ds_read_b32 v24, v37 offset:64
	v_xor_b32_e32 v2, vcc_hi, v1
	v_xor_b32_e32 v3, vcc_lo, v1
	v_and_b32_e32 v1, v0, v2
	v_and_b32_e32 v0, v39, v3
	v_mbcnt_lo_u32_b32 v2, v0, 0
	v_mbcnt_hi_u32_b32 v36, v1, v2
	v_cmp_eq_u32_e32 vcc, 0, v36
	v_cmp_ne_u64_e64 s[0:1], 0, v[0:1]
	v_add_u32_e32 v38, 64, v5
	s_and_b64 s[2:3], s[0:1], vcc
	; wave barrier
	s_and_saveexec_b64 s[0:1], s[2:3]
	s_cbranch_execz .LBB1748_103
; %bb.102:
	v_bcnt_u32_b32 v0, v0, 0
	v_bcnt_u32_b32 v0, v1, v0
	s_waitcnt lgkmcnt(0)
	v_add_u32_e32 v0, v24, v0
	ds_write_b32 v37, v0 offset:64
.LBB1748_103:
	s_or_b64 exec, exec, s[0:1]
	; wave barrier
	s_waitcnt lgkmcnt(0)
	s_barrier
	ds_read2_b32 v[2:3], v5 offset0:16 offset1:17
	ds_read2_b32 v[0:1], v38 offset0:2 offset1:3
	ds_read_b32 v39, v38 offset:16
	v_cmp_lt_u32_e64 s[2:3], 31, v4
	s_waitcnt lgkmcnt(1)
	v_add3_u32 v40, v3, v2, v0
	s_waitcnt lgkmcnt(0)
	v_add3_u32 v39, v40, v1, v39
	v_and_b32_e32 v40, 15, v4
	v_cmp_eq_u32_e32 vcc, 0, v40
	v_mov_b32_dpp v41, v39 row_shr:1 row_mask:0xf bank_mask:0xf
	v_cmp_lt_u32_e64 s[0:1], 1, v40
	v_cndmask_b32_e64 v41, v41, 0, vcc
	v_add_u32_e32 v39, v41, v39
	v_cmp_lt_u32_e64 s[4:5], 3, v40
	v_cmp_lt_u32_e64 s[6:7], 7, v40
	v_mov_b32_dpp v41, v39 row_shr:2 row_mask:0xf bank_mask:0xf
	v_cndmask_b32_e64 v41, 0, v41, s[0:1]
	v_add_u32_e32 v39, v39, v41
	s_nop 1
	v_mov_b32_dpp v41, v39 row_shr:4 row_mask:0xf bank_mask:0xf
	v_cndmask_b32_e64 v41, 0, v41, s[4:5]
	v_add_u32_e32 v39, v39, v41
	s_nop 1
	v_mov_b32_dpp v41, v39 row_shr:8 row_mask:0xf bank_mask:0xf
	v_cndmask_b32_e64 v40, 0, v41, s[6:7]
	v_add_u32_e32 v39, v39, v40
	v_bfe_i32 v41, v4, 4, 1
	s_nop 0
	v_mov_b32_dpp v40, v39 row_bcast:15 row_mask:0xf bank_mask:0xf
	v_and_b32_e32 v40, v41, v40
	v_add_u32_e32 v39, v39, v40
	v_and_b32_e32 v41, 63, v10
	s_nop 0
	v_mov_b32_dpp v40, v39 row_bcast:31 row_mask:0xf bank_mask:0xf
	v_cndmask_b32_e64 v40, 0, v40, s[2:3]
	v_add_u32_e32 v39, v39, v40
	v_lshrrev_b32_e32 v40, 6, v10
	v_cmp_eq_u32_e64 s[2:3], 63, v41
	s_and_saveexec_b64 s[12:13], s[2:3]
	s_cbranch_execz .LBB1748_105
; %bb.104:
	v_lshlrev_b32_e32 v41, 2, v40
	ds_write_b32 v41, v39
.LBB1748_105:
	s_or_b64 exec, exec, s[12:13]
	v_cmp_gt_u32_e64 s[2:3], 16, v10
	s_waitcnt lgkmcnt(0)
	s_barrier
	s_and_saveexec_b64 s[12:13], s[2:3]
	s_cbranch_execz .LBB1748_107
; %bb.106:
	v_lshlrev_b32_e32 v41, 2, v10
	ds_read_b32 v42, v41
	s_waitcnt lgkmcnt(0)
	s_nop 0
	v_mov_b32_dpp v43, v42 row_shr:1 row_mask:0xf bank_mask:0xf
	v_cndmask_b32_e64 v43, v43, 0, vcc
	v_add_u32_e32 v42, v43, v42
	s_nop 1
	v_mov_b32_dpp v43, v42 row_shr:2 row_mask:0xf bank_mask:0xf
	v_cndmask_b32_e64 v43, 0, v43, s[0:1]
	v_add_u32_e32 v42, v42, v43
	s_nop 1
	v_mov_b32_dpp v43, v42 row_shr:4 row_mask:0xf bank_mask:0xf
	v_cndmask_b32_e64 v43, 0, v43, s[4:5]
	;; [unrolled: 4-line block ×3, first 2 shown]
	v_add_u32_e32 v42, v42, v43
	ds_write_b32 v41, v42
.LBB1748_107:
	s_or_b64 exec, exec, s[12:13]
	v_cmp_lt_u32_e32 vcc, 63, v10
	v_mov_b32_e32 v41, 0
	s_waitcnt lgkmcnt(0)
	s_barrier
	s_and_saveexec_b64 s[0:1], vcc
	s_cbranch_execz .LBB1748_109
; %bb.108:
	v_lshl_add_u32 v40, v40, 2, -4
	ds_read_b32 v41, v40
.LBB1748_109:
	s_or_b64 exec, exec, s[0:1]
	v_add_u32_e32 v40, -1, v4
	v_and_b32_e32 v42, 64, v4
	v_cmp_lt_i32_e32 vcc, v40, v42
	s_waitcnt lgkmcnt(0)
	v_add_u32_e32 v39, v41, v39
	s_movk_i32 s0, 0x100
	v_cndmask_b32_e32 v40, v40, v4, vcc
	v_lshlrev_b32_e32 v40, 2, v40
	ds_bpermute_b32 v39, v40, v39
	v_cmp_eq_u32_e32 vcc, 0, v4
	v_cmp_gt_u32_e64 s[0:1], s0, v10
	s_waitcnt lgkmcnt(0)
	v_cndmask_b32_e32 v4, v39, v41, vcc
	v_cndmask_b32_e64 v4, v4, 0, s[10:11]
	v_add_u32_e32 v2, v4, v2
	v_add_u32_e32 v3, v2, v3
	;; [unrolled: 1-line block ×4, first 2 shown]
	ds_write2_b32 v5, v4, v2 offset0:16 offset1:17
	ds_write2_b32 v38, v3, v0 offset0:2 offset1:3
	ds_write_b32 v38, v1 offset:16
	s_waitcnt lgkmcnt(0)
	s_barrier
	ds_read_b32 v42, v14 offset:64
	ds_read_b32 v38, v17 offset:64
	;; [unrolled: 1-line block ×8, first 2 shown]
                                        ; implicit-def: $vgpr14
                                        ; implicit-def: $vgpr17
	s_and_saveexec_b64 s[2:3], s[0:1]
	s_cbranch_execz .LBB1748_113
; %bb.110:
	v_mul_u32_u24_e32 v0, 17, v10
	v_lshlrev_b32_e32 v1, 2, v0
	ds_read_b32 v14, v1 offset:64
	s_movk_i32 s4, 0xff
	v_cmp_ne_u32_e32 vcc, s4, v10
	v_mov_b32_e32 v0, 0x2000
	s_and_saveexec_b64 s[4:5], vcc
	s_cbranch_execz .LBB1748_112
; %bb.111:
	ds_read_b32 v0, v1 offset:132
.LBB1748_112:
	s_or_b64 exec, exec, s[4:5]
	s_waitcnt lgkmcnt(0)
	v_sub_u32_e32 v17, v0, v14
.LBB1748_113:
	s_or_b64 exec, exec, s[2:3]
	s_waitcnt lgkmcnt(0)
	s_barrier
	s_and_saveexec_b64 s[2:3], s[0:1]
	s_cbranch_execz .LBB1748_123
; %bb.114:
	v_lshl_or_b32 v2, s27, 8, v10
	v_mov_b32_e32 v3, 0
	v_lshl_add_u64 v[0:1], v[2:3], 2, s[18:19]
	v_or_b32_e32 v2, 2.0, v17
	s_mov_b64 s[4:5], 0
	s_brev_b32 s12, 1
	s_mov_b32 s13, s27
	v_mov_b32_e32 v33, 0
	global_store_dword v[0:1], v2, off sc1
                                        ; implicit-def: $sgpr6_sgpr7
	s_branch .LBB1748_117
.LBB1748_115:                           ;   in Loop: Header=BB1748_117 Depth=1
	s_or_b64 exec, exec, s[10:11]
.LBB1748_116:                           ;   in Loop: Header=BB1748_117 Depth=1
	s_or_b64 exec, exec, s[6:7]
	v_and_b32_e32 v4, 0x3fffffff, v35
	v_add_u32_e32 v33, v4, v33
	v_cmp_eq_u32_e64 s[6:7], s12, v2
	s_and_b64 s[10:11], exec, s[6:7]
	s_or_b64 s[4:5], s[10:11], s[4:5]
	s_andn2_b64 exec, exec, s[4:5]
	s_cbranch_execz .LBB1748_122
.LBB1748_117:                           ; =>This Loop Header: Depth=1
                                        ;     Child Loop BB1748_120 Depth 2
	s_or_b64 s[6:7], s[6:7], exec
	s_cmp_eq_u32 s13, 0
	s_cbranch_scc1 .LBB1748_121
; %bb.118:                              ;   in Loop: Header=BB1748_117 Depth=1
	s_add_i32 s13, s13, -1
	v_lshl_or_b32 v2, s13, 8, v10
	v_lshl_add_u64 v[4:5], v[2:3], 2, s[18:19]
	global_load_dword v35, v[4:5], off sc1
	s_waitcnt vmcnt(0)
	v_and_b32_e32 v2, -2.0, v35
	v_cmp_eq_u32_e32 vcc, 0, v2
	s_and_saveexec_b64 s[6:7], vcc
	s_cbranch_execz .LBB1748_116
; %bb.119:                              ;   in Loop: Header=BB1748_117 Depth=1
	s_mov_b64 s[10:11], 0
.LBB1748_120:                           ;   Parent Loop BB1748_117 Depth=1
                                        ; =>  This Inner Loop Header: Depth=2
	global_load_dword v35, v[4:5], off sc1
	s_waitcnt vmcnt(0)
	v_and_b32_e32 v2, -2.0, v35
	v_cmp_ne_u32_e32 vcc, 0, v2
	s_or_b64 s[10:11], vcc, s[10:11]
	s_andn2_b64 exec, exec, s[10:11]
	s_cbranch_execnz .LBB1748_120
	s_branch .LBB1748_115
.LBB1748_121:                           ;   in Loop: Header=BB1748_117 Depth=1
                                        ; implicit-def: $sgpr13
	s_and_b64 s[10:11], exec, s[6:7]
	s_or_b64 s[4:5], s[10:11], s[4:5]
	s_andn2_b64 exec, exec, s[4:5]
	s_cbranch_execnz .LBB1748_117
.LBB1748_122:
	s_or_b64 exec, exec, s[4:5]
	v_add_u32_e32 v2, v33, v17
	v_or_b32_e32 v2, 0x80000000, v2
	global_store_dword v[0:1], v2, off sc1
	v_lshlrev_b32_e32 v0, 2, v10
	global_load_dword v1, v0, s[20:21]
	v_sub_u32_e32 v2, v33, v14
	s_waitcnt vmcnt(0)
	v_add_u32_e32 v1, v2, v1
	ds_write_b32 v0, v1
.LBB1748_123:
	s_or_b64 exec, exec, s[2:3]
	v_add_u32_e32 v0, v36, v24
	v_add_u32_e32 v1, v34, v32
	;; [unrolled: 1-line block ×8, first 2 shown]
	v_lshlrev_b32_e32 v3, 2, v10
	s_movk_i32 s6, 0x400
	v_add_u32_e32 v4, 0x400, v3
	v_add_lshl_u32 v5, v0, v21, 2
	v_add3_u32 v9, v36, v21, v24
	v_add_lshl_u32 v21, v1, v27, 2
	v_add3_u32 v24, v34, v27, v32
	;; [unrolled: 2-line block ×7, first 2 shown]
	v_lshlrev_b32_e32 v13, 2, v2
	s_mov_b64 s[2:3], -1
	s_mov_b32 s7, 0
	s_mov_b32 s10, 0
	s_movk_i32 s11, 0x1000
	s_movk_i32 s12, 0x800
	;; [unrolled: 1-line block ×3, first 2 shown]
	v_mov_b32_e32 v1, 0
	v_mov_b32_e32 v31, v10
	s_branch .LBB1748_125
.LBB1748_124:                           ;   in Loop: Header=BB1748_125 Depth=1
	s_or_b64 exec, exec, s[4:5]
	s_waitcnt lgkmcnt(0)
	s_barrier
	ds_read2st64_b32 v[32:33], v4 offset0:16 offset1:32
	ds_read_b32 v0, v3 offset:1024
	s_xor_b64 s[4:5], s[2:3], -1
	s_addk_i32 s7, 0xc000
	s_addk_i32 s10, 0xf000
	s_waitcnt lgkmcnt(1)
	v_lshrrev_b32_e32 v34, s24, v32
	v_and_b32_e32 v34, s15, v34
	v_lshlrev_b32_e32 v34, 2, v34
	ds_read_b32 v36, v34
	ds_read_b32 v37, v4 offset:12288
	s_waitcnt lgkmcnt(2)
	v_lshrrev_b32_e32 v34, s24, v0
	v_and_b32_e32 v34, s15, v34
	v_xor_b32_e32 v38, 0x80000000, v0
	v_lshlrev_b32_e32 v0, 2, v34
	v_lshrrev_b32_e32 v34, s24, v33
	ds_read_b32 v0, v0
	v_and_b32_e32 v34, s15, v34
	s_waitcnt lgkmcnt(1)
	v_lshrrev_b32_e32 v35, s24, v37
	v_lshlrev_b32_e32 v34, 2, v34
	v_and_b32_e32 v35, s15, v35
	v_lshlrev_b32_e32 v35, 2, v35
	ds_read_b32 v39, v34
	ds_read_b32 v40, v35
	s_waitcnt lgkmcnt(2)
	v_add_u32_e32 v0, v31, v0
	v_lshl_add_u64 v[34:35], v[0:1], 2, s[30:31]
	v_add3_u32 v0, v31, v36, s6
	global_store_dword v[34:35], v38, off
	v_xor_b32_e32 v32, 0x80000000, v32
	v_lshl_add_u64 v[34:35], v[0:1], 2, s[30:31]
	s_waitcnt lgkmcnt(1)
	v_add3_u32 v0, v31, v39, s12
	global_store_dword v[34:35], v32, off
	v_xor_b32_e32 v34, 0x80000000, v33
	v_lshl_add_u64 v[32:33], v[0:1], 2, s[30:31]
	s_waitcnt lgkmcnt(0)
	v_add3_u32 v0, v31, v40, s13
	global_store_dword v[32:33], v34, off
	v_xor_b32_e32 v34, 0x80000000, v37
	v_lshl_add_u64 v[32:33], v[0:1], 2, s[30:31]
	v_add_u32_e32 v31, 0x1000, v31
	s_mov_b64 s[2:3], 0
	s_and_b64 vcc, exec, s[4:5]
	global_store_dword v[32:33], v34, off
	s_barrier
	s_cbranch_vccnz .LBB1748_141
.LBB1748_125:                           ; =>This Inner Loop Header: Depth=1
	v_add_u32_e32 v0, s10, v2
	v_cmp_gt_u32_e32 vcc, s11, v0
	s_and_saveexec_b64 s[4:5], vcc
	s_cbranch_execz .LBB1748_127
; %bb.126:                              ;   in Loop: Header=BB1748_125 Depth=1
	v_add_u32_e32 v0, s7, v13
	ds_write_b32 v0, v6 offset:1024
.LBB1748_127:                           ;   in Loop: Header=BB1748_125 Depth=1
	s_or_b64 exec, exec, s[4:5]
	v_add_u32_e32 v0, s10, v11
	v_cmp_gt_u32_e32 vcc, s11, v0
	s_and_saveexec_b64 s[4:5], vcc
	s_cbranch_execz .LBB1748_129
; %bb.128:                              ;   in Loop: Header=BB1748_125 Depth=1
	v_add_u32_e32 v0, s7, v18
	ds_write_b32 v0, v7 offset:1024
.LBB1748_129:                           ;   in Loop: Header=BB1748_125 Depth=1
	s_or_b64 exec, exec, s[4:5]
	;; [unrolled: 9-line block ×7, first 2 shown]
	v_add_u32_e32 v0, s10, v9
	v_cmp_gt_u32_e32 vcc, s11, v0
	s_and_saveexec_b64 s[4:5], vcc
	s_cbranch_execz .LBB1748_124
; %bb.140:                              ;   in Loop: Header=BB1748_125 Depth=1
	v_add_u32_e32 v0, s7, v5
	ds_write_b32 v0, v22 offset:1024
	s_branch .LBB1748_124
.LBB1748_141:
	s_add_i32 s14, s14, -1
	s_cmp_eq_u32 s14, s27
	s_cselect_b64 s[2:3], -1, 0
	s_and_b64 s[2:3], s[0:1], s[2:3]
                                        ; implicit-def: $vgpr2
	s_and_saveexec_b64 s[0:1], s[2:3]
; %bb.142:
	v_add_u32_e32 v2, v14, v17
	s_or_b64 s[8:9], s[8:9], exec
; %bb.143:
	s_or_b64 exec, exec, s[0:1]
.LBB1748_144:
	s_and_saveexec_b64 s[0:1], s[8:9]
	s_cbranch_execnz .LBB1748_146
; %bb.145:
	s_endpgm
.LBB1748_146:
	v_lshlrev_b32_e32 v0, 2, v10
	ds_read_b32 v1, v0
	s_waitcnt lgkmcnt(0)
	v_add_u32_e32 v1, v1, v2
	global_store_dword v0, v1, s[22:23]
	s_endpgm
	.section	.rodata,"a",@progbits
	.p2align	6, 0x0
	.amdhsa_kernel _ZN7rocprim17ROCPRIM_400000_NS6detail17trampoline_kernelINS0_14default_configENS1_35radix_sort_onesweep_config_selectorIiNS0_10empty_typeEEEZZNS1_29radix_sort_onesweep_iterationIS3_Lb0EN6thrust23THRUST_200600_302600_NS6detail15normal_iteratorINS9_10device_ptrIiEEEESE_PS5_SF_jNS0_19identity_decomposerENS1_16block_id_wrapperIjLb1EEEEE10hipError_tT1_PNSt15iterator_traitsISK_E10value_typeET2_T3_PNSL_ISQ_E10value_typeET4_T5_PSV_SW_PNS1_23onesweep_lookback_stateEbbT6_jjT7_P12ihipStream_tbENKUlT_T0_SK_SP_E_clISE_SE_SF_SF_EEDaS13_S14_SK_SP_EUlS13_E_NS1_11comp_targetILNS1_3genE5ELNS1_11target_archE942ELNS1_3gpuE9ELNS1_3repE0EEENS1_47radix_sort_onesweep_sort_config_static_selectorELNS0_4arch9wavefront6targetE1EEEvSK_
		.amdhsa_group_segment_fixed_size 20552
		.amdhsa_private_segment_fixed_size 0
		.amdhsa_kernarg_size 344
		.amdhsa_user_sgpr_count 2
		.amdhsa_user_sgpr_dispatch_ptr 0
		.amdhsa_user_sgpr_queue_ptr 0
		.amdhsa_user_sgpr_kernarg_segment_ptr 1
		.amdhsa_user_sgpr_dispatch_id 0
		.amdhsa_user_sgpr_kernarg_preload_length 0
		.amdhsa_user_sgpr_kernarg_preload_offset 0
		.amdhsa_user_sgpr_private_segment_size 0
		.amdhsa_uses_dynamic_stack 0
		.amdhsa_enable_private_segment 0
		.amdhsa_system_sgpr_workgroup_id_x 1
		.amdhsa_system_sgpr_workgroup_id_y 0
		.amdhsa_system_sgpr_workgroup_id_z 0
		.amdhsa_system_sgpr_workgroup_info 0
		.amdhsa_system_vgpr_workitem_id 2
		.amdhsa_next_free_vgpr 46
		.amdhsa_next_free_sgpr 44
		.amdhsa_accum_offset 48
		.amdhsa_reserve_vcc 1
		.amdhsa_float_round_mode_32 0
		.amdhsa_float_round_mode_16_64 0
		.amdhsa_float_denorm_mode_32 3
		.amdhsa_float_denorm_mode_16_64 3
		.amdhsa_dx10_clamp 1
		.amdhsa_ieee_mode 1
		.amdhsa_fp16_overflow 0
		.amdhsa_tg_split 0
		.amdhsa_exception_fp_ieee_invalid_op 0
		.amdhsa_exception_fp_denorm_src 0
		.amdhsa_exception_fp_ieee_div_zero 0
		.amdhsa_exception_fp_ieee_overflow 0
		.amdhsa_exception_fp_ieee_underflow 0
		.amdhsa_exception_fp_ieee_inexact 0
		.amdhsa_exception_int_div_zero 0
	.end_amdhsa_kernel
	.section	.text._ZN7rocprim17ROCPRIM_400000_NS6detail17trampoline_kernelINS0_14default_configENS1_35radix_sort_onesweep_config_selectorIiNS0_10empty_typeEEEZZNS1_29radix_sort_onesweep_iterationIS3_Lb0EN6thrust23THRUST_200600_302600_NS6detail15normal_iteratorINS9_10device_ptrIiEEEESE_PS5_SF_jNS0_19identity_decomposerENS1_16block_id_wrapperIjLb1EEEEE10hipError_tT1_PNSt15iterator_traitsISK_E10value_typeET2_T3_PNSL_ISQ_E10value_typeET4_T5_PSV_SW_PNS1_23onesweep_lookback_stateEbbT6_jjT7_P12ihipStream_tbENKUlT_T0_SK_SP_E_clISE_SE_SF_SF_EEDaS13_S14_SK_SP_EUlS13_E_NS1_11comp_targetILNS1_3genE5ELNS1_11target_archE942ELNS1_3gpuE9ELNS1_3repE0EEENS1_47radix_sort_onesweep_sort_config_static_selectorELNS0_4arch9wavefront6targetE1EEEvSK_,"axG",@progbits,_ZN7rocprim17ROCPRIM_400000_NS6detail17trampoline_kernelINS0_14default_configENS1_35radix_sort_onesweep_config_selectorIiNS0_10empty_typeEEEZZNS1_29radix_sort_onesweep_iterationIS3_Lb0EN6thrust23THRUST_200600_302600_NS6detail15normal_iteratorINS9_10device_ptrIiEEEESE_PS5_SF_jNS0_19identity_decomposerENS1_16block_id_wrapperIjLb1EEEEE10hipError_tT1_PNSt15iterator_traitsISK_E10value_typeET2_T3_PNSL_ISQ_E10value_typeET4_T5_PSV_SW_PNS1_23onesweep_lookback_stateEbbT6_jjT7_P12ihipStream_tbENKUlT_T0_SK_SP_E_clISE_SE_SF_SF_EEDaS13_S14_SK_SP_EUlS13_E_NS1_11comp_targetILNS1_3genE5ELNS1_11target_archE942ELNS1_3gpuE9ELNS1_3repE0EEENS1_47radix_sort_onesweep_sort_config_static_selectorELNS0_4arch9wavefront6targetE1EEEvSK_,comdat
.Lfunc_end1748:
	.size	_ZN7rocprim17ROCPRIM_400000_NS6detail17trampoline_kernelINS0_14default_configENS1_35radix_sort_onesweep_config_selectorIiNS0_10empty_typeEEEZZNS1_29radix_sort_onesweep_iterationIS3_Lb0EN6thrust23THRUST_200600_302600_NS6detail15normal_iteratorINS9_10device_ptrIiEEEESE_PS5_SF_jNS0_19identity_decomposerENS1_16block_id_wrapperIjLb1EEEEE10hipError_tT1_PNSt15iterator_traitsISK_E10value_typeET2_T3_PNSL_ISQ_E10value_typeET4_T5_PSV_SW_PNS1_23onesweep_lookback_stateEbbT6_jjT7_P12ihipStream_tbENKUlT_T0_SK_SP_E_clISE_SE_SF_SF_EEDaS13_S14_SK_SP_EUlS13_E_NS1_11comp_targetILNS1_3genE5ELNS1_11target_archE942ELNS1_3gpuE9ELNS1_3repE0EEENS1_47radix_sort_onesweep_sort_config_static_selectorELNS0_4arch9wavefront6targetE1EEEvSK_, .Lfunc_end1748-_ZN7rocprim17ROCPRIM_400000_NS6detail17trampoline_kernelINS0_14default_configENS1_35radix_sort_onesweep_config_selectorIiNS0_10empty_typeEEEZZNS1_29radix_sort_onesweep_iterationIS3_Lb0EN6thrust23THRUST_200600_302600_NS6detail15normal_iteratorINS9_10device_ptrIiEEEESE_PS5_SF_jNS0_19identity_decomposerENS1_16block_id_wrapperIjLb1EEEEE10hipError_tT1_PNSt15iterator_traitsISK_E10value_typeET2_T3_PNSL_ISQ_E10value_typeET4_T5_PSV_SW_PNS1_23onesweep_lookback_stateEbbT6_jjT7_P12ihipStream_tbENKUlT_T0_SK_SP_E_clISE_SE_SF_SF_EEDaS13_S14_SK_SP_EUlS13_E_NS1_11comp_targetILNS1_3genE5ELNS1_11target_archE942ELNS1_3gpuE9ELNS1_3repE0EEENS1_47radix_sort_onesweep_sort_config_static_selectorELNS0_4arch9wavefront6targetE1EEEvSK_
                                        ; -- End function
	.section	.AMDGPU.csdata,"",@progbits
; Kernel info:
; codeLenInByte = 11440
; NumSgprs: 50
; NumVgprs: 46
; NumAgprs: 0
; TotalNumVgprs: 46
; ScratchSize: 0
; MemoryBound: 0
; FloatMode: 240
; IeeeMode: 1
; LDSByteSize: 20552 bytes/workgroup (compile time only)
; SGPRBlocks: 6
; VGPRBlocks: 5
; NumSGPRsForWavesPerEU: 50
; NumVGPRsForWavesPerEU: 46
; AccumOffset: 48
; Occupancy: 8
; WaveLimiterHint : 1
; COMPUTE_PGM_RSRC2:SCRATCH_EN: 0
; COMPUTE_PGM_RSRC2:USER_SGPR: 2
; COMPUTE_PGM_RSRC2:TRAP_HANDLER: 0
; COMPUTE_PGM_RSRC2:TGID_X_EN: 1
; COMPUTE_PGM_RSRC2:TGID_Y_EN: 0
; COMPUTE_PGM_RSRC2:TGID_Z_EN: 0
; COMPUTE_PGM_RSRC2:TIDIG_COMP_CNT: 2
; COMPUTE_PGM_RSRC3_GFX90A:ACCUM_OFFSET: 11
; COMPUTE_PGM_RSRC3_GFX90A:TG_SPLIT: 0
	.section	.text._ZN7rocprim17ROCPRIM_400000_NS6detail17trampoline_kernelINS0_14default_configENS1_35radix_sort_onesweep_config_selectorIiNS0_10empty_typeEEEZZNS1_29radix_sort_onesweep_iterationIS3_Lb0EN6thrust23THRUST_200600_302600_NS6detail15normal_iteratorINS9_10device_ptrIiEEEESE_PS5_SF_jNS0_19identity_decomposerENS1_16block_id_wrapperIjLb1EEEEE10hipError_tT1_PNSt15iterator_traitsISK_E10value_typeET2_T3_PNSL_ISQ_E10value_typeET4_T5_PSV_SW_PNS1_23onesweep_lookback_stateEbbT6_jjT7_P12ihipStream_tbENKUlT_T0_SK_SP_E_clISE_SE_SF_SF_EEDaS13_S14_SK_SP_EUlS13_E_NS1_11comp_targetILNS1_3genE2ELNS1_11target_archE906ELNS1_3gpuE6ELNS1_3repE0EEENS1_47radix_sort_onesweep_sort_config_static_selectorELNS0_4arch9wavefront6targetE1EEEvSK_,"axG",@progbits,_ZN7rocprim17ROCPRIM_400000_NS6detail17trampoline_kernelINS0_14default_configENS1_35radix_sort_onesweep_config_selectorIiNS0_10empty_typeEEEZZNS1_29radix_sort_onesweep_iterationIS3_Lb0EN6thrust23THRUST_200600_302600_NS6detail15normal_iteratorINS9_10device_ptrIiEEEESE_PS5_SF_jNS0_19identity_decomposerENS1_16block_id_wrapperIjLb1EEEEE10hipError_tT1_PNSt15iterator_traitsISK_E10value_typeET2_T3_PNSL_ISQ_E10value_typeET4_T5_PSV_SW_PNS1_23onesweep_lookback_stateEbbT6_jjT7_P12ihipStream_tbENKUlT_T0_SK_SP_E_clISE_SE_SF_SF_EEDaS13_S14_SK_SP_EUlS13_E_NS1_11comp_targetILNS1_3genE2ELNS1_11target_archE906ELNS1_3gpuE6ELNS1_3repE0EEENS1_47radix_sort_onesweep_sort_config_static_selectorELNS0_4arch9wavefront6targetE1EEEvSK_,comdat
	.protected	_ZN7rocprim17ROCPRIM_400000_NS6detail17trampoline_kernelINS0_14default_configENS1_35radix_sort_onesweep_config_selectorIiNS0_10empty_typeEEEZZNS1_29radix_sort_onesweep_iterationIS3_Lb0EN6thrust23THRUST_200600_302600_NS6detail15normal_iteratorINS9_10device_ptrIiEEEESE_PS5_SF_jNS0_19identity_decomposerENS1_16block_id_wrapperIjLb1EEEEE10hipError_tT1_PNSt15iterator_traitsISK_E10value_typeET2_T3_PNSL_ISQ_E10value_typeET4_T5_PSV_SW_PNS1_23onesweep_lookback_stateEbbT6_jjT7_P12ihipStream_tbENKUlT_T0_SK_SP_E_clISE_SE_SF_SF_EEDaS13_S14_SK_SP_EUlS13_E_NS1_11comp_targetILNS1_3genE2ELNS1_11target_archE906ELNS1_3gpuE6ELNS1_3repE0EEENS1_47radix_sort_onesweep_sort_config_static_selectorELNS0_4arch9wavefront6targetE1EEEvSK_ ; -- Begin function _ZN7rocprim17ROCPRIM_400000_NS6detail17trampoline_kernelINS0_14default_configENS1_35radix_sort_onesweep_config_selectorIiNS0_10empty_typeEEEZZNS1_29radix_sort_onesweep_iterationIS3_Lb0EN6thrust23THRUST_200600_302600_NS6detail15normal_iteratorINS9_10device_ptrIiEEEESE_PS5_SF_jNS0_19identity_decomposerENS1_16block_id_wrapperIjLb1EEEEE10hipError_tT1_PNSt15iterator_traitsISK_E10value_typeET2_T3_PNSL_ISQ_E10value_typeET4_T5_PSV_SW_PNS1_23onesweep_lookback_stateEbbT6_jjT7_P12ihipStream_tbENKUlT_T0_SK_SP_E_clISE_SE_SF_SF_EEDaS13_S14_SK_SP_EUlS13_E_NS1_11comp_targetILNS1_3genE2ELNS1_11target_archE906ELNS1_3gpuE6ELNS1_3repE0EEENS1_47radix_sort_onesweep_sort_config_static_selectorELNS0_4arch9wavefront6targetE1EEEvSK_
	.globl	_ZN7rocprim17ROCPRIM_400000_NS6detail17trampoline_kernelINS0_14default_configENS1_35radix_sort_onesweep_config_selectorIiNS0_10empty_typeEEEZZNS1_29radix_sort_onesweep_iterationIS3_Lb0EN6thrust23THRUST_200600_302600_NS6detail15normal_iteratorINS9_10device_ptrIiEEEESE_PS5_SF_jNS0_19identity_decomposerENS1_16block_id_wrapperIjLb1EEEEE10hipError_tT1_PNSt15iterator_traitsISK_E10value_typeET2_T3_PNSL_ISQ_E10value_typeET4_T5_PSV_SW_PNS1_23onesweep_lookback_stateEbbT6_jjT7_P12ihipStream_tbENKUlT_T0_SK_SP_E_clISE_SE_SF_SF_EEDaS13_S14_SK_SP_EUlS13_E_NS1_11comp_targetILNS1_3genE2ELNS1_11target_archE906ELNS1_3gpuE6ELNS1_3repE0EEENS1_47radix_sort_onesweep_sort_config_static_selectorELNS0_4arch9wavefront6targetE1EEEvSK_
	.p2align	8
	.type	_ZN7rocprim17ROCPRIM_400000_NS6detail17trampoline_kernelINS0_14default_configENS1_35radix_sort_onesweep_config_selectorIiNS0_10empty_typeEEEZZNS1_29radix_sort_onesweep_iterationIS3_Lb0EN6thrust23THRUST_200600_302600_NS6detail15normal_iteratorINS9_10device_ptrIiEEEESE_PS5_SF_jNS0_19identity_decomposerENS1_16block_id_wrapperIjLb1EEEEE10hipError_tT1_PNSt15iterator_traitsISK_E10value_typeET2_T3_PNSL_ISQ_E10value_typeET4_T5_PSV_SW_PNS1_23onesweep_lookback_stateEbbT6_jjT7_P12ihipStream_tbENKUlT_T0_SK_SP_E_clISE_SE_SF_SF_EEDaS13_S14_SK_SP_EUlS13_E_NS1_11comp_targetILNS1_3genE2ELNS1_11target_archE906ELNS1_3gpuE6ELNS1_3repE0EEENS1_47radix_sort_onesweep_sort_config_static_selectorELNS0_4arch9wavefront6targetE1EEEvSK_,@function
_ZN7rocprim17ROCPRIM_400000_NS6detail17trampoline_kernelINS0_14default_configENS1_35radix_sort_onesweep_config_selectorIiNS0_10empty_typeEEEZZNS1_29radix_sort_onesweep_iterationIS3_Lb0EN6thrust23THRUST_200600_302600_NS6detail15normal_iteratorINS9_10device_ptrIiEEEESE_PS5_SF_jNS0_19identity_decomposerENS1_16block_id_wrapperIjLb1EEEEE10hipError_tT1_PNSt15iterator_traitsISK_E10value_typeET2_T3_PNSL_ISQ_E10value_typeET4_T5_PSV_SW_PNS1_23onesweep_lookback_stateEbbT6_jjT7_P12ihipStream_tbENKUlT_T0_SK_SP_E_clISE_SE_SF_SF_EEDaS13_S14_SK_SP_EUlS13_E_NS1_11comp_targetILNS1_3genE2ELNS1_11target_archE906ELNS1_3gpuE6ELNS1_3repE0EEENS1_47radix_sort_onesweep_sort_config_static_selectorELNS0_4arch9wavefront6targetE1EEEvSK_: ; @_ZN7rocprim17ROCPRIM_400000_NS6detail17trampoline_kernelINS0_14default_configENS1_35radix_sort_onesweep_config_selectorIiNS0_10empty_typeEEEZZNS1_29radix_sort_onesweep_iterationIS3_Lb0EN6thrust23THRUST_200600_302600_NS6detail15normal_iteratorINS9_10device_ptrIiEEEESE_PS5_SF_jNS0_19identity_decomposerENS1_16block_id_wrapperIjLb1EEEEE10hipError_tT1_PNSt15iterator_traitsISK_E10value_typeET2_T3_PNSL_ISQ_E10value_typeET4_T5_PSV_SW_PNS1_23onesweep_lookback_stateEbbT6_jjT7_P12ihipStream_tbENKUlT_T0_SK_SP_E_clISE_SE_SF_SF_EEDaS13_S14_SK_SP_EUlS13_E_NS1_11comp_targetILNS1_3genE2ELNS1_11target_archE906ELNS1_3gpuE6ELNS1_3repE0EEENS1_47radix_sort_onesweep_sort_config_static_selectorELNS0_4arch9wavefront6targetE1EEEvSK_
; %bb.0:
	.section	.rodata,"a",@progbits
	.p2align	6, 0x0
	.amdhsa_kernel _ZN7rocprim17ROCPRIM_400000_NS6detail17trampoline_kernelINS0_14default_configENS1_35radix_sort_onesweep_config_selectorIiNS0_10empty_typeEEEZZNS1_29radix_sort_onesweep_iterationIS3_Lb0EN6thrust23THRUST_200600_302600_NS6detail15normal_iteratorINS9_10device_ptrIiEEEESE_PS5_SF_jNS0_19identity_decomposerENS1_16block_id_wrapperIjLb1EEEEE10hipError_tT1_PNSt15iterator_traitsISK_E10value_typeET2_T3_PNSL_ISQ_E10value_typeET4_T5_PSV_SW_PNS1_23onesweep_lookback_stateEbbT6_jjT7_P12ihipStream_tbENKUlT_T0_SK_SP_E_clISE_SE_SF_SF_EEDaS13_S14_SK_SP_EUlS13_E_NS1_11comp_targetILNS1_3genE2ELNS1_11target_archE906ELNS1_3gpuE6ELNS1_3repE0EEENS1_47radix_sort_onesweep_sort_config_static_selectorELNS0_4arch9wavefront6targetE1EEEvSK_
		.amdhsa_group_segment_fixed_size 0
		.amdhsa_private_segment_fixed_size 0
		.amdhsa_kernarg_size 88
		.amdhsa_user_sgpr_count 2
		.amdhsa_user_sgpr_dispatch_ptr 0
		.amdhsa_user_sgpr_queue_ptr 0
		.amdhsa_user_sgpr_kernarg_segment_ptr 1
		.amdhsa_user_sgpr_dispatch_id 0
		.amdhsa_user_sgpr_kernarg_preload_length 0
		.amdhsa_user_sgpr_kernarg_preload_offset 0
		.amdhsa_user_sgpr_private_segment_size 0
		.amdhsa_uses_dynamic_stack 0
		.amdhsa_enable_private_segment 0
		.amdhsa_system_sgpr_workgroup_id_x 1
		.amdhsa_system_sgpr_workgroup_id_y 0
		.amdhsa_system_sgpr_workgroup_id_z 0
		.amdhsa_system_sgpr_workgroup_info 0
		.amdhsa_system_vgpr_workitem_id 0
		.amdhsa_next_free_vgpr 1
		.amdhsa_next_free_sgpr 0
		.amdhsa_accum_offset 4
		.amdhsa_reserve_vcc 0
		.amdhsa_float_round_mode_32 0
		.amdhsa_float_round_mode_16_64 0
		.amdhsa_float_denorm_mode_32 3
		.amdhsa_float_denorm_mode_16_64 3
		.amdhsa_dx10_clamp 1
		.amdhsa_ieee_mode 1
		.amdhsa_fp16_overflow 0
		.amdhsa_tg_split 0
		.amdhsa_exception_fp_ieee_invalid_op 0
		.amdhsa_exception_fp_denorm_src 0
		.amdhsa_exception_fp_ieee_div_zero 0
		.amdhsa_exception_fp_ieee_overflow 0
		.amdhsa_exception_fp_ieee_underflow 0
		.amdhsa_exception_fp_ieee_inexact 0
		.amdhsa_exception_int_div_zero 0
	.end_amdhsa_kernel
	.section	.text._ZN7rocprim17ROCPRIM_400000_NS6detail17trampoline_kernelINS0_14default_configENS1_35radix_sort_onesweep_config_selectorIiNS0_10empty_typeEEEZZNS1_29radix_sort_onesweep_iterationIS3_Lb0EN6thrust23THRUST_200600_302600_NS6detail15normal_iteratorINS9_10device_ptrIiEEEESE_PS5_SF_jNS0_19identity_decomposerENS1_16block_id_wrapperIjLb1EEEEE10hipError_tT1_PNSt15iterator_traitsISK_E10value_typeET2_T3_PNSL_ISQ_E10value_typeET4_T5_PSV_SW_PNS1_23onesweep_lookback_stateEbbT6_jjT7_P12ihipStream_tbENKUlT_T0_SK_SP_E_clISE_SE_SF_SF_EEDaS13_S14_SK_SP_EUlS13_E_NS1_11comp_targetILNS1_3genE2ELNS1_11target_archE906ELNS1_3gpuE6ELNS1_3repE0EEENS1_47radix_sort_onesweep_sort_config_static_selectorELNS0_4arch9wavefront6targetE1EEEvSK_,"axG",@progbits,_ZN7rocprim17ROCPRIM_400000_NS6detail17trampoline_kernelINS0_14default_configENS1_35radix_sort_onesweep_config_selectorIiNS0_10empty_typeEEEZZNS1_29radix_sort_onesweep_iterationIS3_Lb0EN6thrust23THRUST_200600_302600_NS6detail15normal_iteratorINS9_10device_ptrIiEEEESE_PS5_SF_jNS0_19identity_decomposerENS1_16block_id_wrapperIjLb1EEEEE10hipError_tT1_PNSt15iterator_traitsISK_E10value_typeET2_T3_PNSL_ISQ_E10value_typeET4_T5_PSV_SW_PNS1_23onesweep_lookback_stateEbbT6_jjT7_P12ihipStream_tbENKUlT_T0_SK_SP_E_clISE_SE_SF_SF_EEDaS13_S14_SK_SP_EUlS13_E_NS1_11comp_targetILNS1_3genE2ELNS1_11target_archE906ELNS1_3gpuE6ELNS1_3repE0EEENS1_47radix_sort_onesweep_sort_config_static_selectorELNS0_4arch9wavefront6targetE1EEEvSK_,comdat
.Lfunc_end1749:
	.size	_ZN7rocprim17ROCPRIM_400000_NS6detail17trampoline_kernelINS0_14default_configENS1_35radix_sort_onesweep_config_selectorIiNS0_10empty_typeEEEZZNS1_29radix_sort_onesweep_iterationIS3_Lb0EN6thrust23THRUST_200600_302600_NS6detail15normal_iteratorINS9_10device_ptrIiEEEESE_PS5_SF_jNS0_19identity_decomposerENS1_16block_id_wrapperIjLb1EEEEE10hipError_tT1_PNSt15iterator_traitsISK_E10value_typeET2_T3_PNSL_ISQ_E10value_typeET4_T5_PSV_SW_PNS1_23onesweep_lookback_stateEbbT6_jjT7_P12ihipStream_tbENKUlT_T0_SK_SP_E_clISE_SE_SF_SF_EEDaS13_S14_SK_SP_EUlS13_E_NS1_11comp_targetILNS1_3genE2ELNS1_11target_archE906ELNS1_3gpuE6ELNS1_3repE0EEENS1_47radix_sort_onesweep_sort_config_static_selectorELNS0_4arch9wavefront6targetE1EEEvSK_, .Lfunc_end1749-_ZN7rocprim17ROCPRIM_400000_NS6detail17trampoline_kernelINS0_14default_configENS1_35radix_sort_onesweep_config_selectorIiNS0_10empty_typeEEEZZNS1_29radix_sort_onesweep_iterationIS3_Lb0EN6thrust23THRUST_200600_302600_NS6detail15normal_iteratorINS9_10device_ptrIiEEEESE_PS5_SF_jNS0_19identity_decomposerENS1_16block_id_wrapperIjLb1EEEEE10hipError_tT1_PNSt15iterator_traitsISK_E10value_typeET2_T3_PNSL_ISQ_E10value_typeET4_T5_PSV_SW_PNS1_23onesweep_lookback_stateEbbT6_jjT7_P12ihipStream_tbENKUlT_T0_SK_SP_E_clISE_SE_SF_SF_EEDaS13_S14_SK_SP_EUlS13_E_NS1_11comp_targetILNS1_3genE2ELNS1_11target_archE906ELNS1_3gpuE6ELNS1_3repE0EEENS1_47radix_sort_onesweep_sort_config_static_selectorELNS0_4arch9wavefront6targetE1EEEvSK_
                                        ; -- End function
	.section	.AMDGPU.csdata,"",@progbits
; Kernel info:
; codeLenInByte = 0
; NumSgprs: 6
; NumVgprs: 0
; NumAgprs: 0
; TotalNumVgprs: 0
; ScratchSize: 0
; MemoryBound: 0
; FloatMode: 240
; IeeeMode: 1
; LDSByteSize: 0 bytes/workgroup (compile time only)
; SGPRBlocks: 0
; VGPRBlocks: 0
; NumSGPRsForWavesPerEU: 6
; NumVGPRsForWavesPerEU: 1
; AccumOffset: 4
; Occupancy: 8
; WaveLimiterHint : 0
; COMPUTE_PGM_RSRC2:SCRATCH_EN: 0
; COMPUTE_PGM_RSRC2:USER_SGPR: 2
; COMPUTE_PGM_RSRC2:TRAP_HANDLER: 0
; COMPUTE_PGM_RSRC2:TGID_X_EN: 1
; COMPUTE_PGM_RSRC2:TGID_Y_EN: 0
; COMPUTE_PGM_RSRC2:TGID_Z_EN: 0
; COMPUTE_PGM_RSRC2:TIDIG_COMP_CNT: 0
; COMPUTE_PGM_RSRC3_GFX90A:ACCUM_OFFSET: 0
; COMPUTE_PGM_RSRC3_GFX90A:TG_SPLIT: 0
	.section	.text._ZN7rocprim17ROCPRIM_400000_NS6detail17trampoline_kernelINS0_14default_configENS1_35radix_sort_onesweep_config_selectorIiNS0_10empty_typeEEEZZNS1_29radix_sort_onesweep_iterationIS3_Lb0EN6thrust23THRUST_200600_302600_NS6detail15normal_iteratorINS9_10device_ptrIiEEEESE_PS5_SF_jNS0_19identity_decomposerENS1_16block_id_wrapperIjLb1EEEEE10hipError_tT1_PNSt15iterator_traitsISK_E10value_typeET2_T3_PNSL_ISQ_E10value_typeET4_T5_PSV_SW_PNS1_23onesweep_lookback_stateEbbT6_jjT7_P12ihipStream_tbENKUlT_T0_SK_SP_E_clISE_SE_SF_SF_EEDaS13_S14_SK_SP_EUlS13_E_NS1_11comp_targetILNS1_3genE4ELNS1_11target_archE910ELNS1_3gpuE8ELNS1_3repE0EEENS1_47radix_sort_onesweep_sort_config_static_selectorELNS0_4arch9wavefront6targetE1EEEvSK_,"axG",@progbits,_ZN7rocprim17ROCPRIM_400000_NS6detail17trampoline_kernelINS0_14default_configENS1_35radix_sort_onesweep_config_selectorIiNS0_10empty_typeEEEZZNS1_29radix_sort_onesweep_iterationIS3_Lb0EN6thrust23THRUST_200600_302600_NS6detail15normal_iteratorINS9_10device_ptrIiEEEESE_PS5_SF_jNS0_19identity_decomposerENS1_16block_id_wrapperIjLb1EEEEE10hipError_tT1_PNSt15iterator_traitsISK_E10value_typeET2_T3_PNSL_ISQ_E10value_typeET4_T5_PSV_SW_PNS1_23onesweep_lookback_stateEbbT6_jjT7_P12ihipStream_tbENKUlT_T0_SK_SP_E_clISE_SE_SF_SF_EEDaS13_S14_SK_SP_EUlS13_E_NS1_11comp_targetILNS1_3genE4ELNS1_11target_archE910ELNS1_3gpuE8ELNS1_3repE0EEENS1_47radix_sort_onesweep_sort_config_static_selectorELNS0_4arch9wavefront6targetE1EEEvSK_,comdat
	.protected	_ZN7rocprim17ROCPRIM_400000_NS6detail17trampoline_kernelINS0_14default_configENS1_35radix_sort_onesweep_config_selectorIiNS0_10empty_typeEEEZZNS1_29radix_sort_onesweep_iterationIS3_Lb0EN6thrust23THRUST_200600_302600_NS6detail15normal_iteratorINS9_10device_ptrIiEEEESE_PS5_SF_jNS0_19identity_decomposerENS1_16block_id_wrapperIjLb1EEEEE10hipError_tT1_PNSt15iterator_traitsISK_E10value_typeET2_T3_PNSL_ISQ_E10value_typeET4_T5_PSV_SW_PNS1_23onesweep_lookback_stateEbbT6_jjT7_P12ihipStream_tbENKUlT_T0_SK_SP_E_clISE_SE_SF_SF_EEDaS13_S14_SK_SP_EUlS13_E_NS1_11comp_targetILNS1_3genE4ELNS1_11target_archE910ELNS1_3gpuE8ELNS1_3repE0EEENS1_47radix_sort_onesweep_sort_config_static_selectorELNS0_4arch9wavefront6targetE1EEEvSK_ ; -- Begin function _ZN7rocprim17ROCPRIM_400000_NS6detail17trampoline_kernelINS0_14default_configENS1_35radix_sort_onesweep_config_selectorIiNS0_10empty_typeEEEZZNS1_29radix_sort_onesweep_iterationIS3_Lb0EN6thrust23THRUST_200600_302600_NS6detail15normal_iteratorINS9_10device_ptrIiEEEESE_PS5_SF_jNS0_19identity_decomposerENS1_16block_id_wrapperIjLb1EEEEE10hipError_tT1_PNSt15iterator_traitsISK_E10value_typeET2_T3_PNSL_ISQ_E10value_typeET4_T5_PSV_SW_PNS1_23onesweep_lookback_stateEbbT6_jjT7_P12ihipStream_tbENKUlT_T0_SK_SP_E_clISE_SE_SF_SF_EEDaS13_S14_SK_SP_EUlS13_E_NS1_11comp_targetILNS1_3genE4ELNS1_11target_archE910ELNS1_3gpuE8ELNS1_3repE0EEENS1_47radix_sort_onesweep_sort_config_static_selectorELNS0_4arch9wavefront6targetE1EEEvSK_
	.globl	_ZN7rocprim17ROCPRIM_400000_NS6detail17trampoline_kernelINS0_14default_configENS1_35radix_sort_onesweep_config_selectorIiNS0_10empty_typeEEEZZNS1_29radix_sort_onesweep_iterationIS3_Lb0EN6thrust23THRUST_200600_302600_NS6detail15normal_iteratorINS9_10device_ptrIiEEEESE_PS5_SF_jNS0_19identity_decomposerENS1_16block_id_wrapperIjLb1EEEEE10hipError_tT1_PNSt15iterator_traitsISK_E10value_typeET2_T3_PNSL_ISQ_E10value_typeET4_T5_PSV_SW_PNS1_23onesweep_lookback_stateEbbT6_jjT7_P12ihipStream_tbENKUlT_T0_SK_SP_E_clISE_SE_SF_SF_EEDaS13_S14_SK_SP_EUlS13_E_NS1_11comp_targetILNS1_3genE4ELNS1_11target_archE910ELNS1_3gpuE8ELNS1_3repE0EEENS1_47radix_sort_onesweep_sort_config_static_selectorELNS0_4arch9wavefront6targetE1EEEvSK_
	.p2align	8
	.type	_ZN7rocprim17ROCPRIM_400000_NS6detail17trampoline_kernelINS0_14default_configENS1_35radix_sort_onesweep_config_selectorIiNS0_10empty_typeEEEZZNS1_29radix_sort_onesweep_iterationIS3_Lb0EN6thrust23THRUST_200600_302600_NS6detail15normal_iteratorINS9_10device_ptrIiEEEESE_PS5_SF_jNS0_19identity_decomposerENS1_16block_id_wrapperIjLb1EEEEE10hipError_tT1_PNSt15iterator_traitsISK_E10value_typeET2_T3_PNSL_ISQ_E10value_typeET4_T5_PSV_SW_PNS1_23onesweep_lookback_stateEbbT6_jjT7_P12ihipStream_tbENKUlT_T0_SK_SP_E_clISE_SE_SF_SF_EEDaS13_S14_SK_SP_EUlS13_E_NS1_11comp_targetILNS1_3genE4ELNS1_11target_archE910ELNS1_3gpuE8ELNS1_3repE0EEENS1_47radix_sort_onesweep_sort_config_static_selectorELNS0_4arch9wavefront6targetE1EEEvSK_,@function
_ZN7rocprim17ROCPRIM_400000_NS6detail17trampoline_kernelINS0_14default_configENS1_35radix_sort_onesweep_config_selectorIiNS0_10empty_typeEEEZZNS1_29radix_sort_onesweep_iterationIS3_Lb0EN6thrust23THRUST_200600_302600_NS6detail15normal_iteratorINS9_10device_ptrIiEEEESE_PS5_SF_jNS0_19identity_decomposerENS1_16block_id_wrapperIjLb1EEEEE10hipError_tT1_PNSt15iterator_traitsISK_E10value_typeET2_T3_PNSL_ISQ_E10value_typeET4_T5_PSV_SW_PNS1_23onesweep_lookback_stateEbbT6_jjT7_P12ihipStream_tbENKUlT_T0_SK_SP_E_clISE_SE_SF_SF_EEDaS13_S14_SK_SP_EUlS13_E_NS1_11comp_targetILNS1_3genE4ELNS1_11target_archE910ELNS1_3gpuE8ELNS1_3repE0EEENS1_47radix_sort_onesweep_sort_config_static_selectorELNS0_4arch9wavefront6targetE1EEEvSK_: ; @_ZN7rocprim17ROCPRIM_400000_NS6detail17trampoline_kernelINS0_14default_configENS1_35radix_sort_onesweep_config_selectorIiNS0_10empty_typeEEEZZNS1_29radix_sort_onesweep_iterationIS3_Lb0EN6thrust23THRUST_200600_302600_NS6detail15normal_iteratorINS9_10device_ptrIiEEEESE_PS5_SF_jNS0_19identity_decomposerENS1_16block_id_wrapperIjLb1EEEEE10hipError_tT1_PNSt15iterator_traitsISK_E10value_typeET2_T3_PNSL_ISQ_E10value_typeET4_T5_PSV_SW_PNS1_23onesweep_lookback_stateEbbT6_jjT7_P12ihipStream_tbENKUlT_T0_SK_SP_E_clISE_SE_SF_SF_EEDaS13_S14_SK_SP_EUlS13_E_NS1_11comp_targetILNS1_3genE4ELNS1_11target_archE910ELNS1_3gpuE8ELNS1_3repE0EEENS1_47radix_sort_onesweep_sort_config_static_selectorELNS0_4arch9wavefront6targetE1EEEvSK_
; %bb.0:
	.section	.rodata,"a",@progbits
	.p2align	6, 0x0
	.amdhsa_kernel _ZN7rocprim17ROCPRIM_400000_NS6detail17trampoline_kernelINS0_14default_configENS1_35radix_sort_onesweep_config_selectorIiNS0_10empty_typeEEEZZNS1_29radix_sort_onesweep_iterationIS3_Lb0EN6thrust23THRUST_200600_302600_NS6detail15normal_iteratorINS9_10device_ptrIiEEEESE_PS5_SF_jNS0_19identity_decomposerENS1_16block_id_wrapperIjLb1EEEEE10hipError_tT1_PNSt15iterator_traitsISK_E10value_typeET2_T3_PNSL_ISQ_E10value_typeET4_T5_PSV_SW_PNS1_23onesweep_lookback_stateEbbT6_jjT7_P12ihipStream_tbENKUlT_T0_SK_SP_E_clISE_SE_SF_SF_EEDaS13_S14_SK_SP_EUlS13_E_NS1_11comp_targetILNS1_3genE4ELNS1_11target_archE910ELNS1_3gpuE8ELNS1_3repE0EEENS1_47radix_sort_onesweep_sort_config_static_selectorELNS0_4arch9wavefront6targetE1EEEvSK_
		.amdhsa_group_segment_fixed_size 0
		.amdhsa_private_segment_fixed_size 0
		.amdhsa_kernarg_size 88
		.amdhsa_user_sgpr_count 2
		.amdhsa_user_sgpr_dispatch_ptr 0
		.amdhsa_user_sgpr_queue_ptr 0
		.amdhsa_user_sgpr_kernarg_segment_ptr 1
		.amdhsa_user_sgpr_dispatch_id 0
		.amdhsa_user_sgpr_kernarg_preload_length 0
		.amdhsa_user_sgpr_kernarg_preload_offset 0
		.amdhsa_user_sgpr_private_segment_size 0
		.amdhsa_uses_dynamic_stack 0
		.amdhsa_enable_private_segment 0
		.amdhsa_system_sgpr_workgroup_id_x 1
		.amdhsa_system_sgpr_workgroup_id_y 0
		.amdhsa_system_sgpr_workgroup_id_z 0
		.amdhsa_system_sgpr_workgroup_info 0
		.amdhsa_system_vgpr_workitem_id 0
		.amdhsa_next_free_vgpr 1
		.amdhsa_next_free_sgpr 0
		.amdhsa_accum_offset 4
		.amdhsa_reserve_vcc 0
		.amdhsa_float_round_mode_32 0
		.amdhsa_float_round_mode_16_64 0
		.amdhsa_float_denorm_mode_32 3
		.amdhsa_float_denorm_mode_16_64 3
		.amdhsa_dx10_clamp 1
		.amdhsa_ieee_mode 1
		.amdhsa_fp16_overflow 0
		.amdhsa_tg_split 0
		.amdhsa_exception_fp_ieee_invalid_op 0
		.amdhsa_exception_fp_denorm_src 0
		.amdhsa_exception_fp_ieee_div_zero 0
		.amdhsa_exception_fp_ieee_overflow 0
		.amdhsa_exception_fp_ieee_underflow 0
		.amdhsa_exception_fp_ieee_inexact 0
		.amdhsa_exception_int_div_zero 0
	.end_amdhsa_kernel
	.section	.text._ZN7rocprim17ROCPRIM_400000_NS6detail17trampoline_kernelINS0_14default_configENS1_35radix_sort_onesweep_config_selectorIiNS0_10empty_typeEEEZZNS1_29radix_sort_onesweep_iterationIS3_Lb0EN6thrust23THRUST_200600_302600_NS6detail15normal_iteratorINS9_10device_ptrIiEEEESE_PS5_SF_jNS0_19identity_decomposerENS1_16block_id_wrapperIjLb1EEEEE10hipError_tT1_PNSt15iterator_traitsISK_E10value_typeET2_T3_PNSL_ISQ_E10value_typeET4_T5_PSV_SW_PNS1_23onesweep_lookback_stateEbbT6_jjT7_P12ihipStream_tbENKUlT_T0_SK_SP_E_clISE_SE_SF_SF_EEDaS13_S14_SK_SP_EUlS13_E_NS1_11comp_targetILNS1_3genE4ELNS1_11target_archE910ELNS1_3gpuE8ELNS1_3repE0EEENS1_47radix_sort_onesweep_sort_config_static_selectorELNS0_4arch9wavefront6targetE1EEEvSK_,"axG",@progbits,_ZN7rocprim17ROCPRIM_400000_NS6detail17trampoline_kernelINS0_14default_configENS1_35radix_sort_onesweep_config_selectorIiNS0_10empty_typeEEEZZNS1_29radix_sort_onesweep_iterationIS3_Lb0EN6thrust23THRUST_200600_302600_NS6detail15normal_iteratorINS9_10device_ptrIiEEEESE_PS5_SF_jNS0_19identity_decomposerENS1_16block_id_wrapperIjLb1EEEEE10hipError_tT1_PNSt15iterator_traitsISK_E10value_typeET2_T3_PNSL_ISQ_E10value_typeET4_T5_PSV_SW_PNS1_23onesweep_lookback_stateEbbT6_jjT7_P12ihipStream_tbENKUlT_T0_SK_SP_E_clISE_SE_SF_SF_EEDaS13_S14_SK_SP_EUlS13_E_NS1_11comp_targetILNS1_3genE4ELNS1_11target_archE910ELNS1_3gpuE8ELNS1_3repE0EEENS1_47radix_sort_onesweep_sort_config_static_selectorELNS0_4arch9wavefront6targetE1EEEvSK_,comdat
.Lfunc_end1750:
	.size	_ZN7rocprim17ROCPRIM_400000_NS6detail17trampoline_kernelINS0_14default_configENS1_35radix_sort_onesweep_config_selectorIiNS0_10empty_typeEEEZZNS1_29radix_sort_onesweep_iterationIS3_Lb0EN6thrust23THRUST_200600_302600_NS6detail15normal_iteratorINS9_10device_ptrIiEEEESE_PS5_SF_jNS0_19identity_decomposerENS1_16block_id_wrapperIjLb1EEEEE10hipError_tT1_PNSt15iterator_traitsISK_E10value_typeET2_T3_PNSL_ISQ_E10value_typeET4_T5_PSV_SW_PNS1_23onesweep_lookback_stateEbbT6_jjT7_P12ihipStream_tbENKUlT_T0_SK_SP_E_clISE_SE_SF_SF_EEDaS13_S14_SK_SP_EUlS13_E_NS1_11comp_targetILNS1_3genE4ELNS1_11target_archE910ELNS1_3gpuE8ELNS1_3repE0EEENS1_47radix_sort_onesweep_sort_config_static_selectorELNS0_4arch9wavefront6targetE1EEEvSK_, .Lfunc_end1750-_ZN7rocprim17ROCPRIM_400000_NS6detail17trampoline_kernelINS0_14default_configENS1_35radix_sort_onesweep_config_selectorIiNS0_10empty_typeEEEZZNS1_29radix_sort_onesweep_iterationIS3_Lb0EN6thrust23THRUST_200600_302600_NS6detail15normal_iteratorINS9_10device_ptrIiEEEESE_PS5_SF_jNS0_19identity_decomposerENS1_16block_id_wrapperIjLb1EEEEE10hipError_tT1_PNSt15iterator_traitsISK_E10value_typeET2_T3_PNSL_ISQ_E10value_typeET4_T5_PSV_SW_PNS1_23onesweep_lookback_stateEbbT6_jjT7_P12ihipStream_tbENKUlT_T0_SK_SP_E_clISE_SE_SF_SF_EEDaS13_S14_SK_SP_EUlS13_E_NS1_11comp_targetILNS1_3genE4ELNS1_11target_archE910ELNS1_3gpuE8ELNS1_3repE0EEENS1_47radix_sort_onesweep_sort_config_static_selectorELNS0_4arch9wavefront6targetE1EEEvSK_
                                        ; -- End function
	.section	.AMDGPU.csdata,"",@progbits
; Kernel info:
; codeLenInByte = 0
; NumSgprs: 6
; NumVgprs: 0
; NumAgprs: 0
; TotalNumVgprs: 0
; ScratchSize: 0
; MemoryBound: 0
; FloatMode: 240
; IeeeMode: 1
; LDSByteSize: 0 bytes/workgroup (compile time only)
; SGPRBlocks: 0
; VGPRBlocks: 0
; NumSGPRsForWavesPerEU: 6
; NumVGPRsForWavesPerEU: 1
; AccumOffset: 4
; Occupancy: 8
; WaveLimiterHint : 0
; COMPUTE_PGM_RSRC2:SCRATCH_EN: 0
; COMPUTE_PGM_RSRC2:USER_SGPR: 2
; COMPUTE_PGM_RSRC2:TRAP_HANDLER: 0
; COMPUTE_PGM_RSRC2:TGID_X_EN: 1
; COMPUTE_PGM_RSRC2:TGID_Y_EN: 0
; COMPUTE_PGM_RSRC2:TGID_Z_EN: 0
; COMPUTE_PGM_RSRC2:TIDIG_COMP_CNT: 0
; COMPUTE_PGM_RSRC3_GFX90A:ACCUM_OFFSET: 0
; COMPUTE_PGM_RSRC3_GFX90A:TG_SPLIT: 0
	.section	.text._ZN7rocprim17ROCPRIM_400000_NS6detail17trampoline_kernelINS0_14default_configENS1_35radix_sort_onesweep_config_selectorIiNS0_10empty_typeEEEZZNS1_29radix_sort_onesweep_iterationIS3_Lb0EN6thrust23THRUST_200600_302600_NS6detail15normal_iteratorINS9_10device_ptrIiEEEESE_PS5_SF_jNS0_19identity_decomposerENS1_16block_id_wrapperIjLb1EEEEE10hipError_tT1_PNSt15iterator_traitsISK_E10value_typeET2_T3_PNSL_ISQ_E10value_typeET4_T5_PSV_SW_PNS1_23onesweep_lookback_stateEbbT6_jjT7_P12ihipStream_tbENKUlT_T0_SK_SP_E_clISE_SE_SF_SF_EEDaS13_S14_SK_SP_EUlS13_E_NS1_11comp_targetILNS1_3genE3ELNS1_11target_archE908ELNS1_3gpuE7ELNS1_3repE0EEENS1_47radix_sort_onesweep_sort_config_static_selectorELNS0_4arch9wavefront6targetE1EEEvSK_,"axG",@progbits,_ZN7rocprim17ROCPRIM_400000_NS6detail17trampoline_kernelINS0_14default_configENS1_35radix_sort_onesweep_config_selectorIiNS0_10empty_typeEEEZZNS1_29radix_sort_onesweep_iterationIS3_Lb0EN6thrust23THRUST_200600_302600_NS6detail15normal_iteratorINS9_10device_ptrIiEEEESE_PS5_SF_jNS0_19identity_decomposerENS1_16block_id_wrapperIjLb1EEEEE10hipError_tT1_PNSt15iterator_traitsISK_E10value_typeET2_T3_PNSL_ISQ_E10value_typeET4_T5_PSV_SW_PNS1_23onesweep_lookback_stateEbbT6_jjT7_P12ihipStream_tbENKUlT_T0_SK_SP_E_clISE_SE_SF_SF_EEDaS13_S14_SK_SP_EUlS13_E_NS1_11comp_targetILNS1_3genE3ELNS1_11target_archE908ELNS1_3gpuE7ELNS1_3repE0EEENS1_47radix_sort_onesweep_sort_config_static_selectorELNS0_4arch9wavefront6targetE1EEEvSK_,comdat
	.protected	_ZN7rocprim17ROCPRIM_400000_NS6detail17trampoline_kernelINS0_14default_configENS1_35radix_sort_onesweep_config_selectorIiNS0_10empty_typeEEEZZNS1_29radix_sort_onesweep_iterationIS3_Lb0EN6thrust23THRUST_200600_302600_NS6detail15normal_iteratorINS9_10device_ptrIiEEEESE_PS5_SF_jNS0_19identity_decomposerENS1_16block_id_wrapperIjLb1EEEEE10hipError_tT1_PNSt15iterator_traitsISK_E10value_typeET2_T3_PNSL_ISQ_E10value_typeET4_T5_PSV_SW_PNS1_23onesweep_lookback_stateEbbT6_jjT7_P12ihipStream_tbENKUlT_T0_SK_SP_E_clISE_SE_SF_SF_EEDaS13_S14_SK_SP_EUlS13_E_NS1_11comp_targetILNS1_3genE3ELNS1_11target_archE908ELNS1_3gpuE7ELNS1_3repE0EEENS1_47radix_sort_onesweep_sort_config_static_selectorELNS0_4arch9wavefront6targetE1EEEvSK_ ; -- Begin function _ZN7rocprim17ROCPRIM_400000_NS6detail17trampoline_kernelINS0_14default_configENS1_35radix_sort_onesweep_config_selectorIiNS0_10empty_typeEEEZZNS1_29radix_sort_onesweep_iterationIS3_Lb0EN6thrust23THRUST_200600_302600_NS6detail15normal_iteratorINS9_10device_ptrIiEEEESE_PS5_SF_jNS0_19identity_decomposerENS1_16block_id_wrapperIjLb1EEEEE10hipError_tT1_PNSt15iterator_traitsISK_E10value_typeET2_T3_PNSL_ISQ_E10value_typeET4_T5_PSV_SW_PNS1_23onesweep_lookback_stateEbbT6_jjT7_P12ihipStream_tbENKUlT_T0_SK_SP_E_clISE_SE_SF_SF_EEDaS13_S14_SK_SP_EUlS13_E_NS1_11comp_targetILNS1_3genE3ELNS1_11target_archE908ELNS1_3gpuE7ELNS1_3repE0EEENS1_47radix_sort_onesweep_sort_config_static_selectorELNS0_4arch9wavefront6targetE1EEEvSK_
	.globl	_ZN7rocprim17ROCPRIM_400000_NS6detail17trampoline_kernelINS0_14default_configENS1_35radix_sort_onesweep_config_selectorIiNS0_10empty_typeEEEZZNS1_29radix_sort_onesweep_iterationIS3_Lb0EN6thrust23THRUST_200600_302600_NS6detail15normal_iteratorINS9_10device_ptrIiEEEESE_PS5_SF_jNS0_19identity_decomposerENS1_16block_id_wrapperIjLb1EEEEE10hipError_tT1_PNSt15iterator_traitsISK_E10value_typeET2_T3_PNSL_ISQ_E10value_typeET4_T5_PSV_SW_PNS1_23onesweep_lookback_stateEbbT6_jjT7_P12ihipStream_tbENKUlT_T0_SK_SP_E_clISE_SE_SF_SF_EEDaS13_S14_SK_SP_EUlS13_E_NS1_11comp_targetILNS1_3genE3ELNS1_11target_archE908ELNS1_3gpuE7ELNS1_3repE0EEENS1_47radix_sort_onesweep_sort_config_static_selectorELNS0_4arch9wavefront6targetE1EEEvSK_
	.p2align	8
	.type	_ZN7rocprim17ROCPRIM_400000_NS6detail17trampoline_kernelINS0_14default_configENS1_35radix_sort_onesweep_config_selectorIiNS0_10empty_typeEEEZZNS1_29radix_sort_onesweep_iterationIS3_Lb0EN6thrust23THRUST_200600_302600_NS6detail15normal_iteratorINS9_10device_ptrIiEEEESE_PS5_SF_jNS0_19identity_decomposerENS1_16block_id_wrapperIjLb1EEEEE10hipError_tT1_PNSt15iterator_traitsISK_E10value_typeET2_T3_PNSL_ISQ_E10value_typeET4_T5_PSV_SW_PNS1_23onesweep_lookback_stateEbbT6_jjT7_P12ihipStream_tbENKUlT_T0_SK_SP_E_clISE_SE_SF_SF_EEDaS13_S14_SK_SP_EUlS13_E_NS1_11comp_targetILNS1_3genE3ELNS1_11target_archE908ELNS1_3gpuE7ELNS1_3repE0EEENS1_47radix_sort_onesweep_sort_config_static_selectorELNS0_4arch9wavefront6targetE1EEEvSK_,@function
_ZN7rocprim17ROCPRIM_400000_NS6detail17trampoline_kernelINS0_14default_configENS1_35radix_sort_onesweep_config_selectorIiNS0_10empty_typeEEEZZNS1_29radix_sort_onesweep_iterationIS3_Lb0EN6thrust23THRUST_200600_302600_NS6detail15normal_iteratorINS9_10device_ptrIiEEEESE_PS5_SF_jNS0_19identity_decomposerENS1_16block_id_wrapperIjLb1EEEEE10hipError_tT1_PNSt15iterator_traitsISK_E10value_typeET2_T3_PNSL_ISQ_E10value_typeET4_T5_PSV_SW_PNS1_23onesweep_lookback_stateEbbT6_jjT7_P12ihipStream_tbENKUlT_T0_SK_SP_E_clISE_SE_SF_SF_EEDaS13_S14_SK_SP_EUlS13_E_NS1_11comp_targetILNS1_3genE3ELNS1_11target_archE908ELNS1_3gpuE7ELNS1_3repE0EEENS1_47radix_sort_onesweep_sort_config_static_selectorELNS0_4arch9wavefront6targetE1EEEvSK_: ; @_ZN7rocprim17ROCPRIM_400000_NS6detail17trampoline_kernelINS0_14default_configENS1_35radix_sort_onesweep_config_selectorIiNS0_10empty_typeEEEZZNS1_29radix_sort_onesweep_iterationIS3_Lb0EN6thrust23THRUST_200600_302600_NS6detail15normal_iteratorINS9_10device_ptrIiEEEESE_PS5_SF_jNS0_19identity_decomposerENS1_16block_id_wrapperIjLb1EEEEE10hipError_tT1_PNSt15iterator_traitsISK_E10value_typeET2_T3_PNSL_ISQ_E10value_typeET4_T5_PSV_SW_PNS1_23onesweep_lookback_stateEbbT6_jjT7_P12ihipStream_tbENKUlT_T0_SK_SP_E_clISE_SE_SF_SF_EEDaS13_S14_SK_SP_EUlS13_E_NS1_11comp_targetILNS1_3genE3ELNS1_11target_archE908ELNS1_3gpuE7ELNS1_3repE0EEENS1_47radix_sort_onesweep_sort_config_static_selectorELNS0_4arch9wavefront6targetE1EEEvSK_
; %bb.0:
	.section	.rodata,"a",@progbits
	.p2align	6, 0x0
	.amdhsa_kernel _ZN7rocprim17ROCPRIM_400000_NS6detail17trampoline_kernelINS0_14default_configENS1_35radix_sort_onesweep_config_selectorIiNS0_10empty_typeEEEZZNS1_29radix_sort_onesweep_iterationIS3_Lb0EN6thrust23THRUST_200600_302600_NS6detail15normal_iteratorINS9_10device_ptrIiEEEESE_PS5_SF_jNS0_19identity_decomposerENS1_16block_id_wrapperIjLb1EEEEE10hipError_tT1_PNSt15iterator_traitsISK_E10value_typeET2_T3_PNSL_ISQ_E10value_typeET4_T5_PSV_SW_PNS1_23onesweep_lookback_stateEbbT6_jjT7_P12ihipStream_tbENKUlT_T0_SK_SP_E_clISE_SE_SF_SF_EEDaS13_S14_SK_SP_EUlS13_E_NS1_11comp_targetILNS1_3genE3ELNS1_11target_archE908ELNS1_3gpuE7ELNS1_3repE0EEENS1_47radix_sort_onesweep_sort_config_static_selectorELNS0_4arch9wavefront6targetE1EEEvSK_
		.amdhsa_group_segment_fixed_size 0
		.amdhsa_private_segment_fixed_size 0
		.amdhsa_kernarg_size 88
		.amdhsa_user_sgpr_count 2
		.amdhsa_user_sgpr_dispatch_ptr 0
		.amdhsa_user_sgpr_queue_ptr 0
		.amdhsa_user_sgpr_kernarg_segment_ptr 1
		.amdhsa_user_sgpr_dispatch_id 0
		.amdhsa_user_sgpr_kernarg_preload_length 0
		.amdhsa_user_sgpr_kernarg_preload_offset 0
		.amdhsa_user_sgpr_private_segment_size 0
		.amdhsa_uses_dynamic_stack 0
		.amdhsa_enable_private_segment 0
		.amdhsa_system_sgpr_workgroup_id_x 1
		.amdhsa_system_sgpr_workgroup_id_y 0
		.amdhsa_system_sgpr_workgroup_id_z 0
		.amdhsa_system_sgpr_workgroup_info 0
		.amdhsa_system_vgpr_workitem_id 0
		.amdhsa_next_free_vgpr 1
		.amdhsa_next_free_sgpr 0
		.amdhsa_accum_offset 4
		.amdhsa_reserve_vcc 0
		.amdhsa_float_round_mode_32 0
		.amdhsa_float_round_mode_16_64 0
		.amdhsa_float_denorm_mode_32 3
		.amdhsa_float_denorm_mode_16_64 3
		.amdhsa_dx10_clamp 1
		.amdhsa_ieee_mode 1
		.amdhsa_fp16_overflow 0
		.amdhsa_tg_split 0
		.amdhsa_exception_fp_ieee_invalid_op 0
		.amdhsa_exception_fp_denorm_src 0
		.amdhsa_exception_fp_ieee_div_zero 0
		.amdhsa_exception_fp_ieee_overflow 0
		.amdhsa_exception_fp_ieee_underflow 0
		.amdhsa_exception_fp_ieee_inexact 0
		.amdhsa_exception_int_div_zero 0
	.end_amdhsa_kernel
	.section	.text._ZN7rocprim17ROCPRIM_400000_NS6detail17trampoline_kernelINS0_14default_configENS1_35radix_sort_onesweep_config_selectorIiNS0_10empty_typeEEEZZNS1_29radix_sort_onesweep_iterationIS3_Lb0EN6thrust23THRUST_200600_302600_NS6detail15normal_iteratorINS9_10device_ptrIiEEEESE_PS5_SF_jNS0_19identity_decomposerENS1_16block_id_wrapperIjLb1EEEEE10hipError_tT1_PNSt15iterator_traitsISK_E10value_typeET2_T3_PNSL_ISQ_E10value_typeET4_T5_PSV_SW_PNS1_23onesweep_lookback_stateEbbT6_jjT7_P12ihipStream_tbENKUlT_T0_SK_SP_E_clISE_SE_SF_SF_EEDaS13_S14_SK_SP_EUlS13_E_NS1_11comp_targetILNS1_3genE3ELNS1_11target_archE908ELNS1_3gpuE7ELNS1_3repE0EEENS1_47radix_sort_onesweep_sort_config_static_selectorELNS0_4arch9wavefront6targetE1EEEvSK_,"axG",@progbits,_ZN7rocprim17ROCPRIM_400000_NS6detail17trampoline_kernelINS0_14default_configENS1_35radix_sort_onesweep_config_selectorIiNS0_10empty_typeEEEZZNS1_29radix_sort_onesweep_iterationIS3_Lb0EN6thrust23THRUST_200600_302600_NS6detail15normal_iteratorINS9_10device_ptrIiEEEESE_PS5_SF_jNS0_19identity_decomposerENS1_16block_id_wrapperIjLb1EEEEE10hipError_tT1_PNSt15iterator_traitsISK_E10value_typeET2_T3_PNSL_ISQ_E10value_typeET4_T5_PSV_SW_PNS1_23onesweep_lookback_stateEbbT6_jjT7_P12ihipStream_tbENKUlT_T0_SK_SP_E_clISE_SE_SF_SF_EEDaS13_S14_SK_SP_EUlS13_E_NS1_11comp_targetILNS1_3genE3ELNS1_11target_archE908ELNS1_3gpuE7ELNS1_3repE0EEENS1_47radix_sort_onesweep_sort_config_static_selectorELNS0_4arch9wavefront6targetE1EEEvSK_,comdat
.Lfunc_end1751:
	.size	_ZN7rocprim17ROCPRIM_400000_NS6detail17trampoline_kernelINS0_14default_configENS1_35radix_sort_onesweep_config_selectorIiNS0_10empty_typeEEEZZNS1_29radix_sort_onesweep_iterationIS3_Lb0EN6thrust23THRUST_200600_302600_NS6detail15normal_iteratorINS9_10device_ptrIiEEEESE_PS5_SF_jNS0_19identity_decomposerENS1_16block_id_wrapperIjLb1EEEEE10hipError_tT1_PNSt15iterator_traitsISK_E10value_typeET2_T3_PNSL_ISQ_E10value_typeET4_T5_PSV_SW_PNS1_23onesweep_lookback_stateEbbT6_jjT7_P12ihipStream_tbENKUlT_T0_SK_SP_E_clISE_SE_SF_SF_EEDaS13_S14_SK_SP_EUlS13_E_NS1_11comp_targetILNS1_3genE3ELNS1_11target_archE908ELNS1_3gpuE7ELNS1_3repE0EEENS1_47radix_sort_onesweep_sort_config_static_selectorELNS0_4arch9wavefront6targetE1EEEvSK_, .Lfunc_end1751-_ZN7rocprim17ROCPRIM_400000_NS6detail17trampoline_kernelINS0_14default_configENS1_35radix_sort_onesweep_config_selectorIiNS0_10empty_typeEEEZZNS1_29radix_sort_onesweep_iterationIS3_Lb0EN6thrust23THRUST_200600_302600_NS6detail15normal_iteratorINS9_10device_ptrIiEEEESE_PS5_SF_jNS0_19identity_decomposerENS1_16block_id_wrapperIjLb1EEEEE10hipError_tT1_PNSt15iterator_traitsISK_E10value_typeET2_T3_PNSL_ISQ_E10value_typeET4_T5_PSV_SW_PNS1_23onesweep_lookback_stateEbbT6_jjT7_P12ihipStream_tbENKUlT_T0_SK_SP_E_clISE_SE_SF_SF_EEDaS13_S14_SK_SP_EUlS13_E_NS1_11comp_targetILNS1_3genE3ELNS1_11target_archE908ELNS1_3gpuE7ELNS1_3repE0EEENS1_47radix_sort_onesweep_sort_config_static_selectorELNS0_4arch9wavefront6targetE1EEEvSK_
                                        ; -- End function
	.section	.AMDGPU.csdata,"",@progbits
; Kernel info:
; codeLenInByte = 0
; NumSgprs: 6
; NumVgprs: 0
; NumAgprs: 0
; TotalNumVgprs: 0
; ScratchSize: 0
; MemoryBound: 0
; FloatMode: 240
; IeeeMode: 1
; LDSByteSize: 0 bytes/workgroup (compile time only)
; SGPRBlocks: 0
; VGPRBlocks: 0
; NumSGPRsForWavesPerEU: 6
; NumVGPRsForWavesPerEU: 1
; AccumOffset: 4
; Occupancy: 8
; WaveLimiterHint : 0
; COMPUTE_PGM_RSRC2:SCRATCH_EN: 0
; COMPUTE_PGM_RSRC2:USER_SGPR: 2
; COMPUTE_PGM_RSRC2:TRAP_HANDLER: 0
; COMPUTE_PGM_RSRC2:TGID_X_EN: 1
; COMPUTE_PGM_RSRC2:TGID_Y_EN: 0
; COMPUTE_PGM_RSRC2:TGID_Z_EN: 0
; COMPUTE_PGM_RSRC2:TIDIG_COMP_CNT: 0
; COMPUTE_PGM_RSRC3_GFX90A:ACCUM_OFFSET: 0
; COMPUTE_PGM_RSRC3_GFX90A:TG_SPLIT: 0
	.section	.text._ZN7rocprim17ROCPRIM_400000_NS6detail17trampoline_kernelINS0_14default_configENS1_35radix_sort_onesweep_config_selectorIiNS0_10empty_typeEEEZZNS1_29radix_sort_onesweep_iterationIS3_Lb0EN6thrust23THRUST_200600_302600_NS6detail15normal_iteratorINS9_10device_ptrIiEEEESE_PS5_SF_jNS0_19identity_decomposerENS1_16block_id_wrapperIjLb1EEEEE10hipError_tT1_PNSt15iterator_traitsISK_E10value_typeET2_T3_PNSL_ISQ_E10value_typeET4_T5_PSV_SW_PNS1_23onesweep_lookback_stateEbbT6_jjT7_P12ihipStream_tbENKUlT_T0_SK_SP_E_clISE_SE_SF_SF_EEDaS13_S14_SK_SP_EUlS13_E_NS1_11comp_targetILNS1_3genE10ELNS1_11target_archE1201ELNS1_3gpuE5ELNS1_3repE0EEENS1_47radix_sort_onesweep_sort_config_static_selectorELNS0_4arch9wavefront6targetE1EEEvSK_,"axG",@progbits,_ZN7rocprim17ROCPRIM_400000_NS6detail17trampoline_kernelINS0_14default_configENS1_35radix_sort_onesweep_config_selectorIiNS0_10empty_typeEEEZZNS1_29radix_sort_onesweep_iterationIS3_Lb0EN6thrust23THRUST_200600_302600_NS6detail15normal_iteratorINS9_10device_ptrIiEEEESE_PS5_SF_jNS0_19identity_decomposerENS1_16block_id_wrapperIjLb1EEEEE10hipError_tT1_PNSt15iterator_traitsISK_E10value_typeET2_T3_PNSL_ISQ_E10value_typeET4_T5_PSV_SW_PNS1_23onesweep_lookback_stateEbbT6_jjT7_P12ihipStream_tbENKUlT_T0_SK_SP_E_clISE_SE_SF_SF_EEDaS13_S14_SK_SP_EUlS13_E_NS1_11comp_targetILNS1_3genE10ELNS1_11target_archE1201ELNS1_3gpuE5ELNS1_3repE0EEENS1_47radix_sort_onesweep_sort_config_static_selectorELNS0_4arch9wavefront6targetE1EEEvSK_,comdat
	.protected	_ZN7rocprim17ROCPRIM_400000_NS6detail17trampoline_kernelINS0_14default_configENS1_35radix_sort_onesweep_config_selectorIiNS0_10empty_typeEEEZZNS1_29radix_sort_onesweep_iterationIS3_Lb0EN6thrust23THRUST_200600_302600_NS6detail15normal_iteratorINS9_10device_ptrIiEEEESE_PS5_SF_jNS0_19identity_decomposerENS1_16block_id_wrapperIjLb1EEEEE10hipError_tT1_PNSt15iterator_traitsISK_E10value_typeET2_T3_PNSL_ISQ_E10value_typeET4_T5_PSV_SW_PNS1_23onesweep_lookback_stateEbbT6_jjT7_P12ihipStream_tbENKUlT_T0_SK_SP_E_clISE_SE_SF_SF_EEDaS13_S14_SK_SP_EUlS13_E_NS1_11comp_targetILNS1_3genE10ELNS1_11target_archE1201ELNS1_3gpuE5ELNS1_3repE0EEENS1_47radix_sort_onesweep_sort_config_static_selectorELNS0_4arch9wavefront6targetE1EEEvSK_ ; -- Begin function _ZN7rocprim17ROCPRIM_400000_NS6detail17trampoline_kernelINS0_14default_configENS1_35radix_sort_onesweep_config_selectorIiNS0_10empty_typeEEEZZNS1_29radix_sort_onesweep_iterationIS3_Lb0EN6thrust23THRUST_200600_302600_NS6detail15normal_iteratorINS9_10device_ptrIiEEEESE_PS5_SF_jNS0_19identity_decomposerENS1_16block_id_wrapperIjLb1EEEEE10hipError_tT1_PNSt15iterator_traitsISK_E10value_typeET2_T3_PNSL_ISQ_E10value_typeET4_T5_PSV_SW_PNS1_23onesweep_lookback_stateEbbT6_jjT7_P12ihipStream_tbENKUlT_T0_SK_SP_E_clISE_SE_SF_SF_EEDaS13_S14_SK_SP_EUlS13_E_NS1_11comp_targetILNS1_3genE10ELNS1_11target_archE1201ELNS1_3gpuE5ELNS1_3repE0EEENS1_47radix_sort_onesweep_sort_config_static_selectorELNS0_4arch9wavefront6targetE1EEEvSK_
	.globl	_ZN7rocprim17ROCPRIM_400000_NS6detail17trampoline_kernelINS0_14default_configENS1_35radix_sort_onesweep_config_selectorIiNS0_10empty_typeEEEZZNS1_29radix_sort_onesweep_iterationIS3_Lb0EN6thrust23THRUST_200600_302600_NS6detail15normal_iteratorINS9_10device_ptrIiEEEESE_PS5_SF_jNS0_19identity_decomposerENS1_16block_id_wrapperIjLb1EEEEE10hipError_tT1_PNSt15iterator_traitsISK_E10value_typeET2_T3_PNSL_ISQ_E10value_typeET4_T5_PSV_SW_PNS1_23onesweep_lookback_stateEbbT6_jjT7_P12ihipStream_tbENKUlT_T0_SK_SP_E_clISE_SE_SF_SF_EEDaS13_S14_SK_SP_EUlS13_E_NS1_11comp_targetILNS1_3genE10ELNS1_11target_archE1201ELNS1_3gpuE5ELNS1_3repE0EEENS1_47radix_sort_onesweep_sort_config_static_selectorELNS0_4arch9wavefront6targetE1EEEvSK_
	.p2align	8
	.type	_ZN7rocprim17ROCPRIM_400000_NS6detail17trampoline_kernelINS0_14default_configENS1_35radix_sort_onesweep_config_selectorIiNS0_10empty_typeEEEZZNS1_29radix_sort_onesweep_iterationIS3_Lb0EN6thrust23THRUST_200600_302600_NS6detail15normal_iteratorINS9_10device_ptrIiEEEESE_PS5_SF_jNS0_19identity_decomposerENS1_16block_id_wrapperIjLb1EEEEE10hipError_tT1_PNSt15iterator_traitsISK_E10value_typeET2_T3_PNSL_ISQ_E10value_typeET4_T5_PSV_SW_PNS1_23onesweep_lookback_stateEbbT6_jjT7_P12ihipStream_tbENKUlT_T0_SK_SP_E_clISE_SE_SF_SF_EEDaS13_S14_SK_SP_EUlS13_E_NS1_11comp_targetILNS1_3genE10ELNS1_11target_archE1201ELNS1_3gpuE5ELNS1_3repE0EEENS1_47radix_sort_onesweep_sort_config_static_selectorELNS0_4arch9wavefront6targetE1EEEvSK_,@function
_ZN7rocprim17ROCPRIM_400000_NS6detail17trampoline_kernelINS0_14default_configENS1_35radix_sort_onesweep_config_selectorIiNS0_10empty_typeEEEZZNS1_29radix_sort_onesweep_iterationIS3_Lb0EN6thrust23THRUST_200600_302600_NS6detail15normal_iteratorINS9_10device_ptrIiEEEESE_PS5_SF_jNS0_19identity_decomposerENS1_16block_id_wrapperIjLb1EEEEE10hipError_tT1_PNSt15iterator_traitsISK_E10value_typeET2_T3_PNSL_ISQ_E10value_typeET4_T5_PSV_SW_PNS1_23onesweep_lookback_stateEbbT6_jjT7_P12ihipStream_tbENKUlT_T0_SK_SP_E_clISE_SE_SF_SF_EEDaS13_S14_SK_SP_EUlS13_E_NS1_11comp_targetILNS1_3genE10ELNS1_11target_archE1201ELNS1_3gpuE5ELNS1_3repE0EEENS1_47radix_sort_onesweep_sort_config_static_selectorELNS0_4arch9wavefront6targetE1EEEvSK_: ; @_ZN7rocprim17ROCPRIM_400000_NS6detail17trampoline_kernelINS0_14default_configENS1_35radix_sort_onesweep_config_selectorIiNS0_10empty_typeEEEZZNS1_29radix_sort_onesweep_iterationIS3_Lb0EN6thrust23THRUST_200600_302600_NS6detail15normal_iteratorINS9_10device_ptrIiEEEESE_PS5_SF_jNS0_19identity_decomposerENS1_16block_id_wrapperIjLb1EEEEE10hipError_tT1_PNSt15iterator_traitsISK_E10value_typeET2_T3_PNSL_ISQ_E10value_typeET4_T5_PSV_SW_PNS1_23onesweep_lookback_stateEbbT6_jjT7_P12ihipStream_tbENKUlT_T0_SK_SP_E_clISE_SE_SF_SF_EEDaS13_S14_SK_SP_EUlS13_E_NS1_11comp_targetILNS1_3genE10ELNS1_11target_archE1201ELNS1_3gpuE5ELNS1_3repE0EEENS1_47radix_sort_onesweep_sort_config_static_selectorELNS0_4arch9wavefront6targetE1EEEvSK_
; %bb.0:
	.section	.rodata,"a",@progbits
	.p2align	6, 0x0
	.amdhsa_kernel _ZN7rocprim17ROCPRIM_400000_NS6detail17trampoline_kernelINS0_14default_configENS1_35radix_sort_onesweep_config_selectorIiNS0_10empty_typeEEEZZNS1_29radix_sort_onesweep_iterationIS3_Lb0EN6thrust23THRUST_200600_302600_NS6detail15normal_iteratorINS9_10device_ptrIiEEEESE_PS5_SF_jNS0_19identity_decomposerENS1_16block_id_wrapperIjLb1EEEEE10hipError_tT1_PNSt15iterator_traitsISK_E10value_typeET2_T3_PNSL_ISQ_E10value_typeET4_T5_PSV_SW_PNS1_23onesweep_lookback_stateEbbT6_jjT7_P12ihipStream_tbENKUlT_T0_SK_SP_E_clISE_SE_SF_SF_EEDaS13_S14_SK_SP_EUlS13_E_NS1_11comp_targetILNS1_3genE10ELNS1_11target_archE1201ELNS1_3gpuE5ELNS1_3repE0EEENS1_47radix_sort_onesweep_sort_config_static_selectorELNS0_4arch9wavefront6targetE1EEEvSK_
		.amdhsa_group_segment_fixed_size 0
		.amdhsa_private_segment_fixed_size 0
		.amdhsa_kernarg_size 88
		.amdhsa_user_sgpr_count 2
		.amdhsa_user_sgpr_dispatch_ptr 0
		.amdhsa_user_sgpr_queue_ptr 0
		.amdhsa_user_sgpr_kernarg_segment_ptr 1
		.amdhsa_user_sgpr_dispatch_id 0
		.amdhsa_user_sgpr_kernarg_preload_length 0
		.amdhsa_user_sgpr_kernarg_preload_offset 0
		.amdhsa_user_sgpr_private_segment_size 0
		.amdhsa_uses_dynamic_stack 0
		.amdhsa_enable_private_segment 0
		.amdhsa_system_sgpr_workgroup_id_x 1
		.amdhsa_system_sgpr_workgroup_id_y 0
		.amdhsa_system_sgpr_workgroup_id_z 0
		.amdhsa_system_sgpr_workgroup_info 0
		.amdhsa_system_vgpr_workitem_id 0
		.amdhsa_next_free_vgpr 1
		.amdhsa_next_free_sgpr 0
		.amdhsa_accum_offset 4
		.amdhsa_reserve_vcc 0
		.amdhsa_float_round_mode_32 0
		.amdhsa_float_round_mode_16_64 0
		.amdhsa_float_denorm_mode_32 3
		.amdhsa_float_denorm_mode_16_64 3
		.amdhsa_dx10_clamp 1
		.amdhsa_ieee_mode 1
		.amdhsa_fp16_overflow 0
		.amdhsa_tg_split 0
		.amdhsa_exception_fp_ieee_invalid_op 0
		.amdhsa_exception_fp_denorm_src 0
		.amdhsa_exception_fp_ieee_div_zero 0
		.amdhsa_exception_fp_ieee_overflow 0
		.amdhsa_exception_fp_ieee_underflow 0
		.amdhsa_exception_fp_ieee_inexact 0
		.amdhsa_exception_int_div_zero 0
	.end_amdhsa_kernel
	.section	.text._ZN7rocprim17ROCPRIM_400000_NS6detail17trampoline_kernelINS0_14default_configENS1_35radix_sort_onesweep_config_selectorIiNS0_10empty_typeEEEZZNS1_29radix_sort_onesweep_iterationIS3_Lb0EN6thrust23THRUST_200600_302600_NS6detail15normal_iteratorINS9_10device_ptrIiEEEESE_PS5_SF_jNS0_19identity_decomposerENS1_16block_id_wrapperIjLb1EEEEE10hipError_tT1_PNSt15iterator_traitsISK_E10value_typeET2_T3_PNSL_ISQ_E10value_typeET4_T5_PSV_SW_PNS1_23onesweep_lookback_stateEbbT6_jjT7_P12ihipStream_tbENKUlT_T0_SK_SP_E_clISE_SE_SF_SF_EEDaS13_S14_SK_SP_EUlS13_E_NS1_11comp_targetILNS1_3genE10ELNS1_11target_archE1201ELNS1_3gpuE5ELNS1_3repE0EEENS1_47radix_sort_onesweep_sort_config_static_selectorELNS0_4arch9wavefront6targetE1EEEvSK_,"axG",@progbits,_ZN7rocprim17ROCPRIM_400000_NS6detail17trampoline_kernelINS0_14default_configENS1_35radix_sort_onesweep_config_selectorIiNS0_10empty_typeEEEZZNS1_29radix_sort_onesweep_iterationIS3_Lb0EN6thrust23THRUST_200600_302600_NS6detail15normal_iteratorINS9_10device_ptrIiEEEESE_PS5_SF_jNS0_19identity_decomposerENS1_16block_id_wrapperIjLb1EEEEE10hipError_tT1_PNSt15iterator_traitsISK_E10value_typeET2_T3_PNSL_ISQ_E10value_typeET4_T5_PSV_SW_PNS1_23onesweep_lookback_stateEbbT6_jjT7_P12ihipStream_tbENKUlT_T0_SK_SP_E_clISE_SE_SF_SF_EEDaS13_S14_SK_SP_EUlS13_E_NS1_11comp_targetILNS1_3genE10ELNS1_11target_archE1201ELNS1_3gpuE5ELNS1_3repE0EEENS1_47radix_sort_onesweep_sort_config_static_selectorELNS0_4arch9wavefront6targetE1EEEvSK_,comdat
.Lfunc_end1752:
	.size	_ZN7rocprim17ROCPRIM_400000_NS6detail17trampoline_kernelINS0_14default_configENS1_35radix_sort_onesweep_config_selectorIiNS0_10empty_typeEEEZZNS1_29radix_sort_onesweep_iterationIS3_Lb0EN6thrust23THRUST_200600_302600_NS6detail15normal_iteratorINS9_10device_ptrIiEEEESE_PS5_SF_jNS0_19identity_decomposerENS1_16block_id_wrapperIjLb1EEEEE10hipError_tT1_PNSt15iterator_traitsISK_E10value_typeET2_T3_PNSL_ISQ_E10value_typeET4_T5_PSV_SW_PNS1_23onesweep_lookback_stateEbbT6_jjT7_P12ihipStream_tbENKUlT_T0_SK_SP_E_clISE_SE_SF_SF_EEDaS13_S14_SK_SP_EUlS13_E_NS1_11comp_targetILNS1_3genE10ELNS1_11target_archE1201ELNS1_3gpuE5ELNS1_3repE0EEENS1_47radix_sort_onesweep_sort_config_static_selectorELNS0_4arch9wavefront6targetE1EEEvSK_, .Lfunc_end1752-_ZN7rocprim17ROCPRIM_400000_NS6detail17trampoline_kernelINS0_14default_configENS1_35radix_sort_onesweep_config_selectorIiNS0_10empty_typeEEEZZNS1_29radix_sort_onesweep_iterationIS3_Lb0EN6thrust23THRUST_200600_302600_NS6detail15normal_iteratorINS9_10device_ptrIiEEEESE_PS5_SF_jNS0_19identity_decomposerENS1_16block_id_wrapperIjLb1EEEEE10hipError_tT1_PNSt15iterator_traitsISK_E10value_typeET2_T3_PNSL_ISQ_E10value_typeET4_T5_PSV_SW_PNS1_23onesweep_lookback_stateEbbT6_jjT7_P12ihipStream_tbENKUlT_T0_SK_SP_E_clISE_SE_SF_SF_EEDaS13_S14_SK_SP_EUlS13_E_NS1_11comp_targetILNS1_3genE10ELNS1_11target_archE1201ELNS1_3gpuE5ELNS1_3repE0EEENS1_47radix_sort_onesweep_sort_config_static_selectorELNS0_4arch9wavefront6targetE1EEEvSK_
                                        ; -- End function
	.section	.AMDGPU.csdata,"",@progbits
; Kernel info:
; codeLenInByte = 0
; NumSgprs: 6
; NumVgprs: 0
; NumAgprs: 0
; TotalNumVgprs: 0
; ScratchSize: 0
; MemoryBound: 0
; FloatMode: 240
; IeeeMode: 1
; LDSByteSize: 0 bytes/workgroup (compile time only)
; SGPRBlocks: 0
; VGPRBlocks: 0
; NumSGPRsForWavesPerEU: 6
; NumVGPRsForWavesPerEU: 1
; AccumOffset: 4
; Occupancy: 8
; WaveLimiterHint : 0
; COMPUTE_PGM_RSRC2:SCRATCH_EN: 0
; COMPUTE_PGM_RSRC2:USER_SGPR: 2
; COMPUTE_PGM_RSRC2:TRAP_HANDLER: 0
; COMPUTE_PGM_RSRC2:TGID_X_EN: 1
; COMPUTE_PGM_RSRC2:TGID_Y_EN: 0
; COMPUTE_PGM_RSRC2:TGID_Z_EN: 0
; COMPUTE_PGM_RSRC2:TIDIG_COMP_CNT: 0
; COMPUTE_PGM_RSRC3_GFX90A:ACCUM_OFFSET: 0
; COMPUTE_PGM_RSRC3_GFX90A:TG_SPLIT: 0
	.section	.text._ZN7rocprim17ROCPRIM_400000_NS6detail17trampoline_kernelINS0_14default_configENS1_35radix_sort_onesweep_config_selectorIiNS0_10empty_typeEEEZZNS1_29radix_sort_onesweep_iterationIS3_Lb0EN6thrust23THRUST_200600_302600_NS6detail15normal_iteratorINS9_10device_ptrIiEEEESE_PS5_SF_jNS0_19identity_decomposerENS1_16block_id_wrapperIjLb1EEEEE10hipError_tT1_PNSt15iterator_traitsISK_E10value_typeET2_T3_PNSL_ISQ_E10value_typeET4_T5_PSV_SW_PNS1_23onesweep_lookback_stateEbbT6_jjT7_P12ihipStream_tbENKUlT_T0_SK_SP_E_clISE_SE_SF_SF_EEDaS13_S14_SK_SP_EUlS13_E_NS1_11comp_targetILNS1_3genE9ELNS1_11target_archE1100ELNS1_3gpuE3ELNS1_3repE0EEENS1_47radix_sort_onesweep_sort_config_static_selectorELNS0_4arch9wavefront6targetE1EEEvSK_,"axG",@progbits,_ZN7rocprim17ROCPRIM_400000_NS6detail17trampoline_kernelINS0_14default_configENS1_35radix_sort_onesweep_config_selectorIiNS0_10empty_typeEEEZZNS1_29radix_sort_onesweep_iterationIS3_Lb0EN6thrust23THRUST_200600_302600_NS6detail15normal_iteratorINS9_10device_ptrIiEEEESE_PS5_SF_jNS0_19identity_decomposerENS1_16block_id_wrapperIjLb1EEEEE10hipError_tT1_PNSt15iterator_traitsISK_E10value_typeET2_T3_PNSL_ISQ_E10value_typeET4_T5_PSV_SW_PNS1_23onesweep_lookback_stateEbbT6_jjT7_P12ihipStream_tbENKUlT_T0_SK_SP_E_clISE_SE_SF_SF_EEDaS13_S14_SK_SP_EUlS13_E_NS1_11comp_targetILNS1_3genE9ELNS1_11target_archE1100ELNS1_3gpuE3ELNS1_3repE0EEENS1_47radix_sort_onesweep_sort_config_static_selectorELNS0_4arch9wavefront6targetE1EEEvSK_,comdat
	.protected	_ZN7rocprim17ROCPRIM_400000_NS6detail17trampoline_kernelINS0_14default_configENS1_35radix_sort_onesweep_config_selectorIiNS0_10empty_typeEEEZZNS1_29radix_sort_onesweep_iterationIS3_Lb0EN6thrust23THRUST_200600_302600_NS6detail15normal_iteratorINS9_10device_ptrIiEEEESE_PS5_SF_jNS0_19identity_decomposerENS1_16block_id_wrapperIjLb1EEEEE10hipError_tT1_PNSt15iterator_traitsISK_E10value_typeET2_T3_PNSL_ISQ_E10value_typeET4_T5_PSV_SW_PNS1_23onesweep_lookback_stateEbbT6_jjT7_P12ihipStream_tbENKUlT_T0_SK_SP_E_clISE_SE_SF_SF_EEDaS13_S14_SK_SP_EUlS13_E_NS1_11comp_targetILNS1_3genE9ELNS1_11target_archE1100ELNS1_3gpuE3ELNS1_3repE0EEENS1_47radix_sort_onesweep_sort_config_static_selectorELNS0_4arch9wavefront6targetE1EEEvSK_ ; -- Begin function _ZN7rocprim17ROCPRIM_400000_NS6detail17trampoline_kernelINS0_14default_configENS1_35radix_sort_onesweep_config_selectorIiNS0_10empty_typeEEEZZNS1_29radix_sort_onesweep_iterationIS3_Lb0EN6thrust23THRUST_200600_302600_NS6detail15normal_iteratorINS9_10device_ptrIiEEEESE_PS5_SF_jNS0_19identity_decomposerENS1_16block_id_wrapperIjLb1EEEEE10hipError_tT1_PNSt15iterator_traitsISK_E10value_typeET2_T3_PNSL_ISQ_E10value_typeET4_T5_PSV_SW_PNS1_23onesweep_lookback_stateEbbT6_jjT7_P12ihipStream_tbENKUlT_T0_SK_SP_E_clISE_SE_SF_SF_EEDaS13_S14_SK_SP_EUlS13_E_NS1_11comp_targetILNS1_3genE9ELNS1_11target_archE1100ELNS1_3gpuE3ELNS1_3repE0EEENS1_47radix_sort_onesweep_sort_config_static_selectorELNS0_4arch9wavefront6targetE1EEEvSK_
	.globl	_ZN7rocprim17ROCPRIM_400000_NS6detail17trampoline_kernelINS0_14default_configENS1_35radix_sort_onesweep_config_selectorIiNS0_10empty_typeEEEZZNS1_29radix_sort_onesweep_iterationIS3_Lb0EN6thrust23THRUST_200600_302600_NS6detail15normal_iteratorINS9_10device_ptrIiEEEESE_PS5_SF_jNS0_19identity_decomposerENS1_16block_id_wrapperIjLb1EEEEE10hipError_tT1_PNSt15iterator_traitsISK_E10value_typeET2_T3_PNSL_ISQ_E10value_typeET4_T5_PSV_SW_PNS1_23onesweep_lookback_stateEbbT6_jjT7_P12ihipStream_tbENKUlT_T0_SK_SP_E_clISE_SE_SF_SF_EEDaS13_S14_SK_SP_EUlS13_E_NS1_11comp_targetILNS1_3genE9ELNS1_11target_archE1100ELNS1_3gpuE3ELNS1_3repE0EEENS1_47radix_sort_onesweep_sort_config_static_selectorELNS0_4arch9wavefront6targetE1EEEvSK_
	.p2align	8
	.type	_ZN7rocprim17ROCPRIM_400000_NS6detail17trampoline_kernelINS0_14default_configENS1_35radix_sort_onesweep_config_selectorIiNS0_10empty_typeEEEZZNS1_29radix_sort_onesweep_iterationIS3_Lb0EN6thrust23THRUST_200600_302600_NS6detail15normal_iteratorINS9_10device_ptrIiEEEESE_PS5_SF_jNS0_19identity_decomposerENS1_16block_id_wrapperIjLb1EEEEE10hipError_tT1_PNSt15iterator_traitsISK_E10value_typeET2_T3_PNSL_ISQ_E10value_typeET4_T5_PSV_SW_PNS1_23onesweep_lookback_stateEbbT6_jjT7_P12ihipStream_tbENKUlT_T0_SK_SP_E_clISE_SE_SF_SF_EEDaS13_S14_SK_SP_EUlS13_E_NS1_11comp_targetILNS1_3genE9ELNS1_11target_archE1100ELNS1_3gpuE3ELNS1_3repE0EEENS1_47radix_sort_onesweep_sort_config_static_selectorELNS0_4arch9wavefront6targetE1EEEvSK_,@function
_ZN7rocprim17ROCPRIM_400000_NS6detail17trampoline_kernelINS0_14default_configENS1_35radix_sort_onesweep_config_selectorIiNS0_10empty_typeEEEZZNS1_29radix_sort_onesweep_iterationIS3_Lb0EN6thrust23THRUST_200600_302600_NS6detail15normal_iteratorINS9_10device_ptrIiEEEESE_PS5_SF_jNS0_19identity_decomposerENS1_16block_id_wrapperIjLb1EEEEE10hipError_tT1_PNSt15iterator_traitsISK_E10value_typeET2_T3_PNSL_ISQ_E10value_typeET4_T5_PSV_SW_PNS1_23onesweep_lookback_stateEbbT6_jjT7_P12ihipStream_tbENKUlT_T0_SK_SP_E_clISE_SE_SF_SF_EEDaS13_S14_SK_SP_EUlS13_E_NS1_11comp_targetILNS1_3genE9ELNS1_11target_archE1100ELNS1_3gpuE3ELNS1_3repE0EEENS1_47radix_sort_onesweep_sort_config_static_selectorELNS0_4arch9wavefront6targetE1EEEvSK_: ; @_ZN7rocprim17ROCPRIM_400000_NS6detail17trampoline_kernelINS0_14default_configENS1_35radix_sort_onesweep_config_selectorIiNS0_10empty_typeEEEZZNS1_29radix_sort_onesweep_iterationIS3_Lb0EN6thrust23THRUST_200600_302600_NS6detail15normal_iteratorINS9_10device_ptrIiEEEESE_PS5_SF_jNS0_19identity_decomposerENS1_16block_id_wrapperIjLb1EEEEE10hipError_tT1_PNSt15iterator_traitsISK_E10value_typeET2_T3_PNSL_ISQ_E10value_typeET4_T5_PSV_SW_PNS1_23onesweep_lookback_stateEbbT6_jjT7_P12ihipStream_tbENKUlT_T0_SK_SP_E_clISE_SE_SF_SF_EEDaS13_S14_SK_SP_EUlS13_E_NS1_11comp_targetILNS1_3genE9ELNS1_11target_archE1100ELNS1_3gpuE3ELNS1_3repE0EEENS1_47radix_sort_onesweep_sort_config_static_selectorELNS0_4arch9wavefront6targetE1EEEvSK_
; %bb.0:
	.section	.rodata,"a",@progbits
	.p2align	6, 0x0
	.amdhsa_kernel _ZN7rocprim17ROCPRIM_400000_NS6detail17trampoline_kernelINS0_14default_configENS1_35radix_sort_onesweep_config_selectorIiNS0_10empty_typeEEEZZNS1_29radix_sort_onesweep_iterationIS3_Lb0EN6thrust23THRUST_200600_302600_NS6detail15normal_iteratorINS9_10device_ptrIiEEEESE_PS5_SF_jNS0_19identity_decomposerENS1_16block_id_wrapperIjLb1EEEEE10hipError_tT1_PNSt15iterator_traitsISK_E10value_typeET2_T3_PNSL_ISQ_E10value_typeET4_T5_PSV_SW_PNS1_23onesweep_lookback_stateEbbT6_jjT7_P12ihipStream_tbENKUlT_T0_SK_SP_E_clISE_SE_SF_SF_EEDaS13_S14_SK_SP_EUlS13_E_NS1_11comp_targetILNS1_3genE9ELNS1_11target_archE1100ELNS1_3gpuE3ELNS1_3repE0EEENS1_47radix_sort_onesweep_sort_config_static_selectorELNS0_4arch9wavefront6targetE1EEEvSK_
		.amdhsa_group_segment_fixed_size 0
		.amdhsa_private_segment_fixed_size 0
		.amdhsa_kernarg_size 88
		.amdhsa_user_sgpr_count 2
		.amdhsa_user_sgpr_dispatch_ptr 0
		.amdhsa_user_sgpr_queue_ptr 0
		.amdhsa_user_sgpr_kernarg_segment_ptr 1
		.amdhsa_user_sgpr_dispatch_id 0
		.amdhsa_user_sgpr_kernarg_preload_length 0
		.amdhsa_user_sgpr_kernarg_preload_offset 0
		.amdhsa_user_sgpr_private_segment_size 0
		.amdhsa_uses_dynamic_stack 0
		.amdhsa_enable_private_segment 0
		.amdhsa_system_sgpr_workgroup_id_x 1
		.amdhsa_system_sgpr_workgroup_id_y 0
		.amdhsa_system_sgpr_workgroup_id_z 0
		.amdhsa_system_sgpr_workgroup_info 0
		.amdhsa_system_vgpr_workitem_id 0
		.amdhsa_next_free_vgpr 1
		.amdhsa_next_free_sgpr 0
		.amdhsa_accum_offset 4
		.amdhsa_reserve_vcc 0
		.amdhsa_float_round_mode_32 0
		.amdhsa_float_round_mode_16_64 0
		.amdhsa_float_denorm_mode_32 3
		.amdhsa_float_denorm_mode_16_64 3
		.amdhsa_dx10_clamp 1
		.amdhsa_ieee_mode 1
		.amdhsa_fp16_overflow 0
		.amdhsa_tg_split 0
		.amdhsa_exception_fp_ieee_invalid_op 0
		.amdhsa_exception_fp_denorm_src 0
		.amdhsa_exception_fp_ieee_div_zero 0
		.amdhsa_exception_fp_ieee_overflow 0
		.amdhsa_exception_fp_ieee_underflow 0
		.amdhsa_exception_fp_ieee_inexact 0
		.amdhsa_exception_int_div_zero 0
	.end_amdhsa_kernel
	.section	.text._ZN7rocprim17ROCPRIM_400000_NS6detail17trampoline_kernelINS0_14default_configENS1_35radix_sort_onesweep_config_selectorIiNS0_10empty_typeEEEZZNS1_29radix_sort_onesweep_iterationIS3_Lb0EN6thrust23THRUST_200600_302600_NS6detail15normal_iteratorINS9_10device_ptrIiEEEESE_PS5_SF_jNS0_19identity_decomposerENS1_16block_id_wrapperIjLb1EEEEE10hipError_tT1_PNSt15iterator_traitsISK_E10value_typeET2_T3_PNSL_ISQ_E10value_typeET4_T5_PSV_SW_PNS1_23onesweep_lookback_stateEbbT6_jjT7_P12ihipStream_tbENKUlT_T0_SK_SP_E_clISE_SE_SF_SF_EEDaS13_S14_SK_SP_EUlS13_E_NS1_11comp_targetILNS1_3genE9ELNS1_11target_archE1100ELNS1_3gpuE3ELNS1_3repE0EEENS1_47radix_sort_onesweep_sort_config_static_selectorELNS0_4arch9wavefront6targetE1EEEvSK_,"axG",@progbits,_ZN7rocprim17ROCPRIM_400000_NS6detail17trampoline_kernelINS0_14default_configENS1_35radix_sort_onesweep_config_selectorIiNS0_10empty_typeEEEZZNS1_29radix_sort_onesweep_iterationIS3_Lb0EN6thrust23THRUST_200600_302600_NS6detail15normal_iteratorINS9_10device_ptrIiEEEESE_PS5_SF_jNS0_19identity_decomposerENS1_16block_id_wrapperIjLb1EEEEE10hipError_tT1_PNSt15iterator_traitsISK_E10value_typeET2_T3_PNSL_ISQ_E10value_typeET4_T5_PSV_SW_PNS1_23onesweep_lookback_stateEbbT6_jjT7_P12ihipStream_tbENKUlT_T0_SK_SP_E_clISE_SE_SF_SF_EEDaS13_S14_SK_SP_EUlS13_E_NS1_11comp_targetILNS1_3genE9ELNS1_11target_archE1100ELNS1_3gpuE3ELNS1_3repE0EEENS1_47radix_sort_onesweep_sort_config_static_selectorELNS0_4arch9wavefront6targetE1EEEvSK_,comdat
.Lfunc_end1753:
	.size	_ZN7rocprim17ROCPRIM_400000_NS6detail17trampoline_kernelINS0_14default_configENS1_35radix_sort_onesweep_config_selectorIiNS0_10empty_typeEEEZZNS1_29radix_sort_onesweep_iterationIS3_Lb0EN6thrust23THRUST_200600_302600_NS6detail15normal_iteratorINS9_10device_ptrIiEEEESE_PS5_SF_jNS0_19identity_decomposerENS1_16block_id_wrapperIjLb1EEEEE10hipError_tT1_PNSt15iterator_traitsISK_E10value_typeET2_T3_PNSL_ISQ_E10value_typeET4_T5_PSV_SW_PNS1_23onesweep_lookback_stateEbbT6_jjT7_P12ihipStream_tbENKUlT_T0_SK_SP_E_clISE_SE_SF_SF_EEDaS13_S14_SK_SP_EUlS13_E_NS1_11comp_targetILNS1_3genE9ELNS1_11target_archE1100ELNS1_3gpuE3ELNS1_3repE0EEENS1_47radix_sort_onesweep_sort_config_static_selectorELNS0_4arch9wavefront6targetE1EEEvSK_, .Lfunc_end1753-_ZN7rocprim17ROCPRIM_400000_NS6detail17trampoline_kernelINS0_14default_configENS1_35radix_sort_onesweep_config_selectorIiNS0_10empty_typeEEEZZNS1_29radix_sort_onesweep_iterationIS3_Lb0EN6thrust23THRUST_200600_302600_NS6detail15normal_iteratorINS9_10device_ptrIiEEEESE_PS5_SF_jNS0_19identity_decomposerENS1_16block_id_wrapperIjLb1EEEEE10hipError_tT1_PNSt15iterator_traitsISK_E10value_typeET2_T3_PNSL_ISQ_E10value_typeET4_T5_PSV_SW_PNS1_23onesweep_lookback_stateEbbT6_jjT7_P12ihipStream_tbENKUlT_T0_SK_SP_E_clISE_SE_SF_SF_EEDaS13_S14_SK_SP_EUlS13_E_NS1_11comp_targetILNS1_3genE9ELNS1_11target_archE1100ELNS1_3gpuE3ELNS1_3repE0EEENS1_47radix_sort_onesweep_sort_config_static_selectorELNS0_4arch9wavefront6targetE1EEEvSK_
                                        ; -- End function
	.section	.AMDGPU.csdata,"",@progbits
; Kernel info:
; codeLenInByte = 0
; NumSgprs: 6
; NumVgprs: 0
; NumAgprs: 0
; TotalNumVgprs: 0
; ScratchSize: 0
; MemoryBound: 0
; FloatMode: 240
; IeeeMode: 1
; LDSByteSize: 0 bytes/workgroup (compile time only)
; SGPRBlocks: 0
; VGPRBlocks: 0
; NumSGPRsForWavesPerEU: 6
; NumVGPRsForWavesPerEU: 1
; AccumOffset: 4
; Occupancy: 8
; WaveLimiterHint : 0
; COMPUTE_PGM_RSRC2:SCRATCH_EN: 0
; COMPUTE_PGM_RSRC2:USER_SGPR: 2
; COMPUTE_PGM_RSRC2:TRAP_HANDLER: 0
; COMPUTE_PGM_RSRC2:TGID_X_EN: 1
; COMPUTE_PGM_RSRC2:TGID_Y_EN: 0
; COMPUTE_PGM_RSRC2:TGID_Z_EN: 0
; COMPUTE_PGM_RSRC2:TIDIG_COMP_CNT: 0
; COMPUTE_PGM_RSRC3_GFX90A:ACCUM_OFFSET: 0
; COMPUTE_PGM_RSRC3_GFX90A:TG_SPLIT: 0
	.section	.text._ZN7rocprim17ROCPRIM_400000_NS6detail17trampoline_kernelINS0_14default_configENS1_35radix_sort_onesweep_config_selectorIiNS0_10empty_typeEEEZZNS1_29radix_sort_onesweep_iterationIS3_Lb0EN6thrust23THRUST_200600_302600_NS6detail15normal_iteratorINS9_10device_ptrIiEEEESE_PS5_SF_jNS0_19identity_decomposerENS1_16block_id_wrapperIjLb1EEEEE10hipError_tT1_PNSt15iterator_traitsISK_E10value_typeET2_T3_PNSL_ISQ_E10value_typeET4_T5_PSV_SW_PNS1_23onesweep_lookback_stateEbbT6_jjT7_P12ihipStream_tbENKUlT_T0_SK_SP_E_clISE_SE_SF_SF_EEDaS13_S14_SK_SP_EUlS13_E_NS1_11comp_targetILNS1_3genE8ELNS1_11target_archE1030ELNS1_3gpuE2ELNS1_3repE0EEENS1_47radix_sort_onesweep_sort_config_static_selectorELNS0_4arch9wavefront6targetE1EEEvSK_,"axG",@progbits,_ZN7rocprim17ROCPRIM_400000_NS6detail17trampoline_kernelINS0_14default_configENS1_35radix_sort_onesweep_config_selectorIiNS0_10empty_typeEEEZZNS1_29radix_sort_onesweep_iterationIS3_Lb0EN6thrust23THRUST_200600_302600_NS6detail15normal_iteratorINS9_10device_ptrIiEEEESE_PS5_SF_jNS0_19identity_decomposerENS1_16block_id_wrapperIjLb1EEEEE10hipError_tT1_PNSt15iterator_traitsISK_E10value_typeET2_T3_PNSL_ISQ_E10value_typeET4_T5_PSV_SW_PNS1_23onesweep_lookback_stateEbbT6_jjT7_P12ihipStream_tbENKUlT_T0_SK_SP_E_clISE_SE_SF_SF_EEDaS13_S14_SK_SP_EUlS13_E_NS1_11comp_targetILNS1_3genE8ELNS1_11target_archE1030ELNS1_3gpuE2ELNS1_3repE0EEENS1_47radix_sort_onesweep_sort_config_static_selectorELNS0_4arch9wavefront6targetE1EEEvSK_,comdat
	.protected	_ZN7rocprim17ROCPRIM_400000_NS6detail17trampoline_kernelINS0_14default_configENS1_35radix_sort_onesweep_config_selectorIiNS0_10empty_typeEEEZZNS1_29radix_sort_onesweep_iterationIS3_Lb0EN6thrust23THRUST_200600_302600_NS6detail15normal_iteratorINS9_10device_ptrIiEEEESE_PS5_SF_jNS0_19identity_decomposerENS1_16block_id_wrapperIjLb1EEEEE10hipError_tT1_PNSt15iterator_traitsISK_E10value_typeET2_T3_PNSL_ISQ_E10value_typeET4_T5_PSV_SW_PNS1_23onesweep_lookback_stateEbbT6_jjT7_P12ihipStream_tbENKUlT_T0_SK_SP_E_clISE_SE_SF_SF_EEDaS13_S14_SK_SP_EUlS13_E_NS1_11comp_targetILNS1_3genE8ELNS1_11target_archE1030ELNS1_3gpuE2ELNS1_3repE0EEENS1_47radix_sort_onesweep_sort_config_static_selectorELNS0_4arch9wavefront6targetE1EEEvSK_ ; -- Begin function _ZN7rocprim17ROCPRIM_400000_NS6detail17trampoline_kernelINS0_14default_configENS1_35radix_sort_onesweep_config_selectorIiNS0_10empty_typeEEEZZNS1_29radix_sort_onesweep_iterationIS3_Lb0EN6thrust23THRUST_200600_302600_NS6detail15normal_iteratorINS9_10device_ptrIiEEEESE_PS5_SF_jNS0_19identity_decomposerENS1_16block_id_wrapperIjLb1EEEEE10hipError_tT1_PNSt15iterator_traitsISK_E10value_typeET2_T3_PNSL_ISQ_E10value_typeET4_T5_PSV_SW_PNS1_23onesweep_lookback_stateEbbT6_jjT7_P12ihipStream_tbENKUlT_T0_SK_SP_E_clISE_SE_SF_SF_EEDaS13_S14_SK_SP_EUlS13_E_NS1_11comp_targetILNS1_3genE8ELNS1_11target_archE1030ELNS1_3gpuE2ELNS1_3repE0EEENS1_47radix_sort_onesweep_sort_config_static_selectorELNS0_4arch9wavefront6targetE1EEEvSK_
	.globl	_ZN7rocprim17ROCPRIM_400000_NS6detail17trampoline_kernelINS0_14default_configENS1_35radix_sort_onesweep_config_selectorIiNS0_10empty_typeEEEZZNS1_29radix_sort_onesweep_iterationIS3_Lb0EN6thrust23THRUST_200600_302600_NS6detail15normal_iteratorINS9_10device_ptrIiEEEESE_PS5_SF_jNS0_19identity_decomposerENS1_16block_id_wrapperIjLb1EEEEE10hipError_tT1_PNSt15iterator_traitsISK_E10value_typeET2_T3_PNSL_ISQ_E10value_typeET4_T5_PSV_SW_PNS1_23onesweep_lookback_stateEbbT6_jjT7_P12ihipStream_tbENKUlT_T0_SK_SP_E_clISE_SE_SF_SF_EEDaS13_S14_SK_SP_EUlS13_E_NS1_11comp_targetILNS1_3genE8ELNS1_11target_archE1030ELNS1_3gpuE2ELNS1_3repE0EEENS1_47radix_sort_onesweep_sort_config_static_selectorELNS0_4arch9wavefront6targetE1EEEvSK_
	.p2align	8
	.type	_ZN7rocprim17ROCPRIM_400000_NS6detail17trampoline_kernelINS0_14default_configENS1_35radix_sort_onesweep_config_selectorIiNS0_10empty_typeEEEZZNS1_29radix_sort_onesweep_iterationIS3_Lb0EN6thrust23THRUST_200600_302600_NS6detail15normal_iteratorINS9_10device_ptrIiEEEESE_PS5_SF_jNS0_19identity_decomposerENS1_16block_id_wrapperIjLb1EEEEE10hipError_tT1_PNSt15iterator_traitsISK_E10value_typeET2_T3_PNSL_ISQ_E10value_typeET4_T5_PSV_SW_PNS1_23onesweep_lookback_stateEbbT6_jjT7_P12ihipStream_tbENKUlT_T0_SK_SP_E_clISE_SE_SF_SF_EEDaS13_S14_SK_SP_EUlS13_E_NS1_11comp_targetILNS1_3genE8ELNS1_11target_archE1030ELNS1_3gpuE2ELNS1_3repE0EEENS1_47radix_sort_onesweep_sort_config_static_selectorELNS0_4arch9wavefront6targetE1EEEvSK_,@function
_ZN7rocprim17ROCPRIM_400000_NS6detail17trampoline_kernelINS0_14default_configENS1_35radix_sort_onesweep_config_selectorIiNS0_10empty_typeEEEZZNS1_29radix_sort_onesweep_iterationIS3_Lb0EN6thrust23THRUST_200600_302600_NS6detail15normal_iteratorINS9_10device_ptrIiEEEESE_PS5_SF_jNS0_19identity_decomposerENS1_16block_id_wrapperIjLb1EEEEE10hipError_tT1_PNSt15iterator_traitsISK_E10value_typeET2_T3_PNSL_ISQ_E10value_typeET4_T5_PSV_SW_PNS1_23onesweep_lookback_stateEbbT6_jjT7_P12ihipStream_tbENKUlT_T0_SK_SP_E_clISE_SE_SF_SF_EEDaS13_S14_SK_SP_EUlS13_E_NS1_11comp_targetILNS1_3genE8ELNS1_11target_archE1030ELNS1_3gpuE2ELNS1_3repE0EEENS1_47radix_sort_onesweep_sort_config_static_selectorELNS0_4arch9wavefront6targetE1EEEvSK_: ; @_ZN7rocprim17ROCPRIM_400000_NS6detail17trampoline_kernelINS0_14default_configENS1_35radix_sort_onesweep_config_selectorIiNS0_10empty_typeEEEZZNS1_29radix_sort_onesweep_iterationIS3_Lb0EN6thrust23THRUST_200600_302600_NS6detail15normal_iteratorINS9_10device_ptrIiEEEESE_PS5_SF_jNS0_19identity_decomposerENS1_16block_id_wrapperIjLb1EEEEE10hipError_tT1_PNSt15iterator_traitsISK_E10value_typeET2_T3_PNSL_ISQ_E10value_typeET4_T5_PSV_SW_PNS1_23onesweep_lookback_stateEbbT6_jjT7_P12ihipStream_tbENKUlT_T0_SK_SP_E_clISE_SE_SF_SF_EEDaS13_S14_SK_SP_EUlS13_E_NS1_11comp_targetILNS1_3genE8ELNS1_11target_archE1030ELNS1_3gpuE2ELNS1_3repE0EEENS1_47radix_sort_onesweep_sort_config_static_selectorELNS0_4arch9wavefront6targetE1EEEvSK_
; %bb.0:
	.section	.rodata,"a",@progbits
	.p2align	6, 0x0
	.amdhsa_kernel _ZN7rocprim17ROCPRIM_400000_NS6detail17trampoline_kernelINS0_14default_configENS1_35radix_sort_onesweep_config_selectorIiNS0_10empty_typeEEEZZNS1_29radix_sort_onesweep_iterationIS3_Lb0EN6thrust23THRUST_200600_302600_NS6detail15normal_iteratorINS9_10device_ptrIiEEEESE_PS5_SF_jNS0_19identity_decomposerENS1_16block_id_wrapperIjLb1EEEEE10hipError_tT1_PNSt15iterator_traitsISK_E10value_typeET2_T3_PNSL_ISQ_E10value_typeET4_T5_PSV_SW_PNS1_23onesweep_lookback_stateEbbT6_jjT7_P12ihipStream_tbENKUlT_T0_SK_SP_E_clISE_SE_SF_SF_EEDaS13_S14_SK_SP_EUlS13_E_NS1_11comp_targetILNS1_3genE8ELNS1_11target_archE1030ELNS1_3gpuE2ELNS1_3repE0EEENS1_47radix_sort_onesweep_sort_config_static_selectorELNS0_4arch9wavefront6targetE1EEEvSK_
		.amdhsa_group_segment_fixed_size 0
		.amdhsa_private_segment_fixed_size 0
		.amdhsa_kernarg_size 88
		.amdhsa_user_sgpr_count 2
		.amdhsa_user_sgpr_dispatch_ptr 0
		.amdhsa_user_sgpr_queue_ptr 0
		.amdhsa_user_sgpr_kernarg_segment_ptr 1
		.amdhsa_user_sgpr_dispatch_id 0
		.amdhsa_user_sgpr_kernarg_preload_length 0
		.amdhsa_user_sgpr_kernarg_preload_offset 0
		.amdhsa_user_sgpr_private_segment_size 0
		.amdhsa_uses_dynamic_stack 0
		.amdhsa_enable_private_segment 0
		.amdhsa_system_sgpr_workgroup_id_x 1
		.amdhsa_system_sgpr_workgroup_id_y 0
		.amdhsa_system_sgpr_workgroup_id_z 0
		.amdhsa_system_sgpr_workgroup_info 0
		.amdhsa_system_vgpr_workitem_id 0
		.amdhsa_next_free_vgpr 1
		.amdhsa_next_free_sgpr 0
		.amdhsa_accum_offset 4
		.amdhsa_reserve_vcc 0
		.amdhsa_float_round_mode_32 0
		.amdhsa_float_round_mode_16_64 0
		.amdhsa_float_denorm_mode_32 3
		.amdhsa_float_denorm_mode_16_64 3
		.amdhsa_dx10_clamp 1
		.amdhsa_ieee_mode 1
		.amdhsa_fp16_overflow 0
		.amdhsa_tg_split 0
		.amdhsa_exception_fp_ieee_invalid_op 0
		.amdhsa_exception_fp_denorm_src 0
		.amdhsa_exception_fp_ieee_div_zero 0
		.amdhsa_exception_fp_ieee_overflow 0
		.amdhsa_exception_fp_ieee_underflow 0
		.amdhsa_exception_fp_ieee_inexact 0
		.amdhsa_exception_int_div_zero 0
	.end_amdhsa_kernel
	.section	.text._ZN7rocprim17ROCPRIM_400000_NS6detail17trampoline_kernelINS0_14default_configENS1_35radix_sort_onesweep_config_selectorIiNS0_10empty_typeEEEZZNS1_29radix_sort_onesweep_iterationIS3_Lb0EN6thrust23THRUST_200600_302600_NS6detail15normal_iteratorINS9_10device_ptrIiEEEESE_PS5_SF_jNS0_19identity_decomposerENS1_16block_id_wrapperIjLb1EEEEE10hipError_tT1_PNSt15iterator_traitsISK_E10value_typeET2_T3_PNSL_ISQ_E10value_typeET4_T5_PSV_SW_PNS1_23onesweep_lookback_stateEbbT6_jjT7_P12ihipStream_tbENKUlT_T0_SK_SP_E_clISE_SE_SF_SF_EEDaS13_S14_SK_SP_EUlS13_E_NS1_11comp_targetILNS1_3genE8ELNS1_11target_archE1030ELNS1_3gpuE2ELNS1_3repE0EEENS1_47radix_sort_onesweep_sort_config_static_selectorELNS0_4arch9wavefront6targetE1EEEvSK_,"axG",@progbits,_ZN7rocprim17ROCPRIM_400000_NS6detail17trampoline_kernelINS0_14default_configENS1_35radix_sort_onesweep_config_selectorIiNS0_10empty_typeEEEZZNS1_29radix_sort_onesweep_iterationIS3_Lb0EN6thrust23THRUST_200600_302600_NS6detail15normal_iteratorINS9_10device_ptrIiEEEESE_PS5_SF_jNS0_19identity_decomposerENS1_16block_id_wrapperIjLb1EEEEE10hipError_tT1_PNSt15iterator_traitsISK_E10value_typeET2_T3_PNSL_ISQ_E10value_typeET4_T5_PSV_SW_PNS1_23onesweep_lookback_stateEbbT6_jjT7_P12ihipStream_tbENKUlT_T0_SK_SP_E_clISE_SE_SF_SF_EEDaS13_S14_SK_SP_EUlS13_E_NS1_11comp_targetILNS1_3genE8ELNS1_11target_archE1030ELNS1_3gpuE2ELNS1_3repE0EEENS1_47radix_sort_onesweep_sort_config_static_selectorELNS0_4arch9wavefront6targetE1EEEvSK_,comdat
.Lfunc_end1754:
	.size	_ZN7rocprim17ROCPRIM_400000_NS6detail17trampoline_kernelINS0_14default_configENS1_35radix_sort_onesweep_config_selectorIiNS0_10empty_typeEEEZZNS1_29radix_sort_onesweep_iterationIS3_Lb0EN6thrust23THRUST_200600_302600_NS6detail15normal_iteratorINS9_10device_ptrIiEEEESE_PS5_SF_jNS0_19identity_decomposerENS1_16block_id_wrapperIjLb1EEEEE10hipError_tT1_PNSt15iterator_traitsISK_E10value_typeET2_T3_PNSL_ISQ_E10value_typeET4_T5_PSV_SW_PNS1_23onesweep_lookback_stateEbbT6_jjT7_P12ihipStream_tbENKUlT_T0_SK_SP_E_clISE_SE_SF_SF_EEDaS13_S14_SK_SP_EUlS13_E_NS1_11comp_targetILNS1_3genE8ELNS1_11target_archE1030ELNS1_3gpuE2ELNS1_3repE0EEENS1_47radix_sort_onesweep_sort_config_static_selectorELNS0_4arch9wavefront6targetE1EEEvSK_, .Lfunc_end1754-_ZN7rocprim17ROCPRIM_400000_NS6detail17trampoline_kernelINS0_14default_configENS1_35radix_sort_onesweep_config_selectorIiNS0_10empty_typeEEEZZNS1_29radix_sort_onesweep_iterationIS3_Lb0EN6thrust23THRUST_200600_302600_NS6detail15normal_iteratorINS9_10device_ptrIiEEEESE_PS5_SF_jNS0_19identity_decomposerENS1_16block_id_wrapperIjLb1EEEEE10hipError_tT1_PNSt15iterator_traitsISK_E10value_typeET2_T3_PNSL_ISQ_E10value_typeET4_T5_PSV_SW_PNS1_23onesweep_lookback_stateEbbT6_jjT7_P12ihipStream_tbENKUlT_T0_SK_SP_E_clISE_SE_SF_SF_EEDaS13_S14_SK_SP_EUlS13_E_NS1_11comp_targetILNS1_3genE8ELNS1_11target_archE1030ELNS1_3gpuE2ELNS1_3repE0EEENS1_47radix_sort_onesweep_sort_config_static_selectorELNS0_4arch9wavefront6targetE1EEEvSK_
                                        ; -- End function
	.section	.AMDGPU.csdata,"",@progbits
; Kernel info:
; codeLenInByte = 0
; NumSgprs: 6
; NumVgprs: 0
; NumAgprs: 0
; TotalNumVgprs: 0
; ScratchSize: 0
; MemoryBound: 0
; FloatMode: 240
; IeeeMode: 1
; LDSByteSize: 0 bytes/workgroup (compile time only)
; SGPRBlocks: 0
; VGPRBlocks: 0
; NumSGPRsForWavesPerEU: 6
; NumVGPRsForWavesPerEU: 1
; AccumOffset: 4
; Occupancy: 8
; WaveLimiterHint : 0
; COMPUTE_PGM_RSRC2:SCRATCH_EN: 0
; COMPUTE_PGM_RSRC2:USER_SGPR: 2
; COMPUTE_PGM_RSRC2:TRAP_HANDLER: 0
; COMPUTE_PGM_RSRC2:TGID_X_EN: 1
; COMPUTE_PGM_RSRC2:TGID_Y_EN: 0
; COMPUTE_PGM_RSRC2:TGID_Z_EN: 0
; COMPUTE_PGM_RSRC2:TIDIG_COMP_CNT: 0
; COMPUTE_PGM_RSRC3_GFX90A:ACCUM_OFFSET: 0
; COMPUTE_PGM_RSRC3_GFX90A:TG_SPLIT: 0
	.section	.text._ZN7rocprim17ROCPRIM_400000_NS6detail17trampoline_kernelINS0_14default_configENS1_35radix_sort_onesweep_config_selectorIiNS0_10empty_typeEEEZZNS1_29radix_sort_onesweep_iterationIS3_Lb0EN6thrust23THRUST_200600_302600_NS6detail15normal_iteratorINS9_10device_ptrIiEEEESE_PS5_SF_jNS0_19identity_decomposerENS1_16block_id_wrapperIjLb1EEEEE10hipError_tT1_PNSt15iterator_traitsISK_E10value_typeET2_T3_PNSL_ISQ_E10value_typeET4_T5_PSV_SW_PNS1_23onesweep_lookback_stateEbbT6_jjT7_P12ihipStream_tbENKUlT_T0_SK_SP_E_clISE_PiSF_SF_EEDaS13_S14_SK_SP_EUlS13_E_NS1_11comp_targetILNS1_3genE0ELNS1_11target_archE4294967295ELNS1_3gpuE0ELNS1_3repE0EEENS1_47radix_sort_onesweep_sort_config_static_selectorELNS0_4arch9wavefront6targetE1EEEvSK_,"axG",@progbits,_ZN7rocprim17ROCPRIM_400000_NS6detail17trampoline_kernelINS0_14default_configENS1_35radix_sort_onesweep_config_selectorIiNS0_10empty_typeEEEZZNS1_29radix_sort_onesweep_iterationIS3_Lb0EN6thrust23THRUST_200600_302600_NS6detail15normal_iteratorINS9_10device_ptrIiEEEESE_PS5_SF_jNS0_19identity_decomposerENS1_16block_id_wrapperIjLb1EEEEE10hipError_tT1_PNSt15iterator_traitsISK_E10value_typeET2_T3_PNSL_ISQ_E10value_typeET4_T5_PSV_SW_PNS1_23onesweep_lookback_stateEbbT6_jjT7_P12ihipStream_tbENKUlT_T0_SK_SP_E_clISE_PiSF_SF_EEDaS13_S14_SK_SP_EUlS13_E_NS1_11comp_targetILNS1_3genE0ELNS1_11target_archE4294967295ELNS1_3gpuE0ELNS1_3repE0EEENS1_47radix_sort_onesweep_sort_config_static_selectorELNS0_4arch9wavefront6targetE1EEEvSK_,comdat
	.protected	_ZN7rocprim17ROCPRIM_400000_NS6detail17trampoline_kernelINS0_14default_configENS1_35radix_sort_onesweep_config_selectorIiNS0_10empty_typeEEEZZNS1_29radix_sort_onesweep_iterationIS3_Lb0EN6thrust23THRUST_200600_302600_NS6detail15normal_iteratorINS9_10device_ptrIiEEEESE_PS5_SF_jNS0_19identity_decomposerENS1_16block_id_wrapperIjLb1EEEEE10hipError_tT1_PNSt15iterator_traitsISK_E10value_typeET2_T3_PNSL_ISQ_E10value_typeET4_T5_PSV_SW_PNS1_23onesweep_lookback_stateEbbT6_jjT7_P12ihipStream_tbENKUlT_T0_SK_SP_E_clISE_PiSF_SF_EEDaS13_S14_SK_SP_EUlS13_E_NS1_11comp_targetILNS1_3genE0ELNS1_11target_archE4294967295ELNS1_3gpuE0ELNS1_3repE0EEENS1_47radix_sort_onesweep_sort_config_static_selectorELNS0_4arch9wavefront6targetE1EEEvSK_ ; -- Begin function _ZN7rocprim17ROCPRIM_400000_NS6detail17trampoline_kernelINS0_14default_configENS1_35radix_sort_onesweep_config_selectorIiNS0_10empty_typeEEEZZNS1_29radix_sort_onesweep_iterationIS3_Lb0EN6thrust23THRUST_200600_302600_NS6detail15normal_iteratorINS9_10device_ptrIiEEEESE_PS5_SF_jNS0_19identity_decomposerENS1_16block_id_wrapperIjLb1EEEEE10hipError_tT1_PNSt15iterator_traitsISK_E10value_typeET2_T3_PNSL_ISQ_E10value_typeET4_T5_PSV_SW_PNS1_23onesweep_lookback_stateEbbT6_jjT7_P12ihipStream_tbENKUlT_T0_SK_SP_E_clISE_PiSF_SF_EEDaS13_S14_SK_SP_EUlS13_E_NS1_11comp_targetILNS1_3genE0ELNS1_11target_archE4294967295ELNS1_3gpuE0ELNS1_3repE0EEENS1_47radix_sort_onesweep_sort_config_static_selectorELNS0_4arch9wavefront6targetE1EEEvSK_
	.globl	_ZN7rocprim17ROCPRIM_400000_NS6detail17trampoline_kernelINS0_14default_configENS1_35radix_sort_onesweep_config_selectorIiNS0_10empty_typeEEEZZNS1_29radix_sort_onesweep_iterationIS3_Lb0EN6thrust23THRUST_200600_302600_NS6detail15normal_iteratorINS9_10device_ptrIiEEEESE_PS5_SF_jNS0_19identity_decomposerENS1_16block_id_wrapperIjLb1EEEEE10hipError_tT1_PNSt15iterator_traitsISK_E10value_typeET2_T3_PNSL_ISQ_E10value_typeET4_T5_PSV_SW_PNS1_23onesweep_lookback_stateEbbT6_jjT7_P12ihipStream_tbENKUlT_T0_SK_SP_E_clISE_PiSF_SF_EEDaS13_S14_SK_SP_EUlS13_E_NS1_11comp_targetILNS1_3genE0ELNS1_11target_archE4294967295ELNS1_3gpuE0ELNS1_3repE0EEENS1_47radix_sort_onesweep_sort_config_static_selectorELNS0_4arch9wavefront6targetE1EEEvSK_
	.p2align	8
	.type	_ZN7rocprim17ROCPRIM_400000_NS6detail17trampoline_kernelINS0_14default_configENS1_35radix_sort_onesweep_config_selectorIiNS0_10empty_typeEEEZZNS1_29radix_sort_onesweep_iterationIS3_Lb0EN6thrust23THRUST_200600_302600_NS6detail15normal_iteratorINS9_10device_ptrIiEEEESE_PS5_SF_jNS0_19identity_decomposerENS1_16block_id_wrapperIjLb1EEEEE10hipError_tT1_PNSt15iterator_traitsISK_E10value_typeET2_T3_PNSL_ISQ_E10value_typeET4_T5_PSV_SW_PNS1_23onesweep_lookback_stateEbbT6_jjT7_P12ihipStream_tbENKUlT_T0_SK_SP_E_clISE_PiSF_SF_EEDaS13_S14_SK_SP_EUlS13_E_NS1_11comp_targetILNS1_3genE0ELNS1_11target_archE4294967295ELNS1_3gpuE0ELNS1_3repE0EEENS1_47radix_sort_onesweep_sort_config_static_selectorELNS0_4arch9wavefront6targetE1EEEvSK_,@function
_ZN7rocprim17ROCPRIM_400000_NS6detail17trampoline_kernelINS0_14default_configENS1_35radix_sort_onesweep_config_selectorIiNS0_10empty_typeEEEZZNS1_29radix_sort_onesweep_iterationIS3_Lb0EN6thrust23THRUST_200600_302600_NS6detail15normal_iteratorINS9_10device_ptrIiEEEESE_PS5_SF_jNS0_19identity_decomposerENS1_16block_id_wrapperIjLb1EEEEE10hipError_tT1_PNSt15iterator_traitsISK_E10value_typeET2_T3_PNSL_ISQ_E10value_typeET4_T5_PSV_SW_PNS1_23onesweep_lookback_stateEbbT6_jjT7_P12ihipStream_tbENKUlT_T0_SK_SP_E_clISE_PiSF_SF_EEDaS13_S14_SK_SP_EUlS13_E_NS1_11comp_targetILNS1_3genE0ELNS1_11target_archE4294967295ELNS1_3gpuE0ELNS1_3repE0EEENS1_47radix_sort_onesweep_sort_config_static_selectorELNS0_4arch9wavefront6targetE1EEEvSK_: ; @_ZN7rocprim17ROCPRIM_400000_NS6detail17trampoline_kernelINS0_14default_configENS1_35radix_sort_onesweep_config_selectorIiNS0_10empty_typeEEEZZNS1_29radix_sort_onesweep_iterationIS3_Lb0EN6thrust23THRUST_200600_302600_NS6detail15normal_iteratorINS9_10device_ptrIiEEEESE_PS5_SF_jNS0_19identity_decomposerENS1_16block_id_wrapperIjLb1EEEEE10hipError_tT1_PNSt15iterator_traitsISK_E10value_typeET2_T3_PNSL_ISQ_E10value_typeET4_T5_PSV_SW_PNS1_23onesweep_lookback_stateEbbT6_jjT7_P12ihipStream_tbENKUlT_T0_SK_SP_E_clISE_PiSF_SF_EEDaS13_S14_SK_SP_EUlS13_E_NS1_11comp_targetILNS1_3genE0ELNS1_11target_archE4294967295ELNS1_3gpuE0ELNS1_3repE0EEENS1_47radix_sort_onesweep_sort_config_static_selectorELNS0_4arch9wavefront6targetE1EEEvSK_
; %bb.0:
	.section	.rodata,"a",@progbits
	.p2align	6, 0x0
	.amdhsa_kernel _ZN7rocprim17ROCPRIM_400000_NS6detail17trampoline_kernelINS0_14default_configENS1_35radix_sort_onesweep_config_selectorIiNS0_10empty_typeEEEZZNS1_29radix_sort_onesweep_iterationIS3_Lb0EN6thrust23THRUST_200600_302600_NS6detail15normal_iteratorINS9_10device_ptrIiEEEESE_PS5_SF_jNS0_19identity_decomposerENS1_16block_id_wrapperIjLb1EEEEE10hipError_tT1_PNSt15iterator_traitsISK_E10value_typeET2_T3_PNSL_ISQ_E10value_typeET4_T5_PSV_SW_PNS1_23onesweep_lookback_stateEbbT6_jjT7_P12ihipStream_tbENKUlT_T0_SK_SP_E_clISE_PiSF_SF_EEDaS13_S14_SK_SP_EUlS13_E_NS1_11comp_targetILNS1_3genE0ELNS1_11target_archE4294967295ELNS1_3gpuE0ELNS1_3repE0EEENS1_47radix_sort_onesweep_sort_config_static_selectorELNS0_4arch9wavefront6targetE1EEEvSK_
		.amdhsa_group_segment_fixed_size 0
		.amdhsa_private_segment_fixed_size 0
		.amdhsa_kernarg_size 88
		.amdhsa_user_sgpr_count 2
		.amdhsa_user_sgpr_dispatch_ptr 0
		.amdhsa_user_sgpr_queue_ptr 0
		.amdhsa_user_sgpr_kernarg_segment_ptr 1
		.amdhsa_user_sgpr_dispatch_id 0
		.amdhsa_user_sgpr_kernarg_preload_length 0
		.amdhsa_user_sgpr_kernarg_preload_offset 0
		.amdhsa_user_sgpr_private_segment_size 0
		.amdhsa_uses_dynamic_stack 0
		.amdhsa_enable_private_segment 0
		.amdhsa_system_sgpr_workgroup_id_x 1
		.amdhsa_system_sgpr_workgroup_id_y 0
		.amdhsa_system_sgpr_workgroup_id_z 0
		.amdhsa_system_sgpr_workgroup_info 0
		.amdhsa_system_vgpr_workitem_id 0
		.amdhsa_next_free_vgpr 1
		.amdhsa_next_free_sgpr 0
		.amdhsa_accum_offset 4
		.amdhsa_reserve_vcc 0
		.amdhsa_float_round_mode_32 0
		.amdhsa_float_round_mode_16_64 0
		.amdhsa_float_denorm_mode_32 3
		.amdhsa_float_denorm_mode_16_64 3
		.amdhsa_dx10_clamp 1
		.amdhsa_ieee_mode 1
		.amdhsa_fp16_overflow 0
		.amdhsa_tg_split 0
		.amdhsa_exception_fp_ieee_invalid_op 0
		.amdhsa_exception_fp_denorm_src 0
		.amdhsa_exception_fp_ieee_div_zero 0
		.amdhsa_exception_fp_ieee_overflow 0
		.amdhsa_exception_fp_ieee_underflow 0
		.amdhsa_exception_fp_ieee_inexact 0
		.amdhsa_exception_int_div_zero 0
	.end_amdhsa_kernel
	.section	.text._ZN7rocprim17ROCPRIM_400000_NS6detail17trampoline_kernelINS0_14default_configENS1_35radix_sort_onesweep_config_selectorIiNS0_10empty_typeEEEZZNS1_29radix_sort_onesweep_iterationIS3_Lb0EN6thrust23THRUST_200600_302600_NS6detail15normal_iteratorINS9_10device_ptrIiEEEESE_PS5_SF_jNS0_19identity_decomposerENS1_16block_id_wrapperIjLb1EEEEE10hipError_tT1_PNSt15iterator_traitsISK_E10value_typeET2_T3_PNSL_ISQ_E10value_typeET4_T5_PSV_SW_PNS1_23onesweep_lookback_stateEbbT6_jjT7_P12ihipStream_tbENKUlT_T0_SK_SP_E_clISE_PiSF_SF_EEDaS13_S14_SK_SP_EUlS13_E_NS1_11comp_targetILNS1_3genE0ELNS1_11target_archE4294967295ELNS1_3gpuE0ELNS1_3repE0EEENS1_47radix_sort_onesweep_sort_config_static_selectorELNS0_4arch9wavefront6targetE1EEEvSK_,"axG",@progbits,_ZN7rocprim17ROCPRIM_400000_NS6detail17trampoline_kernelINS0_14default_configENS1_35radix_sort_onesweep_config_selectorIiNS0_10empty_typeEEEZZNS1_29radix_sort_onesweep_iterationIS3_Lb0EN6thrust23THRUST_200600_302600_NS6detail15normal_iteratorINS9_10device_ptrIiEEEESE_PS5_SF_jNS0_19identity_decomposerENS1_16block_id_wrapperIjLb1EEEEE10hipError_tT1_PNSt15iterator_traitsISK_E10value_typeET2_T3_PNSL_ISQ_E10value_typeET4_T5_PSV_SW_PNS1_23onesweep_lookback_stateEbbT6_jjT7_P12ihipStream_tbENKUlT_T0_SK_SP_E_clISE_PiSF_SF_EEDaS13_S14_SK_SP_EUlS13_E_NS1_11comp_targetILNS1_3genE0ELNS1_11target_archE4294967295ELNS1_3gpuE0ELNS1_3repE0EEENS1_47radix_sort_onesweep_sort_config_static_selectorELNS0_4arch9wavefront6targetE1EEEvSK_,comdat
.Lfunc_end1755:
	.size	_ZN7rocprim17ROCPRIM_400000_NS6detail17trampoline_kernelINS0_14default_configENS1_35radix_sort_onesweep_config_selectorIiNS0_10empty_typeEEEZZNS1_29radix_sort_onesweep_iterationIS3_Lb0EN6thrust23THRUST_200600_302600_NS6detail15normal_iteratorINS9_10device_ptrIiEEEESE_PS5_SF_jNS0_19identity_decomposerENS1_16block_id_wrapperIjLb1EEEEE10hipError_tT1_PNSt15iterator_traitsISK_E10value_typeET2_T3_PNSL_ISQ_E10value_typeET4_T5_PSV_SW_PNS1_23onesweep_lookback_stateEbbT6_jjT7_P12ihipStream_tbENKUlT_T0_SK_SP_E_clISE_PiSF_SF_EEDaS13_S14_SK_SP_EUlS13_E_NS1_11comp_targetILNS1_3genE0ELNS1_11target_archE4294967295ELNS1_3gpuE0ELNS1_3repE0EEENS1_47radix_sort_onesweep_sort_config_static_selectorELNS0_4arch9wavefront6targetE1EEEvSK_, .Lfunc_end1755-_ZN7rocprim17ROCPRIM_400000_NS6detail17trampoline_kernelINS0_14default_configENS1_35radix_sort_onesweep_config_selectorIiNS0_10empty_typeEEEZZNS1_29radix_sort_onesweep_iterationIS3_Lb0EN6thrust23THRUST_200600_302600_NS6detail15normal_iteratorINS9_10device_ptrIiEEEESE_PS5_SF_jNS0_19identity_decomposerENS1_16block_id_wrapperIjLb1EEEEE10hipError_tT1_PNSt15iterator_traitsISK_E10value_typeET2_T3_PNSL_ISQ_E10value_typeET4_T5_PSV_SW_PNS1_23onesweep_lookback_stateEbbT6_jjT7_P12ihipStream_tbENKUlT_T0_SK_SP_E_clISE_PiSF_SF_EEDaS13_S14_SK_SP_EUlS13_E_NS1_11comp_targetILNS1_3genE0ELNS1_11target_archE4294967295ELNS1_3gpuE0ELNS1_3repE0EEENS1_47radix_sort_onesweep_sort_config_static_selectorELNS0_4arch9wavefront6targetE1EEEvSK_
                                        ; -- End function
	.section	.AMDGPU.csdata,"",@progbits
; Kernel info:
; codeLenInByte = 0
; NumSgprs: 6
; NumVgprs: 0
; NumAgprs: 0
; TotalNumVgprs: 0
; ScratchSize: 0
; MemoryBound: 0
; FloatMode: 240
; IeeeMode: 1
; LDSByteSize: 0 bytes/workgroup (compile time only)
; SGPRBlocks: 0
; VGPRBlocks: 0
; NumSGPRsForWavesPerEU: 6
; NumVGPRsForWavesPerEU: 1
; AccumOffset: 4
; Occupancy: 8
; WaveLimiterHint : 0
; COMPUTE_PGM_RSRC2:SCRATCH_EN: 0
; COMPUTE_PGM_RSRC2:USER_SGPR: 2
; COMPUTE_PGM_RSRC2:TRAP_HANDLER: 0
; COMPUTE_PGM_RSRC2:TGID_X_EN: 1
; COMPUTE_PGM_RSRC2:TGID_Y_EN: 0
; COMPUTE_PGM_RSRC2:TGID_Z_EN: 0
; COMPUTE_PGM_RSRC2:TIDIG_COMP_CNT: 0
; COMPUTE_PGM_RSRC3_GFX90A:ACCUM_OFFSET: 0
; COMPUTE_PGM_RSRC3_GFX90A:TG_SPLIT: 0
	.section	.text._ZN7rocprim17ROCPRIM_400000_NS6detail17trampoline_kernelINS0_14default_configENS1_35radix_sort_onesweep_config_selectorIiNS0_10empty_typeEEEZZNS1_29radix_sort_onesweep_iterationIS3_Lb0EN6thrust23THRUST_200600_302600_NS6detail15normal_iteratorINS9_10device_ptrIiEEEESE_PS5_SF_jNS0_19identity_decomposerENS1_16block_id_wrapperIjLb1EEEEE10hipError_tT1_PNSt15iterator_traitsISK_E10value_typeET2_T3_PNSL_ISQ_E10value_typeET4_T5_PSV_SW_PNS1_23onesweep_lookback_stateEbbT6_jjT7_P12ihipStream_tbENKUlT_T0_SK_SP_E_clISE_PiSF_SF_EEDaS13_S14_SK_SP_EUlS13_E_NS1_11comp_targetILNS1_3genE6ELNS1_11target_archE950ELNS1_3gpuE13ELNS1_3repE0EEENS1_47radix_sort_onesweep_sort_config_static_selectorELNS0_4arch9wavefront6targetE1EEEvSK_,"axG",@progbits,_ZN7rocprim17ROCPRIM_400000_NS6detail17trampoline_kernelINS0_14default_configENS1_35radix_sort_onesweep_config_selectorIiNS0_10empty_typeEEEZZNS1_29radix_sort_onesweep_iterationIS3_Lb0EN6thrust23THRUST_200600_302600_NS6detail15normal_iteratorINS9_10device_ptrIiEEEESE_PS5_SF_jNS0_19identity_decomposerENS1_16block_id_wrapperIjLb1EEEEE10hipError_tT1_PNSt15iterator_traitsISK_E10value_typeET2_T3_PNSL_ISQ_E10value_typeET4_T5_PSV_SW_PNS1_23onesweep_lookback_stateEbbT6_jjT7_P12ihipStream_tbENKUlT_T0_SK_SP_E_clISE_PiSF_SF_EEDaS13_S14_SK_SP_EUlS13_E_NS1_11comp_targetILNS1_3genE6ELNS1_11target_archE950ELNS1_3gpuE13ELNS1_3repE0EEENS1_47radix_sort_onesweep_sort_config_static_selectorELNS0_4arch9wavefront6targetE1EEEvSK_,comdat
	.protected	_ZN7rocprim17ROCPRIM_400000_NS6detail17trampoline_kernelINS0_14default_configENS1_35radix_sort_onesweep_config_selectorIiNS0_10empty_typeEEEZZNS1_29radix_sort_onesweep_iterationIS3_Lb0EN6thrust23THRUST_200600_302600_NS6detail15normal_iteratorINS9_10device_ptrIiEEEESE_PS5_SF_jNS0_19identity_decomposerENS1_16block_id_wrapperIjLb1EEEEE10hipError_tT1_PNSt15iterator_traitsISK_E10value_typeET2_T3_PNSL_ISQ_E10value_typeET4_T5_PSV_SW_PNS1_23onesweep_lookback_stateEbbT6_jjT7_P12ihipStream_tbENKUlT_T0_SK_SP_E_clISE_PiSF_SF_EEDaS13_S14_SK_SP_EUlS13_E_NS1_11comp_targetILNS1_3genE6ELNS1_11target_archE950ELNS1_3gpuE13ELNS1_3repE0EEENS1_47radix_sort_onesweep_sort_config_static_selectorELNS0_4arch9wavefront6targetE1EEEvSK_ ; -- Begin function _ZN7rocprim17ROCPRIM_400000_NS6detail17trampoline_kernelINS0_14default_configENS1_35radix_sort_onesweep_config_selectorIiNS0_10empty_typeEEEZZNS1_29radix_sort_onesweep_iterationIS3_Lb0EN6thrust23THRUST_200600_302600_NS6detail15normal_iteratorINS9_10device_ptrIiEEEESE_PS5_SF_jNS0_19identity_decomposerENS1_16block_id_wrapperIjLb1EEEEE10hipError_tT1_PNSt15iterator_traitsISK_E10value_typeET2_T3_PNSL_ISQ_E10value_typeET4_T5_PSV_SW_PNS1_23onesweep_lookback_stateEbbT6_jjT7_P12ihipStream_tbENKUlT_T0_SK_SP_E_clISE_PiSF_SF_EEDaS13_S14_SK_SP_EUlS13_E_NS1_11comp_targetILNS1_3genE6ELNS1_11target_archE950ELNS1_3gpuE13ELNS1_3repE0EEENS1_47radix_sort_onesweep_sort_config_static_selectorELNS0_4arch9wavefront6targetE1EEEvSK_
	.globl	_ZN7rocprim17ROCPRIM_400000_NS6detail17trampoline_kernelINS0_14default_configENS1_35radix_sort_onesweep_config_selectorIiNS0_10empty_typeEEEZZNS1_29radix_sort_onesweep_iterationIS3_Lb0EN6thrust23THRUST_200600_302600_NS6detail15normal_iteratorINS9_10device_ptrIiEEEESE_PS5_SF_jNS0_19identity_decomposerENS1_16block_id_wrapperIjLb1EEEEE10hipError_tT1_PNSt15iterator_traitsISK_E10value_typeET2_T3_PNSL_ISQ_E10value_typeET4_T5_PSV_SW_PNS1_23onesweep_lookback_stateEbbT6_jjT7_P12ihipStream_tbENKUlT_T0_SK_SP_E_clISE_PiSF_SF_EEDaS13_S14_SK_SP_EUlS13_E_NS1_11comp_targetILNS1_3genE6ELNS1_11target_archE950ELNS1_3gpuE13ELNS1_3repE0EEENS1_47radix_sort_onesweep_sort_config_static_selectorELNS0_4arch9wavefront6targetE1EEEvSK_
	.p2align	8
	.type	_ZN7rocprim17ROCPRIM_400000_NS6detail17trampoline_kernelINS0_14default_configENS1_35radix_sort_onesweep_config_selectorIiNS0_10empty_typeEEEZZNS1_29radix_sort_onesweep_iterationIS3_Lb0EN6thrust23THRUST_200600_302600_NS6detail15normal_iteratorINS9_10device_ptrIiEEEESE_PS5_SF_jNS0_19identity_decomposerENS1_16block_id_wrapperIjLb1EEEEE10hipError_tT1_PNSt15iterator_traitsISK_E10value_typeET2_T3_PNSL_ISQ_E10value_typeET4_T5_PSV_SW_PNS1_23onesweep_lookback_stateEbbT6_jjT7_P12ihipStream_tbENKUlT_T0_SK_SP_E_clISE_PiSF_SF_EEDaS13_S14_SK_SP_EUlS13_E_NS1_11comp_targetILNS1_3genE6ELNS1_11target_archE950ELNS1_3gpuE13ELNS1_3repE0EEENS1_47radix_sort_onesweep_sort_config_static_selectorELNS0_4arch9wavefront6targetE1EEEvSK_,@function
_ZN7rocprim17ROCPRIM_400000_NS6detail17trampoline_kernelINS0_14default_configENS1_35radix_sort_onesweep_config_selectorIiNS0_10empty_typeEEEZZNS1_29radix_sort_onesweep_iterationIS3_Lb0EN6thrust23THRUST_200600_302600_NS6detail15normal_iteratorINS9_10device_ptrIiEEEESE_PS5_SF_jNS0_19identity_decomposerENS1_16block_id_wrapperIjLb1EEEEE10hipError_tT1_PNSt15iterator_traitsISK_E10value_typeET2_T3_PNSL_ISQ_E10value_typeET4_T5_PSV_SW_PNS1_23onesweep_lookback_stateEbbT6_jjT7_P12ihipStream_tbENKUlT_T0_SK_SP_E_clISE_PiSF_SF_EEDaS13_S14_SK_SP_EUlS13_E_NS1_11comp_targetILNS1_3genE6ELNS1_11target_archE950ELNS1_3gpuE13ELNS1_3repE0EEENS1_47radix_sort_onesweep_sort_config_static_selectorELNS0_4arch9wavefront6targetE1EEEvSK_: ; @_ZN7rocprim17ROCPRIM_400000_NS6detail17trampoline_kernelINS0_14default_configENS1_35radix_sort_onesweep_config_selectorIiNS0_10empty_typeEEEZZNS1_29radix_sort_onesweep_iterationIS3_Lb0EN6thrust23THRUST_200600_302600_NS6detail15normal_iteratorINS9_10device_ptrIiEEEESE_PS5_SF_jNS0_19identity_decomposerENS1_16block_id_wrapperIjLb1EEEEE10hipError_tT1_PNSt15iterator_traitsISK_E10value_typeET2_T3_PNSL_ISQ_E10value_typeET4_T5_PSV_SW_PNS1_23onesweep_lookback_stateEbbT6_jjT7_P12ihipStream_tbENKUlT_T0_SK_SP_E_clISE_PiSF_SF_EEDaS13_S14_SK_SP_EUlS13_E_NS1_11comp_targetILNS1_3genE6ELNS1_11target_archE950ELNS1_3gpuE13ELNS1_3repE0EEENS1_47radix_sort_onesweep_sort_config_static_selectorELNS0_4arch9wavefront6targetE1EEEvSK_
; %bb.0:
	.section	.rodata,"a",@progbits
	.p2align	6, 0x0
	.amdhsa_kernel _ZN7rocprim17ROCPRIM_400000_NS6detail17trampoline_kernelINS0_14default_configENS1_35radix_sort_onesweep_config_selectorIiNS0_10empty_typeEEEZZNS1_29radix_sort_onesweep_iterationIS3_Lb0EN6thrust23THRUST_200600_302600_NS6detail15normal_iteratorINS9_10device_ptrIiEEEESE_PS5_SF_jNS0_19identity_decomposerENS1_16block_id_wrapperIjLb1EEEEE10hipError_tT1_PNSt15iterator_traitsISK_E10value_typeET2_T3_PNSL_ISQ_E10value_typeET4_T5_PSV_SW_PNS1_23onesweep_lookback_stateEbbT6_jjT7_P12ihipStream_tbENKUlT_T0_SK_SP_E_clISE_PiSF_SF_EEDaS13_S14_SK_SP_EUlS13_E_NS1_11comp_targetILNS1_3genE6ELNS1_11target_archE950ELNS1_3gpuE13ELNS1_3repE0EEENS1_47radix_sort_onesweep_sort_config_static_selectorELNS0_4arch9wavefront6targetE1EEEvSK_
		.amdhsa_group_segment_fixed_size 0
		.amdhsa_private_segment_fixed_size 0
		.amdhsa_kernarg_size 88
		.amdhsa_user_sgpr_count 2
		.amdhsa_user_sgpr_dispatch_ptr 0
		.amdhsa_user_sgpr_queue_ptr 0
		.amdhsa_user_sgpr_kernarg_segment_ptr 1
		.amdhsa_user_sgpr_dispatch_id 0
		.amdhsa_user_sgpr_kernarg_preload_length 0
		.amdhsa_user_sgpr_kernarg_preload_offset 0
		.amdhsa_user_sgpr_private_segment_size 0
		.amdhsa_uses_dynamic_stack 0
		.amdhsa_enable_private_segment 0
		.amdhsa_system_sgpr_workgroup_id_x 1
		.amdhsa_system_sgpr_workgroup_id_y 0
		.amdhsa_system_sgpr_workgroup_id_z 0
		.amdhsa_system_sgpr_workgroup_info 0
		.amdhsa_system_vgpr_workitem_id 0
		.amdhsa_next_free_vgpr 1
		.amdhsa_next_free_sgpr 0
		.amdhsa_accum_offset 4
		.amdhsa_reserve_vcc 0
		.amdhsa_float_round_mode_32 0
		.amdhsa_float_round_mode_16_64 0
		.amdhsa_float_denorm_mode_32 3
		.amdhsa_float_denorm_mode_16_64 3
		.amdhsa_dx10_clamp 1
		.amdhsa_ieee_mode 1
		.amdhsa_fp16_overflow 0
		.amdhsa_tg_split 0
		.amdhsa_exception_fp_ieee_invalid_op 0
		.amdhsa_exception_fp_denorm_src 0
		.amdhsa_exception_fp_ieee_div_zero 0
		.amdhsa_exception_fp_ieee_overflow 0
		.amdhsa_exception_fp_ieee_underflow 0
		.amdhsa_exception_fp_ieee_inexact 0
		.amdhsa_exception_int_div_zero 0
	.end_amdhsa_kernel
	.section	.text._ZN7rocprim17ROCPRIM_400000_NS6detail17trampoline_kernelINS0_14default_configENS1_35radix_sort_onesweep_config_selectorIiNS0_10empty_typeEEEZZNS1_29radix_sort_onesweep_iterationIS3_Lb0EN6thrust23THRUST_200600_302600_NS6detail15normal_iteratorINS9_10device_ptrIiEEEESE_PS5_SF_jNS0_19identity_decomposerENS1_16block_id_wrapperIjLb1EEEEE10hipError_tT1_PNSt15iterator_traitsISK_E10value_typeET2_T3_PNSL_ISQ_E10value_typeET4_T5_PSV_SW_PNS1_23onesweep_lookback_stateEbbT6_jjT7_P12ihipStream_tbENKUlT_T0_SK_SP_E_clISE_PiSF_SF_EEDaS13_S14_SK_SP_EUlS13_E_NS1_11comp_targetILNS1_3genE6ELNS1_11target_archE950ELNS1_3gpuE13ELNS1_3repE0EEENS1_47radix_sort_onesweep_sort_config_static_selectorELNS0_4arch9wavefront6targetE1EEEvSK_,"axG",@progbits,_ZN7rocprim17ROCPRIM_400000_NS6detail17trampoline_kernelINS0_14default_configENS1_35radix_sort_onesweep_config_selectorIiNS0_10empty_typeEEEZZNS1_29radix_sort_onesweep_iterationIS3_Lb0EN6thrust23THRUST_200600_302600_NS6detail15normal_iteratorINS9_10device_ptrIiEEEESE_PS5_SF_jNS0_19identity_decomposerENS1_16block_id_wrapperIjLb1EEEEE10hipError_tT1_PNSt15iterator_traitsISK_E10value_typeET2_T3_PNSL_ISQ_E10value_typeET4_T5_PSV_SW_PNS1_23onesweep_lookback_stateEbbT6_jjT7_P12ihipStream_tbENKUlT_T0_SK_SP_E_clISE_PiSF_SF_EEDaS13_S14_SK_SP_EUlS13_E_NS1_11comp_targetILNS1_3genE6ELNS1_11target_archE950ELNS1_3gpuE13ELNS1_3repE0EEENS1_47radix_sort_onesweep_sort_config_static_selectorELNS0_4arch9wavefront6targetE1EEEvSK_,comdat
.Lfunc_end1756:
	.size	_ZN7rocprim17ROCPRIM_400000_NS6detail17trampoline_kernelINS0_14default_configENS1_35radix_sort_onesweep_config_selectorIiNS0_10empty_typeEEEZZNS1_29radix_sort_onesweep_iterationIS3_Lb0EN6thrust23THRUST_200600_302600_NS6detail15normal_iteratorINS9_10device_ptrIiEEEESE_PS5_SF_jNS0_19identity_decomposerENS1_16block_id_wrapperIjLb1EEEEE10hipError_tT1_PNSt15iterator_traitsISK_E10value_typeET2_T3_PNSL_ISQ_E10value_typeET4_T5_PSV_SW_PNS1_23onesweep_lookback_stateEbbT6_jjT7_P12ihipStream_tbENKUlT_T0_SK_SP_E_clISE_PiSF_SF_EEDaS13_S14_SK_SP_EUlS13_E_NS1_11comp_targetILNS1_3genE6ELNS1_11target_archE950ELNS1_3gpuE13ELNS1_3repE0EEENS1_47radix_sort_onesweep_sort_config_static_selectorELNS0_4arch9wavefront6targetE1EEEvSK_, .Lfunc_end1756-_ZN7rocprim17ROCPRIM_400000_NS6detail17trampoline_kernelINS0_14default_configENS1_35radix_sort_onesweep_config_selectorIiNS0_10empty_typeEEEZZNS1_29radix_sort_onesweep_iterationIS3_Lb0EN6thrust23THRUST_200600_302600_NS6detail15normal_iteratorINS9_10device_ptrIiEEEESE_PS5_SF_jNS0_19identity_decomposerENS1_16block_id_wrapperIjLb1EEEEE10hipError_tT1_PNSt15iterator_traitsISK_E10value_typeET2_T3_PNSL_ISQ_E10value_typeET4_T5_PSV_SW_PNS1_23onesweep_lookback_stateEbbT6_jjT7_P12ihipStream_tbENKUlT_T0_SK_SP_E_clISE_PiSF_SF_EEDaS13_S14_SK_SP_EUlS13_E_NS1_11comp_targetILNS1_3genE6ELNS1_11target_archE950ELNS1_3gpuE13ELNS1_3repE0EEENS1_47radix_sort_onesweep_sort_config_static_selectorELNS0_4arch9wavefront6targetE1EEEvSK_
                                        ; -- End function
	.section	.AMDGPU.csdata,"",@progbits
; Kernel info:
; codeLenInByte = 0
; NumSgprs: 6
; NumVgprs: 0
; NumAgprs: 0
; TotalNumVgprs: 0
; ScratchSize: 0
; MemoryBound: 0
; FloatMode: 240
; IeeeMode: 1
; LDSByteSize: 0 bytes/workgroup (compile time only)
; SGPRBlocks: 0
; VGPRBlocks: 0
; NumSGPRsForWavesPerEU: 6
; NumVGPRsForWavesPerEU: 1
; AccumOffset: 4
; Occupancy: 8
; WaveLimiterHint : 0
; COMPUTE_PGM_RSRC2:SCRATCH_EN: 0
; COMPUTE_PGM_RSRC2:USER_SGPR: 2
; COMPUTE_PGM_RSRC2:TRAP_HANDLER: 0
; COMPUTE_PGM_RSRC2:TGID_X_EN: 1
; COMPUTE_PGM_RSRC2:TGID_Y_EN: 0
; COMPUTE_PGM_RSRC2:TGID_Z_EN: 0
; COMPUTE_PGM_RSRC2:TIDIG_COMP_CNT: 0
; COMPUTE_PGM_RSRC3_GFX90A:ACCUM_OFFSET: 0
; COMPUTE_PGM_RSRC3_GFX90A:TG_SPLIT: 0
	.section	.text._ZN7rocprim17ROCPRIM_400000_NS6detail17trampoline_kernelINS0_14default_configENS1_35radix_sort_onesweep_config_selectorIiNS0_10empty_typeEEEZZNS1_29radix_sort_onesweep_iterationIS3_Lb0EN6thrust23THRUST_200600_302600_NS6detail15normal_iteratorINS9_10device_ptrIiEEEESE_PS5_SF_jNS0_19identity_decomposerENS1_16block_id_wrapperIjLb1EEEEE10hipError_tT1_PNSt15iterator_traitsISK_E10value_typeET2_T3_PNSL_ISQ_E10value_typeET4_T5_PSV_SW_PNS1_23onesweep_lookback_stateEbbT6_jjT7_P12ihipStream_tbENKUlT_T0_SK_SP_E_clISE_PiSF_SF_EEDaS13_S14_SK_SP_EUlS13_E_NS1_11comp_targetILNS1_3genE5ELNS1_11target_archE942ELNS1_3gpuE9ELNS1_3repE0EEENS1_47radix_sort_onesweep_sort_config_static_selectorELNS0_4arch9wavefront6targetE1EEEvSK_,"axG",@progbits,_ZN7rocprim17ROCPRIM_400000_NS6detail17trampoline_kernelINS0_14default_configENS1_35radix_sort_onesweep_config_selectorIiNS0_10empty_typeEEEZZNS1_29radix_sort_onesweep_iterationIS3_Lb0EN6thrust23THRUST_200600_302600_NS6detail15normal_iteratorINS9_10device_ptrIiEEEESE_PS5_SF_jNS0_19identity_decomposerENS1_16block_id_wrapperIjLb1EEEEE10hipError_tT1_PNSt15iterator_traitsISK_E10value_typeET2_T3_PNSL_ISQ_E10value_typeET4_T5_PSV_SW_PNS1_23onesweep_lookback_stateEbbT6_jjT7_P12ihipStream_tbENKUlT_T0_SK_SP_E_clISE_PiSF_SF_EEDaS13_S14_SK_SP_EUlS13_E_NS1_11comp_targetILNS1_3genE5ELNS1_11target_archE942ELNS1_3gpuE9ELNS1_3repE0EEENS1_47radix_sort_onesweep_sort_config_static_selectorELNS0_4arch9wavefront6targetE1EEEvSK_,comdat
	.protected	_ZN7rocprim17ROCPRIM_400000_NS6detail17trampoline_kernelINS0_14default_configENS1_35radix_sort_onesweep_config_selectorIiNS0_10empty_typeEEEZZNS1_29radix_sort_onesweep_iterationIS3_Lb0EN6thrust23THRUST_200600_302600_NS6detail15normal_iteratorINS9_10device_ptrIiEEEESE_PS5_SF_jNS0_19identity_decomposerENS1_16block_id_wrapperIjLb1EEEEE10hipError_tT1_PNSt15iterator_traitsISK_E10value_typeET2_T3_PNSL_ISQ_E10value_typeET4_T5_PSV_SW_PNS1_23onesweep_lookback_stateEbbT6_jjT7_P12ihipStream_tbENKUlT_T0_SK_SP_E_clISE_PiSF_SF_EEDaS13_S14_SK_SP_EUlS13_E_NS1_11comp_targetILNS1_3genE5ELNS1_11target_archE942ELNS1_3gpuE9ELNS1_3repE0EEENS1_47radix_sort_onesweep_sort_config_static_selectorELNS0_4arch9wavefront6targetE1EEEvSK_ ; -- Begin function _ZN7rocprim17ROCPRIM_400000_NS6detail17trampoline_kernelINS0_14default_configENS1_35radix_sort_onesweep_config_selectorIiNS0_10empty_typeEEEZZNS1_29radix_sort_onesweep_iterationIS3_Lb0EN6thrust23THRUST_200600_302600_NS6detail15normal_iteratorINS9_10device_ptrIiEEEESE_PS5_SF_jNS0_19identity_decomposerENS1_16block_id_wrapperIjLb1EEEEE10hipError_tT1_PNSt15iterator_traitsISK_E10value_typeET2_T3_PNSL_ISQ_E10value_typeET4_T5_PSV_SW_PNS1_23onesweep_lookback_stateEbbT6_jjT7_P12ihipStream_tbENKUlT_T0_SK_SP_E_clISE_PiSF_SF_EEDaS13_S14_SK_SP_EUlS13_E_NS1_11comp_targetILNS1_3genE5ELNS1_11target_archE942ELNS1_3gpuE9ELNS1_3repE0EEENS1_47radix_sort_onesweep_sort_config_static_selectorELNS0_4arch9wavefront6targetE1EEEvSK_
	.globl	_ZN7rocprim17ROCPRIM_400000_NS6detail17trampoline_kernelINS0_14default_configENS1_35radix_sort_onesweep_config_selectorIiNS0_10empty_typeEEEZZNS1_29radix_sort_onesweep_iterationIS3_Lb0EN6thrust23THRUST_200600_302600_NS6detail15normal_iteratorINS9_10device_ptrIiEEEESE_PS5_SF_jNS0_19identity_decomposerENS1_16block_id_wrapperIjLb1EEEEE10hipError_tT1_PNSt15iterator_traitsISK_E10value_typeET2_T3_PNSL_ISQ_E10value_typeET4_T5_PSV_SW_PNS1_23onesweep_lookback_stateEbbT6_jjT7_P12ihipStream_tbENKUlT_T0_SK_SP_E_clISE_PiSF_SF_EEDaS13_S14_SK_SP_EUlS13_E_NS1_11comp_targetILNS1_3genE5ELNS1_11target_archE942ELNS1_3gpuE9ELNS1_3repE0EEENS1_47radix_sort_onesweep_sort_config_static_selectorELNS0_4arch9wavefront6targetE1EEEvSK_
	.p2align	8
	.type	_ZN7rocprim17ROCPRIM_400000_NS6detail17trampoline_kernelINS0_14default_configENS1_35radix_sort_onesweep_config_selectorIiNS0_10empty_typeEEEZZNS1_29radix_sort_onesweep_iterationIS3_Lb0EN6thrust23THRUST_200600_302600_NS6detail15normal_iteratorINS9_10device_ptrIiEEEESE_PS5_SF_jNS0_19identity_decomposerENS1_16block_id_wrapperIjLb1EEEEE10hipError_tT1_PNSt15iterator_traitsISK_E10value_typeET2_T3_PNSL_ISQ_E10value_typeET4_T5_PSV_SW_PNS1_23onesweep_lookback_stateEbbT6_jjT7_P12ihipStream_tbENKUlT_T0_SK_SP_E_clISE_PiSF_SF_EEDaS13_S14_SK_SP_EUlS13_E_NS1_11comp_targetILNS1_3genE5ELNS1_11target_archE942ELNS1_3gpuE9ELNS1_3repE0EEENS1_47radix_sort_onesweep_sort_config_static_selectorELNS0_4arch9wavefront6targetE1EEEvSK_,@function
_ZN7rocprim17ROCPRIM_400000_NS6detail17trampoline_kernelINS0_14default_configENS1_35radix_sort_onesweep_config_selectorIiNS0_10empty_typeEEEZZNS1_29radix_sort_onesweep_iterationIS3_Lb0EN6thrust23THRUST_200600_302600_NS6detail15normal_iteratorINS9_10device_ptrIiEEEESE_PS5_SF_jNS0_19identity_decomposerENS1_16block_id_wrapperIjLb1EEEEE10hipError_tT1_PNSt15iterator_traitsISK_E10value_typeET2_T3_PNSL_ISQ_E10value_typeET4_T5_PSV_SW_PNS1_23onesweep_lookback_stateEbbT6_jjT7_P12ihipStream_tbENKUlT_T0_SK_SP_E_clISE_PiSF_SF_EEDaS13_S14_SK_SP_EUlS13_E_NS1_11comp_targetILNS1_3genE5ELNS1_11target_archE942ELNS1_3gpuE9ELNS1_3repE0EEENS1_47radix_sort_onesweep_sort_config_static_selectorELNS0_4arch9wavefront6targetE1EEEvSK_: ; @_ZN7rocprim17ROCPRIM_400000_NS6detail17trampoline_kernelINS0_14default_configENS1_35radix_sort_onesweep_config_selectorIiNS0_10empty_typeEEEZZNS1_29radix_sort_onesweep_iterationIS3_Lb0EN6thrust23THRUST_200600_302600_NS6detail15normal_iteratorINS9_10device_ptrIiEEEESE_PS5_SF_jNS0_19identity_decomposerENS1_16block_id_wrapperIjLb1EEEEE10hipError_tT1_PNSt15iterator_traitsISK_E10value_typeET2_T3_PNSL_ISQ_E10value_typeET4_T5_PSV_SW_PNS1_23onesweep_lookback_stateEbbT6_jjT7_P12ihipStream_tbENKUlT_T0_SK_SP_E_clISE_PiSF_SF_EEDaS13_S14_SK_SP_EUlS13_E_NS1_11comp_targetILNS1_3genE5ELNS1_11target_archE942ELNS1_3gpuE9ELNS1_3repE0EEENS1_47radix_sort_onesweep_sort_config_static_selectorELNS0_4arch9wavefront6targetE1EEEvSK_
; %bb.0:
	s_load_dwordx4 s[20:23], s[0:1], 0x28
	s_load_dwordx2 s[18:19], s[0:1], 0x38
	s_load_dwordx4 s[24:27], s[0:1], 0x44
	v_and_b32_e32 v10, 0x3ff, v0
	v_cmp_eq_u32_e64 s[10:11], 0, v10
	s_and_saveexec_b64 s[4:5], s[10:11]
	s_cbranch_execz .LBB1757_4
; %bb.1:
	s_mov_b64 s[8:9], exec
	v_mbcnt_lo_u32_b32 v1, s8, 0
	v_mbcnt_hi_u32_b32 v1, s9, v1
	v_cmp_eq_u32_e32 vcc, 0, v1
                                        ; implicit-def: $vgpr2
	s_and_saveexec_b64 s[6:7], vcc
	s_cbranch_execz .LBB1757_3
; %bb.2:
	s_load_dwordx2 s[12:13], s[0:1], 0x50
	s_bcnt1_i32_b64 s3, s[8:9]
	v_mov_b32_e32 v2, 0
	v_mov_b32_e32 v3, s3
	s_waitcnt lgkmcnt(0)
	global_atomic_add v2, v2, v3, s[12:13] sc0
.LBB1757_3:
	s_or_b64 exec, exec, s[6:7]
	s_waitcnt vmcnt(0)
	v_readfirstlane_b32 s3, v2
	v_mov_b32_e32 v2, 0
	s_nop 0
	v_add_u32_e32 v1, s3, v1
	ds_write_b32 v2, v1 offset:20544
.LBB1757_4:
	s_or_b64 exec, exec, s[4:5]
	v_mov_b32_e32 v3, 0
	s_load_dwordx4 s[28:31], s[0:1], 0x0
	s_load_dword s3, s[0:1], 0x20
	s_waitcnt lgkmcnt(0)
	s_barrier
	ds_read_b32 v1, v3 offset:20544
	s_waitcnt lgkmcnt(0)
	s_barrier
	v_cmp_le_u32_e32 vcc, s26, v1
	v_readfirstlane_b32 s27, v1
	v_mbcnt_lo_u32_b32 v1, -1, 0
	s_cbranch_vccz .LBB1757_83
; %bb.5:
	s_lshl_b32 s4, s26, 13
	s_sub_i32 s3, s3, s4
	s_lshl_b32 s4, s27, 13
	s_mov_b32 s5, 0
	s_lshl_b64 s[4:5], s[4:5], 2
	v_mbcnt_hi_u32_b32 v16, -1, v1
	s_add_u32 s4, s28, s4
	v_and_b32_e32 v6, 63, v16
	v_lshlrev_b32_e32 v2, 3, v10
	s_addc_u32 s5, s29, s5
	v_and_b32_e32 v7, 0x1e00, v2
	v_lshlrev_b32_e32 v2, 2, v6
	s_brev_b32 s36, -2
	v_lshl_add_u64 v[4:5], s[4:5], 0, v[2:3]
	v_lshlrev_b32_e32 v2, 2, v7
	s_mov_b32 s37, s36
	v_lshl_add_u64 v[12:13], v[4:5], 0, v[2:3]
	v_or_b32_e32 v11, v6, v7
	s_mov_b32 s38, s36
	s_mov_b32 s39, s36
	;; [unrolled: 1-line block ×6, first 2 shown]
	v_mov_b64_e32 v[2:3], s[36:37]
	v_cmp_gt_u32_e32 vcc, s3, v11
	v_mov_b64_e32 v[4:5], s[38:39]
	v_mov_b64_e32 v[6:7], s[40:41]
	;; [unrolled: 1-line block ×3, first 2 shown]
	s_and_saveexec_b64 s[4:5], vcc
	s_cbranch_execz .LBB1757_7
; %bb.6:
	global_load_dword v2, v[12:13], off
	v_bfrev_b32_e32 v3, -2
	v_mov_b32_e32 v4, v3
	v_mov_b32_e32 v5, v3
	;; [unrolled: 1-line block ×6, first 2 shown]
.LBB1757_7:
	s_or_b64 exec, exec, s[4:5]
	v_or_b32_e32 v14, 64, v11
	v_cmp_gt_u32_e32 vcc, s3, v14
	s_and_saveexec_b64 s[4:5], vcc
	s_cbranch_execz .LBB1757_9
; %bb.8:
	global_load_dword v3, v[12:13], off offset:256
.LBB1757_9:
	s_or_b64 exec, exec, s[4:5]
	v_or_b32_e32 v14, 0x80, v11
	v_cmp_gt_u32_e32 vcc, s3, v14
	s_and_saveexec_b64 s[4:5], vcc
	s_cbranch_execz .LBB1757_11
; %bb.10:
	global_load_dword v4, v[12:13], off offset:512
.LBB1757_11:
	;; [unrolled: 8-line block ×7, first 2 shown]
	s_or_b64 exec, exec, s[4:5]
	s_load_dword s4, s[0:1], 0x64
	s_load_dword s26, s[0:1], 0x58
	s_add_u32 s5, s0, 0x58
	s_addc_u32 s6, s1, 0
	v_mov_b32_e32 v13, 0
	s_waitcnt lgkmcnt(0)
	s_lshr_b32 s7, s4, 16
	s_cmp_lt_u32 s2, s26
	s_cselect_b32 s4, 12, 18
	s_add_u32 s4, s5, s4
	s_addc_u32 s5, s6, 0
	global_load_ushort v17, v13, s[4:5]
	s_waitcnt vmcnt(1)
	v_xor_b32_e32 v11, 0x80000000, v2
	s_lshl_b32 s4, -1, s25
	v_lshrrev_b32_e32 v15, s24, v11
	s_not_b32 s33, s4
	v_bfe_u32 v2, v0, 10, 10
	v_bfe_u32 v12, v0, 20, 10
	v_and_b32_e32 v19, s33, v15
	v_mul_u32_u24_e32 v14, 5, v10
	v_mad_u32_u24 v2, v12, s7, v2
	v_and_b32_e32 v12, 1, v19
	v_lshlrev_b32_e32 v15, 30, v19
	v_lshlrev_b32_e32 v18, 2, v14
	v_mov_b32_e32 v14, v13
	v_mov_b32_e32 v22, v13
	v_lshlrev_b32_e32 v21, 29, v19
	v_lshlrev_b32_e32 v23, 28, v19
	v_lshl_add_u64 v[30:31], v[12:13], 0, -1
	v_cmp_ne_u32_e32 vcc, 0, v12
	v_not_b32_e32 v12, v15
	v_mov_b32_e32 v20, v13
	v_mov_b32_e32 v24, v13
	v_lshlrev_b32_e32 v25, 27, v19
	v_cmp_gt_i64_e64 s[4:5], 0, v[14:15]
	v_not_b32_e32 v14, v21
	v_cmp_gt_i64_e64 s[8:9], 0, v[22:23]
	v_not_b32_e32 v15, v23
	v_xor_b32_e32 v23, vcc_hi, v31
	v_ashrrev_i32_e32 v12, 31, v12
	v_mov_b32_e32 v26, v13
	v_lshlrev_b32_e32 v27, 26, v19
	v_cmp_gt_i64_e64 s[6:7], 0, v[20:21]
	v_cmp_gt_i64_e64 s[12:13], 0, v[24:25]
	v_not_b32_e32 v20, v25
	v_xor_b32_e32 v24, vcc_lo, v30
	v_ashrrev_i32_e32 v14, 31, v14
	v_and_b32_e32 v23, exec_hi, v23
	v_xor_b32_e32 v25, s5, v12
	v_cmp_gt_i64_e64 s[14:15], 0, v[26:27]
	v_ashrrev_i32_e32 v15, 31, v15
	v_and_b32_e32 v24, exec_lo, v24
	v_xor_b32_e32 v12, s4, v12
	v_xor_b32_e32 v26, s7, v14
	v_and_b32_e32 v23, v23, v25
	v_mov_b32_e32 v28, v13
	v_lshlrev_b32_e32 v29, 25, v19
	v_not_b32_e32 v21, v27
	v_ashrrev_i32_e32 v20, 31, v20
	v_xor_b32_e32 v14, s6, v14
	v_xor_b32_e32 v27, s9, v15
	v_and_b32_e32 v12, v24, v12
	v_and_b32_e32 v23, v23, v26
	v_cmp_gt_i64_e64 s[16:17], 0, v[28:29]
	v_not_b32_e32 v22, v29
	v_ashrrev_i32_e32 v21, 31, v21
	v_xor_b32_e32 v28, s13, v20
	v_and_b32_e32 v12, v12, v14
	v_and_b32_e32 v14, v23, v27
	v_ashrrev_i32_e32 v22, 31, v22
	v_xor_b32_e32 v15, s8, v15
	v_xor_b32_e32 v29, s15, v21
	v_and_b32_e32 v14, v14, v28
	v_xor_b32_e32 v20, s12, v20
	v_xor_b32_e32 v30, s17, v22
	v_and_b32_e32 v12, v12, v15
	v_and_b32_e32 v14, v14, v29
	;; [unrolled: 1-line block ×4, first 2 shown]
	v_xor_b32_e32 v21, s14, v21
	v_xor_b32_e32 v22, s16, v22
	v_and_b32_e32 v12, v12, v21
	v_and_b32_e32 v12, v12, v22
	v_lshl_add_u32 v32, v19, 4, v19
	ds_write2_b32 v18, v13, v13 offset0:16 offset1:17
	ds_write2_b32 v18, v13, v13 offset0:18 offset1:19
	ds_write_b32 v18, v13 offset:80
	s_waitcnt lgkmcnt(0)
	s_barrier
	s_waitcnt lgkmcnt(0)
	; wave barrier
	s_waitcnt vmcnt(0)
	v_mad_u64_u32 v[14:15], s[4:5], v2, v17, v[10:11]
	v_lshlrev_b32_e32 v15, 24, v19
	v_lshrrev_b32_e32 v30, 6, v14
	v_mov_b32_e32 v14, v13
	v_not_b32_e32 v2, v15
	v_cmp_gt_i64_e32 vcc, 0, v[14:15]
	v_ashrrev_i32_e32 v2, 31, v2
	v_add_lshl_u32 v22, v30, v32, 2
	v_xor_b32_e32 v14, vcc_hi, v2
	v_xor_b32_e32 v2, vcc_lo, v2
	v_and_b32_e32 v15, v20, v14
	v_and_b32_e32 v14, v12, v2
	v_mbcnt_lo_u32_b32 v2, v14, 0
	v_mbcnt_hi_u32_b32 v17, v15, v2
	v_cmp_eq_u32_e32 vcc, 0, v17
	v_cmp_ne_u64_e64 s[4:5], 0, v[14:15]
	s_and_b64 s[6:7], s[4:5], vcc
	s_and_saveexec_b64 s[4:5], s[6:7]
	s_cbranch_execz .LBB1757_23
; %bb.22:
	v_bcnt_u32_b32 v2, v14, 0
	v_bcnt_u32_b32 v2, v15, v2
	ds_write_b32 v22, v2 offset:64
.LBB1757_23:
	s_or_b64 exec, exec, s[4:5]
	v_xor_b32_e32 v14, 0x80000000, v3
	v_lshrrev_b32_e32 v2, s24, v14
	v_and_b32_e32 v15, s33, v2
	v_lshl_add_u32 v2, v15, 4, v15
	v_and_b32_e32 v12, 1, v15
	v_add_lshl_u32 v23, v30, v2, 2
	v_lshl_add_u64 v[2:3], v[12:13], 0, -1
	v_cmp_ne_u32_e32 vcc, 0, v12
	; wave barrier
	s_nop 1
	v_xor_b32_e32 v3, vcc_hi, v3
	v_xor_b32_e32 v2, vcc_lo, v2
	v_and_b32_e32 v12, exec_hi, v3
	v_and_b32_e32 v20, exec_lo, v2
	v_lshlrev_b32_e32 v3, 30, v15
	v_mov_b32_e32 v2, v13
	v_cmp_gt_i64_e32 vcc, 0, v[2:3]
	v_not_b32_e32 v2, v3
	v_ashrrev_i32_e32 v2, 31, v2
	v_xor_b32_e32 v3, vcc_hi, v2
	v_xor_b32_e32 v2, vcc_lo, v2
	v_and_b32_e32 v12, v12, v3
	v_and_b32_e32 v20, v20, v2
	v_lshlrev_b32_e32 v3, 29, v15
	v_mov_b32_e32 v2, v13
	v_cmp_gt_i64_e32 vcc, 0, v[2:3]
	v_not_b32_e32 v2, v3
	v_ashrrev_i32_e32 v2, 31, v2
	v_xor_b32_e32 v3, vcc_hi, v2
	v_xor_b32_e32 v2, vcc_lo, v2
	v_and_b32_e32 v12, v12, v3
	v_and_b32_e32 v20, v20, v2
	;; [unrolled: 9-line block ×6, first 2 shown]
	v_lshlrev_b32_e32 v3, 24, v15
	v_mov_b32_e32 v2, v13
	v_cmp_gt_i64_e32 vcc, 0, v[2:3]
	v_not_b32_e32 v2, v3
	v_ashrrev_i32_e32 v2, 31, v2
	v_xor_b32_e32 v3, vcc_hi, v2
	v_xor_b32_e32 v2, vcc_lo, v2
	ds_read_b32 v19, v23 offset:64
	v_and_b32_e32 v2, v20, v2
	v_and_b32_e32 v3, v12, v3
	v_mbcnt_lo_u32_b32 v12, v2, 0
	v_mbcnt_hi_u32_b32 v20, v3, v12
	v_cmp_eq_u32_e32 vcc, 0, v20
	v_cmp_ne_u64_e64 s[4:5], 0, v[2:3]
	s_and_b64 s[6:7], s[4:5], vcc
	; wave barrier
	s_and_saveexec_b64 s[4:5], s[6:7]
	s_cbranch_execz .LBB1757_25
; %bb.24:
	v_bcnt_u32_b32 v2, v2, 0
	v_bcnt_u32_b32 v2, v3, v2
	s_waitcnt lgkmcnt(0)
	v_add_u32_e32 v2, v19, v2
	ds_write_b32 v23, v2 offset:64
.LBB1757_25:
	s_or_b64 exec, exec, s[4:5]
	v_xor_b32_e32 v15, 0x80000000, v4
	v_lshrrev_b32_e32 v2, s24, v15
	v_and_b32_e32 v4, s33, v2
	v_lshl_add_u32 v2, v4, 4, v4
	v_add_lshl_u32 v27, v30, v2, 2
	v_and_b32_e32 v2, 1, v4
	v_mov_b32_e32 v3, 0
	v_lshl_add_u64 v[12:13], v[2:3], 0, -1
	v_cmp_ne_u32_e32 vcc, 0, v2
	; wave barrier
	s_nop 1
	v_xor_b32_e32 v12, vcc_lo, v12
	v_xor_b32_e32 v2, vcc_hi, v13
	v_and_b32_e32 v24, exec_lo, v12
	v_lshlrev_b32_e32 v13, 30, v4
	v_mov_b32_e32 v12, v3
	v_cmp_gt_i64_e32 vcc, 0, v[12:13]
	v_not_b32_e32 v12, v13
	v_ashrrev_i32_e32 v12, 31, v12
	v_and_b32_e32 v2, exec_hi, v2
	v_xor_b32_e32 v13, vcc_hi, v12
	v_xor_b32_e32 v12, vcc_lo, v12
	v_and_b32_e32 v2, v2, v13
	v_and_b32_e32 v24, v24, v12
	v_lshlrev_b32_e32 v13, 29, v4
	v_mov_b32_e32 v12, v3
	v_cmp_gt_i64_e32 vcc, 0, v[12:13]
	v_not_b32_e32 v12, v13
	v_ashrrev_i32_e32 v12, 31, v12
	v_xor_b32_e32 v13, vcc_hi, v12
	v_xor_b32_e32 v12, vcc_lo, v12
	v_and_b32_e32 v2, v2, v13
	v_and_b32_e32 v24, v24, v12
	v_lshlrev_b32_e32 v13, 28, v4
	v_mov_b32_e32 v12, v3
	v_cmp_gt_i64_e32 vcc, 0, v[12:13]
	v_not_b32_e32 v12, v13
	v_ashrrev_i32_e32 v12, 31, v12
	;; [unrolled: 9-line block ×5, first 2 shown]
	v_xor_b32_e32 v13, vcc_hi, v12
	v_xor_b32_e32 v12, vcc_lo, v12
	v_and_b32_e32 v2, v2, v13
	v_lshlrev_b32_e32 v13, 24, v4
	v_and_b32_e32 v24, v24, v12
	v_mov_b32_e32 v12, v3
	v_not_b32_e32 v4, v13
	v_cmp_gt_i64_e32 vcc, 0, v[12:13]
	v_ashrrev_i32_e32 v4, 31, v4
	ds_read_b32 v21, v27 offset:64
	v_xor_b32_e32 v12, vcc_hi, v4
	v_xor_b32_e32 v4, vcc_lo, v4
	v_and_b32_e32 v13, v2, v12
	v_and_b32_e32 v12, v24, v4
	v_mbcnt_lo_u32_b32 v2, v12, 0
	v_mbcnt_hi_u32_b32 v25, v13, v2
	v_cmp_eq_u32_e32 vcc, 0, v25
	v_cmp_ne_u64_e64 s[4:5], 0, v[12:13]
	s_and_b64 s[6:7], s[4:5], vcc
	; wave barrier
	s_and_saveexec_b64 s[4:5], s[6:7]
	s_cbranch_execz .LBB1757_27
; %bb.26:
	v_bcnt_u32_b32 v2, v12, 0
	v_bcnt_u32_b32 v2, v13, v2
	s_waitcnt lgkmcnt(0)
	v_add_u32_e32 v2, v21, v2
	ds_write_b32 v27, v2 offset:64
.LBB1757_27:
	s_or_b64 exec, exec, s[4:5]
	v_xor_b32_e32 v12, 0x80000000, v5
	v_lshrrev_b32_e32 v2, s24, v12
	v_and_b32_e32 v13, s33, v2
	v_lshl_add_u32 v2, v13, 4, v13
	v_add_lshl_u32 v31, v30, v2, 2
	v_and_b32_e32 v2, 1, v13
	v_lshl_add_u64 v[4:5], v[2:3], 0, -1
	v_cmp_ne_u32_e32 vcc, 0, v2
	; wave barrier
	s_nop 1
	v_xor_b32_e32 v4, vcc_lo, v4
	v_xor_b32_e32 v2, vcc_hi, v5
	v_and_b32_e32 v24, exec_lo, v4
	v_lshlrev_b32_e32 v5, 30, v13
	v_mov_b32_e32 v4, v3
	v_cmp_gt_i64_e32 vcc, 0, v[4:5]
	v_not_b32_e32 v4, v5
	v_ashrrev_i32_e32 v4, 31, v4
	v_and_b32_e32 v2, exec_hi, v2
	v_xor_b32_e32 v5, vcc_hi, v4
	v_xor_b32_e32 v4, vcc_lo, v4
	v_and_b32_e32 v2, v2, v5
	v_and_b32_e32 v24, v24, v4
	v_lshlrev_b32_e32 v5, 29, v13
	v_mov_b32_e32 v4, v3
	v_cmp_gt_i64_e32 vcc, 0, v[4:5]
	v_not_b32_e32 v4, v5
	v_ashrrev_i32_e32 v4, 31, v4
	v_xor_b32_e32 v5, vcc_hi, v4
	v_xor_b32_e32 v4, vcc_lo, v4
	v_and_b32_e32 v2, v2, v5
	v_and_b32_e32 v24, v24, v4
	v_lshlrev_b32_e32 v5, 28, v13
	v_mov_b32_e32 v4, v3
	v_cmp_gt_i64_e32 vcc, 0, v[4:5]
	v_not_b32_e32 v4, v5
	v_ashrrev_i32_e32 v4, 31, v4
	v_xor_b32_e32 v5, vcc_hi, v4
	v_xor_b32_e32 v4, vcc_lo, v4
	v_and_b32_e32 v2, v2, v5
	v_and_b32_e32 v24, v24, v4
	v_lshlrev_b32_e32 v5, 27, v13
	v_mov_b32_e32 v4, v3
	v_cmp_gt_i64_e32 vcc, 0, v[4:5]
	v_not_b32_e32 v4, v5
	v_ashrrev_i32_e32 v4, 31, v4
	v_xor_b32_e32 v5, vcc_hi, v4
	v_xor_b32_e32 v4, vcc_lo, v4
	v_and_b32_e32 v2, v2, v5
	v_and_b32_e32 v24, v24, v4
	v_lshlrev_b32_e32 v5, 26, v13
	v_mov_b32_e32 v4, v3
	v_cmp_gt_i64_e32 vcc, 0, v[4:5]
	v_not_b32_e32 v4, v5
	v_ashrrev_i32_e32 v4, 31, v4
	v_xor_b32_e32 v5, vcc_hi, v4
	v_xor_b32_e32 v4, vcc_lo, v4
	v_and_b32_e32 v2, v2, v5
	v_and_b32_e32 v24, v24, v4
	v_lshlrev_b32_e32 v5, 25, v13
	v_mov_b32_e32 v4, v3
	v_cmp_gt_i64_e32 vcc, 0, v[4:5]
	v_not_b32_e32 v4, v5
	v_ashrrev_i32_e32 v4, 31, v4
	v_xor_b32_e32 v5, vcc_hi, v4
	v_xor_b32_e32 v4, vcc_lo, v4
	v_and_b32_e32 v2, v2, v5
	v_lshlrev_b32_e32 v5, 24, v13
	v_and_b32_e32 v24, v24, v4
	v_mov_b32_e32 v4, v3
	v_not_b32_e32 v3, v5
	v_cmp_gt_i64_e32 vcc, 0, v[4:5]
	v_ashrrev_i32_e32 v3, 31, v3
	ds_read_b32 v26, v31 offset:64
	v_xor_b32_e32 v4, vcc_hi, v3
	v_xor_b32_e32 v5, vcc_lo, v3
	v_and_b32_e32 v3, v2, v4
	v_and_b32_e32 v2, v24, v5
	v_mbcnt_lo_u32_b32 v4, v2, 0
	v_mbcnt_hi_u32_b32 v28, v3, v4
	v_cmp_eq_u32_e32 vcc, 0, v28
	v_cmp_ne_u64_e64 s[4:5], 0, v[2:3]
	s_and_b64 s[6:7], s[4:5], vcc
	; wave barrier
	s_and_saveexec_b64 s[4:5], s[6:7]
	s_cbranch_execz .LBB1757_29
; %bb.28:
	v_bcnt_u32_b32 v2, v2, 0
	v_bcnt_u32_b32 v2, v3, v2
	s_waitcnt lgkmcnt(0)
	v_add_u32_e32 v2, v26, v2
	ds_write_b32 v31, v2 offset:64
.LBB1757_29:
	s_or_b64 exec, exec, s[4:5]
	v_xor_b32_e32 v13, 0x80000000, v6
	v_lshrrev_b32_e32 v2, s24, v13
	v_and_b32_e32 v24, s33, v2
	v_lshl_add_u32 v2, v24, 4, v24
	v_add_lshl_u32 v6, v30, v2, 2
	v_and_b32_e32 v2, 1, v24
	v_mov_b32_e32 v3, 0
	v_lshl_add_u64 v[4:5], v[2:3], 0, -1
	v_cmp_ne_u32_e32 vcc, 0, v2
	; wave barrier
	s_nop 1
	v_xor_b32_e32 v4, vcc_lo, v4
	v_xor_b32_e32 v2, vcc_hi, v5
	v_and_b32_e32 v32, exec_lo, v4
	v_lshlrev_b32_e32 v5, 30, v24
	v_mov_b32_e32 v4, v3
	v_cmp_gt_i64_e32 vcc, 0, v[4:5]
	v_not_b32_e32 v4, v5
	v_ashrrev_i32_e32 v4, 31, v4
	v_and_b32_e32 v2, exec_hi, v2
	v_xor_b32_e32 v5, vcc_hi, v4
	v_xor_b32_e32 v4, vcc_lo, v4
	v_and_b32_e32 v2, v2, v5
	v_and_b32_e32 v32, v32, v4
	v_lshlrev_b32_e32 v5, 29, v24
	v_mov_b32_e32 v4, v3
	v_cmp_gt_i64_e32 vcc, 0, v[4:5]
	v_not_b32_e32 v4, v5
	v_ashrrev_i32_e32 v4, 31, v4
	v_xor_b32_e32 v5, vcc_hi, v4
	v_xor_b32_e32 v4, vcc_lo, v4
	v_and_b32_e32 v2, v2, v5
	v_and_b32_e32 v32, v32, v4
	v_lshlrev_b32_e32 v5, 28, v24
	v_mov_b32_e32 v4, v3
	v_cmp_gt_i64_e32 vcc, 0, v[4:5]
	v_not_b32_e32 v4, v5
	v_ashrrev_i32_e32 v4, 31, v4
	;; [unrolled: 9-line block ×6, first 2 shown]
	v_xor_b32_e32 v5, vcc_hi, v4
	v_xor_b32_e32 v4, vcc_lo, v4
	ds_read_b32 v29, v6 offset:64
	v_and_b32_e32 v4, v32, v4
	v_and_b32_e32 v5, v2, v5
	v_mbcnt_lo_u32_b32 v2, v4, 0
	v_mbcnt_hi_u32_b32 v32, v5, v2
	v_cmp_eq_u32_e32 vcc, 0, v32
	v_cmp_ne_u64_e64 s[4:5], 0, v[4:5]
	s_and_b64 s[6:7], s[4:5], vcc
	; wave barrier
	s_and_saveexec_b64 s[4:5], s[6:7]
	s_cbranch_execz .LBB1757_31
; %bb.30:
	v_bcnt_u32_b32 v2, v4, 0
	v_bcnt_u32_b32 v2, v5, v2
	s_waitcnt lgkmcnt(0)
	v_add_u32_e32 v2, v29, v2
	ds_write_b32 v6, v2 offset:64
.LBB1757_31:
	s_or_b64 exec, exec, s[4:5]
	v_xor_b32_e32 v24, 0x80000000, v7
	v_lshrrev_b32_e32 v2, s24, v24
	v_and_b32_e32 v34, s33, v2
	v_lshl_add_u32 v2, v34, 4, v34
	v_add_lshl_u32 v7, v30, v2, 2
	v_and_b32_e32 v2, 1, v34
	v_lshl_add_u64 v[4:5], v[2:3], 0, -1
	v_cmp_ne_u32_e32 vcc, 0, v2
	; wave barrier
	s_nop 1
	v_xor_b32_e32 v4, vcc_lo, v4
	v_xor_b32_e32 v2, vcc_hi, v5
	v_and_b32_e32 v35, exec_lo, v4
	v_lshlrev_b32_e32 v5, 30, v34
	v_mov_b32_e32 v4, v3
	v_cmp_gt_i64_e32 vcc, 0, v[4:5]
	v_not_b32_e32 v4, v5
	v_ashrrev_i32_e32 v4, 31, v4
	v_and_b32_e32 v2, exec_hi, v2
	v_xor_b32_e32 v5, vcc_hi, v4
	v_xor_b32_e32 v4, vcc_lo, v4
	v_and_b32_e32 v2, v2, v5
	v_and_b32_e32 v35, v35, v4
	v_lshlrev_b32_e32 v5, 29, v34
	v_mov_b32_e32 v4, v3
	v_cmp_gt_i64_e32 vcc, 0, v[4:5]
	v_not_b32_e32 v4, v5
	v_ashrrev_i32_e32 v4, 31, v4
	v_xor_b32_e32 v5, vcc_hi, v4
	v_xor_b32_e32 v4, vcc_lo, v4
	v_and_b32_e32 v2, v2, v5
	v_and_b32_e32 v35, v35, v4
	v_lshlrev_b32_e32 v5, 28, v34
	v_mov_b32_e32 v4, v3
	v_cmp_gt_i64_e32 vcc, 0, v[4:5]
	v_not_b32_e32 v4, v5
	v_ashrrev_i32_e32 v4, 31, v4
	;; [unrolled: 9-line block ×5, first 2 shown]
	v_xor_b32_e32 v5, vcc_hi, v4
	v_xor_b32_e32 v4, vcc_lo, v4
	v_and_b32_e32 v2, v2, v5
	v_lshlrev_b32_e32 v5, 24, v34
	v_and_b32_e32 v35, v35, v4
	v_mov_b32_e32 v4, v3
	v_not_b32_e32 v3, v5
	v_cmp_gt_i64_e32 vcc, 0, v[4:5]
	v_ashrrev_i32_e32 v3, 31, v3
	ds_read_b32 v33, v7 offset:64
	v_xor_b32_e32 v4, vcc_hi, v3
	v_xor_b32_e32 v5, vcc_lo, v3
	v_and_b32_e32 v3, v2, v4
	v_and_b32_e32 v2, v35, v5
	v_mbcnt_lo_u32_b32 v4, v2, 0
	v_mbcnt_hi_u32_b32 v34, v3, v4
	v_cmp_eq_u32_e32 vcc, 0, v34
	v_cmp_ne_u64_e64 s[4:5], 0, v[2:3]
	s_and_b64 s[6:7], s[4:5], vcc
	; wave barrier
	s_and_saveexec_b64 s[4:5], s[6:7]
	s_cbranch_execz .LBB1757_33
; %bb.32:
	v_bcnt_u32_b32 v2, v2, 0
	v_bcnt_u32_b32 v2, v3, v2
	s_waitcnt lgkmcnt(0)
	v_add_u32_e32 v2, v33, v2
	ds_write_b32 v7, v2 offset:64
.LBB1757_33:
	s_or_b64 exec, exec, s[4:5]
	v_xor_b32_e32 v8, 0x80000000, v8
	v_lshrrev_b32_e32 v2, s24, v8
	v_and_b32_e32 v36, s33, v2
	v_lshl_add_u32 v2, v36, 4, v36
	v_add_lshl_u32 v37, v30, v2, 2
	v_and_b32_e32 v2, 1, v36
	v_mov_b32_e32 v3, 0
	v_lshl_add_u64 v[4:5], v[2:3], 0, -1
	v_cmp_ne_u32_e32 vcc, 0, v2
	; wave barrier
	s_nop 1
	v_xor_b32_e32 v4, vcc_lo, v4
	v_xor_b32_e32 v2, vcc_hi, v5
	v_and_b32_e32 v38, exec_lo, v4
	v_lshlrev_b32_e32 v5, 30, v36
	v_mov_b32_e32 v4, v3
	v_cmp_gt_i64_e32 vcc, 0, v[4:5]
	v_not_b32_e32 v4, v5
	v_ashrrev_i32_e32 v4, 31, v4
	v_and_b32_e32 v2, exec_hi, v2
	v_xor_b32_e32 v5, vcc_hi, v4
	v_xor_b32_e32 v4, vcc_lo, v4
	v_and_b32_e32 v2, v2, v5
	v_and_b32_e32 v38, v38, v4
	v_lshlrev_b32_e32 v5, 29, v36
	v_mov_b32_e32 v4, v3
	v_cmp_gt_i64_e32 vcc, 0, v[4:5]
	v_not_b32_e32 v4, v5
	v_ashrrev_i32_e32 v4, 31, v4
	v_xor_b32_e32 v5, vcc_hi, v4
	v_xor_b32_e32 v4, vcc_lo, v4
	v_and_b32_e32 v2, v2, v5
	v_and_b32_e32 v38, v38, v4
	v_lshlrev_b32_e32 v5, 28, v36
	v_mov_b32_e32 v4, v3
	v_cmp_gt_i64_e32 vcc, 0, v[4:5]
	v_not_b32_e32 v4, v5
	v_ashrrev_i32_e32 v4, 31, v4
	;; [unrolled: 9-line block ×6, first 2 shown]
	v_xor_b32_e32 v5, vcc_hi, v4
	v_xor_b32_e32 v4, vcc_lo, v4
	ds_read_b32 v35, v37 offset:64
	v_and_b32_e32 v4, v38, v4
	v_and_b32_e32 v5, v2, v5
	v_mbcnt_lo_u32_b32 v2, v4, 0
	v_mbcnt_hi_u32_b32 v36, v5, v2
	v_cmp_eq_u32_e32 vcc, 0, v36
	v_cmp_ne_u64_e64 s[4:5], 0, v[4:5]
	s_and_b64 s[6:7], s[4:5], vcc
	; wave barrier
	s_and_saveexec_b64 s[4:5], s[6:7]
	s_cbranch_execz .LBB1757_35
; %bb.34:
	v_bcnt_u32_b32 v2, v4, 0
	v_bcnt_u32_b32 v2, v5, v2
	s_waitcnt lgkmcnt(0)
	v_add_u32_e32 v2, v35, v2
	ds_write_b32 v37, v2 offset:64
.LBB1757_35:
	s_or_b64 exec, exec, s[4:5]
	v_xor_b32_e32 v9, 0x80000000, v9
	v_lshrrev_b32_e32 v2, s24, v9
	v_and_b32_e32 v38, s33, v2
	v_lshl_add_u32 v2, v38, 4, v38
	v_add_lshl_u32 v39, v30, v2, 2
	v_and_b32_e32 v2, 1, v38
	v_lshl_add_u64 v[4:5], v[2:3], 0, -1
	v_cmp_ne_u32_e32 vcc, 0, v2
	; wave barrier
	s_nop 1
	v_xor_b32_e32 v4, vcc_lo, v4
	v_xor_b32_e32 v2, vcc_hi, v5
	v_and_b32_e32 v41, exec_lo, v4
	v_lshlrev_b32_e32 v5, 30, v38
	v_mov_b32_e32 v4, v3
	v_cmp_gt_i64_e32 vcc, 0, v[4:5]
	v_not_b32_e32 v4, v5
	v_ashrrev_i32_e32 v4, 31, v4
	v_and_b32_e32 v2, exec_hi, v2
	v_xor_b32_e32 v5, vcc_hi, v4
	v_xor_b32_e32 v4, vcc_lo, v4
	v_and_b32_e32 v2, v2, v5
	v_and_b32_e32 v41, v41, v4
	v_lshlrev_b32_e32 v5, 29, v38
	v_mov_b32_e32 v4, v3
	v_cmp_gt_i64_e32 vcc, 0, v[4:5]
	v_not_b32_e32 v4, v5
	v_ashrrev_i32_e32 v4, 31, v4
	v_xor_b32_e32 v5, vcc_hi, v4
	v_xor_b32_e32 v4, vcc_lo, v4
	v_and_b32_e32 v2, v2, v5
	v_and_b32_e32 v41, v41, v4
	v_lshlrev_b32_e32 v5, 28, v38
	v_mov_b32_e32 v4, v3
	v_cmp_gt_i64_e32 vcc, 0, v[4:5]
	v_not_b32_e32 v4, v5
	v_ashrrev_i32_e32 v4, 31, v4
	;; [unrolled: 9-line block ×5, first 2 shown]
	v_xor_b32_e32 v5, vcc_hi, v4
	v_xor_b32_e32 v4, vcc_lo, v4
	v_and_b32_e32 v2, v2, v5
	v_lshlrev_b32_e32 v5, 24, v38
	v_and_b32_e32 v41, v41, v4
	v_mov_b32_e32 v4, v3
	v_not_b32_e32 v3, v5
	v_cmp_gt_i64_e32 vcc, 0, v[4:5]
	v_ashrrev_i32_e32 v3, 31, v3
	ds_read_b32 v30, v39 offset:64
	v_xor_b32_e32 v4, vcc_hi, v3
	v_xor_b32_e32 v5, vcc_lo, v3
	v_and_b32_e32 v3, v2, v4
	v_and_b32_e32 v2, v41, v5
	v_mbcnt_lo_u32_b32 v4, v2, 0
	v_mbcnt_hi_u32_b32 v38, v3, v4
	v_cmp_eq_u32_e32 vcc, 0, v38
	v_cmp_ne_u64_e64 s[4:5], 0, v[2:3]
	v_add_u32_e32 v40, 64, v18
	s_and_b64 s[6:7], s[4:5], vcc
	; wave barrier
	s_and_saveexec_b64 s[4:5], s[6:7]
	s_cbranch_execz .LBB1757_37
; %bb.36:
	v_bcnt_u32_b32 v2, v2, 0
	v_bcnt_u32_b32 v2, v3, v2
	s_waitcnt lgkmcnt(0)
	v_add_u32_e32 v2, v30, v2
	ds_write_b32 v39, v2 offset:64
.LBB1757_37:
	s_or_b64 exec, exec, s[4:5]
	; wave barrier
	s_waitcnt lgkmcnt(0)
	s_barrier
	ds_read2_b32 v[4:5], v18 offset0:16 offset1:17
	ds_read2_b32 v[2:3], v40 offset0:2 offset1:3
	ds_read_b32 v41, v40 offset:16
	v_cmp_lt_u32_e64 s[12:13], 31, v16
	s_waitcnt lgkmcnt(1)
	v_add3_u32 v42, v5, v4, v2
	s_waitcnt lgkmcnt(0)
	v_add3_u32 v41, v42, v3, v41
	v_and_b32_e32 v42, 15, v16
	v_cmp_eq_u32_e32 vcc, 0, v42
	v_mov_b32_dpp v43, v41 row_shr:1 row_mask:0xf bank_mask:0xf
	v_cmp_lt_u32_e64 s[4:5], 1, v42
	v_cndmask_b32_e64 v43, v43, 0, vcc
	v_add_u32_e32 v41, v43, v41
	v_cmp_lt_u32_e64 s[6:7], 3, v42
	v_cmp_lt_u32_e64 s[8:9], 7, v42
	v_mov_b32_dpp v43, v41 row_shr:2 row_mask:0xf bank_mask:0xf
	v_cndmask_b32_e64 v43, 0, v43, s[4:5]
	v_add_u32_e32 v41, v41, v43
	s_nop 1
	v_mov_b32_dpp v43, v41 row_shr:4 row_mask:0xf bank_mask:0xf
	v_cndmask_b32_e64 v43, 0, v43, s[6:7]
	v_add_u32_e32 v41, v41, v43
	s_nop 1
	v_mov_b32_dpp v43, v41 row_shr:8 row_mask:0xf bank_mask:0xf
	v_cndmask_b32_e64 v42, 0, v43, s[8:9]
	v_add_u32_e32 v41, v41, v42
	v_bfe_i32 v43, v16, 4, 1
	s_nop 0
	v_mov_b32_dpp v42, v41 row_bcast:15 row_mask:0xf bank_mask:0xf
	v_and_b32_e32 v42, v43, v42
	v_add_u32_e32 v41, v41, v42
	v_and_b32_e32 v43, 63, v10
	s_nop 0
	v_mov_b32_dpp v42, v41 row_bcast:31 row_mask:0xf bank_mask:0xf
	v_cndmask_b32_e64 v42, 0, v42, s[12:13]
	v_add_u32_e32 v41, v41, v42
	v_lshrrev_b32_e32 v42, 6, v10
	v_cmp_eq_u32_e64 s[12:13], 63, v43
	s_and_saveexec_b64 s[14:15], s[12:13]
	s_cbranch_execz .LBB1757_39
; %bb.38:
	v_lshlrev_b32_e32 v43, 2, v42
	ds_write_b32 v43, v41
.LBB1757_39:
	s_or_b64 exec, exec, s[14:15]
	v_cmp_gt_u32_e64 s[12:13], 16, v10
	s_waitcnt lgkmcnt(0)
	s_barrier
	s_and_saveexec_b64 s[14:15], s[12:13]
	s_cbranch_execz .LBB1757_41
; %bb.40:
	v_lshlrev_b32_e32 v43, 2, v10
	ds_read_b32 v44, v43
	s_waitcnt lgkmcnt(0)
	s_nop 0
	v_mov_b32_dpp v45, v44 row_shr:1 row_mask:0xf bank_mask:0xf
	v_cndmask_b32_e64 v45, v45, 0, vcc
	v_add_u32_e32 v44, v45, v44
	s_nop 1
	v_mov_b32_dpp v45, v44 row_shr:2 row_mask:0xf bank_mask:0xf
	v_cndmask_b32_e64 v45, 0, v45, s[4:5]
	v_add_u32_e32 v44, v44, v45
	s_nop 1
	v_mov_b32_dpp v45, v44 row_shr:4 row_mask:0xf bank_mask:0xf
	v_cndmask_b32_e64 v45, 0, v45, s[6:7]
	;; [unrolled: 4-line block ×3, first 2 shown]
	v_add_u32_e32 v44, v44, v45
	ds_write_b32 v43, v44
.LBB1757_41:
	s_or_b64 exec, exec, s[14:15]
	v_cmp_lt_u32_e32 vcc, 63, v10
	v_mov_b32_e32 v43, 0
	s_waitcnt lgkmcnt(0)
	s_barrier
	s_and_saveexec_b64 s[4:5], vcc
	s_cbranch_execz .LBB1757_43
; %bb.42:
	v_lshl_add_u32 v42, v42, 2, -4
	ds_read_b32 v43, v42
.LBB1757_43:
	s_or_b64 exec, exec, s[4:5]
	v_add_u32_e32 v42, -1, v16
	v_and_b32_e32 v44, 64, v16
	v_cmp_lt_i32_e32 vcc, v42, v44
	s_waitcnt lgkmcnt(0)
	v_add_u32_e32 v41, v43, v41
	s_movk_i32 s4, 0x100
	v_cndmask_b32_e32 v42, v42, v16, vcc
	v_lshlrev_b32_e32 v42, 2, v42
	ds_bpermute_b32 v41, v42, v41
	v_cmp_eq_u32_e32 vcc, 0, v16
	v_cmp_gt_u32_e64 s[4:5], s4, v10
	s_waitcnt lgkmcnt(0)
	v_cndmask_b32_e32 v16, v41, v43, vcc
	v_cndmask_b32_e64 v16, v16, 0, s[10:11]
	v_add_u32_e32 v4, v16, v4
	v_add_u32_e32 v5, v4, v5
	;; [unrolled: 1-line block ×4, first 2 shown]
	ds_write2_b32 v18, v16, v4 offset0:16 offset1:17
	ds_write2_b32 v40, v5, v2 offset0:2 offset1:3
	ds_write_b32 v40, v3 offset:16
	s_waitcnt lgkmcnt(0)
	s_barrier
	ds_read_b32 v22, v22 offset:64
	ds_read_b32 v23, v23 offset:64
	;; [unrolled: 1-line block ×8, first 2 shown]
                                        ; implicit-def: $vgpr16
                                        ; implicit-def: $vgpr18
	s_and_saveexec_b64 s[6:7], s[4:5]
	s_cbranch_execz .LBB1757_47
; %bb.44:
	v_mul_u32_u24_e32 v2, 17, v10
	v_lshlrev_b32_e32 v3, 2, v2
	ds_read_b32 v16, v3 offset:64
	s_movk_i32 s8, 0xff
	v_cmp_ne_u32_e32 vcc, s8, v10
	v_mov_b32_e32 v2, 0x2000
	s_and_saveexec_b64 s[8:9], vcc
	s_cbranch_execz .LBB1757_46
; %bb.45:
	ds_read_b32 v2, v3 offset:132
.LBB1757_46:
	s_or_b64 exec, exec, s[8:9]
	s_waitcnt lgkmcnt(0)
	v_sub_u32_e32 v18, v2, v16
.LBB1757_47:
	s_or_b64 exec, exec, s[6:7]
	s_waitcnt lgkmcnt(0)
	s_barrier
	s_and_saveexec_b64 s[6:7], s[4:5]
	s_cbranch_execz .LBB1757_57
; %bb.48:
	v_lshl_or_b32 v4, s27, 8, v10
	v_mov_b32_e32 v5, 0
	v_lshl_add_u64 v[2:3], v[4:5], 2, s[18:19]
	v_or_b32_e32 v4, 2.0, v18
	s_mov_b64 s[8:9], 0
	s_brev_b32 s16, 1
	s_mov_b32 s17, s27
	v_mov_b32_e32 v42, 0
	global_store_dword v[2:3], v4, off sc1
                                        ; implicit-def: $sgpr12_sgpr13
	s_branch .LBB1757_50
.LBB1757_49:                            ;   in Loop: Header=BB1757_50 Depth=1
	s_or_b64 exec, exec, s[12:13]
	v_and_b32_e32 v6, 0x3fffffff, v43
	v_add_u32_e32 v42, v6, v42
	v_cmp_eq_u32_e64 s[12:13], s16, v4
	s_and_b64 s[14:15], exec, s[12:13]
	s_or_b64 s[8:9], s[14:15], s[8:9]
	s_andn2_b64 exec, exec, s[8:9]
	s_cbranch_execz .LBB1757_56
.LBB1757_50:                            ; =>This Loop Header: Depth=1
                                        ;     Child Loop BB1757_53 Depth 2
	s_or_b64 s[12:13], s[12:13], exec
	s_cmp_eq_u32 s17, 0
	s_cbranch_scc1 .LBB1757_55
; %bb.51:                               ;   in Loop: Header=BB1757_50 Depth=1
	s_add_i32 s17, s17, -1
	v_lshl_or_b32 v4, s17, 8, v10
	v_lshl_add_u64 v[6:7], v[4:5], 2, s[18:19]
	global_load_dword v43, v[6:7], off sc1
	s_waitcnt vmcnt(0)
	v_and_b32_e32 v4, -2.0, v43
	v_cmp_eq_u32_e32 vcc, 0, v4
	s_and_saveexec_b64 s[12:13], vcc
	s_cbranch_execz .LBB1757_49
; %bb.52:                               ;   in Loop: Header=BB1757_50 Depth=1
	s_mov_b64 s[14:15], 0
.LBB1757_53:                            ;   Parent Loop BB1757_50 Depth=1
                                        ; =>  This Inner Loop Header: Depth=2
	global_load_dword v43, v[6:7], off sc1
	s_waitcnt vmcnt(0)
	v_and_b32_e32 v4, -2.0, v43
	v_cmp_ne_u32_e32 vcc, 0, v4
	s_or_b64 s[14:15], vcc, s[14:15]
	s_andn2_b64 exec, exec, s[14:15]
	s_cbranch_execnz .LBB1757_53
; %bb.54:                               ;   in Loop: Header=BB1757_50 Depth=1
	s_or_b64 exec, exec, s[14:15]
	s_branch .LBB1757_49
.LBB1757_55:                            ;   in Loop: Header=BB1757_50 Depth=1
                                        ; implicit-def: $sgpr17
	s_and_b64 s[14:15], exec, s[12:13]
	s_or_b64 s[8:9], s[14:15], s[8:9]
	s_andn2_b64 exec, exec, s[8:9]
	s_cbranch_execnz .LBB1757_50
.LBB1757_56:
	s_or_b64 exec, exec, s[8:9]
	v_add_u32_e32 v4, v42, v18
	v_or_b32_e32 v4, 0x80000000, v4
	global_store_dword v[2:3], v4, off sc1
	v_lshlrev_b32_e32 v2, 2, v10
	global_load_dword v3, v2, s[20:21]
	v_sub_u32_e32 v4, v42, v16
	s_waitcnt vmcnt(0)
	v_add_u32_e32 v3, v4, v3
	ds_write_b32 v2, v3
.LBB1757_57:
	s_or_b64 exec, exec, s[6:7]
	v_add_u32_e32 v4, v22, v17
	v_add3_u32 v5, v20, v19, v23
	v_add3_u32 v6, v25, v21, v27
	;; [unrolled: 1-line block ×7, first 2 shown]
	v_lshlrev_b32_e32 v22, 2, v10
	s_movk_i32 s12, 0x400
	v_add_u32_e32 v23, 0x400, v22
	v_lshlrev_b32_e32 v25, 2, v21
	v_lshlrev_b32_e32 v26, 2, v20
	;; [unrolled: 1-line block ×8, first 2 shown]
	s_mov_b64 s[6:7], -1
	s_mov_b32 s13, 0
	s_movk_i32 s14, 0x1000
	v_mov_b32_e32 v3, 0
	s_movk_i32 s15, 0x800
	s_movk_i32 s16, 0xc00
	v_mov_b32_e32 v33, v10
	s_branch .LBB1757_59
.LBB1757_58:                            ;   in Loop: Header=BB1757_59 Depth=1
	s_or_b64 exec, exec, s[8:9]
	s_xor_b64 s[8:9], s[6:7], -1
	s_addk_i32 s13, 0xc000
	v_add_u32_e32 v21, 0xfffff000, v21
	v_add_u32_e32 v20, 0xfffff000, v20
	;; [unrolled: 1-line block ×9, first 2 shown]
	s_mov_b64 s[6:7], 0
	s_and_b64 vcc, exec, s[8:9]
	s_barrier
	s_cbranch_vccnz .LBB1757_84
.LBB1757_59:                            ; =>This Inner Loop Header: Depth=1
	v_cmp_gt_u32_e32 vcc, s14, v4
	s_and_saveexec_b64 s[8:9], vcc
	s_cbranch_execnz .LBB1757_76
; %bb.60:                               ;   in Loop: Header=BB1757_59 Depth=1
	s_or_b64 exec, exec, s[8:9]
	v_cmp_gt_u32_e32 vcc, s14, v5
	s_and_saveexec_b64 s[8:9], vcc
	s_cbranch_execnz .LBB1757_77
.LBB1757_61:                            ;   in Loop: Header=BB1757_59 Depth=1
	s_or_b64 exec, exec, s[8:9]
	v_cmp_gt_u32_e32 vcc, s14, v6
	s_and_saveexec_b64 s[8:9], vcc
	s_cbranch_execnz .LBB1757_78
.LBB1757_62:                            ;   in Loop: Header=BB1757_59 Depth=1
	s_or_b64 exec, exec, s[8:9]
	v_cmp_gt_u32_e32 vcc, s14, v7
	s_and_saveexec_b64 s[8:9], vcc
	s_cbranch_execnz .LBB1757_79
.LBB1757_63:                            ;   in Loop: Header=BB1757_59 Depth=1
	s_or_b64 exec, exec, s[8:9]
	v_cmp_gt_u32_e32 vcc, s14, v17
	s_and_saveexec_b64 s[8:9], vcc
	s_cbranch_execnz .LBB1757_80
.LBB1757_64:                            ;   in Loop: Header=BB1757_59 Depth=1
	s_or_b64 exec, exec, s[8:9]
	v_cmp_gt_u32_e32 vcc, s14, v19
	s_and_saveexec_b64 s[8:9], vcc
	s_cbranch_execnz .LBB1757_81
.LBB1757_65:                            ;   in Loop: Header=BB1757_59 Depth=1
	s_or_b64 exec, exec, s[8:9]
	v_cmp_gt_u32_e32 vcc, s14, v20
	s_and_saveexec_b64 s[8:9], vcc
	s_cbranch_execnz .LBB1757_82
.LBB1757_66:                            ;   in Loop: Header=BB1757_59 Depth=1
	s_or_b64 exec, exec, s[8:9]
	v_cmp_gt_u32_e32 vcc, s14, v21
	s_and_saveexec_b64 s[8:9], vcc
	s_cbranch_execz .LBB1757_68
.LBB1757_67:                            ;   in Loop: Header=BB1757_59 Depth=1
	v_add_u32_e32 v2, s13, v25
	ds_write_b32 v2, v9 offset:1024
.LBB1757_68:                            ;   in Loop: Header=BB1757_59 Depth=1
	s_or_b64 exec, exec, s[8:9]
	v_cmp_gt_u32_e32 vcc, s3, v33
	s_waitcnt lgkmcnt(0)
	s_barrier
	s_and_saveexec_b64 s[8:9], vcc
	s_cbranch_execz .LBB1757_70
; %bb.69:                               ;   in Loop: Header=BB1757_59 Depth=1
	ds_read_b32 v2, v22 offset:1024
	s_waitcnt lgkmcnt(0)
	v_lshrrev_b32_e32 v34, s24, v2
	v_and_b32_e32 v34, s33, v34
	v_lshlrev_b32_e32 v34, 2, v34
	ds_read_b32 v34, v34
	v_xor_b32_e32 v36, 0x80000000, v2
	s_waitcnt lgkmcnt(0)
	v_add_u32_e32 v2, v33, v34
	v_lshl_add_u64 v[34:35], v[2:3], 2, s[30:31]
	global_store_dword v[34:35], v36, off
.LBB1757_70:                            ;   in Loop: Header=BB1757_59 Depth=1
	s_or_b64 exec, exec, s[8:9]
	v_add_u32_e32 v2, 0x400, v33
	v_cmp_gt_u32_e32 vcc, s3, v2
	s_and_saveexec_b64 s[8:9], vcc
	s_cbranch_execz .LBB1757_72
; %bb.71:                               ;   in Loop: Header=BB1757_59 Depth=1
	ds_read_b32 v2, v23 offset:4096
	s_waitcnt lgkmcnt(0)
	v_lshrrev_b32_e32 v34, s24, v2
	v_and_b32_e32 v34, s33, v34
	v_lshlrev_b32_e32 v34, 2, v34
	ds_read_b32 v34, v34
	v_xor_b32_e32 v36, 0x80000000, v2
	s_waitcnt lgkmcnt(0)
	v_add3_u32 v2, v33, v34, s12
	v_lshl_add_u64 v[34:35], v[2:3], 2, s[30:31]
	global_store_dword v[34:35], v36, off
.LBB1757_72:                            ;   in Loop: Header=BB1757_59 Depth=1
	s_or_b64 exec, exec, s[8:9]
	v_add_u32_e32 v2, 0x800, v33
	v_cmp_gt_u32_e32 vcc, s3, v2
	s_and_saveexec_b64 s[8:9], vcc
	s_cbranch_execz .LBB1757_74
; %bb.73:                               ;   in Loop: Header=BB1757_59 Depth=1
	ds_read_b32 v2, v23 offset:8192
	s_waitcnt lgkmcnt(0)
	v_lshrrev_b32_e32 v34, s24, v2
	v_and_b32_e32 v34, s33, v34
	v_lshlrev_b32_e32 v34, 2, v34
	ds_read_b32 v34, v34
	v_xor_b32_e32 v36, 0x80000000, v2
	s_waitcnt lgkmcnt(0)
	v_add3_u32 v2, v33, v34, s15
	v_lshl_add_u64 v[34:35], v[2:3], 2, s[30:31]
	global_store_dword v[34:35], v36, off
.LBB1757_74:                            ;   in Loop: Header=BB1757_59 Depth=1
	s_or_b64 exec, exec, s[8:9]
	v_add_u32_e32 v2, 0xc00, v33
	v_cmp_gt_u32_e32 vcc, s3, v2
	s_and_saveexec_b64 s[8:9], vcc
	s_cbranch_execz .LBB1757_58
; %bb.75:                               ;   in Loop: Header=BB1757_59 Depth=1
	ds_read_b32 v2, v23 offset:12288
	s_waitcnt lgkmcnt(0)
	v_lshrrev_b32_e32 v34, s24, v2
	v_and_b32_e32 v34, s33, v34
	v_lshlrev_b32_e32 v34, 2, v34
	ds_read_b32 v34, v34
	v_xor_b32_e32 v36, 0x80000000, v2
	s_waitcnt lgkmcnt(0)
	v_add3_u32 v2, v33, v34, s16
	v_lshl_add_u64 v[34:35], v[2:3], 2, s[30:31]
	global_store_dword v[34:35], v36, off
	s_branch .LBB1757_58
.LBB1757_76:                            ;   in Loop: Header=BB1757_59 Depth=1
	v_add_u32_e32 v2, s13, v32
	ds_write_b32 v2, v11 offset:1024
	s_or_b64 exec, exec, s[8:9]
	v_cmp_gt_u32_e32 vcc, s14, v5
	s_and_saveexec_b64 s[8:9], vcc
	s_cbranch_execz .LBB1757_61
.LBB1757_77:                            ;   in Loop: Header=BB1757_59 Depth=1
	v_add_u32_e32 v2, s13, v31
	ds_write_b32 v2, v14 offset:1024
	s_or_b64 exec, exec, s[8:9]
	v_cmp_gt_u32_e32 vcc, s14, v6
	s_and_saveexec_b64 s[8:9], vcc
	s_cbranch_execz .LBB1757_62
.LBB1757_78:                            ;   in Loop: Header=BB1757_59 Depth=1
	v_add_u32_e32 v2, s13, v30
	ds_write_b32 v2, v15 offset:1024
	s_or_b64 exec, exec, s[8:9]
	v_cmp_gt_u32_e32 vcc, s14, v7
	s_and_saveexec_b64 s[8:9], vcc
	s_cbranch_execz .LBB1757_63
.LBB1757_79:                            ;   in Loop: Header=BB1757_59 Depth=1
	v_add_u32_e32 v2, s13, v29
	ds_write_b32 v2, v12 offset:1024
	s_or_b64 exec, exec, s[8:9]
	v_cmp_gt_u32_e32 vcc, s14, v17
	s_and_saveexec_b64 s[8:9], vcc
	s_cbranch_execz .LBB1757_64
.LBB1757_80:                            ;   in Loop: Header=BB1757_59 Depth=1
	v_add_u32_e32 v2, s13, v28
	ds_write_b32 v2, v13 offset:1024
	s_or_b64 exec, exec, s[8:9]
	v_cmp_gt_u32_e32 vcc, s14, v19
	s_and_saveexec_b64 s[8:9], vcc
	s_cbranch_execz .LBB1757_65
.LBB1757_81:                            ;   in Loop: Header=BB1757_59 Depth=1
	v_add_u32_e32 v2, s13, v27
	ds_write_b32 v2, v24 offset:1024
	s_or_b64 exec, exec, s[8:9]
	v_cmp_gt_u32_e32 vcc, s14, v20
	s_and_saveexec_b64 s[8:9], vcc
	s_cbranch_execz .LBB1757_66
.LBB1757_82:                            ;   in Loop: Header=BB1757_59 Depth=1
	v_add_u32_e32 v2, s13, v26
	ds_write_b32 v2, v8 offset:1024
	s_or_b64 exec, exec, s[8:9]
	v_cmp_gt_u32_e32 vcc, s14, v21
	s_and_saveexec_b64 s[8:9], vcc
	s_cbranch_execnz .LBB1757_67
	s_branch .LBB1757_68
.LBB1757_83:
	s_mov_b64 s[8:9], 0
                                        ; implicit-def: $vgpr2
	s_cbranch_execnz .LBB1757_87
	s_branch .LBB1757_144
.LBB1757_84:
	s_add_i32 s26, s26, -1
	s_cmp_eq_u32 s26, s27
	s_cselect_b64 s[6:7], -1, 0
	s_and_b64 s[6:7], s[4:5], s[6:7]
	s_mov_b64 s[4:5], 0
	s_mov_b64 s[8:9], 0
                                        ; implicit-def: $vgpr2
	s_and_saveexec_b64 s[12:13], s[6:7]
	s_xor_b64 s[6:7], exec, s[12:13]
; %bb.85:
	s_mov_b64 s[8:9], exec
	v_add_u32_e32 v2, v16, v18
; %bb.86:
	s_or_b64 exec, exec, s[6:7]
	s_and_b64 vcc, exec, s[4:5]
	s_cbranch_vccz .LBB1757_144
.LBB1757_87:
	s_lshl_b32 s4, s27, 13
	s_mov_b32 s5, 0
	s_lshl_b64 s[4:5], s[4:5], 2
	v_mbcnt_hi_u32_b32 v4, -1, v1
	s_add_u32 s4, s28, s4
	v_and_b32_e32 v1, 63, v4
	s_addc_u32 s5, s29, s5
	v_mov_b32_e32 v3, 0
	v_lshlrev_b32_e32 v2, 2, v1
	v_lshlrev_b32_e32 v1, 5, v10
	v_lshl_add_u64 v[6:7], s[4:5], 0, v[2:3]
	v_and_b32_e32 v2, 0x7800, v1
	v_lshl_add_u64 v[14:15], v[6:7], 0, v[2:3]
	global_load_dword v1, v[14:15], off
	s_load_dword s3, s[0:1], 0x64
	s_load_dword s14, s[0:1], 0x58
	s_add_u32 s0, s0, 0x58
	s_addc_u32 s1, s1, 0
	v_bfe_u32 v2, v0, 10, 10
	s_waitcnt lgkmcnt(0)
	s_lshr_b32 s3, s3, 16
	s_cmp_lt_u32 s2, s14
	s_cselect_b32 s2, 12, 18
	s_add_u32 s0, s0, s2
	s_addc_u32 s1, s1, 0
	global_load_ushort v9, v3, s[0:1]
	v_bfe_u32 v6, v0, 20, 10
	v_mul_u32_u24_e32 v0, 5, v10
	v_lshlrev_b32_e32 v5, 2, v0
	ds_write2_b32 v5, v3, v3 offset0:16 offset1:17
	ds_write2_b32 v5, v3, v3 offset0:18 offset1:19
	ds_write_b32 v5, v3 offset:80
	global_load_dword v7, v[14:15], off offset:256
	global_load_dword v8, v[14:15], off offset:512
	;; [unrolled: 1-line block ×7, first 2 shown]
	v_mad_u32_u24 v11, v6, s3, v2
	s_lshl_b32 s0, -1, s25
	s_not_b32 s15, s0
	v_mov_b32_e32 v0, v3
	v_mov_b32_e32 v24, v3
	;; [unrolled: 1-line block ×5, first 2 shown]
	s_waitcnt lgkmcnt(0)
	s_barrier
	s_waitcnt lgkmcnt(0)
	; wave barrier
	s_waitcnt vmcnt(8)
	v_xor_b32_e32 v6, 0x80000000, v1
	v_lshrrev_b32_e32 v1, s24, v6
	v_and_b32_e32 v13, s15, v1
	v_and_b32_e32 v2, 1, v13
	v_lshlrev_b32_e32 v1, 30, v13
	v_lshlrev_b32_e32 v19, 29, v13
	;; [unrolled: 1-line block ×3, first 2 shown]
	v_lshl_add_u64 v[32:33], v[2:3], 0, -1
	v_cmp_ne_u32_e32 vcc, 0, v2
	v_lshl_add_u32 v17, v13, 4, v13
	s_waitcnt vmcnt(7)
	v_mad_u64_u32 v[14:15], s[0:1], v11, v9, v[10:11]
	v_cmp_gt_i64_e64 s[0:1], 0, v[0:1]
	v_not_b32_e32 v0, v1
	v_not_b32_e32 v1, v19
	v_cmp_gt_i64_e64 s[4:5], 0, v[24:25]
	v_lshrrev_b32_e32 v24, 6, v14
	v_xor_b32_e32 v15, vcc_lo, v32
	v_ashrrev_i32_e32 v0, 31, v0
	v_cmp_gt_i64_e64 s[2:3], 0, v[18:19]
	v_not_b32_e32 v2, v25
	v_xor_b32_e32 v11, vcc_hi, v33
	v_ashrrev_i32_e32 v1, 31, v1
	v_add_lshl_u32 v14, v24, v17, 2
	v_and_b32_e32 v15, exec_lo, v15
	v_xor_b32_e32 v17, s1, v0
	v_xor_b32_e32 v0, s0, v0
	v_lshlrev_b32_e32 v29, 27, v13
	v_ashrrev_i32_e32 v2, 31, v2
	v_and_b32_e32 v11, exec_hi, v11
	v_xor_b32_e32 v18, s3, v1
	v_xor_b32_e32 v1, s2, v1
	v_and_b32_e32 v0, v15, v0
	v_lshlrev_b32_e32 v31, 26, v13
	v_not_b32_e32 v9, v29
	v_xor_b32_e32 v19, s5, v2
	v_xor_b32_e32 v2, s4, v2
	v_and_b32_e32 v11, v11, v17
	v_and_b32_e32 v0, v0, v1
	v_cmp_gt_i64_e64 s[6:7], 0, v[28:29]
	v_ashrrev_i32_e32 v9, 31, v9
	v_and_b32_e32 v11, v11, v18
	v_and_b32_e32 v0, v0, v2
	v_not_b32_e32 v2, v31
	v_xor_b32_e32 v21, s7, v9
	v_xor_b32_e32 v9, s6, v9
	v_and_b32_e32 v1, v11, v19
	v_cmp_gt_i64_e32 vcc, 0, v[30:31]
	v_ashrrev_i32_e32 v2, 31, v2
	v_and_b32_e32 v1, v1, v21
	v_and_b32_e32 v0, v0, v9
	v_xor_b32_e32 v9, vcc_hi, v2
	v_xor_b32_e32 v2, vcc_lo, v2
	v_and_b32_e32 v9, v1, v9
	v_and_b32_e32 v2, v0, v2
	v_lshlrev_b32_e32 v1, 25, v13
	v_mov_b32_e32 v0, v3
	v_cmp_gt_i64_e32 vcc, 0, v[0:1]
	v_not_b32_e32 v0, v1
	v_ashrrev_i32_e32 v0, 31, v0
	v_xor_b32_e32 v1, vcc_hi, v0
	v_xor_b32_e32 v0, vcc_lo, v0
	v_and_b32_e32 v9, v9, v1
	v_and_b32_e32 v2, v2, v0
	v_lshlrev_b32_e32 v1, 24, v13
	v_mov_b32_e32 v0, v3
	v_cmp_gt_i64_e32 vcc, 0, v[0:1]
	v_not_b32_e32 v0, v1
	v_ashrrev_i32_e32 v0, 31, v0
	v_xor_b32_e32 v1, vcc_hi, v0
	v_xor_b32_e32 v0, vcc_lo, v0
	v_and_b32_e32 v0, v2, v0
	v_and_b32_e32 v1, v9, v1
	v_mbcnt_lo_u32_b32 v2, v0, 0
	v_mbcnt_hi_u32_b32 v9, v1, v2
	v_cmp_eq_u32_e32 vcc, 0, v9
	v_cmp_ne_u64_e64 s[0:1], 0, v[0:1]
	s_and_b64 s[2:3], s[0:1], vcc
	s_and_saveexec_b64 s[0:1], s[2:3]
	s_cbranch_execz .LBB1757_89
; %bb.88:
	v_bcnt_u32_b32 v0, v0, 0
	v_bcnt_u32_b32 v0, v1, v0
	ds_write_b32 v14, v0 offset:64
.LBB1757_89:
	s_or_b64 exec, exec, s[0:1]
	s_waitcnt vmcnt(6)
	v_xor_b32_e32 v7, 0x80000000, v7
	v_lshrrev_b32_e32 v0, s24, v7
	v_and_b32_e32 v13, s15, v0
	v_lshl_add_u32 v0, v13, 4, v13
	v_and_b32_e32 v2, 1, v13
	v_add_lshl_u32 v17, v24, v0, 2
	v_lshl_add_u64 v[0:1], v[2:3], 0, -1
	v_cmp_ne_u32_e32 vcc, 0, v2
	; wave barrier
	s_nop 1
	v_xor_b32_e32 v1, vcc_hi, v1
	v_xor_b32_e32 v0, vcc_lo, v0
	v_and_b32_e32 v2, exec_hi, v1
	v_and_b32_e32 v15, exec_lo, v0
	v_lshlrev_b32_e32 v1, 30, v13
	v_mov_b32_e32 v0, v3
	v_cmp_gt_i64_e32 vcc, 0, v[0:1]
	v_not_b32_e32 v0, v1
	v_ashrrev_i32_e32 v0, 31, v0
	v_xor_b32_e32 v1, vcc_hi, v0
	v_xor_b32_e32 v0, vcc_lo, v0
	v_and_b32_e32 v2, v2, v1
	v_and_b32_e32 v15, v15, v0
	v_lshlrev_b32_e32 v1, 29, v13
	v_mov_b32_e32 v0, v3
	v_cmp_gt_i64_e32 vcc, 0, v[0:1]
	v_not_b32_e32 v0, v1
	v_ashrrev_i32_e32 v0, 31, v0
	v_xor_b32_e32 v1, vcc_hi, v0
	v_xor_b32_e32 v0, vcc_lo, v0
	v_and_b32_e32 v2, v2, v1
	v_and_b32_e32 v15, v15, v0
	;; [unrolled: 9-line block ×6, first 2 shown]
	v_lshlrev_b32_e32 v1, 24, v13
	v_mov_b32_e32 v0, v3
	v_cmp_gt_i64_e32 vcc, 0, v[0:1]
	v_not_b32_e32 v0, v1
	v_ashrrev_i32_e32 v0, 31, v0
	v_xor_b32_e32 v1, vcc_hi, v0
	v_xor_b32_e32 v0, vcc_lo, v0
	ds_read_b32 v11, v17 offset:64
	v_and_b32_e32 v0, v15, v0
	v_and_b32_e32 v1, v2, v1
	v_mbcnt_lo_u32_b32 v2, v0, 0
	v_mbcnt_hi_u32_b32 v13, v1, v2
	v_cmp_eq_u32_e32 vcc, 0, v13
	v_cmp_ne_u64_e64 s[0:1], 0, v[0:1]
	s_and_b64 s[2:3], s[0:1], vcc
	; wave barrier
	s_and_saveexec_b64 s[0:1], s[2:3]
	s_cbranch_execz .LBB1757_91
; %bb.90:
	v_bcnt_u32_b32 v0, v0, 0
	v_bcnt_u32_b32 v0, v1, v0
	s_waitcnt lgkmcnt(0)
	v_add_u32_e32 v0, v11, v0
	ds_write_b32 v17, v0 offset:64
.LBB1757_91:
	s_or_b64 exec, exec, s[0:1]
	s_waitcnt vmcnt(5)
	v_xor_b32_e32 v8, 0x80000000, v8
	v_lshrrev_b32_e32 v0, s24, v8
	v_and_b32_e32 v18, s15, v0
	v_lshl_add_u32 v0, v18, 4, v18
	v_add_lshl_u32 v21, v24, v0, 2
	v_and_b32_e32 v0, 1, v18
	v_mov_b32_e32 v1, 0
	v_lshl_add_u64 v[2:3], v[0:1], 0, -1
	v_cmp_ne_u32_e32 vcc, 0, v0
	; wave barrier
	s_nop 1
	v_xor_b32_e32 v2, vcc_lo, v2
	v_xor_b32_e32 v0, vcc_hi, v3
	v_and_b32_e32 v19, exec_lo, v2
	v_lshlrev_b32_e32 v3, 30, v18
	v_mov_b32_e32 v2, v1
	v_cmp_gt_i64_e32 vcc, 0, v[2:3]
	v_not_b32_e32 v2, v3
	v_ashrrev_i32_e32 v2, 31, v2
	v_and_b32_e32 v0, exec_hi, v0
	v_xor_b32_e32 v3, vcc_hi, v2
	v_xor_b32_e32 v2, vcc_lo, v2
	v_and_b32_e32 v0, v0, v3
	v_and_b32_e32 v19, v19, v2
	v_lshlrev_b32_e32 v3, 29, v18
	v_mov_b32_e32 v2, v1
	v_cmp_gt_i64_e32 vcc, 0, v[2:3]
	v_not_b32_e32 v2, v3
	v_ashrrev_i32_e32 v2, 31, v2
	v_xor_b32_e32 v3, vcc_hi, v2
	v_xor_b32_e32 v2, vcc_lo, v2
	v_and_b32_e32 v0, v0, v3
	v_and_b32_e32 v19, v19, v2
	v_lshlrev_b32_e32 v3, 28, v18
	v_mov_b32_e32 v2, v1
	v_cmp_gt_i64_e32 vcc, 0, v[2:3]
	v_not_b32_e32 v2, v3
	v_ashrrev_i32_e32 v2, 31, v2
	;; [unrolled: 9-line block ×6, first 2 shown]
	v_xor_b32_e32 v3, vcc_hi, v2
	v_xor_b32_e32 v2, vcc_lo, v2
	ds_read_b32 v15, v21 offset:64
	v_and_b32_e32 v2, v19, v2
	v_and_b32_e32 v3, v0, v3
	v_mbcnt_lo_u32_b32 v0, v2, 0
	v_mbcnt_hi_u32_b32 v18, v3, v0
	v_cmp_eq_u32_e32 vcc, 0, v18
	v_cmp_ne_u64_e64 s[0:1], 0, v[2:3]
	s_and_b64 s[2:3], s[0:1], vcc
	; wave barrier
	s_and_saveexec_b64 s[0:1], s[2:3]
	s_cbranch_execz .LBB1757_93
; %bb.92:
	v_bcnt_u32_b32 v0, v2, 0
	v_bcnt_u32_b32 v0, v3, v0
	s_waitcnt lgkmcnt(0)
	v_add_u32_e32 v0, v15, v0
	ds_write_b32 v21, v0 offset:64
.LBB1757_93:
	s_or_b64 exec, exec, s[0:1]
	s_waitcnt vmcnt(4)
	v_xor_b32_e32 v12, 0x80000000, v12
	v_lshrrev_b32_e32 v0, s24, v12
	v_and_b32_e32 v23, s15, v0
	v_lshl_add_u32 v0, v23, 4, v23
	v_add_lshl_u32 v27, v24, v0, 2
	v_and_b32_e32 v0, 1, v23
	v_lshl_add_u64 v[2:3], v[0:1], 0, -1
	v_cmp_ne_u32_e32 vcc, 0, v0
	; wave barrier
	s_nop 1
	v_xor_b32_e32 v2, vcc_lo, v2
	v_xor_b32_e32 v0, vcc_hi, v3
	v_and_b32_e32 v25, exec_lo, v2
	v_lshlrev_b32_e32 v3, 30, v23
	v_mov_b32_e32 v2, v1
	v_cmp_gt_i64_e32 vcc, 0, v[2:3]
	v_not_b32_e32 v2, v3
	v_ashrrev_i32_e32 v2, 31, v2
	v_and_b32_e32 v0, exec_hi, v0
	v_xor_b32_e32 v3, vcc_hi, v2
	v_xor_b32_e32 v2, vcc_lo, v2
	v_and_b32_e32 v0, v0, v3
	v_and_b32_e32 v25, v25, v2
	v_lshlrev_b32_e32 v3, 29, v23
	v_mov_b32_e32 v2, v1
	v_cmp_gt_i64_e32 vcc, 0, v[2:3]
	v_not_b32_e32 v2, v3
	v_ashrrev_i32_e32 v2, 31, v2
	v_xor_b32_e32 v3, vcc_hi, v2
	v_xor_b32_e32 v2, vcc_lo, v2
	v_and_b32_e32 v0, v0, v3
	v_and_b32_e32 v25, v25, v2
	v_lshlrev_b32_e32 v3, 28, v23
	v_mov_b32_e32 v2, v1
	v_cmp_gt_i64_e32 vcc, 0, v[2:3]
	v_not_b32_e32 v2, v3
	v_ashrrev_i32_e32 v2, 31, v2
	;; [unrolled: 9-line block ×5, first 2 shown]
	v_xor_b32_e32 v3, vcc_hi, v2
	v_xor_b32_e32 v2, vcc_lo, v2
	v_and_b32_e32 v0, v0, v3
	v_lshlrev_b32_e32 v3, 24, v23
	v_and_b32_e32 v25, v25, v2
	v_mov_b32_e32 v2, v1
	v_not_b32_e32 v1, v3
	v_cmp_gt_i64_e32 vcc, 0, v[2:3]
	v_ashrrev_i32_e32 v1, 31, v1
	ds_read_b32 v19, v27 offset:64
	v_xor_b32_e32 v2, vcc_hi, v1
	v_xor_b32_e32 v3, vcc_lo, v1
	v_and_b32_e32 v1, v0, v2
	v_and_b32_e32 v0, v25, v3
	v_mbcnt_lo_u32_b32 v2, v0, 0
	v_mbcnt_hi_u32_b32 v23, v1, v2
	v_cmp_eq_u32_e32 vcc, 0, v23
	v_cmp_ne_u64_e64 s[0:1], 0, v[0:1]
	s_and_b64 s[2:3], s[0:1], vcc
	; wave barrier
	s_and_saveexec_b64 s[0:1], s[2:3]
	s_cbranch_execz .LBB1757_95
; %bb.94:
	v_bcnt_u32_b32 v0, v0, 0
	v_bcnt_u32_b32 v0, v1, v0
	s_waitcnt lgkmcnt(0)
	v_add_u32_e32 v0, v19, v0
	ds_write_b32 v27, v0 offset:64
.LBB1757_95:
	s_or_b64 exec, exec, s[0:1]
	s_waitcnt vmcnt(3)
	v_xor_b32_e32 v16, 0x80000000, v16
	v_lshrrev_b32_e32 v0, s24, v16
	v_and_b32_e32 v28, s15, v0
	v_lshl_add_u32 v0, v28, 4, v28
	v_add_lshl_u32 v30, v24, v0, 2
	v_and_b32_e32 v0, 1, v28
	v_mov_b32_e32 v1, 0
	v_lshl_add_u64 v[2:3], v[0:1], 0, -1
	v_cmp_ne_u32_e32 vcc, 0, v0
	; wave barrier
	s_nop 1
	v_xor_b32_e32 v2, vcc_lo, v2
	v_xor_b32_e32 v0, vcc_hi, v3
	v_and_b32_e32 v29, exec_lo, v2
	v_lshlrev_b32_e32 v3, 30, v28
	v_mov_b32_e32 v2, v1
	v_cmp_gt_i64_e32 vcc, 0, v[2:3]
	v_not_b32_e32 v2, v3
	v_ashrrev_i32_e32 v2, 31, v2
	v_and_b32_e32 v0, exec_hi, v0
	v_xor_b32_e32 v3, vcc_hi, v2
	v_xor_b32_e32 v2, vcc_lo, v2
	v_and_b32_e32 v0, v0, v3
	v_and_b32_e32 v29, v29, v2
	v_lshlrev_b32_e32 v3, 29, v28
	v_mov_b32_e32 v2, v1
	v_cmp_gt_i64_e32 vcc, 0, v[2:3]
	v_not_b32_e32 v2, v3
	v_ashrrev_i32_e32 v2, 31, v2
	v_xor_b32_e32 v3, vcc_hi, v2
	v_xor_b32_e32 v2, vcc_lo, v2
	v_and_b32_e32 v0, v0, v3
	v_and_b32_e32 v29, v29, v2
	v_lshlrev_b32_e32 v3, 28, v28
	v_mov_b32_e32 v2, v1
	v_cmp_gt_i64_e32 vcc, 0, v[2:3]
	v_not_b32_e32 v2, v3
	v_ashrrev_i32_e32 v2, 31, v2
	;; [unrolled: 9-line block ×6, first 2 shown]
	v_xor_b32_e32 v3, vcc_hi, v2
	v_xor_b32_e32 v2, vcc_lo, v2
	ds_read_b32 v25, v30 offset:64
	v_and_b32_e32 v2, v29, v2
	v_and_b32_e32 v3, v0, v3
	v_mbcnt_lo_u32_b32 v0, v2, 0
	v_mbcnt_hi_u32_b32 v28, v3, v0
	v_cmp_eq_u32_e32 vcc, 0, v28
	v_cmp_ne_u64_e64 s[0:1], 0, v[2:3]
	s_and_b64 s[2:3], s[0:1], vcc
	; wave barrier
	s_and_saveexec_b64 s[0:1], s[2:3]
	s_cbranch_execz .LBB1757_97
; %bb.96:
	v_bcnt_u32_b32 v0, v2, 0
	v_bcnt_u32_b32 v0, v3, v0
	s_waitcnt lgkmcnt(0)
	v_add_u32_e32 v0, v25, v0
	ds_write_b32 v30, v0 offset:64
.LBB1757_97:
	s_or_b64 exec, exec, s[0:1]
	s_waitcnt vmcnt(2)
	v_xor_b32_e32 v20, 0x80000000, v20
	v_lshrrev_b32_e32 v0, s24, v20
	v_and_b32_e32 v31, s15, v0
	v_lshl_add_u32 v0, v31, 4, v31
	v_add_lshl_u32 v33, v24, v0, 2
	v_and_b32_e32 v0, 1, v31
	v_lshl_add_u64 v[2:3], v[0:1], 0, -1
	v_cmp_ne_u32_e32 vcc, 0, v0
	; wave barrier
	s_nop 1
	v_xor_b32_e32 v2, vcc_lo, v2
	v_xor_b32_e32 v0, vcc_hi, v3
	v_and_b32_e32 v32, exec_lo, v2
	v_lshlrev_b32_e32 v3, 30, v31
	v_mov_b32_e32 v2, v1
	v_cmp_gt_i64_e32 vcc, 0, v[2:3]
	v_not_b32_e32 v2, v3
	v_ashrrev_i32_e32 v2, 31, v2
	v_and_b32_e32 v0, exec_hi, v0
	v_xor_b32_e32 v3, vcc_hi, v2
	v_xor_b32_e32 v2, vcc_lo, v2
	v_and_b32_e32 v0, v0, v3
	v_and_b32_e32 v32, v32, v2
	v_lshlrev_b32_e32 v3, 29, v31
	v_mov_b32_e32 v2, v1
	v_cmp_gt_i64_e32 vcc, 0, v[2:3]
	v_not_b32_e32 v2, v3
	v_ashrrev_i32_e32 v2, 31, v2
	v_xor_b32_e32 v3, vcc_hi, v2
	v_xor_b32_e32 v2, vcc_lo, v2
	v_and_b32_e32 v0, v0, v3
	v_and_b32_e32 v32, v32, v2
	v_lshlrev_b32_e32 v3, 28, v31
	v_mov_b32_e32 v2, v1
	v_cmp_gt_i64_e32 vcc, 0, v[2:3]
	v_not_b32_e32 v2, v3
	v_ashrrev_i32_e32 v2, 31, v2
	;; [unrolled: 9-line block ×5, first 2 shown]
	v_xor_b32_e32 v3, vcc_hi, v2
	v_xor_b32_e32 v2, vcc_lo, v2
	v_and_b32_e32 v0, v0, v3
	v_lshlrev_b32_e32 v3, 24, v31
	v_and_b32_e32 v32, v32, v2
	v_mov_b32_e32 v2, v1
	v_not_b32_e32 v1, v3
	v_cmp_gt_i64_e32 vcc, 0, v[2:3]
	v_ashrrev_i32_e32 v1, 31, v1
	ds_read_b32 v29, v33 offset:64
	v_xor_b32_e32 v2, vcc_hi, v1
	v_xor_b32_e32 v3, vcc_lo, v1
	v_and_b32_e32 v1, v0, v2
	v_and_b32_e32 v0, v32, v3
	v_mbcnt_lo_u32_b32 v2, v0, 0
	v_mbcnt_hi_u32_b32 v31, v1, v2
	v_cmp_eq_u32_e32 vcc, 0, v31
	v_cmp_ne_u64_e64 s[0:1], 0, v[0:1]
	s_and_b64 s[2:3], s[0:1], vcc
	; wave barrier
	s_and_saveexec_b64 s[0:1], s[2:3]
	s_cbranch_execz .LBB1757_99
; %bb.98:
	v_bcnt_u32_b32 v0, v0, 0
	v_bcnt_u32_b32 v0, v1, v0
	s_waitcnt lgkmcnt(0)
	v_add_u32_e32 v0, v29, v0
	ds_write_b32 v33, v0 offset:64
.LBB1757_99:
	s_or_b64 exec, exec, s[0:1]
	s_waitcnt vmcnt(1)
	v_xor_b32_e32 v26, 0x80000000, v26
	v_lshrrev_b32_e32 v0, s24, v26
	v_and_b32_e32 v34, s15, v0
	v_lshl_add_u32 v0, v34, 4, v34
	v_add_lshl_u32 v35, v24, v0, 2
	v_and_b32_e32 v0, 1, v34
	v_mov_b32_e32 v1, 0
	v_lshl_add_u64 v[2:3], v[0:1], 0, -1
	v_cmp_ne_u32_e32 vcc, 0, v0
	; wave barrier
	s_nop 1
	v_xor_b32_e32 v2, vcc_lo, v2
	v_xor_b32_e32 v0, vcc_hi, v3
	v_and_b32_e32 v36, exec_lo, v2
	v_lshlrev_b32_e32 v3, 30, v34
	v_mov_b32_e32 v2, v1
	v_cmp_gt_i64_e32 vcc, 0, v[2:3]
	v_not_b32_e32 v2, v3
	v_ashrrev_i32_e32 v2, 31, v2
	v_and_b32_e32 v0, exec_hi, v0
	v_xor_b32_e32 v3, vcc_hi, v2
	v_xor_b32_e32 v2, vcc_lo, v2
	v_and_b32_e32 v0, v0, v3
	v_and_b32_e32 v36, v36, v2
	v_lshlrev_b32_e32 v3, 29, v34
	v_mov_b32_e32 v2, v1
	v_cmp_gt_i64_e32 vcc, 0, v[2:3]
	v_not_b32_e32 v2, v3
	v_ashrrev_i32_e32 v2, 31, v2
	v_xor_b32_e32 v3, vcc_hi, v2
	v_xor_b32_e32 v2, vcc_lo, v2
	v_and_b32_e32 v0, v0, v3
	v_and_b32_e32 v36, v36, v2
	v_lshlrev_b32_e32 v3, 28, v34
	v_mov_b32_e32 v2, v1
	v_cmp_gt_i64_e32 vcc, 0, v[2:3]
	v_not_b32_e32 v2, v3
	v_ashrrev_i32_e32 v2, 31, v2
	;; [unrolled: 9-line block ×6, first 2 shown]
	v_xor_b32_e32 v3, vcc_hi, v2
	v_xor_b32_e32 v2, vcc_lo, v2
	ds_read_b32 v32, v35 offset:64
	v_and_b32_e32 v2, v36, v2
	v_and_b32_e32 v3, v0, v3
	v_mbcnt_lo_u32_b32 v0, v2, 0
	v_mbcnt_hi_u32_b32 v34, v3, v0
	v_cmp_eq_u32_e32 vcc, 0, v34
	v_cmp_ne_u64_e64 s[0:1], 0, v[2:3]
	s_and_b64 s[2:3], s[0:1], vcc
	; wave barrier
	s_and_saveexec_b64 s[0:1], s[2:3]
	s_cbranch_execz .LBB1757_101
; %bb.100:
	v_bcnt_u32_b32 v0, v2, 0
	v_bcnt_u32_b32 v0, v3, v0
	s_waitcnt lgkmcnt(0)
	v_add_u32_e32 v0, v32, v0
	ds_write_b32 v35, v0 offset:64
.LBB1757_101:
	s_or_b64 exec, exec, s[0:1]
	s_waitcnt vmcnt(0)
	v_xor_b32_e32 v22, 0x80000000, v22
	v_lshrrev_b32_e32 v0, s24, v22
	v_and_b32_e32 v36, s15, v0
	v_lshl_add_u32 v0, v36, 4, v36
	v_add_lshl_u32 v37, v24, v0, 2
	v_and_b32_e32 v0, 1, v36
	v_lshl_add_u64 v[2:3], v[0:1], 0, -1
	v_cmp_ne_u32_e32 vcc, 0, v0
	; wave barrier
	s_nop 1
	v_xor_b32_e32 v2, vcc_lo, v2
	v_xor_b32_e32 v0, vcc_hi, v3
	v_and_b32_e32 v39, exec_lo, v2
	v_lshlrev_b32_e32 v3, 30, v36
	v_mov_b32_e32 v2, v1
	v_cmp_gt_i64_e32 vcc, 0, v[2:3]
	v_not_b32_e32 v2, v3
	v_ashrrev_i32_e32 v2, 31, v2
	v_and_b32_e32 v0, exec_hi, v0
	v_xor_b32_e32 v3, vcc_hi, v2
	v_xor_b32_e32 v2, vcc_lo, v2
	v_and_b32_e32 v0, v0, v3
	v_and_b32_e32 v39, v39, v2
	v_lshlrev_b32_e32 v3, 29, v36
	v_mov_b32_e32 v2, v1
	v_cmp_gt_i64_e32 vcc, 0, v[2:3]
	v_not_b32_e32 v2, v3
	v_ashrrev_i32_e32 v2, 31, v2
	v_xor_b32_e32 v3, vcc_hi, v2
	v_xor_b32_e32 v2, vcc_lo, v2
	v_and_b32_e32 v0, v0, v3
	v_and_b32_e32 v39, v39, v2
	v_lshlrev_b32_e32 v3, 28, v36
	v_mov_b32_e32 v2, v1
	v_cmp_gt_i64_e32 vcc, 0, v[2:3]
	v_not_b32_e32 v2, v3
	v_ashrrev_i32_e32 v2, 31, v2
	v_xor_b32_e32 v3, vcc_hi, v2
	v_xor_b32_e32 v2, vcc_lo, v2
	v_and_b32_e32 v0, v0, v3
	v_and_b32_e32 v39, v39, v2
	v_lshlrev_b32_e32 v3, 27, v36
	v_mov_b32_e32 v2, v1
	v_cmp_gt_i64_e32 vcc, 0, v[2:3]
	v_not_b32_e32 v2, v3
	v_ashrrev_i32_e32 v2, 31, v2
	v_xor_b32_e32 v3, vcc_hi, v2
	v_xor_b32_e32 v2, vcc_lo, v2
	v_and_b32_e32 v0, v0, v3
	v_and_b32_e32 v39, v39, v2
	v_lshlrev_b32_e32 v3, 26, v36
	v_mov_b32_e32 v2, v1
	v_cmp_gt_i64_e32 vcc, 0, v[2:3]
	v_not_b32_e32 v2, v3
	v_ashrrev_i32_e32 v2, 31, v2
	v_xor_b32_e32 v3, vcc_hi, v2
	v_xor_b32_e32 v2, vcc_lo, v2
	v_and_b32_e32 v0, v0, v3
	v_and_b32_e32 v39, v39, v2
	v_lshlrev_b32_e32 v3, 25, v36
	v_mov_b32_e32 v2, v1
	v_cmp_gt_i64_e32 vcc, 0, v[2:3]
	v_not_b32_e32 v2, v3
	v_ashrrev_i32_e32 v2, 31, v2
	v_xor_b32_e32 v3, vcc_hi, v2
	v_xor_b32_e32 v2, vcc_lo, v2
	v_and_b32_e32 v0, v0, v3
	v_lshlrev_b32_e32 v3, 24, v36
	v_and_b32_e32 v39, v39, v2
	v_mov_b32_e32 v2, v1
	v_not_b32_e32 v1, v3
	v_cmp_gt_i64_e32 vcc, 0, v[2:3]
	v_ashrrev_i32_e32 v1, 31, v1
	ds_read_b32 v24, v37 offset:64
	v_xor_b32_e32 v2, vcc_hi, v1
	v_xor_b32_e32 v3, vcc_lo, v1
	v_and_b32_e32 v1, v0, v2
	v_and_b32_e32 v0, v39, v3
	v_mbcnt_lo_u32_b32 v2, v0, 0
	v_mbcnt_hi_u32_b32 v36, v1, v2
	v_cmp_eq_u32_e32 vcc, 0, v36
	v_cmp_ne_u64_e64 s[0:1], 0, v[0:1]
	v_add_u32_e32 v38, 64, v5
	s_and_b64 s[2:3], s[0:1], vcc
	; wave barrier
	s_and_saveexec_b64 s[0:1], s[2:3]
	s_cbranch_execz .LBB1757_103
; %bb.102:
	v_bcnt_u32_b32 v0, v0, 0
	v_bcnt_u32_b32 v0, v1, v0
	s_waitcnt lgkmcnt(0)
	v_add_u32_e32 v0, v24, v0
	ds_write_b32 v37, v0 offset:64
.LBB1757_103:
	s_or_b64 exec, exec, s[0:1]
	; wave barrier
	s_waitcnt lgkmcnt(0)
	s_barrier
	ds_read2_b32 v[2:3], v5 offset0:16 offset1:17
	ds_read2_b32 v[0:1], v38 offset0:2 offset1:3
	ds_read_b32 v39, v38 offset:16
	v_cmp_lt_u32_e64 s[2:3], 31, v4
	s_waitcnt lgkmcnt(1)
	v_add3_u32 v40, v3, v2, v0
	s_waitcnt lgkmcnt(0)
	v_add3_u32 v39, v40, v1, v39
	v_and_b32_e32 v40, 15, v4
	v_cmp_eq_u32_e32 vcc, 0, v40
	v_mov_b32_dpp v41, v39 row_shr:1 row_mask:0xf bank_mask:0xf
	v_cmp_lt_u32_e64 s[0:1], 1, v40
	v_cndmask_b32_e64 v41, v41, 0, vcc
	v_add_u32_e32 v39, v41, v39
	v_cmp_lt_u32_e64 s[4:5], 3, v40
	v_cmp_lt_u32_e64 s[6:7], 7, v40
	v_mov_b32_dpp v41, v39 row_shr:2 row_mask:0xf bank_mask:0xf
	v_cndmask_b32_e64 v41, 0, v41, s[0:1]
	v_add_u32_e32 v39, v39, v41
	s_nop 1
	v_mov_b32_dpp v41, v39 row_shr:4 row_mask:0xf bank_mask:0xf
	v_cndmask_b32_e64 v41, 0, v41, s[4:5]
	v_add_u32_e32 v39, v39, v41
	s_nop 1
	v_mov_b32_dpp v41, v39 row_shr:8 row_mask:0xf bank_mask:0xf
	v_cndmask_b32_e64 v40, 0, v41, s[6:7]
	v_add_u32_e32 v39, v39, v40
	v_bfe_i32 v41, v4, 4, 1
	s_nop 0
	v_mov_b32_dpp v40, v39 row_bcast:15 row_mask:0xf bank_mask:0xf
	v_and_b32_e32 v40, v41, v40
	v_add_u32_e32 v39, v39, v40
	v_and_b32_e32 v41, 63, v10
	s_nop 0
	v_mov_b32_dpp v40, v39 row_bcast:31 row_mask:0xf bank_mask:0xf
	v_cndmask_b32_e64 v40, 0, v40, s[2:3]
	v_add_u32_e32 v39, v39, v40
	v_lshrrev_b32_e32 v40, 6, v10
	v_cmp_eq_u32_e64 s[2:3], 63, v41
	s_and_saveexec_b64 s[12:13], s[2:3]
	s_cbranch_execz .LBB1757_105
; %bb.104:
	v_lshlrev_b32_e32 v41, 2, v40
	ds_write_b32 v41, v39
.LBB1757_105:
	s_or_b64 exec, exec, s[12:13]
	v_cmp_gt_u32_e64 s[2:3], 16, v10
	s_waitcnt lgkmcnt(0)
	s_barrier
	s_and_saveexec_b64 s[12:13], s[2:3]
	s_cbranch_execz .LBB1757_107
; %bb.106:
	v_lshlrev_b32_e32 v41, 2, v10
	ds_read_b32 v42, v41
	s_waitcnt lgkmcnt(0)
	s_nop 0
	v_mov_b32_dpp v43, v42 row_shr:1 row_mask:0xf bank_mask:0xf
	v_cndmask_b32_e64 v43, v43, 0, vcc
	v_add_u32_e32 v42, v43, v42
	s_nop 1
	v_mov_b32_dpp v43, v42 row_shr:2 row_mask:0xf bank_mask:0xf
	v_cndmask_b32_e64 v43, 0, v43, s[0:1]
	v_add_u32_e32 v42, v42, v43
	s_nop 1
	v_mov_b32_dpp v43, v42 row_shr:4 row_mask:0xf bank_mask:0xf
	v_cndmask_b32_e64 v43, 0, v43, s[4:5]
	;; [unrolled: 4-line block ×3, first 2 shown]
	v_add_u32_e32 v42, v42, v43
	ds_write_b32 v41, v42
.LBB1757_107:
	s_or_b64 exec, exec, s[12:13]
	v_cmp_lt_u32_e32 vcc, 63, v10
	v_mov_b32_e32 v41, 0
	s_waitcnt lgkmcnt(0)
	s_barrier
	s_and_saveexec_b64 s[0:1], vcc
	s_cbranch_execz .LBB1757_109
; %bb.108:
	v_lshl_add_u32 v40, v40, 2, -4
	ds_read_b32 v41, v40
.LBB1757_109:
	s_or_b64 exec, exec, s[0:1]
	v_add_u32_e32 v40, -1, v4
	v_and_b32_e32 v42, 64, v4
	v_cmp_lt_i32_e32 vcc, v40, v42
	s_waitcnt lgkmcnt(0)
	v_add_u32_e32 v39, v41, v39
	s_movk_i32 s0, 0x100
	v_cndmask_b32_e32 v40, v40, v4, vcc
	v_lshlrev_b32_e32 v40, 2, v40
	ds_bpermute_b32 v39, v40, v39
	v_cmp_eq_u32_e32 vcc, 0, v4
	v_cmp_gt_u32_e64 s[0:1], s0, v10
	s_waitcnt lgkmcnt(0)
	v_cndmask_b32_e32 v4, v39, v41, vcc
	v_cndmask_b32_e64 v4, v4, 0, s[10:11]
	v_add_u32_e32 v2, v4, v2
	v_add_u32_e32 v3, v2, v3
	;; [unrolled: 1-line block ×4, first 2 shown]
	ds_write2_b32 v5, v4, v2 offset0:16 offset1:17
	ds_write2_b32 v38, v3, v0 offset0:2 offset1:3
	ds_write_b32 v38, v1 offset:16
	s_waitcnt lgkmcnt(0)
	s_barrier
	ds_read_b32 v42, v14 offset:64
	ds_read_b32 v38, v17 offset:64
	;; [unrolled: 1-line block ×8, first 2 shown]
                                        ; implicit-def: $vgpr14
                                        ; implicit-def: $vgpr17
	s_and_saveexec_b64 s[2:3], s[0:1]
	s_cbranch_execz .LBB1757_113
; %bb.110:
	v_mul_u32_u24_e32 v0, 17, v10
	v_lshlrev_b32_e32 v1, 2, v0
	ds_read_b32 v14, v1 offset:64
	s_movk_i32 s4, 0xff
	v_cmp_ne_u32_e32 vcc, s4, v10
	v_mov_b32_e32 v0, 0x2000
	s_and_saveexec_b64 s[4:5], vcc
	s_cbranch_execz .LBB1757_112
; %bb.111:
	ds_read_b32 v0, v1 offset:132
.LBB1757_112:
	s_or_b64 exec, exec, s[4:5]
	s_waitcnt lgkmcnt(0)
	v_sub_u32_e32 v17, v0, v14
.LBB1757_113:
	s_or_b64 exec, exec, s[2:3]
	s_waitcnt lgkmcnt(0)
	s_barrier
	s_and_saveexec_b64 s[2:3], s[0:1]
	s_cbranch_execz .LBB1757_123
; %bb.114:
	v_lshl_or_b32 v2, s27, 8, v10
	v_mov_b32_e32 v3, 0
	v_lshl_add_u64 v[0:1], v[2:3], 2, s[18:19]
	v_or_b32_e32 v2, 2.0, v17
	s_mov_b64 s[4:5], 0
	s_brev_b32 s12, 1
	s_mov_b32 s13, s27
	v_mov_b32_e32 v33, 0
	global_store_dword v[0:1], v2, off sc1
                                        ; implicit-def: $sgpr6_sgpr7
	s_branch .LBB1757_117
.LBB1757_115:                           ;   in Loop: Header=BB1757_117 Depth=1
	s_or_b64 exec, exec, s[10:11]
.LBB1757_116:                           ;   in Loop: Header=BB1757_117 Depth=1
	s_or_b64 exec, exec, s[6:7]
	v_and_b32_e32 v4, 0x3fffffff, v35
	v_add_u32_e32 v33, v4, v33
	v_cmp_eq_u32_e64 s[6:7], s12, v2
	s_and_b64 s[10:11], exec, s[6:7]
	s_or_b64 s[4:5], s[10:11], s[4:5]
	s_andn2_b64 exec, exec, s[4:5]
	s_cbranch_execz .LBB1757_122
.LBB1757_117:                           ; =>This Loop Header: Depth=1
                                        ;     Child Loop BB1757_120 Depth 2
	s_or_b64 s[6:7], s[6:7], exec
	s_cmp_eq_u32 s13, 0
	s_cbranch_scc1 .LBB1757_121
; %bb.118:                              ;   in Loop: Header=BB1757_117 Depth=1
	s_add_i32 s13, s13, -1
	v_lshl_or_b32 v2, s13, 8, v10
	v_lshl_add_u64 v[4:5], v[2:3], 2, s[18:19]
	global_load_dword v35, v[4:5], off sc1
	s_waitcnt vmcnt(0)
	v_and_b32_e32 v2, -2.0, v35
	v_cmp_eq_u32_e32 vcc, 0, v2
	s_and_saveexec_b64 s[6:7], vcc
	s_cbranch_execz .LBB1757_116
; %bb.119:                              ;   in Loop: Header=BB1757_117 Depth=1
	s_mov_b64 s[10:11], 0
.LBB1757_120:                           ;   Parent Loop BB1757_117 Depth=1
                                        ; =>  This Inner Loop Header: Depth=2
	global_load_dword v35, v[4:5], off sc1
	s_waitcnt vmcnt(0)
	v_and_b32_e32 v2, -2.0, v35
	v_cmp_ne_u32_e32 vcc, 0, v2
	s_or_b64 s[10:11], vcc, s[10:11]
	s_andn2_b64 exec, exec, s[10:11]
	s_cbranch_execnz .LBB1757_120
	s_branch .LBB1757_115
.LBB1757_121:                           ;   in Loop: Header=BB1757_117 Depth=1
                                        ; implicit-def: $sgpr13
	s_and_b64 s[10:11], exec, s[6:7]
	s_or_b64 s[4:5], s[10:11], s[4:5]
	s_andn2_b64 exec, exec, s[4:5]
	s_cbranch_execnz .LBB1757_117
.LBB1757_122:
	s_or_b64 exec, exec, s[4:5]
	v_add_u32_e32 v2, v33, v17
	v_or_b32_e32 v2, 0x80000000, v2
	global_store_dword v[0:1], v2, off sc1
	v_lshlrev_b32_e32 v0, 2, v10
	global_load_dword v1, v0, s[20:21]
	v_sub_u32_e32 v2, v33, v14
	s_waitcnt vmcnt(0)
	v_add_u32_e32 v1, v2, v1
	ds_write_b32 v0, v1
.LBB1757_123:
	s_or_b64 exec, exec, s[2:3]
	v_add_u32_e32 v0, v36, v24
	v_add_u32_e32 v1, v34, v32
	;; [unrolled: 1-line block ×8, first 2 shown]
	v_lshlrev_b32_e32 v3, 2, v10
	s_movk_i32 s6, 0x400
	v_add_u32_e32 v4, 0x400, v3
	v_add_lshl_u32 v5, v0, v21, 2
	v_add3_u32 v9, v36, v21, v24
	v_add_lshl_u32 v21, v1, v27, 2
	v_add3_u32 v24, v34, v27, v32
	;; [unrolled: 2-line block ×7, first 2 shown]
	v_lshlrev_b32_e32 v13, 2, v2
	s_mov_b64 s[2:3], -1
	s_mov_b32 s7, 0
	s_mov_b32 s10, 0
	s_movk_i32 s11, 0x1000
	s_movk_i32 s12, 0x800
	;; [unrolled: 1-line block ×3, first 2 shown]
	v_mov_b32_e32 v1, 0
	v_mov_b32_e32 v31, v10
	s_branch .LBB1757_125
.LBB1757_124:                           ;   in Loop: Header=BB1757_125 Depth=1
	s_or_b64 exec, exec, s[4:5]
	s_waitcnt lgkmcnt(0)
	s_barrier
	ds_read2st64_b32 v[32:33], v4 offset0:16 offset1:32
	ds_read_b32 v0, v3 offset:1024
	s_xor_b64 s[4:5], s[2:3], -1
	s_addk_i32 s7, 0xc000
	s_addk_i32 s10, 0xf000
	s_waitcnt lgkmcnt(1)
	v_lshrrev_b32_e32 v34, s24, v32
	v_and_b32_e32 v34, s15, v34
	v_lshlrev_b32_e32 v34, 2, v34
	ds_read_b32 v36, v34
	ds_read_b32 v37, v4 offset:12288
	s_waitcnt lgkmcnt(2)
	v_lshrrev_b32_e32 v34, s24, v0
	v_and_b32_e32 v34, s15, v34
	v_xor_b32_e32 v38, 0x80000000, v0
	v_lshlrev_b32_e32 v0, 2, v34
	v_lshrrev_b32_e32 v34, s24, v33
	ds_read_b32 v0, v0
	v_and_b32_e32 v34, s15, v34
	s_waitcnt lgkmcnt(1)
	v_lshrrev_b32_e32 v35, s24, v37
	v_lshlrev_b32_e32 v34, 2, v34
	v_and_b32_e32 v35, s15, v35
	v_lshlrev_b32_e32 v35, 2, v35
	ds_read_b32 v39, v34
	ds_read_b32 v40, v35
	s_waitcnt lgkmcnt(2)
	v_add_u32_e32 v0, v31, v0
	v_lshl_add_u64 v[34:35], v[0:1], 2, s[30:31]
	v_add3_u32 v0, v31, v36, s6
	global_store_dword v[34:35], v38, off
	v_xor_b32_e32 v32, 0x80000000, v32
	v_lshl_add_u64 v[34:35], v[0:1], 2, s[30:31]
	s_waitcnt lgkmcnt(1)
	v_add3_u32 v0, v31, v39, s12
	global_store_dword v[34:35], v32, off
	v_xor_b32_e32 v34, 0x80000000, v33
	v_lshl_add_u64 v[32:33], v[0:1], 2, s[30:31]
	s_waitcnt lgkmcnt(0)
	v_add3_u32 v0, v31, v40, s13
	global_store_dword v[32:33], v34, off
	v_xor_b32_e32 v34, 0x80000000, v37
	v_lshl_add_u64 v[32:33], v[0:1], 2, s[30:31]
	v_add_u32_e32 v31, 0x1000, v31
	s_mov_b64 s[2:3], 0
	s_and_b64 vcc, exec, s[4:5]
	global_store_dword v[32:33], v34, off
	s_barrier
	s_cbranch_vccnz .LBB1757_141
.LBB1757_125:                           ; =>This Inner Loop Header: Depth=1
	v_add_u32_e32 v0, s10, v2
	v_cmp_gt_u32_e32 vcc, s11, v0
	s_and_saveexec_b64 s[4:5], vcc
	s_cbranch_execz .LBB1757_127
; %bb.126:                              ;   in Loop: Header=BB1757_125 Depth=1
	v_add_u32_e32 v0, s7, v13
	ds_write_b32 v0, v6 offset:1024
.LBB1757_127:                           ;   in Loop: Header=BB1757_125 Depth=1
	s_or_b64 exec, exec, s[4:5]
	v_add_u32_e32 v0, s10, v11
	v_cmp_gt_u32_e32 vcc, s11, v0
	s_and_saveexec_b64 s[4:5], vcc
	s_cbranch_execz .LBB1757_129
; %bb.128:                              ;   in Loop: Header=BB1757_125 Depth=1
	v_add_u32_e32 v0, s7, v18
	ds_write_b32 v0, v7 offset:1024
.LBB1757_129:                           ;   in Loop: Header=BB1757_125 Depth=1
	s_or_b64 exec, exec, s[4:5]
	;; [unrolled: 9-line block ×7, first 2 shown]
	v_add_u32_e32 v0, s10, v9
	v_cmp_gt_u32_e32 vcc, s11, v0
	s_and_saveexec_b64 s[4:5], vcc
	s_cbranch_execz .LBB1757_124
; %bb.140:                              ;   in Loop: Header=BB1757_125 Depth=1
	v_add_u32_e32 v0, s7, v5
	ds_write_b32 v0, v22 offset:1024
	s_branch .LBB1757_124
.LBB1757_141:
	s_add_i32 s14, s14, -1
	s_cmp_eq_u32 s14, s27
	s_cselect_b64 s[2:3], -1, 0
	s_and_b64 s[2:3], s[0:1], s[2:3]
                                        ; implicit-def: $vgpr2
	s_and_saveexec_b64 s[0:1], s[2:3]
; %bb.142:
	v_add_u32_e32 v2, v14, v17
	s_or_b64 s[8:9], s[8:9], exec
; %bb.143:
	s_or_b64 exec, exec, s[0:1]
.LBB1757_144:
	s_and_saveexec_b64 s[0:1], s[8:9]
	s_cbranch_execnz .LBB1757_146
; %bb.145:
	s_endpgm
.LBB1757_146:
	v_lshlrev_b32_e32 v0, 2, v10
	ds_read_b32 v1, v0
	s_waitcnt lgkmcnt(0)
	v_add_u32_e32 v1, v1, v2
	global_store_dword v0, v1, s[22:23]
	s_endpgm
	.section	.rodata,"a",@progbits
	.p2align	6, 0x0
	.amdhsa_kernel _ZN7rocprim17ROCPRIM_400000_NS6detail17trampoline_kernelINS0_14default_configENS1_35radix_sort_onesweep_config_selectorIiNS0_10empty_typeEEEZZNS1_29radix_sort_onesweep_iterationIS3_Lb0EN6thrust23THRUST_200600_302600_NS6detail15normal_iteratorINS9_10device_ptrIiEEEESE_PS5_SF_jNS0_19identity_decomposerENS1_16block_id_wrapperIjLb1EEEEE10hipError_tT1_PNSt15iterator_traitsISK_E10value_typeET2_T3_PNSL_ISQ_E10value_typeET4_T5_PSV_SW_PNS1_23onesweep_lookback_stateEbbT6_jjT7_P12ihipStream_tbENKUlT_T0_SK_SP_E_clISE_PiSF_SF_EEDaS13_S14_SK_SP_EUlS13_E_NS1_11comp_targetILNS1_3genE5ELNS1_11target_archE942ELNS1_3gpuE9ELNS1_3repE0EEENS1_47radix_sort_onesweep_sort_config_static_selectorELNS0_4arch9wavefront6targetE1EEEvSK_
		.amdhsa_group_segment_fixed_size 20552
		.amdhsa_private_segment_fixed_size 0
		.amdhsa_kernarg_size 344
		.amdhsa_user_sgpr_count 2
		.amdhsa_user_sgpr_dispatch_ptr 0
		.amdhsa_user_sgpr_queue_ptr 0
		.amdhsa_user_sgpr_kernarg_segment_ptr 1
		.amdhsa_user_sgpr_dispatch_id 0
		.amdhsa_user_sgpr_kernarg_preload_length 0
		.amdhsa_user_sgpr_kernarg_preload_offset 0
		.amdhsa_user_sgpr_private_segment_size 0
		.amdhsa_uses_dynamic_stack 0
		.amdhsa_enable_private_segment 0
		.amdhsa_system_sgpr_workgroup_id_x 1
		.amdhsa_system_sgpr_workgroup_id_y 0
		.amdhsa_system_sgpr_workgroup_id_z 0
		.amdhsa_system_sgpr_workgroup_info 0
		.amdhsa_system_vgpr_workitem_id 2
		.amdhsa_next_free_vgpr 46
		.amdhsa_next_free_sgpr 44
		.amdhsa_accum_offset 48
		.amdhsa_reserve_vcc 1
		.amdhsa_float_round_mode_32 0
		.amdhsa_float_round_mode_16_64 0
		.amdhsa_float_denorm_mode_32 3
		.amdhsa_float_denorm_mode_16_64 3
		.amdhsa_dx10_clamp 1
		.amdhsa_ieee_mode 1
		.amdhsa_fp16_overflow 0
		.amdhsa_tg_split 0
		.amdhsa_exception_fp_ieee_invalid_op 0
		.amdhsa_exception_fp_denorm_src 0
		.amdhsa_exception_fp_ieee_div_zero 0
		.amdhsa_exception_fp_ieee_overflow 0
		.amdhsa_exception_fp_ieee_underflow 0
		.amdhsa_exception_fp_ieee_inexact 0
		.amdhsa_exception_int_div_zero 0
	.end_amdhsa_kernel
	.section	.text._ZN7rocprim17ROCPRIM_400000_NS6detail17trampoline_kernelINS0_14default_configENS1_35radix_sort_onesweep_config_selectorIiNS0_10empty_typeEEEZZNS1_29radix_sort_onesweep_iterationIS3_Lb0EN6thrust23THRUST_200600_302600_NS6detail15normal_iteratorINS9_10device_ptrIiEEEESE_PS5_SF_jNS0_19identity_decomposerENS1_16block_id_wrapperIjLb1EEEEE10hipError_tT1_PNSt15iterator_traitsISK_E10value_typeET2_T3_PNSL_ISQ_E10value_typeET4_T5_PSV_SW_PNS1_23onesweep_lookback_stateEbbT6_jjT7_P12ihipStream_tbENKUlT_T0_SK_SP_E_clISE_PiSF_SF_EEDaS13_S14_SK_SP_EUlS13_E_NS1_11comp_targetILNS1_3genE5ELNS1_11target_archE942ELNS1_3gpuE9ELNS1_3repE0EEENS1_47radix_sort_onesweep_sort_config_static_selectorELNS0_4arch9wavefront6targetE1EEEvSK_,"axG",@progbits,_ZN7rocprim17ROCPRIM_400000_NS6detail17trampoline_kernelINS0_14default_configENS1_35radix_sort_onesweep_config_selectorIiNS0_10empty_typeEEEZZNS1_29radix_sort_onesweep_iterationIS3_Lb0EN6thrust23THRUST_200600_302600_NS6detail15normal_iteratorINS9_10device_ptrIiEEEESE_PS5_SF_jNS0_19identity_decomposerENS1_16block_id_wrapperIjLb1EEEEE10hipError_tT1_PNSt15iterator_traitsISK_E10value_typeET2_T3_PNSL_ISQ_E10value_typeET4_T5_PSV_SW_PNS1_23onesweep_lookback_stateEbbT6_jjT7_P12ihipStream_tbENKUlT_T0_SK_SP_E_clISE_PiSF_SF_EEDaS13_S14_SK_SP_EUlS13_E_NS1_11comp_targetILNS1_3genE5ELNS1_11target_archE942ELNS1_3gpuE9ELNS1_3repE0EEENS1_47radix_sort_onesweep_sort_config_static_selectorELNS0_4arch9wavefront6targetE1EEEvSK_,comdat
.Lfunc_end1757:
	.size	_ZN7rocprim17ROCPRIM_400000_NS6detail17trampoline_kernelINS0_14default_configENS1_35radix_sort_onesweep_config_selectorIiNS0_10empty_typeEEEZZNS1_29radix_sort_onesweep_iterationIS3_Lb0EN6thrust23THRUST_200600_302600_NS6detail15normal_iteratorINS9_10device_ptrIiEEEESE_PS5_SF_jNS0_19identity_decomposerENS1_16block_id_wrapperIjLb1EEEEE10hipError_tT1_PNSt15iterator_traitsISK_E10value_typeET2_T3_PNSL_ISQ_E10value_typeET4_T5_PSV_SW_PNS1_23onesweep_lookback_stateEbbT6_jjT7_P12ihipStream_tbENKUlT_T0_SK_SP_E_clISE_PiSF_SF_EEDaS13_S14_SK_SP_EUlS13_E_NS1_11comp_targetILNS1_3genE5ELNS1_11target_archE942ELNS1_3gpuE9ELNS1_3repE0EEENS1_47radix_sort_onesweep_sort_config_static_selectorELNS0_4arch9wavefront6targetE1EEEvSK_, .Lfunc_end1757-_ZN7rocprim17ROCPRIM_400000_NS6detail17trampoline_kernelINS0_14default_configENS1_35radix_sort_onesweep_config_selectorIiNS0_10empty_typeEEEZZNS1_29radix_sort_onesweep_iterationIS3_Lb0EN6thrust23THRUST_200600_302600_NS6detail15normal_iteratorINS9_10device_ptrIiEEEESE_PS5_SF_jNS0_19identity_decomposerENS1_16block_id_wrapperIjLb1EEEEE10hipError_tT1_PNSt15iterator_traitsISK_E10value_typeET2_T3_PNSL_ISQ_E10value_typeET4_T5_PSV_SW_PNS1_23onesweep_lookback_stateEbbT6_jjT7_P12ihipStream_tbENKUlT_T0_SK_SP_E_clISE_PiSF_SF_EEDaS13_S14_SK_SP_EUlS13_E_NS1_11comp_targetILNS1_3genE5ELNS1_11target_archE942ELNS1_3gpuE9ELNS1_3repE0EEENS1_47radix_sort_onesweep_sort_config_static_selectorELNS0_4arch9wavefront6targetE1EEEvSK_
                                        ; -- End function
	.section	.AMDGPU.csdata,"",@progbits
; Kernel info:
; codeLenInByte = 11440
; NumSgprs: 50
; NumVgprs: 46
; NumAgprs: 0
; TotalNumVgprs: 46
; ScratchSize: 0
; MemoryBound: 0
; FloatMode: 240
; IeeeMode: 1
; LDSByteSize: 20552 bytes/workgroup (compile time only)
; SGPRBlocks: 6
; VGPRBlocks: 5
; NumSGPRsForWavesPerEU: 50
; NumVGPRsForWavesPerEU: 46
; AccumOffset: 48
; Occupancy: 8
; WaveLimiterHint : 1
; COMPUTE_PGM_RSRC2:SCRATCH_EN: 0
; COMPUTE_PGM_RSRC2:USER_SGPR: 2
; COMPUTE_PGM_RSRC2:TRAP_HANDLER: 0
; COMPUTE_PGM_RSRC2:TGID_X_EN: 1
; COMPUTE_PGM_RSRC2:TGID_Y_EN: 0
; COMPUTE_PGM_RSRC2:TGID_Z_EN: 0
; COMPUTE_PGM_RSRC2:TIDIG_COMP_CNT: 2
; COMPUTE_PGM_RSRC3_GFX90A:ACCUM_OFFSET: 11
; COMPUTE_PGM_RSRC3_GFX90A:TG_SPLIT: 0
	.section	.text._ZN7rocprim17ROCPRIM_400000_NS6detail17trampoline_kernelINS0_14default_configENS1_35radix_sort_onesweep_config_selectorIiNS0_10empty_typeEEEZZNS1_29radix_sort_onesweep_iterationIS3_Lb0EN6thrust23THRUST_200600_302600_NS6detail15normal_iteratorINS9_10device_ptrIiEEEESE_PS5_SF_jNS0_19identity_decomposerENS1_16block_id_wrapperIjLb1EEEEE10hipError_tT1_PNSt15iterator_traitsISK_E10value_typeET2_T3_PNSL_ISQ_E10value_typeET4_T5_PSV_SW_PNS1_23onesweep_lookback_stateEbbT6_jjT7_P12ihipStream_tbENKUlT_T0_SK_SP_E_clISE_PiSF_SF_EEDaS13_S14_SK_SP_EUlS13_E_NS1_11comp_targetILNS1_3genE2ELNS1_11target_archE906ELNS1_3gpuE6ELNS1_3repE0EEENS1_47radix_sort_onesweep_sort_config_static_selectorELNS0_4arch9wavefront6targetE1EEEvSK_,"axG",@progbits,_ZN7rocprim17ROCPRIM_400000_NS6detail17trampoline_kernelINS0_14default_configENS1_35radix_sort_onesweep_config_selectorIiNS0_10empty_typeEEEZZNS1_29radix_sort_onesweep_iterationIS3_Lb0EN6thrust23THRUST_200600_302600_NS6detail15normal_iteratorINS9_10device_ptrIiEEEESE_PS5_SF_jNS0_19identity_decomposerENS1_16block_id_wrapperIjLb1EEEEE10hipError_tT1_PNSt15iterator_traitsISK_E10value_typeET2_T3_PNSL_ISQ_E10value_typeET4_T5_PSV_SW_PNS1_23onesweep_lookback_stateEbbT6_jjT7_P12ihipStream_tbENKUlT_T0_SK_SP_E_clISE_PiSF_SF_EEDaS13_S14_SK_SP_EUlS13_E_NS1_11comp_targetILNS1_3genE2ELNS1_11target_archE906ELNS1_3gpuE6ELNS1_3repE0EEENS1_47radix_sort_onesweep_sort_config_static_selectorELNS0_4arch9wavefront6targetE1EEEvSK_,comdat
	.protected	_ZN7rocprim17ROCPRIM_400000_NS6detail17trampoline_kernelINS0_14default_configENS1_35radix_sort_onesweep_config_selectorIiNS0_10empty_typeEEEZZNS1_29radix_sort_onesweep_iterationIS3_Lb0EN6thrust23THRUST_200600_302600_NS6detail15normal_iteratorINS9_10device_ptrIiEEEESE_PS5_SF_jNS0_19identity_decomposerENS1_16block_id_wrapperIjLb1EEEEE10hipError_tT1_PNSt15iterator_traitsISK_E10value_typeET2_T3_PNSL_ISQ_E10value_typeET4_T5_PSV_SW_PNS1_23onesweep_lookback_stateEbbT6_jjT7_P12ihipStream_tbENKUlT_T0_SK_SP_E_clISE_PiSF_SF_EEDaS13_S14_SK_SP_EUlS13_E_NS1_11comp_targetILNS1_3genE2ELNS1_11target_archE906ELNS1_3gpuE6ELNS1_3repE0EEENS1_47radix_sort_onesweep_sort_config_static_selectorELNS0_4arch9wavefront6targetE1EEEvSK_ ; -- Begin function _ZN7rocprim17ROCPRIM_400000_NS6detail17trampoline_kernelINS0_14default_configENS1_35radix_sort_onesweep_config_selectorIiNS0_10empty_typeEEEZZNS1_29radix_sort_onesweep_iterationIS3_Lb0EN6thrust23THRUST_200600_302600_NS6detail15normal_iteratorINS9_10device_ptrIiEEEESE_PS5_SF_jNS0_19identity_decomposerENS1_16block_id_wrapperIjLb1EEEEE10hipError_tT1_PNSt15iterator_traitsISK_E10value_typeET2_T3_PNSL_ISQ_E10value_typeET4_T5_PSV_SW_PNS1_23onesweep_lookback_stateEbbT6_jjT7_P12ihipStream_tbENKUlT_T0_SK_SP_E_clISE_PiSF_SF_EEDaS13_S14_SK_SP_EUlS13_E_NS1_11comp_targetILNS1_3genE2ELNS1_11target_archE906ELNS1_3gpuE6ELNS1_3repE0EEENS1_47radix_sort_onesweep_sort_config_static_selectorELNS0_4arch9wavefront6targetE1EEEvSK_
	.globl	_ZN7rocprim17ROCPRIM_400000_NS6detail17trampoline_kernelINS0_14default_configENS1_35radix_sort_onesweep_config_selectorIiNS0_10empty_typeEEEZZNS1_29radix_sort_onesweep_iterationIS3_Lb0EN6thrust23THRUST_200600_302600_NS6detail15normal_iteratorINS9_10device_ptrIiEEEESE_PS5_SF_jNS0_19identity_decomposerENS1_16block_id_wrapperIjLb1EEEEE10hipError_tT1_PNSt15iterator_traitsISK_E10value_typeET2_T3_PNSL_ISQ_E10value_typeET4_T5_PSV_SW_PNS1_23onesweep_lookback_stateEbbT6_jjT7_P12ihipStream_tbENKUlT_T0_SK_SP_E_clISE_PiSF_SF_EEDaS13_S14_SK_SP_EUlS13_E_NS1_11comp_targetILNS1_3genE2ELNS1_11target_archE906ELNS1_3gpuE6ELNS1_3repE0EEENS1_47radix_sort_onesweep_sort_config_static_selectorELNS0_4arch9wavefront6targetE1EEEvSK_
	.p2align	8
	.type	_ZN7rocprim17ROCPRIM_400000_NS6detail17trampoline_kernelINS0_14default_configENS1_35radix_sort_onesweep_config_selectorIiNS0_10empty_typeEEEZZNS1_29radix_sort_onesweep_iterationIS3_Lb0EN6thrust23THRUST_200600_302600_NS6detail15normal_iteratorINS9_10device_ptrIiEEEESE_PS5_SF_jNS0_19identity_decomposerENS1_16block_id_wrapperIjLb1EEEEE10hipError_tT1_PNSt15iterator_traitsISK_E10value_typeET2_T3_PNSL_ISQ_E10value_typeET4_T5_PSV_SW_PNS1_23onesweep_lookback_stateEbbT6_jjT7_P12ihipStream_tbENKUlT_T0_SK_SP_E_clISE_PiSF_SF_EEDaS13_S14_SK_SP_EUlS13_E_NS1_11comp_targetILNS1_3genE2ELNS1_11target_archE906ELNS1_3gpuE6ELNS1_3repE0EEENS1_47radix_sort_onesweep_sort_config_static_selectorELNS0_4arch9wavefront6targetE1EEEvSK_,@function
_ZN7rocprim17ROCPRIM_400000_NS6detail17trampoline_kernelINS0_14default_configENS1_35radix_sort_onesweep_config_selectorIiNS0_10empty_typeEEEZZNS1_29radix_sort_onesweep_iterationIS3_Lb0EN6thrust23THRUST_200600_302600_NS6detail15normal_iteratorINS9_10device_ptrIiEEEESE_PS5_SF_jNS0_19identity_decomposerENS1_16block_id_wrapperIjLb1EEEEE10hipError_tT1_PNSt15iterator_traitsISK_E10value_typeET2_T3_PNSL_ISQ_E10value_typeET4_T5_PSV_SW_PNS1_23onesweep_lookback_stateEbbT6_jjT7_P12ihipStream_tbENKUlT_T0_SK_SP_E_clISE_PiSF_SF_EEDaS13_S14_SK_SP_EUlS13_E_NS1_11comp_targetILNS1_3genE2ELNS1_11target_archE906ELNS1_3gpuE6ELNS1_3repE0EEENS1_47radix_sort_onesweep_sort_config_static_selectorELNS0_4arch9wavefront6targetE1EEEvSK_: ; @_ZN7rocprim17ROCPRIM_400000_NS6detail17trampoline_kernelINS0_14default_configENS1_35radix_sort_onesweep_config_selectorIiNS0_10empty_typeEEEZZNS1_29radix_sort_onesweep_iterationIS3_Lb0EN6thrust23THRUST_200600_302600_NS6detail15normal_iteratorINS9_10device_ptrIiEEEESE_PS5_SF_jNS0_19identity_decomposerENS1_16block_id_wrapperIjLb1EEEEE10hipError_tT1_PNSt15iterator_traitsISK_E10value_typeET2_T3_PNSL_ISQ_E10value_typeET4_T5_PSV_SW_PNS1_23onesweep_lookback_stateEbbT6_jjT7_P12ihipStream_tbENKUlT_T0_SK_SP_E_clISE_PiSF_SF_EEDaS13_S14_SK_SP_EUlS13_E_NS1_11comp_targetILNS1_3genE2ELNS1_11target_archE906ELNS1_3gpuE6ELNS1_3repE0EEENS1_47radix_sort_onesweep_sort_config_static_selectorELNS0_4arch9wavefront6targetE1EEEvSK_
; %bb.0:
	.section	.rodata,"a",@progbits
	.p2align	6, 0x0
	.amdhsa_kernel _ZN7rocprim17ROCPRIM_400000_NS6detail17trampoline_kernelINS0_14default_configENS1_35radix_sort_onesweep_config_selectorIiNS0_10empty_typeEEEZZNS1_29radix_sort_onesweep_iterationIS3_Lb0EN6thrust23THRUST_200600_302600_NS6detail15normal_iteratorINS9_10device_ptrIiEEEESE_PS5_SF_jNS0_19identity_decomposerENS1_16block_id_wrapperIjLb1EEEEE10hipError_tT1_PNSt15iterator_traitsISK_E10value_typeET2_T3_PNSL_ISQ_E10value_typeET4_T5_PSV_SW_PNS1_23onesweep_lookback_stateEbbT6_jjT7_P12ihipStream_tbENKUlT_T0_SK_SP_E_clISE_PiSF_SF_EEDaS13_S14_SK_SP_EUlS13_E_NS1_11comp_targetILNS1_3genE2ELNS1_11target_archE906ELNS1_3gpuE6ELNS1_3repE0EEENS1_47radix_sort_onesweep_sort_config_static_selectorELNS0_4arch9wavefront6targetE1EEEvSK_
		.amdhsa_group_segment_fixed_size 0
		.amdhsa_private_segment_fixed_size 0
		.amdhsa_kernarg_size 88
		.amdhsa_user_sgpr_count 2
		.amdhsa_user_sgpr_dispatch_ptr 0
		.amdhsa_user_sgpr_queue_ptr 0
		.amdhsa_user_sgpr_kernarg_segment_ptr 1
		.amdhsa_user_sgpr_dispatch_id 0
		.amdhsa_user_sgpr_kernarg_preload_length 0
		.amdhsa_user_sgpr_kernarg_preload_offset 0
		.amdhsa_user_sgpr_private_segment_size 0
		.amdhsa_uses_dynamic_stack 0
		.amdhsa_enable_private_segment 0
		.amdhsa_system_sgpr_workgroup_id_x 1
		.amdhsa_system_sgpr_workgroup_id_y 0
		.amdhsa_system_sgpr_workgroup_id_z 0
		.amdhsa_system_sgpr_workgroup_info 0
		.amdhsa_system_vgpr_workitem_id 0
		.amdhsa_next_free_vgpr 1
		.amdhsa_next_free_sgpr 0
		.amdhsa_accum_offset 4
		.amdhsa_reserve_vcc 0
		.amdhsa_float_round_mode_32 0
		.amdhsa_float_round_mode_16_64 0
		.amdhsa_float_denorm_mode_32 3
		.amdhsa_float_denorm_mode_16_64 3
		.amdhsa_dx10_clamp 1
		.amdhsa_ieee_mode 1
		.amdhsa_fp16_overflow 0
		.amdhsa_tg_split 0
		.amdhsa_exception_fp_ieee_invalid_op 0
		.amdhsa_exception_fp_denorm_src 0
		.amdhsa_exception_fp_ieee_div_zero 0
		.amdhsa_exception_fp_ieee_overflow 0
		.amdhsa_exception_fp_ieee_underflow 0
		.amdhsa_exception_fp_ieee_inexact 0
		.amdhsa_exception_int_div_zero 0
	.end_amdhsa_kernel
	.section	.text._ZN7rocprim17ROCPRIM_400000_NS6detail17trampoline_kernelINS0_14default_configENS1_35radix_sort_onesweep_config_selectorIiNS0_10empty_typeEEEZZNS1_29radix_sort_onesweep_iterationIS3_Lb0EN6thrust23THRUST_200600_302600_NS6detail15normal_iteratorINS9_10device_ptrIiEEEESE_PS5_SF_jNS0_19identity_decomposerENS1_16block_id_wrapperIjLb1EEEEE10hipError_tT1_PNSt15iterator_traitsISK_E10value_typeET2_T3_PNSL_ISQ_E10value_typeET4_T5_PSV_SW_PNS1_23onesweep_lookback_stateEbbT6_jjT7_P12ihipStream_tbENKUlT_T0_SK_SP_E_clISE_PiSF_SF_EEDaS13_S14_SK_SP_EUlS13_E_NS1_11comp_targetILNS1_3genE2ELNS1_11target_archE906ELNS1_3gpuE6ELNS1_3repE0EEENS1_47radix_sort_onesweep_sort_config_static_selectorELNS0_4arch9wavefront6targetE1EEEvSK_,"axG",@progbits,_ZN7rocprim17ROCPRIM_400000_NS6detail17trampoline_kernelINS0_14default_configENS1_35radix_sort_onesweep_config_selectorIiNS0_10empty_typeEEEZZNS1_29radix_sort_onesweep_iterationIS3_Lb0EN6thrust23THRUST_200600_302600_NS6detail15normal_iteratorINS9_10device_ptrIiEEEESE_PS5_SF_jNS0_19identity_decomposerENS1_16block_id_wrapperIjLb1EEEEE10hipError_tT1_PNSt15iterator_traitsISK_E10value_typeET2_T3_PNSL_ISQ_E10value_typeET4_T5_PSV_SW_PNS1_23onesweep_lookback_stateEbbT6_jjT7_P12ihipStream_tbENKUlT_T0_SK_SP_E_clISE_PiSF_SF_EEDaS13_S14_SK_SP_EUlS13_E_NS1_11comp_targetILNS1_3genE2ELNS1_11target_archE906ELNS1_3gpuE6ELNS1_3repE0EEENS1_47radix_sort_onesweep_sort_config_static_selectorELNS0_4arch9wavefront6targetE1EEEvSK_,comdat
.Lfunc_end1758:
	.size	_ZN7rocprim17ROCPRIM_400000_NS6detail17trampoline_kernelINS0_14default_configENS1_35radix_sort_onesweep_config_selectorIiNS0_10empty_typeEEEZZNS1_29radix_sort_onesweep_iterationIS3_Lb0EN6thrust23THRUST_200600_302600_NS6detail15normal_iteratorINS9_10device_ptrIiEEEESE_PS5_SF_jNS0_19identity_decomposerENS1_16block_id_wrapperIjLb1EEEEE10hipError_tT1_PNSt15iterator_traitsISK_E10value_typeET2_T3_PNSL_ISQ_E10value_typeET4_T5_PSV_SW_PNS1_23onesweep_lookback_stateEbbT6_jjT7_P12ihipStream_tbENKUlT_T0_SK_SP_E_clISE_PiSF_SF_EEDaS13_S14_SK_SP_EUlS13_E_NS1_11comp_targetILNS1_3genE2ELNS1_11target_archE906ELNS1_3gpuE6ELNS1_3repE0EEENS1_47radix_sort_onesweep_sort_config_static_selectorELNS0_4arch9wavefront6targetE1EEEvSK_, .Lfunc_end1758-_ZN7rocprim17ROCPRIM_400000_NS6detail17trampoline_kernelINS0_14default_configENS1_35radix_sort_onesweep_config_selectorIiNS0_10empty_typeEEEZZNS1_29radix_sort_onesweep_iterationIS3_Lb0EN6thrust23THRUST_200600_302600_NS6detail15normal_iteratorINS9_10device_ptrIiEEEESE_PS5_SF_jNS0_19identity_decomposerENS1_16block_id_wrapperIjLb1EEEEE10hipError_tT1_PNSt15iterator_traitsISK_E10value_typeET2_T3_PNSL_ISQ_E10value_typeET4_T5_PSV_SW_PNS1_23onesweep_lookback_stateEbbT6_jjT7_P12ihipStream_tbENKUlT_T0_SK_SP_E_clISE_PiSF_SF_EEDaS13_S14_SK_SP_EUlS13_E_NS1_11comp_targetILNS1_3genE2ELNS1_11target_archE906ELNS1_3gpuE6ELNS1_3repE0EEENS1_47radix_sort_onesweep_sort_config_static_selectorELNS0_4arch9wavefront6targetE1EEEvSK_
                                        ; -- End function
	.section	.AMDGPU.csdata,"",@progbits
; Kernel info:
; codeLenInByte = 0
; NumSgprs: 6
; NumVgprs: 0
; NumAgprs: 0
; TotalNumVgprs: 0
; ScratchSize: 0
; MemoryBound: 0
; FloatMode: 240
; IeeeMode: 1
; LDSByteSize: 0 bytes/workgroup (compile time only)
; SGPRBlocks: 0
; VGPRBlocks: 0
; NumSGPRsForWavesPerEU: 6
; NumVGPRsForWavesPerEU: 1
; AccumOffset: 4
; Occupancy: 8
; WaveLimiterHint : 0
; COMPUTE_PGM_RSRC2:SCRATCH_EN: 0
; COMPUTE_PGM_RSRC2:USER_SGPR: 2
; COMPUTE_PGM_RSRC2:TRAP_HANDLER: 0
; COMPUTE_PGM_RSRC2:TGID_X_EN: 1
; COMPUTE_PGM_RSRC2:TGID_Y_EN: 0
; COMPUTE_PGM_RSRC2:TGID_Z_EN: 0
; COMPUTE_PGM_RSRC2:TIDIG_COMP_CNT: 0
; COMPUTE_PGM_RSRC3_GFX90A:ACCUM_OFFSET: 0
; COMPUTE_PGM_RSRC3_GFX90A:TG_SPLIT: 0
	.section	.text._ZN7rocprim17ROCPRIM_400000_NS6detail17trampoline_kernelINS0_14default_configENS1_35radix_sort_onesweep_config_selectorIiNS0_10empty_typeEEEZZNS1_29radix_sort_onesweep_iterationIS3_Lb0EN6thrust23THRUST_200600_302600_NS6detail15normal_iteratorINS9_10device_ptrIiEEEESE_PS5_SF_jNS0_19identity_decomposerENS1_16block_id_wrapperIjLb1EEEEE10hipError_tT1_PNSt15iterator_traitsISK_E10value_typeET2_T3_PNSL_ISQ_E10value_typeET4_T5_PSV_SW_PNS1_23onesweep_lookback_stateEbbT6_jjT7_P12ihipStream_tbENKUlT_T0_SK_SP_E_clISE_PiSF_SF_EEDaS13_S14_SK_SP_EUlS13_E_NS1_11comp_targetILNS1_3genE4ELNS1_11target_archE910ELNS1_3gpuE8ELNS1_3repE0EEENS1_47radix_sort_onesweep_sort_config_static_selectorELNS0_4arch9wavefront6targetE1EEEvSK_,"axG",@progbits,_ZN7rocprim17ROCPRIM_400000_NS6detail17trampoline_kernelINS0_14default_configENS1_35radix_sort_onesweep_config_selectorIiNS0_10empty_typeEEEZZNS1_29radix_sort_onesweep_iterationIS3_Lb0EN6thrust23THRUST_200600_302600_NS6detail15normal_iteratorINS9_10device_ptrIiEEEESE_PS5_SF_jNS0_19identity_decomposerENS1_16block_id_wrapperIjLb1EEEEE10hipError_tT1_PNSt15iterator_traitsISK_E10value_typeET2_T3_PNSL_ISQ_E10value_typeET4_T5_PSV_SW_PNS1_23onesweep_lookback_stateEbbT6_jjT7_P12ihipStream_tbENKUlT_T0_SK_SP_E_clISE_PiSF_SF_EEDaS13_S14_SK_SP_EUlS13_E_NS1_11comp_targetILNS1_3genE4ELNS1_11target_archE910ELNS1_3gpuE8ELNS1_3repE0EEENS1_47radix_sort_onesweep_sort_config_static_selectorELNS0_4arch9wavefront6targetE1EEEvSK_,comdat
	.protected	_ZN7rocprim17ROCPRIM_400000_NS6detail17trampoline_kernelINS0_14default_configENS1_35radix_sort_onesweep_config_selectorIiNS0_10empty_typeEEEZZNS1_29radix_sort_onesweep_iterationIS3_Lb0EN6thrust23THRUST_200600_302600_NS6detail15normal_iteratorINS9_10device_ptrIiEEEESE_PS5_SF_jNS0_19identity_decomposerENS1_16block_id_wrapperIjLb1EEEEE10hipError_tT1_PNSt15iterator_traitsISK_E10value_typeET2_T3_PNSL_ISQ_E10value_typeET4_T5_PSV_SW_PNS1_23onesweep_lookback_stateEbbT6_jjT7_P12ihipStream_tbENKUlT_T0_SK_SP_E_clISE_PiSF_SF_EEDaS13_S14_SK_SP_EUlS13_E_NS1_11comp_targetILNS1_3genE4ELNS1_11target_archE910ELNS1_3gpuE8ELNS1_3repE0EEENS1_47radix_sort_onesweep_sort_config_static_selectorELNS0_4arch9wavefront6targetE1EEEvSK_ ; -- Begin function _ZN7rocprim17ROCPRIM_400000_NS6detail17trampoline_kernelINS0_14default_configENS1_35radix_sort_onesweep_config_selectorIiNS0_10empty_typeEEEZZNS1_29radix_sort_onesweep_iterationIS3_Lb0EN6thrust23THRUST_200600_302600_NS6detail15normal_iteratorINS9_10device_ptrIiEEEESE_PS5_SF_jNS0_19identity_decomposerENS1_16block_id_wrapperIjLb1EEEEE10hipError_tT1_PNSt15iterator_traitsISK_E10value_typeET2_T3_PNSL_ISQ_E10value_typeET4_T5_PSV_SW_PNS1_23onesweep_lookback_stateEbbT6_jjT7_P12ihipStream_tbENKUlT_T0_SK_SP_E_clISE_PiSF_SF_EEDaS13_S14_SK_SP_EUlS13_E_NS1_11comp_targetILNS1_3genE4ELNS1_11target_archE910ELNS1_3gpuE8ELNS1_3repE0EEENS1_47radix_sort_onesweep_sort_config_static_selectorELNS0_4arch9wavefront6targetE1EEEvSK_
	.globl	_ZN7rocprim17ROCPRIM_400000_NS6detail17trampoline_kernelINS0_14default_configENS1_35radix_sort_onesweep_config_selectorIiNS0_10empty_typeEEEZZNS1_29radix_sort_onesweep_iterationIS3_Lb0EN6thrust23THRUST_200600_302600_NS6detail15normal_iteratorINS9_10device_ptrIiEEEESE_PS5_SF_jNS0_19identity_decomposerENS1_16block_id_wrapperIjLb1EEEEE10hipError_tT1_PNSt15iterator_traitsISK_E10value_typeET2_T3_PNSL_ISQ_E10value_typeET4_T5_PSV_SW_PNS1_23onesweep_lookback_stateEbbT6_jjT7_P12ihipStream_tbENKUlT_T0_SK_SP_E_clISE_PiSF_SF_EEDaS13_S14_SK_SP_EUlS13_E_NS1_11comp_targetILNS1_3genE4ELNS1_11target_archE910ELNS1_3gpuE8ELNS1_3repE0EEENS1_47radix_sort_onesweep_sort_config_static_selectorELNS0_4arch9wavefront6targetE1EEEvSK_
	.p2align	8
	.type	_ZN7rocprim17ROCPRIM_400000_NS6detail17trampoline_kernelINS0_14default_configENS1_35radix_sort_onesweep_config_selectorIiNS0_10empty_typeEEEZZNS1_29radix_sort_onesweep_iterationIS3_Lb0EN6thrust23THRUST_200600_302600_NS6detail15normal_iteratorINS9_10device_ptrIiEEEESE_PS5_SF_jNS0_19identity_decomposerENS1_16block_id_wrapperIjLb1EEEEE10hipError_tT1_PNSt15iterator_traitsISK_E10value_typeET2_T3_PNSL_ISQ_E10value_typeET4_T5_PSV_SW_PNS1_23onesweep_lookback_stateEbbT6_jjT7_P12ihipStream_tbENKUlT_T0_SK_SP_E_clISE_PiSF_SF_EEDaS13_S14_SK_SP_EUlS13_E_NS1_11comp_targetILNS1_3genE4ELNS1_11target_archE910ELNS1_3gpuE8ELNS1_3repE0EEENS1_47radix_sort_onesweep_sort_config_static_selectorELNS0_4arch9wavefront6targetE1EEEvSK_,@function
_ZN7rocprim17ROCPRIM_400000_NS6detail17trampoline_kernelINS0_14default_configENS1_35radix_sort_onesweep_config_selectorIiNS0_10empty_typeEEEZZNS1_29radix_sort_onesweep_iterationIS3_Lb0EN6thrust23THRUST_200600_302600_NS6detail15normal_iteratorINS9_10device_ptrIiEEEESE_PS5_SF_jNS0_19identity_decomposerENS1_16block_id_wrapperIjLb1EEEEE10hipError_tT1_PNSt15iterator_traitsISK_E10value_typeET2_T3_PNSL_ISQ_E10value_typeET4_T5_PSV_SW_PNS1_23onesweep_lookback_stateEbbT6_jjT7_P12ihipStream_tbENKUlT_T0_SK_SP_E_clISE_PiSF_SF_EEDaS13_S14_SK_SP_EUlS13_E_NS1_11comp_targetILNS1_3genE4ELNS1_11target_archE910ELNS1_3gpuE8ELNS1_3repE0EEENS1_47radix_sort_onesweep_sort_config_static_selectorELNS0_4arch9wavefront6targetE1EEEvSK_: ; @_ZN7rocprim17ROCPRIM_400000_NS6detail17trampoline_kernelINS0_14default_configENS1_35radix_sort_onesweep_config_selectorIiNS0_10empty_typeEEEZZNS1_29radix_sort_onesweep_iterationIS3_Lb0EN6thrust23THRUST_200600_302600_NS6detail15normal_iteratorINS9_10device_ptrIiEEEESE_PS5_SF_jNS0_19identity_decomposerENS1_16block_id_wrapperIjLb1EEEEE10hipError_tT1_PNSt15iterator_traitsISK_E10value_typeET2_T3_PNSL_ISQ_E10value_typeET4_T5_PSV_SW_PNS1_23onesweep_lookback_stateEbbT6_jjT7_P12ihipStream_tbENKUlT_T0_SK_SP_E_clISE_PiSF_SF_EEDaS13_S14_SK_SP_EUlS13_E_NS1_11comp_targetILNS1_3genE4ELNS1_11target_archE910ELNS1_3gpuE8ELNS1_3repE0EEENS1_47radix_sort_onesweep_sort_config_static_selectorELNS0_4arch9wavefront6targetE1EEEvSK_
; %bb.0:
	.section	.rodata,"a",@progbits
	.p2align	6, 0x0
	.amdhsa_kernel _ZN7rocprim17ROCPRIM_400000_NS6detail17trampoline_kernelINS0_14default_configENS1_35radix_sort_onesweep_config_selectorIiNS0_10empty_typeEEEZZNS1_29radix_sort_onesweep_iterationIS3_Lb0EN6thrust23THRUST_200600_302600_NS6detail15normal_iteratorINS9_10device_ptrIiEEEESE_PS5_SF_jNS0_19identity_decomposerENS1_16block_id_wrapperIjLb1EEEEE10hipError_tT1_PNSt15iterator_traitsISK_E10value_typeET2_T3_PNSL_ISQ_E10value_typeET4_T5_PSV_SW_PNS1_23onesweep_lookback_stateEbbT6_jjT7_P12ihipStream_tbENKUlT_T0_SK_SP_E_clISE_PiSF_SF_EEDaS13_S14_SK_SP_EUlS13_E_NS1_11comp_targetILNS1_3genE4ELNS1_11target_archE910ELNS1_3gpuE8ELNS1_3repE0EEENS1_47radix_sort_onesweep_sort_config_static_selectorELNS0_4arch9wavefront6targetE1EEEvSK_
		.amdhsa_group_segment_fixed_size 0
		.amdhsa_private_segment_fixed_size 0
		.amdhsa_kernarg_size 88
		.amdhsa_user_sgpr_count 2
		.amdhsa_user_sgpr_dispatch_ptr 0
		.amdhsa_user_sgpr_queue_ptr 0
		.amdhsa_user_sgpr_kernarg_segment_ptr 1
		.amdhsa_user_sgpr_dispatch_id 0
		.amdhsa_user_sgpr_kernarg_preload_length 0
		.amdhsa_user_sgpr_kernarg_preload_offset 0
		.amdhsa_user_sgpr_private_segment_size 0
		.amdhsa_uses_dynamic_stack 0
		.amdhsa_enable_private_segment 0
		.amdhsa_system_sgpr_workgroup_id_x 1
		.amdhsa_system_sgpr_workgroup_id_y 0
		.amdhsa_system_sgpr_workgroup_id_z 0
		.amdhsa_system_sgpr_workgroup_info 0
		.amdhsa_system_vgpr_workitem_id 0
		.amdhsa_next_free_vgpr 1
		.amdhsa_next_free_sgpr 0
		.amdhsa_accum_offset 4
		.amdhsa_reserve_vcc 0
		.amdhsa_float_round_mode_32 0
		.amdhsa_float_round_mode_16_64 0
		.amdhsa_float_denorm_mode_32 3
		.amdhsa_float_denorm_mode_16_64 3
		.amdhsa_dx10_clamp 1
		.amdhsa_ieee_mode 1
		.amdhsa_fp16_overflow 0
		.amdhsa_tg_split 0
		.amdhsa_exception_fp_ieee_invalid_op 0
		.amdhsa_exception_fp_denorm_src 0
		.amdhsa_exception_fp_ieee_div_zero 0
		.amdhsa_exception_fp_ieee_overflow 0
		.amdhsa_exception_fp_ieee_underflow 0
		.amdhsa_exception_fp_ieee_inexact 0
		.amdhsa_exception_int_div_zero 0
	.end_amdhsa_kernel
	.section	.text._ZN7rocprim17ROCPRIM_400000_NS6detail17trampoline_kernelINS0_14default_configENS1_35radix_sort_onesweep_config_selectorIiNS0_10empty_typeEEEZZNS1_29radix_sort_onesweep_iterationIS3_Lb0EN6thrust23THRUST_200600_302600_NS6detail15normal_iteratorINS9_10device_ptrIiEEEESE_PS5_SF_jNS0_19identity_decomposerENS1_16block_id_wrapperIjLb1EEEEE10hipError_tT1_PNSt15iterator_traitsISK_E10value_typeET2_T3_PNSL_ISQ_E10value_typeET4_T5_PSV_SW_PNS1_23onesweep_lookback_stateEbbT6_jjT7_P12ihipStream_tbENKUlT_T0_SK_SP_E_clISE_PiSF_SF_EEDaS13_S14_SK_SP_EUlS13_E_NS1_11comp_targetILNS1_3genE4ELNS1_11target_archE910ELNS1_3gpuE8ELNS1_3repE0EEENS1_47radix_sort_onesweep_sort_config_static_selectorELNS0_4arch9wavefront6targetE1EEEvSK_,"axG",@progbits,_ZN7rocprim17ROCPRIM_400000_NS6detail17trampoline_kernelINS0_14default_configENS1_35radix_sort_onesweep_config_selectorIiNS0_10empty_typeEEEZZNS1_29radix_sort_onesweep_iterationIS3_Lb0EN6thrust23THRUST_200600_302600_NS6detail15normal_iteratorINS9_10device_ptrIiEEEESE_PS5_SF_jNS0_19identity_decomposerENS1_16block_id_wrapperIjLb1EEEEE10hipError_tT1_PNSt15iterator_traitsISK_E10value_typeET2_T3_PNSL_ISQ_E10value_typeET4_T5_PSV_SW_PNS1_23onesweep_lookback_stateEbbT6_jjT7_P12ihipStream_tbENKUlT_T0_SK_SP_E_clISE_PiSF_SF_EEDaS13_S14_SK_SP_EUlS13_E_NS1_11comp_targetILNS1_3genE4ELNS1_11target_archE910ELNS1_3gpuE8ELNS1_3repE0EEENS1_47radix_sort_onesweep_sort_config_static_selectorELNS0_4arch9wavefront6targetE1EEEvSK_,comdat
.Lfunc_end1759:
	.size	_ZN7rocprim17ROCPRIM_400000_NS6detail17trampoline_kernelINS0_14default_configENS1_35radix_sort_onesweep_config_selectorIiNS0_10empty_typeEEEZZNS1_29radix_sort_onesweep_iterationIS3_Lb0EN6thrust23THRUST_200600_302600_NS6detail15normal_iteratorINS9_10device_ptrIiEEEESE_PS5_SF_jNS0_19identity_decomposerENS1_16block_id_wrapperIjLb1EEEEE10hipError_tT1_PNSt15iterator_traitsISK_E10value_typeET2_T3_PNSL_ISQ_E10value_typeET4_T5_PSV_SW_PNS1_23onesweep_lookback_stateEbbT6_jjT7_P12ihipStream_tbENKUlT_T0_SK_SP_E_clISE_PiSF_SF_EEDaS13_S14_SK_SP_EUlS13_E_NS1_11comp_targetILNS1_3genE4ELNS1_11target_archE910ELNS1_3gpuE8ELNS1_3repE0EEENS1_47radix_sort_onesweep_sort_config_static_selectorELNS0_4arch9wavefront6targetE1EEEvSK_, .Lfunc_end1759-_ZN7rocprim17ROCPRIM_400000_NS6detail17trampoline_kernelINS0_14default_configENS1_35radix_sort_onesweep_config_selectorIiNS0_10empty_typeEEEZZNS1_29radix_sort_onesweep_iterationIS3_Lb0EN6thrust23THRUST_200600_302600_NS6detail15normal_iteratorINS9_10device_ptrIiEEEESE_PS5_SF_jNS0_19identity_decomposerENS1_16block_id_wrapperIjLb1EEEEE10hipError_tT1_PNSt15iterator_traitsISK_E10value_typeET2_T3_PNSL_ISQ_E10value_typeET4_T5_PSV_SW_PNS1_23onesweep_lookback_stateEbbT6_jjT7_P12ihipStream_tbENKUlT_T0_SK_SP_E_clISE_PiSF_SF_EEDaS13_S14_SK_SP_EUlS13_E_NS1_11comp_targetILNS1_3genE4ELNS1_11target_archE910ELNS1_3gpuE8ELNS1_3repE0EEENS1_47radix_sort_onesweep_sort_config_static_selectorELNS0_4arch9wavefront6targetE1EEEvSK_
                                        ; -- End function
	.section	.AMDGPU.csdata,"",@progbits
; Kernel info:
; codeLenInByte = 0
; NumSgprs: 6
; NumVgprs: 0
; NumAgprs: 0
; TotalNumVgprs: 0
; ScratchSize: 0
; MemoryBound: 0
; FloatMode: 240
; IeeeMode: 1
; LDSByteSize: 0 bytes/workgroup (compile time only)
; SGPRBlocks: 0
; VGPRBlocks: 0
; NumSGPRsForWavesPerEU: 6
; NumVGPRsForWavesPerEU: 1
; AccumOffset: 4
; Occupancy: 8
; WaveLimiterHint : 0
; COMPUTE_PGM_RSRC2:SCRATCH_EN: 0
; COMPUTE_PGM_RSRC2:USER_SGPR: 2
; COMPUTE_PGM_RSRC2:TRAP_HANDLER: 0
; COMPUTE_PGM_RSRC2:TGID_X_EN: 1
; COMPUTE_PGM_RSRC2:TGID_Y_EN: 0
; COMPUTE_PGM_RSRC2:TGID_Z_EN: 0
; COMPUTE_PGM_RSRC2:TIDIG_COMP_CNT: 0
; COMPUTE_PGM_RSRC3_GFX90A:ACCUM_OFFSET: 0
; COMPUTE_PGM_RSRC3_GFX90A:TG_SPLIT: 0
	.section	.text._ZN7rocprim17ROCPRIM_400000_NS6detail17trampoline_kernelINS0_14default_configENS1_35radix_sort_onesweep_config_selectorIiNS0_10empty_typeEEEZZNS1_29radix_sort_onesweep_iterationIS3_Lb0EN6thrust23THRUST_200600_302600_NS6detail15normal_iteratorINS9_10device_ptrIiEEEESE_PS5_SF_jNS0_19identity_decomposerENS1_16block_id_wrapperIjLb1EEEEE10hipError_tT1_PNSt15iterator_traitsISK_E10value_typeET2_T3_PNSL_ISQ_E10value_typeET4_T5_PSV_SW_PNS1_23onesweep_lookback_stateEbbT6_jjT7_P12ihipStream_tbENKUlT_T0_SK_SP_E_clISE_PiSF_SF_EEDaS13_S14_SK_SP_EUlS13_E_NS1_11comp_targetILNS1_3genE3ELNS1_11target_archE908ELNS1_3gpuE7ELNS1_3repE0EEENS1_47radix_sort_onesweep_sort_config_static_selectorELNS0_4arch9wavefront6targetE1EEEvSK_,"axG",@progbits,_ZN7rocprim17ROCPRIM_400000_NS6detail17trampoline_kernelINS0_14default_configENS1_35radix_sort_onesweep_config_selectorIiNS0_10empty_typeEEEZZNS1_29radix_sort_onesweep_iterationIS3_Lb0EN6thrust23THRUST_200600_302600_NS6detail15normal_iteratorINS9_10device_ptrIiEEEESE_PS5_SF_jNS0_19identity_decomposerENS1_16block_id_wrapperIjLb1EEEEE10hipError_tT1_PNSt15iterator_traitsISK_E10value_typeET2_T3_PNSL_ISQ_E10value_typeET4_T5_PSV_SW_PNS1_23onesweep_lookback_stateEbbT6_jjT7_P12ihipStream_tbENKUlT_T0_SK_SP_E_clISE_PiSF_SF_EEDaS13_S14_SK_SP_EUlS13_E_NS1_11comp_targetILNS1_3genE3ELNS1_11target_archE908ELNS1_3gpuE7ELNS1_3repE0EEENS1_47radix_sort_onesweep_sort_config_static_selectorELNS0_4arch9wavefront6targetE1EEEvSK_,comdat
	.protected	_ZN7rocprim17ROCPRIM_400000_NS6detail17trampoline_kernelINS0_14default_configENS1_35radix_sort_onesweep_config_selectorIiNS0_10empty_typeEEEZZNS1_29radix_sort_onesweep_iterationIS3_Lb0EN6thrust23THRUST_200600_302600_NS6detail15normal_iteratorINS9_10device_ptrIiEEEESE_PS5_SF_jNS0_19identity_decomposerENS1_16block_id_wrapperIjLb1EEEEE10hipError_tT1_PNSt15iterator_traitsISK_E10value_typeET2_T3_PNSL_ISQ_E10value_typeET4_T5_PSV_SW_PNS1_23onesweep_lookback_stateEbbT6_jjT7_P12ihipStream_tbENKUlT_T0_SK_SP_E_clISE_PiSF_SF_EEDaS13_S14_SK_SP_EUlS13_E_NS1_11comp_targetILNS1_3genE3ELNS1_11target_archE908ELNS1_3gpuE7ELNS1_3repE0EEENS1_47radix_sort_onesweep_sort_config_static_selectorELNS0_4arch9wavefront6targetE1EEEvSK_ ; -- Begin function _ZN7rocprim17ROCPRIM_400000_NS6detail17trampoline_kernelINS0_14default_configENS1_35radix_sort_onesweep_config_selectorIiNS0_10empty_typeEEEZZNS1_29radix_sort_onesweep_iterationIS3_Lb0EN6thrust23THRUST_200600_302600_NS6detail15normal_iteratorINS9_10device_ptrIiEEEESE_PS5_SF_jNS0_19identity_decomposerENS1_16block_id_wrapperIjLb1EEEEE10hipError_tT1_PNSt15iterator_traitsISK_E10value_typeET2_T3_PNSL_ISQ_E10value_typeET4_T5_PSV_SW_PNS1_23onesweep_lookback_stateEbbT6_jjT7_P12ihipStream_tbENKUlT_T0_SK_SP_E_clISE_PiSF_SF_EEDaS13_S14_SK_SP_EUlS13_E_NS1_11comp_targetILNS1_3genE3ELNS1_11target_archE908ELNS1_3gpuE7ELNS1_3repE0EEENS1_47radix_sort_onesweep_sort_config_static_selectorELNS0_4arch9wavefront6targetE1EEEvSK_
	.globl	_ZN7rocprim17ROCPRIM_400000_NS6detail17trampoline_kernelINS0_14default_configENS1_35radix_sort_onesweep_config_selectorIiNS0_10empty_typeEEEZZNS1_29radix_sort_onesweep_iterationIS3_Lb0EN6thrust23THRUST_200600_302600_NS6detail15normal_iteratorINS9_10device_ptrIiEEEESE_PS5_SF_jNS0_19identity_decomposerENS1_16block_id_wrapperIjLb1EEEEE10hipError_tT1_PNSt15iterator_traitsISK_E10value_typeET2_T3_PNSL_ISQ_E10value_typeET4_T5_PSV_SW_PNS1_23onesweep_lookback_stateEbbT6_jjT7_P12ihipStream_tbENKUlT_T0_SK_SP_E_clISE_PiSF_SF_EEDaS13_S14_SK_SP_EUlS13_E_NS1_11comp_targetILNS1_3genE3ELNS1_11target_archE908ELNS1_3gpuE7ELNS1_3repE0EEENS1_47radix_sort_onesweep_sort_config_static_selectorELNS0_4arch9wavefront6targetE1EEEvSK_
	.p2align	8
	.type	_ZN7rocprim17ROCPRIM_400000_NS6detail17trampoline_kernelINS0_14default_configENS1_35radix_sort_onesweep_config_selectorIiNS0_10empty_typeEEEZZNS1_29radix_sort_onesweep_iterationIS3_Lb0EN6thrust23THRUST_200600_302600_NS6detail15normal_iteratorINS9_10device_ptrIiEEEESE_PS5_SF_jNS0_19identity_decomposerENS1_16block_id_wrapperIjLb1EEEEE10hipError_tT1_PNSt15iterator_traitsISK_E10value_typeET2_T3_PNSL_ISQ_E10value_typeET4_T5_PSV_SW_PNS1_23onesweep_lookback_stateEbbT6_jjT7_P12ihipStream_tbENKUlT_T0_SK_SP_E_clISE_PiSF_SF_EEDaS13_S14_SK_SP_EUlS13_E_NS1_11comp_targetILNS1_3genE3ELNS1_11target_archE908ELNS1_3gpuE7ELNS1_3repE0EEENS1_47radix_sort_onesweep_sort_config_static_selectorELNS0_4arch9wavefront6targetE1EEEvSK_,@function
_ZN7rocprim17ROCPRIM_400000_NS6detail17trampoline_kernelINS0_14default_configENS1_35radix_sort_onesweep_config_selectorIiNS0_10empty_typeEEEZZNS1_29radix_sort_onesweep_iterationIS3_Lb0EN6thrust23THRUST_200600_302600_NS6detail15normal_iteratorINS9_10device_ptrIiEEEESE_PS5_SF_jNS0_19identity_decomposerENS1_16block_id_wrapperIjLb1EEEEE10hipError_tT1_PNSt15iterator_traitsISK_E10value_typeET2_T3_PNSL_ISQ_E10value_typeET4_T5_PSV_SW_PNS1_23onesweep_lookback_stateEbbT6_jjT7_P12ihipStream_tbENKUlT_T0_SK_SP_E_clISE_PiSF_SF_EEDaS13_S14_SK_SP_EUlS13_E_NS1_11comp_targetILNS1_3genE3ELNS1_11target_archE908ELNS1_3gpuE7ELNS1_3repE0EEENS1_47radix_sort_onesweep_sort_config_static_selectorELNS0_4arch9wavefront6targetE1EEEvSK_: ; @_ZN7rocprim17ROCPRIM_400000_NS6detail17trampoline_kernelINS0_14default_configENS1_35radix_sort_onesweep_config_selectorIiNS0_10empty_typeEEEZZNS1_29radix_sort_onesweep_iterationIS3_Lb0EN6thrust23THRUST_200600_302600_NS6detail15normal_iteratorINS9_10device_ptrIiEEEESE_PS5_SF_jNS0_19identity_decomposerENS1_16block_id_wrapperIjLb1EEEEE10hipError_tT1_PNSt15iterator_traitsISK_E10value_typeET2_T3_PNSL_ISQ_E10value_typeET4_T5_PSV_SW_PNS1_23onesweep_lookback_stateEbbT6_jjT7_P12ihipStream_tbENKUlT_T0_SK_SP_E_clISE_PiSF_SF_EEDaS13_S14_SK_SP_EUlS13_E_NS1_11comp_targetILNS1_3genE3ELNS1_11target_archE908ELNS1_3gpuE7ELNS1_3repE0EEENS1_47radix_sort_onesweep_sort_config_static_selectorELNS0_4arch9wavefront6targetE1EEEvSK_
; %bb.0:
	.section	.rodata,"a",@progbits
	.p2align	6, 0x0
	.amdhsa_kernel _ZN7rocprim17ROCPRIM_400000_NS6detail17trampoline_kernelINS0_14default_configENS1_35radix_sort_onesweep_config_selectorIiNS0_10empty_typeEEEZZNS1_29radix_sort_onesweep_iterationIS3_Lb0EN6thrust23THRUST_200600_302600_NS6detail15normal_iteratorINS9_10device_ptrIiEEEESE_PS5_SF_jNS0_19identity_decomposerENS1_16block_id_wrapperIjLb1EEEEE10hipError_tT1_PNSt15iterator_traitsISK_E10value_typeET2_T3_PNSL_ISQ_E10value_typeET4_T5_PSV_SW_PNS1_23onesweep_lookback_stateEbbT6_jjT7_P12ihipStream_tbENKUlT_T0_SK_SP_E_clISE_PiSF_SF_EEDaS13_S14_SK_SP_EUlS13_E_NS1_11comp_targetILNS1_3genE3ELNS1_11target_archE908ELNS1_3gpuE7ELNS1_3repE0EEENS1_47radix_sort_onesweep_sort_config_static_selectorELNS0_4arch9wavefront6targetE1EEEvSK_
		.amdhsa_group_segment_fixed_size 0
		.amdhsa_private_segment_fixed_size 0
		.amdhsa_kernarg_size 88
		.amdhsa_user_sgpr_count 2
		.amdhsa_user_sgpr_dispatch_ptr 0
		.amdhsa_user_sgpr_queue_ptr 0
		.amdhsa_user_sgpr_kernarg_segment_ptr 1
		.amdhsa_user_sgpr_dispatch_id 0
		.amdhsa_user_sgpr_kernarg_preload_length 0
		.amdhsa_user_sgpr_kernarg_preload_offset 0
		.amdhsa_user_sgpr_private_segment_size 0
		.amdhsa_uses_dynamic_stack 0
		.amdhsa_enable_private_segment 0
		.amdhsa_system_sgpr_workgroup_id_x 1
		.amdhsa_system_sgpr_workgroup_id_y 0
		.amdhsa_system_sgpr_workgroup_id_z 0
		.amdhsa_system_sgpr_workgroup_info 0
		.amdhsa_system_vgpr_workitem_id 0
		.amdhsa_next_free_vgpr 1
		.amdhsa_next_free_sgpr 0
		.amdhsa_accum_offset 4
		.amdhsa_reserve_vcc 0
		.amdhsa_float_round_mode_32 0
		.amdhsa_float_round_mode_16_64 0
		.amdhsa_float_denorm_mode_32 3
		.amdhsa_float_denorm_mode_16_64 3
		.amdhsa_dx10_clamp 1
		.amdhsa_ieee_mode 1
		.amdhsa_fp16_overflow 0
		.amdhsa_tg_split 0
		.amdhsa_exception_fp_ieee_invalid_op 0
		.amdhsa_exception_fp_denorm_src 0
		.amdhsa_exception_fp_ieee_div_zero 0
		.amdhsa_exception_fp_ieee_overflow 0
		.amdhsa_exception_fp_ieee_underflow 0
		.amdhsa_exception_fp_ieee_inexact 0
		.amdhsa_exception_int_div_zero 0
	.end_amdhsa_kernel
	.section	.text._ZN7rocprim17ROCPRIM_400000_NS6detail17trampoline_kernelINS0_14default_configENS1_35radix_sort_onesweep_config_selectorIiNS0_10empty_typeEEEZZNS1_29radix_sort_onesweep_iterationIS3_Lb0EN6thrust23THRUST_200600_302600_NS6detail15normal_iteratorINS9_10device_ptrIiEEEESE_PS5_SF_jNS0_19identity_decomposerENS1_16block_id_wrapperIjLb1EEEEE10hipError_tT1_PNSt15iterator_traitsISK_E10value_typeET2_T3_PNSL_ISQ_E10value_typeET4_T5_PSV_SW_PNS1_23onesweep_lookback_stateEbbT6_jjT7_P12ihipStream_tbENKUlT_T0_SK_SP_E_clISE_PiSF_SF_EEDaS13_S14_SK_SP_EUlS13_E_NS1_11comp_targetILNS1_3genE3ELNS1_11target_archE908ELNS1_3gpuE7ELNS1_3repE0EEENS1_47radix_sort_onesweep_sort_config_static_selectorELNS0_4arch9wavefront6targetE1EEEvSK_,"axG",@progbits,_ZN7rocprim17ROCPRIM_400000_NS6detail17trampoline_kernelINS0_14default_configENS1_35radix_sort_onesweep_config_selectorIiNS0_10empty_typeEEEZZNS1_29radix_sort_onesweep_iterationIS3_Lb0EN6thrust23THRUST_200600_302600_NS6detail15normal_iteratorINS9_10device_ptrIiEEEESE_PS5_SF_jNS0_19identity_decomposerENS1_16block_id_wrapperIjLb1EEEEE10hipError_tT1_PNSt15iterator_traitsISK_E10value_typeET2_T3_PNSL_ISQ_E10value_typeET4_T5_PSV_SW_PNS1_23onesweep_lookback_stateEbbT6_jjT7_P12ihipStream_tbENKUlT_T0_SK_SP_E_clISE_PiSF_SF_EEDaS13_S14_SK_SP_EUlS13_E_NS1_11comp_targetILNS1_3genE3ELNS1_11target_archE908ELNS1_3gpuE7ELNS1_3repE0EEENS1_47radix_sort_onesweep_sort_config_static_selectorELNS0_4arch9wavefront6targetE1EEEvSK_,comdat
.Lfunc_end1760:
	.size	_ZN7rocprim17ROCPRIM_400000_NS6detail17trampoline_kernelINS0_14default_configENS1_35radix_sort_onesweep_config_selectorIiNS0_10empty_typeEEEZZNS1_29radix_sort_onesweep_iterationIS3_Lb0EN6thrust23THRUST_200600_302600_NS6detail15normal_iteratorINS9_10device_ptrIiEEEESE_PS5_SF_jNS0_19identity_decomposerENS1_16block_id_wrapperIjLb1EEEEE10hipError_tT1_PNSt15iterator_traitsISK_E10value_typeET2_T3_PNSL_ISQ_E10value_typeET4_T5_PSV_SW_PNS1_23onesweep_lookback_stateEbbT6_jjT7_P12ihipStream_tbENKUlT_T0_SK_SP_E_clISE_PiSF_SF_EEDaS13_S14_SK_SP_EUlS13_E_NS1_11comp_targetILNS1_3genE3ELNS1_11target_archE908ELNS1_3gpuE7ELNS1_3repE0EEENS1_47radix_sort_onesweep_sort_config_static_selectorELNS0_4arch9wavefront6targetE1EEEvSK_, .Lfunc_end1760-_ZN7rocprim17ROCPRIM_400000_NS6detail17trampoline_kernelINS0_14default_configENS1_35radix_sort_onesweep_config_selectorIiNS0_10empty_typeEEEZZNS1_29radix_sort_onesweep_iterationIS3_Lb0EN6thrust23THRUST_200600_302600_NS6detail15normal_iteratorINS9_10device_ptrIiEEEESE_PS5_SF_jNS0_19identity_decomposerENS1_16block_id_wrapperIjLb1EEEEE10hipError_tT1_PNSt15iterator_traitsISK_E10value_typeET2_T3_PNSL_ISQ_E10value_typeET4_T5_PSV_SW_PNS1_23onesweep_lookback_stateEbbT6_jjT7_P12ihipStream_tbENKUlT_T0_SK_SP_E_clISE_PiSF_SF_EEDaS13_S14_SK_SP_EUlS13_E_NS1_11comp_targetILNS1_3genE3ELNS1_11target_archE908ELNS1_3gpuE7ELNS1_3repE0EEENS1_47radix_sort_onesweep_sort_config_static_selectorELNS0_4arch9wavefront6targetE1EEEvSK_
                                        ; -- End function
	.section	.AMDGPU.csdata,"",@progbits
; Kernel info:
; codeLenInByte = 0
; NumSgprs: 6
; NumVgprs: 0
; NumAgprs: 0
; TotalNumVgprs: 0
; ScratchSize: 0
; MemoryBound: 0
; FloatMode: 240
; IeeeMode: 1
; LDSByteSize: 0 bytes/workgroup (compile time only)
; SGPRBlocks: 0
; VGPRBlocks: 0
; NumSGPRsForWavesPerEU: 6
; NumVGPRsForWavesPerEU: 1
; AccumOffset: 4
; Occupancy: 8
; WaveLimiterHint : 0
; COMPUTE_PGM_RSRC2:SCRATCH_EN: 0
; COMPUTE_PGM_RSRC2:USER_SGPR: 2
; COMPUTE_PGM_RSRC2:TRAP_HANDLER: 0
; COMPUTE_PGM_RSRC2:TGID_X_EN: 1
; COMPUTE_PGM_RSRC2:TGID_Y_EN: 0
; COMPUTE_PGM_RSRC2:TGID_Z_EN: 0
; COMPUTE_PGM_RSRC2:TIDIG_COMP_CNT: 0
; COMPUTE_PGM_RSRC3_GFX90A:ACCUM_OFFSET: 0
; COMPUTE_PGM_RSRC3_GFX90A:TG_SPLIT: 0
	.section	.text._ZN7rocprim17ROCPRIM_400000_NS6detail17trampoline_kernelINS0_14default_configENS1_35radix_sort_onesweep_config_selectorIiNS0_10empty_typeEEEZZNS1_29radix_sort_onesweep_iterationIS3_Lb0EN6thrust23THRUST_200600_302600_NS6detail15normal_iteratorINS9_10device_ptrIiEEEESE_PS5_SF_jNS0_19identity_decomposerENS1_16block_id_wrapperIjLb1EEEEE10hipError_tT1_PNSt15iterator_traitsISK_E10value_typeET2_T3_PNSL_ISQ_E10value_typeET4_T5_PSV_SW_PNS1_23onesweep_lookback_stateEbbT6_jjT7_P12ihipStream_tbENKUlT_T0_SK_SP_E_clISE_PiSF_SF_EEDaS13_S14_SK_SP_EUlS13_E_NS1_11comp_targetILNS1_3genE10ELNS1_11target_archE1201ELNS1_3gpuE5ELNS1_3repE0EEENS1_47radix_sort_onesweep_sort_config_static_selectorELNS0_4arch9wavefront6targetE1EEEvSK_,"axG",@progbits,_ZN7rocprim17ROCPRIM_400000_NS6detail17trampoline_kernelINS0_14default_configENS1_35radix_sort_onesweep_config_selectorIiNS0_10empty_typeEEEZZNS1_29radix_sort_onesweep_iterationIS3_Lb0EN6thrust23THRUST_200600_302600_NS6detail15normal_iteratorINS9_10device_ptrIiEEEESE_PS5_SF_jNS0_19identity_decomposerENS1_16block_id_wrapperIjLb1EEEEE10hipError_tT1_PNSt15iterator_traitsISK_E10value_typeET2_T3_PNSL_ISQ_E10value_typeET4_T5_PSV_SW_PNS1_23onesweep_lookback_stateEbbT6_jjT7_P12ihipStream_tbENKUlT_T0_SK_SP_E_clISE_PiSF_SF_EEDaS13_S14_SK_SP_EUlS13_E_NS1_11comp_targetILNS1_3genE10ELNS1_11target_archE1201ELNS1_3gpuE5ELNS1_3repE0EEENS1_47radix_sort_onesweep_sort_config_static_selectorELNS0_4arch9wavefront6targetE1EEEvSK_,comdat
	.protected	_ZN7rocprim17ROCPRIM_400000_NS6detail17trampoline_kernelINS0_14default_configENS1_35radix_sort_onesweep_config_selectorIiNS0_10empty_typeEEEZZNS1_29radix_sort_onesweep_iterationIS3_Lb0EN6thrust23THRUST_200600_302600_NS6detail15normal_iteratorINS9_10device_ptrIiEEEESE_PS5_SF_jNS0_19identity_decomposerENS1_16block_id_wrapperIjLb1EEEEE10hipError_tT1_PNSt15iterator_traitsISK_E10value_typeET2_T3_PNSL_ISQ_E10value_typeET4_T5_PSV_SW_PNS1_23onesweep_lookback_stateEbbT6_jjT7_P12ihipStream_tbENKUlT_T0_SK_SP_E_clISE_PiSF_SF_EEDaS13_S14_SK_SP_EUlS13_E_NS1_11comp_targetILNS1_3genE10ELNS1_11target_archE1201ELNS1_3gpuE5ELNS1_3repE0EEENS1_47radix_sort_onesweep_sort_config_static_selectorELNS0_4arch9wavefront6targetE1EEEvSK_ ; -- Begin function _ZN7rocprim17ROCPRIM_400000_NS6detail17trampoline_kernelINS0_14default_configENS1_35radix_sort_onesweep_config_selectorIiNS0_10empty_typeEEEZZNS1_29radix_sort_onesweep_iterationIS3_Lb0EN6thrust23THRUST_200600_302600_NS6detail15normal_iteratorINS9_10device_ptrIiEEEESE_PS5_SF_jNS0_19identity_decomposerENS1_16block_id_wrapperIjLb1EEEEE10hipError_tT1_PNSt15iterator_traitsISK_E10value_typeET2_T3_PNSL_ISQ_E10value_typeET4_T5_PSV_SW_PNS1_23onesweep_lookback_stateEbbT6_jjT7_P12ihipStream_tbENKUlT_T0_SK_SP_E_clISE_PiSF_SF_EEDaS13_S14_SK_SP_EUlS13_E_NS1_11comp_targetILNS1_3genE10ELNS1_11target_archE1201ELNS1_3gpuE5ELNS1_3repE0EEENS1_47radix_sort_onesweep_sort_config_static_selectorELNS0_4arch9wavefront6targetE1EEEvSK_
	.globl	_ZN7rocprim17ROCPRIM_400000_NS6detail17trampoline_kernelINS0_14default_configENS1_35radix_sort_onesweep_config_selectorIiNS0_10empty_typeEEEZZNS1_29radix_sort_onesweep_iterationIS3_Lb0EN6thrust23THRUST_200600_302600_NS6detail15normal_iteratorINS9_10device_ptrIiEEEESE_PS5_SF_jNS0_19identity_decomposerENS1_16block_id_wrapperIjLb1EEEEE10hipError_tT1_PNSt15iterator_traitsISK_E10value_typeET2_T3_PNSL_ISQ_E10value_typeET4_T5_PSV_SW_PNS1_23onesweep_lookback_stateEbbT6_jjT7_P12ihipStream_tbENKUlT_T0_SK_SP_E_clISE_PiSF_SF_EEDaS13_S14_SK_SP_EUlS13_E_NS1_11comp_targetILNS1_3genE10ELNS1_11target_archE1201ELNS1_3gpuE5ELNS1_3repE0EEENS1_47radix_sort_onesweep_sort_config_static_selectorELNS0_4arch9wavefront6targetE1EEEvSK_
	.p2align	8
	.type	_ZN7rocprim17ROCPRIM_400000_NS6detail17trampoline_kernelINS0_14default_configENS1_35radix_sort_onesweep_config_selectorIiNS0_10empty_typeEEEZZNS1_29radix_sort_onesweep_iterationIS3_Lb0EN6thrust23THRUST_200600_302600_NS6detail15normal_iteratorINS9_10device_ptrIiEEEESE_PS5_SF_jNS0_19identity_decomposerENS1_16block_id_wrapperIjLb1EEEEE10hipError_tT1_PNSt15iterator_traitsISK_E10value_typeET2_T3_PNSL_ISQ_E10value_typeET4_T5_PSV_SW_PNS1_23onesweep_lookback_stateEbbT6_jjT7_P12ihipStream_tbENKUlT_T0_SK_SP_E_clISE_PiSF_SF_EEDaS13_S14_SK_SP_EUlS13_E_NS1_11comp_targetILNS1_3genE10ELNS1_11target_archE1201ELNS1_3gpuE5ELNS1_3repE0EEENS1_47radix_sort_onesweep_sort_config_static_selectorELNS0_4arch9wavefront6targetE1EEEvSK_,@function
_ZN7rocprim17ROCPRIM_400000_NS6detail17trampoline_kernelINS0_14default_configENS1_35radix_sort_onesweep_config_selectorIiNS0_10empty_typeEEEZZNS1_29radix_sort_onesweep_iterationIS3_Lb0EN6thrust23THRUST_200600_302600_NS6detail15normal_iteratorINS9_10device_ptrIiEEEESE_PS5_SF_jNS0_19identity_decomposerENS1_16block_id_wrapperIjLb1EEEEE10hipError_tT1_PNSt15iterator_traitsISK_E10value_typeET2_T3_PNSL_ISQ_E10value_typeET4_T5_PSV_SW_PNS1_23onesweep_lookback_stateEbbT6_jjT7_P12ihipStream_tbENKUlT_T0_SK_SP_E_clISE_PiSF_SF_EEDaS13_S14_SK_SP_EUlS13_E_NS1_11comp_targetILNS1_3genE10ELNS1_11target_archE1201ELNS1_3gpuE5ELNS1_3repE0EEENS1_47radix_sort_onesweep_sort_config_static_selectorELNS0_4arch9wavefront6targetE1EEEvSK_: ; @_ZN7rocprim17ROCPRIM_400000_NS6detail17trampoline_kernelINS0_14default_configENS1_35radix_sort_onesweep_config_selectorIiNS0_10empty_typeEEEZZNS1_29radix_sort_onesweep_iterationIS3_Lb0EN6thrust23THRUST_200600_302600_NS6detail15normal_iteratorINS9_10device_ptrIiEEEESE_PS5_SF_jNS0_19identity_decomposerENS1_16block_id_wrapperIjLb1EEEEE10hipError_tT1_PNSt15iterator_traitsISK_E10value_typeET2_T3_PNSL_ISQ_E10value_typeET4_T5_PSV_SW_PNS1_23onesweep_lookback_stateEbbT6_jjT7_P12ihipStream_tbENKUlT_T0_SK_SP_E_clISE_PiSF_SF_EEDaS13_S14_SK_SP_EUlS13_E_NS1_11comp_targetILNS1_3genE10ELNS1_11target_archE1201ELNS1_3gpuE5ELNS1_3repE0EEENS1_47radix_sort_onesweep_sort_config_static_selectorELNS0_4arch9wavefront6targetE1EEEvSK_
; %bb.0:
	.section	.rodata,"a",@progbits
	.p2align	6, 0x0
	.amdhsa_kernel _ZN7rocprim17ROCPRIM_400000_NS6detail17trampoline_kernelINS0_14default_configENS1_35radix_sort_onesweep_config_selectorIiNS0_10empty_typeEEEZZNS1_29radix_sort_onesweep_iterationIS3_Lb0EN6thrust23THRUST_200600_302600_NS6detail15normal_iteratorINS9_10device_ptrIiEEEESE_PS5_SF_jNS0_19identity_decomposerENS1_16block_id_wrapperIjLb1EEEEE10hipError_tT1_PNSt15iterator_traitsISK_E10value_typeET2_T3_PNSL_ISQ_E10value_typeET4_T5_PSV_SW_PNS1_23onesweep_lookback_stateEbbT6_jjT7_P12ihipStream_tbENKUlT_T0_SK_SP_E_clISE_PiSF_SF_EEDaS13_S14_SK_SP_EUlS13_E_NS1_11comp_targetILNS1_3genE10ELNS1_11target_archE1201ELNS1_3gpuE5ELNS1_3repE0EEENS1_47radix_sort_onesweep_sort_config_static_selectorELNS0_4arch9wavefront6targetE1EEEvSK_
		.amdhsa_group_segment_fixed_size 0
		.amdhsa_private_segment_fixed_size 0
		.amdhsa_kernarg_size 88
		.amdhsa_user_sgpr_count 2
		.amdhsa_user_sgpr_dispatch_ptr 0
		.amdhsa_user_sgpr_queue_ptr 0
		.amdhsa_user_sgpr_kernarg_segment_ptr 1
		.amdhsa_user_sgpr_dispatch_id 0
		.amdhsa_user_sgpr_kernarg_preload_length 0
		.amdhsa_user_sgpr_kernarg_preload_offset 0
		.amdhsa_user_sgpr_private_segment_size 0
		.amdhsa_uses_dynamic_stack 0
		.amdhsa_enable_private_segment 0
		.amdhsa_system_sgpr_workgroup_id_x 1
		.amdhsa_system_sgpr_workgroup_id_y 0
		.amdhsa_system_sgpr_workgroup_id_z 0
		.amdhsa_system_sgpr_workgroup_info 0
		.amdhsa_system_vgpr_workitem_id 0
		.amdhsa_next_free_vgpr 1
		.amdhsa_next_free_sgpr 0
		.amdhsa_accum_offset 4
		.amdhsa_reserve_vcc 0
		.amdhsa_float_round_mode_32 0
		.amdhsa_float_round_mode_16_64 0
		.amdhsa_float_denorm_mode_32 3
		.amdhsa_float_denorm_mode_16_64 3
		.amdhsa_dx10_clamp 1
		.amdhsa_ieee_mode 1
		.amdhsa_fp16_overflow 0
		.amdhsa_tg_split 0
		.amdhsa_exception_fp_ieee_invalid_op 0
		.amdhsa_exception_fp_denorm_src 0
		.amdhsa_exception_fp_ieee_div_zero 0
		.amdhsa_exception_fp_ieee_overflow 0
		.amdhsa_exception_fp_ieee_underflow 0
		.amdhsa_exception_fp_ieee_inexact 0
		.amdhsa_exception_int_div_zero 0
	.end_amdhsa_kernel
	.section	.text._ZN7rocprim17ROCPRIM_400000_NS6detail17trampoline_kernelINS0_14default_configENS1_35radix_sort_onesweep_config_selectorIiNS0_10empty_typeEEEZZNS1_29radix_sort_onesweep_iterationIS3_Lb0EN6thrust23THRUST_200600_302600_NS6detail15normal_iteratorINS9_10device_ptrIiEEEESE_PS5_SF_jNS0_19identity_decomposerENS1_16block_id_wrapperIjLb1EEEEE10hipError_tT1_PNSt15iterator_traitsISK_E10value_typeET2_T3_PNSL_ISQ_E10value_typeET4_T5_PSV_SW_PNS1_23onesweep_lookback_stateEbbT6_jjT7_P12ihipStream_tbENKUlT_T0_SK_SP_E_clISE_PiSF_SF_EEDaS13_S14_SK_SP_EUlS13_E_NS1_11comp_targetILNS1_3genE10ELNS1_11target_archE1201ELNS1_3gpuE5ELNS1_3repE0EEENS1_47radix_sort_onesweep_sort_config_static_selectorELNS0_4arch9wavefront6targetE1EEEvSK_,"axG",@progbits,_ZN7rocprim17ROCPRIM_400000_NS6detail17trampoline_kernelINS0_14default_configENS1_35radix_sort_onesweep_config_selectorIiNS0_10empty_typeEEEZZNS1_29radix_sort_onesweep_iterationIS3_Lb0EN6thrust23THRUST_200600_302600_NS6detail15normal_iteratorINS9_10device_ptrIiEEEESE_PS5_SF_jNS0_19identity_decomposerENS1_16block_id_wrapperIjLb1EEEEE10hipError_tT1_PNSt15iterator_traitsISK_E10value_typeET2_T3_PNSL_ISQ_E10value_typeET4_T5_PSV_SW_PNS1_23onesweep_lookback_stateEbbT6_jjT7_P12ihipStream_tbENKUlT_T0_SK_SP_E_clISE_PiSF_SF_EEDaS13_S14_SK_SP_EUlS13_E_NS1_11comp_targetILNS1_3genE10ELNS1_11target_archE1201ELNS1_3gpuE5ELNS1_3repE0EEENS1_47radix_sort_onesweep_sort_config_static_selectorELNS0_4arch9wavefront6targetE1EEEvSK_,comdat
.Lfunc_end1761:
	.size	_ZN7rocprim17ROCPRIM_400000_NS6detail17trampoline_kernelINS0_14default_configENS1_35radix_sort_onesweep_config_selectorIiNS0_10empty_typeEEEZZNS1_29radix_sort_onesweep_iterationIS3_Lb0EN6thrust23THRUST_200600_302600_NS6detail15normal_iteratorINS9_10device_ptrIiEEEESE_PS5_SF_jNS0_19identity_decomposerENS1_16block_id_wrapperIjLb1EEEEE10hipError_tT1_PNSt15iterator_traitsISK_E10value_typeET2_T3_PNSL_ISQ_E10value_typeET4_T5_PSV_SW_PNS1_23onesweep_lookback_stateEbbT6_jjT7_P12ihipStream_tbENKUlT_T0_SK_SP_E_clISE_PiSF_SF_EEDaS13_S14_SK_SP_EUlS13_E_NS1_11comp_targetILNS1_3genE10ELNS1_11target_archE1201ELNS1_3gpuE5ELNS1_3repE0EEENS1_47radix_sort_onesweep_sort_config_static_selectorELNS0_4arch9wavefront6targetE1EEEvSK_, .Lfunc_end1761-_ZN7rocprim17ROCPRIM_400000_NS6detail17trampoline_kernelINS0_14default_configENS1_35radix_sort_onesweep_config_selectorIiNS0_10empty_typeEEEZZNS1_29radix_sort_onesweep_iterationIS3_Lb0EN6thrust23THRUST_200600_302600_NS6detail15normal_iteratorINS9_10device_ptrIiEEEESE_PS5_SF_jNS0_19identity_decomposerENS1_16block_id_wrapperIjLb1EEEEE10hipError_tT1_PNSt15iterator_traitsISK_E10value_typeET2_T3_PNSL_ISQ_E10value_typeET4_T5_PSV_SW_PNS1_23onesweep_lookback_stateEbbT6_jjT7_P12ihipStream_tbENKUlT_T0_SK_SP_E_clISE_PiSF_SF_EEDaS13_S14_SK_SP_EUlS13_E_NS1_11comp_targetILNS1_3genE10ELNS1_11target_archE1201ELNS1_3gpuE5ELNS1_3repE0EEENS1_47radix_sort_onesweep_sort_config_static_selectorELNS0_4arch9wavefront6targetE1EEEvSK_
                                        ; -- End function
	.section	.AMDGPU.csdata,"",@progbits
; Kernel info:
; codeLenInByte = 0
; NumSgprs: 6
; NumVgprs: 0
; NumAgprs: 0
; TotalNumVgprs: 0
; ScratchSize: 0
; MemoryBound: 0
; FloatMode: 240
; IeeeMode: 1
; LDSByteSize: 0 bytes/workgroup (compile time only)
; SGPRBlocks: 0
; VGPRBlocks: 0
; NumSGPRsForWavesPerEU: 6
; NumVGPRsForWavesPerEU: 1
; AccumOffset: 4
; Occupancy: 8
; WaveLimiterHint : 0
; COMPUTE_PGM_RSRC2:SCRATCH_EN: 0
; COMPUTE_PGM_RSRC2:USER_SGPR: 2
; COMPUTE_PGM_RSRC2:TRAP_HANDLER: 0
; COMPUTE_PGM_RSRC2:TGID_X_EN: 1
; COMPUTE_PGM_RSRC2:TGID_Y_EN: 0
; COMPUTE_PGM_RSRC2:TGID_Z_EN: 0
; COMPUTE_PGM_RSRC2:TIDIG_COMP_CNT: 0
; COMPUTE_PGM_RSRC3_GFX90A:ACCUM_OFFSET: 0
; COMPUTE_PGM_RSRC3_GFX90A:TG_SPLIT: 0
	.section	.text._ZN7rocprim17ROCPRIM_400000_NS6detail17trampoline_kernelINS0_14default_configENS1_35radix_sort_onesweep_config_selectorIiNS0_10empty_typeEEEZZNS1_29radix_sort_onesweep_iterationIS3_Lb0EN6thrust23THRUST_200600_302600_NS6detail15normal_iteratorINS9_10device_ptrIiEEEESE_PS5_SF_jNS0_19identity_decomposerENS1_16block_id_wrapperIjLb1EEEEE10hipError_tT1_PNSt15iterator_traitsISK_E10value_typeET2_T3_PNSL_ISQ_E10value_typeET4_T5_PSV_SW_PNS1_23onesweep_lookback_stateEbbT6_jjT7_P12ihipStream_tbENKUlT_T0_SK_SP_E_clISE_PiSF_SF_EEDaS13_S14_SK_SP_EUlS13_E_NS1_11comp_targetILNS1_3genE9ELNS1_11target_archE1100ELNS1_3gpuE3ELNS1_3repE0EEENS1_47radix_sort_onesweep_sort_config_static_selectorELNS0_4arch9wavefront6targetE1EEEvSK_,"axG",@progbits,_ZN7rocprim17ROCPRIM_400000_NS6detail17trampoline_kernelINS0_14default_configENS1_35radix_sort_onesweep_config_selectorIiNS0_10empty_typeEEEZZNS1_29radix_sort_onesweep_iterationIS3_Lb0EN6thrust23THRUST_200600_302600_NS6detail15normal_iteratorINS9_10device_ptrIiEEEESE_PS5_SF_jNS0_19identity_decomposerENS1_16block_id_wrapperIjLb1EEEEE10hipError_tT1_PNSt15iterator_traitsISK_E10value_typeET2_T3_PNSL_ISQ_E10value_typeET4_T5_PSV_SW_PNS1_23onesweep_lookback_stateEbbT6_jjT7_P12ihipStream_tbENKUlT_T0_SK_SP_E_clISE_PiSF_SF_EEDaS13_S14_SK_SP_EUlS13_E_NS1_11comp_targetILNS1_3genE9ELNS1_11target_archE1100ELNS1_3gpuE3ELNS1_3repE0EEENS1_47radix_sort_onesweep_sort_config_static_selectorELNS0_4arch9wavefront6targetE1EEEvSK_,comdat
	.protected	_ZN7rocprim17ROCPRIM_400000_NS6detail17trampoline_kernelINS0_14default_configENS1_35radix_sort_onesweep_config_selectorIiNS0_10empty_typeEEEZZNS1_29radix_sort_onesweep_iterationIS3_Lb0EN6thrust23THRUST_200600_302600_NS6detail15normal_iteratorINS9_10device_ptrIiEEEESE_PS5_SF_jNS0_19identity_decomposerENS1_16block_id_wrapperIjLb1EEEEE10hipError_tT1_PNSt15iterator_traitsISK_E10value_typeET2_T3_PNSL_ISQ_E10value_typeET4_T5_PSV_SW_PNS1_23onesweep_lookback_stateEbbT6_jjT7_P12ihipStream_tbENKUlT_T0_SK_SP_E_clISE_PiSF_SF_EEDaS13_S14_SK_SP_EUlS13_E_NS1_11comp_targetILNS1_3genE9ELNS1_11target_archE1100ELNS1_3gpuE3ELNS1_3repE0EEENS1_47radix_sort_onesweep_sort_config_static_selectorELNS0_4arch9wavefront6targetE1EEEvSK_ ; -- Begin function _ZN7rocprim17ROCPRIM_400000_NS6detail17trampoline_kernelINS0_14default_configENS1_35radix_sort_onesweep_config_selectorIiNS0_10empty_typeEEEZZNS1_29radix_sort_onesweep_iterationIS3_Lb0EN6thrust23THRUST_200600_302600_NS6detail15normal_iteratorINS9_10device_ptrIiEEEESE_PS5_SF_jNS0_19identity_decomposerENS1_16block_id_wrapperIjLb1EEEEE10hipError_tT1_PNSt15iterator_traitsISK_E10value_typeET2_T3_PNSL_ISQ_E10value_typeET4_T5_PSV_SW_PNS1_23onesweep_lookback_stateEbbT6_jjT7_P12ihipStream_tbENKUlT_T0_SK_SP_E_clISE_PiSF_SF_EEDaS13_S14_SK_SP_EUlS13_E_NS1_11comp_targetILNS1_3genE9ELNS1_11target_archE1100ELNS1_3gpuE3ELNS1_3repE0EEENS1_47radix_sort_onesweep_sort_config_static_selectorELNS0_4arch9wavefront6targetE1EEEvSK_
	.globl	_ZN7rocprim17ROCPRIM_400000_NS6detail17trampoline_kernelINS0_14default_configENS1_35radix_sort_onesweep_config_selectorIiNS0_10empty_typeEEEZZNS1_29radix_sort_onesweep_iterationIS3_Lb0EN6thrust23THRUST_200600_302600_NS6detail15normal_iteratorINS9_10device_ptrIiEEEESE_PS5_SF_jNS0_19identity_decomposerENS1_16block_id_wrapperIjLb1EEEEE10hipError_tT1_PNSt15iterator_traitsISK_E10value_typeET2_T3_PNSL_ISQ_E10value_typeET4_T5_PSV_SW_PNS1_23onesweep_lookback_stateEbbT6_jjT7_P12ihipStream_tbENKUlT_T0_SK_SP_E_clISE_PiSF_SF_EEDaS13_S14_SK_SP_EUlS13_E_NS1_11comp_targetILNS1_3genE9ELNS1_11target_archE1100ELNS1_3gpuE3ELNS1_3repE0EEENS1_47radix_sort_onesweep_sort_config_static_selectorELNS0_4arch9wavefront6targetE1EEEvSK_
	.p2align	8
	.type	_ZN7rocprim17ROCPRIM_400000_NS6detail17trampoline_kernelINS0_14default_configENS1_35radix_sort_onesweep_config_selectorIiNS0_10empty_typeEEEZZNS1_29radix_sort_onesweep_iterationIS3_Lb0EN6thrust23THRUST_200600_302600_NS6detail15normal_iteratorINS9_10device_ptrIiEEEESE_PS5_SF_jNS0_19identity_decomposerENS1_16block_id_wrapperIjLb1EEEEE10hipError_tT1_PNSt15iterator_traitsISK_E10value_typeET2_T3_PNSL_ISQ_E10value_typeET4_T5_PSV_SW_PNS1_23onesweep_lookback_stateEbbT6_jjT7_P12ihipStream_tbENKUlT_T0_SK_SP_E_clISE_PiSF_SF_EEDaS13_S14_SK_SP_EUlS13_E_NS1_11comp_targetILNS1_3genE9ELNS1_11target_archE1100ELNS1_3gpuE3ELNS1_3repE0EEENS1_47radix_sort_onesweep_sort_config_static_selectorELNS0_4arch9wavefront6targetE1EEEvSK_,@function
_ZN7rocprim17ROCPRIM_400000_NS6detail17trampoline_kernelINS0_14default_configENS1_35radix_sort_onesweep_config_selectorIiNS0_10empty_typeEEEZZNS1_29radix_sort_onesweep_iterationIS3_Lb0EN6thrust23THRUST_200600_302600_NS6detail15normal_iteratorINS9_10device_ptrIiEEEESE_PS5_SF_jNS0_19identity_decomposerENS1_16block_id_wrapperIjLb1EEEEE10hipError_tT1_PNSt15iterator_traitsISK_E10value_typeET2_T3_PNSL_ISQ_E10value_typeET4_T5_PSV_SW_PNS1_23onesweep_lookback_stateEbbT6_jjT7_P12ihipStream_tbENKUlT_T0_SK_SP_E_clISE_PiSF_SF_EEDaS13_S14_SK_SP_EUlS13_E_NS1_11comp_targetILNS1_3genE9ELNS1_11target_archE1100ELNS1_3gpuE3ELNS1_3repE0EEENS1_47radix_sort_onesweep_sort_config_static_selectorELNS0_4arch9wavefront6targetE1EEEvSK_: ; @_ZN7rocprim17ROCPRIM_400000_NS6detail17trampoline_kernelINS0_14default_configENS1_35radix_sort_onesweep_config_selectorIiNS0_10empty_typeEEEZZNS1_29radix_sort_onesweep_iterationIS3_Lb0EN6thrust23THRUST_200600_302600_NS6detail15normal_iteratorINS9_10device_ptrIiEEEESE_PS5_SF_jNS0_19identity_decomposerENS1_16block_id_wrapperIjLb1EEEEE10hipError_tT1_PNSt15iterator_traitsISK_E10value_typeET2_T3_PNSL_ISQ_E10value_typeET4_T5_PSV_SW_PNS1_23onesweep_lookback_stateEbbT6_jjT7_P12ihipStream_tbENKUlT_T0_SK_SP_E_clISE_PiSF_SF_EEDaS13_S14_SK_SP_EUlS13_E_NS1_11comp_targetILNS1_3genE9ELNS1_11target_archE1100ELNS1_3gpuE3ELNS1_3repE0EEENS1_47radix_sort_onesweep_sort_config_static_selectorELNS0_4arch9wavefront6targetE1EEEvSK_
; %bb.0:
	.section	.rodata,"a",@progbits
	.p2align	6, 0x0
	.amdhsa_kernel _ZN7rocprim17ROCPRIM_400000_NS6detail17trampoline_kernelINS0_14default_configENS1_35radix_sort_onesweep_config_selectorIiNS0_10empty_typeEEEZZNS1_29radix_sort_onesweep_iterationIS3_Lb0EN6thrust23THRUST_200600_302600_NS6detail15normal_iteratorINS9_10device_ptrIiEEEESE_PS5_SF_jNS0_19identity_decomposerENS1_16block_id_wrapperIjLb1EEEEE10hipError_tT1_PNSt15iterator_traitsISK_E10value_typeET2_T3_PNSL_ISQ_E10value_typeET4_T5_PSV_SW_PNS1_23onesweep_lookback_stateEbbT6_jjT7_P12ihipStream_tbENKUlT_T0_SK_SP_E_clISE_PiSF_SF_EEDaS13_S14_SK_SP_EUlS13_E_NS1_11comp_targetILNS1_3genE9ELNS1_11target_archE1100ELNS1_3gpuE3ELNS1_3repE0EEENS1_47radix_sort_onesweep_sort_config_static_selectorELNS0_4arch9wavefront6targetE1EEEvSK_
		.amdhsa_group_segment_fixed_size 0
		.amdhsa_private_segment_fixed_size 0
		.amdhsa_kernarg_size 88
		.amdhsa_user_sgpr_count 2
		.amdhsa_user_sgpr_dispatch_ptr 0
		.amdhsa_user_sgpr_queue_ptr 0
		.amdhsa_user_sgpr_kernarg_segment_ptr 1
		.amdhsa_user_sgpr_dispatch_id 0
		.amdhsa_user_sgpr_kernarg_preload_length 0
		.amdhsa_user_sgpr_kernarg_preload_offset 0
		.amdhsa_user_sgpr_private_segment_size 0
		.amdhsa_uses_dynamic_stack 0
		.amdhsa_enable_private_segment 0
		.amdhsa_system_sgpr_workgroup_id_x 1
		.amdhsa_system_sgpr_workgroup_id_y 0
		.amdhsa_system_sgpr_workgroup_id_z 0
		.amdhsa_system_sgpr_workgroup_info 0
		.amdhsa_system_vgpr_workitem_id 0
		.amdhsa_next_free_vgpr 1
		.amdhsa_next_free_sgpr 0
		.amdhsa_accum_offset 4
		.amdhsa_reserve_vcc 0
		.amdhsa_float_round_mode_32 0
		.amdhsa_float_round_mode_16_64 0
		.amdhsa_float_denorm_mode_32 3
		.amdhsa_float_denorm_mode_16_64 3
		.amdhsa_dx10_clamp 1
		.amdhsa_ieee_mode 1
		.amdhsa_fp16_overflow 0
		.amdhsa_tg_split 0
		.amdhsa_exception_fp_ieee_invalid_op 0
		.amdhsa_exception_fp_denorm_src 0
		.amdhsa_exception_fp_ieee_div_zero 0
		.amdhsa_exception_fp_ieee_overflow 0
		.amdhsa_exception_fp_ieee_underflow 0
		.amdhsa_exception_fp_ieee_inexact 0
		.amdhsa_exception_int_div_zero 0
	.end_amdhsa_kernel
	.section	.text._ZN7rocprim17ROCPRIM_400000_NS6detail17trampoline_kernelINS0_14default_configENS1_35radix_sort_onesweep_config_selectorIiNS0_10empty_typeEEEZZNS1_29radix_sort_onesweep_iterationIS3_Lb0EN6thrust23THRUST_200600_302600_NS6detail15normal_iteratorINS9_10device_ptrIiEEEESE_PS5_SF_jNS0_19identity_decomposerENS1_16block_id_wrapperIjLb1EEEEE10hipError_tT1_PNSt15iterator_traitsISK_E10value_typeET2_T3_PNSL_ISQ_E10value_typeET4_T5_PSV_SW_PNS1_23onesweep_lookback_stateEbbT6_jjT7_P12ihipStream_tbENKUlT_T0_SK_SP_E_clISE_PiSF_SF_EEDaS13_S14_SK_SP_EUlS13_E_NS1_11comp_targetILNS1_3genE9ELNS1_11target_archE1100ELNS1_3gpuE3ELNS1_3repE0EEENS1_47radix_sort_onesweep_sort_config_static_selectorELNS0_4arch9wavefront6targetE1EEEvSK_,"axG",@progbits,_ZN7rocprim17ROCPRIM_400000_NS6detail17trampoline_kernelINS0_14default_configENS1_35radix_sort_onesweep_config_selectorIiNS0_10empty_typeEEEZZNS1_29radix_sort_onesweep_iterationIS3_Lb0EN6thrust23THRUST_200600_302600_NS6detail15normal_iteratorINS9_10device_ptrIiEEEESE_PS5_SF_jNS0_19identity_decomposerENS1_16block_id_wrapperIjLb1EEEEE10hipError_tT1_PNSt15iterator_traitsISK_E10value_typeET2_T3_PNSL_ISQ_E10value_typeET4_T5_PSV_SW_PNS1_23onesweep_lookback_stateEbbT6_jjT7_P12ihipStream_tbENKUlT_T0_SK_SP_E_clISE_PiSF_SF_EEDaS13_S14_SK_SP_EUlS13_E_NS1_11comp_targetILNS1_3genE9ELNS1_11target_archE1100ELNS1_3gpuE3ELNS1_3repE0EEENS1_47radix_sort_onesweep_sort_config_static_selectorELNS0_4arch9wavefront6targetE1EEEvSK_,comdat
.Lfunc_end1762:
	.size	_ZN7rocprim17ROCPRIM_400000_NS6detail17trampoline_kernelINS0_14default_configENS1_35radix_sort_onesweep_config_selectorIiNS0_10empty_typeEEEZZNS1_29radix_sort_onesweep_iterationIS3_Lb0EN6thrust23THRUST_200600_302600_NS6detail15normal_iteratorINS9_10device_ptrIiEEEESE_PS5_SF_jNS0_19identity_decomposerENS1_16block_id_wrapperIjLb1EEEEE10hipError_tT1_PNSt15iterator_traitsISK_E10value_typeET2_T3_PNSL_ISQ_E10value_typeET4_T5_PSV_SW_PNS1_23onesweep_lookback_stateEbbT6_jjT7_P12ihipStream_tbENKUlT_T0_SK_SP_E_clISE_PiSF_SF_EEDaS13_S14_SK_SP_EUlS13_E_NS1_11comp_targetILNS1_3genE9ELNS1_11target_archE1100ELNS1_3gpuE3ELNS1_3repE0EEENS1_47radix_sort_onesweep_sort_config_static_selectorELNS0_4arch9wavefront6targetE1EEEvSK_, .Lfunc_end1762-_ZN7rocprim17ROCPRIM_400000_NS6detail17trampoline_kernelINS0_14default_configENS1_35radix_sort_onesweep_config_selectorIiNS0_10empty_typeEEEZZNS1_29radix_sort_onesweep_iterationIS3_Lb0EN6thrust23THRUST_200600_302600_NS6detail15normal_iteratorINS9_10device_ptrIiEEEESE_PS5_SF_jNS0_19identity_decomposerENS1_16block_id_wrapperIjLb1EEEEE10hipError_tT1_PNSt15iterator_traitsISK_E10value_typeET2_T3_PNSL_ISQ_E10value_typeET4_T5_PSV_SW_PNS1_23onesweep_lookback_stateEbbT6_jjT7_P12ihipStream_tbENKUlT_T0_SK_SP_E_clISE_PiSF_SF_EEDaS13_S14_SK_SP_EUlS13_E_NS1_11comp_targetILNS1_3genE9ELNS1_11target_archE1100ELNS1_3gpuE3ELNS1_3repE0EEENS1_47radix_sort_onesweep_sort_config_static_selectorELNS0_4arch9wavefront6targetE1EEEvSK_
                                        ; -- End function
	.section	.AMDGPU.csdata,"",@progbits
; Kernel info:
; codeLenInByte = 0
; NumSgprs: 6
; NumVgprs: 0
; NumAgprs: 0
; TotalNumVgprs: 0
; ScratchSize: 0
; MemoryBound: 0
; FloatMode: 240
; IeeeMode: 1
; LDSByteSize: 0 bytes/workgroup (compile time only)
; SGPRBlocks: 0
; VGPRBlocks: 0
; NumSGPRsForWavesPerEU: 6
; NumVGPRsForWavesPerEU: 1
; AccumOffset: 4
; Occupancy: 8
; WaveLimiterHint : 0
; COMPUTE_PGM_RSRC2:SCRATCH_EN: 0
; COMPUTE_PGM_RSRC2:USER_SGPR: 2
; COMPUTE_PGM_RSRC2:TRAP_HANDLER: 0
; COMPUTE_PGM_RSRC2:TGID_X_EN: 1
; COMPUTE_PGM_RSRC2:TGID_Y_EN: 0
; COMPUTE_PGM_RSRC2:TGID_Z_EN: 0
; COMPUTE_PGM_RSRC2:TIDIG_COMP_CNT: 0
; COMPUTE_PGM_RSRC3_GFX90A:ACCUM_OFFSET: 0
; COMPUTE_PGM_RSRC3_GFX90A:TG_SPLIT: 0
	.section	.text._ZN7rocprim17ROCPRIM_400000_NS6detail17trampoline_kernelINS0_14default_configENS1_35radix_sort_onesweep_config_selectorIiNS0_10empty_typeEEEZZNS1_29radix_sort_onesweep_iterationIS3_Lb0EN6thrust23THRUST_200600_302600_NS6detail15normal_iteratorINS9_10device_ptrIiEEEESE_PS5_SF_jNS0_19identity_decomposerENS1_16block_id_wrapperIjLb1EEEEE10hipError_tT1_PNSt15iterator_traitsISK_E10value_typeET2_T3_PNSL_ISQ_E10value_typeET4_T5_PSV_SW_PNS1_23onesweep_lookback_stateEbbT6_jjT7_P12ihipStream_tbENKUlT_T0_SK_SP_E_clISE_PiSF_SF_EEDaS13_S14_SK_SP_EUlS13_E_NS1_11comp_targetILNS1_3genE8ELNS1_11target_archE1030ELNS1_3gpuE2ELNS1_3repE0EEENS1_47radix_sort_onesweep_sort_config_static_selectorELNS0_4arch9wavefront6targetE1EEEvSK_,"axG",@progbits,_ZN7rocprim17ROCPRIM_400000_NS6detail17trampoline_kernelINS0_14default_configENS1_35radix_sort_onesweep_config_selectorIiNS0_10empty_typeEEEZZNS1_29radix_sort_onesweep_iterationIS3_Lb0EN6thrust23THRUST_200600_302600_NS6detail15normal_iteratorINS9_10device_ptrIiEEEESE_PS5_SF_jNS0_19identity_decomposerENS1_16block_id_wrapperIjLb1EEEEE10hipError_tT1_PNSt15iterator_traitsISK_E10value_typeET2_T3_PNSL_ISQ_E10value_typeET4_T5_PSV_SW_PNS1_23onesweep_lookback_stateEbbT6_jjT7_P12ihipStream_tbENKUlT_T0_SK_SP_E_clISE_PiSF_SF_EEDaS13_S14_SK_SP_EUlS13_E_NS1_11comp_targetILNS1_3genE8ELNS1_11target_archE1030ELNS1_3gpuE2ELNS1_3repE0EEENS1_47radix_sort_onesweep_sort_config_static_selectorELNS0_4arch9wavefront6targetE1EEEvSK_,comdat
	.protected	_ZN7rocprim17ROCPRIM_400000_NS6detail17trampoline_kernelINS0_14default_configENS1_35radix_sort_onesweep_config_selectorIiNS0_10empty_typeEEEZZNS1_29radix_sort_onesweep_iterationIS3_Lb0EN6thrust23THRUST_200600_302600_NS6detail15normal_iteratorINS9_10device_ptrIiEEEESE_PS5_SF_jNS0_19identity_decomposerENS1_16block_id_wrapperIjLb1EEEEE10hipError_tT1_PNSt15iterator_traitsISK_E10value_typeET2_T3_PNSL_ISQ_E10value_typeET4_T5_PSV_SW_PNS1_23onesweep_lookback_stateEbbT6_jjT7_P12ihipStream_tbENKUlT_T0_SK_SP_E_clISE_PiSF_SF_EEDaS13_S14_SK_SP_EUlS13_E_NS1_11comp_targetILNS1_3genE8ELNS1_11target_archE1030ELNS1_3gpuE2ELNS1_3repE0EEENS1_47radix_sort_onesweep_sort_config_static_selectorELNS0_4arch9wavefront6targetE1EEEvSK_ ; -- Begin function _ZN7rocprim17ROCPRIM_400000_NS6detail17trampoline_kernelINS0_14default_configENS1_35radix_sort_onesweep_config_selectorIiNS0_10empty_typeEEEZZNS1_29radix_sort_onesweep_iterationIS3_Lb0EN6thrust23THRUST_200600_302600_NS6detail15normal_iteratorINS9_10device_ptrIiEEEESE_PS5_SF_jNS0_19identity_decomposerENS1_16block_id_wrapperIjLb1EEEEE10hipError_tT1_PNSt15iterator_traitsISK_E10value_typeET2_T3_PNSL_ISQ_E10value_typeET4_T5_PSV_SW_PNS1_23onesweep_lookback_stateEbbT6_jjT7_P12ihipStream_tbENKUlT_T0_SK_SP_E_clISE_PiSF_SF_EEDaS13_S14_SK_SP_EUlS13_E_NS1_11comp_targetILNS1_3genE8ELNS1_11target_archE1030ELNS1_3gpuE2ELNS1_3repE0EEENS1_47radix_sort_onesweep_sort_config_static_selectorELNS0_4arch9wavefront6targetE1EEEvSK_
	.globl	_ZN7rocprim17ROCPRIM_400000_NS6detail17trampoline_kernelINS0_14default_configENS1_35radix_sort_onesweep_config_selectorIiNS0_10empty_typeEEEZZNS1_29radix_sort_onesweep_iterationIS3_Lb0EN6thrust23THRUST_200600_302600_NS6detail15normal_iteratorINS9_10device_ptrIiEEEESE_PS5_SF_jNS0_19identity_decomposerENS1_16block_id_wrapperIjLb1EEEEE10hipError_tT1_PNSt15iterator_traitsISK_E10value_typeET2_T3_PNSL_ISQ_E10value_typeET4_T5_PSV_SW_PNS1_23onesweep_lookback_stateEbbT6_jjT7_P12ihipStream_tbENKUlT_T0_SK_SP_E_clISE_PiSF_SF_EEDaS13_S14_SK_SP_EUlS13_E_NS1_11comp_targetILNS1_3genE8ELNS1_11target_archE1030ELNS1_3gpuE2ELNS1_3repE0EEENS1_47radix_sort_onesweep_sort_config_static_selectorELNS0_4arch9wavefront6targetE1EEEvSK_
	.p2align	8
	.type	_ZN7rocprim17ROCPRIM_400000_NS6detail17trampoline_kernelINS0_14default_configENS1_35radix_sort_onesweep_config_selectorIiNS0_10empty_typeEEEZZNS1_29radix_sort_onesweep_iterationIS3_Lb0EN6thrust23THRUST_200600_302600_NS6detail15normal_iteratorINS9_10device_ptrIiEEEESE_PS5_SF_jNS0_19identity_decomposerENS1_16block_id_wrapperIjLb1EEEEE10hipError_tT1_PNSt15iterator_traitsISK_E10value_typeET2_T3_PNSL_ISQ_E10value_typeET4_T5_PSV_SW_PNS1_23onesweep_lookback_stateEbbT6_jjT7_P12ihipStream_tbENKUlT_T0_SK_SP_E_clISE_PiSF_SF_EEDaS13_S14_SK_SP_EUlS13_E_NS1_11comp_targetILNS1_3genE8ELNS1_11target_archE1030ELNS1_3gpuE2ELNS1_3repE0EEENS1_47radix_sort_onesweep_sort_config_static_selectorELNS0_4arch9wavefront6targetE1EEEvSK_,@function
_ZN7rocprim17ROCPRIM_400000_NS6detail17trampoline_kernelINS0_14default_configENS1_35radix_sort_onesweep_config_selectorIiNS0_10empty_typeEEEZZNS1_29radix_sort_onesweep_iterationIS3_Lb0EN6thrust23THRUST_200600_302600_NS6detail15normal_iteratorINS9_10device_ptrIiEEEESE_PS5_SF_jNS0_19identity_decomposerENS1_16block_id_wrapperIjLb1EEEEE10hipError_tT1_PNSt15iterator_traitsISK_E10value_typeET2_T3_PNSL_ISQ_E10value_typeET4_T5_PSV_SW_PNS1_23onesweep_lookback_stateEbbT6_jjT7_P12ihipStream_tbENKUlT_T0_SK_SP_E_clISE_PiSF_SF_EEDaS13_S14_SK_SP_EUlS13_E_NS1_11comp_targetILNS1_3genE8ELNS1_11target_archE1030ELNS1_3gpuE2ELNS1_3repE0EEENS1_47radix_sort_onesweep_sort_config_static_selectorELNS0_4arch9wavefront6targetE1EEEvSK_: ; @_ZN7rocprim17ROCPRIM_400000_NS6detail17trampoline_kernelINS0_14default_configENS1_35radix_sort_onesweep_config_selectorIiNS0_10empty_typeEEEZZNS1_29radix_sort_onesweep_iterationIS3_Lb0EN6thrust23THRUST_200600_302600_NS6detail15normal_iteratorINS9_10device_ptrIiEEEESE_PS5_SF_jNS0_19identity_decomposerENS1_16block_id_wrapperIjLb1EEEEE10hipError_tT1_PNSt15iterator_traitsISK_E10value_typeET2_T3_PNSL_ISQ_E10value_typeET4_T5_PSV_SW_PNS1_23onesweep_lookback_stateEbbT6_jjT7_P12ihipStream_tbENKUlT_T0_SK_SP_E_clISE_PiSF_SF_EEDaS13_S14_SK_SP_EUlS13_E_NS1_11comp_targetILNS1_3genE8ELNS1_11target_archE1030ELNS1_3gpuE2ELNS1_3repE0EEENS1_47radix_sort_onesweep_sort_config_static_selectorELNS0_4arch9wavefront6targetE1EEEvSK_
; %bb.0:
	.section	.rodata,"a",@progbits
	.p2align	6, 0x0
	.amdhsa_kernel _ZN7rocprim17ROCPRIM_400000_NS6detail17trampoline_kernelINS0_14default_configENS1_35radix_sort_onesweep_config_selectorIiNS0_10empty_typeEEEZZNS1_29radix_sort_onesweep_iterationIS3_Lb0EN6thrust23THRUST_200600_302600_NS6detail15normal_iteratorINS9_10device_ptrIiEEEESE_PS5_SF_jNS0_19identity_decomposerENS1_16block_id_wrapperIjLb1EEEEE10hipError_tT1_PNSt15iterator_traitsISK_E10value_typeET2_T3_PNSL_ISQ_E10value_typeET4_T5_PSV_SW_PNS1_23onesweep_lookback_stateEbbT6_jjT7_P12ihipStream_tbENKUlT_T0_SK_SP_E_clISE_PiSF_SF_EEDaS13_S14_SK_SP_EUlS13_E_NS1_11comp_targetILNS1_3genE8ELNS1_11target_archE1030ELNS1_3gpuE2ELNS1_3repE0EEENS1_47radix_sort_onesweep_sort_config_static_selectorELNS0_4arch9wavefront6targetE1EEEvSK_
		.amdhsa_group_segment_fixed_size 0
		.amdhsa_private_segment_fixed_size 0
		.amdhsa_kernarg_size 88
		.amdhsa_user_sgpr_count 2
		.amdhsa_user_sgpr_dispatch_ptr 0
		.amdhsa_user_sgpr_queue_ptr 0
		.amdhsa_user_sgpr_kernarg_segment_ptr 1
		.amdhsa_user_sgpr_dispatch_id 0
		.amdhsa_user_sgpr_kernarg_preload_length 0
		.amdhsa_user_sgpr_kernarg_preload_offset 0
		.amdhsa_user_sgpr_private_segment_size 0
		.amdhsa_uses_dynamic_stack 0
		.amdhsa_enable_private_segment 0
		.amdhsa_system_sgpr_workgroup_id_x 1
		.amdhsa_system_sgpr_workgroup_id_y 0
		.amdhsa_system_sgpr_workgroup_id_z 0
		.amdhsa_system_sgpr_workgroup_info 0
		.amdhsa_system_vgpr_workitem_id 0
		.amdhsa_next_free_vgpr 1
		.amdhsa_next_free_sgpr 0
		.amdhsa_accum_offset 4
		.amdhsa_reserve_vcc 0
		.amdhsa_float_round_mode_32 0
		.amdhsa_float_round_mode_16_64 0
		.amdhsa_float_denorm_mode_32 3
		.amdhsa_float_denorm_mode_16_64 3
		.amdhsa_dx10_clamp 1
		.amdhsa_ieee_mode 1
		.amdhsa_fp16_overflow 0
		.amdhsa_tg_split 0
		.amdhsa_exception_fp_ieee_invalid_op 0
		.amdhsa_exception_fp_denorm_src 0
		.amdhsa_exception_fp_ieee_div_zero 0
		.amdhsa_exception_fp_ieee_overflow 0
		.amdhsa_exception_fp_ieee_underflow 0
		.amdhsa_exception_fp_ieee_inexact 0
		.amdhsa_exception_int_div_zero 0
	.end_amdhsa_kernel
	.section	.text._ZN7rocprim17ROCPRIM_400000_NS6detail17trampoline_kernelINS0_14default_configENS1_35radix_sort_onesweep_config_selectorIiNS0_10empty_typeEEEZZNS1_29radix_sort_onesweep_iterationIS3_Lb0EN6thrust23THRUST_200600_302600_NS6detail15normal_iteratorINS9_10device_ptrIiEEEESE_PS5_SF_jNS0_19identity_decomposerENS1_16block_id_wrapperIjLb1EEEEE10hipError_tT1_PNSt15iterator_traitsISK_E10value_typeET2_T3_PNSL_ISQ_E10value_typeET4_T5_PSV_SW_PNS1_23onesweep_lookback_stateEbbT6_jjT7_P12ihipStream_tbENKUlT_T0_SK_SP_E_clISE_PiSF_SF_EEDaS13_S14_SK_SP_EUlS13_E_NS1_11comp_targetILNS1_3genE8ELNS1_11target_archE1030ELNS1_3gpuE2ELNS1_3repE0EEENS1_47radix_sort_onesweep_sort_config_static_selectorELNS0_4arch9wavefront6targetE1EEEvSK_,"axG",@progbits,_ZN7rocprim17ROCPRIM_400000_NS6detail17trampoline_kernelINS0_14default_configENS1_35radix_sort_onesweep_config_selectorIiNS0_10empty_typeEEEZZNS1_29radix_sort_onesweep_iterationIS3_Lb0EN6thrust23THRUST_200600_302600_NS6detail15normal_iteratorINS9_10device_ptrIiEEEESE_PS5_SF_jNS0_19identity_decomposerENS1_16block_id_wrapperIjLb1EEEEE10hipError_tT1_PNSt15iterator_traitsISK_E10value_typeET2_T3_PNSL_ISQ_E10value_typeET4_T5_PSV_SW_PNS1_23onesweep_lookback_stateEbbT6_jjT7_P12ihipStream_tbENKUlT_T0_SK_SP_E_clISE_PiSF_SF_EEDaS13_S14_SK_SP_EUlS13_E_NS1_11comp_targetILNS1_3genE8ELNS1_11target_archE1030ELNS1_3gpuE2ELNS1_3repE0EEENS1_47radix_sort_onesweep_sort_config_static_selectorELNS0_4arch9wavefront6targetE1EEEvSK_,comdat
.Lfunc_end1763:
	.size	_ZN7rocprim17ROCPRIM_400000_NS6detail17trampoline_kernelINS0_14default_configENS1_35radix_sort_onesweep_config_selectorIiNS0_10empty_typeEEEZZNS1_29radix_sort_onesweep_iterationIS3_Lb0EN6thrust23THRUST_200600_302600_NS6detail15normal_iteratorINS9_10device_ptrIiEEEESE_PS5_SF_jNS0_19identity_decomposerENS1_16block_id_wrapperIjLb1EEEEE10hipError_tT1_PNSt15iterator_traitsISK_E10value_typeET2_T3_PNSL_ISQ_E10value_typeET4_T5_PSV_SW_PNS1_23onesweep_lookback_stateEbbT6_jjT7_P12ihipStream_tbENKUlT_T0_SK_SP_E_clISE_PiSF_SF_EEDaS13_S14_SK_SP_EUlS13_E_NS1_11comp_targetILNS1_3genE8ELNS1_11target_archE1030ELNS1_3gpuE2ELNS1_3repE0EEENS1_47radix_sort_onesweep_sort_config_static_selectorELNS0_4arch9wavefront6targetE1EEEvSK_, .Lfunc_end1763-_ZN7rocprim17ROCPRIM_400000_NS6detail17trampoline_kernelINS0_14default_configENS1_35radix_sort_onesweep_config_selectorIiNS0_10empty_typeEEEZZNS1_29radix_sort_onesweep_iterationIS3_Lb0EN6thrust23THRUST_200600_302600_NS6detail15normal_iteratorINS9_10device_ptrIiEEEESE_PS5_SF_jNS0_19identity_decomposerENS1_16block_id_wrapperIjLb1EEEEE10hipError_tT1_PNSt15iterator_traitsISK_E10value_typeET2_T3_PNSL_ISQ_E10value_typeET4_T5_PSV_SW_PNS1_23onesweep_lookback_stateEbbT6_jjT7_P12ihipStream_tbENKUlT_T0_SK_SP_E_clISE_PiSF_SF_EEDaS13_S14_SK_SP_EUlS13_E_NS1_11comp_targetILNS1_3genE8ELNS1_11target_archE1030ELNS1_3gpuE2ELNS1_3repE0EEENS1_47radix_sort_onesweep_sort_config_static_selectorELNS0_4arch9wavefront6targetE1EEEvSK_
                                        ; -- End function
	.section	.AMDGPU.csdata,"",@progbits
; Kernel info:
; codeLenInByte = 0
; NumSgprs: 6
; NumVgprs: 0
; NumAgprs: 0
; TotalNumVgprs: 0
; ScratchSize: 0
; MemoryBound: 0
; FloatMode: 240
; IeeeMode: 1
; LDSByteSize: 0 bytes/workgroup (compile time only)
; SGPRBlocks: 0
; VGPRBlocks: 0
; NumSGPRsForWavesPerEU: 6
; NumVGPRsForWavesPerEU: 1
; AccumOffset: 4
; Occupancy: 8
; WaveLimiterHint : 0
; COMPUTE_PGM_RSRC2:SCRATCH_EN: 0
; COMPUTE_PGM_RSRC2:USER_SGPR: 2
; COMPUTE_PGM_RSRC2:TRAP_HANDLER: 0
; COMPUTE_PGM_RSRC2:TGID_X_EN: 1
; COMPUTE_PGM_RSRC2:TGID_Y_EN: 0
; COMPUTE_PGM_RSRC2:TGID_Z_EN: 0
; COMPUTE_PGM_RSRC2:TIDIG_COMP_CNT: 0
; COMPUTE_PGM_RSRC3_GFX90A:ACCUM_OFFSET: 0
; COMPUTE_PGM_RSRC3_GFX90A:TG_SPLIT: 0
	.section	.text._ZN7rocprim17ROCPRIM_400000_NS6detail17trampoline_kernelINS0_14default_configENS1_35radix_sort_onesweep_config_selectorIiNS0_10empty_typeEEEZZNS1_29radix_sort_onesweep_iterationIS3_Lb0EN6thrust23THRUST_200600_302600_NS6detail15normal_iteratorINS9_10device_ptrIiEEEESE_PS5_SF_jNS0_19identity_decomposerENS1_16block_id_wrapperIjLb1EEEEE10hipError_tT1_PNSt15iterator_traitsISK_E10value_typeET2_T3_PNSL_ISQ_E10value_typeET4_T5_PSV_SW_PNS1_23onesweep_lookback_stateEbbT6_jjT7_P12ihipStream_tbENKUlT_T0_SK_SP_E_clIPiSE_SF_SF_EEDaS13_S14_SK_SP_EUlS13_E_NS1_11comp_targetILNS1_3genE0ELNS1_11target_archE4294967295ELNS1_3gpuE0ELNS1_3repE0EEENS1_47radix_sort_onesweep_sort_config_static_selectorELNS0_4arch9wavefront6targetE1EEEvSK_,"axG",@progbits,_ZN7rocprim17ROCPRIM_400000_NS6detail17trampoline_kernelINS0_14default_configENS1_35radix_sort_onesweep_config_selectorIiNS0_10empty_typeEEEZZNS1_29radix_sort_onesweep_iterationIS3_Lb0EN6thrust23THRUST_200600_302600_NS6detail15normal_iteratorINS9_10device_ptrIiEEEESE_PS5_SF_jNS0_19identity_decomposerENS1_16block_id_wrapperIjLb1EEEEE10hipError_tT1_PNSt15iterator_traitsISK_E10value_typeET2_T3_PNSL_ISQ_E10value_typeET4_T5_PSV_SW_PNS1_23onesweep_lookback_stateEbbT6_jjT7_P12ihipStream_tbENKUlT_T0_SK_SP_E_clIPiSE_SF_SF_EEDaS13_S14_SK_SP_EUlS13_E_NS1_11comp_targetILNS1_3genE0ELNS1_11target_archE4294967295ELNS1_3gpuE0ELNS1_3repE0EEENS1_47radix_sort_onesweep_sort_config_static_selectorELNS0_4arch9wavefront6targetE1EEEvSK_,comdat
	.protected	_ZN7rocprim17ROCPRIM_400000_NS6detail17trampoline_kernelINS0_14default_configENS1_35radix_sort_onesweep_config_selectorIiNS0_10empty_typeEEEZZNS1_29radix_sort_onesweep_iterationIS3_Lb0EN6thrust23THRUST_200600_302600_NS6detail15normal_iteratorINS9_10device_ptrIiEEEESE_PS5_SF_jNS0_19identity_decomposerENS1_16block_id_wrapperIjLb1EEEEE10hipError_tT1_PNSt15iterator_traitsISK_E10value_typeET2_T3_PNSL_ISQ_E10value_typeET4_T5_PSV_SW_PNS1_23onesweep_lookback_stateEbbT6_jjT7_P12ihipStream_tbENKUlT_T0_SK_SP_E_clIPiSE_SF_SF_EEDaS13_S14_SK_SP_EUlS13_E_NS1_11comp_targetILNS1_3genE0ELNS1_11target_archE4294967295ELNS1_3gpuE0ELNS1_3repE0EEENS1_47radix_sort_onesweep_sort_config_static_selectorELNS0_4arch9wavefront6targetE1EEEvSK_ ; -- Begin function _ZN7rocprim17ROCPRIM_400000_NS6detail17trampoline_kernelINS0_14default_configENS1_35radix_sort_onesweep_config_selectorIiNS0_10empty_typeEEEZZNS1_29radix_sort_onesweep_iterationIS3_Lb0EN6thrust23THRUST_200600_302600_NS6detail15normal_iteratorINS9_10device_ptrIiEEEESE_PS5_SF_jNS0_19identity_decomposerENS1_16block_id_wrapperIjLb1EEEEE10hipError_tT1_PNSt15iterator_traitsISK_E10value_typeET2_T3_PNSL_ISQ_E10value_typeET4_T5_PSV_SW_PNS1_23onesweep_lookback_stateEbbT6_jjT7_P12ihipStream_tbENKUlT_T0_SK_SP_E_clIPiSE_SF_SF_EEDaS13_S14_SK_SP_EUlS13_E_NS1_11comp_targetILNS1_3genE0ELNS1_11target_archE4294967295ELNS1_3gpuE0ELNS1_3repE0EEENS1_47radix_sort_onesweep_sort_config_static_selectorELNS0_4arch9wavefront6targetE1EEEvSK_
	.globl	_ZN7rocprim17ROCPRIM_400000_NS6detail17trampoline_kernelINS0_14default_configENS1_35radix_sort_onesweep_config_selectorIiNS0_10empty_typeEEEZZNS1_29radix_sort_onesweep_iterationIS3_Lb0EN6thrust23THRUST_200600_302600_NS6detail15normal_iteratorINS9_10device_ptrIiEEEESE_PS5_SF_jNS0_19identity_decomposerENS1_16block_id_wrapperIjLb1EEEEE10hipError_tT1_PNSt15iterator_traitsISK_E10value_typeET2_T3_PNSL_ISQ_E10value_typeET4_T5_PSV_SW_PNS1_23onesweep_lookback_stateEbbT6_jjT7_P12ihipStream_tbENKUlT_T0_SK_SP_E_clIPiSE_SF_SF_EEDaS13_S14_SK_SP_EUlS13_E_NS1_11comp_targetILNS1_3genE0ELNS1_11target_archE4294967295ELNS1_3gpuE0ELNS1_3repE0EEENS1_47radix_sort_onesweep_sort_config_static_selectorELNS0_4arch9wavefront6targetE1EEEvSK_
	.p2align	8
	.type	_ZN7rocprim17ROCPRIM_400000_NS6detail17trampoline_kernelINS0_14default_configENS1_35radix_sort_onesweep_config_selectorIiNS0_10empty_typeEEEZZNS1_29radix_sort_onesweep_iterationIS3_Lb0EN6thrust23THRUST_200600_302600_NS6detail15normal_iteratorINS9_10device_ptrIiEEEESE_PS5_SF_jNS0_19identity_decomposerENS1_16block_id_wrapperIjLb1EEEEE10hipError_tT1_PNSt15iterator_traitsISK_E10value_typeET2_T3_PNSL_ISQ_E10value_typeET4_T5_PSV_SW_PNS1_23onesweep_lookback_stateEbbT6_jjT7_P12ihipStream_tbENKUlT_T0_SK_SP_E_clIPiSE_SF_SF_EEDaS13_S14_SK_SP_EUlS13_E_NS1_11comp_targetILNS1_3genE0ELNS1_11target_archE4294967295ELNS1_3gpuE0ELNS1_3repE0EEENS1_47radix_sort_onesweep_sort_config_static_selectorELNS0_4arch9wavefront6targetE1EEEvSK_,@function
_ZN7rocprim17ROCPRIM_400000_NS6detail17trampoline_kernelINS0_14default_configENS1_35radix_sort_onesweep_config_selectorIiNS0_10empty_typeEEEZZNS1_29radix_sort_onesweep_iterationIS3_Lb0EN6thrust23THRUST_200600_302600_NS6detail15normal_iteratorINS9_10device_ptrIiEEEESE_PS5_SF_jNS0_19identity_decomposerENS1_16block_id_wrapperIjLb1EEEEE10hipError_tT1_PNSt15iterator_traitsISK_E10value_typeET2_T3_PNSL_ISQ_E10value_typeET4_T5_PSV_SW_PNS1_23onesweep_lookback_stateEbbT6_jjT7_P12ihipStream_tbENKUlT_T0_SK_SP_E_clIPiSE_SF_SF_EEDaS13_S14_SK_SP_EUlS13_E_NS1_11comp_targetILNS1_3genE0ELNS1_11target_archE4294967295ELNS1_3gpuE0ELNS1_3repE0EEENS1_47radix_sort_onesweep_sort_config_static_selectorELNS0_4arch9wavefront6targetE1EEEvSK_: ; @_ZN7rocprim17ROCPRIM_400000_NS6detail17trampoline_kernelINS0_14default_configENS1_35radix_sort_onesweep_config_selectorIiNS0_10empty_typeEEEZZNS1_29radix_sort_onesweep_iterationIS3_Lb0EN6thrust23THRUST_200600_302600_NS6detail15normal_iteratorINS9_10device_ptrIiEEEESE_PS5_SF_jNS0_19identity_decomposerENS1_16block_id_wrapperIjLb1EEEEE10hipError_tT1_PNSt15iterator_traitsISK_E10value_typeET2_T3_PNSL_ISQ_E10value_typeET4_T5_PSV_SW_PNS1_23onesweep_lookback_stateEbbT6_jjT7_P12ihipStream_tbENKUlT_T0_SK_SP_E_clIPiSE_SF_SF_EEDaS13_S14_SK_SP_EUlS13_E_NS1_11comp_targetILNS1_3genE0ELNS1_11target_archE4294967295ELNS1_3gpuE0ELNS1_3repE0EEENS1_47radix_sort_onesweep_sort_config_static_selectorELNS0_4arch9wavefront6targetE1EEEvSK_
; %bb.0:
	.section	.rodata,"a",@progbits
	.p2align	6, 0x0
	.amdhsa_kernel _ZN7rocprim17ROCPRIM_400000_NS6detail17trampoline_kernelINS0_14default_configENS1_35radix_sort_onesweep_config_selectorIiNS0_10empty_typeEEEZZNS1_29radix_sort_onesweep_iterationIS3_Lb0EN6thrust23THRUST_200600_302600_NS6detail15normal_iteratorINS9_10device_ptrIiEEEESE_PS5_SF_jNS0_19identity_decomposerENS1_16block_id_wrapperIjLb1EEEEE10hipError_tT1_PNSt15iterator_traitsISK_E10value_typeET2_T3_PNSL_ISQ_E10value_typeET4_T5_PSV_SW_PNS1_23onesweep_lookback_stateEbbT6_jjT7_P12ihipStream_tbENKUlT_T0_SK_SP_E_clIPiSE_SF_SF_EEDaS13_S14_SK_SP_EUlS13_E_NS1_11comp_targetILNS1_3genE0ELNS1_11target_archE4294967295ELNS1_3gpuE0ELNS1_3repE0EEENS1_47radix_sort_onesweep_sort_config_static_selectorELNS0_4arch9wavefront6targetE1EEEvSK_
		.amdhsa_group_segment_fixed_size 0
		.amdhsa_private_segment_fixed_size 0
		.amdhsa_kernarg_size 88
		.amdhsa_user_sgpr_count 2
		.amdhsa_user_sgpr_dispatch_ptr 0
		.amdhsa_user_sgpr_queue_ptr 0
		.amdhsa_user_sgpr_kernarg_segment_ptr 1
		.amdhsa_user_sgpr_dispatch_id 0
		.amdhsa_user_sgpr_kernarg_preload_length 0
		.amdhsa_user_sgpr_kernarg_preload_offset 0
		.amdhsa_user_sgpr_private_segment_size 0
		.amdhsa_uses_dynamic_stack 0
		.amdhsa_enable_private_segment 0
		.amdhsa_system_sgpr_workgroup_id_x 1
		.amdhsa_system_sgpr_workgroup_id_y 0
		.amdhsa_system_sgpr_workgroup_id_z 0
		.amdhsa_system_sgpr_workgroup_info 0
		.amdhsa_system_vgpr_workitem_id 0
		.amdhsa_next_free_vgpr 1
		.amdhsa_next_free_sgpr 0
		.amdhsa_accum_offset 4
		.amdhsa_reserve_vcc 0
		.amdhsa_float_round_mode_32 0
		.amdhsa_float_round_mode_16_64 0
		.amdhsa_float_denorm_mode_32 3
		.amdhsa_float_denorm_mode_16_64 3
		.amdhsa_dx10_clamp 1
		.amdhsa_ieee_mode 1
		.amdhsa_fp16_overflow 0
		.amdhsa_tg_split 0
		.amdhsa_exception_fp_ieee_invalid_op 0
		.amdhsa_exception_fp_denorm_src 0
		.amdhsa_exception_fp_ieee_div_zero 0
		.amdhsa_exception_fp_ieee_overflow 0
		.amdhsa_exception_fp_ieee_underflow 0
		.amdhsa_exception_fp_ieee_inexact 0
		.amdhsa_exception_int_div_zero 0
	.end_amdhsa_kernel
	.section	.text._ZN7rocprim17ROCPRIM_400000_NS6detail17trampoline_kernelINS0_14default_configENS1_35radix_sort_onesweep_config_selectorIiNS0_10empty_typeEEEZZNS1_29radix_sort_onesweep_iterationIS3_Lb0EN6thrust23THRUST_200600_302600_NS6detail15normal_iteratorINS9_10device_ptrIiEEEESE_PS5_SF_jNS0_19identity_decomposerENS1_16block_id_wrapperIjLb1EEEEE10hipError_tT1_PNSt15iterator_traitsISK_E10value_typeET2_T3_PNSL_ISQ_E10value_typeET4_T5_PSV_SW_PNS1_23onesweep_lookback_stateEbbT6_jjT7_P12ihipStream_tbENKUlT_T0_SK_SP_E_clIPiSE_SF_SF_EEDaS13_S14_SK_SP_EUlS13_E_NS1_11comp_targetILNS1_3genE0ELNS1_11target_archE4294967295ELNS1_3gpuE0ELNS1_3repE0EEENS1_47radix_sort_onesweep_sort_config_static_selectorELNS0_4arch9wavefront6targetE1EEEvSK_,"axG",@progbits,_ZN7rocprim17ROCPRIM_400000_NS6detail17trampoline_kernelINS0_14default_configENS1_35radix_sort_onesweep_config_selectorIiNS0_10empty_typeEEEZZNS1_29radix_sort_onesweep_iterationIS3_Lb0EN6thrust23THRUST_200600_302600_NS6detail15normal_iteratorINS9_10device_ptrIiEEEESE_PS5_SF_jNS0_19identity_decomposerENS1_16block_id_wrapperIjLb1EEEEE10hipError_tT1_PNSt15iterator_traitsISK_E10value_typeET2_T3_PNSL_ISQ_E10value_typeET4_T5_PSV_SW_PNS1_23onesweep_lookback_stateEbbT6_jjT7_P12ihipStream_tbENKUlT_T0_SK_SP_E_clIPiSE_SF_SF_EEDaS13_S14_SK_SP_EUlS13_E_NS1_11comp_targetILNS1_3genE0ELNS1_11target_archE4294967295ELNS1_3gpuE0ELNS1_3repE0EEENS1_47radix_sort_onesweep_sort_config_static_selectorELNS0_4arch9wavefront6targetE1EEEvSK_,comdat
.Lfunc_end1764:
	.size	_ZN7rocprim17ROCPRIM_400000_NS6detail17trampoline_kernelINS0_14default_configENS1_35radix_sort_onesweep_config_selectorIiNS0_10empty_typeEEEZZNS1_29radix_sort_onesweep_iterationIS3_Lb0EN6thrust23THRUST_200600_302600_NS6detail15normal_iteratorINS9_10device_ptrIiEEEESE_PS5_SF_jNS0_19identity_decomposerENS1_16block_id_wrapperIjLb1EEEEE10hipError_tT1_PNSt15iterator_traitsISK_E10value_typeET2_T3_PNSL_ISQ_E10value_typeET4_T5_PSV_SW_PNS1_23onesweep_lookback_stateEbbT6_jjT7_P12ihipStream_tbENKUlT_T0_SK_SP_E_clIPiSE_SF_SF_EEDaS13_S14_SK_SP_EUlS13_E_NS1_11comp_targetILNS1_3genE0ELNS1_11target_archE4294967295ELNS1_3gpuE0ELNS1_3repE0EEENS1_47radix_sort_onesweep_sort_config_static_selectorELNS0_4arch9wavefront6targetE1EEEvSK_, .Lfunc_end1764-_ZN7rocprim17ROCPRIM_400000_NS6detail17trampoline_kernelINS0_14default_configENS1_35radix_sort_onesweep_config_selectorIiNS0_10empty_typeEEEZZNS1_29radix_sort_onesweep_iterationIS3_Lb0EN6thrust23THRUST_200600_302600_NS6detail15normal_iteratorINS9_10device_ptrIiEEEESE_PS5_SF_jNS0_19identity_decomposerENS1_16block_id_wrapperIjLb1EEEEE10hipError_tT1_PNSt15iterator_traitsISK_E10value_typeET2_T3_PNSL_ISQ_E10value_typeET4_T5_PSV_SW_PNS1_23onesweep_lookback_stateEbbT6_jjT7_P12ihipStream_tbENKUlT_T0_SK_SP_E_clIPiSE_SF_SF_EEDaS13_S14_SK_SP_EUlS13_E_NS1_11comp_targetILNS1_3genE0ELNS1_11target_archE4294967295ELNS1_3gpuE0ELNS1_3repE0EEENS1_47radix_sort_onesweep_sort_config_static_selectorELNS0_4arch9wavefront6targetE1EEEvSK_
                                        ; -- End function
	.section	.AMDGPU.csdata,"",@progbits
; Kernel info:
; codeLenInByte = 0
; NumSgprs: 6
; NumVgprs: 0
; NumAgprs: 0
; TotalNumVgprs: 0
; ScratchSize: 0
; MemoryBound: 0
; FloatMode: 240
; IeeeMode: 1
; LDSByteSize: 0 bytes/workgroup (compile time only)
; SGPRBlocks: 0
; VGPRBlocks: 0
; NumSGPRsForWavesPerEU: 6
; NumVGPRsForWavesPerEU: 1
; AccumOffset: 4
; Occupancy: 8
; WaveLimiterHint : 0
; COMPUTE_PGM_RSRC2:SCRATCH_EN: 0
; COMPUTE_PGM_RSRC2:USER_SGPR: 2
; COMPUTE_PGM_RSRC2:TRAP_HANDLER: 0
; COMPUTE_PGM_RSRC2:TGID_X_EN: 1
; COMPUTE_PGM_RSRC2:TGID_Y_EN: 0
; COMPUTE_PGM_RSRC2:TGID_Z_EN: 0
; COMPUTE_PGM_RSRC2:TIDIG_COMP_CNT: 0
; COMPUTE_PGM_RSRC3_GFX90A:ACCUM_OFFSET: 0
; COMPUTE_PGM_RSRC3_GFX90A:TG_SPLIT: 0
	.section	.text._ZN7rocprim17ROCPRIM_400000_NS6detail17trampoline_kernelINS0_14default_configENS1_35radix_sort_onesweep_config_selectorIiNS0_10empty_typeEEEZZNS1_29radix_sort_onesweep_iterationIS3_Lb0EN6thrust23THRUST_200600_302600_NS6detail15normal_iteratorINS9_10device_ptrIiEEEESE_PS5_SF_jNS0_19identity_decomposerENS1_16block_id_wrapperIjLb1EEEEE10hipError_tT1_PNSt15iterator_traitsISK_E10value_typeET2_T3_PNSL_ISQ_E10value_typeET4_T5_PSV_SW_PNS1_23onesweep_lookback_stateEbbT6_jjT7_P12ihipStream_tbENKUlT_T0_SK_SP_E_clIPiSE_SF_SF_EEDaS13_S14_SK_SP_EUlS13_E_NS1_11comp_targetILNS1_3genE6ELNS1_11target_archE950ELNS1_3gpuE13ELNS1_3repE0EEENS1_47radix_sort_onesweep_sort_config_static_selectorELNS0_4arch9wavefront6targetE1EEEvSK_,"axG",@progbits,_ZN7rocprim17ROCPRIM_400000_NS6detail17trampoline_kernelINS0_14default_configENS1_35radix_sort_onesweep_config_selectorIiNS0_10empty_typeEEEZZNS1_29radix_sort_onesweep_iterationIS3_Lb0EN6thrust23THRUST_200600_302600_NS6detail15normal_iteratorINS9_10device_ptrIiEEEESE_PS5_SF_jNS0_19identity_decomposerENS1_16block_id_wrapperIjLb1EEEEE10hipError_tT1_PNSt15iterator_traitsISK_E10value_typeET2_T3_PNSL_ISQ_E10value_typeET4_T5_PSV_SW_PNS1_23onesweep_lookback_stateEbbT6_jjT7_P12ihipStream_tbENKUlT_T0_SK_SP_E_clIPiSE_SF_SF_EEDaS13_S14_SK_SP_EUlS13_E_NS1_11comp_targetILNS1_3genE6ELNS1_11target_archE950ELNS1_3gpuE13ELNS1_3repE0EEENS1_47radix_sort_onesweep_sort_config_static_selectorELNS0_4arch9wavefront6targetE1EEEvSK_,comdat
	.protected	_ZN7rocprim17ROCPRIM_400000_NS6detail17trampoline_kernelINS0_14default_configENS1_35radix_sort_onesweep_config_selectorIiNS0_10empty_typeEEEZZNS1_29radix_sort_onesweep_iterationIS3_Lb0EN6thrust23THRUST_200600_302600_NS6detail15normal_iteratorINS9_10device_ptrIiEEEESE_PS5_SF_jNS0_19identity_decomposerENS1_16block_id_wrapperIjLb1EEEEE10hipError_tT1_PNSt15iterator_traitsISK_E10value_typeET2_T3_PNSL_ISQ_E10value_typeET4_T5_PSV_SW_PNS1_23onesweep_lookback_stateEbbT6_jjT7_P12ihipStream_tbENKUlT_T0_SK_SP_E_clIPiSE_SF_SF_EEDaS13_S14_SK_SP_EUlS13_E_NS1_11comp_targetILNS1_3genE6ELNS1_11target_archE950ELNS1_3gpuE13ELNS1_3repE0EEENS1_47radix_sort_onesweep_sort_config_static_selectorELNS0_4arch9wavefront6targetE1EEEvSK_ ; -- Begin function _ZN7rocprim17ROCPRIM_400000_NS6detail17trampoline_kernelINS0_14default_configENS1_35radix_sort_onesweep_config_selectorIiNS0_10empty_typeEEEZZNS1_29radix_sort_onesweep_iterationIS3_Lb0EN6thrust23THRUST_200600_302600_NS6detail15normal_iteratorINS9_10device_ptrIiEEEESE_PS5_SF_jNS0_19identity_decomposerENS1_16block_id_wrapperIjLb1EEEEE10hipError_tT1_PNSt15iterator_traitsISK_E10value_typeET2_T3_PNSL_ISQ_E10value_typeET4_T5_PSV_SW_PNS1_23onesweep_lookback_stateEbbT6_jjT7_P12ihipStream_tbENKUlT_T0_SK_SP_E_clIPiSE_SF_SF_EEDaS13_S14_SK_SP_EUlS13_E_NS1_11comp_targetILNS1_3genE6ELNS1_11target_archE950ELNS1_3gpuE13ELNS1_3repE0EEENS1_47radix_sort_onesweep_sort_config_static_selectorELNS0_4arch9wavefront6targetE1EEEvSK_
	.globl	_ZN7rocprim17ROCPRIM_400000_NS6detail17trampoline_kernelINS0_14default_configENS1_35radix_sort_onesweep_config_selectorIiNS0_10empty_typeEEEZZNS1_29radix_sort_onesweep_iterationIS3_Lb0EN6thrust23THRUST_200600_302600_NS6detail15normal_iteratorINS9_10device_ptrIiEEEESE_PS5_SF_jNS0_19identity_decomposerENS1_16block_id_wrapperIjLb1EEEEE10hipError_tT1_PNSt15iterator_traitsISK_E10value_typeET2_T3_PNSL_ISQ_E10value_typeET4_T5_PSV_SW_PNS1_23onesweep_lookback_stateEbbT6_jjT7_P12ihipStream_tbENKUlT_T0_SK_SP_E_clIPiSE_SF_SF_EEDaS13_S14_SK_SP_EUlS13_E_NS1_11comp_targetILNS1_3genE6ELNS1_11target_archE950ELNS1_3gpuE13ELNS1_3repE0EEENS1_47radix_sort_onesweep_sort_config_static_selectorELNS0_4arch9wavefront6targetE1EEEvSK_
	.p2align	8
	.type	_ZN7rocprim17ROCPRIM_400000_NS6detail17trampoline_kernelINS0_14default_configENS1_35radix_sort_onesweep_config_selectorIiNS0_10empty_typeEEEZZNS1_29radix_sort_onesweep_iterationIS3_Lb0EN6thrust23THRUST_200600_302600_NS6detail15normal_iteratorINS9_10device_ptrIiEEEESE_PS5_SF_jNS0_19identity_decomposerENS1_16block_id_wrapperIjLb1EEEEE10hipError_tT1_PNSt15iterator_traitsISK_E10value_typeET2_T3_PNSL_ISQ_E10value_typeET4_T5_PSV_SW_PNS1_23onesweep_lookback_stateEbbT6_jjT7_P12ihipStream_tbENKUlT_T0_SK_SP_E_clIPiSE_SF_SF_EEDaS13_S14_SK_SP_EUlS13_E_NS1_11comp_targetILNS1_3genE6ELNS1_11target_archE950ELNS1_3gpuE13ELNS1_3repE0EEENS1_47radix_sort_onesweep_sort_config_static_selectorELNS0_4arch9wavefront6targetE1EEEvSK_,@function
_ZN7rocprim17ROCPRIM_400000_NS6detail17trampoline_kernelINS0_14default_configENS1_35radix_sort_onesweep_config_selectorIiNS0_10empty_typeEEEZZNS1_29radix_sort_onesweep_iterationIS3_Lb0EN6thrust23THRUST_200600_302600_NS6detail15normal_iteratorINS9_10device_ptrIiEEEESE_PS5_SF_jNS0_19identity_decomposerENS1_16block_id_wrapperIjLb1EEEEE10hipError_tT1_PNSt15iterator_traitsISK_E10value_typeET2_T3_PNSL_ISQ_E10value_typeET4_T5_PSV_SW_PNS1_23onesweep_lookback_stateEbbT6_jjT7_P12ihipStream_tbENKUlT_T0_SK_SP_E_clIPiSE_SF_SF_EEDaS13_S14_SK_SP_EUlS13_E_NS1_11comp_targetILNS1_3genE6ELNS1_11target_archE950ELNS1_3gpuE13ELNS1_3repE0EEENS1_47radix_sort_onesweep_sort_config_static_selectorELNS0_4arch9wavefront6targetE1EEEvSK_: ; @_ZN7rocprim17ROCPRIM_400000_NS6detail17trampoline_kernelINS0_14default_configENS1_35radix_sort_onesweep_config_selectorIiNS0_10empty_typeEEEZZNS1_29radix_sort_onesweep_iterationIS3_Lb0EN6thrust23THRUST_200600_302600_NS6detail15normal_iteratorINS9_10device_ptrIiEEEESE_PS5_SF_jNS0_19identity_decomposerENS1_16block_id_wrapperIjLb1EEEEE10hipError_tT1_PNSt15iterator_traitsISK_E10value_typeET2_T3_PNSL_ISQ_E10value_typeET4_T5_PSV_SW_PNS1_23onesweep_lookback_stateEbbT6_jjT7_P12ihipStream_tbENKUlT_T0_SK_SP_E_clIPiSE_SF_SF_EEDaS13_S14_SK_SP_EUlS13_E_NS1_11comp_targetILNS1_3genE6ELNS1_11target_archE950ELNS1_3gpuE13ELNS1_3repE0EEENS1_47radix_sort_onesweep_sort_config_static_selectorELNS0_4arch9wavefront6targetE1EEEvSK_
; %bb.0:
	.section	.rodata,"a",@progbits
	.p2align	6, 0x0
	.amdhsa_kernel _ZN7rocprim17ROCPRIM_400000_NS6detail17trampoline_kernelINS0_14default_configENS1_35radix_sort_onesweep_config_selectorIiNS0_10empty_typeEEEZZNS1_29radix_sort_onesweep_iterationIS3_Lb0EN6thrust23THRUST_200600_302600_NS6detail15normal_iteratorINS9_10device_ptrIiEEEESE_PS5_SF_jNS0_19identity_decomposerENS1_16block_id_wrapperIjLb1EEEEE10hipError_tT1_PNSt15iterator_traitsISK_E10value_typeET2_T3_PNSL_ISQ_E10value_typeET4_T5_PSV_SW_PNS1_23onesweep_lookback_stateEbbT6_jjT7_P12ihipStream_tbENKUlT_T0_SK_SP_E_clIPiSE_SF_SF_EEDaS13_S14_SK_SP_EUlS13_E_NS1_11comp_targetILNS1_3genE6ELNS1_11target_archE950ELNS1_3gpuE13ELNS1_3repE0EEENS1_47radix_sort_onesweep_sort_config_static_selectorELNS0_4arch9wavefront6targetE1EEEvSK_
		.amdhsa_group_segment_fixed_size 0
		.amdhsa_private_segment_fixed_size 0
		.amdhsa_kernarg_size 88
		.amdhsa_user_sgpr_count 2
		.amdhsa_user_sgpr_dispatch_ptr 0
		.amdhsa_user_sgpr_queue_ptr 0
		.amdhsa_user_sgpr_kernarg_segment_ptr 1
		.amdhsa_user_sgpr_dispatch_id 0
		.amdhsa_user_sgpr_kernarg_preload_length 0
		.amdhsa_user_sgpr_kernarg_preload_offset 0
		.amdhsa_user_sgpr_private_segment_size 0
		.amdhsa_uses_dynamic_stack 0
		.amdhsa_enable_private_segment 0
		.amdhsa_system_sgpr_workgroup_id_x 1
		.amdhsa_system_sgpr_workgroup_id_y 0
		.amdhsa_system_sgpr_workgroup_id_z 0
		.amdhsa_system_sgpr_workgroup_info 0
		.amdhsa_system_vgpr_workitem_id 0
		.amdhsa_next_free_vgpr 1
		.amdhsa_next_free_sgpr 0
		.amdhsa_accum_offset 4
		.amdhsa_reserve_vcc 0
		.amdhsa_float_round_mode_32 0
		.amdhsa_float_round_mode_16_64 0
		.amdhsa_float_denorm_mode_32 3
		.amdhsa_float_denorm_mode_16_64 3
		.amdhsa_dx10_clamp 1
		.amdhsa_ieee_mode 1
		.amdhsa_fp16_overflow 0
		.amdhsa_tg_split 0
		.amdhsa_exception_fp_ieee_invalid_op 0
		.amdhsa_exception_fp_denorm_src 0
		.amdhsa_exception_fp_ieee_div_zero 0
		.amdhsa_exception_fp_ieee_overflow 0
		.amdhsa_exception_fp_ieee_underflow 0
		.amdhsa_exception_fp_ieee_inexact 0
		.amdhsa_exception_int_div_zero 0
	.end_amdhsa_kernel
	.section	.text._ZN7rocprim17ROCPRIM_400000_NS6detail17trampoline_kernelINS0_14default_configENS1_35radix_sort_onesweep_config_selectorIiNS0_10empty_typeEEEZZNS1_29radix_sort_onesweep_iterationIS3_Lb0EN6thrust23THRUST_200600_302600_NS6detail15normal_iteratorINS9_10device_ptrIiEEEESE_PS5_SF_jNS0_19identity_decomposerENS1_16block_id_wrapperIjLb1EEEEE10hipError_tT1_PNSt15iterator_traitsISK_E10value_typeET2_T3_PNSL_ISQ_E10value_typeET4_T5_PSV_SW_PNS1_23onesweep_lookback_stateEbbT6_jjT7_P12ihipStream_tbENKUlT_T0_SK_SP_E_clIPiSE_SF_SF_EEDaS13_S14_SK_SP_EUlS13_E_NS1_11comp_targetILNS1_3genE6ELNS1_11target_archE950ELNS1_3gpuE13ELNS1_3repE0EEENS1_47radix_sort_onesweep_sort_config_static_selectorELNS0_4arch9wavefront6targetE1EEEvSK_,"axG",@progbits,_ZN7rocprim17ROCPRIM_400000_NS6detail17trampoline_kernelINS0_14default_configENS1_35radix_sort_onesweep_config_selectorIiNS0_10empty_typeEEEZZNS1_29radix_sort_onesweep_iterationIS3_Lb0EN6thrust23THRUST_200600_302600_NS6detail15normal_iteratorINS9_10device_ptrIiEEEESE_PS5_SF_jNS0_19identity_decomposerENS1_16block_id_wrapperIjLb1EEEEE10hipError_tT1_PNSt15iterator_traitsISK_E10value_typeET2_T3_PNSL_ISQ_E10value_typeET4_T5_PSV_SW_PNS1_23onesweep_lookback_stateEbbT6_jjT7_P12ihipStream_tbENKUlT_T0_SK_SP_E_clIPiSE_SF_SF_EEDaS13_S14_SK_SP_EUlS13_E_NS1_11comp_targetILNS1_3genE6ELNS1_11target_archE950ELNS1_3gpuE13ELNS1_3repE0EEENS1_47radix_sort_onesweep_sort_config_static_selectorELNS0_4arch9wavefront6targetE1EEEvSK_,comdat
.Lfunc_end1765:
	.size	_ZN7rocprim17ROCPRIM_400000_NS6detail17trampoline_kernelINS0_14default_configENS1_35radix_sort_onesweep_config_selectorIiNS0_10empty_typeEEEZZNS1_29radix_sort_onesweep_iterationIS3_Lb0EN6thrust23THRUST_200600_302600_NS6detail15normal_iteratorINS9_10device_ptrIiEEEESE_PS5_SF_jNS0_19identity_decomposerENS1_16block_id_wrapperIjLb1EEEEE10hipError_tT1_PNSt15iterator_traitsISK_E10value_typeET2_T3_PNSL_ISQ_E10value_typeET4_T5_PSV_SW_PNS1_23onesweep_lookback_stateEbbT6_jjT7_P12ihipStream_tbENKUlT_T0_SK_SP_E_clIPiSE_SF_SF_EEDaS13_S14_SK_SP_EUlS13_E_NS1_11comp_targetILNS1_3genE6ELNS1_11target_archE950ELNS1_3gpuE13ELNS1_3repE0EEENS1_47radix_sort_onesweep_sort_config_static_selectorELNS0_4arch9wavefront6targetE1EEEvSK_, .Lfunc_end1765-_ZN7rocprim17ROCPRIM_400000_NS6detail17trampoline_kernelINS0_14default_configENS1_35radix_sort_onesweep_config_selectorIiNS0_10empty_typeEEEZZNS1_29radix_sort_onesweep_iterationIS3_Lb0EN6thrust23THRUST_200600_302600_NS6detail15normal_iteratorINS9_10device_ptrIiEEEESE_PS5_SF_jNS0_19identity_decomposerENS1_16block_id_wrapperIjLb1EEEEE10hipError_tT1_PNSt15iterator_traitsISK_E10value_typeET2_T3_PNSL_ISQ_E10value_typeET4_T5_PSV_SW_PNS1_23onesweep_lookback_stateEbbT6_jjT7_P12ihipStream_tbENKUlT_T0_SK_SP_E_clIPiSE_SF_SF_EEDaS13_S14_SK_SP_EUlS13_E_NS1_11comp_targetILNS1_3genE6ELNS1_11target_archE950ELNS1_3gpuE13ELNS1_3repE0EEENS1_47radix_sort_onesweep_sort_config_static_selectorELNS0_4arch9wavefront6targetE1EEEvSK_
                                        ; -- End function
	.section	.AMDGPU.csdata,"",@progbits
; Kernel info:
; codeLenInByte = 0
; NumSgprs: 6
; NumVgprs: 0
; NumAgprs: 0
; TotalNumVgprs: 0
; ScratchSize: 0
; MemoryBound: 0
; FloatMode: 240
; IeeeMode: 1
; LDSByteSize: 0 bytes/workgroup (compile time only)
; SGPRBlocks: 0
; VGPRBlocks: 0
; NumSGPRsForWavesPerEU: 6
; NumVGPRsForWavesPerEU: 1
; AccumOffset: 4
; Occupancy: 8
; WaveLimiterHint : 0
; COMPUTE_PGM_RSRC2:SCRATCH_EN: 0
; COMPUTE_PGM_RSRC2:USER_SGPR: 2
; COMPUTE_PGM_RSRC2:TRAP_HANDLER: 0
; COMPUTE_PGM_RSRC2:TGID_X_EN: 1
; COMPUTE_PGM_RSRC2:TGID_Y_EN: 0
; COMPUTE_PGM_RSRC2:TGID_Z_EN: 0
; COMPUTE_PGM_RSRC2:TIDIG_COMP_CNT: 0
; COMPUTE_PGM_RSRC3_GFX90A:ACCUM_OFFSET: 0
; COMPUTE_PGM_RSRC3_GFX90A:TG_SPLIT: 0
	.section	.text._ZN7rocprim17ROCPRIM_400000_NS6detail17trampoline_kernelINS0_14default_configENS1_35radix_sort_onesweep_config_selectorIiNS0_10empty_typeEEEZZNS1_29radix_sort_onesweep_iterationIS3_Lb0EN6thrust23THRUST_200600_302600_NS6detail15normal_iteratorINS9_10device_ptrIiEEEESE_PS5_SF_jNS0_19identity_decomposerENS1_16block_id_wrapperIjLb1EEEEE10hipError_tT1_PNSt15iterator_traitsISK_E10value_typeET2_T3_PNSL_ISQ_E10value_typeET4_T5_PSV_SW_PNS1_23onesweep_lookback_stateEbbT6_jjT7_P12ihipStream_tbENKUlT_T0_SK_SP_E_clIPiSE_SF_SF_EEDaS13_S14_SK_SP_EUlS13_E_NS1_11comp_targetILNS1_3genE5ELNS1_11target_archE942ELNS1_3gpuE9ELNS1_3repE0EEENS1_47radix_sort_onesweep_sort_config_static_selectorELNS0_4arch9wavefront6targetE1EEEvSK_,"axG",@progbits,_ZN7rocprim17ROCPRIM_400000_NS6detail17trampoline_kernelINS0_14default_configENS1_35radix_sort_onesweep_config_selectorIiNS0_10empty_typeEEEZZNS1_29radix_sort_onesweep_iterationIS3_Lb0EN6thrust23THRUST_200600_302600_NS6detail15normal_iteratorINS9_10device_ptrIiEEEESE_PS5_SF_jNS0_19identity_decomposerENS1_16block_id_wrapperIjLb1EEEEE10hipError_tT1_PNSt15iterator_traitsISK_E10value_typeET2_T3_PNSL_ISQ_E10value_typeET4_T5_PSV_SW_PNS1_23onesweep_lookback_stateEbbT6_jjT7_P12ihipStream_tbENKUlT_T0_SK_SP_E_clIPiSE_SF_SF_EEDaS13_S14_SK_SP_EUlS13_E_NS1_11comp_targetILNS1_3genE5ELNS1_11target_archE942ELNS1_3gpuE9ELNS1_3repE0EEENS1_47radix_sort_onesweep_sort_config_static_selectorELNS0_4arch9wavefront6targetE1EEEvSK_,comdat
	.protected	_ZN7rocprim17ROCPRIM_400000_NS6detail17trampoline_kernelINS0_14default_configENS1_35radix_sort_onesweep_config_selectorIiNS0_10empty_typeEEEZZNS1_29radix_sort_onesweep_iterationIS3_Lb0EN6thrust23THRUST_200600_302600_NS6detail15normal_iteratorINS9_10device_ptrIiEEEESE_PS5_SF_jNS0_19identity_decomposerENS1_16block_id_wrapperIjLb1EEEEE10hipError_tT1_PNSt15iterator_traitsISK_E10value_typeET2_T3_PNSL_ISQ_E10value_typeET4_T5_PSV_SW_PNS1_23onesweep_lookback_stateEbbT6_jjT7_P12ihipStream_tbENKUlT_T0_SK_SP_E_clIPiSE_SF_SF_EEDaS13_S14_SK_SP_EUlS13_E_NS1_11comp_targetILNS1_3genE5ELNS1_11target_archE942ELNS1_3gpuE9ELNS1_3repE0EEENS1_47radix_sort_onesweep_sort_config_static_selectorELNS0_4arch9wavefront6targetE1EEEvSK_ ; -- Begin function _ZN7rocprim17ROCPRIM_400000_NS6detail17trampoline_kernelINS0_14default_configENS1_35radix_sort_onesweep_config_selectorIiNS0_10empty_typeEEEZZNS1_29radix_sort_onesweep_iterationIS3_Lb0EN6thrust23THRUST_200600_302600_NS6detail15normal_iteratorINS9_10device_ptrIiEEEESE_PS5_SF_jNS0_19identity_decomposerENS1_16block_id_wrapperIjLb1EEEEE10hipError_tT1_PNSt15iterator_traitsISK_E10value_typeET2_T3_PNSL_ISQ_E10value_typeET4_T5_PSV_SW_PNS1_23onesweep_lookback_stateEbbT6_jjT7_P12ihipStream_tbENKUlT_T0_SK_SP_E_clIPiSE_SF_SF_EEDaS13_S14_SK_SP_EUlS13_E_NS1_11comp_targetILNS1_3genE5ELNS1_11target_archE942ELNS1_3gpuE9ELNS1_3repE0EEENS1_47radix_sort_onesweep_sort_config_static_selectorELNS0_4arch9wavefront6targetE1EEEvSK_
	.globl	_ZN7rocprim17ROCPRIM_400000_NS6detail17trampoline_kernelINS0_14default_configENS1_35radix_sort_onesweep_config_selectorIiNS0_10empty_typeEEEZZNS1_29radix_sort_onesweep_iterationIS3_Lb0EN6thrust23THRUST_200600_302600_NS6detail15normal_iteratorINS9_10device_ptrIiEEEESE_PS5_SF_jNS0_19identity_decomposerENS1_16block_id_wrapperIjLb1EEEEE10hipError_tT1_PNSt15iterator_traitsISK_E10value_typeET2_T3_PNSL_ISQ_E10value_typeET4_T5_PSV_SW_PNS1_23onesweep_lookback_stateEbbT6_jjT7_P12ihipStream_tbENKUlT_T0_SK_SP_E_clIPiSE_SF_SF_EEDaS13_S14_SK_SP_EUlS13_E_NS1_11comp_targetILNS1_3genE5ELNS1_11target_archE942ELNS1_3gpuE9ELNS1_3repE0EEENS1_47radix_sort_onesweep_sort_config_static_selectorELNS0_4arch9wavefront6targetE1EEEvSK_
	.p2align	8
	.type	_ZN7rocprim17ROCPRIM_400000_NS6detail17trampoline_kernelINS0_14default_configENS1_35radix_sort_onesweep_config_selectorIiNS0_10empty_typeEEEZZNS1_29radix_sort_onesweep_iterationIS3_Lb0EN6thrust23THRUST_200600_302600_NS6detail15normal_iteratorINS9_10device_ptrIiEEEESE_PS5_SF_jNS0_19identity_decomposerENS1_16block_id_wrapperIjLb1EEEEE10hipError_tT1_PNSt15iterator_traitsISK_E10value_typeET2_T3_PNSL_ISQ_E10value_typeET4_T5_PSV_SW_PNS1_23onesweep_lookback_stateEbbT6_jjT7_P12ihipStream_tbENKUlT_T0_SK_SP_E_clIPiSE_SF_SF_EEDaS13_S14_SK_SP_EUlS13_E_NS1_11comp_targetILNS1_3genE5ELNS1_11target_archE942ELNS1_3gpuE9ELNS1_3repE0EEENS1_47radix_sort_onesweep_sort_config_static_selectorELNS0_4arch9wavefront6targetE1EEEvSK_,@function
_ZN7rocprim17ROCPRIM_400000_NS6detail17trampoline_kernelINS0_14default_configENS1_35radix_sort_onesweep_config_selectorIiNS0_10empty_typeEEEZZNS1_29radix_sort_onesweep_iterationIS3_Lb0EN6thrust23THRUST_200600_302600_NS6detail15normal_iteratorINS9_10device_ptrIiEEEESE_PS5_SF_jNS0_19identity_decomposerENS1_16block_id_wrapperIjLb1EEEEE10hipError_tT1_PNSt15iterator_traitsISK_E10value_typeET2_T3_PNSL_ISQ_E10value_typeET4_T5_PSV_SW_PNS1_23onesweep_lookback_stateEbbT6_jjT7_P12ihipStream_tbENKUlT_T0_SK_SP_E_clIPiSE_SF_SF_EEDaS13_S14_SK_SP_EUlS13_E_NS1_11comp_targetILNS1_3genE5ELNS1_11target_archE942ELNS1_3gpuE9ELNS1_3repE0EEENS1_47radix_sort_onesweep_sort_config_static_selectorELNS0_4arch9wavefront6targetE1EEEvSK_: ; @_ZN7rocprim17ROCPRIM_400000_NS6detail17trampoline_kernelINS0_14default_configENS1_35radix_sort_onesweep_config_selectorIiNS0_10empty_typeEEEZZNS1_29radix_sort_onesweep_iterationIS3_Lb0EN6thrust23THRUST_200600_302600_NS6detail15normal_iteratorINS9_10device_ptrIiEEEESE_PS5_SF_jNS0_19identity_decomposerENS1_16block_id_wrapperIjLb1EEEEE10hipError_tT1_PNSt15iterator_traitsISK_E10value_typeET2_T3_PNSL_ISQ_E10value_typeET4_T5_PSV_SW_PNS1_23onesweep_lookback_stateEbbT6_jjT7_P12ihipStream_tbENKUlT_T0_SK_SP_E_clIPiSE_SF_SF_EEDaS13_S14_SK_SP_EUlS13_E_NS1_11comp_targetILNS1_3genE5ELNS1_11target_archE942ELNS1_3gpuE9ELNS1_3repE0EEENS1_47radix_sort_onesweep_sort_config_static_selectorELNS0_4arch9wavefront6targetE1EEEvSK_
; %bb.0:
	s_load_dwordx4 s[20:23], s[0:1], 0x28
	s_load_dwordx2 s[18:19], s[0:1], 0x38
	s_load_dwordx4 s[24:27], s[0:1], 0x44
	v_and_b32_e32 v10, 0x3ff, v0
	v_cmp_eq_u32_e64 s[10:11], 0, v10
	s_and_saveexec_b64 s[4:5], s[10:11]
	s_cbranch_execz .LBB1766_4
; %bb.1:
	s_mov_b64 s[8:9], exec
	v_mbcnt_lo_u32_b32 v1, s8, 0
	v_mbcnt_hi_u32_b32 v1, s9, v1
	v_cmp_eq_u32_e32 vcc, 0, v1
                                        ; implicit-def: $vgpr2
	s_and_saveexec_b64 s[6:7], vcc
	s_cbranch_execz .LBB1766_3
; %bb.2:
	s_load_dwordx2 s[12:13], s[0:1], 0x50
	s_bcnt1_i32_b64 s3, s[8:9]
	v_mov_b32_e32 v2, 0
	v_mov_b32_e32 v3, s3
	s_waitcnt lgkmcnt(0)
	global_atomic_add v2, v2, v3, s[12:13] sc0
.LBB1766_3:
	s_or_b64 exec, exec, s[6:7]
	s_waitcnt vmcnt(0)
	v_readfirstlane_b32 s3, v2
	v_mov_b32_e32 v2, 0
	s_nop 0
	v_add_u32_e32 v1, s3, v1
	ds_write_b32 v2, v1 offset:20544
.LBB1766_4:
	s_or_b64 exec, exec, s[4:5]
	v_mov_b32_e32 v3, 0
	s_load_dwordx4 s[28:31], s[0:1], 0x0
	s_load_dword s3, s[0:1], 0x20
	s_waitcnt lgkmcnt(0)
	s_barrier
	ds_read_b32 v1, v3 offset:20544
	s_waitcnt lgkmcnt(0)
	s_barrier
	v_cmp_le_u32_e32 vcc, s26, v1
	v_readfirstlane_b32 s27, v1
	v_mbcnt_lo_u32_b32 v1, -1, 0
	s_cbranch_vccz .LBB1766_83
; %bb.5:
	s_lshl_b32 s4, s26, 13
	s_sub_i32 s3, s3, s4
	s_lshl_b32 s4, s27, 13
	s_mov_b32 s5, 0
	s_lshl_b64 s[4:5], s[4:5], 2
	v_mbcnt_hi_u32_b32 v16, -1, v1
	s_add_u32 s4, s28, s4
	v_and_b32_e32 v6, 63, v16
	v_lshlrev_b32_e32 v2, 3, v10
	s_addc_u32 s5, s29, s5
	v_and_b32_e32 v7, 0x1e00, v2
	v_lshlrev_b32_e32 v2, 2, v6
	s_brev_b32 s36, -2
	v_lshl_add_u64 v[4:5], s[4:5], 0, v[2:3]
	v_lshlrev_b32_e32 v2, 2, v7
	s_mov_b32 s37, s36
	v_lshl_add_u64 v[12:13], v[4:5], 0, v[2:3]
	v_or_b32_e32 v11, v6, v7
	s_mov_b32 s38, s36
	s_mov_b32 s39, s36
	;; [unrolled: 1-line block ×6, first 2 shown]
	v_mov_b64_e32 v[2:3], s[36:37]
	v_cmp_gt_u32_e32 vcc, s3, v11
	v_mov_b64_e32 v[4:5], s[38:39]
	v_mov_b64_e32 v[6:7], s[40:41]
	v_mov_b64_e32 v[8:9], s[42:43]
	s_and_saveexec_b64 s[4:5], vcc
	s_cbranch_execz .LBB1766_7
; %bb.6:
	global_load_dword v2, v[12:13], off
	v_bfrev_b32_e32 v3, -2
	v_mov_b32_e32 v4, v3
	v_mov_b32_e32 v5, v3
	;; [unrolled: 1-line block ×6, first 2 shown]
.LBB1766_7:
	s_or_b64 exec, exec, s[4:5]
	v_or_b32_e32 v14, 64, v11
	v_cmp_gt_u32_e32 vcc, s3, v14
	s_and_saveexec_b64 s[4:5], vcc
	s_cbranch_execz .LBB1766_9
; %bb.8:
	global_load_dword v3, v[12:13], off offset:256
.LBB1766_9:
	s_or_b64 exec, exec, s[4:5]
	v_or_b32_e32 v14, 0x80, v11
	v_cmp_gt_u32_e32 vcc, s3, v14
	s_and_saveexec_b64 s[4:5], vcc
	s_cbranch_execz .LBB1766_11
; %bb.10:
	global_load_dword v4, v[12:13], off offset:512
.LBB1766_11:
	s_or_b64 exec, exec, s[4:5]
	v_or_b32_e32 v14, 0xc0, v11
	v_cmp_gt_u32_e32 vcc, s3, v14
	s_and_saveexec_b64 s[4:5], vcc
	s_cbranch_execz .LBB1766_13
; %bb.12:
	global_load_dword v5, v[12:13], off offset:768
.LBB1766_13:
	s_or_b64 exec, exec, s[4:5]
	v_or_b32_e32 v14, 0x100, v11
	v_cmp_gt_u32_e32 vcc, s3, v14
	s_and_saveexec_b64 s[4:5], vcc
	s_cbranch_execz .LBB1766_15
; %bb.14:
	global_load_dword v6, v[12:13], off offset:1024
.LBB1766_15:
	s_or_b64 exec, exec, s[4:5]
	v_or_b32_e32 v14, 0x140, v11
	v_cmp_gt_u32_e32 vcc, s3, v14
	s_and_saveexec_b64 s[4:5], vcc
	s_cbranch_execz .LBB1766_17
; %bb.16:
	global_load_dword v7, v[12:13], off offset:1280
.LBB1766_17:
	s_or_b64 exec, exec, s[4:5]
	v_or_b32_e32 v14, 0x180, v11
	v_cmp_gt_u32_e32 vcc, s3, v14
	s_and_saveexec_b64 s[4:5], vcc
	s_cbranch_execz .LBB1766_19
; %bb.18:
	global_load_dword v8, v[12:13], off offset:1536
.LBB1766_19:
	s_or_b64 exec, exec, s[4:5]
	v_or_b32_e32 v11, 0x1c0, v11
	v_cmp_gt_u32_e32 vcc, s3, v11
	s_and_saveexec_b64 s[4:5], vcc
	s_cbranch_execz .LBB1766_21
; %bb.20:
	global_load_dword v9, v[12:13], off offset:1792
.LBB1766_21:
	s_or_b64 exec, exec, s[4:5]
	s_load_dword s4, s[0:1], 0x64
	s_load_dword s26, s[0:1], 0x58
	s_add_u32 s5, s0, 0x58
	s_addc_u32 s6, s1, 0
	v_mov_b32_e32 v13, 0
	s_waitcnt lgkmcnt(0)
	s_lshr_b32 s7, s4, 16
	s_cmp_lt_u32 s2, s26
	s_cselect_b32 s4, 12, 18
	s_add_u32 s4, s5, s4
	s_addc_u32 s5, s6, 0
	global_load_ushort v17, v13, s[4:5]
	s_waitcnt vmcnt(1)
	v_xor_b32_e32 v11, 0x80000000, v2
	s_lshl_b32 s4, -1, s25
	v_lshrrev_b32_e32 v15, s24, v11
	s_not_b32 s33, s4
	v_bfe_u32 v2, v0, 10, 10
	v_bfe_u32 v12, v0, 20, 10
	v_and_b32_e32 v19, s33, v15
	v_mul_u32_u24_e32 v14, 5, v10
	v_mad_u32_u24 v2, v12, s7, v2
	v_and_b32_e32 v12, 1, v19
	v_lshlrev_b32_e32 v15, 30, v19
	v_lshlrev_b32_e32 v18, 2, v14
	v_mov_b32_e32 v14, v13
	v_mov_b32_e32 v22, v13
	v_lshlrev_b32_e32 v21, 29, v19
	v_lshlrev_b32_e32 v23, 28, v19
	v_lshl_add_u64 v[30:31], v[12:13], 0, -1
	v_cmp_ne_u32_e32 vcc, 0, v12
	v_not_b32_e32 v12, v15
	v_mov_b32_e32 v20, v13
	v_mov_b32_e32 v24, v13
	v_lshlrev_b32_e32 v25, 27, v19
	v_cmp_gt_i64_e64 s[4:5], 0, v[14:15]
	v_not_b32_e32 v14, v21
	v_cmp_gt_i64_e64 s[8:9], 0, v[22:23]
	v_not_b32_e32 v15, v23
	v_xor_b32_e32 v23, vcc_hi, v31
	v_ashrrev_i32_e32 v12, 31, v12
	v_mov_b32_e32 v26, v13
	v_lshlrev_b32_e32 v27, 26, v19
	v_cmp_gt_i64_e64 s[6:7], 0, v[20:21]
	v_cmp_gt_i64_e64 s[12:13], 0, v[24:25]
	v_not_b32_e32 v20, v25
	v_xor_b32_e32 v24, vcc_lo, v30
	v_ashrrev_i32_e32 v14, 31, v14
	v_and_b32_e32 v23, exec_hi, v23
	v_xor_b32_e32 v25, s5, v12
	v_cmp_gt_i64_e64 s[14:15], 0, v[26:27]
	v_ashrrev_i32_e32 v15, 31, v15
	v_and_b32_e32 v24, exec_lo, v24
	v_xor_b32_e32 v12, s4, v12
	v_xor_b32_e32 v26, s7, v14
	v_and_b32_e32 v23, v23, v25
	v_mov_b32_e32 v28, v13
	v_lshlrev_b32_e32 v29, 25, v19
	v_not_b32_e32 v21, v27
	v_ashrrev_i32_e32 v20, 31, v20
	v_xor_b32_e32 v14, s6, v14
	v_xor_b32_e32 v27, s9, v15
	v_and_b32_e32 v12, v24, v12
	v_and_b32_e32 v23, v23, v26
	v_cmp_gt_i64_e64 s[16:17], 0, v[28:29]
	v_not_b32_e32 v22, v29
	v_ashrrev_i32_e32 v21, 31, v21
	v_xor_b32_e32 v28, s13, v20
	v_and_b32_e32 v12, v12, v14
	v_and_b32_e32 v14, v23, v27
	v_ashrrev_i32_e32 v22, 31, v22
	v_xor_b32_e32 v15, s8, v15
	v_xor_b32_e32 v29, s15, v21
	v_and_b32_e32 v14, v14, v28
	v_xor_b32_e32 v20, s12, v20
	v_xor_b32_e32 v30, s17, v22
	v_and_b32_e32 v12, v12, v15
	v_and_b32_e32 v14, v14, v29
	;; [unrolled: 1-line block ×4, first 2 shown]
	v_xor_b32_e32 v21, s14, v21
	v_xor_b32_e32 v22, s16, v22
	v_and_b32_e32 v12, v12, v21
	v_and_b32_e32 v12, v12, v22
	v_lshl_add_u32 v32, v19, 4, v19
	ds_write2_b32 v18, v13, v13 offset0:16 offset1:17
	ds_write2_b32 v18, v13, v13 offset0:18 offset1:19
	ds_write_b32 v18, v13 offset:80
	s_waitcnt lgkmcnt(0)
	s_barrier
	s_waitcnt lgkmcnt(0)
	; wave barrier
	s_waitcnt vmcnt(0)
	v_mad_u64_u32 v[14:15], s[4:5], v2, v17, v[10:11]
	v_lshlrev_b32_e32 v15, 24, v19
	v_lshrrev_b32_e32 v30, 6, v14
	v_mov_b32_e32 v14, v13
	v_not_b32_e32 v2, v15
	v_cmp_gt_i64_e32 vcc, 0, v[14:15]
	v_ashrrev_i32_e32 v2, 31, v2
	v_add_lshl_u32 v22, v30, v32, 2
	v_xor_b32_e32 v14, vcc_hi, v2
	v_xor_b32_e32 v2, vcc_lo, v2
	v_and_b32_e32 v15, v20, v14
	v_and_b32_e32 v14, v12, v2
	v_mbcnt_lo_u32_b32 v2, v14, 0
	v_mbcnt_hi_u32_b32 v17, v15, v2
	v_cmp_eq_u32_e32 vcc, 0, v17
	v_cmp_ne_u64_e64 s[4:5], 0, v[14:15]
	s_and_b64 s[6:7], s[4:5], vcc
	s_and_saveexec_b64 s[4:5], s[6:7]
	s_cbranch_execz .LBB1766_23
; %bb.22:
	v_bcnt_u32_b32 v2, v14, 0
	v_bcnt_u32_b32 v2, v15, v2
	ds_write_b32 v22, v2 offset:64
.LBB1766_23:
	s_or_b64 exec, exec, s[4:5]
	v_xor_b32_e32 v14, 0x80000000, v3
	v_lshrrev_b32_e32 v2, s24, v14
	v_and_b32_e32 v15, s33, v2
	v_lshl_add_u32 v2, v15, 4, v15
	v_and_b32_e32 v12, 1, v15
	v_add_lshl_u32 v23, v30, v2, 2
	v_lshl_add_u64 v[2:3], v[12:13], 0, -1
	v_cmp_ne_u32_e32 vcc, 0, v12
	; wave barrier
	s_nop 1
	v_xor_b32_e32 v3, vcc_hi, v3
	v_xor_b32_e32 v2, vcc_lo, v2
	v_and_b32_e32 v12, exec_hi, v3
	v_and_b32_e32 v20, exec_lo, v2
	v_lshlrev_b32_e32 v3, 30, v15
	v_mov_b32_e32 v2, v13
	v_cmp_gt_i64_e32 vcc, 0, v[2:3]
	v_not_b32_e32 v2, v3
	v_ashrrev_i32_e32 v2, 31, v2
	v_xor_b32_e32 v3, vcc_hi, v2
	v_xor_b32_e32 v2, vcc_lo, v2
	v_and_b32_e32 v12, v12, v3
	v_and_b32_e32 v20, v20, v2
	v_lshlrev_b32_e32 v3, 29, v15
	v_mov_b32_e32 v2, v13
	v_cmp_gt_i64_e32 vcc, 0, v[2:3]
	v_not_b32_e32 v2, v3
	v_ashrrev_i32_e32 v2, 31, v2
	v_xor_b32_e32 v3, vcc_hi, v2
	v_xor_b32_e32 v2, vcc_lo, v2
	v_and_b32_e32 v12, v12, v3
	v_and_b32_e32 v20, v20, v2
	;; [unrolled: 9-line block ×6, first 2 shown]
	v_lshlrev_b32_e32 v3, 24, v15
	v_mov_b32_e32 v2, v13
	v_cmp_gt_i64_e32 vcc, 0, v[2:3]
	v_not_b32_e32 v2, v3
	v_ashrrev_i32_e32 v2, 31, v2
	v_xor_b32_e32 v3, vcc_hi, v2
	v_xor_b32_e32 v2, vcc_lo, v2
	ds_read_b32 v19, v23 offset:64
	v_and_b32_e32 v2, v20, v2
	v_and_b32_e32 v3, v12, v3
	v_mbcnt_lo_u32_b32 v12, v2, 0
	v_mbcnt_hi_u32_b32 v20, v3, v12
	v_cmp_eq_u32_e32 vcc, 0, v20
	v_cmp_ne_u64_e64 s[4:5], 0, v[2:3]
	s_and_b64 s[6:7], s[4:5], vcc
	; wave barrier
	s_and_saveexec_b64 s[4:5], s[6:7]
	s_cbranch_execz .LBB1766_25
; %bb.24:
	v_bcnt_u32_b32 v2, v2, 0
	v_bcnt_u32_b32 v2, v3, v2
	s_waitcnt lgkmcnt(0)
	v_add_u32_e32 v2, v19, v2
	ds_write_b32 v23, v2 offset:64
.LBB1766_25:
	s_or_b64 exec, exec, s[4:5]
	v_xor_b32_e32 v15, 0x80000000, v4
	v_lshrrev_b32_e32 v2, s24, v15
	v_and_b32_e32 v4, s33, v2
	v_lshl_add_u32 v2, v4, 4, v4
	v_add_lshl_u32 v27, v30, v2, 2
	v_and_b32_e32 v2, 1, v4
	v_mov_b32_e32 v3, 0
	v_lshl_add_u64 v[12:13], v[2:3], 0, -1
	v_cmp_ne_u32_e32 vcc, 0, v2
	; wave barrier
	s_nop 1
	v_xor_b32_e32 v12, vcc_lo, v12
	v_xor_b32_e32 v2, vcc_hi, v13
	v_and_b32_e32 v24, exec_lo, v12
	v_lshlrev_b32_e32 v13, 30, v4
	v_mov_b32_e32 v12, v3
	v_cmp_gt_i64_e32 vcc, 0, v[12:13]
	v_not_b32_e32 v12, v13
	v_ashrrev_i32_e32 v12, 31, v12
	v_and_b32_e32 v2, exec_hi, v2
	v_xor_b32_e32 v13, vcc_hi, v12
	v_xor_b32_e32 v12, vcc_lo, v12
	v_and_b32_e32 v2, v2, v13
	v_and_b32_e32 v24, v24, v12
	v_lshlrev_b32_e32 v13, 29, v4
	v_mov_b32_e32 v12, v3
	v_cmp_gt_i64_e32 vcc, 0, v[12:13]
	v_not_b32_e32 v12, v13
	v_ashrrev_i32_e32 v12, 31, v12
	v_xor_b32_e32 v13, vcc_hi, v12
	v_xor_b32_e32 v12, vcc_lo, v12
	v_and_b32_e32 v2, v2, v13
	v_and_b32_e32 v24, v24, v12
	v_lshlrev_b32_e32 v13, 28, v4
	v_mov_b32_e32 v12, v3
	v_cmp_gt_i64_e32 vcc, 0, v[12:13]
	v_not_b32_e32 v12, v13
	v_ashrrev_i32_e32 v12, 31, v12
	;; [unrolled: 9-line block ×5, first 2 shown]
	v_xor_b32_e32 v13, vcc_hi, v12
	v_xor_b32_e32 v12, vcc_lo, v12
	v_and_b32_e32 v2, v2, v13
	v_lshlrev_b32_e32 v13, 24, v4
	v_and_b32_e32 v24, v24, v12
	v_mov_b32_e32 v12, v3
	v_not_b32_e32 v4, v13
	v_cmp_gt_i64_e32 vcc, 0, v[12:13]
	v_ashrrev_i32_e32 v4, 31, v4
	ds_read_b32 v21, v27 offset:64
	v_xor_b32_e32 v12, vcc_hi, v4
	v_xor_b32_e32 v4, vcc_lo, v4
	v_and_b32_e32 v13, v2, v12
	v_and_b32_e32 v12, v24, v4
	v_mbcnt_lo_u32_b32 v2, v12, 0
	v_mbcnt_hi_u32_b32 v25, v13, v2
	v_cmp_eq_u32_e32 vcc, 0, v25
	v_cmp_ne_u64_e64 s[4:5], 0, v[12:13]
	s_and_b64 s[6:7], s[4:5], vcc
	; wave barrier
	s_and_saveexec_b64 s[4:5], s[6:7]
	s_cbranch_execz .LBB1766_27
; %bb.26:
	v_bcnt_u32_b32 v2, v12, 0
	v_bcnt_u32_b32 v2, v13, v2
	s_waitcnt lgkmcnt(0)
	v_add_u32_e32 v2, v21, v2
	ds_write_b32 v27, v2 offset:64
.LBB1766_27:
	s_or_b64 exec, exec, s[4:5]
	v_xor_b32_e32 v12, 0x80000000, v5
	v_lshrrev_b32_e32 v2, s24, v12
	v_and_b32_e32 v13, s33, v2
	v_lshl_add_u32 v2, v13, 4, v13
	v_add_lshl_u32 v31, v30, v2, 2
	v_and_b32_e32 v2, 1, v13
	v_lshl_add_u64 v[4:5], v[2:3], 0, -1
	v_cmp_ne_u32_e32 vcc, 0, v2
	; wave barrier
	s_nop 1
	v_xor_b32_e32 v4, vcc_lo, v4
	v_xor_b32_e32 v2, vcc_hi, v5
	v_and_b32_e32 v24, exec_lo, v4
	v_lshlrev_b32_e32 v5, 30, v13
	v_mov_b32_e32 v4, v3
	v_cmp_gt_i64_e32 vcc, 0, v[4:5]
	v_not_b32_e32 v4, v5
	v_ashrrev_i32_e32 v4, 31, v4
	v_and_b32_e32 v2, exec_hi, v2
	v_xor_b32_e32 v5, vcc_hi, v4
	v_xor_b32_e32 v4, vcc_lo, v4
	v_and_b32_e32 v2, v2, v5
	v_and_b32_e32 v24, v24, v4
	v_lshlrev_b32_e32 v5, 29, v13
	v_mov_b32_e32 v4, v3
	v_cmp_gt_i64_e32 vcc, 0, v[4:5]
	v_not_b32_e32 v4, v5
	v_ashrrev_i32_e32 v4, 31, v4
	v_xor_b32_e32 v5, vcc_hi, v4
	v_xor_b32_e32 v4, vcc_lo, v4
	v_and_b32_e32 v2, v2, v5
	v_and_b32_e32 v24, v24, v4
	v_lshlrev_b32_e32 v5, 28, v13
	v_mov_b32_e32 v4, v3
	v_cmp_gt_i64_e32 vcc, 0, v[4:5]
	v_not_b32_e32 v4, v5
	v_ashrrev_i32_e32 v4, 31, v4
	;; [unrolled: 9-line block ×5, first 2 shown]
	v_xor_b32_e32 v5, vcc_hi, v4
	v_xor_b32_e32 v4, vcc_lo, v4
	v_and_b32_e32 v2, v2, v5
	v_lshlrev_b32_e32 v5, 24, v13
	v_and_b32_e32 v24, v24, v4
	v_mov_b32_e32 v4, v3
	v_not_b32_e32 v3, v5
	v_cmp_gt_i64_e32 vcc, 0, v[4:5]
	v_ashrrev_i32_e32 v3, 31, v3
	ds_read_b32 v26, v31 offset:64
	v_xor_b32_e32 v4, vcc_hi, v3
	v_xor_b32_e32 v5, vcc_lo, v3
	v_and_b32_e32 v3, v2, v4
	v_and_b32_e32 v2, v24, v5
	v_mbcnt_lo_u32_b32 v4, v2, 0
	v_mbcnt_hi_u32_b32 v28, v3, v4
	v_cmp_eq_u32_e32 vcc, 0, v28
	v_cmp_ne_u64_e64 s[4:5], 0, v[2:3]
	s_and_b64 s[6:7], s[4:5], vcc
	; wave barrier
	s_and_saveexec_b64 s[4:5], s[6:7]
	s_cbranch_execz .LBB1766_29
; %bb.28:
	v_bcnt_u32_b32 v2, v2, 0
	v_bcnt_u32_b32 v2, v3, v2
	s_waitcnt lgkmcnt(0)
	v_add_u32_e32 v2, v26, v2
	ds_write_b32 v31, v2 offset:64
.LBB1766_29:
	s_or_b64 exec, exec, s[4:5]
	v_xor_b32_e32 v13, 0x80000000, v6
	v_lshrrev_b32_e32 v2, s24, v13
	v_and_b32_e32 v24, s33, v2
	v_lshl_add_u32 v2, v24, 4, v24
	v_add_lshl_u32 v6, v30, v2, 2
	v_and_b32_e32 v2, 1, v24
	v_mov_b32_e32 v3, 0
	v_lshl_add_u64 v[4:5], v[2:3], 0, -1
	v_cmp_ne_u32_e32 vcc, 0, v2
	; wave barrier
	s_nop 1
	v_xor_b32_e32 v4, vcc_lo, v4
	v_xor_b32_e32 v2, vcc_hi, v5
	v_and_b32_e32 v32, exec_lo, v4
	v_lshlrev_b32_e32 v5, 30, v24
	v_mov_b32_e32 v4, v3
	v_cmp_gt_i64_e32 vcc, 0, v[4:5]
	v_not_b32_e32 v4, v5
	v_ashrrev_i32_e32 v4, 31, v4
	v_and_b32_e32 v2, exec_hi, v2
	v_xor_b32_e32 v5, vcc_hi, v4
	v_xor_b32_e32 v4, vcc_lo, v4
	v_and_b32_e32 v2, v2, v5
	v_and_b32_e32 v32, v32, v4
	v_lshlrev_b32_e32 v5, 29, v24
	v_mov_b32_e32 v4, v3
	v_cmp_gt_i64_e32 vcc, 0, v[4:5]
	v_not_b32_e32 v4, v5
	v_ashrrev_i32_e32 v4, 31, v4
	v_xor_b32_e32 v5, vcc_hi, v4
	v_xor_b32_e32 v4, vcc_lo, v4
	v_and_b32_e32 v2, v2, v5
	v_and_b32_e32 v32, v32, v4
	v_lshlrev_b32_e32 v5, 28, v24
	v_mov_b32_e32 v4, v3
	v_cmp_gt_i64_e32 vcc, 0, v[4:5]
	v_not_b32_e32 v4, v5
	v_ashrrev_i32_e32 v4, 31, v4
	;; [unrolled: 9-line block ×6, first 2 shown]
	v_xor_b32_e32 v5, vcc_hi, v4
	v_xor_b32_e32 v4, vcc_lo, v4
	ds_read_b32 v29, v6 offset:64
	v_and_b32_e32 v4, v32, v4
	v_and_b32_e32 v5, v2, v5
	v_mbcnt_lo_u32_b32 v2, v4, 0
	v_mbcnt_hi_u32_b32 v32, v5, v2
	v_cmp_eq_u32_e32 vcc, 0, v32
	v_cmp_ne_u64_e64 s[4:5], 0, v[4:5]
	s_and_b64 s[6:7], s[4:5], vcc
	; wave barrier
	s_and_saveexec_b64 s[4:5], s[6:7]
	s_cbranch_execz .LBB1766_31
; %bb.30:
	v_bcnt_u32_b32 v2, v4, 0
	v_bcnt_u32_b32 v2, v5, v2
	s_waitcnt lgkmcnt(0)
	v_add_u32_e32 v2, v29, v2
	ds_write_b32 v6, v2 offset:64
.LBB1766_31:
	s_or_b64 exec, exec, s[4:5]
	v_xor_b32_e32 v24, 0x80000000, v7
	v_lshrrev_b32_e32 v2, s24, v24
	v_and_b32_e32 v34, s33, v2
	v_lshl_add_u32 v2, v34, 4, v34
	v_add_lshl_u32 v7, v30, v2, 2
	v_and_b32_e32 v2, 1, v34
	v_lshl_add_u64 v[4:5], v[2:3], 0, -1
	v_cmp_ne_u32_e32 vcc, 0, v2
	; wave barrier
	s_nop 1
	v_xor_b32_e32 v4, vcc_lo, v4
	v_xor_b32_e32 v2, vcc_hi, v5
	v_and_b32_e32 v35, exec_lo, v4
	v_lshlrev_b32_e32 v5, 30, v34
	v_mov_b32_e32 v4, v3
	v_cmp_gt_i64_e32 vcc, 0, v[4:5]
	v_not_b32_e32 v4, v5
	v_ashrrev_i32_e32 v4, 31, v4
	v_and_b32_e32 v2, exec_hi, v2
	v_xor_b32_e32 v5, vcc_hi, v4
	v_xor_b32_e32 v4, vcc_lo, v4
	v_and_b32_e32 v2, v2, v5
	v_and_b32_e32 v35, v35, v4
	v_lshlrev_b32_e32 v5, 29, v34
	v_mov_b32_e32 v4, v3
	v_cmp_gt_i64_e32 vcc, 0, v[4:5]
	v_not_b32_e32 v4, v5
	v_ashrrev_i32_e32 v4, 31, v4
	v_xor_b32_e32 v5, vcc_hi, v4
	v_xor_b32_e32 v4, vcc_lo, v4
	v_and_b32_e32 v2, v2, v5
	v_and_b32_e32 v35, v35, v4
	v_lshlrev_b32_e32 v5, 28, v34
	v_mov_b32_e32 v4, v3
	v_cmp_gt_i64_e32 vcc, 0, v[4:5]
	v_not_b32_e32 v4, v5
	v_ashrrev_i32_e32 v4, 31, v4
	;; [unrolled: 9-line block ×5, first 2 shown]
	v_xor_b32_e32 v5, vcc_hi, v4
	v_xor_b32_e32 v4, vcc_lo, v4
	v_and_b32_e32 v2, v2, v5
	v_lshlrev_b32_e32 v5, 24, v34
	v_and_b32_e32 v35, v35, v4
	v_mov_b32_e32 v4, v3
	v_not_b32_e32 v3, v5
	v_cmp_gt_i64_e32 vcc, 0, v[4:5]
	v_ashrrev_i32_e32 v3, 31, v3
	ds_read_b32 v33, v7 offset:64
	v_xor_b32_e32 v4, vcc_hi, v3
	v_xor_b32_e32 v5, vcc_lo, v3
	v_and_b32_e32 v3, v2, v4
	v_and_b32_e32 v2, v35, v5
	v_mbcnt_lo_u32_b32 v4, v2, 0
	v_mbcnt_hi_u32_b32 v34, v3, v4
	v_cmp_eq_u32_e32 vcc, 0, v34
	v_cmp_ne_u64_e64 s[4:5], 0, v[2:3]
	s_and_b64 s[6:7], s[4:5], vcc
	; wave barrier
	s_and_saveexec_b64 s[4:5], s[6:7]
	s_cbranch_execz .LBB1766_33
; %bb.32:
	v_bcnt_u32_b32 v2, v2, 0
	v_bcnt_u32_b32 v2, v3, v2
	s_waitcnt lgkmcnt(0)
	v_add_u32_e32 v2, v33, v2
	ds_write_b32 v7, v2 offset:64
.LBB1766_33:
	s_or_b64 exec, exec, s[4:5]
	v_xor_b32_e32 v8, 0x80000000, v8
	v_lshrrev_b32_e32 v2, s24, v8
	v_and_b32_e32 v36, s33, v2
	v_lshl_add_u32 v2, v36, 4, v36
	v_add_lshl_u32 v37, v30, v2, 2
	v_and_b32_e32 v2, 1, v36
	v_mov_b32_e32 v3, 0
	v_lshl_add_u64 v[4:5], v[2:3], 0, -1
	v_cmp_ne_u32_e32 vcc, 0, v2
	; wave barrier
	s_nop 1
	v_xor_b32_e32 v4, vcc_lo, v4
	v_xor_b32_e32 v2, vcc_hi, v5
	v_and_b32_e32 v38, exec_lo, v4
	v_lshlrev_b32_e32 v5, 30, v36
	v_mov_b32_e32 v4, v3
	v_cmp_gt_i64_e32 vcc, 0, v[4:5]
	v_not_b32_e32 v4, v5
	v_ashrrev_i32_e32 v4, 31, v4
	v_and_b32_e32 v2, exec_hi, v2
	v_xor_b32_e32 v5, vcc_hi, v4
	v_xor_b32_e32 v4, vcc_lo, v4
	v_and_b32_e32 v2, v2, v5
	v_and_b32_e32 v38, v38, v4
	v_lshlrev_b32_e32 v5, 29, v36
	v_mov_b32_e32 v4, v3
	v_cmp_gt_i64_e32 vcc, 0, v[4:5]
	v_not_b32_e32 v4, v5
	v_ashrrev_i32_e32 v4, 31, v4
	v_xor_b32_e32 v5, vcc_hi, v4
	v_xor_b32_e32 v4, vcc_lo, v4
	v_and_b32_e32 v2, v2, v5
	v_and_b32_e32 v38, v38, v4
	v_lshlrev_b32_e32 v5, 28, v36
	v_mov_b32_e32 v4, v3
	v_cmp_gt_i64_e32 vcc, 0, v[4:5]
	v_not_b32_e32 v4, v5
	v_ashrrev_i32_e32 v4, 31, v4
	;; [unrolled: 9-line block ×6, first 2 shown]
	v_xor_b32_e32 v5, vcc_hi, v4
	v_xor_b32_e32 v4, vcc_lo, v4
	ds_read_b32 v35, v37 offset:64
	v_and_b32_e32 v4, v38, v4
	v_and_b32_e32 v5, v2, v5
	v_mbcnt_lo_u32_b32 v2, v4, 0
	v_mbcnt_hi_u32_b32 v36, v5, v2
	v_cmp_eq_u32_e32 vcc, 0, v36
	v_cmp_ne_u64_e64 s[4:5], 0, v[4:5]
	s_and_b64 s[6:7], s[4:5], vcc
	; wave barrier
	s_and_saveexec_b64 s[4:5], s[6:7]
	s_cbranch_execz .LBB1766_35
; %bb.34:
	v_bcnt_u32_b32 v2, v4, 0
	v_bcnt_u32_b32 v2, v5, v2
	s_waitcnt lgkmcnt(0)
	v_add_u32_e32 v2, v35, v2
	ds_write_b32 v37, v2 offset:64
.LBB1766_35:
	s_or_b64 exec, exec, s[4:5]
	v_xor_b32_e32 v9, 0x80000000, v9
	v_lshrrev_b32_e32 v2, s24, v9
	v_and_b32_e32 v38, s33, v2
	v_lshl_add_u32 v2, v38, 4, v38
	v_add_lshl_u32 v39, v30, v2, 2
	v_and_b32_e32 v2, 1, v38
	v_lshl_add_u64 v[4:5], v[2:3], 0, -1
	v_cmp_ne_u32_e32 vcc, 0, v2
	; wave barrier
	s_nop 1
	v_xor_b32_e32 v4, vcc_lo, v4
	v_xor_b32_e32 v2, vcc_hi, v5
	v_and_b32_e32 v41, exec_lo, v4
	v_lshlrev_b32_e32 v5, 30, v38
	v_mov_b32_e32 v4, v3
	v_cmp_gt_i64_e32 vcc, 0, v[4:5]
	v_not_b32_e32 v4, v5
	v_ashrrev_i32_e32 v4, 31, v4
	v_and_b32_e32 v2, exec_hi, v2
	v_xor_b32_e32 v5, vcc_hi, v4
	v_xor_b32_e32 v4, vcc_lo, v4
	v_and_b32_e32 v2, v2, v5
	v_and_b32_e32 v41, v41, v4
	v_lshlrev_b32_e32 v5, 29, v38
	v_mov_b32_e32 v4, v3
	v_cmp_gt_i64_e32 vcc, 0, v[4:5]
	v_not_b32_e32 v4, v5
	v_ashrrev_i32_e32 v4, 31, v4
	v_xor_b32_e32 v5, vcc_hi, v4
	v_xor_b32_e32 v4, vcc_lo, v4
	v_and_b32_e32 v2, v2, v5
	v_and_b32_e32 v41, v41, v4
	v_lshlrev_b32_e32 v5, 28, v38
	v_mov_b32_e32 v4, v3
	v_cmp_gt_i64_e32 vcc, 0, v[4:5]
	v_not_b32_e32 v4, v5
	v_ashrrev_i32_e32 v4, 31, v4
	;; [unrolled: 9-line block ×5, first 2 shown]
	v_xor_b32_e32 v5, vcc_hi, v4
	v_xor_b32_e32 v4, vcc_lo, v4
	v_and_b32_e32 v2, v2, v5
	v_lshlrev_b32_e32 v5, 24, v38
	v_and_b32_e32 v41, v41, v4
	v_mov_b32_e32 v4, v3
	v_not_b32_e32 v3, v5
	v_cmp_gt_i64_e32 vcc, 0, v[4:5]
	v_ashrrev_i32_e32 v3, 31, v3
	ds_read_b32 v30, v39 offset:64
	v_xor_b32_e32 v4, vcc_hi, v3
	v_xor_b32_e32 v5, vcc_lo, v3
	v_and_b32_e32 v3, v2, v4
	v_and_b32_e32 v2, v41, v5
	v_mbcnt_lo_u32_b32 v4, v2, 0
	v_mbcnt_hi_u32_b32 v38, v3, v4
	v_cmp_eq_u32_e32 vcc, 0, v38
	v_cmp_ne_u64_e64 s[4:5], 0, v[2:3]
	v_add_u32_e32 v40, 64, v18
	s_and_b64 s[6:7], s[4:5], vcc
	; wave barrier
	s_and_saveexec_b64 s[4:5], s[6:7]
	s_cbranch_execz .LBB1766_37
; %bb.36:
	v_bcnt_u32_b32 v2, v2, 0
	v_bcnt_u32_b32 v2, v3, v2
	s_waitcnt lgkmcnt(0)
	v_add_u32_e32 v2, v30, v2
	ds_write_b32 v39, v2 offset:64
.LBB1766_37:
	s_or_b64 exec, exec, s[4:5]
	; wave barrier
	s_waitcnt lgkmcnt(0)
	s_barrier
	ds_read2_b32 v[4:5], v18 offset0:16 offset1:17
	ds_read2_b32 v[2:3], v40 offset0:2 offset1:3
	ds_read_b32 v41, v40 offset:16
	v_cmp_lt_u32_e64 s[12:13], 31, v16
	s_waitcnt lgkmcnt(1)
	v_add3_u32 v42, v5, v4, v2
	s_waitcnt lgkmcnt(0)
	v_add3_u32 v41, v42, v3, v41
	v_and_b32_e32 v42, 15, v16
	v_cmp_eq_u32_e32 vcc, 0, v42
	v_mov_b32_dpp v43, v41 row_shr:1 row_mask:0xf bank_mask:0xf
	v_cmp_lt_u32_e64 s[4:5], 1, v42
	v_cndmask_b32_e64 v43, v43, 0, vcc
	v_add_u32_e32 v41, v43, v41
	v_cmp_lt_u32_e64 s[6:7], 3, v42
	v_cmp_lt_u32_e64 s[8:9], 7, v42
	v_mov_b32_dpp v43, v41 row_shr:2 row_mask:0xf bank_mask:0xf
	v_cndmask_b32_e64 v43, 0, v43, s[4:5]
	v_add_u32_e32 v41, v41, v43
	s_nop 1
	v_mov_b32_dpp v43, v41 row_shr:4 row_mask:0xf bank_mask:0xf
	v_cndmask_b32_e64 v43, 0, v43, s[6:7]
	v_add_u32_e32 v41, v41, v43
	s_nop 1
	v_mov_b32_dpp v43, v41 row_shr:8 row_mask:0xf bank_mask:0xf
	v_cndmask_b32_e64 v42, 0, v43, s[8:9]
	v_add_u32_e32 v41, v41, v42
	v_bfe_i32 v43, v16, 4, 1
	s_nop 0
	v_mov_b32_dpp v42, v41 row_bcast:15 row_mask:0xf bank_mask:0xf
	v_and_b32_e32 v42, v43, v42
	v_add_u32_e32 v41, v41, v42
	v_and_b32_e32 v43, 63, v10
	s_nop 0
	v_mov_b32_dpp v42, v41 row_bcast:31 row_mask:0xf bank_mask:0xf
	v_cndmask_b32_e64 v42, 0, v42, s[12:13]
	v_add_u32_e32 v41, v41, v42
	v_lshrrev_b32_e32 v42, 6, v10
	v_cmp_eq_u32_e64 s[12:13], 63, v43
	s_and_saveexec_b64 s[14:15], s[12:13]
	s_cbranch_execz .LBB1766_39
; %bb.38:
	v_lshlrev_b32_e32 v43, 2, v42
	ds_write_b32 v43, v41
.LBB1766_39:
	s_or_b64 exec, exec, s[14:15]
	v_cmp_gt_u32_e64 s[12:13], 16, v10
	s_waitcnt lgkmcnt(0)
	s_barrier
	s_and_saveexec_b64 s[14:15], s[12:13]
	s_cbranch_execz .LBB1766_41
; %bb.40:
	v_lshlrev_b32_e32 v43, 2, v10
	ds_read_b32 v44, v43
	s_waitcnt lgkmcnt(0)
	s_nop 0
	v_mov_b32_dpp v45, v44 row_shr:1 row_mask:0xf bank_mask:0xf
	v_cndmask_b32_e64 v45, v45, 0, vcc
	v_add_u32_e32 v44, v45, v44
	s_nop 1
	v_mov_b32_dpp v45, v44 row_shr:2 row_mask:0xf bank_mask:0xf
	v_cndmask_b32_e64 v45, 0, v45, s[4:5]
	v_add_u32_e32 v44, v44, v45
	s_nop 1
	v_mov_b32_dpp v45, v44 row_shr:4 row_mask:0xf bank_mask:0xf
	v_cndmask_b32_e64 v45, 0, v45, s[6:7]
	;; [unrolled: 4-line block ×3, first 2 shown]
	v_add_u32_e32 v44, v44, v45
	ds_write_b32 v43, v44
.LBB1766_41:
	s_or_b64 exec, exec, s[14:15]
	v_cmp_lt_u32_e32 vcc, 63, v10
	v_mov_b32_e32 v43, 0
	s_waitcnt lgkmcnt(0)
	s_barrier
	s_and_saveexec_b64 s[4:5], vcc
	s_cbranch_execz .LBB1766_43
; %bb.42:
	v_lshl_add_u32 v42, v42, 2, -4
	ds_read_b32 v43, v42
.LBB1766_43:
	s_or_b64 exec, exec, s[4:5]
	v_add_u32_e32 v42, -1, v16
	v_and_b32_e32 v44, 64, v16
	v_cmp_lt_i32_e32 vcc, v42, v44
	s_waitcnt lgkmcnt(0)
	v_add_u32_e32 v41, v43, v41
	s_movk_i32 s4, 0x100
	v_cndmask_b32_e32 v42, v42, v16, vcc
	v_lshlrev_b32_e32 v42, 2, v42
	ds_bpermute_b32 v41, v42, v41
	v_cmp_eq_u32_e32 vcc, 0, v16
	v_cmp_gt_u32_e64 s[4:5], s4, v10
	s_waitcnt lgkmcnt(0)
	v_cndmask_b32_e32 v16, v41, v43, vcc
	v_cndmask_b32_e64 v16, v16, 0, s[10:11]
	v_add_u32_e32 v4, v16, v4
	v_add_u32_e32 v5, v4, v5
	;; [unrolled: 1-line block ×4, first 2 shown]
	ds_write2_b32 v18, v16, v4 offset0:16 offset1:17
	ds_write2_b32 v40, v5, v2 offset0:2 offset1:3
	ds_write_b32 v40, v3 offset:16
	s_waitcnt lgkmcnt(0)
	s_barrier
	ds_read_b32 v22, v22 offset:64
	ds_read_b32 v23, v23 offset:64
	;; [unrolled: 1-line block ×8, first 2 shown]
                                        ; implicit-def: $vgpr16
                                        ; implicit-def: $vgpr18
	s_and_saveexec_b64 s[6:7], s[4:5]
	s_cbranch_execz .LBB1766_47
; %bb.44:
	v_mul_u32_u24_e32 v2, 17, v10
	v_lshlrev_b32_e32 v3, 2, v2
	ds_read_b32 v16, v3 offset:64
	s_movk_i32 s8, 0xff
	v_cmp_ne_u32_e32 vcc, s8, v10
	v_mov_b32_e32 v2, 0x2000
	s_and_saveexec_b64 s[8:9], vcc
	s_cbranch_execz .LBB1766_46
; %bb.45:
	ds_read_b32 v2, v3 offset:132
.LBB1766_46:
	s_or_b64 exec, exec, s[8:9]
	s_waitcnt lgkmcnt(0)
	v_sub_u32_e32 v18, v2, v16
.LBB1766_47:
	s_or_b64 exec, exec, s[6:7]
	s_waitcnt lgkmcnt(0)
	s_barrier
	s_and_saveexec_b64 s[6:7], s[4:5]
	s_cbranch_execz .LBB1766_57
; %bb.48:
	v_lshl_or_b32 v4, s27, 8, v10
	v_mov_b32_e32 v5, 0
	v_lshl_add_u64 v[2:3], v[4:5], 2, s[18:19]
	v_or_b32_e32 v4, 2.0, v18
	s_mov_b64 s[8:9], 0
	s_brev_b32 s16, 1
	s_mov_b32 s17, s27
	v_mov_b32_e32 v42, 0
	global_store_dword v[2:3], v4, off sc1
                                        ; implicit-def: $sgpr12_sgpr13
	s_branch .LBB1766_50
.LBB1766_49:                            ;   in Loop: Header=BB1766_50 Depth=1
	s_or_b64 exec, exec, s[12:13]
	v_and_b32_e32 v6, 0x3fffffff, v43
	v_add_u32_e32 v42, v6, v42
	v_cmp_eq_u32_e64 s[12:13], s16, v4
	s_and_b64 s[14:15], exec, s[12:13]
	s_or_b64 s[8:9], s[14:15], s[8:9]
	s_andn2_b64 exec, exec, s[8:9]
	s_cbranch_execz .LBB1766_56
.LBB1766_50:                            ; =>This Loop Header: Depth=1
                                        ;     Child Loop BB1766_53 Depth 2
	s_or_b64 s[12:13], s[12:13], exec
	s_cmp_eq_u32 s17, 0
	s_cbranch_scc1 .LBB1766_55
; %bb.51:                               ;   in Loop: Header=BB1766_50 Depth=1
	s_add_i32 s17, s17, -1
	v_lshl_or_b32 v4, s17, 8, v10
	v_lshl_add_u64 v[6:7], v[4:5], 2, s[18:19]
	global_load_dword v43, v[6:7], off sc1
	s_waitcnt vmcnt(0)
	v_and_b32_e32 v4, -2.0, v43
	v_cmp_eq_u32_e32 vcc, 0, v4
	s_and_saveexec_b64 s[12:13], vcc
	s_cbranch_execz .LBB1766_49
; %bb.52:                               ;   in Loop: Header=BB1766_50 Depth=1
	s_mov_b64 s[14:15], 0
.LBB1766_53:                            ;   Parent Loop BB1766_50 Depth=1
                                        ; =>  This Inner Loop Header: Depth=2
	global_load_dword v43, v[6:7], off sc1
	s_waitcnt vmcnt(0)
	v_and_b32_e32 v4, -2.0, v43
	v_cmp_ne_u32_e32 vcc, 0, v4
	s_or_b64 s[14:15], vcc, s[14:15]
	s_andn2_b64 exec, exec, s[14:15]
	s_cbranch_execnz .LBB1766_53
; %bb.54:                               ;   in Loop: Header=BB1766_50 Depth=1
	s_or_b64 exec, exec, s[14:15]
	s_branch .LBB1766_49
.LBB1766_55:                            ;   in Loop: Header=BB1766_50 Depth=1
                                        ; implicit-def: $sgpr17
	s_and_b64 s[14:15], exec, s[12:13]
	s_or_b64 s[8:9], s[14:15], s[8:9]
	s_andn2_b64 exec, exec, s[8:9]
	s_cbranch_execnz .LBB1766_50
.LBB1766_56:
	s_or_b64 exec, exec, s[8:9]
	v_add_u32_e32 v4, v42, v18
	v_or_b32_e32 v4, 0x80000000, v4
	global_store_dword v[2:3], v4, off sc1
	v_lshlrev_b32_e32 v2, 2, v10
	global_load_dword v3, v2, s[20:21]
	v_sub_u32_e32 v4, v42, v16
	s_waitcnt vmcnt(0)
	v_add_u32_e32 v3, v4, v3
	ds_write_b32 v2, v3
.LBB1766_57:
	s_or_b64 exec, exec, s[6:7]
	v_add_u32_e32 v4, v22, v17
	v_add3_u32 v5, v20, v19, v23
	v_add3_u32 v6, v25, v21, v27
	;; [unrolled: 1-line block ×7, first 2 shown]
	v_lshlrev_b32_e32 v22, 2, v10
	s_movk_i32 s12, 0x400
	v_add_u32_e32 v23, 0x400, v22
	v_lshlrev_b32_e32 v25, 2, v21
	v_lshlrev_b32_e32 v26, 2, v20
	;; [unrolled: 1-line block ×8, first 2 shown]
	s_mov_b64 s[6:7], -1
	s_mov_b32 s13, 0
	s_movk_i32 s14, 0x1000
	v_mov_b32_e32 v3, 0
	s_movk_i32 s15, 0x800
	s_movk_i32 s16, 0xc00
	v_mov_b32_e32 v33, v10
	s_branch .LBB1766_59
.LBB1766_58:                            ;   in Loop: Header=BB1766_59 Depth=1
	s_or_b64 exec, exec, s[8:9]
	s_xor_b64 s[8:9], s[6:7], -1
	s_addk_i32 s13, 0xc000
	v_add_u32_e32 v21, 0xfffff000, v21
	v_add_u32_e32 v20, 0xfffff000, v20
	;; [unrolled: 1-line block ×9, first 2 shown]
	s_mov_b64 s[6:7], 0
	s_and_b64 vcc, exec, s[8:9]
	s_barrier
	s_cbranch_vccnz .LBB1766_84
.LBB1766_59:                            ; =>This Inner Loop Header: Depth=1
	v_cmp_gt_u32_e32 vcc, s14, v4
	s_and_saveexec_b64 s[8:9], vcc
	s_cbranch_execnz .LBB1766_76
; %bb.60:                               ;   in Loop: Header=BB1766_59 Depth=1
	s_or_b64 exec, exec, s[8:9]
	v_cmp_gt_u32_e32 vcc, s14, v5
	s_and_saveexec_b64 s[8:9], vcc
	s_cbranch_execnz .LBB1766_77
.LBB1766_61:                            ;   in Loop: Header=BB1766_59 Depth=1
	s_or_b64 exec, exec, s[8:9]
	v_cmp_gt_u32_e32 vcc, s14, v6
	s_and_saveexec_b64 s[8:9], vcc
	s_cbranch_execnz .LBB1766_78
.LBB1766_62:                            ;   in Loop: Header=BB1766_59 Depth=1
	s_or_b64 exec, exec, s[8:9]
	v_cmp_gt_u32_e32 vcc, s14, v7
	s_and_saveexec_b64 s[8:9], vcc
	s_cbranch_execnz .LBB1766_79
.LBB1766_63:                            ;   in Loop: Header=BB1766_59 Depth=1
	s_or_b64 exec, exec, s[8:9]
	v_cmp_gt_u32_e32 vcc, s14, v17
	s_and_saveexec_b64 s[8:9], vcc
	s_cbranch_execnz .LBB1766_80
.LBB1766_64:                            ;   in Loop: Header=BB1766_59 Depth=1
	s_or_b64 exec, exec, s[8:9]
	v_cmp_gt_u32_e32 vcc, s14, v19
	s_and_saveexec_b64 s[8:9], vcc
	s_cbranch_execnz .LBB1766_81
.LBB1766_65:                            ;   in Loop: Header=BB1766_59 Depth=1
	s_or_b64 exec, exec, s[8:9]
	v_cmp_gt_u32_e32 vcc, s14, v20
	s_and_saveexec_b64 s[8:9], vcc
	s_cbranch_execnz .LBB1766_82
.LBB1766_66:                            ;   in Loop: Header=BB1766_59 Depth=1
	s_or_b64 exec, exec, s[8:9]
	v_cmp_gt_u32_e32 vcc, s14, v21
	s_and_saveexec_b64 s[8:9], vcc
	s_cbranch_execz .LBB1766_68
.LBB1766_67:                            ;   in Loop: Header=BB1766_59 Depth=1
	v_add_u32_e32 v2, s13, v25
	ds_write_b32 v2, v9 offset:1024
.LBB1766_68:                            ;   in Loop: Header=BB1766_59 Depth=1
	s_or_b64 exec, exec, s[8:9]
	v_cmp_gt_u32_e32 vcc, s3, v33
	s_waitcnt lgkmcnt(0)
	s_barrier
	s_and_saveexec_b64 s[8:9], vcc
	s_cbranch_execz .LBB1766_70
; %bb.69:                               ;   in Loop: Header=BB1766_59 Depth=1
	ds_read_b32 v2, v22 offset:1024
	s_waitcnt lgkmcnt(0)
	v_lshrrev_b32_e32 v34, s24, v2
	v_and_b32_e32 v34, s33, v34
	v_lshlrev_b32_e32 v34, 2, v34
	ds_read_b32 v34, v34
	v_xor_b32_e32 v36, 0x80000000, v2
	s_waitcnt lgkmcnt(0)
	v_add_u32_e32 v2, v33, v34
	v_lshl_add_u64 v[34:35], v[2:3], 2, s[30:31]
	global_store_dword v[34:35], v36, off
.LBB1766_70:                            ;   in Loop: Header=BB1766_59 Depth=1
	s_or_b64 exec, exec, s[8:9]
	v_add_u32_e32 v2, 0x400, v33
	v_cmp_gt_u32_e32 vcc, s3, v2
	s_and_saveexec_b64 s[8:9], vcc
	s_cbranch_execz .LBB1766_72
; %bb.71:                               ;   in Loop: Header=BB1766_59 Depth=1
	ds_read_b32 v2, v23 offset:4096
	s_waitcnt lgkmcnt(0)
	v_lshrrev_b32_e32 v34, s24, v2
	v_and_b32_e32 v34, s33, v34
	v_lshlrev_b32_e32 v34, 2, v34
	ds_read_b32 v34, v34
	v_xor_b32_e32 v36, 0x80000000, v2
	s_waitcnt lgkmcnt(0)
	v_add3_u32 v2, v33, v34, s12
	v_lshl_add_u64 v[34:35], v[2:3], 2, s[30:31]
	global_store_dword v[34:35], v36, off
.LBB1766_72:                            ;   in Loop: Header=BB1766_59 Depth=1
	s_or_b64 exec, exec, s[8:9]
	v_add_u32_e32 v2, 0x800, v33
	v_cmp_gt_u32_e32 vcc, s3, v2
	s_and_saveexec_b64 s[8:9], vcc
	s_cbranch_execz .LBB1766_74
; %bb.73:                               ;   in Loop: Header=BB1766_59 Depth=1
	ds_read_b32 v2, v23 offset:8192
	s_waitcnt lgkmcnt(0)
	v_lshrrev_b32_e32 v34, s24, v2
	v_and_b32_e32 v34, s33, v34
	v_lshlrev_b32_e32 v34, 2, v34
	ds_read_b32 v34, v34
	v_xor_b32_e32 v36, 0x80000000, v2
	s_waitcnt lgkmcnt(0)
	v_add3_u32 v2, v33, v34, s15
	v_lshl_add_u64 v[34:35], v[2:3], 2, s[30:31]
	global_store_dword v[34:35], v36, off
.LBB1766_74:                            ;   in Loop: Header=BB1766_59 Depth=1
	s_or_b64 exec, exec, s[8:9]
	v_add_u32_e32 v2, 0xc00, v33
	v_cmp_gt_u32_e32 vcc, s3, v2
	s_and_saveexec_b64 s[8:9], vcc
	s_cbranch_execz .LBB1766_58
; %bb.75:                               ;   in Loop: Header=BB1766_59 Depth=1
	ds_read_b32 v2, v23 offset:12288
	s_waitcnt lgkmcnt(0)
	v_lshrrev_b32_e32 v34, s24, v2
	v_and_b32_e32 v34, s33, v34
	v_lshlrev_b32_e32 v34, 2, v34
	ds_read_b32 v34, v34
	v_xor_b32_e32 v36, 0x80000000, v2
	s_waitcnt lgkmcnt(0)
	v_add3_u32 v2, v33, v34, s16
	v_lshl_add_u64 v[34:35], v[2:3], 2, s[30:31]
	global_store_dword v[34:35], v36, off
	s_branch .LBB1766_58
.LBB1766_76:                            ;   in Loop: Header=BB1766_59 Depth=1
	v_add_u32_e32 v2, s13, v32
	ds_write_b32 v2, v11 offset:1024
	s_or_b64 exec, exec, s[8:9]
	v_cmp_gt_u32_e32 vcc, s14, v5
	s_and_saveexec_b64 s[8:9], vcc
	s_cbranch_execz .LBB1766_61
.LBB1766_77:                            ;   in Loop: Header=BB1766_59 Depth=1
	v_add_u32_e32 v2, s13, v31
	ds_write_b32 v2, v14 offset:1024
	s_or_b64 exec, exec, s[8:9]
	v_cmp_gt_u32_e32 vcc, s14, v6
	s_and_saveexec_b64 s[8:9], vcc
	s_cbranch_execz .LBB1766_62
.LBB1766_78:                            ;   in Loop: Header=BB1766_59 Depth=1
	v_add_u32_e32 v2, s13, v30
	ds_write_b32 v2, v15 offset:1024
	s_or_b64 exec, exec, s[8:9]
	v_cmp_gt_u32_e32 vcc, s14, v7
	s_and_saveexec_b64 s[8:9], vcc
	s_cbranch_execz .LBB1766_63
.LBB1766_79:                            ;   in Loop: Header=BB1766_59 Depth=1
	v_add_u32_e32 v2, s13, v29
	ds_write_b32 v2, v12 offset:1024
	s_or_b64 exec, exec, s[8:9]
	v_cmp_gt_u32_e32 vcc, s14, v17
	s_and_saveexec_b64 s[8:9], vcc
	s_cbranch_execz .LBB1766_64
.LBB1766_80:                            ;   in Loop: Header=BB1766_59 Depth=1
	v_add_u32_e32 v2, s13, v28
	ds_write_b32 v2, v13 offset:1024
	s_or_b64 exec, exec, s[8:9]
	v_cmp_gt_u32_e32 vcc, s14, v19
	s_and_saveexec_b64 s[8:9], vcc
	s_cbranch_execz .LBB1766_65
.LBB1766_81:                            ;   in Loop: Header=BB1766_59 Depth=1
	v_add_u32_e32 v2, s13, v27
	ds_write_b32 v2, v24 offset:1024
	s_or_b64 exec, exec, s[8:9]
	v_cmp_gt_u32_e32 vcc, s14, v20
	s_and_saveexec_b64 s[8:9], vcc
	s_cbranch_execz .LBB1766_66
.LBB1766_82:                            ;   in Loop: Header=BB1766_59 Depth=1
	v_add_u32_e32 v2, s13, v26
	ds_write_b32 v2, v8 offset:1024
	s_or_b64 exec, exec, s[8:9]
	v_cmp_gt_u32_e32 vcc, s14, v21
	s_and_saveexec_b64 s[8:9], vcc
	s_cbranch_execnz .LBB1766_67
	s_branch .LBB1766_68
.LBB1766_83:
	s_mov_b64 s[8:9], 0
                                        ; implicit-def: $vgpr2
	s_cbranch_execnz .LBB1766_87
	s_branch .LBB1766_144
.LBB1766_84:
	s_add_i32 s26, s26, -1
	s_cmp_eq_u32 s26, s27
	s_cselect_b64 s[6:7], -1, 0
	s_and_b64 s[6:7], s[4:5], s[6:7]
	s_mov_b64 s[4:5], 0
	s_mov_b64 s[8:9], 0
                                        ; implicit-def: $vgpr2
	s_and_saveexec_b64 s[12:13], s[6:7]
	s_xor_b64 s[6:7], exec, s[12:13]
; %bb.85:
	s_mov_b64 s[8:9], exec
	v_add_u32_e32 v2, v16, v18
; %bb.86:
	s_or_b64 exec, exec, s[6:7]
	s_and_b64 vcc, exec, s[4:5]
	s_cbranch_vccz .LBB1766_144
.LBB1766_87:
	s_lshl_b32 s4, s27, 13
	s_mov_b32 s5, 0
	s_lshl_b64 s[4:5], s[4:5], 2
	v_mbcnt_hi_u32_b32 v4, -1, v1
	s_add_u32 s4, s28, s4
	v_and_b32_e32 v1, 63, v4
	s_addc_u32 s5, s29, s5
	v_mov_b32_e32 v3, 0
	v_lshlrev_b32_e32 v2, 2, v1
	v_lshlrev_b32_e32 v1, 5, v10
	v_lshl_add_u64 v[6:7], s[4:5], 0, v[2:3]
	v_and_b32_e32 v2, 0x7800, v1
	v_lshl_add_u64 v[14:15], v[6:7], 0, v[2:3]
	global_load_dword v1, v[14:15], off
	s_load_dword s3, s[0:1], 0x64
	s_load_dword s14, s[0:1], 0x58
	s_add_u32 s0, s0, 0x58
	s_addc_u32 s1, s1, 0
	v_bfe_u32 v2, v0, 10, 10
	s_waitcnt lgkmcnt(0)
	s_lshr_b32 s3, s3, 16
	s_cmp_lt_u32 s2, s14
	s_cselect_b32 s2, 12, 18
	s_add_u32 s0, s0, s2
	s_addc_u32 s1, s1, 0
	global_load_ushort v9, v3, s[0:1]
	v_bfe_u32 v6, v0, 20, 10
	v_mul_u32_u24_e32 v0, 5, v10
	v_lshlrev_b32_e32 v5, 2, v0
	ds_write2_b32 v5, v3, v3 offset0:16 offset1:17
	ds_write2_b32 v5, v3, v3 offset0:18 offset1:19
	ds_write_b32 v5, v3 offset:80
	global_load_dword v7, v[14:15], off offset:256
	global_load_dword v8, v[14:15], off offset:512
	;; [unrolled: 1-line block ×7, first 2 shown]
	v_mad_u32_u24 v11, v6, s3, v2
	s_lshl_b32 s0, -1, s25
	s_not_b32 s15, s0
	v_mov_b32_e32 v0, v3
	v_mov_b32_e32 v24, v3
	;; [unrolled: 1-line block ×5, first 2 shown]
	s_waitcnt lgkmcnt(0)
	s_barrier
	s_waitcnt lgkmcnt(0)
	; wave barrier
	s_waitcnt vmcnt(8)
	v_xor_b32_e32 v6, 0x80000000, v1
	v_lshrrev_b32_e32 v1, s24, v6
	v_and_b32_e32 v13, s15, v1
	v_and_b32_e32 v2, 1, v13
	v_lshlrev_b32_e32 v1, 30, v13
	v_lshlrev_b32_e32 v19, 29, v13
	v_lshlrev_b32_e32 v25, 28, v13
	v_lshl_add_u64 v[32:33], v[2:3], 0, -1
	v_cmp_ne_u32_e32 vcc, 0, v2
	v_lshl_add_u32 v17, v13, 4, v13
	s_waitcnt vmcnt(7)
	v_mad_u64_u32 v[14:15], s[0:1], v11, v9, v[10:11]
	v_cmp_gt_i64_e64 s[0:1], 0, v[0:1]
	v_not_b32_e32 v0, v1
	v_not_b32_e32 v1, v19
	v_cmp_gt_i64_e64 s[4:5], 0, v[24:25]
	v_lshrrev_b32_e32 v24, 6, v14
	v_xor_b32_e32 v15, vcc_lo, v32
	v_ashrrev_i32_e32 v0, 31, v0
	v_cmp_gt_i64_e64 s[2:3], 0, v[18:19]
	v_not_b32_e32 v2, v25
	v_xor_b32_e32 v11, vcc_hi, v33
	v_ashrrev_i32_e32 v1, 31, v1
	v_add_lshl_u32 v14, v24, v17, 2
	v_and_b32_e32 v15, exec_lo, v15
	v_xor_b32_e32 v17, s1, v0
	v_xor_b32_e32 v0, s0, v0
	v_lshlrev_b32_e32 v29, 27, v13
	v_ashrrev_i32_e32 v2, 31, v2
	v_and_b32_e32 v11, exec_hi, v11
	v_xor_b32_e32 v18, s3, v1
	v_xor_b32_e32 v1, s2, v1
	v_and_b32_e32 v0, v15, v0
	v_lshlrev_b32_e32 v31, 26, v13
	v_not_b32_e32 v9, v29
	v_xor_b32_e32 v19, s5, v2
	v_xor_b32_e32 v2, s4, v2
	v_and_b32_e32 v11, v11, v17
	v_and_b32_e32 v0, v0, v1
	v_cmp_gt_i64_e64 s[6:7], 0, v[28:29]
	v_ashrrev_i32_e32 v9, 31, v9
	v_and_b32_e32 v11, v11, v18
	v_and_b32_e32 v0, v0, v2
	v_not_b32_e32 v2, v31
	v_xor_b32_e32 v21, s7, v9
	v_xor_b32_e32 v9, s6, v9
	v_and_b32_e32 v1, v11, v19
	v_cmp_gt_i64_e32 vcc, 0, v[30:31]
	v_ashrrev_i32_e32 v2, 31, v2
	v_and_b32_e32 v1, v1, v21
	v_and_b32_e32 v0, v0, v9
	v_xor_b32_e32 v9, vcc_hi, v2
	v_xor_b32_e32 v2, vcc_lo, v2
	v_and_b32_e32 v9, v1, v9
	v_and_b32_e32 v2, v0, v2
	v_lshlrev_b32_e32 v1, 25, v13
	v_mov_b32_e32 v0, v3
	v_cmp_gt_i64_e32 vcc, 0, v[0:1]
	v_not_b32_e32 v0, v1
	v_ashrrev_i32_e32 v0, 31, v0
	v_xor_b32_e32 v1, vcc_hi, v0
	v_xor_b32_e32 v0, vcc_lo, v0
	v_and_b32_e32 v9, v9, v1
	v_and_b32_e32 v2, v2, v0
	v_lshlrev_b32_e32 v1, 24, v13
	v_mov_b32_e32 v0, v3
	v_cmp_gt_i64_e32 vcc, 0, v[0:1]
	v_not_b32_e32 v0, v1
	v_ashrrev_i32_e32 v0, 31, v0
	v_xor_b32_e32 v1, vcc_hi, v0
	v_xor_b32_e32 v0, vcc_lo, v0
	v_and_b32_e32 v0, v2, v0
	v_and_b32_e32 v1, v9, v1
	v_mbcnt_lo_u32_b32 v2, v0, 0
	v_mbcnt_hi_u32_b32 v9, v1, v2
	v_cmp_eq_u32_e32 vcc, 0, v9
	v_cmp_ne_u64_e64 s[0:1], 0, v[0:1]
	s_and_b64 s[2:3], s[0:1], vcc
	s_and_saveexec_b64 s[0:1], s[2:3]
	s_cbranch_execz .LBB1766_89
; %bb.88:
	v_bcnt_u32_b32 v0, v0, 0
	v_bcnt_u32_b32 v0, v1, v0
	ds_write_b32 v14, v0 offset:64
.LBB1766_89:
	s_or_b64 exec, exec, s[0:1]
	s_waitcnt vmcnt(6)
	v_xor_b32_e32 v7, 0x80000000, v7
	v_lshrrev_b32_e32 v0, s24, v7
	v_and_b32_e32 v13, s15, v0
	v_lshl_add_u32 v0, v13, 4, v13
	v_and_b32_e32 v2, 1, v13
	v_add_lshl_u32 v17, v24, v0, 2
	v_lshl_add_u64 v[0:1], v[2:3], 0, -1
	v_cmp_ne_u32_e32 vcc, 0, v2
	; wave barrier
	s_nop 1
	v_xor_b32_e32 v1, vcc_hi, v1
	v_xor_b32_e32 v0, vcc_lo, v0
	v_and_b32_e32 v2, exec_hi, v1
	v_and_b32_e32 v15, exec_lo, v0
	v_lshlrev_b32_e32 v1, 30, v13
	v_mov_b32_e32 v0, v3
	v_cmp_gt_i64_e32 vcc, 0, v[0:1]
	v_not_b32_e32 v0, v1
	v_ashrrev_i32_e32 v0, 31, v0
	v_xor_b32_e32 v1, vcc_hi, v0
	v_xor_b32_e32 v0, vcc_lo, v0
	v_and_b32_e32 v2, v2, v1
	v_and_b32_e32 v15, v15, v0
	v_lshlrev_b32_e32 v1, 29, v13
	v_mov_b32_e32 v0, v3
	v_cmp_gt_i64_e32 vcc, 0, v[0:1]
	v_not_b32_e32 v0, v1
	v_ashrrev_i32_e32 v0, 31, v0
	v_xor_b32_e32 v1, vcc_hi, v0
	v_xor_b32_e32 v0, vcc_lo, v0
	v_and_b32_e32 v2, v2, v1
	v_and_b32_e32 v15, v15, v0
	;; [unrolled: 9-line block ×6, first 2 shown]
	v_lshlrev_b32_e32 v1, 24, v13
	v_mov_b32_e32 v0, v3
	v_cmp_gt_i64_e32 vcc, 0, v[0:1]
	v_not_b32_e32 v0, v1
	v_ashrrev_i32_e32 v0, 31, v0
	v_xor_b32_e32 v1, vcc_hi, v0
	v_xor_b32_e32 v0, vcc_lo, v0
	ds_read_b32 v11, v17 offset:64
	v_and_b32_e32 v0, v15, v0
	v_and_b32_e32 v1, v2, v1
	v_mbcnt_lo_u32_b32 v2, v0, 0
	v_mbcnt_hi_u32_b32 v13, v1, v2
	v_cmp_eq_u32_e32 vcc, 0, v13
	v_cmp_ne_u64_e64 s[0:1], 0, v[0:1]
	s_and_b64 s[2:3], s[0:1], vcc
	; wave barrier
	s_and_saveexec_b64 s[0:1], s[2:3]
	s_cbranch_execz .LBB1766_91
; %bb.90:
	v_bcnt_u32_b32 v0, v0, 0
	v_bcnt_u32_b32 v0, v1, v0
	s_waitcnt lgkmcnt(0)
	v_add_u32_e32 v0, v11, v0
	ds_write_b32 v17, v0 offset:64
.LBB1766_91:
	s_or_b64 exec, exec, s[0:1]
	s_waitcnt vmcnt(5)
	v_xor_b32_e32 v8, 0x80000000, v8
	v_lshrrev_b32_e32 v0, s24, v8
	v_and_b32_e32 v18, s15, v0
	v_lshl_add_u32 v0, v18, 4, v18
	v_add_lshl_u32 v21, v24, v0, 2
	v_and_b32_e32 v0, 1, v18
	v_mov_b32_e32 v1, 0
	v_lshl_add_u64 v[2:3], v[0:1], 0, -1
	v_cmp_ne_u32_e32 vcc, 0, v0
	; wave barrier
	s_nop 1
	v_xor_b32_e32 v2, vcc_lo, v2
	v_xor_b32_e32 v0, vcc_hi, v3
	v_and_b32_e32 v19, exec_lo, v2
	v_lshlrev_b32_e32 v3, 30, v18
	v_mov_b32_e32 v2, v1
	v_cmp_gt_i64_e32 vcc, 0, v[2:3]
	v_not_b32_e32 v2, v3
	v_ashrrev_i32_e32 v2, 31, v2
	v_and_b32_e32 v0, exec_hi, v0
	v_xor_b32_e32 v3, vcc_hi, v2
	v_xor_b32_e32 v2, vcc_lo, v2
	v_and_b32_e32 v0, v0, v3
	v_and_b32_e32 v19, v19, v2
	v_lshlrev_b32_e32 v3, 29, v18
	v_mov_b32_e32 v2, v1
	v_cmp_gt_i64_e32 vcc, 0, v[2:3]
	v_not_b32_e32 v2, v3
	v_ashrrev_i32_e32 v2, 31, v2
	v_xor_b32_e32 v3, vcc_hi, v2
	v_xor_b32_e32 v2, vcc_lo, v2
	v_and_b32_e32 v0, v0, v3
	v_and_b32_e32 v19, v19, v2
	v_lshlrev_b32_e32 v3, 28, v18
	v_mov_b32_e32 v2, v1
	v_cmp_gt_i64_e32 vcc, 0, v[2:3]
	v_not_b32_e32 v2, v3
	v_ashrrev_i32_e32 v2, 31, v2
	;; [unrolled: 9-line block ×6, first 2 shown]
	v_xor_b32_e32 v3, vcc_hi, v2
	v_xor_b32_e32 v2, vcc_lo, v2
	ds_read_b32 v15, v21 offset:64
	v_and_b32_e32 v2, v19, v2
	v_and_b32_e32 v3, v0, v3
	v_mbcnt_lo_u32_b32 v0, v2, 0
	v_mbcnt_hi_u32_b32 v18, v3, v0
	v_cmp_eq_u32_e32 vcc, 0, v18
	v_cmp_ne_u64_e64 s[0:1], 0, v[2:3]
	s_and_b64 s[2:3], s[0:1], vcc
	; wave barrier
	s_and_saveexec_b64 s[0:1], s[2:3]
	s_cbranch_execz .LBB1766_93
; %bb.92:
	v_bcnt_u32_b32 v0, v2, 0
	v_bcnt_u32_b32 v0, v3, v0
	s_waitcnt lgkmcnt(0)
	v_add_u32_e32 v0, v15, v0
	ds_write_b32 v21, v0 offset:64
.LBB1766_93:
	s_or_b64 exec, exec, s[0:1]
	s_waitcnt vmcnt(4)
	v_xor_b32_e32 v12, 0x80000000, v12
	v_lshrrev_b32_e32 v0, s24, v12
	v_and_b32_e32 v23, s15, v0
	v_lshl_add_u32 v0, v23, 4, v23
	v_add_lshl_u32 v27, v24, v0, 2
	v_and_b32_e32 v0, 1, v23
	v_lshl_add_u64 v[2:3], v[0:1], 0, -1
	v_cmp_ne_u32_e32 vcc, 0, v0
	; wave barrier
	s_nop 1
	v_xor_b32_e32 v2, vcc_lo, v2
	v_xor_b32_e32 v0, vcc_hi, v3
	v_and_b32_e32 v25, exec_lo, v2
	v_lshlrev_b32_e32 v3, 30, v23
	v_mov_b32_e32 v2, v1
	v_cmp_gt_i64_e32 vcc, 0, v[2:3]
	v_not_b32_e32 v2, v3
	v_ashrrev_i32_e32 v2, 31, v2
	v_and_b32_e32 v0, exec_hi, v0
	v_xor_b32_e32 v3, vcc_hi, v2
	v_xor_b32_e32 v2, vcc_lo, v2
	v_and_b32_e32 v0, v0, v3
	v_and_b32_e32 v25, v25, v2
	v_lshlrev_b32_e32 v3, 29, v23
	v_mov_b32_e32 v2, v1
	v_cmp_gt_i64_e32 vcc, 0, v[2:3]
	v_not_b32_e32 v2, v3
	v_ashrrev_i32_e32 v2, 31, v2
	v_xor_b32_e32 v3, vcc_hi, v2
	v_xor_b32_e32 v2, vcc_lo, v2
	v_and_b32_e32 v0, v0, v3
	v_and_b32_e32 v25, v25, v2
	v_lshlrev_b32_e32 v3, 28, v23
	v_mov_b32_e32 v2, v1
	v_cmp_gt_i64_e32 vcc, 0, v[2:3]
	v_not_b32_e32 v2, v3
	v_ashrrev_i32_e32 v2, 31, v2
	;; [unrolled: 9-line block ×5, first 2 shown]
	v_xor_b32_e32 v3, vcc_hi, v2
	v_xor_b32_e32 v2, vcc_lo, v2
	v_and_b32_e32 v0, v0, v3
	v_lshlrev_b32_e32 v3, 24, v23
	v_and_b32_e32 v25, v25, v2
	v_mov_b32_e32 v2, v1
	v_not_b32_e32 v1, v3
	v_cmp_gt_i64_e32 vcc, 0, v[2:3]
	v_ashrrev_i32_e32 v1, 31, v1
	ds_read_b32 v19, v27 offset:64
	v_xor_b32_e32 v2, vcc_hi, v1
	v_xor_b32_e32 v3, vcc_lo, v1
	v_and_b32_e32 v1, v0, v2
	v_and_b32_e32 v0, v25, v3
	v_mbcnt_lo_u32_b32 v2, v0, 0
	v_mbcnt_hi_u32_b32 v23, v1, v2
	v_cmp_eq_u32_e32 vcc, 0, v23
	v_cmp_ne_u64_e64 s[0:1], 0, v[0:1]
	s_and_b64 s[2:3], s[0:1], vcc
	; wave barrier
	s_and_saveexec_b64 s[0:1], s[2:3]
	s_cbranch_execz .LBB1766_95
; %bb.94:
	v_bcnt_u32_b32 v0, v0, 0
	v_bcnt_u32_b32 v0, v1, v0
	s_waitcnt lgkmcnt(0)
	v_add_u32_e32 v0, v19, v0
	ds_write_b32 v27, v0 offset:64
.LBB1766_95:
	s_or_b64 exec, exec, s[0:1]
	s_waitcnt vmcnt(3)
	v_xor_b32_e32 v16, 0x80000000, v16
	v_lshrrev_b32_e32 v0, s24, v16
	v_and_b32_e32 v28, s15, v0
	v_lshl_add_u32 v0, v28, 4, v28
	v_add_lshl_u32 v30, v24, v0, 2
	v_and_b32_e32 v0, 1, v28
	v_mov_b32_e32 v1, 0
	v_lshl_add_u64 v[2:3], v[0:1], 0, -1
	v_cmp_ne_u32_e32 vcc, 0, v0
	; wave barrier
	s_nop 1
	v_xor_b32_e32 v2, vcc_lo, v2
	v_xor_b32_e32 v0, vcc_hi, v3
	v_and_b32_e32 v29, exec_lo, v2
	v_lshlrev_b32_e32 v3, 30, v28
	v_mov_b32_e32 v2, v1
	v_cmp_gt_i64_e32 vcc, 0, v[2:3]
	v_not_b32_e32 v2, v3
	v_ashrrev_i32_e32 v2, 31, v2
	v_and_b32_e32 v0, exec_hi, v0
	v_xor_b32_e32 v3, vcc_hi, v2
	v_xor_b32_e32 v2, vcc_lo, v2
	v_and_b32_e32 v0, v0, v3
	v_and_b32_e32 v29, v29, v2
	v_lshlrev_b32_e32 v3, 29, v28
	v_mov_b32_e32 v2, v1
	v_cmp_gt_i64_e32 vcc, 0, v[2:3]
	v_not_b32_e32 v2, v3
	v_ashrrev_i32_e32 v2, 31, v2
	v_xor_b32_e32 v3, vcc_hi, v2
	v_xor_b32_e32 v2, vcc_lo, v2
	v_and_b32_e32 v0, v0, v3
	v_and_b32_e32 v29, v29, v2
	v_lshlrev_b32_e32 v3, 28, v28
	v_mov_b32_e32 v2, v1
	v_cmp_gt_i64_e32 vcc, 0, v[2:3]
	v_not_b32_e32 v2, v3
	v_ashrrev_i32_e32 v2, 31, v2
	v_xor_b32_e32 v3, vcc_hi, v2
	v_xor_b32_e32 v2, vcc_lo, v2
	v_and_b32_e32 v0, v0, v3
	v_and_b32_e32 v29, v29, v2
	v_lshlrev_b32_e32 v3, 27, v28
	v_mov_b32_e32 v2, v1
	v_cmp_gt_i64_e32 vcc, 0, v[2:3]
	v_not_b32_e32 v2, v3
	v_ashrrev_i32_e32 v2, 31, v2
	v_xor_b32_e32 v3, vcc_hi, v2
	v_xor_b32_e32 v2, vcc_lo, v2
	v_and_b32_e32 v0, v0, v3
	v_and_b32_e32 v29, v29, v2
	v_lshlrev_b32_e32 v3, 26, v28
	v_mov_b32_e32 v2, v1
	v_cmp_gt_i64_e32 vcc, 0, v[2:3]
	v_not_b32_e32 v2, v3
	v_ashrrev_i32_e32 v2, 31, v2
	v_xor_b32_e32 v3, vcc_hi, v2
	v_xor_b32_e32 v2, vcc_lo, v2
	v_and_b32_e32 v0, v0, v3
	v_and_b32_e32 v29, v29, v2
	v_lshlrev_b32_e32 v3, 25, v28
	v_mov_b32_e32 v2, v1
	v_cmp_gt_i64_e32 vcc, 0, v[2:3]
	v_not_b32_e32 v2, v3
	v_ashrrev_i32_e32 v2, 31, v2
	v_xor_b32_e32 v3, vcc_hi, v2
	v_xor_b32_e32 v2, vcc_lo, v2
	v_and_b32_e32 v0, v0, v3
	v_and_b32_e32 v29, v29, v2
	v_lshlrev_b32_e32 v3, 24, v28
	v_mov_b32_e32 v2, v1
	v_cmp_gt_i64_e32 vcc, 0, v[2:3]
	v_not_b32_e32 v2, v3
	v_ashrrev_i32_e32 v2, 31, v2
	v_xor_b32_e32 v3, vcc_hi, v2
	v_xor_b32_e32 v2, vcc_lo, v2
	ds_read_b32 v25, v30 offset:64
	v_and_b32_e32 v2, v29, v2
	v_and_b32_e32 v3, v0, v3
	v_mbcnt_lo_u32_b32 v0, v2, 0
	v_mbcnt_hi_u32_b32 v28, v3, v0
	v_cmp_eq_u32_e32 vcc, 0, v28
	v_cmp_ne_u64_e64 s[0:1], 0, v[2:3]
	s_and_b64 s[2:3], s[0:1], vcc
	; wave barrier
	s_and_saveexec_b64 s[0:1], s[2:3]
	s_cbranch_execz .LBB1766_97
; %bb.96:
	v_bcnt_u32_b32 v0, v2, 0
	v_bcnt_u32_b32 v0, v3, v0
	s_waitcnt lgkmcnt(0)
	v_add_u32_e32 v0, v25, v0
	ds_write_b32 v30, v0 offset:64
.LBB1766_97:
	s_or_b64 exec, exec, s[0:1]
	s_waitcnt vmcnt(2)
	v_xor_b32_e32 v20, 0x80000000, v20
	v_lshrrev_b32_e32 v0, s24, v20
	v_and_b32_e32 v31, s15, v0
	v_lshl_add_u32 v0, v31, 4, v31
	v_add_lshl_u32 v33, v24, v0, 2
	v_and_b32_e32 v0, 1, v31
	v_lshl_add_u64 v[2:3], v[0:1], 0, -1
	v_cmp_ne_u32_e32 vcc, 0, v0
	; wave barrier
	s_nop 1
	v_xor_b32_e32 v2, vcc_lo, v2
	v_xor_b32_e32 v0, vcc_hi, v3
	v_and_b32_e32 v32, exec_lo, v2
	v_lshlrev_b32_e32 v3, 30, v31
	v_mov_b32_e32 v2, v1
	v_cmp_gt_i64_e32 vcc, 0, v[2:3]
	v_not_b32_e32 v2, v3
	v_ashrrev_i32_e32 v2, 31, v2
	v_and_b32_e32 v0, exec_hi, v0
	v_xor_b32_e32 v3, vcc_hi, v2
	v_xor_b32_e32 v2, vcc_lo, v2
	v_and_b32_e32 v0, v0, v3
	v_and_b32_e32 v32, v32, v2
	v_lshlrev_b32_e32 v3, 29, v31
	v_mov_b32_e32 v2, v1
	v_cmp_gt_i64_e32 vcc, 0, v[2:3]
	v_not_b32_e32 v2, v3
	v_ashrrev_i32_e32 v2, 31, v2
	v_xor_b32_e32 v3, vcc_hi, v2
	v_xor_b32_e32 v2, vcc_lo, v2
	v_and_b32_e32 v0, v0, v3
	v_and_b32_e32 v32, v32, v2
	v_lshlrev_b32_e32 v3, 28, v31
	v_mov_b32_e32 v2, v1
	v_cmp_gt_i64_e32 vcc, 0, v[2:3]
	v_not_b32_e32 v2, v3
	v_ashrrev_i32_e32 v2, 31, v2
	;; [unrolled: 9-line block ×5, first 2 shown]
	v_xor_b32_e32 v3, vcc_hi, v2
	v_xor_b32_e32 v2, vcc_lo, v2
	v_and_b32_e32 v0, v0, v3
	v_lshlrev_b32_e32 v3, 24, v31
	v_and_b32_e32 v32, v32, v2
	v_mov_b32_e32 v2, v1
	v_not_b32_e32 v1, v3
	v_cmp_gt_i64_e32 vcc, 0, v[2:3]
	v_ashrrev_i32_e32 v1, 31, v1
	ds_read_b32 v29, v33 offset:64
	v_xor_b32_e32 v2, vcc_hi, v1
	v_xor_b32_e32 v3, vcc_lo, v1
	v_and_b32_e32 v1, v0, v2
	v_and_b32_e32 v0, v32, v3
	v_mbcnt_lo_u32_b32 v2, v0, 0
	v_mbcnt_hi_u32_b32 v31, v1, v2
	v_cmp_eq_u32_e32 vcc, 0, v31
	v_cmp_ne_u64_e64 s[0:1], 0, v[0:1]
	s_and_b64 s[2:3], s[0:1], vcc
	; wave barrier
	s_and_saveexec_b64 s[0:1], s[2:3]
	s_cbranch_execz .LBB1766_99
; %bb.98:
	v_bcnt_u32_b32 v0, v0, 0
	v_bcnt_u32_b32 v0, v1, v0
	s_waitcnt lgkmcnt(0)
	v_add_u32_e32 v0, v29, v0
	ds_write_b32 v33, v0 offset:64
.LBB1766_99:
	s_or_b64 exec, exec, s[0:1]
	s_waitcnt vmcnt(1)
	v_xor_b32_e32 v26, 0x80000000, v26
	v_lshrrev_b32_e32 v0, s24, v26
	v_and_b32_e32 v34, s15, v0
	v_lshl_add_u32 v0, v34, 4, v34
	v_add_lshl_u32 v35, v24, v0, 2
	v_and_b32_e32 v0, 1, v34
	v_mov_b32_e32 v1, 0
	v_lshl_add_u64 v[2:3], v[0:1], 0, -1
	v_cmp_ne_u32_e32 vcc, 0, v0
	; wave barrier
	s_nop 1
	v_xor_b32_e32 v2, vcc_lo, v2
	v_xor_b32_e32 v0, vcc_hi, v3
	v_and_b32_e32 v36, exec_lo, v2
	v_lshlrev_b32_e32 v3, 30, v34
	v_mov_b32_e32 v2, v1
	v_cmp_gt_i64_e32 vcc, 0, v[2:3]
	v_not_b32_e32 v2, v3
	v_ashrrev_i32_e32 v2, 31, v2
	v_and_b32_e32 v0, exec_hi, v0
	v_xor_b32_e32 v3, vcc_hi, v2
	v_xor_b32_e32 v2, vcc_lo, v2
	v_and_b32_e32 v0, v0, v3
	v_and_b32_e32 v36, v36, v2
	v_lshlrev_b32_e32 v3, 29, v34
	v_mov_b32_e32 v2, v1
	v_cmp_gt_i64_e32 vcc, 0, v[2:3]
	v_not_b32_e32 v2, v3
	v_ashrrev_i32_e32 v2, 31, v2
	v_xor_b32_e32 v3, vcc_hi, v2
	v_xor_b32_e32 v2, vcc_lo, v2
	v_and_b32_e32 v0, v0, v3
	v_and_b32_e32 v36, v36, v2
	v_lshlrev_b32_e32 v3, 28, v34
	v_mov_b32_e32 v2, v1
	v_cmp_gt_i64_e32 vcc, 0, v[2:3]
	v_not_b32_e32 v2, v3
	v_ashrrev_i32_e32 v2, 31, v2
	v_xor_b32_e32 v3, vcc_hi, v2
	v_xor_b32_e32 v2, vcc_lo, v2
	v_and_b32_e32 v0, v0, v3
	v_and_b32_e32 v36, v36, v2
	v_lshlrev_b32_e32 v3, 27, v34
	v_mov_b32_e32 v2, v1
	v_cmp_gt_i64_e32 vcc, 0, v[2:3]
	v_not_b32_e32 v2, v3
	v_ashrrev_i32_e32 v2, 31, v2
	v_xor_b32_e32 v3, vcc_hi, v2
	v_xor_b32_e32 v2, vcc_lo, v2
	v_and_b32_e32 v0, v0, v3
	v_and_b32_e32 v36, v36, v2
	v_lshlrev_b32_e32 v3, 26, v34
	v_mov_b32_e32 v2, v1
	v_cmp_gt_i64_e32 vcc, 0, v[2:3]
	v_not_b32_e32 v2, v3
	v_ashrrev_i32_e32 v2, 31, v2
	v_xor_b32_e32 v3, vcc_hi, v2
	v_xor_b32_e32 v2, vcc_lo, v2
	v_and_b32_e32 v0, v0, v3
	v_and_b32_e32 v36, v36, v2
	v_lshlrev_b32_e32 v3, 25, v34
	v_mov_b32_e32 v2, v1
	v_cmp_gt_i64_e32 vcc, 0, v[2:3]
	v_not_b32_e32 v2, v3
	v_ashrrev_i32_e32 v2, 31, v2
	v_xor_b32_e32 v3, vcc_hi, v2
	v_xor_b32_e32 v2, vcc_lo, v2
	v_and_b32_e32 v0, v0, v3
	v_and_b32_e32 v36, v36, v2
	v_lshlrev_b32_e32 v3, 24, v34
	v_mov_b32_e32 v2, v1
	v_cmp_gt_i64_e32 vcc, 0, v[2:3]
	v_not_b32_e32 v2, v3
	v_ashrrev_i32_e32 v2, 31, v2
	v_xor_b32_e32 v3, vcc_hi, v2
	v_xor_b32_e32 v2, vcc_lo, v2
	ds_read_b32 v32, v35 offset:64
	v_and_b32_e32 v2, v36, v2
	v_and_b32_e32 v3, v0, v3
	v_mbcnt_lo_u32_b32 v0, v2, 0
	v_mbcnt_hi_u32_b32 v34, v3, v0
	v_cmp_eq_u32_e32 vcc, 0, v34
	v_cmp_ne_u64_e64 s[0:1], 0, v[2:3]
	s_and_b64 s[2:3], s[0:1], vcc
	; wave barrier
	s_and_saveexec_b64 s[0:1], s[2:3]
	s_cbranch_execz .LBB1766_101
; %bb.100:
	v_bcnt_u32_b32 v0, v2, 0
	v_bcnt_u32_b32 v0, v3, v0
	s_waitcnt lgkmcnt(0)
	v_add_u32_e32 v0, v32, v0
	ds_write_b32 v35, v0 offset:64
.LBB1766_101:
	s_or_b64 exec, exec, s[0:1]
	s_waitcnt vmcnt(0)
	v_xor_b32_e32 v22, 0x80000000, v22
	v_lshrrev_b32_e32 v0, s24, v22
	v_and_b32_e32 v36, s15, v0
	v_lshl_add_u32 v0, v36, 4, v36
	v_add_lshl_u32 v37, v24, v0, 2
	v_and_b32_e32 v0, 1, v36
	v_lshl_add_u64 v[2:3], v[0:1], 0, -1
	v_cmp_ne_u32_e32 vcc, 0, v0
	; wave barrier
	s_nop 1
	v_xor_b32_e32 v2, vcc_lo, v2
	v_xor_b32_e32 v0, vcc_hi, v3
	v_and_b32_e32 v39, exec_lo, v2
	v_lshlrev_b32_e32 v3, 30, v36
	v_mov_b32_e32 v2, v1
	v_cmp_gt_i64_e32 vcc, 0, v[2:3]
	v_not_b32_e32 v2, v3
	v_ashrrev_i32_e32 v2, 31, v2
	v_and_b32_e32 v0, exec_hi, v0
	v_xor_b32_e32 v3, vcc_hi, v2
	v_xor_b32_e32 v2, vcc_lo, v2
	v_and_b32_e32 v0, v0, v3
	v_and_b32_e32 v39, v39, v2
	v_lshlrev_b32_e32 v3, 29, v36
	v_mov_b32_e32 v2, v1
	v_cmp_gt_i64_e32 vcc, 0, v[2:3]
	v_not_b32_e32 v2, v3
	v_ashrrev_i32_e32 v2, 31, v2
	v_xor_b32_e32 v3, vcc_hi, v2
	v_xor_b32_e32 v2, vcc_lo, v2
	v_and_b32_e32 v0, v0, v3
	v_and_b32_e32 v39, v39, v2
	v_lshlrev_b32_e32 v3, 28, v36
	v_mov_b32_e32 v2, v1
	v_cmp_gt_i64_e32 vcc, 0, v[2:3]
	v_not_b32_e32 v2, v3
	v_ashrrev_i32_e32 v2, 31, v2
	;; [unrolled: 9-line block ×5, first 2 shown]
	v_xor_b32_e32 v3, vcc_hi, v2
	v_xor_b32_e32 v2, vcc_lo, v2
	v_and_b32_e32 v0, v0, v3
	v_lshlrev_b32_e32 v3, 24, v36
	v_and_b32_e32 v39, v39, v2
	v_mov_b32_e32 v2, v1
	v_not_b32_e32 v1, v3
	v_cmp_gt_i64_e32 vcc, 0, v[2:3]
	v_ashrrev_i32_e32 v1, 31, v1
	ds_read_b32 v24, v37 offset:64
	v_xor_b32_e32 v2, vcc_hi, v1
	v_xor_b32_e32 v3, vcc_lo, v1
	v_and_b32_e32 v1, v0, v2
	v_and_b32_e32 v0, v39, v3
	v_mbcnt_lo_u32_b32 v2, v0, 0
	v_mbcnt_hi_u32_b32 v36, v1, v2
	v_cmp_eq_u32_e32 vcc, 0, v36
	v_cmp_ne_u64_e64 s[0:1], 0, v[0:1]
	v_add_u32_e32 v38, 64, v5
	s_and_b64 s[2:3], s[0:1], vcc
	; wave barrier
	s_and_saveexec_b64 s[0:1], s[2:3]
	s_cbranch_execz .LBB1766_103
; %bb.102:
	v_bcnt_u32_b32 v0, v0, 0
	v_bcnt_u32_b32 v0, v1, v0
	s_waitcnt lgkmcnt(0)
	v_add_u32_e32 v0, v24, v0
	ds_write_b32 v37, v0 offset:64
.LBB1766_103:
	s_or_b64 exec, exec, s[0:1]
	; wave barrier
	s_waitcnt lgkmcnt(0)
	s_barrier
	ds_read2_b32 v[2:3], v5 offset0:16 offset1:17
	ds_read2_b32 v[0:1], v38 offset0:2 offset1:3
	ds_read_b32 v39, v38 offset:16
	v_cmp_lt_u32_e64 s[2:3], 31, v4
	s_waitcnt lgkmcnt(1)
	v_add3_u32 v40, v3, v2, v0
	s_waitcnt lgkmcnt(0)
	v_add3_u32 v39, v40, v1, v39
	v_and_b32_e32 v40, 15, v4
	v_cmp_eq_u32_e32 vcc, 0, v40
	v_mov_b32_dpp v41, v39 row_shr:1 row_mask:0xf bank_mask:0xf
	v_cmp_lt_u32_e64 s[0:1], 1, v40
	v_cndmask_b32_e64 v41, v41, 0, vcc
	v_add_u32_e32 v39, v41, v39
	v_cmp_lt_u32_e64 s[4:5], 3, v40
	v_cmp_lt_u32_e64 s[6:7], 7, v40
	v_mov_b32_dpp v41, v39 row_shr:2 row_mask:0xf bank_mask:0xf
	v_cndmask_b32_e64 v41, 0, v41, s[0:1]
	v_add_u32_e32 v39, v39, v41
	s_nop 1
	v_mov_b32_dpp v41, v39 row_shr:4 row_mask:0xf bank_mask:0xf
	v_cndmask_b32_e64 v41, 0, v41, s[4:5]
	v_add_u32_e32 v39, v39, v41
	s_nop 1
	v_mov_b32_dpp v41, v39 row_shr:8 row_mask:0xf bank_mask:0xf
	v_cndmask_b32_e64 v40, 0, v41, s[6:7]
	v_add_u32_e32 v39, v39, v40
	v_bfe_i32 v41, v4, 4, 1
	s_nop 0
	v_mov_b32_dpp v40, v39 row_bcast:15 row_mask:0xf bank_mask:0xf
	v_and_b32_e32 v40, v41, v40
	v_add_u32_e32 v39, v39, v40
	v_and_b32_e32 v41, 63, v10
	s_nop 0
	v_mov_b32_dpp v40, v39 row_bcast:31 row_mask:0xf bank_mask:0xf
	v_cndmask_b32_e64 v40, 0, v40, s[2:3]
	v_add_u32_e32 v39, v39, v40
	v_lshrrev_b32_e32 v40, 6, v10
	v_cmp_eq_u32_e64 s[2:3], 63, v41
	s_and_saveexec_b64 s[12:13], s[2:3]
	s_cbranch_execz .LBB1766_105
; %bb.104:
	v_lshlrev_b32_e32 v41, 2, v40
	ds_write_b32 v41, v39
.LBB1766_105:
	s_or_b64 exec, exec, s[12:13]
	v_cmp_gt_u32_e64 s[2:3], 16, v10
	s_waitcnt lgkmcnt(0)
	s_barrier
	s_and_saveexec_b64 s[12:13], s[2:3]
	s_cbranch_execz .LBB1766_107
; %bb.106:
	v_lshlrev_b32_e32 v41, 2, v10
	ds_read_b32 v42, v41
	s_waitcnt lgkmcnt(0)
	s_nop 0
	v_mov_b32_dpp v43, v42 row_shr:1 row_mask:0xf bank_mask:0xf
	v_cndmask_b32_e64 v43, v43, 0, vcc
	v_add_u32_e32 v42, v43, v42
	s_nop 1
	v_mov_b32_dpp v43, v42 row_shr:2 row_mask:0xf bank_mask:0xf
	v_cndmask_b32_e64 v43, 0, v43, s[0:1]
	v_add_u32_e32 v42, v42, v43
	s_nop 1
	v_mov_b32_dpp v43, v42 row_shr:4 row_mask:0xf bank_mask:0xf
	v_cndmask_b32_e64 v43, 0, v43, s[4:5]
	;; [unrolled: 4-line block ×3, first 2 shown]
	v_add_u32_e32 v42, v42, v43
	ds_write_b32 v41, v42
.LBB1766_107:
	s_or_b64 exec, exec, s[12:13]
	v_cmp_lt_u32_e32 vcc, 63, v10
	v_mov_b32_e32 v41, 0
	s_waitcnt lgkmcnt(0)
	s_barrier
	s_and_saveexec_b64 s[0:1], vcc
	s_cbranch_execz .LBB1766_109
; %bb.108:
	v_lshl_add_u32 v40, v40, 2, -4
	ds_read_b32 v41, v40
.LBB1766_109:
	s_or_b64 exec, exec, s[0:1]
	v_add_u32_e32 v40, -1, v4
	v_and_b32_e32 v42, 64, v4
	v_cmp_lt_i32_e32 vcc, v40, v42
	s_waitcnt lgkmcnt(0)
	v_add_u32_e32 v39, v41, v39
	s_movk_i32 s0, 0x100
	v_cndmask_b32_e32 v40, v40, v4, vcc
	v_lshlrev_b32_e32 v40, 2, v40
	ds_bpermute_b32 v39, v40, v39
	v_cmp_eq_u32_e32 vcc, 0, v4
	v_cmp_gt_u32_e64 s[0:1], s0, v10
	s_waitcnt lgkmcnt(0)
	v_cndmask_b32_e32 v4, v39, v41, vcc
	v_cndmask_b32_e64 v4, v4, 0, s[10:11]
	v_add_u32_e32 v2, v4, v2
	v_add_u32_e32 v3, v2, v3
	v_add_u32_e32 v0, v3, v0
	v_add_u32_e32 v1, v0, v1
	ds_write2_b32 v5, v4, v2 offset0:16 offset1:17
	ds_write2_b32 v38, v3, v0 offset0:2 offset1:3
	ds_write_b32 v38, v1 offset:16
	s_waitcnt lgkmcnt(0)
	s_barrier
	ds_read_b32 v42, v14 offset:64
	ds_read_b32 v38, v17 offset:64
	;; [unrolled: 1-line block ×8, first 2 shown]
                                        ; implicit-def: $vgpr14
                                        ; implicit-def: $vgpr17
	s_and_saveexec_b64 s[2:3], s[0:1]
	s_cbranch_execz .LBB1766_113
; %bb.110:
	v_mul_u32_u24_e32 v0, 17, v10
	v_lshlrev_b32_e32 v1, 2, v0
	ds_read_b32 v14, v1 offset:64
	s_movk_i32 s4, 0xff
	v_cmp_ne_u32_e32 vcc, s4, v10
	v_mov_b32_e32 v0, 0x2000
	s_and_saveexec_b64 s[4:5], vcc
	s_cbranch_execz .LBB1766_112
; %bb.111:
	ds_read_b32 v0, v1 offset:132
.LBB1766_112:
	s_or_b64 exec, exec, s[4:5]
	s_waitcnt lgkmcnt(0)
	v_sub_u32_e32 v17, v0, v14
.LBB1766_113:
	s_or_b64 exec, exec, s[2:3]
	s_waitcnt lgkmcnt(0)
	s_barrier
	s_and_saveexec_b64 s[2:3], s[0:1]
	s_cbranch_execz .LBB1766_123
; %bb.114:
	v_lshl_or_b32 v2, s27, 8, v10
	v_mov_b32_e32 v3, 0
	v_lshl_add_u64 v[0:1], v[2:3], 2, s[18:19]
	v_or_b32_e32 v2, 2.0, v17
	s_mov_b64 s[4:5], 0
	s_brev_b32 s12, 1
	s_mov_b32 s13, s27
	v_mov_b32_e32 v33, 0
	global_store_dword v[0:1], v2, off sc1
                                        ; implicit-def: $sgpr6_sgpr7
	s_branch .LBB1766_117
.LBB1766_115:                           ;   in Loop: Header=BB1766_117 Depth=1
	s_or_b64 exec, exec, s[10:11]
.LBB1766_116:                           ;   in Loop: Header=BB1766_117 Depth=1
	s_or_b64 exec, exec, s[6:7]
	v_and_b32_e32 v4, 0x3fffffff, v35
	v_add_u32_e32 v33, v4, v33
	v_cmp_eq_u32_e64 s[6:7], s12, v2
	s_and_b64 s[10:11], exec, s[6:7]
	s_or_b64 s[4:5], s[10:11], s[4:5]
	s_andn2_b64 exec, exec, s[4:5]
	s_cbranch_execz .LBB1766_122
.LBB1766_117:                           ; =>This Loop Header: Depth=1
                                        ;     Child Loop BB1766_120 Depth 2
	s_or_b64 s[6:7], s[6:7], exec
	s_cmp_eq_u32 s13, 0
	s_cbranch_scc1 .LBB1766_121
; %bb.118:                              ;   in Loop: Header=BB1766_117 Depth=1
	s_add_i32 s13, s13, -1
	v_lshl_or_b32 v2, s13, 8, v10
	v_lshl_add_u64 v[4:5], v[2:3], 2, s[18:19]
	global_load_dword v35, v[4:5], off sc1
	s_waitcnt vmcnt(0)
	v_and_b32_e32 v2, -2.0, v35
	v_cmp_eq_u32_e32 vcc, 0, v2
	s_and_saveexec_b64 s[6:7], vcc
	s_cbranch_execz .LBB1766_116
; %bb.119:                              ;   in Loop: Header=BB1766_117 Depth=1
	s_mov_b64 s[10:11], 0
.LBB1766_120:                           ;   Parent Loop BB1766_117 Depth=1
                                        ; =>  This Inner Loop Header: Depth=2
	global_load_dword v35, v[4:5], off sc1
	s_waitcnt vmcnt(0)
	v_and_b32_e32 v2, -2.0, v35
	v_cmp_ne_u32_e32 vcc, 0, v2
	s_or_b64 s[10:11], vcc, s[10:11]
	s_andn2_b64 exec, exec, s[10:11]
	s_cbranch_execnz .LBB1766_120
	s_branch .LBB1766_115
.LBB1766_121:                           ;   in Loop: Header=BB1766_117 Depth=1
                                        ; implicit-def: $sgpr13
	s_and_b64 s[10:11], exec, s[6:7]
	s_or_b64 s[4:5], s[10:11], s[4:5]
	s_andn2_b64 exec, exec, s[4:5]
	s_cbranch_execnz .LBB1766_117
.LBB1766_122:
	s_or_b64 exec, exec, s[4:5]
	v_add_u32_e32 v2, v33, v17
	v_or_b32_e32 v2, 0x80000000, v2
	global_store_dword v[0:1], v2, off sc1
	v_lshlrev_b32_e32 v0, 2, v10
	global_load_dword v1, v0, s[20:21]
	v_sub_u32_e32 v2, v33, v14
	s_waitcnt vmcnt(0)
	v_add_u32_e32 v1, v2, v1
	ds_write_b32 v0, v1
.LBB1766_123:
	s_or_b64 exec, exec, s[2:3]
	v_add_u32_e32 v0, v36, v24
	v_add_u32_e32 v1, v34, v32
	;; [unrolled: 1-line block ×8, first 2 shown]
	v_lshlrev_b32_e32 v3, 2, v10
	s_movk_i32 s6, 0x400
	v_add_u32_e32 v4, 0x400, v3
	v_add_lshl_u32 v5, v0, v21, 2
	v_add3_u32 v9, v36, v21, v24
	v_add_lshl_u32 v21, v1, v27, 2
	v_add3_u32 v24, v34, v27, v32
	v_add_lshl_u32 v27, v33, v30, 2
	v_add3_u32 v29, v31, v30, v29
	v_add_lshl_u32 v30, v35, v41, 2
	v_add3_u32 v25, v28, v41, v25
	v_add_lshl_u32 v28, v37, v40, 2
	v_add3_u32 v19, v23, v40, v19
	v_add_lshl_u32 v23, v43, v39, 2
	v_add3_u32 v15, v18, v39, v15
	v_add_lshl_u32 v18, v44, v38, 2
	v_add3_u32 v11, v13, v38, v11
	v_lshlrev_b32_e32 v13, 2, v2
	s_mov_b64 s[2:3], -1
	s_mov_b32 s7, 0
	s_mov_b32 s10, 0
	s_movk_i32 s11, 0x1000
	s_movk_i32 s12, 0x800
	s_movk_i32 s13, 0xc00
	v_mov_b32_e32 v1, 0
	v_mov_b32_e32 v31, v10
	s_branch .LBB1766_125
.LBB1766_124:                           ;   in Loop: Header=BB1766_125 Depth=1
	s_or_b64 exec, exec, s[4:5]
	s_waitcnt lgkmcnt(0)
	s_barrier
	ds_read2st64_b32 v[32:33], v4 offset0:16 offset1:32
	ds_read_b32 v0, v3 offset:1024
	s_xor_b64 s[4:5], s[2:3], -1
	s_addk_i32 s7, 0xc000
	s_addk_i32 s10, 0xf000
	s_waitcnt lgkmcnt(1)
	v_lshrrev_b32_e32 v34, s24, v32
	v_and_b32_e32 v34, s15, v34
	v_lshlrev_b32_e32 v34, 2, v34
	ds_read_b32 v36, v34
	ds_read_b32 v37, v4 offset:12288
	s_waitcnt lgkmcnt(2)
	v_lshrrev_b32_e32 v34, s24, v0
	v_and_b32_e32 v34, s15, v34
	v_xor_b32_e32 v38, 0x80000000, v0
	v_lshlrev_b32_e32 v0, 2, v34
	v_lshrrev_b32_e32 v34, s24, v33
	ds_read_b32 v0, v0
	v_and_b32_e32 v34, s15, v34
	s_waitcnt lgkmcnt(1)
	v_lshrrev_b32_e32 v35, s24, v37
	v_lshlrev_b32_e32 v34, 2, v34
	v_and_b32_e32 v35, s15, v35
	v_lshlrev_b32_e32 v35, 2, v35
	ds_read_b32 v39, v34
	ds_read_b32 v40, v35
	s_waitcnt lgkmcnt(2)
	v_add_u32_e32 v0, v31, v0
	v_lshl_add_u64 v[34:35], v[0:1], 2, s[30:31]
	v_add3_u32 v0, v31, v36, s6
	global_store_dword v[34:35], v38, off
	v_xor_b32_e32 v32, 0x80000000, v32
	v_lshl_add_u64 v[34:35], v[0:1], 2, s[30:31]
	s_waitcnt lgkmcnt(1)
	v_add3_u32 v0, v31, v39, s12
	global_store_dword v[34:35], v32, off
	v_xor_b32_e32 v34, 0x80000000, v33
	v_lshl_add_u64 v[32:33], v[0:1], 2, s[30:31]
	s_waitcnt lgkmcnt(0)
	v_add3_u32 v0, v31, v40, s13
	global_store_dword v[32:33], v34, off
	v_xor_b32_e32 v34, 0x80000000, v37
	v_lshl_add_u64 v[32:33], v[0:1], 2, s[30:31]
	v_add_u32_e32 v31, 0x1000, v31
	s_mov_b64 s[2:3], 0
	s_and_b64 vcc, exec, s[4:5]
	global_store_dword v[32:33], v34, off
	s_barrier
	s_cbranch_vccnz .LBB1766_141
.LBB1766_125:                           ; =>This Inner Loop Header: Depth=1
	v_add_u32_e32 v0, s10, v2
	v_cmp_gt_u32_e32 vcc, s11, v0
	s_and_saveexec_b64 s[4:5], vcc
	s_cbranch_execz .LBB1766_127
; %bb.126:                              ;   in Loop: Header=BB1766_125 Depth=1
	v_add_u32_e32 v0, s7, v13
	ds_write_b32 v0, v6 offset:1024
.LBB1766_127:                           ;   in Loop: Header=BB1766_125 Depth=1
	s_or_b64 exec, exec, s[4:5]
	v_add_u32_e32 v0, s10, v11
	v_cmp_gt_u32_e32 vcc, s11, v0
	s_and_saveexec_b64 s[4:5], vcc
	s_cbranch_execz .LBB1766_129
; %bb.128:                              ;   in Loop: Header=BB1766_125 Depth=1
	v_add_u32_e32 v0, s7, v18
	ds_write_b32 v0, v7 offset:1024
.LBB1766_129:                           ;   in Loop: Header=BB1766_125 Depth=1
	s_or_b64 exec, exec, s[4:5]
	;; [unrolled: 9-line block ×7, first 2 shown]
	v_add_u32_e32 v0, s10, v9
	v_cmp_gt_u32_e32 vcc, s11, v0
	s_and_saveexec_b64 s[4:5], vcc
	s_cbranch_execz .LBB1766_124
; %bb.140:                              ;   in Loop: Header=BB1766_125 Depth=1
	v_add_u32_e32 v0, s7, v5
	ds_write_b32 v0, v22 offset:1024
	s_branch .LBB1766_124
.LBB1766_141:
	s_add_i32 s14, s14, -1
	s_cmp_eq_u32 s14, s27
	s_cselect_b64 s[2:3], -1, 0
	s_and_b64 s[2:3], s[0:1], s[2:3]
                                        ; implicit-def: $vgpr2
	s_and_saveexec_b64 s[0:1], s[2:3]
; %bb.142:
	v_add_u32_e32 v2, v14, v17
	s_or_b64 s[8:9], s[8:9], exec
; %bb.143:
	s_or_b64 exec, exec, s[0:1]
.LBB1766_144:
	s_and_saveexec_b64 s[0:1], s[8:9]
	s_cbranch_execnz .LBB1766_146
; %bb.145:
	s_endpgm
.LBB1766_146:
	v_lshlrev_b32_e32 v0, 2, v10
	ds_read_b32 v1, v0
	s_waitcnt lgkmcnt(0)
	v_add_u32_e32 v1, v1, v2
	global_store_dword v0, v1, s[22:23]
	s_endpgm
	.section	.rodata,"a",@progbits
	.p2align	6, 0x0
	.amdhsa_kernel _ZN7rocprim17ROCPRIM_400000_NS6detail17trampoline_kernelINS0_14default_configENS1_35radix_sort_onesweep_config_selectorIiNS0_10empty_typeEEEZZNS1_29radix_sort_onesweep_iterationIS3_Lb0EN6thrust23THRUST_200600_302600_NS6detail15normal_iteratorINS9_10device_ptrIiEEEESE_PS5_SF_jNS0_19identity_decomposerENS1_16block_id_wrapperIjLb1EEEEE10hipError_tT1_PNSt15iterator_traitsISK_E10value_typeET2_T3_PNSL_ISQ_E10value_typeET4_T5_PSV_SW_PNS1_23onesweep_lookback_stateEbbT6_jjT7_P12ihipStream_tbENKUlT_T0_SK_SP_E_clIPiSE_SF_SF_EEDaS13_S14_SK_SP_EUlS13_E_NS1_11comp_targetILNS1_3genE5ELNS1_11target_archE942ELNS1_3gpuE9ELNS1_3repE0EEENS1_47radix_sort_onesweep_sort_config_static_selectorELNS0_4arch9wavefront6targetE1EEEvSK_
		.amdhsa_group_segment_fixed_size 20552
		.amdhsa_private_segment_fixed_size 0
		.amdhsa_kernarg_size 344
		.amdhsa_user_sgpr_count 2
		.amdhsa_user_sgpr_dispatch_ptr 0
		.amdhsa_user_sgpr_queue_ptr 0
		.amdhsa_user_sgpr_kernarg_segment_ptr 1
		.amdhsa_user_sgpr_dispatch_id 0
		.amdhsa_user_sgpr_kernarg_preload_length 0
		.amdhsa_user_sgpr_kernarg_preload_offset 0
		.amdhsa_user_sgpr_private_segment_size 0
		.amdhsa_uses_dynamic_stack 0
		.amdhsa_enable_private_segment 0
		.amdhsa_system_sgpr_workgroup_id_x 1
		.amdhsa_system_sgpr_workgroup_id_y 0
		.amdhsa_system_sgpr_workgroup_id_z 0
		.amdhsa_system_sgpr_workgroup_info 0
		.amdhsa_system_vgpr_workitem_id 2
		.amdhsa_next_free_vgpr 46
		.amdhsa_next_free_sgpr 44
		.amdhsa_accum_offset 48
		.amdhsa_reserve_vcc 1
		.amdhsa_float_round_mode_32 0
		.amdhsa_float_round_mode_16_64 0
		.amdhsa_float_denorm_mode_32 3
		.amdhsa_float_denorm_mode_16_64 3
		.amdhsa_dx10_clamp 1
		.amdhsa_ieee_mode 1
		.amdhsa_fp16_overflow 0
		.amdhsa_tg_split 0
		.amdhsa_exception_fp_ieee_invalid_op 0
		.amdhsa_exception_fp_denorm_src 0
		.amdhsa_exception_fp_ieee_div_zero 0
		.amdhsa_exception_fp_ieee_overflow 0
		.amdhsa_exception_fp_ieee_underflow 0
		.amdhsa_exception_fp_ieee_inexact 0
		.amdhsa_exception_int_div_zero 0
	.end_amdhsa_kernel
	.section	.text._ZN7rocprim17ROCPRIM_400000_NS6detail17trampoline_kernelINS0_14default_configENS1_35radix_sort_onesweep_config_selectorIiNS0_10empty_typeEEEZZNS1_29radix_sort_onesweep_iterationIS3_Lb0EN6thrust23THRUST_200600_302600_NS6detail15normal_iteratorINS9_10device_ptrIiEEEESE_PS5_SF_jNS0_19identity_decomposerENS1_16block_id_wrapperIjLb1EEEEE10hipError_tT1_PNSt15iterator_traitsISK_E10value_typeET2_T3_PNSL_ISQ_E10value_typeET4_T5_PSV_SW_PNS1_23onesweep_lookback_stateEbbT6_jjT7_P12ihipStream_tbENKUlT_T0_SK_SP_E_clIPiSE_SF_SF_EEDaS13_S14_SK_SP_EUlS13_E_NS1_11comp_targetILNS1_3genE5ELNS1_11target_archE942ELNS1_3gpuE9ELNS1_3repE0EEENS1_47radix_sort_onesweep_sort_config_static_selectorELNS0_4arch9wavefront6targetE1EEEvSK_,"axG",@progbits,_ZN7rocprim17ROCPRIM_400000_NS6detail17trampoline_kernelINS0_14default_configENS1_35radix_sort_onesweep_config_selectorIiNS0_10empty_typeEEEZZNS1_29radix_sort_onesweep_iterationIS3_Lb0EN6thrust23THRUST_200600_302600_NS6detail15normal_iteratorINS9_10device_ptrIiEEEESE_PS5_SF_jNS0_19identity_decomposerENS1_16block_id_wrapperIjLb1EEEEE10hipError_tT1_PNSt15iterator_traitsISK_E10value_typeET2_T3_PNSL_ISQ_E10value_typeET4_T5_PSV_SW_PNS1_23onesweep_lookback_stateEbbT6_jjT7_P12ihipStream_tbENKUlT_T0_SK_SP_E_clIPiSE_SF_SF_EEDaS13_S14_SK_SP_EUlS13_E_NS1_11comp_targetILNS1_3genE5ELNS1_11target_archE942ELNS1_3gpuE9ELNS1_3repE0EEENS1_47radix_sort_onesweep_sort_config_static_selectorELNS0_4arch9wavefront6targetE1EEEvSK_,comdat
.Lfunc_end1766:
	.size	_ZN7rocprim17ROCPRIM_400000_NS6detail17trampoline_kernelINS0_14default_configENS1_35radix_sort_onesweep_config_selectorIiNS0_10empty_typeEEEZZNS1_29radix_sort_onesweep_iterationIS3_Lb0EN6thrust23THRUST_200600_302600_NS6detail15normal_iteratorINS9_10device_ptrIiEEEESE_PS5_SF_jNS0_19identity_decomposerENS1_16block_id_wrapperIjLb1EEEEE10hipError_tT1_PNSt15iterator_traitsISK_E10value_typeET2_T3_PNSL_ISQ_E10value_typeET4_T5_PSV_SW_PNS1_23onesweep_lookback_stateEbbT6_jjT7_P12ihipStream_tbENKUlT_T0_SK_SP_E_clIPiSE_SF_SF_EEDaS13_S14_SK_SP_EUlS13_E_NS1_11comp_targetILNS1_3genE5ELNS1_11target_archE942ELNS1_3gpuE9ELNS1_3repE0EEENS1_47radix_sort_onesweep_sort_config_static_selectorELNS0_4arch9wavefront6targetE1EEEvSK_, .Lfunc_end1766-_ZN7rocprim17ROCPRIM_400000_NS6detail17trampoline_kernelINS0_14default_configENS1_35radix_sort_onesweep_config_selectorIiNS0_10empty_typeEEEZZNS1_29radix_sort_onesweep_iterationIS3_Lb0EN6thrust23THRUST_200600_302600_NS6detail15normal_iteratorINS9_10device_ptrIiEEEESE_PS5_SF_jNS0_19identity_decomposerENS1_16block_id_wrapperIjLb1EEEEE10hipError_tT1_PNSt15iterator_traitsISK_E10value_typeET2_T3_PNSL_ISQ_E10value_typeET4_T5_PSV_SW_PNS1_23onesweep_lookback_stateEbbT6_jjT7_P12ihipStream_tbENKUlT_T0_SK_SP_E_clIPiSE_SF_SF_EEDaS13_S14_SK_SP_EUlS13_E_NS1_11comp_targetILNS1_3genE5ELNS1_11target_archE942ELNS1_3gpuE9ELNS1_3repE0EEENS1_47radix_sort_onesweep_sort_config_static_selectorELNS0_4arch9wavefront6targetE1EEEvSK_
                                        ; -- End function
	.section	.AMDGPU.csdata,"",@progbits
; Kernel info:
; codeLenInByte = 11440
; NumSgprs: 50
; NumVgprs: 46
; NumAgprs: 0
; TotalNumVgprs: 46
; ScratchSize: 0
; MemoryBound: 0
; FloatMode: 240
; IeeeMode: 1
; LDSByteSize: 20552 bytes/workgroup (compile time only)
; SGPRBlocks: 6
; VGPRBlocks: 5
; NumSGPRsForWavesPerEU: 50
; NumVGPRsForWavesPerEU: 46
; AccumOffset: 48
; Occupancy: 8
; WaveLimiterHint : 1
; COMPUTE_PGM_RSRC2:SCRATCH_EN: 0
; COMPUTE_PGM_RSRC2:USER_SGPR: 2
; COMPUTE_PGM_RSRC2:TRAP_HANDLER: 0
; COMPUTE_PGM_RSRC2:TGID_X_EN: 1
; COMPUTE_PGM_RSRC2:TGID_Y_EN: 0
; COMPUTE_PGM_RSRC2:TGID_Z_EN: 0
; COMPUTE_PGM_RSRC2:TIDIG_COMP_CNT: 2
; COMPUTE_PGM_RSRC3_GFX90A:ACCUM_OFFSET: 11
; COMPUTE_PGM_RSRC3_GFX90A:TG_SPLIT: 0
	.section	.text._ZN7rocprim17ROCPRIM_400000_NS6detail17trampoline_kernelINS0_14default_configENS1_35radix_sort_onesweep_config_selectorIiNS0_10empty_typeEEEZZNS1_29radix_sort_onesweep_iterationIS3_Lb0EN6thrust23THRUST_200600_302600_NS6detail15normal_iteratorINS9_10device_ptrIiEEEESE_PS5_SF_jNS0_19identity_decomposerENS1_16block_id_wrapperIjLb1EEEEE10hipError_tT1_PNSt15iterator_traitsISK_E10value_typeET2_T3_PNSL_ISQ_E10value_typeET4_T5_PSV_SW_PNS1_23onesweep_lookback_stateEbbT6_jjT7_P12ihipStream_tbENKUlT_T0_SK_SP_E_clIPiSE_SF_SF_EEDaS13_S14_SK_SP_EUlS13_E_NS1_11comp_targetILNS1_3genE2ELNS1_11target_archE906ELNS1_3gpuE6ELNS1_3repE0EEENS1_47radix_sort_onesweep_sort_config_static_selectorELNS0_4arch9wavefront6targetE1EEEvSK_,"axG",@progbits,_ZN7rocprim17ROCPRIM_400000_NS6detail17trampoline_kernelINS0_14default_configENS1_35radix_sort_onesweep_config_selectorIiNS0_10empty_typeEEEZZNS1_29radix_sort_onesweep_iterationIS3_Lb0EN6thrust23THRUST_200600_302600_NS6detail15normal_iteratorINS9_10device_ptrIiEEEESE_PS5_SF_jNS0_19identity_decomposerENS1_16block_id_wrapperIjLb1EEEEE10hipError_tT1_PNSt15iterator_traitsISK_E10value_typeET2_T3_PNSL_ISQ_E10value_typeET4_T5_PSV_SW_PNS1_23onesweep_lookback_stateEbbT6_jjT7_P12ihipStream_tbENKUlT_T0_SK_SP_E_clIPiSE_SF_SF_EEDaS13_S14_SK_SP_EUlS13_E_NS1_11comp_targetILNS1_3genE2ELNS1_11target_archE906ELNS1_3gpuE6ELNS1_3repE0EEENS1_47radix_sort_onesweep_sort_config_static_selectorELNS0_4arch9wavefront6targetE1EEEvSK_,comdat
	.protected	_ZN7rocprim17ROCPRIM_400000_NS6detail17trampoline_kernelINS0_14default_configENS1_35radix_sort_onesweep_config_selectorIiNS0_10empty_typeEEEZZNS1_29radix_sort_onesweep_iterationIS3_Lb0EN6thrust23THRUST_200600_302600_NS6detail15normal_iteratorINS9_10device_ptrIiEEEESE_PS5_SF_jNS0_19identity_decomposerENS1_16block_id_wrapperIjLb1EEEEE10hipError_tT1_PNSt15iterator_traitsISK_E10value_typeET2_T3_PNSL_ISQ_E10value_typeET4_T5_PSV_SW_PNS1_23onesweep_lookback_stateEbbT6_jjT7_P12ihipStream_tbENKUlT_T0_SK_SP_E_clIPiSE_SF_SF_EEDaS13_S14_SK_SP_EUlS13_E_NS1_11comp_targetILNS1_3genE2ELNS1_11target_archE906ELNS1_3gpuE6ELNS1_3repE0EEENS1_47radix_sort_onesweep_sort_config_static_selectorELNS0_4arch9wavefront6targetE1EEEvSK_ ; -- Begin function _ZN7rocprim17ROCPRIM_400000_NS6detail17trampoline_kernelINS0_14default_configENS1_35radix_sort_onesweep_config_selectorIiNS0_10empty_typeEEEZZNS1_29radix_sort_onesweep_iterationIS3_Lb0EN6thrust23THRUST_200600_302600_NS6detail15normal_iteratorINS9_10device_ptrIiEEEESE_PS5_SF_jNS0_19identity_decomposerENS1_16block_id_wrapperIjLb1EEEEE10hipError_tT1_PNSt15iterator_traitsISK_E10value_typeET2_T3_PNSL_ISQ_E10value_typeET4_T5_PSV_SW_PNS1_23onesweep_lookback_stateEbbT6_jjT7_P12ihipStream_tbENKUlT_T0_SK_SP_E_clIPiSE_SF_SF_EEDaS13_S14_SK_SP_EUlS13_E_NS1_11comp_targetILNS1_3genE2ELNS1_11target_archE906ELNS1_3gpuE6ELNS1_3repE0EEENS1_47radix_sort_onesweep_sort_config_static_selectorELNS0_4arch9wavefront6targetE1EEEvSK_
	.globl	_ZN7rocprim17ROCPRIM_400000_NS6detail17trampoline_kernelINS0_14default_configENS1_35radix_sort_onesweep_config_selectorIiNS0_10empty_typeEEEZZNS1_29radix_sort_onesweep_iterationIS3_Lb0EN6thrust23THRUST_200600_302600_NS6detail15normal_iteratorINS9_10device_ptrIiEEEESE_PS5_SF_jNS0_19identity_decomposerENS1_16block_id_wrapperIjLb1EEEEE10hipError_tT1_PNSt15iterator_traitsISK_E10value_typeET2_T3_PNSL_ISQ_E10value_typeET4_T5_PSV_SW_PNS1_23onesweep_lookback_stateEbbT6_jjT7_P12ihipStream_tbENKUlT_T0_SK_SP_E_clIPiSE_SF_SF_EEDaS13_S14_SK_SP_EUlS13_E_NS1_11comp_targetILNS1_3genE2ELNS1_11target_archE906ELNS1_3gpuE6ELNS1_3repE0EEENS1_47radix_sort_onesweep_sort_config_static_selectorELNS0_4arch9wavefront6targetE1EEEvSK_
	.p2align	8
	.type	_ZN7rocprim17ROCPRIM_400000_NS6detail17trampoline_kernelINS0_14default_configENS1_35radix_sort_onesweep_config_selectorIiNS0_10empty_typeEEEZZNS1_29radix_sort_onesweep_iterationIS3_Lb0EN6thrust23THRUST_200600_302600_NS6detail15normal_iteratorINS9_10device_ptrIiEEEESE_PS5_SF_jNS0_19identity_decomposerENS1_16block_id_wrapperIjLb1EEEEE10hipError_tT1_PNSt15iterator_traitsISK_E10value_typeET2_T3_PNSL_ISQ_E10value_typeET4_T5_PSV_SW_PNS1_23onesweep_lookback_stateEbbT6_jjT7_P12ihipStream_tbENKUlT_T0_SK_SP_E_clIPiSE_SF_SF_EEDaS13_S14_SK_SP_EUlS13_E_NS1_11comp_targetILNS1_3genE2ELNS1_11target_archE906ELNS1_3gpuE6ELNS1_3repE0EEENS1_47radix_sort_onesweep_sort_config_static_selectorELNS0_4arch9wavefront6targetE1EEEvSK_,@function
_ZN7rocprim17ROCPRIM_400000_NS6detail17trampoline_kernelINS0_14default_configENS1_35radix_sort_onesweep_config_selectorIiNS0_10empty_typeEEEZZNS1_29radix_sort_onesweep_iterationIS3_Lb0EN6thrust23THRUST_200600_302600_NS6detail15normal_iteratorINS9_10device_ptrIiEEEESE_PS5_SF_jNS0_19identity_decomposerENS1_16block_id_wrapperIjLb1EEEEE10hipError_tT1_PNSt15iterator_traitsISK_E10value_typeET2_T3_PNSL_ISQ_E10value_typeET4_T5_PSV_SW_PNS1_23onesweep_lookback_stateEbbT6_jjT7_P12ihipStream_tbENKUlT_T0_SK_SP_E_clIPiSE_SF_SF_EEDaS13_S14_SK_SP_EUlS13_E_NS1_11comp_targetILNS1_3genE2ELNS1_11target_archE906ELNS1_3gpuE6ELNS1_3repE0EEENS1_47radix_sort_onesweep_sort_config_static_selectorELNS0_4arch9wavefront6targetE1EEEvSK_: ; @_ZN7rocprim17ROCPRIM_400000_NS6detail17trampoline_kernelINS0_14default_configENS1_35radix_sort_onesweep_config_selectorIiNS0_10empty_typeEEEZZNS1_29radix_sort_onesweep_iterationIS3_Lb0EN6thrust23THRUST_200600_302600_NS6detail15normal_iteratorINS9_10device_ptrIiEEEESE_PS5_SF_jNS0_19identity_decomposerENS1_16block_id_wrapperIjLb1EEEEE10hipError_tT1_PNSt15iterator_traitsISK_E10value_typeET2_T3_PNSL_ISQ_E10value_typeET4_T5_PSV_SW_PNS1_23onesweep_lookback_stateEbbT6_jjT7_P12ihipStream_tbENKUlT_T0_SK_SP_E_clIPiSE_SF_SF_EEDaS13_S14_SK_SP_EUlS13_E_NS1_11comp_targetILNS1_3genE2ELNS1_11target_archE906ELNS1_3gpuE6ELNS1_3repE0EEENS1_47radix_sort_onesweep_sort_config_static_selectorELNS0_4arch9wavefront6targetE1EEEvSK_
; %bb.0:
	.section	.rodata,"a",@progbits
	.p2align	6, 0x0
	.amdhsa_kernel _ZN7rocprim17ROCPRIM_400000_NS6detail17trampoline_kernelINS0_14default_configENS1_35radix_sort_onesweep_config_selectorIiNS0_10empty_typeEEEZZNS1_29radix_sort_onesweep_iterationIS3_Lb0EN6thrust23THRUST_200600_302600_NS6detail15normal_iteratorINS9_10device_ptrIiEEEESE_PS5_SF_jNS0_19identity_decomposerENS1_16block_id_wrapperIjLb1EEEEE10hipError_tT1_PNSt15iterator_traitsISK_E10value_typeET2_T3_PNSL_ISQ_E10value_typeET4_T5_PSV_SW_PNS1_23onesweep_lookback_stateEbbT6_jjT7_P12ihipStream_tbENKUlT_T0_SK_SP_E_clIPiSE_SF_SF_EEDaS13_S14_SK_SP_EUlS13_E_NS1_11comp_targetILNS1_3genE2ELNS1_11target_archE906ELNS1_3gpuE6ELNS1_3repE0EEENS1_47radix_sort_onesweep_sort_config_static_selectorELNS0_4arch9wavefront6targetE1EEEvSK_
		.amdhsa_group_segment_fixed_size 0
		.amdhsa_private_segment_fixed_size 0
		.amdhsa_kernarg_size 88
		.amdhsa_user_sgpr_count 2
		.amdhsa_user_sgpr_dispatch_ptr 0
		.amdhsa_user_sgpr_queue_ptr 0
		.amdhsa_user_sgpr_kernarg_segment_ptr 1
		.amdhsa_user_sgpr_dispatch_id 0
		.amdhsa_user_sgpr_kernarg_preload_length 0
		.amdhsa_user_sgpr_kernarg_preload_offset 0
		.amdhsa_user_sgpr_private_segment_size 0
		.amdhsa_uses_dynamic_stack 0
		.amdhsa_enable_private_segment 0
		.amdhsa_system_sgpr_workgroup_id_x 1
		.amdhsa_system_sgpr_workgroup_id_y 0
		.amdhsa_system_sgpr_workgroup_id_z 0
		.amdhsa_system_sgpr_workgroup_info 0
		.amdhsa_system_vgpr_workitem_id 0
		.amdhsa_next_free_vgpr 1
		.amdhsa_next_free_sgpr 0
		.amdhsa_accum_offset 4
		.amdhsa_reserve_vcc 0
		.amdhsa_float_round_mode_32 0
		.amdhsa_float_round_mode_16_64 0
		.amdhsa_float_denorm_mode_32 3
		.amdhsa_float_denorm_mode_16_64 3
		.amdhsa_dx10_clamp 1
		.amdhsa_ieee_mode 1
		.amdhsa_fp16_overflow 0
		.amdhsa_tg_split 0
		.amdhsa_exception_fp_ieee_invalid_op 0
		.amdhsa_exception_fp_denorm_src 0
		.amdhsa_exception_fp_ieee_div_zero 0
		.amdhsa_exception_fp_ieee_overflow 0
		.amdhsa_exception_fp_ieee_underflow 0
		.amdhsa_exception_fp_ieee_inexact 0
		.amdhsa_exception_int_div_zero 0
	.end_amdhsa_kernel
	.section	.text._ZN7rocprim17ROCPRIM_400000_NS6detail17trampoline_kernelINS0_14default_configENS1_35radix_sort_onesweep_config_selectorIiNS0_10empty_typeEEEZZNS1_29radix_sort_onesweep_iterationIS3_Lb0EN6thrust23THRUST_200600_302600_NS6detail15normal_iteratorINS9_10device_ptrIiEEEESE_PS5_SF_jNS0_19identity_decomposerENS1_16block_id_wrapperIjLb1EEEEE10hipError_tT1_PNSt15iterator_traitsISK_E10value_typeET2_T3_PNSL_ISQ_E10value_typeET4_T5_PSV_SW_PNS1_23onesweep_lookback_stateEbbT6_jjT7_P12ihipStream_tbENKUlT_T0_SK_SP_E_clIPiSE_SF_SF_EEDaS13_S14_SK_SP_EUlS13_E_NS1_11comp_targetILNS1_3genE2ELNS1_11target_archE906ELNS1_3gpuE6ELNS1_3repE0EEENS1_47radix_sort_onesweep_sort_config_static_selectorELNS0_4arch9wavefront6targetE1EEEvSK_,"axG",@progbits,_ZN7rocprim17ROCPRIM_400000_NS6detail17trampoline_kernelINS0_14default_configENS1_35radix_sort_onesweep_config_selectorIiNS0_10empty_typeEEEZZNS1_29radix_sort_onesweep_iterationIS3_Lb0EN6thrust23THRUST_200600_302600_NS6detail15normal_iteratorINS9_10device_ptrIiEEEESE_PS5_SF_jNS0_19identity_decomposerENS1_16block_id_wrapperIjLb1EEEEE10hipError_tT1_PNSt15iterator_traitsISK_E10value_typeET2_T3_PNSL_ISQ_E10value_typeET4_T5_PSV_SW_PNS1_23onesweep_lookback_stateEbbT6_jjT7_P12ihipStream_tbENKUlT_T0_SK_SP_E_clIPiSE_SF_SF_EEDaS13_S14_SK_SP_EUlS13_E_NS1_11comp_targetILNS1_3genE2ELNS1_11target_archE906ELNS1_3gpuE6ELNS1_3repE0EEENS1_47radix_sort_onesweep_sort_config_static_selectorELNS0_4arch9wavefront6targetE1EEEvSK_,comdat
.Lfunc_end1767:
	.size	_ZN7rocprim17ROCPRIM_400000_NS6detail17trampoline_kernelINS0_14default_configENS1_35radix_sort_onesweep_config_selectorIiNS0_10empty_typeEEEZZNS1_29radix_sort_onesweep_iterationIS3_Lb0EN6thrust23THRUST_200600_302600_NS6detail15normal_iteratorINS9_10device_ptrIiEEEESE_PS5_SF_jNS0_19identity_decomposerENS1_16block_id_wrapperIjLb1EEEEE10hipError_tT1_PNSt15iterator_traitsISK_E10value_typeET2_T3_PNSL_ISQ_E10value_typeET4_T5_PSV_SW_PNS1_23onesweep_lookback_stateEbbT6_jjT7_P12ihipStream_tbENKUlT_T0_SK_SP_E_clIPiSE_SF_SF_EEDaS13_S14_SK_SP_EUlS13_E_NS1_11comp_targetILNS1_3genE2ELNS1_11target_archE906ELNS1_3gpuE6ELNS1_3repE0EEENS1_47radix_sort_onesweep_sort_config_static_selectorELNS0_4arch9wavefront6targetE1EEEvSK_, .Lfunc_end1767-_ZN7rocprim17ROCPRIM_400000_NS6detail17trampoline_kernelINS0_14default_configENS1_35radix_sort_onesweep_config_selectorIiNS0_10empty_typeEEEZZNS1_29radix_sort_onesweep_iterationIS3_Lb0EN6thrust23THRUST_200600_302600_NS6detail15normal_iteratorINS9_10device_ptrIiEEEESE_PS5_SF_jNS0_19identity_decomposerENS1_16block_id_wrapperIjLb1EEEEE10hipError_tT1_PNSt15iterator_traitsISK_E10value_typeET2_T3_PNSL_ISQ_E10value_typeET4_T5_PSV_SW_PNS1_23onesweep_lookback_stateEbbT6_jjT7_P12ihipStream_tbENKUlT_T0_SK_SP_E_clIPiSE_SF_SF_EEDaS13_S14_SK_SP_EUlS13_E_NS1_11comp_targetILNS1_3genE2ELNS1_11target_archE906ELNS1_3gpuE6ELNS1_3repE0EEENS1_47radix_sort_onesweep_sort_config_static_selectorELNS0_4arch9wavefront6targetE1EEEvSK_
                                        ; -- End function
	.section	.AMDGPU.csdata,"",@progbits
; Kernel info:
; codeLenInByte = 0
; NumSgprs: 6
; NumVgprs: 0
; NumAgprs: 0
; TotalNumVgprs: 0
; ScratchSize: 0
; MemoryBound: 0
; FloatMode: 240
; IeeeMode: 1
; LDSByteSize: 0 bytes/workgroup (compile time only)
; SGPRBlocks: 0
; VGPRBlocks: 0
; NumSGPRsForWavesPerEU: 6
; NumVGPRsForWavesPerEU: 1
; AccumOffset: 4
; Occupancy: 8
; WaveLimiterHint : 0
; COMPUTE_PGM_RSRC2:SCRATCH_EN: 0
; COMPUTE_PGM_RSRC2:USER_SGPR: 2
; COMPUTE_PGM_RSRC2:TRAP_HANDLER: 0
; COMPUTE_PGM_RSRC2:TGID_X_EN: 1
; COMPUTE_PGM_RSRC2:TGID_Y_EN: 0
; COMPUTE_PGM_RSRC2:TGID_Z_EN: 0
; COMPUTE_PGM_RSRC2:TIDIG_COMP_CNT: 0
; COMPUTE_PGM_RSRC3_GFX90A:ACCUM_OFFSET: 0
; COMPUTE_PGM_RSRC3_GFX90A:TG_SPLIT: 0
	.section	.text._ZN7rocprim17ROCPRIM_400000_NS6detail17trampoline_kernelINS0_14default_configENS1_35radix_sort_onesweep_config_selectorIiNS0_10empty_typeEEEZZNS1_29radix_sort_onesweep_iterationIS3_Lb0EN6thrust23THRUST_200600_302600_NS6detail15normal_iteratorINS9_10device_ptrIiEEEESE_PS5_SF_jNS0_19identity_decomposerENS1_16block_id_wrapperIjLb1EEEEE10hipError_tT1_PNSt15iterator_traitsISK_E10value_typeET2_T3_PNSL_ISQ_E10value_typeET4_T5_PSV_SW_PNS1_23onesweep_lookback_stateEbbT6_jjT7_P12ihipStream_tbENKUlT_T0_SK_SP_E_clIPiSE_SF_SF_EEDaS13_S14_SK_SP_EUlS13_E_NS1_11comp_targetILNS1_3genE4ELNS1_11target_archE910ELNS1_3gpuE8ELNS1_3repE0EEENS1_47radix_sort_onesweep_sort_config_static_selectorELNS0_4arch9wavefront6targetE1EEEvSK_,"axG",@progbits,_ZN7rocprim17ROCPRIM_400000_NS6detail17trampoline_kernelINS0_14default_configENS1_35radix_sort_onesweep_config_selectorIiNS0_10empty_typeEEEZZNS1_29radix_sort_onesweep_iterationIS3_Lb0EN6thrust23THRUST_200600_302600_NS6detail15normal_iteratorINS9_10device_ptrIiEEEESE_PS5_SF_jNS0_19identity_decomposerENS1_16block_id_wrapperIjLb1EEEEE10hipError_tT1_PNSt15iterator_traitsISK_E10value_typeET2_T3_PNSL_ISQ_E10value_typeET4_T5_PSV_SW_PNS1_23onesweep_lookback_stateEbbT6_jjT7_P12ihipStream_tbENKUlT_T0_SK_SP_E_clIPiSE_SF_SF_EEDaS13_S14_SK_SP_EUlS13_E_NS1_11comp_targetILNS1_3genE4ELNS1_11target_archE910ELNS1_3gpuE8ELNS1_3repE0EEENS1_47radix_sort_onesweep_sort_config_static_selectorELNS0_4arch9wavefront6targetE1EEEvSK_,comdat
	.protected	_ZN7rocprim17ROCPRIM_400000_NS6detail17trampoline_kernelINS0_14default_configENS1_35radix_sort_onesweep_config_selectorIiNS0_10empty_typeEEEZZNS1_29radix_sort_onesweep_iterationIS3_Lb0EN6thrust23THRUST_200600_302600_NS6detail15normal_iteratorINS9_10device_ptrIiEEEESE_PS5_SF_jNS0_19identity_decomposerENS1_16block_id_wrapperIjLb1EEEEE10hipError_tT1_PNSt15iterator_traitsISK_E10value_typeET2_T3_PNSL_ISQ_E10value_typeET4_T5_PSV_SW_PNS1_23onesweep_lookback_stateEbbT6_jjT7_P12ihipStream_tbENKUlT_T0_SK_SP_E_clIPiSE_SF_SF_EEDaS13_S14_SK_SP_EUlS13_E_NS1_11comp_targetILNS1_3genE4ELNS1_11target_archE910ELNS1_3gpuE8ELNS1_3repE0EEENS1_47radix_sort_onesweep_sort_config_static_selectorELNS0_4arch9wavefront6targetE1EEEvSK_ ; -- Begin function _ZN7rocprim17ROCPRIM_400000_NS6detail17trampoline_kernelINS0_14default_configENS1_35radix_sort_onesweep_config_selectorIiNS0_10empty_typeEEEZZNS1_29radix_sort_onesweep_iterationIS3_Lb0EN6thrust23THRUST_200600_302600_NS6detail15normal_iteratorINS9_10device_ptrIiEEEESE_PS5_SF_jNS0_19identity_decomposerENS1_16block_id_wrapperIjLb1EEEEE10hipError_tT1_PNSt15iterator_traitsISK_E10value_typeET2_T3_PNSL_ISQ_E10value_typeET4_T5_PSV_SW_PNS1_23onesweep_lookback_stateEbbT6_jjT7_P12ihipStream_tbENKUlT_T0_SK_SP_E_clIPiSE_SF_SF_EEDaS13_S14_SK_SP_EUlS13_E_NS1_11comp_targetILNS1_3genE4ELNS1_11target_archE910ELNS1_3gpuE8ELNS1_3repE0EEENS1_47radix_sort_onesweep_sort_config_static_selectorELNS0_4arch9wavefront6targetE1EEEvSK_
	.globl	_ZN7rocprim17ROCPRIM_400000_NS6detail17trampoline_kernelINS0_14default_configENS1_35radix_sort_onesweep_config_selectorIiNS0_10empty_typeEEEZZNS1_29radix_sort_onesweep_iterationIS3_Lb0EN6thrust23THRUST_200600_302600_NS6detail15normal_iteratorINS9_10device_ptrIiEEEESE_PS5_SF_jNS0_19identity_decomposerENS1_16block_id_wrapperIjLb1EEEEE10hipError_tT1_PNSt15iterator_traitsISK_E10value_typeET2_T3_PNSL_ISQ_E10value_typeET4_T5_PSV_SW_PNS1_23onesweep_lookback_stateEbbT6_jjT7_P12ihipStream_tbENKUlT_T0_SK_SP_E_clIPiSE_SF_SF_EEDaS13_S14_SK_SP_EUlS13_E_NS1_11comp_targetILNS1_3genE4ELNS1_11target_archE910ELNS1_3gpuE8ELNS1_3repE0EEENS1_47radix_sort_onesweep_sort_config_static_selectorELNS0_4arch9wavefront6targetE1EEEvSK_
	.p2align	8
	.type	_ZN7rocprim17ROCPRIM_400000_NS6detail17trampoline_kernelINS0_14default_configENS1_35radix_sort_onesweep_config_selectorIiNS0_10empty_typeEEEZZNS1_29radix_sort_onesweep_iterationIS3_Lb0EN6thrust23THRUST_200600_302600_NS6detail15normal_iteratorINS9_10device_ptrIiEEEESE_PS5_SF_jNS0_19identity_decomposerENS1_16block_id_wrapperIjLb1EEEEE10hipError_tT1_PNSt15iterator_traitsISK_E10value_typeET2_T3_PNSL_ISQ_E10value_typeET4_T5_PSV_SW_PNS1_23onesweep_lookback_stateEbbT6_jjT7_P12ihipStream_tbENKUlT_T0_SK_SP_E_clIPiSE_SF_SF_EEDaS13_S14_SK_SP_EUlS13_E_NS1_11comp_targetILNS1_3genE4ELNS1_11target_archE910ELNS1_3gpuE8ELNS1_3repE0EEENS1_47radix_sort_onesweep_sort_config_static_selectorELNS0_4arch9wavefront6targetE1EEEvSK_,@function
_ZN7rocprim17ROCPRIM_400000_NS6detail17trampoline_kernelINS0_14default_configENS1_35radix_sort_onesweep_config_selectorIiNS0_10empty_typeEEEZZNS1_29radix_sort_onesweep_iterationIS3_Lb0EN6thrust23THRUST_200600_302600_NS6detail15normal_iteratorINS9_10device_ptrIiEEEESE_PS5_SF_jNS0_19identity_decomposerENS1_16block_id_wrapperIjLb1EEEEE10hipError_tT1_PNSt15iterator_traitsISK_E10value_typeET2_T3_PNSL_ISQ_E10value_typeET4_T5_PSV_SW_PNS1_23onesweep_lookback_stateEbbT6_jjT7_P12ihipStream_tbENKUlT_T0_SK_SP_E_clIPiSE_SF_SF_EEDaS13_S14_SK_SP_EUlS13_E_NS1_11comp_targetILNS1_3genE4ELNS1_11target_archE910ELNS1_3gpuE8ELNS1_3repE0EEENS1_47radix_sort_onesweep_sort_config_static_selectorELNS0_4arch9wavefront6targetE1EEEvSK_: ; @_ZN7rocprim17ROCPRIM_400000_NS6detail17trampoline_kernelINS0_14default_configENS1_35radix_sort_onesweep_config_selectorIiNS0_10empty_typeEEEZZNS1_29radix_sort_onesweep_iterationIS3_Lb0EN6thrust23THRUST_200600_302600_NS6detail15normal_iteratorINS9_10device_ptrIiEEEESE_PS5_SF_jNS0_19identity_decomposerENS1_16block_id_wrapperIjLb1EEEEE10hipError_tT1_PNSt15iterator_traitsISK_E10value_typeET2_T3_PNSL_ISQ_E10value_typeET4_T5_PSV_SW_PNS1_23onesweep_lookback_stateEbbT6_jjT7_P12ihipStream_tbENKUlT_T0_SK_SP_E_clIPiSE_SF_SF_EEDaS13_S14_SK_SP_EUlS13_E_NS1_11comp_targetILNS1_3genE4ELNS1_11target_archE910ELNS1_3gpuE8ELNS1_3repE0EEENS1_47radix_sort_onesweep_sort_config_static_selectorELNS0_4arch9wavefront6targetE1EEEvSK_
; %bb.0:
	.section	.rodata,"a",@progbits
	.p2align	6, 0x0
	.amdhsa_kernel _ZN7rocprim17ROCPRIM_400000_NS6detail17trampoline_kernelINS0_14default_configENS1_35radix_sort_onesweep_config_selectorIiNS0_10empty_typeEEEZZNS1_29radix_sort_onesweep_iterationIS3_Lb0EN6thrust23THRUST_200600_302600_NS6detail15normal_iteratorINS9_10device_ptrIiEEEESE_PS5_SF_jNS0_19identity_decomposerENS1_16block_id_wrapperIjLb1EEEEE10hipError_tT1_PNSt15iterator_traitsISK_E10value_typeET2_T3_PNSL_ISQ_E10value_typeET4_T5_PSV_SW_PNS1_23onesweep_lookback_stateEbbT6_jjT7_P12ihipStream_tbENKUlT_T0_SK_SP_E_clIPiSE_SF_SF_EEDaS13_S14_SK_SP_EUlS13_E_NS1_11comp_targetILNS1_3genE4ELNS1_11target_archE910ELNS1_3gpuE8ELNS1_3repE0EEENS1_47radix_sort_onesweep_sort_config_static_selectorELNS0_4arch9wavefront6targetE1EEEvSK_
		.amdhsa_group_segment_fixed_size 0
		.amdhsa_private_segment_fixed_size 0
		.amdhsa_kernarg_size 88
		.amdhsa_user_sgpr_count 2
		.amdhsa_user_sgpr_dispatch_ptr 0
		.amdhsa_user_sgpr_queue_ptr 0
		.amdhsa_user_sgpr_kernarg_segment_ptr 1
		.amdhsa_user_sgpr_dispatch_id 0
		.amdhsa_user_sgpr_kernarg_preload_length 0
		.amdhsa_user_sgpr_kernarg_preload_offset 0
		.amdhsa_user_sgpr_private_segment_size 0
		.amdhsa_uses_dynamic_stack 0
		.amdhsa_enable_private_segment 0
		.amdhsa_system_sgpr_workgroup_id_x 1
		.amdhsa_system_sgpr_workgroup_id_y 0
		.amdhsa_system_sgpr_workgroup_id_z 0
		.amdhsa_system_sgpr_workgroup_info 0
		.amdhsa_system_vgpr_workitem_id 0
		.amdhsa_next_free_vgpr 1
		.amdhsa_next_free_sgpr 0
		.amdhsa_accum_offset 4
		.amdhsa_reserve_vcc 0
		.amdhsa_float_round_mode_32 0
		.amdhsa_float_round_mode_16_64 0
		.amdhsa_float_denorm_mode_32 3
		.amdhsa_float_denorm_mode_16_64 3
		.amdhsa_dx10_clamp 1
		.amdhsa_ieee_mode 1
		.amdhsa_fp16_overflow 0
		.amdhsa_tg_split 0
		.amdhsa_exception_fp_ieee_invalid_op 0
		.amdhsa_exception_fp_denorm_src 0
		.amdhsa_exception_fp_ieee_div_zero 0
		.amdhsa_exception_fp_ieee_overflow 0
		.amdhsa_exception_fp_ieee_underflow 0
		.amdhsa_exception_fp_ieee_inexact 0
		.amdhsa_exception_int_div_zero 0
	.end_amdhsa_kernel
	.section	.text._ZN7rocprim17ROCPRIM_400000_NS6detail17trampoline_kernelINS0_14default_configENS1_35radix_sort_onesweep_config_selectorIiNS0_10empty_typeEEEZZNS1_29radix_sort_onesweep_iterationIS3_Lb0EN6thrust23THRUST_200600_302600_NS6detail15normal_iteratorINS9_10device_ptrIiEEEESE_PS5_SF_jNS0_19identity_decomposerENS1_16block_id_wrapperIjLb1EEEEE10hipError_tT1_PNSt15iterator_traitsISK_E10value_typeET2_T3_PNSL_ISQ_E10value_typeET4_T5_PSV_SW_PNS1_23onesweep_lookback_stateEbbT6_jjT7_P12ihipStream_tbENKUlT_T0_SK_SP_E_clIPiSE_SF_SF_EEDaS13_S14_SK_SP_EUlS13_E_NS1_11comp_targetILNS1_3genE4ELNS1_11target_archE910ELNS1_3gpuE8ELNS1_3repE0EEENS1_47radix_sort_onesweep_sort_config_static_selectorELNS0_4arch9wavefront6targetE1EEEvSK_,"axG",@progbits,_ZN7rocprim17ROCPRIM_400000_NS6detail17trampoline_kernelINS0_14default_configENS1_35radix_sort_onesweep_config_selectorIiNS0_10empty_typeEEEZZNS1_29radix_sort_onesweep_iterationIS3_Lb0EN6thrust23THRUST_200600_302600_NS6detail15normal_iteratorINS9_10device_ptrIiEEEESE_PS5_SF_jNS0_19identity_decomposerENS1_16block_id_wrapperIjLb1EEEEE10hipError_tT1_PNSt15iterator_traitsISK_E10value_typeET2_T3_PNSL_ISQ_E10value_typeET4_T5_PSV_SW_PNS1_23onesweep_lookback_stateEbbT6_jjT7_P12ihipStream_tbENKUlT_T0_SK_SP_E_clIPiSE_SF_SF_EEDaS13_S14_SK_SP_EUlS13_E_NS1_11comp_targetILNS1_3genE4ELNS1_11target_archE910ELNS1_3gpuE8ELNS1_3repE0EEENS1_47radix_sort_onesweep_sort_config_static_selectorELNS0_4arch9wavefront6targetE1EEEvSK_,comdat
.Lfunc_end1768:
	.size	_ZN7rocprim17ROCPRIM_400000_NS6detail17trampoline_kernelINS0_14default_configENS1_35radix_sort_onesweep_config_selectorIiNS0_10empty_typeEEEZZNS1_29radix_sort_onesweep_iterationIS3_Lb0EN6thrust23THRUST_200600_302600_NS6detail15normal_iteratorINS9_10device_ptrIiEEEESE_PS5_SF_jNS0_19identity_decomposerENS1_16block_id_wrapperIjLb1EEEEE10hipError_tT1_PNSt15iterator_traitsISK_E10value_typeET2_T3_PNSL_ISQ_E10value_typeET4_T5_PSV_SW_PNS1_23onesweep_lookback_stateEbbT6_jjT7_P12ihipStream_tbENKUlT_T0_SK_SP_E_clIPiSE_SF_SF_EEDaS13_S14_SK_SP_EUlS13_E_NS1_11comp_targetILNS1_3genE4ELNS1_11target_archE910ELNS1_3gpuE8ELNS1_3repE0EEENS1_47radix_sort_onesweep_sort_config_static_selectorELNS0_4arch9wavefront6targetE1EEEvSK_, .Lfunc_end1768-_ZN7rocprim17ROCPRIM_400000_NS6detail17trampoline_kernelINS0_14default_configENS1_35radix_sort_onesweep_config_selectorIiNS0_10empty_typeEEEZZNS1_29radix_sort_onesweep_iterationIS3_Lb0EN6thrust23THRUST_200600_302600_NS6detail15normal_iteratorINS9_10device_ptrIiEEEESE_PS5_SF_jNS0_19identity_decomposerENS1_16block_id_wrapperIjLb1EEEEE10hipError_tT1_PNSt15iterator_traitsISK_E10value_typeET2_T3_PNSL_ISQ_E10value_typeET4_T5_PSV_SW_PNS1_23onesweep_lookback_stateEbbT6_jjT7_P12ihipStream_tbENKUlT_T0_SK_SP_E_clIPiSE_SF_SF_EEDaS13_S14_SK_SP_EUlS13_E_NS1_11comp_targetILNS1_3genE4ELNS1_11target_archE910ELNS1_3gpuE8ELNS1_3repE0EEENS1_47radix_sort_onesweep_sort_config_static_selectorELNS0_4arch9wavefront6targetE1EEEvSK_
                                        ; -- End function
	.section	.AMDGPU.csdata,"",@progbits
; Kernel info:
; codeLenInByte = 0
; NumSgprs: 6
; NumVgprs: 0
; NumAgprs: 0
; TotalNumVgprs: 0
; ScratchSize: 0
; MemoryBound: 0
; FloatMode: 240
; IeeeMode: 1
; LDSByteSize: 0 bytes/workgroup (compile time only)
; SGPRBlocks: 0
; VGPRBlocks: 0
; NumSGPRsForWavesPerEU: 6
; NumVGPRsForWavesPerEU: 1
; AccumOffset: 4
; Occupancy: 8
; WaveLimiterHint : 0
; COMPUTE_PGM_RSRC2:SCRATCH_EN: 0
; COMPUTE_PGM_RSRC2:USER_SGPR: 2
; COMPUTE_PGM_RSRC2:TRAP_HANDLER: 0
; COMPUTE_PGM_RSRC2:TGID_X_EN: 1
; COMPUTE_PGM_RSRC2:TGID_Y_EN: 0
; COMPUTE_PGM_RSRC2:TGID_Z_EN: 0
; COMPUTE_PGM_RSRC2:TIDIG_COMP_CNT: 0
; COMPUTE_PGM_RSRC3_GFX90A:ACCUM_OFFSET: 0
; COMPUTE_PGM_RSRC3_GFX90A:TG_SPLIT: 0
	.section	.text._ZN7rocprim17ROCPRIM_400000_NS6detail17trampoline_kernelINS0_14default_configENS1_35radix_sort_onesweep_config_selectorIiNS0_10empty_typeEEEZZNS1_29radix_sort_onesweep_iterationIS3_Lb0EN6thrust23THRUST_200600_302600_NS6detail15normal_iteratorINS9_10device_ptrIiEEEESE_PS5_SF_jNS0_19identity_decomposerENS1_16block_id_wrapperIjLb1EEEEE10hipError_tT1_PNSt15iterator_traitsISK_E10value_typeET2_T3_PNSL_ISQ_E10value_typeET4_T5_PSV_SW_PNS1_23onesweep_lookback_stateEbbT6_jjT7_P12ihipStream_tbENKUlT_T0_SK_SP_E_clIPiSE_SF_SF_EEDaS13_S14_SK_SP_EUlS13_E_NS1_11comp_targetILNS1_3genE3ELNS1_11target_archE908ELNS1_3gpuE7ELNS1_3repE0EEENS1_47radix_sort_onesweep_sort_config_static_selectorELNS0_4arch9wavefront6targetE1EEEvSK_,"axG",@progbits,_ZN7rocprim17ROCPRIM_400000_NS6detail17trampoline_kernelINS0_14default_configENS1_35radix_sort_onesweep_config_selectorIiNS0_10empty_typeEEEZZNS1_29radix_sort_onesweep_iterationIS3_Lb0EN6thrust23THRUST_200600_302600_NS6detail15normal_iteratorINS9_10device_ptrIiEEEESE_PS5_SF_jNS0_19identity_decomposerENS1_16block_id_wrapperIjLb1EEEEE10hipError_tT1_PNSt15iterator_traitsISK_E10value_typeET2_T3_PNSL_ISQ_E10value_typeET4_T5_PSV_SW_PNS1_23onesweep_lookback_stateEbbT6_jjT7_P12ihipStream_tbENKUlT_T0_SK_SP_E_clIPiSE_SF_SF_EEDaS13_S14_SK_SP_EUlS13_E_NS1_11comp_targetILNS1_3genE3ELNS1_11target_archE908ELNS1_3gpuE7ELNS1_3repE0EEENS1_47radix_sort_onesweep_sort_config_static_selectorELNS0_4arch9wavefront6targetE1EEEvSK_,comdat
	.protected	_ZN7rocprim17ROCPRIM_400000_NS6detail17trampoline_kernelINS0_14default_configENS1_35radix_sort_onesweep_config_selectorIiNS0_10empty_typeEEEZZNS1_29radix_sort_onesweep_iterationIS3_Lb0EN6thrust23THRUST_200600_302600_NS6detail15normal_iteratorINS9_10device_ptrIiEEEESE_PS5_SF_jNS0_19identity_decomposerENS1_16block_id_wrapperIjLb1EEEEE10hipError_tT1_PNSt15iterator_traitsISK_E10value_typeET2_T3_PNSL_ISQ_E10value_typeET4_T5_PSV_SW_PNS1_23onesweep_lookback_stateEbbT6_jjT7_P12ihipStream_tbENKUlT_T0_SK_SP_E_clIPiSE_SF_SF_EEDaS13_S14_SK_SP_EUlS13_E_NS1_11comp_targetILNS1_3genE3ELNS1_11target_archE908ELNS1_3gpuE7ELNS1_3repE0EEENS1_47radix_sort_onesweep_sort_config_static_selectorELNS0_4arch9wavefront6targetE1EEEvSK_ ; -- Begin function _ZN7rocprim17ROCPRIM_400000_NS6detail17trampoline_kernelINS0_14default_configENS1_35radix_sort_onesweep_config_selectorIiNS0_10empty_typeEEEZZNS1_29radix_sort_onesweep_iterationIS3_Lb0EN6thrust23THRUST_200600_302600_NS6detail15normal_iteratorINS9_10device_ptrIiEEEESE_PS5_SF_jNS0_19identity_decomposerENS1_16block_id_wrapperIjLb1EEEEE10hipError_tT1_PNSt15iterator_traitsISK_E10value_typeET2_T3_PNSL_ISQ_E10value_typeET4_T5_PSV_SW_PNS1_23onesweep_lookback_stateEbbT6_jjT7_P12ihipStream_tbENKUlT_T0_SK_SP_E_clIPiSE_SF_SF_EEDaS13_S14_SK_SP_EUlS13_E_NS1_11comp_targetILNS1_3genE3ELNS1_11target_archE908ELNS1_3gpuE7ELNS1_3repE0EEENS1_47radix_sort_onesweep_sort_config_static_selectorELNS0_4arch9wavefront6targetE1EEEvSK_
	.globl	_ZN7rocprim17ROCPRIM_400000_NS6detail17trampoline_kernelINS0_14default_configENS1_35radix_sort_onesweep_config_selectorIiNS0_10empty_typeEEEZZNS1_29radix_sort_onesweep_iterationIS3_Lb0EN6thrust23THRUST_200600_302600_NS6detail15normal_iteratorINS9_10device_ptrIiEEEESE_PS5_SF_jNS0_19identity_decomposerENS1_16block_id_wrapperIjLb1EEEEE10hipError_tT1_PNSt15iterator_traitsISK_E10value_typeET2_T3_PNSL_ISQ_E10value_typeET4_T5_PSV_SW_PNS1_23onesweep_lookback_stateEbbT6_jjT7_P12ihipStream_tbENKUlT_T0_SK_SP_E_clIPiSE_SF_SF_EEDaS13_S14_SK_SP_EUlS13_E_NS1_11comp_targetILNS1_3genE3ELNS1_11target_archE908ELNS1_3gpuE7ELNS1_3repE0EEENS1_47radix_sort_onesweep_sort_config_static_selectorELNS0_4arch9wavefront6targetE1EEEvSK_
	.p2align	8
	.type	_ZN7rocprim17ROCPRIM_400000_NS6detail17trampoline_kernelINS0_14default_configENS1_35radix_sort_onesweep_config_selectorIiNS0_10empty_typeEEEZZNS1_29radix_sort_onesweep_iterationIS3_Lb0EN6thrust23THRUST_200600_302600_NS6detail15normal_iteratorINS9_10device_ptrIiEEEESE_PS5_SF_jNS0_19identity_decomposerENS1_16block_id_wrapperIjLb1EEEEE10hipError_tT1_PNSt15iterator_traitsISK_E10value_typeET2_T3_PNSL_ISQ_E10value_typeET4_T5_PSV_SW_PNS1_23onesweep_lookback_stateEbbT6_jjT7_P12ihipStream_tbENKUlT_T0_SK_SP_E_clIPiSE_SF_SF_EEDaS13_S14_SK_SP_EUlS13_E_NS1_11comp_targetILNS1_3genE3ELNS1_11target_archE908ELNS1_3gpuE7ELNS1_3repE0EEENS1_47radix_sort_onesweep_sort_config_static_selectorELNS0_4arch9wavefront6targetE1EEEvSK_,@function
_ZN7rocprim17ROCPRIM_400000_NS6detail17trampoline_kernelINS0_14default_configENS1_35radix_sort_onesweep_config_selectorIiNS0_10empty_typeEEEZZNS1_29radix_sort_onesweep_iterationIS3_Lb0EN6thrust23THRUST_200600_302600_NS6detail15normal_iteratorINS9_10device_ptrIiEEEESE_PS5_SF_jNS0_19identity_decomposerENS1_16block_id_wrapperIjLb1EEEEE10hipError_tT1_PNSt15iterator_traitsISK_E10value_typeET2_T3_PNSL_ISQ_E10value_typeET4_T5_PSV_SW_PNS1_23onesweep_lookback_stateEbbT6_jjT7_P12ihipStream_tbENKUlT_T0_SK_SP_E_clIPiSE_SF_SF_EEDaS13_S14_SK_SP_EUlS13_E_NS1_11comp_targetILNS1_3genE3ELNS1_11target_archE908ELNS1_3gpuE7ELNS1_3repE0EEENS1_47radix_sort_onesweep_sort_config_static_selectorELNS0_4arch9wavefront6targetE1EEEvSK_: ; @_ZN7rocprim17ROCPRIM_400000_NS6detail17trampoline_kernelINS0_14default_configENS1_35radix_sort_onesweep_config_selectorIiNS0_10empty_typeEEEZZNS1_29radix_sort_onesweep_iterationIS3_Lb0EN6thrust23THRUST_200600_302600_NS6detail15normal_iteratorINS9_10device_ptrIiEEEESE_PS5_SF_jNS0_19identity_decomposerENS1_16block_id_wrapperIjLb1EEEEE10hipError_tT1_PNSt15iterator_traitsISK_E10value_typeET2_T3_PNSL_ISQ_E10value_typeET4_T5_PSV_SW_PNS1_23onesweep_lookback_stateEbbT6_jjT7_P12ihipStream_tbENKUlT_T0_SK_SP_E_clIPiSE_SF_SF_EEDaS13_S14_SK_SP_EUlS13_E_NS1_11comp_targetILNS1_3genE3ELNS1_11target_archE908ELNS1_3gpuE7ELNS1_3repE0EEENS1_47radix_sort_onesweep_sort_config_static_selectorELNS0_4arch9wavefront6targetE1EEEvSK_
; %bb.0:
	.section	.rodata,"a",@progbits
	.p2align	6, 0x0
	.amdhsa_kernel _ZN7rocprim17ROCPRIM_400000_NS6detail17trampoline_kernelINS0_14default_configENS1_35radix_sort_onesweep_config_selectorIiNS0_10empty_typeEEEZZNS1_29radix_sort_onesweep_iterationIS3_Lb0EN6thrust23THRUST_200600_302600_NS6detail15normal_iteratorINS9_10device_ptrIiEEEESE_PS5_SF_jNS0_19identity_decomposerENS1_16block_id_wrapperIjLb1EEEEE10hipError_tT1_PNSt15iterator_traitsISK_E10value_typeET2_T3_PNSL_ISQ_E10value_typeET4_T5_PSV_SW_PNS1_23onesweep_lookback_stateEbbT6_jjT7_P12ihipStream_tbENKUlT_T0_SK_SP_E_clIPiSE_SF_SF_EEDaS13_S14_SK_SP_EUlS13_E_NS1_11comp_targetILNS1_3genE3ELNS1_11target_archE908ELNS1_3gpuE7ELNS1_3repE0EEENS1_47radix_sort_onesweep_sort_config_static_selectorELNS0_4arch9wavefront6targetE1EEEvSK_
		.amdhsa_group_segment_fixed_size 0
		.amdhsa_private_segment_fixed_size 0
		.amdhsa_kernarg_size 88
		.amdhsa_user_sgpr_count 2
		.amdhsa_user_sgpr_dispatch_ptr 0
		.amdhsa_user_sgpr_queue_ptr 0
		.amdhsa_user_sgpr_kernarg_segment_ptr 1
		.amdhsa_user_sgpr_dispatch_id 0
		.amdhsa_user_sgpr_kernarg_preload_length 0
		.amdhsa_user_sgpr_kernarg_preload_offset 0
		.amdhsa_user_sgpr_private_segment_size 0
		.amdhsa_uses_dynamic_stack 0
		.amdhsa_enable_private_segment 0
		.amdhsa_system_sgpr_workgroup_id_x 1
		.amdhsa_system_sgpr_workgroup_id_y 0
		.amdhsa_system_sgpr_workgroup_id_z 0
		.amdhsa_system_sgpr_workgroup_info 0
		.amdhsa_system_vgpr_workitem_id 0
		.amdhsa_next_free_vgpr 1
		.amdhsa_next_free_sgpr 0
		.amdhsa_accum_offset 4
		.amdhsa_reserve_vcc 0
		.amdhsa_float_round_mode_32 0
		.amdhsa_float_round_mode_16_64 0
		.amdhsa_float_denorm_mode_32 3
		.amdhsa_float_denorm_mode_16_64 3
		.amdhsa_dx10_clamp 1
		.amdhsa_ieee_mode 1
		.amdhsa_fp16_overflow 0
		.amdhsa_tg_split 0
		.amdhsa_exception_fp_ieee_invalid_op 0
		.amdhsa_exception_fp_denorm_src 0
		.amdhsa_exception_fp_ieee_div_zero 0
		.amdhsa_exception_fp_ieee_overflow 0
		.amdhsa_exception_fp_ieee_underflow 0
		.amdhsa_exception_fp_ieee_inexact 0
		.amdhsa_exception_int_div_zero 0
	.end_amdhsa_kernel
	.section	.text._ZN7rocprim17ROCPRIM_400000_NS6detail17trampoline_kernelINS0_14default_configENS1_35radix_sort_onesweep_config_selectorIiNS0_10empty_typeEEEZZNS1_29radix_sort_onesweep_iterationIS3_Lb0EN6thrust23THRUST_200600_302600_NS6detail15normal_iteratorINS9_10device_ptrIiEEEESE_PS5_SF_jNS0_19identity_decomposerENS1_16block_id_wrapperIjLb1EEEEE10hipError_tT1_PNSt15iterator_traitsISK_E10value_typeET2_T3_PNSL_ISQ_E10value_typeET4_T5_PSV_SW_PNS1_23onesweep_lookback_stateEbbT6_jjT7_P12ihipStream_tbENKUlT_T0_SK_SP_E_clIPiSE_SF_SF_EEDaS13_S14_SK_SP_EUlS13_E_NS1_11comp_targetILNS1_3genE3ELNS1_11target_archE908ELNS1_3gpuE7ELNS1_3repE0EEENS1_47radix_sort_onesweep_sort_config_static_selectorELNS0_4arch9wavefront6targetE1EEEvSK_,"axG",@progbits,_ZN7rocprim17ROCPRIM_400000_NS6detail17trampoline_kernelINS0_14default_configENS1_35radix_sort_onesweep_config_selectorIiNS0_10empty_typeEEEZZNS1_29radix_sort_onesweep_iterationIS3_Lb0EN6thrust23THRUST_200600_302600_NS6detail15normal_iteratorINS9_10device_ptrIiEEEESE_PS5_SF_jNS0_19identity_decomposerENS1_16block_id_wrapperIjLb1EEEEE10hipError_tT1_PNSt15iterator_traitsISK_E10value_typeET2_T3_PNSL_ISQ_E10value_typeET4_T5_PSV_SW_PNS1_23onesweep_lookback_stateEbbT6_jjT7_P12ihipStream_tbENKUlT_T0_SK_SP_E_clIPiSE_SF_SF_EEDaS13_S14_SK_SP_EUlS13_E_NS1_11comp_targetILNS1_3genE3ELNS1_11target_archE908ELNS1_3gpuE7ELNS1_3repE0EEENS1_47radix_sort_onesweep_sort_config_static_selectorELNS0_4arch9wavefront6targetE1EEEvSK_,comdat
.Lfunc_end1769:
	.size	_ZN7rocprim17ROCPRIM_400000_NS6detail17trampoline_kernelINS0_14default_configENS1_35radix_sort_onesweep_config_selectorIiNS0_10empty_typeEEEZZNS1_29radix_sort_onesweep_iterationIS3_Lb0EN6thrust23THRUST_200600_302600_NS6detail15normal_iteratorINS9_10device_ptrIiEEEESE_PS5_SF_jNS0_19identity_decomposerENS1_16block_id_wrapperIjLb1EEEEE10hipError_tT1_PNSt15iterator_traitsISK_E10value_typeET2_T3_PNSL_ISQ_E10value_typeET4_T5_PSV_SW_PNS1_23onesweep_lookback_stateEbbT6_jjT7_P12ihipStream_tbENKUlT_T0_SK_SP_E_clIPiSE_SF_SF_EEDaS13_S14_SK_SP_EUlS13_E_NS1_11comp_targetILNS1_3genE3ELNS1_11target_archE908ELNS1_3gpuE7ELNS1_3repE0EEENS1_47radix_sort_onesweep_sort_config_static_selectorELNS0_4arch9wavefront6targetE1EEEvSK_, .Lfunc_end1769-_ZN7rocprim17ROCPRIM_400000_NS6detail17trampoline_kernelINS0_14default_configENS1_35radix_sort_onesweep_config_selectorIiNS0_10empty_typeEEEZZNS1_29radix_sort_onesweep_iterationIS3_Lb0EN6thrust23THRUST_200600_302600_NS6detail15normal_iteratorINS9_10device_ptrIiEEEESE_PS5_SF_jNS0_19identity_decomposerENS1_16block_id_wrapperIjLb1EEEEE10hipError_tT1_PNSt15iterator_traitsISK_E10value_typeET2_T3_PNSL_ISQ_E10value_typeET4_T5_PSV_SW_PNS1_23onesweep_lookback_stateEbbT6_jjT7_P12ihipStream_tbENKUlT_T0_SK_SP_E_clIPiSE_SF_SF_EEDaS13_S14_SK_SP_EUlS13_E_NS1_11comp_targetILNS1_3genE3ELNS1_11target_archE908ELNS1_3gpuE7ELNS1_3repE0EEENS1_47radix_sort_onesweep_sort_config_static_selectorELNS0_4arch9wavefront6targetE1EEEvSK_
                                        ; -- End function
	.section	.AMDGPU.csdata,"",@progbits
; Kernel info:
; codeLenInByte = 0
; NumSgprs: 6
; NumVgprs: 0
; NumAgprs: 0
; TotalNumVgprs: 0
; ScratchSize: 0
; MemoryBound: 0
; FloatMode: 240
; IeeeMode: 1
; LDSByteSize: 0 bytes/workgroup (compile time only)
; SGPRBlocks: 0
; VGPRBlocks: 0
; NumSGPRsForWavesPerEU: 6
; NumVGPRsForWavesPerEU: 1
; AccumOffset: 4
; Occupancy: 8
; WaveLimiterHint : 0
; COMPUTE_PGM_RSRC2:SCRATCH_EN: 0
; COMPUTE_PGM_RSRC2:USER_SGPR: 2
; COMPUTE_PGM_RSRC2:TRAP_HANDLER: 0
; COMPUTE_PGM_RSRC2:TGID_X_EN: 1
; COMPUTE_PGM_RSRC2:TGID_Y_EN: 0
; COMPUTE_PGM_RSRC2:TGID_Z_EN: 0
; COMPUTE_PGM_RSRC2:TIDIG_COMP_CNT: 0
; COMPUTE_PGM_RSRC3_GFX90A:ACCUM_OFFSET: 0
; COMPUTE_PGM_RSRC3_GFX90A:TG_SPLIT: 0
	.section	.text._ZN7rocprim17ROCPRIM_400000_NS6detail17trampoline_kernelINS0_14default_configENS1_35radix_sort_onesweep_config_selectorIiNS0_10empty_typeEEEZZNS1_29radix_sort_onesweep_iterationIS3_Lb0EN6thrust23THRUST_200600_302600_NS6detail15normal_iteratorINS9_10device_ptrIiEEEESE_PS5_SF_jNS0_19identity_decomposerENS1_16block_id_wrapperIjLb1EEEEE10hipError_tT1_PNSt15iterator_traitsISK_E10value_typeET2_T3_PNSL_ISQ_E10value_typeET4_T5_PSV_SW_PNS1_23onesweep_lookback_stateEbbT6_jjT7_P12ihipStream_tbENKUlT_T0_SK_SP_E_clIPiSE_SF_SF_EEDaS13_S14_SK_SP_EUlS13_E_NS1_11comp_targetILNS1_3genE10ELNS1_11target_archE1201ELNS1_3gpuE5ELNS1_3repE0EEENS1_47radix_sort_onesweep_sort_config_static_selectorELNS0_4arch9wavefront6targetE1EEEvSK_,"axG",@progbits,_ZN7rocprim17ROCPRIM_400000_NS6detail17trampoline_kernelINS0_14default_configENS1_35radix_sort_onesweep_config_selectorIiNS0_10empty_typeEEEZZNS1_29radix_sort_onesweep_iterationIS3_Lb0EN6thrust23THRUST_200600_302600_NS6detail15normal_iteratorINS9_10device_ptrIiEEEESE_PS5_SF_jNS0_19identity_decomposerENS1_16block_id_wrapperIjLb1EEEEE10hipError_tT1_PNSt15iterator_traitsISK_E10value_typeET2_T3_PNSL_ISQ_E10value_typeET4_T5_PSV_SW_PNS1_23onesweep_lookback_stateEbbT6_jjT7_P12ihipStream_tbENKUlT_T0_SK_SP_E_clIPiSE_SF_SF_EEDaS13_S14_SK_SP_EUlS13_E_NS1_11comp_targetILNS1_3genE10ELNS1_11target_archE1201ELNS1_3gpuE5ELNS1_3repE0EEENS1_47radix_sort_onesweep_sort_config_static_selectorELNS0_4arch9wavefront6targetE1EEEvSK_,comdat
	.protected	_ZN7rocprim17ROCPRIM_400000_NS6detail17trampoline_kernelINS0_14default_configENS1_35radix_sort_onesweep_config_selectorIiNS0_10empty_typeEEEZZNS1_29radix_sort_onesweep_iterationIS3_Lb0EN6thrust23THRUST_200600_302600_NS6detail15normal_iteratorINS9_10device_ptrIiEEEESE_PS5_SF_jNS0_19identity_decomposerENS1_16block_id_wrapperIjLb1EEEEE10hipError_tT1_PNSt15iterator_traitsISK_E10value_typeET2_T3_PNSL_ISQ_E10value_typeET4_T5_PSV_SW_PNS1_23onesweep_lookback_stateEbbT6_jjT7_P12ihipStream_tbENKUlT_T0_SK_SP_E_clIPiSE_SF_SF_EEDaS13_S14_SK_SP_EUlS13_E_NS1_11comp_targetILNS1_3genE10ELNS1_11target_archE1201ELNS1_3gpuE5ELNS1_3repE0EEENS1_47radix_sort_onesweep_sort_config_static_selectorELNS0_4arch9wavefront6targetE1EEEvSK_ ; -- Begin function _ZN7rocprim17ROCPRIM_400000_NS6detail17trampoline_kernelINS0_14default_configENS1_35radix_sort_onesweep_config_selectorIiNS0_10empty_typeEEEZZNS1_29radix_sort_onesweep_iterationIS3_Lb0EN6thrust23THRUST_200600_302600_NS6detail15normal_iteratorINS9_10device_ptrIiEEEESE_PS5_SF_jNS0_19identity_decomposerENS1_16block_id_wrapperIjLb1EEEEE10hipError_tT1_PNSt15iterator_traitsISK_E10value_typeET2_T3_PNSL_ISQ_E10value_typeET4_T5_PSV_SW_PNS1_23onesweep_lookback_stateEbbT6_jjT7_P12ihipStream_tbENKUlT_T0_SK_SP_E_clIPiSE_SF_SF_EEDaS13_S14_SK_SP_EUlS13_E_NS1_11comp_targetILNS1_3genE10ELNS1_11target_archE1201ELNS1_3gpuE5ELNS1_3repE0EEENS1_47radix_sort_onesweep_sort_config_static_selectorELNS0_4arch9wavefront6targetE1EEEvSK_
	.globl	_ZN7rocprim17ROCPRIM_400000_NS6detail17trampoline_kernelINS0_14default_configENS1_35radix_sort_onesweep_config_selectorIiNS0_10empty_typeEEEZZNS1_29radix_sort_onesweep_iterationIS3_Lb0EN6thrust23THRUST_200600_302600_NS6detail15normal_iteratorINS9_10device_ptrIiEEEESE_PS5_SF_jNS0_19identity_decomposerENS1_16block_id_wrapperIjLb1EEEEE10hipError_tT1_PNSt15iterator_traitsISK_E10value_typeET2_T3_PNSL_ISQ_E10value_typeET4_T5_PSV_SW_PNS1_23onesweep_lookback_stateEbbT6_jjT7_P12ihipStream_tbENKUlT_T0_SK_SP_E_clIPiSE_SF_SF_EEDaS13_S14_SK_SP_EUlS13_E_NS1_11comp_targetILNS1_3genE10ELNS1_11target_archE1201ELNS1_3gpuE5ELNS1_3repE0EEENS1_47radix_sort_onesweep_sort_config_static_selectorELNS0_4arch9wavefront6targetE1EEEvSK_
	.p2align	8
	.type	_ZN7rocprim17ROCPRIM_400000_NS6detail17trampoline_kernelINS0_14default_configENS1_35radix_sort_onesweep_config_selectorIiNS0_10empty_typeEEEZZNS1_29radix_sort_onesweep_iterationIS3_Lb0EN6thrust23THRUST_200600_302600_NS6detail15normal_iteratorINS9_10device_ptrIiEEEESE_PS5_SF_jNS0_19identity_decomposerENS1_16block_id_wrapperIjLb1EEEEE10hipError_tT1_PNSt15iterator_traitsISK_E10value_typeET2_T3_PNSL_ISQ_E10value_typeET4_T5_PSV_SW_PNS1_23onesweep_lookback_stateEbbT6_jjT7_P12ihipStream_tbENKUlT_T0_SK_SP_E_clIPiSE_SF_SF_EEDaS13_S14_SK_SP_EUlS13_E_NS1_11comp_targetILNS1_3genE10ELNS1_11target_archE1201ELNS1_3gpuE5ELNS1_3repE0EEENS1_47radix_sort_onesweep_sort_config_static_selectorELNS0_4arch9wavefront6targetE1EEEvSK_,@function
_ZN7rocprim17ROCPRIM_400000_NS6detail17trampoline_kernelINS0_14default_configENS1_35radix_sort_onesweep_config_selectorIiNS0_10empty_typeEEEZZNS1_29radix_sort_onesweep_iterationIS3_Lb0EN6thrust23THRUST_200600_302600_NS6detail15normal_iteratorINS9_10device_ptrIiEEEESE_PS5_SF_jNS0_19identity_decomposerENS1_16block_id_wrapperIjLb1EEEEE10hipError_tT1_PNSt15iterator_traitsISK_E10value_typeET2_T3_PNSL_ISQ_E10value_typeET4_T5_PSV_SW_PNS1_23onesweep_lookback_stateEbbT6_jjT7_P12ihipStream_tbENKUlT_T0_SK_SP_E_clIPiSE_SF_SF_EEDaS13_S14_SK_SP_EUlS13_E_NS1_11comp_targetILNS1_3genE10ELNS1_11target_archE1201ELNS1_3gpuE5ELNS1_3repE0EEENS1_47radix_sort_onesweep_sort_config_static_selectorELNS0_4arch9wavefront6targetE1EEEvSK_: ; @_ZN7rocprim17ROCPRIM_400000_NS6detail17trampoline_kernelINS0_14default_configENS1_35radix_sort_onesweep_config_selectorIiNS0_10empty_typeEEEZZNS1_29radix_sort_onesweep_iterationIS3_Lb0EN6thrust23THRUST_200600_302600_NS6detail15normal_iteratorINS9_10device_ptrIiEEEESE_PS5_SF_jNS0_19identity_decomposerENS1_16block_id_wrapperIjLb1EEEEE10hipError_tT1_PNSt15iterator_traitsISK_E10value_typeET2_T3_PNSL_ISQ_E10value_typeET4_T5_PSV_SW_PNS1_23onesweep_lookback_stateEbbT6_jjT7_P12ihipStream_tbENKUlT_T0_SK_SP_E_clIPiSE_SF_SF_EEDaS13_S14_SK_SP_EUlS13_E_NS1_11comp_targetILNS1_3genE10ELNS1_11target_archE1201ELNS1_3gpuE5ELNS1_3repE0EEENS1_47radix_sort_onesweep_sort_config_static_selectorELNS0_4arch9wavefront6targetE1EEEvSK_
; %bb.0:
	.section	.rodata,"a",@progbits
	.p2align	6, 0x0
	.amdhsa_kernel _ZN7rocprim17ROCPRIM_400000_NS6detail17trampoline_kernelINS0_14default_configENS1_35radix_sort_onesweep_config_selectorIiNS0_10empty_typeEEEZZNS1_29radix_sort_onesweep_iterationIS3_Lb0EN6thrust23THRUST_200600_302600_NS6detail15normal_iteratorINS9_10device_ptrIiEEEESE_PS5_SF_jNS0_19identity_decomposerENS1_16block_id_wrapperIjLb1EEEEE10hipError_tT1_PNSt15iterator_traitsISK_E10value_typeET2_T3_PNSL_ISQ_E10value_typeET4_T5_PSV_SW_PNS1_23onesweep_lookback_stateEbbT6_jjT7_P12ihipStream_tbENKUlT_T0_SK_SP_E_clIPiSE_SF_SF_EEDaS13_S14_SK_SP_EUlS13_E_NS1_11comp_targetILNS1_3genE10ELNS1_11target_archE1201ELNS1_3gpuE5ELNS1_3repE0EEENS1_47radix_sort_onesweep_sort_config_static_selectorELNS0_4arch9wavefront6targetE1EEEvSK_
		.amdhsa_group_segment_fixed_size 0
		.amdhsa_private_segment_fixed_size 0
		.amdhsa_kernarg_size 88
		.amdhsa_user_sgpr_count 2
		.amdhsa_user_sgpr_dispatch_ptr 0
		.amdhsa_user_sgpr_queue_ptr 0
		.amdhsa_user_sgpr_kernarg_segment_ptr 1
		.amdhsa_user_sgpr_dispatch_id 0
		.amdhsa_user_sgpr_kernarg_preload_length 0
		.amdhsa_user_sgpr_kernarg_preload_offset 0
		.amdhsa_user_sgpr_private_segment_size 0
		.amdhsa_uses_dynamic_stack 0
		.amdhsa_enable_private_segment 0
		.amdhsa_system_sgpr_workgroup_id_x 1
		.amdhsa_system_sgpr_workgroup_id_y 0
		.amdhsa_system_sgpr_workgroup_id_z 0
		.amdhsa_system_sgpr_workgroup_info 0
		.amdhsa_system_vgpr_workitem_id 0
		.amdhsa_next_free_vgpr 1
		.amdhsa_next_free_sgpr 0
		.amdhsa_accum_offset 4
		.amdhsa_reserve_vcc 0
		.amdhsa_float_round_mode_32 0
		.amdhsa_float_round_mode_16_64 0
		.amdhsa_float_denorm_mode_32 3
		.amdhsa_float_denorm_mode_16_64 3
		.amdhsa_dx10_clamp 1
		.amdhsa_ieee_mode 1
		.amdhsa_fp16_overflow 0
		.amdhsa_tg_split 0
		.amdhsa_exception_fp_ieee_invalid_op 0
		.amdhsa_exception_fp_denorm_src 0
		.amdhsa_exception_fp_ieee_div_zero 0
		.amdhsa_exception_fp_ieee_overflow 0
		.amdhsa_exception_fp_ieee_underflow 0
		.amdhsa_exception_fp_ieee_inexact 0
		.amdhsa_exception_int_div_zero 0
	.end_amdhsa_kernel
	.section	.text._ZN7rocprim17ROCPRIM_400000_NS6detail17trampoline_kernelINS0_14default_configENS1_35radix_sort_onesweep_config_selectorIiNS0_10empty_typeEEEZZNS1_29radix_sort_onesweep_iterationIS3_Lb0EN6thrust23THRUST_200600_302600_NS6detail15normal_iteratorINS9_10device_ptrIiEEEESE_PS5_SF_jNS0_19identity_decomposerENS1_16block_id_wrapperIjLb1EEEEE10hipError_tT1_PNSt15iterator_traitsISK_E10value_typeET2_T3_PNSL_ISQ_E10value_typeET4_T5_PSV_SW_PNS1_23onesweep_lookback_stateEbbT6_jjT7_P12ihipStream_tbENKUlT_T0_SK_SP_E_clIPiSE_SF_SF_EEDaS13_S14_SK_SP_EUlS13_E_NS1_11comp_targetILNS1_3genE10ELNS1_11target_archE1201ELNS1_3gpuE5ELNS1_3repE0EEENS1_47radix_sort_onesweep_sort_config_static_selectorELNS0_4arch9wavefront6targetE1EEEvSK_,"axG",@progbits,_ZN7rocprim17ROCPRIM_400000_NS6detail17trampoline_kernelINS0_14default_configENS1_35radix_sort_onesweep_config_selectorIiNS0_10empty_typeEEEZZNS1_29radix_sort_onesweep_iterationIS3_Lb0EN6thrust23THRUST_200600_302600_NS6detail15normal_iteratorINS9_10device_ptrIiEEEESE_PS5_SF_jNS0_19identity_decomposerENS1_16block_id_wrapperIjLb1EEEEE10hipError_tT1_PNSt15iterator_traitsISK_E10value_typeET2_T3_PNSL_ISQ_E10value_typeET4_T5_PSV_SW_PNS1_23onesweep_lookback_stateEbbT6_jjT7_P12ihipStream_tbENKUlT_T0_SK_SP_E_clIPiSE_SF_SF_EEDaS13_S14_SK_SP_EUlS13_E_NS1_11comp_targetILNS1_3genE10ELNS1_11target_archE1201ELNS1_3gpuE5ELNS1_3repE0EEENS1_47radix_sort_onesweep_sort_config_static_selectorELNS0_4arch9wavefront6targetE1EEEvSK_,comdat
.Lfunc_end1770:
	.size	_ZN7rocprim17ROCPRIM_400000_NS6detail17trampoline_kernelINS0_14default_configENS1_35radix_sort_onesweep_config_selectorIiNS0_10empty_typeEEEZZNS1_29radix_sort_onesweep_iterationIS3_Lb0EN6thrust23THRUST_200600_302600_NS6detail15normal_iteratorINS9_10device_ptrIiEEEESE_PS5_SF_jNS0_19identity_decomposerENS1_16block_id_wrapperIjLb1EEEEE10hipError_tT1_PNSt15iterator_traitsISK_E10value_typeET2_T3_PNSL_ISQ_E10value_typeET4_T5_PSV_SW_PNS1_23onesweep_lookback_stateEbbT6_jjT7_P12ihipStream_tbENKUlT_T0_SK_SP_E_clIPiSE_SF_SF_EEDaS13_S14_SK_SP_EUlS13_E_NS1_11comp_targetILNS1_3genE10ELNS1_11target_archE1201ELNS1_3gpuE5ELNS1_3repE0EEENS1_47radix_sort_onesweep_sort_config_static_selectorELNS0_4arch9wavefront6targetE1EEEvSK_, .Lfunc_end1770-_ZN7rocprim17ROCPRIM_400000_NS6detail17trampoline_kernelINS0_14default_configENS1_35radix_sort_onesweep_config_selectorIiNS0_10empty_typeEEEZZNS1_29radix_sort_onesweep_iterationIS3_Lb0EN6thrust23THRUST_200600_302600_NS6detail15normal_iteratorINS9_10device_ptrIiEEEESE_PS5_SF_jNS0_19identity_decomposerENS1_16block_id_wrapperIjLb1EEEEE10hipError_tT1_PNSt15iterator_traitsISK_E10value_typeET2_T3_PNSL_ISQ_E10value_typeET4_T5_PSV_SW_PNS1_23onesweep_lookback_stateEbbT6_jjT7_P12ihipStream_tbENKUlT_T0_SK_SP_E_clIPiSE_SF_SF_EEDaS13_S14_SK_SP_EUlS13_E_NS1_11comp_targetILNS1_3genE10ELNS1_11target_archE1201ELNS1_3gpuE5ELNS1_3repE0EEENS1_47radix_sort_onesweep_sort_config_static_selectorELNS0_4arch9wavefront6targetE1EEEvSK_
                                        ; -- End function
	.section	.AMDGPU.csdata,"",@progbits
; Kernel info:
; codeLenInByte = 0
; NumSgprs: 6
; NumVgprs: 0
; NumAgprs: 0
; TotalNumVgprs: 0
; ScratchSize: 0
; MemoryBound: 0
; FloatMode: 240
; IeeeMode: 1
; LDSByteSize: 0 bytes/workgroup (compile time only)
; SGPRBlocks: 0
; VGPRBlocks: 0
; NumSGPRsForWavesPerEU: 6
; NumVGPRsForWavesPerEU: 1
; AccumOffset: 4
; Occupancy: 8
; WaveLimiterHint : 0
; COMPUTE_PGM_RSRC2:SCRATCH_EN: 0
; COMPUTE_PGM_RSRC2:USER_SGPR: 2
; COMPUTE_PGM_RSRC2:TRAP_HANDLER: 0
; COMPUTE_PGM_RSRC2:TGID_X_EN: 1
; COMPUTE_PGM_RSRC2:TGID_Y_EN: 0
; COMPUTE_PGM_RSRC2:TGID_Z_EN: 0
; COMPUTE_PGM_RSRC2:TIDIG_COMP_CNT: 0
; COMPUTE_PGM_RSRC3_GFX90A:ACCUM_OFFSET: 0
; COMPUTE_PGM_RSRC3_GFX90A:TG_SPLIT: 0
	.section	.text._ZN7rocprim17ROCPRIM_400000_NS6detail17trampoline_kernelINS0_14default_configENS1_35radix_sort_onesweep_config_selectorIiNS0_10empty_typeEEEZZNS1_29radix_sort_onesweep_iterationIS3_Lb0EN6thrust23THRUST_200600_302600_NS6detail15normal_iteratorINS9_10device_ptrIiEEEESE_PS5_SF_jNS0_19identity_decomposerENS1_16block_id_wrapperIjLb1EEEEE10hipError_tT1_PNSt15iterator_traitsISK_E10value_typeET2_T3_PNSL_ISQ_E10value_typeET4_T5_PSV_SW_PNS1_23onesweep_lookback_stateEbbT6_jjT7_P12ihipStream_tbENKUlT_T0_SK_SP_E_clIPiSE_SF_SF_EEDaS13_S14_SK_SP_EUlS13_E_NS1_11comp_targetILNS1_3genE9ELNS1_11target_archE1100ELNS1_3gpuE3ELNS1_3repE0EEENS1_47radix_sort_onesweep_sort_config_static_selectorELNS0_4arch9wavefront6targetE1EEEvSK_,"axG",@progbits,_ZN7rocprim17ROCPRIM_400000_NS6detail17trampoline_kernelINS0_14default_configENS1_35radix_sort_onesweep_config_selectorIiNS0_10empty_typeEEEZZNS1_29radix_sort_onesweep_iterationIS3_Lb0EN6thrust23THRUST_200600_302600_NS6detail15normal_iteratorINS9_10device_ptrIiEEEESE_PS5_SF_jNS0_19identity_decomposerENS1_16block_id_wrapperIjLb1EEEEE10hipError_tT1_PNSt15iterator_traitsISK_E10value_typeET2_T3_PNSL_ISQ_E10value_typeET4_T5_PSV_SW_PNS1_23onesweep_lookback_stateEbbT6_jjT7_P12ihipStream_tbENKUlT_T0_SK_SP_E_clIPiSE_SF_SF_EEDaS13_S14_SK_SP_EUlS13_E_NS1_11comp_targetILNS1_3genE9ELNS1_11target_archE1100ELNS1_3gpuE3ELNS1_3repE0EEENS1_47radix_sort_onesweep_sort_config_static_selectorELNS0_4arch9wavefront6targetE1EEEvSK_,comdat
	.protected	_ZN7rocprim17ROCPRIM_400000_NS6detail17trampoline_kernelINS0_14default_configENS1_35radix_sort_onesweep_config_selectorIiNS0_10empty_typeEEEZZNS1_29radix_sort_onesweep_iterationIS3_Lb0EN6thrust23THRUST_200600_302600_NS6detail15normal_iteratorINS9_10device_ptrIiEEEESE_PS5_SF_jNS0_19identity_decomposerENS1_16block_id_wrapperIjLb1EEEEE10hipError_tT1_PNSt15iterator_traitsISK_E10value_typeET2_T3_PNSL_ISQ_E10value_typeET4_T5_PSV_SW_PNS1_23onesweep_lookback_stateEbbT6_jjT7_P12ihipStream_tbENKUlT_T0_SK_SP_E_clIPiSE_SF_SF_EEDaS13_S14_SK_SP_EUlS13_E_NS1_11comp_targetILNS1_3genE9ELNS1_11target_archE1100ELNS1_3gpuE3ELNS1_3repE0EEENS1_47radix_sort_onesweep_sort_config_static_selectorELNS0_4arch9wavefront6targetE1EEEvSK_ ; -- Begin function _ZN7rocprim17ROCPRIM_400000_NS6detail17trampoline_kernelINS0_14default_configENS1_35radix_sort_onesweep_config_selectorIiNS0_10empty_typeEEEZZNS1_29radix_sort_onesweep_iterationIS3_Lb0EN6thrust23THRUST_200600_302600_NS6detail15normal_iteratorINS9_10device_ptrIiEEEESE_PS5_SF_jNS0_19identity_decomposerENS1_16block_id_wrapperIjLb1EEEEE10hipError_tT1_PNSt15iterator_traitsISK_E10value_typeET2_T3_PNSL_ISQ_E10value_typeET4_T5_PSV_SW_PNS1_23onesweep_lookback_stateEbbT6_jjT7_P12ihipStream_tbENKUlT_T0_SK_SP_E_clIPiSE_SF_SF_EEDaS13_S14_SK_SP_EUlS13_E_NS1_11comp_targetILNS1_3genE9ELNS1_11target_archE1100ELNS1_3gpuE3ELNS1_3repE0EEENS1_47radix_sort_onesweep_sort_config_static_selectorELNS0_4arch9wavefront6targetE1EEEvSK_
	.globl	_ZN7rocprim17ROCPRIM_400000_NS6detail17trampoline_kernelINS0_14default_configENS1_35radix_sort_onesweep_config_selectorIiNS0_10empty_typeEEEZZNS1_29radix_sort_onesweep_iterationIS3_Lb0EN6thrust23THRUST_200600_302600_NS6detail15normal_iteratorINS9_10device_ptrIiEEEESE_PS5_SF_jNS0_19identity_decomposerENS1_16block_id_wrapperIjLb1EEEEE10hipError_tT1_PNSt15iterator_traitsISK_E10value_typeET2_T3_PNSL_ISQ_E10value_typeET4_T5_PSV_SW_PNS1_23onesweep_lookback_stateEbbT6_jjT7_P12ihipStream_tbENKUlT_T0_SK_SP_E_clIPiSE_SF_SF_EEDaS13_S14_SK_SP_EUlS13_E_NS1_11comp_targetILNS1_3genE9ELNS1_11target_archE1100ELNS1_3gpuE3ELNS1_3repE0EEENS1_47radix_sort_onesweep_sort_config_static_selectorELNS0_4arch9wavefront6targetE1EEEvSK_
	.p2align	8
	.type	_ZN7rocprim17ROCPRIM_400000_NS6detail17trampoline_kernelINS0_14default_configENS1_35radix_sort_onesweep_config_selectorIiNS0_10empty_typeEEEZZNS1_29radix_sort_onesweep_iterationIS3_Lb0EN6thrust23THRUST_200600_302600_NS6detail15normal_iteratorINS9_10device_ptrIiEEEESE_PS5_SF_jNS0_19identity_decomposerENS1_16block_id_wrapperIjLb1EEEEE10hipError_tT1_PNSt15iterator_traitsISK_E10value_typeET2_T3_PNSL_ISQ_E10value_typeET4_T5_PSV_SW_PNS1_23onesweep_lookback_stateEbbT6_jjT7_P12ihipStream_tbENKUlT_T0_SK_SP_E_clIPiSE_SF_SF_EEDaS13_S14_SK_SP_EUlS13_E_NS1_11comp_targetILNS1_3genE9ELNS1_11target_archE1100ELNS1_3gpuE3ELNS1_3repE0EEENS1_47radix_sort_onesweep_sort_config_static_selectorELNS0_4arch9wavefront6targetE1EEEvSK_,@function
_ZN7rocprim17ROCPRIM_400000_NS6detail17trampoline_kernelINS0_14default_configENS1_35radix_sort_onesweep_config_selectorIiNS0_10empty_typeEEEZZNS1_29radix_sort_onesweep_iterationIS3_Lb0EN6thrust23THRUST_200600_302600_NS6detail15normal_iteratorINS9_10device_ptrIiEEEESE_PS5_SF_jNS0_19identity_decomposerENS1_16block_id_wrapperIjLb1EEEEE10hipError_tT1_PNSt15iterator_traitsISK_E10value_typeET2_T3_PNSL_ISQ_E10value_typeET4_T5_PSV_SW_PNS1_23onesweep_lookback_stateEbbT6_jjT7_P12ihipStream_tbENKUlT_T0_SK_SP_E_clIPiSE_SF_SF_EEDaS13_S14_SK_SP_EUlS13_E_NS1_11comp_targetILNS1_3genE9ELNS1_11target_archE1100ELNS1_3gpuE3ELNS1_3repE0EEENS1_47radix_sort_onesweep_sort_config_static_selectorELNS0_4arch9wavefront6targetE1EEEvSK_: ; @_ZN7rocprim17ROCPRIM_400000_NS6detail17trampoline_kernelINS0_14default_configENS1_35radix_sort_onesweep_config_selectorIiNS0_10empty_typeEEEZZNS1_29radix_sort_onesweep_iterationIS3_Lb0EN6thrust23THRUST_200600_302600_NS6detail15normal_iteratorINS9_10device_ptrIiEEEESE_PS5_SF_jNS0_19identity_decomposerENS1_16block_id_wrapperIjLb1EEEEE10hipError_tT1_PNSt15iterator_traitsISK_E10value_typeET2_T3_PNSL_ISQ_E10value_typeET4_T5_PSV_SW_PNS1_23onesweep_lookback_stateEbbT6_jjT7_P12ihipStream_tbENKUlT_T0_SK_SP_E_clIPiSE_SF_SF_EEDaS13_S14_SK_SP_EUlS13_E_NS1_11comp_targetILNS1_3genE9ELNS1_11target_archE1100ELNS1_3gpuE3ELNS1_3repE0EEENS1_47radix_sort_onesweep_sort_config_static_selectorELNS0_4arch9wavefront6targetE1EEEvSK_
; %bb.0:
	.section	.rodata,"a",@progbits
	.p2align	6, 0x0
	.amdhsa_kernel _ZN7rocprim17ROCPRIM_400000_NS6detail17trampoline_kernelINS0_14default_configENS1_35radix_sort_onesweep_config_selectorIiNS0_10empty_typeEEEZZNS1_29radix_sort_onesweep_iterationIS3_Lb0EN6thrust23THRUST_200600_302600_NS6detail15normal_iteratorINS9_10device_ptrIiEEEESE_PS5_SF_jNS0_19identity_decomposerENS1_16block_id_wrapperIjLb1EEEEE10hipError_tT1_PNSt15iterator_traitsISK_E10value_typeET2_T3_PNSL_ISQ_E10value_typeET4_T5_PSV_SW_PNS1_23onesweep_lookback_stateEbbT6_jjT7_P12ihipStream_tbENKUlT_T0_SK_SP_E_clIPiSE_SF_SF_EEDaS13_S14_SK_SP_EUlS13_E_NS1_11comp_targetILNS1_3genE9ELNS1_11target_archE1100ELNS1_3gpuE3ELNS1_3repE0EEENS1_47radix_sort_onesweep_sort_config_static_selectorELNS0_4arch9wavefront6targetE1EEEvSK_
		.amdhsa_group_segment_fixed_size 0
		.amdhsa_private_segment_fixed_size 0
		.amdhsa_kernarg_size 88
		.amdhsa_user_sgpr_count 2
		.amdhsa_user_sgpr_dispatch_ptr 0
		.amdhsa_user_sgpr_queue_ptr 0
		.amdhsa_user_sgpr_kernarg_segment_ptr 1
		.amdhsa_user_sgpr_dispatch_id 0
		.amdhsa_user_sgpr_kernarg_preload_length 0
		.amdhsa_user_sgpr_kernarg_preload_offset 0
		.amdhsa_user_sgpr_private_segment_size 0
		.amdhsa_uses_dynamic_stack 0
		.amdhsa_enable_private_segment 0
		.amdhsa_system_sgpr_workgroup_id_x 1
		.amdhsa_system_sgpr_workgroup_id_y 0
		.amdhsa_system_sgpr_workgroup_id_z 0
		.amdhsa_system_sgpr_workgroup_info 0
		.amdhsa_system_vgpr_workitem_id 0
		.amdhsa_next_free_vgpr 1
		.amdhsa_next_free_sgpr 0
		.amdhsa_accum_offset 4
		.amdhsa_reserve_vcc 0
		.amdhsa_float_round_mode_32 0
		.amdhsa_float_round_mode_16_64 0
		.amdhsa_float_denorm_mode_32 3
		.amdhsa_float_denorm_mode_16_64 3
		.amdhsa_dx10_clamp 1
		.amdhsa_ieee_mode 1
		.amdhsa_fp16_overflow 0
		.amdhsa_tg_split 0
		.amdhsa_exception_fp_ieee_invalid_op 0
		.amdhsa_exception_fp_denorm_src 0
		.amdhsa_exception_fp_ieee_div_zero 0
		.amdhsa_exception_fp_ieee_overflow 0
		.amdhsa_exception_fp_ieee_underflow 0
		.amdhsa_exception_fp_ieee_inexact 0
		.amdhsa_exception_int_div_zero 0
	.end_amdhsa_kernel
	.section	.text._ZN7rocprim17ROCPRIM_400000_NS6detail17trampoline_kernelINS0_14default_configENS1_35radix_sort_onesweep_config_selectorIiNS0_10empty_typeEEEZZNS1_29radix_sort_onesweep_iterationIS3_Lb0EN6thrust23THRUST_200600_302600_NS6detail15normal_iteratorINS9_10device_ptrIiEEEESE_PS5_SF_jNS0_19identity_decomposerENS1_16block_id_wrapperIjLb1EEEEE10hipError_tT1_PNSt15iterator_traitsISK_E10value_typeET2_T3_PNSL_ISQ_E10value_typeET4_T5_PSV_SW_PNS1_23onesweep_lookback_stateEbbT6_jjT7_P12ihipStream_tbENKUlT_T0_SK_SP_E_clIPiSE_SF_SF_EEDaS13_S14_SK_SP_EUlS13_E_NS1_11comp_targetILNS1_3genE9ELNS1_11target_archE1100ELNS1_3gpuE3ELNS1_3repE0EEENS1_47radix_sort_onesweep_sort_config_static_selectorELNS0_4arch9wavefront6targetE1EEEvSK_,"axG",@progbits,_ZN7rocprim17ROCPRIM_400000_NS6detail17trampoline_kernelINS0_14default_configENS1_35radix_sort_onesweep_config_selectorIiNS0_10empty_typeEEEZZNS1_29radix_sort_onesweep_iterationIS3_Lb0EN6thrust23THRUST_200600_302600_NS6detail15normal_iteratorINS9_10device_ptrIiEEEESE_PS5_SF_jNS0_19identity_decomposerENS1_16block_id_wrapperIjLb1EEEEE10hipError_tT1_PNSt15iterator_traitsISK_E10value_typeET2_T3_PNSL_ISQ_E10value_typeET4_T5_PSV_SW_PNS1_23onesweep_lookback_stateEbbT6_jjT7_P12ihipStream_tbENKUlT_T0_SK_SP_E_clIPiSE_SF_SF_EEDaS13_S14_SK_SP_EUlS13_E_NS1_11comp_targetILNS1_3genE9ELNS1_11target_archE1100ELNS1_3gpuE3ELNS1_3repE0EEENS1_47radix_sort_onesweep_sort_config_static_selectorELNS0_4arch9wavefront6targetE1EEEvSK_,comdat
.Lfunc_end1771:
	.size	_ZN7rocprim17ROCPRIM_400000_NS6detail17trampoline_kernelINS0_14default_configENS1_35radix_sort_onesweep_config_selectorIiNS0_10empty_typeEEEZZNS1_29radix_sort_onesweep_iterationIS3_Lb0EN6thrust23THRUST_200600_302600_NS6detail15normal_iteratorINS9_10device_ptrIiEEEESE_PS5_SF_jNS0_19identity_decomposerENS1_16block_id_wrapperIjLb1EEEEE10hipError_tT1_PNSt15iterator_traitsISK_E10value_typeET2_T3_PNSL_ISQ_E10value_typeET4_T5_PSV_SW_PNS1_23onesweep_lookback_stateEbbT6_jjT7_P12ihipStream_tbENKUlT_T0_SK_SP_E_clIPiSE_SF_SF_EEDaS13_S14_SK_SP_EUlS13_E_NS1_11comp_targetILNS1_3genE9ELNS1_11target_archE1100ELNS1_3gpuE3ELNS1_3repE0EEENS1_47radix_sort_onesweep_sort_config_static_selectorELNS0_4arch9wavefront6targetE1EEEvSK_, .Lfunc_end1771-_ZN7rocprim17ROCPRIM_400000_NS6detail17trampoline_kernelINS0_14default_configENS1_35radix_sort_onesweep_config_selectorIiNS0_10empty_typeEEEZZNS1_29radix_sort_onesweep_iterationIS3_Lb0EN6thrust23THRUST_200600_302600_NS6detail15normal_iteratorINS9_10device_ptrIiEEEESE_PS5_SF_jNS0_19identity_decomposerENS1_16block_id_wrapperIjLb1EEEEE10hipError_tT1_PNSt15iterator_traitsISK_E10value_typeET2_T3_PNSL_ISQ_E10value_typeET4_T5_PSV_SW_PNS1_23onesweep_lookback_stateEbbT6_jjT7_P12ihipStream_tbENKUlT_T0_SK_SP_E_clIPiSE_SF_SF_EEDaS13_S14_SK_SP_EUlS13_E_NS1_11comp_targetILNS1_3genE9ELNS1_11target_archE1100ELNS1_3gpuE3ELNS1_3repE0EEENS1_47radix_sort_onesweep_sort_config_static_selectorELNS0_4arch9wavefront6targetE1EEEvSK_
                                        ; -- End function
	.section	.AMDGPU.csdata,"",@progbits
; Kernel info:
; codeLenInByte = 0
; NumSgprs: 6
; NumVgprs: 0
; NumAgprs: 0
; TotalNumVgprs: 0
; ScratchSize: 0
; MemoryBound: 0
; FloatMode: 240
; IeeeMode: 1
; LDSByteSize: 0 bytes/workgroup (compile time only)
; SGPRBlocks: 0
; VGPRBlocks: 0
; NumSGPRsForWavesPerEU: 6
; NumVGPRsForWavesPerEU: 1
; AccumOffset: 4
; Occupancy: 8
; WaveLimiterHint : 0
; COMPUTE_PGM_RSRC2:SCRATCH_EN: 0
; COMPUTE_PGM_RSRC2:USER_SGPR: 2
; COMPUTE_PGM_RSRC2:TRAP_HANDLER: 0
; COMPUTE_PGM_RSRC2:TGID_X_EN: 1
; COMPUTE_PGM_RSRC2:TGID_Y_EN: 0
; COMPUTE_PGM_RSRC2:TGID_Z_EN: 0
; COMPUTE_PGM_RSRC2:TIDIG_COMP_CNT: 0
; COMPUTE_PGM_RSRC3_GFX90A:ACCUM_OFFSET: 0
; COMPUTE_PGM_RSRC3_GFX90A:TG_SPLIT: 0
	.section	.text._ZN7rocprim17ROCPRIM_400000_NS6detail17trampoline_kernelINS0_14default_configENS1_35radix_sort_onesweep_config_selectorIiNS0_10empty_typeEEEZZNS1_29radix_sort_onesweep_iterationIS3_Lb0EN6thrust23THRUST_200600_302600_NS6detail15normal_iteratorINS9_10device_ptrIiEEEESE_PS5_SF_jNS0_19identity_decomposerENS1_16block_id_wrapperIjLb1EEEEE10hipError_tT1_PNSt15iterator_traitsISK_E10value_typeET2_T3_PNSL_ISQ_E10value_typeET4_T5_PSV_SW_PNS1_23onesweep_lookback_stateEbbT6_jjT7_P12ihipStream_tbENKUlT_T0_SK_SP_E_clIPiSE_SF_SF_EEDaS13_S14_SK_SP_EUlS13_E_NS1_11comp_targetILNS1_3genE8ELNS1_11target_archE1030ELNS1_3gpuE2ELNS1_3repE0EEENS1_47radix_sort_onesweep_sort_config_static_selectorELNS0_4arch9wavefront6targetE1EEEvSK_,"axG",@progbits,_ZN7rocprim17ROCPRIM_400000_NS6detail17trampoline_kernelINS0_14default_configENS1_35radix_sort_onesweep_config_selectorIiNS0_10empty_typeEEEZZNS1_29radix_sort_onesweep_iterationIS3_Lb0EN6thrust23THRUST_200600_302600_NS6detail15normal_iteratorINS9_10device_ptrIiEEEESE_PS5_SF_jNS0_19identity_decomposerENS1_16block_id_wrapperIjLb1EEEEE10hipError_tT1_PNSt15iterator_traitsISK_E10value_typeET2_T3_PNSL_ISQ_E10value_typeET4_T5_PSV_SW_PNS1_23onesweep_lookback_stateEbbT6_jjT7_P12ihipStream_tbENKUlT_T0_SK_SP_E_clIPiSE_SF_SF_EEDaS13_S14_SK_SP_EUlS13_E_NS1_11comp_targetILNS1_3genE8ELNS1_11target_archE1030ELNS1_3gpuE2ELNS1_3repE0EEENS1_47radix_sort_onesweep_sort_config_static_selectorELNS0_4arch9wavefront6targetE1EEEvSK_,comdat
	.protected	_ZN7rocprim17ROCPRIM_400000_NS6detail17trampoline_kernelINS0_14default_configENS1_35radix_sort_onesweep_config_selectorIiNS0_10empty_typeEEEZZNS1_29radix_sort_onesweep_iterationIS3_Lb0EN6thrust23THRUST_200600_302600_NS6detail15normal_iteratorINS9_10device_ptrIiEEEESE_PS5_SF_jNS0_19identity_decomposerENS1_16block_id_wrapperIjLb1EEEEE10hipError_tT1_PNSt15iterator_traitsISK_E10value_typeET2_T3_PNSL_ISQ_E10value_typeET4_T5_PSV_SW_PNS1_23onesweep_lookback_stateEbbT6_jjT7_P12ihipStream_tbENKUlT_T0_SK_SP_E_clIPiSE_SF_SF_EEDaS13_S14_SK_SP_EUlS13_E_NS1_11comp_targetILNS1_3genE8ELNS1_11target_archE1030ELNS1_3gpuE2ELNS1_3repE0EEENS1_47radix_sort_onesweep_sort_config_static_selectorELNS0_4arch9wavefront6targetE1EEEvSK_ ; -- Begin function _ZN7rocprim17ROCPRIM_400000_NS6detail17trampoline_kernelINS0_14default_configENS1_35radix_sort_onesweep_config_selectorIiNS0_10empty_typeEEEZZNS1_29radix_sort_onesweep_iterationIS3_Lb0EN6thrust23THRUST_200600_302600_NS6detail15normal_iteratorINS9_10device_ptrIiEEEESE_PS5_SF_jNS0_19identity_decomposerENS1_16block_id_wrapperIjLb1EEEEE10hipError_tT1_PNSt15iterator_traitsISK_E10value_typeET2_T3_PNSL_ISQ_E10value_typeET4_T5_PSV_SW_PNS1_23onesweep_lookback_stateEbbT6_jjT7_P12ihipStream_tbENKUlT_T0_SK_SP_E_clIPiSE_SF_SF_EEDaS13_S14_SK_SP_EUlS13_E_NS1_11comp_targetILNS1_3genE8ELNS1_11target_archE1030ELNS1_3gpuE2ELNS1_3repE0EEENS1_47radix_sort_onesweep_sort_config_static_selectorELNS0_4arch9wavefront6targetE1EEEvSK_
	.globl	_ZN7rocprim17ROCPRIM_400000_NS6detail17trampoline_kernelINS0_14default_configENS1_35radix_sort_onesweep_config_selectorIiNS0_10empty_typeEEEZZNS1_29radix_sort_onesweep_iterationIS3_Lb0EN6thrust23THRUST_200600_302600_NS6detail15normal_iteratorINS9_10device_ptrIiEEEESE_PS5_SF_jNS0_19identity_decomposerENS1_16block_id_wrapperIjLb1EEEEE10hipError_tT1_PNSt15iterator_traitsISK_E10value_typeET2_T3_PNSL_ISQ_E10value_typeET4_T5_PSV_SW_PNS1_23onesweep_lookback_stateEbbT6_jjT7_P12ihipStream_tbENKUlT_T0_SK_SP_E_clIPiSE_SF_SF_EEDaS13_S14_SK_SP_EUlS13_E_NS1_11comp_targetILNS1_3genE8ELNS1_11target_archE1030ELNS1_3gpuE2ELNS1_3repE0EEENS1_47radix_sort_onesweep_sort_config_static_selectorELNS0_4arch9wavefront6targetE1EEEvSK_
	.p2align	8
	.type	_ZN7rocprim17ROCPRIM_400000_NS6detail17trampoline_kernelINS0_14default_configENS1_35radix_sort_onesweep_config_selectorIiNS0_10empty_typeEEEZZNS1_29radix_sort_onesweep_iterationIS3_Lb0EN6thrust23THRUST_200600_302600_NS6detail15normal_iteratorINS9_10device_ptrIiEEEESE_PS5_SF_jNS0_19identity_decomposerENS1_16block_id_wrapperIjLb1EEEEE10hipError_tT1_PNSt15iterator_traitsISK_E10value_typeET2_T3_PNSL_ISQ_E10value_typeET4_T5_PSV_SW_PNS1_23onesweep_lookback_stateEbbT6_jjT7_P12ihipStream_tbENKUlT_T0_SK_SP_E_clIPiSE_SF_SF_EEDaS13_S14_SK_SP_EUlS13_E_NS1_11comp_targetILNS1_3genE8ELNS1_11target_archE1030ELNS1_3gpuE2ELNS1_3repE0EEENS1_47radix_sort_onesweep_sort_config_static_selectorELNS0_4arch9wavefront6targetE1EEEvSK_,@function
_ZN7rocprim17ROCPRIM_400000_NS6detail17trampoline_kernelINS0_14default_configENS1_35radix_sort_onesweep_config_selectorIiNS0_10empty_typeEEEZZNS1_29radix_sort_onesweep_iterationIS3_Lb0EN6thrust23THRUST_200600_302600_NS6detail15normal_iteratorINS9_10device_ptrIiEEEESE_PS5_SF_jNS0_19identity_decomposerENS1_16block_id_wrapperIjLb1EEEEE10hipError_tT1_PNSt15iterator_traitsISK_E10value_typeET2_T3_PNSL_ISQ_E10value_typeET4_T5_PSV_SW_PNS1_23onesweep_lookback_stateEbbT6_jjT7_P12ihipStream_tbENKUlT_T0_SK_SP_E_clIPiSE_SF_SF_EEDaS13_S14_SK_SP_EUlS13_E_NS1_11comp_targetILNS1_3genE8ELNS1_11target_archE1030ELNS1_3gpuE2ELNS1_3repE0EEENS1_47radix_sort_onesweep_sort_config_static_selectorELNS0_4arch9wavefront6targetE1EEEvSK_: ; @_ZN7rocprim17ROCPRIM_400000_NS6detail17trampoline_kernelINS0_14default_configENS1_35radix_sort_onesweep_config_selectorIiNS0_10empty_typeEEEZZNS1_29radix_sort_onesweep_iterationIS3_Lb0EN6thrust23THRUST_200600_302600_NS6detail15normal_iteratorINS9_10device_ptrIiEEEESE_PS5_SF_jNS0_19identity_decomposerENS1_16block_id_wrapperIjLb1EEEEE10hipError_tT1_PNSt15iterator_traitsISK_E10value_typeET2_T3_PNSL_ISQ_E10value_typeET4_T5_PSV_SW_PNS1_23onesweep_lookback_stateEbbT6_jjT7_P12ihipStream_tbENKUlT_T0_SK_SP_E_clIPiSE_SF_SF_EEDaS13_S14_SK_SP_EUlS13_E_NS1_11comp_targetILNS1_3genE8ELNS1_11target_archE1030ELNS1_3gpuE2ELNS1_3repE0EEENS1_47radix_sort_onesweep_sort_config_static_selectorELNS0_4arch9wavefront6targetE1EEEvSK_
; %bb.0:
	.section	.rodata,"a",@progbits
	.p2align	6, 0x0
	.amdhsa_kernel _ZN7rocprim17ROCPRIM_400000_NS6detail17trampoline_kernelINS0_14default_configENS1_35radix_sort_onesweep_config_selectorIiNS0_10empty_typeEEEZZNS1_29radix_sort_onesweep_iterationIS3_Lb0EN6thrust23THRUST_200600_302600_NS6detail15normal_iteratorINS9_10device_ptrIiEEEESE_PS5_SF_jNS0_19identity_decomposerENS1_16block_id_wrapperIjLb1EEEEE10hipError_tT1_PNSt15iterator_traitsISK_E10value_typeET2_T3_PNSL_ISQ_E10value_typeET4_T5_PSV_SW_PNS1_23onesweep_lookback_stateEbbT6_jjT7_P12ihipStream_tbENKUlT_T0_SK_SP_E_clIPiSE_SF_SF_EEDaS13_S14_SK_SP_EUlS13_E_NS1_11comp_targetILNS1_3genE8ELNS1_11target_archE1030ELNS1_3gpuE2ELNS1_3repE0EEENS1_47radix_sort_onesweep_sort_config_static_selectorELNS0_4arch9wavefront6targetE1EEEvSK_
		.amdhsa_group_segment_fixed_size 0
		.amdhsa_private_segment_fixed_size 0
		.amdhsa_kernarg_size 88
		.amdhsa_user_sgpr_count 2
		.amdhsa_user_sgpr_dispatch_ptr 0
		.amdhsa_user_sgpr_queue_ptr 0
		.amdhsa_user_sgpr_kernarg_segment_ptr 1
		.amdhsa_user_sgpr_dispatch_id 0
		.amdhsa_user_sgpr_kernarg_preload_length 0
		.amdhsa_user_sgpr_kernarg_preload_offset 0
		.amdhsa_user_sgpr_private_segment_size 0
		.amdhsa_uses_dynamic_stack 0
		.amdhsa_enable_private_segment 0
		.amdhsa_system_sgpr_workgroup_id_x 1
		.amdhsa_system_sgpr_workgroup_id_y 0
		.amdhsa_system_sgpr_workgroup_id_z 0
		.amdhsa_system_sgpr_workgroup_info 0
		.amdhsa_system_vgpr_workitem_id 0
		.amdhsa_next_free_vgpr 1
		.amdhsa_next_free_sgpr 0
		.amdhsa_accum_offset 4
		.amdhsa_reserve_vcc 0
		.amdhsa_float_round_mode_32 0
		.amdhsa_float_round_mode_16_64 0
		.amdhsa_float_denorm_mode_32 3
		.amdhsa_float_denorm_mode_16_64 3
		.amdhsa_dx10_clamp 1
		.amdhsa_ieee_mode 1
		.amdhsa_fp16_overflow 0
		.amdhsa_tg_split 0
		.amdhsa_exception_fp_ieee_invalid_op 0
		.amdhsa_exception_fp_denorm_src 0
		.amdhsa_exception_fp_ieee_div_zero 0
		.amdhsa_exception_fp_ieee_overflow 0
		.amdhsa_exception_fp_ieee_underflow 0
		.amdhsa_exception_fp_ieee_inexact 0
		.amdhsa_exception_int_div_zero 0
	.end_amdhsa_kernel
	.section	.text._ZN7rocprim17ROCPRIM_400000_NS6detail17trampoline_kernelINS0_14default_configENS1_35radix_sort_onesweep_config_selectorIiNS0_10empty_typeEEEZZNS1_29radix_sort_onesweep_iterationIS3_Lb0EN6thrust23THRUST_200600_302600_NS6detail15normal_iteratorINS9_10device_ptrIiEEEESE_PS5_SF_jNS0_19identity_decomposerENS1_16block_id_wrapperIjLb1EEEEE10hipError_tT1_PNSt15iterator_traitsISK_E10value_typeET2_T3_PNSL_ISQ_E10value_typeET4_T5_PSV_SW_PNS1_23onesweep_lookback_stateEbbT6_jjT7_P12ihipStream_tbENKUlT_T0_SK_SP_E_clIPiSE_SF_SF_EEDaS13_S14_SK_SP_EUlS13_E_NS1_11comp_targetILNS1_3genE8ELNS1_11target_archE1030ELNS1_3gpuE2ELNS1_3repE0EEENS1_47radix_sort_onesweep_sort_config_static_selectorELNS0_4arch9wavefront6targetE1EEEvSK_,"axG",@progbits,_ZN7rocprim17ROCPRIM_400000_NS6detail17trampoline_kernelINS0_14default_configENS1_35radix_sort_onesweep_config_selectorIiNS0_10empty_typeEEEZZNS1_29radix_sort_onesweep_iterationIS3_Lb0EN6thrust23THRUST_200600_302600_NS6detail15normal_iteratorINS9_10device_ptrIiEEEESE_PS5_SF_jNS0_19identity_decomposerENS1_16block_id_wrapperIjLb1EEEEE10hipError_tT1_PNSt15iterator_traitsISK_E10value_typeET2_T3_PNSL_ISQ_E10value_typeET4_T5_PSV_SW_PNS1_23onesweep_lookback_stateEbbT6_jjT7_P12ihipStream_tbENKUlT_T0_SK_SP_E_clIPiSE_SF_SF_EEDaS13_S14_SK_SP_EUlS13_E_NS1_11comp_targetILNS1_3genE8ELNS1_11target_archE1030ELNS1_3gpuE2ELNS1_3repE0EEENS1_47radix_sort_onesweep_sort_config_static_selectorELNS0_4arch9wavefront6targetE1EEEvSK_,comdat
.Lfunc_end1772:
	.size	_ZN7rocprim17ROCPRIM_400000_NS6detail17trampoline_kernelINS0_14default_configENS1_35radix_sort_onesweep_config_selectorIiNS0_10empty_typeEEEZZNS1_29radix_sort_onesweep_iterationIS3_Lb0EN6thrust23THRUST_200600_302600_NS6detail15normal_iteratorINS9_10device_ptrIiEEEESE_PS5_SF_jNS0_19identity_decomposerENS1_16block_id_wrapperIjLb1EEEEE10hipError_tT1_PNSt15iterator_traitsISK_E10value_typeET2_T3_PNSL_ISQ_E10value_typeET4_T5_PSV_SW_PNS1_23onesweep_lookback_stateEbbT6_jjT7_P12ihipStream_tbENKUlT_T0_SK_SP_E_clIPiSE_SF_SF_EEDaS13_S14_SK_SP_EUlS13_E_NS1_11comp_targetILNS1_3genE8ELNS1_11target_archE1030ELNS1_3gpuE2ELNS1_3repE0EEENS1_47radix_sort_onesweep_sort_config_static_selectorELNS0_4arch9wavefront6targetE1EEEvSK_, .Lfunc_end1772-_ZN7rocprim17ROCPRIM_400000_NS6detail17trampoline_kernelINS0_14default_configENS1_35radix_sort_onesweep_config_selectorIiNS0_10empty_typeEEEZZNS1_29radix_sort_onesweep_iterationIS3_Lb0EN6thrust23THRUST_200600_302600_NS6detail15normal_iteratorINS9_10device_ptrIiEEEESE_PS5_SF_jNS0_19identity_decomposerENS1_16block_id_wrapperIjLb1EEEEE10hipError_tT1_PNSt15iterator_traitsISK_E10value_typeET2_T3_PNSL_ISQ_E10value_typeET4_T5_PSV_SW_PNS1_23onesweep_lookback_stateEbbT6_jjT7_P12ihipStream_tbENKUlT_T0_SK_SP_E_clIPiSE_SF_SF_EEDaS13_S14_SK_SP_EUlS13_E_NS1_11comp_targetILNS1_3genE8ELNS1_11target_archE1030ELNS1_3gpuE2ELNS1_3repE0EEENS1_47radix_sort_onesweep_sort_config_static_selectorELNS0_4arch9wavefront6targetE1EEEvSK_
                                        ; -- End function
	.section	.AMDGPU.csdata,"",@progbits
; Kernel info:
; codeLenInByte = 0
; NumSgprs: 6
; NumVgprs: 0
; NumAgprs: 0
; TotalNumVgprs: 0
; ScratchSize: 0
; MemoryBound: 0
; FloatMode: 240
; IeeeMode: 1
; LDSByteSize: 0 bytes/workgroup (compile time only)
; SGPRBlocks: 0
; VGPRBlocks: 0
; NumSGPRsForWavesPerEU: 6
; NumVGPRsForWavesPerEU: 1
; AccumOffset: 4
; Occupancy: 8
; WaveLimiterHint : 0
; COMPUTE_PGM_RSRC2:SCRATCH_EN: 0
; COMPUTE_PGM_RSRC2:USER_SGPR: 2
; COMPUTE_PGM_RSRC2:TRAP_HANDLER: 0
; COMPUTE_PGM_RSRC2:TGID_X_EN: 1
; COMPUTE_PGM_RSRC2:TGID_Y_EN: 0
; COMPUTE_PGM_RSRC2:TGID_Z_EN: 0
; COMPUTE_PGM_RSRC2:TIDIG_COMP_CNT: 0
; COMPUTE_PGM_RSRC3_GFX90A:ACCUM_OFFSET: 0
; COMPUTE_PGM_RSRC3_GFX90A:TG_SPLIT: 0
	.section	.text._ZN7rocprim17ROCPRIM_400000_NS6detail17trampoline_kernelINS0_14default_configENS1_35radix_sort_onesweep_config_selectorIiNS0_10empty_typeEEEZZNS1_29radix_sort_onesweep_iterationIS3_Lb0EN6thrust23THRUST_200600_302600_NS6detail15normal_iteratorINS9_10device_ptrIiEEEESE_PS5_SF_jNS0_19identity_decomposerENS1_16block_id_wrapperIjLb0EEEEE10hipError_tT1_PNSt15iterator_traitsISK_E10value_typeET2_T3_PNSL_ISQ_E10value_typeET4_T5_PSV_SW_PNS1_23onesweep_lookback_stateEbbT6_jjT7_P12ihipStream_tbENKUlT_T0_SK_SP_E_clISE_SE_SF_SF_EEDaS13_S14_SK_SP_EUlS13_E_NS1_11comp_targetILNS1_3genE0ELNS1_11target_archE4294967295ELNS1_3gpuE0ELNS1_3repE0EEENS1_47radix_sort_onesweep_sort_config_static_selectorELNS0_4arch9wavefront6targetE1EEEvSK_,"axG",@progbits,_ZN7rocprim17ROCPRIM_400000_NS6detail17trampoline_kernelINS0_14default_configENS1_35radix_sort_onesweep_config_selectorIiNS0_10empty_typeEEEZZNS1_29radix_sort_onesweep_iterationIS3_Lb0EN6thrust23THRUST_200600_302600_NS6detail15normal_iteratorINS9_10device_ptrIiEEEESE_PS5_SF_jNS0_19identity_decomposerENS1_16block_id_wrapperIjLb0EEEEE10hipError_tT1_PNSt15iterator_traitsISK_E10value_typeET2_T3_PNSL_ISQ_E10value_typeET4_T5_PSV_SW_PNS1_23onesweep_lookback_stateEbbT6_jjT7_P12ihipStream_tbENKUlT_T0_SK_SP_E_clISE_SE_SF_SF_EEDaS13_S14_SK_SP_EUlS13_E_NS1_11comp_targetILNS1_3genE0ELNS1_11target_archE4294967295ELNS1_3gpuE0ELNS1_3repE0EEENS1_47radix_sort_onesweep_sort_config_static_selectorELNS0_4arch9wavefront6targetE1EEEvSK_,comdat
	.protected	_ZN7rocprim17ROCPRIM_400000_NS6detail17trampoline_kernelINS0_14default_configENS1_35radix_sort_onesweep_config_selectorIiNS0_10empty_typeEEEZZNS1_29radix_sort_onesweep_iterationIS3_Lb0EN6thrust23THRUST_200600_302600_NS6detail15normal_iteratorINS9_10device_ptrIiEEEESE_PS5_SF_jNS0_19identity_decomposerENS1_16block_id_wrapperIjLb0EEEEE10hipError_tT1_PNSt15iterator_traitsISK_E10value_typeET2_T3_PNSL_ISQ_E10value_typeET4_T5_PSV_SW_PNS1_23onesweep_lookback_stateEbbT6_jjT7_P12ihipStream_tbENKUlT_T0_SK_SP_E_clISE_SE_SF_SF_EEDaS13_S14_SK_SP_EUlS13_E_NS1_11comp_targetILNS1_3genE0ELNS1_11target_archE4294967295ELNS1_3gpuE0ELNS1_3repE0EEENS1_47radix_sort_onesweep_sort_config_static_selectorELNS0_4arch9wavefront6targetE1EEEvSK_ ; -- Begin function _ZN7rocprim17ROCPRIM_400000_NS6detail17trampoline_kernelINS0_14default_configENS1_35radix_sort_onesweep_config_selectorIiNS0_10empty_typeEEEZZNS1_29radix_sort_onesweep_iterationIS3_Lb0EN6thrust23THRUST_200600_302600_NS6detail15normal_iteratorINS9_10device_ptrIiEEEESE_PS5_SF_jNS0_19identity_decomposerENS1_16block_id_wrapperIjLb0EEEEE10hipError_tT1_PNSt15iterator_traitsISK_E10value_typeET2_T3_PNSL_ISQ_E10value_typeET4_T5_PSV_SW_PNS1_23onesweep_lookback_stateEbbT6_jjT7_P12ihipStream_tbENKUlT_T0_SK_SP_E_clISE_SE_SF_SF_EEDaS13_S14_SK_SP_EUlS13_E_NS1_11comp_targetILNS1_3genE0ELNS1_11target_archE4294967295ELNS1_3gpuE0ELNS1_3repE0EEENS1_47radix_sort_onesweep_sort_config_static_selectorELNS0_4arch9wavefront6targetE1EEEvSK_
	.globl	_ZN7rocprim17ROCPRIM_400000_NS6detail17trampoline_kernelINS0_14default_configENS1_35radix_sort_onesweep_config_selectorIiNS0_10empty_typeEEEZZNS1_29radix_sort_onesweep_iterationIS3_Lb0EN6thrust23THRUST_200600_302600_NS6detail15normal_iteratorINS9_10device_ptrIiEEEESE_PS5_SF_jNS0_19identity_decomposerENS1_16block_id_wrapperIjLb0EEEEE10hipError_tT1_PNSt15iterator_traitsISK_E10value_typeET2_T3_PNSL_ISQ_E10value_typeET4_T5_PSV_SW_PNS1_23onesweep_lookback_stateEbbT6_jjT7_P12ihipStream_tbENKUlT_T0_SK_SP_E_clISE_SE_SF_SF_EEDaS13_S14_SK_SP_EUlS13_E_NS1_11comp_targetILNS1_3genE0ELNS1_11target_archE4294967295ELNS1_3gpuE0ELNS1_3repE0EEENS1_47radix_sort_onesweep_sort_config_static_selectorELNS0_4arch9wavefront6targetE1EEEvSK_
	.p2align	8
	.type	_ZN7rocprim17ROCPRIM_400000_NS6detail17trampoline_kernelINS0_14default_configENS1_35radix_sort_onesweep_config_selectorIiNS0_10empty_typeEEEZZNS1_29radix_sort_onesweep_iterationIS3_Lb0EN6thrust23THRUST_200600_302600_NS6detail15normal_iteratorINS9_10device_ptrIiEEEESE_PS5_SF_jNS0_19identity_decomposerENS1_16block_id_wrapperIjLb0EEEEE10hipError_tT1_PNSt15iterator_traitsISK_E10value_typeET2_T3_PNSL_ISQ_E10value_typeET4_T5_PSV_SW_PNS1_23onesweep_lookback_stateEbbT6_jjT7_P12ihipStream_tbENKUlT_T0_SK_SP_E_clISE_SE_SF_SF_EEDaS13_S14_SK_SP_EUlS13_E_NS1_11comp_targetILNS1_3genE0ELNS1_11target_archE4294967295ELNS1_3gpuE0ELNS1_3repE0EEENS1_47radix_sort_onesweep_sort_config_static_selectorELNS0_4arch9wavefront6targetE1EEEvSK_,@function
_ZN7rocprim17ROCPRIM_400000_NS6detail17trampoline_kernelINS0_14default_configENS1_35radix_sort_onesweep_config_selectorIiNS0_10empty_typeEEEZZNS1_29radix_sort_onesweep_iterationIS3_Lb0EN6thrust23THRUST_200600_302600_NS6detail15normal_iteratorINS9_10device_ptrIiEEEESE_PS5_SF_jNS0_19identity_decomposerENS1_16block_id_wrapperIjLb0EEEEE10hipError_tT1_PNSt15iterator_traitsISK_E10value_typeET2_T3_PNSL_ISQ_E10value_typeET4_T5_PSV_SW_PNS1_23onesweep_lookback_stateEbbT6_jjT7_P12ihipStream_tbENKUlT_T0_SK_SP_E_clISE_SE_SF_SF_EEDaS13_S14_SK_SP_EUlS13_E_NS1_11comp_targetILNS1_3genE0ELNS1_11target_archE4294967295ELNS1_3gpuE0ELNS1_3repE0EEENS1_47radix_sort_onesweep_sort_config_static_selectorELNS0_4arch9wavefront6targetE1EEEvSK_: ; @_ZN7rocprim17ROCPRIM_400000_NS6detail17trampoline_kernelINS0_14default_configENS1_35radix_sort_onesweep_config_selectorIiNS0_10empty_typeEEEZZNS1_29radix_sort_onesweep_iterationIS3_Lb0EN6thrust23THRUST_200600_302600_NS6detail15normal_iteratorINS9_10device_ptrIiEEEESE_PS5_SF_jNS0_19identity_decomposerENS1_16block_id_wrapperIjLb0EEEEE10hipError_tT1_PNSt15iterator_traitsISK_E10value_typeET2_T3_PNSL_ISQ_E10value_typeET4_T5_PSV_SW_PNS1_23onesweep_lookback_stateEbbT6_jjT7_P12ihipStream_tbENKUlT_T0_SK_SP_E_clISE_SE_SF_SF_EEDaS13_S14_SK_SP_EUlS13_E_NS1_11comp_targetILNS1_3genE0ELNS1_11target_archE4294967295ELNS1_3gpuE0ELNS1_3repE0EEENS1_47radix_sort_onesweep_sort_config_static_selectorELNS0_4arch9wavefront6targetE1EEEvSK_
; %bb.0:
	.section	.rodata,"a",@progbits
	.p2align	6, 0x0
	.amdhsa_kernel _ZN7rocprim17ROCPRIM_400000_NS6detail17trampoline_kernelINS0_14default_configENS1_35radix_sort_onesweep_config_selectorIiNS0_10empty_typeEEEZZNS1_29radix_sort_onesweep_iterationIS3_Lb0EN6thrust23THRUST_200600_302600_NS6detail15normal_iteratorINS9_10device_ptrIiEEEESE_PS5_SF_jNS0_19identity_decomposerENS1_16block_id_wrapperIjLb0EEEEE10hipError_tT1_PNSt15iterator_traitsISK_E10value_typeET2_T3_PNSL_ISQ_E10value_typeET4_T5_PSV_SW_PNS1_23onesweep_lookback_stateEbbT6_jjT7_P12ihipStream_tbENKUlT_T0_SK_SP_E_clISE_SE_SF_SF_EEDaS13_S14_SK_SP_EUlS13_E_NS1_11comp_targetILNS1_3genE0ELNS1_11target_archE4294967295ELNS1_3gpuE0ELNS1_3repE0EEENS1_47radix_sort_onesweep_sort_config_static_selectorELNS0_4arch9wavefront6targetE1EEEvSK_
		.amdhsa_group_segment_fixed_size 0
		.amdhsa_private_segment_fixed_size 0
		.amdhsa_kernarg_size 88
		.amdhsa_user_sgpr_count 2
		.amdhsa_user_sgpr_dispatch_ptr 0
		.amdhsa_user_sgpr_queue_ptr 0
		.amdhsa_user_sgpr_kernarg_segment_ptr 1
		.amdhsa_user_sgpr_dispatch_id 0
		.amdhsa_user_sgpr_kernarg_preload_length 0
		.amdhsa_user_sgpr_kernarg_preload_offset 0
		.amdhsa_user_sgpr_private_segment_size 0
		.amdhsa_uses_dynamic_stack 0
		.amdhsa_enable_private_segment 0
		.amdhsa_system_sgpr_workgroup_id_x 1
		.amdhsa_system_sgpr_workgroup_id_y 0
		.amdhsa_system_sgpr_workgroup_id_z 0
		.amdhsa_system_sgpr_workgroup_info 0
		.amdhsa_system_vgpr_workitem_id 0
		.amdhsa_next_free_vgpr 1
		.amdhsa_next_free_sgpr 0
		.amdhsa_accum_offset 4
		.amdhsa_reserve_vcc 0
		.amdhsa_float_round_mode_32 0
		.amdhsa_float_round_mode_16_64 0
		.amdhsa_float_denorm_mode_32 3
		.amdhsa_float_denorm_mode_16_64 3
		.amdhsa_dx10_clamp 1
		.amdhsa_ieee_mode 1
		.amdhsa_fp16_overflow 0
		.amdhsa_tg_split 0
		.amdhsa_exception_fp_ieee_invalid_op 0
		.amdhsa_exception_fp_denorm_src 0
		.amdhsa_exception_fp_ieee_div_zero 0
		.amdhsa_exception_fp_ieee_overflow 0
		.amdhsa_exception_fp_ieee_underflow 0
		.amdhsa_exception_fp_ieee_inexact 0
		.amdhsa_exception_int_div_zero 0
	.end_amdhsa_kernel
	.section	.text._ZN7rocprim17ROCPRIM_400000_NS6detail17trampoline_kernelINS0_14default_configENS1_35radix_sort_onesweep_config_selectorIiNS0_10empty_typeEEEZZNS1_29radix_sort_onesweep_iterationIS3_Lb0EN6thrust23THRUST_200600_302600_NS6detail15normal_iteratorINS9_10device_ptrIiEEEESE_PS5_SF_jNS0_19identity_decomposerENS1_16block_id_wrapperIjLb0EEEEE10hipError_tT1_PNSt15iterator_traitsISK_E10value_typeET2_T3_PNSL_ISQ_E10value_typeET4_T5_PSV_SW_PNS1_23onesweep_lookback_stateEbbT6_jjT7_P12ihipStream_tbENKUlT_T0_SK_SP_E_clISE_SE_SF_SF_EEDaS13_S14_SK_SP_EUlS13_E_NS1_11comp_targetILNS1_3genE0ELNS1_11target_archE4294967295ELNS1_3gpuE0ELNS1_3repE0EEENS1_47radix_sort_onesweep_sort_config_static_selectorELNS0_4arch9wavefront6targetE1EEEvSK_,"axG",@progbits,_ZN7rocprim17ROCPRIM_400000_NS6detail17trampoline_kernelINS0_14default_configENS1_35radix_sort_onesweep_config_selectorIiNS0_10empty_typeEEEZZNS1_29radix_sort_onesweep_iterationIS3_Lb0EN6thrust23THRUST_200600_302600_NS6detail15normal_iteratorINS9_10device_ptrIiEEEESE_PS5_SF_jNS0_19identity_decomposerENS1_16block_id_wrapperIjLb0EEEEE10hipError_tT1_PNSt15iterator_traitsISK_E10value_typeET2_T3_PNSL_ISQ_E10value_typeET4_T5_PSV_SW_PNS1_23onesweep_lookback_stateEbbT6_jjT7_P12ihipStream_tbENKUlT_T0_SK_SP_E_clISE_SE_SF_SF_EEDaS13_S14_SK_SP_EUlS13_E_NS1_11comp_targetILNS1_3genE0ELNS1_11target_archE4294967295ELNS1_3gpuE0ELNS1_3repE0EEENS1_47radix_sort_onesweep_sort_config_static_selectorELNS0_4arch9wavefront6targetE1EEEvSK_,comdat
.Lfunc_end1773:
	.size	_ZN7rocprim17ROCPRIM_400000_NS6detail17trampoline_kernelINS0_14default_configENS1_35radix_sort_onesweep_config_selectorIiNS0_10empty_typeEEEZZNS1_29radix_sort_onesweep_iterationIS3_Lb0EN6thrust23THRUST_200600_302600_NS6detail15normal_iteratorINS9_10device_ptrIiEEEESE_PS5_SF_jNS0_19identity_decomposerENS1_16block_id_wrapperIjLb0EEEEE10hipError_tT1_PNSt15iterator_traitsISK_E10value_typeET2_T3_PNSL_ISQ_E10value_typeET4_T5_PSV_SW_PNS1_23onesweep_lookback_stateEbbT6_jjT7_P12ihipStream_tbENKUlT_T0_SK_SP_E_clISE_SE_SF_SF_EEDaS13_S14_SK_SP_EUlS13_E_NS1_11comp_targetILNS1_3genE0ELNS1_11target_archE4294967295ELNS1_3gpuE0ELNS1_3repE0EEENS1_47radix_sort_onesweep_sort_config_static_selectorELNS0_4arch9wavefront6targetE1EEEvSK_, .Lfunc_end1773-_ZN7rocprim17ROCPRIM_400000_NS6detail17trampoline_kernelINS0_14default_configENS1_35radix_sort_onesweep_config_selectorIiNS0_10empty_typeEEEZZNS1_29radix_sort_onesweep_iterationIS3_Lb0EN6thrust23THRUST_200600_302600_NS6detail15normal_iteratorINS9_10device_ptrIiEEEESE_PS5_SF_jNS0_19identity_decomposerENS1_16block_id_wrapperIjLb0EEEEE10hipError_tT1_PNSt15iterator_traitsISK_E10value_typeET2_T3_PNSL_ISQ_E10value_typeET4_T5_PSV_SW_PNS1_23onesweep_lookback_stateEbbT6_jjT7_P12ihipStream_tbENKUlT_T0_SK_SP_E_clISE_SE_SF_SF_EEDaS13_S14_SK_SP_EUlS13_E_NS1_11comp_targetILNS1_3genE0ELNS1_11target_archE4294967295ELNS1_3gpuE0ELNS1_3repE0EEENS1_47radix_sort_onesweep_sort_config_static_selectorELNS0_4arch9wavefront6targetE1EEEvSK_
                                        ; -- End function
	.section	.AMDGPU.csdata,"",@progbits
; Kernel info:
; codeLenInByte = 0
; NumSgprs: 6
; NumVgprs: 0
; NumAgprs: 0
; TotalNumVgprs: 0
; ScratchSize: 0
; MemoryBound: 0
; FloatMode: 240
; IeeeMode: 1
; LDSByteSize: 0 bytes/workgroup (compile time only)
; SGPRBlocks: 0
; VGPRBlocks: 0
; NumSGPRsForWavesPerEU: 6
; NumVGPRsForWavesPerEU: 1
; AccumOffset: 4
; Occupancy: 8
; WaveLimiterHint : 0
; COMPUTE_PGM_RSRC2:SCRATCH_EN: 0
; COMPUTE_PGM_RSRC2:USER_SGPR: 2
; COMPUTE_PGM_RSRC2:TRAP_HANDLER: 0
; COMPUTE_PGM_RSRC2:TGID_X_EN: 1
; COMPUTE_PGM_RSRC2:TGID_Y_EN: 0
; COMPUTE_PGM_RSRC2:TGID_Z_EN: 0
; COMPUTE_PGM_RSRC2:TIDIG_COMP_CNT: 0
; COMPUTE_PGM_RSRC3_GFX90A:ACCUM_OFFSET: 0
; COMPUTE_PGM_RSRC3_GFX90A:TG_SPLIT: 0
	.section	.text._ZN7rocprim17ROCPRIM_400000_NS6detail17trampoline_kernelINS0_14default_configENS1_35radix_sort_onesweep_config_selectorIiNS0_10empty_typeEEEZZNS1_29radix_sort_onesweep_iterationIS3_Lb0EN6thrust23THRUST_200600_302600_NS6detail15normal_iteratorINS9_10device_ptrIiEEEESE_PS5_SF_jNS0_19identity_decomposerENS1_16block_id_wrapperIjLb0EEEEE10hipError_tT1_PNSt15iterator_traitsISK_E10value_typeET2_T3_PNSL_ISQ_E10value_typeET4_T5_PSV_SW_PNS1_23onesweep_lookback_stateEbbT6_jjT7_P12ihipStream_tbENKUlT_T0_SK_SP_E_clISE_SE_SF_SF_EEDaS13_S14_SK_SP_EUlS13_E_NS1_11comp_targetILNS1_3genE6ELNS1_11target_archE950ELNS1_3gpuE13ELNS1_3repE0EEENS1_47radix_sort_onesweep_sort_config_static_selectorELNS0_4arch9wavefront6targetE1EEEvSK_,"axG",@progbits,_ZN7rocprim17ROCPRIM_400000_NS6detail17trampoline_kernelINS0_14default_configENS1_35radix_sort_onesweep_config_selectorIiNS0_10empty_typeEEEZZNS1_29radix_sort_onesweep_iterationIS3_Lb0EN6thrust23THRUST_200600_302600_NS6detail15normal_iteratorINS9_10device_ptrIiEEEESE_PS5_SF_jNS0_19identity_decomposerENS1_16block_id_wrapperIjLb0EEEEE10hipError_tT1_PNSt15iterator_traitsISK_E10value_typeET2_T3_PNSL_ISQ_E10value_typeET4_T5_PSV_SW_PNS1_23onesweep_lookback_stateEbbT6_jjT7_P12ihipStream_tbENKUlT_T0_SK_SP_E_clISE_SE_SF_SF_EEDaS13_S14_SK_SP_EUlS13_E_NS1_11comp_targetILNS1_3genE6ELNS1_11target_archE950ELNS1_3gpuE13ELNS1_3repE0EEENS1_47radix_sort_onesweep_sort_config_static_selectorELNS0_4arch9wavefront6targetE1EEEvSK_,comdat
	.protected	_ZN7rocprim17ROCPRIM_400000_NS6detail17trampoline_kernelINS0_14default_configENS1_35radix_sort_onesweep_config_selectorIiNS0_10empty_typeEEEZZNS1_29radix_sort_onesweep_iterationIS3_Lb0EN6thrust23THRUST_200600_302600_NS6detail15normal_iteratorINS9_10device_ptrIiEEEESE_PS5_SF_jNS0_19identity_decomposerENS1_16block_id_wrapperIjLb0EEEEE10hipError_tT1_PNSt15iterator_traitsISK_E10value_typeET2_T3_PNSL_ISQ_E10value_typeET4_T5_PSV_SW_PNS1_23onesweep_lookback_stateEbbT6_jjT7_P12ihipStream_tbENKUlT_T0_SK_SP_E_clISE_SE_SF_SF_EEDaS13_S14_SK_SP_EUlS13_E_NS1_11comp_targetILNS1_3genE6ELNS1_11target_archE950ELNS1_3gpuE13ELNS1_3repE0EEENS1_47radix_sort_onesweep_sort_config_static_selectorELNS0_4arch9wavefront6targetE1EEEvSK_ ; -- Begin function _ZN7rocprim17ROCPRIM_400000_NS6detail17trampoline_kernelINS0_14default_configENS1_35radix_sort_onesweep_config_selectorIiNS0_10empty_typeEEEZZNS1_29radix_sort_onesweep_iterationIS3_Lb0EN6thrust23THRUST_200600_302600_NS6detail15normal_iteratorINS9_10device_ptrIiEEEESE_PS5_SF_jNS0_19identity_decomposerENS1_16block_id_wrapperIjLb0EEEEE10hipError_tT1_PNSt15iterator_traitsISK_E10value_typeET2_T3_PNSL_ISQ_E10value_typeET4_T5_PSV_SW_PNS1_23onesweep_lookback_stateEbbT6_jjT7_P12ihipStream_tbENKUlT_T0_SK_SP_E_clISE_SE_SF_SF_EEDaS13_S14_SK_SP_EUlS13_E_NS1_11comp_targetILNS1_3genE6ELNS1_11target_archE950ELNS1_3gpuE13ELNS1_3repE0EEENS1_47radix_sort_onesweep_sort_config_static_selectorELNS0_4arch9wavefront6targetE1EEEvSK_
	.globl	_ZN7rocprim17ROCPRIM_400000_NS6detail17trampoline_kernelINS0_14default_configENS1_35radix_sort_onesweep_config_selectorIiNS0_10empty_typeEEEZZNS1_29radix_sort_onesweep_iterationIS3_Lb0EN6thrust23THRUST_200600_302600_NS6detail15normal_iteratorINS9_10device_ptrIiEEEESE_PS5_SF_jNS0_19identity_decomposerENS1_16block_id_wrapperIjLb0EEEEE10hipError_tT1_PNSt15iterator_traitsISK_E10value_typeET2_T3_PNSL_ISQ_E10value_typeET4_T5_PSV_SW_PNS1_23onesweep_lookback_stateEbbT6_jjT7_P12ihipStream_tbENKUlT_T0_SK_SP_E_clISE_SE_SF_SF_EEDaS13_S14_SK_SP_EUlS13_E_NS1_11comp_targetILNS1_3genE6ELNS1_11target_archE950ELNS1_3gpuE13ELNS1_3repE0EEENS1_47radix_sort_onesweep_sort_config_static_selectorELNS0_4arch9wavefront6targetE1EEEvSK_
	.p2align	8
	.type	_ZN7rocprim17ROCPRIM_400000_NS6detail17trampoline_kernelINS0_14default_configENS1_35radix_sort_onesweep_config_selectorIiNS0_10empty_typeEEEZZNS1_29radix_sort_onesweep_iterationIS3_Lb0EN6thrust23THRUST_200600_302600_NS6detail15normal_iteratorINS9_10device_ptrIiEEEESE_PS5_SF_jNS0_19identity_decomposerENS1_16block_id_wrapperIjLb0EEEEE10hipError_tT1_PNSt15iterator_traitsISK_E10value_typeET2_T3_PNSL_ISQ_E10value_typeET4_T5_PSV_SW_PNS1_23onesweep_lookback_stateEbbT6_jjT7_P12ihipStream_tbENKUlT_T0_SK_SP_E_clISE_SE_SF_SF_EEDaS13_S14_SK_SP_EUlS13_E_NS1_11comp_targetILNS1_3genE6ELNS1_11target_archE950ELNS1_3gpuE13ELNS1_3repE0EEENS1_47radix_sort_onesweep_sort_config_static_selectorELNS0_4arch9wavefront6targetE1EEEvSK_,@function
_ZN7rocprim17ROCPRIM_400000_NS6detail17trampoline_kernelINS0_14default_configENS1_35radix_sort_onesweep_config_selectorIiNS0_10empty_typeEEEZZNS1_29radix_sort_onesweep_iterationIS3_Lb0EN6thrust23THRUST_200600_302600_NS6detail15normal_iteratorINS9_10device_ptrIiEEEESE_PS5_SF_jNS0_19identity_decomposerENS1_16block_id_wrapperIjLb0EEEEE10hipError_tT1_PNSt15iterator_traitsISK_E10value_typeET2_T3_PNSL_ISQ_E10value_typeET4_T5_PSV_SW_PNS1_23onesweep_lookback_stateEbbT6_jjT7_P12ihipStream_tbENKUlT_T0_SK_SP_E_clISE_SE_SF_SF_EEDaS13_S14_SK_SP_EUlS13_E_NS1_11comp_targetILNS1_3genE6ELNS1_11target_archE950ELNS1_3gpuE13ELNS1_3repE0EEENS1_47radix_sort_onesweep_sort_config_static_selectorELNS0_4arch9wavefront6targetE1EEEvSK_: ; @_ZN7rocprim17ROCPRIM_400000_NS6detail17trampoline_kernelINS0_14default_configENS1_35radix_sort_onesweep_config_selectorIiNS0_10empty_typeEEEZZNS1_29radix_sort_onesweep_iterationIS3_Lb0EN6thrust23THRUST_200600_302600_NS6detail15normal_iteratorINS9_10device_ptrIiEEEESE_PS5_SF_jNS0_19identity_decomposerENS1_16block_id_wrapperIjLb0EEEEE10hipError_tT1_PNSt15iterator_traitsISK_E10value_typeET2_T3_PNSL_ISQ_E10value_typeET4_T5_PSV_SW_PNS1_23onesweep_lookback_stateEbbT6_jjT7_P12ihipStream_tbENKUlT_T0_SK_SP_E_clISE_SE_SF_SF_EEDaS13_S14_SK_SP_EUlS13_E_NS1_11comp_targetILNS1_3genE6ELNS1_11target_archE950ELNS1_3gpuE13ELNS1_3repE0EEENS1_47radix_sort_onesweep_sort_config_static_selectorELNS0_4arch9wavefront6targetE1EEEvSK_
; %bb.0:
	.section	.rodata,"a",@progbits
	.p2align	6, 0x0
	.amdhsa_kernel _ZN7rocprim17ROCPRIM_400000_NS6detail17trampoline_kernelINS0_14default_configENS1_35radix_sort_onesweep_config_selectorIiNS0_10empty_typeEEEZZNS1_29radix_sort_onesweep_iterationIS3_Lb0EN6thrust23THRUST_200600_302600_NS6detail15normal_iteratorINS9_10device_ptrIiEEEESE_PS5_SF_jNS0_19identity_decomposerENS1_16block_id_wrapperIjLb0EEEEE10hipError_tT1_PNSt15iterator_traitsISK_E10value_typeET2_T3_PNSL_ISQ_E10value_typeET4_T5_PSV_SW_PNS1_23onesweep_lookback_stateEbbT6_jjT7_P12ihipStream_tbENKUlT_T0_SK_SP_E_clISE_SE_SF_SF_EEDaS13_S14_SK_SP_EUlS13_E_NS1_11comp_targetILNS1_3genE6ELNS1_11target_archE950ELNS1_3gpuE13ELNS1_3repE0EEENS1_47radix_sort_onesweep_sort_config_static_selectorELNS0_4arch9wavefront6targetE1EEEvSK_
		.amdhsa_group_segment_fixed_size 0
		.amdhsa_private_segment_fixed_size 0
		.amdhsa_kernarg_size 88
		.amdhsa_user_sgpr_count 2
		.amdhsa_user_sgpr_dispatch_ptr 0
		.amdhsa_user_sgpr_queue_ptr 0
		.amdhsa_user_sgpr_kernarg_segment_ptr 1
		.amdhsa_user_sgpr_dispatch_id 0
		.amdhsa_user_sgpr_kernarg_preload_length 0
		.amdhsa_user_sgpr_kernarg_preload_offset 0
		.amdhsa_user_sgpr_private_segment_size 0
		.amdhsa_uses_dynamic_stack 0
		.amdhsa_enable_private_segment 0
		.amdhsa_system_sgpr_workgroup_id_x 1
		.amdhsa_system_sgpr_workgroup_id_y 0
		.amdhsa_system_sgpr_workgroup_id_z 0
		.amdhsa_system_sgpr_workgroup_info 0
		.amdhsa_system_vgpr_workitem_id 0
		.amdhsa_next_free_vgpr 1
		.amdhsa_next_free_sgpr 0
		.amdhsa_accum_offset 4
		.amdhsa_reserve_vcc 0
		.amdhsa_float_round_mode_32 0
		.amdhsa_float_round_mode_16_64 0
		.amdhsa_float_denorm_mode_32 3
		.amdhsa_float_denorm_mode_16_64 3
		.amdhsa_dx10_clamp 1
		.amdhsa_ieee_mode 1
		.amdhsa_fp16_overflow 0
		.amdhsa_tg_split 0
		.amdhsa_exception_fp_ieee_invalid_op 0
		.amdhsa_exception_fp_denorm_src 0
		.amdhsa_exception_fp_ieee_div_zero 0
		.amdhsa_exception_fp_ieee_overflow 0
		.amdhsa_exception_fp_ieee_underflow 0
		.amdhsa_exception_fp_ieee_inexact 0
		.amdhsa_exception_int_div_zero 0
	.end_amdhsa_kernel
	.section	.text._ZN7rocprim17ROCPRIM_400000_NS6detail17trampoline_kernelINS0_14default_configENS1_35radix_sort_onesweep_config_selectorIiNS0_10empty_typeEEEZZNS1_29radix_sort_onesweep_iterationIS3_Lb0EN6thrust23THRUST_200600_302600_NS6detail15normal_iteratorINS9_10device_ptrIiEEEESE_PS5_SF_jNS0_19identity_decomposerENS1_16block_id_wrapperIjLb0EEEEE10hipError_tT1_PNSt15iterator_traitsISK_E10value_typeET2_T3_PNSL_ISQ_E10value_typeET4_T5_PSV_SW_PNS1_23onesweep_lookback_stateEbbT6_jjT7_P12ihipStream_tbENKUlT_T0_SK_SP_E_clISE_SE_SF_SF_EEDaS13_S14_SK_SP_EUlS13_E_NS1_11comp_targetILNS1_3genE6ELNS1_11target_archE950ELNS1_3gpuE13ELNS1_3repE0EEENS1_47radix_sort_onesweep_sort_config_static_selectorELNS0_4arch9wavefront6targetE1EEEvSK_,"axG",@progbits,_ZN7rocprim17ROCPRIM_400000_NS6detail17trampoline_kernelINS0_14default_configENS1_35radix_sort_onesweep_config_selectorIiNS0_10empty_typeEEEZZNS1_29radix_sort_onesweep_iterationIS3_Lb0EN6thrust23THRUST_200600_302600_NS6detail15normal_iteratorINS9_10device_ptrIiEEEESE_PS5_SF_jNS0_19identity_decomposerENS1_16block_id_wrapperIjLb0EEEEE10hipError_tT1_PNSt15iterator_traitsISK_E10value_typeET2_T3_PNSL_ISQ_E10value_typeET4_T5_PSV_SW_PNS1_23onesweep_lookback_stateEbbT6_jjT7_P12ihipStream_tbENKUlT_T0_SK_SP_E_clISE_SE_SF_SF_EEDaS13_S14_SK_SP_EUlS13_E_NS1_11comp_targetILNS1_3genE6ELNS1_11target_archE950ELNS1_3gpuE13ELNS1_3repE0EEENS1_47radix_sort_onesweep_sort_config_static_selectorELNS0_4arch9wavefront6targetE1EEEvSK_,comdat
.Lfunc_end1774:
	.size	_ZN7rocprim17ROCPRIM_400000_NS6detail17trampoline_kernelINS0_14default_configENS1_35radix_sort_onesweep_config_selectorIiNS0_10empty_typeEEEZZNS1_29radix_sort_onesweep_iterationIS3_Lb0EN6thrust23THRUST_200600_302600_NS6detail15normal_iteratorINS9_10device_ptrIiEEEESE_PS5_SF_jNS0_19identity_decomposerENS1_16block_id_wrapperIjLb0EEEEE10hipError_tT1_PNSt15iterator_traitsISK_E10value_typeET2_T3_PNSL_ISQ_E10value_typeET4_T5_PSV_SW_PNS1_23onesweep_lookback_stateEbbT6_jjT7_P12ihipStream_tbENKUlT_T0_SK_SP_E_clISE_SE_SF_SF_EEDaS13_S14_SK_SP_EUlS13_E_NS1_11comp_targetILNS1_3genE6ELNS1_11target_archE950ELNS1_3gpuE13ELNS1_3repE0EEENS1_47radix_sort_onesweep_sort_config_static_selectorELNS0_4arch9wavefront6targetE1EEEvSK_, .Lfunc_end1774-_ZN7rocprim17ROCPRIM_400000_NS6detail17trampoline_kernelINS0_14default_configENS1_35radix_sort_onesweep_config_selectorIiNS0_10empty_typeEEEZZNS1_29radix_sort_onesweep_iterationIS3_Lb0EN6thrust23THRUST_200600_302600_NS6detail15normal_iteratorINS9_10device_ptrIiEEEESE_PS5_SF_jNS0_19identity_decomposerENS1_16block_id_wrapperIjLb0EEEEE10hipError_tT1_PNSt15iterator_traitsISK_E10value_typeET2_T3_PNSL_ISQ_E10value_typeET4_T5_PSV_SW_PNS1_23onesweep_lookback_stateEbbT6_jjT7_P12ihipStream_tbENKUlT_T0_SK_SP_E_clISE_SE_SF_SF_EEDaS13_S14_SK_SP_EUlS13_E_NS1_11comp_targetILNS1_3genE6ELNS1_11target_archE950ELNS1_3gpuE13ELNS1_3repE0EEENS1_47radix_sort_onesweep_sort_config_static_selectorELNS0_4arch9wavefront6targetE1EEEvSK_
                                        ; -- End function
	.section	.AMDGPU.csdata,"",@progbits
; Kernel info:
; codeLenInByte = 0
; NumSgprs: 6
; NumVgprs: 0
; NumAgprs: 0
; TotalNumVgprs: 0
; ScratchSize: 0
; MemoryBound: 0
; FloatMode: 240
; IeeeMode: 1
; LDSByteSize: 0 bytes/workgroup (compile time only)
; SGPRBlocks: 0
; VGPRBlocks: 0
; NumSGPRsForWavesPerEU: 6
; NumVGPRsForWavesPerEU: 1
; AccumOffset: 4
; Occupancy: 8
; WaveLimiterHint : 0
; COMPUTE_PGM_RSRC2:SCRATCH_EN: 0
; COMPUTE_PGM_RSRC2:USER_SGPR: 2
; COMPUTE_PGM_RSRC2:TRAP_HANDLER: 0
; COMPUTE_PGM_RSRC2:TGID_X_EN: 1
; COMPUTE_PGM_RSRC2:TGID_Y_EN: 0
; COMPUTE_PGM_RSRC2:TGID_Z_EN: 0
; COMPUTE_PGM_RSRC2:TIDIG_COMP_CNT: 0
; COMPUTE_PGM_RSRC3_GFX90A:ACCUM_OFFSET: 0
; COMPUTE_PGM_RSRC3_GFX90A:TG_SPLIT: 0
	.section	.text._ZN7rocprim17ROCPRIM_400000_NS6detail17trampoline_kernelINS0_14default_configENS1_35radix_sort_onesweep_config_selectorIiNS0_10empty_typeEEEZZNS1_29radix_sort_onesweep_iterationIS3_Lb0EN6thrust23THRUST_200600_302600_NS6detail15normal_iteratorINS9_10device_ptrIiEEEESE_PS5_SF_jNS0_19identity_decomposerENS1_16block_id_wrapperIjLb0EEEEE10hipError_tT1_PNSt15iterator_traitsISK_E10value_typeET2_T3_PNSL_ISQ_E10value_typeET4_T5_PSV_SW_PNS1_23onesweep_lookback_stateEbbT6_jjT7_P12ihipStream_tbENKUlT_T0_SK_SP_E_clISE_SE_SF_SF_EEDaS13_S14_SK_SP_EUlS13_E_NS1_11comp_targetILNS1_3genE5ELNS1_11target_archE942ELNS1_3gpuE9ELNS1_3repE0EEENS1_47radix_sort_onesweep_sort_config_static_selectorELNS0_4arch9wavefront6targetE1EEEvSK_,"axG",@progbits,_ZN7rocprim17ROCPRIM_400000_NS6detail17trampoline_kernelINS0_14default_configENS1_35radix_sort_onesweep_config_selectorIiNS0_10empty_typeEEEZZNS1_29radix_sort_onesweep_iterationIS3_Lb0EN6thrust23THRUST_200600_302600_NS6detail15normal_iteratorINS9_10device_ptrIiEEEESE_PS5_SF_jNS0_19identity_decomposerENS1_16block_id_wrapperIjLb0EEEEE10hipError_tT1_PNSt15iterator_traitsISK_E10value_typeET2_T3_PNSL_ISQ_E10value_typeET4_T5_PSV_SW_PNS1_23onesweep_lookback_stateEbbT6_jjT7_P12ihipStream_tbENKUlT_T0_SK_SP_E_clISE_SE_SF_SF_EEDaS13_S14_SK_SP_EUlS13_E_NS1_11comp_targetILNS1_3genE5ELNS1_11target_archE942ELNS1_3gpuE9ELNS1_3repE0EEENS1_47radix_sort_onesweep_sort_config_static_selectorELNS0_4arch9wavefront6targetE1EEEvSK_,comdat
	.protected	_ZN7rocprim17ROCPRIM_400000_NS6detail17trampoline_kernelINS0_14default_configENS1_35radix_sort_onesweep_config_selectorIiNS0_10empty_typeEEEZZNS1_29radix_sort_onesweep_iterationIS3_Lb0EN6thrust23THRUST_200600_302600_NS6detail15normal_iteratorINS9_10device_ptrIiEEEESE_PS5_SF_jNS0_19identity_decomposerENS1_16block_id_wrapperIjLb0EEEEE10hipError_tT1_PNSt15iterator_traitsISK_E10value_typeET2_T3_PNSL_ISQ_E10value_typeET4_T5_PSV_SW_PNS1_23onesweep_lookback_stateEbbT6_jjT7_P12ihipStream_tbENKUlT_T0_SK_SP_E_clISE_SE_SF_SF_EEDaS13_S14_SK_SP_EUlS13_E_NS1_11comp_targetILNS1_3genE5ELNS1_11target_archE942ELNS1_3gpuE9ELNS1_3repE0EEENS1_47radix_sort_onesweep_sort_config_static_selectorELNS0_4arch9wavefront6targetE1EEEvSK_ ; -- Begin function _ZN7rocprim17ROCPRIM_400000_NS6detail17trampoline_kernelINS0_14default_configENS1_35radix_sort_onesweep_config_selectorIiNS0_10empty_typeEEEZZNS1_29radix_sort_onesweep_iterationIS3_Lb0EN6thrust23THRUST_200600_302600_NS6detail15normal_iteratorINS9_10device_ptrIiEEEESE_PS5_SF_jNS0_19identity_decomposerENS1_16block_id_wrapperIjLb0EEEEE10hipError_tT1_PNSt15iterator_traitsISK_E10value_typeET2_T3_PNSL_ISQ_E10value_typeET4_T5_PSV_SW_PNS1_23onesweep_lookback_stateEbbT6_jjT7_P12ihipStream_tbENKUlT_T0_SK_SP_E_clISE_SE_SF_SF_EEDaS13_S14_SK_SP_EUlS13_E_NS1_11comp_targetILNS1_3genE5ELNS1_11target_archE942ELNS1_3gpuE9ELNS1_3repE0EEENS1_47radix_sort_onesweep_sort_config_static_selectorELNS0_4arch9wavefront6targetE1EEEvSK_
	.globl	_ZN7rocprim17ROCPRIM_400000_NS6detail17trampoline_kernelINS0_14default_configENS1_35radix_sort_onesweep_config_selectorIiNS0_10empty_typeEEEZZNS1_29radix_sort_onesweep_iterationIS3_Lb0EN6thrust23THRUST_200600_302600_NS6detail15normal_iteratorINS9_10device_ptrIiEEEESE_PS5_SF_jNS0_19identity_decomposerENS1_16block_id_wrapperIjLb0EEEEE10hipError_tT1_PNSt15iterator_traitsISK_E10value_typeET2_T3_PNSL_ISQ_E10value_typeET4_T5_PSV_SW_PNS1_23onesweep_lookback_stateEbbT6_jjT7_P12ihipStream_tbENKUlT_T0_SK_SP_E_clISE_SE_SF_SF_EEDaS13_S14_SK_SP_EUlS13_E_NS1_11comp_targetILNS1_3genE5ELNS1_11target_archE942ELNS1_3gpuE9ELNS1_3repE0EEENS1_47radix_sort_onesweep_sort_config_static_selectorELNS0_4arch9wavefront6targetE1EEEvSK_
	.p2align	8
	.type	_ZN7rocprim17ROCPRIM_400000_NS6detail17trampoline_kernelINS0_14default_configENS1_35radix_sort_onesweep_config_selectorIiNS0_10empty_typeEEEZZNS1_29radix_sort_onesweep_iterationIS3_Lb0EN6thrust23THRUST_200600_302600_NS6detail15normal_iteratorINS9_10device_ptrIiEEEESE_PS5_SF_jNS0_19identity_decomposerENS1_16block_id_wrapperIjLb0EEEEE10hipError_tT1_PNSt15iterator_traitsISK_E10value_typeET2_T3_PNSL_ISQ_E10value_typeET4_T5_PSV_SW_PNS1_23onesweep_lookback_stateEbbT6_jjT7_P12ihipStream_tbENKUlT_T0_SK_SP_E_clISE_SE_SF_SF_EEDaS13_S14_SK_SP_EUlS13_E_NS1_11comp_targetILNS1_3genE5ELNS1_11target_archE942ELNS1_3gpuE9ELNS1_3repE0EEENS1_47radix_sort_onesweep_sort_config_static_selectorELNS0_4arch9wavefront6targetE1EEEvSK_,@function
_ZN7rocprim17ROCPRIM_400000_NS6detail17trampoline_kernelINS0_14default_configENS1_35radix_sort_onesweep_config_selectorIiNS0_10empty_typeEEEZZNS1_29radix_sort_onesweep_iterationIS3_Lb0EN6thrust23THRUST_200600_302600_NS6detail15normal_iteratorINS9_10device_ptrIiEEEESE_PS5_SF_jNS0_19identity_decomposerENS1_16block_id_wrapperIjLb0EEEEE10hipError_tT1_PNSt15iterator_traitsISK_E10value_typeET2_T3_PNSL_ISQ_E10value_typeET4_T5_PSV_SW_PNS1_23onesweep_lookback_stateEbbT6_jjT7_P12ihipStream_tbENKUlT_T0_SK_SP_E_clISE_SE_SF_SF_EEDaS13_S14_SK_SP_EUlS13_E_NS1_11comp_targetILNS1_3genE5ELNS1_11target_archE942ELNS1_3gpuE9ELNS1_3repE0EEENS1_47radix_sort_onesweep_sort_config_static_selectorELNS0_4arch9wavefront6targetE1EEEvSK_: ; @_ZN7rocprim17ROCPRIM_400000_NS6detail17trampoline_kernelINS0_14default_configENS1_35radix_sort_onesweep_config_selectorIiNS0_10empty_typeEEEZZNS1_29radix_sort_onesweep_iterationIS3_Lb0EN6thrust23THRUST_200600_302600_NS6detail15normal_iteratorINS9_10device_ptrIiEEEESE_PS5_SF_jNS0_19identity_decomposerENS1_16block_id_wrapperIjLb0EEEEE10hipError_tT1_PNSt15iterator_traitsISK_E10value_typeET2_T3_PNSL_ISQ_E10value_typeET4_T5_PSV_SW_PNS1_23onesweep_lookback_stateEbbT6_jjT7_P12ihipStream_tbENKUlT_T0_SK_SP_E_clISE_SE_SF_SF_EEDaS13_S14_SK_SP_EUlS13_E_NS1_11comp_targetILNS1_3genE5ELNS1_11target_archE942ELNS1_3gpuE9ELNS1_3repE0EEENS1_47radix_sort_onesweep_sort_config_static_selectorELNS0_4arch9wavefront6targetE1EEEvSK_
; %bb.0:
	s_load_dwordx2 s[28:29], s[0:1], 0x38
	s_load_dwordx4 s[20:23], s[0:1], 0x44
	s_load_dwordx4 s[24:27], s[0:1], 0x0
	;; [unrolled: 1-line block ×3, first 2 shown]
	v_mbcnt_lo_u32_b32 v1, -1, 0
	s_waitcnt lgkmcnt(0)
	s_cmp_ge_u32 s2, s22
	s_cbranch_scc0 .LBB1775_79
; %bb.1:
	s_load_dword s3, s[0:1], 0x20
	s_lshl_b32 s6, s22, 13
	s_lshl_b32 s4, s2, 13
	s_mov_b32 s5, 0
	v_and_b32_e32 v10, 0x3ff, v0
	s_waitcnt lgkmcnt(0)
	s_sub_i32 s3, s3, s6
	s_lshl_b64 s[4:5], s[4:5], 2
	v_mbcnt_hi_u32_b32 v16, -1, v1
	s_add_u32 s4, s24, s4
	v_and_b32_e32 v6, 63, v16
	v_lshlrev_b32_e32 v2, 3, v10
	s_addc_u32 s5, s25, s5
	v_and_b32_e32 v7, 0x1e00, v2
	v_lshlrev_b32_e32 v2, 2, v6
	v_mov_b32_e32 v3, 0
	v_lshl_add_u64 v[4:5], s[4:5], 0, v[2:3]
	s_brev_b32 s4, -2
	v_lshlrev_b32_e32 v2, 2, v7
	s_mov_b32 s5, s4
	v_lshl_add_u64 v[12:13], v[4:5], 0, v[2:3]
	v_or_b32_e32 v11, v6, v7
	s_mov_b32 s6, s4
	s_mov_b32 s7, s4
	;; [unrolled: 1-line block ×6, first 2 shown]
	v_mov_b64_e32 v[2:3], s[4:5]
	v_cmp_gt_u32_e32 vcc, s3, v11
	v_mov_b64_e32 v[4:5], s[6:7]
	v_mov_b64_e32 v[6:7], s[8:9]
	;; [unrolled: 1-line block ×3, first 2 shown]
	s_and_saveexec_b64 s[4:5], vcc
	s_cbranch_execz .LBB1775_3
; %bb.2:
	global_load_dword v2, v[12:13], off
	v_bfrev_b32_e32 v3, -2
	v_mov_b32_e32 v4, v3
	v_mov_b32_e32 v5, v3
	;; [unrolled: 1-line block ×6, first 2 shown]
.LBB1775_3:
	s_or_b64 exec, exec, s[4:5]
	v_or_b32_e32 v14, 64, v11
	v_cmp_gt_u32_e32 vcc, s3, v14
	s_and_saveexec_b64 s[4:5], vcc
	s_cbranch_execz .LBB1775_5
; %bb.4:
	global_load_dword v3, v[12:13], off offset:256
.LBB1775_5:
	s_or_b64 exec, exec, s[4:5]
	v_or_b32_e32 v14, 0x80, v11
	v_cmp_gt_u32_e32 vcc, s3, v14
	s_and_saveexec_b64 s[4:5], vcc
	s_cbranch_execz .LBB1775_7
; %bb.6:
	global_load_dword v4, v[12:13], off offset:512
.LBB1775_7:
	;; [unrolled: 8-line block ×7, first 2 shown]
	s_or_b64 exec, exec, s[4:5]
	s_load_dword s4, s[0:1], 0x64
	s_load_dword s22, s[0:1], 0x58
	s_add_u32 s5, s0, 0x58
	s_addc_u32 s6, s1, 0
	v_mov_b32_e32 v13, 0
	s_waitcnt lgkmcnt(0)
	s_lshr_b32 s7, s4, 16
	s_cmp_lt_u32 s2, s22
	s_cselect_b32 s4, 12, 18
	s_add_u32 s4, s5, s4
	s_addc_u32 s5, s6, 0
	global_load_ushort v17, v13, s[4:5]
	s_waitcnt vmcnt(1)
	v_xor_b32_e32 v11, 0x80000000, v2
	s_lshl_b32 s4, -1, s21
	v_lshrrev_b32_e32 v15, s20, v11
	s_not_b32 s23, s4
	v_bfe_u32 v2, v0, 10, 10
	v_bfe_u32 v12, v0, 20, 10
	v_and_b32_e32 v19, s23, v15
	v_mul_u32_u24_e32 v14, 5, v10
	v_mad_u32_u24 v2, v12, s7, v2
	v_and_b32_e32 v12, 1, v19
	v_lshlrev_b32_e32 v15, 30, v19
	v_lshlrev_b32_e32 v18, 2, v14
	v_mov_b32_e32 v14, v13
	v_mov_b32_e32 v22, v13
	v_lshlrev_b32_e32 v21, 29, v19
	v_lshlrev_b32_e32 v23, 28, v19
	v_lshl_add_u64 v[30:31], v[12:13], 0, -1
	v_cmp_ne_u32_e32 vcc, 0, v12
	v_not_b32_e32 v12, v15
	v_mov_b32_e32 v20, v13
	v_mov_b32_e32 v24, v13
	v_lshlrev_b32_e32 v25, 27, v19
	v_cmp_gt_i64_e64 s[4:5], 0, v[14:15]
	v_not_b32_e32 v14, v21
	v_cmp_gt_i64_e64 s[8:9], 0, v[22:23]
	v_not_b32_e32 v15, v23
	v_xor_b32_e32 v23, vcc_hi, v31
	v_ashrrev_i32_e32 v12, 31, v12
	v_mov_b32_e32 v26, v13
	v_lshlrev_b32_e32 v27, 26, v19
	v_cmp_gt_i64_e64 s[6:7], 0, v[20:21]
	v_cmp_gt_i64_e64 s[10:11], 0, v[24:25]
	v_not_b32_e32 v20, v25
	v_xor_b32_e32 v24, vcc_lo, v30
	v_ashrrev_i32_e32 v14, 31, v14
	v_and_b32_e32 v23, exec_hi, v23
	v_xor_b32_e32 v25, s5, v12
	v_cmp_gt_i64_e64 s[12:13], 0, v[26:27]
	v_ashrrev_i32_e32 v15, 31, v15
	v_and_b32_e32 v24, exec_lo, v24
	v_xor_b32_e32 v12, s4, v12
	v_xor_b32_e32 v26, s7, v14
	v_and_b32_e32 v23, v23, v25
	v_mov_b32_e32 v28, v13
	v_lshlrev_b32_e32 v29, 25, v19
	v_not_b32_e32 v21, v27
	v_ashrrev_i32_e32 v20, 31, v20
	v_xor_b32_e32 v14, s6, v14
	v_xor_b32_e32 v27, s9, v15
	v_and_b32_e32 v12, v24, v12
	v_and_b32_e32 v23, v23, v26
	v_cmp_gt_i64_e64 s[14:15], 0, v[28:29]
	v_not_b32_e32 v22, v29
	v_ashrrev_i32_e32 v21, 31, v21
	v_xor_b32_e32 v28, s11, v20
	v_and_b32_e32 v12, v12, v14
	v_and_b32_e32 v14, v23, v27
	v_ashrrev_i32_e32 v22, 31, v22
	v_xor_b32_e32 v15, s8, v15
	v_xor_b32_e32 v29, s13, v21
	v_and_b32_e32 v14, v14, v28
	v_xor_b32_e32 v20, s10, v20
	v_xor_b32_e32 v30, s15, v22
	v_and_b32_e32 v12, v12, v15
	v_and_b32_e32 v14, v14, v29
	;; [unrolled: 1-line block ×4, first 2 shown]
	v_xor_b32_e32 v21, s12, v21
	v_xor_b32_e32 v22, s14, v22
	v_and_b32_e32 v12, v12, v21
	v_and_b32_e32 v12, v12, v22
	v_lshl_add_u32 v32, v19, 4, v19
	ds_write2_b32 v18, v13, v13 offset0:16 offset1:17
	ds_write2_b32 v18, v13, v13 offset0:18 offset1:19
	ds_write_b32 v18, v13 offset:80
	s_waitcnt lgkmcnt(0)
	s_barrier
	s_waitcnt lgkmcnt(0)
	; wave barrier
	s_waitcnt vmcnt(0)
	v_mad_u64_u32 v[14:15], s[4:5], v2, v17, v[10:11]
	v_lshlrev_b32_e32 v15, 24, v19
	v_lshrrev_b32_e32 v30, 6, v14
	v_mov_b32_e32 v14, v13
	v_not_b32_e32 v2, v15
	v_cmp_gt_i64_e32 vcc, 0, v[14:15]
	v_ashrrev_i32_e32 v2, 31, v2
	v_add_lshl_u32 v22, v30, v32, 2
	v_xor_b32_e32 v14, vcc_hi, v2
	v_xor_b32_e32 v2, vcc_lo, v2
	v_and_b32_e32 v15, v20, v14
	v_and_b32_e32 v14, v12, v2
	v_mbcnt_lo_u32_b32 v2, v14, 0
	v_mbcnt_hi_u32_b32 v17, v15, v2
	v_cmp_eq_u32_e32 vcc, 0, v17
	v_cmp_ne_u64_e64 s[4:5], 0, v[14:15]
	s_and_b64 s[6:7], s[4:5], vcc
	s_and_saveexec_b64 s[4:5], s[6:7]
	s_cbranch_execz .LBB1775_19
; %bb.18:
	v_bcnt_u32_b32 v2, v14, 0
	v_bcnt_u32_b32 v2, v15, v2
	ds_write_b32 v22, v2 offset:64
.LBB1775_19:
	s_or_b64 exec, exec, s[4:5]
	v_xor_b32_e32 v14, 0x80000000, v3
	v_lshrrev_b32_e32 v2, s20, v14
	v_and_b32_e32 v15, s23, v2
	v_lshl_add_u32 v2, v15, 4, v15
	v_and_b32_e32 v12, 1, v15
	v_add_lshl_u32 v23, v30, v2, 2
	v_lshl_add_u64 v[2:3], v[12:13], 0, -1
	v_cmp_ne_u32_e32 vcc, 0, v12
	; wave barrier
	s_nop 1
	v_xor_b32_e32 v3, vcc_hi, v3
	v_xor_b32_e32 v2, vcc_lo, v2
	v_and_b32_e32 v12, exec_hi, v3
	v_and_b32_e32 v20, exec_lo, v2
	v_lshlrev_b32_e32 v3, 30, v15
	v_mov_b32_e32 v2, v13
	v_cmp_gt_i64_e32 vcc, 0, v[2:3]
	v_not_b32_e32 v2, v3
	v_ashrrev_i32_e32 v2, 31, v2
	v_xor_b32_e32 v3, vcc_hi, v2
	v_xor_b32_e32 v2, vcc_lo, v2
	v_and_b32_e32 v12, v12, v3
	v_and_b32_e32 v20, v20, v2
	v_lshlrev_b32_e32 v3, 29, v15
	v_mov_b32_e32 v2, v13
	v_cmp_gt_i64_e32 vcc, 0, v[2:3]
	v_not_b32_e32 v2, v3
	v_ashrrev_i32_e32 v2, 31, v2
	v_xor_b32_e32 v3, vcc_hi, v2
	v_xor_b32_e32 v2, vcc_lo, v2
	v_and_b32_e32 v12, v12, v3
	v_and_b32_e32 v20, v20, v2
	;; [unrolled: 9-line block ×6, first 2 shown]
	v_lshlrev_b32_e32 v3, 24, v15
	v_mov_b32_e32 v2, v13
	v_cmp_gt_i64_e32 vcc, 0, v[2:3]
	v_not_b32_e32 v2, v3
	v_ashrrev_i32_e32 v2, 31, v2
	v_xor_b32_e32 v3, vcc_hi, v2
	v_xor_b32_e32 v2, vcc_lo, v2
	ds_read_b32 v19, v23 offset:64
	v_and_b32_e32 v2, v20, v2
	v_and_b32_e32 v3, v12, v3
	v_mbcnt_lo_u32_b32 v12, v2, 0
	v_mbcnt_hi_u32_b32 v20, v3, v12
	v_cmp_eq_u32_e32 vcc, 0, v20
	v_cmp_ne_u64_e64 s[4:5], 0, v[2:3]
	s_and_b64 s[6:7], s[4:5], vcc
	; wave barrier
	s_and_saveexec_b64 s[4:5], s[6:7]
	s_cbranch_execz .LBB1775_21
; %bb.20:
	v_bcnt_u32_b32 v2, v2, 0
	v_bcnt_u32_b32 v2, v3, v2
	s_waitcnt lgkmcnt(0)
	v_add_u32_e32 v2, v19, v2
	ds_write_b32 v23, v2 offset:64
.LBB1775_21:
	s_or_b64 exec, exec, s[4:5]
	v_xor_b32_e32 v15, 0x80000000, v4
	v_lshrrev_b32_e32 v2, s20, v15
	v_and_b32_e32 v4, s23, v2
	v_lshl_add_u32 v2, v4, 4, v4
	v_add_lshl_u32 v27, v30, v2, 2
	v_and_b32_e32 v2, 1, v4
	v_mov_b32_e32 v3, 0
	v_lshl_add_u64 v[12:13], v[2:3], 0, -1
	v_cmp_ne_u32_e32 vcc, 0, v2
	; wave barrier
	s_nop 1
	v_xor_b32_e32 v12, vcc_lo, v12
	v_xor_b32_e32 v2, vcc_hi, v13
	v_and_b32_e32 v24, exec_lo, v12
	v_lshlrev_b32_e32 v13, 30, v4
	v_mov_b32_e32 v12, v3
	v_cmp_gt_i64_e32 vcc, 0, v[12:13]
	v_not_b32_e32 v12, v13
	v_ashrrev_i32_e32 v12, 31, v12
	v_and_b32_e32 v2, exec_hi, v2
	v_xor_b32_e32 v13, vcc_hi, v12
	v_xor_b32_e32 v12, vcc_lo, v12
	v_and_b32_e32 v2, v2, v13
	v_and_b32_e32 v24, v24, v12
	v_lshlrev_b32_e32 v13, 29, v4
	v_mov_b32_e32 v12, v3
	v_cmp_gt_i64_e32 vcc, 0, v[12:13]
	v_not_b32_e32 v12, v13
	v_ashrrev_i32_e32 v12, 31, v12
	v_xor_b32_e32 v13, vcc_hi, v12
	v_xor_b32_e32 v12, vcc_lo, v12
	v_and_b32_e32 v2, v2, v13
	v_and_b32_e32 v24, v24, v12
	v_lshlrev_b32_e32 v13, 28, v4
	v_mov_b32_e32 v12, v3
	v_cmp_gt_i64_e32 vcc, 0, v[12:13]
	v_not_b32_e32 v12, v13
	v_ashrrev_i32_e32 v12, 31, v12
	;; [unrolled: 9-line block ×5, first 2 shown]
	v_xor_b32_e32 v13, vcc_hi, v12
	v_xor_b32_e32 v12, vcc_lo, v12
	v_and_b32_e32 v2, v2, v13
	v_lshlrev_b32_e32 v13, 24, v4
	v_and_b32_e32 v24, v24, v12
	v_mov_b32_e32 v12, v3
	v_not_b32_e32 v4, v13
	v_cmp_gt_i64_e32 vcc, 0, v[12:13]
	v_ashrrev_i32_e32 v4, 31, v4
	ds_read_b32 v21, v27 offset:64
	v_xor_b32_e32 v12, vcc_hi, v4
	v_xor_b32_e32 v4, vcc_lo, v4
	v_and_b32_e32 v13, v2, v12
	v_and_b32_e32 v12, v24, v4
	v_mbcnt_lo_u32_b32 v2, v12, 0
	v_mbcnt_hi_u32_b32 v25, v13, v2
	v_cmp_eq_u32_e32 vcc, 0, v25
	v_cmp_ne_u64_e64 s[4:5], 0, v[12:13]
	s_and_b64 s[6:7], s[4:5], vcc
	; wave barrier
	s_and_saveexec_b64 s[4:5], s[6:7]
	s_cbranch_execz .LBB1775_23
; %bb.22:
	v_bcnt_u32_b32 v2, v12, 0
	v_bcnt_u32_b32 v2, v13, v2
	s_waitcnt lgkmcnt(0)
	v_add_u32_e32 v2, v21, v2
	ds_write_b32 v27, v2 offset:64
.LBB1775_23:
	s_or_b64 exec, exec, s[4:5]
	v_xor_b32_e32 v12, 0x80000000, v5
	v_lshrrev_b32_e32 v2, s20, v12
	v_and_b32_e32 v13, s23, v2
	v_lshl_add_u32 v2, v13, 4, v13
	v_add_lshl_u32 v31, v30, v2, 2
	v_and_b32_e32 v2, 1, v13
	v_lshl_add_u64 v[4:5], v[2:3], 0, -1
	v_cmp_ne_u32_e32 vcc, 0, v2
	; wave barrier
	s_nop 1
	v_xor_b32_e32 v4, vcc_lo, v4
	v_xor_b32_e32 v2, vcc_hi, v5
	v_and_b32_e32 v24, exec_lo, v4
	v_lshlrev_b32_e32 v5, 30, v13
	v_mov_b32_e32 v4, v3
	v_cmp_gt_i64_e32 vcc, 0, v[4:5]
	v_not_b32_e32 v4, v5
	v_ashrrev_i32_e32 v4, 31, v4
	v_and_b32_e32 v2, exec_hi, v2
	v_xor_b32_e32 v5, vcc_hi, v4
	v_xor_b32_e32 v4, vcc_lo, v4
	v_and_b32_e32 v2, v2, v5
	v_and_b32_e32 v24, v24, v4
	v_lshlrev_b32_e32 v5, 29, v13
	v_mov_b32_e32 v4, v3
	v_cmp_gt_i64_e32 vcc, 0, v[4:5]
	v_not_b32_e32 v4, v5
	v_ashrrev_i32_e32 v4, 31, v4
	v_xor_b32_e32 v5, vcc_hi, v4
	v_xor_b32_e32 v4, vcc_lo, v4
	v_and_b32_e32 v2, v2, v5
	v_and_b32_e32 v24, v24, v4
	v_lshlrev_b32_e32 v5, 28, v13
	v_mov_b32_e32 v4, v3
	v_cmp_gt_i64_e32 vcc, 0, v[4:5]
	v_not_b32_e32 v4, v5
	v_ashrrev_i32_e32 v4, 31, v4
	;; [unrolled: 9-line block ×5, first 2 shown]
	v_xor_b32_e32 v5, vcc_hi, v4
	v_xor_b32_e32 v4, vcc_lo, v4
	v_and_b32_e32 v2, v2, v5
	v_lshlrev_b32_e32 v5, 24, v13
	v_and_b32_e32 v24, v24, v4
	v_mov_b32_e32 v4, v3
	v_not_b32_e32 v3, v5
	v_cmp_gt_i64_e32 vcc, 0, v[4:5]
	v_ashrrev_i32_e32 v3, 31, v3
	ds_read_b32 v26, v31 offset:64
	v_xor_b32_e32 v4, vcc_hi, v3
	v_xor_b32_e32 v5, vcc_lo, v3
	v_and_b32_e32 v3, v2, v4
	v_and_b32_e32 v2, v24, v5
	v_mbcnt_lo_u32_b32 v4, v2, 0
	v_mbcnt_hi_u32_b32 v28, v3, v4
	v_cmp_eq_u32_e32 vcc, 0, v28
	v_cmp_ne_u64_e64 s[4:5], 0, v[2:3]
	s_and_b64 s[6:7], s[4:5], vcc
	; wave barrier
	s_and_saveexec_b64 s[4:5], s[6:7]
	s_cbranch_execz .LBB1775_25
; %bb.24:
	v_bcnt_u32_b32 v2, v2, 0
	v_bcnt_u32_b32 v2, v3, v2
	s_waitcnt lgkmcnt(0)
	v_add_u32_e32 v2, v26, v2
	ds_write_b32 v31, v2 offset:64
.LBB1775_25:
	s_or_b64 exec, exec, s[4:5]
	v_xor_b32_e32 v13, 0x80000000, v6
	v_lshrrev_b32_e32 v2, s20, v13
	v_and_b32_e32 v24, s23, v2
	v_lshl_add_u32 v2, v24, 4, v24
	v_add_lshl_u32 v6, v30, v2, 2
	v_and_b32_e32 v2, 1, v24
	v_mov_b32_e32 v3, 0
	v_lshl_add_u64 v[4:5], v[2:3], 0, -1
	v_cmp_ne_u32_e32 vcc, 0, v2
	; wave barrier
	s_nop 1
	v_xor_b32_e32 v4, vcc_lo, v4
	v_xor_b32_e32 v2, vcc_hi, v5
	v_and_b32_e32 v32, exec_lo, v4
	v_lshlrev_b32_e32 v5, 30, v24
	v_mov_b32_e32 v4, v3
	v_cmp_gt_i64_e32 vcc, 0, v[4:5]
	v_not_b32_e32 v4, v5
	v_ashrrev_i32_e32 v4, 31, v4
	v_and_b32_e32 v2, exec_hi, v2
	v_xor_b32_e32 v5, vcc_hi, v4
	v_xor_b32_e32 v4, vcc_lo, v4
	v_and_b32_e32 v2, v2, v5
	v_and_b32_e32 v32, v32, v4
	v_lshlrev_b32_e32 v5, 29, v24
	v_mov_b32_e32 v4, v3
	v_cmp_gt_i64_e32 vcc, 0, v[4:5]
	v_not_b32_e32 v4, v5
	v_ashrrev_i32_e32 v4, 31, v4
	v_xor_b32_e32 v5, vcc_hi, v4
	v_xor_b32_e32 v4, vcc_lo, v4
	v_and_b32_e32 v2, v2, v5
	v_and_b32_e32 v32, v32, v4
	v_lshlrev_b32_e32 v5, 28, v24
	v_mov_b32_e32 v4, v3
	v_cmp_gt_i64_e32 vcc, 0, v[4:5]
	v_not_b32_e32 v4, v5
	v_ashrrev_i32_e32 v4, 31, v4
	;; [unrolled: 9-line block ×6, first 2 shown]
	v_xor_b32_e32 v5, vcc_hi, v4
	v_xor_b32_e32 v4, vcc_lo, v4
	ds_read_b32 v29, v6 offset:64
	v_and_b32_e32 v4, v32, v4
	v_and_b32_e32 v5, v2, v5
	v_mbcnt_lo_u32_b32 v2, v4, 0
	v_mbcnt_hi_u32_b32 v32, v5, v2
	v_cmp_eq_u32_e32 vcc, 0, v32
	v_cmp_ne_u64_e64 s[4:5], 0, v[4:5]
	s_and_b64 s[6:7], s[4:5], vcc
	; wave barrier
	s_and_saveexec_b64 s[4:5], s[6:7]
	s_cbranch_execz .LBB1775_27
; %bb.26:
	v_bcnt_u32_b32 v2, v4, 0
	v_bcnt_u32_b32 v2, v5, v2
	s_waitcnt lgkmcnt(0)
	v_add_u32_e32 v2, v29, v2
	ds_write_b32 v6, v2 offset:64
.LBB1775_27:
	s_or_b64 exec, exec, s[4:5]
	v_xor_b32_e32 v24, 0x80000000, v7
	v_lshrrev_b32_e32 v2, s20, v24
	v_and_b32_e32 v34, s23, v2
	v_lshl_add_u32 v2, v34, 4, v34
	v_add_lshl_u32 v7, v30, v2, 2
	v_and_b32_e32 v2, 1, v34
	v_lshl_add_u64 v[4:5], v[2:3], 0, -1
	v_cmp_ne_u32_e32 vcc, 0, v2
	; wave barrier
	s_nop 1
	v_xor_b32_e32 v4, vcc_lo, v4
	v_xor_b32_e32 v2, vcc_hi, v5
	v_and_b32_e32 v35, exec_lo, v4
	v_lshlrev_b32_e32 v5, 30, v34
	v_mov_b32_e32 v4, v3
	v_cmp_gt_i64_e32 vcc, 0, v[4:5]
	v_not_b32_e32 v4, v5
	v_ashrrev_i32_e32 v4, 31, v4
	v_and_b32_e32 v2, exec_hi, v2
	v_xor_b32_e32 v5, vcc_hi, v4
	v_xor_b32_e32 v4, vcc_lo, v4
	v_and_b32_e32 v2, v2, v5
	v_and_b32_e32 v35, v35, v4
	v_lshlrev_b32_e32 v5, 29, v34
	v_mov_b32_e32 v4, v3
	v_cmp_gt_i64_e32 vcc, 0, v[4:5]
	v_not_b32_e32 v4, v5
	v_ashrrev_i32_e32 v4, 31, v4
	v_xor_b32_e32 v5, vcc_hi, v4
	v_xor_b32_e32 v4, vcc_lo, v4
	v_and_b32_e32 v2, v2, v5
	v_and_b32_e32 v35, v35, v4
	v_lshlrev_b32_e32 v5, 28, v34
	v_mov_b32_e32 v4, v3
	v_cmp_gt_i64_e32 vcc, 0, v[4:5]
	v_not_b32_e32 v4, v5
	v_ashrrev_i32_e32 v4, 31, v4
	v_xor_b32_e32 v5, vcc_hi, v4
	v_xor_b32_e32 v4, vcc_lo, v4
	v_and_b32_e32 v2, v2, v5
	v_and_b32_e32 v35, v35, v4
	v_lshlrev_b32_e32 v5, 27, v34
	v_mov_b32_e32 v4, v3
	v_cmp_gt_i64_e32 vcc, 0, v[4:5]
	v_not_b32_e32 v4, v5
	v_ashrrev_i32_e32 v4, 31, v4
	v_xor_b32_e32 v5, vcc_hi, v4
	v_xor_b32_e32 v4, vcc_lo, v4
	v_and_b32_e32 v2, v2, v5
	v_and_b32_e32 v35, v35, v4
	v_lshlrev_b32_e32 v5, 26, v34
	v_mov_b32_e32 v4, v3
	v_cmp_gt_i64_e32 vcc, 0, v[4:5]
	v_not_b32_e32 v4, v5
	v_ashrrev_i32_e32 v4, 31, v4
	v_xor_b32_e32 v5, vcc_hi, v4
	v_xor_b32_e32 v4, vcc_lo, v4
	v_and_b32_e32 v2, v2, v5
	v_and_b32_e32 v35, v35, v4
	v_lshlrev_b32_e32 v5, 25, v34
	v_mov_b32_e32 v4, v3
	v_cmp_gt_i64_e32 vcc, 0, v[4:5]
	v_not_b32_e32 v4, v5
	v_ashrrev_i32_e32 v4, 31, v4
	v_xor_b32_e32 v5, vcc_hi, v4
	v_xor_b32_e32 v4, vcc_lo, v4
	v_and_b32_e32 v2, v2, v5
	v_lshlrev_b32_e32 v5, 24, v34
	v_and_b32_e32 v35, v35, v4
	v_mov_b32_e32 v4, v3
	v_not_b32_e32 v3, v5
	v_cmp_gt_i64_e32 vcc, 0, v[4:5]
	v_ashrrev_i32_e32 v3, 31, v3
	ds_read_b32 v33, v7 offset:64
	v_xor_b32_e32 v4, vcc_hi, v3
	v_xor_b32_e32 v5, vcc_lo, v3
	v_and_b32_e32 v3, v2, v4
	v_and_b32_e32 v2, v35, v5
	v_mbcnt_lo_u32_b32 v4, v2, 0
	v_mbcnt_hi_u32_b32 v34, v3, v4
	v_cmp_eq_u32_e32 vcc, 0, v34
	v_cmp_ne_u64_e64 s[4:5], 0, v[2:3]
	s_and_b64 s[6:7], s[4:5], vcc
	; wave barrier
	s_and_saveexec_b64 s[4:5], s[6:7]
	s_cbranch_execz .LBB1775_29
; %bb.28:
	v_bcnt_u32_b32 v2, v2, 0
	v_bcnt_u32_b32 v2, v3, v2
	s_waitcnt lgkmcnt(0)
	v_add_u32_e32 v2, v33, v2
	ds_write_b32 v7, v2 offset:64
.LBB1775_29:
	s_or_b64 exec, exec, s[4:5]
	v_xor_b32_e32 v8, 0x80000000, v8
	v_lshrrev_b32_e32 v2, s20, v8
	v_and_b32_e32 v36, s23, v2
	v_lshl_add_u32 v2, v36, 4, v36
	v_add_lshl_u32 v38, v30, v2, 2
	v_and_b32_e32 v2, 1, v36
	v_mov_b32_e32 v3, 0
	v_lshl_add_u64 v[4:5], v[2:3], 0, -1
	v_cmp_ne_u32_e32 vcc, 0, v2
	; wave barrier
	s_nop 1
	v_xor_b32_e32 v4, vcc_lo, v4
	v_xor_b32_e32 v2, vcc_hi, v5
	v_and_b32_e32 v37, exec_lo, v4
	v_lshlrev_b32_e32 v5, 30, v36
	v_mov_b32_e32 v4, v3
	v_cmp_gt_i64_e32 vcc, 0, v[4:5]
	v_not_b32_e32 v4, v5
	v_ashrrev_i32_e32 v4, 31, v4
	v_and_b32_e32 v2, exec_hi, v2
	v_xor_b32_e32 v5, vcc_hi, v4
	v_xor_b32_e32 v4, vcc_lo, v4
	v_and_b32_e32 v2, v2, v5
	v_and_b32_e32 v37, v37, v4
	v_lshlrev_b32_e32 v5, 29, v36
	v_mov_b32_e32 v4, v3
	v_cmp_gt_i64_e32 vcc, 0, v[4:5]
	v_not_b32_e32 v4, v5
	v_ashrrev_i32_e32 v4, 31, v4
	v_xor_b32_e32 v5, vcc_hi, v4
	v_xor_b32_e32 v4, vcc_lo, v4
	v_and_b32_e32 v2, v2, v5
	v_and_b32_e32 v37, v37, v4
	v_lshlrev_b32_e32 v5, 28, v36
	v_mov_b32_e32 v4, v3
	v_cmp_gt_i64_e32 vcc, 0, v[4:5]
	v_not_b32_e32 v4, v5
	v_ashrrev_i32_e32 v4, 31, v4
	v_xor_b32_e32 v5, vcc_hi, v4
	v_xor_b32_e32 v4, vcc_lo, v4
	v_and_b32_e32 v2, v2, v5
	v_and_b32_e32 v37, v37, v4
	v_lshlrev_b32_e32 v5, 27, v36
	v_mov_b32_e32 v4, v3
	v_cmp_gt_i64_e32 vcc, 0, v[4:5]
	v_not_b32_e32 v4, v5
	v_ashrrev_i32_e32 v4, 31, v4
	v_xor_b32_e32 v5, vcc_hi, v4
	v_xor_b32_e32 v4, vcc_lo, v4
	v_and_b32_e32 v2, v2, v5
	v_and_b32_e32 v37, v37, v4
	v_lshlrev_b32_e32 v5, 26, v36
	v_mov_b32_e32 v4, v3
	v_cmp_gt_i64_e32 vcc, 0, v[4:5]
	v_not_b32_e32 v4, v5
	v_ashrrev_i32_e32 v4, 31, v4
	v_xor_b32_e32 v5, vcc_hi, v4
	v_xor_b32_e32 v4, vcc_lo, v4
	v_and_b32_e32 v2, v2, v5
	v_and_b32_e32 v37, v37, v4
	v_lshlrev_b32_e32 v5, 25, v36
	v_mov_b32_e32 v4, v3
	v_cmp_gt_i64_e32 vcc, 0, v[4:5]
	v_not_b32_e32 v4, v5
	v_ashrrev_i32_e32 v4, 31, v4
	v_xor_b32_e32 v5, vcc_hi, v4
	v_xor_b32_e32 v4, vcc_lo, v4
	v_and_b32_e32 v2, v2, v5
	v_and_b32_e32 v37, v37, v4
	v_lshlrev_b32_e32 v5, 24, v36
	v_mov_b32_e32 v4, v3
	v_cmp_gt_i64_e32 vcc, 0, v[4:5]
	v_not_b32_e32 v4, v5
	v_ashrrev_i32_e32 v4, 31, v4
	v_xor_b32_e32 v5, vcc_hi, v4
	v_xor_b32_e32 v4, vcc_lo, v4
	ds_read_b32 v35, v38 offset:64
	v_and_b32_e32 v4, v37, v4
	v_and_b32_e32 v5, v2, v5
	v_mbcnt_lo_u32_b32 v2, v4, 0
	v_mbcnt_hi_u32_b32 v36, v5, v2
	v_cmp_eq_u32_e32 vcc, 0, v36
	v_cmp_ne_u64_e64 s[4:5], 0, v[4:5]
	s_and_b64 s[6:7], s[4:5], vcc
	; wave barrier
	s_and_saveexec_b64 s[4:5], s[6:7]
	s_cbranch_execz .LBB1775_31
; %bb.30:
	v_bcnt_u32_b32 v2, v4, 0
	v_bcnt_u32_b32 v2, v5, v2
	s_waitcnt lgkmcnt(0)
	v_add_u32_e32 v2, v35, v2
	ds_write_b32 v38, v2 offset:64
.LBB1775_31:
	s_or_b64 exec, exec, s[4:5]
	v_xor_b32_e32 v9, 0x80000000, v9
	v_lshrrev_b32_e32 v2, s20, v9
	v_and_b32_e32 v39, s23, v2
	v_lshl_add_u32 v2, v39, 4, v39
	v_add_lshl_u32 v40, v30, v2, 2
	v_and_b32_e32 v2, 1, v39
	v_lshl_add_u64 v[4:5], v[2:3], 0, -1
	v_cmp_ne_u32_e32 vcc, 0, v2
	; wave barrier
	s_nop 1
	v_xor_b32_e32 v4, vcc_lo, v4
	v_xor_b32_e32 v2, vcc_hi, v5
	v_and_b32_e32 v30, exec_lo, v4
	v_lshlrev_b32_e32 v5, 30, v39
	v_mov_b32_e32 v4, v3
	v_cmp_gt_i64_e32 vcc, 0, v[4:5]
	v_not_b32_e32 v4, v5
	v_ashrrev_i32_e32 v4, 31, v4
	v_and_b32_e32 v2, exec_hi, v2
	v_xor_b32_e32 v5, vcc_hi, v4
	v_xor_b32_e32 v4, vcc_lo, v4
	v_and_b32_e32 v2, v2, v5
	v_and_b32_e32 v30, v30, v4
	v_lshlrev_b32_e32 v5, 29, v39
	v_mov_b32_e32 v4, v3
	v_cmp_gt_i64_e32 vcc, 0, v[4:5]
	v_not_b32_e32 v4, v5
	v_ashrrev_i32_e32 v4, 31, v4
	v_xor_b32_e32 v5, vcc_hi, v4
	v_xor_b32_e32 v4, vcc_lo, v4
	v_and_b32_e32 v2, v2, v5
	v_and_b32_e32 v30, v30, v4
	v_lshlrev_b32_e32 v5, 28, v39
	v_mov_b32_e32 v4, v3
	v_cmp_gt_i64_e32 vcc, 0, v[4:5]
	v_not_b32_e32 v4, v5
	v_ashrrev_i32_e32 v4, 31, v4
	;; [unrolled: 9-line block ×5, first 2 shown]
	v_xor_b32_e32 v5, vcc_hi, v4
	v_xor_b32_e32 v4, vcc_lo, v4
	v_and_b32_e32 v2, v2, v5
	v_lshlrev_b32_e32 v5, 24, v39
	v_and_b32_e32 v30, v30, v4
	v_mov_b32_e32 v4, v3
	v_not_b32_e32 v3, v5
	v_cmp_gt_i64_e32 vcc, 0, v[4:5]
	v_ashrrev_i32_e32 v3, 31, v3
	ds_read_b32 v37, v40 offset:64
	v_xor_b32_e32 v4, vcc_hi, v3
	v_xor_b32_e32 v5, vcc_lo, v3
	v_and_b32_e32 v3, v2, v4
	v_and_b32_e32 v2, v30, v5
	v_mbcnt_lo_u32_b32 v4, v2, 0
	v_mbcnt_hi_u32_b32 v39, v3, v4
	v_cmp_eq_u32_e32 vcc, 0, v39
	v_cmp_ne_u64_e64 s[4:5], 0, v[2:3]
	v_add_u32_e32 v41, 64, v18
	s_and_b64 s[6:7], s[4:5], vcc
	; wave barrier
	s_and_saveexec_b64 s[4:5], s[6:7]
	s_cbranch_execz .LBB1775_33
; %bb.32:
	v_bcnt_u32_b32 v2, v2, 0
	v_bcnt_u32_b32 v2, v3, v2
	s_waitcnt lgkmcnt(0)
	v_add_u32_e32 v2, v37, v2
	ds_write_b32 v40, v2 offset:64
.LBB1775_33:
	s_or_b64 exec, exec, s[4:5]
	; wave barrier
	s_waitcnt lgkmcnt(0)
	s_barrier
	ds_read2_b32 v[4:5], v18 offset0:16 offset1:17
	ds_read2_b32 v[2:3], v41 offset0:2 offset1:3
	ds_read_b32 v30, v41 offset:16
	v_cmp_lt_u32_e64 s[10:11], 31, v16
	s_waitcnt lgkmcnt(1)
	v_add3_u32 v42, v5, v4, v2
	s_waitcnt lgkmcnt(0)
	v_add3_u32 v30, v42, v3, v30
	v_and_b32_e32 v42, 15, v16
	v_cmp_eq_u32_e32 vcc, 0, v42
	v_mov_b32_dpp v43, v30 row_shr:1 row_mask:0xf bank_mask:0xf
	v_cmp_lt_u32_e64 s[8:9], 1, v42
	v_cndmask_b32_e64 v43, v43, 0, vcc
	v_add_u32_e32 v30, v43, v30
	v_cmp_lt_u32_e64 s[4:5], 3, v42
	v_cmp_lt_u32_e64 s[6:7], 7, v42
	v_mov_b32_dpp v43, v30 row_shr:2 row_mask:0xf bank_mask:0xf
	v_cndmask_b32_e64 v43, 0, v43, s[8:9]
	v_add_u32_e32 v30, v30, v43
	s_nop 1
	v_mov_b32_dpp v43, v30 row_shr:4 row_mask:0xf bank_mask:0xf
	v_cndmask_b32_e64 v43, 0, v43, s[4:5]
	v_add_u32_e32 v30, v30, v43
	s_nop 1
	v_mov_b32_dpp v43, v30 row_shr:8 row_mask:0xf bank_mask:0xf
	v_cndmask_b32_e64 v42, 0, v43, s[6:7]
	v_add_u32_e32 v30, v30, v42
	v_bfe_i32 v43, v16, 4, 1
	s_nop 0
	v_mov_b32_dpp v42, v30 row_bcast:15 row_mask:0xf bank_mask:0xf
	v_and_b32_e32 v42, v43, v42
	v_add_u32_e32 v30, v30, v42
	v_lshrrev_b32_e32 v43, 6, v10
	s_nop 0
	v_mov_b32_dpp v42, v30 row_bcast:31 row_mask:0xf bank_mask:0xf
	v_cndmask_b32_e64 v42, 0, v42, s[10:11]
	v_add_u32_e32 v42, v30, v42
	v_and_b32_e32 v30, 63, v10
	v_cmp_eq_u32_e64 s[10:11], 63, v30
	s_and_saveexec_b64 s[12:13], s[10:11]
	s_cbranch_execz .LBB1775_35
; %bb.34:
	v_lshlrev_b32_e32 v30, 2, v43
	ds_write_b32 v30, v42
.LBB1775_35:
	s_or_b64 exec, exec, s[12:13]
	v_cmp_gt_u32_e64 s[10:11], 16, v10
	v_lshlrev_b32_e32 v30, 2, v10
	s_waitcnt lgkmcnt(0)
	s_barrier
	s_and_saveexec_b64 s[12:13], s[10:11]
	s_cbranch_execz .LBB1775_37
; %bb.36:
	ds_read_b32 v44, v30
	s_waitcnt lgkmcnt(0)
	s_nop 0
	v_mov_b32_dpp v45, v44 row_shr:1 row_mask:0xf bank_mask:0xf
	v_cndmask_b32_e64 v45, v45, 0, vcc
	v_add_u32_e32 v44, v45, v44
	s_nop 1
	v_mov_b32_dpp v45, v44 row_shr:2 row_mask:0xf bank_mask:0xf
	v_cndmask_b32_e64 v45, 0, v45, s[8:9]
	v_add_u32_e32 v44, v44, v45
	s_nop 1
	v_mov_b32_dpp v45, v44 row_shr:4 row_mask:0xf bank_mask:0xf
	v_cndmask_b32_e64 v45, 0, v45, s[4:5]
	;; [unrolled: 4-line block ×3, first 2 shown]
	v_add_u32_e32 v44, v44, v45
	ds_write_b32 v30, v44
.LBB1775_37:
	s_or_b64 exec, exec, s[12:13]
	v_cmp_lt_u32_e32 vcc, 63, v10
	v_mov_b32_e32 v44, 0
	s_waitcnt lgkmcnt(0)
	s_barrier
	s_and_saveexec_b64 s[4:5], vcc
	s_cbranch_execz .LBB1775_39
; %bb.38:
	v_lshl_add_u32 v43, v43, 2, -4
	ds_read_b32 v44, v43
.LBB1775_39:
	s_or_b64 exec, exec, s[4:5]
	v_add_u32_e32 v43, -1, v16
	v_and_b32_e32 v45, 64, v16
	v_cmp_lt_i32_e32 vcc, v43, v45
	s_waitcnt lgkmcnt(0)
	v_add_u32_e32 v42, v44, v42
	s_movk_i32 s4, 0x100
	v_cndmask_b32_e32 v43, v43, v16, vcc
	v_lshlrev_b32_e32 v43, 2, v43
	ds_bpermute_b32 v42, v43, v42
	v_cmp_eq_u32_e32 vcc, 0, v16
	v_cmp_gt_u32_e64 s[4:5], s4, v10
	s_waitcnt lgkmcnt(0)
	v_cndmask_b32_e32 v16, v42, v44, vcc
	v_cmp_ne_u32_e32 vcc, 0, v10
	s_nop 1
	v_cndmask_b32_e32 v16, 0, v16, vcc
	v_add_u32_e32 v4, v16, v4
	v_add_u32_e32 v5, v4, v5
	;; [unrolled: 1-line block ×4, first 2 shown]
	ds_write2_b32 v18, v16, v4 offset0:16 offset1:17
	ds_write2_b32 v41, v5, v2 offset0:2 offset1:3
	ds_write_b32 v41, v3 offset:16
	s_waitcnt lgkmcnt(0)
	s_barrier
	ds_read_b32 v22, v22 offset:64
	ds_read_b32 v23, v23 offset:64
	;; [unrolled: 1-line block ×8, first 2 shown]
                                        ; implicit-def: $vgpr16
                                        ; implicit-def: $vgpr18
	s_and_saveexec_b64 s[6:7], s[4:5]
	s_cbranch_execz .LBB1775_43
; %bb.40:
	v_mul_u32_u24_e32 v2, 17, v10
	v_lshlrev_b32_e32 v3, 2, v2
	ds_read_b32 v16, v3 offset:64
	s_movk_i32 s8, 0xff
	v_cmp_ne_u32_e32 vcc, s8, v10
	v_mov_b32_e32 v2, 0x2000
	s_and_saveexec_b64 s[8:9], vcc
	s_cbranch_execz .LBB1775_42
; %bb.41:
	ds_read_b32 v2, v3 offset:132
.LBB1775_42:
	s_or_b64 exec, exec, s[8:9]
	s_waitcnt lgkmcnt(0)
	v_sub_u32_e32 v18, v2, v16
.LBB1775_43:
	s_or_b64 exec, exec, s[6:7]
	s_waitcnt lgkmcnt(0)
	s_barrier
	s_and_saveexec_b64 s[6:7], s[4:5]
	s_cbranch_execz .LBB1775_53
; %bb.44:
	v_lshl_or_b32 v4, s2, 8, v10
	v_mov_b32_e32 v5, 0
	v_lshl_add_u64 v[2:3], v[4:5], 2, s[28:29]
	v_or_b32_e32 v4, 2.0, v18
	s_mov_b64 s[8:9], 0
	s_brev_b32 s14, 1
	s_mov_b32 s15, s2
	v_mov_b32_e32 v43, 0
	global_store_dword v[2:3], v4, off sc1
                                        ; implicit-def: $sgpr10_sgpr11
	s_branch .LBB1775_46
.LBB1775_45:                            ;   in Loop: Header=BB1775_46 Depth=1
	s_or_b64 exec, exec, s[10:11]
	v_and_b32_e32 v6, 0x3fffffff, v44
	v_add_u32_e32 v43, v6, v43
	v_cmp_eq_u32_e64 s[10:11], s14, v4
	s_and_b64 s[12:13], exec, s[10:11]
	s_or_b64 s[8:9], s[12:13], s[8:9]
	s_andn2_b64 exec, exec, s[8:9]
	s_cbranch_execz .LBB1775_52
.LBB1775_46:                            ; =>This Loop Header: Depth=1
                                        ;     Child Loop BB1775_49 Depth 2
	s_or_b64 s[10:11], s[10:11], exec
	s_cmp_eq_u32 s15, 0
	s_cbranch_scc1 .LBB1775_51
; %bb.47:                               ;   in Loop: Header=BB1775_46 Depth=1
	s_add_i32 s15, s15, -1
	v_lshl_or_b32 v4, s15, 8, v10
	v_lshl_add_u64 v[6:7], v[4:5], 2, s[28:29]
	global_load_dword v44, v[6:7], off sc1
	s_waitcnt vmcnt(0)
	v_and_b32_e32 v4, -2.0, v44
	v_cmp_eq_u32_e32 vcc, 0, v4
	s_and_saveexec_b64 s[10:11], vcc
	s_cbranch_execz .LBB1775_45
; %bb.48:                               ;   in Loop: Header=BB1775_46 Depth=1
	s_mov_b64 s[12:13], 0
.LBB1775_49:                            ;   Parent Loop BB1775_46 Depth=1
                                        ; =>  This Inner Loop Header: Depth=2
	global_load_dword v44, v[6:7], off sc1
	s_waitcnt vmcnt(0)
	v_and_b32_e32 v4, -2.0, v44
	v_cmp_ne_u32_e32 vcc, 0, v4
	s_or_b64 s[12:13], vcc, s[12:13]
	s_andn2_b64 exec, exec, s[12:13]
	s_cbranch_execnz .LBB1775_49
; %bb.50:                               ;   in Loop: Header=BB1775_46 Depth=1
	s_or_b64 exec, exec, s[12:13]
	s_branch .LBB1775_45
.LBB1775_51:                            ;   in Loop: Header=BB1775_46 Depth=1
                                        ; implicit-def: $sgpr15
	s_and_b64 s[12:13], exec, s[10:11]
	s_or_b64 s[8:9], s[12:13], s[8:9]
	s_andn2_b64 exec, exec, s[8:9]
	s_cbranch_execnz .LBB1775_46
.LBB1775_52:
	s_or_b64 exec, exec, s[8:9]
	v_add_u32_e32 v4, v43, v18
	v_or_b32_e32 v4, 0x80000000, v4
	global_store_dword v[2:3], v4, off sc1
	global_load_dword v2, v30, s[16:17]
	v_sub_u32_e32 v3, v43, v16
	s_waitcnt vmcnt(0)
	v_add_u32_e32 v2, v3, v2
	ds_write_b32 v30, v2
.LBB1775_53:
	s_or_b64 exec, exec, s[6:7]
	v_add_u32_e32 v4, v22, v17
	v_add3_u32 v5, v20, v19, v23
	v_add3_u32 v6, v25, v21, v27
	;; [unrolled: 1-line block ×7, first 2 shown]
	s_movk_i32 s10, 0x400
	v_add_u32_e32 v22, 0x400, v30
	v_lshlrev_b32_e32 v23, 2, v21
	v_lshlrev_b32_e32 v25, 2, v20
	;; [unrolled: 1-line block ×8, first 2 shown]
	s_mov_b32 s11, 0
	s_mov_b32 s12, 0
	s_mov_b64 s[6:7], -1
	s_movk_i32 s13, 0x1000
	v_mov_b32_e32 v3, 0
	s_movk_i32 s14, 0x800
	s_movk_i32 s15, 0xc00
	s_branch .LBB1775_55
.LBB1775_54:                            ;   in Loop: Header=BB1775_55 Depth=1
	s_or_b64 exec, exec, s[8:9]
	s_xor_b64 s[8:9], s[6:7], -1
	s_addk_i32 s12, 0x1000
	s_addk_i32 s11, 0xc000
	v_add_u32_e32 v21, 0xfffff000, v21
	v_add_u32_e32 v20, 0xfffff000, v20
	;; [unrolled: 1-line block ×8, first 2 shown]
	s_mov_b64 s[6:7], 0
	s_and_b64 vcc, exec, s[8:9]
	s_barrier
	s_cbranch_vccnz .LBB1775_80
.LBB1775_55:                            ; =>This Inner Loop Header: Depth=1
	v_cmp_gt_u32_e32 vcc, s13, v4
	s_and_saveexec_b64 s[8:9], vcc
	s_cbranch_execnz .LBB1775_72
; %bb.56:                               ;   in Loop: Header=BB1775_55 Depth=1
	s_or_b64 exec, exec, s[8:9]
	v_cmp_gt_u32_e32 vcc, s13, v5
	s_and_saveexec_b64 s[8:9], vcc
	s_cbranch_execnz .LBB1775_73
.LBB1775_57:                            ;   in Loop: Header=BB1775_55 Depth=1
	s_or_b64 exec, exec, s[8:9]
	v_cmp_gt_u32_e32 vcc, s13, v6
	s_and_saveexec_b64 s[8:9], vcc
	s_cbranch_execnz .LBB1775_74
.LBB1775_58:                            ;   in Loop: Header=BB1775_55 Depth=1
	s_or_b64 exec, exec, s[8:9]
	v_cmp_gt_u32_e32 vcc, s13, v7
	s_and_saveexec_b64 s[8:9], vcc
	s_cbranch_execnz .LBB1775_75
.LBB1775_59:                            ;   in Loop: Header=BB1775_55 Depth=1
	s_or_b64 exec, exec, s[8:9]
	v_cmp_gt_u32_e32 vcc, s13, v17
	s_and_saveexec_b64 s[8:9], vcc
	s_cbranch_execnz .LBB1775_76
.LBB1775_60:                            ;   in Loop: Header=BB1775_55 Depth=1
	s_or_b64 exec, exec, s[8:9]
	v_cmp_gt_u32_e32 vcc, s13, v19
	s_and_saveexec_b64 s[8:9], vcc
	s_cbranch_execnz .LBB1775_77
.LBB1775_61:                            ;   in Loop: Header=BB1775_55 Depth=1
	s_or_b64 exec, exec, s[8:9]
	v_cmp_gt_u32_e32 vcc, s13, v20
	s_and_saveexec_b64 s[8:9], vcc
	s_cbranch_execnz .LBB1775_78
.LBB1775_62:                            ;   in Loop: Header=BB1775_55 Depth=1
	s_or_b64 exec, exec, s[8:9]
	v_cmp_gt_u32_e32 vcc, s13, v21
	s_and_saveexec_b64 s[8:9], vcc
	s_cbranch_execz .LBB1775_64
.LBB1775_63:                            ;   in Loop: Header=BB1775_55 Depth=1
	v_add_u32_e32 v2, s11, v23
	ds_write_b32 v2, v9 offset:1024
.LBB1775_64:                            ;   in Loop: Header=BB1775_55 Depth=1
	s_or_b64 exec, exec, s[8:9]
	v_add_u32_e32 v33, s12, v10
	v_cmp_gt_u32_e32 vcc, s3, v33
	s_waitcnt lgkmcnt(0)
	s_barrier
	s_and_saveexec_b64 s[8:9], vcc
	s_cbranch_execz .LBB1775_66
; %bb.65:                               ;   in Loop: Header=BB1775_55 Depth=1
	ds_read_b32 v2, v30 offset:1024
	s_waitcnt lgkmcnt(0)
	v_lshrrev_b32_e32 v34, s20, v2
	v_and_b32_e32 v34, s23, v34
	v_lshlrev_b32_e32 v34, 2, v34
	ds_read_b32 v34, v34
	v_xor_b32_e32 v36, 0x80000000, v2
	s_waitcnt lgkmcnt(0)
	v_add_u32_e32 v2, v33, v34
	v_lshl_add_u64 v[34:35], v[2:3], 2, s[26:27]
	global_store_dword v[34:35], v36, off
.LBB1775_66:                            ;   in Loop: Header=BB1775_55 Depth=1
	s_or_b64 exec, exec, s[8:9]
	v_add_u32_e32 v2, 0x400, v33
	v_cmp_gt_u32_e32 vcc, s3, v2
	s_and_saveexec_b64 s[8:9], vcc
	s_cbranch_execz .LBB1775_68
; %bb.67:                               ;   in Loop: Header=BB1775_55 Depth=1
	ds_read_b32 v2, v22 offset:4096
	s_waitcnt lgkmcnt(0)
	v_lshrrev_b32_e32 v34, s20, v2
	v_and_b32_e32 v34, s23, v34
	v_lshlrev_b32_e32 v34, 2, v34
	ds_read_b32 v34, v34
	v_xor_b32_e32 v36, 0x80000000, v2
	s_waitcnt lgkmcnt(0)
	v_add3_u32 v2, v33, v34, s10
	v_lshl_add_u64 v[34:35], v[2:3], 2, s[26:27]
	global_store_dword v[34:35], v36, off
.LBB1775_68:                            ;   in Loop: Header=BB1775_55 Depth=1
	s_or_b64 exec, exec, s[8:9]
	v_add_u32_e32 v2, 0x800, v33
	v_cmp_gt_u32_e32 vcc, s3, v2
	s_and_saveexec_b64 s[8:9], vcc
	s_cbranch_execz .LBB1775_70
; %bb.69:                               ;   in Loop: Header=BB1775_55 Depth=1
	ds_read_b32 v2, v22 offset:8192
	s_waitcnt lgkmcnt(0)
	v_lshrrev_b32_e32 v34, s20, v2
	v_and_b32_e32 v34, s23, v34
	v_lshlrev_b32_e32 v34, 2, v34
	ds_read_b32 v34, v34
	v_xor_b32_e32 v36, 0x80000000, v2
	s_waitcnt lgkmcnt(0)
	v_add3_u32 v2, v33, v34, s14
	v_lshl_add_u64 v[34:35], v[2:3], 2, s[26:27]
	global_store_dword v[34:35], v36, off
.LBB1775_70:                            ;   in Loop: Header=BB1775_55 Depth=1
	s_or_b64 exec, exec, s[8:9]
	v_add_u32_e32 v2, 0xc00, v33
	v_cmp_gt_u32_e32 vcc, s3, v2
	s_and_saveexec_b64 s[8:9], vcc
	s_cbranch_execz .LBB1775_54
; %bb.71:                               ;   in Loop: Header=BB1775_55 Depth=1
	ds_read_b32 v2, v22 offset:12288
	s_waitcnt lgkmcnt(0)
	v_lshrrev_b32_e32 v34, s20, v2
	v_and_b32_e32 v34, s23, v34
	v_lshlrev_b32_e32 v34, 2, v34
	ds_read_b32 v34, v34
	v_xor_b32_e32 v36, 0x80000000, v2
	s_waitcnt lgkmcnt(0)
	v_add3_u32 v2, v33, v34, s15
	v_lshl_add_u64 v[34:35], v[2:3], 2, s[26:27]
	global_store_dword v[34:35], v36, off
	s_branch .LBB1775_54
.LBB1775_72:                            ;   in Loop: Header=BB1775_55 Depth=1
	v_add_u32_e32 v2, s11, v32
	ds_write_b32 v2, v11 offset:1024
	s_or_b64 exec, exec, s[8:9]
	v_cmp_gt_u32_e32 vcc, s13, v5
	s_and_saveexec_b64 s[8:9], vcc
	s_cbranch_execz .LBB1775_57
.LBB1775_73:                            ;   in Loop: Header=BB1775_55 Depth=1
	v_add_u32_e32 v2, s11, v31
	ds_write_b32 v2, v14 offset:1024
	s_or_b64 exec, exec, s[8:9]
	v_cmp_gt_u32_e32 vcc, s13, v6
	s_and_saveexec_b64 s[8:9], vcc
	s_cbranch_execz .LBB1775_58
.LBB1775_74:                            ;   in Loop: Header=BB1775_55 Depth=1
	v_add_u32_e32 v2, s11, v29
	ds_write_b32 v2, v15 offset:1024
	s_or_b64 exec, exec, s[8:9]
	v_cmp_gt_u32_e32 vcc, s13, v7
	s_and_saveexec_b64 s[8:9], vcc
	s_cbranch_execz .LBB1775_59
.LBB1775_75:                            ;   in Loop: Header=BB1775_55 Depth=1
	v_add_u32_e32 v2, s11, v28
	ds_write_b32 v2, v12 offset:1024
	s_or_b64 exec, exec, s[8:9]
	v_cmp_gt_u32_e32 vcc, s13, v17
	s_and_saveexec_b64 s[8:9], vcc
	s_cbranch_execz .LBB1775_60
.LBB1775_76:                            ;   in Loop: Header=BB1775_55 Depth=1
	v_add_u32_e32 v2, s11, v27
	ds_write_b32 v2, v13 offset:1024
	s_or_b64 exec, exec, s[8:9]
	v_cmp_gt_u32_e32 vcc, s13, v19
	s_and_saveexec_b64 s[8:9], vcc
	s_cbranch_execz .LBB1775_61
.LBB1775_77:                            ;   in Loop: Header=BB1775_55 Depth=1
	v_add_u32_e32 v2, s11, v26
	ds_write_b32 v2, v24 offset:1024
	s_or_b64 exec, exec, s[8:9]
	v_cmp_gt_u32_e32 vcc, s13, v20
	s_and_saveexec_b64 s[8:9], vcc
	s_cbranch_execz .LBB1775_62
.LBB1775_78:                            ;   in Loop: Header=BB1775_55 Depth=1
	v_add_u32_e32 v2, s11, v25
	ds_write_b32 v2, v8 offset:1024
	s_or_b64 exec, exec, s[8:9]
	v_cmp_gt_u32_e32 vcc, s13, v21
	s_and_saveexec_b64 s[8:9], vcc
	s_cbranch_execnz .LBB1775_63
	s_branch .LBB1775_64
.LBB1775_79:
	s_mov_b64 s[10:11], 0
                                        ; implicit-def: $vgpr2
                                        ; implicit-def: $vgpr10
	s_cbranch_execnz .LBB1775_83
	s_branch .LBB1775_140
.LBB1775_80:
	s_add_i32 s22, s22, -1
	s_cmp_eq_u32 s22, s2
	s_cselect_b64 s[6:7], -1, 0
	s_and_b64 s[6:7], s[4:5], s[6:7]
	s_mov_b64 s[4:5], 0
	s_mov_b64 s[10:11], 0
                                        ; implicit-def: $vgpr2
	s_and_saveexec_b64 s[8:9], s[6:7]
	s_xor_b64 s[6:7], exec, s[8:9]
; %bb.81:
	s_mov_b64 s[10:11], exec
	v_add_u32_e32 v2, v16, v18
; %bb.82:
	s_or_b64 exec, exec, s[6:7]
	s_and_b64 vcc, exec, s[4:5]
	s_cbranch_vccz .LBB1775_140
.LBB1775_83:
	s_lshl_b32 s4, s2, 13
	s_mov_b32 s5, 0
	s_lshl_b64 s[4:5], s[4:5], 2
	v_mbcnt_hi_u32_b32 v4, -1, v1
	v_and_b32_e32 v10, 0x3ff, v0
	s_add_u32 s4, s24, s4
	v_and_b32_e32 v1, 63, v4
	s_addc_u32 s5, s25, s5
	v_mov_b32_e32 v3, 0
	v_lshlrev_b32_e32 v2, 2, v1
	v_lshlrev_b32_e32 v1, 5, v10
	v_lshl_add_u64 v[6:7], s[4:5], 0, v[2:3]
	v_and_b32_e32 v2, 0x7800, v1
	v_lshl_add_u64 v[14:15], v[6:7], 0, v[2:3]
	global_load_dword v1, v[14:15], off
	s_load_dword s4, s[0:1], 0x64
	s_load_dword s3, s[0:1], 0x58
	s_add_u32 s0, s0, 0x58
	s_addc_u32 s1, s1, 0
	v_mul_u32_u24_e32 v5, 5, v10
	s_waitcnt lgkmcnt(0)
	s_lshr_b32 s4, s4, 16
	s_cmp_lt_u32 s2, s3
	s_cselect_b32 s5, 12, 18
	s_add_u32 s0, s0, s5
	s_addc_u32 s1, s1, 0
	global_load_ushort v9, v3, s[0:1]
	v_lshlrev_b32_e32 v5, 2, v5
	ds_write2_b32 v5, v3, v3 offset0:16 offset1:17
	ds_write2_b32 v5, v3, v3 offset0:18 offset1:19
	ds_write_b32 v5, v3 offset:80
	global_load_dword v7, v[14:15], off offset:256
	global_load_dword v8, v[14:15], off offset:512
	;; [unrolled: 1-line block ×7, first 2 shown]
	v_bfe_u32 v2, v0, 10, 10
	v_bfe_u32 v6, v0, 20, 10
	v_mad_u32_u24 v11, v6, s4, v2
	s_lshl_b32 s0, -1, s21
	s_not_b32 s14, s0
	v_mov_b32_e32 v0, v3
	v_mov_b32_e32 v24, v3
	;; [unrolled: 1-line block ×5, first 2 shown]
	s_waitcnt lgkmcnt(0)
	s_barrier
	s_waitcnt lgkmcnt(0)
	; wave barrier
	s_waitcnt vmcnt(8)
	v_xor_b32_e32 v6, 0x80000000, v1
	v_lshrrev_b32_e32 v1, s20, v6
	v_and_b32_e32 v13, s14, v1
	v_and_b32_e32 v2, 1, v13
	v_lshlrev_b32_e32 v1, 30, v13
	v_lshlrev_b32_e32 v19, 29, v13
	;; [unrolled: 1-line block ×3, first 2 shown]
	v_lshl_add_u64 v[30:31], v[2:3], 0, -1
	v_cmp_ne_u32_e32 vcc, 0, v2
	v_lshl_add_u32 v17, v13, 4, v13
	s_waitcnt vmcnt(7)
	v_mad_u64_u32 v[14:15], s[0:1], v11, v9, v[10:11]
	v_cmp_gt_i64_e64 s[0:1], 0, v[0:1]
	v_not_b32_e32 v0, v1
	v_lshlrev_b32_e32 v23, 28, v13
	v_not_b32_e32 v1, v19
	v_cmp_gt_i64_e64 s[8:9], 0, v[24:25]
	v_lshrrev_b32_e32 v24, 6, v14
	v_xor_b32_e32 v15, vcc_lo, v30
	v_ashrrev_i32_e32 v0, 31, v0
	v_cmp_gt_i64_e64 s[4:5], 0, v[18:19]
	v_not_b32_e32 v2, v23
	v_xor_b32_e32 v11, vcc_hi, v31
	v_ashrrev_i32_e32 v1, 31, v1
	v_add_lshl_u32 v14, v24, v17, 2
	v_and_b32_e32 v15, exec_lo, v15
	v_xor_b32_e32 v17, s1, v0
	v_xor_b32_e32 v0, s0, v0
	v_cmp_gt_i64_e64 s[6:7], 0, v[22:23]
	v_ashrrev_i32_e32 v2, 31, v2
	v_and_b32_e32 v11, exec_hi, v11
	v_xor_b32_e32 v18, s5, v1
	v_xor_b32_e32 v1, s4, v1
	v_and_b32_e32 v0, v15, v0
	v_lshlrev_b32_e32 v29, 26, v13
	v_not_b32_e32 v9, v25
	v_xor_b32_e32 v19, s7, v2
	v_xor_b32_e32 v2, s6, v2
	v_and_b32_e32 v11, v11, v17
	v_and_b32_e32 v0, v0, v1
	v_ashrrev_i32_e32 v9, 31, v9
	v_and_b32_e32 v11, v11, v18
	v_and_b32_e32 v0, v0, v2
	v_not_b32_e32 v2, v29
	v_xor_b32_e32 v22, s9, v9
	v_xor_b32_e32 v9, s8, v9
	v_and_b32_e32 v1, v11, v19
	v_cmp_gt_i64_e32 vcc, 0, v[28:29]
	v_ashrrev_i32_e32 v2, 31, v2
	v_and_b32_e32 v1, v1, v22
	v_and_b32_e32 v0, v0, v9
	v_xor_b32_e32 v9, vcc_hi, v2
	v_xor_b32_e32 v2, vcc_lo, v2
	v_and_b32_e32 v9, v1, v9
	v_and_b32_e32 v2, v0, v2
	v_lshlrev_b32_e32 v1, 25, v13
	v_mov_b32_e32 v0, v3
	v_cmp_gt_i64_e32 vcc, 0, v[0:1]
	v_not_b32_e32 v0, v1
	v_ashrrev_i32_e32 v0, 31, v0
	v_xor_b32_e32 v1, vcc_hi, v0
	v_xor_b32_e32 v0, vcc_lo, v0
	v_and_b32_e32 v9, v9, v1
	v_and_b32_e32 v2, v2, v0
	v_lshlrev_b32_e32 v1, 24, v13
	v_mov_b32_e32 v0, v3
	v_cmp_gt_i64_e32 vcc, 0, v[0:1]
	v_not_b32_e32 v0, v1
	v_ashrrev_i32_e32 v0, 31, v0
	v_xor_b32_e32 v1, vcc_hi, v0
	v_xor_b32_e32 v0, vcc_lo, v0
	v_and_b32_e32 v0, v2, v0
	v_and_b32_e32 v1, v9, v1
	v_mbcnt_lo_u32_b32 v2, v0, 0
	v_mbcnt_hi_u32_b32 v9, v1, v2
	v_cmp_eq_u32_e32 vcc, 0, v9
	v_cmp_ne_u64_e64 s[0:1], 0, v[0:1]
	s_and_b64 s[4:5], s[0:1], vcc
	s_and_saveexec_b64 s[0:1], s[4:5]
	s_cbranch_execz .LBB1775_85
; %bb.84:
	v_bcnt_u32_b32 v0, v0, 0
	v_bcnt_u32_b32 v0, v1, v0
	ds_write_b32 v14, v0 offset:64
.LBB1775_85:
	s_or_b64 exec, exec, s[0:1]
	s_waitcnt vmcnt(6)
	v_xor_b32_e32 v7, 0x80000000, v7
	v_lshrrev_b32_e32 v0, s20, v7
	v_and_b32_e32 v13, s14, v0
	v_lshl_add_u32 v0, v13, 4, v13
	v_and_b32_e32 v2, 1, v13
	v_add_lshl_u32 v17, v24, v0, 2
	v_lshl_add_u64 v[0:1], v[2:3], 0, -1
	v_cmp_ne_u32_e32 vcc, 0, v2
	; wave barrier
	s_nop 1
	v_xor_b32_e32 v1, vcc_hi, v1
	v_xor_b32_e32 v0, vcc_lo, v0
	v_and_b32_e32 v2, exec_hi, v1
	v_and_b32_e32 v15, exec_lo, v0
	v_lshlrev_b32_e32 v1, 30, v13
	v_mov_b32_e32 v0, v3
	v_cmp_gt_i64_e32 vcc, 0, v[0:1]
	v_not_b32_e32 v0, v1
	v_ashrrev_i32_e32 v0, 31, v0
	v_xor_b32_e32 v1, vcc_hi, v0
	v_xor_b32_e32 v0, vcc_lo, v0
	v_and_b32_e32 v2, v2, v1
	v_and_b32_e32 v15, v15, v0
	v_lshlrev_b32_e32 v1, 29, v13
	v_mov_b32_e32 v0, v3
	v_cmp_gt_i64_e32 vcc, 0, v[0:1]
	v_not_b32_e32 v0, v1
	v_ashrrev_i32_e32 v0, 31, v0
	v_xor_b32_e32 v1, vcc_hi, v0
	v_xor_b32_e32 v0, vcc_lo, v0
	v_and_b32_e32 v2, v2, v1
	v_and_b32_e32 v15, v15, v0
	;; [unrolled: 9-line block ×6, first 2 shown]
	v_lshlrev_b32_e32 v1, 24, v13
	v_mov_b32_e32 v0, v3
	v_cmp_gt_i64_e32 vcc, 0, v[0:1]
	v_not_b32_e32 v0, v1
	v_ashrrev_i32_e32 v0, 31, v0
	v_xor_b32_e32 v1, vcc_hi, v0
	v_xor_b32_e32 v0, vcc_lo, v0
	ds_read_b32 v11, v17 offset:64
	v_and_b32_e32 v0, v15, v0
	v_and_b32_e32 v1, v2, v1
	v_mbcnt_lo_u32_b32 v2, v0, 0
	v_mbcnt_hi_u32_b32 v13, v1, v2
	v_cmp_eq_u32_e32 vcc, 0, v13
	v_cmp_ne_u64_e64 s[0:1], 0, v[0:1]
	s_and_b64 s[4:5], s[0:1], vcc
	; wave barrier
	s_and_saveexec_b64 s[0:1], s[4:5]
	s_cbranch_execz .LBB1775_87
; %bb.86:
	v_bcnt_u32_b32 v0, v0, 0
	v_bcnt_u32_b32 v0, v1, v0
	s_waitcnt lgkmcnt(0)
	v_add_u32_e32 v0, v11, v0
	ds_write_b32 v17, v0 offset:64
.LBB1775_87:
	s_or_b64 exec, exec, s[0:1]
	s_waitcnt vmcnt(5)
	v_xor_b32_e32 v8, 0x80000000, v8
	v_lshrrev_b32_e32 v0, s20, v8
	v_and_b32_e32 v18, s14, v0
	v_lshl_add_u32 v0, v18, 4, v18
	v_add_lshl_u32 v22, v24, v0, 2
	v_and_b32_e32 v0, 1, v18
	v_mov_b32_e32 v1, 0
	v_lshl_add_u64 v[2:3], v[0:1], 0, -1
	v_cmp_ne_u32_e32 vcc, 0, v0
	; wave barrier
	s_nop 1
	v_xor_b32_e32 v2, vcc_lo, v2
	v_xor_b32_e32 v0, vcc_hi, v3
	v_and_b32_e32 v19, exec_lo, v2
	v_lshlrev_b32_e32 v3, 30, v18
	v_mov_b32_e32 v2, v1
	v_cmp_gt_i64_e32 vcc, 0, v[2:3]
	v_not_b32_e32 v2, v3
	v_ashrrev_i32_e32 v2, 31, v2
	v_and_b32_e32 v0, exec_hi, v0
	v_xor_b32_e32 v3, vcc_hi, v2
	v_xor_b32_e32 v2, vcc_lo, v2
	v_and_b32_e32 v0, v0, v3
	v_and_b32_e32 v19, v19, v2
	v_lshlrev_b32_e32 v3, 29, v18
	v_mov_b32_e32 v2, v1
	v_cmp_gt_i64_e32 vcc, 0, v[2:3]
	v_not_b32_e32 v2, v3
	v_ashrrev_i32_e32 v2, 31, v2
	v_xor_b32_e32 v3, vcc_hi, v2
	v_xor_b32_e32 v2, vcc_lo, v2
	v_and_b32_e32 v0, v0, v3
	v_and_b32_e32 v19, v19, v2
	v_lshlrev_b32_e32 v3, 28, v18
	v_mov_b32_e32 v2, v1
	v_cmp_gt_i64_e32 vcc, 0, v[2:3]
	v_not_b32_e32 v2, v3
	v_ashrrev_i32_e32 v2, 31, v2
	;; [unrolled: 9-line block ×6, first 2 shown]
	v_xor_b32_e32 v3, vcc_hi, v2
	v_xor_b32_e32 v2, vcc_lo, v2
	ds_read_b32 v15, v22 offset:64
	v_and_b32_e32 v2, v19, v2
	v_and_b32_e32 v3, v0, v3
	v_mbcnt_lo_u32_b32 v0, v2, 0
	v_mbcnt_hi_u32_b32 v18, v3, v0
	v_cmp_eq_u32_e32 vcc, 0, v18
	v_cmp_ne_u64_e64 s[0:1], 0, v[2:3]
	s_and_b64 s[4:5], s[0:1], vcc
	; wave barrier
	s_and_saveexec_b64 s[0:1], s[4:5]
	s_cbranch_execz .LBB1775_89
; %bb.88:
	v_bcnt_u32_b32 v0, v2, 0
	v_bcnt_u32_b32 v0, v3, v0
	s_waitcnt lgkmcnt(0)
	v_add_u32_e32 v0, v15, v0
	ds_write_b32 v22, v0 offset:64
.LBB1775_89:
	s_or_b64 exec, exec, s[0:1]
	s_waitcnt vmcnt(4)
	v_xor_b32_e32 v12, 0x80000000, v12
	v_lshrrev_b32_e32 v0, s20, v12
	v_and_b32_e32 v23, s14, v0
	v_lshl_add_u32 v0, v23, 4, v23
	v_add_lshl_u32 v27, v24, v0, 2
	v_and_b32_e32 v0, 1, v23
	v_lshl_add_u64 v[2:3], v[0:1], 0, -1
	v_cmp_ne_u32_e32 vcc, 0, v0
	; wave barrier
	s_nop 1
	v_xor_b32_e32 v2, vcc_lo, v2
	v_xor_b32_e32 v0, vcc_hi, v3
	v_and_b32_e32 v25, exec_lo, v2
	v_lshlrev_b32_e32 v3, 30, v23
	v_mov_b32_e32 v2, v1
	v_cmp_gt_i64_e32 vcc, 0, v[2:3]
	v_not_b32_e32 v2, v3
	v_ashrrev_i32_e32 v2, 31, v2
	v_and_b32_e32 v0, exec_hi, v0
	v_xor_b32_e32 v3, vcc_hi, v2
	v_xor_b32_e32 v2, vcc_lo, v2
	v_and_b32_e32 v0, v0, v3
	v_and_b32_e32 v25, v25, v2
	v_lshlrev_b32_e32 v3, 29, v23
	v_mov_b32_e32 v2, v1
	v_cmp_gt_i64_e32 vcc, 0, v[2:3]
	v_not_b32_e32 v2, v3
	v_ashrrev_i32_e32 v2, 31, v2
	v_xor_b32_e32 v3, vcc_hi, v2
	v_xor_b32_e32 v2, vcc_lo, v2
	v_and_b32_e32 v0, v0, v3
	v_and_b32_e32 v25, v25, v2
	v_lshlrev_b32_e32 v3, 28, v23
	v_mov_b32_e32 v2, v1
	v_cmp_gt_i64_e32 vcc, 0, v[2:3]
	v_not_b32_e32 v2, v3
	v_ashrrev_i32_e32 v2, 31, v2
	;; [unrolled: 9-line block ×5, first 2 shown]
	v_xor_b32_e32 v3, vcc_hi, v2
	v_xor_b32_e32 v2, vcc_lo, v2
	v_and_b32_e32 v0, v0, v3
	v_lshlrev_b32_e32 v3, 24, v23
	v_and_b32_e32 v25, v25, v2
	v_mov_b32_e32 v2, v1
	v_not_b32_e32 v1, v3
	v_cmp_gt_i64_e32 vcc, 0, v[2:3]
	v_ashrrev_i32_e32 v1, 31, v1
	ds_read_b32 v19, v27 offset:64
	v_xor_b32_e32 v2, vcc_hi, v1
	v_xor_b32_e32 v3, vcc_lo, v1
	v_and_b32_e32 v1, v0, v2
	v_and_b32_e32 v0, v25, v3
	v_mbcnt_lo_u32_b32 v2, v0, 0
	v_mbcnt_hi_u32_b32 v23, v1, v2
	v_cmp_eq_u32_e32 vcc, 0, v23
	v_cmp_ne_u64_e64 s[0:1], 0, v[0:1]
	s_and_b64 s[4:5], s[0:1], vcc
	; wave barrier
	s_and_saveexec_b64 s[0:1], s[4:5]
	s_cbranch_execz .LBB1775_91
; %bb.90:
	v_bcnt_u32_b32 v0, v0, 0
	v_bcnt_u32_b32 v0, v1, v0
	s_waitcnt lgkmcnt(0)
	v_add_u32_e32 v0, v19, v0
	ds_write_b32 v27, v0 offset:64
.LBB1775_91:
	s_or_b64 exec, exec, s[0:1]
	s_waitcnt vmcnt(3)
	v_xor_b32_e32 v16, 0x80000000, v16
	v_lshrrev_b32_e32 v0, s20, v16
	v_and_b32_e32 v28, s14, v0
	v_lshl_add_u32 v0, v28, 4, v28
	v_add_lshl_u32 v30, v24, v0, 2
	v_and_b32_e32 v0, 1, v28
	v_mov_b32_e32 v1, 0
	v_lshl_add_u64 v[2:3], v[0:1], 0, -1
	v_cmp_ne_u32_e32 vcc, 0, v0
	; wave barrier
	s_nop 1
	v_xor_b32_e32 v2, vcc_lo, v2
	v_xor_b32_e32 v0, vcc_hi, v3
	v_and_b32_e32 v29, exec_lo, v2
	v_lshlrev_b32_e32 v3, 30, v28
	v_mov_b32_e32 v2, v1
	v_cmp_gt_i64_e32 vcc, 0, v[2:3]
	v_not_b32_e32 v2, v3
	v_ashrrev_i32_e32 v2, 31, v2
	v_and_b32_e32 v0, exec_hi, v0
	v_xor_b32_e32 v3, vcc_hi, v2
	v_xor_b32_e32 v2, vcc_lo, v2
	v_and_b32_e32 v0, v0, v3
	v_and_b32_e32 v29, v29, v2
	v_lshlrev_b32_e32 v3, 29, v28
	v_mov_b32_e32 v2, v1
	v_cmp_gt_i64_e32 vcc, 0, v[2:3]
	v_not_b32_e32 v2, v3
	v_ashrrev_i32_e32 v2, 31, v2
	v_xor_b32_e32 v3, vcc_hi, v2
	v_xor_b32_e32 v2, vcc_lo, v2
	v_and_b32_e32 v0, v0, v3
	v_and_b32_e32 v29, v29, v2
	v_lshlrev_b32_e32 v3, 28, v28
	v_mov_b32_e32 v2, v1
	v_cmp_gt_i64_e32 vcc, 0, v[2:3]
	v_not_b32_e32 v2, v3
	v_ashrrev_i32_e32 v2, 31, v2
	;; [unrolled: 9-line block ×6, first 2 shown]
	v_xor_b32_e32 v3, vcc_hi, v2
	v_xor_b32_e32 v2, vcc_lo, v2
	ds_read_b32 v25, v30 offset:64
	v_and_b32_e32 v2, v29, v2
	v_and_b32_e32 v3, v0, v3
	v_mbcnt_lo_u32_b32 v0, v2, 0
	v_mbcnt_hi_u32_b32 v28, v3, v0
	v_cmp_eq_u32_e32 vcc, 0, v28
	v_cmp_ne_u64_e64 s[0:1], 0, v[2:3]
	s_and_b64 s[4:5], s[0:1], vcc
	; wave barrier
	s_and_saveexec_b64 s[0:1], s[4:5]
	s_cbranch_execz .LBB1775_93
; %bb.92:
	v_bcnt_u32_b32 v0, v2, 0
	v_bcnt_u32_b32 v0, v3, v0
	s_waitcnt lgkmcnt(0)
	v_add_u32_e32 v0, v25, v0
	ds_write_b32 v30, v0 offset:64
.LBB1775_93:
	s_or_b64 exec, exec, s[0:1]
	s_waitcnt vmcnt(2)
	v_xor_b32_e32 v20, 0x80000000, v20
	v_lshrrev_b32_e32 v0, s20, v20
	v_and_b32_e32 v31, s14, v0
	v_lshl_add_u32 v0, v31, 4, v31
	v_add_lshl_u32 v33, v24, v0, 2
	v_and_b32_e32 v0, 1, v31
	v_lshl_add_u64 v[2:3], v[0:1], 0, -1
	v_cmp_ne_u32_e32 vcc, 0, v0
	; wave barrier
	s_nop 1
	v_xor_b32_e32 v2, vcc_lo, v2
	v_xor_b32_e32 v0, vcc_hi, v3
	v_and_b32_e32 v32, exec_lo, v2
	v_lshlrev_b32_e32 v3, 30, v31
	v_mov_b32_e32 v2, v1
	v_cmp_gt_i64_e32 vcc, 0, v[2:3]
	v_not_b32_e32 v2, v3
	v_ashrrev_i32_e32 v2, 31, v2
	v_and_b32_e32 v0, exec_hi, v0
	v_xor_b32_e32 v3, vcc_hi, v2
	v_xor_b32_e32 v2, vcc_lo, v2
	v_and_b32_e32 v0, v0, v3
	v_and_b32_e32 v32, v32, v2
	v_lshlrev_b32_e32 v3, 29, v31
	v_mov_b32_e32 v2, v1
	v_cmp_gt_i64_e32 vcc, 0, v[2:3]
	v_not_b32_e32 v2, v3
	v_ashrrev_i32_e32 v2, 31, v2
	v_xor_b32_e32 v3, vcc_hi, v2
	v_xor_b32_e32 v2, vcc_lo, v2
	v_and_b32_e32 v0, v0, v3
	v_and_b32_e32 v32, v32, v2
	v_lshlrev_b32_e32 v3, 28, v31
	v_mov_b32_e32 v2, v1
	v_cmp_gt_i64_e32 vcc, 0, v[2:3]
	v_not_b32_e32 v2, v3
	v_ashrrev_i32_e32 v2, 31, v2
	;; [unrolled: 9-line block ×5, first 2 shown]
	v_xor_b32_e32 v3, vcc_hi, v2
	v_xor_b32_e32 v2, vcc_lo, v2
	v_and_b32_e32 v0, v0, v3
	v_lshlrev_b32_e32 v3, 24, v31
	v_and_b32_e32 v32, v32, v2
	v_mov_b32_e32 v2, v1
	v_not_b32_e32 v1, v3
	v_cmp_gt_i64_e32 vcc, 0, v[2:3]
	v_ashrrev_i32_e32 v1, 31, v1
	ds_read_b32 v29, v33 offset:64
	v_xor_b32_e32 v2, vcc_hi, v1
	v_xor_b32_e32 v3, vcc_lo, v1
	v_and_b32_e32 v1, v0, v2
	v_and_b32_e32 v0, v32, v3
	v_mbcnt_lo_u32_b32 v2, v0, 0
	v_mbcnt_hi_u32_b32 v31, v1, v2
	v_cmp_eq_u32_e32 vcc, 0, v31
	v_cmp_ne_u64_e64 s[0:1], 0, v[0:1]
	s_and_b64 s[4:5], s[0:1], vcc
	; wave barrier
	s_and_saveexec_b64 s[0:1], s[4:5]
	s_cbranch_execz .LBB1775_95
; %bb.94:
	v_bcnt_u32_b32 v0, v0, 0
	v_bcnt_u32_b32 v0, v1, v0
	s_waitcnt lgkmcnt(0)
	v_add_u32_e32 v0, v29, v0
	ds_write_b32 v33, v0 offset:64
.LBB1775_95:
	s_or_b64 exec, exec, s[0:1]
	s_waitcnt vmcnt(1)
	v_xor_b32_e32 v26, 0x80000000, v26
	v_lshrrev_b32_e32 v0, s20, v26
	v_and_b32_e32 v34, s14, v0
	v_lshl_add_u32 v0, v34, 4, v34
	v_add_lshl_u32 v36, v24, v0, 2
	v_and_b32_e32 v0, 1, v34
	v_mov_b32_e32 v1, 0
	v_lshl_add_u64 v[2:3], v[0:1], 0, -1
	v_cmp_ne_u32_e32 vcc, 0, v0
	; wave barrier
	s_nop 1
	v_xor_b32_e32 v2, vcc_lo, v2
	v_xor_b32_e32 v0, vcc_hi, v3
	v_and_b32_e32 v35, exec_lo, v2
	v_lshlrev_b32_e32 v3, 30, v34
	v_mov_b32_e32 v2, v1
	v_cmp_gt_i64_e32 vcc, 0, v[2:3]
	v_not_b32_e32 v2, v3
	v_ashrrev_i32_e32 v2, 31, v2
	v_and_b32_e32 v0, exec_hi, v0
	v_xor_b32_e32 v3, vcc_hi, v2
	v_xor_b32_e32 v2, vcc_lo, v2
	v_and_b32_e32 v0, v0, v3
	v_and_b32_e32 v35, v35, v2
	v_lshlrev_b32_e32 v3, 29, v34
	v_mov_b32_e32 v2, v1
	v_cmp_gt_i64_e32 vcc, 0, v[2:3]
	v_not_b32_e32 v2, v3
	v_ashrrev_i32_e32 v2, 31, v2
	v_xor_b32_e32 v3, vcc_hi, v2
	v_xor_b32_e32 v2, vcc_lo, v2
	v_and_b32_e32 v0, v0, v3
	v_and_b32_e32 v35, v35, v2
	v_lshlrev_b32_e32 v3, 28, v34
	v_mov_b32_e32 v2, v1
	v_cmp_gt_i64_e32 vcc, 0, v[2:3]
	v_not_b32_e32 v2, v3
	v_ashrrev_i32_e32 v2, 31, v2
	;; [unrolled: 9-line block ×6, first 2 shown]
	v_xor_b32_e32 v3, vcc_hi, v2
	v_xor_b32_e32 v2, vcc_lo, v2
	ds_read_b32 v32, v36 offset:64
	v_and_b32_e32 v2, v35, v2
	v_and_b32_e32 v3, v0, v3
	v_mbcnt_lo_u32_b32 v0, v2, 0
	v_mbcnt_hi_u32_b32 v34, v3, v0
	v_cmp_eq_u32_e32 vcc, 0, v34
	v_cmp_ne_u64_e64 s[0:1], 0, v[2:3]
	s_and_b64 s[4:5], s[0:1], vcc
	; wave barrier
	s_and_saveexec_b64 s[0:1], s[4:5]
	s_cbranch_execz .LBB1775_97
; %bb.96:
	v_bcnt_u32_b32 v0, v2, 0
	v_bcnt_u32_b32 v0, v3, v0
	s_waitcnt lgkmcnt(0)
	v_add_u32_e32 v0, v32, v0
	ds_write_b32 v36, v0 offset:64
.LBB1775_97:
	s_or_b64 exec, exec, s[0:1]
	s_waitcnt vmcnt(0)
	v_xor_b32_e32 v21, 0x80000000, v21
	v_lshrrev_b32_e32 v0, s20, v21
	v_and_b32_e32 v37, s14, v0
	v_lshl_add_u32 v0, v37, 4, v37
	v_add_lshl_u32 v38, v24, v0, 2
	v_and_b32_e32 v0, 1, v37
	v_lshl_add_u64 v[2:3], v[0:1], 0, -1
	v_cmp_ne_u32_e32 vcc, 0, v0
	; wave barrier
	s_nop 1
	v_xor_b32_e32 v2, vcc_lo, v2
	v_xor_b32_e32 v0, vcc_hi, v3
	v_and_b32_e32 v24, exec_lo, v2
	v_lshlrev_b32_e32 v3, 30, v37
	v_mov_b32_e32 v2, v1
	v_cmp_gt_i64_e32 vcc, 0, v[2:3]
	v_not_b32_e32 v2, v3
	v_ashrrev_i32_e32 v2, 31, v2
	v_and_b32_e32 v0, exec_hi, v0
	v_xor_b32_e32 v3, vcc_hi, v2
	v_xor_b32_e32 v2, vcc_lo, v2
	v_and_b32_e32 v0, v0, v3
	v_and_b32_e32 v24, v24, v2
	v_lshlrev_b32_e32 v3, 29, v37
	v_mov_b32_e32 v2, v1
	v_cmp_gt_i64_e32 vcc, 0, v[2:3]
	v_not_b32_e32 v2, v3
	v_ashrrev_i32_e32 v2, 31, v2
	v_xor_b32_e32 v3, vcc_hi, v2
	v_xor_b32_e32 v2, vcc_lo, v2
	v_and_b32_e32 v0, v0, v3
	v_and_b32_e32 v24, v24, v2
	v_lshlrev_b32_e32 v3, 28, v37
	v_mov_b32_e32 v2, v1
	v_cmp_gt_i64_e32 vcc, 0, v[2:3]
	v_not_b32_e32 v2, v3
	v_ashrrev_i32_e32 v2, 31, v2
	;; [unrolled: 9-line block ×5, first 2 shown]
	v_xor_b32_e32 v3, vcc_hi, v2
	v_xor_b32_e32 v2, vcc_lo, v2
	v_and_b32_e32 v0, v0, v3
	v_lshlrev_b32_e32 v3, 24, v37
	v_and_b32_e32 v24, v24, v2
	v_mov_b32_e32 v2, v1
	v_not_b32_e32 v1, v3
	v_cmp_gt_i64_e32 vcc, 0, v[2:3]
	v_ashrrev_i32_e32 v1, 31, v1
	ds_read_b32 v35, v38 offset:64
	v_xor_b32_e32 v2, vcc_hi, v1
	v_xor_b32_e32 v3, vcc_lo, v1
	v_and_b32_e32 v1, v0, v2
	v_and_b32_e32 v0, v24, v3
	v_mbcnt_lo_u32_b32 v2, v0, 0
	v_mbcnt_hi_u32_b32 v37, v1, v2
	v_cmp_eq_u32_e32 vcc, 0, v37
	v_cmp_ne_u64_e64 s[0:1], 0, v[0:1]
	v_add_u32_e32 v39, 64, v5
	s_and_b64 s[4:5], s[0:1], vcc
	; wave barrier
	s_and_saveexec_b64 s[0:1], s[4:5]
	s_cbranch_execz .LBB1775_99
; %bb.98:
	v_bcnt_u32_b32 v0, v0, 0
	v_bcnt_u32_b32 v0, v1, v0
	s_waitcnt lgkmcnt(0)
	v_add_u32_e32 v0, v35, v0
	ds_write_b32 v38, v0 offset:64
.LBB1775_99:
	s_or_b64 exec, exec, s[0:1]
	; wave barrier
	s_waitcnt lgkmcnt(0)
	s_barrier
	ds_read2_b32 v[2:3], v5 offset0:16 offset1:17
	ds_read2_b32 v[0:1], v39 offset0:2 offset1:3
	ds_read_b32 v24, v39 offset:16
	v_cmp_lt_u32_e64 s[8:9], 31, v4
	s_waitcnt lgkmcnt(1)
	v_add3_u32 v40, v3, v2, v0
	s_waitcnt lgkmcnt(0)
	v_add3_u32 v24, v40, v1, v24
	v_and_b32_e32 v40, 15, v4
	v_cmp_eq_u32_e32 vcc, 0, v40
	v_mov_b32_dpp v41, v24 row_shr:1 row_mask:0xf bank_mask:0xf
	v_cmp_lt_u32_e64 s[0:1], 1, v40
	v_cndmask_b32_e64 v41, v41, 0, vcc
	v_add_u32_e32 v24, v41, v24
	v_cmp_lt_u32_e64 s[6:7], 3, v40
	v_cmp_lt_u32_e64 s[4:5], 7, v40
	v_mov_b32_dpp v41, v24 row_shr:2 row_mask:0xf bank_mask:0xf
	v_cndmask_b32_e64 v41, 0, v41, s[0:1]
	v_add_u32_e32 v24, v24, v41
	s_nop 1
	v_mov_b32_dpp v41, v24 row_shr:4 row_mask:0xf bank_mask:0xf
	v_cndmask_b32_e64 v41, 0, v41, s[6:7]
	v_add_u32_e32 v24, v24, v41
	s_nop 1
	v_mov_b32_dpp v41, v24 row_shr:8 row_mask:0xf bank_mask:0xf
	v_cndmask_b32_e64 v40, 0, v41, s[4:5]
	v_add_u32_e32 v24, v24, v40
	v_bfe_i32 v41, v4, 4, 1
	s_nop 0
	v_mov_b32_dpp v40, v24 row_bcast:15 row_mask:0xf bank_mask:0xf
	v_and_b32_e32 v40, v41, v40
	v_add_u32_e32 v24, v24, v40
	v_lshrrev_b32_e32 v41, 6, v10
	s_nop 0
	v_mov_b32_dpp v40, v24 row_bcast:31 row_mask:0xf bank_mask:0xf
	v_cndmask_b32_e64 v40, 0, v40, s[8:9]
	v_add_u32_e32 v40, v24, v40
	v_and_b32_e32 v24, 63, v10
	v_cmp_eq_u32_e64 s[8:9], 63, v24
	s_and_saveexec_b64 s[12:13], s[8:9]
	s_cbranch_execz .LBB1775_101
; %bb.100:
	v_lshlrev_b32_e32 v24, 2, v41
	ds_write_b32 v24, v40
.LBB1775_101:
	s_or_b64 exec, exec, s[12:13]
	v_cmp_gt_u32_e64 s[8:9], 16, v10
	v_lshlrev_b32_e32 v24, 2, v10
	s_waitcnt lgkmcnt(0)
	s_barrier
	s_and_saveexec_b64 s[12:13], s[8:9]
	s_cbranch_execz .LBB1775_103
; %bb.102:
	ds_read_b32 v42, v24
	s_waitcnt lgkmcnt(0)
	s_nop 0
	v_mov_b32_dpp v43, v42 row_shr:1 row_mask:0xf bank_mask:0xf
	v_cndmask_b32_e64 v43, v43, 0, vcc
	v_add_u32_e32 v42, v43, v42
	s_nop 1
	v_mov_b32_dpp v43, v42 row_shr:2 row_mask:0xf bank_mask:0xf
	v_cndmask_b32_e64 v43, 0, v43, s[0:1]
	v_add_u32_e32 v42, v42, v43
	s_nop 1
	v_mov_b32_dpp v43, v42 row_shr:4 row_mask:0xf bank_mask:0xf
	v_cndmask_b32_e64 v43, 0, v43, s[6:7]
	;; [unrolled: 4-line block ×3, first 2 shown]
	v_add_u32_e32 v42, v42, v43
	ds_write_b32 v24, v42
.LBB1775_103:
	s_or_b64 exec, exec, s[12:13]
	v_cmp_lt_u32_e32 vcc, 63, v10
	v_mov_b32_e32 v42, 0
	s_waitcnt lgkmcnt(0)
	s_barrier
	s_and_saveexec_b64 s[0:1], vcc
	s_cbranch_execz .LBB1775_105
; %bb.104:
	v_lshl_add_u32 v41, v41, 2, -4
	ds_read_b32 v42, v41
.LBB1775_105:
	s_or_b64 exec, exec, s[0:1]
	v_add_u32_e32 v41, -1, v4
	v_and_b32_e32 v43, 64, v4
	v_cmp_lt_i32_e32 vcc, v41, v43
	s_waitcnt lgkmcnt(0)
	v_add_u32_e32 v40, v42, v40
	s_movk_i32 s0, 0x100
	v_cndmask_b32_e32 v41, v41, v4, vcc
	v_lshlrev_b32_e32 v41, 2, v41
	ds_bpermute_b32 v40, v41, v40
	v_cmp_eq_u32_e32 vcc, 0, v4
	v_cmp_gt_u32_e64 s[0:1], s0, v10
	s_waitcnt lgkmcnt(0)
	v_cndmask_b32_e32 v4, v40, v42, vcc
	v_cmp_ne_u32_e32 vcc, 0, v10
	s_nop 1
	v_cndmask_b32_e32 v4, 0, v4, vcc
	v_add_u32_e32 v2, v4, v2
	v_add_u32_e32 v3, v2, v3
	;; [unrolled: 1-line block ×4, first 2 shown]
	ds_write2_b32 v5, v4, v2 offset0:16 offset1:17
	ds_write2_b32 v39, v3, v0 offset0:2 offset1:3
	ds_write_b32 v39, v1 offset:16
	s_waitcnt lgkmcnt(0)
	s_barrier
	ds_read_b32 v43, v14 offset:64
	ds_read_b32 v39, v17 offset:64
	;; [unrolled: 1-line block ×8, first 2 shown]
                                        ; implicit-def: $vgpr14
                                        ; implicit-def: $vgpr17
	s_and_saveexec_b64 s[4:5], s[0:1]
	s_cbranch_execz .LBB1775_109
; %bb.106:
	v_mul_u32_u24_e32 v0, 17, v10
	v_lshlrev_b32_e32 v1, 2, v0
	ds_read_b32 v14, v1 offset:64
	s_movk_i32 s6, 0xff
	v_cmp_ne_u32_e32 vcc, s6, v10
	v_mov_b32_e32 v0, 0x2000
	s_and_saveexec_b64 s[6:7], vcc
	s_cbranch_execz .LBB1775_108
; %bb.107:
	ds_read_b32 v0, v1 offset:132
.LBB1775_108:
	s_or_b64 exec, exec, s[6:7]
	s_waitcnt lgkmcnt(0)
	v_sub_u32_e32 v17, v0, v14
.LBB1775_109:
	s_or_b64 exec, exec, s[4:5]
	s_waitcnt lgkmcnt(0)
	s_barrier
	s_and_saveexec_b64 s[4:5], s[0:1]
	s_cbranch_execz .LBB1775_119
; %bb.110:
	v_lshl_or_b32 v2, s2, 8, v10
	v_mov_b32_e32 v3, 0
	v_lshl_add_u64 v[0:1], v[2:3], 2, s[28:29]
	v_or_b32_e32 v2, 2.0, v17
	s_mov_b64 s[6:7], 0
	s_brev_b32 s15, 1
	s_mov_b32 s21, s2
	v_mov_b32_e32 v33, 0
	global_store_dword v[0:1], v2, off sc1
                                        ; implicit-def: $sgpr8_sgpr9
	s_branch .LBB1775_113
.LBB1775_111:                           ;   in Loop: Header=BB1775_113 Depth=1
	s_or_b64 exec, exec, s[12:13]
.LBB1775_112:                           ;   in Loop: Header=BB1775_113 Depth=1
	s_or_b64 exec, exec, s[8:9]
	v_and_b32_e32 v4, 0x3fffffff, v36
	v_add_u32_e32 v33, v4, v33
	v_cmp_eq_u32_e64 s[8:9], s15, v2
	s_and_b64 s[12:13], exec, s[8:9]
	s_or_b64 s[6:7], s[12:13], s[6:7]
	s_andn2_b64 exec, exec, s[6:7]
	s_cbranch_execz .LBB1775_118
.LBB1775_113:                           ; =>This Loop Header: Depth=1
                                        ;     Child Loop BB1775_116 Depth 2
	s_or_b64 s[8:9], s[8:9], exec
	s_cmp_eq_u32 s21, 0
	s_cbranch_scc1 .LBB1775_117
; %bb.114:                              ;   in Loop: Header=BB1775_113 Depth=1
	s_add_i32 s21, s21, -1
	v_lshl_or_b32 v2, s21, 8, v10
	v_lshl_add_u64 v[4:5], v[2:3], 2, s[28:29]
	global_load_dword v36, v[4:5], off sc1
	s_waitcnt vmcnt(0)
	v_and_b32_e32 v2, -2.0, v36
	v_cmp_eq_u32_e32 vcc, 0, v2
	s_and_saveexec_b64 s[8:9], vcc
	s_cbranch_execz .LBB1775_112
; %bb.115:                              ;   in Loop: Header=BB1775_113 Depth=1
	s_mov_b64 s[12:13], 0
.LBB1775_116:                           ;   Parent Loop BB1775_113 Depth=1
                                        ; =>  This Inner Loop Header: Depth=2
	global_load_dword v36, v[4:5], off sc1
	s_waitcnt vmcnt(0)
	v_and_b32_e32 v2, -2.0, v36
	v_cmp_ne_u32_e32 vcc, 0, v2
	s_or_b64 s[12:13], vcc, s[12:13]
	s_andn2_b64 exec, exec, s[12:13]
	s_cbranch_execnz .LBB1775_116
	s_branch .LBB1775_111
.LBB1775_117:                           ;   in Loop: Header=BB1775_113 Depth=1
                                        ; implicit-def: $sgpr21
	s_and_b64 s[12:13], exec, s[8:9]
	s_or_b64 s[6:7], s[12:13], s[6:7]
	s_andn2_b64 exec, exec, s[6:7]
	s_cbranch_execnz .LBB1775_113
.LBB1775_118:
	s_or_b64 exec, exec, s[6:7]
	v_add_u32_e32 v2, v33, v17
	v_or_b32_e32 v2, 0x80000000, v2
	global_store_dword v[0:1], v2, off sc1
	global_load_dword v0, v24, s[16:17]
	v_sub_u32_e32 v1, v33, v14
	s_waitcnt vmcnt(0)
	v_add_u32_e32 v0, v1, v0
	ds_write_b32 v24, v0
.LBB1775_119:
	s_or_b64 exec, exec, s[4:5]
	v_add_u32_e32 v0, v37, v35
	v_add_u32_e32 v1, v34, v32
	;; [unrolled: 1-line block ×8, first 2 shown]
	s_movk_i32 s8, 0x400
	v_add_u32_e32 v3, 0x400, v24
	v_add_lshl_u32 v4, v0, v27, 2
	v_add3_u32 v5, v37, v27, v35
	v_add_lshl_u32 v9, v1, v22, 2
	v_add3_u32 v22, v34, v22, v32
	;; [unrolled: 2-line block ×7, first 2 shown]
	v_lshlrev_b32_e32 v13, 2, v2
	s_mov_b64 s[4:5], -1
	s_mov_b32 s9, 0
	s_mov_b32 s12, 0
	s_movk_i32 s13, 0x1000
	s_movk_i32 s15, 0x800
	;; [unrolled: 1-line block ×3, first 2 shown]
	v_mov_b32_e32 v1, 0
	v_mov_b32_e32 v31, v10
	s_branch .LBB1775_121
.LBB1775_120:                           ;   in Loop: Header=BB1775_121 Depth=1
	s_or_b64 exec, exec, s[6:7]
	s_waitcnt lgkmcnt(0)
	s_barrier
	ds_read_b32 v0, v24 offset:1024
	ds_read2st64_b32 v[32:33], v3 offset0:16 offset1:32
	s_xor_b64 s[6:7], s[4:5], -1
	s_addk_i32 s9, 0xc000
	s_addk_i32 s12, 0xf000
	s_waitcnt lgkmcnt(1)
	v_lshrrev_b32_e32 v34, s20, v0
	v_and_b32_e32 v34, s14, v34
	v_xor_b32_e32 v36, 0x80000000, v0
	v_lshlrev_b32_e32 v0, 2, v34
	s_waitcnt lgkmcnt(0)
	v_lshrrev_b32_e32 v34, s20, v32
	v_and_b32_e32 v34, s14, v34
	v_lshrrev_b32_e32 v35, s20, v33
	ds_read_b32 v0, v0
	v_lshlrev_b32_e32 v34, 2, v34
	v_and_b32_e32 v35, s14, v35
	v_lshlrev_b32_e32 v35, 2, v35
	ds_read_b32 v37, v34
	ds_read_b32 v38, v35
	ds_read_b32 v39, v3 offset:12288
	s_waitcnt lgkmcnt(3)
	v_add_u32_e32 v0, v31, v0
	v_lshl_add_u64 v[34:35], v[0:1], 2, s[26:27]
	s_waitcnt lgkmcnt(2)
	v_add3_u32 v0, v31, v37, s8
	global_store_dword v[34:35], v36, off
	v_lshl_add_u64 v[34:35], v[0:1], 2, s[26:27]
	s_waitcnt lgkmcnt(0)
	v_lshrrev_b32_e32 v0, s20, v39
	v_and_b32_e32 v0, s14, v0
	v_xor_b32_e32 v32, 0x80000000, v32
	v_lshlrev_b32_e32 v0, 2, v0
	global_store_dword v[34:35], v32, off
	ds_read_b32 v35, v0
	v_add3_u32 v0, v31, v38, s15
	v_xor_b32_e32 v34, 0x80000000, v33
	v_lshl_add_u64 v[32:33], v[0:1], 2, s[26:27]
	global_store_dword v[32:33], v34, off
	s_waitcnt lgkmcnt(0)
	v_add3_u32 v0, v31, v35, s16
	v_xor_b32_e32 v34, 0x80000000, v39
	v_lshl_add_u64 v[32:33], v[0:1], 2, s[26:27]
	v_add_u32_e32 v31, 0x1000, v31
	s_mov_b64 s[4:5], 0
	s_and_b64 vcc, exec, s[6:7]
	global_store_dword v[32:33], v34, off
	s_barrier
	s_cbranch_vccnz .LBB1775_137
.LBB1775_121:                           ; =>This Inner Loop Header: Depth=1
	v_add_u32_e32 v0, s12, v2
	v_cmp_gt_u32_e32 vcc, s13, v0
	s_and_saveexec_b64 s[6:7], vcc
	s_cbranch_execz .LBB1775_123
; %bb.122:                              ;   in Loop: Header=BB1775_121 Depth=1
	v_add_u32_e32 v0, s9, v13
	ds_write_b32 v0, v6 offset:1024
.LBB1775_123:                           ;   in Loop: Header=BB1775_121 Depth=1
	s_or_b64 exec, exec, s[6:7]
	v_add_u32_e32 v0, s12, v11
	v_cmp_gt_u32_e32 vcc, s13, v0
	s_and_saveexec_b64 s[6:7], vcc
	s_cbranch_execz .LBB1775_125
; %bb.124:                              ;   in Loop: Header=BB1775_121 Depth=1
	v_add_u32_e32 v0, s9, v18
	ds_write_b32 v0, v7 offset:1024
.LBB1775_125:                           ;   in Loop: Header=BB1775_121 Depth=1
	s_or_b64 exec, exec, s[6:7]
	;; [unrolled: 9-line block ×7, first 2 shown]
	v_add_u32_e32 v0, s12, v5
	v_cmp_gt_u32_e32 vcc, s13, v0
	s_and_saveexec_b64 s[6:7], vcc
	s_cbranch_execz .LBB1775_120
; %bb.136:                              ;   in Loop: Header=BB1775_121 Depth=1
	v_add_u32_e32 v0, s9, v4
	ds_write_b32 v0, v21 offset:1024
	s_branch .LBB1775_120
.LBB1775_137:
	s_add_i32 s3, s3, -1
	s_cmp_eq_u32 s3, s2
	s_cselect_b64 s[2:3], -1, 0
	s_and_b64 s[2:3], s[0:1], s[2:3]
                                        ; implicit-def: $vgpr2
	s_and_saveexec_b64 s[0:1], s[2:3]
; %bb.138:
	v_add_u32_e32 v2, v14, v17
	s_or_b64 s[10:11], s[10:11], exec
; %bb.139:
	s_or_b64 exec, exec, s[0:1]
.LBB1775_140:
	s_and_saveexec_b64 s[0:1], s[10:11]
	s_cbranch_execnz .LBB1775_142
; %bb.141:
	s_endpgm
.LBB1775_142:
	v_lshlrev_b32_e32 v0, 2, v10
	ds_read_b32 v3, v0
	v_mov_b32_e32 v0, s18
	v_mov_b32_e32 v1, s19
	;; [unrolled: 1-line block ×3, first 2 shown]
	v_lshl_add_u64 v[0:1], v[10:11], 2, v[0:1]
	s_waitcnt lgkmcnt(0)
	v_add_u32_e32 v2, v3, v2
	global_store_dword v[0:1], v2, off
	s_endpgm
	.section	.rodata,"a",@progbits
	.p2align	6, 0x0
	.amdhsa_kernel _ZN7rocprim17ROCPRIM_400000_NS6detail17trampoline_kernelINS0_14default_configENS1_35radix_sort_onesweep_config_selectorIiNS0_10empty_typeEEEZZNS1_29radix_sort_onesweep_iterationIS3_Lb0EN6thrust23THRUST_200600_302600_NS6detail15normal_iteratorINS9_10device_ptrIiEEEESE_PS5_SF_jNS0_19identity_decomposerENS1_16block_id_wrapperIjLb0EEEEE10hipError_tT1_PNSt15iterator_traitsISK_E10value_typeET2_T3_PNSL_ISQ_E10value_typeET4_T5_PSV_SW_PNS1_23onesweep_lookback_stateEbbT6_jjT7_P12ihipStream_tbENKUlT_T0_SK_SP_E_clISE_SE_SF_SF_EEDaS13_S14_SK_SP_EUlS13_E_NS1_11comp_targetILNS1_3genE5ELNS1_11target_archE942ELNS1_3gpuE9ELNS1_3repE0EEENS1_47radix_sort_onesweep_sort_config_static_selectorELNS0_4arch9wavefront6targetE1EEEvSK_
		.amdhsa_group_segment_fixed_size 20552
		.amdhsa_private_segment_fixed_size 0
		.amdhsa_kernarg_size 344
		.amdhsa_user_sgpr_count 2
		.amdhsa_user_sgpr_dispatch_ptr 0
		.amdhsa_user_sgpr_queue_ptr 0
		.amdhsa_user_sgpr_kernarg_segment_ptr 1
		.amdhsa_user_sgpr_dispatch_id 0
		.amdhsa_user_sgpr_kernarg_preload_length 0
		.amdhsa_user_sgpr_kernarg_preload_offset 0
		.amdhsa_user_sgpr_private_segment_size 0
		.amdhsa_uses_dynamic_stack 0
		.amdhsa_enable_private_segment 0
		.amdhsa_system_sgpr_workgroup_id_x 1
		.amdhsa_system_sgpr_workgroup_id_y 0
		.amdhsa_system_sgpr_workgroup_id_z 0
		.amdhsa_system_sgpr_workgroup_info 0
		.amdhsa_system_vgpr_workitem_id 2
		.amdhsa_next_free_vgpr 46
		.amdhsa_next_free_sgpr 30
		.amdhsa_accum_offset 48
		.amdhsa_reserve_vcc 1
		.amdhsa_float_round_mode_32 0
		.amdhsa_float_round_mode_16_64 0
		.amdhsa_float_denorm_mode_32 3
		.amdhsa_float_denorm_mode_16_64 3
		.amdhsa_dx10_clamp 1
		.amdhsa_ieee_mode 1
		.amdhsa_fp16_overflow 0
		.amdhsa_tg_split 0
		.amdhsa_exception_fp_ieee_invalid_op 0
		.amdhsa_exception_fp_denorm_src 0
		.amdhsa_exception_fp_ieee_div_zero 0
		.amdhsa_exception_fp_ieee_overflow 0
		.amdhsa_exception_fp_ieee_underflow 0
		.amdhsa_exception_fp_ieee_inexact 0
		.amdhsa_exception_int_div_zero 0
	.end_amdhsa_kernel
	.section	.text._ZN7rocprim17ROCPRIM_400000_NS6detail17trampoline_kernelINS0_14default_configENS1_35radix_sort_onesweep_config_selectorIiNS0_10empty_typeEEEZZNS1_29radix_sort_onesweep_iterationIS3_Lb0EN6thrust23THRUST_200600_302600_NS6detail15normal_iteratorINS9_10device_ptrIiEEEESE_PS5_SF_jNS0_19identity_decomposerENS1_16block_id_wrapperIjLb0EEEEE10hipError_tT1_PNSt15iterator_traitsISK_E10value_typeET2_T3_PNSL_ISQ_E10value_typeET4_T5_PSV_SW_PNS1_23onesweep_lookback_stateEbbT6_jjT7_P12ihipStream_tbENKUlT_T0_SK_SP_E_clISE_SE_SF_SF_EEDaS13_S14_SK_SP_EUlS13_E_NS1_11comp_targetILNS1_3genE5ELNS1_11target_archE942ELNS1_3gpuE9ELNS1_3repE0EEENS1_47radix_sort_onesweep_sort_config_static_selectorELNS0_4arch9wavefront6targetE1EEEvSK_,"axG",@progbits,_ZN7rocprim17ROCPRIM_400000_NS6detail17trampoline_kernelINS0_14default_configENS1_35radix_sort_onesweep_config_selectorIiNS0_10empty_typeEEEZZNS1_29radix_sort_onesweep_iterationIS3_Lb0EN6thrust23THRUST_200600_302600_NS6detail15normal_iteratorINS9_10device_ptrIiEEEESE_PS5_SF_jNS0_19identity_decomposerENS1_16block_id_wrapperIjLb0EEEEE10hipError_tT1_PNSt15iterator_traitsISK_E10value_typeET2_T3_PNSL_ISQ_E10value_typeET4_T5_PSV_SW_PNS1_23onesweep_lookback_stateEbbT6_jjT7_P12ihipStream_tbENKUlT_T0_SK_SP_E_clISE_SE_SF_SF_EEDaS13_S14_SK_SP_EUlS13_E_NS1_11comp_targetILNS1_3genE5ELNS1_11target_archE942ELNS1_3gpuE9ELNS1_3repE0EEENS1_47radix_sort_onesweep_sort_config_static_selectorELNS0_4arch9wavefront6targetE1EEEvSK_,comdat
.Lfunc_end1775:
	.size	_ZN7rocprim17ROCPRIM_400000_NS6detail17trampoline_kernelINS0_14default_configENS1_35radix_sort_onesweep_config_selectorIiNS0_10empty_typeEEEZZNS1_29radix_sort_onesweep_iterationIS3_Lb0EN6thrust23THRUST_200600_302600_NS6detail15normal_iteratorINS9_10device_ptrIiEEEESE_PS5_SF_jNS0_19identity_decomposerENS1_16block_id_wrapperIjLb0EEEEE10hipError_tT1_PNSt15iterator_traitsISK_E10value_typeET2_T3_PNSL_ISQ_E10value_typeET4_T5_PSV_SW_PNS1_23onesweep_lookback_stateEbbT6_jjT7_P12ihipStream_tbENKUlT_T0_SK_SP_E_clISE_SE_SF_SF_EEDaS13_S14_SK_SP_EUlS13_E_NS1_11comp_targetILNS1_3genE5ELNS1_11target_archE942ELNS1_3gpuE9ELNS1_3repE0EEENS1_47radix_sort_onesweep_sort_config_static_selectorELNS0_4arch9wavefront6targetE1EEEvSK_, .Lfunc_end1775-_ZN7rocprim17ROCPRIM_400000_NS6detail17trampoline_kernelINS0_14default_configENS1_35radix_sort_onesweep_config_selectorIiNS0_10empty_typeEEEZZNS1_29radix_sort_onesweep_iterationIS3_Lb0EN6thrust23THRUST_200600_302600_NS6detail15normal_iteratorINS9_10device_ptrIiEEEESE_PS5_SF_jNS0_19identity_decomposerENS1_16block_id_wrapperIjLb0EEEEE10hipError_tT1_PNSt15iterator_traitsISK_E10value_typeET2_T3_PNSL_ISQ_E10value_typeET4_T5_PSV_SW_PNS1_23onesweep_lookback_stateEbbT6_jjT7_P12ihipStream_tbENKUlT_T0_SK_SP_E_clISE_SE_SF_SF_EEDaS13_S14_SK_SP_EUlS13_E_NS1_11comp_targetILNS1_3genE5ELNS1_11target_archE942ELNS1_3gpuE9ELNS1_3repE0EEENS1_47radix_sort_onesweep_sort_config_static_selectorELNS0_4arch9wavefront6targetE1EEEvSK_
                                        ; -- End function
	.section	.AMDGPU.csdata,"",@progbits
; Kernel info:
; codeLenInByte = 11324
; NumSgprs: 36
; NumVgprs: 46
; NumAgprs: 0
; TotalNumVgprs: 46
; ScratchSize: 0
; MemoryBound: 0
; FloatMode: 240
; IeeeMode: 1
; LDSByteSize: 20552 bytes/workgroup (compile time only)
; SGPRBlocks: 4
; VGPRBlocks: 5
; NumSGPRsForWavesPerEU: 36
; NumVGPRsForWavesPerEU: 46
; AccumOffset: 48
; Occupancy: 8
; WaveLimiterHint : 1
; COMPUTE_PGM_RSRC2:SCRATCH_EN: 0
; COMPUTE_PGM_RSRC2:USER_SGPR: 2
; COMPUTE_PGM_RSRC2:TRAP_HANDLER: 0
; COMPUTE_PGM_RSRC2:TGID_X_EN: 1
; COMPUTE_PGM_RSRC2:TGID_Y_EN: 0
; COMPUTE_PGM_RSRC2:TGID_Z_EN: 0
; COMPUTE_PGM_RSRC2:TIDIG_COMP_CNT: 2
; COMPUTE_PGM_RSRC3_GFX90A:ACCUM_OFFSET: 11
; COMPUTE_PGM_RSRC3_GFX90A:TG_SPLIT: 0
	.section	.text._ZN7rocprim17ROCPRIM_400000_NS6detail17trampoline_kernelINS0_14default_configENS1_35radix_sort_onesweep_config_selectorIiNS0_10empty_typeEEEZZNS1_29radix_sort_onesweep_iterationIS3_Lb0EN6thrust23THRUST_200600_302600_NS6detail15normal_iteratorINS9_10device_ptrIiEEEESE_PS5_SF_jNS0_19identity_decomposerENS1_16block_id_wrapperIjLb0EEEEE10hipError_tT1_PNSt15iterator_traitsISK_E10value_typeET2_T3_PNSL_ISQ_E10value_typeET4_T5_PSV_SW_PNS1_23onesweep_lookback_stateEbbT6_jjT7_P12ihipStream_tbENKUlT_T0_SK_SP_E_clISE_SE_SF_SF_EEDaS13_S14_SK_SP_EUlS13_E_NS1_11comp_targetILNS1_3genE2ELNS1_11target_archE906ELNS1_3gpuE6ELNS1_3repE0EEENS1_47radix_sort_onesweep_sort_config_static_selectorELNS0_4arch9wavefront6targetE1EEEvSK_,"axG",@progbits,_ZN7rocprim17ROCPRIM_400000_NS6detail17trampoline_kernelINS0_14default_configENS1_35radix_sort_onesweep_config_selectorIiNS0_10empty_typeEEEZZNS1_29radix_sort_onesweep_iterationIS3_Lb0EN6thrust23THRUST_200600_302600_NS6detail15normal_iteratorINS9_10device_ptrIiEEEESE_PS5_SF_jNS0_19identity_decomposerENS1_16block_id_wrapperIjLb0EEEEE10hipError_tT1_PNSt15iterator_traitsISK_E10value_typeET2_T3_PNSL_ISQ_E10value_typeET4_T5_PSV_SW_PNS1_23onesweep_lookback_stateEbbT6_jjT7_P12ihipStream_tbENKUlT_T0_SK_SP_E_clISE_SE_SF_SF_EEDaS13_S14_SK_SP_EUlS13_E_NS1_11comp_targetILNS1_3genE2ELNS1_11target_archE906ELNS1_3gpuE6ELNS1_3repE0EEENS1_47radix_sort_onesweep_sort_config_static_selectorELNS0_4arch9wavefront6targetE1EEEvSK_,comdat
	.protected	_ZN7rocprim17ROCPRIM_400000_NS6detail17trampoline_kernelINS0_14default_configENS1_35radix_sort_onesweep_config_selectorIiNS0_10empty_typeEEEZZNS1_29radix_sort_onesweep_iterationIS3_Lb0EN6thrust23THRUST_200600_302600_NS6detail15normal_iteratorINS9_10device_ptrIiEEEESE_PS5_SF_jNS0_19identity_decomposerENS1_16block_id_wrapperIjLb0EEEEE10hipError_tT1_PNSt15iterator_traitsISK_E10value_typeET2_T3_PNSL_ISQ_E10value_typeET4_T5_PSV_SW_PNS1_23onesweep_lookback_stateEbbT6_jjT7_P12ihipStream_tbENKUlT_T0_SK_SP_E_clISE_SE_SF_SF_EEDaS13_S14_SK_SP_EUlS13_E_NS1_11comp_targetILNS1_3genE2ELNS1_11target_archE906ELNS1_3gpuE6ELNS1_3repE0EEENS1_47radix_sort_onesweep_sort_config_static_selectorELNS0_4arch9wavefront6targetE1EEEvSK_ ; -- Begin function _ZN7rocprim17ROCPRIM_400000_NS6detail17trampoline_kernelINS0_14default_configENS1_35radix_sort_onesweep_config_selectorIiNS0_10empty_typeEEEZZNS1_29radix_sort_onesweep_iterationIS3_Lb0EN6thrust23THRUST_200600_302600_NS6detail15normal_iteratorINS9_10device_ptrIiEEEESE_PS5_SF_jNS0_19identity_decomposerENS1_16block_id_wrapperIjLb0EEEEE10hipError_tT1_PNSt15iterator_traitsISK_E10value_typeET2_T3_PNSL_ISQ_E10value_typeET4_T5_PSV_SW_PNS1_23onesweep_lookback_stateEbbT6_jjT7_P12ihipStream_tbENKUlT_T0_SK_SP_E_clISE_SE_SF_SF_EEDaS13_S14_SK_SP_EUlS13_E_NS1_11comp_targetILNS1_3genE2ELNS1_11target_archE906ELNS1_3gpuE6ELNS1_3repE0EEENS1_47radix_sort_onesweep_sort_config_static_selectorELNS0_4arch9wavefront6targetE1EEEvSK_
	.globl	_ZN7rocprim17ROCPRIM_400000_NS6detail17trampoline_kernelINS0_14default_configENS1_35radix_sort_onesweep_config_selectorIiNS0_10empty_typeEEEZZNS1_29radix_sort_onesweep_iterationIS3_Lb0EN6thrust23THRUST_200600_302600_NS6detail15normal_iteratorINS9_10device_ptrIiEEEESE_PS5_SF_jNS0_19identity_decomposerENS1_16block_id_wrapperIjLb0EEEEE10hipError_tT1_PNSt15iterator_traitsISK_E10value_typeET2_T3_PNSL_ISQ_E10value_typeET4_T5_PSV_SW_PNS1_23onesweep_lookback_stateEbbT6_jjT7_P12ihipStream_tbENKUlT_T0_SK_SP_E_clISE_SE_SF_SF_EEDaS13_S14_SK_SP_EUlS13_E_NS1_11comp_targetILNS1_3genE2ELNS1_11target_archE906ELNS1_3gpuE6ELNS1_3repE0EEENS1_47radix_sort_onesweep_sort_config_static_selectorELNS0_4arch9wavefront6targetE1EEEvSK_
	.p2align	8
	.type	_ZN7rocprim17ROCPRIM_400000_NS6detail17trampoline_kernelINS0_14default_configENS1_35radix_sort_onesweep_config_selectorIiNS0_10empty_typeEEEZZNS1_29radix_sort_onesweep_iterationIS3_Lb0EN6thrust23THRUST_200600_302600_NS6detail15normal_iteratorINS9_10device_ptrIiEEEESE_PS5_SF_jNS0_19identity_decomposerENS1_16block_id_wrapperIjLb0EEEEE10hipError_tT1_PNSt15iterator_traitsISK_E10value_typeET2_T3_PNSL_ISQ_E10value_typeET4_T5_PSV_SW_PNS1_23onesweep_lookback_stateEbbT6_jjT7_P12ihipStream_tbENKUlT_T0_SK_SP_E_clISE_SE_SF_SF_EEDaS13_S14_SK_SP_EUlS13_E_NS1_11comp_targetILNS1_3genE2ELNS1_11target_archE906ELNS1_3gpuE6ELNS1_3repE0EEENS1_47radix_sort_onesweep_sort_config_static_selectorELNS0_4arch9wavefront6targetE1EEEvSK_,@function
_ZN7rocprim17ROCPRIM_400000_NS6detail17trampoline_kernelINS0_14default_configENS1_35radix_sort_onesweep_config_selectorIiNS0_10empty_typeEEEZZNS1_29radix_sort_onesweep_iterationIS3_Lb0EN6thrust23THRUST_200600_302600_NS6detail15normal_iteratorINS9_10device_ptrIiEEEESE_PS5_SF_jNS0_19identity_decomposerENS1_16block_id_wrapperIjLb0EEEEE10hipError_tT1_PNSt15iterator_traitsISK_E10value_typeET2_T3_PNSL_ISQ_E10value_typeET4_T5_PSV_SW_PNS1_23onesweep_lookback_stateEbbT6_jjT7_P12ihipStream_tbENKUlT_T0_SK_SP_E_clISE_SE_SF_SF_EEDaS13_S14_SK_SP_EUlS13_E_NS1_11comp_targetILNS1_3genE2ELNS1_11target_archE906ELNS1_3gpuE6ELNS1_3repE0EEENS1_47radix_sort_onesweep_sort_config_static_selectorELNS0_4arch9wavefront6targetE1EEEvSK_: ; @_ZN7rocprim17ROCPRIM_400000_NS6detail17trampoline_kernelINS0_14default_configENS1_35radix_sort_onesweep_config_selectorIiNS0_10empty_typeEEEZZNS1_29radix_sort_onesweep_iterationIS3_Lb0EN6thrust23THRUST_200600_302600_NS6detail15normal_iteratorINS9_10device_ptrIiEEEESE_PS5_SF_jNS0_19identity_decomposerENS1_16block_id_wrapperIjLb0EEEEE10hipError_tT1_PNSt15iterator_traitsISK_E10value_typeET2_T3_PNSL_ISQ_E10value_typeET4_T5_PSV_SW_PNS1_23onesweep_lookback_stateEbbT6_jjT7_P12ihipStream_tbENKUlT_T0_SK_SP_E_clISE_SE_SF_SF_EEDaS13_S14_SK_SP_EUlS13_E_NS1_11comp_targetILNS1_3genE2ELNS1_11target_archE906ELNS1_3gpuE6ELNS1_3repE0EEENS1_47radix_sort_onesweep_sort_config_static_selectorELNS0_4arch9wavefront6targetE1EEEvSK_
; %bb.0:
	.section	.rodata,"a",@progbits
	.p2align	6, 0x0
	.amdhsa_kernel _ZN7rocprim17ROCPRIM_400000_NS6detail17trampoline_kernelINS0_14default_configENS1_35radix_sort_onesweep_config_selectorIiNS0_10empty_typeEEEZZNS1_29radix_sort_onesweep_iterationIS3_Lb0EN6thrust23THRUST_200600_302600_NS6detail15normal_iteratorINS9_10device_ptrIiEEEESE_PS5_SF_jNS0_19identity_decomposerENS1_16block_id_wrapperIjLb0EEEEE10hipError_tT1_PNSt15iterator_traitsISK_E10value_typeET2_T3_PNSL_ISQ_E10value_typeET4_T5_PSV_SW_PNS1_23onesweep_lookback_stateEbbT6_jjT7_P12ihipStream_tbENKUlT_T0_SK_SP_E_clISE_SE_SF_SF_EEDaS13_S14_SK_SP_EUlS13_E_NS1_11comp_targetILNS1_3genE2ELNS1_11target_archE906ELNS1_3gpuE6ELNS1_3repE0EEENS1_47radix_sort_onesweep_sort_config_static_selectorELNS0_4arch9wavefront6targetE1EEEvSK_
		.amdhsa_group_segment_fixed_size 0
		.amdhsa_private_segment_fixed_size 0
		.amdhsa_kernarg_size 88
		.amdhsa_user_sgpr_count 2
		.amdhsa_user_sgpr_dispatch_ptr 0
		.amdhsa_user_sgpr_queue_ptr 0
		.amdhsa_user_sgpr_kernarg_segment_ptr 1
		.amdhsa_user_sgpr_dispatch_id 0
		.amdhsa_user_sgpr_kernarg_preload_length 0
		.amdhsa_user_sgpr_kernarg_preload_offset 0
		.amdhsa_user_sgpr_private_segment_size 0
		.amdhsa_uses_dynamic_stack 0
		.amdhsa_enable_private_segment 0
		.amdhsa_system_sgpr_workgroup_id_x 1
		.amdhsa_system_sgpr_workgroup_id_y 0
		.amdhsa_system_sgpr_workgroup_id_z 0
		.amdhsa_system_sgpr_workgroup_info 0
		.amdhsa_system_vgpr_workitem_id 0
		.amdhsa_next_free_vgpr 1
		.amdhsa_next_free_sgpr 0
		.amdhsa_accum_offset 4
		.amdhsa_reserve_vcc 0
		.amdhsa_float_round_mode_32 0
		.amdhsa_float_round_mode_16_64 0
		.amdhsa_float_denorm_mode_32 3
		.amdhsa_float_denorm_mode_16_64 3
		.amdhsa_dx10_clamp 1
		.amdhsa_ieee_mode 1
		.amdhsa_fp16_overflow 0
		.amdhsa_tg_split 0
		.amdhsa_exception_fp_ieee_invalid_op 0
		.amdhsa_exception_fp_denorm_src 0
		.amdhsa_exception_fp_ieee_div_zero 0
		.amdhsa_exception_fp_ieee_overflow 0
		.amdhsa_exception_fp_ieee_underflow 0
		.amdhsa_exception_fp_ieee_inexact 0
		.amdhsa_exception_int_div_zero 0
	.end_amdhsa_kernel
	.section	.text._ZN7rocprim17ROCPRIM_400000_NS6detail17trampoline_kernelINS0_14default_configENS1_35radix_sort_onesweep_config_selectorIiNS0_10empty_typeEEEZZNS1_29radix_sort_onesweep_iterationIS3_Lb0EN6thrust23THRUST_200600_302600_NS6detail15normal_iteratorINS9_10device_ptrIiEEEESE_PS5_SF_jNS0_19identity_decomposerENS1_16block_id_wrapperIjLb0EEEEE10hipError_tT1_PNSt15iterator_traitsISK_E10value_typeET2_T3_PNSL_ISQ_E10value_typeET4_T5_PSV_SW_PNS1_23onesweep_lookback_stateEbbT6_jjT7_P12ihipStream_tbENKUlT_T0_SK_SP_E_clISE_SE_SF_SF_EEDaS13_S14_SK_SP_EUlS13_E_NS1_11comp_targetILNS1_3genE2ELNS1_11target_archE906ELNS1_3gpuE6ELNS1_3repE0EEENS1_47radix_sort_onesweep_sort_config_static_selectorELNS0_4arch9wavefront6targetE1EEEvSK_,"axG",@progbits,_ZN7rocprim17ROCPRIM_400000_NS6detail17trampoline_kernelINS0_14default_configENS1_35radix_sort_onesweep_config_selectorIiNS0_10empty_typeEEEZZNS1_29radix_sort_onesweep_iterationIS3_Lb0EN6thrust23THRUST_200600_302600_NS6detail15normal_iteratorINS9_10device_ptrIiEEEESE_PS5_SF_jNS0_19identity_decomposerENS1_16block_id_wrapperIjLb0EEEEE10hipError_tT1_PNSt15iterator_traitsISK_E10value_typeET2_T3_PNSL_ISQ_E10value_typeET4_T5_PSV_SW_PNS1_23onesweep_lookback_stateEbbT6_jjT7_P12ihipStream_tbENKUlT_T0_SK_SP_E_clISE_SE_SF_SF_EEDaS13_S14_SK_SP_EUlS13_E_NS1_11comp_targetILNS1_3genE2ELNS1_11target_archE906ELNS1_3gpuE6ELNS1_3repE0EEENS1_47radix_sort_onesweep_sort_config_static_selectorELNS0_4arch9wavefront6targetE1EEEvSK_,comdat
.Lfunc_end1776:
	.size	_ZN7rocprim17ROCPRIM_400000_NS6detail17trampoline_kernelINS0_14default_configENS1_35radix_sort_onesweep_config_selectorIiNS0_10empty_typeEEEZZNS1_29radix_sort_onesweep_iterationIS3_Lb0EN6thrust23THRUST_200600_302600_NS6detail15normal_iteratorINS9_10device_ptrIiEEEESE_PS5_SF_jNS0_19identity_decomposerENS1_16block_id_wrapperIjLb0EEEEE10hipError_tT1_PNSt15iterator_traitsISK_E10value_typeET2_T3_PNSL_ISQ_E10value_typeET4_T5_PSV_SW_PNS1_23onesweep_lookback_stateEbbT6_jjT7_P12ihipStream_tbENKUlT_T0_SK_SP_E_clISE_SE_SF_SF_EEDaS13_S14_SK_SP_EUlS13_E_NS1_11comp_targetILNS1_3genE2ELNS1_11target_archE906ELNS1_3gpuE6ELNS1_3repE0EEENS1_47radix_sort_onesweep_sort_config_static_selectorELNS0_4arch9wavefront6targetE1EEEvSK_, .Lfunc_end1776-_ZN7rocprim17ROCPRIM_400000_NS6detail17trampoline_kernelINS0_14default_configENS1_35radix_sort_onesweep_config_selectorIiNS0_10empty_typeEEEZZNS1_29radix_sort_onesweep_iterationIS3_Lb0EN6thrust23THRUST_200600_302600_NS6detail15normal_iteratorINS9_10device_ptrIiEEEESE_PS5_SF_jNS0_19identity_decomposerENS1_16block_id_wrapperIjLb0EEEEE10hipError_tT1_PNSt15iterator_traitsISK_E10value_typeET2_T3_PNSL_ISQ_E10value_typeET4_T5_PSV_SW_PNS1_23onesweep_lookback_stateEbbT6_jjT7_P12ihipStream_tbENKUlT_T0_SK_SP_E_clISE_SE_SF_SF_EEDaS13_S14_SK_SP_EUlS13_E_NS1_11comp_targetILNS1_3genE2ELNS1_11target_archE906ELNS1_3gpuE6ELNS1_3repE0EEENS1_47radix_sort_onesweep_sort_config_static_selectorELNS0_4arch9wavefront6targetE1EEEvSK_
                                        ; -- End function
	.section	.AMDGPU.csdata,"",@progbits
; Kernel info:
; codeLenInByte = 0
; NumSgprs: 6
; NumVgprs: 0
; NumAgprs: 0
; TotalNumVgprs: 0
; ScratchSize: 0
; MemoryBound: 0
; FloatMode: 240
; IeeeMode: 1
; LDSByteSize: 0 bytes/workgroup (compile time only)
; SGPRBlocks: 0
; VGPRBlocks: 0
; NumSGPRsForWavesPerEU: 6
; NumVGPRsForWavesPerEU: 1
; AccumOffset: 4
; Occupancy: 8
; WaveLimiterHint : 0
; COMPUTE_PGM_RSRC2:SCRATCH_EN: 0
; COMPUTE_PGM_RSRC2:USER_SGPR: 2
; COMPUTE_PGM_RSRC2:TRAP_HANDLER: 0
; COMPUTE_PGM_RSRC2:TGID_X_EN: 1
; COMPUTE_PGM_RSRC2:TGID_Y_EN: 0
; COMPUTE_PGM_RSRC2:TGID_Z_EN: 0
; COMPUTE_PGM_RSRC2:TIDIG_COMP_CNT: 0
; COMPUTE_PGM_RSRC3_GFX90A:ACCUM_OFFSET: 0
; COMPUTE_PGM_RSRC3_GFX90A:TG_SPLIT: 0
	.section	.text._ZN7rocprim17ROCPRIM_400000_NS6detail17trampoline_kernelINS0_14default_configENS1_35radix_sort_onesweep_config_selectorIiNS0_10empty_typeEEEZZNS1_29radix_sort_onesweep_iterationIS3_Lb0EN6thrust23THRUST_200600_302600_NS6detail15normal_iteratorINS9_10device_ptrIiEEEESE_PS5_SF_jNS0_19identity_decomposerENS1_16block_id_wrapperIjLb0EEEEE10hipError_tT1_PNSt15iterator_traitsISK_E10value_typeET2_T3_PNSL_ISQ_E10value_typeET4_T5_PSV_SW_PNS1_23onesweep_lookback_stateEbbT6_jjT7_P12ihipStream_tbENKUlT_T0_SK_SP_E_clISE_SE_SF_SF_EEDaS13_S14_SK_SP_EUlS13_E_NS1_11comp_targetILNS1_3genE4ELNS1_11target_archE910ELNS1_3gpuE8ELNS1_3repE0EEENS1_47radix_sort_onesweep_sort_config_static_selectorELNS0_4arch9wavefront6targetE1EEEvSK_,"axG",@progbits,_ZN7rocprim17ROCPRIM_400000_NS6detail17trampoline_kernelINS0_14default_configENS1_35radix_sort_onesweep_config_selectorIiNS0_10empty_typeEEEZZNS1_29radix_sort_onesweep_iterationIS3_Lb0EN6thrust23THRUST_200600_302600_NS6detail15normal_iteratorINS9_10device_ptrIiEEEESE_PS5_SF_jNS0_19identity_decomposerENS1_16block_id_wrapperIjLb0EEEEE10hipError_tT1_PNSt15iterator_traitsISK_E10value_typeET2_T3_PNSL_ISQ_E10value_typeET4_T5_PSV_SW_PNS1_23onesweep_lookback_stateEbbT6_jjT7_P12ihipStream_tbENKUlT_T0_SK_SP_E_clISE_SE_SF_SF_EEDaS13_S14_SK_SP_EUlS13_E_NS1_11comp_targetILNS1_3genE4ELNS1_11target_archE910ELNS1_3gpuE8ELNS1_3repE0EEENS1_47radix_sort_onesweep_sort_config_static_selectorELNS0_4arch9wavefront6targetE1EEEvSK_,comdat
	.protected	_ZN7rocprim17ROCPRIM_400000_NS6detail17trampoline_kernelINS0_14default_configENS1_35radix_sort_onesweep_config_selectorIiNS0_10empty_typeEEEZZNS1_29radix_sort_onesweep_iterationIS3_Lb0EN6thrust23THRUST_200600_302600_NS6detail15normal_iteratorINS9_10device_ptrIiEEEESE_PS5_SF_jNS0_19identity_decomposerENS1_16block_id_wrapperIjLb0EEEEE10hipError_tT1_PNSt15iterator_traitsISK_E10value_typeET2_T3_PNSL_ISQ_E10value_typeET4_T5_PSV_SW_PNS1_23onesweep_lookback_stateEbbT6_jjT7_P12ihipStream_tbENKUlT_T0_SK_SP_E_clISE_SE_SF_SF_EEDaS13_S14_SK_SP_EUlS13_E_NS1_11comp_targetILNS1_3genE4ELNS1_11target_archE910ELNS1_3gpuE8ELNS1_3repE0EEENS1_47radix_sort_onesweep_sort_config_static_selectorELNS0_4arch9wavefront6targetE1EEEvSK_ ; -- Begin function _ZN7rocprim17ROCPRIM_400000_NS6detail17trampoline_kernelINS0_14default_configENS1_35radix_sort_onesweep_config_selectorIiNS0_10empty_typeEEEZZNS1_29radix_sort_onesweep_iterationIS3_Lb0EN6thrust23THRUST_200600_302600_NS6detail15normal_iteratorINS9_10device_ptrIiEEEESE_PS5_SF_jNS0_19identity_decomposerENS1_16block_id_wrapperIjLb0EEEEE10hipError_tT1_PNSt15iterator_traitsISK_E10value_typeET2_T3_PNSL_ISQ_E10value_typeET4_T5_PSV_SW_PNS1_23onesweep_lookback_stateEbbT6_jjT7_P12ihipStream_tbENKUlT_T0_SK_SP_E_clISE_SE_SF_SF_EEDaS13_S14_SK_SP_EUlS13_E_NS1_11comp_targetILNS1_3genE4ELNS1_11target_archE910ELNS1_3gpuE8ELNS1_3repE0EEENS1_47radix_sort_onesweep_sort_config_static_selectorELNS0_4arch9wavefront6targetE1EEEvSK_
	.globl	_ZN7rocprim17ROCPRIM_400000_NS6detail17trampoline_kernelINS0_14default_configENS1_35radix_sort_onesweep_config_selectorIiNS0_10empty_typeEEEZZNS1_29radix_sort_onesweep_iterationIS3_Lb0EN6thrust23THRUST_200600_302600_NS6detail15normal_iteratorINS9_10device_ptrIiEEEESE_PS5_SF_jNS0_19identity_decomposerENS1_16block_id_wrapperIjLb0EEEEE10hipError_tT1_PNSt15iterator_traitsISK_E10value_typeET2_T3_PNSL_ISQ_E10value_typeET4_T5_PSV_SW_PNS1_23onesweep_lookback_stateEbbT6_jjT7_P12ihipStream_tbENKUlT_T0_SK_SP_E_clISE_SE_SF_SF_EEDaS13_S14_SK_SP_EUlS13_E_NS1_11comp_targetILNS1_3genE4ELNS1_11target_archE910ELNS1_3gpuE8ELNS1_3repE0EEENS1_47radix_sort_onesweep_sort_config_static_selectorELNS0_4arch9wavefront6targetE1EEEvSK_
	.p2align	8
	.type	_ZN7rocprim17ROCPRIM_400000_NS6detail17trampoline_kernelINS0_14default_configENS1_35radix_sort_onesweep_config_selectorIiNS0_10empty_typeEEEZZNS1_29radix_sort_onesweep_iterationIS3_Lb0EN6thrust23THRUST_200600_302600_NS6detail15normal_iteratorINS9_10device_ptrIiEEEESE_PS5_SF_jNS0_19identity_decomposerENS1_16block_id_wrapperIjLb0EEEEE10hipError_tT1_PNSt15iterator_traitsISK_E10value_typeET2_T3_PNSL_ISQ_E10value_typeET4_T5_PSV_SW_PNS1_23onesweep_lookback_stateEbbT6_jjT7_P12ihipStream_tbENKUlT_T0_SK_SP_E_clISE_SE_SF_SF_EEDaS13_S14_SK_SP_EUlS13_E_NS1_11comp_targetILNS1_3genE4ELNS1_11target_archE910ELNS1_3gpuE8ELNS1_3repE0EEENS1_47radix_sort_onesweep_sort_config_static_selectorELNS0_4arch9wavefront6targetE1EEEvSK_,@function
_ZN7rocprim17ROCPRIM_400000_NS6detail17trampoline_kernelINS0_14default_configENS1_35radix_sort_onesweep_config_selectorIiNS0_10empty_typeEEEZZNS1_29radix_sort_onesweep_iterationIS3_Lb0EN6thrust23THRUST_200600_302600_NS6detail15normal_iteratorINS9_10device_ptrIiEEEESE_PS5_SF_jNS0_19identity_decomposerENS1_16block_id_wrapperIjLb0EEEEE10hipError_tT1_PNSt15iterator_traitsISK_E10value_typeET2_T3_PNSL_ISQ_E10value_typeET4_T5_PSV_SW_PNS1_23onesweep_lookback_stateEbbT6_jjT7_P12ihipStream_tbENKUlT_T0_SK_SP_E_clISE_SE_SF_SF_EEDaS13_S14_SK_SP_EUlS13_E_NS1_11comp_targetILNS1_3genE4ELNS1_11target_archE910ELNS1_3gpuE8ELNS1_3repE0EEENS1_47radix_sort_onesweep_sort_config_static_selectorELNS0_4arch9wavefront6targetE1EEEvSK_: ; @_ZN7rocprim17ROCPRIM_400000_NS6detail17trampoline_kernelINS0_14default_configENS1_35radix_sort_onesweep_config_selectorIiNS0_10empty_typeEEEZZNS1_29radix_sort_onesweep_iterationIS3_Lb0EN6thrust23THRUST_200600_302600_NS6detail15normal_iteratorINS9_10device_ptrIiEEEESE_PS5_SF_jNS0_19identity_decomposerENS1_16block_id_wrapperIjLb0EEEEE10hipError_tT1_PNSt15iterator_traitsISK_E10value_typeET2_T3_PNSL_ISQ_E10value_typeET4_T5_PSV_SW_PNS1_23onesweep_lookback_stateEbbT6_jjT7_P12ihipStream_tbENKUlT_T0_SK_SP_E_clISE_SE_SF_SF_EEDaS13_S14_SK_SP_EUlS13_E_NS1_11comp_targetILNS1_3genE4ELNS1_11target_archE910ELNS1_3gpuE8ELNS1_3repE0EEENS1_47radix_sort_onesweep_sort_config_static_selectorELNS0_4arch9wavefront6targetE1EEEvSK_
; %bb.0:
	.section	.rodata,"a",@progbits
	.p2align	6, 0x0
	.amdhsa_kernel _ZN7rocprim17ROCPRIM_400000_NS6detail17trampoline_kernelINS0_14default_configENS1_35radix_sort_onesweep_config_selectorIiNS0_10empty_typeEEEZZNS1_29radix_sort_onesweep_iterationIS3_Lb0EN6thrust23THRUST_200600_302600_NS6detail15normal_iteratorINS9_10device_ptrIiEEEESE_PS5_SF_jNS0_19identity_decomposerENS1_16block_id_wrapperIjLb0EEEEE10hipError_tT1_PNSt15iterator_traitsISK_E10value_typeET2_T3_PNSL_ISQ_E10value_typeET4_T5_PSV_SW_PNS1_23onesweep_lookback_stateEbbT6_jjT7_P12ihipStream_tbENKUlT_T0_SK_SP_E_clISE_SE_SF_SF_EEDaS13_S14_SK_SP_EUlS13_E_NS1_11comp_targetILNS1_3genE4ELNS1_11target_archE910ELNS1_3gpuE8ELNS1_3repE0EEENS1_47radix_sort_onesweep_sort_config_static_selectorELNS0_4arch9wavefront6targetE1EEEvSK_
		.amdhsa_group_segment_fixed_size 0
		.amdhsa_private_segment_fixed_size 0
		.amdhsa_kernarg_size 88
		.amdhsa_user_sgpr_count 2
		.amdhsa_user_sgpr_dispatch_ptr 0
		.amdhsa_user_sgpr_queue_ptr 0
		.amdhsa_user_sgpr_kernarg_segment_ptr 1
		.amdhsa_user_sgpr_dispatch_id 0
		.amdhsa_user_sgpr_kernarg_preload_length 0
		.amdhsa_user_sgpr_kernarg_preload_offset 0
		.amdhsa_user_sgpr_private_segment_size 0
		.amdhsa_uses_dynamic_stack 0
		.amdhsa_enable_private_segment 0
		.amdhsa_system_sgpr_workgroup_id_x 1
		.amdhsa_system_sgpr_workgroup_id_y 0
		.amdhsa_system_sgpr_workgroup_id_z 0
		.amdhsa_system_sgpr_workgroup_info 0
		.amdhsa_system_vgpr_workitem_id 0
		.amdhsa_next_free_vgpr 1
		.amdhsa_next_free_sgpr 0
		.amdhsa_accum_offset 4
		.amdhsa_reserve_vcc 0
		.amdhsa_float_round_mode_32 0
		.amdhsa_float_round_mode_16_64 0
		.amdhsa_float_denorm_mode_32 3
		.amdhsa_float_denorm_mode_16_64 3
		.amdhsa_dx10_clamp 1
		.amdhsa_ieee_mode 1
		.amdhsa_fp16_overflow 0
		.amdhsa_tg_split 0
		.amdhsa_exception_fp_ieee_invalid_op 0
		.amdhsa_exception_fp_denorm_src 0
		.amdhsa_exception_fp_ieee_div_zero 0
		.amdhsa_exception_fp_ieee_overflow 0
		.amdhsa_exception_fp_ieee_underflow 0
		.amdhsa_exception_fp_ieee_inexact 0
		.amdhsa_exception_int_div_zero 0
	.end_amdhsa_kernel
	.section	.text._ZN7rocprim17ROCPRIM_400000_NS6detail17trampoline_kernelINS0_14default_configENS1_35radix_sort_onesweep_config_selectorIiNS0_10empty_typeEEEZZNS1_29radix_sort_onesweep_iterationIS3_Lb0EN6thrust23THRUST_200600_302600_NS6detail15normal_iteratorINS9_10device_ptrIiEEEESE_PS5_SF_jNS0_19identity_decomposerENS1_16block_id_wrapperIjLb0EEEEE10hipError_tT1_PNSt15iterator_traitsISK_E10value_typeET2_T3_PNSL_ISQ_E10value_typeET4_T5_PSV_SW_PNS1_23onesweep_lookback_stateEbbT6_jjT7_P12ihipStream_tbENKUlT_T0_SK_SP_E_clISE_SE_SF_SF_EEDaS13_S14_SK_SP_EUlS13_E_NS1_11comp_targetILNS1_3genE4ELNS1_11target_archE910ELNS1_3gpuE8ELNS1_3repE0EEENS1_47radix_sort_onesweep_sort_config_static_selectorELNS0_4arch9wavefront6targetE1EEEvSK_,"axG",@progbits,_ZN7rocprim17ROCPRIM_400000_NS6detail17trampoline_kernelINS0_14default_configENS1_35radix_sort_onesweep_config_selectorIiNS0_10empty_typeEEEZZNS1_29radix_sort_onesweep_iterationIS3_Lb0EN6thrust23THRUST_200600_302600_NS6detail15normal_iteratorINS9_10device_ptrIiEEEESE_PS5_SF_jNS0_19identity_decomposerENS1_16block_id_wrapperIjLb0EEEEE10hipError_tT1_PNSt15iterator_traitsISK_E10value_typeET2_T3_PNSL_ISQ_E10value_typeET4_T5_PSV_SW_PNS1_23onesweep_lookback_stateEbbT6_jjT7_P12ihipStream_tbENKUlT_T0_SK_SP_E_clISE_SE_SF_SF_EEDaS13_S14_SK_SP_EUlS13_E_NS1_11comp_targetILNS1_3genE4ELNS1_11target_archE910ELNS1_3gpuE8ELNS1_3repE0EEENS1_47radix_sort_onesweep_sort_config_static_selectorELNS0_4arch9wavefront6targetE1EEEvSK_,comdat
.Lfunc_end1777:
	.size	_ZN7rocprim17ROCPRIM_400000_NS6detail17trampoline_kernelINS0_14default_configENS1_35radix_sort_onesweep_config_selectorIiNS0_10empty_typeEEEZZNS1_29radix_sort_onesweep_iterationIS3_Lb0EN6thrust23THRUST_200600_302600_NS6detail15normal_iteratorINS9_10device_ptrIiEEEESE_PS5_SF_jNS0_19identity_decomposerENS1_16block_id_wrapperIjLb0EEEEE10hipError_tT1_PNSt15iterator_traitsISK_E10value_typeET2_T3_PNSL_ISQ_E10value_typeET4_T5_PSV_SW_PNS1_23onesweep_lookback_stateEbbT6_jjT7_P12ihipStream_tbENKUlT_T0_SK_SP_E_clISE_SE_SF_SF_EEDaS13_S14_SK_SP_EUlS13_E_NS1_11comp_targetILNS1_3genE4ELNS1_11target_archE910ELNS1_3gpuE8ELNS1_3repE0EEENS1_47radix_sort_onesweep_sort_config_static_selectorELNS0_4arch9wavefront6targetE1EEEvSK_, .Lfunc_end1777-_ZN7rocprim17ROCPRIM_400000_NS6detail17trampoline_kernelINS0_14default_configENS1_35radix_sort_onesweep_config_selectorIiNS0_10empty_typeEEEZZNS1_29radix_sort_onesweep_iterationIS3_Lb0EN6thrust23THRUST_200600_302600_NS6detail15normal_iteratorINS9_10device_ptrIiEEEESE_PS5_SF_jNS0_19identity_decomposerENS1_16block_id_wrapperIjLb0EEEEE10hipError_tT1_PNSt15iterator_traitsISK_E10value_typeET2_T3_PNSL_ISQ_E10value_typeET4_T5_PSV_SW_PNS1_23onesweep_lookback_stateEbbT6_jjT7_P12ihipStream_tbENKUlT_T0_SK_SP_E_clISE_SE_SF_SF_EEDaS13_S14_SK_SP_EUlS13_E_NS1_11comp_targetILNS1_3genE4ELNS1_11target_archE910ELNS1_3gpuE8ELNS1_3repE0EEENS1_47radix_sort_onesweep_sort_config_static_selectorELNS0_4arch9wavefront6targetE1EEEvSK_
                                        ; -- End function
	.section	.AMDGPU.csdata,"",@progbits
; Kernel info:
; codeLenInByte = 0
; NumSgprs: 6
; NumVgprs: 0
; NumAgprs: 0
; TotalNumVgprs: 0
; ScratchSize: 0
; MemoryBound: 0
; FloatMode: 240
; IeeeMode: 1
; LDSByteSize: 0 bytes/workgroup (compile time only)
; SGPRBlocks: 0
; VGPRBlocks: 0
; NumSGPRsForWavesPerEU: 6
; NumVGPRsForWavesPerEU: 1
; AccumOffset: 4
; Occupancy: 8
; WaveLimiterHint : 0
; COMPUTE_PGM_RSRC2:SCRATCH_EN: 0
; COMPUTE_PGM_RSRC2:USER_SGPR: 2
; COMPUTE_PGM_RSRC2:TRAP_HANDLER: 0
; COMPUTE_PGM_RSRC2:TGID_X_EN: 1
; COMPUTE_PGM_RSRC2:TGID_Y_EN: 0
; COMPUTE_PGM_RSRC2:TGID_Z_EN: 0
; COMPUTE_PGM_RSRC2:TIDIG_COMP_CNT: 0
; COMPUTE_PGM_RSRC3_GFX90A:ACCUM_OFFSET: 0
; COMPUTE_PGM_RSRC3_GFX90A:TG_SPLIT: 0
	.section	.text._ZN7rocprim17ROCPRIM_400000_NS6detail17trampoline_kernelINS0_14default_configENS1_35radix_sort_onesweep_config_selectorIiNS0_10empty_typeEEEZZNS1_29radix_sort_onesweep_iterationIS3_Lb0EN6thrust23THRUST_200600_302600_NS6detail15normal_iteratorINS9_10device_ptrIiEEEESE_PS5_SF_jNS0_19identity_decomposerENS1_16block_id_wrapperIjLb0EEEEE10hipError_tT1_PNSt15iterator_traitsISK_E10value_typeET2_T3_PNSL_ISQ_E10value_typeET4_T5_PSV_SW_PNS1_23onesweep_lookback_stateEbbT6_jjT7_P12ihipStream_tbENKUlT_T0_SK_SP_E_clISE_SE_SF_SF_EEDaS13_S14_SK_SP_EUlS13_E_NS1_11comp_targetILNS1_3genE3ELNS1_11target_archE908ELNS1_3gpuE7ELNS1_3repE0EEENS1_47radix_sort_onesweep_sort_config_static_selectorELNS0_4arch9wavefront6targetE1EEEvSK_,"axG",@progbits,_ZN7rocprim17ROCPRIM_400000_NS6detail17trampoline_kernelINS0_14default_configENS1_35radix_sort_onesweep_config_selectorIiNS0_10empty_typeEEEZZNS1_29radix_sort_onesweep_iterationIS3_Lb0EN6thrust23THRUST_200600_302600_NS6detail15normal_iteratorINS9_10device_ptrIiEEEESE_PS5_SF_jNS0_19identity_decomposerENS1_16block_id_wrapperIjLb0EEEEE10hipError_tT1_PNSt15iterator_traitsISK_E10value_typeET2_T3_PNSL_ISQ_E10value_typeET4_T5_PSV_SW_PNS1_23onesweep_lookback_stateEbbT6_jjT7_P12ihipStream_tbENKUlT_T0_SK_SP_E_clISE_SE_SF_SF_EEDaS13_S14_SK_SP_EUlS13_E_NS1_11comp_targetILNS1_3genE3ELNS1_11target_archE908ELNS1_3gpuE7ELNS1_3repE0EEENS1_47radix_sort_onesweep_sort_config_static_selectorELNS0_4arch9wavefront6targetE1EEEvSK_,comdat
	.protected	_ZN7rocprim17ROCPRIM_400000_NS6detail17trampoline_kernelINS0_14default_configENS1_35radix_sort_onesweep_config_selectorIiNS0_10empty_typeEEEZZNS1_29radix_sort_onesweep_iterationIS3_Lb0EN6thrust23THRUST_200600_302600_NS6detail15normal_iteratorINS9_10device_ptrIiEEEESE_PS5_SF_jNS0_19identity_decomposerENS1_16block_id_wrapperIjLb0EEEEE10hipError_tT1_PNSt15iterator_traitsISK_E10value_typeET2_T3_PNSL_ISQ_E10value_typeET4_T5_PSV_SW_PNS1_23onesweep_lookback_stateEbbT6_jjT7_P12ihipStream_tbENKUlT_T0_SK_SP_E_clISE_SE_SF_SF_EEDaS13_S14_SK_SP_EUlS13_E_NS1_11comp_targetILNS1_3genE3ELNS1_11target_archE908ELNS1_3gpuE7ELNS1_3repE0EEENS1_47radix_sort_onesweep_sort_config_static_selectorELNS0_4arch9wavefront6targetE1EEEvSK_ ; -- Begin function _ZN7rocprim17ROCPRIM_400000_NS6detail17trampoline_kernelINS0_14default_configENS1_35radix_sort_onesweep_config_selectorIiNS0_10empty_typeEEEZZNS1_29radix_sort_onesweep_iterationIS3_Lb0EN6thrust23THRUST_200600_302600_NS6detail15normal_iteratorINS9_10device_ptrIiEEEESE_PS5_SF_jNS0_19identity_decomposerENS1_16block_id_wrapperIjLb0EEEEE10hipError_tT1_PNSt15iterator_traitsISK_E10value_typeET2_T3_PNSL_ISQ_E10value_typeET4_T5_PSV_SW_PNS1_23onesweep_lookback_stateEbbT6_jjT7_P12ihipStream_tbENKUlT_T0_SK_SP_E_clISE_SE_SF_SF_EEDaS13_S14_SK_SP_EUlS13_E_NS1_11comp_targetILNS1_3genE3ELNS1_11target_archE908ELNS1_3gpuE7ELNS1_3repE0EEENS1_47radix_sort_onesweep_sort_config_static_selectorELNS0_4arch9wavefront6targetE1EEEvSK_
	.globl	_ZN7rocprim17ROCPRIM_400000_NS6detail17trampoline_kernelINS0_14default_configENS1_35radix_sort_onesweep_config_selectorIiNS0_10empty_typeEEEZZNS1_29radix_sort_onesweep_iterationIS3_Lb0EN6thrust23THRUST_200600_302600_NS6detail15normal_iteratorINS9_10device_ptrIiEEEESE_PS5_SF_jNS0_19identity_decomposerENS1_16block_id_wrapperIjLb0EEEEE10hipError_tT1_PNSt15iterator_traitsISK_E10value_typeET2_T3_PNSL_ISQ_E10value_typeET4_T5_PSV_SW_PNS1_23onesweep_lookback_stateEbbT6_jjT7_P12ihipStream_tbENKUlT_T0_SK_SP_E_clISE_SE_SF_SF_EEDaS13_S14_SK_SP_EUlS13_E_NS1_11comp_targetILNS1_3genE3ELNS1_11target_archE908ELNS1_3gpuE7ELNS1_3repE0EEENS1_47radix_sort_onesweep_sort_config_static_selectorELNS0_4arch9wavefront6targetE1EEEvSK_
	.p2align	8
	.type	_ZN7rocprim17ROCPRIM_400000_NS6detail17trampoline_kernelINS0_14default_configENS1_35radix_sort_onesweep_config_selectorIiNS0_10empty_typeEEEZZNS1_29radix_sort_onesweep_iterationIS3_Lb0EN6thrust23THRUST_200600_302600_NS6detail15normal_iteratorINS9_10device_ptrIiEEEESE_PS5_SF_jNS0_19identity_decomposerENS1_16block_id_wrapperIjLb0EEEEE10hipError_tT1_PNSt15iterator_traitsISK_E10value_typeET2_T3_PNSL_ISQ_E10value_typeET4_T5_PSV_SW_PNS1_23onesweep_lookback_stateEbbT6_jjT7_P12ihipStream_tbENKUlT_T0_SK_SP_E_clISE_SE_SF_SF_EEDaS13_S14_SK_SP_EUlS13_E_NS1_11comp_targetILNS1_3genE3ELNS1_11target_archE908ELNS1_3gpuE7ELNS1_3repE0EEENS1_47radix_sort_onesweep_sort_config_static_selectorELNS0_4arch9wavefront6targetE1EEEvSK_,@function
_ZN7rocprim17ROCPRIM_400000_NS6detail17trampoline_kernelINS0_14default_configENS1_35radix_sort_onesweep_config_selectorIiNS0_10empty_typeEEEZZNS1_29radix_sort_onesweep_iterationIS3_Lb0EN6thrust23THRUST_200600_302600_NS6detail15normal_iteratorINS9_10device_ptrIiEEEESE_PS5_SF_jNS0_19identity_decomposerENS1_16block_id_wrapperIjLb0EEEEE10hipError_tT1_PNSt15iterator_traitsISK_E10value_typeET2_T3_PNSL_ISQ_E10value_typeET4_T5_PSV_SW_PNS1_23onesweep_lookback_stateEbbT6_jjT7_P12ihipStream_tbENKUlT_T0_SK_SP_E_clISE_SE_SF_SF_EEDaS13_S14_SK_SP_EUlS13_E_NS1_11comp_targetILNS1_3genE3ELNS1_11target_archE908ELNS1_3gpuE7ELNS1_3repE0EEENS1_47radix_sort_onesweep_sort_config_static_selectorELNS0_4arch9wavefront6targetE1EEEvSK_: ; @_ZN7rocprim17ROCPRIM_400000_NS6detail17trampoline_kernelINS0_14default_configENS1_35radix_sort_onesweep_config_selectorIiNS0_10empty_typeEEEZZNS1_29radix_sort_onesweep_iterationIS3_Lb0EN6thrust23THRUST_200600_302600_NS6detail15normal_iteratorINS9_10device_ptrIiEEEESE_PS5_SF_jNS0_19identity_decomposerENS1_16block_id_wrapperIjLb0EEEEE10hipError_tT1_PNSt15iterator_traitsISK_E10value_typeET2_T3_PNSL_ISQ_E10value_typeET4_T5_PSV_SW_PNS1_23onesweep_lookback_stateEbbT6_jjT7_P12ihipStream_tbENKUlT_T0_SK_SP_E_clISE_SE_SF_SF_EEDaS13_S14_SK_SP_EUlS13_E_NS1_11comp_targetILNS1_3genE3ELNS1_11target_archE908ELNS1_3gpuE7ELNS1_3repE0EEENS1_47radix_sort_onesweep_sort_config_static_selectorELNS0_4arch9wavefront6targetE1EEEvSK_
; %bb.0:
	.section	.rodata,"a",@progbits
	.p2align	6, 0x0
	.amdhsa_kernel _ZN7rocprim17ROCPRIM_400000_NS6detail17trampoline_kernelINS0_14default_configENS1_35radix_sort_onesweep_config_selectorIiNS0_10empty_typeEEEZZNS1_29radix_sort_onesweep_iterationIS3_Lb0EN6thrust23THRUST_200600_302600_NS6detail15normal_iteratorINS9_10device_ptrIiEEEESE_PS5_SF_jNS0_19identity_decomposerENS1_16block_id_wrapperIjLb0EEEEE10hipError_tT1_PNSt15iterator_traitsISK_E10value_typeET2_T3_PNSL_ISQ_E10value_typeET4_T5_PSV_SW_PNS1_23onesweep_lookback_stateEbbT6_jjT7_P12ihipStream_tbENKUlT_T0_SK_SP_E_clISE_SE_SF_SF_EEDaS13_S14_SK_SP_EUlS13_E_NS1_11comp_targetILNS1_3genE3ELNS1_11target_archE908ELNS1_3gpuE7ELNS1_3repE0EEENS1_47radix_sort_onesweep_sort_config_static_selectorELNS0_4arch9wavefront6targetE1EEEvSK_
		.amdhsa_group_segment_fixed_size 0
		.amdhsa_private_segment_fixed_size 0
		.amdhsa_kernarg_size 88
		.amdhsa_user_sgpr_count 2
		.amdhsa_user_sgpr_dispatch_ptr 0
		.amdhsa_user_sgpr_queue_ptr 0
		.amdhsa_user_sgpr_kernarg_segment_ptr 1
		.amdhsa_user_sgpr_dispatch_id 0
		.amdhsa_user_sgpr_kernarg_preload_length 0
		.amdhsa_user_sgpr_kernarg_preload_offset 0
		.amdhsa_user_sgpr_private_segment_size 0
		.amdhsa_uses_dynamic_stack 0
		.amdhsa_enable_private_segment 0
		.amdhsa_system_sgpr_workgroup_id_x 1
		.amdhsa_system_sgpr_workgroup_id_y 0
		.amdhsa_system_sgpr_workgroup_id_z 0
		.amdhsa_system_sgpr_workgroup_info 0
		.amdhsa_system_vgpr_workitem_id 0
		.amdhsa_next_free_vgpr 1
		.amdhsa_next_free_sgpr 0
		.amdhsa_accum_offset 4
		.amdhsa_reserve_vcc 0
		.amdhsa_float_round_mode_32 0
		.amdhsa_float_round_mode_16_64 0
		.amdhsa_float_denorm_mode_32 3
		.amdhsa_float_denorm_mode_16_64 3
		.amdhsa_dx10_clamp 1
		.amdhsa_ieee_mode 1
		.amdhsa_fp16_overflow 0
		.amdhsa_tg_split 0
		.amdhsa_exception_fp_ieee_invalid_op 0
		.amdhsa_exception_fp_denorm_src 0
		.amdhsa_exception_fp_ieee_div_zero 0
		.amdhsa_exception_fp_ieee_overflow 0
		.amdhsa_exception_fp_ieee_underflow 0
		.amdhsa_exception_fp_ieee_inexact 0
		.amdhsa_exception_int_div_zero 0
	.end_amdhsa_kernel
	.section	.text._ZN7rocprim17ROCPRIM_400000_NS6detail17trampoline_kernelINS0_14default_configENS1_35radix_sort_onesweep_config_selectorIiNS0_10empty_typeEEEZZNS1_29radix_sort_onesweep_iterationIS3_Lb0EN6thrust23THRUST_200600_302600_NS6detail15normal_iteratorINS9_10device_ptrIiEEEESE_PS5_SF_jNS0_19identity_decomposerENS1_16block_id_wrapperIjLb0EEEEE10hipError_tT1_PNSt15iterator_traitsISK_E10value_typeET2_T3_PNSL_ISQ_E10value_typeET4_T5_PSV_SW_PNS1_23onesweep_lookback_stateEbbT6_jjT7_P12ihipStream_tbENKUlT_T0_SK_SP_E_clISE_SE_SF_SF_EEDaS13_S14_SK_SP_EUlS13_E_NS1_11comp_targetILNS1_3genE3ELNS1_11target_archE908ELNS1_3gpuE7ELNS1_3repE0EEENS1_47radix_sort_onesweep_sort_config_static_selectorELNS0_4arch9wavefront6targetE1EEEvSK_,"axG",@progbits,_ZN7rocprim17ROCPRIM_400000_NS6detail17trampoline_kernelINS0_14default_configENS1_35radix_sort_onesweep_config_selectorIiNS0_10empty_typeEEEZZNS1_29radix_sort_onesweep_iterationIS3_Lb0EN6thrust23THRUST_200600_302600_NS6detail15normal_iteratorINS9_10device_ptrIiEEEESE_PS5_SF_jNS0_19identity_decomposerENS1_16block_id_wrapperIjLb0EEEEE10hipError_tT1_PNSt15iterator_traitsISK_E10value_typeET2_T3_PNSL_ISQ_E10value_typeET4_T5_PSV_SW_PNS1_23onesweep_lookback_stateEbbT6_jjT7_P12ihipStream_tbENKUlT_T0_SK_SP_E_clISE_SE_SF_SF_EEDaS13_S14_SK_SP_EUlS13_E_NS1_11comp_targetILNS1_3genE3ELNS1_11target_archE908ELNS1_3gpuE7ELNS1_3repE0EEENS1_47radix_sort_onesweep_sort_config_static_selectorELNS0_4arch9wavefront6targetE1EEEvSK_,comdat
.Lfunc_end1778:
	.size	_ZN7rocprim17ROCPRIM_400000_NS6detail17trampoline_kernelINS0_14default_configENS1_35radix_sort_onesweep_config_selectorIiNS0_10empty_typeEEEZZNS1_29radix_sort_onesweep_iterationIS3_Lb0EN6thrust23THRUST_200600_302600_NS6detail15normal_iteratorINS9_10device_ptrIiEEEESE_PS5_SF_jNS0_19identity_decomposerENS1_16block_id_wrapperIjLb0EEEEE10hipError_tT1_PNSt15iterator_traitsISK_E10value_typeET2_T3_PNSL_ISQ_E10value_typeET4_T5_PSV_SW_PNS1_23onesweep_lookback_stateEbbT6_jjT7_P12ihipStream_tbENKUlT_T0_SK_SP_E_clISE_SE_SF_SF_EEDaS13_S14_SK_SP_EUlS13_E_NS1_11comp_targetILNS1_3genE3ELNS1_11target_archE908ELNS1_3gpuE7ELNS1_3repE0EEENS1_47radix_sort_onesweep_sort_config_static_selectorELNS0_4arch9wavefront6targetE1EEEvSK_, .Lfunc_end1778-_ZN7rocprim17ROCPRIM_400000_NS6detail17trampoline_kernelINS0_14default_configENS1_35radix_sort_onesweep_config_selectorIiNS0_10empty_typeEEEZZNS1_29radix_sort_onesweep_iterationIS3_Lb0EN6thrust23THRUST_200600_302600_NS6detail15normal_iteratorINS9_10device_ptrIiEEEESE_PS5_SF_jNS0_19identity_decomposerENS1_16block_id_wrapperIjLb0EEEEE10hipError_tT1_PNSt15iterator_traitsISK_E10value_typeET2_T3_PNSL_ISQ_E10value_typeET4_T5_PSV_SW_PNS1_23onesweep_lookback_stateEbbT6_jjT7_P12ihipStream_tbENKUlT_T0_SK_SP_E_clISE_SE_SF_SF_EEDaS13_S14_SK_SP_EUlS13_E_NS1_11comp_targetILNS1_3genE3ELNS1_11target_archE908ELNS1_3gpuE7ELNS1_3repE0EEENS1_47radix_sort_onesweep_sort_config_static_selectorELNS0_4arch9wavefront6targetE1EEEvSK_
                                        ; -- End function
	.section	.AMDGPU.csdata,"",@progbits
; Kernel info:
; codeLenInByte = 0
; NumSgprs: 6
; NumVgprs: 0
; NumAgprs: 0
; TotalNumVgprs: 0
; ScratchSize: 0
; MemoryBound: 0
; FloatMode: 240
; IeeeMode: 1
; LDSByteSize: 0 bytes/workgroup (compile time only)
; SGPRBlocks: 0
; VGPRBlocks: 0
; NumSGPRsForWavesPerEU: 6
; NumVGPRsForWavesPerEU: 1
; AccumOffset: 4
; Occupancy: 8
; WaveLimiterHint : 0
; COMPUTE_PGM_RSRC2:SCRATCH_EN: 0
; COMPUTE_PGM_RSRC2:USER_SGPR: 2
; COMPUTE_PGM_RSRC2:TRAP_HANDLER: 0
; COMPUTE_PGM_RSRC2:TGID_X_EN: 1
; COMPUTE_PGM_RSRC2:TGID_Y_EN: 0
; COMPUTE_PGM_RSRC2:TGID_Z_EN: 0
; COMPUTE_PGM_RSRC2:TIDIG_COMP_CNT: 0
; COMPUTE_PGM_RSRC3_GFX90A:ACCUM_OFFSET: 0
; COMPUTE_PGM_RSRC3_GFX90A:TG_SPLIT: 0
	.section	.text._ZN7rocprim17ROCPRIM_400000_NS6detail17trampoline_kernelINS0_14default_configENS1_35radix_sort_onesweep_config_selectorIiNS0_10empty_typeEEEZZNS1_29radix_sort_onesweep_iterationIS3_Lb0EN6thrust23THRUST_200600_302600_NS6detail15normal_iteratorINS9_10device_ptrIiEEEESE_PS5_SF_jNS0_19identity_decomposerENS1_16block_id_wrapperIjLb0EEEEE10hipError_tT1_PNSt15iterator_traitsISK_E10value_typeET2_T3_PNSL_ISQ_E10value_typeET4_T5_PSV_SW_PNS1_23onesweep_lookback_stateEbbT6_jjT7_P12ihipStream_tbENKUlT_T0_SK_SP_E_clISE_SE_SF_SF_EEDaS13_S14_SK_SP_EUlS13_E_NS1_11comp_targetILNS1_3genE10ELNS1_11target_archE1201ELNS1_3gpuE5ELNS1_3repE0EEENS1_47radix_sort_onesweep_sort_config_static_selectorELNS0_4arch9wavefront6targetE1EEEvSK_,"axG",@progbits,_ZN7rocprim17ROCPRIM_400000_NS6detail17trampoline_kernelINS0_14default_configENS1_35radix_sort_onesweep_config_selectorIiNS0_10empty_typeEEEZZNS1_29radix_sort_onesweep_iterationIS3_Lb0EN6thrust23THRUST_200600_302600_NS6detail15normal_iteratorINS9_10device_ptrIiEEEESE_PS5_SF_jNS0_19identity_decomposerENS1_16block_id_wrapperIjLb0EEEEE10hipError_tT1_PNSt15iterator_traitsISK_E10value_typeET2_T3_PNSL_ISQ_E10value_typeET4_T5_PSV_SW_PNS1_23onesweep_lookback_stateEbbT6_jjT7_P12ihipStream_tbENKUlT_T0_SK_SP_E_clISE_SE_SF_SF_EEDaS13_S14_SK_SP_EUlS13_E_NS1_11comp_targetILNS1_3genE10ELNS1_11target_archE1201ELNS1_3gpuE5ELNS1_3repE0EEENS1_47radix_sort_onesweep_sort_config_static_selectorELNS0_4arch9wavefront6targetE1EEEvSK_,comdat
	.protected	_ZN7rocprim17ROCPRIM_400000_NS6detail17trampoline_kernelINS0_14default_configENS1_35radix_sort_onesweep_config_selectorIiNS0_10empty_typeEEEZZNS1_29radix_sort_onesweep_iterationIS3_Lb0EN6thrust23THRUST_200600_302600_NS6detail15normal_iteratorINS9_10device_ptrIiEEEESE_PS5_SF_jNS0_19identity_decomposerENS1_16block_id_wrapperIjLb0EEEEE10hipError_tT1_PNSt15iterator_traitsISK_E10value_typeET2_T3_PNSL_ISQ_E10value_typeET4_T5_PSV_SW_PNS1_23onesweep_lookback_stateEbbT6_jjT7_P12ihipStream_tbENKUlT_T0_SK_SP_E_clISE_SE_SF_SF_EEDaS13_S14_SK_SP_EUlS13_E_NS1_11comp_targetILNS1_3genE10ELNS1_11target_archE1201ELNS1_3gpuE5ELNS1_3repE0EEENS1_47radix_sort_onesweep_sort_config_static_selectorELNS0_4arch9wavefront6targetE1EEEvSK_ ; -- Begin function _ZN7rocprim17ROCPRIM_400000_NS6detail17trampoline_kernelINS0_14default_configENS1_35radix_sort_onesweep_config_selectorIiNS0_10empty_typeEEEZZNS1_29radix_sort_onesweep_iterationIS3_Lb0EN6thrust23THRUST_200600_302600_NS6detail15normal_iteratorINS9_10device_ptrIiEEEESE_PS5_SF_jNS0_19identity_decomposerENS1_16block_id_wrapperIjLb0EEEEE10hipError_tT1_PNSt15iterator_traitsISK_E10value_typeET2_T3_PNSL_ISQ_E10value_typeET4_T5_PSV_SW_PNS1_23onesweep_lookback_stateEbbT6_jjT7_P12ihipStream_tbENKUlT_T0_SK_SP_E_clISE_SE_SF_SF_EEDaS13_S14_SK_SP_EUlS13_E_NS1_11comp_targetILNS1_3genE10ELNS1_11target_archE1201ELNS1_3gpuE5ELNS1_3repE0EEENS1_47radix_sort_onesweep_sort_config_static_selectorELNS0_4arch9wavefront6targetE1EEEvSK_
	.globl	_ZN7rocprim17ROCPRIM_400000_NS6detail17trampoline_kernelINS0_14default_configENS1_35radix_sort_onesweep_config_selectorIiNS0_10empty_typeEEEZZNS1_29radix_sort_onesweep_iterationIS3_Lb0EN6thrust23THRUST_200600_302600_NS6detail15normal_iteratorINS9_10device_ptrIiEEEESE_PS5_SF_jNS0_19identity_decomposerENS1_16block_id_wrapperIjLb0EEEEE10hipError_tT1_PNSt15iterator_traitsISK_E10value_typeET2_T3_PNSL_ISQ_E10value_typeET4_T5_PSV_SW_PNS1_23onesweep_lookback_stateEbbT6_jjT7_P12ihipStream_tbENKUlT_T0_SK_SP_E_clISE_SE_SF_SF_EEDaS13_S14_SK_SP_EUlS13_E_NS1_11comp_targetILNS1_3genE10ELNS1_11target_archE1201ELNS1_3gpuE5ELNS1_3repE0EEENS1_47radix_sort_onesweep_sort_config_static_selectorELNS0_4arch9wavefront6targetE1EEEvSK_
	.p2align	8
	.type	_ZN7rocprim17ROCPRIM_400000_NS6detail17trampoline_kernelINS0_14default_configENS1_35radix_sort_onesweep_config_selectorIiNS0_10empty_typeEEEZZNS1_29radix_sort_onesweep_iterationIS3_Lb0EN6thrust23THRUST_200600_302600_NS6detail15normal_iteratorINS9_10device_ptrIiEEEESE_PS5_SF_jNS0_19identity_decomposerENS1_16block_id_wrapperIjLb0EEEEE10hipError_tT1_PNSt15iterator_traitsISK_E10value_typeET2_T3_PNSL_ISQ_E10value_typeET4_T5_PSV_SW_PNS1_23onesweep_lookback_stateEbbT6_jjT7_P12ihipStream_tbENKUlT_T0_SK_SP_E_clISE_SE_SF_SF_EEDaS13_S14_SK_SP_EUlS13_E_NS1_11comp_targetILNS1_3genE10ELNS1_11target_archE1201ELNS1_3gpuE5ELNS1_3repE0EEENS1_47radix_sort_onesweep_sort_config_static_selectorELNS0_4arch9wavefront6targetE1EEEvSK_,@function
_ZN7rocprim17ROCPRIM_400000_NS6detail17trampoline_kernelINS0_14default_configENS1_35radix_sort_onesweep_config_selectorIiNS0_10empty_typeEEEZZNS1_29radix_sort_onesweep_iterationIS3_Lb0EN6thrust23THRUST_200600_302600_NS6detail15normal_iteratorINS9_10device_ptrIiEEEESE_PS5_SF_jNS0_19identity_decomposerENS1_16block_id_wrapperIjLb0EEEEE10hipError_tT1_PNSt15iterator_traitsISK_E10value_typeET2_T3_PNSL_ISQ_E10value_typeET4_T5_PSV_SW_PNS1_23onesweep_lookback_stateEbbT6_jjT7_P12ihipStream_tbENKUlT_T0_SK_SP_E_clISE_SE_SF_SF_EEDaS13_S14_SK_SP_EUlS13_E_NS1_11comp_targetILNS1_3genE10ELNS1_11target_archE1201ELNS1_3gpuE5ELNS1_3repE0EEENS1_47radix_sort_onesweep_sort_config_static_selectorELNS0_4arch9wavefront6targetE1EEEvSK_: ; @_ZN7rocprim17ROCPRIM_400000_NS6detail17trampoline_kernelINS0_14default_configENS1_35radix_sort_onesweep_config_selectorIiNS0_10empty_typeEEEZZNS1_29radix_sort_onesweep_iterationIS3_Lb0EN6thrust23THRUST_200600_302600_NS6detail15normal_iteratorINS9_10device_ptrIiEEEESE_PS5_SF_jNS0_19identity_decomposerENS1_16block_id_wrapperIjLb0EEEEE10hipError_tT1_PNSt15iterator_traitsISK_E10value_typeET2_T3_PNSL_ISQ_E10value_typeET4_T5_PSV_SW_PNS1_23onesweep_lookback_stateEbbT6_jjT7_P12ihipStream_tbENKUlT_T0_SK_SP_E_clISE_SE_SF_SF_EEDaS13_S14_SK_SP_EUlS13_E_NS1_11comp_targetILNS1_3genE10ELNS1_11target_archE1201ELNS1_3gpuE5ELNS1_3repE0EEENS1_47radix_sort_onesweep_sort_config_static_selectorELNS0_4arch9wavefront6targetE1EEEvSK_
; %bb.0:
	.section	.rodata,"a",@progbits
	.p2align	6, 0x0
	.amdhsa_kernel _ZN7rocprim17ROCPRIM_400000_NS6detail17trampoline_kernelINS0_14default_configENS1_35radix_sort_onesweep_config_selectorIiNS0_10empty_typeEEEZZNS1_29radix_sort_onesweep_iterationIS3_Lb0EN6thrust23THRUST_200600_302600_NS6detail15normal_iteratorINS9_10device_ptrIiEEEESE_PS5_SF_jNS0_19identity_decomposerENS1_16block_id_wrapperIjLb0EEEEE10hipError_tT1_PNSt15iterator_traitsISK_E10value_typeET2_T3_PNSL_ISQ_E10value_typeET4_T5_PSV_SW_PNS1_23onesweep_lookback_stateEbbT6_jjT7_P12ihipStream_tbENKUlT_T0_SK_SP_E_clISE_SE_SF_SF_EEDaS13_S14_SK_SP_EUlS13_E_NS1_11comp_targetILNS1_3genE10ELNS1_11target_archE1201ELNS1_3gpuE5ELNS1_3repE0EEENS1_47radix_sort_onesweep_sort_config_static_selectorELNS0_4arch9wavefront6targetE1EEEvSK_
		.amdhsa_group_segment_fixed_size 0
		.amdhsa_private_segment_fixed_size 0
		.amdhsa_kernarg_size 88
		.amdhsa_user_sgpr_count 2
		.amdhsa_user_sgpr_dispatch_ptr 0
		.amdhsa_user_sgpr_queue_ptr 0
		.amdhsa_user_sgpr_kernarg_segment_ptr 1
		.amdhsa_user_sgpr_dispatch_id 0
		.amdhsa_user_sgpr_kernarg_preload_length 0
		.amdhsa_user_sgpr_kernarg_preload_offset 0
		.amdhsa_user_sgpr_private_segment_size 0
		.amdhsa_uses_dynamic_stack 0
		.amdhsa_enable_private_segment 0
		.amdhsa_system_sgpr_workgroup_id_x 1
		.amdhsa_system_sgpr_workgroup_id_y 0
		.amdhsa_system_sgpr_workgroup_id_z 0
		.amdhsa_system_sgpr_workgroup_info 0
		.amdhsa_system_vgpr_workitem_id 0
		.amdhsa_next_free_vgpr 1
		.amdhsa_next_free_sgpr 0
		.amdhsa_accum_offset 4
		.amdhsa_reserve_vcc 0
		.amdhsa_float_round_mode_32 0
		.amdhsa_float_round_mode_16_64 0
		.amdhsa_float_denorm_mode_32 3
		.amdhsa_float_denorm_mode_16_64 3
		.amdhsa_dx10_clamp 1
		.amdhsa_ieee_mode 1
		.amdhsa_fp16_overflow 0
		.amdhsa_tg_split 0
		.amdhsa_exception_fp_ieee_invalid_op 0
		.amdhsa_exception_fp_denorm_src 0
		.amdhsa_exception_fp_ieee_div_zero 0
		.amdhsa_exception_fp_ieee_overflow 0
		.amdhsa_exception_fp_ieee_underflow 0
		.amdhsa_exception_fp_ieee_inexact 0
		.amdhsa_exception_int_div_zero 0
	.end_amdhsa_kernel
	.section	.text._ZN7rocprim17ROCPRIM_400000_NS6detail17trampoline_kernelINS0_14default_configENS1_35radix_sort_onesweep_config_selectorIiNS0_10empty_typeEEEZZNS1_29radix_sort_onesweep_iterationIS3_Lb0EN6thrust23THRUST_200600_302600_NS6detail15normal_iteratorINS9_10device_ptrIiEEEESE_PS5_SF_jNS0_19identity_decomposerENS1_16block_id_wrapperIjLb0EEEEE10hipError_tT1_PNSt15iterator_traitsISK_E10value_typeET2_T3_PNSL_ISQ_E10value_typeET4_T5_PSV_SW_PNS1_23onesweep_lookback_stateEbbT6_jjT7_P12ihipStream_tbENKUlT_T0_SK_SP_E_clISE_SE_SF_SF_EEDaS13_S14_SK_SP_EUlS13_E_NS1_11comp_targetILNS1_3genE10ELNS1_11target_archE1201ELNS1_3gpuE5ELNS1_3repE0EEENS1_47radix_sort_onesweep_sort_config_static_selectorELNS0_4arch9wavefront6targetE1EEEvSK_,"axG",@progbits,_ZN7rocprim17ROCPRIM_400000_NS6detail17trampoline_kernelINS0_14default_configENS1_35radix_sort_onesweep_config_selectorIiNS0_10empty_typeEEEZZNS1_29radix_sort_onesweep_iterationIS3_Lb0EN6thrust23THRUST_200600_302600_NS6detail15normal_iteratorINS9_10device_ptrIiEEEESE_PS5_SF_jNS0_19identity_decomposerENS1_16block_id_wrapperIjLb0EEEEE10hipError_tT1_PNSt15iterator_traitsISK_E10value_typeET2_T3_PNSL_ISQ_E10value_typeET4_T5_PSV_SW_PNS1_23onesweep_lookback_stateEbbT6_jjT7_P12ihipStream_tbENKUlT_T0_SK_SP_E_clISE_SE_SF_SF_EEDaS13_S14_SK_SP_EUlS13_E_NS1_11comp_targetILNS1_3genE10ELNS1_11target_archE1201ELNS1_3gpuE5ELNS1_3repE0EEENS1_47radix_sort_onesweep_sort_config_static_selectorELNS0_4arch9wavefront6targetE1EEEvSK_,comdat
.Lfunc_end1779:
	.size	_ZN7rocprim17ROCPRIM_400000_NS6detail17trampoline_kernelINS0_14default_configENS1_35radix_sort_onesweep_config_selectorIiNS0_10empty_typeEEEZZNS1_29radix_sort_onesweep_iterationIS3_Lb0EN6thrust23THRUST_200600_302600_NS6detail15normal_iteratorINS9_10device_ptrIiEEEESE_PS5_SF_jNS0_19identity_decomposerENS1_16block_id_wrapperIjLb0EEEEE10hipError_tT1_PNSt15iterator_traitsISK_E10value_typeET2_T3_PNSL_ISQ_E10value_typeET4_T5_PSV_SW_PNS1_23onesweep_lookback_stateEbbT6_jjT7_P12ihipStream_tbENKUlT_T0_SK_SP_E_clISE_SE_SF_SF_EEDaS13_S14_SK_SP_EUlS13_E_NS1_11comp_targetILNS1_3genE10ELNS1_11target_archE1201ELNS1_3gpuE5ELNS1_3repE0EEENS1_47radix_sort_onesweep_sort_config_static_selectorELNS0_4arch9wavefront6targetE1EEEvSK_, .Lfunc_end1779-_ZN7rocprim17ROCPRIM_400000_NS6detail17trampoline_kernelINS0_14default_configENS1_35radix_sort_onesweep_config_selectorIiNS0_10empty_typeEEEZZNS1_29radix_sort_onesweep_iterationIS3_Lb0EN6thrust23THRUST_200600_302600_NS6detail15normal_iteratorINS9_10device_ptrIiEEEESE_PS5_SF_jNS0_19identity_decomposerENS1_16block_id_wrapperIjLb0EEEEE10hipError_tT1_PNSt15iterator_traitsISK_E10value_typeET2_T3_PNSL_ISQ_E10value_typeET4_T5_PSV_SW_PNS1_23onesweep_lookback_stateEbbT6_jjT7_P12ihipStream_tbENKUlT_T0_SK_SP_E_clISE_SE_SF_SF_EEDaS13_S14_SK_SP_EUlS13_E_NS1_11comp_targetILNS1_3genE10ELNS1_11target_archE1201ELNS1_3gpuE5ELNS1_3repE0EEENS1_47radix_sort_onesweep_sort_config_static_selectorELNS0_4arch9wavefront6targetE1EEEvSK_
                                        ; -- End function
	.section	.AMDGPU.csdata,"",@progbits
; Kernel info:
; codeLenInByte = 0
; NumSgprs: 6
; NumVgprs: 0
; NumAgprs: 0
; TotalNumVgprs: 0
; ScratchSize: 0
; MemoryBound: 0
; FloatMode: 240
; IeeeMode: 1
; LDSByteSize: 0 bytes/workgroup (compile time only)
; SGPRBlocks: 0
; VGPRBlocks: 0
; NumSGPRsForWavesPerEU: 6
; NumVGPRsForWavesPerEU: 1
; AccumOffset: 4
; Occupancy: 8
; WaveLimiterHint : 0
; COMPUTE_PGM_RSRC2:SCRATCH_EN: 0
; COMPUTE_PGM_RSRC2:USER_SGPR: 2
; COMPUTE_PGM_RSRC2:TRAP_HANDLER: 0
; COMPUTE_PGM_RSRC2:TGID_X_EN: 1
; COMPUTE_PGM_RSRC2:TGID_Y_EN: 0
; COMPUTE_PGM_RSRC2:TGID_Z_EN: 0
; COMPUTE_PGM_RSRC2:TIDIG_COMP_CNT: 0
; COMPUTE_PGM_RSRC3_GFX90A:ACCUM_OFFSET: 0
; COMPUTE_PGM_RSRC3_GFX90A:TG_SPLIT: 0
	.section	.text._ZN7rocprim17ROCPRIM_400000_NS6detail17trampoline_kernelINS0_14default_configENS1_35radix_sort_onesweep_config_selectorIiNS0_10empty_typeEEEZZNS1_29radix_sort_onesweep_iterationIS3_Lb0EN6thrust23THRUST_200600_302600_NS6detail15normal_iteratorINS9_10device_ptrIiEEEESE_PS5_SF_jNS0_19identity_decomposerENS1_16block_id_wrapperIjLb0EEEEE10hipError_tT1_PNSt15iterator_traitsISK_E10value_typeET2_T3_PNSL_ISQ_E10value_typeET4_T5_PSV_SW_PNS1_23onesweep_lookback_stateEbbT6_jjT7_P12ihipStream_tbENKUlT_T0_SK_SP_E_clISE_SE_SF_SF_EEDaS13_S14_SK_SP_EUlS13_E_NS1_11comp_targetILNS1_3genE9ELNS1_11target_archE1100ELNS1_3gpuE3ELNS1_3repE0EEENS1_47radix_sort_onesweep_sort_config_static_selectorELNS0_4arch9wavefront6targetE1EEEvSK_,"axG",@progbits,_ZN7rocprim17ROCPRIM_400000_NS6detail17trampoline_kernelINS0_14default_configENS1_35radix_sort_onesweep_config_selectorIiNS0_10empty_typeEEEZZNS1_29radix_sort_onesweep_iterationIS3_Lb0EN6thrust23THRUST_200600_302600_NS6detail15normal_iteratorINS9_10device_ptrIiEEEESE_PS5_SF_jNS0_19identity_decomposerENS1_16block_id_wrapperIjLb0EEEEE10hipError_tT1_PNSt15iterator_traitsISK_E10value_typeET2_T3_PNSL_ISQ_E10value_typeET4_T5_PSV_SW_PNS1_23onesweep_lookback_stateEbbT6_jjT7_P12ihipStream_tbENKUlT_T0_SK_SP_E_clISE_SE_SF_SF_EEDaS13_S14_SK_SP_EUlS13_E_NS1_11comp_targetILNS1_3genE9ELNS1_11target_archE1100ELNS1_3gpuE3ELNS1_3repE0EEENS1_47radix_sort_onesweep_sort_config_static_selectorELNS0_4arch9wavefront6targetE1EEEvSK_,comdat
	.protected	_ZN7rocprim17ROCPRIM_400000_NS6detail17trampoline_kernelINS0_14default_configENS1_35radix_sort_onesweep_config_selectorIiNS0_10empty_typeEEEZZNS1_29radix_sort_onesweep_iterationIS3_Lb0EN6thrust23THRUST_200600_302600_NS6detail15normal_iteratorINS9_10device_ptrIiEEEESE_PS5_SF_jNS0_19identity_decomposerENS1_16block_id_wrapperIjLb0EEEEE10hipError_tT1_PNSt15iterator_traitsISK_E10value_typeET2_T3_PNSL_ISQ_E10value_typeET4_T5_PSV_SW_PNS1_23onesweep_lookback_stateEbbT6_jjT7_P12ihipStream_tbENKUlT_T0_SK_SP_E_clISE_SE_SF_SF_EEDaS13_S14_SK_SP_EUlS13_E_NS1_11comp_targetILNS1_3genE9ELNS1_11target_archE1100ELNS1_3gpuE3ELNS1_3repE0EEENS1_47radix_sort_onesweep_sort_config_static_selectorELNS0_4arch9wavefront6targetE1EEEvSK_ ; -- Begin function _ZN7rocprim17ROCPRIM_400000_NS6detail17trampoline_kernelINS0_14default_configENS1_35radix_sort_onesweep_config_selectorIiNS0_10empty_typeEEEZZNS1_29radix_sort_onesweep_iterationIS3_Lb0EN6thrust23THRUST_200600_302600_NS6detail15normal_iteratorINS9_10device_ptrIiEEEESE_PS5_SF_jNS0_19identity_decomposerENS1_16block_id_wrapperIjLb0EEEEE10hipError_tT1_PNSt15iterator_traitsISK_E10value_typeET2_T3_PNSL_ISQ_E10value_typeET4_T5_PSV_SW_PNS1_23onesweep_lookback_stateEbbT6_jjT7_P12ihipStream_tbENKUlT_T0_SK_SP_E_clISE_SE_SF_SF_EEDaS13_S14_SK_SP_EUlS13_E_NS1_11comp_targetILNS1_3genE9ELNS1_11target_archE1100ELNS1_3gpuE3ELNS1_3repE0EEENS1_47radix_sort_onesweep_sort_config_static_selectorELNS0_4arch9wavefront6targetE1EEEvSK_
	.globl	_ZN7rocprim17ROCPRIM_400000_NS6detail17trampoline_kernelINS0_14default_configENS1_35radix_sort_onesweep_config_selectorIiNS0_10empty_typeEEEZZNS1_29radix_sort_onesweep_iterationIS3_Lb0EN6thrust23THRUST_200600_302600_NS6detail15normal_iteratorINS9_10device_ptrIiEEEESE_PS5_SF_jNS0_19identity_decomposerENS1_16block_id_wrapperIjLb0EEEEE10hipError_tT1_PNSt15iterator_traitsISK_E10value_typeET2_T3_PNSL_ISQ_E10value_typeET4_T5_PSV_SW_PNS1_23onesweep_lookback_stateEbbT6_jjT7_P12ihipStream_tbENKUlT_T0_SK_SP_E_clISE_SE_SF_SF_EEDaS13_S14_SK_SP_EUlS13_E_NS1_11comp_targetILNS1_3genE9ELNS1_11target_archE1100ELNS1_3gpuE3ELNS1_3repE0EEENS1_47radix_sort_onesweep_sort_config_static_selectorELNS0_4arch9wavefront6targetE1EEEvSK_
	.p2align	8
	.type	_ZN7rocprim17ROCPRIM_400000_NS6detail17trampoline_kernelINS0_14default_configENS1_35radix_sort_onesweep_config_selectorIiNS0_10empty_typeEEEZZNS1_29radix_sort_onesweep_iterationIS3_Lb0EN6thrust23THRUST_200600_302600_NS6detail15normal_iteratorINS9_10device_ptrIiEEEESE_PS5_SF_jNS0_19identity_decomposerENS1_16block_id_wrapperIjLb0EEEEE10hipError_tT1_PNSt15iterator_traitsISK_E10value_typeET2_T3_PNSL_ISQ_E10value_typeET4_T5_PSV_SW_PNS1_23onesweep_lookback_stateEbbT6_jjT7_P12ihipStream_tbENKUlT_T0_SK_SP_E_clISE_SE_SF_SF_EEDaS13_S14_SK_SP_EUlS13_E_NS1_11comp_targetILNS1_3genE9ELNS1_11target_archE1100ELNS1_3gpuE3ELNS1_3repE0EEENS1_47radix_sort_onesweep_sort_config_static_selectorELNS0_4arch9wavefront6targetE1EEEvSK_,@function
_ZN7rocprim17ROCPRIM_400000_NS6detail17trampoline_kernelINS0_14default_configENS1_35radix_sort_onesweep_config_selectorIiNS0_10empty_typeEEEZZNS1_29radix_sort_onesweep_iterationIS3_Lb0EN6thrust23THRUST_200600_302600_NS6detail15normal_iteratorINS9_10device_ptrIiEEEESE_PS5_SF_jNS0_19identity_decomposerENS1_16block_id_wrapperIjLb0EEEEE10hipError_tT1_PNSt15iterator_traitsISK_E10value_typeET2_T3_PNSL_ISQ_E10value_typeET4_T5_PSV_SW_PNS1_23onesweep_lookback_stateEbbT6_jjT7_P12ihipStream_tbENKUlT_T0_SK_SP_E_clISE_SE_SF_SF_EEDaS13_S14_SK_SP_EUlS13_E_NS1_11comp_targetILNS1_3genE9ELNS1_11target_archE1100ELNS1_3gpuE3ELNS1_3repE0EEENS1_47radix_sort_onesweep_sort_config_static_selectorELNS0_4arch9wavefront6targetE1EEEvSK_: ; @_ZN7rocprim17ROCPRIM_400000_NS6detail17trampoline_kernelINS0_14default_configENS1_35radix_sort_onesweep_config_selectorIiNS0_10empty_typeEEEZZNS1_29radix_sort_onesweep_iterationIS3_Lb0EN6thrust23THRUST_200600_302600_NS6detail15normal_iteratorINS9_10device_ptrIiEEEESE_PS5_SF_jNS0_19identity_decomposerENS1_16block_id_wrapperIjLb0EEEEE10hipError_tT1_PNSt15iterator_traitsISK_E10value_typeET2_T3_PNSL_ISQ_E10value_typeET4_T5_PSV_SW_PNS1_23onesweep_lookback_stateEbbT6_jjT7_P12ihipStream_tbENKUlT_T0_SK_SP_E_clISE_SE_SF_SF_EEDaS13_S14_SK_SP_EUlS13_E_NS1_11comp_targetILNS1_3genE9ELNS1_11target_archE1100ELNS1_3gpuE3ELNS1_3repE0EEENS1_47radix_sort_onesweep_sort_config_static_selectorELNS0_4arch9wavefront6targetE1EEEvSK_
; %bb.0:
	.section	.rodata,"a",@progbits
	.p2align	6, 0x0
	.amdhsa_kernel _ZN7rocprim17ROCPRIM_400000_NS6detail17trampoline_kernelINS0_14default_configENS1_35radix_sort_onesweep_config_selectorIiNS0_10empty_typeEEEZZNS1_29radix_sort_onesweep_iterationIS3_Lb0EN6thrust23THRUST_200600_302600_NS6detail15normal_iteratorINS9_10device_ptrIiEEEESE_PS5_SF_jNS0_19identity_decomposerENS1_16block_id_wrapperIjLb0EEEEE10hipError_tT1_PNSt15iterator_traitsISK_E10value_typeET2_T3_PNSL_ISQ_E10value_typeET4_T5_PSV_SW_PNS1_23onesweep_lookback_stateEbbT6_jjT7_P12ihipStream_tbENKUlT_T0_SK_SP_E_clISE_SE_SF_SF_EEDaS13_S14_SK_SP_EUlS13_E_NS1_11comp_targetILNS1_3genE9ELNS1_11target_archE1100ELNS1_3gpuE3ELNS1_3repE0EEENS1_47radix_sort_onesweep_sort_config_static_selectorELNS0_4arch9wavefront6targetE1EEEvSK_
		.amdhsa_group_segment_fixed_size 0
		.amdhsa_private_segment_fixed_size 0
		.amdhsa_kernarg_size 88
		.amdhsa_user_sgpr_count 2
		.amdhsa_user_sgpr_dispatch_ptr 0
		.amdhsa_user_sgpr_queue_ptr 0
		.amdhsa_user_sgpr_kernarg_segment_ptr 1
		.amdhsa_user_sgpr_dispatch_id 0
		.amdhsa_user_sgpr_kernarg_preload_length 0
		.amdhsa_user_sgpr_kernarg_preload_offset 0
		.amdhsa_user_sgpr_private_segment_size 0
		.amdhsa_uses_dynamic_stack 0
		.amdhsa_enable_private_segment 0
		.amdhsa_system_sgpr_workgroup_id_x 1
		.amdhsa_system_sgpr_workgroup_id_y 0
		.amdhsa_system_sgpr_workgroup_id_z 0
		.amdhsa_system_sgpr_workgroup_info 0
		.amdhsa_system_vgpr_workitem_id 0
		.amdhsa_next_free_vgpr 1
		.amdhsa_next_free_sgpr 0
		.amdhsa_accum_offset 4
		.amdhsa_reserve_vcc 0
		.amdhsa_float_round_mode_32 0
		.amdhsa_float_round_mode_16_64 0
		.amdhsa_float_denorm_mode_32 3
		.amdhsa_float_denorm_mode_16_64 3
		.amdhsa_dx10_clamp 1
		.amdhsa_ieee_mode 1
		.amdhsa_fp16_overflow 0
		.amdhsa_tg_split 0
		.amdhsa_exception_fp_ieee_invalid_op 0
		.amdhsa_exception_fp_denorm_src 0
		.amdhsa_exception_fp_ieee_div_zero 0
		.amdhsa_exception_fp_ieee_overflow 0
		.amdhsa_exception_fp_ieee_underflow 0
		.amdhsa_exception_fp_ieee_inexact 0
		.amdhsa_exception_int_div_zero 0
	.end_amdhsa_kernel
	.section	.text._ZN7rocprim17ROCPRIM_400000_NS6detail17trampoline_kernelINS0_14default_configENS1_35radix_sort_onesweep_config_selectorIiNS0_10empty_typeEEEZZNS1_29radix_sort_onesweep_iterationIS3_Lb0EN6thrust23THRUST_200600_302600_NS6detail15normal_iteratorINS9_10device_ptrIiEEEESE_PS5_SF_jNS0_19identity_decomposerENS1_16block_id_wrapperIjLb0EEEEE10hipError_tT1_PNSt15iterator_traitsISK_E10value_typeET2_T3_PNSL_ISQ_E10value_typeET4_T5_PSV_SW_PNS1_23onesweep_lookback_stateEbbT6_jjT7_P12ihipStream_tbENKUlT_T0_SK_SP_E_clISE_SE_SF_SF_EEDaS13_S14_SK_SP_EUlS13_E_NS1_11comp_targetILNS1_3genE9ELNS1_11target_archE1100ELNS1_3gpuE3ELNS1_3repE0EEENS1_47radix_sort_onesweep_sort_config_static_selectorELNS0_4arch9wavefront6targetE1EEEvSK_,"axG",@progbits,_ZN7rocprim17ROCPRIM_400000_NS6detail17trampoline_kernelINS0_14default_configENS1_35radix_sort_onesweep_config_selectorIiNS0_10empty_typeEEEZZNS1_29radix_sort_onesweep_iterationIS3_Lb0EN6thrust23THRUST_200600_302600_NS6detail15normal_iteratorINS9_10device_ptrIiEEEESE_PS5_SF_jNS0_19identity_decomposerENS1_16block_id_wrapperIjLb0EEEEE10hipError_tT1_PNSt15iterator_traitsISK_E10value_typeET2_T3_PNSL_ISQ_E10value_typeET4_T5_PSV_SW_PNS1_23onesweep_lookback_stateEbbT6_jjT7_P12ihipStream_tbENKUlT_T0_SK_SP_E_clISE_SE_SF_SF_EEDaS13_S14_SK_SP_EUlS13_E_NS1_11comp_targetILNS1_3genE9ELNS1_11target_archE1100ELNS1_3gpuE3ELNS1_3repE0EEENS1_47radix_sort_onesweep_sort_config_static_selectorELNS0_4arch9wavefront6targetE1EEEvSK_,comdat
.Lfunc_end1780:
	.size	_ZN7rocprim17ROCPRIM_400000_NS6detail17trampoline_kernelINS0_14default_configENS1_35radix_sort_onesweep_config_selectorIiNS0_10empty_typeEEEZZNS1_29radix_sort_onesweep_iterationIS3_Lb0EN6thrust23THRUST_200600_302600_NS6detail15normal_iteratorINS9_10device_ptrIiEEEESE_PS5_SF_jNS0_19identity_decomposerENS1_16block_id_wrapperIjLb0EEEEE10hipError_tT1_PNSt15iterator_traitsISK_E10value_typeET2_T3_PNSL_ISQ_E10value_typeET4_T5_PSV_SW_PNS1_23onesweep_lookback_stateEbbT6_jjT7_P12ihipStream_tbENKUlT_T0_SK_SP_E_clISE_SE_SF_SF_EEDaS13_S14_SK_SP_EUlS13_E_NS1_11comp_targetILNS1_3genE9ELNS1_11target_archE1100ELNS1_3gpuE3ELNS1_3repE0EEENS1_47radix_sort_onesweep_sort_config_static_selectorELNS0_4arch9wavefront6targetE1EEEvSK_, .Lfunc_end1780-_ZN7rocprim17ROCPRIM_400000_NS6detail17trampoline_kernelINS0_14default_configENS1_35radix_sort_onesweep_config_selectorIiNS0_10empty_typeEEEZZNS1_29radix_sort_onesweep_iterationIS3_Lb0EN6thrust23THRUST_200600_302600_NS6detail15normal_iteratorINS9_10device_ptrIiEEEESE_PS5_SF_jNS0_19identity_decomposerENS1_16block_id_wrapperIjLb0EEEEE10hipError_tT1_PNSt15iterator_traitsISK_E10value_typeET2_T3_PNSL_ISQ_E10value_typeET4_T5_PSV_SW_PNS1_23onesweep_lookback_stateEbbT6_jjT7_P12ihipStream_tbENKUlT_T0_SK_SP_E_clISE_SE_SF_SF_EEDaS13_S14_SK_SP_EUlS13_E_NS1_11comp_targetILNS1_3genE9ELNS1_11target_archE1100ELNS1_3gpuE3ELNS1_3repE0EEENS1_47radix_sort_onesweep_sort_config_static_selectorELNS0_4arch9wavefront6targetE1EEEvSK_
                                        ; -- End function
	.section	.AMDGPU.csdata,"",@progbits
; Kernel info:
; codeLenInByte = 0
; NumSgprs: 6
; NumVgprs: 0
; NumAgprs: 0
; TotalNumVgprs: 0
; ScratchSize: 0
; MemoryBound: 0
; FloatMode: 240
; IeeeMode: 1
; LDSByteSize: 0 bytes/workgroup (compile time only)
; SGPRBlocks: 0
; VGPRBlocks: 0
; NumSGPRsForWavesPerEU: 6
; NumVGPRsForWavesPerEU: 1
; AccumOffset: 4
; Occupancy: 8
; WaveLimiterHint : 0
; COMPUTE_PGM_RSRC2:SCRATCH_EN: 0
; COMPUTE_PGM_RSRC2:USER_SGPR: 2
; COMPUTE_PGM_RSRC2:TRAP_HANDLER: 0
; COMPUTE_PGM_RSRC2:TGID_X_EN: 1
; COMPUTE_PGM_RSRC2:TGID_Y_EN: 0
; COMPUTE_PGM_RSRC2:TGID_Z_EN: 0
; COMPUTE_PGM_RSRC2:TIDIG_COMP_CNT: 0
; COMPUTE_PGM_RSRC3_GFX90A:ACCUM_OFFSET: 0
; COMPUTE_PGM_RSRC3_GFX90A:TG_SPLIT: 0
	.section	.text._ZN7rocprim17ROCPRIM_400000_NS6detail17trampoline_kernelINS0_14default_configENS1_35radix_sort_onesweep_config_selectorIiNS0_10empty_typeEEEZZNS1_29radix_sort_onesweep_iterationIS3_Lb0EN6thrust23THRUST_200600_302600_NS6detail15normal_iteratorINS9_10device_ptrIiEEEESE_PS5_SF_jNS0_19identity_decomposerENS1_16block_id_wrapperIjLb0EEEEE10hipError_tT1_PNSt15iterator_traitsISK_E10value_typeET2_T3_PNSL_ISQ_E10value_typeET4_T5_PSV_SW_PNS1_23onesweep_lookback_stateEbbT6_jjT7_P12ihipStream_tbENKUlT_T0_SK_SP_E_clISE_SE_SF_SF_EEDaS13_S14_SK_SP_EUlS13_E_NS1_11comp_targetILNS1_3genE8ELNS1_11target_archE1030ELNS1_3gpuE2ELNS1_3repE0EEENS1_47radix_sort_onesweep_sort_config_static_selectorELNS0_4arch9wavefront6targetE1EEEvSK_,"axG",@progbits,_ZN7rocprim17ROCPRIM_400000_NS6detail17trampoline_kernelINS0_14default_configENS1_35radix_sort_onesweep_config_selectorIiNS0_10empty_typeEEEZZNS1_29radix_sort_onesweep_iterationIS3_Lb0EN6thrust23THRUST_200600_302600_NS6detail15normal_iteratorINS9_10device_ptrIiEEEESE_PS5_SF_jNS0_19identity_decomposerENS1_16block_id_wrapperIjLb0EEEEE10hipError_tT1_PNSt15iterator_traitsISK_E10value_typeET2_T3_PNSL_ISQ_E10value_typeET4_T5_PSV_SW_PNS1_23onesweep_lookback_stateEbbT6_jjT7_P12ihipStream_tbENKUlT_T0_SK_SP_E_clISE_SE_SF_SF_EEDaS13_S14_SK_SP_EUlS13_E_NS1_11comp_targetILNS1_3genE8ELNS1_11target_archE1030ELNS1_3gpuE2ELNS1_3repE0EEENS1_47radix_sort_onesweep_sort_config_static_selectorELNS0_4arch9wavefront6targetE1EEEvSK_,comdat
	.protected	_ZN7rocprim17ROCPRIM_400000_NS6detail17trampoline_kernelINS0_14default_configENS1_35radix_sort_onesweep_config_selectorIiNS0_10empty_typeEEEZZNS1_29radix_sort_onesweep_iterationIS3_Lb0EN6thrust23THRUST_200600_302600_NS6detail15normal_iteratorINS9_10device_ptrIiEEEESE_PS5_SF_jNS0_19identity_decomposerENS1_16block_id_wrapperIjLb0EEEEE10hipError_tT1_PNSt15iterator_traitsISK_E10value_typeET2_T3_PNSL_ISQ_E10value_typeET4_T5_PSV_SW_PNS1_23onesweep_lookback_stateEbbT6_jjT7_P12ihipStream_tbENKUlT_T0_SK_SP_E_clISE_SE_SF_SF_EEDaS13_S14_SK_SP_EUlS13_E_NS1_11comp_targetILNS1_3genE8ELNS1_11target_archE1030ELNS1_3gpuE2ELNS1_3repE0EEENS1_47radix_sort_onesweep_sort_config_static_selectorELNS0_4arch9wavefront6targetE1EEEvSK_ ; -- Begin function _ZN7rocprim17ROCPRIM_400000_NS6detail17trampoline_kernelINS0_14default_configENS1_35radix_sort_onesweep_config_selectorIiNS0_10empty_typeEEEZZNS1_29radix_sort_onesweep_iterationIS3_Lb0EN6thrust23THRUST_200600_302600_NS6detail15normal_iteratorINS9_10device_ptrIiEEEESE_PS5_SF_jNS0_19identity_decomposerENS1_16block_id_wrapperIjLb0EEEEE10hipError_tT1_PNSt15iterator_traitsISK_E10value_typeET2_T3_PNSL_ISQ_E10value_typeET4_T5_PSV_SW_PNS1_23onesweep_lookback_stateEbbT6_jjT7_P12ihipStream_tbENKUlT_T0_SK_SP_E_clISE_SE_SF_SF_EEDaS13_S14_SK_SP_EUlS13_E_NS1_11comp_targetILNS1_3genE8ELNS1_11target_archE1030ELNS1_3gpuE2ELNS1_3repE0EEENS1_47radix_sort_onesweep_sort_config_static_selectorELNS0_4arch9wavefront6targetE1EEEvSK_
	.globl	_ZN7rocprim17ROCPRIM_400000_NS6detail17trampoline_kernelINS0_14default_configENS1_35radix_sort_onesweep_config_selectorIiNS0_10empty_typeEEEZZNS1_29radix_sort_onesweep_iterationIS3_Lb0EN6thrust23THRUST_200600_302600_NS6detail15normal_iteratorINS9_10device_ptrIiEEEESE_PS5_SF_jNS0_19identity_decomposerENS1_16block_id_wrapperIjLb0EEEEE10hipError_tT1_PNSt15iterator_traitsISK_E10value_typeET2_T3_PNSL_ISQ_E10value_typeET4_T5_PSV_SW_PNS1_23onesweep_lookback_stateEbbT6_jjT7_P12ihipStream_tbENKUlT_T0_SK_SP_E_clISE_SE_SF_SF_EEDaS13_S14_SK_SP_EUlS13_E_NS1_11comp_targetILNS1_3genE8ELNS1_11target_archE1030ELNS1_3gpuE2ELNS1_3repE0EEENS1_47radix_sort_onesweep_sort_config_static_selectorELNS0_4arch9wavefront6targetE1EEEvSK_
	.p2align	8
	.type	_ZN7rocprim17ROCPRIM_400000_NS6detail17trampoline_kernelINS0_14default_configENS1_35radix_sort_onesweep_config_selectorIiNS0_10empty_typeEEEZZNS1_29radix_sort_onesweep_iterationIS3_Lb0EN6thrust23THRUST_200600_302600_NS6detail15normal_iteratorINS9_10device_ptrIiEEEESE_PS5_SF_jNS0_19identity_decomposerENS1_16block_id_wrapperIjLb0EEEEE10hipError_tT1_PNSt15iterator_traitsISK_E10value_typeET2_T3_PNSL_ISQ_E10value_typeET4_T5_PSV_SW_PNS1_23onesweep_lookback_stateEbbT6_jjT7_P12ihipStream_tbENKUlT_T0_SK_SP_E_clISE_SE_SF_SF_EEDaS13_S14_SK_SP_EUlS13_E_NS1_11comp_targetILNS1_3genE8ELNS1_11target_archE1030ELNS1_3gpuE2ELNS1_3repE0EEENS1_47radix_sort_onesweep_sort_config_static_selectorELNS0_4arch9wavefront6targetE1EEEvSK_,@function
_ZN7rocprim17ROCPRIM_400000_NS6detail17trampoline_kernelINS0_14default_configENS1_35radix_sort_onesweep_config_selectorIiNS0_10empty_typeEEEZZNS1_29radix_sort_onesweep_iterationIS3_Lb0EN6thrust23THRUST_200600_302600_NS6detail15normal_iteratorINS9_10device_ptrIiEEEESE_PS5_SF_jNS0_19identity_decomposerENS1_16block_id_wrapperIjLb0EEEEE10hipError_tT1_PNSt15iterator_traitsISK_E10value_typeET2_T3_PNSL_ISQ_E10value_typeET4_T5_PSV_SW_PNS1_23onesweep_lookback_stateEbbT6_jjT7_P12ihipStream_tbENKUlT_T0_SK_SP_E_clISE_SE_SF_SF_EEDaS13_S14_SK_SP_EUlS13_E_NS1_11comp_targetILNS1_3genE8ELNS1_11target_archE1030ELNS1_3gpuE2ELNS1_3repE0EEENS1_47radix_sort_onesweep_sort_config_static_selectorELNS0_4arch9wavefront6targetE1EEEvSK_: ; @_ZN7rocprim17ROCPRIM_400000_NS6detail17trampoline_kernelINS0_14default_configENS1_35radix_sort_onesweep_config_selectorIiNS0_10empty_typeEEEZZNS1_29radix_sort_onesweep_iterationIS3_Lb0EN6thrust23THRUST_200600_302600_NS6detail15normal_iteratorINS9_10device_ptrIiEEEESE_PS5_SF_jNS0_19identity_decomposerENS1_16block_id_wrapperIjLb0EEEEE10hipError_tT1_PNSt15iterator_traitsISK_E10value_typeET2_T3_PNSL_ISQ_E10value_typeET4_T5_PSV_SW_PNS1_23onesweep_lookback_stateEbbT6_jjT7_P12ihipStream_tbENKUlT_T0_SK_SP_E_clISE_SE_SF_SF_EEDaS13_S14_SK_SP_EUlS13_E_NS1_11comp_targetILNS1_3genE8ELNS1_11target_archE1030ELNS1_3gpuE2ELNS1_3repE0EEENS1_47radix_sort_onesweep_sort_config_static_selectorELNS0_4arch9wavefront6targetE1EEEvSK_
; %bb.0:
	.section	.rodata,"a",@progbits
	.p2align	6, 0x0
	.amdhsa_kernel _ZN7rocprim17ROCPRIM_400000_NS6detail17trampoline_kernelINS0_14default_configENS1_35radix_sort_onesweep_config_selectorIiNS0_10empty_typeEEEZZNS1_29radix_sort_onesweep_iterationIS3_Lb0EN6thrust23THRUST_200600_302600_NS6detail15normal_iteratorINS9_10device_ptrIiEEEESE_PS5_SF_jNS0_19identity_decomposerENS1_16block_id_wrapperIjLb0EEEEE10hipError_tT1_PNSt15iterator_traitsISK_E10value_typeET2_T3_PNSL_ISQ_E10value_typeET4_T5_PSV_SW_PNS1_23onesweep_lookback_stateEbbT6_jjT7_P12ihipStream_tbENKUlT_T0_SK_SP_E_clISE_SE_SF_SF_EEDaS13_S14_SK_SP_EUlS13_E_NS1_11comp_targetILNS1_3genE8ELNS1_11target_archE1030ELNS1_3gpuE2ELNS1_3repE0EEENS1_47radix_sort_onesweep_sort_config_static_selectorELNS0_4arch9wavefront6targetE1EEEvSK_
		.amdhsa_group_segment_fixed_size 0
		.amdhsa_private_segment_fixed_size 0
		.amdhsa_kernarg_size 88
		.amdhsa_user_sgpr_count 2
		.amdhsa_user_sgpr_dispatch_ptr 0
		.amdhsa_user_sgpr_queue_ptr 0
		.amdhsa_user_sgpr_kernarg_segment_ptr 1
		.amdhsa_user_sgpr_dispatch_id 0
		.amdhsa_user_sgpr_kernarg_preload_length 0
		.amdhsa_user_sgpr_kernarg_preload_offset 0
		.amdhsa_user_sgpr_private_segment_size 0
		.amdhsa_uses_dynamic_stack 0
		.amdhsa_enable_private_segment 0
		.amdhsa_system_sgpr_workgroup_id_x 1
		.amdhsa_system_sgpr_workgroup_id_y 0
		.amdhsa_system_sgpr_workgroup_id_z 0
		.amdhsa_system_sgpr_workgroup_info 0
		.amdhsa_system_vgpr_workitem_id 0
		.amdhsa_next_free_vgpr 1
		.amdhsa_next_free_sgpr 0
		.amdhsa_accum_offset 4
		.amdhsa_reserve_vcc 0
		.amdhsa_float_round_mode_32 0
		.amdhsa_float_round_mode_16_64 0
		.amdhsa_float_denorm_mode_32 3
		.amdhsa_float_denorm_mode_16_64 3
		.amdhsa_dx10_clamp 1
		.amdhsa_ieee_mode 1
		.amdhsa_fp16_overflow 0
		.amdhsa_tg_split 0
		.amdhsa_exception_fp_ieee_invalid_op 0
		.amdhsa_exception_fp_denorm_src 0
		.amdhsa_exception_fp_ieee_div_zero 0
		.amdhsa_exception_fp_ieee_overflow 0
		.amdhsa_exception_fp_ieee_underflow 0
		.amdhsa_exception_fp_ieee_inexact 0
		.amdhsa_exception_int_div_zero 0
	.end_amdhsa_kernel
	.section	.text._ZN7rocprim17ROCPRIM_400000_NS6detail17trampoline_kernelINS0_14default_configENS1_35radix_sort_onesweep_config_selectorIiNS0_10empty_typeEEEZZNS1_29radix_sort_onesweep_iterationIS3_Lb0EN6thrust23THRUST_200600_302600_NS6detail15normal_iteratorINS9_10device_ptrIiEEEESE_PS5_SF_jNS0_19identity_decomposerENS1_16block_id_wrapperIjLb0EEEEE10hipError_tT1_PNSt15iterator_traitsISK_E10value_typeET2_T3_PNSL_ISQ_E10value_typeET4_T5_PSV_SW_PNS1_23onesweep_lookback_stateEbbT6_jjT7_P12ihipStream_tbENKUlT_T0_SK_SP_E_clISE_SE_SF_SF_EEDaS13_S14_SK_SP_EUlS13_E_NS1_11comp_targetILNS1_3genE8ELNS1_11target_archE1030ELNS1_3gpuE2ELNS1_3repE0EEENS1_47radix_sort_onesweep_sort_config_static_selectorELNS0_4arch9wavefront6targetE1EEEvSK_,"axG",@progbits,_ZN7rocprim17ROCPRIM_400000_NS6detail17trampoline_kernelINS0_14default_configENS1_35radix_sort_onesweep_config_selectorIiNS0_10empty_typeEEEZZNS1_29radix_sort_onesweep_iterationIS3_Lb0EN6thrust23THRUST_200600_302600_NS6detail15normal_iteratorINS9_10device_ptrIiEEEESE_PS5_SF_jNS0_19identity_decomposerENS1_16block_id_wrapperIjLb0EEEEE10hipError_tT1_PNSt15iterator_traitsISK_E10value_typeET2_T3_PNSL_ISQ_E10value_typeET4_T5_PSV_SW_PNS1_23onesweep_lookback_stateEbbT6_jjT7_P12ihipStream_tbENKUlT_T0_SK_SP_E_clISE_SE_SF_SF_EEDaS13_S14_SK_SP_EUlS13_E_NS1_11comp_targetILNS1_3genE8ELNS1_11target_archE1030ELNS1_3gpuE2ELNS1_3repE0EEENS1_47radix_sort_onesweep_sort_config_static_selectorELNS0_4arch9wavefront6targetE1EEEvSK_,comdat
.Lfunc_end1781:
	.size	_ZN7rocprim17ROCPRIM_400000_NS6detail17trampoline_kernelINS0_14default_configENS1_35radix_sort_onesweep_config_selectorIiNS0_10empty_typeEEEZZNS1_29radix_sort_onesweep_iterationIS3_Lb0EN6thrust23THRUST_200600_302600_NS6detail15normal_iteratorINS9_10device_ptrIiEEEESE_PS5_SF_jNS0_19identity_decomposerENS1_16block_id_wrapperIjLb0EEEEE10hipError_tT1_PNSt15iterator_traitsISK_E10value_typeET2_T3_PNSL_ISQ_E10value_typeET4_T5_PSV_SW_PNS1_23onesweep_lookback_stateEbbT6_jjT7_P12ihipStream_tbENKUlT_T0_SK_SP_E_clISE_SE_SF_SF_EEDaS13_S14_SK_SP_EUlS13_E_NS1_11comp_targetILNS1_3genE8ELNS1_11target_archE1030ELNS1_3gpuE2ELNS1_3repE0EEENS1_47radix_sort_onesweep_sort_config_static_selectorELNS0_4arch9wavefront6targetE1EEEvSK_, .Lfunc_end1781-_ZN7rocprim17ROCPRIM_400000_NS6detail17trampoline_kernelINS0_14default_configENS1_35radix_sort_onesweep_config_selectorIiNS0_10empty_typeEEEZZNS1_29radix_sort_onesweep_iterationIS3_Lb0EN6thrust23THRUST_200600_302600_NS6detail15normal_iteratorINS9_10device_ptrIiEEEESE_PS5_SF_jNS0_19identity_decomposerENS1_16block_id_wrapperIjLb0EEEEE10hipError_tT1_PNSt15iterator_traitsISK_E10value_typeET2_T3_PNSL_ISQ_E10value_typeET4_T5_PSV_SW_PNS1_23onesweep_lookback_stateEbbT6_jjT7_P12ihipStream_tbENKUlT_T0_SK_SP_E_clISE_SE_SF_SF_EEDaS13_S14_SK_SP_EUlS13_E_NS1_11comp_targetILNS1_3genE8ELNS1_11target_archE1030ELNS1_3gpuE2ELNS1_3repE0EEENS1_47radix_sort_onesweep_sort_config_static_selectorELNS0_4arch9wavefront6targetE1EEEvSK_
                                        ; -- End function
	.section	.AMDGPU.csdata,"",@progbits
; Kernel info:
; codeLenInByte = 0
; NumSgprs: 6
; NumVgprs: 0
; NumAgprs: 0
; TotalNumVgprs: 0
; ScratchSize: 0
; MemoryBound: 0
; FloatMode: 240
; IeeeMode: 1
; LDSByteSize: 0 bytes/workgroup (compile time only)
; SGPRBlocks: 0
; VGPRBlocks: 0
; NumSGPRsForWavesPerEU: 6
; NumVGPRsForWavesPerEU: 1
; AccumOffset: 4
; Occupancy: 8
; WaveLimiterHint : 0
; COMPUTE_PGM_RSRC2:SCRATCH_EN: 0
; COMPUTE_PGM_RSRC2:USER_SGPR: 2
; COMPUTE_PGM_RSRC2:TRAP_HANDLER: 0
; COMPUTE_PGM_RSRC2:TGID_X_EN: 1
; COMPUTE_PGM_RSRC2:TGID_Y_EN: 0
; COMPUTE_PGM_RSRC2:TGID_Z_EN: 0
; COMPUTE_PGM_RSRC2:TIDIG_COMP_CNT: 0
; COMPUTE_PGM_RSRC3_GFX90A:ACCUM_OFFSET: 0
; COMPUTE_PGM_RSRC3_GFX90A:TG_SPLIT: 0
	.section	.text._ZN7rocprim17ROCPRIM_400000_NS6detail17trampoline_kernelINS0_14default_configENS1_35radix_sort_onesweep_config_selectorIiNS0_10empty_typeEEEZZNS1_29radix_sort_onesweep_iterationIS3_Lb0EN6thrust23THRUST_200600_302600_NS6detail15normal_iteratorINS9_10device_ptrIiEEEESE_PS5_SF_jNS0_19identity_decomposerENS1_16block_id_wrapperIjLb0EEEEE10hipError_tT1_PNSt15iterator_traitsISK_E10value_typeET2_T3_PNSL_ISQ_E10value_typeET4_T5_PSV_SW_PNS1_23onesweep_lookback_stateEbbT6_jjT7_P12ihipStream_tbENKUlT_T0_SK_SP_E_clISE_PiSF_SF_EEDaS13_S14_SK_SP_EUlS13_E_NS1_11comp_targetILNS1_3genE0ELNS1_11target_archE4294967295ELNS1_3gpuE0ELNS1_3repE0EEENS1_47radix_sort_onesweep_sort_config_static_selectorELNS0_4arch9wavefront6targetE1EEEvSK_,"axG",@progbits,_ZN7rocprim17ROCPRIM_400000_NS6detail17trampoline_kernelINS0_14default_configENS1_35radix_sort_onesweep_config_selectorIiNS0_10empty_typeEEEZZNS1_29radix_sort_onesweep_iterationIS3_Lb0EN6thrust23THRUST_200600_302600_NS6detail15normal_iteratorINS9_10device_ptrIiEEEESE_PS5_SF_jNS0_19identity_decomposerENS1_16block_id_wrapperIjLb0EEEEE10hipError_tT1_PNSt15iterator_traitsISK_E10value_typeET2_T3_PNSL_ISQ_E10value_typeET4_T5_PSV_SW_PNS1_23onesweep_lookback_stateEbbT6_jjT7_P12ihipStream_tbENKUlT_T0_SK_SP_E_clISE_PiSF_SF_EEDaS13_S14_SK_SP_EUlS13_E_NS1_11comp_targetILNS1_3genE0ELNS1_11target_archE4294967295ELNS1_3gpuE0ELNS1_3repE0EEENS1_47radix_sort_onesweep_sort_config_static_selectorELNS0_4arch9wavefront6targetE1EEEvSK_,comdat
	.protected	_ZN7rocprim17ROCPRIM_400000_NS6detail17trampoline_kernelINS0_14default_configENS1_35radix_sort_onesweep_config_selectorIiNS0_10empty_typeEEEZZNS1_29radix_sort_onesweep_iterationIS3_Lb0EN6thrust23THRUST_200600_302600_NS6detail15normal_iteratorINS9_10device_ptrIiEEEESE_PS5_SF_jNS0_19identity_decomposerENS1_16block_id_wrapperIjLb0EEEEE10hipError_tT1_PNSt15iterator_traitsISK_E10value_typeET2_T3_PNSL_ISQ_E10value_typeET4_T5_PSV_SW_PNS1_23onesweep_lookback_stateEbbT6_jjT7_P12ihipStream_tbENKUlT_T0_SK_SP_E_clISE_PiSF_SF_EEDaS13_S14_SK_SP_EUlS13_E_NS1_11comp_targetILNS1_3genE0ELNS1_11target_archE4294967295ELNS1_3gpuE0ELNS1_3repE0EEENS1_47radix_sort_onesweep_sort_config_static_selectorELNS0_4arch9wavefront6targetE1EEEvSK_ ; -- Begin function _ZN7rocprim17ROCPRIM_400000_NS6detail17trampoline_kernelINS0_14default_configENS1_35radix_sort_onesweep_config_selectorIiNS0_10empty_typeEEEZZNS1_29radix_sort_onesweep_iterationIS3_Lb0EN6thrust23THRUST_200600_302600_NS6detail15normal_iteratorINS9_10device_ptrIiEEEESE_PS5_SF_jNS0_19identity_decomposerENS1_16block_id_wrapperIjLb0EEEEE10hipError_tT1_PNSt15iterator_traitsISK_E10value_typeET2_T3_PNSL_ISQ_E10value_typeET4_T5_PSV_SW_PNS1_23onesweep_lookback_stateEbbT6_jjT7_P12ihipStream_tbENKUlT_T0_SK_SP_E_clISE_PiSF_SF_EEDaS13_S14_SK_SP_EUlS13_E_NS1_11comp_targetILNS1_3genE0ELNS1_11target_archE4294967295ELNS1_3gpuE0ELNS1_3repE0EEENS1_47radix_sort_onesweep_sort_config_static_selectorELNS0_4arch9wavefront6targetE1EEEvSK_
	.globl	_ZN7rocprim17ROCPRIM_400000_NS6detail17trampoline_kernelINS0_14default_configENS1_35radix_sort_onesweep_config_selectorIiNS0_10empty_typeEEEZZNS1_29radix_sort_onesweep_iterationIS3_Lb0EN6thrust23THRUST_200600_302600_NS6detail15normal_iteratorINS9_10device_ptrIiEEEESE_PS5_SF_jNS0_19identity_decomposerENS1_16block_id_wrapperIjLb0EEEEE10hipError_tT1_PNSt15iterator_traitsISK_E10value_typeET2_T3_PNSL_ISQ_E10value_typeET4_T5_PSV_SW_PNS1_23onesweep_lookback_stateEbbT6_jjT7_P12ihipStream_tbENKUlT_T0_SK_SP_E_clISE_PiSF_SF_EEDaS13_S14_SK_SP_EUlS13_E_NS1_11comp_targetILNS1_3genE0ELNS1_11target_archE4294967295ELNS1_3gpuE0ELNS1_3repE0EEENS1_47radix_sort_onesweep_sort_config_static_selectorELNS0_4arch9wavefront6targetE1EEEvSK_
	.p2align	8
	.type	_ZN7rocprim17ROCPRIM_400000_NS6detail17trampoline_kernelINS0_14default_configENS1_35radix_sort_onesweep_config_selectorIiNS0_10empty_typeEEEZZNS1_29radix_sort_onesweep_iterationIS3_Lb0EN6thrust23THRUST_200600_302600_NS6detail15normal_iteratorINS9_10device_ptrIiEEEESE_PS5_SF_jNS0_19identity_decomposerENS1_16block_id_wrapperIjLb0EEEEE10hipError_tT1_PNSt15iterator_traitsISK_E10value_typeET2_T3_PNSL_ISQ_E10value_typeET4_T5_PSV_SW_PNS1_23onesweep_lookback_stateEbbT6_jjT7_P12ihipStream_tbENKUlT_T0_SK_SP_E_clISE_PiSF_SF_EEDaS13_S14_SK_SP_EUlS13_E_NS1_11comp_targetILNS1_3genE0ELNS1_11target_archE4294967295ELNS1_3gpuE0ELNS1_3repE0EEENS1_47radix_sort_onesweep_sort_config_static_selectorELNS0_4arch9wavefront6targetE1EEEvSK_,@function
_ZN7rocprim17ROCPRIM_400000_NS6detail17trampoline_kernelINS0_14default_configENS1_35radix_sort_onesweep_config_selectorIiNS0_10empty_typeEEEZZNS1_29radix_sort_onesweep_iterationIS3_Lb0EN6thrust23THRUST_200600_302600_NS6detail15normal_iteratorINS9_10device_ptrIiEEEESE_PS5_SF_jNS0_19identity_decomposerENS1_16block_id_wrapperIjLb0EEEEE10hipError_tT1_PNSt15iterator_traitsISK_E10value_typeET2_T3_PNSL_ISQ_E10value_typeET4_T5_PSV_SW_PNS1_23onesweep_lookback_stateEbbT6_jjT7_P12ihipStream_tbENKUlT_T0_SK_SP_E_clISE_PiSF_SF_EEDaS13_S14_SK_SP_EUlS13_E_NS1_11comp_targetILNS1_3genE0ELNS1_11target_archE4294967295ELNS1_3gpuE0ELNS1_3repE0EEENS1_47radix_sort_onesweep_sort_config_static_selectorELNS0_4arch9wavefront6targetE1EEEvSK_: ; @_ZN7rocprim17ROCPRIM_400000_NS6detail17trampoline_kernelINS0_14default_configENS1_35radix_sort_onesweep_config_selectorIiNS0_10empty_typeEEEZZNS1_29radix_sort_onesweep_iterationIS3_Lb0EN6thrust23THRUST_200600_302600_NS6detail15normal_iteratorINS9_10device_ptrIiEEEESE_PS5_SF_jNS0_19identity_decomposerENS1_16block_id_wrapperIjLb0EEEEE10hipError_tT1_PNSt15iterator_traitsISK_E10value_typeET2_T3_PNSL_ISQ_E10value_typeET4_T5_PSV_SW_PNS1_23onesweep_lookback_stateEbbT6_jjT7_P12ihipStream_tbENKUlT_T0_SK_SP_E_clISE_PiSF_SF_EEDaS13_S14_SK_SP_EUlS13_E_NS1_11comp_targetILNS1_3genE0ELNS1_11target_archE4294967295ELNS1_3gpuE0ELNS1_3repE0EEENS1_47radix_sort_onesweep_sort_config_static_selectorELNS0_4arch9wavefront6targetE1EEEvSK_
; %bb.0:
	.section	.rodata,"a",@progbits
	.p2align	6, 0x0
	.amdhsa_kernel _ZN7rocprim17ROCPRIM_400000_NS6detail17trampoline_kernelINS0_14default_configENS1_35radix_sort_onesweep_config_selectorIiNS0_10empty_typeEEEZZNS1_29radix_sort_onesweep_iterationIS3_Lb0EN6thrust23THRUST_200600_302600_NS6detail15normal_iteratorINS9_10device_ptrIiEEEESE_PS5_SF_jNS0_19identity_decomposerENS1_16block_id_wrapperIjLb0EEEEE10hipError_tT1_PNSt15iterator_traitsISK_E10value_typeET2_T3_PNSL_ISQ_E10value_typeET4_T5_PSV_SW_PNS1_23onesweep_lookback_stateEbbT6_jjT7_P12ihipStream_tbENKUlT_T0_SK_SP_E_clISE_PiSF_SF_EEDaS13_S14_SK_SP_EUlS13_E_NS1_11comp_targetILNS1_3genE0ELNS1_11target_archE4294967295ELNS1_3gpuE0ELNS1_3repE0EEENS1_47radix_sort_onesweep_sort_config_static_selectorELNS0_4arch9wavefront6targetE1EEEvSK_
		.amdhsa_group_segment_fixed_size 0
		.amdhsa_private_segment_fixed_size 0
		.amdhsa_kernarg_size 88
		.amdhsa_user_sgpr_count 2
		.amdhsa_user_sgpr_dispatch_ptr 0
		.amdhsa_user_sgpr_queue_ptr 0
		.amdhsa_user_sgpr_kernarg_segment_ptr 1
		.amdhsa_user_sgpr_dispatch_id 0
		.amdhsa_user_sgpr_kernarg_preload_length 0
		.amdhsa_user_sgpr_kernarg_preload_offset 0
		.amdhsa_user_sgpr_private_segment_size 0
		.amdhsa_uses_dynamic_stack 0
		.amdhsa_enable_private_segment 0
		.amdhsa_system_sgpr_workgroup_id_x 1
		.amdhsa_system_sgpr_workgroup_id_y 0
		.amdhsa_system_sgpr_workgroup_id_z 0
		.amdhsa_system_sgpr_workgroup_info 0
		.amdhsa_system_vgpr_workitem_id 0
		.amdhsa_next_free_vgpr 1
		.amdhsa_next_free_sgpr 0
		.amdhsa_accum_offset 4
		.amdhsa_reserve_vcc 0
		.amdhsa_float_round_mode_32 0
		.amdhsa_float_round_mode_16_64 0
		.amdhsa_float_denorm_mode_32 3
		.amdhsa_float_denorm_mode_16_64 3
		.amdhsa_dx10_clamp 1
		.amdhsa_ieee_mode 1
		.amdhsa_fp16_overflow 0
		.amdhsa_tg_split 0
		.amdhsa_exception_fp_ieee_invalid_op 0
		.amdhsa_exception_fp_denorm_src 0
		.amdhsa_exception_fp_ieee_div_zero 0
		.amdhsa_exception_fp_ieee_overflow 0
		.amdhsa_exception_fp_ieee_underflow 0
		.amdhsa_exception_fp_ieee_inexact 0
		.amdhsa_exception_int_div_zero 0
	.end_amdhsa_kernel
	.section	.text._ZN7rocprim17ROCPRIM_400000_NS6detail17trampoline_kernelINS0_14default_configENS1_35radix_sort_onesweep_config_selectorIiNS0_10empty_typeEEEZZNS1_29radix_sort_onesweep_iterationIS3_Lb0EN6thrust23THRUST_200600_302600_NS6detail15normal_iteratorINS9_10device_ptrIiEEEESE_PS5_SF_jNS0_19identity_decomposerENS1_16block_id_wrapperIjLb0EEEEE10hipError_tT1_PNSt15iterator_traitsISK_E10value_typeET2_T3_PNSL_ISQ_E10value_typeET4_T5_PSV_SW_PNS1_23onesweep_lookback_stateEbbT6_jjT7_P12ihipStream_tbENKUlT_T0_SK_SP_E_clISE_PiSF_SF_EEDaS13_S14_SK_SP_EUlS13_E_NS1_11comp_targetILNS1_3genE0ELNS1_11target_archE4294967295ELNS1_3gpuE0ELNS1_3repE0EEENS1_47radix_sort_onesweep_sort_config_static_selectorELNS0_4arch9wavefront6targetE1EEEvSK_,"axG",@progbits,_ZN7rocprim17ROCPRIM_400000_NS6detail17trampoline_kernelINS0_14default_configENS1_35radix_sort_onesweep_config_selectorIiNS0_10empty_typeEEEZZNS1_29radix_sort_onesweep_iterationIS3_Lb0EN6thrust23THRUST_200600_302600_NS6detail15normal_iteratorINS9_10device_ptrIiEEEESE_PS5_SF_jNS0_19identity_decomposerENS1_16block_id_wrapperIjLb0EEEEE10hipError_tT1_PNSt15iterator_traitsISK_E10value_typeET2_T3_PNSL_ISQ_E10value_typeET4_T5_PSV_SW_PNS1_23onesweep_lookback_stateEbbT6_jjT7_P12ihipStream_tbENKUlT_T0_SK_SP_E_clISE_PiSF_SF_EEDaS13_S14_SK_SP_EUlS13_E_NS1_11comp_targetILNS1_3genE0ELNS1_11target_archE4294967295ELNS1_3gpuE0ELNS1_3repE0EEENS1_47radix_sort_onesweep_sort_config_static_selectorELNS0_4arch9wavefront6targetE1EEEvSK_,comdat
.Lfunc_end1782:
	.size	_ZN7rocprim17ROCPRIM_400000_NS6detail17trampoline_kernelINS0_14default_configENS1_35radix_sort_onesweep_config_selectorIiNS0_10empty_typeEEEZZNS1_29radix_sort_onesweep_iterationIS3_Lb0EN6thrust23THRUST_200600_302600_NS6detail15normal_iteratorINS9_10device_ptrIiEEEESE_PS5_SF_jNS0_19identity_decomposerENS1_16block_id_wrapperIjLb0EEEEE10hipError_tT1_PNSt15iterator_traitsISK_E10value_typeET2_T3_PNSL_ISQ_E10value_typeET4_T5_PSV_SW_PNS1_23onesweep_lookback_stateEbbT6_jjT7_P12ihipStream_tbENKUlT_T0_SK_SP_E_clISE_PiSF_SF_EEDaS13_S14_SK_SP_EUlS13_E_NS1_11comp_targetILNS1_3genE0ELNS1_11target_archE4294967295ELNS1_3gpuE0ELNS1_3repE0EEENS1_47radix_sort_onesweep_sort_config_static_selectorELNS0_4arch9wavefront6targetE1EEEvSK_, .Lfunc_end1782-_ZN7rocprim17ROCPRIM_400000_NS6detail17trampoline_kernelINS0_14default_configENS1_35radix_sort_onesweep_config_selectorIiNS0_10empty_typeEEEZZNS1_29radix_sort_onesweep_iterationIS3_Lb0EN6thrust23THRUST_200600_302600_NS6detail15normal_iteratorINS9_10device_ptrIiEEEESE_PS5_SF_jNS0_19identity_decomposerENS1_16block_id_wrapperIjLb0EEEEE10hipError_tT1_PNSt15iterator_traitsISK_E10value_typeET2_T3_PNSL_ISQ_E10value_typeET4_T5_PSV_SW_PNS1_23onesweep_lookback_stateEbbT6_jjT7_P12ihipStream_tbENKUlT_T0_SK_SP_E_clISE_PiSF_SF_EEDaS13_S14_SK_SP_EUlS13_E_NS1_11comp_targetILNS1_3genE0ELNS1_11target_archE4294967295ELNS1_3gpuE0ELNS1_3repE0EEENS1_47radix_sort_onesweep_sort_config_static_selectorELNS0_4arch9wavefront6targetE1EEEvSK_
                                        ; -- End function
	.section	.AMDGPU.csdata,"",@progbits
; Kernel info:
; codeLenInByte = 0
; NumSgprs: 6
; NumVgprs: 0
; NumAgprs: 0
; TotalNumVgprs: 0
; ScratchSize: 0
; MemoryBound: 0
; FloatMode: 240
; IeeeMode: 1
; LDSByteSize: 0 bytes/workgroup (compile time only)
; SGPRBlocks: 0
; VGPRBlocks: 0
; NumSGPRsForWavesPerEU: 6
; NumVGPRsForWavesPerEU: 1
; AccumOffset: 4
; Occupancy: 8
; WaveLimiterHint : 0
; COMPUTE_PGM_RSRC2:SCRATCH_EN: 0
; COMPUTE_PGM_RSRC2:USER_SGPR: 2
; COMPUTE_PGM_RSRC2:TRAP_HANDLER: 0
; COMPUTE_PGM_RSRC2:TGID_X_EN: 1
; COMPUTE_PGM_RSRC2:TGID_Y_EN: 0
; COMPUTE_PGM_RSRC2:TGID_Z_EN: 0
; COMPUTE_PGM_RSRC2:TIDIG_COMP_CNT: 0
; COMPUTE_PGM_RSRC3_GFX90A:ACCUM_OFFSET: 0
; COMPUTE_PGM_RSRC3_GFX90A:TG_SPLIT: 0
	.section	.text._ZN7rocprim17ROCPRIM_400000_NS6detail17trampoline_kernelINS0_14default_configENS1_35radix_sort_onesweep_config_selectorIiNS0_10empty_typeEEEZZNS1_29radix_sort_onesweep_iterationIS3_Lb0EN6thrust23THRUST_200600_302600_NS6detail15normal_iteratorINS9_10device_ptrIiEEEESE_PS5_SF_jNS0_19identity_decomposerENS1_16block_id_wrapperIjLb0EEEEE10hipError_tT1_PNSt15iterator_traitsISK_E10value_typeET2_T3_PNSL_ISQ_E10value_typeET4_T5_PSV_SW_PNS1_23onesweep_lookback_stateEbbT6_jjT7_P12ihipStream_tbENKUlT_T0_SK_SP_E_clISE_PiSF_SF_EEDaS13_S14_SK_SP_EUlS13_E_NS1_11comp_targetILNS1_3genE6ELNS1_11target_archE950ELNS1_3gpuE13ELNS1_3repE0EEENS1_47radix_sort_onesweep_sort_config_static_selectorELNS0_4arch9wavefront6targetE1EEEvSK_,"axG",@progbits,_ZN7rocprim17ROCPRIM_400000_NS6detail17trampoline_kernelINS0_14default_configENS1_35radix_sort_onesweep_config_selectorIiNS0_10empty_typeEEEZZNS1_29radix_sort_onesweep_iterationIS3_Lb0EN6thrust23THRUST_200600_302600_NS6detail15normal_iteratorINS9_10device_ptrIiEEEESE_PS5_SF_jNS0_19identity_decomposerENS1_16block_id_wrapperIjLb0EEEEE10hipError_tT1_PNSt15iterator_traitsISK_E10value_typeET2_T3_PNSL_ISQ_E10value_typeET4_T5_PSV_SW_PNS1_23onesweep_lookback_stateEbbT6_jjT7_P12ihipStream_tbENKUlT_T0_SK_SP_E_clISE_PiSF_SF_EEDaS13_S14_SK_SP_EUlS13_E_NS1_11comp_targetILNS1_3genE6ELNS1_11target_archE950ELNS1_3gpuE13ELNS1_3repE0EEENS1_47radix_sort_onesweep_sort_config_static_selectorELNS0_4arch9wavefront6targetE1EEEvSK_,comdat
	.protected	_ZN7rocprim17ROCPRIM_400000_NS6detail17trampoline_kernelINS0_14default_configENS1_35radix_sort_onesweep_config_selectorIiNS0_10empty_typeEEEZZNS1_29radix_sort_onesweep_iterationIS3_Lb0EN6thrust23THRUST_200600_302600_NS6detail15normal_iteratorINS9_10device_ptrIiEEEESE_PS5_SF_jNS0_19identity_decomposerENS1_16block_id_wrapperIjLb0EEEEE10hipError_tT1_PNSt15iterator_traitsISK_E10value_typeET2_T3_PNSL_ISQ_E10value_typeET4_T5_PSV_SW_PNS1_23onesweep_lookback_stateEbbT6_jjT7_P12ihipStream_tbENKUlT_T0_SK_SP_E_clISE_PiSF_SF_EEDaS13_S14_SK_SP_EUlS13_E_NS1_11comp_targetILNS1_3genE6ELNS1_11target_archE950ELNS1_3gpuE13ELNS1_3repE0EEENS1_47radix_sort_onesweep_sort_config_static_selectorELNS0_4arch9wavefront6targetE1EEEvSK_ ; -- Begin function _ZN7rocprim17ROCPRIM_400000_NS6detail17trampoline_kernelINS0_14default_configENS1_35radix_sort_onesweep_config_selectorIiNS0_10empty_typeEEEZZNS1_29radix_sort_onesweep_iterationIS3_Lb0EN6thrust23THRUST_200600_302600_NS6detail15normal_iteratorINS9_10device_ptrIiEEEESE_PS5_SF_jNS0_19identity_decomposerENS1_16block_id_wrapperIjLb0EEEEE10hipError_tT1_PNSt15iterator_traitsISK_E10value_typeET2_T3_PNSL_ISQ_E10value_typeET4_T5_PSV_SW_PNS1_23onesweep_lookback_stateEbbT6_jjT7_P12ihipStream_tbENKUlT_T0_SK_SP_E_clISE_PiSF_SF_EEDaS13_S14_SK_SP_EUlS13_E_NS1_11comp_targetILNS1_3genE6ELNS1_11target_archE950ELNS1_3gpuE13ELNS1_3repE0EEENS1_47radix_sort_onesweep_sort_config_static_selectorELNS0_4arch9wavefront6targetE1EEEvSK_
	.globl	_ZN7rocprim17ROCPRIM_400000_NS6detail17trampoline_kernelINS0_14default_configENS1_35radix_sort_onesweep_config_selectorIiNS0_10empty_typeEEEZZNS1_29radix_sort_onesweep_iterationIS3_Lb0EN6thrust23THRUST_200600_302600_NS6detail15normal_iteratorINS9_10device_ptrIiEEEESE_PS5_SF_jNS0_19identity_decomposerENS1_16block_id_wrapperIjLb0EEEEE10hipError_tT1_PNSt15iterator_traitsISK_E10value_typeET2_T3_PNSL_ISQ_E10value_typeET4_T5_PSV_SW_PNS1_23onesweep_lookback_stateEbbT6_jjT7_P12ihipStream_tbENKUlT_T0_SK_SP_E_clISE_PiSF_SF_EEDaS13_S14_SK_SP_EUlS13_E_NS1_11comp_targetILNS1_3genE6ELNS1_11target_archE950ELNS1_3gpuE13ELNS1_3repE0EEENS1_47radix_sort_onesweep_sort_config_static_selectorELNS0_4arch9wavefront6targetE1EEEvSK_
	.p2align	8
	.type	_ZN7rocprim17ROCPRIM_400000_NS6detail17trampoline_kernelINS0_14default_configENS1_35radix_sort_onesweep_config_selectorIiNS0_10empty_typeEEEZZNS1_29radix_sort_onesweep_iterationIS3_Lb0EN6thrust23THRUST_200600_302600_NS6detail15normal_iteratorINS9_10device_ptrIiEEEESE_PS5_SF_jNS0_19identity_decomposerENS1_16block_id_wrapperIjLb0EEEEE10hipError_tT1_PNSt15iterator_traitsISK_E10value_typeET2_T3_PNSL_ISQ_E10value_typeET4_T5_PSV_SW_PNS1_23onesweep_lookback_stateEbbT6_jjT7_P12ihipStream_tbENKUlT_T0_SK_SP_E_clISE_PiSF_SF_EEDaS13_S14_SK_SP_EUlS13_E_NS1_11comp_targetILNS1_3genE6ELNS1_11target_archE950ELNS1_3gpuE13ELNS1_3repE0EEENS1_47radix_sort_onesweep_sort_config_static_selectorELNS0_4arch9wavefront6targetE1EEEvSK_,@function
_ZN7rocprim17ROCPRIM_400000_NS6detail17trampoline_kernelINS0_14default_configENS1_35radix_sort_onesweep_config_selectorIiNS0_10empty_typeEEEZZNS1_29radix_sort_onesweep_iterationIS3_Lb0EN6thrust23THRUST_200600_302600_NS6detail15normal_iteratorINS9_10device_ptrIiEEEESE_PS5_SF_jNS0_19identity_decomposerENS1_16block_id_wrapperIjLb0EEEEE10hipError_tT1_PNSt15iterator_traitsISK_E10value_typeET2_T3_PNSL_ISQ_E10value_typeET4_T5_PSV_SW_PNS1_23onesweep_lookback_stateEbbT6_jjT7_P12ihipStream_tbENKUlT_T0_SK_SP_E_clISE_PiSF_SF_EEDaS13_S14_SK_SP_EUlS13_E_NS1_11comp_targetILNS1_3genE6ELNS1_11target_archE950ELNS1_3gpuE13ELNS1_3repE0EEENS1_47radix_sort_onesweep_sort_config_static_selectorELNS0_4arch9wavefront6targetE1EEEvSK_: ; @_ZN7rocprim17ROCPRIM_400000_NS6detail17trampoline_kernelINS0_14default_configENS1_35radix_sort_onesweep_config_selectorIiNS0_10empty_typeEEEZZNS1_29radix_sort_onesweep_iterationIS3_Lb0EN6thrust23THRUST_200600_302600_NS6detail15normal_iteratorINS9_10device_ptrIiEEEESE_PS5_SF_jNS0_19identity_decomposerENS1_16block_id_wrapperIjLb0EEEEE10hipError_tT1_PNSt15iterator_traitsISK_E10value_typeET2_T3_PNSL_ISQ_E10value_typeET4_T5_PSV_SW_PNS1_23onesweep_lookback_stateEbbT6_jjT7_P12ihipStream_tbENKUlT_T0_SK_SP_E_clISE_PiSF_SF_EEDaS13_S14_SK_SP_EUlS13_E_NS1_11comp_targetILNS1_3genE6ELNS1_11target_archE950ELNS1_3gpuE13ELNS1_3repE0EEENS1_47radix_sort_onesweep_sort_config_static_selectorELNS0_4arch9wavefront6targetE1EEEvSK_
; %bb.0:
	.section	.rodata,"a",@progbits
	.p2align	6, 0x0
	.amdhsa_kernel _ZN7rocprim17ROCPRIM_400000_NS6detail17trampoline_kernelINS0_14default_configENS1_35radix_sort_onesweep_config_selectorIiNS0_10empty_typeEEEZZNS1_29radix_sort_onesweep_iterationIS3_Lb0EN6thrust23THRUST_200600_302600_NS6detail15normal_iteratorINS9_10device_ptrIiEEEESE_PS5_SF_jNS0_19identity_decomposerENS1_16block_id_wrapperIjLb0EEEEE10hipError_tT1_PNSt15iterator_traitsISK_E10value_typeET2_T3_PNSL_ISQ_E10value_typeET4_T5_PSV_SW_PNS1_23onesweep_lookback_stateEbbT6_jjT7_P12ihipStream_tbENKUlT_T0_SK_SP_E_clISE_PiSF_SF_EEDaS13_S14_SK_SP_EUlS13_E_NS1_11comp_targetILNS1_3genE6ELNS1_11target_archE950ELNS1_3gpuE13ELNS1_3repE0EEENS1_47radix_sort_onesweep_sort_config_static_selectorELNS0_4arch9wavefront6targetE1EEEvSK_
		.amdhsa_group_segment_fixed_size 0
		.amdhsa_private_segment_fixed_size 0
		.amdhsa_kernarg_size 88
		.amdhsa_user_sgpr_count 2
		.amdhsa_user_sgpr_dispatch_ptr 0
		.amdhsa_user_sgpr_queue_ptr 0
		.amdhsa_user_sgpr_kernarg_segment_ptr 1
		.amdhsa_user_sgpr_dispatch_id 0
		.amdhsa_user_sgpr_kernarg_preload_length 0
		.amdhsa_user_sgpr_kernarg_preload_offset 0
		.amdhsa_user_sgpr_private_segment_size 0
		.amdhsa_uses_dynamic_stack 0
		.amdhsa_enable_private_segment 0
		.amdhsa_system_sgpr_workgroup_id_x 1
		.amdhsa_system_sgpr_workgroup_id_y 0
		.amdhsa_system_sgpr_workgroup_id_z 0
		.amdhsa_system_sgpr_workgroup_info 0
		.amdhsa_system_vgpr_workitem_id 0
		.amdhsa_next_free_vgpr 1
		.amdhsa_next_free_sgpr 0
		.amdhsa_accum_offset 4
		.amdhsa_reserve_vcc 0
		.amdhsa_float_round_mode_32 0
		.amdhsa_float_round_mode_16_64 0
		.amdhsa_float_denorm_mode_32 3
		.amdhsa_float_denorm_mode_16_64 3
		.amdhsa_dx10_clamp 1
		.amdhsa_ieee_mode 1
		.amdhsa_fp16_overflow 0
		.amdhsa_tg_split 0
		.amdhsa_exception_fp_ieee_invalid_op 0
		.amdhsa_exception_fp_denorm_src 0
		.amdhsa_exception_fp_ieee_div_zero 0
		.amdhsa_exception_fp_ieee_overflow 0
		.amdhsa_exception_fp_ieee_underflow 0
		.amdhsa_exception_fp_ieee_inexact 0
		.amdhsa_exception_int_div_zero 0
	.end_amdhsa_kernel
	.section	.text._ZN7rocprim17ROCPRIM_400000_NS6detail17trampoline_kernelINS0_14default_configENS1_35radix_sort_onesweep_config_selectorIiNS0_10empty_typeEEEZZNS1_29radix_sort_onesweep_iterationIS3_Lb0EN6thrust23THRUST_200600_302600_NS6detail15normal_iteratorINS9_10device_ptrIiEEEESE_PS5_SF_jNS0_19identity_decomposerENS1_16block_id_wrapperIjLb0EEEEE10hipError_tT1_PNSt15iterator_traitsISK_E10value_typeET2_T3_PNSL_ISQ_E10value_typeET4_T5_PSV_SW_PNS1_23onesweep_lookback_stateEbbT6_jjT7_P12ihipStream_tbENKUlT_T0_SK_SP_E_clISE_PiSF_SF_EEDaS13_S14_SK_SP_EUlS13_E_NS1_11comp_targetILNS1_3genE6ELNS1_11target_archE950ELNS1_3gpuE13ELNS1_3repE0EEENS1_47radix_sort_onesweep_sort_config_static_selectorELNS0_4arch9wavefront6targetE1EEEvSK_,"axG",@progbits,_ZN7rocprim17ROCPRIM_400000_NS6detail17trampoline_kernelINS0_14default_configENS1_35radix_sort_onesweep_config_selectorIiNS0_10empty_typeEEEZZNS1_29radix_sort_onesweep_iterationIS3_Lb0EN6thrust23THRUST_200600_302600_NS6detail15normal_iteratorINS9_10device_ptrIiEEEESE_PS5_SF_jNS0_19identity_decomposerENS1_16block_id_wrapperIjLb0EEEEE10hipError_tT1_PNSt15iterator_traitsISK_E10value_typeET2_T3_PNSL_ISQ_E10value_typeET4_T5_PSV_SW_PNS1_23onesweep_lookback_stateEbbT6_jjT7_P12ihipStream_tbENKUlT_T0_SK_SP_E_clISE_PiSF_SF_EEDaS13_S14_SK_SP_EUlS13_E_NS1_11comp_targetILNS1_3genE6ELNS1_11target_archE950ELNS1_3gpuE13ELNS1_3repE0EEENS1_47radix_sort_onesweep_sort_config_static_selectorELNS0_4arch9wavefront6targetE1EEEvSK_,comdat
.Lfunc_end1783:
	.size	_ZN7rocprim17ROCPRIM_400000_NS6detail17trampoline_kernelINS0_14default_configENS1_35radix_sort_onesweep_config_selectorIiNS0_10empty_typeEEEZZNS1_29radix_sort_onesweep_iterationIS3_Lb0EN6thrust23THRUST_200600_302600_NS6detail15normal_iteratorINS9_10device_ptrIiEEEESE_PS5_SF_jNS0_19identity_decomposerENS1_16block_id_wrapperIjLb0EEEEE10hipError_tT1_PNSt15iterator_traitsISK_E10value_typeET2_T3_PNSL_ISQ_E10value_typeET4_T5_PSV_SW_PNS1_23onesweep_lookback_stateEbbT6_jjT7_P12ihipStream_tbENKUlT_T0_SK_SP_E_clISE_PiSF_SF_EEDaS13_S14_SK_SP_EUlS13_E_NS1_11comp_targetILNS1_3genE6ELNS1_11target_archE950ELNS1_3gpuE13ELNS1_3repE0EEENS1_47radix_sort_onesweep_sort_config_static_selectorELNS0_4arch9wavefront6targetE1EEEvSK_, .Lfunc_end1783-_ZN7rocprim17ROCPRIM_400000_NS6detail17trampoline_kernelINS0_14default_configENS1_35radix_sort_onesweep_config_selectorIiNS0_10empty_typeEEEZZNS1_29radix_sort_onesweep_iterationIS3_Lb0EN6thrust23THRUST_200600_302600_NS6detail15normal_iteratorINS9_10device_ptrIiEEEESE_PS5_SF_jNS0_19identity_decomposerENS1_16block_id_wrapperIjLb0EEEEE10hipError_tT1_PNSt15iterator_traitsISK_E10value_typeET2_T3_PNSL_ISQ_E10value_typeET4_T5_PSV_SW_PNS1_23onesweep_lookback_stateEbbT6_jjT7_P12ihipStream_tbENKUlT_T0_SK_SP_E_clISE_PiSF_SF_EEDaS13_S14_SK_SP_EUlS13_E_NS1_11comp_targetILNS1_3genE6ELNS1_11target_archE950ELNS1_3gpuE13ELNS1_3repE0EEENS1_47radix_sort_onesweep_sort_config_static_selectorELNS0_4arch9wavefront6targetE1EEEvSK_
                                        ; -- End function
	.section	.AMDGPU.csdata,"",@progbits
; Kernel info:
; codeLenInByte = 0
; NumSgprs: 6
; NumVgprs: 0
; NumAgprs: 0
; TotalNumVgprs: 0
; ScratchSize: 0
; MemoryBound: 0
; FloatMode: 240
; IeeeMode: 1
; LDSByteSize: 0 bytes/workgroup (compile time only)
; SGPRBlocks: 0
; VGPRBlocks: 0
; NumSGPRsForWavesPerEU: 6
; NumVGPRsForWavesPerEU: 1
; AccumOffset: 4
; Occupancy: 8
; WaveLimiterHint : 0
; COMPUTE_PGM_RSRC2:SCRATCH_EN: 0
; COMPUTE_PGM_RSRC2:USER_SGPR: 2
; COMPUTE_PGM_RSRC2:TRAP_HANDLER: 0
; COMPUTE_PGM_RSRC2:TGID_X_EN: 1
; COMPUTE_PGM_RSRC2:TGID_Y_EN: 0
; COMPUTE_PGM_RSRC2:TGID_Z_EN: 0
; COMPUTE_PGM_RSRC2:TIDIG_COMP_CNT: 0
; COMPUTE_PGM_RSRC3_GFX90A:ACCUM_OFFSET: 0
; COMPUTE_PGM_RSRC3_GFX90A:TG_SPLIT: 0
	.section	.text._ZN7rocprim17ROCPRIM_400000_NS6detail17trampoline_kernelINS0_14default_configENS1_35radix_sort_onesweep_config_selectorIiNS0_10empty_typeEEEZZNS1_29radix_sort_onesweep_iterationIS3_Lb0EN6thrust23THRUST_200600_302600_NS6detail15normal_iteratorINS9_10device_ptrIiEEEESE_PS5_SF_jNS0_19identity_decomposerENS1_16block_id_wrapperIjLb0EEEEE10hipError_tT1_PNSt15iterator_traitsISK_E10value_typeET2_T3_PNSL_ISQ_E10value_typeET4_T5_PSV_SW_PNS1_23onesweep_lookback_stateEbbT6_jjT7_P12ihipStream_tbENKUlT_T0_SK_SP_E_clISE_PiSF_SF_EEDaS13_S14_SK_SP_EUlS13_E_NS1_11comp_targetILNS1_3genE5ELNS1_11target_archE942ELNS1_3gpuE9ELNS1_3repE0EEENS1_47radix_sort_onesweep_sort_config_static_selectorELNS0_4arch9wavefront6targetE1EEEvSK_,"axG",@progbits,_ZN7rocprim17ROCPRIM_400000_NS6detail17trampoline_kernelINS0_14default_configENS1_35radix_sort_onesweep_config_selectorIiNS0_10empty_typeEEEZZNS1_29radix_sort_onesweep_iterationIS3_Lb0EN6thrust23THRUST_200600_302600_NS6detail15normal_iteratorINS9_10device_ptrIiEEEESE_PS5_SF_jNS0_19identity_decomposerENS1_16block_id_wrapperIjLb0EEEEE10hipError_tT1_PNSt15iterator_traitsISK_E10value_typeET2_T3_PNSL_ISQ_E10value_typeET4_T5_PSV_SW_PNS1_23onesweep_lookback_stateEbbT6_jjT7_P12ihipStream_tbENKUlT_T0_SK_SP_E_clISE_PiSF_SF_EEDaS13_S14_SK_SP_EUlS13_E_NS1_11comp_targetILNS1_3genE5ELNS1_11target_archE942ELNS1_3gpuE9ELNS1_3repE0EEENS1_47radix_sort_onesweep_sort_config_static_selectorELNS0_4arch9wavefront6targetE1EEEvSK_,comdat
	.protected	_ZN7rocprim17ROCPRIM_400000_NS6detail17trampoline_kernelINS0_14default_configENS1_35radix_sort_onesweep_config_selectorIiNS0_10empty_typeEEEZZNS1_29radix_sort_onesweep_iterationIS3_Lb0EN6thrust23THRUST_200600_302600_NS6detail15normal_iteratorINS9_10device_ptrIiEEEESE_PS5_SF_jNS0_19identity_decomposerENS1_16block_id_wrapperIjLb0EEEEE10hipError_tT1_PNSt15iterator_traitsISK_E10value_typeET2_T3_PNSL_ISQ_E10value_typeET4_T5_PSV_SW_PNS1_23onesweep_lookback_stateEbbT6_jjT7_P12ihipStream_tbENKUlT_T0_SK_SP_E_clISE_PiSF_SF_EEDaS13_S14_SK_SP_EUlS13_E_NS1_11comp_targetILNS1_3genE5ELNS1_11target_archE942ELNS1_3gpuE9ELNS1_3repE0EEENS1_47radix_sort_onesweep_sort_config_static_selectorELNS0_4arch9wavefront6targetE1EEEvSK_ ; -- Begin function _ZN7rocprim17ROCPRIM_400000_NS6detail17trampoline_kernelINS0_14default_configENS1_35radix_sort_onesweep_config_selectorIiNS0_10empty_typeEEEZZNS1_29radix_sort_onesweep_iterationIS3_Lb0EN6thrust23THRUST_200600_302600_NS6detail15normal_iteratorINS9_10device_ptrIiEEEESE_PS5_SF_jNS0_19identity_decomposerENS1_16block_id_wrapperIjLb0EEEEE10hipError_tT1_PNSt15iterator_traitsISK_E10value_typeET2_T3_PNSL_ISQ_E10value_typeET4_T5_PSV_SW_PNS1_23onesweep_lookback_stateEbbT6_jjT7_P12ihipStream_tbENKUlT_T0_SK_SP_E_clISE_PiSF_SF_EEDaS13_S14_SK_SP_EUlS13_E_NS1_11comp_targetILNS1_3genE5ELNS1_11target_archE942ELNS1_3gpuE9ELNS1_3repE0EEENS1_47radix_sort_onesweep_sort_config_static_selectorELNS0_4arch9wavefront6targetE1EEEvSK_
	.globl	_ZN7rocprim17ROCPRIM_400000_NS6detail17trampoline_kernelINS0_14default_configENS1_35radix_sort_onesweep_config_selectorIiNS0_10empty_typeEEEZZNS1_29radix_sort_onesweep_iterationIS3_Lb0EN6thrust23THRUST_200600_302600_NS6detail15normal_iteratorINS9_10device_ptrIiEEEESE_PS5_SF_jNS0_19identity_decomposerENS1_16block_id_wrapperIjLb0EEEEE10hipError_tT1_PNSt15iterator_traitsISK_E10value_typeET2_T3_PNSL_ISQ_E10value_typeET4_T5_PSV_SW_PNS1_23onesweep_lookback_stateEbbT6_jjT7_P12ihipStream_tbENKUlT_T0_SK_SP_E_clISE_PiSF_SF_EEDaS13_S14_SK_SP_EUlS13_E_NS1_11comp_targetILNS1_3genE5ELNS1_11target_archE942ELNS1_3gpuE9ELNS1_3repE0EEENS1_47radix_sort_onesweep_sort_config_static_selectorELNS0_4arch9wavefront6targetE1EEEvSK_
	.p2align	8
	.type	_ZN7rocprim17ROCPRIM_400000_NS6detail17trampoline_kernelINS0_14default_configENS1_35radix_sort_onesweep_config_selectorIiNS0_10empty_typeEEEZZNS1_29radix_sort_onesweep_iterationIS3_Lb0EN6thrust23THRUST_200600_302600_NS6detail15normal_iteratorINS9_10device_ptrIiEEEESE_PS5_SF_jNS0_19identity_decomposerENS1_16block_id_wrapperIjLb0EEEEE10hipError_tT1_PNSt15iterator_traitsISK_E10value_typeET2_T3_PNSL_ISQ_E10value_typeET4_T5_PSV_SW_PNS1_23onesweep_lookback_stateEbbT6_jjT7_P12ihipStream_tbENKUlT_T0_SK_SP_E_clISE_PiSF_SF_EEDaS13_S14_SK_SP_EUlS13_E_NS1_11comp_targetILNS1_3genE5ELNS1_11target_archE942ELNS1_3gpuE9ELNS1_3repE0EEENS1_47radix_sort_onesweep_sort_config_static_selectorELNS0_4arch9wavefront6targetE1EEEvSK_,@function
_ZN7rocprim17ROCPRIM_400000_NS6detail17trampoline_kernelINS0_14default_configENS1_35radix_sort_onesweep_config_selectorIiNS0_10empty_typeEEEZZNS1_29radix_sort_onesweep_iterationIS3_Lb0EN6thrust23THRUST_200600_302600_NS6detail15normal_iteratorINS9_10device_ptrIiEEEESE_PS5_SF_jNS0_19identity_decomposerENS1_16block_id_wrapperIjLb0EEEEE10hipError_tT1_PNSt15iterator_traitsISK_E10value_typeET2_T3_PNSL_ISQ_E10value_typeET4_T5_PSV_SW_PNS1_23onesweep_lookback_stateEbbT6_jjT7_P12ihipStream_tbENKUlT_T0_SK_SP_E_clISE_PiSF_SF_EEDaS13_S14_SK_SP_EUlS13_E_NS1_11comp_targetILNS1_3genE5ELNS1_11target_archE942ELNS1_3gpuE9ELNS1_3repE0EEENS1_47radix_sort_onesweep_sort_config_static_selectorELNS0_4arch9wavefront6targetE1EEEvSK_: ; @_ZN7rocprim17ROCPRIM_400000_NS6detail17trampoline_kernelINS0_14default_configENS1_35radix_sort_onesweep_config_selectorIiNS0_10empty_typeEEEZZNS1_29radix_sort_onesweep_iterationIS3_Lb0EN6thrust23THRUST_200600_302600_NS6detail15normal_iteratorINS9_10device_ptrIiEEEESE_PS5_SF_jNS0_19identity_decomposerENS1_16block_id_wrapperIjLb0EEEEE10hipError_tT1_PNSt15iterator_traitsISK_E10value_typeET2_T3_PNSL_ISQ_E10value_typeET4_T5_PSV_SW_PNS1_23onesweep_lookback_stateEbbT6_jjT7_P12ihipStream_tbENKUlT_T0_SK_SP_E_clISE_PiSF_SF_EEDaS13_S14_SK_SP_EUlS13_E_NS1_11comp_targetILNS1_3genE5ELNS1_11target_archE942ELNS1_3gpuE9ELNS1_3repE0EEENS1_47radix_sort_onesweep_sort_config_static_selectorELNS0_4arch9wavefront6targetE1EEEvSK_
; %bb.0:
	s_load_dwordx2 s[28:29], s[0:1], 0x38
	s_load_dwordx4 s[20:23], s[0:1], 0x44
	s_load_dwordx4 s[24:27], s[0:1], 0x0
	s_load_dwordx4 s[16:19], s[0:1], 0x28
	v_mbcnt_lo_u32_b32 v1, -1, 0
	s_waitcnt lgkmcnt(0)
	s_cmp_ge_u32 s2, s22
	s_cbranch_scc0 .LBB1784_79
; %bb.1:
	s_load_dword s3, s[0:1], 0x20
	s_lshl_b32 s6, s22, 13
	s_lshl_b32 s4, s2, 13
	s_mov_b32 s5, 0
	v_and_b32_e32 v10, 0x3ff, v0
	s_waitcnt lgkmcnt(0)
	s_sub_i32 s3, s3, s6
	s_lshl_b64 s[4:5], s[4:5], 2
	v_mbcnt_hi_u32_b32 v16, -1, v1
	s_add_u32 s4, s24, s4
	v_and_b32_e32 v6, 63, v16
	v_lshlrev_b32_e32 v2, 3, v10
	s_addc_u32 s5, s25, s5
	v_and_b32_e32 v7, 0x1e00, v2
	v_lshlrev_b32_e32 v2, 2, v6
	v_mov_b32_e32 v3, 0
	v_lshl_add_u64 v[4:5], s[4:5], 0, v[2:3]
	s_brev_b32 s4, -2
	v_lshlrev_b32_e32 v2, 2, v7
	s_mov_b32 s5, s4
	v_lshl_add_u64 v[12:13], v[4:5], 0, v[2:3]
	v_or_b32_e32 v11, v6, v7
	s_mov_b32 s6, s4
	s_mov_b32 s7, s4
	;; [unrolled: 1-line block ×6, first 2 shown]
	v_mov_b64_e32 v[2:3], s[4:5]
	v_cmp_gt_u32_e32 vcc, s3, v11
	v_mov_b64_e32 v[4:5], s[6:7]
	v_mov_b64_e32 v[6:7], s[8:9]
	;; [unrolled: 1-line block ×3, first 2 shown]
	s_and_saveexec_b64 s[4:5], vcc
	s_cbranch_execz .LBB1784_3
; %bb.2:
	global_load_dword v2, v[12:13], off
	v_bfrev_b32_e32 v3, -2
	v_mov_b32_e32 v4, v3
	v_mov_b32_e32 v5, v3
	;; [unrolled: 1-line block ×6, first 2 shown]
.LBB1784_3:
	s_or_b64 exec, exec, s[4:5]
	v_or_b32_e32 v14, 64, v11
	v_cmp_gt_u32_e32 vcc, s3, v14
	s_and_saveexec_b64 s[4:5], vcc
	s_cbranch_execz .LBB1784_5
; %bb.4:
	global_load_dword v3, v[12:13], off offset:256
.LBB1784_5:
	s_or_b64 exec, exec, s[4:5]
	v_or_b32_e32 v14, 0x80, v11
	v_cmp_gt_u32_e32 vcc, s3, v14
	s_and_saveexec_b64 s[4:5], vcc
	s_cbranch_execz .LBB1784_7
; %bb.6:
	global_load_dword v4, v[12:13], off offset:512
.LBB1784_7:
	;; [unrolled: 8-line block ×7, first 2 shown]
	s_or_b64 exec, exec, s[4:5]
	s_load_dword s4, s[0:1], 0x64
	s_load_dword s22, s[0:1], 0x58
	s_add_u32 s5, s0, 0x58
	s_addc_u32 s6, s1, 0
	v_mov_b32_e32 v13, 0
	s_waitcnt lgkmcnt(0)
	s_lshr_b32 s7, s4, 16
	s_cmp_lt_u32 s2, s22
	s_cselect_b32 s4, 12, 18
	s_add_u32 s4, s5, s4
	s_addc_u32 s5, s6, 0
	global_load_ushort v17, v13, s[4:5]
	s_waitcnt vmcnt(1)
	v_xor_b32_e32 v11, 0x80000000, v2
	s_lshl_b32 s4, -1, s21
	v_lshrrev_b32_e32 v15, s20, v11
	s_not_b32 s23, s4
	v_bfe_u32 v2, v0, 10, 10
	v_bfe_u32 v12, v0, 20, 10
	v_and_b32_e32 v19, s23, v15
	v_mul_u32_u24_e32 v14, 5, v10
	v_mad_u32_u24 v2, v12, s7, v2
	v_and_b32_e32 v12, 1, v19
	v_lshlrev_b32_e32 v15, 30, v19
	v_lshlrev_b32_e32 v18, 2, v14
	v_mov_b32_e32 v14, v13
	v_mov_b32_e32 v22, v13
	v_lshlrev_b32_e32 v21, 29, v19
	v_lshlrev_b32_e32 v23, 28, v19
	v_lshl_add_u64 v[30:31], v[12:13], 0, -1
	v_cmp_ne_u32_e32 vcc, 0, v12
	v_not_b32_e32 v12, v15
	v_mov_b32_e32 v20, v13
	v_mov_b32_e32 v24, v13
	v_lshlrev_b32_e32 v25, 27, v19
	v_cmp_gt_i64_e64 s[4:5], 0, v[14:15]
	v_not_b32_e32 v14, v21
	v_cmp_gt_i64_e64 s[8:9], 0, v[22:23]
	v_not_b32_e32 v15, v23
	v_xor_b32_e32 v23, vcc_hi, v31
	v_ashrrev_i32_e32 v12, 31, v12
	v_mov_b32_e32 v26, v13
	v_lshlrev_b32_e32 v27, 26, v19
	v_cmp_gt_i64_e64 s[6:7], 0, v[20:21]
	v_cmp_gt_i64_e64 s[10:11], 0, v[24:25]
	v_not_b32_e32 v20, v25
	v_xor_b32_e32 v24, vcc_lo, v30
	v_ashrrev_i32_e32 v14, 31, v14
	v_and_b32_e32 v23, exec_hi, v23
	v_xor_b32_e32 v25, s5, v12
	v_cmp_gt_i64_e64 s[12:13], 0, v[26:27]
	v_ashrrev_i32_e32 v15, 31, v15
	v_and_b32_e32 v24, exec_lo, v24
	v_xor_b32_e32 v12, s4, v12
	v_xor_b32_e32 v26, s7, v14
	v_and_b32_e32 v23, v23, v25
	v_mov_b32_e32 v28, v13
	v_lshlrev_b32_e32 v29, 25, v19
	v_not_b32_e32 v21, v27
	v_ashrrev_i32_e32 v20, 31, v20
	v_xor_b32_e32 v14, s6, v14
	v_xor_b32_e32 v27, s9, v15
	v_and_b32_e32 v12, v24, v12
	v_and_b32_e32 v23, v23, v26
	v_cmp_gt_i64_e64 s[14:15], 0, v[28:29]
	v_not_b32_e32 v22, v29
	v_ashrrev_i32_e32 v21, 31, v21
	v_xor_b32_e32 v28, s11, v20
	v_and_b32_e32 v12, v12, v14
	v_and_b32_e32 v14, v23, v27
	v_ashrrev_i32_e32 v22, 31, v22
	v_xor_b32_e32 v15, s8, v15
	v_xor_b32_e32 v29, s13, v21
	v_and_b32_e32 v14, v14, v28
	v_xor_b32_e32 v20, s10, v20
	v_xor_b32_e32 v30, s15, v22
	v_and_b32_e32 v12, v12, v15
	v_and_b32_e32 v14, v14, v29
	;; [unrolled: 1-line block ×4, first 2 shown]
	v_xor_b32_e32 v21, s12, v21
	v_xor_b32_e32 v22, s14, v22
	v_and_b32_e32 v12, v12, v21
	v_and_b32_e32 v12, v12, v22
	v_lshl_add_u32 v32, v19, 4, v19
	ds_write2_b32 v18, v13, v13 offset0:16 offset1:17
	ds_write2_b32 v18, v13, v13 offset0:18 offset1:19
	ds_write_b32 v18, v13 offset:80
	s_waitcnt lgkmcnt(0)
	s_barrier
	s_waitcnt lgkmcnt(0)
	; wave barrier
	s_waitcnt vmcnt(0)
	v_mad_u64_u32 v[14:15], s[4:5], v2, v17, v[10:11]
	v_lshlrev_b32_e32 v15, 24, v19
	v_lshrrev_b32_e32 v30, 6, v14
	v_mov_b32_e32 v14, v13
	v_not_b32_e32 v2, v15
	v_cmp_gt_i64_e32 vcc, 0, v[14:15]
	v_ashrrev_i32_e32 v2, 31, v2
	v_add_lshl_u32 v22, v30, v32, 2
	v_xor_b32_e32 v14, vcc_hi, v2
	v_xor_b32_e32 v2, vcc_lo, v2
	v_and_b32_e32 v15, v20, v14
	v_and_b32_e32 v14, v12, v2
	v_mbcnt_lo_u32_b32 v2, v14, 0
	v_mbcnt_hi_u32_b32 v17, v15, v2
	v_cmp_eq_u32_e32 vcc, 0, v17
	v_cmp_ne_u64_e64 s[4:5], 0, v[14:15]
	s_and_b64 s[6:7], s[4:5], vcc
	s_and_saveexec_b64 s[4:5], s[6:7]
	s_cbranch_execz .LBB1784_19
; %bb.18:
	v_bcnt_u32_b32 v2, v14, 0
	v_bcnt_u32_b32 v2, v15, v2
	ds_write_b32 v22, v2 offset:64
.LBB1784_19:
	s_or_b64 exec, exec, s[4:5]
	v_xor_b32_e32 v14, 0x80000000, v3
	v_lshrrev_b32_e32 v2, s20, v14
	v_and_b32_e32 v15, s23, v2
	v_lshl_add_u32 v2, v15, 4, v15
	v_and_b32_e32 v12, 1, v15
	v_add_lshl_u32 v23, v30, v2, 2
	v_lshl_add_u64 v[2:3], v[12:13], 0, -1
	v_cmp_ne_u32_e32 vcc, 0, v12
	; wave barrier
	s_nop 1
	v_xor_b32_e32 v3, vcc_hi, v3
	v_xor_b32_e32 v2, vcc_lo, v2
	v_and_b32_e32 v12, exec_hi, v3
	v_and_b32_e32 v20, exec_lo, v2
	v_lshlrev_b32_e32 v3, 30, v15
	v_mov_b32_e32 v2, v13
	v_cmp_gt_i64_e32 vcc, 0, v[2:3]
	v_not_b32_e32 v2, v3
	v_ashrrev_i32_e32 v2, 31, v2
	v_xor_b32_e32 v3, vcc_hi, v2
	v_xor_b32_e32 v2, vcc_lo, v2
	v_and_b32_e32 v12, v12, v3
	v_and_b32_e32 v20, v20, v2
	v_lshlrev_b32_e32 v3, 29, v15
	v_mov_b32_e32 v2, v13
	v_cmp_gt_i64_e32 vcc, 0, v[2:3]
	v_not_b32_e32 v2, v3
	v_ashrrev_i32_e32 v2, 31, v2
	v_xor_b32_e32 v3, vcc_hi, v2
	v_xor_b32_e32 v2, vcc_lo, v2
	v_and_b32_e32 v12, v12, v3
	v_and_b32_e32 v20, v20, v2
	;; [unrolled: 9-line block ×6, first 2 shown]
	v_lshlrev_b32_e32 v3, 24, v15
	v_mov_b32_e32 v2, v13
	v_cmp_gt_i64_e32 vcc, 0, v[2:3]
	v_not_b32_e32 v2, v3
	v_ashrrev_i32_e32 v2, 31, v2
	v_xor_b32_e32 v3, vcc_hi, v2
	v_xor_b32_e32 v2, vcc_lo, v2
	ds_read_b32 v19, v23 offset:64
	v_and_b32_e32 v2, v20, v2
	v_and_b32_e32 v3, v12, v3
	v_mbcnt_lo_u32_b32 v12, v2, 0
	v_mbcnt_hi_u32_b32 v20, v3, v12
	v_cmp_eq_u32_e32 vcc, 0, v20
	v_cmp_ne_u64_e64 s[4:5], 0, v[2:3]
	s_and_b64 s[6:7], s[4:5], vcc
	; wave barrier
	s_and_saveexec_b64 s[4:5], s[6:7]
	s_cbranch_execz .LBB1784_21
; %bb.20:
	v_bcnt_u32_b32 v2, v2, 0
	v_bcnt_u32_b32 v2, v3, v2
	s_waitcnt lgkmcnt(0)
	v_add_u32_e32 v2, v19, v2
	ds_write_b32 v23, v2 offset:64
.LBB1784_21:
	s_or_b64 exec, exec, s[4:5]
	v_xor_b32_e32 v15, 0x80000000, v4
	v_lshrrev_b32_e32 v2, s20, v15
	v_and_b32_e32 v4, s23, v2
	v_lshl_add_u32 v2, v4, 4, v4
	v_add_lshl_u32 v27, v30, v2, 2
	v_and_b32_e32 v2, 1, v4
	v_mov_b32_e32 v3, 0
	v_lshl_add_u64 v[12:13], v[2:3], 0, -1
	v_cmp_ne_u32_e32 vcc, 0, v2
	; wave barrier
	s_nop 1
	v_xor_b32_e32 v12, vcc_lo, v12
	v_xor_b32_e32 v2, vcc_hi, v13
	v_and_b32_e32 v24, exec_lo, v12
	v_lshlrev_b32_e32 v13, 30, v4
	v_mov_b32_e32 v12, v3
	v_cmp_gt_i64_e32 vcc, 0, v[12:13]
	v_not_b32_e32 v12, v13
	v_ashrrev_i32_e32 v12, 31, v12
	v_and_b32_e32 v2, exec_hi, v2
	v_xor_b32_e32 v13, vcc_hi, v12
	v_xor_b32_e32 v12, vcc_lo, v12
	v_and_b32_e32 v2, v2, v13
	v_and_b32_e32 v24, v24, v12
	v_lshlrev_b32_e32 v13, 29, v4
	v_mov_b32_e32 v12, v3
	v_cmp_gt_i64_e32 vcc, 0, v[12:13]
	v_not_b32_e32 v12, v13
	v_ashrrev_i32_e32 v12, 31, v12
	v_xor_b32_e32 v13, vcc_hi, v12
	v_xor_b32_e32 v12, vcc_lo, v12
	v_and_b32_e32 v2, v2, v13
	v_and_b32_e32 v24, v24, v12
	v_lshlrev_b32_e32 v13, 28, v4
	v_mov_b32_e32 v12, v3
	v_cmp_gt_i64_e32 vcc, 0, v[12:13]
	v_not_b32_e32 v12, v13
	v_ashrrev_i32_e32 v12, 31, v12
	;; [unrolled: 9-line block ×5, first 2 shown]
	v_xor_b32_e32 v13, vcc_hi, v12
	v_xor_b32_e32 v12, vcc_lo, v12
	v_and_b32_e32 v2, v2, v13
	v_lshlrev_b32_e32 v13, 24, v4
	v_and_b32_e32 v24, v24, v12
	v_mov_b32_e32 v12, v3
	v_not_b32_e32 v4, v13
	v_cmp_gt_i64_e32 vcc, 0, v[12:13]
	v_ashrrev_i32_e32 v4, 31, v4
	ds_read_b32 v21, v27 offset:64
	v_xor_b32_e32 v12, vcc_hi, v4
	v_xor_b32_e32 v4, vcc_lo, v4
	v_and_b32_e32 v13, v2, v12
	v_and_b32_e32 v12, v24, v4
	v_mbcnt_lo_u32_b32 v2, v12, 0
	v_mbcnt_hi_u32_b32 v25, v13, v2
	v_cmp_eq_u32_e32 vcc, 0, v25
	v_cmp_ne_u64_e64 s[4:5], 0, v[12:13]
	s_and_b64 s[6:7], s[4:5], vcc
	; wave barrier
	s_and_saveexec_b64 s[4:5], s[6:7]
	s_cbranch_execz .LBB1784_23
; %bb.22:
	v_bcnt_u32_b32 v2, v12, 0
	v_bcnt_u32_b32 v2, v13, v2
	s_waitcnt lgkmcnt(0)
	v_add_u32_e32 v2, v21, v2
	ds_write_b32 v27, v2 offset:64
.LBB1784_23:
	s_or_b64 exec, exec, s[4:5]
	v_xor_b32_e32 v12, 0x80000000, v5
	v_lshrrev_b32_e32 v2, s20, v12
	v_and_b32_e32 v13, s23, v2
	v_lshl_add_u32 v2, v13, 4, v13
	v_add_lshl_u32 v31, v30, v2, 2
	v_and_b32_e32 v2, 1, v13
	v_lshl_add_u64 v[4:5], v[2:3], 0, -1
	v_cmp_ne_u32_e32 vcc, 0, v2
	; wave barrier
	s_nop 1
	v_xor_b32_e32 v4, vcc_lo, v4
	v_xor_b32_e32 v2, vcc_hi, v5
	v_and_b32_e32 v24, exec_lo, v4
	v_lshlrev_b32_e32 v5, 30, v13
	v_mov_b32_e32 v4, v3
	v_cmp_gt_i64_e32 vcc, 0, v[4:5]
	v_not_b32_e32 v4, v5
	v_ashrrev_i32_e32 v4, 31, v4
	v_and_b32_e32 v2, exec_hi, v2
	v_xor_b32_e32 v5, vcc_hi, v4
	v_xor_b32_e32 v4, vcc_lo, v4
	v_and_b32_e32 v2, v2, v5
	v_and_b32_e32 v24, v24, v4
	v_lshlrev_b32_e32 v5, 29, v13
	v_mov_b32_e32 v4, v3
	v_cmp_gt_i64_e32 vcc, 0, v[4:5]
	v_not_b32_e32 v4, v5
	v_ashrrev_i32_e32 v4, 31, v4
	v_xor_b32_e32 v5, vcc_hi, v4
	v_xor_b32_e32 v4, vcc_lo, v4
	v_and_b32_e32 v2, v2, v5
	v_and_b32_e32 v24, v24, v4
	v_lshlrev_b32_e32 v5, 28, v13
	v_mov_b32_e32 v4, v3
	v_cmp_gt_i64_e32 vcc, 0, v[4:5]
	v_not_b32_e32 v4, v5
	v_ashrrev_i32_e32 v4, 31, v4
	;; [unrolled: 9-line block ×5, first 2 shown]
	v_xor_b32_e32 v5, vcc_hi, v4
	v_xor_b32_e32 v4, vcc_lo, v4
	v_and_b32_e32 v2, v2, v5
	v_lshlrev_b32_e32 v5, 24, v13
	v_and_b32_e32 v24, v24, v4
	v_mov_b32_e32 v4, v3
	v_not_b32_e32 v3, v5
	v_cmp_gt_i64_e32 vcc, 0, v[4:5]
	v_ashrrev_i32_e32 v3, 31, v3
	ds_read_b32 v26, v31 offset:64
	v_xor_b32_e32 v4, vcc_hi, v3
	v_xor_b32_e32 v5, vcc_lo, v3
	v_and_b32_e32 v3, v2, v4
	v_and_b32_e32 v2, v24, v5
	v_mbcnt_lo_u32_b32 v4, v2, 0
	v_mbcnt_hi_u32_b32 v28, v3, v4
	v_cmp_eq_u32_e32 vcc, 0, v28
	v_cmp_ne_u64_e64 s[4:5], 0, v[2:3]
	s_and_b64 s[6:7], s[4:5], vcc
	; wave barrier
	s_and_saveexec_b64 s[4:5], s[6:7]
	s_cbranch_execz .LBB1784_25
; %bb.24:
	v_bcnt_u32_b32 v2, v2, 0
	v_bcnt_u32_b32 v2, v3, v2
	s_waitcnt lgkmcnt(0)
	v_add_u32_e32 v2, v26, v2
	ds_write_b32 v31, v2 offset:64
.LBB1784_25:
	s_or_b64 exec, exec, s[4:5]
	v_xor_b32_e32 v13, 0x80000000, v6
	v_lshrrev_b32_e32 v2, s20, v13
	v_and_b32_e32 v24, s23, v2
	v_lshl_add_u32 v2, v24, 4, v24
	v_add_lshl_u32 v6, v30, v2, 2
	v_and_b32_e32 v2, 1, v24
	v_mov_b32_e32 v3, 0
	v_lshl_add_u64 v[4:5], v[2:3], 0, -1
	v_cmp_ne_u32_e32 vcc, 0, v2
	; wave barrier
	s_nop 1
	v_xor_b32_e32 v4, vcc_lo, v4
	v_xor_b32_e32 v2, vcc_hi, v5
	v_and_b32_e32 v32, exec_lo, v4
	v_lshlrev_b32_e32 v5, 30, v24
	v_mov_b32_e32 v4, v3
	v_cmp_gt_i64_e32 vcc, 0, v[4:5]
	v_not_b32_e32 v4, v5
	v_ashrrev_i32_e32 v4, 31, v4
	v_and_b32_e32 v2, exec_hi, v2
	v_xor_b32_e32 v5, vcc_hi, v4
	v_xor_b32_e32 v4, vcc_lo, v4
	v_and_b32_e32 v2, v2, v5
	v_and_b32_e32 v32, v32, v4
	v_lshlrev_b32_e32 v5, 29, v24
	v_mov_b32_e32 v4, v3
	v_cmp_gt_i64_e32 vcc, 0, v[4:5]
	v_not_b32_e32 v4, v5
	v_ashrrev_i32_e32 v4, 31, v4
	v_xor_b32_e32 v5, vcc_hi, v4
	v_xor_b32_e32 v4, vcc_lo, v4
	v_and_b32_e32 v2, v2, v5
	v_and_b32_e32 v32, v32, v4
	v_lshlrev_b32_e32 v5, 28, v24
	v_mov_b32_e32 v4, v3
	v_cmp_gt_i64_e32 vcc, 0, v[4:5]
	v_not_b32_e32 v4, v5
	v_ashrrev_i32_e32 v4, 31, v4
	;; [unrolled: 9-line block ×6, first 2 shown]
	v_xor_b32_e32 v5, vcc_hi, v4
	v_xor_b32_e32 v4, vcc_lo, v4
	ds_read_b32 v29, v6 offset:64
	v_and_b32_e32 v4, v32, v4
	v_and_b32_e32 v5, v2, v5
	v_mbcnt_lo_u32_b32 v2, v4, 0
	v_mbcnt_hi_u32_b32 v32, v5, v2
	v_cmp_eq_u32_e32 vcc, 0, v32
	v_cmp_ne_u64_e64 s[4:5], 0, v[4:5]
	s_and_b64 s[6:7], s[4:5], vcc
	; wave barrier
	s_and_saveexec_b64 s[4:5], s[6:7]
	s_cbranch_execz .LBB1784_27
; %bb.26:
	v_bcnt_u32_b32 v2, v4, 0
	v_bcnt_u32_b32 v2, v5, v2
	s_waitcnt lgkmcnt(0)
	v_add_u32_e32 v2, v29, v2
	ds_write_b32 v6, v2 offset:64
.LBB1784_27:
	s_or_b64 exec, exec, s[4:5]
	v_xor_b32_e32 v24, 0x80000000, v7
	v_lshrrev_b32_e32 v2, s20, v24
	v_and_b32_e32 v34, s23, v2
	v_lshl_add_u32 v2, v34, 4, v34
	v_add_lshl_u32 v7, v30, v2, 2
	v_and_b32_e32 v2, 1, v34
	v_lshl_add_u64 v[4:5], v[2:3], 0, -1
	v_cmp_ne_u32_e32 vcc, 0, v2
	; wave barrier
	s_nop 1
	v_xor_b32_e32 v4, vcc_lo, v4
	v_xor_b32_e32 v2, vcc_hi, v5
	v_and_b32_e32 v35, exec_lo, v4
	v_lshlrev_b32_e32 v5, 30, v34
	v_mov_b32_e32 v4, v3
	v_cmp_gt_i64_e32 vcc, 0, v[4:5]
	v_not_b32_e32 v4, v5
	v_ashrrev_i32_e32 v4, 31, v4
	v_and_b32_e32 v2, exec_hi, v2
	v_xor_b32_e32 v5, vcc_hi, v4
	v_xor_b32_e32 v4, vcc_lo, v4
	v_and_b32_e32 v2, v2, v5
	v_and_b32_e32 v35, v35, v4
	v_lshlrev_b32_e32 v5, 29, v34
	v_mov_b32_e32 v4, v3
	v_cmp_gt_i64_e32 vcc, 0, v[4:5]
	v_not_b32_e32 v4, v5
	v_ashrrev_i32_e32 v4, 31, v4
	v_xor_b32_e32 v5, vcc_hi, v4
	v_xor_b32_e32 v4, vcc_lo, v4
	v_and_b32_e32 v2, v2, v5
	v_and_b32_e32 v35, v35, v4
	v_lshlrev_b32_e32 v5, 28, v34
	v_mov_b32_e32 v4, v3
	v_cmp_gt_i64_e32 vcc, 0, v[4:5]
	v_not_b32_e32 v4, v5
	v_ashrrev_i32_e32 v4, 31, v4
	;; [unrolled: 9-line block ×5, first 2 shown]
	v_xor_b32_e32 v5, vcc_hi, v4
	v_xor_b32_e32 v4, vcc_lo, v4
	v_and_b32_e32 v2, v2, v5
	v_lshlrev_b32_e32 v5, 24, v34
	v_and_b32_e32 v35, v35, v4
	v_mov_b32_e32 v4, v3
	v_not_b32_e32 v3, v5
	v_cmp_gt_i64_e32 vcc, 0, v[4:5]
	v_ashrrev_i32_e32 v3, 31, v3
	ds_read_b32 v33, v7 offset:64
	v_xor_b32_e32 v4, vcc_hi, v3
	v_xor_b32_e32 v5, vcc_lo, v3
	v_and_b32_e32 v3, v2, v4
	v_and_b32_e32 v2, v35, v5
	v_mbcnt_lo_u32_b32 v4, v2, 0
	v_mbcnt_hi_u32_b32 v34, v3, v4
	v_cmp_eq_u32_e32 vcc, 0, v34
	v_cmp_ne_u64_e64 s[4:5], 0, v[2:3]
	s_and_b64 s[6:7], s[4:5], vcc
	; wave barrier
	s_and_saveexec_b64 s[4:5], s[6:7]
	s_cbranch_execz .LBB1784_29
; %bb.28:
	v_bcnt_u32_b32 v2, v2, 0
	v_bcnt_u32_b32 v2, v3, v2
	s_waitcnt lgkmcnt(0)
	v_add_u32_e32 v2, v33, v2
	ds_write_b32 v7, v2 offset:64
.LBB1784_29:
	s_or_b64 exec, exec, s[4:5]
	v_xor_b32_e32 v8, 0x80000000, v8
	v_lshrrev_b32_e32 v2, s20, v8
	v_and_b32_e32 v36, s23, v2
	v_lshl_add_u32 v2, v36, 4, v36
	v_add_lshl_u32 v38, v30, v2, 2
	v_and_b32_e32 v2, 1, v36
	v_mov_b32_e32 v3, 0
	v_lshl_add_u64 v[4:5], v[2:3], 0, -1
	v_cmp_ne_u32_e32 vcc, 0, v2
	; wave barrier
	s_nop 1
	v_xor_b32_e32 v4, vcc_lo, v4
	v_xor_b32_e32 v2, vcc_hi, v5
	v_and_b32_e32 v37, exec_lo, v4
	v_lshlrev_b32_e32 v5, 30, v36
	v_mov_b32_e32 v4, v3
	v_cmp_gt_i64_e32 vcc, 0, v[4:5]
	v_not_b32_e32 v4, v5
	v_ashrrev_i32_e32 v4, 31, v4
	v_and_b32_e32 v2, exec_hi, v2
	v_xor_b32_e32 v5, vcc_hi, v4
	v_xor_b32_e32 v4, vcc_lo, v4
	v_and_b32_e32 v2, v2, v5
	v_and_b32_e32 v37, v37, v4
	v_lshlrev_b32_e32 v5, 29, v36
	v_mov_b32_e32 v4, v3
	v_cmp_gt_i64_e32 vcc, 0, v[4:5]
	v_not_b32_e32 v4, v5
	v_ashrrev_i32_e32 v4, 31, v4
	v_xor_b32_e32 v5, vcc_hi, v4
	v_xor_b32_e32 v4, vcc_lo, v4
	v_and_b32_e32 v2, v2, v5
	v_and_b32_e32 v37, v37, v4
	v_lshlrev_b32_e32 v5, 28, v36
	v_mov_b32_e32 v4, v3
	v_cmp_gt_i64_e32 vcc, 0, v[4:5]
	v_not_b32_e32 v4, v5
	v_ashrrev_i32_e32 v4, 31, v4
	v_xor_b32_e32 v5, vcc_hi, v4
	v_xor_b32_e32 v4, vcc_lo, v4
	v_and_b32_e32 v2, v2, v5
	v_and_b32_e32 v37, v37, v4
	v_lshlrev_b32_e32 v5, 27, v36
	v_mov_b32_e32 v4, v3
	v_cmp_gt_i64_e32 vcc, 0, v[4:5]
	v_not_b32_e32 v4, v5
	v_ashrrev_i32_e32 v4, 31, v4
	v_xor_b32_e32 v5, vcc_hi, v4
	v_xor_b32_e32 v4, vcc_lo, v4
	v_and_b32_e32 v2, v2, v5
	v_and_b32_e32 v37, v37, v4
	v_lshlrev_b32_e32 v5, 26, v36
	v_mov_b32_e32 v4, v3
	v_cmp_gt_i64_e32 vcc, 0, v[4:5]
	v_not_b32_e32 v4, v5
	v_ashrrev_i32_e32 v4, 31, v4
	v_xor_b32_e32 v5, vcc_hi, v4
	v_xor_b32_e32 v4, vcc_lo, v4
	v_and_b32_e32 v2, v2, v5
	v_and_b32_e32 v37, v37, v4
	v_lshlrev_b32_e32 v5, 25, v36
	v_mov_b32_e32 v4, v3
	v_cmp_gt_i64_e32 vcc, 0, v[4:5]
	v_not_b32_e32 v4, v5
	v_ashrrev_i32_e32 v4, 31, v4
	v_xor_b32_e32 v5, vcc_hi, v4
	v_xor_b32_e32 v4, vcc_lo, v4
	v_and_b32_e32 v2, v2, v5
	v_and_b32_e32 v37, v37, v4
	v_lshlrev_b32_e32 v5, 24, v36
	v_mov_b32_e32 v4, v3
	v_cmp_gt_i64_e32 vcc, 0, v[4:5]
	v_not_b32_e32 v4, v5
	v_ashrrev_i32_e32 v4, 31, v4
	v_xor_b32_e32 v5, vcc_hi, v4
	v_xor_b32_e32 v4, vcc_lo, v4
	ds_read_b32 v35, v38 offset:64
	v_and_b32_e32 v4, v37, v4
	v_and_b32_e32 v5, v2, v5
	v_mbcnt_lo_u32_b32 v2, v4, 0
	v_mbcnt_hi_u32_b32 v36, v5, v2
	v_cmp_eq_u32_e32 vcc, 0, v36
	v_cmp_ne_u64_e64 s[4:5], 0, v[4:5]
	s_and_b64 s[6:7], s[4:5], vcc
	; wave barrier
	s_and_saveexec_b64 s[4:5], s[6:7]
	s_cbranch_execz .LBB1784_31
; %bb.30:
	v_bcnt_u32_b32 v2, v4, 0
	v_bcnt_u32_b32 v2, v5, v2
	s_waitcnt lgkmcnt(0)
	v_add_u32_e32 v2, v35, v2
	ds_write_b32 v38, v2 offset:64
.LBB1784_31:
	s_or_b64 exec, exec, s[4:5]
	v_xor_b32_e32 v9, 0x80000000, v9
	v_lshrrev_b32_e32 v2, s20, v9
	v_and_b32_e32 v39, s23, v2
	v_lshl_add_u32 v2, v39, 4, v39
	v_add_lshl_u32 v40, v30, v2, 2
	v_and_b32_e32 v2, 1, v39
	v_lshl_add_u64 v[4:5], v[2:3], 0, -1
	v_cmp_ne_u32_e32 vcc, 0, v2
	; wave barrier
	s_nop 1
	v_xor_b32_e32 v4, vcc_lo, v4
	v_xor_b32_e32 v2, vcc_hi, v5
	v_and_b32_e32 v30, exec_lo, v4
	v_lshlrev_b32_e32 v5, 30, v39
	v_mov_b32_e32 v4, v3
	v_cmp_gt_i64_e32 vcc, 0, v[4:5]
	v_not_b32_e32 v4, v5
	v_ashrrev_i32_e32 v4, 31, v4
	v_and_b32_e32 v2, exec_hi, v2
	v_xor_b32_e32 v5, vcc_hi, v4
	v_xor_b32_e32 v4, vcc_lo, v4
	v_and_b32_e32 v2, v2, v5
	v_and_b32_e32 v30, v30, v4
	v_lshlrev_b32_e32 v5, 29, v39
	v_mov_b32_e32 v4, v3
	v_cmp_gt_i64_e32 vcc, 0, v[4:5]
	v_not_b32_e32 v4, v5
	v_ashrrev_i32_e32 v4, 31, v4
	v_xor_b32_e32 v5, vcc_hi, v4
	v_xor_b32_e32 v4, vcc_lo, v4
	v_and_b32_e32 v2, v2, v5
	v_and_b32_e32 v30, v30, v4
	v_lshlrev_b32_e32 v5, 28, v39
	v_mov_b32_e32 v4, v3
	v_cmp_gt_i64_e32 vcc, 0, v[4:5]
	v_not_b32_e32 v4, v5
	v_ashrrev_i32_e32 v4, 31, v4
	;; [unrolled: 9-line block ×5, first 2 shown]
	v_xor_b32_e32 v5, vcc_hi, v4
	v_xor_b32_e32 v4, vcc_lo, v4
	v_and_b32_e32 v2, v2, v5
	v_lshlrev_b32_e32 v5, 24, v39
	v_and_b32_e32 v30, v30, v4
	v_mov_b32_e32 v4, v3
	v_not_b32_e32 v3, v5
	v_cmp_gt_i64_e32 vcc, 0, v[4:5]
	v_ashrrev_i32_e32 v3, 31, v3
	ds_read_b32 v37, v40 offset:64
	v_xor_b32_e32 v4, vcc_hi, v3
	v_xor_b32_e32 v5, vcc_lo, v3
	v_and_b32_e32 v3, v2, v4
	v_and_b32_e32 v2, v30, v5
	v_mbcnt_lo_u32_b32 v4, v2, 0
	v_mbcnt_hi_u32_b32 v39, v3, v4
	v_cmp_eq_u32_e32 vcc, 0, v39
	v_cmp_ne_u64_e64 s[4:5], 0, v[2:3]
	v_add_u32_e32 v41, 64, v18
	s_and_b64 s[6:7], s[4:5], vcc
	; wave barrier
	s_and_saveexec_b64 s[4:5], s[6:7]
	s_cbranch_execz .LBB1784_33
; %bb.32:
	v_bcnt_u32_b32 v2, v2, 0
	v_bcnt_u32_b32 v2, v3, v2
	s_waitcnt lgkmcnt(0)
	v_add_u32_e32 v2, v37, v2
	ds_write_b32 v40, v2 offset:64
.LBB1784_33:
	s_or_b64 exec, exec, s[4:5]
	; wave barrier
	s_waitcnt lgkmcnt(0)
	s_barrier
	ds_read2_b32 v[4:5], v18 offset0:16 offset1:17
	ds_read2_b32 v[2:3], v41 offset0:2 offset1:3
	ds_read_b32 v30, v41 offset:16
	v_cmp_lt_u32_e64 s[10:11], 31, v16
	s_waitcnt lgkmcnt(1)
	v_add3_u32 v42, v5, v4, v2
	s_waitcnt lgkmcnt(0)
	v_add3_u32 v30, v42, v3, v30
	v_and_b32_e32 v42, 15, v16
	v_cmp_eq_u32_e32 vcc, 0, v42
	v_mov_b32_dpp v43, v30 row_shr:1 row_mask:0xf bank_mask:0xf
	v_cmp_lt_u32_e64 s[8:9], 1, v42
	v_cndmask_b32_e64 v43, v43, 0, vcc
	v_add_u32_e32 v30, v43, v30
	v_cmp_lt_u32_e64 s[4:5], 3, v42
	v_cmp_lt_u32_e64 s[6:7], 7, v42
	v_mov_b32_dpp v43, v30 row_shr:2 row_mask:0xf bank_mask:0xf
	v_cndmask_b32_e64 v43, 0, v43, s[8:9]
	v_add_u32_e32 v30, v30, v43
	s_nop 1
	v_mov_b32_dpp v43, v30 row_shr:4 row_mask:0xf bank_mask:0xf
	v_cndmask_b32_e64 v43, 0, v43, s[4:5]
	v_add_u32_e32 v30, v30, v43
	s_nop 1
	v_mov_b32_dpp v43, v30 row_shr:8 row_mask:0xf bank_mask:0xf
	v_cndmask_b32_e64 v42, 0, v43, s[6:7]
	v_add_u32_e32 v30, v30, v42
	v_bfe_i32 v43, v16, 4, 1
	s_nop 0
	v_mov_b32_dpp v42, v30 row_bcast:15 row_mask:0xf bank_mask:0xf
	v_and_b32_e32 v42, v43, v42
	v_add_u32_e32 v30, v30, v42
	v_lshrrev_b32_e32 v43, 6, v10
	s_nop 0
	v_mov_b32_dpp v42, v30 row_bcast:31 row_mask:0xf bank_mask:0xf
	v_cndmask_b32_e64 v42, 0, v42, s[10:11]
	v_add_u32_e32 v42, v30, v42
	v_and_b32_e32 v30, 63, v10
	v_cmp_eq_u32_e64 s[10:11], 63, v30
	s_and_saveexec_b64 s[12:13], s[10:11]
	s_cbranch_execz .LBB1784_35
; %bb.34:
	v_lshlrev_b32_e32 v30, 2, v43
	ds_write_b32 v30, v42
.LBB1784_35:
	s_or_b64 exec, exec, s[12:13]
	v_cmp_gt_u32_e64 s[10:11], 16, v10
	v_lshlrev_b32_e32 v30, 2, v10
	s_waitcnt lgkmcnt(0)
	s_barrier
	s_and_saveexec_b64 s[12:13], s[10:11]
	s_cbranch_execz .LBB1784_37
; %bb.36:
	ds_read_b32 v44, v30
	s_waitcnt lgkmcnt(0)
	s_nop 0
	v_mov_b32_dpp v45, v44 row_shr:1 row_mask:0xf bank_mask:0xf
	v_cndmask_b32_e64 v45, v45, 0, vcc
	v_add_u32_e32 v44, v45, v44
	s_nop 1
	v_mov_b32_dpp v45, v44 row_shr:2 row_mask:0xf bank_mask:0xf
	v_cndmask_b32_e64 v45, 0, v45, s[8:9]
	v_add_u32_e32 v44, v44, v45
	s_nop 1
	v_mov_b32_dpp v45, v44 row_shr:4 row_mask:0xf bank_mask:0xf
	v_cndmask_b32_e64 v45, 0, v45, s[4:5]
	;; [unrolled: 4-line block ×3, first 2 shown]
	v_add_u32_e32 v44, v44, v45
	ds_write_b32 v30, v44
.LBB1784_37:
	s_or_b64 exec, exec, s[12:13]
	v_cmp_lt_u32_e32 vcc, 63, v10
	v_mov_b32_e32 v44, 0
	s_waitcnt lgkmcnt(0)
	s_barrier
	s_and_saveexec_b64 s[4:5], vcc
	s_cbranch_execz .LBB1784_39
; %bb.38:
	v_lshl_add_u32 v43, v43, 2, -4
	ds_read_b32 v44, v43
.LBB1784_39:
	s_or_b64 exec, exec, s[4:5]
	v_add_u32_e32 v43, -1, v16
	v_and_b32_e32 v45, 64, v16
	v_cmp_lt_i32_e32 vcc, v43, v45
	s_waitcnt lgkmcnt(0)
	v_add_u32_e32 v42, v44, v42
	s_movk_i32 s4, 0x100
	v_cndmask_b32_e32 v43, v43, v16, vcc
	v_lshlrev_b32_e32 v43, 2, v43
	ds_bpermute_b32 v42, v43, v42
	v_cmp_eq_u32_e32 vcc, 0, v16
	v_cmp_gt_u32_e64 s[4:5], s4, v10
	s_waitcnt lgkmcnt(0)
	v_cndmask_b32_e32 v16, v42, v44, vcc
	v_cmp_ne_u32_e32 vcc, 0, v10
	s_nop 1
	v_cndmask_b32_e32 v16, 0, v16, vcc
	v_add_u32_e32 v4, v16, v4
	v_add_u32_e32 v5, v4, v5
	;; [unrolled: 1-line block ×4, first 2 shown]
	ds_write2_b32 v18, v16, v4 offset0:16 offset1:17
	ds_write2_b32 v41, v5, v2 offset0:2 offset1:3
	ds_write_b32 v41, v3 offset:16
	s_waitcnt lgkmcnt(0)
	s_barrier
	ds_read_b32 v22, v22 offset:64
	ds_read_b32 v23, v23 offset:64
	ds_read_b32 v27, v27 offset:64
	ds_read_b32 v31, v31 offset:64
	ds_read_b32 v41, v6 offset:64
	ds_read_b32 v42, v7 offset:64
	ds_read_b32 v38, v38 offset:64
	ds_read_b32 v40, v40 offset:64
                                        ; implicit-def: $vgpr16
                                        ; implicit-def: $vgpr18
	s_and_saveexec_b64 s[6:7], s[4:5]
	s_cbranch_execz .LBB1784_43
; %bb.40:
	v_mul_u32_u24_e32 v2, 17, v10
	v_lshlrev_b32_e32 v3, 2, v2
	ds_read_b32 v16, v3 offset:64
	s_movk_i32 s8, 0xff
	v_cmp_ne_u32_e32 vcc, s8, v10
	v_mov_b32_e32 v2, 0x2000
	s_and_saveexec_b64 s[8:9], vcc
	s_cbranch_execz .LBB1784_42
; %bb.41:
	ds_read_b32 v2, v3 offset:132
.LBB1784_42:
	s_or_b64 exec, exec, s[8:9]
	s_waitcnt lgkmcnt(0)
	v_sub_u32_e32 v18, v2, v16
.LBB1784_43:
	s_or_b64 exec, exec, s[6:7]
	s_waitcnt lgkmcnt(0)
	s_barrier
	s_and_saveexec_b64 s[6:7], s[4:5]
	s_cbranch_execz .LBB1784_53
; %bb.44:
	v_lshl_or_b32 v4, s2, 8, v10
	v_mov_b32_e32 v5, 0
	v_lshl_add_u64 v[2:3], v[4:5], 2, s[28:29]
	v_or_b32_e32 v4, 2.0, v18
	s_mov_b64 s[8:9], 0
	s_brev_b32 s14, 1
	s_mov_b32 s15, s2
	v_mov_b32_e32 v43, 0
	global_store_dword v[2:3], v4, off sc1
                                        ; implicit-def: $sgpr10_sgpr11
	s_branch .LBB1784_46
.LBB1784_45:                            ;   in Loop: Header=BB1784_46 Depth=1
	s_or_b64 exec, exec, s[10:11]
	v_and_b32_e32 v6, 0x3fffffff, v44
	v_add_u32_e32 v43, v6, v43
	v_cmp_eq_u32_e64 s[10:11], s14, v4
	s_and_b64 s[12:13], exec, s[10:11]
	s_or_b64 s[8:9], s[12:13], s[8:9]
	s_andn2_b64 exec, exec, s[8:9]
	s_cbranch_execz .LBB1784_52
.LBB1784_46:                            ; =>This Loop Header: Depth=1
                                        ;     Child Loop BB1784_49 Depth 2
	s_or_b64 s[10:11], s[10:11], exec
	s_cmp_eq_u32 s15, 0
	s_cbranch_scc1 .LBB1784_51
; %bb.47:                               ;   in Loop: Header=BB1784_46 Depth=1
	s_add_i32 s15, s15, -1
	v_lshl_or_b32 v4, s15, 8, v10
	v_lshl_add_u64 v[6:7], v[4:5], 2, s[28:29]
	global_load_dword v44, v[6:7], off sc1
	s_waitcnt vmcnt(0)
	v_and_b32_e32 v4, -2.0, v44
	v_cmp_eq_u32_e32 vcc, 0, v4
	s_and_saveexec_b64 s[10:11], vcc
	s_cbranch_execz .LBB1784_45
; %bb.48:                               ;   in Loop: Header=BB1784_46 Depth=1
	s_mov_b64 s[12:13], 0
.LBB1784_49:                            ;   Parent Loop BB1784_46 Depth=1
                                        ; =>  This Inner Loop Header: Depth=2
	global_load_dword v44, v[6:7], off sc1
	s_waitcnt vmcnt(0)
	v_and_b32_e32 v4, -2.0, v44
	v_cmp_ne_u32_e32 vcc, 0, v4
	s_or_b64 s[12:13], vcc, s[12:13]
	s_andn2_b64 exec, exec, s[12:13]
	s_cbranch_execnz .LBB1784_49
; %bb.50:                               ;   in Loop: Header=BB1784_46 Depth=1
	s_or_b64 exec, exec, s[12:13]
	s_branch .LBB1784_45
.LBB1784_51:                            ;   in Loop: Header=BB1784_46 Depth=1
                                        ; implicit-def: $sgpr15
	s_and_b64 s[12:13], exec, s[10:11]
	s_or_b64 s[8:9], s[12:13], s[8:9]
	s_andn2_b64 exec, exec, s[8:9]
	s_cbranch_execnz .LBB1784_46
.LBB1784_52:
	s_or_b64 exec, exec, s[8:9]
	v_add_u32_e32 v4, v43, v18
	v_or_b32_e32 v4, 0x80000000, v4
	global_store_dword v[2:3], v4, off sc1
	global_load_dword v2, v30, s[16:17]
	v_sub_u32_e32 v3, v43, v16
	s_waitcnt vmcnt(0)
	v_add_u32_e32 v2, v3, v2
	ds_write_b32 v30, v2
.LBB1784_53:
	s_or_b64 exec, exec, s[6:7]
	v_add_u32_e32 v4, v22, v17
	v_add3_u32 v5, v20, v19, v23
	v_add3_u32 v6, v25, v21, v27
	;; [unrolled: 1-line block ×7, first 2 shown]
	s_movk_i32 s10, 0x400
	v_add_u32_e32 v22, 0x400, v30
	v_lshlrev_b32_e32 v23, 2, v21
	v_lshlrev_b32_e32 v25, 2, v20
	v_lshlrev_b32_e32 v26, 2, v19
	v_lshlrev_b32_e32 v27, 2, v17
	v_lshlrev_b32_e32 v28, 2, v7
	v_lshlrev_b32_e32 v29, 2, v6
	v_lshlrev_b32_e32 v31, 2, v5
	v_lshlrev_b32_e32 v32, 2, v4
	s_mov_b32 s11, 0
	s_mov_b32 s12, 0
	s_mov_b64 s[6:7], -1
	s_movk_i32 s13, 0x1000
	v_mov_b32_e32 v3, 0
	s_movk_i32 s14, 0x800
	s_movk_i32 s15, 0xc00
	s_branch .LBB1784_55
.LBB1784_54:                            ;   in Loop: Header=BB1784_55 Depth=1
	s_or_b64 exec, exec, s[8:9]
	s_xor_b64 s[8:9], s[6:7], -1
	s_addk_i32 s12, 0x1000
	s_addk_i32 s11, 0xc000
	v_add_u32_e32 v21, 0xfffff000, v21
	v_add_u32_e32 v20, 0xfffff000, v20
	;; [unrolled: 1-line block ×8, first 2 shown]
	s_mov_b64 s[6:7], 0
	s_and_b64 vcc, exec, s[8:9]
	s_barrier
	s_cbranch_vccnz .LBB1784_80
.LBB1784_55:                            ; =>This Inner Loop Header: Depth=1
	v_cmp_gt_u32_e32 vcc, s13, v4
	s_and_saveexec_b64 s[8:9], vcc
	s_cbranch_execnz .LBB1784_72
; %bb.56:                               ;   in Loop: Header=BB1784_55 Depth=1
	s_or_b64 exec, exec, s[8:9]
	v_cmp_gt_u32_e32 vcc, s13, v5
	s_and_saveexec_b64 s[8:9], vcc
	s_cbranch_execnz .LBB1784_73
.LBB1784_57:                            ;   in Loop: Header=BB1784_55 Depth=1
	s_or_b64 exec, exec, s[8:9]
	v_cmp_gt_u32_e32 vcc, s13, v6
	s_and_saveexec_b64 s[8:9], vcc
	s_cbranch_execnz .LBB1784_74
.LBB1784_58:                            ;   in Loop: Header=BB1784_55 Depth=1
	s_or_b64 exec, exec, s[8:9]
	v_cmp_gt_u32_e32 vcc, s13, v7
	s_and_saveexec_b64 s[8:9], vcc
	s_cbranch_execnz .LBB1784_75
.LBB1784_59:                            ;   in Loop: Header=BB1784_55 Depth=1
	s_or_b64 exec, exec, s[8:9]
	v_cmp_gt_u32_e32 vcc, s13, v17
	s_and_saveexec_b64 s[8:9], vcc
	s_cbranch_execnz .LBB1784_76
.LBB1784_60:                            ;   in Loop: Header=BB1784_55 Depth=1
	s_or_b64 exec, exec, s[8:9]
	v_cmp_gt_u32_e32 vcc, s13, v19
	s_and_saveexec_b64 s[8:9], vcc
	s_cbranch_execnz .LBB1784_77
.LBB1784_61:                            ;   in Loop: Header=BB1784_55 Depth=1
	s_or_b64 exec, exec, s[8:9]
	v_cmp_gt_u32_e32 vcc, s13, v20
	s_and_saveexec_b64 s[8:9], vcc
	s_cbranch_execnz .LBB1784_78
.LBB1784_62:                            ;   in Loop: Header=BB1784_55 Depth=1
	s_or_b64 exec, exec, s[8:9]
	v_cmp_gt_u32_e32 vcc, s13, v21
	s_and_saveexec_b64 s[8:9], vcc
	s_cbranch_execz .LBB1784_64
.LBB1784_63:                            ;   in Loop: Header=BB1784_55 Depth=1
	v_add_u32_e32 v2, s11, v23
	ds_write_b32 v2, v9 offset:1024
.LBB1784_64:                            ;   in Loop: Header=BB1784_55 Depth=1
	s_or_b64 exec, exec, s[8:9]
	v_add_u32_e32 v33, s12, v10
	v_cmp_gt_u32_e32 vcc, s3, v33
	s_waitcnt lgkmcnt(0)
	s_barrier
	s_and_saveexec_b64 s[8:9], vcc
	s_cbranch_execz .LBB1784_66
; %bb.65:                               ;   in Loop: Header=BB1784_55 Depth=1
	ds_read_b32 v2, v30 offset:1024
	s_waitcnt lgkmcnt(0)
	v_lshrrev_b32_e32 v34, s20, v2
	v_and_b32_e32 v34, s23, v34
	v_lshlrev_b32_e32 v34, 2, v34
	ds_read_b32 v34, v34
	v_xor_b32_e32 v36, 0x80000000, v2
	s_waitcnt lgkmcnt(0)
	v_add_u32_e32 v2, v33, v34
	v_lshl_add_u64 v[34:35], v[2:3], 2, s[26:27]
	global_store_dword v[34:35], v36, off
.LBB1784_66:                            ;   in Loop: Header=BB1784_55 Depth=1
	s_or_b64 exec, exec, s[8:9]
	v_add_u32_e32 v2, 0x400, v33
	v_cmp_gt_u32_e32 vcc, s3, v2
	s_and_saveexec_b64 s[8:9], vcc
	s_cbranch_execz .LBB1784_68
; %bb.67:                               ;   in Loop: Header=BB1784_55 Depth=1
	ds_read_b32 v2, v22 offset:4096
	s_waitcnt lgkmcnt(0)
	v_lshrrev_b32_e32 v34, s20, v2
	v_and_b32_e32 v34, s23, v34
	v_lshlrev_b32_e32 v34, 2, v34
	ds_read_b32 v34, v34
	v_xor_b32_e32 v36, 0x80000000, v2
	s_waitcnt lgkmcnt(0)
	v_add3_u32 v2, v33, v34, s10
	v_lshl_add_u64 v[34:35], v[2:3], 2, s[26:27]
	global_store_dword v[34:35], v36, off
.LBB1784_68:                            ;   in Loop: Header=BB1784_55 Depth=1
	s_or_b64 exec, exec, s[8:9]
	v_add_u32_e32 v2, 0x800, v33
	v_cmp_gt_u32_e32 vcc, s3, v2
	s_and_saveexec_b64 s[8:9], vcc
	s_cbranch_execz .LBB1784_70
; %bb.69:                               ;   in Loop: Header=BB1784_55 Depth=1
	ds_read_b32 v2, v22 offset:8192
	s_waitcnt lgkmcnt(0)
	v_lshrrev_b32_e32 v34, s20, v2
	v_and_b32_e32 v34, s23, v34
	v_lshlrev_b32_e32 v34, 2, v34
	ds_read_b32 v34, v34
	v_xor_b32_e32 v36, 0x80000000, v2
	s_waitcnt lgkmcnt(0)
	v_add3_u32 v2, v33, v34, s14
	v_lshl_add_u64 v[34:35], v[2:3], 2, s[26:27]
	global_store_dword v[34:35], v36, off
.LBB1784_70:                            ;   in Loop: Header=BB1784_55 Depth=1
	s_or_b64 exec, exec, s[8:9]
	v_add_u32_e32 v2, 0xc00, v33
	v_cmp_gt_u32_e32 vcc, s3, v2
	s_and_saveexec_b64 s[8:9], vcc
	s_cbranch_execz .LBB1784_54
; %bb.71:                               ;   in Loop: Header=BB1784_55 Depth=1
	ds_read_b32 v2, v22 offset:12288
	s_waitcnt lgkmcnt(0)
	v_lshrrev_b32_e32 v34, s20, v2
	v_and_b32_e32 v34, s23, v34
	v_lshlrev_b32_e32 v34, 2, v34
	ds_read_b32 v34, v34
	v_xor_b32_e32 v36, 0x80000000, v2
	s_waitcnt lgkmcnt(0)
	v_add3_u32 v2, v33, v34, s15
	v_lshl_add_u64 v[34:35], v[2:3], 2, s[26:27]
	global_store_dword v[34:35], v36, off
	s_branch .LBB1784_54
.LBB1784_72:                            ;   in Loop: Header=BB1784_55 Depth=1
	v_add_u32_e32 v2, s11, v32
	ds_write_b32 v2, v11 offset:1024
	s_or_b64 exec, exec, s[8:9]
	v_cmp_gt_u32_e32 vcc, s13, v5
	s_and_saveexec_b64 s[8:9], vcc
	s_cbranch_execz .LBB1784_57
.LBB1784_73:                            ;   in Loop: Header=BB1784_55 Depth=1
	v_add_u32_e32 v2, s11, v31
	ds_write_b32 v2, v14 offset:1024
	s_or_b64 exec, exec, s[8:9]
	v_cmp_gt_u32_e32 vcc, s13, v6
	s_and_saveexec_b64 s[8:9], vcc
	s_cbranch_execz .LBB1784_58
.LBB1784_74:                            ;   in Loop: Header=BB1784_55 Depth=1
	v_add_u32_e32 v2, s11, v29
	ds_write_b32 v2, v15 offset:1024
	s_or_b64 exec, exec, s[8:9]
	v_cmp_gt_u32_e32 vcc, s13, v7
	s_and_saveexec_b64 s[8:9], vcc
	s_cbranch_execz .LBB1784_59
.LBB1784_75:                            ;   in Loop: Header=BB1784_55 Depth=1
	v_add_u32_e32 v2, s11, v28
	ds_write_b32 v2, v12 offset:1024
	s_or_b64 exec, exec, s[8:9]
	v_cmp_gt_u32_e32 vcc, s13, v17
	s_and_saveexec_b64 s[8:9], vcc
	s_cbranch_execz .LBB1784_60
.LBB1784_76:                            ;   in Loop: Header=BB1784_55 Depth=1
	v_add_u32_e32 v2, s11, v27
	ds_write_b32 v2, v13 offset:1024
	s_or_b64 exec, exec, s[8:9]
	v_cmp_gt_u32_e32 vcc, s13, v19
	s_and_saveexec_b64 s[8:9], vcc
	s_cbranch_execz .LBB1784_61
.LBB1784_77:                            ;   in Loop: Header=BB1784_55 Depth=1
	v_add_u32_e32 v2, s11, v26
	ds_write_b32 v2, v24 offset:1024
	s_or_b64 exec, exec, s[8:9]
	v_cmp_gt_u32_e32 vcc, s13, v20
	s_and_saveexec_b64 s[8:9], vcc
	s_cbranch_execz .LBB1784_62
.LBB1784_78:                            ;   in Loop: Header=BB1784_55 Depth=1
	v_add_u32_e32 v2, s11, v25
	ds_write_b32 v2, v8 offset:1024
	s_or_b64 exec, exec, s[8:9]
	v_cmp_gt_u32_e32 vcc, s13, v21
	s_and_saveexec_b64 s[8:9], vcc
	s_cbranch_execnz .LBB1784_63
	s_branch .LBB1784_64
.LBB1784_79:
	s_mov_b64 s[10:11], 0
                                        ; implicit-def: $vgpr2
                                        ; implicit-def: $vgpr10
	s_cbranch_execnz .LBB1784_83
	s_branch .LBB1784_140
.LBB1784_80:
	s_add_i32 s22, s22, -1
	s_cmp_eq_u32 s22, s2
	s_cselect_b64 s[6:7], -1, 0
	s_and_b64 s[6:7], s[4:5], s[6:7]
	s_mov_b64 s[4:5], 0
	s_mov_b64 s[10:11], 0
                                        ; implicit-def: $vgpr2
	s_and_saveexec_b64 s[8:9], s[6:7]
	s_xor_b64 s[6:7], exec, s[8:9]
; %bb.81:
	s_mov_b64 s[10:11], exec
	v_add_u32_e32 v2, v16, v18
; %bb.82:
	s_or_b64 exec, exec, s[6:7]
	s_and_b64 vcc, exec, s[4:5]
	s_cbranch_vccz .LBB1784_140
.LBB1784_83:
	s_lshl_b32 s4, s2, 13
	s_mov_b32 s5, 0
	s_lshl_b64 s[4:5], s[4:5], 2
	v_mbcnt_hi_u32_b32 v4, -1, v1
	v_and_b32_e32 v10, 0x3ff, v0
	s_add_u32 s4, s24, s4
	v_and_b32_e32 v1, 63, v4
	s_addc_u32 s5, s25, s5
	v_mov_b32_e32 v3, 0
	v_lshlrev_b32_e32 v2, 2, v1
	v_lshlrev_b32_e32 v1, 5, v10
	v_lshl_add_u64 v[6:7], s[4:5], 0, v[2:3]
	v_and_b32_e32 v2, 0x7800, v1
	v_lshl_add_u64 v[14:15], v[6:7], 0, v[2:3]
	global_load_dword v1, v[14:15], off
	s_load_dword s4, s[0:1], 0x64
	s_load_dword s3, s[0:1], 0x58
	s_add_u32 s0, s0, 0x58
	s_addc_u32 s1, s1, 0
	v_mul_u32_u24_e32 v5, 5, v10
	s_waitcnt lgkmcnt(0)
	s_lshr_b32 s4, s4, 16
	s_cmp_lt_u32 s2, s3
	s_cselect_b32 s5, 12, 18
	s_add_u32 s0, s0, s5
	s_addc_u32 s1, s1, 0
	global_load_ushort v9, v3, s[0:1]
	v_lshlrev_b32_e32 v5, 2, v5
	ds_write2_b32 v5, v3, v3 offset0:16 offset1:17
	ds_write2_b32 v5, v3, v3 offset0:18 offset1:19
	ds_write_b32 v5, v3 offset:80
	global_load_dword v7, v[14:15], off offset:256
	global_load_dword v8, v[14:15], off offset:512
	;; [unrolled: 1-line block ×7, first 2 shown]
	v_bfe_u32 v2, v0, 10, 10
	v_bfe_u32 v6, v0, 20, 10
	v_mad_u32_u24 v11, v6, s4, v2
	s_lshl_b32 s0, -1, s21
	s_not_b32 s14, s0
	v_mov_b32_e32 v0, v3
	v_mov_b32_e32 v24, v3
	;; [unrolled: 1-line block ×5, first 2 shown]
	s_waitcnt lgkmcnt(0)
	s_barrier
	s_waitcnt lgkmcnt(0)
	; wave barrier
	s_waitcnt vmcnt(8)
	v_xor_b32_e32 v6, 0x80000000, v1
	v_lshrrev_b32_e32 v1, s20, v6
	v_and_b32_e32 v13, s14, v1
	v_and_b32_e32 v2, 1, v13
	v_lshlrev_b32_e32 v1, 30, v13
	v_lshlrev_b32_e32 v19, 29, v13
	;; [unrolled: 1-line block ×3, first 2 shown]
	v_lshl_add_u64 v[30:31], v[2:3], 0, -1
	v_cmp_ne_u32_e32 vcc, 0, v2
	v_lshl_add_u32 v17, v13, 4, v13
	s_waitcnt vmcnt(7)
	v_mad_u64_u32 v[14:15], s[0:1], v11, v9, v[10:11]
	v_cmp_gt_i64_e64 s[0:1], 0, v[0:1]
	v_not_b32_e32 v0, v1
	v_lshlrev_b32_e32 v23, 28, v13
	v_not_b32_e32 v1, v19
	v_cmp_gt_i64_e64 s[8:9], 0, v[24:25]
	v_lshrrev_b32_e32 v24, 6, v14
	v_xor_b32_e32 v15, vcc_lo, v30
	v_ashrrev_i32_e32 v0, 31, v0
	v_cmp_gt_i64_e64 s[4:5], 0, v[18:19]
	v_not_b32_e32 v2, v23
	v_xor_b32_e32 v11, vcc_hi, v31
	v_ashrrev_i32_e32 v1, 31, v1
	v_add_lshl_u32 v14, v24, v17, 2
	v_and_b32_e32 v15, exec_lo, v15
	v_xor_b32_e32 v17, s1, v0
	v_xor_b32_e32 v0, s0, v0
	v_cmp_gt_i64_e64 s[6:7], 0, v[22:23]
	v_ashrrev_i32_e32 v2, 31, v2
	v_and_b32_e32 v11, exec_hi, v11
	v_xor_b32_e32 v18, s5, v1
	v_xor_b32_e32 v1, s4, v1
	v_and_b32_e32 v0, v15, v0
	v_lshlrev_b32_e32 v29, 26, v13
	v_not_b32_e32 v9, v25
	v_xor_b32_e32 v19, s7, v2
	v_xor_b32_e32 v2, s6, v2
	v_and_b32_e32 v11, v11, v17
	v_and_b32_e32 v0, v0, v1
	v_ashrrev_i32_e32 v9, 31, v9
	v_and_b32_e32 v11, v11, v18
	v_and_b32_e32 v0, v0, v2
	v_not_b32_e32 v2, v29
	v_xor_b32_e32 v22, s9, v9
	v_xor_b32_e32 v9, s8, v9
	v_and_b32_e32 v1, v11, v19
	v_cmp_gt_i64_e32 vcc, 0, v[28:29]
	v_ashrrev_i32_e32 v2, 31, v2
	v_and_b32_e32 v1, v1, v22
	v_and_b32_e32 v0, v0, v9
	v_xor_b32_e32 v9, vcc_hi, v2
	v_xor_b32_e32 v2, vcc_lo, v2
	v_and_b32_e32 v9, v1, v9
	v_and_b32_e32 v2, v0, v2
	v_lshlrev_b32_e32 v1, 25, v13
	v_mov_b32_e32 v0, v3
	v_cmp_gt_i64_e32 vcc, 0, v[0:1]
	v_not_b32_e32 v0, v1
	v_ashrrev_i32_e32 v0, 31, v0
	v_xor_b32_e32 v1, vcc_hi, v0
	v_xor_b32_e32 v0, vcc_lo, v0
	v_and_b32_e32 v9, v9, v1
	v_and_b32_e32 v2, v2, v0
	v_lshlrev_b32_e32 v1, 24, v13
	v_mov_b32_e32 v0, v3
	v_cmp_gt_i64_e32 vcc, 0, v[0:1]
	v_not_b32_e32 v0, v1
	v_ashrrev_i32_e32 v0, 31, v0
	v_xor_b32_e32 v1, vcc_hi, v0
	v_xor_b32_e32 v0, vcc_lo, v0
	v_and_b32_e32 v0, v2, v0
	v_and_b32_e32 v1, v9, v1
	v_mbcnt_lo_u32_b32 v2, v0, 0
	v_mbcnt_hi_u32_b32 v9, v1, v2
	v_cmp_eq_u32_e32 vcc, 0, v9
	v_cmp_ne_u64_e64 s[0:1], 0, v[0:1]
	s_and_b64 s[4:5], s[0:1], vcc
	s_and_saveexec_b64 s[0:1], s[4:5]
	s_cbranch_execz .LBB1784_85
; %bb.84:
	v_bcnt_u32_b32 v0, v0, 0
	v_bcnt_u32_b32 v0, v1, v0
	ds_write_b32 v14, v0 offset:64
.LBB1784_85:
	s_or_b64 exec, exec, s[0:1]
	s_waitcnt vmcnt(6)
	v_xor_b32_e32 v7, 0x80000000, v7
	v_lshrrev_b32_e32 v0, s20, v7
	v_and_b32_e32 v13, s14, v0
	v_lshl_add_u32 v0, v13, 4, v13
	v_and_b32_e32 v2, 1, v13
	v_add_lshl_u32 v17, v24, v0, 2
	v_lshl_add_u64 v[0:1], v[2:3], 0, -1
	v_cmp_ne_u32_e32 vcc, 0, v2
	; wave barrier
	s_nop 1
	v_xor_b32_e32 v1, vcc_hi, v1
	v_xor_b32_e32 v0, vcc_lo, v0
	v_and_b32_e32 v2, exec_hi, v1
	v_and_b32_e32 v15, exec_lo, v0
	v_lshlrev_b32_e32 v1, 30, v13
	v_mov_b32_e32 v0, v3
	v_cmp_gt_i64_e32 vcc, 0, v[0:1]
	v_not_b32_e32 v0, v1
	v_ashrrev_i32_e32 v0, 31, v0
	v_xor_b32_e32 v1, vcc_hi, v0
	v_xor_b32_e32 v0, vcc_lo, v0
	v_and_b32_e32 v2, v2, v1
	v_and_b32_e32 v15, v15, v0
	v_lshlrev_b32_e32 v1, 29, v13
	v_mov_b32_e32 v0, v3
	v_cmp_gt_i64_e32 vcc, 0, v[0:1]
	v_not_b32_e32 v0, v1
	v_ashrrev_i32_e32 v0, 31, v0
	v_xor_b32_e32 v1, vcc_hi, v0
	v_xor_b32_e32 v0, vcc_lo, v0
	v_and_b32_e32 v2, v2, v1
	v_and_b32_e32 v15, v15, v0
	;; [unrolled: 9-line block ×6, first 2 shown]
	v_lshlrev_b32_e32 v1, 24, v13
	v_mov_b32_e32 v0, v3
	v_cmp_gt_i64_e32 vcc, 0, v[0:1]
	v_not_b32_e32 v0, v1
	v_ashrrev_i32_e32 v0, 31, v0
	v_xor_b32_e32 v1, vcc_hi, v0
	v_xor_b32_e32 v0, vcc_lo, v0
	ds_read_b32 v11, v17 offset:64
	v_and_b32_e32 v0, v15, v0
	v_and_b32_e32 v1, v2, v1
	v_mbcnt_lo_u32_b32 v2, v0, 0
	v_mbcnt_hi_u32_b32 v13, v1, v2
	v_cmp_eq_u32_e32 vcc, 0, v13
	v_cmp_ne_u64_e64 s[0:1], 0, v[0:1]
	s_and_b64 s[4:5], s[0:1], vcc
	; wave barrier
	s_and_saveexec_b64 s[0:1], s[4:5]
	s_cbranch_execz .LBB1784_87
; %bb.86:
	v_bcnt_u32_b32 v0, v0, 0
	v_bcnt_u32_b32 v0, v1, v0
	s_waitcnt lgkmcnt(0)
	v_add_u32_e32 v0, v11, v0
	ds_write_b32 v17, v0 offset:64
.LBB1784_87:
	s_or_b64 exec, exec, s[0:1]
	s_waitcnt vmcnt(5)
	v_xor_b32_e32 v8, 0x80000000, v8
	v_lshrrev_b32_e32 v0, s20, v8
	v_and_b32_e32 v18, s14, v0
	v_lshl_add_u32 v0, v18, 4, v18
	v_add_lshl_u32 v22, v24, v0, 2
	v_and_b32_e32 v0, 1, v18
	v_mov_b32_e32 v1, 0
	v_lshl_add_u64 v[2:3], v[0:1], 0, -1
	v_cmp_ne_u32_e32 vcc, 0, v0
	; wave barrier
	s_nop 1
	v_xor_b32_e32 v2, vcc_lo, v2
	v_xor_b32_e32 v0, vcc_hi, v3
	v_and_b32_e32 v19, exec_lo, v2
	v_lshlrev_b32_e32 v3, 30, v18
	v_mov_b32_e32 v2, v1
	v_cmp_gt_i64_e32 vcc, 0, v[2:3]
	v_not_b32_e32 v2, v3
	v_ashrrev_i32_e32 v2, 31, v2
	v_and_b32_e32 v0, exec_hi, v0
	v_xor_b32_e32 v3, vcc_hi, v2
	v_xor_b32_e32 v2, vcc_lo, v2
	v_and_b32_e32 v0, v0, v3
	v_and_b32_e32 v19, v19, v2
	v_lshlrev_b32_e32 v3, 29, v18
	v_mov_b32_e32 v2, v1
	v_cmp_gt_i64_e32 vcc, 0, v[2:3]
	v_not_b32_e32 v2, v3
	v_ashrrev_i32_e32 v2, 31, v2
	v_xor_b32_e32 v3, vcc_hi, v2
	v_xor_b32_e32 v2, vcc_lo, v2
	v_and_b32_e32 v0, v0, v3
	v_and_b32_e32 v19, v19, v2
	v_lshlrev_b32_e32 v3, 28, v18
	v_mov_b32_e32 v2, v1
	v_cmp_gt_i64_e32 vcc, 0, v[2:3]
	v_not_b32_e32 v2, v3
	v_ashrrev_i32_e32 v2, 31, v2
	;; [unrolled: 9-line block ×6, first 2 shown]
	v_xor_b32_e32 v3, vcc_hi, v2
	v_xor_b32_e32 v2, vcc_lo, v2
	ds_read_b32 v15, v22 offset:64
	v_and_b32_e32 v2, v19, v2
	v_and_b32_e32 v3, v0, v3
	v_mbcnt_lo_u32_b32 v0, v2, 0
	v_mbcnt_hi_u32_b32 v18, v3, v0
	v_cmp_eq_u32_e32 vcc, 0, v18
	v_cmp_ne_u64_e64 s[0:1], 0, v[2:3]
	s_and_b64 s[4:5], s[0:1], vcc
	; wave barrier
	s_and_saveexec_b64 s[0:1], s[4:5]
	s_cbranch_execz .LBB1784_89
; %bb.88:
	v_bcnt_u32_b32 v0, v2, 0
	v_bcnt_u32_b32 v0, v3, v0
	s_waitcnt lgkmcnt(0)
	v_add_u32_e32 v0, v15, v0
	ds_write_b32 v22, v0 offset:64
.LBB1784_89:
	s_or_b64 exec, exec, s[0:1]
	s_waitcnt vmcnt(4)
	v_xor_b32_e32 v12, 0x80000000, v12
	v_lshrrev_b32_e32 v0, s20, v12
	v_and_b32_e32 v23, s14, v0
	v_lshl_add_u32 v0, v23, 4, v23
	v_add_lshl_u32 v27, v24, v0, 2
	v_and_b32_e32 v0, 1, v23
	v_lshl_add_u64 v[2:3], v[0:1], 0, -1
	v_cmp_ne_u32_e32 vcc, 0, v0
	; wave barrier
	s_nop 1
	v_xor_b32_e32 v2, vcc_lo, v2
	v_xor_b32_e32 v0, vcc_hi, v3
	v_and_b32_e32 v25, exec_lo, v2
	v_lshlrev_b32_e32 v3, 30, v23
	v_mov_b32_e32 v2, v1
	v_cmp_gt_i64_e32 vcc, 0, v[2:3]
	v_not_b32_e32 v2, v3
	v_ashrrev_i32_e32 v2, 31, v2
	v_and_b32_e32 v0, exec_hi, v0
	v_xor_b32_e32 v3, vcc_hi, v2
	v_xor_b32_e32 v2, vcc_lo, v2
	v_and_b32_e32 v0, v0, v3
	v_and_b32_e32 v25, v25, v2
	v_lshlrev_b32_e32 v3, 29, v23
	v_mov_b32_e32 v2, v1
	v_cmp_gt_i64_e32 vcc, 0, v[2:3]
	v_not_b32_e32 v2, v3
	v_ashrrev_i32_e32 v2, 31, v2
	v_xor_b32_e32 v3, vcc_hi, v2
	v_xor_b32_e32 v2, vcc_lo, v2
	v_and_b32_e32 v0, v0, v3
	v_and_b32_e32 v25, v25, v2
	v_lshlrev_b32_e32 v3, 28, v23
	v_mov_b32_e32 v2, v1
	v_cmp_gt_i64_e32 vcc, 0, v[2:3]
	v_not_b32_e32 v2, v3
	v_ashrrev_i32_e32 v2, 31, v2
	;; [unrolled: 9-line block ×5, first 2 shown]
	v_xor_b32_e32 v3, vcc_hi, v2
	v_xor_b32_e32 v2, vcc_lo, v2
	v_and_b32_e32 v0, v0, v3
	v_lshlrev_b32_e32 v3, 24, v23
	v_and_b32_e32 v25, v25, v2
	v_mov_b32_e32 v2, v1
	v_not_b32_e32 v1, v3
	v_cmp_gt_i64_e32 vcc, 0, v[2:3]
	v_ashrrev_i32_e32 v1, 31, v1
	ds_read_b32 v19, v27 offset:64
	v_xor_b32_e32 v2, vcc_hi, v1
	v_xor_b32_e32 v3, vcc_lo, v1
	v_and_b32_e32 v1, v0, v2
	v_and_b32_e32 v0, v25, v3
	v_mbcnt_lo_u32_b32 v2, v0, 0
	v_mbcnt_hi_u32_b32 v23, v1, v2
	v_cmp_eq_u32_e32 vcc, 0, v23
	v_cmp_ne_u64_e64 s[0:1], 0, v[0:1]
	s_and_b64 s[4:5], s[0:1], vcc
	; wave barrier
	s_and_saveexec_b64 s[0:1], s[4:5]
	s_cbranch_execz .LBB1784_91
; %bb.90:
	v_bcnt_u32_b32 v0, v0, 0
	v_bcnt_u32_b32 v0, v1, v0
	s_waitcnt lgkmcnt(0)
	v_add_u32_e32 v0, v19, v0
	ds_write_b32 v27, v0 offset:64
.LBB1784_91:
	s_or_b64 exec, exec, s[0:1]
	s_waitcnt vmcnt(3)
	v_xor_b32_e32 v16, 0x80000000, v16
	v_lshrrev_b32_e32 v0, s20, v16
	v_and_b32_e32 v28, s14, v0
	v_lshl_add_u32 v0, v28, 4, v28
	v_add_lshl_u32 v30, v24, v0, 2
	v_and_b32_e32 v0, 1, v28
	v_mov_b32_e32 v1, 0
	v_lshl_add_u64 v[2:3], v[0:1], 0, -1
	v_cmp_ne_u32_e32 vcc, 0, v0
	; wave barrier
	s_nop 1
	v_xor_b32_e32 v2, vcc_lo, v2
	v_xor_b32_e32 v0, vcc_hi, v3
	v_and_b32_e32 v29, exec_lo, v2
	v_lshlrev_b32_e32 v3, 30, v28
	v_mov_b32_e32 v2, v1
	v_cmp_gt_i64_e32 vcc, 0, v[2:3]
	v_not_b32_e32 v2, v3
	v_ashrrev_i32_e32 v2, 31, v2
	v_and_b32_e32 v0, exec_hi, v0
	v_xor_b32_e32 v3, vcc_hi, v2
	v_xor_b32_e32 v2, vcc_lo, v2
	v_and_b32_e32 v0, v0, v3
	v_and_b32_e32 v29, v29, v2
	v_lshlrev_b32_e32 v3, 29, v28
	v_mov_b32_e32 v2, v1
	v_cmp_gt_i64_e32 vcc, 0, v[2:3]
	v_not_b32_e32 v2, v3
	v_ashrrev_i32_e32 v2, 31, v2
	v_xor_b32_e32 v3, vcc_hi, v2
	v_xor_b32_e32 v2, vcc_lo, v2
	v_and_b32_e32 v0, v0, v3
	v_and_b32_e32 v29, v29, v2
	v_lshlrev_b32_e32 v3, 28, v28
	v_mov_b32_e32 v2, v1
	v_cmp_gt_i64_e32 vcc, 0, v[2:3]
	v_not_b32_e32 v2, v3
	v_ashrrev_i32_e32 v2, 31, v2
	;; [unrolled: 9-line block ×6, first 2 shown]
	v_xor_b32_e32 v3, vcc_hi, v2
	v_xor_b32_e32 v2, vcc_lo, v2
	ds_read_b32 v25, v30 offset:64
	v_and_b32_e32 v2, v29, v2
	v_and_b32_e32 v3, v0, v3
	v_mbcnt_lo_u32_b32 v0, v2, 0
	v_mbcnt_hi_u32_b32 v28, v3, v0
	v_cmp_eq_u32_e32 vcc, 0, v28
	v_cmp_ne_u64_e64 s[0:1], 0, v[2:3]
	s_and_b64 s[4:5], s[0:1], vcc
	; wave barrier
	s_and_saveexec_b64 s[0:1], s[4:5]
	s_cbranch_execz .LBB1784_93
; %bb.92:
	v_bcnt_u32_b32 v0, v2, 0
	v_bcnt_u32_b32 v0, v3, v0
	s_waitcnt lgkmcnt(0)
	v_add_u32_e32 v0, v25, v0
	ds_write_b32 v30, v0 offset:64
.LBB1784_93:
	s_or_b64 exec, exec, s[0:1]
	s_waitcnt vmcnt(2)
	v_xor_b32_e32 v20, 0x80000000, v20
	v_lshrrev_b32_e32 v0, s20, v20
	v_and_b32_e32 v31, s14, v0
	v_lshl_add_u32 v0, v31, 4, v31
	v_add_lshl_u32 v33, v24, v0, 2
	v_and_b32_e32 v0, 1, v31
	v_lshl_add_u64 v[2:3], v[0:1], 0, -1
	v_cmp_ne_u32_e32 vcc, 0, v0
	; wave barrier
	s_nop 1
	v_xor_b32_e32 v2, vcc_lo, v2
	v_xor_b32_e32 v0, vcc_hi, v3
	v_and_b32_e32 v32, exec_lo, v2
	v_lshlrev_b32_e32 v3, 30, v31
	v_mov_b32_e32 v2, v1
	v_cmp_gt_i64_e32 vcc, 0, v[2:3]
	v_not_b32_e32 v2, v3
	v_ashrrev_i32_e32 v2, 31, v2
	v_and_b32_e32 v0, exec_hi, v0
	v_xor_b32_e32 v3, vcc_hi, v2
	v_xor_b32_e32 v2, vcc_lo, v2
	v_and_b32_e32 v0, v0, v3
	v_and_b32_e32 v32, v32, v2
	v_lshlrev_b32_e32 v3, 29, v31
	v_mov_b32_e32 v2, v1
	v_cmp_gt_i64_e32 vcc, 0, v[2:3]
	v_not_b32_e32 v2, v3
	v_ashrrev_i32_e32 v2, 31, v2
	v_xor_b32_e32 v3, vcc_hi, v2
	v_xor_b32_e32 v2, vcc_lo, v2
	v_and_b32_e32 v0, v0, v3
	v_and_b32_e32 v32, v32, v2
	v_lshlrev_b32_e32 v3, 28, v31
	v_mov_b32_e32 v2, v1
	v_cmp_gt_i64_e32 vcc, 0, v[2:3]
	v_not_b32_e32 v2, v3
	v_ashrrev_i32_e32 v2, 31, v2
	v_xor_b32_e32 v3, vcc_hi, v2
	v_xor_b32_e32 v2, vcc_lo, v2
	v_and_b32_e32 v0, v0, v3
	v_and_b32_e32 v32, v32, v2
	v_lshlrev_b32_e32 v3, 27, v31
	v_mov_b32_e32 v2, v1
	v_cmp_gt_i64_e32 vcc, 0, v[2:3]
	v_not_b32_e32 v2, v3
	v_ashrrev_i32_e32 v2, 31, v2
	v_xor_b32_e32 v3, vcc_hi, v2
	v_xor_b32_e32 v2, vcc_lo, v2
	v_and_b32_e32 v0, v0, v3
	v_and_b32_e32 v32, v32, v2
	v_lshlrev_b32_e32 v3, 26, v31
	v_mov_b32_e32 v2, v1
	v_cmp_gt_i64_e32 vcc, 0, v[2:3]
	v_not_b32_e32 v2, v3
	v_ashrrev_i32_e32 v2, 31, v2
	v_xor_b32_e32 v3, vcc_hi, v2
	v_xor_b32_e32 v2, vcc_lo, v2
	v_and_b32_e32 v0, v0, v3
	v_and_b32_e32 v32, v32, v2
	v_lshlrev_b32_e32 v3, 25, v31
	v_mov_b32_e32 v2, v1
	v_cmp_gt_i64_e32 vcc, 0, v[2:3]
	v_not_b32_e32 v2, v3
	v_ashrrev_i32_e32 v2, 31, v2
	v_xor_b32_e32 v3, vcc_hi, v2
	v_xor_b32_e32 v2, vcc_lo, v2
	v_and_b32_e32 v0, v0, v3
	v_lshlrev_b32_e32 v3, 24, v31
	v_and_b32_e32 v32, v32, v2
	v_mov_b32_e32 v2, v1
	v_not_b32_e32 v1, v3
	v_cmp_gt_i64_e32 vcc, 0, v[2:3]
	v_ashrrev_i32_e32 v1, 31, v1
	ds_read_b32 v29, v33 offset:64
	v_xor_b32_e32 v2, vcc_hi, v1
	v_xor_b32_e32 v3, vcc_lo, v1
	v_and_b32_e32 v1, v0, v2
	v_and_b32_e32 v0, v32, v3
	v_mbcnt_lo_u32_b32 v2, v0, 0
	v_mbcnt_hi_u32_b32 v31, v1, v2
	v_cmp_eq_u32_e32 vcc, 0, v31
	v_cmp_ne_u64_e64 s[0:1], 0, v[0:1]
	s_and_b64 s[4:5], s[0:1], vcc
	; wave barrier
	s_and_saveexec_b64 s[0:1], s[4:5]
	s_cbranch_execz .LBB1784_95
; %bb.94:
	v_bcnt_u32_b32 v0, v0, 0
	v_bcnt_u32_b32 v0, v1, v0
	s_waitcnt lgkmcnt(0)
	v_add_u32_e32 v0, v29, v0
	ds_write_b32 v33, v0 offset:64
.LBB1784_95:
	s_or_b64 exec, exec, s[0:1]
	s_waitcnt vmcnt(1)
	v_xor_b32_e32 v26, 0x80000000, v26
	v_lshrrev_b32_e32 v0, s20, v26
	v_and_b32_e32 v34, s14, v0
	v_lshl_add_u32 v0, v34, 4, v34
	v_add_lshl_u32 v36, v24, v0, 2
	v_and_b32_e32 v0, 1, v34
	v_mov_b32_e32 v1, 0
	v_lshl_add_u64 v[2:3], v[0:1], 0, -1
	v_cmp_ne_u32_e32 vcc, 0, v0
	; wave barrier
	s_nop 1
	v_xor_b32_e32 v2, vcc_lo, v2
	v_xor_b32_e32 v0, vcc_hi, v3
	v_and_b32_e32 v35, exec_lo, v2
	v_lshlrev_b32_e32 v3, 30, v34
	v_mov_b32_e32 v2, v1
	v_cmp_gt_i64_e32 vcc, 0, v[2:3]
	v_not_b32_e32 v2, v3
	v_ashrrev_i32_e32 v2, 31, v2
	v_and_b32_e32 v0, exec_hi, v0
	v_xor_b32_e32 v3, vcc_hi, v2
	v_xor_b32_e32 v2, vcc_lo, v2
	v_and_b32_e32 v0, v0, v3
	v_and_b32_e32 v35, v35, v2
	v_lshlrev_b32_e32 v3, 29, v34
	v_mov_b32_e32 v2, v1
	v_cmp_gt_i64_e32 vcc, 0, v[2:3]
	v_not_b32_e32 v2, v3
	v_ashrrev_i32_e32 v2, 31, v2
	v_xor_b32_e32 v3, vcc_hi, v2
	v_xor_b32_e32 v2, vcc_lo, v2
	v_and_b32_e32 v0, v0, v3
	v_and_b32_e32 v35, v35, v2
	v_lshlrev_b32_e32 v3, 28, v34
	v_mov_b32_e32 v2, v1
	v_cmp_gt_i64_e32 vcc, 0, v[2:3]
	v_not_b32_e32 v2, v3
	v_ashrrev_i32_e32 v2, 31, v2
	;; [unrolled: 9-line block ×6, first 2 shown]
	v_xor_b32_e32 v3, vcc_hi, v2
	v_xor_b32_e32 v2, vcc_lo, v2
	ds_read_b32 v32, v36 offset:64
	v_and_b32_e32 v2, v35, v2
	v_and_b32_e32 v3, v0, v3
	v_mbcnt_lo_u32_b32 v0, v2, 0
	v_mbcnt_hi_u32_b32 v34, v3, v0
	v_cmp_eq_u32_e32 vcc, 0, v34
	v_cmp_ne_u64_e64 s[0:1], 0, v[2:3]
	s_and_b64 s[4:5], s[0:1], vcc
	; wave barrier
	s_and_saveexec_b64 s[0:1], s[4:5]
	s_cbranch_execz .LBB1784_97
; %bb.96:
	v_bcnt_u32_b32 v0, v2, 0
	v_bcnt_u32_b32 v0, v3, v0
	s_waitcnt lgkmcnt(0)
	v_add_u32_e32 v0, v32, v0
	ds_write_b32 v36, v0 offset:64
.LBB1784_97:
	s_or_b64 exec, exec, s[0:1]
	s_waitcnt vmcnt(0)
	v_xor_b32_e32 v21, 0x80000000, v21
	v_lshrrev_b32_e32 v0, s20, v21
	v_and_b32_e32 v37, s14, v0
	v_lshl_add_u32 v0, v37, 4, v37
	v_add_lshl_u32 v38, v24, v0, 2
	v_and_b32_e32 v0, 1, v37
	v_lshl_add_u64 v[2:3], v[0:1], 0, -1
	v_cmp_ne_u32_e32 vcc, 0, v0
	; wave barrier
	s_nop 1
	v_xor_b32_e32 v2, vcc_lo, v2
	v_xor_b32_e32 v0, vcc_hi, v3
	v_and_b32_e32 v24, exec_lo, v2
	v_lshlrev_b32_e32 v3, 30, v37
	v_mov_b32_e32 v2, v1
	v_cmp_gt_i64_e32 vcc, 0, v[2:3]
	v_not_b32_e32 v2, v3
	v_ashrrev_i32_e32 v2, 31, v2
	v_and_b32_e32 v0, exec_hi, v0
	v_xor_b32_e32 v3, vcc_hi, v2
	v_xor_b32_e32 v2, vcc_lo, v2
	v_and_b32_e32 v0, v0, v3
	v_and_b32_e32 v24, v24, v2
	v_lshlrev_b32_e32 v3, 29, v37
	v_mov_b32_e32 v2, v1
	v_cmp_gt_i64_e32 vcc, 0, v[2:3]
	v_not_b32_e32 v2, v3
	v_ashrrev_i32_e32 v2, 31, v2
	v_xor_b32_e32 v3, vcc_hi, v2
	v_xor_b32_e32 v2, vcc_lo, v2
	v_and_b32_e32 v0, v0, v3
	v_and_b32_e32 v24, v24, v2
	v_lshlrev_b32_e32 v3, 28, v37
	v_mov_b32_e32 v2, v1
	v_cmp_gt_i64_e32 vcc, 0, v[2:3]
	v_not_b32_e32 v2, v3
	v_ashrrev_i32_e32 v2, 31, v2
	;; [unrolled: 9-line block ×5, first 2 shown]
	v_xor_b32_e32 v3, vcc_hi, v2
	v_xor_b32_e32 v2, vcc_lo, v2
	v_and_b32_e32 v0, v0, v3
	v_lshlrev_b32_e32 v3, 24, v37
	v_and_b32_e32 v24, v24, v2
	v_mov_b32_e32 v2, v1
	v_not_b32_e32 v1, v3
	v_cmp_gt_i64_e32 vcc, 0, v[2:3]
	v_ashrrev_i32_e32 v1, 31, v1
	ds_read_b32 v35, v38 offset:64
	v_xor_b32_e32 v2, vcc_hi, v1
	v_xor_b32_e32 v3, vcc_lo, v1
	v_and_b32_e32 v1, v0, v2
	v_and_b32_e32 v0, v24, v3
	v_mbcnt_lo_u32_b32 v2, v0, 0
	v_mbcnt_hi_u32_b32 v37, v1, v2
	v_cmp_eq_u32_e32 vcc, 0, v37
	v_cmp_ne_u64_e64 s[0:1], 0, v[0:1]
	v_add_u32_e32 v39, 64, v5
	s_and_b64 s[4:5], s[0:1], vcc
	; wave barrier
	s_and_saveexec_b64 s[0:1], s[4:5]
	s_cbranch_execz .LBB1784_99
; %bb.98:
	v_bcnt_u32_b32 v0, v0, 0
	v_bcnt_u32_b32 v0, v1, v0
	s_waitcnt lgkmcnt(0)
	v_add_u32_e32 v0, v35, v0
	ds_write_b32 v38, v0 offset:64
.LBB1784_99:
	s_or_b64 exec, exec, s[0:1]
	; wave barrier
	s_waitcnt lgkmcnt(0)
	s_barrier
	ds_read2_b32 v[2:3], v5 offset0:16 offset1:17
	ds_read2_b32 v[0:1], v39 offset0:2 offset1:3
	ds_read_b32 v24, v39 offset:16
	v_cmp_lt_u32_e64 s[8:9], 31, v4
	s_waitcnt lgkmcnt(1)
	v_add3_u32 v40, v3, v2, v0
	s_waitcnt lgkmcnt(0)
	v_add3_u32 v24, v40, v1, v24
	v_and_b32_e32 v40, 15, v4
	v_cmp_eq_u32_e32 vcc, 0, v40
	v_mov_b32_dpp v41, v24 row_shr:1 row_mask:0xf bank_mask:0xf
	v_cmp_lt_u32_e64 s[0:1], 1, v40
	v_cndmask_b32_e64 v41, v41, 0, vcc
	v_add_u32_e32 v24, v41, v24
	v_cmp_lt_u32_e64 s[6:7], 3, v40
	v_cmp_lt_u32_e64 s[4:5], 7, v40
	v_mov_b32_dpp v41, v24 row_shr:2 row_mask:0xf bank_mask:0xf
	v_cndmask_b32_e64 v41, 0, v41, s[0:1]
	v_add_u32_e32 v24, v24, v41
	s_nop 1
	v_mov_b32_dpp v41, v24 row_shr:4 row_mask:0xf bank_mask:0xf
	v_cndmask_b32_e64 v41, 0, v41, s[6:7]
	v_add_u32_e32 v24, v24, v41
	s_nop 1
	v_mov_b32_dpp v41, v24 row_shr:8 row_mask:0xf bank_mask:0xf
	v_cndmask_b32_e64 v40, 0, v41, s[4:5]
	v_add_u32_e32 v24, v24, v40
	v_bfe_i32 v41, v4, 4, 1
	s_nop 0
	v_mov_b32_dpp v40, v24 row_bcast:15 row_mask:0xf bank_mask:0xf
	v_and_b32_e32 v40, v41, v40
	v_add_u32_e32 v24, v24, v40
	v_lshrrev_b32_e32 v41, 6, v10
	s_nop 0
	v_mov_b32_dpp v40, v24 row_bcast:31 row_mask:0xf bank_mask:0xf
	v_cndmask_b32_e64 v40, 0, v40, s[8:9]
	v_add_u32_e32 v40, v24, v40
	v_and_b32_e32 v24, 63, v10
	v_cmp_eq_u32_e64 s[8:9], 63, v24
	s_and_saveexec_b64 s[12:13], s[8:9]
	s_cbranch_execz .LBB1784_101
; %bb.100:
	v_lshlrev_b32_e32 v24, 2, v41
	ds_write_b32 v24, v40
.LBB1784_101:
	s_or_b64 exec, exec, s[12:13]
	v_cmp_gt_u32_e64 s[8:9], 16, v10
	v_lshlrev_b32_e32 v24, 2, v10
	s_waitcnt lgkmcnt(0)
	s_barrier
	s_and_saveexec_b64 s[12:13], s[8:9]
	s_cbranch_execz .LBB1784_103
; %bb.102:
	ds_read_b32 v42, v24
	s_waitcnt lgkmcnt(0)
	s_nop 0
	v_mov_b32_dpp v43, v42 row_shr:1 row_mask:0xf bank_mask:0xf
	v_cndmask_b32_e64 v43, v43, 0, vcc
	v_add_u32_e32 v42, v43, v42
	s_nop 1
	v_mov_b32_dpp v43, v42 row_shr:2 row_mask:0xf bank_mask:0xf
	v_cndmask_b32_e64 v43, 0, v43, s[0:1]
	v_add_u32_e32 v42, v42, v43
	s_nop 1
	v_mov_b32_dpp v43, v42 row_shr:4 row_mask:0xf bank_mask:0xf
	v_cndmask_b32_e64 v43, 0, v43, s[6:7]
	;; [unrolled: 4-line block ×3, first 2 shown]
	v_add_u32_e32 v42, v42, v43
	ds_write_b32 v24, v42
.LBB1784_103:
	s_or_b64 exec, exec, s[12:13]
	v_cmp_lt_u32_e32 vcc, 63, v10
	v_mov_b32_e32 v42, 0
	s_waitcnt lgkmcnt(0)
	s_barrier
	s_and_saveexec_b64 s[0:1], vcc
	s_cbranch_execz .LBB1784_105
; %bb.104:
	v_lshl_add_u32 v41, v41, 2, -4
	ds_read_b32 v42, v41
.LBB1784_105:
	s_or_b64 exec, exec, s[0:1]
	v_add_u32_e32 v41, -1, v4
	v_and_b32_e32 v43, 64, v4
	v_cmp_lt_i32_e32 vcc, v41, v43
	s_waitcnt lgkmcnt(0)
	v_add_u32_e32 v40, v42, v40
	s_movk_i32 s0, 0x100
	v_cndmask_b32_e32 v41, v41, v4, vcc
	v_lshlrev_b32_e32 v41, 2, v41
	ds_bpermute_b32 v40, v41, v40
	v_cmp_eq_u32_e32 vcc, 0, v4
	v_cmp_gt_u32_e64 s[0:1], s0, v10
	s_waitcnt lgkmcnt(0)
	v_cndmask_b32_e32 v4, v40, v42, vcc
	v_cmp_ne_u32_e32 vcc, 0, v10
	s_nop 1
	v_cndmask_b32_e32 v4, 0, v4, vcc
	v_add_u32_e32 v2, v4, v2
	v_add_u32_e32 v3, v2, v3
	;; [unrolled: 1-line block ×4, first 2 shown]
	ds_write2_b32 v5, v4, v2 offset0:16 offset1:17
	ds_write2_b32 v39, v3, v0 offset0:2 offset1:3
	ds_write_b32 v39, v1 offset:16
	s_waitcnt lgkmcnt(0)
	s_barrier
	ds_read_b32 v43, v14 offset:64
	ds_read_b32 v39, v17 offset:64
	ds_read_b32 v40, v22 offset:64
	ds_read_b32 v41, v27 offset:64
	ds_read_b32 v42, v30 offset:64
	ds_read_b32 v30, v33 offset:64
	ds_read_b32 v22, v36 offset:64
	ds_read_b32 v27, v38 offset:64
                                        ; implicit-def: $vgpr14
                                        ; implicit-def: $vgpr17
	s_and_saveexec_b64 s[4:5], s[0:1]
	s_cbranch_execz .LBB1784_109
; %bb.106:
	v_mul_u32_u24_e32 v0, 17, v10
	v_lshlrev_b32_e32 v1, 2, v0
	ds_read_b32 v14, v1 offset:64
	s_movk_i32 s6, 0xff
	v_cmp_ne_u32_e32 vcc, s6, v10
	v_mov_b32_e32 v0, 0x2000
	s_and_saveexec_b64 s[6:7], vcc
	s_cbranch_execz .LBB1784_108
; %bb.107:
	ds_read_b32 v0, v1 offset:132
.LBB1784_108:
	s_or_b64 exec, exec, s[6:7]
	s_waitcnt lgkmcnt(0)
	v_sub_u32_e32 v17, v0, v14
.LBB1784_109:
	s_or_b64 exec, exec, s[4:5]
	s_waitcnt lgkmcnt(0)
	s_barrier
	s_and_saveexec_b64 s[4:5], s[0:1]
	s_cbranch_execz .LBB1784_119
; %bb.110:
	v_lshl_or_b32 v2, s2, 8, v10
	v_mov_b32_e32 v3, 0
	v_lshl_add_u64 v[0:1], v[2:3], 2, s[28:29]
	v_or_b32_e32 v2, 2.0, v17
	s_mov_b64 s[6:7], 0
	s_brev_b32 s15, 1
	s_mov_b32 s21, s2
	v_mov_b32_e32 v33, 0
	global_store_dword v[0:1], v2, off sc1
                                        ; implicit-def: $sgpr8_sgpr9
	s_branch .LBB1784_113
.LBB1784_111:                           ;   in Loop: Header=BB1784_113 Depth=1
	s_or_b64 exec, exec, s[12:13]
.LBB1784_112:                           ;   in Loop: Header=BB1784_113 Depth=1
	s_or_b64 exec, exec, s[8:9]
	v_and_b32_e32 v4, 0x3fffffff, v36
	v_add_u32_e32 v33, v4, v33
	v_cmp_eq_u32_e64 s[8:9], s15, v2
	s_and_b64 s[12:13], exec, s[8:9]
	s_or_b64 s[6:7], s[12:13], s[6:7]
	s_andn2_b64 exec, exec, s[6:7]
	s_cbranch_execz .LBB1784_118
.LBB1784_113:                           ; =>This Loop Header: Depth=1
                                        ;     Child Loop BB1784_116 Depth 2
	s_or_b64 s[8:9], s[8:9], exec
	s_cmp_eq_u32 s21, 0
	s_cbranch_scc1 .LBB1784_117
; %bb.114:                              ;   in Loop: Header=BB1784_113 Depth=1
	s_add_i32 s21, s21, -1
	v_lshl_or_b32 v2, s21, 8, v10
	v_lshl_add_u64 v[4:5], v[2:3], 2, s[28:29]
	global_load_dword v36, v[4:5], off sc1
	s_waitcnt vmcnt(0)
	v_and_b32_e32 v2, -2.0, v36
	v_cmp_eq_u32_e32 vcc, 0, v2
	s_and_saveexec_b64 s[8:9], vcc
	s_cbranch_execz .LBB1784_112
; %bb.115:                              ;   in Loop: Header=BB1784_113 Depth=1
	s_mov_b64 s[12:13], 0
.LBB1784_116:                           ;   Parent Loop BB1784_113 Depth=1
                                        ; =>  This Inner Loop Header: Depth=2
	global_load_dword v36, v[4:5], off sc1
	s_waitcnt vmcnt(0)
	v_and_b32_e32 v2, -2.0, v36
	v_cmp_ne_u32_e32 vcc, 0, v2
	s_or_b64 s[12:13], vcc, s[12:13]
	s_andn2_b64 exec, exec, s[12:13]
	s_cbranch_execnz .LBB1784_116
	s_branch .LBB1784_111
.LBB1784_117:                           ;   in Loop: Header=BB1784_113 Depth=1
                                        ; implicit-def: $sgpr21
	s_and_b64 s[12:13], exec, s[8:9]
	s_or_b64 s[6:7], s[12:13], s[6:7]
	s_andn2_b64 exec, exec, s[6:7]
	s_cbranch_execnz .LBB1784_113
.LBB1784_118:
	s_or_b64 exec, exec, s[6:7]
	v_add_u32_e32 v2, v33, v17
	v_or_b32_e32 v2, 0x80000000, v2
	global_store_dword v[0:1], v2, off sc1
	global_load_dword v0, v24, s[16:17]
	v_sub_u32_e32 v1, v33, v14
	s_waitcnt vmcnt(0)
	v_add_u32_e32 v0, v1, v0
	ds_write_b32 v24, v0
.LBB1784_119:
	s_or_b64 exec, exec, s[4:5]
	v_add_u32_e32 v0, v37, v35
	v_add_u32_e32 v1, v34, v32
	;; [unrolled: 1-line block ×8, first 2 shown]
	s_movk_i32 s8, 0x400
	v_add_u32_e32 v3, 0x400, v24
	v_add_lshl_u32 v4, v0, v27, 2
	v_add3_u32 v5, v37, v27, v35
	v_add_lshl_u32 v9, v1, v22, 2
	v_add3_u32 v22, v34, v22, v32
	;; [unrolled: 2-line block ×7, first 2 shown]
	v_lshlrev_b32_e32 v13, 2, v2
	s_mov_b64 s[4:5], -1
	s_mov_b32 s9, 0
	s_mov_b32 s12, 0
	s_movk_i32 s13, 0x1000
	s_movk_i32 s15, 0x800
	;; [unrolled: 1-line block ×3, first 2 shown]
	v_mov_b32_e32 v1, 0
	v_mov_b32_e32 v31, v10
	s_branch .LBB1784_121
.LBB1784_120:                           ;   in Loop: Header=BB1784_121 Depth=1
	s_or_b64 exec, exec, s[6:7]
	s_waitcnt lgkmcnt(0)
	s_barrier
	ds_read_b32 v0, v24 offset:1024
	ds_read2st64_b32 v[32:33], v3 offset0:16 offset1:32
	s_xor_b64 s[6:7], s[4:5], -1
	s_addk_i32 s9, 0xc000
	s_addk_i32 s12, 0xf000
	s_waitcnt lgkmcnt(1)
	v_lshrrev_b32_e32 v34, s20, v0
	v_and_b32_e32 v34, s14, v34
	v_xor_b32_e32 v36, 0x80000000, v0
	v_lshlrev_b32_e32 v0, 2, v34
	s_waitcnt lgkmcnt(0)
	v_lshrrev_b32_e32 v34, s20, v32
	v_and_b32_e32 v34, s14, v34
	v_lshrrev_b32_e32 v35, s20, v33
	ds_read_b32 v0, v0
	v_lshlrev_b32_e32 v34, 2, v34
	v_and_b32_e32 v35, s14, v35
	v_lshlrev_b32_e32 v35, 2, v35
	ds_read_b32 v37, v34
	ds_read_b32 v38, v35
	ds_read_b32 v39, v3 offset:12288
	s_waitcnt lgkmcnt(3)
	v_add_u32_e32 v0, v31, v0
	v_lshl_add_u64 v[34:35], v[0:1], 2, s[26:27]
	s_waitcnt lgkmcnt(2)
	v_add3_u32 v0, v31, v37, s8
	global_store_dword v[34:35], v36, off
	v_lshl_add_u64 v[34:35], v[0:1], 2, s[26:27]
	s_waitcnt lgkmcnt(0)
	v_lshrrev_b32_e32 v0, s20, v39
	v_and_b32_e32 v0, s14, v0
	v_xor_b32_e32 v32, 0x80000000, v32
	v_lshlrev_b32_e32 v0, 2, v0
	global_store_dword v[34:35], v32, off
	ds_read_b32 v35, v0
	v_add3_u32 v0, v31, v38, s15
	v_xor_b32_e32 v34, 0x80000000, v33
	v_lshl_add_u64 v[32:33], v[0:1], 2, s[26:27]
	global_store_dword v[32:33], v34, off
	s_waitcnt lgkmcnt(0)
	v_add3_u32 v0, v31, v35, s16
	v_xor_b32_e32 v34, 0x80000000, v39
	v_lshl_add_u64 v[32:33], v[0:1], 2, s[26:27]
	v_add_u32_e32 v31, 0x1000, v31
	s_mov_b64 s[4:5], 0
	s_and_b64 vcc, exec, s[6:7]
	global_store_dword v[32:33], v34, off
	s_barrier
	s_cbranch_vccnz .LBB1784_137
.LBB1784_121:                           ; =>This Inner Loop Header: Depth=1
	v_add_u32_e32 v0, s12, v2
	v_cmp_gt_u32_e32 vcc, s13, v0
	s_and_saveexec_b64 s[6:7], vcc
	s_cbranch_execz .LBB1784_123
; %bb.122:                              ;   in Loop: Header=BB1784_121 Depth=1
	v_add_u32_e32 v0, s9, v13
	ds_write_b32 v0, v6 offset:1024
.LBB1784_123:                           ;   in Loop: Header=BB1784_121 Depth=1
	s_or_b64 exec, exec, s[6:7]
	v_add_u32_e32 v0, s12, v11
	v_cmp_gt_u32_e32 vcc, s13, v0
	s_and_saveexec_b64 s[6:7], vcc
	s_cbranch_execz .LBB1784_125
; %bb.124:                              ;   in Loop: Header=BB1784_121 Depth=1
	v_add_u32_e32 v0, s9, v18
	ds_write_b32 v0, v7 offset:1024
.LBB1784_125:                           ;   in Loop: Header=BB1784_121 Depth=1
	s_or_b64 exec, exec, s[6:7]
	;; [unrolled: 9-line block ×7, first 2 shown]
	v_add_u32_e32 v0, s12, v5
	v_cmp_gt_u32_e32 vcc, s13, v0
	s_and_saveexec_b64 s[6:7], vcc
	s_cbranch_execz .LBB1784_120
; %bb.136:                              ;   in Loop: Header=BB1784_121 Depth=1
	v_add_u32_e32 v0, s9, v4
	ds_write_b32 v0, v21 offset:1024
	s_branch .LBB1784_120
.LBB1784_137:
	s_add_i32 s3, s3, -1
	s_cmp_eq_u32 s3, s2
	s_cselect_b64 s[2:3], -1, 0
	s_and_b64 s[2:3], s[0:1], s[2:3]
                                        ; implicit-def: $vgpr2
	s_and_saveexec_b64 s[0:1], s[2:3]
; %bb.138:
	v_add_u32_e32 v2, v14, v17
	s_or_b64 s[10:11], s[10:11], exec
; %bb.139:
	s_or_b64 exec, exec, s[0:1]
.LBB1784_140:
	s_and_saveexec_b64 s[0:1], s[10:11]
	s_cbranch_execnz .LBB1784_142
; %bb.141:
	s_endpgm
.LBB1784_142:
	v_lshlrev_b32_e32 v0, 2, v10
	ds_read_b32 v3, v0
	v_mov_b32_e32 v0, s18
	v_mov_b32_e32 v1, s19
	;; [unrolled: 1-line block ×3, first 2 shown]
	v_lshl_add_u64 v[0:1], v[10:11], 2, v[0:1]
	s_waitcnt lgkmcnt(0)
	v_add_u32_e32 v2, v3, v2
	global_store_dword v[0:1], v2, off
	s_endpgm
	.section	.rodata,"a",@progbits
	.p2align	6, 0x0
	.amdhsa_kernel _ZN7rocprim17ROCPRIM_400000_NS6detail17trampoline_kernelINS0_14default_configENS1_35radix_sort_onesweep_config_selectorIiNS0_10empty_typeEEEZZNS1_29radix_sort_onesweep_iterationIS3_Lb0EN6thrust23THRUST_200600_302600_NS6detail15normal_iteratorINS9_10device_ptrIiEEEESE_PS5_SF_jNS0_19identity_decomposerENS1_16block_id_wrapperIjLb0EEEEE10hipError_tT1_PNSt15iterator_traitsISK_E10value_typeET2_T3_PNSL_ISQ_E10value_typeET4_T5_PSV_SW_PNS1_23onesweep_lookback_stateEbbT6_jjT7_P12ihipStream_tbENKUlT_T0_SK_SP_E_clISE_PiSF_SF_EEDaS13_S14_SK_SP_EUlS13_E_NS1_11comp_targetILNS1_3genE5ELNS1_11target_archE942ELNS1_3gpuE9ELNS1_3repE0EEENS1_47radix_sort_onesweep_sort_config_static_selectorELNS0_4arch9wavefront6targetE1EEEvSK_
		.amdhsa_group_segment_fixed_size 20552
		.amdhsa_private_segment_fixed_size 0
		.amdhsa_kernarg_size 344
		.amdhsa_user_sgpr_count 2
		.amdhsa_user_sgpr_dispatch_ptr 0
		.amdhsa_user_sgpr_queue_ptr 0
		.amdhsa_user_sgpr_kernarg_segment_ptr 1
		.amdhsa_user_sgpr_dispatch_id 0
		.amdhsa_user_sgpr_kernarg_preload_length 0
		.amdhsa_user_sgpr_kernarg_preload_offset 0
		.amdhsa_user_sgpr_private_segment_size 0
		.amdhsa_uses_dynamic_stack 0
		.amdhsa_enable_private_segment 0
		.amdhsa_system_sgpr_workgroup_id_x 1
		.amdhsa_system_sgpr_workgroup_id_y 0
		.amdhsa_system_sgpr_workgroup_id_z 0
		.amdhsa_system_sgpr_workgroup_info 0
		.amdhsa_system_vgpr_workitem_id 2
		.amdhsa_next_free_vgpr 46
		.amdhsa_next_free_sgpr 30
		.amdhsa_accum_offset 48
		.amdhsa_reserve_vcc 1
		.amdhsa_float_round_mode_32 0
		.amdhsa_float_round_mode_16_64 0
		.amdhsa_float_denorm_mode_32 3
		.amdhsa_float_denorm_mode_16_64 3
		.amdhsa_dx10_clamp 1
		.amdhsa_ieee_mode 1
		.amdhsa_fp16_overflow 0
		.amdhsa_tg_split 0
		.amdhsa_exception_fp_ieee_invalid_op 0
		.amdhsa_exception_fp_denorm_src 0
		.amdhsa_exception_fp_ieee_div_zero 0
		.amdhsa_exception_fp_ieee_overflow 0
		.amdhsa_exception_fp_ieee_underflow 0
		.amdhsa_exception_fp_ieee_inexact 0
		.amdhsa_exception_int_div_zero 0
	.end_amdhsa_kernel
	.section	.text._ZN7rocprim17ROCPRIM_400000_NS6detail17trampoline_kernelINS0_14default_configENS1_35radix_sort_onesweep_config_selectorIiNS0_10empty_typeEEEZZNS1_29radix_sort_onesweep_iterationIS3_Lb0EN6thrust23THRUST_200600_302600_NS6detail15normal_iteratorINS9_10device_ptrIiEEEESE_PS5_SF_jNS0_19identity_decomposerENS1_16block_id_wrapperIjLb0EEEEE10hipError_tT1_PNSt15iterator_traitsISK_E10value_typeET2_T3_PNSL_ISQ_E10value_typeET4_T5_PSV_SW_PNS1_23onesweep_lookback_stateEbbT6_jjT7_P12ihipStream_tbENKUlT_T0_SK_SP_E_clISE_PiSF_SF_EEDaS13_S14_SK_SP_EUlS13_E_NS1_11comp_targetILNS1_3genE5ELNS1_11target_archE942ELNS1_3gpuE9ELNS1_3repE0EEENS1_47radix_sort_onesweep_sort_config_static_selectorELNS0_4arch9wavefront6targetE1EEEvSK_,"axG",@progbits,_ZN7rocprim17ROCPRIM_400000_NS6detail17trampoline_kernelINS0_14default_configENS1_35radix_sort_onesweep_config_selectorIiNS0_10empty_typeEEEZZNS1_29radix_sort_onesweep_iterationIS3_Lb0EN6thrust23THRUST_200600_302600_NS6detail15normal_iteratorINS9_10device_ptrIiEEEESE_PS5_SF_jNS0_19identity_decomposerENS1_16block_id_wrapperIjLb0EEEEE10hipError_tT1_PNSt15iterator_traitsISK_E10value_typeET2_T3_PNSL_ISQ_E10value_typeET4_T5_PSV_SW_PNS1_23onesweep_lookback_stateEbbT6_jjT7_P12ihipStream_tbENKUlT_T0_SK_SP_E_clISE_PiSF_SF_EEDaS13_S14_SK_SP_EUlS13_E_NS1_11comp_targetILNS1_3genE5ELNS1_11target_archE942ELNS1_3gpuE9ELNS1_3repE0EEENS1_47radix_sort_onesweep_sort_config_static_selectorELNS0_4arch9wavefront6targetE1EEEvSK_,comdat
.Lfunc_end1784:
	.size	_ZN7rocprim17ROCPRIM_400000_NS6detail17trampoline_kernelINS0_14default_configENS1_35radix_sort_onesweep_config_selectorIiNS0_10empty_typeEEEZZNS1_29radix_sort_onesweep_iterationIS3_Lb0EN6thrust23THRUST_200600_302600_NS6detail15normal_iteratorINS9_10device_ptrIiEEEESE_PS5_SF_jNS0_19identity_decomposerENS1_16block_id_wrapperIjLb0EEEEE10hipError_tT1_PNSt15iterator_traitsISK_E10value_typeET2_T3_PNSL_ISQ_E10value_typeET4_T5_PSV_SW_PNS1_23onesweep_lookback_stateEbbT6_jjT7_P12ihipStream_tbENKUlT_T0_SK_SP_E_clISE_PiSF_SF_EEDaS13_S14_SK_SP_EUlS13_E_NS1_11comp_targetILNS1_3genE5ELNS1_11target_archE942ELNS1_3gpuE9ELNS1_3repE0EEENS1_47radix_sort_onesweep_sort_config_static_selectorELNS0_4arch9wavefront6targetE1EEEvSK_, .Lfunc_end1784-_ZN7rocprim17ROCPRIM_400000_NS6detail17trampoline_kernelINS0_14default_configENS1_35radix_sort_onesweep_config_selectorIiNS0_10empty_typeEEEZZNS1_29radix_sort_onesweep_iterationIS3_Lb0EN6thrust23THRUST_200600_302600_NS6detail15normal_iteratorINS9_10device_ptrIiEEEESE_PS5_SF_jNS0_19identity_decomposerENS1_16block_id_wrapperIjLb0EEEEE10hipError_tT1_PNSt15iterator_traitsISK_E10value_typeET2_T3_PNSL_ISQ_E10value_typeET4_T5_PSV_SW_PNS1_23onesweep_lookback_stateEbbT6_jjT7_P12ihipStream_tbENKUlT_T0_SK_SP_E_clISE_PiSF_SF_EEDaS13_S14_SK_SP_EUlS13_E_NS1_11comp_targetILNS1_3genE5ELNS1_11target_archE942ELNS1_3gpuE9ELNS1_3repE0EEENS1_47radix_sort_onesweep_sort_config_static_selectorELNS0_4arch9wavefront6targetE1EEEvSK_
                                        ; -- End function
	.section	.AMDGPU.csdata,"",@progbits
; Kernel info:
; codeLenInByte = 11324
; NumSgprs: 36
; NumVgprs: 46
; NumAgprs: 0
; TotalNumVgprs: 46
; ScratchSize: 0
; MemoryBound: 0
; FloatMode: 240
; IeeeMode: 1
; LDSByteSize: 20552 bytes/workgroup (compile time only)
; SGPRBlocks: 4
; VGPRBlocks: 5
; NumSGPRsForWavesPerEU: 36
; NumVGPRsForWavesPerEU: 46
; AccumOffset: 48
; Occupancy: 8
; WaveLimiterHint : 1
; COMPUTE_PGM_RSRC2:SCRATCH_EN: 0
; COMPUTE_PGM_RSRC2:USER_SGPR: 2
; COMPUTE_PGM_RSRC2:TRAP_HANDLER: 0
; COMPUTE_PGM_RSRC2:TGID_X_EN: 1
; COMPUTE_PGM_RSRC2:TGID_Y_EN: 0
; COMPUTE_PGM_RSRC2:TGID_Z_EN: 0
; COMPUTE_PGM_RSRC2:TIDIG_COMP_CNT: 2
; COMPUTE_PGM_RSRC3_GFX90A:ACCUM_OFFSET: 11
; COMPUTE_PGM_RSRC3_GFX90A:TG_SPLIT: 0
	.section	.text._ZN7rocprim17ROCPRIM_400000_NS6detail17trampoline_kernelINS0_14default_configENS1_35radix_sort_onesweep_config_selectorIiNS0_10empty_typeEEEZZNS1_29radix_sort_onesweep_iterationIS3_Lb0EN6thrust23THRUST_200600_302600_NS6detail15normal_iteratorINS9_10device_ptrIiEEEESE_PS5_SF_jNS0_19identity_decomposerENS1_16block_id_wrapperIjLb0EEEEE10hipError_tT1_PNSt15iterator_traitsISK_E10value_typeET2_T3_PNSL_ISQ_E10value_typeET4_T5_PSV_SW_PNS1_23onesweep_lookback_stateEbbT6_jjT7_P12ihipStream_tbENKUlT_T0_SK_SP_E_clISE_PiSF_SF_EEDaS13_S14_SK_SP_EUlS13_E_NS1_11comp_targetILNS1_3genE2ELNS1_11target_archE906ELNS1_3gpuE6ELNS1_3repE0EEENS1_47radix_sort_onesweep_sort_config_static_selectorELNS0_4arch9wavefront6targetE1EEEvSK_,"axG",@progbits,_ZN7rocprim17ROCPRIM_400000_NS6detail17trampoline_kernelINS0_14default_configENS1_35radix_sort_onesweep_config_selectorIiNS0_10empty_typeEEEZZNS1_29radix_sort_onesweep_iterationIS3_Lb0EN6thrust23THRUST_200600_302600_NS6detail15normal_iteratorINS9_10device_ptrIiEEEESE_PS5_SF_jNS0_19identity_decomposerENS1_16block_id_wrapperIjLb0EEEEE10hipError_tT1_PNSt15iterator_traitsISK_E10value_typeET2_T3_PNSL_ISQ_E10value_typeET4_T5_PSV_SW_PNS1_23onesweep_lookback_stateEbbT6_jjT7_P12ihipStream_tbENKUlT_T0_SK_SP_E_clISE_PiSF_SF_EEDaS13_S14_SK_SP_EUlS13_E_NS1_11comp_targetILNS1_3genE2ELNS1_11target_archE906ELNS1_3gpuE6ELNS1_3repE0EEENS1_47radix_sort_onesweep_sort_config_static_selectorELNS0_4arch9wavefront6targetE1EEEvSK_,comdat
	.protected	_ZN7rocprim17ROCPRIM_400000_NS6detail17trampoline_kernelINS0_14default_configENS1_35radix_sort_onesweep_config_selectorIiNS0_10empty_typeEEEZZNS1_29radix_sort_onesweep_iterationIS3_Lb0EN6thrust23THRUST_200600_302600_NS6detail15normal_iteratorINS9_10device_ptrIiEEEESE_PS5_SF_jNS0_19identity_decomposerENS1_16block_id_wrapperIjLb0EEEEE10hipError_tT1_PNSt15iterator_traitsISK_E10value_typeET2_T3_PNSL_ISQ_E10value_typeET4_T5_PSV_SW_PNS1_23onesweep_lookback_stateEbbT6_jjT7_P12ihipStream_tbENKUlT_T0_SK_SP_E_clISE_PiSF_SF_EEDaS13_S14_SK_SP_EUlS13_E_NS1_11comp_targetILNS1_3genE2ELNS1_11target_archE906ELNS1_3gpuE6ELNS1_3repE0EEENS1_47radix_sort_onesweep_sort_config_static_selectorELNS0_4arch9wavefront6targetE1EEEvSK_ ; -- Begin function _ZN7rocprim17ROCPRIM_400000_NS6detail17trampoline_kernelINS0_14default_configENS1_35radix_sort_onesweep_config_selectorIiNS0_10empty_typeEEEZZNS1_29radix_sort_onesweep_iterationIS3_Lb0EN6thrust23THRUST_200600_302600_NS6detail15normal_iteratorINS9_10device_ptrIiEEEESE_PS5_SF_jNS0_19identity_decomposerENS1_16block_id_wrapperIjLb0EEEEE10hipError_tT1_PNSt15iterator_traitsISK_E10value_typeET2_T3_PNSL_ISQ_E10value_typeET4_T5_PSV_SW_PNS1_23onesweep_lookback_stateEbbT6_jjT7_P12ihipStream_tbENKUlT_T0_SK_SP_E_clISE_PiSF_SF_EEDaS13_S14_SK_SP_EUlS13_E_NS1_11comp_targetILNS1_3genE2ELNS1_11target_archE906ELNS1_3gpuE6ELNS1_3repE0EEENS1_47radix_sort_onesweep_sort_config_static_selectorELNS0_4arch9wavefront6targetE1EEEvSK_
	.globl	_ZN7rocprim17ROCPRIM_400000_NS6detail17trampoline_kernelINS0_14default_configENS1_35radix_sort_onesweep_config_selectorIiNS0_10empty_typeEEEZZNS1_29radix_sort_onesweep_iterationIS3_Lb0EN6thrust23THRUST_200600_302600_NS6detail15normal_iteratorINS9_10device_ptrIiEEEESE_PS5_SF_jNS0_19identity_decomposerENS1_16block_id_wrapperIjLb0EEEEE10hipError_tT1_PNSt15iterator_traitsISK_E10value_typeET2_T3_PNSL_ISQ_E10value_typeET4_T5_PSV_SW_PNS1_23onesweep_lookback_stateEbbT6_jjT7_P12ihipStream_tbENKUlT_T0_SK_SP_E_clISE_PiSF_SF_EEDaS13_S14_SK_SP_EUlS13_E_NS1_11comp_targetILNS1_3genE2ELNS1_11target_archE906ELNS1_3gpuE6ELNS1_3repE0EEENS1_47radix_sort_onesweep_sort_config_static_selectorELNS0_4arch9wavefront6targetE1EEEvSK_
	.p2align	8
	.type	_ZN7rocprim17ROCPRIM_400000_NS6detail17trampoline_kernelINS0_14default_configENS1_35radix_sort_onesweep_config_selectorIiNS0_10empty_typeEEEZZNS1_29radix_sort_onesweep_iterationIS3_Lb0EN6thrust23THRUST_200600_302600_NS6detail15normal_iteratorINS9_10device_ptrIiEEEESE_PS5_SF_jNS0_19identity_decomposerENS1_16block_id_wrapperIjLb0EEEEE10hipError_tT1_PNSt15iterator_traitsISK_E10value_typeET2_T3_PNSL_ISQ_E10value_typeET4_T5_PSV_SW_PNS1_23onesweep_lookback_stateEbbT6_jjT7_P12ihipStream_tbENKUlT_T0_SK_SP_E_clISE_PiSF_SF_EEDaS13_S14_SK_SP_EUlS13_E_NS1_11comp_targetILNS1_3genE2ELNS1_11target_archE906ELNS1_3gpuE6ELNS1_3repE0EEENS1_47radix_sort_onesweep_sort_config_static_selectorELNS0_4arch9wavefront6targetE1EEEvSK_,@function
_ZN7rocprim17ROCPRIM_400000_NS6detail17trampoline_kernelINS0_14default_configENS1_35radix_sort_onesweep_config_selectorIiNS0_10empty_typeEEEZZNS1_29radix_sort_onesweep_iterationIS3_Lb0EN6thrust23THRUST_200600_302600_NS6detail15normal_iteratorINS9_10device_ptrIiEEEESE_PS5_SF_jNS0_19identity_decomposerENS1_16block_id_wrapperIjLb0EEEEE10hipError_tT1_PNSt15iterator_traitsISK_E10value_typeET2_T3_PNSL_ISQ_E10value_typeET4_T5_PSV_SW_PNS1_23onesweep_lookback_stateEbbT6_jjT7_P12ihipStream_tbENKUlT_T0_SK_SP_E_clISE_PiSF_SF_EEDaS13_S14_SK_SP_EUlS13_E_NS1_11comp_targetILNS1_3genE2ELNS1_11target_archE906ELNS1_3gpuE6ELNS1_3repE0EEENS1_47radix_sort_onesweep_sort_config_static_selectorELNS0_4arch9wavefront6targetE1EEEvSK_: ; @_ZN7rocprim17ROCPRIM_400000_NS6detail17trampoline_kernelINS0_14default_configENS1_35radix_sort_onesweep_config_selectorIiNS0_10empty_typeEEEZZNS1_29radix_sort_onesweep_iterationIS3_Lb0EN6thrust23THRUST_200600_302600_NS6detail15normal_iteratorINS9_10device_ptrIiEEEESE_PS5_SF_jNS0_19identity_decomposerENS1_16block_id_wrapperIjLb0EEEEE10hipError_tT1_PNSt15iterator_traitsISK_E10value_typeET2_T3_PNSL_ISQ_E10value_typeET4_T5_PSV_SW_PNS1_23onesweep_lookback_stateEbbT6_jjT7_P12ihipStream_tbENKUlT_T0_SK_SP_E_clISE_PiSF_SF_EEDaS13_S14_SK_SP_EUlS13_E_NS1_11comp_targetILNS1_3genE2ELNS1_11target_archE906ELNS1_3gpuE6ELNS1_3repE0EEENS1_47radix_sort_onesweep_sort_config_static_selectorELNS0_4arch9wavefront6targetE1EEEvSK_
; %bb.0:
	.section	.rodata,"a",@progbits
	.p2align	6, 0x0
	.amdhsa_kernel _ZN7rocprim17ROCPRIM_400000_NS6detail17trampoline_kernelINS0_14default_configENS1_35radix_sort_onesweep_config_selectorIiNS0_10empty_typeEEEZZNS1_29radix_sort_onesweep_iterationIS3_Lb0EN6thrust23THRUST_200600_302600_NS6detail15normal_iteratorINS9_10device_ptrIiEEEESE_PS5_SF_jNS0_19identity_decomposerENS1_16block_id_wrapperIjLb0EEEEE10hipError_tT1_PNSt15iterator_traitsISK_E10value_typeET2_T3_PNSL_ISQ_E10value_typeET4_T5_PSV_SW_PNS1_23onesweep_lookback_stateEbbT6_jjT7_P12ihipStream_tbENKUlT_T0_SK_SP_E_clISE_PiSF_SF_EEDaS13_S14_SK_SP_EUlS13_E_NS1_11comp_targetILNS1_3genE2ELNS1_11target_archE906ELNS1_3gpuE6ELNS1_3repE0EEENS1_47radix_sort_onesweep_sort_config_static_selectorELNS0_4arch9wavefront6targetE1EEEvSK_
		.amdhsa_group_segment_fixed_size 0
		.amdhsa_private_segment_fixed_size 0
		.amdhsa_kernarg_size 88
		.amdhsa_user_sgpr_count 2
		.amdhsa_user_sgpr_dispatch_ptr 0
		.amdhsa_user_sgpr_queue_ptr 0
		.amdhsa_user_sgpr_kernarg_segment_ptr 1
		.amdhsa_user_sgpr_dispatch_id 0
		.amdhsa_user_sgpr_kernarg_preload_length 0
		.amdhsa_user_sgpr_kernarg_preload_offset 0
		.amdhsa_user_sgpr_private_segment_size 0
		.amdhsa_uses_dynamic_stack 0
		.amdhsa_enable_private_segment 0
		.amdhsa_system_sgpr_workgroup_id_x 1
		.amdhsa_system_sgpr_workgroup_id_y 0
		.amdhsa_system_sgpr_workgroup_id_z 0
		.amdhsa_system_sgpr_workgroup_info 0
		.amdhsa_system_vgpr_workitem_id 0
		.amdhsa_next_free_vgpr 1
		.amdhsa_next_free_sgpr 0
		.amdhsa_accum_offset 4
		.amdhsa_reserve_vcc 0
		.amdhsa_float_round_mode_32 0
		.amdhsa_float_round_mode_16_64 0
		.amdhsa_float_denorm_mode_32 3
		.amdhsa_float_denorm_mode_16_64 3
		.amdhsa_dx10_clamp 1
		.amdhsa_ieee_mode 1
		.amdhsa_fp16_overflow 0
		.amdhsa_tg_split 0
		.amdhsa_exception_fp_ieee_invalid_op 0
		.amdhsa_exception_fp_denorm_src 0
		.amdhsa_exception_fp_ieee_div_zero 0
		.amdhsa_exception_fp_ieee_overflow 0
		.amdhsa_exception_fp_ieee_underflow 0
		.amdhsa_exception_fp_ieee_inexact 0
		.amdhsa_exception_int_div_zero 0
	.end_amdhsa_kernel
	.section	.text._ZN7rocprim17ROCPRIM_400000_NS6detail17trampoline_kernelINS0_14default_configENS1_35radix_sort_onesweep_config_selectorIiNS0_10empty_typeEEEZZNS1_29radix_sort_onesweep_iterationIS3_Lb0EN6thrust23THRUST_200600_302600_NS6detail15normal_iteratorINS9_10device_ptrIiEEEESE_PS5_SF_jNS0_19identity_decomposerENS1_16block_id_wrapperIjLb0EEEEE10hipError_tT1_PNSt15iterator_traitsISK_E10value_typeET2_T3_PNSL_ISQ_E10value_typeET4_T5_PSV_SW_PNS1_23onesweep_lookback_stateEbbT6_jjT7_P12ihipStream_tbENKUlT_T0_SK_SP_E_clISE_PiSF_SF_EEDaS13_S14_SK_SP_EUlS13_E_NS1_11comp_targetILNS1_3genE2ELNS1_11target_archE906ELNS1_3gpuE6ELNS1_3repE0EEENS1_47radix_sort_onesweep_sort_config_static_selectorELNS0_4arch9wavefront6targetE1EEEvSK_,"axG",@progbits,_ZN7rocprim17ROCPRIM_400000_NS6detail17trampoline_kernelINS0_14default_configENS1_35radix_sort_onesweep_config_selectorIiNS0_10empty_typeEEEZZNS1_29radix_sort_onesweep_iterationIS3_Lb0EN6thrust23THRUST_200600_302600_NS6detail15normal_iteratorINS9_10device_ptrIiEEEESE_PS5_SF_jNS0_19identity_decomposerENS1_16block_id_wrapperIjLb0EEEEE10hipError_tT1_PNSt15iterator_traitsISK_E10value_typeET2_T3_PNSL_ISQ_E10value_typeET4_T5_PSV_SW_PNS1_23onesweep_lookback_stateEbbT6_jjT7_P12ihipStream_tbENKUlT_T0_SK_SP_E_clISE_PiSF_SF_EEDaS13_S14_SK_SP_EUlS13_E_NS1_11comp_targetILNS1_3genE2ELNS1_11target_archE906ELNS1_3gpuE6ELNS1_3repE0EEENS1_47radix_sort_onesweep_sort_config_static_selectorELNS0_4arch9wavefront6targetE1EEEvSK_,comdat
.Lfunc_end1785:
	.size	_ZN7rocprim17ROCPRIM_400000_NS6detail17trampoline_kernelINS0_14default_configENS1_35radix_sort_onesweep_config_selectorIiNS0_10empty_typeEEEZZNS1_29radix_sort_onesweep_iterationIS3_Lb0EN6thrust23THRUST_200600_302600_NS6detail15normal_iteratorINS9_10device_ptrIiEEEESE_PS5_SF_jNS0_19identity_decomposerENS1_16block_id_wrapperIjLb0EEEEE10hipError_tT1_PNSt15iterator_traitsISK_E10value_typeET2_T3_PNSL_ISQ_E10value_typeET4_T5_PSV_SW_PNS1_23onesweep_lookback_stateEbbT6_jjT7_P12ihipStream_tbENKUlT_T0_SK_SP_E_clISE_PiSF_SF_EEDaS13_S14_SK_SP_EUlS13_E_NS1_11comp_targetILNS1_3genE2ELNS1_11target_archE906ELNS1_3gpuE6ELNS1_3repE0EEENS1_47radix_sort_onesweep_sort_config_static_selectorELNS0_4arch9wavefront6targetE1EEEvSK_, .Lfunc_end1785-_ZN7rocprim17ROCPRIM_400000_NS6detail17trampoline_kernelINS0_14default_configENS1_35radix_sort_onesweep_config_selectorIiNS0_10empty_typeEEEZZNS1_29radix_sort_onesweep_iterationIS3_Lb0EN6thrust23THRUST_200600_302600_NS6detail15normal_iteratorINS9_10device_ptrIiEEEESE_PS5_SF_jNS0_19identity_decomposerENS1_16block_id_wrapperIjLb0EEEEE10hipError_tT1_PNSt15iterator_traitsISK_E10value_typeET2_T3_PNSL_ISQ_E10value_typeET4_T5_PSV_SW_PNS1_23onesweep_lookback_stateEbbT6_jjT7_P12ihipStream_tbENKUlT_T0_SK_SP_E_clISE_PiSF_SF_EEDaS13_S14_SK_SP_EUlS13_E_NS1_11comp_targetILNS1_3genE2ELNS1_11target_archE906ELNS1_3gpuE6ELNS1_3repE0EEENS1_47radix_sort_onesweep_sort_config_static_selectorELNS0_4arch9wavefront6targetE1EEEvSK_
                                        ; -- End function
	.section	.AMDGPU.csdata,"",@progbits
; Kernel info:
; codeLenInByte = 0
; NumSgprs: 6
; NumVgprs: 0
; NumAgprs: 0
; TotalNumVgprs: 0
; ScratchSize: 0
; MemoryBound: 0
; FloatMode: 240
; IeeeMode: 1
; LDSByteSize: 0 bytes/workgroup (compile time only)
; SGPRBlocks: 0
; VGPRBlocks: 0
; NumSGPRsForWavesPerEU: 6
; NumVGPRsForWavesPerEU: 1
; AccumOffset: 4
; Occupancy: 8
; WaveLimiterHint : 0
; COMPUTE_PGM_RSRC2:SCRATCH_EN: 0
; COMPUTE_PGM_RSRC2:USER_SGPR: 2
; COMPUTE_PGM_RSRC2:TRAP_HANDLER: 0
; COMPUTE_PGM_RSRC2:TGID_X_EN: 1
; COMPUTE_PGM_RSRC2:TGID_Y_EN: 0
; COMPUTE_PGM_RSRC2:TGID_Z_EN: 0
; COMPUTE_PGM_RSRC2:TIDIG_COMP_CNT: 0
; COMPUTE_PGM_RSRC3_GFX90A:ACCUM_OFFSET: 0
; COMPUTE_PGM_RSRC3_GFX90A:TG_SPLIT: 0
	.section	.text._ZN7rocprim17ROCPRIM_400000_NS6detail17trampoline_kernelINS0_14default_configENS1_35radix_sort_onesweep_config_selectorIiNS0_10empty_typeEEEZZNS1_29radix_sort_onesweep_iterationIS3_Lb0EN6thrust23THRUST_200600_302600_NS6detail15normal_iteratorINS9_10device_ptrIiEEEESE_PS5_SF_jNS0_19identity_decomposerENS1_16block_id_wrapperIjLb0EEEEE10hipError_tT1_PNSt15iterator_traitsISK_E10value_typeET2_T3_PNSL_ISQ_E10value_typeET4_T5_PSV_SW_PNS1_23onesweep_lookback_stateEbbT6_jjT7_P12ihipStream_tbENKUlT_T0_SK_SP_E_clISE_PiSF_SF_EEDaS13_S14_SK_SP_EUlS13_E_NS1_11comp_targetILNS1_3genE4ELNS1_11target_archE910ELNS1_3gpuE8ELNS1_3repE0EEENS1_47radix_sort_onesweep_sort_config_static_selectorELNS0_4arch9wavefront6targetE1EEEvSK_,"axG",@progbits,_ZN7rocprim17ROCPRIM_400000_NS6detail17trampoline_kernelINS0_14default_configENS1_35radix_sort_onesweep_config_selectorIiNS0_10empty_typeEEEZZNS1_29radix_sort_onesweep_iterationIS3_Lb0EN6thrust23THRUST_200600_302600_NS6detail15normal_iteratorINS9_10device_ptrIiEEEESE_PS5_SF_jNS0_19identity_decomposerENS1_16block_id_wrapperIjLb0EEEEE10hipError_tT1_PNSt15iterator_traitsISK_E10value_typeET2_T3_PNSL_ISQ_E10value_typeET4_T5_PSV_SW_PNS1_23onesweep_lookback_stateEbbT6_jjT7_P12ihipStream_tbENKUlT_T0_SK_SP_E_clISE_PiSF_SF_EEDaS13_S14_SK_SP_EUlS13_E_NS1_11comp_targetILNS1_3genE4ELNS1_11target_archE910ELNS1_3gpuE8ELNS1_3repE0EEENS1_47radix_sort_onesweep_sort_config_static_selectorELNS0_4arch9wavefront6targetE1EEEvSK_,comdat
	.protected	_ZN7rocprim17ROCPRIM_400000_NS6detail17trampoline_kernelINS0_14default_configENS1_35radix_sort_onesweep_config_selectorIiNS0_10empty_typeEEEZZNS1_29radix_sort_onesweep_iterationIS3_Lb0EN6thrust23THRUST_200600_302600_NS6detail15normal_iteratorINS9_10device_ptrIiEEEESE_PS5_SF_jNS0_19identity_decomposerENS1_16block_id_wrapperIjLb0EEEEE10hipError_tT1_PNSt15iterator_traitsISK_E10value_typeET2_T3_PNSL_ISQ_E10value_typeET4_T5_PSV_SW_PNS1_23onesweep_lookback_stateEbbT6_jjT7_P12ihipStream_tbENKUlT_T0_SK_SP_E_clISE_PiSF_SF_EEDaS13_S14_SK_SP_EUlS13_E_NS1_11comp_targetILNS1_3genE4ELNS1_11target_archE910ELNS1_3gpuE8ELNS1_3repE0EEENS1_47radix_sort_onesweep_sort_config_static_selectorELNS0_4arch9wavefront6targetE1EEEvSK_ ; -- Begin function _ZN7rocprim17ROCPRIM_400000_NS6detail17trampoline_kernelINS0_14default_configENS1_35radix_sort_onesweep_config_selectorIiNS0_10empty_typeEEEZZNS1_29radix_sort_onesweep_iterationIS3_Lb0EN6thrust23THRUST_200600_302600_NS6detail15normal_iteratorINS9_10device_ptrIiEEEESE_PS5_SF_jNS0_19identity_decomposerENS1_16block_id_wrapperIjLb0EEEEE10hipError_tT1_PNSt15iterator_traitsISK_E10value_typeET2_T3_PNSL_ISQ_E10value_typeET4_T5_PSV_SW_PNS1_23onesweep_lookback_stateEbbT6_jjT7_P12ihipStream_tbENKUlT_T0_SK_SP_E_clISE_PiSF_SF_EEDaS13_S14_SK_SP_EUlS13_E_NS1_11comp_targetILNS1_3genE4ELNS1_11target_archE910ELNS1_3gpuE8ELNS1_3repE0EEENS1_47radix_sort_onesweep_sort_config_static_selectorELNS0_4arch9wavefront6targetE1EEEvSK_
	.globl	_ZN7rocprim17ROCPRIM_400000_NS6detail17trampoline_kernelINS0_14default_configENS1_35radix_sort_onesweep_config_selectorIiNS0_10empty_typeEEEZZNS1_29radix_sort_onesweep_iterationIS3_Lb0EN6thrust23THRUST_200600_302600_NS6detail15normal_iteratorINS9_10device_ptrIiEEEESE_PS5_SF_jNS0_19identity_decomposerENS1_16block_id_wrapperIjLb0EEEEE10hipError_tT1_PNSt15iterator_traitsISK_E10value_typeET2_T3_PNSL_ISQ_E10value_typeET4_T5_PSV_SW_PNS1_23onesweep_lookback_stateEbbT6_jjT7_P12ihipStream_tbENKUlT_T0_SK_SP_E_clISE_PiSF_SF_EEDaS13_S14_SK_SP_EUlS13_E_NS1_11comp_targetILNS1_3genE4ELNS1_11target_archE910ELNS1_3gpuE8ELNS1_3repE0EEENS1_47radix_sort_onesweep_sort_config_static_selectorELNS0_4arch9wavefront6targetE1EEEvSK_
	.p2align	8
	.type	_ZN7rocprim17ROCPRIM_400000_NS6detail17trampoline_kernelINS0_14default_configENS1_35radix_sort_onesweep_config_selectorIiNS0_10empty_typeEEEZZNS1_29radix_sort_onesweep_iterationIS3_Lb0EN6thrust23THRUST_200600_302600_NS6detail15normal_iteratorINS9_10device_ptrIiEEEESE_PS5_SF_jNS0_19identity_decomposerENS1_16block_id_wrapperIjLb0EEEEE10hipError_tT1_PNSt15iterator_traitsISK_E10value_typeET2_T3_PNSL_ISQ_E10value_typeET4_T5_PSV_SW_PNS1_23onesweep_lookback_stateEbbT6_jjT7_P12ihipStream_tbENKUlT_T0_SK_SP_E_clISE_PiSF_SF_EEDaS13_S14_SK_SP_EUlS13_E_NS1_11comp_targetILNS1_3genE4ELNS1_11target_archE910ELNS1_3gpuE8ELNS1_3repE0EEENS1_47radix_sort_onesweep_sort_config_static_selectorELNS0_4arch9wavefront6targetE1EEEvSK_,@function
_ZN7rocprim17ROCPRIM_400000_NS6detail17trampoline_kernelINS0_14default_configENS1_35radix_sort_onesweep_config_selectorIiNS0_10empty_typeEEEZZNS1_29radix_sort_onesweep_iterationIS3_Lb0EN6thrust23THRUST_200600_302600_NS6detail15normal_iteratorINS9_10device_ptrIiEEEESE_PS5_SF_jNS0_19identity_decomposerENS1_16block_id_wrapperIjLb0EEEEE10hipError_tT1_PNSt15iterator_traitsISK_E10value_typeET2_T3_PNSL_ISQ_E10value_typeET4_T5_PSV_SW_PNS1_23onesweep_lookback_stateEbbT6_jjT7_P12ihipStream_tbENKUlT_T0_SK_SP_E_clISE_PiSF_SF_EEDaS13_S14_SK_SP_EUlS13_E_NS1_11comp_targetILNS1_3genE4ELNS1_11target_archE910ELNS1_3gpuE8ELNS1_3repE0EEENS1_47radix_sort_onesweep_sort_config_static_selectorELNS0_4arch9wavefront6targetE1EEEvSK_: ; @_ZN7rocprim17ROCPRIM_400000_NS6detail17trampoline_kernelINS0_14default_configENS1_35radix_sort_onesweep_config_selectorIiNS0_10empty_typeEEEZZNS1_29radix_sort_onesweep_iterationIS3_Lb0EN6thrust23THRUST_200600_302600_NS6detail15normal_iteratorINS9_10device_ptrIiEEEESE_PS5_SF_jNS0_19identity_decomposerENS1_16block_id_wrapperIjLb0EEEEE10hipError_tT1_PNSt15iterator_traitsISK_E10value_typeET2_T3_PNSL_ISQ_E10value_typeET4_T5_PSV_SW_PNS1_23onesweep_lookback_stateEbbT6_jjT7_P12ihipStream_tbENKUlT_T0_SK_SP_E_clISE_PiSF_SF_EEDaS13_S14_SK_SP_EUlS13_E_NS1_11comp_targetILNS1_3genE4ELNS1_11target_archE910ELNS1_3gpuE8ELNS1_3repE0EEENS1_47radix_sort_onesweep_sort_config_static_selectorELNS0_4arch9wavefront6targetE1EEEvSK_
; %bb.0:
	.section	.rodata,"a",@progbits
	.p2align	6, 0x0
	.amdhsa_kernel _ZN7rocprim17ROCPRIM_400000_NS6detail17trampoline_kernelINS0_14default_configENS1_35radix_sort_onesweep_config_selectorIiNS0_10empty_typeEEEZZNS1_29radix_sort_onesweep_iterationIS3_Lb0EN6thrust23THRUST_200600_302600_NS6detail15normal_iteratorINS9_10device_ptrIiEEEESE_PS5_SF_jNS0_19identity_decomposerENS1_16block_id_wrapperIjLb0EEEEE10hipError_tT1_PNSt15iterator_traitsISK_E10value_typeET2_T3_PNSL_ISQ_E10value_typeET4_T5_PSV_SW_PNS1_23onesweep_lookback_stateEbbT6_jjT7_P12ihipStream_tbENKUlT_T0_SK_SP_E_clISE_PiSF_SF_EEDaS13_S14_SK_SP_EUlS13_E_NS1_11comp_targetILNS1_3genE4ELNS1_11target_archE910ELNS1_3gpuE8ELNS1_3repE0EEENS1_47radix_sort_onesweep_sort_config_static_selectorELNS0_4arch9wavefront6targetE1EEEvSK_
		.amdhsa_group_segment_fixed_size 0
		.amdhsa_private_segment_fixed_size 0
		.amdhsa_kernarg_size 88
		.amdhsa_user_sgpr_count 2
		.amdhsa_user_sgpr_dispatch_ptr 0
		.amdhsa_user_sgpr_queue_ptr 0
		.amdhsa_user_sgpr_kernarg_segment_ptr 1
		.amdhsa_user_sgpr_dispatch_id 0
		.amdhsa_user_sgpr_kernarg_preload_length 0
		.amdhsa_user_sgpr_kernarg_preload_offset 0
		.amdhsa_user_sgpr_private_segment_size 0
		.amdhsa_uses_dynamic_stack 0
		.amdhsa_enable_private_segment 0
		.amdhsa_system_sgpr_workgroup_id_x 1
		.amdhsa_system_sgpr_workgroup_id_y 0
		.amdhsa_system_sgpr_workgroup_id_z 0
		.amdhsa_system_sgpr_workgroup_info 0
		.amdhsa_system_vgpr_workitem_id 0
		.amdhsa_next_free_vgpr 1
		.amdhsa_next_free_sgpr 0
		.amdhsa_accum_offset 4
		.amdhsa_reserve_vcc 0
		.amdhsa_float_round_mode_32 0
		.amdhsa_float_round_mode_16_64 0
		.amdhsa_float_denorm_mode_32 3
		.amdhsa_float_denorm_mode_16_64 3
		.amdhsa_dx10_clamp 1
		.amdhsa_ieee_mode 1
		.amdhsa_fp16_overflow 0
		.amdhsa_tg_split 0
		.amdhsa_exception_fp_ieee_invalid_op 0
		.amdhsa_exception_fp_denorm_src 0
		.amdhsa_exception_fp_ieee_div_zero 0
		.amdhsa_exception_fp_ieee_overflow 0
		.amdhsa_exception_fp_ieee_underflow 0
		.amdhsa_exception_fp_ieee_inexact 0
		.amdhsa_exception_int_div_zero 0
	.end_amdhsa_kernel
	.section	.text._ZN7rocprim17ROCPRIM_400000_NS6detail17trampoline_kernelINS0_14default_configENS1_35radix_sort_onesweep_config_selectorIiNS0_10empty_typeEEEZZNS1_29radix_sort_onesweep_iterationIS3_Lb0EN6thrust23THRUST_200600_302600_NS6detail15normal_iteratorINS9_10device_ptrIiEEEESE_PS5_SF_jNS0_19identity_decomposerENS1_16block_id_wrapperIjLb0EEEEE10hipError_tT1_PNSt15iterator_traitsISK_E10value_typeET2_T3_PNSL_ISQ_E10value_typeET4_T5_PSV_SW_PNS1_23onesweep_lookback_stateEbbT6_jjT7_P12ihipStream_tbENKUlT_T0_SK_SP_E_clISE_PiSF_SF_EEDaS13_S14_SK_SP_EUlS13_E_NS1_11comp_targetILNS1_3genE4ELNS1_11target_archE910ELNS1_3gpuE8ELNS1_3repE0EEENS1_47radix_sort_onesweep_sort_config_static_selectorELNS0_4arch9wavefront6targetE1EEEvSK_,"axG",@progbits,_ZN7rocprim17ROCPRIM_400000_NS6detail17trampoline_kernelINS0_14default_configENS1_35radix_sort_onesweep_config_selectorIiNS0_10empty_typeEEEZZNS1_29radix_sort_onesweep_iterationIS3_Lb0EN6thrust23THRUST_200600_302600_NS6detail15normal_iteratorINS9_10device_ptrIiEEEESE_PS5_SF_jNS0_19identity_decomposerENS1_16block_id_wrapperIjLb0EEEEE10hipError_tT1_PNSt15iterator_traitsISK_E10value_typeET2_T3_PNSL_ISQ_E10value_typeET4_T5_PSV_SW_PNS1_23onesweep_lookback_stateEbbT6_jjT7_P12ihipStream_tbENKUlT_T0_SK_SP_E_clISE_PiSF_SF_EEDaS13_S14_SK_SP_EUlS13_E_NS1_11comp_targetILNS1_3genE4ELNS1_11target_archE910ELNS1_3gpuE8ELNS1_3repE0EEENS1_47radix_sort_onesweep_sort_config_static_selectorELNS0_4arch9wavefront6targetE1EEEvSK_,comdat
.Lfunc_end1786:
	.size	_ZN7rocprim17ROCPRIM_400000_NS6detail17trampoline_kernelINS0_14default_configENS1_35radix_sort_onesweep_config_selectorIiNS0_10empty_typeEEEZZNS1_29radix_sort_onesweep_iterationIS3_Lb0EN6thrust23THRUST_200600_302600_NS6detail15normal_iteratorINS9_10device_ptrIiEEEESE_PS5_SF_jNS0_19identity_decomposerENS1_16block_id_wrapperIjLb0EEEEE10hipError_tT1_PNSt15iterator_traitsISK_E10value_typeET2_T3_PNSL_ISQ_E10value_typeET4_T5_PSV_SW_PNS1_23onesweep_lookback_stateEbbT6_jjT7_P12ihipStream_tbENKUlT_T0_SK_SP_E_clISE_PiSF_SF_EEDaS13_S14_SK_SP_EUlS13_E_NS1_11comp_targetILNS1_3genE4ELNS1_11target_archE910ELNS1_3gpuE8ELNS1_3repE0EEENS1_47radix_sort_onesweep_sort_config_static_selectorELNS0_4arch9wavefront6targetE1EEEvSK_, .Lfunc_end1786-_ZN7rocprim17ROCPRIM_400000_NS6detail17trampoline_kernelINS0_14default_configENS1_35radix_sort_onesweep_config_selectorIiNS0_10empty_typeEEEZZNS1_29radix_sort_onesweep_iterationIS3_Lb0EN6thrust23THRUST_200600_302600_NS6detail15normal_iteratorINS9_10device_ptrIiEEEESE_PS5_SF_jNS0_19identity_decomposerENS1_16block_id_wrapperIjLb0EEEEE10hipError_tT1_PNSt15iterator_traitsISK_E10value_typeET2_T3_PNSL_ISQ_E10value_typeET4_T5_PSV_SW_PNS1_23onesweep_lookback_stateEbbT6_jjT7_P12ihipStream_tbENKUlT_T0_SK_SP_E_clISE_PiSF_SF_EEDaS13_S14_SK_SP_EUlS13_E_NS1_11comp_targetILNS1_3genE4ELNS1_11target_archE910ELNS1_3gpuE8ELNS1_3repE0EEENS1_47radix_sort_onesweep_sort_config_static_selectorELNS0_4arch9wavefront6targetE1EEEvSK_
                                        ; -- End function
	.section	.AMDGPU.csdata,"",@progbits
; Kernel info:
; codeLenInByte = 0
; NumSgprs: 6
; NumVgprs: 0
; NumAgprs: 0
; TotalNumVgprs: 0
; ScratchSize: 0
; MemoryBound: 0
; FloatMode: 240
; IeeeMode: 1
; LDSByteSize: 0 bytes/workgroup (compile time only)
; SGPRBlocks: 0
; VGPRBlocks: 0
; NumSGPRsForWavesPerEU: 6
; NumVGPRsForWavesPerEU: 1
; AccumOffset: 4
; Occupancy: 8
; WaveLimiterHint : 0
; COMPUTE_PGM_RSRC2:SCRATCH_EN: 0
; COMPUTE_PGM_RSRC2:USER_SGPR: 2
; COMPUTE_PGM_RSRC2:TRAP_HANDLER: 0
; COMPUTE_PGM_RSRC2:TGID_X_EN: 1
; COMPUTE_PGM_RSRC2:TGID_Y_EN: 0
; COMPUTE_PGM_RSRC2:TGID_Z_EN: 0
; COMPUTE_PGM_RSRC2:TIDIG_COMP_CNT: 0
; COMPUTE_PGM_RSRC3_GFX90A:ACCUM_OFFSET: 0
; COMPUTE_PGM_RSRC3_GFX90A:TG_SPLIT: 0
	.section	.text._ZN7rocprim17ROCPRIM_400000_NS6detail17trampoline_kernelINS0_14default_configENS1_35radix_sort_onesweep_config_selectorIiNS0_10empty_typeEEEZZNS1_29radix_sort_onesweep_iterationIS3_Lb0EN6thrust23THRUST_200600_302600_NS6detail15normal_iteratorINS9_10device_ptrIiEEEESE_PS5_SF_jNS0_19identity_decomposerENS1_16block_id_wrapperIjLb0EEEEE10hipError_tT1_PNSt15iterator_traitsISK_E10value_typeET2_T3_PNSL_ISQ_E10value_typeET4_T5_PSV_SW_PNS1_23onesweep_lookback_stateEbbT6_jjT7_P12ihipStream_tbENKUlT_T0_SK_SP_E_clISE_PiSF_SF_EEDaS13_S14_SK_SP_EUlS13_E_NS1_11comp_targetILNS1_3genE3ELNS1_11target_archE908ELNS1_3gpuE7ELNS1_3repE0EEENS1_47radix_sort_onesweep_sort_config_static_selectorELNS0_4arch9wavefront6targetE1EEEvSK_,"axG",@progbits,_ZN7rocprim17ROCPRIM_400000_NS6detail17trampoline_kernelINS0_14default_configENS1_35radix_sort_onesweep_config_selectorIiNS0_10empty_typeEEEZZNS1_29radix_sort_onesweep_iterationIS3_Lb0EN6thrust23THRUST_200600_302600_NS6detail15normal_iteratorINS9_10device_ptrIiEEEESE_PS5_SF_jNS0_19identity_decomposerENS1_16block_id_wrapperIjLb0EEEEE10hipError_tT1_PNSt15iterator_traitsISK_E10value_typeET2_T3_PNSL_ISQ_E10value_typeET4_T5_PSV_SW_PNS1_23onesweep_lookback_stateEbbT6_jjT7_P12ihipStream_tbENKUlT_T0_SK_SP_E_clISE_PiSF_SF_EEDaS13_S14_SK_SP_EUlS13_E_NS1_11comp_targetILNS1_3genE3ELNS1_11target_archE908ELNS1_3gpuE7ELNS1_3repE0EEENS1_47radix_sort_onesweep_sort_config_static_selectorELNS0_4arch9wavefront6targetE1EEEvSK_,comdat
	.protected	_ZN7rocprim17ROCPRIM_400000_NS6detail17trampoline_kernelINS0_14default_configENS1_35radix_sort_onesweep_config_selectorIiNS0_10empty_typeEEEZZNS1_29radix_sort_onesweep_iterationIS3_Lb0EN6thrust23THRUST_200600_302600_NS6detail15normal_iteratorINS9_10device_ptrIiEEEESE_PS5_SF_jNS0_19identity_decomposerENS1_16block_id_wrapperIjLb0EEEEE10hipError_tT1_PNSt15iterator_traitsISK_E10value_typeET2_T3_PNSL_ISQ_E10value_typeET4_T5_PSV_SW_PNS1_23onesweep_lookback_stateEbbT6_jjT7_P12ihipStream_tbENKUlT_T0_SK_SP_E_clISE_PiSF_SF_EEDaS13_S14_SK_SP_EUlS13_E_NS1_11comp_targetILNS1_3genE3ELNS1_11target_archE908ELNS1_3gpuE7ELNS1_3repE0EEENS1_47radix_sort_onesweep_sort_config_static_selectorELNS0_4arch9wavefront6targetE1EEEvSK_ ; -- Begin function _ZN7rocprim17ROCPRIM_400000_NS6detail17trampoline_kernelINS0_14default_configENS1_35radix_sort_onesweep_config_selectorIiNS0_10empty_typeEEEZZNS1_29radix_sort_onesweep_iterationIS3_Lb0EN6thrust23THRUST_200600_302600_NS6detail15normal_iteratorINS9_10device_ptrIiEEEESE_PS5_SF_jNS0_19identity_decomposerENS1_16block_id_wrapperIjLb0EEEEE10hipError_tT1_PNSt15iterator_traitsISK_E10value_typeET2_T3_PNSL_ISQ_E10value_typeET4_T5_PSV_SW_PNS1_23onesweep_lookback_stateEbbT6_jjT7_P12ihipStream_tbENKUlT_T0_SK_SP_E_clISE_PiSF_SF_EEDaS13_S14_SK_SP_EUlS13_E_NS1_11comp_targetILNS1_3genE3ELNS1_11target_archE908ELNS1_3gpuE7ELNS1_3repE0EEENS1_47radix_sort_onesweep_sort_config_static_selectorELNS0_4arch9wavefront6targetE1EEEvSK_
	.globl	_ZN7rocprim17ROCPRIM_400000_NS6detail17trampoline_kernelINS0_14default_configENS1_35radix_sort_onesweep_config_selectorIiNS0_10empty_typeEEEZZNS1_29radix_sort_onesweep_iterationIS3_Lb0EN6thrust23THRUST_200600_302600_NS6detail15normal_iteratorINS9_10device_ptrIiEEEESE_PS5_SF_jNS0_19identity_decomposerENS1_16block_id_wrapperIjLb0EEEEE10hipError_tT1_PNSt15iterator_traitsISK_E10value_typeET2_T3_PNSL_ISQ_E10value_typeET4_T5_PSV_SW_PNS1_23onesweep_lookback_stateEbbT6_jjT7_P12ihipStream_tbENKUlT_T0_SK_SP_E_clISE_PiSF_SF_EEDaS13_S14_SK_SP_EUlS13_E_NS1_11comp_targetILNS1_3genE3ELNS1_11target_archE908ELNS1_3gpuE7ELNS1_3repE0EEENS1_47radix_sort_onesweep_sort_config_static_selectorELNS0_4arch9wavefront6targetE1EEEvSK_
	.p2align	8
	.type	_ZN7rocprim17ROCPRIM_400000_NS6detail17trampoline_kernelINS0_14default_configENS1_35radix_sort_onesweep_config_selectorIiNS0_10empty_typeEEEZZNS1_29radix_sort_onesweep_iterationIS3_Lb0EN6thrust23THRUST_200600_302600_NS6detail15normal_iteratorINS9_10device_ptrIiEEEESE_PS5_SF_jNS0_19identity_decomposerENS1_16block_id_wrapperIjLb0EEEEE10hipError_tT1_PNSt15iterator_traitsISK_E10value_typeET2_T3_PNSL_ISQ_E10value_typeET4_T5_PSV_SW_PNS1_23onesweep_lookback_stateEbbT6_jjT7_P12ihipStream_tbENKUlT_T0_SK_SP_E_clISE_PiSF_SF_EEDaS13_S14_SK_SP_EUlS13_E_NS1_11comp_targetILNS1_3genE3ELNS1_11target_archE908ELNS1_3gpuE7ELNS1_3repE0EEENS1_47radix_sort_onesweep_sort_config_static_selectorELNS0_4arch9wavefront6targetE1EEEvSK_,@function
_ZN7rocprim17ROCPRIM_400000_NS6detail17trampoline_kernelINS0_14default_configENS1_35radix_sort_onesweep_config_selectorIiNS0_10empty_typeEEEZZNS1_29radix_sort_onesweep_iterationIS3_Lb0EN6thrust23THRUST_200600_302600_NS6detail15normal_iteratorINS9_10device_ptrIiEEEESE_PS5_SF_jNS0_19identity_decomposerENS1_16block_id_wrapperIjLb0EEEEE10hipError_tT1_PNSt15iterator_traitsISK_E10value_typeET2_T3_PNSL_ISQ_E10value_typeET4_T5_PSV_SW_PNS1_23onesweep_lookback_stateEbbT6_jjT7_P12ihipStream_tbENKUlT_T0_SK_SP_E_clISE_PiSF_SF_EEDaS13_S14_SK_SP_EUlS13_E_NS1_11comp_targetILNS1_3genE3ELNS1_11target_archE908ELNS1_3gpuE7ELNS1_3repE0EEENS1_47radix_sort_onesweep_sort_config_static_selectorELNS0_4arch9wavefront6targetE1EEEvSK_: ; @_ZN7rocprim17ROCPRIM_400000_NS6detail17trampoline_kernelINS0_14default_configENS1_35radix_sort_onesweep_config_selectorIiNS0_10empty_typeEEEZZNS1_29radix_sort_onesweep_iterationIS3_Lb0EN6thrust23THRUST_200600_302600_NS6detail15normal_iteratorINS9_10device_ptrIiEEEESE_PS5_SF_jNS0_19identity_decomposerENS1_16block_id_wrapperIjLb0EEEEE10hipError_tT1_PNSt15iterator_traitsISK_E10value_typeET2_T3_PNSL_ISQ_E10value_typeET4_T5_PSV_SW_PNS1_23onesweep_lookback_stateEbbT6_jjT7_P12ihipStream_tbENKUlT_T0_SK_SP_E_clISE_PiSF_SF_EEDaS13_S14_SK_SP_EUlS13_E_NS1_11comp_targetILNS1_3genE3ELNS1_11target_archE908ELNS1_3gpuE7ELNS1_3repE0EEENS1_47radix_sort_onesweep_sort_config_static_selectorELNS0_4arch9wavefront6targetE1EEEvSK_
; %bb.0:
	.section	.rodata,"a",@progbits
	.p2align	6, 0x0
	.amdhsa_kernel _ZN7rocprim17ROCPRIM_400000_NS6detail17trampoline_kernelINS0_14default_configENS1_35radix_sort_onesweep_config_selectorIiNS0_10empty_typeEEEZZNS1_29radix_sort_onesweep_iterationIS3_Lb0EN6thrust23THRUST_200600_302600_NS6detail15normal_iteratorINS9_10device_ptrIiEEEESE_PS5_SF_jNS0_19identity_decomposerENS1_16block_id_wrapperIjLb0EEEEE10hipError_tT1_PNSt15iterator_traitsISK_E10value_typeET2_T3_PNSL_ISQ_E10value_typeET4_T5_PSV_SW_PNS1_23onesweep_lookback_stateEbbT6_jjT7_P12ihipStream_tbENKUlT_T0_SK_SP_E_clISE_PiSF_SF_EEDaS13_S14_SK_SP_EUlS13_E_NS1_11comp_targetILNS1_3genE3ELNS1_11target_archE908ELNS1_3gpuE7ELNS1_3repE0EEENS1_47radix_sort_onesweep_sort_config_static_selectorELNS0_4arch9wavefront6targetE1EEEvSK_
		.amdhsa_group_segment_fixed_size 0
		.amdhsa_private_segment_fixed_size 0
		.amdhsa_kernarg_size 88
		.amdhsa_user_sgpr_count 2
		.amdhsa_user_sgpr_dispatch_ptr 0
		.amdhsa_user_sgpr_queue_ptr 0
		.amdhsa_user_sgpr_kernarg_segment_ptr 1
		.amdhsa_user_sgpr_dispatch_id 0
		.amdhsa_user_sgpr_kernarg_preload_length 0
		.amdhsa_user_sgpr_kernarg_preload_offset 0
		.amdhsa_user_sgpr_private_segment_size 0
		.amdhsa_uses_dynamic_stack 0
		.amdhsa_enable_private_segment 0
		.amdhsa_system_sgpr_workgroup_id_x 1
		.amdhsa_system_sgpr_workgroup_id_y 0
		.amdhsa_system_sgpr_workgroup_id_z 0
		.amdhsa_system_sgpr_workgroup_info 0
		.amdhsa_system_vgpr_workitem_id 0
		.amdhsa_next_free_vgpr 1
		.amdhsa_next_free_sgpr 0
		.amdhsa_accum_offset 4
		.amdhsa_reserve_vcc 0
		.amdhsa_float_round_mode_32 0
		.amdhsa_float_round_mode_16_64 0
		.amdhsa_float_denorm_mode_32 3
		.amdhsa_float_denorm_mode_16_64 3
		.amdhsa_dx10_clamp 1
		.amdhsa_ieee_mode 1
		.amdhsa_fp16_overflow 0
		.amdhsa_tg_split 0
		.amdhsa_exception_fp_ieee_invalid_op 0
		.amdhsa_exception_fp_denorm_src 0
		.amdhsa_exception_fp_ieee_div_zero 0
		.amdhsa_exception_fp_ieee_overflow 0
		.amdhsa_exception_fp_ieee_underflow 0
		.amdhsa_exception_fp_ieee_inexact 0
		.amdhsa_exception_int_div_zero 0
	.end_amdhsa_kernel
	.section	.text._ZN7rocprim17ROCPRIM_400000_NS6detail17trampoline_kernelINS0_14default_configENS1_35radix_sort_onesweep_config_selectorIiNS0_10empty_typeEEEZZNS1_29radix_sort_onesweep_iterationIS3_Lb0EN6thrust23THRUST_200600_302600_NS6detail15normal_iteratorINS9_10device_ptrIiEEEESE_PS5_SF_jNS0_19identity_decomposerENS1_16block_id_wrapperIjLb0EEEEE10hipError_tT1_PNSt15iterator_traitsISK_E10value_typeET2_T3_PNSL_ISQ_E10value_typeET4_T5_PSV_SW_PNS1_23onesweep_lookback_stateEbbT6_jjT7_P12ihipStream_tbENKUlT_T0_SK_SP_E_clISE_PiSF_SF_EEDaS13_S14_SK_SP_EUlS13_E_NS1_11comp_targetILNS1_3genE3ELNS1_11target_archE908ELNS1_3gpuE7ELNS1_3repE0EEENS1_47radix_sort_onesweep_sort_config_static_selectorELNS0_4arch9wavefront6targetE1EEEvSK_,"axG",@progbits,_ZN7rocprim17ROCPRIM_400000_NS6detail17trampoline_kernelINS0_14default_configENS1_35radix_sort_onesweep_config_selectorIiNS0_10empty_typeEEEZZNS1_29radix_sort_onesweep_iterationIS3_Lb0EN6thrust23THRUST_200600_302600_NS6detail15normal_iteratorINS9_10device_ptrIiEEEESE_PS5_SF_jNS0_19identity_decomposerENS1_16block_id_wrapperIjLb0EEEEE10hipError_tT1_PNSt15iterator_traitsISK_E10value_typeET2_T3_PNSL_ISQ_E10value_typeET4_T5_PSV_SW_PNS1_23onesweep_lookback_stateEbbT6_jjT7_P12ihipStream_tbENKUlT_T0_SK_SP_E_clISE_PiSF_SF_EEDaS13_S14_SK_SP_EUlS13_E_NS1_11comp_targetILNS1_3genE3ELNS1_11target_archE908ELNS1_3gpuE7ELNS1_3repE0EEENS1_47radix_sort_onesweep_sort_config_static_selectorELNS0_4arch9wavefront6targetE1EEEvSK_,comdat
.Lfunc_end1787:
	.size	_ZN7rocprim17ROCPRIM_400000_NS6detail17trampoline_kernelINS0_14default_configENS1_35radix_sort_onesweep_config_selectorIiNS0_10empty_typeEEEZZNS1_29radix_sort_onesweep_iterationIS3_Lb0EN6thrust23THRUST_200600_302600_NS6detail15normal_iteratorINS9_10device_ptrIiEEEESE_PS5_SF_jNS0_19identity_decomposerENS1_16block_id_wrapperIjLb0EEEEE10hipError_tT1_PNSt15iterator_traitsISK_E10value_typeET2_T3_PNSL_ISQ_E10value_typeET4_T5_PSV_SW_PNS1_23onesweep_lookback_stateEbbT6_jjT7_P12ihipStream_tbENKUlT_T0_SK_SP_E_clISE_PiSF_SF_EEDaS13_S14_SK_SP_EUlS13_E_NS1_11comp_targetILNS1_3genE3ELNS1_11target_archE908ELNS1_3gpuE7ELNS1_3repE0EEENS1_47radix_sort_onesweep_sort_config_static_selectorELNS0_4arch9wavefront6targetE1EEEvSK_, .Lfunc_end1787-_ZN7rocprim17ROCPRIM_400000_NS6detail17trampoline_kernelINS0_14default_configENS1_35radix_sort_onesweep_config_selectorIiNS0_10empty_typeEEEZZNS1_29radix_sort_onesweep_iterationIS3_Lb0EN6thrust23THRUST_200600_302600_NS6detail15normal_iteratorINS9_10device_ptrIiEEEESE_PS5_SF_jNS0_19identity_decomposerENS1_16block_id_wrapperIjLb0EEEEE10hipError_tT1_PNSt15iterator_traitsISK_E10value_typeET2_T3_PNSL_ISQ_E10value_typeET4_T5_PSV_SW_PNS1_23onesweep_lookback_stateEbbT6_jjT7_P12ihipStream_tbENKUlT_T0_SK_SP_E_clISE_PiSF_SF_EEDaS13_S14_SK_SP_EUlS13_E_NS1_11comp_targetILNS1_3genE3ELNS1_11target_archE908ELNS1_3gpuE7ELNS1_3repE0EEENS1_47radix_sort_onesweep_sort_config_static_selectorELNS0_4arch9wavefront6targetE1EEEvSK_
                                        ; -- End function
	.section	.AMDGPU.csdata,"",@progbits
; Kernel info:
; codeLenInByte = 0
; NumSgprs: 6
; NumVgprs: 0
; NumAgprs: 0
; TotalNumVgprs: 0
; ScratchSize: 0
; MemoryBound: 0
; FloatMode: 240
; IeeeMode: 1
; LDSByteSize: 0 bytes/workgroup (compile time only)
; SGPRBlocks: 0
; VGPRBlocks: 0
; NumSGPRsForWavesPerEU: 6
; NumVGPRsForWavesPerEU: 1
; AccumOffset: 4
; Occupancy: 8
; WaveLimiterHint : 0
; COMPUTE_PGM_RSRC2:SCRATCH_EN: 0
; COMPUTE_PGM_RSRC2:USER_SGPR: 2
; COMPUTE_PGM_RSRC2:TRAP_HANDLER: 0
; COMPUTE_PGM_RSRC2:TGID_X_EN: 1
; COMPUTE_PGM_RSRC2:TGID_Y_EN: 0
; COMPUTE_PGM_RSRC2:TGID_Z_EN: 0
; COMPUTE_PGM_RSRC2:TIDIG_COMP_CNT: 0
; COMPUTE_PGM_RSRC3_GFX90A:ACCUM_OFFSET: 0
; COMPUTE_PGM_RSRC3_GFX90A:TG_SPLIT: 0
	.section	.text._ZN7rocprim17ROCPRIM_400000_NS6detail17trampoline_kernelINS0_14default_configENS1_35radix_sort_onesweep_config_selectorIiNS0_10empty_typeEEEZZNS1_29radix_sort_onesweep_iterationIS3_Lb0EN6thrust23THRUST_200600_302600_NS6detail15normal_iteratorINS9_10device_ptrIiEEEESE_PS5_SF_jNS0_19identity_decomposerENS1_16block_id_wrapperIjLb0EEEEE10hipError_tT1_PNSt15iterator_traitsISK_E10value_typeET2_T3_PNSL_ISQ_E10value_typeET4_T5_PSV_SW_PNS1_23onesweep_lookback_stateEbbT6_jjT7_P12ihipStream_tbENKUlT_T0_SK_SP_E_clISE_PiSF_SF_EEDaS13_S14_SK_SP_EUlS13_E_NS1_11comp_targetILNS1_3genE10ELNS1_11target_archE1201ELNS1_3gpuE5ELNS1_3repE0EEENS1_47radix_sort_onesweep_sort_config_static_selectorELNS0_4arch9wavefront6targetE1EEEvSK_,"axG",@progbits,_ZN7rocprim17ROCPRIM_400000_NS6detail17trampoline_kernelINS0_14default_configENS1_35radix_sort_onesweep_config_selectorIiNS0_10empty_typeEEEZZNS1_29radix_sort_onesweep_iterationIS3_Lb0EN6thrust23THRUST_200600_302600_NS6detail15normal_iteratorINS9_10device_ptrIiEEEESE_PS5_SF_jNS0_19identity_decomposerENS1_16block_id_wrapperIjLb0EEEEE10hipError_tT1_PNSt15iterator_traitsISK_E10value_typeET2_T3_PNSL_ISQ_E10value_typeET4_T5_PSV_SW_PNS1_23onesweep_lookback_stateEbbT6_jjT7_P12ihipStream_tbENKUlT_T0_SK_SP_E_clISE_PiSF_SF_EEDaS13_S14_SK_SP_EUlS13_E_NS1_11comp_targetILNS1_3genE10ELNS1_11target_archE1201ELNS1_3gpuE5ELNS1_3repE0EEENS1_47radix_sort_onesweep_sort_config_static_selectorELNS0_4arch9wavefront6targetE1EEEvSK_,comdat
	.protected	_ZN7rocprim17ROCPRIM_400000_NS6detail17trampoline_kernelINS0_14default_configENS1_35radix_sort_onesweep_config_selectorIiNS0_10empty_typeEEEZZNS1_29radix_sort_onesweep_iterationIS3_Lb0EN6thrust23THRUST_200600_302600_NS6detail15normal_iteratorINS9_10device_ptrIiEEEESE_PS5_SF_jNS0_19identity_decomposerENS1_16block_id_wrapperIjLb0EEEEE10hipError_tT1_PNSt15iterator_traitsISK_E10value_typeET2_T3_PNSL_ISQ_E10value_typeET4_T5_PSV_SW_PNS1_23onesweep_lookback_stateEbbT6_jjT7_P12ihipStream_tbENKUlT_T0_SK_SP_E_clISE_PiSF_SF_EEDaS13_S14_SK_SP_EUlS13_E_NS1_11comp_targetILNS1_3genE10ELNS1_11target_archE1201ELNS1_3gpuE5ELNS1_3repE0EEENS1_47radix_sort_onesweep_sort_config_static_selectorELNS0_4arch9wavefront6targetE1EEEvSK_ ; -- Begin function _ZN7rocprim17ROCPRIM_400000_NS6detail17trampoline_kernelINS0_14default_configENS1_35radix_sort_onesweep_config_selectorIiNS0_10empty_typeEEEZZNS1_29radix_sort_onesweep_iterationIS3_Lb0EN6thrust23THRUST_200600_302600_NS6detail15normal_iteratorINS9_10device_ptrIiEEEESE_PS5_SF_jNS0_19identity_decomposerENS1_16block_id_wrapperIjLb0EEEEE10hipError_tT1_PNSt15iterator_traitsISK_E10value_typeET2_T3_PNSL_ISQ_E10value_typeET4_T5_PSV_SW_PNS1_23onesweep_lookback_stateEbbT6_jjT7_P12ihipStream_tbENKUlT_T0_SK_SP_E_clISE_PiSF_SF_EEDaS13_S14_SK_SP_EUlS13_E_NS1_11comp_targetILNS1_3genE10ELNS1_11target_archE1201ELNS1_3gpuE5ELNS1_3repE0EEENS1_47radix_sort_onesweep_sort_config_static_selectorELNS0_4arch9wavefront6targetE1EEEvSK_
	.globl	_ZN7rocprim17ROCPRIM_400000_NS6detail17trampoline_kernelINS0_14default_configENS1_35radix_sort_onesweep_config_selectorIiNS0_10empty_typeEEEZZNS1_29radix_sort_onesweep_iterationIS3_Lb0EN6thrust23THRUST_200600_302600_NS6detail15normal_iteratorINS9_10device_ptrIiEEEESE_PS5_SF_jNS0_19identity_decomposerENS1_16block_id_wrapperIjLb0EEEEE10hipError_tT1_PNSt15iterator_traitsISK_E10value_typeET2_T3_PNSL_ISQ_E10value_typeET4_T5_PSV_SW_PNS1_23onesweep_lookback_stateEbbT6_jjT7_P12ihipStream_tbENKUlT_T0_SK_SP_E_clISE_PiSF_SF_EEDaS13_S14_SK_SP_EUlS13_E_NS1_11comp_targetILNS1_3genE10ELNS1_11target_archE1201ELNS1_3gpuE5ELNS1_3repE0EEENS1_47radix_sort_onesweep_sort_config_static_selectorELNS0_4arch9wavefront6targetE1EEEvSK_
	.p2align	8
	.type	_ZN7rocprim17ROCPRIM_400000_NS6detail17trampoline_kernelINS0_14default_configENS1_35radix_sort_onesweep_config_selectorIiNS0_10empty_typeEEEZZNS1_29radix_sort_onesweep_iterationIS3_Lb0EN6thrust23THRUST_200600_302600_NS6detail15normal_iteratorINS9_10device_ptrIiEEEESE_PS5_SF_jNS0_19identity_decomposerENS1_16block_id_wrapperIjLb0EEEEE10hipError_tT1_PNSt15iterator_traitsISK_E10value_typeET2_T3_PNSL_ISQ_E10value_typeET4_T5_PSV_SW_PNS1_23onesweep_lookback_stateEbbT6_jjT7_P12ihipStream_tbENKUlT_T0_SK_SP_E_clISE_PiSF_SF_EEDaS13_S14_SK_SP_EUlS13_E_NS1_11comp_targetILNS1_3genE10ELNS1_11target_archE1201ELNS1_3gpuE5ELNS1_3repE0EEENS1_47radix_sort_onesweep_sort_config_static_selectorELNS0_4arch9wavefront6targetE1EEEvSK_,@function
_ZN7rocprim17ROCPRIM_400000_NS6detail17trampoline_kernelINS0_14default_configENS1_35radix_sort_onesweep_config_selectorIiNS0_10empty_typeEEEZZNS1_29radix_sort_onesweep_iterationIS3_Lb0EN6thrust23THRUST_200600_302600_NS6detail15normal_iteratorINS9_10device_ptrIiEEEESE_PS5_SF_jNS0_19identity_decomposerENS1_16block_id_wrapperIjLb0EEEEE10hipError_tT1_PNSt15iterator_traitsISK_E10value_typeET2_T3_PNSL_ISQ_E10value_typeET4_T5_PSV_SW_PNS1_23onesweep_lookback_stateEbbT6_jjT7_P12ihipStream_tbENKUlT_T0_SK_SP_E_clISE_PiSF_SF_EEDaS13_S14_SK_SP_EUlS13_E_NS1_11comp_targetILNS1_3genE10ELNS1_11target_archE1201ELNS1_3gpuE5ELNS1_3repE0EEENS1_47radix_sort_onesweep_sort_config_static_selectorELNS0_4arch9wavefront6targetE1EEEvSK_: ; @_ZN7rocprim17ROCPRIM_400000_NS6detail17trampoline_kernelINS0_14default_configENS1_35radix_sort_onesweep_config_selectorIiNS0_10empty_typeEEEZZNS1_29radix_sort_onesweep_iterationIS3_Lb0EN6thrust23THRUST_200600_302600_NS6detail15normal_iteratorINS9_10device_ptrIiEEEESE_PS5_SF_jNS0_19identity_decomposerENS1_16block_id_wrapperIjLb0EEEEE10hipError_tT1_PNSt15iterator_traitsISK_E10value_typeET2_T3_PNSL_ISQ_E10value_typeET4_T5_PSV_SW_PNS1_23onesweep_lookback_stateEbbT6_jjT7_P12ihipStream_tbENKUlT_T0_SK_SP_E_clISE_PiSF_SF_EEDaS13_S14_SK_SP_EUlS13_E_NS1_11comp_targetILNS1_3genE10ELNS1_11target_archE1201ELNS1_3gpuE5ELNS1_3repE0EEENS1_47radix_sort_onesweep_sort_config_static_selectorELNS0_4arch9wavefront6targetE1EEEvSK_
; %bb.0:
	.section	.rodata,"a",@progbits
	.p2align	6, 0x0
	.amdhsa_kernel _ZN7rocprim17ROCPRIM_400000_NS6detail17trampoline_kernelINS0_14default_configENS1_35radix_sort_onesweep_config_selectorIiNS0_10empty_typeEEEZZNS1_29radix_sort_onesweep_iterationIS3_Lb0EN6thrust23THRUST_200600_302600_NS6detail15normal_iteratorINS9_10device_ptrIiEEEESE_PS5_SF_jNS0_19identity_decomposerENS1_16block_id_wrapperIjLb0EEEEE10hipError_tT1_PNSt15iterator_traitsISK_E10value_typeET2_T3_PNSL_ISQ_E10value_typeET4_T5_PSV_SW_PNS1_23onesweep_lookback_stateEbbT6_jjT7_P12ihipStream_tbENKUlT_T0_SK_SP_E_clISE_PiSF_SF_EEDaS13_S14_SK_SP_EUlS13_E_NS1_11comp_targetILNS1_3genE10ELNS1_11target_archE1201ELNS1_3gpuE5ELNS1_3repE0EEENS1_47radix_sort_onesweep_sort_config_static_selectorELNS0_4arch9wavefront6targetE1EEEvSK_
		.amdhsa_group_segment_fixed_size 0
		.amdhsa_private_segment_fixed_size 0
		.amdhsa_kernarg_size 88
		.amdhsa_user_sgpr_count 2
		.amdhsa_user_sgpr_dispatch_ptr 0
		.amdhsa_user_sgpr_queue_ptr 0
		.amdhsa_user_sgpr_kernarg_segment_ptr 1
		.amdhsa_user_sgpr_dispatch_id 0
		.amdhsa_user_sgpr_kernarg_preload_length 0
		.amdhsa_user_sgpr_kernarg_preload_offset 0
		.amdhsa_user_sgpr_private_segment_size 0
		.amdhsa_uses_dynamic_stack 0
		.amdhsa_enable_private_segment 0
		.amdhsa_system_sgpr_workgroup_id_x 1
		.amdhsa_system_sgpr_workgroup_id_y 0
		.amdhsa_system_sgpr_workgroup_id_z 0
		.amdhsa_system_sgpr_workgroup_info 0
		.amdhsa_system_vgpr_workitem_id 0
		.amdhsa_next_free_vgpr 1
		.amdhsa_next_free_sgpr 0
		.amdhsa_accum_offset 4
		.amdhsa_reserve_vcc 0
		.amdhsa_float_round_mode_32 0
		.amdhsa_float_round_mode_16_64 0
		.amdhsa_float_denorm_mode_32 3
		.amdhsa_float_denorm_mode_16_64 3
		.amdhsa_dx10_clamp 1
		.amdhsa_ieee_mode 1
		.amdhsa_fp16_overflow 0
		.amdhsa_tg_split 0
		.amdhsa_exception_fp_ieee_invalid_op 0
		.amdhsa_exception_fp_denorm_src 0
		.amdhsa_exception_fp_ieee_div_zero 0
		.amdhsa_exception_fp_ieee_overflow 0
		.amdhsa_exception_fp_ieee_underflow 0
		.amdhsa_exception_fp_ieee_inexact 0
		.amdhsa_exception_int_div_zero 0
	.end_amdhsa_kernel
	.section	.text._ZN7rocprim17ROCPRIM_400000_NS6detail17trampoline_kernelINS0_14default_configENS1_35radix_sort_onesweep_config_selectorIiNS0_10empty_typeEEEZZNS1_29radix_sort_onesweep_iterationIS3_Lb0EN6thrust23THRUST_200600_302600_NS6detail15normal_iteratorINS9_10device_ptrIiEEEESE_PS5_SF_jNS0_19identity_decomposerENS1_16block_id_wrapperIjLb0EEEEE10hipError_tT1_PNSt15iterator_traitsISK_E10value_typeET2_T3_PNSL_ISQ_E10value_typeET4_T5_PSV_SW_PNS1_23onesweep_lookback_stateEbbT6_jjT7_P12ihipStream_tbENKUlT_T0_SK_SP_E_clISE_PiSF_SF_EEDaS13_S14_SK_SP_EUlS13_E_NS1_11comp_targetILNS1_3genE10ELNS1_11target_archE1201ELNS1_3gpuE5ELNS1_3repE0EEENS1_47radix_sort_onesweep_sort_config_static_selectorELNS0_4arch9wavefront6targetE1EEEvSK_,"axG",@progbits,_ZN7rocprim17ROCPRIM_400000_NS6detail17trampoline_kernelINS0_14default_configENS1_35radix_sort_onesweep_config_selectorIiNS0_10empty_typeEEEZZNS1_29radix_sort_onesweep_iterationIS3_Lb0EN6thrust23THRUST_200600_302600_NS6detail15normal_iteratorINS9_10device_ptrIiEEEESE_PS5_SF_jNS0_19identity_decomposerENS1_16block_id_wrapperIjLb0EEEEE10hipError_tT1_PNSt15iterator_traitsISK_E10value_typeET2_T3_PNSL_ISQ_E10value_typeET4_T5_PSV_SW_PNS1_23onesweep_lookback_stateEbbT6_jjT7_P12ihipStream_tbENKUlT_T0_SK_SP_E_clISE_PiSF_SF_EEDaS13_S14_SK_SP_EUlS13_E_NS1_11comp_targetILNS1_3genE10ELNS1_11target_archE1201ELNS1_3gpuE5ELNS1_3repE0EEENS1_47radix_sort_onesweep_sort_config_static_selectorELNS0_4arch9wavefront6targetE1EEEvSK_,comdat
.Lfunc_end1788:
	.size	_ZN7rocprim17ROCPRIM_400000_NS6detail17trampoline_kernelINS0_14default_configENS1_35radix_sort_onesweep_config_selectorIiNS0_10empty_typeEEEZZNS1_29radix_sort_onesweep_iterationIS3_Lb0EN6thrust23THRUST_200600_302600_NS6detail15normal_iteratorINS9_10device_ptrIiEEEESE_PS5_SF_jNS0_19identity_decomposerENS1_16block_id_wrapperIjLb0EEEEE10hipError_tT1_PNSt15iterator_traitsISK_E10value_typeET2_T3_PNSL_ISQ_E10value_typeET4_T5_PSV_SW_PNS1_23onesweep_lookback_stateEbbT6_jjT7_P12ihipStream_tbENKUlT_T0_SK_SP_E_clISE_PiSF_SF_EEDaS13_S14_SK_SP_EUlS13_E_NS1_11comp_targetILNS1_3genE10ELNS1_11target_archE1201ELNS1_3gpuE5ELNS1_3repE0EEENS1_47radix_sort_onesweep_sort_config_static_selectorELNS0_4arch9wavefront6targetE1EEEvSK_, .Lfunc_end1788-_ZN7rocprim17ROCPRIM_400000_NS6detail17trampoline_kernelINS0_14default_configENS1_35radix_sort_onesweep_config_selectorIiNS0_10empty_typeEEEZZNS1_29radix_sort_onesweep_iterationIS3_Lb0EN6thrust23THRUST_200600_302600_NS6detail15normal_iteratorINS9_10device_ptrIiEEEESE_PS5_SF_jNS0_19identity_decomposerENS1_16block_id_wrapperIjLb0EEEEE10hipError_tT1_PNSt15iterator_traitsISK_E10value_typeET2_T3_PNSL_ISQ_E10value_typeET4_T5_PSV_SW_PNS1_23onesweep_lookback_stateEbbT6_jjT7_P12ihipStream_tbENKUlT_T0_SK_SP_E_clISE_PiSF_SF_EEDaS13_S14_SK_SP_EUlS13_E_NS1_11comp_targetILNS1_3genE10ELNS1_11target_archE1201ELNS1_3gpuE5ELNS1_3repE0EEENS1_47radix_sort_onesweep_sort_config_static_selectorELNS0_4arch9wavefront6targetE1EEEvSK_
                                        ; -- End function
	.section	.AMDGPU.csdata,"",@progbits
; Kernel info:
; codeLenInByte = 0
; NumSgprs: 6
; NumVgprs: 0
; NumAgprs: 0
; TotalNumVgprs: 0
; ScratchSize: 0
; MemoryBound: 0
; FloatMode: 240
; IeeeMode: 1
; LDSByteSize: 0 bytes/workgroup (compile time only)
; SGPRBlocks: 0
; VGPRBlocks: 0
; NumSGPRsForWavesPerEU: 6
; NumVGPRsForWavesPerEU: 1
; AccumOffset: 4
; Occupancy: 8
; WaveLimiterHint : 0
; COMPUTE_PGM_RSRC2:SCRATCH_EN: 0
; COMPUTE_PGM_RSRC2:USER_SGPR: 2
; COMPUTE_PGM_RSRC2:TRAP_HANDLER: 0
; COMPUTE_PGM_RSRC2:TGID_X_EN: 1
; COMPUTE_PGM_RSRC2:TGID_Y_EN: 0
; COMPUTE_PGM_RSRC2:TGID_Z_EN: 0
; COMPUTE_PGM_RSRC2:TIDIG_COMP_CNT: 0
; COMPUTE_PGM_RSRC3_GFX90A:ACCUM_OFFSET: 0
; COMPUTE_PGM_RSRC3_GFX90A:TG_SPLIT: 0
	.section	.text._ZN7rocprim17ROCPRIM_400000_NS6detail17trampoline_kernelINS0_14default_configENS1_35radix_sort_onesweep_config_selectorIiNS0_10empty_typeEEEZZNS1_29radix_sort_onesweep_iterationIS3_Lb0EN6thrust23THRUST_200600_302600_NS6detail15normal_iteratorINS9_10device_ptrIiEEEESE_PS5_SF_jNS0_19identity_decomposerENS1_16block_id_wrapperIjLb0EEEEE10hipError_tT1_PNSt15iterator_traitsISK_E10value_typeET2_T3_PNSL_ISQ_E10value_typeET4_T5_PSV_SW_PNS1_23onesweep_lookback_stateEbbT6_jjT7_P12ihipStream_tbENKUlT_T0_SK_SP_E_clISE_PiSF_SF_EEDaS13_S14_SK_SP_EUlS13_E_NS1_11comp_targetILNS1_3genE9ELNS1_11target_archE1100ELNS1_3gpuE3ELNS1_3repE0EEENS1_47radix_sort_onesweep_sort_config_static_selectorELNS0_4arch9wavefront6targetE1EEEvSK_,"axG",@progbits,_ZN7rocprim17ROCPRIM_400000_NS6detail17trampoline_kernelINS0_14default_configENS1_35radix_sort_onesweep_config_selectorIiNS0_10empty_typeEEEZZNS1_29radix_sort_onesweep_iterationIS3_Lb0EN6thrust23THRUST_200600_302600_NS6detail15normal_iteratorINS9_10device_ptrIiEEEESE_PS5_SF_jNS0_19identity_decomposerENS1_16block_id_wrapperIjLb0EEEEE10hipError_tT1_PNSt15iterator_traitsISK_E10value_typeET2_T3_PNSL_ISQ_E10value_typeET4_T5_PSV_SW_PNS1_23onesweep_lookback_stateEbbT6_jjT7_P12ihipStream_tbENKUlT_T0_SK_SP_E_clISE_PiSF_SF_EEDaS13_S14_SK_SP_EUlS13_E_NS1_11comp_targetILNS1_3genE9ELNS1_11target_archE1100ELNS1_3gpuE3ELNS1_3repE0EEENS1_47radix_sort_onesweep_sort_config_static_selectorELNS0_4arch9wavefront6targetE1EEEvSK_,comdat
	.protected	_ZN7rocprim17ROCPRIM_400000_NS6detail17trampoline_kernelINS0_14default_configENS1_35radix_sort_onesweep_config_selectorIiNS0_10empty_typeEEEZZNS1_29radix_sort_onesweep_iterationIS3_Lb0EN6thrust23THRUST_200600_302600_NS6detail15normal_iteratorINS9_10device_ptrIiEEEESE_PS5_SF_jNS0_19identity_decomposerENS1_16block_id_wrapperIjLb0EEEEE10hipError_tT1_PNSt15iterator_traitsISK_E10value_typeET2_T3_PNSL_ISQ_E10value_typeET4_T5_PSV_SW_PNS1_23onesweep_lookback_stateEbbT6_jjT7_P12ihipStream_tbENKUlT_T0_SK_SP_E_clISE_PiSF_SF_EEDaS13_S14_SK_SP_EUlS13_E_NS1_11comp_targetILNS1_3genE9ELNS1_11target_archE1100ELNS1_3gpuE3ELNS1_3repE0EEENS1_47radix_sort_onesweep_sort_config_static_selectorELNS0_4arch9wavefront6targetE1EEEvSK_ ; -- Begin function _ZN7rocprim17ROCPRIM_400000_NS6detail17trampoline_kernelINS0_14default_configENS1_35radix_sort_onesweep_config_selectorIiNS0_10empty_typeEEEZZNS1_29radix_sort_onesweep_iterationIS3_Lb0EN6thrust23THRUST_200600_302600_NS6detail15normal_iteratorINS9_10device_ptrIiEEEESE_PS5_SF_jNS0_19identity_decomposerENS1_16block_id_wrapperIjLb0EEEEE10hipError_tT1_PNSt15iterator_traitsISK_E10value_typeET2_T3_PNSL_ISQ_E10value_typeET4_T5_PSV_SW_PNS1_23onesweep_lookback_stateEbbT6_jjT7_P12ihipStream_tbENKUlT_T0_SK_SP_E_clISE_PiSF_SF_EEDaS13_S14_SK_SP_EUlS13_E_NS1_11comp_targetILNS1_3genE9ELNS1_11target_archE1100ELNS1_3gpuE3ELNS1_3repE0EEENS1_47radix_sort_onesweep_sort_config_static_selectorELNS0_4arch9wavefront6targetE1EEEvSK_
	.globl	_ZN7rocprim17ROCPRIM_400000_NS6detail17trampoline_kernelINS0_14default_configENS1_35radix_sort_onesweep_config_selectorIiNS0_10empty_typeEEEZZNS1_29radix_sort_onesweep_iterationIS3_Lb0EN6thrust23THRUST_200600_302600_NS6detail15normal_iteratorINS9_10device_ptrIiEEEESE_PS5_SF_jNS0_19identity_decomposerENS1_16block_id_wrapperIjLb0EEEEE10hipError_tT1_PNSt15iterator_traitsISK_E10value_typeET2_T3_PNSL_ISQ_E10value_typeET4_T5_PSV_SW_PNS1_23onesweep_lookback_stateEbbT6_jjT7_P12ihipStream_tbENKUlT_T0_SK_SP_E_clISE_PiSF_SF_EEDaS13_S14_SK_SP_EUlS13_E_NS1_11comp_targetILNS1_3genE9ELNS1_11target_archE1100ELNS1_3gpuE3ELNS1_3repE0EEENS1_47radix_sort_onesweep_sort_config_static_selectorELNS0_4arch9wavefront6targetE1EEEvSK_
	.p2align	8
	.type	_ZN7rocprim17ROCPRIM_400000_NS6detail17trampoline_kernelINS0_14default_configENS1_35radix_sort_onesweep_config_selectorIiNS0_10empty_typeEEEZZNS1_29radix_sort_onesweep_iterationIS3_Lb0EN6thrust23THRUST_200600_302600_NS6detail15normal_iteratorINS9_10device_ptrIiEEEESE_PS5_SF_jNS0_19identity_decomposerENS1_16block_id_wrapperIjLb0EEEEE10hipError_tT1_PNSt15iterator_traitsISK_E10value_typeET2_T3_PNSL_ISQ_E10value_typeET4_T5_PSV_SW_PNS1_23onesweep_lookback_stateEbbT6_jjT7_P12ihipStream_tbENKUlT_T0_SK_SP_E_clISE_PiSF_SF_EEDaS13_S14_SK_SP_EUlS13_E_NS1_11comp_targetILNS1_3genE9ELNS1_11target_archE1100ELNS1_3gpuE3ELNS1_3repE0EEENS1_47radix_sort_onesweep_sort_config_static_selectorELNS0_4arch9wavefront6targetE1EEEvSK_,@function
_ZN7rocprim17ROCPRIM_400000_NS6detail17trampoline_kernelINS0_14default_configENS1_35radix_sort_onesweep_config_selectorIiNS0_10empty_typeEEEZZNS1_29radix_sort_onesweep_iterationIS3_Lb0EN6thrust23THRUST_200600_302600_NS6detail15normal_iteratorINS9_10device_ptrIiEEEESE_PS5_SF_jNS0_19identity_decomposerENS1_16block_id_wrapperIjLb0EEEEE10hipError_tT1_PNSt15iterator_traitsISK_E10value_typeET2_T3_PNSL_ISQ_E10value_typeET4_T5_PSV_SW_PNS1_23onesweep_lookback_stateEbbT6_jjT7_P12ihipStream_tbENKUlT_T0_SK_SP_E_clISE_PiSF_SF_EEDaS13_S14_SK_SP_EUlS13_E_NS1_11comp_targetILNS1_3genE9ELNS1_11target_archE1100ELNS1_3gpuE3ELNS1_3repE0EEENS1_47radix_sort_onesweep_sort_config_static_selectorELNS0_4arch9wavefront6targetE1EEEvSK_: ; @_ZN7rocprim17ROCPRIM_400000_NS6detail17trampoline_kernelINS0_14default_configENS1_35radix_sort_onesweep_config_selectorIiNS0_10empty_typeEEEZZNS1_29radix_sort_onesweep_iterationIS3_Lb0EN6thrust23THRUST_200600_302600_NS6detail15normal_iteratorINS9_10device_ptrIiEEEESE_PS5_SF_jNS0_19identity_decomposerENS1_16block_id_wrapperIjLb0EEEEE10hipError_tT1_PNSt15iterator_traitsISK_E10value_typeET2_T3_PNSL_ISQ_E10value_typeET4_T5_PSV_SW_PNS1_23onesweep_lookback_stateEbbT6_jjT7_P12ihipStream_tbENKUlT_T0_SK_SP_E_clISE_PiSF_SF_EEDaS13_S14_SK_SP_EUlS13_E_NS1_11comp_targetILNS1_3genE9ELNS1_11target_archE1100ELNS1_3gpuE3ELNS1_3repE0EEENS1_47radix_sort_onesweep_sort_config_static_selectorELNS0_4arch9wavefront6targetE1EEEvSK_
; %bb.0:
	.section	.rodata,"a",@progbits
	.p2align	6, 0x0
	.amdhsa_kernel _ZN7rocprim17ROCPRIM_400000_NS6detail17trampoline_kernelINS0_14default_configENS1_35radix_sort_onesweep_config_selectorIiNS0_10empty_typeEEEZZNS1_29radix_sort_onesweep_iterationIS3_Lb0EN6thrust23THRUST_200600_302600_NS6detail15normal_iteratorINS9_10device_ptrIiEEEESE_PS5_SF_jNS0_19identity_decomposerENS1_16block_id_wrapperIjLb0EEEEE10hipError_tT1_PNSt15iterator_traitsISK_E10value_typeET2_T3_PNSL_ISQ_E10value_typeET4_T5_PSV_SW_PNS1_23onesweep_lookback_stateEbbT6_jjT7_P12ihipStream_tbENKUlT_T0_SK_SP_E_clISE_PiSF_SF_EEDaS13_S14_SK_SP_EUlS13_E_NS1_11comp_targetILNS1_3genE9ELNS1_11target_archE1100ELNS1_3gpuE3ELNS1_3repE0EEENS1_47radix_sort_onesweep_sort_config_static_selectorELNS0_4arch9wavefront6targetE1EEEvSK_
		.amdhsa_group_segment_fixed_size 0
		.amdhsa_private_segment_fixed_size 0
		.amdhsa_kernarg_size 88
		.amdhsa_user_sgpr_count 2
		.amdhsa_user_sgpr_dispatch_ptr 0
		.amdhsa_user_sgpr_queue_ptr 0
		.amdhsa_user_sgpr_kernarg_segment_ptr 1
		.amdhsa_user_sgpr_dispatch_id 0
		.amdhsa_user_sgpr_kernarg_preload_length 0
		.amdhsa_user_sgpr_kernarg_preload_offset 0
		.amdhsa_user_sgpr_private_segment_size 0
		.amdhsa_uses_dynamic_stack 0
		.amdhsa_enable_private_segment 0
		.amdhsa_system_sgpr_workgroup_id_x 1
		.amdhsa_system_sgpr_workgroup_id_y 0
		.amdhsa_system_sgpr_workgroup_id_z 0
		.amdhsa_system_sgpr_workgroup_info 0
		.amdhsa_system_vgpr_workitem_id 0
		.amdhsa_next_free_vgpr 1
		.amdhsa_next_free_sgpr 0
		.amdhsa_accum_offset 4
		.amdhsa_reserve_vcc 0
		.amdhsa_float_round_mode_32 0
		.amdhsa_float_round_mode_16_64 0
		.amdhsa_float_denorm_mode_32 3
		.amdhsa_float_denorm_mode_16_64 3
		.amdhsa_dx10_clamp 1
		.amdhsa_ieee_mode 1
		.amdhsa_fp16_overflow 0
		.amdhsa_tg_split 0
		.amdhsa_exception_fp_ieee_invalid_op 0
		.amdhsa_exception_fp_denorm_src 0
		.amdhsa_exception_fp_ieee_div_zero 0
		.amdhsa_exception_fp_ieee_overflow 0
		.amdhsa_exception_fp_ieee_underflow 0
		.amdhsa_exception_fp_ieee_inexact 0
		.amdhsa_exception_int_div_zero 0
	.end_amdhsa_kernel
	.section	.text._ZN7rocprim17ROCPRIM_400000_NS6detail17trampoline_kernelINS0_14default_configENS1_35radix_sort_onesweep_config_selectorIiNS0_10empty_typeEEEZZNS1_29radix_sort_onesweep_iterationIS3_Lb0EN6thrust23THRUST_200600_302600_NS6detail15normal_iteratorINS9_10device_ptrIiEEEESE_PS5_SF_jNS0_19identity_decomposerENS1_16block_id_wrapperIjLb0EEEEE10hipError_tT1_PNSt15iterator_traitsISK_E10value_typeET2_T3_PNSL_ISQ_E10value_typeET4_T5_PSV_SW_PNS1_23onesweep_lookback_stateEbbT6_jjT7_P12ihipStream_tbENKUlT_T0_SK_SP_E_clISE_PiSF_SF_EEDaS13_S14_SK_SP_EUlS13_E_NS1_11comp_targetILNS1_3genE9ELNS1_11target_archE1100ELNS1_3gpuE3ELNS1_3repE0EEENS1_47radix_sort_onesweep_sort_config_static_selectorELNS0_4arch9wavefront6targetE1EEEvSK_,"axG",@progbits,_ZN7rocprim17ROCPRIM_400000_NS6detail17trampoline_kernelINS0_14default_configENS1_35radix_sort_onesweep_config_selectorIiNS0_10empty_typeEEEZZNS1_29radix_sort_onesweep_iterationIS3_Lb0EN6thrust23THRUST_200600_302600_NS6detail15normal_iteratorINS9_10device_ptrIiEEEESE_PS5_SF_jNS0_19identity_decomposerENS1_16block_id_wrapperIjLb0EEEEE10hipError_tT1_PNSt15iterator_traitsISK_E10value_typeET2_T3_PNSL_ISQ_E10value_typeET4_T5_PSV_SW_PNS1_23onesweep_lookback_stateEbbT6_jjT7_P12ihipStream_tbENKUlT_T0_SK_SP_E_clISE_PiSF_SF_EEDaS13_S14_SK_SP_EUlS13_E_NS1_11comp_targetILNS1_3genE9ELNS1_11target_archE1100ELNS1_3gpuE3ELNS1_3repE0EEENS1_47radix_sort_onesweep_sort_config_static_selectorELNS0_4arch9wavefront6targetE1EEEvSK_,comdat
.Lfunc_end1789:
	.size	_ZN7rocprim17ROCPRIM_400000_NS6detail17trampoline_kernelINS0_14default_configENS1_35radix_sort_onesweep_config_selectorIiNS0_10empty_typeEEEZZNS1_29radix_sort_onesweep_iterationIS3_Lb0EN6thrust23THRUST_200600_302600_NS6detail15normal_iteratorINS9_10device_ptrIiEEEESE_PS5_SF_jNS0_19identity_decomposerENS1_16block_id_wrapperIjLb0EEEEE10hipError_tT1_PNSt15iterator_traitsISK_E10value_typeET2_T3_PNSL_ISQ_E10value_typeET4_T5_PSV_SW_PNS1_23onesweep_lookback_stateEbbT6_jjT7_P12ihipStream_tbENKUlT_T0_SK_SP_E_clISE_PiSF_SF_EEDaS13_S14_SK_SP_EUlS13_E_NS1_11comp_targetILNS1_3genE9ELNS1_11target_archE1100ELNS1_3gpuE3ELNS1_3repE0EEENS1_47radix_sort_onesweep_sort_config_static_selectorELNS0_4arch9wavefront6targetE1EEEvSK_, .Lfunc_end1789-_ZN7rocprim17ROCPRIM_400000_NS6detail17trampoline_kernelINS0_14default_configENS1_35radix_sort_onesweep_config_selectorIiNS0_10empty_typeEEEZZNS1_29radix_sort_onesweep_iterationIS3_Lb0EN6thrust23THRUST_200600_302600_NS6detail15normal_iteratorINS9_10device_ptrIiEEEESE_PS5_SF_jNS0_19identity_decomposerENS1_16block_id_wrapperIjLb0EEEEE10hipError_tT1_PNSt15iterator_traitsISK_E10value_typeET2_T3_PNSL_ISQ_E10value_typeET4_T5_PSV_SW_PNS1_23onesweep_lookback_stateEbbT6_jjT7_P12ihipStream_tbENKUlT_T0_SK_SP_E_clISE_PiSF_SF_EEDaS13_S14_SK_SP_EUlS13_E_NS1_11comp_targetILNS1_3genE9ELNS1_11target_archE1100ELNS1_3gpuE3ELNS1_3repE0EEENS1_47radix_sort_onesweep_sort_config_static_selectorELNS0_4arch9wavefront6targetE1EEEvSK_
                                        ; -- End function
	.section	.AMDGPU.csdata,"",@progbits
; Kernel info:
; codeLenInByte = 0
; NumSgprs: 6
; NumVgprs: 0
; NumAgprs: 0
; TotalNumVgprs: 0
; ScratchSize: 0
; MemoryBound: 0
; FloatMode: 240
; IeeeMode: 1
; LDSByteSize: 0 bytes/workgroup (compile time only)
; SGPRBlocks: 0
; VGPRBlocks: 0
; NumSGPRsForWavesPerEU: 6
; NumVGPRsForWavesPerEU: 1
; AccumOffset: 4
; Occupancy: 8
; WaveLimiterHint : 0
; COMPUTE_PGM_RSRC2:SCRATCH_EN: 0
; COMPUTE_PGM_RSRC2:USER_SGPR: 2
; COMPUTE_PGM_RSRC2:TRAP_HANDLER: 0
; COMPUTE_PGM_RSRC2:TGID_X_EN: 1
; COMPUTE_PGM_RSRC2:TGID_Y_EN: 0
; COMPUTE_PGM_RSRC2:TGID_Z_EN: 0
; COMPUTE_PGM_RSRC2:TIDIG_COMP_CNT: 0
; COMPUTE_PGM_RSRC3_GFX90A:ACCUM_OFFSET: 0
; COMPUTE_PGM_RSRC3_GFX90A:TG_SPLIT: 0
	.section	.text._ZN7rocprim17ROCPRIM_400000_NS6detail17trampoline_kernelINS0_14default_configENS1_35radix_sort_onesweep_config_selectorIiNS0_10empty_typeEEEZZNS1_29radix_sort_onesweep_iterationIS3_Lb0EN6thrust23THRUST_200600_302600_NS6detail15normal_iteratorINS9_10device_ptrIiEEEESE_PS5_SF_jNS0_19identity_decomposerENS1_16block_id_wrapperIjLb0EEEEE10hipError_tT1_PNSt15iterator_traitsISK_E10value_typeET2_T3_PNSL_ISQ_E10value_typeET4_T5_PSV_SW_PNS1_23onesweep_lookback_stateEbbT6_jjT7_P12ihipStream_tbENKUlT_T0_SK_SP_E_clISE_PiSF_SF_EEDaS13_S14_SK_SP_EUlS13_E_NS1_11comp_targetILNS1_3genE8ELNS1_11target_archE1030ELNS1_3gpuE2ELNS1_3repE0EEENS1_47radix_sort_onesweep_sort_config_static_selectorELNS0_4arch9wavefront6targetE1EEEvSK_,"axG",@progbits,_ZN7rocprim17ROCPRIM_400000_NS6detail17trampoline_kernelINS0_14default_configENS1_35radix_sort_onesweep_config_selectorIiNS0_10empty_typeEEEZZNS1_29radix_sort_onesweep_iterationIS3_Lb0EN6thrust23THRUST_200600_302600_NS6detail15normal_iteratorINS9_10device_ptrIiEEEESE_PS5_SF_jNS0_19identity_decomposerENS1_16block_id_wrapperIjLb0EEEEE10hipError_tT1_PNSt15iterator_traitsISK_E10value_typeET2_T3_PNSL_ISQ_E10value_typeET4_T5_PSV_SW_PNS1_23onesweep_lookback_stateEbbT6_jjT7_P12ihipStream_tbENKUlT_T0_SK_SP_E_clISE_PiSF_SF_EEDaS13_S14_SK_SP_EUlS13_E_NS1_11comp_targetILNS1_3genE8ELNS1_11target_archE1030ELNS1_3gpuE2ELNS1_3repE0EEENS1_47radix_sort_onesweep_sort_config_static_selectorELNS0_4arch9wavefront6targetE1EEEvSK_,comdat
	.protected	_ZN7rocprim17ROCPRIM_400000_NS6detail17trampoline_kernelINS0_14default_configENS1_35radix_sort_onesweep_config_selectorIiNS0_10empty_typeEEEZZNS1_29radix_sort_onesweep_iterationIS3_Lb0EN6thrust23THRUST_200600_302600_NS6detail15normal_iteratorINS9_10device_ptrIiEEEESE_PS5_SF_jNS0_19identity_decomposerENS1_16block_id_wrapperIjLb0EEEEE10hipError_tT1_PNSt15iterator_traitsISK_E10value_typeET2_T3_PNSL_ISQ_E10value_typeET4_T5_PSV_SW_PNS1_23onesweep_lookback_stateEbbT6_jjT7_P12ihipStream_tbENKUlT_T0_SK_SP_E_clISE_PiSF_SF_EEDaS13_S14_SK_SP_EUlS13_E_NS1_11comp_targetILNS1_3genE8ELNS1_11target_archE1030ELNS1_3gpuE2ELNS1_3repE0EEENS1_47radix_sort_onesweep_sort_config_static_selectorELNS0_4arch9wavefront6targetE1EEEvSK_ ; -- Begin function _ZN7rocprim17ROCPRIM_400000_NS6detail17trampoline_kernelINS0_14default_configENS1_35radix_sort_onesweep_config_selectorIiNS0_10empty_typeEEEZZNS1_29radix_sort_onesweep_iterationIS3_Lb0EN6thrust23THRUST_200600_302600_NS6detail15normal_iteratorINS9_10device_ptrIiEEEESE_PS5_SF_jNS0_19identity_decomposerENS1_16block_id_wrapperIjLb0EEEEE10hipError_tT1_PNSt15iterator_traitsISK_E10value_typeET2_T3_PNSL_ISQ_E10value_typeET4_T5_PSV_SW_PNS1_23onesweep_lookback_stateEbbT6_jjT7_P12ihipStream_tbENKUlT_T0_SK_SP_E_clISE_PiSF_SF_EEDaS13_S14_SK_SP_EUlS13_E_NS1_11comp_targetILNS1_3genE8ELNS1_11target_archE1030ELNS1_3gpuE2ELNS1_3repE0EEENS1_47radix_sort_onesweep_sort_config_static_selectorELNS0_4arch9wavefront6targetE1EEEvSK_
	.globl	_ZN7rocprim17ROCPRIM_400000_NS6detail17trampoline_kernelINS0_14default_configENS1_35radix_sort_onesweep_config_selectorIiNS0_10empty_typeEEEZZNS1_29radix_sort_onesweep_iterationIS3_Lb0EN6thrust23THRUST_200600_302600_NS6detail15normal_iteratorINS9_10device_ptrIiEEEESE_PS5_SF_jNS0_19identity_decomposerENS1_16block_id_wrapperIjLb0EEEEE10hipError_tT1_PNSt15iterator_traitsISK_E10value_typeET2_T3_PNSL_ISQ_E10value_typeET4_T5_PSV_SW_PNS1_23onesweep_lookback_stateEbbT6_jjT7_P12ihipStream_tbENKUlT_T0_SK_SP_E_clISE_PiSF_SF_EEDaS13_S14_SK_SP_EUlS13_E_NS1_11comp_targetILNS1_3genE8ELNS1_11target_archE1030ELNS1_3gpuE2ELNS1_3repE0EEENS1_47radix_sort_onesweep_sort_config_static_selectorELNS0_4arch9wavefront6targetE1EEEvSK_
	.p2align	8
	.type	_ZN7rocprim17ROCPRIM_400000_NS6detail17trampoline_kernelINS0_14default_configENS1_35radix_sort_onesweep_config_selectorIiNS0_10empty_typeEEEZZNS1_29radix_sort_onesweep_iterationIS3_Lb0EN6thrust23THRUST_200600_302600_NS6detail15normal_iteratorINS9_10device_ptrIiEEEESE_PS5_SF_jNS0_19identity_decomposerENS1_16block_id_wrapperIjLb0EEEEE10hipError_tT1_PNSt15iterator_traitsISK_E10value_typeET2_T3_PNSL_ISQ_E10value_typeET4_T5_PSV_SW_PNS1_23onesweep_lookback_stateEbbT6_jjT7_P12ihipStream_tbENKUlT_T0_SK_SP_E_clISE_PiSF_SF_EEDaS13_S14_SK_SP_EUlS13_E_NS1_11comp_targetILNS1_3genE8ELNS1_11target_archE1030ELNS1_3gpuE2ELNS1_3repE0EEENS1_47radix_sort_onesweep_sort_config_static_selectorELNS0_4arch9wavefront6targetE1EEEvSK_,@function
_ZN7rocprim17ROCPRIM_400000_NS6detail17trampoline_kernelINS0_14default_configENS1_35radix_sort_onesweep_config_selectorIiNS0_10empty_typeEEEZZNS1_29radix_sort_onesweep_iterationIS3_Lb0EN6thrust23THRUST_200600_302600_NS6detail15normal_iteratorINS9_10device_ptrIiEEEESE_PS5_SF_jNS0_19identity_decomposerENS1_16block_id_wrapperIjLb0EEEEE10hipError_tT1_PNSt15iterator_traitsISK_E10value_typeET2_T3_PNSL_ISQ_E10value_typeET4_T5_PSV_SW_PNS1_23onesweep_lookback_stateEbbT6_jjT7_P12ihipStream_tbENKUlT_T0_SK_SP_E_clISE_PiSF_SF_EEDaS13_S14_SK_SP_EUlS13_E_NS1_11comp_targetILNS1_3genE8ELNS1_11target_archE1030ELNS1_3gpuE2ELNS1_3repE0EEENS1_47radix_sort_onesweep_sort_config_static_selectorELNS0_4arch9wavefront6targetE1EEEvSK_: ; @_ZN7rocprim17ROCPRIM_400000_NS6detail17trampoline_kernelINS0_14default_configENS1_35radix_sort_onesweep_config_selectorIiNS0_10empty_typeEEEZZNS1_29radix_sort_onesweep_iterationIS3_Lb0EN6thrust23THRUST_200600_302600_NS6detail15normal_iteratorINS9_10device_ptrIiEEEESE_PS5_SF_jNS0_19identity_decomposerENS1_16block_id_wrapperIjLb0EEEEE10hipError_tT1_PNSt15iterator_traitsISK_E10value_typeET2_T3_PNSL_ISQ_E10value_typeET4_T5_PSV_SW_PNS1_23onesweep_lookback_stateEbbT6_jjT7_P12ihipStream_tbENKUlT_T0_SK_SP_E_clISE_PiSF_SF_EEDaS13_S14_SK_SP_EUlS13_E_NS1_11comp_targetILNS1_3genE8ELNS1_11target_archE1030ELNS1_3gpuE2ELNS1_3repE0EEENS1_47radix_sort_onesweep_sort_config_static_selectorELNS0_4arch9wavefront6targetE1EEEvSK_
; %bb.0:
	.section	.rodata,"a",@progbits
	.p2align	6, 0x0
	.amdhsa_kernel _ZN7rocprim17ROCPRIM_400000_NS6detail17trampoline_kernelINS0_14default_configENS1_35radix_sort_onesweep_config_selectorIiNS0_10empty_typeEEEZZNS1_29radix_sort_onesweep_iterationIS3_Lb0EN6thrust23THRUST_200600_302600_NS6detail15normal_iteratorINS9_10device_ptrIiEEEESE_PS5_SF_jNS0_19identity_decomposerENS1_16block_id_wrapperIjLb0EEEEE10hipError_tT1_PNSt15iterator_traitsISK_E10value_typeET2_T3_PNSL_ISQ_E10value_typeET4_T5_PSV_SW_PNS1_23onesweep_lookback_stateEbbT6_jjT7_P12ihipStream_tbENKUlT_T0_SK_SP_E_clISE_PiSF_SF_EEDaS13_S14_SK_SP_EUlS13_E_NS1_11comp_targetILNS1_3genE8ELNS1_11target_archE1030ELNS1_3gpuE2ELNS1_3repE0EEENS1_47radix_sort_onesweep_sort_config_static_selectorELNS0_4arch9wavefront6targetE1EEEvSK_
		.amdhsa_group_segment_fixed_size 0
		.amdhsa_private_segment_fixed_size 0
		.amdhsa_kernarg_size 88
		.amdhsa_user_sgpr_count 2
		.amdhsa_user_sgpr_dispatch_ptr 0
		.amdhsa_user_sgpr_queue_ptr 0
		.amdhsa_user_sgpr_kernarg_segment_ptr 1
		.amdhsa_user_sgpr_dispatch_id 0
		.amdhsa_user_sgpr_kernarg_preload_length 0
		.amdhsa_user_sgpr_kernarg_preload_offset 0
		.amdhsa_user_sgpr_private_segment_size 0
		.amdhsa_uses_dynamic_stack 0
		.amdhsa_enable_private_segment 0
		.amdhsa_system_sgpr_workgroup_id_x 1
		.amdhsa_system_sgpr_workgroup_id_y 0
		.amdhsa_system_sgpr_workgroup_id_z 0
		.amdhsa_system_sgpr_workgroup_info 0
		.amdhsa_system_vgpr_workitem_id 0
		.amdhsa_next_free_vgpr 1
		.amdhsa_next_free_sgpr 0
		.amdhsa_accum_offset 4
		.amdhsa_reserve_vcc 0
		.amdhsa_float_round_mode_32 0
		.amdhsa_float_round_mode_16_64 0
		.amdhsa_float_denorm_mode_32 3
		.amdhsa_float_denorm_mode_16_64 3
		.amdhsa_dx10_clamp 1
		.amdhsa_ieee_mode 1
		.amdhsa_fp16_overflow 0
		.amdhsa_tg_split 0
		.amdhsa_exception_fp_ieee_invalid_op 0
		.amdhsa_exception_fp_denorm_src 0
		.amdhsa_exception_fp_ieee_div_zero 0
		.amdhsa_exception_fp_ieee_overflow 0
		.amdhsa_exception_fp_ieee_underflow 0
		.amdhsa_exception_fp_ieee_inexact 0
		.amdhsa_exception_int_div_zero 0
	.end_amdhsa_kernel
	.section	.text._ZN7rocprim17ROCPRIM_400000_NS6detail17trampoline_kernelINS0_14default_configENS1_35radix_sort_onesweep_config_selectorIiNS0_10empty_typeEEEZZNS1_29radix_sort_onesweep_iterationIS3_Lb0EN6thrust23THRUST_200600_302600_NS6detail15normal_iteratorINS9_10device_ptrIiEEEESE_PS5_SF_jNS0_19identity_decomposerENS1_16block_id_wrapperIjLb0EEEEE10hipError_tT1_PNSt15iterator_traitsISK_E10value_typeET2_T3_PNSL_ISQ_E10value_typeET4_T5_PSV_SW_PNS1_23onesweep_lookback_stateEbbT6_jjT7_P12ihipStream_tbENKUlT_T0_SK_SP_E_clISE_PiSF_SF_EEDaS13_S14_SK_SP_EUlS13_E_NS1_11comp_targetILNS1_3genE8ELNS1_11target_archE1030ELNS1_3gpuE2ELNS1_3repE0EEENS1_47radix_sort_onesweep_sort_config_static_selectorELNS0_4arch9wavefront6targetE1EEEvSK_,"axG",@progbits,_ZN7rocprim17ROCPRIM_400000_NS6detail17trampoline_kernelINS0_14default_configENS1_35radix_sort_onesweep_config_selectorIiNS0_10empty_typeEEEZZNS1_29radix_sort_onesweep_iterationIS3_Lb0EN6thrust23THRUST_200600_302600_NS6detail15normal_iteratorINS9_10device_ptrIiEEEESE_PS5_SF_jNS0_19identity_decomposerENS1_16block_id_wrapperIjLb0EEEEE10hipError_tT1_PNSt15iterator_traitsISK_E10value_typeET2_T3_PNSL_ISQ_E10value_typeET4_T5_PSV_SW_PNS1_23onesweep_lookback_stateEbbT6_jjT7_P12ihipStream_tbENKUlT_T0_SK_SP_E_clISE_PiSF_SF_EEDaS13_S14_SK_SP_EUlS13_E_NS1_11comp_targetILNS1_3genE8ELNS1_11target_archE1030ELNS1_3gpuE2ELNS1_3repE0EEENS1_47radix_sort_onesweep_sort_config_static_selectorELNS0_4arch9wavefront6targetE1EEEvSK_,comdat
.Lfunc_end1790:
	.size	_ZN7rocprim17ROCPRIM_400000_NS6detail17trampoline_kernelINS0_14default_configENS1_35radix_sort_onesweep_config_selectorIiNS0_10empty_typeEEEZZNS1_29radix_sort_onesweep_iterationIS3_Lb0EN6thrust23THRUST_200600_302600_NS6detail15normal_iteratorINS9_10device_ptrIiEEEESE_PS5_SF_jNS0_19identity_decomposerENS1_16block_id_wrapperIjLb0EEEEE10hipError_tT1_PNSt15iterator_traitsISK_E10value_typeET2_T3_PNSL_ISQ_E10value_typeET4_T5_PSV_SW_PNS1_23onesweep_lookback_stateEbbT6_jjT7_P12ihipStream_tbENKUlT_T0_SK_SP_E_clISE_PiSF_SF_EEDaS13_S14_SK_SP_EUlS13_E_NS1_11comp_targetILNS1_3genE8ELNS1_11target_archE1030ELNS1_3gpuE2ELNS1_3repE0EEENS1_47radix_sort_onesweep_sort_config_static_selectorELNS0_4arch9wavefront6targetE1EEEvSK_, .Lfunc_end1790-_ZN7rocprim17ROCPRIM_400000_NS6detail17trampoline_kernelINS0_14default_configENS1_35radix_sort_onesweep_config_selectorIiNS0_10empty_typeEEEZZNS1_29radix_sort_onesweep_iterationIS3_Lb0EN6thrust23THRUST_200600_302600_NS6detail15normal_iteratorINS9_10device_ptrIiEEEESE_PS5_SF_jNS0_19identity_decomposerENS1_16block_id_wrapperIjLb0EEEEE10hipError_tT1_PNSt15iterator_traitsISK_E10value_typeET2_T3_PNSL_ISQ_E10value_typeET4_T5_PSV_SW_PNS1_23onesweep_lookback_stateEbbT6_jjT7_P12ihipStream_tbENKUlT_T0_SK_SP_E_clISE_PiSF_SF_EEDaS13_S14_SK_SP_EUlS13_E_NS1_11comp_targetILNS1_3genE8ELNS1_11target_archE1030ELNS1_3gpuE2ELNS1_3repE0EEENS1_47radix_sort_onesweep_sort_config_static_selectorELNS0_4arch9wavefront6targetE1EEEvSK_
                                        ; -- End function
	.section	.AMDGPU.csdata,"",@progbits
; Kernel info:
; codeLenInByte = 0
; NumSgprs: 6
; NumVgprs: 0
; NumAgprs: 0
; TotalNumVgprs: 0
; ScratchSize: 0
; MemoryBound: 0
; FloatMode: 240
; IeeeMode: 1
; LDSByteSize: 0 bytes/workgroup (compile time only)
; SGPRBlocks: 0
; VGPRBlocks: 0
; NumSGPRsForWavesPerEU: 6
; NumVGPRsForWavesPerEU: 1
; AccumOffset: 4
; Occupancy: 8
; WaveLimiterHint : 0
; COMPUTE_PGM_RSRC2:SCRATCH_EN: 0
; COMPUTE_PGM_RSRC2:USER_SGPR: 2
; COMPUTE_PGM_RSRC2:TRAP_HANDLER: 0
; COMPUTE_PGM_RSRC2:TGID_X_EN: 1
; COMPUTE_PGM_RSRC2:TGID_Y_EN: 0
; COMPUTE_PGM_RSRC2:TGID_Z_EN: 0
; COMPUTE_PGM_RSRC2:TIDIG_COMP_CNT: 0
; COMPUTE_PGM_RSRC3_GFX90A:ACCUM_OFFSET: 0
; COMPUTE_PGM_RSRC3_GFX90A:TG_SPLIT: 0
	.section	.text._ZN7rocprim17ROCPRIM_400000_NS6detail17trampoline_kernelINS0_14default_configENS1_35radix_sort_onesweep_config_selectorIiNS0_10empty_typeEEEZZNS1_29radix_sort_onesweep_iterationIS3_Lb0EN6thrust23THRUST_200600_302600_NS6detail15normal_iteratorINS9_10device_ptrIiEEEESE_PS5_SF_jNS0_19identity_decomposerENS1_16block_id_wrapperIjLb0EEEEE10hipError_tT1_PNSt15iterator_traitsISK_E10value_typeET2_T3_PNSL_ISQ_E10value_typeET4_T5_PSV_SW_PNS1_23onesweep_lookback_stateEbbT6_jjT7_P12ihipStream_tbENKUlT_T0_SK_SP_E_clIPiSE_SF_SF_EEDaS13_S14_SK_SP_EUlS13_E_NS1_11comp_targetILNS1_3genE0ELNS1_11target_archE4294967295ELNS1_3gpuE0ELNS1_3repE0EEENS1_47radix_sort_onesweep_sort_config_static_selectorELNS0_4arch9wavefront6targetE1EEEvSK_,"axG",@progbits,_ZN7rocprim17ROCPRIM_400000_NS6detail17trampoline_kernelINS0_14default_configENS1_35radix_sort_onesweep_config_selectorIiNS0_10empty_typeEEEZZNS1_29radix_sort_onesweep_iterationIS3_Lb0EN6thrust23THRUST_200600_302600_NS6detail15normal_iteratorINS9_10device_ptrIiEEEESE_PS5_SF_jNS0_19identity_decomposerENS1_16block_id_wrapperIjLb0EEEEE10hipError_tT1_PNSt15iterator_traitsISK_E10value_typeET2_T3_PNSL_ISQ_E10value_typeET4_T5_PSV_SW_PNS1_23onesweep_lookback_stateEbbT6_jjT7_P12ihipStream_tbENKUlT_T0_SK_SP_E_clIPiSE_SF_SF_EEDaS13_S14_SK_SP_EUlS13_E_NS1_11comp_targetILNS1_3genE0ELNS1_11target_archE4294967295ELNS1_3gpuE0ELNS1_3repE0EEENS1_47radix_sort_onesweep_sort_config_static_selectorELNS0_4arch9wavefront6targetE1EEEvSK_,comdat
	.protected	_ZN7rocprim17ROCPRIM_400000_NS6detail17trampoline_kernelINS0_14default_configENS1_35radix_sort_onesweep_config_selectorIiNS0_10empty_typeEEEZZNS1_29radix_sort_onesweep_iterationIS3_Lb0EN6thrust23THRUST_200600_302600_NS6detail15normal_iteratorINS9_10device_ptrIiEEEESE_PS5_SF_jNS0_19identity_decomposerENS1_16block_id_wrapperIjLb0EEEEE10hipError_tT1_PNSt15iterator_traitsISK_E10value_typeET2_T3_PNSL_ISQ_E10value_typeET4_T5_PSV_SW_PNS1_23onesweep_lookback_stateEbbT6_jjT7_P12ihipStream_tbENKUlT_T0_SK_SP_E_clIPiSE_SF_SF_EEDaS13_S14_SK_SP_EUlS13_E_NS1_11comp_targetILNS1_3genE0ELNS1_11target_archE4294967295ELNS1_3gpuE0ELNS1_3repE0EEENS1_47radix_sort_onesweep_sort_config_static_selectorELNS0_4arch9wavefront6targetE1EEEvSK_ ; -- Begin function _ZN7rocprim17ROCPRIM_400000_NS6detail17trampoline_kernelINS0_14default_configENS1_35radix_sort_onesweep_config_selectorIiNS0_10empty_typeEEEZZNS1_29radix_sort_onesweep_iterationIS3_Lb0EN6thrust23THRUST_200600_302600_NS6detail15normal_iteratorINS9_10device_ptrIiEEEESE_PS5_SF_jNS0_19identity_decomposerENS1_16block_id_wrapperIjLb0EEEEE10hipError_tT1_PNSt15iterator_traitsISK_E10value_typeET2_T3_PNSL_ISQ_E10value_typeET4_T5_PSV_SW_PNS1_23onesweep_lookback_stateEbbT6_jjT7_P12ihipStream_tbENKUlT_T0_SK_SP_E_clIPiSE_SF_SF_EEDaS13_S14_SK_SP_EUlS13_E_NS1_11comp_targetILNS1_3genE0ELNS1_11target_archE4294967295ELNS1_3gpuE0ELNS1_3repE0EEENS1_47radix_sort_onesweep_sort_config_static_selectorELNS0_4arch9wavefront6targetE1EEEvSK_
	.globl	_ZN7rocprim17ROCPRIM_400000_NS6detail17trampoline_kernelINS0_14default_configENS1_35radix_sort_onesweep_config_selectorIiNS0_10empty_typeEEEZZNS1_29radix_sort_onesweep_iterationIS3_Lb0EN6thrust23THRUST_200600_302600_NS6detail15normal_iteratorINS9_10device_ptrIiEEEESE_PS5_SF_jNS0_19identity_decomposerENS1_16block_id_wrapperIjLb0EEEEE10hipError_tT1_PNSt15iterator_traitsISK_E10value_typeET2_T3_PNSL_ISQ_E10value_typeET4_T5_PSV_SW_PNS1_23onesweep_lookback_stateEbbT6_jjT7_P12ihipStream_tbENKUlT_T0_SK_SP_E_clIPiSE_SF_SF_EEDaS13_S14_SK_SP_EUlS13_E_NS1_11comp_targetILNS1_3genE0ELNS1_11target_archE4294967295ELNS1_3gpuE0ELNS1_3repE0EEENS1_47radix_sort_onesweep_sort_config_static_selectorELNS0_4arch9wavefront6targetE1EEEvSK_
	.p2align	8
	.type	_ZN7rocprim17ROCPRIM_400000_NS6detail17trampoline_kernelINS0_14default_configENS1_35radix_sort_onesweep_config_selectorIiNS0_10empty_typeEEEZZNS1_29radix_sort_onesweep_iterationIS3_Lb0EN6thrust23THRUST_200600_302600_NS6detail15normal_iteratorINS9_10device_ptrIiEEEESE_PS5_SF_jNS0_19identity_decomposerENS1_16block_id_wrapperIjLb0EEEEE10hipError_tT1_PNSt15iterator_traitsISK_E10value_typeET2_T3_PNSL_ISQ_E10value_typeET4_T5_PSV_SW_PNS1_23onesweep_lookback_stateEbbT6_jjT7_P12ihipStream_tbENKUlT_T0_SK_SP_E_clIPiSE_SF_SF_EEDaS13_S14_SK_SP_EUlS13_E_NS1_11comp_targetILNS1_3genE0ELNS1_11target_archE4294967295ELNS1_3gpuE0ELNS1_3repE0EEENS1_47radix_sort_onesweep_sort_config_static_selectorELNS0_4arch9wavefront6targetE1EEEvSK_,@function
_ZN7rocprim17ROCPRIM_400000_NS6detail17trampoline_kernelINS0_14default_configENS1_35radix_sort_onesweep_config_selectorIiNS0_10empty_typeEEEZZNS1_29radix_sort_onesweep_iterationIS3_Lb0EN6thrust23THRUST_200600_302600_NS6detail15normal_iteratorINS9_10device_ptrIiEEEESE_PS5_SF_jNS0_19identity_decomposerENS1_16block_id_wrapperIjLb0EEEEE10hipError_tT1_PNSt15iterator_traitsISK_E10value_typeET2_T3_PNSL_ISQ_E10value_typeET4_T5_PSV_SW_PNS1_23onesweep_lookback_stateEbbT6_jjT7_P12ihipStream_tbENKUlT_T0_SK_SP_E_clIPiSE_SF_SF_EEDaS13_S14_SK_SP_EUlS13_E_NS1_11comp_targetILNS1_3genE0ELNS1_11target_archE4294967295ELNS1_3gpuE0ELNS1_3repE0EEENS1_47radix_sort_onesweep_sort_config_static_selectorELNS0_4arch9wavefront6targetE1EEEvSK_: ; @_ZN7rocprim17ROCPRIM_400000_NS6detail17trampoline_kernelINS0_14default_configENS1_35radix_sort_onesweep_config_selectorIiNS0_10empty_typeEEEZZNS1_29radix_sort_onesweep_iterationIS3_Lb0EN6thrust23THRUST_200600_302600_NS6detail15normal_iteratorINS9_10device_ptrIiEEEESE_PS5_SF_jNS0_19identity_decomposerENS1_16block_id_wrapperIjLb0EEEEE10hipError_tT1_PNSt15iterator_traitsISK_E10value_typeET2_T3_PNSL_ISQ_E10value_typeET4_T5_PSV_SW_PNS1_23onesweep_lookback_stateEbbT6_jjT7_P12ihipStream_tbENKUlT_T0_SK_SP_E_clIPiSE_SF_SF_EEDaS13_S14_SK_SP_EUlS13_E_NS1_11comp_targetILNS1_3genE0ELNS1_11target_archE4294967295ELNS1_3gpuE0ELNS1_3repE0EEENS1_47radix_sort_onesweep_sort_config_static_selectorELNS0_4arch9wavefront6targetE1EEEvSK_
; %bb.0:
	.section	.rodata,"a",@progbits
	.p2align	6, 0x0
	.amdhsa_kernel _ZN7rocprim17ROCPRIM_400000_NS6detail17trampoline_kernelINS0_14default_configENS1_35radix_sort_onesweep_config_selectorIiNS0_10empty_typeEEEZZNS1_29radix_sort_onesweep_iterationIS3_Lb0EN6thrust23THRUST_200600_302600_NS6detail15normal_iteratorINS9_10device_ptrIiEEEESE_PS5_SF_jNS0_19identity_decomposerENS1_16block_id_wrapperIjLb0EEEEE10hipError_tT1_PNSt15iterator_traitsISK_E10value_typeET2_T3_PNSL_ISQ_E10value_typeET4_T5_PSV_SW_PNS1_23onesweep_lookback_stateEbbT6_jjT7_P12ihipStream_tbENKUlT_T0_SK_SP_E_clIPiSE_SF_SF_EEDaS13_S14_SK_SP_EUlS13_E_NS1_11comp_targetILNS1_3genE0ELNS1_11target_archE4294967295ELNS1_3gpuE0ELNS1_3repE0EEENS1_47radix_sort_onesweep_sort_config_static_selectorELNS0_4arch9wavefront6targetE1EEEvSK_
		.amdhsa_group_segment_fixed_size 0
		.amdhsa_private_segment_fixed_size 0
		.amdhsa_kernarg_size 88
		.amdhsa_user_sgpr_count 2
		.amdhsa_user_sgpr_dispatch_ptr 0
		.amdhsa_user_sgpr_queue_ptr 0
		.amdhsa_user_sgpr_kernarg_segment_ptr 1
		.amdhsa_user_sgpr_dispatch_id 0
		.amdhsa_user_sgpr_kernarg_preload_length 0
		.amdhsa_user_sgpr_kernarg_preload_offset 0
		.amdhsa_user_sgpr_private_segment_size 0
		.amdhsa_uses_dynamic_stack 0
		.amdhsa_enable_private_segment 0
		.amdhsa_system_sgpr_workgroup_id_x 1
		.amdhsa_system_sgpr_workgroup_id_y 0
		.amdhsa_system_sgpr_workgroup_id_z 0
		.amdhsa_system_sgpr_workgroup_info 0
		.amdhsa_system_vgpr_workitem_id 0
		.amdhsa_next_free_vgpr 1
		.amdhsa_next_free_sgpr 0
		.amdhsa_accum_offset 4
		.amdhsa_reserve_vcc 0
		.amdhsa_float_round_mode_32 0
		.amdhsa_float_round_mode_16_64 0
		.amdhsa_float_denorm_mode_32 3
		.amdhsa_float_denorm_mode_16_64 3
		.amdhsa_dx10_clamp 1
		.amdhsa_ieee_mode 1
		.amdhsa_fp16_overflow 0
		.amdhsa_tg_split 0
		.amdhsa_exception_fp_ieee_invalid_op 0
		.amdhsa_exception_fp_denorm_src 0
		.amdhsa_exception_fp_ieee_div_zero 0
		.amdhsa_exception_fp_ieee_overflow 0
		.amdhsa_exception_fp_ieee_underflow 0
		.amdhsa_exception_fp_ieee_inexact 0
		.amdhsa_exception_int_div_zero 0
	.end_amdhsa_kernel
	.section	.text._ZN7rocprim17ROCPRIM_400000_NS6detail17trampoline_kernelINS0_14default_configENS1_35radix_sort_onesweep_config_selectorIiNS0_10empty_typeEEEZZNS1_29radix_sort_onesweep_iterationIS3_Lb0EN6thrust23THRUST_200600_302600_NS6detail15normal_iteratorINS9_10device_ptrIiEEEESE_PS5_SF_jNS0_19identity_decomposerENS1_16block_id_wrapperIjLb0EEEEE10hipError_tT1_PNSt15iterator_traitsISK_E10value_typeET2_T3_PNSL_ISQ_E10value_typeET4_T5_PSV_SW_PNS1_23onesweep_lookback_stateEbbT6_jjT7_P12ihipStream_tbENKUlT_T0_SK_SP_E_clIPiSE_SF_SF_EEDaS13_S14_SK_SP_EUlS13_E_NS1_11comp_targetILNS1_3genE0ELNS1_11target_archE4294967295ELNS1_3gpuE0ELNS1_3repE0EEENS1_47radix_sort_onesweep_sort_config_static_selectorELNS0_4arch9wavefront6targetE1EEEvSK_,"axG",@progbits,_ZN7rocprim17ROCPRIM_400000_NS6detail17trampoline_kernelINS0_14default_configENS1_35radix_sort_onesweep_config_selectorIiNS0_10empty_typeEEEZZNS1_29radix_sort_onesweep_iterationIS3_Lb0EN6thrust23THRUST_200600_302600_NS6detail15normal_iteratorINS9_10device_ptrIiEEEESE_PS5_SF_jNS0_19identity_decomposerENS1_16block_id_wrapperIjLb0EEEEE10hipError_tT1_PNSt15iterator_traitsISK_E10value_typeET2_T3_PNSL_ISQ_E10value_typeET4_T5_PSV_SW_PNS1_23onesweep_lookback_stateEbbT6_jjT7_P12ihipStream_tbENKUlT_T0_SK_SP_E_clIPiSE_SF_SF_EEDaS13_S14_SK_SP_EUlS13_E_NS1_11comp_targetILNS1_3genE0ELNS1_11target_archE4294967295ELNS1_3gpuE0ELNS1_3repE0EEENS1_47radix_sort_onesweep_sort_config_static_selectorELNS0_4arch9wavefront6targetE1EEEvSK_,comdat
.Lfunc_end1791:
	.size	_ZN7rocprim17ROCPRIM_400000_NS6detail17trampoline_kernelINS0_14default_configENS1_35radix_sort_onesweep_config_selectorIiNS0_10empty_typeEEEZZNS1_29radix_sort_onesweep_iterationIS3_Lb0EN6thrust23THRUST_200600_302600_NS6detail15normal_iteratorINS9_10device_ptrIiEEEESE_PS5_SF_jNS0_19identity_decomposerENS1_16block_id_wrapperIjLb0EEEEE10hipError_tT1_PNSt15iterator_traitsISK_E10value_typeET2_T3_PNSL_ISQ_E10value_typeET4_T5_PSV_SW_PNS1_23onesweep_lookback_stateEbbT6_jjT7_P12ihipStream_tbENKUlT_T0_SK_SP_E_clIPiSE_SF_SF_EEDaS13_S14_SK_SP_EUlS13_E_NS1_11comp_targetILNS1_3genE0ELNS1_11target_archE4294967295ELNS1_3gpuE0ELNS1_3repE0EEENS1_47radix_sort_onesweep_sort_config_static_selectorELNS0_4arch9wavefront6targetE1EEEvSK_, .Lfunc_end1791-_ZN7rocprim17ROCPRIM_400000_NS6detail17trampoline_kernelINS0_14default_configENS1_35radix_sort_onesweep_config_selectorIiNS0_10empty_typeEEEZZNS1_29radix_sort_onesweep_iterationIS3_Lb0EN6thrust23THRUST_200600_302600_NS6detail15normal_iteratorINS9_10device_ptrIiEEEESE_PS5_SF_jNS0_19identity_decomposerENS1_16block_id_wrapperIjLb0EEEEE10hipError_tT1_PNSt15iterator_traitsISK_E10value_typeET2_T3_PNSL_ISQ_E10value_typeET4_T5_PSV_SW_PNS1_23onesweep_lookback_stateEbbT6_jjT7_P12ihipStream_tbENKUlT_T0_SK_SP_E_clIPiSE_SF_SF_EEDaS13_S14_SK_SP_EUlS13_E_NS1_11comp_targetILNS1_3genE0ELNS1_11target_archE4294967295ELNS1_3gpuE0ELNS1_3repE0EEENS1_47radix_sort_onesweep_sort_config_static_selectorELNS0_4arch9wavefront6targetE1EEEvSK_
                                        ; -- End function
	.section	.AMDGPU.csdata,"",@progbits
; Kernel info:
; codeLenInByte = 0
; NumSgprs: 6
; NumVgprs: 0
; NumAgprs: 0
; TotalNumVgprs: 0
; ScratchSize: 0
; MemoryBound: 0
; FloatMode: 240
; IeeeMode: 1
; LDSByteSize: 0 bytes/workgroup (compile time only)
; SGPRBlocks: 0
; VGPRBlocks: 0
; NumSGPRsForWavesPerEU: 6
; NumVGPRsForWavesPerEU: 1
; AccumOffset: 4
; Occupancy: 8
; WaveLimiterHint : 0
; COMPUTE_PGM_RSRC2:SCRATCH_EN: 0
; COMPUTE_PGM_RSRC2:USER_SGPR: 2
; COMPUTE_PGM_RSRC2:TRAP_HANDLER: 0
; COMPUTE_PGM_RSRC2:TGID_X_EN: 1
; COMPUTE_PGM_RSRC2:TGID_Y_EN: 0
; COMPUTE_PGM_RSRC2:TGID_Z_EN: 0
; COMPUTE_PGM_RSRC2:TIDIG_COMP_CNT: 0
; COMPUTE_PGM_RSRC3_GFX90A:ACCUM_OFFSET: 0
; COMPUTE_PGM_RSRC3_GFX90A:TG_SPLIT: 0
	.section	.text._ZN7rocprim17ROCPRIM_400000_NS6detail17trampoline_kernelINS0_14default_configENS1_35radix_sort_onesweep_config_selectorIiNS0_10empty_typeEEEZZNS1_29radix_sort_onesweep_iterationIS3_Lb0EN6thrust23THRUST_200600_302600_NS6detail15normal_iteratorINS9_10device_ptrIiEEEESE_PS5_SF_jNS0_19identity_decomposerENS1_16block_id_wrapperIjLb0EEEEE10hipError_tT1_PNSt15iterator_traitsISK_E10value_typeET2_T3_PNSL_ISQ_E10value_typeET4_T5_PSV_SW_PNS1_23onesweep_lookback_stateEbbT6_jjT7_P12ihipStream_tbENKUlT_T0_SK_SP_E_clIPiSE_SF_SF_EEDaS13_S14_SK_SP_EUlS13_E_NS1_11comp_targetILNS1_3genE6ELNS1_11target_archE950ELNS1_3gpuE13ELNS1_3repE0EEENS1_47radix_sort_onesweep_sort_config_static_selectorELNS0_4arch9wavefront6targetE1EEEvSK_,"axG",@progbits,_ZN7rocprim17ROCPRIM_400000_NS6detail17trampoline_kernelINS0_14default_configENS1_35radix_sort_onesweep_config_selectorIiNS0_10empty_typeEEEZZNS1_29radix_sort_onesweep_iterationIS3_Lb0EN6thrust23THRUST_200600_302600_NS6detail15normal_iteratorINS9_10device_ptrIiEEEESE_PS5_SF_jNS0_19identity_decomposerENS1_16block_id_wrapperIjLb0EEEEE10hipError_tT1_PNSt15iterator_traitsISK_E10value_typeET2_T3_PNSL_ISQ_E10value_typeET4_T5_PSV_SW_PNS1_23onesweep_lookback_stateEbbT6_jjT7_P12ihipStream_tbENKUlT_T0_SK_SP_E_clIPiSE_SF_SF_EEDaS13_S14_SK_SP_EUlS13_E_NS1_11comp_targetILNS1_3genE6ELNS1_11target_archE950ELNS1_3gpuE13ELNS1_3repE0EEENS1_47radix_sort_onesweep_sort_config_static_selectorELNS0_4arch9wavefront6targetE1EEEvSK_,comdat
	.protected	_ZN7rocprim17ROCPRIM_400000_NS6detail17trampoline_kernelINS0_14default_configENS1_35radix_sort_onesweep_config_selectorIiNS0_10empty_typeEEEZZNS1_29radix_sort_onesweep_iterationIS3_Lb0EN6thrust23THRUST_200600_302600_NS6detail15normal_iteratorINS9_10device_ptrIiEEEESE_PS5_SF_jNS0_19identity_decomposerENS1_16block_id_wrapperIjLb0EEEEE10hipError_tT1_PNSt15iterator_traitsISK_E10value_typeET2_T3_PNSL_ISQ_E10value_typeET4_T5_PSV_SW_PNS1_23onesweep_lookback_stateEbbT6_jjT7_P12ihipStream_tbENKUlT_T0_SK_SP_E_clIPiSE_SF_SF_EEDaS13_S14_SK_SP_EUlS13_E_NS1_11comp_targetILNS1_3genE6ELNS1_11target_archE950ELNS1_3gpuE13ELNS1_3repE0EEENS1_47radix_sort_onesweep_sort_config_static_selectorELNS0_4arch9wavefront6targetE1EEEvSK_ ; -- Begin function _ZN7rocprim17ROCPRIM_400000_NS6detail17trampoline_kernelINS0_14default_configENS1_35radix_sort_onesweep_config_selectorIiNS0_10empty_typeEEEZZNS1_29radix_sort_onesweep_iterationIS3_Lb0EN6thrust23THRUST_200600_302600_NS6detail15normal_iteratorINS9_10device_ptrIiEEEESE_PS5_SF_jNS0_19identity_decomposerENS1_16block_id_wrapperIjLb0EEEEE10hipError_tT1_PNSt15iterator_traitsISK_E10value_typeET2_T3_PNSL_ISQ_E10value_typeET4_T5_PSV_SW_PNS1_23onesweep_lookback_stateEbbT6_jjT7_P12ihipStream_tbENKUlT_T0_SK_SP_E_clIPiSE_SF_SF_EEDaS13_S14_SK_SP_EUlS13_E_NS1_11comp_targetILNS1_3genE6ELNS1_11target_archE950ELNS1_3gpuE13ELNS1_3repE0EEENS1_47radix_sort_onesweep_sort_config_static_selectorELNS0_4arch9wavefront6targetE1EEEvSK_
	.globl	_ZN7rocprim17ROCPRIM_400000_NS6detail17trampoline_kernelINS0_14default_configENS1_35radix_sort_onesweep_config_selectorIiNS0_10empty_typeEEEZZNS1_29radix_sort_onesweep_iterationIS3_Lb0EN6thrust23THRUST_200600_302600_NS6detail15normal_iteratorINS9_10device_ptrIiEEEESE_PS5_SF_jNS0_19identity_decomposerENS1_16block_id_wrapperIjLb0EEEEE10hipError_tT1_PNSt15iterator_traitsISK_E10value_typeET2_T3_PNSL_ISQ_E10value_typeET4_T5_PSV_SW_PNS1_23onesweep_lookback_stateEbbT6_jjT7_P12ihipStream_tbENKUlT_T0_SK_SP_E_clIPiSE_SF_SF_EEDaS13_S14_SK_SP_EUlS13_E_NS1_11comp_targetILNS1_3genE6ELNS1_11target_archE950ELNS1_3gpuE13ELNS1_3repE0EEENS1_47radix_sort_onesweep_sort_config_static_selectorELNS0_4arch9wavefront6targetE1EEEvSK_
	.p2align	8
	.type	_ZN7rocprim17ROCPRIM_400000_NS6detail17trampoline_kernelINS0_14default_configENS1_35radix_sort_onesweep_config_selectorIiNS0_10empty_typeEEEZZNS1_29radix_sort_onesweep_iterationIS3_Lb0EN6thrust23THRUST_200600_302600_NS6detail15normal_iteratorINS9_10device_ptrIiEEEESE_PS5_SF_jNS0_19identity_decomposerENS1_16block_id_wrapperIjLb0EEEEE10hipError_tT1_PNSt15iterator_traitsISK_E10value_typeET2_T3_PNSL_ISQ_E10value_typeET4_T5_PSV_SW_PNS1_23onesweep_lookback_stateEbbT6_jjT7_P12ihipStream_tbENKUlT_T0_SK_SP_E_clIPiSE_SF_SF_EEDaS13_S14_SK_SP_EUlS13_E_NS1_11comp_targetILNS1_3genE6ELNS1_11target_archE950ELNS1_3gpuE13ELNS1_3repE0EEENS1_47radix_sort_onesweep_sort_config_static_selectorELNS0_4arch9wavefront6targetE1EEEvSK_,@function
_ZN7rocprim17ROCPRIM_400000_NS6detail17trampoline_kernelINS0_14default_configENS1_35radix_sort_onesweep_config_selectorIiNS0_10empty_typeEEEZZNS1_29radix_sort_onesweep_iterationIS3_Lb0EN6thrust23THRUST_200600_302600_NS6detail15normal_iteratorINS9_10device_ptrIiEEEESE_PS5_SF_jNS0_19identity_decomposerENS1_16block_id_wrapperIjLb0EEEEE10hipError_tT1_PNSt15iterator_traitsISK_E10value_typeET2_T3_PNSL_ISQ_E10value_typeET4_T5_PSV_SW_PNS1_23onesweep_lookback_stateEbbT6_jjT7_P12ihipStream_tbENKUlT_T0_SK_SP_E_clIPiSE_SF_SF_EEDaS13_S14_SK_SP_EUlS13_E_NS1_11comp_targetILNS1_3genE6ELNS1_11target_archE950ELNS1_3gpuE13ELNS1_3repE0EEENS1_47radix_sort_onesweep_sort_config_static_selectorELNS0_4arch9wavefront6targetE1EEEvSK_: ; @_ZN7rocprim17ROCPRIM_400000_NS6detail17trampoline_kernelINS0_14default_configENS1_35radix_sort_onesweep_config_selectorIiNS0_10empty_typeEEEZZNS1_29radix_sort_onesweep_iterationIS3_Lb0EN6thrust23THRUST_200600_302600_NS6detail15normal_iteratorINS9_10device_ptrIiEEEESE_PS5_SF_jNS0_19identity_decomposerENS1_16block_id_wrapperIjLb0EEEEE10hipError_tT1_PNSt15iterator_traitsISK_E10value_typeET2_T3_PNSL_ISQ_E10value_typeET4_T5_PSV_SW_PNS1_23onesweep_lookback_stateEbbT6_jjT7_P12ihipStream_tbENKUlT_T0_SK_SP_E_clIPiSE_SF_SF_EEDaS13_S14_SK_SP_EUlS13_E_NS1_11comp_targetILNS1_3genE6ELNS1_11target_archE950ELNS1_3gpuE13ELNS1_3repE0EEENS1_47radix_sort_onesweep_sort_config_static_selectorELNS0_4arch9wavefront6targetE1EEEvSK_
; %bb.0:
	.section	.rodata,"a",@progbits
	.p2align	6, 0x0
	.amdhsa_kernel _ZN7rocprim17ROCPRIM_400000_NS6detail17trampoline_kernelINS0_14default_configENS1_35radix_sort_onesweep_config_selectorIiNS0_10empty_typeEEEZZNS1_29radix_sort_onesweep_iterationIS3_Lb0EN6thrust23THRUST_200600_302600_NS6detail15normal_iteratorINS9_10device_ptrIiEEEESE_PS5_SF_jNS0_19identity_decomposerENS1_16block_id_wrapperIjLb0EEEEE10hipError_tT1_PNSt15iterator_traitsISK_E10value_typeET2_T3_PNSL_ISQ_E10value_typeET4_T5_PSV_SW_PNS1_23onesweep_lookback_stateEbbT6_jjT7_P12ihipStream_tbENKUlT_T0_SK_SP_E_clIPiSE_SF_SF_EEDaS13_S14_SK_SP_EUlS13_E_NS1_11comp_targetILNS1_3genE6ELNS1_11target_archE950ELNS1_3gpuE13ELNS1_3repE0EEENS1_47radix_sort_onesweep_sort_config_static_selectorELNS0_4arch9wavefront6targetE1EEEvSK_
		.amdhsa_group_segment_fixed_size 0
		.amdhsa_private_segment_fixed_size 0
		.amdhsa_kernarg_size 88
		.amdhsa_user_sgpr_count 2
		.amdhsa_user_sgpr_dispatch_ptr 0
		.amdhsa_user_sgpr_queue_ptr 0
		.amdhsa_user_sgpr_kernarg_segment_ptr 1
		.amdhsa_user_sgpr_dispatch_id 0
		.amdhsa_user_sgpr_kernarg_preload_length 0
		.amdhsa_user_sgpr_kernarg_preload_offset 0
		.amdhsa_user_sgpr_private_segment_size 0
		.amdhsa_uses_dynamic_stack 0
		.amdhsa_enable_private_segment 0
		.amdhsa_system_sgpr_workgroup_id_x 1
		.amdhsa_system_sgpr_workgroup_id_y 0
		.amdhsa_system_sgpr_workgroup_id_z 0
		.amdhsa_system_sgpr_workgroup_info 0
		.amdhsa_system_vgpr_workitem_id 0
		.amdhsa_next_free_vgpr 1
		.amdhsa_next_free_sgpr 0
		.amdhsa_accum_offset 4
		.amdhsa_reserve_vcc 0
		.amdhsa_float_round_mode_32 0
		.amdhsa_float_round_mode_16_64 0
		.amdhsa_float_denorm_mode_32 3
		.amdhsa_float_denorm_mode_16_64 3
		.amdhsa_dx10_clamp 1
		.amdhsa_ieee_mode 1
		.amdhsa_fp16_overflow 0
		.amdhsa_tg_split 0
		.amdhsa_exception_fp_ieee_invalid_op 0
		.amdhsa_exception_fp_denorm_src 0
		.amdhsa_exception_fp_ieee_div_zero 0
		.amdhsa_exception_fp_ieee_overflow 0
		.amdhsa_exception_fp_ieee_underflow 0
		.amdhsa_exception_fp_ieee_inexact 0
		.amdhsa_exception_int_div_zero 0
	.end_amdhsa_kernel
	.section	.text._ZN7rocprim17ROCPRIM_400000_NS6detail17trampoline_kernelINS0_14default_configENS1_35radix_sort_onesweep_config_selectorIiNS0_10empty_typeEEEZZNS1_29radix_sort_onesweep_iterationIS3_Lb0EN6thrust23THRUST_200600_302600_NS6detail15normal_iteratorINS9_10device_ptrIiEEEESE_PS5_SF_jNS0_19identity_decomposerENS1_16block_id_wrapperIjLb0EEEEE10hipError_tT1_PNSt15iterator_traitsISK_E10value_typeET2_T3_PNSL_ISQ_E10value_typeET4_T5_PSV_SW_PNS1_23onesweep_lookback_stateEbbT6_jjT7_P12ihipStream_tbENKUlT_T0_SK_SP_E_clIPiSE_SF_SF_EEDaS13_S14_SK_SP_EUlS13_E_NS1_11comp_targetILNS1_3genE6ELNS1_11target_archE950ELNS1_3gpuE13ELNS1_3repE0EEENS1_47radix_sort_onesweep_sort_config_static_selectorELNS0_4arch9wavefront6targetE1EEEvSK_,"axG",@progbits,_ZN7rocprim17ROCPRIM_400000_NS6detail17trampoline_kernelINS0_14default_configENS1_35radix_sort_onesweep_config_selectorIiNS0_10empty_typeEEEZZNS1_29radix_sort_onesweep_iterationIS3_Lb0EN6thrust23THRUST_200600_302600_NS6detail15normal_iteratorINS9_10device_ptrIiEEEESE_PS5_SF_jNS0_19identity_decomposerENS1_16block_id_wrapperIjLb0EEEEE10hipError_tT1_PNSt15iterator_traitsISK_E10value_typeET2_T3_PNSL_ISQ_E10value_typeET4_T5_PSV_SW_PNS1_23onesweep_lookback_stateEbbT6_jjT7_P12ihipStream_tbENKUlT_T0_SK_SP_E_clIPiSE_SF_SF_EEDaS13_S14_SK_SP_EUlS13_E_NS1_11comp_targetILNS1_3genE6ELNS1_11target_archE950ELNS1_3gpuE13ELNS1_3repE0EEENS1_47radix_sort_onesweep_sort_config_static_selectorELNS0_4arch9wavefront6targetE1EEEvSK_,comdat
.Lfunc_end1792:
	.size	_ZN7rocprim17ROCPRIM_400000_NS6detail17trampoline_kernelINS0_14default_configENS1_35radix_sort_onesweep_config_selectorIiNS0_10empty_typeEEEZZNS1_29radix_sort_onesweep_iterationIS3_Lb0EN6thrust23THRUST_200600_302600_NS6detail15normal_iteratorINS9_10device_ptrIiEEEESE_PS5_SF_jNS0_19identity_decomposerENS1_16block_id_wrapperIjLb0EEEEE10hipError_tT1_PNSt15iterator_traitsISK_E10value_typeET2_T3_PNSL_ISQ_E10value_typeET4_T5_PSV_SW_PNS1_23onesweep_lookback_stateEbbT6_jjT7_P12ihipStream_tbENKUlT_T0_SK_SP_E_clIPiSE_SF_SF_EEDaS13_S14_SK_SP_EUlS13_E_NS1_11comp_targetILNS1_3genE6ELNS1_11target_archE950ELNS1_3gpuE13ELNS1_3repE0EEENS1_47radix_sort_onesweep_sort_config_static_selectorELNS0_4arch9wavefront6targetE1EEEvSK_, .Lfunc_end1792-_ZN7rocprim17ROCPRIM_400000_NS6detail17trampoline_kernelINS0_14default_configENS1_35radix_sort_onesweep_config_selectorIiNS0_10empty_typeEEEZZNS1_29radix_sort_onesweep_iterationIS3_Lb0EN6thrust23THRUST_200600_302600_NS6detail15normal_iteratorINS9_10device_ptrIiEEEESE_PS5_SF_jNS0_19identity_decomposerENS1_16block_id_wrapperIjLb0EEEEE10hipError_tT1_PNSt15iterator_traitsISK_E10value_typeET2_T3_PNSL_ISQ_E10value_typeET4_T5_PSV_SW_PNS1_23onesweep_lookback_stateEbbT6_jjT7_P12ihipStream_tbENKUlT_T0_SK_SP_E_clIPiSE_SF_SF_EEDaS13_S14_SK_SP_EUlS13_E_NS1_11comp_targetILNS1_3genE6ELNS1_11target_archE950ELNS1_3gpuE13ELNS1_3repE0EEENS1_47radix_sort_onesweep_sort_config_static_selectorELNS0_4arch9wavefront6targetE1EEEvSK_
                                        ; -- End function
	.section	.AMDGPU.csdata,"",@progbits
; Kernel info:
; codeLenInByte = 0
; NumSgprs: 6
; NumVgprs: 0
; NumAgprs: 0
; TotalNumVgprs: 0
; ScratchSize: 0
; MemoryBound: 0
; FloatMode: 240
; IeeeMode: 1
; LDSByteSize: 0 bytes/workgroup (compile time only)
; SGPRBlocks: 0
; VGPRBlocks: 0
; NumSGPRsForWavesPerEU: 6
; NumVGPRsForWavesPerEU: 1
; AccumOffset: 4
; Occupancy: 8
; WaveLimiterHint : 0
; COMPUTE_PGM_RSRC2:SCRATCH_EN: 0
; COMPUTE_PGM_RSRC2:USER_SGPR: 2
; COMPUTE_PGM_RSRC2:TRAP_HANDLER: 0
; COMPUTE_PGM_RSRC2:TGID_X_EN: 1
; COMPUTE_PGM_RSRC2:TGID_Y_EN: 0
; COMPUTE_PGM_RSRC2:TGID_Z_EN: 0
; COMPUTE_PGM_RSRC2:TIDIG_COMP_CNT: 0
; COMPUTE_PGM_RSRC3_GFX90A:ACCUM_OFFSET: 0
; COMPUTE_PGM_RSRC3_GFX90A:TG_SPLIT: 0
	.section	.text._ZN7rocprim17ROCPRIM_400000_NS6detail17trampoline_kernelINS0_14default_configENS1_35radix_sort_onesweep_config_selectorIiNS0_10empty_typeEEEZZNS1_29radix_sort_onesweep_iterationIS3_Lb0EN6thrust23THRUST_200600_302600_NS6detail15normal_iteratorINS9_10device_ptrIiEEEESE_PS5_SF_jNS0_19identity_decomposerENS1_16block_id_wrapperIjLb0EEEEE10hipError_tT1_PNSt15iterator_traitsISK_E10value_typeET2_T3_PNSL_ISQ_E10value_typeET4_T5_PSV_SW_PNS1_23onesweep_lookback_stateEbbT6_jjT7_P12ihipStream_tbENKUlT_T0_SK_SP_E_clIPiSE_SF_SF_EEDaS13_S14_SK_SP_EUlS13_E_NS1_11comp_targetILNS1_3genE5ELNS1_11target_archE942ELNS1_3gpuE9ELNS1_3repE0EEENS1_47radix_sort_onesweep_sort_config_static_selectorELNS0_4arch9wavefront6targetE1EEEvSK_,"axG",@progbits,_ZN7rocprim17ROCPRIM_400000_NS6detail17trampoline_kernelINS0_14default_configENS1_35radix_sort_onesweep_config_selectorIiNS0_10empty_typeEEEZZNS1_29radix_sort_onesweep_iterationIS3_Lb0EN6thrust23THRUST_200600_302600_NS6detail15normal_iteratorINS9_10device_ptrIiEEEESE_PS5_SF_jNS0_19identity_decomposerENS1_16block_id_wrapperIjLb0EEEEE10hipError_tT1_PNSt15iterator_traitsISK_E10value_typeET2_T3_PNSL_ISQ_E10value_typeET4_T5_PSV_SW_PNS1_23onesweep_lookback_stateEbbT6_jjT7_P12ihipStream_tbENKUlT_T0_SK_SP_E_clIPiSE_SF_SF_EEDaS13_S14_SK_SP_EUlS13_E_NS1_11comp_targetILNS1_3genE5ELNS1_11target_archE942ELNS1_3gpuE9ELNS1_3repE0EEENS1_47radix_sort_onesweep_sort_config_static_selectorELNS0_4arch9wavefront6targetE1EEEvSK_,comdat
	.protected	_ZN7rocprim17ROCPRIM_400000_NS6detail17trampoline_kernelINS0_14default_configENS1_35radix_sort_onesweep_config_selectorIiNS0_10empty_typeEEEZZNS1_29radix_sort_onesweep_iterationIS3_Lb0EN6thrust23THRUST_200600_302600_NS6detail15normal_iteratorINS9_10device_ptrIiEEEESE_PS5_SF_jNS0_19identity_decomposerENS1_16block_id_wrapperIjLb0EEEEE10hipError_tT1_PNSt15iterator_traitsISK_E10value_typeET2_T3_PNSL_ISQ_E10value_typeET4_T5_PSV_SW_PNS1_23onesweep_lookback_stateEbbT6_jjT7_P12ihipStream_tbENKUlT_T0_SK_SP_E_clIPiSE_SF_SF_EEDaS13_S14_SK_SP_EUlS13_E_NS1_11comp_targetILNS1_3genE5ELNS1_11target_archE942ELNS1_3gpuE9ELNS1_3repE0EEENS1_47radix_sort_onesweep_sort_config_static_selectorELNS0_4arch9wavefront6targetE1EEEvSK_ ; -- Begin function _ZN7rocprim17ROCPRIM_400000_NS6detail17trampoline_kernelINS0_14default_configENS1_35radix_sort_onesweep_config_selectorIiNS0_10empty_typeEEEZZNS1_29radix_sort_onesweep_iterationIS3_Lb0EN6thrust23THRUST_200600_302600_NS6detail15normal_iteratorINS9_10device_ptrIiEEEESE_PS5_SF_jNS0_19identity_decomposerENS1_16block_id_wrapperIjLb0EEEEE10hipError_tT1_PNSt15iterator_traitsISK_E10value_typeET2_T3_PNSL_ISQ_E10value_typeET4_T5_PSV_SW_PNS1_23onesweep_lookback_stateEbbT6_jjT7_P12ihipStream_tbENKUlT_T0_SK_SP_E_clIPiSE_SF_SF_EEDaS13_S14_SK_SP_EUlS13_E_NS1_11comp_targetILNS1_3genE5ELNS1_11target_archE942ELNS1_3gpuE9ELNS1_3repE0EEENS1_47radix_sort_onesweep_sort_config_static_selectorELNS0_4arch9wavefront6targetE1EEEvSK_
	.globl	_ZN7rocprim17ROCPRIM_400000_NS6detail17trampoline_kernelINS0_14default_configENS1_35radix_sort_onesweep_config_selectorIiNS0_10empty_typeEEEZZNS1_29radix_sort_onesweep_iterationIS3_Lb0EN6thrust23THRUST_200600_302600_NS6detail15normal_iteratorINS9_10device_ptrIiEEEESE_PS5_SF_jNS0_19identity_decomposerENS1_16block_id_wrapperIjLb0EEEEE10hipError_tT1_PNSt15iterator_traitsISK_E10value_typeET2_T3_PNSL_ISQ_E10value_typeET4_T5_PSV_SW_PNS1_23onesweep_lookback_stateEbbT6_jjT7_P12ihipStream_tbENKUlT_T0_SK_SP_E_clIPiSE_SF_SF_EEDaS13_S14_SK_SP_EUlS13_E_NS1_11comp_targetILNS1_3genE5ELNS1_11target_archE942ELNS1_3gpuE9ELNS1_3repE0EEENS1_47radix_sort_onesweep_sort_config_static_selectorELNS0_4arch9wavefront6targetE1EEEvSK_
	.p2align	8
	.type	_ZN7rocprim17ROCPRIM_400000_NS6detail17trampoline_kernelINS0_14default_configENS1_35radix_sort_onesweep_config_selectorIiNS0_10empty_typeEEEZZNS1_29radix_sort_onesweep_iterationIS3_Lb0EN6thrust23THRUST_200600_302600_NS6detail15normal_iteratorINS9_10device_ptrIiEEEESE_PS5_SF_jNS0_19identity_decomposerENS1_16block_id_wrapperIjLb0EEEEE10hipError_tT1_PNSt15iterator_traitsISK_E10value_typeET2_T3_PNSL_ISQ_E10value_typeET4_T5_PSV_SW_PNS1_23onesweep_lookback_stateEbbT6_jjT7_P12ihipStream_tbENKUlT_T0_SK_SP_E_clIPiSE_SF_SF_EEDaS13_S14_SK_SP_EUlS13_E_NS1_11comp_targetILNS1_3genE5ELNS1_11target_archE942ELNS1_3gpuE9ELNS1_3repE0EEENS1_47radix_sort_onesweep_sort_config_static_selectorELNS0_4arch9wavefront6targetE1EEEvSK_,@function
_ZN7rocprim17ROCPRIM_400000_NS6detail17trampoline_kernelINS0_14default_configENS1_35radix_sort_onesweep_config_selectorIiNS0_10empty_typeEEEZZNS1_29radix_sort_onesweep_iterationIS3_Lb0EN6thrust23THRUST_200600_302600_NS6detail15normal_iteratorINS9_10device_ptrIiEEEESE_PS5_SF_jNS0_19identity_decomposerENS1_16block_id_wrapperIjLb0EEEEE10hipError_tT1_PNSt15iterator_traitsISK_E10value_typeET2_T3_PNSL_ISQ_E10value_typeET4_T5_PSV_SW_PNS1_23onesweep_lookback_stateEbbT6_jjT7_P12ihipStream_tbENKUlT_T0_SK_SP_E_clIPiSE_SF_SF_EEDaS13_S14_SK_SP_EUlS13_E_NS1_11comp_targetILNS1_3genE5ELNS1_11target_archE942ELNS1_3gpuE9ELNS1_3repE0EEENS1_47radix_sort_onesweep_sort_config_static_selectorELNS0_4arch9wavefront6targetE1EEEvSK_: ; @_ZN7rocprim17ROCPRIM_400000_NS6detail17trampoline_kernelINS0_14default_configENS1_35radix_sort_onesweep_config_selectorIiNS0_10empty_typeEEEZZNS1_29radix_sort_onesweep_iterationIS3_Lb0EN6thrust23THRUST_200600_302600_NS6detail15normal_iteratorINS9_10device_ptrIiEEEESE_PS5_SF_jNS0_19identity_decomposerENS1_16block_id_wrapperIjLb0EEEEE10hipError_tT1_PNSt15iterator_traitsISK_E10value_typeET2_T3_PNSL_ISQ_E10value_typeET4_T5_PSV_SW_PNS1_23onesweep_lookback_stateEbbT6_jjT7_P12ihipStream_tbENKUlT_T0_SK_SP_E_clIPiSE_SF_SF_EEDaS13_S14_SK_SP_EUlS13_E_NS1_11comp_targetILNS1_3genE5ELNS1_11target_archE942ELNS1_3gpuE9ELNS1_3repE0EEENS1_47radix_sort_onesweep_sort_config_static_selectorELNS0_4arch9wavefront6targetE1EEEvSK_
; %bb.0:
	s_load_dwordx2 s[28:29], s[0:1], 0x38
	s_load_dwordx4 s[20:23], s[0:1], 0x44
	s_load_dwordx4 s[24:27], s[0:1], 0x0
	;; [unrolled: 1-line block ×3, first 2 shown]
	v_mbcnt_lo_u32_b32 v1, -1, 0
	s_waitcnt lgkmcnt(0)
	s_cmp_ge_u32 s2, s22
	s_cbranch_scc0 .LBB1793_79
; %bb.1:
	s_load_dword s3, s[0:1], 0x20
	s_lshl_b32 s6, s22, 13
	s_lshl_b32 s4, s2, 13
	s_mov_b32 s5, 0
	v_and_b32_e32 v10, 0x3ff, v0
	s_waitcnt lgkmcnt(0)
	s_sub_i32 s3, s3, s6
	s_lshl_b64 s[4:5], s[4:5], 2
	v_mbcnt_hi_u32_b32 v16, -1, v1
	s_add_u32 s4, s24, s4
	v_and_b32_e32 v6, 63, v16
	v_lshlrev_b32_e32 v2, 3, v10
	s_addc_u32 s5, s25, s5
	v_and_b32_e32 v7, 0x1e00, v2
	v_lshlrev_b32_e32 v2, 2, v6
	v_mov_b32_e32 v3, 0
	v_lshl_add_u64 v[4:5], s[4:5], 0, v[2:3]
	s_brev_b32 s4, -2
	v_lshlrev_b32_e32 v2, 2, v7
	s_mov_b32 s5, s4
	v_lshl_add_u64 v[12:13], v[4:5], 0, v[2:3]
	v_or_b32_e32 v11, v6, v7
	s_mov_b32 s6, s4
	s_mov_b32 s7, s4
	;; [unrolled: 1-line block ×6, first 2 shown]
	v_mov_b64_e32 v[2:3], s[4:5]
	v_cmp_gt_u32_e32 vcc, s3, v11
	v_mov_b64_e32 v[4:5], s[6:7]
	v_mov_b64_e32 v[6:7], s[8:9]
	;; [unrolled: 1-line block ×3, first 2 shown]
	s_and_saveexec_b64 s[4:5], vcc
	s_cbranch_execz .LBB1793_3
; %bb.2:
	global_load_dword v2, v[12:13], off
	v_bfrev_b32_e32 v3, -2
	v_mov_b32_e32 v4, v3
	v_mov_b32_e32 v5, v3
	;; [unrolled: 1-line block ×6, first 2 shown]
.LBB1793_3:
	s_or_b64 exec, exec, s[4:5]
	v_or_b32_e32 v14, 64, v11
	v_cmp_gt_u32_e32 vcc, s3, v14
	s_and_saveexec_b64 s[4:5], vcc
	s_cbranch_execz .LBB1793_5
; %bb.4:
	global_load_dword v3, v[12:13], off offset:256
.LBB1793_5:
	s_or_b64 exec, exec, s[4:5]
	v_or_b32_e32 v14, 0x80, v11
	v_cmp_gt_u32_e32 vcc, s3, v14
	s_and_saveexec_b64 s[4:5], vcc
	s_cbranch_execz .LBB1793_7
; %bb.6:
	global_load_dword v4, v[12:13], off offset:512
.LBB1793_7:
	;; [unrolled: 8-line block ×7, first 2 shown]
	s_or_b64 exec, exec, s[4:5]
	s_load_dword s4, s[0:1], 0x64
	s_load_dword s22, s[0:1], 0x58
	s_add_u32 s5, s0, 0x58
	s_addc_u32 s6, s1, 0
	v_mov_b32_e32 v13, 0
	s_waitcnt lgkmcnt(0)
	s_lshr_b32 s7, s4, 16
	s_cmp_lt_u32 s2, s22
	s_cselect_b32 s4, 12, 18
	s_add_u32 s4, s5, s4
	s_addc_u32 s5, s6, 0
	global_load_ushort v17, v13, s[4:5]
	s_waitcnt vmcnt(1)
	v_xor_b32_e32 v11, 0x80000000, v2
	s_lshl_b32 s4, -1, s21
	v_lshrrev_b32_e32 v15, s20, v11
	s_not_b32 s23, s4
	v_bfe_u32 v2, v0, 10, 10
	v_bfe_u32 v12, v0, 20, 10
	v_and_b32_e32 v19, s23, v15
	v_mul_u32_u24_e32 v14, 5, v10
	v_mad_u32_u24 v2, v12, s7, v2
	v_and_b32_e32 v12, 1, v19
	v_lshlrev_b32_e32 v15, 30, v19
	v_lshlrev_b32_e32 v18, 2, v14
	v_mov_b32_e32 v14, v13
	v_mov_b32_e32 v22, v13
	v_lshlrev_b32_e32 v21, 29, v19
	v_lshlrev_b32_e32 v23, 28, v19
	v_lshl_add_u64 v[30:31], v[12:13], 0, -1
	v_cmp_ne_u32_e32 vcc, 0, v12
	v_not_b32_e32 v12, v15
	v_mov_b32_e32 v20, v13
	v_mov_b32_e32 v24, v13
	v_lshlrev_b32_e32 v25, 27, v19
	v_cmp_gt_i64_e64 s[4:5], 0, v[14:15]
	v_not_b32_e32 v14, v21
	v_cmp_gt_i64_e64 s[8:9], 0, v[22:23]
	v_not_b32_e32 v15, v23
	v_xor_b32_e32 v23, vcc_hi, v31
	v_ashrrev_i32_e32 v12, 31, v12
	v_mov_b32_e32 v26, v13
	v_lshlrev_b32_e32 v27, 26, v19
	v_cmp_gt_i64_e64 s[6:7], 0, v[20:21]
	v_cmp_gt_i64_e64 s[10:11], 0, v[24:25]
	v_not_b32_e32 v20, v25
	v_xor_b32_e32 v24, vcc_lo, v30
	v_ashrrev_i32_e32 v14, 31, v14
	v_and_b32_e32 v23, exec_hi, v23
	v_xor_b32_e32 v25, s5, v12
	v_cmp_gt_i64_e64 s[12:13], 0, v[26:27]
	v_ashrrev_i32_e32 v15, 31, v15
	v_and_b32_e32 v24, exec_lo, v24
	v_xor_b32_e32 v12, s4, v12
	v_xor_b32_e32 v26, s7, v14
	v_and_b32_e32 v23, v23, v25
	v_mov_b32_e32 v28, v13
	v_lshlrev_b32_e32 v29, 25, v19
	v_not_b32_e32 v21, v27
	v_ashrrev_i32_e32 v20, 31, v20
	v_xor_b32_e32 v14, s6, v14
	v_xor_b32_e32 v27, s9, v15
	v_and_b32_e32 v12, v24, v12
	v_and_b32_e32 v23, v23, v26
	v_cmp_gt_i64_e64 s[14:15], 0, v[28:29]
	v_not_b32_e32 v22, v29
	v_ashrrev_i32_e32 v21, 31, v21
	v_xor_b32_e32 v28, s11, v20
	v_and_b32_e32 v12, v12, v14
	v_and_b32_e32 v14, v23, v27
	v_ashrrev_i32_e32 v22, 31, v22
	v_xor_b32_e32 v15, s8, v15
	v_xor_b32_e32 v29, s13, v21
	v_and_b32_e32 v14, v14, v28
	v_xor_b32_e32 v20, s10, v20
	v_xor_b32_e32 v30, s15, v22
	v_and_b32_e32 v12, v12, v15
	v_and_b32_e32 v14, v14, v29
	;; [unrolled: 1-line block ×4, first 2 shown]
	v_xor_b32_e32 v21, s12, v21
	v_xor_b32_e32 v22, s14, v22
	v_and_b32_e32 v12, v12, v21
	v_and_b32_e32 v12, v12, v22
	v_lshl_add_u32 v32, v19, 4, v19
	ds_write2_b32 v18, v13, v13 offset0:16 offset1:17
	ds_write2_b32 v18, v13, v13 offset0:18 offset1:19
	ds_write_b32 v18, v13 offset:80
	s_waitcnt lgkmcnt(0)
	s_barrier
	s_waitcnt lgkmcnt(0)
	; wave barrier
	s_waitcnt vmcnt(0)
	v_mad_u64_u32 v[14:15], s[4:5], v2, v17, v[10:11]
	v_lshlrev_b32_e32 v15, 24, v19
	v_lshrrev_b32_e32 v30, 6, v14
	v_mov_b32_e32 v14, v13
	v_not_b32_e32 v2, v15
	v_cmp_gt_i64_e32 vcc, 0, v[14:15]
	v_ashrrev_i32_e32 v2, 31, v2
	v_add_lshl_u32 v22, v30, v32, 2
	v_xor_b32_e32 v14, vcc_hi, v2
	v_xor_b32_e32 v2, vcc_lo, v2
	v_and_b32_e32 v15, v20, v14
	v_and_b32_e32 v14, v12, v2
	v_mbcnt_lo_u32_b32 v2, v14, 0
	v_mbcnt_hi_u32_b32 v17, v15, v2
	v_cmp_eq_u32_e32 vcc, 0, v17
	v_cmp_ne_u64_e64 s[4:5], 0, v[14:15]
	s_and_b64 s[6:7], s[4:5], vcc
	s_and_saveexec_b64 s[4:5], s[6:7]
	s_cbranch_execz .LBB1793_19
; %bb.18:
	v_bcnt_u32_b32 v2, v14, 0
	v_bcnt_u32_b32 v2, v15, v2
	ds_write_b32 v22, v2 offset:64
.LBB1793_19:
	s_or_b64 exec, exec, s[4:5]
	v_xor_b32_e32 v14, 0x80000000, v3
	v_lshrrev_b32_e32 v2, s20, v14
	v_and_b32_e32 v15, s23, v2
	v_lshl_add_u32 v2, v15, 4, v15
	v_and_b32_e32 v12, 1, v15
	v_add_lshl_u32 v23, v30, v2, 2
	v_lshl_add_u64 v[2:3], v[12:13], 0, -1
	v_cmp_ne_u32_e32 vcc, 0, v12
	; wave barrier
	s_nop 1
	v_xor_b32_e32 v3, vcc_hi, v3
	v_xor_b32_e32 v2, vcc_lo, v2
	v_and_b32_e32 v12, exec_hi, v3
	v_and_b32_e32 v20, exec_lo, v2
	v_lshlrev_b32_e32 v3, 30, v15
	v_mov_b32_e32 v2, v13
	v_cmp_gt_i64_e32 vcc, 0, v[2:3]
	v_not_b32_e32 v2, v3
	v_ashrrev_i32_e32 v2, 31, v2
	v_xor_b32_e32 v3, vcc_hi, v2
	v_xor_b32_e32 v2, vcc_lo, v2
	v_and_b32_e32 v12, v12, v3
	v_and_b32_e32 v20, v20, v2
	v_lshlrev_b32_e32 v3, 29, v15
	v_mov_b32_e32 v2, v13
	v_cmp_gt_i64_e32 vcc, 0, v[2:3]
	v_not_b32_e32 v2, v3
	v_ashrrev_i32_e32 v2, 31, v2
	v_xor_b32_e32 v3, vcc_hi, v2
	v_xor_b32_e32 v2, vcc_lo, v2
	v_and_b32_e32 v12, v12, v3
	v_and_b32_e32 v20, v20, v2
	v_lshlrev_b32_e32 v3, 28, v15
	v_mov_b32_e32 v2, v13
	v_cmp_gt_i64_e32 vcc, 0, v[2:3]
	v_not_b32_e32 v2, v3
	v_ashrrev_i32_e32 v2, 31, v2
	v_xor_b32_e32 v3, vcc_hi, v2
	v_xor_b32_e32 v2, vcc_lo, v2
	v_and_b32_e32 v12, v12, v3
	v_and_b32_e32 v20, v20, v2
	v_lshlrev_b32_e32 v3, 27, v15
	v_mov_b32_e32 v2, v13
	v_cmp_gt_i64_e32 vcc, 0, v[2:3]
	v_not_b32_e32 v2, v3
	v_ashrrev_i32_e32 v2, 31, v2
	v_xor_b32_e32 v3, vcc_hi, v2
	v_xor_b32_e32 v2, vcc_lo, v2
	v_and_b32_e32 v12, v12, v3
	v_and_b32_e32 v20, v20, v2
	v_lshlrev_b32_e32 v3, 26, v15
	v_mov_b32_e32 v2, v13
	v_cmp_gt_i64_e32 vcc, 0, v[2:3]
	v_not_b32_e32 v2, v3
	v_ashrrev_i32_e32 v2, 31, v2
	v_xor_b32_e32 v3, vcc_hi, v2
	v_xor_b32_e32 v2, vcc_lo, v2
	v_and_b32_e32 v12, v12, v3
	v_and_b32_e32 v20, v20, v2
	v_lshlrev_b32_e32 v3, 25, v15
	v_mov_b32_e32 v2, v13
	v_cmp_gt_i64_e32 vcc, 0, v[2:3]
	v_not_b32_e32 v2, v3
	v_ashrrev_i32_e32 v2, 31, v2
	v_xor_b32_e32 v3, vcc_hi, v2
	v_xor_b32_e32 v2, vcc_lo, v2
	v_and_b32_e32 v12, v12, v3
	v_and_b32_e32 v20, v20, v2
	v_lshlrev_b32_e32 v3, 24, v15
	v_mov_b32_e32 v2, v13
	v_cmp_gt_i64_e32 vcc, 0, v[2:3]
	v_not_b32_e32 v2, v3
	v_ashrrev_i32_e32 v2, 31, v2
	v_xor_b32_e32 v3, vcc_hi, v2
	v_xor_b32_e32 v2, vcc_lo, v2
	ds_read_b32 v19, v23 offset:64
	v_and_b32_e32 v2, v20, v2
	v_and_b32_e32 v3, v12, v3
	v_mbcnt_lo_u32_b32 v12, v2, 0
	v_mbcnt_hi_u32_b32 v20, v3, v12
	v_cmp_eq_u32_e32 vcc, 0, v20
	v_cmp_ne_u64_e64 s[4:5], 0, v[2:3]
	s_and_b64 s[6:7], s[4:5], vcc
	; wave barrier
	s_and_saveexec_b64 s[4:5], s[6:7]
	s_cbranch_execz .LBB1793_21
; %bb.20:
	v_bcnt_u32_b32 v2, v2, 0
	v_bcnt_u32_b32 v2, v3, v2
	s_waitcnt lgkmcnt(0)
	v_add_u32_e32 v2, v19, v2
	ds_write_b32 v23, v2 offset:64
.LBB1793_21:
	s_or_b64 exec, exec, s[4:5]
	v_xor_b32_e32 v15, 0x80000000, v4
	v_lshrrev_b32_e32 v2, s20, v15
	v_and_b32_e32 v4, s23, v2
	v_lshl_add_u32 v2, v4, 4, v4
	v_add_lshl_u32 v27, v30, v2, 2
	v_and_b32_e32 v2, 1, v4
	v_mov_b32_e32 v3, 0
	v_lshl_add_u64 v[12:13], v[2:3], 0, -1
	v_cmp_ne_u32_e32 vcc, 0, v2
	; wave barrier
	s_nop 1
	v_xor_b32_e32 v12, vcc_lo, v12
	v_xor_b32_e32 v2, vcc_hi, v13
	v_and_b32_e32 v24, exec_lo, v12
	v_lshlrev_b32_e32 v13, 30, v4
	v_mov_b32_e32 v12, v3
	v_cmp_gt_i64_e32 vcc, 0, v[12:13]
	v_not_b32_e32 v12, v13
	v_ashrrev_i32_e32 v12, 31, v12
	v_and_b32_e32 v2, exec_hi, v2
	v_xor_b32_e32 v13, vcc_hi, v12
	v_xor_b32_e32 v12, vcc_lo, v12
	v_and_b32_e32 v2, v2, v13
	v_and_b32_e32 v24, v24, v12
	v_lshlrev_b32_e32 v13, 29, v4
	v_mov_b32_e32 v12, v3
	v_cmp_gt_i64_e32 vcc, 0, v[12:13]
	v_not_b32_e32 v12, v13
	v_ashrrev_i32_e32 v12, 31, v12
	v_xor_b32_e32 v13, vcc_hi, v12
	v_xor_b32_e32 v12, vcc_lo, v12
	v_and_b32_e32 v2, v2, v13
	v_and_b32_e32 v24, v24, v12
	v_lshlrev_b32_e32 v13, 28, v4
	v_mov_b32_e32 v12, v3
	v_cmp_gt_i64_e32 vcc, 0, v[12:13]
	v_not_b32_e32 v12, v13
	v_ashrrev_i32_e32 v12, 31, v12
	v_xor_b32_e32 v13, vcc_hi, v12
	v_xor_b32_e32 v12, vcc_lo, v12
	v_and_b32_e32 v2, v2, v13
	v_and_b32_e32 v24, v24, v12
	v_lshlrev_b32_e32 v13, 27, v4
	v_mov_b32_e32 v12, v3
	v_cmp_gt_i64_e32 vcc, 0, v[12:13]
	v_not_b32_e32 v12, v13
	v_ashrrev_i32_e32 v12, 31, v12
	v_xor_b32_e32 v13, vcc_hi, v12
	v_xor_b32_e32 v12, vcc_lo, v12
	v_and_b32_e32 v2, v2, v13
	v_and_b32_e32 v24, v24, v12
	v_lshlrev_b32_e32 v13, 26, v4
	v_mov_b32_e32 v12, v3
	v_cmp_gt_i64_e32 vcc, 0, v[12:13]
	v_not_b32_e32 v12, v13
	v_ashrrev_i32_e32 v12, 31, v12
	v_xor_b32_e32 v13, vcc_hi, v12
	v_xor_b32_e32 v12, vcc_lo, v12
	v_and_b32_e32 v2, v2, v13
	v_and_b32_e32 v24, v24, v12
	v_lshlrev_b32_e32 v13, 25, v4
	v_mov_b32_e32 v12, v3
	v_cmp_gt_i64_e32 vcc, 0, v[12:13]
	v_not_b32_e32 v12, v13
	v_ashrrev_i32_e32 v12, 31, v12
	v_xor_b32_e32 v13, vcc_hi, v12
	v_xor_b32_e32 v12, vcc_lo, v12
	v_and_b32_e32 v2, v2, v13
	v_lshlrev_b32_e32 v13, 24, v4
	v_and_b32_e32 v24, v24, v12
	v_mov_b32_e32 v12, v3
	v_not_b32_e32 v4, v13
	v_cmp_gt_i64_e32 vcc, 0, v[12:13]
	v_ashrrev_i32_e32 v4, 31, v4
	ds_read_b32 v21, v27 offset:64
	v_xor_b32_e32 v12, vcc_hi, v4
	v_xor_b32_e32 v4, vcc_lo, v4
	v_and_b32_e32 v13, v2, v12
	v_and_b32_e32 v12, v24, v4
	v_mbcnt_lo_u32_b32 v2, v12, 0
	v_mbcnt_hi_u32_b32 v25, v13, v2
	v_cmp_eq_u32_e32 vcc, 0, v25
	v_cmp_ne_u64_e64 s[4:5], 0, v[12:13]
	s_and_b64 s[6:7], s[4:5], vcc
	; wave barrier
	s_and_saveexec_b64 s[4:5], s[6:7]
	s_cbranch_execz .LBB1793_23
; %bb.22:
	v_bcnt_u32_b32 v2, v12, 0
	v_bcnt_u32_b32 v2, v13, v2
	s_waitcnt lgkmcnt(0)
	v_add_u32_e32 v2, v21, v2
	ds_write_b32 v27, v2 offset:64
.LBB1793_23:
	s_or_b64 exec, exec, s[4:5]
	v_xor_b32_e32 v12, 0x80000000, v5
	v_lshrrev_b32_e32 v2, s20, v12
	v_and_b32_e32 v13, s23, v2
	v_lshl_add_u32 v2, v13, 4, v13
	v_add_lshl_u32 v31, v30, v2, 2
	v_and_b32_e32 v2, 1, v13
	v_lshl_add_u64 v[4:5], v[2:3], 0, -1
	v_cmp_ne_u32_e32 vcc, 0, v2
	; wave barrier
	s_nop 1
	v_xor_b32_e32 v4, vcc_lo, v4
	v_xor_b32_e32 v2, vcc_hi, v5
	v_and_b32_e32 v24, exec_lo, v4
	v_lshlrev_b32_e32 v5, 30, v13
	v_mov_b32_e32 v4, v3
	v_cmp_gt_i64_e32 vcc, 0, v[4:5]
	v_not_b32_e32 v4, v5
	v_ashrrev_i32_e32 v4, 31, v4
	v_and_b32_e32 v2, exec_hi, v2
	v_xor_b32_e32 v5, vcc_hi, v4
	v_xor_b32_e32 v4, vcc_lo, v4
	v_and_b32_e32 v2, v2, v5
	v_and_b32_e32 v24, v24, v4
	v_lshlrev_b32_e32 v5, 29, v13
	v_mov_b32_e32 v4, v3
	v_cmp_gt_i64_e32 vcc, 0, v[4:5]
	v_not_b32_e32 v4, v5
	v_ashrrev_i32_e32 v4, 31, v4
	v_xor_b32_e32 v5, vcc_hi, v4
	v_xor_b32_e32 v4, vcc_lo, v4
	v_and_b32_e32 v2, v2, v5
	v_and_b32_e32 v24, v24, v4
	v_lshlrev_b32_e32 v5, 28, v13
	v_mov_b32_e32 v4, v3
	v_cmp_gt_i64_e32 vcc, 0, v[4:5]
	v_not_b32_e32 v4, v5
	v_ashrrev_i32_e32 v4, 31, v4
	;; [unrolled: 9-line block ×5, first 2 shown]
	v_xor_b32_e32 v5, vcc_hi, v4
	v_xor_b32_e32 v4, vcc_lo, v4
	v_and_b32_e32 v2, v2, v5
	v_lshlrev_b32_e32 v5, 24, v13
	v_and_b32_e32 v24, v24, v4
	v_mov_b32_e32 v4, v3
	v_not_b32_e32 v3, v5
	v_cmp_gt_i64_e32 vcc, 0, v[4:5]
	v_ashrrev_i32_e32 v3, 31, v3
	ds_read_b32 v26, v31 offset:64
	v_xor_b32_e32 v4, vcc_hi, v3
	v_xor_b32_e32 v5, vcc_lo, v3
	v_and_b32_e32 v3, v2, v4
	v_and_b32_e32 v2, v24, v5
	v_mbcnt_lo_u32_b32 v4, v2, 0
	v_mbcnt_hi_u32_b32 v28, v3, v4
	v_cmp_eq_u32_e32 vcc, 0, v28
	v_cmp_ne_u64_e64 s[4:5], 0, v[2:3]
	s_and_b64 s[6:7], s[4:5], vcc
	; wave barrier
	s_and_saveexec_b64 s[4:5], s[6:7]
	s_cbranch_execz .LBB1793_25
; %bb.24:
	v_bcnt_u32_b32 v2, v2, 0
	v_bcnt_u32_b32 v2, v3, v2
	s_waitcnt lgkmcnt(0)
	v_add_u32_e32 v2, v26, v2
	ds_write_b32 v31, v2 offset:64
.LBB1793_25:
	s_or_b64 exec, exec, s[4:5]
	v_xor_b32_e32 v13, 0x80000000, v6
	v_lshrrev_b32_e32 v2, s20, v13
	v_and_b32_e32 v24, s23, v2
	v_lshl_add_u32 v2, v24, 4, v24
	v_add_lshl_u32 v6, v30, v2, 2
	v_and_b32_e32 v2, 1, v24
	v_mov_b32_e32 v3, 0
	v_lshl_add_u64 v[4:5], v[2:3], 0, -1
	v_cmp_ne_u32_e32 vcc, 0, v2
	; wave barrier
	s_nop 1
	v_xor_b32_e32 v4, vcc_lo, v4
	v_xor_b32_e32 v2, vcc_hi, v5
	v_and_b32_e32 v32, exec_lo, v4
	v_lshlrev_b32_e32 v5, 30, v24
	v_mov_b32_e32 v4, v3
	v_cmp_gt_i64_e32 vcc, 0, v[4:5]
	v_not_b32_e32 v4, v5
	v_ashrrev_i32_e32 v4, 31, v4
	v_and_b32_e32 v2, exec_hi, v2
	v_xor_b32_e32 v5, vcc_hi, v4
	v_xor_b32_e32 v4, vcc_lo, v4
	v_and_b32_e32 v2, v2, v5
	v_and_b32_e32 v32, v32, v4
	v_lshlrev_b32_e32 v5, 29, v24
	v_mov_b32_e32 v4, v3
	v_cmp_gt_i64_e32 vcc, 0, v[4:5]
	v_not_b32_e32 v4, v5
	v_ashrrev_i32_e32 v4, 31, v4
	v_xor_b32_e32 v5, vcc_hi, v4
	v_xor_b32_e32 v4, vcc_lo, v4
	v_and_b32_e32 v2, v2, v5
	v_and_b32_e32 v32, v32, v4
	v_lshlrev_b32_e32 v5, 28, v24
	v_mov_b32_e32 v4, v3
	v_cmp_gt_i64_e32 vcc, 0, v[4:5]
	v_not_b32_e32 v4, v5
	v_ashrrev_i32_e32 v4, 31, v4
	v_xor_b32_e32 v5, vcc_hi, v4
	v_xor_b32_e32 v4, vcc_lo, v4
	v_and_b32_e32 v2, v2, v5
	v_and_b32_e32 v32, v32, v4
	v_lshlrev_b32_e32 v5, 27, v24
	v_mov_b32_e32 v4, v3
	v_cmp_gt_i64_e32 vcc, 0, v[4:5]
	v_not_b32_e32 v4, v5
	v_ashrrev_i32_e32 v4, 31, v4
	v_xor_b32_e32 v5, vcc_hi, v4
	v_xor_b32_e32 v4, vcc_lo, v4
	v_and_b32_e32 v2, v2, v5
	v_and_b32_e32 v32, v32, v4
	v_lshlrev_b32_e32 v5, 26, v24
	v_mov_b32_e32 v4, v3
	v_cmp_gt_i64_e32 vcc, 0, v[4:5]
	v_not_b32_e32 v4, v5
	v_ashrrev_i32_e32 v4, 31, v4
	v_xor_b32_e32 v5, vcc_hi, v4
	v_xor_b32_e32 v4, vcc_lo, v4
	v_and_b32_e32 v2, v2, v5
	v_and_b32_e32 v32, v32, v4
	v_lshlrev_b32_e32 v5, 25, v24
	v_mov_b32_e32 v4, v3
	v_cmp_gt_i64_e32 vcc, 0, v[4:5]
	v_not_b32_e32 v4, v5
	v_ashrrev_i32_e32 v4, 31, v4
	v_xor_b32_e32 v5, vcc_hi, v4
	v_xor_b32_e32 v4, vcc_lo, v4
	v_and_b32_e32 v2, v2, v5
	v_and_b32_e32 v32, v32, v4
	v_lshlrev_b32_e32 v5, 24, v24
	v_mov_b32_e32 v4, v3
	v_cmp_gt_i64_e32 vcc, 0, v[4:5]
	v_not_b32_e32 v4, v5
	v_ashrrev_i32_e32 v4, 31, v4
	v_xor_b32_e32 v5, vcc_hi, v4
	v_xor_b32_e32 v4, vcc_lo, v4
	ds_read_b32 v29, v6 offset:64
	v_and_b32_e32 v4, v32, v4
	v_and_b32_e32 v5, v2, v5
	v_mbcnt_lo_u32_b32 v2, v4, 0
	v_mbcnt_hi_u32_b32 v32, v5, v2
	v_cmp_eq_u32_e32 vcc, 0, v32
	v_cmp_ne_u64_e64 s[4:5], 0, v[4:5]
	s_and_b64 s[6:7], s[4:5], vcc
	; wave barrier
	s_and_saveexec_b64 s[4:5], s[6:7]
	s_cbranch_execz .LBB1793_27
; %bb.26:
	v_bcnt_u32_b32 v2, v4, 0
	v_bcnt_u32_b32 v2, v5, v2
	s_waitcnt lgkmcnt(0)
	v_add_u32_e32 v2, v29, v2
	ds_write_b32 v6, v2 offset:64
.LBB1793_27:
	s_or_b64 exec, exec, s[4:5]
	v_xor_b32_e32 v24, 0x80000000, v7
	v_lshrrev_b32_e32 v2, s20, v24
	v_and_b32_e32 v34, s23, v2
	v_lshl_add_u32 v2, v34, 4, v34
	v_add_lshl_u32 v7, v30, v2, 2
	v_and_b32_e32 v2, 1, v34
	v_lshl_add_u64 v[4:5], v[2:3], 0, -1
	v_cmp_ne_u32_e32 vcc, 0, v2
	; wave barrier
	s_nop 1
	v_xor_b32_e32 v4, vcc_lo, v4
	v_xor_b32_e32 v2, vcc_hi, v5
	v_and_b32_e32 v35, exec_lo, v4
	v_lshlrev_b32_e32 v5, 30, v34
	v_mov_b32_e32 v4, v3
	v_cmp_gt_i64_e32 vcc, 0, v[4:5]
	v_not_b32_e32 v4, v5
	v_ashrrev_i32_e32 v4, 31, v4
	v_and_b32_e32 v2, exec_hi, v2
	v_xor_b32_e32 v5, vcc_hi, v4
	v_xor_b32_e32 v4, vcc_lo, v4
	v_and_b32_e32 v2, v2, v5
	v_and_b32_e32 v35, v35, v4
	v_lshlrev_b32_e32 v5, 29, v34
	v_mov_b32_e32 v4, v3
	v_cmp_gt_i64_e32 vcc, 0, v[4:5]
	v_not_b32_e32 v4, v5
	v_ashrrev_i32_e32 v4, 31, v4
	v_xor_b32_e32 v5, vcc_hi, v4
	v_xor_b32_e32 v4, vcc_lo, v4
	v_and_b32_e32 v2, v2, v5
	v_and_b32_e32 v35, v35, v4
	v_lshlrev_b32_e32 v5, 28, v34
	v_mov_b32_e32 v4, v3
	v_cmp_gt_i64_e32 vcc, 0, v[4:5]
	v_not_b32_e32 v4, v5
	v_ashrrev_i32_e32 v4, 31, v4
	;; [unrolled: 9-line block ×5, first 2 shown]
	v_xor_b32_e32 v5, vcc_hi, v4
	v_xor_b32_e32 v4, vcc_lo, v4
	v_and_b32_e32 v2, v2, v5
	v_lshlrev_b32_e32 v5, 24, v34
	v_and_b32_e32 v35, v35, v4
	v_mov_b32_e32 v4, v3
	v_not_b32_e32 v3, v5
	v_cmp_gt_i64_e32 vcc, 0, v[4:5]
	v_ashrrev_i32_e32 v3, 31, v3
	ds_read_b32 v33, v7 offset:64
	v_xor_b32_e32 v4, vcc_hi, v3
	v_xor_b32_e32 v5, vcc_lo, v3
	v_and_b32_e32 v3, v2, v4
	v_and_b32_e32 v2, v35, v5
	v_mbcnt_lo_u32_b32 v4, v2, 0
	v_mbcnt_hi_u32_b32 v34, v3, v4
	v_cmp_eq_u32_e32 vcc, 0, v34
	v_cmp_ne_u64_e64 s[4:5], 0, v[2:3]
	s_and_b64 s[6:7], s[4:5], vcc
	; wave barrier
	s_and_saveexec_b64 s[4:5], s[6:7]
	s_cbranch_execz .LBB1793_29
; %bb.28:
	v_bcnt_u32_b32 v2, v2, 0
	v_bcnt_u32_b32 v2, v3, v2
	s_waitcnt lgkmcnt(0)
	v_add_u32_e32 v2, v33, v2
	ds_write_b32 v7, v2 offset:64
.LBB1793_29:
	s_or_b64 exec, exec, s[4:5]
	v_xor_b32_e32 v8, 0x80000000, v8
	v_lshrrev_b32_e32 v2, s20, v8
	v_and_b32_e32 v36, s23, v2
	v_lshl_add_u32 v2, v36, 4, v36
	v_add_lshl_u32 v38, v30, v2, 2
	v_and_b32_e32 v2, 1, v36
	v_mov_b32_e32 v3, 0
	v_lshl_add_u64 v[4:5], v[2:3], 0, -1
	v_cmp_ne_u32_e32 vcc, 0, v2
	; wave barrier
	s_nop 1
	v_xor_b32_e32 v4, vcc_lo, v4
	v_xor_b32_e32 v2, vcc_hi, v5
	v_and_b32_e32 v37, exec_lo, v4
	v_lshlrev_b32_e32 v5, 30, v36
	v_mov_b32_e32 v4, v3
	v_cmp_gt_i64_e32 vcc, 0, v[4:5]
	v_not_b32_e32 v4, v5
	v_ashrrev_i32_e32 v4, 31, v4
	v_and_b32_e32 v2, exec_hi, v2
	v_xor_b32_e32 v5, vcc_hi, v4
	v_xor_b32_e32 v4, vcc_lo, v4
	v_and_b32_e32 v2, v2, v5
	v_and_b32_e32 v37, v37, v4
	v_lshlrev_b32_e32 v5, 29, v36
	v_mov_b32_e32 v4, v3
	v_cmp_gt_i64_e32 vcc, 0, v[4:5]
	v_not_b32_e32 v4, v5
	v_ashrrev_i32_e32 v4, 31, v4
	v_xor_b32_e32 v5, vcc_hi, v4
	v_xor_b32_e32 v4, vcc_lo, v4
	v_and_b32_e32 v2, v2, v5
	v_and_b32_e32 v37, v37, v4
	v_lshlrev_b32_e32 v5, 28, v36
	v_mov_b32_e32 v4, v3
	v_cmp_gt_i64_e32 vcc, 0, v[4:5]
	v_not_b32_e32 v4, v5
	v_ashrrev_i32_e32 v4, 31, v4
	;; [unrolled: 9-line block ×6, first 2 shown]
	v_xor_b32_e32 v5, vcc_hi, v4
	v_xor_b32_e32 v4, vcc_lo, v4
	ds_read_b32 v35, v38 offset:64
	v_and_b32_e32 v4, v37, v4
	v_and_b32_e32 v5, v2, v5
	v_mbcnt_lo_u32_b32 v2, v4, 0
	v_mbcnt_hi_u32_b32 v36, v5, v2
	v_cmp_eq_u32_e32 vcc, 0, v36
	v_cmp_ne_u64_e64 s[4:5], 0, v[4:5]
	s_and_b64 s[6:7], s[4:5], vcc
	; wave barrier
	s_and_saveexec_b64 s[4:5], s[6:7]
	s_cbranch_execz .LBB1793_31
; %bb.30:
	v_bcnt_u32_b32 v2, v4, 0
	v_bcnt_u32_b32 v2, v5, v2
	s_waitcnt lgkmcnt(0)
	v_add_u32_e32 v2, v35, v2
	ds_write_b32 v38, v2 offset:64
.LBB1793_31:
	s_or_b64 exec, exec, s[4:5]
	v_xor_b32_e32 v9, 0x80000000, v9
	v_lshrrev_b32_e32 v2, s20, v9
	v_and_b32_e32 v39, s23, v2
	v_lshl_add_u32 v2, v39, 4, v39
	v_add_lshl_u32 v40, v30, v2, 2
	v_and_b32_e32 v2, 1, v39
	v_lshl_add_u64 v[4:5], v[2:3], 0, -1
	v_cmp_ne_u32_e32 vcc, 0, v2
	; wave barrier
	s_nop 1
	v_xor_b32_e32 v4, vcc_lo, v4
	v_xor_b32_e32 v2, vcc_hi, v5
	v_and_b32_e32 v30, exec_lo, v4
	v_lshlrev_b32_e32 v5, 30, v39
	v_mov_b32_e32 v4, v3
	v_cmp_gt_i64_e32 vcc, 0, v[4:5]
	v_not_b32_e32 v4, v5
	v_ashrrev_i32_e32 v4, 31, v4
	v_and_b32_e32 v2, exec_hi, v2
	v_xor_b32_e32 v5, vcc_hi, v4
	v_xor_b32_e32 v4, vcc_lo, v4
	v_and_b32_e32 v2, v2, v5
	v_and_b32_e32 v30, v30, v4
	v_lshlrev_b32_e32 v5, 29, v39
	v_mov_b32_e32 v4, v3
	v_cmp_gt_i64_e32 vcc, 0, v[4:5]
	v_not_b32_e32 v4, v5
	v_ashrrev_i32_e32 v4, 31, v4
	v_xor_b32_e32 v5, vcc_hi, v4
	v_xor_b32_e32 v4, vcc_lo, v4
	v_and_b32_e32 v2, v2, v5
	v_and_b32_e32 v30, v30, v4
	v_lshlrev_b32_e32 v5, 28, v39
	v_mov_b32_e32 v4, v3
	v_cmp_gt_i64_e32 vcc, 0, v[4:5]
	v_not_b32_e32 v4, v5
	v_ashrrev_i32_e32 v4, 31, v4
	;; [unrolled: 9-line block ×5, first 2 shown]
	v_xor_b32_e32 v5, vcc_hi, v4
	v_xor_b32_e32 v4, vcc_lo, v4
	v_and_b32_e32 v2, v2, v5
	v_lshlrev_b32_e32 v5, 24, v39
	v_and_b32_e32 v30, v30, v4
	v_mov_b32_e32 v4, v3
	v_not_b32_e32 v3, v5
	v_cmp_gt_i64_e32 vcc, 0, v[4:5]
	v_ashrrev_i32_e32 v3, 31, v3
	ds_read_b32 v37, v40 offset:64
	v_xor_b32_e32 v4, vcc_hi, v3
	v_xor_b32_e32 v5, vcc_lo, v3
	v_and_b32_e32 v3, v2, v4
	v_and_b32_e32 v2, v30, v5
	v_mbcnt_lo_u32_b32 v4, v2, 0
	v_mbcnt_hi_u32_b32 v39, v3, v4
	v_cmp_eq_u32_e32 vcc, 0, v39
	v_cmp_ne_u64_e64 s[4:5], 0, v[2:3]
	v_add_u32_e32 v41, 64, v18
	s_and_b64 s[6:7], s[4:5], vcc
	; wave barrier
	s_and_saveexec_b64 s[4:5], s[6:7]
	s_cbranch_execz .LBB1793_33
; %bb.32:
	v_bcnt_u32_b32 v2, v2, 0
	v_bcnt_u32_b32 v2, v3, v2
	s_waitcnt lgkmcnt(0)
	v_add_u32_e32 v2, v37, v2
	ds_write_b32 v40, v2 offset:64
.LBB1793_33:
	s_or_b64 exec, exec, s[4:5]
	; wave barrier
	s_waitcnt lgkmcnt(0)
	s_barrier
	ds_read2_b32 v[4:5], v18 offset0:16 offset1:17
	ds_read2_b32 v[2:3], v41 offset0:2 offset1:3
	ds_read_b32 v30, v41 offset:16
	v_cmp_lt_u32_e64 s[10:11], 31, v16
	s_waitcnt lgkmcnt(1)
	v_add3_u32 v42, v5, v4, v2
	s_waitcnt lgkmcnt(0)
	v_add3_u32 v30, v42, v3, v30
	v_and_b32_e32 v42, 15, v16
	v_cmp_eq_u32_e32 vcc, 0, v42
	v_mov_b32_dpp v43, v30 row_shr:1 row_mask:0xf bank_mask:0xf
	v_cmp_lt_u32_e64 s[8:9], 1, v42
	v_cndmask_b32_e64 v43, v43, 0, vcc
	v_add_u32_e32 v30, v43, v30
	v_cmp_lt_u32_e64 s[4:5], 3, v42
	v_cmp_lt_u32_e64 s[6:7], 7, v42
	v_mov_b32_dpp v43, v30 row_shr:2 row_mask:0xf bank_mask:0xf
	v_cndmask_b32_e64 v43, 0, v43, s[8:9]
	v_add_u32_e32 v30, v30, v43
	s_nop 1
	v_mov_b32_dpp v43, v30 row_shr:4 row_mask:0xf bank_mask:0xf
	v_cndmask_b32_e64 v43, 0, v43, s[4:5]
	v_add_u32_e32 v30, v30, v43
	s_nop 1
	v_mov_b32_dpp v43, v30 row_shr:8 row_mask:0xf bank_mask:0xf
	v_cndmask_b32_e64 v42, 0, v43, s[6:7]
	v_add_u32_e32 v30, v30, v42
	v_bfe_i32 v43, v16, 4, 1
	s_nop 0
	v_mov_b32_dpp v42, v30 row_bcast:15 row_mask:0xf bank_mask:0xf
	v_and_b32_e32 v42, v43, v42
	v_add_u32_e32 v30, v30, v42
	v_lshrrev_b32_e32 v43, 6, v10
	s_nop 0
	v_mov_b32_dpp v42, v30 row_bcast:31 row_mask:0xf bank_mask:0xf
	v_cndmask_b32_e64 v42, 0, v42, s[10:11]
	v_add_u32_e32 v42, v30, v42
	v_and_b32_e32 v30, 63, v10
	v_cmp_eq_u32_e64 s[10:11], 63, v30
	s_and_saveexec_b64 s[12:13], s[10:11]
	s_cbranch_execz .LBB1793_35
; %bb.34:
	v_lshlrev_b32_e32 v30, 2, v43
	ds_write_b32 v30, v42
.LBB1793_35:
	s_or_b64 exec, exec, s[12:13]
	v_cmp_gt_u32_e64 s[10:11], 16, v10
	v_lshlrev_b32_e32 v30, 2, v10
	s_waitcnt lgkmcnt(0)
	s_barrier
	s_and_saveexec_b64 s[12:13], s[10:11]
	s_cbranch_execz .LBB1793_37
; %bb.36:
	ds_read_b32 v44, v30
	s_waitcnt lgkmcnt(0)
	s_nop 0
	v_mov_b32_dpp v45, v44 row_shr:1 row_mask:0xf bank_mask:0xf
	v_cndmask_b32_e64 v45, v45, 0, vcc
	v_add_u32_e32 v44, v45, v44
	s_nop 1
	v_mov_b32_dpp v45, v44 row_shr:2 row_mask:0xf bank_mask:0xf
	v_cndmask_b32_e64 v45, 0, v45, s[8:9]
	v_add_u32_e32 v44, v44, v45
	s_nop 1
	v_mov_b32_dpp v45, v44 row_shr:4 row_mask:0xf bank_mask:0xf
	v_cndmask_b32_e64 v45, 0, v45, s[4:5]
	;; [unrolled: 4-line block ×3, first 2 shown]
	v_add_u32_e32 v44, v44, v45
	ds_write_b32 v30, v44
.LBB1793_37:
	s_or_b64 exec, exec, s[12:13]
	v_cmp_lt_u32_e32 vcc, 63, v10
	v_mov_b32_e32 v44, 0
	s_waitcnt lgkmcnt(0)
	s_barrier
	s_and_saveexec_b64 s[4:5], vcc
	s_cbranch_execz .LBB1793_39
; %bb.38:
	v_lshl_add_u32 v43, v43, 2, -4
	ds_read_b32 v44, v43
.LBB1793_39:
	s_or_b64 exec, exec, s[4:5]
	v_add_u32_e32 v43, -1, v16
	v_and_b32_e32 v45, 64, v16
	v_cmp_lt_i32_e32 vcc, v43, v45
	s_waitcnt lgkmcnt(0)
	v_add_u32_e32 v42, v44, v42
	s_movk_i32 s4, 0x100
	v_cndmask_b32_e32 v43, v43, v16, vcc
	v_lshlrev_b32_e32 v43, 2, v43
	ds_bpermute_b32 v42, v43, v42
	v_cmp_eq_u32_e32 vcc, 0, v16
	v_cmp_gt_u32_e64 s[4:5], s4, v10
	s_waitcnt lgkmcnt(0)
	v_cndmask_b32_e32 v16, v42, v44, vcc
	v_cmp_ne_u32_e32 vcc, 0, v10
	s_nop 1
	v_cndmask_b32_e32 v16, 0, v16, vcc
	v_add_u32_e32 v4, v16, v4
	v_add_u32_e32 v5, v4, v5
	;; [unrolled: 1-line block ×4, first 2 shown]
	ds_write2_b32 v18, v16, v4 offset0:16 offset1:17
	ds_write2_b32 v41, v5, v2 offset0:2 offset1:3
	ds_write_b32 v41, v3 offset:16
	s_waitcnt lgkmcnt(0)
	s_barrier
	ds_read_b32 v22, v22 offset:64
	ds_read_b32 v23, v23 offset:64
	;; [unrolled: 1-line block ×8, first 2 shown]
                                        ; implicit-def: $vgpr16
                                        ; implicit-def: $vgpr18
	s_and_saveexec_b64 s[6:7], s[4:5]
	s_cbranch_execz .LBB1793_43
; %bb.40:
	v_mul_u32_u24_e32 v2, 17, v10
	v_lshlrev_b32_e32 v3, 2, v2
	ds_read_b32 v16, v3 offset:64
	s_movk_i32 s8, 0xff
	v_cmp_ne_u32_e32 vcc, s8, v10
	v_mov_b32_e32 v2, 0x2000
	s_and_saveexec_b64 s[8:9], vcc
	s_cbranch_execz .LBB1793_42
; %bb.41:
	ds_read_b32 v2, v3 offset:132
.LBB1793_42:
	s_or_b64 exec, exec, s[8:9]
	s_waitcnt lgkmcnt(0)
	v_sub_u32_e32 v18, v2, v16
.LBB1793_43:
	s_or_b64 exec, exec, s[6:7]
	s_waitcnt lgkmcnt(0)
	s_barrier
	s_and_saveexec_b64 s[6:7], s[4:5]
	s_cbranch_execz .LBB1793_53
; %bb.44:
	v_lshl_or_b32 v4, s2, 8, v10
	v_mov_b32_e32 v5, 0
	v_lshl_add_u64 v[2:3], v[4:5], 2, s[28:29]
	v_or_b32_e32 v4, 2.0, v18
	s_mov_b64 s[8:9], 0
	s_brev_b32 s14, 1
	s_mov_b32 s15, s2
	v_mov_b32_e32 v43, 0
	global_store_dword v[2:3], v4, off sc1
                                        ; implicit-def: $sgpr10_sgpr11
	s_branch .LBB1793_46
.LBB1793_45:                            ;   in Loop: Header=BB1793_46 Depth=1
	s_or_b64 exec, exec, s[10:11]
	v_and_b32_e32 v6, 0x3fffffff, v44
	v_add_u32_e32 v43, v6, v43
	v_cmp_eq_u32_e64 s[10:11], s14, v4
	s_and_b64 s[12:13], exec, s[10:11]
	s_or_b64 s[8:9], s[12:13], s[8:9]
	s_andn2_b64 exec, exec, s[8:9]
	s_cbranch_execz .LBB1793_52
.LBB1793_46:                            ; =>This Loop Header: Depth=1
                                        ;     Child Loop BB1793_49 Depth 2
	s_or_b64 s[10:11], s[10:11], exec
	s_cmp_eq_u32 s15, 0
	s_cbranch_scc1 .LBB1793_51
; %bb.47:                               ;   in Loop: Header=BB1793_46 Depth=1
	s_add_i32 s15, s15, -1
	v_lshl_or_b32 v4, s15, 8, v10
	v_lshl_add_u64 v[6:7], v[4:5], 2, s[28:29]
	global_load_dword v44, v[6:7], off sc1
	s_waitcnt vmcnt(0)
	v_and_b32_e32 v4, -2.0, v44
	v_cmp_eq_u32_e32 vcc, 0, v4
	s_and_saveexec_b64 s[10:11], vcc
	s_cbranch_execz .LBB1793_45
; %bb.48:                               ;   in Loop: Header=BB1793_46 Depth=1
	s_mov_b64 s[12:13], 0
.LBB1793_49:                            ;   Parent Loop BB1793_46 Depth=1
                                        ; =>  This Inner Loop Header: Depth=2
	global_load_dword v44, v[6:7], off sc1
	s_waitcnt vmcnt(0)
	v_and_b32_e32 v4, -2.0, v44
	v_cmp_ne_u32_e32 vcc, 0, v4
	s_or_b64 s[12:13], vcc, s[12:13]
	s_andn2_b64 exec, exec, s[12:13]
	s_cbranch_execnz .LBB1793_49
; %bb.50:                               ;   in Loop: Header=BB1793_46 Depth=1
	s_or_b64 exec, exec, s[12:13]
	s_branch .LBB1793_45
.LBB1793_51:                            ;   in Loop: Header=BB1793_46 Depth=1
                                        ; implicit-def: $sgpr15
	s_and_b64 s[12:13], exec, s[10:11]
	s_or_b64 s[8:9], s[12:13], s[8:9]
	s_andn2_b64 exec, exec, s[8:9]
	s_cbranch_execnz .LBB1793_46
.LBB1793_52:
	s_or_b64 exec, exec, s[8:9]
	v_add_u32_e32 v4, v43, v18
	v_or_b32_e32 v4, 0x80000000, v4
	global_store_dword v[2:3], v4, off sc1
	global_load_dword v2, v30, s[16:17]
	v_sub_u32_e32 v3, v43, v16
	s_waitcnt vmcnt(0)
	v_add_u32_e32 v2, v3, v2
	ds_write_b32 v30, v2
.LBB1793_53:
	s_or_b64 exec, exec, s[6:7]
	v_add_u32_e32 v4, v22, v17
	v_add3_u32 v5, v20, v19, v23
	v_add3_u32 v6, v25, v21, v27
	;; [unrolled: 1-line block ×7, first 2 shown]
	s_movk_i32 s10, 0x400
	v_add_u32_e32 v22, 0x400, v30
	v_lshlrev_b32_e32 v23, 2, v21
	v_lshlrev_b32_e32 v25, 2, v20
	;; [unrolled: 1-line block ×8, first 2 shown]
	s_mov_b32 s11, 0
	s_mov_b32 s12, 0
	s_mov_b64 s[6:7], -1
	s_movk_i32 s13, 0x1000
	v_mov_b32_e32 v3, 0
	s_movk_i32 s14, 0x800
	s_movk_i32 s15, 0xc00
	s_branch .LBB1793_55
.LBB1793_54:                            ;   in Loop: Header=BB1793_55 Depth=1
	s_or_b64 exec, exec, s[8:9]
	s_xor_b64 s[8:9], s[6:7], -1
	s_addk_i32 s12, 0x1000
	s_addk_i32 s11, 0xc000
	v_add_u32_e32 v21, 0xfffff000, v21
	v_add_u32_e32 v20, 0xfffff000, v20
	;; [unrolled: 1-line block ×8, first 2 shown]
	s_mov_b64 s[6:7], 0
	s_and_b64 vcc, exec, s[8:9]
	s_barrier
	s_cbranch_vccnz .LBB1793_80
.LBB1793_55:                            ; =>This Inner Loop Header: Depth=1
	v_cmp_gt_u32_e32 vcc, s13, v4
	s_and_saveexec_b64 s[8:9], vcc
	s_cbranch_execnz .LBB1793_72
; %bb.56:                               ;   in Loop: Header=BB1793_55 Depth=1
	s_or_b64 exec, exec, s[8:9]
	v_cmp_gt_u32_e32 vcc, s13, v5
	s_and_saveexec_b64 s[8:9], vcc
	s_cbranch_execnz .LBB1793_73
.LBB1793_57:                            ;   in Loop: Header=BB1793_55 Depth=1
	s_or_b64 exec, exec, s[8:9]
	v_cmp_gt_u32_e32 vcc, s13, v6
	s_and_saveexec_b64 s[8:9], vcc
	s_cbranch_execnz .LBB1793_74
.LBB1793_58:                            ;   in Loop: Header=BB1793_55 Depth=1
	s_or_b64 exec, exec, s[8:9]
	v_cmp_gt_u32_e32 vcc, s13, v7
	s_and_saveexec_b64 s[8:9], vcc
	s_cbranch_execnz .LBB1793_75
.LBB1793_59:                            ;   in Loop: Header=BB1793_55 Depth=1
	s_or_b64 exec, exec, s[8:9]
	v_cmp_gt_u32_e32 vcc, s13, v17
	s_and_saveexec_b64 s[8:9], vcc
	s_cbranch_execnz .LBB1793_76
.LBB1793_60:                            ;   in Loop: Header=BB1793_55 Depth=1
	s_or_b64 exec, exec, s[8:9]
	v_cmp_gt_u32_e32 vcc, s13, v19
	s_and_saveexec_b64 s[8:9], vcc
	s_cbranch_execnz .LBB1793_77
.LBB1793_61:                            ;   in Loop: Header=BB1793_55 Depth=1
	s_or_b64 exec, exec, s[8:9]
	v_cmp_gt_u32_e32 vcc, s13, v20
	s_and_saveexec_b64 s[8:9], vcc
	s_cbranch_execnz .LBB1793_78
.LBB1793_62:                            ;   in Loop: Header=BB1793_55 Depth=1
	s_or_b64 exec, exec, s[8:9]
	v_cmp_gt_u32_e32 vcc, s13, v21
	s_and_saveexec_b64 s[8:9], vcc
	s_cbranch_execz .LBB1793_64
.LBB1793_63:                            ;   in Loop: Header=BB1793_55 Depth=1
	v_add_u32_e32 v2, s11, v23
	ds_write_b32 v2, v9 offset:1024
.LBB1793_64:                            ;   in Loop: Header=BB1793_55 Depth=1
	s_or_b64 exec, exec, s[8:9]
	v_add_u32_e32 v33, s12, v10
	v_cmp_gt_u32_e32 vcc, s3, v33
	s_waitcnt lgkmcnt(0)
	s_barrier
	s_and_saveexec_b64 s[8:9], vcc
	s_cbranch_execz .LBB1793_66
; %bb.65:                               ;   in Loop: Header=BB1793_55 Depth=1
	ds_read_b32 v2, v30 offset:1024
	s_waitcnt lgkmcnt(0)
	v_lshrrev_b32_e32 v34, s20, v2
	v_and_b32_e32 v34, s23, v34
	v_lshlrev_b32_e32 v34, 2, v34
	ds_read_b32 v34, v34
	v_xor_b32_e32 v36, 0x80000000, v2
	s_waitcnt lgkmcnt(0)
	v_add_u32_e32 v2, v33, v34
	v_lshl_add_u64 v[34:35], v[2:3], 2, s[26:27]
	global_store_dword v[34:35], v36, off
.LBB1793_66:                            ;   in Loop: Header=BB1793_55 Depth=1
	s_or_b64 exec, exec, s[8:9]
	v_add_u32_e32 v2, 0x400, v33
	v_cmp_gt_u32_e32 vcc, s3, v2
	s_and_saveexec_b64 s[8:9], vcc
	s_cbranch_execz .LBB1793_68
; %bb.67:                               ;   in Loop: Header=BB1793_55 Depth=1
	ds_read_b32 v2, v22 offset:4096
	s_waitcnt lgkmcnt(0)
	v_lshrrev_b32_e32 v34, s20, v2
	v_and_b32_e32 v34, s23, v34
	v_lshlrev_b32_e32 v34, 2, v34
	ds_read_b32 v34, v34
	v_xor_b32_e32 v36, 0x80000000, v2
	s_waitcnt lgkmcnt(0)
	v_add3_u32 v2, v33, v34, s10
	v_lshl_add_u64 v[34:35], v[2:3], 2, s[26:27]
	global_store_dword v[34:35], v36, off
.LBB1793_68:                            ;   in Loop: Header=BB1793_55 Depth=1
	s_or_b64 exec, exec, s[8:9]
	v_add_u32_e32 v2, 0x800, v33
	v_cmp_gt_u32_e32 vcc, s3, v2
	s_and_saveexec_b64 s[8:9], vcc
	s_cbranch_execz .LBB1793_70
; %bb.69:                               ;   in Loop: Header=BB1793_55 Depth=1
	ds_read_b32 v2, v22 offset:8192
	s_waitcnt lgkmcnt(0)
	v_lshrrev_b32_e32 v34, s20, v2
	v_and_b32_e32 v34, s23, v34
	v_lshlrev_b32_e32 v34, 2, v34
	ds_read_b32 v34, v34
	v_xor_b32_e32 v36, 0x80000000, v2
	s_waitcnt lgkmcnt(0)
	v_add3_u32 v2, v33, v34, s14
	v_lshl_add_u64 v[34:35], v[2:3], 2, s[26:27]
	global_store_dword v[34:35], v36, off
.LBB1793_70:                            ;   in Loop: Header=BB1793_55 Depth=1
	s_or_b64 exec, exec, s[8:9]
	v_add_u32_e32 v2, 0xc00, v33
	v_cmp_gt_u32_e32 vcc, s3, v2
	s_and_saveexec_b64 s[8:9], vcc
	s_cbranch_execz .LBB1793_54
; %bb.71:                               ;   in Loop: Header=BB1793_55 Depth=1
	ds_read_b32 v2, v22 offset:12288
	s_waitcnt lgkmcnt(0)
	v_lshrrev_b32_e32 v34, s20, v2
	v_and_b32_e32 v34, s23, v34
	v_lshlrev_b32_e32 v34, 2, v34
	ds_read_b32 v34, v34
	v_xor_b32_e32 v36, 0x80000000, v2
	s_waitcnt lgkmcnt(0)
	v_add3_u32 v2, v33, v34, s15
	v_lshl_add_u64 v[34:35], v[2:3], 2, s[26:27]
	global_store_dword v[34:35], v36, off
	s_branch .LBB1793_54
.LBB1793_72:                            ;   in Loop: Header=BB1793_55 Depth=1
	v_add_u32_e32 v2, s11, v32
	ds_write_b32 v2, v11 offset:1024
	s_or_b64 exec, exec, s[8:9]
	v_cmp_gt_u32_e32 vcc, s13, v5
	s_and_saveexec_b64 s[8:9], vcc
	s_cbranch_execz .LBB1793_57
.LBB1793_73:                            ;   in Loop: Header=BB1793_55 Depth=1
	v_add_u32_e32 v2, s11, v31
	ds_write_b32 v2, v14 offset:1024
	s_or_b64 exec, exec, s[8:9]
	v_cmp_gt_u32_e32 vcc, s13, v6
	s_and_saveexec_b64 s[8:9], vcc
	s_cbranch_execz .LBB1793_58
.LBB1793_74:                            ;   in Loop: Header=BB1793_55 Depth=1
	v_add_u32_e32 v2, s11, v29
	ds_write_b32 v2, v15 offset:1024
	s_or_b64 exec, exec, s[8:9]
	v_cmp_gt_u32_e32 vcc, s13, v7
	s_and_saveexec_b64 s[8:9], vcc
	s_cbranch_execz .LBB1793_59
.LBB1793_75:                            ;   in Loop: Header=BB1793_55 Depth=1
	v_add_u32_e32 v2, s11, v28
	ds_write_b32 v2, v12 offset:1024
	s_or_b64 exec, exec, s[8:9]
	v_cmp_gt_u32_e32 vcc, s13, v17
	s_and_saveexec_b64 s[8:9], vcc
	s_cbranch_execz .LBB1793_60
.LBB1793_76:                            ;   in Loop: Header=BB1793_55 Depth=1
	v_add_u32_e32 v2, s11, v27
	ds_write_b32 v2, v13 offset:1024
	s_or_b64 exec, exec, s[8:9]
	v_cmp_gt_u32_e32 vcc, s13, v19
	s_and_saveexec_b64 s[8:9], vcc
	s_cbranch_execz .LBB1793_61
.LBB1793_77:                            ;   in Loop: Header=BB1793_55 Depth=1
	v_add_u32_e32 v2, s11, v26
	ds_write_b32 v2, v24 offset:1024
	s_or_b64 exec, exec, s[8:9]
	v_cmp_gt_u32_e32 vcc, s13, v20
	s_and_saveexec_b64 s[8:9], vcc
	s_cbranch_execz .LBB1793_62
.LBB1793_78:                            ;   in Loop: Header=BB1793_55 Depth=1
	v_add_u32_e32 v2, s11, v25
	ds_write_b32 v2, v8 offset:1024
	s_or_b64 exec, exec, s[8:9]
	v_cmp_gt_u32_e32 vcc, s13, v21
	s_and_saveexec_b64 s[8:9], vcc
	s_cbranch_execnz .LBB1793_63
	s_branch .LBB1793_64
.LBB1793_79:
	s_mov_b64 s[10:11], 0
                                        ; implicit-def: $vgpr2
                                        ; implicit-def: $vgpr10
	s_cbranch_execnz .LBB1793_83
	s_branch .LBB1793_140
.LBB1793_80:
	s_add_i32 s22, s22, -1
	s_cmp_eq_u32 s22, s2
	s_cselect_b64 s[6:7], -1, 0
	s_and_b64 s[6:7], s[4:5], s[6:7]
	s_mov_b64 s[4:5], 0
	s_mov_b64 s[10:11], 0
                                        ; implicit-def: $vgpr2
	s_and_saveexec_b64 s[8:9], s[6:7]
	s_xor_b64 s[6:7], exec, s[8:9]
; %bb.81:
	s_mov_b64 s[10:11], exec
	v_add_u32_e32 v2, v16, v18
; %bb.82:
	s_or_b64 exec, exec, s[6:7]
	s_and_b64 vcc, exec, s[4:5]
	s_cbranch_vccz .LBB1793_140
.LBB1793_83:
	s_lshl_b32 s4, s2, 13
	s_mov_b32 s5, 0
	s_lshl_b64 s[4:5], s[4:5], 2
	v_mbcnt_hi_u32_b32 v4, -1, v1
	v_and_b32_e32 v10, 0x3ff, v0
	s_add_u32 s4, s24, s4
	v_and_b32_e32 v1, 63, v4
	s_addc_u32 s5, s25, s5
	v_mov_b32_e32 v3, 0
	v_lshlrev_b32_e32 v2, 2, v1
	v_lshlrev_b32_e32 v1, 5, v10
	v_lshl_add_u64 v[6:7], s[4:5], 0, v[2:3]
	v_and_b32_e32 v2, 0x7800, v1
	v_lshl_add_u64 v[14:15], v[6:7], 0, v[2:3]
	global_load_dword v1, v[14:15], off
	s_load_dword s4, s[0:1], 0x64
	s_load_dword s3, s[0:1], 0x58
	s_add_u32 s0, s0, 0x58
	s_addc_u32 s1, s1, 0
	v_mul_u32_u24_e32 v5, 5, v10
	s_waitcnt lgkmcnt(0)
	s_lshr_b32 s4, s4, 16
	s_cmp_lt_u32 s2, s3
	s_cselect_b32 s5, 12, 18
	s_add_u32 s0, s0, s5
	s_addc_u32 s1, s1, 0
	global_load_ushort v9, v3, s[0:1]
	v_lshlrev_b32_e32 v5, 2, v5
	ds_write2_b32 v5, v3, v3 offset0:16 offset1:17
	ds_write2_b32 v5, v3, v3 offset0:18 offset1:19
	ds_write_b32 v5, v3 offset:80
	global_load_dword v7, v[14:15], off offset:256
	global_load_dword v8, v[14:15], off offset:512
	;; [unrolled: 1-line block ×7, first 2 shown]
	v_bfe_u32 v2, v0, 10, 10
	v_bfe_u32 v6, v0, 20, 10
	v_mad_u32_u24 v11, v6, s4, v2
	s_lshl_b32 s0, -1, s21
	s_not_b32 s14, s0
	v_mov_b32_e32 v0, v3
	v_mov_b32_e32 v24, v3
	;; [unrolled: 1-line block ×5, first 2 shown]
	s_waitcnt lgkmcnt(0)
	s_barrier
	s_waitcnt lgkmcnt(0)
	; wave barrier
	s_waitcnt vmcnt(8)
	v_xor_b32_e32 v6, 0x80000000, v1
	v_lshrrev_b32_e32 v1, s20, v6
	v_and_b32_e32 v13, s14, v1
	v_and_b32_e32 v2, 1, v13
	v_lshlrev_b32_e32 v1, 30, v13
	v_lshlrev_b32_e32 v19, 29, v13
	;; [unrolled: 1-line block ×3, first 2 shown]
	v_lshl_add_u64 v[30:31], v[2:3], 0, -1
	v_cmp_ne_u32_e32 vcc, 0, v2
	v_lshl_add_u32 v17, v13, 4, v13
	s_waitcnt vmcnt(7)
	v_mad_u64_u32 v[14:15], s[0:1], v11, v9, v[10:11]
	v_cmp_gt_i64_e64 s[0:1], 0, v[0:1]
	v_not_b32_e32 v0, v1
	v_lshlrev_b32_e32 v23, 28, v13
	v_not_b32_e32 v1, v19
	v_cmp_gt_i64_e64 s[8:9], 0, v[24:25]
	v_lshrrev_b32_e32 v24, 6, v14
	v_xor_b32_e32 v15, vcc_lo, v30
	v_ashrrev_i32_e32 v0, 31, v0
	v_cmp_gt_i64_e64 s[4:5], 0, v[18:19]
	v_not_b32_e32 v2, v23
	v_xor_b32_e32 v11, vcc_hi, v31
	v_ashrrev_i32_e32 v1, 31, v1
	v_add_lshl_u32 v14, v24, v17, 2
	v_and_b32_e32 v15, exec_lo, v15
	v_xor_b32_e32 v17, s1, v0
	v_xor_b32_e32 v0, s0, v0
	v_cmp_gt_i64_e64 s[6:7], 0, v[22:23]
	v_ashrrev_i32_e32 v2, 31, v2
	v_and_b32_e32 v11, exec_hi, v11
	v_xor_b32_e32 v18, s5, v1
	v_xor_b32_e32 v1, s4, v1
	v_and_b32_e32 v0, v15, v0
	v_lshlrev_b32_e32 v29, 26, v13
	v_not_b32_e32 v9, v25
	v_xor_b32_e32 v19, s7, v2
	v_xor_b32_e32 v2, s6, v2
	v_and_b32_e32 v11, v11, v17
	v_and_b32_e32 v0, v0, v1
	v_ashrrev_i32_e32 v9, 31, v9
	v_and_b32_e32 v11, v11, v18
	v_and_b32_e32 v0, v0, v2
	v_not_b32_e32 v2, v29
	v_xor_b32_e32 v22, s9, v9
	v_xor_b32_e32 v9, s8, v9
	v_and_b32_e32 v1, v11, v19
	v_cmp_gt_i64_e32 vcc, 0, v[28:29]
	v_ashrrev_i32_e32 v2, 31, v2
	v_and_b32_e32 v1, v1, v22
	v_and_b32_e32 v0, v0, v9
	v_xor_b32_e32 v9, vcc_hi, v2
	v_xor_b32_e32 v2, vcc_lo, v2
	v_and_b32_e32 v9, v1, v9
	v_and_b32_e32 v2, v0, v2
	v_lshlrev_b32_e32 v1, 25, v13
	v_mov_b32_e32 v0, v3
	v_cmp_gt_i64_e32 vcc, 0, v[0:1]
	v_not_b32_e32 v0, v1
	v_ashrrev_i32_e32 v0, 31, v0
	v_xor_b32_e32 v1, vcc_hi, v0
	v_xor_b32_e32 v0, vcc_lo, v0
	v_and_b32_e32 v9, v9, v1
	v_and_b32_e32 v2, v2, v0
	v_lshlrev_b32_e32 v1, 24, v13
	v_mov_b32_e32 v0, v3
	v_cmp_gt_i64_e32 vcc, 0, v[0:1]
	v_not_b32_e32 v0, v1
	v_ashrrev_i32_e32 v0, 31, v0
	v_xor_b32_e32 v1, vcc_hi, v0
	v_xor_b32_e32 v0, vcc_lo, v0
	v_and_b32_e32 v0, v2, v0
	v_and_b32_e32 v1, v9, v1
	v_mbcnt_lo_u32_b32 v2, v0, 0
	v_mbcnt_hi_u32_b32 v9, v1, v2
	v_cmp_eq_u32_e32 vcc, 0, v9
	v_cmp_ne_u64_e64 s[0:1], 0, v[0:1]
	s_and_b64 s[4:5], s[0:1], vcc
	s_and_saveexec_b64 s[0:1], s[4:5]
	s_cbranch_execz .LBB1793_85
; %bb.84:
	v_bcnt_u32_b32 v0, v0, 0
	v_bcnt_u32_b32 v0, v1, v0
	ds_write_b32 v14, v0 offset:64
.LBB1793_85:
	s_or_b64 exec, exec, s[0:1]
	s_waitcnt vmcnt(6)
	v_xor_b32_e32 v7, 0x80000000, v7
	v_lshrrev_b32_e32 v0, s20, v7
	v_and_b32_e32 v13, s14, v0
	v_lshl_add_u32 v0, v13, 4, v13
	v_and_b32_e32 v2, 1, v13
	v_add_lshl_u32 v17, v24, v0, 2
	v_lshl_add_u64 v[0:1], v[2:3], 0, -1
	v_cmp_ne_u32_e32 vcc, 0, v2
	; wave barrier
	s_nop 1
	v_xor_b32_e32 v1, vcc_hi, v1
	v_xor_b32_e32 v0, vcc_lo, v0
	v_and_b32_e32 v2, exec_hi, v1
	v_and_b32_e32 v15, exec_lo, v0
	v_lshlrev_b32_e32 v1, 30, v13
	v_mov_b32_e32 v0, v3
	v_cmp_gt_i64_e32 vcc, 0, v[0:1]
	v_not_b32_e32 v0, v1
	v_ashrrev_i32_e32 v0, 31, v0
	v_xor_b32_e32 v1, vcc_hi, v0
	v_xor_b32_e32 v0, vcc_lo, v0
	v_and_b32_e32 v2, v2, v1
	v_and_b32_e32 v15, v15, v0
	v_lshlrev_b32_e32 v1, 29, v13
	v_mov_b32_e32 v0, v3
	v_cmp_gt_i64_e32 vcc, 0, v[0:1]
	v_not_b32_e32 v0, v1
	v_ashrrev_i32_e32 v0, 31, v0
	v_xor_b32_e32 v1, vcc_hi, v0
	v_xor_b32_e32 v0, vcc_lo, v0
	v_and_b32_e32 v2, v2, v1
	v_and_b32_e32 v15, v15, v0
	;; [unrolled: 9-line block ×6, first 2 shown]
	v_lshlrev_b32_e32 v1, 24, v13
	v_mov_b32_e32 v0, v3
	v_cmp_gt_i64_e32 vcc, 0, v[0:1]
	v_not_b32_e32 v0, v1
	v_ashrrev_i32_e32 v0, 31, v0
	v_xor_b32_e32 v1, vcc_hi, v0
	v_xor_b32_e32 v0, vcc_lo, v0
	ds_read_b32 v11, v17 offset:64
	v_and_b32_e32 v0, v15, v0
	v_and_b32_e32 v1, v2, v1
	v_mbcnt_lo_u32_b32 v2, v0, 0
	v_mbcnt_hi_u32_b32 v13, v1, v2
	v_cmp_eq_u32_e32 vcc, 0, v13
	v_cmp_ne_u64_e64 s[0:1], 0, v[0:1]
	s_and_b64 s[4:5], s[0:1], vcc
	; wave barrier
	s_and_saveexec_b64 s[0:1], s[4:5]
	s_cbranch_execz .LBB1793_87
; %bb.86:
	v_bcnt_u32_b32 v0, v0, 0
	v_bcnt_u32_b32 v0, v1, v0
	s_waitcnt lgkmcnt(0)
	v_add_u32_e32 v0, v11, v0
	ds_write_b32 v17, v0 offset:64
.LBB1793_87:
	s_or_b64 exec, exec, s[0:1]
	s_waitcnt vmcnt(5)
	v_xor_b32_e32 v8, 0x80000000, v8
	v_lshrrev_b32_e32 v0, s20, v8
	v_and_b32_e32 v18, s14, v0
	v_lshl_add_u32 v0, v18, 4, v18
	v_add_lshl_u32 v22, v24, v0, 2
	v_and_b32_e32 v0, 1, v18
	v_mov_b32_e32 v1, 0
	v_lshl_add_u64 v[2:3], v[0:1], 0, -1
	v_cmp_ne_u32_e32 vcc, 0, v0
	; wave barrier
	s_nop 1
	v_xor_b32_e32 v2, vcc_lo, v2
	v_xor_b32_e32 v0, vcc_hi, v3
	v_and_b32_e32 v19, exec_lo, v2
	v_lshlrev_b32_e32 v3, 30, v18
	v_mov_b32_e32 v2, v1
	v_cmp_gt_i64_e32 vcc, 0, v[2:3]
	v_not_b32_e32 v2, v3
	v_ashrrev_i32_e32 v2, 31, v2
	v_and_b32_e32 v0, exec_hi, v0
	v_xor_b32_e32 v3, vcc_hi, v2
	v_xor_b32_e32 v2, vcc_lo, v2
	v_and_b32_e32 v0, v0, v3
	v_and_b32_e32 v19, v19, v2
	v_lshlrev_b32_e32 v3, 29, v18
	v_mov_b32_e32 v2, v1
	v_cmp_gt_i64_e32 vcc, 0, v[2:3]
	v_not_b32_e32 v2, v3
	v_ashrrev_i32_e32 v2, 31, v2
	v_xor_b32_e32 v3, vcc_hi, v2
	v_xor_b32_e32 v2, vcc_lo, v2
	v_and_b32_e32 v0, v0, v3
	v_and_b32_e32 v19, v19, v2
	v_lshlrev_b32_e32 v3, 28, v18
	v_mov_b32_e32 v2, v1
	v_cmp_gt_i64_e32 vcc, 0, v[2:3]
	v_not_b32_e32 v2, v3
	v_ashrrev_i32_e32 v2, 31, v2
	;; [unrolled: 9-line block ×6, first 2 shown]
	v_xor_b32_e32 v3, vcc_hi, v2
	v_xor_b32_e32 v2, vcc_lo, v2
	ds_read_b32 v15, v22 offset:64
	v_and_b32_e32 v2, v19, v2
	v_and_b32_e32 v3, v0, v3
	v_mbcnt_lo_u32_b32 v0, v2, 0
	v_mbcnt_hi_u32_b32 v18, v3, v0
	v_cmp_eq_u32_e32 vcc, 0, v18
	v_cmp_ne_u64_e64 s[0:1], 0, v[2:3]
	s_and_b64 s[4:5], s[0:1], vcc
	; wave barrier
	s_and_saveexec_b64 s[0:1], s[4:5]
	s_cbranch_execz .LBB1793_89
; %bb.88:
	v_bcnt_u32_b32 v0, v2, 0
	v_bcnt_u32_b32 v0, v3, v0
	s_waitcnt lgkmcnt(0)
	v_add_u32_e32 v0, v15, v0
	ds_write_b32 v22, v0 offset:64
.LBB1793_89:
	s_or_b64 exec, exec, s[0:1]
	s_waitcnt vmcnt(4)
	v_xor_b32_e32 v12, 0x80000000, v12
	v_lshrrev_b32_e32 v0, s20, v12
	v_and_b32_e32 v23, s14, v0
	v_lshl_add_u32 v0, v23, 4, v23
	v_add_lshl_u32 v27, v24, v0, 2
	v_and_b32_e32 v0, 1, v23
	v_lshl_add_u64 v[2:3], v[0:1], 0, -1
	v_cmp_ne_u32_e32 vcc, 0, v0
	; wave barrier
	s_nop 1
	v_xor_b32_e32 v2, vcc_lo, v2
	v_xor_b32_e32 v0, vcc_hi, v3
	v_and_b32_e32 v25, exec_lo, v2
	v_lshlrev_b32_e32 v3, 30, v23
	v_mov_b32_e32 v2, v1
	v_cmp_gt_i64_e32 vcc, 0, v[2:3]
	v_not_b32_e32 v2, v3
	v_ashrrev_i32_e32 v2, 31, v2
	v_and_b32_e32 v0, exec_hi, v0
	v_xor_b32_e32 v3, vcc_hi, v2
	v_xor_b32_e32 v2, vcc_lo, v2
	v_and_b32_e32 v0, v0, v3
	v_and_b32_e32 v25, v25, v2
	v_lshlrev_b32_e32 v3, 29, v23
	v_mov_b32_e32 v2, v1
	v_cmp_gt_i64_e32 vcc, 0, v[2:3]
	v_not_b32_e32 v2, v3
	v_ashrrev_i32_e32 v2, 31, v2
	v_xor_b32_e32 v3, vcc_hi, v2
	v_xor_b32_e32 v2, vcc_lo, v2
	v_and_b32_e32 v0, v0, v3
	v_and_b32_e32 v25, v25, v2
	v_lshlrev_b32_e32 v3, 28, v23
	v_mov_b32_e32 v2, v1
	v_cmp_gt_i64_e32 vcc, 0, v[2:3]
	v_not_b32_e32 v2, v3
	v_ashrrev_i32_e32 v2, 31, v2
	v_xor_b32_e32 v3, vcc_hi, v2
	v_xor_b32_e32 v2, vcc_lo, v2
	v_and_b32_e32 v0, v0, v3
	v_and_b32_e32 v25, v25, v2
	v_lshlrev_b32_e32 v3, 27, v23
	v_mov_b32_e32 v2, v1
	v_cmp_gt_i64_e32 vcc, 0, v[2:3]
	v_not_b32_e32 v2, v3
	v_ashrrev_i32_e32 v2, 31, v2
	v_xor_b32_e32 v3, vcc_hi, v2
	v_xor_b32_e32 v2, vcc_lo, v2
	v_and_b32_e32 v0, v0, v3
	v_and_b32_e32 v25, v25, v2
	v_lshlrev_b32_e32 v3, 26, v23
	v_mov_b32_e32 v2, v1
	v_cmp_gt_i64_e32 vcc, 0, v[2:3]
	v_not_b32_e32 v2, v3
	v_ashrrev_i32_e32 v2, 31, v2
	v_xor_b32_e32 v3, vcc_hi, v2
	v_xor_b32_e32 v2, vcc_lo, v2
	v_and_b32_e32 v0, v0, v3
	v_and_b32_e32 v25, v25, v2
	v_lshlrev_b32_e32 v3, 25, v23
	v_mov_b32_e32 v2, v1
	v_cmp_gt_i64_e32 vcc, 0, v[2:3]
	v_not_b32_e32 v2, v3
	v_ashrrev_i32_e32 v2, 31, v2
	v_xor_b32_e32 v3, vcc_hi, v2
	v_xor_b32_e32 v2, vcc_lo, v2
	v_and_b32_e32 v0, v0, v3
	v_lshlrev_b32_e32 v3, 24, v23
	v_and_b32_e32 v25, v25, v2
	v_mov_b32_e32 v2, v1
	v_not_b32_e32 v1, v3
	v_cmp_gt_i64_e32 vcc, 0, v[2:3]
	v_ashrrev_i32_e32 v1, 31, v1
	ds_read_b32 v19, v27 offset:64
	v_xor_b32_e32 v2, vcc_hi, v1
	v_xor_b32_e32 v3, vcc_lo, v1
	v_and_b32_e32 v1, v0, v2
	v_and_b32_e32 v0, v25, v3
	v_mbcnt_lo_u32_b32 v2, v0, 0
	v_mbcnt_hi_u32_b32 v23, v1, v2
	v_cmp_eq_u32_e32 vcc, 0, v23
	v_cmp_ne_u64_e64 s[0:1], 0, v[0:1]
	s_and_b64 s[4:5], s[0:1], vcc
	; wave barrier
	s_and_saveexec_b64 s[0:1], s[4:5]
	s_cbranch_execz .LBB1793_91
; %bb.90:
	v_bcnt_u32_b32 v0, v0, 0
	v_bcnt_u32_b32 v0, v1, v0
	s_waitcnt lgkmcnt(0)
	v_add_u32_e32 v0, v19, v0
	ds_write_b32 v27, v0 offset:64
.LBB1793_91:
	s_or_b64 exec, exec, s[0:1]
	s_waitcnt vmcnt(3)
	v_xor_b32_e32 v16, 0x80000000, v16
	v_lshrrev_b32_e32 v0, s20, v16
	v_and_b32_e32 v28, s14, v0
	v_lshl_add_u32 v0, v28, 4, v28
	v_add_lshl_u32 v30, v24, v0, 2
	v_and_b32_e32 v0, 1, v28
	v_mov_b32_e32 v1, 0
	v_lshl_add_u64 v[2:3], v[0:1], 0, -1
	v_cmp_ne_u32_e32 vcc, 0, v0
	; wave barrier
	s_nop 1
	v_xor_b32_e32 v2, vcc_lo, v2
	v_xor_b32_e32 v0, vcc_hi, v3
	v_and_b32_e32 v29, exec_lo, v2
	v_lshlrev_b32_e32 v3, 30, v28
	v_mov_b32_e32 v2, v1
	v_cmp_gt_i64_e32 vcc, 0, v[2:3]
	v_not_b32_e32 v2, v3
	v_ashrrev_i32_e32 v2, 31, v2
	v_and_b32_e32 v0, exec_hi, v0
	v_xor_b32_e32 v3, vcc_hi, v2
	v_xor_b32_e32 v2, vcc_lo, v2
	v_and_b32_e32 v0, v0, v3
	v_and_b32_e32 v29, v29, v2
	v_lshlrev_b32_e32 v3, 29, v28
	v_mov_b32_e32 v2, v1
	v_cmp_gt_i64_e32 vcc, 0, v[2:3]
	v_not_b32_e32 v2, v3
	v_ashrrev_i32_e32 v2, 31, v2
	v_xor_b32_e32 v3, vcc_hi, v2
	v_xor_b32_e32 v2, vcc_lo, v2
	v_and_b32_e32 v0, v0, v3
	v_and_b32_e32 v29, v29, v2
	v_lshlrev_b32_e32 v3, 28, v28
	v_mov_b32_e32 v2, v1
	v_cmp_gt_i64_e32 vcc, 0, v[2:3]
	v_not_b32_e32 v2, v3
	v_ashrrev_i32_e32 v2, 31, v2
	;; [unrolled: 9-line block ×6, first 2 shown]
	v_xor_b32_e32 v3, vcc_hi, v2
	v_xor_b32_e32 v2, vcc_lo, v2
	ds_read_b32 v25, v30 offset:64
	v_and_b32_e32 v2, v29, v2
	v_and_b32_e32 v3, v0, v3
	v_mbcnt_lo_u32_b32 v0, v2, 0
	v_mbcnt_hi_u32_b32 v28, v3, v0
	v_cmp_eq_u32_e32 vcc, 0, v28
	v_cmp_ne_u64_e64 s[0:1], 0, v[2:3]
	s_and_b64 s[4:5], s[0:1], vcc
	; wave barrier
	s_and_saveexec_b64 s[0:1], s[4:5]
	s_cbranch_execz .LBB1793_93
; %bb.92:
	v_bcnt_u32_b32 v0, v2, 0
	v_bcnt_u32_b32 v0, v3, v0
	s_waitcnt lgkmcnt(0)
	v_add_u32_e32 v0, v25, v0
	ds_write_b32 v30, v0 offset:64
.LBB1793_93:
	s_or_b64 exec, exec, s[0:1]
	s_waitcnt vmcnt(2)
	v_xor_b32_e32 v20, 0x80000000, v20
	v_lshrrev_b32_e32 v0, s20, v20
	v_and_b32_e32 v31, s14, v0
	v_lshl_add_u32 v0, v31, 4, v31
	v_add_lshl_u32 v33, v24, v0, 2
	v_and_b32_e32 v0, 1, v31
	v_lshl_add_u64 v[2:3], v[0:1], 0, -1
	v_cmp_ne_u32_e32 vcc, 0, v0
	; wave barrier
	s_nop 1
	v_xor_b32_e32 v2, vcc_lo, v2
	v_xor_b32_e32 v0, vcc_hi, v3
	v_and_b32_e32 v32, exec_lo, v2
	v_lshlrev_b32_e32 v3, 30, v31
	v_mov_b32_e32 v2, v1
	v_cmp_gt_i64_e32 vcc, 0, v[2:3]
	v_not_b32_e32 v2, v3
	v_ashrrev_i32_e32 v2, 31, v2
	v_and_b32_e32 v0, exec_hi, v0
	v_xor_b32_e32 v3, vcc_hi, v2
	v_xor_b32_e32 v2, vcc_lo, v2
	v_and_b32_e32 v0, v0, v3
	v_and_b32_e32 v32, v32, v2
	v_lshlrev_b32_e32 v3, 29, v31
	v_mov_b32_e32 v2, v1
	v_cmp_gt_i64_e32 vcc, 0, v[2:3]
	v_not_b32_e32 v2, v3
	v_ashrrev_i32_e32 v2, 31, v2
	v_xor_b32_e32 v3, vcc_hi, v2
	v_xor_b32_e32 v2, vcc_lo, v2
	v_and_b32_e32 v0, v0, v3
	v_and_b32_e32 v32, v32, v2
	v_lshlrev_b32_e32 v3, 28, v31
	v_mov_b32_e32 v2, v1
	v_cmp_gt_i64_e32 vcc, 0, v[2:3]
	v_not_b32_e32 v2, v3
	v_ashrrev_i32_e32 v2, 31, v2
	;; [unrolled: 9-line block ×5, first 2 shown]
	v_xor_b32_e32 v3, vcc_hi, v2
	v_xor_b32_e32 v2, vcc_lo, v2
	v_and_b32_e32 v0, v0, v3
	v_lshlrev_b32_e32 v3, 24, v31
	v_and_b32_e32 v32, v32, v2
	v_mov_b32_e32 v2, v1
	v_not_b32_e32 v1, v3
	v_cmp_gt_i64_e32 vcc, 0, v[2:3]
	v_ashrrev_i32_e32 v1, 31, v1
	ds_read_b32 v29, v33 offset:64
	v_xor_b32_e32 v2, vcc_hi, v1
	v_xor_b32_e32 v3, vcc_lo, v1
	v_and_b32_e32 v1, v0, v2
	v_and_b32_e32 v0, v32, v3
	v_mbcnt_lo_u32_b32 v2, v0, 0
	v_mbcnt_hi_u32_b32 v31, v1, v2
	v_cmp_eq_u32_e32 vcc, 0, v31
	v_cmp_ne_u64_e64 s[0:1], 0, v[0:1]
	s_and_b64 s[4:5], s[0:1], vcc
	; wave barrier
	s_and_saveexec_b64 s[0:1], s[4:5]
	s_cbranch_execz .LBB1793_95
; %bb.94:
	v_bcnt_u32_b32 v0, v0, 0
	v_bcnt_u32_b32 v0, v1, v0
	s_waitcnt lgkmcnt(0)
	v_add_u32_e32 v0, v29, v0
	ds_write_b32 v33, v0 offset:64
.LBB1793_95:
	s_or_b64 exec, exec, s[0:1]
	s_waitcnt vmcnt(1)
	v_xor_b32_e32 v26, 0x80000000, v26
	v_lshrrev_b32_e32 v0, s20, v26
	v_and_b32_e32 v34, s14, v0
	v_lshl_add_u32 v0, v34, 4, v34
	v_add_lshl_u32 v36, v24, v0, 2
	v_and_b32_e32 v0, 1, v34
	v_mov_b32_e32 v1, 0
	v_lshl_add_u64 v[2:3], v[0:1], 0, -1
	v_cmp_ne_u32_e32 vcc, 0, v0
	; wave barrier
	s_nop 1
	v_xor_b32_e32 v2, vcc_lo, v2
	v_xor_b32_e32 v0, vcc_hi, v3
	v_and_b32_e32 v35, exec_lo, v2
	v_lshlrev_b32_e32 v3, 30, v34
	v_mov_b32_e32 v2, v1
	v_cmp_gt_i64_e32 vcc, 0, v[2:3]
	v_not_b32_e32 v2, v3
	v_ashrrev_i32_e32 v2, 31, v2
	v_and_b32_e32 v0, exec_hi, v0
	v_xor_b32_e32 v3, vcc_hi, v2
	v_xor_b32_e32 v2, vcc_lo, v2
	v_and_b32_e32 v0, v0, v3
	v_and_b32_e32 v35, v35, v2
	v_lshlrev_b32_e32 v3, 29, v34
	v_mov_b32_e32 v2, v1
	v_cmp_gt_i64_e32 vcc, 0, v[2:3]
	v_not_b32_e32 v2, v3
	v_ashrrev_i32_e32 v2, 31, v2
	v_xor_b32_e32 v3, vcc_hi, v2
	v_xor_b32_e32 v2, vcc_lo, v2
	v_and_b32_e32 v0, v0, v3
	v_and_b32_e32 v35, v35, v2
	v_lshlrev_b32_e32 v3, 28, v34
	v_mov_b32_e32 v2, v1
	v_cmp_gt_i64_e32 vcc, 0, v[2:3]
	v_not_b32_e32 v2, v3
	v_ashrrev_i32_e32 v2, 31, v2
	;; [unrolled: 9-line block ×6, first 2 shown]
	v_xor_b32_e32 v3, vcc_hi, v2
	v_xor_b32_e32 v2, vcc_lo, v2
	ds_read_b32 v32, v36 offset:64
	v_and_b32_e32 v2, v35, v2
	v_and_b32_e32 v3, v0, v3
	v_mbcnt_lo_u32_b32 v0, v2, 0
	v_mbcnt_hi_u32_b32 v34, v3, v0
	v_cmp_eq_u32_e32 vcc, 0, v34
	v_cmp_ne_u64_e64 s[0:1], 0, v[2:3]
	s_and_b64 s[4:5], s[0:1], vcc
	; wave barrier
	s_and_saveexec_b64 s[0:1], s[4:5]
	s_cbranch_execz .LBB1793_97
; %bb.96:
	v_bcnt_u32_b32 v0, v2, 0
	v_bcnt_u32_b32 v0, v3, v0
	s_waitcnt lgkmcnt(0)
	v_add_u32_e32 v0, v32, v0
	ds_write_b32 v36, v0 offset:64
.LBB1793_97:
	s_or_b64 exec, exec, s[0:1]
	s_waitcnt vmcnt(0)
	v_xor_b32_e32 v21, 0x80000000, v21
	v_lshrrev_b32_e32 v0, s20, v21
	v_and_b32_e32 v37, s14, v0
	v_lshl_add_u32 v0, v37, 4, v37
	v_add_lshl_u32 v38, v24, v0, 2
	v_and_b32_e32 v0, 1, v37
	v_lshl_add_u64 v[2:3], v[0:1], 0, -1
	v_cmp_ne_u32_e32 vcc, 0, v0
	; wave barrier
	s_nop 1
	v_xor_b32_e32 v2, vcc_lo, v2
	v_xor_b32_e32 v0, vcc_hi, v3
	v_and_b32_e32 v24, exec_lo, v2
	v_lshlrev_b32_e32 v3, 30, v37
	v_mov_b32_e32 v2, v1
	v_cmp_gt_i64_e32 vcc, 0, v[2:3]
	v_not_b32_e32 v2, v3
	v_ashrrev_i32_e32 v2, 31, v2
	v_and_b32_e32 v0, exec_hi, v0
	v_xor_b32_e32 v3, vcc_hi, v2
	v_xor_b32_e32 v2, vcc_lo, v2
	v_and_b32_e32 v0, v0, v3
	v_and_b32_e32 v24, v24, v2
	v_lshlrev_b32_e32 v3, 29, v37
	v_mov_b32_e32 v2, v1
	v_cmp_gt_i64_e32 vcc, 0, v[2:3]
	v_not_b32_e32 v2, v3
	v_ashrrev_i32_e32 v2, 31, v2
	v_xor_b32_e32 v3, vcc_hi, v2
	v_xor_b32_e32 v2, vcc_lo, v2
	v_and_b32_e32 v0, v0, v3
	v_and_b32_e32 v24, v24, v2
	v_lshlrev_b32_e32 v3, 28, v37
	v_mov_b32_e32 v2, v1
	v_cmp_gt_i64_e32 vcc, 0, v[2:3]
	v_not_b32_e32 v2, v3
	v_ashrrev_i32_e32 v2, 31, v2
	;; [unrolled: 9-line block ×5, first 2 shown]
	v_xor_b32_e32 v3, vcc_hi, v2
	v_xor_b32_e32 v2, vcc_lo, v2
	v_and_b32_e32 v0, v0, v3
	v_lshlrev_b32_e32 v3, 24, v37
	v_and_b32_e32 v24, v24, v2
	v_mov_b32_e32 v2, v1
	v_not_b32_e32 v1, v3
	v_cmp_gt_i64_e32 vcc, 0, v[2:3]
	v_ashrrev_i32_e32 v1, 31, v1
	ds_read_b32 v35, v38 offset:64
	v_xor_b32_e32 v2, vcc_hi, v1
	v_xor_b32_e32 v3, vcc_lo, v1
	v_and_b32_e32 v1, v0, v2
	v_and_b32_e32 v0, v24, v3
	v_mbcnt_lo_u32_b32 v2, v0, 0
	v_mbcnt_hi_u32_b32 v37, v1, v2
	v_cmp_eq_u32_e32 vcc, 0, v37
	v_cmp_ne_u64_e64 s[0:1], 0, v[0:1]
	v_add_u32_e32 v39, 64, v5
	s_and_b64 s[4:5], s[0:1], vcc
	; wave barrier
	s_and_saveexec_b64 s[0:1], s[4:5]
	s_cbranch_execz .LBB1793_99
; %bb.98:
	v_bcnt_u32_b32 v0, v0, 0
	v_bcnt_u32_b32 v0, v1, v0
	s_waitcnt lgkmcnt(0)
	v_add_u32_e32 v0, v35, v0
	ds_write_b32 v38, v0 offset:64
.LBB1793_99:
	s_or_b64 exec, exec, s[0:1]
	; wave barrier
	s_waitcnt lgkmcnt(0)
	s_barrier
	ds_read2_b32 v[2:3], v5 offset0:16 offset1:17
	ds_read2_b32 v[0:1], v39 offset0:2 offset1:3
	ds_read_b32 v24, v39 offset:16
	v_cmp_lt_u32_e64 s[8:9], 31, v4
	s_waitcnt lgkmcnt(1)
	v_add3_u32 v40, v3, v2, v0
	s_waitcnt lgkmcnt(0)
	v_add3_u32 v24, v40, v1, v24
	v_and_b32_e32 v40, 15, v4
	v_cmp_eq_u32_e32 vcc, 0, v40
	v_mov_b32_dpp v41, v24 row_shr:1 row_mask:0xf bank_mask:0xf
	v_cmp_lt_u32_e64 s[0:1], 1, v40
	v_cndmask_b32_e64 v41, v41, 0, vcc
	v_add_u32_e32 v24, v41, v24
	v_cmp_lt_u32_e64 s[6:7], 3, v40
	v_cmp_lt_u32_e64 s[4:5], 7, v40
	v_mov_b32_dpp v41, v24 row_shr:2 row_mask:0xf bank_mask:0xf
	v_cndmask_b32_e64 v41, 0, v41, s[0:1]
	v_add_u32_e32 v24, v24, v41
	s_nop 1
	v_mov_b32_dpp v41, v24 row_shr:4 row_mask:0xf bank_mask:0xf
	v_cndmask_b32_e64 v41, 0, v41, s[6:7]
	v_add_u32_e32 v24, v24, v41
	s_nop 1
	v_mov_b32_dpp v41, v24 row_shr:8 row_mask:0xf bank_mask:0xf
	v_cndmask_b32_e64 v40, 0, v41, s[4:5]
	v_add_u32_e32 v24, v24, v40
	v_bfe_i32 v41, v4, 4, 1
	s_nop 0
	v_mov_b32_dpp v40, v24 row_bcast:15 row_mask:0xf bank_mask:0xf
	v_and_b32_e32 v40, v41, v40
	v_add_u32_e32 v24, v24, v40
	v_lshrrev_b32_e32 v41, 6, v10
	s_nop 0
	v_mov_b32_dpp v40, v24 row_bcast:31 row_mask:0xf bank_mask:0xf
	v_cndmask_b32_e64 v40, 0, v40, s[8:9]
	v_add_u32_e32 v40, v24, v40
	v_and_b32_e32 v24, 63, v10
	v_cmp_eq_u32_e64 s[8:9], 63, v24
	s_and_saveexec_b64 s[12:13], s[8:9]
	s_cbranch_execz .LBB1793_101
; %bb.100:
	v_lshlrev_b32_e32 v24, 2, v41
	ds_write_b32 v24, v40
.LBB1793_101:
	s_or_b64 exec, exec, s[12:13]
	v_cmp_gt_u32_e64 s[8:9], 16, v10
	v_lshlrev_b32_e32 v24, 2, v10
	s_waitcnt lgkmcnt(0)
	s_barrier
	s_and_saveexec_b64 s[12:13], s[8:9]
	s_cbranch_execz .LBB1793_103
; %bb.102:
	ds_read_b32 v42, v24
	s_waitcnt lgkmcnt(0)
	s_nop 0
	v_mov_b32_dpp v43, v42 row_shr:1 row_mask:0xf bank_mask:0xf
	v_cndmask_b32_e64 v43, v43, 0, vcc
	v_add_u32_e32 v42, v43, v42
	s_nop 1
	v_mov_b32_dpp v43, v42 row_shr:2 row_mask:0xf bank_mask:0xf
	v_cndmask_b32_e64 v43, 0, v43, s[0:1]
	v_add_u32_e32 v42, v42, v43
	s_nop 1
	v_mov_b32_dpp v43, v42 row_shr:4 row_mask:0xf bank_mask:0xf
	v_cndmask_b32_e64 v43, 0, v43, s[6:7]
	;; [unrolled: 4-line block ×3, first 2 shown]
	v_add_u32_e32 v42, v42, v43
	ds_write_b32 v24, v42
.LBB1793_103:
	s_or_b64 exec, exec, s[12:13]
	v_cmp_lt_u32_e32 vcc, 63, v10
	v_mov_b32_e32 v42, 0
	s_waitcnt lgkmcnt(0)
	s_barrier
	s_and_saveexec_b64 s[0:1], vcc
	s_cbranch_execz .LBB1793_105
; %bb.104:
	v_lshl_add_u32 v41, v41, 2, -4
	ds_read_b32 v42, v41
.LBB1793_105:
	s_or_b64 exec, exec, s[0:1]
	v_add_u32_e32 v41, -1, v4
	v_and_b32_e32 v43, 64, v4
	v_cmp_lt_i32_e32 vcc, v41, v43
	s_waitcnt lgkmcnt(0)
	v_add_u32_e32 v40, v42, v40
	s_movk_i32 s0, 0x100
	v_cndmask_b32_e32 v41, v41, v4, vcc
	v_lshlrev_b32_e32 v41, 2, v41
	ds_bpermute_b32 v40, v41, v40
	v_cmp_eq_u32_e32 vcc, 0, v4
	v_cmp_gt_u32_e64 s[0:1], s0, v10
	s_waitcnt lgkmcnt(0)
	v_cndmask_b32_e32 v4, v40, v42, vcc
	v_cmp_ne_u32_e32 vcc, 0, v10
	s_nop 1
	v_cndmask_b32_e32 v4, 0, v4, vcc
	v_add_u32_e32 v2, v4, v2
	v_add_u32_e32 v3, v2, v3
	;; [unrolled: 1-line block ×4, first 2 shown]
	ds_write2_b32 v5, v4, v2 offset0:16 offset1:17
	ds_write2_b32 v39, v3, v0 offset0:2 offset1:3
	ds_write_b32 v39, v1 offset:16
	s_waitcnt lgkmcnt(0)
	s_barrier
	ds_read_b32 v43, v14 offset:64
	ds_read_b32 v39, v17 offset:64
	;; [unrolled: 1-line block ×8, first 2 shown]
                                        ; implicit-def: $vgpr14
                                        ; implicit-def: $vgpr17
	s_and_saveexec_b64 s[4:5], s[0:1]
	s_cbranch_execz .LBB1793_109
; %bb.106:
	v_mul_u32_u24_e32 v0, 17, v10
	v_lshlrev_b32_e32 v1, 2, v0
	ds_read_b32 v14, v1 offset:64
	s_movk_i32 s6, 0xff
	v_cmp_ne_u32_e32 vcc, s6, v10
	v_mov_b32_e32 v0, 0x2000
	s_and_saveexec_b64 s[6:7], vcc
	s_cbranch_execz .LBB1793_108
; %bb.107:
	ds_read_b32 v0, v1 offset:132
.LBB1793_108:
	s_or_b64 exec, exec, s[6:7]
	s_waitcnt lgkmcnt(0)
	v_sub_u32_e32 v17, v0, v14
.LBB1793_109:
	s_or_b64 exec, exec, s[4:5]
	s_waitcnt lgkmcnt(0)
	s_barrier
	s_and_saveexec_b64 s[4:5], s[0:1]
	s_cbranch_execz .LBB1793_119
; %bb.110:
	v_lshl_or_b32 v2, s2, 8, v10
	v_mov_b32_e32 v3, 0
	v_lshl_add_u64 v[0:1], v[2:3], 2, s[28:29]
	v_or_b32_e32 v2, 2.0, v17
	s_mov_b64 s[6:7], 0
	s_brev_b32 s15, 1
	s_mov_b32 s21, s2
	v_mov_b32_e32 v33, 0
	global_store_dword v[0:1], v2, off sc1
                                        ; implicit-def: $sgpr8_sgpr9
	s_branch .LBB1793_113
.LBB1793_111:                           ;   in Loop: Header=BB1793_113 Depth=1
	s_or_b64 exec, exec, s[12:13]
.LBB1793_112:                           ;   in Loop: Header=BB1793_113 Depth=1
	s_or_b64 exec, exec, s[8:9]
	v_and_b32_e32 v4, 0x3fffffff, v36
	v_add_u32_e32 v33, v4, v33
	v_cmp_eq_u32_e64 s[8:9], s15, v2
	s_and_b64 s[12:13], exec, s[8:9]
	s_or_b64 s[6:7], s[12:13], s[6:7]
	s_andn2_b64 exec, exec, s[6:7]
	s_cbranch_execz .LBB1793_118
.LBB1793_113:                           ; =>This Loop Header: Depth=1
                                        ;     Child Loop BB1793_116 Depth 2
	s_or_b64 s[8:9], s[8:9], exec
	s_cmp_eq_u32 s21, 0
	s_cbranch_scc1 .LBB1793_117
; %bb.114:                              ;   in Loop: Header=BB1793_113 Depth=1
	s_add_i32 s21, s21, -1
	v_lshl_or_b32 v2, s21, 8, v10
	v_lshl_add_u64 v[4:5], v[2:3], 2, s[28:29]
	global_load_dword v36, v[4:5], off sc1
	s_waitcnt vmcnt(0)
	v_and_b32_e32 v2, -2.0, v36
	v_cmp_eq_u32_e32 vcc, 0, v2
	s_and_saveexec_b64 s[8:9], vcc
	s_cbranch_execz .LBB1793_112
; %bb.115:                              ;   in Loop: Header=BB1793_113 Depth=1
	s_mov_b64 s[12:13], 0
.LBB1793_116:                           ;   Parent Loop BB1793_113 Depth=1
                                        ; =>  This Inner Loop Header: Depth=2
	global_load_dword v36, v[4:5], off sc1
	s_waitcnt vmcnt(0)
	v_and_b32_e32 v2, -2.0, v36
	v_cmp_ne_u32_e32 vcc, 0, v2
	s_or_b64 s[12:13], vcc, s[12:13]
	s_andn2_b64 exec, exec, s[12:13]
	s_cbranch_execnz .LBB1793_116
	s_branch .LBB1793_111
.LBB1793_117:                           ;   in Loop: Header=BB1793_113 Depth=1
                                        ; implicit-def: $sgpr21
	s_and_b64 s[12:13], exec, s[8:9]
	s_or_b64 s[6:7], s[12:13], s[6:7]
	s_andn2_b64 exec, exec, s[6:7]
	s_cbranch_execnz .LBB1793_113
.LBB1793_118:
	s_or_b64 exec, exec, s[6:7]
	v_add_u32_e32 v2, v33, v17
	v_or_b32_e32 v2, 0x80000000, v2
	global_store_dword v[0:1], v2, off sc1
	global_load_dword v0, v24, s[16:17]
	v_sub_u32_e32 v1, v33, v14
	s_waitcnt vmcnt(0)
	v_add_u32_e32 v0, v1, v0
	ds_write_b32 v24, v0
.LBB1793_119:
	s_or_b64 exec, exec, s[4:5]
	v_add_u32_e32 v0, v37, v35
	v_add_u32_e32 v1, v34, v32
	;; [unrolled: 1-line block ×8, first 2 shown]
	s_movk_i32 s8, 0x400
	v_add_u32_e32 v3, 0x400, v24
	v_add_lshl_u32 v4, v0, v27, 2
	v_add3_u32 v5, v37, v27, v35
	v_add_lshl_u32 v9, v1, v22, 2
	v_add3_u32 v22, v34, v22, v32
	v_add_lshl_u32 v27, v33, v30, 2
	v_add3_u32 v29, v31, v30, v29
	v_add_lshl_u32 v30, v36, v42, 2
	v_add3_u32 v25, v28, v42, v25
	v_add_lshl_u32 v28, v38, v41, 2
	v_add3_u32 v19, v23, v41, v19
	v_add_lshl_u32 v23, v44, v40, 2
	v_add3_u32 v15, v18, v40, v15
	v_add_lshl_u32 v18, v45, v39, 2
	v_add3_u32 v11, v13, v39, v11
	v_lshlrev_b32_e32 v13, 2, v2
	s_mov_b64 s[4:5], -1
	s_mov_b32 s9, 0
	s_mov_b32 s12, 0
	s_movk_i32 s13, 0x1000
	s_movk_i32 s15, 0x800
	;; [unrolled: 1-line block ×3, first 2 shown]
	v_mov_b32_e32 v1, 0
	v_mov_b32_e32 v31, v10
	s_branch .LBB1793_121
.LBB1793_120:                           ;   in Loop: Header=BB1793_121 Depth=1
	s_or_b64 exec, exec, s[6:7]
	s_waitcnt lgkmcnt(0)
	s_barrier
	ds_read_b32 v0, v24 offset:1024
	ds_read2st64_b32 v[32:33], v3 offset0:16 offset1:32
	s_xor_b64 s[6:7], s[4:5], -1
	s_addk_i32 s9, 0xc000
	s_addk_i32 s12, 0xf000
	s_waitcnt lgkmcnt(1)
	v_lshrrev_b32_e32 v34, s20, v0
	v_and_b32_e32 v34, s14, v34
	v_xor_b32_e32 v36, 0x80000000, v0
	v_lshlrev_b32_e32 v0, 2, v34
	s_waitcnt lgkmcnt(0)
	v_lshrrev_b32_e32 v34, s20, v32
	v_and_b32_e32 v34, s14, v34
	v_lshrrev_b32_e32 v35, s20, v33
	ds_read_b32 v0, v0
	v_lshlrev_b32_e32 v34, 2, v34
	v_and_b32_e32 v35, s14, v35
	v_lshlrev_b32_e32 v35, 2, v35
	ds_read_b32 v37, v34
	ds_read_b32 v38, v35
	ds_read_b32 v39, v3 offset:12288
	s_waitcnt lgkmcnt(3)
	v_add_u32_e32 v0, v31, v0
	v_lshl_add_u64 v[34:35], v[0:1], 2, s[26:27]
	s_waitcnt lgkmcnt(2)
	v_add3_u32 v0, v31, v37, s8
	global_store_dword v[34:35], v36, off
	v_lshl_add_u64 v[34:35], v[0:1], 2, s[26:27]
	s_waitcnt lgkmcnt(0)
	v_lshrrev_b32_e32 v0, s20, v39
	v_and_b32_e32 v0, s14, v0
	v_xor_b32_e32 v32, 0x80000000, v32
	v_lshlrev_b32_e32 v0, 2, v0
	global_store_dword v[34:35], v32, off
	ds_read_b32 v35, v0
	v_add3_u32 v0, v31, v38, s15
	v_xor_b32_e32 v34, 0x80000000, v33
	v_lshl_add_u64 v[32:33], v[0:1], 2, s[26:27]
	global_store_dword v[32:33], v34, off
	s_waitcnt lgkmcnt(0)
	v_add3_u32 v0, v31, v35, s16
	v_xor_b32_e32 v34, 0x80000000, v39
	v_lshl_add_u64 v[32:33], v[0:1], 2, s[26:27]
	v_add_u32_e32 v31, 0x1000, v31
	s_mov_b64 s[4:5], 0
	s_and_b64 vcc, exec, s[6:7]
	global_store_dword v[32:33], v34, off
	s_barrier
	s_cbranch_vccnz .LBB1793_137
.LBB1793_121:                           ; =>This Inner Loop Header: Depth=1
	v_add_u32_e32 v0, s12, v2
	v_cmp_gt_u32_e32 vcc, s13, v0
	s_and_saveexec_b64 s[6:7], vcc
	s_cbranch_execz .LBB1793_123
; %bb.122:                              ;   in Loop: Header=BB1793_121 Depth=1
	v_add_u32_e32 v0, s9, v13
	ds_write_b32 v0, v6 offset:1024
.LBB1793_123:                           ;   in Loop: Header=BB1793_121 Depth=1
	s_or_b64 exec, exec, s[6:7]
	v_add_u32_e32 v0, s12, v11
	v_cmp_gt_u32_e32 vcc, s13, v0
	s_and_saveexec_b64 s[6:7], vcc
	s_cbranch_execz .LBB1793_125
; %bb.124:                              ;   in Loop: Header=BB1793_121 Depth=1
	v_add_u32_e32 v0, s9, v18
	ds_write_b32 v0, v7 offset:1024
.LBB1793_125:                           ;   in Loop: Header=BB1793_121 Depth=1
	s_or_b64 exec, exec, s[6:7]
	;; [unrolled: 9-line block ×7, first 2 shown]
	v_add_u32_e32 v0, s12, v5
	v_cmp_gt_u32_e32 vcc, s13, v0
	s_and_saveexec_b64 s[6:7], vcc
	s_cbranch_execz .LBB1793_120
; %bb.136:                              ;   in Loop: Header=BB1793_121 Depth=1
	v_add_u32_e32 v0, s9, v4
	ds_write_b32 v0, v21 offset:1024
	s_branch .LBB1793_120
.LBB1793_137:
	s_add_i32 s3, s3, -1
	s_cmp_eq_u32 s3, s2
	s_cselect_b64 s[2:3], -1, 0
	s_and_b64 s[2:3], s[0:1], s[2:3]
                                        ; implicit-def: $vgpr2
	s_and_saveexec_b64 s[0:1], s[2:3]
; %bb.138:
	v_add_u32_e32 v2, v14, v17
	s_or_b64 s[10:11], s[10:11], exec
; %bb.139:
	s_or_b64 exec, exec, s[0:1]
.LBB1793_140:
	s_and_saveexec_b64 s[0:1], s[10:11]
	s_cbranch_execnz .LBB1793_142
; %bb.141:
	s_endpgm
.LBB1793_142:
	v_lshlrev_b32_e32 v0, 2, v10
	ds_read_b32 v3, v0
	v_mov_b32_e32 v0, s18
	v_mov_b32_e32 v1, s19
	;; [unrolled: 1-line block ×3, first 2 shown]
	v_lshl_add_u64 v[0:1], v[10:11], 2, v[0:1]
	s_waitcnt lgkmcnt(0)
	v_add_u32_e32 v2, v3, v2
	global_store_dword v[0:1], v2, off
	s_endpgm
	.section	.rodata,"a",@progbits
	.p2align	6, 0x0
	.amdhsa_kernel _ZN7rocprim17ROCPRIM_400000_NS6detail17trampoline_kernelINS0_14default_configENS1_35radix_sort_onesweep_config_selectorIiNS0_10empty_typeEEEZZNS1_29radix_sort_onesweep_iterationIS3_Lb0EN6thrust23THRUST_200600_302600_NS6detail15normal_iteratorINS9_10device_ptrIiEEEESE_PS5_SF_jNS0_19identity_decomposerENS1_16block_id_wrapperIjLb0EEEEE10hipError_tT1_PNSt15iterator_traitsISK_E10value_typeET2_T3_PNSL_ISQ_E10value_typeET4_T5_PSV_SW_PNS1_23onesweep_lookback_stateEbbT6_jjT7_P12ihipStream_tbENKUlT_T0_SK_SP_E_clIPiSE_SF_SF_EEDaS13_S14_SK_SP_EUlS13_E_NS1_11comp_targetILNS1_3genE5ELNS1_11target_archE942ELNS1_3gpuE9ELNS1_3repE0EEENS1_47radix_sort_onesweep_sort_config_static_selectorELNS0_4arch9wavefront6targetE1EEEvSK_
		.amdhsa_group_segment_fixed_size 20552
		.amdhsa_private_segment_fixed_size 0
		.amdhsa_kernarg_size 344
		.amdhsa_user_sgpr_count 2
		.amdhsa_user_sgpr_dispatch_ptr 0
		.amdhsa_user_sgpr_queue_ptr 0
		.amdhsa_user_sgpr_kernarg_segment_ptr 1
		.amdhsa_user_sgpr_dispatch_id 0
		.amdhsa_user_sgpr_kernarg_preload_length 0
		.amdhsa_user_sgpr_kernarg_preload_offset 0
		.amdhsa_user_sgpr_private_segment_size 0
		.amdhsa_uses_dynamic_stack 0
		.amdhsa_enable_private_segment 0
		.amdhsa_system_sgpr_workgroup_id_x 1
		.amdhsa_system_sgpr_workgroup_id_y 0
		.amdhsa_system_sgpr_workgroup_id_z 0
		.amdhsa_system_sgpr_workgroup_info 0
		.amdhsa_system_vgpr_workitem_id 2
		.amdhsa_next_free_vgpr 46
		.amdhsa_next_free_sgpr 30
		.amdhsa_accum_offset 48
		.amdhsa_reserve_vcc 1
		.amdhsa_float_round_mode_32 0
		.amdhsa_float_round_mode_16_64 0
		.amdhsa_float_denorm_mode_32 3
		.amdhsa_float_denorm_mode_16_64 3
		.amdhsa_dx10_clamp 1
		.amdhsa_ieee_mode 1
		.amdhsa_fp16_overflow 0
		.amdhsa_tg_split 0
		.amdhsa_exception_fp_ieee_invalid_op 0
		.amdhsa_exception_fp_denorm_src 0
		.amdhsa_exception_fp_ieee_div_zero 0
		.amdhsa_exception_fp_ieee_overflow 0
		.amdhsa_exception_fp_ieee_underflow 0
		.amdhsa_exception_fp_ieee_inexact 0
		.amdhsa_exception_int_div_zero 0
	.end_amdhsa_kernel
	.section	.text._ZN7rocprim17ROCPRIM_400000_NS6detail17trampoline_kernelINS0_14default_configENS1_35radix_sort_onesweep_config_selectorIiNS0_10empty_typeEEEZZNS1_29radix_sort_onesweep_iterationIS3_Lb0EN6thrust23THRUST_200600_302600_NS6detail15normal_iteratorINS9_10device_ptrIiEEEESE_PS5_SF_jNS0_19identity_decomposerENS1_16block_id_wrapperIjLb0EEEEE10hipError_tT1_PNSt15iterator_traitsISK_E10value_typeET2_T3_PNSL_ISQ_E10value_typeET4_T5_PSV_SW_PNS1_23onesweep_lookback_stateEbbT6_jjT7_P12ihipStream_tbENKUlT_T0_SK_SP_E_clIPiSE_SF_SF_EEDaS13_S14_SK_SP_EUlS13_E_NS1_11comp_targetILNS1_3genE5ELNS1_11target_archE942ELNS1_3gpuE9ELNS1_3repE0EEENS1_47radix_sort_onesweep_sort_config_static_selectorELNS0_4arch9wavefront6targetE1EEEvSK_,"axG",@progbits,_ZN7rocprim17ROCPRIM_400000_NS6detail17trampoline_kernelINS0_14default_configENS1_35radix_sort_onesweep_config_selectorIiNS0_10empty_typeEEEZZNS1_29radix_sort_onesweep_iterationIS3_Lb0EN6thrust23THRUST_200600_302600_NS6detail15normal_iteratorINS9_10device_ptrIiEEEESE_PS5_SF_jNS0_19identity_decomposerENS1_16block_id_wrapperIjLb0EEEEE10hipError_tT1_PNSt15iterator_traitsISK_E10value_typeET2_T3_PNSL_ISQ_E10value_typeET4_T5_PSV_SW_PNS1_23onesweep_lookback_stateEbbT6_jjT7_P12ihipStream_tbENKUlT_T0_SK_SP_E_clIPiSE_SF_SF_EEDaS13_S14_SK_SP_EUlS13_E_NS1_11comp_targetILNS1_3genE5ELNS1_11target_archE942ELNS1_3gpuE9ELNS1_3repE0EEENS1_47radix_sort_onesweep_sort_config_static_selectorELNS0_4arch9wavefront6targetE1EEEvSK_,comdat
.Lfunc_end1793:
	.size	_ZN7rocprim17ROCPRIM_400000_NS6detail17trampoline_kernelINS0_14default_configENS1_35radix_sort_onesweep_config_selectorIiNS0_10empty_typeEEEZZNS1_29radix_sort_onesweep_iterationIS3_Lb0EN6thrust23THRUST_200600_302600_NS6detail15normal_iteratorINS9_10device_ptrIiEEEESE_PS5_SF_jNS0_19identity_decomposerENS1_16block_id_wrapperIjLb0EEEEE10hipError_tT1_PNSt15iterator_traitsISK_E10value_typeET2_T3_PNSL_ISQ_E10value_typeET4_T5_PSV_SW_PNS1_23onesweep_lookback_stateEbbT6_jjT7_P12ihipStream_tbENKUlT_T0_SK_SP_E_clIPiSE_SF_SF_EEDaS13_S14_SK_SP_EUlS13_E_NS1_11comp_targetILNS1_3genE5ELNS1_11target_archE942ELNS1_3gpuE9ELNS1_3repE0EEENS1_47radix_sort_onesweep_sort_config_static_selectorELNS0_4arch9wavefront6targetE1EEEvSK_, .Lfunc_end1793-_ZN7rocprim17ROCPRIM_400000_NS6detail17trampoline_kernelINS0_14default_configENS1_35radix_sort_onesweep_config_selectorIiNS0_10empty_typeEEEZZNS1_29radix_sort_onesweep_iterationIS3_Lb0EN6thrust23THRUST_200600_302600_NS6detail15normal_iteratorINS9_10device_ptrIiEEEESE_PS5_SF_jNS0_19identity_decomposerENS1_16block_id_wrapperIjLb0EEEEE10hipError_tT1_PNSt15iterator_traitsISK_E10value_typeET2_T3_PNSL_ISQ_E10value_typeET4_T5_PSV_SW_PNS1_23onesweep_lookback_stateEbbT6_jjT7_P12ihipStream_tbENKUlT_T0_SK_SP_E_clIPiSE_SF_SF_EEDaS13_S14_SK_SP_EUlS13_E_NS1_11comp_targetILNS1_3genE5ELNS1_11target_archE942ELNS1_3gpuE9ELNS1_3repE0EEENS1_47radix_sort_onesweep_sort_config_static_selectorELNS0_4arch9wavefront6targetE1EEEvSK_
                                        ; -- End function
	.section	.AMDGPU.csdata,"",@progbits
; Kernel info:
; codeLenInByte = 11324
; NumSgprs: 36
; NumVgprs: 46
; NumAgprs: 0
; TotalNumVgprs: 46
; ScratchSize: 0
; MemoryBound: 0
; FloatMode: 240
; IeeeMode: 1
; LDSByteSize: 20552 bytes/workgroup (compile time only)
; SGPRBlocks: 4
; VGPRBlocks: 5
; NumSGPRsForWavesPerEU: 36
; NumVGPRsForWavesPerEU: 46
; AccumOffset: 48
; Occupancy: 8
; WaveLimiterHint : 1
; COMPUTE_PGM_RSRC2:SCRATCH_EN: 0
; COMPUTE_PGM_RSRC2:USER_SGPR: 2
; COMPUTE_PGM_RSRC2:TRAP_HANDLER: 0
; COMPUTE_PGM_RSRC2:TGID_X_EN: 1
; COMPUTE_PGM_RSRC2:TGID_Y_EN: 0
; COMPUTE_PGM_RSRC2:TGID_Z_EN: 0
; COMPUTE_PGM_RSRC2:TIDIG_COMP_CNT: 2
; COMPUTE_PGM_RSRC3_GFX90A:ACCUM_OFFSET: 11
; COMPUTE_PGM_RSRC3_GFX90A:TG_SPLIT: 0
	.section	.text._ZN7rocprim17ROCPRIM_400000_NS6detail17trampoline_kernelINS0_14default_configENS1_35radix_sort_onesweep_config_selectorIiNS0_10empty_typeEEEZZNS1_29radix_sort_onesweep_iterationIS3_Lb0EN6thrust23THRUST_200600_302600_NS6detail15normal_iteratorINS9_10device_ptrIiEEEESE_PS5_SF_jNS0_19identity_decomposerENS1_16block_id_wrapperIjLb0EEEEE10hipError_tT1_PNSt15iterator_traitsISK_E10value_typeET2_T3_PNSL_ISQ_E10value_typeET4_T5_PSV_SW_PNS1_23onesweep_lookback_stateEbbT6_jjT7_P12ihipStream_tbENKUlT_T0_SK_SP_E_clIPiSE_SF_SF_EEDaS13_S14_SK_SP_EUlS13_E_NS1_11comp_targetILNS1_3genE2ELNS1_11target_archE906ELNS1_3gpuE6ELNS1_3repE0EEENS1_47radix_sort_onesweep_sort_config_static_selectorELNS0_4arch9wavefront6targetE1EEEvSK_,"axG",@progbits,_ZN7rocprim17ROCPRIM_400000_NS6detail17trampoline_kernelINS0_14default_configENS1_35radix_sort_onesweep_config_selectorIiNS0_10empty_typeEEEZZNS1_29radix_sort_onesweep_iterationIS3_Lb0EN6thrust23THRUST_200600_302600_NS6detail15normal_iteratorINS9_10device_ptrIiEEEESE_PS5_SF_jNS0_19identity_decomposerENS1_16block_id_wrapperIjLb0EEEEE10hipError_tT1_PNSt15iterator_traitsISK_E10value_typeET2_T3_PNSL_ISQ_E10value_typeET4_T5_PSV_SW_PNS1_23onesweep_lookback_stateEbbT6_jjT7_P12ihipStream_tbENKUlT_T0_SK_SP_E_clIPiSE_SF_SF_EEDaS13_S14_SK_SP_EUlS13_E_NS1_11comp_targetILNS1_3genE2ELNS1_11target_archE906ELNS1_3gpuE6ELNS1_3repE0EEENS1_47radix_sort_onesweep_sort_config_static_selectorELNS0_4arch9wavefront6targetE1EEEvSK_,comdat
	.protected	_ZN7rocprim17ROCPRIM_400000_NS6detail17trampoline_kernelINS0_14default_configENS1_35radix_sort_onesweep_config_selectorIiNS0_10empty_typeEEEZZNS1_29radix_sort_onesweep_iterationIS3_Lb0EN6thrust23THRUST_200600_302600_NS6detail15normal_iteratorINS9_10device_ptrIiEEEESE_PS5_SF_jNS0_19identity_decomposerENS1_16block_id_wrapperIjLb0EEEEE10hipError_tT1_PNSt15iterator_traitsISK_E10value_typeET2_T3_PNSL_ISQ_E10value_typeET4_T5_PSV_SW_PNS1_23onesweep_lookback_stateEbbT6_jjT7_P12ihipStream_tbENKUlT_T0_SK_SP_E_clIPiSE_SF_SF_EEDaS13_S14_SK_SP_EUlS13_E_NS1_11comp_targetILNS1_3genE2ELNS1_11target_archE906ELNS1_3gpuE6ELNS1_3repE0EEENS1_47radix_sort_onesweep_sort_config_static_selectorELNS0_4arch9wavefront6targetE1EEEvSK_ ; -- Begin function _ZN7rocprim17ROCPRIM_400000_NS6detail17trampoline_kernelINS0_14default_configENS1_35radix_sort_onesweep_config_selectorIiNS0_10empty_typeEEEZZNS1_29radix_sort_onesweep_iterationIS3_Lb0EN6thrust23THRUST_200600_302600_NS6detail15normal_iteratorINS9_10device_ptrIiEEEESE_PS5_SF_jNS0_19identity_decomposerENS1_16block_id_wrapperIjLb0EEEEE10hipError_tT1_PNSt15iterator_traitsISK_E10value_typeET2_T3_PNSL_ISQ_E10value_typeET4_T5_PSV_SW_PNS1_23onesweep_lookback_stateEbbT6_jjT7_P12ihipStream_tbENKUlT_T0_SK_SP_E_clIPiSE_SF_SF_EEDaS13_S14_SK_SP_EUlS13_E_NS1_11comp_targetILNS1_3genE2ELNS1_11target_archE906ELNS1_3gpuE6ELNS1_3repE0EEENS1_47radix_sort_onesweep_sort_config_static_selectorELNS0_4arch9wavefront6targetE1EEEvSK_
	.globl	_ZN7rocprim17ROCPRIM_400000_NS6detail17trampoline_kernelINS0_14default_configENS1_35radix_sort_onesweep_config_selectorIiNS0_10empty_typeEEEZZNS1_29radix_sort_onesweep_iterationIS3_Lb0EN6thrust23THRUST_200600_302600_NS6detail15normal_iteratorINS9_10device_ptrIiEEEESE_PS5_SF_jNS0_19identity_decomposerENS1_16block_id_wrapperIjLb0EEEEE10hipError_tT1_PNSt15iterator_traitsISK_E10value_typeET2_T3_PNSL_ISQ_E10value_typeET4_T5_PSV_SW_PNS1_23onesweep_lookback_stateEbbT6_jjT7_P12ihipStream_tbENKUlT_T0_SK_SP_E_clIPiSE_SF_SF_EEDaS13_S14_SK_SP_EUlS13_E_NS1_11comp_targetILNS1_3genE2ELNS1_11target_archE906ELNS1_3gpuE6ELNS1_3repE0EEENS1_47radix_sort_onesweep_sort_config_static_selectorELNS0_4arch9wavefront6targetE1EEEvSK_
	.p2align	8
	.type	_ZN7rocprim17ROCPRIM_400000_NS6detail17trampoline_kernelINS0_14default_configENS1_35radix_sort_onesweep_config_selectorIiNS0_10empty_typeEEEZZNS1_29radix_sort_onesweep_iterationIS3_Lb0EN6thrust23THRUST_200600_302600_NS6detail15normal_iteratorINS9_10device_ptrIiEEEESE_PS5_SF_jNS0_19identity_decomposerENS1_16block_id_wrapperIjLb0EEEEE10hipError_tT1_PNSt15iterator_traitsISK_E10value_typeET2_T3_PNSL_ISQ_E10value_typeET4_T5_PSV_SW_PNS1_23onesweep_lookback_stateEbbT6_jjT7_P12ihipStream_tbENKUlT_T0_SK_SP_E_clIPiSE_SF_SF_EEDaS13_S14_SK_SP_EUlS13_E_NS1_11comp_targetILNS1_3genE2ELNS1_11target_archE906ELNS1_3gpuE6ELNS1_3repE0EEENS1_47radix_sort_onesweep_sort_config_static_selectorELNS0_4arch9wavefront6targetE1EEEvSK_,@function
_ZN7rocprim17ROCPRIM_400000_NS6detail17trampoline_kernelINS0_14default_configENS1_35radix_sort_onesweep_config_selectorIiNS0_10empty_typeEEEZZNS1_29radix_sort_onesweep_iterationIS3_Lb0EN6thrust23THRUST_200600_302600_NS6detail15normal_iteratorINS9_10device_ptrIiEEEESE_PS5_SF_jNS0_19identity_decomposerENS1_16block_id_wrapperIjLb0EEEEE10hipError_tT1_PNSt15iterator_traitsISK_E10value_typeET2_T3_PNSL_ISQ_E10value_typeET4_T5_PSV_SW_PNS1_23onesweep_lookback_stateEbbT6_jjT7_P12ihipStream_tbENKUlT_T0_SK_SP_E_clIPiSE_SF_SF_EEDaS13_S14_SK_SP_EUlS13_E_NS1_11comp_targetILNS1_3genE2ELNS1_11target_archE906ELNS1_3gpuE6ELNS1_3repE0EEENS1_47radix_sort_onesweep_sort_config_static_selectorELNS0_4arch9wavefront6targetE1EEEvSK_: ; @_ZN7rocprim17ROCPRIM_400000_NS6detail17trampoline_kernelINS0_14default_configENS1_35radix_sort_onesweep_config_selectorIiNS0_10empty_typeEEEZZNS1_29radix_sort_onesweep_iterationIS3_Lb0EN6thrust23THRUST_200600_302600_NS6detail15normal_iteratorINS9_10device_ptrIiEEEESE_PS5_SF_jNS0_19identity_decomposerENS1_16block_id_wrapperIjLb0EEEEE10hipError_tT1_PNSt15iterator_traitsISK_E10value_typeET2_T3_PNSL_ISQ_E10value_typeET4_T5_PSV_SW_PNS1_23onesweep_lookback_stateEbbT6_jjT7_P12ihipStream_tbENKUlT_T0_SK_SP_E_clIPiSE_SF_SF_EEDaS13_S14_SK_SP_EUlS13_E_NS1_11comp_targetILNS1_3genE2ELNS1_11target_archE906ELNS1_3gpuE6ELNS1_3repE0EEENS1_47radix_sort_onesweep_sort_config_static_selectorELNS0_4arch9wavefront6targetE1EEEvSK_
; %bb.0:
	.section	.rodata,"a",@progbits
	.p2align	6, 0x0
	.amdhsa_kernel _ZN7rocprim17ROCPRIM_400000_NS6detail17trampoline_kernelINS0_14default_configENS1_35radix_sort_onesweep_config_selectorIiNS0_10empty_typeEEEZZNS1_29radix_sort_onesweep_iterationIS3_Lb0EN6thrust23THRUST_200600_302600_NS6detail15normal_iteratorINS9_10device_ptrIiEEEESE_PS5_SF_jNS0_19identity_decomposerENS1_16block_id_wrapperIjLb0EEEEE10hipError_tT1_PNSt15iterator_traitsISK_E10value_typeET2_T3_PNSL_ISQ_E10value_typeET4_T5_PSV_SW_PNS1_23onesweep_lookback_stateEbbT6_jjT7_P12ihipStream_tbENKUlT_T0_SK_SP_E_clIPiSE_SF_SF_EEDaS13_S14_SK_SP_EUlS13_E_NS1_11comp_targetILNS1_3genE2ELNS1_11target_archE906ELNS1_3gpuE6ELNS1_3repE0EEENS1_47radix_sort_onesweep_sort_config_static_selectorELNS0_4arch9wavefront6targetE1EEEvSK_
		.amdhsa_group_segment_fixed_size 0
		.amdhsa_private_segment_fixed_size 0
		.amdhsa_kernarg_size 88
		.amdhsa_user_sgpr_count 2
		.amdhsa_user_sgpr_dispatch_ptr 0
		.amdhsa_user_sgpr_queue_ptr 0
		.amdhsa_user_sgpr_kernarg_segment_ptr 1
		.amdhsa_user_sgpr_dispatch_id 0
		.amdhsa_user_sgpr_kernarg_preload_length 0
		.amdhsa_user_sgpr_kernarg_preload_offset 0
		.amdhsa_user_sgpr_private_segment_size 0
		.amdhsa_uses_dynamic_stack 0
		.amdhsa_enable_private_segment 0
		.amdhsa_system_sgpr_workgroup_id_x 1
		.amdhsa_system_sgpr_workgroup_id_y 0
		.amdhsa_system_sgpr_workgroup_id_z 0
		.amdhsa_system_sgpr_workgroup_info 0
		.amdhsa_system_vgpr_workitem_id 0
		.amdhsa_next_free_vgpr 1
		.amdhsa_next_free_sgpr 0
		.amdhsa_accum_offset 4
		.amdhsa_reserve_vcc 0
		.amdhsa_float_round_mode_32 0
		.amdhsa_float_round_mode_16_64 0
		.amdhsa_float_denorm_mode_32 3
		.amdhsa_float_denorm_mode_16_64 3
		.amdhsa_dx10_clamp 1
		.amdhsa_ieee_mode 1
		.amdhsa_fp16_overflow 0
		.amdhsa_tg_split 0
		.amdhsa_exception_fp_ieee_invalid_op 0
		.amdhsa_exception_fp_denorm_src 0
		.amdhsa_exception_fp_ieee_div_zero 0
		.amdhsa_exception_fp_ieee_overflow 0
		.amdhsa_exception_fp_ieee_underflow 0
		.amdhsa_exception_fp_ieee_inexact 0
		.amdhsa_exception_int_div_zero 0
	.end_amdhsa_kernel
	.section	.text._ZN7rocprim17ROCPRIM_400000_NS6detail17trampoline_kernelINS0_14default_configENS1_35radix_sort_onesweep_config_selectorIiNS0_10empty_typeEEEZZNS1_29radix_sort_onesweep_iterationIS3_Lb0EN6thrust23THRUST_200600_302600_NS6detail15normal_iteratorINS9_10device_ptrIiEEEESE_PS5_SF_jNS0_19identity_decomposerENS1_16block_id_wrapperIjLb0EEEEE10hipError_tT1_PNSt15iterator_traitsISK_E10value_typeET2_T3_PNSL_ISQ_E10value_typeET4_T5_PSV_SW_PNS1_23onesweep_lookback_stateEbbT6_jjT7_P12ihipStream_tbENKUlT_T0_SK_SP_E_clIPiSE_SF_SF_EEDaS13_S14_SK_SP_EUlS13_E_NS1_11comp_targetILNS1_3genE2ELNS1_11target_archE906ELNS1_3gpuE6ELNS1_3repE0EEENS1_47radix_sort_onesweep_sort_config_static_selectorELNS0_4arch9wavefront6targetE1EEEvSK_,"axG",@progbits,_ZN7rocprim17ROCPRIM_400000_NS6detail17trampoline_kernelINS0_14default_configENS1_35radix_sort_onesweep_config_selectorIiNS0_10empty_typeEEEZZNS1_29radix_sort_onesweep_iterationIS3_Lb0EN6thrust23THRUST_200600_302600_NS6detail15normal_iteratorINS9_10device_ptrIiEEEESE_PS5_SF_jNS0_19identity_decomposerENS1_16block_id_wrapperIjLb0EEEEE10hipError_tT1_PNSt15iterator_traitsISK_E10value_typeET2_T3_PNSL_ISQ_E10value_typeET4_T5_PSV_SW_PNS1_23onesweep_lookback_stateEbbT6_jjT7_P12ihipStream_tbENKUlT_T0_SK_SP_E_clIPiSE_SF_SF_EEDaS13_S14_SK_SP_EUlS13_E_NS1_11comp_targetILNS1_3genE2ELNS1_11target_archE906ELNS1_3gpuE6ELNS1_3repE0EEENS1_47radix_sort_onesweep_sort_config_static_selectorELNS0_4arch9wavefront6targetE1EEEvSK_,comdat
.Lfunc_end1794:
	.size	_ZN7rocprim17ROCPRIM_400000_NS6detail17trampoline_kernelINS0_14default_configENS1_35radix_sort_onesweep_config_selectorIiNS0_10empty_typeEEEZZNS1_29radix_sort_onesweep_iterationIS3_Lb0EN6thrust23THRUST_200600_302600_NS6detail15normal_iteratorINS9_10device_ptrIiEEEESE_PS5_SF_jNS0_19identity_decomposerENS1_16block_id_wrapperIjLb0EEEEE10hipError_tT1_PNSt15iterator_traitsISK_E10value_typeET2_T3_PNSL_ISQ_E10value_typeET4_T5_PSV_SW_PNS1_23onesweep_lookback_stateEbbT6_jjT7_P12ihipStream_tbENKUlT_T0_SK_SP_E_clIPiSE_SF_SF_EEDaS13_S14_SK_SP_EUlS13_E_NS1_11comp_targetILNS1_3genE2ELNS1_11target_archE906ELNS1_3gpuE6ELNS1_3repE0EEENS1_47radix_sort_onesweep_sort_config_static_selectorELNS0_4arch9wavefront6targetE1EEEvSK_, .Lfunc_end1794-_ZN7rocprim17ROCPRIM_400000_NS6detail17trampoline_kernelINS0_14default_configENS1_35radix_sort_onesweep_config_selectorIiNS0_10empty_typeEEEZZNS1_29radix_sort_onesweep_iterationIS3_Lb0EN6thrust23THRUST_200600_302600_NS6detail15normal_iteratorINS9_10device_ptrIiEEEESE_PS5_SF_jNS0_19identity_decomposerENS1_16block_id_wrapperIjLb0EEEEE10hipError_tT1_PNSt15iterator_traitsISK_E10value_typeET2_T3_PNSL_ISQ_E10value_typeET4_T5_PSV_SW_PNS1_23onesweep_lookback_stateEbbT6_jjT7_P12ihipStream_tbENKUlT_T0_SK_SP_E_clIPiSE_SF_SF_EEDaS13_S14_SK_SP_EUlS13_E_NS1_11comp_targetILNS1_3genE2ELNS1_11target_archE906ELNS1_3gpuE6ELNS1_3repE0EEENS1_47radix_sort_onesweep_sort_config_static_selectorELNS0_4arch9wavefront6targetE1EEEvSK_
                                        ; -- End function
	.section	.AMDGPU.csdata,"",@progbits
; Kernel info:
; codeLenInByte = 0
; NumSgprs: 6
; NumVgprs: 0
; NumAgprs: 0
; TotalNumVgprs: 0
; ScratchSize: 0
; MemoryBound: 0
; FloatMode: 240
; IeeeMode: 1
; LDSByteSize: 0 bytes/workgroup (compile time only)
; SGPRBlocks: 0
; VGPRBlocks: 0
; NumSGPRsForWavesPerEU: 6
; NumVGPRsForWavesPerEU: 1
; AccumOffset: 4
; Occupancy: 8
; WaveLimiterHint : 0
; COMPUTE_PGM_RSRC2:SCRATCH_EN: 0
; COMPUTE_PGM_RSRC2:USER_SGPR: 2
; COMPUTE_PGM_RSRC2:TRAP_HANDLER: 0
; COMPUTE_PGM_RSRC2:TGID_X_EN: 1
; COMPUTE_PGM_RSRC2:TGID_Y_EN: 0
; COMPUTE_PGM_RSRC2:TGID_Z_EN: 0
; COMPUTE_PGM_RSRC2:TIDIG_COMP_CNT: 0
; COMPUTE_PGM_RSRC3_GFX90A:ACCUM_OFFSET: 0
; COMPUTE_PGM_RSRC3_GFX90A:TG_SPLIT: 0
	.section	.text._ZN7rocprim17ROCPRIM_400000_NS6detail17trampoline_kernelINS0_14default_configENS1_35radix_sort_onesweep_config_selectorIiNS0_10empty_typeEEEZZNS1_29radix_sort_onesweep_iterationIS3_Lb0EN6thrust23THRUST_200600_302600_NS6detail15normal_iteratorINS9_10device_ptrIiEEEESE_PS5_SF_jNS0_19identity_decomposerENS1_16block_id_wrapperIjLb0EEEEE10hipError_tT1_PNSt15iterator_traitsISK_E10value_typeET2_T3_PNSL_ISQ_E10value_typeET4_T5_PSV_SW_PNS1_23onesweep_lookback_stateEbbT6_jjT7_P12ihipStream_tbENKUlT_T0_SK_SP_E_clIPiSE_SF_SF_EEDaS13_S14_SK_SP_EUlS13_E_NS1_11comp_targetILNS1_3genE4ELNS1_11target_archE910ELNS1_3gpuE8ELNS1_3repE0EEENS1_47radix_sort_onesweep_sort_config_static_selectorELNS0_4arch9wavefront6targetE1EEEvSK_,"axG",@progbits,_ZN7rocprim17ROCPRIM_400000_NS6detail17trampoline_kernelINS0_14default_configENS1_35radix_sort_onesweep_config_selectorIiNS0_10empty_typeEEEZZNS1_29radix_sort_onesweep_iterationIS3_Lb0EN6thrust23THRUST_200600_302600_NS6detail15normal_iteratorINS9_10device_ptrIiEEEESE_PS5_SF_jNS0_19identity_decomposerENS1_16block_id_wrapperIjLb0EEEEE10hipError_tT1_PNSt15iterator_traitsISK_E10value_typeET2_T3_PNSL_ISQ_E10value_typeET4_T5_PSV_SW_PNS1_23onesweep_lookback_stateEbbT6_jjT7_P12ihipStream_tbENKUlT_T0_SK_SP_E_clIPiSE_SF_SF_EEDaS13_S14_SK_SP_EUlS13_E_NS1_11comp_targetILNS1_3genE4ELNS1_11target_archE910ELNS1_3gpuE8ELNS1_3repE0EEENS1_47radix_sort_onesweep_sort_config_static_selectorELNS0_4arch9wavefront6targetE1EEEvSK_,comdat
	.protected	_ZN7rocprim17ROCPRIM_400000_NS6detail17trampoline_kernelINS0_14default_configENS1_35radix_sort_onesweep_config_selectorIiNS0_10empty_typeEEEZZNS1_29radix_sort_onesweep_iterationIS3_Lb0EN6thrust23THRUST_200600_302600_NS6detail15normal_iteratorINS9_10device_ptrIiEEEESE_PS5_SF_jNS0_19identity_decomposerENS1_16block_id_wrapperIjLb0EEEEE10hipError_tT1_PNSt15iterator_traitsISK_E10value_typeET2_T3_PNSL_ISQ_E10value_typeET4_T5_PSV_SW_PNS1_23onesweep_lookback_stateEbbT6_jjT7_P12ihipStream_tbENKUlT_T0_SK_SP_E_clIPiSE_SF_SF_EEDaS13_S14_SK_SP_EUlS13_E_NS1_11comp_targetILNS1_3genE4ELNS1_11target_archE910ELNS1_3gpuE8ELNS1_3repE0EEENS1_47radix_sort_onesweep_sort_config_static_selectorELNS0_4arch9wavefront6targetE1EEEvSK_ ; -- Begin function _ZN7rocprim17ROCPRIM_400000_NS6detail17trampoline_kernelINS0_14default_configENS1_35radix_sort_onesweep_config_selectorIiNS0_10empty_typeEEEZZNS1_29radix_sort_onesweep_iterationIS3_Lb0EN6thrust23THRUST_200600_302600_NS6detail15normal_iteratorINS9_10device_ptrIiEEEESE_PS5_SF_jNS0_19identity_decomposerENS1_16block_id_wrapperIjLb0EEEEE10hipError_tT1_PNSt15iterator_traitsISK_E10value_typeET2_T3_PNSL_ISQ_E10value_typeET4_T5_PSV_SW_PNS1_23onesweep_lookback_stateEbbT6_jjT7_P12ihipStream_tbENKUlT_T0_SK_SP_E_clIPiSE_SF_SF_EEDaS13_S14_SK_SP_EUlS13_E_NS1_11comp_targetILNS1_3genE4ELNS1_11target_archE910ELNS1_3gpuE8ELNS1_3repE0EEENS1_47radix_sort_onesweep_sort_config_static_selectorELNS0_4arch9wavefront6targetE1EEEvSK_
	.globl	_ZN7rocprim17ROCPRIM_400000_NS6detail17trampoline_kernelINS0_14default_configENS1_35radix_sort_onesweep_config_selectorIiNS0_10empty_typeEEEZZNS1_29radix_sort_onesweep_iterationIS3_Lb0EN6thrust23THRUST_200600_302600_NS6detail15normal_iteratorINS9_10device_ptrIiEEEESE_PS5_SF_jNS0_19identity_decomposerENS1_16block_id_wrapperIjLb0EEEEE10hipError_tT1_PNSt15iterator_traitsISK_E10value_typeET2_T3_PNSL_ISQ_E10value_typeET4_T5_PSV_SW_PNS1_23onesweep_lookback_stateEbbT6_jjT7_P12ihipStream_tbENKUlT_T0_SK_SP_E_clIPiSE_SF_SF_EEDaS13_S14_SK_SP_EUlS13_E_NS1_11comp_targetILNS1_3genE4ELNS1_11target_archE910ELNS1_3gpuE8ELNS1_3repE0EEENS1_47radix_sort_onesweep_sort_config_static_selectorELNS0_4arch9wavefront6targetE1EEEvSK_
	.p2align	8
	.type	_ZN7rocprim17ROCPRIM_400000_NS6detail17trampoline_kernelINS0_14default_configENS1_35radix_sort_onesweep_config_selectorIiNS0_10empty_typeEEEZZNS1_29radix_sort_onesweep_iterationIS3_Lb0EN6thrust23THRUST_200600_302600_NS6detail15normal_iteratorINS9_10device_ptrIiEEEESE_PS5_SF_jNS0_19identity_decomposerENS1_16block_id_wrapperIjLb0EEEEE10hipError_tT1_PNSt15iterator_traitsISK_E10value_typeET2_T3_PNSL_ISQ_E10value_typeET4_T5_PSV_SW_PNS1_23onesweep_lookback_stateEbbT6_jjT7_P12ihipStream_tbENKUlT_T0_SK_SP_E_clIPiSE_SF_SF_EEDaS13_S14_SK_SP_EUlS13_E_NS1_11comp_targetILNS1_3genE4ELNS1_11target_archE910ELNS1_3gpuE8ELNS1_3repE0EEENS1_47radix_sort_onesweep_sort_config_static_selectorELNS0_4arch9wavefront6targetE1EEEvSK_,@function
_ZN7rocprim17ROCPRIM_400000_NS6detail17trampoline_kernelINS0_14default_configENS1_35radix_sort_onesweep_config_selectorIiNS0_10empty_typeEEEZZNS1_29radix_sort_onesweep_iterationIS3_Lb0EN6thrust23THRUST_200600_302600_NS6detail15normal_iteratorINS9_10device_ptrIiEEEESE_PS5_SF_jNS0_19identity_decomposerENS1_16block_id_wrapperIjLb0EEEEE10hipError_tT1_PNSt15iterator_traitsISK_E10value_typeET2_T3_PNSL_ISQ_E10value_typeET4_T5_PSV_SW_PNS1_23onesweep_lookback_stateEbbT6_jjT7_P12ihipStream_tbENKUlT_T0_SK_SP_E_clIPiSE_SF_SF_EEDaS13_S14_SK_SP_EUlS13_E_NS1_11comp_targetILNS1_3genE4ELNS1_11target_archE910ELNS1_3gpuE8ELNS1_3repE0EEENS1_47radix_sort_onesweep_sort_config_static_selectorELNS0_4arch9wavefront6targetE1EEEvSK_: ; @_ZN7rocprim17ROCPRIM_400000_NS6detail17trampoline_kernelINS0_14default_configENS1_35radix_sort_onesweep_config_selectorIiNS0_10empty_typeEEEZZNS1_29radix_sort_onesweep_iterationIS3_Lb0EN6thrust23THRUST_200600_302600_NS6detail15normal_iteratorINS9_10device_ptrIiEEEESE_PS5_SF_jNS0_19identity_decomposerENS1_16block_id_wrapperIjLb0EEEEE10hipError_tT1_PNSt15iterator_traitsISK_E10value_typeET2_T3_PNSL_ISQ_E10value_typeET4_T5_PSV_SW_PNS1_23onesweep_lookback_stateEbbT6_jjT7_P12ihipStream_tbENKUlT_T0_SK_SP_E_clIPiSE_SF_SF_EEDaS13_S14_SK_SP_EUlS13_E_NS1_11comp_targetILNS1_3genE4ELNS1_11target_archE910ELNS1_3gpuE8ELNS1_3repE0EEENS1_47radix_sort_onesweep_sort_config_static_selectorELNS0_4arch9wavefront6targetE1EEEvSK_
; %bb.0:
	.section	.rodata,"a",@progbits
	.p2align	6, 0x0
	.amdhsa_kernel _ZN7rocprim17ROCPRIM_400000_NS6detail17trampoline_kernelINS0_14default_configENS1_35radix_sort_onesweep_config_selectorIiNS0_10empty_typeEEEZZNS1_29radix_sort_onesweep_iterationIS3_Lb0EN6thrust23THRUST_200600_302600_NS6detail15normal_iteratorINS9_10device_ptrIiEEEESE_PS5_SF_jNS0_19identity_decomposerENS1_16block_id_wrapperIjLb0EEEEE10hipError_tT1_PNSt15iterator_traitsISK_E10value_typeET2_T3_PNSL_ISQ_E10value_typeET4_T5_PSV_SW_PNS1_23onesweep_lookback_stateEbbT6_jjT7_P12ihipStream_tbENKUlT_T0_SK_SP_E_clIPiSE_SF_SF_EEDaS13_S14_SK_SP_EUlS13_E_NS1_11comp_targetILNS1_3genE4ELNS1_11target_archE910ELNS1_3gpuE8ELNS1_3repE0EEENS1_47radix_sort_onesweep_sort_config_static_selectorELNS0_4arch9wavefront6targetE1EEEvSK_
		.amdhsa_group_segment_fixed_size 0
		.amdhsa_private_segment_fixed_size 0
		.amdhsa_kernarg_size 88
		.amdhsa_user_sgpr_count 2
		.amdhsa_user_sgpr_dispatch_ptr 0
		.amdhsa_user_sgpr_queue_ptr 0
		.amdhsa_user_sgpr_kernarg_segment_ptr 1
		.amdhsa_user_sgpr_dispatch_id 0
		.amdhsa_user_sgpr_kernarg_preload_length 0
		.amdhsa_user_sgpr_kernarg_preload_offset 0
		.amdhsa_user_sgpr_private_segment_size 0
		.amdhsa_uses_dynamic_stack 0
		.amdhsa_enable_private_segment 0
		.amdhsa_system_sgpr_workgroup_id_x 1
		.amdhsa_system_sgpr_workgroup_id_y 0
		.amdhsa_system_sgpr_workgroup_id_z 0
		.amdhsa_system_sgpr_workgroup_info 0
		.amdhsa_system_vgpr_workitem_id 0
		.amdhsa_next_free_vgpr 1
		.amdhsa_next_free_sgpr 0
		.amdhsa_accum_offset 4
		.amdhsa_reserve_vcc 0
		.amdhsa_float_round_mode_32 0
		.amdhsa_float_round_mode_16_64 0
		.amdhsa_float_denorm_mode_32 3
		.amdhsa_float_denorm_mode_16_64 3
		.amdhsa_dx10_clamp 1
		.amdhsa_ieee_mode 1
		.amdhsa_fp16_overflow 0
		.amdhsa_tg_split 0
		.amdhsa_exception_fp_ieee_invalid_op 0
		.amdhsa_exception_fp_denorm_src 0
		.amdhsa_exception_fp_ieee_div_zero 0
		.amdhsa_exception_fp_ieee_overflow 0
		.amdhsa_exception_fp_ieee_underflow 0
		.amdhsa_exception_fp_ieee_inexact 0
		.amdhsa_exception_int_div_zero 0
	.end_amdhsa_kernel
	.section	.text._ZN7rocprim17ROCPRIM_400000_NS6detail17trampoline_kernelINS0_14default_configENS1_35radix_sort_onesweep_config_selectorIiNS0_10empty_typeEEEZZNS1_29radix_sort_onesweep_iterationIS3_Lb0EN6thrust23THRUST_200600_302600_NS6detail15normal_iteratorINS9_10device_ptrIiEEEESE_PS5_SF_jNS0_19identity_decomposerENS1_16block_id_wrapperIjLb0EEEEE10hipError_tT1_PNSt15iterator_traitsISK_E10value_typeET2_T3_PNSL_ISQ_E10value_typeET4_T5_PSV_SW_PNS1_23onesweep_lookback_stateEbbT6_jjT7_P12ihipStream_tbENKUlT_T0_SK_SP_E_clIPiSE_SF_SF_EEDaS13_S14_SK_SP_EUlS13_E_NS1_11comp_targetILNS1_3genE4ELNS1_11target_archE910ELNS1_3gpuE8ELNS1_3repE0EEENS1_47radix_sort_onesweep_sort_config_static_selectorELNS0_4arch9wavefront6targetE1EEEvSK_,"axG",@progbits,_ZN7rocprim17ROCPRIM_400000_NS6detail17trampoline_kernelINS0_14default_configENS1_35radix_sort_onesweep_config_selectorIiNS0_10empty_typeEEEZZNS1_29radix_sort_onesweep_iterationIS3_Lb0EN6thrust23THRUST_200600_302600_NS6detail15normal_iteratorINS9_10device_ptrIiEEEESE_PS5_SF_jNS0_19identity_decomposerENS1_16block_id_wrapperIjLb0EEEEE10hipError_tT1_PNSt15iterator_traitsISK_E10value_typeET2_T3_PNSL_ISQ_E10value_typeET4_T5_PSV_SW_PNS1_23onesweep_lookback_stateEbbT6_jjT7_P12ihipStream_tbENKUlT_T0_SK_SP_E_clIPiSE_SF_SF_EEDaS13_S14_SK_SP_EUlS13_E_NS1_11comp_targetILNS1_3genE4ELNS1_11target_archE910ELNS1_3gpuE8ELNS1_3repE0EEENS1_47radix_sort_onesweep_sort_config_static_selectorELNS0_4arch9wavefront6targetE1EEEvSK_,comdat
.Lfunc_end1795:
	.size	_ZN7rocprim17ROCPRIM_400000_NS6detail17trampoline_kernelINS0_14default_configENS1_35radix_sort_onesweep_config_selectorIiNS0_10empty_typeEEEZZNS1_29radix_sort_onesweep_iterationIS3_Lb0EN6thrust23THRUST_200600_302600_NS6detail15normal_iteratorINS9_10device_ptrIiEEEESE_PS5_SF_jNS0_19identity_decomposerENS1_16block_id_wrapperIjLb0EEEEE10hipError_tT1_PNSt15iterator_traitsISK_E10value_typeET2_T3_PNSL_ISQ_E10value_typeET4_T5_PSV_SW_PNS1_23onesweep_lookback_stateEbbT6_jjT7_P12ihipStream_tbENKUlT_T0_SK_SP_E_clIPiSE_SF_SF_EEDaS13_S14_SK_SP_EUlS13_E_NS1_11comp_targetILNS1_3genE4ELNS1_11target_archE910ELNS1_3gpuE8ELNS1_3repE0EEENS1_47radix_sort_onesweep_sort_config_static_selectorELNS0_4arch9wavefront6targetE1EEEvSK_, .Lfunc_end1795-_ZN7rocprim17ROCPRIM_400000_NS6detail17trampoline_kernelINS0_14default_configENS1_35radix_sort_onesweep_config_selectorIiNS0_10empty_typeEEEZZNS1_29radix_sort_onesweep_iterationIS3_Lb0EN6thrust23THRUST_200600_302600_NS6detail15normal_iteratorINS9_10device_ptrIiEEEESE_PS5_SF_jNS0_19identity_decomposerENS1_16block_id_wrapperIjLb0EEEEE10hipError_tT1_PNSt15iterator_traitsISK_E10value_typeET2_T3_PNSL_ISQ_E10value_typeET4_T5_PSV_SW_PNS1_23onesweep_lookback_stateEbbT6_jjT7_P12ihipStream_tbENKUlT_T0_SK_SP_E_clIPiSE_SF_SF_EEDaS13_S14_SK_SP_EUlS13_E_NS1_11comp_targetILNS1_3genE4ELNS1_11target_archE910ELNS1_3gpuE8ELNS1_3repE0EEENS1_47radix_sort_onesweep_sort_config_static_selectorELNS0_4arch9wavefront6targetE1EEEvSK_
                                        ; -- End function
	.section	.AMDGPU.csdata,"",@progbits
; Kernel info:
; codeLenInByte = 0
; NumSgprs: 6
; NumVgprs: 0
; NumAgprs: 0
; TotalNumVgprs: 0
; ScratchSize: 0
; MemoryBound: 0
; FloatMode: 240
; IeeeMode: 1
; LDSByteSize: 0 bytes/workgroup (compile time only)
; SGPRBlocks: 0
; VGPRBlocks: 0
; NumSGPRsForWavesPerEU: 6
; NumVGPRsForWavesPerEU: 1
; AccumOffset: 4
; Occupancy: 8
; WaveLimiterHint : 0
; COMPUTE_PGM_RSRC2:SCRATCH_EN: 0
; COMPUTE_PGM_RSRC2:USER_SGPR: 2
; COMPUTE_PGM_RSRC2:TRAP_HANDLER: 0
; COMPUTE_PGM_RSRC2:TGID_X_EN: 1
; COMPUTE_PGM_RSRC2:TGID_Y_EN: 0
; COMPUTE_PGM_RSRC2:TGID_Z_EN: 0
; COMPUTE_PGM_RSRC2:TIDIG_COMP_CNT: 0
; COMPUTE_PGM_RSRC3_GFX90A:ACCUM_OFFSET: 0
; COMPUTE_PGM_RSRC3_GFX90A:TG_SPLIT: 0
	.section	.text._ZN7rocprim17ROCPRIM_400000_NS6detail17trampoline_kernelINS0_14default_configENS1_35radix_sort_onesweep_config_selectorIiNS0_10empty_typeEEEZZNS1_29radix_sort_onesweep_iterationIS3_Lb0EN6thrust23THRUST_200600_302600_NS6detail15normal_iteratorINS9_10device_ptrIiEEEESE_PS5_SF_jNS0_19identity_decomposerENS1_16block_id_wrapperIjLb0EEEEE10hipError_tT1_PNSt15iterator_traitsISK_E10value_typeET2_T3_PNSL_ISQ_E10value_typeET4_T5_PSV_SW_PNS1_23onesweep_lookback_stateEbbT6_jjT7_P12ihipStream_tbENKUlT_T0_SK_SP_E_clIPiSE_SF_SF_EEDaS13_S14_SK_SP_EUlS13_E_NS1_11comp_targetILNS1_3genE3ELNS1_11target_archE908ELNS1_3gpuE7ELNS1_3repE0EEENS1_47radix_sort_onesweep_sort_config_static_selectorELNS0_4arch9wavefront6targetE1EEEvSK_,"axG",@progbits,_ZN7rocprim17ROCPRIM_400000_NS6detail17trampoline_kernelINS0_14default_configENS1_35radix_sort_onesweep_config_selectorIiNS0_10empty_typeEEEZZNS1_29radix_sort_onesweep_iterationIS3_Lb0EN6thrust23THRUST_200600_302600_NS6detail15normal_iteratorINS9_10device_ptrIiEEEESE_PS5_SF_jNS0_19identity_decomposerENS1_16block_id_wrapperIjLb0EEEEE10hipError_tT1_PNSt15iterator_traitsISK_E10value_typeET2_T3_PNSL_ISQ_E10value_typeET4_T5_PSV_SW_PNS1_23onesweep_lookback_stateEbbT6_jjT7_P12ihipStream_tbENKUlT_T0_SK_SP_E_clIPiSE_SF_SF_EEDaS13_S14_SK_SP_EUlS13_E_NS1_11comp_targetILNS1_3genE3ELNS1_11target_archE908ELNS1_3gpuE7ELNS1_3repE0EEENS1_47radix_sort_onesweep_sort_config_static_selectorELNS0_4arch9wavefront6targetE1EEEvSK_,comdat
	.protected	_ZN7rocprim17ROCPRIM_400000_NS6detail17trampoline_kernelINS0_14default_configENS1_35radix_sort_onesweep_config_selectorIiNS0_10empty_typeEEEZZNS1_29radix_sort_onesweep_iterationIS3_Lb0EN6thrust23THRUST_200600_302600_NS6detail15normal_iteratorINS9_10device_ptrIiEEEESE_PS5_SF_jNS0_19identity_decomposerENS1_16block_id_wrapperIjLb0EEEEE10hipError_tT1_PNSt15iterator_traitsISK_E10value_typeET2_T3_PNSL_ISQ_E10value_typeET4_T5_PSV_SW_PNS1_23onesweep_lookback_stateEbbT6_jjT7_P12ihipStream_tbENKUlT_T0_SK_SP_E_clIPiSE_SF_SF_EEDaS13_S14_SK_SP_EUlS13_E_NS1_11comp_targetILNS1_3genE3ELNS1_11target_archE908ELNS1_3gpuE7ELNS1_3repE0EEENS1_47radix_sort_onesweep_sort_config_static_selectorELNS0_4arch9wavefront6targetE1EEEvSK_ ; -- Begin function _ZN7rocprim17ROCPRIM_400000_NS6detail17trampoline_kernelINS0_14default_configENS1_35radix_sort_onesweep_config_selectorIiNS0_10empty_typeEEEZZNS1_29radix_sort_onesweep_iterationIS3_Lb0EN6thrust23THRUST_200600_302600_NS6detail15normal_iteratorINS9_10device_ptrIiEEEESE_PS5_SF_jNS0_19identity_decomposerENS1_16block_id_wrapperIjLb0EEEEE10hipError_tT1_PNSt15iterator_traitsISK_E10value_typeET2_T3_PNSL_ISQ_E10value_typeET4_T5_PSV_SW_PNS1_23onesweep_lookback_stateEbbT6_jjT7_P12ihipStream_tbENKUlT_T0_SK_SP_E_clIPiSE_SF_SF_EEDaS13_S14_SK_SP_EUlS13_E_NS1_11comp_targetILNS1_3genE3ELNS1_11target_archE908ELNS1_3gpuE7ELNS1_3repE0EEENS1_47radix_sort_onesweep_sort_config_static_selectorELNS0_4arch9wavefront6targetE1EEEvSK_
	.globl	_ZN7rocprim17ROCPRIM_400000_NS6detail17trampoline_kernelINS0_14default_configENS1_35radix_sort_onesweep_config_selectorIiNS0_10empty_typeEEEZZNS1_29radix_sort_onesweep_iterationIS3_Lb0EN6thrust23THRUST_200600_302600_NS6detail15normal_iteratorINS9_10device_ptrIiEEEESE_PS5_SF_jNS0_19identity_decomposerENS1_16block_id_wrapperIjLb0EEEEE10hipError_tT1_PNSt15iterator_traitsISK_E10value_typeET2_T3_PNSL_ISQ_E10value_typeET4_T5_PSV_SW_PNS1_23onesweep_lookback_stateEbbT6_jjT7_P12ihipStream_tbENKUlT_T0_SK_SP_E_clIPiSE_SF_SF_EEDaS13_S14_SK_SP_EUlS13_E_NS1_11comp_targetILNS1_3genE3ELNS1_11target_archE908ELNS1_3gpuE7ELNS1_3repE0EEENS1_47radix_sort_onesweep_sort_config_static_selectorELNS0_4arch9wavefront6targetE1EEEvSK_
	.p2align	8
	.type	_ZN7rocprim17ROCPRIM_400000_NS6detail17trampoline_kernelINS0_14default_configENS1_35radix_sort_onesweep_config_selectorIiNS0_10empty_typeEEEZZNS1_29radix_sort_onesweep_iterationIS3_Lb0EN6thrust23THRUST_200600_302600_NS6detail15normal_iteratorINS9_10device_ptrIiEEEESE_PS5_SF_jNS0_19identity_decomposerENS1_16block_id_wrapperIjLb0EEEEE10hipError_tT1_PNSt15iterator_traitsISK_E10value_typeET2_T3_PNSL_ISQ_E10value_typeET4_T5_PSV_SW_PNS1_23onesweep_lookback_stateEbbT6_jjT7_P12ihipStream_tbENKUlT_T0_SK_SP_E_clIPiSE_SF_SF_EEDaS13_S14_SK_SP_EUlS13_E_NS1_11comp_targetILNS1_3genE3ELNS1_11target_archE908ELNS1_3gpuE7ELNS1_3repE0EEENS1_47radix_sort_onesweep_sort_config_static_selectorELNS0_4arch9wavefront6targetE1EEEvSK_,@function
_ZN7rocprim17ROCPRIM_400000_NS6detail17trampoline_kernelINS0_14default_configENS1_35radix_sort_onesweep_config_selectorIiNS0_10empty_typeEEEZZNS1_29radix_sort_onesweep_iterationIS3_Lb0EN6thrust23THRUST_200600_302600_NS6detail15normal_iteratorINS9_10device_ptrIiEEEESE_PS5_SF_jNS0_19identity_decomposerENS1_16block_id_wrapperIjLb0EEEEE10hipError_tT1_PNSt15iterator_traitsISK_E10value_typeET2_T3_PNSL_ISQ_E10value_typeET4_T5_PSV_SW_PNS1_23onesweep_lookback_stateEbbT6_jjT7_P12ihipStream_tbENKUlT_T0_SK_SP_E_clIPiSE_SF_SF_EEDaS13_S14_SK_SP_EUlS13_E_NS1_11comp_targetILNS1_3genE3ELNS1_11target_archE908ELNS1_3gpuE7ELNS1_3repE0EEENS1_47radix_sort_onesweep_sort_config_static_selectorELNS0_4arch9wavefront6targetE1EEEvSK_: ; @_ZN7rocprim17ROCPRIM_400000_NS6detail17trampoline_kernelINS0_14default_configENS1_35radix_sort_onesweep_config_selectorIiNS0_10empty_typeEEEZZNS1_29radix_sort_onesweep_iterationIS3_Lb0EN6thrust23THRUST_200600_302600_NS6detail15normal_iteratorINS9_10device_ptrIiEEEESE_PS5_SF_jNS0_19identity_decomposerENS1_16block_id_wrapperIjLb0EEEEE10hipError_tT1_PNSt15iterator_traitsISK_E10value_typeET2_T3_PNSL_ISQ_E10value_typeET4_T5_PSV_SW_PNS1_23onesweep_lookback_stateEbbT6_jjT7_P12ihipStream_tbENKUlT_T0_SK_SP_E_clIPiSE_SF_SF_EEDaS13_S14_SK_SP_EUlS13_E_NS1_11comp_targetILNS1_3genE3ELNS1_11target_archE908ELNS1_3gpuE7ELNS1_3repE0EEENS1_47radix_sort_onesweep_sort_config_static_selectorELNS0_4arch9wavefront6targetE1EEEvSK_
; %bb.0:
	.section	.rodata,"a",@progbits
	.p2align	6, 0x0
	.amdhsa_kernel _ZN7rocprim17ROCPRIM_400000_NS6detail17trampoline_kernelINS0_14default_configENS1_35radix_sort_onesweep_config_selectorIiNS0_10empty_typeEEEZZNS1_29radix_sort_onesweep_iterationIS3_Lb0EN6thrust23THRUST_200600_302600_NS6detail15normal_iteratorINS9_10device_ptrIiEEEESE_PS5_SF_jNS0_19identity_decomposerENS1_16block_id_wrapperIjLb0EEEEE10hipError_tT1_PNSt15iterator_traitsISK_E10value_typeET2_T3_PNSL_ISQ_E10value_typeET4_T5_PSV_SW_PNS1_23onesweep_lookback_stateEbbT6_jjT7_P12ihipStream_tbENKUlT_T0_SK_SP_E_clIPiSE_SF_SF_EEDaS13_S14_SK_SP_EUlS13_E_NS1_11comp_targetILNS1_3genE3ELNS1_11target_archE908ELNS1_3gpuE7ELNS1_3repE0EEENS1_47radix_sort_onesweep_sort_config_static_selectorELNS0_4arch9wavefront6targetE1EEEvSK_
		.amdhsa_group_segment_fixed_size 0
		.amdhsa_private_segment_fixed_size 0
		.amdhsa_kernarg_size 88
		.amdhsa_user_sgpr_count 2
		.amdhsa_user_sgpr_dispatch_ptr 0
		.amdhsa_user_sgpr_queue_ptr 0
		.amdhsa_user_sgpr_kernarg_segment_ptr 1
		.amdhsa_user_sgpr_dispatch_id 0
		.amdhsa_user_sgpr_kernarg_preload_length 0
		.amdhsa_user_sgpr_kernarg_preload_offset 0
		.amdhsa_user_sgpr_private_segment_size 0
		.amdhsa_uses_dynamic_stack 0
		.amdhsa_enable_private_segment 0
		.amdhsa_system_sgpr_workgroup_id_x 1
		.amdhsa_system_sgpr_workgroup_id_y 0
		.amdhsa_system_sgpr_workgroup_id_z 0
		.amdhsa_system_sgpr_workgroup_info 0
		.amdhsa_system_vgpr_workitem_id 0
		.amdhsa_next_free_vgpr 1
		.amdhsa_next_free_sgpr 0
		.amdhsa_accum_offset 4
		.amdhsa_reserve_vcc 0
		.amdhsa_float_round_mode_32 0
		.amdhsa_float_round_mode_16_64 0
		.amdhsa_float_denorm_mode_32 3
		.amdhsa_float_denorm_mode_16_64 3
		.amdhsa_dx10_clamp 1
		.amdhsa_ieee_mode 1
		.amdhsa_fp16_overflow 0
		.amdhsa_tg_split 0
		.amdhsa_exception_fp_ieee_invalid_op 0
		.amdhsa_exception_fp_denorm_src 0
		.amdhsa_exception_fp_ieee_div_zero 0
		.amdhsa_exception_fp_ieee_overflow 0
		.amdhsa_exception_fp_ieee_underflow 0
		.amdhsa_exception_fp_ieee_inexact 0
		.amdhsa_exception_int_div_zero 0
	.end_amdhsa_kernel
	.section	.text._ZN7rocprim17ROCPRIM_400000_NS6detail17trampoline_kernelINS0_14default_configENS1_35radix_sort_onesweep_config_selectorIiNS0_10empty_typeEEEZZNS1_29radix_sort_onesweep_iterationIS3_Lb0EN6thrust23THRUST_200600_302600_NS6detail15normal_iteratorINS9_10device_ptrIiEEEESE_PS5_SF_jNS0_19identity_decomposerENS1_16block_id_wrapperIjLb0EEEEE10hipError_tT1_PNSt15iterator_traitsISK_E10value_typeET2_T3_PNSL_ISQ_E10value_typeET4_T5_PSV_SW_PNS1_23onesweep_lookback_stateEbbT6_jjT7_P12ihipStream_tbENKUlT_T0_SK_SP_E_clIPiSE_SF_SF_EEDaS13_S14_SK_SP_EUlS13_E_NS1_11comp_targetILNS1_3genE3ELNS1_11target_archE908ELNS1_3gpuE7ELNS1_3repE0EEENS1_47radix_sort_onesweep_sort_config_static_selectorELNS0_4arch9wavefront6targetE1EEEvSK_,"axG",@progbits,_ZN7rocprim17ROCPRIM_400000_NS6detail17trampoline_kernelINS0_14default_configENS1_35radix_sort_onesweep_config_selectorIiNS0_10empty_typeEEEZZNS1_29radix_sort_onesweep_iterationIS3_Lb0EN6thrust23THRUST_200600_302600_NS6detail15normal_iteratorINS9_10device_ptrIiEEEESE_PS5_SF_jNS0_19identity_decomposerENS1_16block_id_wrapperIjLb0EEEEE10hipError_tT1_PNSt15iterator_traitsISK_E10value_typeET2_T3_PNSL_ISQ_E10value_typeET4_T5_PSV_SW_PNS1_23onesweep_lookback_stateEbbT6_jjT7_P12ihipStream_tbENKUlT_T0_SK_SP_E_clIPiSE_SF_SF_EEDaS13_S14_SK_SP_EUlS13_E_NS1_11comp_targetILNS1_3genE3ELNS1_11target_archE908ELNS1_3gpuE7ELNS1_3repE0EEENS1_47radix_sort_onesweep_sort_config_static_selectorELNS0_4arch9wavefront6targetE1EEEvSK_,comdat
.Lfunc_end1796:
	.size	_ZN7rocprim17ROCPRIM_400000_NS6detail17trampoline_kernelINS0_14default_configENS1_35radix_sort_onesweep_config_selectorIiNS0_10empty_typeEEEZZNS1_29radix_sort_onesweep_iterationIS3_Lb0EN6thrust23THRUST_200600_302600_NS6detail15normal_iteratorINS9_10device_ptrIiEEEESE_PS5_SF_jNS0_19identity_decomposerENS1_16block_id_wrapperIjLb0EEEEE10hipError_tT1_PNSt15iterator_traitsISK_E10value_typeET2_T3_PNSL_ISQ_E10value_typeET4_T5_PSV_SW_PNS1_23onesweep_lookback_stateEbbT6_jjT7_P12ihipStream_tbENKUlT_T0_SK_SP_E_clIPiSE_SF_SF_EEDaS13_S14_SK_SP_EUlS13_E_NS1_11comp_targetILNS1_3genE3ELNS1_11target_archE908ELNS1_3gpuE7ELNS1_3repE0EEENS1_47radix_sort_onesweep_sort_config_static_selectorELNS0_4arch9wavefront6targetE1EEEvSK_, .Lfunc_end1796-_ZN7rocprim17ROCPRIM_400000_NS6detail17trampoline_kernelINS0_14default_configENS1_35radix_sort_onesweep_config_selectorIiNS0_10empty_typeEEEZZNS1_29radix_sort_onesweep_iterationIS3_Lb0EN6thrust23THRUST_200600_302600_NS6detail15normal_iteratorINS9_10device_ptrIiEEEESE_PS5_SF_jNS0_19identity_decomposerENS1_16block_id_wrapperIjLb0EEEEE10hipError_tT1_PNSt15iterator_traitsISK_E10value_typeET2_T3_PNSL_ISQ_E10value_typeET4_T5_PSV_SW_PNS1_23onesweep_lookback_stateEbbT6_jjT7_P12ihipStream_tbENKUlT_T0_SK_SP_E_clIPiSE_SF_SF_EEDaS13_S14_SK_SP_EUlS13_E_NS1_11comp_targetILNS1_3genE3ELNS1_11target_archE908ELNS1_3gpuE7ELNS1_3repE0EEENS1_47radix_sort_onesweep_sort_config_static_selectorELNS0_4arch9wavefront6targetE1EEEvSK_
                                        ; -- End function
	.section	.AMDGPU.csdata,"",@progbits
; Kernel info:
; codeLenInByte = 0
; NumSgprs: 6
; NumVgprs: 0
; NumAgprs: 0
; TotalNumVgprs: 0
; ScratchSize: 0
; MemoryBound: 0
; FloatMode: 240
; IeeeMode: 1
; LDSByteSize: 0 bytes/workgroup (compile time only)
; SGPRBlocks: 0
; VGPRBlocks: 0
; NumSGPRsForWavesPerEU: 6
; NumVGPRsForWavesPerEU: 1
; AccumOffset: 4
; Occupancy: 8
; WaveLimiterHint : 0
; COMPUTE_PGM_RSRC2:SCRATCH_EN: 0
; COMPUTE_PGM_RSRC2:USER_SGPR: 2
; COMPUTE_PGM_RSRC2:TRAP_HANDLER: 0
; COMPUTE_PGM_RSRC2:TGID_X_EN: 1
; COMPUTE_PGM_RSRC2:TGID_Y_EN: 0
; COMPUTE_PGM_RSRC2:TGID_Z_EN: 0
; COMPUTE_PGM_RSRC2:TIDIG_COMP_CNT: 0
; COMPUTE_PGM_RSRC3_GFX90A:ACCUM_OFFSET: 0
; COMPUTE_PGM_RSRC3_GFX90A:TG_SPLIT: 0
	.section	.text._ZN7rocprim17ROCPRIM_400000_NS6detail17trampoline_kernelINS0_14default_configENS1_35radix_sort_onesweep_config_selectorIiNS0_10empty_typeEEEZZNS1_29radix_sort_onesweep_iterationIS3_Lb0EN6thrust23THRUST_200600_302600_NS6detail15normal_iteratorINS9_10device_ptrIiEEEESE_PS5_SF_jNS0_19identity_decomposerENS1_16block_id_wrapperIjLb0EEEEE10hipError_tT1_PNSt15iterator_traitsISK_E10value_typeET2_T3_PNSL_ISQ_E10value_typeET4_T5_PSV_SW_PNS1_23onesweep_lookback_stateEbbT6_jjT7_P12ihipStream_tbENKUlT_T0_SK_SP_E_clIPiSE_SF_SF_EEDaS13_S14_SK_SP_EUlS13_E_NS1_11comp_targetILNS1_3genE10ELNS1_11target_archE1201ELNS1_3gpuE5ELNS1_3repE0EEENS1_47radix_sort_onesweep_sort_config_static_selectorELNS0_4arch9wavefront6targetE1EEEvSK_,"axG",@progbits,_ZN7rocprim17ROCPRIM_400000_NS6detail17trampoline_kernelINS0_14default_configENS1_35radix_sort_onesweep_config_selectorIiNS0_10empty_typeEEEZZNS1_29radix_sort_onesweep_iterationIS3_Lb0EN6thrust23THRUST_200600_302600_NS6detail15normal_iteratorINS9_10device_ptrIiEEEESE_PS5_SF_jNS0_19identity_decomposerENS1_16block_id_wrapperIjLb0EEEEE10hipError_tT1_PNSt15iterator_traitsISK_E10value_typeET2_T3_PNSL_ISQ_E10value_typeET4_T5_PSV_SW_PNS1_23onesweep_lookback_stateEbbT6_jjT7_P12ihipStream_tbENKUlT_T0_SK_SP_E_clIPiSE_SF_SF_EEDaS13_S14_SK_SP_EUlS13_E_NS1_11comp_targetILNS1_3genE10ELNS1_11target_archE1201ELNS1_3gpuE5ELNS1_3repE0EEENS1_47radix_sort_onesweep_sort_config_static_selectorELNS0_4arch9wavefront6targetE1EEEvSK_,comdat
	.protected	_ZN7rocprim17ROCPRIM_400000_NS6detail17trampoline_kernelINS0_14default_configENS1_35radix_sort_onesweep_config_selectorIiNS0_10empty_typeEEEZZNS1_29radix_sort_onesweep_iterationIS3_Lb0EN6thrust23THRUST_200600_302600_NS6detail15normal_iteratorINS9_10device_ptrIiEEEESE_PS5_SF_jNS0_19identity_decomposerENS1_16block_id_wrapperIjLb0EEEEE10hipError_tT1_PNSt15iterator_traitsISK_E10value_typeET2_T3_PNSL_ISQ_E10value_typeET4_T5_PSV_SW_PNS1_23onesweep_lookback_stateEbbT6_jjT7_P12ihipStream_tbENKUlT_T0_SK_SP_E_clIPiSE_SF_SF_EEDaS13_S14_SK_SP_EUlS13_E_NS1_11comp_targetILNS1_3genE10ELNS1_11target_archE1201ELNS1_3gpuE5ELNS1_3repE0EEENS1_47radix_sort_onesweep_sort_config_static_selectorELNS0_4arch9wavefront6targetE1EEEvSK_ ; -- Begin function _ZN7rocprim17ROCPRIM_400000_NS6detail17trampoline_kernelINS0_14default_configENS1_35radix_sort_onesweep_config_selectorIiNS0_10empty_typeEEEZZNS1_29radix_sort_onesweep_iterationIS3_Lb0EN6thrust23THRUST_200600_302600_NS6detail15normal_iteratorINS9_10device_ptrIiEEEESE_PS5_SF_jNS0_19identity_decomposerENS1_16block_id_wrapperIjLb0EEEEE10hipError_tT1_PNSt15iterator_traitsISK_E10value_typeET2_T3_PNSL_ISQ_E10value_typeET4_T5_PSV_SW_PNS1_23onesweep_lookback_stateEbbT6_jjT7_P12ihipStream_tbENKUlT_T0_SK_SP_E_clIPiSE_SF_SF_EEDaS13_S14_SK_SP_EUlS13_E_NS1_11comp_targetILNS1_3genE10ELNS1_11target_archE1201ELNS1_3gpuE5ELNS1_3repE0EEENS1_47radix_sort_onesweep_sort_config_static_selectorELNS0_4arch9wavefront6targetE1EEEvSK_
	.globl	_ZN7rocprim17ROCPRIM_400000_NS6detail17trampoline_kernelINS0_14default_configENS1_35radix_sort_onesweep_config_selectorIiNS0_10empty_typeEEEZZNS1_29radix_sort_onesweep_iterationIS3_Lb0EN6thrust23THRUST_200600_302600_NS6detail15normal_iteratorINS9_10device_ptrIiEEEESE_PS5_SF_jNS0_19identity_decomposerENS1_16block_id_wrapperIjLb0EEEEE10hipError_tT1_PNSt15iterator_traitsISK_E10value_typeET2_T3_PNSL_ISQ_E10value_typeET4_T5_PSV_SW_PNS1_23onesweep_lookback_stateEbbT6_jjT7_P12ihipStream_tbENKUlT_T0_SK_SP_E_clIPiSE_SF_SF_EEDaS13_S14_SK_SP_EUlS13_E_NS1_11comp_targetILNS1_3genE10ELNS1_11target_archE1201ELNS1_3gpuE5ELNS1_3repE0EEENS1_47radix_sort_onesweep_sort_config_static_selectorELNS0_4arch9wavefront6targetE1EEEvSK_
	.p2align	8
	.type	_ZN7rocprim17ROCPRIM_400000_NS6detail17trampoline_kernelINS0_14default_configENS1_35radix_sort_onesweep_config_selectorIiNS0_10empty_typeEEEZZNS1_29radix_sort_onesweep_iterationIS3_Lb0EN6thrust23THRUST_200600_302600_NS6detail15normal_iteratorINS9_10device_ptrIiEEEESE_PS5_SF_jNS0_19identity_decomposerENS1_16block_id_wrapperIjLb0EEEEE10hipError_tT1_PNSt15iterator_traitsISK_E10value_typeET2_T3_PNSL_ISQ_E10value_typeET4_T5_PSV_SW_PNS1_23onesweep_lookback_stateEbbT6_jjT7_P12ihipStream_tbENKUlT_T0_SK_SP_E_clIPiSE_SF_SF_EEDaS13_S14_SK_SP_EUlS13_E_NS1_11comp_targetILNS1_3genE10ELNS1_11target_archE1201ELNS1_3gpuE5ELNS1_3repE0EEENS1_47radix_sort_onesweep_sort_config_static_selectorELNS0_4arch9wavefront6targetE1EEEvSK_,@function
_ZN7rocprim17ROCPRIM_400000_NS6detail17trampoline_kernelINS0_14default_configENS1_35radix_sort_onesweep_config_selectorIiNS0_10empty_typeEEEZZNS1_29radix_sort_onesweep_iterationIS3_Lb0EN6thrust23THRUST_200600_302600_NS6detail15normal_iteratorINS9_10device_ptrIiEEEESE_PS5_SF_jNS0_19identity_decomposerENS1_16block_id_wrapperIjLb0EEEEE10hipError_tT1_PNSt15iterator_traitsISK_E10value_typeET2_T3_PNSL_ISQ_E10value_typeET4_T5_PSV_SW_PNS1_23onesweep_lookback_stateEbbT6_jjT7_P12ihipStream_tbENKUlT_T0_SK_SP_E_clIPiSE_SF_SF_EEDaS13_S14_SK_SP_EUlS13_E_NS1_11comp_targetILNS1_3genE10ELNS1_11target_archE1201ELNS1_3gpuE5ELNS1_3repE0EEENS1_47radix_sort_onesweep_sort_config_static_selectorELNS0_4arch9wavefront6targetE1EEEvSK_: ; @_ZN7rocprim17ROCPRIM_400000_NS6detail17trampoline_kernelINS0_14default_configENS1_35radix_sort_onesweep_config_selectorIiNS0_10empty_typeEEEZZNS1_29radix_sort_onesweep_iterationIS3_Lb0EN6thrust23THRUST_200600_302600_NS6detail15normal_iteratorINS9_10device_ptrIiEEEESE_PS5_SF_jNS0_19identity_decomposerENS1_16block_id_wrapperIjLb0EEEEE10hipError_tT1_PNSt15iterator_traitsISK_E10value_typeET2_T3_PNSL_ISQ_E10value_typeET4_T5_PSV_SW_PNS1_23onesweep_lookback_stateEbbT6_jjT7_P12ihipStream_tbENKUlT_T0_SK_SP_E_clIPiSE_SF_SF_EEDaS13_S14_SK_SP_EUlS13_E_NS1_11comp_targetILNS1_3genE10ELNS1_11target_archE1201ELNS1_3gpuE5ELNS1_3repE0EEENS1_47radix_sort_onesweep_sort_config_static_selectorELNS0_4arch9wavefront6targetE1EEEvSK_
; %bb.0:
	.section	.rodata,"a",@progbits
	.p2align	6, 0x0
	.amdhsa_kernel _ZN7rocprim17ROCPRIM_400000_NS6detail17trampoline_kernelINS0_14default_configENS1_35radix_sort_onesweep_config_selectorIiNS0_10empty_typeEEEZZNS1_29radix_sort_onesweep_iterationIS3_Lb0EN6thrust23THRUST_200600_302600_NS6detail15normal_iteratorINS9_10device_ptrIiEEEESE_PS5_SF_jNS0_19identity_decomposerENS1_16block_id_wrapperIjLb0EEEEE10hipError_tT1_PNSt15iterator_traitsISK_E10value_typeET2_T3_PNSL_ISQ_E10value_typeET4_T5_PSV_SW_PNS1_23onesweep_lookback_stateEbbT6_jjT7_P12ihipStream_tbENKUlT_T0_SK_SP_E_clIPiSE_SF_SF_EEDaS13_S14_SK_SP_EUlS13_E_NS1_11comp_targetILNS1_3genE10ELNS1_11target_archE1201ELNS1_3gpuE5ELNS1_3repE0EEENS1_47radix_sort_onesweep_sort_config_static_selectorELNS0_4arch9wavefront6targetE1EEEvSK_
		.amdhsa_group_segment_fixed_size 0
		.amdhsa_private_segment_fixed_size 0
		.amdhsa_kernarg_size 88
		.amdhsa_user_sgpr_count 2
		.amdhsa_user_sgpr_dispatch_ptr 0
		.amdhsa_user_sgpr_queue_ptr 0
		.amdhsa_user_sgpr_kernarg_segment_ptr 1
		.amdhsa_user_sgpr_dispatch_id 0
		.amdhsa_user_sgpr_kernarg_preload_length 0
		.amdhsa_user_sgpr_kernarg_preload_offset 0
		.amdhsa_user_sgpr_private_segment_size 0
		.amdhsa_uses_dynamic_stack 0
		.amdhsa_enable_private_segment 0
		.amdhsa_system_sgpr_workgroup_id_x 1
		.amdhsa_system_sgpr_workgroup_id_y 0
		.amdhsa_system_sgpr_workgroup_id_z 0
		.amdhsa_system_sgpr_workgroup_info 0
		.amdhsa_system_vgpr_workitem_id 0
		.amdhsa_next_free_vgpr 1
		.amdhsa_next_free_sgpr 0
		.amdhsa_accum_offset 4
		.amdhsa_reserve_vcc 0
		.amdhsa_float_round_mode_32 0
		.amdhsa_float_round_mode_16_64 0
		.amdhsa_float_denorm_mode_32 3
		.amdhsa_float_denorm_mode_16_64 3
		.amdhsa_dx10_clamp 1
		.amdhsa_ieee_mode 1
		.amdhsa_fp16_overflow 0
		.amdhsa_tg_split 0
		.amdhsa_exception_fp_ieee_invalid_op 0
		.amdhsa_exception_fp_denorm_src 0
		.amdhsa_exception_fp_ieee_div_zero 0
		.amdhsa_exception_fp_ieee_overflow 0
		.amdhsa_exception_fp_ieee_underflow 0
		.amdhsa_exception_fp_ieee_inexact 0
		.amdhsa_exception_int_div_zero 0
	.end_amdhsa_kernel
	.section	.text._ZN7rocprim17ROCPRIM_400000_NS6detail17trampoline_kernelINS0_14default_configENS1_35radix_sort_onesweep_config_selectorIiNS0_10empty_typeEEEZZNS1_29radix_sort_onesweep_iterationIS3_Lb0EN6thrust23THRUST_200600_302600_NS6detail15normal_iteratorINS9_10device_ptrIiEEEESE_PS5_SF_jNS0_19identity_decomposerENS1_16block_id_wrapperIjLb0EEEEE10hipError_tT1_PNSt15iterator_traitsISK_E10value_typeET2_T3_PNSL_ISQ_E10value_typeET4_T5_PSV_SW_PNS1_23onesweep_lookback_stateEbbT6_jjT7_P12ihipStream_tbENKUlT_T0_SK_SP_E_clIPiSE_SF_SF_EEDaS13_S14_SK_SP_EUlS13_E_NS1_11comp_targetILNS1_3genE10ELNS1_11target_archE1201ELNS1_3gpuE5ELNS1_3repE0EEENS1_47radix_sort_onesweep_sort_config_static_selectorELNS0_4arch9wavefront6targetE1EEEvSK_,"axG",@progbits,_ZN7rocprim17ROCPRIM_400000_NS6detail17trampoline_kernelINS0_14default_configENS1_35radix_sort_onesweep_config_selectorIiNS0_10empty_typeEEEZZNS1_29radix_sort_onesweep_iterationIS3_Lb0EN6thrust23THRUST_200600_302600_NS6detail15normal_iteratorINS9_10device_ptrIiEEEESE_PS5_SF_jNS0_19identity_decomposerENS1_16block_id_wrapperIjLb0EEEEE10hipError_tT1_PNSt15iterator_traitsISK_E10value_typeET2_T3_PNSL_ISQ_E10value_typeET4_T5_PSV_SW_PNS1_23onesweep_lookback_stateEbbT6_jjT7_P12ihipStream_tbENKUlT_T0_SK_SP_E_clIPiSE_SF_SF_EEDaS13_S14_SK_SP_EUlS13_E_NS1_11comp_targetILNS1_3genE10ELNS1_11target_archE1201ELNS1_3gpuE5ELNS1_3repE0EEENS1_47radix_sort_onesweep_sort_config_static_selectorELNS0_4arch9wavefront6targetE1EEEvSK_,comdat
.Lfunc_end1797:
	.size	_ZN7rocprim17ROCPRIM_400000_NS6detail17trampoline_kernelINS0_14default_configENS1_35radix_sort_onesweep_config_selectorIiNS0_10empty_typeEEEZZNS1_29radix_sort_onesweep_iterationIS3_Lb0EN6thrust23THRUST_200600_302600_NS6detail15normal_iteratorINS9_10device_ptrIiEEEESE_PS5_SF_jNS0_19identity_decomposerENS1_16block_id_wrapperIjLb0EEEEE10hipError_tT1_PNSt15iterator_traitsISK_E10value_typeET2_T3_PNSL_ISQ_E10value_typeET4_T5_PSV_SW_PNS1_23onesweep_lookback_stateEbbT6_jjT7_P12ihipStream_tbENKUlT_T0_SK_SP_E_clIPiSE_SF_SF_EEDaS13_S14_SK_SP_EUlS13_E_NS1_11comp_targetILNS1_3genE10ELNS1_11target_archE1201ELNS1_3gpuE5ELNS1_3repE0EEENS1_47radix_sort_onesweep_sort_config_static_selectorELNS0_4arch9wavefront6targetE1EEEvSK_, .Lfunc_end1797-_ZN7rocprim17ROCPRIM_400000_NS6detail17trampoline_kernelINS0_14default_configENS1_35radix_sort_onesweep_config_selectorIiNS0_10empty_typeEEEZZNS1_29radix_sort_onesweep_iterationIS3_Lb0EN6thrust23THRUST_200600_302600_NS6detail15normal_iteratorINS9_10device_ptrIiEEEESE_PS5_SF_jNS0_19identity_decomposerENS1_16block_id_wrapperIjLb0EEEEE10hipError_tT1_PNSt15iterator_traitsISK_E10value_typeET2_T3_PNSL_ISQ_E10value_typeET4_T5_PSV_SW_PNS1_23onesweep_lookback_stateEbbT6_jjT7_P12ihipStream_tbENKUlT_T0_SK_SP_E_clIPiSE_SF_SF_EEDaS13_S14_SK_SP_EUlS13_E_NS1_11comp_targetILNS1_3genE10ELNS1_11target_archE1201ELNS1_3gpuE5ELNS1_3repE0EEENS1_47radix_sort_onesweep_sort_config_static_selectorELNS0_4arch9wavefront6targetE1EEEvSK_
                                        ; -- End function
	.section	.AMDGPU.csdata,"",@progbits
; Kernel info:
; codeLenInByte = 0
; NumSgprs: 6
; NumVgprs: 0
; NumAgprs: 0
; TotalNumVgprs: 0
; ScratchSize: 0
; MemoryBound: 0
; FloatMode: 240
; IeeeMode: 1
; LDSByteSize: 0 bytes/workgroup (compile time only)
; SGPRBlocks: 0
; VGPRBlocks: 0
; NumSGPRsForWavesPerEU: 6
; NumVGPRsForWavesPerEU: 1
; AccumOffset: 4
; Occupancy: 8
; WaveLimiterHint : 0
; COMPUTE_PGM_RSRC2:SCRATCH_EN: 0
; COMPUTE_PGM_RSRC2:USER_SGPR: 2
; COMPUTE_PGM_RSRC2:TRAP_HANDLER: 0
; COMPUTE_PGM_RSRC2:TGID_X_EN: 1
; COMPUTE_PGM_RSRC2:TGID_Y_EN: 0
; COMPUTE_PGM_RSRC2:TGID_Z_EN: 0
; COMPUTE_PGM_RSRC2:TIDIG_COMP_CNT: 0
; COMPUTE_PGM_RSRC3_GFX90A:ACCUM_OFFSET: 0
; COMPUTE_PGM_RSRC3_GFX90A:TG_SPLIT: 0
	.section	.text._ZN7rocprim17ROCPRIM_400000_NS6detail17trampoline_kernelINS0_14default_configENS1_35radix_sort_onesweep_config_selectorIiNS0_10empty_typeEEEZZNS1_29radix_sort_onesweep_iterationIS3_Lb0EN6thrust23THRUST_200600_302600_NS6detail15normal_iteratorINS9_10device_ptrIiEEEESE_PS5_SF_jNS0_19identity_decomposerENS1_16block_id_wrapperIjLb0EEEEE10hipError_tT1_PNSt15iterator_traitsISK_E10value_typeET2_T3_PNSL_ISQ_E10value_typeET4_T5_PSV_SW_PNS1_23onesweep_lookback_stateEbbT6_jjT7_P12ihipStream_tbENKUlT_T0_SK_SP_E_clIPiSE_SF_SF_EEDaS13_S14_SK_SP_EUlS13_E_NS1_11comp_targetILNS1_3genE9ELNS1_11target_archE1100ELNS1_3gpuE3ELNS1_3repE0EEENS1_47radix_sort_onesweep_sort_config_static_selectorELNS0_4arch9wavefront6targetE1EEEvSK_,"axG",@progbits,_ZN7rocprim17ROCPRIM_400000_NS6detail17trampoline_kernelINS0_14default_configENS1_35radix_sort_onesweep_config_selectorIiNS0_10empty_typeEEEZZNS1_29radix_sort_onesweep_iterationIS3_Lb0EN6thrust23THRUST_200600_302600_NS6detail15normal_iteratorINS9_10device_ptrIiEEEESE_PS5_SF_jNS0_19identity_decomposerENS1_16block_id_wrapperIjLb0EEEEE10hipError_tT1_PNSt15iterator_traitsISK_E10value_typeET2_T3_PNSL_ISQ_E10value_typeET4_T5_PSV_SW_PNS1_23onesweep_lookback_stateEbbT6_jjT7_P12ihipStream_tbENKUlT_T0_SK_SP_E_clIPiSE_SF_SF_EEDaS13_S14_SK_SP_EUlS13_E_NS1_11comp_targetILNS1_3genE9ELNS1_11target_archE1100ELNS1_3gpuE3ELNS1_3repE0EEENS1_47radix_sort_onesweep_sort_config_static_selectorELNS0_4arch9wavefront6targetE1EEEvSK_,comdat
	.protected	_ZN7rocprim17ROCPRIM_400000_NS6detail17trampoline_kernelINS0_14default_configENS1_35radix_sort_onesweep_config_selectorIiNS0_10empty_typeEEEZZNS1_29radix_sort_onesweep_iterationIS3_Lb0EN6thrust23THRUST_200600_302600_NS6detail15normal_iteratorINS9_10device_ptrIiEEEESE_PS5_SF_jNS0_19identity_decomposerENS1_16block_id_wrapperIjLb0EEEEE10hipError_tT1_PNSt15iterator_traitsISK_E10value_typeET2_T3_PNSL_ISQ_E10value_typeET4_T5_PSV_SW_PNS1_23onesweep_lookback_stateEbbT6_jjT7_P12ihipStream_tbENKUlT_T0_SK_SP_E_clIPiSE_SF_SF_EEDaS13_S14_SK_SP_EUlS13_E_NS1_11comp_targetILNS1_3genE9ELNS1_11target_archE1100ELNS1_3gpuE3ELNS1_3repE0EEENS1_47radix_sort_onesweep_sort_config_static_selectorELNS0_4arch9wavefront6targetE1EEEvSK_ ; -- Begin function _ZN7rocprim17ROCPRIM_400000_NS6detail17trampoline_kernelINS0_14default_configENS1_35radix_sort_onesweep_config_selectorIiNS0_10empty_typeEEEZZNS1_29radix_sort_onesweep_iterationIS3_Lb0EN6thrust23THRUST_200600_302600_NS6detail15normal_iteratorINS9_10device_ptrIiEEEESE_PS5_SF_jNS0_19identity_decomposerENS1_16block_id_wrapperIjLb0EEEEE10hipError_tT1_PNSt15iterator_traitsISK_E10value_typeET2_T3_PNSL_ISQ_E10value_typeET4_T5_PSV_SW_PNS1_23onesweep_lookback_stateEbbT6_jjT7_P12ihipStream_tbENKUlT_T0_SK_SP_E_clIPiSE_SF_SF_EEDaS13_S14_SK_SP_EUlS13_E_NS1_11comp_targetILNS1_3genE9ELNS1_11target_archE1100ELNS1_3gpuE3ELNS1_3repE0EEENS1_47radix_sort_onesweep_sort_config_static_selectorELNS0_4arch9wavefront6targetE1EEEvSK_
	.globl	_ZN7rocprim17ROCPRIM_400000_NS6detail17trampoline_kernelINS0_14default_configENS1_35radix_sort_onesweep_config_selectorIiNS0_10empty_typeEEEZZNS1_29radix_sort_onesweep_iterationIS3_Lb0EN6thrust23THRUST_200600_302600_NS6detail15normal_iteratorINS9_10device_ptrIiEEEESE_PS5_SF_jNS0_19identity_decomposerENS1_16block_id_wrapperIjLb0EEEEE10hipError_tT1_PNSt15iterator_traitsISK_E10value_typeET2_T3_PNSL_ISQ_E10value_typeET4_T5_PSV_SW_PNS1_23onesweep_lookback_stateEbbT6_jjT7_P12ihipStream_tbENKUlT_T0_SK_SP_E_clIPiSE_SF_SF_EEDaS13_S14_SK_SP_EUlS13_E_NS1_11comp_targetILNS1_3genE9ELNS1_11target_archE1100ELNS1_3gpuE3ELNS1_3repE0EEENS1_47radix_sort_onesweep_sort_config_static_selectorELNS0_4arch9wavefront6targetE1EEEvSK_
	.p2align	8
	.type	_ZN7rocprim17ROCPRIM_400000_NS6detail17trampoline_kernelINS0_14default_configENS1_35radix_sort_onesweep_config_selectorIiNS0_10empty_typeEEEZZNS1_29radix_sort_onesweep_iterationIS3_Lb0EN6thrust23THRUST_200600_302600_NS6detail15normal_iteratorINS9_10device_ptrIiEEEESE_PS5_SF_jNS0_19identity_decomposerENS1_16block_id_wrapperIjLb0EEEEE10hipError_tT1_PNSt15iterator_traitsISK_E10value_typeET2_T3_PNSL_ISQ_E10value_typeET4_T5_PSV_SW_PNS1_23onesweep_lookback_stateEbbT6_jjT7_P12ihipStream_tbENKUlT_T0_SK_SP_E_clIPiSE_SF_SF_EEDaS13_S14_SK_SP_EUlS13_E_NS1_11comp_targetILNS1_3genE9ELNS1_11target_archE1100ELNS1_3gpuE3ELNS1_3repE0EEENS1_47radix_sort_onesweep_sort_config_static_selectorELNS0_4arch9wavefront6targetE1EEEvSK_,@function
_ZN7rocprim17ROCPRIM_400000_NS6detail17trampoline_kernelINS0_14default_configENS1_35radix_sort_onesweep_config_selectorIiNS0_10empty_typeEEEZZNS1_29radix_sort_onesweep_iterationIS3_Lb0EN6thrust23THRUST_200600_302600_NS6detail15normal_iteratorINS9_10device_ptrIiEEEESE_PS5_SF_jNS0_19identity_decomposerENS1_16block_id_wrapperIjLb0EEEEE10hipError_tT1_PNSt15iterator_traitsISK_E10value_typeET2_T3_PNSL_ISQ_E10value_typeET4_T5_PSV_SW_PNS1_23onesweep_lookback_stateEbbT6_jjT7_P12ihipStream_tbENKUlT_T0_SK_SP_E_clIPiSE_SF_SF_EEDaS13_S14_SK_SP_EUlS13_E_NS1_11comp_targetILNS1_3genE9ELNS1_11target_archE1100ELNS1_3gpuE3ELNS1_3repE0EEENS1_47radix_sort_onesweep_sort_config_static_selectorELNS0_4arch9wavefront6targetE1EEEvSK_: ; @_ZN7rocprim17ROCPRIM_400000_NS6detail17trampoline_kernelINS0_14default_configENS1_35radix_sort_onesweep_config_selectorIiNS0_10empty_typeEEEZZNS1_29radix_sort_onesweep_iterationIS3_Lb0EN6thrust23THRUST_200600_302600_NS6detail15normal_iteratorINS9_10device_ptrIiEEEESE_PS5_SF_jNS0_19identity_decomposerENS1_16block_id_wrapperIjLb0EEEEE10hipError_tT1_PNSt15iterator_traitsISK_E10value_typeET2_T3_PNSL_ISQ_E10value_typeET4_T5_PSV_SW_PNS1_23onesweep_lookback_stateEbbT6_jjT7_P12ihipStream_tbENKUlT_T0_SK_SP_E_clIPiSE_SF_SF_EEDaS13_S14_SK_SP_EUlS13_E_NS1_11comp_targetILNS1_3genE9ELNS1_11target_archE1100ELNS1_3gpuE3ELNS1_3repE0EEENS1_47radix_sort_onesweep_sort_config_static_selectorELNS0_4arch9wavefront6targetE1EEEvSK_
; %bb.0:
	.section	.rodata,"a",@progbits
	.p2align	6, 0x0
	.amdhsa_kernel _ZN7rocprim17ROCPRIM_400000_NS6detail17trampoline_kernelINS0_14default_configENS1_35radix_sort_onesweep_config_selectorIiNS0_10empty_typeEEEZZNS1_29radix_sort_onesweep_iterationIS3_Lb0EN6thrust23THRUST_200600_302600_NS6detail15normal_iteratorINS9_10device_ptrIiEEEESE_PS5_SF_jNS0_19identity_decomposerENS1_16block_id_wrapperIjLb0EEEEE10hipError_tT1_PNSt15iterator_traitsISK_E10value_typeET2_T3_PNSL_ISQ_E10value_typeET4_T5_PSV_SW_PNS1_23onesweep_lookback_stateEbbT6_jjT7_P12ihipStream_tbENKUlT_T0_SK_SP_E_clIPiSE_SF_SF_EEDaS13_S14_SK_SP_EUlS13_E_NS1_11comp_targetILNS1_3genE9ELNS1_11target_archE1100ELNS1_3gpuE3ELNS1_3repE0EEENS1_47radix_sort_onesweep_sort_config_static_selectorELNS0_4arch9wavefront6targetE1EEEvSK_
		.amdhsa_group_segment_fixed_size 0
		.amdhsa_private_segment_fixed_size 0
		.amdhsa_kernarg_size 88
		.amdhsa_user_sgpr_count 2
		.amdhsa_user_sgpr_dispatch_ptr 0
		.amdhsa_user_sgpr_queue_ptr 0
		.amdhsa_user_sgpr_kernarg_segment_ptr 1
		.amdhsa_user_sgpr_dispatch_id 0
		.amdhsa_user_sgpr_kernarg_preload_length 0
		.amdhsa_user_sgpr_kernarg_preload_offset 0
		.amdhsa_user_sgpr_private_segment_size 0
		.amdhsa_uses_dynamic_stack 0
		.amdhsa_enable_private_segment 0
		.amdhsa_system_sgpr_workgroup_id_x 1
		.amdhsa_system_sgpr_workgroup_id_y 0
		.amdhsa_system_sgpr_workgroup_id_z 0
		.amdhsa_system_sgpr_workgroup_info 0
		.amdhsa_system_vgpr_workitem_id 0
		.amdhsa_next_free_vgpr 1
		.amdhsa_next_free_sgpr 0
		.amdhsa_accum_offset 4
		.amdhsa_reserve_vcc 0
		.amdhsa_float_round_mode_32 0
		.amdhsa_float_round_mode_16_64 0
		.amdhsa_float_denorm_mode_32 3
		.amdhsa_float_denorm_mode_16_64 3
		.amdhsa_dx10_clamp 1
		.amdhsa_ieee_mode 1
		.amdhsa_fp16_overflow 0
		.amdhsa_tg_split 0
		.amdhsa_exception_fp_ieee_invalid_op 0
		.amdhsa_exception_fp_denorm_src 0
		.amdhsa_exception_fp_ieee_div_zero 0
		.amdhsa_exception_fp_ieee_overflow 0
		.amdhsa_exception_fp_ieee_underflow 0
		.amdhsa_exception_fp_ieee_inexact 0
		.amdhsa_exception_int_div_zero 0
	.end_amdhsa_kernel
	.section	.text._ZN7rocprim17ROCPRIM_400000_NS6detail17trampoline_kernelINS0_14default_configENS1_35radix_sort_onesweep_config_selectorIiNS0_10empty_typeEEEZZNS1_29radix_sort_onesweep_iterationIS3_Lb0EN6thrust23THRUST_200600_302600_NS6detail15normal_iteratorINS9_10device_ptrIiEEEESE_PS5_SF_jNS0_19identity_decomposerENS1_16block_id_wrapperIjLb0EEEEE10hipError_tT1_PNSt15iterator_traitsISK_E10value_typeET2_T3_PNSL_ISQ_E10value_typeET4_T5_PSV_SW_PNS1_23onesweep_lookback_stateEbbT6_jjT7_P12ihipStream_tbENKUlT_T0_SK_SP_E_clIPiSE_SF_SF_EEDaS13_S14_SK_SP_EUlS13_E_NS1_11comp_targetILNS1_3genE9ELNS1_11target_archE1100ELNS1_3gpuE3ELNS1_3repE0EEENS1_47radix_sort_onesweep_sort_config_static_selectorELNS0_4arch9wavefront6targetE1EEEvSK_,"axG",@progbits,_ZN7rocprim17ROCPRIM_400000_NS6detail17trampoline_kernelINS0_14default_configENS1_35radix_sort_onesweep_config_selectorIiNS0_10empty_typeEEEZZNS1_29radix_sort_onesweep_iterationIS3_Lb0EN6thrust23THRUST_200600_302600_NS6detail15normal_iteratorINS9_10device_ptrIiEEEESE_PS5_SF_jNS0_19identity_decomposerENS1_16block_id_wrapperIjLb0EEEEE10hipError_tT1_PNSt15iterator_traitsISK_E10value_typeET2_T3_PNSL_ISQ_E10value_typeET4_T5_PSV_SW_PNS1_23onesweep_lookback_stateEbbT6_jjT7_P12ihipStream_tbENKUlT_T0_SK_SP_E_clIPiSE_SF_SF_EEDaS13_S14_SK_SP_EUlS13_E_NS1_11comp_targetILNS1_3genE9ELNS1_11target_archE1100ELNS1_3gpuE3ELNS1_3repE0EEENS1_47radix_sort_onesweep_sort_config_static_selectorELNS0_4arch9wavefront6targetE1EEEvSK_,comdat
.Lfunc_end1798:
	.size	_ZN7rocprim17ROCPRIM_400000_NS6detail17trampoline_kernelINS0_14default_configENS1_35radix_sort_onesweep_config_selectorIiNS0_10empty_typeEEEZZNS1_29radix_sort_onesweep_iterationIS3_Lb0EN6thrust23THRUST_200600_302600_NS6detail15normal_iteratorINS9_10device_ptrIiEEEESE_PS5_SF_jNS0_19identity_decomposerENS1_16block_id_wrapperIjLb0EEEEE10hipError_tT1_PNSt15iterator_traitsISK_E10value_typeET2_T3_PNSL_ISQ_E10value_typeET4_T5_PSV_SW_PNS1_23onesweep_lookback_stateEbbT6_jjT7_P12ihipStream_tbENKUlT_T0_SK_SP_E_clIPiSE_SF_SF_EEDaS13_S14_SK_SP_EUlS13_E_NS1_11comp_targetILNS1_3genE9ELNS1_11target_archE1100ELNS1_3gpuE3ELNS1_3repE0EEENS1_47radix_sort_onesweep_sort_config_static_selectorELNS0_4arch9wavefront6targetE1EEEvSK_, .Lfunc_end1798-_ZN7rocprim17ROCPRIM_400000_NS6detail17trampoline_kernelINS0_14default_configENS1_35radix_sort_onesweep_config_selectorIiNS0_10empty_typeEEEZZNS1_29radix_sort_onesweep_iterationIS3_Lb0EN6thrust23THRUST_200600_302600_NS6detail15normal_iteratorINS9_10device_ptrIiEEEESE_PS5_SF_jNS0_19identity_decomposerENS1_16block_id_wrapperIjLb0EEEEE10hipError_tT1_PNSt15iterator_traitsISK_E10value_typeET2_T3_PNSL_ISQ_E10value_typeET4_T5_PSV_SW_PNS1_23onesweep_lookback_stateEbbT6_jjT7_P12ihipStream_tbENKUlT_T0_SK_SP_E_clIPiSE_SF_SF_EEDaS13_S14_SK_SP_EUlS13_E_NS1_11comp_targetILNS1_3genE9ELNS1_11target_archE1100ELNS1_3gpuE3ELNS1_3repE0EEENS1_47radix_sort_onesweep_sort_config_static_selectorELNS0_4arch9wavefront6targetE1EEEvSK_
                                        ; -- End function
	.section	.AMDGPU.csdata,"",@progbits
; Kernel info:
; codeLenInByte = 0
; NumSgprs: 6
; NumVgprs: 0
; NumAgprs: 0
; TotalNumVgprs: 0
; ScratchSize: 0
; MemoryBound: 0
; FloatMode: 240
; IeeeMode: 1
; LDSByteSize: 0 bytes/workgroup (compile time only)
; SGPRBlocks: 0
; VGPRBlocks: 0
; NumSGPRsForWavesPerEU: 6
; NumVGPRsForWavesPerEU: 1
; AccumOffset: 4
; Occupancy: 8
; WaveLimiterHint : 0
; COMPUTE_PGM_RSRC2:SCRATCH_EN: 0
; COMPUTE_PGM_RSRC2:USER_SGPR: 2
; COMPUTE_PGM_RSRC2:TRAP_HANDLER: 0
; COMPUTE_PGM_RSRC2:TGID_X_EN: 1
; COMPUTE_PGM_RSRC2:TGID_Y_EN: 0
; COMPUTE_PGM_RSRC2:TGID_Z_EN: 0
; COMPUTE_PGM_RSRC2:TIDIG_COMP_CNT: 0
; COMPUTE_PGM_RSRC3_GFX90A:ACCUM_OFFSET: 0
; COMPUTE_PGM_RSRC3_GFX90A:TG_SPLIT: 0
	.section	.text._ZN7rocprim17ROCPRIM_400000_NS6detail17trampoline_kernelINS0_14default_configENS1_35radix_sort_onesweep_config_selectorIiNS0_10empty_typeEEEZZNS1_29radix_sort_onesweep_iterationIS3_Lb0EN6thrust23THRUST_200600_302600_NS6detail15normal_iteratorINS9_10device_ptrIiEEEESE_PS5_SF_jNS0_19identity_decomposerENS1_16block_id_wrapperIjLb0EEEEE10hipError_tT1_PNSt15iterator_traitsISK_E10value_typeET2_T3_PNSL_ISQ_E10value_typeET4_T5_PSV_SW_PNS1_23onesweep_lookback_stateEbbT6_jjT7_P12ihipStream_tbENKUlT_T0_SK_SP_E_clIPiSE_SF_SF_EEDaS13_S14_SK_SP_EUlS13_E_NS1_11comp_targetILNS1_3genE8ELNS1_11target_archE1030ELNS1_3gpuE2ELNS1_3repE0EEENS1_47radix_sort_onesweep_sort_config_static_selectorELNS0_4arch9wavefront6targetE1EEEvSK_,"axG",@progbits,_ZN7rocprim17ROCPRIM_400000_NS6detail17trampoline_kernelINS0_14default_configENS1_35radix_sort_onesweep_config_selectorIiNS0_10empty_typeEEEZZNS1_29radix_sort_onesweep_iterationIS3_Lb0EN6thrust23THRUST_200600_302600_NS6detail15normal_iteratorINS9_10device_ptrIiEEEESE_PS5_SF_jNS0_19identity_decomposerENS1_16block_id_wrapperIjLb0EEEEE10hipError_tT1_PNSt15iterator_traitsISK_E10value_typeET2_T3_PNSL_ISQ_E10value_typeET4_T5_PSV_SW_PNS1_23onesweep_lookback_stateEbbT6_jjT7_P12ihipStream_tbENKUlT_T0_SK_SP_E_clIPiSE_SF_SF_EEDaS13_S14_SK_SP_EUlS13_E_NS1_11comp_targetILNS1_3genE8ELNS1_11target_archE1030ELNS1_3gpuE2ELNS1_3repE0EEENS1_47radix_sort_onesweep_sort_config_static_selectorELNS0_4arch9wavefront6targetE1EEEvSK_,comdat
	.protected	_ZN7rocprim17ROCPRIM_400000_NS6detail17trampoline_kernelINS0_14default_configENS1_35radix_sort_onesweep_config_selectorIiNS0_10empty_typeEEEZZNS1_29radix_sort_onesweep_iterationIS3_Lb0EN6thrust23THRUST_200600_302600_NS6detail15normal_iteratorINS9_10device_ptrIiEEEESE_PS5_SF_jNS0_19identity_decomposerENS1_16block_id_wrapperIjLb0EEEEE10hipError_tT1_PNSt15iterator_traitsISK_E10value_typeET2_T3_PNSL_ISQ_E10value_typeET4_T5_PSV_SW_PNS1_23onesweep_lookback_stateEbbT6_jjT7_P12ihipStream_tbENKUlT_T0_SK_SP_E_clIPiSE_SF_SF_EEDaS13_S14_SK_SP_EUlS13_E_NS1_11comp_targetILNS1_3genE8ELNS1_11target_archE1030ELNS1_3gpuE2ELNS1_3repE0EEENS1_47radix_sort_onesweep_sort_config_static_selectorELNS0_4arch9wavefront6targetE1EEEvSK_ ; -- Begin function _ZN7rocprim17ROCPRIM_400000_NS6detail17trampoline_kernelINS0_14default_configENS1_35radix_sort_onesweep_config_selectorIiNS0_10empty_typeEEEZZNS1_29radix_sort_onesweep_iterationIS3_Lb0EN6thrust23THRUST_200600_302600_NS6detail15normal_iteratorINS9_10device_ptrIiEEEESE_PS5_SF_jNS0_19identity_decomposerENS1_16block_id_wrapperIjLb0EEEEE10hipError_tT1_PNSt15iterator_traitsISK_E10value_typeET2_T3_PNSL_ISQ_E10value_typeET4_T5_PSV_SW_PNS1_23onesweep_lookback_stateEbbT6_jjT7_P12ihipStream_tbENKUlT_T0_SK_SP_E_clIPiSE_SF_SF_EEDaS13_S14_SK_SP_EUlS13_E_NS1_11comp_targetILNS1_3genE8ELNS1_11target_archE1030ELNS1_3gpuE2ELNS1_3repE0EEENS1_47radix_sort_onesweep_sort_config_static_selectorELNS0_4arch9wavefront6targetE1EEEvSK_
	.globl	_ZN7rocprim17ROCPRIM_400000_NS6detail17trampoline_kernelINS0_14default_configENS1_35radix_sort_onesweep_config_selectorIiNS0_10empty_typeEEEZZNS1_29radix_sort_onesweep_iterationIS3_Lb0EN6thrust23THRUST_200600_302600_NS6detail15normal_iteratorINS9_10device_ptrIiEEEESE_PS5_SF_jNS0_19identity_decomposerENS1_16block_id_wrapperIjLb0EEEEE10hipError_tT1_PNSt15iterator_traitsISK_E10value_typeET2_T3_PNSL_ISQ_E10value_typeET4_T5_PSV_SW_PNS1_23onesweep_lookback_stateEbbT6_jjT7_P12ihipStream_tbENKUlT_T0_SK_SP_E_clIPiSE_SF_SF_EEDaS13_S14_SK_SP_EUlS13_E_NS1_11comp_targetILNS1_3genE8ELNS1_11target_archE1030ELNS1_3gpuE2ELNS1_3repE0EEENS1_47radix_sort_onesweep_sort_config_static_selectorELNS0_4arch9wavefront6targetE1EEEvSK_
	.p2align	8
	.type	_ZN7rocprim17ROCPRIM_400000_NS6detail17trampoline_kernelINS0_14default_configENS1_35radix_sort_onesweep_config_selectorIiNS0_10empty_typeEEEZZNS1_29radix_sort_onesweep_iterationIS3_Lb0EN6thrust23THRUST_200600_302600_NS6detail15normal_iteratorINS9_10device_ptrIiEEEESE_PS5_SF_jNS0_19identity_decomposerENS1_16block_id_wrapperIjLb0EEEEE10hipError_tT1_PNSt15iterator_traitsISK_E10value_typeET2_T3_PNSL_ISQ_E10value_typeET4_T5_PSV_SW_PNS1_23onesweep_lookback_stateEbbT6_jjT7_P12ihipStream_tbENKUlT_T0_SK_SP_E_clIPiSE_SF_SF_EEDaS13_S14_SK_SP_EUlS13_E_NS1_11comp_targetILNS1_3genE8ELNS1_11target_archE1030ELNS1_3gpuE2ELNS1_3repE0EEENS1_47radix_sort_onesweep_sort_config_static_selectorELNS0_4arch9wavefront6targetE1EEEvSK_,@function
_ZN7rocprim17ROCPRIM_400000_NS6detail17trampoline_kernelINS0_14default_configENS1_35radix_sort_onesweep_config_selectorIiNS0_10empty_typeEEEZZNS1_29radix_sort_onesweep_iterationIS3_Lb0EN6thrust23THRUST_200600_302600_NS6detail15normal_iteratorINS9_10device_ptrIiEEEESE_PS5_SF_jNS0_19identity_decomposerENS1_16block_id_wrapperIjLb0EEEEE10hipError_tT1_PNSt15iterator_traitsISK_E10value_typeET2_T3_PNSL_ISQ_E10value_typeET4_T5_PSV_SW_PNS1_23onesweep_lookback_stateEbbT6_jjT7_P12ihipStream_tbENKUlT_T0_SK_SP_E_clIPiSE_SF_SF_EEDaS13_S14_SK_SP_EUlS13_E_NS1_11comp_targetILNS1_3genE8ELNS1_11target_archE1030ELNS1_3gpuE2ELNS1_3repE0EEENS1_47radix_sort_onesweep_sort_config_static_selectorELNS0_4arch9wavefront6targetE1EEEvSK_: ; @_ZN7rocprim17ROCPRIM_400000_NS6detail17trampoline_kernelINS0_14default_configENS1_35radix_sort_onesweep_config_selectorIiNS0_10empty_typeEEEZZNS1_29radix_sort_onesweep_iterationIS3_Lb0EN6thrust23THRUST_200600_302600_NS6detail15normal_iteratorINS9_10device_ptrIiEEEESE_PS5_SF_jNS0_19identity_decomposerENS1_16block_id_wrapperIjLb0EEEEE10hipError_tT1_PNSt15iterator_traitsISK_E10value_typeET2_T3_PNSL_ISQ_E10value_typeET4_T5_PSV_SW_PNS1_23onesweep_lookback_stateEbbT6_jjT7_P12ihipStream_tbENKUlT_T0_SK_SP_E_clIPiSE_SF_SF_EEDaS13_S14_SK_SP_EUlS13_E_NS1_11comp_targetILNS1_3genE8ELNS1_11target_archE1030ELNS1_3gpuE2ELNS1_3repE0EEENS1_47radix_sort_onesweep_sort_config_static_selectorELNS0_4arch9wavefront6targetE1EEEvSK_
; %bb.0:
	.section	.rodata,"a",@progbits
	.p2align	6, 0x0
	.amdhsa_kernel _ZN7rocprim17ROCPRIM_400000_NS6detail17trampoline_kernelINS0_14default_configENS1_35radix_sort_onesweep_config_selectorIiNS0_10empty_typeEEEZZNS1_29radix_sort_onesweep_iterationIS3_Lb0EN6thrust23THRUST_200600_302600_NS6detail15normal_iteratorINS9_10device_ptrIiEEEESE_PS5_SF_jNS0_19identity_decomposerENS1_16block_id_wrapperIjLb0EEEEE10hipError_tT1_PNSt15iterator_traitsISK_E10value_typeET2_T3_PNSL_ISQ_E10value_typeET4_T5_PSV_SW_PNS1_23onesweep_lookback_stateEbbT6_jjT7_P12ihipStream_tbENKUlT_T0_SK_SP_E_clIPiSE_SF_SF_EEDaS13_S14_SK_SP_EUlS13_E_NS1_11comp_targetILNS1_3genE8ELNS1_11target_archE1030ELNS1_3gpuE2ELNS1_3repE0EEENS1_47radix_sort_onesweep_sort_config_static_selectorELNS0_4arch9wavefront6targetE1EEEvSK_
		.amdhsa_group_segment_fixed_size 0
		.amdhsa_private_segment_fixed_size 0
		.amdhsa_kernarg_size 88
		.amdhsa_user_sgpr_count 2
		.amdhsa_user_sgpr_dispatch_ptr 0
		.amdhsa_user_sgpr_queue_ptr 0
		.amdhsa_user_sgpr_kernarg_segment_ptr 1
		.amdhsa_user_sgpr_dispatch_id 0
		.amdhsa_user_sgpr_kernarg_preload_length 0
		.amdhsa_user_sgpr_kernarg_preload_offset 0
		.amdhsa_user_sgpr_private_segment_size 0
		.amdhsa_uses_dynamic_stack 0
		.amdhsa_enable_private_segment 0
		.amdhsa_system_sgpr_workgroup_id_x 1
		.amdhsa_system_sgpr_workgroup_id_y 0
		.amdhsa_system_sgpr_workgroup_id_z 0
		.amdhsa_system_sgpr_workgroup_info 0
		.amdhsa_system_vgpr_workitem_id 0
		.amdhsa_next_free_vgpr 1
		.amdhsa_next_free_sgpr 0
		.amdhsa_accum_offset 4
		.amdhsa_reserve_vcc 0
		.amdhsa_float_round_mode_32 0
		.amdhsa_float_round_mode_16_64 0
		.amdhsa_float_denorm_mode_32 3
		.amdhsa_float_denorm_mode_16_64 3
		.amdhsa_dx10_clamp 1
		.amdhsa_ieee_mode 1
		.amdhsa_fp16_overflow 0
		.amdhsa_tg_split 0
		.amdhsa_exception_fp_ieee_invalid_op 0
		.amdhsa_exception_fp_denorm_src 0
		.amdhsa_exception_fp_ieee_div_zero 0
		.amdhsa_exception_fp_ieee_overflow 0
		.amdhsa_exception_fp_ieee_underflow 0
		.amdhsa_exception_fp_ieee_inexact 0
		.amdhsa_exception_int_div_zero 0
	.end_amdhsa_kernel
	.section	.text._ZN7rocprim17ROCPRIM_400000_NS6detail17trampoline_kernelINS0_14default_configENS1_35radix_sort_onesweep_config_selectorIiNS0_10empty_typeEEEZZNS1_29radix_sort_onesweep_iterationIS3_Lb0EN6thrust23THRUST_200600_302600_NS6detail15normal_iteratorINS9_10device_ptrIiEEEESE_PS5_SF_jNS0_19identity_decomposerENS1_16block_id_wrapperIjLb0EEEEE10hipError_tT1_PNSt15iterator_traitsISK_E10value_typeET2_T3_PNSL_ISQ_E10value_typeET4_T5_PSV_SW_PNS1_23onesweep_lookback_stateEbbT6_jjT7_P12ihipStream_tbENKUlT_T0_SK_SP_E_clIPiSE_SF_SF_EEDaS13_S14_SK_SP_EUlS13_E_NS1_11comp_targetILNS1_3genE8ELNS1_11target_archE1030ELNS1_3gpuE2ELNS1_3repE0EEENS1_47radix_sort_onesweep_sort_config_static_selectorELNS0_4arch9wavefront6targetE1EEEvSK_,"axG",@progbits,_ZN7rocprim17ROCPRIM_400000_NS6detail17trampoline_kernelINS0_14default_configENS1_35radix_sort_onesweep_config_selectorIiNS0_10empty_typeEEEZZNS1_29radix_sort_onesweep_iterationIS3_Lb0EN6thrust23THRUST_200600_302600_NS6detail15normal_iteratorINS9_10device_ptrIiEEEESE_PS5_SF_jNS0_19identity_decomposerENS1_16block_id_wrapperIjLb0EEEEE10hipError_tT1_PNSt15iterator_traitsISK_E10value_typeET2_T3_PNSL_ISQ_E10value_typeET4_T5_PSV_SW_PNS1_23onesweep_lookback_stateEbbT6_jjT7_P12ihipStream_tbENKUlT_T0_SK_SP_E_clIPiSE_SF_SF_EEDaS13_S14_SK_SP_EUlS13_E_NS1_11comp_targetILNS1_3genE8ELNS1_11target_archE1030ELNS1_3gpuE2ELNS1_3repE0EEENS1_47radix_sort_onesweep_sort_config_static_selectorELNS0_4arch9wavefront6targetE1EEEvSK_,comdat
.Lfunc_end1799:
	.size	_ZN7rocprim17ROCPRIM_400000_NS6detail17trampoline_kernelINS0_14default_configENS1_35radix_sort_onesweep_config_selectorIiNS0_10empty_typeEEEZZNS1_29radix_sort_onesweep_iterationIS3_Lb0EN6thrust23THRUST_200600_302600_NS6detail15normal_iteratorINS9_10device_ptrIiEEEESE_PS5_SF_jNS0_19identity_decomposerENS1_16block_id_wrapperIjLb0EEEEE10hipError_tT1_PNSt15iterator_traitsISK_E10value_typeET2_T3_PNSL_ISQ_E10value_typeET4_T5_PSV_SW_PNS1_23onesweep_lookback_stateEbbT6_jjT7_P12ihipStream_tbENKUlT_T0_SK_SP_E_clIPiSE_SF_SF_EEDaS13_S14_SK_SP_EUlS13_E_NS1_11comp_targetILNS1_3genE8ELNS1_11target_archE1030ELNS1_3gpuE2ELNS1_3repE0EEENS1_47radix_sort_onesweep_sort_config_static_selectorELNS0_4arch9wavefront6targetE1EEEvSK_, .Lfunc_end1799-_ZN7rocprim17ROCPRIM_400000_NS6detail17trampoline_kernelINS0_14default_configENS1_35radix_sort_onesweep_config_selectorIiNS0_10empty_typeEEEZZNS1_29radix_sort_onesweep_iterationIS3_Lb0EN6thrust23THRUST_200600_302600_NS6detail15normal_iteratorINS9_10device_ptrIiEEEESE_PS5_SF_jNS0_19identity_decomposerENS1_16block_id_wrapperIjLb0EEEEE10hipError_tT1_PNSt15iterator_traitsISK_E10value_typeET2_T3_PNSL_ISQ_E10value_typeET4_T5_PSV_SW_PNS1_23onesweep_lookback_stateEbbT6_jjT7_P12ihipStream_tbENKUlT_T0_SK_SP_E_clIPiSE_SF_SF_EEDaS13_S14_SK_SP_EUlS13_E_NS1_11comp_targetILNS1_3genE8ELNS1_11target_archE1030ELNS1_3gpuE2ELNS1_3repE0EEENS1_47radix_sort_onesweep_sort_config_static_selectorELNS0_4arch9wavefront6targetE1EEEvSK_
                                        ; -- End function
	.section	.AMDGPU.csdata,"",@progbits
; Kernel info:
; codeLenInByte = 0
; NumSgprs: 6
; NumVgprs: 0
; NumAgprs: 0
; TotalNumVgprs: 0
; ScratchSize: 0
; MemoryBound: 0
; FloatMode: 240
; IeeeMode: 1
; LDSByteSize: 0 bytes/workgroup (compile time only)
; SGPRBlocks: 0
; VGPRBlocks: 0
; NumSGPRsForWavesPerEU: 6
; NumVGPRsForWavesPerEU: 1
; AccumOffset: 4
; Occupancy: 8
; WaveLimiterHint : 0
; COMPUTE_PGM_RSRC2:SCRATCH_EN: 0
; COMPUTE_PGM_RSRC2:USER_SGPR: 2
; COMPUTE_PGM_RSRC2:TRAP_HANDLER: 0
; COMPUTE_PGM_RSRC2:TGID_X_EN: 1
; COMPUTE_PGM_RSRC2:TGID_Y_EN: 0
; COMPUTE_PGM_RSRC2:TGID_Z_EN: 0
; COMPUTE_PGM_RSRC2:TIDIG_COMP_CNT: 0
; COMPUTE_PGM_RSRC3_GFX90A:ACCUM_OFFSET: 0
; COMPUTE_PGM_RSRC3_GFX90A:TG_SPLIT: 0
	.section	.text._ZN7rocprim17ROCPRIM_400000_NS6detail17trampoline_kernelINS0_13kernel_configILj256ELj4ELj4294967295EEENS1_37radix_sort_block_sort_config_selectorIsNS0_10empty_typeEEEZNS1_21radix_sort_block_sortIS4_Lb0EN6thrust23THRUST_200600_302600_NS6detail15normal_iteratorINSA_10device_ptrIsEEEESF_PS6_SG_NS0_19identity_decomposerEEE10hipError_tT1_T2_T3_T4_jRjT5_jjP12ihipStream_tbEUlT_E_NS1_11comp_targetILNS1_3genE0ELNS1_11target_archE4294967295ELNS1_3gpuE0ELNS1_3repE0EEENS1_44radix_sort_block_sort_config_static_selectorELNS0_4arch9wavefront6targetE1EEEvSJ_,"axG",@progbits,_ZN7rocprim17ROCPRIM_400000_NS6detail17trampoline_kernelINS0_13kernel_configILj256ELj4ELj4294967295EEENS1_37radix_sort_block_sort_config_selectorIsNS0_10empty_typeEEEZNS1_21radix_sort_block_sortIS4_Lb0EN6thrust23THRUST_200600_302600_NS6detail15normal_iteratorINSA_10device_ptrIsEEEESF_PS6_SG_NS0_19identity_decomposerEEE10hipError_tT1_T2_T3_T4_jRjT5_jjP12ihipStream_tbEUlT_E_NS1_11comp_targetILNS1_3genE0ELNS1_11target_archE4294967295ELNS1_3gpuE0ELNS1_3repE0EEENS1_44radix_sort_block_sort_config_static_selectorELNS0_4arch9wavefront6targetE1EEEvSJ_,comdat
	.protected	_ZN7rocprim17ROCPRIM_400000_NS6detail17trampoline_kernelINS0_13kernel_configILj256ELj4ELj4294967295EEENS1_37radix_sort_block_sort_config_selectorIsNS0_10empty_typeEEEZNS1_21radix_sort_block_sortIS4_Lb0EN6thrust23THRUST_200600_302600_NS6detail15normal_iteratorINSA_10device_ptrIsEEEESF_PS6_SG_NS0_19identity_decomposerEEE10hipError_tT1_T2_T3_T4_jRjT5_jjP12ihipStream_tbEUlT_E_NS1_11comp_targetILNS1_3genE0ELNS1_11target_archE4294967295ELNS1_3gpuE0ELNS1_3repE0EEENS1_44radix_sort_block_sort_config_static_selectorELNS0_4arch9wavefront6targetE1EEEvSJ_ ; -- Begin function _ZN7rocprim17ROCPRIM_400000_NS6detail17trampoline_kernelINS0_13kernel_configILj256ELj4ELj4294967295EEENS1_37radix_sort_block_sort_config_selectorIsNS0_10empty_typeEEEZNS1_21radix_sort_block_sortIS4_Lb0EN6thrust23THRUST_200600_302600_NS6detail15normal_iteratorINSA_10device_ptrIsEEEESF_PS6_SG_NS0_19identity_decomposerEEE10hipError_tT1_T2_T3_T4_jRjT5_jjP12ihipStream_tbEUlT_E_NS1_11comp_targetILNS1_3genE0ELNS1_11target_archE4294967295ELNS1_3gpuE0ELNS1_3repE0EEENS1_44radix_sort_block_sort_config_static_selectorELNS0_4arch9wavefront6targetE1EEEvSJ_
	.globl	_ZN7rocprim17ROCPRIM_400000_NS6detail17trampoline_kernelINS0_13kernel_configILj256ELj4ELj4294967295EEENS1_37radix_sort_block_sort_config_selectorIsNS0_10empty_typeEEEZNS1_21radix_sort_block_sortIS4_Lb0EN6thrust23THRUST_200600_302600_NS6detail15normal_iteratorINSA_10device_ptrIsEEEESF_PS6_SG_NS0_19identity_decomposerEEE10hipError_tT1_T2_T3_T4_jRjT5_jjP12ihipStream_tbEUlT_E_NS1_11comp_targetILNS1_3genE0ELNS1_11target_archE4294967295ELNS1_3gpuE0ELNS1_3repE0EEENS1_44radix_sort_block_sort_config_static_selectorELNS0_4arch9wavefront6targetE1EEEvSJ_
	.p2align	8
	.type	_ZN7rocprim17ROCPRIM_400000_NS6detail17trampoline_kernelINS0_13kernel_configILj256ELj4ELj4294967295EEENS1_37radix_sort_block_sort_config_selectorIsNS0_10empty_typeEEEZNS1_21radix_sort_block_sortIS4_Lb0EN6thrust23THRUST_200600_302600_NS6detail15normal_iteratorINSA_10device_ptrIsEEEESF_PS6_SG_NS0_19identity_decomposerEEE10hipError_tT1_T2_T3_T4_jRjT5_jjP12ihipStream_tbEUlT_E_NS1_11comp_targetILNS1_3genE0ELNS1_11target_archE4294967295ELNS1_3gpuE0ELNS1_3repE0EEENS1_44radix_sort_block_sort_config_static_selectorELNS0_4arch9wavefront6targetE1EEEvSJ_,@function
_ZN7rocprim17ROCPRIM_400000_NS6detail17trampoline_kernelINS0_13kernel_configILj256ELj4ELj4294967295EEENS1_37radix_sort_block_sort_config_selectorIsNS0_10empty_typeEEEZNS1_21radix_sort_block_sortIS4_Lb0EN6thrust23THRUST_200600_302600_NS6detail15normal_iteratorINSA_10device_ptrIsEEEESF_PS6_SG_NS0_19identity_decomposerEEE10hipError_tT1_T2_T3_T4_jRjT5_jjP12ihipStream_tbEUlT_E_NS1_11comp_targetILNS1_3genE0ELNS1_11target_archE4294967295ELNS1_3gpuE0ELNS1_3repE0EEENS1_44radix_sort_block_sort_config_static_selectorELNS0_4arch9wavefront6targetE1EEEvSJ_: ; @_ZN7rocprim17ROCPRIM_400000_NS6detail17trampoline_kernelINS0_13kernel_configILj256ELj4ELj4294967295EEENS1_37radix_sort_block_sort_config_selectorIsNS0_10empty_typeEEEZNS1_21radix_sort_block_sortIS4_Lb0EN6thrust23THRUST_200600_302600_NS6detail15normal_iteratorINSA_10device_ptrIsEEEESF_PS6_SG_NS0_19identity_decomposerEEE10hipError_tT1_T2_T3_T4_jRjT5_jjP12ihipStream_tbEUlT_E_NS1_11comp_targetILNS1_3genE0ELNS1_11target_archE4294967295ELNS1_3gpuE0ELNS1_3repE0EEENS1_44radix_sort_block_sort_config_static_selectorELNS0_4arch9wavefront6targetE1EEEvSJ_
; %bb.0:
	.section	.rodata,"a",@progbits
	.p2align	6, 0x0
	.amdhsa_kernel _ZN7rocprim17ROCPRIM_400000_NS6detail17trampoline_kernelINS0_13kernel_configILj256ELj4ELj4294967295EEENS1_37radix_sort_block_sort_config_selectorIsNS0_10empty_typeEEEZNS1_21radix_sort_block_sortIS4_Lb0EN6thrust23THRUST_200600_302600_NS6detail15normal_iteratorINSA_10device_ptrIsEEEESF_PS6_SG_NS0_19identity_decomposerEEE10hipError_tT1_T2_T3_T4_jRjT5_jjP12ihipStream_tbEUlT_E_NS1_11comp_targetILNS1_3genE0ELNS1_11target_archE4294967295ELNS1_3gpuE0ELNS1_3repE0EEENS1_44radix_sort_block_sort_config_static_selectorELNS0_4arch9wavefront6targetE1EEEvSJ_
		.amdhsa_group_segment_fixed_size 0
		.amdhsa_private_segment_fixed_size 0
		.amdhsa_kernarg_size 48
		.amdhsa_user_sgpr_count 2
		.amdhsa_user_sgpr_dispatch_ptr 0
		.amdhsa_user_sgpr_queue_ptr 0
		.amdhsa_user_sgpr_kernarg_segment_ptr 1
		.amdhsa_user_sgpr_dispatch_id 0
		.amdhsa_user_sgpr_kernarg_preload_length 0
		.amdhsa_user_sgpr_kernarg_preload_offset 0
		.amdhsa_user_sgpr_private_segment_size 0
		.amdhsa_uses_dynamic_stack 0
		.amdhsa_enable_private_segment 0
		.amdhsa_system_sgpr_workgroup_id_x 1
		.amdhsa_system_sgpr_workgroup_id_y 0
		.amdhsa_system_sgpr_workgroup_id_z 0
		.amdhsa_system_sgpr_workgroup_info 0
		.amdhsa_system_vgpr_workitem_id 0
		.amdhsa_next_free_vgpr 1
		.amdhsa_next_free_sgpr 0
		.amdhsa_accum_offset 4
		.amdhsa_reserve_vcc 0
		.amdhsa_float_round_mode_32 0
		.amdhsa_float_round_mode_16_64 0
		.amdhsa_float_denorm_mode_32 3
		.amdhsa_float_denorm_mode_16_64 3
		.amdhsa_dx10_clamp 1
		.amdhsa_ieee_mode 1
		.amdhsa_fp16_overflow 0
		.amdhsa_tg_split 0
		.amdhsa_exception_fp_ieee_invalid_op 0
		.amdhsa_exception_fp_denorm_src 0
		.amdhsa_exception_fp_ieee_div_zero 0
		.amdhsa_exception_fp_ieee_overflow 0
		.amdhsa_exception_fp_ieee_underflow 0
		.amdhsa_exception_fp_ieee_inexact 0
		.amdhsa_exception_int_div_zero 0
	.end_amdhsa_kernel
	.section	.text._ZN7rocprim17ROCPRIM_400000_NS6detail17trampoline_kernelINS0_13kernel_configILj256ELj4ELj4294967295EEENS1_37radix_sort_block_sort_config_selectorIsNS0_10empty_typeEEEZNS1_21radix_sort_block_sortIS4_Lb0EN6thrust23THRUST_200600_302600_NS6detail15normal_iteratorINSA_10device_ptrIsEEEESF_PS6_SG_NS0_19identity_decomposerEEE10hipError_tT1_T2_T3_T4_jRjT5_jjP12ihipStream_tbEUlT_E_NS1_11comp_targetILNS1_3genE0ELNS1_11target_archE4294967295ELNS1_3gpuE0ELNS1_3repE0EEENS1_44radix_sort_block_sort_config_static_selectorELNS0_4arch9wavefront6targetE1EEEvSJ_,"axG",@progbits,_ZN7rocprim17ROCPRIM_400000_NS6detail17trampoline_kernelINS0_13kernel_configILj256ELj4ELj4294967295EEENS1_37radix_sort_block_sort_config_selectorIsNS0_10empty_typeEEEZNS1_21radix_sort_block_sortIS4_Lb0EN6thrust23THRUST_200600_302600_NS6detail15normal_iteratorINSA_10device_ptrIsEEEESF_PS6_SG_NS0_19identity_decomposerEEE10hipError_tT1_T2_T3_T4_jRjT5_jjP12ihipStream_tbEUlT_E_NS1_11comp_targetILNS1_3genE0ELNS1_11target_archE4294967295ELNS1_3gpuE0ELNS1_3repE0EEENS1_44radix_sort_block_sort_config_static_selectorELNS0_4arch9wavefront6targetE1EEEvSJ_,comdat
.Lfunc_end1800:
	.size	_ZN7rocprim17ROCPRIM_400000_NS6detail17trampoline_kernelINS0_13kernel_configILj256ELj4ELj4294967295EEENS1_37radix_sort_block_sort_config_selectorIsNS0_10empty_typeEEEZNS1_21radix_sort_block_sortIS4_Lb0EN6thrust23THRUST_200600_302600_NS6detail15normal_iteratorINSA_10device_ptrIsEEEESF_PS6_SG_NS0_19identity_decomposerEEE10hipError_tT1_T2_T3_T4_jRjT5_jjP12ihipStream_tbEUlT_E_NS1_11comp_targetILNS1_3genE0ELNS1_11target_archE4294967295ELNS1_3gpuE0ELNS1_3repE0EEENS1_44radix_sort_block_sort_config_static_selectorELNS0_4arch9wavefront6targetE1EEEvSJ_, .Lfunc_end1800-_ZN7rocprim17ROCPRIM_400000_NS6detail17trampoline_kernelINS0_13kernel_configILj256ELj4ELj4294967295EEENS1_37radix_sort_block_sort_config_selectorIsNS0_10empty_typeEEEZNS1_21radix_sort_block_sortIS4_Lb0EN6thrust23THRUST_200600_302600_NS6detail15normal_iteratorINSA_10device_ptrIsEEEESF_PS6_SG_NS0_19identity_decomposerEEE10hipError_tT1_T2_T3_T4_jRjT5_jjP12ihipStream_tbEUlT_E_NS1_11comp_targetILNS1_3genE0ELNS1_11target_archE4294967295ELNS1_3gpuE0ELNS1_3repE0EEENS1_44radix_sort_block_sort_config_static_selectorELNS0_4arch9wavefront6targetE1EEEvSJ_
                                        ; -- End function
	.section	.AMDGPU.csdata,"",@progbits
; Kernel info:
; codeLenInByte = 0
; NumSgprs: 6
; NumVgprs: 0
; NumAgprs: 0
; TotalNumVgprs: 0
; ScratchSize: 0
; MemoryBound: 0
; FloatMode: 240
; IeeeMode: 1
; LDSByteSize: 0 bytes/workgroup (compile time only)
; SGPRBlocks: 0
; VGPRBlocks: 0
; NumSGPRsForWavesPerEU: 6
; NumVGPRsForWavesPerEU: 1
; AccumOffset: 4
; Occupancy: 8
; WaveLimiterHint : 0
; COMPUTE_PGM_RSRC2:SCRATCH_EN: 0
; COMPUTE_PGM_RSRC2:USER_SGPR: 2
; COMPUTE_PGM_RSRC2:TRAP_HANDLER: 0
; COMPUTE_PGM_RSRC2:TGID_X_EN: 1
; COMPUTE_PGM_RSRC2:TGID_Y_EN: 0
; COMPUTE_PGM_RSRC2:TGID_Z_EN: 0
; COMPUTE_PGM_RSRC2:TIDIG_COMP_CNT: 0
; COMPUTE_PGM_RSRC3_GFX90A:ACCUM_OFFSET: 0
; COMPUTE_PGM_RSRC3_GFX90A:TG_SPLIT: 0
	.section	.text._ZN7rocprim17ROCPRIM_400000_NS6detail17trampoline_kernelINS0_13kernel_configILj256ELj4ELj4294967295EEENS1_37radix_sort_block_sort_config_selectorIsNS0_10empty_typeEEEZNS1_21radix_sort_block_sortIS4_Lb0EN6thrust23THRUST_200600_302600_NS6detail15normal_iteratorINSA_10device_ptrIsEEEESF_PS6_SG_NS0_19identity_decomposerEEE10hipError_tT1_T2_T3_T4_jRjT5_jjP12ihipStream_tbEUlT_E_NS1_11comp_targetILNS1_3genE5ELNS1_11target_archE942ELNS1_3gpuE9ELNS1_3repE0EEENS1_44radix_sort_block_sort_config_static_selectorELNS0_4arch9wavefront6targetE1EEEvSJ_,"axG",@progbits,_ZN7rocprim17ROCPRIM_400000_NS6detail17trampoline_kernelINS0_13kernel_configILj256ELj4ELj4294967295EEENS1_37radix_sort_block_sort_config_selectorIsNS0_10empty_typeEEEZNS1_21radix_sort_block_sortIS4_Lb0EN6thrust23THRUST_200600_302600_NS6detail15normal_iteratorINSA_10device_ptrIsEEEESF_PS6_SG_NS0_19identity_decomposerEEE10hipError_tT1_T2_T3_T4_jRjT5_jjP12ihipStream_tbEUlT_E_NS1_11comp_targetILNS1_3genE5ELNS1_11target_archE942ELNS1_3gpuE9ELNS1_3repE0EEENS1_44radix_sort_block_sort_config_static_selectorELNS0_4arch9wavefront6targetE1EEEvSJ_,comdat
	.protected	_ZN7rocprim17ROCPRIM_400000_NS6detail17trampoline_kernelINS0_13kernel_configILj256ELj4ELj4294967295EEENS1_37radix_sort_block_sort_config_selectorIsNS0_10empty_typeEEEZNS1_21radix_sort_block_sortIS4_Lb0EN6thrust23THRUST_200600_302600_NS6detail15normal_iteratorINSA_10device_ptrIsEEEESF_PS6_SG_NS0_19identity_decomposerEEE10hipError_tT1_T2_T3_T4_jRjT5_jjP12ihipStream_tbEUlT_E_NS1_11comp_targetILNS1_3genE5ELNS1_11target_archE942ELNS1_3gpuE9ELNS1_3repE0EEENS1_44radix_sort_block_sort_config_static_selectorELNS0_4arch9wavefront6targetE1EEEvSJ_ ; -- Begin function _ZN7rocprim17ROCPRIM_400000_NS6detail17trampoline_kernelINS0_13kernel_configILj256ELj4ELj4294967295EEENS1_37radix_sort_block_sort_config_selectorIsNS0_10empty_typeEEEZNS1_21radix_sort_block_sortIS4_Lb0EN6thrust23THRUST_200600_302600_NS6detail15normal_iteratorINSA_10device_ptrIsEEEESF_PS6_SG_NS0_19identity_decomposerEEE10hipError_tT1_T2_T3_T4_jRjT5_jjP12ihipStream_tbEUlT_E_NS1_11comp_targetILNS1_3genE5ELNS1_11target_archE942ELNS1_3gpuE9ELNS1_3repE0EEENS1_44radix_sort_block_sort_config_static_selectorELNS0_4arch9wavefront6targetE1EEEvSJ_
	.globl	_ZN7rocprim17ROCPRIM_400000_NS6detail17trampoline_kernelINS0_13kernel_configILj256ELj4ELj4294967295EEENS1_37radix_sort_block_sort_config_selectorIsNS0_10empty_typeEEEZNS1_21radix_sort_block_sortIS4_Lb0EN6thrust23THRUST_200600_302600_NS6detail15normal_iteratorINSA_10device_ptrIsEEEESF_PS6_SG_NS0_19identity_decomposerEEE10hipError_tT1_T2_T3_T4_jRjT5_jjP12ihipStream_tbEUlT_E_NS1_11comp_targetILNS1_3genE5ELNS1_11target_archE942ELNS1_3gpuE9ELNS1_3repE0EEENS1_44radix_sort_block_sort_config_static_selectorELNS0_4arch9wavefront6targetE1EEEvSJ_
	.p2align	8
	.type	_ZN7rocprim17ROCPRIM_400000_NS6detail17trampoline_kernelINS0_13kernel_configILj256ELj4ELj4294967295EEENS1_37radix_sort_block_sort_config_selectorIsNS0_10empty_typeEEEZNS1_21radix_sort_block_sortIS4_Lb0EN6thrust23THRUST_200600_302600_NS6detail15normal_iteratorINSA_10device_ptrIsEEEESF_PS6_SG_NS0_19identity_decomposerEEE10hipError_tT1_T2_T3_T4_jRjT5_jjP12ihipStream_tbEUlT_E_NS1_11comp_targetILNS1_3genE5ELNS1_11target_archE942ELNS1_3gpuE9ELNS1_3repE0EEENS1_44radix_sort_block_sort_config_static_selectorELNS0_4arch9wavefront6targetE1EEEvSJ_,@function
_ZN7rocprim17ROCPRIM_400000_NS6detail17trampoline_kernelINS0_13kernel_configILj256ELj4ELj4294967295EEENS1_37radix_sort_block_sort_config_selectorIsNS0_10empty_typeEEEZNS1_21radix_sort_block_sortIS4_Lb0EN6thrust23THRUST_200600_302600_NS6detail15normal_iteratorINSA_10device_ptrIsEEEESF_PS6_SG_NS0_19identity_decomposerEEE10hipError_tT1_T2_T3_T4_jRjT5_jjP12ihipStream_tbEUlT_E_NS1_11comp_targetILNS1_3genE5ELNS1_11target_archE942ELNS1_3gpuE9ELNS1_3repE0EEENS1_44radix_sort_block_sort_config_static_selectorELNS0_4arch9wavefront6targetE1EEEvSJ_: ; @_ZN7rocprim17ROCPRIM_400000_NS6detail17trampoline_kernelINS0_13kernel_configILj256ELj4ELj4294967295EEENS1_37radix_sort_block_sort_config_selectorIsNS0_10empty_typeEEEZNS1_21radix_sort_block_sortIS4_Lb0EN6thrust23THRUST_200600_302600_NS6detail15normal_iteratorINSA_10device_ptrIsEEEESF_PS6_SG_NS0_19identity_decomposerEEE10hipError_tT1_T2_T3_T4_jRjT5_jjP12ihipStream_tbEUlT_E_NS1_11comp_targetILNS1_3genE5ELNS1_11target_archE942ELNS1_3gpuE9ELNS1_3repE0EEENS1_44radix_sort_block_sort_config_static_selectorELNS0_4arch9wavefront6targetE1EEEvSJ_
; %bb.0:
	s_load_dword s6, s[0:1], 0x20
	s_load_dwordx4 s[28:31], s[0:1], 0x0
	s_lshl_b32 s4, s2, 10
	s_mov_b32 s5, 0
	v_mbcnt_lo_u32_b32 v1, -1, 0
	s_waitcnt lgkmcnt(0)
	s_lshr_b32 s3, s6, 10
	s_cmp_lg_u32 s2, s3
	v_and_b32_e32 v4, 0x3ff, v0
	s_cselect_b64 s[34:35], -1, 0
	s_lshl_b64 s[36:37], s[4:5], 1
	v_mbcnt_hi_u32_b32 v1, -1, v1
	s_add_u32 s8, s28, s36
	v_and_b32_e32 v2, 63, v1
	v_lshlrev_b32_e32 v5, 2, v4
	s_addc_u32 s9, s29, s37
	v_and_b32_e32 v3, 0x300, v5
	v_lshlrev_b32_e32 v6, 1, v2
	v_mov_b32_e32 v7, 0
	v_lshl_add_u64 v[8:9], s[8:9], 0, v[6:7]
	v_lshlrev_b32_e32 v6, 1, v3
	s_cmp_eq_u32 s2, s3
	v_lshl_add_u64 v[6:7], v[8:9], 0, v[6:7]
	v_or_b32_e32 v9, v2, v3
	s_cbranch_scc1 .LBB1801_2
; %bb.1:
	global_load_ushort v12, v[6:7], off offset:256
	global_load_ushort v13, v[6:7], off offset:384
	global_load_ushort v14, v[6:7], off
	global_load_ushort v15, v[6:7], off offset:128
	s_mov_b32 s2, 0x5040100
	v_or_b32_e32 v16, v2, v3
	v_or_b32_e32 v8, 64, v16
	;; [unrolled: 1-line block ×4, first 2 shown]
	s_waitcnt vmcnt(2)
	v_perm_b32 v3, v13, v12, s2
	s_waitcnt vmcnt(0)
	v_perm_b32 v2, v15, v14, s2
	s_load_dwordx2 s[28:29], s[0:1], 0x28
	s_sub_i32 s33, s6, s4
	s_cbranch_execz .LBB1801_3
	s_branch .LBB1801_12
.LBB1801_2:
                                        ; implicit-def: $vgpr2_vgpr3
                                        ; implicit-def: $vgpr16
                                        ; implicit-def: $vgpr8
                                        ; implicit-def: $vgpr10
                                        ; implicit-def: $vgpr11
	s_load_dwordx2 s[28:29], s[0:1], 0x28
	s_sub_i32 s33, s6, s4
.LBB1801_3:
	s_mov_b32 s2, 0x7fff7fff
	s_mov_b32 s3, s2
	v_cmp_gt_u32_e32 vcc, s33, v9
	v_mov_b64_e32 v[2:3], s[2:3]
	s_and_saveexec_b64 s[2:3], vcc
	s_cbranch_execz .LBB1801_5
; %bb.4:
	global_load_ushort v2, v[6:7], off
	s_movk_i32 s4, 0x7fff
	v_mov_b32_e32 v3, 0x5040100
	s_waitcnt vmcnt(0)
	v_perm_b32 v2, s4, v2, v3
	v_mov_b32_e32 v3, 0x7fff7fff
.LBB1801_5:
	s_or_b64 exec, exec, s[2:3]
	v_or_b32_e32 v8, 64, v9
	v_cmp_gt_u32_e32 vcc, s33, v8
	s_and_saveexec_b64 s[2:3], vcc
	s_cbranch_execz .LBB1801_7
; %bb.6:
	global_load_ushort v10, v[6:7], off offset:128
	s_mov_b32 s4, 0x5040100
	s_waitcnt vmcnt(0)
	v_perm_b32 v2, v10, v2, s4
.LBB1801_7:
	s_or_b64 exec, exec, s[2:3]
	v_or_b32_e32 v10, 0x80, v9
	v_cmp_gt_u32_e32 vcc, s33, v10
	s_and_saveexec_b64 s[2:3], vcc
	s_cbranch_execz .LBB1801_9
; %bb.8:
	global_load_ushort v11, v[6:7], off offset:256
	s_mov_b32 s4, 0xffff
	s_waitcnt vmcnt(0)
	v_bfi_b32 v3, s4, v11, v3
.LBB1801_9:
	s_or_b64 exec, exec, s[2:3]
	v_or_b32_e32 v11, 0xc0, v9
	v_cmp_gt_u32_e32 vcc, s33, v11
	s_and_saveexec_b64 s[2:3], vcc
	s_cbranch_execz .LBB1801_11
; %bb.10:
	global_load_ushort v6, v[6:7], off offset:384
	s_mov_b32 s4, 0x5040100
	s_waitcnt vmcnt(0)
	v_perm_b32 v3, v6, v3, s4
.LBB1801_11:
	s_or_b64 exec, exec, s[2:3]
	v_mov_b32_e32 v16, v9
.LBB1801_12:
	s_load_dword s2, s[0:1], 0x3c
	s_waitcnt lgkmcnt(0)
	s_add_i32 s38, s29, s28
	s_getpc_b64 s[0:1]
	s_add_u32 s0, s0, _ZN7rocprim17ROCPRIM_400000_NS16block_radix_sortIsLj256ELj4ENS0_10empty_typeELj1ELj1ELj0ELNS0_26block_radix_rank_algorithmE1ELNS0_18block_padding_hintE2ELNS0_4arch9wavefront6targetE1EE19radix_bits_per_passE@rel32@lo+4
	s_addc_u32 s1, s1, _ZN7rocprim17ROCPRIM_400000_NS16block_radix_sortIsLj256ELj4ENS0_10empty_typeELj1ELj1ELj0ELNS0_26block_radix_rank_algorithmE1ELNS0_18block_padding_hintE2ELNS0_4arch9wavefront6targetE1EE19radix_bits_per_passE@rel32@hi+12
	s_load_dword s39, s[0:1], 0x0
	v_bfe_u32 v6, v0, 10, 10
	s_lshr_b32 s0, s2, 16
	v_bfe_u32 v0, v0, 20, 10
	s_and_b32 s1, s2, 0xffff
	v_mad_u32_u24 v0, v0, s0, v6
	v_mad_u64_u32 v[6:7], s[0:1], v0, s1, v[4:5]
	v_and_b32_e32 v0, 15, v1
	v_cmp_eq_u32_e64 s[0:1], 0, v0
	v_cmp_lt_u32_e64 s[2:3], 1, v0
	v_cmp_lt_u32_e64 s[4:5], 3, v0
	;; [unrolled: 1-line block ×3, first 2 shown]
	v_and_b32_e32 v0, 16, v1
	v_cmp_eq_u32_e64 s[8:9], 0, v0
	v_and_b32_e32 v0, 0x3c0, v4
	v_min_u32_e32 v0, 0xc0, v0
	v_or_b32_e32 v0, 63, v0
	v_lshrrev_b32_e32 v12, 6, v6
	v_cmp_eq_u32_e64 s[12:13], v0, v4
	v_add_u32_e32 v0, -1, v1
	v_and_b32_e32 v6, 64, v1
	v_cmp_lt_i32_e32 vcc, v0, v6
	s_mov_b32 s26, 0
	v_lshlrev_b32_e32 v5, 2, v5
	v_cndmask_b32_e32 v0, v0, v1, vcc
	v_lshlrev_b32_e32 v13, 2, v0
	v_lshrrev_b32_e32 v0, 4, v4
	v_cmp_lt_u32_e64 s[10:11], 31, v1
	v_cmp_eq_u32_e64 s[18:19], 0, v1
	v_and_b32_e32 v14, 60, v0
	v_mul_i32_i24_e32 v0, -12, v4
	v_and_b32_e32 v1, 3, v1
	s_mov_b32 s27, s26
	s_mov_b32 s40, s26
	;; [unrolled: 1-line block ×3, first 2 shown]
	v_xor_b32_e32 v3, 0x80008000, v3
	v_cmp_gt_u32_e64 s[14:15], 4, v4
	v_cmp_lt_u32_e64 s[16:17], 63, v4
	v_cmp_eq_u32_e64 s[20:21], 0, v4
	v_cmp_eq_u32_e64 s[22:23], 0, v1
	v_cmp_lt_u32_e64 s[24:25], 1, v1
	v_add_u32_e32 v15, -4, v14
	v_lshlrev_b32_e32 v16, 1, v16
	v_lshlrev_b32_e32 v17, 1, v8
	;; [unrolled: 1-line block ×4, first 2 shown]
	v_xor_b32_e32 v22, 0x80008000, v2
	v_mov_b64_e32 v[6:7], s[26:27]
	v_mov_b64_e32 v[8:9], s[40:41]
	v_add_u32_e32 v20, v5, v0
	s_mov_b32 s40, 0x5040100
	v_mov_b32_e32 v11, 0
	s_branch .LBB1801_14
.LBB1801_13:                            ;   in Loop: Header=BB1801_14 Depth=1
	s_barrier
	ds_write_b16 v0, v22
	ds_write_b16 v1, v24
	;; [unrolled: 1-line block ×4, first 2 shown]
	s_waitcnt lgkmcnt(0)
	s_barrier
	ds_read_u16 v3, v16
	ds_read_u16 v22, v17
	;; [unrolled: 1-line block ×4, first 2 shown]
	s_add_i32 s29, s29, -8
	s_waitcnt lgkmcnt(2)
	v_perm_b32 v22, v22, v3, s40
	s_waitcnt lgkmcnt(0)
	v_perm_b32 v3, v25, v23, s40
	s_barrier
	s_cbranch_execz .LBB1801_30
.LBB1801_14:                            ; =>This Inner Loop Header: Depth=1
	s_waitcnt lgkmcnt(0)
	s_min_u32 s26, s39, s29
	s_lshl_b32 s26, -1, s26
	s_not_b32 s41, s26
	v_lshrrev_b32_sdwa v0, s28, v22 dst_sel:DWORD dst_unused:UNUSED_PAD src0_sel:DWORD src1_sel:WORD_0
	v_and_b32_e32 v2, s41, v0
	v_lshl_add_u32 v0, v2, 2, v12
	v_and_b32_e32 v10, 1, v2
	v_lshl_add_u32 v23, v0, 2, 16
	v_lshl_add_u64 v[0:1], v[10:11], 0, -1
	v_cmp_ne_u32_e32 vcc, 0, v10
	v_mov_b32_e32 v21, v3
	ds_write2_b64 v5, v[6:7], v[8:9] offset0:2 offset1:3
	v_xor_b32_e32 v1, vcc_hi, v1
	v_xor_b32_e32 v0, vcc_lo, v0
	v_and_b32_e32 v3, exec_hi, v1
	v_and_b32_e32 v10, exec_lo, v0
	v_lshlrev_b32_e32 v1, 30, v2
	v_mov_b32_e32 v0, v11
	v_cmp_gt_i64_e32 vcc, 0, v[0:1]
	v_not_b32_e32 v0, v1
	v_ashrrev_i32_e32 v0, 31, v0
	v_xor_b32_e32 v1, vcc_hi, v0
	v_xor_b32_e32 v0, vcc_lo, v0
	v_and_b32_e32 v3, v3, v1
	v_and_b32_e32 v10, v10, v0
	v_lshlrev_b32_e32 v1, 29, v2
	v_mov_b32_e32 v0, v11
	v_cmp_gt_i64_e32 vcc, 0, v[0:1]
	v_not_b32_e32 v0, v1
	v_ashrrev_i32_e32 v0, 31, v0
	v_xor_b32_e32 v1, vcc_hi, v0
	v_xor_b32_e32 v0, vcc_lo, v0
	v_and_b32_e32 v3, v3, v1
	v_and_b32_e32 v10, v10, v0
	;; [unrolled: 9-line block ×7, first 2 shown]
	v_mbcnt_lo_u32_b32 v2, v0, 0
	v_mbcnt_hi_u32_b32 v25, v1, v2
	v_cmp_eq_u32_e32 vcc, 0, v25
	v_cmp_ne_u64_e64 s[26:27], 0, v[0:1]
	s_and_b64 s[42:43], s[26:27], vcc
	s_waitcnt lgkmcnt(0)
	s_barrier
	s_waitcnt lgkmcnt(0)
	; wave barrier
	s_and_saveexec_b64 s[26:27], s[42:43]
	s_cbranch_execz .LBB1801_16
; %bb.15:                               ;   in Loop: Header=BB1801_14 Depth=1
	v_bcnt_u32_b32 v0, v0, 0
	v_bcnt_u32_b32 v0, v1, v0
	ds_write_b32 v23, v0
.LBB1801_16:                            ;   in Loop: Header=BB1801_14 Depth=1
	s_or_b64 exec, exec, s[26:27]
	v_lshrrev_b32_e32 v24, 16, v22
	v_lshrrev_b32_e32 v0, s28, v24
	v_and_b32_e32 v2, s41, v0
	v_lshlrev_b32_e32 v0, 2, v2
	v_add_lshl_u32 v0, v0, v12, 2
	v_and_b32_e32 v10, 1, v2
	; wave barrier
	v_add_u32_e32 v27, 16, v0
	ds_read_b32 v26, v0 offset:16
	v_lshl_add_u64 v[0:1], v[10:11], 0, -1
	v_cmp_ne_u32_e32 vcc, 0, v10
	; wave barrier
	s_nop 1
	v_xor_b32_e32 v1, vcc_hi, v1
	v_xor_b32_e32 v0, vcc_lo, v0
	v_and_b32_e32 v3, exec_hi, v1
	v_and_b32_e32 v10, exec_lo, v0
	v_lshlrev_b32_e32 v1, 30, v2
	v_mov_b32_e32 v0, v11
	v_cmp_gt_i64_e32 vcc, 0, v[0:1]
	v_not_b32_e32 v0, v1
	v_ashrrev_i32_e32 v0, 31, v0
	v_xor_b32_e32 v1, vcc_hi, v0
	v_xor_b32_e32 v0, vcc_lo, v0
	v_and_b32_e32 v3, v3, v1
	v_and_b32_e32 v10, v10, v0
	v_lshlrev_b32_e32 v1, 29, v2
	v_mov_b32_e32 v0, v11
	v_cmp_gt_i64_e32 vcc, 0, v[0:1]
	v_not_b32_e32 v0, v1
	v_ashrrev_i32_e32 v0, 31, v0
	v_xor_b32_e32 v1, vcc_hi, v0
	v_xor_b32_e32 v0, vcc_lo, v0
	v_and_b32_e32 v3, v3, v1
	v_and_b32_e32 v10, v10, v0
	;; [unrolled: 9-line block ×7, first 2 shown]
	v_mbcnt_lo_u32_b32 v2, v0, 0
	v_mbcnt_hi_u32_b32 v28, v1, v2
	v_cmp_eq_u32_e32 vcc, 0, v28
	v_cmp_ne_u64_e64 s[26:27], 0, v[0:1]
	s_and_b64 s[42:43], s[26:27], vcc
	s_and_saveexec_b64 s[26:27], s[42:43]
	s_cbranch_execz .LBB1801_18
; %bb.17:                               ;   in Loop: Header=BB1801_14 Depth=1
	v_bcnt_u32_b32 v0, v0, 0
	v_bcnt_u32_b32 v0, v1, v0
	s_waitcnt lgkmcnt(0)
	v_add_u32_e32 v0, v26, v0
	ds_write_b32 v27, v0
.LBB1801_18:                            ;   in Loop: Header=BB1801_14 Depth=1
	s_or_b64 exec, exec, s[26:27]
	v_lshrrev_b32_sdwa v0, s28, v21 dst_sel:DWORD dst_unused:UNUSED_PAD src0_sel:DWORD src1_sel:WORD_0
	v_and_b32_e32 v2, s41, v0
	v_lshlrev_b32_e32 v0, 2, v2
	v_add_lshl_u32 v0, v0, v12, 2
	v_and_b32_e32 v10, 1, v2
	; wave barrier
	v_add_u32_e32 v30, 16, v0
	ds_read_b32 v29, v0 offset:16
	v_lshl_add_u64 v[0:1], v[10:11], 0, -1
	v_cmp_ne_u32_e32 vcc, 0, v10
	; wave barrier
	s_nop 1
	v_xor_b32_e32 v1, vcc_hi, v1
	v_xor_b32_e32 v0, vcc_lo, v0
	v_and_b32_e32 v3, exec_hi, v1
	v_and_b32_e32 v10, exec_lo, v0
	v_lshlrev_b32_e32 v1, 30, v2
	v_mov_b32_e32 v0, v11
	v_cmp_gt_i64_e32 vcc, 0, v[0:1]
	v_not_b32_e32 v0, v1
	v_ashrrev_i32_e32 v0, 31, v0
	v_xor_b32_e32 v1, vcc_hi, v0
	v_xor_b32_e32 v0, vcc_lo, v0
	v_and_b32_e32 v3, v3, v1
	v_and_b32_e32 v10, v10, v0
	v_lshlrev_b32_e32 v1, 29, v2
	v_mov_b32_e32 v0, v11
	v_cmp_gt_i64_e32 vcc, 0, v[0:1]
	v_not_b32_e32 v0, v1
	v_ashrrev_i32_e32 v0, 31, v0
	v_xor_b32_e32 v1, vcc_hi, v0
	v_xor_b32_e32 v0, vcc_lo, v0
	v_and_b32_e32 v3, v3, v1
	v_and_b32_e32 v10, v10, v0
	;; [unrolled: 9-line block ×7, first 2 shown]
	v_mbcnt_lo_u32_b32 v2, v0, 0
	v_mbcnt_hi_u32_b32 v32, v1, v2
	v_cmp_eq_u32_e32 vcc, 0, v32
	v_cmp_ne_u64_e64 s[26:27], 0, v[0:1]
	s_and_b64 s[42:43], s[26:27], vcc
	s_and_saveexec_b64 s[26:27], s[42:43]
	s_cbranch_execz .LBB1801_20
; %bb.19:                               ;   in Loop: Header=BB1801_14 Depth=1
	v_bcnt_u32_b32 v0, v0, 0
	v_bcnt_u32_b32 v0, v1, v0
	s_waitcnt lgkmcnt(0)
	v_add_u32_e32 v0, v29, v0
	ds_write_b32 v30, v0
.LBB1801_20:                            ;   in Loop: Header=BB1801_14 Depth=1
	s_or_b64 exec, exec, s[26:27]
	v_lshrrev_b32_e32 v31, 16, v21
	v_lshrrev_b32_e32 v0, s28, v31
	v_and_b32_e32 v2, s41, v0
	v_lshlrev_b32_e32 v0, 2, v2
	v_add_lshl_u32 v0, v0, v12, 2
	v_and_b32_e32 v10, 1, v2
	; wave barrier
	v_add_u32_e32 v34, 16, v0
	ds_read_b32 v33, v0 offset:16
	v_lshl_add_u64 v[0:1], v[10:11], 0, -1
	v_cmp_ne_u32_e32 vcc, 0, v10
	; wave barrier
	s_nop 1
	v_xor_b32_e32 v1, vcc_hi, v1
	v_xor_b32_e32 v0, vcc_lo, v0
	v_and_b32_e32 v3, exec_hi, v1
	v_and_b32_e32 v10, exec_lo, v0
	v_lshlrev_b32_e32 v1, 30, v2
	v_mov_b32_e32 v0, v11
	v_cmp_gt_i64_e32 vcc, 0, v[0:1]
	v_not_b32_e32 v0, v1
	v_ashrrev_i32_e32 v0, 31, v0
	v_xor_b32_e32 v1, vcc_hi, v0
	v_xor_b32_e32 v0, vcc_lo, v0
	v_and_b32_e32 v3, v3, v1
	v_and_b32_e32 v10, v10, v0
	v_lshlrev_b32_e32 v1, 29, v2
	v_mov_b32_e32 v0, v11
	v_cmp_gt_i64_e32 vcc, 0, v[0:1]
	v_not_b32_e32 v0, v1
	v_ashrrev_i32_e32 v0, 31, v0
	v_xor_b32_e32 v1, vcc_hi, v0
	v_xor_b32_e32 v0, vcc_lo, v0
	v_and_b32_e32 v3, v3, v1
	v_and_b32_e32 v10, v10, v0
	;; [unrolled: 9-line block ×7, first 2 shown]
	v_mbcnt_lo_u32_b32 v2, v0, 0
	v_mbcnt_hi_u32_b32 v10, v1, v2
	v_cmp_eq_u32_e32 vcc, 0, v10
	v_cmp_ne_u64_e64 s[26:27], 0, v[0:1]
	s_and_b64 s[42:43], s[26:27], vcc
	s_and_saveexec_b64 s[26:27], s[42:43]
	s_cbranch_execz .LBB1801_22
; %bb.21:                               ;   in Loop: Header=BB1801_14 Depth=1
	v_bcnt_u32_b32 v0, v0, 0
	v_bcnt_u32_b32 v0, v1, v0
	s_waitcnt lgkmcnt(0)
	v_add_u32_e32 v0, v33, v0
	ds_write_b32 v34, v0
.LBB1801_22:                            ;   in Loop: Header=BB1801_14 Depth=1
	s_or_b64 exec, exec, s[26:27]
	; wave barrier
	s_waitcnt lgkmcnt(0)
	s_barrier
	ds_read2_b64 v[0:3], v5 offset0:2 offset1:3
	s_waitcnt lgkmcnt(0)
	v_add_u32_e32 v35, v1, v0
	v_add3_u32 v3, v35, v2, v3
	s_nop 1
	v_mov_b32_dpp v35, v3 row_shr:1 row_mask:0xf bank_mask:0xf
	v_cndmask_b32_e64 v35, v35, 0, s[0:1]
	v_add_u32_e32 v3, v35, v3
	s_nop 1
	v_mov_b32_dpp v35, v3 row_shr:2 row_mask:0xf bank_mask:0xf
	v_cndmask_b32_e64 v35, 0, v35, s[2:3]
	v_add_u32_e32 v3, v3, v35
	;; [unrolled: 4-line block ×4, first 2 shown]
	s_nop 1
	v_mov_b32_dpp v35, v3 row_bcast:15 row_mask:0xf bank_mask:0xf
	v_cndmask_b32_e64 v35, v35, 0, s[8:9]
	v_add_u32_e32 v3, v3, v35
	s_nop 1
	v_mov_b32_dpp v35, v3 row_bcast:31 row_mask:0xf bank_mask:0xf
	v_cndmask_b32_e64 v35, 0, v35, s[10:11]
	v_add_u32_e32 v3, v3, v35
	s_and_saveexec_b64 s[26:27], s[12:13]
	s_cbranch_execz .LBB1801_24
; %bb.23:                               ;   in Loop: Header=BB1801_14 Depth=1
	ds_write_b32 v14, v3
.LBB1801_24:                            ;   in Loop: Header=BB1801_14 Depth=1
	s_or_b64 exec, exec, s[26:27]
	s_waitcnt lgkmcnt(0)
	s_barrier
	s_and_saveexec_b64 s[26:27], s[14:15]
	s_cbranch_execz .LBB1801_26
; %bb.25:                               ;   in Loop: Header=BB1801_14 Depth=1
	ds_read_b32 v35, v20
	s_waitcnt lgkmcnt(0)
	s_nop 0
	v_mov_b32_dpp v36, v35 row_shr:1 row_mask:0xf bank_mask:0xf
	v_cndmask_b32_e64 v36, v36, 0, s[22:23]
	v_add_u32_e32 v35, v36, v35
	s_nop 1
	v_mov_b32_dpp v36, v35 row_shr:2 row_mask:0xf bank_mask:0xf
	v_cndmask_b32_e64 v36, 0, v36, s[24:25]
	v_add_u32_e32 v35, v35, v36
	ds_write_b32 v20, v35
.LBB1801_26:                            ;   in Loop: Header=BB1801_14 Depth=1
	s_or_b64 exec, exec, s[26:27]
	v_mov_b32_e32 v36, 0
	s_waitcnt lgkmcnt(0)
	s_barrier
	s_and_saveexec_b64 s[26:27], s[16:17]
	s_cbranch_execz .LBB1801_28
; %bb.27:                               ;   in Loop: Header=BB1801_14 Depth=1
	ds_read_b32 v36, v15
.LBB1801_28:                            ;   in Loop: Header=BB1801_14 Depth=1
	s_or_b64 exec, exec, s[26:27]
	s_waitcnt lgkmcnt(0)
	v_add_u32_e32 v3, v36, v3
	ds_bpermute_b32 v3, v13, v3
	s_add_i32 s28, s28, 8
	v_lshlrev_b32_e32 v10, 1, v10
	v_mov_b32_e32 v35, v22
	s_cmp_ge_u32 s28, s38
	s_waitcnt lgkmcnt(0)
	v_cndmask_b32_e64 v3, v3, v36, s[18:19]
	v_cndmask_b32_e64 v36, v3, 0, s[20:21]
	v_add_u32_e32 v37, v36, v0
	v_add_u32_e32 v0, v37, v1
	;; [unrolled: 1-line block ×3, first 2 shown]
	ds_write2_b64 v5, v[36:37], v[0:1] offset0:2 offset1:3
	s_waitcnt lgkmcnt(0)
	s_barrier
	ds_read_b32 v0, v23
	ds_read_b32 v1, v27
	;; [unrolled: 1-line block ×4, first 2 shown]
	v_lshlrev_b32_e32 v23, 1, v25
	s_waitcnt lgkmcnt(3)
	v_lshl_add_u32 v0, v0, 1, v23
	v_lshlrev_b32_e32 v23, 1, v28
	v_lshlrev_b32_e32 v25, 1, v26
	s_waitcnt lgkmcnt(2)
	v_lshlrev_b32_e32 v1, 1, v1
	v_add3_u32 v1, v23, v25, v1
	v_lshlrev_b32_e32 v23, 1, v32
	v_lshlrev_b32_e32 v25, 1, v29
	s_waitcnt lgkmcnt(1)
	v_lshlrev_b32_e32 v2, 1, v2
	v_add3_u32 v2, v23, v25, v2
	v_lshlrev_b32_e32 v23, 1, v33
	s_waitcnt lgkmcnt(0)
	v_lshlrev_b32_e32 v3, 1, v3
	v_add3_u32 v10, v10, v23, v3
	s_cbranch_scc0 .LBB1801_13
; %bb.29:
                                        ; implicit-def: $vgpr3
                                        ; implicit-def: $vgpr22
                                        ; implicit-def: $sgpr28
.LBB1801_30:
	s_barrier
	ds_write_b16 v0, v35
	ds_write_b16 v1, v24
	;; [unrolled: 1-line block ×4, first 2 shown]
	v_lshlrev_b32_e32 v0, 1, v4
	s_waitcnt lgkmcnt(0)
	s_barrier
	ds_read_u16 v1, v0
	ds_read_u16 v3, v0 offset:512
	ds_read_u16 v7, v0 offset:1024
	;; [unrolled: 1-line block ×3, first 2 shown]
	s_add_u32 s0, s30, s36
	s_waitcnt lgkmcnt(3)
	v_xor_b32_e32 v6, 0xffff8000, v1
	s_addc_u32 s1, s31, s37
	v_mov_b32_e32 v1, 0
	s_waitcnt lgkmcnt(2)
	v_xor_b32_e32 v5, 0xffff8000, v3
	s_waitcnt lgkmcnt(1)
	v_xor_b32_e32 v3, 0xffff8000, v7
	s_andn2_b64 vcc, exec, s[34:35]
	v_lshl_add_u64 v[0:1], s[0:1], 0, v[0:1]
	s_cbranch_vccnz .LBB1801_32
; %bb.31:
	s_mov_b64 s[0:1], -1
	global_store_short v[0:1], v6, off
	global_store_short v[0:1], v5, off offset:512
	global_store_short v[0:1], v3, off offset:1024
	s_cbranch_execz .LBB1801_33
	s_branch .LBB1801_40
.LBB1801_32:
	s_mov_b64 s[0:1], 0
.LBB1801_33:
	v_cmp_gt_u32_e32 vcc, s33, v4
	s_and_saveexec_b64 s[0:1], vcc
	s_cbranch_execz .LBB1801_35
; %bb.34:
	global_store_short v[0:1], v6, off
.LBB1801_35:
	s_or_b64 exec, exec, s[0:1]
	v_add_u32_e32 v6, 0x100, v4
	v_cmp_gt_u32_e32 vcc, s33, v6
	s_and_saveexec_b64 s[0:1], vcc
	s_cbranch_execz .LBB1801_37
; %bb.36:
	global_store_short v[0:1], v5, off offset:512
.LBB1801_37:
	s_or_b64 exec, exec, s[0:1]
	v_add_u32_e32 v5, 0x200, v4
	v_cmp_gt_u32_e32 vcc, s33, v5
	s_and_saveexec_b64 s[0:1], vcc
	s_cbranch_execz .LBB1801_39
; %bb.38:
	global_store_short v[0:1], v3, off offset:1024
.LBB1801_39:
	s_or_b64 exec, exec, s[0:1]
	v_add_u32_e32 v3, 0x300, v4
	v_cmp_gt_u32_e64 s[0:1], s33, v3
.LBB1801_40:
	s_and_saveexec_b64 s[2:3], s[0:1]
	s_cbranch_execnz .LBB1801_42
; %bb.41:
	s_endpgm
.LBB1801_42:
	s_waitcnt lgkmcnt(0)
	v_xor_b32_e32 v2, 0xffff8000, v2
	global_store_short v[0:1], v2, off offset:1536
	s_endpgm
	.section	.rodata,"a",@progbits
	.p2align	6, 0x0
	.amdhsa_kernel _ZN7rocprim17ROCPRIM_400000_NS6detail17trampoline_kernelINS0_13kernel_configILj256ELj4ELj4294967295EEENS1_37radix_sort_block_sort_config_selectorIsNS0_10empty_typeEEEZNS1_21radix_sort_block_sortIS4_Lb0EN6thrust23THRUST_200600_302600_NS6detail15normal_iteratorINSA_10device_ptrIsEEEESF_PS6_SG_NS0_19identity_decomposerEEE10hipError_tT1_T2_T3_T4_jRjT5_jjP12ihipStream_tbEUlT_E_NS1_11comp_targetILNS1_3genE5ELNS1_11target_archE942ELNS1_3gpuE9ELNS1_3repE0EEENS1_44radix_sort_block_sort_config_static_selectorELNS0_4arch9wavefront6targetE1EEEvSJ_
		.amdhsa_group_segment_fixed_size 4112
		.amdhsa_private_segment_fixed_size 0
		.amdhsa_kernarg_size 304
		.amdhsa_user_sgpr_count 2
		.amdhsa_user_sgpr_dispatch_ptr 0
		.amdhsa_user_sgpr_queue_ptr 0
		.amdhsa_user_sgpr_kernarg_segment_ptr 1
		.amdhsa_user_sgpr_dispatch_id 0
		.amdhsa_user_sgpr_kernarg_preload_length 0
		.amdhsa_user_sgpr_kernarg_preload_offset 0
		.amdhsa_user_sgpr_private_segment_size 0
		.amdhsa_uses_dynamic_stack 0
		.amdhsa_enable_private_segment 0
		.amdhsa_system_sgpr_workgroup_id_x 1
		.amdhsa_system_sgpr_workgroup_id_y 0
		.amdhsa_system_sgpr_workgroup_id_z 0
		.amdhsa_system_sgpr_workgroup_info 0
		.amdhsa_system_vgpr_workitem_id 2
		.amdhsa_next_free_vgpr 38
		.amdhsa_next_free_sgpr 44
		.amdhsa_accum_offset 40
		.amdhsa_reserve_vcc 1
		.amdhsa_float_round_mode_32 0
		.amdhsa_float_round_mode_16_64 0
		.amdhsa_float_denorm_mode_32 3
		.amdhsa_float_denorm_mode_16_64 3
		.amdhsa_dx10_clamp 1
		.amdhsa_ieee_mode 1
		.amdhsa_fp16_overflow 0
		.amdhsa_tg_split 0
		.amdhsa_exception_fp_ieee_invalid_op 0
		.amdhsa_exception_fp_denorm_src 0
		.amdhsa_exception_fp_ieee_div_zero 0
		.amdhsa_exception_fp_ieee_overflow 0
		.amdhsa_exception_fp_ieee_underflow 0
		.amdhsa_exception_fp_ieee_inexact 0
		.amdhsa_exception_int_div_zero 0
	.end_amdhsa_kernel
	.section	.text._ZN7rocprim17ROCPRIM_400000_NS6detail17trampoline_kernelINS0_13kernel_configILj256ELj4ELj4294967295EEENS1_37radix_sort_block_sort_config_selectorIsNS0_10empty_typeEEEZNS1_21radix_sort_block_sortIS4_Lb0EN6thrust23THRUST_200600_302600_NS6detail15normal_iteratorINSA_10device_ptrIsEEEESF_PS6_SG_NS0_19identity_decomposerEEE10hipError_tT1_T2_T3_T4_jRjT5_jjP12ihipStream_tbEUlT_E_NS1_11comp_targetILNS1_3genE5ELNS1_11target_archE942ELNS1_3gpuE9ELNS1_3repE0EEENS1_44radix_sort_block_sort_config_static_selectorELNS0_4arch9wavefront6targetE1EEEvSJ_,"axG",@progbits,_ZN7rocprim17ROCPRIM_400000_NS6detail17trampoline_kernelINS0_13kernel_configILj256ELj4ELj4294967295EEENS1_37radix_sort_block_sort_config_selectorIsNS0_10empty_typeEEEZNS1_21radix_sort_block_sortIS4_Lb0EN6thrust23THRUST_200600_302600_NS6detail15normal_iteratorINSA_10device_ptrIsEEEESF_PS6_SG_NS0_19identity_decomposerEEE10hipError_tT1_T2_T3_T4_jRjT5_jjP12ihipStream_tbEUlT_E_NS1_11comp_targetILNS1_3genE5ELNS1_11target_archE942ELNS1_3gpuE9ELNS1_3repE0EEENS1_44radix_sort_block_sort_config_static_selectorELNS0_4arch9wavefront6targetE1EEEvSJ_,comdat
.Lfunc_end1801:
	.size	_ZN7rocprim17ROCPRIM_400000_NS6detail17trampoline_kernelINS0_13kernel_configILj256ELj4ELj4294967295EEENS1_37radix_sort_block_sort_config_selectorIsNS0_10empty_typeEEEZNS1_21radix_sort_block_sortIS4_Lb0EN6thrust23THRUST_200600_302600_NS6detail15normal_iteratorINSA_10device_ptrIsEEEESF_PS6_SG_NS0_19identity_decomposerEEE10hipError_tT1_T2_T3_T4_jRjT5_jjP12ihipStream_tbEUlT_E_NS1_11comp_targetILNS1_3genE5ELNS1_11target_archE942ELNS1_3gpuE9ELNS1_3repE0EEENS1_44radix_sort_block_sort_config_static_selectorELNS0_4arch9wavefront6targetE1EEEvSJ_, .Lfunc_end1801-_ZN7rocprim17ROCPRIM_400000_NS6detail17trampoline_kernelINS0_13kernel_configILj256ELj4ELj4294967295EEENS1_37radix_sort_block_sort_config_selectorIsNS0_10empty_typeEEEZNS1_21radix_sort_block_sortIS4_Lb0EN6thrust23THRUST_200600_302600_NS6detail15normal_iteratorINSA_10device_ptrIsEEEESF_PS6_SG_NS0_19identity_decomposerEEE10hipError_tT1_T2_T3_T4_jRjT5_jjP12ihipStream_tbEUlT_E_NS1_11comp_targetILNS1_3genE5ELNS1_11target_archE942ELNS1_3gpuE9ELNS1_3repE0EEENS1_44radix_sort_block_sort_config_static_selectorELNS0_4arch9wavefront6targetE1EEEvSJ_
                                        ; -- End function
	.section	.AMDGPU.csdata,"",@progbits
; Kernel info:
; codeLenInByte = 3396
; NumSgprs: 50
; NumVgprs: 38
; NumAgprs: 0
; TotalNumVgprs: 38
; ScratchSize: 0
; MemoryBound: 0
; FloatMode: 240
; IeeeMode: 1
; LDSByteSize: 4112 bytes/workgroup (compile time only)
; SGPRBlocks: 6
; VGPRBlocks: 4
; NumSGPRsForWavesPerEU: 50
; NumVGPRsForWavesPerEU: 38
; AccumOffset: 40
; Occupancy: 8
; WaveLimiterHint : 1
; COMPUTE_PGM_RSRC2:SCRATCH_EN: 0
; COMPUTE_PGM_RSRC2:USER_SGPR: 2
; COMPUTE_PGM_RSRC2:TRAP_HANDLER: 0
; COMPUTE_PGM_RSRC2:TGID_X_EN: 1
; COMPUTE_PGM_RSRC2:TGID_Y_EN: 0
; COMPUTE_PGM_RSRC2:TGID_Z_EN: 0
; COMPUTE_PGM_RSRC2:TIDIG_COMP_CNT: 2
; COMPUTE_PGM_RSRC3_GFX90A:ACCUM_OFFSET: 9
; COMPUTE_PGM_RSRC3_GFX90A:TG_SPLIT: 0
	.section	.text._ZN7rocprim17ROCPRIM_400000_NS6detail17trampoline_kernelINS0_13kernel_configILj256ELj4ELj4294967295EEENS1_37radix_sort_block_sort_config_selectorIsNS0_10empty_typeEEEZNS1_21radix_sort_block_sortIS4_Lb0EN6thrust23THRUST_200600_302600_NS6detail15normal_iteratorINSA_10device_ptrIsEEEESF_PS6_SG_NS0_19identity_decomposerEEE10hipError_tT1_T2_T3_T4_jRjT5_jjP12ihipStream_tbEUlT_E_NS1_11comp_targetILNS1_3genE4ELNS1_11target_archE910ELNS1_3gpuE8ELNS1_3repE0EEENS1_44radix_sort_block_sort_config_static_selectorELNS0_4arch9wavefront6targetE1EEEvSJ_,"axG",@progbits,_ZN7rocprim17ROCPRIM_400000_NS6detail17trampoline_kernelINS0_13kernel_configILj256ELj4ELj4294967295EEENS1_37radix_sort_block_sort_config_selectorIsNS0_10empty_typeEEEZNS1_21radix_sort_block_sortIS4_Lb0EN6thrust23THRUST_200600_302600_NS6detail15normal_iteratorINSA_10device_ptrIsEEEESF_PS6_SG_NS0_19identity_decomposerEEE10hipError_tT1_T2_T3_T4_jRjT5_jjP12ihipStream_tbEUlT_E_NS1_11comp_targetILNS1_3genE4ELNS1_11target_archE910ELNS1_3gpuE8ELNS1_3repE0EEENS1_44radix_sort_block_sort_config_static_selectorELNS0_4arch9wavefront6targetE1EEEvSJ_,comdat
	.protected	_ZN7rocprim17ROCPRIM_400000_NS6detail17trampoline_kernelINS0_13kernel_configILj256ELj4ELj4294967295EEENS1_37radix_sort_block_sort_config_selectorIsNS0_10empty_typeEEEZNS1_21radix_sort_block_sortIS4_Lb0EN6thrust23THRUST_200600_302600_NS6detail15normal_iteratorINSA_10device_ptrIsEEEESF_PS6_SG_NS0_19identity_decomposerEEE10hipError_tT1_T2_T3_T4_jRjT5_jjP12ihipStream_tbEUlT_E_NS1_11comp_targetILNS1_3genE4ELNS1_11target_archE910ELNS1_3gpuE8ELNS1_3repE0EEENS1_44radix_sort_block_sort_config_static_selectorELNS0_4arch9wavefront6targetE1EEEvSJ_ ; -- Begin function _ZN7rocprim17ROCPRIM_400000_NS6detail17trampoline_kernelINS0_13kernel_configILj256ELj4ELj4294967295EEENS1_37radix_sort_block_sort_config_selectorIsNS0_10empty_typeEEEZNS1_21radix_sort_block_sortIS4_Lb0EN6thrust23THRUST_200600_302600_NS6detail15normal_iteratorINSA_10device_ptrIsEEEESF_PS6_SG_NS0_19identity_decomposerEEE10hipError_tT1_T2_T3_T4_jRjT5_jjP12ihipStream_tbEUlT_E_NS1_11comp_targetILNS1_3genE4ELNS1_11target_archE910ELNS1_3gpuE8ELNS1_3repE0EEENS1_44radix_sort_block_sort_config_static_selectorELNS0_4arch9wavefront6targetE1EEEvSJ_
	.globl	_ZN7rocprim17ROCPRIM_400000_NS6detail17trampoline_kernelINS0_13kernel_configILj256ELj4ELj4294967295EEENS1_37radix_sort_block_sort_config_selectorIsNS0_10empty_typeEEEZNS1_21radix_sort_block_sortIS4_Lb0EN6thrust23THRUST_200600_302600_NS6detail15normal_iteratorINSA_10device_ptrIsEEEESF_PS6_SG_NS0_19identity_decomposerEEE10hipError_tT1_T2_T3_T4_jRjT5_jjP12ihipStream_tbEUlT_E_NS1_11comp_targetILNS1_3genE4ELNS1_11target_archE910ELNS1_3gpuE8ELNS1_3repE0EEENS1_44radix_sort_block_sort_config_static_selectorELNS0_4arch9wavefront6targetE1EEEvSJ_
	.p2align	8
	.type	_ZN7rocprim17ROCPRIM_400000_NS6detail17trampoline_kernelINS0_13kernel_configILj256ELj4ELj4294967295EEENS1_37radix_sort_block_sort_config_selectorIsNS0_10empty_typeEEEZNS1_21radix_sort_block_sortIS4_Lb0EN6thrust23THRUST_200600_302600_NS6detail15normal_iteratorINSA_10device_ptrIsEEEESF_PS6_SG_NS0_19identity_decomposerEEE10hipError_tT1_T2_T3_T4_jRjT5_jjP12ihipStream_tbEUlT_E_NS1_11comp_targetILNS1_3genE4ELNS1_11target_archE910ELNS1_3gpuE8ELNS1_3repE0EEENS1_44radix_sort_block_sort_config_static_selectorELNS0_4arch9wavefront6targetE1EEEvSJ_,@function
_ZN7rocprim17ROCPRIM_400000_NS6detail17trampoline_kernelINS0_13kernel_configILj256ELj4ELj4294967295EEENS1_37radix_sort_block_sort_config_selectorIsNS0_10empty_typeEEEZNS1_21radix_sort_block_sortIS4_Lb0EN6thrust23THRUST_200600_302600_NS6detail15normal_iteratorINSA_10device_ptrIsEEEESF_PS6_SG_NS0_19identity_decomposerEEE10hipError_tT1_T2_T3_T4_jRjT5_jjP12ihipStream_tbEUlT_E_NS1_11comp_targetILNS1_3genE4ELNS1_11target_archE910ELNS1_3gpuE8ELNS1_3repE0EEENS1_44radix_sort_block_sort_config_static_selectorELNS0_4arch9wavefront6targetE1EEEvSJ_: ; @_ZN7rocprim17ROCPRIM_400000_NS6detail17trampoline_kernelINS0_13kernel_configILj256ELj4ELj4294967295EEENS1_37radix_sort_block_sort_config_selectorIsNS0_10empty_typeEEEZNS1_21radix_sort_block_sortIS4_Lb0EN6thrust23THRUST_200600_302600_NS6detail15normal_iteratorINSA_10device_ptrIsEEEESF_PS6_SG_NS0_19identity_decomposerEEE10hipError_tT1_T2_T3_T4_jRjT5_jjP12ihipStream_tbEUlT_E_NS1_11comp_targetILNS1_3genE4ELNS1_11target_archE910ELNS1_3gpuE8ELNS1_3repE0EEENS1_44radix_sort_block_sort_config_static_selectorELNS0_4arch9wavefront6targetE1EEEvSJ_
; %bb.0:
	.section	.rodata,"a",@progbits
	.p2align	6, 0x0
	.amdhsa_kernel _ZN7rocprim17ROCPRIM_400000_NS6detail17trampoline_kernelINS0_13kernel_configILj256ELj4ELj4294967295EEENS1_37radix_sort_block_sort_config_selectorIsNS0_10empty_typeEEEZNS1_21radix_sort_block_sortIS4_Lb0EN6thrust23THRUST_200600_302600_NS6detail15normal_iteratorINSA_10device_ptrIsEEEESF_PS6_SG_NS0_19identity_decomposerEEE10hipError_tT1_T2_T3_T4_jRjT5_jjP12ihipStream_tbEUlT_E_NS1_11comp_targetILNS1_3genE4ELNS1_11target_archE910ELNS1_3gpuE8ELNS1_3repE0EEENS1_44radix_sort_block_sort_config_static_selectorELNS0_4arch9wavefront6targetE1EEEvSJ_
		.amdhsa_group_segment_fixed_size 0
		.amdhsa_private_segment_fixed_size 0
		.amdhsa_kernarg_size 48
		.amdhsa_user_sgpr_count 2
		.amdhsa_user_sgpr_dispatch_ptr 0
		.amdhsa_user_sgpr_queue_ptr 0
		.amdhsa_user_sgpr_kernarg_segment_ptr 1
		.amdhsa_user_sgpr_dispatch_id 0
		.amdhsa_user_sgpr_kernarg_preload_length 0
		.amdhsa_user_sgpr_kernarg_preload_offset 0
		.amdhsa_user_sgpr_private_segment_size 0
		.amdhsa_uses_dynamic_stack 0
		.amdhsa_enable_private_segment 0
		.amdhsa_system_sgpr_workgroup_id_x 1
		.amdhsa_system_sgpr_workgroup_id_y 0
		.amdhsa_system_sgpr_workgroup_id_z 0
		.amdhsa_system_sgpr_workgroup_info 0
		.amdhsa_system_vgpr_workitem_id 0
		.amdhsa_next_free_vgpr 1
		.amdhsa_next_free_sgpr 0
		.amdhsa_accum_offset 4
		.amdhsa_reserve_vcc 0
		.amdhsa_float_round_mode_32 0
		.amdhsa_float_round_mode_16_64 0
		.amdhsa_float_denorm_mode_32 3
		.amdhsa_float_denorm_mode_16_64 3
		.amdhsa_dx10_clamp 1
		.amdhsa_ieee_mode 1
		.amdhsa_fp16_overflow 0
		.amdhsa_tg_split 0
		.amdhsa_exception_fp_ieee_invalid_op 0
		.amdhsa_exception_fp_denorm_src 0
		.amdhsa_exception_fp_ieee_div_zero 0
		.amdhsa_exception_fp_ieee_overflow 0
		.amdhsa_exception_fp_ieee_underflow 0
		.amdhsa_exception_fp_ieee_inexact 0
		.amdhsa_exception_int_div_zero 0
	.end_amdhsa_kernel
	.section	.text._ZN7rocprim17ROCPRIM_400000_NS6detail17trampoline_kernelINS0_13kernel_configILj256ELj4ELj4294967295EEENS1_37radix_sort_block_sort_config_selectorIsNS0_10empty_typeEEEZNS1_21radix_sort_block_sortIS4_Lb0EN6thrust23THRUST_200600_302600_NS6detail15normal_iteratorINSA_10device_ptrIsEEEESF_PS6_SG_NS0_19identity_decomposerEEE10hipError_tT1_T2_T3_T4_jRjT5_jjP12ihipStream_tbEUlT_E_NS1_11comp_targetILNS1_3genE4ELNS1_11target_archE910ELNS1_3gpuE8ELNS1_3repE0EEENS1_44radix_sort_block_sort_config_static_selectorELNS0_4arch9wavefront6targetE1EEEvSJ_,"axG",@progbits,_ZN7rocprim17ROCPRIM_400000_NS6detail17trampoline_kernelINS0_13kernel_configILj256ELj4ELj4294967295EEENS1_37radix_sort_block_sort_config_selectorIsNS0_10empty_typeEEEZNS1_21radix_sort_block_sortIS4_Lb0EN6thrust23THRUST_200600_302600_NS6detail15normal_iteratorINSA_10device_ptrIsEEEESF_PS6_SG_NS0_19identity_decomposerEEE10hipError_tT1_T2_T3_T4_jRjT5_jjP12ihipStream_tbEUlT_E_NS1_11comp_targetILNS1_3genE4ELNS1_11target_archE910ELNS1_3gpuE8ELNS1_3repE0EEENS1_44radix_sort_block_sort_config_static_selectorELNS0_4arch9wavefront6targetE1EEEvSJ_,comdat
.Lfunc_end1802:
	.size	_ZN7rocprim17ROCPRIM_400000_NS6detail17trampoline_kernelINS0_13kernel_configILj256ELj4ELj4294967295EEENS1_37radix_sort_block_sort_config_selectorIsNS0_10empty_typeEEEZNS1_21radix_sort_block_sortIS4_Lb0EN6thrust23THRUST_200600_302600_NS6detail15normal_iteratorINSA_10device_ptrIsEEEESF_PS6_SG_NS0_19identity_decomposerEEE10hipError_tT1_T2_T3_T4_jRjT5_jjP12ihipStream_tbEUlT_E_NS1_11comp_targetILNS1_3genE4ELNS1_11target_archE910ELNS1_3gpuE8ELNS1_3repE0EEENS1_44radix_sort_block_sort_config_static_selectorELNS0_4arch9wavefront6targetE1EEEvSJ_, .Lfunc_end1802-_ZN7rocprim17ROCPRIM_400000_NS6detail17trampoline_kernelINS0_13kernel_configILj256ELj4ELj4294967295EEENS1_37radix_sort_block_sort_config_selectorIsNS0_10empty_typeEEEZNS1_21radix_sort_block_sortIS4_Lb0EN6thrust23THRUST_200600_302600_NS6detail15normal_iteratorINSA_10device_ptrIsEEEESF_PS6_SG_NS0_19identity_decomposerEEE10hipError_tT1_T2_T3_T4_jRjT5_jjP12ihipStream_tbEUlT_E_NS1_11comp_targetILNS1_3genE4ELNS1_11target_archE910ELNS1_3gpuE8ELNS1_3repE0EEENS1_44radix_sort_block_sort_config_static_selectorELNS0_4arch9wavefront6targetE1EEEvSJ_
                                        ; -- End function
	.section	.AMDGPU.csdata,"",@progbits
; Kernel info:
; codeLenInByte = 0
; NumSgprs: 6
; NumVgprs: 0
; NumAgprs: 0
; TotalNumVgprs: 0
; ScratchSize: 0
; MemoryBound: 0
; FloatMode: 240
; IeeeMode: 1
; LDSByteSize: 0 bytes/workgroup (compile time only)
; SGPRBlocks: 0
; VGPRBlocks: 0
; NumSGPRsForWavesPerEU: 6
; NumVGPRsForWavesPerEU: 1
; AccumOffset: 4
; Occupancy: 8
; WaveLimiterHint : 0
; COMPUTE_PGM_RSRC2:SCRATCH_EN: 0
; COMPUTE_PGM_RSRC2:USER_SGPR: 2
; COMPUTE_PGM_RSRC2:TRAP_HANDLER: 0
; COMPUTE_PGM_RSRC2:TGID_X_EN: 1
; COMPUTE_PGM_RSRC2:TGID_Y_EN: 0
; COMPUTE_PGM_RSRC2:TGID_Z_EN: 0
; COMPUTE_PGM_RSRC2:TIDIG_COMP_CNT: 0
; COMPUTE_PGM_RSRC3_GFX90A:ACCUM_OFFSET: 0
; COMPUTE_PGM_RSRC3_GFX90A:TG_SPLIT: 0
	.section	.text._ZN7rocprim17ROCPRIM_400000_NS6detail17trampoline_kernelINS0_13kernel_configILj256ELj4ELj4294967295EEENS1_37radix_sort_block_sort_config_selectorIsNS0_10empty_typeEEEZNS1_21radix_sort_block_sortIS4_Lb0EN6thrust23THRUST_200600_302600_NS6detail15normal_iteratorINSA_10device_ptrIsEEEESF_PS6_SG_NS0_19identity_decomposerEEE10hipError_tT1_T2_T3_T4_jRjT5_jjP12ihipStream_tbEUlT_E_NS1_11comp_targetILNS1_3genE3ELNS1_11target_archE908ELNS1_3gpuE7ELNS1_3repE0EEENS1_44radix_sort_block_sort_config_static_selectorELNS0_4arch9wavefront6targetE1EEEvSJ_,"axG",@progbits,_ZN7rocprim17ROCPRIM_400000_NS6detail17trampoline_kernelINS0_13kernel_configILj256ELj4ELj4294967295EEENS1_37radix_sort_block_sort_config_selectorIsNS0_10empty_typeEEEZNS1_21radix_sort_block_sortIS4_Lb0EN6thrust23THRUST_200600_302600_NS6detail15normal_iteratorINSA_10device_ptrIsEEEESF_PS6_SG_NS0_19identity_decomposerEEE10hipError_tT1_T2_T3_T4_jRjT5_jjP12ihipStream_tbEUlT_E_NS1_11comp_targetILNS1_3genE3ELNS1_11target_archE908ELNS1_3gpuE7ELNS1_3repE0EEENS1_44radix_sort_block_sort_config_static_selectorELNS0_4arch9wavefront6targetE1EEEvSJ_,comdat
	.protected	_ZN7rocprim17ROCPRIM_400000_NS6detail17trampoline_kernelINS0_13kernel_configILj256ELj4ELj4294967295EEENS1_37radix_sort_block_sort_config_selectorIsNS0_10empty_typeEEEZNS1_21radix_sort_block_sortIS4_Lb0EN6thrust23THRUST_200600_302600_NS6detail15normal_iteratorINSA_10device_ptrIsEEEESF_PS6_SG_NS0_19identity_decomposerEEE10hipError_tT1_T2_T3_T4_jRjT5_jjP12ihipStream_tbEUlT_E_NS1_11comp_targetILNS1_3genE3ELNS1_11target_archE908ELNS1_3gpuE7ELNS1_3repE0EEENS1_44radix_sort_block_sort_config_static_selectorELNS0_4arch9wavefront6targetE1EEEvSJ_ ; -- Begin function _ZN7rocprim17ROCPRIM_400000_NS6detail17trampoline_kernelINS0_13kernel_configILj256ELj4ELj4294967295EEENS1_37radix_sort_block_sort_config_selectorIsNS0_10empty_typeEEEZNS1_21radix_sort_block_sortIS4_Lb0EN6thrust23THRUST_200600_302600_NS6detail15normal_iteratorINSA_10device_ptrIsEEEESF_PS6_SG_NS0_19identity_decomposerEEE10hipError_tT1_T2_T3_T4_jRjT5_jjP12ihipStream_tbEUlT_E_NS1_11comp_targetILNS1_3genE3ELNS1_11target_archE908ELNS1_3gpuE7ELNS1_3repE0EEENS1_44radix_sort_block_sort_config_static_selectorELNS0_4arch9wavefront6targetE1EEEvSJ_
	.globl	_ZN7rocprim17ROCPRIM_400000_NS6detail17trampoline_kernelINS0_13kernel_configILj256ELj4ELj4294967295EEENS1_37radix_sort_block_sort_config_selectorIsNS0_10empty_typeEEEZNS1_21radix_sort_block_sortIS4_Lb0EN6thrust23THRUST_200600_302600_NS6detail15normal_iteratorINSA_10device_ptrIsEEEESF_PS6_SG_NS0_19identity_decomposerEEE10hipError_tT1_T2_T3_T4_jRjT5_jjP12ihipStream_tbEUlT_E_NS1_11comp_targetILNS1_3genE3ELNS1_11target_archE908ELNS1_3gpuE7ELNS1_3repE0EEENS1_44radix_sort_block_sort_config_static_selectorELNS0_4arch9wavefront6targetE1EEEvSJ_
	.p2align	8
	.type	_ZN7rocprim17ROCPRIM_400000_NS6detail17trampoline_kernelINS0_13kernel_configILj256ELj4ELj4294967295EEENS1_37radix_sort_block_sort_config_selectorIsNS0_10empty_typeEEEZNS1_21radix_sort_block_sortIS4_Lb0EN6thrust23THRUST_200600_302600_NS6detail15normal_iteratorINSA_10device_ptrIsEEEESF_PS6_SG_NS0_19identity_decomposerEEE10hipError_tT1_T2_T3_T4_jRjT5_jjP12ihipStream_tbEUlT_E_NS1_11comp_targetILNS1_3genE3ELNS1_11target_archE908ELNS1_3gpuE7ELNS1_3repE0EEENS1_44radix_sort_block_sort_config_static_selectorELNS0_4arch9wavefront6targetE1EEEvSJ_,@function
_ZN7rocprim17ROCPRIM_400000_NS6detail17trampoline_kernelINS0_13kernel_configILj256ELj4ELj4294967295EEENS1_37radix_sort_block_sort_config_selectorIsNS0_10empty_typeEEEZNS1_21radix_sort_block_sortIS4_Lb0EN6thrust23THRUST_200600_302600_NS6detail15normal_iteratorINSA_10device_ptrIsEEEESF_PS6_SG_NS0_19identity_decomposerEEE10hipError_tT1_T2_T3_T4_jRjT5_jjP12ihipStream_tbEUlT_E_NS1_11comp_targetILNS1_3genE3ELNS1_11target_archE908ELNS1_3gpuE7ELNS1_3repE0EEENS1_44radix_sort_block_sort_config_static_selectorELNS0_4arch9wavefront6targetE1EEEvSJ_: ; @_ZN7rocprim17ROCPRIM_400000_NS6detail17trampoline_kernelINS0_13kernel_configILj256ELj4ELj4294967295EEENS1_37radix_sort_block_sort_config_selectorIsNS0_10empty_typeEEEZNS1_21radix_sort_block_sortIS4_Lb0EN6thrust23THRUST_200600_302600_NS6detail15normal_iteratorINSA_10device_ptrIsEEEESF_PS6_SG_NS0_19identity_decomposerEEE10hipError_tT1_T2_T3_T4_jRjT5_jjP12ihipStream_tbEUlT_E_NS1_11comp_targetILNS1_3genE3ELNS1_11target_archE908ELNS1_3gpuE7ELNS1_3repE0EEENS1_44radix_sort_block_sort_config_static_selectorELNS0_4arch9wavefront6targetE1EEEvSJ_
; %bb.0:
	.section	.rodata,"a",@progbits
	.p2align	6, 0x0
	.amdhsa_kernel _ZN7rocprim17ROCPRIM_400000_NS6detail17trampoline_kernelINS0_13kernel_configILj256ELj4ELj4294967295EEENS1_37radix_sort_block_sort_config_selectorIsNS0_10empty_typeEEEZNS1_21radix_sort_block_sortIS4_Lb0EN6thrust23THRUST_200600_302600_NS6detail15normal_iteratorINSA_10device_ptrIsEEEESF_PS6_SG_NS0_19identity_decomposerEEE10hipError_tT1_T2_T3_T4_jRjT5_jjP12ihipStream_tbEUlT_E_NS1_11comp_targetILNS1_3genE3ELNS1_11target_archE908ELNS1_3gpuE7ELNS1_3repE0EEENS1_44radix_sort_block_sort_config_static_selectorELNS0_4arch9wavefront6targetE1EEEvSJ_
		.amdhsa_group_segment_fixed_size 0
		.amdhsa_private_segment_fixed_size 0
		.amdhsa_kernarg_size 48
		.amdhsa_user_sgpr_count 2
		.amdhsa_user_sgpr_dispatch_ptr 0
		.amdhsa_user_sgpr_queue_ptr 0
		.amdhsa_user_sgpr_kernarg_segment_ptr 1
		.amdhsa_user_sgpr_dispatch_id 0
		.amdhsa_user_sgpr_kernarg_preload_length 0
		.amdhsa_user_sgpr_kernarg_preload_offset 0
		.amdhsa_user_sgpr_private_segment_size 0
		.amdhsa_uses_dynamic_stack 0
		.amdhsa_enable_private_segment 0
		.amdhsa_system_sgpr_workgroup_id_x 1
		.amdhsa_system_sgpr_workgroup_id_y 0
		.amdhsa_system_sgpr_workgroup_id_z 0
		.amdhsa_system_sgpr_workgroup_info 0
		.amdhsa_system_vgpr_workitem_id 0
		.amdhsa_next_free_vgpr 1
		.amdhsa_next_free_sgpr 0
		.amdhsa_accum_offset 4
		.amdhsa_reserve_vcc 0
		.amdhsa_float_round_mode_32 0
		.amdhsa_float_round_mode_16_64 0
		.amdhsa_float_denorm_mode_32 3
		.amdhsa_float_denorm_mode_16_64 3
		.amdhsa_dx10_clamp 1
		.amdhsa_ieee_mode 1
		.amdhsa_fp16_overflow 0
		.amdhsa_tg_split 0
		.amdhsa_exception_fp_ieee_invalid_op 0
		.amdhsa_exception_fp_denorm_src 0
		.amdhsa_exception_fp_ieee_div_zero 0
		.amdhsa_exception_fp_ieee_overflow 0
		.amdhsa_exception_fp_ieee_underflow 0
		.amdhsa_exception_fp_ieee_inexact 0
		.amdhsa_exception_int_div_zero 0
	.end_amdhsa_kernel
	.section	.text._ZN7rocprim17ROCPRIM_400000_NS6detail17trampoline_kernelINS0_13kernel_configILj256ELj4ELj4294967295EEENS1_37radix_sort_block_sort_config_selectorIsNS0_10empty_typeEEEZNS1_21radix_sort_block_sortIS4_Lb0EN6thrust23THRUST_200600_302600_NS6detail15normal_iteratorINSA_10device_ptrIsEEEESF_PS6_SG_NS0_19identity_decomposerEEE10hipError_tT1_T2_T3_T4_jRjT5_jjP12ihipStream_tbEUlT_E_NS1_11comp_targetILNS1_3genE3ELNS1_11target_archE908ELNS1_3gpuE7ELNS1_3repE0EEENS1_44radix_sort_block_sort_config_static_selectorELNS0_4arch9wavefront6targetE1EEEvSJ_,"axG",@progbits,_ZN7rocprim17ROCPRIM_400000_NS6detail17trampoline_kernelINS0_13kernel_configILj256ELj4ELj4294967295EEENS1_37radix_sort_block_sort_config_selectorIsNS0_10empty_typeEEEZNS1_21radix_sort_block_sortIS4_Lb0EN6thrust23THRUST_200600_302600_NS6detail15normal_iteratorINSA_10device_ptrIsEEEESF_PS6_SG_NS0_19identity_decomposerEEE10hipError_tT1_T2_T3_T4_jRjT5_jjP12ihipStream_tbEUlT_E_NS1_11comp_targetILNS1_3genE3ELNS1_11target_archE908ELNS1_3gpuE7ELNS1_3repE0EEENS1_44radix_sort_block_sort_config_static_selectorELNS0_4arch9wavefront6targetE1EEEvSJ_,comdat
.Lfunc_end1803:
	.size	_ZN7rocprim17ROCPRIM_400000_NS6detail17trampoline_kernelINS0_13kernel_configILj256ELj4ELj4294967295EEENS1_37radix_sort_block_sort_config_selectorIsNS0_10empty_typeEEEZNS1_21radix_sort_block_sortIS4_Lb0EN6thrust23THRUST_200600_302600_NS6detail15normal_iteratorINSA_10device_ptrIsEEEESF_PS6_SG_NS0_19identity_decomposerEEE10hipError_tT1_T2_T3_T4_jRjT5_jjP12ihipStream_tbEUlT_E_NS1_11comp_targetILNS1_3genE3ELNS1_11target_archE908ELNS1_3gpuE7ELNS1_3repE0EEENS1_44radix_sort_block_sort_config_static_selectorELNS0_4arch9wavefront6targetE1EEEvSJ_, .Lfunc_end1803-_ZN7rocprim17ROCPRIM_400000_NS6detail17trampoline_kernelINS0_13kernel_configILj256ELj4ELj4294967295EEENS1_37radix_sort_block_sort_config_selectorIsNS0_10empty_typeEEEZNS1_21radix_sort_block_sortIS4_Lb0EN6thrust23THRUST_200600_302600_NS6detail15normal_iteratorINSA_10device_ptrIsEEEESF_PS6_SG_NS0_19identity_decomposerEEE10hipError_tT1_T2_T3_T4_jRjT5_jjP12ihipStream_tbEUlT_E_NS1_11comp_targetILNS1_3genE3ELNS1_11target_archE908ELNS1_3gpuE7ELNS1_3repE0EEENS1_44radix_sort_block_sort_config_static_selectorELNS0_4arch9wavefront6targetE1EEEvSJ_
                                        ; -- End function
	.section	.AMDGPU.csdata,"",@progbits
; Kernel info:
; codeLenInByte = 0
; NumSgprs: 6
; NumVgprs: 0
; NumAgprs: 0
; TotalNumVgprs: 0
; ScratchSize: 0
; MemoryBound: 0
; FloatMode: 240
; IeeeMode: 1
; LDSByteSize: 0 bytes/workgroup (compile time only)
; SGPRBlocks: 0
; VGPRBlocks: 0
; NumSGPRsForWavesPerEU: 6
; NumVGPRsForWavesPerEU: 1
; AccumOffset: 4
; Occupancy: 8
; WaveLimiterHint : 0
; COMPUTE_PGM_RSRC2:SCRATCH_EN: 0
; COMPUTE_PGM_RSRC2:USER_SGPR: 2
; COMPUTE_PGM_RSRC2:TRAP_HANDLER: 0
; COMPUTE_PGM_RSRC2:TGID_X_EN: 1
; COMPUTE_PGM_RSRC2:TGID_Y_EN: 0
; COMPUTE_PGM_RSRC2:TGID_Z_EN: 0
; COMPUTE_PGM_RSRC2:TIDIG_COMP_CNT: 0
; COMPUTE_PGM_RSRC3_GFX90A:ACCUM_OFFSET: 0
; COMPUTE_PGM_RSRC3_GFX90A:TG_SPLIT: 0
	.section	.text._ZN7rocprim17ROCPRIM_400000_NS6detail17trampoline_kernelINS0_13kernel_configILj256ELj4ELj4294967295EEENS1_37radix_sort_block_sort_config_selectorIsNS0_10empty_typeEEEZNS1_21radix_sort_block_sortIS4_Lb0EN6thrust23THRUST_200600_302600_NS6detail15normal_iteratorINSA_10device_ptrIsEEEESF_PS6_SG_NS0_19identity_decomposerEEE10hipError_tT1_T2_T3_T4_jRjT5_jjP12ihipStream_tbEUlT_E_NS1_11comp_targetILNS1_3genE2ELNS1_11target_archE906ELNS1_3gpuE6ELNS1_3repE0EEENS1_44radix_sort_block_sort_config_static_selectorELNS0_4arch9wavefront6targetE1EEEvSJ_,"axG",@progbits,_ZN7rocprim17ROCPRIM_400000_NS6detail17trampoline_kernelINS0_13kernel_configILj256ELj4ELj4294967295EEENS1_37radix_sort_block_sort_config_selectorIsNS0_10empty_typeEEEZNS1_21radix_sort_block_sortIS4_Lb0EN6thrust23THRUST_200600_302600_NS6detail15normal_iteratorINSA_10device_ptrIsEEEESF_PS6_SG_NS0_19identity_decomposerEEE10hipError_tT1_T2_T3_T4_jRjT5_jjP12ihipStream_tbEUlT_E_NS1_11comp_targetILNS1_3genE2ELNS1_11target_archE906ELNS1_3gpuE6ELNS1_3repE0EEENS1_44radix_sort_block_sort_config_static_selectorELNS0_4arch9wavefront6targetE1EEEvSJ_,comdat
	.protected	_ZN7rocprim17ROCPRIM_400000_NS6detail17trampoline_kernelINS0_13kernel_configILj256ELj4ELj4294967295EEENS1_37radix_sort_block_sort_config_selectorIsNS0_10empty_typeEEEZNS1_21radix_sort_block_sortIS4_Lb0EN6thrust23THRUST_200600_302600_NS6detail15normal_iteratorINSA_10device_ptrIsEEEESF_PS6_SG_NS0_19identity_decomposerEEE10hipError_tT1_T2_T3_T4_jRjT5_jjP12ihipStream_tbEUlT_E_NS1_11comp_targetILNS1_3genE2ELNS1_11target_archE906ELNS1_3gpuE6ELNS1_3repE0EEENS1_44radix_sort_block_sort_config_static_selectorELNS0_4arch9wavefront6targetE1EEEvSJ_ ; -- Begin function _ZN7rocprim17ROCPRIM_400000_NS6detail17trampoline_kernelINS0_13kernel_configILj256ELj4ELj4294967295EEENS1_37radix_sort_block_sort_config_selectorIsNS0_10empty_typeEEEZNS1_21radix_sort_block_sortIS4_Lb0EN6thrust23THRUST_200600_302600_NS6detail15normal_iteratorINSA_10device_ptrIsEEEESF_PS6_SG_NS0_19identity_decomposerEEE10hipError_tT1_T2_T3_T4_jRjT5_jjP12ihipStream_tbEUlT_E_NS1_11comp_targetILNS1_3genE2ELNS1_11target_archE906ELNS1_3gpuE6ELNS1_3repE0EEENS1_44radix_sort_block_sort_config_static_selectorELNS0_4arch9wavefront6targetE1EEEvSJ_
	.globl	_ZN7rocprim17ROCPRIM_400000_NS6detail17trampoline_kernelINS0_13kernel_configILj256ELj4ELj4294967295EEENS1_37radix_sort_block_sort_config_selectorIsNS0_10empty_typeEEEZNS1_21radix_sort_block_sortIS4_Lb0EN6thrust23THRUST_200600_302600_NS6detail15normal_iteratorINSA_10device_ptrIsEEEESF_PS6_SG_NS0_19identity_decomposerEEE10hipError_tT1_T2_T3_T4_jRjT5_jjP12ihipStream_tbEUlT_E_NS1_11comp_targetILNS1_3genE2ELNS1_11target_archE906ELNS1_3gpuE6ELNS1_3repE0EEENS1_44radix_sort_block_sort_config_static_selectorELNS0_4arch9wavefront6targetE1EEEvSJ_
	.p2align	8
	.type	_ZN7rocprim17ROCPRIM_400000_NS6detail17trampoline_kernelINS0_13kernel_configILj256ELj4ELj4294967295EEENS1_37radix_sort_block_sort_config_selectorIsNS0_10empty_typeEEEZNS1_21radix_sort_block_sortIS4_Lb0EN6thrust23THRUST_200600_302600_NS6detail15normal_iteratorINSA_10device_ptrIsEEEESF_PS6_SG_NS0_19identity_decomposerEEE10hipError_tT1_T2_T3_T4_jRjT5_jjP12ihipStream_tbEUlT_E_NS1_11comp_targetILNS1_3genE2ELNS1_11target_archE906ELNS1_3gpuE6ELNS1_3repE0EEENS1_44radix_sort_block_sort_config_static_selectorELNS0_4arch9wavefront6targetE1EEEvSJ_,@function
_ZN7rocprim17ROCPRIM_400000_NS6detail17trampoline_kernelINS0_13kernel_configILj256ELj4ELj4294967295EEENS1_37radix_sort_block_sort_config_selectorIsNS0_10empty_typeEEEZNS1_21radix_sort_block_sortIS4_Lb0EN6thrust23THRUST_200600_302600_NS6detail15normal_iteratorINSA_10device_ptrIsEEEESF_PS6_SG_NS0_19identity_decomposerEEE10hipError_tT1_T2_T3_T4_jRjT5_jjP12ihipStream_tbEUlT_E_NS1_11comp_targetILNS1_3genE2ELNS1_11target_archE906ELNS1_3gpuE6ELNS1_3repE0EEENS1_44radix_sort_block_sort_config_static_selectorELNS0_4arch9wavefront6targetE1EEEvSJ_: ; @_ZN7rocprim17ROCPRIM_400000_NS6detail17trampoline_kernelINS0_13kernel_configILj256ELj4ELj4294967295EEENS1_37radix_sort_block_sort_config_selectorIsNS0_10empty_typeEEEZNS1_21radix_sort_block_sortIS4_Lb0EN6thrust23THRUST_200600_302600_NS6detail15normal_iteratorINSA_10device_ptrIsEEEESF_PS6_SG_NS0_19identity_decomposerEEE10hipError_tT1_T2_T3_T4_jRjT5_jjP12ihipStream_tbEUlT_E_NS1_11comp_targetILNS1_3genE2ELNS1_11target_archE906ELNS1_3gpuE6ELNS1_3repE0EEENS1_44radix_sort_block_sort_config_static_selectorELNS0_4arch9wavefront6targetE1EEEvSJ_
; %bb.0:
	.section	.rodata,"a",@progbits
	.p2align	6, 0x0
	.amdhsa_kernel _ZN7rocprim17ROCPRIM_400000_NS6detail17trampoline_kernelINS0_13kernel_configILj256ELj4ELj4294967295EEENS1_37radix_sort_block_sort_config_selectorIsNS0_10empty_typeEEEZNS1_21radix_sort_block_sortIS4_Lb0EN6thrust23THRUST_200600_302600_NS6detail15normal_iteratorINSA_10device_ptrIsEEEESF_PS6_SG_NS0_19identity_decomposerEEE10hipError_tT1_T2_T3_T4_jRjT5_jjP12ihipStream_tbEUlT_E_NS1_11comp_targetILNS1_3genE2ELNS1_11target_archE906ELNS1_3gpuE6ELNS1_3repE0EEENS1_44radix_sort_block_sort_config_static_selectorELNS0_4arch9wavefront6targetE1EEEvSJ_
		.amdhsa_group_segment_fixed_size 0
		.amdhsa_private_segment_fixed_size 0
		.amdhsa_kernarg_size 48
		.amdhsa_user_sgpr_count 2
		.amdhsa_user_sgpr_dispatch_ptr 0
		.amdhsa_user_sgpr_queue_ptr 0
		.amdhsa_user_sgpr_kernarg_segment_ptr 1
		.amdhsa_user_sgpr_dispatch_id 0
		.amdhsa_user_sgpr_kernarg_preload_length 0
		.amdhsa_user_sgpr_kernarg_preload_offset 0
		.amdhsa_user_sgpr_private_segment_size 0
		.amdhsa_uses_dynamic_stack 0
		.amdhsa_enable_private_segment 0
		.amdhsa_system_sgpr_workgroup_id_x 1
		.amdhsa_system_sgpr_workgroup_id_y 0
		.amdhsa_system_sgpr_workgroup_id_z 0
		.amdhsa_system_sgpr_workgroup_info 0
		.amdhsa_system_vgpr_workitem_id 0
		.amdhsa_next_free_vgpr 1
		.amdhsa_next_free_sgpr 0
		.amdhsa_accum_offset 4
		.amdhsa_reserve_vcc 0
		.amdhsa_float_round_mode_32 0
		.amdhsa_float_round_mode_16_64 0
		.amdhsa_float_denorm_mode_32 3
		.amdhsa_float_denorm_mode_16_64 3
		.amdhsa_dx10_clamp 1
		.amdhsa_ieee_mode 1
		.amdhsa_fp16_overflow 0
		.amdhsa_tg_split 0
		.amdhsa_exception_fp_ieee_invalid_op 0
		.amdhsa_exception_fp_denorm_src 0
		.amdhsa_exception_fp_ieee_div_zero 0
		.amdhsa_exception_fp_ieee_overflow 0
		.amdhsa_exception_fp_ieee_underflow 0
		.amdhsa_exception_fp_ieee_inexact 0
		.amdhsa_exception_int_div_zero 0
	.end_amdhsa_kernel
	.section	.text._ZN7rocprim17ROCPRIM_400000_NS6detail17trampoline_kernelINS0_13kernel_configILj256ELj4ELj4294967295EEENS1_37radix_sort_block_sort_config_selectorIsNS0_10empty_typeEEEZNS1_21radix_sort_block_sortIS4_Lb0EN6thrust23THRUST_200600_302600_NS6detail15normal_iteratorINSA_10device_ptrIsEEEESF_PS6_SG_NS0_19identity_decomposerEEE10hipError_tT1_T2_T3_T4_jRjT5_jjP12ihipStream_tbEUlT_E_NS1_11comp_targetILNS1_3genE2ELNS1_11target_archE906ELNS1_3gpuE6ELNS1_3repE0EEENS1_44radix_sort_block_sort_config_static_selectorELNS0_4arch9wavefront6targetE1EEEvSJ_,"axG",@progbits,_ZN7rocprim17ROCPRIM_400000_NS6detail17trampoline_kernelINS0_13kernel_configILj256ELj4ELj4294967295EEENS1_37radix_sort_block_sort_config_selectorIsNS0_10empty_typeEEEZNS1_21radix_sort_block_sortIS4_Lb0EN6thrust23THRUST_200600_302600_NS6detail15normal_iteratorINSA_10device_ptrIsEEEESF_PS6_SG_NS0_19identity_decomposerEEE10hipError_tT1_T2_T3_T4_jRjT5_jjP12ihipStream_tbEUlT_E_NS1_11comp_targetILNS1_3genE2ELNS1_11target_archE906ELNS1_3gpuE6ELNS1_3repE0EEENS1_44radix_sort_block_sort_config_static_selectorELNS0_4arch9wavefront6targetE1EEEvSJ_,comdat
.Lfunc_end1804:
	.size	_ZN7rocprim17ROCPRIM_400000_NS6detail17trampoline_kernelINS0_13kernel_configILj256ELj4ELj4294967295EEENS1_37radix_sort_block_sort_config_selectorIsNS0_10empty_typeEEEZNS1_21radix_sort_block_sortIS4_Lb0EN6thrust23THRUST_200600_302600_NS6detail15normal_iteratorINSA_10device_ptrIsEEEESF_PS6_SG_NS0_19identity_decomposerEEE10hipError_tT1_T2_T3_T4_jRjT5_jjP12ihipStream_tbEUlT_E_NS1_11comp_targetILNS1_3genE2ELNS1_11target_archE906ELNS1_3gpuE6ELNS1_3repE0EEENS1_44radix_sort_block_sort_config_static_selectorELNS0_4arch9wavefront6targetE1EEEvSJ_, .Lfunc_end1804-_ZN7rocprim17ROCPRIM_400000_NS6detail17trampoline_kernelINS0_13kernel_configILj256ELj4ELj4294967295EEENS1_37radix_sort_block_sort_config_selectorIsNS0_10empty_typeEEEZNS1_21radix_sort_block_sortIS4_Lb0EN6thrust23THRUST_200600_302600_NS6detail15normal_iteratorINSA_10device_ptrIsEEEESF_PS6_SG_NS0_19identity_decomposerEEE10hipError_tT1_T2_T3_T4_jRjT5_jjP12ihipStream_tbEUlT_E_NS1_11comp_targetILNS1_3genE2ELNS1_11target_archE906ELNS1_3gpuE6ELNS1_3repE0EEENS1_44radix_sort_block_sort_config_static_selectorELNS0_4arch9wavefront6targetE1EEEvSJ_
                                        ; -- End function
	.section	.AMDGPU.csdata,"",@progbits
; Kernel info:
; codeLenInByte = 0
; NumSgprs: 6
; NumVgprs: 0
; NumAgprs: 0
; TotalNumVgprs: 0
; ScratchSize: 0
; MemoryBound: 0
; FloatMode: 240
; IeeeMode: 1
; LDSByteSize: 0 bytes/workgroup (compile time only)
; SGPRBlocks: 0
; VGPRBlocks: 0
; NumSGPRsForWavesPerEU: 6
; NumVGPRsForWavesPerEU: 1
; AccumOffset: 4
; Occupancy: 8
; WaveLimiterHint : 0
; COMPUTE_PGM_RSRC2:SCRATCH_EN: 0
; COMPUTE_PGM_RSRC2:USER_SGPR: 2
; COMPUTE_PGM_RSRC2:TRAP_HANDLER: 0
; COMPUTE_PGM_RSRC2:TGID_X_EN: 1
; COMPUTE_PGM_RSRC2:TGID_Y_EN: 0
; COMPUTE_PGM_RSRC2:TGID_Z_EN: 0
; COMPUTE_PGM_RSRC2:TIDIG_COMP_CNT: 0
; COMPUTE_PGM_RSRC3_GFX90A:ACCUM_OFFSET: 0
; COMPUTE_PGM_RSRC3_GFX90A:TG_SPLIT: 0
	.section	.text._ZN7rocprim17ROCPRIM_400000_NS6detail17trampoline_kernelINS0_13kernel_configILj256ELj4ELj4294967295EEENS1_37radix_sort_block_sort_config_selectorIsNS0_10empty_typeEEEZNS1_21radix_sort_block_sortIS4_Lb0EN6thrust23THRUST_200600_302600_NS6detail15normal_iteratorINSA_10device_ptrIsEEEESF_PS6_SG_NS0_19identity_decomposerEEE10hipError_tT1_T2_T3_T4_jRjT5_jjP12ihipStream_tbEUlT_E_NS1_11comp_targetILNS1_3genE10ELNS1_11target_archE1201ELNS1_3gpuE5ELNS1_3repE0EEENS1_44radix_sort_block_sort_config_static_selectorELNS0_4arch9wavefront6targetE1EEEvSJ_,"axG",@progbits,_ZN7rocprim17ROCPRIM_400000_NS6detail17trampoline_kernelINS0_13kernel_configILj256ELj4ELj4294967295EEENS1_37radix_sort_block_sort_config_selectorIsNS0_10empty_typeEEEZNS1_21radix_sort_block_sortIS4_Lb0EN6thrust23THRUST_200600_302600_NS6detail15normal_iteratorINSA_10device_ptrIsEEEESF_PS6_SG_NS0_19identity_decomposerEEE10hipError_tT1_T2_T3_T4_jRjT5_jjP12ihipStream_tbEUlT_E_NS1_11comp_targetILNS1_3genE10ELNS1_11target_archE1201ELNS1_3gpuE5ELNS1_3repE0EEENS1_44radix_sort_block_sort_config_static_selectorELNS0_4arch9wavefront6targetE1EEEvSJ_,comdat
	.protected	_ZN7rocprim17ROCPRIM_400000_NS6detail17trampoline_kernelINS0_13kernel_configILj256ELj4ELj4294967295EEENS1_37radix_sort_block_sort_config_selectorIsNS0_10empty_typeEEEZNS1_21radix_sort_block_sortIS4_Lb0EN6thrust23THRUST_200600_302600_NS6detail15normal_iteratorINSA_10device_ptrIsEEEESF_PS6_SG_NS0_19identity_decomposerEEE10hipError_tT1_T2_T3_T4_jRjT5_jjP12ihipStream_tbEUlT_E_NS1_11comp_targetILNS1_3genE10ELNS1_11target_archE1201ELNS1_3gpuE5ELNS1_3repE0EEENS1_44radix_sort_block_sort_config_static_selectorELNS0_4arch9wavefront6targetE1EEEvSJ_ ; -- Begin function _ZN7rocprim17ROCPRIM_400000_NS6detail17trampoline_kernelINS0_13kernel_configILj256ELj4ELj4294967295EEENS1_37radix_sort_block_sort_config_selectorIsNS0_10empty_typeEEEZNS1_21radix_sort_block_sortIS4_Lb0EN6thrust23THRUST_200600_302600_NS6detail15normal_iteratorINSA_10device_ptrIsEEEESF_PS6_SG_NS0_19identity_decomposerEEE10hipError_tT1_T2_T3_T4_jRjT5_jjP12ihipStream_tbEUlT_E_NS1_11comp_targetILNS1_3genE10ELNS1_11target_archE1201ELNS1_3gpuE5ELNS1_3repE0EEENS1_44radix_sort_block_sort_config_static_selectorELNS0_4arch9wavefront6targetE1EEEvSJ_
	.globl	_ZN7rocprim17ROCPRIM_400000_NS6detail17trampoline_kernelINS0_13kernel_configILj256ELj4ELj4294967295EEENS1_37radix_sort_block_sort_config_selectorIsNS0_10empty_typeEEEZNS1_21radix_sort_block_sortIS4_Lb0EN6thrust23THRUST_200600_302600_NS6detail15normal_iteratorINSA_10device_ptrIsEEEESF_PS6_SG_NS0_19identity_decomposerEEE10hipError_tT1_T2_T3_T4_jRjT5_jjP12ihipStream_tbEUlT_E_NS1_11comp_targetILNS1_3genE10ELNS1_11target_archE1201ELNS1_3gpuE5ELNS1_3repE0EEENS1_44radix_sort_block_sort_config_static_selectorELNS0_4arch9wavefront6targetE1EEEvSJ_
	.p2align	8
	.type	_ZN7rocprim17ROCPRIM_400000_NS6detail17trampoline_kernelINS0_13kernel_configILj256ELj4ELj4294967295EEENS1_37radix_sort_block_sort_config_selectorIsNS0_10empty_typeEEEZNS1_21radix_sort_block_sortIS4_Lb0EN6thrust23THRUST_200600_302600_NS6detail15normal_iteratorINSA_10device_ptrIsEEEESF_PS6_SG_NS0_19identity_decomposerEEE10hipError_tT1_T2_T3_T4_jRjT5_jjP12ihipStream_tbEUlT_E_NS1_11comp_targetILNS1_3genE10ELNS1_11target_archE1201ELNS1_3gpuE5ELNS1_3repE0EEENS1_44radix_sort_block_sort_config_static_selectorELNS0_4arch9wavefront6targetE1EEEvSJ_,@function
_ZN7rocprim17ROCPRIM_400000_NS6detail17trampoline_kernelINS0_13kernel_configILj256ELj4ELj4294967295EEENS1_37radix_sort_block_sort_config_selectorIsNS0_10empty_typeEEEZNS1_21radix_sort_block_sortIS4_Lb0EN6thrust23THRUST_200600_302600_NS6detail15normal_iteratorINSA_10device_ptrIsEEEESF_PS6_SG_NS0_19identity_decomposerEEE10hipError_tT1_T2_T3_T4_jRjT5_jjP12ihipStream_tbEUlT_E_NS1_11comp_targetILNS1_3genE10ELNS1_11target_archE1201ELNS1_3gpuE5ELNS1_3repE0EEENS1_44radix_sort_block_sort_config_static_selectorELNS0_4arch9wavefront6targetE1EEEvSJ_: ; @_ZN7rocprim17ROCPRIM_400000_NS6detail17trampoline_kernelINS0_13kernel_configILj256ELj4ELj4294967295EEENS1_37radix_sort_block_sort_config_selectorIsNS0_10empty_typeEEEZNS1_21radix_sort_block_sortIS4_Lb0EN6thrust23THRUST_200600_302600_NS6detail15normal_iteratorINSA_10device_ptrIsEEEESF_PS6_SG_NS0_19identity_decomposerEEE10hipError_tT1_T2_T3_T4_jRjT5_jjP12ihipStream_tbEUlT_E_NS1_11comp_targetILNS1_3genE10ELNS1_11target_archE1201ELNS1_3gpuE5ELNS1_3repE0EEENS1_44radix_sort_block_sort_config_static_selectorELNS0_4arch9wavefront6targetE1EEEvSJ_
; %bb.0:
	.section	.rodata,"a",@progbits
	.p2align	6, 0x0
	.amdhsa_kernel _ZN7rocprim17ROCPRIM_400000_NS6detail17trampoline_kernelINS0_13kernel_configILj256ELj4ELj4294967295EEENS1_37radix_sort_block_sort_config_selectorIsNS0_10empty_typeEEEZNS1_21radix_sort_block_sortIS4_Lb0EN6thrust23THRUST_200600_302600_NS6detail15normal_iteratorINSA_10device_ptrIsEEEESF_PS6_SG_NS0_19identity_decomposerEEE10hipError_tT1_T2_T3_T4_jRjT5_jjP12ihipStream_tbEUlT_E_NS1_11comp_targetILNS1_3genE10ELNS1_11target_archE1201ELNS1_3gpuE5ELNS1_3repE0EEENS1_44radix_sort_block_sort_config_static_selectorELNS0_4arch9wavefront6targetE1EEEvSJ_
		.amdhsa_group_segment_fixed_size 0
		.amdhsa_private_segment_fixed_size 0
		.amdhsa_kernarg_size 48
		.amdhsa_user_sgpr_count 2
		.amdhsa_user_sgpr_dispatch_ptr 0
		.amdhsa_user_sgpr_queue_ptr 0
		.amdhsa_user_sgpr_kernarg_segment_ptr 1
		.amdhsa_user_sgpr_dispatch_id 0
		.amdhsa_user_sgpr_kernarg_preload_length 0
		.amdhsa_user_sgpr_kernarg_preload_offset 0
		.amdhsa_user_sgpr_private_segment_size 0
		.amdhsa_uses_dynamic_stack 0
		.amdhsa_enable_private_segment 0
		.amdhsa_system_sgpr_workgroup_id_x 1
		.amdhsa_system_sgpr_workgroup_id_y 0
		.amdhsa_system_sgpr_workgroup_id_z 0
		.amdhsa_system_sgpr_workgroup_info 0
		.amdhsa_system_vgpr_workitem_id 0
		.amdhsa_next_free_vgpr 1
		.amdhsa_next_free_sgpr 0
		.amdhsa_accum_offset 4
		.amdhsa_reserve_vcc 0
		.amdhsa_float_round_mode_32 0
		.amdhsa_float_round_mode_16_64 0
		.amdhsa_float_denorm_mode_32 3
		.amdhsa_float_denorm_mode_16_64 3
		.amdhsa_dx10_clamp 1
		.amdhsa_ieee_mode 1
		.amdhsa_fp16_overflow 0
		.amdhsa_tg_split 0
		.amdhsa_exception_fp_ieee_invalid_op 0
		.amdhsa_exception_fp_denorm_src 0
		.amdhsa_exception_fp_ieee_div_zero 0
		.amdhsa_exception_fp_ieee_overflow 0
		.amdhsa_exception_fp_ieee_underflow 0
		.amdhsa_exception_fp_ieee_inexact 0
		.amdhsa_exception_int_div_zero 0
	.end_amdhsa_kernel
	.section	.text._ZN7rocprim17ROCPRIM_400000_NS6detail17trampoline_kernelINS0_13kernel_configILj256ELj4ELj4294967295EEENS1_37radix_sort_block_sort_config_selectorIsNS0_10empty_typeEEEZNS1_21radix_sort_block_sortIS4_Lb0EN6thrust23THRUST_200600_302600_NS6detail15normal_iteratorINSA_10device_ptrIsEEEESF_PS6_SG_NS0_19identity_decomposerEEE10hipError_tT1_T2_T3_T4_jRjT5_jjP12ihipStream_tbEUlT_E_NS1_11comp_targetILNS1_3genE10ELNS1_11target_archE1201ELNS1_3gpuE5ELNS1_3repE0EEENS1_44radix_sort_block_sort_config_static_selectorELNS0_4arch9wavefront6targetE1EEEvSJ_,"axG",@progbits,_ZN7rocprim17ROCPRIM_400000_NS6detail17trampoline_kernelINS0_13kernel_configILj256ELj4ELj4294967295EEENS1_37radix_sort_block_sort_config_selectorIsNS0_10empty_typeEEEZNS1_21radix_sort_block_sortIS4_Lb0EN6thrust23THRUST_200600_302600_NS6detail15normal_iteratorINSA_10device_ptrIsEEEESF_PS6_SG_NS0_19identity_decomposerEEE10hipError_tT1_T2_T3_T4_jRjT5_jjP12ihipStream_tbEUlT_E_NS1_11comp_targetILNS1_3genE10ELNS1_11target_archE1201ELNS1_3gpuE5ELNS1_3repE0EEENS1_44radix_sort_block_sort_config_static_selectorELNS0_4arch9wavefront6targetE1EEEvSJ_,comdat
.Lfunc_end1805:
	.size	_ZN7rocprim17ROCPRIM_400000_NS6detail17trampoline_kernelINS0_13kernel_configILj256ELj4ELj4294967295EEENS1_37radix_sort_block_sort_config_selectorIsNS0_10empty_typeEEEZNS1_21radix_sort_block_sortIS4_Lb0EN6thrust23THRUST_200600_302600_NS6detail15normal_iteratorINSA_10device_ptrIsEEEESF_PS6_SG_NS0_19identity_decomposerEEE10hipError_tT1_T2_T3_T4_jRjT5_jjP12ihipStream_tbEUlT_E_NS1_11comp_targetILNS1_3genE10ELNS1_11target_archE1201ELNS1_3gpuE5ELNS1_3repE0EEENS1_44radix_sort_block_sort_config_static_selectorELNS0_4arch9wavefront6targetE1EEEvSJ_, .Lfunc_end1805-_ZN7rocprim17ROCPRIM_400000_NS6detail17trampoline_kernelINS0_13kernel_configILj256ELj4ELj4294967295EEENS1_37radix_sort_block_sort_config_selectorIsNS0_10empty_typeEEEZNS1_21radix_sort_block_sortIS4_Lb0EN6thrust23THRUST_200600_302600_NS6detail15normal_iteratorINSA_10device_ptrIsEEEESF_PS6_SG_NS0_19identity_decomposerEEE10hipError_tT1_T2_T3_T4_jRjT5_jjP12ihipStream_tbEUlT_E_NS1_11comp_targetILNS1_3genE10ELNS1_11target_archE1201ELNS1_3gpuE5ELNS1_3repE0EEENS1_44radix_sort_block_sort_config_static_selectorELNS0_4arch9wavefront6targetE1EEEvSJ_
                                        ; -- End function
	.section	.AMDGPU.csdata,"",@progbits
; Kernel info:
; codeLenInByte = 0
; NumSgprs: 6
; NumVgprs: 0
; NumAgprs: 0
; TotalNumVgprs: 0
; ScratchSize: 0
; MemoryBound: 0
; FloatMode: 240
; IeeeMode: 1
; LDSByteSize: 0 bytes/workgroup (compile time only)
; SGPRBlocks: 0
; VGPRBlocks: 0
; NumSGPRsForWavesPerEU: 6
; NumVGPRsForWavesPerEU: 1
; AccumOffset: 4
; Occupancy: 8
; WaveLimiterHint : 0
; COMPUTE_PGM_RSRC2:SCRATCH_EN: 0
; COMPUTE_PGM_RSRC2:USER_SGPR: 2
; COMPUTE_PGM_RSRC2:TRAP_HANDLER: 0
; COMPUTE_PGM_RSRC2:TGID_X_EN: 1
; COMPUTE_PGM_RSRC2:TGID_Y_EN: 0
; COMPUTE_PGM_RSRC2:TGID_Z_EN: 0
; COMPUTE_PGM_RSRC2:TIDIG_COMP_CNT: 0
; COMPUTE_PGM_RSRC3_GFX90A:ACCUM_OFFSET: 0
; COMPUTE_PGM_RSRC3_GFX90A:TG_SPLIT: 0
	.section	.text._ZN7rocprim17ROCPRIM_400000_NS6detail17trampoline_kernelINS0_13kernel_configILj256ELj4ELj4294967295EEENS1_37radix_sort_block_sort_config_selectorIsNS0_10empty_typeEEEZNS1_21radix_sort_block_sortIS4_Lb0EN6thrust23THRUST_200600_302600_NS6detail15normal_iteratorINSA_10device_ptrIsEEEESF_PS6_SG_NS0_19identity_decomposerEEE10hipError_tT1_T2_T3_T4_jRjT5_jjP12ihipStream_tbEUlT_E_NS1_11comp_targetILNS1_3genE10ELNS1_11target_archE1200ELNS1_3gpuE4ELNS1_3repE0EEENS1_44radix_sort_block_sort_config_static_selectorELNS0_4arch9wavefront6targetE1EEEvSJ_,"axG",@progbits,_ZN7rocprim17ROCPRIM_400000_NS6detail17trampoline_kernelINS0_13kernel_configILj256ELj4ELj4294967295EEENS1_37radix_sort_block_sort_config_selectorIsNS0_10empty_typeEEEZNS1_21radix_sort_block_sortIS4_Lb0EN6thrust23THRUST_200600_302600_NS6detail15normal_iteratorINSA_10device_ptrIsEEEESF_PS6_SG_NS0_19identity_decomposerEEE10hipError_tT1_T2_T3_T4_jRjT5_jjP12ihipStream_tbEUlT_E_NS1_11comp_targetILNS1_3genE10ELNS1_11target_archE1200ELNS1_3gpuE4ELNS1_3repE0EEENS1_44radix_sort_block_sort_config_static_selectorELNS0_4arch9wavefront6targetE1EEEvSJ_,comdat
	.protected	_ZN7rocprim17ROCPRIM_400000_NS6detail17trampoline_kernelINS0_13kernel_configILj256ELj4ELj4294967295EEENS1_37radix_sort_block_sort_config_selectorIsNS0_10empty_typeEEEZNS1_21radix_sort_block_sortIS4_Lb0EN6thrust23THRUST_200600_302600_NS6detail15normal_iteratorINSA_10device_ptrIsEEEESF_PS6_SG_NS0_19identity_decomposerEEE10hipError_tT1_T2_T3_T4_jRjT5_jjP12ihipStream_tbEUlT_E_NS1_11comp_targetILNS1_3genE10ELNS1_11target_archE1200ELNS1_3gpuE4ELNS1_3repE0EEENS1_44radix_sort_block_sort_config_static_selectorELNS0_4arch9wavefront6targetE1EEEvSJ_ ; -- Begin function _ZN7rocprim17ROCPRIM_400000_NS6detail17trampoline_kernelINS0_13kernel_configILj256ELj4ELj4294967295EEENS1_37radix_sort_block_sort_config_selectorIsNS0_10empty_typeEEEZNS1_21radix_sort_block_sortIS4_Lb0EN6thrust23THRUST_200600_302600_NS6detail15normal_iteratorINSA_10device_ptrIsEEEESF_PS6_SG_NS0_19identity_decomposerEEE10hipError_tT1_T2_T3_T4_jRjT5_jjP12ihipStream_tbEUlT_E_NS1_11comp_targetILNS1_3genE10ELNS1_11target_archE1200ELNS1_3gpuE4ELNS1_3repE0EEENS1_44radix_sort_block_sort_config_static_selectorELNS0_4arch9wavefront6targetE1EEEvSJ_
	.globl	_ZN7rocprim17ROCPRIM_400000_NS6detail17trampoline_kernelINS0_13kernel_configILj256ELj4ELj4294967295EEENS1_37radix_sort_block_sort_config_selectorIsNS0_10empty_typeEEEZNS1_21radix_sort_block_sortIS4_Lb0EN6thrust23THRUST_200600_302600_NS6detail15normal_iteratorINSA_10device_ptrIsEEEESF_PS6_SG_NS0_19identity_decomposerEEE10hipError_tT1_T2_T3_T4_jRjT5_jjP12ihipStream_tbEUlT_E_NS1_11comp_targetILNS1_3genE10ELNS1_11target_archE1200ELNS1_3gpuE4ELNS1_3repE0EEENS1_44radix_sort_block_sort_config_static_selectorELNS0_4arch9wavefront6targetE1EEEvSJ_
	.p2align	8
	.type	_ZN7rocprim17ROCPRIM_400000_NS6detail17trampoline_kernelINS0_13kernel_configILj256ELj4ELj4294967295EEENS1_37radix_sort_block_sort_config_selectorIsNS0_10empty_typeEEEZNS1_21radix_sort_block_sortIS4_Lb0EN6thrust23THRUST_200600_302600_NS6detail15normal_iteratorINSA_10device_ptrIsEEEESF_PS6_SG_NS0_19identity_decomposerEEE10hipError_tT1_T2_T3_T4_jRjT5_jjP12ihipStream_tbEUlT_E_NS1_11comp_targetILNS1_3genE10ELNS1_11target_archE1200ELNS1_3gpuE4ELNS1_3repE0EEENS1_44radix_sort_block_sort_config_static_selectorELNS0_4arch9wavefront6targetE1EEEvSJ_,@function
_ZN7rocprim17ROCPRIM_400000_NS6detail17trampoline_kernelINS0_13kernel_configILj256ELj4ELj4294967295EEENS1_37radix_sort_block_sort_config_selectorIsNS0_10empty_typeEEEZNS1_21radix_sort_block_sortIS4_Lb0EN6thrust23THRUST_200600_302600_NS6detail15normal_iteratorINSA_10device_ptrIsEEEESF_PS6_SG_NS0_19identity_decomposerEEE10hipError_tT1_T2_T3_T4_jRjT5_jjP12ihipStream_tbEUlT_E_NS1_11comp_targetILNS1_3genE10ELNS1_11target_archE1200ELNS1_3gpuE4ELNS1_3repE0EEENS1_44radix_sort_block_sort_config_static_selectorELNS0_4arch9wavefront6targetE1EEEvSJ_: ; @_ZN7rocprim17ROCPRIM_400000_NS6detail17trampoline_kernelINS0_13kernel_configILj256ELj4ELj4294967295EEENS1_37radix_sort_block_sort_config_selectorIsNS0_10empty_typeEEEZNS1_21radix_sort_block_sortIS4_Lb0EN6thrust23THRUST_200600_302600_NS6detail15normal_iteratorINSA_10device_ptrIsEEEESF_PS6_SG_NS0_19identity_decomposerEEE10hipError_tT1_T2_T3_T4_jRjT5_jjP12ihipStream_tbEUlT_E_NS1_11comp_targetILNS1_3genE10ELNS1_11target_archE1200ELNS1_3gpuE4ELNS1_3repE0EEENS1_44radix_sort_block_sort_config_static_selectorELNS0_4arch9wavefront6targetE1EEEvSJ_
; %bb.0:
	.section	.rodata,"a",@progbits
	.p2align	6, 0x0
	.amdhsa_kernel _ZN7rocprim17ROCPRIM_400000_NS6detail17trampoline_kernelINS0_13kernel_configILj256ELj4ELj4294967295EEENS1_37radix_sort_block_sort_config_selectorIsNS0_10empty_typeEEEZNS1_21radix_sort_block_sortIS4_Lb0EN6thrust23THRUST_200600_302600_NS6detail15normal_iteratorINSA_10device_ptrIsEEEESF_PS6_SG_NS0_19identity_decomposerEEE10hipError_tT1_T2_T3_T4_jRjT5_jjP12ihipStream_tbEUlT_E_NS1_11comp_targetILNS1_3genE10ELNS1_11target_archE1200ELNS1_3gpuE4ELNS1_3repE0EEENS1_44radix_sort_block_sort_config_static_selectorELNS0_4arch9wavefront6targetE1EEEvSJ_
		.amdhsa_group_segment_fixed_size 0
		.amdhsa_private_segment_fixed_size 0
		.amdhsa_kernarg_size 48
		.amdhsa_user_sgpr_count 2
		.amdhsa_user_sgpr_dispatch_ptr 0
		.amdhsa_user_sgpr_queue_ptr 0
		.amdhsa_user_sgpr_kernarg_segment_ptr 1
		.amdhsa_user_sgpr_dispatch_id 0
		.amdhsa_user_sgpr_kernarg_preload_length 0
		.amdhsa_user_sgpr_kernarg_preload_offset 0
		.amdhsa_user_sgpr_private_segment_size 0
		.amdhsa_uses_dynamic_stack 0
		.amdhsa_enable_private_segment 0
		.amdhsa_system_sgpr_workgroup_id_x 1
		.amdhsa_system_sgpr_workgroup_id_y 0
		.amdhsa_system_sgpr_workgroup_id_z 0
		.amdhsa_system_sgpr_workgroup_info 0
		.amdhsa_system_vgpr_workitem_id 0
		.amdhsa_next_free_vgpr 1
		.amdhsa_next_free_sgpr 0
		.amdhsa_accum_offset 4
		.amdhsa_reserve_vcc 0
		.amdhsa_float_round_mode_32 0
		.amdhsa_float_round_mode_16_64 0
		.amdhsa_float_denorm_mode_32 3
		.amdhsa_float_denorm_mode_16_64 3
		.amdhsa_dx10_clamp 1
		.amdhsa_ieee_mode 1
		.amdhsa_fp16_overflow 0
		.amdhsa_tg_split 0
		.amdhsa_exception_fp_ieee_invalid_op 0
		.amdhsa_exception_fp_denorm_src 0
		.amdhsa_exception_fp_ieee_div_zero 0
		.amdhsa_exception_fp_ieee_overflow 0
		.amdhsa_exception_fp_ieee_underflow 0
		.amdhsa_exception_fp_ieee_inexact 0
		.amdhsa_exception_int_div_zero 0
	.end_amdhsa_kernel
	.section	.text._ZN7rocprim17ROCPRIM_400000_NS6detail17trampoline_kernelINS0_13kernel_configILj256ELj4ELj4294967295EEENS1_37radix_sort_block_sort_config_selectorIsNS0_10empty_typeEEEZNS1_21radix_sort_block_sortIS4_Lb0EN6thrust23THRUST_200600_302600_NS6detail15normal_iteratorINSA_10device_ptrIsEEEESF_PS6_SG_NS0_19identity_decomposerEEE10hipError_tT1_T2_T3_T4_jRjT5_jjP12ihipStream_tbEUlT_E_NS1_11comp_targetILNS1_3genE10ELNS1_11target_archE1200ELNS1_3gpuE4ELNS1_3repE0EEENS1_44radix_sort_block_sort_config_static_selectorELNS0_4arch9wavefront6targetE1EEEvSJ_,"axG",@progbits,_ZN7rocprim17ROCPRIM_400000_NS6detail17trampoline_kernelINS0_13kernel_configILj256ELj4ELj4294967295EEENS1_37radix_sort_block_sort_config_selectorIsNS0_10empty_typeEEEZNS1_21radix_sort_block_sortIS4_Lb0EN6thrust23THRUST_200600_302600_NS6detail15normal_iteratorINSA_10device_ptrIsEEEESF_PS6_SG_NS0_19identity_decomposerEEE10hipError_tT1_T2_T3_T4_jRjT5_jjP12ihipStream_tbEUlT_E_NS1_11comp_targetILNS1_3genE10ELNS1_11target_archE1200ELNS1_3gpuE4ELNS1_3repE0EEENS1_44radix_sort_block_sort_config_static_selectorELNS0_4arch9wavefront6targetE1EEEvSJ_,comdat
.Lfunc_end1806:
	.size	_ZN7rocprim17ROCPRIM_400000_NS6detail17trampoline_kernelINS0_13kernel_configILj256ELj4ELj4294967295EEENS1_37radix_sort_block_sort_config_selectorIsNS0_10empty_typeEEEZNS1_21radix_sort_block_sortIS4_Lb0EN6thrust23THRUST_200600_302600_NS6detail15normal_iteratorINSA_10device_ptrIsEEEESF_PS6_SG_NS0_19identity_decomposerEEE10hipError_tT1_T2_T3_T4_jRjT5_jjP12ihipStream_tbEUlT_E_NS1_11comp_targetILNS1_3genE10ELNS1_11target_archE1200ELNS1_3gpuE4ELNS1_3repE0EEENS1_44radix_sort_block_sort_config_static_selectorELNS0_4arch9wavefront6targetE1EEEvSJ_, .Lfunc_end1806-_ZN7rocprim17ROCPRIM_400000_NS6detail17trampoline_kernelINS0_13kernel_configILj256ELj4ELj4294967295EEENS1_37radix_sort_block_sort_config_selectorIsNS0_10empty_typeEEEZNS1_21radix_sort_block_sortIS4_Lb0EN6thrust23THRUST_200600_302600_NS6detail15normal_iteratorINSA_10device_ptrIsEEEESF_PS6_SG_NS0_19identity_decomposerEEE10hipError_tT1_T2_T3_T4_jRjT5_jjP12ihipStream_tbEUlT_E_NS1_11comp_targetILNS1_3genE10ELNS1_11target_archE1200ELNS1_3gpuE4ELNS1_3repE0EEENS1_44radix_sort_block_sort_config_static_selectorELNS0_4arch9wavefront6targetE1EEEvSJ_
                                        ; -- End function
	.section	.AMDGPU.csdata,"",@progbits
; Kernel info:
; codeLenInByte = 0
; NumSgprs: 6
; NumVgprs: 0
; NumAgprs: 0
; TotalNumVgprs: 0
; ScratchSize: 0
; MemoryBound: 0
; FloatMode: 240
; IeeeMode: 1
; LDSByteSize: 0 bytes/workgroup (compile time only)
; SGPRBlocks: 0
; VGPRBlocks: 0
; NumSGPRsForWavesPerEU: 6
; NumVGPRsForWavesPerEU: 1
; AccumOffset: 4
; Occupancy: 8
; WaveLimiterHint : 0
; COMPUTE_PGM_RSRC2:SCRATCH_EN: 0
; COMPUTE_PGM_RSRC2:USER_SGPR: 2
; COMPUTE_PGM_RSRC2:TRAP_HANDLER: 0
; COMPUTE_PGM_RSRC2:TGID_X_EN: 1
; COMPUTE_PGM_RSRC2:TGID_Y_EN: 0
; COMPUTE_PGM_RSRC2:TGID_Z_EN: 0
; COMPUTE_PGM_RSRC2:TIDIG_COMP_CNT: 0
; COMPUTE_PGM_RSRC3_GFX90A:ACCUM_OFFSET: 0
; COMPUTE_PGM_RSRC3_GFX90A:TG_SPLIT: 0
	.section	.text._ZN7rocprim17ROCPRIM_400000_NS6detail17trampoline_kernelINS0_13kernel_configILj256ELj4ELj4294967295EEENS1_37radix_sort_block_sort_config_selectorIsNS0_10empty_typeEEEZNS1_21radix_sort_block_sortIS4_Lb0EN6thrust23THRUST_200600_302600_NS6detail15normal_iteratorINSA_10device_ptrIsEEEESF_PS6_SG_NS0_19identity_decomposerEEE10hipError_tT1_T2_T3_T4_jRjT5_jjP12ihipStream_tbEUlT_E_NS1_11comp_targetILNS1_3genE9ELNS1_11target_archE1100ELNS1_3gpuE3ELNS1_3repE0EEENS1_44radix_sort_block_sort_config_static_selectorELNS0_4arch9wavefront6targetE1EEEvSJ_,"axG",@progbits,_ZN7rocprim17ROCPRIM_400000_NS6detail17trampoline_kernelINS0_13kernel_configILj256ELj4ELj4294967295EEENS1_37radix_sort_block_sort_config_selectorIsNS0_10empty_typeEEEZNS1_21radix_sort_block_sortIS4_Lb0EN6thrust23THRUST_200600_302600_NS6detail15normal_iteratorINSA_10device_ptrIsEEEESF_PS6_SG_NS0_19identity_decomposerEEE10hipError_tT1_T2_T3_T4_jRjT5_jjP12ihipStream_tbEUlT_E_NS1_11comp_targetILNS1_3genE9ELNS1_11target_archE1100ELNS1_3gpuE3ELNS1_3repE0EEENS1_44radix_sort_block_sort_config_static_selectorELNS0_4arch9wavefront6targetE1EEEvSJ_,comdat
	.protected	_ZN7rocprim17ROCPRIM_400000_NS6detail17trampoline_kernelINS0_13kernel_configILj256ELj4ELj4294967295EEENS1_37radix_sort_block_sort_config_selectorIsNS0_10empty_typeEEEZNS1_21radix_sort_block_sortIS4_Lb0EN6thrust23THRUST_200600_302600_NS6detail15normal_iteratorINSA_10device_ptrIsEEEESF_PS6_SG_NS0_19identity_decomposerEEE10hipError_tT1_T2_T3_T4_jRjT5_jjP12ihipStream_tbEUlT_E_NS1_11comp_targetILNS1_3genE9ELNS1_11target_archE1100ELNS1_3gpuE3ELNS1_3repE0EEENS1_44radix_sort_block_sort_config_static_selectorELNS0_4arch9wavefront6targetE1EEEvSJ_ ; -- Begin function _ZN7rocprim17ROCPRIM_400000_NS6detail17trampoline_kernelINS0_13kernel_configILj256ELj4ELj4294967295EEENS1_37radix_sort_block_sort_config_selectorIsNS0_10empty_typeEEEZNS1_21radix_sort_block_sortIS4_Lb0EN6thrust23THRUST_200600_302600_NS6detail15normal_iteratorINSA_10device_ptrIsEEEESF_PS6_SG_NS0_19identity_decomposerEEE10hipError_tT1_T2_T3_T4_jRjT5_jjP12ihipStream_tbEUlT_E_NS1_11comp_targetILNS1_3genE9ELNS1_11target_archE1100ELNS1_3gpuE3ELNS1_3repE0EEENS1_44radix_sort_block_sort_config_static_selectorELNS0_4arch9wavefront6targetE1EEEvSJ_
	.globl	_ZN7rocprim17ROCPRIM_400000_NS6detail17trampoline_kernelINS0_13kernel_configILj256ELj4ELj4294967295EEENS1_37radix_sort_block_sort_config_selectorIsNS0_10empty_typeEEEZNS1_21radix_sort_block_sortIS4_Lb0EN6thrust23THRUST_200600_302600_NS6detail15normal_iteratorINSA_10device_ptrIsEEEESF_PS6_SG_NS0_19identity_decomposerEEE10hipError_tT1_T2_T3_T4_jRjT5_jjP12ihipStream_tbEUlT_E_NS1_11comp_targetILNS1_3genE9ELNS1_11target_archE1100ELNS1_3gpuE3ELNS1_3repE0EEENS1_44radix_sort_block_sort_config_static_selectorELNS0_4arch9wavefront6targetE1EEEvSJ_
	.p2align	8
	.type	_ZN7rocprim17ROCPRIM_400000_NS6detail17trampoline_kernelINS0_13kernel_configILj256ELj4ELj4294967295EEENS1_37radix_sort_block_sort_config_selectorIsNS0_10empty_typeEEEZNS1_21radix_sort_block_sortIS4_Lb0EN6thrust23THRUST_200600_302600_NS6detail15normal_iteratorINSA_10device_ptrIsEEEESF_PS6_SG_NS0_19identity_decomposerEEE10hipError_tT1_T2_T3_T4_jRjT5_jjP12ihipStream_tbEUlT_E_NS1_11comp_targetILNS1_3genE9ELNS1_11target_archE1100ELNS1_3gpuE3ELNS1_3repE0EEENS1_44radix_sort_block_sort_config_static_selectorELNS0_4arch9wavefront6targetE1EEEvSJ_,@function
_ZN7rocprim17ROCPRIM_400000_NS6detail17trampoline_kernelINS0_13kernel_configILj256ELj4ELj4294967295EEENS1_37radix_sort_block_sort_config_selectorIsNS0_10empty_typeEEEZNS1_21radix_sort_block_sortIS4_Lb0EN6thrust23THRUST_200600_302600_NS6detail15normal_iteratorINSA_10device_ptrIsEEEESF_PS6_SG_NS0_19identity_decomposerEEE10hipError_tT1_T2_T3_T4_jRjT5_jjP12ihipStream_tbEUlT_E_NS1_11comp_targetILNS1_3genE9ELNS1_11target_archE1100ELNS1_3gpuE3ELNS1_3repE0EEENS1_44radix_sort_block_sort_config_static_selectorELNS0_4arch9wavefront6targetE1EEEvSJ_: ; @_ZN7rocprim17ROCPRIM_400000_NS6detail17trampoline_kernelINS0_13kernel_configILj256ELj4ELj4294967295EEENS1_37radix_sort_block_sort_config_selectorIsNS0_10empty_typeEEEZNS1_21radix_sort_block_sortIS4_Lb0EN6thrust23THRUST_200600_302600_NS6detail15normal_iteratorINSA_10device_ptrIsEEEESF_PS6_SG_NS0_19identity_decomposerEEE10hipError_tT1_T2_T3_T4_jRjT5_jjP12ihipStream_tbEUlT_E_NS1_11comp_targetILNS1_3genE9ELNS1_11target_archE1100ELNS1_3gpuE3ELNS1_3repE0EEENS1_44radix_sort_block_sort_config_static_selectorELNS0_4arch9wavefront6targetE1EEEvSJ_
; %bb.0:
	.section	.rodata,"a",@progbits
	.p2align	6, 0x0
	.amdhsa_kernel _ZN7rocprim17ROCPRIM_400000_NS6detail17trampoline_kernelINS0_13kernel_configILj256ELj4ELj4294967295EEENS1_37radix_sort_block_sort_config_selectorIsNS0_10empty_typeEEEZNS1_21radix_sort_block_sortIS4_Lb0EN6thrust23THRUST_200600_302600_NS6detail15normal_iteratorINSA_10device_ptrIsEEEESF_PS6_SG_NS0_19identity_decomposerEEE10hipError_tT1_T2_T3_T4_jRjT5_jjP12ihipStream_tbEUlT_E_NS1_11comp_targetILNS1_3genE9ELNS1_11target_archE1100ELNS1_3gpuE3ELNS1_3repE0EEENS1_44radix_sort_block_sort_config_static_selectorELNS0_4arch9wavefront6targetE1EEEvSJ_
		.amdhsa_group_segment_fixed_size 0
		.amdhsa_private_segment_fixed_size 0
		.amdhsa_kernarg_size 48
		.amdhsa_user_sgpr_count 2
		.amdhsa_user_sgpr_dispatch_ptr 0
		.amdhsa_user_sgpr_queue_ptr 0
		.amdhsa_user_sgpr_kernarg_segment_ptr 1
		.amdhsa_user_sgpr_dispatch_id 0
		.amdhsa_user_sgpr_kernarg_preload_length 0
		.amdhsa_user_sgpr_kernarg_preload_offset 0
		.amdhsa_user_sgpr_private_segment_size 0
		.amdhsa_uses_dynamic_stack 0
		.amdhsa_enable_private_segment 0
		.amdhsa_system_sgpr_workgroup_id_x 1
		.amdhsa_system_sgpr_workgroup_id_y 0
		.amdhsa_system_sgpr_workgroup_id_z 0
		.amdhsa_system_sgpr_workgroup_info 0
		.amdhsa_system_vgpr_workitem_id 0
		.amdhsa_next_free_vgpr 1
		.amdhsa_next_free_sgpr 0
		.amdhsa_accum_offset 4
		.amdhsa_reserve_vcc 0
		.amdhsa_float_round_mode_32 0
		.amdhsa_float_round_mode_16_64 0
		.amdhsa_float_denorm_mode_32 3
		.amdhsa_float_denorm_mode_16_64 3
		.amdhsa_dx10_clamp 1
		.amdhsa_ieee_mode 1
		.amdhsa_fp16_overflow 0
		.amdhsa_tg_split 0
		.amdhsa_exception_fp_ieee_invalid_op 0
		.amdhsa_exception_fp_denorm_src 0
		.amdhsa_exception_fp_ieee_div_zero 0
		.amdhsa_exception_fp_ieee_overflow 0
		.amdhsa_exception_fp_ieee_underflow 0
		.amdhsa_exception_fp_ieee_inexact 0
		.amdhsa_exception_int_div_zero 0
	.end_amdhsa_kernel
	.section	.text._ZN7rocprim17ROCPRIM_400000_NS6detail17trampoline_kernelINS0_13kernel_configILj256ELj4ELj4294967295EEENS1_37radix_sort_block_sort_config_selectorIsNS0_10empty_typeEEEZNS1_21radix_sort_block_sortIS4_Lb0EN6thrust23THRUST_200600_302600_NS6detail15normal_iteratorINSA_10device_ptrIsEEEESF_PS6_SG_NS0_19identity_decomposerEEE10hipError_tT1_T2_T3_T4_jRjT5_jjP12ihipStream_tbEUlT_E_NS1_11comp_targetILNS1_3genE9ELNS1_11target_archE1100ELNS1_3gpuE3ELNS1_3repE0EEENS1_44radix_sort_block_sort_config_static_selectorELNS0_4arch9wavefront6targetE1EEEvSJ_,"axG",@progbits,_ZN7rocprim17ROCPRIM_400000_NS6detail17trampoline_kernelINS0_13kernel_configILj256ELj4ELj4294967295EEENS1_37radix_sort_block_sort_config_selectorIsNS0_10empty_typeEEEZNS1_21radix_sort_block_sortIS4_Lb0EN6thrust23THRUST_200600_302600_NS6detail15normal_iteratorINSA_10device_ptrIsEEEESF_PS6_SG_NS0_19identity_decomposerEEE10hipError_tT1_T2_T3_T4_jRjT5_jjP12ihipStream_tbEUlT_E_NS1_11comp_targetILNS1_3genE9ELNS1_11target_archE1100ELNS1_3gpuE3ELNS1_3repE0EEENS1_44radix_sort_block_sort_config_static_selectorELNS0_4arch9wavefront6targetE1EEEvSJ_,comdat
.Lfunc_end1807:
	.size	_ZN7rocprim17ROCPRIM_400000_NS6detail17trampoline_kernelINS0_13kernel_configILj256ELj4ELj4294967295EEENS1_37radix_sort_block_sort_config_selectorIsNS0_10empty_typeEEEZNS1_21radix_sort_block_sortIS4_Lb0EN6thrust23THRUST_200600_302600_NS6detail15normal_iteratorINSA_10device_ptrIsEEEESF_PS6_SG_NS0_19identity_decomposerEEE10hipError_tT1_T2_T3_T4_jRjT5_jjP12ihipStream_tbEUlT_E_NS1_11comp_targetILNS1_3genE9ELNS1_11target_archE1100ELNS1_3gpuE3ELNS1_3repE0EEENS1_44radix_sort_block_sort_config_static_selectorELNS0_4arch9wavefront6targetE1EEEvSJ_, .Lfunc_end1807-_ZN7rocprim17ROCPRIM_400000_NS6detail17trampoline_kernelINS0_13kernel_configILj256ELj4ELj4294967295EEENS1_37radix_sort_block_sort_config_selectorIsNS0_10empty_typeEEEZNS1_21radix_sort_block_sortIS4_Lb0EN6thrust23THRUST_200600_302600_NS6detail15normal_iteratorINSA_10device_ptrIsEEEESF_PS6_SG_NS0_19identity_decomposerEEE10hipError_tT1_T2_T3_T4_jRjT5_jjP12ihipStream_tbEUlT_E_NS1_11comp_targetILNS1_3genE9ELNS1_11target_archE1100ELNS1_3gpuE3ELNS1_3repE0EEENS1_44radix_sort_block_sort_config_static_selectorELNS0_4arch9wavefront6targetE1EEEvSJ_
                                        ; -- End function
	.section	.AMDGPU.csdata,"",@progbits
; Kernel info:
; codeLenInByte = 0
; NumSgprs: 6
; NumVgprs: 0
; NumAgprs: 0
; TotalNumVgprs: 0
; ScratchSize: 0
; MemoryBound: 0
; FloatMode: 240
; IeeeMode: 1
; LDSByteSize: 0 bytes/workgroup (compile time only)
; SGPRBlocks: 0
; VGPRBlocks: 0
; NumSGPRsForWavesPerEU: 6
; NumVGPRsForWavesPerEU: 1
; AccumOffset: 4
; Occupancy: 8
; WaveLimiterHint : 0
; COMPUTE_PGM_RSRC2:SCRATCH_EN: 0
; COMPUTE_PGM_RSRC2:USER_SGPR: 2
; COMPUTE_PGM_RSRC2:TRAP_HANDLER: 0
; COMPUTE_PGM_RSRC2:TGID_X_EN: 1
; COMPUTE_PGM_RSRC2:TGID_Y_EN: 0
; COMPUTE_PGM_RSRC2:TGID_Z_EN: 0
; COMPUTE_PGM_RSRC2:TIDIG_COMP_CNT: 0
; COMPUTE_PGM_RSRC3_GFX90A:ACCUM_OFFSET: 0
; COMPUTE_PGM_RSRC3_GFX90A:TG_SPLIT: 0
	.section	.text._ZN7rocprim17ROCPRIM_400000_NS6detail17trampoline_kernelINS0_13kernel_configILj256ELj4ELj4294967295EEENS1_37radix_sort_block_sort_config_selectorIsNS0_10empty_typeEEEZNS1_21radix_sort_block_sortIS4_Lb0EN6thrust23THRUST_200600_302600_NS6detail15normal_iteratorINSA_10device_ptrIsEEEESF_PS6_SG_NS0_19identity_decomposerEEE10hipError_tT1_T2_T3_T4_jRjT5_jjP12ihipStream_tbEUlT_E_NS1_11comp_targetILNS1_3genE8ELNS1_11target_archE1030ELNS1_3gpuE2ELNS1_3repE0EEENS1_44radix_sort_block_sort_config_static_selectorELNS0_4arch9wavefront6targetE1EEEvSJ_,"axG",@progbits,_ZN7rocprim17ROCPRIM_400000_NS6detail17trampoline_kernelINS0_13kernel_configILj256ELj4ELj4294967295EEENS1_37radix_sort_block_sort_config_selectorIsNS0_10empty_typeEEEZNS1_21radix_sort_block_sortIS4_Lb0EN6thrust23THRUST_200600_302600_NS6detail15normal_iteratorINSA_10device_ptrIsEEEESF_PS6_SG_NS0_19identity_decomposerEEE10hipError_tT1_T2_T3_T4_jRjT5_jjP12ihipStream_tbEUlT_E_NS1_11comp_targetILNS1_3genE8ELNS1_11target_archE1030ELNS1_3gpuE2ELNS1_3repE0EEENS1_44radix_sort_block_sort_config_static_selectorELNS0_4arch9wavefront6targetE1EEEvSJ_,comdat
	.protected	_ZN7rocprim17ROCPRIM_400000_NS6detail17trampoline_kernelINS0_13kernel_configILj256ELj4ELj4294967295EEENS1_37radix_sort_block_sort_config_selectorIsNS0_10empty_typeEEEZNS1_21radix_sort_block_sortIS4_Lb0EN6thrust23THRUST_200600_302600_NS6detail15normal_iteratorINSA_10device_ptrIsEEEESF_PS6_SG_NS0_19identity_decomposerEEE10hipError_tT1_T2_T3_T4_jRjT5_jjP12ihipStream_tbEUlT_E_NS1_11comp_targetILNS1_3genE8ELNS1_11target_archE1030ELNS1_3gpuE2ELNS1_3repE0EEENS1_44radix_sort_block_sort_config_static_selectorELNS0_4arch9wavefront6targetE1EEEvSJ_ ; -- Begin function _ZN7rocprim17ROCPRIM_400000_NS6detail17trampoline_kernelINS0_13kernel_configILj256ELj4ELj4294967295EEENS1_37radix_sort_block_sort_config_selectorIsNS0_10empty_typeEEEZNS1_21radix_sort_block_sortIS4_Lb0EN6thrust23THRUST_200600_302600_NS6detail15normal_iteratorINSA_10device_ptrIsEEEESF_PS6_SG_NS0_19identity_decomposerEEE10hipError_tT1_T2_T3_T4_jRjT5_jjP12ihipStream_tbEUlT_E_NS1_11comp_targetILNS1_3genE8ELNS1_11target_archE1030ELNS1_3gpuE2ELNS1_3repE0EEENS1_44radix_sort_block_sort_config_static_selectorELNS0_4arch9wavefront6targetE1EEEvSJ_
	.globl	_ZN7rocprim17ROCPRIM_400000_NS6detail17trampoline_kernelINS0_13kernel_configILj256ELj4ELj4294967295EEENS1_37radix_sort_block_sort_config_selectorIsNS0_10empty_typeEEEZNS1_21radix_sort_block_sortIS4_Lb0EN6thrust23THRUST_200600_302600_NS6detail15normal_iteratorINSA_10device_ptrIsEEEESF_PS6_SG_NS0_19identity_decomposerEEE10hipError_tT1_T2_T3_T4_jRjT5_jjP12ihipStream_tbEUlT_E_NS1_11comp_targetILNS1_3genE8ELNS1_11target_archE1030ELNS1_3gpuE2ELNS1_3repE0EEENS1_44radix_sort_block_sort_config_static_selectorELNS0_4arch9wavefront6targetE1EEEvSJ_
	.p2align	8
	.type	_ZN7rocprim17ROCPRIM_400000_NS6detail17trampoline_kernelINS0_13kernel_configILj256ELj4ELj4294967295EEENS1_37radix_sort_block_sort_config_selectorIsNS0_10empty_typeEEEZNS1_21radix_sort_block_sortIS4_Lb0EN6thrust23THRUST_200600_302600_NS6detail15normal_iteratorINSA_10device_ptrIsEEEESF_PS6_SG_NS0_19identity_decomposerEEE10hipError_tT1_T2_T3_T4_jRjT5_jjP12ihipStream_tbEUlT_E_NS1_11comp_targetILNS1_3genE8ELNS1_11target_archE1030ELNS1_3gpuE2ELNS1_3repE0EEENS1_44radix_sort_block_sort_config_static_selectorELNS0_4arch9wavefront6targetE1EEEvSJ_,@function
_ZN7rocprim17ROCPRIM_400000_NS6detail17trampoline_kernelINS0_13kernel_configILj256ELj4ELj4294967295EEENS1_37radix_sort_block_sort_config_selectorIsNS0_10empty_typeEEEZNS1_21radix_sort_block_sortIS4_Lb0EN6thrust23THRUST_200600_302600_NS6detail15normal_iteratorINSA_10device_ptrIsEEEESF_PS6_SG_NS0_19identity_decomposerEEE10hipError_tT1_T2_T3_T4_jRjT5_jjP12ihipStream_tbEUlT_E_NS1_11comp_targetILNS1_3genE8ELNS1_11target_archE1030ELNS1_3gpuE2ELNS1_3repE0EEENS1_44radix_sort_block_sort_config_static_selectorELNS0_4arch9wavefront6targetE1EEEvSJ_: ; @_ZN7rocprim17ROCPRIM_400000_NS6detail17trampoline_kernelINS0_13kernel_configILj256ELj4ELj4294967295EEENS1_37radix_sort_block_sort_config_selectorIsNS0_10empty_typeEEEZNS1_21radix_sort_block_sortIS4_Lb0EN6thrust23THRUST_200600_302600_NS6detail15normal_iteratorINSA_10device_ptrIsEEEESF_PS6_SG_NS0_19identity_decomposerEEE10hipError_tT1_T2_T3_T4_jRjT5_jjP12ihipStream_tbEUlT_E_NS1_11comp_targetILNS1_3genE8ELNS1_11target_archE1030ELNS1_3gpuE2ELNS1_3repE0EEENS1_44radix_sort_block_sort_config_static_selectorELNS0_4arch9wavefront6targetE1EEEvSJ_
; %bb.0:
	.section	.rodata,"a",@progbits
	.p2align	6, 0x0
	.amdhsa_kernel _ZN7rocprim17ROCPRIM_400000_NS6detail17trampoline_kernelINS0_13kernel_configILj256ELj4ELj4294967295EEENS1_37radix_sort_block_sort_config_selectorIsNS0_10empty_typeEEEZNS1_21radix_sort_block_sortIS4_Lb0EN6thrust23THRUST_200600_302600_NS6detail15normal_iteratorINSA_10device_ptrIsEEEESF_PS6_SG_NS0_19identity_decomposerEEE10hipError_tT1_T2_T3_T4_jRjT5_jjP12ihipStream_tbEUlT_E_NS1_11comp_targetILNS1_3genE8ELNS1_11target_archE1030ELNS1_3gpuE2ELNS1_3repE0EEENS1_44radix_sort_block_sort_config_static_selectorELNS0_4arch9wavefront6targetE1EEEvSJ_
		.amdhsa_group_segment_fixed_size 0
		.amdhsa_private_segment_fixed_size 0
		.amdhsa_kernarg_size 48
		.amdhsa_user_sgpr_count 2
		.amdhsa_user_sgpr_dispatch_ptr 0
		.amdhsa_user_sgpr_queue_ptr 0
		.amdhsa_user_sgpr_kernarg_segment_ptr 1
		.amdhsa_user_sgpr_dispatch_id 0
		.amdhsa_user_sgpr_kernarg_preload_length 0
		.amdhsa_user_sgpr_kernarg_preload_offset 0
		.amdhsa_user_sgpr_private_segment_size 0
		.amdhsa_uses_dynamic_stack 0
		.amdhsa_enable_private_segment 0
		.amdhsa_system_sgpr_workgroup_id_x 1
		.amdhsa_system_sgpr_workgroup_id_y 0
		.amdhsa_system_sgpr_workgroup_id_z 0
		.amdhsa_system_sgpr_workgroup_info 0
		.amdhsa_system_vgpr_workitem_id 0
		.amdhsa_next_free_vgpr 1
		.amdhsa_next_free_sgpr 0
		.amdhsa_accum_offset 4
		.amdhsa_reserve_vcc 0
		.amdhsa_float_round_mode_32 0
		.amdhsa_float_round_mode_16_64 0
		.amdhsa_float_denorm_mode_32 3
		.amdhsa_float_denorm_mode_16_64 3
		.amdhsa_dx10_clamp 1
		.amdhsa_ieee_mode 1
		.amdhsa_fp16_overflow 0
		.amdhsa_tg_split 0
		.amdhsa_exception_fp_ieee_invalid_op 0
		.amdhsa_exception_fp_denorm_src 0
		.amdhsa_exception_fp_ieee_div_zero 0
		.amdhsa_exception_fp_ieee_overflow 0
		.amdhsa_exception_fp_ieee_underflow 0
		.amdhsa_exception_fp_ieee_inexact 0
		.amdhsa_exception_int_div_zero 0
	.end_amdhsa_kernel
	.section	.text._ZN7rocprim17ROCPRIM_400000_NS6detail17trampoline_kernelINS0_13kernel_configILj256ELj4ELj4294967295EEENS1_37radix_sort_block_sort_config_selectorIsNS0_10empty_typeEEEZNS1_21radix_sort_block_sortIS4_Lb0EN6thrust23THRUST_200600_302600_NS6detail15normal_iteratorINSA_10device_ptrIsEEEESF_PS6_SG_NS0_19identity_decomposerEEE10hipError_tT1_T2_T3_T4_jRjT5_jjP12ihipStream_tbEUlT_E_NS1_11comp_targetILNS1_3genE8ELNS1_11target_archE1030ELNS1_3gpuE2ELNS1_3repE0EEENS1_44radix_sort_block_sort_config_static_selectorELNS0_4arch9wavefront6targetE1EEEvSJ_,"axG",@progbits,_ZN7rocprim17ROCPRIM_400000_NS6detail17trampoline_kernelINS0_13kernel_configILj256ELj4ELj4294967295EEENS1_37radix_sort_block_sort_config_selectorIsNS0_10empty_typeEEEZNS1_21radix_sort_block_sortIS4_Lb0EN6thrust23THRUST_200600_302600_NS6detail15normal_iteratorINSA_10device_ptrIsEEEESF_PS6_SG_NS0_19identity_decomposerEEE10hipError_tT1_T2_T3_T4_jRjT5_jjP12ihipStream_tbEUlT_E_NS1_11comp_targetILNS1_3genE8ELNS1_11target_archE1030ELNS1_3gpuE2ELNS1_3repE0EEENS1_44radix_sort_block_sort_config_static_selectorELNS0_4arch9wavefront6targetE1EEEvSJ_,comdat
.Lfunc_end1808:
	.size	_ZN7rocprim17ROCPRIM_400000_NS6detail17trampoline_kernelINS0_13kernel_configILj256ELj4ELj4294967295EEENS1_37radix_sort_block_sort_config_selectorIsNS0_10empty_typeEEEZNS1_21radix_sort_block_sortIS4_Lb0EN6thrust23THRUST_200600_302600_NS6detail15normal_iteratorINSA_10device_ptrIsEEEESF_PS6_SG_NS0_19identity_decomposerEEE10hipError_tT1_T2_T3_T4_jRjT5_jjP12ihipStream_tbEUlT_E_NS1_11comp_targetILNS1_3genE8ELNS1_11target_archE1030ELNS1_3gpuE2ELNS1_3repE0EEENS1_44radix_sort_block_sort_config_static_selectorELNS0_4arch9wavefront6targetE1EEEvSJ_, .Lfunc_end1808-_ZN7rocprim17ROCPRIM_400000_NS6detail17trampoline_kernelINS0_13kernel_configILj256ELj4ELj4294967295EEENS1_37radix_sort_block_sort_config_selectorIsNS0_10empty_typeEEEZNS1_21radix_sort_block_sortIS4_Lb0EN6thrust23THRUST_200600_302600_NS6detail15normal_iteratorINSA_10device_ptrIsEEEESF_PS6_SG_NS0_19identity_decomposerEEE10hipError_tT1_T2_T3_T4_jRjT5_jjP12ihipStream_tbEUlT_E_NS1_11comp_targetILNS1_3genE8ELNS1_11target_archE1030ELNS1_3gpuE2ELNS1_3repE0EEENS1_44radix_sort_block_sort_config_static_selectorELNS0_4arch9wavefront6targetE1EEEvSJ_
                                        ; -- End function
	.section	.AMDGPU.csdata,"",@progbits
; Kernel info:
; codeLenInByte = 0
; NumSgprs: 6
; NumVgprs: 0
; NumAgprs: 0
; TotalNumVgprs: 0
; ScratchSize: 0
; MemoryBound: 0
; FloatMode: 240
; IeeeMode: 1
; LDSByteSize: 0 bytes/workgroup (compile time only)
; SGPRBlocks: 0
; VGPRBlocks: 0
; NumSGPRsForWavesPerEU: 6
; NumVGPRsForWavesPerEU: 1
; AccumOffset: 4
; Occupancy: 8
; WaveLimiterHint : 0
; COMPUTE_PGM_RSRC2:SCRATCH_EN: 0
; COMPUTE_PGM_RSRC2:USER_SGPR: 2
; COMPUTE_PGM_RSRC2:TRAP_HANDLER: 0
; COMPUTE_PGM_RSRC2:TGID_X_EN: 1
; COMPUTE_PGM_RSRC2:TGID_Y_EN: 0
; COMPUTE_PGM_RSRC2:TGID_Z_EN: 0
; COMPUTE_PGM_RSRC2:TIDIG_COMP_CNT: 0
; COMPUTE_PGM_RSRC3_GFX90A:ACCUM_OFFSET: 0
; COMPUTE_PGM_RSRC3_GFX90A:TG_SPLIT: 0
	.section	.text._ZN7rocprim17ROCPRIM_400000_NS6detail44device_merge_sort_compile_time_verifier_archINS1_11comp_targetILNS1_3genE0ELNS1_11target_archE4294967295ELNS1_3gpuE0ELNS1_3repE0EEES8_NS1_28merge_sort_block_sort_configILj256ELj4ELNS0_20block_sort_algorithmE0EEENS0_14default_configENS1_37merge_sort_block_sort_config_selectorIsNS0_10empty_typeEEENS1_38merge_sort_block_merge_config_selectorIsSE_EEEEvv,"axG",@progbits,_ZN7rocprim17ROCPRIM_400000_NS6detail44device_merge_sort_compile_time_verifier_archINS1_11comp_targetILNS1_3genE0ELNS1_11target_archE4294967295ELNS1_3gpuE0ELNS1_3repE0EEES8_NS1_28merge_sort_block_sort_configILj256ELj4ELNS0_20block_sort_algorithmE0EEENS0_14default_configENS1_37merge_sort_block_sort_config_selectorIsNS0_10empty_typeEEENS1_38merge_sort_block_merge_config_selectorIsSE_EEEEvv,comdat
	.protected	_ZN7rocprim17ROCPRIM_400000_NS6detail44device_merge_sort_compile_time_verifier_archINS1_11comp_targetILNS1_3genE0ELNS1_11target_archE4294967295ELNS1_3gpuE0ELNS1_3repE0EEES8_NS1_28merge_sort_block_sort_configILj256ELj4ELNS0_20block_sort_algorithmE0EEENS0_14default_configENS1_37merge_sort_block_sort_config_selectorIsNS0_10empty_typeEEENS1_38merge_sort_block_merge_config_selectorIsSE_EEEEvv ; -- Begin function _ZN7rocprim17ROCPRIM_400000_NS6detail44device_merge_sort_compile_time_verifier_archINS1_11comp_targetILNS1_3genE0ELNS1_11target_archE4294967295ELNS1_3gpuE0ELNS1_3repE0EEES8_NS1_28merge_sort_block_sort_configILj256ELj4ELNS0_20block_sort_algorithmE0EEENS0_14default_configENS1_37merge_sort_block_sort_config_selectorIsNS0_10empty_typeEEENS1_38merge_sort_block_merge_config_selectorIsSE_EEEEvv
	.globl	_ZN7rocprim17ROCPRIM_400000_NS6detail44device_merge_sort_compile_time_verifier_archINS1_11comp_targetILNS1_3genE0ELNS1_11target_archE4294967295ELNS1_3gpuE0ELNS1_3repE0EEES8_NS1_28merge_sort_block_sort_configILj256ELj4ELNS0_20block_sort_algorithmE0EEENS0_14default_configENS1_37merge_sort_block_sort_config_selectorIsNS0_10empty_typeEEENS1_38merge_sort_block_merge_config_selectorIsSE_EEEEvv
	.p2align	8
	.type	_ZN7rocprim17ROCPRIM_400000_NS6detail44device_merge_sort_compile_time_verifier_archINS1_11comp_targetILNS1_3genE0ELNS1_11target_archE4294967295ELNS1_3gpuE0ELNS1_3repE0EEES8_NS1_28merge_sort_block_sort_configILj256ELj4ELNS0_20block_sort_algorithmE0EEENS0_14default_configENS1_37merge_sort_block_sort_config_selectorIsNS0_10empty_typeEEENS1_38merge_sort_block_merge_config_selectorIsSE_EEEEvv,@function
_ZN7rocprim17ROCPRIM_400000_NS6detail44device_merge_sort_compile_time_verifier_archINS1_11comp_targetILNS1_3genE0ELNS1_11target_archE4294967295ELNS1_3gpuE0ELNS1_3repE0EEES8_NS1_28merge_sort_block_sort_configILj256ELj4ELNS0_20block_sort_algorithmE0EEENS0_14default_configENS1_37merge_sort_block_sort_config_selectorIsNS0_10empty_typeEEENS1_38merge_sort_block_merge_config_selectorIsSE_EEEEvv: ; @_ZN7rocprim17ROCPRIM_400000_NS6detail44device_merge_sort_compile_time_verifier_archINS1_11comp_targetILNS1_3genE0ELNS1_11target_archE4294967295ELNS1_3gpuE0ELNS1_3repE0EEES8_NS1_28merge_sort_block_sort_configILj256ELj4ELNS0_20block_sort_algorithmE0EEENS0_14default_configENS1_37merge_sort_block_sort_config_selectorIsNS0_10empty_typeEEENS1_38merge_sort_block_merge_config_selectorIsSE_EEEEvv
; %bb.0:
	s_endpgm
	.section	.rodata,"a",@progbits
	.p2align	6, 0x0
	.amdhsa_kernel _ZN7rocprim17ROCPRIM_400000_NS6detail44device_merge_sort_compile_time_verifier_archINS1_11comp_targetILNS1_3genE0ELNS1_11target_archE4294967295ELNS1_3gpuE0ELNS1_3repE0EEES8_NS1_28merge_sort_block_sort_configILj256ELj4ELNS0_20block_sort_algorithmE0EEENS0_14default_configENS1_37merge_sort_block_sort_config_selectorIsNS0_10empty_typeEEENS1_38merge_sort_block_merge_config_selectorIsSE_EEEEvv
		.amdhsa_group_segment_fixed_size 0
		.amdhsa_private_segment_fixed_size 0
		.amdhsa_kernarg_size 0
		.amdhsa_user_sgpr_count 0
		.amdhsa_user_sgpr_dispatch_ptr 0
		.amdhsa_user_sgpr_queue_ptr 0
		.amdhsa_user_sgpr_kernarg_segment_ptr 0
		.amdhsa_user_sgpr_dispatch_id 0
		.amdhsa_user_sgpr_kernarg_preload_length 0
		.amdhsa_user_sgpr_kernarg_preload_offset 0
		.amdhsa_user_sgpr_private_segment_size 0
		.amdhsa_uses_dynamic_stack 0
		.amdhsa_enable_private_segment 0
		.amdhsa_system_sgpr_workgroup_id_x 1
		.amdhsa_system_sgpr_workgroup_id_y 0
		.amdhsa_system_sgpr_workgroup_id_z 0
		.amdhsa_system_sgpr_workgroup_info 0
		.amdhsa_system_vgpr_workitem_id 0
		.amdhsa_next_free_vgpr 1
		.amdhsa_next_free_sgpr 0
		.amdhsa_accum_offset 4
		.amdhsa_reserve_vcc 0
		.amdhsa_float_round_mode_32 0
		.amdhsa_float_round_mode_16_64 0
		.amdhsa_float_denorm_mode_32 3
		.amdhsa_float_denorm_mode_16_64 3
		.amdhsa_dx10_clamp 1
		.amdhsa_ieee_mode 1
		.amdhsa_fp16_overflow 0
		.amdhsa_tg_split 0
		.amdhsa_exception_fp_ieee_invalid_op 0
		.amdhsa_exception_fp_denorm_src 0
		.amdhsa_exception_fp_ieee_div_zero 0
		.amdhsa_exception_fp_ieee_overflow 0
		.amdhsa_exception_fp_ieee_underflow 0
		.amdhsa_exception_fp_ieee_inexact 0
		.amdhsa_exception_int_div_zero 0
	.end_amdhsa_kernel
	.section	.text._ZN7rocprim17ROCPRIM_400000_NS6detail44device_merge_sort_compile_time_verifier_archINS1_11comp_targetILNS1_3genE0ELNS1_11target_archE4294967295ELNS1_3gpuE0ELNS1_3repE0EEES8_NS1_28merge_sort_block_sort_configILj256ELj4ELNS0_20block_sort_algorithmE0EEENS0_14default_configENS1_37merge_sort_block_sort_config_selectorIsNS0_10empty_typeEEENS1_38merge_sort_block_merge_config_selectorIsSE_EEEEvv,"axG",@progbits,_ZN7rocprim17ROCPRIM_400000_NS6detail44device_merge_sort_compile_time_verifier_archINS1_11comp_targetILNS1_3genE0ELNS1_11target_archE4294967295ELNS1_3gpuE0ELNS1_3repE0EEES8_NS1_28merge_sort_block_sort_configILj256ELj4ELNS0_20block_sort_algorithmE0EEENS0_14default_configENS1_37merge_sort_block_sort_config_selectorIsNS0_10empty_typeEEENS1_38merge_sort_block_merge_config_selectorIsSE_EEEEvv,comdat
.Lfunc_end1809:
	.size	_ZN7rocprim17ROCPRIM_400000_NS6detail44device_merge_sort_compile_time_verifier_archINS1_11comp_targetILNS1_3genE0ELNS1_11target_archE4294967295ELNS1_3gpuE0ELNS1_3repE0EEES8_NS1_28merge_sort_block_sort_configILj256ELj4ELNS0_20block_sort_algorithmE0EEENS0_14default_configENS1_37merge_sort_block_sort_config_selectorIsNS0_10empty_typeEEENS1_38merge_sort_block_merge_config_selectorIsSE_EEEEvv, .Lfunc_end1809-_ZN7rocprim17ROCPRIM_400000_NS6detail44device_merge_sort_compile_time_verifier_archINS1_11comp_targetILNS1_3genE0ELNS1_11target_archE4294967295ELNS1_3gpuE0ELNS1_3repE0EEES8_NS1_28merge_sort_block_sort_configILj256ELj4ELNS0_20block_sort_algorithmE0EEENS0_14default_configENS1_37merge_sort_block_sort_config_selectorIsNS0_10empty_typeEEENS1_38merge_sort_block_merge_config_selectorIsSE_EEEEvv
                                        ; -- End function
	.section	.AMDGPU.csdata,"",@progbits
; Kernel info:
; codeLenInByte = 4
; NumSgprs: 6
; NumVgprs: 0
; NumAgprs: 0
; TotalNumVgprs: 0
; ScratchSize: 0
; MemoryBound: 0
; FloatMode: 240
; IeeeMode: 1
; LDSByteSize: 0 bytes/workgroup (compile time only)
; SGPRBlocks: 0
; VGPRBlocks: 0
; NumSGPRsForWavesPerEU: 6
; NumVGPRsForWavesPerEU: 1
; AccumOffset: 4
; Occupancy: 8
; WaveLimiterHint : 0
; COMPUTE_PGM_RSRC2:SCRATCH_EN: 0
; COMPUTE_PGM_RSRC2:USER_SGPR: 0
; COMPUTE_PGM_RSRC2:TRAP_HANDLER: 0
; COMPUTE_PGM_RSRC2:TGID_X_EN: 1
; COMPUTE_PGM_RSRC2:TGID_Y_EN: 0
; COMPUTE_PGM_RSRC2:TGID_Z_EN: 0
; COMPUTE_PGM_RSRC2:TIDIG_COMP_CNT: 0
; COMPUTE_PGM_RSRC3_GFX90A:ACCUM_OFFSET: 0
; COMPUTE_PGM_RSRC3_GFX90A:TG_SPLIT: 0
	.section	.text._ZN7rocprim17ROCPRIM_400000_NS6detail44device_merge_sort_compile_time_verifier_archINS1_11comp_targetILNS1_3genE5ELNS1_11target_archE942ELNS1_3gpuE9ELNS1_3repE0EEES8_NS1_28merge_sort_block_sort_configILj256ELj4ELNS0_20block_sort_algorithmE0EEENS0_14default_configENS1_37merge_sort_block_sort_config_selectorIsNS0_10empty_typeEEENS1_38merge_sort_block_merge_config_selectorIsSE_EEEEvv,"axG",@progbits,_ZN7rocprim17ROCPRIM_400000_NS6detail44device_merge_sort_compile_time_verifier_archINS1_11comp_targetILNS1_3genE5ELNS1_11target_archE942ELNS1_3gpuE9ELNS1_3repE0EEES8_NS1_28merge_sort_block_sort_configILj256ELj4ELNS0_20block_sort_algorithmE0EEENS0_14default_configENS1_37merge_sort_block_sort_config_selectorIsNS0_10empty_typeEEENS1_38merge_sort_block_merge_config_selectorIsSE_EEEEvv,comdat
	.protected	_ZN7rocprim17ROCPRIM_400000_NS6detail44device_merge_sort_compile_time_verifier_archINS1_11comp_targetILNS1_3genE5ELNS1_11target_archE942ELNS1_3gpuE9ELNS1_3repE0EEES8_NS1_28merge_sort_block_sort_configILj256ELj4ELNS0_20block_sort_algorithmE0EEENS0_14default_configENS1_37merge_sort_block_sort_config_selectorIsNS0_10empty_typeEEENS1_38merge_sort_block_merge_config_selectorIsSE_EEEEvv ; -- Begin function _ZN7rocprim17ROCPRIM_400000_NS6detail44device_merge_sort_compile_time_verifier_archINS1_11comp_targetILNS1_3genE5ELNS1_11target_archE942ELNS1_3gpuE9ELNS1_3repE0EEES8_NS1_28merge_sort_block_sort_configILj256ELj4ELNS0_20block_sort_algorithmE0EEENS0_14default_configENS1_37merge_sort_block_sort_config_selectorIsNS0_10empty_typeEEENS1_38merge_sort_block_merge_config_selectorIsSE_EEEEvv
	.globl	_ZN7rocprim17ROCPRIM_400000_NS6detail44device_merge_sort_compile_time_verifier_archINS1_11comp_targetILNS1_3genE5ELNS1_11target_archE942ELNS1_3gpuE9ELNS1_3repE0EEES8_NS1_28merge_sort_block_sort_configILj256ELj4ELNS0_20block_sort_algorithmE0EEENS0_14default_configENS1_37merge_sort_block_sort_config_selectorIsNS0_10empty_typeEEENS1_38merge_sort_block_merge_config_selectorIsSE_EEEEvv
	.p2align	8
	.type	_ZN7rocprim17ROCPRIM_400000_NS6detail44device_merge_sort_compile_time_verifier_archINS1_11comp_targetILNS1_3genE5ELNS1_11target_archE942ELNS1_3gpuE9ELNS1_3repE0EEES8_NS1_28merge_sort_block_sort_configILj256ELj4ELNS0_20block_sort_algorithmE0EEENS0_14default_configENS1_37merge_sort_block_sort_config_selectorIsNS0_10empty_typeEEENS1_38merge_sort_block_merge_config_selectorIsSE_EEEEvv,@function
_ZN7rocprim17ROCPRIM_400000_NS6detail44device_merge_sort_compile_time_verifier_archINS1_11comp_targetILNS1_3genE5ELNS1_11target_archE942ELNS1_3gpuE9ELNS1_3repE0EEES8_NS1_28merge_sort_block_sort_configILj256ELj4ELNS0_20block_sort_algorithmE0EEENS0_14default_configENS1_37merge_sort_block_sort_config_selectorIsNS0_10empty_typeEEENS1_38merge_sort_block_merge_config_selectorIsSE_EEEEvv: ; @_ZN7rocprim17ROCPRIM_400000_NS6detail44device_merge_sort_compile_time_verifier_archINS1_11comp_targetILNS1_3genE5ELNS1_11target_archE942ELNS1_3gpuE9ELNS1_3repE0EEES8_NS1_28merge_sort_block_sort_configILj256ELj4ELNS0_20block_sort_algorithmE0EEENS0_14default_configENS1_37merge_sort_block_sort_config_selectorIsNS0_10empty_typeEEENS1_38merge_sort_block_merge_config_selectorIsSE_EEEEvv
; %bb.0:
	s_endpgm
	.section	.rodata,"a",@progbits
	.p2align	6, 0x0
	.amdhsa_kernel _ZN7rocprim17ROCPRIM_400000_NS6detail44device_merge_sort_compile_time_verifier_archINS1_11comp_targetILNS1_3genE5ELNS1_11target_archE942ELNS1_3gpuE9ELNS1_3repE0EEES8_NS1_28merge_sort_block_sort_configILj256ELj4ELNS0_20block_sort_algorithmE0EEENS0_14default_configENS1_37merge_sort_block_sort_config_selectorIsNS0_10empty_typeEEENS1_38merge_sort_block_merge_config_selectorIsSE_EEEEvv
		.amdhsa_group_segment_fixed_size 0
		.amdhsa_private_segment_fixed_size 0
		.amdhsa_kernarg_size 0
		.amdhsa_user_sgpr_count 0
		.amdhsa_user_sgpr_dispatch_ptr 0
		.amdhsa_user_sgpr_queue_ptr 0
		.amdhsa_user_sgpr_kernarg_segment_ptr 0
		.amdhsa_user_sgpr_dispatch_id 0
		.amdhsa_user_sgpr_kernarg_preload_length 0
		.amdhsa_user_sgpr_kernarg_preload_offset 0
		.amdhsa_user_sgpr_private_segment_size 0
		.amdhsa_uses_dynamic_stack 0
		.amdhsa_enable_private_segment 0
		.amdhsa_system_sgpr_workgroup_id_x 1
		.amdhsa_system_sgpr_workgroup_id_y 0
		.amdhsa_system_sgpr_workgroup_id_z 0
		.amdhsa_system_sgpr_workgroup_info 0
		.amdhsa_system_vgpr_workitem_id 0
		.amdhsa_next_free_vgpr 1
		.amdhsa_next_free_sgpr 0
		.amdhsa_accum_offset 4
		.amdhsa_reserve_vcc 0
		.amdhsa_float_round_mode_32 0
		.amdhsa_float_round_mode_16_64 0
		.amdhsa_float_denorm_mode_32 3
		.amdhsa_float_denorm_mode_16_64 3
		.amdhsa_dx10_clamp 1
		.amdhsa_ieee_mode 1
		.amdhsa_fp16_overflow 0
		.amdhsa_tg_split 0
		.amdhsa_exception_fp_ieee_invalid_op 0
		.amdhsa_exception_fp_denorm_src 0
		.amdhsa_exception_fp_ieee_div_zero 0
		.amdhsa_exception_fp_ieee_overflow 0
		.amdhsa_exception_fp_ieee_underflow 0
		.amdhsa_exception_fp_ieee_inexact 0
		.amdhsa_exception_int_div_zero 0
	.end_amdhsa_kernel
	.section	.text._ZN7rocprim17ROCPRIM_400000_NS6detail44device_merge_sort_compile_time_verifier_archINS1_11comp_targetILNS1_3genE5ELNS1_11target_archE942ELNS1_3gpuE9ELNS1_3repE0EEES8_NS1_28merge_sort_block_sort_configILj256ELj4ELNS0_20block_sort_algorithmE0EEENS0_14default_configENS1_37merge_sort_block_sort_config_selectorIsNS0_10empty_typeEEENS1_38merge_sort_block_merge_config_selectorIsSE_EEEEvv,"axG",@progbits,_ZN7rocprim17ROCPRIM_400000_NS6detail44device_merge_sort_compile_time_verifier_archINS1_11comp_targetILNS1_3genE5ELNS1_11target_archE942ELNS1_3gpuE9ELNS1_3repE0EEES8_NS1_28merge_sort_block_sort_configILj256ELj4ELNS0_20block_sort_algorithmE0EEENS0_14default_configENS1_37merge_sort_block_sort_config_selectorIsNS0_10empty_typeEEENS1_38merge_sort_block_merge_config_selectorIsSE_EEEEvv,comdat
.Lfunc_end1810:
	.size	_ZN7rocprim17ROCPRIM_400000_NS6detail44device_merge_sort_compile_time_verifier_archINS1_11comp_targetILNS1_3genE5ELNS1_11target_archE942ELNS1_3gpuE9ELNS1_3repE0EEES8_NS1_28merge_sort_block_sort_configILj256ELj4ELNS0_20block_sort_algorithmE0EEENS0_14default_configENS1_37merge_sort_block_sort_config_selectorIsNS0_10empty_typeEEENS1_38merge_sort_block_merge_config_selectorIsSE_EEEEvv, .Lfunc_end1810-_ZN7rocprim17ROCPRIM_400000_NS6detail44device_merge_sort_compile_time_verifier_archINS1_11comp_targetILNS1_3genE5ELNS1_11target_archE942ELNS1_3gpuE9ELNS1_3repE0EEES8_NS1_28merge_sort_block_sort_configILj256ELj4ELNS0_20block_sort_algorithmE0EEENS0_14default_configENS1_37merge_sort_block_sort_config_selectorIsNS0_10empty_typeEEENS1_38merge_sort_block_merge_config_selectorIsSE_EEEEvv
                                        ; -- End function
	.section	.AMDGPU.csdata,"",@progbits
; Kernel info:
; codeLenInByte = 4
; NumSgprs: 6
; NumVgprs: 0
; NumAgprs: 0
; TotalNumVgprs: 0
; ScratchSize: 0
; MemoryBound: 0
; FloatMode: 240
; IeeeMode: 1
; LDSByteSize: 0 bytes/workgroup (compile time only)
; SGPRBlocks: 0
; VGPRBlocks: 0
; NumSGPRsForWavesPerEU: 6
; NumVGPRsForWavesPerEU: 1
; AccumOffset: 4
; Occupancy: 8
; WaveLimiterHint : 0
; COMPUTE_PGM_RSRC2:SCRATCH_EN: 0
; COMPUTE_PGM_RSRC2:USER_SGPR: 0
; COMPUTE_PGM_RSRC2:TRAP_HANDLER: 0
; COMPUTE_PGM_RSRC2:TGID_X_EN: 1
; COMPUTE_PGM_RSRC2:TGID_Y_EN: 0
; COMPUTE_PGM_RSRC2:TGID_Z_EN: 0
; COMPUTE_PGM_RSRC2:TIDIG_COMP_CNT: 0
; COMPUTE_PGM_RSRC3_GFX90A:ACCUM_OFFSET: 0
; COMPUTE_PGM_RSRC3_GFX90A:TG_SPLIT: 0
	.section	.text._ZN7rocprim17ROCPRIM_400000_NS6detail44device_merge_sort_compile_time_verifier_archINS1_11comp_targetILNS1_3genE4ELNS1_11target_archE910ELNS1_3gpuE8ELNS1_3repE0EEES8_NS1_28merge_sort_block_sort_configILj256ELj4ELNS0_20block_sort_algorithmE0EEENS0_14default_configENS1_37merge_sort_block_sort_config_selectorIsNS0_10empty_typeEEENS1_38merge_sort_block_merge_config_selectorIsSE_EEEEvv,"axG",@progbits,_ZN7rocprim17ROCPRIM_400000_NS6detail44device_merge_sort_compile_time_verifier_archINS1_11comp_targetILNS1_3genE4ELNS1_11target_archE910ELNS1_3gpuE8ELNS1_3repE0EEES8_NS1_28merge_sort_block_sort_configILj256ELj4ELNS0_20block_sort_algorithmE0EEENS0_14default_configENS1_37merge_sort_block_sort_config_selectorIsNS0_10empty_typeEEENS1_38merge_sort_block_merge_config_selectorIsSE_EEEEvv,comdat
	.protected	_ZN7rocprim17ROCPRIM_400000_NS6detail44device_merge_sort_compile_time_verifier_archINS1_11comp_targetILNS1_3genE4ELNS1_11target_archE910ELNS1_3gpuE8ELNS1_3repE0EEES8_NS1_28merge_sort_block_sort_configILj256ELj4ELNS0_20block_sort_algorithmE0EEENS0_14default_configENS1_37merge_sort_block_sort_config_selectorIsNS0_10empty_typeEEENS1_38merge_sort_block_merge_config_selectorIsSE_EEEEvv ; -- Begin function _ZN7rocprim17ROCPRIM_400000_NS6detail44device_merge_sort_compile_time_verifier_archINS1_11comp_targetILNS1_3genE4ELNS1_11target_archE910ELNS1_3gpuE8ELNS1_3repE0EEES8_NS1_28merge_sort_block_sort_configILj256ELj4ELNS0_20block_sort_algorithmE0EEENS0_14default_configENS1_37merge_sort_block_sort_config_selectorIsNS0_10empty_typeEEENS1_38merge_sort_block_merge_config_selectorIsSE_EEEEvv
	.globl	_ZN7rocprim17ROCPRIM_400000_NS6detail44device_merge_sort_compile_time_verifier_archINS1_11comp_targetILNS1_3genE4ELNS1_11target_archE910ELNS1_3gpuE8ELNS1_3repE0EEES8_NS1_28merge_sort_block_sort_configILj256ELj4ELNS0_20block_sort_algorithmE0EEENS0_14default_configENS1_37merge_sort_block_sort_config_selectorIsNS0_10empty_typeEEENS1_38merge_sort_block_merge_config_selectorIsSE_EEEEvv
	.p2align	8
	.type	_ZN7rocprim17ROCPRIM_400000_NS6detail44device_merge_sort_compile_time_verifier_archINS1_11comp_targetILNS1_3genE4ELNS1_11target_archE910ELNS1_3gpuE8ELNS1_3repE0EEES8_NS1_28merge_sort_block_sort_configILj256ELj4ELNS0_20block_sort_algorithmE0EEENS0_14default_configENS1_37merge_sort_block_sort_config_selectorIsNS0_10empty_typeEEENS1_38merge_sort_block_merge_config_selectorIsSE_EEEEvv,@function
_ZN7rocprim17ROCPRIM_400000_NS6detail44device_merge_sort_compile_time_verifier_archINS1_11comp_targetILNS1_3genE4ELNS1_11target_archE910ELNS1_3gpuE8ELNS1_3repE0EEES8_NS1_28merge_sort_block_sort_configILj256ELj4ELNS0_20block_sort_algorithmE0EEENS0_14default_configENS1_37merge_sort_block_sort_config_selectorIsNS0_10empty_typeEEENS1_38merge_sort_block_merge_config_selectorIsSE_EEEEvv: ; @_ZN7rocprim17ROCPRIM_400000_NS6detail44device_merge_sort_compile_time_verifier_archINS1_11comp_targetILNS1_3genE4ELNS1_11target_archE910ELNS1_3gpuE8ELNS1_3repE0EEES8_NS1_28merge_sort_block_sort_configILj256ELj4ELNS0_20block_sort_algorithmE0EEENS0_14default_configENS1_37merge_sort_block_sort_config_selectorIsNS0_10empty_typeEEENS1_38merge_sort_block_merge_config_selectorIsSE_EEEEvv
; %bb.0:
	s_endpgm
	.section	.rodata,"a",@progbits
	.p2align	6, 0x0
	.amdhsa_kernel _ZN7rocprim17ROCPRIM_400000_NS6detail44device_merge_sort_compile_time_verifier_archINS1_11comp_targetILNS1_3genE4ELNS1_11target_archE910ELNS1_3gpuE8ELNS1_3repE0EEES8_NS1_28merge_sort_block_sort_configILj256ELj4ELNS0_20block_sort_algorithmE0EEENS0_14default_configENS1_37merge_sort_block_sort_config_selectorIsNS0_10empty_typeEEENS1_38merge_sort_block_merge_config_selectorIsSE_EEEEvv
		.amdhsa_group_segment_fixed_size 0
		.amdhsa_private_segment_fixed_size 0
		.amdhsa_kernarg_size 0
		.amdhsa_user_sgpr_count 0
		.amdhsa_user_sgpr_dispatch_ptr 0
		.amdhsa_user_sgpr_queue_ptr 0
		.amdhsa_user_sgpr_kernarg_segment_ptr 0
		.amdhsa_user_sgpr_dispatch_id 0
		.amdhsa_user_sgpr_kernarg_preload_length 0
		.amdhsa_user_sgpr_kernarg_preload_offset 0
		.amdhsa_user_sgpr_private_segment_size 0
		.amdhsa_uses_dynamic_stack 0
		.amdhsa_enable_private_segment 0
		.amdhsa_system_sgpr_workgroup_id_x 1
		.amdhsa_system_sgpr_workgroup_id_y 0
		.amdhsa_system_sgpr_workgroup_id_z 0
		.amdhsa_system_sgpr_workgroup_info 0
		.amdhsa_system_vgpr_workitem_id 0
		.amdhsa_next_free_vgpr 1
		.amdhsa_next_free_sgpr 0
		.amdhsa_accum_offset 4
		.amdhsa_reserve_vcc 0
		.amdhsa_float_round_mode_32 0
		.amdhsa_float_round_mode_16_64 0
		.amdhsa_float_denorm_mode_32 3
		.amdhsa_float_denorm_mode_16_64 3
		.amdhsa_dx10_clamp 1
		.amdhsa_ieee_mode 1
		.amdhsa_fp16_overflow 0
		.amdhsa_tg_split 0
		.amdhsa_exception_fp_ieee_invalid_op 0
		.amdhsa_exception_fp_denorm_src 0
		.amdhsa_exception_fp_ieee_div_zero 0
		.amdhsa_exception_fp_ieee_overflow 0
		.amdhsa_exception_fp_ieee_underflow 0
		.amdhsa_exception_fp_ieee_inexact 0
		.amdhsa_exception_int_div_zero 0
	.end_amdhsa_kernel
	.section	.text._ZN7rocprim17ROCPRIM_400000_NS6detail44device_merge_sort_compile_time_verifier_archINS1_11comp_targetILNS1_3genE4ELNS1_11target_archE910ELNS1_3gpuE8ELNS1_3repE0EEES8_NS1_28merge_sort_block_sort_configILj256ELj4ELNS0_20block_sort_algorithmE0EEENS0_14default_configENS1_37merge_sort_block_sort_config_selectorIsNS0_10empty_typeEEENS1_38merge_sort_block_merge_config_selectorIsSE_EEEEvv,"axG",@progbits,_ZN7rocprim17ROCPRIM_400000_NS6detail44device_merge_sort_compile_time_verifier_archINS1_11comp_targetILNS1_3genE4ELNS1_11target_archE910ELNS1_3gpuE8ELNS1_3repE0EEES8_NS1_28merge_sort_block_sort_configILj256ELj4ELNS0_20block_sort_algorithmE0EEENS0_14default_configENS1_37merge_sort_block_sort_config_selectorIsNS0_10empty_typeEEENS1_38merge_sort_block_merge_config_selectorIsSE_EEEEvv,comdat
.Lfunc_end1811:
	.size	_ZN7rocprim17ROCPRIM_400000_NS6detail44device_merge_sort_compile_time_verifier_archINS1_11comp_targetILNS1_3genE4ELNS1_11target_archE910ELNS1_3gpuE8ELNS1_3repE0EEES8_NS1_28merge_sort_block_sort_configILj256ELj4ELNS0_20block_sort_algorithmE0EEENS0_14default_configENS1_37merge_sort_block_sort_config_selectorIsNS0_10empty_typeEEENS1_38merge_sort_block_merge_config_selectorIsSE_EEEEvv, .Lfunc_end1811-_ZN7rocprim17ROCPRIM_400000_NS6detail44device_merge_sort_compile_time_verifier_archINS1_11comp_targetILNS1_3genE4ELNS1_11target_archE910ELNS1_3gpuE8ELNS1_3repE0EEES8_NS1_28merge_sort_block_sort_configILj256ELj4ELNS0_20block_sort_algorithmE0EEENS0_14default_configENS1_37merge_sort_block_sort_config_selectorIsNS0_10empty_typeEEENS1_38merge_sort_block_merge_config_selectorIsSE_EEEEvv
                                        ; -- End function
	.section	.AMDGPU.csdata,"",@progbits
; Kernel info:
; codeLenInByte = 4
; NumSgprs: 6
; NumVgprs: 0
; NumAgprs: 0
; TotalNumVgprs: 0
; ScratchSize: 0
; MemoryBound: 0
; FloatMode: 240
; IeeeMode: 1
; LDSByteSize: 0 bytes/workgroup (compile time only)
; SGPRBlocks: 0
; VGPRBlocks: 0
; NumSGPRsForWavesPerEU: 6
; NumVGPRsForWavesPerEU: 1
; AccumOffset: 4
; Occupancy: 8
; WaveLimiterHint : 0
; COMPUTE_PGM_RSRC2:SCRATCH_EN: 0
; COMPUTE_PGM_RSRC2:USER_SGPR: 0
; COMPUTE_PGM_RSRC2:TRAP_HANDLER: 0
; COMPUTE_PGM_RSRC2:TGID_X_EN: 1
; COMPUTE_PGM_RSRC2:TGID_Y_EN: 0
; COMPUTE_PGM_RSRC2:TGID_Z_EN: 0
; COMPUTE_PGM_RSRC2:TIDIG_COMP_CNT: 0
; COMPUTE_PGM_RSRC3_GFX90A:ACCUM_OFFSET: 0
; COMPUTE_PGM_RSRC3_GFX90A:TG_SPLIT: 0
	.section	.text._ZN7rocprim17ROCPRIM_400000_NS6detail44device_merge_sort_compile_time_verifier_archINS1_11comp_targetILNS1_3genE3ELNS1_11target_archE908ELNS1_3gpuE7ELNS1_3repE0EEES8_NS1_28merge_sort_block_sort_configILj256ELj4ELNS0_20block_sort_algorithmE0EEENS0_14default_configENS1_37merge_sort_block_sort_config_selectorIsNS0_10empty_typeEEENS1_38merge_sort_block_merge_config_selectorIsSE_EEEEvv,"axG",@progbits,_ZN7rocprim17ROCPRIM_400000_NS6detail44device_merge_sort_compile_time_verifier_archINS1_11comp_targetILNS1_3genE3ELNS1_11target_archE908ELNS1_3gpuE7ELNS1_3repE0EEES8_NS1_28merge_sort_block_sort_configILj256ELj4ELNS0_20block_sort_algorithmE0EEENS0_14default_configENS1_37merge_sort_block_sort_config_selectorIsNS0_10empty_typeEEENS1_38merge_sort_block_merge_config_selectorIsSE_EEEEvv,comdat
	.protected	_ZN7rocprim17ROCPRIM_400000_NS6detail44device_merge_sort_compile_time_verifier_archINS1_11comp_targetILNS1_3genE3ELNS1_11target_archE908ELNS1_3gpuE7ELNS1_3repE0EEES8_NS1_28merge_sort_block_sort_configILj256ELj4ELNS0_20block_sort_algorithmE0EEENS0_14default_configENS1_37merge_sort_block_sort_config_selectorIsNS0_10empty_typeEEENS1_38merge_sort_block_merge_config_selectorIsSE_EEEEvv ; -- Begin function _ZN7rocprim17ROCPRIM_400000_NS6detail44device_merge_sort_compile_time_verifier_archINS1_11comp_targetILNS1_3genE3ELNS1_11target_archE908ELNS1_3gpuE7ELNS1_3repE0EEES8_NS1_28merge_sort_block_sort_configILj256ELj4ELNS0_20block_sort_algorithmE0EEENS0_14default_configENS1_37merge_sort_block_sort_config_selectorIsNS0_10empty_typeEEENS1_38merge_sort_block_merge_config_selectorIsSE_EEEEvv
	.globl	_ZN7rocprim17ROCPRIM_400000_NS6detail44device_merge_sort_compile_time_verifier_archINS1_11comp_targetILNS1_3genE3ELNS1_11target_archE908ELNS1_3gpuE7ELNS1_3repE0EEES8_NS1_28merge_sort_block_sort_configILj256ELj4ELNS0_20block_sort_algorithmE0EEENS0_14default_configENS1_37merge_sort_block_sort_config_selectorIsNS0_10empty_typeEEENS1_38merge_sort_block_merge_config_selectorIsSE_EEEEvv
	.p2align	8
	.type	_ZN7rocprim17ROCPRIM_400000_NS6detail44device_merge_sort_compile_time_verifier_archINS1_11comp_targetILNS1_3genE3ELNS1_11target_archE908ELNS1_3gpuE7ELNS1_3repE0EEES8_NS1_28merge_sort_block_sort_configILj256ELj4ELNS0_20block_sort_algorithmE0EEENS0_14default_configENS1_37merge_sort_block_sort_config_selectorIsNS0_10empty_typeEEENS1_38merge_sort_block_merge_config_selectorIsSE_EEEEvv,@function
_ZN7rocprim17ROCPRIM_400000_NS6detail44device_merge_sort_compile_time_verifier_archINS1_11comp_targetILNS1_3genE3ELNS1_11target_archE908ELNS1_3gpuE7ELNS1_3repE0EEES8_NS1_28merge_sort_block_sort_configILj256ELj4ELNS0_20block_sort_algorithmE0EEENS0_14default_configENS1_37merge_sort_block_sort_config_selectorIsNS0_10empty_typeEEENS1_38merge_sort_block_merge_config_selectorIsSE_EEEEvv: ; @_ZN7rocprim17ROCPRIM_400000_NS6detail44device_merge_sort_compile_time_verifier_archINS1_11comp_targetILNS1_3genE3ELNS1_11target_archE908ELNS1_3gpuE7ELNS1_3repE0EEES8_NS1_28merge_sort_block_sort_configILj256ELj4ELNS0_20block_sort_algorithmE0EEENS0_14default_configENS1_37merge_sort_block_sort_config_selectorIsNS0_10empty_typeEEENS1_38merge_sort_block_merge_config_selectorIsSE_EEEEvv
; %bb.0:
	s_endpgm
	.section	.rodata,"a",@progbits
	.p2align	6, 0x0
	.amdhsa_kernel _ZN7rocprim17ROCPRIM_400000_NS6detail44device_merge_sort_compile_time_verifier_archINS1_11comp_targetILNS1_3genE3ELNS1_11target_archE908ELNS1_3gpuE7ELNS1_3repE0EEES8_NS1_28merge_sort_block_sort_configILj256ELj4ELNS0_20block_sort_algorithmE0EEENS0_14default_configENS1_37merge_sort_block_sort_config_selectorIsNS0_10empty_typeEEENS1_38merge_sort_block_merge_config_selectorIsSE_EEEEvv
		.amdhsa_group_segment_fixed_size 0
		.amdhsa_private_segment_fixed_size 0
		.amdhsa_kernarg_size 0
		.amdhsa_user_sgpr_count 0
		.amdhsa_user_sgpr_dispatch_ptr 0
		.amdhsa_user_sgpr_queue_ptr 0
		.amdhsa_user_sgpr_kernarg_segment_ptr 0
		.amdhsa_user_sgpr_dispatch_id 0
		.amdhsa_user_sgpr_kernarg_preload_length 0
		.amdhsa_user_sgpr_kernarg_preload_offset 0
		.amdhsa_user_sgpr_private_segment_size 0
		.amdhsa_uses_dynamic_stack 0
		.amdhsa_enable_private_segment 0
		.amdhsa_system_sgpr_workgroup_id_x 1
		.amdhsa_system_sgpr_workgroup_id_y 0
		.amdhsa_system_sgpr_workgroup_id_z 0
		.amdhsa_system_sgpr_workgroup_info 0
		.amdhsa_system_vgpr_workitem_id 0
		.amdhsa_next_free_vgpr 1
		.amdhsa_next_free_sgpr 0
		.amdhsa_accum_offset 4
		.amdhsa_reserve_vcc 0
		.amdhsa_float_round_mode_32 0
		.amdhsa_float_round_mode_16_64 0
		.amdhsa_float_denorm_mode_32 3
		.amdhsa_float_denorm_mode_16_64 3
		.amdhsa_dx10_clamp 1
		.amdhsa_ieee_mode 1
		.amdhsa_fp16_overflow 0
		.amdhsa_tg_split 0
		.amdhsa_exception_fp_ieee_invalid_op 0
		.amdhsa_exception_fp_denorm_src 0
		.amdhsa_exception_fp_ieee_div_zero 0
		.amdhsa_exception_fp_ieee_overflow 0
		.amdhsa_exception_fp_ieee_underflow 0
		.amdhsa_exception_fp_ieee_inexact 0
		.amdhsa_exception_int_div_zero 0
	.end_amdhsa_kernel
	.section	.text._ZN7rocprim17ROCPRIM_400000_NS6detail44device_merge_sort_compile_time_verifier_archINS1_11comp_targetILNS1_3genE3ELNS1_11target_archE908ELNS1_3gpuE7ELNS1_3repE0EEES8_NS1_28merge_sort_block_sort_configILj256ELj4ELNS0_20block_sort_algorithmE0EEENS0_14default_configENS1_37merge_sort_block_sort_config_selectorIsNS0_10empty_typeEEENS1_38merge_sort_block_merge_config_selectorIsSE_EEEEvv,"axG",@progbits,_ZN7rocprim17ROCPRIM_400000_NS6detail44device_merge_sort_compile_time_verifier_archINS1_11comp_targetILNS1_3genE3ELNS1_11target_archE908ELNS1_3gpuE7ELNS1_3repE0EEES8_NS1_28merge_sort_block_sort_configILj256ELj4ELNS0_20block_sort_algorithmE0EEENS0_14default_configENS1_37merge_sort_block_sort_config_selectorIsNS0_10empty_typeEEENS1_38merge_sort_block_merge_config_selectorIsSE_EEEEvv,comdat
.Lfunc_end1812:
	.size	_ZN7rocprim17ROCPRIM_400000_NS6detail44device_merge_sort_compile_time_verifier_archINS1_11comp_targetILNS1_3genE3ELNS1_11target_archE908ELNS1_3gpuE7ELNS1_3repE0EEES8_NS1_28merge_sort_block_sort_configILj256ELj4ELNS0_20block_sort_algorithmE0EEENS0_14default_configENS1_37merge_sort_block_sort_config_selectorIsNS0_10empty_typeEEENS1_38merge_sort_block_merge_config_selectorIsSE_EEEEvv, .Lfunc_end1812-_ZN7rocprim17ROCPRIM_400000_NS6detail44device_merge_sort_compile_time_verifier_archINS1_11comp_targetILNS1_3genE3ELNS1_11target_archE908ELNS1_3gpuE7ELNS1_3repE0EEES8_NS1_28merge_sort_block_sort_configILj256ELj4ELNS0_20block_sort_algorithmE0EEENS0_14default_configENS1_37merge_sort_block_sort_config_selectorIsNS0_10empty_typeEEENS1_38merge_sort_block_merge_config_selectorIsSE_EEEEvv
                                        ; -- End function
	.section	.AMDGPU.csdata,"",@progbits
; Kernel info:
; codeLenInByte = 4
; NumSgprs: 6
; NumVgprs: 0
; NumAgprs: 0
; TotalNumVgprs: 0
; ScratchSize: 0
; MemoryBound: 0
; FloatMode: 240
; IeeeMode: 1
; LDSByteSize: 0 bytes/workgroup (compile time only)
; SGPRBlocks: 0
; VGPRBlocks: 0
; NumSGPRsForWavesPerEU: 6
; NumVGPRsForWavesPerEU: 1
; AccumOffset: 4
; Occupancy: 8
; WaveLimiterHint : 0
; COMPUTE_PGM_RSRC2:SCRATCH_EN: 0
; COMPUTE_PGM_RSRC2:USER_SGPR: 0
; COMPUTE_PGM_RSRC2:TRAP_HANDLER: 0
; COMPUTE_PGM_RSRC2:TGID_X_EN: 1
; COMPUTE_PGM_RSRC2:TGID_Y_EN: 0
; COMPUTE_PGM_RSRC2:TGID_Z_EN: 0
; COMPUTE_PGM_RSRC2:TIDIG_COMP_CNT: 0
; COMPUTE_PGM_RSRC3_GFX90A:ACCUM_OFFSET: 0
; COMPUTE_PGM_RSRC3_GFX90A:TG_SPLIT: 0
	.section	.text._ZN7rocprim17ROCPRIM_400000_NS6detail44device_merge_sort_compile_time_verifier_archINS1_11comp_targetILNS1_3genE2ELNS1_11target_archE906ELNS1_3gpuE6ELNS1_3repE0EEES8_NS1_28merge_sort_block_sort_configILj256ELj4ELNS0_20block_sort_algorithmE0EEENS0_14default_configENS1_37merge_sort_block_sort_config_selectorIsNS0_10empty_typeEEENS1_38merge_sort_block_merge_config_selectorIsSE_EEEEvv,"axG",@progbits,_ZN7rocprim17ROCPRIM_400000_NS6detail44device_merge_sort_compile_time_verifier_archINS1_11comp_targetILNS1_3genE2ELNS1_11target_archE906ELNS1_3gpuE6ELNS1_3repE0EEES8_NS1_28merge_sort_block_sort_configILj256ELj4ELNS0_20block_sort_algorithmE0EEENS0_14default_configENS1_37merge_sort_block_sort_config_selectorIsNS0_10empty_typeEEENS1_38merge_sort_block_merge_config_selectorIsSE_EEEEvv,comdat
	.protected	_ZN7rocprim17ROCPRIM_400000_NS6detail44device_merge_sort_compile_time_verifier_archINS1_11comp_targetILNS1_3genE2ELNS1_11target_archE906ELNS1_3gpuE6ELNS1_3repE0EEES8_NS1_28merge_sort_block_sort_configILj256ELj4ELNS0_20block_sort_algorithmE0EEENS0_14default_configENS1_37merge_sort_block_sort_config_selectorIsNS0_10empty_typeEEENS1_38merge_sort_block_merge_config_selectorIsSE_EEEEvv ; -- Begin function _ZN7rocprim17ROCPRIM_400000_NS6detail44device_merge_sort_compile_time_verifier_archINS1_11comp_targetILNS1_3genE2ELNS1_11target_archE906ELNS1_3gpuE6ELNS1_3repE0EEES8_NS1_28merge_sort_block_sort_configILj256ELj4ELNS0_20block_sort_algorithmE0EEENS0_14default_configENS1_37merge_sort_block_sort_config_selectorIsNS0_10empty_typeEEENS1_38merge_sort_block_merge_config_selectorIsSE_EEEEvv
	.globl	_ZN7rocprim17ROCPRIM_400000_NS6detail44device_merge_sort_compile_time_verifier_archINS1_11comp_targetILNS1_3genE2ELNS1_11target_archE906ELNS1_3gpuE6ELNS1_3repE0EEES8_NS1_28merge_sort_block_sort_configILj256ELj4ELNS0_20block_sort_algorithmE0EEENS0_14default_configENS1_37merge_sort_block_sort_config_selectorIsNS0_10empty_typeEEENS1_38merge_sort_block_merge_config_selectorIsSE_EEEEvv
	.p2align	8
	.type	_ZN7rocprim17ROCPRIM_400000_NS6detail44device_merge_sort_compile_time_verifier_archINS1_11comp_targetILNS1_3genE2ELNS1_11target_archE906ELNS1_3gpuE6ELNS1_3repE0EEES8_NS1_28merge_sort_block_sort_configILj256ELj4ELNS0_20block_sort_algorithmE0EEENS0_14default_configENS1_37merge_sort_block_sort_config_selectorIsNS0_10empty_typeEEENS1_38merge_sort_block_merge_config_selectorIsSE_EEEEvv,@function
_ZN7rocprim17ROCPRIM_400000_NS6detail44device_merge_sort_compile_time_verifier_archINS1_11comp_targetILNS1_3genE2ELNS1_11target_archE906ELNS1_3gpuE6ELNS1_3repE0EEES8_NS1_28merge_sort_block_sort_configILj256ELj4ELNS0_20block_sort_algorithmE0EEENS0_14default_configENS1_37merge_sort_block_sort_config_selectorIsNS0_10empty_typeEEENS1_38merge_sort_block_merge_config_selectorIsSE_EEEEvv: ; @_ZN7rocprim17ROCPRIM_400000_NS6detail44device_merge_sort_compile_time_verifier_archINS1_11comp_targetILNS1_3genE2ELNS1_11target_archE906ELNS1_3gpuE6ELNS1_3repE0EEES8_NS1_28merge_sort_block_sort_configILj256ELj4ELNS0_20block_sort_algorithmE0EEENS0_14default_configENS1_37merge_sort_block_sort_config_selectorIsNS0_10empty_typeEEENS1_38merge_sort_block_merge_config_selectorIsSE_EEEEvv
; %bb.0:
	s_endpgm
	.section	.rodata,"a",@progbits
	.p2align	6, 0x0
	.amdhsa_kernel _ZN7rocprim17ROCPRIM_400000_NS6detail44device_merge_sort_compile_time_verifier_archINS1_11comp_targetILNS1_3genE2ELNS1_11target_archE906ELNS1_3gpuE6ELNS1_3repE0EEES8_NS1_28merge_sort_block_sort_configILj256ELj4ELNS0_20block_sort_algorithmE0EEENS0_14default_configENS1_37merge_sort_block_sort_config_selectorIsNS0_10empty_typeEEENS1_38merge_sort_block_merge_config_selectorIsSE_EEEEvv
		.amdhsa_group_segment_fixed_size 0
		.amdhsa_private_segment_fixed_size 0
		.amdhsa_kernarg_size 0
		.amdhsa_user_sgpr_count 0
		.amdhsa_user_sgpr_dispatch_ptr 0
		.amdhsa_user_sgpr_queue_ptr 0
		.amdhsa_user_sgpr_kernarg_segment_ptr 0
		.amdhsa_user_sgpr_dispatch_id 0
		.amdhsa_user_sgpr_kernarg_preload_length 0
		.amdhsa_user_sgpr_kernarg_preload_offset 0
		.amdhsa_user_sgpr_private_segment_size 0
		.amdhsa_uses_dynamic_stack 0
		.amdhsa_enable_private_segment 0
		.amdhsa_system_sgpr_workgroup_id_x 1
		.amdhsa_system_sgpr_workgroup_id_y 0
		.amdhsa_system_sgpr_workgroup_id_z 0
		.amdhsa_system_sgpr_workgroup_info 0
		.amdhsa_system_vgpr_workitem_id 0
		.amdhsa_next_free_vgpr 1
		.amdhsa_next_free_sgpr 0
		.amdhsa_accum_offset 4
		.amdhsa_reserve_vcc 0
		.amdhsa_float_round_mode_32 0
		.amdhsa_float_round_mode_16_64 0
		.amdhsa_float_denorm_mode_32 3
		.amdhsa_float_denorm_mode_16_64 3
		.amdhsa_dx10_clamp 1
		.amdhsa_ieee_mode 1
		.amdhsa_fp16_overflow 0
		.amdhsa_tg_split 0
		.amdhsa_exception_fp_ieee_invalid_op 0
		.amdhsa_exception_fp_denorm_src 0
		.amdhsa_exception_fp_ieee_div_zero 0
		.amdhsa_exception_fp_ieee_overflow 0
		.amdhsa_exception_fp_ieee_underflow 0
		.amdhsa_exception_fp_ieee_inexact 0
		.amdhsa_exception_int_div_zero 0
	.end_amdhsa_kernel
	.section	.text._ZN7rocprim17ROCPRIM_400000_NS6detail44device_merge_sort_compile_time_verifier_archINS1_11comp_targetILNS1_3genE2ELNS1_11target_archE906ELNS1_3gpuE6ELNS1_3repE0EEES8_NS1_28merge_sort_block_sort_configILj256ELj4ELNS0_20block_sort_algorithmE0EEENS0_14default_configENS1_37merge_sort_block_sort_config_selectorIsNS0_10empty_typeEEENS1_38merge_sort_block_merge_config_selectorIsSE_EEEEvv,"axG",@progbits,_ZN7rocprim17ROCPRIM_400000_NS6detail44device_merge_sort_compile_time_verifier_archINS1_11comp_targetILNS1_3genE2ELNS1_11target_archE906ELNS1_3gpuE6ELNS1_3repE0EEES8_NS1_28merge_sort_block_sort_configILj256ELj4ELNS0_20block_sort_algorithmE0EEENS0_14default_configENS1_37merge_sort_block_sort_config_selectorIsNS0_10empty_typeEEENS1_38merge_sort_block_merge_config_selectorIsSE_EEEEvv,comdat
.Lfunc_end1813:
	.size	_ZN7rocprim17ROCPRIM_400000_NS6detail44device_merge_sort_compile_time_verifier_archINS1_11comp_targetILNS1_3genE2ELNS1_11target_archE906ELNS1_3gpuE6ELNS1_3repE0EEES8_NS1_28merge_sort_block_sort_configILj256ELj4ELNS0_20block_sort_algorithmE0EEENS0_14default_configENS1_37merge_sort_block_sort_config_selectorIsNS0_10empty_typeEEENS1_38merge_sort_block_merge_config_selectorIsSE_EEEEvv, .Lfunc_end1813-_ZN7rocprim17ROCPRIM_400000_NS6detail44device_merge_sort_compile_time_verifier_archINS1_11comp_targetILNS1_3genE2ELNS1_11target_archE906ELNS1_3gpuE6ELNS1_3repE0EEES8_NS1_28merge_sort_block_sort_configILj256ELj4ELNS0_20block_sort_algorithmE0EEENS0_14default_configENS1_37merge_sort_block_sort_config_selectorIsNS0_10empty_typeEEENS1_38merge_sort_block_merge_config_selectorIsSE_EEEEvv
                                        ; -- End function
	.section	.AMDGPU.csdata,"",@progbits
; Kernel info:
; codeLenInByte = 4
; NumSgprs: 6
; NumVgprs: 0
; NumAgprs: 0
; TotalNumVgprs: 0
; ScratchSize: 0
; MemoryBound: 0
; FloatMode: 240
; IeeeMode: 1
; LDSByteSize: 0 bytes/workgroup (compile time only)
; SGPRBlocks: 0
; VGPRBlocks: 0
; NumSGPRsForWavesPerEU: 6
; NumVGPRsForWavesPerEU: 1
; AccumOffset: 4
; Occupancy: 8
; WaveLimiterHint : 0
; COMPUTE_PGM_RSRC2:SCRATCH_EN: 0
; COMPUTE_PGM_RSRC2:USER_SGPR: 0
; COMPUTE_PGM_RSRC2:TRAP_HANDLER: 0
; COMPUTE_PGM_RSRC2:TGID_X_EN: 1
; COMPUTE_PGM_RSRC2:TGID_Y_EN: 0
; COMPUTE_PGM_RSRC2:TGID_Z_EN: 0
; COMPUTE_PGM_RSRC2:TIDIG_COMP_CNT: 0
; COMPUTE_PGM_RSRC3_GFX90A:ACCUM_OFFSET: 0
; COMPUTE_PGM_RSRC3_GFX90A:TG_SPLIT: 0
	.section	.text._ZN7rocprim17ROCPRIM_400000_NS6detail44device_merge_sort_compile_time_verifier_archINS1_11comp_targetILNS1_3genE10ELNS1_11target_archE1201ELNS1_3gpuE5ELNS1_3repE0EEES8_NS1_28merge_sort_block_sort_configILj256ELj4ELNS0_20block_sort_algorithmE0EEENS0_14default_configENS1_37merge_sort_block_sort_config_selectorIsNS0_10empty_typeEEENS1_38merge_sort_block_merge_config_selectorIsSE_EEEEvv,"axG",@progbits,_ZN7rocprim17ROCPRIM_400000_NS6detail44device_merge_sort_compile_time_verifier_archINS1_11comp_targetILNS1_3genE10ELNS1_11target_archE1201ELNS1_3gpuE5ELNS1_3repE0EEES8_NS1_28merge_sort_block_sort_configILj256ELj4ELNS0_20block_sort_algorithmE0EEENS0_14default_configENS1_37merge_sort_block_sort_config_selectorIsNS0_10empty_typeEEENS1_38merge_sort_block_merge_config_selectorIsSE_EEEEvv,comdat
	.protected	_ZN7rocprim17ROCPRIM_400000_NS6detail44device_merge_sort_compile_time_verifier_archINS1_11comp_targetILNS1_3genE10ELNS1_11target_archE1201ELNS1_3gpuE5ELNS1_3repE0EEES8_NS1_28merge_sort_block_sort_configILj256ELj4ELNS0_20block_sort_algorithmE0EEENS0_14default_configENS1_37merge_sort_block_sort_config_selectorIsNS0_10empty_typeEEENS1_38merge_sort_block_merge_config_selectorIsSE_EEEEvv ; -- Begin function _ZN7rocprim17ROCPRIM_400000_NS6detail44device_merge_sort_compile_time_verifier_archINS1_11comp_targetILNS1_3genE10ELNS1_11target_archE1201ELNS1_3gpuE5ELNS1_3repE0EEES8_NS1_28merge_sort_block_sort_configILj256ELj4ELNS0_20block_sort_algorithmE0EEENS0_14default_configENS1_37merge_sort_block_sort_config_selectorIsNS0_10empty_typeEEENS1_38merge_sort_block_merge_config_selectorIsSE_EEEEvv
	.globl	_ZN7rocprim17ROCPRIM_400000_NS6detail44device_merge_sort_compile_time_verifier_archINS1_11comp_targetILNS1_3genE10ELNS1_11target_archE1201ELNS1_3gpuE5ELNS1_3repE0EEES8_NS1_28merge_sort_block_sort_configILj256ELj4ELNS0_20block_sort_algorithmE0EEENS0_14default_configENS1_37merge_sort_block_sort_config_selectorIsNS0_10empty_typeEEENS1_38merge_sort_block_merge_config_selectorIsSE_EEEEvv
	.p2align	8
	.type	_ZN7rocprim17ROCPRIM_400000_NS6detail44device_merge_sort_compile_time_verifier_archINS1_11comp_targetILNS1_3genE10ELNS1_11target_archE1201ELNS1_3gpuE5ELNS1_3repE0EEES8_NS1_28merge_sort_block_sort_configILj256ELj4ELNS0_20block_sort_algorithmE0EEENS0_14default_configENS1_37merge_sort_block_sort_config_selectorIsNS0_10empty_typeEEENS1_38merge_sort_block_merge_config_selectorIsSE_EEEEvv,@function
_ZN7rocprim17ROCPRIM_400000_NS6detail44device_merge_sort_compile_time_verifier_archINS1_11comp_targetILNS1_3genE10ELNS1_11target_archE1201ELNS1_3gpuE5ELNS1_3repE0EEES8_NS1_28merge_sort_block_sort_configILj256ELj4ELNS0_20block_sort_algorithmE0EEENS0_14default_configENS1_37merge_sort_block_sort_config_selectorIsNS0_10empty_typeEEENS1_38merge_sort_block_merge_config_selectorIsSE_EEEEvv: ; @_ZN7rocprim17ROCPRIM_400000_NS6detail44device_merge_sort_compile_time_verifier_archINS1_11comp_targetILNS1_3genE10ELNS1_11target_archE1201ELNS1_3gpuE5ELNS1_3repE0EEES8_NS1_28merge_sort_block_sort_configILj256ELj4ELNS0_20block_sort_algorithmE0EEENS0_14default_configENS1_37merge_sort_block_sort_config_selectorIsNS0_10empty_typeEEENS1_38merge_sort_block_merge_config_selectorIsSE_EEEEvv
; %bb.0:
	s_endpgm
	.section	.rodata,"a",@progbits
	.p2align	6, 0x0
	.amdhsa_kernel _ZN7rocprim17ROCPRIM_400000_NS6detail44device_merge_sort_compile_time_verifier_archINS1_11comp_targetILNS1_3genE10ELNS1_11target_archE1201ELNS1_3gpuE5ELNS1_3repE0EEES8_NS1_28merge_sort_block_sort_configILj256ELj4ELNS0_20block_sort_algorithmE0EEENS0_14default_configENS1_37merge_sort_block_sort_config_selectorIsNS0_10empty_typeEEENS1_38merge_sort_block_merge_config_selectorIsSE_EEEEvv
		.amdhsa_group_segment_fixed_size 0
		.amdhsa_private_segment_fixed_size 0
		.amdhsa_kernarg_size 0
		.amdhsa_user_sgpr_count 0
		.amdhsa_user_sgpr_dispatch_ptr 0
		.amdhsa_user_sgpr_queue_ptr 0
		.amdhsa_user_sgpr_kernarg_segment_ptr 0
		.amdhsa_user_sgpr_dispatch_id 0
		.amdhsa_user_sgpr_kernarg_preload_length 0
		.amdhsa_user_sgpr_kernarg_preload_offset 0
		.amdhsa_user_sgpr_private_segment_size 0
		.amdhsa_uses_dynamic_stack 0
		.amdhsa_enable_private_segment 0
		.amdhsa_system_sgpr_workgroup_id_x 1
		.amdhsa_system_sgpr_workgroup_id_y 0
		.amdhsa_system_sgpr_workgroup_id_z 0
		.amdhsa_system_sgpr_workgroup_info 0
		.amdhsa_system_vgpr_workitem_id 0
		.amdhsa_next_free_vgpr 1
		.amdhsa_next_free_sgpr 0
		.amdhsa_accum_offset 4
		.amdhsa_reserve_vcc 0
		.amdhsa_float_round_mode_32 0
		.amdhsa_float_round_mode_16_64 0
		.amdhsa_float_denorm_mode_32 3
		.amdhsa_float_denorm_mode_16_64 3
		.amdhsa_dx10_clamp 1
		.amdhsa_ieee_mode 1
		.amdhsa_fp16_overflow 0
		.amdhsa_tg_split 0
		.amdhsa_exception_fp_ieee_invalid_op 0
		.amdhsa_exception_fp_denorm_src 0
		.amdhsa_exception_fp_ieee_div_zero 0
		.amdhsa_exception_fp_ieee_overflow 0
		.amdhsa_exception_fp_ieee_underflow 0
		.amdhsa_exception_fp_ieee_inexact 0
		.amdhsa_exception_int_div_zero 0
	.end_amdhsa_kernel
	.section	.text._ZN7rocprim17ROCPRIM_400000_NS6detail44device_merge_sort_compile_time_verifier_archINS1_11comp_targetILNS1_3genE10ELNS1_11target_archE1201ELNS1_3gpuE5ELNS1_3repE0EEES8_NS1_28merge_sort_block_sort_configILj256ELj4ELNS0_20block_sort_algorithmE0EEENS0_14default_configENS1_37merge_sort_block_sort_config_selectorIsNS0_10empty_typeEEENS1_38merge_sort_block_merge_config_selectorIsSE_EEEEvv,"axG",@progbits,_ZN7rocprim17ROCPRIM_400000_NS6detail44device_merge_sort_compile_time_verifier_archINS1_11comp_targetILNS1_3genE10ELNS1_11target_archE1201ELNS1_3gpuE5ELNS1_3repE0EEES8_NS1_28merge_sort_block_sort_configILj256ELj4ELNS0_20block_sort_algorithmE0EEENS0_14default_configENS1_37merge_sort_block_sort_config_selectorIsNS0_10empty_typeEEENS1_38merge_sort_block_merge_config_selectorIsSE_EEEEvv,comdat
.Lfunc_end1814:
	.size	_ZN7rocprim17ROCPRIM_400000_NS6detail44device_merge_sort_compile_time_verifier_archINS1_11comp_targetILNS1_3genE10ELNS1_11target_archE1201ELNS1_3gpuE5ELNS1_3repE0EEES8_NS1_28merge_sort_block_sort_configILj256ELj4ELNS0_20block_sort_algorithmE0EEENS0_14default_configENS1_37merge_sort_block_sort_config_selectorIsNS0_10empty_typeEEENS1_38merge_sort_block_merge_config_selectorIsSE_EEEEvv, .Lfunc_end1814-_ZN7rocprim17ROCPRIM_400000_NS6detail44device_merge_sort_compile_time_verifier_archINS1_11comp_targetILNS1_3genE10ELNS1_11target_archE1201ELNS1_3gpuE5ELNS1_3repE0EEES8_NS1_28merge_sort_block_sort_configILj256ELj4ELNS0_20block_sort_algorithmE0EEENS0_14default_configENS1_37merge_sort_block_sort_config_selectorIsNS0_10empty_typeEEENS1_38merge_sort_block_merge_config_selectorIsSE_EEEEvv
                                        ; -- End function
	.section	.AMDGPU.csdata,"",@progbits
; Kernel info:
; codeLenInByte = 4
; NumSgprs: 6
; NumVgprs: 0
; NumAgprs: 0
; TotalNumVgprs: 0
; ScratchSize: 0
; MemoryBound: 0
; FloatMode: 240
; IeeeMode: 1
; LDSByteSize: 0 bytes/workgroup (compile time only)
; SGPRBlocks: 0
; VGPRBlocks: 0
; NumSGPRsForWavesPerEU: 6
; NumVGPRsForWavesPerEU: 1
; AccumOffset: 4
; Occupancy: 8
; WaveLimiterHint : 0
; COMPUTE_PGM_RSRC2:SCRATCH_EN: 0
; COMPUTE_PGM_RSRC2:USER_SGPR: 0
; COMPUTE_PGM_RSRC2:TRAP_HANDLER: 0
; COMPUTE_PGM_RSRC2:TGID_X_EN: 1
; COMPUTE_PGM_RSRC2:TGID_Y_EN: 0
; COMPUTE_PGM_RSRC2:TGID_Z_EN: 0
; COMPUTE_PGM_RSRC2:TIDIG_COMP_CNT: 0
; COMPUTE_PGM_RSRC3_GFX90A:ACCUM_OFFSET: 0
; COMPUTE_PGM_RSRC3_GFX90A:TG_SPLIT: 0
	.section	.text._ZN7rocprim17ROCPRIM_400000_NS6detail44device_merge_sort_compile_time_verifier_archINS1_11comp_targetILNS1_3genE10ELNS1_11target_archE1200ELNS1_3gpuE4ELNS1_3repE0EEENS3_ILS4_10ELS5_1201ELS6_5ELS7_0EEENS1_28merge_sort_block_sort_configILj256ELj4ELNS0_20block_sort_algorithmE0EEENS0_14default_configENS1_37merge_sort_block_sort_config_selectorIsNS0_10empty_typeEEENS1_38merge_sort_block_merge_config_selectorIsSF_EEEEvv,"axG",@progbits,_ZN7rocprim17ROCPRIM_400000_NS6detail44device_merge_sort_compile_time_verifier_archINS1_11comp_targetILNS1_3genE10ELNS1_11target_archE1200ELNS1_3gpuE4ELNS1_3repE0EEENS3_ILS4_10ELS5_1201ELS6_5ELS7_0EEENS1_28merge_sort_block_sort_configILj256ELj4ELNS0_20block_sort_algorithmE0EEENS0_14default_configENS1_37merge_sort_block_sort_config_selectorIsNS0_10empty_typeEEENS1_38merge_sort_block_merge_config_selectorIsSF_EEEEvv,comdat
	.protected	_ZN7rocprim17ROCPRIM_400000_NS6detail44device_merge_sort_compile_time_verifier_archINS1_11comp_targetILNS1_3genE10ELNS1_11target_archE1200ELNS1_3gpuE4ELNS1_3repE0EEENS3_ILS4_10ELS5_1201ELS6_5ELS7_0EEENS1_28merge_sort_block_sort_configILj256ELj4ELNS0_20block_sort_algorithmE0EEENS0_14default_configENS1_37merge_sort_block_sort_config_selectorIsNS0_10empty_typeEEENS1_38merge_sort_block_merge_config_selectorIsSF_EEEEvv ; -- Begin function _ZN7rocprim17ROCPRIM_400000_NS6detail44device_merge_sort_compile_time_verifier_archINS1_11comp_targetILNS1_3genE10ELNS1_11target_archE1200ELNS1_3gpuE4ELNS1_3repE0EEENS3_ILS4_10ELS5_1201ELS6_5ELS7_0EEENS1_28merge_sort_block_sort_configILj256ELj4ELNS0_20block_sort_algorithmE0EEENS0_14default_configENS1_37merge_sort_block_sort_config_selectorIsNS0_10empty_typeEEENS1_38merge_sort_block_merge_config_selectorIsSF_EEEEvv
	.globl	_ZN7rocprim17ROCPRIM_400000_NS6detail44device_merge_sort_compile_time_verifier_archINS1_11comp_targetILNS1_3genE10ELNS1_11target_archE1200ELNS1_3gpuE4ELNS1_3repE0EEENS3_ILS4_10ELS5_1201ELS6_5ELS7_0EEENS1_28merge_sort_block_sort_configILj256ELj4ELNS0_20block_sort_algorithmE0EEENS0_14default_configENS1_37merge_sort_block_sort_config_selectorIsNS0_10empty_typeEEENS1_38merge_sort_block_merge_config_selectorIsSF_EEEEvv
	.p2align	8
	.type	_ZN7rocprim17ROCPRIM_400000_NS6detail44device_merge_sort_compile_time_verifier_archINS1_11comp_targetILNS1_3genE10ELNS1_11target_archE1200ELNS1_3gpuE4ELNS1_3repE0EEENS3_ILS4_10ELS5_1201ELS6_5ELS7_0EEENS1_28merge_sort_block_sort_configILj256ELj4ELNS0_20block_sort_algorithmE0EEENS0_14default_configENS1_37merge_sort_block_sort_config_selectorIsNS0_10empty_typeEEENS1_38merge_sort_block_merge_config_selectorIsSF_EEEEvv,@function
_ZN7rocprim17ROCPRIM_400000_NS6detail44device_merge_sort_compile_time_verifier_archINS1_11comp_targetILNS1_3genE10ELNS1_11target_archE1200ELNS1_3gpuE4ELNS1_3repE0EEENS3_ILS4_10ELS5_1201ELS6_5ELS7_0EEENS1_28merge_sort_block_sort_configILj256ELj4ELNS0_20block_sort_algorithmE0EEENS0_14default_configENS1_37merge_sort_block_sort_config_selectorIsNS0_10empty_typeEEENS1_38merge_sort_block_merge_config_selectorIsSF_EEEEvv: ; @_ZN7rocprim17ROCPRIM_400000_NS6detail44device_merge_sort_compile_time_verifier_archINS1_11comp_targetILNS1_3genE10ELNS1_11target_archE1200ELNS1_3gpuE4ELNS1_3repE0EEENS3_ILS4_10ELS5_1201ELS6_5ELS7_0EEENS1_28merge_sort_block_sort_configILj256ELj4ELNS0_20block_sort_algorithmE0EEENS0_14default_configENS1_37merge_sort_block_sort_config_selectorIsNS0_10empty_typeEEENS1_38merge_sort_block_merge_config_selectorIsSF_EEEEvv
; %bb.0:
	s_endpgm
	.section	.rodata,"a",@progbits
	.p2align	6, 0x0
	.amdhsa_kernel _ZN7rocprim17ROCPRIM_400000_NS6detail44device_merge_sort_compile_time_verifier_archINS1_11comp_targetILNS1_3genE10ELNS1_11target_archE1200ELNS1_3gpuE4ELNS1_3repE0EEENS3_ILS4_10ELS5_1201ELS6_5ELS7_0EEENS1_28merge_sort_block_sort_configILj256ELj4ELNS0_20block_sort_algorithmE0EEENS0_14default_configENS1_37merge_sort_block_sort_config_selectorIsNS0_10empty_typeEEENS1_38merge_sort_block_merge_config_selectorIsSF_EEEEvv
		.amdhsa_group_segment_fixed_size 0
		.amdhsa_private_segment_fixed_size 0
		.amdhsa_kernarg_size 0
		.amdhsa_user_sgpr_count 0
		.amdhsa_user_sgpr_dispatch_ptr 0
		.amdhsa_user_sgpr_queue_ptr 0
		.amdhsa_user_sgpr_kernarg_segment_ptr 0
		.amdhsa_user_sgpr_dispatch_id 0
		.amdhsa_user_sgpr_kernarg_preload_length 0
		.amdhsa_user_sgpr_kernarg_preload_offset 0
		.amdhsa_user_sgpr_private_segment_size 0
		.amdhsa_uses_dynamic_stack 0
		.amdhsa_enable_private_segment 0
		.amdhsa_system_sgpr_workgroup_id_x 1
		.amdhsa_system_sgpr_workgroup_id_y 0
		.amdhsa_system_sgpr_workgroup_id_z 0
		.amdhsa_system_sgpr_workgroup_info 0
		.amdhsa_system_vgpr_workitem_id 0
		.amdhsa_next_free_vgpr 1
		.amdhsa_next_free_sgpr 0
		.amdhsa_accum_offset 4
		.amdhsa_reserve_vcc 0
		.amdhsa_float_round_mode_32 0
		.amdhsa_float_round_mode_16_64 0
		.amdhsa_float_denorm_mode_32 3
		.amdhsa_float_denorm_mode_16_64 3
		.amdhsa_dx10_clamp 1
		.amdhsa_ieee_mode 1
		.amdhsa_fp16_overflow 0
		.amdhsa_tg_split 0
		.amdhsa_exception_fp_ieee_invalid_op 0
		.amdhsa_exception_fp_denorm_src 0
		.amdhsa_exception_fp_ieee_div_zero 0
		.amdhsa_exception_fp_ieee_overflow 0
		.amdhsa_exception_fp_ieee_underflow 0
		.amdhsa_exception_fp_ieee_inexact 0
		.amdhsa_exception_int_div_zero 0
	.end_amdhsa_kernel
	.section	.text._ZN7rocprim17ROCPRIM_400000_NS6detail44device_merge_sort_compile_time_verifier_archINS1_11comp_targetILNS1_3genE10ELNS1_11target_archE1200ELNS1_3gpuE4ELNS1_3repE0EEENS3_ILS4_10ELS5_1201ELS6_5ELS7_0EEENS1_28merge_sort_block_sort_configILj256ELj4ELNS0_20block_sort_algorithmE0EEENS0_14default_configENS1_37merge_sort_block_sort_config_selectorIsNS0_10empty_typeEEENS1_38merge_sort_block_merge_config_selectorIsSF_EEEEvv,"axG",@progbits,_ZN7rocprim17ROCPRIM_400000_NS6detail44device_merge_sort_compile_time_verifier_archINS1_11comp_targetILNS1_3genE10ELNS1_11target_archE1200ELNS1_3gpuE4ELNS1_3repE0EEENS3_ILS4_10ELS5_1201ELS6_5ELS7_0EEENS1_28merge_sort_block_sort_configILj256ELj4ELNS0_20block_sort_algorithmE0EEENS0_14default_configENS1_37merge_sort_block_sort_config_selectorIsNS0_10empty_typeEEENS1_38merge_sort_block_merge_config_selectorIsSF_EEEEvv,comdat
.Lfunc_end1815:
	.size	_ZN7rocprim17ROCPRIM_400000_NS6detail44device_merge_sort_compile_time_verifier_archINS1_11comp_targetILNS1_3genE10ELNS1_11target_archE1200ELNS1_3gpuE4ELNS1_3repE0EEENS3_ILS4_10ELS5_1201ELS6_5ELS7_0EEENS1_28merge_sort_block_sort_configILj256ELj4ELNS0_20block_sort_algorithmE0EEENS0_14default_configENS1_37merge_sort_block_sort_config_selectorIsNS0_10empty_typeEEENS1_38merge_sort_block_merge_config_selectorIsSF_EEEEvv, .Lfunc_end1815-_ZN7rocprim17ROCPRIM_400000_NS6detail44device_merge_sort_compile_time_verifier_archINS1_11comp_targetILNS1_3genE10ELNS1_11target_archE1200ELNS1_3gpuE4ELNS1_3repE0EEENS3_ILS4_10ELS5_1201ELS6_5ELS7_0EEENS1_28merge_sort_block_sort_configILj256ELj4ELNS0_20block_sort_algorithmE0EEENS0_14default_configENS1_37merge_sort_block_sort_config_selectorIsNS0_10empty_typeEEENS1_38merge_sort_block_merge_config_selectorIsSF_EEEEvv
                                        ; -- End function
	.section	.AMDGPU.csdata,"",@progbits
; Kernel info:
; codeLenInByte = 4
; NumSgprs: 6
; NumVgprs: 0
; NumAgprs: 0
; TotalNumVgprs: 0
; ScratchSize: 0
; MemoryBound: 0
; FloatMode: 240
; IeeeMode: 1
; LDSByteSize: 0 bytes/workgroup (compile time only)
; SGPRBlocks: 0
; VGPRBlocks: 0
; NumSGPRsForWavesPerEU: 6
; NumVGPRsForWavesPerEU: 1
; AccumOffset: 4
; Occupancy: 8
; WaveLimiterHint : 0
; COMPUTE_PGM_RSRC2:SCRATCH_EN: 0
; COMPUTE_PGM_RSRC2:USER_SGPR: 0
; COMPUTE_PGM_RSRC2:TRAP_HANDLER: 0
; COMPUTE_PGM_RSRC2:TGID_X_EN: 1
; COMPUTE_PGM_RSRC2:TGID_Y_EN: 0
; COMPUTE_PGM_RSRC2:TGID_Z_EN: 0
; COMPUTE_PGM_RSRC2:TIDIG_COMP_CNT: 0
; COMPUTE_PGM_RSRC3_GFX90A:ACCUM_OFFSET: 0
; COMPUTE_PGM_RSRC3_GFX90A:TG_SPLIT: 0
	.section	.text._ZN7rocprim17ROCPRIM_400000_NS6detail44device_merge_sort_compile_time_verifier_archINS1_11comp_targetILNS1_3genE9ELNS1_11target_archE1100ELNS1_3gpuE3ELNS1_3repE0EEES8_NS1_28merge_sort_block_sort_configILj256ELj4ELNS0_20block_sort_algorithmE0EEENS0_14default_configENS1_37merge_sort_block_sort_config_selectorIsNS0_10empty_typeEEENS1_38merge_sort_block_merge_config_selectorIsSE_EEEEvv,"axG",@progbits,_ZN7rocprim17ROCPRIM_400000_NS6detail44device_merge_sort_compile_time_verifier_archINS1_11comp_targetILNS1_3genE9ELNS1_11target_archE1100ELNS1_3gpuE3ELNS1_3repE0EEES8_NS1_28merge_sort_block_sort_configILj256ELj4ELNS0_20block_sort_algorithmE0EEENS0_14default_configENS1_37merge_sort_block_sort_config_selectorIsNS0_10empty_typeEEENS1_38merge_sort_block_merge_config_selectorIsSE_EEEEvv,comdat
	.protected	_ZN7rocprim17ROCPRIM_400000_NS6detail44device_merge_sort_compile_time_verifier_archINS1_11comp_targetILNS1_3genE9ELNS1_11target_archE1100ELNS1_3gpuE3ELNS1_3repE0EEES8_NS1_28merge_sort_block_sort_configILj256ELj4ELNS0_20block_sort_algorithmE0EEENS0_14default_configENS1_37merge_sort_block_sort_config_selectorIsNS0_10empty_typeEEENS1_38merge_sort_block_merge_config_selectorIsSE_EEEEvv ; -- Begin function _ZN7rocprim17ROCPRIM_400000_NS6detail44device_merge_sort_compile_time_verifier_archINS1_11comp_targetILNS1_3genE9ELNS1_11target_archE1100ELNS1_3gpuE3ELNS1_3repE0EEES8_NS1_28merge_sort_block_sort_configILj256ELj4ELNS0_20block_sort_algorithmE0EEENS0_14default_configENS1_37merge_sort_block_sort_config_selectorIsNS0_10empty_typeEEENS1_38merge_sort_block_merge_config_selectorIsSE_EEEEvv
	.globl	_ZN7rocprim17ROCPRIM_400000_NS6detail44device_merge_sort_compile_time_verifier_archINS1_11comp_targetILNS1_3genE9ELNS1_11target_archE1100ELNS1_3gpuE3ELNS1_3repE0EEES8_NS1_28merge_sort_block_sort_configILj256ELj4ELNS0_20block_sort_algorithmE0EEENS0_14default_configENS1_37merge_sort_block_sort_config_selectorIsNS0_10empty_typeEEENS1_38merge_sort_block_merge_config_selectorIsSE_EEEEvv
	.p2align	8
	.type	_ZN7rocprim17ROCPRIM_400000_NS6detail44device_merge_sort_compile_time_verifier_archINS1_11comp_targetILNS1_3genE9ELNS1_11target_archE1100ELNS1_3gpuE3ELNS1_3repE0EEES8_NS1_28merge_sort_block_sort_configILj256ELj4ELNS0_20block_sort_algorithmE0EEENS0_14default_configENS1_37merge_sort_block_sort_config_selectorIsNS0_10empty_typeEEENS1_38merge_sort_block_merge_config_selectorIsSE_EEEEvv,@function
_ZN7rocprim17ROCPRIM_400000_NS6detail44device_merge_sort_compile_time_verifier_archINS1_11comp_targetILNS1_3genE9ELNS1_11target_archE1100ELNS1_3gpuE3ELNS1_3repE0EEES8_NS1_28merge_sort_block_sort_configILj256ELj4ELNS0_20block_sort_algorithmE0EEENS0_14default_configENS1_37merge_sort_block_sort_config_selectorIsNS0_10empty_typeEEENS1_38merge_sort_block_merge_config_selectorIsSE_EEEEvv: ; @_ZN7rocprim17ROCPRIM_400000_NS6detail44device_merge_sort_compile_time_verifier_archINS1_11comp_targetILNS1_3genE9ELNS1_11target_archE1100ELNS1_3gpuE3ELNS1_3repE0EEES8_NS1_28merge_sort_block_sort_configILj256ELj4ELNS0_20block_sort_algorithmE0EEENS0_14default_configENS1_37merge_sort_block_sort_config_selectorIsNS0_10empty_typeEEENS1_38merge_sort_block_merge_config_selectorIsSE_EEEEvv
; %bb.0:
	s_endpgm
	.section	.rodata,"a",@progbits
	.p2align	6, 0x0
	.amdhsa_kernel _ZN7rocprim17ROCPRIM_400000_NS6detail44device_merge_sort_compile_time_verifier_archINS1_11comp_targetILNS1_3genE9ELNS1_11target_archE1100ELNS1_3gpuE3ELNS1_3repE0EEES8_NS1_28merge_sort_block_sort_configILj256ELj4ELNS0_20block_sort_algorithmE0EEENS0_14default_configENS1_37merge_sort_block_sort_config_selectorIsNS0_10empty_typeEEENS1_38merge_sort_block_merge_config_selectorIsSE_EEEEvv
		.amdhsa_group_segment_fixed_size 0
		.amdhsa_private_segment_fixed_size 0
		.amdhsa_kernarg_size 0
		.amdhsa_user_sgpr_count 0
		.amdhsa_user_sgpr_dispatch_ptr 0
		.amdhsa_user_sgpr_queue_ptr 0
		.amdhsa_user_sgpr_kernarg_segment_ptr 0
		.amdhsa_user_sgpr_dispatch_id 0
		.amdhsa_user_sgpr_kernarg_preload_length 0
		.amdhsa_user_sgpr_kernarg_preload_offset 0
		.amdhsa_user_sgpr_private_segment_size 0
		.amdhsa_uses_dynamic_stack 0
		.amdhsa_enable_private_segment 0
		.amdhsa_system_sgpr_workgroup_id_x 1
		.amdhsa_system_sgpr_workgroup_id_y 0
		.amdhsa_system_sgpr_workgroup_id_z 0
		.amdhsa_system_sgpr_workgroup_info 0
		.amdhsa_system_vgpr_workitem_id 0
		.amdhsa_next_free_vgpr 1
		.amdhsa_next_free_sgpr 0
		.amdhsa_accum_offset 4
		.amdhsa_reserve_vcc 0
		.amdhsa_float_round_mode_32 0
		.amdhsa_float_round_mode_16_64 0
		.amdhsa_float_denorm_mode_32 3
		.amdhsa_float_denorm_mode_16_64 3
		.amdhsa_dx10_clamp 1
		.amdhsa_ieee_mode 1
		.amdhsa_fp16_overflow 0
		.amdhsa_tg_split 0
		.amdhsa_exception_fp_ieee_invalid_op 0
		.amdhsa_exception_fp_denorm_src 0
		.amdhsa_exception_fp_ieee_div_zero 0
		.amdhsa_exception_fp_ieee_overflow 0
		.amdhsa_exception_fp_ieee_underflow 0
		.amdhsa_exception_fp_ieee_inexact 0
		.amdhsa_exception_int_div_zero 0
	.end_amdhsa_kernel
	.section	.text._ZN7rocprim17ROCPRIM_400000_NS6detail44device_merge_sort_compile_time_verifier_archINS1_11comp_targetILNS1_3genE9ELNS1_11target_archE1100ELNS1_3gpuE3ELNS1_3repE0EEES8_NS1_28merge_sort_block_sort_configILj256ELj4ELNS0_20block_sort_algorithmE0EEENS0_14default_configENS1_37merge_sort_block_sort_config_selectorIsNS0_10empty_typeEEENS1_38merge_sort_block_merge_config_selectorIsSE_EEEEvv,"axG",@progbits,_ZN7rocprim17ROCPRIM_400000_NS6detail44device_merge_sort_compile_time_verifier_archINS1_11comp_targetILNS1_3genE9ELNS1_11target_archE1100ELNS1_3gpuE3ELNS1_3repE0EEES8_NS1_28merge_sort_block_sort_configILj256ELj4ELNS0_20block_sort_algorithmE0EEENS0_14default_configENS1_37merge_sort_block_sort_config_selectorIsNS0_10empty_typeEEENS1_38merge_sort_block_merge_config_selectorIsSE_EEEEvv,comdat
.Lfunc_end1816:
	.size	_ZN7rocprim17ROCPRIM_400000_NS6detail44device_merge_sort_compile_time_verifier_archINS1_11comp_targetILNS1_3genE9ELNS1_11target_archE1100ELNS1_3gpuE3ELNS1_3repE0EEES8_NS1_28merge_sort_block_sort_configILj256ELj4ELNS0_20block_sort_algorithmE0EEENS0_14default_configENS1_37merge_sort_block_sort_config_selectorIsNS0_10empty_typeEEENS1_38merge_sort_block_merge_config_selectorIsSE_EEEEvv, .Lfunc_end1816-_ZN7rocprim17ROCPRIM_400000_NS6detail44device_merge_sort_compile_time_verifier_archINS1_11comp_targetILNS1_3genE9ELNS1_11target_archE1100ELNS1_3gpuE3ELNS1_3repE0EEES8_NS1_28merge_sort_block_sort_configILj256ELj4ELNS0_20block_sort_algorithmE0EEENS0_14default_configENS1_37merge_sort_block_sort_config_selectorIsNS0_10empty_typeEEENS1_38merge_sort_block_merge_config_selectorIsSE_EEEEvv
                                        ; -- End function
	.section	.AMDGPU.csdata,"",@progbits
; Kernel info:
; codeLenInByte = 4
; NumSgprs: 6
; NumVgprs: 0
; NumAgprs: 0
; TotalNumVgprs: 0
; ScratchSize: 0
; MemoryBound: 0
; FloatMode: 240
; IeeeMode: 1
; LDSByteSize: 0 bytes/workgroup (compile time only)
; SGPRBlocks: 0
; VGPRBlocks: 0
; NumSGPRsForWavesPerEU: 6
; NumVGPRsForWavesPerEU: 1
; AccumOffset: 4
; Occupancy: 8
; WaveLimiterHint : 0
; COMPUTE_PGM_RSRC2:SCRATCH_EN: 0
; COMPUTE_PGM_RSRC2:USER_SGPR: 0
; COMPUTE_PGM_RSRC2:TRAP_HANDLER: 0
; COMPUTE_PGM_RSRC2:TGID_X_EN: 1
; COMPUTE_PGM_RSRC2:TGID_Y_EN: 0
; COMPUTE_PGM_RSRC2:TGID_Z_EN: 0
; COMPUTE_PGM_RSRC2:TIDIG_COMP_CNT: 0
; COMPUTE_PGM_RSRC3_GFX90A:ACCUM_OFFSET: 0
; COMPUTE_PGM_RSRC3_GFX90A:TG_SPLIT: 0
	.section	.text._ZN7rocprim17ROCPRIM_400000_NS6detail44device_merge_sort_compile_time_verifier_archINS1_11comp_targetILNS1_3genE8ELNS1_11target_archE1030ELNS1_3gpuE2ELNS1_3repE0EEES8_NS1_28merge_sort_block_sort_configILj256ELj4ELNS0_20block_sort_algorithmE0EEENS0_14default_configENS1_37merge_sort_block_sort_config_selectorIsNS0_10empty_typeEEENS1_38merge_sort_block_merge_config_selectorIsSE_EEEEvv,"axG",@progbits,_ZN7rocprim17ROCPRIM_400000_NS6detail44device_merge_sort_compile_time_verifier_archINS1_11comp_targetILNS1_3genE8ELNS1_11target_archE1030ELNS1_3gpuE2ELNS1_3repE0EEES8_NS1_28merge_sort_block_sort_configILj256ELj4ELNS0_20block_sort_algorithmE0EEENS0_14default_configENS1_37merge_sort_block_sort_config_selectorIsNS0_10empty_typeEEENS1_38merge_sort_block_merge_config_selectorIsSE_EEEEvv,comdat
	.protected	_ZN7rocprim17ROCPRIM_400000_NS6detail44device_merge_sort_compile_time_verifier_archINS1_11comp_targetILNS1_3genE8ELNS1_11target_archE1030ELNS1_3gpuE2ELNS1_3repE0EEES8_NS1_28merge_sort_block_sort_configILj256ELj4ELNS0_20block_sort_algorithmE0EEENS0_14default_configENS1_37merge_sort_block_sort_config_selectorIsNS0_10empty_typeEEENS1_38merge_sort_block_merge_config_selectorIsSE_EEEEvv ; -- Begin function _ZN7rocprim17ROCPRIM_400000_NS6detail44device_merge_sort_compile_time_verifier_archINS1_11comp_targetILNS1_3genE8ELNS1_11target_archE1030ELNS1_3gpuE2ELNS1_3repE0EEES8_NS1_28merge_sort_block_sort_configILj256ELj4ELNS0_20block_sort_algorithmE0EEENS0_14default_configENS1_37merge_sort_block_sort_config_selectorIsNS0_10empty_typeEEENS1_38merge_sort_block_merge_config_selectorIsSE_EEEEvv
	.globl	_ZN7rocprim17ROCPRIM_400000_NS6detail44device_merge_sort_compile_time_verifier_archINS1_11comp_targetILNS1_3genE8ELNS1_11target_archE1030ELNS1_3gpuE2ELNS1_3repE0EEES8_NS1_28merge_sort_block_sort_configILj256ELj4ELNS0_20block_sort_algorithmE0EEENS0_14default_configENS1_37merge_sort_block_sort_config_selectorIsNS0_10empty_typeEEENS1_38merge_sort_block_merge_config_selectorIsSE_EEEEvv
	.p2align	8
	.type	_ZN7rocprim17ROCPRIM_400000_NS6detail44device_merge_sort_compile_time_verifier_archINS1_11comp_targetILNS1_3genE8ELNS1_11target_archE1030ELNS1_3gpuE2ELNS1_3repE0EEES8_NS1_28merge_sort_block_sort_configILj256ELj4ELNS0_20block_sort_algorithmE0EEENS0_14default_configENS1_37merge_sort_block_sort_config_selectorIsNS0_10empty_typeEEENS1_38merge_sort_block_merge_config_selectorIsSE_EEEEvv,@function
_ZN7rocprim17ROCPRIM_400000_NS6detail44device_merge_sort_compile_time_verifier_archINS1_11comp_targetILNS1_3genE8ELNS1_11target_archE1030ELNS1_3gpuE2ELNS1_3repE0EEES8_NS1_28merge_sort_block_sort_configILj256ELj4ELNS0_20block_sort_algorithmE0EEENS0_14default_configENS1_37merge_sort_block_sort_config_selectorIsNS0_10empty_typeEEENS1_38merge_sort_block_merge_config_selectorIsSE_EEEEvv: ; @_ZN7rocprim17ROCPRIM_400000_NS6detail44device_merge_sort_compile_time_verifier_archINS1_11comp_targetILNS1_3genE8ELNS1_11target_archE1030ELNS1_3gpuE2ELNS1_3repE0EEES8_NS1_28merge_sort_block_sort_configILj256ELj4ELNS0_20block_sort_algorithmE0EEENS0_14default_configENS1_37merge_sort_block_sort_config_selectorIsNS0_10empty_typeEEENS1_38merge_sort_block_merge_config_selectorIsSE_EEEEvv
; %bb.0:
	s_endpgm
	.section	.rodata,"a",@progbits
	.p2align	6, 0x0
	.amdhsa_kernel _ZN7rocprim17ROCPRIM_400000_NS6detail44device_merge_sort_compile_time_verifier_archINS1_11comp_targetILNS1_3genE8ELNS1_11target_archE1030ELNS1_3gpuE2ELNS1_3repE0EEES8_NS1_28merge_sort_block_sort_configILj256ELj4ELNS0_20block_sort_algorithmE0EEENS0_14default_configENS1_37merge_sort_block_sort_config_selectorIsNS0_10empty_typeEEENS1_38merge_sort_block_merge_config_selectorIsSE_EEEEvv
		.amdhsa_group_segment_fixed_size 0
		.amdhsa_private_segment_fixed_size 0
		.amdhsa_kernarg_size 0
		.amdhsa_user_sgpr_count 0
		.amdhsa_user_sgpr_dispatch_ptr 0
		.amdhsa_user_sgpr_queue_ptr 0
		.amdhsa_user_sgpr_kernarg_segment_ptr 0
		.amdhsa_user_sgpr_dispatch_id 0
		.amdhsa_user_sgpr_kernarg_preload_length 0
		.amdhsa_user_sgpr_kernarg_preload_offset 0
		.amdhsa_user_sgpr_private_segment_size 0
		.amdhsa_uses_dynamic_stack 0
		.amdhsa_enable_private_segment 0
		.amdhsa_system_sgpr_workgroup_id_x 1
		.amdhsa_system_sgpr_workgroup_id_y 0
		.amdhsa_system_sgpr_workgroup_id_z 0
		.amdhsa_system_sgpr_workgroup_info 0
		.amdhsa_system_vgpr_workitem_id 0
		.amdhsa_next_free_vgpr 1
		.amdhsa_next_free_sgpr 0
		.amdhsa_accum_offset 4
		.amdhsa_reserve_vcc 0
		.amdhsa_float_round_mode_32 0
		.amdhsa_float_round_mode_16_64 0
		.amdhsa_float_denorm_mode_32 3
		.amdhsa_float_denorm_mode_16_64 3
		.amdhsa_dx10_clamp 1
		.amdhsa_ieee_mode 1
		.amdhsa_fp16_overflow 0
		.amdhsa_tg_split 0
		.amdhsa_exception_fp_ieee_invalid_op 0
		.amdhsa_exception_fp_denorm_src 0
		.amdhsa_exception_fp_ieee_div_zero 0
		.amdhsa_exception_fp_ieee_overflow 0
		.amdhsa_exception_fp_ieee_underflow 0
		.amdhsa_exception_fp_ieee_inexact 0
		.amdhsa_exception_int_div_zero 0
	.end_amdhsa_kernel
	.section	.text._ZN7rocprim17ROCPRIM_400000_NS6detail44device_merge_sort_compile_time_verifier_archINS1_11comp_targetILNS1_3genE8ELNS1_11target_archE1030ELNS1_3gpuE2ELNS1_3repE0EEES8_NS1_28merge_sort_block_sort_configILj256ELj4ELNS0_20block_sort_algorithmE0EEENS0_14default_configENS1_37merge_sort_block_sort_config_selectorIsNS0_10empty_typeEEENS1_38merge_sort_block_merge_config_selectorIsSE_EEEEvv,"axG",@progbits,_ZN7rocprim17ROCPRIM_400000_NS6detail44device_merge_sort_compile_time_verifier_archINS1_11comp_targetILNS1_3genE8ELNS1_11target_archE1030ELNS1_3gpuE2ELNS1_3repE0EEES8_NS1_28merge_sort_block_sort_configILj256ELj4ELNS0_20block_sort_algorithmE0EEENS0_14default_configENS1_37merge_sort_block_sort_config_selectorIsNS0_10empty_typeEEENS1_38merge_sort_block_merge_config_selectorIsSE_EEEEvv,comdat
.Lfunc_end1817:
	.size	_ZN7rocprim17ROCPRIM_400000_NS6detail44device_merge_sort_compile_time_verifier_archINS1_11comp_targetILNS1_3genE8ELNS1_11target_archE1030ELNS1_3gpuE2ELNS1_3repE0EEES8_NS1_28merge_sort_block_sort_configILj256ELj4ELNS0_20block_sort_algorithmE0EEENS0_14default_configENS1_37merge_sort_block_sort_config_selectorIsNS0_10empty_typeEEENS1_38merge_sort_block_merge_config_selectorIsSE_EEEEvv, .Lfunc_end1817-_ZN7rocprim17ROCPRIM_400000_NS6detail44device_merge_sort_compile_time_verifier_archINS1_11comp_targetILNS1_3genE8ELNS1_11target_archE1030ELNS1_3gpuE2ELNS1_3repE0EEES8_NS1_28merge_sort_block_sort_configILj256ELj4ELNS0_20block_sort_algorithmE0EEENS0_14default_configENS1_37merge_sort_block_sort_config_selectorIsNS0_10empty_typeEEENS1_38merge_sort_block_merge_config_selectorIsSE_EEEEvv
                                        ; -- End function
	.section	.AMDGPU.csdata,"",@progbits
; Kernel info:
; codeLenInByte = 4
; NumSgprs: 6
; NumVgprs: 0
; NumAgprs: 0
; TotalNumVgprs: 0
; ScratchSize: 0
; MemoryBound: 0
; FloatMode: 240
; IeeeMode: 1
; LDSByteSize: 0 bytes/workgroup (compile time only)
; SGPRBlocks: 0
; VGPRBlocks: 0
; NumSGPRsForWavesPerEU: 6
; NumVGPRsForWavesPerEU: 1
; AccumOffset: 4
; Occupancy: 8
; WaveLimiterHint : 0
; COMPUTE_PGM_RSRC2:SCRATCH_EN: 0
; COMPUTE_PGM_RSRC2:USER_SGPR: 0
; COMPUTE_PGM_RSRC2:TRAP_HANDLER: 0
; COMPUTE_PGM_RSRC2:TGID_X_EN: 1
; COMPUTE_PGM_RSRC2:TGID_Y_EN: 0
; COMPUTE_PGM_RSRC2:TGID_Z_EN: 0
; COMPUTE_PGM_RSRC2:TIDIG_COMP_CNT: 0
; COMPUTE_PGM_RSRC3_GFX90A:ACCUM_OFFSET: 0
; COMPUTE_PGM_RSRC3_GFX90A:TG_SPLIT: 0
	.section	.text._ZN7rocprim17ROCPRIM_400000_NS6detail17trampoline_kernelINS0_14default_configENS1_38merge_sort_block_merge_config_selectorIsNS0_10empty_typeEEEZZNS1_27merge_sort_block_merge_implIS3_N6thrust23THRUST_200600_302600_NS6detail15normal_iteratorINS9_10device_ptrIsEEEEPS5_jNS1_19radix_merge_compareILb0ELb0EsNS0_19identity_decomposerEEEEE10hipError_tT0_T1_T2_jT3_P12ihipStream_tbPNSt15iterator_traitsISK_E10value_typeEPNSQ_ISL_E10value_typeEPSM_NS1_7vsmem_tEENKUlT_SK_SL_SM_E_clIPsSE_SF_SF_EESJ_SZ_SK_SL_SM_EUlSZ_E_NS1_11comp_targetILNS1_3genE0ELNS1_11target_archE4294967295ELNS1_3gpuE0ELNS1_3repE0EEENS1_48merge_mergepath_partition_config_static_selectorELNS0_4arch9wavefront6targetE1EEEvSL_,"axG",@progbits,_ZN7rocprim17ROCPRIM_400000_NS6detail17trampoline_kernelINS0_14default_configENS1_38merge_sort_block_merge_config_selectorIsNS0_10empty_typeEEEZZNS1_27merge_sort_block_merge_implIS3_N6thrust23THRUST_200600_302600_NS6detail15normal_iteratorINS9_10device_ptrIsEEEEPS5_jNS1_19radix_merge_compareILb0ELb0EsNS0_19identity_decomposerEEEEE10hipError_tT0_T1_T2_jT3_P12ihipStream_tbPNSt15iterator_traitsISK_E10value_typeEPNSQ_ISL_E10value_typeEPSM_NS1_7vsmem_tEENKUlT_SK_SL_SM_E_clIPsSE_SF_SF_EESJ_SZ_SK_SL_SM_EUlSZ_E_NS1_11comp_targetILNS1_3genE0ELNS1_11target_archE4294967295ELNS1_3gpuE0ELNS1_3repE0EEENS1_48merge_mergepath_partition_config_static_selectorELNS0_4arch9wavefront6targetE1EEEvSL_,comdat
	.protected	_ZN7rocprim17ROCPRIM_400000_NS6detail17trampoline_kernelINS0_14default_configENS1_38merge_sort_block_merge_config_selectorIsNS0_10empty_typeEEEZZNS1_27merge_sort_block_merge_implIS3_N6thrust23THRUST_200600_302600_NS6detail15normal_iteratorINS9_10device_ptrIsEEEEPS5_jNS1_19radix_merge_compareILb0ELb0EsNS0_19identity_decomposerEEEEE10hipError_tT0_T1_T2_jT3_P12ihipStream_tbPNSt15iterator_traitsISK_E10value_typeEPNSQ_ISL_E10value_typeEPSM_NS1_7vsmem_tEENKUlT_SK_SL_SM_E_clIPsSE_SF_SF_EESJ_SZ_SK_SL_SM_EUlSZ_E_NS1_11comp_targetILNS1_3genE0ELNS1_11target_archE4294967295ELNS1_3gpuE0ELNS1_3repE0EEENS1_48merge_mergepath_partition_config_static_selectorELNS0_4arch9wavefront6targetE1EEEvSL_ ; -- Begin function _ZN7rocprim17ROCPRIM_400000_NS6detail17trampoline_kernelINS0_14default_configENS1_38merge_sort_block_merge_config_selectorIsNS0_10empty_typeEEEZZNS1_27merge_sort_block_merge_implIS3_N6thrust23THRUST_200600_302600_NS6detail15normal_iteratorINS9_10device_ptrIsEEEEPS5_jNS1_19radix_merge_compareILb0ELb0EsNS0_19identity_decomposerEEEEE10hipError_tT0_T1_T2_jT3_P12ihipStream_tbPNSt15iterator_traitsISK_E10value_typeEPNSQ_ISL_E10value_typeEPSM_NS1_7vsmem_tEENKUlT_SK_SL_SM_E_clIPsSE_SF_SF_EESJ_SZ_SK_SL_SM_EUlSZ_E_NS1_11comp_targetILNS1_3genE0ELNS1_11target_archE4294967295ELNS1_3gpuE0ELNS1_3repE0EEENS1_48merge_mergepath_partition_config_static_selectorELNS0_4arch9wavefront6targetE1EEEvSL_
	.globl	_ZN7rocprim17ROCPRIM_400000_NS6detail17trampoline_kernelINS0_14default_configENS1_38merge_sort_block_merge_config_selectorIsNS0_10empty_typeEEEZZNS1_27merge_sort_block_merge_implIS3_N6thrust23THRUST_200600_302600_NS6detail15normal_iteratorINS9_10device_ptrIsEEEEPS5_jNS1_19radix_merge_compareILb0ELb0EsNS0_19identity_decomposerEEEEE10hipError_tT0_T1_T2_jT3_P12ihipStream_tbPNSt15iterator_traitsISK_E10value_typeEPNSQ_ISL_E10value_typeEPSM_NS1_7vsmem_tEENKUlT_SK_SL_SM_E_clIPsSE_SF_SF_EESJ_SZ_SK_SL_SM_EUlSZ_E_NS1_11comp_targetILNS1_3genE0ELNS1_11target_archE4294967295ELNS1_3gpuE0ELNS1_3repE0EEENS1_48merge_mergepath_partition_config_static_selectorELNS0_4arch9wavefront6targetE1EEEvSL_
	.p2align	8
	.type	_ZN7rocprim17ROCPRIM_400000_NS6detail17trampoline_kernelINS0_14default_configENS1_38merge_sort_block_merge_config_selectorIsNS0_10empty_typeEEEZZNS1_27merge_sort_block_merge_implIS3_N6thrust23THRUST_200600_302600_NS6detail15normal_iteratorINS9_10device_ptrIsEEEEPS5_jNS1_19radix_merge_compareILb0ELb0EsNS0_19identity_decomposerEEEEE10hipError_tT0_T1_T2_jT3_P12ihipStream_tbPNSt15iterator_traitsISK_E10value_typeEPNSQ_ISL_E10value_typeEPSM_NS1_7vsmem_tEENKUlT_SK_SL_SM_E_clIPsSE_SF_SF_EESJ_SZ_SK_SL_SM_EUlSZ_E_NS1_11comp_targetILNS1_3genE0ELNS1_11target_archE4294967295ELNS1_3gpuE0ELNS1_3repE0EEENS1_48merge_mergepath_partition_config_static_selectorELNS0_4arch9wavefront6targetE1EEEvSL_,@function
_ZN7rocprim17ROCPRIM_400000_NS6detail17trampoline_kernelINS0_14default_configENS1_38merge_sort_block_merge_config_selectorIsNS0_10empty_typeEEEZZNS1_27merge_sort_block_merge_implIS3_N6thrust23THRUST_200600_302600_NS6detail15normal_iteratorINS9_10device_ptrIsEEEEPS5_jNS1_19radix_merge_compareILb0ELb0EsNS0_19identity_decomposerEEEEE10hipError_tT0_T1_T2_jT3_P12ihipStream_tbPNSt15iterator_traitsISK_E10value_typeEPNSQ_ISL_E10value_typeEPSM_NS1_7vsmem_tEENKUlT_SK_SL_SM_E_clIPsSE_SF_SF_EESJ_SZ_SK_SL_SM_EUlSZ_E_NS1_11comp_targetILNS1_3genE0ELNS1_11target_archE4294967295ELNS1_3gpuE0ELNS1_3repE0EEENS1_48merge_mergepath_partition_config_static_selectorELNS0_4arch9wavefront6targetE1EEEvSL_: ; @_ZN7rocprim17ROCPRIM_400000_NS6detail17trampoline_kernelINS0_14default_configENS1_38merge_sort_block_merge_config_selectorIsNS0_10empty_typeEEEZZNS1_27merge_sort_block_merge_implIS3_N6thrust23THRUST_200600_302600_NS6detail15normal_iteratorINS9_10device_ptrIsEEEEPS5_jNS1_19radix_merge_compareILb0ELb0EsNS0_19identity_decomposerEEEEE10hipError_tT0_T1_T2_jT3_P12ihipStream_tbPNSt15iterator_traitsISK_E10value_typeEPNSQ_ISL_E10value_typeEPSM_NS1_7vsmem_tEENKUlT_SK_SL_SM_E_clIPsSE_SF_SF_EESJ_SZ_SK_SL_SM_EUlSZ_E_NS1_11comp_targetILNS1_3genE0ELNS1_11target_archE4294967295ELNS1_3gpuE0ELNS1_3repE0EEENS1_48merge_mergepath_partition_config_static_selectorELNS0_4arch9wavefront6targetE1EEEvSL_
; %bb.0:
	.section	.rodata,"a",@progbits
	.p2align	6, 0x0
	.amdhsa_kernel _ZN7rocprim17ROCPRIM_400000_NS6detail17trampoline_kernelINS0_14default_configENS1_38merge_sort_block_merge_config_selectorIsNS0_10empty_typeEEEZZNS1_27merge_sort_block_merge_implIS3_N6thrust23THRUST_200600_302600_NS6detail15normal_iteratorINS9_10device_ptrIsEEEEPS5_jNS1_19radix_merge_compareILb0ELb0EsNS0_19identity_decomposerEEEEE10hipError_tT0_T1_T2_jT3_P12ihipStream_tbPNSt15iterator_traitsISK_E10value_typeEPNSQ_ISL_E10value_typeEPSM_NS1_7vsmem_tEENKUlT_SK_SL_SM_E_clIPsSE_SF_SF_EESJ_SZ_SK_SL_SM_EUlSZ_E_NS1_11comp_targetILNS1_3genE0ELNS1_11target_archE4294967295ELNS1_3gpuE0ELNS1_3repE0EEENS1_48merge_mergepath_partition_config_static_selectorELNS0_4arch9wavefront6targetE1EEEvSL_
		.amdhsa_group_segment_fixed_size 0
		.amdhsa_private_segment_fixed_size 0
		.amdhsa_kernarg_size 40
		.amdhsa_user_sgpr_count 2
		.amdhsa_user_sgpr_dispatch_ptr 0
		.amdhsa_user_sgpr_queue_ptr 0
		.amdhsa_user_sgpr_kernarg_segment_ptr 1
		.amdhsa_user_sgpr_dispatch_id 0
		.amdhsa_user_sgpr_kernarg_preload_length 0
		.amdhsa_user_sgpr_kernarg_preload_offset 0
		.amdhsa_user_sgpr_private_segment_size 0
		.amdhsa_uses_dynamic_stack 0
		.amdhsa_enable_private_segment 0
		.amdhsa_system_sgpr_workgroup_id_x 1
		.amdhsa_system_sgpr_workgroup_id_y 0
		.amdhsa_system_sgpr_workgroup_id_z 0
		.amdhsa_system_sgpr_workgroup_info 0
		.amdhsa_system_vgpr_workitem_id 0
		.amdhsa_next_free_vgpr 1
		.amdhsa_next_free_sgpr 0
		.amdhsa_accum_offset 4
		.amdhsa_reserve_vcc 0
		.amdhsa_float_round_mode_32 0
		.amdhsa_float_round_mode_16_64 0
		.amdhsa_float_denorm_mode_32 3
		.amdhsa_float_denorm_mode_16_64 3
		.amdhsa_dx10_clamp 1
		.amdhsa_ieee_mode 1
		.amdhsa_fp16_overflow 0
		.amdhsa_tg_split 0
		.amdhsa_exception_fp_ieee_invalid_op 0
		.amdhsa_exception_fp_denorm_src 0
		.amdhsa_exception_fp_ieee_div_zero 0
		.amdhsa_exception_fp_ieee_overflow 0
		.amdhsa_exception_fp_ieee_underflow 0
		.amdhsa_exception_fp_ieee_inexact 0
		.amdhsa_exception_int_div_zero 0
	.end_amdhsa_kernel
	.section	.text._ZN7rocprim17ROCPRIM_400000_NS6detail17trampoline_kernelINS0_14default_configENS1_38merge_sort_block_merge_config_selectorIsNS0_10empty_typeEEEZZNS1_27merge_sort_block_merge_implIS3_N6thrust23THRUST_200600_302600_NS6detail15normal_iteratorINS9_10device_ptrIsEEEEPS5_jNS1_19radix_merge_compareILb0ELb0EsNS0_19identity_decomposerEEEEE10hipError_tT0_T1_T2_jT3_P12ihipStream_tbPNSt15iterator_traitsISK_E10value_typeEPNSQ_ISL_E10value_typeEPSM_NS1_7vsmem_tEENKUlT_SK_SL_SM_E_clIPsSE_SF_SF_EESJ_SZ_SK_SL_SM_EUlSZ_E_NS1_11comp_targetILNS1_3genE0ELNS1_11target_archE4294967295ELNS1_3gpuE0ELNS1_3repE0EEENS1_48merge_mergepath_partition_config_static_selectorELNS0_4arch9wavefront6targetE1EEEvSL_,"axG",@progbits,_ZN7rocprim17ROCPRIM_400000_NS6detail17trampoline_kernelINS0_14default_configENS1_38merge_sort_block_merge_config_selectorIsNS0_10empty_typeEEEZZNS1_27merge_sort_block_merge_implIS3_N6thrust23THRUST_200600_302600_NS6detail15normal_iteratorINS9_10device_ptrIsEEEEPS5_jNS1_19radix_merge_compareILb0ELb0EsNS0_19identity_decomposerEEEEE10hipError_tT0_T1_T2_jT3_P12ihipStream_tbPNSt15iterator_traitsISK_E10value_typeEPNSQ_ISL_E10value_typeEPSM_NS1_7vsmem_tEENKUlT_SK_SL_SM_E_clIPsSE_SF_SF_EESJ_SZ_SK_SL_SM_EUlSZ_E_NS1_11comp_targetILNS1_3genE0ELNS1_11target_archE4294967295ELNS1_3gpuE0ELNS1_3repE0EEENS1_48merge_mergepath_partition_config_static_selectorELNS0_4arch9wavefront6targetE1EEEvSL_,comdat
.Lfunc_end1818:
	.size	_ZN7rocprim17ROCPRIM_400000_NS6detail17trampoline_kernelINS0_14default_configENS1_38merge_sort_block_merge_config_selectorIsNS0_10empty_typeEEEZZNS1_27merge_sort_block_merge_implIS3_N6thrust23THRUST_200600_302600_NS6detail15normal_iteratorINS9_10device_ptrIsEEEEPS5_jNS1_19radix_merge_compareILb0ELb0EsNS0_19identity_decomposerEEEEE10hipError_tT0_T1_T2_jT3_P12ihipStream_tbPNSt15iterator_traitsISK_E10value_typeEPNSQ_ISL_E10value_typeEPSM_NS1_7vsmem_tEENKUlT_SK_SL_SM_E_clIPsSE_SF_SF_EESJ_SZ_SK_SL_SM_EUlSZ_E_NS1_11comp_targetILNS1_3genE0ELNS1_11target_archE4294967295ELNS1_3gpuE0ELNS1_3repE0EEENS1_48merge_mergepath_partition_config_static_selectorELNS0_4arch9wavefront6targetE1EEEvSL_, .Lfunc_end1818-_ZN7rocprim17ROCPRIM_400000_NS6detail17trampoline_kernelINS0_14default_configENS1_38merge_sort_block_merge_config_selectorIsNS0_10empty_typeEEEZZNS1_27merge_sort_block_merge_implIS3_N6thrust23THRUST_200600_302600_NS6detail15normal_iteratorINS9_10device_ptrIsEEEEPS5_jNS1_19radix_merge_compareILb0ELb0EsNS0_19identity_decomposerEEEEE10hipError_tT0_T1_T2_jT3_P12ihipStream_tbPNSt15iterator_traitsISK_E10value_typeEPNSQ_ISL_E10value_typeEPSM_NS1_7vsmem_tEENKUlT_SK_SL_SM_E_clIPsSE_SF_SF_EESJ_SZ_SK_SL_SM_EUlSZ_E_NS1_11comp_targetILNS1_3genE0ELNS1_11target_archE4294967295ELNS1_3gpuE0ELNS1_3repE0EEENS1_48merge_mergepath_partition_config_static_selectorELNS0_4arch9wavefront6targetE1EEEvSL_
                                        ; -- End function
	.section	.AMDGPU.csdata,"",@progbits
; Kernel info:
; codeLenInByte = 0
; NumSgprs: 6
; NumVgprs: 0
; NumAgprs: 0
; TotalNumVgprs: 0
; ScratchSize: 0
; MemoryBound: 0
; FloatMode: 240
; IeeeMode: 1
; LDSByteSize: 0 bytes/workgroup (compile time only)
; SGPRBlocks: 0
; VGPRBlocks: 0
; NumSGPRsForWavesPerEU: 6
; NumVGPRsForWavesPerEU: 1
; AccumOffset: 4
; Occupancy: 8
; WaveLimiterHint : 0
; COMPUTE_PGM_RSRC2:SCRATCH_EN: 0
; COMPUTE_PGM_RSRC2:USER_SGPR: 2
; COMPUTE_PGM_RSRC2:TRAP_HANDLER: 0
; COMPUTE_PGM_RSRC2:TGID_X_EN: 1
; COMPUTE_PGM_RSRC2:TGID_Y_EN: 0
; COMPUTE_PGM_RSRC2:TGID_Z_EN: 0
; COMPUTE_PGM_RSRC2:TIDIG_COMP_CNT: 0
; COMPUTE_PGM_RSRC3_GFX90A:ACCUM_OFFSET: 0
; COMPUTE_PGM_RSRC3_GFX90A:TG_SPLIT: 0
	.section	.text._ZN7rocprim17ROCPRIM_400000_NS6detail17trampoline_kernelINS0_14default_configENS1_38merge_sort_block_merge_config_selectorIsNS0_10empty_typeEEEZZNS1_27merge_sort_block_merge_implIS3_N6thrust23THRUST_200600_302600_NS6detail15normal_iteratorINS9_10device_ptrIsEEEEPS5_jNS1_19radix_merge_compareILb0ELb0EsNS0_19identity_decomposerEEEEE10hipError_tT0_T1_T2_jT3_P12ihipStream_tbPNSt15iterator_traitsISK_E10value_typeEPNSQ_ISL_E10value_typeEPSM_NS1_7vsmem_tEENKUlT_SK_SL_SM_E_clIPsSE_SF_SF_EESJ_SZ_SK_SL_SM_EUlSZ_E_NS1_11comp_targetILNS1_3genE10ELNS1_11target_archE1201ELNS1_3gpuE5ELNS1_3repE0EEENS1_48merge_mergepath_partition_config_static_selectorELNS0_4arch9wavefront6targetE1EEEvSL_,"axG",@progbits,_ZN7rocprim17ROCPRIM_400000_NS6detail17trampoline_kernelINS0_14default_configENS1_38merge_sort_block_merge_config_selectorIsNS0_10empty_typeEEEZZNS1_27merge_sort_block_merge_implIS3_N6thrust23THRUST_200600_302600_NS6detail15normal_iteratorINS9_10device_ptrIsEEEEPS5_jNS1_19radix_merge_compareILb0ELb0EsNS0_19identity_decomposerEEEEE10hipError_tT0_T1_T2_jT3_P12ihipStream_tbPNSt15iterator_traitsISK_E10value_typeEPNSQ_ISL_E10value_typeEPSM_NS1_7vsmem_tEENKUlT_SK_SL_SM_E_clIPsSE_SF_SF_EESJ_SZ_SK_SL_SM_EUlSZ_E_NS1_11comp_targetILNS1_3genE10ELNS1_11target_archE1201ELNS1_3gpuE5ELNS1_3repE0EEENS1_48merge_mergepath_partition_config_static_selectorELNS0_4arch9wavefront6targetE1EEEvSL_,comdat
	.protected	_ZN7rocprim17ROCPRIM_400000_NS6detail17trampoline_kernelINS0_14default_configENS1_38merge_sort_block_merge_config_selectorIsNS0_10empty_typeEEEZZNS1_27merge_sort_block_merge_implIS3_N6thrust23THRUST_200600_302600_NS6detail15normal_iteratorINS9_10device_ptrIsEEEEPS5_jNS1_19radix_merge_compareILb0ELb0EsNS0_19identity_decomposerEEEEE10hipError_tT0_T1_T2_jT3_P12ihipStream_tbPNSt15iterator_traitsISK_E10value_typeEPNSQ_ISL_E10value_typeEPSM_NS1_7vsmem_tEENKUlT_SK_SL_SM_E_clIPsSE_SF_SF_EESJ_SZ_SK_SL_SM_EUlSZ_E_NS1_11comp_targetILNS1_3genE10ELNS1_11target_archE1201ELNS1_3gpuE5ELNS1_3repE0EEENS1_48merge_mergepath_partition_config_static_selectorELNS0_4arch9wavefront6targetE1EEEvSL_ ; -- Begin function _ZN7rocprim17ROCPRIM_400000_NS6detail17trampoline_kernelINS0_14default_configENS1_38merge_sort_block_merge_config_selectorIsNS0_10empty_typeEEEZZNS1_27merge_sort_block_merge_implIS3_N6thrust23THRUST_200600_302600_NS6detail15normal_iteratorINS9_10device_ptrIsEEEEPS5_jNS1_19radix_merge_compareILb0ELb0EsNS0_19identity_decomposerEEEEE10hipError_tT0_T1_T2_jT3_P12ihipStream_tbPNSt15iterator_traitsISK_E10value_typeEPNSQ_ISL_E10value_typeEPSM_NS1_7vsmem_tEENKUlT_SK_SL_SM_E_clIPsSE_SF_SF_EESJ_SZ_SK_SL_SM_EUlSZ_E_NS1_11comp_targetILNS1_3genE10ELNS1_11target_archE1201ELNS1_3gpuE5ELNS1_3repE0EEENS1_48merge_mergepath_partition_config_static_selectorELNS0_4arch9wavefront6targetE1EEEvSL_
	.globl	_ZN7rocprim17ROCPRIM_400000_NS6detail17trampoline_kernelINS0_14default_configENS1_38merge_sort_block_merge_config_selectorIsNS0_10empty_typeEEEZZNS1_27merge_sort_block_merge_implIS3_N6thrust23THRUST_200600_302600_NS6detail15normal_iteratorINS9_10device_ptrIsEEEEPS5_jNS1_19radix_merge_compareILb0ELb0EsNS0_19identity_decomposerEEEEE10hipError_tT0_T1_T2_jT3_P12ihipStream_tbPNSt15iterator_traitsISK_E10value_typeEPNSQ_ISL_E10value_typeEPSM_NS1_7vsmem_tEENKUlT_SK_SL_SM_E_clIPsSE_SF_SF_EESJ_SZ_SK_SL_SM_EUlSZ_E_NS1_11comp_targetILNS1_3genE10ELNS1_11target_archE1201ELNS1_3gpuE5ELNS1_3repE0EEENS1_48merge_mergepath_partition_config_static_selectorELNS0_4arch9wavefront6targetE1EEEvSL_
	.p2align	8
	.type	_ZN7rocprim17ROCPRIM_400000_NS6detail17trampoline_kernelINS0_14default_configENS1_38merge_sort_block_merge_config_selectorIsNS0_10empty_typeEEEZZNS1_27merge_sort_block_merge_implIS3_N6thrust23THRUST_200600_302600_NS6detail15normal_iteratorINS9_10device_ptrIsEEEEPS5_jNS1_19radix_merge_compareILb0ELb0EsNS0_19identity_decomposerEEEEE10hipError_tT0_T1_T2_jT3_P12ihipStream_tbPNSt15iterator_traitsISK_E10value_typeEPNSQ_ISL_E10value_typeEPSM_NS1_7vsmem_tEENKUlT_SK_SL_SM_E_clIPsSE_SF_SF_EESJ_SZ_SK_SL_SM_EUlSZ_E_NS1_11comp_targetILNS1_3genE10ELNS1_11target_archE1201ELNS1_3gpuE5ELNS1_3repE0EEENS1_48merge_mergepath_partition_config_static_selectorELNS0_4arch9wavefront6targetE1EEEvSL_,@function
_ZN7rocprim17ROCPRIM_400000_NS6detail17trampoline_kernelINS0_14default_configENS1_38merge_sort_block_merge_config_selectorIsNS0_10empty_typeEEEZZNS1_27merge_sort_block_merge_implIS3_N6thrust23THRUST_200600_302600_NS6detail15normal_iteratorINS9_10device_ptrIsEEEEPS5_jNS1_19radix_merge_compareILb0ELb0EsNS0_19identity_decomposerEEEEE10hipError_tT0_T1_T2_jT3_P12ihipStream_tbPNSt15iterator_traitsISK_E10value_typeEPNSQ_ISL_E10value_typeEPSM_NS1_7vsmem_tEENKUlT_SK_SL_SM_E_clIPsSE_SF_SF_EESJ_SZ_SK_SL_SM_EUlSZ_E_NS1_11comp_targetILNS1_3genE10ELNS1_11target_archE1201ELNS1_3gpuE5ELNS1_3repE0EEENS1_48merge_mergepath_partition_config_static_selectorELNS0_4arch9wavefront6targetE1EEEvSL_: ; @_ZN7rocprim17ROCPRIM_400000_NS6detail17trampoline_kernelINS0_14default_configENS1_38merge_sort_block_merge_config_selectorIsNS0_10empty_typeEEEZZNS1_27merge_sort_block_merge_implIS3_N6thrust23THRUST_200600_302600_NS6detail15normal_iteratorINS9_10device_ptrIsEEEEPS5_jNS1_19radix_merge_compareILb0ELb0EsNS0_19identity_decomposerEEEEE10hipError_tT0_T1_T2_jT3_P12ihipStream_tbPNSt15iterator_traitsISK_E10value_typeEPNSQ_ISL_E10value_typeEPSM_NS1_7vsmem_tEENKUlT_SK_SL_SM_E_clIPsSE_SF_SF_EESJ_SZ_SK_SL_SM_EUlSZ_E_NS1_11comp_targetILNS1_3genE10ELNS1_11target_archE1201ELNS1_3gpuE5ELNS1_3repE0EEENS1_48merge_mergepath_partition_config_static_selectorELNS0_4arch9wavefront6targetE1EEEvSL_
; %bb.0:
	.section	.rodata,"a",@progbits
	.p2align	6, 0x0
	.amdhsa_kernel _ZN7rocprim17ROCPRIM_400000_NS6detail17trampoline_kernelINS0_14default_configENS1_38merge_sort_block_merge_config_selectorIsNS0_10empty_typeEEEZZNS1_27merge_sort_block_merge_implIS3_N6thrust23THRUST_200600_302600_NS6detail15normal_iteratorINS9_10device_ptrIsEEEEPS5_jNS1_19radix_merge_compareILb0ELb0EsNS0_19identity_decomposerEEEEE10hipError_tT0_T1_T2_jT3_P12ihipStream_tbPNSt15iterator_traitsISK_E10value_typeEPNSQ_ISL_E10value_typeEPSM_NS1_7vsmem_tEENKUlT_SK_SL_SM_E_clIPsSE_SF_SF_EESJ_SZ_SK_SL_SM_EUlSZ_E_NS1_11comp_targetILNS1_3genE10ELNS1_11target_archE1201ELNS1_3gpuE5ELNS1_3repE0EEENS1_48merge_mergepath_partition_config_static_selectorELNS0_4arch9wavefront6targetE1EEEvSL_
		.amdhsa_group_segment_fixed_size 0
		.amdhsa_private_segment_fixed_size 0
		.amdhsa_kernarg_size 40
		.amdhsa_user_sgpr_count 2
		.amdhsa_user_sgpr_dispatch_ptr 0
		.amdhsa_user_sgpr_queue_ptr 0
		.amdhsa_user_sgpr_kernarg_segment_ptr 1
		.amdhsa_user_sgpr_dispatch_id 0
		.amdhsa_user_sgpr_kernarg_preload_length 0
		.amdhsa_user_sgpr_kernarg_preload_offset 0
		.amdhsa_user_sgpr_private_segment_size 0
		.amdhsa_uses_dynamic_stack 0
		.amdhsa_enable_private_segment 0
		.amdhsa_system_sgpr_workgroup_id_x 1
		.amdhsa_system_sgpr_workgroup_id_y 0
		.amdhsa_system_sgpr_workgroup_id_z 0
		.amdhsa_system_sgpr_workgroup_info 0
		.amdhsa_system_vgpr_workitem_id 0
		.amdhsa_next_free_vgpr 1
		.amdhsa_next_free_sgpr 0
		.amdhsa_accum_offset 4
		.amdhsa_reserve_vcc 0
		.amdhsa_float_round_mode_32 0
		.amdhsa_float_round_mode_16_64 0
		.amdhsa_float_denorm_mode_32 3
		.amdhsa_float_denorm_mode_16_64 3
		.amdhsa_dx10_clamp 1
		.amdhsa_ieee_mode 1
		.amdhsa_fp16_overflow 0
		.amdhsa_tg_split 0
		.amdhsa_exception_fp_ieee_invalid_op 0
		.amdhsa_exception_fp_denorm_src 0
		.amdhsa_exception_fp_ieee_div_zero 0
		.amdhsa_exception_fp_ieee_overflow 0
		.amdhsa_exception_fp_ieee_underflow 0
		.amdhsa_exception_fp_ieee_inexact 0
		.amdhsa_exception_int_div_zero 0
	.end_amdhsa_kernel
	.section	.text._ZN7rocprim17ROCPRIM_400000_NS6detail17trampoline_kernelINS0_14default_configENS1_38merge_sort_block_merge_config_selectorIsNS0_10empty_typeEEEZZNS1_27merge_sort_block_merge_implIS3_N6thrust23THRUST_200600_302600_NS6detail15normal_iteratorINS9_10device_ptrIsEEEEPS5_jNS1_19radix_merge_compareILb0ELb0EsNS0_19identity_decomposerEEEEE10hipError_tT0_T1_T2_jT3_P12ihipStream_tbPNSt15iterator_traitsISK_E10value_typeEPNSQ_ISL_E10value_typeEPSM_NS1_7vsmem_tEENKUlT_SK_SL_SM_E_clIPsSE_SF_SF_EESJ_SZ_SK_SL_SM_EUlSZ_E_NS1_11comp_targetILNS1_3genE10ELNS1_11target_archE1201ELNS1_3gpuE5ELNS1_3repE0EEENS1_48merge_mergepath_partition_config_static_selectorELNS0_4arch9wavefront6targetE1EEEvSL_,"axG",@progbits,_ZN7rocprim17ROCPRIM_400000_NS6detail17trampoline_kernelINS0_14default_configENS1_38merge_sort_block_merge_config_selectorIsNS0_10empty_typeEEEZZNS1_27merge_sort_block_merge_implIS3_N6thrust23THRUST_200600_302600_NS6detail15normal_iteratorINS9_10device_ptrIsEEEEPS5_jNS1_19radix_merge_compareILb0ELb0EsNS0_19identity_decomposerEEEEE10hipError_tT0_T1_T2_jT3_P12ihipStream_tbPNSt15iterator_traitsISK_E10value_typeEPNSQ_ISL_E10value_typeEPSM_NS1_7vsmem_tEENKUlT_SK_SL_SM_E_clIPsSE_SF_SF_EESJ_SZ_SK_SL_SM_EUlSZ_E_NS1_11comp_targetILNS1_3genE10ELNS1_11target_archE1201ELNS1_3gpuE5ELNS1_3repE0EEENS1_48merge_mergepath_partition_config_static_selectorELNS0_4arch9wavefront6targetE1EEEvSL_,comdat
.Lfunc_end1819:
	.size	_ZN7rocprim17ROCPRIM_400000_NS6detail17trampoline_kernelINS0_14default_configENS1_38merge_sort_block_merge_config_selectorIsNS0_10empty_typeEEEZZNS1_27merge_sort_block_merge_implIS3_N6thrust23THRUST_200600_302600_NS6detail15normal_iteratorINS9_10device_ptrIsEEEEPS5_jNS1_19radix_merge_compareILb0ELb0EsNS0_19identity_decomposerEEEEE10hipError_tT0_T1_T2_jT3_P12ihipStream_tbPNSt15iterator_traitsISK_E10value_typeEPNSQ_ISL_E10value_typeEPSM_NS1_7vsmem_tEENKUlT_SK_SL_SM_E_clIPsSE_SF_SF_EESJ_SZ_SK_SL_SM_EUlSZ_E_NS1_11comp_targetILNS1_3genE10ELNS1_11target_archE1201ELNS1_3gpuE5ELNS1_3repE0EEENS1_48merge_mergepath_partition_config_static_selectorELNS0_4arch9wavefront6targetE1EEEvSL_, .Lfunc_end1819-_ZN7rocprim17ROCPRIM_400000_NS6detail17trampoline_kernelINS0_14default_configENS1_38merge_sort_block_merge_config_selectorIsNS0_10empty_typeEEEZZNS1_27merge_sort_block_merge_implIS3_N6thrust23THRUST_200600_302600_NS6detail15normal_iteratorINS9_10device_ptrIsEEEEPS5_jNS1_19radix_merge_compareILb0ELb0EsNS0_19identity_decomposerEEEEE10hipError_tT0_T1_T2_jT3_P12ihipStream_tbPNSt15iterator_traitsISK_E10value_typeEPNSQ_ISL_E10value_typeEPSM_NS1_7vsmem_tEENKUlT_SK_SL_SM_E_clIPsSE_SF_SF_EESJ_SZ_SK_SL_SM_EUlSZ_E_NS1_11comp_targetILNS1_3genE10ELNS1_11target_archE1201ELNS1_3gpuE5ELNS1_3repE0EEENS1_48merge_mergepath_partition_config_static_selectorELNS0_4arch9wavefront6targetE1EEEvSL_
                                        ; -- End function
	.section	.AMDGPU.csdata,"",@progbits
; Kernel info:
; codeLenInByte = 0
; NumSgprs: 6
; NumVgprs: 0
; NumAgprs: 0
; TotalNumVgprs: 0
; ScratchSize: 0
; MemoryBound: 0
; FloatMode: 240
; IeeeMode: 1
; LDSByteSize: 0 bytes/workgroup (compile time only)
; SGPRBlocks: 0
; VGPRBlocks: 0
; NumSGPRsForWavesPerEU: 6
; NumVGPRsForWavesPerEU: 1
; AccumOffset: 4
; Occupancy: 8
; WaveLimiterHint : 0
; COMPUTE_PGM_RSRC2:SCRATCH_EN: 0
; COMPUTE_PGM_RSRC2:USER_SGPR: 2
; COMPUTE_PGM_RSRC2:TRAP_HANDLER: 0
; COMPUTE_PGM_RSRC2:TGID_X_EN: 1
; COMPUTE_PGM_RSRC2:TGID_Y_EN: 0
; COMPUTE_PGM_RSRC2:TGID_Z_EN: 0
; COMPUTE_PGM_RSRC2:TIDIG_COMP_CNT: 0
; COMPUTE_PGM_RSRC3_GFX90A:ACCUM_OFFSET: 0
; COMPUTE_PGM_RSRC3_GFX90A:TG_SPLIT: 0
	.section	.text._ZN7rocprim17ROCPRIM_400000_NS6detail17trampoline_kernelINS0_14default_configENS1_38merge_sort_block_merge_config_selectorIsNS0_10empty_typeEEEZZNS1_27merge_sort_block_merge_implIS3_N6thrust23THRUST_200600_302600_NS6detail15normal_iteratorINS9_10device_ptrIsEEEEPS5_jNS1_19radix_merge_compareILb0ELb0EsNS0_19identity_decomposerEEEEE10hipError_tT0_T1_T2_jT3_P12ihipStream_tbPNSt15iterator_traitsISK_E10value_typeEPNSQ_ISL_E10value_typeEPSM_NS1_7vsmem_tEENKUlT_SK_SL_SM_E_clIPsSE_SF_SF_EESJ_SZ_SK_SL_SM_EUlSZ_E_NS1_11comp_targetILNS1_3genE5ELNS1_11target_archE942ELNS1_3gpuE9ELNS1_3repE0EEENS1_48merge_mergepath_partition_config_static_selectorELNS0_4arch9wavefront6targetE1EEEvSL_,"axG",@progbits,_ZN7rocprim17ROCPRIM_400000_NS6detail17trampoline_kernelINS0_14default_configENS1_38merge_sort_block_merge_config_selectorIsNS0_10empty_typeEEEZZNS1_27merge_sort_block_merge_implIS3_N6thrust23THRUST_200600_302600_NS6detail15normal_iteratorINS9_10device_ptrIsEEEEPS5_jNS1_19radix_merge_compareILb0ELb0EsNS0_19identity_decomposerEEEEE10hipError_tT0_T1_T2_jT3_P12ihipStream_tbPNSt15iterator_traitsISK_E10value_typeEPNSQ_ISL_E10value_typeEPSM_NS1_7vsmem_tEENKUlT_SK_SL_SM_E_clIPsSE_SF_SF_EESJ_SZ_SK_SL_SM_EUlSZ_E_NS1_11comp_targetILNS1_3genE5ELNS1_11target_archE942ELNS1_3gpuE9ELNS1_3repE0EEENS1_48merge_mergepath_partition_config_static_selectorELNS0_4arch9wavefront6targetE1EEEvSL_,comdat
	.protected	_ZN7rocprim17ROCPRIM_400000_NS6detail17trampoline_kernelINS0_14default_configENS1_38merge_sort_block_merge_config_selectorIsNS0_10empty_typeEEEZZNS1_27merge_sort_block_merge_implIS3_N6thrust23THRUST_200600_302600_NS6detail15normal_iteratorINS9_10device_ptrIsEEEEPS5_jNS1_19radix_merge_compareILb0ELb0EsNS0_19identity_decomposerEEEEE10hipError_tT0_T1_T2_jT3_P12ihipStream_tbPNSt15iterator_traitsISK_E10value_typeEPNSQ_ISL_E10value_typeEPSM_NS1_7vsmem_tEENKUlT_SK_SL_SM_E_clIPsSE_SF_SF_EESJ_SZ_SK_SL_SM_EUlSZ_E_NS1_11comp_targetILNS1_3genE5ELNS1_11target_archE942ELNS1_3gpuE9ELNS1_3repE0EEENS1_48merge_mergepath_partition_config_static_selectorELNS0_4arch9wavefront6targetE1EEEvSL_ ; -- Begin function _ZN7rocprim17ROCPRIM_400000_NS6detail17trampoline_kernelINS0_14default_configENS1_38merge_sort_block_merge_config_selectorIsNS0_10empty_typeEEEZZNS1_27merge_sort_block_merge_implIS3_N6thrust23THRUST_200600_302600_NS6detail15normal_iteratorINS9_10device_ptrIsEEEEPS5_jNS1_19radix_merge_compareILb0ELb0EsNS0_19identity_decomposerEEEEE10hipError_tT0_T1_T2_jT3_P12ihipStream_tbPNSt15iterator_traitsISK_E10value_typeEPNSQ_ISL_E10value_typeEPSM_NS1_7vsmem_tEENKUlT_SK_SL_SM_E_clIPsSE_SF_SF_EESJ_SZ_SK_SL_SM_EUlSZ_E_NS1_11comp_targetILNS1_3genE5ELNS1_11target_archE942ELNS1_3gpuE9ELNS1_3repE0EEENS1_48merge_mergepath_partition_config_static_selectorELNS0_4arch9wavefront6targetE1EEEvSL_
	.globl	_ZN7rocprim17ROCPRIM_400000_NS6detail17trampoline_kernelINS0_14default_configENS1_38merge_sort_block_merge_config_selectorIsNS0_10empty_typeEEEZZNS1_27merge_sort_block_merge_implIS3_N6thrust23THRUST_200600_302600_NS6detail15normal_iteratorINS9_10device_ptrIsEEEEPS5_jNS1_19radix_merge_compareILb0ELb0EsNS0_19identity_decomposerEEEEE10hipError_tT0_T1_T2_jT3_P12ihipStream_tbPNSt15iterator_traitsISK_E10value_typeEPNSQ_ISL_E10value_typeEPSM_NS1_7vsmem_tEENKUlT_SK_SL_SM_E_clIPsSE_SF_SF_EESJ_SZ_SK_SL_SM_EUlSZ_E_NS1_11comp_targetILNS1_3genE5ELNS1_11target_archE942ELNS1_3gpuE9ELNS1_3repE0EEENS1_48merge_mergepath_partition_config_static_selectorELNS0_4arch9wavefront6targetE1EEEvSL_
	.p2align	8
	.type	_ZN7rocprim17ROCPRIM_400000_NS6detail17trampoline_kernelINS0_14default_configENS1_38merge_sort_block_merge_config_selectorIsNS0_10empty_typeEEEZZNS1_27merge_sort_block_merge_implIS3_N6thrust23THRUST_200600_302600_NS6detail15normal_iteratorINS9_10device_ptrIsEEEEPS5_jNS1_19radix_merge_compareILb0ELb0EsNS0_19identity_decomposerEEEEE10hipError_tT0_T1_T2_jT3_P12ihipStream_tbPNSt15iterator_traitsISK_E10value_typeEPNSQ_ISL_E10value_typeEPSM_NS1_7vsmem_tEENKUlT_SK_SL_SM_E_clIPsSE_SF_SF_EESJ_SZ_SK_SL_SM_EUlSZ_E_NS1_11comp_targetILNS1_3genE5ELNS1_11target_archE942ELNS1_3gpuE9ELNS1_3repE0EEENS1_48merge_mergepath_partition_config_static_selectorELNS0_4arch9wavefront6targetE1EEEvSL_,@function
_ZN7rocprim17ROCPRIM_400000_NS6detail17trampoline_kernelINS0_14default_configENS1_38merge_sort_block_merge_config_selectorIsNS0_10empty_typeEEEZZNS1_27merge_sort_block_merge_implIS3_N6thrust23THRUST_200600_302600_NS6detail15normal_iteratorINS9_10device_ptrIsEEEEPS5_jNS1_19radix_merge_compareILb0ELb0EsNS0_19identity_decomposerEEEEE10hipError_tT0_T1_T2_jT3_P12ihipStream_tbPNSt15iterator_traitsISK_E10value_typeEPNSQ_ISL_E10value_typeEPSM_NS1_7vsmem_tEENKUlT_SK_SL_SM_E_clIPsSE_SF_SF_EESJ_SZ_SK_SL_SM_EUlSZ_E_NS1_11comp_targetILNS1_3genE5ELNS1_11target_archE942ELNS1_3gpuE9ELNS1_3repE0EEENS1_48merge_mergepath_partition_config_static_selectorELNS0_4arch9wavefront6targetE1EEEvSL_: ; @_ZN7rocprim17ROCPRIM_400000_NS6detail17trampoline_kernelINS0_14default_configENS1_38merge_sort_block_merge_config_selectorIsNS0_10empty_typeEEEZZNS1_27merge_sort_block_merge_implIS3_N6thrust23THRUST_200600_302600_NS6detail15normal_iteratorINS9_10device_ptrIsEEEEPS5_jNS1_19radix_merge_compareILb0ELb0EsNS0_19identity_decomposerEEEEE10hipError_tT0_T1_T2_jT3_P12ihipStream_tbPNSt15iterator_traitsISK_E10value_typeEPNSQ_ISL_E10value_typeEPSM_NS1_7vsmem_tEENKUlT_SK_SL_SM_E_clIPsSE_SF_SF_EESJ_SZ_SK_SL_SM_EUlSZ_E_NS1_11comp_targetILNS1_3genE5ELNS1_11target_archE942ELNS1_3gpuE9ELNS1_3repE0EEENS1_48merge_mergepath_partition_config_static_selectorELNS0_4arch9wavefront6targetE1EEEvSL_
; %bb.0:
	s_load_dword s3, s[0:1], 0x0
	v_lshl_or_b32 v0, s2, 7, v0
	s_waitcnt lgkmcnt(0)
	v_cmp_gt_u32_e32 vcc, s3, v0
	s_and_saveexec_b64 s[2:3], vcc
	s_cbranch_execz .LBB1820_6
; %bb.1:
	s_load_dwordx2 s[4:5], s[0:1], 0x4
	s_load_dwordx2 s[2:3], s[0:1], 0x20
	s_waitcnt lgkmcnt(0)
	s_lshr_b32 s6, s4, 9
	s_and_b32 s6, s6, 0x7ffffe
	s_add_i32 s7, s6, -1
	s_sub_i32 s6, 0, s6
	v_and_b32_e32 v1, s6, v0
	v_lshlrev_b32_e32 v1, 10, v1
	v_min_u32_e32 v2, s5, v1
	v_add_u32_e32 v1, s4, v1
	v_min_u32_e32 v4, s5, v1
	v_add_u32_e32 v1, s4, v4
	v_and_b32_e32 v3, s7, v0
	v_min_u32_e32 v1, s5, v1
	v_sub_u32_e32 v5, v1, v2
	v_lshlrev_b32_e32 v3, 10, v3
	v_min_u32_e32 v10, v5, v3
	v_sub_u32_e32 v3, v4, v2
	v_sub_u32_e32 v1, v1, v4
	v_sub_u32_e64 v1, v10, v1 clamp
	v_min_u32_e32 v11, v10, v3
	v_cmp_lt_u32_e32 vcc, v1, v11
	s_and_saveexec_b64 s[4:5], vcc
	s_cbranch_execz .LBB1820_5
; %bb.2:
	s_load_dwordx2 s[0:1], s[0:1], 0x10
	v_mov_b32_e32 v5, 0
	v_mov_b32_e32 v3, v5
	s_waitcnt lgkmcnt(0)
	v_lshl_add_u64 v[6:7], v[2:3], 1, s[0:1]
	v_lshl_add_u64 v[8:9], v[4:5], 1, s[0:1]
	s_mov_b64 s[0:1], 0
.LBB1820_3:                             ; =>This Inner Loop Header: Depth=1
	v_add_u32_e32 v3, v11, v1
	v_lshrrev_b32_e32 v16, 1, v3
	v_and_b32_e32 v4, -2, v3
	v_mov_b32_e32 v13, v5
	v_xad_u32 v12, v16, -1, v10
	v_lshl_add_u64 v[14:15], v[6:7], 0, v[4:5]
	v_lshl_add_u64 v[12:13], v[12:13], 1, v[8:9]
	global_load_ushort v3, v[14:15], off
	global_load_ushort v4, v[12:13], off
	v_add_u32_e32 v12, 1, v16
	s_waitcnt vmcnt(0)
	v_cmp_gt_i16_e32 vcc, v3, v4
	s_nop 1
	v_cndmask_b32_e32 v11, v11, v16, vcc
	v_cndmask_b32_e32 v1, v12, v1, vcc
	v_cmp_ge_u32_e32 vcc, v1, v11
	s_or_b64 s[0:1], vcc, s[0:1]
	s_andn2_b64 exec, exec, s[0:1]
	s_cbranch_execnz .LBB1820_3
; %bb.4:
	s_or_b64 exec, exec, s[0:1]
.LBB1820_5:
	s_or_b64 exec, exec, s[4:5]
	v_add_u32_e32 v2, v1, v2
	v_mov_b32_e32 v1, 0
	v_lshl_add_u64 v[0:1], v[0:1], 2, s[2:3]
	global_store_dword v[0:1], v2, off
.LBB1820_6:
	s_endpgm
	.section	.rodata,"a",@progbits
	.p2align	6, 0x0
	.amdhsa_kernel _ZN7rocprim17ROCPRIM_400000_NS6detail17trampoline_kernelINS0_14default_configENS1_38merge_sort_block_merge_config_selectorIsNS0_10empty_typeEEEZZNS1_27merge_sort_block_merge_implIS3_N6thrust23THRUST_200600_302600_NS6detail15normal_iteratorINS9_10device_ptrIsEEEEPS5_jNS1_19radix_merge_compareILb0ELb0EsNS0_19identity_decomposerEEEEE10hipError_tT0_T1_T2_jT3_P12ihipStream_tbPNSt15iterator_traitsISK_E10value_typeEPNSQ_ISL_E10value_typeEPSM_NS1_7vsmem_tEENKUlT_SK_SL_SM_E_clIPsSE_SF_SF_EESJ_SZ_SK_SL_SM_EUlSZ_E_NS1_11comp_targetILNS1_3genE5ELNS1_11target_archE942ELNS1_3gpuE9ELNS1_3repE0EEENS1_48merge_mergepath_partition_config_static_selectorELNS0_4arch9wavefront6targetE1EEEvSL_
		.amdhsa_group_segment_fixed_size 0
		.amdhsa_private_segment_fixed_size 0
		.amdhsa_kernarg_size 40
		.amdhsa_user_sgpr_count 2
		.amdhsa_user_sgpr_dispatch_ptr 0
		.amdhsa_user_sgpr_queue_ptr 0
		.amdhsa_user_sgpr_kernarg_segment_ptr 1
		.amdhsa_user_sgpr_dispatch_id 0
		.amdhsa_user_sgpr_kernarg_preload_length 0
		.amdhsa_user_sgpr_kernarg_preload_offset 0
		.amdhsa_user_sgpr_private_segment_size 0
		.amdhsa_uses_dynamic_stack 0
		.amdhsa_enable_private_segment 0
		.amdhsa_system_sgpr_workgroup_id_x 1
		.amdhsa_system_sgpr_workgroup_id_y 0
		.amdhsa_system_sgpr_workgroup_id_z 0
		.amdhsa_system_sgpr_workgroup_info 0
		.amdhsa_system_vgpr_workitem_id 0
		.amdhsa_next_free_vgpr 17
		.amdhsa_next_free_sgpr 8
		.amdhsa_accum_offset 20
		.amdhsa_reserve_vcc 1
		.amdhsa_float_round_mode_32 0
		.amdhsa_float_round_mode_16_64 0
		.amdhsa_float_denorm_mode_32 3
		.amdhsa_float_denorm_mode_16_64 3
		.amdhsa_dx10_clamp 1
		.amdhsa_ieee_mode 1
		.amdhsa_fp16_overflow 0
		.amdhsa_tg_split 0
		.amdhsa_exception_fp_ieee_invalid_op 0
		.amdhsa_exception_fp_denorm_src 0
		.amdhsa_exception_fp_ieee_div_zero 0
		.amdhsa_exception_fp_ieee_overflow 0
		.amdhsa_exception_fp_ieee_underflow 0
		.amdhsa_exception_fp_ieee_inexact 0
		.amdhsa_exception_int_div_zero 0
	.end_amdhsa_kernel
	.section	.text._ZN7rocprim17ROCPRIM_400000_NS6detail17trampoline_kernelINS0_14default_configENS1_38merge_sort_block_merge_config_selectorIsNS0_10empty_typeEEEZZNS1_27merge_sort_block_merge_implIS3_N6thrust23THRUST_200600_302600_NS6detail15normal_iteratorINS9_10device_ptrIsEEEEPS5_jNS1_19radix_merge_compareILb0ELb0EsNS0_19identity_decomposerEEEEE10hipError_tT0_T1_T2_jT3_P12ihipStream_tbPNSt15iterator_traitsISK_E10value_typeEPNSQ_ISL_E10value_typeEPSM_NS1_7vsmem_tEENKUlT_SK_SL_SM_E_clIPsSE_SF_SF_EESJ_SZ_SK_SL_SM_EUlSZ_E_NS1_11comp_targetILNS1_3genE5ELNS1_11target_archE942ELNS1_3gpuE9ELNS1_3repE0EEENS1_48merge_mergepath_partition_config_static_selectorELNS0_4arch9wavefront6targetE1EEEvSL_,"axG",@progbits,_ZN7rocprim17ROCPRIM_400000_NS6detail17trampoline_kernelINS0_14default_configENS1_38merge_sort_block_merge_config_selectorIsNS0_10empty_typeEEEZZNS1_27merge_sort_block_merge_implIS3_N6thrust23THRUST_200600_302600_NS6detail15normal_iteratorINS9_10device_ptrIsEEEEPS5_jNS1_19radix_merge_compareILb0ELb0EsNS0_19identity_decomposerEEEEE10hipError_tT0_T1_T2_jT3_P12ihipStream_tbPNSt15iterator_traitsISK_E10value_typeEPNSQ_ISL_E10value_typeEPSM_NS1_7vsmem_tEENKUlT_SK_SL_SM_E_clIPsSE_SF_SF_EESJ_SZ_SK_SL_SM_EUlSZ_E_NS1_11comp_targetILNS1_3genE5ELNS1_11target_archE942ELNS1_3gpuE9ELNS1_3repE0EEENS1_48merge_mergepath_partition_config_static_selectorELNS0_4arch9wavefront6targetE1EEEvSL_,comdat
.Lfunc_end1820:
	.size	_ZN7rocprim17ROCPRIM_400000_NS6detail17trampoline_kernelINS0_14default_configENS1_38merge_sort_block_merge_config_selectorIsNS0_10empty_typeEEEZZNS1_27merge_sort_block_merge_implIS3_N6thrust23THRUST_200600_302600_NS6detail15normal_iteratorINS9_10device_ptrIsEEEEPS5_jNS1_19radix_merge_compareILb0ELb0EsNS0_19identity_decomposerEEEEE10hipError_tT0_T1_T2_jT3_P12ihipStream_tbPNSt15iterator_traitsISK_E10value_typeEPNSQ_ISL_E10value_typeEPSM_NS1_7vsmem_tEENKUlT_SK_SL_SM_E_clIPsSE_SF_SF_EESJ_SZ_SK_SL_SM_EUlSZ_E_NS1_11comp_targetILNS1_3genE5ELNS1_11target_archE942ELNS1_3gpuE9ELNS1_3repE0EEENS1_48merge_mergepath_partition_config_static_selectorELNS0_4arch9wavefront6targetE1EEEvSL_, .Lfunc_end1820-_ZN7rocprim17ROCPRIM_400000_NS6detail17trampoline_kernelINS0_14default_configENS1_38merge_sort_block_merge_config_selectorIsNS0_10empty_typeEEEZZNS1_27merge_sort_block_merge_implIS3_N6thrust23THRUST_200600_302600_NS6detail15normal_iteratorINS9_10device_ptrIsEEEEPS5_jNS1_19radix_merge_compareILb0ELb0EsNS0_19identity_decomposerEEEEE10hipError_tT0_T1_T2_jT3_P12ihipStream_tbPNSt15iterator_traitsISK_E10value_typeEPNSQ_ISL_E10value_typeEPSM_NS1_7vsmem_tEENKUlT_SK_SL_SM_E_clIPsSE_SF_SF_EESJ_SZ_SK_SL_SM_EUlSZ_E_NS1_11comp_targetILNS1_3genE5ELNS1_11target_archE942ELNS1_3gpuE9ELNS1_3repE0EEENS1_48merge_mergepath_partition_config_static_selectorELNS0_4arch9wavefront6targetE1EEEvSL_
                                        ; -- End function
	.section	.AMDGPU.csdata,"",@progbits
; Kernel info:
; codeLenInByte = 320
; NumSgprs: 14
; NumVgprs: 17
; NumAgprs: 0
; TotalNumVgprs: 17
; ScratchSize: 0
; MemoryBound: 0
; FloatMode: 240
; IeeeMode: 1
; LDSByteSize: 0 bytes/workgroup (compile time only)
; SGPRBlocks: 1
; VGPRBlocks: 2
; NumSGPRsForWavesPerEU: 14
; NumVGPRsForWavesPerEU: 17
; AccumOffset: 20
; Occupancy: 8
; WaveLimiterHint : 0
; COMPUTE_PGM_RSRC2:SCRATCH_EN: 0
; COMPUTE_PGM_RSRC2:USER_SGPR: 2
; COMPUTE_PGM_RSRC2:TRAP_HANDLER: 0
; COMPUTE_PGM_RSRC2:TGID_X_EN: 1
; COMPUTE_PGM_RSRC2:TGID_Y_EN: 0
; COMPUTE_PGM_RSRC2:TGID_Z_EN: 0
; COMPUTE_PGM_RSRC2:TIDIG_COMP_CNT: 0
; COMPUTE_PGM_RSRC3_GFX90A:ACCUM_OFFSET: 4
; COMPUTE_PGM_RSRC3_GFX90A:TG_SPLIT: 0
	.section	.text._ZN7rocprim17ROCPRIM_400000_NS6detail17trampoline_kernelINS0_14default_configENS1_38merge_sort_block_merge_config_selectorIsNS0_10empty_typeEEEZZNS1_27merge_sort_block_merge_implIS3_N6thrust23THRUST_200600_302600_NS6detail15normal_iteratorINS9_10device_ptrIsEEEEPS5_jNS1_19radix_merge_compareILb0ELb0EsNS0_19identity_decomposerEEEEE10hipError_tT0_T1_T2_jT3_P12ihipStream_tbPNSt15iterator_traitsISK_E10value_typeEPNSQ_ISL_E10value_typeEPSM_NS1_7vsmem_tEENKUlT_SK_SL_SM_E_clIPsSE_SF_SF_EESJ_SZ_SK_SL_SM_EUlSZ_E_NS1_11comp_targetILNS1_3genE4ELNS1_11target_archE910ELNS1_3gpuE8ELNS1_3repE0EEENS1_48merge_mergepath_partition_config_static_selectorELNS0_4arch9wavefront6targetE1EEEvSL_,"axG",@progbits,_ZN7rocprim17ROCPRIM_400000_NS6detail17trampoline_kernelINS0_14default_configENS1_38merge_sort_block_merge_config_selectorIsNS0_10empty_typeEEEZZNS1_27merge_sort_block_merge_implIS3_N6thrust23THRUST_200600_302600_NS6detail15normal_iteratorINS9_10device_ptrIsEEEEPS5_jNS1_19radix_merge_compareILb0ELb0EsNS0_19identity_decomposerEEEEE10hipError_tT0_T1_T2_jT3_P12ihipStream_tbPNSt15iterator_traitsISK_E10value_typeEPNSQ_ISL_E10value_typeEPSM_NS1_7vsmem_tEENKUlT_SK_SL_SM_E_clIPsSE_SF_SF_EESJ_SZ_SK_SL_SM_EUlSZ_E_NS1_11comp_targetILNS1_3genE4ELNS1_11target_archE910ELNS1_3gpuE8ELNS1_3repE0EEENS1_48merge_mergepath_partition_config_static_selectorELNS0_4arch9wavefront6targetE1EEEvSL_,comdat
	.protected	_ZN7rocprim17ROCPRIM_400000_NS6detail17trampoline_kernelINS0_14default_configENS1_38merge_sort_block_merge_config_selectorIsNS0_10empty_typeEEEZZNS1_27merge_sort_block_merge_implIS3_N6thrust23THRUST_200600_302600_NS6detail15normal_iteratorINS9_10device_ptrIsEEEEPS5_jNS1_19radix_merge_compareILb0ELb0EsNS0_19identity_decomposerEEEEE10hipError_tT0_T1_T2_jT3_P12ihipStream_tbPNSt15iterator_traitsISK_E10value_typeEPNSQ_ISL_E10value_typeEPSM_NS1_7vsmem_tEENKUlT_SK_SL_SM_E_clIPsSE_SF_SF_EESJ_SZ_SK_SL_SM_EUlSZ_E_NS1_11comp_targetILNS1_3genE4ELNS1_11target_archE910ELNS1_3gpuE8ELNS1_3repE0EEENS1_48merge_mergepath_partition_config_static_selectorELNS0_4arch9wavefront6targetE1EEEvSL_ ; -- Begin function _ZN7rocprim17ROCPRIM_400000_NS6detail17trampoline_kernelINS0_14default_configENS1_38merge_sort_block_merge_config_selectorIsNS0_10empty_typeEEEZZNS1_27merge_sort_block_merge_implIS3_N6thrust23THRUST_200600_302600_NS6detail15normal_iteratorINS9_10device_ptrIsEEEEPS5_jNS1_19radix_merge_compareILb0ELb0EsNS0_19identity_decomposerEEEEE10hipError_tT0_T1_T2_jT3_P12ihipStream_tbPNSt15iterator_traitsISK_E10value_typeEPNSQ_ISL_E10value_typeEPSM_NS1_7vsmem_tEENKUlT_SK_SL_SM_E_clIPsSE_SF_SF_EESJ_SZ_SK_SL_SM_EUlSZ_E_NS1_11comp_targetILNS1_3genE4ELNS1_11target_archE910ELNS1_3gpuE8ELNS1_3repE0EEENS1_48merge_mergepath_partition_config_static_selectorELNS0_4arch9wavefront6targetE1EEEvSL_
	.globl	_ZN7rocprim17ROCPRIM_400000_NS6detail17trampoline_kernelINS0_14default_configENS1_38merge_sort_block_merge_config_selectorIsNS0_10empty_typeEEEZZNS1_27merge_sort_block_merge_implIS3_N6thrust23THRUST_200600_302600_NS6detail15normal_iteratorINS9_10device_ptrIsEEEEPS5_jNS1_19radix_merge_compareILb0ELb0EsNS0_19identity_decomposerEEEEE10hipError_tT0_T1_T2_jT3_P12ihipStream_tbPNSt15iterator_traitsISK_E10value_typeEPNSQ_ISL_E10value_typeEPSM_NS1_7vsmem_tEENKUlT_SK_SL_SM_E_clIPsSE_SF_SF_EESJ_SZ_SK_SL_SM_EUlSZ_E_NS1_11comp_targetILNS1_3genE4ELNS1_11target_archE910ELNS1_3gpuE8ELNS1_3repE0EEENS1_48merge_mergepath_partition_config_static_selectorELNS0_4arch9wavefront6targetE1EEEvSL_
	.p2align	8
	.type	_ZN7rocprim17ROCPRIM_400000_NS6detail17trampoline_kernelINS0_14default_configENS1_38merge_sort_block_merge_config_selectorIsNS0_10empty_typeEEEZZNS1_27merge_sort_block_merge_implIS3_N6thrust23THRUST_200600_302600_NS6detail15normal_iteratorINS9_10device_ptrIsEEEEPS5_jNS1_19radix_merge_compareILb0ELb0EsNS0_19identity_decomposerEEEEE10hipError_tT0_T1_T2_jT3_P12ihipStream_tbPNSt15iterator_traitsISK_E10value_typeEPNSQ_ISL_E10value_typeEPSM_NS1_7vsmem_tEENKUlT_SK_SL_SM_E_clIPsSE_SF_SF_EESJ_SZ_SK_SL_SM_EUlSZ_E_NS1_11comp_targetILNS1_3genE4ELNS1_11target_archE910ELNS1_3gpuE8ELNS1_3repE0EEENS1_48merge_mergepath_partition_config_static_selectorELNS0_4arch9wavefront6targetE1EEEvSL_,@function
_ZN7rocprim17ROCPRIM_400000_NS6detail17trampoline_kernelINS0_14default_configENS1_38merge_sort_block_merge_config_selectorIsNS0_10empty_typeEEEZZNS1_27merge_sort_block_merge_implIS3_N6thrust23THRUST_200600_302600_NS6detail15normal_iteratorINS9_10device_ptrIsEEEEPS5_jNS1_19radix_merge_compareILb0ELb0EsNS0_19identity_decomposerEEEEE10hipError_tT0_T1_T2_jT3_P12ihipStream_tbPNSt15iterator_traitsISK_E10value_typeEPNSQ_ISL_E10value_typeEPSM_NS1_7vsmem_tEENKUlT_SK_SL_SM_E_clIPsSE_SF_SF_EESJ_SZ_SK_SL_SM_EUlSZ_E_NS1_11comp_targetILNS1_3genE4ELNS1_11target_archE910ELNS1_3gpuE8ELNS1_3repE0EEENS1_48merge_mergepath_partition_config_static_selectorELNS0_4arch9wavefront6targetE1EEEvSL_: ; @_ZN7rocprim17ROCPRIM_400000_NS6detail17trampoline_kernelINS0_14default_configENS1_38merge_sort_block_merge_config_selectorIsNS0_10empty_typeEEEZZNS1_27merge_sort_block_merge_implIS3_N6thrust23THRUST_200600_302600_NS6detail15normal_iteratorINS9_10device_ptrIsEEEEPS5_jNS1_19radix_merge_compareILb0ELb0EsNS0_19identity_decomposerEEEEE10hipError_tT0_T1_T2_jT3_P12ihipStream_tbPNSt15iterator_traitsISK_E10value_typeEPNSQ_ISL_E10value_typeEPSM_NS1_7vsmem_tEENKUlT_SK_SL_SM_E_clIPsSE_SF_SF_EESJ_SZ_SK_SL_SM_EUlSZ_E_NS1_11comp_targetILNS1_3genE4ELNS1_11target_archE910ELNS1_3gpuE8ELNS1_3repE0EEENS1_48merge_mergepath_partition_config_static_selectorELNS0_4arch9wavefront6targetE1EEEvSL_
; %bb.0:
	.section	.rodata,"a",@progbits
	.p2align	6, 0x0
	.amdhsa_kernel _ZN7rocprim17ROCPRIM_400000_NS6detail17trampoline_kernelINS0_14default_configENS1_38merge_sort_block_merge_config_selectorIsNS0_10empty_typeEEEZZNS1_27merge_sort_block_merge_implIS3_N6thrust23THRUST_200600_302600_NS6detail15normal_iteratorINS9_10device_ptrIsEEEEPS5_jNS1_19radix_merge_compareILb0ELb0EsNS0_19identity_decomposerEEEEE10hipError_tT0_T1_T2_jT3_P12ihipStream_tbPNSt15iterator_traitsISK_E10value_typeEPNSQ_ISL_E10value_typeEPSM_NS1_7vsmem_tEENKUlT_SK_SL_SM_E_clIPsSE_SF_SF_EESJ_SZ_SK_SL_SM_EUlSZ_E_NS1_11comp_targetILNS1_3genE4ELNS1_11target_archE910ELNS1_3gpuE8ELNS1_3repE0EEENS1_48merge_mergepath_partition_config_static_selectorELNS0_4arch9wavefront6targetE1EEEvSL_
		.amdhsa_group_segment_fixed_size 0
		.amdhsa_private_segment_fixed_size 0
		.amdhsa_kernarg_size 40
		.amdhsa_user_sgpr_count 2
		.amdhsa_user_sgpr_dispatch_ptr 0
		.amdhsa_user_sgpr_queue_ptr 0
		.amdhsa_user_sgpr_kernarg_segment_ptr 1
		.amdhsa_user_sgpr_dispatch_id 0
		.amdhsa_user_sgpr_kernarg_preload_length 0
		.amdhsa_user_sgpr_kernarg_preload_offset 0
		.amdhsa_user_sgpr_private_segment_size 0
		.amdhsa_uses_dynamic_stack 0
		.amdhsa_enable_private_segment 0
		.amdhsa_system_sgpr_workgroup_id_x 1
		.amdhsa_system_sgpr_workgroup_id_y 0
		.amdhsa_system_sgpr_workgroup_id_z 0
		.amdhsa_system_sgpr_workgroup_info 0
		.amdhsa_system_vgpr_workitem_id 0
		.amdhsa_next_free_vgpr 1
		.amdhsa_next_free_sgpr 0
		.amdhsa_accum_offset 4
		.amdhsa_reserve_vcc 0
		.amdhsa_float_round_mode_32 0
		.amdhsa_float_round_mode_16_64 0
		.amdhsa_float_denorm_mode_32 3
		.amdhsa_float_denorm_mode_16_64 3
		.amdhsa_dx10_clamp 1
		.amdhsa_ieee_mode 1
		.amdhsa_fp16_overflow 0
		.amdhsa_tg_split 0
		.amdhsa_exception_fp_ieee_invalid_op 0
		.amdhsa_exception_fp_denorm_src 0
		.amdhsa_exception_fp_ieee_div_zero 0
		.amdhsa_exception_fp_ieee_overflow 0
		.amdhsa_exception_fp_ieee_underflow 0
		.amdhsa_exception_fp_ieee_inexact 0
		.amdhsa_exception_int_div_zero 0
	.end_amdhsa_kernel
	.section	.text._ZN7rocprim17ROCPRIM_400000_NS6detail17trampoline_kernelINS0_14default_configENS1_38merge_sort_block_merge_config_selectorIsNS0_10empty_typeEEEZZNS1_27merge_sort_block_merge_implIS3_N6thrust23THRUST_200600_302600_NS6detail15normal_iteratorINS9_10device_ptrIsEEEEPS5_jNS1_19radix_merge_compareILb0ELb0EsNS0_19identity_decomposerEEEEE10hipError_tT0_T1_T2_jT3_P12ihipStream_tbPNSt15iterator_traitsISK_E10value_typeEPNSQ_ISL_E10value_typeEPSM_NS1_7vsmem_tEENKUlT_SK_SL_SM_E_clIPsSE_SF_SF_EESJ_SZ_SK_SL_SM_EUlSZ_E_NS1_11comp_targetILNS1_3genE4ELNS1_11target_archE910ELNS1_3gpuE8ELNS1_3repE0EEENS1_48merge_mergepath_partition_config_static_selectorELNS0_4arch9wavefront6targetE1EEEvSL_,"axG",@progbits,_ZN7rocprim17ROCPRIM_400000_NS6detail17trampoline_kernelINS0_14default_configENS1_38merge_sort_block_merge_config_selectorIsNS0_10empty_typeEEEZZNS1_27merge_sort_block_merge_implIS3_N6thrust23THRUST_200600_302600_NS6detail15normal_iteratorINS9_10device_ptrIsEEEEPS5_jNS1_19radix_merge_compareILb0ELb0EsNS0_19identity_decomposerEEEEE10hipError_tT0_T1_T2_jT3_P12ihipStream_tbPNSt15iterator_traitsISK_E10value_typeEPNSQ_ISL_E10value_typeEPSM_NS1_7vsmem_tEENKUlT_SK_SL_SM_E_clIPsSE_SF_SF_EESJ_SZ_SK_SL_SM_EUlSZ_E_NS1_11comp_targetILNS1_3genE4ELNS1_11target_archE910ELNS1_3gpuE8ELNS1_3repE0EEENS1_48merge_mergepath_partition_config_static_selectorELNS0_4arch9wavefront6targetE1EEEvSL_,comdat
.Lfunc_end1821:
	.size	_ZN7rocprim17ROCPRIM_400000_NS6detail17trampoline_kernelINS0_14default_configENS1_38merge_sort_block_merge_config_selectorIsNS0_10empty_typeEEEZZNS1_27merge_sort_block_merge_implIS3_N6thrust23THRUST_200600_302600_NS6detail15normal_iteratorINS9_10device_ptrIsEEEEPS5_jNS1_19radix_merge_compareILb0ELb0EsNS0_19identity_decomposerEEEEE10hipError_tT0_T1_T2_jT3_P12ihipStream_tbPNSt15iterator_traitsISK_E10value_typeEPNSQ_ISL_E10value_typeEPSM_NS1_7vsmem_tEENKUlT_SK_SL_SM_E_clIPsSE_SF_SF_EESJ_SZ_SK_SL_SM_EUlSZ_E_NS1_11comp_targetILNS1_3genE4ELNS1_11target_archE910ELNS1_3gpuE8ELNS1_3repE0EEENS1_48merge_mergepath_partition_config_static_selectorELNS0_4arch9wavefront6targetE1EEEvSL_, .Lfunc_end1821-_ZN7rocprim17ROCPRIM_400000_NS6detail17trampoline_kernelINS0_14default_configENS1_38merge_sort_block_merge_config_selectorIsNS0_10empty_typeEEEZZNS1_27merge_sort_block_merge_implIS3_N6thrust23THRUST_200600_302600_NS6detail15normal_iteratorINS9_10device_ptrIsEEEEPS5_jNS1_19radix_merge_compareILb0ELb0EsNS0_19identity_decomposerEEEEE10hipError_tT0_T1_T2_jT3_P12ihipStream_tbPNSt15iterator_traitsISK_E10value_typeEPNSQ_ISL_E10value_typeEPSM_NS1_7vsmem_tEENKUlT_SK_SL_SM_E_clIPsSE_SF_SF_EESJ_SZ_SK_SL_SM_EUlSZ_E_NS1_11comp_targetILNS1_3genE4ELNS1_11target_archE910ELNS1_3gpuE8ELNS1_3repE0EEENS1_48merge_mergepath_partition_config_static_selectorELNS0_4arch9wavefront6targetE1EEEvSL_
                                        ; -- End function
	.section	.AMDGPU.csdata,"",@progbits
; Kernel info:
; codeLenInByte = 0
; NumSgprs: 6
; NumVgprs: 0
; NumAgprs: 0
; TotalNumVgprs: 0
; ScratchSize: 0
; MemoryBound: 0
; FloatMode: 240
; IeeeMode: 1
; LDSByteSize: 0 bytes/workgroup (compile time only)
; SGPRBlocks: 0
; VGPRBlocks: 0
; NumSGPRsForWavesPerEU: 6
; NumVGPRsForWavesPerEU: 1
; AccumOffset: 4
; Occupancy: 8
; WaveLimiterHint : 0
; COMPUTE_PGM_RSRC2:SCRATCH_EN: 0
; COMPUTE_PGM_RSRC2:USER_SGPR: 2
; COMPUTE_PGM_RSRC2:TRAP_HANDLER: 0
; COMPUTE_PGM_RSRC2:TGID_X_EN: 1
; COMPUTE_PGM_RSRC2:TGID_Y_EN: 0
; COMPUTE_PGM_RSRC2:TGID_Z_EN: 0
; COMPUTE_PGM_RSRC2:TIDIG_COMP_CNT: 0
; COMPUTE_PGM_RSRC3_GFX90A:ACCUM_OFFSET: 0
; COMPUTE_PGM_RSRC3_GFX90A:TG_SPLIT: 0
	.section	.text._ZN7rocprim17ROCPRIM_400000_NS6detail17trampoline_kernelINS0_14default_configENS1_38merge_sort_block_merge_config_selectorIsNS0_10empty_typeEEEZZNS1_27merge_sort_block_merge_implIS3_N6thrust23THRUST_200600_302600_NS6detail15normal_iteratorINS9_10device_ptrIsEEEEPS5_jNS1_19radix_merge_compareILb0ELb0EsNS0_19identity_decomposerEEEEE10hipError_tT0_T1_T2_jT3_P12ihipStream_tbPNSt15iterator_traitsISK_E10value_typeEPNSQ_ISL_E10value_typeEPSM_NS1_7vsmem_tEENKUlT_SK_SL_SM_E_clIPsSE_SF_SF_EESJ_SZ_SK_SL_SM_EUlSZ_E_NS1_11comp_targetILNS1_3genE3ELNS1_11target_archE908ELNS1_3gpuE7ELNS1_3repE0EEENS1_48merge_mergepath_partition_config_static_selectorELNS0_4arch9wavefront6targetE1EEEvSL_,"axG",@progbits,_ZN7rocprim17ROCPRIM_400000_NS6detail17trampoline_kernelINS0_14default_configENS1_38merge_sort_block_merge_config_selectorIsNS0_10empty_typeEEEZZNS1_27merge_sort_block_merge_implIS3_N6thrust23THRUST_200600_302600_NS6detail15normal_iteratorINS9_10device_ptrIsEEEEPS5_jNS1_19radix_merge_compareILb0ELb0EsNS0_19identity_decomposerEEEEE10hipError_tT0_T1_T2_jT3_P12ihipStream_tbPNSt15iterator_traitsISK_E10value_typeEPNSQ_ISL_E10value_typeEPSM_NS1_7vsmem_tEENKUlT_SK_SL_SM_E_clIPsSE_SF_SF_EESJ_SZ_SK_SL_SM_EUlSZ_E_NS1_11comp_targetILNS1_3genE3ELNS1_11target_archE908ELNS1_3gpuE7ELNS1_3repE0EEENS1_48merge_mergepath_partition_config_static_selectorELNS0_4arch9wavefront6targetE1EEEvSL_,comdat
	.protected	_ZN7rocprim17ROCPRIM_400000_NS6detail17trampoline_kernelINS0_14default_configENS1_38merge_sort_block_merge_config_selectorIsNS0_10empty_typeEEEZZNS1_27merge_sort_block_merge_implIS3_N6thrust23THRUST_200600_302600_NS6detail15normal_iteratorINS9_10device_ptrIsEEEEPS5_jNS1_19radix_merge_compareILb0ELb0EsNS0_19identity_decomposerEEEEE10hipError_tT0_T1_T2_jT3_P12ihipStream_tbPNSt15iterator_traitsISK_E10value_typeEPNSQ_ISL_E10value_typeEPSM_NS1_7vsmem_tEENKUlT_SK_SL_SM_E_clIPsSE_SF_SF_EESJ_SZ_SK_SL_SM_EUlSZ_E_NS1_11comp_targetILNS1_3genE3ELNS1_11target_archE908ELNS1_3gpuE7ELNS1_3repE0EEENS1_48merge_mergepath_partition_config_static_selectorELNS0_4arch9wavefront6targetE1EEEvSL_ ; -- Begin function _ZN7rocprim17ROCPRIM_400000_NS6detail17trampoline_kernelINS0_14default_configENS1_38merge_sort_block_merge_config_selectorIsNS0_10empty_typeEEEZZNS1_27merge_sort_block_merge_implIS3_N6thrust23THRUST_200600_302600_NS6detail15normal_iteratorINS9_10device_ptrIsEEEEPS5_jNS1_19radix_merge_compareILb0ELb0EsNS0_19identity_decomposerEEEEE10hipError_tT0_T1_T2_jT3_P12ihipStream_tbPNSt15iterator_traitsISK_E10value_typeEPNSQ_ISL_E10value_typeEPSM_NS1_7vsmem_tEENKUlT_SK_SL_SM_E_clIPsSE_SF_SF_EESJ_SZ_SK_SL_SM_EUlSZ_E_NS1_11comp_targetILNS1_3genE3ELNS1_11target_archE908ELNS1_3gpuE7ELNS1_3repE0EEENS1_48merge_mergepath_partition_config_static_selectorELNS0_4arch9wavefront6targetE1EEEvSL_
	.globl	_ZN7rocprim17ROCPRIM_400000_NS6detail17trampoline_kernelINS0_14default_configENS1_38merge_sort_block_merge_config_selectorIsNS0_10empty_typeEEEZZNS1_27merge_sort_block_merge_implIS3_N6thrust23THRUST_200600_302600_NS6detail15normal_iteratorINS9_10device_ptrIsEEEEPS5_jNS1_19radix_merge_compareILb0ELb0EsNS0_19identity_decomposerEEEEE10hipError_tT0_T1_T2_jT3_P12ihipStream_tbPNSt15iterator_traitsISK_E10value_typeEPNSQ_ISL_E10value_typeEPSM_NS1_7vsmem_tEENKUlT_SK_SL_SM_E_clIPsSE_SF_SF_EESJ_SZ_SK_SL_SM_EUlSZ_E_NS1_11comp_targetILNS1_3genE3ELNS1_11target_archE908ELNS1_3gpuE7ELNS1_3repE0EEENS1_48merge_mergepath_partition_config_static_selectorELNS0_4arch9wavefront6targetE1EEEvSL_
	.p2align	8
	.type	_ZN7rocprim17ROCPRIM_400000_NS6detail17trampoline_kernelINS0_14default_configENS1_38merge_sort_block_merge_config_selectorIsNS0_10empty_typeEEEZZNS1_27merge_sort_block_merge_implIS3_N6thrust23THRUST_200600_302600_NS6detail15normal_iteratorINS9_10device_ptrIsEEEEPS5_jNS1_19radix_merge_compareILb0ELb0EsNS0_19identity_decomposerEEEEE10hipError_tT0_T1_T2_jT3_P12ihipStream_tbPNSt15iterator_traitsISK_E10value_typeEPNSQ_ISL_E10value_typeEPSM_NS1_7vsmem_tEENKUlT_SK_SL_SM_E_clIPsSE_SF_SF_EESJ_SZ_SK_SL_SM_EUlSZ_E_NS1_11comp_targetILNS1_3genE3ELNS1_11target_archE908ELNS1_3gpuE7ELNS1_3repE0EEENS1_48merge_mergepath_partition_config_static_selectorELNS0_4arch9wavefront6targetE1EEEvSL_,@function
_ZN7rocprim17ROCPRIM_400000_NS6detail17trampoline_kernelINS0_14default_configENS1_38merge_sort_block_merge_config_selectorIsNS0_10empty_typeEEEZZNS1_27merge_sort_block_merge_implIS3_N6thrust23THRUST_200600_302600_NS6detail15normal_iteratorINS9_10device_ptrIsEEEEPS5_jNS1_19radix_merge_compareILb0ELb0EsNS0_19identity_decomposerEEEEE10hipError_tT0_T1_T2_jT3_P12ihipStream_tbPNSt15iterator_traitsISK_E10value_typeEPNSQ_ISL_E10value_typeEPSM_NS1_7vsmem_tEENKUlT_SK_SL_SM_E_clIPsSE_SF_SF_EESJ_SZ_SK_SL_SM_EUlSZ_E_NS1_11comp_targetILNS1_3genE3ELNS1_11target_archE908ELNS1_3gpuE7ELNS1_3repE0EEENS1_48merge_mergepath_partition_config_static_selectorELNS0_4arch9wavefront6targetE1EEEvSL_: ; @_ZN7rocprim17ROCPRIM_400000_NS6detail17trampoline_kernelINS0_14default_configENS1_38merge_sort_block_merge_config_selectorIsNS0_10empty_typeEEEZZNS1_27merge_sort_block_merge_implIS3_N6thrust23THRUST_200600_302600_NS6detail15normal_iteratorINS9_10device_ptrIsEEEEPS5_jNS1_19radix_merge_compareILb0ELb0EsNS0_19identity_decomposerEEEEE10hipError_tT0_T1_T2_jT3_P12ihipStream_tbPNSt15iterator_traitsISK_E10value_typeEPNSQ_ISL_E10value_typeEPSM_NS1_7vsmem_tEENKUlT_SK_SL_SM_E_clIPsSE_SF_SF_EESJ_SZ_SK_SL_SM_EUlSZ_E_NS1_11comp_targetILNS1_3genE3ELNS1_11target_archE908ELNS1_3gpuE7ELNS1_3repE0EEENS1_48merge_mergepath_partition_config_static_selectorELNS0_4arch9wavefront6targetE1EEEvSL_
; %bb.0:
	.section	.rodata,"a",@progbits
	.p2align	6, 0x0
	.amdhsa_kernel _ZN7rocprim17ROCPRIM_400000_NS6detail17trampoline_kernelINS0_14default_configENS1_38merge_sort_block_merge_config_selectorIsNS0_10empty_typeEEEZZNS1_27merge_sort_block_merge_implIS3_N6thrust23THRUST_200600_302600_NS6detail15normal_iteratorINS9_10device_ptrIsEEEEPS5_jNS1_19radix_merge_compareILb0ELb0EsNS0_19identity_decomposerEEEEE10hipError_tT0_T1_T2_jT3_P12ihipStream_tbPNSt15iterator_traitsISK_E10value_typeEPNSQ_ISL_E10value_typeEPSM_NS1_7vsmem_tEENKUlT_SK_SL_SM_E_clIPsSE_SF_SF_EESJ_SZ_SK_SL_SM_EUlSZ_E_NS1_11comp_targetILNS1_3genE3ELNS1_11target_archE908ELNS1_3gpuE7ELNS1_3repE0EEENS1_48merge_mergepath_partition_config_static_selectorELNS0_4arch9wavefront6targetE1EEEvSL_
		.amdhsa_group_segment_fixed_size 0
		.amdhsa_private_segment_fixed_size 0
		.amdhsa_kernarg_size 40
		.amdhsa_user_sgpr_count 2
		.amdhsa_user_sgpr_dispatch_ptr 0
		.amdhsa_user_sgpr_queue_ptr 0
		.amdhsa_user_sgpr_kernarg_segment_ptr 1
		.amdhsa_user_sgpr_dispatch_id 0
		.amdhsa_user_sgpr_kernarg_preload_length 0
		.amdhsa_user_sgpr_kernarg_preload_offset 0
		.amdhsa_user_sgpr_private_segment_size 0
		.amdhsa_uses_dynamic_stack 0
		.amdhsa_enable_private_segment 0
		.amdhsa_system_sgpr_workgroup_id_x 1
		.amdhsa_system_sgpr_workgroup_id_y 0
		.amdhsa_system_sgpr_workgroup_id_z 0
		.amdhsa_system_sgpr_workgroup_info 0
		.amdhsa_system_vgpr_workitem_id 0
		.amdhsa_next_free_vgpr 1
		.amdhsa_next_free_sgpr 0
		.amdhsa_accum_offset 4
		.amdhsa_reserve_vcc 0
		.amdhsa_float_round_mode_32 0
		.amdhsa_float_round_mode_16_64 0
		.amdhsa_float_denorm_mode_32 3
		.amdhsa_float_denorm_mode_16_64 3
		.amdhsa_dx10_clamp 1
		.amdhsa_ieee_mode 1
		.amdhsa_fp16_overflow 0
		.amdhsa_tg_split 0
		.amdhsa_exception_fp_ieee_invalid_op 0
		.amdhsa_exception_fp_denorm_src 0
		.amdhsa_exception_fp_ieee_div_zero 0
		.amdhsa_exception_fp_ieee_overflow 0
		.amdhsa_exception_fp_ieee_underflow 0
		.amdhsa_exception_fp_ieee_inexact 0
		.amdhsa_exception_int_div_zero 0
	.end_amdhsa_kernel
	.section	.text._ZN7rocprim17ROCPRIM_400000_NS6detail17trampoline_kernelINS0_14default_configENS1_38merge_sort_block_merge_config_selectorIsNS0_10empty_typeEEEZZNS1_27merge_sort_block_merge_implIS3_N6thrust23THRUST_200600_302600_NS6detail15normal_iteratorINS9_10device_ptrIsEEEEPS5_jNS1_19radix_merge_compareILb0ELb0EsNS0_19identity_decomposerEEEEE10hipError_tT0_T1_T2_jT3_P12ihipStream_tbPNSt15iterator_traitsISK_E10value_typeEPNSQ_ISL_E10value_typeEPSM_NS1_7vsmem_tEENKUlT_SK_SL_SM_E_clIPsSE_SF_SF_EESJ_SZ_SK_SL_SM_EUlSZ_E_NS1_11comp_targetILNS1_3genE3ELNS1_11target_archE908ELNS1_3gpuE7ELNS1_3repE0EEENS1_48merge_mergepath_partition_config_static_selectorELNS0_4arch9wavefront6targetE1EEEvSL_,"axG",@progbits,_ZN7rocprim17ROCPRIM_400000_NS6detail17trampoline_kernelINS0_14default_configENS1_38merge_sort_block_merge_config_selectorIsNS0_10empty_typeEEEZZNS1_27merge_sort_block_merge_implIS3_N6thrust23THRUST_200600_302600_NS6detail15normal_iteratorINS9_10device_ptrIsEEEEPS5_jNS1_19radix_merge_compareILb0ELb0EsNS0_19identity_decomposerEEEEE10hipError_tT0_T1_T2_jT3_P12ihipStream_tbPNSt15iterator_traitsISK_E10value_typeEPNSQ_ISL_E10value_typeEPSM_NS1_7vsmem_tEENKUlT_SK_SL_SM_E_clIPsSE_SF_SF_EESJ_SZ_SK_SL_SM_EUlSZ_E_NS1_11comp_targetILNS1_3genE3ELNS1_11target_archE908ELNS1_3gpuE7ELNS1_3repE0EEENS1_48merge_mergepath_partition_config_static_selectorELNS0_4arch9wavefront6targetE1EEEvSL_,comdat
.Lfunc_end1822:
	.size	_ZN7rocprim17ROCPRIM_400000_NS6detail17trampoline_kernelINS0_14default_configENS1_38merge_sort_block_merge_config_selectorIsNS0_10empty_typeEEEZZNS1_27merge_sort_block_merge_implIS3_N6thrust23THRUST_200600_302600_NS6detail15normal_iteratorINS9_10device_ptrIsEEEEPS5_jNS1_19radix_merge_compareILb0ELb0EsNS0_19identity_decomposerEEEEE10hipError_tT0_T1_T2_jT3_P12ihipStream_tbPNSt15iterator_traitsISK_E10value_typeEPNSQ_ISL_E10value_typeEPSM_NS1_7vsmem_tEENKUlT_SK_SL_SM_E_clIPsSE_SF_SF_EESJ_SZ_SK_SL_SM_EUlSZ_E_NS1_11comp_targetILNS1_3genE3ELNS1_11target_archE908ELNS1_3gpuE7ELNS1_3repE0EEENS1_48merge_mergepath_partition_config_static_selectorELNS0_4arch9wavefront6targetE1EEEvSL_, .Lfunc_end1822-_ZN7rocprim17ROCPRIM_400000_NS6detail17trampoline_kernelINS0_14default_configENS1_38merge_sort_block_merge_config_selectorIsNS0_10empty_typeEEEZZNS1_27merge_sort_block_merge_implIS3_N6thrust23THRUST_200600_302600_NS6detail15normal_iteratorINS9_10device_ptrIsEEEEPS5_jNS1_19radix_merge_compareILb0ELb0EsNS0_19identity_decomposerEEEEE10hipError_tT0_T1_T2_jT3_P12ihipStream_tbPNSt15iterator_traitsISK_E10value_typeEPNSQ_ISL_E10value_typeEPSM_NS1_7vsmem_tEENKUlT_SK_SL_SM_E_clIPsSE_SF_SF_EESJ_SZ_SK_SL_SM_EUlSZ_E_NS1_11comp_targetILNS1_3genE3ELNS1_11target_archE908ELNS1_3gpuE7ELNS1_3repE0EEENS1_48merge_mergepath_partition_config_static_selectorELNS0_4arch9wavefront6targetE1EEEvSL_
                                        ; -- End function
	.section	.AMDGPU.csdata,"",@progbits
; Kernel info:
; codeLenInByte = 0
; NumSgprs: 6
; NumVgprs: 0
; NumAgprs: 0
; TotalNumVgprs: 0
; ScratchSize: 0
; MemoryBound: 0
; FloatMode: 240
; IeeeMode: 1
; LDSByteSize: 0 bytes/workgroup (compile time only)
; SGPRBlocks: 0
; VGPRBlocks: 0
; NumSGPRsForWavesPerEU: 6
; NumVGPRsForWavesPerEU: 1
; AccumOffset: 4
; Occupancy: 8
; WaveLimiterHint : 0
; COMPUTE_PGM_RSRC2:SCRATCH_EN: 0
; COMPUTE_PGM_RSRC2:USER_SGPR: 2
; COMPUTE_PGM_RSRC2:TRAP_HANDLER: 0
; COMPUTE_PGM_RSRC2:TGID_X_EN: 1
; COMPUTE_PGM_RSRC2:TGID_Y_EN: 0
; COMPUTE_PGM_RSRC2:TGID_Z_EN: 0
; COMPUTE_PGM_RSRC2:TIDIG_COMP_CNT: 0
; COMPUTE_PGM_RSRC3_GFX90A:ACCUM_OFFSET: 0
; COMPUTE_PGM_RSRC3_GFX90A:TG_SPLIT: 0
	.section	.text._ZN7rocprim17ROCPRIM_400000_NS6detail17trampoline_kernelINS0_14default_configENS1_38merge_sort_block_merge_config_selectorIsNS0_10empty_typeEEEZZNS1_27merge_sort_block_merge_implIS3_N6thrust23THRUST_200600_302600_NS6detail15normal_iteratorINS9_10device_ptrIsEEEEPS5_jNS1_19radix_merge_compareILb0ELb0EsNS0_19identity_decomposerEEEEE10hipError_tT0_T1_T2_jT3_P12ihipStream_tbPNSt15iterator_traitsISK_E10value_typeEPNSQ_ISL_E10value_typeEPSM_NS1_7vsmem_tEENKUlT_SK_SL_SM_E_clIPsSE_SF_SF_EESJ_SZ_SK_SL_SM_EUlSZ_E_NS1_11comp_targetILNS1_3genE2ELNS1_11target_archE906ELNS1_3gpuE6ELNS1_3repE0EEENS1_48merge_mergepath_partition_config_static_selectorELNS0_4arch9wavefront6targetE1EEEvSL_,"axG",@progbits,_ZN7rocprim17ROCPRIM_400000_NS6detail17trampoline_kernelINS0_14default_configENS1_38merge_sort_block_merge_config_selectorIsNS0_10empty_typeEEEZZNS1_27merge_sort_block_merge_implIS3_N6thrust23THRUST_200600_302600_NS6detail15normal_iteratorINS9_10device_ptrIsEEEEPS5_jNS1_19radix_merge_compareILb0ELb0EsNS0_19identity_decomposerEEEEE10hipError_tT0_T1_T2_jT3_P12ihipStream_tbPNSt15iterator_traitsISK_E10value_typeEPNSQ_ISL_E10value_typeEPSM_NS1_7vsmem_tEENKUlT_SK_SL_SM_E_clIPsSE_SF_SF_EESJ_SZ_SK_SL_SM_EUlSZ_E_NS1_11comp_targetILNS1_3genE2ELNS1_11target_archE906ELNS1_3gpuE6ELNS1_3repE0EEENS1_48merge_mergepath_partition_config_static_selectorELNS0_4arch9wavefront6targetE1EEEvSL_,comdat
	.protected	_ZN7rocprim17ROCPRIM_400000_NS6detail17trampoline_kernelINS0_14default_configENS1_38merge_sort_block_merge_config_selectorIsNS0_10empty_typeEEEZZNS1_27merge_sort_block_merge_implIS3_N6thrust23THRUST_200600_302600_NS6detail15normal_iteratorINS9_10device_ptrIsEEEEPS5_jNS1_19radix_merge_compareILb0ELb0EsNS0_19identity_decomposerEEEEE10hipError_tT0_T1_T2_jT3_P12ihipStream_tbPNSt15iterator_traitsISK_E10value_typeEPNSQ_ISL_E10value_typeEPSM_NS1_7vsmem_tEENKUlT_SK_SL_SM_E_clIPsSE_SF_SF_EESJ_SZ_SK_SL_SM_EUlSZ_E_NS1_11comp_targetILNS1_3genE2ELNS1_11target_archE906ELNS1_3gpuE6ELNS1_3repE0EEENS1_48merge_mergepath_partition_config_static_selectorELNS0_4arch9wavefront6targetE1EEEvSL_ ; -- Begin function _ZN7rocprim17ROCPRIM_400000_NS6detail17trampoline_kernelINS0_14default_configENS1_38merge_sort_block_merge_config_selectorIsNS0_10empty_typeEEEZZNS1_27merge_sort_block_merge_implIS3_N6thrust23THRUST_200600_302600_NS6detail15normal_iteratorINS9_10device_ptrIsEEEEPS5_jNS1_19radix_merge_compareILb0ELb0EsNS0_19identity_decomposerEEEEE10hipError_tT0_T1_T2_jT3_P12ihipStream_tbPNSt15iterator_traitsISK_E10value_typeEPNSQ_ISL_E10value_typeEPSM_NS1_7vsmem_tEENKUlT_SK_SL_SM_E_clIPsSE_SF_SF_EESJ_SZ_SK_SL_SM_EUlSZ_E_NS1_11comp_targetILNS1_3genE2ELNS1_11target_archE906ELNS1_3gpuE6ELNS1_3repE0EEENS1_48merge_mergepath_partition_config_static_selectorELNS0_4arch9wavefront6targetE1EEEvSL_
	.globl	_ZN7rocprim17ROCPRIM_400000_NS6detail17trampoline_kernelINS0_14default_configENS1_38merge_sort_block_merge_config_selectorIsNS0_10empty_typeEEEZZNS1_27merge_sort_block_merge_implIS3_N6thrust23THRUST_200600_302600_NS6detail15normal_iteratorINS9_10device_ptrIsEEEEPS5_jNS1_19radix_merge_compareILb0ELb0EsNS0_19identity_decomposerEEEEE10hipError_tT0_T1_T2_jT3_P12ihipStream_tbPNSt15iterator_traitsISK_E10value_typeEPNSQ_ISL_E10value_typeEPSM_NS1_7vsmem_tEENKUlT_SK_SL_SM_E_clIPsSE_SF_SF_EESJ_SZ_SK_SL_SM_EUlSZ_E_NS1_11comp_targetILNS1_3genE2ELNS1_11target_archE906ELNS1_3gpuE6ELNS1_3repE0EEENS1_48merge_mergepath_partition_config_static_selectorELNS0_4arch9wavefront6targetE1EEEvSL_
	.p2align	8
	.type	_ZN7rocprim17ROCPRIM_400000_NS6detail17trampoline_kernelINS0_14default_configENS1_38merge_sort_block_merge_config_selectorIsNS0_10empty_typeEEEZZNS1_27merge_sort_block_merge_implIS3_N6thrust23THRUST_200600_302600_NS6detail15normal_iteratorINS9_10device_ptrIsEEEEPS5_jNS1_19radix_merge_compareILb0ELb0EsNS0_19identity_decomposerEEEEE10hipError_tT0_T1_T2_jT3_P12ihipStream_tbPNSt15iterator_traitsISK_E10value_typeEPNSQ_ISL_E10value_typeEPSM_NS1_7vsmem_tEENKUlT_SK_SL_SM_E_clIPsSE_SF_SF_EESJ_SZ_SK_SL_SM_EUlSZ_E_NS1_11comp_targetILNS1_3genE2ELNS1_11target_archE906ELNS1_3gpuE6ELNS1_3repE0EEENS1_48merge_mergepath_partition_config_static_selectorELNS0_4arch9wavefront6targetE1EEEvSL_,@function
_ZN7rocprim17ROCPRIM_400000_NS6detail17trampoline_kernelINS0_14default_configENS1_38merge_sort_block_merge_config_selectorIsNS0_10empty_typeEEEZZNS1_27merge_sort_block_merge_implIS3_N6thrust23THRUST_200600_302600_NS6detail15normal_iteratorINS9_10device_ptrIsEEEEPS5_jNS1_19radix_merge_compareILb0ELb0EsNS0_19identity_decomposerEEEEE10hipError_tT0_T1_T2_jT3_P12ihipStream_tbPNSt15iterator_traitsISK_E10value_typeEPNSQ_ISL_E10value_typeEPSM_NS1_7vsmem_tEENKUlT_SK_SL_SM_E_clIPsSE_SF_SF_EESJ_SZ_SK_SL_SM_EUlSZ_E_NS1_11comp_targetILNS1_3genE2ELNS1_11target_archE906ELNS1_3gpuE6ELNS1_3repE0EEENS1_48merge_mergepath_partition_config_static_selectorELNS0_4arch9wavefront6targetE1EEEvSL_: ; @_ZN7rocprim17ROCPRIM_400000_NS6detail17trampoline_kernelINS0_14default_configENS1_38merge_sort_block_merge_config_selectorIsNS0_10empty_typeEEEZZNS1_27merge_sort_block_merge_implIS3_N6thrust23THRUST_200600_302600_NS6detail15normal_iteratorINS9_10device_ptrIsEEEEPS5_jNS1_19radix_merge_compareILb0ELb0EsNS0_19identity_decomposerEEEEE10hipError_tT0_T1_T2_jT3_P12ihipStream_tbPNSt15iterator_traitsISK_E10value_typeEPNSQ_ISL_E10value_typeEPSM_NS1_7vsmem_tEENKUlT_SK_SL_SM_E_clIPsSE_SF_SF_EESJ_SZ_SK_SL_SM_EUlSZ_E_NS1_11comp_targetILNS1_3genE2ELNS1_11target_archE906ELNS1_3gpuE6ELNS1_3repE0EEENS1_48merge_mergepath_partition_config_static_selectorELNS0_4arch9wavefront6targetE1EEEvSL_
; %bb.0:
	.section	.rodata,"a",@progbits
	.p2align	6, 0x0
	.amdhsa_kernel _ZN7rocprim17ROCPRIM_400000_NS6detail17trampoline_kernelINS0_14default_configENS1_38merge_sort_block_merge_config_selectorIsNS0_10empty_typeEEEZZNS1_27merge_sort_block_merge_implIS3_N6thrust23THRUST_200600_302600_NS6detail15normal_iteratorINS9_10device_ptrIsEEEEPS5_jNS1_19radix_merge_compareILb0ELb0EsNS0_19identity_decomposerEEEEE10hipError_tT0_T1_T2_jT3_P12ihipStream_tbPNSt15iterator_traitsISK_E10value_typeEPNSQ_ISL_E10value_typeEPSM_NS1_7vsmem_tEENKUlT_SK_SL_SM_E_clIPsSE_SF_SF_EESJ_SZ_SK_SL_SM_EUlSZ_E_NS1_11comp_targetILNS1_3genE2ELNS1_11target_archE906ELNS1_3gpuE6ELNS1_3repE0EEENS1_48merge_mergepath_partition_config_static_selectorELNS0_4arch9wavefront6targetE1EEEvSL_
		.amdhsa_group_segment_fixed_size 0
		.amdhsa_private_segment_fixed_size 0
		.amdhsa_kernarg_size 40
		.amdhsa_user_sgpr_count 2
		.amdhsa_user_sgpr_dispatch_ptr 0
		.amdhsa_user_sgpr_queue_ptr 0
		.amdhsa_user_sgpr_kernarg_segment_ptr 1
		.amdhsa_user_sgpr_dispatch_id 0
		.amdhsa_user_sgpr_kernarg_preload_length 0
		.amdhsa_user_sgpr_kernarg_preload_offset 0
		.amdhsa_user_sgpr_private_segment_size 0
		.amdhsa_uses_dynamic_stack 0
		.amdhsa_enable_private_segment 0
		.amdhsa_system_sgpr_workgroup_id_x 1
		.amdhsa_system_sgpr_workgroup_id_y 0
		.amdhsa_system_sgpr_workgroup_id_z 0
		.amdhsa_system_sgpr_workgroup_info 0
		.amdhsa_system_vgpr_workitem_id 0
		.amdhsa_next_free_vgpr 1
		.amdhsa_next_free_sgpr 0
		.amdhsa_accum_offset 4
		.amdhsa_reserve_vcc 0
		.amdhsa_float_round_mode_32 0
		.amdhsa_float_round_mode_16_64 0
		.amdhsa_float_denorm_mode_32 3
		.amdhsa_float_denorm_mode_16_64 3
		.amdhsa_dx10_clamp 1
		.amdhsa_ieee_mode 1
		.amdhsa_fp16_overflow 0
		.amdhsa_tg_split 0
		.amdhsa_exception_fp_ieee_invalid_op 0
		.amdhsa_exception_fp_denorm_src 0
		.amdhsa_exception_fp_ieee_div_zero 0
		.amdhsa_exception_fp_ieee_overflow 0
		.amdhsa_exception_fp_ieee_underflow 0
		.amdhsa_exception_fp_ieee_inexact 0
		.amdhsa_exception_int_div_zero 0
	.end_amdhsa_kernel
	.section	.text._ZN7rocprim17ROCPRIM_400000_NS6detail17trampoline_kernelINS0_14default_configENS1_38merge_sort_block_merge_config_selectorIsNS0_10empty_typeEEEZZNS1_27merge_sort_block_merge_implIS3_N6thrust23THRUST_200600_302600_NS6detail15normal_iteratorINS9_10device_ptrIsEEEEPS5_jNS1_19radix_merge_compareILb0ELb0EsNS0_19identity_decomposerEEEEE10hipError_tT0_T1_T2_jT3_P12ihipStream_tbPNSt15iterator_traitsISK_E10value_typeEPNSQ_ISL_E10value_typeEPSM_NS1_7vsmem_tEENKUlT_SK_SL_SM_E_clIPsSE_SF_SF_EESJ_SZ_SK_SL_SM_EUlSZ_E_NS1_11comp_targetILNS1_3genE2ELNS1_11target_archE906ELNS1_3gpuE6ELNS1_3repE0EEENS1_48merge_mergepath_partition_config_static_selectorELNS0_4arch9wavefront6targetE1EEEvSL_,"axG",@progbits,_ZN7rocprim17ROCPRIM_400000_NS6detail17trampoline_kernelINS0_14default_configENS1_38merge_sort_block_merge_config_selectorIsNS0_10empty_typeEEEZZNS1_27merge_sort_block_merge_implIS3_N6thrust23THRUST_200600_302600_NS6detail15normal_iteratorINS9_10device_ptrIsEEEEPS5_jNS1_19radix_merge_compareILb0ELb0EsNS0_19identity_decomposerEEEEE10hipError_tT0_T1_T2_jT3_P12ihipStream_tbPNSt15iterator_traitsISK_E10value_typeEPNSQ_ISL_E10value_typeEPSM_NS1_7vsmem_tEENKUlT_SK_SL_SM_E_clIPsSE_SF_SF_EESJ_SZ_SK_SL_SM_EUlSZ_E_NS1_11comp_targetILNS1_3genE2ELNS1_11target_archE906ELNS1_3gpuE6ELNS1_3repE0EEENS1_48merge_mergepath_partition_config_static_selectorELNS0_4arch9wavefront6targetE1EEEvSL_,comdat
.Lfunc_end1823:
	.size	_ZN7rocprim17ROCPRIM_400000_NS6detail17trampoline_kernelINS0_14default_configENS1_38merge_sort_block_merge_config_selectorIsNS0_10empty_typeEEEZZNS1_27merge_sort_block_merge_implIS3_N6thrust23THRUST_200600_302600_NS6detail15normal_iteratorINS9_10device_ptrIsEEEEPS5_jNS1_19radix_merge_compareILb0ELb0EsNS0_19identity_decomposerEEEEE10hipError_tT0_T1_T2_jT3_P12ihipStream_tbPNSt15iterator_traitsISK_E10value_typeEPNSQ_ISL_E10value_typeEPSM_NS1_7vsmem_tEENKUlT_SK_SL_SM_E_clIPsSE_SF_SF_EESJ_SZ_SK_SL_SM_EUlSZ_E_NS1_11comp_targetILNS1_3genE2ELNS1_11target_archE906ELNS1_3gpuE6ELNS1_3repE0EEENS1_48merge_mergepath_partition_config_static_selectorELNS0_4arch9wavefront6targetE1EEEvSL_, .Lfunc_end1823-_ZN7rocprim17ROCPRIM_400000_NS6detail17trampoline_kernelINS0_14default_configENS1_38merge_sort_block_merge_config_selectorIsNS0_10empty_typeEEEZZNS1_27merge_sort_block_merge_implIS3_N6thrust23THRUST_200600_302600_NS6detail15normal_iteratorINS9_10device_ptrIsEEEEPS5_jNS1_19radix_merge_compareILb0ELb0EsNS0_19identity_decomposerEEEEE10hipError_tT0_T1_T2_jT3_P12ihipStream_tbPNSt15iterator_traitsISK_E10value_typeEPNSQ_ISL_E10value_typeEPSM_NS1_7vsmem_tEENKUlT_SK_SL_SM_E_clIPsSE_SF_SF_EESJ_SZ_SK_SL_SM_EUlSZ_E_NS1_11comp_targetILNS1_3genE2ELNS1_11target_archE906ELNS1_3gpuE6ELNS1_3repE0EEENS1_48merge_mergepath_partition_config_static_selectorELNS0_4arch9wavefront6targetE1EEEvSL_
                                        ; -- End function
	.section	.AMDGPU.csdata,"",@progbits
; Kernel info:
; codeLenInByte = 0
; NumSgprs: 6
; NumVgprs: 0
; NumAgprs: 0
; TotalNumVgprs: 0
; ScratchSize: 0
; MemoryBound: 0
; FloatMode: 240
; IeeeMode: 1
; LDSByteSize: 0 bytes/workgroup (compile time only)
; SGPRBlocks: 0
; VGPRBlocks: 0
; NumSGPRsForWavesPerEU: 6
; NumVGPRsForWavesPerEU: 1
; AccumOffset: 4
; Occupancy: 8
; WaveLimiterHint : 0
; COMPUTE_PGM_RSRC2:SCRATCH_EN: 0
; COMPUTE_PGM_RSRC2:USER_SGPR: 2
; COMPUTE_PGM_RSRC2:TRAP_HANDLER: 0
; COMPUTE_PGM_RSRC2:TGID_X_EN: 1
; COMPUTE_PGM_RSRC2:TGID_Y_EN: 0
; COMPUTE_PGM_RSRC2:TGID_Z_EN: 0
; COMPUTE_PGM_RSRC2:TIDIG_COMP_CNT: 0
; COMPUTE_PGM_RSRC3_GFX90A:ACCUM_OFFSET: 0
; COMPUTE_PGM_RSRC3_GFX90A:TG_SPLIT: 0
	.section	.text._ZN7rocprim17ROCPRIM_400000_NS6detail17trampoline_kernelINS0_14default_configENS1_38merge_sort_block_merge_config_selectorIsNS0_10empty_typeEEEZZNS1_27merge_sort_block_merge_implIS3_N6thrust23THRUST_200600_302600_NS6detail15normal_iteratorINS9_10device_ptrIsEEEEPS5_jNS1_19radix_merge_compareILb0ELb0EsNS0_19identity_decomposerEEEEE10hipError_tT0_T1_T2_jT3_P12ihipStream_tbPNSt15iterator_traitsISK_E10value_typeEPNSQ_ISL_E10value_typeEPSM_NS1_7vsmem_tEENKUlT_SK_SL_SM_E_clIPsSE_SF_SF_EESJ_SZ_SK_SL_SM_EUlSZ_E_NS1_11comp_targetILNS1_3genE9ELNS1_11target_archE1100ELNS1_3gpuE3ELNS1_3repE0EEENS1_48merge_mergepath_partition_config_static_selectorELNS0_4arch9wavefront6targetE1EEEvSL_,"axG",@progbits,_ZN7rocprim17ROCPRIM_400000_NS6detail17trampoline_kernelINS0_14default_configENS1_38merge_sort_block_merge_config_selectorIsNS0_10empty_typeEEEZZNS1_27merge_sort_block_merge_implIS3_N6thrust23THRUST_200600_302600_NS6detail15normal_iteratorINS9_10device_ptrIsEEEEPS5_jNS1_19radix_merge_compareILb0ELb0EsNS0_19identity_decomposerEEEEE10hipError_tT0_T1_T2_jT3_P12ihipStream_tbPNSt15iterator_traitsISK_E10value_typeEPNSQ_ISL_E10value_typeEPSM_NS1_7vsmem_tEENKUlT_SK_SL_SM_E_clIPsSE_SF_SF_EESJ_SZ_SK_SL_SM_EUlSZ_E_NS1_11comp_targetILNS1_3genE9ELNS1_11target_archE1100ELNS1_3gpuE3ELNS1_3repE0EEENS1_48merge_mergepath_partition_config_static_selectorELNS0_4arch9wavefront6targetE1EEEvSL_,comdat
	.protected	_ZN7rocprim17ROCPRIM_400000_NS6detail17trampoline_kernelINS0_14default_configENS1_38merge_sort_block_merge_config_selectorIsNS0_10empty_typeEEEZZNS1_27merge_sort_block_merge_implIS3_N6thrust23THRUST_200600_302600_NS6detail15normal_iteratorINS9_10device_ptrIsEEEEPS5_jNS1_19radix_merge_compareILb0ELb0EsNS0_19identity_decomposerEEEEE10hipError_tT0_T1_T2_jT3_P12ihipStream_tbPNSt15iterator_traitsISK_E10value_typeEPNSQ_ISL_E10value_typeEPSM_NS1_7vsmem_tEENKUlT_SK_SL_SM_E_clIPsSE_SF_SF_EESJ_SZ_SK_SL_SM_EUlSZ_E_NS1_11comp_targetILNS1_3genE9ELNS1_11target_archE1100ELNS1_3gpuE3ELNS1_3repE0EEENS1_48merge_mergepath_partition_config_static_selectorELNS0_4arch9wavefront6targetE1EEEvSL_ ; -- Begin function _ZN7rocprim17ROCPRIM_400000_NS6detail17trampoline_kernelINS0_14default_configENS1_38merge_sort_block_merge_config_selectorIsNS0_10empty_typeEEEZZNS1_27merge_sort_block_merge_implIS3_N6thrust23THRUST_200600_302600_NS6detail15normal_iteratorINS9_10device_ptrIsEEEEPS5_jNS1_19radix_merge_compareILb0ELb0EsNS0_19identity_decomposerEEEEE10hipError_tT0_T1_T2_jT3_P12ihipStream_tbPNSt15iterator_traitsISK_E10value_typeEPNSQ_ISL_E10value_typeEPSM_NS1_7vsmem_tEENKUlT_SK_SL_SM_E_clIPsSE_SF_SF_EESJ_SZ_SK_SL_SM_EUlSZ_E_NS1_11comp_targetILNS1_3genE9ELNS1_11target_archE1100ELNS1_3gpuE3ELNS1_3repE0EEENS1_48merge_mergepath_partition_config_static_selectorELNS0_4arch9wavefront6targetE1EEEvSL_
	.globl	_ZN7rocprim17ROCPRIM_400000_NS6detail17trampoline_kernelINS0_14default_configENS1_38merge_sort_block_merge_config_selectorIsNS0_10empty_typeEEEZZNS1_27merge_sort_block_merge_implIS3_N6thrust23THRUST_200600_302600_NS6detail15normal_iteratorINS9_10device_ptrIsEEEEPS5_jNS1_19radix_merge_compareILb0ELb0EsNS0_19identity_decomposerEEEEE10hipError_tT0_T1_T2_jT3_P12ihipStream_tbPNSt15iterator_traitsISK_E10value_typeEPNSQ_ISL_E10value_typeEPSM_NS1_7vsmem_tEENKUlT_SK_SL_SM_E_clIPsSE_SF_SF_EESJ_SZ_SK_SL_SM_EUlSZ_E_NS1_11comp_targetILNS1_3genE9ELNS1_11target_archE1100ELNS1_3gpuE3ELNS1_3repE0EEENS1_48merge_mergepath_partition_config_static_selectorELNS0_4arch9wavefront6targetE1EEEvSL_
	.p2align	8
	.type	_ZN7rocprim17ROCPRIM_400000_NS6detail17trampoline_kernelINS0_14default_configENS1_38merge_sort_block_merge_config_selectorIsNS0_10empty_typeEEEZZNS1_27merge_sort_block_merge_implIS3_N6thrust23THRUST_200600_302600_NS6detail15normal_iteratorINS9_10device_ptrIsEEEEPS5_jNS1_19radix_merge_compareILb0ELb0EsNS0_19identity_decomposerEEEEE10hipError_tT0_T1_T2_jT3_P12ihipStream_tbPNSt15iterator_traitsISK_E10value_typeEPNSQ_ISL_E10value_typeEPSM_NS1_7vsmem_tEENKUlT_SK_SL_SM_E_clIPsSE_SF_SF_EESJ_SZ_SK_SL_SM_EUlSZ_E_NS1_11comp_targetILNS1_3genE9ELNS1_11target_archE1100ELNS1_3gpuE3ELNS1_3repE0EEENS1_48merge_mergepath_partition_config_static_selectorELNS0_4arch9wavefront6targetE1EEEvSL_,@function
_ZN7rocprim17ROCPRIM_400000_NS6detail17trampoline_kernelINS0_14default_configENS1_38merge_sort_block_merge_config_selectorIsNS0_10empty_typeEEEZZNS1_27merge_sort_block_merge_implIS3_N6thrust23THRUST_200600_302600_NS6detail15normal_iteratorINS9_10device_ptrIsEEEEPS5_jNS1_19radix_merge_compareILb0ELb0EsNS0_19identity_decomposerEEEEE10hipError_tT0_T1_T2_jT3_P12ihipStream_tbPNSt15iterator_traitsISK_E10value_typeEPNSQ_ISL_E10value_typeEPSM_NS1_7vsmem_tEENKUlT_SK_SL_SM_E_clIPsSE_SF_SF_EESJ_SZ_SK_SL_SM_EUlSZ_E_NS1_11comp_targetILNS1_3genE9ELNS1_11target_archE1100ELNS1_3gpuE3ELNS1_3repE0EEENS1_48merge_mergepath_partition_config_static_selectorELNS0_4arch9wavefront6targetE1EEEvSL_: ; @_ZN7rocprim17ROCPRIM_400000_NS6detail17trampoline_kernelINS0_14default_configENS1_38merge_sort_block_merge_config_selectorIsNS0_10empty_typeEEEZZNS1_27merge_sort_block_merge_implIS3_N6thrust23THRUST_200600_302600_NS6detail15normal_iteratorINS9_10device_ptrIsEEEEPS5_jNS1_19radix_merge_compareILb0ELb0EsNS0_19identity_decomposerEEEEE10hipError_tT0_T1_T2_jT3_P12ihipStream_tbPNSt15iterator_traitsISK_E10value_typeEPNSQ_ISL_E10value_typeEPSM_NS1_7vsmem_tEENKUlT_SK_SL_SM_E_clIPsSE_SF_SF_EESJ_SZ_SK_SL_SM_EUlSZ_E_NS1_11comp_targetILNS1_3genE9ELNS1_11target_archE1100ELNS1_3gpuE3ELNS1_3repE0EEENS1_48merge_mergepath_partition_config_static_selectorELNS0_4arch9wavefront6targetE1EEEvSL_
; %bb.0:
	.section	.rodata,"a",@progbits
	.p2align	6, 0x0
	.amdhsa_kernel _ZN7rocprim17ROCPRIM_400000_NS6detail17trampoline_kernelINS0_14default_configENS1_38merge_sort_block_merge_config_selectorIsNS0_10empty_typeEEEZZNS1_27merge_sort_block_merge_implIS3_N6thrust23THRUST_200600_302600_NS6detail15normal_iteratorINS9_10device_ptrIsEEEEPS5_jNS1_19radix_merge_compareILb0ELb0EsNS0_19identity_decomposerEEEEE10hipError_tT0_T1_T2_jT3_P12ihipStream_tbPNSt15iterator_traitsISK_E10value_typeEPNSQ_ISL_E10value_typeEPSM_NS1_7vsmem_tEENKUlT_SK_SL_SM_E_clIPsSE_SF_SF_EESJ_SZ_SK_SL_SM_EUlSZ_E_NS1_11comp_targetILNS1_3genE9ELNS1_11target_archE1100ELNS1_3gpuE3ELNS1_3repE0EEENS1_48merge_mergepath_partition_config_static_selectorELNS0_4arch9wavefront6targetE1EEEvSL_
		.amdhsa_group_segment_fixed_size 0
		.amdhsa_private_segment_fixed_size 0
		.amdhsa_kernarg_size 40
		.amdhsa_user_sgpr_count 2
		.amdhsa_user_sgpr_dispatch_ptr 0
		.amdhsa_user_sgpr_queue_ptr 0
		.amdhsa_user_sgpr_kernarg_segment_ptr 1
		.amdhsa_user_sgpr_dispatch_id 0
		.amdhsa_user_sgpr_kernarg_preload_length 0
		.amdhsa_user_sgpr_kernarg_preload_offset 0
		.amdhsa_user_sgpr_private_segment_size 0
		.amdhsa_uses_dynamic_stack 0
		.amdhsa_enable_private_segment 0
		.amdhsa_system_sgpr_workgroup_id_x 1
		.amdhsa_system_sgpr_workgroup_id_y 0
		.amdhsa_system_sgpr_workgroup_id_z 0
		.amdhsa_system_sgpr_workgroup_info 0
		.amdhsa_system_vgpr_workitem_id 0
		.amdhsa_next_free_vgpr 1
		.amdhsa_next_free_sgpr 0
		.amdhsa_accum_offset 4
		.amdhsa_reserve_vcc 0
		.amdhsa_float_round_mode_32 0
		.amdhsa_float_round_mode_16_64 0
		.amdhsa_float_denorm_mode_32 3
		.amdhsa_float_denorm_mode_16_64 3
		.amdhsa_dx10_clamp 1
		.amdhsa_ieee_mode 1
		.amdhsa_fp16_overflow 0
		.amdhsa_tg_split 0
		.amdhsa_exception_fp_ieee_invalid_op 0
		.amdhsa_exception_fp_denorm_src 0
		.amdhsa_exception_fp_ieee_div_zero 0
		.amdhsa_exception_fp_ieee_overflow 0
		.amdhsa_exception_fp_ieee_underflow 0
		.amdhsa_exception_fp_ieee_inexact 0
		.amdhsa_exception_int_div_zero 0
	.end_amdhsa_kernel
	.section	.text._ZN7rocprim17ROCPRIM_400000_NS6detail17trampoline_kernelINS0_14default_configENS1_38merge_sort_block_merge_config_selectorIsNS0_10empty_typeEEEZZNS1_27merge_sort_block_merge_implIS3_N6thrust23THRUST_200600_302600_NS6detail15normal_iteratorINS9_10device_ptrIsEEEEPS5_jNS1_19radix_merge_compareILb0ELb0EsNS0_19identity_decomposerEEEEE10hipError_tT0_T1_T2_jT3_P12ihipStream_tbPNSt15iterator_traitsISK_E10value_typeEPNSQ_ISL_E10value_typeEPSM_NS1_7vsmem_tEENKUlT_SK_SL_SM_E_clIPsSE_SF_SF_EESJ_SZ_SK_SL_SM_EUlSZ_E_NS1_11comp_targetILNS1_3genE9ELNS1_11target_archE1100ELNS1_3gpuE3ELNS1_3repE0EEENS1_48merge_mergepath_partition_config_static_selectorELNS0_4arch9wavefront6targetE1EEEvSL_,"axG",@progbits,_ZN7rocprim17ROCPRIM_400000_NS6detail17trampoline_kernelINS0_14default_configENS1_38merge_sort_block_merge_config_selectorIsNS0_10empty_typeEEEZZNS1_27merge_sort_block_merge_implIS3_N6thrust23THRUST_200600_302600_NS6detail15normal_iteratorINS9_10device_ptrIsEEEEPS5_jNS1_19radix_merge_compareILb0ELb0EsNS0_19identity_decomposerEEEEE10hipError_tT0_T1_T2_jT3_P12ihipStream_tbPNSt15iterator_traitsISK_E10value_typeEPNSQ_ISL_E10value_typeEPSM_NS1_7vsmem_tEENKUlT_SK_SL_SM_E_clIPsSE_SF_SF_EESJ_SZ_SK_SL_SM_EUlSZ_E_NS1_11comp_targetILNS1_3genE9ELNS1_11target_archE1100ELNS1_3gpuE3ELNS1_3repE0EEENS1_48merge_mergepath_partition_config_static_selectorELNS0_4arch9wavefront6targetE1EEEvSL_,comdat
.Lfunc_end1824:
	.size	_ZN7rocprim17ROCPRIM_400000_NS6detail17trampoline_kernelINS0_14default_configENS1_38merge_sort_block_merge_config_selectorIsNS0_10empty_typeEEEZZNS1_27merge_sort_block_merge_implIS3_N6thrust23THRUST_200600_302600_NS6detail15normal_iteratorINS9_10device_ptrIsEEEEPS5_jNS1_19radix_merge_compareILb0ELb0EsNS0_19identity_decomposerEEEEE10hipError_tT0_T1_T2_jT3_P12ihipStream_tbPNSt15iterator_traitsISK_E10value_typeEPNSQ_ISL_E10value_typeEPSM_NS1_7vsmem_tEENKUlT_SK_SL_SM_E_clIPsSE_SF_SF_EESJ_SZ_SK_SL_SM_EUlSZ_E_NS1_11comp_targetILNS1_3genE9ELNS1_11target_archE1100ELNS1_3gpuE3ELNS1_3repE0EEENS1_48merge_mergepath_partition_config_static_selectorELNS0_4arch9wavefront6targetE1EEEvSL_, .Lfunc_end1824-_ZN7rocprim17ROCPRIM_400000_NS6detail17trampoline_kernelINS0_14default_configENS1_38merge_sort_block_merge_config_selectorIsNS0_10empty_typeEEEZZNS1_27merge_sort_block_merge_implIS3_N6thrust23THRUST_200600_302600_NS6detail15normal_iteratorINS9_10device_ptrIsEEEEPS5_jNS1_19radix_merge_compareILb0ELb0EsNS0_19identity_decomposerEEEEE10hipError_tT0_T1_T2_jT3_P12ihipStream_tbPNSt15iterator_traitsISK_E10value_typeEPNSQ_ISL_E10value_typeEPSM_NS1_7vsmem_tEENKUlT_SK_SL_SM_E_clIPsSE_SF_SF_EESJ_SZ_SK_SL_SM_EUlSZ_E_NS1_11comp_targetILNS1_3genE9ELNS1_11target_archE1100ELNS1_3gpuE3ELNS1_3repE0EEENS1_48merge_mergepath_partition_config_static_selectorELNS0_4arch9wavefront6targetE1EEEvSL_
                                        ; -- End function
	.section	.AMDGPU.csdata,"",@progbits
; Kernel info:
; codeLenInByte = 0
; NumSgprs: 6
; NumVgprs: 0
; NumAgprs: 0
; TotalNumVgprs: 0
; ScratchSize: 0
; MemoryBound: 0
; FloatMode: 240
; IeeeMode: 1
; LDSByteSize: 0 bytes/workgroup (compile time only)
; SGPRBlocks: 0
; VGPRBlocks: 0
; NumSGPRsForWavesPerEU: 6
; NumVGPRsForWavesPerEU: 1
; AccumOffset: 4
; Occupancy: 8
; WaveLimiterHint : 0
; COMPUTE_PGM_RSRC2:SCRATCH_EN: 0
; COMPUTE_PGM_RSRC2:USER_SGPR: 2
; COMPUTE_PGM_RSRC2:TRAP_HANDLER: 0
; COMPUTE_PGM_RSRC2:TGID_X_EN: 1
; COMPUTE_PGM_RSRC2:TGID_Y_EN: 0
; COMPUTE_PGM_RSRC2:TGID_Z_EN: 0
; COMPUTE_PGM_RSRC2:TIDIG_COMP_CNT: 0
; COMPUTE_PGM_RSRC3_GFX90A:ACCUM_OFFSET: 0
; COMPUTE_PGM_RSRC3_GFX90A:TG_SPLIT: 0
	.section	.text._ZN7rocprim17ROCPRIM_400000_NS6detail17trampoline_kernelINS0_14default_configENS1_38merge_sort_block_merge_config_selectorIsNS0_10empty_typeEEEZZNS1_27merge_sort_block_merge_implIS3_N6thrust23THRUST_200600_302600_NS6detail15normal_iteratorINS9_10device_ptrIsEEEEPS5_jNS1_19radix_merge_compareILb0ELb0EsNS0_19identity_decomposerEEEEE10hipError_tT0_T1_T2_jT3_P12ihipStream_tbPNSt15iterator_traitsISK_E10value_typeEPNSQ_ISL_E10value_typeEPSM_NS1_7vsmem_tEENKUlT_SK_SL_SM_E_clIPsSE_SF_SF_EESJ_SZ_SK_SL_SM_EUlSZ_E_NS1_11comp_targetILNS1_3genE8ELNS1_11target_archE1030ELNS1_3gpuE2ELNS1_3repE0EEENS1_48merge_mergepath_partition_config_static_selectorELNS0_4arch9wavefront6targetE1EEEvSL_,"axG",@progbits,_ZN7rocprim17ROCPRIM_400000_NS6detail17trampoline_kernelINS0_14default_configENS1_38merge_sort_block_merge_config_selectorIsNS0_10empty_typeEEEZZNS1_27merge_sort_block_merge_implIS3_N6thrust23THRUST_200600_302600_NS6detail15normal_iteratorINS9_10device_ptrIsEEEEPS5_jNS1_19radix_merge_compareILb0ELb0EsNS0_19identity_decomposerEEEEE10hipError_tT0_T1_T2_jT3_P12ihipStream_tbPNSt15iterator_traitsISK_E10value_typeEPNSQ_ISL_E10value_typeEPSM_NS1_7vsmem_tEENKUlT_SK_SL_SM_E_clIPsSE_SF_SF_EESJ_SZ_SK_SL_SM_EUlSZ_E_NS1_11comp_targetILNS1_3genE8ELNS1_11target_archE1030ELNS1_3gpuE2ELNS1_3repE0EEENS1_48merge_mergepath_partition_config_static_selectorELNS0_4arch9wavefront6targetE1EEEvSL_,comdat
	.protected	_ZN7rocprim17ROCPRIM_400000_NS6detail17trampoline_kernelINS0_14default_configENS1_38merge_sort_block_merge_config_selectorIsNS0_10empty_typeEEEZZNS1_27merge_sort_block_merge_implIS3_N6thrust23THRUST_200600_302600_NS6detail15normal_iteratorINS9_10device_ptrIsEEEEPS5_jNS1_19radix_merge_compareILb0ELb0EsNS0_19identity_decomposerEEEEE10hipError_tT0_T1_T2_jT3_P12ihipStream_tbPNSt15iterator_traitsISK_E10value_typeEPNSQ_ISL_E10value_typeEPSM_NS1_7vsmem_tEENKUlT_SK_SL_SM_E_clIPsSE_SF_SF_EESJ_SZ_SK_SL_SM_EUlSZ_E_NS1_11comp_targetILNS1_3genE8ELNS1_11target_archE1030ELNS1_3gpuE2ELNS1_3repE0EEENS1_48merge_mergepath_partition_config_static_selectorELNS0_4arch9wavefront6targetE1EEEvSL_ ; -- Begin function _ZN7rocprim17ROCPRIM_400000_NS6detail17trampoline_kernelINS0_14default_configENS1_38merge_sort_block_merge_config_selectorIsNS0_10empty_typeEEEZZNS1_27merge_sort_block_merge_implIS3_N6thrust23THRUST_200600_302600_NS6detail15normal_iteratorINS9_10device_ptrIsEEEEPS5_jNS1_19radix_merge_compareILb0ELb0EsNS0_19identity_decomposerEEEEE10hipError_tT0_T1_T2_jT3_P12ihipStream_tbPNSt15iterator_traitsISK_E10value_typeEPNSQ_ISL_E10value_typeEPSM_NS1_7vsmem_tEENKUlT_SK_SL_SM_E_clIPsSE_SF_SF_EESJ_SZ_SK_SL_SM_EUlSZ_E_NS1_11comp_targetILNS1_3genE8ELNS1_11target_archE1030ELNS1_3gpuE2ELNS1_3repE0EEENS1_48merge_mergepath_partition_config_static_selectorELNS0_4arch9wavefront6targetE1EEEvSL_
	.globl	_ZN7rocprim17ROCPRIM_400000_NS6detail17trampoline_kernelINS0_14default_configENS1_38merge_sort_block_merge_config_selectorIsNS0_10empty_typeEEEZZNS1_27merge_sort_block_merge_implIS3_N6thrust23THRUST_200600_302600_NS6detail15normal_iteratorINS9_10device_ptrIsEEEEPS5_jNS1_19radix_merge_compareILb0ELb0EsNS0_19identity_decomposerEEEEE10hipError_tT0_T1_T2_jT3_P12ihipStream_tbPNSt15iterator_traitsISK_E10value_typeEPNSQ_ISL_E10value_typeEPSM_NS1_7vsmem_tEENKUlT_SK_SL_SM_E_clIPsSE_SF_SF_EESJ_SZ_SK_SL_SM_EUlSZ_E_NS1_11comp_targetILNS1_3genE8ELNS1_11target_archE1030ELNS1_3gpuE2ELNS1_3repE0EEENS1_48merge_mergepath_partition_config_static_selectorELNS0_4arch9wavefront6targetE1EEEvSL_
	.p2align	8
	.type	_ZN7rocprim17ROCPRIM_400000_NS6detail17trampoline_kernelINS0_14default_configENS1_38merge_sort_block_merge_config_selectorIsNS0_10empty_typeEEEZZNS1_27merge_sort_block_merge_implIS3_N6thrust23THRUST_200600_302600_NS6detail15normal_iteratorINS9_10device_ptrIsEEEEPS5_jNS1_19radix_merge_compareILb0ELb0EsNS0_19identity_decomposerEEEEE10hipError_tT0_T1_T2_jT3_P12ihipStream_tbPNSt15iterator_traitsISK_E10value_typeEPNSQ_ISL_E10value_typeEPSM_NS1_7vsmem_tEENKUlT_SK_SL_SM_E_clIPsSE_SF_SF_EESJ_SZ_SK_SL_SM_EUlSZ_E_NS1_11comp_targetILNS1_3genE8ELNS1_11target_archE1030ELNS1_3gpuE2ELNS1_3repE0EEENS1_48merge_mergepath_partition_config_static_selectorELNS0_4arch9wavefront6targetE1EEEvSL_,@function
_ZN7rocprim17ROCPRIM_400000_NS6detail17trampoline_kernelINS0_14default_configENS1_38merge_sort_block_merge_config_selectorIsNS0_10empty_typeEEEZZNS1_27merge_sort_block_merge_implIS3_N6thrust23THRUST_200600_302600_NS6detail15normal_iteratorINS9_10device_ptrIsEEEEPS5_jNS1_19radix_merge_compareILb0ELb0EsNS0_19identity_decomposerEEEEE10hipError_tT0_T1_T2_jT3_P12ihipStream_tbPNSt15iterator_traitsISK_E10value_typeEPNSQ_ISL_E10value_typeEPSM_NS1_7vsmem_tEENKUlT_SK_SL_SM_E_clIPsSE_SF_SF_EESJ_SZ_SK_SL_SM_EUlSZ_E_NS1_11comp_targetILNS1_3genE8ELNS1_11target_archE1030ELNS1_3gpuE2ELNS1_3repE0EEENS1_48merge_mergepath_partition_config_static_selectorELNS0_4arch9wavefront6targetE1EEEvSL_: ; @_ZN7rocprim17ROCPRIM_400000_NS6detail17trampoline_kernelINS0_14default_configENS1_38merge_sort_block_merge_config_selectorIsNS0_10empty_typeEEEZZNS1_27merge_sort_block_merge_implIS3_N6thrust23THRUST_200600_302600_NS6detail15normal_iteratorINS9_10device_ptrIsEEEEPS5_jNS1_19radix_merge_compareILb0ELb0EsNS0_19identity_decomposerEEEEE10hipError_tT0_T1_T2_jT3_P12ihipStream_tbPNSt15iterator_traitsISK_E10value_typeEPNSQ_ISL_E10value_typeEPSM_NS1_7vsmem_tEENKUlT_SK_SL_SM_E_clIPsSE_SF_SF_EESJ_SZ_SK_SL_SM_EUlSZ_E_NS1_11comp_targetILNS1_3genE8ELNS1_11target_archE1030ELNS1_3gpuE2ELNS1_3repE0EEENS1_48merge_mergepath_partition_config_static_selectorELNS0_4arch9wavefront6targetE1EEEvSL_
; %bb.0:
	.section	.rodata,"a",@progbits
	.p2align	6, 0x0
	.amdhsa_kernel _ZN7rocprim17ROCPRIM_400000_NS6detail17trampoline_kernelINS0_14default_configENS1_38merge_sort_block_merge_config_selectorIsNS0_10empty_typeEEEZZNS1_27merge_sort_block_merge_implIS3_N6thrust23THRUST_200600_302600_NS6detail15normal_iteratorINS9_10device_ptrIsEEEEPS5_jNS1_19radix_merge_compareILb0ELb0EsNS0_19identity_decomposerEEEEE10hipError_tT0_T1_T2_jT3_P12ihipStream_tbPNSt15iterator_traitsISK_E10value_typeEPNSQ_ISL_E10value_typeEPSM_NS1_7vsmem_tEENKUlT_SK_SL_SM_E_clIPsSE_SF_SF_EESJ_SZ_SK_SL_SM_EUlSZ_E_NS1_11comp_targetILNS1_3genE8ELNS1_11target_archE1030ELNS1_3gpuE2ELNS1_3repE0EEENS1_48merge_mergepath_partition_config_static_selectorELNS0_4arch9wavefront6targetE1EEEvSL_
		.amdhsa_group_segment_fixed_size 0
		.amdhsa_private_segment_fixed_size 0
		.amdhsa_kernarg_size 40
		.amdhsa_user_sgpr_count 2
		.amdhsa_user_sgpr_dispatch_ptr 0
		.amdhsa_user_sgpr_queue_ptr 0
		.amdhsa_user_sgpr_kernarg_segment_ptr 1
		.amdhsa_user_sgpr_dispatch_id 0
		.amdhsa_user_sgpr_kernarg_preload_length 0
		.amdhsa_user_sgpr_kernarg_preload_offset 0
		.amdhsa_user_sgpr_private_segment_size 0
		.amdhsa_uses_dynamic_stack 0
		.amdhsa_enable_private_segment 0
		.amdhsa_system_sgpr_workgroup_id_x 1
		.amdhsa_system_sgpr_workgroup_id_y 0
		.amdhsa_system_sgpr_workgroup_id_z 0
		.amdhsa_system_sgpr_workgroup_info 0
		.amdhsa_system_vgpr_workitem_id 0
		.amdhsa_next_free_vgpr 1
		.amdhsa_next_free_sgpr 0
		.amdhsa_accum_offset 4
		.amdhsa_reserve_vcc 0
		.amdhsa_float_round_mode_32 0
		.amdhsa_float_round_mode_16_64 0
		.amdhsa_float_denorm_mode_32 3
		.amdhsa_float_denorm_mode_16_64 3
		.amdhsa_dx10_clamp 1
		.amdhsa_ieee_mode 1
		.amdhsa_fp16_overflow 0
		.amdhsa_tg_split 0
		.amdhsa_exception_fp_ieee_invalid_op 0
		.amdhsa_exception_fp_denorm_src 0
		.amdhsa_exception_fp_ieee_div_zero 0
		.amdhsa_exception_fp_ieee_overflow 0
		.amdhsa_exception_fp_ieee_underflow 0
		.amdhsa_exception_fp_ieee_inexact 0
		.amdhsa_exception_int_div_zero 0
	.end_amdhsa_kernel
	.section	.text._ZN7rocprim17ROCPRIM_400000_NS6detail17trampoline_kernelINS0_14default_configENS1_38merge_sort_block_merge_config_selectorIsNS0_10empty_typeEEEZZNS1_27merge_sort_block_merge_implIS3_N6thrust23THRUST_200600_302600_NS6detail15normal_iteratorINS9_10device_ptrIsEEEEPS5_jNS1_19radix_merge_compareILb0ELb0EsNS0_19identity_decomposerEEEEE10hipError_tT0_T1_T2_jT3_P12ihipStream_tbPNSt15iterator_traitsISK_E10value_typeEPNSQ_ISL_E10value_typeEPSM_NS1_7vsmem_tEENKUlT_SK_SL_SM_E_clIPsSE_SF_SF_EESJ_SZ_SK_SL_SM_EUlSZ_E_NS1_11comp_targetILNS1_3genE8ELNS1_11target_archE1030ELNS1_3gpuE2ELNS1_3repE0EEENS1_48merge_mergepath_partition_config_static_selectorELNS0_4arch9wavefront6targetE1EEEvSL_,"axG",@progbits,_ZN7rocprim17ROCPRIM_400000_NS6detail17trampoline_kernelINS0_14default_configENS1_38merge_sort_block_merge_config_selectorIsNS0_10empty_typeEEEZZNS1_27merge_sort_block_merge_implIS3_N6thrust23THRUST_200600_302600_NS6detail15normal_iteratorINS9_10device_ptrIsEEEEPS5_jNS1_19radix_merge_compareILb0ELb0EsNS0_19identity_decomposerEEEEE10hipError_tT0_T1_T2_jT3_P12ihipStream_tbPNSt15iterator_traitsISK_E10value_typeEPNSQ_ISL_E10value_typeEPSM_NS1_7vsmem_tEENKUlT_SK_SL_SM_E_clIPsSE_SF_SF_EESJ_SZ_SK_SL_SM_EUlSZ_E_NS1_11comp_targetILNS1_3genE8ELNS1_11target_archE1030ELNS1_3gpuE2ELNS1_3repE0EEENS1_48merge_mergepath_partition_config_static_selectorELNS0_4arch9wavefront6targetE1EEEvSL_,comdat
.Lfunc_end1825:
	.size	_ZN7rocprim17ROCPRIM_400000_NS6detail17trampoline_kernelINS0_14default_configENS1_38merge_sort_block_merge_config_selectorIsNS0_10empty_typeEEEZZNS1_27merge_sort_block_merge_implIS3_N6thrust23THRUST_200600_302600_NS6detail15normal_iteratorINS9_10device_ptrIsEEEEPS5_jNS1_19radix_merge_compareILb0ELb0EsNS0_19identity_decomposerEEEEE10hipError_tT0_T1_T2_jT3_P12ihipStream_tbPNSt15iterator_traitsISK_E10value_typeEPNSQ_ISL_E10value_typeEPSM_NS1_7vsmem_tEENKUlT_SK_SL_SM_E_clIPsSE_SF_SF_EESJ_SZ_SK_SL_SM_EUlSZ_E_NS1_11comp_targetILNS1_3genE8ELNS1_11target_archE1030ELNS1_3gpuE2ELNS1_3repE0EEENS1_48merge_mergepath_partition_config_static_selectorELNS0_4arch9wavefront6targetE1EEEvSL_, .Lfunc_end1825-_ZN7rocprim17ROCPRIM_400000_NS6detail17trampoline_kernelINS0_14default_configENS1_38merge_sort_block_merge_config_selectorIsNS0_10empty_typeEEEZZNS1_27merge_sort_block_merge_implIS3_N6thrust23THRUST_200600_302600_NS6detail15normal_iteratorINS9_10device_ptrIsEEEEPS5_jNS1_19radix_merge_compareILb0ELb0EsNS0_19identity_decomposerEEEEE10hipError_tT0_T1_T2_jT3_P12ihipStream_tbPNSt15iterator_traitsISK_E10value_typeEPNSQ_ISL_E10value_typeEPSM_NS1_7vsmem_tEENKUlT_SK_SL_SM_E_clIPsSE_SF_SF_EESJ_SZ_SK_SL_SM_EUlSZ_E_NS1_11comp_targetILNS1_3genE8ELNS1_11target_archE1030ELNS1_3gpuE2ELNS1_3repE0EEENS1_48merge_mergepath_partition_config_static_selectorELNS0_4arch9wavefront6targetE1EEEvSL_
                                        ; -- End function
	.section	.AMDGPU.csdata,"",@progbits
; Kernel info:
; codeLenInByte = 0
; NumSgprs: 6
; NumVgprs: 0
; NumAgprs: 0
; TotalNumVgprs: 0
; ScratchSize: 0
; MemoryBound: 0
; FloatMode: 240
; IeeeMode: 1
; LDSByteSize: 0 bytes/workgroup (compile time only)
; SGPRBlocks: 0
; VGPRBlocks: 0
; NumSGPRsForWavesPerEU: 6
; NumVGPRsForWavesPerEU: 1
; AccumOffset: 4
; Occupancy: 8
; WaveLimiterHint : 0
; COMPUTE_PGM_RSRC2:SCRATCH_EN: 0
; COMPUTE_PGM_RSRC2:USER_SGPR: 2
; COMPUTE_PGM_RSRC2:TRAP_HANDLER: 0
; COMPUTE_PGM_RSRC2:TGID_X_EN: 1
; COMPUTE_PGM_RSRC2:TGID_Y_EN: 0
; COMPUTE_PGM_RSRC2:TGID_Z_EN: 0
; COMPUTE_PGM_RSRC2:TIDIG_COMP_CNT: 0
; COMPUTE_PGM_RSRC3_GFX90A:ACCUM_OFFSET: 0
; COMPUTE_PGM_RSRC3_GFX90A:TG_SPLIT: 0
	.section	.text._ZN7rocprim17ROCPRIM_400000_NS6detail17trampoline_kernelINS0_14default_configENS1_38merge_sort_block_merge_config_selectorIsNS0_10empty_typeEEEZZNS1_27merge_sort_block_merge_implIS3_N6thrust23THRUST_200600_302600_NS6detail15normal_iteratorINS9_10device_ptrIsEEEEPS5_jNS1_19radix_merge_compareILb0ELb0EsNS0_19identity_decomposerEEEEE10hipError_tT0_T1_T2_jT3_P12ihipStream_tbPNSt15iterator_traitsISK_E10value_typeEPNSQ_ISL_E10value_typeEPSM_NS1_7vsmem_tEENKUlT_SK_SL_SM_E_clIPsSE_SF_SF_EESJ_SZ_SK_SL_SM_EUlSZ_E0_NS1_11comp_targetILNS1_3genE0ELNS1_11target_archE4294967295ELNS1_3gpuE0ELNS1_3repE0EEENS1_38merge_mergepath_config_static_selectorELNS0_4arch9wavefront6targetE1EEEvSL_,"axG",@progbits,_ZN7rocprim17ROCPRIM_400000_NS6detail17trampoline_kernelINS0_14default_configENS1_38merge_sort_block_merge_config_selectorIsNS0_10empty_typeEEEZZNS1_27merge_sort_block_merge_implIS3_N6thrust23THRUST_200600_302600_NS6detail15normal_iteratorINS9_10device_ptrIsEEEEPS5_jNS1_19radix_merge_compareILb0ELb0EsNS0_19identity_decomposerEEEEE10hipError_tT0_T1_T2_jT3_P12ihipStream_tbPNSt15iterator_traitsISK_E10value_typeEPNSQ_ISL_E10value_typeEPSM_NS1_7vsmem_tEENKUlT_SK_SL_SM_E_clIPsSE_SF_SF_EESJ_SZ_SK_SL_SM_EUlSZ_E0_NS1_11comp_targetILNS1_3genE0ELNS1_11target_archE4294967295ELNS1_3gpuE0ELNS1_3repE0EEENS1_38merge_mergepath_config_static_selectorELNS0_4arch9wavefront6targetE1EEEvSL_,comdat
	.protected	_ZN7rocprim17ROCPRIM_400000_NS6detail17trampoline_kernelINS0_14default_configENS1_38merge_sort_block_merge_config_selectorIsNS0_10empty_typeEEEZZNS1_27merge_sort_block_merge_implIS3_N6thrust23THRUST_200600_302600_NS6detail15normal_iteratorINS9_10device_ptrIsEEEEPS5_jNS1_19radix_merge_compareILb0ELb0EsNS0_19identity_decomposerEEEEE10hipError_tT0_T1_T2_jT3_P12ihipStream_tbPNSt15iterator_traitsISK_E10value_typeEPNSQ_ISL_E10value_typeEPSM_NS1_7vsmem_tEENKUlT_SK_SL_SM_E_clIPsSE_SF_SF_EESJ_SZ_SK_SL_SM_EUlSZ_E0_NS1_11comp_targetILNS1_3genE0ELNS1_11target_archE4294967295ELNS1_3gpuE0ELNS1_3repE0EEENS1_38merge_mergepath_config_static_selectorELNS0_4arch9wavefront6targetE1EEEvSL_ ; -- Begin function _ZN7rocprim17ROCPRIM_400000_NS6detail17trampoline_kernelINS0_14default_configENS1_38merge_sort_block_merge_config_selectorIsNS0_10empty_typeEEEZZNS1_27merge_sort_block_merge_implIS3_N6thrust23THRUST_200600_302600_NS6detail15normal_iteratorINS9_10device_ptrIsEEEEPS5_jNS1_19radix_merge_compareILb0ELb0EsNS0_19identity_decomposerEEEEE10hipError_tT0_T1_T2_jT3_P12ihipStream_tbPNSt15iterator_traitsISK_E10value_typeEPNSQ_ISL_E10value_typeEPSM_NS1_7vsmem_tEENKUlT_SK_SL_SM_E_clIPsSE_SF_SF_EESJ_SZ_SK_SL_SM_EUlSZ_E0_NS1_11comp_targetILNS1_3genE0ELNS1_11target_archE4294967295ELNS1_3gpuE0ELNS1_3repE0EEENS1_38merge_mergepath_config_static_selectorELNS0_4arch9wavefront6targetE1EEEvSL_
	.globl	_ZN7rocprim17ROCPRIM_400000_NS6detail17trampoline_kernelINS0_14default_configENS1_38merge_sort_block_merge_config_selectorIsNS0_10empty_typeEEEZZNS1_27merge_sort_block_merge_implIS3_N6thrust23THRUST_200600_302600_NS6detail15normal_iteratorINS9_10device_ptrIsEEEEPS5_jNS1_19radix_merge_compareILb0ELb0EsNS0_19identity_decomposerEEEEE10hipError_tT0_T1_T2_jT3_P12ihipStream_tbPNSt15iterator_traitsISK_E10value_typeEPNSQ_ISL_E10value_typeEPSM_NS1_7vsmem_tEENKUlT_SK_SL_SM_E_clIPsSE_SF_SF_EESJ_SZ_SK_SL_SM_EUlSZ_E0_NS1_11comp_targetILNS1_3genE0ELNS1_11target_archE4294967295ELNS1_3gpuE0ELNS1_3repE0EEENS1_38merge_mergepath_config_static_selectorELNS0_4arch9wavefront6targetE1EEEvSL_
	.p2align	8
	.type	_ZN7rocprim17ROCPRIM_400000_NS6detail17trampoline_kernelINS0_14default_configENS1_38merge_sort_block_merge_config_selectorIsNS0_10empty_typeEEEZZNS1_27merge_sort_block_merge_implIS3_N6thrust23THRUST_200600_302600_NS6detail15normal_iteratorINS9_10device_ptrIsEEEEPS5_jNS1_19radix_merge_compareILb0ELb0EsNS0_19identity_decomposerEEEEE10hipError_tT0_T1_T2_jT3_P12ihipStream_tbPNSt15iterator_traitsISK_E10value_typeEPNSQ_ISL_E10value_typeEPSM_NS1_7vsmem_tEENKUlT_SK_SL_SM_E_clIPsSE_SF_SF_EESJ_SZ_SK_SL_SM_EUlSZ_E0_NS1_11comp_targetILNS1_3genE0ELNS1_11target_archE4294967295ELNS1_3gpuE0ELNS1_3repE0EEENS1_38merge_mergepath_config_static_selectorELNS0_4arch9wavefront6targetE1EEEvSL_,@function
_ZN7rocprim17ROCPRIM_400000_NS6detail17trampoline_kernelINS0_14default_configENS1_38merge_sort_block_merge_config_selectorIsNS0_10empty_typeEEEZZNS1_27merge_sort_block_merge_implIS3_N6thrust23THRUST_200600_302600_NS6detail15normal_iteratorINS9_10device_ptrIsEEEEPS5_jNS1_19radix_merge_compareILb0ELb0EsNS0_19identity_decomposerEEEEE10hipError_tT0_T1_T2_jT3_P12ihipStream_tbPNSt15iterator_traitsISK_E10value_typeEPNSQ_ISL_E10value_typeEPSM_NS1_7vsmem_tEENKUlT_SK_SL_SM_E_clIPsSE_SF_SF_EESJ_SZ_SK_SL_SM_EUlSZ_E0_NS1_11comp_targetILNS1_3genE0ELNS1_11target_archE4294967295ELNS1_3gpuE0ELNS1_3repE0EEENS1_38merge_mergepath_config_static_selectorELNS0_4arch9wavefront6targetE1EEEvSL_: ; @_ZN7rocprim17ROCPRIM_400000_NS6detail17trampoline_kernelINS0_14default_configENS1_38merge_sort_block_merge_config_selectorIsNS0_10empty_typeEEEZZNS1_27merge_sort_block_merge_implIS3_N6thrust23THRUST_200600_302600_NS6detail15normal_iteratorINS9_10device_ptrIsEEEEPS5_jNS1_19radix_merge_compareILb0ELb0EsNS0_19identity_decomposerEEEEE10hipError_tT0_T1_T2_jT3_P12ihipStream_tbPNSt15iterator_traitsISK_E10value_typeEPNSQ_ISL_E10value_typeEPSM_NS1_7vsmem_tEENKUlT_SK_SL_SM_E_clIPsSE_SF_SF_EESJ_SZ_SK_SL_SM_EUlSZ_E0_NS1_11comp_targetILNS1_3genE0ELNS1_11target_archE4294967295ELNS1_3gpuE0ELNS1_3repE0EEENS1_38merge_mergepath_config_static_selectorELNS0_4arch9wavefront6targetE1EEEvSL_
; %bb.0:
	.section	.rodata,"a",@progbits
	.p2align	6, 0x0
	.amdhsa_kernel _ZN7rocprim17ROCPRIM_400000_NS6detail17trampoline_kernelINS0_14default_configENS1_38merge_sort_block_merge_config_selectorIsNS0_10empty_typeEEEZZNS1_27merge_sort_block_merge_implIS3_N6thrust23THRUST_200600_302600_NS6detail15normal_iteratorINS9_10device_ptrIsEEEEPS5_jNS1_19radix_merge_compareILb0ELb0EsNS0_19identity_decomposerEEEEE10hipError_tT0_T1_T2_jT3_P12ihipStream_tbPNSt15iterator_traitsISK_E10value_typeEPNSQ_ISL_E10value_typeEPSM_NS1_7vsmem_tEENKUlT_SK_SL_SM_E_clIPsSE_SF_SF_EESJ_SZ_SK_SL_SM_EUlSZ_E0_NS1_11comp_targetILNS1_3genE0ELNS1_11target_archE4294967295ELNS1_3gpuE0ELNS1_3repE0EEENS1_38merge_mergepath_config_static_selectorELNS0_4arch9wavefront6targetE1EEEvSL_
		.amdhsa_group_segment_fixed_size 0
		.amdhsa_private_segment_fixed_size 0
		.amdhsa_kernarg_size 64
		.amdhsa_user_sgpr_count 2
		.amdhsa_user_sgpr_dispatch_ptr 0
		.amdhsa_user_sgpr_queue_ptr 0
		.amdhsa_user_sgpr_kernarg_segment_ptr 1
		.amdhsa_user_sgpr_dispatch_id 0
		.amdhsa_user_sgpr_kernarg_preload_length 0
		.amdhsa_user_sgpr_kernarg_preload_offset 0
		.amdhsa_user_sgpr_private_segment_size 0
		.amdhsa_uses_dynamic_stack 0
		.amdhsa_enable_private_segment 0
		.amdhsa_system_sgpr_workgroup_id_x 1
		.amdhsa_system_sgpr_workgroup_id_y 0
		.amdhsa_system_sgpr_workgroup_id_z 0
		.amdhsa_system_sgpr_workgroup_info 0
		.amdhsa_system_vgpr_workitem_id 0
		.amdhsa_next_free_vgpr 1
		.amdhsa_next_free_sgpr 0
		.amdhsa_accum_offset 4
		.amdhsa_reserve_vcc 0
		.amdhsa_float_round_mode_32 0
		.amdhsa_float_round_mode_16_64 0
		.amdhsa_float_denorm_mode_32 3
		.amdhsa_float_denorm_mode_16_64 3
		.amdhsa_dx10_clamp 1
		.amdhsa_ieee_mode 1
		.amdhsa_fp16_overflow 0
		.amdhsa_tg_split 0
		.amdhsa_exception_fp_ieee_invalid_op 0
		.amdhsa_exception_fp_denorm_src 0
		.amdhsa_exception_fp_ieee_div_zero 0
		.amdhsa_exception_fp_ieee_overflow 0
		.amdhsa_exception_fp_ieee_underflow 0
		.amdhsa_exception_fp_ieee_inexact 0
		.amdhsa_exception_int_div_zero 0
	.end_amdhsa_kernel
	.section	.text._ZN7rocprim17ROCPRIM_400000_NS6detail17trampoline_kernelINS0_14default_configENS1_38merge_sort_block_merge_config_selectorIsNS0_10empty_typeEEEZZNS1_27merge_sort_block_merge_implIS3_N6thrust23THRUST_200600_302600_NS6detail15normal_iteratorINS9_10device_ptrIsEEEEPS5_jNS1_19radix_merge_compareILb0ELb0EsNS0_19identity_decomposerEEEEE10hipError_tT0_T1_T2_jT3_P12ihipStream_tbPNSt15iterator_traitsISK_E10value_typeEPNSQ_ISL_E10value_typeEPSM_NS1_7vsmem_tEENKUlT_SK_SL_SM_E_clIPsSE_SF_SF_EESJ_SZ_SK_SL_SM_EUlSZ_E0_NS1_11comp_targetILNS1_3genE0ELNS1_11target_archE4294967295ELNS1_3gpuE0ELNS1_3repE0EEENS1_38merge_mergepath_config_static_selectorELNS0_4arch9wavefront6targetE1EEEvSL_,"axG",@progbits,_ZN7rocprim17ROCPRIM_400000_NS6detail17trampoline_kernelINS0_14default_configENS1_38merge_sort_block_merge_config_selectorIsNS0_10empty_typeEEEZZNS1_27merge_sort_block_merge_implIS3_N6thrust23THRUST_200600_302600_NS6detail15normal_iteratorINS9_10device_ptrIsEEEEPS5_jNS1_19radix_merge_compareILb0ELb0EsNS0_19identity_decomposerEEEEE10hipError_tT0_T1_T2_jT3_P12ihipStream_tbPNSt15iterator_traitsISK_E10value_typeEPNSQ_ISL_E10value_typeEPSM_NS1_7vsmem_tEENKUlT_SK_SL_SM_E_clIPsSE_SF_SF_EESJ_SZ_SK_SL_SM_EUlSZ_E0_NS1_11comp_targetILNS1_3genE0ELNS1_11target_archE4294967295ELNS1_3gpuE0ELNS1_3repE0EEENS1_38merge_mergepath_config_static_selectorELNS0_4arch9wavefront6targetE1EEEvSL_,comdat
.Lfunc_end1826:
	.size	_ZN7rocprim17ROCPRIM_400000_NS6detail17trampoline_kernelINS0_14default_configENS1_38merge_sort_block_merge_config_selectorIsNS0_10empty_typeEEEZZNS1_27merge_sort_block_merge_implIS3_N6thrust23THRUST_200600_302600_NS6detail15normal_iteratorINS9_10device_ptrIsEEEEPS5_jNS1_19radix_merge_compareILb0ELb0EsNS0_19identity_decomposerEEEEE10hipError_tT0_T1_T2_jT3_P12ihipStream_tbPNSt15iterator_traitsISK_E10value_typeEPNSQ_ISL_E10value_typeEPSM_NS1_7vsmem_tEENKUlT_SK_SL_SM_E_clIPsSE_SF_SF_EESJ_SZ_SK_SL_SM_EUlSZ_E0_NS1_11comp_targetILNS1_3genE0ELNS1_11target_archE4294967295ELNS1_3gpuE0ELNS1_3repE0EEENS1_38merge_mergepath_config_static_selectorELNS0_4arch9wavefront6targetE1EEEvSL_, .Lfunc_end1826-_ZN7rocprim17ROCPRIM_400000_NS6detail17trampoline_kernelINS0_14default_configENS1_38merge_sort_block_merge_config_selectorIsNS0_10empty_typeEEEZZNS1_27merge_sort_block_merge_implIS3_N6thrust23THRUST_200600_302600_NS6detail15normal_iteratorINS9_10device_ptrIsEEEEPS5_jNS1_19radix_merge_compareILb0ELb0EsNS0_19identity_decomposerEEEEE10hipError_tT0_T1_T2_jT3_P12ihipStream_tbPNSt15iterator_traitsISK_E10value_typeEPNSQ_ISL_E10value_typeEPSM_NS1_7vsmem_tEENKUlT_SK_SL_SM_E_clIPsSE_SF_SF_EESJ_SZ_SK_SL_SM_EUlSZ_E0_NS1_11comp_targetILNS1_3genE0ELNS1_11target_archE4294967295ELNS1_3gpuE0ELNS1_3repE0EEENS1_38merge_mergepath_config_static_selectorELNS0_4arch9wavefront6targetE1EEEvSL_
                                        ; -- End function
	.section	.AMDGPU.csdata,"",@progbits
; Kernel info:
; codeLenInByte = 0
; NumSgprs: 6
; NumVgprs: 0
; NumAgprs: 0
; TotalNumVgprs: 0
; ScratchSize: 0
; MemoryBound: 0
; FloatMode: 240
; IeeeMode: 1
; LDSByteSize: 0 bytes/workgroup (compile time only)
; SGPRBlocks: 0
; VGPRBlocks: 0
; NumSGPRsForWavesPerEU: 6
; NumVGPRsForWavesPerEU: 1
; AccumOffset: 4
; Occupancy: 8
; WaveLimiterHint : 0
; COMPUTE_PGM_RSRC2:SCRATCH_EN: 0
; COMPUTE_PGM_RSRC2:USER_SGPR: 2
; COMPUTE_PGM_RSRC2:TRAP_HANDLER: 0
; COMPUTE_PGM_RSRC2:TGID_X_EN: 1
; COMPUTE_PGM_RSRC2:TGID_Y_EN: 0
; COMPUTE_PGM_RSRC2:TGID_Z_EN: 0
; COMPUTE_PGM_RSRC2:TIDIG_COMP_CNT: 0
; COMPUTE_PGM_RSRC3_GFX90A:ACCUM_OFFSET: 0
; COMPUTE_PGM_RSRC3_GFX90A:TG_SPLIT: 0
	.section	.text._ZN7rocprim17ROCPRIM_400000_NS6detail17trampoline_kernelINS0_14default_configENS1_38merge_sort_block_merge_config_selectorIsNS0_10empty_typeEEEZZNS1_27merge_sort_block_merge_implIS3_N6thrust23THRUST_200600_302600_NS6detail15normal_iteratorINS9_10device_ptrIsEEEEPS5_jNS1_19radix_merge_compareILb0ELb0EsNS0_19identity_decomposerEEEEE10hipError_tT0_T1_T2_jT3_P12ihipStream_tbPNSt15iterator_traitsISK_E10value_typeEPNSQ_ISL_E10value_typeEPSM_NS1_7vsmem_tEENKUlT_SK_SL_SM_E_clIPsSE_SF_SF_EESJ_SZ_SK_SL_SM_EUlSZ_E0_NS1_11comp_targetILNS1_3genE10ELNS1_11target_archE1201ELNS1_3gpuE5ELNS1_3repE0EEENS1_38merge_mergepath_config_static_selectorELNS0_4arch9wavefront6targetE1EEEvSL_,"axG",@progbits,_ZN7rocprim17ROCPRIM_400000_NS6detail17trampoline_kernelINS0_14default_configENS1_38merge_sort_block_merge_config_selectorIsNS0_10empty_typeEEEZZNS1_27merge_sort_block_merge_implIS3_N6thrust23THRUST_200600_302600_NS6detail15normal_iteratorINS9_10device_ptrIsEEEEPS5_jNS1_19radix_merge_compareILb0ELb0EsNS0_19identity_decomposerEEEEE10hipError_tT0_T1_T2_jT3_P12ihipStream_tbPNSt15iterator_traitsISK_E10value_typeEPNSQ_ISL_E10value_typeEPSM_NS1_7vsmem_tEENKUlT_SK_SL_SM_E_clIPsSE_SF_SF_EESJ_SZ_SK_SL_SM_EUlSZ_E0_NS1_11comp_targetILNS1_3genE10ELNS1_11target_archE1201ELNS1_3gpuE5ELNS1_3repE0EEENS1_38merge_mergepath_config_static_selectorELNS0_4arch9wavefront6targetE1EEEvSL_,comdat
	.protected	_ZN7rocprim17ROCPRIM_400000_NS6detail17trampoline_kernelINS0_14default_configENS1_38merge_sort_block_merge_config_selectorIsNS0_10empty_typeEEEZZNS1_27merge_sort_block_merge_implIS3_N6thrust23THRUST_200600_302600_NS6detail15normal_iteratorINS9_10device_ptrIsEEEEPS5_jNS1_19radix_merge_compareILb0ELb0EsNS0_19identity_decomposerEEEEE10hipError_tT0_T1_T2_jT3_P12ihipStream_tbPNSt15iterator_traitsISK_E10value_typeEPNSQ_ISL_E10value_typeEPSM_NS1_7vsmem_tEENKUlT_SK_SL_SM_E_clIPsSE_SF_SF_EESJ_SZ_SK_SL_SM_EUlSZ_E0_NS1_11comp_targetILNS1_3genE10ELNS1_11target_archE1201ELNS1_3gpuE5ELNS1_3repE0EEENS1_38merge_mergepath_config_static_selectorELNS0_4arch9wavefront6targetE1EEEvSL_ ; -- Begin function _ZN7rocprim17ROCPRIM_400000_NS6detail17trampoline_kernelINS0_14default_configENS1_38merge_sort_block_merge_config_selectorIsNS0_10empty_typeEEEZZNS1_27merge_sort_block_merge_implIS3_N6thrust23THRUST_200600_302600_NS6detail15normal_iteratorINS9_10device_ptrIsEEEEPS5_jNS1_19radix_merge_compareILb0ELb0EsNS0_19identity_decomposerEEEEE10hipError_tT0_T1_T2_jT3_P12ihipStream_tbPNSt15iterator_traitsISK_E10value_typeEPNSQ_ISL_E10value_typeEPSM_NS1_7vsmem_tEENKUlT_SK_SL_SM_E_clIPsSE_SF_SF_EESJ_SZ_SK_SL_SM_EUlSZ_E0_NS1_11comp_targetILNS1_3genE10ELNS1_11target_archE1201ELNS1_3gpuE5ELNS1_3repE0EEENS1_38merge_mergepath_config_static_selectorELNS0_4arch9wavefront6targetE1EEEvSL_
	.globl	_ZN7rocprim17ROCPRIM_400000_NS6detail17trampoline_kernelINS0_14default_configENS1_38merge_sort_block_merge_config_selectorIsNS0_10empty_typeEEEZZNS1_27merge_sort_block_merge_implIS3_N6thrust23THRUST_200600_302600_NS6detail15normal_iteratorINS9_10device_ptrIsEEEEPS5_jNS1_19radix_merge_compareILb0ELb0EsNS0_19identity_decomposerEEEEE10hipError_tT0_T1_T2_jT3_P12ihipStream_tbPNSt15iterator_traitsISK_E10value_typeEPNSQ_ISL_E10value_typeEPSM_NS1_7vsmem_tEENKUlT_SK_SL_SM_E_clIPsSE_SF_SF_EESJ_SZ_SK_SL_SM_EUlSZ_E0_NS1_11comp_targetILNS1_3genE10ELNS1_11target_archE1201ELNS1_3gpuE5ELNS1_3repE0EEENS1_38merge_mergepath_config_static_selectorELNS0_4arch9wavefront6targetE1EEEvSL_
	.p2align	8
	.type	_ZN7rocprim17ROCPRIM_400000_NS6detail17trampoline_kernelINS0_14default_configENS1_38merge_sort_block_merge_config_selectorIsNS0_10empty_typeEEEZZNS1_27merge_sort_block_merge_implIS3_N6thrust23THRUST_200600_302600_NS6detail15normal_iteratorINS9_10device_ptrIsEEEEPS5_jNS1_19radix_merge_compareILb0ELb0EsNS0_19identity_decomposerEEEEE10hipError_tT0_T1_T2_jT3_P12ihipStream_tbPNSt15iterator_traitsISK_E10value_typeEPNSQ_ISL_E10value_typeEPSM_NS1_7vsmem_tEENKUlT_SK_SL_SM_E_clIPsSE_SF_SF_EESJ_SZ_SK_SL_SM_EUlSZ_E0_NS1_11comp_targetILNS1_3genE10ELNS1_11target_archE1201ELNS1_3gpuE5ELNS1_3repE0EEENS1_38merge_mergepath_config_static_selectorELNS0_4arch9wavefront6targetE1EEEvSL_,@function
_ZN7rocprim17ROCPRIM_400000_NS6detail17trampoline_kernelINS0_14default_configENS1_38merge_sort_block_merge_config_selectorIsNS0_10empty_typeEEEZZNS1_27merge_sort_block_merge_implIS3_N6thrust23THRUST_200600_302600_NS6detail15normal_iteratorINS9_10device_ptrIsEEEEPS5_jNS1_19radix_merge_compareILb0ELb0EsNS0_19identity_decomposerEEEEE10hipError_tT0_T1_T2_jT3_P12ihipStream_tbPNSt15iterator_traitsISK_E10value_typeEPNSQ_ISL_E10value_typeEPSM_NS1_7vsmem_tEENKUlT_SK_SL_SM_E_clIPsSE_SF_SF_EESJ_SZ_SK_SL_SM_EUlSZ_E0_NS1_11comp_targetILNS1_3genE10ELNS1_11target_archE1201ELNS1_3gpuE5ELNS1_3repE0EEENS1_38merge_mergepath_config_static_selectorELNS0_4arch9wavefront6targetE1EEEvSL_: ; @_ZN7rocprim17ROCPRIM_400000_NS6detail17trampoline_kernelINS0_14default_configENS1_38merge_sort_block_merge_config_selectorIsNS0_10empty_typeEEEZZNS1_27merge_sort_block_merge_implIS3_N6thrust23THRUST_200600_302600_NS6detail15normal_iteratorINS9_10device_ptrIsEEEEPS5_jNS1_19radix_merge_compareILb0ELb0EsNS0_19identity_decomposerEEEEE10hipError_tT0_T1_T2_jT3_P12ihipStream_tbPNSt15iterator_traitsISK_E10value_typeEPNSQ_ISL_E10value_typeEPSM_NS1_7vsmem_tEENKUlT_SK_SL_SM_E_clIPsSE_SF_SF_EESJ_SZ_SK_SL_SM_EUlSZ_E0_NS1_11comp_targetILNS1_3genE10ELNS1_11target_archE1201ELNS1_3gpuE5ELNS1_3repE0EEENS1_38merge_mergepath_config_static_selectorELNS0_4arch9wavefront6targetE1EEEvSL_
; %bb.0:
	.section	.rodata,"a",@progbits
	.p2align	6, 0x0
	.amdhsa_kernel _ZN7rocprim17ROCPRIM_400000_NS6detail17trampoline_kernelINS0_14default_configENS1_38merge_sort_block_merge_config_selectorIsNS0_10empty_typeEEEZZNS1_27merge_sort_block_merge_implIS3_N6thrust23THRUST_200600_302600_NS6detail15normal_iteratorINS9_10device_ptrIsEEEEPS5_jNS1_19radix_merge_compareILb0ELb0EsNS0_19identity_decomposerEEEEE10hipError_tT0_T1_T2_jT3_P12ihipStream_tbPNSt15iterator_traitsISK_E10value_typeEPNSQ_ISL_E10value_typeEPSM_NS1_7vsmem_tEENKUlT_SK_SL_SM_E_clIPsSE_SF_SF_EESJ_SZ_SK_SL_SM_EUlSZ_E0_NS1_11comp_targetILNS1_3genE10ELNS1_11target_archE1201ELNS1_3gpuE5ELNS1_3repE0EEENS1_38merge_mergepath_config_static_selectorELNS0_4arch9wavefront6targetE1EEEvSL_
		.amdhsa_group_segment_fixed_size 0
		.amdhsa_private_segment_fixed_size 0
		.amdhsa_kernarg_size 64
		.amdhsa_user_sgpr_count 2
		.amdhsa_user_sgpr_dispatch_ptr 0
		.amdhsa_user_sgpr_queue_ptr 0
		.amdhsa_user_sgpr_kernarg_segment_ptr 1
		.amdhsa_user_sgpr_dispatch_id 0
		.amdhsa_user_sgpr_kernarg_preload_length 0
		.amdhsa_user_sgpr_kernarg_preload_offset 0
		.amdhsa_user_sgpr_private_segment_size 0
		.amdhsa_uses_dynamic_stack 0
		.amdhsa_enable_private_segment 0
		.amdhsa_system_sgpr_workgroup_id_x 1
		.amdhsa_system_sgpr_workgroup_id_y 0
		.amdhsa_system_sgpr_workgroup_id_z 0
		.amdhsa_system_sgpr_workgroup_info 0
		.amdhsa_system_vgpr_workitem_id 0
		.amdhsa_next_free_vgpr 1
		.amdhsa_next_free_sgpr 0
		.amdhsa_accum_offset 4
		.amdhsa_reserve_vcc 0
		.amdhsa_float_round_mode_32 0
		.amdhsa_float_round_mode_16_64 0
		.amdhsa_float_denorm_mode_32 3
		.amdhsa_float_denorm_mode_16_64 3
		.amdhsa_dx10_clamp 1
		.amdhsa_ieee_mode 1
		.amdhsa_fp16_overflow 0
		.amdhsa_tg_split 0
		.amdhsa_exception_fp_ieee_invalid_op 0
		.amdhsa_exception_fp_denorm_src 0
		.amdhsa_exception_fp_ieee_div_zero 0
		.amdhsa_exception_fp_ieee_overflow 0
		.amdhsa_exception_fp_ieee_underflow 0
		.amdhsa_exception_fp_ieee_inexact 0
		.amdhsa_exception_int_div_zero 0
	.end_amdhsa_kernel
	.section	.text._ZN7rocprim17ROCPRIM_400000_NS6detail17trampoline_kernelINS0_14default_configENS1_38merge_sort_block_merge_config_selectorIsNS0_10empty_typeEEEZZNS1_27merge_sort_block_merge_implIS3_N6thrust23THRUST_200600_302600_NS6detail15normal_iteratorINS9_10device_ptrIsEEEEPS5_jNS1_19radix_merge_compareILb0ELb0EsNS0_19identity_decomposerEEEEE10hipError_tT0_T1_T2_jT3_P12ihipStream_tbPNSt15iterator_traitsISK_E10value_typeEPNSQ_ISL_E10value_typeEPSM_NS1_7vsmem_tEENKUlT_SK_SL_SM_E_clIPsSE_SF_SF_EESJ_SZ_SK_SL_SM_EUlSZ_E0_NS1_11comp_targetILNS1_3genE10ELNS1_11target_archE1201ELNS1_3gpuE5ELNS1_3repE0EEENS1_38merge_mergepath_config_static_selectorELNS0_4arch9wavefront6targetE1EEEvSL_,"axG",@progbits,_ZN7rocprim17ROCPRIM_400000_NS6detail17trampoline_kernelINS0_14default_configENS1_38merge_sort_block_merge_config_selectorIsNS0_10empty_typeEEEZZNS1_27merge_sort_block_merge_implIS3_N6thrust23THRUST_200600_302600_NS6detail15normal_iteratorINS9_10device_ptrIsEEEEPS5_jNS1_19radix_merge_compareILb0ELb0EsNS0_19identity_decomposerEEEEE10hipError_tT0_T1_T2_jT3_P12ihipStream_tbPNSt15iterator_traitsISK_E10value_typeEPNSQ_ISL_E10value_typeEPSM_NS1_7vsmem_tEENKUlT_SK_SL_SM_E_clIPsSE_SF_SF_EESJ_SZ_SK_SL_SM_EUlSZ_E0_NS1_11comp_targetILNS1_3genE10ELNS1_11target_archE1201ELNS1_3gpuE5ELNS1_3repE0EEENS1_38merge_mergepath_config_static_selectorELNS0_4arch9wavefront6targetE1EEEvSL_,comdat
.Lfunc_end1827:
	.size	_ZN7rocprim17ROCPRIM_400000_NS6detail17trampoline_kernelINS0_14default_configENS1_38merge_sort_block_merge_config_selectorIsNS0_10empty_typeEEEZZNS1_27merge_sort_block_merge_implIS3_N6thrust23THRUST_200600_302600_NS6detail15normal_iteratorINS9_10device_ptrIsEEEEPS5_jNS1_19radix_merge_compareILb0ELb0EsNS0_19identity_decomposerEEEEE10hipError_tT0_T1_T2_jT3_P12ihipStream_tbPNSt15iterator_traitsISK_E10value_typeEPNSQ_ISL_E10value_typeEPSM_NS1_7vsmem_tEENKUlT_SK_SL_SM_E_clIPsSE_SF_SF_EESJ_SZ_SK_SL_SM_EUlSZ_E0_NS1_11comp_targetILNS1_3genE10ELNS1_11target_archE1201ELNS1_3gpuE5ELNS1_3repE0EEENS1_38merge_mergepath_config_static_selectorELNS0_4arch9wavefront6targetE1EEEvSL_, .Lfunc_end1827-_ZN7rocprim17ROCPRIM_400000_NS6detail17trampoline_kernelINS0_14default_configENS1_38merge_sort_block_merge_config_selectorIsNS0_10empty_typeEEEZZNS1_27merge_sort_block_merge_implIS3_N6thrust23THRUST_200600_302600_NS6detail15normal_iteratorINS9_10device_ptrIsEEEEPS5_jNS1_19radix_merge_compareILb0ELb0EsNS0_19identity_decomposerEEEEE10hipError_tT0_T1_T2_jT3_P12ihipStream_tbPNSt15iterator_traitsISK_E10value_typeEPNSQ_ISL_E10value_typeEPSM_NS1_7vsmem_tEENKUlT_SK_SL_SM_E_clIPsSE_SF_SF_EESJ_SZ_SK_SL_SM_EUlSZ_E0_NS1_11comp_targetILNS1_3genE10ELNS1_11target_archE1201ELNS1_3gpuE5ELNS1_3repE0EEENS1_38merge_mergepath_config_static_selectorELNS0_4arch9wavefront6targetE1EEEvSL_
                                        ; -- End function
	.section	.AMDGPU.csdata,"",@progbits
; Kernel info:
; codeLenInByte = 0
; NumSgprs: 6
; NumVgprs: 0
; NumAgprs: 0
; TotalNumVgprs: 0
; ScratchSize: 0
; MemoryBound: 0
; FloatMode: 240
; IeeeMode: 1
; LDSByteSize: 0 bytes/workgroup (compile time only)
; SGPRBlocks: 0
; VGPRBlocks: 0
; NumSGPRsForWavesPerEU: 6
; NumVGPRsForWavesPerEU: 1
; AccumOffset: 4
; Occupancy: 8
; WaveLimiterHint : 0
; COMPUTE_PGM_RSRC2:SCRATCH_EN: 0
; COMPUTE_PGM_RSRC2:USER_SGPR: 2
; COMPUTE_PGM_RSRC2:TRAP_HANDLER: 0
; COMPUTE_PGM_RSRC2:TGID_X_EN: 1
; COMPUTE_PGM_RSRC2:TGID_Y_EN: 0
; COMPUTE_PGM_RSRC2:TGID_Z_EN: 0
; COMPUTE_PGM_RSRC2:TIDIG_COMP_CNT: 0
; COMPUTE_PGM_RSRC3_GFX90A:ACCUM_OFFSET: 0
; COMPUTE_PGM_RSRC3_GFX90A:TG_SPLIT: 0
	.section	.text._ZN7rocprim17ROCPRIM_400000_NS6detail17trampoline_kernelINS0_14default_configENS1_38merge_sort_block_merge_config_selectorIsNS0_10empty_typeEEEZZNS1_27merge_sort_block_merge_implIS3_N6thrust23THRUST_200600_302600_NS6detail15normal_iteratorINS9_10device_ptrIsEEEEPS5_jNS1_19radix_merge_compareILb0ELb0EsNS0_19identity_decomposerEEEEE10hipError_tT0_T1_T2_jT3_P12ihipStream_tbPNSt15iterator_traitsISK_E10value_typeEPNSQ_ISL_E10value_typeEPSM_NS1_7vsmem_tEENKUlT_SK_SL_SM_E_clIPsSE_SF_SF_EESJ_SZ_SK_SL_SM_EUlSZ_E0_NS1_11comp_targetILNS1_3genE5ELNS1_11target_archE942ELNS1_3gpuE9ELNS1_3repE0EEENS1_38merge_mergepath_config_static_selectorELNS0_4arch9wavefront6targetE1EEEvSL_,"axG",@progbits,_ZN7rocprim17ROCPRIM_400000_NS6detail17trampoline_kernelINS0_14default_configENS1_38merge_sort_block_merge_config_selectorIsNS0_10empty_typeEEEZZNS1_27merge_sort_block_merge_implIS3_N6thrust23THRUST_200600_302600_NS6detail15normal_iteratorINS9_10device_ptrIsEEEEPS5_jNS1_19radix_merge_compareILb0ELb0EsNS0_19identity_decomposerEEEEE10hipError_tT0_T1_T2_jT3_P12ihipStream_tbPNSt15iterator_traitsISK_E10value_typeEPNSQ_ISL_E10value_typeEPSM_NS1_7vsmem_tEENKUlT_SK_SL_SM_E_clIPsSE_SF_SF_EESJ_SZ_SK_SL_SM_EUlSZ_E0_NS1_11comp_targetILNS1_3genE5ELNS1_11target_archE942ELNS1_3gpuE9ELNS1_3repE0EEENS1_38merge_mergepath_config_static_selectorELNS0_4arch9wavefront6targetE1EEEvSL_,comdat
	.protected	_ZN7rocprim17ROCPRIM_400000_NS6detail17trampoline_kernelINS0_14default_configENS1_38merge_sort_block_merge_config_selectorIsNS0_10empty_typeEEEZZNS1_27merge_sort_block_merge_implIS3_N6thrust23THRUST_200600_302600_NS6detail15normal_iteratorINS9_10device_ptrIsEEEEPS5_jNS1_19radix_merge_compareILb0ELb0EsNS0_19identity_decomposerEEEEE10hipError_tT0_T1_T2_jT3_P12ihipStream_tbPNSt15iterator_traitsISK_E10value_typeEPNSQ_ISL_E10value_typeEPSM_NS1_7vsmem_tEENKUlT_SK_SL_SM_E_clIPsSE_SF_SF_EESJ_SZ_SK_SL_SM_EUlSZ_E0_NS1_11comp_targetILNS1_3genE5ELNS1_11target_archE942ELNS1_3gpuE9ELNS1_3repE0EEENS1_38merge_mergepath_config_static_selectorELNS0_4arch9wavefront6targetE1EEEvSL_ ; -- Begin function _ZN7rocprim17ROCPRIM_400000_NS6detail17trampoline_kernelINS0_14default_configENS1_38merge_sort_block_merge_config_selectorIsNS0_10empty_typeEEEZZNS1_27merge_sort_block_merge_implIS3_N6thrust23THRUST_200600_302600_NS6detail15normal_iteratorINS9_10device_ptrIsEEEEPS5_jNS1_19radix_merge_compareILb0ELb0EsNS0_19identity_decomposerEEEEE10hipError_tT0_T1_T2_jT3_P12ihipStream_tbPNSt15iterator_traitsISK_E10value_typeEPNSQ_ISL_E10value_typeEPSM_NS1_7vsmem_tEENKUlT_SK_SL_SM_E_clIPsSE_SF_SF_EESJ_SZ_SK_SL_SM_EUlSZ_E0_NS1_11comp_targetILNS1_3genE5ELNS1_11target_archE942ELNS1_3gpuE9ELNS1_3repE0EEENS1_38merge_mergepath_config_static_selectorELNS0_4arch9wavefront6targetE1EEEvSL_
	.globl	_ZN7rocprim17ROCPRIM_400000_NS6detail17trampoline_kernelINS0_14default_configENS1_38merge_sort_block_merge_config_selectorIsNS0_10empty_typeEEEZZNS1_27merge_sort_block_merge_implIS3_N6thrust23THRUST_200600_302600_NS6detail15normal_iteratorINS9_10device_ptrIsEEEEPS5_jNS1_19radix_merge_compareILb0ELb0EsNS0_19identity_decomposerEEEEE10hipError_tT0_T1_T2_jT3_P12ihipStream_tbPNSt15iterator_traitsISK_E10value_typeEPNSQ_ISL_E10value_typeEPSM_NS1_7vsmem_tEENKUlT_SK_SL_SM_E_clIPsSE_SF_SF_EESJ_SZ_SK_SL_SM_EUlSZ_E0_NS1_11comp_targetILNS1_3genE5ELNS1_11target_archE942ELNS1_3gpuE9ELNS1_3repE0EEENS1_38merge_mergepath_config_static_selectorELNS0_4arch9wavefront6targetE1EEEvSL_
	.p2align	8
	.type	_ZN7rocprim17ROCPRIM_400000_NS6detail17trampoline_kernelINS0_14default_configENS1_38merge_sort_block_merge_config_selectorIsNS0_10empty_typeEEEZZNS1_27merge_sort_block_merge_implIS3_N6thrust23THRUST_200600_302600_NS6detail15normal_iteratorINS9_10device_ptrIsEEEEPS5_jNS1_19radix_merge_compareILb0ELb0EsNS0_19identity_decomposerEEEEE10hipError_tT0_T1_T2_jT3_P12ihipStream_tbPNSt15iterator_traitsISK_E10value_typeEPNSQ_ISL_E10value_typeEPSM_NS1_7vsmem_tEENKUlT_SK_SL_SM_E_clIPsSE_SF_SF_EESJ_SZ_SK_SL_SM_EUlSZ_E0_NS1_11comp_targetILNS1_3genE5ELNS1_11target_archE942ELNS1_3gpuE9ELNS1_3repE0EEENS1_38merge_mergepath_config_static_selectorELNS0_4arch9wavefront6targetE1EEEvSL_,@function
_ZN7rocprim17ROCPRIM_400000_NS6detail17trampoline_kernelINS0_14default_configENS1_38merge_sort_block_merge_config_selectorIsNS0_10empty_typeEEEZZNS1_27merge_sort_block_merge_implIS3_N6thrust23THRUST_200600_302600_NS6detail15normal_iteratorINS9_10device_ptrIsEEEEPS5_jNS1_19radix_merge_compareILb0ELb0EsNS0_19identity_decomposerEEEEE10hipError_tT0_T1_T2_jT3_P12ihipStream_tbPNSt15iterator_traitsISK_E10value_typeEPNSQ_ISL_E10value_typeEPSM_NS1_7vsmem_tEENKUlT_SK_SL_SM_E_clIPsSE_SF_SF_EESJ_SZ_SK_SL_SM_EUlSZ_E0_NS1_11comp_targetILNS1_3genE5ELNS1_11target_archE942ELNS1_3gpuE9ELNS1_3repE0EEENS1_38merge_mergepath_config_static_selectorELNS0_4arch9wavefront6targetE1EEEvSL_: ; @_ZN7rocprim17ROCPRIM_400000_NS6detail17trampoline_kernelINS0_14default_configENS1_38merge_sort_block_merge_config_selectorIsNS0_10empty_typeEEEZZNS1_27merge_sort_block_merge_implIS3_N6thrust23THRUST_200600_302600_NS6detail15normal_iteratorINS9_10device_ptrIsEEEEPS5_jNS1_19radix_merge_compareILb0ELb0EsNS0_19identity_decomposerEEEEE10hipError_tT0_T1_T2_jT3_P12ihipStream_tbPNSt15iterator_traitsISK_E10value_typeEPNSQ_ISL_E10value_typeEPSM_NS1_7vsmem_tEENKUlT_SK_SL_SM_E_clIPsSE_SF_SF_EESJ_SZ_SK_SL_SM_EUlSZ_E0_NS1_11comp_targetILNS1_3genE5ELNS1_11target_archE942ELNS1_3gpuE9ELNS1_3repE0EEENS1_38merge_mergepath_config_static_selectorELNS0_4arch9wavefront6targetE1EEEvSL_
; %bb.0:
	s_load_dwordx2 s[12:13], s[0:1], 0x40
	s_load_dword s5, s[0:1], 0x30
	s_add_u32 s8, s0, 64
	s_addc_u32 s9, s1, 0
	s_waitcnt lgkmcnt(0)
	s_mul_i32 s4, s13, s4
	s_add_i32 s3, s4, s3
	s_mul_i32 s3, s3, s12
	s_add_i32 s10, s3, s2
	s_cmp_ge_u32 s10, s5
	s_cbranch_scc1 .LBB1828_43
; %bb.1:
	s_load_dwordx2 s[14:15], s[0:1], 0x28
	s_load_dwordx2 s[4:5], s[0:1], 0x38
	;; [unrolled: 1-line block ×3, first 2 shown]
	s_mov_b32 s11, 0
	v_mov_b32_e32 v7, 0
	s_waitcnt lgkmcnt(0)
	s_lshr_b32 s22, s14, 10
	s_cmp_lg_u32 s10, s22
	s_cselect_b64 s[18:19], -1, 0
	s_lshl_b64 s[16:17], s[10:11], 2
	s_add_u32 s4, s4, s16
	s_addc_u32 s5, s5, s17
	s_lshr_b32 s3, s15, 9
	s_and_b32 s3, s3, 0x7ffffe
	s_load_dwordx2 s[4:5], s[4:5], 0x0
	s_sub_i32 s3, 0, s3
	s_and_b32 s13, s10, s3
	s_lshl_b32 s17, s13, 10
	s_lshl_b32 s16, s10, 10
	s_lshl_b32 s13, s13, 11
	s_sub_i32 s20, s16, s17
	s_add_i32 s13, s13, s15
	s_add_i32 s21, s13, s20
	s_waitcnt lgkmcnt(0)
	s_sub_i32 s20, s21, s4
	s_sub_i32 s21, s21, s5
	;; [unrolled: 1-line block ×3, first 2 shown]
	s_min_u32 s20, s14, s20
	s_addk_i32 s21, 0x400
	s_or_b32 s3, s10, s3
	s_min_u32 s17, s14, s13
	s_add_i32 s13, s13, s15
	s_cmp_eq_u32 s3, -1
	s_cselect_b32 s3, s13, s21
	s_cselect_b32 s5, s17, s5
	s_min_u32 s3, s3, s14
	s_sub_i32 s15, s5, s4
	s_mov_b32 s5, s11
	s_sub_i32 s13, s3, s20
	s_lshl_b64 s[4:5], s[4:5], 1
	s_add_u32 s4, s6, s4
	s_mov_b32 s21, s11
	s_addc_u32 s5, s7, s5
	s_lshl_b64 s[20:21], s[20:21], 1
	s_add_u32 s6, s6, s20
	s_addc_u32 s7, s7, s21
	s_cmp_lt_u32 s2, s12
	s_cselect_b32 s2, 12, 18
	global_load_dword v1, v7, s[8:9] offset:14
	s_add_u32 s2, s8, s2
	s_addc_u32 s3, s9, 0
	global_load_ushort v2, v7, s[2:3]
	s_cmp_eq_u32 s10, s22
	v_lshlrev_b32_e32 v6, 1, v0
	s_waitcnt vmcnt(1)
	v_lshrrev_b32_e32 v3, 16, v1
	v_and_b32_e32 v1, 0xffff, v1
	v_mul_lo_u32 v1, v1, v3
	s_waitcnt vmcnt(0)
	v_mul_lo_u32 v1, v1, v2
	v_add_u32_e32 v10, v1, v0
	v_add_u32_e32 v8, v10, v1
	s_cbranch_scc1 .LBB1828_3
; %bb.2:
	v_subrev_u32_e32 v4, s15, v0
	v_mov_b32_e32 v5, v7
	v_lshl_add_u64 v[2:3], s[4:5], 0, v[6:7]
	v_lshl_add_u64 v[4:5], v[4:5], 1, s[6:7]
	v_cmp_gt_u32_e32 vcc, s15, v0
	v_mov_b32_e32 v11, v7
	v_mov_b32_e32 v9, v7
	v_cndmask_b32_e32 v3, v5, v3, vcc
	v_cndmask_b32_e32 v2, v4, v2, vcc
	v_subrev_u32_e32 v4, s15, v10
	v_mov_b32_e32 v5, v7
	global_load_ushort v14, v[2:3], off
	v_lshl_add_u64 v[2:3], v[10:11], 1, s[4:5]
	v_lshl_add_u64 v[4:5], v[4:5], 1, s[6:7]
	v_cmp_gt_u32_e32 vcc, s15, v10
	v_mov_b32_e32 v13, v7
	s_mov_b32 s2, 0x5040100
	v_cndmask_b32_e32 v3, v5, v3, vcc
	v_cndmask_b32_e32 v2, v4, v2, vcc
	v_subrev_u32_e32 v4, s15, v8
	v_mov_b32_e32 v5, v7
	global_load_ushort v11, v[2:3], off
	v_lshl_add_u64 v[2:3], v[8:9], 1, s[4:5]
	v_lshl_add_u64 v[4:5], v[4:5], 1, s[6:7]
	v_cmp_gt_u32_e32 vcc, s15, v8
	s_add_i32 s17, s13, s15
	s_nop 0
	v_cndmask_b32_e32 v3, v5, v3, vcc
	v_cndmask_b32_e32 v2, v4, v2, vcc
	global_load_ushort v9, v[2:3], off
	v_add_u32_e32 v2, v8, v1
	v_mov_b32_e32 v3, v7
	v_subrev_u32_e32 v12, s15, v2
	v_lshl_add_u64 v[4:5], v[2:3], 1, s[4:5]
	v_lshl_add_u64 v[12:13], v[12:13], 1, s[6:7]
	v_cmp_gt_u32_e32 vcc, s15, v2
	v_add_u32_e32 v2, v2, v1
	s_nop 0
	v_cndmask_b32_e32 v5, v13, v5, vcc
	v_cndmask_b32_e32 v4, v12, v4, vcc
	v_subrev_u32_e32 v12, s15, v2
	v_mov_b32_e32 v13, v7
	global_load_ushort v15, v[4:5], off
	v_lshl_add_u64 v[4:5], v[2:3], 1, s[4:5]
	v_lshl_add_u64 v[12:13], v[12:13], 1, s[6:7]
	v_cmp_gt_u32_e32 vcc, s15, v2
	v_add_u32_e32 v2, v2, v1
	s_nop 0
	v_cndmask_b32_e32 v5, v13, v5, vcc
	v_cndmask_b32_e32 v4, v12, v4, vcc
	v_subrev_u32_e32 v12, s15, v2
	v_mov_b32_e32 v13, v7
	global_load_ushort v16, v[4:5], off
	;; [unrolled: 10-line block ×4, first 2 shown]
	v_lshl_add_u64 v[4:5], v[2:3], 1, s[4:5]
	v_lshl_add_u64 v[12:13], v[12:13], 1, s[6:7]
	v_cmp_gt_u32_e32 vcc, s15, v2
	s_nop 1
	v_cndmask_b32_e32 v3, v13, v5, vcc
	v_cndmask_b32_e32 v2, v12, v4, vcc
	global_load_ushort v5, v[2:3], off
	s_waitcnt vmcnt(6)
	v_perm_b32 v2, v11, v14, s2
	s_waitcnt vmcnt(4)
	v_perm_b32 v3, v15, v9, s2
	;; [unrolled: 2-line block ×4, first 2 shown]
	s_load_dwordx2 s[20:21], s[0:1], 0x10
	s_cbranch_execz .LBB1828_4
	s_branch .LBB1828_19
.LBB1828_3:
                                        ; implicit-def: $vgpr2_vgpr3_vgpr4_vgpr5
                                        ; implicit-def: $sgpr17
	s_load_dwordx2 s[20:21], s[0:1], 0x10
.LBB1828_4:
	s_add_i32 s17, s13, s15
	v_cmp_gt_u32_e32 vcc, s17, v0
                                        ; implicit-def: $vgpr2_vgpr3_vgpr4_vgpr5
	s_and_saveexec_b64 s[0:1], vcc
	s_cbranch_execnz .LBB1828_44
; %bb.5:
	s_or_b64 exec, exec, s[0:1]
	v_cmp_gt_u32_e32 vcc, s17, v10
	s_and_saveexec_b64 s[0:1], vcc
	s_cbranch_execnz .LBB1828_45
.LBB1828_6:
	s_or_b64 exec, exec, s[0:1]
	v_cmp_gt_u32_e32 vcc, s17, v8
	s_and_saveexec_b64 s[0:1], vcc
	s_cbranch_execz .LBB1828_8
.LBB1828_7:
	v_mov_b32_e32 v9, 0
	v_subrev_u32_e32 v12, s15, v8
	v_mov_b32_e32 v13, v9
	v_lshl_add_u64 v[10:11], v[8:9], 1, s[4:5]
	v_lshl_add_u64 v[12:13], v[12:13], 1, s[6:7]
	v_cmp_gt_u32_e32 vcc, s15, v8
	s_mov_b32 s2, 0xffff
	s_nop 0
	v_cndmask_b32_e32 v11, v13, v11, vcc
	v_cndmask_b32_e32 v10, v12, v10, vcc
	global_load_ushort v7, v[10:11], off
	s_waitcnt vmcnt(0)
	v_bfi_b32 v3, s2, v7, v3
.LBB1828_8:
	s_or_b64 exec, exec, s[0:1]
	v_add_u32_e32 v8, v8, v1
	v_cmp_gt_u32_e32 vcc, s17, v8
	s_and_saveexec_b64 s[0:1], vcc
	s_cbranch_execz .LBB1828_10
; %bb.9:
	v_mov_b32_e32 v9, 0
	v_subrev_u32_e32 v12, s15, v8
	v_mov_b32_e32 v13, v9
	v_lshl_add_u64 v[10:11], v[8:9], 1, s[4:5]
	v_lshl_add_u64 v[12:13], v[12:13], 1, s[6:7]
	v_cmp_gt_u32_e32 vcc, s15, v8
	s_mov_b32 s2, 0x5040100
	s_nop 0
	v_cndmask_b32_e32 v11, v13, v11, vcc
	v_cndmask_b32_e32 v10, v12, v10, vcc
	global_load_ushort v7, v[10:11], off
	s_waitcnt vmcnt(0)
	v_perm_b32 v3, v7, v3, s2
.LBB1828_10:
	s_or_b64 exec, exec, s[0:1]
	v_add_u32_e32 v8, v8, v1
	v_cmp_gt_u32_e32 vcc, s17, v8
	s_and_saveexec_b64 s[0:1], vcc
	s_cbranch_execz .LBB1828_12
; %bb.11:
	v_mov_b32_e32 v9, 0
	v_subrev_u32_e32 v12, s15, v8
	v_mov_b32_e32 v13, v9
	v_lshl_add_u64 v[10:11], v[8:9], 1, s[4:5]
	v_lshl_add_u64 v[12:13], v[12:13], 1, s[6:7]
	v_cmp_gt_u32_e32 vcc, s15, v8
	s_mov_b32 s2, 0xffff
	s_nop 0
	v_cndmask_b32_e32 v11, v13, v11, vcc
	v_cndmask_b32_e32 v10, v12, v10, vcc
	global_load_ushort v7, v[10:11], off
	s_waitcnt vmcnt(0)
	v_bfi_b32 v4, s2, v7, v4
.LBB1828_12:
	s_or_b64 exec, exec, s[0:1]
	v_add_u32_e32 v8, v8, v1
	v_cmp_gt_u32_e32 vcc, s17, v8
	s_and_saveexec_b64 s[0:1], vcc
	s_cbranch_execz .LBB1828_14
; %bb.13:
	v_mov_b32_e32 v9, 0
	v_subrev_u32_e32 v12, s15, v8
	v_mov_b32_e32 v13, v9
	v_lshl_add_u64 v[10:11], v[8:9], 1, s[4:5]
	v_lshl_add_u64 v[12:13], v[12:13], 1, s[6:7]
	v_cmp_gt_u32_e32 vcc, s15, v8
	s_mov_b32 s2, 0x5040100
	s_nop 0
	v_cndmask_b32_e32 v11, v13, v11, vcc
	v_cndmask_b32_e32 v10, v12, v10, vcc
	global_load_ushort v7, v[10:11], off
	s_waitcnt vmcnt(0)
	v_perm_b32 v4, v7, v4, s2
.LBB1828_14:
	s_or_b64 exec, exec, s[0:1]
	v_add_u32_e32 v8, v8, v1
	v_cmp_gt_u32_e32 vcc, s17, v8
	s_and_saveexec_b64 s[0:1], vcc
	s_cbranch_execz .LBB1828_16
; %bb.15:
	v_mov_b32_e32 v9, 0
	v_subrev_u32_e32 v12, s15, v8
	v_mov_b32_e32 v13, v9
	v_lshl_add_u64 v[10:11], v[8:9], 1, s[4:5]
	v_lshl_add_u64 v[12:13], v[12:13], 1, s[6:7]
	v_cmp_gt_u32_e32 vcc, s15, v8
	s_mov_b32 s2, 0xffff
	s_nop 0
	v_cndmask_b32_e32 v11, v13, v11, vcc
	v_cndmask_b32_e32 v10, v12, v10, vcc
	global_load_ushort v7, v[10:11], off
	s_waitcnt vmcnt(0)
	v_bfi_b32 v5, s2, v7, v5
.LBB1828_16:
	s_or_b64 exec, exec, s[0:1]
	v_add_u32_e32 v8, v8, v1
	v_cmp_gt_u32_e32 vcc, s17, v8
	s_and_saveexec_b64 s[0:1], vcc
	s_cbranch_execz .LBB1828_18
; %bb.17:
	v_mov_b32_e32 v9, 0
	v_lshl_add_u64 v[10:11], v[8:9], 1, s[4:5]
	v_cmp_gt_u32_e32 vcc, s15, v8
	v_subrev_u32_e32 v8, s15, v8
	v_lshl_add_u64 v[8:9], v[8:9], 1, s[6:7]
	v_cndmask_b32_e32 v9, v9, v11, vcc
	v_cndmask_b32_e32 v8, v8, v10, vcc
	global_load_ushort v1, v[8:9], off
	s_mov_b32 s2, 0x5040100
	s_waitcnt vmcnt(0)
	v_perm_b32 v5, v1, v5, s2
.LBB1828_18:
	s_or_b64 exec, exec, s[0:1]
.LBB1828_19:
	v_lshlrev_b32_e32 v1, 3, v0
	v_min_u32_e32 v12, s17, v1
	v_sub_u32_e64 v11, v12, s13 clamp
	v_min_u32_e32 v13, s15, v12
	s_waitcnt vmcnt(0)
	v_lshrrev_b32_e32 v7, 16, v2
	v_lshrrev_b32_e32 v8, 16, v3
	;; [unrolled: 1-line block ×4, first 2 shown]
	v_cmp_lt_u32_e32 vcc, v11, v13
	ds_write_b16 v6, v2
	ds_write_b16 v6, v7 offset:256
	ds_write_b16 v6, v3 offset:512
	;; [unrolled: 1-line block ×7, first 2 shown]
	s_waitcnt lgkmcnt(0)
	s_barrier
	s_and_saveexec_b64 s[0:1], vcc
	s_cbranch_execz .LBB1828_23
; %bb.20:
	v_lshlrev_b32_e32 v14, 1, v12
	v_lshl_add_u32 v14, s15, 1, v14
	s_mov_b64 s[2:3], 0
.LBB1828_21:                            ; =>This Inner Loop Header: Depth=1
	v_add_u32_e32 v15, v13, v11
	v_lshrrev_b32_e32 v16, 1, v15
	v_not_b32_e32 v17, v16
	v_and_b32_e32 v15, -2, v15
	v_lshl_add_u32 v17, v17, 1, v14
	ds_read_u16 v15, v15
	ds_read_u16 v17, v17
	v_add_u32_e32 v18, 1, v16
	s_waitcnt lgkmcnt(0)
	v_cmp_gt_i16_e32 vcc, v15, v17
	s_nop 1
	v_cndmask_b32_e32 v13, v13, v16, vcc
	v_cndmask_b32_e32 v11, v18, v11, vcc
	v_cmp_ge_u32_e32 vcc, v11, v13
	s_or_b64 s[2:3], vcc, s[2:3]
	s_andn2_b64 exec, exec, s[2:3]
	s_cbranch_execnz .LBB1828_21
; %bb.22:
	s_or_b64 exec, exec, s[2:3]
.LBB1828_23:
	s_or_b64 exec, exec, s[0:1]
	v_sub_u32_e32 v12, v12, v11
	v_add_u32_e32 v12, s15, v12
	v_cmp_ge_u32_e32 vcc, s15, v11
	v_cmp_ge_u32_e64 s[0:1], s17, v12
	s_or_b64 s[0:1], vcc, s[0:1]
	s_and_saveexec_b64 s[22:23], s[0:1]
	s_cbranch_execz .LBB1828_29
; %bb.24:
	v_cmp_gt_u32_e32 vcc, s15, v11
                                        ; implicit-def: $vgpr2
	s_and_saveexec_b64 s[0:1], vcc
	s_cbranch_execz .LBB1828_26
; %bb.25:
	v_lshlrev_b32_e32 v2, 1, v11
	ds_read_u16 v2, v2
.LBB1828_26:
	s_or_b64 exec, exec, s[0:1]
	v_cmp_le_u32_e64 s[0:1], s17, v12
	v_cmp_gt_u32_e64 s[2:3], s17, v12
                                        ; implicit-def: $vgpr3
	s_and_saveexec_b64 s[4:5], s[2:3]
	s_cbranch_execz .LBB1828_28
; %bb.27:
	v_lshlrev_b32_e32 v3, 1, v12
	ds_read_u16 v3, v3
.LBB1828_28:
	s_or_b64 exec, exec, s[4:5]
	s_waitcnt lgkmcnt(0)
	v_cmp_le_i16_e64 s[2:3], v2, v3
	s_and_b64 s[2:3], vcc, s[2:3]
	s_or_b64 vcc, s[0:1], s[2:3]
	v_mov_b32_e32 v5, s17
	v_mov_b32_e32 v8, s15
	v_cndmask_b32_e32 v4, v12, v11, vcc
	v_cndmask_b32_e32 v7, v5, v8, vcc
	v_add_u32_e32 v4, 1, v4
	v_add_u32_e32 v7, -1, v7
	v_min_u32_e32 v7, v4, v7
	v_lshlrev_b32_e32 v7, 1, v7
	ds_read_u16 v7, v7
	v_cndmask_b32_e32 v10, v4, v12, vcc
	v_cndmask_b32_e32 v4, v11, v4, vcc
	v_cmp_gt_u32_e64 s[2:3], s15, v4
	v_cmp_le_u32_e64 s[0:1], s17, v10
	s_waitcnt lgkmcnt(0)
	v_cndmask_b32_e32 v9, v7, v3, vcc
	v_cndmask_b32_e32 v7, v2, v7, vcc
	v_cmp_le_i16_e64 s[4:5], v7, v9
	s_and_b64 s[2:3], s[2:3], s[4:5]
	s_or_b64 s[0:1], s[0:1], s[2:3]
	v_cndmask_b32_e64 v11, v10, v4, s[0:1]
	v_cndmask_b32_e64 v12, v5, v8, s[0:1]
	v_add_u32_e32 v11, 1, v11
	v_add_u32_e32 v12, -1, v12
	v_min_u32_e32 v12, v11, v12
	v_lshlrev_b32_e32 v12, 1, v12
	ds_read_u16 v12, v12
	v_cndmask_b32_e64 v4, v4, v11, s[0:1]
	v_cndmask_b32_e64 v10, v11, v10, s[0:1]
	v_cmp_gt_u32_e64 s[4:5], s15, v4
	v_cmp_le_u32_e64 s[2:3], s17, v10
	s_waitcnt lgkmcnt(0)
	v_cndmask_b32_e64 v13, v12, v9, s[0:1]
	v_cndmask_b32_e64 v12, v7, v12, s[0:1]
	v_cmp_le_i16_e64 s[6:7], v12, v13
	s_and_b64 s[4:5], s[4:5], s[6:7]
	s_or_b64 s[2:3], s[2:3], s[4:5]
	v_cndmask_b32_e64 v11, v10, v4, s[2:3]
	v_cndmask_b32_e64 v14, v5, v8, s[2:3]
	v_add_u32_e32 v11, 1, v11
	v_add_u32_e32 v14, -1, v14
	v_min_u32_e32 v14, v11, v14
	v_lshlrev_b32_e32 v14, 1, v14
	ds_read_u16 v14, v14
	v_cndmask_b32_e64 v4, v4, v11, s[2:3]
	v_cndmask_b32_e64 v10, v11, v10, s[2:3]
	v_cmp_gt_u32_e64 s[6:7], s15, v4
	v_cmp_le_u32_e64 s[4:5], s17, v10
	s_waitcnt lgkmcnt(0)
	v_cndmask_b32_e64 v15, v14, v13, s[2:3]
	v_cndmask_b32_e64 v14, v12, v14, s[2:3]
	;; [unrolled: 17-line block ×4, first 2 shown]
	v_cmp_le_i16_e64 s[12:13], v18, v19
	s_and_b64 s[10:11], s[10:11], s[12:13]
	s_or_b64 s[8:9], s[8:9], s[10:11]
	v_cndmask_b32_e64 v11, v10, v4, s[8:9]
	v_cndmask_b32_e64 v20, v5, v8, s[8:9]
	v_add_u32_e32 v11, 1, v11
	v_add_u32_e32 v20, -1, v20
	v_min_u32_e32 v20, v11, v20
	v_lshlrev_b32_e32 v20, 1, v20
	ds_read_u16 v20, v20
	v_cndmask_b32_e32 v2, v3, v2, vcc
	v_cndmask_b32_e64 v3, v13, v12, s[2:3]
	v_cndmask_b32_e64 v10, v11, v10, s[8:9]
	;; [unrolled: 1-line block ×3, first 2 shown]
	s_waitcnt lgkmcnt(0)
	v_cndmask_b32_e64 v12, v20, v19, s[8:9]
	v_cndmask_b32_e64 v13, v18, v20, s[8:9]
	;; [unrolled: 1-line block ×3, first 2 shown]
	v_cmp_gt_u32_e64 s[0:1], s15, v11
	v_cmp_le_i16_e64 s[2:3], v13, v12
	v_cmp_le_u32_e32 vcc, s17, v10
	s_and_b64 s[0:1], s[0:1], s[2:3]
	s_or_b64 vcc, vcc, s[0:1]
	v_cndmask_b32_e32 v4, v10, v11, vcc
	v_cndmask_b32_e32 v5, v5, v8, vcc
	v_add_u32_e32 v20, 1, v4
	v_add_u32_e32 v4, -1, v5
	v_min_u32_e32 v4, v20, v4
	v_lshlrev_b32_e32 v4, 1, v4
	ds_read_u16 v21, v4
	v_cndmask_b32_e32 v5, v12, v13, vcc
	v_cndmask_b32_e32 v11, v11, v20, vcc
	;; [unrolled: 1-line block ×3, first 2 shown]
	v_cmp_gt_u32_e64 s[0:1], s15, v11
	s_waitcnt lgkmcnt(0)
	v_cndmask_b32_e32 v12, v21, v12, vcc
	v_cndmask_b32_e32 v13, v13, v21, vcc
	v_cmp_le_i16_e64 s[2:3], v13, v12
	v_cmp_le_u32_e32 vcc, s17, v10
	s_and_b64 s[0:1], s[0:1], s[2:3]
	s_or_b64 vcc, vcc, s[0:1]
	v_cndmask_b32_e64 v8, v15, v14, s[4:5]
	v_cndmask_b32_e64 v4, v17, v16, s[6:7]
	;; [unrolled: 1-line block ×3, first 2 shown]
	v_cndmask_b32_e32 v10, v12, v13, vcc
.LBB1828_29:
	s_or_b64 exec, exec, s[22:23]
	s_mov_b32 s17, 0
	s_lshl_b64 s[0:1], s[16:17], 1
	v_lshrrev_b32_e32 v11, 2, v0
	s_add_u32 s2, s20, s0
	v_and_b32_e32 v11, 30, v11
	s_mov_b32 s0, 0x5040100
	v_add_lshl_u32 v1, v11, v1, 1
	v_perm_b32 v3, v8, v3, s0
	v_perm_b32 v2, v7, v2, s0
	s_barrier
	s_barrier
	ds_write2_b32 v1, v2, v3 offset1:1
	v_perm_b32 v2, v10, v5, s0
	v_perm_b32 v3, v9, v4, s0
	ds_write2_b32 v1, v3, v2 offset0:2 offset1:3
	v_lshrrev_b32_e32 v1, 4, v0
	v_and_b32_e32 v1, 4, v1
	v_or_b32_e32 v11, 0x80, v0
	v_add_u32_e32 v12, v6, v1
	v_lshrrev_b32_e32 v1, 4, v11
	v_and_b32_e32 v1, 12, v1
	v_or_b32_e32 v10, 0x100, v0
	v_add_u32_e32 v13, v6, v1
	v_lshrrev_b32_e32 v1, 4, v10
	v_and_b32_e32 v1, 20, v1
	v_or_b32_e32 v9, 0x180, v0
	v_add_u32_e32 v14, v6, v1
	v_lshrrev_b32_e32 v1, 4, v9
	v_and_b32_e32 v1, 28, v1
	v_or_b32_e32 v8, 0x200, v0
	v_add_u32_e32 v15, v6, v1
	v_lshrrev_b32_e32 v1, 4, v8
	v_and_b32_e32 v1, 36, v1
	v_or_b32_e32 v5, 0x280, v0
	v_add_u32_e32 v16, v6, v1
	v_lshrrev_b32_e32 v1, 4, v5
	v_and_b32_e32 v1, 44, v1
	v_or_b32_e32 v4, 0x300, v0
	v_add_u32_e32 v17, v6, v1
	v_lshrrev_b32_e32 v1, 4, v4
	v_and_b32_e32 v1, 52, v1
	v_add_u32_e32 v18, v6, v1
	v_or_b32_e32 v1, 0x380, v0
	v_lshrrev_b32_e32 v2, 4, v1
	s_addc_u32 s3, s21, s1
	v_and_b32_e32 v2, 60, v2
	v_mov_b32_e32 v7, 0
	v_add_u32_e32 v19, v6, v2
	v_lshl_add_u64 v[2:3], s[2:3], 0, v[6:7]
	s_and_b64 vcc, exec, s[18:19]
	s_waitcnt lgkmcnt(0)
	s_cbranch_vccz .LBB1828_31
; %bb.30:
	s_barrier
	ds_read_u16 v6, v12
	ds_read_u16 v7, v13 offset:256
	ds_read_u16 v20, v14 offset:512
	;; [unrolled: 1-line block ×7, first 2 shown]
	s_waitcnt lgkmcnt(7)
	global_store_short v[2:3], v6, off
	s_waitcnt lgkmcnt(6)
	global_store_short v[2:3], v7, off offset:256
	s_waitcnt lgkmcnt(5)
	global_store_short v[2:3], v20, off offset:512
	;; [unrolled: 2-line block ×6, first 2 shown]
	s_waitcnt lgkmcnt(0)
	v_perm_b32 v6, v25, v24, s0
	s_mov_b64 s[0:1], -1
	s_cbranch_execz .LBB1828_32
	s_branch .LBB1828_41
.LBB1828_31:
	s_mov_b64 s[0:1], 0
                                        ; implicit-def: $vgpr6
.LBB1828_32:
	s_barrier
	ds_read_u16 v22, v12
	ds_read_u16 v21, v13 offset:256
	ds_read_u16 v20, v14 offset:512
	;; [unrolled: 1-line block ×7, first 2 shown]
	s_sub_i32 s2, s14, s16
	v_cmp_gt_u32_e32 vcc, s2, v0
	s_and_saveexec_b64 s[0:1], vcc
	s_cbranch_execnz .LBB1828_46
; %bb.33:
	s_or_b64 exec, exec, s[0:1]
	v_cmp_gt_u32_e32 vcc, s2, v11
	s_and_saveexec_b64 s[0:1], vcc
	s_cbranch_execnz .LBB1828_47
.LBB1828_34:
	s_or_b64 exec, exec, s[0:1]
	v_cmp_gt_u32_e32 vcc, s2, v10
	s_and_saveexec_b64 s[0:1], vcc
	s_cbranch_execnz .LBB1828_48
.LBB1828_35:
	s_or_b64 exec, exec, s[0:1]
	v_cmp_gt_u32_e32 vcc, s2, v9
	s_and_saveexec_b64 s[0:1], vcc
	s_cbranch_execnz .LBB1828_49
.LBB1828_36:
	s_or_b64 exec, exec, s[0:1]
	v_cmp_gt_u32_e32 vcc, s2, v8
	s_and_saveexec_b64 s[0:1], vcc
	s_cbranch_execnz .LBB1828_50
.LBB1828_37:
	s_or_b64 exec, exec, s[0:1]
	v_cmp_gt_u32_e32 vcc, s2, v5
	s_and_saveexec_b64 s[0:1], vcc
	s_cbranch_execnz .LBB1828_51
.LBB1828_38:
	s_or_b64 exec, exec, s[0:1]
	v_cmp_gt_u32_e32 vcc, s2, v4
	s_and_saveexec_b64 s[0:1], vcc
	s_cbranch_execz .LBB1828_40
.LBB1828_39:
	s_waitcnt lgkmcnt(1)
	global_store_short v[2:3], v6, off offset:1536
.LBB1828_40:
	s_or_b64 exec, exec, s[0:1]
	v_cmp_gt_u32_e64 s[0:1], s2, v1
	s_mov_b32 s2, 0x5040100
	s_waitcnt lgkmcnt(0)
	v_perm_b32 v6, v7, v6, s2
.LBB1828_41:
	s_and_saveexec_b64 s[2:3], s[0:1]
	s_cbranch_execz .LBB1828_43
; %bb.42:
	global_store_short_d16_hi v[2:3], v6, off offset:1792
.LBB1828_43:
	s_endpgm
.LBB1828_44:
	v_mov_b32_e32 v7, 0
	v_subrev_u32_e32 v4, s15, v0
	v_mov_b32_e32 v5, v7
	v_lshl_add_u64 v[2:3], s[4:5], 0, v[6:7]
	v_lshl_add_u64 v[4:5], v[4:5], 1, s[6:7]
	v_cmp_gt_u32_e32 vcc, s15, v0
	s_nop 1
	v_cndmask_b32_e32 v3, v5, v3, vcc
	v_cndmask_b32_e32 v2, v4, v2, vcc
	global_load_ushort v2, v[2:3], off
	s_or_b64 exec, exec, s[0:1]
	v_cmp_gt_u32_e32 vcc, s17, v10
	s_and_saveexec_b64 s[0:1], vcc
	s_cbranch_execz .LBB1828_6
.LBB1828_45:
	v_mov_b32_e32 v11, 0
	v_lshl_add_u64 v[12:13], v[10:11], 1, s[4:5]
	v_cmp_gt_u32_e32 vcc, s15, v10
	v_subrev_u32_e32 v10, s15, v10
	v_lshl_add_u64 v[10:11], v[10:11], 1, s[6:7]
	v_cndmask_b32_e32 v11, v11, v13, vcc
	v_cndmask_b32_e32 v10, v10, v12, vcc
	global_load_ushort v7, v[10:11], off
	s_mov_b32 s2, 0x5040100
	s_waitcnt vmcnt(0)
	v_perm_b32 v2, v7, v2, s2
	s_or_b64 exec, exec, s[0:1]
	v_cmp_gt_u32_e32 vcc, s17, v8
	s_and_saveexec_b64 s[0:1], vcc
	s_cbranch_execnz .LBB1828_7
	s_branch .LBB1828_8
.LBB1828_46:
	s_waitcnt lgkmcnt(7)
	global_store_short v[2:3], v22, off
	s_or_b64 exec, exec, s[0:1]
	v_cmp_gt_u32_e32 vcc, s2, v11
	s_and_saveexec_b64 s[0:1], vcc
	s_cbranch_execz .LBB1828_34
.LBB1828_47:
	s_waitcnt lgkmcnt(6)
	global_store_short v[2:3], v21, off offset:256
	s_or_b64 exec, exec, s[0:1]
	v_cmp_gt_u32_e32 vcc, s2, v10
	s_and_saveexec_b64 s[0:1], vcc
	s_cbranch_execz .LBB1828_35
.LBB1828_48:
	s_waitcnt lgkmcnt(5)
	global_store_short v[2:3], v20, off offset:512
	s_or_b64 exec, exec, s[0:1]
	v_cmp_gt_u32_e32 vcc, s2, v9
	s_and_saveexec_b64 s[0:1], vcc
	s_cbranch_execz .LBB1828_36
.LBB1828_49:
	s_waitcnt lgkmcnt(4)
	global_store_short v[2:3], v14, off offset:768
	s_or_b64 exec, exec, s[0:1]
	v_cmp_gt_u32_e32 vcc, s2, v8
	s_and_saveexec_b64 s[0:1], vcc
	s_cbranch_execz .LBB1828_37
.LBB1828_50:
	s_waitcnt lgkmcnt(3)
	global_store_short v[2:3], v13, off offset:1024
	s_or_b64 exec, exec, s[0:1]
	v_cmp_gt_u32_e32 vcc, s2, v5
	s_and_saveexec_b64 s[0:1], vcc
	s_cbranch_execz .LBB1828_38
.LBB1828_51:
	s_waitcnt lgkmcnt(2)
	global_store_short v[2:3], v12, off offset:1280
	s_or_b64 exec, exec, s[0:1]
	v_cmp_gt_u32_e32 vcc, s2, v4
	s_and_saveexec_b64 s[0:1], vcc
	s_cbranch_execnz .LBB1828_39
	s_branch .LBB1828_40
	.section	.rodata,"a",@progbits
	.p2align	6, 0x0
	.amdhsa_kernel _ZN7rocprim17ROCPRIM_400000_NS6detail17trampoline_kernelINS0_14default_configENS1_38merge_sort_block_merge_config_selectorIsNS0_10empty_typeEEEZZNS1_27merge_sort_block_merge_implIS3_N6thrust23THRUST_200600_302600_NS6detail15normal_iteratorINS9_10device_ptrIsEEEEPS5_jNS1_19radix_merge_compareILb0ELb0EsNS0_19identity_decomposerEEEEE10hipError_tT0_T1_T2_jT3_P12ihipStream_tbPNSt15iterator_traitsISK_E10value_typeEPNSQ_ISL_E10value_typeEPSM_NS1_7vsmem_tEENKUlT_SK_SL_SM_E_clIPsSE_SF_SF_EESJ_SZ_SK_SL_SM_EUlSZ_E0_NS1_11comp_targetILNS1_3genE5ELNS1_11target_archE942ELNS1_3gpuE9ELNS1_3repE0EEENS1_38merge_mergepath_config_static_selectorELNS0_4arch9wavefront6targetE1EEEvSL_
		.amdhsa_group_segment_fixed_size 2112
		.amdhsa_private_segment_fixed_size 0
		.amdhsa_kernarg_size 320
		.amdhsa_user_sgpr_count 2
		.amdhsa_user_sgpr_dispatch_ptr 0
		.amdhsa_user_sgpr_queue_ptr 0
		.amdhsa_user_sgpr_kernarg_segment_ptr 1
		.amdhsa_user_sgpr_dispatch_id 0
		.amdhsa_user_sgpr_kernarg_preload_length 0
		.amdhsa_user_sgpr_kernarg_preload_offset 0
		.amdhsa_user_sgpr_private_segment_size 0
		.amdhsa_uses_dynamic_stack 0
		.amdhsa_enable_private_segment 0
		.amdhsa_system_sgpr_workgroup_id_x 1
		.amdhsa_system_sgpr_workgroup_id_y 1
		.amdhsa_system_sgpr_workgroup_id_z 1
		.amdhsa_system_sgpr_workgroup_info 0
		.amdhsa_system_vgpr_workitem_id 0
		.amdhsa_next_free_vgpr 26
		.amdhsa_next_free_sgpr 24
		.amdhsa_accum_offset 28
		.amdhsa_reserve_vcc 1
		.amdhsa_float_round_mode_32 0
		.amdhsa_float_round_mode_16_64 0
		.amdhsa_float_denorm_mode_32 3
		.amdhsa_float_denorm_mode_16_64 3
		.amdhsa_dx10_clamp 1
		.amdhsa_ieee_mode 1
		.amdhsa_fp16_overflow 0
		.amdhsa_tg_split 0
		.amdhsa_exception_fp_ieee_invalid_op 0
		.amdhsa_exception_fp_denorm_src 0
		.amdhsa_exception_fp_ieee_div_zero 0
		.amdhsa_exception_fp_ieee_overflow 0
		.amdhsa_exception_fp_ieee_underflow 0
		.amdhsa_exception_fp_ieee_inexact 0
		.amdhsa_exception_int_div_zero 0
	.end_amdhsa_kernel
	.section	.text._ZN7rocprim17ROCPRIM_400000_NS6detail17trampoline_kernelINS0_14default_configENS1_38merge_sort_block_merge_config_selectorIsNS0_10empty_typeEEEZZNS1_27merge_sort_block_merge_implIS3_N6thrust23THRUST_200600_302600_NS6detail15normal_iteratorINS9_10device_ptrIsEEEEPS5_jNS1_19radix_merge_compareILb0ELb0EsNS0_19identity_decomposerEEEEE10hipError_tT0_T1_T2_jT3_P12ihipStream_tbPNSt15iterator_traitsISK_E10value_typeEPNSQ_ISL_E10value_typeEPSM_NS1_7vsmem_tEENKUlT_SK_SL_SM_E_clIPsSE_SF_SF_EESJ_SZ_SK_SL_SM_EUlSZ_E0_NS1_11comp_targetILNS1_3genE5ELNS1_11target_archE942ELNS1_3gpuE9ELNS1_3repE0EEENS1_38merge_mergepath_config_static_selectorELNS0_4arch9wavefront6targetE1EEEvSL_,"axG",@progbits,_ZN7rocprim17ROCPRIM_400000_NS6detail17trampoline_kernelINS0_14default_configENS1_38merge_sort_block_merge_config_selectorIsNS0_10empty_typeEEEZZNS1_27merge_sort_block_merge_implIS3_N6thrust23THRUST_200600_302600_NS6detail15normal_iteratorINS9_10device_ptrIsEEEEPS5_jNS1_19radix_merge_compareILb0ELb0EsNS0_19identity_decomposerEEEEE10hipError_tT0_T1_T2_jT3_P12ihipStream_tbPNSt15iterator_traitsISK_E10value_typeEPNSQ_ISL_E10value_typeEPSM_NS1_7vsmem_tEENKUlT_SK_SL_SM_E_clIPsSE_SF_SF_EESJ_SZ_SK_SL_SM_EUlSZ_E0_NS1_11comp_targetILNS1_3genE5ELNS1_11target_archE942ELNS1_3gpuE9ELNS1_3repE0EEENS1_38merge_mergepath_config_static_selectorELNS0_4arch9wavefront6targetE1EEEvSL_,comdat
.Lfunc_end1828:
	.size	_ZN7rocprim17ROCPRIM_400000_NS6detail17trampoline_kernelINS0_14default_configENS1_38merge_sort_block_merge_config_selectorIsNS0_10empty_typeEEEZZNS1_27merge_sort_block_merge_implIS3_N6thrust23THRUST_200600_302600_NS6detail15normal_iteratorINS9_10device_ptrIsEEEEPS5_jNS1_19radix_merge_compareILb0ELb0EsNS0_19identity_decomposerEEEEE10hipError_tT0_T1_T2_jT3_P12ihipStream_tbPNSt15iterator_traitsISK_E10value_typeEPNSQ_ISL_E10value_typeEPSM_NS1_7vsmem_tEENKUlT_SK_SL_SM_E_clIPsSE_SF_SF_EESJ_SZ_SK_SL_SM_EUlSZ_E0_NS1_11comp_targetILNS1_3genE5ELNS1_11target_archE942ELNS1_3gpuE9ELNS1_3repE0EEENS1_38merge_mergepath_config_static_selectorELNS0_4arch9wavefront6targetE1EEEvSL_, .Lfunc_end1828-_ZN7rocprim17ROCPRIM_400000_NS6detail17trampoline_kernelINS0_14default_configENS1_38merge_sort_block_merge_config_selectorIsNS0_10empty_typeEEEZZNS1_27merge_sort_block_merge_implIS3_N6thrust23THRUST_200600_302600_NS6detail15normal_iteratorINS9_10device_ptrIsEEEEPS5_jNS1_19radix_merge_compareILb0ELb0EsNS0_19identity_decomposerEEEEE10hipError_tT0_T1_T2_jT3_P12ihipStream_tbPNSt15iterator_traitsISK_E10value_typeEPNSQ_ISL_E10value_typeEPSM_NS1_7vsmem_tEENKUlT_SK_SL_SM_E_clIPsSE_SF_SF_EESJ_SZ_SK_SL_SM_EUlSZ_E0_NS1_11comp_targetILNS1_3genE5ELNS1_11target_archE942ELNS1_3gpuE9ELNS1_3repE0EEENS1_38merge_mergepath_config_static_selectorELNS0_4arch9wavefront6targetE1EEEvSL_
                                        ; -- End function
	.section	.AMDGPU.csdata,"",@progbits
; Kernel info:
; codeLenInByte = 3544
; NumSgprs: 30
; NumVgprs: 26
; NumAgprs: 0
; TotalNumVgprs: 26
; ScratchSize: 0
; MemoryBound: 0
; FloatMode: 240
; IeeeMode: 1
; LDSByteSize: 2112 bytes/workgroup (compile time only)
; SGPRBlocks: 3
; VGPRBlocks: 3
; NumSGPRsForWavesPerEU: 30
; NumVGPRsForWavesPerEU: 26
; AccumOffset: 28
; Occupancy: 8
; WaveLimiterHint : 1
; COMPUTE_PGM_RSRC2:SCRATCH_EN: 0
; COMPUTE_PGM_RSRC2:USER_SGPR: 2
; COMPUTE_PGM_RSRC2:TRAP_HANDLER: 0
; COMPUTE_PGM_RSRC2:TGID_X_EN: 1
; COMPUTE_PGM_RSRC2:TGID_Y_EN: 1
; COMPUTE_PGM_RSRC2:TGID_Z_EN: 1
; COMPUTE_PGM_RSRC2:TIDIG_COMP_CNT: 0
; COMPUTE_PGM_RSRC3_GFX90A:ACCUM_OFFSET: 6
; COMPUTE_PGM_RSRC3_GFX90A:TG_SPLIT: 0
	.section	.text._ZN7rocprim17ROCPRIM_400000_NS6detail17trampoline_kernelINS0_14default_configENS1_38merge_sort_block_merge_config_selectorIsNS0_10empty_typeEEEZZNS1_27merge_sort_block_merge_implIS3_N6thrust23THRUST_200600_302600_NS6detail15normal_iteratorINS9_10device_ptrIsEEEEPS5_jNS1_19radix_merge_compareILb0ELb0EsNS0_19identity_decomposerEEEEE10hipError_tT0_T1_T2_jT3_P12ihipStream_tbPNSt15iterator_traitsISK_E10value_typeEPNSQ_ISL_E10value_typeEPSM_NS1_7vsmem_tEENKUlT_SK_SL_SM_E_clIPsSE_SF_SF_EESJ_SZ_SK_SL_SM_EUlSZ_E0_NS1_11comp_targetILNS1_3genE4ELNS1_11target_archE910ELNS1_3gpuE8ELNS1_3repE0EEENS1_38merge_mergepath_config_static_selectorELNS0_4arch9wavefront6targetE1EEEvSL_,"axG",@progbits,_ZN7rocprim17ROCPRIM_400000_NS6detail17trampoline_kernelINS0_14default_configENS1_38merge_sort_block_merge_config_selectorIsNS0_10empty_typeEEEZZNS1_27merge_sort_block_merge_implIS3_N6thrust23THRUST_200600_302600_NS6detail15normal_iteratorINS9_10device_ptrIsEEEEPS5_jNS1_19radix_merge_compareILb0ELb0EsNS0_19identity_decomposerEEEEE10hipError_tT0_T1_T2_jT3_P12ihipStream_tbPNSt15iterator_traitsISK_E10value_typeEPNSQ_ISL_E10value_typeEPSM_NS1_7vsmem_tEENKUlT_SK_SL_SM_E_clIPsSE_SF_SF_EESJ_SZ_SK_SL_SM_EUlSZ_E0_NS1_11comp_targetILNS1_3genE4ELNS1_11target_archE910ELNS1_3gpuE8ELNS1_3repE0EEENS1_38merge_mergepath_config_static_selectorELNS0_4arch9wavefront6targetE1EEEvSL_,comdat
	.protected	_ZN7rocprim17ROCPRIM_400000_NS6detail17trampoline_kernelINS0_14default_configENS1_38merge_sort_block_merge_config_selectorIsNS0_10empty_typeEEEZZNS1_27merge_sort_block_merge_implIS3_N6thrust23THRUST_200600_302600_NS6detail15normal_iteratorINS9_10device_ptrIsEEEEPS5_jNS1_19radix_merge_compareILb0ELb0EsNS0_19identity_decomposerEEEEE10hipError_tT0_T1_T2_jT3_P12ihipStream_tbPNSt15iterator_traitsISK_E10value_typeEPNSQ_ISL_E10value_typeEPSM_NS1_7vsmem_tEENKUlT_SK_SL_SM_E_clIPsSE_SF_SF_EESJ_SZ_SK_SL_SM_EUlSZ_E0_NS1_11comp_targetILNS1_3genE4ELNS1_11target_archE910ELNS1_3gpuE8ELNS1_3repE0EEENS1_38merge_mergepath_config_static_selectorELNS0_4arch9wavefront6targetE1EEEvSL_ ; -- Begin function _ZN7rocprim17ROCPRIM_400000_NS6detail17trampoline_kernelINS0_14default_configENS1_38merge_sort_block_merge_config_selectorIsNS0_10empty_typeEEEZZNS1_27merge_sort_block_merge_implIS3_N6thrust23THRUST_200600_302600_NS6detail15normal_iteratorINS9_10device_ptrIsEEEEPS5_jNS1_19radix_merge_compareILb0ELb0EsNS0_19identity_decomposerEEEEE10hipError_tT0_T1_T2_jT3_P12ihipStream_tbPNSt15iterator_traitsISK_E10value_typeEPNSQ_ISL_E10value_typeEPSM_NS1_7vsmem_tEENKUlT_SK_SL_SM_E_clIPsSE_SF_SF_EESJ_SZ_SK_SL_SM_EUlSZ_E0_NS1_11comp_targetILNS1_3genE4ELNS1_11target_archE910ELNS1_3gpuE8ELNS1_3repE0EEENS1_38merge_mergepath_config_static_selectorELNS0_4arch9wavefront6targetE1EEEvSL_
	.globl	_ZN7rocprim17ROCPRIM_400000_NS6detail17trampoline_kernelINS0_14default_configENS1_38merge_sort_block_merge_config_selectorIsNS0_10empty_typeEEEZZNS1_27merge_sort_block_merge_implIS3_N6thrust23THRUST_200600_302600_NS6detail15normal_iteratorINS9_10device_ptrIsEEEEPS5_jNS1_19radix_merge_compareILb0ELb0EsNS0_19identity_decomposerEEEEE10hipError_tT0_T1_T2_jT3_P12ihipStream_tbPNSt15iterator_traitsISK_E10value_typeEPNSQ_ISL_E10value_typeEPSM_NS1_7vsmem_tEENKUlT_SK_SL_SM_E_clIPsSE_SF_SF_EESJ_SZ_SK_SL_SM_EUlSZ_E0_NS1_11comp_targetILNS1_3genE4ELNS1_11target_archE910ELNS1_3gpuE8ELNS1_3repE0EEENS1_38merge_mergepath_config_static_selectorELNS0_4arch9wavefront6targetE1EEEvSL_
	.p2align	8
	.type	_ZN7rocprim17ROCPRIM_400000_NS6detail17trampoline_kernelINS0_14default_configENS1_38merge_sort_block_merge_config_selectorIsNS0_10empty_typeEEEZZNS1_27merge_sort_block_merge_implIS3_N6thrust23THRUST_200600_302600_NS6detail15normal_iteratorINS9_10device_ptrIsEEEEPS5_jNS1_19radix_merge_compareILb0ELb0EsNS0_19identity_decomposerEEEEE10hipError_tT0_T1_T2_jT3_P12ihipStream_tbPNSt15iterator_traitsISK_E10value_typeEPNSQ_ISL_E10value_typeEPSM_NS1_7vsmem_tEENKUlT_SK_SL_SM_E_clIPsSE_SF_SF_EESJ_SZ_SK_SL_SM_EUlSZ_E0_NS1_11comp_targetILNS1_3genE4ELNS1_11target_archE910ELNS1_3gpuE8ELNS1_3repE0EEENS1_38merge_mergepath_config_static_selectorELNS0_4arch9wavefront6targetE1EEEvSL_,@function
_ZN7rocprim17ROCPRIM_400000_NS6detail17trampoline_kernelINS0_14default_configENS1_38merge_sort_block_merge_config_selectorIsNS0_10empty_typeEEEZZNS1_27merge_sort_block_merge_implIS3_N6thrust23THRUST_200600_302600_NS6detail15normal_iteratorINS9_10device_ptrIsEEEEPS5_jNS1_19radix_merge_compareILb0ELb0EsNS0_19identity_decomposerEEEEE10hipError_tT0_T1_T2_jT3_P12ihipStream_tbPNSt15iterator_traitsISK_E10value_typeEPNSQ_ISL_E10value_typeEPSM_NS1_7vsmem_tEENKUlT_SK_SL_SM_E_clIPsSE_SF_SF_EESJ_SZ_SK_SL_SM_EUlSZ_E0_NS1_11comp_targetILNS1_3genE4ELNS1_11target_archE910ELNS1_3gpuE8ELNS1_3repE0EEENS1_38merge_mergepath_config_static_selectorELNS0_4arch9wavefront6targetE1EEEvSL_: ; @_ZN7rocprim17ROCPRIM_400000_NS6detail17trampoline_kernelINS0_14default_configENS1_38merge_sort_block_merge_config_selectorIsNS0_10empty_typeEEEZZNS1_27merge_sort_block_merge_implIS3_N6thrust23THRUST_200600_302600_NS6detail15normal_iteratorINS9_10device_ptrIsEEEEPS5_jNS1_19radix_merge_compareILb0ELb0EsNS0_19identity_decomposerEEEEE10hipError_tT0_T1_T2_jT3_P12ihipStream_tbPNSt15iterator_traitsISK_E10value_typeEPNSQ_ISL_E10value_typeEPSM_NS1_7vsmem_tEENKUlT_SK_SL_SM_E_clIPsSE_SF_SF_EESJ_SZ_SK_SL_SM_EUlSZ_E0_NS1_11comp_targetILNS1_3genE4ELNS1_11target_archE910ELNS1_3gpuE8ELNS1_3repE0EEENS1_38merge_mergepath_config_static_selectorELNS0_4arch9wavefront6targetE1EEEvSL_
; %bb.0:
	.section	.rodata,"a",@progbits
	.p2align	6, 0x0
	.amdhsa_kernel _ZN7rocprim17ROCPRIM_400000_NS6detail17trampoline_kernelINS0_14default_configENS1_38merge_sort_block_merge_config_selectorIsNS0_10empty_typeEEEZZNS1_27merge_sort_block_merge_implIS3_N6thrust23THRUST_200600_302600_NS6detail15normal_iteratorINS9_10device_ptrIsEEEEPS5_jNS1_19radix_merge_compareILb0ELb0EsNS0_19identity_decomposerEEEEE10hipError_tT0_T1_T2_jT3_P12ihipStream_tbPNSt15iterator_traitsISK_E10value_typeEPNSQ_ISL_E10value_typeEPSM_NS1_7vsmem_tEENKUlT_SK_SL_SM_E_clIPsSE_SF_SF_EESJ_SZ_SK_SL_SM_EUlSZ_E0_NS1_11comp_targetILNS1_3genE4ELNS1_11target_archE910ELNS1_3gpuE8ELNS1_3repE0EEENS1_38merge_mergepath_config_static_selectorELNS0_4arch9wavefront6targetE1EEEvSL_
		.amdhsa_group_segment_fixed_size 0
		.amdhsa_private_segment_fixed_size 0
		.amdhsa_kernarg_size 64
		.amdhsa_user_sgpr_count 2
		.amdhsa_user_sgpr_dispatch_ptr 0
		.amdhsa_user_sgpr_queue_ptr 0
		.amdhsa_user_sgpr_kernarg_segment_ptr 1
		.amdhsa_user_sgpr_dispatch_id 0
		.amdhsa_user_sgpr_kernarg_preload_length 0
		.amdhsa_user_sgpr_kernarg_preload_offset 0
		.amdhsa_user_sgpr_private_segment_size 0
		.amdhsa_uses_dynamic_stack 0
		.amdhsa_enable_private_segment 0
		.amdhsa_system_sgpr_workgroup_id_x 1
		.amdhsa_system_sgpr_workgroup_id_y 0
		.amdhsa_system_sgpr_workgroup_id_z 0
		.amdhsa_system_sgpr_workgroup_info 0
		.amdhsa_system_vgpr_workitem_id 0
		.amdhsa_next_free_vgpr 1
		.amdhsa_next_free_sgpr 0
		.amdhsa_accum_offset 4
		.amdhsa_reserve_vcc 0
		.amdhsa_float_round_mode_32 0
		.amdhsa_float_round_mode_16_64 0
		.amdhsa_float_denorm_mode_32 3
		.amdhsa_float_denorm_mode_16_64 3
		.amdhsa_dx10_clamp 1
		.amdhsa_ieee_mode 1
		.amdhsa_fp16_overflow 0
		.amdhsa_tg_split 0
		.amdhsa_exception_fp_ieee_invalid_op 0
		.amdhsa_exception_fp_denorm_src 0
		.amdhsa_exception_fp_ieee_div_zero 0
		.amdhsa_exception_fp_ieee_overflow 0
		.amdhsa_exception_fp_ieee_underflow 0
		.amdhsa_exception_fp_ieee_inexact 0
		.amdhsa_exception_int_div_zero 0
	.end_amdhsa_kernel
	.section	.text._ZN7rocprim17ROCPRIM_400000_NS6detail17trampoline_kernelINS0_14default_configENS1_38merge_sort_block_merge_config_selectorIsNS0_10empty_typeEEEZZNS1_27merge_sort_block_merge_implIS3_N6thrust23THRUST_200600_302600_NS6detail15normal_iteratorINS9_10device_ptrIsEEEEPS5_jNS1_19radix_merge_compareILb0ELb0EsNS0_19identity_decomposerEEEEE10hipError_tT0_T1_T2_jT3_P12ihipStream_tbPNSt15iterator_traitsISK_E10value_typeEPNSQ_ISL_E10value_typeEPSM_NS1_7vsmem_tEENKUlT_SK_SL_SM_E_clIPsSE_SF_SF_EESJ_SZ_SK_SL_SM_EUlSZ_E0_NS1_11comp_targetILNS1_3genE4ELNS1_11target_archE910ELNS1_3gpuE8ELNS1_3repE0EEENS1_38merge_mergepath_config_static_selectorELNS0_4arch9wavefront6targetE1EEEvSL_,"axG",@progbits,_ZN7rocprim17ROCPRIM_400000_NS6detail17trampoline_kernelINS0_14default_configENS1_38merge_sort_block_merge_config_selectorIsNS0_10empty_typeEEEZZNS1_27merge_sort_block_merge_implIS3_N6thrust23THRUST_200600_302600_NS6detail15normal_iteratorINS9_10device_ptrIsEEEEPS5_jNS1_19radix_merge_compareILb0ELb0EsNS0_19identity_decomposerEEEEE10hipError_tT0_T1_T2_jT3_P12ihipStream_tbPNSt15iterator_traitsISK_E10value_typeEPNSQ_ISL_E10value_typeEPSM_NS1_7vsmem_tEENKUlT_SK_SL_SM_E_clIPsSE_SF_SF_EESJ_SZ_SK_SL_SM_EUlSZ_E0_NS1_11comp_targetILNS1_3genE4ELNS1_11target_archE910ELNS1_3gpuE8ELNS1_3repE0EEENS1_38merge_mergepath_config_static_selectorELNS0_4arch9wavefront6targetE1EEEvSL_,comdat
.Lfunc_end1829:
	.size	_ZN7rocprim17ROCPRIM_400000_NS6detail17trampoline_kernelINS0_14default_configENS1_38merge_sort_block_merge_config_selectorIsNS0_10empty_typeEEEZZNS1_27merge_sort_block_merge_implIS3_N6thrust23THRUST_200600_302600_NS6detail15normal_iteratorINS9_10device_ptrIsEEEEPS5_jNS1_19radix_merge_compareILb0ELb0EsNS0_19identity_decomposerEEEEE10hipError_tT0_T1_T2_jT3_P12ihipStream_tbPNSt15iterator_traitsISK_E10value_typeEPNSQ_ISL_E10value_typeEPSM_NS1_7vsmem_tEENKUlT_SK_SL_SM_E_clIPsSE_SF_SF_EESJ_SZ_SK_SL_SM_EUlSZ_E0_NS1_11comp_targetILNS1_3genE4ELNS1_11target_archE910ELNS1_3gpuE8ELNS1_3repE0EEENS1_38merge_mergepath_config_static_selectorELNS0_4arch9wavefront6targetE1EEEvSL_, .Lfunc_end1829-_ZN7rocprim17ROCPRIM_400000_NS6detail17trampoline_kernelINS0_14default_configENS1_38merge_sort_block_merge_config_selectorIsNS0_10empty_typeEEEZZNS1_27merge_sort_block_merge_implIS3_N6thrust23THRUST_200600_302600_NS6detail15normal_iteratorINS9_10device_ptrIsEEEEPS5_jNS1_19radix_merge_compareILb0ELb0EsNS0_19identity_decomposerEEEEE10hipError_tT0_T1_T2_jT3_P12ihipStream_tbPNSt15iterator_traitsISK_E10value_typeEPNSQ_ISL_E10value_typeEPSM_NS1_7vsmem_tEENKUlT_SK_SL_SM_E_clIPsSE_SF_SF_EESJ_SZ_SK_SL_SM_EUlSZ_E0_NS1_11comp_targetILNS1_3genE4ELNS1_11target_archE910ELNS1_3gpuE8ELNS1_3repE0EEENS1_38merge_mergepath_config_static_selectorELNS0_4arch9wavefront6targetE1EEEvSL_
                                        ; -- End function
	.section	.AMDGPU.csdata,"",@progbits
; Kernel info:
; codeLenInByte = 0
; NumSgprs: 6
; NumVgprs: 0
; NumAgprs: 0
; TotalNumVgprs: 0
; ScratchSize: 0
; MemoryBound: 0
; FloatMode: 240
; IeeeMode: 1
; LDSByteSize: 0 bytes/workgroup (compile time only)
; SGPRBlocks: 0
; VGPRBlocks: 0
; NumSGPRsForWavesPerEU: 6
; NumVGPRsForWavesPerEU: 1
; AccumOffset: 4
; Occupancy: 8
; WaveLimiterHint : 0
; COMPUTE_PGM_RSRC2:SCRATCH_EN: 0
; COMPUTE_PGM_RSRC2:USER_SGPR: 2
; COMPUTE_PGM_RSRC2:TRAP_HANDLER: 0
; COMPUTE_PGM_RSRC2:TGID_X_EN: 1
; COMPUTE_PGM_RSRC2:TGID_Y_EN: 0
; COMPUTE_PGM_RSRC2:TGID_Z_EN: 0
; COMPUTE_PGM_RSRC2:TIDIG_COMP_CNT: 0
; COMPUTE_PGM_RSRC3_GFX90A:ACCUM_OFFSET: 0
; COMPUTE_PGM_RSRC3_GFX90A:TG_SPLIT: 0
	.section	.text._ZN7rocprim17ROCPRIM_400000_NS6detail17trampoline_kernelINS0_14default_configENS1_38merge_sort_block_merge_config_selectorIsNS0_10empty_typeEEEZZNS1_27merge_sort_block_merge_implIS3_N6thrust23THRUST_200600_302600_NS6detail15normal_iteratorINS9_10device_ptrIsEEEEPS5_jNS1_19radix_merge_compareILb0ELb0EsNS0_19identity_decomposerEEEEE10hipError_tT0_T1_T2_jT3_P12ihipStream_tbPNSt15iterator_traitsISK_E10value_typeEPNSQ_ISL_E10value_typeEPSM_NS1_7vsmem_tEENKUlT_SK_SL_SM_E_clIPsSE_SF_SF_EESJ_SZ_SK_SL_SM_EUlSZ_E0_NS1_11comp_targetILNS1_3genE3ELNS1_11target_archE908ELNS1_3gpuE7ELNS1_3repE0EEENS1_38merge_mergepath_config_static_selectorELNS0_4arch9wavefront6targetE1EEEvSL_,"axG",@progbits,_ZN7rocprim17ROCPRIM_400000_NS6detail17trampoline_kernelINS0_14default_configENS1_38merge_sort_block_merge_config_selectorIsNS0_10empty_typeEEEZZNS1_27merge_sort_block_merge_implIS3_N6thrust23THRUST_200600_302600_NS6detail15normal_iteratorINS9_10device_ptrIsEEEEPS5_jNS1_19radix_merge_compareILb0ELb0EsNS0_19identity_decomposerEEEEE10hipError_tT0_T1_T2_jT3_P12ihipStream_tbPNSt15iterator_traitsISK_E10value_typeEPNSQ_ISL_E10value_typeEPSM_NS1_7vsmem_tEENKUlT_SK_SL_SM_E_clIPsSE_SF_SF_EESJ_SZ_SK_SL_SM_EUlSZ_E0_NS1_11comp_targetILNS1_3genE3ELNS1_11target_archE908ELNS1_3gpuE7ELNS1_3repE0EEENS1_38merge_mergepath_config_static_selectorELNS0_4arch9wavefront6targetE1EEEvSL_,comdat
	.protected	_ZN7rocprim17ROCPRIM_400000_NS6detail17trampoline_kernelINS0_14default_configENS1_38merge_sort_block_merge_config_selectorIsNS0_10empty_typeEEEZZNS1_27merge_sort_block_merge_implIS3_N6thrust23THRUST_200600_302600_NS6detail15normal_iteratorINS9_10device_ptrIsEEEEPS5_jNS1_19radix_merge_compareILb0ELb0EsNS0_19identity_decomposerEEEEE10hipError_tT0_T1_T2_jT3_P12ihipStream_tbPNSt15iterator_traitsISK_E10value_typeEPNSQ_ISL_E10value_typeEPSM_NS1_7vsmem_tEENKUlT_SK_SL_SM_E_clIPsSE_SF_SF_EESJ_SZ_SK_SL_SM_EUlSZ_E0_NS1_11comp_targetILNS1_3genE3ELNS1_11target_archE908ELNS1_3gpuE7ELNS1_3repE0EEENS1_38merge_mergepath_config_static_selectorELNS0_4arch9wavefront6targetE1EEEvSL_ ; -- Begin function _ZN7rocprim17ROCPRIM_400000_NS6detail17trampoline_kernelINS0_14default_configENS1_38merge_sort_block_merge_config_selectorIsNS0_10empty_typeEEEZZNS1_27merge_sort_block_merge_implIS3_N6thrust23THRUST_200600_302600_NS6detail15normal_iteratorINS9_10device_ptrIsEEEEPS5_jNS1_19radix_merge_compareILb0ELb0EsNS0_19identity_decomposerEEEEE10hipError_tT0_T1_T2_jT3_P12ihipStream_tbPNSt15iterator_traitsISK_E10value_typeEPNSQ_ISL_E10value_typeEPSM_NS1_7vsmem_tEENKUlT_SK_SL_SM_E_clIPsSE_SF_SF_EESJ_SZ_SK_SL_SM_EUlSZ_E0_NS1_11comp_targetILNS1_3genE3ELNS1_11target_archE908ELNS1_3gpuE7ELNS1_3repE0EEENS1_38merge_mergepath_config_static_selectorELNS0_4arch9wavefront6targetE1EEEvSL_
	.globl	_ZN7rocprim17ROCPRIM_400000_NS6detail17trampoline_kernelINS0_14default_configENS1_38merge_sort_block_merge_config_selectorIsNS0_10empty_typeEEEZZNS1_27merge_sort_block_merge_implIS3_N6thrust23THRUST_200600_302600_NS6detail15normal_iteratorINS9_10device_ptrIsEEEEPS5_jNS1_19radix_merge_compareILb0ELb0EsNS0_19identity_decomposerEEEEE10hipError_tT0_T1_T2_jT3_P12ihipStream_tbPNSt15iterator_traitsISK_E10value_typeEPNSQ_ISL_E10value_typeEPSM_NS1_7vsmem_tEENKUlT_SK_SL_SM_E_clIPsSE_SF_SF_EESJ_SZ_SK_SL_SM_EUlSZ_E0_NS1_11comp_targetILNS1_3genE3ELNS1_11target_archE908ELNS1_3gpuE7ELNS1_3repE0EEENS1_38merge_mergepath_config_static_selectorELNS0_4arch9wavefront6targetE1EEEvSL_
	.p2align	8
	.type	_ZN7rocprim17ROCPRIM_400000_NS6detail17trampoline_kernelINS0_14default_configENS1_38merge_sort_block_merge_config_selectorIsNS0_10empty_typeEEEZZNS1_27merge_sort_block_merge_implIS3_N6thrust23THRUST_200600_302600_NS6detail15normal_iteratorINS9_10device_ptrIsEEEEPS5_jNS1_19radix_merge_compareILb0ELb0EsNS0_19identity_decomposerEEEEE10hipError_tT0_T1_T2_jT3_P12ihipStream_tbPNSt15iterator_traitsISK_E10value_typeEPNSQ_ISL_E10value_typeEPSM_NS1_7vsmem_tEENKUlT_SK_SL_SM_E_clIPsSE_SF_SF_EESJ_SZ_SK_SL_SM_EUlSZ_E0_NS1_11comp_targetILNS1_3genE3ELNS1_11target_archE908ELNS1_3gpuE7ELNS1_3repE0EEENS1_38merge_mergepath_config_static_selectorELNS0_4arch9wavefront6targetE1EEEvSL_,@function
_ZN7rocprim17ROCPRIM_400000_NS6detail17trampoline_kernelINS0_14default_configENS1_38merge_sort_block_merge_config_selectorIsNS0_10empty_typeEEEZZNS1_27merge_sort_block_merge_implIS3_N6thrust23THRUST_200600_302600_NS6detail15normal_iteratorINS9_10device_ptrIsEEEEPS5_jNS1_19radix_merge_compareILb0ELb0EsNS0_19identity_decomposerEEEEE10hipError_tT0_T1_T2_jT3_P12ihipStream_tbPNSt15iterator_traitsISK_E10value_typeEPNSQ_ISL_E10value_typeEPSM_NS1_7vsmem_tEENKUlT_SK_SL_SM_E_clIPsSE_SF_SF_EESJ_SZ_SK_SL_SM_EUlSZ_E0_NS1_11comp_targetILNS1_3genE3ELNS1_11target_archE908ELNS1_3gpuE7ELNS1_3repE0EEENS1_38merge_mergepath_config_static_selectorELNS0_4arch9wavefront6targetE1EEEvSL_: ; @_ZN7rocprim17ROCPRIM_400000_NS6detail17trampoline_kernelINS0_14default_configENS1_38merge_sort_block_merge_config_selectorIsNS0_10empty_typeEEEZZNS1_27merge_sort_block_merge_implIS3_N6thrust23THRUST_200600_302600_NS6detail15normal_iteratorINS9_10device_ptrIsEEEEPS5_jNS1_19radix_merge_compareILb0ELb0EsNS0_19identity_decomposerEEEEE10hipError_tT0_T1_T2_jT3_P12ihipStream_tbPNSt15iterator_traitsISK_E10value_typeEPNSQ_ISL_E10value_typeEPSM_NS1_7vsmem_tEENKUlT_SK_SL_SM_E_clIPsSE_SF_SF_EESJ_SZ_SK_SL_SM_EUlSZ_E0_NS1_11comp_targetILNS1_3genE3ELNS1_11target_archE908ELNS1_3gpuE7ELNS1_3repE0EEENS1_38merge_mergepath_config_static_selectorELNS0_4arch9wavefront6targetE1EEEvSL_
; %bb.0:
	.section	.rodata,"a",@progbits
	.p2align	6, 0x0
	.amdhsa_kernel _ZN7rocprim17ROCPRIM_400000_NS6detail17trampoline_kernelINS0_14default_configENS1_38merge_sort_block_merge_config_selectorIsNS0_10empty_typeEEEZZNS1_27merge_sort_block_merge_implIS3_N6thrust23THRUST_200600_302600_NS6detail15normal_iteratorINS9_10device_ptrIsEEEEPS5_jNS1_19radix_merge_compareILb0ELb0EsNS0_19identity_decomposerEEEEE10hipError_tT0_T1_T2_jT3_P12ihipStream_tbPNSt15iterator_traitsISK_E10value_typeEPNSQ_ISL_E10value_typeEPSM_NS1_7vsmem_tEENKUlT_SK_SL_SM_E_clIPsSE_SF_SF_EESJ_SZ_SK_SL_SM_EUlSZ_E0_NS1_11comp_targetILNS1_3genE3ELNS1_11target_archE908ELNS1_3gpuE7ELNS1_3repE0EEENS1_38merge_mergepath_config_static_selectorELNS0_4arch9wavefront6targetE1EEEvSL_
		.amdhsa_group_segment_fixed_size 0
		.amdhsa_private_segment_fixed_size 0
		.amdhsa_kernarg_size 64
		.amdhsa_user_sgpr_count 2
		.amdhsa_user_sgpr_dispatch_ptr 0
		.amdhsa_user_sgpr_queue_ptr 0
		.amdhsa_user_sgpr_kernarg_segment_ptr 1
		.amdhsa_user_sgpr_dispatch_id 0
		.amdhsa_user_sgpr_kernarg_preload_length 0
		.amdhsa_user_sgpr_kernarg_preload_offset 0
		.amdhsa_user_sgpr_private_segment_size 0
		.amdhsa_uses_dynamic_stack 0
		.amdhsa_enable_private_segment 0
		.amdhsa_system_sgpr_workgroup_id_x 1
		.amdhsa_system_sgpr_workgroup_id_y 0
		.amdhsa_system_sgpr_workgroup_id_z 0
		.amdhsa_system_sgpr_workgroup_info 0
		.amdhsa_system_vgpr_workitem_id 0
		.amdhsa_next_free_vgpr 1
		.amdhsa_next_free_sgpr 0
		.amdhsa_accum_offset 4
		.amdhsa_reserve_vcc 0
		.amdhsa_float_round_mode_32 0
		.amdhsa_float_round_mode_16_64 0
		.amdhsa_float_denorm_mode_32 3
		.amdhsa_float_denorm_mode_16_64 3
		.amdhsa_dx10_clamp 1
		.amdhsa_ieee_mode 1
		.amdhsa_fp16_overflow 0
		.amdhsa_tg_split 0
		.amdhsa_exception_fp_ieee_invalid_op 0
		.amdhsa_exception_fp_denorm_src 0
		.amdhsa_exception_fp_ieee_div_zero 0
		.amdhsa_exception_fp_ieee_overflow 0
		.amdhsa_exception_fp_ieee_underflow 0
		.amdhsa_exception_fp_ieee_inexact 0
		.amdhsa_exception_int_div_zero 0
	.end_amdhsa_kernel
	.section	.text._ZN7rocprim17ROCPRIM_400000_NS6detail17trampoline_kernelINS0_14default_configENS1_38merge_sort_block_merge_config_selectorIsNS0_10empty_typeEEEZZNS1_27merge_sort_block_merge_implIS3_N6thrust23THRUST_200600_302600_NS6detail15normal_iteratorINS9_10device_ptrIsEEEEPS5_jNS1_19radix_merge_compareILb0ELb0EsNS0_19identity_decomposerEEEEE10hipError_tT0_T1_T2_jT3_P12ihipStream_tbPNSt15iterator_traitsISK_E10value_typeEPNSQ_ISL_E10value_typeEPSM_NS1_7vsmem_tEENKUlT_SK_SL_SM_E_clIPsSE_SF_SF_EESJ_SZ_SK_SL_SM_EUlSZ_E0_NS1_11comp_targetILNS1_3genE3ELNS1_11target_archE908ELNS1_3gpuE7ELNS1_3repE0EEENS1_38merge_mergepath_config_static_selectorELNS0_4arch9wavefront6targetE1EEEvSL_,"axG",@progbits,_ZN7rocprim17ROCPRIM_400000_NS6detail17trampoline_kernelINS0_14default_configENS1_38merge_sort_block_merge_config_selectorIsNS0_10empty_typeEEEZZNS1_27merge_sort_block_merge_implIS3_N6thrust23THRUST_200600_302600_NS6detail15normal_iteratorINS9_10device_ptrIsEEEEPS5_jNS1_19radix_merge_compareILb0ELb0EsNS0_19identity_decomposerEEEEE10hipError_tT0_T1_T2_jT3_P12ihipStream_tbPNSt15iterator_traitsISK_E10value_typeEPNSQ_ISL_E10value_typeEPSM_NS1_7vsmem_tEENKUlT_SK_SL_SM_E_clIPsSE_SF_SF_EESJ_SZ_SK_SL_SM_EUlSZ_E0_NS1_11comp_targetILNS1_3genE3ELNS1_11target_archE908ELNS1_3gpuE7ELNS1_3repE0EEENS1_38merge_mergepath_config_static_selectorELNS0_4arch9wavefront6targetE1EEEvSL_,comdat
.Lfunc_end1830:
	.size	_ZN7rocprim17ROCPRIM_400000_NS6detail17trampoline_kernelINS0_14default_configENS1_38merge_sort_block_merge_config_selectorIsNS0_10empty_typeEEEZZNS1_27merge_sort_block_merge_implIS3_N6thrust23THRUST_200600_302600_NS6detail15normal_iteratorINS9_10device_ptrIsEEEEPS5_jNS1_19radix_merge_compareILb0ELb0EsNS0_19identity_decomposerEEEEE10hipError_tT0_T1_T2_jT3_P12ihipStream_tbPNSt15iterator_traitsISK_E10value_typeEPNSQ_ISL_E10value_typeEPSM_NS1_7vsmem_tEENKUlT_SK_SL_SM_E_clIPsSE_SF_SF_EESJ_SZ_SK_SL_SM_EUlSZ_E0_NS1_11comp_targetILNS1_3genE3ELNS1_11target_archE908ELNS1_3gpuE7ELNS1_3repE0EEENS1_38merge_mergepath_config_static_selectorELNS0_4arch9wavefront6targetE1EEEvSL_, .Lfunc_end1830-_ZN7rocprim17ROCPRIM_400000_NS6detail17trampoline_kernelINS0_14default_configENS1_38merge_sort_block_merge_config_selectorIsNS0_10empty_typeEEEZZNS1_27merge_sort_block_merge_implIS3_N6thrust23THRUST_200600_302600_NS6detail15normal_iteratorINS9_10device_ptrIsEEEEPS5_jNS1_19radix_merge_compareILb0ELb0EsNS0_19identity_decomposerEEEEE10hipError_tT0_T1_T2_jT3_P12ihipStream_tbPNSt15iterator_traitsISK_E10value_typeEPNSQ_ISL_E10value_typeEPSM_NS1_7vsmem_tEENKUlT_SK_SL_SM_E_clIPsSE_SF_SF_EESJ_SZ_SK_SL_SM_EUlSZ_E0_NS1_11comp_targetILNS1_3genE3ELNS1_11target_archE908ELNS1_3gpuE7ELNS1_3repE0EEENS1_38merge_mergepath_config_static_selectorELNS0_4arch9wavefront6targetE1EEEvSL_
                                        ; -- End function
	.section	.AMDGPU.csdata,"",@progbits
; Kernel info:
; codeLenInByte = 0
; NumSgprs: 6
; NumVgprs: 0
; NumAgprs: 0
; TotalNumVgprs: 0
; ScratchSize: 0
; MemoryBound: 0
; FloatMode: 240
; IeeeMode: 1
; LDSByteSize: 0 bytes/workgroup (compile time only)
; SGPRBlocks: 0
; VGPRBlocks: 0
; NumSGPRsForWavesPerEU: 6
; NumVGPRsForWavesPerEU: 1
; AccumOffset: 4
; Occupancy: 8
; WaveLimiterHint : 0
; COMPUTE_PGM_RSRC2:SCRATCH_EN: 0
; COMPUTE_PGM_RSRC2:USER_SGPR: 2
; COMPUTE_PGM_RSRC2:TRAP_HANDLER: 0
; COMPUTE_PGM_RSRC2:TGID_X_EN: 1
; COMPUTE_PGM_RSRC2:TGID_Y_EN: 0
; COMPUTE_PGM_RSRC2:TGID_Z_EN: 0
; COMPUTE_PGM_RSRC2:TIDIG_COMP_CNT: 0
; COMPUTE_PGM_RSRC3_GFX90A:ACCUM_OFFSET: 0
; COMPUTE_PGM_RSRC3_GFX90A:TG_SPLIT: 0
	.section	.text._ZN7rocprim17ROCPRIM_400000_NS6detail17trampoline_kernelINS0_14default_configENS1_38merge_sort_block_merge_config_selectorIsNS0_10empty_typeEEEZZNS1_27merge_sort_block_merge_implIS3_N6thrust23THRUST_200600_302600_NS6detail15normal_iteratorINS9_10device_ptrIsEEEEPS5_jNS1_19radix_merge_compareILb0ELb0EsNS0_19identity_decomposerEEEEE10hipError_tT0_T1_T2_jT3_P12ihipStream_tbPNSt15iterator_traitsISK_E10value_typeEPNSQ_ISL_E10value_typeEPSM_NS1_7vsmem_tEENKUlT_SK_SL_SM_E_clIPsSE_SF_SF_EESJ_SZ_SK_SL_SM_EUlSZ_E0_NS1_11comp_targetILNS1_3genE2ELNS1_11target_archE906ELNS1_3gpuE6ELNS1_3repE0EEENS1_38merge_mergepath_config_static_selectorELNS0_4arch9wavefront6targetE1EEEvSL_,"axG",@progbits,_ZN7rocprim17ROCPRIM_400000_NS6detail17trampoline_kernelINS0_14default_configENS1_38merge_sort_block_merge_config_selectorIsNS0_10empty_typeEEEZZNS1_27merge_sort_block_merge_implIS3_N6thrust23THRUST_200600_302600_NS6detail15normal_iteratorINS9_10device_ptrIsEEEEPS5_jNS1_19radix_merge_compareILb0ELb0EsNS0_19identity_decomposerEEEEE10hipError_tT0_T1_T2_jT3_P12ihipStream_tbPNSt15iterator_traitsISK_E10value_typeEPNSQ_ISL_E10value_typeEPSM_NS1_7vsmem_tEENKUlT_SK_SL_SM_E_clIPsSE_SF_SF_EESJ_SZ_SK_SL_SM_EUlSZ_E0_NS1_11comp_targetILNS1_3genE2ELNS1_11target_archE906ELNS1_3gpuE6ELNS1_3repE0EEENS1_38merge_mergepath_config_static_selectorELNS0_4arch9wavefront6targetE1EEEvSL_,comdat
	.protected	_ZN7rocprim17ROCPRIM_400000_NS6detail17trampoline_kernelINS0_14default_configENS1_38merge_sort_block_merge_config_selectorIsNS0_10empty_typeEEEZZNS1_27merge_sort_block_merge_implIS3_N6thrust23THRUST_200600_302600_NS6detail15normal_iteratorINS9_10device_ptrIsEEEEPS5_jNS1_19radix_merge_compareILb0ELb0EsNS0_19identity_decomposerEEEEE10hipError_tT0_T1_T2_jT3_P12ihipStream_tbPNSt15iterator_traitsISK_E10value_typeEPNSQ_ISL_E10value_typeEPSM_NS1_7vsmem_tEENKUlT_SK_SL_SM_E_clIPsSE_SF_SF_EESJ_SZ_SK_SL_SM_EUlSZ_E0_NS1_11comp_targetILNS1_3genE2ELNS1_11target_archE906ELNS1_3gpuE6ELNS1_3repE0EEENS1_38merge_mergepath_config_static_selectorELNS0_4arch9wavefront6targetE1EEEvSL_ ; -- Begin function _ZN7rocprim17ROCPRIM_400000_NS6detail17trampoline_kernelINS0_14default_configENS1_38merge_sort_block_merge_config_selectorIsNS0_10empty_typeEEEZZNS1_27merge_sort_block_merge_implIS3_N6thrust23THRUST_200600_302600_NS6detail15normal_iteratorINS9_10device_ptrIsEEEEPS5_jNS1_19radix_merge_compareILb0ELb0EsNS0_19identity_decomposerEEEEE10hipError_tT0_T1_T2_jT3_P12ihipStream_tbPNSt15iterator_traitsISK_E10value_typeEPNSQ_ISL_E10value_typeEPSM_NS1_7vsmem_tEENKUlT_SK_SL_SM_E_clIPsSE_SF_SF_EESJ_SZ_SK_SL_SM_EUlSZ_E0_NS1_11comp_targetILNS1_3genE2ELNS1_11target_archE906ELNS1_3gpuE6ELNS1_3repE0EEENS1_38merge_mergepath_config_static_selectorELNS0_4arch9wavefront6targetE1EEEvSL_
	.globl	_ZN7rocprim17ROCPRIM_400000_NS6detail17trampoline_kernelINS0_14default_configENS1_38merge_sort_block_merge_config_selectorIsNS0_10empty_typeEEEZZNS1_27merge_sort_block_merge_implIS3_N6thrust23THRUST_200600_302600_NS6detail15normal_iteratorINS9_10device_ptrIsEEEEPS5_jNS1_19radix_merge_compareILb0ELb0EsNS0_19identity_decomposerEEEEE10hipError_tT0_T1_T2_jT3_P12ihipStream_tbPNSt15iterator_traitsISK_E10value_typeEPNSQ_ISL_E10value_typeEPSM_NS1_7vsmem_tEENKUlT_SK_SL_SM_E_clIPsSE_SF_SF_EESJ_SZ_SK_SL_SM_EUlSZ_E0_NS1_11comp_targetILNS1_3genE2ELNS1_11target_archE906ELNS1_3gpuE6ELNS1_3repE0EEENS1_38merge_mergepath_config_static_selectorELNS0_4arch9wavefront6targetE1EEEvSL_
	.p2align	8
	.type	_ZN7rocprim17ROCPRIM_400000_NS6detail17trampoline_kernelINS0_14default_configENS1_38merge_sort_block_merge_config_selectorIsNS0_10empty_typeEEEZZNS1_27merge_sort_block_merge_implIS3_N6thrust23THRUST_200600_302600_NS6detail15normal_iteratorINS9_10device_ptrIsEEEEPS5_jNS1_19radix_merge_compareILb0ELb0EsNS0_19identity_decomposerEEEEE10hipError_tT0_T1_T2_jT3_P12ihipStream_tbPNSt15iterator_traitsISK_E10value_typeEPNSQ_ISL_E10value_typeEPSM_NS1_7vsmem_tEENKUlT_SK_SL_SM_E_clIPsSE_SF_SF_EESJ_SZ_SK_SL_SM_EUlSZ_E0_NS1_11comp_targetILNS1_3genE2ELNS1_11target_archE906ELNS1_3gpuE6ELNS1_3repE0EEENS1_38merge_mergepath_config_static_selectorELNS0_4arch9wavefront6targetE1EEEvSL_,@function
_ZN7rocprim17ROCPRIM_400000_NS6detail17trampoline_kernelINS0_14default_configENS1_38merge_sort_block_merge_config_selectorIsNS0_10empty_typeEEEZZNS1_27merge_sort_block_merge_implIS3_N6thrust23THRUST_200600_302600_NS6detail15normal_iteratorINS9_10device_ptrIsEEEEPS5_jNS1_19radix_merge_compareILb0ELb0EsNS0_19identity_decomposerEEEEE10hipError_tT0_T1_T2_jT3_P12ihipStream_tbPNSt15iterator_traitsISK_E10value_typeEPNSQ_ISL_E10value_typeEPSM_NS1_7vsmem_tEENKUlT_SK_SL_SM_E_clIPsSE_SF_SF_EESJ_SZ_SK_SL_SM_EUlSZ_E0_NS1_11comp_targetILNS1_3genE2ELNS1_11target_archE906ELNS1_3gpuE6ELNS1_3repE0EEENS1_38merge_mergepath_config_static_selectorELNS0_4arch9wavefront6targetE1EEEvSL_: ; @_ZN7rocprim17ROCPRIM_400000_NS6detail17trampoline_kernelINS0_14default_configENS1_38merge_sort_block_merge_config_selectorIsNS0_10empty_typeEEEZZNS1_27merge_sort_block_merge_implIS3_N6thrust23THRUST_200600_302600_NS6detail15normal_iteratorINS9_10device_ptrIsEEEEPS5_jNS1_19radix_merge_compareILb0ELb0EsNS0_19identity_decomposerEEEEE10hipError_tT0_T1_T2_jT3_P12ihipStream_tbPNSt15iterator_traitsISK_E10value_typeEPNSQ_ISL_E10value_typeEPSM_NS1_7vsmem_tEENKUlT_SK_SL_SM_E_clIPsSE_SF_SF_EESJ_SZ_SK_SL_SM_EUlSZ_E0_NS1_11comp_targetILNS1_3genE2ELNS1_11target_archE906ELNS1_3gpuE6ELNS1_3repE0EEENS1_38merge_mergepath_config_static_selectorELNS0_4arch9wavefront6targetE1EEEvSL_
; %bb.0:
	.section	.rodata,"a",@progbits
	.p2align	6, 0x0
	.amdhsa_kernel _ZN7rocprim17ROCPRIM_400000_NS6detail17trampoline_kernelINS0_14default_configENS1_38merge_sort_block_merge_config_selectorIsNS0_10empty_typeEEEZZNS1_27merge_sort_block_merge_implIS3_N6thrust23THRUST_200600_302600_NS6detail15normal_iteratorINS9_10device_ptrIsEEEEPS5_jNS1_19radix_merge_compareILb0ELb0EsNS0_19identity_decomposerEEEEE10hipError_tT0_T1_T2_jT3_P12ihipStream_tbPNSt15iterator_traitsISK_E10value_typeEPNSQ_ISL_E10value_typeEPSM_NS1_7vsmem_tEENKUlT_SK_SL_SM_E_clIPsSE_SF_SF_EESJ_SZ_SK_SL_SM_EUlSZ_E0_NS1_11comp_targetILNS1_3genE2ELNS1_11target_archE906ELNS1_3gpuE6ELNS1_3repE0EEENS1_38merge_mergepath_config_static_selectorELNS0_4arch9wavefront6targetE1EEEvSL_
		.amdhsa_group_segment_fixed_size 0
		.amdhsa_private_segment_fixed_size 0
		.amdhsa_kernarg_size 64
		.amdhsa_user_sgpr_count 2
		.amdhsa_user_sgpr_dispatch_ptr 0
		.amdhsa_user_sgpr_queue_ptr 0
		.amdhsa_user_sgpr_kernarg_segment_ptr 1
		.amdhsa_user_sgpr_dispatch_id 0
		.amdhsa_user_sgpr_kernarg_preload_length 0
		.amdhsa_user_sgpr_kernarg_preload_offset 0
		.amdhsa_user_sgpr_private_segment_size 0
		.amdhsa_uses_dynamic_stack 0
		.amdhsa_enable_private_segment 0
		.amdhsa_system_sgpr_workgroup_id_x 1
		.amdhsa_system_sgpr_workgroup_id_y 0
		.amdhsa_system_sgpr_workgroup_id_z 0
		.amdhsa_system_sgpr_workgroup_info 0
		.amdhsa_system_vgpr_workitem_id 0
		.amdhsa_next_free_vgpr 1
		.amdhsa_next_free_sgpr 0
		.amdhsa_accum_offset 4
		.amdhsa_reserve_vcc 0
		.amdhsa_float_round_mode_32 0
		.amdhsa_float_round_mode_16_64 0
		.amdhsa_float_denorm_mode_32 3
		.amdhsa_float_denorm_mode_16_64 3
		.amdhsa_dx10_clamp 1
		.amdhsa_ieee_mode 1
		.amdhsa_fp16_overflow 0
		.amdhsa_tg_split 0
		.amdhsa_exception_fp_ieee_invalid_op 0
		.amdhsa_exception_fp_denorm_src 0
		.amdhsa_exception_fp_ieee_div_zero 0
		.amdhsa_exception_fp_ieee_overflow 0
		.amdhsa_exception_fp_ieee_underflow 0
		.amdhsa_exception_fp_ieee_inexact 0
		.amdhsa_exception_int_div_zero 0
	.end_amdhsa_kernel
	.section	.text._ZN7rocprim17ROCPRIM_400000_NS6detail17trampoline_kernelINS0_14default_configENS1_38merge_sort_block_merge_config_selectorIsNS0_10empty_typeEEEZZNS1_27merge_sort_block_merge_implIS3_N6thrust23THRUST_200600_302600_NS6detail15normal_iteratorINS9_10device_ptrIsEEEEPS5_jNS1_19radix_merge_compareILb0ELb0EsNS0_19identity_decomposerEEEEE10hipError_tT0_T1_T2_jT3_P12ihipStream_tbPNSt15iterator_traitsISK_E10value_typeEPNSQ_ISL_E10value_typeEPSM_NS1_7vsmem_tEENKUlT_SK_SL_SM_E_clIPsSE_SF_SF_EESJ_SZ_SK_SL_SM_EUlSZ_E0_NS1_11comp_targetILNS1_3genE2ELNS1_11target_archE906ELNS1_3gpuE6ELNS1_3repE0EEENS1_38merge_mergepath_config_static_selectorELNS0_4arch9wavefront6targetE1EEEvSL_,"axG",@progbits,_ZN7rocprim17ROCPRIM_400000_NS6detail17trampoline_kernelINS0_14default_configENS1_38merge_sort_block_merge_config_selectorIsNS0_10empty_typeEEEZZNS1_27merge_sort_block_merge_implIS3_N6thrust23THRUST_200600_302600_NS6detail15normal_iteratorINS9_10device_ptrIsEEEEPS5_jNS1_19radix_merge_compareILb0ELb0EsNS0_19identity_decomposerEEEEE10hipError_tT0_T1_T2_jT3_P12ihipStream_tbPNSt15iterator_traitsISK_E10value_typeEPNSQ_ISL_E10value_typeEPSM_NS1_7vsmem_tEENKUlT_SK_SL_SM_E_clIPsSE_SF_SF_EESJ_SZ_SK_SL_SM_EUlSZ_E0_NS1_11comp_targetILNS1_3genE2ELNS1_11target_archE906ELNS1_3gpuE6ELNS1_3repE0EEENS1_38merge_mergepath_config_static_selectorELNS0_4arch9wavefront6targetE1EEEvSL_,comdat
.Lfunc_end1831:
	.size	_ZN7rocprim17ROCPRIM_400000_NS6detail17trampoline_kernelINS0_14default_configENS1_38merge_sort_block_merge_config_selectorIsNS0_10empty_typeEEEZZNS1_27merge_sort_block_merge_implIS3_N6thrust23THRUST_200600_302600_NS6detail15normal_iteratorINS9_10device_ptrIsEEEEPS5_jNS1_19radix_merge_compareILb0ELb0EsNS0_19identity_decomposerEEEEE10hipError_tT0_T1_T2_jT3_P12ihipStream_tbPNSt15iterator_traitsISK_E10value_typeEPNSQ_ISL_E10value_typeEPSM_NS1_7vsmem_tEENKUlT_SK_SL_SM_E_clIPsSE_SF_SF_EESJ_SZ_SK_SL_SM_EUlSZ_E0_NS1_11comp_targetILNS1_3genE2ELNS1_11target_archE906ELNS1_3gpuE6ELNS1_3repE0EEENS1_38merge_mergepath_config_static_selectorELNS0_4arch9wavefront6targetE1EEEvSL_, .Lfunc_end1831-_ZN7rocprim17ROCPRIM_400000_NS6detail17trampoline_kernelINS0_14default_configENS1_38merge_sort_block_merge_config_selectorIsNS0_10empty_typeEEEZZNS1_27merge_sort_block_merge_implIS3_N6thrust23THRUST_200600_302600_NS6detail15normal_iteratorINS9_10device_ptrIsEEEEPS5_jNS1_19radix_merge_compareILb0ELb0EsNS0_19identity_decomposerEEEEE10hipError_tT0_T1_T2_jT3_P12ihipStream_tbPNSt15iterator_traitsISK_E10value_typeEPNSQ_ISL_E10value_typeEPSM_NS1_7vsmem_tEENKUlT_SK_SL_SM_E_clIPsSE_SF_SF_EESJ_SZ_SK_SL_SM_EUlSZ_E0_NS1_11comp_targetILNS1_3genE2ELNS1_11target_archE906ELNS1_3gpuE6ELNS1_3repE0EEENS1_38merge_mergepath_config_static_selectorELNS0_4arch9wavefront6targetE1EEEvSL_
                                        ; -- End function
	.section	.AMDGPU.csdata,"",@progbits
; Kernel info:
; codeLenInByte = 0
; NumSgprs: 6
; NumVgprs: 0
; NumAgprs: 0
; TotalNumVgprs: 0
; ScratchSize: 0
; MemoryBound: 0
; FloatMode: 240
; IeeeMode: 1
; LDSByteSize: 0 bytes/workgroup (compile time only)
; SGPRBlocks: 0
; VGPRBlocks: 0
; NumSGPRsForWavesPerEU: 6
; NumVGPRsForWavesPerEU: 1
; AccumOffset: 4
; Occupancy: 8
; WaveLimiterHint : 0
; COMPUTE_PGM_RSRC2:SCRATCH_EN: 0
; COMPUTE_PGM_RSRC2:USER_SGPR: 2
; COMPUTE_PGM_RSRC2:TRAP_HANDLER: 0
; COMPUTE_PGM_RSRC2:TGID_X_EN: 1
; COMPUTE_PGM_RSRC2:TGID_Y_EN: 0
; COMPUTE_PGM_RSRC2:TGID_Z_EN: 0
; COMPUTE_PGM_RSRC2:TIDIG_COMP_CNT: 0
; COMPUTE_PGM_RSRC3_GFX90A:ACCUM_OFFSET: 0
; COMPUTE_PGM_RSRC3_GFX90A:TG_SPLIT: 0
	.section	.text._ZN7rocprim17ROCPRIM_400000_NS6detail17trampoline_kernelINS0_14default_configENS1_38merge_sort_block_merge_config_selectorIsNS0_10empty_typeEEEZZNS1_27merge_sort_block_merge_implIS3_N6thrust23THRUST_200600_302600_NS6detail15normal_iteratorINS9_10device_ptrIsEEEEPS5_jNS1_19radix_merge_compareILb0ELb0EsNS0_19identity_decomposerEEEEE10hipError_tT0_T1_T2_jT3_P12ihipStream_tbPNSt15iterator_traitsISK_E10value_typeEPNSQ_ISL_E10value_typeEPSM_NS1_7vsmem_tEENKUlT_SK_SL_SM_E_clIPsSE_SF_SF_EESJ_SZ_SK_SL_SM_EUlSZ_E0_NS1_11comp_targetILNS1_3genE9ELNS1_11target_archE1100ELNS1_3gpuE3ELNS1_3repE0EEENS1_38merge_mergepath_config_static_selectorELNS0_4arch9wavefront6targetE1EEEvSL_,"axG",@progbits,_ZN7rocprim17ROCPRIM_400000_NS6detail17trampoline_kernelINS0_14default_configENS1_38merge_sort_block_merge_config_selectorIsNS0_10empty_typeEEEZZNS1_27merge_sort_block_merge_implIS3_N6thrust23THRUST_200600_302600_NS6detail15normal_iteratorINS9_10device_ptrIsEEEEPS5_jNS1_19radix_merge_compareILb0ELb0EsNS0_19identity_decomposerEEEEE10hipError_tT0_T1_T2_jT3_P12ihipStream_tbPNSt15iterator_traitsISK_E10value_typeEPNSQ_ISL_E10value_typeEPSM_NS1_7vsmem_tEENKUlT_SK_SL_SM_E_clIPsSE_SF_SF_EESJ_SZ_SK_SL_SM_EUlSZ_E0_NS1_11comp_targetILNS1_3genE9ELNS1_11target_archE1100ELNS1_3gpuE3ELNS1_3repE0EEENS1_38merge_mergepath_config_static_selectorELNS0_4arch9wavefront6targetE1EEEvSL_,comdat
	.protected	_ZN7rocprim17ROCPRIM_400000_NS6detail17trampoline_kernelINS0_14default_configENS1_38merge_sort_block_merge_config_selectorIsNS0_10empty_typeEEEZZNS1_27merge_sort_block_merge_implIS3_N6thrust23THRUST_200600_302600_NS6detail15normal_iteratorINS9_10device_ptrIsEEEEPS5_jNS1_19radix_merge_compareILb0ELb0EsNS0_19identity_decomposerEEEEE10hipError_tT0_T1_T2_jT3_P12ihipStream_tbPNSt15iterator_traitsISK_E10value_typeEPNSQ_ISL_E10value_typeEPSM_NS1_7vsmem_tEENKUlT_SK_SL_SM_E_clIPsSE_SF_SF_EESJ_SZ_SK_SL_SM_EUlSZ_E0_NS1_11comp_targetILNS1_3genE9ELNS1_11target_archE1100ELNS1_3gpuE3ELNS1_3repE0EEENS1_38merge_mergepath_config_static_selectorELNS0_4arch9wavefront6targetE1EEEvSL_ ; -- Begin function _ZN7rocprim17ROCPRIM_400000_NS6detail17trampoline_kernelINS0_14default_configENS1_38merge_sort_block_merge_config_selectorIsNS0_10empty_typeEEEZZNS1_27merge_sort_block_merge_implIS3_N6thrust23THRUST_200600_302600_NS6detail15normal_iteratorINS9_10device_ptrIsEEEEPS5_jNS1_19radix_merge_compareILb0ELb0EsNS0_19identity_decomposerEEEEE10hipError_tT0_T1_T2_jT3_P12ihipStream_tbPNSt15iterator_traitsISK_E10value_typeEPNSQ_ISL_E10value_typeEPSM_NS1_7vsmem_tEENKUlT_SK_SL_SM_E_clIPsSE_SF_SF_EESJ_SZ_SK_SL_SM_EUlSZ_E0_NS1_11comp_targetILNS1_3genE9ELNS1_11target_archE1100ELNS1_3gpuE3ELNS1_3repE0EEENS1_38merge_mergepath_config_static_selectorELNS0_4arch9wavefront6targetE1EEEvSL_
	.globl	_ZN7rocprim17ROCPRIM_400000_NS6detail17trampoline_kernelINS0_14default_configENS1_38merge_sort_block_merge_config_selectorIsNS0_10empty_typeEEEZZNS1_27merge_sort_block_merge_implIS3_N6thrust23THRUST_200600_302600_NS6detail15normal_iteratorINS9_10device_ptrIsEEEEPS5_jNS1_19radix_merge_compareILb0ELb0EsNS0_19identity_decomposerEEEEE10hipError_tT0_T1_T2_jT3_P12ihipStream_tbPNSt15iterator_traitsISK_E10value_typeEPNSQ_ISL_E10value_typeEPSM_NS1_7vsmem_tEENKUlT_SK_SL_SM_E_clIPsSE_SF_SF_EESJ_SZ_SK_SL_SM_EUlSZ_E0_NS1_11comp_targetILNS1_3genE9ELNS1_11target_archE1100ELNS1_3gpuE3ELNS1_3repE0EEENS1_38merge_mergepath_config_static_selectorELNS0_4arch9wavefront6targetE1EEEvSL_
	.p2align	8
	.type	_ZN7rocprim17ROCPRIM_400000_NS6detail17trampoline_kernelINS0_14default_configENS1_38merge_sort_block_merge_config_selectorIsNS0_10empty_typeEEEZZNS1_27merge_sort_block_merge_implIS3_N6thrust23THRUST_200600_302600_NS6detail15normal_iteratorINS9_10device_ptrIsEEEEPS5_jNS1_19radix_merge_compareILb0ELb0EsNS0_19identity_decomposerEEEEE10hipError_tT0_T1_T2_jT3_P12ihipStream_tbPNSt15iterator_traitsISK_E10value_typeEPNSQ_ISL_E10value_typeEPSM_NS1_7vsmem_tEENKUlT_SK_SL_SM_E_clIPsSE_SF_SF_EESJ_SZ_SK_SL_SM_EUlSZ_E0_NS1_11comp_targetILNS1_3genE9ELNS1_11target_archE1100ELNS1_3gpuE3ELNS1_3repE0EEENS1_38merge_mergepath_config_static_selectorELNS0_4arch9wavefront6targetE1EEEvSL_,@function
_ZN7rocprim17ROCPRIM_400000_NS6detail17trampoline_kernelINS0_14default_configENS1_38merge_sort_block_merge_config_selectorIsNS0_10empty_typeEEEZZNS1_27merge_sort_block_merge_implIS3_N6thrust23THRUST_200600_302600_NS6detail15normal_iteratorINS9_10device_ptrIsEEEEPS5_jNS1_19radix_merge_compareILb0ELb0EsNS0_19identity_decomposerEEEEE10hipError_tT0_T1_T2_jT3_P12ihipStream_tbPNSt15iterator_traitsISK_E10value_typeEPNSQ_ISL_E10value_typeEPSM_NS1_7vsmem_tEENKUlT_SK_SL_SM_E_clIPsSE_SF_SF_EESJ_SZ_SK_SL_SM_EUlSZ_E0_NS1_11comp_targetILNS1_3genE9ELNS1_11target_archE1100ELNS1_3gpuE3ELNS1_3repE0EEENS1_38merge_mergepath_config_static_selectorELNS0_4arch9wavefront6targetE1EEEvSL_: ; @_ZN7rocprim17ROCPRIM_400000_NS6detail17trampoline_kernelINS0_14default_configENS1_38merge_sort_block_merge_config_selectorIsNS0_10empty_typeEEEZZNS1_27merge_sort_block_merge_implIS3_N6thrust23THRUST_200600_302600_NS6detail15normal_iteratorINS9_10device_ptrIsEEEEPS5_jNS1_19radix_merge_compareILb0ELb0EsNS0_19identity_decomposerEEEEE10hipError_tT0_T1_T2_jT3_P12ihipStream_tbPNSt15iterator_traitsISK_E10value_typeEPNSQ_ISL_E10value_typeEPSM_NS1_7vsmem_tEENKUlT_SK_SL_SM_E_clIPsSE_SF_SF_EESJ_SZ_SK_SL_SM_EUlSZ_E0_NS1_11comp_targetILNS1_3genE9ELNS1_11target_archE1100ELNS1_3gpuE3ELNS1_3repE0EEENS1_38merge_mergepath_config_static_selectorELNS0_4arch9wavefront6targetE1EEEvSL_
; %bb.0:
	.section	.rodata,"a",@progbits
	.p2align	6, 0x0
	.amdhsa_kernel _ZN7rocprim17ROCPRIM_400000_NS6detail17trampoline_kernelINS0_14default_configENS1_38merge_sort_block_merge_config_selectorIsNS0_10empty_typeEEEZZNS1_27merge_sort_block_merge_implIS3_N6thrust23THRUST_200600_302600_NS6detail15normal_iteratorINS9_10device_ptrIsEEEEPS5_jNS1_19radix_merge_compareILb0ELb0EsNS0_19identity_decomposerEEEEE10hipError_tT0_T1_T2_jT3_P12ihipStream_tbPNSt15iterator_traitsISK_E10value_typeEPNSQ_ISL_E10value_typeEPSM_NS1_7vsmem_tEENKUlT_SK_SL_SM_E_clIPsSE_SF_SF_EESJ_SZ_SK_SL_SM_EUlSZ_E0_NS1_11comp_targetILNS1_3genE9ELNS1_11target_archE1100ELNS1_3gpuE3ELNS1_3repE0EEENS1_38merge_mergepath_config_static_selectorELNS0_4arch9wavefront6targetE1EEEvSL_
		.amdhsa_group_segment_fixed_size 0
		.amdhsa_private_segment_fixed_size 0
		.amdhsa_kernarg_size 64
		.amdhsa_user_sgpr_count 2
		.amdhsa_user_sgpr_dispatch_ptr 0
		.amdhsa_user_sgpr_queue_ptr 0
		.amdhsa_user_sgpr_kernarg_segment_ptr 1
		.amdhsa_user_sgpr_dispatch_id 0
		.amdhsa_user_sgpr_kernarg_preload_length 0
		.amdhsa_user_sgpr_kernarg_preload_offset 0
		.amdhsa_user_sgpr_private_segment_size 0
		.amdhsa_uses_dynamic_stack 0
		.amdhsa_enable_private_segment 0
		.amdhsa_system_sgpr_workgroup_id_x 1
		.amdhsa_system_sgpr_workgroup_id_y 0
		.amdhsa_system_sgpr_workgroup_id_z 0
		.amdhsa_system_sgpr_workgroup_info 0
		.amdhsa_system_vgpr_workitem_id 0
		.amdhsa_next_free_vgpr 1
		.amdhsa_next_free_sgpr 0
		.amdhsa_accum_offset 4
		.amdhsa_reserve_vcc 0
		.amdhsa_float_round_mode_32 0
		.amdhsa_float_round_mode_16_64 0
		.amdhsa_float_denorm_mode_32 3
		.amdhsa_float_denorm_mode_16_64 3
		.amdhsa_dx10_clamp 1
		.amdhsa_ieee_mode 1
		.amdhsa_fp16_overflow 0
		.amdhsa_tg_split 0
		.amdhsa_exception_fp_ieee_invalid_op 0
		.amdhsa_exception_fp_denorm_src 0
		.amdhsa_exception_fp_ieee_div_zero 0
		.amdhsa_exception_fp_ieee_overflow 0
		.amdhsa_exception_fp_ieee_underflow 0
		.amdhsa_exception_fp_ieee_inexact 0
		.amdhsa_exception_int_div_zero 0
	.end_amdhsa_kernel
	.section	.text._ZN7rocprim17ROCPRIM_400000_NS6detail17trampoline_kernelINS0_14default_configENS1_38merge_sort_block_merge_config_selectorIsNS0_10empty_typeEEEZZNS1_27merge_sort_block_merge_implIS3_N6thrust23THRUST_200600_302600_NS6detail15normal_iteratorINS9_10device_ptrIsEEEEPS5_jNS1_19radix_merge_compareILb0ELb0EsNS0_19identity_decomposerEEEEE10hipError_tT0_T1_T2_jT3_P12ihipStream_tbPNSt15iterator_traitsISK_E10value_typeEPNSQ_ISL_E10value_typeEPSM_NS1_7vsmem_tEENKUlT_SK_SL_SM_E_clIPsSE_SF_SF_EESJ_SZ_SK_SL_SM_EUlSZ_E0_NS1_11comp_targetILNS1_3genE9ELNS1_11target_archE1100ELNS1_3gpuE3ELNS1_3repE0EEENS1_38merge_mergepath_config_static_selectorELNS0_4arch9wavefront6targetE1EEEvSL_,"axG",@progbits,_ZN7rocprim17ROCPRIM_400000_NS6detail17trampoline_kernelINS0_14default_configENS1_38merge_sort_block_merge_config_selectorIsNS0_10empty_typeEEEZZNS1_27merge_sort_block_merge_implIS3_N6thrust23THRUST_200600_302600_NS6detail15normal_iteratorINS9_10device_ptrIsEEEEPS5_jNS1_19radix_merge_compareILb0ELb0EsNS0_19identity_decomposerEEEEE10hipError_tT0_T1_T2_jT3_P12ihipStream_tbPNSt15iterator_traitsISK_E10value_typeEPNSQ_ISL_E10value_typeEPSM_NS1_7vsmem_tEENKUlT_SK_SL_SM_E_clIPsSE_SF_SF_EESJ_SZ_SK_SL_SM_EUlSZ_E0_NS1_11comp_targetILNS1_3genE9ELNS1_11target_archE1100ELNS1_3gpuE3ELNS1_3repE0EEENS1_38merge_mergepath_config_static_selectorELNS0_4arch9wavefront6targetE1EEEvSL_,comdat
.Lfunc_end1832:
	.size	_ZN7rocprim17ROCPRIM_400000_NS6detail17trampoline_kernelINS0_14default_configENS1_38merge_sort_block_merge_config_selectorIsNS0_10empty_typeEEEZZNS1_27merge_sort_block_merge_implIS3_N6thrust23THRUST_200600_302600_NS6detail15normal_iteratorINS9_10device_ptrIsEEEEPS5_jNS1_19radix_merge_compareILb0ELb0EsNS0_19identity_decomposerEEEEE10hipError_tT0_T1_T2_jT3_P12ihipStream_tbPNSt15iterator_traitsISK_E10value_typeEPNSQ_ISL_E10value_typeEPSM_NS1_7vsmem_tEENKUlT_SK_SL_SM_E_clIPsSE_SF_SF_EESJ_SZ_SK_SL_SM_EUlSZ_E0_NS1_11comp_targetILNS1_3genE9ELNS1_11target_archE1100ELNS1_3gpuE3ELNS1_3repE0EEENS1_38merge_mergepath_config_static_selectorELNS0_4arch9wavefront6targetE1EEEvSL_, .Lfunc_end1832-_ZN7rocprim17ROCPRIM_400000_NS6detail17trampoline_kernelINS0_14default_configENS1_38merge_sort_block_merge_config_selectorIsNS0_10empty_typeEEEZZNS1_27merge_sort_block_merge_implIS3_N6thrust23THRUST_200600_302600_NS6detail15normal_iteratorINS9_10device_ptrIsEEEEPS5_jNS1_19radix_merge_compareILb0ELb0EsNS0_19identity_decomposerEEEEE10hipError_tT0_T1_T2_jT3_P12ihipStream_tbPNSt15iterator_traitsISK_E10value_typeEPNSQ_ISL_E10value_typeEPSM_NS1_7vsmem_tEENKUlT_SK_SL_SM_E_clIPsSE_SF_SF_EESJ_SZ_SK_SL_SM_EUlSZ_E0_NS1_11comp_targetILNS1_3genE9ELNS1_11target_archE1100ELNS1_3gpuE3ELNS1_3repE0EEENS1_38merge_mergepath_config_static_selectorELNS0_4arch9wavefront6targetE1EEEvSL_
                                        ; -- End function
	.section	.AMDGPU.csdata,"",@progbits
; Kernel info:
; codeLenInByte = 0
; NumSgprs: 6
; NumVgprs: 0
; NumAgprs: 0
; TotalNumVgprs: 0
; ScratchSize: 0
; MemoryBound: 0
; FloatMode: 240
; IeeeMode: 1
; LDSByteSize: 0 bytes/workgroup (compile time only)
; SGPRBlocks: 0
; VGPRBlocks: 0
; NumSGPRsForWavesPerEU: 6
; NumVGPRsForWavesPerEU: 1
; AccumOffset: 4
; Occupancy: 8
; WaveLimiterHint : 0
; COMPUTE_PGM_RSRC2:SCRATCH_EN: 0
; COMPUTE_PGM_RSRC2:USER_SGPR: 2
; COMPUTE_PGM_RSRC2:TRAP_HANDLER: 0
; COMPUTE_PGM_RSRC2:TGID_X_EN: 1
; COMPUTE_PGM_RSRC2:TGID_Y_EN: 0
; COMPUTE_PGM_RSRC2:TGID_Z_EN: 0
; COMPUTE_PGM_RSRC2:TIDIG_COMP_CNT: 0
; COMPUTE_PGM_RSRC3_GFX90A:ACCUM_OFFSET: 0
; COMPUTE_PGM_RSRC3_GFX90A:TG_SPLIT: 0
	.section	.text._ZN7rocprim17ROCPRIM_400000_NS6detail17trampoline_kernelINS0_14default_configENS1_38merge_sort_block_merge_config_selectorIsNS0_10empty_typeEEEZZNS1_27merge_sort_block_merge_implIS3_N6thrust23THRUST_200600_302600_NS6detail15normal_iteratorINS9_10device_ptrIsEEEEPS5_jNS1_19radix_merge_compareILb0ELb0EsNS0_19identity_decomposerEEEEE10hipError_tT0_T1_T2_jT3_P12ihipStream_tbPNSt15iterator_traitsISK_E10value_typeEPNSQ_ISL_E10value_typeEPSM_NS1_7vsmem_tEENKUlT_SK_SL_SM_E_clIPsSE_SF_SF_EESJ_SZ_SK_SL_SM_EUlSZ_E0_NS1_11comp_targetILNS1_3genE8ELNS1_11target_archE1030ELNS1_3gpuE2ELNS1_3repE0EEENS1_38merge_mergepath_config_static_selectorELNS0_4arch9wavefront6targetE1EEEvSL_,"axG",@progbits,_ZN7rocprim17ROCPRIM_400000_NS6detail17trampoline_kernelINS0_14default_configENS1_38merge_sort_block_merge_config_selectorIsNS0_10empty_typeEEEZZNS1_27merge_sort_block_merge_implIS3_N6thrust23THRUST_200600_302600_NS6detail15normal_iteratorINS9_10device_ptrIsEEEEPS5_jNS1_19radix_merge_compareILb0ELb0EsNS0_19identity_decomposerEEEEE10hipError_tT0_T1_T2_jT3_P12ihipStream_tbPNSt15iterator_traitsISK_E10value_typeEPNSQ_ISL_E10value_typeEPSM_NS1_7vsmem_tEENKUlT_SK_SL_SM_E_clIPsSE_SF_SF_EESJ_SZ_SK_SL_SM_EUlSZ_E0_NS1_11comp_targetILNS1_3genE8ELNS1_11target_archE1030ELNS1_3gpuE2ELNS1_3repE0EEENS1_38merge_mergepath_config_static_selectorELNS0_4arch9wavefront6targetE1EEEvSL_,comdat
	.protected	_ZN7rocprim17ROCPRIM_400000_NS6detail17trampoline_kernelINS0_14default_configENS1_38merge_sort_block_merge_config_selectorIsNS0_10empty_typeEEEZZNS1_27merge_sort_block_merge_implIS3_N6thrust23THRUST_200600_302600_NS6detail15normal_iteratorINS9_10device_ptrIsEEEEPS5_jNS1_19radix_merge_compareILb0ELb0EsNS0_19identity_decomposerEEEEE10hipError_tT0_T1_T2_jT3_P12ihipStream_tbPNSt15iterator_traitsISK_E10value_typeEPNSQ_ISL_E10value_typeEPSM_NS1_7vsmem_tEENKUlT_SK_SL_SM_E_clIPsSE_SF_SF_EESJ_SZ_SK_SL_SM_EUlSZ_E0_NS1_11comp_targetILNS1_3genE8ELNS1_11target_archE1030ELNS1_3gpuE2ELNS1_3repE0EEENS1_38merge_mergepath_config_static_selectorELNS0_4arch9wavefront6targetE1EEEvSL_ ; -- Begin function _ZN7rocprim17ROCPRIM_400000_NS6detail17trampoline_kernelINS0_14default_configENS1_38merge_sort_block_merge_config_selectorIsNS0_10empty_typeEEEZZNS1_27merge_sort_block_merge_implIS3_N6thrust23THRUST_200600_302600_NS6detail15normal_iteratorINS9_10device_ptrIsEEEEPS5_jNS1_19radix_merge_compareILb0ELb0EsNS0_19identity_decomposerEEEEE10hipError_tT0_T1_T2_jT3_P12ihipStream_tbPNSt15iterator_traitsISK_E10value_typeEPNSQ_ISL_E10value_typeEPSM_NS1_7vsmem_tEENKUlT_SK_SL_SM_E_clIPsSE_SF_SF_EESJ_SZ_SK_SL_SM_EUlSZ_E0_NS1_11comp_targetILNS1_3genE8ELNS1_11target_archE1030ELNS1_3gpuE2ELNS1_3repE0EEENS1_38merge_mergepath_config_static_selectorELNS0_4arch9wavefront6targetE1EEEvSL_
	.globl	_ZN7rocprim17ROCPRIM_400000_NS6detail17trampoline_kernelINS0_14default_configENS1_38merge_sort_block_merge_config_selectorIsNS0_10empty_typeEEEZZNS1_27merge_sort_block_merge_implIS3_N6thrust23THRUST_200600_302600_NS6detail15normal_iteratorINS9_10device_ptrIsEEEEPS5_jNS1_19radix_merge_compareILb0ELb0EsNS0_19identity_decomposerEEEEE10hipError_tT0_T1_T2_jT3_P12ihipStream_tbPNSt15iterator_traitsISK_E10value_typeEPNSQ_ISL_E10value_typeEPSM_NS1_7vsmem_tEENKUlT_SK_SL_SM_E_clIPsSE_SF_SF_EESJ_SZ_SK_SL_SM_EUlSZ_E0_NS1_11comp_targetILNS1_3genE8ELNS1_11target_archE1030ELNS1_3gpuE2ELNS1_3repE0EEENS1_38merge_mergepath_config_static_selectorELNS0_4arch9wavefront6targetE1EEEvSL_
	.p2align	8
	.type	_ZN7rocprim17ROCPRIM_400000_NS6detail17trampoline_kernelINS0_14default_configENS1_38merge_sort_block_merge_config_selectorIsNS0_10empty_typeEEEZZNS1_27merge_sort_block_merge_implIS3_N6thrust23THRUST_200600_302600_NS6detail15normal_iteratorINS9_10device_ptrIsEEEEPS5_jNS1_19radix_merge_compareILb0ELb0EsNS0_19identity_decomposerEEEEE10hipError_tT0_T1_T2_jT3_P12ihipStream_tbPNSt15iterator_traitsISK_E10value_typeEPNSQ_ISL_E10value_typeEPSM_NS1_7vsmem_tEENKUlT_SK_SL_SM_E_clIPsSE_SF_SF_EESJ_SZ_SK_SL_SM_EUlSZ_E0_NS1_11comp_targetILNS1_3genE8ELNS1_11target_archE1030ELNS1_3gpuE2ELNS1_3repE0EEENS1_38merge_mergepath_config_static_selectorELNS0_4arch9wavefront6targetE1EEEvSL_,@function
_ZN7rocprim17ROCPRIM_400000_NS6detail17trampoline_kernelINS0_14default_configENS1_38merge_sort_block_merge_config_selectorIsNS0_10empty_typeEEEZZNS1_27merge_sort_block_merge_implIS3_N6thrust23THRUST_200600_302600_NS6detail15normal_iteratorINS9_10device_ptrIsEEEEPS5_jNS1_19radix_merge_compareILb0ELb0EsNS0_19identity_decomposerEEEEE10hipError_tT0_T1_T2_jT3_P12ihipStream_tbPNSt15iterator_traitsISK_E10value_typeEPNSQ_ISL_E10value_typeEPSM_NS1_7vsmem_tEENKUlT_SK_SL_SM_E_clIPsSE_SF_SF_EESJ_SZ_SK_SL_SM_EUlSZ_E0_NS1_11comp_targetILNS1_3genE8ELNS1_11target_archE1030ELNS1_3gpuE2ELNS1_3repE0EEENS1_38merge_mergepath_config_static_selectorELNS0_4arch9wavefront6targetE1EEEvSL_: ; @_ZN7rocprim17ROCPRIM_400000_NS6detail17trampoline_kernelINS0_14default_configENS1_38merge_sort_block_merge_config_selectorIsNS0_10empty_typeEEEZZNS1_27merge_sort_block_merge_implIS3_N6thrust23THRUST_200600_302600_NS6detail15normal_iteratorINS9_10device_ptrIsEEEEPS5_jNS1_19radix_merge_compareILb0ELb0EsNS0_19identity_decomposerEEEEE10hipError_tT0_T1_T2_jT3_P12ihipStream_tbPNSt15iterator_traitsISK_E10value_typeEPNSQ_ISL_E10value_typeEPSM_NS1_7vsmem_tEENKUlT_SK_SL_SM_E_clIPsSE_SF_SF_EESJ_SZ_SK_SL_SM_EUlSZ_E0_NS1_11comp_targetILNS1_3genE8ELNS1_11target_archE1030ELNS1_3gpuE2ELNS1_3repE0EEENS1_38merge_mergepath_config_static_selectorELNS0_4arch9wavefront6targetE1EEEvSL_
; %bb.0:
	.section	.rodata,"a",@progbits
	.p2align	6, 0x0
	.amdhsa_kernel _ZN7rocprim17ROCPRIM_400000_NS6detail17trampoline_kernelINS0_14default_configENS1_38merge_sort_block_merge_config_selectorIsNS0_10empty_typeEEEZZNS1_27merge_sort_block_merge_implIS3_N6thrust23THRUST_200600_302600_NS6detail15normal_iteratorINS9_10device_ptrIsEEEEPS5_jNS1_19radix_merge_compareILb0ELb0EsNS0_19identity_decomposerEEEEE10hipError_tT0_T1_T2_jT3_P12ihipStream_tbPNSt15iterator_traitsISK_E10value_typeEPNSQ_ISL_E10value_typeEPSM_NS1_7vsmem_tEENKUlT_SK_SL_SM_E_clIPsSE_SF_SF_EESJ_SZ_SK_SL_SM_EUlSZ_E0_NS1_11comp_targetILNS1_3genE8ELNS1_11target_archE1030ELNS1_3gpuE2ELNS1_3repE0EEENS1_38merge_mergepath_config_static_selectorELNS0_4arch9wavefront6targetE1EEEvSL_
		.amdhsa_group_segment_fixed_size 0
		.amdhsa_private_segment_fixed_size 0
		.amdhsa_kernarg_size 64
		.amdhsa_user_sgpr_count 2
		.amdhsa_user_sgpr_dispatch_ptr 0
		.amdhsa_user_sgpr_queue_ptr 0
		.amdhsa_user_sgpr_kernarg_segment_ptr 1
		.amdhsa_user_sgpr_dispatch_id 0
		.amdhsa_user_sgpr_kernarg_preload_length 0
		.amdhsa_user_sgpr_kernarg_preload_offset 0
		.amdhsa_user_sgpr_private_segment_size 0
		.amdhsa_uses_dynamic_stack 0
		.amdhsa_enable_private_segment 0
		.amdhsa_system_sgpr_workgroup_id_x 1
		.amdhsa_system_sgpr_workgroup_id_y 0
		.amdhsa_system_sgpr_workgroup_id_z 0
		.amdhsa_system_sgpr_workgroup_info 0
		.amdhsa_system_vgpr_workitem_id 0
		.amdhsa_next_free_vgpr 1
		.amdhsa_next_free_sgpr 0
		.amdhsa_accum_offset 4
		.amdhsa_reserve_vcc 0
		.amdhsa_float_round_mode_32 0
		.amdhsa_float_round_mode_16_64 0
		.amdhsa_float_denorm_mode_32 3
		.amdhsa_float_denorm_mode_16_64 3
		.amdhsa_dx10_clamp 1
		.amdhsa_ieee_mode 1
		.amdhsa_fp16_overflow 0
		.amdhsa_tg_split 0
		.amdhsa_exception_fp_ieee_invalid_op 0
		.amdhsa_exception_fp_denorm_src 0
		.amdhsa_exception_fp_ieee_div_zero 0
		.amdhsa_exception_fp_ieee_overflow 0
		.amdhsa_exception_fp_ieee_underflow 0
		.amdhsa_exception_fp_ieee_inexact 0
		.amdhsa_exception_int_div_zero 0
	.end_amdhsa_kernel
	.section	.text._ZN7rocprim17ROCPRIM_400000_NS6detail17trampoline_kernelINS0_14default_configENS1_38merge_sort_block_merge_config_selectorIsNS0_10empty_typeEEEZZNS1_27merge_sort_block_merge_implIS3_N6thrust23THRUST_200600_302600_NS6detail15normal_iteratorINS9_10device_ptrIsEEEEPS5_jNS1_19radix_merge_compareILb0ELb0EsNS0_19identity_decomposerEEEEE10hipError_tT0_T1_T2_jT3_P12ihipStream_tbPNSt15iterator_traitsISK_E10value_typeEPNSQ_ISL_E10value_typeEPSM_NS1_7vsmem_tEENKUlT_SK_SL_SM_E_clIPsSE_SF_SF_EESJ_SZ_SK_SL_SM_EUlSZ_E0_NS1_11comp_targetILNS1_3genE8ELNS1_11target_archE1030ELNS1_3gpuE2ELNS1_3repE0EEENS1_38merge_mergepath_config_static_selectorELNS0_4arch9wavefront6targetE1EEEvSL_,"axG",@progbits,_ZN7rocprim17ROCPRIM_400000_NS6detail17trampoline_kernelINS0_14default_configENS1_38merge_sort_block_merge_config_selectorIsNS0_10empty_typeEEEZZNS1_27merge_sort_block_merge_implIS3_N6thrust23THRUST_200600_302600_NS6detail15normal_iteratorINS9_10device_ptrIsEEEEPS5_jNS1_19radix_merge_compareILb0ELb0EsNS0_19identity_decomposerEEEEE10hipError_tT0_T1_T2_jT3_P12ihipStream_tbPNSt15iterator_traitsISK_E10value_typeEPNSQ_ISL_E10value_typeEPSM_NS1_7vsmem_tEENKUlT_SK_SL_SM_E_clIPsSE_SF_SF_EESJ_SZ_SK_SL_SM_EUlSZ_E0_NS1_11comp_targetILNS1_3genE8ELNS1_11target_archE1030ELNS1_3gpuE2ELNS1_3repE0EEENS1_38merge_mergepath_config_static_selectorELNS0_4arch9wavefront6targetE1EEEvSL_,comdat
.Lfunc_end1833:
	.size	_ZN7rocprim17ROCPRIM_400000_NS6detail17trampoline_kernelINS0_14default_configENS1_38merge_sort_block_merge_config_selectorIsNS0_10empty_typeEEEZZNS1_27merge_sort_block_merge_implIS3_N6thrust23THRUST_200600_302600_NS6detail15normal_iteratorINS9_10device_ptrIsEEEEPS5_jNS1_19radix_merge_compareILb0ELb0EsNS0_19identity_decomposerEEEEE10hipError_tT0_T1_T2_jT3_P12ihipStream_tbPNSt15iterator_traitsISK_E10value_typeEPNSQ_ISL_E10value_typeEPSM_NS1_7vsmem_tEENKUlT_SK_SL_SM_E_clIPsSE_SF_SF_EESJ_SZ_SK_SL_SM_EUlSZ_E0_NS1_11comp_targetILNS1_3genE8ELNS1_11target_archE1030ELNS1_3gpuE2ELNS1_3repE0EEENS1_38merge_mergepath_config_static_selectorELNS0_4arch9wavefront6targetE1EEEvSL_, .Lfunc_end1833-_ZN7rocprim17ROCPRIM_400000_NS6detail17trampoline_kernelINS0_14default_configENS1_38merge_sort_block_merge_config_selectorIsNS0_10empty_typeEEEZZNS1_27merge_sort_block_merge_implIS3_N6thrust23THRUST_200600_302600_NS6detail15normal_iteratorINS9_10device_ptrIsEEEEPS5_jNS1_19radix_merge_compareILb0ELb0EsNS0_19identity_decomposerEEEEE10hipError_tT0_T1_T2_jT3_P12ihipStream_tbPNSt15iterator_traitsISK_E10value_typeEPNSQ_ISL_E10value_typeEPSM_NS1_7vsmem_tEENKUlT_SK_SL_SM_E_clIPsSE_SF_SF_EESJ_SZ_SK_SL_SM_EUlSZ_E0_NS1_11comp_targetILNS1_3genE8ELNS1_11target_archE1030ELNS1_3gpuE2ELNS1_3repE0EEENS1_38merge_mergepath_config_static_selectorELNS0_4arch9wavefront6targetE1EEEvSL_
                                        ; -- End function
	.section	.AMDGPU.csdata,"",@progbits
; Kernel info:
; codeLenInByte = 0
; NumSgprs: 6
; NumVgprs: 0
; NumAgprs: 0
; TotalNumVgprs: 0
; ScratchSize: 0
; MemoryBound: 0
; FloatMode: 240
; IeeeMode: 1
; LDSByteSize: 0 bytes/workgroup (compile time only)
; SGPRBlocks: 0
; VGPRBlocks: 0
; NumSGPRsForWavesPerEU: 6
; NumVGPRsForWavesPerEU: 1
; AccumOffset: 4
; Occupancy: 8
; WaveLimiterHint : 0
; COMPUTE_PGM_RSRC2:SCRATCH_EN: 0
; COMPUTE_PGM_RSRC2:USER_SGPR: 2
; COMPUTE_PGM_RSRC2:TRAP_HANDLER: 0
; COMPUTE_PGM_RSRC2:TGID_X_EN: 1
; COMPUTE_PGM_RSRC2:TGID_Y_EN: 0
; COMPUTE_PGM_RSRC2:TGID_Z_EN: 0
; COMPUTE_PGM_RSRC2:TIDIG_COMP_CNT: 0
; COMPUTE_PGM_RSRC3_GFX90A:ACCUM_OFFSET: 0
; COMPUTE_PGM_RSRC3_GFX90A:TG_SPLIT: 0
	.section	.text._ZN7rocprim17ROCPRIM_400000_NS6detail17trampoline_kernelINS0_14default_configENS1_38merge_sort_block_merge_config_selectorIsNS0_10empty_typeEEEZZNS1_27merge_sort_block_merge_implIS3_N6thrust23THRUST_200600_302600_NS6detail15normal_iteratorINS9_10device_ptrIsEEEEPS5_jNS1_19radix_merge_compareILb0ELb0EsNS0_19identity_decomposerEEEEE10hipError_tT0_T1_T2_jT3_P12ihipStream_tbPNSt15iterator_traitsISK_E10value_typeEPNSQ_ISL_E10value_typeEPSM_NS1_7vsmem_tEENKUlT_SK_SL_SM_E_clIPsSE_SF_SF_EESJ_SZ_SK_SL_SM_EUlSZ_E1_NS1_11comp_targetILNS1_3genE0ELNS1_11target_archE4294967295ELNS1_3gpuE0ELNS1_3repE0EEENS1_36merge_oddeven_config_static_selectorELNS0_4arch9wavefront6targetE1EEEvSL_,"axG",@progbits,_ZN7rocprim17ROCPRIM_400000_NS6detail17trampoline_kernelINS0_14default_configENS1_38merge_sort_block_merge_config_selectorIsNS0_10empty_typeEEEZZNS1_27merge_sort_block_merge_implIS3_N6thrust23THRUST_200600_302600_NS6detail15normal_iteratorINS9_10device_ptrIsEEEEPS5_jNS1_19radix_merge_compareILb0ELb0EsNS0_19identity_decomposerEEEEE10hipError_tT0_T1_T2_jT3_P12ihipStream_tbPNSt15iterator_traitsISK_E10value_typeEPNSQ_ISL_E10value_typeEPSM_NS1_7vsmem_tEENKUlT_SK_SL_SM_E_clIPsSE_SF_SF_EESJ_SZ_SK_SL_SM_EUlSZ_E1_NS1_11comp_targetILNS1_3genE0ELNS1_11target_archE4294967295ELNS1_3gpuE0ELNS1_3repE0EEENS1_36merge_oddeven_config_static_selectorELNS0_4arch9wavefront6targetE1EEEvSL_,comdat
	.protected	_ZN7rocprim17ROCPRIM_400000_NS6detail17trampoline_kernelINS0_14default_configENS1_38merge_sort_block_merge_config_selectorIsNS0_10empty_typeEEEZZNS1_27merge_sort_block_merge_implIS3_N6thrust23THRUST_200600_302600_NS6detail15normal_iteratorINS9_10device_ptrIsEEEEPS5_jNS1_19radix_merge_compareILb0ELb0EsNS0_19identity_decomposerEEEEE10hipError_tT0_T1_T2_jT3_P12ihipStream_tbPNSt15iterator_traitsISK_E10value_typeEPNSQ_ISL_E10value_typeEPSM_NS1_7vsmem_tEENKUlT_SK_SL_SM_E_clIPsSE_SF_SF_EESJ_SZ_SK_SL_SM_EUlSZ_E1_NS1_11comp_targetILNS1_3genE0ELNS1_11target_archE4294967295ELNS1_3gpuE0ELNS1_3repE0EEENS1_36merge_oddeven_config_static_selectorELNS0_4arch9wavefront6targetE1EEEvSL_ ; -- Begin function _ZN7rocprim17ROCPRIM_400000_NS6detail17trampoline_kernelINS0_14default_configENS1_38merge_sort_block_merge_config_selectorIsNS0_10empty_typeEEEZZNS1_27merge_sort_block_merge_implIS3_N6thrust23THRUST_200600_302600_NS6detail15normal_iteratorINS9_10device_ptrIsEEEEPS5_jNS1_19radix_merge_compareILb0ELb0EsNS0_19identity_decomposerEEEEE10hipError_tT0_T1_T2_jT3_P12ihipStream_tbPNSt15iterator_traitsISK_E10value_typeEPNSQ_ISL_E10value_typeEPSM_NS1_7vsmem_tEENKUlT_SK_SL_SM_E_clIPsSE_SF_SF_EESJ_SZ_SK_SL_SM_EUlSZ_E1_NS1_11comp_targetILNS1_3genE0ELNS1_11target_archE4294967295ELNS1_3gpuE0ELNS1_3repE0EEENS1_36merge_oddeven_config_static_selectorELNS0_4arch9wavefront6targetE1EEEvSL_
	.globl	_ZN7rocprim17ROCPRIM_400000_NS6detail17trampoline_kernelINS0_14default_configENS1_38merge_sort_block_merge_config_selectorIsNS0_10empty_typeEEEZZNS1_27merge_sort_block_merge_implIS3_N6thrust23THRUST_200600_302600_NS6detail15normal_iteratorINS9_10device_ptrIsEEEEPS5_jNS1_19radix_merge_compareILb0ELb0EsNS0_19identity_decomposerEEEEE10hipError_tT0_T1_T2_jT3_P12ihipStream_tbPNSt15iterator_traitsISK_E10value_typeEPNSQ_ISL_E10value_typeEPSM_NS1_7vsmem_tEENKUlT_SK_SL_SM_E_clIPsSE_SF_SF_EESJ_SZ_SK_SL_SM_EUlSZ_E1_NS1_11comp_targetILNS1_3genE0ELNS1_11target_archE4294967295ELNS1_3gpuE0ELNS1_3repE0EEENS1_36merge_oddeven_config_static_selectorELNS0_4arch9wavefront6targetE1EEEvSL_
	.p2align	8
	.type	_ZN7rocprim17ROCPRIM_400000_NS6detail17trampoline_kernelINS0_14default_configENS1_38merge_sort_block_merge_config_selectorIsNS0_10empty_typeEEEZZNS1_27merge_sort_block_merge_implIS3_N6thrust23THRUST_200600_302600_NS6detail15normal_iteratorINS9_10device_ptrIsEEEEPS5_jNS1_19radix_merge_compareILb0ELb0EsNS0_19identity_decomposerEEEEE10hipError_tT0_T1_T2_jT3_P12ihipStream_tbPNSt15iterator_traitsISK_E10value_typeEPNSQ_ISL_E10value_typeEPSM_NS1_7vsmem_tEENKUlT_SK_SL_SM_E_clIPsSE_SF_SF_EESJ_SZ_SK_SL_SM_EUlSZ_E1_NS1_11comp_targetILNS1_3genE0ELNS1_11target_archE4294967295ELNS1_3gpuE0ELNS1_3repE0EEENS1_36merge_oddeven_config_static_selectorELNS0_4arch9wavefront6targetE1EEEvSL_,@function
_ZN7rocprim17ROCPRIM_400000_NS6detail17trampoline_kernelINS0_14default_configENS1_38merge_sort_block_merge_config_selectorIsNS0_10empty_typeEEEZZNS1_27merge_sort_block_merge_implIS3_N6thrust23THRUST_200600_302600_NS6detail15normal_iteratorINS9_10device_ptrIsEEEEPS5_jNS1_19radix_merge_compareILb0ELb0EsNS0_19identity_decomposerEEEEE10hipError_tT0_T1_T2_jT3_P12ihipStream_tbPNSt15iterator_traitsISK_E10value_typeEPNSQ_ISL_E10value_typeEPSM_NS1_7vsmem_tEENKUlT_SK_SL_SM_E_clIPsSE_SF_SF_EESJ_SZ_SK_SL_SM_EUlSZ_E1_NS1_11comp_targetILNS1_3genE0ELNS1_11target_archE4294967295ELNS1_3gpuE0ELNS1_3repE0EEENS1_36merge_oddeven_config_static_selectorELNS0_4arch9wavefront6targetE1EEEvSL_: ; @_ZN7rocprim17ROCPRIM_400000_NS6detail17trampoline_kernelINS0_14default_configENS1_38merge_sort_block_merge_config_selectorIsNS0_10empty_typeEEEZZNS1_27merge_sort_block_merge_implIS3_N6thrust23THRUST_200600_302600_NS6detail15normal_iteratorINS9_10device_ptrIsEEEEPS5_jNS1_19radix_merge_compareILb0ELb0EsNS0_19identity_decomposerEEEEE10hipError_tT0_T1_T2_jT3_P12ihipStream_tbPNSt15iterator_traitsISK_E10value_typeEPNSQ_ISL_E10value_typeEPSM_NS1_7vsmem_tEENKUlT_SK_SL_SM_E_clIPsSE_SF_SF_EESJ_SZ_SK_SL_SM_EUlSZ_E1_NS1_11comp_targetILNS1_3genE0ELNS1_11target_archE4294967295ELNS1_3gpuE0ELNS1_3repE0EEENS1_36merge_oddeven_config_static_selectorELNS0_4arch9wavefront6targetE1EEEvSL_
; %bb.0:
	.section	.rodata,"a",@progbits
	.p2align	6, 0x0
	.amdhsa_kernel _ZN7rocprim17ROCPRIM_400000_NS6detail17trampoline_kernelINS0_14default_configENS1_38merge_sort_block_merge_config_selectorIsNS0_10empty_typeEEEZZNS1_27merge_sort_block_merge_implIS3_N6thrust23THRUST_200600_302600_NS6detail15normal_iteratorINS9_10device_ptrIsEEEEPS5_jNS1_19radix_merge_compareILb0ELb0EsNS0_19identity_decomposerEEEEE10hipError_tT0_T1_T2_jT3_P12ihipStream_tbPNSt15iterator_traitsISK_E10value_typeEPNSQ_ISL_E10value_typeEPSM_NS1_7vsmem_tEENKUlT_SK_SL_SM_E_clIPsSE_SF_SF_EESJ_SZ_SK_SL_SM_EUlSZ_E1_NS1_11comp_targetILNS1_3genE0ELNS1_11target_archE4294967295ELNS1_3gpuE0ELNS1_3repE0EEENS1_36merge_oddeven_config_static_selectorELNS0_4arch9wavefront6targetE1EEEvSL_
		.amdhsa_group_segment_fixed_size 0
		.amdhsa_private_segment_fixed_size 0
		.amdhsa_kernarg_size 48
		.amdhsa_user_sgpr_count 2
		.amdhsa_user_sgpr_dispatch_ptr 0
		.amdhsa_user_sgpr_queue_ptr 0
		.amdhsa_user_sgpr_kernarg_segment_ptr 1
		.amdhsa_user_sgpr_dispatch_id 0
		.amdhsa_user_sgpr_kernarg_preload_length 0
		.amdhsa_user_sgpr_kernarg_preload_offset 0
		.amdhsa_user_sgpr_private_segment_size 0
		.amdhsa_uses_dynamic_stack 0
		.amdhsa_enable_private_segment 0
		.amdhsa_system_sgpr_workgroup_id_x 1
		.amdhsa_system_sgpr_workgroup_id_y 0
		.amdhsa_system_sgpr_workgroup_id_z 0
		.amdhsa_system_sgpr_workgroup_info 0
		.amdhsa_system_vgpr_workitem_id 0
		.amdhsa_next_free_vgpr 1
		.amdhsa_next_free_sgpr 0
		.amdhsa_accum_offset 4
		.amdhsa_reserve_vcc 0
		.amdhsa_float_round_mode_32 0
		.amdhsa_float_round_mode_16_64 0
		.amdhsa_float_denorm_mode_32 3
		.amdhsa_float_denorm_mode_16_64 3
		.amdhsa_dx10_clamp 1
		.amdhsa_ieee_mode 1
		.amdhsa_fp16_overflow 0
		.amdhsa_tg_split 0
		.amdhsa_exception_fp_ieee_invalid_op 0
		.amdhsa_exception_fp_denorm_src 0
		.amdhsa_exception_fp_ieee_div_zero 0
		.amdhsa_exception_fp_ieee_overflow 0
		.amdhsa_exception_fp_ieee_underflow 0
		.amdhsa_exception_fp_ieee_inexact 0
		.amdhsa_exception_int_div_zero 0
	.end_amdhsa_kernel
	.section	.text._ZN7rocprim17ROCPRIM_400000_NS6detail17trampoline_kernelINS0_14default_configENS1_38merge_sort_block_merge_config_selectorIsNS0_10empty_typeEEEZZNS1_27merge_sort_block_merge_implIS3_N6thrust23THRUST_200600_302600_NS6detail15normal_iteratorINS9_10device_ptrIsEEEEPS5_jNS1_19radix_merge_compareILb0ELb0EsNS0_19identity_decomposerEEEEE10hipError_tT0_T1_T2_jT3_P12ihipStream_tbPNSt15iterator_traitsISK_E10value_typeEPNSQ_ISL_E10value_typeEPSM_NS1_7vsmem_tEENKUlT_SK_SL_SM_E_clIPsSE_SF_SF_EESJ_SZ_SK_SL_SM_EUlSZ_E1_NS1_11comp_targetILNS1_3genE0ELNS1_11target_archE4294967295ELNS1_3gpuE0ELNS1_3repE0EEENS1_36merge_oddeven_config_static_selectorELNS0_4arch9wavefront6targetE1EEEvSL_,"axG",@progbits,_ZN7rocprim17ROCPRIM_400000_NS6detail17trampoline_kernelINS0_14default_configENS1_38merge_sort_block_merge_config_selectorIsNS0_10empty_typeEEEZZNS1_27merge_sort_block_merge_implIS3_N6thrust23THRUST_200600_302600_NS6detail15normal_iteratorINS9_10device_ptrIsEEEEPS5_jNS1_19radix_merge_compareILb0ELb0EsNS0_19identity_decomposerEEEEE10hipError_tT0_T1_T2_jT3_P12ihipStream_tbPNSt15iterator_traitsISK_E10value_typeEPNSQ_ISL_E10value_typeEPSM_NS1_7vsmem_tEENKUlT_SK_SL_SM_E_clIPsSE_SF_SF_EESJ_SZ_SK_SL_SM_EUlSZ_E1_NS1_11comp_targetILNS1_3genE0ELNS1_11target_archE4294967295ELNS1_3gpuE0ELNS1_3repE0EEENS1_36merge_oddeven_config_static_selectorELNS0_4arch9wavefront6targetE1EEEvSL_,comdat
.Lfunc_end1834:
	.size	_ZN7rocprim17ROCPRIM_400000_NS6detail17trampoline_kernelINS0_14default_configENS1_38merge_sort_block_merge_config_selectorIsNS0_10empty_typeEEEZZNS1_27merge_sort_block_merge_implIS3_N6thrust23THRUST_200600_302600_NS6detail15normal_iteratorINS9_10device_ptrIsEEEEPS5_jNS1_19radix_merge_compareILb0ELb0EsNS0_19identity_decomposerEEEEE10hipError_tT0_T1_T2_jT3_P12ihipStream_tbPNSt15iterator_traitsISK_E10value_typeEPNSQ_ISL_E10value_typeEPSM_NS1_7vsmem_tEENKUlT_SK_SL_SM_E_clIPsSE_SF_SF_EESJ_SZ_SK_SL_SM_EUlSZ_E1_NS1_11comp_targetILNS1_3genE0ELNS1_11target_archE4294967295ELNS1_3gpuE0ELNS1_3repE0EEENS1_36merge_oddeven_config_static_selectorELNS0_4arch9wavefront6targetE1EEEvSL_, .Lfunc_end1834-_ZN7rocprim17ROCPRIM_400000_NS6detail17trampoline_kernelINS0_14default_configENS1_38merge_sort_block_merge_config_selectorIsNS0_10empty_typeEEEZZNS1_27merge_sort_block_merge_implIS3_N6thrust23THRUST_200600_302600_NS6detail15normal_iteratorINS9_10device_ptrIsEEEEPS5_jNS1_19radix_merge_compareILb0ELb0EsNS0_19identity_decomposerEEEEE10hipError_tT0_T1_T2_jT3_P12ihipStream_tbPNSt15iterator_traitsISK_E10value_typeEPNSQ_ISL_E10value_typeEPSM_NS1_7vsmem_tEENKUlT_SK_SL_SM_E_clIPsSE_SF_SF_EESJ_SZ_SK_SL_SM_EUlSZ_E1_NS1_11comp_targetILNS1_3genE0ELNS1_11target_archE4294967295ELNS1_3gpuE0ELNS1_3repE0EEENS1_36merge_oddeven_config_static_selectorELNS0_4arch9wavefront6targetE1EEEvSL_
                                        ; -- End function
	.section	.AMDGPU.csdata,"",@progbits
; Kernel info:
; codeLenInByte = 0
; NumSgprs: 6
; NumVgprs: 0
; NumAgprs: 0
; TotalNumVgprs: 0
; ScratchSize: 0
; MemoryBound: 0
; FloatMode: 240
; IeeeMode: 1
; LDSByteSize: 0 bytes/workgroup (compile time only)
; SGPRBlocks: 0
; VGPRBlocks: 0
; NumSGPRsForWavesPerEU: 6
; NumVGPRsForWavesPerEU: 1
; AccumOffset: 4
; Occupancy: 8
; WaveLimiterHint : 0
; COMPUTE_PGM_RSRC2:SCRATCH_EN: 0
; COMPUTE_PGM_RSRC2:USER_SGPR: 2
; COMPUTE_PGM_RSRC2:TRAP_HANDLER: 0
; COMPUTE_PGM_RSRC2:TGID_X_EN: 1
; COMPUTE_PGM_RSRC2:TGID_Y_EN: 0
; COMPUTE_PGM_RSRC2:TGID_Z_EN: 0
; COMPUTE_PGM_RSRC2:TIDIG_COMP_CNT: 0
; COMPUTE_PGM_RSRC3_GFX90A:ACCUM_OFFSET: 0
; COMPUTE_PGM_RSRC3_GFX90A:TG_SPLIT: 0
	.section	.text._ZN7rocprim17ROCPRIM_400000_NS6detail17trampoline_kernelINS0_14default_configENS1_38merge_sort_block_merge_config_selectorIsNS0_10empty_typeEEEZZNS1_27merge_sort_block_merge_implIS3_N6thrust23THRUST_200600_302600_NS6detail15normal_iteratorINS9_10device_ptrIsEEEEPS5_jNS1_19radix_merge_compareILb0ELb0EsNS0_19identity_decomposerEEEEE10hipError_tT0_T1_T2_jT3_P12ihipStream_tbPNSt15iterator_traitsISK_E10value_typeEPNSQ_ISL_E10value_typeEPSM_NS1_7vsmem_tEENKUlT_SK_SL_SM_E_clIPsSE_SF_SF_EESJ_SZ_SK_SL_SM_EUlSZ_E1_NS1_11comp_targetILNS1_3genE10ELNS1_11target_archE1201ELNS1_3gpuE5ELNS1_3repE0EEENS1_36merge_oddeven_config_static_selectorELNS0_4arch9wavefront6targetE1EEEvSL_,"axG",@progbits,_ZN7rocprim17ROCPRIM_400000_NS6detail17trampoline_kernelINS0_14default_configENS1_38merge_sort_block_merge_config_selectorIsNS0_10empty_typeEEEZZNS1_27merge_sort_block_merge_implIS3_N6thrust23THRUST_200600_302600_NS6detail15normal_iteratorINS9_10device_ptrIsEEEEPS5_jNS1_19radix_merge_compareILb0ELb0EsNS0_19identity_decomposerEEEEE10hipError_tT0_T1_T2_jT3_P12ihipStream_tbPNSt15iterator_traitsISK_E10value_typeEPNSQ_ISL_E10value_typeEPSM_NS1_7vsmem_tEENKUlT_SK_SL_SM_E_clIPsSE_SF_SF_EESJ_SZ_SK_SL_SM_EUlSZ_E1_NS1_11comp_targetILNS1_3genE10ELNS1_11target_archE1201ELNS1_3gpuE5ELNS1_3repE0EEENS1_36merge_oddeven_config_static_selectorELNS0_4arch9wavefront6targetE1EEEvSL_,comdat
	.protected	_ZN7rocprim17ROCPRIM_400000_NS6detail17trampoline_kernelINS0_14default_configENS1_38merge_sort_block_merge_config_selectorIsNS0_10empty_typeEEEZZNS1_27merge_sort_block_merge_implIS3_N6thrust23THRUST_200600_302600_NS6detail15normal_iteratorINS9_10device_ptrIsEEEEPS5_jNS1_19radix_merge_compareILb0ELb0EsNS0_19identity_decomposerEEEEE10hipError_tT0_T1_T2_jT3_P12ihipStream_tbPNSt15iterator_traitsISK_E10value_typeEPNSQ_ISL_E10value_typeEPSM_NS1_7vsmem_tEENKUlT_SK_SL_SM_E_clIPsSE_SF_SF_EESJ_SZ_SK_SL_SM_EUlSZ_E1_NS1_11comp_targetILNS1_3genE10ELNS1_11target_archE1201ELNS1_3gpuE5ELNS1_3repE0EEENS1_36merge_oddeven_config_static_selectorELNS0_4arch9wavefront6targetE1EEEvSL_ ; -- Begin function _ZN7rocprim17ROCPRIM_400000_NS6detail17trampoline_kernelINS0_14default_configENS1_38merge_sort_block_merge_config_selectorIsNS0_10empty_typeEEEZZNS1_27merge_sort_block_merge_implIS3_N6thrust23THRUST_200600_302600_NS6detail15normal_iteratorINS9_10device_ptrIsEEEEPS5_jNS1_19radix_merge_compareILb0ELb0EsNS0_19identity_decomposerEEEEE10hipError_tT0_T1_T2_jT3_P12ihipStream_tbPNSt15iterator_traitsISK_E10value_typeEPNSQ_ISL_E10value_typeEPSM_NS1_7vsmem_tEENKUlT_SK_SL_SM_E_clIPsSE_SF_SF_EESJ_SZ_SK_SL_SM_EUlSZ_E1_NS1_11comp_targetILNS1_3genE10ELNS1_11target_archE1201ELNS1_3gpuE5ELNS1_3repE0EEENS1_36merge_oddeven_config_static_selectorELNS0_4arch9wavefront6targetE1EEEvSL_
	.globl	_ZN7rocprim17ROCPRIM_400000_NS6detail17trampoline_kernelINS0_14default_configENS1_38merge_sort_block_merge_config_selectorIsNS0_10empty_typeEEEZZNS1_27merge_sort_block_merge_implIS3_N6thrust23THRUST_200600_302600_NS6detail15normal_iteratorINS9_10device_ptrIsEEEEPS5_jNS1_19radix_merge_compareILb0ELb0EsNS0_19identity_decomposerEEEEE10hipError_tT0_T1_T2_jT3_P12ihipStream_tbPNSt15iterator_traitsISK_E10value_typeEPNSQ_ISL_E10value_typeEPSM_NS1_7vsmem_tEENKUlT_SK_SL_SM_E_clIPsSE_SF_SF_EESJ_SZ_SK_SL_SM_EUlSZ_E1_NS1_11comp_targetILNS1_3genE10ELNS1_11target_archE1201ELNS1_3gpuE5ELNS1_3repE0EEENS1_36merge_oddeven_config_static_selectorELNS0_4arch9wavefront6targetE1EEEvSL_
	.p2align	8
	.type	_ZN7rocprim17ROCPRIM_400000_NS6detail17trampoline_kernelINS0_14default_configENS1_38merge_sort_block_merge_config_selectorIsNS0_10empty_typeEEEZZNS1_27merge_sort_block_merge_implIS3_N6thrust23THRUST_200600_302600_NS6detail15normal_iteratorINS9_10device_ptrIsEEEEPS5_jNS1_19radix_merge_compareILb0ELb0EsNS0_19identity_decomposerEEEEE10hipError_tT0_T1_T2_jT3_P12ihipStream_tbPNSt15iterator_traitsISK_E10value_typeEPNSQ_ISL_E10value_typeEPSM_NS1_7vsmem_tEENKUlT_SK_SL_SM_E_clIPsSE_SF_SF_EESJ_SZ_SK_SL_SM_EUlSZ_E1_NS1_11comp_targetILNS1_3genE10ELNS1_11target_archE1201ELNS1_3gpuE5ELNS1_3repE0EEENS1_36merge_oddeven_config_static_selectorELNS0_4arch9wavefront6targetE1EEEvSL_,@function
_ZN7rocprim17ROCPRIM_400000_NS6detail17trampoline_kernelINS0_14default_configENS1_38merge_sort_block_merge_config_selectorIsNS0_10empty_typeEEEZZNS1_27merge_sort_block_merge_implIS3_N6thrust23THRUST_200600_302600_NS6detail15normal_iteratorINS9_10device_ptrIsEEEEPS5_jNS1_19radix_merge_compareILb0ELb0EsNS0_19identity_decomposerEEEEE10hipError_tT0_T1_T2_jT3_P12ihipStream_tbPNSt15iterator_traitsISK_E10value_typeEPNSQ_ISL_E10value_typeEPSM_NS1_7vsmem_tEENKUlT_SK_SL_SM_E_clIPsSE_SF_SF_EESJ_SZ_SK_SL_SM_EUlSZ_E1_NS1_11comp_targetILNS1_3genE10ELNS1_11target_archE1201ELNS1_3gpuE5ELNS1_3repE0EEENS1_36merge_oddeven_config_static_selectorELNS0_4arch9wavefront6targetE1EEEvSL_: ; @_ZN7rocprim17ROCPRIM_400000_NS6detail17trampoline_kernelINS0_14default_configENS1_38merge_sort_block_merge_config_selectorIsNS0_10empty_typeEEEZZNS1_27merge_sort_block_merge_implIS3_N6thrust23THRUST_200600_302600_NS6detail15normal_iteratorINS9_10device_ptrIsEEEEPS5_jNS1_19radix_merge_compareILb0ELb0EsNS0_19identity_decomposerEEEEE10hipError_tT0_T1_T2_jT3_P12ihipStream_tbPNSt15iterator_traitsISK_E10value_typeEPNSQ_ISL_E10value_typeEPSM_NS1_7vsmem_tEENKUlT_SK_SL_SM_E_clIPsSE_SF_SF_EESJ_SZ_SK_SL_SM_EUlSZ_E1_NS1_11comp_targetILNS1_3genE10ELNS1_11target_archE1201ELNS1_3gpuE5ELNS1_3repE0EEENS1_36merge_oddeven_config_static_selectorELNS0_4arch9wavefront6targetE1EEEvSL_
; %bb.0:
	.section	.rodata,"a",@progbits
	.p2align	6, 0x0
	.amdhsa_kernel _ZN7rocprim17ROCPRIM_400000_NS6detail17trampoline_kernelINS0_14default_configENS1_38merge_sort_block_merge_config_selectorIsNS0_10empty_typeEEEZZNS1_27merge_sort_block_merge_implIS3_N6thrust23THRUST_200600_302600_NS6detail15normal_iteratorINS9_10device_ptrIsEEEEPS5_jNS1_19radix_merge_compareILb0ELb0EsNS0_19identity_decomposerEEEEE10hipError_tT0_T1_T2_jT3_P12ihipStream_tbPNSt15iterator_traitsISK_E10value_typeEPNSQ_ISL_E10value_typeEPSM_NS1_7vsmem_tEENKUlT_SK_SL_SM_E_clIPsSE_SF_SF_EESJ_SZ_SK_SL_SM_EUlSZ_E1_NS1_11comp_targetILNS1_3genE10ELNS1_11target_archE1201ELNS1_3gpuE5ELNS1_3repE0EEENS1_36merge_oddeven_config_static_selectorELNS0_4arch9wavefront6targetE1EEEvSL_
		.amdhsa_group_segment_fixed_size 0
		.amdhsa_private_segment_fixed_size 0
		.amdhsa_kernarg_size 48
		.amdhsa_user_sgpr_count 2
		.amdhsa_user_sgpr_dispatch_ptr 0
		.amdhsa_user_sgpr_queue_ptr 0
		.amdhsa_user_sgpr_kernarg_segment_ptr 1
		.amdhsa_user_sgpr_dispatch_id 0
		.amdhsa_user_sgpr_kernarg_preload_length 0
		.amdhsa_user_sgpr_kernarg_preload_offset 0
		.amdhsa_user_sgpr_private_segment_size 0
		.amdhsa_uses_dynamic_stack 0
		.amdhsa_enable_private_segment 0
		.amdhsa_system_sgpr_workgroup_id_x 1
		.amdhsa_system_sgpr_workgroup_id_y 0
		.amdhsa_system_sgpr_workgroup_id_z 0
		.amdhsa_system_sgpr_workgroup_info 0
		.amdhsa_system_vgpr_workitem_id 0
		.amdhsa_next_free_vgpr 1
		.amdhsa_next_free_sgpr 0
		.amdhsa_accum_offset 4
		.amdhsa_reserve_vcc 0
		.amdhsa_float_round_mode_32 0
		.amdhsa_float_round_mode_16_64 0
		.amdhsa_float_denorm_mode_32 3
		.amdhsa_float_denorm_mode_16_64 3
		.amdhsa_dx10_clamp 1
		.amdhsa_ieee_mode 1
		.amdhsa_fp16_overflow 0
		.amdhsa_tg_split 0
		.amdhsa_exception_fp_ieee_invalid_op 0
		.amdhsa_exception_fp_denorm_src 0
		.amdhsa_exception_fp_ieee_div_zero 0
		.amdhsa_exception_fp_ieee_overflow 0
		.amdhsa_exception_fp_ieee_underflow 0
		.amdhsa_exception_fp_ieee_inexact 0
		.amdhsa_exception_int_div_zero 0
	.end_amdhsa_kernel
	.section	.text._ZN7rocprim17ROCPRIM_400000_NS6detail17trampoline_kernelINS0_14default_configENS1_38merge_sort_block_merge_config_selectorIsNS0_10empty_typeEEEZZNS1_27merge_sort_block_merge_implIS3_N6thrust23THRUST_200600_302600_NS6detail15normal_iteratorINS9_10device_ptrIsEEEEPS5_jNS1_19radix_merge_compareILb0ELb0EsNS0_19identity_decomposerEEEEE10hipError_tT0_T1_T2_jT3_P12ihipStream_tbPNSt15iterator_traitsISK_E10value_typeEPNSQ_ISL_E10value_typeEPSM_NS1_7vsmem_tEENKUlT_SK_SL_SM_E_clIPsSE_SF_SF_EESJ_SZ_SK_SL_SM_EUlSZ_E1_NS1_11comp_targetILNS1_3genE10ELNS1_11target_archE1201ELNS1_3gpuE5ELNS1_3repE0EEENS1_36merge_oddeven_config_static_selectorELNS0_4arch9wavefront6targetE1EEEvSL_,"axG",@progbits,_ZN7rocprim17ROCPRIM_400000_NS6detail17trampoline_kernelINS0_14default_configENS1_38merge_sort_block_merge_config_selectorIsNS0_10empty_typeEEEZZNS1_27merge_sort_block_merge_implIS3_N6thrust23THRUST_200600_302600_NS6detail15normal_iteratorINS9_10device_ptrIsEEEEPS5_jNS1_19radix_merge_compareILb0ELb0EsNS0_19identity_decomposerEEEEE10hipError_tT0_T1_T2_jT3_P12ihipStream_tbPNSt15iterator_traitsISK_E10value_typeEPNSQ_ISL_E10value_typeEPSM_NS1_7vsmem_tEENKUlT_SK_SL_SM_E_clIPsSE_SF_SF_EESJ_SZ_SK_SL_SM_EUlSZ_E1_NS1_11comp_targetILNS1_3genE10ELNS1_11target_archE1201ELNS1_3gpuE5ELNS1_3repE0EEENS1_36merge_oddeven_config_static_selectorELNS0_4arch9wavefront6targetE1EEEvSL_,comdat
.Lfunc_end1835:
	.size	_ZN7rocprim17ROCPRIM_400000_NS6detail17trampoline_kernelINS0_14default_configENS1_38merge_sort_block_merge_config_selectorIsNS0_10empty_typeEEEZZNS1_27merge_sort_block_merge_implIS3_N6thrust23THRUST_200600_302600_NS6detail15normal_iteratorINS9_10device_ptrIsEEEEPS5_jNS1_19radix_merge_compareILb0ELb0EsNS0_19identity_decomposerEEEEE10hipError_tT0_T1_T2_jT3_P12ihipStream_tbPNSt15iterator_traitsISK_E10value_typeEPNSQ_ISL_E10value_typeEPSM_NS1_7vsmem_tEENKUlT_SK_SL_SM_E_clIPsSE_SF_SF_EESJ_SZ_SK_SL_SM_EUlSZ_E1_NS1_11comp_targetILNS1_3genE10ELNS1_11target_archE1201ELNS1_3gpuE5ELNS1_3repE0EEENS1_36merge_oddeven_config_static_selectorELNS0_4arch9wavefront6targetE1EEEvSL_, .Lfunc_end1835-_ZN7rocprim17ROCPRIM_400000_NS6detail17trampoline_kernelINS0_14default_configENS1_38merge_sort_block_merge_config_selectorIsNS0_10empty_typeEEEZZNS1_27merge_sort_block_merge_implIS3_N6thrust23THRUST_200600_302600_NS6detail15normal_iteratorINS9_10device_ptrIsEEEEPS5_jNS1_19radix_merge_compareILb0ELb0EsNS0_19identity_decomposerEEEEE10hipError_tT0_T1_T2_jT3_P12ihipStream_tbPNSt15iterator_traitsISK_E10value_typeEPNSQ_ISL_E10value_typeEPSM_NS1_7vsmem_tEENKUlT_SK_SL_SM_E_clIPsSE_SF_SF_EESJ_SZ_SK_SL_SM_EUlSZ_E1_NS1_11comp_targetILNS1_3genE10ELNS1_11target_archE1201ELNS1_3gpuE5ELNS1_3repE0EEENS1_36merge_oddeven_config_static_selectorELNS0_4arch9wavefront6targetE1EEEvSL_
                                        ; -- End function
	.section	.AMDGPU.csdata,"",@progbits
; Kernel info:
; codeLenInByte = 0
; NumSgprs: 6
; NumVgprs: 0
; NumAgprs: 0
; TotalNumVgprs: 0
; ScratchSize: 0
; MemoryBound: 0
; FloatMode: 240
; IeeeMode: 1
; LDSByteSize: 0 bytes/workgroup (compile time only)
; SGPRBlocks: 0
; VGPRBlocks: 0
; NumSGPRsForWavesPerEU: 6
; NumVGPRsForWavesPerEU: 1
; AccumOffset: 4
; Occupancy: 8
; WaveLimiterHint : 0
; COMPUTE_PGM_RSRC2:SCRATCH_EN: 0
; COMPUTE_PGM_RSRC2:USER_SGPR: 2
; COMPUTE_PGM_RSRC2:TRAP_HANDLER: 0
; COMPUTE_PGM_RSRC2:TGID_X_EN: 1
; COMPUTE_PGM_RSRC2:TGID_Y_EN: 0
; COMPUTE_PGM_RSRC2:TGID_Z_EN: 0
; COMPUTE_PGM_RSRC2:TIDIG_COMP_CNT: 0
; COMPUTE_PGM_RSRC3_GFX90A:ACCUM_OFFSET: 0
; COMPUTE_PGM_RSRC3_GFX90A:TG_SPLIT: 0
	.section	.text._ZN7rocprim17ROCPRIM_400000_NS6detail17trampoline_kernelINS0_14default_configENS1_38merge_sort_block_merge_config_selectorIsNS0_10empty_typeEEEZZNS1_27merge_sort_block_merge_implIS3_N6thrust23THRUST_200600_302600_NS6detail15normal_iteratorINS9_10device_ptrIsEEEEPS5_jNS1_19radix_merge_compareILb0ELb0EsNS0_19identity_decomposerEEEEE10hipError_tT0_T1_T2_jT3_P12ihipStream_tbPNSt15iterator_traitsISK_E10value_typeEPNSQ_ISL_E10value_typeEPSM_NS1_7vsmem_tEENKUlT_SK_SL_SM_E_clIPsSE_SF_SF_EESJ_SZ_SK_SL_SM_EUlSZ_E1_NS1_11comp_targetILNS1_3genE5ELNS1_11target_archE942ELNS1_3gpuE9ELNS1_3repE0EEENS1_36merge_oddeven_config_static_selectorELNS0_4arch9wavefront6targetE1EEEvSL_,"axG",@progbits,_ZN7rocprim17ROCPRIM_400000_NS6detail17trampoline_kernelINS0_14default_configENS1_38merge_sort_block_merge_config_selectorIsNS0_10empty_typeEEEZZNS1_27merge_sort_block_merge_implIS3_N6thrust23THRUST_200600_302600_NS6detail15normal_iteratorINS9_10device_ptrIsEEEEPS5_jNS1_19radix_merge_compareILb0ELb0EsNS0_19identity_decomposerEEEEE10hipError_tT0_T1_T2_jT3_P12ihipStream_tbPNSt15iterator_traitsISK_E10value_typeEPNSQ_ISL_E10value_typeEPSM_NS1_7vsmem_tEENKUlT_SK_SL_SM_E_clIPsSE_SF_SF_EESJ_SZ_SK_SL_SM_EUlSZ_E1_NS1_11comp_targetILNS1_3genE5ELNS1_11target_archE942ELNS1_3gpuE9ELNS1_3repE0EEENS1_36merge_oddeven_config_static_selectorELNS0_4arch9wavefront6targetE1EEEvSL_,comdat
	.protected	_ZN7rocprim17ROCPRIM_400000_NS6detail17trampoline_kernelINS0_14default_configENS1_38merge_sort_block_merge_config_selectorIsNS0_10empty_typeEEEZZNS1_27merge_sort_block_merge_implIS3_N6thrust23THRUST_200600_302600_NS6detail15normal_iteratorINS9_10device_ptrIsEEEEPS5_jNS1_19radix_merge_compareILb0ELb0EsNS0_19identity_decomposerEEEEE10hipError_tT0_T1_T2_jT3_P12ihipStream_tbPNSt15iterator_traitsISK_E10value_typeEPNSQ_ISL_E10value_typeEPSM_NS1_7vsmem_tEENKUlT_SK_SL_SM_E_clIPsSE_SF_SF_EESJ_SZ_SK_SL_SM_EUlSZ_E1_NS1_11comp_targetILNS1_3genE5ELNS1_11target_archE942ELNS1_3gpuE9ELNS1_3repE0EEENS1_36merge_oddeven_config_static_selectorELNS0_4arch9wavefront6targetE1EEEvSL_ ; -- Begin function _ZN7rocprim17ROCPRIM_400000_NS6detail17trampoline_kernelINS0_14default_configENS1_38merge_sort_block_merge_config_selectorIsNS0_10empty_typeEEEZZNS1_27merge_sort_block_merge_implIS3_N6thrust23THRUST_200600_302600_NS6detail15normal_iteratorINS9_10device_ptrIsEEEEPS5_jNS1_19radix_merge_compareILb0ELb0EsNS0_19identity_decomposerEEEEE10hipError_tT0_T1_T2_jT3_P12ihipStream_tbPNSt15iterator_traitsISK_E10value_typeEPNSQ_ISL_E10value_typeEPSM_NS1_7vsmem_tEENKUlT_SK_SL_SM_E_clIPsSE_SF_SF_EESJ_SZ_SK_SL_SM_EUlSZ_E1_NS1_11comp_targetILNS1_3genE5ELNS1_11target_archE942ELNS1_3gpuE9ELNS1_3repE0EEENS1_36merge_oddeven_config_static_selectorELNS0_4arch9wavefront6targetE1EEEvSL_
	.globl	_ZN7rocprim17ROCPRIM_400000_NS6detail17trampoline_kernelINS0_14default_configENS1_38merge_sort_block_merge_config_selectorIsNS0_10empty_typeEEEZZNS1_27merge_sort_block_merge_implIS3_N6thrust23THRUST_200600_302600_NS6detail15normal_iteratorINS9_10device_ptrIsEEEEPS5_jNS1_19radix_merge_compareILb0ELb0EsNS0_19identity_decomposerEEEEE10hipError_tT0_T1_T2_jT3_P12ihipStream_tbPNSt15iterator_traitsISK_E10value_typeEPNSQ_ISL_E10value_typeEPSM_NS1_7vsmem_tEENKUlT_SK_SL_SM_E_clIPsSE_SF_SF_EESJ_SZ_SK_SL_SM_EUlSZ_E1_NS1_11comp_targetILNS1_3genE5ELNS1_11target_archE942ELNS1_3gpuE9ELNS1_3repE0EEENS1_36merge_oddeven_config_static_selectorELNS0_4arch9wavefront6targetE1EEEvSL_
	.p2align	8
	.type	_ZN7rocprim17ROCPRIM_400000_NS6detail17trampoline_kernelINS0_14default_configENS1_38merge_sort_block_merge_config_selectorIsNS0_10empty_typeEEEZZNS1_27merge_sort_block_merge_implIS3_N6thrust23THRUST_200600_302600_NS6detail15normal_iteratorINS9_10device_ptrIsEEEEPS5_jNS1_19radix_merge_compareILb0ELb0EsNS0_19identity_decomposerEEEEE10hipError_tT0_T1_T2_jT3_P12ihipStream_tbPNSt15iterator_traitsISK_E10value_typeEPNSQ_ISL_E10value_typeEPSM_NS1_7vsmem_tEENKUlT_SK_SL_SM_E_clIPsSE_SF_SF_EESJ_SZ_SK_SL_SM_EUlSZ_E1_NS1_11comp_targetILNS1_3genE5ELNS1_11target_archE942ELNS1_3gpuE9ELNS1_3repE0EEENS1_36merge_oddeven_config_static_selectorELNS0_4arch9wavefront6targetE1EEEvSL_,@function
_ZN7rocprim17ROCPRIM_400000_NS6detail17trampoline_kernelINS0_14default_configENS1_38merge_sort_block_merge_config_selectorIsNS0_10empty_typeEEEZZNS1_27merge_sort_block_merge_implIS3_N6thrust23THRUST_200600_302600_NS6detail15normal_iteratorINS9_10device_ptrIsEEEEPS5_jNS1_19radix_merge_compareILb0ELb0EsNS0_19identity_decomposerEEEEE10hipError_tT0_T1_T2_jT3_P12ihipStream_tbPNSt15iterator_traitsISK_E10value_typeEPNSQ_ISL_E10value_typeEPSM_NS1_7vsmem_tEENKUlT_SK_SL_SM_E_clIPsSE_SF_SF_EESJ_SZ_SK_SL_SM_EUlSZ_E1_NS1_11comp_targetILNS1_3genE5ELNS1_11target_archE942ELNS1_3gpuE9ELNS1_3repE0EEENS1_36merge_oddeven_config_static_selectorELNS0_4arch9wavefront6targetE1EEEvSL_: ; @_ZN7rocprim17ROCPRIM_400000_NS6detail17trampoline_kernelINS0_14default_configENS1_38merge_sort_block_merge_config_selectorIsNS0_10empty_typeEEEZZNS1_27merge_sort_block_merge_implIS3_N6thrust23THRUST_200600_302600_NS6detail15normal_iteratorINS9_10device_ptrIsEEEEPS5_jNS1_19radix_merge_compareILb0ELb0EsNS0_19identity_decomposerEEEEE10hipError_tT0_T1_T2_jT3_P12ihipStream_tbPNSt15iterator_traitsISK_E10value_typeEPNSQ_ISL_E10value_typeEPSM_NS1_7vsmem_tEENKUlT_SK_SL_SM_E_clIPsSE_SF_SF_EESJ_SZ_SK_SL_SM_EUlSZ_E1_NS1_11comp_targetILNS1_3genE5ELNS1_11target_archE942ELNS1_3gpuE9ELNS1_3repE0EEENS1_36merge_oddeven_config_static_selectorELNS0_4arch9wavefront6targetE1EEEvSL_
; %bb.0:
	s_load_dword s16, s[0:1], 0x20
	s_waitcnt lgkmcnt(0)
	s_lshr_b32 s3, s16, 8
	s_cmp_lg_u32 s2, s3
	s_cselect_b64 s[12:13], -1, 0
	s_cmp_eq_u32 s2, s3
	s_cselect_b64 s[6:7], -1, 0
	s_lshl_b32 s14, s2, 8
	s_sub_i32 s3, s16, s14
	v_cmp_gt_u32_e64 s[4:5], s3, v0
	s_or_b64 s[8:9], s[12:13], s[4:5]
	s_and_saveexec_b64 s[10:11], s[8:9]
	s_cbranch_execz .LBB1836_20
; %bb.1:
	s_load_dwordx4 s[8:11], s[0:1], 0x0
	s_load_dword s17, s[0:1], 0x24
	s_mov_b32 s15, 0
	s_lshl_b64 s[0:1], s[14:15], 1
	v_lshlrev_b32_e32 v1, 1, v0
	s_waitcnt lgkmcnt(0)
	s_add_u32 s0, s8, s0
	s_addc_u32 s1, s9, s1
	global_load_ushort v2, v1, s[0:1]
	s_lshr_b32 s0, s17, 8
	s_sub_i32 s1, 0, s0
	s_and_b32 s1, s2, s1
	s_and_b32 s0, s1, s0
	s_lshl_b32 s18, s1, 8
	s_sub_i32 s15, 0, s17
	s_cmp_eq_u32 s0, 0
	s_cselect_b64 s[0:1], -1, 0
	s_and_b64 s[2:3], s[0:1], exec
	s_cselect_b32 s15, s17, s15
	s_add_i32 s15, s15, s18
	s_cmp_lt_u32 s15, s16
	v_add_u32_e32 v0, s14, v0
	s_cbranch_scc1 .LBB1836_3
; %bb.2:
	v_cmp_gt_u32_e32 vcc, s16, v0
	s_or_b64 s[2:3], vcc, s[12:13]
	s_and_b64 s[2:3], s[2:3], exec
	s_cbranch_execz .LBB1836_4
	s_branch .LBB1836_18
.LBB1836_3:
	s_mov_b64 s[2:3], 0
.LBB1836_4:
	s_min_u32 s12, s15, s16
	s_min_u32 s14, s18, s12
	s_add_i32 s18, s18, s12
	s_add_i32 s13, s12, s17
	v_subrev_u32_e32 v0, s18, v0
	s_min_u32 s13, s13, s16
	v_add_u32_e32 v1, s14, v0
	s_and_b64 vcc, exec, s[6:7]
	s_cbranch_vccz .LBB1836_12
; %bb.5:
                                        ; implicit-def: $vgpr0
	s_and_saveexec_b64 s[6:7], s[4:5]
	s_cbranch_execz .LBB1836_11
; %bb.6:
	s_cmp_ge_u32 s15, s13
	v_mov_b32_e32 v0, s12
	s_cbranch_scc1 .LBB1836_10
; %bb.7:
	s_mov_b64 s[4:5], 0
	v_mov_b32_e32 v3, s13
	v_mov_b32_e32 v0, s12
.LBB1836_8:                             ; =>This Inner Loop Header: Depth=1
	v_add_u32_e32 v4, v0, v3
	v_and_b32_e32 v5, -2, v4
	global_load_ushort v5, v5, s[8:9]
	v_lshrrev_b32_e32 v4, 1, v4
	v_add_u32_e32 v6, 1, v4
	s_waitcnt vmcnt(0)
	v_cmp_gt_i16_e32 vcc, v2, v5
	s_nop 1
	v_cndmask_b32_e64 v7, 0, 1, vcc
	v_cmp_le_i16_e32 vcc, v5, v2
	s_nop 1
	v_cndmask_b32_e64 v5, 0, 1, vcc
	v_cndmask_b32_e64 v5, v5, v7, s[0:1]
	v_and_b32_e32 v5, 1, v5
	v_cmp_eq_u32_e32 vcc, 1, v5
	s_nop 1
	v_cndmask_b32_e32 v3, v4, v3, vcc
	v_cndmask_b32_e32 v0, v0, v6, vcc
	v_cmp_ge_u32_e32 vcc, v0, v3
	s_or_b64 s[4:5], vcc, s[4:5]
	s_andn2_b64 exec, exec, s[4:5]
	s_cbranch_execnz .LBB1836_8
; %bb.9:
	s_or_b64 exec, exec, s[4:5]
.LBB1836_10:
	v_add_u32_e32 v0, v0, v1
	s_or_b64 s[2:3], s[2:3], exec
.LBB1836_11:
	s_or_b64 exec, exec, s[6:7]
	s_branch .LBB1836_18
.LBB1836_12:
                                        ; implicit-def: $vgpr0
	s_cbranch_execz .LBB1836_18
; %bb.13:
	s_cmp_ge_u32 s15, s13
	v_mov_b32_e32 v0, s12
	s_cbranch_scc1 .LBB1836_17
; %bb.14:
	s_mov_b64 s[2:3], 0
	v_mov_b32_e32 v3, s13
	v_mov_b32_e32 v0, s12
.LBB1836_15:                            ; =>This Inner Loop Header: Depth=1
	v_add_u32_e32 v4, v0, v3
	v_and_b32_e32 v5, -2, v4
	global_load_ushort v5, v5, s[8:9]
	v_lshrrev_b32_e32 v4, 1, v4
	v_add_u32_e32 v6, 1, v4
	s_waitcnt vmcnt(0)
	v_cmp_gt_i16_e32 vcc, v2, v5
	s_nop 1
	v_cndmask_b32_e64 v7, 0, 1, vcc
	v_cmp_le_i16_e32 vcc, v5, v2
	s_nop 1
	v_cndmask_b32_e64 v5, 0, 1, vcc
	v_cndmask_b32_e64 v5, v5, v7, s[0:1]
	v_and_b32_e32 v5, 1, v5
	v_cmp_eq_u32_e32 vcc, 1, v5
	s_nop 1
	v_cndmask_b32_e32 v3, v4, v3, vcc
	v_cndmask_b32_e32 v0, v0, v6, vcc
	v_cmp_ge_u32_e32 vcc, v0, v3
	s_or_b64 s[2:3], vcc, s[2:3]
	s_andn2_b64 exec, exec, s[2:3]
	s_cbranch_execnz .LBB1836_15
; %bb.16:
	s_or_b64 exec, exec, s[2:3]
.LBB1836_17:
	v_add_u32_e32 v0, v0, v1
	s_mov_b64 s[2:3], -1
.LBB1836_18:
	s_and_b64 exec, exec, s[2:3]
	s_cbranch_execz .LBB1836_20
; %bb.19:
	v_mov_b32_e32 v4, s10
	v_mov_b32_e32 v5, s11
	;; [unrolled: 1-line block ×3, first 2 shown]
	v_lshl_add_u64 v[0:1], v[0:1], 1, v[4:5]
	s_waitcnt vmcnt(0)
	global_store_short v[0:1], v2, off
.LBB1836_20:
	s_endpgm
	.section	.rodata,"a",@progbits
	.p2align	6, 0x0
	.amdhsa_kernel _ZN7rocprim17ROCPRIM_400000_NS6detail17trampoline_kernelINS0_14default_configENS1_38merge_sort_block_merge_config_selectorIsNS0_10empty_typeEEEZZNS1_27merge_sort_block_merge_implIS3_N6thrust23THRUST_200600_302600_NS6detail15normal_iteratorINS9_10device_ptrIsEEEEPS5_jNS1_19radix_merge_compareILb0ELb0EsNS0_19identity_decomposerEEEEE10hipError_tT0_T1_T2_jT3_P12ihipStream_tbPNSt15iterator_traitsISK_E10value_typeEPNSQ_ISL_E10value_typeEPSM_NS1_7vsmem_tEENKUlT_SK_SL_SM_E_clIPsSE_SF_SF_EESJ_SZ_SK_SL_SM_EUlSZ_E1_NS1_11comp_targetILNS1_3genE5ELNS1_11target_archE942ELNS1_3gpuE9ELNS1_3repE0EEENS1_36merge_oddeven_config_static_selectorELNS0_4arch9wavefront6targetE1EEEvSL_
		.amdhsa_group_segment_fixed_size 0
		.amdhsa_private_segment_fixed_size 0
		.amdhsa_kernarg_size 48
		.amdhsa_user_sgpr_count 2
		.amdhsa_user_sgpr_dispatch_ptr 0
		.amdhsa_user_sgpr_queue_ptr 0
		.amdhsa_user_sgpr_kernarg_segment_ptr 1
		.amdhsa_user_sgpr_dispatch_id 0
		.amdhsa_user_sgpr_kernarg_preload_length 0
		.amdhsa_user_sgpr_kernarg_preload_offset 0
		.amdhsa_user_sgpr_private_segment_size 0
		.amdhsa_uses_dynamic_stack 0
		.amdhsa_enable_private_segment 0
		.amdhsa_system_sgpr_workgroup_id_x 1
		.amdhsa_system_sgpr_workgroup_id_y 0
		.amdhsa_system_sgpr_workgroup_id_z 0
		.amdhsa_system_sgpr_workgroup_info 0
		.amdhsa_system_vgpr_workitem_id 0
		.amdhsa_next_free_vgpr 8
		.amdhsa_next_free_sgpr 19
		.amdhsa_accum_offset 8
		.amdhsa_reserve_vcc 1
		.amdhsa_float_round_mode_32 0
		.amdhsa_float_round_mode_16_64 0
		.amdhsa_float_denorm_mode_32 3
		.amdhsa_float_denorm_mode_16_64 3
		.amdhsa_dx10_clamp 1
		.amdhsa_ieee_mode 1
		.amdhsa_fp16_overflow 0
		.amdhsa_tg_split 0
		.amdhsa_exception_fp_ieee_invalid_op 0
		.amdhsa_exception_fp_denorm_src 0
		.amdhsa_exception_fp_ieee_div_zero 0
		.amdhsa_exception_fp_ieee_overflow 0
		.amdhsa_exception_fp_ieee_underflow 0
		.amdhsa_exception_fp_ieee_inexact 0
		.amdhsa_exception_int_div_zero 0
	.end_amdhsa_kernel
	.section	.text._ZN7rocprim17ROCPRIM_400000_NS6detail17trampoline_kernelINS0_14default_configENS1_38merge_sort_block_merge_config_selectorIsNS0_10empty_typeEEEZZNS1_27merge_sort_block_merge_implIS3_N6thrust23THRUST_200600_302600_NS6detail15normal_iteratorINS9_10device_ptrIsEEEEPS5_jNS1_19radix_merge_compareILb0ELb0EsNS0_19identity_decomposerEEEEE10hipError_tT0_T1_T2_jT3_P12ihipStream_tbPNSt15iterator_traitsISK_E10value_typeEPNSQ_ISL_E10value_typeEPSM_NS1_7vsmem_tEENKUlT_SK_SL_SM_E_clIPsSE_SF_SF_EESJ_SZ_SK_SL_SM_EUlSZ_E1_NS1_11comp_targetILNS1_3genE5ELNS1_11target_archE942ELNS1_3gpuE9ELNS1_3repE0EEENS1_36merge_oddeven_config_static_selectorELNS0_4arch9wavefront6targetE1EEEvSL_,"axG",@progbits,_ZN7rocprim17ROCPRIM_400000_NS6detail17trampoline_kernelINS0_14default_configENS1_38merge_sort_block_merge_config_selectorIsNS0_10empty_typeEEEZZNS1_27merge_sort_block_merge_implIS3_N6thrust23THRUST_200600_302600_NS6detail15normal_iteratorINS9_10device_ptrIsEEEEPS5_jNS1_19radix_merge_compareILb0ELb0EsNS0_19identity_decomposerEEEEE10hipError_tT0_T1_T2_jT3_P12ihipStream_tbPNSt15iterator_traitsISK_E10value_typeEPNSQ_ISL_E10value_typeEPSM_NS1_7vsmem_tEENKUlT_SK_SL_SM_E_clIPsSE_SF_SF_EESJ_SZ_SK_SL_SM_EUlSZ_E1_NS1_11comp_targetILNS1_3genE5ELNS1_11target_archE942ELNS1_3gpuE9ELNS1_3repE0EEENS1_36merge_oddeven_config_static_selectorELNS0_4arch9wavefront6targetE1EEEvSL_,comdat
.Lfunc_end1836:
	.size	_ZN7rocprim17ROCPRIM_400000_NS6detail17trampoline_kernelINS0_14default_configENS1_38merge_sort_block_merge_config_selectorIsNS0_10empty_typeEEEZZNS1_27merge_sort_block_merge_implIS3_N6thrust23THRUST_200600_302600_NS6detail15normal_iteratorINS9_10device_ptrIsEEEEPS5_jNS1_19radix_merge_compareILb0ELb0EsNS0_19identity_decomposerEEEEE10hipError_tT0_T1_T2_jT3_P12ihipStream_tbPNSt15iterator_traitsISK_E10value_typeEPNSQ_ISL_E10value_typeEPSM_NS1_7vsmem_tEENKUlT_SK_SL_SM_E_clIPsSE_SF_SF_EESJ_SZ_SK_SL_SM_EUlSZ_E1_NS1_11comp_targetILNS1_3genE5ELNS1_11target_archE942ELNS1_3gpuE9ELNS1_3repE0EEENS1_36merge_oddeven_config_static_selectorELNS0_4arch9wavefront6targetE1EEEvSL_, .Lfunc_end1836-_ZN7rocprim17ROCPRIM_400000_NS6detail17trampoline_kernelINS0_14default_configENS1_38merge_sort_block_merge_config_selectorIsNS0_10empty_typeEEEZZNS1_27merge_sort_block_merge_implIS3_N6thrust23THRUST_200600_302600_NS6detail15normal_iteratorINS9_10device_ptrIsEEEEPS5_jNS1_19radix_merge_compareILb0ELb0EsNS0_19identity_decomposerEEEEE10hipError_tT0_T1_T2_jT3_P12ihipStream_tbPNSt15iterator_traitsISK_E10value_typeEPNSQ_ISL_E10value_typeEPSM_NS1_7vsmem_tEENKUlT_SK_SL_SM_E_clIPsSE_SF_SF_EESJ_SZ_SK_SL_SM_EUlSZ_E1_NS1_11comp_targetILNS1_3genE5ELNS1_11target_archE942ELNS1_3gpuE9ELNS1_3repE0EEENS1_36merge_oddeven_config_static_selectorELNS0_4arch9wavefront6targetE1EEEvSL_
                                        ; -- End function
	.section	.AMDGPU.csdata,"",@progbits
; Kernel info:
; codeLenInByte = 568
; NumSgprs: 25
; NumVgprs: 8
; NumAgprs: 0
; TotalNumVgprs: 8
; ScratchSize: 0
; MemoryBound: 0
; FloatMode: 240
; IeeeMode: 1
; LDSByteSize: 0 bytes/workgroup (compile time only)
; SGPRBlocks: 3
; VGPRBlocks: 0
; NumSGPRsForWavesPerEU: 25
; NumVGPRsForWavesPerEU: 8
; AccumOffset: 8
; Occupancy: 8
; WaveLimiterHint : 0
; COMPUTE_PGM_RSRC2:SCRATCH_EN: 0
; COMPUTE_PGM_RSRC2:USER_SGPR: 2
; COMPUTE_PGM_RSRC2:TRAP_HANDLER: 0
; COMPUTE_PGM_RSRC2:TGID_X_EN: 1
; COMPUTE_PGM_RSRC2:TGID_Y_EN: 0
; COMPUTE_PGM_RSRC2:TGID_Z_EN: 0
; COMPUTE_PGM_RSRC2:TIDIG_COMP_CNT: 0
; COMPUTE_PGM_RSRC3_GFX90A:ACCUM_OFFSET: 1
; COMPUTE_PGM_RSRC3_GFX90A:TG_SPLIT: 0
	.section	.text._ZN7rocprim17ROCPRIM_400000_NS6detail17trampoline_kernelINS0_14default_configENS1_38merge_sort_block_merge_config_selectorIsNS0_10empty_typeEEEZZNS1_27merge_sort_block_merge_implIS3_N6thrust23THRUST_200600_302600_NS6detail15normal_iteratorINS9_10device_ptrIsEEEEPS5_jNS1_19radix_merge_compareILb0ELb0EsNS0_19identity_decomposerEEEEE10hipError_tT0_T1_T2_jT3_P12ihipStream_tbPNSt15iterator_traitsISK_E10value_typeEPNSQ_ISL_E10value_typeEPSM_NS1_7vsmem_tEENKUlT_SK_SL_SM_E_clIPsSE_SF_SF_EESJ_SZ_SK_SL_SM_EUlSZ_E1_NS1_11comp_targetILNS1_3genE4ELNS1_11target_archE910ELNS1_3gpuE8ELNS1_3repE0EEENS1_36merge_oddeven_config_static_selectorELNS0_4arch9wavefront6targetE1EEEvSL_,"axG",@progbits,_ZN7rocprim17ROCPRIM_400000_NS6detail17trampoline_kernelINS0_14default_configENS1_38merge_sort_block_merge_config_selectorIsNS0_10empty_typeEEEZZNS1_27merge_sort_block_merge_implIS3_N6thrust23THRUST_200600_302600_NS6detail15normal_iteratorINS9_10device_ptrIsEEEEPS5_jNS1_19radix_merge_compareILb0ELb0EsNS0_19identity_decomposerEEEEE10hipError_tT0_T1_T2_jT3_P12ihipStream_tbPNSt15iterator_traitsISK_E10value_typeEPNSQ_ISL_E10value_typeEPSM_NS1_7vsmem_tEENKUlT_SK_SL_SM_E_clIPsSE_SF_SF_EESJ_SZ_SK_SL_SM_EUlSZ_E1_NS1_11comp_targetILNS1_3genE4ELNS1_11target_archE910ELNS1_3gpuE8ELNS1_3repE0EEENS1_36merge_oddeven_config_static_selectorELNS0_4arch9wavefront6targetE1EEEvSL_,comdat
	.protected	_ZN7rocprim17ROCPRIM_400000_NS6detail17trampoline_kernelINS0_14default_configENS1_38merge_sort_block_merge_config_selectorIsNS0_10empty_typeEEEZZNS1_27merge_sort_block_merge_implIS3_N6thrust23THRUST_200600_302600_NS6detail15normal_iteratorINS9_10device_ptrIsEEEEPS5_jNS1_19radix_merge_compareILb0ELb0EsNS0_19identity_decomposerEEEEE10hipError_tT0_T1_T2_jT3_P12ihipStream_tbPNSt15iterator_traitsISK_E10value_typeEPNSQ_ISL_E10value_typeEPSM_NS1_7vsmem_tEENKUlT_SK_SL_SM_E_clIPsSE_SF_SF_EESJ_SZ_SK_SL_SM_EUlSZ_E1_NS1_11comp_targetILNS1_3genE4ELNS1_11target_archE910ELNS1_3gpuE8ELNS1_3repE0EEENS1_36merge_oddeven_config_static_selectorELNS0_4arch9wavefront6targetE1EEEvSL_ ; -- Begin function _ZN7rocprim17ROCPRIM_400000_NS6detail17trampoline_kernelINS0_14default_configENS1_38merge_sort_block_merge_config_selectorIsNS0_10empty_typeEEEZZNS1_27merge_sort_block_merge_implIS3_N6thrust23THRUST_200600_302600_NS6detail15normal_iteratorINS9_10device_ptrIsEEEEPS5_jNS1_19radix_merge_compareILb0ELb0EsNS0_19identity_decomposerEEEEE10hipError_tT0_T1_T2_jT3_P12ihipStream_tbPNSt15iterator_traitsISK_E10value_typeEPNSQ_ISL_E10value_typeEPSM_NS1_7vsmem_tEENKUlT_SK_SL_SM_E_clIPsSE_SF_SF_EESJ_SZ_SK_SL_SM_EUlSZ_E1_NS1_11comp_targetILNS1_3genE4ELNS1_11target_archE910ELNS1_3gpuE8ELNS1_3repE0EEENS1_36merge_oddeven_config_static_selectorELNS0_4arch9wavefront6targetE1EEEvSL_
	.globl	_ZN7rocprim17ROCPRIM_400000_NS6detail17trampoline_kernelINS0_14default_configENS1_38merge_sort_block_merge_config_selectorIsNS0_10empty_typeEEEZZNS1_27merge_sort_block_merge_implIS3_N6thrust23THRUST_200600_302600_NS6detail15normal_iteratorINS9_10device_ptrIsEEEEPS5_jNS1_19radix_merge_compareILb0ELb0EsNS0_19identity_decomposerEEEEE10hipError_tT0_T1_T2_jT3_P12ihipStream_tbPNSt15iterator_traitsISK_E10value_typeEPNSQ_ISL_E10value_typeEPSM_NS1_7vsmem_tEENKUlT_SK_SL_SM_E_clIPsSE_SF_SF_EESJ_SZ_SK_SL_SM_EUlSZ_E1_NS1_11comp_targetILNS1_3genE4ELNS1_11target_archE910ELNS1_3gpuE8ELNS1_3repE0EEENS1_36merge_oddeven_config_static_selectorELNS0_4arch9wavefront6targetE1EEEvSL_
	.p2align	8
	.type	_ZN7rocprim17ROCPRIM_400000_NS6detail17trampoline_kernelINS0_14default_configENS1_38merge_sort_block_merge_config_selectorIsNS0_10empty_typeEEEZZNS1_27merge_sort_block_merge_implIS3_N6thrust23THRUST_200600_302600_NS6detail15normal_iteratorINS9_10device_ptrIsEEEEPS5_jNS1_19radix_merge_compareILb0ELb0EsNS0_19identity_decomposerEEEEE10hipError_tT0_T1_T2_jT3_P12ihipStream_tbPNSt15iterator_traitsISK_E10value_typeEPNSQ_ISL_E10value_typeEPSM_NS1_7vsmem_tEENKUlT_SK_SL_SM_E_clIPsSE_SF_SF_EESJ_SZ_SK_SL_SM_EUlSZ_E1_NS1_11comp_targetILNS1_3genE4ELNS1_11target_archE910ELNS1_3gpuE8ELNS1_3repE0EEENS1_36merge_oddeven_config_static_selectorELNS0_4arch9wavefront6targetE1EEEvSL_,@function
_ZN7rocprim17ROCPRIM_400000_NS6detail17trampoline_kernelINS0_14default_configENS1_38merge_sort_block_merge_config_selectorIsNS0_10empty_typeEEEZZNS1_27merge_sort_block_merge_implIS3_N6thrust23THRUST_200600_302600_NS6detail15normal_iteratorINS9_10device_ptrIsEEEEPS5_jNS1_19radix_merge_compareILb0ELb0EsNS0_19identity_decomposerEEEEE10hipError_tT0_T1_T2_jT3_P12ihipStream_tbPNSt15iterator_traitsISK_E10value_typeEPNSQ_ISL_E10value_typeEPSM_NS1_7vsmem_tEENKUlT_SK_SL_SM_E_clIPsSE_SF_SF_EESJ_SZ_SK_SL_SM_EUlSZ_E1_NS1_11comp_targetILNS1_3genE4ELNS1_11target_archE910ELNS1_3gpuE8ELNS1_3repE0EEENS1_36merge_oddeven_config_static_selectorELNS0_4arch9wavefront6targetE1EEEvSL_: ; @_ZN7rocprim17ROCPRIM_400000_NS6detail17trampoline_kernelINS0_14default_configENS1_38merge_sort_block_merge_config_selectorIsNS0_10empty_typeEEEZZNS1_27merge_sort_block_merge_implIS3_N6thrust23THRUST_200600_302600_NS6detail15normal_iteratorINS9_10device_ptrIsEEEEPS5_jNS1_19radix_merge_compareILb0ELb0EsNS0_19identity_decomposerEEEEE10hipError_tT0_T1_T2_jT3_P12ihipStream_tbPNSt15iterator_traitsISK_E10value_typeEPNSQ_ISL_E10value_typeEPSM_NS1_7vsmem_tEENKUlT_SK_SL_SM_E_clIPsSE_SF_SF_EESJ_SZ_SK_SL_SM_EUlSZ_E1_NS1_11comp_targetILNS1_3genE4ELNS1_11target_archE910ELNS1_3gpuE8ELNS1_3repE0EEENS1_36merge_oddeven_config_static_selectorELNS0_4arch9wavefront6targetE1EEEvSL_
; %bb.0:
	.section	.rodata,"a",@progbits
	.p2align	6, 0x0
	.amdhsa_kernel _ZN7rocprim17ROCPRIM_400000_NS6detail17trampoline_kernelINS0_14default_configENS1_38merge_sort_block_merge_config_selectorIsNS0_10empty_typeEEEZZNS1_27merge_sort_block_merge_implIS3_N6thrust23THRUST_200600_302600_NS6detail15normal_iteratorINS9_10device_ptrIsEEEEPS5_jNS1_19radix_merge_compareILb0ELb0EsNS0_19identity_decomposerEEEEE10hipError_tT0_T1_T2_jT3_P12ihipStream_tbPNSt15iterator_traitsISK_E10value_typeEPNSQ_ISL_E10value_typeEPSM_NS1_7vsmem_tEENKUlT_SK_SL_SM_E_clIPsSE_SF_SF_EESJ_SZ_SK_SL_SM_EUlSZ_E1_NS1_11comp_targetILNS1_3genE4ELNS1_11target_archE910ELNS1_3gpuE8ELNS1_3repE0EEENS1_36merge_oddeven_config_static_selectorELNS0_4arch9wavefront6targetE1EEEvSL_
		.amdhsa_group_segment_fixed_size 0
		.amdhsa_private_segment_fixed_size 0
		.amdhsa_kernarg_size 48
		.amdhsa_user_sgpr_count 2
		.amdhsa_user_sgpr_dispatch_ptr 0
		.amdhsa_user_sgpr_queue_ptr 0
		.amdhsa_user_sgpr_kernarg_segment_ptr 1
		.amdhsa_user_sgpr_dispatch_id 0
		.amdhsa_user_sgpr_kernarg_preload_length 0
		.amdhsa_user_sgpr_kernarg_preload_offset 0
		.amdhsa_user_sgpr_private_segment_size 0
		.amdhsa_uses_dynamic_stack 0
		.amdhsa_enable_private_segment 0
		.amdhsa_system_sgpr_workgroup_id_x 1
		.amdhsa_system_sgpr_workgroup_id_y 0
		.amdhsa_system_sgpr_workgroup_id_z 0
		.amdhsa_system_sgpr_workgroup_info 0
		.amdhsa_system_vgpr_workitem_id 0
		.amdhsa_next_free_vgpr 1
		.amdhsa_next_free_sgpr 0
		.amdhsa_accum_offset 4
		.amdhsa_reserve_vcc 0
		.amdhsa_float_round_mode_32 0
		.amdhsa_float_round_mode_16_64 0
		.amdhsa_float_denorm_mode_32 3
		.amdhsa_float_denorm_mode_16_64 3
		.amdhsa_dx10_clamp 1
		.amdhsa_ieee_mode 1
		.amdhsa_fp16_overflow 0
		.amdhsa_tg_split 0
		.amdhsa_exception_fp_ieee_invalid_op 0
		.amdhsa_exception_fp_denorm_src 0
		.amdhsa_exception_fp_ieee_div_zero 0
		.amdhsa_exception_fp_ieee_overflow 0
		.amdhsa_exception_fp_ieee_underflow 0
		.amdhsa_exception_fp_ieee_inexact 0
		.amdhsa_exception_int_div_zero 0
	.end_amdhsa_kernel
	.section	.text._ZN7rocprim17ROCPRIM_400000_NS6detail17trampoline_kernelINS0_14default_configENS1_38merge_sort_block_merge_config_selectorIsNS0_10empty_typeEEEZZNS1_27merge_sort_block_merge_implIS3_N6thrust23THRUST_200600_302600_NS6detail15normal_iteratorINS9_10device_ptrIsEEEEPS5_jNS1_19radix_merge_compareILb0ELb0EsNS0_19identity_decomposerEEEEE10hipError_tT0_T1_T2_jT3_P12ihipStream_tbPNSt15iterator_traitsISK_E10value_typeEPNSQ_ISL_E10value_typeEPSM_NS1_7vsmem_tEENKUlT_SK_SL_SM_E_clIPsSE_SF_SF_EESJ_SZ_SK_SL_SM_EUlSZ_E1_NS1_11comp_targetILNS1_3genE4ELNS1_11target_archE910ELNS1_3gpuE8ELNS1_3repE0EEENS1_36merge_oddeven_config_static_selectorELNS0_4arch9wavefront6targetE1EEEvSL_,"axG",@progbits,_ZN7rocprim17ROCPRIM_400000_NS6detail17trampoline_kernelINS0_14default_configENS1_38merge_sort_block_merge_config_selectorIsNS0_10empty_typeEEEZZNS1_27merge_sort_block_merge_implIS3_N6thrust23THRUST_200600_302600_NS6detail15normal_iteratorINS9_10device_ptrIsEEEEPS5_jNS1_19radix_merge_compareILb0ELb0EsNS0_19identity_decomposerEEEEE10hipError_tT0_T1_T2_jT3_P12ihipStream_tbPNSt15iterator_traitsISK_E10value_typeEPNSQ_ISL_E10value_typeEPSM_NS1_7vsmem_tEENKUlT_SK_SL_SM_E_clIPsSE_SF_SF_EESJ_SZ_SK_SL_SM_EUlSZ_E1_NS1_11comp_targetILNS1_3genE4ELNS1_11target_archE910ELNS1_3gpuE8ELNS1_3repE0EEENS1_36merge_oddeven_config_static_selectorELNS0_4arch9wavefront6targetE1EEEvSL_,comdat
.Lfunc_end1837:
	.size	_ZN7rocprim17ROCPRIM_400000_NS6detail17trampoline_kernelINS0_14default_configENS1_38merge_sort_block_merge_config_selectorIsNS0_10empty_typeEEEZZNS1_27merge_sort_block_merge_implIS3_N6thrust23THRUST_200600_302600_NS6detail15normal_iteratorINS9_10device_ptrIsEEEEPS5_jNS1_19radix_merge_compareILb0ELb0EsNS0_19identity_decomposerEEEEE10hipError_tT0_T1_T2_jT3_P12ihipStream_tbPNSt15iterator_traitsISK_E10value_typeEPNSQ_ISL_E10value_typeEPSM_NS1_7vsmem_tEENKUlT_SK_SL_SM_E_clIPsSE_SF_SF_EESJ_SZ_SK_SL_SM_EUlSZ_E1_NS1_11comp_targetILNS1_3genE4ELNS1_11target_archE910ELNS1_3gpuE8ELNS1_3repE0EEENS1_36merge_oddeven_config_static_selectorELNS0_4arch9wavefront6targetE1EEEvSL_, .Lfunc_end1837-_ZN7rocprim17ROCPRIM_400000_NS6detail17trampoline_kernelINS0_14default_configENS1_38merge_sort_block_merge_config_selectorIsNS0_10empty_typeEEEZZNS1_27merge_sort_block_merge_implIS3_N6thrust23THRUST_200600_302600_NS6detail15normal_iteratorINS9_10device_ptrIsEEEEPS5_jNS1_19radix_merge_compareILb0ELb0EsNS0_19identity_decomposerEEEEE10hipError_tT0_T1_T2_jT3_P12ihipStream_tbPNSt15iterator_traitsISK_E10value_typeEPNSQ_ISL_E10value_typeEPSM_NS1_7vsmem_tEENKUlT_SK_SL_SM_E_clIPsSE_SF_SF_EESJ_SZ_SK_SL_SM_EUlSZ_E1_NS1_11comp_targetILNS1_3genE4ELNS1_11target_archE910ELNS1_3gpuE8ELNS1_3repE0EEENS1_36merge_oddeven_config_static_selectorELNS0_4arch9wavefront6targetE1EEEvSL_
                                        ; -- End function
	.section	.AMDGPU.csdata,"",@progbits
; Kernel info:
; codeLenInByte = 0
; NumSgprs: 6
; NumVgprs: 0
; NumAgprs: 0
; TotalNumVgprs: 0
; ScratchSize: 0
; MemoryBound: 0
; FloatMode: 240
; IeeeMode: 1
; LDSByteSize: 0 bytes/workgroup (compile time only)
; SGPRBlocks: 0
; VGPRBlocks: 0
; NumSGPRsForWavesPerEU: 6
; NumVGPRsForWavesPerEU: 1
; AccumOffset: 4
; Occupancy: 8
; WaveLimiterHint : 0
; COMPUTE_PGM_RSRC2:SCRATCH_EN: 0
; COMPUTE_PGM_RSRC2:USER_SGPR: 2
; COMPUTE_PGM_RSRC2:TRAP_HANDLER: 0
; COMPUTE_PGM_RSRC2:TGID_X_EN: 1
; COMPUTE_PGM_RSRC2:TGID_Y_EN: 0
; COMPUTE_PGM_RSRC2:TGID_Z_EN: 0
; COMPUTE_PGM_RSRC2:TIDIG_COMP_CNT: 0
; COMPUTE_PGM_RSRC3_GFX90A:ACCUM_OFFSET: 0
; COMPUTE_PGM_RSRC3_GFX90A:TG_SPLIT: 0
	.section	.text._ZN7rocprim17ROCPRIM_400000_NS6detail17trampoline_kernelINS0_14default_configENS1_38merge_sort_block_merge_config_selectorIsNS0_10empty_typeEEEZZNS1_27merge_sort_block_merge_implIS3_N6thrust23THRUST_200600_302600_NS6detail15normal_iteratorINS9_10device_ptrIsEEEEPS5_jNS1_19radix_merge_compareILb0ELb0EsNS0_19identity_decomposerEEEEE10hipError_tT0_T1_T2_jT3_P12ihipStream_tbPNSt15iterator_traitsISK_E10value_typeEPNSQ_ISL_E10value_typeEPSM_NS1_7vsmem_tEENKUlT_SK_SL_SM_E_clIPsSE_SF_SF_EESJ_SZ_SK_SL_SM_EUlSZ_E1_NS1_11comp_targetILNS1_3genE3ELNS1_11target_archE908ELNS1_3gpuE7ELNS1_3repE0EEENS1_36merge_oddeven_config_static_selectorELNS0_4arch9wavefront6targetE1EEEvSL_,"axG",@progbits,_ZN7rocprim17ROCPRIM_400000_NS6detail17trampoline_kernelINS0_14default_configENS1_38merge_sort_block_merge_config_selectorIsNS0_10empty_typeEEEZZNS1_27merge_sort_block_merge_implIS3_N6thrust23THRUST_200600_302600_NS6detail15normal_iteratorINS9_10device_ptrIsEEEEPS5_jNS1_19radix_merge_compareILb0ELb0EsNS0_19identity_decomposerEEEEE10hipError_tT0_T1_T2_jT3_P12ihipStream_tbPNSt15iterator_traitsISK_E10value_typeEPNSQ_ISL_E10value_typeEPSM_NS1_7vsmem_tEENKUlT_SK_SL_SM_E_clIPsSE_SF_SF_EESJ_SZ_SK_SL_SM_EUlSZ_E1_NS1_11comp_targetILNS1_3genE3ELNS1_11target_archE908ELNS1_3gpuE7ELNS1_3repE0EEENS1_36merge_oddeven_config_static_selectorELNS0_4arch9wavefront6targetE1EEEvSL_,comdat
	.protected	_ZN7rocprim17ROCPRIM_400000_NS6detail17trampoline_kernelINS0_14default_configENS1_38merge_sort_block_merge_config_selectorIsNS0_10empty_typeEEEZZNS1_27merge_sort_block_merge_implIS3_N6thrust23THRUST_200600_302600_NS6detail15normal_iteratorINS9_10device_ptrIsEEEEPS5_jNS1_19radix_merge_compareILb0ELb0EsNS0_19identity_decomposerEEEEE10hipError_tT0_T1_T2_jT3_P12ihipStream_tbPNSt15iterator_traitsISK_E10value_typeEPNSQ_ISL_E10value_typeEPSM_NS1_7vsmem_tEENKUlT_SK_SL_SM_E_clIPsSE_SF_SF_EESJ_SZ_SK_SL_SM_EUlSZ_E1_NS1_11comp_targetILNS1_3genE3ELNS1_11target_archE908ELNS1_3gpuE7ELNS1_3repE0EEENS1_36merge_oddeven_config_static_selectorELNS0_4arch9wavefront6targetE1EEEvSL_ ; -- Begin function _ZN7rocprim17ROCPRIM_400000_NS6detail17trampoline_kernelINS0_14default_configENS1_38merge_sort_block_merge_config_selectorIsNS0_10empty_typeEEEZZNS1_27merge_sort_block_merge_implIS3_N6thrust23THRUST_200600_302600_NS6detail15normal_iteratorINS9_10device_ptrIsEEEEPS5_jNS1_19radix_merge_compareILb0ELb0EsNS0_19identity_decomposerEEEEE10hipError_tT0_T1_T2_jT3_P12ihipStream_tbPNSt15iterator_traitsISK_E10value_typeEPNSQ_ISL_E10value_typeEPSM_NS1_7vsmem_tEENKUlT_SK_SL_SM_E_clIPsSE_SF_SF_EESJ_SZ_SK_SL_SM_EUlSZ_E1_NS1_11comp_targetILNS1_3genE3ELNS1_11target_archE908ELNS1_3gpuE7ELNS1_3repE0EEENS1_36merge_oddeven_config_static_selectorELNS0_4arch9wavefront6targetE1EEEvSL_
	.globl	_ZN7rocprim17ROCPRIM_400000_NS6detail17trampoline_kernelINS0_14default_configENS1_38merge_sort_block_merge_config_selectorIsNS0_10empty_typeEEEZZNS1_27merge_sort_block_merge_implIS3_N6thrust23THRUST_200600_302600_NS6detail15normal_iteratorINS9_10device_ptrIsEEEEPS5_jNS1_19radix_merge_compareILb0ELb0EsNS0_19identity_decomposerEEEEE10hipError_tT0_T1_T2_jT3_P12ihipStream_tbPNSt15iterator_traitsISK_E10value_typeEPNSQ_ISL_E10value_typeEPSM_NS1_7vsmem_tEENKUlT_SK_SL_SM_E_clIPsSE_SF_SF_EESJ_SZ_SK_SL_SM_EUlSZ_E1_NS1_11comp_targetILNS1_3genE3ELNS1_11target_archE908ELNS1_3gpuE7ELNS1_3repE0EEENS1_36merge_oddeven_config_static_selectorELNS0_4arch9wavefront6targetE1EEEvSL_
	.p2align	8
	.type	_ZN7rocprim17ROCPRIM_400000_NS6detail17trampoline_kernelINS0_14default_configENS1_38merge_sort_block_merge_config_selectorIsNS0_10empty_typeEEEZZNS1_27merge_sort_block_merge_implIS3_N6thrust23THRUST_200600_302600_NS6detail15normal_iteratorINS9_10device_ptrIsEEEEPS5_jNS1_19radix_merge_compareILb0ELb0EsNS0_19identity_decomposerEEEEE10hipError_tT0_T1_T2_jT3_P12ihipStream_tbPNSt15iterator_traitsISK_E10value_typeEPNSQ_ISL_E10value_typeEPSM_NS1_7vsmem_tEENKUlT_SK_SL_SM_E_clIPsSE_SF_SF_EESJ_SZ_SK_SL_SM_EUlSZ_E1_NS1_11comp_targetILNS1_3genE3ELNS1_11target_archE908ELNS1_3gpuE7ELNS1_3repE0EEENS1_36merge_oddeven_config_static_selectorELNS0_4arch9wavefront6targetE1EEEvSL_,@function
_ZN7rocprim17ROCPRIM_400000_NS6detail17trampoline_kernelINS0_14default_configENS1_38merge_sort_block_merge_config_selectorIsNS0_10empty_typeEEEZZNS1_27merge_sort_block_merge_implIS3_N6thrust23THRUST_200600_302600_NS6detail15normal_iteratorINS9_10device_ptrIsEEEEPS5_jNS1_19radix_merge_compareILb0ELb0EsNS0_19identity_decomposerEEEEE10hipError_tT0_T1_T2_jT3_P12ihipStream_tbPNSt15iterator_traitsISK_E10value_typeEPNSQ_ISL_E10value_typeEPSM_NS1_7vsmem_tEENKUlT_SK_SL_SM_E_clIPsSE_SF_SF_EESJ_SZ_SK_SL_SM_EUlSZ_E1_NS1_11comp_targetILNS1_3genE3ELNS1_11target_archE908ELNS1_3gpuE7ELNS1_3repE0EEENS1_36merge_oddeven_config_static_selectorELNS0_4arch9wavefront6targetE1EEEvSL_: ; @_ZN7rocprim17ROCPRIM_400000_NS6detail17trampoline_kernelINS0_14default_configENS1_38merge_sort_block_merge_config_selectorIsNS0_10empty_typeEEEZZNS1_27merge_sort_block_merge_implIS3_N6thrust23THRUST_200600_302600_NS6detail15normal_iteratorINS9_10device_ptrIsEEEEPS5_jNS1_19radix_merge_compareILb0ELb0EsNS0_19identity_decomposerEEEEE10hipError_tT0_T1_T2_jT3_P12ihipStream_tbPNSt15iterator_traitsISK_E10value_typeEPNSQ_ISL_E10value_typeEPSM_NS1_7vsmem_tEENKUlT_SK_SL_SM_E_clIPsSE_SF_SF_EESJ_SZ_SK_SL_SM_EUlSZ_E1_NS1_11comp_targetILNS1_3genE3ELNS1_11target_archE908ELNS1_3gpuE7ELNS1_3repE0EEENS1_36merge_oddeven_config_static_selectorELNS0_4arch9wavefront6targetE1EEEvSL_
; %bb.0:
	.section	.rodata,"a",@progbits
	.p2align	6, 0x0
	.amdhsa_kernel _ZN7rocprim17ROCPRIM_400000_NS6detail17trampoline_kernelINS0_14default_configENS1_38merge_sort_block_merge_config_selectorIsNS0_10empty_typeEEEZZNS1_27merge_sort_block_merge_implIS3_N6thrust23THRUST_200600_302600_NS6detail15normal_iteratorINS9_10device_ptrIsEEEEPS5_jNS1_19radix_merge_compareILb0ELb0EsNS0_19identity_decomposerEEEEE10hipError_tT0_T1_T2_jT3_P12ihipStream_tbPNSt15iterator_traitsISK_E10value_typeEPNSQ_ISL_E10value_typeEPSM_NS1_7vsmem_tEENKUlT_SK_SL_SM_E_clIPsSE_SF_SF_EESJ_SZ_SK_SL_SM_EUlSZ_E1_NS1_11comp_targetILNS1_3genE3ELNS1_11target_archE908ELNS1_3gpuE7ELNS1_3repE0EEENS1_36merge_oddeven_config_static_selectorELNS0_4arch9wavefront6targetE1EEEvSL_
		.amdhsa_group_segment_fixed_size 0
		.amdhsa_private_segment_fixed_size 0
		.amdhsa_kernarg_size 48
		.amdhsa_user_sgpr_count 2
		.amdhsa_user_sgpr_dispatch_ptr 0
		.amdhsa_user_sgpr_queue_ptr 0
		.amdhsa_user_sgpr_kernarg_segment_ptr 1
		.amdhsa_user_sgpr_dispatch_id 0
		.amdhsa_user_sgpr_kernarg_preload_length 0
		.amdhsa_user_sgpr_kernarg_preload_offset 0
		.amdhsa_user_sgpr_private_segment_size 0
		.amdhsa_uses_dynamic_stack 0
		.amdhsa_enable_private_segment 0
		.amdhsa_system_sgpr_workgroup_id_x 1
		.amdhsa_system_sgpr_workgroup_id_y 0
		.amdhsa_system_sgpr_workgroup_id_z 0
		.amdhsa_system_sgpr_workgroup_info 0
		.amdhsa_system_vgpr_workitem_id 0
		.amdhsa_next_free_vgpr 1
		.amdhsa_next_free_sgpr 0
		.amdhsa_accum_offset 4
		.amdhsa_reserve_vcc 0
		.amdhsa_float_round_mode_32 0
		.amdhsa_float_round_mode_16_64 0
		.amdhsa_float_denorm_mode_32 3
		.amdhsa_float_denorm_mode_16_64 3
		.amdhsa_dx10_clamp 1
		.amdhsa_ieee_mode 1
		.amdhsa_fp16_overflow 0
		.amdhsa_tg_split 0
		.amdhsa_exception_fp_ieee_invalid_op 0
		.amdhsa_exception_fp_denorm_src 0
		.amdhsa_exception_fp_ieee_div_zero 0
		.amdhsa_exception_fp_ieee_overflow 0
		.amdhsa_exception_fp_ieee_underflow 0
		.amdhsa_exception_fp_ieee_inexact 0
		.amdhsa_exception_int_div_zero 0
	.end_amdhsa_kernel
	.section	.text._ZN7rocprim17ROCPRIM_400000_NS6detail17trampoline_kernelINS0_14default_configENS1_38merge_sort_block_merge_config_selectorIsNS0_10empty_typeEEEZZNS1_27merge_sort_block_merge_implIS3_N6thrust23THRUST_200600_302600_NS6detail15normal_iteratorINS9_10device_ptrIsEEEEPS5_jNS1_19radix_merge_compareILb0ELb0EsNS0_19identity_decomposerEEEEE10hipError_tT0_T1_T2_jT3_P12ihipStream_tbPNSt15iterator_traitsISK_E10value_typeEPNSQ_ISL_E10value_typeEPSM_NS1_7vsmem_tEENKUlT_SK_SL_SM_E_clIPsSE_SF_SF_EESJ_SZ_SK_SL_SM_EUlSZ_E1_NS1_11comp_targetILNS1_3genE3ELNS1_11target_archE908ELNS1_3gpuE7ELNS1_3repE0EEENS1_36merge_oddeven_config_static_selectorELNS0_4arch9wavefront6targetE1EEEvSL_,"axG",@progbits,_ZN7rocprim17ROCPRIM_400000_NS6detail17trampoline_kernelINS0_14default_configENS1_38merge_sort_block_merge_config_selectorIsNS0_10empty_typeEEEZZNS1_27merge_sort_block_merge_implIS3_N6thrust23THRUST_200600_302600_NS6detail15normal_iteratorINS9_10device_ptrIsEEEEPS5_jNS1_19radix_merge_compareILb0ELb0EsNS0_19identity_decomposerEEEEE10hipError_tT0_T1_T2_jT3_P12ihipStream_tbPNSt15iterator_traitsISK_E10value_typeEPNSQ_ISL_E10value_typeEPSM_NS1_7vsmem_tEENKUlT_SK_SL_SM_E_clIPsSE_SF_SF_EESJ_SZ_SK_SL_SM_EUlSZ_E1_NS1_11comp_targetILNS1_3genE3ELNS1_11target_archE908ELNS1_3gpuE7ELNS1_3repE0EEENS1_36merge_oddeven_config_static_selectorELNS0_4arch9wavefront6targetE1EEEvSL_,comdat
.Lfunc_end1838:
	.size	_ZN7rocprim17ROCPRIM_400000_NS6detail17trampoline_kernelINS0_14default_configENS1_38merge_sort_block_merge_config_selectorIsNS0_10empty_typeEEEZZNS1_27merge_sort_block_merge_implIS3_N6thrust23THRUST_200600_302600_NS6detail15normal_iteratorINS9_10device_ptrIsEEEEPS5_jNS1_19radix_merge_compareILb0ELb0EsNS0_19identity_decomposerEEEEE10hipError_tT0_T1_T2_jT3_P12ihipStream_tbPNSt15iterator_traitsISK_E10value_typeEPNSQ_ISL_E10value_typeEPSM_NS1_7vsmem_tEENKUlT_SK_SL_SM_E_clIPsSE_SF_SF_EESJ_SZ_SK_SL_SM_EUlSZ_E1_NS1_11comp_targetILNS1_3genE3ELNS1_11target_archE908ELNS1_3gpuE7ELNS1_3repE0EEENS1_36merge_oddeven_config_static_selectorELNS0_4arch9wavefront6targetE1EEEvSL_, .Lfunc_end1838-_ZN7rocprim17ROCPRIM_400000_NS6detail17trampoline_kernelINS0_14default_configENS1_38merge_sort_block_merge_config_selectorIsNS0_10empty_typeEEEZZNS1_27merge_sort_block_merge_implIS3_N6thrust23THRUST_200600_302600_NS6detail15normal_iteratorINS9_10device_ptrIsEEEEPS5_jNS1_19radix_merge_compareILb0ELb0EsNS0_19identity_decomposerEEEEE10hipError_tT0_T1_T2_jT3_P12ihipStream_tbPNSt15iterator_traitsISK_E10value_typeEPNSQ_ISL_E10value_typeEPSM_NS1_7vsmem_tEENKUlT_SK_SL_SM_E_clIPsSE_SF_SF_EESJ_SZ_SK_SL_SM_EUlSZ_E1_NS1_11comp_targetILNS1_3genE3ELNS1_11target_archE908ELNS1_3gpuE7ELNS1_3repE0EEENS1_36merge_oddeven_config_static_selectorELNS0_4arch9wavefront6targetE1EEEvSL_
                                        ; -- End function
	.section	.AMDGPU.csdata,"",@progbits
; Kernel info:
; codeLenInByte = 0
; NumSgprs: 6
; NumVgprs: 0
; NumAgprs: 0
; TotalNumVgprs: 0
; ScratchSize: 0
; MemoryBound: 0
; FloatMode: 240
; IeeeMode: 1
; LDSByteSize: 0 bytes/workgroup (compile time only)
; SGPRBlocks: 0
; VGPRBlocks: 0
; NumSGPRsForWavesPerEU: 6
; NumVGPRsForWavesPerEU: 1
; AccumOffset: 4
; Occupancy: 8
; WaveLimiterHint : 0
; COMPUTE_PGM_RSRC2:SCRATCH_EN: 0
; COMPUTE_PGM_RSRC2:USER_SGPR: 2
; COMPUTE_PGM_RSRC2:TRAP_HANDLER: 0
; COMPUTE_PGM_RSRC2:TGID_X_EN: 1
; COMPUTE_PGM_RSRC2:TGID_Y_EN: 0
; COMPUTE_PGM_RSRC2:TGID_Z_EN: 0
; COMPUTE_PGM_RSRC2:TIDIG_COMP_CNT: 0
; COMPUTE_PGM_RSRC3_GFX90A:ACCUM_OFFSET: 0
; COMPUTE_PGM_RSRC3_GFX90A:TG_SPLIT: 0
	.section	.text._ZN7rocprim17ROCPRIM_400000_NS6detail17trampoline_kernelINS0_14default_configENS1_38merge_sort_block_merge_config_selectorIsNS0_10empty_typeEEEZZNS1_27merge_sort_block_merge_implIS3_N6thrust23THRUST_200600_302600_NS6detail15normal_iteratorINS9_10device_ptrIsEEEEPS5_jNS1_19radix_merge_compareILb0ELb0EsNS0_19identity_decomposerEEEEE10hipError_tT0_T1_T2_jT3_P12ihipStream_tbPNSt15iterator_traitsISK_E10value_typeEPNSQ_ISL_E10value_typeEPSM_NS1_7vsmem_tEENKUlT_SK_SL_SM_E_clIPsSE_SF_SF_EESJ_SZ_SK_SL_SM_EUlSZ_E1_NS1_11comp_targetILNS1_3genE2ELNS1_11target_archE906ELNS1_3gpuE6ELNS1_3repE0EEENS1_36merge_oddeven_config_static_selectorELNS0_4arch9wavefront6targetE1EEEvSL_,"axG",@progbits,_ZN7rocprim17ROCPRIM_400000_NS6detail17trampoline_kernelINS0_14default_configENS1_38merge_sort_block_merge_config_selectorIsNS0_10empty_typeEEEZZNS1_27merge_sort_block_merge_implIS3_N6thrust23THRUST_200600_302600_NS6detail15normal_iteratorINS9_10device_ptrIsEEEEPS5_jNS1_19radix_merge_compareILb0ELb0EsNS0_19identity_decomposerEEEEE10hipError_tT0_T1_T2_jT3_P12ihipStream_tbPNSt15iterator_traitsISK_E10value_typeEPNSQ_ISL_E10value_typeEPSM_NS1_7vsmem_tEENKUlT_SK_SL_SM_E_clIPsSE_SF_SF_EESJ_SZ_SK_SL_SM_EUlSZ_E1_NS1_11comp_targetILNS1_3genE2ELNS1_11target_archE906ELNS1_3gpuE6ELNS1_3repE0EEENS1_36merge_oddeven_config_static_selectorELNS0_4arch9wavefront6targetE1EEEvSL_,comdat
	.protected	_ZN7rocprim17ROCPRIM_400000_NS6detail17trampoline_kernelINS0_14default_configENS1_38merge_sort_block_merge_config_selectorIsNS0_10empty_typeEEEZZNS1_27merge_sort_block_merge_implIS3_N6thrust23THRUST_200600_302600_NS6detail15normal_iteratorINS9_10device_ptrIsEEEEPS5_jNS1_19radix_merge_compareILb0ELb0EsNS0_19identity_decomposerEEEEE10hipError_tT0_T1_T2_jT3_P12ihipStream_tbPNSt15iterator_traitsISK_E10value_typeEPNSQ_ISL_E10value_typeEPSM_NS1_7vsmem_tEENKUlT_SK_SL_SM_E_clIPsSE_SF_SF_EESJ_SZ_SK_SL_SM_EUlSZ_E1_NS1_11comp_targetILNS1_3genE2ELNS1_11target_archE906ELNS1_3gpuE6ELNS1_3repE0EEENS1_36merge_oddeven_config_static_selectorELNS0_4arch9wavefront6targetE1EEEvSL_ ; -- Begin function _ZN7rocprim17ROCPRIM_400000_NS6detail17trampoline_kernelINS0_14default_configENS1_38merge_sort_block_merge_config_selectorIsNS0_10empty_typeEEEZZNS1_27merge_sort_block_merge_implIS3_N6thrust23THRUST_200600_302600_NS6detail15normal_iteratorINS9_10device_ptrIsEEEEPS5_jNS1_19radix_merge_compareILb0ELb0EsNS0_19identity_decomposerEEEEE10hipError_tT0_T1_T2_jT3_P12ihipStream_tbPNSt15iterator_traitsISK_E10value_typeEPNSQ_ISL_E10value_typeEPSM_NS1_7vsmem_tEENKUlT_SK_SL_SM_E_clIPsSE_SF_SF_EESJ_SZ_SK_SL_SM_EUlSZ_E1_NS1_11comp_targetILNS1_3genE2ELNS1_11target_archE906ELNS1_3gpuE6ELNS1_3repE0EEENS1_36merge_oddeven_config_static_selectorELNS0_4arch9wavefront6targetE1EEEvSL_
	.globl	_ZN7rocprim17ROCPRIM_400000_NS6detail17trampoline_kernelINS0_14default_configENS1_38merge_sort_block_merge_config_selectorIsNS0_10empty_typeEEEZZNS1_27merge_sort_block_merge_implIS3_N6thrust23THRUST_200600_302600_NS6detail15normal_iteratorINS9_10device_ptrIsEEEEPS5_jNS1_19radix_merge_compareILb0ELb0EsNS0_19identity_decomposerEEEEE10hipError_tT0_T1_T2_jT3_P12ihipStream_tbPNSt15iterator_traitsISK_E10value_typeEPNSQ_ISL_E10value_typeEPSM_NS1_7vsmem_tEENKUlT_SK_SL_SM_E_clIPsSE_SF_SF_EESJ_SZ_SK_SL_SM_EUlSZ_E1_NS1_11comp_targetILNS1_3genE2ELNS1_11target_archE906ELNS1_3gpuE6ELNS1_3repE0EEENS1_36merge_oddeven_config_static_selectorELNS0_4arch9wavefront6targetE1EEEvSL_
	.p2align	8
	.type	_ZN7rocprim17ROCPRIM_400000_NS6detail17trampoline_kernelINS0_14default_configENS1_38merge_sort_block_merge_config_selectorIsNS0_10empty_typeEEEZZNS1_27merge_sort_block_merge_implIS3_N6thrust23THRUST_200600_302600_NS6detail15normal_iteratorINS9_10device_ptrIsEEEEPS5_jNS1_19radix_merge_compareILb0ELb0EsNS0_19identity_decomposerEEEEE10hipError_tT0_T1_T2_jT3_P12ihipStream_tbPNSt15iterator_traitsISK_E10value_typeEPNSQ_ISL_E10value_typeEPSM_NS1_7vsmem_tEENKUlT_SK_SL_SM_E_clIPsSE_SF_SF_EESJ_SZ_SK_SL_SM_EUlSZ_E1_NS1_11comp_targetILNS1_3genE2ELNS1_11target_archE906ELNS1_3gpuE6ELNS1_3repE0EEENS1_36merge_oddeven_config_static_selectorELNS0_4arch9wavefront6targetE1EEEvSL_,@function
_ZN7rocprim17ROCPRIM_400000_NS6detail17trampoline_kernelINS0_14default_configENS1_38merge_sort_block_merge_config_selectorIsNS0_10empty_typeEEEZZNS1_27merge_sort_block_merge_implIS3_N6thrust23THRUST_200600_302600_NS6detail15normal_iteratorINS9_10device_ptrIsEEEEPS5_jNS1_19radix_merge_compareILb0ELb0EsNS0_19identity_decomposerEEEEE10hipError_tT0_T1_T2_jT3_P12ihipStream_tbPNSt15iterator_traitsISK_E10value_typeEPNSQ_ISL_E10value_typeEPSM_NS1_7vsmem_tEENKUlT_SK_SL_SM_E_clIPsSE_SF_SF_EESJ_SZ_SK_SL_SM_EUlSZ_E1_NS1_11comp_targetILNS1_3genE2ELNS1_11target_archE906ELNS1_3gpuE6ELNS1_3repE0EEENS1_36merge_oddeven_config_static_selectorELNS0_4arch9wavefront6targetE1EEEvSL_: ; @_ZN7rocprim17ROCPRIM_400000_NS6detail17trampoline_kernelINS0_14default_configENS1_38merge_sort_block_merge_config_selectorIsNS0_10empty_typeEEEZZNS1_27merge_sort_block_merge_implIS3_N6thrust23THRUST_200600_302600_NS6detail15normal_iteratorINS9_10device_ptrIsEEEEPS5_jNS1_19radix_merge_compareILb0ELb0EsNS0_19identity_decomposerEEEEE10hipError_tT0_T1_T2_jT3_P12ihipStream_tbPNSt15iterator_traitsISK_E10value_typeEPNSQ_ISL_E10value_typeEPSM_NS1_7vsmem_tEENKUlT_SK_SL_SM_E_clIPsSE_SF_SF_EESJ_SZ_SK_SL_SM_EUlSZ_E1_NS1_11comp_targetILNS1_3genE2ELNS1_11target_archE906ELNS1_3gpuE6ELNS1_3repE0EEENS1_36merge_oddeven_config_static_selectorELNS0_4arch9wavefront6targetE1EEEvSL_
; %bb.0:
	.section	.rodata,"a",@progbits
	.p2align	6, 0x0
	.amdhsa_kernel _ZN7rocprim17ROCPRIM_400000_NS6detail17trampoline_kernelINS0_14default_configENS1_38merge_sort_block_merge_config_selectorIsNS0_10empty_typeEEEZZNS1_27merge_sort_block_merge_implIS3_N6thrust23THRUST_200600_302600_NS6detail15normal_iteratorINS9_10device_ptrIsEEEEPS5_jNS1_19radix_merge_compareILb0ELb0EsNS0_19identity_decomposerEEEEE10hipError_tT0_T1_T2_jT3_P12ihipStream_tbPNSt15iterator_traitsISK_E10value_typeEPNSQ_ISL_E10value_typeEPSM_NS1_7vsmem_tEENKUlT_SK_SL_SM_E_clIPsSE_SF_SF_EESJ_SZ_SK_SL_SM_EUlSZ_E1_NS1_11comp_targetILNS1_3genE2ELNS1_11target_archE906ELNS1_3gpuE6ELNS1_3repE0EEENS1_36merge_oddeven_config_static_selectorELNS0_4arch9wavefront6targetE1EEEvSL_
		.amdhsa_group_segment_fixed_size 0
		.amdhsa_private_segment_fixed_size 0
		.amdhsa_kernarg_size 48
		.amdhsa_user_sgpr_count 2
		.amdhsa_user_sgpr_dispatch_ptr 0
		.amdhsa_user_sgpr_queue_ptr 0
		.amdhsa_user_sgpr_kernarg_segment_ptr 1
		.amdhsa_user_sgpr_dispatch_id 0
		.amdhsa_user_sgpr_kernarg_preload_length 0
		.amdhsa_user_sgpr_kernarg_preload_offset 0
		.amdhsa_user_sgpr_private_segment_size 0
		.amdhsa_uses_dynamic_stack 0
		.amdhsa_enable_private_segment 0
		.amdhsa_system_sgpr_workgroup_id_x 1
		.amdhsa_system_sgpr_workgroup_id_y 0
		.amdhsa_system_sgpr_workgroup_id_z 0
		.amdhsa_system_sgpr_workgroup_info 0
		.amdhsa_system_vgpr_workitem_id 0
		.amdhsa_next_free_vgpr 1
		.amdhsa_next_free_sgpr 0
		.amdhsa_accum_offset 4
		.amdhsa_reserve_vcc 0
		.amdhsa_float_round_mode_32 0
		.amdhsa_float_round_mode_16_64 0
		.amdhsa_float_denorm_mode_32 3
		.amdhsa_float_denorm_mode_16_64 3
		.amdhsa_dx10_clamp 1
		.amdhsa_ieee_mode 1
		.amdhsa_fp16_overflow 0
		.amdhsa_tg_split 0
		.amdhsa_exception_fp_ieee_invalid_op 0
		.amdhsa_exception_fp_denorm_src 0
		.amdhsa_exception_fp_ieee_div_zero 0
		.amdhsa_exception_fp_ieee_overflow 0
		.amdhsa_exception_fp_ieee_underflow 0
		.amdhsa_exception_fp_ieee_inexact 0
		.amdhsa_exception_int_div_zero 0
	.end_amdhsa_kernel
	.section	.text._ZN7rocprim17ROCPRIM_400000_NS6detail17trampoline_kernelINS0_14default_configENS1_38merge_sort_block_merge_config_selectorIsNS0_10empty_typeEEEZZNS1_27merge_sort_block_merge_implIS3_N6thrust23THRUST_200600_302600_NS6detail15normal_iteratorINS9_10device_ptrIsEEEEPS5_jNS1_19radix_merge_compareILb0ELb0EsNS0_19identity_decomposerEEEEE10hipError_tT0_T1_T2_jT3_P12ihipStream_tbPNSt15iterator_traitsISK_E10value_typeEPNSQ_ISL_E10value_typeEPSM_NS1_7vsmem_tEENKUlT_SK_SL_SM_E_clIPsSE_SF_SF_EESJ_SZ_SK_SL_SM_EUlSZ_E1_NS1_11comp_targetILNS1_3genE2ELNS1_11target_archE906ELNS1_3gpuE6ELNS1_3repE0EEENS1_36merge_oddeven_config_static_selectorELNS0_4arch9wavefront6targetE1EEEvSL_,"axG",@progbits,_ZN7rocprim17ROCPRIM_400000_NS6detail17trampoline_kernelINS0_14default_configENS1_38merge_sort_block_merge_config_selectorIsNS0_10empty_typeEEEZZNS1_27merge_sort_block_merge_implIS3_N6thrust23THRUST_200600_302600_NS6detail15normal_iteratorINS9_10device_ptrIsEEEEPS5_jNS1_19radix_merge_compareILb0ELb0EsNS0_19identity_decomposerEEEEE10hipError_tT0_T1_T2_jT3_P12ihipStream_tbPNSt15iterator_traitsISK_E10value_typeEPNSQ_ISL_E10value_typeEPSM_NS1_7vsmem_tEENKUlT_SK_SL_SM_E_clIPsSE_SF_SF_EESJ_SZ_SK_SL_SM_EUlSZ_E1_NS1_11comp_targetILNS1_3genE2ELNS1_11target_archE906ELNS1_3gpuE6ELNS1_3repE0EEENS1_36merge_oddeven_config_static_selectorELNS0_4arch9wavefront6targetE1EEEvSL_,comdat
.Lfunc_end1839:
	.size	_ZN7rocprim17ROCPRIM_400000_NS6detail17trampoline_kernelINS0_14default_configENS1_38merge_sort_block_merge_config_selectorIsNS0_10empty_typeEEEZZNS1_27merge_sort_block_merge_implIS3_N6thrust23THRUST_200600_302600_NS6detail15normal_iteratorINS9_10device_ptrIsEEEEPS5_jNS1_19radix_merge_compareILb0ELb0EsNS0_19identity_decomposerEEEEE10hipError_tT0_T1_T2_jT3_P12ihipStream_tbPNSt15iterator_traitsISK_E10value_typeEPNSQ_ISL_E10value_typeEPSM_NS1_7vsmem_tEENKUlT_SK_SL_SM_E_clIPsSE_SF_SF_EESJ_SZ_SK_SL_SM_EUlSZ_E1_NS1_11comp_targetILNS1_3genE2ELNS1_11target_archE906ELNS1_3gpuE6ELNS1_3repE0EEENS1_36merge_oddeven_config_static_selectorELNS0_4arch9wavefront6targetE1EEEvSL_, .Lfunc_end1839-_ZN7rocprim17ROCPRIM_400000_NS6detail17trampoline_kernelINS0_14default_configENS1_38merge_sort_block_merge_config_selectorIsNS0_10empty_typeEEEZZNS1_27merge_sort_block_merge_implIS3_N6thrust23THRUST_200600_302600_NS6detail15normal_iteratorINS9_10device_ptrIsEEEEPS5_jNS1_19radix_merge_compareILb0ELb0EsNS0_19identity_decomposerEEEEE10hipError_tT0_T1_T2_jT3_P12ihipStream_tbPNSt15iterator_traitsISK_E10value_typeEPNSQ_ISL_E10value_typeEPSM_NS1_7vsmem_tEENKUlT_SK_SL_SM_E_clIPsSE_SF_SF_EESJ_SZ_SK_SL_SM_EUlSZ_E1_NS1_11comp_targetILNS1_3genE2ELNS1_11target_archE906ELNS1_3gpuE6ELNS1_3repE0EEENS1_36merge_oddeven_config_static_selectorELNS0_4arch9wavefront6targetE1EEEvSL_
                                        ; -- End function
	.section	.AMDGPU.csdata,"",@progbits
; Kernel info:
; codeLenInByte = 0
; NumSgprs: 6
; NumVgprs: 0
; NumAgprs: 0
; TotalNumVgprs: 0
; ScratchSize: 0
; MemoryBound: 0
; FloatMode: 240
; IeeeMode: 1
; LDSByteSize: 0 bytes/workgroup (compile time only)
; SGPRBlocks: 0
; VGPRBlocks: 0
; NumSGPRsForWavesPerEU: 6
; NumVGPRsForWavesPerEU: 1
; AccumOffset: 4
; Occupancy: 8
; WaveLimiterHint : 0
; COMPUTE_PGM_RSRC2:SCRATCH_EN: 0
; COMPUTE_PGM_RSRC2:USER_SGPR: 2
; COMPUTE_PGM_RSRC2:TRAP_HANDLER: 0
; COMPUTE_PGM_RSRC2:TGID_X_EN: 1
; COMPUTE_PGM_RSRC2:TGID_Y_EN: 0
; COMPUTE_PGM_RSRC2:TGID_Z_EN: 0
; COMPUTE_PGM_RSRC2:TIDIG_COMP_CNT: 0
; COMPUTE_PGM_RSRC3_GFX90A:ACCUM_OFFSET: 0
; COMPUTE_PGM_RSRC3_GFX90A:TG_SPLIT: 0
	.section	.text._ZN7rocprim17ROCPRIM_400000_NS6detail17trampoline_kernelINS0_14default_configENS1_38merge_sort_block_merge_config_selectorIsNS0_10empty_typeEEEZZNS1_27merge_sort_block_merge_implIS3_N6thrust23THRUST_200600_302600_NS6detail15normal_iteratorINS9_10device_ptrIsEEEEPS5_jNS1_19radix_merge_compareILb0ELb0EsNS0_19identity_decomposerEEEEE10hipError_tT0_T1_T2_jT3_P12ihipStream_tbPNSt15iterator_traitsISK_E10value_typeEPNSQ_ISL_E10value_typeEPSM_NS1_7vsmem_tEENKUlT_SK_SL_SM_E_clIPsSE_SF_SF_EESJ_SZ_SK_SL_SM_EUlSZ_E1_NS1_11comp_targetILNS1_3genE9ELNS1_11target_archE1100ELNS1_3gpuE3ELNS1_3repE0EEENS1_36merge_oddeven_config_static_selectorELNS0_4arch9wavefront6targetE1EEEvSL_,"axG",@progbits,_ZN7rocprim17ROCPRIM_400000_NS6detail17trampoline_kernelINS0_14default_configENS1_38merge_sort_block_merge_config_selectorIsNS0_10empty_typeEEEZZNS1_27merge_sort_block_merge_implIS3_N6thrust23THRUST_200600_302600_NS6detail15normal_iteratorINS9_10device_ptrIsEEEEPS5_jNS1_19radix_merge_compareILb0ELb0EsNS0_19identity_decomposerEEEEE10hipError_tT0_T1_T2_jT3_P12ihipStream_tbPNSt15iterator_traitsISK_E10value_typeEPNSQ_ISL_E10value_typeEPSM_NS1_7vsmem_tEENKUlT_SK_SL_SM_E_clIPsSE_SF_SF_EESJ_SZ_SK_SL_SM_EUlSZ_E1_NS1_11comp_targetILNS1_3genE9ELNS1_11target_archE1100ELNS1_3gpuE3ELNS1_3repE0EEENS1_36merge_oddeven_config_static_selectorELNS0_4arch9wavefront6targetE1EEEvSL_,comdat
	.protected	_ZN7rocprim17ROCPRIM_400000_NS6detail17trampoline_kernelINS0_14default_configENS1_38merge_sort_block_merge_config_selectorIsNS0_10empty_typeEEEZZNS1_27merge_sort_block_merge_implIS3_N6thrust23THRUST_200600_302600_NS6detail15normal_iteratorINS9_10device_ptrIsEEEEPS5_jNS1_19radix_merge_compareILb0ELb0EsNS0_19identity_decomposerEEEEE10hipError_tT0_T1_T2_jT3_P12ihipStream_tbPNSt15iterator_traitsISK_E10value_typeEPNSQ_ISL_E10value_typeEPSM_NS1_7vsmem_tEENKUlT_SK_SL_SM_E_clIPsSE_SF_SF_EESJ_SZ_SK_SL_SM_EUlSZ_E1_NS1_11comp_targetILNS1_3genE9ELNS1_11target_archE1100ELNS1_3gpuE3ELNS1_3repE0EEENS1_36merge_oddeven_config_static_selectorELNS0_4arch9wavefront6targetE1EEEvSL_ ; -- Begin function _ZN7rocprim17ROCPRIM_400000_NS6detail17trampoline_kernelINS0_14default_configENS1_38merge_sort_block_merge_config_selectorIsNS0_10empty_typeEEEZZNS1_27merge_sort_block_merge_implIS3_N6thrust23THRUST_200600_302600_NS6detail15normal_iteratorINS9_10device_ptrIsEEEEPS5_jNS1_19radix_merge_compareILb0ELb0EsNS0_19identity_decomposerEEEEE10hipError_tT0_T1_T2_jT3_P12ihipStream_tbPNSt15iterator_traitsISK_E10value_typeEPNSQ_ISL_E10value_typeEPSM_NS1_7vsmem_tEENKUlT_SK_SL_SM_E_clIPsSE_SF_SF_EESJ_SZ_SK_SL_SM_EUlSZ_E1_NS1_11comp_targetILNS1_3genE9ELNS1_11target_archE1100ELNS1_3gpuE3ELNS1_3repE0EEENS1_36merge_oddeven_config_static_selectorELNS0_4arch9wavefront6targetE1EEEvSL_
	.globl	_ZN7rocprim17ROCPRIM_400000_NS6detail17trampoline_kernelINS0_14default_configENS1_38merge_sort_block_merge_config_selectorIsNS0_10empty_typeEEEZZNS1_27merge_sort_block_merge_implIS3_N6thrust23THRUST_200600_302600_NS6detail15normal_iteratorINS9_10device_ptrIsEEEEPS5_jNS1_19radix_merge_compareILb0ELb0EsNS0_19identity_decomposerEEEEE10hipError_tT0_T1_T2_jT3_P12ihipStream_tbPNSt15iterator_traitsISK_E10value_typeEPNSQ_ISL_E10value_typeEPSM_NS1_7vsmem_tEENKUlT_SK_SL_SM_E_clIPsSE_SF_SF_EESJ_SZ_SK_SL_SM_EUlSZ_E1_NS1_11comp_targetILNS1_3genE9ELNS1_11target_archE1100ELNS1_3gpuE3ELNS1_3repE0EEENS1_36merge_oddeven_config_static_selectorELNS0_4arch9wavefront6targetE1EEEvSL_
	.p2align	8
	.type	_ZN7rocprim17ROCPRIM_400000_NS6detail17trampoline_kernelINS0_14default_configENS1_38merge_sort_block_merge_config_selectorIsNS0_10empty_typeEEEZZNS1_27merge_sort_block_merge_implIS3_N6thrust23THRUST_200600_302600_NS6detail15normal_iteratorINS9_10device_ptrIsEEEEPS5_jNS1_19radix_merge_compareILb0ELb0EsNS0_19identity_decomposerEEEEE10hipError_tT0_T1_T2_jT3_P12ihipStream_tbPNSt15iterator_traitsISK_E10value_typeEPNSQ_ISL_E10value_typeEPSM_NS1_7vsmem_tEENKUlT_SK_SL_SM_E_clIPsSE_SF_SF_EESJ_SZ_SK_SL_SM_EUlSZ_E1_NS1_11comp_targetILNS1_3genE9ELNS1_11target_archE1100ELNS1_3gpuE3ELNS1_3repE0EEENS1_36merge_oddeven_config_static_selectorELNS0_4arch9wavefront6targetE1EEEvSL_,@function
_ZN7rocprim17ROCPRIM_400000_NS6detail17trampoline_kernelINS0_14default_configENS1_38merge_sort_block_merge_config_selectorIsNS0_10empty_typeEEEZZNS1_27merge_sort_block_merge_implIS3_N6thrust23THRUST_200600_302600_NS6detail15normal_iteratorINS9_10device_ptrIsEEEEPS5_jNS1_19radix_merge_compareILb0ELb0EsNS0_19identity_decomposerEEEEE10hipError_tT0_T1_T2_jT3_P12ihipStream_tbPNSt15iterator_traitsISK_E10value_typeEPNSQ_ISL_E10value_typeEPSM_NS1_7vsmem_tEENKUlT_SK_SL_SM_E_clIPsSE_SF_SF_EESJ_SZ_SK_SL_SM_EUlSZ_E1_NS1_11comp_targetILNS1_3genE9ELNS1_11target_archE1100ELNS1_3gpuE3ELNS1_3repE0EEENS1_36merge_oddeven_config_static_selectorELNS0_4arch9wavefront6targetE1EEEvSL_: ; @_ZN7rocprim17ROCPRIM_400000_NS6detail17trampoline_kernelINS0_14default_configENS1_38merge_sort_block_merge_config_selectorIsNS0_10empty_typeEEEZZNS1_27merge_sort_block_merge_implIS3_N6thrust23THRUST_200600_302600_NS6detail15normal_iteratorINS9_10device_ptrIsEEEEPS5_jNS1_19radix_merge_compareILb0ELb0EsNS0_19identity_decomposerEEEEE10hipError_tT0_T1_T2_jT3_P12ihipStream_tbPNSt15iterator_traitsISK_E10value_typeEPNSQ_ISL_E10value_typeEPSM_NS1_7vsmem_tEENKUlT_SK_SL_SM_E_clIPsSE_SF_SF_EESJ_SZ_SK_SL_SM_EUlSZ_E1_NS1_11comp_targetILNS1_3genE9ELNS1_11target_archE1100ELNS1_3gpuE3ELNS1_3repE0EEENS1_36merge_oddeven_config_static_selectorELNS0_4arch9wavefront6targetE1EEEvSL_
; %bb.0:
	.section	.rodata,"a",@progbits
	.p2align	6, 0x0
	.amdhsa_kernel _ZN7rocprim17ROCPRIM_400000_NS6detail17trampoline_kernelINS0_14default_configENS1_38merge_sort_block_merge_config_selectorIsNS0_10empty_typeEEEZZNS1_27merge_sort_block_merge_implIS3_N6thrust23THRUST_200600_302600_NS6detail15normal_iteratorINS9_10device_ptrIsEEEEPS5_jNS1_19radix_merge_compareILb0ELb0EsNS0_19identity_decomposerEEEEE10hipError_tT0_T1_T2_jT3_P12ihipStream_tbPNSt15iterator_traitsISK_E10value_typeEPNSQ_ISL_E10value_typeEPSM_NS1_7vsmem_tEENKUlT_SK_SL_SM_E_clIPsSE_SF_SF_EESJ_SZ_SK_SL_SM_EUlSZ_E1_NS1_11comp_targetILNS1_3genE9ELNS1_11target_archE1100ELNS1_3gpuE3ELNS1_3repE0EEENS1_36merge_oddeven_config_static_selectorELNS0_4arch9wavefront6targetE1EEEvSL_
		.amdhsa_group_segment_fixed_size 0
		.amdhsa_private_segment_fixed_size 0
		.amdhsa_kernarg_size 48
		.amdhsa_user_sgpr_count 2
		.amdhsa_user_sgpr_dispatch_ptr 0
		.amdhsa_user_sgpr_queue_ptr 0
		.amdhsa_user_sgpr_kernarg_segment_ptr 1
		.amdhsa_user_sgpr_dispatch_id 0
		.amdhsa_user_sgpr_kernarg_preload_length 0
		.amdhsa_user_sgpr_kernarg_preload_offset 0
		.amdhsa_user_sgpr_private_segment_size 0
		.amdhsa_uses_dynamic_stack 0
		.amdhsa_enable_private_segment 0
		.amdhsa_system_sgpr_workgroup_id_x 1
		.amdhsa_system_sgpr_workgroup_id_y 0
		.amdhsa_system_sgpr_workgroup_id_z 0
		.amdhsa_system_sgpr_workgroup_info 0
		.amdhsa_system_vgpr_workitem_id 0
		.amdhsa_next_free_vgpr 1
		.amdhsa_next_free_sgpr 0
		.amdhsa_accum_offset 4
		.amdhsa_reserve_vcc 0
		.amdhsa_float_round_mode_32 0
		.amdhsa_float_round_mode_16_64 0
		.amdhsa_float_denorm_mode_32 3
		.amdhsa_float_denorm_mode_16_64 3
		.amdhsa_dx10_clamp 1
		.amdhsa_ieee_mode 1
		.amdhsa_fp16_overflow 0
		.amdhsa_tg_split 0
		.amdhsa_exception_fp_ieee_invalid_op 0
		.amdhsa_exception_fp_denorm_src 0
		.amdhsa_exception_fp_ieee_div_zero 0
		.amdhsa_exception_fp_ieee_overflow 0
		.amdhsa_exception_fp_ieee_underflow 0
		.amdhsa_exception_fp_ieee_inexact 0
		.amdhsa_exception_int_div_zero 0
	.end_amdhsa_kernel
	.section	.text._ZN7rocprim17ROCPRIM_400000_NS6detail17trampoline_kernelINS0_14default_configENS1_38merge_sort_block_merge_config_selectorIsNS0_10empty_typeEEEZZNS1_27merge_sort_block_merge_implIS3_N6thrust23THRUST_200600_302600_NS6detail15normal_iteratorINS9_10device_ptrIsEEEEPS5_jNS1_19radix_merge_compareILb0ELb0EsNS0_19identity_decomposerEEEEE10hipError_tT0_T1_T2_jT3_P12ihipStream_tbPNSt15iterator_traitsISK_E10value_typeEPNSQ_ISL_E10value_typeEPSM_NS1_7vsmem_tEENKUlT_SK_SL_SM_E_clIPsSE_SF_SF_EESJ_SZ_SK_SL_SM_EUlSZ_E1_NS1_11comp_targetILNS1_3genE9ELNS1_11target_archE1100ELNS1_3gpuE3ELNS1_3repE0EEENS1_36merge_oddeven_config_static_selectorELNS0_4arch9wavefront6targetE1EEEvSL_,"axG",@progbits,_ZN7rocprim17ROCPRIM_400000_NS6detail17trampoline_kernelINS0_14default_configENS1_38merge_sort_block_merge_config_selectorIsNS0_10empty_typeEEEZZNS1_27merge_sort_block_merge_implIS3_N6thrust23THRUST_200600_302600_NS6detail15normal_iteratorINS9_10device_ptrIsEEEEPS5_jNS1_19radix_merge_compareILb0ELb0EsNS0_19identity_decomposerEEEEE10hipError_tT0_T1_T2_jT3_P12ihipStream_tbPNSt15iterator_traitsISK_E10value_typeEPNSQ_ISL_E10value_typeEPSM_NS1_7vsmem_tEENKUlT_SK_SL_SM_E_clIPsSE_SF_SF_EESJ_SZ_SK_SL_SM_EUlSZ_E1_NS1_11comp_targetILNS1_3genE9ELNS1_11target_archE1100ELNS1_3gpuE3ELNS1_3repE0EEENS1_36merge_oddeven_config_static_selectorELNS0_4arch9wavefront6targetE1EEEvSL_,comdat
.Lfunc_end1840:
	.size	_ZN7rocprim17ROCPRIM_400000_NS6detail17trampoline_kernelINS0_14default_configENS1_38merge_sort_block_merge_config_selectorIsNS0_10empty_typeEEEZZNS1_27merge_sort_block_merge_implIS3_N6thrust23THRUST_200600_302600_NS6detail15normal_iteratorINS9_10device_ptrIsEEEEPS5_jNS1_19radix_merge_compareILb0ELb0EsNS0_19identity_decomposerEEEEE10hipError_tT0_T1_T2_jT3_P12ihipStream_tbPNSt15iterator_traitsISK_E10value_typeEPNSQ_ISL_E10value_typeEPSM_NS1_7vsmem_tEENKUlT_SK_SL_SM_E_clIPsSE_SF_SF_EESJ_SZ_SK_SL_SM_EUlSZ_E1_NS1_11comp_targetILNS1_3genE9ELNS1_11target_archE1100ELNS1_3gpuE3ELNS1_3repE0EEENS1_36merge_oddeven_config_static_selectorELNS0_4arch9wavefront6targetE1EEEvSL_, .Lfunc_end1840-_ZN7rocprim17ROCPRIM_400000_NS6detail17trampoline_kernelINS0_14default_configENS1_38merge_sort_block_merge_config_selectorIsNS0_10empty_typeEEEZZNS1_27merge_sort_block_merge_implIS3_N6thrust23THRUST_200600_302600_NS6detail15normal_iteratorINS9_10device_ptrIsEEEEPS5_jNS1_19radix_merge_compareILb0ELb0EsNS0_19identity_decomposerEEEEE10hipError_tT0_T1_T2_jT3_P12ihipStream_tbPNSt15iterator_traitsISK_E10value_typeEPNSQ_ISL_E10value_typeEPSM_NS1_7vsmem_tEENKUlT_SK_SL_SM_E_clIPsSE_SF_SF_EESJ_SZ_SK_SL_SM_EUlSZ_E1_NS1_11comp_targetILNS1_3genE9ELNS1_11target_archE1100ELNS1_3gpuE3ELNS1_3repE0EEENS1_36merge_oddeven_config_static_selectorELNS0_4arch9wavefront6targetE1EEEvSL_
                                        ; -- End function
	.section	.AMDGPU.csdata,"",@progbits
; Kernel info:
; codeLenInByte = 0
; NumSgprs: 6
; NumVgprs: 0
; NumAgprs: 0
; TotalNumVgprs: 0
; ScratchSize: 0
; MemoryBound: 0
; FloatMode: 240
; IeeeMode: 1
; LDSByteSize: 0 bytes/workgroup (compile time only)
; SGPRBlocks: 0
; VGPRBlocks: 0
; NumSGPRsForWavesPerEU: 6
; NumVGPRsForWavesPerEU: 1
; AccumOffset: 4
; Occupancy: 8
; WaveLimiterHint : 0
; COMPUTE_PGM_RSRC2:SCRATCH_EN: 0
; COMPUTE_PGM_RSRC2:USER_SGPR: 2
; COMPUTE_PGM_RSRC2:TRAP_HANDLER: 0
; COMPUTE_PGM_RSRC2:TGID_X_EN: 1
; COMPUTE_PGM_RSRC2:TGID_Y_EN: 0
; COMPUTE_PGM_RSRC2:TGID_Z_EN: 0
; COMPUTE_PGM_RSRC2:TIDIG_COMP_CNT: 0
; COMPUTE_PGM_RSRC3_GFX90A:ACCUM_OFFSET: 0
; COMPUTE_PGM_RSRC3_GFX90A:TG_SPLIT: 0
	.section	.text._ZN7rocprim17ROCPRIM_400000_NS6detail17trampoline_kernelINS0_14default_configENS1_38merge_sort_block_merge_config_selectorIsNS0_10empty_typeEEEZZNS1_27merge_sort_block_merge_implIS3_N6thrust23THRUST_200600_302600_NS6detail15normal_iteratorINS9_10device_ptrIsEEEEPS5_jNS1_19radix_merge_compareILb0ELb0EsNS0_19identity_decomposerEEEEE10hipError_tT0_T1_T2_jT3_P12ihipStream_tbPNSt15iterator_traitsISK_E10value_typeEPNSQ_ISL_E10value_typeEPSM_NS1_7vsmem_tEENKUlT_SK_SL_SM_E_clIPsSE_SF_SF_EESJ_SZ_SK_SL_SM_EUlSZ_E1_NS1_11comp_targetILNS1_3genE8ELNS1_11target_archE1030ELNS1_3gpuE2ELNS1_3repE0EEENS1_36merge_oddeven_config_static_selectorELNS0_4arch9wavefront6targetE1EEEvSL_,"axG",@progbits,_ZN7rocprim17ROCPRIM_400000_NS6detail17trampoline_kernelINS0_14default_configENS1_38merge_sort_block_merge_config_selectorIsNS0_10empty_typeEEEZZNS1_27merge_sort_block_merge_implIS3_N6thrust23THRUST_200600_302600_NS6detail15normal_iteratorINS9_10device_ptrIsEEEEPS5_jNS1_19radix_merge_compareILb0ELb0EsNS0_19identity_decomposerEEEEE10hipError_tT0_T1_T2_jT3_P12ihipStream_tbPNSt15iterator_traitsISK_E10value_typeEPNSQ_ISL_E10value_typeEPSM_NS1_7vsmem_tEENKUlT_SK_SL_SM_E_clIPsSE_SF_SF_EESJ_SZ_SK_SL_SM_EUlSZ_E1_NS1_11comp_targetILNS1_3genE8ELNS1_11target_archE1030ELNS1_3gpuE2ELNS1_3repE0EEENS1_36merge_oddeven_config_static_selectorELNS0_4arch9wavefront6targetE1EEEvSL_,comdat
	.protected	_ZN7rocprim17ROCPRIM_400000_NS6detail17trampoline_kernelINS0_14default_configENS1_38merge_sort_block_merge_config_selectorIsNS0_10empty_typeEEEZZNS1_27merge_sort_block_merge_implIS3_N6thrust23THRUST_200600_302600_NS6detail15normal_iteratorINS9_10device_ptrIsEEEEPS5_jNS1_19radix_merge_compareILb0ELb0EsNS0_19identity_decomposerEEEEE10hipError_tT0_T1_T2_jT3_P12ihipStream_tbPNSt15iterator_traitsISK_E10value_typeEPNSQ_ISL_E10value_typeEPSM_NS1_7vsmem_tEENKUlT_SK_SL_SM_E_clIPsSE_SF_SF_EESJ_SZ_SK_SL_SM_EUlSZ_E1_NS1_11comp_targetILNS1_3genE8ELNS1_11target_archE1030ELNS1_3gpuE2ELNS1_3repE0EEENS1_36merge_oddeven_config_static_selectorELNS0_4arch9wavefront6targetE1EEEvSL_ ; -- Begin function _ZN7rocprim17ROCPRIM_400000_NS6detail17trampoline_kernelINS0_14default_configENS1_38merge_sort_block_merge_config_selectorIsNS0_10empty_typeEEEZZNS1_27merge_sort_block_merge_implIS3_N6thrust23THRUST_200600_302600_NS6detail15normal_iteratorINS9_10device_ptrIsEEEEPS5_jNS1_19radix_merge_compareILb0ELb0EsNS0_19identity_decomposerEEEEE10hipError_tT0_T1_T2_jT3_P12ihipStream_tbPNSt15iterator_traitsISK_E10value_typeEPNSQ_ISL_E10value_typeEPSM_NS1_7vsmem_tEENKUlT_SK_SL_SM_E_clIPsSE_SF_SF_EESJ_SZ_SK_SL_SM_EUlSZ_E1_NS1_11comp_targetILNS1_3genE8ELNS1_11target_archE1030ELNS1_3gpuE2ELNS1_3repE0EEENS1_36merge_oddeven_config_static_selectorELNS0_4arch9wavefront6targetE1EEEvSL_
	.globl	_ZN7rocprim17ROCPRIM_400000_NS6detail17trampoline_kernelINS0_14default_configENS1_38merge_sort_block_merge_config_selectorIsNS0_10empty_typeEEEZZNS1_27merge_sort_block_merge_implIS3_N6thrust23THRUST_200600_302600_NS6detail15normal_iteratorINS9_10device_ptrIsEEEEPS5_jNS1_19radix_merge_compareILb0ELb0EsNS0_19identity_decomposerEEEEE10hipError_tT0_T1_T2_jT3_P12ihipStream_tbPNSt15iterator_traitsISK_E10value_typeEPNSQ_ISL_E10value_typeEPSM_NS1_7vsmem_tEENKUlT_SK_SL_SM_E_clIPsSE_SF_SF_EESJ_SZ_SK_SL_SM_EUlSZ_E1_NS1_11comp_targetILNS1_3genE8ELNS1_11target_archE1030ELNS1_3gpuE2ELNS1_3repE0EEENS1_36merge_oddeven_config_static_selectorELNS0_4arch9wavefront6targetE1EEEvSL_
	.p2align	8
	.type	_ZN7rocprim17ROCPRIM_400000_NS6detail17trampoline_kernelINS0_14default_configENS1_38merge_sort_block_merge_config_selectorIsNS0_10empty_typeEEEZZNS1_27merge_sort_block_merge_implIS3_N6thrust23THRUST_200600_302600_NS6detail15normal_iteratorINS9_10device_ptrIsEEEEPS5_jNS1_19radix_merge_compareILb0ELb0EsNS0_19identity_decomposerEEEEE10hipError_tT0_T1_T2_jT3_P12ihipStream_tbPNSt15iterator_traitsISK_E10value_typeEPNSQ_ISL_E10value_typeEPSM_NS1_7vsmem_tEENKUlT_SK_SL_SM_E_clIPsSE_SF_SF_EESJ_SZ_SK_SL_SM_EUlSZ_E1_NS1_11comp_targetILNS1_3genE8ELNS1_11target_archE1030ELNS1_3gpuE2ELNS1_3repE0EEENS1_36merge_oddeven_config_static_selectorELNS0_4arch9wavefront6targetE1EEEvSL_,@function
_ZN7rocprim17ROCPRIM_400000_NS6detail17trampoline_kernelINS0_14default_configENS1_38merge_sort_block_merge_config_selectorIsNS0_10empty_typeEEEZZNS1_27merge_sort_block_merge_implIS3_N6thrust23THRUST_200600_302600_NS6detail15normal_iteratorINS9_10device_ptrIsEEEEPS5_jNS1_19radix_merge_compareILb0ELb0EsNS0_19identity_decomposerEEEEE10hipError_tT0_T1_T2_jT3_P12ihipStream_tbPNSt15iterator_traitsISK_E10value_typeEPNSQ_ISL_E10value_typeEPSM_NS1_7vsmem_tEENKUlT_SK_SL_SM_E_clIPsSE_SF_SF_EESJ_SZ_SK_SL_SM_EUlSZ_E1_NS1_11comp_targetILNS1_3genE8ELNS1_11target_archE1030ELNS1_3gpuE2ELNS1_3repE0EEENS1_36merge_oddeven_config_static_selectorELNS0_4arch9wavefront6targetE1EEEvSL_: ; @_ZN7rocprim17ROCPRIM_400000_NS6detail17trampoline_kernelINS0_14default_configENS1_38merge_sort_block_merge_config_selectorIsNS0_10empty_typeEEEZZNS1_27merge_sort_block_merge_implIS3_N6thrust23THRUST_200600_302600_NS6detail15normal_iteratorINS9_10device_ptrIsEEEEPS5_jNS1_19radix_merge_compareILb0ELb0EsNS0_19identity_decomposerEEEEE10hipError_tT0_T1_T2_jT3_P12ihipStream_tbPNSt15iterator_traitsISK_E10value_typeEPNSQ_ISL_E10value_typeEPSM_NS1_7vsmem_tEENKUlT_SK_SL_SM_E_clIPsSE_SF_SF_EESJ_SZ_SK_SL_SM_EUlSZ_E1_NS1_11comp_targetILNS1_3genE8ELNS1_11target_archE1030ELNS1_3gpuE2ELNS1_3repE0EEENS1_36merge_oddeven_config_static_selectorELNS0_4arch9wavefront6targetE1EEEvSL_
; %bb.0:
	.section	.rodata,"a",@progbits
	.p2align	6, 0x0
	.amdhsa_kernel _ZN7rocprim17ROCPRIM_400000_NS6detail17trampoline_kernelINS0_14default_configENS1_38merge_sort_block_merge_config_selectorIsNS0_10empty_typeEEEZZNS1_27merge_sort_block_merge_implIS3_N6thrust23THRUST_200600_302600_NS6detail15normal_iteratorINS9_10device_ptrIsEEEEPS5_jNS1_19radix_merge_compareILb0ELb0EsNS0_19identity_decomposerEEEEE10hipError_tT0_T1_T2_jT3_P12ihipStream_tbPNSt15iterator_traitsISK_E10value_typeEPNSQ_ISL_E10value_typeEPSM_NS1_7vsmem_tEENKUlT_SK_SL_SM_E_clIPsSE_SF_SF_EESJ_SZ_SK_SL_SM_EUlSZ_E1_NS1_11comp_targetILNS1_3genE8ELNS1_11target_archE1030ELNS1_3gpuE2ELNS1_3repE0EEENS1_36merge_oddeven_config_static_selectorELNS0_4arch9wavefront6targetE1EEEvSL_
		.amdhsa_group_segment_fixed_size 0
		.amdhsa_private_segment_fixed_size 0
		.amdhsa_kernarg_size 48
		.amdhsa_user_sgpr_count 2
		.amdhsa_user_sgpr_dispatch_ptr 0
		.amdhsa_user_sgpr_queue_ptr 0
		.amdhsa_user_sgpr_kernarg_segment_ptr 1
		.amdhsa_user_sgpr_dispatch_id 0
		.amdhsa_user_sgpr_kernarg_preload_length 0
		.amdhsa_user_sgpr_kernarg_preload_offset 0
		.amdhsa_user_sgpr_private_segment_size 0
		.amdhsa_uses_dynamic_stack 0
		.amdhsa_enable_private_segment 0
		.amdhsa_system_sgpr_workgroup_id_x 1
		.amdhsa_system_sgpr_workgroup_id_y 0
		.amdhsa_system_sgpr_workgroup_id_z 0
		.amdhsa_system_sgpr_workgroup_info 0
		.amdhsa_system_vgpr_workitem_id 0
		.amdhsa_next_free_vgpr 1
		.amdhsa_next_free_sgpr 0
		.amdhsa_accum_offset 4
		.amdhsa_reserve_vcc 0
		.amdhsa_float_round_mode_32 0
		.amdhsa_float_round_mode_16_64 0
		.amdhsa_float_denorm_mode_32 3
		.amdhsa_float_denorm_mode_16_64 3
		.amdhsa_dx10_clamp 1
		.amdhsa_ieee_mode 1
		.amdhsa_fp16_overflow 0
		.amdhsa_tg_split 0
		.amdhsa_exception_fp_ieee_invalid_op 0
		.amdhsa_exception_fp_denorm_src 0
		.amdhsa_exception_fp_ieee_div_zero 0
		.amdhsa_exception_fp_ieee_overflow 0
		.amdhsa_exception_fp_ieee_underflow 0
		.amdhsa_exception_fp_ieee_inexact 0
		.amdhsa_exception_int_div_zero 0
	.end_amdhsa_kernel
	.section	.text._ZN7rocprim17ROCPRIM_400000_NS6detail17trampoline_kernelINS0_14default_configENS1_38merge_sort_block_merge_config_selectorIsNS0_10empty_typeEEEZZNS1_27merge_sort_block_merge_implIS3_N6thrust23THRUST_200600_302600_NS6detail15normal_iteratorINS9_10device_ptrIsEEEEPS5_jNS1_19radix_merge_compareILb0ELb0EsNS0_19identity_decomposerEEEEE10hipError_tT0_T1_T2_jT3_P12ihipStream_tbPNSt15iterator_traitsISK_E10value_typeEPNSQ_ISL_E10value_typeEPSM_NS1_7vsmem_tEENKUlT_SK_SL_SM_E_clIPsSE_SF_SF_EESJ_SZ_SK_SL_SM_EUlSZ_E1_NS1_11comp_targetILNS1_3genE8ELNS1_11target_archE1030ELNS1_3gpuE2ELNS1_3repE0EEENS1_36merge_oddeven_config_static_selectorELNS0_4arch9wavefront6targetE1EEEvSL_,"axG",@progbits,_ZN7rocprim17ROCPRIM_400000_NS6detail17trampoline_kernelINS0_14default_configENS1_38merge_sort_block_merge_config_selectorIsNS0_10empty_typeEEEZZNS1_27merge_sort_block_merge_implIS3_N6thrust23THRUST_200600_302600_NS6detail15normal_iteratorINS9_10device_ptrIsEEEEPS5_jNS1_19radix_merge_compareILb0ELb0EsNS0_19identity_decomposerEEEEE10hipError_tT0_T1_T2_jT3_P12ihipStream_tbPNSt15iterator_traitsISK_E10value_typeEPNSQ_ISL_E10value_typeEPSM_NS1_7vsmem_tEENKUlT_SK_SL_SM_E_clIPsSE_SF_SF_EESJ_SZ_SK_SL_SM_EUlSZ_E1_NS1_11comp_targetILNS1_3genE8ELNS1_11target_archE1030ELNS1_3gpuE2ELNS1_3repE0EEENS1_36merge_oddeven_config_static_selectorELNS0_4arch9wavefront6targetE1EEEvSL_,comdat
.Lfunc_end1841:
	.size	_ZN7rocprim17ROCPRIM_400000_NS6detail17trampoline_kernelINS0_14default_configENS1_38merge_sort_block_merge_config_selectorIsNS0_10empty_typeEEEZZNS1_27merge_sort_block_merge_implIS3_N6thrust23THRUST_200600_302600_NS6detail15normal_iteratorINS9_10device_ptrIsEEEEPS5_jNS1_19radix_merge_compareILb0ELb0EsNS0_19identity_decomposerEEEEE10hipError_tT0_T1_T2_jT3_P12ihipStream_tbPNSt15iterator_traitsISK_E10value_typeEPNSQ_ISL_E10value_typeEPSM_NS1_7vsmem_tEENKUlT_SK_SL_SM_E_clIPsSE_SF_SF_EESJ_SZ_SK_SL_SM_EUlSZ_E1_NS1_11comp_targetILNS1_3genE8ELNS1_11target_archE1030ELNS1_3gpuE2ELNS1_3repE0EEENS1_36merge_oddeven_config_static_selectorELNS0_4arch9wavefront6targetE1EEEvSL_, .Lfunc_end1841-_ZN7rocprim17ROCPRIM_400000_NS6detail17trampoline_kernelINS0_14default_configENS1_38merge_sort_block_merge_config_selectorIsNS0_10empty_typeEEEZZNS1_27merge_sort_block_merge_implIS3_N6thrust23THRUST_200600_302600_NS6detail15normal_iteratorINS9_10device_ptrIsEEEEPS5_jNS1_19radix_merge_compareILb0ELb0EsNS0_19identity_decomposerEEEEE10hipError_tT0_T1_T2_jT3_P12ihipStream_tbPNSt15iterator_traitsISK_E10value_typeEPNSQ_ISL_E10value_typeEPSM_NS1_7vsmem_tEENKUlT_SK_SL_SM_E_clIPsSE_SF_SF_EESJ_SZ_SK_SL_SM_EUlSZ_E1_NS1_11comp_targetILNS1_3genE8ELNS1_11target_archE1030ELNS1_3gpuE2ELNS1_3repE0EEENS1_36merge_oddeven_config_static_selectorELNS0_4arch9wavefront6targetE1EEEvSL_
                                        ; -- End function
	.section	.AMDGPU.csdata,"",@progbits
; Kernel info:
; codeLenInByte = 0
; NumSgprs: 6
; NumVgprs: 0
; NumAgprs: 0
; TotalNumVgprs: 0
; ScratchSize: 0
; MemoryBound: 0
; FloatMode: 240
; IeeeMode: 1
; LDSByteSize: 0 bytes/workgroup (compile time only)
; SGPRBlocks: 0
; VGPRBlocks: 0
; NumSGPRsForWavesPerEU: 6
; NumVGPRsForWavesPerEU: 1
; AccumOffset: 4
; Occupancy: 8
; WaveLimiterHint : 0
; COMPUTE_PGM_RSRC2:SCRATCH_EN: 0
; COMPUTE_PGM_RSRC2:USER_SGPR: 2
; COMPUTE_PGM_RSRC2:TRAP_HANDLER: 0
; COMPUTE_PGM_RSRC2:TGID_X_EN: 1
; COMPUTE_PGM_RSRC2:TGID_Y_EN: 0
; COMPUTE_PGM_RSRC2:TGID_Z_EN: 0
; COMPUTE_PGM_RSRC2:TIDIG_COMP_CNT: 0
; COMPUTE_PGM_RSRC3_GFX90A:ACCUM_OFFSET: 0
; COMPUTE_PGM_RSRC3_GFX90A:TG_SPLIT: 0
	.section	.text._ZN7rocprim17ROCPRIM_400000_NS6detail17trampoline_kernelINS0_14default_configENS1_38merge_sort_block_merge_config_selectorIsNS0_10empty_typeEEEZZNS1_27merge_sort_block_merge_implIS3_N6thrust23THRUST_200600_302600_NS6detail15normal_iteratorINS9_10device_ptrIsEEEEPS5_jNS1_19radix_merge_compareILb0ELb0EsNS0_19identity_decomposerEEEEE10hipError_tT0_T1_T2_jT3_P12ihipStream_tbPNSt15iterator_traitsISK_E10value_typeEPNSQ_ISL_E10value_typeEPSM_NS1_7vsmem_tEENKUlT_SK_SL_SM_E_clISE_PsSF_SF_EESJ_SZ_SK_SL_SM_EUlSZ_E_NS1_11comp_targetILNS1_3genE0ELNS1_11target_archE4294967295ELNS1_3gpuE0ELNS1_3repE0EEENS1_48merge_mergepath_partition_config_static_selectorELNS0_4arch9wavefront6targetE1EEEvSL_,"axG",@progbits,_ZN7rocprim17ROCPRIM_400000_NS6detail17trampoline_kernelINS0_14default_configENS1_38merge_sort_block_merge_config_selectorIsNS0_10empty_typeEEEZZNS1_27merge_sort_block_merge_implIS3_N6thrust23THRUST_200600_302600_NS6detail15normal_iteratorINS9_10device_ptrIsEEEEPS5_jNS1_19radix_merge_compareILb0ELb0EsNS0_19identity_decomposerEEEEE10hipError_tT0_T1_T2_jT3_P12ihipStream_tbPNSt15iterator_traitsISK_E10value_typeEPNSQ_ISL_E10value_typeEPSM_NS1_7vsmem_tEENKUlT_SK_SL_SM_E_clISE_PsSF_SF_EESJ_SZ_SK_SL_SM_EUlSZ_E_NS1_11comp_targetILNS1_3genE0ELNS1_11target_archE4294967295ELNS1_3gpuE0ELNS1_3repE0EEENS1_48merge_mergepath_partition_config_static_selectorELNS0_4arch9wavefront6targetE1EEEvSL_,comdat
	.protected	_ZN7rocprim17ROCPRIM_400000_NS6detail17trampoline_kernelINS0_14default_configENS1_38merge_sort_block_merge_config_selectorIsNS0_10empty_typeEEEZZNS1_27merge_sort_block_merge_implIS3_N6thrust23THRUST_200600_302600_NS6detail15normal_iteratorINS9_10device_ptrIsEEEEPS5_jNS1_19radix_merge_compareILb0ELb0EsNS0_19identity_decomposerEEEEE10hipError_tT0_T1_T2_jT3_P12ihipStream_tbPNSt15iterator_traitsISK_E10value_typeEPNSQ_ISL_E10value_typeEPSM_NS1_7vsmem_tEENKUlT_SK_SL_SM_E_clISE_PsSF_SF_EESJ_SZ_SK_SL_SM_EUlSZ_E_NS1_11comp_targetILNS1_3genE0ELNS1_11target_archE4294967295ELNS1_3gpuE0ELNS1_3repE0EEENS1_48merge_mergepath_partition_config_static_selectorELNS0_4arch9wavefront6targetE1EEEvSL_ ; -- Begin function _ZN7rocprim17ROCPRIM_400000_NS6detail17trampoline_kernelINS0_14default_configENS1_38merge_sort_block_merge_config_selectorIsNS0_10empty_typeEEEZZNS1_27merge_sort_block_merge_implIS3_N6thrust23THRUST_200600_302600_NS6detail15normal_iteratorINS9_10device_ptrIsEEEEPS5_jNS1_19radix_merge_compareILb0ELb0EsNS0_19identity_decomposerEEEEE10hipError_tT0_T1_T2_jT3_P12ihipStream_tbPNSt15iterator_traitsISK_E10value_typeEPNSQ_ISL_E10value_typeEPSM_NS1_7vsmem_tEENKUlT_SK_SL_SM_E_clISE_PsSF_SF_EESJ_SZ_SK_SL_SM_EUlSZ_E_NS1_11comp_targetILNS1_3genE0ELNS1_11target_archE4294967295ELNS1_3gpuE0ELNS1_3repE0EEENS1_48merge_mergepath_partition_config_static_selectorELNS0_4arch9wavefront6targetE1EEEvSL_
	.globl	_ZN7rocprim17ROCPRIM_400000_NS6detail17trampoline_kernelINS0_14default_configENS1_38merge_sort_block_merge_config_selectorIsNS0_10empty_typeEEEZZNS1_27merge_sort_block_merge_implIS3_N6thrust23THRUST_200600_302600_NS6detail15normal_iteratorINS9_10device_ptrIsEEEEPS5_jNS1_19radix_merge_compareILb0ELb0EsNS0_19identity_decomposerEEEEE10hipError_tT0_T1_T2_jT3_P12ihipStream_tbPNSt15iterator_traitsISK_E10value_typeEPNSQ_ISL_E10value_typeEPSM_NS1_7vsmem_tEENKUlT_SK_SL_SM_E_clISE_PsSF_SF_EESJ_SZ_SK_SL_SM_EUlSZ_E_NS1_11comp_targetILNS1_3genE0ELNS1_11target_archE4294967295ELNS1_3gpuE0ELNS1_3repE0EEENS1_48merge_mergepath_partition_config_static_selectorELNS0_4arch9wavefront6targetE1EEEvSL_
	.p2align	8
	.type	_ZN7rocprim17ROCPRIM_400000_NS6detail17trampoline_kernelINS0_14default_configENS1_38merge_sort_block_merge_config_selectorIsNS0_10empty_typeEEEZZNS1_27merge_sort_block_merge_implIS3_N6thrust23THRUST_200600_302600_NS6detail15normal_iteratorINS9_10device_ptrIsEEEEPS5_jNS1_19radix_merge_compareILb0ELb0EsNS0_19identity_decomposerEEEEE10hipError_tT0_T1_T2_jT3_P12ihipStream_tbPNSt15iterator_traitsISK_E10value_typeEPNSQ_ISL_E10value_typeEPSM_NS1_7vsmem_tEENKUlT_SK_SL_SM_E_clISE_PsSF_SF_EESJ_SZ_SK_SL_SM_EUlSZ_E_NS1_11comp_targetILNS1_3genE0ELNS1_11target_archE4294967295ELNS1_3gpuE0ELNS1_3repE0EEENS1_48merge_mergepath_partition_config_static_selectorELNS0_4arch9wavefront6targetE1EEEvSL_,@function
_ZN7rocprim17ROCPRIM_400000_NS6detail17trampoline_kernelINS0_14default_configENS1_38merge_sort_block_merge_config_selectorIsNS0_10empty_typeEEEZZNS1_27merge_sort_block_merge_implIS3_N6thrust23THRUST_200600_302600_NS6detail15normal_iteratorINS9_10device_ptrIsEEEEPS5_jNS1_19radix_merge_compareILb0ELb0EsNS0_19identity_decomposerEEEEE10hipError_tT0_T1_T2_jT3_P12ihipStream_tbPNSt15iterator_traitsISK_E10value_typeEPNSQ_ISL_E10value_typeEPSM_NS1_7vsmem_tEENKUlT_SK_SL_SM_E_clISE_PsSF_SF_EESJ_SZ_SK_SL_SM_EUlSZ_E_NS1_11comp_targetILNS1_3genE0ELNS1_11target_archE4294967295ELNS1_3gpuE0ELNS1_3repE0EEENS1_48merge_mergepath_partition_config_static_selectorELNS0_4arch9wavefront6targetE1EEEvSL_: ; @_ZN7rocprim17ROCPRIM_400000_NS6detail17trampoline_kernelINS0_14default_configENS1_38merge_sort_block_merge_config_selectorIsNS0_10empty_typeEEEZZNS1_27merge_sort_block_merge_implIS3_N6thrust23THRUST_200600_302600_NS6detail15normal_iteratorINS9_10device_ptrIsEEEEPS5_jNS1_19radix_merge_compareILb0ELb0EsNS0_19identity_decomposerEEEEE10hipError_tT0_T1_T2_jT3_P12ihipStream_tbPNSt15iterator_traitsISK_E10value_typeEPNSQ_ISL_E10value_typeEPSM_NS1_7vsmem_tEENKUlT_SK_SL_SM_E_clISE_PsSF_SF_EESJ_SZ_SK_SL_SM_EUlSZ_E_NS1_11comp_targetILNS1_3genE0ELNS1_11target_archE4294967295ELNS1_3gpuE0ELNS1_3repE0EEENS1_48merge_mergepath_partition_config_static_selectorELNS0_4arch9wavefront6targetE1EEEvSL_
; %bb.0:
	.section	.rodata,"a",@progbits
	.p2align	6, 0x0
	.amdhsa_kernel _ZN7rocprim17ROCPRIM_400000_NS6detail17trampoline_kernelINS0_14default_configENS1_38merge_sort_block_merge_config_selectorIsNS0_10empty_typeEEEZZNS1_27merge_sort_block_merge_implIS3_N6thrust23THRUST_200600_302600_NS6detail15normal_iteratorINS9_10device_ptrIsEEEEPS5_jNS1_19radix_merge_compareILb0ELb0EsNS0_19identity_decomposerEEEEE10hipError_tT0_T1_T2_jT3_P12ihipStream_tbPNSt15iterator_traitsISK_E10value_typeEPNSQ_ISL_E10value_typeEPSM_NS1_7vsmem_tEENKUlT_SK_SL_SM_E_clISE_PsSF_SF_EESJ_SZ_SK_SL_SM_EUlSZ_E_NS1_11comp_targetILNS1_3genE0ELNS1_11target_archE4294967295ELNS1_3gpuE0ELNS1_3repE0EEENS1_48merge_mergepath_partition_config_static_selectorELNS0_4arch9wavefront6targetE1EEEvSL_
		.amdhsa_group_segment_fixed_size 0
		.amdhsa_private_segment_fixed_size 0
		.amdhsa_kernarg_size 40
		.amdhsa_user_sgpr_count 2
		.amdhsa_user_sgpr_dispatch_ptr 0
		.amdhsa_user_sgpr_queue_ptr 0
		.amdhsa_user_sgpr_kernarg_segment_ptr 1
		.amdhsa_user_sgpr_dispatch_id 0
		.amdhsa_user_sgpr_kernarg_preload_length 0
		.amdhsa_user_sgpr_kernarg_preload_offset 0
		.amdhsa_user_sgpr_private_segment_size 0
		.amdhsa_uses_dynamic_stack 0
		.amdhsa_enable_private_segment 0
		.amdhsa_system_sgpr_workgroup_id_x 1
		.amdhsa_system_sgpr_workgroup_id_y 0
		.amdhsa_system_sgpr_workgroup_id_z 0
		.amdhsa_system_sgpr_workgroup_info 0
		.amdhsa_system_vgpr_workitem_id 0
		.amdhsa_next_free_vgpr 1
		.amdhsa_next_free_sgpr 0
		.amdhsa_accum_offset 4
		.amdhsa_reserve_vcc 0
		.amdhsa_float_round_mode_32 0
		.amdhsa_float_round_mode_16_64 0
		.amdhsa_float_denorm_mode_32 3
		.amdhsa_float_denorm_mode_16_64 3
		.amdhsa_dx10_clamp 1
		.amdhsa_ieee_mode 1
		.amdhsa_fp16_overflow 0
		.amdhsa_tg_split 0
		.amdhsa_exception_fp_ieee_invalid_op 0
		.amdhsa_exception_fp_denorm_src 0
		.amdhsa_exception_fp_ieee_div_zero 0
		.amdhsa_exception_fp_ieee_overflow 0
		.amdhsa_exception_fp_ieee_underflow 0
		.amdhsa_exception_fp_ieee_inexact 0
		.amdhsa_exception_int_div_zero 0
	.end_amdhsa_kernel
	.section	.text._ZN7rocprim17ROCPRIM_400000_NS6detail17trampoline_kernelINS0_14default_configENS1_38merge_sort_block_merge_config_selectorIsNS0_10empty_typeEEEZZNS1_27merge_sort_block_merge_implIS3_N6thrust23THRUST_200600_302600_NS6detail15normal_iteratorINS9_10device_ptrIsEEEEPS5_jNS1_19radix_merge_compareILb0ELb0EsNS0_19identity_decomposerEEEEE10hipError_tT0_T1_T2_jT3_P12ihipStream_tbPNSt15iterator_traitsISK_E10value_typeEPNSQ_ISL_E10value_typeEPSM_NS1_7vsmem_tEENKUlT_SK_SL_SM_E_clISE_PsSF_SF_EESJ_SZ_SK_SL_SM_EUlSZ_E_NS1_11comp_targetILNS1_3genE0ELNS1_11target_archE4294967295ELNS1_3gpuE0ELNS1_3repE0EEENS1_48merge_mergepath_partition_config_static_selectorELNS0_4arch9wavefront6targetE1EEEvSL_,"axG",@progbits,_ZN7rocprim17ROCPRIM_400000_NS6detail17trampoline_kernelINS0_14default_configENS1_38merge_sort_block_merge_config_selectorIsNS0_10empty_typeEEEZZNS1_27merge_sort_block_merge_implIS3_N6thrust23THRUST_200600_302600_NS6detail15normal_iteratorINS9_10device_ptrIsEEEEPS5_jNS1_19radix_merge_compareILb0ELb0EsNS0_19identity_decomposerEEEEE10hipError_tT0_T1_T2_jT3_P12ihipStream_tbPNSt15iterator_traitsISK_E10value_typeEPNSQ_ISL_E10value_typeEPSM_NS1_7vsmem_tEENKUlT_SK_SL_SM_E_clISE_PsSF_SF_EESJ_SZ_SK_SL_SM_EUlSZ_E_NS1_11comp_targetILNS1_3genE0ELNS1_11target_archE4294967295ELNS1_3gpuE0ELNS1_3repE0EEENS1_48merge_mergepath_partition_config_static_selectorELNS0_4arch9wavefront6targetE1EEEvSL_,comdat
.Lfunc_end1842:
	.size	_ZN7rocprim17ROCPRIM_400000_NS6detail17trampoline_kernelINS0_14default_configENS1_38merge_sort_block_merge_config_selectorIsNS0_10empty_typeEEEZZNS1_27merge_sort_block_merge_implIS3_N6thrust23THRUST_200600_302600_NS6detail15normal_iteratorINS9_10device_ptrIsEEEEPS5_jNS1_19radix_merge_compareILb0ELb0EsNS0_19identity_decomposerEEEEE10hipError_tT0_T1_T2_jT3_P12ihipStream_tbPNSt15iterator_traitsISK_E10value_typeEPNSQ_ISL_E10value_typeEPSM_NS1_7vsmem_tEENKUlT_SK_SL_SM_E_clISE_PsSF_SF_EESJ_SZ_SK_SL_SM_EUlSZ_E_NS1_11comp_targetILNS1_3genE0ELNS1_11target_archE4294967295ELNS1_3gpuE0ELNS1_3repE0EEENS1_48merge_mergepath_partition_config_static_selectorELNS0_4arch9wavefront6targetE1EEEvSL_, .Lfunc_end1842-_ZN7rocprim17ROCPRIM_400000_NS6detail17trampoline_kernelINS0_14default_configENS1_38merge_sort_block_merge_config_selectorIsNS0_10empty_typeEEEZZNS1_27merge_sort_block_merge_implIS3_N6thrust23THRUST_200600_302600_NS6detail15normal_iteratorINS9_10device_ptrIsEEEEPS5_jNS1_19radix_merge_compareILb0ELb0EsNS0_19identity_decomposerEEEEE10hipError_tT0_T1_T2_jT3_P12ihipStream_tbPNSt15iterator_traitsISK_E10value_typeEPNSQ_ISL_E10value_typeEPSM_NS1_7vsmem_tEENKUlT_SK_SL_SM_E_clISE_PsSF_SF_EESJ_SZ_SK_SL_SM_EUlSZ_E_NS1_11comp_targetILNS1_3genE0ELNS1_11target_archE4294967295ELNS1_3gpuE0ELNS1_3repE0EEENS1_48merge_mergepath_partition_config_static_selectorELNS0_4arch9wavefront6targetE1EEEvSL_
                                        ; -- End function
	.section	.AMDGPU.csdata,"",@progbits
; Kernel info:
; codeLenInByte = 0
; NumSgprs: 6
; NumVgprs: 0
; NumAgprs: 0
; TotalNumVgprs: 0
; ScratchSize: 0
; MemoryBound: 0
; FloatMode: 240
; IeeeMode: 1
; LDSByteSize: 0 bytes/workgroup (compile time only)
; SGPRBlocks: 0
; VGPRBlocks: 0
; NumSGPRsForWavesPerEU: 6
; NumVGPRsForWavesPerEU: 1
; AccumOffset: 4
; Occupancy: 8
; WaveLimiterHint : 0
; COMPUTE_PGM_RSRC2:SCRATCH_EN: 0
; COMPUTE_PGM_RSRC2:USER_SGPR: 2
; COMPUTE_PGM_RSRC2:TRAP_HANDLER: 0
; COMPUTE_PGM_RSRC2:TGID_X_EN: 1
; COMPUTE_PGM_RSRC2:TGID_Y_EN: 0
; COMPUTE_PGM_RSRC2:TGID_Z_EN: 0
; COMPUTE_PGM_RSRC2:TIDIG_COMP_CNT: 0
; COMPUTE_PGM_RSRC3_GFX90A:ACCUM_OFFSET: 0
; COMPUTE_PGM_RSRC3_GFX90A:TG_SPLIT: 0
	.section	.text._ZN7rocprim17ROCPRIM_400000_NS6detail17trampoline_kernelINS0_14default_configENS1_38merge_sort_block_merge_config_selectorIsNS0_10empty_typeEEEZZNS1_27merge_sort_block_merge_implIS3_N6thrust23THRUST_200600_302600_NS6detail15normal_iteratorINS9_10device_ptrIsEEEEPS5_jNS1_19radix_merge_compareILb0ELb0EsNS0_19identity_decomposerEEEEE10hipError_tT0_T1_T2_jT3_P12ihipStream_tbPNSt15iterator_traitsISK_E10value_typeEPNSQ_ISL_E10value_typeEPSM_NS1_7vsmem_tEENKUlT_SK_SL_SM_E_clISE_PsSF_SF_EESJ_SZ_SK_SL_SM_EUlSZ_E_NS1_11comp_targetILNS1_3genE10ELNS1_11target_archE1201ELNS1_3gpuE5ELNS1_3repE0EEENS1_48merge_mergepath_partition_config_static_selectorELNS0_4arch9wavefront6targetE1EEEvSL_,"axG",@progbits,_ZN7rocprim17ROCPRIM_400000_NS6detail17trampoline_kernelINS0_14default_configENS1_38merge_sort_block_merge_config_selectorIsNS0_10empty_typeEEEZZNS1_27merge_sort_block_merge_implIS3_N6thrust23THRUST_200600_302600_NS6detail15normal_iteratorINS9_10device_ptrIsEEEEPS5_jNS1_19radix_merge_compareILb0ELb0EsNS0_19identity_decomposerEEEEE10hipError_tT0_T1_T2_jT3_P12ihipStream_tbPNSt15iterator_traitsISK_E10value_typeEPNSQ_ISL_E10value_typeEPSM_NS1_7vsmem_tEENKUlT_SK_SL_SM_E_clISE_PsSF_SF_EESJ_SZ_SK_SL_SM_EUlSZ_E_NS1_11comp_targetILNS1_3genE10ELNS1_11target_archE1201ELNS1_3gpuE5ELNS1_3repE0EEENS1_48merge_mergepath_partition_config_static_selectorELNS0_4arch9wavefront6targetE1EEEvSL_,comdat
	.protected	_ZN7rocprim17ROCPRIM_400000_NS6detail17trampoline_kernelINS0_14default_configENS1_38merge_sort_block_merge_config_selectorIsNS0_10empty_typeEEEZZNS1_27merge_sort_block_merge_implIS3_N6thrust23THRUST_200600_302600_NS6detail15normal_iteratorINS9_10device_ptrIsEEEEPS5_jNS1_19radix_merge_compareILb0ELb0EsNS0_19identity_decomposerEEEEE10hipError_tT0_T1_T2_jT3_P12ihipStream_tbPNSt15iterator_traitsISK_E10value_typeEPNSQ_ISL_E10value_typeEPSM_NS1_7vsmem_tEENKUlT_SK_SL_SM_E_clISE_PsSF_SF_EESJ_SZ_SK_SL_SM_EUlSZ_E_NS1_11comp_targetILNS1_3genE10ELNS1_11target_archE1201ELNS1_3gpuE5ELNS1_3repE0EEENS1_48merge_mergepath_partition_config_static_selectorELNS0_4arch9wavefront6targetE1EEEvSL_ ; -- Begin function _ZN7rocprim17ROCPRIM_400000_NS6detail17trampoline_kernelINS0_14default_configENS1_38merge_sort_block_merge_config_selectorIsNS0_10empty_typeEEEZZNS1_27merge_sort_block_merge_implIS3_N6thrust23THRUST_200600_302600_NS6detail15normal_iteratorINS9_10device_ptrIsEEEEPS5_jNS1_19radix_merge_compareILb0ELb0EsNS0_19identity_decomposerEEEEE10hipError_tT0_T1_T2_jT3_P12ihipStream_tbPNSt15iterator_traitsISK_E10value_typeEPNSQ_ISL_E10value_typeEPSM_NS1_7vsmem_tEENKUlT_SK_SL_SM_E_clISE_PsSF_SF_EESJ_SZ_SK_SL_SM_EUlSZ_E_NS1_11comp_targetILNS1_3genE10ELNS1_11target_archE1201ELNS1_3gpuE5ELNS1_3repE0EEENS1_48merge_mergepath_partition_config_static_selectorELNS0_4arch9wavefront6targetE1EEEvSL_
	.globl	_ZN7rocprim17ROCPRIM_400000_NS6detail17trampoline_kernelINS0_14default_configENS1_38merge_sort_block_merge_config_selectorIsNS0_10empty_typeEEEZZNS1_27merge_sort_block_merge_implIS3_N6thrust23THRUST_200600_302600_NS6detail15normal_iteratorINS9_10device_ptrIsEEEEPS5_jNS1_19radix_merge_compareILb0ELb0EsNS0_19identity_decomposerEEEEE10hipError_tT0_T1_T2_jT3_P12ihipStream_tbPNSt15iterator_traitsISK_E10value_typeEPNSQ_ISL_E10value_typeEPSM_NS1_7vsmem_tEENKUlT_SK_SL_SM_E_clISE_PsSF_SF_EESJ_SZ_SK_SL_SM_EUlSZ_E_NS1_11comp_targetILNS1_3genE10ELNS1_11target_archE1201ELNS1_3gpuE5ELNS1_3repE0EEENS1_48merge_mergepath_partition_config_static_selectorELNS0_4arch9wavefront6targetE1EEEvSL_
	.p2align	8
	.type	_ZN7rocprim17ROCPRIM_400000_NS6detail17trampoline_kernelINS0_14default_configENS1_38merge_sort_block_merge_config_selectorIsNS0_10empty_typeEEEZZNS1_27merge_sort_block_merge_implIS3_N6thrust23THRUST_200600_302600_NS6detail15normal_iteratorINS9_10device_ptrIsEEEEPS5_jNS1_19radix_merge_compareILb0ELb0EsNS0_19identity_decomposerEEEEE10hipError_tT0_T1_T2_jT3_P12ihipStream_tbPNSt15iterator_traitsISK_E10value_typeEPNSQ_ISL_E10value_typeEPSM_NS1_7vsmem_tEENKUlT_SK_SL_SM_E_clISE_PsSF_SF_EESJ_SZ_SK_SL_SM_EUlSZ_E_NS1_11comp_targetILNS1_3genE10ELNS1_11target_archE1201ELNS1_3gpuE5ELNS1_3repE0EEENS1_48merge_mergepath_partition_config_static_selectorELNS0_4arch9wavefront6targetE1EEEvSL_,@function
_ZN7rocprim17ROCPRIM_400000_NS6detail17trampoline_kernelINS0_14default_configENS1_38merge_sort_block_merge_config_selectorIsNS0_10empty_typeEEEZZNS1_27merge_sort_block_merge_implIS3_N6thrust23THRUST_200600_302600_NS6detail15normal_iteratorINS9_10device_ptrIsEEEEPS5_jNS1_19radix_merge_compareILb0ELb0EsNS0_19identity_decomposerEEEEE10hipError_tT0_T1_T2_jT3_P12ihipStream_tbPNSt15iterator_traitsISK_E10value_typeEPNSQ_ISL_E10value_typeEPSM_NS1_7vsmem_tEENKUlT_SK_SL_SM_E_clISE_PsSF_SF_EESJ_SZ_SK_SL_SM_EUlSZ_E_NS1_11comp_targetILNS1_3genE10ELNS1_11target_archE1201ELNS1_3gpuE5ELNS1_3repE0EEENS1_48merge_mergepath_partition_config_static_selectorELNS0_4arch9wavefront6targetE1EEEvSL_: ; @_ZN7rocprim17ROCPRIM_400000_NS6detail17trampoline_kernelINS0_14default_configENS1_38merge_sort_block_merge_config_selectorIsNS0_10empty_typeEEEZZNS1_27merge_sort_block_merge_implIS3_N6thrust23THRUST_200600_302600_NS6detail15normal_iteratorINS9_10device_ptrIsEEEEPS5_jNS1_19radix_merge_compareILb0ELb0EsNS0_19identity_decomposerEEEEE10hipError_tT0_T1_T2_jT3_P12ihipStream_tbPNSt15iterator_traitsISK_E10value_typeEPNSQ_ISL_E10value_typeEPSM_NS1_7vsmem_tEENKUlT_SK_SL_SM_E_clISE_PsSF_SF_EESJ_SZ_SK_SL_SM_EUlSZ_E_NS1_11comp_targetILNS1_3genE10ELNS1_11target_archE1201ELNS1_3gpuE5ELNS1_3repE0EEENS1_48merge_mergepath_partition_config_static_selectorELNS0_4arch9wavefront6targetE1EEEvSL_
; %bb.0:
	.section	.rodata,"a",@progbits
	.p2align	6, 0x0
	.amdhsa_kernel _ZN7rocprim17ROCPRIM_400000_NS6detail17trampoline_kernelINS0_14default_configENS1_38merge_sort_block_merge_config_selectorIsNS0_10empty_typeEEEZZNS1_27merge_sort_block_merge_implIS3_N6thrust23THRUST_200600_302600_NS6detail15normal_iteratorINS9_10device_ptrIsEEEEPS5_jNS1_19radix_merge_compareILb0ELb0EsNS0_19identity_decomposerEEEEE10hipError_tT0_T1_T2_jT3_P12ihipStream_tbPNSt15iterator_traitsISK_E10value_typeEPNSQ_ISL_E10value_typeEPSM_NS1_7vsmem_tEENKUlT_SK_SL_SM_E_clISE_PsSF_SF_EESJ_SZ_SK_SL_SM_EUlSZ_E_NS1_11comp_targetILNS1_3genE10ELNS1_11target_archE1201ELNS1_3gpuE5ELNS1_3repE0EEENS1_48merge_mergepath_partition_config_static_selectorELNS0_4arch9wavefront6targetE1EEEvSL_
		.amdhsa_group_segment_fixed_size 0
		.amdhsa_private_segment_fixed_size 0
		.amdhsa_kernarg_size 40
		.amdhsa_user_sgpr_count 2
		.amdhsa_user_sgpr_dispatch_ptr 0
		.amdhsa_user_sgpr_queue_ptr 0
		.amdhsa_user_sgpr_kernarg_segment_ptr 1
		.amdhsa_user_sgpr_dispatch_id 0
		.amdhsa_user_sgpr_kernarg_preload_length 0
		.amdhsa_user_sgpr_kernarg_preload_offset 0
		.amdhsa_user_sgpr_private_segment_size 0
		.amdhsa_uses_dynamic_stack 0
		.amdhsa_enable_private_segment 0
		.amdhsa_system_sgpr_workgroup_id_x 1
		.amdhsa_system_sgpr_workgroup_id_y 0
		.amdhsa_system_sgpr_workgroup_id_z 0
		.amdhsa_system_sgpr_workgroup_info 0
		.amdhsa_system_vgpr_workitem_id 0
		.amdhsa_next_free_vgpr 1
		.amdhsa_next_free_sgpr 0
		.amdhsa_accum_offset 4
		.amdhsa_reserve_vcc 0
		.amdhsa_float_round_mode_32 0
		.amdhsa_float_round_mode_16_64 0
		.amdhsa_float_denorm_mode_32 3
		.amdhsa_float_denorm_mode_16_64 3
		.amdhsa_dx10_clamp 1
		.amdhsa_ieee_mode 1
		.amdhsa_fp16_overflow 0
		.amdhsa_tg_split 0
		.amdhsa_exception_fp_ieee_invalid_op 0
		.amdhsa_exception_fp_denorm_src 0
		.amdhsa_exception_fp_ieee_div_zero 0
		.amdhsa_exception_fp_ieee_overflow 0
		.amdhsa_exception_fp_ieee_underflow 0
		.amdhsa_exception_fp_ieee_inexact 0
		.amdhsa_exception_int_div_zero 0
	.end_amdhsa_kernel
	.section	.text._ZN7rocprim17ROCPRIM_400000_NS6detail17trampoline_kernelINS0_14default_configENS1_38merge_sort_block_merge_config_selectorIsNS0_10empty_typeEEEZZNS1_27merge_sort_block_merge_implIS3_N6thrust23THRUST_200600_302600_NS6detail15normal_iteratorINS9_10device_ptrIsEEEEPS5_jNS1_19radix_merge_compareILb0ELb0EsNS0_19identity_decomposerEEEEE10hipError_tT0_T1_T2_jT3_P12ihipStream_tbPNSt15iterator_traitsISK_E10value_typeEPNSQ_ISL_E10value_typeEPSM_NS1_7vsmem_tEENKUlT_SK_SL_SM_E_clISE_PsSF_SF_EESJ_SZ_SK_SL_SM_EUlSZ_E_NS1_11comp_targetILNS1_3genE10ELNS1_11target_archE1201ELNS1_3gpuE5ELNS1_3repE0EEENS1_48merge_mergepath_partition_config_static_selectorELNS0_4arch9wavefront6targetE1EEEvSL_,"axG",@progbits,_ZN7rocprim17ROCPRIM_400000_NS6detail17trampoline_kernelINS0_14default_configENS1_38merge_sort_block_merge_config_selectorIsNS0_10empty_typeEEEZZNS1_27merge_sort_block_merge_implIS3_N6thrust23THRUST_200600_302600_NS6detail15normal_iteratorINS9_10device_ptrIsEEEEPS5_jNS1_19radix_merge_compareILb0ELb0EsNS0_19identity_decomposerEEEEE10hipError_tT0_T1_T2_jT3_P12ihipStream_tbPNSt15iterator_traitsISK_E10value_typeEPNSQ_ISL_E10value_typeEPSM_NS1_7vsmem_tEENKUlT_SK_SL_SM_E_clISE_PsSF_SF_EESJ_SZ_SK_SL_SM_EUlSZ_E_NS1_11comp_targetILNS1_3genE10ELNS1_11target_archE1201ELNS1_3gpuE5ELNS1_3repE0EEENS1_48merge_mergepath_partition_config_static_selectorELNS0_4arch9wavefront6targetE1EEEvSL_,comdat
.Lfunc_end1843:
	.size	_ZN7rocprim17ROCPRIM_400000_NS6detail17trampoline_kernelINS0_14default_configENS1_38merge_sort_block_merge_config_selectorIsNS0_10empty_typeEEEZZNS1_27merge_sort_block_merge_implIS3_N6thrust23THRUST_200600_302600_NS6detail15normal_iteratorINS9_10device_ptrIsEEEEPS5_jNS1_19radix_merge_compareILb0ELb0EsNS0_19identity_decomposerEEEEE10hipError_tT0_T1_T2_jT3_P12ihipStream_tbPNSt15iterator_traitsISK_E10value_typeEPNSQ_ISL_E10value_typeEPSM_NS1_7vsmem_tEENKUlT_SK_SL_SM_E_clISE_PsSF_SF_EESJ_SZ_SK_SL_SM_EUlSZ_E_NS1_11comp_targetILNS1_3genE10ELNS1_11target_archE1201ELNS1_3gpuE5ELNS1_3repE0EEENS1_48merge_mergepath_partition_config_static_selectorELNS0_4arch9wavefront6targetE1EEEvSL_, .Lfunc_end1843-_ZN7rocprim17ROCPRIM_400000_NS6detail17trampoline_kernelINS0_14default_configENS1_38merge_sort_block_merge_config_selectorIsNS0_10empty_typeEEEZZNS1_27merge_sort_block_merge_implIS3_N6thrust23THRUST_200600_302600_NS6detail15normal_iteratorINS9_10device_ptrIsEEEEPS5_jNS1_19radix_merge_compareILb0ELb0EsNS0_19identity_decomposerEEEEE10hipError_tT0_T1_T2_jT3_P12ihipStream_tbPNSt15iterator_traitsISK_E10value_typeEPNSQ_ISL_E10value_typeEPSM_NS1_7vsmem_tEENKUlT_SK_SL_SM_E_clISE_PsSF_SF_EESJ_SZ_SK_SL_SM_EUlSZ_E_NS1_11comp_targetILNS1_3genE10ELNS1_11target_archE1201ELNS1_3gpuE5ELNS1_3repE0EEENS1_48merge_mergepath_partition_config_static_selectorELNS0_4arch9wavefront6targetE1EEEvSL_
                                        ; -- End function
	.section	.AMDGPU.csdata,"",@progbits
; Kernel info:
; codeLenInByte = 0
; NumSgprs: 6
; NumVgprs: 0
; NumAgprs: 0
; TotalNumVgprs: 0
; ScratchSize: 0
; MemoryBound: 0
; FloatMode: 240
; IeeeMode: 1
; LDSByteSize: 0 bytes/workgroup (compile time only)
; SGPRBlocks: 0
; VGPRBlocks: 0
; NumSGPRsForWavesPerEU: 6
; NumVGPRsForWavesPerEU: 1
; AccumOffset: 4
; Occupancy: 8
; WaveLimiterHint : 0
; COMPUTE_PGM_RSRC2:SCRATCH_EN: 0
; COMPUTE_PGM_RSRC2:USER_SGPR: 2
; COMPUTE_PGM_RSRC2:TRAP_HANDLER: 0
; COMPUTE_PGM_RSRC2:TGID_X_EN: 1
; COMPUTE_PGM_RSRC2:TGID_Y_EN: 0
; COMPUTE_PGM_RSRC2:TGID_Z_EN: 0
; COMPUTE_PGM_RSRC2:TIDIG_COMP_CNT: 0
; COMPUTE_PGM_RSRC3_GFX90A:ACCUM_OFFSET: 0
; COMPUTE_PGM_RSRC3_GFX90A:TG_SPLIT: 0
	.section	.text._ZN7rocprim17ROCPRIM_400000_NS6detail17trampoline_kernelINS0_14default_configENS1_38merge_sort_block_merge_config_selectorIsNS0_10empty_typeEEEZZNS1_27merge_sort_block_merge_implIS3_N6thrust23THRUST_200600_302600_NS6detail15normal_iteratorINS9_10device_ptrIsEEEEPS5_jNS1_19radix_merge_compareILb0ELb0EsNS0_19identity_decomposerEEEEE10hipError_tT0_T1_T2_jT3_P12ihipStream_tbPNSt15iterator_traitsISK_E10value_typeEPNSQ_ISL_E10value_typeEPSM_NS1_7vsmem_tEENKUlT_SK_SL_SM_E_clISE_PsSF_SF_EESJ_SZ_SK_SL_SM_EUlSZ_E_NS1_11comp_targetILNS1_3genE5ELNS1_11target_archE942ELNS1_3gpuE9ELNS1_3repE0EEENS1_48merge_mergepath_partition_config_static_selectorELNS0_4arch9wavefront6targetE1EEEvSL_,"axG",@progbits,_ZN7rocprim17ROCPRIM_400000_NS6detail17trampoline_kernelINS0_14default_configENS1_38merge_sort_block_merge_config_selectorIsNS0_10empty_typeEEEZZNS1_27merge_sort_block_merge_implIS3_N6thrust23THRUST_200600_302600_NS6detail15normal_iteratorINS9_10device_ptrIsEEEEPS5_jNS1_19radix_merge_compareILb0ELb0EsNS0_19identity_decomposerEEEEE10hipError_tT0_T1_T2_jT3_P12ihipStream_tbPNSt15iterator_traitsISK_E10value_typeEPNSQ_ISL_E10value_typeEPSM_NS1_7vsmem_tEENKUlT_SK_SL_SM_E_clISE_PsSF_SF_EESJ_SZ_SK_SL_SM_EUlSZ_E_NS1_11comp_targetILNS1_3genE5ELNS1_11target_archE942ELNS1_3gpuE9ELNS1_3repE0EEENS1_48merge_mergepath_partition_config_static_selectorELNS0_4arch9wavefront6targetE1EEEvSL_,comdat
	.protected	_ZN7rocprim17ROCPRIM_400000_NS6detail17trampoline_kernelINS0_14default_configENS1_38merge_sort_block_merge_config_selectorIsNS0_10empty_typeEEEZZNS1_27merge_sort_block_merge_implIS3_N6thrust23THRUST_200600_302600_NS6detail15normal_iteratorINS9_10device_ptrIsEEEEPS5_jNS1_19radix_merge_compareILb0ELb0EsNS0_19identity_decomposerEEEEE10hipError_tT0_T1_T2_jT3_P12ihipStream_tbPNSt15iterator_traitsISK_E10value_typeEPNSQ_ISL_E10value_typeEPSM_NS1_7vsmem_tEENKUlT_SK_SL_SM_E_clISE_PsSF_SF_EESJ_SZ_SK_SL_SM_EUlSZ_E_NS1_11comp_targetILNS1_3genE5ELNS1_11target_archE942ELNS1_3gpuE9ELNS1_3repE0EEENS1_48merge_mergepath_partition_config_static_selectorELNS0_4arch9wavefront6targetE1EEEvSL_ ; -- Begin function _ZN7rocprim17ROCPRIM_400000_NS6detail17trampoline_kernelINS0_14default_configENS1_38merge_sort_block_merge_config_selectorIsNS0_10empty_typeEEEZZNS1_27merge_sort_block_merge_implIS3_N6thrust23THRUST_200600_302600_NS6detail15normal_iteratorINS9_10device_ptrIsEEEEPS5_jNS1_19radix_merge_compareILb0ELb0EsNS0_19identity_decomposerEEEEE10hipError_tT0_T1_T2_jT3_P12ihipStream_tbPNSt15iterator_traitsISK_E10value_typeEPNSQ_ISL_E10value_typeEPSM_NS1_7vsmem_tEENKUlT_SK_SL_SM_E_clISE_PsSF_SF_EESJ_SZ_SK_SL_SM_EUlSZ_E_NS1_11comp_targetILNS1_3genE5ELNS1_11target_archE942ELNS1_3gpuE9ELNS1_3repE0EEENS1_48merge_mergepath_partition_config_static_selectorELNS0_4arch9wavefront6targetE1EEEvSL_
	.globl	_ZN7rocprim17ROCPRIM_400000_NS6detail17trampoline_kernelINS0_14default_configENS1_38merge_sort_block_merge_config_selectorIsNS0_10empty_typeEEEZZNS1_27merge_sort_block_merge_implIS3_N6thrust23THRUST_200600_302600_NS6detail15normal_iteratorINS9_10device_ptrIsEEEEPS5_jNS1_19radix_merge_compareILb0ELb0EsNS0_19identity_decomposerEEEEE10hipError_tT0_T1_T2_jT3_P12ihipStream_tbPNSt15iterator_traitsISK_E10value_typeEPNSQ_ISL_E10value_typeEPSM_NS1_7vsmem_tEENKUlT_SK_SL_SM_E_clISE_PsSF_SF_EESJ_SZ_SK_SL_SM_EUlSZ_E_NS1_11comp_targetILNS1_3genE5ELNS1_11target_archE942ELNS1_3gpuE9ELNS1_3repE0EEENS1_48merge_mergepath_partition_config_static_selectorELNS0_4arch9wavefront6targetE1EEEvSL_
	.p2align	8
	.type	_ZN7rocprim17ROCPRIM_400000_NS6detail17trampoline_kernelINS0_14default_configENS1_38merge_sort_block_merge_config_selectorIsNS0_10empty_typeEEEZZNS1_27merge_sort_block_merge_implIS3_N6thrust23THRUST_200600_302600_NS6detail15normal_iteratorINS9_10device_ptrIsEEEEPS5_jNS1_19radix_merge_compareILb0ELb0EsNS0_19identity_decomposerEEEEE10hipError_tT0_T1_T2_jT3_P12ihipStream_tbPNSt15iterator_traitsISK_E10value_typeEPNSQ_ISL_E10value_typeEPSM_NS1_7vsmem_tEENKUlT_SK_SL_SM_E_clISE_PsSF_SF_EESJ_SZ_SK_SL_SM_EUlSZ_E_NS1_11comp_targetILNS1_3genE5ELNS1_11target_archE942ELNS1_3gpuE9ELNS1_3repE0EEENS1_48merge_mergepath_partition_config_static_selectorELNS0_4arch9wavefront6targetE1EEEvSL_,@function
_ZN7rocprim17ROCPRIM_400000_NS6detail17trampoline_kernelINS0_14default_configENS1_38merge_sort_block_merge_config_selectorIsNS0_10empty_typeEEEZZNS1_27merge_sort_block_merge_implIS3_N6thrust23THRUST_200600_302600_NS6detail15normal_iteratorINS9_10device_ptrIsEEEEPS5_jNS1_19radix_merge_compareILb0ELb0EsNS0_19identity_decomposerEEEEE10hipError_tT0_T1_T2_jT3_P12ihipStream_tbPNSt15iterator_traitsISK_E10value_typeEPNSQ_ISL_E10value_typeEPSM_NS1_7vsmem_tEENKUlT_SK_SL_SM_E_clISE_PsSF_SF_EESJ_SZ_SK_SL_SM_EUlSZ_E_NS1_11comp_targetILNS1_3genE5ELNS1_11target_archE942ELNS1_3gpuE9ELNS1_3repE0EEENS1_48merge_mergepath_partition_config_static_selectorELNS0_4arch9wavefront6targetE1EEEvSL_: ; @_ZN7rocprim17ROCPRIM_400000_NS6detail17trampoline_kernelINS0_14default_configENS1_38merge_sort_block_merge_config_selectorIsNS0_10empty_typeEEEZZNS1_27merge_sort_block_merge_implIS3_N6thrust23THRUST_200600_302600_NS6detail15normal_iteratorINS9_10device_ptrIsEEEEPS5_jNS1_19radix_merge_compareILb0ELb0EsNS0_19identity_decomposerEEEEE10hipError_tT0_T1_T2_jT3_P12ihipStream_tbPNSt15iterator_traitsISK_E10value_typeEPNSQ_ISL_E10value_typeEPSM_NS1_7vsmem_tEENKUlT_SK_SL_SM_E_clISE_PsSF_SF_EESJ_SZ_SK_SL_SM_EUlSZ_E_NS1_11comp_targetILNS1_3genE5ELNS1_11target_archE942ELNS1_3gpuE9ELNS1_3repE0EEENS1_48merge_mergepath_partition_config_static_selectorELNS0_4arch9wavefront6targetE1EEEvSL_
; %bb.0:
	s_load_dword s3, s[0:1], 0x0
	v_lshl_or_b32 v0, s2, 7, v0
	s_waitcnt lgkmcnt(0)
	v_cmp_gt_u32_e32 vcc, s3, v0
	s_and_saveexec_b64 s[2:3], vcc
	s_cbranch_execz .LBB1844_6
; %bb.1:
	s_load_dwordx2 s[4:5], s[0:1], 0x4
	s_load_dwordx2 s[2:3], s[0:1], 0x20
	s_waitcnt lgkmcnt(0)
	s_lshr_b32 s6, s4, 9
	s_and_b32 s6, s6, 0x7ffffe
	s_add_i32 s7, s6, -1
	s_sub_i32 s6, 0, s6
	v_and_b32_e32 v1, s6, v0
	v_lshlrev_b32_e32 v1, 10, v1
	v_min_u32_e32 v2, s5, v1
	v_add_u32_e32 v1, s4, v1
	v_min_u32_e32 v4, s5, v1
	v_add_u32_e32 v1, s4, v4
	v_and_b32_e32 v3, s7, v0
	v_min_u32_e32 v1, s5, v1
	v_sub_u32_e32 v5, v1, v2
	v_lshlrev_b32_e32 v3, 10, v3
	v_min_u32_e32 v10, v5, v3
	v_sub_u32_e32 v3, v4, v2
	v_sub_u32_e32 v1, v1, v4
	v_sub_u32_e64 v1, v10, v1 clamp
	v_min_u32_e32 v11, v10, v3
	v_cmp_lt_u32_e32 vcc, v1, v11
	s_and_saveexec_b64 s[4:5], vcc
	s_cbranch_execz .LBB1844_5
; %bb.2:
	s_load_dwordx2 s[0:1], s[0:1], 0x10
	v_mov_b32_e32 v5, 0
	v_mov_b32_e32 v3, v5
	s_waitcnt lgkmcnt(0)
	v_lshl_add_u64 v[6:7], v[2:3], 1, s[0:1]
	v_lshl_add_u64 v[8:9], v[4:5], 1, s[0:1]
	s_mov_b64 s[0:1], 0
.LBB1844_3:                             ; =>This Inner Loop Header: Depth=1
	v_add_u32_e32 v3, v11, v1
	v_lshrrev_b32_e32 v16, 1, v3
	v_and_b32_e32 v4, -2, v3
	v_mov_b32_e32 v13, v5
	v_xad_u32 v12, v16, -1, v10
	v_lshl_add_u64 v[14:15], v[6:7], 0, v[4:5]
	v_lshl_add_u64 v[12:13], v[12:13], 1, v[8:9]
	flat_load_ushort v3, v[14:15]
	flat_load_ushort v4, v[12:13]
	v_add_u32_e32 v12, 1, v16
	s_waitcnt vmcnt(0) lgkmcnt(0)
	v_cmp_gt_i16_e32 vcc, v3, v4
	s_nop 1
	v_cndmask_b32_e32 v11, v11, v16, vcc
	v_cndmask_b32_e32 v1, v12, v1, vcc
	v_cmp_ge_u32_e32 vcc, v1, v11
	s_or_b64 s[0:1], vcc, s[0:1]
	s_andn2_b64 exec, exec, s[0:1]
	s_cbranch_execnz .LBB1844_3
; %bb.4:
	s_or_b64 exec, exec, s[0:1]
.LBB1844_5:
	s_or_b64 exec, exec, s[4:5]
	v_add_u32_e32 v2, v1, v2
	v_mov_b32_e32 v1, 0
	v_lshl_add_u64 v[0:1], v[0:1], 2, s[2:3]
	global_store_dword v[0:1], v2, off
.LBB1844_6:
	s_endpgm
	.section	.rodata,"a",@progbits
	.p2align	6, 0x0
	.amdhsa_kernel _ZN7rocprim17ROCPRIM_400000_NS6detail17trampoline_kernelINS0_14default_configENS1_38merge_sort_block_merge_config_selectorIsNS0_10empty_typeEEEZZNS1_27merge_sort_block_merge_implIS3_N6thrust23THRUST_200600_302600_NS6detail15normal_iteratorINS9_10device_ptrIsEEEEPS5_jNS1_19radix_merge_compareILb0ELb0EsNS0_19identity_decomposerEEEEE10hipError_tT0_T1_T2_jT3_P12ihipStream_tbPNSt15iterator_traitsISK_E10value_typeEPNSQ_ISL_E10value_typeEPSM_NS1_7vsmem_tEENKUlT_SK_SL_SM_E_clISE_PsSF_SF_EESJ_SZ_SK_SL_SM_EUlSZ_E_NS1_11comp_targetILNS1_3genE5ELNS1_11target_archE942ELNS1_3gpuE9ELNS1_3repE0EEENS1_48merge_mergepath_partition_config_static_selectorELNS0_4arch9wavefront6targetE1EEEvSL_
		.amdhsa_group_segment_fixed_size 0
		.amdhsa_private_segment_fixed_size 0
		.amdhsa_kernarg_size 40
		.amdhsa_user_sgpr_count 2
		.amdhsa_user_sgpr_dispatch_ptr 0
		.amdhsa_user_sgpr_queue_ptr 0
		.amdhsa_user_sgpr_kernarg_segment_ptr 1
		.amdhsa_user_sgpr_dispatch_id 0
		.amdhsa_user_sgpr_kernarg_preload_length 0
		.amdhsa_user_sgpr_kernarg_preload_offset 0
		.amdhsa_user_sgpr_private_segment_size 0
		.amdhsa_uses_dynamic_stack 0
		.amdhsa_enable_private_segment 0
		.amdhsa_system_sgpr_workgroup_id_x 1
		.amdhsa_system_sgpr_workgroup_id_y 0
		.amdhsa_system_sgpr_workgroup_id_z 0
		.amdhsa_system_sgpr_workgroup_info 0
		.amdhsa_system_vgpr_workitem_id 0
		.amdhsa_next_free_vgpr 17
		.amdhsa_next_free_sgpr 8
		.amdhsa_accum_offset 20
		.amdhsa_reserve_vcc 1
		.amdhsa_float_round_mode_32 0
		.amdhsa_float_round_mode_16_64 0
		.amdhsa_float_denorm_mode_32 3
		.amdhsa_float_denorm_mode_16_64 3
		.amdhsa_dx10_clamp 1
		.amdhsa_ieee_mode 1
		.amdhsa_fp16_overflow 0
		.amdhsa_tg_split 0
		.amdhsa_exception_fp_ieee_invalid_op 0
		.amdhsa_exception_fp_denorm_src 0
		.amdhsa_exception_fp_ieee_div_zero 0
		.amdhsa_exception_fp_ieee_overflow 0
		.amdhsa_exception_fp_ieee_underflow 0
		.amdhsa_exception_fp_ieee_inexact 0
		.amdhsa_exception_int_div_zero 0
	.end_amdhsa_kernel
	.section	.text._ZN7rocprim17ROCPRIM_400000_NS6detail17trampoline_kernelINS0_14default_configENS1_38merge_sort_block_merge_config_selectorIsNS0_10empty_typeEEEZZNS1_27merge_sort_block_merge_implIS3_N6thrust23THRUST_200600_302600_NS6detail15normal_iteratorINS9_10device_ptrIsEEEEPS5_jNS1_19radix_merge_compareILb0ELb0EsNS0_19identity_decomposerEEEEE10hipError_tT0_T1_T2_jT3_P12ihipStream_tbPNSt15iterator_traitsISK_E10value_typeEPNSQ_ISL_E10value_typeEPSM_NS1_7vsmem_tEENKUlT_SK_SL_SM_E_clISE_PsSF_SF_EESJ_SZ_SK_SL_SM_EUlSZ_E_NS1_11comp_targetILNS1_3genE5ELNS1_11target_archE942ELNS1_3gpuE9ELNS1_3repE0EEENS1_48merge_mergepath_partition_config_static_selectorELNS0_4arch9wavefront6targetE1EEEvSL_,"axG",@progbits,_ZN7rocprim17ROCPRIM_400000_NS6detail17trampoline_kernelINS0_14default_configENS1_38merge_sort_block_merge_config_selectorIsNS0_10empty_typeEEEZZNS1_27merge_sort_block_merge_implIS3_N6thrust23THRUST_200600_302600_NS6detail15normal_iteratorINS9_10device_ptrIsEEEEPS5_jNS1_19radix_merge_compareILb0ELb0EsNS0_19identity_decomposerEEEEE10hipError_tT0_T1_T2_jT3_P12ihipStream_tbPNSt15iterator_traitsISK_E10value_typeEPNSQ_ISL_E10value_typeEPSM_NS1_7vsmem_tEENKUlT_SK_SL_SM_E_clISE_PsSF_SF_EESJ_SZ_SK_SL_SM_EUlSZ_E_NS1_11comp_targetILNS1_3genE5ELNS1_11target_archE942ELNS1_3gpuE9ELNS1_3repE0EEENS1_48merge_mergepath_partition_config_static_selectorELNS0_4arch9wavefront6targetE1EEEvSL_,comdat
.Lfunc_end1844:
	.size	_ZN7rocprim17ROCPRIM_400000_NS6detail17trampoline_kernelINS0_14default_configENS1_38merge_sort_block_merge_config_selectorIsNS0_10empty_typeEEEZZNS1_27merge_sort_block_merge_implIS3_N6thrust23THRUST_200600_302600_NS6detail15normal_iteratorINS9_10device_ptrIsEEEEPS5_jNS1_19radix_merge_compareILb0ELb0EsNS0_19identity_decomposerEEEEE10hipError_tT0_T1_T2_jT3_P12ihipStream_tbPNSt15iterator_traitsISK_E10value_typeEPNSQ_ISL_E10value_typeEPSM_NS1_7vsmem_tEENKUlT_SK_SL_SM_E_clISE_PsSF_SF_EESJ_SZ_SK_SL_SM_EUlSZ_E_NS1_11comp_targetILNS1_3genE5ELNS1_11target_archE942ELNS1_3gpuE9ELNS1_3repE0EEENS1_48merge_mergepath_partition_config_static_selectorELNS0_4arch9wavefront6targetE1EEEvSL_, .Lfunc_end1844-_ZN7rocprim17ROCPRIM_400000_NS6detail17trampoline_kernelINS0_14default_configENS1_38merge_sort_block_merge_config_selectorIsNS0_10empty_typeEEEZZNS1_27merge_sort_block_merge_implIS3_N6thrust23THRUST_200600_302600_NS6detail15normal_iteratorINS9_10device_ptrIsEEEEPS5_jNS1_19radix_merge_compareILb0ELb0EsNS0_19identity_decomposerEEEEE10hipError_tT0_T1_T2_jT3_P12ihipStream_tbPNSt15iterator_traitsISK_E10value_typeEPNSQ_ISL_E10value_typeEPSM_NS1_7vsmem_tEENKUlT_SK_SL_SM_E_clISE_PsSF_SF_EESJ_SZ_SK_SL_SM_EUlSZ_E_NS1_11comp_targetILNS1_3genE5ELNS1_11target_archE942ELNS1_3gpuE9ELNS1_3repE0EEENS1_48merge_mergepath_partition_config_static_selectorELNS0_4arch9wavefront6targetE1EEEvSL_
                                        ; -- End function
	.section	.AMDGPU.csdata,"",@progbits
; Kernel info:
; codeLenInByte = 320
; NumSgprs: 14
; NumVgprs: 17
; NumAgprs: 0
; TotalNumVgprs: 17
; ScratchSize: 0
; MemoryBound: 0
; FloatMode: 240
; IeeeMode: 1
; LDSByteSize: 0 bytes/workgroup (compile time only)
; SGPRBlocks: 1
; VGPRBlocks: 2
; NumSGPRsForWavesPerEU: 14
; NumVGPRsForWavesPerEU: 17
; AccumOffset: 20
; Occupancy: 8
; WaveLimiterHint : 0
; COMPUTE_PGM_RSRC2:SCRATCH_EN: 0
; COMPUTE_PGM_RSRC2:USER_SGPR: 2
; COMPUTE_PGM_RSRC2:TRAP_HANDLER: 0
; COMPUTE_PGM_RSRC2:TGID_X_EN: 1
; COMPUTE_PGM_RSRC2:TGID_Y_EN: 0
; COMPUTE_PGM_RSRC2:TGID_Z_EN: 0
; COMPUTE_PGM_RSRC2:TIDIG_COMP_CNT: 0
; COMPUTE_PGM_RSRC3_GFX90A:ACCUM_OFFSET: 4
; COMPUTE_PGM_RSRC3_GFX90A:TG_SPLIT: 0
	.section	.text._ZN7rocprim17ROCPRIM_400000_NS6detail17trampoline_kernelINS0_14default_configENS1_38merge_sort_block_merge_config_selectorIsNS0_10empty_typeEEEZZNS1_27merge_sort_block_merge_implIS3_N6thrust23THRUST_200600_302600_NS6detail15normal_iteratorINS9_10device_ptrIsEEEEPS5_jNS1_19radix_merge_compareILb0ELb0EsNS0_19identity_decomposerEEEEE10hipError_tT0_T1_T2_jT3_P12ihipStream_tbPNSt15iterator_traitsISK_E10value_typeEPNSQ_ISL_E10value_typeEPSM_NS1_7vsmem_tEENKUlT_SK_SL_SM_E_clISE_PsSF_SF_EESJ_SZ_SK_SL_SM_EUlSZ_E_NS1_11comp_targetILNS1_3genE4ELNS1_11target_archE910ELNS1_3gpuE8ELNS1_3repE0EEENS1_48merge_mergepath_partition_config_static_selectorELNS0_4arch9wavefront6targetE1EEEvSL_,"axG",@progbits,_ZN7rocprim17ROCPRIM_400000_NS6detail17trampoline_kernelINS0_14default_configENS1_38merge_sort_block_merge_config_selectorIsNS0_10empty_typeEEEZZNS1_27merge_sort_block_merge_implIS3_N6thrust23THRUST_200600_302600_NS6detail15normal_iteratorINS9_10device_ptrIsEEEEPS5_jNS1_19radix_merge_compareILb0ELb0EsNS0_19identity_decomposerEEEEE10hipError_tT0_T1_T2_jT3_P12ihipStream_tbPNSt15iterator_traitsISK_E10value_typeEPNSQ_ISL_E10value_typeEPSM_NS1_7vsmem_tEENKUlT_SK_SL_SM_E_clISE_PsSF_SF_EESJ_SZ_SK_SL_SM_EUlSZ_E_NS1_11comp_targetILNS1_3genE4ELNS1_11target_archE910ELNS1_3gpuE8ELNS1_3repE0EEENS1_48merge_mergepath_partition_config_static_selectorELNS0_4arch9wavefront6targetE1EEEvSL_,comdat
	.protected	_ZN7rocprim17ROCPRIM_400000_NS6detail17trampoline_kernelINS0_14default_configENS1_38merge_sort_block_merge_config_selectorIsNS0_10empty_typeEEEZZNS1_27merge_sort_block_merge_implIS3_N6thrust23THRUST_200600_302600_NS6detail15normal_iteratorINS9_10device_ptrIsEEEEPS5_jNS1_19radix_merge_compareILb0ELb0EsNS0_19identity_decomposerEEEEE10hipError_tT0_T1_T2_jT3_P12ihipStream_tbPNSt15iterator_traitsISK_E10value_typeEPNSQ_ISL_E10value_typeEPSM_NS1_7vsmem_tEENKUlT_SK_SL_SM_E_clISE_PsSF_SF_EESJ_SZ_SK_SL_SM_EUlSZ_E_NS1_11comp_targetILNS1_3genE4ELNS1_11target_archE910ELNS1_3gpuE8ELNS1_3repE0EEENS1_48merge_mergepath_partition_config_static_selectorELNS0_4arch9wavefront6targetE1EEEvSL_ ; -- Begin function _ZN7rocprim17ROCPRIM_400000_NS6detail17trampoline_kernelINS0_14default_configENS1_38merge_sort_block_merge_config_selectorIsNS0_10empty_typeEEEZZNS1_27merge_sort_block_merge_implIS3_N6thrust23THRUST_200600_302600_NS6detail15normal_iteratorINS9_10device_ptrIsEEEEPS5_jNS1_19radix_merge_compareILb0ELb0EsNS0_19identity_decomposerEEEEE10hipError_tT0_T1_T2_jT3_P12ihipStream_tbPNSt15iterator_traitsISK_E10value_typeEPNSQ_ISL_E10value_typeEPSM_NS1_7vsmem_tEENKUlT_SK_SL_SM_E_clISE_PsSF_SF_EESJ_SZ_SK_SL_SM_EUlSZ_E_NS1_11comp_targetILNS1_3genE4ELNS1_11target_archE910ELNS1_3gpuE8ELNS1_3repE0EEENS1_48merge_mergepath_partition_config_static_selectorELNS0_4arch9wavefront6targetE1EEEvSL_
	.globl	_ZN7rocprim17ROCPRIM_400000_NS6detail17trampoline_kernelINS0_14default_configENS1_38merge_sort_block_merge_config_selectorIsNS0_10empty_typeEEEZZNS1_27merge_sort_block_merge_implIS3_N6thrust23THRUST_200600_302600_NS6detail15normal_iteratorINS9_10device_ptrIsEEEEPS5_jNS1_19radix_merge_compareILb0ELb0EsNS0_19identity_decomposerEEEEE10hipError_tT0_T1_T2_jT3_P12ihipStream_tbPNSt15iterator_traitsISK_E10value_typeEPNSQ_ISL_E10value_typeEPSM_NS1_7vsmem_tEENKUlT_SK_SL_SM_E_clISE_PsSF_SF_EESJ_SZ_SK_SL_SM_EUlSZ_E_NS1_11comp_targetILNS1_3genE4ELNS1_11target_archE910ELNS1_3gpuE8ELNS1_3repE0EEENS1_48merge_mergepath_partition_config_static_selectorELNS0_4arch9wavefront6targetE1EEEvSL_
	.p2align	8
	.type	_ZN7rocprim17ROCPRIM_400000_NS6detail17trampoline_kernelINS0_14default_configENS1_38merge_sort_block_merge_config_selectorIsNS0_10empty_typeEEEZZNS1_27merge_sort_block_merge_implIS3_N6thrust23THRUST_200600_302600_NS6detail15normal_iteratorINS9_10device_ptrIsEEEEPS5_jNS1_19radix_merge_compareILb0ELb0EsNS0_19identity_decomposerEEEEE10hipError_tT0_T1_T2_jT3_P12ihipStream_tbPNSt15iterator_traitsISK_E10value_typeEPNSQ_ISL_E10value_typeEPSM_NS1_7vsmem_tEENKUlT_SK_SL_SM_E_clISE_PsSF_SF_EESJ_SZ_SK_SL_SM_EUlSZ_E_NS1_11comp_targetILNS1_3genE4ELNS1_11target_archE910ELNS1_3gpuE8ELNS1_3repE0EEENS1_48merge_mergepath_partition_config_static_selectorELNS0_4arch9wavefront6targetE1EEEvSL_,@function
_ZN7rocprim17ROCPRIM_400000_NS6detail17trampoline_kernelINS0_14default_configENS1_38merge_sort_block_merge_config_selectorIsNS0_10empty_typeEEEZZNS1_27merge_sort_block_merge_implIS3_N6thrust23THRUST_200600_302600_NS6detail15normal_iteratorINS9_10device_ptrIsEEEEPS5_jNS1_19radix_merge_compareILb0ELb0EsNS0_19identity_decomposerEEEEE10hipError_tT0_T1_T2_jT3_P12ihipStream_tbPNSt15iterator_traitsISK_E10value_typeEPNSQ_ISL_E10value_typeEPSM_NS1_7vsmem_tEENKUlT_SK_SL_SM_E_clISE_PsSF_SF_EESJ_SZ_SK_SL_SM_EUlSZ_E_NS1_11comp_targetILNS1_3genE4ELNS1_11target_archE910ELNS1_3gpuE8ELNS1_3repE0EEENS1_48merge_mergepath_partition_config_static_selectorELNS0_4arch9wavefront6targetE1EEEvSL_: ; @_ZN7rocprim17ROCPRIM_400000_NS6detail17trampoline_kernelINS0_14default_configENS1_38merge_sort_block_merge_config_selectorIsNS0_10empty_typeEEEZZNS1_27merge_sort_block_merge_implIS3_N6thrust23THRUST_200600_302600_NS6detail15normal_iteratorINS9_10device_ptrIsEEEEPS5_jNS1_19radix_merge_compareILb0ELb0EsNS0_19identity_decomposerEEEEE10hipError_tT0_T1_T2_jT3_P12ihipStream_tbPNSt15iterator_traitsISK_E10value_typeEPNSQ_ISL_E10value_typeEPSM_NS1_7vsmem_tEENKUlT_SK_SL_SM_E_clISE_PsSF_SF_EESJ_SZ_SK_SL_SM_EUlSZ_E_NS1_11comp_targetILNS1_3genE4ELNS1_11target_archE910ELNS1_3gpuE8ELNS1_3repE0EEENS1_48merge_mergepath_partition_config_static_selectorELNS0_4arch9wavefront6targetE1EEEvSL_
; %bb.0:
	.section	.rodata,"a",@progbits
	.p2align	6, 0x0
	.amdhsa_kernel _ZN7rocprim17ROCPRIM_400000_NS6detail17trampoline_kernelINS0_14default_configENS1_38merge_sort_block_merge_config_selectorIsNS0_10empty_typeEEEZZNS1_27merge_sort_block_merge_implIS3_N6thrust23THRUST_200600_302600_NS6detail15normal_iteratorINS9_10device_ptrIsEEEEPS5_jNS1_19radix_merge_compareILb0ELb0EsNS0_19identity_decomposerEEEEE10hipError_tT0_T1_T2_jT3_P12ihipStream_tbPNSt15iterator_traitsISK_E10value_typeEPNSQ_ISL_E10value_typeEPSM_NS1_7vsmem_tEENKUlT_SK_SL_SM_E_clISE_PsSF_SF_EESJ_SZ_SK_SL_SM_EUlSZ_E_NS1_11comp_targetILNS1_3genE4ELNS1_11target_archE910ELNS1_3gpuE8ELNS1_3repE0EEENS1_48merge_mergepath_partition_config_static_selectorELNS0_4arch9wavefront6targetE1EEEvSL_
		.amdhsa_group_segment_fixed_size 0
		.amdhsa_private_segment_fixed_size 0
		.amdhsa_kernarg_size 40
		.amdhsa_user_sgpr_count 2
		.amdhsa_user_sgpr_dispatch_ptr 0
		.amdhsa_user_sgpr_queue_ptr 0
		.amdhsa_user_sgpr_kernarg_segment_ptr 1
		.amdhsa_user_sgpr_dispatch_id 0
		.amdhsa_user_sgpr_kernarg_preload_length 0
		.amdhsa_user_sgpr_kernarg_preload_offset 0
		.amdhsa_user_sgpr_private_segment_size 0
		.amdhsa_uses_dynamic_stack 0
		.amdhsa_enable_private_segment 0
		.amdhsa_system_sgpr_workgroup_id_x 1
		.amdhsa_system_sgpr_workgroup_id_y 0
		.amdhsa_system_sgpr_workgroup_id_z 0
		.amdhsa_system_sgpr_workgroup_info 0
		.amdhsa_system_vgpr_workitem_id 0
		.amdhsa_next_free_vgpr 1
		.amdhsa_next_free_sgpr 0
		.amdhsa_accum_offset 4
		.amdhsa_reserve_vcc 0
		.amdhsa_float_round_mode_32 0
		.amdhsa_float_round_mode_16_64 0
		.amdhsa_float_denorm_mode_32 3
		.amdhsa_float_denorm_mode_16_64 3
		.amdhsa_dx10_clamp 1
		.amdhsa_ieee_mode 1
		.amdhsa_fp16_overflow 0
		.amdhsa_tg_split 0
		.amdhsa_exception_fp_ieee_invalid_op 0
		.amdhsa_exception_fp_denorm_src 0
		.amdhsa_exception_fp_ieee_div_zero 0
		.amdhsa_exception_fp_ieee_overflow 0
		.amdhsa_exception_fp_ieee_underflow 0
		.amdhsa_exception_fp_ieee_inexact 0
		.amdhsa_exception_int_div_zero 0
	.end_amdhsa_kernel
	.section	.text._ZN7rocprim17ROCPRIM_400000_NS6detail17trampoline_kernelINS0_14default_configENS1_38merge_sort_block_merge_config_selectorIsNS0_10empty_typeEEEZZNS1_27merge_sort_block_merge_implIS3_N6thrust23THRUST_200600_302600_NS6detail15normal_iteratorINS9_10device_ptrIsEEEEPS5_jNS1_19radix_merge_compareILb0ELb0EsNS0_19identity_decomposerEEEEE10hipError_tT0_T1_T2_jT3_P12ihipStream_tbPNSt15iterator_traitsISK_E10value_typeEPNSQ_ISL_E10value_typeEPSM_NS1_7vsmem_tEENKUlT_SK_SL_SM_E_clISE_PsSF_SF_EESJ_SZ_SK_SL_SM_EUlSZ_E_NS1_11comp_targetILNS1_3genE4ELNS1_11target_archE910ELNS1_3gpuE8ELNS1_3repE0EEENS1_48merge_mergepath_partition_config_static_selectorELNS0_4arch9wavefront6targetE1EEEvSL_,"axG",@progbits,_ZN7rocprim17ROCPRIM_400000_NS6detail17trampoline_kernelINS0_14default_configENS1_38merge_sort_block_merge_config_selectorIsNS0_10empty_typeEEEZZNS1_27merge_sort_block_merge_implIS3_N6thrust23THRUST_200600_302600_NS6detail15normal_iteratorINS9_10device_ptrIsEEEEPS5_jNS1_19radix_merge_compareILb0ELb0EsNS0_19identity_decomposerEEEEE10hipError_tT0_T1_T2_jT3_P12ihipStream_tbPNSt15iterator_traitsISK_E10value_typeEPNSQ_ISL_E10value_typeEPSM_NS1_7vsmem_tEENKUlT_SK_SL_SM_E_clISE_PsSF_SF_EESJ_SZ_SK_SL_SM_EUlSZ_E_NS1_11comp_targetILNS1_3genE4ELNS1_11target_archE910ELNS1_3gpuE8ELNS1_3repE0EEENS1_48merge_mergepath_partition_config_static_selectorELNS0_4arch9wavefront6targetE1EEEvSL_,comdat
.Lfunc_end1845:
	.size	_ZN7rocprim17ROCPRIM_400000_NS6detail17trampoline_kernelINS0_14default_configENS1_38merge_sort_block_merge_config_selectorIsNS0_10empty_typeEEEZZNS1_27merge_sort_block_merge_implIS3_N6thrust23THRUST_200600_302600_NS6detail15normal_iteratorINS9_10device_ptrIsEEEEPS5_jNS1_19radix_merge_compareILb0ELb0EsNS0_19identity_decomposerEEEEE10hipError_tT0_T1_T2_jT3_P12ihipStream_tbPNSt15iterator_traitsISK_E10value_typeEPNSQ_ISL_E10value_typeEPSM_NS1_7vsmem_tEENKUlT_SK_SL_SM_E_clISE_PsSF_SF_EESJ_SZ_SK_SL_SM_EUlSZ_E_NS1_11comp_targetILNS1_3genE4ELNS1_11target_archE910ELNS1_3gpuE8ELNS1_3repE0EEENS1_48merge_mergepath_partition_config_static_selectorELNS0_4arch9wavefront6targetE1EEEvSL_, .Lfunc_end1845-_ZN7rocprim17ROCPRIM_400000_NS6detail17trampoline_kernelINS0_14default_configENS1_38merge_sort_block_merge_config_selectorIsNS0_10empty_typeEEEZZNS1_27merge_sort_block_merge_implIS3_N6thrust23THRUST_200600_302600_NS6detail15normal_iteratorINS9_10device_ptrIsEEEEPS5_jNS1_19radix_merge_compareILb0ELb0EsNS0_19identity_decomposerEEEEE10hipError_tT0_T1_T2_jT3_P12ihipStream_tbPNSt15iterator_traitsISK_E10value_typeEPNSQ_ISL_E10value_typeEPSM_NS1_7vsmem_tEENKUlT_SK_SL_SM_E_clISE_PsSF_SF_EESJ_SZ_SK_SL_SM_EUlSZ_E_NS1_11comp_targetILNS1_3genE4ELNS1_11target_archE910ELNS1_3gpuE8ELNS1_3repE0EEENS1_48merge_mergepath_partition_config_static_selectorELNS0_4arch9wavefront6targetE1EEEvSL_
                                        ; -- End function
	.section	.AMDGPU.csdata,"",@progbits
; Kernel info:
; codeLenInByte = 0
; NumSgprs: 6
; NumVgprs: 0
; NumAgprs: 0
; TotalNumVgprs: 0
; ScratchSize: 0
; MemoryBound: 0
; FloatMode: 240
; IeeeMode: 1
; LDSByteSize: 0 bytes/workgroup (compile time only)
; SGPRBlocks: 0
; VGPRBlocks: 0
; NumSGPRsForWavesPerEU: 6
; NumVGPRsForWavesPerEU: 1
; AccumOffset: 4
; Occupancy: 8
; WaveLimiterHint : 0
; COMPUTE_PGM_RSRC2:SCRATCH_EN: 0
; COMPUTE_PGM_RSRC2:USER_SGPR: 2
; COMPUTE_PGM_RSRC2:TRAP_HANDLER: 0
; COMPUTE_PGM_RSRC2:TGID_X_EN: 1
; COMPUTE_PGM_RSRC2:TGID_Y_EN: 0
; COMPUTE_PGM_RSRC2:TGID_Z_EN: 0
; COMPUTE_PGM_RSRC2:TIDIG_COMP_CNT: 0
; COMPUTE_PGM_RSRC3_GFX90A:ACCUM_OFFSET: 0
; COMPUTE_PGM_RSRC3_GFX90A:TG_SPLIT: 0
	.section	.text._ZN7rocprim17ROCPRIM_400000_NS6detail17trampoline_kernelINS0_14default_configENS1_38merge_sort_block_merge_config_selectorIsNS0_10empty_typeEEEZZNS1_27merge_sort_block_merge_implIS3_N6thrust23THRUST_200600_302600_NS6detail15normal_iteratorINS9_10device_ptrIsEEEEPS5_jNS1_19radix_merge_compareILb0ELb0EsNS0_19identity_decomposerEEEEE10hipError_tT0_T1_T2_jT3_P12ihipStream_tbPNSt15iterator_traitsISK_E10value_typeEPNSQ_ISL_E10value_typeEPSM_NS1_7vsmem_tEENKUlT_SK_SL_SM_E_clISE_PsSF_SF_EESJ_SZ_SK_SL_SM_EUlSZ_E_NS1_11comp_targetILNS1_3genE3ELNS1_11target_archE908ELNS1_3gpuE7ELNS1_3repE0EEENS1_48merge_mergepath_partition_config_static_selectorELNS0_4arch9wavefront6targetE1EEEvSL_,"axG",@progbits,_ZN7rocprim17ROCPRIM_400000_NS6detail17trampoline_kernelINS0_14default_configENS1_38merge_sort_block_merge_config_selectorIsNS0_10empty_typeEEEZZNS1_27merge_sort_block_merge_implIS3_N6thrust23THRUST_200600_302600_NS6detail15normal_iteratorINS9_10device_ptrIsEEEEPS5_jNS1_19radix_merge_compareILb0ELb0EsNS0_19identity_decomposerEEEEE10hipError_tT0_T1_T2_jT3_P12ihipStream_tbPNSt15iterator_traitsISK_E10value_typeEPNSQ_ISL_E10value_typeEPSM_NS1_7vsmem_tEENKUlT_SK_SL_SM_E_clISE_PsSF_SF_EESJ_SZ_SK_SL_SM_EUlSZ_E_NS1_11comp_targetILNS1_3genE3ELNS1_11target_archE908ELNS1_3gpuE7ELNS1_3repE0EEENS1_48merge_mergepath_partition_config_static_selectorELNS0_4arch9wavefront6targetE1EEEvSL_,comdat
	.protected	_ZN7rocprim17ROCPRIM_400000_NS6detail17trampoline_kernelINS0_14default_configENS1_38merge_sort_block_merge_config_selectorIsNS0_10empty_typeEEEZZNS1_27merge_sort_block_merge_implIS3_N6thrust23THRUST_200600_302600_NS6detail15normal_iteratorINS9_10device_ptrIsEEEEPS5_jNS1_19radix_merge_compareILb0ELb0EsNS0_19identity_decomposerEEEEE10hipError_tT0_T1_T2_jT3_P12ihipStream_tbPNSt15iterator_traitsISK_E10value_typeEPNSQ_ISL_E10value_typeEPSM_NS1_7vsmem_tEENKUlT_SK_SL_SM_E_clISE_PsSF_SF_EESJ_SZ_SK_SL_SM_EUlSZ_E_NS1_11comp_targetILNS1_3genE3ELNS1_11target_archE908ELNS1_3gpuE7ELNS1_3repE0EEENS1_48merge_mergepath_partition_config_static_selectorELNS0_4arch9wavefront6targetE1EEEvSL_ ; -- Begin function _ZN7rocprim17ROCPRIM_400000_NS6detail17trampoline_kernelINS0_14default_configENS1_38merge_sort_block_merge_config_selectorIsNS0_10empty_typeEEEZZNS1_27merge_sort_block_merge_implIS3_N6thrust23THRUST_200600_302600_NS6detail15normal_iteratorINS9_10device_ptrIsEEEEPS5_jNS1_19radix_merge_compareILb0ELb0EsNS0_19identity_decomposerEEEEE10hipError_tT0_T1_T2_jT3_P12ihipStream_tbPNSt15iterator_traitsISK_E10value_typeEPNSQ_ISL_E10value_typeEPSM_NS1_7vsmem_tEENKUlT_SK_SL_SM_E_clISE_PsSF_SF_EESJ_SZ_SK_SL_SM_EUlSZ_E_NS1_11comp_targetILNS1_3genE3ELNS1_11target_archE908ELNS1_3gpuE7ELNS1_3repE0EEENS1_48merge_mergepath_partition_config_static_selectorELNS0_4arch9wavefront6targetE1EEEvSL_
	.globl	_ZN7rocprim17ROCPRIM_400000_NS6detail17trampoline_kernelINS0_14default_configENS1_38merge_sort_block_merge_config_selectorIsNS0_10empty_typeEEEZZNS1_27merge_sort_block_merge_implIS3_N6thrust23THRUST_200600_302600_NS6detail15normal_iteratorINS9_10device_ptrIsEEEEPS5_jNS1_19radix_merge_compareILb0ELb0EsNS0_19identity_decomposerEEEEE10hipError_tT0_T1_T2_jT3_P12ihipStream_tbPNSt15iterator_traitsISK_E10value_typeEPNSQ_ISL_E10value_typeEPSM_NS1_7vsmem_tEENKUlT_SK_SL_SM_E_clISE_PsSF_SF_EESJ_SZ_SK_SL_SM_EUlSZ_E_NS1_11comp_targetILNS1_3genE3ELNS1_11target_archE908ELNS1_3gpuE7ELNS1_3repE0EEENS1_48merge_mergepath_partition_config_static_selectorELNS0_4arch9wavefront6targetE1EEEvSL_
	.p2align	8
	.type	_ZN7rocprim17ROCPRIM_400000_NS6detail17trampoline_kernelINS0_14default_configENS1_38merge_sort_block_merge_config_selectorIsNS0_10empty_typeEEEZZNS1_27merge_sort_block_merge_implIS3_N6thrust23THRUST_200600_302600_NS6detail15normal_iteratorINS9_10device_ptrIsEEEEPS5_jNS1_19radix_merge_compareILb0ELb0EsNS0_19identity_decomposerEEEEE10hipError_tT0_T1_T2_jT3_P12ihipStream_tbPNSt15iterator_traitsISK_E10value_typeEPNSQ_ISL_E10value_typeEPSM_NS1_7vsmem_tEENKUlT_SK_SL_SM_E_clISE_PsSF_SF_EESJ_SZ_SK_SL_SM_EUlSZ_E_NS1_11comp_targetILNS1_3genE3ELNS1_11target_archE908ELNS1_3gpuE7ELNS1_3repE0EEENS1_48merge_mergepath_partition_config_static_selectorELNS0_4arch9wavefront6targetE1EEEvSL_,@function
_ZN7rocprim17ROCPRIM_400000_NS6detail17trampoline_kernelINS0_14default_configENS1_38merge_sort_block_merge_config_selectorIsNS0_10empty_typeEEEZZNS1_27merge_sort_block_merge_implIS3_N6thrust23THRUST_200600_302600_NS6detail15normal_iteratorINS9_10device_ptrIsEEEEPS5_jNS1_19radix_merge_compareILb0ELb0EsNS0_19identity_decomposerEEEEE10hipError_tT0_T1_T2_jT3_P12ihipStream_tbPNSt15iterator_traitsISK_E10value_typeEPNSQ_ISL_E10value_typeEPSM_NS1_7vsmem_tEENKUlT_SK_SL_SM_E_clISE_PsSF_SF_EESJ_SZ_SK_SL_SM_EUlSZ_E_NS1_11comp_targetILNS1_3genE3ELNS1_11target_archE908ELNS1_3gpuE7ELNS1_3repE0EEENS1_48merge_mergepath_partition_config_static_selectorELNS0_4arch9wavefront6targetE1EEEvSL_: ; @_ZN7rocprim17ROCPRIM_400000_NS6detail17trampoline_kernelINS0_14default_configENS1_38merge_sort_block_merge_config_selectorIsNS0_10empty_typeEEEZZNS1_27merge_sort_block_merge_implIS3_N6thrust23THRUST_200600_302600_NS6detail15normal_iteratorINS9_10device_ptrIsEEEEPS5_jNS1_19radix_merge_compareILb0ELb0EsNS0_19identity_decomposerEEEEE10hipError_tT0_T1_T2_jT3_P12ihipStream_tbPNSt15iterator_traitsISK_E10value_typeEPNSQ_ISL_E10value_typeEPSM_NS1_7vsmem_tEENKUlT_SK_SL_SM_E_clISE_PsSF_SF_EESJ_SZ_SK_SL_SM_EUlSZ_E_NS1_11comp_targetILNS1_3genE3ELNS1_11target_archE908ELNS1_3gpuE7ELNS1_3repE0EEENS1_48merge_mergepath_partition_config_static_selectorELNS0_4arch9wavefront6targetE1EEEvSL_
; %bb.0:
	.section	.rodata,"a",@progbits
	.p2align	6, 0x0
	.amdhsa_kernel _ZN7rocprim17ROCPRIM_400000_NS6detail17trampoline_kernelINS0_14default_configENS1_38merge_sort_block_merge_config_selectorIsNS0_10empty_typeEEEZZNS1_27merge_sort_block_merge_implIS3_N6thrust23THRUST_200600_302600_NS6detail15normal_iteratorINS9_10device_ptrIsEEEEPS5_jNS1_19radix_merge_compareILb0ELb0EsNS0_19identity_decomposerEEEEE10hipError_tT0_T1_T2_jT3_P12ihipStream_tbPNSt15iterator_traitsISK_E10value_typeEPNSQ_ISL_E10value_typeEPSM_NS1_7vsmem_tEENKUlT_SK_SL_SM_E_clISE_PsSF_SF_EESJ_SZ_SK_SL_SM_EUlSZ_E_NS1_11comp_targetILNS1_3genE3ELNS1_11target_archE908ELNS1_3gpuE7ELNS1_3repE0EEENS1_48merge_mergepath_partition_config_static_selectorELNS0_4arch9wavefront6targetE1EEEvSL_
		.amdhsa_group_segment_fixed_size 0
		.amdhsa_private_segment_fixed_size 0
		.amdhsa_kernarg_size 40
		.amdhsa_user_sgpr_count 2
		.amdhsa_user_sgpr_dispatch_ptr 0
		.amdhsa_user_sgpr_queue_ptr 0
		.amdhsa_user_sgpr_kernarg_segment_ptr 1
		.amdhsa_user_sgpr_dispatch_id 0
		.amdhsa_user_sgpr_kernarg_preload_length 0
		.amdhsa_user_sgpr_kernarg_preload_offset 0
		.amdhsa_user_sgpr_private_segment_size 0
		.amdhsa_uses_dynamic_stack 0
		.amdhsa_enable_private_segment 0
		.amdhsa_system_sgpr_workgroup_id_x 1
		.amdhsa_system_sgpr_workgroup_id_y 0
		.amdhsa_system_sgpr_workgroup_id_z 0
		.amdhsa_system_sgpr_workgroup_info 0
		.amdhsa_system_vgpr_workitem_id 0
		.amdhsa_next_free_vgpr 1
		.amdhsa_next_free_sgpr 0
		.amdhsa_accum_offset 4
		.amdhsa_reserve_vcc 0
		.amdhsa_float_round_mode_32 0
		.amdhsa_float_round_mode_16_64 0
		.amdhsa_float_denorm_mode_32 3
		.amdhsa_float_denorm_mode_16_64 3
		.amdhsa_dx10_clamp 1
		.amdhsa_ieee_mode 1
		.amdhsa_fp16_overflow 0
		.amdhsa_tg_split 0
		.amdhsa_exception_fp_ieee_invalid_op 0
		.amdhsa_exception_fp_denorm_src 0
		.amdhsa_exception_fp_ieee_div_zero 0
		.amdhsa_exception_fp_ieee_overflow 0
		.amdhsa_exception_fp_ieee_underflow 0
		.amdhsa_exception_fp_ieee_inexact 0
		.amdhsa_exception_int_div_zero 0
	.end_amdhsa_kernel
	.section	.text._ZN7rocprim17ROCPRIM_400000_NS6detail17trampoline_kernelINS0_14default_configENS1_38merge_sort_block_merge_config_selectorIsNS0_10empty_typeEEEZZNS1_27merge_sort_block_merge_implIS3_N6thrust23THRUST_200600_302600_NS6detail15normal_iteratorINS9_10device_ptrIsEEEEPS5_jNS1_19radix_merge_compareILb0ELb0EsNS0_19identity_decomposerEEEEE10hipError_tT0_T1_T2_jT3_P12ihipStream_tbPNSt15iterator_traitsISK_E10value_typeEPNSQ_ISL_E10value_typeEPSM_NS1_7vsmem_tEENKUlT_SK_SL_SM_E_clISE_PsSF_SF_EESJ_SZ_SK_SL_SM_EUlSZ_E_NS1_11comp_targetILNS1_3genE3ELNS1_11target_archE908ELNS1_3gpuE7ELNS1_3repE0EEENS1_48merge_mergepath_partition_config_static_selectorELNS0_4arch9wavefront6targetE1EEEvSL_,"axG",@progbits,_ZN7rocprim17ROCPRIM_400000_NS6detail17trampoline_kernelINS0_14default_configENS1_38merge_sort_block_merge_config_selectorIsNS0_10empty_typeEEEZZNS1_27merge_sort_block_merge_implIS3_N6thrust23THRUST_200600_302600_NS6detail15normal_iteratorINS9_10device_ptrIsEEEEPS5_jNS1_19radix_merge_compareILb0ELb0EsNS0_19identity_decomposerEEEEE10hipError_tT0_T1_T2_jT3_P12ihipStream_tbPNSt15iterator_traitsISK_E10value_typeEPNSQ_ISL_E10value_typeEPSM_NS1_7vsmem_tEENKUlT_SK_SL_SM_E_clISE_PsSF_SF_EESJ_SZ_SK_SL_SM_EUlSZ_E_NS1_11comp_targetILNS1_3genE3ELNS1_11target_archE908ELNS1_3gpuE7ELNS1_3repE0EEENS1_48merge_mergepath_partition_config_static_selectorELNS0_4arch9wavefront6targetE1EEEvSL_,comdat
.Lfunc_end1846:
	.size	_ZN7rocprim17ROCPRIM_400000_NS6detail17trampoline_kernelINS0_14default_configENS1_38merge_sort_block_merge_config_selectorIsNS0_10empty_typeEEEZZNS1_27merge_sort_block_merge_implIS3_N6thrust23THRUST_200600_302600_NS6detail15normal_iteratorINS9_10device_ptrIsEEEEPS5_jNS1_19radix_merge_compareILb0ELb0EsNS0_19identity_decomposerEEEEE10hipError_tT0_T1_T2_jT3_P12ihipStream_tbPNSt15iterator_traitsISK_E10value_typeEPNSQ_ISL_E10value_typeEPSM_NS1_7vsmem_tEENKUlT_SK_SL_SM_E_clISE_PsSF_SF_EESJ_SZ_SK_SL_SM_EUlSZ_E_NS1_11comp_targetILNS1_3genE3ELNS1_11target_archE908ELNS1_3gpuE7ELNS1_3repE0EEENS1_48merge_mergepath_partition_config_static_selectorELNS0_4arch9wavefront6targetE1EEEvSL_, .Lfunc_end1846-_ZN7rocprim17ROCPRIM_400000_NS6detail17trampoline_kernelINS0_14default_configENS1_38merge_sort_block_merge_config_selectorIsNS0_10empty_typeEEEZZNS1_27merge_sort_block_merge_implIS3_N6thrust23THRUST_200600_302600_NS6detail15normal_iteratorINS9_10device_ptrIsEEEEPS5_jNS1_19radix_merge_compareILb0ELb0EsNS0_19identity_decomposerEEEEE10hipError_tT0_T1_T2_jT3_P12ihipStream_tbPNSt15iterator_traitsISK_E10value_typeEPNSQ_ISL_E10value_typeEPSM_NS1_7vsmem_tEENKUlT_SK_SL_SM_E_clISE_PsSF_SF_EESJ_SZ_SK_SL_SM_EUlSZ_E_NS1_11comp_targetILNS1_3genE3ELNS1_11target_archE908ELNS1_3gpuE7ELNS1_3repE0EEENS1_48merge_mergepath_partition_config_static_selectorELNS0_4arch9wavefront6targetE1EEEvSL_
                                        ; -- End function
	.section	.AMDGPU.csdata,"",@progbits
; Kernel info:
; codeLenInByte = 0
; NumSgprs: 6
; NumVgprs: 0
; NumAgprs: 0
; TotalNumVgprs: 0
; ScratchSize: 0
; MemoryBound: 0
; FloatMode: 240
; IeeeMode: 1
; LDSByteSize: 0 bytes/workgroup (compile time only)
; SGPRBlocks: 0
; VGPRBlocks: 0
; NumSGPRsForWavesPerEU: 6
; NumVGPRsForWavesPerEU: 1
; AccumOffset: 4
; Occupancy: 8
; WaveLimiterHint : 0
; COMPUTE_PGM_RSRC2:SCRATCH_EN: 0
; COMPUTE_PGM_RSRC2:USER_SGPR: 2
; COMPUTE_PGM_RSRC2:TRAP_HANDLER: 0
; COMPUTE_PGM_RSRC2:TGID_X_EN: 1
; COMPUTE_PGM_RSRC2:TGID_Y_EN: 0
; COMPUTE_PGM_RSRC2:TGID_Z_EN: 0
; COMPUTE_PGM_RSRC2:TIDIG_COMP_CNT: 0
; COMPUTE_PGM_RSRC3_GFX90A:ACCUM_OFFSET: 0
; COMPUTE_PGM_RSRC3_GFX90A:TG_SPLIT: 0
	.section	.text._ZN7rocprim17ROCPRIM_400000_NS6detail17trampoline_kernelINS0_14default_configENS1_38merge_sort_block_merge_config_selectorIsNS0_10empty_typeEEEZZNS1_27merge_sort_block_merge_implIS3_N6thrust23THRUST_200600_302600_NS6detail15normal_iteratorINS9_10device_ptrIsEEEEPS5_jNS1_19radix_merge_compareILb0ELb0EsNS0_19identity_decomposerEEEEE10hipError_tT0_T1_T2_jT3_P12ihipStream_tbPNSt15iterator_traitsISK_E10value_typeEPNSQ_ISL_E10value_typeEPSM_NS1_7vsmem_tEENKUlT_SK_SL_SM_E_clISE_PsSF_SF_EESJ_SZ_SK_SL_SM_EUlSZ_E_NS1_11comp_targetILNS1_3genE2ELNS1_11target_archE906ELNS1_3gpuE6ELNS1_3repE0EEENS1_48merge_mergepath_partition_config_static_selectorELNS0_4arch9wavefront6targetE1EEEvSL_,"axG",@progbits,_ZN7rocprim17ROCPRIM_400000_NS6detail17trampoline_kernelINS0_14default_configENS1_38merge_sort_block_merge_config_selectorIsNS0_10empty_typeEEEZZNS1_27merge_sort_block_merge_implIS3_N6thrust23THRUST_200600_302600_NS6detail15normal_iteratorINS9_10device_ptrIsEEEEPS5_jNS1_19radix_merge_compareILb0ELb0EsNS0_19identity_decomposerEEEEE10hipError_tT0_T1_T2_jT3_P12ihipStream_tbPNSt15iterator_traitsISK_E10value_typeEPNSQ_ISL_E10value_typeEPSM_NS1_7vsmem_tEENKUlT_SK_SL_SM_E_clISE_PsSF_SF_EESJ_SZ_SK_SL_SM_EUlSZ_E_NS1_11comp_targetILNS1_3genE2ELNS1_11target_archE906ELNS1_3gpuE6ELNS1_3repE0EEENS1_48merge_mergepath_partition_config_static_selectorELNS0_4arch9wavefront6targetE1EEEvSL_,comdat
	.protected	_ZN7rocprim17ROCPRIM_400000_NS6detail17trampoline_kernelINS0_14default_configENS1_38merge_sort_block_merge_config_selectorIsNS0_10empty_typeEEEZZNS1_27merge_sort_block_merge_implIS3_N6thrust23THRUST_200600_302600_NS6detail15normal_iteratorINS9_10device_ptrIsEEEEPS5_jNS1_19radix_merge_compareILb0ELb0EsNS0_19identity_decomposerEEEEE10hipError_tT0_T1_T2_jT3_P12ihipStream_tbPNSt15iterator_traitsISK_E10value_typeEPNSQ_ISL_E10value_typeEPSM_NS1_7vsmem_tEENKUlT_SK_SL_SM_E_clISE_PsSF_SF_EESJ_SZ_SK_SL_SM_EUlSZ_E_NS1_11comp_targetILNS1_3genE2ELNS1_11target_archE906ELNS1_3gpuE6ELNS1_3repE0EEENS1_48merge_mergepath_partition_config_static_selectorELNS0_4arch9wavefront6targetE1EEEvSL_ ; -- Begin function _ZN7rocprim17ROCPRIM_400000_NS6detail17trampoline_kernelINS0_14default_configENS1_38merge_sort_block_merge_config_selectorIsNS0_10empty_typeEEEZZNS1_27merge_sort_block_merge_implIS3_N6thrust23THRUST_200600_302600_NS6detail15normal_iteratorINS9_10device_ptrIsEEEEPS5_jNS1_19radix_merge_compareILb0ELb0EsNS0_19identity_decomposerEEEEE10hipError_tT0_T1_T2_jT3_P12ihipStream_tbPNSt15iterator_traitsISK_E10value_typeEPNSQ_ISL_E10value_typeEPSM_NS1_7vsmem_tEENKUlT_SK_SL_SM_E_clISE_PsSF_SF_EESJ_SZ_SK_SL_SM_EUlSZ_E_NS1_11comp_targetILNS1_3genE2ELNS1_11target_archE906ELNS1_3gpuE6ELNS1_3repE0EEENS1_48merge_mergepath_partition_config_static_selectorELNS0_4arch9wavefront6targetE1EEEvSL_
	.globl	_ZN7rocprim17ROCPRIM_400000_NS6detail17trampoline_kernelINS0_14default_configENS1_38merge_sort_block_merge_config_selectorIsNS0_10empty_typeEEEZZNS1_27merge_sort_block_merge_implIS3_N6thrust23THRUST_200600_302600_NS6detail15normal_iteratorINS9_10device_ptrIsEEEEPS5_jNS1_19radix_merge_compareILb0ELb0EsNS0_19identity_decomposerEEEEE10hipError_tT0_T1_T2_jT3_P12ihipStream_tbPNSt15iterator_traitsISK_E10value_typeEPNSQ_ISL_E10value_typeEPSM_NS1_7vsmem_tEENKUlT_SK_SL_SM_E_clISE_PsSF_SF_EESJ_SZ_SK_SL_SM_EUlSZ_E_NS1_11comp_targetILNS1_3genE2ELNS1_11target_archE906ELNS1_3gpuE6ELNS1_3repE0EEENS1_48merge_mergepath_partition_config_static_selectorELNS0_4arch9wavefront6targetE1EEEvSL_
	.p2align	8
	.type	_ZN7rocprim17ROCPRIM_400000_NS6detail17trampoline_kernelINS0_14default_configENS1_38merge_sort_block_merge_config_selectorIsNS0_10empty_typeEEEZZNS1_27merge_sort_block_merge_implIS3_N6thrust23THRUST_200600_302600_NS6detail15normal_iteratorINS9_10device_ptrIsEEEEPS5_jNS1_19radix_merge_compareILb0ELb0EsNS0_19identity_decomposerEEEEE10hipError_tT0_T1_T2_jT3_P12ihipStream_tbPNSt15iterator_traitsISK_E10value_typeEPNSQ_ISL_E10value_typeEPSM_NS1_7vsmem_tEENKUlT_SK_SL_SM_E_clISE_PsSF_SF_EESJ_SZ_SK_SL_SM_EUlSZ_E_NS1_11comp_targetILNS1_3genE2ELNS1_11target_archE906ELNS1_3gpuE6ELNS1_3repE0EEENS1_48merge_mergepath_partition_config_static_selectorELNS0_4arch9wavefront6targetE1EEEvSL_,@function
_ZN7rocprim17ROCPRIM_400000_NS6detail17trampoline_kernelINS0_14default_configENS1_38merge_sort_block_merge_config_selectorIsNS0_10empty_typeEEEZZNS1_27merge_sort_block_merge_implIS3_N6thrust23THRUST_200600_302600_NS6detail15normal_iteratorINS9_10device_ptrIsEEEEPS5_jNS1_19radix_merge_compareILb0ELb0EsNS0_19identity_decomposerEEEEE10hipError_tT0_T1_T2_jT3_P12ihipStream_tbPNSt15iterator_traitsISK_E10value_typeEPNSQ_ISL_E10value_typeEPSM_NS1_7vsmem_tEENKUlT_SK_SL_SM_E_clISE_PsSF_SF_EESJ_SZ_SK_SL_SM_EUlSZ_E_NS1_11comp_targetILNS1_3genE2ELNS1_11target_archE906ELNS1_3gpuE6ELNS1_3repE0EEENS1_48merge_mergepath_partition_config_static_selectorELNS0_4arch9wavefront6targetE1EEEvSL_: ; @_ZN7rocprim17ROCPRIM_400000_NS6detail17trampoline_kernelINS0_14default_configENS1_38merge_sort_block_merge_config_selectorIsNS0_10empty_typeEEEZZNS1_27merge_sort_block_merge_implIS3_N6thrust23THRUST_200600_302600_NS6detail15normal_iteratorINS9_10device_ptrIsEEEEPS5_jNS1_19radix_merge_compareILb0ELb0EsNS0_19identity_decomposerEEEEE10hipError_tT0_T1_T2_jT3_P12ihipStream_tbPNSt15iterator_traitsISK_E10value_typeEPNSQ_ISL_E10value_typeEPSM_NS1_7vsmem_tEENKUlT_SK_SL_SM_E_clISE_PsSF_SF_EESJ_SZ_SK_SL_SM_EUlSZ_E_NS1_11comp_targetILNS1_3genE2ELNS1_11target_archE906ELNS1_3gpuE6ELNS1_3repE0EEENS1_48merge_mergepath_partition_config_static_selectorELNS0_4arch9wavefront6targetE1EEEvSL_
; %bb.0:
	.section	.rodata,"a",@progbits
	.p2align	6, 0x0
	.amdhsa_kernel _ZN7rocprim17ROCPRIM_400000_NS6detail17trampoline_kernelINS0_14default_configENS1_38merge_sort_block_merge_config_selectorIsNS0_10empty_typeEEEZZNS1_27merge_sort_block_merge_implIS3_N6thrust23THRUST_200600_302600_NS6detail15normal_iteratorINS9_10device_ptrIsEEEEPS5_jNS1_19radix_merge_compareILb0ELb0EsNS0_19identity_decomposerEEEEE10hipError_tT0_T1_T2_jT3_P12ihipStream_tbPNSt15iterator_traitsISK_E10value_typeEPNSQ_ISL_E10value_typeEPSM_NS1_7vsmem_tEENKUlT_SK_SL_SM_E_clISE_PsSF_SF_EESJ_SZ_SK_SL_SM_EUlSZ_E_NS1_11comp_targetILNS1_3genE2ELNS1_11target_archE906ELNS1_3gpuE6ELNS1_3repE0EEENS1_48merge_mergepath_partition_config_static_selectorELNS0_4arch9wavefront6targetE1EEEvSL_
		.amdhsa_group_segment_fixed_size 0
		.amdhsa_private_segment_fixed_size 0
		.amdhsa_kernarg_size 40
		.amdhsa_user_sgpr_count 2
		.amdhsa_user_sgpr_dispatch_ptr 0
		.amdhsa_user_sgpr_queue_ptr 0
		.amdhsa_user_sgpr_kernarg_segment_ptr 1
		.amdhsa_user_sgpr_dispatch_id 0
		.amdhsa_user_sgpr_kernarg_preload_length 0
		.amdhsa_user_sgpr_kernarg_preload_offset 0
		.amdhsa_user_sgpr_private_segment_size 0
		.amdhsa_uses_dynamic_stack 0
		.amdhsa_enable_private_segment 0
		.amdhsa_system_sgpr_workgroup_id_x 1
		.amdhsa_system_sgpr_workgroup_id_y 0
		.amdhsa_system_sgpr_workgroup_id_z 0
		.amdhsa_system_sgpr_workgroup_info 0
		.amdhsa_system_vgpr_workitem_id 0
		.amdhsa_next_free_vgpr 1
		.amdhsa_next_free_sgpr 0
		.amdhsa_accum_offset 4
		.amdhsa_reserve_vcc 0
		.amdhsa_float_round_mode_32 0
		.amdhsa_float_round_mode_16_64 0
		.amdhsa_float_denorm_mode_32 3
		.amdhsa_float_denorm_mode_16_64 3
		.amdhsa_dx10_clamp 1
		.amdhsa_ieee_mode 1
		.amdhsa_fp16_overflow 0
		.amdhsa_tg_split 0
		.amdhsa_exception_fp_ieee_invalid_op 0
		.amdhsa_exception_fp_denorm_src 0
		.amdhsa_exception_fp_ieee_div_zero 0
		.amdhsa_exception_fp_ieee_overflow 0
		.amdhsa_exception_fp_ieee_underflow 0
		.amdhsa_exception_fp_ieee_inexact 0
		.amdhsa_exception_int_div_zero 0
	.end_amdhsa_kernel
	.section	.text._ZN7rocprim17ROCPRIM_400000_NS6detail17trampoline_kernelINS0_14default_configENS1_38merge_sort_block_merge_config_selectorIsNS0_10empty_typeEEEZZNS1_27merge_sort_block_merge_implIS3_N6thrust23THRUST_200600_302600_NS6detail15normal_iteratorINS9_10device_ptrIsEEEEPS5_jNS1_19radix_merge_compareILb0ELb0EsNS0_19identity_decomposerEEEEE10hipError_tT0_T1_T2_jT3_P12ihipStream_tbPNSt15iterator_traitsISK_E10value_typeEPNSQ_ISL_E10value_typeEPSM_NS1_7vsmem_tEENKUlT_SK_SL_SM_E_clISE_PsSF_SF_EESJ_SZ_SK_SL_SM_EUlSZ_E_NS1_11comp_targetILNS1_3genE2ELNS1_11target_archE906ELNS1_3gpuE6ELNS1_3repE0EEENS1_48merge_mergepath_partition_config_static_selectorELNS0_4arch9wavefront6targetE1EEEvSL_,"axG",@progbits,_ZN7rocprim17ROCPRIM_400000_NS6detail17trampoline_kernelINS0_14default_configENS1_38merge_sort_block_merge_config_selectorIsNS0_10empty_typeEEEZZNS1_27merge_sort_block_merge_implIS3_N6thrust23THRUST_200600_302600_NS6detail15normal_iteratorINS9_10device_ptrIsEEEEPS5_jNS1_19radix_merge_compareILb0ELb0EsNS0_19identity_decomposerEEEEE10hipError_tT0_T1_T2_jT3_P12ihipStream_tbPNSt15iterator_traitsISK_E10value_typeEPNSQ_ISL_E10value_typeEPSM_NS1_7vsmem_tEENKUlT_SK_SL_SM_E_clISE_PsSF_SF_EESJ_SZ_SK_SL_SM_EUlSZ_E_NS1_11comp_targetILNS1_3genE2ELNS1_11target_archE906ELNS1_3gpuE6ELNS1_3repE0EEENS1_48merge_mergepath_partition_config_static_selectorELNS0_4arch9wavefront6targetE1EEEvSL_,comdat
.Lfunc_end1847:
	.size	_ZN7rocprim17ROCPRIM_400000_NS6detail17trampoline_kernelINS0_14default_configENS1_38merge_sort_block_merge_config_selectorIsNS0_10empty_typeEEEZZNS1_27merge_sort_block_merge_implIS3_N6thrust23THRUST_200600_302600_NS6detail15normal_iteratorINS9_10device_ptrIsEEEEPS5_jNS1_19radix_merge_compareILb0ELb0EsNS0_19identity_decomposerEEEEE10hipError_tT0_T1_T2_jT3_P12ihipStream_tbPNSt15iterator_traitsISK_E10value_typeEPNSQ_ISL_E10value_typeEPSM_NS1_7vsmem_tEENKUlT_SK_SL_SM_E_clISE_PsSF_SF_EESJ_SZ_SK_SL_SM_EUlSZ_E_NS1_11comp_targetILNS1_3genE2ELNS1_11target_archE906ELNS1_3gpuE6ELNS1_3repE0EEENS1_48merge_mergepath_partition_config_static_selectorELNS0_4arch9wavefront6targetE1EEEvSL_, .Lfunc_end1847-_ZN7rocprim17ROCPRIM_400000_NS6detail17trampoline_kernelINS0_14default_configENS1_38merge_sort_block_merge_config_selectorIsNS0_10empty_typeEEEZZNS1_27merge_sort_block_merge_implIS3_N6thrust23THRUST_200600_302600_NS6detail15normal_iteratorINS9_10device_ptrIsEEEEPS5_jNS1_19radix_merge_compareILb0ELb0EsNS0_19identity_decomposerEEEEE10hipError_tT0_T1_T2_jT3_P12ihipStream_tbPNSt15iterator_traitsISK_E10value_typeEPNSQ_ISL_E10value_typeEPSM_NS1_7vsmem_tEENKUlT_SK_SL_SM_E_clISE_PsSF_SF_EESJ_SZ_SK_SL_SM_EUlSZ_E_NS1_11comp_targetILNS1_3genE2ELNS1_11target_archE906ELNS1_3gpuE6ELNS1_3repE0EEENS1_48merge_mergepath_partition_config_static_selectorELNS0_4arch9wavefront6targetE1EEEvSL_
                                        ; -- End function
	.section	.AMDGPU.csdata,"",@progbits
; Kernel info:
; codeLenInByte = 0
; NumSgprs: 6
; NumVgprs: 0
; NumAgprs: 0
; TotalNumVgprs: 0
; ScratchSize: 0
; MemoryBound: 0
; FloatMode: 240
; IeeeMode: 1
; LDSByteSize: 0 bytes/workgroup (compile time only)
; SGPRBlocks: 0
; VGPRBlocks: 0
; NumSGPRsForWavesPerEU: 6
; NumVGPRsForWavesPerEU: 1
; AccumOffset: 4
; Occupancy: 8
; WaveLimiterHint : 0
; COMPUTE_PGM_RSRC2:SCRATCH_EN: 0
; COMPUTE_PGM_RSRC2:USER_SGPR: 2
; COMPUTE_PGM_RSRC2:TRAP_HANDLER: 0
; COMPUTE_PGM_RSRC2:TGID_X_EN: 1
; COMPUTE_PGM_RSRC2:TGID_Y_EN: 0
; COMPUTE_PGM_RSRC2:TGID_Z_EN: 0
; COMPUTE_PGM_RSRC2:TIDIG_COMP_CNT: 0
; COMPUTE_PGM_RSRC3_GFX90A:ACCUM_OFFSET: 0
; COMPUTE_PGM_RSRC3_GFX90A:TG_SPLIT: 0
	.section	.text._ZN7rocprim17ROCPRIM_400000_NS6detail17trampoline_kernelINS0_14default_configENS1_38merge_sort_block_merge_config_selectorIsNS0_10empty_typeEEEZZNS1_27merge_sort_block_merge_implIS3_N6thrust23THRUST_200600_302600_NS6detail15normal_iteratorINS9_10device_ptrIsEEEEPS5_jNS1_19radix_merge_compareILb0ELb0EsNS0_19identity_decomposerEEEEE10hipError_tT0_T1_T2_jT3_P12ihipStream_tbPNSt15iterator_traitsISK_E10value_typeEPNSQ_ISL_E10value_typeEPSM_NS1_7vsmem_tEENKUlT_SK_SL_SM_E_clISE_PsSF_SF_EESJ_SZ_SK_SL_SM_EUlSZ_E_NS1_11comp_targetILNS1_3genE9ELNS1_11target_archE1100ELNS1_3gpuE3ELNS1_3repE0EEENS1_48merge_mergepath_partition_config_static_selectorELNS0_4arch9wavefront6targetE1EEEvSL_,"axG",@progbits,_ZN7rocprim17ROCPRIM_400000_NS6detail17trampoline_kernelINS0_14default_configENS1_38merge_sort_block_merge_config_selectorIsNS0_10empty_typeEEEZZNS1_27merge_sort_block_merge_implIS3_N6thrust23THRUST_200600_302600_NS6detail15normal_iteratorINS9_10device_ptrIsEEEEPS5_jNS1_19radix_merge_compareILb0ELb0EsNS0_19identity_decomposerEEEEE10hipError_tT0_T1_T2_jT3_P12ihipStream_tbPNSt15iterator_traitsISK_E10value_typeEPNSQ_ISL_E10value_typeEPSM_NS1_7vsmem_tEENKUlT_SK_SL_SM_E_clISE_PsSF_SF_EESJ_SZ_SK_SL_SM_EUlSZ_E_NS1_11comp_targetILNS1_3genE9ELNS1_11target_archE1100ELNS1_3gpuE3ELNS1_3repE0EEENS1_48merge_mergepath_partition_config_static_selectorELNS0_4arch9wavefront6targetE1EEEvSL_,comdat
	.protected	_ZN7rocprim17ROCPRIM_400000_NS6detail17trampoline_kernelINS0_14default_configENS1_38merge_sort_block_merge_config_selectorIsNS0_10empty_typeEEEZZNS1_27merge_sort_block_merge_implIS3_N6thrust23THRUST_200600_302600_NS6detail15normal_iteratorINS9_10device_ptrIsEEEEPS5_jNS1_19radix_merge_compareILb0ELb0EsNS0_19identity_decomposerEEEEE10hipError_tT0_T1_T2_jT3_P12ihipStream_tbPNSt15iterator_traitsISK_E10value_typeEPNSQ_ISL_E10value_typeEPSM_NS1_7vsmem_tEENKUlT_SK_SL_SM_E_clISE_PsSF_SF_EESJ_SZ_SK_SL_SM_EUlSZ_E_NS1_11comp_targetILNS1_3genE9ELNS1_11target_archE1100ELNS1_3gpuE3ELNS1_3repE0EEENS1_48merge_mergepath_partition_config_static_selectorELNS0_4arch9wavefront6targetE1EEEvSL_ ; -- Begin function _ZN7rocprim17ROCPRIM_400000_NS6detail17trampoline_kernelINS0_14default_configENS1_38merge_sort_block_merge_config_selectorIsNS0_10empty_typeEEEZZNS1_27merge_sort_block_merge_implIS3_N6thrust23THRUST_200600_302600_NS6detail15normal_iteratorINS9_10device_ptrIsEEEEPS5_jNS1_19radix_merge_compareILb0ELb0EsNS0_19identity_decomposerEEEEE10hipError_tT0_T1_T2_jT3_P12ihipStream_tbPNSt15iterator_traitsISK_E10value_typeEPNSQ_ISL_E10value_typeEPSM_NS1_7vsmem_tEENKUlT_SK_SL_SM_E_clISE_PsSF_SF_EESJ_SZ_SK_SL_SM_EUlSZ_E_NS1_11comp_targetILNS1_3genE9ELNS1_11target_archE1100ELNS1_3gpuE3ELNS1_3repE0EEENS1_48merge_mergepath_partition_config_static_selectorELNS0_4arch9wavefront6targetE1EEEvSL_
	.globl	_ZN7rocprim17ROCPRIM_400000_NS6detail17trampoline_kernelINS0_14default_configENS1_38merge_sort_block_merge_config_selectorIsNS0_10empty_typeEEEZZNS1_27merge_sort_block_merge_implIS3_N6thrust23THRUST_200600_302600_NS6detail15normal_iteratorINS9_10device_ptrIsEEEEPS5_jNS1_19radix_merge_compareILb0ELb0EsNS0_19identity_decomposerEEEEE10hipError_tT0_T1_T2_jT3_P12ihipStream_tbPNSt15iterator_traitsISK_E10value_typeEPNSQ_ISL_E10value_typeEPSM_NS1_7vsmem_tEENKUlT_SK_SL_SM_E_clISE_PsSF_SF_EESJ_SZ_SK_SL_SM_EUlSZ_E_NS1_11comp_targetILNS1_3genE9ELNS1_11target_archE1100ELNS1_3gpuE3ELNS1_3repE0EEENS1_48merge_mergepath_partition_config_static_selectorELNS0_4arch9wavefront6targetE1EEEvSL_
	.p2align	8
	.type	_ZN7rocprim17ROCPRIM_400000_NS6detail17trampoline_kernelINS0_14default_configENS1_38merge_sort_block_merge_config_selectorIsNS0_10empty_typeEEEZZNS1_27merge_sort_block_merge_implIS3_N6thrust23THRUST_200600_302600_NS6detail15normal_iteratorINS9_10device_ptrIsEEEEPS5_jNS1_19radix_merge_compareILb0ELb0EsNS0_19identity_decomposerEEEEE10hipError_tT0_T1_T2_jT3_P12ihipStream_tbPNSt15iterator_traitsISK_E10value_typeEPNSQ_ISL_E10value_typeEPSM_NS1_7vsmem_tEENKUlT_SK_SL_SM_E_clISE_PsSF_SF_EESJ_SZ_SK_SL_SM_EUlSZ_E_NS1_11comp_targetILNS1_3genE9ELNS1_11target_archE1100ELNS1_3gpuE3ELNS1_3repE0EEENS1_48merge_mergepath_partition_config_static_selectorELNS0_4arch9wavefront6targetE1EEEvSL_,@function
_ZN7rocprim17ROCPRIM_400000_NS6detail17trampoline_kernelINS0_14default_configENS1_38merge_sort_block_merge_config_selectorIsNS0_10empty_typeEEEZZNS1_27merge_sort_block_merge_implIS3_N6thrust23THRUST_200600_302600_NS6detail15normal_iteratorINS9_10device_ptrIsEEEEPS5_jNS1_19radix_merge_compareILb0ELb0EsNS0_19identity_decomposerEEEEE10hipError_tT0_T1_T2_jT3_P12ihipStream_tbPNSt15iterator_traitsISK_E10value_typeEPNSQ_ISL_E10value_typeEPSM_NS1_7vsmem_tEENKUlT_SK_SL_SM_E_clISE_PsSF_SF_EESJ_SZ_SK_SL_SM_EUlSZ_E_NS1_11comp_targetILNS1_3genE9ELNS1_11target_archE1100ELNS1_3gpuE3ELNS1_3repE0EEENS1_48merge_mergepath_partition_config_static_selectorELNS0_4arch9wavefront6targetE1EEEvSL_: ; @_ZN7rocprim17ROCPRIM_400000_NS6detail17trampoline_kernelINS0_14default_configENS1_38merge_sort_block_merge_config_selectorIsNS0_10empty_typeEEEZZNS1_27merge_sort_block_merge_implIS3_N6thrust23THRUST_200600_302600_NS6detail15normal_iteratorINS9_10device_ptrIsEEEEPS5_jNS1_19radix_merge_compareILb0ELb0EsNS0_19identity_decomposerEEEEE10hipError_tT0_T1_T2_jT3_P12ihipStream_tbPNSt15iterator_traitsISK_E10value_typeEPNSQ_ISL_E10value_typeEPSM_NS1_7vsmem_tEENKUlT_SK_SL_SM_E_clISE_PsSF_SF_EESJ_SZ_SK_SL_SM_EUlSZ_E_NS1_11comp_targetILNS1_3genE9ELNS1_11target_archE1100ELNS1_3gpuE3ELNS1_3repE0EEENS1_48merge_mergepath_partition_config_static_selectorELNS0_4arch9wavefront6targetE1EEEvSL_
; %bb.0:
	.section	.rodata,"a",@progbits
	.p2align	6, 0x0
	.amdhsa_kernel _ZN7rocprim17ROCPRIM_400000_NS6detail17trampoline_kernelINS0_14default_configENS1_38merge_sort_block_merge_config_selectorIsNS0_10empty_typeEEEZZNS1_27merge_sort_block_merge_implIS3_N6thrust23THRUST_200600_302600_NS6detail15normal_iteratorINS9_10device_ptrIsEEEEPS5_jNS1_19radix_merge_compareILb0ELb0EsNS0_19identity_decomposerEEEEE10hipError_tT0_T1_T2_jT3_P12ihipStream_tbPNSt15iterator_traitsISK_E10value_typeEPNSQ_ISL_E10value_typeEPSM_NS1_7vsmem_tEENKUlT_SK_SL_SM_E_clISE_PsSF_SF_EESJ_SZ_SK_SL_SM_EUlSZ_E_NS1_11comp_targetILNS1_3genE9ELNS1_11target_archE1100ELNS1_3gpuE3ELNS1_3repE0EEENS1_48merge_mergepath_partition_config_static_selectorELNS0_4arch9wavefront6targetE1EEEvSL_
		.amdhsa_group_segment_fixed_size 0
		.amdhsa_private_segment_fixed_size 0
		.amdhsa_kernarg_size 40
		.amdhsa_user_sgpr_count 2
		.amdhsa_user_sgpr_dispatch_ptr 0
		.amdhsa_user_sgpr_queue_ptr 0
		.amdhsa_user_sgpr_kernarg_segment_ptr 1
		.amdhsa_user_sgpr_dispatch_id 0
		.amdhsa_user_sgpr_kernarg_preload_length 0
		.amdhsa_user_sgpr_kernarg_preload_offset 0
		.amdhsa_user_sgpr_private_segment_size 0
		.amdhsa_uses_dynamic_stack 0
		.amdhsa_enable_private_segment 0
		.amdhsa_system_sgpr_workgroup_id_x 1
		.amdhsa_system_sgpr_workgroup_id_y 0
		.amdhsa_system_sgpr_workgroup_id_z 0
		.amdhsa_system_sgpr_workgroup_info 0
		.amdhsa_system_vgpr_workitem_id 0
		.amdhsa_next_free_vgpr 1
		.amdhsa_next_free_sgpr 0
		.amdhsa_accum_offset 4
		.amdhsa_reserve_vcc 0
		.amdhsa_float_round_mode_32 0
		.amdhsa_float_round_mode_16_64 0
		.amdhsa_float_denorm_mode_32 3
		.amdhsa_float_denorm_mode_16_64 3
		.amdhsa_dx10_clamp 1
		.amdhsa_ieee_mode 1
		.amdhsa_fp16_overflow 0
		.amdhsa_tg_split 0
		.amdhsa_exception_fp_ieee_invalid_op 0
		.amdhsa_exception_fp_denorm_src 0
		.amdhsa_exception_fp_ieee_div_zero 0
		.amdhsa_exception_fp_ieee_overflow 0
		.amdhsa_exception_fp_ieee_underflow 0
		.amdhsa_exception_fp_ieee_inexact 0
		.amdhsa_exception_int_div_zero 0
	.end_amdhsa_kernel
	.section	.text._ZN7rocprim17ROCPRIM_400000_NS6detail17trampoline_kernelINS0_14default_configENS1_38merge_sort_block_merge_config_selectorIsNS0_10empty_typeEEEZZNS1_27merge_sort_block_merge_implIS3_N6thrust23THRUST_200600_302600_NS6detail15normal_iteratorINS9_10device_ptrIsEEEEPS5_jNS1_19radix_merge_compareILb0ELb0EsNS0_19identity_decomposerEEEEE10hipError_tT0_T1_T2_jT3_P12ihipStream_tbPNSt15iterator_traitsISK_E10value_typeEPNSQ_ISL_E10value_typeEPSM_NS1_7vsmem_tEENKUlT_SK_SL_SM_E_clISE_PsSF_SF_EESJ_SZ_SK_SL_SM_EUlSZ_E_NS1_11comp_targetILNS1_3genE9ELNS1_11target_archE1100ELNS1_3gpuE3ELNS1_3repE0EEENS1_48merge_mergepath_partition_config_static_selectorELNS0_4arch9wavefront6targetE1EEEvSL_,"axG",@progbits,_ZN7rocprim17ROCPRIM_400000_NS6detail17trampoline_kernelINS0_14default_configENS1_38merge_sort_block_merge_config_selectorIsNS0_10empty_typeEEEZZNS1_27merge_sort_block_merge_implIS3_N6thrust23THRUST_200600_302600_NS6detail15normal_iteratorINS9_10device_ptrIsEEEEPS5_jNS1_19radix_merge_compareILb0ELb0EsNS0_19identity_decomposerEEEEE10hipError_tT0_T1_T2_jT3_P12ihipStream_tbPNSt15iterator_traitsISK_E10value_typeEPNSQ_ISL_E10value_typeEPSM_NS1_7vsmem_tEENKUlT_SK_SL_SM_E_clISE_PsSF_SF_EESJ_SZ_SK_SL_SM_EUlSZ_E_NS1_11comp_targetILNS1_3genE9ELNS1_11target_archE1100ELNS1_3gpuE3ELNS1_3repE0EEENS1_48merge_mergepath_partition_config_static_selectorELNS0_4arch9wavefront6targetE1EEEvSL_,comdat
.Lfunc_end1848:
	.size	_ZN7rocprim17ROCPRIM_400000_NS6detail17trampoline_kernelINS0_14default_configENS1_38merge_sort_block_merge_config_selectorIsNS0_10empty_typeEEEZZNS1_27merge_sort_block_merge_implIS3_N6thrust23THRUST_200600_302600_NS6detail15normal_iteratorINS9_10device_ptrIsEEEEPS5_jNS1_19radix_merge_compareILb0ELb0EsNS0_19identity_decomposerEEEEE10hipError_tT0_T1_T2_jT3_P12ihipStream_tbPNSt15iterator_traitsISK_E10value_typeEPNSQ_ISL_E10value_typeEPSM_NS1_7vsmem_tEENKUlT_SK_SL_SM_E_clISE_PsSF_SF_EESJ_SZ_SK_SL_SM_EUlSZ_E_NS1_11comp_targetILNS1_3genE9ELNS1_11target_archE1100ELNS1_3gpuE3ELNS1_3repE0EEENS1_48merge_mergepath_partition_config_static_selectorELNS0_4arch9wavefront6targetE1EEEvSL_, .Lfunc_end1848-_ZN7rocprim17ROCPRIM_400000_NS6detail17trampoline_kernelINS0_14default_configENS1_38merge_sort_block_merge_config_selectorIsNS0_10empty_typeEEEZZNS1_27merge_sort_block_merge_implIS3_N6thrust23THRUST_200600_302600_NS6detail15normal_iteratorINS9_10device_ptrIsEEEEPS5_jNS1_19radix_merge_compareILb0ELb0EsNS0_19identity_decomposerEEEEE10hipError_tT0_T1_T2_jT3_P12ihipStream_tbPNSt15iterator_traitsISK_E10value_typeEPNSQ_ISL_E10value_typeEPSM_NS1_7vsmem_tEENKUlT_SK_SL_SM_E_clISE_PsSF_SF_EESJ_SZ_SK_SL_SM_EUlSZ_E_NS1_11comp_targetILNS1_3genE9ELNS1_11target_archE1100ELNS1_3gpuE3ELNS1_3repE0EEENS1_48merge_mergepath_partition_config_static_selectorELNS0_4arch9wavefront6targetE1EEEvSL_
                                        ; -- End function
	.section	.AMDGPU.csdata,"",@progbits
; Kernel info:
; codeLenInByte = 0
; NumSgprs: 6
; NumVgprs: 0
; NumAgprs: 0
; TotalNumVgprs: 0
; ScratchSize: 0
; MemoryBound: 0
; FloatMode: 240
; IeeeMode: 1
; LDSByteSize: 0 bytes/workgroup (compile time only)
; SGPRBlocks: 0
; VGPRBlocks: 0
; NumSGPRsForWavesPerEU: 6
; NumVGPRsForWavesPerEU: 1
; AccumOffset: 4
; Occupancy: 8
; WaveLimiterHint : 0
; COMPUTE_PGM_RSRC2:SCRATCH_EN: 0
; COMPUTE_PGM_RSRC2:USER_SGPR: 2
; COMPUTE_PGM_RSRC2:TRAP_HANDLER: 0
; COMPUTE_PGM_RSRC2:TGID_X_EN: 1
; COMPUTE_PGM_RSRC2:TGID_Y_EN: 0
; COMPUTE_PGM_RSRC2:TGID_Z_EN: 0
; COMPUTE_PGM_RSRC2:TIDIG_COMP_CNT: 0
; COMPUTE_PGM_RSRC3_GFX90A:ACCUM_OFFSET: 0
; COMPUTE_PGM_RSRC3_GFX90A:TG_SPLIT: 0
	.section	.text._ZN7rocprim17ROCPRIM_400000_NS6detail17trampoline_kernelINS0_14default_configENS1_38merge_sort_block_merge_config_selectorIsNS0_10empty_typeEEEZZNS1_27merge_sort_block_merge_implIS3_N6thrust23THRUST_200600_302600_NS6detail15normal_iteratorINS9_10device_ptrIsEEEEPS5_jNS1_19radix_merge_compareILb0ELb0EsNS0_19identity_decomposerEEEEE10hipError_tT0_T1_T2_jT3_P12ihipStream_tbPNSt15iterator_traitsISK_E10value_typeEPNSQ_ISL_E10value_typeEPSM_NS1_7vsmem_tEENKUlT_SK_SL_SM_E_clISE_PsSF_SF_EESJ_SZ_SK_SL_SM_EUlSZ_E_NS1_11comp_targetILNS1_3genE8ELNS1_11target_archE1030ELNS1_3gpuE2ELNS1_3repE0EEENS1_48merge_mergepath_partition_config_static_selectorELNS0_4arch9wavefront6targetE1EEEvSL_,"axG",@progbits,_ZN7rocprim17ROCPRIM_400000_NS6detail17trampoline_kernelINS0_14default_configENS1_38merge_sort_block_merge_config_selectorIsNS0_10empty_typeEEEZZNS1_27merge_sort_block_merge_implIS3_N6thrust23THRUST_200600_302600_NS6detail15normal_iteratorINS9_10device_ptrIsEEEEPS5_jNS1_19radix_merge_compareILb0ELb0EsNS0_19identity_decomposerEEEEE10hipError_tT0_T1_T2_jT3_P12ihipStream_tbPNSt15iterator_traitsISK_E10value_typeEPNSQ_ISL_E10value_typeEPSM_NS1_7vsmem_tEENKUlT_SK_SL_SM_E_clISE_PsSF_SF_EESJ_SZ_SK_SL_SM_EUlSZ_E_NS1_11comp_targetILNS1_3genE8ELNS1_11target_archE1030ELNS1_3gpuE2ELNS1_3repE0EEENS1_48merge_mergepath_partition_config_static_selectorELNS0_4arch9wavefront6targetE1EEEvSL_,comdat
	.protected	_ZN7rocprim17ROCPRIM_400000_NS6detail17trampoline_kernelINS0_14default_configENS1_38merge_sort_block_merge_config_selectorIsNS0_10empty_typeEEEZZNS1_27merge_sort_block_merge_implIS3_N6thrust23THRUST_200600_302600_NS6detail15normal_iteratorINS9_10device_ptrIsEEEEPS5_jNS1_19radix_merge_compareILb0ELb0EsNS0_19identity_decomposerEEEEE10hipError_tT0_T1_T2_jT3_P12ihipStream_tbPNSt15iterator_traitsISK_E10value_typeEPNSQ_ISL_E10value_typeEPSM_NS1_7vsmem_tEENKUlT_SK_SL_SM_E_clISE_PsSF_SF_EESJ_SZ_SK_SL_SM_EUlSZ_E_NS1_11comp_targetILNS1_3genE8ELNS1_11target_archE1030ELNS1_3gpuE2ELNS1_3repE0EEENS1_48merge_mergepath_partition_config_static_selectorELNS0_4arch9wavefront6targetE1EEEvSL_ ; -- Begin function _ZN7rocprim17ROCPRIM_400000_NS6detail17trampoline_kernelINS0_14default_configENS1_38merge_sort_block_merge_config_selectorIsNS0_10empty_typeEEEZZNS1_27merge_sort_block_merge_implIS3_N6thrust23THRUST_200600_302600_NS6detail15normal_iteratorINS9_10device_ptrIsEEEEPS5_jNS1_19radix_merge_compareILb0ELb0EsNS0_19identity_decomposerEEEEE10hipError_tT0_T1_T2_jT3_P12ihipStream_tbPNSt15iterator_traitsISK_E10value_typeEPNSQ_ISL_E10value_typeEPSM_NS1_7vsmem_tEENKUlT_SK_SL_SM_E_clISE_PsSF_SF_EESJ_SZ_SK_SL_SM_EUlSZ_E_NS1_11comp_targetILNS1_3genE8ELNS1_11target_archE1030ELNS1_3gpuE2ELNS1_3repE0EEENS1_48merge_mergepath_partition_config_static_selectorELNS0_4arch9wavefront6targetE1EEEvSL_
	.globl	_ZN7rocprim17ROCPRIM_400000_NS6detail17trampoline_kernelINS0_14default_configENS1_38merge_sort_block_merge_config_selectorIsNS0_10empty_typeEEEZZNS1_27merge_sort_block_merge_implIS3_N6thrust23THRUST_200600_302600_NS6detail15normal_iteratorINS9_10device_ptrIsEEEEPS5_jNS1_19radix_merge_compareILb0ELb0EsNS0_19identity_decomposerEEEEE10hipError_tT0_T1_T2_jT3_P12ihipStream_tbPNSt15iterator_traitsISK_E10value_typeEPNSQ_ISL_E10value_typeEPSM_NS1_7vsmem_tEENKUlT_SK_SL_SM_E_clISE_PsSF_SF_EESJ_SZ_SK_SL_SM_EUlSZ_E_NS1_11comp_targetILNS1_3genE8ELNS1_11target_archE1030ELNS1_3gpuE2ELNS1_3repE0EEENS1_48merge_mergepath_partition_config_static_selectorELNS0_4arch9wavefront6targetE1EEEvSL_
	.p2align	8
	.type	_ZN7rocprim17ROCPRIM_400000_NS6detail17trampoline_kernelINS0_14default_configENS1_38merge_sort_block_merge_config_selectorIsNS0_10empty_typeEEEZZNS1_27merge_sort_block_merge_implIS3_N6thrust23THRUST_200600_302600_NS6detail15normal_iteratorINS9_10device_ptrIsEEEEPS5_jNS1_19radix_merge_compareILb0ELb0EsNS0_19identity_decomposerEEEEE10hipError_tT0_T1_T2_jT3_P12ihipStream_tbPNSt15iterator_traitsISK_E10value_typeEPNSQ_ISL_E10value_typeEPSM_NS1_7vsmem_tEENKUlT_SK_SL_SM_E_clISE_PsSF_SF_EESJ_SZ_SK_SL_SM_EUlSZ_E_NS1_11comp_targetILNS1_3genE8ELNS1_11target_archE1030ELNS1_3gpuE2ELNS1_3repE0EEENS1_48merge_mergepath_partition_config_static_selectorELNS0_4arch9wavefront6targetE1EEEvSL_,@function
_ZN7rocprim17ROCPRIM_400000_NS6detail17trampoline_kernelINS0_14default_configENS1_38merge_sort_block_merge_config_selectorIsNS0_10empty_typeEEEZZNS1_27merge_sort_block_merge_implIS3_N6thrust23THRUST_200600_302600_NS6detail15normal_iteratorINS9_10device_ptrIsEEEEPS5_jNS1_19radix_merge_compareILb0ELb0EsNS0_19identity_decomposerEEEEE10hipError_tT0_T1_T2_jT3_P12ihipStream_tbPNSt15iterator_traitsISK_E10value_typeEPNSQ_ISL_E10value_typeEPSM_NS1_7vsmem_tEENKUlT_SK_SL_SM_E_clISE_PsSF_SF_EESJ_SZ_SK_SL_SM_EUlSZ_E_NS1_11comp_targetILNS1_3genE8ELNS1_11target_archE1030ELNS1_3gpuE2ELNS1_3repE0EEENS1_48merge_mergepath_partition_config_static_selectorELNS0_4arch9wavefront6targetE1EEEvSL_: ; @_ZN7rocprim17ROCPRIM_400000_NS6detail17trampoline_kernelINS0_14default_configENS1_38merge_sort_block_merge_config_selectorIsNS0_10empty_typeEEEZZNS1_27merge_sort_block_merge_implIS3_N6thrust23THRUST_200600_302600_NS6detail15normal_iteratorINS9_10device_ptrIsEEEEPS5_jNS1_19radix_merge_compareILb0ELb0EsNS0_19identity_decomposerEEEEE10hipError_tT0_T1_T2_jT3_P12ihipStream_tbPNSt15iterator_traitsISK_E10value_typeEPNSQ_ISL_E10value_typeEPSM_NS1_7vsmem_tEENKUlT_SK_SL_SM_E_clISE_PsSF_SF_EESJ_SZ_SK_SL_SM_EUlSZ_E_NS1_11comp_targetILNS1_3genE8ELNS1_11target_archE1030ELNS1_3gpuE2ELNS1_3repE0EEENS1_48merge_mergepath_partition_config_static_selectorELNS0_4arch9wavefront6targetE1EEEvSL_
; %bb.0:
	.section	.rodata,"a",@progbits
	.p2align	6, 0x0
	.amdhsa_kernel _ZN7rocprim17ROCPRIM_400000_NS6detail17trampoline_kernelINS0_14default_configENS1_38merge_sort_block_merge_config_selectorIsNS0_10empty_typeEEEZZNS1_27merge_sort_block_merge_implIS3_N6thrust23THRUST_200600_302600_NS6detail15normal_iteratorINS9_10device_ptrIsEEEEPS5_jNS1_19radix_merge_compareILb0ELb0EsNS0_19identity_decomposerEEEEE10hipError_tT0_T1_T2_jT3_P12ihipStream_tbPNSt15iterator_traitsISK_E10value_typeEPNSQ_ISL_E10value_typeEPSM_NS1_7vsmem_tEENKUlT_SK_SL_SM_E_clISE_PsSF_SF_EESJ_SZ_SK_SL_SM_EUlSZ_E_NS1_11comp_targetILNS1_3genE8ELNS1_11target_archE1030ELNS1_3gpuE2ELNS1_3repE0EEENS1_48merge_mergepath_partition_config_static_selectorELNS0_4arch9wavefront6targetE1EEEvSL_
		.amdhsa_group_segment_fixed_size 0
		.amdhsa_private_segment_fixed_size 0
		.amdhsa_kernarg_size 40
		.amdhsa_user_sgpr_count 2
		.amdhsa_user_sgpr_dispatch_ptr 0
		.amdhsa_user_sgpr_queue_ptr 0
		.amdhsa_user_sgpr_kernarg_segment_ptr 1
		.amdhsa_user_sgpr_dispatch_id 0
		.amdhsa_user_sgpr_kernarg_preload_length 0
		.amdhsa_user_sgpr_kernarg_preload_offset 0
		.amdhsa_user_sgpr_private_segment_size 0
		.amdhsa_uses_dynamic_stack 0
		.amdhsa_enable_private_segment 0
		.amdhsa_system_sgpr_workgroup_id_x 1
		.amdhsa_system_sgpr_workgroup_id_y 0
		.amdhsa_system_sgpr_workgroup_id_z 0
		.amdhsa_system_sgpr_workgroup_info 0
		.amdhsa_system_vgpr_workitem_id 0
		.amdhsa_next_free_vgpr 1
		.amdhsa_next_free_sgpr 0
		.amdhsa_accum_offset 4
		.amdhsa_reserve_vcc 0
		.amdhsa_float_round_mode_32 0
		.amdhsa_float_round_mode_16_64 0
		.amdhsa_float_denorm_mode_32 3
		.amdhsa_float_denorm_mode_16_64 3
		.amdhsa_dx10_clamp 1
		.amdhsa_ieee_mode 1
		.amdhsa_fp16_overflow 0
		.amdhsa_tg_split 0
		.amdhsa_exception_fp_ieee_invalid_op 0
		.amdhsa_exception_fp_denorm_src 0
		.amdhsa_exception_fp_ieee_div_zero 0
		.amdhsa_exception_fp_ieee_overflow 0
		.amdhsa_exception_fp_ieee_underflow 0
		.amdhsa_exception_fp_ieee_inexact 0
		.amdhsa_exception_int_div_zero 0
	.end_amdhsa_kernel
	.section	.text._ZN7rocprim17ROCPRIM_400000_NS6detail17trampoline_kernelINS0_14default_configENS1_38merge_sort_block_merge_config_selectorIsNS0_10empty_typeEEEZZNS1_27merge_sort_block_merge_implIS3_N6thrust23THRUST_200600_302600_NS6detail15normal_iteratorINS9_10device_ptrIsEEEEPS5_jNS1_19radix_merge_compareILb0ELb0EsNS0_19identity_decomposerEEEEE10hipError_tT0_T1_T2_jT3_P12ihipStream_tbPNSt15iterator_traitsISK_E10value_typeEPNSQ_ISL_E10value_typeEPSM_NS1_7vsmem_tEENKUlT_SK_SL_SM_E_clISE_PsSF_SF_EESJ_SZ_SK_SL_SM_EUlSZ_E_NS1_11comp_targetILNS1_3genE8ELNS1_11target_archE1030ELNS1_3gpuE2ELNS1_3repE0EEENS1_48merge_mergepath_partition_config_static_selectorELNS0_4arch9wavefront6targetE1EEEvSL_,"axG",@progbits,_ZN7rocprim17ROCPRIM_400000_NS6detail17trampoline_kernelINS0_14default_configENS1_38merge_sort_block_merge_config_selectorIsNS0_10empty_typeEEEZZNS1_27merge_sort_block_merge_implIS3_N6thrust23THRUST_200600_302600_NS6detail15normal_iteratorINS9_10device_ptrIsEEEEPS5_jNS1_19radix_merge_compareILb0ELb0EsNS0_19identity_decomposerEEEEE10hipError_tT0_T1_T2_jT3_P12ihipStream_tbPNSt15iterator_traitsISK_E10value_typeEPNSQ_ISL_E10value_typeEPSM_NS1_7vsmem_tEENKUlT_SK_SL_SM_E_clISE_PsSF_SF_EESJ_SZ_SK_SL_SM_EUlSZ_E_NS1_11comp_targetILNS1_3genE8ELNS1_11target_archE1030ELNS1_3gpuE2ELNS1_3repE0EEENS1_48merge_mergepath_partition_config_static_selectorELNS0_4arch9wavefront6targetE1EEEvSL_,comdat
.Lfunc_end1849:
	.size	_ZN7rocprim17ROCPRIM_400000_NS6detail17trampoline_kernelINS0_14default_configENS1_38merge_sort_block_merge_config_selectorIsNS0_10empty_typeEEEZZNS1_27merge_sort_block_merge_implIS3_N6thrust23THRUST_200600_302600_NS6detail15normal_iteratorINS9_10device_ptrIsEEEEPS5_jNS1_19radix_merge_compareILb0ELb0EsNS0_19identity_decomposerEEEEE10hipError_tT0_T1_T2_jT3_P12ihipStream_tbPNSt15iterator_traitsISK_E10value_typeEPNSQ_ISL_E10value_typeEPSM_NS1_7vsmem_tEENKUlT_SK_SL_SM_E_clISE_PsSF_SF_EESJ_SZ_SK_SL_SM_EUlSZ_E_NS1_11comp_targetILNS1_3genE8ELNS1_11target_archE1030ELNS1_3gpuE2ELNS1_3repE0EEENS1_48merge_mergepath_partition_config_static_selectorELNS0_4arch9wavefront6targetE1EEEvSL_, .Lfunc_end1849-_ZN7rocprim17ROCPRIM_400000_NS6detail17trampoline_kernelINS0_14default_configENS1_38merge_sort_block_merge_config_selectorIsNS0_10empty_typeEEEZZNS1_27merge_sort_block_merge_implIS3_N6thrust23THRUST_200600_302600_NS6detail15normal_iteratorINS9_10device_ptrIsEEEEPS5_jNS1_19radix_merge_compareILb0ELb0EsNS0_19identity_decomposerEEEEE10hipError_tT0_T1_T2_jT3_P12ihipStream_tbPNSt15iterator_traitsISK_E10value_typeEPNSQ_ISL_E10value_typeEPSM_NS1_7vsmem_tEENKUlT_SK_SL_SM_E_clISE_PsSF_SF_EESJ_SZ_SK_SL_SM_EUlSZ_E_NS1_11comp_targetILNS1_3genE8ELNS1_11target_archE1030ELNS1_3gpuE2ELNS1_3repE0EEENS1_48merge_mergepath_partition_config_static_selectorELNS0_4arch9wavefront6targetE1EEEvSL_
                                        ; -- End function
	.section	.AMDGPU.csdata,"",@progbits
; Kernel info:
; codeLenInByte = 0
; NumSgprs: 6
; NumVgprs: 0
; NumAgprs: 0
; TotalNumVgprs: 0
; ScratchSize: 0
; MemoryBound: 0
; FloatMode: 240
; IeeeMode: 1
; LDSByteSize: 0 bytes/workgroup (compile time only)
; SGPRBlocks: 0
; VGPRBlocks: 0
; NumSGPRsForWavesPerEU: 6
; NumVGPRsForWavesPerEU: 1
; AccumOffset: 4
; Occupancy: 8
; WaveLimiterHint : 0
; COMPUTE_PGM_RSRC2:SCRATCH_EN: 0
; COMPUTE_PGM_RSRC2:USER_SGPR: 2
; COMPUTE_PGM_RSRC2:TRAP_HANDLER: 0
; COMPUTE_PGM_RSRC2:TGID_X_EN: 1
; COMPUTE_PGM_RSRC2:TGID_Y_EN: 0
; COMPUTE_PGM_RSRC2:TGID_Z_EN: 0
; COMPUTE_PGM_RSRC2:TIDIG_COMP_CNT: 0
; COMPUTE_PGM_RSRC3_GFX90A:ACCUM_OFFSET: 0
; COMPUTE_PGM_RSRC3_GFX90A:TG_SPLIT: 0
	.section	.text._ZN7rocprim17ROCPRIM_400000_NS6detail17trampoline_kernelINS0_14default_configENS1_38merge_sort_block_merge_config_selectorIsNS0_10empty_typeEEEZZNS1_27merge_sort_block_merge_implIS3_N6thrust23THRUST_200600_302600_NS6detail15normal_iteratorINS9_10device_ptrIsEEEEPS5_jNS1_19radix_merge_compareILb0ELb0EsNS0_19identity_decomposerEEEEE10hipError_tT0_T1_T2_jT3_P12ihipStream_tbPNSt15iterator_traitsISK_E10value_typeEPNSQ_ISL_E10value_typeEPSM_NS1_7vsmem_tEENKUlT_SK_SL_SM_E_clISE_PsSF_SF_EESJ_SZ_SK_SL_SM_EUlSZ_E0_NS1_11comp_targetILNS1_3genE0ELNS1_11target_archE4294967295ELNS1_3gpuE0ELNS1_3repE0EEENS1_38merge_mergepath_config_static_selectorELNS0_4arch9wavefront6targetE1EEEvSL_,"axG",@progbits,_ZN7rocprim17ROCPRIM_400000_NS6detail17trampoline_kernelINS0_14default_configENS1_38merge_sort_block_merge_config_selectorIsNS0_10empty_typeEEEZZNS1_27merge_sort_block_merge_implIS3_N6thrust23THRUST_200600_302600_NS6detail15normal_iteratorINS9_10device_ptrIsEEEEPS5_jNS1_19radix_merge_compareILb0ELb0EsNS0_19identity_decomposerEEEEE10hipError_tT0_T1_T2_jT3_P12ihipStream_tbPNSt15iterator_traitsISK_E10value_typeEPNSQ_ISL_E10value_typeEPSM_NS1_7vsmem_tEENKUlT_SK_SL_SM_E_clISE_PsSF_SF_EESJ_SZ_SK_SL_SM_EUlSZ_E0_NS1_11comp_targetILNS1_3genE0ELNS1_11target_archE4294967295ELNS1_3gpuE0ELNS1_3repE0EEENS1_38merge_mergepath_config_static_selectorELNS0_4arch9wavefront6targetE1EEEvSL_,comdat
	.protected	_ZN7rocprim17ROCPRIM_400000_NS6detail17trampoline_kernelINS0_14default_configENS1_38merge_sort_block_merge_config_selectorIsNS0_10empty_typeEEEZZNS1_27merge_sort_block_merge_implIS3_N6thrust23THRUST_200600_302600_NS6detail15normal_iteratorINS9_10device_ptrIsEEEEPS5_jNS1_19radix_merge_compareILb0ELb0EsNS0_19identity_decomposerEEEEE10hipError_tT0_T1_T2_jT3_P12ihipStream_tbPNSt15iterator_traitsISK_E10value_typeEPNSQ_ISL_E10value_typeEPSM_NS1_7vsmem_tEENKUlT_SK_SL_SM_E_clISE_PsSF_SF_EESJ_SZ_SK_SL_SM_EUlSZ_E0_NS1_11comp_targetILNS1_3genE0ELNS1_11target_archE4294967295ELNS1_3gpuE0ELNS1_3repE0EEENS1_38merge_mergepath_config_static_selectorELNS0_4arch9wavefront6targetE1EEEvSL_ ; -- Begin function _ZN7rocprim17ROCPRIM_400000_NS6detail17trampoline_kernelINS0_14default_configENS1_38merge_sort_block_merge_config_selectorIsNS0_10empty_typeEEEZZNS1_27merge_sort_block_merge_implIS3_N6thrust23THRUST_200600_302600_NS6detail15normal_iteratorINS9_10device_ptrIsEEEEPS5_jNS1_19radix_merge_compareILb0ELb0EsNS0_19identity_decomposerEEEEE10hipError_tT0_T1_T2_jT3_P12ihipStream_tbPNSt15iterator_traitsISK_E10value_typeEPNSQ_ISL_E10value_typeEPSM_NS1_7vsmem_tEENKUlT_SK_SL_SM_E_clISE_PsSF_SF_EESJ_SZ_SK_SL_SM_EUlSZ_E0_NS1_11comp_targetILNS1_3genE0ELNS1_11target_archE4294967295ELNS1_3gpuE0ELNS1_3repE0EEENS1_38merge_mergepath_config_static_selectorELNS0_4arch9wavefront6targetE1EEEvSL_
	.globl	_ZN7rocprim17ROCPRIM_400000_NS6detail17trampoline_kernelINS0_14default_configENS1_38merge_sort_block_merge_config_selectorIsNS0_10empty_typeEEEZZNS1_27merge_sort_block_merge_implIS3_N6thrust23THRUST_200600_302600_NS6detail15normal_iteratorINS9_10device_ptrIsEEEEPS5_jNS1_19radix_merge_compareILb0ELb0EsNS0_19identity_decomposerEEEEE10hipError_tT0_T1_T2_jT3_P12ihipStream_tbPNSt15iterator_traitsISK_E10value_typeEPNSQ_ISL_E10value_typeEPSM_NS1_7vsmem_tEENKUlT_SK_SL_SM_E_clISE_PsSF_SF_EESJ_SZ_SK_SL_SM_EUlSZ_E0_NS1_11comp_targetILNS1_3genE0ELNS1_11target_archE4294967295ELNS1_3gpuE0ELNS1_3repE0EEENS1_38merge_mergepath_config_static_selectorELNS0_4arch9wavefront6targetE1EEEvSL_
	.p2align	8
	.type	_ZN7rocprim17ROCPRIM_400000_NS6detail17trampoline_kernelINS0_14default_configENS1_38merge_sort_block_merge_config_selectorIsNS0_10empty_typeEEEZZNS1_27merge_sort_block_merge_implIS3_N6thrust23THRUST_200600_302600_NS6detail15normal_iteratorINS9_10device_ptrIsEEEEPS5_jNS1_19radix_merge_compareILb0ELb0EsNS0_19identity_decomposerEEEEE10hipError_tT0_T1_T2_jT3_P12ihipStream_tbPNSt15iterator_traitsISK_E10value_typeEPNSQ_ISL_E10value_typeEPSM_NS1_7vsmem_tEENKUlT_SK_SL_SM_E_clISE_PsSF_SF_EESJ_SZ_SK_SL_SM_EUlSZ_E0_NS1_11comp_targetILNS1_3genE0ELNS1_11target_archE4294967295ELNS1_3gpuE0ELNS1_3repE0EEENS1_38merge_mergepath_config_static_selectorELNS0_4arch9wavefront6targetE1EEEvSL_,@function
_ZN7rocprim17ROCPRIM_400000_NS6detail17trampoline_kernelINS0_14default_configENS1_38merge_sort_block_merge_config_selectorIsNS0_10empty_typeEEEZZNS1_27merge_sort_block_merge_implIS3_N6thrust23THRUST_200600_302600_NS6detail15normal_iteratorINS9_10device_ptrIsEEEEPS5_jNS1_19radix_merge_compareILb0ELb0EsNS0_19identity_decomposerEEEEE10hipError_tT0_T1_T2_jT3_P12ihipStream_tbPNSt15iterator_traitsISK_E10value_typeEPNSQ_ISL_E10value_typeEPSM_NS1_7vsmem_tEENKUlT_SK_SL_SM_E_clISE_PsSF_SF_EESJ_SZ_SK_SL_SM_EUlSZ_E0_NS1_11comp_targetILNS1_3genE0ELNS1_11target_archE4294967295ELNS1_3gpuE0ELNS1_3repE0EEENS1_38merge_mergepath_config_static_selectorELNS0_4arch9wavefront6targetE1EEEvSL_: ; @_ZN7rocprim17ROCPRIM_400000_NS6detail17trampoline_kernelINS0_14default_configENS1_38merge_sort_block_merge_config_selectorIsNS0_10empty_typeEEEZZNS1_27merge_sort_block_merge_implIS3_N6thrust23THRUST_200600_302600_NS6detail15normal_iteratorINS9_10device_ptrIsEEEEPS5_jNS1_19radix_merge_compareILb0ELb0EsNS0_19identity_decomposerEEEEE10hipError_tT0_T1_T2_jT3_P12ihipStream_tbPNSt15iterator_traitsISK_E10value_typeEPNSQ_ISL_E10value_typeEPSM_NS1_7vsmem_tEENKUlT_SK_SL_SM_E_clISE_PsSF_SF_EESJ_SZ_SK_SL_SM_EUlSZ_E0_NS1_11comp_targetILNS1_3genE0ELNS1_11target_archE4294967295ELNS1_3gpuE0ELNS1_3repE0EEENS1_38merge_mergepath_config_static_selectorELNS0_4arch9wavefront6targetE1EEEvSL_
; %bb.0:
	.section	.rodata,"a",@progbits
	.p2align	6, 0x0
	.amdhsa_kernel _ZN7rocprim17ROCPRIM_400000_NS6detail17trampoline_kernelINS0_14default_configENS1_38merge_sort_block_merge_config_selectorIsNS0_10empty_typeEEEZZNS1_27merge_sort_block_merge_implIS3_N6thrust23THRUST_200600_302600_NS6detail15normal_iteratorINS9_10device_ptrIsEEEEPS5_jNS1_19radix_merge_compareILb0ELb0EsNS0_19identity_decomposerEEEEE10hipError_tT0_T1_T2_jT3_P12ihipStream_tbPNSt15iterator_traitsISK_E10value_typeEPNSQ_ISL_E10value_typeEPSM_NS1_7vsmem_tEENKUlT_SK_SL_SM_E_clISE_PsSF_SF_EESJ_SZ_SK_SL_SM_EUlSZ_E0_NS1_11comp_targetILNS1_3genE0ELNS1_11target_archE4294967295ELNS1_3gpuE0ELNS1_3repE0EEENS1_38merge_mergepath_config_static_selectorELNS0_4arch9wavefront6targetE1EEEvSL_
		.amdhsa_group_segment_fixed_size 0
		.amdhsa_private_segment_fixed_size 0
		.amdhsa_kernarg_size 64
		.amdhsa_user_sgpr_count 2
		.amdhsa_user_sgpr_dispatch_ptr 0
		.amdhsa_user_sgpr_queue_ptr 0
		.amdhsa_user_sgpr_kernarg_segment_ptr 1
		.amdhsa_user_sgpr_dispatch_id 0
		.amdhsa_user_sgpr_kernarg_preload_length 0
		.amdhsa_user_sgpr_kernarg_preload_offset 0
		.amdhsa_user_sgpr_private_segment_size 0
		.amdhsa_uses_dynamic_stack 0
		.amdhsa_enable_private_segment 0
		.amdhsa_system_sgpr_workgroup_id_x 1
		.amdhsa_system_sgpr_workgroup_id_y 0
		.amdhsa_system_sgpr_workgroup_id_z 0
		.amdhsa_system_sgpr_workgroup_info 0
		.amdhsa_system_vgpr_workitem_id 0
		.amdhsa_next_free_vgpr 1
		.amdhsa_next_free_sgpr 0
		.amdhsa_accum_offset 4
		.amdhsa_reserve_vcc 0
		.amdhsa_float_round_mode_32 0
		.amdhsa_float_round_mode_16_64 0
		.amdhsa_float_denorm_mode_32 3
		.amdhsa_float_denorm_mode_16_64 3
		.amdhsa_dx10_clamp 1
		.amdhsa_ieee_mode 1
		.amdhsa_fp16_overflow 0
		.amdhsa_tg_split 0
		.amdhsa_exception_fp_ieee_invalid_op 0
		.amdhsa_exception_fp_denorm_src 0
		.amdhsa_exception_fp_ieee_div_zero 0
		.amdhsa_exception_fp_ieee_overflow 0
		.amdhsa_exception_fp_ieee_underflow 0
		.amdhsa_exception_fp_ieee_inexact 0
		.amdhsa_exception_int_div_zero 0
	.end_amdhsa_kernel
	.section	.text._ZN7rocprim17ROCPRIM_400000_NS6detail17trampoline_kernelINS0_14default_configENS1_38merge_sort_block_merge_config_selectorIsNS0_10empty_typeEEEZZNS1_27merge_sort_block_merge_implIS3_N6thrust23THRUST_200600_302600_NS6detail15normal_iteratorINS9_10device_ptrIsEEEEPS5_jNS1_19radix_merge_compareILb0ELb0EsNS0_19identity_decomposerEEEEE10hipError_tT0_T1_T2_jT3_P12ihipStream_tbPNSt15iterator_traitsISK_E10value_typeEPNSQ_ISL_E10value_typeEPSM_NS1_7vsmem_tEENKUlT_SK_SL_SM_E_clISE_PsSF_SF_EESJ_SZ_SK_SL_SM_EUlSZ_E0_NS1_11comp_targetILNS1_3genE0ELNS1_11target_archE4294967295ELNS1_3gpuE0ELNS1_3repE0EEENS1_38merge_mergepath_config_static_selectorELNS0_4arch9wavefront6targetE1EEEvSL_,"axG",@progbits,_ZN7rocprim17ROCPRIM_400000_NS6detail17trampoline_kernelINS0_14default_configENS1_38merge_sort_block_merge_config_selectorIsNS0_10empty_typeEEEZZNS1_27merge_sort_block_merge_implIS3_N6thrust23THRUST_200600_302600_NS6detail15normal_iteratorINS9_10device_ptrIsEEEEPS5_jNS1_19radix_merge_compareILb0ELb0EsNS0_19identity_decomposerEEEEE10hipError_tT0_T1_T2_jT3_P12ihipStream_tbPNSt15iterator_traitsISK_E10value_typeEPNSQ_ISL_E10value_typeEPSM_NS1_7vsmem_tEENKUlT_SK_SL_SM_E_clISE_PsSF_SF_EESJ_SZ_SK_SL_SM_EUlSZ_E0_NS1_11comp_targetILNS1_3genE0ELNS1_11target_archE4294967295ELNS1_3gpuE0ELNS1_3repE0EEENS1_38merge_mergepath_config_static_selectorELNS0_4arch9wavefront6targetE1EEEvSL_,comdat
.Lfunc_end1850:
	.size	_ZN7rocprim17ROCPRIM_400000_NS6detail17trampoline_kernelINS0_14default_configENS1_38merge_sort_block_merge_config_selectorIsNS0_10empty_typeEEEZZNS1_27merge_sort_block_merge_implIS3_N6thrust23THRUST_200600_302600_NS6detail15normal_iteratorINS9_10device_ptrIsEEEEPS5_jNS1_19radix_merge_compareILb0ELb0EsNS0_19identity_decomposerEEEEE10hipError_tT0_T1_T2_jT3_P12ihipStream_tbPNSt15iterator_traitsISK_E10value_typeEPNSQ_ISL_E10value_typeEPSM_NS1_7vsmem_tEENKUlT_SK_SL_SM_E_clISE_PsSF_SF_EESJ_SZ_SK_SL_SM_EUlSZ_E0_NS1_11comp_targetILNS1_3genE0ELNS1_11target_archE4294967295ELNS1_3gpuE0ELNS1_3repE0EEENS1_38merge_mergepath_config_static_selectorELNS0_4arch9wavefront6targetE1EEEvSL_, .Lfunc_end1850-_ZN7rocprim17ROCPRIM_400000_NS6detail17trampoline_kernelINS0_14default_configENS1_38merge_sort_block_merge_config_selectorIsNS0_10empty_typeEEEZZNS1_27merge_sort_block_merge_implIS3_N6thrust23THRUST_200600_302600_NS6detail15normal_iteratorINS9_10device_ptrIsEEEEPS5_jNS1_19radix_merge_compareILb0ELb0EsNS0_19identity_decomposerEEEEE10hipError_tT0_T1_T2_jT3_P12ihipStream_tbPNSt15iterator_traitsISK_E10value_typeEPNSQ_ISL_E10value_typeEPSM_NS1_7vsmem_tEENKUlT_SK_SL_SM_E_clISE_PsSF_SF_EESJ_SZ_SK_SL_SM_EUlSZ_E0_NS1_11comp_targetILNS1_3genE0ELNS1_11target_archE4294967295ELNS1_3gpuE0ELNS1_3repE0EEENS1_38merge_mergepath_config_static_selectorELNS0_4arch9wavefront6targetE1EEEvSL_
                                        ; -- End function
	.section	.AMDGPU.csdata,"",@progbits
; Kernel info:
; codeLenInByte = 0
; NumSgprs: 6
; NumVgprs: 0
; NumAgprs: 0
; TotalNumVgprs: 0
; ScratchSize: 0
; MemoryBound: 0
; FloatMode: 240
; IeeeMode: 1
; LDSByteSize: 0 bytes/workgroup (compile time only)
; SGPRBlocks: 0
; VGPRBlocks: 0
; NumSGPRsForWavesPerEU: 6
; NumVGPRsForWavesPerEU: 1
; AccumOffset: 4
; Occupancy: 8
; WaveLimiterHint : 0
; COMPUTE_PGM_RSRC2:SCRATCH_EN: 0
; COMPUTE_PGM_RSRC2:USER_SGPR: 2
; COMPUTE_PGM_RSRC2:TRAP_HANDLER: 0
; COMPUTE_PGM_RSRC2:TGID_X_EN: 1
; COMPUTE_PGM_RSRC2:TGID_Y_EN: 0
; COMPUTE_PGM_RSRC2:TGID_Z_EN: 0
; COMPUTE_PGM_RSRC2:TIDIG_COMP_CNT: 0
; COMPUTE_PGM_RSRC3_GFX90A:ACCUM_OFFSET: 0
; COMPUTE_PGM_RSRC3_GFX90A:TG_SPLIT: 0
	.section	.text._ZN7rocprim17ROCPRIM_400000_NS6detail17trampoline_kernelINS0_14default_configENS1_38merge_sort_block_merge_config_selectorIsNS0_10empty_typeEEEZZNS1_27merge_sort_block_merge_implIS3_N6thrust23THRUST_200600_302600_NS6detail15normal_iteratorINS9_10device_ptrIsEEEEPS5_jNS1_19radix_merge_compareILb0ELb0EsNS0_19identity_decomposerEEEEE10hipError_tT0_T1_T2_jT3_P12ihipStream_tbPNSt15iterator_traitsISK_E10value_typeEPNSQ_ISL_E10value_typeEPSM_NS1_7vsmem_tEENKUlT_SK_SL_SM_E_clISE_PsSF_SF_EESJ_SZ_SK_SL_SM_EUlSZ_E0_NS1_11comp_targetILNS1_3genE10ELNS1_11target_archE1201ELNS1_3gpuE5ELNS1_3repE0EEENS1_38merge_mergepath_config_static_selectorELNS0_4arch9wavefront6targetE1EEEvSL_,"axG",@progbits,_ZN7rocprim17ROCPRIM_400000_NS6detail17trampoline_kernelINS0_14default_configENS1_38merge_sort_block_merge_config_selectorIsNS0_10empty_typeEEEZZNS1_27merge_sort_block_merge_implIS3_N6thrust23THRUST_200600_302600_NS6detail15normal_iteratorINS9_10device_ptrIsEEEEPS5_jNS1_19radix_merge_compareILb0ELb0EsNS0_19identity_decomposerEEEEE10hipError_tT0_T1_T2_jT3_P12ihipStream_tbPNSt15iterator_traitsISK_E10value_typeEPNSQ_ISL_E10value_typeEPSM_NS1_7vsmem_tEENKUlT_SK_SL_SM_E_clISE_PsSF_SF_EESJ_SZ_SK_SL_SM_EUlSZ_E0_NS1_11comp_targetILNS1_3genE10ELNS1_11target_archE1201ELNS1_3gpuE5ELNS1_3repE0EEENS1_38merge_mergepath_config_static_selectorELNS0_4arch9wavefront6targetE1EEEvSL_,comdat
	.protected	_ZN7rocprim17ROCPRIM_400000_NS6detail17trampoline_kernelINS0_14default_configENS1_38merge_sort_block_merge_config_selectorIsNS0_10empty_typeEEEZZNS1_27merge_sort_block_merge_implIS3_N6thrust23THRUST_200600_302600_NS6detail15normal_iteratorINS9_10device_ptrIsEEEEPS5_jNS1_19radix_merge_compareILb0ELb0EsNS0_19identity_decomposerEEEEE10hipError_tT0_T1_T2_jT3_P12ihipStream_tbPNSt15iterator_traitsISK_E10value_typeEPNSQ_ISL_E10value_typeEPSM_NS1_7vsmem_tEENKUlT_SK_SL_SM_E_clISE_PsSF_SF_EESJ_SZ_SK_SL_SM_EUlSZ_E0_NS1_11comp_targetILNS1_3genE10ELNS1_11target_archE1201ELNS1_3gpuE5ELNS1_3repE0EEENS1_38merge_mergepath_config_static_selectorELNS0_4arch9wavefront6targetE1EEEvSL_ ; -- Begin function _ZN7rocprim17ROCPRIM_400000_NS6detail17trampoline_kernelINS0_14default_configENS1_38merge_sort_block_merge_config_selectorIsNS0_10empty_typeEEEZZNS1_27merge_sort_block_merge_implIS3_N6thrust23THRUST_200600_302600_NS6detail15normal_iteratorINS9_10device_ptrIsEEEEPS5_jNS1_19radix_merge_compareILb0ELb0EsNS0_19identity_decomposerEEEEE10hipError_tT0_T1_T2_jT3_P12ihipStream_tbPNSt15iterator_traitsISK_E10value_typeEPNSQ_ISL_E10value_typeEPSM_NS1_7vsmem_tEENKUlT_SK_SL_SM_E_clISE_PsSF_SF_EESJ_SZ_SK_SL_SM_EUlSZ_E0_NS1_11comp_targetILNS1_3genE10ELNS1_11target_archE1201ELNS1_3gpuE5ELNS1_3repE0EEENS1_38merge_mergepath_config_static_selectorELNS0_4arch9wavefront6targetE1EEEvSL_
	.globl	_ZN7rocprim17ROCPRIM_400000_NS6detail17trampoline_kernelINS0_14default_configENS1_38merge_sort_block_merge_config_selectorIsNS0_10empty_typeEEEZZNS1_27merge_sort_block_merge_implIS3_N6thrust23THRUST_200600_302600_NS6detail15normal_iteratorINS9_10device_ptrIsEEEEPS5_jNS1_19radix_merge_compareILb0ELb0EsNS0_19identity_decomposerEEEEE10hipError_tT0_T1_T2_jT3_P12ihipStream_tbPNSt15iterator_traitsISK_E10value_typeEPNSQ_ISL_E10value_typeEPSM_NS1_7vsmem_tEENKUlT_SK_SL_SM_E_clISE_PsSF_SF_EESJ_SZ_SK_SL_SM_EUlSZ_E0_NS1_11comp_targetILNS1_3genE10ELNS1_11target_archE1201ELNS1_3gpuE5ELNS1_3repE0EEENS1_38merge_mergepath_config_static_selectorELNS0_4arch9wavefront6targetE1EEEvSL_
	.p2align	8
	.type	_ZN7rocprim17ROCPRIM_400000_NS6detail17trampoline_kernelINS0_14default_configENS1_38merge_sort_block_merge_config_selectorIsNS0_10empty_typeEEEZZNS1_27merge_sort_block_merge_implIS3_N6thrust23THRUST_200600_302600_NS6detail15normal_iteratorINS9_10device_ptrIsEEEEPS5_jNS1_19radix_merge_compareILb0ELb0EsNS0_19identity_decomposerEEEEE10hipError_tT0_T1_T2_jT3_P12ihipStream_tbPNSt15iterator_traitsISK_E10value_typeEPNSQ_ISL_E10value_typeEPSM_NS1_7vsmem_tEENKUlT_SK_SL_SM_E_clISE_PsSF_SF_EESJ_SZ_SK_SL_SM_EUlSZ_E0_NS1_11comp_targetILNS1_3genE10ELNS1_11target_archE1201ELNS1_3gpuE5ELNS1_3repE0EEENS1_38merge_mergepath_config_static_selectorELNS0_4arch9wavefront6targetE1EEEvSL_,@function
_ZN7rocprim17ROCPRIM_400000_NS6detail17trampoline_kernelINS0_14default_configENS1_38merge_sort_block_merge_config_selectorIsNS0_10empty_typeEEEZZNS1_27merge_sort_block_merge_implIS3_N6thrust23THRUST_200600_302600_NS6detail15normal_iteratorINS9_10device_ptrIsEEEEPS5_jNS1_19radix_merge_compareILb0ELb0EsNS0_19identity_decomposerEEEEE10hipError_tT0_T1_T2_jT3_P12ihipStream_tbPNSt15iterator_traitsISK_E10value_typeEPNSQ_ISL_E10value_typeEPSM_NS1_7vsmem_tEENKUlT_SK_SL_SM_E_clISE_PsSF_SF_EESJ_SZ_SK_SL_SM_EUlSZ_E0_NS1_11comp_targetILNS1_3genE10ELNS1_11target_archE1201ELNS1_3gpuE5ELNS1_3repE0EEENS1_38merge_mergepath_config_static_selectorELNS0_4arch9wavefront6targetE1EEEvSL_: ; @_ZN7rocprim17ROCPRIM_400000_NS6detail17trampoline_kernelINS0_14default_configENS1_38merge_sort_block_merge_config_selectorIsNS0_10empty_typeEEEZZNS1_27merge_sort_block_merge_implIS3_N6thrust23THRUST_200600_302600_NS6detail15normal_iteratorINS9_10device_ptrIsEEEEPS5_jNS1_19radix_merge_compareILb0ELb0EsNS0_19identity_decomposerEEEEE10hipError_tT0_T1_T2_jT3_P12ihipStream_tbPNSt15iterator_traitsISK_E10value_typeEPNSQ_ISL_E10value_typeEPSM_NS1_7vsmem_tEENKUlT_SK_SL_SM_E_clISE_PsSF_SF_EESJ_SZ_SK_SL_SM_EUlSZ_E0_NS1_11comp_targetILNS1_3genE10ELNS1_11target_archE1201ELNS1_3gpuE5ELNS1_3repE0EEENS1_38merge_mergepath_config_static_selectorELNS0_4arch9wavefront6targetE1EEEvSL_
; %bb.0:
	.section	.rodata,"a",@progbits
	.p2align	6, 0x0
	.amdhsa_kernel _ZN7rocprim17ROCPRIM_400000_NS6detail17trampoline_kernelINS0_14default_configENS1_38merge_sort_block_merge_config_selectorIsNS0_10empty_typeEEEZZNS1_27merge_sort_block_merge_implIS3_N6thrust23THRUST_200600_302600_NS6detail15normal_iteratorINS9_10device_ptrIsEEEEPS5_jNS1_19radix_merge_compareILb0ELb0EsNS0_19identity_decomposerEEEEE10hipError_tT0_T1_T2_jT3_P12ihipStream_tbPNSt15iterator_traitsISK_E10value_typeEPNSQ_ISL_E10value_typeEPSM_NS1_7vsmem_tEENKUlT_SK_SL_SM_E_clISE_PsSF_SF_EESJ_SZ_SK_SL_SM_EUlSZ_E0_NS1_11comp_targetILNS1_3genE10ELNS1_11target_archE1201ELNS1_3gpuE5ELNS1_3repE0EEENS1_38merge_mergepath_config_static_selectorELNS0_4arch9wavefront6targetE1EEEvSL_
		.amdhsa_group_segment_fixed_size 0
		.amdhsa_private_segment_fixed_size 0
		.amdhsa_kernarg_size 64
		.amdhsa_user_sgpr_count 2
		.amdhsa_user_sgpr_dispatch_ptr 0
		.amdhsa_user_sgpr_queue_ptr 0
		.amdhsa_user_sgpr_kernarg_segment_ptr 1
		.amdhsa_user_sgpr_dispatch_id 0
		.amdhsa_user_sgpr_kernarg_preload_length 0
		.amdhsa_user_sgpr_kernarg_preload_offset 0
		.amdhsa_user_sgpr_private_segment_size 0
		.amdhsa_uses_dynamic_stack 0
		.amdhsa_enable_private_segment 0
		.amdhsa_system_sgpr_workgroup_id_x 1
		.amdhsa_system_sgpr_workgroup_id_y 0
		.amdhsa_system_sgpr_workgroup_id_z 0
		.amdhsa_system_sgpr_workgroup_info 0
		.amdhsa_system_vgpr_workitem_id 0
		.amdhsa_next_free_vgpr 1
		.amdhsa_next_free_sgpr 0
		.amdhsa_accum_offset 4
		.amdhsa_reserve_vcc 0
		.amdhsa_float_round_mode_32 0
		.amdhsa_float_round_mode_16_64 0
		.amdhsa_float_denorm_mode_32 3
		.amdhsa_float_denorm_mode_16_64 3
		.amdhsa_dx10_clamp 1
		.amdhsa_ieee_mode 1
		.amdhsa_fp16_overflow 0
		.amdhsa_tg_split 0
		.amdhsa_exception_fp_ieee_invalid_op 0
		.amdhsa_exception_fp_denorm_src 0
		.amdhsa_exception_fp_ieee_div_zero 0
		.amdhsa_exception_fp_ieee_overflow 0
		.amdhsa_exception_fp_ieee_underflow 0
		.amdhsa_exception_fp_ieee_inexact 0
		.amdhsa_exception_int_div_zero 0
	.end_amdhsa_kernel
	.section	.text._ZN7rocprim17ROCPRIM_400000_NS6detail17trampoline_kernelINS0_14default_configENS1_38merge_sort_block_merge_config_selectorIsNS0_10empty_typeEEEZZNS1_27merge_sort_block_merge_implIS3_N6thrust23THRUST_200600_302600_NS6detail15normal_iteratorINS9_10device_ptrIsEEEEPS5_jNS1_19radix_merge_compareILb0ELb0EsNS0_19identity_decomposerEEEEE10hipError_tT0_T1_T2_jT3_P12ihipStream_tbPNSt15iterator_traitsISK_E10value_typeEPNSQ_ISL_E10value_typeEPSM_NS1_7vsmem_tEENKUlT_SK_SL_SM_E_clISE_PsSF_SF_EESJ_SZ_SK_SL_SM_EUlSZ_E0_NS1_11comp_targetILNS1_3genE10ELNS1_11target_archE1201ELNS1_3gpuE5ELNS1_3repE0EEENS1_38merge_mergepath_config_static_selectorELNS0_4arch9wavefront6targetE1EEEvSL_,"axG",@progbits,_ZN7rocprim17ROCPRIM_400000_NS6detail17trampoline_kernelINS0_14default_configENS1_38merge_sort_block_merge_config_selectorIsNS0_10empty_typeEEEZZNS1_27merge_sort_block_merge_implIS3_N6thrust23THRUST_200600_302600_NS6detail15normal_iteratorINS9_10device_ptrIsEEEEPS5_jNS1_19radix_merge_compareILb0ELb0EsNS0_19identity_decomposerEEEEE10hipError_tT0_T1_T2_jT3_P12ihipStream_tbPNSt15iterator_traitsISK_E10value_typeEPNSQ_ISL_E10value_typeEPSM_NS1_7vsmem_tEENKUlT_SK_SL_SM_E_clISE_PsSF_SF_EESJ_SZ_SK_SL_SM_EUlSZ_E0_NS1_11comp_targetILNS1_3genE10ELNS1_11target_archE1201ELNS1_3gpuE5ELNS1_3repE0EEENS1_38merge_mergepath_config_static_selectorELNS0_4arch9wavefront6targetE1EEEvSL_,comdat
.Lfunc_end1851:
	.size	_ZN7rocprim17ROCPRIM_400000_NS6detail17trampoline_kernelINS0_14default_configENS1_38merge_sort_block_merge_config_selectorIsNS0_10empty_typeEEEZZNS1_27merge_sort_block_merge_implIS3_N6thrust23THRUST_200600_302600_NS6detail15normal_iteratorINS9_10device_ptrIsEEEEPS5_jNS1_19radix_merge_compareILb0ELb0EsNS0_19identity_decomposerEEEEE10hipError_tT0_T1_T2_jT3_P12ihipStream_tbPNSt15iterator_traitsISK_E10value_typeEPNSQ_ISL_E10value_typeEPSM_NS1_7vsmem_tEENKUlT_SK_SL_SM_E_clISE_PsSF_SF_EESJ_SZ_SK_SL_SM_EUlSZ_E0_NS1_11comp_targetILNS1_3genE10ELNS1_11target_archE1201ELNS1_3gpuE5ELNS1_3repE0EEENS1_38merge_mergepath_config_static_selectorELNS0_4arch9wavefront6targetE1EEEvSL_, .Lfunc_end1851-_ZN7rocprim17ROCPRIM_400000_NS6detail17trampoline_kernelINS0_14default_configENS1_38merge_sort_block_merge_config_selectorIsNS0_10empty_typeEEEZZNS1_27merge_sort_block_merge_implIS3_N6thrust23THRUST_200600_302600_NS6detail15normal_iteratorINS9_10device_ptrIsEEEEPS5_jNS1_19radix_merge_compareILb0ELb0EsNS0_19identity_decomposerEEEEE10hipError_tT0_T1_T2_jT3_P12ihipStream_tbPNSt15iterator_traitsISK_E10value_typeEPNSQ_ISL_E10value_typeEPSM_NS1_7vsmem_tEENKUlT_SK_SL_SM_E_clISE_PsSF_SF_EESJ_SZ_SK_SL_SM_EUlSZ_E0_NS1_11comp_targetILNS1_3genE10ELNS1_11target_archE1201ELNS1_3gpuE5ELNS1_3repE0EEENS1_38merge_mergepath_config_static_selectorELNS0_4arch9wavefront6targetE1EEEvSL_
                                        ; -- End function
	.section	.AMDGPU.csdata,"",@progbits
; Kernel info:
; codeLenInByte = 0
; NumSgprs: 6
; NumVgprs: 0
; NumAgprs: 0
; TotalNumVgprs: 0
; ScratchSize: 0
; MemoryBound: 0
; FloatMode: 240
; IeeeMode: 1
; LDSByteSize: 0 bytes/workgroup (compile time only)
; SGPRBlocks: 0
; VGPRBlocks: 0
; NumSGPRsForWavesPerEU: 6
; NumVGPRsForWavesPerEU: 1
; AccumOffset: 4
; Occupancy: 8
; WaveLimiterHint : 0
; COMPUTE_PGM_RSRC2:SCRATCH_EN: 0
; COMPUTE_PGM_RSRC2:USER_SGPR: 2
; COMPUTE_PGM_RSRC2:TRAP_HANDLER: 0
; COMPUTE_PGM_RSRC2:TGID_X_EN: 1
; COMPUTE_PGM_RSRC2:TGID_Y_EN: 0
; COMPUTE_PGM_RSRC2:TGID_Z_EN: 0
; COMPUTE_PGM_RSRC2:TIDIG_COMP_CNT: 0
; COMPUTE_PGM_RSRC3_GFX90A:ACCUM_OFFSET: 0
; COMPUTE_PGM_RSRC3_GFX90A:TG_SPLIT: 0
	.section	.text._ZN7rocprim17ROCPRIM_400000_NS6detail17trampoline_kernelINS0_14default_configENS1_38merge_sort_block_merge_config_selectorIsNS0_10empty_typeEEEZZNS1_27merge_sort_block_merge_implIS3_N6thrust23THRUST_200600_302600_NS6detail15normal_iteratorINS9_10device_ptrIsEEEEPS5_jNS1_19radix_merge_compareILb0ELb0EsNS0_19identity_decomposerEEEEE10hipError_tT0_T1_T2_jT3_P12ihipStream_tbPNSt15iterator_traitsISK_E10value_typeEPNSQ_ISL_E10value_typeEPSM_NS1_7vsmem_tEENKUlT_SK_SL_SM_E_clISE_PsSF_SF_EESJ_SZ_SK_SL_SM_EUlSZ_E0_NS1_11comp_targetILNS1_3genE5ELNS1_11target_archE942ELNS1_3gpuE9ELNS1_3repE0EEENS1_38merge_mergepath_config_static_selectorELNS0_4arch9wavefront6targetE1EEEvSL_,"axG",@progbits,_ZN7rocprim17ROCPRIM_400000_NS6detail17trampoline_kernelINS0_14default_configENS1_38merge_sort_block_merge_config_selectorIsNS0_10empty_typeEEEZZNS1_27merge_sort_block_merge_implIS3_N6thrust23THRUST_200600_302600_NS6detail15normal_iteratorINS9_10device_ptrIsEEEEPS5_jNS1_19radix_merge_compareILb0ELb0EsNS0_19identity_decomposerEEEEE10hipError_tT0_T1_T2_jT3_P12ihipStream_tbPNSt15iterator_traitsISK_E10value_typeEPNSQ_ISL_E10value_typeEPSM_NS1_7vsmem_tEENKUlT_SK_SL_SM_E_clISE_PsSF_SF_EESJ_SZ_SK_SL_SM_EUlSZ_E0_NS1_11comp_targetILNS1_3genE5ELNS1_11target_archE942ELNS1_3gpuE9ELNS1_3repE0EEENS1_38merge_mergepath_config_static_selectorELNS0_4arch9wavefront6targetE1EEEvSL_,comdat
	.protected	_ZN7rocprim17ROCPRIM_400000_NS6detail17trampoline_kernelINS0_14default_configENS1_38merge_sort_block_merge_config_selectorIsNS0_10empty_typeEEEZZNS1_27merge_sort_block_merge_implIS3_N6thrust23THRUST_200600_302600_NS6detail15normal_iteratorINS9_10device_ptrIsEEEEPS5_jNS1_19radix_merge_compareILb0ELb0EsNS0_19identity_decomposerEEEEE10hipError_tT0_T1_T2_jT3_P12ihipStream_tbPNSt15iterator_traitsISK_E10value_typeEPNSQ_ISL_E10value_typeEPSM_NS1_7vsmem_tEENKUlT_SK_SL_SM_E_clISE_PsSF_SF_EESJ_SZ_SK_SL_SM_EUlSZ_E0_NS1_11comp_targetILNS1_3genE5ELNS1_11target_archE942ELNS1_3gpuE9ELNS1_3repE0EEENS1_38merge_mergepath_config_static_selectorELNS0_4arch9wavefront6targetE1EEEvSL_ ; -- Begin function _ZN7rocprim17ROCPRIM_400000_NS6detail17trampoline_kernelINS0_14default_configENS1_38merge_sort_block_merge_config_selectorIsNS0_10empty_typeEEEZZNS1_27merge_sort_block_merge_implIS3_N6thrust23THRUST_200600_302600_NS6detail15normal_iteratorINS9_10device_ptrIsEEEEPS5_jNS1_19radix_merge_compareILb0ELb0EsNS0_19identity_decomposerEEEEE10hipError_tT0_T1_T2_jT3_P12ihipStream_tbPNSt15iterator_traitsISK_E10value_typeEPNSQ_ISL_E10value_typeEPSM_NS1_7vsmem_tEENKUlT_SK_SL_SM_E_clISE_PsSF_SF_EESJ_SZ_SK_SL_SM_EUlSZ_E0_NS1_11comp_targetILNS1_3genE5ELNS1_11target_archE942ELNS1_3gpuE9ELNS1_3repE0EEENS1_38merge_mergepath_config_static_selectorELNS0_4arch9wavefront6targetE1EEEvSL_
	.globl	_ZN7rocprim17ROCPRIM_400000_NS6detail17trampoline_kernelINS0_14default_configENS1_38merge_sort_block_merge_config_selectorIsNS0_10empty_typeEEEZZNS1_27merge_sort_block_merge_implIS3_N6thrust23THRUST_200600_302600_NS6detail15normal_iteratorINS9_10device_ptrIsEEEEPS5_jNS1_19radix_merge_compareILb0ELb0EsNS0_19identity_decomposerEEEEE10hipError_tT0_T1_T2_jT3_P12ihipStream_tbPNSt15iterator_traitsISK_E10value_typeEPNSQ_ISL_E10value_typeEPSM_NS1_7vsmem_tEENKUlT_SK_SL_SM_E_clISE_PsSF_SF_EESJ_SZ_SK_SL_SM_EUlSZ_E0_NS1_11comp_targetILNS1_3genE5ELNS1_11target_archE942ELNS1_3gpuE9ELNS1_3repE0EEENS1_38merge_mergepath_config_static_selectorELNS0_4arch9wavefront6targetE1EEEvSL_
	.p2align	8
	.type	_ZN7rocprim17ROCPRIM_400000_NS6detail17trampoline_kernelINS0_14default_configENS1_38merge_sort_block_merge_config_selectorIsNS0_10empty_typeEEEZZNS1_27merge_sort_block_merge_implIS3_N6thrust23THRUST_200600_302600_NS6detail15normal_iteratorINS9_10device_ptrIsEEEEPS5_jNS1_19radix_merge_compareILb0ELb0EsNS0_19identity_decomposerEEEEE10hipError_tT0_T1_T2_jT3_P12ihipStream_tbPNSt15iterator_traitsISK_E10value_typeEPNSQ_ISL_E10value_typeEPSM_NS1_7vsmem_tEENKUlT_SK_SL_SM_E_clISE_PsSF_SF_EESJ_SZ_SK_SL_SM_EUlSZ_E0_NS1_11comp_targetILNS1_3genE5ELNS1_11target_archE942ELNS1_3gpuE9ELNS1_3repE0EEENS1_38merge_mergepath_config_static_selectorELNS0_4arch9wavefront6targetE1EEEvSL_,@function
_ZN7rocprim17ROCPRIM_400000_NS6detail17trampoline_kernelINS0_14default_configENS1_38merge_sort_block_merge_config_selectorIsNS0_10empty_typeEEEZZNS1_27merge_sort_block_merge_implIS3_N6thrust23THRUST_200600_302600_NS6detail15normal_iteratorINS9_10device_ptrIsEEEEPS5_jNS1_19radix_merge_compareILb0ELb0EsNS0_19identity_decomposerEEEEE10hipError_tT0_T1_T2_jT3_P12ihipStream_tbPNSt15iterator_traitsISK_E10value_typeEPNSQ_ISL_E10value_typeEPSM_NS1_7vsmem_tEENKUlT_SK_SL_SM_E_clISE_PsSF_SF_EESJ_SZ_SK_SL_SM_EUlSZ_E0_NS1_11comp_targetILNS1_3genE5ELNS1_11target_archE942ELNS1_3gpuE9ELNS1_3repE0EEENS1_38merge_mergepath_config_static_selectorELNS0_4arch9wavefront6targetE1EEEvSL_: ; @_ZN7rocprim17ROCPRIM_400000_NS6detail17trampoline_kernelINS0_14default_configENS1_38merge_sort_block_merge_config_selectorIsNS0_10empty_typeEEEZZNS1_27merge_sort_block_merge_implIS3_N6thrust23THRUST_200600_302600_NS6detail15normal_iteratorINS9_10device_ptrIsEEEEPS5_jNS1_19radix_merge_compareILb0ELb0EsNS0_19identity_decomposerEEEEE10hipError_tT0_T1_T2_jT3_P12ihipStream_tbPNSt15iterator_traitsISK_E10value_typeEPNSQ_ISL_E10value_typeEPSM_NS1_7vsmem_tEENKUlT_SK_SL_SM_E_clISE_PsSF_SF_EESJ_SZ_SK_SL_SM_EUlSZ_E0_NS1_11comp_targetILNS1_3genE5ELNS1_11target_archE942ELNS1_3gpuE9ELNS1_3repE0EEENS1_38merge_mergepath_config_static_selectorELNS0_4arch9wavefront6targetE1EEEvSL_
; %bb.0:
	s_load_dwordx2 s[12:13], s[0:1], 0x40
	s_load_dword s5, s[0:1], 0x30
	s_add_u32 s8, s0, 64
	s_addc_u32 s9, s1, 0
	s_waitcnt lgkmcnt(0)
	s_mul_i32 s4, s13, s4
	s_add_i32 s3, s4, s3
	s_mul_i32 s3, s3, s12
	s_add_i32 s10, s3, s2
	s_cmp_ge_u32 s10, s5
	s_cbranch_scc1 .LBB1852_43
; %bb.1:
	s_load_dwordx2 s[14:15], s[0:1], 0x28
	s_load_dwordx2 s[4:5], s[0:1], 0x38
	;; [unrolled: 1-line block ×3, first 2 shown]
	s_mov_b32 s11, 0
	v_mov_b32_e32 v3, 0
	s_waitcnt lgkmcnt(0)
	s_lshr_b32 s22, s14, 10
	s_cmp_lg_u32 s10, s22
	s_cselect_b64 s[18:19], -1, 0
	s_lshl_b64 s[16:17], s[10:11], 2
	s_add_u32 s4, s4, s16
	s_addc_u32 s5, s5, s17
	s_lshr_b32 s3, s15, 9
	s_and_b32 s3, s3, 0x7ffffe
	s_load_dwordx2 s[4:5], s[4:5], 0x0
	s_sub_i32 s3, 0, s3
	s_and_b32 s13, s10, s3
	s_lshl_b32 s17, s13, 10
	s_lshl_b32 s16, s10, 10
	;; [unrolled: 1-line block ×3, first 2 shown]
	s_sub_i32 s20, s16, s17
	s_add_i32 s13, s13, s15
	s_add_i32 s21, s13, s20
	s_waitcnt lgkmcnt(0)
	s_sub_i32 s20, s21, s4
	s_sub_i32 s21, s21, s5
	;; [unrolled: 1-line block ×3, first 2 shown]
	s_min_u32 s20, s14, s20
	s_addk_i32 s21, 0x400
	s_or_b32 s3, s10, s3
	s_min_u32 s17, s14, s13
	s_add_i32 s13, s13, s15
	s_cmp_eq_u32 s3, -1
	s_cselect_b32 s3, s13, s21
	s_cselect_b32 s5, s17, s5
	s_min_u32 s3, s3, s14
	s_sub_i32 s15, s5, s4
	s_mov_b32 s5, s11
	s_sub_i32 s13, s3, s20
	s_lshl_b64 s[4:5], s[4:5], 1
	s_add_u32 s4, s6, s4
	s_mov_b32 s21, s11
	s_addc_u32 s5, s7, s5
	s_lshl_b64 s[20:21], s[20:21], 1
	s_add_u32 s6, s6, s20
	s_addc_u32 s7, s7, s21
	s_cmp_lt_u32 s2, s12
	s_cselect_b32 s2, 12, 18
	global_load_dword v1, v3, s[8:9] offset:14
	s_add_u32 s2, s8, s2
	s_addc_u32 s3, s9, 0
	global_load_ushort v2, v3, s[2:3]
	s_cmp_eq_u32 s10, s22
	v_lshlrev_b32_e32 v6, 1, v0
	s_waitcnt vmcnt(1)
	v_lshrrev_b32_e32 v4, 16, v1
	v_and_b32_e32 v1, 0xffff, v1
	v_mul_lo_u32 v1, v1, v4
	s_waitcnt vmcnt(0)
	v_mul_lo_u32 v1, v1, v2
	v_add_u32_e32 v10, v1, v0
	v_add_u32_e32 v8, v10, v1
	s_cbranch_scc1 .LBB1852_3
; %bb.2:
	v_subrev_u32_e32 v2, s15, v0
	v_mov_b32_e32 v7, v3
	v_lshl_add_u64 v[4:5], v[2:3], 1, s[6:7]
	v_lshl_add_u64 v[12:13], s[4:5], 0, v[6:7]
	v_cmp_gt_u32_e32 vcc, s15, v0
	v_subrev_u32_e32 v2, s15, v10
	v_mov_b32_e32 v11, v3
	v_cndmask_b32_e32 v5, v5, v13, vcc
	v_cndmask_b32_e32 v4, v4, v12, vcc
	global_load_ushort v7, v[4:5], off
	v_lshl_add_u64 v[4:5], v[2:3], 1, s[6:7]
	v_lshl_add_u64 v[12:13], v[10:11], 1, s[4:5]
	v_cmp_gt_u32_e32 vcc, s15, v10
	v_subrev_u32_e32 v2, s15, v8
	v_mov_b32_e32 v9, v3
	v_cndmask_b32_e32 v5, v5, v13, vcc
	v_cndmask_b32_e32 v4, v4, v12, vcc
	global_load_ushort v11, v[4:5], off
	v_lshl_add_u64 v[4:5], v[2:3], 1, s[6:7]
	v_lshl_add_u64 v[12:13], v[8:9], 1, s[4:5]
	v_cmp_gt_u32_e32 vcc, s15, v8
	s_mov_b32 s2, 0x5040100
	s_add_i32 s10, s13, s15
	v_cndmask_b32_e32 v5, v5, v13, vcc
	v_cndmask_b32_e32 v4, v4, v12, vcc
	global_load_ushort v9, v[4:5], off
	v_add_u32_e32 v4, v8, v1
	v_subrev_u32_e32 v2, s15, v4
	v_mov_b32_e32 v5, v3
	v_lshl_add_u64 v[12:13], v[2:3], 1, s[6:7]
	v_lshl_add_u64 v[14:15], v[4:5], 1, s[4:5]
	v_cmp_gt_u32_e32 vcc, s15, v4
	v_add_u32_e32 v4, v4, v1
	v_subrev_u32_e32 v2, s15, v4
	v_cndmask_b32_e32 v13, v13, v15, vcc
	v_cndmask_b32_e32 v12, v12, v14, vcc
	global_load_ushort v16, v[12:13], off
	v_lshl_add_u64 v[12:13], v[2:3], 1, s[6:7]
	v_lshl_add_u64 v[14:15], v[4:5], 1, s[4:5]
	v_cmp_gt_u32_e32 vcc, s15, v4
	v_add_u32_e32 v4, v4, v1
	v_subrev_u32_e32 v2, s15, v4
	v_cndmask_b32_e32 v13, v13, v15, vcc
	v_cndmask_b32_e32 v12, v12, v14, vcc
	global_load_ushort v17, v[12:13], off
	;; [unrolled: 8-line block ×3, first 2 shown]
	v_lshl_add_u64 v[12:13], v[2:3], 1, s[6:7]
	v_lshl_add_u64 v[2:3], v[4:5], 1, s[4:5]
	v_cmp_gt_u32_e32 vcc, s15, v4
	s_nop 1
	v_cndmask_b32_e32 v3, v13, v3, vcc
	v_cndmask_b32_e32 v2, v12, v2, vcc
	global_load_ushort v5, v[2:3], off
	v_add_u32_e32 v12, v4, v1
	s_waitcnt vmcnt(5)
	v_perm_b32 v2, v11, v7, s2
	s_waitcnt vmcnt(3)
	v_perm_b32 v3, v16, v9, s2
	s_waitcnt vmcnt(1)
	v_perm_b32 v4, v14, v17, s2
	s_mov_b64 s[2:3], -1
	s_cbranch_execz .LBB1852_4
	s_branch .LBB1852_17
.LBB1852_3:
	s_mov_b64 s[2:3], 0
                                        ; implicit-def: $vgpr12
                                        ; implicit-def: $vgpr2_vgpr3_vgpr4_vgpr5
                                        ; implicit-def: $sgpr10
.LBB1852_4:
	s_add_i32 s10, s13, s15
	v_cmp_gt_u32_e32 vcc, s10, v0
                                        ; implicit-def: $vgpr2_vgpr3_vgpr4_vgpr5
	s_and_saveexec_b64 s[2:3], vcc
	s_cbranch_execnz .LBB1852_44
; %bb.5:
	s_or_b64 exec, exec, s[2:3]
	v_cmp_gt_u32_e32 vcc, s10, v10
	s_and_saveexec_b64 s[2:3], vcc
	s_cbranch_execnz .LBB1852_45
.LBB1852_6:
	s_or_b64 exec, exec, s[2:3]
	v_cmp_gt_u32_e32 vcc, s10, v8
	s_and_saveexec_b64 s[2:3], vcc
	s_cbranch_execz .LBB1852_8
.LBB1852_7:
	v_mov_b32_e32 v9, 0
	v_subrev_u32_e32 v12, s15, v8
	v_mov_b32_e32 v13, v9
	v_lshl_add_u64 v[10:11], v[8:9], 1, s[4:5]
	v_lshl_add_u64 v[12:13], v[12:13], 1, s[6:7]
	v_cmp_gt_u32_e32 vcc, s15, v8
	s_mov_b32 s8, 0xffff
	s_nop 0
	v_cndmask_b32_e32 v11, v13, v11, vcc
	v_cndmask_b32_e32 v10, v12, v10, vcc
	global_load_ushort v7, v[10:11], off
	s_waitcnt vmcnt(0)
	v_bfi_b32 v3, s8, v7, v3
.LBB1852_8:
	s_or_b64 exec, exec, s[2:3]
	v_add_u32_e32 v8, v8, v1
	v_cmp_gt_u32_e32 vcc, s10, v8
	s_and_saveexec_b64 s[2:3], vcc
	s_cbranch_execz .LBB1852_10
; %bb.9:
	v_mov_b32_e32 v9, 0
	v_subrev_u32_e32 v12, s15, v8
	v_mov_b32_e32 v13, v9
	v_lshl_add_u64 v[10:11], v[8:9], 1, s[4:5]
	v_lshl_add_u64 v[12:13], v[12:13], 1, s[6:7]
	v_cmp_gt_u32_e32 vcc, s15, v8
	s_mov_b32 s8, 0x5040100
	s_nop 0
	v_cndmask_b32_e32 v11, v13, v11, vcc
	v_cndmask_b32_e32 v10, v12, v10, vcc
	global_load_ushort v7, v[10:11], off
	s_waitcnt vmcnt(0)
	v_perm_b32 v3, v7, v3, s8
.LBB1852_10:
	s_or_b64 exec, exec, s[2:3]
	v_add_u32_e32 v8, v8, v1
	v_cmp_gt_u32_e32 vcc, s10, v8
	s_and_saveexec_b64 s[2:3], vcc
	s_cbranch_execz .LBB1852_12
; %bb.11:
	v_mov_b32_e32 v9, 0
	v_subrev_u32_e32 v12, s15, v8
	v_mov_b32_e32 v13, v9
	v_lshl_add_u64 v[10:11], v[8:9], 1, s[4:5]
	v_lshl_add_u64 v[12:13], v[12:13], 1, s[6:7]
	v_cmp_gt_u32_e32 vcc, s15, v8
	s_mov_b32 s8, 0xffff
	s_nop 0
	v_cndmask_b32_e32 v11, v13, v11, vcc
	v_cndmask_b32_e32 v10, v12, v10, vcc
	global_load_ushort v7, v[10:11], off
	s_waitcnt vmcnt(0)
	v_bfi_b32 v4, s8, v7, v4
.LBB1852_12:
	s_or_b64 exec, exec, s[2:3]
	v_add_u32_e32 v8, v8, v1
	v_cmp_gt_u32_e32 vcc, s10, v8
	s_and_saveexec_b64 s[2:3], vcc
	s_cbranch_execz .LBB1852_14
; %bb.13:
	v_mov_b32_e32 v9, 0
	v_subrev_u32_e32 v12, s15, v8
	v_mov_b32_e32 v13, v9
	v_lshl_add_u64 v[10:11], v[8:9], 1, s[4:5]
	v_lshl_add_u64 v[12:13], v[12:13], 1, s[6:7]
	v_cmp_gt_u32_e32 vcc, s15, v8
	s_mov_b32 s8, 0x5040100
	s_nop 0
	v_cndmask_b32_e32 v11, v13, v11, vcc
	v_cndmask_b32_e32 v10, v12, v10, vcc
	global_load_ushort v7, v[10:11], off
	s_waitcnt vmcnt(0)
	v_perm_b32 v4, v7, v4, s8
.LBB1852_14:
	s_or_b64 exec, exec, s[2:3]
	v_add_u32_e32 v8, v8, v1
	v_cmp_gt_u32_e32 vcc, s10, v8
	s_and_saveexec_b64 s[2:3], vcc
	s_cbranch_execz .LBB1852_16
; %bb.15:
	v_mov_b32_e32 v9, 0
	v_subrev_u32_e32 v12, s15, v8
	v_mov_b32_e32 v13, v9
	v_lshl_add_u64 v[10:11], v[8:9], 1, s[4:5]
	v_lshl_add_u64 v[12:13], v[12:13], 1, s[6:7]
	v_cmp_gt_u32_e32 vcc, s15, v8
	s_mov_b32 s8, 0xffff
	s_nop 0
	v_cndmask_b32_e32 v11, v13, v11, vcc
	v_cndmask_b32_e32 v10, v12, v10, vcc
	global_load_ushort v7, v[10:11], off
	s_waitcnt vmcnt(0)
	v_bfi_b32 v5, s8, v7, v5
.LBB1852_16:
	s_or_b64 exec, exec, s[2:3]
	v_add_u32_e32 v12, v8, v1
	v_cmp_gt_u32_e64 s[2:3], s10, v12
.LBB1852_17:
	v_mov_b32_e32 v7, s10
	s_and_saveexec_b64 s[8:9], s[2:3]
	s_cbranch_execz .LBB1852_19
; %bb.18:
	v_mov_b32_e32 v9, 0
	v_subrev_u32_e32 v8, s15, v12
	v_mov_b32_e32 v13, v9
	v_lshl_add_u64 v[10:11], v[8:9], 1, s[6:7]
	v_lshl_add_u64 v[8:9], v[12:13], 1, s[4:5]
	v_cmp_gt_u32_e32 vcc, s15, v12
	s_mov_b32 s2, 0x5040100
	v_mov_b32_e32 v7, s10
	v_cndmask_b32_e32 v9, v11, v9, vcc
	v_cndmask_b32_e32 v8, v10, v8, vcc
	global_load_ushort v1, v[8:9], off
	s_waitcnt vmcnt(0)
	v_perm_b32 v5, v1, v5, s2
.LBB1852_19:
	s_or_b64 exec, exec, s[8:9]
	s_load_dwordx2 s[20:21], s[0:1], 0x10
	v_lshlrev_b32_e32 v1, 3, v0
	v_min_u32_e32 v13, v7, v1
	v_sub_u32_e64 v12, v13, s13 clamp
	v_min_u32_e32 v14, s15, v13
	s_waitcnt vmcnt(0)
	v_lshrrev_b32_e32 v8, 16, v2
	v_lshrrev_b32_e32 v9, 16, v3
	;; [unrolled: 1-line block ×4, first 2 shown]
	v_cmp_lt_u32_e32 vcc, v12, v14
	ds_write_b16 v6, v2
	ds_write_b16 v6, v8 offset:256
	ds_write_b16 v6, v3 offset:512
	;; [unrolled: 1-line block ×7, first 2 shown]
	s_waitcnt lgkmcnt(0)
	s_barrier
	s_and_saveexec_b64 s[0:1], vcc
	s_cbranch_execz .LBB1852_23
; %bb.20:
	v_lshlrev_b32_e32 v15, 1, v13
	v_lshl_add_u32 v15, s15, 1, v15
	s_mov_b64 s[2:3], 0
.LBB1852_21:                            ; =>This Inner Loop Header: Depth=1
	v_add_u32_e32 v16, v14, v12
	v_lshrrev_b32_e32 v17, 1, v16
	v_not_b32_e32 v18, v17
	v_and_b32_e32 v16, -2, v16
	v_lshl_add_u32 v18, v18, 1, v15
	ds_read_u16 v16, v16
	ds_read_u16 v18, v18
	v_add_u32_e32 v19, 1, v17
	s_waitcnt lgkmcnt(0)
	v_cmp_gt_i16_e32 vcc, v16, v18
	s_nop 1
	v_cndmask_b32_e32 v14, v14, v17, vcc
	v_cndmask_b32_e32 v12, v19, v12, vcc
	v_cmp_ge_u32_e32 vcc, v12, v14
	s_or_b64 s[2:3], vcc, s[2:3]
	s_andn2_b64 exec, exec, s[2:3]
	s_cbranch_execnz .LBB1852_21
; %bb.22:
	s_or_b64 exec, exec, s[2:3]
.LBB1852_23:
	s_or_b64 exec, exec, s[0:1]
	v_sub_u32_e32 v13, v13, v12
	v_add_u32_e32 v13, s15, v13
	v_cmp_ge_u32_e32 vcc, s15, v12
	v_cmp_le_u32_e64 s[0:1], v13, v7
	s_or_b64 s[0:1], vcc, s[0:1]
	s_and_saveexec_b64 s[22:23], s[0:1]
	s_cbranch_execz .LBB1852_29
; %bb.24:
	v_cmp_gt_u32_e32 vcc, s15, v12
                                        ; implicit-def: $vgpr2
	s_and_saveexec_b64 s[0:1], vcc
	s_cbranch_execz .LBB1852_26
; %bb.25:
	v_lshlrev_b32_e32 v2, 1, v12
	ds_read_u16 v2, v2
.LBB1852_26:
	s_or_b64 exec, exec, s[0:1]
	v_cmp_ge_u32_e64 s[0:1], v13, v7
	v_cmp_lt_u32_e64 s[2:3], v13, v7
                                        ; implicit-def: $vgpr3
	s_and_saveexec_b64 s[4:5], s[2:3]
	s_cbranch_execz .LBB1852_28
; %bb.27:
	v_lshlrev_b32_e32 v3, 1, v13
	ds_read_u16 v3, v3
.LBB1852_28:
	s_or_b64 exec, exec, s[4:5]
	s_waitcnt lgkmcnt(0)
	v_cmp_le_i16_e64 s[2:3], v2, v3
	s_and_b64 s[2:3], vcc, s[2:3]
	s_or_b64 vcc, s[0:1], s[2:3]
	v_mov_b32_e32 v5, s15
	v_cndmask_b32_e32 v4, v13, v12, vcc
	v_cndmask_b32_e32 v8, v7, v5, vcc
	v_add_u32_e32 v4, 1, v4
	v_add_u32_e32 v8, -1, v8
	v_min_u32_e32 v8, v4, v8
	v_lshlrev_b32_e32 v8, 1, v8
	ds_read_u16 v8, v8
	v_cndmask_b32_e32 v10, v4, v13, vcc
	v_cndmask_b32_e32 v4, v12, v4, vcc
	v_cmp_gt_u32_e64 s[2:3], s15, v4
	v_cmp_ge_u32_e64 s[0:1], v10, v7
	s_waitcnt lgkmcnt(0)
	v_cndmask_b32_e32 v9, v8, v3, vcc
	v_cndmask_b32_e32 v8, v2, v8, vcc
	v_cmp_le_i16_e64 s[4:5], v8, v9
	s_and_b64 s[2:3], s[2:3], s[4:5]
	s_or_b64 s[0:1], s[0:1], s[2:3]
	v_cndmask_b32_e64 v11, v10, v4, s[0:1]
	v_cndmask_b32_e64 v12, v7, v5, s[0:1]
	v_add_u32_e32 v11, 1, v11
	v_add_u32_e32 v12, -1, v12
	v_min_u32_e32 v12, v11, v12
	v_lshlrev_b32_e32 v12, 1, v12
	ds_read_u16 v12, v12
	v_cndmask_b32_e64 v4, v4, v11, s[0:1]
	v_cndmask_b32_e64 v10, v11, v10, s[0:1]
	v_cmp_gt_u32_e64 s[4:5], s15, v4
	v_cmp_ge_u32_e64 s[2:3], v10, v7
	s_waitcnt lgkmcnt(0)
	v_cndmask_b32_e64 v13, v12, v9, s[0:1]
	v_cndmask_b32_e64 v12, v8, v12, s[0:1]
	v_cmp_le_i16_e64 s[6:7], v12, v13
	s_and_b64 s[4:5], s[4:5], s[6:7]
	s_or_b64 s[2:3], s[2:3], s[4:5]
	v_cndmask_b32_e64 v11, v10, v4, s[2:3]
	v_cndmask_b32_e64 v14, v7, v5, s[2:3]
	v_add_u32_e32 v11, 1, v11
	v_add_u32_e32 v14, -1, v14
	v_min_u32_e32 v14, v11, v14
	v_lshlrev_b32_e32 v14, 1, v14
	ds_read_u16 v14, v14
	v_cndmask_b32_e64 v4, v4, v11, s[2:3]
	v_cndmask_b32_e64 v10, v11, v10, s[2:3]
	v_cmp_gt_u32_e64 s[6:7], s15, v4
	v_cmp_ge_u32_e64 s[4:5], v10, v7
	s_waitcnt lgkmcnt(0)
	v_cndmask_b32_e64 v15, v14, v13, s[2:3]
	v_cndmask_b32_e64 v14, v12, v14, s[2:3]
	;; [unrolled: 17-line block ×4, first 2 shown]
	v_cmp_le_i16_e64 s[12:13], v18, v19
	s_and_b64 s[10:11], s[10:11], s[12:13]
	s_or_b64 s[8:9], s[8:9], s[10:11]
	v_cndmask_b32_e64 v11, v10, v4, s[8:9]
	v_cndmask_b32_e64 v20, v7, v5, s[8:9]
	v_add_u32_e32 v11, 1, v11
	v_add_u32_e32 v20, -1, v20
	v_min_u32_e32 v20, v11, v20
	v_lshlrev_b32_e32 v20, 1, v20
	ds_read_u16 v20, v20
	v_cndmask_b32_e32 v2, v3, v2, vcc
	v_cndmask_b32_e64 v3, v13, v12, s[2:3]
	v_cndmask_b32_e64 v8, v9, v8, s[0:1]
	;; [unrolled: 1-line block ×3, first 2 shown]
	s_waitcnt lgkmcnt(0)
	v_cndmask_b32_e64 v12, v20, v19, s[8:9]
	v_cndmask_b32_e64 v13, v18, v20, s[8:9]
	;; [unrolled: 1-line block ×4, first 2 shown]
	v_cmp_gt_u32_e64 s[0:1], s15, v11
	v_cmp_le_i16_e64 s[2:3], v13, v12
	v_cmp_ge_u32_e32 vcc, v20, v7
	s_and_b64 s[0:1], s[0:1], s[2:3]
	s_or_b64 vcc, vcc, s[0:1]
	v_cndmask_b32_e32 v4, v20, v11, vcc
	v_cndmask_b32_e32 v5, v7, v5, vcc
	v_add_u32_e32 v21, 1, v4
	v_add_u32_e32 v4, -1, v5
	v_min_u32_e32 v4, v21, v4
	v_lshlrev_b32_e32 v4, 1, v4
	ds_read_u16 v22, v4
	v_cndmask_b32_e32 v5, v12, v13, vcc
	v_cndmask_b32_e32 v11, v11, v21, vcc
	;; [unrolled: 1-line block ×3, first 2 shown]
	v_cmp_gt_u32_e64 s[0:1], s15, v11
	s_waitcnt lgkmcnt(0)
	v_cndmask_b32_e32 v12, v22, v12, vcc
	v_cndmask_b32_e32 v13, v13, v22, vcc
	v_cmp_le_i16_e64 s[2:3], v13, v12
	v_cmp_ge_u32_e32 vcc, v14, v7
	s_and_b64 s[0:1], s[0:1], s[2:3]
	s_or_b64 vcc, vcc, s[0:1]
	v_cndmask_b32_e64 v4, v17, v16, s[6:7]
	v_cndmask_b32_e64 v10, v19, v18, s[8:9]
	v_cndmask_b32_e32 v11, v12, v13, vcc
.LBB1852_29:
	s_or_b64 exec, exec, s[22:23]
	v_lshrrev_b32_e32 v7, 2, v0
	v_and_b32_e32 v7, 30, v7
	s_mov_b32 s2, 0x5040100
	v_add_lshl_u32 v1, v7, v1, 1
	v_perm_b32 v3, v9, v3, s2
	v_perm_b32 v2, v8, v2, s2
	s_barrier
	s_barrier
	ds_write2_b32 v1, v2, v3 offset1:1
	v_perm_b32 v2, v11, v5, s2
	v_perm_b32 v3, v10, v4, s2
	ds_write2_b32 v1, v3, v2 offset0:2 offset1:3
	v_lshrrev_b32_e32 v1, 4, v0
	v_and_b32_e32 v1, 4, v1
	v_or_b32_e32 v11, 0x80, v0
	v_add_u32_e32 v12, v6, v1
	v_lshrrev_b32_e32 v1, 4, v11
	v_and_b32_e32 v1, 12, v1
	v_or_b32_e32 v10, 0x100, v0
	v_add_u32_e32 v13, v6, v1
	;; [unrolled: 4-line block ×6, first 2 shown]
	v_lshrrev_b32_e32 v1, 4, v4
	s_mov_b32 s17, 0
	v_and_b32_e32 v1, 52, v1
	s_lshl_b64 s[0:1], s[16:17], 1
	v_add_u32_e32 v18, v6, v1
	v_or_b32_e32 v1, 0x380, v0
	s_add_u32 s0, s20, s0
	v_lshrrev_b32_e32 v2, 4, v1
	s_addc_u32 s1, s21, s1
	v_and_b32_e32 v2, 60, v2
	v_mov_b32_e32 v7, 0
	v_add_u32_e32 v19, v6, v2
	v_lshl_add_u64 v[2:3], s[0:1], 0, v[6:7]
	s_and_b64 vcc, exec, s[18:19]
	s_waitcnt lgkmcnt(0)
	s_cbranch_vccz .LBB1852_31
; %bb.30:
	s_barrier
	ds_read_u16 v7, v12
	ds_read_u16 v20, v13 offset:256
	ds_read_u16 v21, v14 offset:512
	;; [unrolled: 1-line block ×7, first 2 shown]
	s_waitcnt lgkmcnt(7)
	global_store_short v[2:3], v7, off
	s_waitcnt lgkmcnt(6)
	global_store_short v[2:3], v20, off offset:256
	s_waitcnt lgkmcnt(5)
	global_store_short v[2:3], v21, off offset:512
	;; [unrolled: 2-line block ×6, first 2 shown]
	s_mov_b64 s[0:1], -1
	s_cbranch_execz .LBB1852_32
	s_branch .LBB1852_41
.LBB1852_31:
	s_mov_b64 s[0:1], 0
                                        ; implicit-def: $vgpr6
.LBB1852_32:
	s_barrier
	s_waitcnt lgkmcnt(0)
	ds_read_u16 v21, v13 offset:256
	ds_read_u16 v20, v14 offset:512
	;; [unrolled: 1-line block ×7, first 2 shown]
	s_sub_i32 s2, s14, s16
	v_cmp_gt_u32_e32 vcc, s2, v0
	s_and_saveexec_b64 s[0:1], vcc
	s_cbranch_execnz .LBB1852_46
; %bb.33:
	s_or_b64 exec, exec, s[0:1]
	v_cmp_gt_u32_e32 vcc, s2, v11
	s_and_saveexec_b64 s[0:1], vcc
	s_cbranch_execnz .LBB1852_47
.LBB1852_34:
	s_or_b64 exec, exec, s[0:1]
	v_cmp_gt_u32_e32 vcc, s2, v10
	s_and_saveexec_b64 s[0:1], vcc
	s_cbranch_execnz .LBB1852_48
.LBB1852_35:
	s_or_b64 exec, exec, s[0:1]
	v_cmp_gt_u32_e32 vcc, s2, v9
	s_and_saveexec_b64 s[0:1], vcc
	s_cbranch_execnz .LBB1852_49
.LBB1852_36:
	s_or_b64 exec, exec, s[0:1]
	v_cmp_gt_u32_e32 vcc, s2, v8
	s_and_saveexec_b64 s[0:1], vcc
	s_cbranch_execnz .LBB1852_50
.LBB1852_37:
	s_or_b64 exec, exec, s[0:1]
	v_cmp_gt_u32_e32 vcc, s2, v5
	s_and_saveexec_b64 s[0:1], vcc
	s_cbranch_execnz .LBB1852_51
.LBB1852_38:
	s_or_b64 exec, exec, s[0:1]
	v_cmp_gt_u32_e32 vcc, s2, v4
	s_and_saveexec_b64 s[0:1], vcc
	s_cbranch_execz .LBB1852_40
.LBB1852_39:
	s_waitcnt lgkmcnt(1)
	global_store_short v[2:3], v7, off offset:1536
.LBB1852_40:
	s_or_b64 exec, exec, s[0:1]
	v_cmp_gt_u32_e64 s[0:1], s2, v1
.LBB1852_41:
	s_and_saveexec_b64 s[2:3], s[0:1]
	s_cbranch_execz .LBB1852_43
; %bb.42:
	s_waitcnt lgkmcnt(0)
	global_store_short v[2:3], v6, off offset:1792
.LBB1852_43:
	s_endpgm
.LBB1852_44:
	v_mov_b32_e32 v7, 0
	v_subrev_u32_e32 v4, s15, v0
	s_waitcnt vmcnt(0)
	v_mov_b32_e32 v5, v7
	v_lshl_add_u64 v[2:3], s[4:5], 0, v[6:7]
	v_lshl_add_u64 v[4:5], v[4:5], 1, s[6:7]
	v_cmp_gt_u32_e32 vcc, s15, v0
	s_nop 1
	v_cndmask_b32_e32 v3, v5, v3, vcc
	v_cndmask_b32_e32 v2, v4, v2, vcc
	global_load_ushort v2, v[2:3], off
	s_or_b64 exec, exec, s[2:3]
	v_cmp_gt_u32_e32 vcc, s10, v10
	s_and_saveexec_b64 s[2:3], vcc
	s_cbranch_execz .LBB1852_6
.LBB1852_45:
	v_mov_b32_e32 v11, 0
	v_lshl_add_u64 v[12:13], v[10:11], 1, s[4:5]
	v_cmp_gt_u32_e32 vcc, s15, v10
	v_subrev_u32_e32 v10, s15, v10
	v_lshl_add_u64 v[10:11], v[10:11], 1, s[6:7]
	v_cndmask_b32_e32 v11, v11, v13, vcc
	v_cndmask_b32_e32 v10, v10, v12, vcc
	global_load_ushort v7, v[10:11], off
	s_mov_b32 s8, 0x5040100
	s_waitcnt vmcnt(0)
	v_perm_b32 v2, v7, v2, s8
	s_or_b64 exec, exec, s[2:3]
	v_cmp_gt_u32_e32 vcc, s10, v8
	s_and_saveexec_b64 s[2:3], vcc
	s_cbranch_execnz .LBB1852_7
	s_branch .LBB1852_8
.LBB1852_46:
	ds_read_u16 v0, v12
	s_waitcnt lgkmcnt(0)
	global_store_short v[2:3], v0, off
	s_or_b64 exec, exec, s[0:1]
	v_cmp_gt_u32_e32 vcc, s2, v11
	s_and_saveexec_b64 s[0:1], vcc
	s_cbranch_execz .LBB1852_34
.LBB1852_47:
	s_waitcnt lgkmcnt(6)
	global_store_short v[2:3], v21, off offset:256
	s_or_b64 exec, exec, s[0:1]
	v_cmp_gt_u32_e32 vcc, s2, v10
	s_and_saveexec_b64 s[0:1], vcc
	s_cbranch_execz .LBB1852_35
.LBB1852_48:
	s_waitcnt lgkmcnt(5)
	global_store_short v[2:3], v20, off offset:512
	s_or_b64 exec, exec, s[0:1]
	v_cmp_gt_u32_e32 vcc, s2, v9
	s_and_saveexec_b64 s[0:1], vcc
	s_cbranch_execz .LBB1852_36
.LBB1852_49:
	s_waitcnt lgkmcnt(4)
	global_store_short v[2:3], v15, off offset:768
	s_or_b64 exec, exec, s[0:1]
	v_cmp_gt_u32_e32 vcc, s2, v8
	s_and_saveexec_b64 s[0:1], vcc
	s_cbranch_execz .LBB1852_37
.LBB1852_50:
	s_waitcnt lgkmcnt(3)
	global_store_short v[2:3], v14, off offset:1024
	s_or_b64 exec, exec, s[0:1]
	v_cmp_gt_u32_e32 vcc, s2, v5
	s_and_saveexec_b64 s[0:1], vcc
	s_cbranch_execz .LBB1852_38
.LBB1852_51:
	s_waitcnt lgkmcnt(2)
	global_store_short v[2:3], v13, off offset:1280
	s_or_b64 exec, exec, s[0:1]
	v_cmp_gt_u32_e32 vcc, s2, v4
	s_and_saveexec_b64 s[0:1], vcc
	s_cbranch_execnz .LBB1852_39
	s_branch .LBB1852_40
	.section	.rodata,"a",@progbits
	.p2align	6, 0x0
	.amdhsa_kernel _ZN7rocprim17ROCPRIM_400000_NS6detail17trampoline_kernelINS0_14default_configENS1_38merge_sort_block_merge_config_selectorIsNS0_10empty_typeEEEZZNS1_27merge_sort_block_merge_implIS3_N6thrust23THRUST_200600_302600_NS6detail15normal_iteratorINS9_10device_ptrIsEEEEPS5_jNS1_19radix_merge_compareILb0ELb0EsNS0_19identity_decomposerEEEEE10hipError_tT0_T1_T2_jT3_P12ihipStream_tbPNSt15iterator_traitsISK_E10value_typeEPNSQ_ISL_E10value_typeEPSM_NS1_7vsmem_tEENKUlT_SK_SL_SM_E_clISE_PsSF_SF_EESJ_SZ_SK_SL_SM_EUlSZ_E0_NS1_11comp_targetILNS1_3genE5ELNS1_11target_archE942ELNS1_3gpuE9ELNS1_3repE0EEENS1_38merge_mergepath_config_static_selectorELNS0_4arch9wavefront6targetE1EEEvSL_
		.amdhsa_group_segment_fixed_size 2112
		.amdhsa_private_segment_fixed_size 0
		.amdhsa_kernarg_size 320
		.amdhsa_user_sgpr_count 2
		.amdhsa_user_sgpr_dispatch_ptr 0
		.amdhsa_user_sgpr_queue_ptr 0
		.amdhsa_user_sgpr_kernarg_segment_ptr 1
		.amdhsa_user_sgpr_dispatch_id 0
		.amdhsa_user_sgpr_kernarg_preload_length 0
		.amdhsa_user_sgpr_kernarg_preload_offset 0
		.amdhsa_user_sgpr_private_segment_size 0
		.amdhsa_uses_dynamic_stack 0
		.amdhsa_enable_private_segment 0
		.amdhsa_system_sgpr_workgroup_id_x 1
		.amdhsa_system_sgpr_workgroup_id_y 1
		.amdhsa_system_sgpr_workgroup_id_z 1
		.amdhsa_system_sgpr_workgroup_info 0
		.amdhsa_system_vgpr_workitem_id 0
		.amdhsa_next_free_vgpr 26
		.amdhsa_next_free_sgpr 24
		.amdhsa_accum_offset 28
		.amdhsa_reserve_vcc 1
		.amdhsa_float_round_mode_32 0
		.amdhsa_float_round_mode_16_64 0
		.amdhsa_float_denorm_mode_32 3
		.amdhsa_float_denorm_mode_16_64 3
		.amdhsa_dx10_clamp 1
		.amdhsa_ieee_mode 1
		.amdhsa_fp16_overflow 0
		.amdhsa_tg_split 0
		.amdhsa_exception_fp_ieee_invalid_op 0
		.amdhsa_exception_fp_denorm_src 0
		.amdhsa_exception_fp_ieee_div_zero 0
		.amdhsa_exception_fp_ieee_overflow 0
		.amdhsa_exception_fp_ieee_underflow 0
		.amdhsa_exception_fp_ieee_inexact 0
		.amdhsa_exception_int_div_zero 0
	.end_amdhsa_kernel
	.section	.text._ZN7rocprim17ROCPRIM_400000_NS6detail17trampoline_kernelINS0_14default_configENS1_38merge_sort_block_merge_config_selectorIsNS0_10empty_typeEEEZZNS1_27merge_sort_block_merge_implIS3_N6thrust23THRUST_200600_302600_NS6detail15normal_iteratorINS9_10device_ptrIsEEEEPS5_jNS1_19radix_merge_compareILb0ELb0EsNS0_19identity_decomposerEEEEE10hipError_tT0_T1_T2_jT3_P12ihipStream_tbPNSt15iterator_traitsISK_E10value_typeEPNSQ_ISL_E10value_typeEPSM_NS1_7vsmem_tEENKUlT_SK_SL_SM_E_clISE_PsSF_SF_EESJ_SZ_SK_SL_SM_EUlSZ_E0_NS1_11comp_targetILNS1_3genE5ELNS1_11target_archE942ELNS1_3gpuE9ELNS1_3repE0EEENS1_38merge_mergepath_config_static_selectorELNS0_4arch9wavefront6targetE1EEEvSL_,"axG",@progbits,_ZN7rocprim17ROCPRIM_400000_NS6detail17trampoline_kernelINS0_14default_configENS1_38merge_sort_block_merge_config_selectorIsNS0_10empty_typeEEEZZNS1_27merge_sort_block_merge_implIS3_N6thrust23THRUST_200600_302600_NS6detail15normal_iteratorINS9_10device_ptrIsEEEEPS5_jNS1_19radix_merge_compareILb0ELb0EsNS0_19identity_decomposerEEEEE10hipError_tT0_T1_T2_jT3_P12ihipStream_tbPNSt15iterator_traitsISK_E10value_typeEPNSQ_ISL_E10value_typeEPSM_NS1_7vsmem_tEENKUlT_SK_SL_SM_E_clISE_PsSF_SF_EESJ_SZ_SK_SL_SM_EUlSZ_E0_NS1_11comp_targetILNS1_3genE5ELNS1_11target_archE942ELNS1_3gpuE9ELNS1_3repE0EEENS1_38merge_mergepath_config_static_selectorELNS0_4arch9wavefront6targetE1EEEvSL_,comdat
.Lfunc_end1852:
	.size	_ZN7rocprim17ROCPRIM_400000_NS6detail17trampoline_kernelINS0_14default_configENS1_38merge_sort_block_merge_config_selectorIsNS0_10empty_typeEEEZZNS1_27merge_sort_block_merge_implIS3_N6thrust23THRUST_200600_302600_NS6detail15normal_iteratorINS9_10device_ptrIsEEEEPS5_jNS1_19radix_merge_compareILb0ELb0EsNS0_19identity_decomposerEEEEE10hipError_tT0_T1_T2_jT3_P12ihipStream_tbPNSt15iterator_traitsISK_E10value_typeEPNSQ_ISL_E10value_typeEPSM_NS1_7vsmem_tEENKUlT_SK_SL_SM_E_clISE_PsSF_SF_EESJ_SZ_SK_SL_SM_EUlSZ_E0_NS1_11comp_targetILNS1_3genE5ELNS1_11target_archE942ELNS1_3gpuE9ELNS1_3repE0EEENS1_38merge_mergepath_config_static_selectorELNS0_4arch9wavefront6targetE1EEEvSL_, .Lfunc_end1852-_ZN7rocprim17ROCPRIM_400000_NS6detail17trampoline_kernelINS0_14default_configENS1_38merge_sort_block_merge_config_selectorIsNS0_10empty_typeEEEZZNS1_27merge_sort_block_merge_implIS3_N6thrust23THRUST_200600_302600_NS6detail15normal_iteratorINS9_10device_ptrIsEEEEPS5_jNS1_19radix_merge_compareILb0ELb0EsNS0_19identity_decomposerEEEEE10hipError_tT0_T1_T2_jT3_P12ihipStream_tbPNSt15iterator_traitsISK_E10value_typeEPNSQ_ISL_E10value_typeEPSM_NS1_7vsmem_tEENKUlT_SK_SL_SM_E_clISE_PsSF_SF_EESJ_SZ_SK_SL_SM_EUlSZ_E0_NS1_11comp_targetILNS1_3genE5ELNS1_11target_archE942ELNS1_3gpuE9ELNS1_3repE0EEENS1_38merge_mergepath_config_static_selectorELNS0_4arch9wavefront6targetE1EEEvSL_
                                        ; -- End function
	.section	.AMDGPU.csdata,"",@progbits
; Kernel info:
; codeLenInByte = 3436
; NumSgprs: 30
; NumVgprs: 26
; NumAgprs: 0
; TotalNumVgprs: 26
; ScratchSize: 0
; MemoryBound: 0
; FloatMode: 240
; IeeeMode: 1
; LDSByteSize: 2112 bytes/workgroup (compile time only)
; SGPRBlocks: 3
; VGPRBlocks: 3
; NumSGPRsForWavesPerEU: 30
; NumVGPRsForWavesPerEU: 26
; AccumOffset: 28
; Occupancy: 8
; WaveLimiterHint : 1
; COMPUTE_PGM_RSRC2:SCRATCH_EN: 0
; COMPUTE_PGM_RSRC2:USER_SGPR: 2
; COMPUTE_PGM_RSRC2:TRAP_HANDLER: 0
; COMPUTE_PGM_RSRC2:TGID_X_EN: 1
; COMPUTE_PGM_RSRC2:TGID_Y_EN: 1
; COMPUTE_PGM_RSRC2:TGID_Z_EN: 1
; COMPUTE_PGM_RSRC2:TIDIG_COMP_CNT: 0
; COMPUTE_PGM_RSRC3_GFX90A:ACCUM_OFFSET: 6
; COMPUTE_PGM_RSRC3_GFX90A:TG_SPLIT: 0
	.section	.text._ZN7rocprim17ROCPRIM_400000_NS6detail17trampoline_kernelINS0_14default_configENS1_38merge_sort_block_merge_config_selectorIsNS0_10empty_typeEEEZZNS1_27merge_sort_block_merge_implIS3_N6thrust23THRUST_200600_302600_NS6detail15normal_iteratorINS9_10device_ptrIsEEEEPS5_jNS1_19radix_merge_compareILb0ELb0EsNS0_19identity_decomposerEEEEE10hipError_tT0_T1_T2_jT3_P12ihipStream_tbPNSt15iterator_traitsISK_E10value_typeEPNSQ_ISL_E10value_typeEPSM_NS1_7vsmem_tEENKUlT_SK_SL_SM_E_clISE_PsSF_SF_EESJ_SZ_SK_SL_SM_EUlSZ_E0_NS1_11comp_targetILNS1_3genE4ELNS1_11target_archE910ELNS1_3gpuE8ELNS1_3repE0EEENS1_38merge_mergepath_config_static_selectorELNS0_4arch9wavefront6targetE1EEEvSL_,"axG",@progbits,_ZN7rocprim17ROCPRIM_400000_NS6detail17trampoline_kernelINS0_14default_configENS1_38merge_sort_block_merge_config_selectorIsNS0_10empty_typeEEEZZNS1_27merge_sort_block_merge_implIS3_N6thrust23THRUST_200600_302600_NS6detail15normal_iteratorINS9_10device_ptrIsEEEEPS5_jNS1_19radix_merge_compareILb0ELb0EsNS0_19identity_decomposerEEEEE10hipError_tT0_T1_T2_jT3_P12ihipStream_tbPNSt15iterator_traitsISK_E10value_typeEPNSQ_ISL_E10value_typeEPSM_NS1_7vsmem_tEENKUlT_SK_SL_SM_E_clISE_PsSF_SF_EESJ_SZ_SK_SL_SM_EUlSZ_E0_NS1_11comp_targetILNS1_3genE4ELNS1_11target_archE910ELNS1_3gpuE8ELNS1_3repE0EEENS1_38merge_mergepath_config_static_selectorELNS0_4arch9wavefront6targetE1EEEvSL_,comdat
	.protected	_ZN7rocprim17ROCPRIM_400000_NS6detail17trampoline_kernelINS0_14default_configENS1_38merge_sort_block_merge_config_selectorIsNS0_10empty_typeEEEZZNS1_27merge_sort_block_merge_implIS3_N6thrust23THRUST_200600_302600_NS6detail15normal_iteratorINS9_10device_ptrIsEEEEPS5_jNS1_19radix_merge_compareILb0ELb0EsNS0_19identity_decomposerEEEEE10hipError_tT0_T1_T2_jT3_P12ihipStream_tbPNSt15iterator_traitsISK_E10value_typeEPNSQ_ISL_E10value_typeEPSM_NS1_7vsmem_tEENKUlT_SK_SL_SM_E_clISE_PsSF_SF_EESJ_SZ_SK_SL_SM_EUlSZ_E0_NS1_11comp_targetILNS1_3genE4ELNS1_11target_archE910ELNS1_3gpuE8ELNS1_3repE0EEENS1_38merge_mergepath_config_static_selectorELNS0_4arch9wavefront6targetE1EEEvSL_ ; -- Begin function _ZN7rocprim17ROCPRIM_400000_NS6detail17trampoline_kernelINS0_14default_configENS1_38merge_sort_block_merge_config_selectorIsNS0_10empty_typeEEEZZNS1_27merge_sort_block_merge_implIS3_N6thrust23THRUST_200600_302600_NS6detail15normal_iteratorINS9_10device_ptrIsEEEEPS5_jNS1_19radix_merge_compareILb0ELb0EsNS0_19identity_decomposerEEEEE10hipError_tT0_T1_T2_jT3_P12ihipStream_tbPNSt15iterator_traitsISK_E10value_typeEPNSQ_ISL_E10value_typeEPSM_NS1_7vsmem_tEENKUlT_SK_SL_SM_E_clISE_PsSF_SF_EESJ_SZ_SK_SL_SM_EUlSZ_E0_NS1_11comp_targetILNS1_3genE4ELNS1_11target_archE910ELNS1_3gpuE8ELNS1_3repE0EEENS1_38merge_mergepath_config_static_selectorELNS0_4arch9wavefront6targetE1EEEvSL_
	.globl	_ZN7rocprim17ROCPRIM_400000_NS6detail17trampoline_kernelINS0_14default_configENS1_38merge_sort_block_merge_config_selectorIsNS0_10empty_typeEEEZZNS1_27merge_sort_block_merge_implIS3_N6thrust23THRUST_200600_302600_NS6detail15normal_iteratorINS9_10device_ptrIsEEEEPS5_jNS1_19radix_merge_compareILb0ELb0EsNS0_19identity_decomposerEEEEE10hipError_tT0_T1_T2_jT3_P12ihipStream_tbPNSt15iterator_traitsISK_E10value_typeEPNSQ_ISL_E10value_typeEPSM_NS1_7vsmem_tEENKUlT_SK_SL_SM_E_clISE_PsSF_SF_EESJ_SZ_SK_SL_SM_EUlSZ_E0_NS1_11comp_targetILNS1_3genE4ELNS1_11target_archE910ELNS1_3gpuE8ELNS1_3repE0EEENS1_38merge_mergepath_config_static_selectorELNS0_4arch9wavefront6targetE1EEEvSL_
	.p2align	8
	.type	_ZN7rocprim17ROCPRIM_400000_NS6detail17trampoline_kernelINS0_14default_configENS1_38merge_sort_block_merge_config_selectorIsNS0_10empty_typeEEEZZNS1_27merge_sort_block_merge_implIS3_N6thrust23THRUST_200600_302600_NS6detail15normal_iteratorINS9_10device_ptrIsEEEEPS5_jNS1_19radix_merge_compareILb0ELb0EsNS0_19identity_decomposerEEEEE10hipError_tT0_T1_T2_jT3_P12ihipStream_tbPNSt15iterator_traitsISK_E10value_typeEPNSQ_ISL_E10value_typeEPSM_NS1_7vsmem_tEENKUlT_SK_SL_SM_E_clISE_PsSF_SF_EESJ_SZ_SK_SL_SM_EUlSZ_E0_NS1_11comp_targetILNS1_3genE4ELNS1_11target_archE910ELNS1_3gpuE8ELNS1_3repE0EEENS1_38merge_mergepath_config_static_selectorELNS0_4arch9wavefront6targetE1EEEvSL_,@function
_ZN7rocprim17ROCPRIM_400000_NS6detail17trampoline_kernelINS0_14default_configENS1_38merge_sort_block_merge_config_selectorIsNS0_10empty_typeEEEZZNS1_27merge_sort_block_merge_implIS3_N6thrust23THRUST_200600_302600_NS6detail15normal_iteratorINS9_10device_ptrIsEEEEPS5_jNS1_19radix_merge_compareILb0ELb0EsNS0_19identity_decomposerEEEEE10hipError_tT0_T1_T2_jT3_P12ihipStream_tbPNSt15iterator_traitsISK_E10value_typeEPNSQ_ISL_E10value_typeEPSM_NS1_7vsmem_tEENKUlT_SK_SL_SM_E_clISE_PsSF_SF_EESJ_SZ_SK_SL_SM_EUlSZ_E0_NS1_11comp_targetILNS1_3genE4ELNS1_11target_archE910ELNS1_3gpuE8ELNS1_3repE0EEENS1_38merge_mergepath_config_static_selectorELNS0_4arch9wavefront6targetE1EEEvSL_: ; @_ZN7rocprim17ROCPRIM_400000_NS6detail17trampoline_kernelINS0_14default_configENS1_38merge_sort_block_merge_config_selectorIsNS0_10empty_typeEEEZZNS1_27merge_sort_block_merge_implIS3_N6thrust23THRUST_200600_302600_NS6detail15normal_iteratorINS9_10device_ptrIsEEEEPS5_jNS1_19radix_merge_compareILb0ELb0EsNS0_19identity_decomposerEEEEE10hipError_tT0_T1_T2_jT3_P12ihipStream_tbPNSt15iterator_traitsISK_E10value_typeEPNSQ_ISL_E10value_typeEPSM_NS1_7vsmem_tEENKUlT_SK_SL_SM_E_clISE_PsSF_SF_EESJ_SZ_SK_SL_SM_EUlSZ_E0_NS1_11comp_targetILNS1_3genE4ELNS1_11target_archE910ELNS1_3gpuE8ELNS1_3repE0EEENS1_38merge_mergepath_config_static_selectorELNS0_4arch9wavefront6targetE1EEEvSL_
; %bb.0:
	.section	.rodata,"a",@progbits
	.p2align	6, 0x0
	.amdhsa_kernel _ZN7rocprim17ROCPRIM_400000_NS6detail17trampoline_kernelINS0_14default_configENS1_38merge_sort_block_merge_config_selectorIsNS0_10empty_typeEEEZZNS1_27merge_sort_block_merge_implIS3_N6thrust23THRUST_200600_302600_NS6detail15normal_iteratorINS9_10device_ptrIsEEEEPS5_jNS1_19radix_merge_compareILb0ELb0EsNS0_19identity_decomposerEEEEE10hipError_tT0_T1_T2_jT3_P12ihipStream_tbPNSt15iterator_traitsISK_E10value_typeEPNSQ_ISL_E10value_typeEPSM_NS1_7vsmem_tEENKUlT_SK_SL_SM_E_clISE_PsSF_SF_EESJ_SZ_SK_SL_SM_EUlSZ_E0_NS1_11comp_targetILNS1_3genE4ELNS1_11target_archE910ELNS1_3gpuE8ELNS1_3repE0EEENS1_38merge_mergepath_config_static_selectorELNS0_4arch9wavefront6targetE1EEEvSL_
		.amdhsa_group_segment_fixed_size 0
		.amdhsa_private_segment_fixed_size 0
		.amdhsa_kernarg_size 64
		.amdhsa_user_sgpr_count 2
		.amdhsa_user_sgpr_dispatch_ptr 0
		.amdhsa_user_sgpr_queue_ptr 0
		.amdhsa_user_sgpr_kernarg_segment_ptr 1
		.amdhsa_user_sgpr_dispatch_id 0
		.amdhsa_user_sgpr_kernarg_preload_length 0
		.amdhsa_user_sgpr_kernarg_preload_offset 0
		.amdhsa_user_sgpr_private_segment_size 0
		.amdhsa_uses_dynamic_stack 0
		.amdhsa_enable_private_segment 0
		.amdhsa_system_sgpr_workgroup_id_x 1
		.amdhsa_system_sgpr_workgroup_id_y 0
		.amdhsa_system_sgpr_workgroup_id_z 0
		.amdhsa_system_sgpr_workgroup_info 0
		.amdhsa_system_vgpr_workitem_id 0
		.amdhsa_next_free_vgpr 1
		.amdhsa_next_free_sgpr 0
		.amdhsa_accum_offset 4
		.amdhsa_reserve_vcc 0
		.amdhsa_float_round_mode_32 0
		.amdhsa_float_round_mode_16_64 0
		.amdhsa_float_denorm_mode_32 3
		.amdhsa_float_denorm_mode_16_64 3
		.amdhsa_dx10_clamp 1
		.amdhsa_ieee_mode 1
		.amdhsa_fp16_overflow 0
		.amdhsa_tg_split 0
		.amdhsa_exception_fp_ieee_invalid_op 0
		.amdhsa_exception_fp_denorm_src 0
		.amdhsa_exception_fp_ieee_div_zero 0
		.amdhsa_exception_fp_ieee_overflow 0
		.amdhsa_exception_fp_ieee_underflow 0
		.amdhsa_exception_fp_ieee_inexact 0
		.amdhsa_exception_int_div_zero 0
	.end_amdhsa_kernel
	.section	.text._ZN7rocprim17ROCPRIM_400000_NS6detail17trampoline_kernelINS0_14default_configENS1_38merge_sort_block_merge_config_selectorIsNS0_10empty_typeEEEZZNS1_27merge_sort_block_merge_implIS3_N6thrust23THRUST_200600_302600_NS6detail15normal_iteratorINS9_10device_ptrIsEEEEPS5_jNS1_19radix_merge_compareILb0ELb0EsNS0_19identity_decomposerEEEEE10hipError_tT0_T1_T2_jT3_P12ihipStream_tbPNSt15iterator_traitsISK_E10value_typeEPNSQ_ISL_E10value_typeEPSM_NS1_7vsmem_tEENKUlT_SK_SL_SM_E_clISE_PsSF_SF_EESJ_SZ_SK_SL_SM_EUlSZ_E0_NS1_11comp_targetILNS1_3genE4ELNS1_11target_archE910ELNS1_3gpuE8ELNS1_3repE0EEENS1_38merge_mergepath_config_static_selectorELNS0_4arch9wavefront6targetE1EEEvSL_,"axG",@progbits,_ZN7rocprim17ROCPRIM_400000_NS6detail17trampoline_kernelINS0_14default_configENS1_38merge_sort_block_merge_config_selectorIsNS0_10empty_typeEEEZZNS1_27merge_sort_block_merge_implIS3_N6thrust23THRUST_200600_302600_NS6detail15normal_iteratorINS9_10device_ptrIsEEEEPS5_jNS1_19radix_merge_compareILb0ELb0EsNS0_19identity_decomposerEEEEE10hipError_tT0_T1_T2_jT3_P12ihipStream_tbPNSt15iterator_traitsISK_E10value_typeEPNSQ_ISL_E10value_typeEPSM_NS1_7vsmem_tEENKUlT_SK_SL_SM_E_clISE_PsSF_SF_EESJ_SZ_SK_SL_SM_EUlSZ_E0_NS1_11comp_targetILNS1_3genE4ELNS1_11target_archE910ELNS1_3gpuE8ELNS1_3repE0EEENS1_38merge_mergepath_config_static_selectorELNS0_4arch9wavefront6targetE1EEEvSL_,comdat
.Lfunc_end1853:
	.size	_ZN7rocprim17ROCPRIM_400000_NS6detail17trampoline_kernelINS0_14default_configENS1_38merge_sort_block_merge_config_selectorIsNS0_10empty_typeEEEZZNS1_27merge_sort_block_merge_implIS3_N6thrust23THRUST_200600_302600_NS6detail15normal_iteratorINS9_10device_ptrIsEEEEPS5_jNS1_19radix_merge_compareILb0ELb0EsNS0_19identity_decomposerEEEEE10hipError_tT0_T1_T2_jT3_P12ihipStream_tbPNSt15iterator_traitsISK_E10value_typeEPNSQ_ISL_E10value_typeEPSM_NS1_7vsmem_tEENKUlT_SK_SL_SM_E_clISE_PsSF_SF_EESJ_SZ_SK_SL_SM_EUlSZ_E0_NS1_11comp_targetILNS1_3genE4ELNS1_11target_archE910ELNS1_3gpuE8ELNS1_3repE0EEENS1_38merge_mergepath_config_static_selectorELNS0_4arch9wavefront6targetE1EEEvSL_, .Lfunc_end1853-_ZN7rocprim17ROCPRIM_400000_NS6detail17trampoline_kernelINS0_14default_configENS1_38merge_sort_block_merge_config_selectorIsNS0_10empty_typeEEEZZNS1_27merge_sort_block_merge_implIS3_N6thrust23THRUST_200600_302600_NS6detail15normal_iteratorINS9_10device_ptrIsEEEEPS5_jNS1_19radix_merge_compareILb0ELb0EsNS0_19identity_decomposerEEEEE10hipError_tT0_T1_T2_jT3_P12ihipStream_tbPNSt15iterator_traitsISK_E10value_typeEPNSQ_ISL_E10value_typeEPSM_NS1_7vsmem_tEENKUlT_SK_SL_SM_E_clISE_PsSF_SF_EESJ_SZ_SK_SL_SM_EUlSZ_E0_NS1_11comp_targetILNS1_3genE4ELNS1_11target_archE910ELNS1_3gpuE8ELNS1_3repE0EEENS1_38merge_mergepath_config_static_selectorELNS0_4arch9wavefront6targetE1EEEvSL_
                                        ; -- End function
	.section	.AMDGPU.csdata,"",@progbits
; Kernel info:
; codeLenInByte = 0
; NumSgprs: 6
; NumVgprs: 0
; NumAgprs: 0
; TotalNumVgprs: 0
; ScratchSize: 0
; MemoryBound: 0
; FloatMode: 240
; IeeeMode: 1
; LDSByteSize: 0 bytes/workgroup (compile time only)
; SGPRBlocks: 0
; VGPRBlocks: 0
; NumSGPRsForWavesPerEU: 6
; NumVGPRsForWavesPerEU: 1
; AccumOffset: 4
; Occupancy: 8
; WaveLimiterHint : 0
; COMPUTE_PGM_RSRC2:SCRATCH_EN: 0
; COMPUTE_PGM_RSRC2:USER_SGPR: 2
; COMPUTE_PGM_RSRC2:TRAP_HANDLER: 0
; COMPUTE_PGM_RSRC2:TGID_X_EN: 1
; COMPUTE_PGM_RSRC2:TGID_Y_EN: 0
; COMPUTE_PGM_RSRC2:TGID_Z_EN: 0
; COMPUTE_PGM_RSRC2:TIDIG_COMP_CNT: 0
; COMPUTE_PGM_RSRC3_GFX90A:ACCUM_OFFSET: 0
; COMPUTE_PGM_RSRC3_GFX90A:TG_SPLIT: 0
	.section	.text._ZN7rocprim17ROCPRIM_400000_NS6detail17trampoline_kernelINS0_14default_configENS1_38merge_sort_block_merge_config_selectorIsNS0_10empty_typeEEEZZNS1_27merge_sort_block_merge_implIS3_N6thrust23THRUST_200600_302600_NS6detail15normal_iteratorINS9_10device_ptrIsEEEEPS5_jNS1_19radix_merge_compareILb0ELb0EsNS0_19identity_decomposerEEEEE10hipError_tT0_T1_T2_jT3_P12ihipStream_tbPNSt15iterator_traitsISK_E10value_typeEPNSQ_ISL_E10value_typeEPSM_NS1_7vsmem_tEENKUlT_SK_SL_SM_E_clISE_PsSF_SF_EESJ_SZ_SK_SL_SM_EUlSZ_E0_NS1_11comp_targetILNS1_3genE3ELNS1_11target_archE908ELNS1_3gpuE7ELNS1_3repE0EEENS1_38merge_mergepath_config_static_selectorELNS0_4arch9wavefront6targetE1EEEvSL_,"axG",@progbits,_ZN7rocprim17ROCPRIM_400000_NS6detail17trampoline_kernelINS0_14default_configENS1_38merge_sort_block_merge_config_selectorIsNS0_10empty_typeEEEZZNS1_27merge_sort_block_merge_implIS3_N6thrust23THRUST_200600_302600_NS6detail15normal_iteratorINS9_10device_ptrIsEEEEPS5_jNS1_19radix_merge_compareILb0ELb0EsNS0_19identity_decomposerEEEEE10hipError_tT0_T1_T2_jT3_P12ihipStream_tbPNSt15iterator_traitsISK_E10value_typeEPNSQ_ISL_E10value_typeEPSM_NS1_7vsmem_tEENKUlT_SK_SL_SM_E_clISE_PsSF_SF_EESJ_SZ_SK_SL_SM_EUlSZ_E0_NS1_11comp_targetILNS1_3genE3ELNS1_11target_archE908ELNS1_3gpuE7ELNS1_3repE0EEENS1_38merge_mergepath_config_static_selectorELNS0_4arch9wavefront6targetE1EEEvSL_,comdat
	.protected	_ZN7rocprim17ROCPRIM_400000_NS6detail17trampoline_kernelINS0_14default_configENS1_38merge_sort_block_merge_config_selectorIsNS0_10empty_typeEEEZZNS1_27merge_sort_block_merge_implIS3_N6thrust23THRUST_200600_302600_NS6detail15normal_iteratorINS9_10device_ptrIsEEEEPS5_jNS1_19radix_merge_compareILb0ELb0EsNS0_19identity_decomposerEEEEE10hipError_tT0_T1_T2_jT3_P12ihipStream_tbPNSt15iterator_traitsISK_E10value_typeEPNSQ_ISL_E10value_typeEPSM_NS1_7vsmem_tEENKUlT_SK_SL_SM_E_clISE_PsSF_SF_EESJ_SZ_SK_SL_SM_EUlSZ_E0_NS1_11comp_targetILNS1_3genE3ELNS1_11target_archE908ELNS1_3gpuE7ELNS1_3repE0EEENS1_38merge_mergepath_config_static_selectorELNS0_4arch9wavefront6targetE1EEEvSL_ ; -- Begin function _ZN7rocprim17ROCPRIM_400000_NS6detail17trampoline_kernelINS0_14default_configENS1_38merge_sort_block_merge_config_selectorIsNS0_10empty_typeEEEZZNS1_27merge_sort_block_merge_implIS3_N6thrust23THRUST_200600_302600_NS6detail15normal_iteratorINS9_10device_ptrIsEEEEPS5_jNS1_19radix_merge_compareILb0ELb0EsNS0_19identity_decomposerEEEEE10hipError_tT0_T1_T2_jT3_P12ihipStream_tbPNSt15iterator_traitsISK_E10value_typeEPNSQ_ISL_E10value_typeEPSM_NS1_7vsmem_tEENKUlT_SK_SL_SM_E_clISE_PsSF_SF_EESJ_SZ_SK_SL_SM_EUlSZ_E0_NS1_11comp_targetILNS1_3genE3ELNS1_11target_archE908ELNS1_3gpuE7ELNS1_3repE0EEENS1_38merge_mergepath_config_static_selectorELNS0_4arch9wavefront6targetE1EEEvSL_
	.globl	_ZN7rocprim17ROCPRIM_400000_NS6detail17trampoline_kernelINS0_14default_configENS1_38merge_sort_block_merge_config_selectorIsNS0_10empty_typeEEEZZNS1_27merge_sort_block_merge_implIS3_N6thrust23THRUST_200600_302600_NS6detail15normal_iteratorINS9_10device_ptrIsEEEEPS5_jNS1_19radix_merge_compareILb0ELb0EsNS0_19identity_decomposerEEEEE10hipError_tT0_T1_T2_jT3_P12ihipStream_tbPNSt15iterator_traitsISK_E10value_typeEPNSQ_ISL_E10value_typeEPSM_NS1_7vsmem_tEENKUlT_SK_SL_SM_E_clISE_PsSF_SF_EESJ_SZ_SK_SL_SM_EUlSZ_E0_NS1_11comp_targetILNS1_3genE3ELNS1_11target_archE908ELNS1_3gpuE7ELNS1_3repE0EEENS1_38merge_mergepath_config_static_selectorELNS0_4arch9wavefront6targetE1EEEvSL_
	.p2align	8
	.type	_ZN7rocprim17ROCPRIM_400000_NS6detail17trampoline_kernelINS0_14default_configENS1_38merge_sort_block_merge_config_selectorIsNS0_10empty_typeEEEZZNS1_27merge_sort_block_merge_implIS3_N6thrust23THRUST_200600_302600_NS6detail15normal_iteratorINS9_10device_ptrIsEEEEPS5_jNS1_19radix_merge_compareILb0ELb0EsNS0_19identity_decomposerEEEEE10hipError_tT0_T1_T2_jT3_P12ihipStream_tbPNSt15iterator_traitsISK_E10value_typeEPNSQ_ISL_E10value_typeEPSM_NS1_7vsmem_tEENKUlT_SK_SL_SM_E_clISE_PsSF_SF_EESJ_SZ_SK_SL_SM_EUlSZ_E0_NS1_11comp_targetILNS1_3genE3ELNS1_11target_archE908ELNS1_3gpuE7ELNS1_3repE0EEENS1_38merge_mergepath_config_static_selectorELNS0_4arch9wavefront6targetE1EEEvSL_,@function
_ZN7rocprim17ROCPRIM_400000_NS6detail17trampoline_kernelINS0_14default_configENS1_38merge_sort_block_merge_config_selectorIsNS0_10empty_typeEEEZZNS1_27merge_sort_block_merge_implIS3_N6thrust23THRUST_200600_302600_NS6detail15normal_iteratorINS9_10device_ptrIsEEEEPS5_jNS1_19radix_merge_compareILb0ELb0EsNS0_19identity_decomposerEEEEE10hipError_tT0_T1_T2_jT3_P12ihipStream_tbPNSt15iterator_traitsISK_E10value_typeEPNSQ_ISL_E10value_typeEPSM_NS1_7vsmem_tEENKUlT_SK_SL_SM_E_clISE_PsSF_SF_EESJ_SZ_SK_SL_SM_EUlSZ_E0_NS1_11comp_targetILNS1_3genE3ELNS1_11target_archE908ELNS1_3gpuE7ELNS1_3repE0EEENS1_38merge_mergepath_config_static_selectorELNS0_4arch9wavefront6targetE1EEEvSL_: ; @_ZN7rocprim17ROCPRIM_400000_NS6detail17trampoline_kernelINS0_14default_configENS1_38merge_sort_block_merge_config_selectorIsNS0_10empty_typeEEEZZNS1_27merge_sort_block_merge_implIS3_N6thrust23THRUST_200600_302600_NS6detail15normal_iteratorINS9_10device_ptrIsEEEEPS5_jNS1_19radix_merge_compareILb0ELb0EsNS0_19identity_decomposerEEEEE10hipError_tT0_T1_T2_jT3_P12ihipStream_tbPNSt15iterator_traitsISK_E10value_typeEPNSQ_ISL_E10value_typeEPSM_NS1_7vsmem_tEENKUlT_SK_SL_SM_E_clISE_PsSF_SF_EESJ_SZ_SK_SL_SM_EUlSZ_E0_NS1_11comp_targetILNS1_3genE3ELNS1_11target_archE908ELNS1_3gpuE7ELNS1_3repE0EEENS1_38merge_mergepath_config_static_selectorELNS0_4arch9wavefront6targetE1EEEvSL_
; %bb.0:
	.section	.rodata,"a",@progbits
	.p2align	6, 0x0
	.amdhsa_kernel _ZN7rocprim17ROCPRIM_400000_NS6detail17trampoline_kernelINS0_14default_configENS1_38merge_sort_block_merge_config_selectorIsNS0_10empty_typeEEEZZNS1_27merge_sort_block_merge_implIS3_N6thrust23THRUST_200600_302600_NS6detail15normal_iteratorINS9_10device_ptrIsEEEEPS5_jNS1_19radix_merge_compareILb0ELb0EsNS0_19identity_decomposerEEEEE10hipError_tT0_T1_T2_jT3_P12ihipStream_tbPNSt15iterator_traitsISK_E10value_typeEPNSQ_ISL_E10value_typeEPSM_NS1_7vsmem_tEENKUlT_SK_SL_SM_E_clISE_PsSF_SF_EESJ_SZ_SK_SL_SM_EUlSZ_E0_NS1_11comp_targetILNS1_3genE3ELNS1_11target_archE908ELNS1_3gpuE7ELNS1_3repE0EEENS1_38merge_mergepath_config_static_selectorELNS0_4arch9wavefront6targetE1EEEvSL_
		.amdhsa_group_segment_fixed_size 0
		.amdhsa_private_segment_fixed_size 0
		.amdhsa_kernarg_size 64
		.amdhsa_user_sgpr_count 2
		.amdhsa_user_sgpr_dispatch_ptr 0
		.amdhsa_user_sgpr_queue_ptr 0
		.amdhsa_user_sgpr_kernarg_segment_ptr 1
		.amdhsa_user_sgpr_dispatch_id 0
		.amdhsa_user_sgpr_kernarg_preload_length 0
		.amdhsa_user_sgpr_kernarg_preload_offset 0
		.amdhsa_user_sgpr_private_segment_size 0
		.amdhsa_uses_dynamic_stack 0
		.amdhsa_enable_private_segment 0
		.amdhsa_system_sgpr_workgroup_id_x 1
		.amdhsa_system_sgpr_workgroup_id_y 0
		.amdhsa_system_sgpr_workgroup_id_z 0
		.amdhsa_system_sgpr_workgroup_info 0
		.amdhsa_system_vgpr_workitem_id 0
		.amdhsa_next_free_vgpr 1
		.amdhsa_next_free_sgpr 0
		.amdhsa_accum_offset 4
		.amdhsa_reserve_vcc 0
		.amdhsa_float_round_mode_32 0
		.amdhsa_float_round_mode_16_64 0
		.amdhsa_float_denorm_mode_32 3
		.amdhsa_float_denorm_mode_16_64 3
		.amdhsa_dx10_clamp 1
		.amdhsa_ieee_mode 1
		.amdhsa_fp16_overflow 0
		.amdhsa_tg_split 0
		.amdhsa_exception_fp_ieee_invalid_op 0
		.amdhsa_exception_fp_denorm_src 0
		.amdhsa_exception_fp_ieee_div_zero 0
		.amdhsa_exception_fp_ieee_overflow 0
		.amdhsa_exception_fp_ieee_underflow 0
		.amdhsa_exception_fp_ieee_inexact 0
		.amdhsa_exception_int_div_zero 0
	.end_amdhsa_kernel
	.section	.text._ZN7rocprim17ROCPRIM_400000_NS6detail17trampoline_kernelINS0_14default_configENS1_38merge_sort_block_merge_config_selectorIsNS0_10empty_typeEEEZZNS1_27merge_sort_block_merge_implIS3_N6thrust23THRUST_200600_302600_NS6detail15normal_iteratorINS9_10device_ptrIsEEEEPS5_jNS1_19radix_merge_compareILb0ELb0EsNS0_19identity_decomposerEEEEE10hipError_tT0_T1_T2_jT3_P12ihipStream_tbPNSt15iterator_traitsISK_E10value_typeEPNSQ_ISL_E10value_typeEPSM_NS1_7vsmem_tEENKUlT_SK_SL_SM_E_clISE_PsSF_SF_EESJ_SZ_SK_SL_SM_EUlSZ_E0_NS1_11comp_targetILNS1_3genE3ELNS1_11target_archE908ELNS1_3gpuE7ELNS1_3repE0EEENS1_38merge_mergepath_config_static_selectorELNS0_4arch9wavefront6targetE1EEEvSL_,"axG",@progbits,_ZN7rocprim17ROCPRIM_400000_NS6detail17trampoline_kernelINS0_14default_configENS1_38merge_sort_block_merge_config_selectorIsNS0_10empty_typeEEEZZNS1_27merge_sort_block_merge_implIS3_N6thrust23THRUST_200600_302600_NS6detail15normal_iteratorINS9_10device_ptrIsEEEEPS5_jNS1_19radix_merge_compareILb0ELb0EsNS0_19identity_decomposerEEEEE10hipError_tT0_T1_T2_jT3_P12ihipStream_tbPNSt15iterator_traitsISK_E10value_typeEPNSQ_ISL_E10value_typeEPSM_NS1_7vsmem_tEENKUlT_SK_SL_SM_E_clISE_PsSF_SF_EESJ_SZ_SK_SL_SM_EUlSZ_E0_NS1_11comp_targetILNS1_3genE3ELNS1_11target_archE908ELNS1_3gpuE7ELNS1_3repE0EEENS1_38merge_mergepath_config_static_selectorELNS0_4arch9wavefront6targetE1EEEvSL_,comdat
.Lfunc_end1854:
	.size	_ZN7rocprim17ROCPRIM_400000_NS6detail17trampoline_kernelINS0_14default_configENS1_38merge_sort_block_merge_config_selectorIsNS0_10empty_typeEEEZZNS1_27merge_sort_block_merge_implIS3_N6thrust23THRUST_200600_302600_NS6detail15normal_iteratorINS9_10device_ptrIsEEEEPS5_jNS1_19radix_merge_compareILb0ELb0EsNS0_19identity_decomposerEEEEE10hipError_tT0_T1_T2_jT3_P12ihipStream_tbPNSt15iterator_traitsISK_E10value_typeEPNSQ_ISL_E10value_typeEPSM_NS1_7vsmem_tEENKUlT_SK_SL_SM_E_clISE_PsSF_SF_EESJ_SZ_SK_SL_SM_EUlSZ_E0_NS1_11comp_targetILNS1_3genE3ELNS1_11target_archE908ELNS1_3gpuE7ELNS1_3repE0EEENS1_38merge_mergepath_config_static_selectorELNS0_4arch9wavefront6targetE1EEEvSL_, .Lfunc_end1854-_ZN7rocprim17ROCPRIM_400000_NS6detail17trampoline_kernelINS0_14default_configENS1_38merge_sort_block_merge_config_selectorIsNS0_10empty_typeEEEZZNS1_27merge_sort_block_merge_implIS3_N6thrust23THRUST_200600_302600_NS6detail15normal_iteratorINS9_10device_ptrIsEEEEPS5_jNS1_19radix_merge_compareILb0ELb0EsNS0_19identity_decomposerEEEEE10hipError_tT0_T1_T2_jT3_P12ihipStream_tbPNSt15iterator_traitsISK_E10value_typeEPNSQ_ISL_E10value_typeEPSM_NS1_7vsmem_tEENKUlT_SK_SL_SM_E_clISE_PsSF_SF_EESJ_SZ_SK_SL_SM_EUlSZ_E0_NS1_11comp_targetILNS1_3genE3ELNS1_11target_archE908ELNS1_3gpuE7ELNS1_3repE0EEENS1_38merge_mergepath_config_static_selectorELNS0_4arch9wavefront6targetE1EEEvSL_
                                        ; -- End function
	.section	.AMDGPU.csdata,"",@progbits
; Kernel info:
; codeLenInByte = 0
; NumSgprs: 6
; NumVgprs: 0
; NumAgprs: 0
; TotalNumVgprs: 0
; ScratchSize: 0
; MemoryBound: 0
; FloatMode: 240
; IeeeMode: 1
; LDSByteSize: 0 bytes/workgroup (compile time only)
; SGPRBlocks: 0
; VGPRBlocks: 0
; NumSGPRsForWavesPerEU: 6
; NumVGPRsForWavesPerEU: 1
; AccumOffset: 4
; Occupancy: 8
; WaveLimiterHint : 0
; COMPUTE_PGM_RSRC2:SCRATCH_EN: 0
; COMPUTE_PGM_RSRC2:USER_SGPR: 2
; COMPUTE_PGM_RSRC2:TRAP_HANDLER: 0
; COMPUTE_PGM_RSRC2:TGID_X_EN: 1
; COMPUTE_PGM_RSRC2:TGID_Y_EN: 0
; COMPUTE_PGM_RSRC2:TGID_Z_EN: 0
; COMPUTE_PGM_RSRC2:TIDIG_COMP_CNT: 0
; COMPUTE_PGM_RSRC3_GFX90A:ACCUM_OFFSET: 0
; COMPUTE_PGM_RSRC3_GFX90A:TG_SPLIT: 0
	.section	.text._ZN7rocprim17ROCPRIM_400000_NS6detail17trampoline_kernelINS0_14default_configENS1_38merge_sort_block_merge_config_selectorIsNS0_10empty_typeEEEZZNS1_27merge_sort_block_merge_implIS3_N6thrust23THRUST_200600_302600_NS6detail15normal_iteratorINS9_10device_ptrIsEEEEPS5_jNS1_19radix_merge_compareILb0ELb0EsNS0_19identity_decomposerEEEEE10hipError_tT0_T1_T2_jT3_P12ihipStream_tbPNSt15iterator_traitsISK_E10value_typeEPNSQ_ISL_E10value_typeEPSM_NS1_7vsmem_tEENKUlT_SK_SL_SM_E_clISE_PsSF_SF_EESJ_SZ_SK_SL_SM_EUlSZ_E0_NS1_11comp_targetILNS1_3genE2ELNS1_11target_archE906ELNS1_3gpuE6ELNS1_3repE0EEENS1_38merge_mergepath_config_static_selectorELNS0_4arch9wavefront6targetE1EEEvSL_,"axG",@progbits,_ZN7rocprim17ROCPRIM_400000_NS6detail17trampoline_kernelINS0_14default_configENS1_38merge_sort_block_merge_config_selectorIsNS0_10empty_typeEEEZZNS1_27merge_sort_block_merge_implIS3_N6thrust23THRUST_200600_302600_NS6detail15normal_iteratorINS9_10device_ptrIsEEEEPS5_jNS1_19radix_merge_compareILb0ELb0EsNS0_19identity_decomposerEEEEE10hipError_tT0_T1_T2_jT3_P12ihipStream_tbPNSt15iterator_traitsISK_E10value_typeEPNSQ_ISL_E10value_typeEPSM_NS1_7vsmem_tEENKUlT_SK_SL_SM_E_clISE_PsSF_SF_EESJ_SZ_SK_SL_SM_EUlSZ_E0_NS1_11comp_targetILNS1_3genE2ELNS1_11target_archE906ELNS1_3gpuE6ELNS1_3repE0EEENS1_38merge_mergepath_config_static_selectorELNS0_4arch9wavefront6targetE1EEEvSL_,comdat
	.protected	_ZN7rocprim17ROCPRIM_400000_NS6detail17trampoline_kernelINS0_14default_configENS1_38merge_sort_block_merge_config_selectorIsNS0_10empty_typeEEEZZNS1_27merge_sort_block_merge_implIS3_N6thrust23THRUST_200600_302600_NS6detail15normal_iteratorINS9_10device_ptrIsEEEEPS5_jNS1_19radix_merge_compareILb0ELb0EsNS0_19identity_decomposerEEEEE10hipError_tT0_T1_T2_jT3_P12ihipStream_tbPNSt15iterator_traitsISK_E10value_typeEPNSQ_ISL_E10value_typeEPSM_NS1_7vsmem_tEENKUlT_SK_SL_SM_E_clISE_PsSF_SF_EESJ_SZ_SK_SL_SM_EUlSZ_E0_NS1_11comp_targetILNS1_3genE2ELNS1_11target_archE906ELNS1_3gpuE6ELNS1_3repE0EEENS1_38merge_mergepath_config_static_selectorELNS0_4arch9wavefront6targetE1EEEvSL_ ; -- Begin function _ZN7rocprim17ROCPRIM_400000_NS6detail17trampoline_kernelINS0_14default_configENS1_38merge_sort_block_merge_config_selectorIsNS0_10empty_typeEEEZZNS1_27merge_sort_block_merge_implIS3_N6thrust23THRUST_200600_302600_NS6detail15normal_iteratorINS9_10device_ptrIsEEEEPS5_jNS1_19radix_merge_compareILb0ELb0EsNS0_19identity_decomposerEEEEE10hipError_tT0_T1_T2_jT3_P12ihipStream_tbPNSt15iterator_traitsISK_E10value_typeEPNSQ_ISL_E10value_typeEPSM_NS1_7vsmem_tEENKUlT_SK_SL_SM_E_clISE_PsSF_SF_EESJ_SZ_SK_SL_SM_EUlSZ_E0_NS1_11comp_targetILNS1_3genE2ELNS1_11target_archE906ELNS1_3gpuE6ELNS1_3repE0EEENS1_38merge_mergepath_config_static_selectorELNS0_4arch9wavefront6targetE1EEEvSL_
	.globl	_ZN7rocprim17ROCPRIM_400000_NS6detail17trampoline_kernelINS0_14default_configENS1_38merge_sort_block_merge_config_selectorIsNS0_10empty_typeEEEZZNS1_27merge_sort_block_merge_implIS3_N6thrust23THRUST_200600_302600_NS6detail15normal_iteratorINS9_10device_ptrIsEEEEPS5_jNS1_19radix_merge_compareILb0ELb0EsNS0_19identity_decomposerEEEEE10hipError_tT0_T1_T2_jT3_P12ihipStream_tbPNSt15iterator_traitsISK_E10value_typeEPNSQ_ISL_E10value_typeEPSM_NS1_7vsmem_tEENKUlT_SK_SL_SM_E_clISE_PsSF_SF_EESJ_SZ_SK_SL_SM_EUlSZ_E0_NS1_11comp_targetILNS1_3genE2ELNS1_11target_archE906ELNS1_3gpuE6ELNS1_3repE0EEENS1_38merge_mergepath_config_static_selectorELNS0_4arch9wavefront6targetE1EEEvSL_
	.p2align	8
	.type	_ZN7rocprim17ROCPRIM_400000_NS6detail17trampoline_kernelINS0_14default_configENS1_38merge_sort_block_merge_config_selectorIsNS0_10empty_typeEEEZZNS1_27merge_sort_block_merge_implIS3_N6thrust23THRUST_200600_302600_NS6detail15normal_iteratorINS9_10device_ptrIsEEEEPS5_jNS1_19radix_merge_compareILb0ELb0EsNS0_19identity_decomposerEEEEE10hipError_tT0_T1_T2_jT3_P12ihipStream_tbPNSt15iterator_traitsISK_E10value_typeEPNSQ_ISL_E10value_typeEPSM_NS1_7vsmem_tEENKUlT_SK_SL_SM_E_clISE_PsSF_SF_EESJ_SZ_SK_SL_SM_EUlSZ_E0_NS1_11comp_targetILNS1_3genE2ELNS1_11target_archE906ELNS1_3gpuE6ELNS1_3repE0EEENS1_38merge_mergepath_config_static_selectorELNS0_4arch9wavefront6targetE1EEEvSL_,@function
_ZN7rocprim17ROCPRIM_400000_NS6detail17trampoline_kernelINS0_14default_configENS1_38merge_sort_block_merge_config_selectorIsNS0_10empty_typeEEEZZNS1_27merge_sort_block_merge_implIS3_N6thrust23THRUST_200600_302600_NS6detail15normal_iteratorINS9_10device_ptrIsEEEEPS5_jNS1_19radix_merge_compareILb0ELb0EsNS0_19identity_decomposerEEEEE10hipError_tT0_T1_T2_jT3_P12ihipStream_tbPNSt15iterator_traitsISK_E10value_typeEPNSQ_ISL_E10value_typeEPSM_NS1_7vsmem_tEENKUlT_SK_SL_SM_E_clISE_PsSF_SF_EESJ_SZ_SK_SL_SM_EUlSZ_E0_NS1_11comp_targetILNS1_3genE2ELNS1_11target_archE906ELNS1_3gpuE6ELNS1_3repE0EEENS1_38merge_mergepath_config_static_selectorELNS0_4arch9wavefront6targetE1EEEvSL_: ; @_ZN7rocprim17ROCPRIM_400000_NS6detail17trampoline_kernelINS0_14default_configENS1_38merge_sort_block_merge_config_selectorIsNS0_10empty_typeEEEZZNS1_27merge_sort_block_merge_implIS3_N6thrust23THRUST_200600_302600_NS6detail15normal_iteratorINS9_10device_ptrIsEEEEPS5_jNS1_19radix_merge_compareILb0ELb0EsNS0_19identity_decomposerEEEEE10hipError_tT0_T1_T2_jT3_P12ihipStream_tbPNSt15iterator_traitsISK_E10value_typeEPNSQ_ISL_E10value_typeEPSM_NS1_7vsmem_tEENKUlT_SK_SL_SM_E_clISE_PsSF_SF_EESJ_SZ_SK_SL_SM_EUlSZ_E0_NS1_11comp_targetILNS1_3genE2ELNS1_11target_archE906ELNS1_3gpuE6ELNS1_3repE0EEENS1_38merge_mergepath_config_static_selectorELNS0_4arch9wavefront6targetE1EEEvSL_
; %bb.0:
	.section	.rodata,"a",@progbits
	.p2align	6, 0x0
	.amdhsa_kernel _ZN7rocprim17ROCPRIM_400000_NS6detail17trampoline_kernelINS0_14default_configENS1_38merge_sort_block_merge_config_selectorIsNS0_10empty_typeEEEZZNS1_27merge_sort_block_merge_implIS3_N6thrust23THRUST_200600_302600_NS6detail15normal_iteratorINS9_10device_ptrIsEEEEPS5_jNS1_19radix_merge_compareILb0ELb0EsNS0_19identity_decomposerEEEEE10hipError_tT0_T1_T2_jT3_P12ihipStream_tbPNSt15iterator_traitsISK_E10value_typeEPNSQ_ISL_E10value_typeEPSM_NS1_7vsmem_tEENKUlT_SK_SL_SM_E_clISE_PsSF_SF_EESJ_SZ_SK_SL_SM_EUlSZ_E0_NS1_11comp_targetILNS1_3genE2ELNS1_11target_archE906ELNS1_3gpuE6ELNS1_3repE0EEENS1_38merge_mergepath_config_static_selectorELNS0_4arch9wavefront6targetE1EEEvSL_
		.amdhsa_group_segment_fixed_size 0
		.amdhsa_private_segment_fixed_size 0
		.amdhsa_kernarg_size 64
		.amdhsa_user_sgpr_count 2
		.amdhsa_user_sgpr_dispatch_ptr 0
		.amdhsa_user_sgpr_queue_ptr 0
		.amdhsa_user_sgpr_kernarg_segment_ptr 1
		.amdhsa_user_sgpr_dispatch_id 0
		.amdhsa_user_sgpr_kernarg_preload_length 0
		.amdhsa_user_sgpr_kernarg_preload_offset 0
		.amdhsa_user_sgpr_private_segment_size 0
		.amdhsa_uses_dynamic_stack 0
		.amdhsa_enable_private_segment 0
		.amdhsa_system_sgpr_workgroup_id_x 1
		.amdhsa_system_sgpr_workgroup_id_y 0
		.amdhsa_system_sgpr_workgroup_id_z 0
		.amdhsa_system_sgpr_workgroup_info 0
		.amdhsa_system_vgpr_workitem_id 0
		.amdhsa_next_free_vgpr 1
		.amdhsa_next_free_sgpr 0
		.amdhsa_accum_offset 4
		.amdhsa_reserve_vcc 0
		.amdhsa_float_round_mode_32 0
		.amdhsa_float_round_mode_16_64 0
		.amdhsa_float_denorm_mode_32 3
		.amdhsa_float_denorm_mode_16_64 3
		.amdhsa_dx10_clamp 1
		.amdhsa_ieee_mode 1
		.amdhsa_fp16_overflow 0
		.amdhsa_tg_split 0
		.amdhsa_exception_fp_ieee_invalid_op 0
		.amdhsa_exception_fp_denorm_src 0
		.amdhsa_exception_fp_ieee_div_zero 0
		.amdhsa_exception_fp_ieee_overflow 0
		.amdhsa_exception_fp_ieee_underflow 0
		.amdhsa_exception_fp_ieee_inexact 0
		.amdhsa_exception_int_div_zero 0
	.end_amdhsa_kernel
	.section	.text._ZN7rocprim17ROCPRIM_400000_NS6detail17trampoline_kernelINS0_14default_configENS1_38merge_sort_block_merge_config_selectorIsNS0_10empty_typeEEEZZNS1_27merge_sort_block_merge_implIS3_N6thrust23THRUST_200600_302600_NS6detail15normal_iteratorINS9_10device_ptrIsEEEEPS5_jNS1_19radix_merge_compareILb0ELb0EsNS0_19identity_decomposerEEEEE10hipError_tT0_T1_T2_jT3_P12ihipStream_tbPNSt15iterator_traitsISK_E10value_typeEPNSQ_ISL_E10value_typeEPSM_NS1_7vsmem_tEENKUlT_SK_SL_SM_E_clISE_PsSF_SF_EESJ_SZ_SK_SL_SM_EUlSZ_E0_NS1_11comp_targetILNS1_3genE2ELNS1_11target_archE906ELNS1_3gpuE6ELNS1_3repE0EEENS1_38merge_mergepath_config_static_selectorELNS0_4arch9wavefront6targetE1EEEvSL_,"axG",@progbits,_ZN7rocprim17ROCPRIM_400000_NS6detail17trampoline_kernelINS0_14default_configENS1_38merge_sort_block_merge_config_selectorIsNS0_10empty_typeEEEZZNS1_27merge_sort_block_merge_implIS3_N6thrust23THRUST_200600_302600_NS6detail15normal_iteratorINS9_10device_ptrIsEEEEPS5_jNS1_19radix_merge_compareILb0ELb0EsNS0_19identity_decomposerEEEEE10hipError_tT0_T1_T2_jT3_P12ihipStream_tbPNSt15iterator_traitsISK_E10value_typeEPNSQ_ISL_E10value_typeEPSM_NS1_7vsmem_tEENKUlT_SK_SL_SM_E_clISE_PsSF_SF_EESJ_SZ_SK_SL_SM_EUlSZ_E0_NS1_11comp_targetILNS1_3genE2ELNS1_11target_archE906ELNS1_3gpuE6ELNS1_3repE0EEENS1_38merge_mergepath_config_static_selectorELNS0_4arch9wavefront6targetE1EEEvSL_,comdat
.Lfunc_end1855:
	.size	_ZN7rocprim17ROCPRIM_400000_NS6detail17trampoline_kernelINS0_14default_configENS1_38merge_sort_block_merge_config_selectorIsNS0_10empty_typeEEEZZNS1_27merge_sort_block_merge_implIS3_N6thrust23THRUST_200600_302600_NS6detail15normal_iteratorINS9_10device_ptrIsEEEEPS5_jNS1_19radix_merge_compareILb0ELb0EsNS0_19identity_decomposerEEEEE10hipError_tT0_T1_T2_jT3_P12ihipStream_tbPNSt15iterator_traitsISK_E10value_typeEPNSQ_ISL_E10value_typeEPSM_NS1_7vsmem_tEENKUlT_SK_SL_SM_E_clISE_PsSF_SF_EESJ_SZ_SK_SL_SM_EUlSZ_E0_NS1_11comp_targetILNS1_3genE2ELNS1_11target_archE906ELNS1_3gpuE6ELNS1_3repE0EEENS1_38merge_mergepath_config_static_selectorELNS0_4arch9wavefront6targetE1EEEvSL_, .Lfunc_end1855-_ZN7rocprim17ROCPRIM_400000_NS6detail17trampoline_kernelINS0_14default_configENS1_38merge_sort_block_merge_config_selectorIsNS0_10empty_typeEEEZZNS1_27merge_sort_block_merge_implIS3_N6thrust23THRUST_200600_302600_NS6detail15normal_iteratorINS9_10device_ptrIsEEEEPS5_jNS1_19radix_merge_compareILb0ELb0EsNS0_19identity_decomposerEEEEE10hipError_tT0_T1_T2_jT3_P12ihipStream_tbPNSt15iterator_traitsISK_E10value_typeEPNSQ_ISL_E10value_typeEPSM_NS1_7vsmem_tEENKUlT_SK_SL_SM_E_clISE_PsSF_SF_EESJ_SZ_SK_SL_SM_EUlSZ_E0_NS1_11comp_targetILNS1_3genE2ELNS1_11target_archE906ELNS1_3gpuE6ELNS1_3repE0EEENS1_38merge_mergepath_config_static_selectorELNS0_4arch9wavefront6targetE1EEEvSL_
                                        ; -- End function
	.section	.AMDGPU.csdata,"",@progbits
; Kernel info:
; codeLenInByte = 0
; NumSgprs: 6
; NumVgprs: 0
; NumAgprs: 0
; TotalNumVgprs: 0
; ScratchSize: 0
; MemoryBound: 0
; FloatMode: 240
; IeeeMode: 1
; LDSByteSize: 0 bytes/workgroup (compile time only)
; SGPRBlocks: 0
; VGPRBlocks: 0
; NumSGPRsForWavesPerEU: 6
; NumVGPRsForWavesPerEU: 1
; AccumOffset: 4
; Occupancy: 8
; WaveLimiterHint : 0
; COMPUTE_PGM_RSRC2:SCRATCH_EN: 0
; COMPUTE_PGM_RSRC2:USER_SGPR: 2
; COMPUTE_PGM_RSRC2:TRAP_HANDLER: 0
; COMPUTE_PGM_RSRC2:TGID_X_EN: 1
; COMPUTE_PGM_RSRC2:TGID_Y_EN: 0
; COMPUTE_PGM_RSRC2:TGID_Z_EN: 0
; COMPUTE_PGM_RSRC2:TIDIG_COMP_CNT: 0
; COMPUTE_PGM_RSRC3_GFX90A:ACCUM_OFFSET: 0
; COMPUTE_PGM_RSRC3_GFX90A:TG_SPLIT: 0
	.section	.text._ZN7rocprim17ROCPRIM_400000_NS6detail17trampoline_kernelINS0_14default_configENS1_38merge_sort_block_merge_config_selectorIsNS0_10empty_typeEEEZZNS1_27merge_sort_block_merge_implIS3_N6thrust23THRUST_200600_302600_NS6detail15normal_iteratorINS9_10device_ptrIsEEEEPS5_jNS1_19radix_merge_compareILb0ELb0EsNS0_19identity_decomposerEEEEE10hipError_tT0_T1_T2_jT3_P12ihipStream_tbPNSt15iterator_traitsISK_E10value_typeEPNSQ_ISL_E10value_typeEPSM_NS1_7vsmem_tEENKUlT_SK_SL_SM_E_clISE_PsSF_SF_EESJ_SZ_SK_SL_SM_EUlSZ_E0_NS1_11comp_targetILNS1_3genE9ELNS1_11target_archE1100ELNS1_3gpuE3ELNS1_3repE0EEENS1_38merge_mergepath_config_static_selectorELNS0_4arch9wavefront6targetE1EEEvSL_,"axG",@progbits,_ZN7rocprim17ROCPRIM_400000_NS6detail17trampoline_kernelINS0_14default_configENS1_38merge_sort_block_merge_config_selectorIsNS0_10empty_typeEEEZZNS1_27merge_sort_block_merge_implIS3_N6thrust23THRUST_200600_302600_NS6detail15normal_iteratorINS9_10device_ptrIsEEEEPS5_jNS1_19radix_merge_compareILb0ELb0EsNS0_19identity_decomposerEEEEE10hipError_tT0_T1_T2_jT3_P12ihipStream_tbPNSt15iterator_traitsISK_E10value_typeEPNSQ_ISL_E10value_typeEPSM_NS1_7vsmem_tEENKUlT_SK_SL_SM_E_clISE_PsSF_SF_EESJ_SZ_SK_SL_SM_EUlSZ_E0_NS1_11comp_targetILNS1_3genE9ELNS1_11target_archE1100ELNS1_3gpuE3ELNS1_3repE0EEENS1_38merge_mergepath_config_static_selectorELNS0_4arch9wavefront6targetE1EEEvSL_,comdat
	.protected	_ZN7rocprim17ROCPRIM_400000_NS6detail17trampoline_kernelINS0_14default_configENS1_38merge_sort_block_merge_config_selectorIsNS0_10empty_typeEEEZZNS1_27merge_sort_block_merge_implIS3_N6thrust23THRUST_200600_302600_NS6detail15normal_iteratorINS9_10device_ptrIsEEEEPS5_jNS1_19radix_merge_compareILb0ELb0EsNS0_19identity_decomposerEEEEE10hipError_tT0_T1_T2_jT3_P12ihipStream_tbPNSt15iterator_traitsISK_E10value_typeEPNSQ_ISL_E10value_typeEPSM_NS1_7vsmem_tEENKUlT_SK_SL_SM_E_clISE_PsSF_SF_EESJ_SZ_SK_SL_SM_EUlSZ_E0_NS1_11comp_targetILNS1_3genE9ELNS1_11target_archE1100ELNS1_3gpuE3ELNS1_3repE0EEENS1_38merge_mergepath_config_static_selectorELNS0_4arch9wavefront6targetE1EEEvSL_ ; -- Begin function _ZN7rocprim17ROCPRIM_400000_NS6detail17trampoline_kernelINS0_14default_configENS1_38merge_sort_block_merge_config_selectorIsNS0_10empty_typeEEEZZNS1_27merge_sort_block_merge_implIS3_N6thrust23THRUST_200600_302600_NS6detail15normal_iteratorINS9_10device_ptrIsEEEEPS5_jNS1_19radix_merge_compareILb0ELb0EsNS0_19identity_decomposerEEEEE10hipError_tT0_T1_T2_jT3_P12ihipStream_tbPNSt15iterator_traitsISK_E10value_typeEPNSQ_ISL_E10value_typeEPSM_NS1_7vsmem_tEENKUlT_SK_SL_SM_E_clISE_PsSF_SF_EESJ_SZ_SK_SL_SM_EUlSZ_E0_NS1_11comp_targetILNS1_3genE9ELNS1_11target_archE1100ELNS1_3gpuE3ELNS1_3repE0EEENS1_38merge_mergepath_config_static_selectorELNS0_4arch9wavefront6targetE1EEEvSL_
	.globl	_ZN7rocprim17ROCPRIM_400000_NS6detail17trampoline_kernelINS0_14default_configENS1_38merge_sort_block_merge_config_selectorIsNS0_10empty_typeEEEZZNS1_27merge_sort_block_merge_implIS3_N6thrust23THRUST_200600_302600_NS6detail15normal_iteratorINS9_10device_ptrIsEEEEPS5_jNS1_19radix_merge_compareILb0ELb0EsNS0_19identity_decomposerEEEEE10hipError_tT0_T1_T2_jT3_P12ihipStream_tbPNSt15iterator_traitsISK_E10value_typeEPNSQ_ISL_E10value_typeEPSM_NS1_7vsmem_tEENKUlT_SK_SL_SM_E_clISE_PsSF_SF_EESJ_SZ_SK_SL_SM_EUlSZ_E0_NS1_11comp_targetILNS1_3genE9ELNS1_11target_archE1100ELNS1_3gpuE3ELNS1_3repE0EEENS1_38merge_mergepath_config_static_selectorELNS0_4arch9wavefront6targetE1EEEvSL_
	.p2align	8
	.type	_ZN7rocprim17ROCPRIM_400000_NS6detail17trampoline_kernelINS0_14default_configENS1_38merge_sort_block_merge_config_selectorIsNS0_10empty_typeEEEZZNS1_27merge_sort_block_merge_implIS3_N6thrust23THRUST_200600_302600_NS6detail15normal_iteratorINS9_10device_ptrIsEEEEPS5_jNS1_19radix_merge_compareILb0ELb0EsNS0_19identity_decomposerEEEEE10hipError_tT0_T1_T2_jT3_P12ihipStream_tbPNSt15iterator_traitsISK_E10value_typeEPNSQ_ISL_E10value_typeEPSM_NS1_7vsmem_tEENKUlT_SK_SL_SM_E_clISE_PsSF_SF_EESJ_SZ_SK_SL_SM_EUlSZ_E0_NS1_11comp_targetILNS1_3genE9ELNS1_11target_archE1100ELNS1_3gpuE3ELNS1_3repE0EEENS1_38merge_mergepath_config_static_selectorELNS0_4arch9wavefront6targetE1EEEvSL_,@function
_ZN7rocprim17ROCPRIM_400000_NS6detail17trampoline_kernelINS0_14default_configENS1_38merge_sort_block_merge_config_selectorIsNS0_10empty_typeEEEZZNS1_27merge_sort_block_merge_implIS3_N6thrust23THRUST_200600_302600_NS6detail15normal_iteratorINS9_10device_ptrIsEEEEPS5_jNS1_19radix_merge_compareILb0ELb0EsNS0_19identity_decomposerEEEEE10hipError_tT0_T1_T2_jT3_P12ihipStream_tbPNSt15iterator_traitsISK_E10value_typeEPNSQ_ISL_E10value_typeEPSM_NS1_7vsmem_tEENKUlT_SK_SL_SM_E_clISE_PsSF_SF_EESJ_SZ_SK_SL_SM_EUlSZ_E0_NS1_11comp_targetILNS1_3genE9ELNS1_11target_archE1100ELNS1_3gpuE3ELNS1_3repE0EEENS1_38merge_mergepath_config_static_selectorELNS0_4arch9wavefront6targetE1EEEvSL_: ; @_ZN7rocprim17ROCPRIM_400000_NS6detail17trampoline_kernelINS0_14default_configENS1_38merge_sort_block_merge_config_selectorIsNS0_10empty_typeEEEZZNS1_27merge_sort_block_merge_implIS3_N6thrust23THRUST_200600_302600_NS6detail15normal_iteratorINS9_10device_ptrIsEEEEPS5_jNS1_19radix_merge_compareILb0ELb0EsNS0_19identity_decomposerEEEEE10hipError_tT0_T1_T2_jT3_P12ihipStream_tbPNSt15iterator_traitsISK_E10value_typeEPNSQ_ISL_E10value_typeEPSM_NS1_7vsmem_tEENKUlT_SK_SL_SM_E_clISE_PsSF_SF_EESJ_SZ_SK_SL_SM_EUlSZ_E0_NS1_11comp_targetILNS1_3genE9ELNS1_11target_archE1100ELNS1_3gpuE3ELNS1_3repE0EEENS1_38merge_mergepath_config_static_selectorELNS0_4arch9wavefront6targetE1EEEvSL_
; %bb.0:
	.section	.rodata,"a",@progbits
	.p2align	6, 0x0
	.amdhsa_kernel _ZN7rocprim17ROCPRIM_400000_NS6detail17trampoline_kernelINS0_14default_configENS1_38merge_sort_block_merge_config_selectorIsNS0_10empty_typeEEEZZNS1_27merge_sort_block_merge_implIS3_N6thrust23THRUST_200600_302600_NS6detail15normal_iteratorINS9_10device_ptrIsEEEEPS5_jNS1_19radix_merge_compareILb0ELb0EsNS0_19identity_decomposerEEEEE10hipError_tT0_T1_T2_jT3_P12ihipStream_tbPNSt15iterator_traitsISK_E10value_typeEPNSQ_ISL_E10value_typeEPSM_NS1_7vsmem_tEENKUlT_SK_SL_SM_E_clISE_PsSF_SF_EESJ_SZ_SK_SL_SM_EUlSZ_E0_NS1_11comp_targetILNS1_3genE9ELNS1_11target_archE1100ELNS1_3gpuE3ELNS1_3repE0EEENS1_38merge_mergepath_config_static_selectorELNS0_4arch9wavefront6targetE1EEEvSL_
		.amdhsa_group_segment_fixed_size 0
		.amdhsa_private_segment_fixed_size 0
		.amdhsa_kernarg_size 64
		.amdhsa_user_sgpr_count 2
		.amdhsa_user_sgpr_dispatch_ptr 0
		.amdhsa_user_sgpr_queue_ptr 0
		.amdhsa_user_sgpr_kernarg_segment_ptr 1
		.amdhsa_user_sgpr_dispatch_id 0
		.amdhsa_user_sgpr_kernarg_preload_length 0
		.amdhsa_user_sgpr_kernarg_preload_offset 0
		.amdhsa_user_sgpr_private_segment_size 0
		.amdhsa_uses_dynamic_stack 0
		.amdhsa_enable_private_segment 0
		.amdhsa_system_sgpr_workgroup_id_x 1
		.amdhsa_system_sgpr_workgroup_id_y 0
		.amdhsa_system_sgpr_workgroup_id_z 0
		.amdhsa_system_sgpr_workgroup_info 0
		.amdhsa_system_vgpr_workitem_id 0
		.amdhsa_next_free_vgpr 1
		.amdhsa_next_free_sgpr 0
		.amdhsa_accum_offset 4
		.amdhsa_reserve_vcc 0
		.amdhsa_float_round_mode_32 0
		.amdhsa_float_round_mode_16_64 0
		.amdhsa_float_denorm_mode_32 3
		.amdhsa_float_denorm_mode_16_64 3
		.amdhsa_dx10_clamp 1
		.amdhsa_ieee_mode 1
		.amdhsa_fp16_overflow 0
		.amdhsa_tg_split 0
		.amdhsa_exception_fp_ieee_invalid_op 0
		.amdhsa_exception_fp_denorm_src 0
		.amdhsa_exception_fp_ieee_div_zero 0
		.amdhsa_exception_fp_ieee_overflow 0
		.amdhsa_exception_fp_ieee_underflow 0
		.amdhsa_exception_fp_ieee_inexact 0
		.amdhsa_exception_int_div_zero 0
	.end_amdhsa_kernel
	.section	.text._ZN7rocprim17ROCPRIM_400000_NS6detail17trampoline_kernelINS0_14default_configENS1_38merge_sort_block_merge_config_selectorIsNS0_10empty_typeEEEZZNS1_27merge_sort_block_merge_implIS3_N6thrust23THRUST_200600_302600_NS6detail15normal_iteratorINS9_10device_ptrIsEEEEPS5_jNS1_19radix_merge_compareILb0ELb0EsNS0_19identity_decomposerEEEEE10hipError_tT0_T1_T2_jT3_P12ihipStream_tbPNSt15iterator_traitsISK_E10value_typeEPNSQ_ISL_E10value_typeEPSM_NS1_7vsmem_tEENKUlT_SK_SL_SM_E_clISE_PsSF_SF_EESJ_SZ_SK_SL_SM_EUlSZ_E0_NS1_11comp_targetILNS1_3genE9ELNS1_11target_archE1100ELNS1_3gpuE3ELNS1_3repE0EEENS1_38merge_mergepath_config_static_selectorELNS0_4arch9wavefront6targetE1EEEvSL_,"axG",@progbits,_ZN7rocprim17ROCPRIM_400000_NS6detail17trampoline_kernelINS0_14default_configENS1_38merge_sort_block_merge_config_selectorIsNS0_10empty_typeEEEZZNS1_27merge_sort_block_merge_implIS3_N6thrust23THRUST_200600_302600_NS6detail15normal_iteratorINS9_10device_ptrIsEEEEPS5_jNS1_19radix_merge_compareILb0ELb0EsNS0_19identity_decomposerEEEEE10hipError_tT0_T1_T2_jT3_P12ihipStream_tbPNSt15iterator_traitsISK_E10value_typeEPNSQ_ISL_E10value_typeEPSM_NS1_7vsmem_tEENKUlT_SK_SL_SM_E_clISE_PsSF_SF_EESJ_SZ_SK_SL_SM_EUlSZ_E0_NS1_11comp_targetILNS1_3genE9ELNS1_11target_archE1100ELNS1_3gpuE3ELNS1_3repE0EEENS1_38merge_mergepath_config_static_selectorELNS0_4arch9wavefront6targetE1EEEvSL_,comdat
.Lfunc_end1856:
	.size	_ZN7rocprim17ROCPRIM_400000_NS6detail17trampoline_kernelINS0_14default_configENS1_38merge_sort_block_merge_config_selectorIsNS0_10empty_typeEEEZZNS1_27merge_sort_block_merge_implIS3_N6thrust23THRUST_200600_302600_NS6detail15normal_iteratorINS9_10device_ptrIsEEEEPS5_jNS1_19radix_merge_compareILb0ELb0EsNS0_19identity_decomposerEEEEE10hipError_tT0_T1_T2_jT3_P12ihipStream_tbPNSt15iterator_traitsISK_E10value_typeEPNSQ_ISL_E10value_typeEPSM_NS1_7vsmem_tEENKUlT_SK_SL_SM_E_clISE_PsSF_SF_EESJ_SZ_SK_SL_SM_EUlSZ_E0_NS1_11comp_targetILNS1_3genE9ELNS1_11target_archE1100ELNS1_3gpuE3ELNS1_3repE0EEENS1_38merge_mergepath_config_static_selectorELNS0_4arch9wavefront6targetE1EEEvSL_, .Lfunc_end1856-_ZN7rocprim17ROCPRIM_400000_NS6detail17trampoline_kernelINS0_14default_configENS1_38merge_sort_block_merge_config_selectorIsNS0_10empty_typeEEEZZNS1_27merge_sort_block_merge_implIS3_N6thrust23THRUST_200600_302600_NS6detail15normal_iteratorINS9_10device_ptrIsEEEEPS5_jNS1_19radix_merge_compareILb0ELb0EsNS0_19identity_decomposerEEEEE10hipError_tT0_T1_T2_jT3_P12ihipStream_tbPNSt15iterator_traitsISK_E10value_typeEPNSQ_ISL_E10value_typeEPSM_NS1_7vsmem_tEENKUlT_SK_SL_SM_E_clISE_PsSF_SF_EESJ_SZ_SK_SL_SM_EUlSZ_E0_NS1_11comp_targetILNS1_3genE9ELNS1_11target_archE1100ELNS1_3gpuE3ELNS1_3repE0EEENS1_38merge_mergepath_config_static_selectorELNS0_4arch9wavefront6targetE1EEEvSL_
                                        ; -- End function
	.section	.AMDGPU.csdata,"",@progbits
; Kernel info:
; codeLenInByte = 0
; NumSgprs: 6
; NumVgprs: 0
; NumAgprs: 0
; TotalNumVgprs: 0
; ScratchSize: 0
; MemoryBound: 0
; FloatMode: 240
; IeeeMode: 1
; LDSByteSize: 0 bytes/workgroup (compile time only)
; SGPRBlocks: 0
; VGPRBlocks: 0
; NumSGPRsForWavesPerEU: 6
; NumVGPRsForWavesPerEU: 1
; AccumOffset: 4
; Occupancy: 8
; WaveLimiterHint : 0
; COMPUTE_PGM_RSRC2:SCRATCH_EN: 0
; COMPUTE_PGM_RSRC2:USER_SGPR: 2
; COMPUTE_PGM_RSRC2:TRAP_HANDLER: 0
; COMPUTE_PGM_RSRC2:TGID_X_EN: 1
; COMPUTE_PGM_RSRC2:TGID_Y_EN: 0
; COMPUTE_PGM_RSRC2:TGID_Z_EN: 0
; COMPUTE_PGM_RSRC2:TIDIG_COMP_CNT: 0
; COMPUTE_PGM_RSRC3_GFX90A:ACCUM_OFFSET: 0
; COMPUTE_PGM_RSRC3_GFX90A:TG_SPLIT: 0
	.section	.text._ZN7rocprim17ROCPRIM_400000_NS6detail17trampoline_kernelINS0_14default_configENS1_38merge_sort_block_merge_config_selectorIsNS0_10empty_typeEEEZZNS1_27merge_sort_block_merge_implIS3_N6thrust23THRUST_200600_302600_NS6detail15normal_iteratorINS9_10device_ptrIsEEEEPS5_jNS1_19radix_merge_compareILb0ELb0EsNS0_19identity_decomposerEEEEE10hipError_tT0_T1_T2_jT3_P12ihipStream_tbPNSt15iterator_traitsISK_E10value_typeEPNSQ_ISL_E10value_typeEPSM_NS1_7vsmem_tEENKUlT_SK_SL_SM_E_clISE_PsSF_SF_EESJ_SZ_SK_SL_SM_EUlSZ_E0_NS1_11comp_targetILNS1_3genE8ELNS1_11target_archE1030ELNS1_3gpuE2ELNS1_3repE0EEENS1_38merge_mergepath_config_static_selectorELNS0_4arch9wavefront6targetE1EEEvSL_,"axG",@progbits,_ZN7rocprim17ROCPRIM_400000_NS6detail17trampoline_kernelINS0_14default_configENS1_38merge_sort_block_merge_config_selectorIsNS0_10empty_typeEEEZZNS1_27merge_sort_block_merge_implIS3_N6thrust23THRUST_200600_302600_NS6detail15normal_iteratorINS9_10device_ptrIsEEEEPS5_jNS1_19radix_merge_compareILb0ELb0EsNS0_19identity_decomposerEEEEE10hipError_tT0_T1_T2_jT3_P12ihipStream_tbPNSt15iterator_traitsISK_E10value_typeEPNSQ_ISL_E10value_typeEPSM_NS1_7vsmem_tEENKUlT_SK_SL_SM_E_clISE_PsSF_SF_EESJ_SZ_SK_SL_SM_EUlSZ_E0_NS1_11comp_targetILNS1_3genE8ELNS1_11target_archE1030ELNS1_3gpuE2ELNS1_3repE0EEENS1_38merge_mergepath_config_static_selectorELNS0_4arch9wavefront6targetE1EEEvSL_,comdat
	.protected	_ZN7rocprim17ROCPRIM_400000_NS6detail17trampoline_kernelINS0_14default_configENS1_38merge_sort_block_merge_config_selectorIsNS0_10empty_typeEEEZZNS1_27merge_sort_block_merge_implIS3_N6thrust23THRUST_200600_302600_NS6detail15normal_iteratorINS9_10device_ptrIsEEEEPS5_jNS1_19radix_merge_compareILb0ELb0EsNS0_19identity_decomposerEEEEE10hipError_tT0_T1_T2_jT3_P12ihipStream_tbPNSt15iterator_traitsISK_E10value_typeEPNSQ_ISL_E10value_typeEPSM_NS1_7vsmem_tEENKUlT_SK_SL_SM_E_clISE_PsSF_SF_EESJ_SZ_SK_SL_SM_EUlSZ_E0_NS1_11comp_targetILNS1_3genE8ELNS1_11target_archE1030ELNS1_3gpuE2ELNS1_3repE0EEENS1_38merge_mergepath_config_static_selectorELNS0_4arch9wavefront6targetE1EEEvSL_ ; -- Begin function _ZN7rocprim17ROCPRIM_400000_NS6detail17trampoline_kernelINS0_14default_configENS1_38merge_sort_block_merge_config_selectorIsNS0_10empty_typeEEEZZNS1_27merge_sort_block_merge_implIS3_N6thrust23THRUST_200600_302600_NS6detail15normal_iteratorINS9_10device_ptrIsEEEEPS5_jNS1_19radix_merge_compareILb0ELb0EsNS0_19identity_decomposerEEEEE10hipError_tT0_T1_T2_jT3_P12ihipStream_tbPNSt15iterator_traitsISK_E10value_typeEPNSQ_ISL_E10value_typeEPSM_NS1_7vsmem_tEENKUlT_SK_SL_SM_E_clISE_PsSF_SF_EESJ_SZ_SK_SL_SM_EUlSZ_E0_NS1_11comp_targetILNS1_3genE8ELNS1_11target_archE1030ELNS1_3gpuE2ELNS1_3repE0EEENS1_38merge_mergepath_config_static_selectorELNS0_4arch9wavefront6targetE1EEEvSL_
	.globl	_ZN7rocprim17ROCPRIM_400000_NS6detail17trampoline_kernelINS0_14default_configENS1_38merge_sort_block_merge_config_selectorIsNS0_10empty_typeEEEZZNS1_27merge_sort_block_merge_implIS3_N6thrust23THRUST_200600_302600_NS6detail15normal_iteratorINS9_10device_ptrIsEEEEPS5_jNS1_19radix_merge_compareILb0ELb0EsNS0_19identity_decomposerEEEEE10hipError_tT0_T1_T2_jT3_P12ihipStream_tbPNSt15iterator_traitsISK_E10value_typeEPNSQ_ISL_E10value_typeEPSM_NS1_7vsmem_tEENKUlT_SK_SL_SM_E_clISE_PsSF_SF_EESJ_SZ_SK_SL_SM_EUlSZ_E0_NS1_11comp_targetILNS1_3genE8ELNS1_11target_archE1030ELNS1_3gpuE2ELNS1_3repE0EEENS1_38merge_mergepath_config_static_selectorELNS0_4arch9wavefront6targetE1EEEvSL_
	.p2align	8
	.type	_ZN7rocprim17ROCPRIM_400000_NS6detail17trampoline_kernelINS0_14default_configENS1_38merge_sort_block_merge_config_selectorIsNS0_10empty_typeEEEZZNS1_27merge_sort_block_merge_implIS3_N6thrust23THRUST_200600_302600_NS6detail15normal_iteratorINS9_10device_ptrIsEEEEPS5_jNS1_19radix_merge_compareILb0ELb0EsNS0_19identity_decomposerEEEEE10hipError_tT0_T1_T2_jT3_P12ihipStream_tbPNSt15iterator_traitsISK_E10value_typeEPNSQ_ISL_E10value_typeEPSM_NS1_7vsmem_tEENKUlT_SK_SL_SM_E_clISE_PsSF_SF_EESJ_SZ_SK_SL_SM_EUlSZ_E0_NS1_11comp_targetILNS1_3genE8ELNS1_11target_archE1030ELNS1_3gpuE2ELNS1_3repE0EEENS1_38merge_mergepath_config_static_selectorELNS0_4arch9wavefront6targetE1EEEvSL_,@function
_ZN7rocprim17ROCPRIM_400000_NS6detail17trampoline_kernelINS0_14default_configENS1_38merge_sort_block_merge_config_selectorIsNS0_10empty_typeEEEZZNS1_27merge_sort_block_merge_implIS3_N6thrust23THRUST_200600_302600_NS6detail15normal_iteratorINS9_10device_ptrIsEEEEPS5_jNS1_19radix_merge_compareILb0ELb0EsNS0_19identity_decomposerEEEEE10hipError_tT0_T1_T2_jT3_P12ihipStream_tbPNSt15iterator_traitsISK_E10value_typeEPNSQ_ISL_E10value_typeEPSM_NS1_7vsmem_tEENKUlT_SK_SL_SM_E_clISE_PsSF_SF_EESJ_SZ_SK_SL_SM_EUlSZ_E0_NS1_11comp_targetILNS1_3genE8ELNS1_11target_archE1030ELNS1_3gpuE2ELNS1_3repE0EEENS1_38merge_mergepath_config_static_selectorELNS0_4arch9wavefront6targetE1EEEvSL_: ; @_ZN7rocprim17ROCPRIM_400000_NS6detail17trampoline_kernelINS0_14default_configENS1_38merge_sort_block_merge_config_selectorIsNS0_10empty_typeEEEZZNS1_27merge_sort_block_merge_implIS3_N6thrust23THRUST_200600_302600_NS6detail15normal_iteratorINS9_10device_ptrIsEEEEPS5_jNS1_19radix_merge_compareILb0ELb0EsNS0_19identity_decomposerEEEEE10hipError_tT0_T1_T2_jT3_P12ihipStream_tbPNSt15iterator_traitsISK_E10value_typeEPNSQ_ISL_E10value_typeEPSM_NS1_7vsmem_tEENKUlT_SK_SL_SM_E_clISE_PsSF_SF_EESJ_SZ_SK_SL_SM_EUlSZ_E0_NS1_11comp_targetILNS1_3genE8ELNS1_11target_archE1030ELNS1_3gpuE2ELNS1_3repE0EEENS1_38merge_mergepath_config_static_selectorELNS0_4arch9wavefront6targetE1EEEvSL_
; %bb.0:
	.section	.rodata,"a",@progbits
	.p2align	6, 0x0
	.amdhsa_kernel _ZN7rocprim17ROCPRIM_400000_NS6detail17trampoline_kernelINS0_14default_configENS1_38merge_sort_block_merge_config_selectorIsNS0_10empty_typeEEEZZNS1_27merge_sort_block_merge_implIS3_N6thrust23THRUST_200600_302600_NS6detail15normal_iteratorINS9_10device_ptrIsEEEEPS5_jNS1_19radix_merge_compareILb0ELb0EsNS0_19identity_decomposerEEEEE10hipError_tT0_T1_T2_jT3_P12ihipStream_tbPNSt15iterator_traitsISK_E10value_typeEPNSQ_ISL_E10value_typeEPSM_NS1_7vsmem_tEENKUlT_SK_SL_SM_E_clISE_PsSF_SF_EESJ_SZ_SK_SL_SM_EUlSZ_E0_NS1_11comp_targetILNS1_3genE8ELNS1_11target_archE1030ELNS1_3gpuE2ELNS1_3repE0EEENS1_38merge_mergepath_config_static_selectorELNS0_4arch9wavefront6targetE1EEEvSL_
		.amdhsa_group_segment_fixed_size 0
		.amdhsa_private_segment_fixed_size 0
		.amdhsa_kernarg_size 64
		.amdhsa_user_sgpr_count 2
		.amdhsa_user_sgpr_dispatch_ptr 0
		.amdhsa_user_sgpr_queue_ptr 0
		.amdhsa_user_sgpr_kernarg_segment_ptr 1
		.amdhsa_user_sgpr_dispatch_id 0
		.amdhsa_user_sgpr_kernarg_preload_length 0
		.amdhsa_user_sgpr_kernarg_preload_offset 0
		.amdhsa_user_sgpr_private_segment_size 0
		.amdhsa_uses_dynamic_stack 0
		.amdhsa_enable_private_segment 0
		.amdhsa_system_sgpr_workgroup_id_x 1
		.amdhsa_system_sgpr_workgroup_id_y 0
		.amdhsa_system_sgpr_workgroup_id_z 0
		.amdhsa_system_sgpr_workgroup_info 0
		.amdhsa_system_vgpr_workitem_id 0
		.amdhsa_next_free_vgpr 1
		.amdhsa_next_free_sgpr 0
		.amdhsa_accum_offset 4
		.amdhsa_reserve_vcc 0
		.amdhsa_float_round_mode_32 0
		.amdhsa_float_round_mode_16_64 0
		.amdhsa_float_denorm_mode_32 3
		.amdhsa_float_denorm_mode_16_64 3
		.amdhsa_dx10_clamp 1
		.amdhsa_ieee_mode 1
		.amdhsa_fp16_overflow 0
		.amdhsa_tg_split 0
		.amdhsa_exception_fp_ieee_invalid_op 0
		.amdhsa_exception_fp_denorm_src 0
		.amdhsa_exception_fp_ieee_div_zero 0
		.amdhsa_exception_fp_ieee_overflow 0
		.amdhsa_exception_fp_ieee_underflow 0
		.amdhsa_exception_fp_ieee_inexact 0
		.amdhsa_exception_int_div_zero 0
	.end_amdhsa_kernel
	.section	.text._ZN7rocprim17ROCPRIM_400000_NS6detail17trampoline_kernelINS0_14default_configENS1_38merge_sort_block_merge_config_selectorIsNS0_10empty_typeEEEZZNS1_27merge_sort_block_merge_implIS3_N6thrust23THRUST_200600_302600_NS6detail15normal_iteratorINS9_10device_ptrIsEEEEPS5_jNS1_19radix_merge_compareILb0ELb0EsNS0_19identity_decomposerEEEEE10hipError_tT0_T1_T2_jT3_P12ihipStream_tbPNSt15iterator_traitsISK_E10value_typeEPNSQ_ISL_E10value_typeEPSM_NS1_7vsmem_tEENKUlT_SK_SL_SM_E_clISE_PsSF_SF_EESJ_SZ_SK_SL_SM_EUlSZ_E0_NS1_11comp_targetILNS1_3genE8ELNS1_11target_archE1030ELNS1_3gpuE2ELNS1_3repE0EEENS1_38merge_mergepath_config_static_selectorELNS0_4arch9wavefront6targetE1EEEvSL_,"axG",@progbits,_ZN7rocprim17ROCPRIM_400000_NS6detail17trampoline_kernelINS0_14default_configENS1_38merge_sort_block_merge_config_selectorIsNS0_10empty_typeEEEZZNS1_27merge_sort_block_merge_implIS3_N6thrust23THRUST_200600_302600_NS6detail15normal_iteratorINS9_10device_ptrIsEEEEPS5_jNS1_19radix_merge_compareILb0ELb0EsNS0_19identity_decomposerEEEEE10hipError_tT0_T1_T2_jT3_P12ihipStream_tbPNSt15iterator_traitsISK_E10value_typeEPNSQ_ISL_E10value_typeEPSM_NS1_7vsmem_tEENKUlT_SK_SL_SM_E_clISE_PsSF_SF_EESJ_SZ_SK_SL_SM_EUlSZ_E0_NS1_11comp_targetILNS1_3genE8ELNS1_11target_archE1030ELNS1_3gpuE2ELNS1_3repE0EEENS1_38merge_mergepath_config_static_selectorELNS0_4arch9wavefront6targetE1EEEvSL_,comdat
.Lfunc_end1857:
	.size	_ZN7rocprim17ROCPRIM_400000_NS6detail17trampoline_kernelINS0_14default_configENS1_38merge_sort_block_merge_config_selectorIsNS0_10empty_typeEEEZZNS1_27merge_sort_block_merge_implIS3_N6thrust23THRUST_200600_302600_NS6detail15normal_iteratorINS9_10device_ptrIsEEEEPS5_jNS1_19radix_merge_compareILb0ELb0EsNS0_19identity_decomposerEEEEE10hipError_tT0_T1_T2_jT3_P12ihipStream_tbPNSt15iterator_traitsISK_E10value_typeEPNSQ_ISL_E10value_typeEPSM_NS1_7vsmem_tEENKUlT_SK_SL_SM_E_clISE_PsSF_SF_EESJ_SZ_SK_SL_SM_EUlSZ_E0_NS1_11comp_targetILNS1_3genE8ELNS1_11target_archE1030ELNS1_3gpuE2ELNS1_3repE0EEENS1_38merge_mergepath_config_static_selectorELNS0_4arch9wavefront6targetE1EEEvSL_, .Lfunc_end1857-_ZN7rocprim17ROCPRIM_400000_NS6detail17trampoline_kernelINS0_14default_configENS1_38merge_sort_block_merge_config_selectorIsNS0_10empty_typeEEEZZNS1_27merge_sort_block_merge_implIS3_N6thrust23THRUST_200600_302600_NS6detail15normal_iteratorINS9_10device_ptrIsEEEEPS5_jNS1_19radix_merge_compareILb0ELb0EsNS0_19identity_decomposerEEEEE10hipError_tT0_T1_T2_jT3_P12ihipStream_tbPNSt15iterator_traitsISK_E10value_typeEPNSQ_ISL_E10value_typeEPSM_NS1_7vsmem_tEENKUlT_SK_SL_SM_E_clISE_PsSF_SF_EESJ_SZ_SK_SL_SM_EUlSZ_E0_NS1_11comp_targetILNS1_3genE8ELNS1_11target_archE1030ELNS1_3gpuE2ELNS1_3repE0EEENS1_38merge_mergepath_config_static_selectorELNS0_4arch9wavefront6targetE1EEEvSL_
                                        ; -- End function
	.section	.AMDGPU.csdata,"",@progbits
; Kernel info:
; codeLenInByte = 0
; NumSgprs: 6
; NumVgprs: 0
; NumAgprs: 0
; TotalNumVgprs: 0
; ScratchSize: 0
; MemoryBound: 0
; FloatMode: 240
; IeeeMode: 1
; LDSByteSize: 0 bytes/workgroup (compile time only)
; SGPRBlocks: 0
; VGPRBlocks: 0
; NumSGPRsForWavesPerEU: 6
; NumVGPRsForWavesPerEU: 1
; AccumOffset: 4
; Occupancy: 8
; WaveLimiterHint : 0
; COMPUTE_PGM_RSRC2:SCRATCH_EN: 0
; COMPUTE_PGM_RSRC2:USER_SGPR: 2
; COMPUTE_PGM_RSRC2:TRAP_HANDLER: 0
; COMPUTE_PGM_RSRC2:TGID_X_EN: 1
; COMPUTE_PGM_RSRC2:TGID_Y_EN: 0
; COMPUTE_PGM_RSRC2:TGID_Z_EN: 0
; COMPUTE_PGM_RSRC2:TIDIG_COMP_CNT: 0
; COMPUTE_PGM_RSRC3_GFX90A:ACCUM_OFFSET: 0
; COMPUTE_PGM_RSRC3_GFX90A:TG_SPLIT: 0
	.section	.text._ZN7rocprim17ROCPRIM_400000_NS6detail17trampoline_kernelINS0_14default_configENS1_38merge_sort_block_merge_config_selectorIsNS0_10empty_typeEEEZZNS1_27merge_sort_block_merge_implIS3_N6thrust23THRUST_200600_302600_NS6detail15normal_iteratorINS9_10device_ptrIsEEEEPS5_jNS1_19radix_merge_compareILb0ELb0EsNS0_19identity_decomposerEEEEE10hipError_tT0_T1_T2_jT3_P12ihipStream_tbPNSt15iterator_traitsISK_E10value_typeEPNSQ_ISL_E10value_typeEPSM_NS1_7vsmem_tEENKUlT_SK_SL_SM_E_clISE_PsSF_SF_EESJ_SZ_SK_SL_SM_EUlSZ_E1_NS1_11comp_targetILNS1_3genE0ELNS1_11target_archE4294967295ELNS1_3gpuE0ELNS1_3repE0EEENS1_36merge_oddeven_config_static_selectorELNS0_4arch9wavefront6targetE1EEEvSL_,"axG",@progbits,_ZN7rocprim17ROCPRIM_400000_NS6detail17trampoline_kernelINS0_14default_configENS1_38merge_sort_block_merge_config_selectorIsNS0_10empty_typeEEEZZNS1_27merge_sort_block_merge_implIS3_N6thrust23THRUST_200600_302600_NS6detail15normal_iteratorINS9_10device_ptrIsEEEEPS5_jNS1_19radix_merge_compareILb0ELb0EsNS0_19identity_decomposerEEEEE10hipError_tT0_T1_T2_jT3_P12ihipStream_tbPNSt15iterator_traitsISK_E10value_typeEPNSQ_ISL_E10value_typeEPSM_NS1_7vsmem_tEENKUlT_SK_SL_SM_E_clISE_PsSF_SF_EESJ_SZ_SK_SL_SM_EUlSZ_E1_NS1_11comp_targetILNS1_3genE0ELNS1_11target_archE4294967295ELNS1_3gpuE0ELNS1_3repE0EEENS1_36merge_oddeven_config_static_selectorELNS0_4arch9wavefront6targetE1EEEvSL_,comdat
	.protected	_ZN7rocprim17ROCPRIM_400000_NS6detail17trampoline_kernelINS0_14default_configENS1_38merge_sort_block_merge_config_selectorIsNS0_10empty_typeEEEZZNS1_27merge_sort_block_merge_implIS3_N6thrust23THRUST_200600_302600_NS6detail15normal_iteratorINS9_10device_ptrIsEEEEPS5_jNS1_19radix_merge_compareILb0ELb0EsNS0_19identity_decomposerEEEEE10hipError_tT0_T1_T2_jT3_P12ihipStream_tbPNSt15iterator_traitsISK_E10value_typeEPNSQ_ISL_E10value_typeEPSM_NS1_7vsmem_tEENKUlT_SK_SL_SM_E_clISE_PsSF_SF_EESJ_SZ_SK_SL_SM_EUlSZ_E1_NS1_11comp_targetILNS1_3genE0ELNS1_11target_archE4294967295ELNS1_3gpuE0ELNS1_3repE0EEENS1_36merge_oddeven_config_static_selectorELNS0_4arch9wavefront6targetE1EEEvSL_ ; -- Begin function _ZN7rocprim17ROCPRIM_400000_NS6detail17trampoline_kernelINS0_14default_configENS1_38merge_sort_block_merge_config_selectorIsNS0_10empty_typeEEEZZNS1_27merge_sort_block_merge_implIS3_N6thrust23THRUST_200600_302600_NS6detail15normal_iteratorINS9_10device_ptrIsEEEEPS5_jNS1_19radix_merge_compareILb0ELb0EsNS0_19identity_decomposerEEEEE10hipError_tT0_T1_T2_jT3_P12ihipStream_tbPNSt15iterator_traitsISK_E10value_typeEPNSQ_ISL_E10value_typeEPSM_NS1_7vsmem_tEENKUlT_SK_SL_SM_E_clISE_PsSF_SF_EESJ_SZ_SK_SL_SM_EUlSZ_E1_NS1_11comp_targetILNS1_3genE0ELNS1_11target_archE4294967295ELNS1_3gpuE0ELNS1_3repE0EEENS1_36merge_oddeven_config_static_selectorELNS0_4arch9wavefront6targetE1EEEvSL_
	.globl	_ZN7rocprim17ROCPRIM_400000_NS6detail17trampoline_kernelINS0_14default_configENS1_38merge_sort_block_merge_config_selectorIsNS0_10empty_typeEEEZZNS1_27merge_sort_block_merge_implIS3_N6thrust23THRUST_200600_302600_NS6detail15normal_iteratorINS9_10device_ptrIsEEEEPS5_jNS1_19radix_merge_compareILb0ELb0EsNS0_19identity_decomposerEEEEE10hipError_tT0_T1_T2_jT3_P12ihipStream_tbPNSt15iterator_traitsISK_E10value_typeEPNSQ_ISL_E10value_typeEPSM_NS1_7vsmem_tEENKUlT_SK_SL_SM_E_clISE_PsSF_SF_EESJ_SZ_SK_SL_SM_EUlSZ_E1_NS1_11comp_targetILNS1_3genE0ELNS1_11target_archE4294967295ELNS1_3gpuE0ELNS1_3repE0EEENS1_36merge_oddeven_config_static_selectorELNS0_4arch9wavefront6targetE1EEEvSL_
	.p2align	8
	.type	_ZN7rocprim17ROCPRIM_400000_NS6detail17trampoline_kernelINS0_14default_configENS1_38merge_sort_block_merge_config_selectorIsNS0_10empty_typeEEEZZNS1_27merge_sort_block_merge_implIS3_N6thrust23THRUST_200600_302600_NS6detail15normal_iteratorINS9_10device_ptrIsEEEEPS5_jNS1_19radix_merge_compareILb0ELb0EsNS0_19identity_decomposerEEEEE10hipError_tT0_T1_T2_jT3_P12ihipStream_tbPNSt15iterator_traitsISK_E10value_typeEPNSQ_ISL_E10value_typeEPSM_NS1_7vsmem_tEENKUlT_SK_SL_SM_E_clISE_PsSF_SF_EESJ_SZ_SK_SL_SM_EUlSZ_E1_NS1_11comp_targetILNS1_3genE0ELNS1_11target_archE4294967295ELNS1_3gpuE0ELNS1_3repE0EEENS1_36merge_oddeven_config_static_selectorELNS0_4arch9wavefront6targetE1EEEvSL_,@function
_ZN7rocprim17ROCPRIM_400000_NS6detail17trampoline_kernelINS0_14default_configENS1_38merge_sort_block_merge_config_selectorIsNS0_10empty_typeEEEZZNS1_27merge_sort_block_merge_implIS3_N6thrust23THRUST_200600_302600_NS6detail15normal_iteratorINS9_10device_ptrIsEEEEPS5_jNS1_19radix_merge_compareILb0ELb0EsNS0_19identity_decomposerEEEEE10hipError_tT0_T1_T2_jT3_P12ihipStream_tbPNSt15iterator_traitsISK_E10value_typeEPNSQ_ISL_E10value_typeEPSM_NS1_7vsmem_tEENKUlT_SK_SL_SM_E_clISE_PsSF_SF_EESJ_SZ_SK_SL_SM_EUlSZ_E1_NS1_11comp_targetILNS1_3genE0ELNS1_11target_archE4294967295ELNS1_3gpuE0ELNS1_3repE0EEENS1_36merge_oddeven_config_static_selectorELNS0_4arch9wavefront6targetE1EEEvSL_: ; @_ZN7rocprim17ROCPRIM_400000_NS6detail17trampoline_kernelINS0_14default_configENS1_38merge_sort_block_merge_config_selectorIsNS0_10empty_typeEEEZZNS1_27merge_sort_block_merge_implIS3_N6thrust23THRUST_200600_302600_NS6detail15normal_iteratorINS9_10device_ptrIsEEEEPS5_jNS1_19radix_merge_compareILb0ELb0EsNS0_19identity_decomposerEEEEE10hipError_tT0_T1_T2_jT3_P12ihipStream_tbPNSt15iterator_traitsISK_E10value_typeEPNSQ_ISL_E10value_typeEPSM_NS1_7vsmem_tEENKUlT_SK_SL_SM_E_clISE_PsSF_SF_EESJ_SZ_SK_SL_SM_EUlSZ_E1_NS1_11comp_targetILNS1_3genE0ELNS1_11target_archE4294967295ELNS1_3gpuE0ELNS1_3repE0EEENS1_36merge_oddeven_config_static_selectorELNS0_4arch9wavefront6targetE1EEEvSL_
; %bb.0:
	.section	.rodata,"a",@progbits
	.p2align	6, 0x0
	.amdhsa_kernel _ZN7rocprim17ROCPRIM_400000_NS6detail17trampoline_kernelINS0_14default_configENS1_38merge_sort_block_merge_config_selectorIsNS0_10empty_typeEEEZZNS1_27merge_sort_block_merge_implIS3_N6thrust23THRUST_200600_302600_NS6detail15normal_iteratorINS9_10device_ptrIsEEEEPS5_jNS1_19radix_merge_compareILb0ELb0EsNS0_19identity_decomposerEEEEE10hipError_tT0_T1_T2_jT3_P12ihipStream_tbPNSt15iterator_traitsISK_E10value_typeEPNSQ_ISL_E10value_typeEPSM_NS1_7vsmem_tEENKUlT_SK_SL_SM_E_clISE_PsSF_SF_EESJ_SZ_SK_SL_SM_EUlSZ_E1_NS1_11comp_targetILNS1_3genE0ELNS1_11target_archE4294967295ELNS1_3gpuE0ELNS1_3repE0EEENS1_36merge_oddeven_config_static_selectorELNS0_4arch9wavefront6targetE1EEEvSL_
		.amdhsa_group_segment_fixed_size 0
		.amdhsa_private_segment_fixed_size 0
		.amdhsa_kernarg_size 48
		.amdhsa_user_sgpr_count 2
		.amdhsa_user_sgpr_dispatch_ptr 0
		.amdhsa_user_sgpr_queue_ptr 0
		.amdhsa_user_sgpr_kernarg_segment_ptr 1
		.amdhsa_user_sgpr_dispatch_id 0
		.amdhsa_user_sgpr_kernarg_preload_length 0
		.amdhsa_user_sgpr_kernarg_preload_offset 0
		.amdhsa_user_sgpr_private_segment_size 0
		.amdhsa_uses_dynamic_stack 0
		.amdhsa_enable_private_segment 0
		.amdhsa_system_sgpr_workgroup_id_x 1
		.amdhsa_system_sgpr_workgroup_id_y 0
		.amdhsa_system_sgpr_workgroup_id_z 0
		.amdhsa_system_sgpr_workgroup_info 0
		.amdhsa_system_vgpr_workitem_id 0
		.amdhsa_next_free_vgpr 1
		.amdhsa_next_free_sgpr 0
		.amdhsa_accum_offset 4
		.amdhsa_reserve_vcc 0
		.amdhsa_float_round_mode_32 0
		.amdhsa_float_round_mode_16_64 0
		.amdhsa_float_denorm_mode_32 3
		.amdhsa_float_denorm_mode_16_64 3
		.amdhsa_dx10_clamp 1
		.amdhsa_ieee_mode 1
		.amdhsa_fp16_overflow 0
		.amdhsa_tg_split 0
		.amdhsa_exception_fp_ieee_invalid_op 0
		.amdhsa_exception_fp_denorm_src 0
		.amdhsa_exception_fp_ieee_div_zero 0
		.amdhsa_exception_fp_ieee_overflow 0
		.amdhsa_exception_fp_ieee_underflow 0
		.amdhsa_exception_fp_ieee_inexact 0
		.amdhsa_exception_int_div_zero 0
	.end_amdhsa_kernel
	.section	.text._ZN7rocprim17ROCPRIM_400000_NS6detail17trampoline_kernelINS0_14default_configENS1_38merge_sort_block_merge_config_selectorIsNS0_10empty_typeEEEZZNS1_27merge_sort_block_merge_implIS3_N6thrust23THRUST_200600_302600_NS6detail15normal_iteratorINS9_10device_ptrIsEEEEPS5_jNS1_19radix_merge_compareILb0ELb0EsNS0_19identity_decomposerEEEEE10hipError_tT0_T1_T2_jT3_P12ihipStream_tbPNSt15iterator_traitsISK_E10value_typeEPNSQ_ISL_E10value_typeEPSM_NS1_7vsmem_tEENKUlT_SK_SL_SM_E_clISE_PsSF_SF_EESJ_SZ_SK_SL_SM_EUlSZ_E1_NS1_11comp_targetILNS1_3genE0ELNS1_11target_archE4294967295ELNS1_3gpuE0ELNS1_3repE0EEENS1_36merge_oddeven_config_static_selectorELNS0_4arch9wavefront6targetE1EEEvSL_,"axG",@progbits,_ZN7rocprim17ROCPRIM_400000_NS6detail17trampoline_kernelINS0_14default_configENS1_38merge_sort_block_merge_config_selectorIsNS0_10empty_typeEEEZZNS1_27merge_sort_block_merge_implIS3_N6thrust23THRUST_200600_302600_NS6detail15normal_iteratorINS9_10device_ptrIsEEEEPS5_jNS1_19radix_merge_compareILb0ELb0EsNS0_19identity_decomposerEEEEE10hipError_tT0_T1_T2_jT3_P12ihipStream_tbPNSt15iterator_traitsISK_E10value_typeEPNSQ_ISL_E10value_typeEPSM_NS1_7vsmem_tEENKUlT_SK_SL_SM_E_clISE_PsSF_SF_EESJ_SZ_SK_SL_SM_EUlSZ_E1_NS1_11comp_targetILNS1_3genE0ELNS1_11target_archE4294967295ELNS1_3gpuE0ELNS1_3repE0EEENS1_36merge_oddeven_config_static_selectorELNS0_4arch9wavefront6targetE1EEEvSL_,comdat
.Lfunc_end1858:
	.size	_ZN7rocprim17ROCPRIM_400000_NS6detail17trampoline_kernelINS0_14default_configENS1_38merge_sort_block_merge_config_selectorIsNS0_10empty_typeEEEZZNS1_27merge_sort_block_merge_implIS3_N6thrust23THRUST_200600_302600_NS6detail15normal_iteratorINS9_10device_ptrIsEEEEPS5_jNS1_19radix_merge_compareILb0ELb0EsNS0_19identity_decomposerEEEEE10hipError_tT0_T1_T2_jT3_P12ihipStream_tbPNSt15iterator_traitsISK_E10value_typeEPNSQ_ISL_E10value_typeEPSM_NS1_7vsmem_tEENKUlT_SK_SL_SM_E_clISE_PsSF_SF_EESJ_SZ_SK_SL_SM_EUlSZ_E1_NS1_11comp_targetILNS1_3genE0ELNS1_11target_archE4294967295ELNS1_3gpuE0ELNS1_3repE0EEENS1_36merge_oddeven_config_static_selectorELNS0_4arch9wavefront6targetE1EEEvSL_, .Lfunc_end1858-_ZN7rocprim17ROCPRIM_400000_NS6detail17trampoline_kernelINS0_14default_configENS1_38merge_sort_block_merge_config_selectorIsNS0_10empty_typeEEEZZNS1_27merge_sort_block_merge_implIS3_N6thrust23THRUST_200600_302600_NS6detail15normal_iteratorINS9_10device_ptrIsEEEEPS5_jNS1_19radix_merge_compareILb0ELb0EsNS0_19identity_decomposerEEEEE10hipError_tT0_T1_T2_jT3_P12ihipStream_tbPNSt15iterator_traitsISK_E10value_typeEPNSQ_ISL_E10value_typeEPSM_NS1_7vsmem_tEENKUlT_SK_SL_SM_E_clISE_PsSF_SF_EESJ_SZ_SK_SL_SM_EUlSZ_E1_NS1_11comp_targetILNS1_3genE0ELNS1_11target_archE4294967295ELNS1_3gpuE0ELNS1_3repE0EEENS1_36merge_oddeven_config_static_selectorELNS0_4arch9wavefront6targetE1EEEvSL_
                                        ; -- End function
	.section	.AMDGPU.csdata,"",@progbits
; Kernel info:
; codeLenInByte = 0
; NumSgprs: 6
; NumVgprs: 0
; NumAgprs: 0
; TotalNumVgprs: 0
; ScratchSize: 0
; MemoryBound: 0
; FloatMode: 240
; IeeeMode: 1
; LDSByteSize: 0 bytes/workgroup (compile time only)
; SGPRBlocks: 0
; VGPRBlocks: 0
; NumSGPRsForWavesPerEU: 6
; NumVGPRsForWavesPerEU: 1
; AccumOffset: 4
; Occupancy: 8
; WaveLimiterHint : 0
; COMPUTE_PGM_RSRC2:SCRATCH_EN: 0
; COMPUTE_PGM_RSRC2:USER_SGPR: 2
; COMPUTE_PGM_RSRC2:TRAP_HANDLER: 0
; COMPUTE_PGM_RSRC2:TGID_X_EN: 1
; COMPUTE_PGM_RSRC2:TGID_Y_EN: 0
; COMPUTE_PGM_RSRC2:TGID_Z_EN: 0
; COMPUTE_PGM_RSRC2:TIDIG_COMP_CNT: 0
; COMPUTE_PGM_RSRC3_GFX90A:ACCUM_OFFSET: 0
; COMPUTE_PGM_RSRC3_GFX90A:TG_SPLIT: 0
	.section	.text._ZN7rocprim17ROCPRIM_400000_NS6detail17trampoline_kernelINS0_14default_configENS1_38merge_sort_block_merge_config_selectorIsNS0_10empty_typeEEEZZNS1_27merge_sort_block_merge_implIS3_N6thrust23THRUST_200600_302600_NS6detail15normal_iteratorINS9_10device_ptrIsEEEEPS5_jNS1_19radix_merge_compareILb0ELb0EsNS0_19identity_decomposerEEEEE10hipError_tT0_T1_T2_jT3_P12ihipStream_tbPNSt15iterator_traitsISK_E10value_typeEPNSQ_ISL_E10value_typeEPSM_NS1_7vsmem_tEENKUlT_SK_SL_SM_E_clISE_PsSF_SF_EESJ_SZ_SK_SL_SM_EUlSZ_E1_NS1_11comp_targetILNS1_3genE10ELNS1_11target_archE1201ELNS1_3gpuE5ELNS1_3repE0EEENS1_36merge_oddeven_config_static_selectorELNS0_4arch9wavefront6targetE1EEEvSL_,"axG",@progbits,_ZN7rocprim17ROCPRIM_400000_NS6detail17trampoline_kernelINS0_14default_configENS1_38merge_sort_block_merge_config_selectorIsNS0_10empty_typeEEEZZNS1_27merge_sort_block_merge_implIS3_N6thrust23THRUST_200600_302600_NS6detail15normal_iteratorINS9_10device_ptrIsEEEEPS5_jNS1_19radix_merge_compareILb0ELb0EsNS0_19identity_decomposerEEEEE10hipError_tT0_T1_T2_jT3_P12ihipStream_tbPNSt15iterator_traitsISK_E10value_typeEPNSQ_ISL_E10value_typeEPSM_NS1_7vsmem_tEENKUlT_SK_SL_SM_E_clISE_PsSF_SF_EESJ_SZ_SK_SL_SM_EUlSZ_E1_NS1_11comp_targetILNS1_3genE10ELNS1_11target_archE1201ELNS1_3gpuE5ELNS1_3repE0EEENS1_36merge_oddeven_config_static_selectorELNS0_4arch9wavefront6targetE1EEEvSL_,comdat
	.protected	_ZN7rocprim17ROCPRIM_400000_NS6detail17trampoline_kernelINS0_14default_configENS1_38merge_sort_block_merge_config_selectorIsNS0_10empty_typeEEEZZNS1_27merge_sort_block_merge_implIS3_N6thrust23THRUST_200600_302600_NS6detail15normal_iteratorINS9_10device_ptrIsEEEEPS5_jNS1_19radix_merge_compareILb0ELb0EsNS0_19identity_decomposerEEEEE10hipError_tT0_T1_T2_jT3_P12ihipStream_tbPNSt15iterator_traitsISK_E10value_typeEPNSQ_ISL_E10value_typeEPSM_NS1_7vsmem_tEENKUlT_SK_SL_SM_E_clISE_PsSF_SF_EESJ_SZ_SK_SL_SM_EUlSZ_E1_NS1_11comp_targetILNS1_3genE10ELNS1_11target_archE1201ELNS1_3gpuE5ELNS1_3repE0EEENS1_36merge_oddeven_config_static_selectorELNS0_4arch9wavefront6targetE1EEEvSL_ ; -- Begin function _ZN7rocprim17ROCPRIM_400000_NS6detail17trampoline_kernelINS0_14default_configENS1_38merge_sort_block_merge_config_selectorIsNS0_10empty_typeEEEZZNS1_27merge_sort_block_merge_implIS3_N6thrust23THRUST_200600_302600_NS6detail15normal_iteratorINS9_10device_ptrIsEEEEPS5_jNS1_19radix_merge_compareILb0ELb0EsNS0_19identity_decomposerEEEEE10hipError_tT0_T1_T2_jT3_P12ihipStream_tbPNSt15iterator_traitsISK_E10value_typeEPNSQ_ISL_E10value_typeEPSM_NS1_7vsmem_tEENKUlT_SK_SL_SM_E_clISE_PsSF_SF_EESJ_SZ_SK_SL_SM_EUlSZ_E1_NS1_11comp_targetILNS1_3genE10ELNS1_11target_archE1201ELNS1_3gpuE5ELNS1_3repE0EEENS1_36merge_oddeven_config_static_selectorELNS0_4arch9wavefront6targetE1EEEvSL_
	.globl	_ZN7rocprim17ROCPRIM_400000_NS6detail17trampoline_kernelINS0_14default_configENS1_38merge_sort_block_merge_config_selectorIsNS0_10empty_typeEEEZZNS1_27merge_sort_block_merge_implIS3_N6thrust23THRUST_200600_302600_NS6detail15normal_iteratorINS9_10device_ptrIsEEEEPS5_jNS1_19radix_merge_compareILb0ELb0EsNS0_19identity_decomposerEEEEE10hipError_tT0_T1_T2_jT3_P12ihipStream_tbPNSt15iterator_traitsISK_E10value_typeEPNSQ_ISL_E10value_typeEPSM_NS1_7vsmem_tEENKUlT_SK_SL_SM_E_clISE_PsSF_SF_EESJ_SZ_SK_SL_SM_EUlSZ_E1_NS1_11comp_targetILNS1_3genE10ELNS1_11target_archE1201ELNS1_3gpuE5ELNS1_3repE0EEENS1_36merge_oddeven_config_static_selectorELNS0_4arch9wavefront6targetE1EEEvSL_
	.p2align	8
	.type	_ZN7rocprim17ROCPRIM_400000_NS6detail17trampoline_kernelINS0_14default_configENS1_38merge_sort_block_merge_config_selectorIsNS0_10empty_typeEEEZZNS1_27merge_sort_block_merge_implIS3_N6thrust23THRUST_200600_302600_NS6detail15normal_iteratorINS9_10device_ptrIsEEEEPS5_jNS1_19radix_merge_compareILb0ELb0EsNS0_19identity_decomposerEEEEE10hipError_tT0_T1_T2_jT3_P12ihipStream_tbPNSt15iterator_traitsISK_E10value_typeEPNSQ_ISL_E10value_typeEPSM_NS1_7vsmem_tEENKUlT_SK_SL_SM_E_clISE_PsSF_SF_EESJ_SZ_SK_SL_SM_EUlSZ_E1_NS1_11comp_targetILNS1_3genE10ELNS1_11target_archE1201ELNS1_3gpuE5ELNS1_3repE0EEENS1_36merge_oddeven_config_static_selectorELNS0_4arch9wavefront6targetE1EEEvSL_,@function
_ZN7rocprim17ROCPRIM_400000_NS6detail17trampoline_kernelINS0_14default_configENS1_38merge_sort_block_merge_config_selectorIsNS0_10empty_typeEEEZZNS1_27merge_sort_block_merge_implIS3_N6thrust23THRUST_200600_302600_NS6detail15normal_iteratorINS9_10device_ptrIsEEEEPS5_jNS1_19radix_merge_compareILb0ELb0EsNS0_19identity_decomposerEEEEE10hipError_tT0_T1_T2_jT3_P12ihipStream_tbPNSt15iterator_traitsISK_E10value_typeEPNSQ_ISL_E10value_typeEPSM_NS1_7vsmem_tEENKUlT_SK_SL_SM_E_clISE_PsSF_SF_EESJ_SZ_SK_SL_SM_EUlSZ_E1_NS1_11comp_targetILNS1_3genE10ELNS1_11target_archE1201ELNS1_3gpuE5ELNS1_3repE0EEENS1_36merge_oddeven_config_static_selectorELNS0_4arch9wavefront6targetE1EEEvSL_: ; @_ZN7rocprim17ROCPRIM_400000_NS6detail17trampoline_kernelINS0_14default_configENS1_38merge_sort_block_merge_config_selectorIsNS0_10empty_typeEEEZZNS1_27merge_sort_block_merge_implIS3_N6thrust23THRUST_200600_302600_NS6detail15normal_iteratorINS9_10device_ptrIsEEEEPS5_jNS1_19radix_merge_compareILb0ELb0EsNS0_19identity_decomposerEEEEE10hipError_tT0_T1_T2_jT3_P12ihipStream_tbPNSt15iterator_traitsISK_E10value_typeEPNSQ_ISL_E10value_typeEPSM_NS1_7vsmem_tEENKUlT_SK_SL_SM_E_clISE_PsSF_SF_EESJ_SZ_SK_SL_SM_EUlSZ_E1_NS1_11comp_targetILNS1_3genE10ELNS1_11target_archE1201ELNS1_3gpuE5ELNS1_3repE0EEENS1_36merge_oddeven_config_static_selectorELNS0_4arch9wavefront6targetE1EEEvSL_
; %bb.0:
	.section	.rodata,"a",@progbits
	.p2align	6, 0x0
	.amdhsa_kernel _ZN7rocprim17ROCPRIM_400000_NS6detail17trampoline_kernelINS0_14default_configENS1_38merge_sort_block_merge_config_selectorIsNS0_10empty_typeEEEZZNS1_27merge_sort_block_merge_implIS3_N6thrust23THRUST_200600_302600_NS6detail15normal_iteratorINS9_10device_ptrIsEEEEPS5_jNS1_19radix_merge_compareILb0ELb0EsNS0_19identity_decomposerEEEEE10hipError_tT0_T1_T2_jT3_P12ihipStream_tbPNSt15iterator_traitsISK_E10value_typeEPNSQ_ISL_E10value_typeEPSM_NS1_7vsmem_tEENKUlT_SK_SL_SM_E_clISE_PsSF_SF_EESJ_SZ_SK_SL_SM_EUlSZ_E1_NS1_11comp_targetILNS1_3genE10ELNS1_11target_archE1201ELNS1_3gpuE5ELNS1_3repE0EEENS1_36merge_oddeven_config_static_selectorELNS0_4arch9wavefront6targetE1EEEvSL_
		.amdhsa_group_segment_fixed_size 0
		.amdhsa_private_segment_fixed_size 0
		.amdhsa_kernarg_size 48
		.amdhsa_user_sgpr_count 2
		.amdhsa_user_sgpr_dispatch_ptr 0
		.amdhsa_user_sgpr_queue_ptr 0
		.amdhsa_user_sgpr_kernarg_segment_ptr 1
		.amdhsa_user_sgpr_dispatch_id 0
		.amdhsa_user_sgpr_kernarg_preload_length 0
		.amdhsa_user_sgpr_kernarg_preload_offset 0
		.amdhsa_user_sgpr_private_segment_size 0
		.amdhsa_uses_dynamic_stack 0
		.amdhsa_enable_private_segment 0
		.amdhsa_system_sgpr_workgroup_id_x 1
		.amdhsa_system_sgpr_workgroup_id_y 0
		.amdhsa_system_sgpr_workgroup_id_z 0
		.amdhsa_system_sgpr_workgroup_info 0
		.amdhsa_system_vgpr_workitem_id 0
		.amdhsa_next_free_vgpr 1
		.amdhsa_next_free_sgpr 0
		.amdhsa_accum_offset 4
		.amdhsa_reserve_vcc 0
		.amdhsa_float_round_mode_32 0
		.amdhsa_float_round_mode_16_64 0
		.amdhsa_float_denorm_mode_32 3
		.amdhsa_float_denorm_mode_16_64 3
		.amdhsa_dx10_clamp 1
		.amdhsa_ieee_mode 1
		.amdhsa_fp16_overflow 0
		.amdhsa_tg_split 0
		.amdhsa_exception_fp_ieee_invalid_op 0
		.amdhsa_exception_fp_denorm_src 0
		.amdhsa_exception_fp_ieee_div_zero 0
		.amdhsa_exception_fp_ieee_overflow 0
		.amdhsa_exception_fp_ieee_underflow 0
		.amdhsa_exception_fp_ieee_inexact 0
		.amdhsa_exception_int_div_zero 0
	.end_amdhsa_kernel
	.section	.text._ZN7rocprim17ROCPRIM_400000_NS6detail17trampoline_kernelINS0_14default_configENS1_38merge_sort_block_merge_config_selectorIsNS0_10empty_typeEEEZZNS1_27merge_sort_block_merge_implIS3_N6thrust23THRUST_200600_302600_NS6detail15normal_iteratorINS9_10device_ptrIsEEEEPS5_jNS1_19radix_merge_compareILb0ELb0EsNS0_19identity_decomposerEEEEE10hipError_tT0_T1_T2_jT3_P12ihipStream_tbPNSt15iterator_traitsISK_E10value_typeEPNSQ_ISL_E10value_typeEPSM_NS1_7vsmem_tEENKUlT_SK_SL_SM_E_clISE_PsSF_SF_EESJ_SZ_SK_SL_SM_EUlSZ_E1_NS1_11comp_targetILNS1_3genE10ELNS1_11target_archE1201ELNS1_3gpuE5ELNS1_3repE0EEENS1_36merge_oddeven_config_static_selectorELNS0_4arch9wavefront6targetE1EEEvSL_,"axG",@progbits,_ZN7rocprim17ROCPRIM_400000_NS6detail17trampoline_kernelINS0_14default_configENS1_38merge_sort_block_merge_config_selectorIsNS0_10empty_typeEEEZZNS1_27merge_sort_block_merge_implIS3_N6thrust23THRUST_200600_302600_NS6detail15normal_iteratorINS9_10device_ptrIsEEEEPS5_jNS1_19radix_merge_compareILb0ELb0EsNS0_19identity_decomposerEEEEE10hipError_tT0_T1_T2_jT3_P12ihipStream_tbPNSt15iterator_traitsISK_E10value_typeEPNSQ_ISL_E10value_typeEPSM_NS1_7vsmem_tEENKUlT_SK_SL_SM_E_clISE_PsSF_SF_EESJ_SZ_SK_SL_SM_EUlSZ_E1_NS1_11comp_targetILNS1_3genE10ELNS1_11target_archE1201ELNS1_3gpuE5ELNS1_3repE0EEENS1_36merge_oddeven_config_static_selectorELNS0_4arch9wavefront6targetE1EEEvSL_,comdat
.Lfunc_end1859:
	.size	_ZN7rocprim17ROCPRIM_400000_NS6detail17trampoline_kernelINS0_14default_configENS1_38merge_sort_block_merge_config_selectorIsNS0_10empty_typeEEEZZNS1_27merge_sort_block_merge_implIS3_N6thrust23THRUST_200600_302600_NS6detail15normal_iteratorINS9_10device_ptrIsEEEEPS5_jNS1_19radix_merge_compareILb0ELb0EsNS0_19identity_decomposerEEEEE10hipError_tT0_T1_T2_jT3_P12ihipStream_tbPNSt15iterator_traitsISK_E10value_typeEPNSQ_ISL_E10value_typeEPSM_NS1_7vsmem_tEENKUlT_SK_SL_SM_E_clISE_PsSF_SF_EESJ_SZ_SK_SL_SM_EUlSZ_E1_NS1_11comp_targetILNS1_3genE10ELNS1_11target_archE1201ELNS1_3gpuE5ELNS1_3repE0EEENS1_36merge_oddeven_config_static_selectorELNS0_4arch9wavefront6targetE1EEEvSL_, .Lfunc_end1859-_ZN7rocprim17ROCPRIM_400000_NS6detail17trampoline_kernelINS0_14default_configENS1_38merge_sort_block_merge_config_selectorIsNS0_10empty_typeEEEZZNS1_27merge_sort_block_merge_implIS3_N6thrust23THRUST_200600_302600_NS6detail15normal_iteratorINS9_10device_ptrIsEEEEPS5_jNS1_19radix_merge_compareILb0ELb0EsNS0_19identity_decomposerEEEEE10hipError_tT0_T1_T2_jT3_P12ihipStream_tbPNSt15iterator_traitsISK_E10value_typeEPNSQ_ISL_E10value_typeEPSM_NS1_7vsmem_tEENKUlT_SK_SL_SM_E_clISE_PsSF_SF_EESJ_SZ_SK_SL_SM_EUlSZ_E1_NS1_11comp_targetILNS1_3genE10ELNS1_11target_archE1201ELNS1_3gpuE5ELNS1_3repE0EEENS1_36merge_oddeven_config_static_selectorELNS0_4arch9wavefront6targetE1EEEvSL_
                                        ; -- End function
	.section	.AMDGPU.csdata,"",@progbits
; Kernel info:
; codeLenInByte = 0
; NumSgprs: 6
; NumVgprs: 0
; NumAgprs: 0
; TotalNumVgprs: 0
; ScratchSize: 0
; MemoryBound: 0
; FloatMode: 240
; IeeeMode: 1
; LDSByteSize: 0 bytes/workgroup (compile time only)
; SGPRBlocks: 0
; VGPRBlocks: 0
; NumSGPRsForWavesPerEU: 6
; NumVGPRsForWavesPerEU: 1
; AccumOffset: 4
; Occupancy: 8
; WaveLimiterHint : 0
; COMPUTE_PGM_RSRC2:SCRATCH_EN: 0
; COMPUTE_PGM_RSRC2:USER_SGPR: 2
; COMPUTE_PGM_RSRC2:TRAP_HANDLER: 0
; COMPUTE_PGM_RSRC2:TGID_X_EN: 1
; COMPUTE_PGM_RSRC2:TGID_Y_EN: 0
; COMPUTE_PGM_RSRC2:TGID_Z_EN: 0
; COMPUTE_PGM_RSRC2:TIDIG_COMP_CNT: 0
; COMPUTE_PGM_RSRC3_GFX90A:ACCUM_OFFSET: 0
; COMPUTE_PGM_RSRC3_GFX90A:TG_SPLIT: 0
	.section	.text._ZN7rocprim17ROCPRIM_400000_NS6detail17trampoline_kernelINS0_14default_configENS1_38merge_sort_block_merge_config_selectorIsNS0_10empty_typeEEEZZNS1_27merge_sort_block_merge_implIS3_N6thrust23THRUST_200600_302600_NS6detail15normal_iteratorINS9_10device_ptrIsEEEEPS5_jNS1_19radix_merge_compareILb0ELb0EsNS0_19identity_decomposerEEEEE10hipError_tT0_T1_T2_jT3_P12ihipStream_tbPNSt15iterator_traitsISK_E10value_typeEPNSQ_ISL_E10value_typeEPSM_NS1_7vsmem_tEENKUlT_SK_SL_SM_E_clISE_PsSF_SF_EESJ_SZ_SK_SL_SM_EUlSZ_E1_NS1_11comp_targetILNS1_3genE5ELNS1_11target_archE942ELNS1_3gpuE9ELNS1_3repE0EEENS1_36merge_oddeven_config_static_selectorELNS0_4arch9wavefront6targetE1EEEvSL_,"axG",@progbits,_ZN7rocprim17ROCPRIM_400000_NS6detail17trampoline_kernelINS0_14default_configENS1_38merge_sort_block_merge_config_selectorIsNS0_10empty_typeEEEZZNS1_27merge_sort_block_merge_implIS3_N6thrust23THRUST_200600_302600_NS6detail15normal_iteratorINS9_10device_ptrIsEEEEPS5_jNS1_19radix_merge_compareILb0ELb0EsNS0_19identity_decomposerEEEEE10hipError_tT0_T1_T2_jT3_P12ihipStream_tbPNSt15iterator_traitsISK_E10value_typeEPNSQ_ISL_E10value_typeEPSM_NS1_7vsmem_tEENKUlT_SK_SL_SM_E_clISE_PsSF_SF_EESJ_SZ_SK_SL_SM_EUlSZ_E1_NS1_11comp_targetILNS1_3genE5ELNS1_11target_archE942ELNS1_3gpuE9ELNS1_3repE0EEENS1_36merge_oddeven_config_static_selectorELNS0_4arch9wavefront6targetE1EEEvSL_,comdat
	.protected	_ZN7rocprim17ROCPRIM_400000_NS6detail17trampoline_kernelINS0_14default_configENS1_38merge_sort_block_merge_config_selectorIsNS0_10empty_typeEEEZZNS1_27merge_sort_block_merge_implIS3_N6thrust23THRUST_200600_302600_NS6detail15normal_iteratorINS9_10device_ptrIsEEEEPS5_jNS1_19radix_merge_compareILb0ELb0EsNS0_19identity_decomposerEEEEE10hipError_tT0_T1_T2_jT3_P12ihipStream_tbPNSt15iterator_traitsISK_E10value_typeEPNSQ_ISL_E10value_typeEPSM_NS1_7vsmem_tEENKUlT_SK_SL_SM_E_clISE_PsSF_SF_EESJ_SZ_SK_SL_SM_EUlSZ_E1_NS1_11comp_targetILNS1_3genE5ELNS1_11target_archE942ELNS1_3gpuE9ELNS1_3repE0EEENS1_36merge_oddeven_config_static_selectorELNS0_4arch9wavefront6targetE1EEEvSL_ ; -- Begin function _ZN7rocprim17ROCPRIM_400000_NS6detail17trampoline_kernelINS0_14default_configENS1_38merge_sort_block_merge_config_selectorIsNS0_10empty_typeEEEZZNS1_27merge_sort_block_merge_implIS3_N6thrust23THRUST_200600_302600_NS6detail15normal_iteratorINS9_10device_ptrIsEEEEPS5_jNS1_19radix_merge_compareILb0ELb0EsNS0_19identity_decomposerEEEEE10hipError_tT0_T1_T2_jT3_P12ihipStream_tbPNSt15iterator_traitsISK_E10value_typeEPNSQ_ISL_E10value_typeEPSM_NS1_7vsmem_tEENKUlT_SK_SL_SM_E_clISE_PsSF_SF_EESJ_SZ_SK_SL_SM_EUlSZ_E1_NS1_11comp_targetILNS1_3genE5ELNS1_11target_archE942ELNS1_3gpuE9ELNS1_3repE0EEENS1_36merge_oddeven_config_static_selectorELNS0_4arch9wavefront6targetE1EEEvSL_
	.globl	_ZN7rocprim17ROCPRIM_400000_NS6detail17trampoline_kernelINS0_14default_configENS1_38merge_sort_block_merge_config_selectorIsNS0_10empty_typeEEEZZNS1_27merge_sort_block_merge_implIS3_N6thrust23THRUST_200600_302600_NS6detail15normal_iteratorINS9_10device_ptrIsEEEEPS5_jNS1_19radix_merge_compareILb0ELb0EsNS0_19identity_decomposerEEEEE10hipError_tT0_T1_T2_jT3_P12ihipStream_tbPNSt15iterator_traitsISK_E10value_typeEPNSQ_ISL_E10value_typeEPSM_NS1_7vsmem_tEENKUlT_SK_SL_SM_E_clISE_PsSF_SF_EESJ_SZ_SK_SL_SM_EUlSZ_E1_NS1_11comp_targetILNS1_3genE5ELNS1_11target_archE942ELNS1_3gpuE9ELNS1_3repE0EEENS1_36merge_oddeven_config_static_selectorELNS0_4arch9wavefront6targetE1EEEvSL_
	.p2align	8
	.type	_ZN7rocprim17ROCPRIM_400000_NS6detail17trampoline_kernelINS0_14default_configENS1_38merge_sort_block_merge_config_selectorIsNS0_10empty_typeEEEZZNS1_27merge_sort_block_merge_implIS3_N6thrust23THRUST_200600_302600_NS6detail15normal_iteratorINS9_10device_ptrIsEEEEPS5_jNS1_19radix_merge_compareILb0ELb0EsNS0_19identity_decomposerEEEEE10hipError_tT0_T1_T2_jT3_P12ihipStream_tbPNSt15iterator_traitsISK_E10value_typeEPNSQ_ISL_E10value_typeEPSM_NS1_7vsmem_tEENKUlT_SK_SL_SM_E_clISE_PsSF_SF_EESJ_SZ_SK_SL_SM_EUlSZ_E1_NS1_11comp_targetILNS1_3genE5ELNS1_11target_archE942ELNS1_3gpuE9ELNS1_3repE0EEENS1_36merge_oddeven_config_static_selectorELNS0_4arch9wavefront6targetE1EEEvSL_,@function
_ZN7rocprim17ROCPRIM_400000_NS6detail17trampoline_kernelINS0_14default_configENS1_38merge_sort_block_merge_config_selectorIsNS0_10empty_typeEEEZZNS1_27merge_sort_block_merge_implIS3_N6thrust23THRUST_200600_302600_NS6detail15normal_iteratorINS9_10device_ptrIsEEEEPS5_jNS1_19radix_merge_compareILb0ELb0EsNS0_19identity_decomposerEEEEE10hipError_tT0_T1_T2_jT3_P12ihipStream_tbPNSt15iterator_traitsISK_E10value_typeEPNSQ_ISL_E10value_typeEPSM_NS1_7vsmem_tEENKUlT_SK_SL_SM_E_clISE_PsSF_SF_EESJ_SZ_SK_SL_SM_EUlSZ_E1_NS1_11comp_targetILNS1_3genE5ELNS1_11target_archE942ELNS1_3gpuE9ELNS1_3repE0EEENS1_36merge_oddeven_config_static_selectorELNS0_4arch9wavefront6targetE1EEEvSL_: ; @_ZN7rocprim17ROCPRIM_400000_NS6detail17trampoline_kernelINS0_14default_configENS1_38merge_sort_block_merge_config_selectorIsNS0_10empty_typeEEEZZNS1_27merge_sort_block_merge_implIS3_N6thrust23THRUST_200600_302600_NS6detail15normal_iteratorINS9_10device_ptrIsEEEEPS5_jNS1_19radix_merge_compareILb0ELb0EsNS0_19identity_decomposerEEEEE10hipError_tT0_T1_T2_jT3_P12ihipStream_tbPNSt15iterator_traitsISK_E10value_typeEPNSQ_ISL_E10value_typeEPSM_NS1_7vsmem_tEENKUlT_SK_SL_SM_E_clISE_PsSF_SF_EESJ_SZ_SK_SL_SM_EUlSZ_E1_NS1_11comp_targetILNS1_3genE5ELNS1_11target_archE942ELNS1_3gpuE9ELNS1_3repE0EEENS1_36merge_oddeven_config_static_selectorELNS0_4arch9wavefront6targetE1EEEvSL_
; %bb.0:
	s_load_dword s16, s[0:1], 0x20
	s_waitcnt lgkmcnt(0)
	s_lshr_b32 s3, s16, 8
	s_cmp_lg_u32 s2, s3
	s_cselect_b64 s[12:13], -1, 0
	s_cmp_eq_u32 s2, s3
	s_cselect_b64 s[6:7], -1, 0
	s_lshl_b32 s14, s2, 8
	s_sub_i32 s3, s16, s14
	v_cmp_gt_u32_e64 s[4:5], s3, v0
	s_or_b64 s[8:9], s[12:13], s[4:5]
	s_and_saveexec_b64 s[10:11], s[8:9]
	s_cbranch_execz .LBB1860_20
; %bb.1:
	s_load_dwordx4 s[8:11], s[0:1], 0x0
	s_load_dword s17, s[0:1], 0x24
	s_mov_b32 s15, 0
	s_lshl_b64 s[0:1], s[14:15], 1
	v_lshlrev_b32_e32 v1, 1, v0
	s_waitcnt lgkmcnt(0)
	s_add_u32 s0, s8, s0
	s_addc_u32 s1, s9, s1
	global_load_ushort v2, v1, s[0:1]
	s_lshr_b32 s0, s17, 8
	s_sub_i32 s1, 0, s0
	s_and_b32 s1, s2, s1
	s_and_b32 s0, s1, s0
	s_lshl_b32 s18, s1, 8
	s_sub_i32 s15, 0, s17
	s_cmp_eq_u32 s0, 0
	s_cselect_b64 s[0:1], -1, 0
	s_and_b64 s[2:3], s[0:1], exec
	s_cselect_b32 s15, s17, s15
	s_add_i32 s15, s15, s18
	s_cmp_lt_u32 s15, s16
	v_add_u32_e32 v0, s14, v0
	s_cbranch_scc1 .LBB1860_3
; %bb.2:
	v_cmp_gt_u32_e32 vcc, s16, v0
	s_or_b64 s[2:3], vcc, s[12:13]
	s_and_b64 s[2:3], s[2:3], exec
	s_cbranch_execz .LBB1860_4
	s_branch .LBB1860_18
.LBB1860_3:
	s_mov_b64 s[2:3], 0
.LBB1860_4:
	s_min_u32 s12, s15, s16
	s_min_u32 s14, s18, s12
	s_add_i32 s18, s18, s12
	s_add_i32 s13, s12, s17
	v_subrev_u32_e32 v0, s18, v0
	s_min_u32 s13, s13, s16
	v_add_u32_e32 v1, s14, v0
	s_and_b64 vcc, exec, s[6:7]
	s_cbranch_vccz .LBB1860_12
; %bb.5:
                                        ; implicit-def: $vgpr0
	s_and_saveexec_b64 s[6:7], s[4:5]
	s_cbranch_execz .LBB1860_11
; %bb.6:
	s_cmp_ge_u32 s15, s13
	v_mov_b32_e32 v0, s12
	s_cbranch_scc1 .LBB1860_10
; %bb.7:
	s_mov_b64 s[4:5], 0
	v_mov_b32_e32 v3, s13
	v_mov_b32_e32 v0, s12
.LBB1860_8:                             ; =>This Inner Loop Header: Depth=1
	v_add_u32_e32 v4, v0, v3
	v_and_b32_e32 v5, -2, v4
	global_load_ushort v5, v5, s[8:9]
	v_lshrrev_b32_e32 v4, 1, v4
	v_add_u32_e32 v6, 1, v4
	s_waitcnt vmcnt(0)
	v_cmp_gt_i16_e32 vcc, v2, v5
	s_nop 1
	v_cndmask_b32_e64 v7, 0, 1, vcc
	v_cmp_le_i16_e32 vcc, v5, v2
	s_nop 1
	v_cndmask_b32_e64 v5, 0, 1, vcc
	v_cndmask_b32_e64 v5, v5, v7, s[0:1]
	v_and_b32_e32 v5, 1, v5
	v_cmp_eq_u32_e32 vcc, 1, v5
	s_nop 1
	v_cndmask_b32_e32 v3, v4, v3, vcc
	v_cndmask_b32_e32 v0, v0, v6, vcc
	v_cmp_ge_u32_e32 vcc, v0, v3
	s_or_b64 s[4:5], vcc, s[4:5]
	s_andn2_b64 exec, exec, s[4:5]
	s_cbranch_execnz .LBB1860_8
; %bb.9:
	s_or_b64 exec, exec, s[4:5]
.LBB1860_10:
	v_add_u32_e32 v0, v0, v1
	s_or_b64 s[2:3], s[2:3], exec
.LBB1860_11:
	s_or_b64 exec, exec, s[6:7]
	s_branch .LBB1860_18
.LBB1860_12:
                                        ; implicit-def: $vgpr0
	s_cbranch_execz .LBB1860_18
; %bb.13:
	s_cmp_ge_u32 s15, s13
	v_mov_b32_e32 v0, s12
	s_cbranch_scc1 .LBB1860_17
; %bb.14:
	s_mov_b64 s[2:3], 0
	v_mov_b32_e32 v3, s13
	v_mov_b32_e32 v0, s12
.LBB1860_15:                            ; =>This Inner Loop Header: Depth=1
	v_add_u32_e32 v4, v0, v3
	v_and_b32_e32 v5, -2, v4
	global_load_ushort v5, v5, s[8:9]
	v_lshrrev_b32_e32 v4, 1, v4
	v_add_u32_e32 v6, 1, v4
	s_waitcnt vmcnt(0)
	v_cmp_gt_i16_e32 vcc, v2, v5
	s_nop 1
	v_cndmask_b32_e64 v7, 0, 1, vcc
	v_cmp_le_i16_e32 vcc, v5, v2
	s_nop 1
	v_cndmask_b32_e64 v5, 0, 1, vcc
	v_cndmask_b32_e64 v5, v5, v7, s[0:1]
	v_and_b32_e32 v5, 1, v5
	v_cmp_eq_u32_e32 vcc, 1, v5
	s_nop 1
	v_cndmask_b32_e32 v3, v4, v3, vcc
	v_cndmask_b32_e32 v0, v0, v6, vcc
	v_cmp_ge_u32_e32 vcc, v0, v3
	s_or_b64 s[2:3], vcc, s[2:3]
	s_andn2_b64 exec, exec, s[2:3]
	s_cbranch_execnz .LBB1860_15
; %bb.16:
	s_or_b64 exec, exec, s[2:3]
.LBB1860_17:
	v_add_u32_e32 v0, v0, v1
	s_mov_b64 s[2:3], -1
.LBB1860_18:
	s_and_b64 exec, exec, s[2:3]
	s_cbranch_execz .LBB1860_20
; %bb.19:
	v_mov_b32_e32 v4, s10
	v_mov_b32_e32 v5, s11
	;; [unrolled: 1-line block ×3, first 2 shown]
	v_lshl_add_u64 v[0:1], v[0:1], 1, v[4:5]
	s_waitcnt vmcnt(0)
	global_store_short v[0:1], v2, off
.LBB1860_20:
	s_endpgm
	.section	.rodata,"a",@progbits
	.p2align	6, 0x0
	.amdhsa_kernel _ZN7rocprim17ROCPRIM_400000_NS6detail17trampoline_kernelINS0_14default_configENS1_38merge_sort_block_merge_config_selectorIsNS0_10empty_typeEEEZZNS1_27merge_sort_block_merge_implIS3_N6thrust23THRUST_200600_302600_NS6detail15normal_iteratorINS9_10device_ptrIsEEEEPS5_jNS1_19radix_merge_compareILb0ELb0EsNS0_19identity_decomposerEEEEE10hipError_tT0_T1_T2_jT3_P12ihipStream_tbPNSt15iterator_traitsISK_E10value_typeEPNSQ_ISL_E10value_typeEPSM_NS1_7vsmem_tEENKUlT_SK_SL_SM_E_clISE_PsSF_SF_EESJ_SZ_SK_SL_SM_EUlSZ_E1_NS1_11comp_targetILNS1_3genE5ELNS1_11target_archE942ELNS1_3gpuE9ELNS1_3repE0EEENS1_36merge_oddeven_config_static_selectorELNS0_4arch9wavefront6targetE1EEEvSL_
		.amdhsa_group_segment_fixed_size 0
		.amdhsa_private_segment_fixed_size 0
		.amdhsa_kernarg_size 48
		.amdhsa_user_sgpr_count 2
		.amdhsa_user_sgpr_dispatch_ptr 0
		.amdhsa_user_sgpr_queue_ptr 0
		.amdhsa_user_sgpr_kernarg_segment_ptr 1
		.amdhsa_user_sgpr_dispatch_id 0
		.amdhsa_user_sgpr_kernarg_preload_length 0
		.amdhsa_user_sgpr_kernarg_preload_offset 0
		.amdhsa_user_sgpr_private_segment_size 0
		.amdhsa_uses_dynamic_stack 0
		.amdhsa_enable_private_segment 0
		.amdhsa_system_sgpr_workgroup_id_x 1
		.amdhsa_system_sgpr_workgroup_id_y 0
		.amdhsa_system_sgpr_workgroup_id_z 0
		.amdhsa_system_sgpr_workgroup_info 0
		.amdhsa_system_vgpr_workitem_id 0
		.amdhsa_next_free_vgpr 8
		.amdhsa_next_free_sgpr 19
		.amdhsa_accum_offset 8
		.amdhsa_reserve_vcc 1
		.amdhsa_float_round_mode_32 0
		.amdhsa_float_round_mode_16_64 0
		.amdhsa_float_denorm_mode_32 3
		.amdhsa_float_denorm_mode_16_64 3
		.amdhsa_dx10_clamp 1
		.amdhsa_ieee_mode 1
		.amdhsa_fp16_overflow 0
		.amdhsa_tg_split 0
		.amdhsa_exception_fp_ieee_invalid_op 0
		.amdhsa_exception_fp_denorm_src 0
		.amdhsa_exception_fp_ieee_div_zero 0
		.amdhsa_exception_fp_ieee_overflow 0
		.amdhsa_exception_fp_ieee_underflow 0
		.amdhsa_exception_fp_ieee_inexact 0
		.amdhsa_exception_int_div_zero 0
	.end_amdhsa_kernel
	.section	.text._ZN7rocprim17ROCPRIM_400000_NS6detail17trampoline_kernelINS0_14default_configENS1_38merge_sort_block_merge_config_selectorIsNS0_10empty_typeEEEZZNS1_27merge_sort_block_merge_implIS3_N6thrust23THRUST_200600_302600_NS6detail15normal_iteratorINS9_10device_ptrIsEEEEPS5_jNS1_19radix_merge_compareILb0ELb0EsNS0_19identity_decomposerEEEEE10hipError_tT0_T1_T2_jT3_P12ihipStream_tbPNSt15iterator_traitsISK_E10value_typeEPNSQ_ISL_E10value_typeEPSM_NS1_7vsmem_tEENKUlT_SK_SL_SM_E_clISE_PsSF_SF_EESJ_SZ_SK_SL_SM_EUlSZ_E1_NS1_11comp_targetILNS1_3genE5ELNS1_11target_archE942ELNS1_3gpuE9ELNS1_3repE0EEENS1_36merge_oddeven_config_static_selectorELNS0_4arch9wavefront6targetE1EEEvSL_,"axG",@progbits,_ZN7rocprim17ROCPRIM_400000_NS6detail17trampoline_kernelINS0_14default_configENS1_38merge_sort_block_merge_config_selectorIsNS0_10empty_typeEEEZZNS1_27merge_sort_block_merge_implIS3_N6thrust23THRUST_200600_302600_NS6detail15normal_iteratorINS9_10device_ptrIsEEEEPS5_jNS1_19radix_merge_compareILb0ELb0EsNS0_19identity_decomposerEEEEE10hipError_tT0_T1_T2_jT3_P12ihipStream_tbPNSt15iterator_traitsISK_E10value_typeEPNSQ_ISL_E10value_typeEPSM_NS1_7vsmem_tEENKUlT_SK_SL_SM_E_clISE_PsSF_SF_EESJ_SZ_SK_SL_SM_EUlSZ_E1_NS1_11comp_targetILNS1_3genE5ELNS1_11target_archE942ELNS1_3gpuE9ELNS1_3repE0EEENS1_36merge_oddeven_config_static_selectorELNS0_4arch9wavefront6targetE1EEEvSL_,comdat
.Lfunc_end1860:
	.size	_ZN7rocprim17ROCPRIM_400000_NS6detail17trampoline_kernelINS0_14default_configENS1_38merge_sort_block_merge_config_selectorIsNS0_10empty_typeEEEZZNS1_27merge_sort_block_merge_implIS3_N6thrust23THRUST_200600_302600_NS6detail15normal_iteratorINS9_10device_ptrIsEEEEPS5_jNS1_19radix_merge_compareILb0ELb0EsNS0_19identity_decomposerEEEEE10hipError_tT0_T1_T2_jT3_P12ihipStream_tbPNSt15iterator_traitsISK_E10value_typeEPNSQ_ISL_E10value_typeEPSM_NS1_7vsmem_tEENKUlT_SK_SL_SM_E_clISE_PsSF_SF_EESJ_SZ_SK_SL_SM_EUlSZ_E1_NS1_11comp_targetILNS1_3genE5ELNS1_11target_archE942ELNS1_3gpuE9ELNS1_3repE0EEENS1_36merge_oddeven_config_static_selectorELNS0_4arch9wavefront6targetE1EEEvSL_, .Lfunc_end1860-_ZN7rocprim17ROCPRIM_400000_NS6detail17trampoline_kernelINS0_14default_configENS1_38merge_sort_block_merge_config_selectorIsNS0_10empty_typeEEEZZNS1_27merge_sort_block_merge_implIS3_N6thrust23THRUST_200600_302600_NS6detail15normal_iteratorINS9_10device_ptrIsEEEEPS5_jNS1_19radix_merge_compareILb0ELb0EsNS0_19identity_decomposerEEEEE10hipError_tT0_T1_T2_jT3_P12ihipStream_tbPNSt15iterator_traitsISK_E10value_typeEPNSQ_ISL_E10value_typeEPSM_NS1_7vsmem_tEENKUlT_SK_SL_SM_E_clISE_PsSF_SF_EESJ_SZ_SK_SL_SM_EUlSZ_E1_NS1_11comp_targetILNS1_3genE5ELNS1_11target_archE942ELNS1_3gpuE9ELNS1_3repE0EEENS1_36merge_oddeven_config_static_selectorELNS0_4arch9wavefront6targetE1EEEvSL_
                                        ; -- End function
	.section	.AMDGPU.csdata,"",@progbits
; Kernel info:
; codeLenInByte = 568
; NumSgprs: 25
; NumVgprs: 8
; NumAgprs: 0
; TotalNumVgprs: 8
; ScratchSize: 0
; MemoryBound: 0
; FloatMode: 240
; IeeeMode: 1
; LDSByteSize: 0 bytes/workgroup (compile time only)
; SGPRBlocks: 3
; VGPRBlocks: 0
; NumSGPRsForWavesPerEU: 25
; NumVGPRsForWavesPerEU: 8
; AccumOffset: 8
; Occupancy: 8
; WaveLimiterHint : 0
; COMPUTE_PGM_RSRC2:SCRATCH_EN: 0
; COMPUTE_PGM_RSRC2:USER_SGPR: 2
; COMPUTE_PGM_RSRC2:TRAP_HANDLER: 0
; COMPUTE_PGM_RSRC2:TGID_X_EN: 1
; COMPUTE_PGM_RSRC2:TGID_Y_EN: 0
; COMPUTE_PGM_RSRC2:TGID_Z_EN: 0
; COMPUTE_PGM_RSRC2:TIDIG_COMP_CNT: 0
; COMPUTE_PGM_RSRC3_GFX90A:ACCUM_OFFSET: 1
; COMPUTE_PGM_RSRC3_GFX90A:TG_SPLIT: 0
	.section	.text._ZN7rocprim17ROCPRIM_400000_NS6detail17trampoline_kernelINS0_14default_configENS1_38merge_sort_block_merge_config_selectorIsNS0_10empty_typeEEEZZNS1_27merge_sort_block_merge_implIS3_N6thrust23THRUST_200600_302600_NS6detail15normal_iteratorINS9_10device_ptrIsEEEEPS5_jNS1_19radix_merge_compareILb0ELb0EsNS0_19identity_decomposerEEEEE10hipError_tT0_T1_T2_jT3_P12ihipStream_tbPNSt15iterator_traitsISK_E10value_typeEPNSQ_ISL_E10value_typeEPSM_NS1_7vsmem_tEENKUlT_SK_SL_SM_E_clISE_PsSF_SF_EESJ_SZ_SK_SL_SM_EUlSZ_E1_NS1_11comp_targetILNS1_3genE4ELNS1_11target_archE910ELNS1_3gpuE8ELNS1_3repE0EEENS1_36merge_oddeven_config_static_selectorELNS0_4arch9wavefront6targetE1EEEvSL_,"axG",@progbits,_ZN7rocprim17ROCPRIM_400000_NS6detail17trampoline_kernelINS0_14default_configENS1_38merge_sort_block_merge_config_selectorIsNS0_10empty_typeEEEZZNS1_27merge_sort_block_merge_implIS3_N6thrust23THRUST_200600_302600_NS6detail15normal_iteratorINS9_10device_ptrIsEEEEPS5_jNS1_19radix_merge_compareILb0ELb0EsNS0_19identity_decomposerEEEEE10hipError_tT0_T1_T2_jT3_P12ihipStream_tbPNSt15iterator_traitsISK_E10value_typeEPNSQ_ISL_E10value_typeEPSM_NS1_7vsmem_tEENKUlT_SK_SL_SM_E_clISE_PsSF_SF_EESJ_SZ_SK_SL_SM_EUlSZ_E1_NS1_11comp_targetILNS1_3genE4ELNS1_11target_archE910ELNS1_3gpuE8ELNS1_3repE0EEENS1_36merge_oddeven_config_static_selectorELNS0_4arch9wavefront6targetE1EEEvSL_,comdat
	.protected	_ZN7rocprim17ROCPRIM_400000_NS6detail17trampoline_kernelINS0_14default_configENS1_38merge_sort_block_merge_config_selectorIsNS0_10empty_typeEEEZZNS1_27merge_sort_block_merge_implIS3_N6thrust23THRUST_200600_302600_NS6detail15normal_iteratorINS9_10device_ptrIsEEEEPS5_jNS1_19radix_merge_compareILb0ELb0EsNS0_19identity_decomposerEEEEE10hipError_tT0_T1_T2_jT3_P12ihipStream_tbPNSt15iterator_traitsISK_E10value_typeEPNSQ_ISL_E10value_typeEPSM_NS1_7vsmem_tEENKUlT_SK_SL_SM_E_clISE_PsSF_SF_EESJ_SZ_SK_SL_SM_EUlSZ_E1_NS1_11comp_targetILNS1_3genE4ELNS1_11target_archE910ELNS1_3gpuE8ELNS1_3repE0EEENS1_36merge_oddeven_config_static_selectorELNS0_4arch9wavefront6targetE1EEEvSL_ ; -- Begin function _ZN7rocprim17ROCPRIM_400000_NS6detail17trampoline_kernelINS0_14default_configENS1_38merge_sort_block_merge_config_selectorIsNS0_10empty_typeEEEZZNS1_27merge_sort_block_merge_implIS3_N6thrust23THRUST_200600_302600_NS6detail15normal_iteratorINS9_10device_ptrIsEEEEPS5_jNS1_19radix_merge_compareILb0ELb0EsNS0_19identity_decomposerEEEEE10hipError_tT0_T1_T2_jT3_P12ihipStream_tbPNSt15iterator_traitsISK_E10value_typeEPNSQ_ISL_E10value_typeEPSM_NS1_7vsmem_tEENKUlT_SK_SL_SM_E_clISE_PsSF_SF_EESJ_SZ_SK_SL_SM_EUlSZ_E1_NS1_11comp_targetILNS1_3genE4ELNS1_11target_archE910ELNS1_3gpuE8ELNS1_3repE0EEENS1_36merge_oddeven_config_static_selectorELNS0_4arch9wavefront6targetE1EEEvSL_
	.globl	_ZN7rocprim17ROCPRIM_400000_NS6detail17trampoline_kernelINS0_14default_configENS1_38merge_sort_block_merge_config_selectorIsNS0_10empty_typeEEEZZNS1_27merge_sort_block_merge_implIS3_N6thrust23THRUST_200600_302600_NS6detail15normal_iteratorINS9_10device_ptrIsEEEEPS5_jNS1_19radix_merge_compareILb0ELb0EsNS0_19identity_decomposerEEEEE10hipError_tT0_T1_T2_jT3_P12ihipStream_tbPNSt15iterator_traitsISK_E10value_typeEPNSQ_ISL_E10value_typeEPSM_NS1_7vsmem_tEENKUlT_SK_SL_SM_E_clISE_PsSF_SF_EESJ_SZ_SK_SL_SM_EUlSZ_E1_NS1_11comp_targetILNS1_3genE4ELNS1_11target_archE910ELNS1_3gpuE8ELNS1_3repE0EEENS1_36merge_oddeven_config_static_selectorELNS0_4arch9wavefront6targetE1EEEvSL_
	.p2align	8
	.type	_ZN7rocprim17ROCPRIM_400000_NS6detail17trampoline_kernelINS0_14default_configENS1_38merge_sort_block_merge_config_selectorIsNS0_10empty_typeEEEZZNS1_27merge_sort_block_merge_implIS3_N6thrust23THRUST_200600_302600_NS6detail15normal_iteratorINS9_10device_ptrIsEEEEPS5_jNS1_19radix_merge_compareILb0ELb0EsNS0_19identity_decomposerEEEEE10hipError_tT0_T1_T2_jT3_P12ihipStream_tbPNSt15iterator_traitsISK_E10value_typeEPNSQ_ISL_E10value_typeEPSM_NS1_7vsmem_tEENKUlT_SK_SL_SM_E_clISE_PsSF_SF_EESJ_SZ_SK_SL_SM_EUlSZ_E1_NS1_11comp_targetILNS1_3genE4ELNS1_11target_archE910ELNS1_3gpuE8ELNS1_3repE0EEENS1_36merge_oddeven_config_static_selectorELNS0_4arch9wavefront6targetE1EEEvSL_,@function
_ZN7rocprim17ROCPRIM_400000_NS6detail17trampoline_kernelINS0_14default_configENS1_38merge_sort_block_merge_config_selectorIsNS0_10empty_typeEEEZZNS1_27merge_sort_block_merge_implIS3_N6thrust23THRUST_200600_302600_NS6detail15normal_iteratorINS9_10device_ptrIsEEEEPS5_jNS1_19radix_merge_compareILb0ELb0EsNS0_19identity_decomposerEEEEE10hipError_tT0_T1_T2_jT3_P12ihipStream_tbPNSt15iterator_traitsISK_E10value_typeEPNSQ_ISL_E10value_typeEPSM_NS1_7vsmem_tEENKUlT_SK_SL_SM_E_clISE_PsSF_SF_EESJ_SZ_SK_SL_SM_EUlSZ_E1_NS1_11comp_targetILNS1_3genE4ELNS1_11target_archE910ELNS1_3gpuE8ELNS1_3repE0EEENS1_36merge_oddeven_config_static_selectorELNS0_4arch9wavefront6targetE1EEEvSL_: ; @_ZN7rocprim17ROCPRIM_400000_NS6detail17trampoline_kernelINS0_14default_configENS1_38merge_sort_block_merge_config_selectorIsNS0_10empty_typeEEEZZNS1_27merge_sort_block_merge_implIS3_N6thrust23THRUST_200600_302600_NS6detail15normal_iteratorINS9_10device_ptrIsEEEEPS5_jNS1_19radix_merge_compareILb0ELb0EsNS0_19identity_decomposerEEEEE10hipError_tT0_T1_T2_jT3_P12ihipStream_tbPNSt15iterator_traitsISK_E10value_typeEPNSQ_ISL_E10value_typeEPSM_NS1_7vsmem_tEENKUlT_SK_SL_SM_E_clISE_PsSF_SF_EESJ_SZ_SK_SL_SM_EUlSZ_E1_NS1_11comp_targetILNS1_3genE4ELNS1_11target_archE910ELNS1_3gpuE8ELNS1_3repE0EEENS1_36merge_oddeven_config_static_selectorELNS0_4arch9wavefront6targetE1EEEvSL_
; %bb.0:
	.section	.rodata,"a",@progbits
	.p2align	6, 0x0
	.amdhsa_kernel _ZN7rocprim17ROCPRIM_400000_NS6detail17trampoline_kernelINS0_14default_configENS1_38merge_sort_block_merge_config_selectorIsNS0_10empty_typeEEEZZNS1_27merge_sort_block_merge_implIS3_N6thrust23THRUST_200600_302600_NS6detail15normal_iteratorINS9_10device_ptrIsEEEEPS5_jNS1_19radix_merge_compareILb0ELb0EsNS0_19identity_decomposerEEEEE10hipError_tT0_T1_T2_jT3_P12ihipStream_tbPNSt15iterator_traitsISK_E10value_typeEPNSQ_ISL_E10value_typeEPSM_NS1_7vsmem_tEENKUlT_SK_SL_SM_E_clISE_PsSF_SF_EESJ_SZ_SK_SL_SM_EUlSZ_E1_NS1_11comp_targetILNS1_3genE4ELNS1_11target_archE910ELNS1_3gpuE8ELNS1_3repE0EEENS1_36merge_oddeven_config_static_selectorELNS0_4arch9wavefront6targetE1EEEvSL_
		.amdhsa_group_segment_fixed_size 0
		.amdhsa_private_segment_fixed_size 0
		.amdhsa_kernarg_size 48
		.amdhsa_user_sgpr_count 2
		.amdhsa_user_sgpr_dispatch_ptr 0
		.amdhsa_user_sgpr_queue_ptr 0
		.amdhsa_user_sgpr_kernarg_segment_ptr 1
		.amdhsa_user_sgpr_dispatch_id 0
		.amdhsa_user_sgpr_kernarg_preload_length 0
		.amdhsa_user_sgpr_kernarg_preload_offset 0
		.amdhsa_user_sgpr_private_segment_size 0
		.amdhsa_uses_dynamic_stack 0
		.amdhsa_enable_private_segment 0
		.amdhsa_system_sgpr_workgroup_id_x 1
		.amdhsa_system_sgpr_workgroup_id_y 0
		.amdhsa_system_sgpr_workgroup_id_z 0
		.amdhsa_system_sgpr_workgroup_info 0
		.amdhsa_system_vgpr_workitem_id 0
		.amdhsa_next_free_vgpr 1
		.amdhsa_next_free_sgpr 0
		.amdhsa_accum_offset 4
		.amdhsa_reserve_vcc 0
		.amdhsa_float_round_mode_32 0
		.amdhsa_float_round_mode_16_64 0
		.amdhsa_float_denorm_mode_32 3
		.amdhsa_float_denorm_mode_16_64 3
		.amdhsa_dx10_clamp 1
		.amdhsa_ieee_mode 1
		.amdhsa_fp16_overflow 0
		.amdhsa_tg_split 0
		.amdhsa_exception_fp_ieee_invalid_op 0
		.amdhsa_exception_fp_denorm_src 0
		.amdhsa_exception_fp_ieee_div_zero 0
		.amdhsa_exception_fp_ieee_overflow 0
		.amdhsa_exception_fp_ieee_underflow 0
		.amdhsa_exception_fp_ieee_inexact 0
		.amdhsa_exception_int_div_zero 0
	.end_amdhsa_kernel
	.section	.text._ZN7rocprim17ROCPRIM_400000_NS6detail17trampoline_kernelINS0_14default_configENS1_38merge_sort_block_merge_config_selectorIsNS0_10empty_typeEEEZZNS1_27merge_sort_block_merge_implIS3_N6thrust23THRUST_200600_302600_NS6detail15normal_iteratorINS9_10device_ptrIsEEEEPS5_jNS1_19radix_merge_compareILb0ELb0EsNS0_19identity_decomposerEEEEE10hipError_tT0_T1_T2_jT3_P12ihipStream_tbPNSt15iterator_traitsISK_E10value_typeEPNSQ_ISL_E10value_typeEPSM_NS1_7vsmem_tEENKUlT_SK_SL_SM_E_clISE_PsSF_SF_EESJ_SZ_SK_SL_SM_EUlSZ_E1_NS1_11comp_targetILNS1_3genE4ELNS1_11target_archE910ELNS1_3gpuE8ELNS1_3repE0EEENS1_36merge_oddeven_config_static_selectorELNS0_4arch9wavefront6targetE1EEEvSL_,"axG",@progbits,_ZN7rocprim17ROCPRIM_400000_NS6detail17trampoline_kernelINS0_14default_configENS1_38merge_sort_block_merge_config_selectorIsNS0_10empty_typeEEEZZNS1_27merge_sort_block_merge_implIS3_N6thrust23THRUST_200600_302600_NS6detail15normal_iteratorINS9_10device_ptrIsEEEEPS5_jNS1_19radix_merge_compareILb0ELb0EsNS0_19identity_decomposerEEEEE10hipError_tT0_T1_T2_jT3_P12ihipStream_tbPNSt15iterator_traitsISK_E10value_typeEPNSQ_ISL_E10value_typeEPSM_NS1_7vsmem_tEENKUlT_SK_SL_SM_E_clISE_PsSF_SF_EESJ_SZ_SK_SL_SM_EUlSZ_E1_NS1_11comp_targetILNS1_3genE4ELNS1_11target_archE910ELNS1_3gpuE8ELNS1_3repE0EEENS1_36merge_oddeven_config_static_selectorELNS0_4arch9wavefront6targetE1EEEvSL_,comdat
.Lfunc_end1861:
	.size	_ZN7rocprim17ROCPRIM_400000_NS6detail17trampoline_kernelINS0_14default_configENS1_38merge_sort_block_merge_config_selectorIsNS0_10empty_typeEEEZZNS1_27merge_sort_block_merge_implIS3_N6thrust23THRUST_200600_302600_NS6detail15normal_iteratorINS9_10device_ptrIsEEEEPS5_jNS1_19radix_merge_compareILb0ELb0EsNS0_19identity_decomposerEEEEE10hipError_tT0_T1_T2_jT3_P12ihipStream_tbPNSt15iterator_traitsISK_E10value_typeEPNSQ_ISL_E10value_typeEPSM_NS1_7vsmem_tEENKUlT_SK_SL_SM_E_clISE_PsSF_SF_EESJ_SZ_SK_SL_SM_EUlSZ_E1_NS1_11comp_targetILNS1_3genE4ELNS1_11target_archE910ELNS1_3gpuE8ELNS1_3repE0EEENS1_36merge_oddeven_config_static_selectorELNS0_4arch9wavefront6targetE1EEEvSL_, .Lfunc_end1861-_ZN7rocprim17ROCPRIM_400000_NS6detail17trampoline_kernelINS0_14default_configENS1_38merge_sort_block_merge_config_selectorIsNS0_10empty_typeEEEZZNS1_27merge_sort_block_merge_implIS3_N6thrust23THRUST_200600_302600_NS6detail15normal_iteratorINS9_10device_ptrIsEEEEPS5_jNS1_19radix_merge_compareILb0ELb0EsNS0_19identity_decomposerEEEEE10hipError_tT0_T1_T2_jT3_P12ihipStream_tbPNSt15iterator_traitsISK_E10value_typeEPNSQ_ISL_E10value_typeEPSM_NS1_7vsmem_tEENKUlT_SK_SL_SM_E_clISE_PsSF_SF_EESJ_SZ_SK_SL_SM_EUlSZ_E1_NS1_11comp_targetILNS1_3genE4ELNS1_11target_archE910ELNS1_3gpuE8ELNS1_3repE0EEENS1_36merge_oddeven_config_static_selectorELNS0_4arch9wavefront6targetE1EEEvSL_
                                        ; -- End function
	.section	.AMDGPU.csdata,"",@progbits
; Kernel info:
; codeLenInByte = 0
; NumSgprs: 6
; NumVgprs: 0
; NumAgprs: 0
; TotalNumVgprs: 0
; ScratchSize: 0
; MemoryBound: 0
; FloatMode: 240
; IeeeMode: 1
; LDSByteSize: 0 bytes/workgroup (compile time only)
; SGPRBlocks: 0
; VGPRBlocks: 0
; NumSGPRsForWavesPerEU: 6
; NumVGPRsForWavesPerEU: 1
; AccumOffset: 4
; Occupancy: 8
; WaveLimiterHint : 0
; COMPUTE_PGM_RSRC2:SCRATCH_EN: 0
; COMPUTE_PGM_RSRC2:USER_SGPR: 2
; COMPUTE_PGM_RSRC2:TRAP_HANDLER: 0
; COMPUTE_PGM_RSRC2:TGID_X_EN: 1
; COMPUTE_PGM_RSRC2:TGID_Y_EN: 0
; COMPUTE_PGM_RSRC2:TGID_Z_EN: 0
; COMPUTE_PGM_RSRC2:TIDIG_COMP_CNT: 0
; COMPUTE_PGM_RSRC3_GFX90A:ACCUM_OFFSET: 0
; COMPUTE_PGM_RSRC3_GFX90A:TG_SPLIT: 0
	.section	.text._ZN7rocprim17ROCPRIM_400000_NS6detail17trampoline_kernelINS0_14default_configENS1_38merge_sort_block_merge_config_selectorIsNS0_10empty_typeEEEZZNS1_27merge_sort_block_merge_implIS3_N6thrust23THRUST_200600_302600_NS6detail15normal_iteratorINS9_10device_ptrIsEEEEPS5_jNS1_19radix_merge_compareILb0ELb0EsNS0_19identity_decomposerEEEEE10hipError_tT0_T1_T2_jT3_P12ihipStream_tbPNSt15iterator_traitsISK_E10value_typeEPNSQ_ISL_E10value_typeEPSM_NS1_7vsmem_tEENKUlT_SK_SL_SM_E_clISE_PsSF_SF_EESJ_SZ_SK_SL_SM_EUlSZ_E1_NS1_11comp_targetILNS1_3genE3ELNS1_11target_archE908ELNS1_3gpuE7ELNS1_3repE0EEENS1_36merge_oddeven_config_static_selectorELNS0_4arch9wavefront6targetE1EEEvSL_,"axG",@progbits,_ZN7rocprim17ROCPRIM_400000_NS6detail17trampoline_kernelINS0_14default_configENS1_38merge_sort_block_merge_config_selectorIsNS0_10empty_typeEEEZZNS1_27merge_sort_block_merge_implIS3_N6thrust23THRUST_200600_302600_NS6detail15normal_iteratorINS9_10device_ptrIsEEEEPS5_jNS1_19radix_merge_compareILb0ELb0EsNS0_19identity_decomposerEEEEE10hipError_tT0_T1_T2_jT3_P12ihipStream_tbPNSt15iterator_traitsISK_E10value_typeEPNSQ_ISL_E10value_typeEPSM_NS1_7vsmem_tEENKUlT_SK_SL_SM_E_clISE_PsSF_SF_EESJ_SZ_SK_SL_SM_EUlSZ_E1_NS1_11comp_targetILNS1_3genE3ELNS1_11target_archE908ELNS1_3gpuE7ELNS1_3repE0EEENS1_36merge_oddeven_config_static_selectorELNS0_4arch9wavefront6targetE1EEEvSL_,comdat
	.protected	_ZN7rocprim17ROCPRIM_400000_NS6detail17trampoline_kernelINS0_14default_configENS1_38merge_sort_block_merge_config_selectorIsNS0_10empty_typeEEEZZNS1_27merge_sort_block_merge_implIS3_N6thrust23THRUST_200600_302600_NS6detail15normal_iteratorINS9_10device_ptrIsEEEEPS5_jNS1_19radix_merge_compareILb0ELb0EsNS0_19identity_decomposerEEEEE10hipError_tT0_T1_T2_jT3_P12ihipStream_tbPNSt15iterator_traitsISK_E10value_typeEPNSQ_ISL_E10value_typeEPSM_NS1_7vsmem_tEENKUlT_SK_SL_SM_E_clISE_PsSF_SF_EESJ_SZ_SK_SL_SM_EUlSZ_E1_NS1_11comp_targetILNS1_3genE3ELNS1_11target_archE908ELNS1_3gpuE7ELNS1_3repE0EEENS1_36merge_oddeven_config_static_selectorELNS0_4arch9wavefront6targetE1EEEvSL_ ; -- Begin function _ZN7rocprim17ROCPRIM_400000_NS6detail17trampoline_kernelINS0_14default_configENS1_38merge_sort_block_merge_config_selectorIsNS0_10empty_typeEEEZZNS1_27merge_sort_block_merge_implIS3_N6thrust23THRUST_200600_302600_NS6detail15normal_iteratorINS9_10device_ptrIsEEEEPS5_jNS1_19radix_merge_compareILb0ELb0EsNS0_19identity_decomposerEEEEE10hipError_tT0_T1_T2_jT3_P12ihipStream_tbPNSt15iterator_traitsISK_E10value_typeEPNSQ_ISL_E10value_typeEPSM_NS1_7vsmem_tEENKUlT_SK_SL_SM_E_clISE_PsSF_SF_EESJ_SZ_SK_SL_SM_EUlSZ_E1_NS1_11comp_targetILNS1_3genE3ELNS1_11target_archE908ELNS1_3gpuE7ELNS1_3repE0EEENS1_36merge_oddeven_config_static_selectorELNS0_4arch9wavefront6targetE1EEEvSL_
	.globl	_ZN7rocprim17ROCPRIM_400000_NS6detail17trampoline_kernelINS0_14default_configENS1_38merge_sort_block_merge_config_selectorIsNS0_10empty_typeEEEZZNS1_27merge_sort_block_merge_implIS3_N6thrust23THRUST_200600_302600_NS6detail15normal_iteratorINS9_10device_ptrIsEEEEPS5_jNS1_19radix_merge_compareILb0ELb0EsNS0_19identity_decomposerEEEEE10hipError_tT0_T1_T2_jT3_P12ihipStream_tbPNSt15iterator_traitsISK_E10value_typeEPNSQ_ISL_E10value_typeEPSM_NS1_7vsmem_tEENKUlT_SK_SL_SM_E_clISE_PsSF_SF_EESJ_SZ_SK_SL_SM_EUlSZ_E1_NS1_11comp_targetILNS1_3genE3ELNS1_11target_archE908ELNS1_3gpuE7ELNS1_3repE0EEENS1_36merge_oddeven_config_static_selectorELNS0_4arch9wavefront6targetE1EEEvSL_
	.p2align	8
	.type	_ZN7rocprim17ROCPRIM_400000_NS6detail17trampoline_kernelINS0_14default_configENS1_38merge_sort_block_merge_config_selectorIsNS0_10empty_typeEEEZZNS1_27merge_sort_block_merge_implIS3_N6thrust23THRUST_200600_302600_NS6detail15normal_iteratorINS9_10device_ptrIsEEEEPS5_jNS1_19radix_merge_compareILb0ELb0EsNS0_19identity_decomposerEEEEE10hipError_tT0_T1_T2_jT3_P12ihipStream_tbPNSt15iterator_traitsISK_E10value_typeEPNSQ_ISL_E10value_typeEPSM_NS1_7vsmem_tEENKUlT_SK_SL_SM_E_clISE_PsSF_SF_EESJ_SZ_SK_SL_SM_EUlSZ_E1_NS1_11comp_targetILNS1_3genE3ELNS1_11target_archE908ELNS1_3gpuE7ELNS1_3repE0EEENS1_36merge_oddeven_config_static_selectorELNS0_4arch9wavefront6targetE1EEEvSL_,@function
_ZN7rocprim17ROCPRIM_400000_NS6detail17trampoline_kernelINS0_14default_configENS1_38merge_sort_block_merge_config_selectorIsNS0_10empty_typeEEEZZNS1_27merge_sort_block_merge_implIS3_N6thrust23THRUST_200600_302600_NS6detail15normal_iteratorINS9_10device_ptrIsEEEEPS5_jNS1_19radix_merge_compareILb0ELb0EsNS0_19identity_decomposerEEEEE10hipError_tT0_T1_T2_jT3_P12ihipStream_tbPNSt15iterator_traitsISK_E10value_typeEPNSQ_ISL_E10value_typeEPSM_NS1_7vsmem_tEENKUlT_SK_SL_SM_E_clISE_PsSF_SF_EESJ_SZ_SK_SL_SM_EUlSZ_E1_NS1_11comp_targetILNS1_3genE3ELNS1_11target_archE908ELNS1_3gpuE7ELNS1_3repE0EEENS1_36merge_oddeven_config_static_selectorELNS0_4arch9wavefront6targetE1EEEvSL_: ; @_ZN7rocprim17ROCPRIM_400000_NS6detail17trampoline_kernelINS0_14default_configENS1_38merge_sort_block_merge_config_selectorIsNS0_10empty_typeEEEZZNS1_27merge_sort_block_merge_implIS3_N6thrust23THRUST_200600_302600_NS6detail15normal_iteratorINS9_10device_ptrIsEEEEPS5_jNS1_19radix_merge_compareILb0ELb0EsNS0_19identity_decomposerEEEEE10hipError_tT0_T1_T2_jT3_P12ihipStream_tbPNSt15iterator_traitsISK_E10value_typeEPNSQ_ISL_E10value_typeEPSM_NS1_7vsmem_tEENKUlT_SK_SL_SM_E_clISE_PsSF_SF_EESJ_SZ_SK_SL_SM_EUlSZ_E1_NS1_11comp_targetILNS1_3genE3ELNS1_11target_archE908ELNS1_3gpuE7ELNS1_3repE0EEENS1_36merge_oddeven_config_static_selectorELNS0_4arch9wavefront6targetE1EEEvSL_
; %bb.0:
	.section	.rodata,"a",@progbits
	.p2align	6, 0x0
	.amdhsa_kernel _ZN7rocprim17ROCPRIM_400000_NS6detail17trampoline_kernelINS0_14default_configENS1_38merge_sort_block_merge_config_selectorIsNS0_10empty_typeEEEZZNS1_27merge_sort_block_merge_implIS3_N6thrust23THRUST_200600_302600_NS6detail15normal_iteratorINS9_10device_ptrIsEEEEPS5_jNS1_19radix_merge_compareILb0ELb0EsNS0_19identity_decomposerEEEEE10hipError_tT0_T1_T2_jT3_P12ihipStream_tbPNSt15iterator_traitsISK_E10value_typeEPNSQ_ISL_E10value_typeEPSM_NS1_7vsmem_tEENKUlT_SK_SL_SM_E_clISE_PsSF_SF_EESJ_SZ_SK_SL_SM_EUlSZ_E1_NS1_11comp_targetILNS1_3genE3ELNS1_11target_archE908ELNS1_3gpuE7ELNS1_3repE0EEENS1_36merge_oddeven_config_static_selectorELNS0_4arch9wavefront6targetE1EEEvSL_
		.amdhsa_group_segment_fixed_size 0
		.amdhsa_private_segment_fixed_size 0
		.amdhsa_kernarg_size 48
		.amdhsa_user_sgpr_count 2
		.amdhsa_user_sgpr_dispatch_ptr 0
		.amdhsa_user_sgpr_queue_ptr 0
		.amdhsa_user_sgpr_kernarg_segment_ptr 1
		.amdhsa_user_sgpr_dispatch_id 0
		.amdhsa_user_sgpr_kernarg_preload_length 0
		.amdhsa_user_sgpr_kernarg_preload_offset 0
		.amdhsa_user_sgpr_private_segment_size 0
		.amdhsa_uses_dynamic_stack 0
		.amdhsa_enable_private_segment 0
		.amdhsa_system_sgpr_workgroup_id_x 1
		.amdhsa_system_sgpr_workgroup_id_y 0
		.amdhsa_system_sgpr_workgroup_id_z 0
		.amdhsa_system_sgpr_workgroup_info 0
		.amdhsa_system_vgpr_workitem_id 0
		.amdhsa_next_free_vgpr 1
		.amdhsa_next_free_sgpr 0
		.amdhsa_accum_offset 4
		.amdhsa_reserve_vcc 0
		.amdhsa_float_round_mode_32 0
		.amdhsa_float_round_mode_16_64 0
		.amdhsa_float_denorm_mode_32 3
		.amdhsa_float_denorm_mode_16_64 3
		.amdhsa_dx10_clamp 1
		.amdhsa_ieee_mode 1
		.amdhsa_fp16_overflow 0
		.amdhsa_tg_split 0
		.amdhsa_exception_fp_ieee_invalid_op 0
		.amdhsa_exception_fp_denorm_src 0
		.amdhsa_exception_fp_ieee_div_zero 0
		.amdhsa_exception_fp_ieee_overflow 0
		.amdhsa_exception_fp_ieee_underflow 0
		.amdhsa_exception_fp_ieee_inexact 0
		.amdhsa_exception_int_div_zero 0
	.end_amdhsa_kernel
	.section	.text._ZN7rocprim17ROCPRIM_400000_NS6detail17trampoline_kernelINS0_14default_configENS1_38merge_sort_block_merge_config_selectorIsNS0_10empty_typeEEEZZNS1_27merge_sort_block_merge_implIS3_N6thrust23THRUST_200600_302600_NS6detail15normal_iteratorINS9_10device_ptrIsEEEEPS5_jNS1_19radix_merge_compareILb0ELb0EsNS0_19identity_decomposerEEEEE10hipError_tT0_T1_T2_jT3_P12ihipStream_tbPNSt15iterator_traitsISK_E10value_typeEPNSQ_ISL_E10value_typeEPSM_NS1_7vsmem_tEENKUlT_SK_SL_SM_E_clISE_PsSF_SF_EESJ_SZ_SK_SL_SM_EUlSZ_E1_NS1_11comp_targetILNS1_3genE3ELNS1_11target_archE908ELNS1_3gpuE7ELNS1_3repE0EEENS1_36merge_oddeven_config_static_selectorELNS0_4arch9wavefront6targetE1EEEvSL_,"axG",@progbits,_ZN7rocprim17ROCPRIM_400000_NS6detail17trampoline_kernelINS0_14default_configENS1_38merge_sort_block_merge_config_selectorIsNS0_10empty_typeEEEZZNS1_27merge_sort_block_merge_implIS3_N6thrust23THRUST_200600_302600_NS6detail15normal_iteratorINS9_10device_ptrIsEEEEPS5_jNS1_19radix_merge_compareILb0ELb0EsNS0_19identity_decomposerEEEEE10hipError_tT0_T1_T2_jT3_P12ihipStream_tbPNSt15iterator_traitsISK_E10value_typeEPNSQ_ISL_E10value_typeEPSM_NS1_7vsmem_tEENKUlT_SK_SL_SM_E_clISE_PsSF_SF_EESJ_SZ_SK_SL_SM_EUlSZ_E1_NS1_11comp_targetILNS1_3genE3ELNS1_11target_archE908ELNS1_3gpuE7ELNS1_3repE0EEENS1_36merge_oddeven_config_static_selectorELNS0_4arch9wavefront6targetE1EEEvSL_,comdat
.Lfunc_end1862:
	.size	_ZN7rocprim17ROCPRIM_400000_NS6detail17trampoline_kernelINS0_14default_configENS1_38merge_sort_block_merge_config_selectorIsNS0_10empty_typeEEEZZNS1_27merge_sort_block_merge_implIS3_N6thrust23THRUST_200600_302600_NS6detail15normal_iteratorINS9_10device_ptrIsEEEEPS5_jNS1_19radix_merge_compareILb0ELb0EsNS0_19identity_decomposerEEEEE10hipError_tT0_T1_T2_jT3_P12ihipStream_tbPNSt15iterator_traitsISK_E10value_typeEPNSQ_ISL_E10value_typeEPSM_NS1_7vsmem_tEENKUlT_SK_SL_SM_E_clISE_PsSF_SF_EESJ_SZ_SK_SL_SM_EUlSZ_E1_NS1_11comp_targetILNS1_3genE3ELNS1_11target_archE908ELNS1_3gpuE7ELNS1_3repE0EEENS1_36merge_oddeven_config_static_selectorELNS0_4arch9wavefront6targetE1EEEvSL_, .Lfunc_end1862-_ZN7rocprim17ROCPRIM_400000_NS6detail17trampoline_kernelINS0_14default_configENS1_38merge_sort_block_merge_config_selectorIsNS0_10empty_typeEEEZZNS1_27merge_sort_block_merge_implIS3_N6thrust23THRUST_200600_302600_NS6detail15normal_iteratorINS9_10device_ptrIsEEEEPS5_jNS1_19radix_merge_compareILb0ELb0EsNS0_19identity_decomposerEEEEE10hipError_tT0_T1_T2_jT3_P12ihipStream_tbPNSt15iterator_traitsISK_E10value_typeEPNSQ_ISL_E10value_typeEPSM_NS1_7vsmem_tEENKUlT_SK_SL_SM_E_clISE_PsSF_SF_EESJ_SZ_SK_SL_SM_EUlSZ_E1_NS1_11comp_targetILNS1_3genE3ELNS1_11target_archE908ELNS1_3gpuE7ELNS1_3repE0EEENS1_36merge_oddeven_config_static_selectorELNS0_4arch9wavefront6targetE1EEEvSL_
                                        ; -- End function
	.section	.AMDGPU.csdata,"",@progbits
; Kernel info:
; codeLenInByte = 0
; NumSgprs: 6
; NumVgprs: 0
; NumAgprs: 0
; TotalNumVgprs: 0
; ScratchSize: 0
; MemoryBound: 0
; FloatMode: 240
; IeeeMode: 1
; LDSByteSize: 0 bytes/workgroup (compile time only)
; SGPRBlocks: 0
; VGPRBlocks: 0
; NumSGPRsForWavesPerEU: 6
; NumVGPRsForWavesPerEU: 1
; AccumOffset: 4
; Occupancy: 8
; WaveLimiterHint : 0
; COMPUTE_PGM_RSRC2:SCRATCH_EN: 0
; COMPUTE_PGM_RSRC2:USER_SGPR: 2
; COMPUTE_PGM_RSRC2:TRAP_HANDLER: 0
; COMPUTE_PGM_RSRC2:TGID_X_EN: 1
; COMPUTE_PGM_RSRC2:TGID_Y_EN: 0
; COMPUTE_PGM_RSRC2:TGID_Z_EN: 0
; COMPUTE_PGM_RSRC2:TIDIG_COMP_CNT: 0
; COMPUTE_PGM_RSRC3_GFX90A:ACCUM_OFFSET: 0
; COMPUTE_PGM_RSRC3_GFX90A:TG_SPLIT: 0
	.section	.text._ZN7rocprim17ROCPRIM_400000_NS6detail17trampoline_kernelINS0_14default_configENS1_38merge_sort_block_merge_config_selectorIsNS0_10empty_typeEEEZZNS1_27merge_sort_block_merge_implIS3_N6thrust23THRUST_200600_302600_NS6detail15normal_iteratorINS9_10device_ptrIsEEEEPS5_jNS1_19radix_merge_compareILb0ELb0EsNS0_19identity_decomposerEEEEE10hipError_tT0_T1_T2_jT3_P12ihipStream_tbPNSt15iterator_traitsISK_E10value_typeEPNSQ_ISL_E10value_typeEPSM_NS1_7vsmem_tEENKUlT_SK_SL_SM_E_clISE_PsSF_SF_EESJ_SZ_SK_SL_SM_EUlSZ_E1_NS1_11comp_targetILNS1_3genE2ELNS1_11target_archE906ELNS1_3gpuE6ELNS1_3repE0EEENS1_36merge_oddeven_config_static_selectorELNS0_4arch9wavefront6targetE1EEEvSL_,"axG",@progbits,_ZN7rocprim17ROCPRIM_400000_NS6detail17trampoline_kernelINS0_14default_configENS1_38merge_sort_block_merge_config_selectorIsNS0_10empty_typeEEEZZNS1_27merge_sort_block_merge_implIS3_N6thrust23THRUST_200600_302600_NS6detail15normal_iteratorINS9_10device_ptrIsEEEEPS5_jNS1_19radix_merge_compareILb0ELb0EsNS0_19identity_decomposerEEEEE10hipError_tT0_T1_T2_jT3_P12ihipStream_tbPNSt15iterator_traitsISK_E10value_typeEPNSQ_ISL_E10value_typeEPSM_NS1_7vsmem_tEENKUlT_SK_SL_SM_E_clISE_PsSF_SF_EESJ_SZ_SK_SL_SM_EUlSZ_E1_NS1_11comp_targetILNS1_3genE2ELNS1_11target_archE906ELNS1_3gpuE6ELNS1_3repE0EEENS1_36merge_oddeven_config_static_selectorELNS0_4arch9wavefront6targetE1EEEvSL_,comdat
	.protected	_ZN7rocprim17ROCPRIM_400000_NS6detail17trampoline_kernelINS0_14default_configENS1_38merge_sort_block_merge_config_selectorIsNS0_10empty_typeEEEZZNS1_27merge_sort_block_merge_implIS3_N6thrust23THRUST_200600_302600_NS6detail15normal_iteratorINS9_10device_ptrIsEEEEPS5_jNS1_19radix_merge_compareILb0ELb0EsNS0_19identity_decomposerEEEEE10hipError_tT0_T1_T2_jT3_P12ihipStream_tbPNSt15iterator_traitsISK_E10value_typeEPNSQ_ISL_E10value_typeEPSM_NS1_7vsmem_tEENKUlT_SK_SL_SM_E_clISE_PsSF_SF_EESJ_SZ_SK_SL_SM_EUlSZ_E1_NS1_11comp_targetILNS1_3genE2ELNS1_11target_archE906ELNS1_3gpuE6ELNS1_3repE0EEENS1_36merge_oddeven_config_static_selectorELNS0_4arch9wavefront6targetE1EEEvSL_ ; -- Begin function _ZN7rocprim17ROCPRIM_400000_NS6detail17trampoline_kernelINS0_14default_configENS1_38merge_sort_block_merge_config_selectorIsNS0_10empty_typeEEEZZNS1_27merge_sort_block_merge_implIS3_N6thrust23THRUST_200600_302600_NS6detail15normal_iteratorINS9_10device_ptrIsEEEEPS5_jNS1_19radix_merge_compareILb0ELb0EsNS0_19identity_decomposerEEEEE10hipError_tT0_T1_T2_jT3_P12ihipStream_tbPNSt15iterator_traitsISK_E10value_typeEPNSQ_ISL_E10value_typeEPSM_NS1_7vsmem_tEENKUlT_SK_SL_SM_E_clISE_PsSF_SF_EESJ_SZ_SK_SL_SM_EUlSZ_E1_NS1_11comp_targetILNS1_3genE2ELNS1_11target_archE906ELNS1_3gpuE6ELNS1_3repE0EEENS1_36merge_oddeven_config_static_selectorELNS0_4arch9wavefront6targetE1EEEvSL_
	.globl	_ZN7rocprim17ROCPRIM_400000_NS6detail17trampoline_kernelINS0_14default_configENS1_38merge_sort_block_merge_config_selectorIsNS0_10empty_typeEEEZZNS1_27merge_sort_block_merge_implIS3_N6thrust23THRUST_200600_302600_NS6detail15normal_iteratorINS9_10device_ptrIsEEEEPS5_jNS1_19radix_merge_compareILb0ELb0EsNS0_19identity_decomposerEEEEE10hipError_tT0_T1_T2_jT3_P12ihipStream_tbPNSt15iterator_traitsISK_E10value_typeEPNSQ_ISL_E10value_typeEPSM_NS1_7vsmem_tEENKUlT_SK_SL_SM_E_clISE_PsSF_SF_EESJ_SZ_SK_SL_SM_EUlSZ_E1_NS1_11comp_targetILNS1_3genE2ELNS1_11target_archE906ELNS1_3gpuE6ELNS1_3repE0EEENS1_36merge_oddeven_config_static_selectorELNS0_4arch9wavefront6targetE1EEEvSL_
	.p2align	8
	.type	_ZN7rocprim17ROCPRIM_400000_NS6detail17trampoline_kernelINS0_14default_configENS1_38merge_sort_block_merge_config_selectorIsNS0_10empty_typeEEEZZNS1_27merge_sort_block_merge_implIS3_N6thrust23THRUST_200600_302600_NS6detail15normal_iteratorINS9_10device_ptrIsEEEEPS5_jNS1_19radix_merge_compareILb0ELb0EsNS0_19identity_decomposerEEEEE10hipError_tT0_T1_T2_jT3_P12ihipStream_tbPNSt15iterator_traitsISK_E10value_typeEPNSQ_ISL_E10value_typeEPSM_NS1_7vsmem_tEENKUlT_SK_SL_SM_E_clISE_PsSF_SF_EESJ_SZ_SK_SL_SM_EUlSZ_E1_NS1_11comp_targetILNS1_3genE2ELNS1_11target_archE906ELNS1_3gpuE6ELNS1_3repE0EEENS1_36merge_oddeven_config_static_selectorELNS0_4arch9wavefront6targetE1EEEvSL_,@function
_ZN7rocprim17ROCPRIM_400000_NS6detail17trampoline_kernelINS0_14default_configENS1_38merge_sort_block_merge_config_selectorIsNS0_10empty_typeEEEZZNS1_27merge_sort_block_merge_implIS3_N6thrust23THRUST_200600_302600_NS6detail15normal_iteratorINS9_10device_ptrIsEEEEPS5_jNS1_19radix_merge_compareILb0ELb0EsNS0_19identity_decomposerEEEEE10hipError_tT0_T1_T2_jT3_P12ihipStream_tbPNSt15iterator_traitsISK_E10value_typeEPNSQ_ISL_E10value_typeEPSM_NS1_7vsmem_tEENKUlT_SK_SL_SM_E_clISE_PsSF_SF_EESJ_SZ_SK_SL_SM_EUlSZ_E1_NS1_11comp_targetILNS1_3genE2ELNS1_11target_archE906ELNS1_3gpuE6ELNS1_3repE0EEENS1_36merge_oddeven_config_static_selectorELNS0_4arch9wavefront6targetE1EEEvSL_: ; @_ZN7rocprim17ROCPRIM_400000_NS6detail17trampoline_kernelINS0_14default_configENS1_38merge_sort_block_merge_config_selectorIsNS0_10empty_typeEEEZZNS1_27merge_sort_block_merge_implIS3_N6thrust23THRUST_200600_302600_NS6detail15normal_iteratorINS9_10device_ptrIsEEEEPS5_jNS1_19radix_merge_compareILb0ELb0EsNS0_19identity_decomposerEEEEE10hipError_tT0_T1_T2_jT3_P12ihipStream_tbPNSt15iterator_traitsISK_E10value_typeEPNSQ_ISL_E10value_typeEPSM_NS1_7vsmem_tEENKUlT_SK_SL_SM_E_clISE_PsSF_SF_EESJ_SZ_SK_SL_SM_EUlSZ_E1_NS1_11comp_targetILNS1_3genE2ELNS1_11target_archE906ELNS1_3gpuE6ELNS1_3repE0EEENS1_36merge_oddeven_config_static_selectorELNS0_4arch9wavefront6targetE1EEEvSL_
; %bb.0:
	.section	.rodata,"a",@progbits
	.p2align	6, 0x0
	.amdhsa_kernel _ZN7rocprim17ROCPRIM_400000_NS6detail17trampoline_kernelINS0_14default_configENS1_38merge_sort_block_merge_config_selectorIsNS0_10empty_typeEEEZZNS1_27merge_sort_block_merge_implIS3_N6thrust23THRUST_200600_302600_NS6detail15normal_iteratorINS9_10device_ptrIsEEEEPS5_jNS1_19radix_merge_compareILb0ELb0EsNS0_19identity_decomposerEEEEE10hipError_tT0_T1_T2_jT3_P12ihipStream_tbPNSt15iterator_traitsISK_E10value_typeEPNSQ_ISL_E10value_typeEPSM_NS1_7vsmem_tEENKUlT_SK_SL_SM_E_clISE_PsSF_SF_EESJ_SZ_SK_SL_SM_EUlSZ_E1_NS1_11comp_targetILNS1_3genE2ELNS1_11target_archE906ELNS1_3gpuE6ELNS1_3repE0EEENS1_36merge_oddeven_config_static_selectorELNS0_4arch9wavefront6targetE1EEEvSL_
		.amdhsa_group_segment_fixed_size 0
		.amdhsa_private_segment_fixed_size 0
		.amdhsa_kernarg_size 48
		.amdhsa_user_sgpr_count 2
		.amdhsa_user_sgpr_dispatch_ptr 0
		.amdhsa_user_sgpr_queue_ptr 0
		.amdhsa_user_sgpr_kernarg_segment_ptr 1
		.amdhsa_user_sgpr_dispatch_id 0
		.amdhsa_user_sgpr_kernarg_preload_length 0
		.amdhsa_user_sgpr_kernarg_preload_offset 0
		.amdhsa_user_sgpr_private_segment_size 0
		.amdhsa_uses_dynamic_stack 0
		.amdhsa_enable_private_segment 0
		.amdhsa_system_sgpr_workgroup_id_x 1
		.amdhsa_system_sgpr_workgroup_id_y 0
		.amdhsa_system_sgpr_workgroup_id_z 0
		.amdhsa_system_sgpr_workgroup_info 0
		.amdhsa_system_vgpr_workitem_id 0
		.amdhsa_next_free_vgpr 1
		.amdhsa_next_free_sgpr 0
		.amdhsa_accum_offset 4
		.amdhsa_reserve_vcc 0
		.amdhsa_float_round_mode_32 0
		.amdhsa_float_round_mode_16_64 0
		.amdhsa_float_denorm_mode_32 3
		.amdhsa_float_denorm_mode_16_64 3
		.amdhsa_dx10_clamp 1
		.amdhsa_ieee_mode 1
		.amdhsa_fp16_overflow 0
		.amdhsa_tg_split 0
		.amdhsa_exception_fp_ieee_invalid_op 0
		.amdhsa_exception_fp_denorm_src 0
		.amdhsa_exception_fp_ieee_div_zero 0
		.amdhsa_exception_fp_ieee_overflow 0
		.amdhsa_exception_fp_ieee_underflow 0
		.amdhsa_exception_fp_ieee_inexact 0
		.amdhsa_exception_int_div_zero 0
	.end_amdhsa_kernel
	.section	.text._ZN7rocprim17ROCPRIM_400000_NS6detail17trampoline_kernelINS0_14default_configENS1_38merge_sort_block_merge_config_selectorIsNS0_10empty_typeEEEZZNS1_27merge_sort_block_merge_implIS3_N6thrust23THRUST_200600_302600_NS6detail15normal_iteratorINS9_10device_ptrIsEEEEPS5_jNS1_19radix_merge_compareILb0ELb0EsNS0_19identity_decomposerEEEEE10hipError_tT0_T1_T2_jT3_P12ihipStream_tbPNSt15iterator_traitsISK_E10value_typeEPNSQ_ISL_E10value_typeEPSM_NS1_7vsmem_tEENKUlT_SK_SL_SM_E_clISE_PsSF_SF_EESJ_SZ_SK_SL_SM_EUlSZ_E1_NS1_11comp_targetILNS1_3genE2ELNS1_11target_archE906ELNS1_3gpuE6ELNS1_3repE0EEENS1_36merge_oddeven_config_static_selectorELNS0_4arch9wavefront6targetE1EEEvSL_,"axG",@progbits,_ZN7rocprim17ROCPRIM_400000_NS6detail17trampoline_kernelINS0_14default_configENS1_38merge_sort_block_merge_config_selectorIsNS0_10empty_typeEEEZZNS1_27merge_sort_block_merge_implIS3_N6thrust23THRUST_200600_302600_NS6detail15normal_iteratorINS9_10device_ptrIsEEEEPS5_jNS1_19radix_merge_compareILb0ELb0EsNS0_19identity_decomposerEEEEE10hipError_tT0_T1_T2_jT3_P12ihipStream_tbPNSt15iterator_traitsISK_E10value_typeEPNSQ_ISL_E10value_typeEPSM_NS1_7vsmem_tEENKUlT_SK_SL_SM_E_clISE_PsSF_SF_EESJ_SZ_SK_SL_SM_EUlSZ_E1_NS1_11comp_targetILNS1_3genE2ELNS1_11target_archE906ELNS1_3gpuE6ELNS1_3repE0EEENS1_36merge_oddeven_config_static_selectorELNS0_4arch9wavefront6targetE1EEEvSL_,comdat
.Lfunc_end1863:
	.size	_ZN7rocprim17ROCPRIM_400000_NS6detail17trampoline_kernelINS0_14default_configENS1_38merge_sort_block_merge_config_selectorIsNS0_10empty_typeEEEZZNS1_27merge_sort_block_merge_implIS3_N6thrust23THRUST_200600_302600_NS6detail15normal_iteratorINS9_10device_ptrIsEEEEPS5_jNS1_19radix_merge_compareILb0ELb0EsNS0_19identity_decomposerEEEEE10hipError_tT0_T1_T2_jT3_P12ihipStream_tbPNSt15iterator_traitsISK_E10value_typeEPNSQ_ISL_E10value_typeEPSM_NS1_7vsmem_tEENKUlT_SK_SL_SM_E_clISE_PsSF_SF_EESJ_SZ_SK_SL_SM_EUlSZ_E1_NS1_11comp_targetILNS1_3genE2ELNS1_11target_archE906ELNS1_3gpuE6ELNS1_3repE0EEENS1_36merge_oddeven_config_static_selectorELNS0_4arch9wavefront6targetE1EEEvSL_, .Lfunc_end1863-_ZN7rocprim17ROCPRIM_400000_NS6detail17trampoline_kernelINS0_14default_configENS1_38merge_sort_block_merge_config_selectorIsNS0_10empty_typeEEEZZNS1_27merge_sort_block_merge_implIS3_N6thrust23THRUST_200600_302600_NS6detail15normal_iteratorINS9_10device_ptrIsEEEEPS5_jNS1_19radix_merge_compareILb0ELb0EsNS0_19identity_decomposerEEEEE10hipError_tT0_T1_T2_jT3_P12ihipStream_tbPNSt15iterator_traitsISK_E10value_typeEPNSQ_ISL_E10value_typeEPSM_NS1_7vsmem_tEENKUlT_SK_SL_SM_E_clISE_PsSF_SF_EESJ_SZ_SK_SL_SM_EUlSZ_E1_NS1_11comp_targetILNS1_3genE2ELNS1_11target_archE906ELNS1_3gpuE6ELNS1_3repE0EEENS1_36merge_oddeven_config_static_selectorELNS0_4arch9wavefront6targetE1EEEvSL_
                                        ; -- End function
	.section	.AMDGPU.csdata,"",@progbits
; Kernel info:
; codeLenInByte = 0
; NumSgprs: 6
; NumVgprs: 0
; NumAgprs: 0
; TotalNumVgprs: 0
; ScratchSize: 0
; MemoryBound: 0
; FloatMode: 240
; IeeeMode: 1
; LDSByteSize: 0 bytes/workgroup (compile time only)
; SGPRBlocks: 0
; VGPRBlocks: 0
; NumSGPRsForWavesPerEU: 6
; NumVGPRsForWavesPerEU: 1
; AccumOffset: 4
; Occupancy: 8
; WaveLimiterHint : 0
; COMPUTE_PGM_RSRC2:SCRATCH_EN: 0
; COMPUTE_PGM_RSRC2:USER_SGPR: 2
; COMPUTE_PGM_RSRC2:TRAP_HANDLER: 0
; COMPUTE_PGM_RSRC2:TGID_X_EN: 1
; COMPUTE_PGM_RSRC2:TGID_Y_EN: 0
; COMPUTE_PGM_RSRC2:TGID_Z_EN: 0
; COMPUTE_PGM_RSRC2:TIDIG_COMP_CNT: 0
; COMPUTE_PGM_RSRC3_GFX90A:ACCUM_OFFSET: 0
; COMPUTE_PGM_RSRC3_GFX90A:TG_SPLIT: 0
	.section	.text._ZN7rocprim17ROCPRIM_400000_NS6detail17trampoline_kernelINS0_14default_configENS1_38merge_sort_block_merge_config_selectorIsNS0_10empty_typeEEEZZNS1_27merge_sort_block_merge_implIS3_N6thrust23THRUST_200600_302600_NS6detail15normal_iteratorINS9_10device_ptrIsEEEEPS5_jNS1_19radix_merge_compareILb0ELb0EsNS0_19identity_decomposerEEEEE10hipError_tT0_T1_T2_jT3_P12ihipStream_tbPNSt15iterator_traitsISK_E10value_typeEPNSQ_ISL_E10value_typeEPSM_NS1_7vsmem_tEENKUlT_SK_SL_SM_E_clISE_PsSF_SF_EESJ_SZ_SK_SL_SM_EUlSZ_E1_NS1_11comp_targetILNS1_3genE9ELNS1_11target_archE1100ELNS1_3gpuE3ELNS1_3repE0EEENS1_36merge_oddeven_config_static_selectorELNS0_4arch9wavefront6targetE1EEEvSL_,"axG",@progbits,_ZN7rocprim17ROCPRIM_400000_NS6detail17trampoline_kernelINS0_14default_configENS1_38merge_sort_block_merge_config_selectorIsNS0_10empty_typeEEEZZNS1_27merge_sort_block_merge_implIS3_N6thrust23THRUST_200600_302600_NS6detail15normal_iteratorINS9_10device_ptrIsEEEEPS5_jNS1_19radix_merge_compareILb0ELb0EsNS0_19identity_decomposerEEEEE10hipError_tT0_T1_T2_jT3_P12ihipStream_tbPNSt15iterator_traitsISK_E10value_typeEPNSQ_ISL_E10value_typeEPSM_NS1_7vsmem_tEENKUlT_SK_SL_SM_E_clISE_PsSF_SF_EESJ_SZ_SK_SL_SM_EUlSZ_E1_NS1_11comp_targetILNS1_3genE9ELNS1_11target_archE1100ELNS1_3gpuE3ELNS1_3repE0EEENS1_36merge_oddeven_config_static_selectorELNS0_4arch9wavefront6targetE1EEEvSL_,comdat
	.protected	_ZN7rocprim17ROCPRIM_400000_NS6detail17trampoline_kernelINS0_14default_configENS1_38merge_sort_block_merge_config_selectorIsNS0_10empty_typeEEEZZNS1_27merge_sort_block_merge_implIS3_N6thrust23THRUST_200600_302600_NS6detail15normal_iteratorINS9_10device_ptrIsEEEEPS5_jNS1_19radix_merge_compareILb0ELb0EsNS0_19identity_decomposerEEEEE10hipError_tT0_T1_T2_jT3_P12ihipStream_tbPNSt15iterator_traitsISK_E10value_typeEPNSQ_ISL_E10value_typeEPSM_NS1_7vsmem_tEENKUlT_SK_SL_SM_E_clISE_PsSF_SF_EESJ_SZ_SK_SL_SM_EUlSZ_E1_NS1_11comp_targetILNS1_3genE9ELNS1_11target_archE1100ELNS1_3gpuE3ELNS1_3repE0EEENS1_36merge_oddeven_config_static_selectorELNS0_4arch9wavefront6targetE1EEEvSL_ ; -- Begin function _ZN7rocprim17ROCPRIM_400000_NS6detail17trampoline_kernelINS0_14default_configENS1_38merge_sort_block_merge_config_selectorIsNS0_10empty_typeEEEZZNS1_27merge_sort_block_merge_implIS3_N6thrust23THRUST_200600_302600_NS6detail15normal_iteratorINS9_10device_ptrIsEEEEPS5_jNS1_19radix_merge_compareILb0ELb0EsNS0_19identity_decomposerEEEEE10hipError_tT0_T1_T2_jT3_P12ihipStream_tbPNSt15iterator_traitsISK_E10value_typeEPNSQ_ISL_E10value_typeEPSM_NS1_7vsmem_tEENKUlT_SK_SL_SM_E_clISE_PsSF_SF_EESJ_SZ_SK_SL_SM_EUlSZ_E1_NS1_11comp_targetILNS1_3genE9ELNS1_11target_archE1100ELNS1_3gpuE3ELNS1_3repE0EEENS1_36merge_oddeven_config_static_selectorELNS0_4arch9wavefront6targetE1EEEvSL_
	.globl	_ZN7rocprim17ROCPRIM_400000_NS6detail17trampoline_kernelINS0_14default_configENS1_38merge_sort_block_merge_config_selectorIsNS0_10empty_typeEEEZZNS1_27merge_sort_block_merge_implIS3_N6thrust23THRUST_200600_302600_NS6detail15normal_iteratorINS9_10device_ptrIsEEEEPS5_jNS1_19radix_merge_compareILb0ELb0EsNS0_19identity_decomposerEEEEE10hipError_tT0_T1_T2_jT3_P12ihipStream_tbPNSt15iterator_traitsISK_E10value_typeEPNSQ_ISL_E10value_typeEPSM_NS1_7vsmem_tEENKUlT_SK_SL_SM_E_clISE_PsSF_SF_EESJ_SZ_SK_SL_SM_EUlSZ_E1_NS1_11comp_targetILNS1_3genE9ELNS1_11target_archE1100ELNS1_3gpuE3ELNS1_3repE0EEENS1_36merge_oddeven_config_static_selectorELNS0_4arch9wavefront6targetE1EEEvSL_
	.p2align	8
	.type	_ZN7rocprim17ROCPRIM_400000_NS6detail17trampoline_kernelINS0_14default_configENS1_38merge_sort_block_merge_config_selectorIsNS0_10empty_typeEEEZZNS1_27merge_sort_block_merge_implIS3_N6thrust23THRUST_200600_302600_NS6detail15normal_iteratorINS9_10device_ptrIsEEEEPS5_jNS1_19radix_merge_compareILb0ELb0EsNS0_19identity_decomposerEEEEE10hipError_tT0_T1_T2_jT3_P12ihipStream_tbPNSt15iterator_traitsISK_E10value_typeEPNSQ_ISL_E10value_typeEPSM_NS1_7vsmem_tEENKUlT_SK_SL_SM_E_clISE_PsSF_SF_EESJ_SZ_SK_SL_SM_EUlSZ_E1_NS1_11comp_targetILNS1_3genE9ELNS1_11target_archE1100ELNS1_3gpuE3ELNS1_3repE0EEENS1_36merge_oddeven_config_static_selectorELNS0_4arch9wavefront6targetE1EEEvSL_,@function
_ZN7rocprim17ROCPRIM_400000_NS6detail17trampoline_kernelINS0_14default_configENS1_38merge_sort_block_merge_config_selectorIsNS0_10empty_typeEEEZZNS1_27merge_sort_block_merge_implIS3_N6thrust23THRUST_200600_302600_NS6detail15normal_iteratorINS9_10device_ptrIsEEEEPS5_jNS1_19radix_merge_compareILb0ELb0EsNS0_19identity_decomposerEEEEE10hipError_tT0_T1_T2_jT3_P12ihipStream_tbPNSt15iterator_traitsISK_E10value_typeEPNSQ_ISL_E10value_typeEPSM_NS1_7vsmem_tEENKUlT_SK_SL_SM_E_clISE_PsSF_SF_EESJ_SZ_SK_SL_SM_EUlSZ_E1_NS1_11comp_targetILNS1_3genE9ELNS1_11target_archE1100ELNS1_3gpuE3ELNS1_3repE0EEENS1_36merge_oddeven_config_static_selectorELNS0_4arch9wavefront6targetE1EEEvSL_: ; @_ZN7rocprim17ROCPRIM_400000_NS6detail17trampoline_kernelINS0_14default_configENS1_38merge_sort_block_merge_config_selectorIsNS0_10empty_typeEEEZZNS1_27merge_sort_block_merge_implIS3_N6thrust23THRUST_200600_302600_NS6detail15normal_iteratorINS9_10device_ptrIsEEEEPS5_jNS1_19radix_merge_compareILb0ELb0EsNS0_19identity_decomposerEEEEE10hipError_tT0_T1_T2_jT3_P12ihipStream_tbPNSt15iterator_traitsISK_E10value_typeEPNSQ_ISL_E10value_typeEPSM_NS1_7vsmem_tEENKUlT_SK_SL_SM_E_clISE_PsSF_SF_EESJ_SZ_SK_SL_SM_EUlSZ_E1_NS1_11comp_targetILNS1_3genE9ELNS1_11target_archE1100ELNS1_3gpuE3ELNS1_3repE0EEENS1_36merge_oddeven_config_static_selectorELNS0_4arch9wavefront6targetE1EEEvSL_
; %bb.0:
	.section	.rodata,"a",@progbits
	.p2align	6, 0x0
	.amdhsa_kernel _ZN7rocprim17ROCPRIM_400000_NS6detail17trampoline_kernelINS0_14default_configENS1_38merge_sort_block_merge_config_selectorIsNS0_10empty_typeEEEZZNS1_27merge_sort_block_merge_implIS3_N6thrust23THRUST_200600_302600_NS6detail15normal_iteratorINS9_10device_ptrIsEEEEPS5_jNS1_19radix_merge_compareILb0ELb0EsNS0_19identity_decomposerEEEEE10hipError_tT0_T1_T2_jT3_P12ihipStream_tbPNSt15iterator_traitsISK_E10value_typeEPNSQ_ISL_E10value_typeEPSM_NS1_7vsmem_tEENKUlT_SK_SL_SM_E_clISE_PsSF_SF_EESJ_SZ_SK_SL_SM_EUlSZ_E1_NS1_11comp_targetILNS1_3genE9ELNS1_11target_archE1100ELNS1_3gpuE3ELNS1_3repE0EEENS1_36merge_oddeven_config_static_selectorELNS0_4arch9wavefront6targetE1EEEvSL_
		.amdhsa_group_segment_fixed_size 0
		.amdhsa_private_segment_fixed_size 0
		.amdhsa_kernarg_size 48
		.amdhsa_user_sgpr_count 2
		.amdhsa_user_sgpr_dispatch_ptr 0
		.amdhsa_user_sgpr_queue_ptr 0
		.amdhsa_user_sgpr_kernarg_segment_ptr 1
		.amdhsa_user_sgpr_dispatch_id 0
		.amdhsa_user_sgpr_kernarg_preload_length 0
		.amdhsa_user_sgpr_kernarg_preload_offset 0
		.amdhsa_user_sgpr_private_segment_size 0
		.amdhsa_uses_dynamic_stack 0
		.amdhsa_enable_private_segment 0
		.amdhsa_system_sgpr_workgroup_id_x 1
		.amdhsa_system_sgpr_workgroup_id_y 0
		.amdhsa_system_sgpr_workgroup_id_z 0
		.amdhsa_system_sgpr_workgroup_info 0
		.amdhsa_system_vgpr_workitem_id 0
		.amdhsa_next_free_vgpr 1
		.amdhsa_next_free_sgpr 0
		.amdhsa_accum_offset 4
		.amdhsa_reserve_vcc 0
		.amdhsa_float_round_mode_32 0
		.amdhsa_float_round_mode_16_64 0
		.amdhsa_float_denorm_mode_32 3
		.amdhsa_float_denorm_mode_16_64 3
		.amdhsa_dx10_clamp 1
		.amdhsa_ieee_mode 1
		.amdhsa_fp16_overflow 0
		.amdhsa_tg_split 0
		.amdhsa_exception_fp_ieee_invalid_op 0
		.amdhsa_exception_fp_denorm_src 0
		.amdhsa_exception_fp_ieee_div_zero 0
		.amdhsa_exception_fp_ieee_overflow 0
		.amdhsa_exception_fp_ieee_underflow 0
		.amdhsa_exception_fp_ieee_inexact 0
		.amdhsa_exception_int_div_zero 0
	.end_amdhsa_kernel
	.section	.text._ZN7rocprim17ROCPRIM_400000_NS6detail17trampoline_kernelINS0_14default_configENS1_38merge_sort_block_merge_config_selectorIsNS0_10empty_typeEEEZZNS1_27merge_sort_block_merge_implIS3_N6thrust23THRUST_200600_302600_NS6detail15normal_iteratorINS9_10device_ptrIsEEEEPS5_jNS1_19radix_merge_compareILb0ELb0EsNS0_19identity_decomposerEEEEE10hipError_tT0_T1_T2_jT3_P12ihipStream_tbPNSt15iterator_traitsISK_E10value_typeEPNSQ_ISL_E10value_typeEPSM_NS1_7vsmem_tEENKUlT_SK_SL_SM_E_clISE_PsSF_SF_EESJ_SZ_SK_SL_SM_EUlSZ_E1_NS1_11comp_targetILNS1_3genE9ELNS1_11target_archE1100ELNS1_3gpuE3ELNS1_3repE0EEENS1_36merge_oddeven_config_static_selectorELNS0_4arch9wavefront6targetE1EEEvSL_,"axG",@progbits,_ZN7rocprim17ROCPRIM_400000_NS6detail17trampoline_kernelINS0_14default_configENS1_38merge_sort_block_merge_config_selectorIsNS0_10empty_typeEEEZZNS1_27merge_sort_block_merge_implIS3_N6thrust23THRUST_200600_302600_NS6detail15normal_iteratorINS9_10device_ptrIsEEEEPS5_jNS1_19radix_merge_compareILb0ELb0EsNS0_19identity_decomposerEEEEE10hipError_tT0_T1_T2_jT3_P12ihipStream_tbPNSt15iterator_traitsISK_E10value_typeEPNSQ_ISL_E10value_typeEPSM_NS1_7vsmem_tEENKUlT_SK_SL_SM_E_clISE_PsSF_SF_EESJ_SZ_SK_SL_SM_EUlSZ_E1_NS1_11comp_targetILNS1_3genE9ELNS1_11target_archE1100ELNS1_3gpuE3ELNS1_3repE0EEENS1_36merge_oddeven_config_static_selectorELNS0_4arch9wavefront6targetE1EEEvSL_,comdat
.Lfunc_end1864:
	.size	_ZN7rocprim17ROCPRIM_400000_NS6detail17trampoline_kernelINS0_14default_configENS1_38merge_sort_block_merge_config_selectorIsNS0_10empty_typeEEEZZNS1_27merge_sort_block_merge_implIS3_N6thrust23THRUST_200600_302600_NS6detail15normal_iteratorINS9_10device_ptrIsEEEEPS5_jNS1_19radix_merge_compareILb0ELb0EsNS0_19identity_decomposerEEEEE10hipError_tT0_T1_T2_jT3_P12ihipStream_tbPNSt15iterator_traitsISK_E10value_typeEPNSQ_ISL_E10value_typeEPSM_NS1_7vsmem_tEENKUlT_SK_SL_SM_E_clISE_PsSF_SF_EESJ_SZ_SK_SL_SM_EUlSZ_E1_NS1_11comp_targetILNS1_3genE9ELNS1_11target_archE1100ELNS1_3gpuE3ELNS1_3repE0EEENS1_36merge_oddeven_config_static_selectorELNS0_4arch9wavefront6targetE1EEEvSL_, .Lfunc_end1864-_ZN7rocprim17ROCPRIM_400000_NS6detail17trampoline_kernelINS0_14default_configENS1_38merge_sort_block_merge_config_selectorIsNS0_10empty_typeEEEZZNS1_27merge_sort_block_merge_implIS3_N6thrust23THRUST_200600_302600_NS6detail15normal_iteratorINS9_10device_ptrIsEEEEPS5_jNS1_19radix_merge_compareILb0ELb0EsNS0_19identity_decomposerEEEEE10hipError_tT0_T1_T2_jT3_P12ihipStream_tbPNSt15iterator_traitsISK_E10value_typeEPNSQ_ISL_E10value_typeEPSM_NS1_7vsmem_tEENKUlT_SK_SL_SM_E_clISE_PsSF_SF_EESJ_SZ_SK_SL_SM_EUlSZ_E1_NS1_11comp_targetILNS1_3genE9ELNS1_11target_archE1100ELNS1_3gpuE3ELNS1_3repE0EEENS1_36merge_oddeven_config_static_selectorELNS0_4arch9wavefront6targetE1EEEvSL_
                                        ; -- End function
	.section	.AMDGPU.csdata,"",@progbits
; Kernel info:
; codeLenInByte = 0
; NumSgprs: 6
; NumVgprs: 0
; NumAgprs: 0
; TotalNumVgprs: 0
; ScratchSize: 0
; MemoryBound: 0
; FloatMode: 240
; IeeeMode: 1
; LDSByteSize: 0 bytes/workgroup (compile time only)
; SGPRBlocks: 0
; VGPRBlocks: 0
; NumSGPRsForWavesPerEU: 6
; NumVGPRsForWavesPerEU: 1
; AccumOffset: 4
; Occupancy: 8
; WaveLimiterHint : 0
; COMPUTE_PGM_RSRC2:SCRATCH_EN: 0
; COMPUTE_PGM_RSRC2:USER_SGPR: 2
; COMPUTE_PGM_RSRC2:TRAP_HANDLER: 0
; COMPUTE_PGM_RSRC2:TGID_X_EN: 1
; COMPUTE_PGM_RSRC2:TGID_Y_EN: 0
; COMPUTE_PGM_RSRC2:TGID_Z_EN: 0
; COMPUTE_PGM_RSRC2:TIDIG_COMP_CNT: 0
; COMPUTE_PGM_RSRC3_GFX90A:ACCUM_OFFSET: 0
; COMPUTE_PGM_RSRC3_GFX90A:TG_SPLIT: 0
	.section	.text._ZN7rocprim17ROCPRIM_400000_NS6detail17trampoline_kernelINS0_14default_configENS1_38merge_sort_block_merge_config_selectorIsNS0_10empty_typeEEEZZNS1_27merge_sort_block_merge_implIS3_N6thrust23THRUST_200600_302600_NS6detail15normal_iteratorINS9_10device_ptrIsEEEEPS5_jNS1_19radix_merge_compareILb0ELb0EsNS0_19identity_decomposerEEEEE10hipError_tT0_T1_T2_jT3_P12ihipStream_tbPNSt15iterator_traitsISK_E10value_typeEPNSQ_ISL_E10value_typeEPSM_NS1_7vsmem_tEENKUlT_SK_SL_SM_E_clISE_PsSF_SF_EESJ_SZ_SK_SL_SM_EUlSZ_E1_NS1_11comp_targetILNS1_3genE8ELNS1_11target_archE1030ELNS1_3gpuE2ELNS1_3repE0EEENS1_36merge_oddeven_config_static_selectorELNS0_4arch9wavefront6targetE1EEEvSL_,"axG",@progbits,_ZN7rocprim17ROCPRIM_400000_NS6detail17trampoline_kernelINS0_14default_configENS1_38merge_sort_block_merge_config_selectorIsNS0_10empty_typeEEEZZNS1_27merge_sort_block_merge_implIS3_N6thrust23THRUST_200600_302600_NS6detail15normal_iteratorINS9_10device_ptrIsEEEEPS5_jNS1_19radix_merge_compareILb0ELb0EsNS0_19identity_decomposerEEEEE10hipError_tT0_T1_T2_jT3_P12ihipStream_tbPNSt15iterator_traitsISK_E10value_typeEPNSQ_ISL_E10value_typeEPSM_NS1_7vsmem_tEENKUlT_SK_SL_SM_E_clISE_PsSF_SF_EESJ_SZ_SK_SL_SM_EUlSZ_E1_NS1_11comp_targetILNS1_3genE8ELNS1_11target_archE1030ELNS1_3gpuE2ELNS1_3repE0EEENS1_36merge_oddeven_config_static_selectorELNS0_4arch9wavefront6targetE1EEEvSL_,comdat
	.protected	_ZN7rocprim17ROCPRIM_400000_NS6detail17trampoline_kernelINS0_14default_configENS1_38merge_sort_block_merge_config_selectorIsNS0_10empty_typeEEEZZNS1_27merge_sort_block_merge_implIS3_N6thrust23THRUST_200600_302600_NS6detail15normal_iteratorINS9_10device_ptrIsEEEEPS5_jNS1_19radix_merge_compareILb0ELb0EsNS0_19identity_decomposerEEEEE10hipError_tT0_T1_T2_jT3_P12ihipStream_tbPNSt15iterator_traitsISK_E10value_typeEPNSQ_ISL_E10value_typeEPSM_NS1_7vsmem_tEENKUlT_SK_SL_SM_E_clISE_PsSF_SF_EESJ_SZ_SK_SL_SM_EUlSZ_E1_NS1_11comp_targetILNS1_3genE8ELNS1_11target_archE1030ELNS1_3gpuE2ELNS1_3repE0EEENS1_36merge_oddeven_config_static_selectorELNS0_4arch9wavefront6targetE1EEEvSL_ ; -- Begin function _ZN7rocprim17ROCPRIM_400000_NS6detail17trampoline_kernelINS0_14default_configENS1_38merge_sort_block_merge_config_selectorIsNS0_10empty_typeEEEZZNS1_27merge_sort_block_merge_implIS3_N6thrust23THRUST_200600_302600_NS6detail15normal_iteratorINS9_10device_ptrIsEEEEPS5_jNS1_19radix_merge_compareILb0ELb0EsNS0_19identity_decomposerEEEEE10hipError_tT0_T1_T2_jT3_P12ihipStream_tbPNSt15iterator_traitsISK_E10value_typeEPNSQ_ISL_E10value_typeEPSM_NS1_7vsmem_tEENKUlT_SK_SL_SM_E_clISE_PsSF_SF_EESJ_SZ_SK_SL_SM_EUlSZ_E1_NS1_11comp_targetILNS1_3genE8ELNS1_11target_archE1030ELNS1_3gpuE2ELNS1_3repE0EEENS1_36merge_oddeven_config_static_selectorELNS0_4arch9wavefront6targetE1EEEvSL_
	.globl	_ZN7rocprim17ROCPRIM_400000_NS6detail17trampoline_kernelINS0_14default_configENS1_38merge_sort_block_merge_config_selectorIsNS0_10empty_typeEEEZZNS1_27merge_sort_block_merge_implIS3_N6thrust23THRUST_200600_302600_NS6detail15normal_iteratorINS9_10device_ptrIsEEEEPS5_jNS1_19radix_merge_compareILb0ELb0EsNS0_19identity_decomposerEEEEE10hipError_tT0_T1_T2_jT3_P12ihipStream_tbPNSt15iterator_traitsISK_E10value_typeEPNSQ_ISL_E10value_typeEPSM_NS1_7vsmem_tEENKUlT_SK_SL_SM_E_clISE_PsSF_SF_EESJ_SZ_SK_SL_SM_EUlSZ_E1_NS1_11comp_targetILNS1_3genE8ELNS1_11target_archE1030ELNS1_3gpuE2ELNS1_3repE0EEENS1_36merge_oddeven_config_static_selectorELNS0_4arch9wavefront6targetE1EEEvSL_
	.p2align	8
	.type	_ZN7rocprim17ROCPRIM_400000_NS6detail17trampoline_kernelINS0_14default_configENS1_38merge_sort_block_merge_config_selectorIsNS0_10empty_typeEEEZZNS1_27merge_sort_block_merge_implIS3_N6thrust23THRUST_200600_302600_NS6detail15normal_iteratorINS9_10device_ptrIsEEEEPS5_jNS1_19radix_merge_compareILb0ELb0EsNS0_19identity_decomposerEEEEE10hipError_tT0_T1_T2_jT3_P12ihipStream_tbPNSt15iterator_traitsISK_E10value_typeEPNSQ_ISL_E10value_typeEPSM_NS1_7vsmem_tEENKUlT_SK_SL_SM_E_clISE_PsSF_SF_EESJ_SZ_SK_SL_SM_EUlSZ_E1_NS1_11comp_targetILNS1_3genE8ELNS1_11target_archE1030ELNS1_3gpuE2ELNS1_3repE0EEENS1_36merge_oddeven_config_static_selectorELNS0_4arch9wavefront6targetE1EEEvSL_,@function
_ZN7rocprim17ROCPRIM_400000_NS6detail17trampoline_kernelINS0_14default_configENS1_38merge_sort_block_merge_config_selectorIsNS0_10empty_typeEEEZZNS1_27merge_sort_block_merge_implIS3_N6thrust23THRUST_200600_302600_NS6detail15normal_iteratorINS9_10device_ptrIsEEEEPS5_jNS1_19radix_merge_compareILb0ELb0EsNS0_19identity_decomposerEEEEE10hipError_tT0_T1_T2_jT3_P12ihipStream_tbPNSt15iterator_traitsISK_E10value_typeEPNSQ_ISL_E10value_typeEPSM_NS1_7vsmem_tEENKUlT_SK_SL_SM_E_clISE_PsSF_SF_EESJ_SZ_SK_SL_SM_EUlSZ_E1_NS1_11comp_targetILNS1_3genE8ELNS1_11target_archE1030ELNS1_3gpuE2ELNS1_3repE0EEENS1_36merge_oddeven_config_static_selectorELNS0_4arch9wavefront6targetE1EEEvSL_: ; @_ZN7rocprim17ROCPRIM_400000_NS6detail17trampoline_kernelINS0_14default_configENS1_38merge_sort_block_merge_config_selectorIsNS0_10empty_typeEEEZZNS1_27merge_sort_block_merge_implIS3_N6thrust23THRUST_200600_302600_NS6detail15normal_iteratorINS9_10device_ptrIsEEEEPS5_jNS1_19radix_merge_compareILb0ELb0EsNS0_19identity_decomposerEEEEE10hipError_tT0_T1_T2_jT3_P12ihipStream_tbPNSt15iterator_traitsISK_E10value_typeEPNSQ_ISL_E10value_typeEPSM_NS1_7vsmem_tEENKUlT_SK_SL_SM_E_clISE_PsSF_SF_EESJ_SZ_SK_SL_SM_EUlSZ_E1_NS1_11comp_targetILNS1_3genE8ELNS1_11target_archE1030ELNS1_3gpuE2ELNS1_3repE0EEENS1_36merge_oddeven_config_static_selectorELNS0_4arch9wavefront6targetE1EEEvSL_
; %bb.0:
	.section	.rodata,"a",@progbits
	.p2align	6, 0x0
	.amdhsa_kernel _ZN7rocprim17ROCPRIM_400000_NS6detail17trampoline_kernelINS0_14default_configENS1_38merge_sort_block_merge_config_selectorIsNS0_10empty_typeEEEZZNS1_27merge_sort_block_merge_implIS3_N6thrust23THRUST_200600_302600_NS6detail15normal_iteratorINS9_10device_ptrIsEEEEPS5_jNS1_19radix_merge_compareILb0ELb0EsNS0_19identity_decomposerEEEEE10hipError_tT0_T1_T2_jT3_P12ihipStream_tbPNSt15iterator_traitsISK_E10value_typeEPNSQ_ISL_E10value_typeEPSM_NS1_7vsmem_tEENKUlT_SK_SL_SM_E_clISE_PsSF_SF_EESJ_SZ_SK_SL_SM_EUlSZ_E1_NS1_11comp_targetILNS1_3genE8ELNS1_11target_archE1030ELNS1_3gpuE2ELNS1_3repE0EEENS1_36merge_oddeven_config_static_selectorELNS0_4arch9wavefront6targetE1EEEvSL_
		.amdhsa_group_segment_fixed_size 0
		.amdhsa_private_segment_fixed_size 0
		.amdhsa_kernarg_size 48
		.amdhsa_user_sgpr_count 2
		.amdhsa_user_sgpr_dispatch_ptr 0
		.amdhsa_user_sgpr_queue_ptr 0
		.amdhsa_user_sgpr_kernarg_segment_ptr 1
		.amdhsa_user_sgpr_dispatch_id 0
		.amdhsa_user_sgpr_kernarg_preload_length 0
		.amdhsa_user_sgpr_kernarg_preload_offset 0
		.amdhsa_user_sgpr_private_segment_size 0
		.amdhsa_uses_dynamic_stack 0
		.amdhsa_enable_private_segment 0
		.amdhsa_system_sgpr_workgroup_id_x 1
		.amdhsa_system_sgpr_workgroup_id_y 0
		.amdhsa_system_sgpr_workgroup_id_z 0
		.amdhsa_system_sgpr_workgroup_info 0
		.amdhsa_system_vgpr_workitem_id 0
		.amdhsa_next_free_vgpr 1
		.amdhsa_next_free_sgpr 0
		.amdhsa_accum_offset 4
		.amdhsa_reserve_vcc 0
		.amdhsa_float_round_mode_32 0
		.amdhsa_float_round_mode_16_64 0
		.amdhsa_float_denorm_mode_32 3
		.amdhsa_float_denorm_mode_16_64 3
		.amdhsa_dx10_clamp 1
		.amdhsa_ieee_mode 1
		.amdhsa_fp16_overflow 0
		.amdhsa_tg_split 0
		.amdhsa_exception_fp_ieee_invalid_op 0
		.amdhsa_exception_fp_denorm_src 0
		.amdhsa_exception_fp_ieee_div_zero 0
		.amdhsa_exception_fp_ieee_overflow 0
		.amdhsa_exception_fp_ieee_underflow 0
		.amdhsa_exception_fp_ieee_inexact 0
		.amdhsa_exception_int_div_zero 0
	.end_amdhsa_kernel
	.section	.text._ZN7rocprim17ROCPRIM_400000_NS6detail17trampoline_kernelINS0_14default_configENS1_38merge_sort_block_merge_config_selectorIsNS0_10empty_typeEEEZZNS1_27merge_sort_block_merge_implIS3_N6thrust23THRUST_200600_302600_NS6detail15normal_iteratorINS9_10device_ptrIsEEEEPS5_jNS1_19radix_merge_compareILb0ELb0EsNS0_19identity_decomposerEEEEE10hipError_tT0_T1_T2_jT3_P12ihipStream_tbPNSt15iterator_traitsISK_E10value_typeEPNSQ_ISL_E10value_typeEPSM_NS1_7vsmem_tEENKUlT_SK_SL_SM_E_clISE_PsSF_SF_EESJ_SZ_SK_SL_SM_EUlSZ_E1_NS1_11comp_targetILNS1_3genE8ELNS1_11target_archE1030ELNS1_3gpuE2ELNS1_3repE0EEENS1_36merge_oddeven_config_static_selectorELNS0_4arch9wavefront6targetE1EEEvSL_,"axG",@progbits,_ZN7rocprim17ROCPRIM_400000_NS6detail17trampoline_kernelINS0_14default_configENS1_38merge_sort_block_merge_config_selectorIsNS0_10empty_typeEEEZZNS1_27merge_sort_block_merge_implIS3_N6thrust23THRUST_200600_302600_NS6detail15normal_iteratorINS9_10device_ptrIsEEEEPS5_jNS1_19radix_merge_compareILb0ELb0EsNS0_19identity_decomposerEEEEE10hipError_tT0_T1_T2_jT3_P12ihipStream_tbPNSt15iterator_traitsISK_E10value_typeEPNSQ_ISL_E10value_typeEPSM_NS1_7vsmem_tEENKUlT_SK_SL_SM_E_clISE_PsSF_SF_EESJ_SZ_SK_SL_SM_EUlSZ_E1_NS1_11comp_targetILNS1_3genE8ELNS1_11target_archE1030ELNS1_3gpuE2ELNS1_3repE0EEENS1_36merge_oddeven_config_static_selectorELNS0_4arch9wavefront6targetE1EEEvSL_,comdat
.Lfunc_end1865:
	.size	_ZN7rocprim17ROCPRIM_400000_NS6detail17trampoline_kernelINS0_14default_configENS1_38merge_sort_block_merge_config_selectorIsNS0_10empty_typeEEEZZNS1_27merge_sort_block_merge_implIS3_N6thrust23THRUST_200600_302600_NS6detail15normal_iteratorINS9_10device_ptrIsEEEEPS5_jNS1_19radix_merge_compareILb0ELb0EsNS0_19identity_decomposerEEEEE10hipError_tT0_T1_T2_jT3_P12ihipStream_tbPNSt15iterator_traitsISK_E10value_typeEPNSQ_ISL_E10value_typeEPSM_NS1_7vsmem_tEENKUlT_SK_SL_SM_E_clISE_PsSF_SF_EESJ_SZ_SK_SL_SM_EUlSZ_E1_NS1_11comp_targetILNS1_3genE8ELNS1_11target_archE1030ELNS1_3gpuE2ELNS1_3repE0EEENS1_36merge_oddeven_config_static_selectorELNS0_4arch9wavefront6targetE1EEEvSL_, .Lfunc_end1865-_ZN7rocprim17ROCPRIM_400000_NS6detail17trampoline_kernelINS0_14default_configENS1_38merge_sort_block_merge_config_selectorIsNS0_10empty_typeEEEZZNS1_27merge_sort_block_merge_implIS3_N6thrust23THRUST_200600_302600_NS6detail15normal_iteratorINS9_10device_ptrIsEEEEPS5_jNS1_19radix_merge_compareILb0ELb0EsNS0_19identity_decomposerEEEEE10hipError_tT0_T1_T2_jT3_P12ihipStream_tbPNSt15iterator_traitsISK_E10value_typeEPNSQ_ISL_E10value_typeEPSM_NS1_7vsmem_tEENKUlT_SK_SL_SM_E_clISE_PsSF_SF_EESJ_SZ_SK_SL_SM_EUlSZ_E1_NS1_11comp_targetILNS1_3genE8ELNS1_11target_archE1030ELNS1_3gpuE2ELNS1_3repE0EEENS1_36merge_oddeven_config_static_selectorELNS0_4arch9wavefront6targetE1EEEvSL_
                                        ; -- End function
	.section	.AMDGPU.csdata,"",@progbits
; Kernel info:
; codeLenInByte = 0
; NumSgprs: 6
; NumVgprs: 0
; NumAgprs: 0
; TotalNumVgprs: 0
; ScratchSize: 0
; MemoryBound: 0
; FloatMode: 240
; IeeeMode: 1
; LDSByteSize: 0 bytes/workgroup (compile time only)
; SGPRBlocks: 0
; VGPRBlocks: 0
; NumSGPRsForWavesPerEU: 6
; NumVGPRsForWavesPerEU: 1
; AccumOffset: 4
; Occupancy: 8
; WaveLimiterHint : 0
; COMPUTE_PGM_RSRC2:SCRATCH_EN: 0
; COMPUTE_PGM_RSRC2:USER_SGPR: 2
; COMPUTE_PGM_RSRC2:TRAP_HANDLER: 0
; COMPUTE_PGM_RSRC2:TGID_X_EN: 1
; COMPUTE_PGM_RSRC2:TGID_Y_EN: 0
; COMPUTE_PGM_RSRC2:TGID_Z_EN: 0
; COMPUTE_PGM_RSRC2:TIDIG_COMP_CNT: 0
; COMPUTE_PGM_RSRC3_GFX90A:ACCUM_OFFSET: 0
; COMPUTE_PGM_RSRC3_GFX90A:TG_SPLIT: 0
	.section	.text._ZN7rocprim17ROCPRIM_400000_NS6detail17trampoline_kernelINS0_14default_configENS1_25transform_config_selectorIsLb0EEEZNS1_14transform_implILb0ES3_S5_PsN6thrust23THRUST_200600_302600_NS6detail15normal_iteratorINS9_10device_ptrIsEEEENS0_8identityIsEEEE10hipError_tT2_T3_mT4_P12ihipStream_tbEUlT_E_NS1_11comp_targetILNS1_3genE0ELNS1_11target_archE4294967295ELNS1_3gpuE0ELNS1_3repE0EEENS1_30default_config_static_selectorELNS0_4arch9wavefront6targetE1EEEvT1_,"axG",@progbits,_ZN7rocprim17ROCPRIM_400000_NS6detail17trampoline_kernelINS0_14default_configENS1_25transform_config_selectorIsLb0EEEZNS1_14transform_implILb0ES3_S5_PsN6thrust23THRUST_200600_302600_NS6detail15normal_iteratorINS9_10device_ptrIsEEEENS0_8identityIsEEEE10hipError_tT2_T3_mT4_P12ihipStream_tbEUlT_E_NS1_11comp_targetILNS1_3genE0ELNS1_11target_archE4294967295ELNS1_3gpuE0ELNS1_3repE0EEENS1_30default_config_static_selectorELNS0_4arch9wavefront6targetE1EEEvT1_,comdat
	.protected	_ZN7rocprim17ROCPRIM_400000_NS6detail17trampoline_kernelINS0_14default_configENS1_25transform_config_selectorIsLb0EEEZNS1_14transform_implILb0ES3_S5_PsN6thrust23THRUST_200600_302600_NS6detail15normal_iteratorINS9_10device_ptrIsEEEENS0_8identityIsEEEE10hipError_tT2_T3_mT4_P12ihipStream_tbEUlT_E_NS1_11comp_targetILNS1_3genE0ELNS1_11target_archE4294967295ELNS1_3gpuE0ELNS1_3repE0EEENS1_30default_config_static_selectorELNS0_4arch9wavefront6targetE1EEEvT1_ ; -- Begin function _ZN7rocprim17ROCPRIM_400000_NS6detail17trampoline_kernelINS0_14default_configENS1_25transform_config_selectorIsLb0EEEZNS1_14transform_implILb0ES3_S5_PsN6thrust23THRUST_200600_302600_NS6detail15normal_iteratorINS9_10device_ptrIsEEEENS0_8identityIsEEEE10hipError_tT2_T3_mT4_P12ihipStream_tbEUlT_E_NS1_11comp_targetILNS1_3genE0ELNS1_11target_archE4294967295ELNS1_3gpuE0ELNS1_3repE0EEENS1_30default_config_static_selectorELNS0_4arch9wavefront6targetE1EEEvT1_
	.globl	_ZN7rocprim17ROCPRIM_400000_NS6detail17trampoline_kernelINS0_14default_configENS1_25transform_config_selectorIsLb0EEEZNS1_14transform_implILb0ES3_S5_PsN6thrust23THRUST_200600_302600_NS6detail15normal_iteratorINS9_10device_ptrIsEEEENS0_8identityIsEEEE10hipError_tT2_T3_mT4_P12ihipStream_tbEUlT_E_NS1_11comp_targetILNS1_3genE0ELNS1_11target_archE4294967295ELNS1_3gpuE0ELNS1_3repE0EEENS1_30default_config_static_selectorELNS0_4arch9wavefront6targetE1EEEvT1_
	.p2align	8
	.type	_ZN7rocprim17ROCPRIM_400000_NS6detail17trampoline_kernelINS0_14default_configENS1_25transform_config_selectorIsLb0EEEZNS1_14transform_implILb0ES3_S5_PsN6thrust23THRUST_200600_302600_NS6detail15normal_iteratorINS9_10device_ptrIsEEEENS0_8identityIsEEEE10hipError_tT2_T3_mT4_P12ihipStream_tbEUlT_E_NS1_11comp_targetILNS1_3genE0ELNS1_11target_archE4294967295ELNS1_3gpuE0ELNS1_3repE0EEENS1_30default_config_static_selectorELNS0_4arch9wavefront6targetE1EEEvT1_,@function
_ZN7rocprim17ROCPRIM_400000_NS6detail17trampoline_kernelINS0_14default_configENS1_25transform_config_selectorIsLb0EEEZNS1_14transform_implILb0ES3_S5_PsN6thrust23THRUST_200600_302600_NS6detail15normal_iteratorINS9_10device_ptrIsEEEENS0_8identityIsEEEE10hipError_tT2_T3_mT4_P12ihipStream_tbEUlT_E_NS1_11comp_targetILNS1_3genE0ELNS1_11target_archE4294967295ELNS1_3gpuE0ELNS1_3repE0EEENS1_30default_config_static_selectorELNS0_4arch9wavefront6targetE1EEEvT1_: ; @_ZN7rocprim17ROCPRIM_400000_NS6detail17trampoline_kernelINS0_14default_configENS1_25transform_config_selectorIsLb0EEEZNS1_14transform_implILb0ES3_S5_PsN6thrust23THRUST_200600_302600_NS6detail15normal_iteratorINS9_10device_ptrIsEEEENS0_8identityIsEEEE10hipError_tT2_T3_mT4_P12ihipStream_tbEUlT_E_NS1_11comp_targetILNS1_3genE0ELNS1_11target_archE4294967295ELNS1_3gpuE0ELNS1_3repE0EEENS1_30default_config_static_selectorELNS0_4arch9wavefront6targetE1EEEvT1_
; %bb.0:
	.section	.rodata,"a",@progbits
	.p2align	6, 0x0
	.amdhsa_kernel _ZN7rocprim17ROCPRIM_400000_NS6detail17trampoline_kernelINS0_14default_configENS1_25transform_config_selectorIsLb0EEEZNS1_14transform_implILb0ES3_S5_PsN6thrust23THRUST_200600_302600_NS6detail15normal_iteratorINS9_10device_ptrIsEEEENS0_8identityIsEEEE10hipError_tT2_T3_mT4_P12ihipStream_tbEUlT_E_NS1_11comp_targetILNS1_3genE0ELNS1_11target_archE4294967295ELNS1_3gpuE0ELNS1_3repE0EEENS1_30default_config_static_selectorELNS0_4arch9wavefront6targetE1EEEvT1_
		.amdhsa_group_segment_fixed_size 0
		.amdhsa_private_segment_fixed_size 0
		.amdhsa_kernarg_size 40
		.amdhsa_user_sgpr_count 2
		.amdhsa_user_sgpr_dispatch_ptr 0
		.amdhsa_user_sgpr_queue_ptr 0
		.amdhsa_user_sgpr_kernarg_segment_ptr 1
		.amdhsa_user_sgpr_dispatch_id 0
		.amdhsa_user_sgpr_kernarg_preload_length 0
		.amdhsa_user_sgpr_kernarg_preload_offset 0
		.amdhsa_user_sgpr_private_segment_size 0
		.amdhsa_uses_dynamic_stack 0
		.amdhsa_enable_private_segment 0
		.amdhsa_system_sgpr_workgroup_id_x 1
		.amdhsa_system_sgpr_workgroup_id_y 0
		.amdhsa_system_sgpr_workgroup_id_z 0
		.amdhsa_system_sgpr_workgroup_info 0
		.amdhsa_system_vgpr_workitem_id 0
		.amdhsa_next_free_vgpr 1
		.amdhsa_next_free_sgpr 0
		.amdhsa_accum_offset 4
		.amdhsa_reserve_vcc 0
		.amdhsa_float_round_mode_32 0
		.amdhsa_float_round_mode_16_64 0
		.amdhsa_float_denorm_mode_32 3
		.amdhsa_float_denorm_mode_16_64 3
		.amdhsa_dx10_clamp 1
		.amdhsa_ieee_mode 1
		.amdhsa_fp16_overflow 0
		.amdhsa_tg_split 0
		.amdhsa_exception_fp_ieee_invalid_op 0
		.amdhsa_exception_fp_denorm_src 0
		.amdhsa_exception_fp_ieee_div_zero 0
		.amdhsa_exception_fp_ieee_overflow 0
		.amdhsa_exception_fp_ieee_underflow 0
		.amdhsa_exception_fp_ieee_inexact 0
		.amdhsa_exception_int_div_zero 0
	.end_amdhsa_kernel
	.section	.text._ZN7rocprim17ROCPRIM_400000_NS6detail17trampoline_kernelINS0_14default_configENS1_25transform_config_selectorIsLb0EEEZNS1_14transform_implILb0ES3_S5_PsN6thrust23THRUST_200600_302600_NS6detail15normal_iteratorINS9_10device_ptrIsEEEENS0_8identityIsEEEE10hipError_tT2_T3_mT4_P12ihipStream_tbEUlT_E_NS1_11comp_targetILNS1_3genE0ELNS1_11target_archE4294967295ELNS1_3gpuE0ELNS1_3repE0EEENS1_30default_config_static_selectorELNS0_4arch9wavefront6targetE1EEEvT1_,"axG",@progbits,_ZN7rocprim17ROCPRIM_400000_NS6detail17trampoline_kernelINS0_14default_configENS1_25transform_config_selectorIsLb0EEEZNS1_14transform_implILb0ES3_S5_PsN6thrust23THRUST_200600_302600_NS6detail15normal_iteratorINS9_10device_ptrIsEEEENS0_8identityIsEEEE10hipError_tT2_T3_mT4_P12ihipStream_tbEUlT_E_NS1_11comp_targetILNS1_3genE0ELNS1_11target_archE4294967295ELNS1_3gpuE0ELNS1_3repE0EEENS1_30default_config_static_selectorELNS0_4arch9wavefront6targetE1EEEvT1_,comdat
.Lfunc_end1866:
	.size	_ZN7rocprim17ROCPRIM_400000_NS6detail17trampoline_kernelINS0_14default_configENS1_25transform_config_selectorIsLb0EEEZNS1_14transform_implILb0ES3_S5_PsN6thrust23THRUST_200600_302600_NS6detail15normal_iteratorINS9_10device_ptrIsEEEENS0_8identityIsEEEE10hipError_tT2_T3_mT4_P12ihipStream_tbEUlT_E_NS1_11comp_targetILNS1_3genE0ELNS1_11target_archE4294967295ELNS1_3gpuE0ELNS1_3repE0EEENS1_30default_config_static_selectorELNS0_4arch9wavefront6targetE1EEEvT1_, .Lfunc_end1866-_ZN7rocprim17ROCPRIM_400000_NS6detail17trampoline_kernelINS0_14default_configENS1_25transform_config_selectorIsLb0EEEZNS1_14transform_implILb0ES3_S5_PsN6thrust23THRUST_200600_302600_NS6detail15normal_iteratorINS9_10device_ptrIsEEEENS0_8identityIsEEEE10hipError_tT2_T3_mT4_P12ihipStream_tbEUlT_E_NS1_11comp_targetILNS1_3genE0ELNS1_11target_archE4294967295ELNS1_3gpuE0ELNS1_3repE0EEENS1_30default_config_static_selectorELNS0_4arch9wavefront6targetE1EEEvT1_
                                        ; -- End function
	.section	.AMDGPU.csdata,"",@progbits
; Kernel info:
; codeLenInByte = 0
; NumSgprs: 6
; NumVgprs: 0
; NumAgprs: 0
; TotalNumVgprs: 0
; ScratchSize: 0
; MemoryBound: 0
; FloatMode: 240
; IeeeMode: 1
; LDSByteSize: 0 bytes/workgroup (compile time only)
; SGPRBlocks: 0
; VGPRBlocks: 0
; NumSGPRsForWavesPerEU: 6
; NumVGPRsForWavesPerEU: 1
; AccumOffset: 4
; Occupancy: 8
; WaveLimiterHint : 0
; COMPUTE_PGM_RSRC2:SCRATCH_EN: 0
; COMPUTE_PGM_RSRC2:USER_SGPR: 2
; COMPUTE_PGM_RSRC2:TRAP_HANDLER: 0
; COMPUTE_PGM_RSRC2:TGID_X_EN: 1
; COMPUTE_PGM_RSRC2:TGID_Y_EN: 0
; COMPUTE_PGM_RSRC2:TGID_Z_EN: 0
; COMPUTE_PGM_RSRC2:TIDIG_COMP_CNT: 0
; COMPUTE_PGM_RSRC3_GFX90A:ACCUM_OFFSET: 0
; COMPUTE_PGM_RSRC3_GFX90A:TG_SPLIT: 0
	.section	.text._ZN7rocprim17ROCPRIM_400000_NS6detail17trampoline_kernelINS0_14default_configENS1_25transform_config_selectorIsLb0EEEZNS1_14transform_implILb0ES3_S5_PsN6thrust23THRUST_200600_302600_NS6detail15normal_iteratorINS9_10device_ptrIsEEEENS0_8identityIsEEEE10hipError_tT2_T3_mT4_P12ihipStream_tbEUlT_E_NS1_11comp_targetILNS1_3genE5ELNS1_11target_archE942ELNS1_3gpuE9ELNS1_3repE0EEENS1_30default_config_static_selectorELNS0_4arch9wavefront6targetE1EEEvT1_,"axG",@progbits,_ZN7rocprim17ROCPRIM_400000_NS6detail17trampoline_kernelINS0_14default_configENS1_25transform_config_selectorIsLb0EEEZNS1_14transform_implILb0ES3_S5_PsN6thrust23THRUST_200600_302600_NS6detail15normal_iteratorINS9_10device_ptrIsEEEENS0_8identityIsEEEE10hipError_tT2_T3_mT4_P12ihipStream_tbEUlT_E_NS1_11comp_targetILNS1_3genE5ELNS1_11target_archE942ELNS1_3gpuE9ELNS1_3repE0EEENS1_30default_config_static_selectorELNS0_4arch9wavefront6targetE1EEEvT1_,comdat
	.protected	_ZN7rocprim17ROCPRIM_400000_NS6detail17trampoline_kernelINS0_14default_configENS1_25transform_config_selectorIsLb0EEEZNS1_14transform_implILb0ES3_S5_PsN6thrust23THRUST_200600_302600_NS6detail15normal_iteratorINS9_10device_ptrIsEEEENS0_8identityIsEEEE10hipError_tT2_T3_mT4_P12ihipStream_tbEUlT_E_NS1_11comp_targetILNS1_3genE5ELNS1_11target_archE942ELNS1_3gpuE9ELNS1_3repE0EEENS1_30default_config_static_selectorELNS0_4arch9wavefront6targetE1EEEvT1_ ; -- Begin function _ZN7rocprim17ROCPRIM_400000_NS6detail17trampoline_kernelINS0_14default_configENS1_25transform_config_selectorIsLb0EEEZNS1_14transform_implILb0ES3_S5_PsN6thrust23THRUST_200600_302600_NS6detail15normal_iteratorINS9_10device_ptrIsEEEENS0_8identityIsEEEE10hipError_tT2_T3_mT4_P12ihipStream_tbEUlT_E_NS1_11comp_targetILNS1_3genE5ELNS1_11target_archE942ELNS1_3gpuE9ELNS1_3repE0EEENS1_30default_config_static_selectorELNS0_4arch9wavefront6targetE1EEEvT1_
	.globl	_ZN7rocprim17ROCPRIM_400000_NS6detail17trampoline_kernelINS0_14default_configENS1_25transform_config_selectorIsLb0EEEZNS1_14transform_implILb0ES3_S5_PsN6thrust23THRUST_200600_302600_NS6detail15normal_iteratorINS9_10device_ptrIsEEEENS0_8identityIsEEEE10hipError_tT2_T3_mT4_P12ihipStream_tbEUlT_E_NS1_11comp_targetILNS1_3genE5ELNS1_11target_archE942ELNS1_3gpuE9ELNS1_3repE0EEENS1_30default_config_static_selectorELNS0_4arch9wavefront6targetE1EEEvT1_
	.p2align	8
	.type	_ZN7rocprim17ROCPRIM_400000_NS6detail17trampoline_kernelINS0_14default_configENS1_25transform_config_selectorIsLb0EEEZNS1_14transform_implILb0ES3_S5_PsN6thrust23THRUST_200600_302600_NS6detail15normal_iteratorINS9_10device_ptrIsEEEENS0_8identityIsEEEE10hipError_tT2_T3_mT4_P12ihipStream_tbEUlT_E_NS1_11comp_targetILNS1_3genE5ELNS1_11target_archE942ELNS1_3gpuE9ELNS1_3repE0EEENS1_30default_config_static_selectorELNS0_4arch9wavefront6targetE1EEEvT1_,@function
_ZN7rocprim17ROCPRIM_400000_NS6detail17trampoline_kernelINS0_14default_configENS1_25transform_config_selectorIsLb0EEEZNS1_14transform_implILb0ES3_S5_PsN6thrust23THRUST_200600_302600_NS6detail15normal_iteratorINS9_10device_ptrIsEEEENS0_8identityIsEEEE10hipError_tT2_T3_mT4_P12ihipStream_tbEUlT_E_NS1_11comp_targetILNS1_3genE5ELNS1_11target_archE942ELNS1_3gpuE9ELNS1_3repE0EEENS1_30default_config_static_selectorELNS0_4arch9wavefront6targetE1EEEvT1_: ; @_ZN7rocprim17ROCPRIM_400000_NS6detail17trampoline_kernelINS0_14default_configENS1_25transform_config_selectorIsLb0EEEZNS1_14transform_implILb0ES3_S5_PsN6thrust23THRUST_200600_302600_NS6detail15normal_iteratorINS9_10device_ptrIsEEEENS0_8identityIsEEEE10hipError_tT2_T3_mT4_P12ihipStream_tbEUlT_E_NS1_11comp_targetILNS1_3genE5ELNS1_11target_archE942ELNS1_3gpuE9ELNS1_3repE0EEENS1_30default_config_static_selectorELNS0_4arch9wavefront6targetE1EEEvT1_
; %bb.0:
	s_load_dwordx8 s[4:11], s[0:1], 0x0
	s_load_dword s3, s[0:1], 0x28
	v_lshlrev_b32_e32 v6, 1, v0
	s_waitcnt lgkmcnt(0)
	s_lshl_b64 s[0:1], s[6:7], 1
	s_add_u32 s4, s4, s0
	s_addc_u32 s5, s5, s1
	s_add_u32 s22, s10, s0
	s_addc_u32 s23, s11, s1
	s_lshl_b32 s0, s2, 11
	s_mov_b32 s1, 0
	s_add_i32 s3, s3, -1
	s_lshl_b64 s[18:19], s[0:1], 1
	s_add_u32 s20, s4, s18
	s_addc_u32 s21, s5, s19
	s_cmp_lg_u32 s2, s3
	s_cbranch_scc0 .LBB1867_2
; %bb.1:
	global_load_ushort v2, v6, s[20:21]
	global_load_ushort v3, v6, s[20:21] offset:512
	global_load_ushort v4, v6, s[20:21] offset:1024
	;; [unrolled: 1-line block ×7, first 2 shown]
	s_add_u32 s4, s22, s18
	v_mov_b32_e32 v7, 0
	s_addc_u32 s5, s23, s19
	v_lshl_add_u64 v[8:9], s[4:5], 0, v[6:7]
	s_mov_b64 s[16:17], -1
	s_waitcnt vmcnt(7)
	flat_store_short v[8:9], v2
	s_waitcnt vmcnt(0)
	flat_store_short v[8:9], v3 offset:512
	flat_store_short v[8:9], v4 offset:1024
	;; [unrolled: 1-line block ×6, first 2 shown]
	s_cbranch_execz .LBB1867_3
	s_branch .LBB1867_34
.LBB1867_2:
	s_mov_b64 s[16:17], 0
                                        ; implicit-def: $vgpr1
                                        ; implicit-def: $vgpr8_vgpr9
.LBB1867_3:
	s_sub_i32 s14, s8, s0
	v_cmp_gt_u32_e32 vcc, s14, v0
                                        ; implicit-def: $vgpr2_vgpr3_vgpr4_vgpr5
	s_and_saveexec_b64 s[0:1], vcc
	s_cbranch_execz .LBB1867_5
; %bb.4:
	global_load_ushort v2, v6, s[20:21]
.LBB1867_5:
	s_or_b64 exec, exec, s[0:1]
	v_or_b32_e32 v1, 0x100, v0
	v_cmp_gt_u32_e64 s[0:1], s14, v1
	s_and_saveexec_b64 s[2:3], s[0:1]
	s_cbranch_execz .LBB1867_7
; %bb.6:
	global_load_ushort v1, v6, s[20:21] offset:512
	s_mov_b32 s4, 0x5040100
	s_waitcnt vmcnt(0)
	v_perm_b32 v2, v1, v2, s4
.LBB1867_7:
	s_or_b64 exec, exec, s[2:3]
	v_or_b32_e32 v1, 0x200, v0
	v_cmp_gt_u32_e64 s[2:3], s14, v1
	s_and_saveexec_b64 s[4:5], s[2:3]
	s_cbranch_execz .LBB1867_9
; %bb.8:
	global_load_ushort v1, v6, s[20:21] offset:1024
	s_mov_b32 s6, 0xffff
	s_waitcnt vmcnt(0)
	v_bfi_b32 v3, s6, v1, v3
.LBB1867_9:
	s_or_b64 exec, exec, s[4:5]
	v_or_b32_e32 v1, 0x300, v0
	v_cmp_gt_u32_e64 s[4:5], s14, v1
	s_and_saveexec_b64 s[6:7], s[4:5]
	s_cbranch_execz .LBB1867_11
; %bb.10:
	global_load_ushort v1, v6, s[20:21] offset:1536
	s_mov_b32 s8, 0x5040100
	s_waitcnt vmcnt(0)
	v_perm_b32 v3, v1, v3, s8
.LBB1867_11:
	s_or_b64 exec, exec, s[6:7]
	v_or_b32_e32 v1, 0x400, v0
	v_cmp_gt_u32_e64 s[6:7], s14, v1
	s_and_saveexec_b64 s[8:9], s[6:7]
	s_cbranch_execz .LBB1867_13
; %bb.12:
	global_load_ushort v1, v6, s[20:21] offset:2048
	s_mov_b32 s10, 0xffff
	s_waitcnt vmcnt(0)
	v_bfi_b32 v4, s10, v1, v4
.LBB1867_13:
	;; [unrolled: 22-line block ×3, first 2 shown]
	s_or_b64 exec, exec, s[12:13]
	v_or_b32_e32 v1, 0x700, v0
	v_cmp_gt_u32_e64 s[12:13], s14, v1
	v_cmp_le_u32_e64 s[14:15], s14, v1
	s_and_saveexec_b64 s[24:25], s[14:15]
	s_xor_b64 s[14:15], exec, s[24:25]
; %bb.18:
	v_mov_b32_e32 v1, 0
                                        ; implicit-def: $vgpr6
; %bb.19:
	s_andn2_saveexec_b64 s[14:15], s[14:15]
	s_cbranch_execz .LBB1867_21
; %bb.20:
	global_load_ushort v6, v6, s[20:21] offset:3584
	s_mov_b32 s20, 0x5040100
	v_mov_b32_e32 v1, 0
	s_waitcnt vmcnt(0)
	v_perm_b32 v5, v6, v5, s20
.LBB1867_21:
	s_or_b64 exec, exec, s[14:15]
	s_add_u32 s14, s22, s18
	s_addc_u32 s15, s23, s19
	v_lshl_add_u64 v[8:9], v[0:1], 1, s[14:15]
	s_and_saveexec_b64 s[14:15], vcc
	s_cbranch_execnz .LBB1867_37
; %bb.22:
	s_or_b64 exec, exec, s[14:15]
	s_and_saveexec_b64 s[14:15], s[0:1]
	s_cbranch_execnz .LBB1867_38
.LBB1867_23:
	s_or_b64 exec, exec, s[14:15]
	s_mov_b32 s14, 0xffff
	s_and_saveexec_b64 s[0:1], s[2:3]
	s_cbranch_execz .LBB1867_25
.LBB1867_24:
	flat_store_short v[8:9], v3 offset:1024
.LBB1867_25:
	s_or_b64 exec, exec, s[0:1]
	v_bfi_b32 v0, s14, v3, v3
	v_cndmask_b32_e64 v0, v0, v3, s[4:5]
	s_and_saveexec_b64 s[0:1], s[4:5]
	s_cbranch_execz .LBB1867_27
; %bb.26:
	flat_store_short_d16_hi v[8:9], v0 offset:1536
.LBB1867_27:
	s_or_b64 exec, exec, s[0:1]
	s_mov_b32 s2, 0xffff
	v_cndmask_b32_e64 v0, v4, v4, s[6:7]
	s_and_saveexec_b64 s[0:1], s[6:7]
	s_cbranch_execz .LBB1867_29
; %bb.28:
	flat_store_short v[8:9], v0 offset:2048
.LBB1867_29:
	s_or_b64 exec, exec, s[0:1]
	v_bfi_b32 v0, s2, v0, v4
	v_cndmask_b32_e64 v0, v0, v4, s[8:9]
	s_and_saveexec_b64 s[0:1], s[8:9]
	s_cbranch_execnz .LBB1867_39
; %bb.30:
	s_or_b64 exec, exec, s[0:1]
	s_and_saveexec_b64 s[0:1], s[10:11]
	s_cbranch_execnz .LBB1867_40
.LBB1867_31:
	s_or_b64 exec, exec, s[0:1]
                                        ; implicit-def: $vgpr1
	s_and_saveexec_b64 s[0:1], s[12:13]
.LBB1867_32:
	v_cndmask_b32_e64 v0, v5, v5, s[12:13]
	v_lshrrev_b32_e32 v1, 16, v0
	s_or_b64 s[16:17], s[16:17], exec
.LBB1867_33:
	s_or_b64 exec, exec, s[0:1]
.LBB1867_34:
	s_and_saveexec_b64 s[0:1], s[16:17]
	s_cbranch_execnz .LBB1867_36
; %bb.35:
	s_endpgm
.LBB1867_36:
	flat_store_short v[8:9], v1 offset:3584
	s_endpgm
.LBB1867_37:
	s_waitcnt vmcnt(0)
	flat_store_short v[8:9], v2
	s_or_b64 exec, exec, s[14:15]
	s_and_saveexec_b64 s[14:15], s[0:1]
	s_cbranch_execz .LBB1867_23
.LBB1867_38:
	s_waitcnt vmcnt(0)
	flat_store_short_d16_hi v[8:9], v2 offset:512
	s_or_b64 exec, exec, s[14:15]
	s_mov_b32 s14, 0xffff
	s_and_saveexec_b64 s[0:1], s[2:3]
	s_cbranch_execnz .LBB1867_24
	s_branch .LBB1867_25
.LBB1867_39:
	flat_store_short_d16_hi v[8:9], v0 offset:2560
	s_or_b64 exec, exec, s[0:1]
	s_and_saveexec_b64 s[0:1], s[10:11]
	s_cbranch_execz .LBB1867_31
.LBB1867_40:
	v_cndmask_b32_e64 v0, v5, v5, s[10:11]
	flat_store_short v[8:9], v0 offset:3072
	s_or_b64 exec, exec, s[0:1]
                                        ; implicit-def: $vgpr1
	s_and_saveexec_b64 s[0:1], s[12:13]
	s_cbranch_execnz .LBB1867_32
	s_branch .LBB1867_33
	.section	.rodata,"a",@progbits
	.p2align	6, 0x0
	.amdhsa_kernel _ZN7rocprim17ROCPRIM_400000_NS6detail17trampoline_kernelINS0_14default_configENS1_25transform_config_selectorIsLb0EEEZNS1_14transform_implILb0ES3_S5_PsN6thrust23THRUST_200600_302600_NS6detail15normal_iteratorINS9_10device_ptrIsEEEENS0_8identityIsEEEE10hipError_tT2_T3_mT4_P12ihipStream_tbEUlT_E_NS1_11comp_targetILNS1_3genE5ELNS1_11target_archE942ELNS1_3gpuE9ELNS1_3repE0EEENS1_30default_config_static_selectorELNS0_4arch9wavefront6targetE1EEEvT1_
		.amdhsa_group_segment_fixed_size 0
		.amdhsa_private_segment_fixed_size 0
		.amdhsa_kernarg_size 296
		.amdhsa_user_sgpr_count 2
		.amdhsa_user_sgpr_dispatch_ptr 0
		.amdhsa_user_sgpr_queue_ptr 0
		.amdhsa_user_sgpr_kernarg_segment_ptr 1
		.amdhsa_user_sgpr_dispatch_id 0
		.amdhsa_user_sgpr_kernarg_preload_length 0
		.amdhsa_user_sgpr_kernarg_preload_offset 0
		.amdhsa_user_sgpr_private_segment_size 0
		.amdhsa_uses_dynamic_stack 0
		.amdhsa_enable_private_segment 0
		.amdhsa_system_sgpr_workgroup_id_x 1
		.amdhsa_system_sgpr_workgroup_id_y 0
		.amdhsa_system_sgpr_workgroup_id_z 0
		.amdhsa_system_sgpr_workgroup_info 0
		.amdhsa_system_vgpr_workitem_id 0
		.amdhsa_next_free_vgpr 13
		.amdhsa_next_free_sgpr 26
		.amdhsa_accum_offset 16
		.amdhsa_reserve_vcc 1
		.amdhsa_float_round_mode_32 0
		.amdhsa_float_round_mode_16_64 0
		.amdhsa_float_denorm_mode_32 3
		.amdhsa_float_denorm_mode_16_64 3
		.amdhsa_dx10_clamp 1
		.amdhsa_ieee_mode 1
		.amdhsa_fp16_overflow 0
		.amdhsa_tg_split 0
		.amdhsa_exception_fp_ieee_invalid_op 0
		.amdhsa_exception_fp_denorm_src 0
		.amdhsa_exception_fp_ieee_div_zero 0
		.amdhsa_exception_fp_ieee_overflow 0
		.amdhsa_exception_fp_ieee_underflow 0
		.amdhsa_exception_fp_ieee_inexact 0
		.amdhsa_exception_int_div_zero 0
	.end_amdhsa_kernel
	.section	.text._ZN7rocprim17ROCPRIM_400000_NS6detail17trampoline_kernelINS0_14default_configENS1_25transform_config_selectorIsLb0EEEZNS1_14transform_implILb0ES3_S5_PsN6thrust23THRUST_200600_302600_NS6detail15normal_iteratorINS9_10device_ptrIsEEEENS0_8identityIsEEEE10hipError_tT2_T3_mT4_P12ihipStream_tbEUlT_E_NS1_11comp_targetILNS1_3genE5ELNS1_11target_archE942ELNS1_3gpuE9ELNS1_3repE0EEENS1_30default_config_static_selectorELNS0_4arch9wavefront6targetE1EEEvT1_,"axG",@progbits,_ZN7rocprim17ROCPRIM_400000_NS6detail17trampoline_kernelINS0_14default_configENS1_25transform_config_selectorIsLb0EEEZNS1_14transform_implILb0ES3_S5_PsN6thrust23THRUST_200600_302600_NS6detail15normal_iteratorINS9_10device_ptrIsEEEENS0_8identityIsEEEE10hipError_tT2_T3_mT4_P12ihipStream_tbEUlT_E_NS1_11comp_targetILNS1_3genE5ELNS1_11target_archE942ELNS1_3gpuE9ELNS1_3repE0EEENS1_30default_config_static_selectorELNS0_4arch9wavefront6targetE1EEEvT1_,comdat
.Lfunc_end1867:
	.size	_ZN7rocprim17ROCPRIM_400000_NS6detail17trampoline_kernelINS0_14default_configENS1_25transform_config_selectorIsLb0EEEZNS1_14transform_implILb0ES3_S5_PsN6thrust23THRUST_200600_302600_NS6detail15normal_iteratorINS9_10device_ptrIsEEEENS0_8identityIsEEEE10hipError_tT2_T3_mT4_P12ihipStream_tbEUlT_E_NS1_11comp_targetILNS1_3genE5ELNS1_11target_archE942ELNS1_3gpuE9ELNS1_3repE0EEENS1_30default_config_static_selectorELNS0_4arch9wavefront6targetE1EEEvT1_, .Lfunc_end1867-_ZN7rocprim17ROCPRIM_400000_NS6detail17trampoline_kernelINS0_14default_configENS1_25transform_config_selectorIsLb0EEEZNS1_14transform_implILb0ES3_S5_PsN6thrust23THRUST_200600_302600_NS6detail15normal_iteratorINS9_10device_ptrIsEEEENS0_8identityIsEEEE10hipError_tT2_T3_mT4_P12ihipStream_tbEUlT_E_NS1_11comp_targetILNS1_3genE5ELNS1_11target_archE942ELNS1_3gpuE9ELNS1_3repE0EEENS1_30default_config_static_selectorELNS0_4arch9wavefront6targetE1EEEvT1_
                                        ; -- End function
	.section	.AMDGPU.csdata,"",@progbits
; Kernel info:
; codeLenInByte = 1024
; NumSgprs: 32
; NumVgprs: 13
; NumAgprs: 0
; TotalNumVgprs: 13
; ScratchSize: 0
; MemoryBound: 0
; FloatMode: 240
; IeeeMode: 1
; LDSByteSize: 0 bytes/workgroup (compile time only)
; SGPRBlocks: 3
; VGPRBlocks: 1
; NumSGPRsForWavesPerEU: 32
; NumVGPRsForWavesPerEU: 13
; AccumOffset: 16
; Occupancy: 8
; WaveLimiterHint : 1
; COMPUTE_PGM_RSRC2:SCRATCH_EN: 0
; COMPUTE_PGM_RSRC2:USER_SGPR: 2
; COMPUTE_PGM_RSRC2:TRAP_HANDLER: 0
; COMPUTE_PGM_RSRC2:TGID_X_EN: 1
; COMPUTE_PGM_RSRC2:TGID_Y_EN: 0
; COMPUTE_PGM_RSRC2:TGID_Z_EN: 0
; COMPUTE_PGM_RSRC2:TIDIG_COMP_CNT: 0
; COMPUTE_PGM_RSRC3_GFX90A:ACCUM_OFFSET: 3
; COMPUTE_PGM_RSRC3_GFX90A:TG_SPLIT: 0
	.section	.text._ZN7rocprim17ROCPRIM_400000_NS6detail17trampoline_kernelINS0_14default_configENS1_25transform_config_selectorIsLb0EEEZNS1_14transform_implILb0ES3_S5_PsN6thrust23THRUST_200600_302600_NS6detail15normal_iteratorINS9_10device_ptrIsEEEENS0_8identityIsEEEE10hipError_tT2_T3_mT4_P12ihipStream_tbEUlT_E_NS1_11comp_targetILNS1_3genE4ELNS1_11target_archE910ELNS1_3gpuE8ELNS1_3repE0EEENS1_30default_config_static_selectorELNS0_4arch9wavefront6targetE1EEEvT1_,"axG",@progbits,_ZN7rocprim17ROCPRIM_400000_NS6detail17trampoline_kernelINS0_14default_configENS1_25transform_config_selectorIsLb0EEEZNS1_14transform_implILb0ES3_S5_PsN6thrust23THRUST_200600_302600_NS6detail15normal_iteratorINS9_10device_ptrIsEEEENS0_8identityIsEEEE10hipError_tT2_T3_mT4_P12ihipStream_tbEUlT_E_NS1_11comp_targetILNS1_3genE4ELNS1_11target_archE910ELNS1_3gpuE8ELNS1_3repE0EEENS1_30default_config_static_selectorELNS0_4arch9wavefront6targetE1EEEvT1_,comdat
	.protected	_ZN7rocprim17ROCPRIM_400000_NS6detail17trampoline_kernelINS0_14default_configENS1_25transform_config_selectorIsLb0EEEZNS1_14transform_implILb0ES3_S5_PsN6thrust23THRUST_200600_302600_NS6detail15normal_iteratorINS9_10device_ptrIsEEEENS0_8identityIsEEEE10hipError_tT2_T3_mT4_P12ihipStream_tbEUlT_E_NS1_11comp_targetILNS1_3genE4ELNS1_11target_archE910ELNS1_3gpuE8ELNS1_3repE0EEENS1_30default_config_static_selectorELNS0_4arch9wavefront6targetE1EEEvT1_ ; -- Begin function _ZN7rocprim17ROCPRIM_400000_NS6detail17trampoline_kernelINS0_14default_configENS1_25transform_config_selectorIsLb0EEEZNS1_14transform_implILb0ES3_S5_PsN6thrust23THRUST_200600_302600_NS6detail15normal_iteratorINS9_10device_ptrIsEEEENS0_8identityIsEEEE10hipError_tT2_T3_mT4_P12ihipStream_tbEUlT_E_NS1_11comp_targetILNS1_3genE4ELNS1_11target_archE910ELNS1_3gpuE8ELNS1_3repE0EEENS1_30default_config_static_selectorELNS0_4arch9wavefront6targetE1EEEvT1_
	.globl	_ZN7rocprim17ROCPRIM_400000_NS6detail17trampoline_kernelINS0_14default_configENS1_25transform_config_selectorIsLb0EEEZNS1_14transform_implILb0ES3_S5_PsN6thrust23THRUST_200600_302600_NS6detail15normal_iteratorINS9_10device_ptrIsEEEENS0_8identityIsEEEE10hipError_tT2_T3_mT4_P12ihipStream_tbEUlT_E_NS1_11comp_targetILNS1_3genE4ELNS1_11target_archE910ELNS1_3gpuE8ELNS1_3repE0EEENS1_30default_config_static_selectorELNS0_4arch9wavefront6targetE1EEEvT1_
	.p2align	8
	.type	_ZN7rocprim17ROCPRIM_400000_NS6detail17trampoline_kernelINS0_14default_configENS1_25transform_config_selectorIsLb0EEEZNS1_14transform_implILb0ES3_S5_PsN6thrust23THRUST_200600_302600_NS6detail15normal_iteratorINS9_10device_ptrIsEEEENS0_8identityIsEEEE10hipError_tT2_T3_mT4_P12ihipStream_tbEUlT_E_NS1_11comp_targetILNS1_3genE4ELNS1_11target_archE910ELNS1_3gpuE8ELNS1_3repE0EEENS1_30default_config_static_selectorELNS0_4arch9wavefront6targetE1EEEvT1_,@function
_ZN7rocprim17ROCPRIM_400000_NS6detail17trampoline_kernelINS0_14default_configENS1_25transform_config_selectorIsLb0EEEZNS1_14transform_implILb0ES3_S5_PsN6thrust23THRUST_200600_302600_NS6detail15normal_iteratorINS9_10device_ptrIsEEEENS0_8identityIsEEEE10hipError_tT2_T3_mT4_P12ihipStream_tbEUlT_E_NS1_11comp_targetILNS1_3genE4ELNS1_11target_archE910ELNS1_3gpuE8ELNS1_3repE0EEENS1_30default_config_static_selectorELNS0_4arch9wavefront6targetE1EEEvT1_: ; @_ZN7rocprim17ROCPRIM_400000_NS6detail17trampoline_kernelINS0_14default_configENS1_25transform_config_selectorIsLb0EEEZNS1_14transform_implILb0ES3_S5_PsN6thrust23THRUST_200600_302600_NS6detail15normal_iteratorINS9_10device_ptrIsEEEENS0_8identityIsEEEE10hipError_tT2_T3_mT4_P12ihipStream_tbEUlT_E_NS1_11comp_targetILNS1_3genE4ELNS1_11target_archE910ELNS1_3gpuE8ELNS1_3repE0EEENS1_30default_config_static_selectorELNS0_4arch9wavefront6targetE1EEEvT1_
; %bb.0:
	.section	.rodata,"a",@progbits
	.p2align	6, 0x0
	.amdhsa_kernel _ZN7rocprim17ROCPRIM_400000_NS6detail17trampoline_kernelINS0_14default_configENS1_25transform_config_selectorIsLb0EEEZNS1_14transform_implILb0ES3_S5_PsN6thrust23THRUST_200600_302600_NS6detail15normal_iteratorINS9_10device_ptrIsEEEENS0_8identityIsEEEE10hipError_tT2_T3_mT4_P12ihipStream_tbEUlT_E_NS1_11comp_targetILNS1_3genE4ELNS1_11target_archE910ELNS1_3gpuE8ELNS1_3repE0EEENS1_30default_config_static_selectorELNS0_4arch9wavefront6targetE1EEEvT1_
		.amdhsa_group_segment_fixed_size 0
		.amdhsa_private_segment_fixed_size 0
		.amdhsa_kernarg_size 40
		.amdhsa_user_sgpr_count 2
		.amdhsa_user_sgpr_dispatch_ptr 0
		.amdhsa_user_sgpr_queue_ptr 0
		.amdhsa_user_sgpr_kernarg_segment_ptr 1
		.amdhsa_user_sgpr_dispatch_id 0
		.amdhsa_user_sgpr_kernarg_preload_length 0
		.amdhsa_user_sgpr_kernarg_preload_offset 0
		.amdhsa_user_sgpr_private_segment_size 0
		.amdhsa_uses_dynamic_stack 0
		.amdhsa_enable_private_segment 0
		.amdhsa_system_sgpr_workgroup_id_x 1
		.amdhsa_system_sgpr_workgroup_id_y 0
		.amdhsa_system_sgpr_workgroup_id_z 0
		.amdhsa_system_sgpr_workgroup_info 0
		.amdhsa_system_vgpr_workitem_id 0
		.amdhsa_next_free_vgpr 1
		.amdhsa_next_free_sgpr 0
		.amdhsa_accum_offset 4
		.amdhsa_reserve_vcc 0
		.amdhsa_float_round_mode_32 0
		.amdhsa_float_round_mode_16_64 0
		.amdhsa_float_denorm_mode_32 3
		.amdhsa_float_denorm_mode_16_64 3
		.amdhsa_dx10_clamp 1
		.amdhsa_ieee_mode 1
		.amdhsa_fp16_overflow 0
		.amdhsa_tg_split 0
		.amdhsa_exception_fp_ieee_invalid_op 0
		.amdhsa_exception_fp_denorm_src 0
		.amdhsa_exception_fp_ieee_div_zero 0
		.amdhsa_exception_fp_ieee_overflow 0
		.amdhsa_exception_fp_ieee_underflow 0
		.amdhsa_exception_fp_ieee_inexact 0
		.amdhsa_exception_int_div_zero 0
	.end_amdhsa_kernel
	.section	.text._ZN7rocprim17ROCPRIM_400000_NS6detail17trampoline_kernelINS0_14default_configENS1_25transform_config_selectorIsLb0EEEZNS1_14transform_implILb0ES3_S5_PsN6thrust23THRUST_200600_302600_NS6detail15normal_iteratorINS9_10device_ptrIsEEEENS0_8identityIsEEEE10hipError_tT2_T3_mT4_P12ihipStream_tbEUlT_E_NS1_11comp_targetILNS1_3genE4ELNS1_11target_archE910ELNS1_3gpuE8ELNS1_3repE0EEENS1_30default_config_static_selectorELNS0_4arch9wavefront6targetE1EEEvT1_,"axG",@progbits,_ZN7rocprim17ROCPRIM_400000_NS6detail17trampoline_kernelINS0_14default_configENS1_25transform_config_selectorIsLb0EEEZNS1_14transform_implILb0ES3_S5_PsN6thrust23THRUST_200600_302600_NS6detail15normal_iteratorINS9_10device_ptrIsEEEENS0_8identityIsEEEE10hipError_tT2_T3_mT4_P12ihipStream_tbEUlT_E_NS1_11comp_targetILNS1_3genE4ELNS1_11target_archE910ELNS1_3gpuE8ELNS1_3repE0EEENS1_30default_config_static_selectorELNS0_4arch9wavefront6targetE1EEEvT1_,comdat
.Lfunc_end1868:
	.size	_ZN7rocprim17ROCPRIM_400000_NS6detail17trampoline_kernelINS0_14default_configENS1_25transform_config_selectorIsLb0EEEZNS1_14transform_implILb0ES3_S5_PsN6thrust23THRUST_200600_302600_NS6detail15normal_iteratorINS9_10device_ptrIsEEEENS0_8identityIsEEEE10hipError_tT2_T3_mT4_P12ihipStream_tbEUlT_E_NS1_11comp_targetILNS1_3genE4ELNS1_11target_archE910ELNS1_3gpuE8ELNS1_3repE0EEENS1_30default_config_static_selectorELNS0_4arch9wavefront6targetE1EEEvT1_, .Lfunc_end1868-_ZN7rocprim17ROCPRIM_400000_NS6detail17trampoline_kernelINS0_14default_configENS1_25transform_config_selectorIsLb0EEEZNS1_14transform_implILb0ES3_S5_PsN6thrust23THRUST_200600_302600_NS6detail15normal_iteratorINS9_10device_ptrIsEEEENS0_8identityIsEEEE10hipError_tT2_T3_mT4_P12ihipStream_tbEUlT_E_NS1_11comp_targetILNS1_3genE4ELNS1_11target_archE910ELNS1_3gpuE8ELNS1_3repE0EEENS1_30default_config_static_selectorELNS0_4arch9wavefront6targetE1EEEvT1_
                                        ; -- End function
	.section	.AMDGPU.csdata,"",@progbits
; Kernel info:
; codeLenInByte = 0
; NumSgprs: 6
; NumVgprs: 0
; NumAgprs: 0
; TotalNumVgprs: 0
; ScratchSize: 0
; MemoryBound: 0
; FloatMode: 240
; IeeeMode: 1
; LDSByteSize: 0 bytes/workgroup (compile time only)
; SGPRBlocks: 0
; VGPRBlocks: 0
; NumSGPRsForWavesPerEU: 6
; NumVGPRsForWavesPerEU: 1
; AccumOffset: 4
; Occupancy: 8
; WaveLimiterHint : 0
; COMPUTE_PGM_RSRC2:SCRATCH_EN: 0
; COMPUTE_PGM_RSRC2:USER_SGPR: 2
; COMPUTE_PGM_RSRC2:TRAP_HANDLER: 0
; COMPUTE_PGM_RSRC2:TGID_X_EN: 1
; COMPUTE_PGM_RSRC2:TGID_Y_EN: 0
; COMPUTE_PGM_RSRC2:TGID_Z_EN: 0
; COMPUTE_PGM_RSRC2:TIDIG_COMP_CNT: 0
; COMPUTE_PGM_RSRC3_GFX90A:ACCUM_OFFSET: 0
; COMPUTE_PGM_RSRC3_GFX90A:TG_SPLIT: 0
	.section	.text._ZN7rocprim17ROCPRIM_400000_NS6detail17trampoline_kernelINS0_14default_configENS1_25transform_config_selectorIsLb0EEEZNS1_14transform_implILb0ES3_S5_PsN6thrust23THRUST_200600_302600_NS6detail15normal_iteratorINS9_10device_ptrIsEEEENS0_8identityIsEEEE10hipError_tT2_T3_mT4_P12ihipStream_tbEUlT_E_NS1_11comp_targetILNS1_3genE3ELNS1_11target_archE908ELNS1_3gpuE7ELNS1_3repE0EEENS1_30default_config_static_selectorELNS0_4arch9wavefront6targetE1EEEvT1_,"axG",@progbits,_ZN7rocprim17ROCPRIM_400000_NS6detail17trampoline_kernelINS0_14default_configENS1_25transform_config_selectorIsLb0EEEZNS1_14transform_implILb0ES3_S5_PsN6thrust23THRUST_200600_302600_NS6detail15normal_iteratorINS9_10device_ptrIsEEEENS0_8identityIsEEEE10hipError_tT2_T3_mT4_P12ihipStream_tbEUlT_E_NS1_11comp_targetILNS1_3genE3ELNS1_11target_archE908ELNS1_3gpuE7ELNS1_3repE0EEENS1_30default_config_static_selectorELNS0_4arch9wavefront6targetE1EEEvT1_,comdat
	.protected	_ZN7rocprim17ROCPRIM_400000_NS6detail17trampoline_kernelINS0_14default_configENS1_25transform_config_selectorIsLb0EEEZNS1_14transform_implILb0ES3_S5_PsN6thrust23THRUST_200600_302600_NS6detail15normal_iteratorINS9_10device_ptrIsEEEENS0_8identityIsEEEE10hipError_tT2_T3_mT4_P12ihipStream_tbEUlT_E_NS1_11comp_targetILNS1_3genE3ELNS1_11target_archE908ELNS1_3gpuE7ELNS1_3repE0EEENS1_30default_config_static_selectorELNS0_4arch9wavefront6targetE1EEEvT1_ ; -- Begin function _ZN7rocprim17ROCPRIM_400000_NS6detail17trampoline_kernelINS0_14default_configENS1_25transform_config_selectorIsLb0EEEZNS1_14transform_implILb0ES3_S5_PsN6thrust23THRUST_200600_302600_NS6detail15normal_iteratorINS9_10device_ptrIsEEEENS0_8identityIsEEEE10hipError_tT2_T3_mT4_P12ihipStream_tbEUlT_E_NS1_11comp_targetILNS1_3genE3ELNS1_11target_archE908ELNS1_3gpuE7ELNS1_3repE0EEENS1_30default_config_static_selectorELNS0_4arch9wavefront6targetE1EEEvT1_
	.globl	_ZN7rocprim17ROCPRIM_400000_NS6detail17trampoline_kernelINS0_14default_configENS1_25transform_config_selectorIsLb0EEEZNS1_14transform_implILb0ES3_S5_PsN6thrust23THRUST_200600_302600_NS6detail15normal_iteratorINS9_10device_ptrIsEEEENS0_8identityIsEEEE10hipError_tT2_T3_mT4_P12ihipStream_tbEUlT_E_NS1_11comp_targetILNS1_3genE3ELNS1_11target_archE908ELNS1_3gpuE7ELNS1_3repE0EEENS1_30default_config_static_selectorELNS0_4arch9wavefront6targetE1EEEvT1_
	.p2align	8
	.type	_ZN7rocprim17ROCPRIM_400000_NS6detail17trampoline_kernelINS0_14default_configENS1_25transform_config_selectorIsLb0EEEZNS1_14transform_implILb0ES3_S5_PsN6thrust23THRUST_200600_302600_NS6detail15normal_iteratorINS9_10device_ptrIsEEEENS0_8identityIsEEEE10hipError_tT2_T3_mT4_P12ihipStream_tbEUlT_E_NS1_11comp_targetILNS1_3genE3ELNS1_11target_archE908ELNS1_3gpuE7ELNS1_3repE0EEENS1_30default_config_static_selectorELNS0_4arch9wavefront6targetE1EEEvT1_,@function
_ZN7rocprim17ROCPRIM_400000_NS6detail17trampoline_kernelINS0_14default_configENS1_25transform_config_selectorIsLb0EEEZNS1_14transform_implILb0ES3_S5_PsN6thrust23THRUST_200600_302600_NS6detail15normal_iteratorINS9_10device_ptrIsEEEENS0_8identityIsEEEE10hipError_tT2_T3_mT4_P12ihipStream_tbEUlT_E_NS1_11comp_targetILNS1_3genE3ELNS1_11target_archE908ELNS1_3gpuE7ELNS1_3repE0EEENS1_30default_config_static_selectorELNS0_4arch9wavefront6targetE1EEEvT1_: ; @_ZN7rocprim17ROCPRIM_400000_NS6detail17trampoline_kernelINS0_14default_configENS1_25transform_config_selectorIsLb0EEEZNS1_14transform_implILb0ES3_S5_PsN6thrust23THRUST_200600_302600_NS6detail15normal_iteratorINS9_10device_ptrIsEEEENS0_8identityIsEEEE10hipError_tT2_T3_mT4_P12ihipStream_tbEUlT_E_NS1_11comp_targetILNS1_3genE3ELNS1_11target_archE908ELNS1_3gpuE7ELNS1_3repE0EEENS1_30default_config_static_selectorELNS0_4arch9wavefront6targetE1EEEvT1_
; %bb.0:
	.section	.rodata,"a",@progbits
	.p2align	6, 0x0
	.amdhsa_kernel _ZN7rocprim17ROCPRIM_400000_NS6detail17trampoline_kernelINS0_14default_configENS1_25transform_config_selectorIsLb0EEEZNS1_14transform_implILb0ES3_S5_PsN6thrust23THRUST_200600_302600_NS6detail15normal_iteratorINS9_10device_ptrIsEEEENS0_8identityIsEEEE10hipError_tT2_T3_mT4_P12ihipStream_tbEUlT_E_NS1_11comp_targetILNS1_3genE3ELNS1_11target_archE908ELNS1_3gpuE7ELNS1_3repE0EEENS1_30default_config_static_selectorELNS0_4arch9wavefront6targetE1EEEvT1_
		.amdhsa_group_segment_fixed_size 0
		.amdhsa_private_segment_fixed_size 0
		.amdhsa_kernarg_size 40
		.amdhsa_user_sgpr_count 2
		.amdhsa_user_sgpr_dispatch_ptr 0
		.amdhsa_user_sgpr_queue_ptr 0
		.amdhsa_user_sgpr_kernarg_segment_ptr 1
		.amdhsa_user_sgpr_dispatch_id 0
		.amdhsa_user_sgpr_kernarg_preload_length 0
		.amdhsa_user_sgpr_kernarg_preload_offset 0
		.amdhsa_user_sgpr_private_segment_size 0
		.amdhsa_uses_dynamic_stack 0
		.amdhsa_enable_private_segment 0
		.amdhsa_system_sgpr_workgroup_id_x 1
		.amdhsa_system_sgpr_workgroup_id_y 0
		.amdhsa_system_sgpr_workgroup_id_z 0
		.amdhsa_system_sgpr_workgroup_info 0
		.amdhsa_system_vgpr_workitem_id 0
		.amdhsa_next_free_vgpr 1
		.amdhsa_next_free_sgpr 0
		.amdhsa_accum_offset 4
		.amdhsa_reserve_vcc 0
		.amdhsa_float_round_mode_32 0
		.amdhsa_float_round_mode_16_64 0
		.amdhsa_float_denorm_mode_32 3
		.amdhsa_float_denorm_mode_16_64 3
		.amdhsa_dx10_clamp 1
		.amdhsa_ieee_mode 1
		.amdhsa_fp16_overflow 0
		.amdhsa_tg_split 0
		.amdhsa_exception_fp_ieee_invalid_op 0
		.amdhsa_exception_fp_denorm_src 0
		.amdhsa_exception_fp_ieee_div_zero 0
		.amdhsa_exception_fp_ieee_overflow 0
		.amdhsa_exception_fp_ieee_underflow 0
		.amdhsa_exception_fp_ieee_inexact 0
		.amdhsa_exception_int_div_zero 0
	.end_amdhsa_kernel
	.section	.text._ZN7rocprim17ROCPRIM_400000_NS6detail17trampoline_kernelINS0_14default_configENS1_25transform_config_selectorIsLb0EEEZNS1_14transform_implILb0ES3_S5_PsN6thrust23THRUST_200600_302600_NS6detail15normal_iteratorINS9_10device_ptrIsEEEENS0_8identityIsEEEE10hipError_tT2_T3_mT4_P12ihipStream_tbEUlT_E_NS1_11comp_targetILNS1_3genE3ELNS1_11target_archE908ELNS1_3gpuE7ELNS1_3repE0EEENS1_30default_config_static_selectorELNS0_4arch9wavefront6targetE1EEEvT1_,"axG",@progbits,_ZN7rocprim17ROCPRIM_400000_NS6detail17trampoline_kernelINS0_14default_configENS1_25transform_config_selectorIsLb0EEEZNS1_14transform_implILb0ES3_S5_PsN6thrust23THRUST_200600_302600_NS6detail15normal_iteratorINS9_10device_ptrIsEEEENS0_8identityIsEEEE10hipError_tT2_T3_mT4_P12ihipStream_tbEUlT_E_NS1_11comp_targetILNS1_3genE3ELNS1_11target_archE908ELNS1_3gpuE7ELNS1_3repE0EEENS1_30default_config_static_selectorELNS0_4arch9wavefront6targetE1EEEvT1_,comdat
.Lfunc_end1869:
	.size	_ZN7rocprim17ROCPRIM_400000_NS6detail17trampoline_kernelINS0_14default_configENS1_25transform_config_selectorIsLb0EEEZNS1_14transform_implILb0ES3_S5_PsN6thrust23THRUST_200600_302600_NS6detail15normal_iteratorINS9_10device_ptrIsEEEENS0_8identityIsEEEE10hipError_tT2_T3_mT4_P12ihipStream_tbEUlT_E_NS1_11comp_targetILNS1_3genE3ELNS1_11target_archE908ELNS1_3gpuE7ELNS1_3repE0EEENS1_30default_config_static_selectorELNS0_4arch9wavefront6targetE1EEEvT1_, .Lfunc_end1869-_ZN7rocprim17ROCPRIM_400000_NS6detail17trampoline_kernelINS0_14default_configENS1_25transform_config_selectorIsLb0EEEZNS1_14transform_implILb0ES3_S5_PsN6thrust23THRUST_200600_302600_NS6detail15normal_iteratorINS9_10device_ptrIsEEEENS0_8identityIsEEEE10hipError_tT2_T3_mT4_P12ihipStream_tbEUlT_E_NS1_11comp_targetILNS1_3genE3ELNS1_11target_archE908ELNS1_3gpuE7ELNS1_3repE0EEENS1_30default_config_static_selectorELNS0_4arch9wavefront6targetE1EEEvT1_
                                        ; -- End function
	.section	.AMDGPU.csdata,"",@progbits
; Kernel info:
; codeLenInByte = 0
; NumSgprs: 6
; NumVgprs: 0
; NumAgprs: 0
; TotalNumVgprs: 0
; ScratchSize: 0
; MemoryBound: 0
; FloatMode: 240
; IeeeMode: 1
; LDSByteSize: 0 bytes/workgroup (compile time only)
; SGPRBlocks: 0
; VGPRBlocks: 0
; NumSGPRsForWavesPerEU: 6
; NumVGPRsForWavesPerEU: 1
; AccumOffset: 4
; Occupancy: 8
; WaveLimiterHint : 0
; COMPUTE_PGM_RSRC2:SCRATCH_EN: 0
; COMPUTE_PGM_RSRC2:USER_SGPR: 2
; COMPUTE_PGM_RSRC2:TRAP_HANDLER: 0
; COMPUTE_PGM_RSRC2:TGID_X_EN: 1
; COMPUTE_PGM_RSRC2:TGID_Y_EN: 0
; COMPUTE_PGM_RSRC2:TGID_Z_EN: 0
; COMPUTE_PGM_RSRC2:TIDIG_COMP_CNT: 0
; COMPUTE_PGM_RSRC3_GFX90A:ACCUM_OFFSET: 0
; COMPUTE_PGM_RSRC3_GFX90A:TG_SPLIT: 0
	.section	.text._ZN7rocprim17ROCPRIM_400000_NS6detail17trampoline_kernelINS0_14default_configENS1_25transform_config_selectorIsLb0EEEZNS1_14transform_implILb0ES3_S5_PsN6thrust23THRUST_200600_302600_NS6detail15normal_iteratorINS9_10device_ptrIsEEEENS0_8identityIsEEEE10hipError_tT2_T3_mT4_P12ihipStream_tbEUlT_E_NS1_11comp_targetILNS1_3genE2ELNS1_11target_archE906ELNS1_3gpuE6ELNS1_3repE0EEENS1_30default_config_static_selectorELNS0_4arch9wavefront6targetE1EEEvT1_,"axG",@progbits,_ZN7rocprim17ROCPRIM_400000_NS6detail17trampoline_kernelINS0_14default_configENS1_25transform_config_selectorIsLb0EEEZNS1_14transform_implILb0ES3_S5_PsN6thrust23THRUST_200600_302600_NS6detail15normal_iteratorINS9_10device_ptrIsEEEENS0_8identityIsEEEE10hipError_tT2_T3_mT4_P12ihipStream_tbEUlT_E_NS1_11comp_targetILNS1_3genE2ELNS1_11target_archE906ELNS1_3gpuE6ELNS1_3repE0EEENS1_30default_config_static_selectorELNS0_4arch9wavefront6targetE1EEEvT1_,comdat
	.protected	_ZN7rocprim17ROCPRIM_400000_NS6detail17trampoline_kernelINS0_14default_configENS1_25transform_config_selectorIsLb0EEEZNS1_14transform_implILb0ES3_S5_PsN6thrust23THRUST_200600_302600_NS6detail15normal_iteratorINS9_10device_ptrIsEEEENS0_8identityIsEEEE10hipError_tT2_T3_mT4_P12ihipStream_tbEUlT_E_NS1_11comp_targetILNS1_3genE2ELNS1_11target_archE906ELNS1_3gpuE6ELNS1_3repE0EEENS1_30default_config_static_selectorELNS0_4arch9wavefront6targetE1EEEvT1_ ; -- Begin function _ZN7rocprim17ROCPRIM_400000_NS6detail17trampoline_kernelINS0_14default_configENS1_25transform_config_selectorIsLb0EEEZNS1_14transform_implILb0ES3_S5_PsN6thrust23THRUST_200600_302600_NS6detail15normal_iteratorINS9_10device_ptrIsEEEENS0_8identityIsEEEE10hipError_tT2_T3_mT4_P12ihipStream_tbEUlT_E_NS1_11comp_targetILNS1_3genE2ELNS1_11target_archE906ELNS1_3gpuE6ELNS1_3repE0EEENS1_30default_config_static_selectorELNS0_4arch9wavefront6targetE1EEEvT1_
	.globl	_ZN7rocprim17ROCPRIM_400000_NS6detail17trampoline_kernelINS0_14default_configENS1_25transform_config_selectorIsLb0EEEZNS1_14transform_implILb0ES3_S5_PsN6thrust23THRUST_200600_302600_NS6detail15normal_iteratorINS9_10device_ptrIsEEEENS0_8identityIsEEEE10hipError_tT2_T3_mT4_P12ihipStream_tbEUlT_E_NS1_11comp_targetILNS1_3genE2ELNS1_11target_archE906ELNS1_3gpuE6ELNS1_3repE0EEENS1_30default_config_static_selectorELNS0_4arch9wavefront6targetE1EEEvT1_
	.p2align	8
	.type	_ZN7rocprim17ROCPRIM_400000_NS6detail17trampoline_kernelINS0_14default_configENS1_25transform_config_selectorIsLb0EEEZNS1_14transform_implILb0ES3_S5_PsN6thrust23THRUST_200600_302600_NS6detail15normal_iteratorINS9_10device_ptrIsEEEENS0_8identityIsEEEE10hipError_tT2_T3_mT4_P12ihipStream_tbEUlT_E_NS1_11comp_targetILNS1_3genE2ELNS1_11target_archE906ELNS1_3gpuE6ELNS1_3repE0EEENS1_30default_config_static_selectorELNS0_4arch9wavefront6targetE1EEEvT1_,@function
_ZN7rocprim17ROCPRIM_400000_NS6detail17trampoline_kernelINS0_14default_configENS1_25transform_config_selectorIsLb0EEEZNS1_14transform_implILb0ES3_S5_PsN6thrust23THRUST_200600_302600_NS6detail15normal_iteratorINS9_10device_ptrIsEEEENS0_8identityIsEEEE10hipError_tT2_T3_mT4_P12ihipStream_tbEUlT_E_NS1_11comp_targetILNS1_3genE2ELNS1_11target_archE906ELNS1_3gpuE6ELNS1_3repE0EEENS1_30default_config_static_selectorELNS0_4arch9wavefront6targetE1EEEvT1_: ; @_ZN7rocprim17ROCPRIM_400000_NS6detail17trampoline_kernelINS0_14default_configENS1_25transform_config_selectorIsLb0EEEZNS1_14transform_implILb0ES3_S5_PsN6thrust23THRUST_200600_302600_NS6detail15normal_iteratorINS9_10device_ptrIsEEEENS0_8identityIsEEEE10hipError_tT2_T3_mT4_P12ihipStream_tbEUlT_E_NS1_11comp_targetILNS1_3genE2ELNS1_11target_archE906ELNS1_3gpuE6ELNS1_3repE0EEENS1_30default_config_static_selectorELNS0_4arch9wavefront6targetE1EEEvT1_
; %bb.0:
	.section	.rodata,"a",@progbits
	.p2align	6, 0x0
	.amdhsa_kernel _ZN7rocprim17ROCPRIM_400000_NS6detail17trampoline_kernelINS0_14default_configENS1_25transform_config_selectorIsLb0EEEZNS1_14transform_implILb0ES3_S5_PsN6thrust23THRUST_200600_302600_NS6detail15normal_iteratorINS9_10device_ptrIsEEEENS0_8identityIsEEEE10hipError_tT2_T3_mT4_P12ihipStream_tbEUlT_E_NS1_11comp_targetILNS1_3genE2ELNS1_11target_archE906ELNS1_3gpuE6ELNS1_3repE0EEENS1_30default_config_static_selectorELNS0_4arch9wavefront6targetE1EEEvT1_
		.amdhsa_group_segment_fixed_size 0
		.amdhsa_private_segment_fixed_size 0
		.amdhsa_kernarg_size 40
		.amdhsa_user_sgpr_count 2
		.amdhsa_user_sgpr_dispatch_ptr 0
		.amdhsa_user_sgpr_queue_ptr 0
		.amdhsa_user_sgpr_kernarg_segment_ptr 1
		.amdhsa_user_sgpr_dispatch_id 0
		.amdhsa_user_sgpr_kernarg_preload_length 0
		.amdhsa_user_sgpr_kernarg_preload_offset 0
		.amdhsa_user_sgpr_private_segment_size 0
		.amdhsa_uses_dynamic_stack 0
		.amdhsa_enable_private_segment 0
		.amdhsa_system_sgpr_workgroup_id_x 1
		.amdhsa_system_sgpr_workgroup_id_y 0
		.amdhsa_system_sgpr_workgroup_id_z 0
		.amdhsa_system_sgpr_workgroup_info 0
		.amdhsa_system_vgpr_workitem_id 0
		.amdhsa_next_free_vgpr 1
		.amdhsa_next_free_sgpr 0
		.amdhsa_accum_offset 4
		.amdhsa_reserve_vcc 0
		.amdhsa_float_round_mode_32 0
		.amdhsa_float_round_mode_16_64 0
		.amdhsa_float_denorm_mode_32 3
		.amdhsa_float_denorm_mode_16_64 3
		.amdhsa_dx10_clamp 1
		.amdhsa_ieee_mode 1
		.amdhsa_fp16_overflow 0
		.amdhsa_tg_split 0
		.amdhsa_exception_fp_ieee_invalid_op 0
		.amdhsa_exception_fp_denorm_src 0
		.amdhsa_exception_fp_ieee_div_zero 0
		.amdhsa_exception_fp_ieee_overflow 0
		.amdhsa_exception_fp_ieee_underflow 0
		.amdhsa_exception_fp_ieee_inexact 0
		.amdhsa_exception_int_div_zero 0
	.end_amdhsa_kernel
	.section	.text._ZN7rocprim17ROCPRIM_400000_NS6detail17trampoline_kernelINS0_14default_configENS1_25transform_config_selectorIsLb0EEEZNS1_14transform_implILb0ES3_S5_PsN6thrust23THRUST_200600_302600_NS6detail15normal_iteratorINS9_10device_ptrIsEEEENS0_8identityIsEEEE10hipError_tT2_T3_mT4_P12ihipStream_tbEUlT_E_NS1_11comp_targetILNS1_3genE2ELNS1_11target_archE906ELNS1_3gpuE6ELNS1_3repE0EEENS1_30default_config_static_selectorELNS0_4arch9wavefront6targetE1EEEvT1_,"axG",@progbits,_ZN7rocprim17ROCPRIM_400000_NS6detail17trampoline_kernelINS0_14default_configENS1_25transform_config_selectorIsLb0EEEZNS1_14transform_implILb0ES3_S5_PsN6thrust23THRUST_200600_302600_NS6detail15normal_iteratorINS9_10device_ptrIsEEEENS0_8identityIsEEEE10hipError_tT2_T3_mT4_P12ihipStream_tbEUlT_E_NS1_11comp_targetILNS1_3genE2ELNS1_11target_archE906ELNS1_3gpuE6ELNS1_3repE0EEENS1_30default_config_static_selectorELNS0_4arch9wavefront6targetE1EEEvT1_,comdat
.Lfunc_end1870:
	.size	_ZN7rocprim17ROCPRIM_400000_NS6detail17trampoline_kernelINS0_14default_configENS1_25transform_config_selectorIsLb0EEEZNS1_14transform_implILb0ES3_S5_PsN6thrust23THRUST_200600_302600_NS6detail15normal_iteratorINS9_10device_ptrIsEEEENS0_8identityIsEEEE10hipError_tT2_T3_mT4_P12ihipStream_tbEUlT_E_NS1_11comp_targetILNS1_3genE2ELNS1_11target_archE906ELNS1_3gpuE6ELNS1_3repE0EEENS1_30default_config_static_selectorELNS0_4arch9wavefront6targetE1EEEvT1_, .Lfunc_end1870-_ZN7rocprim17ROCPRIM_400000_NS6detail17trampoline_kernelINS0_14default_configENS1_25transform_config_selectorIsLb0EEEZNS1_14transform_implILb0ES3_S5_PsN6thrust23THRUST_200600_302600_NS6detail15normal_iteratorINS9_10device_ptrIsEEEENS0_8identityIsEEEE10hipError_tT2_T3_mT4_P12ihipStream_tbEUlT_E_NS1_11comp_targetILNS1_3genE2ELNS1_11target_archE906ELNS1_3gpuE6ELNS1_3repE0EEENS1_30default_config_static_selectorELNS0_4arch9wavefront6targetE1EEEvT1_
                                        ; -- End function
	.section	.AMDGPU.csdata,"",@progbits
; Kernel info:
; codeLenInByte = 0
; NumSgprs: 6
; NumVgprs: 0
; NumAgprs: 0
; TotalNumVgprs: 0
; ScratchSize: 0
; MemoryBound: 0
; FloatMode: 240
; IeeeMode: 1
; LDSByteSize: 0 bytes/workgroup (compile time only)
; SGPRBlocks: 0
; VGPRBlocks: 0
; NumSGPRsForWavesPerEU: 6
; NumVGPRsForWavesPerEU: 1
; AccumOffset: 4
; Occupancy: 8
; WaveLimiterHint : 0
; COMPUTE_PGM_RSRC2:SCRATCH_EN: 0
; COMPUTE_PGM_RSRC2:USER_SGPR: 2
; COMPUTE_PGM_RSRC2:TRAP_HANDLER: 0
; COMPUTE_PGM_RSRC2:TGID_X_EN: 1
; COMPUTE_PGM_RSRC2:TGID_Y_EN: 0
; COMPUTE_PGM_RSRC2:TGID_Z_EN: 0
; COMPUTE_PGM_RSRC2:TIDIG_COMP_CNT: 0
; COMPUTE_PGM_RSRC3_GFX90A:ACCUM_OFFSET: 0
; COMPUTE_PGM_RSRC3_GFX90A:TG_SPLIT: 0
	.section	.text._ZN7rocprim17ROCPRIM_400000_NS6detail17trampoline_kernelINS0_14default_configENS1_25transform_config_selectorIsLb0EEEZNS1_14transform_implILb0ES3_S5_PsN6thrust23THRUST_200600_302600_NS6detail15normal_iteratorINS9_10device_ptrIsEEEENS0_8identityIsEEEE10hipError_tT2_T3_mT4_P12ihipStream_tbEUlT_E_NS1_11comp_targetILNS1_3genE10ELNS1_11target_archE1201ELNS1_3gpuE5ELNS1_3repE0EEENS1_30default_config_static_selectorELNS0_4arch9wavefront6targetE1EEEvT1_,"axG",@progbits,_ZN7rocprim17ROCPRIM_400000_NS6detail17trampoline_kernelINS0_14default_configENS1_25transform_config_selectorIsLb0EEEZNS1_14transform_implILb0ES3_S5_PsN6thrust23THRUST_200600_302600_NS6detail15normal_iteratorINS9_10device_ptrIsEEEENS0_8identityIsEEEE10hipError_tT2_T3_mT4_P12ihipStream_tbEUlT_E_NS1_11comp_targetILNS1_3genE10ELNS1_11target_archE1201ELNS1_3gpuE5ELNS1_3repE0EEENS1_30default_config_static_selectorELNS0_4arch9wavefront6targetE1EEEvT1_,comdat
	.protected	_ZN7rocprim17ROCPRIM_400000_NS6detail17trampoline_kernelINS0_14default_configENS1_25transform_config_selectorIsLb0EEEZNS1_14transform_implILb0ES3_S5_PsN6thrust23THRUST_200600_302600_NS6detail15normal_iteratorINS9_10device_ptrIsEEEENS0_8identityIsEEEE10hipError_tT2_T3_mT4_P12ihipStream_tbEUlT_E_NS1_11comp_targetILNS1_3genE10ELNS1_11target_archE1201ELNS1_3gpuE5ELNS1_3repE0EEENS1_30default_config_static_selectorELNS0_4arch9wavefront6targetE1EEEvT1_ ; -- Begin function _ZN7rocprim17ROCPRIM_400000_NS6detail17trampoline_kernelINS0_14default_configENS1_25transform_config_selectorIsLb0EEEZNS1_14transform_implILb0ES3_S5_PsN6thrust23THRUST_200600_302600_NS6detail15normal_iteratorINS9_10device_ptrIsEEEENS0_8identityIsEEEE10hipError_tT2_T3_mT4_P12ihipStream_tbEUlT_E_NS1_11comp_targetILNS1_3genE10ELNS1_11target_archE1201ELNS1_3gpuE5ELNS1_3repE0EEENS1_30default_config_static_selectorELNS0_4arch9wavefront6targetE1EEEvT1_
	.globl	_ZN7rocprim17ROCPRIM_400000_NS6detail17trampoline_kernelINS0_14default_configENS1_25transform_config_selectorIsLb0EEEZNS1_14transform_implILb0ES3_S5_PsN6thrust23THRUST_200600_302600_NS6detail15normal_iteratorINS9_10device_ptrIsEEEENS0_8identityIsEEEE10hipError_tT2_T3_mT4_P12ihipStream_tbEUlT_E_NS1_11comp_targetILNS1_3genE10ELNS1_11target_archE1201ELNS1_3gpuE5ELNS1_3repE0EEENS1_30default_config_static_selectorELNS0_4arch9wavefront6targetE1EEEvT1_
	.p2align	8
	.type	_ZN7rocprim17ROCPRIM_400000_NS6detail17trampoline_kernelINS0_14default_configENS1_25transform_config_selectorIsLb0EEEZNS1_14transform_implILb0ES3_S5_PsN6thrust23THRUST_200600_302600_NS6detail15normal_iteratorINS9_10device_ptrIsEEEENS0_8identityIsEEEE10hipError_tT2_T3_mT4_P12ihipStream_tbEUlT_E_NS1_11comp_targetILNS1_3genE10ELNS1_11target_archE1201ELNS1_3gpuE5ELNS1_3repE0EEENS1_30default_config_static_selectorELNS0_4arch9wavefront6targetE1EEEvT1_,@function
_ZN7rocprim17ROCPRIM_400000_NS6detail17trampoline_kernelINS0_14default_configENS1_25transform_config_selectorIsLb0EEEZNS1_14transform_implILb0ES3_S5_PsN6thrust23THRUST_200600_302600_NS6detail15normal_iteratorINS9_10device_ptrIsEEEENS0_8identityIsEEEE10hipError_tT2_T3_mT4_P12ihipStream_tbEUlT_E_NS1_11comp_targetILNS1_3genE10ELNS1_11target_archE1201ELNS1_3gpuE5ELNS1_3repE0EEENS1_30default_config_static_selectorELNS0_4arch9wavefront6targetE1EEEvT1_: ; @_ZN7rocprim17ROCPRIM_400000_NS6detail17trampoline_kernelINS0_14default_configENS1_25transform_config_selectorIsLb0EEEZNS1_14transform_implILb0ES3_S5_PsN6thrust23THRUST_200600_302600_NS6detail15normal_iteratorINS9_10device_ptrIsEEEENS0_8identityIsEEEE10hipError_tT2_T3_mT4_P12ihipStream_tbEUlT_E_NS1_11comp_targetILNS1_3genE10ELNS1_11target_archE1201ELNS1_3gpuE5ELNS1_3repE0EEENS1_30default_config_static_selectorELNS0_4arch9wavefront6targetE1EEEvT1_
; %bb.0:
	.section	.rodata,"a",@progbits
	.p2align	6, 0x0
	.amdhsa_kernel _ZN7rocprim17ROCPRIM_400000_NS6detail17trampoline_kernelINS0_14default_configENS1_25transform_config_selectorIsLb0EEEZNS1_14transform_implILb0ES3_S5_PsN6thrust23THRUST_200600_302600_NS6detail15normal_iteratorINS9_10device_ptrIsEEEENS0_8identityIsEEEE10hipError_tT2_T3_mT4_P12ihipStream_tbEUlT_E_NS1_11comp_targetILNS1_3genE10ELNS1_11target_archE1201ELNS1_3gpuE5ELNS1_3repE0EEENS1_30default_config_static_selectorELNS0_4arch9wavefront6targetE1EEEvT1_
		.amdhsa_group_segment_fixed_size 0
		.amdhsa_private_segment_fixed_size 0
		.amdhsa_kernarg_size 40
		.amdhsa_user_sgpr_count 2
		.amdhsa_user_sgpr_dispatch_ptr 0
		.amdhsa_user_sgpr_queue_ptr 0
		.amdhsa_user_sgpr_kernarg_segment_ptr 1
		.amdhsa_user_sgpr_dispatch_id 0
		.amdhsa_user_sgpr_kernarg_preload_length 0
		.amdhsa_user_sgpr_kernarg_preload_offset 0
		.amdhsa_user_sgpr_private_segment_size 0
		.amdhsa_uses_dynamic_stack 0
		.amdhsa_enable_private_segment 0
		.amdhsa_system_sgpr_workgroup_id_x 1
		.amdhsa_system_sgpr_workgroup_id_y 0
		.amdhsa_system_sgpr_workgroup_id_z 0
		.amdhsa_system_sgpr_workgroup_info 0
		.amdhsa_system_vgpr_workitem_id 0
		.amdhsa_next_free_vgpr 1
		.amdhsa_next_free_sgpr 0
		.amdhsa_accum_offset 4
		.amdhsa_reserve_vcc 0
		.amdhsa_float_round_mode_32 0
		.amdhsa_float_round_mode_16_64 0
		.amdhsa_float_denorm_mode_32 3
		.amdhsa_float_denorm_mode_16_64 3
		.amdhsa_dx10_clamp 1
		.amdhsa_ieee_mode 1
		.amdhsa_fp16_overflow 0
		.amdhsa_tg_split 0
		.amdhsa_exception_fp_ieee_invalid_op 0
		.amdhsa_exception_fp_denorm_src 0
		.amdhsa_exception_fp_ieee_div_zero 0
		.amdhsa_exception_fp_ieee_overflow 0
		.amdhsa_exception_fp_ieee_underflow 0
		.amdhsa_exception_fp_ieee_inexact 0
		.amdhsa_exception_int_div_zero 0
	.end_amdhsa_kernel
	.section	.text._ZN7rocprim17ROCPRIM_400000_NS6detail17trampoline_kernelINS0_14default_configENS1_25transform_config_selectorIsLb0EEEZNS1_14transform_implILb0ES3_S5_PsN6thrust23THRUST_200600_302600_NS6detail15normal_iteratorINS9_10device_ptrIsEEEENS0_8identityIsEEEE10hipError_tT2_T3_mT4_P12ihipStream_tbEUlT_E_NS1_11comp_targetILNS1_3genE10ELNS1_11target_archE1201ELNS1_3gpuE5ELNS1_3repE0EEENS1_30default_config_static_selectorELNS0_4arch9wavefront6targetE1EEEvT1_,"axG",@progbits,_ZN7rocprim17ROCPRIM_400000_NS6detail17trampoline_kernelINS0_14default_configENS1_25transform_config_selectorIsLb0EEEZNS1_14transform_implILb0ES3_S5_PsN6thrust23THRUST_200600_302600_NS6detail15normal_iteratorINS9_10device_ptrIsEEEENS0_8identityIsEEEE10hipError_tT2_T3_mT4_P12ihipStream_tbEUlT_E_NS1_11comp_targetILNS1_3genE10ELNS1_11target_archE1201ELNS1_3gpuE5ELNS1_3repE0EEENS1_30default_config_static_selectorELNS0_4arch9wavefront6targetE1EEEvT1_,comdat
.Lfunc_end1871:
	.size	_ZN7rocprim17ROCPRIM_400000_NS6detail17trampoline_kernelINS0_14default_configENS1_25transform_config_selectorIsLb0EEEZNS1_14transform_implILb0ES3_S5_PsN6thrust23THRUST_200600_302600_NS6detail15normal_iteratorINS9_10device_ptrIsEEEENS0_8identityIsEEEE10hipError_tT2_T3_mT4_P12ihipStream_tbEUlT_E_NS1_11comp_targetILNS1_3genE10ELNS1_11target_archE1201ELNS1_3gpuE5ELNS1_3repE0EEENS1_30default_config_static_selectorELNS0_4arch9wavefront6targetE1EEEvT1_, .Lfunc_end1871-_ZN7rocprim17ROCPRIM_400000_NS6detail17trampoline_kernelINS0_14default_configENS1_25transform_config_selectorIsLb0EEEZNS1_14transform_implILb0ES3_S5_PsN6thrust23THRUST_200600_302600_NS6detail15normal_iteratorINS9_10device_ptrIsEEEENS0_8identityIsEEEE10hipError_tT2_T3_mT4_P12ihipStream_tbEUlT_E_NS1_11comp_targetILNS1_3genE10ELNS1_11target_archE1201ELNS1_3gpuE5ELNS1_3repE0EEENS1_30default_config_static_selectorELNS0_4arch9wavefront6targetE1EEEvT1_
                                        ; -- End function
	.section	.AMDGPU.csdata,"",@progbits
; Kernel info:
; codeLenInByte = 0
; NumSgprs: 6
; NumVgprs: 0
; NumAgprs: 0
; TotalNumVgprs: 0
; ScratchSize: 0
; MemoryBound: 0
; FloatMode: 240
; IeeeMode: 1
; LDSByteSize: 0 bytes/workgroup (compile time only)
; SGPRBlocks: 0
; VGPRBlocks: 0
; NumSGPRsForWavesPerEU: 6
; NumVGPRsForWavesPerEU: 1
; AccumOffset: 4
; Occupancy: 8
; WaveLimiterHint : 0
; COMPUTE_PGM_RSRC2:SCRATCH_EN: 0
; COMPUTE_PGM_RSRC2:USER_SGPR: 2
; COMPUTE_PGM_RSRC2:TRAP_HANDLER: 0
; COMPUTE_PGM_RSRC2:TGID_X_EN: 1
; COMPUTE_PGM_RSRC2:TGID_Y_EN: 0
; COMPUTE_PGM_RSRC2:TGID_Z_EN: 0
; COMPUTE_PGM_RSRC2:TIDIG_COMP_CNT: 0
; COMPUTE_PGM_RSRC3_GFX90A:ACCUM_OFFSET: 0
; COMPUTE_PGM_RSRC3_GFX90A:TG_SPLIT: 0
	.section	.text._ZN7rocprim17ROCPRIM_400000_NS6detail17trampoline_kernelINS0_14default_configENS1_25transform_config_selectorIsLb0EEEZNS1_14transform_implILb0ES3_S5_PsN6thrust23THRUST_200600_302600_NS6detail15normal_iteratorINS9_10device_ptrIsEEEENS0_8identityIsEEEE10hipError_tT2_T3_mT4_P12ihipStream_tbEUlT_E_NS1_11comp_targetILNS1_3genE10ELNS1_11target_archE1200ELNS1_3gpuE4ELNS1_3repE0EEENS1_30default_config_static_selectorELNS0_4arch9wavefront6targetE1EEEvT1_,"axG",@progbits,_ZN7rocprim17ROCPRIM_400000_NS6detail17trampoline_kernelINS0_14default_configENS1_25transform_config_selectorIsLb0EEEZNS1_14transform_implILb0ES3_S5_PsN6thrust23THRUST_200600_302600_NS6detail15normal_iteratorINS9_10device_ptrIsEEEENS0_8identityIsEEEE10hipError_tT2_T3_mT4_P12ihipStream_tbEUlT_E_NS1_11comp_targetILNS1_3genE10ELNS1_11target_archE1200ELNS1_3gpuE4ELNS1_3repE0EEENS1_30default_config_static_selectorELNS0_4arch9wavefront6targetE1EEEvT1_,comdat
	.protected	_ZN7rocprim17ROCPRIM_400000_NS6detail17trampoline_kernelINS0_14default_configENS1_25transform_config_selectorIsLb0EEEZNS1_14transform_implILb0ES3_S5_PsN6thrust23THRUST_200600_302600_NS6detail15normal_iteratorINS9_10device_ptrIsEEEENS0_8identityIsEEEE10hipError_tT2_T3_mT4_P12ihipStream_tbEUlT_E_NS1_11comp_targetILNS1_3genE10ELNS1_11target_archE1200ELNS1_3gpuE4ELNS1_3repE0EEENS1_30default_config_static_selectorELNS0_4arch9wavefront6targetE1EEEvT1_ ; -- Begin function _ZN7rocprim17ROCPRIM_400000_NS6detail17trampoline_kernelINS0_14default_configENS1_25transform_config_selectorIsLb0EEEZNS1_14transform_implILb0ES3_S5_PsN6thrust23THRUST_200600_302600_NS6detail15normal_iteratorINS9_10device_ptrIsEEEENS0_8identityIsEEEE10hipError_tT2_T3_mT4_P12ihipStream_tbEUlT_E_NS1_11comp_targetILNS1_3genE10ELNS1_11target_archE1200ELNS1_3gpuE4ELNS1_3repE0EEENS1_30default_config_static_selectorELNS0_4arch9wavefront6targetE1EEEvT1_
	.globl	_ZN7rocprim17ROCPRIM_400000_NS6detail17trampoline_kernelINS0_14default_configENS1_25transform_config_selectorIsLb0EEEZNS1_14transform_implILb0ES3_S5_PsN6thrust23THRUST_200600_302600_NS6detail15normal_iteratorINS9_10device_ptrIsEEEENS0_8identityIsEEEE10hipError_tT2_T3_mT4_P12ihipStream_tbEUlT_E_NS1_11comp_targetILNS1_3genE10ELNS1_11target_archE1200ELNS1_3gpuE4ELNS1_3repE0EEENS1_30default_config_static_selectorELNS0_4arch9wavefront6targetE1EEEvT1_
	.p2align	8
	.type	_ZN7rocprim17ROCPRIM_400000_NS6detail17trampoline_kernelINS0_14default_configENS1_25transform_config_selectorIsLb0EEEZNS1_14transform_implILb0ES3_S5_PsN6thrust23THRUST_200600_302600_NS6detail15normal_iteratorINS9_10device_ptrIsEEEENS0_8identityIsEEEE10hipError_tT2_T3_mT4_P12ihipStream_tbEUlT_E_NS1_11comp_targetILNS1_3genE10ELNS1_11target_archE1200ELNS1_3gpuE4ELNS1_3repE0EEENS1_30default_config_static_selectorELNS0_4arch9wavefront6targetE1EEEvT1_,@function
_ZN7rocprim17ROCPRIM_400000_NS6detail17trampoline_kernelINS0_14default_configENS1_25transform_config_selectorIsLb0EEEZNS1_14transform_implILb0ES3_S5_PsN6thrust23THRUST_200600_302600_NS6detail15normal_iteratorINS9_10device_ptrIsEEEENS0_8identityIsEEEE10hipError_tT2_T3_mT4_P12ihipStream_tbEUlT_E_NS1_11comp_targetILNS1_3genE10ELNS1_11target_archE1200ELNS1_3gpuE4ELNS1_3repE0EEENS1_30default_config_static_selectorELNS0_4arch9wavefront6targetE1EEEvT1_: ; @_ZN7rocprim17ROCPRIM_400000_NS6detail17trampoline_kernelINS0_14default_configENS1_25transform_config_selectorIsLb0EEEZNS1_14transform_implILb0ES3_S5_PsN6thrust23THRUST_200600_302600_NS6detail15normal_iteratorINS9_10device_ptrIsEEEENS0_8identityIsEEEE10hipError_tT2_T3_mT4_P12ihipStream_tbEUlT_E_NS1_11comp_targetILNS1_3genE10ELNS1_11target_archE1200ELNS1_3gpuE4ELNS1_3repE0EEENS1_30default_config_static_selectorELNS0_4arch9wavefront6targetE1EEEvT1_
; %bb.0:
	.section	.rodata,"a",@progbits
	.p2align	6, 0x0
	.amdhsa_kernel _ZN7rocprim17ROCPRIM_400000_NS6detail17trampoline_kernelINS0_14default_configENS1_25transform_config_selectorIsLb0EEEZNS1_14transform_implILb0ES3_S5_PsN6thrust23THRUST_200600_302600_NS6detail15normal_iteratorINS9_10device_ptrIsEEEENS0_8identityIsEEEE10hipError_tT2_T3_mT4_P12ihipStream_tbEUlT_E_NS1_11comp_targetILNS1_3genE10ELNS1_11target_archE1200ELNS1_3gpuE4ELNS1_3repE0EEENS1_30default_config_static_selectorELNS0_4arch9wavefront6targetE1EEEvT1_
		.amdhsa_group_segment_fixed_size 0
		.amdhsa_private_segment_fixed_size 0
		.amdhsa_kernarg_size 40
		.amdhsa_user_sgpr_count 2
		.amdhsa_user_sgpr_dispatch_ptr 0
		.amdhsa_user_sgpr_queue_ptr 0
		.amdhsa_user_sgpr_kernarg_segment_ptr 1
		.amdhsa_user_sgpr_dispatch_id 0
		.amdhsa_user_sgpr_kernarg_preload_length 0
		.amdhsa_user_sgpr_kernarg_preload_offset 0
		.amdhsa_user_sgpr_private_segment_size 0
		.amdhsa_uses_dynamic_stack 0
		.amdhsa_enable_private_segment 0
		.amdhsa_system_sgpr_workgroup_id_x 1
		.amdhsa_system_sgpr_workgroup_id_y 0
		.amdhsa_system_sgpr_workgroup_id_z 0
		.amdhsa_system_sgpr_workgroup_info 0
		.amdhsa_system_vgpr_workitem_id 0
		.amdhsa_next_free_vgpr 1
		.amdhsa_next_free_sgpr 0
		.amdhsa_accum_offset 4
		.amdhsa_reserve_vcc 0
		.amdhsa_float_round_mode_32 0
		.amdhsa_float_round_mode_16_64 0
		.amdhsa_float_denorm_mode_32 3
		.amdhsa_float_denorm_mode_16_64 3
		.amdhsa_dx10_clamp 1
		.amdhsa_ieee_mode 1
		.amdhsa_fp16_overflow 0
		.amdhsa_tg_split 0
		.amdhsa_exception_fp_ieee_invalid_op 0
		.amdhsa_exception_fp_denorm_src 0
		.amdhsa_exception_fp_ieee_div_zero 0
		.amdhsa_exception_fp_ieee_overflow 0
		.amdhsa_exception_fp_ieee_underflow 0
		.amdhsa_exception_fp_ieee_inexact 0
		.amdhsa_exception_int_div_zero 0
	.end_amdhsa_kernel
	.section	.text._ZN7rocprim17ROCPRIM_400000_NS6detail17trampoline_kernelINS0_14default_configENS1_25transform_config_selectorIsLb0EEEZNS1_14transform_implILb0ES3_S5_PsN6thrust23THRUST_200600_302600_NS6detail15normal_iteratorINS9_10device_ptrIsEEEENS0_8identityIsEEEE10hipError_tT2_T3_mT4_P12ihipStream_tbEUlT_E_NS1_11comp_targetILNS1_3genE10ELNS1_11target_archE1200ELNS1_3gpuE4ELNS1_3repE0EEENS1_30default_config_static_selectorELNS0_4arch9wavefront6targetE1EEEvT1_,"axG",@progbits,_ZN7rocprim17ROCPRIM_400000_NS6detail17trampoline_kernelINS0_14default_configENS1_25transform_config_selectorIsLb0EEEZNS1_14transform_implILb0ES3_S5_PsN6thrust23THRUST_200600_302600_NS6detail15normal_iteratorINS9_10device_ptrIsEEEENS0_8identityIsEEEE10hipError_tT2_T3_mT4_P12ihipStream_tbEUlT_E_NS1_11comp_targetILNS1_3genE10ELNS1_11target_archE1200ELNS1_3gpuE4ELNS1_3repE0EEENS1_30default_config_static_selectorELNS0_4arch9wavefront6targetE1EEEvT1_,comdat
.Lfunc_end1872:
	.size	_ZN7rocprim17ROCPRIM_400000_NS6detail17trampoline_kernelINS0_14default_configENS1_25transform_config_selectorIsLb0EEEZNS1_14transform_implILb0ES3_S5_PsN6thrust23THRUST_200600_302600_NS6detail15normal_iteratorINS9_10device_ptrIsEEEENS0_8identityIsEEEE10hipError_tT2_T3_mT4_P12ihipStream_tbEUlT_E_NS1_11comp_targetILNS1_3genE10ELNS1_11target_archE1200ELNS1_3gpuE4ELNS1_3repE0EEENS1_30default_config_static_selectorELNS0_4arch9wavefront6targetE1EEEvT1_, .Lfunc_end1872-_ZN7rocprim17ROCPRIM_400000_NS6detail17trampoline_kernelINS0_14default_configENS1_25transform_config_selectorIsLb0EEEZNS1_14transform_implILb0ES3_S5_PsN6thrust23THRUST_200600_302600_NS6detail15normal_iteratorINS9_10device_ptrIsEEEENS0_8identityIsEEEE10hipError_tT2_T3_mT4_P12ihipStream_tbEUlT_E_NS1_11comp_targetILNS1_3genE10ELNS1_11target_archE1200ELNS1_3gpuE4ELNS1_3repE0EEENS1_30default_config_static_selectorELNS0_4arch9wavefront6targetE1EEEvT1_
                                        ; -- End function
	.section	.AMDGPU.csdata,"",@progbits
; Kernel info:
; codeLenInByte = 0
; NumSgprs: 6
; NumVgprs: 0
; NumAgprs: 0
; TotalNumVgprs: 0
; ScratchSize: 0
; MemoryBound: 0
; FloatMode: 240
; IeeeMode: 1
; LDSByteSize: 0 bytes/workgroup (compile time only)
; SGPRBlocks: 0
; VGPRBlocks: 0
; NumSGPRsForWavesPerEU: 6
; NumVGPRsForWavesPerEU: 1
; AccumOffset: 4
; Occupancy: 8
; WaveLimiterHint : 0
; COMPUTE_PGM_RSRC2:SCRATCH_EN: 0
; COMPUTE_PGM_RSRC2:USER_SGPR: 2
; COMPUTE_PGM_RSRC2:TRAP_HANDLER: 0
; COMPUTE_PGM_RSRC2:TGID_X_EN: 1
; COMPUTE_PGM_RSRC2:TGID_Y_EN: 0
; COMPUTE_PGM_RSRC2:TGID_Z_EN: 0
; COMPUTE_PGM_RSRC2:TIDIG_COMP_CNT: 0
; COMPUTE_PGM_RSRC3_GFX90A:ACCUM_OFFSET: 0
; COMPUTE_PGM_RSRC3_GFX90A:TG_SPLIT: 0
	.section	.text._ZN7rocprim17ROCPRIM_400000_NS6detail17trampoline_kernelINS0_14default_configENS1_25transform_config_selectorIsLb0EEEZNS1_14transform_implILb0ES3_S5_PsN6thrust23THRUST_200600_302600_NS6detail15normal_iteratorINS9_10device_ptrIsEEEENS0_8identityIsEEEE10hipError_tT2_T3_mT4_P12ihipStream_tbEUlT_E_NS1_11comp_targetILNS1_3genE9ELNS1_11target_archE1100ELNS1_3gpuE3ELNS1_3repE0EEENS1_30default_config_static_selectorELNS0_4arch9wavefront6targetE1EEEvT1_,"axG",@progbits,_ZN7rocprim17ROCPRIM_400000_NS6detail17trampoline_kernelINS0_14default_configENS1_25transform_config_selectorIsLb0EEEZNS1_14transform_implILb0ES3_S5_PsN6thrust23THRUST_200600_302600_NS6detail15normal_iteratorINS9_10device_ptrIsEEEENS0_8identityIsEEEE10hipError_tT2_T3_mT4_P12ihipStream_tbEUlT_E_NS1_11comp_targetILNS1_3genE9ELNS1_11target_archE1100ELNS1_3gpuE3ELNS1_3repE0EEENS1_30default_config_static_selectorELNS0_4arch9wavefront6targetE1EEEvT1_,comdat
	.protected	_ZN7rocprim17ROCPRIM_400000_NS6detail17trampoline_kernelINS0_14default_configENS1_25transform_config_selectorIsLb0EEEZNS1_14transform_implILb0ES3_S5_PsN6thrust23THRUST_200600_302600_NS6detail15normal_iteratorINS9_10device_ptrIsEEEENS0_8identityIsEEEE10hipError_tT2_T3_mT4_P12ihipStream_tbEUlT_E_NS1_11comp_targetILNS1_3genE9ELNS1_11target_archE1100ELNS1_3gpuE3ELNS1_3repE0EEENS1_30default_config_static_selectorELNS0_4arch9wavefront6targetE1EEEvT1_ ; -- Begin function _ZN7rocprim17ROCPRIM_400000_NS6detail17trampoline_kernelINS0_14default_configENS1_25transform_config_selectorIsLb0EEEZNS1_14transform_implILb0ES3_S5_PsN6thrust23THRUST_200600_302600_NS6detail15normal_iteratorINS9_10device_ptrIsEEEENS0_8identityIsEEEE10hipError_tT2_T3_mT4_P12ihipStream_tbEUlT_E_NS1_11comp_targetILNS1_3genE9ELNS1_11target_archE1100ELNS1_3gpuE3ELNS1_3repE0EEENS1_30default_config_static_selectorELNS0_4arch9wavefront6targetE1EEEvT1_
	.globl	_ZN7rocprim17ROCPRIM_400000_NS6detail17trampoline_kernelINS0_14default_configENS1_25transform_config_selectorIsLb0EEEZNS1_14transform_implILb0ES3_S5_PsN6thrust23THRUST_200600_302600_NS6detail15normal_iteratorINS9_10device_ptrIsEEEENS0_8identityIsEEEE10hipError_tT2_T3_mT4_P12ihipStream_tbEUlT_E_NS1_11comp_targetILNS1_3genE9ELNS1_11target_archE1100ELNS1_3gpuE3ELNS1_3repE0EEENS1_30default_config_static_selectorELNS0_4arch9wavefront6targetE1EEEvT1_
	.p2align	8
	.type	_ZN7rocprim17ROCPRIM_400000_NS6detail17trampoline_kernelINS0_14default_configENS1_25transform_config_selectorIsLb0EEEZNS1_14transform_implILb0ES3_S5_PsN6thrust23THRUST_200600_302600_NS6detail15normal_iteratorINS9_10device_ptrIsEEEENS0_8identityIsEEEE10hipError_tT2_T3_mT4_P12ihipStream_tbEUlT_E_NS1_11comp_targetILNS1_3genE9ELNS1_11target_archE1100ELNS1_3gpuE3ELNS1_3repE0EEENS1_30default_config_static_selectorELNS0_4arch9wavefront6targetE1EEEvT1_,@function
_ZN7rocprim17ROCPRIM_400000_NS6detail17trampoline_kernelINS0_14default_configENS1_25transform_config_selectorIsLb0EEEZNS1_14transform_implILb0ES3_S5_PsN6thrust23THRUST_200600_302600_NS6detail15normal_iteratorINS9_10device_ptrIsEEEENS0_8identityIsEEEE10hipError_tT2_T3_mT4_P12ihipStream_tbEUlT_E_NS1_11comp_targetILNS1_3genE9ELNS1_11target_archE1100ELNS1_3gpuE3ELNS1_3repE0EEENS1_30default_config_static_selectorELNS0_4arch9wavefront6targetE1EEEvT1_: ; @_ZN7rocprim17ROCPRIM_400000_NS6detail17trampoline_kernelINS0_14default_configENS1_25transform_config_selectorIsLb0EEEZNS1_14transform_implILb0ES3_S5_PsN6thrust23THRUST_200600_302600_NS6detail15normal_iteratorINS9_10device_ptrIsEEEENS0_8identityIsEEEE10hipError_tT2_T3_mT4_P12ihipStream_tbEUlT_E_NS1_11comp_targetILNS1_3genE9ELNS1_11target_archE1100ELNS1_3gpuE3ELNS1_3repE0EEENS1_30default_config_static_selectorELNS0_4arch9wavefront6targetE1EEEvT1_
; %bb.0:
	.section	.rodata,"a",@progbits
	.p2align	6, 0x0
	.amdhsa_kernel _ZN7rocprim17ROCPRIM_400000_NS6detail17trampoline_kernelINS0_14default_configENS1_25transform_config_selectorIsLb0EEEZNS1_14transform_implILb0ES3_S5_PsN6thrust23THRUST_200600_302600_NS6detail15normal_iteratorINS9_10device_ptrIsEEEENS0_8identityIsEEEE10hipError_tT2_T3_mT4_P12ihipStream_tbEUlT_E_NS1_11comp_targetILNS1_3genE9ELNS1_11target_archE1100ELNS1_3gpuE3ELNS1_3repE0EEENS1_30default_config_static_selectorELNS0_4arch9wavefront6targetE1EEEvT1_
		.amdhsa_group_segment_fixed_size 0
		.amdhsa_private_segment_fixed_size 0
		.amdhsa_kernarg_size 40
		.amdhsa_user_sgpr_count 2
		.amdhsa_user_sgpr_dispatch_ptr 0
		.amdhsa_user_sgpr_queue_ptr 0
		.amdhsa_user_sgpr_kernarg_segment_ptr 1
		.amdhsa_user_sgpr_dispatch_id 0
		.amdhsa_user_sgpr_kernarg_preload_length 0
		.amdhsa_user_sgpr_kernarg_preload_offset 0
		.amdhsa_user_sgpr_private_segment_size 0
		.amdhsa_uses_dynamic_stack 0
		.amdhsa_enable_private_segment 0
		.amdhsa_system_sgpr_workgroup_id_x 1
		.amdhsa_system_sgpr_workgroup_id_y 0
		.amdhsa_system_sgpr_workgroup_id_z 0
		.amdhsa_system_sgpr_workgroup_info 0
		.amdhsa_system_vgpr_workitem_id 0
		.amdhsa_next_free_vgpr 1
		.amdhsa_next_free_sgpr 0
		.amdhsa_accum_offset 4
		.amdhsa_reserve_vcc 0
		.amdhsa_float_round_mode_32 0
		.amdhsa_float_round_mode_16_64 0
		.amdhsa_float_denorm_mode_32 3
		.amdhsa_float_denorm_mode_16_64 3
		.amdhsa_dx10_clamp 1
		.amdhsa_ieee_mode 1
		.amdhsa_fp16_overflow 0
		.amdhsa_tg_split 0
		.amdhsa_exception_fp_ieee_invalid_op 0
		.amdhsa_exception_fp_denorm_src 0
		.amdhsa_exception_fp_ieee_div_zero 0
		.amdhsa_exception_fp_ieee_overflow 0
		.amdhsa_exception_fp_ieee_underflow 0
		.amdhsa_exception_fp_ieee_inexact 0
		.amdhsa_exception_int_div_zero 0
	.end_amdhsa_kernel
	.section	.text._ZN7rocprim17ROCPRIM_400000_NS6detail17trampoline_kernelINS0_14default_configENS1_25transform_config_selectorIsLb0EEEZNS1_14transform_implILb0ES3_S5_PsN6thrust23THRUST_200600_302600_NS6detail15normal_iteratorINS9_10device_ptrIsEEEENS0_8identityIsEEEE10hipError_tT2_T3_mT4_P12ihipStream_tbEUlT_E_NS1_11comp_targetILNS1_3genE9ELNS1_11target_archE1100ELNS1_3gpuE3ELNS1_3repE0EEENS1_30default_config_static_selectorELNS0_4arch9wavefront6targetE1EEEvT1_,"axG",@progbits,_ZN7rocprim17ROCPRIM_400000_NS6detail17trampoline_kernelINS0_14default_configENS1_25transform_config_selectorIsLb0EEEZNS1_14transform_implILb0ES3_S5_PsN6thrust23THRUST_200600_302600_NS6detail15normal_iteratorINS9_10device_ptrIsEEEENS0_8identityIsEEEE10hipError_tT2_T3_mT4_P12ihipStream_tbEUlT_E_NS1_11comp_targetILNS1_3genE9ELNS1_11target_archE1100ELNS1_3gpuE3ELNS1_3repE0EEENS1_30default_config_static_selectorELNS0_4arch9wavefront6targetE1EEEvT1_,comdat
.Lfunc_end1873:
	.size	_ZN7rocprim17ROCPRIM_400000_NS6detail17trampoline_kernelINS0_14default_configENS1_25transform_config_selectorIsLb0EEEZNS1_14transform_implILb0ES3_S5_PsN6thrust23THRUST_200600_302600_NS6detail15normal_iteratorINS9_10device_ptrIsEEEENS0_8identityIsEEEE10hipError_tT2_T3_mT4_P12ihipStream_tbEUlT_E_NS1_11comp_targetILNS1_3genE9ELNS1_11target_archE1100ELNS1_3gpuE3ELNS1_3repE0EEENS1_30default_config_static_selectorELNS0_4arch9wavefront6targetE1EEEvT1_, .Lfunc_end1873-_ZN7rocprim17ROCPRIM_400000_NS6detail17trampoline_kernelINS0_14default_configENS1_25transform_config_selectorIsLb0EEEZNS1_14transform_implILb0ES3_S5_PsN6thrust23THRUST_200600_302600_NS6detail15normal_iteratorINS9_10device_ptrIsEEEENS0_8identityIsEEEE10hipError_tT2_T3_mT4_P12ihipStream_tbEUlT_E_NS1_11comp_targetILNS1_3genE9ELNS1_11target_archE1100ELNS1_3gpuE3ELNS1_3repE0EEENS1_30default_config_static_selectorELNS0_4arch9wavefront6targetE1EEEvT1_
                                        ; -- End function
	.section	.AMDGPU.csdata,"",@progbits
; Kernel info:
; codeLenInByte = 0
; NumSgprs: 6
; NumVgprs: 0
; NumAgprs: 0
; TotalNumVgprs: 0
; ScratchSize: 0
; MemoryBound: 0
; FloatMode: 240
; IeeeMode: 1
; LDSByteSize: 0 bytes/workgroup (compile time only)
; SGPRBlocks: 0
; VGPRBlocks: 0
; NumSGPRsForWavesPerEU: 6
; NumVGPRsForWavesPerEU: 1
; AccumOffset: 4
; Occupancy: 8
; WaveLimiterHint : 0
; COMPUTE_PGM_RSRC2:SCRATCH_EN: 0
; COMPUTE_PGM_RSRC2:USER_SGPR: 2
; COMPUTE_PGM_RSRC2:TRAP_HANDLER: 0
; COMPUTE_PGM_RSRC2:TGID_X_EN: 1
; COMPUTE_PGM_RSRC2:TGID_Y_EN: 0
; COMPUTE_PGM_RSRC2:TGID_Z_EN: 0
; COMPUTE_PGM_RSRC2:TIDIG_COMP_CNT: 0
; COMPUTE_PGM_RSRC3_GFX90A:ACCUM_OFFSET: 0
; COMPUTE_PGM_RSRC3_GFX90A:TG_SPLIT: 0
	.section	.text._ZN7rocprim17ROCPRIM_400000_NS6detail17trampoline_kernelINS0_14default_configENS1_25transform_config_selectorIsLb0EEEZNS1_14transform_implILb0ES3_S5_PsN6thrust23THRUST_200600_302600_NS6detail15normal_iteratorINS9_10device_ptrIsEEEENS0_8identityIsEEEE10hipError_tT2_T3_mT4_P12ihipStream_tbEUlT_E_NS1_11comp_targetILNS1_3genE8ELNS1_11target_archE1030ELNS1_3gpuE2ELNS1_3repE0EEENS1_30default_config_static_selectorELNS0_4arch9wavefront6targetE1EEEvT1_,"axG",@progbits,_ZN7rocprim17ROCPRIM_400000_NS6detail17trampoline_kernelINS0_14default_configENS1_25transform_config_selectorIsLb0EEEZNS1_14transform_implILb0ES3_S5_PsN6thrust23THRUST_200600_302600_NS6detail15normal_iteratorINS9_10device_ptrIsEEEENS0_8identityIsEEEE10hipError_tT2_T3_mT4_P12ihipStream_tbEUlT_E_NS1_11comp_targetILNS1_3genE8ELNS1_11target_archE1030ELNS1_3gpuE2ELNS1_3repE0EEENS1_30default_config_static_selectorELNS0_4arch9wavefront6targetE1EEEvT1_,comdat
	.protected	_ZN7rocprim17ROCPRIM_400000_NS6detail17trampoline_kernelINS0_14default_configENS1_25transform_config_selectorIsLb0EEEZNS1_14transform_implILb0ES3_S5_PsN6thrust23THRUST_200600_302600_NS6detail15normal_iteratorINS9_10device_ptrIsEEEENS0_8identityIsEEEE10hipError_tT2_T3_mT4_P12ihipStream_tbEUlT_E_NS1_11comp_targetILNS1_3genE8ELNS1_11target_archE1030ELNS1_3gpuE2ELNS1_3repE0EEENS1_30default_config_static_selectorELNS0_4arch9wavefront6targetE1EEEvT1_ ; -- Begin function _ZN7rocprim17ROCPRIM_400000_NS6detail17trampoline_kernelINS0_14default_configENS1_25transform_config_selectorIsLb0EEEZNS1_14transform_implILb0ES3_S5_PsN6thrust23THRUST_200600_302600_NS6detail15normal_iteratorINS9_10device_ptrIsEEEENS0_8identityIsEEEE10hipError_tT2_T3_mT4_P12ihipStream_tbEUlT_E_NS1_11comp_targetILNS1_3genE8ELNS1_11target_archE1030ELNS1_3gpuE2ELNS1_3repE0EEENS1_30default_config_static_selectorELNS0_4arch9wavefront6targetE1EEEvT1_
	.globl	_ZN7rocprim17ROCPRIM_400000_NS6detail17trampoline_kernelINS0_14default_configENS1_25transform_config_selectorIsLb0EEEZNS1_14transform_implILb0ES3_S5_PsN6thrust23THRUST_200600_302600_NS6detail15normal_iteratorINS9_10device_ptrIsEEEENS0_8identityIsEEEE10hipError_tT2_T3_mT4_P12ihipStream_tbEUlT_E_NS1_11comp_targetILNS1_3genE8ELNS1_11target_archE1030ELNS1_3gpuE2ELNS1_3repE0EEENS1_30default_config_static_selectorELNS0_4arch9wavefront6targetE1EEEvT1_
	.p2align	8
	.type	_ZN7rocprim17ROCPRIM_400000_NS6detail17trampoline_kernelINS0_14default_configENS1_25transform_config_selectorIsLb0EEEZNS1_14transform_implILb0ES3_S5_PsN6thrust23THRUST_200600_302600_NS6detail15normal_iteratorINS9_10device_ptrIsEEEENS0_8identityIsEEEE10hipError_tT2_T3_mT4_P12ihipStream_tbEUlT_E_NS1_11comp_targetILNS1_3genE8ELNS1_11target_archE1030ELNS1_3gpuE2ELNS1_3repE0EEENS1_30default_config_static_selectorELNS0_4arch9wavefront6targetE1EEEvT1_,@function
_ZN7rocprim17ROCPRIM_400000_NS6detail17trampoline_kernelINS0_14default_configENS1_25transform_config_selectorIsLb0EEEZNS1_14transform_implILb0ES3_S5_PsN6thrust23THRUST_200600_302600_NS6detail15normal_iteratorINS9_10device_ptrIsEEEENS0_8identityIsEEEE10hipError_tT2_T3_mT4_P12ihipStream_tbEUlT_E_NS1_11comp_targetILNS1_3genE8ELNS1_11target_archE1030ELNS1_3gpuE2ELNS1_3repE0EEENS1_30default_config_static_selectorELNS0_4arch9wavefront6targetE1EEEvT1_: ; @_ZN7rocprim17ROCPRIM_400000_NS6detail17trampoline_kernelINS0_14default_configENS1_25transform_config_selectorIsLb0EEEZNS1_14transform_implILb0ES3_S5_PsN6thrust23THRUST_200600_302600_NS6detail15normal_iteratorINS9_10device_ptrIsEEEENS0_8identityIsEEEE10hipError_tT2_T3_mT4_P12ihipStream_tbEUlT_E_NS1_11comp_targetILNS1_3genE8ELNS1_11target_archE1030ELNS1_3gpuE2ELNS1_3repE0EEENS1_30default_config_static_selectorELNS0_4arch9wavefront6targetE1EEEvT1_
; %bb.0:
	.section	.rodata,"a",@progbits
	.p2align	6, 0x0
	.amdhsa_kernel _ZN7rocprim17ROCPRIM_400000_NS6detail17trampoline_kernelINS0_14default_configENS1_25transform_config_selectorIsLb0EEEZNS1_14transform_implILb0ES3_S5_PsN6thrust23THRUST_200600_302600_NS6detail15normal_iteratorINS9_10device_ptrIsEEEENS0_8identityIsEEEE10hipError_tT2_T3_mT4_P12ihipStream_tbEUlT_E_NS1_11comp_targetILNS1_3genE8ELNS1_11target_archE1030ELNS1_3gpuE2ELNS1_3repE0EEENS1_30default_config_static_selectorELNS0_4arch9wavefront6targetE1EEEvT1_
		.amdhsa_group_segment_fixed_size 0
		.amdhsa_private_segment_fixed_size 0
		.amdhsa_kernarg_size 40
		.amdhsa_user_sgpr_count 2
		.amdhsa_user_sgpr_dispatch_ptr 0
		.amdhsa_user_sgpr_queue_ptr 0
		.amdhsa_user_sgpr_kernarg_segment_ptr 1
		.amdhsa_user_sgpr_dispatch_id 0
		.amdhsa_user_sgpr_kernarg_preload_length 0
		.amdhsa_user_sgpr_kernarg_preload_offset 0
		.amdhsa_user_sgpr_private_segment_size 0
		.amdhsa_uses_dynamic_stack 0
		.amdhsa_enable_private_segment 0
		.amdhsa_system_sgpr_workgroup_id_x 1
		.amdhsa_system_sgpr_workgroup_id_y 0
		.amdhsa_system_sgpr_workgroup_id_z 0
		.amdhsa_system_sgpr_workgroup_info 0
		.amdhsa_system_vgpr_workitem_id 0
		.amdhsa_next_free_vgpr 1
		.amdhsa_next_free_sgpr 0
		.amdhsa_accum_offset 4
		.amdhsa_reserve_vcc 0
		.amdhsa_float_round_mode_32 0
		.amdhsa_float_round_mode_16_64 0
		.amdhsa_float_denorm_mode_32 3
		.amdhsa_float_denorm_mode_16_64 3
		.amdhsa_dx10_clamp 1
		.amdhsa_ieee_mode 1
		.amdhsa_fp16_overflow 0
		.amdhsa_tg_split 0
		.amdhsa_exception_fp_ieee_invalid_op 0
		.amdhsa_exception_fp_denorm_src 0
		.amdhsa_exception_fp_ieee_div_zero 0
		.amdhsa_exception_fp_ieee_overflow 0
		.amdhsa_exception_fp_ieee_underflow 0
		.amdhsa_exception_fp_ieee_inexact 0
		.amdhsa_exception_int_div_zero 0
	.end_amdhsa_kernel
	.section	.text._ZN7rocprim17ROCPRIM_400000_NS6detail17trampoline_kernelINS0_14default_configENS1_25transform_config_selectorIsLb0EEEZNS1_14transform_implILb0ES3_S5_PsN6thrust23THRUST_200600_302600_NS6detail15normal_iteratorINS9_10device_ptrIsEEEENS0_8identityIsEEEE10hipError_tT2_T3_mT4_P12ihipStream_tbEUlT_E_NS1_11comp_targetILNS1_3genE8ELNS1_11target_archE1030ELNS1_3gpuE2ELNS1_3repE0EEENS1_30default_config_static_selectorELNS0_4arch9wavefront6targetE1EEEvT1_,"axG",@progbits,_ZN7rocprim17ROCPRIM_400000_NS6detail17trampoline_kernelINS0_14default_configENS1_25transform_config_selectorIsLb0EEEZNS1_14transform_implILb0ES3_S5_PsN6thrust23THRUST_200600_302600_NS6detail15normal_iteratorINS9_10device_ptrIsEEEENS0_8identityIsEEEE10hipError_tT2_T3_mT4_P12ihipStream_tbEUlT_E_NS1_11comp_targetILNS1_3genE8ELNS1_11target_archE1030ELNS1_3gpuE2ELNS1_3repE0EEENS1_30default_config_static_selectorELNS0_4arch9wavefront6targetE1EEEvT1_,comdat
.Lfunc_end1874:
	.size	_ZN7rocprim17ROCPRIM_400000_NS6detail17trampoline_kernelINS0_14default_configENS1_25transform_config_selectorIsLb0EEEZNS1_14transform_implILb0ES3_S5_PsN6thrust23THRUST_200600_302600_NS6detail15normal_iteratorINS9_10device_ptrIsEEEENS0_8identityIsEEEE10hipError_tT2_T3_mT4_P12ihipStream_tbEUlT_E_NS1_11comp_targetILNS1_3genE8ELNS1_11target_archE1030ELNS1_3gpuE2ELNS1_3repE0EEENS1_30default_config_static_selectorELNS0_4arch9wavefront6targetE1EEEvT1_, .Lfunc_end1874-_ZN7rocprim17ROCPRIM_400000_NS6detail17trampoline_kernelINS0_14default_configENS1_25transform_config_selectorIsLb0EEEZNS1_14transform_implILb0ES3_S5_PsN6thrust23THRUST_200600_302600_NS6detail15normal_iteratorINS9_10device_ptrIsEEEENS0_8identityIsEEEE10hipError_tT2_T3_mT4_P12ihipStream_tbEUlT_E_NS1_11comp_targetILNS1_3genE8ELNS1_11target_archE1030ELNS1_3gpuE2ELNS1_3repE0EEENS1_30default_config_static_selectorELNS0_4arch9wavefront6targetE1EEEvT1_
                                        ; -- End function
	.section	.AMDGPU.csdata,"",@progbits
; Kernel info:
; codeLenInByte = 0
; NumSgprs: 6
; NumVgprs: 0
; NumAgprs: 0
; TotalNumVgprs: 0
; ScratchSize: 0
; MemoryBound: 0
; FloatMode: 240
; IeeeMode: 1
; LDSByteSize: 0 bytes/workgroup (compile time only)
; SGPRBlocks: 0
; VGPRBlocks: 0
; NumSGPRsForWavesPerEU: 6
; NumVGPRsForWavesPerEU: 1
; AccumOffset: 4
; Occupancy: 8
; WaveLimiterHint : 0
; COMPUTE_PGM_RSRC2:SCRATCH_EN: 0
; COMPUTE_PGM_RSRC2:USER_SGPR: 2
; COMPUTE_PGM_RSRC2:TRAP_HANDLER: 0
; COMPUTE_PGM_RSRC2:TGID_X_EN: 1
; COMPUTE_PGM_RSRC2:TGID_Y_EN: 0
; COMPUTE_PGM_RSRC2:TGID_Z_EN: 0
; COMPUTE_PGM_RSRC2:TIDIG_COMP_CNT: 0
; COMPUTE_PGM_RSRC3_GFX90A:ACCUM_OFFSET: 0
; COMPUTE_PGM_RSRC3_GFX90A:TG_SPLIT: 0
	.section	.text._ZN7rocprim17ROCPRIM_400000_NS6detail17trampoline_kernelINS0_14default_configENS1_38merge_sort_block_merge_config_selectorIsNS0_10empty_typeEEEZZNS1_27merge_sort_block_merge_implIS3_N6thrust23THRUST_200600_302600_NS6detail15normal_iteratorINS9_10device_ptrIsEEEEPS5_jNS1_19radix_merge_compareILb0ELb1EsNS0_19identity_decomposerEEEEE10hipError_tT0_T1_T2_jT3_P12ihipStream_tbPNSt15iterator_traitsISK_E10value_typeEPNSQ_ISL_E10value_typeEPSM_NS1_7vsmem_tEENKUlT_SK_SL_SM_E_clIPsSE_SF_SF_EESJ_SZ_SK_SL_SM_EUlSZ_E_NS1_11comp_targetILNS1_3genE0ELNS1_11target_archE4294967295ELNS1_3gpuE0ELNS1_3repE0EEENS1_48merge_mergepath_partition_config_static_selectorELNS0_4arch9wavefront6targetE1EEEvSL_,"axG",@progbits,_ZN7rocprim17ROCPRIM_400000_NS6detail17trampoline_kernelINS0_14default_configENS1_38merge_sort_block_merge_config_selectorIsNS0_10empty_typeEEEZZNS1_27merge_sort_block_merge_implIS3_N6thrust23THRUST_200600_302600_NS6detail15normal_iteratorINS9_10device_ptrIsEEEEPS5_jNS1_19radix_merge_compareILb0ELb1EsNS0_19identity_decomposerEEEEE10hipError_tT0_T1_T2_jT3_P12ihipStream_tbPNSt15iterator_traitsISK_E10value_typeEPNSQ_ISL_E10value_typeEPSM_NS1_7vsmem_tEENKUlT_SK_SL_SM_E_clIPsSE_SF_SF_EESJ_SZ_SK_SL_SM_EUlSZ_E_NS1_11comp_targetILNS1_3genE0ELNS1_11target_archE4294967295ELNS1_3gpuE0ELNS1_3repE0EEENS1_48merge_mergepath_partition_config_static_selectorELNS0_4arch9wavefront6targetE1EEEvSL_,comdat
	.protected	_ZN7rocprim17ROCPRIM_400000_NS6detail17trampoline_kernelINS0_14default_configENS1_38merge_sort_block_merge_config_selectorIsNS0_10empty_typeEEEZZNS1_27merge_sort_block_merge_implIS3_N6thrust23THRUST_200600_302600_NS6detail15normal_iteratorINS9_10device_ptrIsEEEEPS5_jNS1_19radix_merge_compareILb0ELb1EsNS0_19identity_decomposerEEEEE10hipError_tT0_T1_T2_jT3_P12ihipStream_tbPNSt15iterator_traitsISK_E10value_typeEPNSQ_ISL_E10value_typeEPSM_NS1_7vsmem_tEENKUlT_SK_SL_SM_E_clIPsSE_SF_SF_EESJ_SZ_SK_SL_SM_EUlSZ_E_NS1_11comp_targetILNS1_3genE0ELNS1_11target_archE4294967295ELNS1_3gpuE0ELNS1_3repE0EEENS1_48merge_mergepath_partition_config_static_selectorELNS0_4arch9wavefront6targetE1EEEvSL_ ; -- Begin function _ZN7rocprim17ROCPRIM_400000_NS6detail17trampoline_kernelINS0_14default_configENS1_38merge_sort_block_merge_config_selectorIsNS0_10empty_typeEEEZZNS1_27merge_sort_block_merge_implIS3_N6thrust23THRUST_200600_302600_NS6detail15normal_iteratorINS9_10device_ptrIsEEEEPS5_jNS1_19radix_merge_compareILb0ELb1EsNS0_19identity_decomposerEEEEE10hipError_tT0_T1_T2_jT3_P12ihipStream_tbPNSt15iterator_traitsISK_E10value_typeEPNSQ_ISL_E10value_typeEPSM_NS1_7vsmem_tEENKUlT_SK_SL_SM_E_clIPsSE_SF_SF_EESJ_SZ_SK_SL_SM_EUlSZ_E_NS1_11comp_targetILNS1_3genE0ELNS1_11target_archE4294967295ELNS1_3gpuE0ELNS1_3repE0EEENS1_48merge_mergepath_partition_config_static_selectorELNS0_4arch9wavefront6targetE1EEEvSL_
	.globl	_ZN7rocprim17ROCPRIM_400000_NS6detail17trampoline_kernelINS0_14default_configENS1_38merge_sort_block_merge_config_selectorIsNS0_10empty_typeEEEZZNS1_27merge_sort_block_merge_implIS3_N6thrust23THRUST_200600_302600_NS6detail15normal_iteratorINS9_10device_ptrIsEEEEPS5_jNS1_19radix_merge_compareILb0ELb1EsNS0_19identity_decomposerEEEEE10hipError_tT0_T1_T2_jT3_P12ihipStream_tbPNSt15iterator_traitsISK_E10value_typeEPNSQ_ISL_E10value_typeEPSM_NS1_7vsmem_tEENKUlT_SK_SL_SM_E_clIPsSE_SF_SF_EESJ_SZ_SK_SL_SM_EUlSZ_E_NS1_11comp_targetILNS1_3genE0ELNS1_11target_archE4294967295ELNS1_3gpuE0ELNS1_3repE0EEENS1_48merge_mergepath_partition_config_static_selectorELNS0_4arch9wavefront6targetE1EEEvSL_
	.p2align	8
	.type	_ZN7rocprim17ROCPRIM_400000_NS6detail17trampoline_kernelINS0_14default_configENS1_38merge_sort_block_merge_config_selectorIsNS0_10empty_typeEEEZZNS1_27merge_sort_block_merge_implIS3_N6thrust23THRUST_200600_302600_NS6detail15normal_iteratorINS9_10device_ptrIsEEEEPS5_jNS1_19radix_merge_compareILb0ELb1EsNS0_19identity_decomposerEEEEE10hipError_tT0_T1_T2_jT3_P12ihipStream_tbPNSt15iterator_traitsISK_E10value_typeEPNSQ_ISL_E10value_typeEPSM_NS1_7vsmem_tEENKUlT_SK_SL_SM_E_clIPsSE_SF_SF_EESJ_SZ_SK_SL_SM_EUlSZ_E_NS1_11comp_targetILNS1_3genE0ELNS1_11target_archE4294967295ELNS1_3gpuE0ELNS1_3repE0EEENS1_48merge_mergepath_partition_config_static_selectorELNS0_4arch9wavefront6targetE1EEEvSL_,@function
_ZN7rocprim17ROCPRIM_400000_NS6detail17trampoline_kernelINS0_14default_configENS1_38merge_sort_block_merge_config_selectorIsNS0_10empty_typeEEEZZNS1_27merge_sort_block_merge_implIS3_N6thrust23THRUST_200600_302600_NS6detail15normal_iteratorINS9_10device_ptrIsEEEEPS5_jNS1_19radix_merge_compareILb0ELb1EsNS0_19identity_decomposerEEEEE10hipError_tT0_T1_T2_jT3_P12ihipStream_tbPNSt15iterator_traitsISK_E10value_typeEPNSQ_ISL_E10value_typeEPSM_NS1_7vsmem_tEENKUlT_SK_SL_SM_E_clIPsSE_SF_SF_EESJ_SZ_SK_SL_SM_EUlSZ_E_NS1_11comp_targetILNS1_3genE0ELNS1_11target_archE4294967295ELNS1_3gpuE0ELNS1_3repE0EEENS1_48merge_mergepath_partition_config_static_selectorELNS0_4arch9wavefront6targetE1EEEvSL_: ; @_ZN7rocprim17ROCPRIM_400000_NS6detail17trampoline_kernelINS0_14default_configENS1_38merge_sort_block_merge_config_selectorIsNS0_10empty_typeEEEZZNS1_27merge_sort_block_merge_implIS3_N6thrust23THRUST_200600_302600_NS6detail15normal_iteratorINS9_10device_ptrIsEEEEPS5_jNS1_19radix_merge_compareILb0ELb1EsNS0_19identity_decomposerEEEEE10hipError_tT0_T1_T2_jT3_P12ihipStream_tbPNSt15iterator_traitsISK_E10value_typeEPNSQ_ISL_E10value_typeEPSM_NS1_7vsmem_tEENKUlT_SK_SL_SM_E_clIPsSE_SF_SF_EESJ_SZ_SK_SL_SM_EUlSZ_E_NS1_11comp_targetILNS1_3genE0ELNS1_11target_archE4294967295ELNS1_3gpuE0ELNS1_3repE0EEENS1_48merge_mergepath_partition_config_static_selectorELNS0_4arch9wavefront6targetE1EEEvSL_
; %bb.0:
	.section	.rodata,"a",@progbits
	.p2align	6, 0x0
	.amdhsa_kernel _ZN7rocprim17ROCPRIM_400000_NS6detail17trampoline_kernelINS0_14default_configENS1_38merge_sort_block_merge_config_selectorIsNS0_10empty_typeEEEZZNS1_27merge_sort_block_merge_implIS3_N6thrust23THRUST_200600_302600_NS6detail15normal_iteratorINS9_10device_ptrIsEEEEPS5_jNS1_19radix_merge_compareILb0ELb1EsNS0_19identity_decomposerEEEEE10hipError_tT0_T1_T2_jT3_P12ihipStream_tbPNSt15iterator_traitsISK_E10value_typeEPNSQ_ISL_E10value_typeEPSM_NS1_7vsmem_tEENKUlT_SK_SL_SM_E_clIPsSE_SF_SF_EESJ_SZ_SK_SL_SM_EUlSZ_E_NS1_11comp_targetILNS1_3genE0ELNS1_11target_archE4294967295ELNS1_3gpuE0ELNS1_3repE0EEENS1_48merge_mergepath_partition_config_static_selectorELNS0_4arch9wavefront6targetE1EEEvSL_
		.amdhsa_group_segment_fixed_size 0
		.amdhsa_private_segment_fixed_size 0
		.amdhsa_kernarg_size 40
		.amdhsa_user_sgpr_count 2
		.amdhsa_user_sgpr_dispatch_ptr 0
		.amdhsa_user_sgpr_queue_ptr 0
		.amdhsa_user_sgpr_kernarg_segment_ptr 1
		.amdhsa_user_sgpr_dispatch_id 0
		.amdhsa_user_sgpr_kernarg_preload_length 0
		.amdhsa_user_sgpr_kernarg_preload_offset 0
		.amdhsa_user_sgpr_private_segment_size 0
		.amdhsa_uses_dynamic_stack 0
		.amdhsa_enable_private_segment 0
		.amdhsa_system_sgpr_workgroup_id_x 1
		.amdhsa_system_sgpr_workgroup_id_y 0
		.amdhsa_system_sgpr_workgroup_id_z 0
		.amdhsa_system_sgpr_workgroup_info 0
		.amdhsa_system_vgpr_workitem_id 0
		.amdhsa_next_free_vgpr 1
		.amdhsa_next_free_sgpr 0
		.amdhsa_accum_offset 4
		.amdhsa_reserve_vcc 0
		.amdhsa_float_round_mode_32 0
		.amdhsa_float_round_mode_16_64 0
		.amdhsa_float_denorm_mode_32 3
		.amdhsa_float_denorm_mode_16_64 3
		.amdhsa_dx10_clamp 1
		.amdhsa_ieee_mode 1
		.amdhsa_fp16_overflow 0
		.amdhsa_tg_split 0
		.amdhsa_exception_fp_ieee_invalid_op 0
		.amdhsa_exception_fp_denorm_src 0
		.amdhsa_exception_fp_ieee_div_zero 0
		.amdhsa_exception_fp_ieee_overflow 0
		.amdhsa_exception_fp_ieee_underflow 0
		.amdhsa_exception_fp_ieee_inexact 0
		.amdhsa_exception_int_div_zero 0
	.end_amdhsa_kernel
	.section	.text._ZN7rocprim17ROCPRIM_400000_NS6detail17trampoline_kernelINS0_14default_configENS1_38merge_sort_block_merge_config_selectorIsNS0_10empty_typeEEEZZNS1_27merge_sort_block_merge_implIS3_N6thrust23THRUST_200600_302600_NS6detail15normal_iteratorINS9_10device_ptrIsEEEEPS5_jNS1_19radix_merge_compareILb0ELb1EsNS0_19identity_decomposerEEEEE10hipError_tT0_T1_T2_jT3_P12ihipStream_tbPNSt15iterator_traitsISK_E10value_typeEPNSQ_ISL_E10value_typeEPSM_NS1_7vsmem_tEENKUlT_SK_SL_SM_E_clIPsSE_SF_SF_EESJ_SZ_SK_SL_SM_EUlSZ_E_NS1_11comp_targetILNS1_3genE0ELNS1_11target_archE4294967295ELNS1_3gpuE0ELNS1_3repE0EEENS1_48merge_mergepath_partition_config_static_selectorELNS0_4arch9wavefront6targetE1EEEvSL_,"axG",@progbits,_ZN7rocprim17ROCPRIM_400000_NS6detail17trampoline_kernelINS0_14default_configENS1_38merge_sort_block_merge_config_selectorIsNS0_10empty_typeEEEZZNS1_27merge_sort_block_merge_implIS3_N6thrust23THRUST_200600_302600_NS6detail15normal_iteratorINS9_10device_ptrIsEEEEPS5_jNS1_19radix_merge_compareILb0ELb1EsNS0_19identity_decomposerEEEEE10hipError_tT0_T1_T2_jT3_P12ihipStream_tbPNSt15iterator_traitsISK_E10value_typeEPNSQ_ISL_E10value_typeEPSM_NS1_7vsmem_tEENKUlT_SK_SL_SM_E_clIPsSE_SF_SF_EESJ_SZ_SK_SL_SM_EUlSZ_E_NS1_11comp_targetILNS1_3genE0ELNS1_11target_archE4294967295ELNS1_3gpuE0ELNS1_3repE0EEENS1_48merge_mergepath_partition_config_static_selectorELNS0_4arch9wavefront6targetE1EEEvSL_,comdat
.Lfunc_end1875:
	.size	_ZN7rocprim17ROCPRIM_400000_NS6detail17trampoline_kernelINS0_14default_configENS1_38merge_sort_block_merge_config_selectorIsNS0_10empty_typeEEEZZNS1_27merge_sort_block_merge_implIS3_N6thrust23THRUST_200600_302600_NS6detail15normal_iteratorINS9_10device_ptrIsEEEEPS5_jNS1_19radix_merge_compareILb0ELb1EsNS0_19identity_decomposerEEEEE10hipError_tT0_T1_T2_jT3_P12ihipStream_tbPNSt15iterator_traitsISK_E10value_typeEPNSQ_ISL_E10value_typeEPSM_NS1_7vsmem_tEENKUlT_SK_SL_SM_E_clIPsSE_SF_SF_EESJ_SZ_SK_SL_SM_EUlSZ_E_NS1_11comp_targetILNS1_3genE0ELNS1_11target_archE4294967295ELNS1_3gpuE0ELNS1_3repE0EEENS1_48merge_mergepath_partition_config_static_selectorELNS0_4arch9wavefront6targetE1EEEvSL_, .Lfunc_end1875-_ZN7rocprim17ROCPRIM_400000_NS6detail17trampoline_kernelINS0_14default_configENS1_38merge_sort_block_merge_config_selectorIsNS0_10empty_typeEEEZZNS1_27merge_sort_block_merge_implIS3_N6thrust23THRUST_200600_302600_NS6detail15normal_iteratorINS9_10device_ptrIsEEEEPS5_jNS1_19radix_merge_compareILb0ELb1EsNS0_19identity_decomposerEEEEE10hipError_tT0_T1_T2_jT3_P12ihipStream_tbPNSt15iterator_traitsISK_E10value_typeEPNSQ_ISL_E10value_typeEPSM_NS1_7vsmem_tEENKUlT_SK_SL_SM_E_clIPsSE_SF_SF_EESJ_SZ_SK_SL_SM_EUlSZ_E_NS1_11comp_targetILNS1_3genE0ELNS1_11target_archE4294967295ELNS1_3gpuE0ELNS1_3repE0EEENS1_48merge_mergepath_partition_config_static_selectorELNS0_4arch9wavefront6targetE1EEEvSL_
                                        ; -- End function
	.section	.AMDGPU.csdata,"",@progbits
; Kernel info:
; codeLenInByte = 0
; NumSgprs: 6
; NumVgprs: 0
; NumAgprs: 0
; TotalNumVgprs: 0
; ScratchSize: 0
; MemoryBound: 0
; FloatMode: 240
; IeeeMode: 1
; LDSByteSize: 0 bytes/workgroup (compile time only)
; SGPRBlocks: 0
; VGPRBlocks: 0
; NumSGPRsForWavesPerEU: 6
; NumVGPRsForWavesPerEU: 1
; AccumOffset: 4
; Occupancy: 8
; WaveLimiterHint : 0
; COMPUTE_PGM_RSRC2:SCRATCH_EN: 0
; COMPUTE_PGM_RSRC2:USER_SGPR: 2
; COMPUTE_PGM_RSRC2:TRAP_HANDLER: 0
; COMPUTE_PGM_RSRC2:TGID_X_EN: 1
; COMPUTE_PGM_RSRC2:TGID_Y_EN: 0
; COMPUTE_PGM_RSRC2:TGID_Z_EN: 0
; COMPUTE_PGM_RSRC2:TIDIG_COMP_CNT: 0
; COMPUTE_PGM_RSRC3_GFX90A:ACCUM_OFFSET: 0
; COMPUTE_PGM_RSRC3_GFX90A:TG_SPLIT: 0
	.section	.text._ZN7rocprim17ROCPRIM_400000_NS6detail17trampoline_kernelINS0_14default_configENS1_38merge_sort_block_merge_config_selectorIsNS0_10empty_typeEEEZZNS1_27merge_sort_block_merge_implIS3_N6thrust23THRUST_200600_302600_NS6detail15normal_iteratorINS9_10device_ptrIsEEEEPS5_jNS1_19radix_merge_compareILb0ELb1EsNS0_19identity_decomposerEEEEE10hipError_tT0_T1_T2_jT3_P12ihipStream_tbPNSt15iterator_traitsISK_E10value_typeEPNSQ_ISL_E10value_typeEPSM_NS1_7vsmem_tEENKUlT_SK_SL_SM_E_clIPsSE_SF_SF_EESJ_SZ_SK_SL_SM_EUlSZ_E_NS1_11comp_targetILNS1_3genE10ELNS1_11target_archE1201ELNS1_3gpuE5ELNS1_3repE0EEENS1_48merge_mergepath_partition_config_static_selectorELNS0_4arch9wavefront6targetE1EEEvSL_,"axG",@progbits,_ZN7rocprim17ROCPRIM_400000_NS6detail17trampoline_kernelINS0_14default_configENS1_38merge_sort_block_merge_config_selectorIsNS0_10empty_typeEEEZZNS1_27merge_sort_block_merge_implIS3_N6thrust23THRUST_200600_302600_NS6detail15normal_iteratorINS9_10device_ptrIsEEEEPS5_jNS1_19radix_merge_compareILb0ELb1EsNS0_19identity_decomposerEEEEE10hipError_tT0_T1_T2_jT3_P12ihipStream_tbPNSt15iterator_traitsISK_E10value_typeEPNSQ_ISL_E10value_typeEPSM_NS1_7vsmem_tEENKUlT_SK_SL_SM_E_clIPsSE_SF_SF_EESJ_SZ_SK_SL_SM_EUlSZ_E_NS1_11comp_targetILNS1_3genE10ELNS1_11target_archE1201ELNS1_3gpuE5ELNS1_3repE0EEENS1_48merge_mergepath_partition_config_static_selectorELNS0_4arch9wavefront6targetE1EEEvSL_,comdat
	.protected	_ZN7rocprim17ROCPRIM_400000_NS6detail17trampoline_kernelINS0_14default_configENS1_38merge_sort_block_merge_config_selectorIsNS0_10empty_typeEEEZZNS1_27merge_sort_block_merge_implIS3_N6thrust23THRUST_200600_302600_NS6detail15normal_iteratorINS9_10device_ptrIsEEEEPS5_jNS1_19radix_merge_compareILb0ELb1EsNS0_19identity_decomposerEEEEE10hipError_tT0_T1_T2_jT3_P12ihipStream_tbPNSt15iterator_traitsISK_E10value_typeEPNSQ_ISL_E10value_typeEPSM_NS1_7vsmem_tEENKUlT_SK_SL_SM_E_clIPsSE_SF_SF_EESJ_SZ_SK_SL_SM_EUlSZ_E_NS1_11comp_targetILNS1_3genE10ELNS1_11target_archE1201ELNS1_3gpuE5ELNS1_3repE0EEENS1_48merge_mergepath_partition_config_static_selectorELNS0_4arch9wavefront6targetE1EEEvSL_ ; -- Begin function _ZN7rocprim17ROCPRIM_400000_NS6detail17trampoline_kernelINS0_14default_configENS1_38merge_sort_block_merge_config_selectorIsNS0_10empty_typeEEEZZNS1_27merge_sort_block_merge_implIS3_N6thrust23THRUST_200600_302600_NS6detail15normal_iteratorINS9_10device_ptrIsEEEEPS5_jNS1_19radix_merge_compareILb0ELb1EsNS0_19identity_decomposerEEEEE10hipError_tT0_T1_T2_jT3_P12ihipStream_tbPNSt15iterator_traitsISK_E10value_typeEPNSQ_ISL_E10value_typeEPSM_NS1_7vsmem_tEENKUlT_SK_SL_SM_E_clIPsSE_SF_SF_EESJ_SZ_SK_SL_SM_EUlSZ_E_NS1_11comp_targetILNS1_3genE10ELNS1_11target_archE1201ELNS1_3gpuE5ELNS1_3repE0EEENS1_48merge_mergepath_partition_config_static_selectorELNS0_4arch9wavefront6targetE1EEEvSL_
	.globl	_ZN7rocprim17ROCPRIM_400000_NS6detail17trampoline_kernelINS0_14default_configENS1_38merge_sort_block_merge_config_selectorIsNS0_10empty_typeEEEZZNS1_27merge_sort_block_merge_implIS3_N6thrust23THRUST_200600_302600_NS6detail15normal_iteratorINS9_10device_ptrIsEEEEPS5_jNS1_19radix_merge_compareILb0ELb1EsNS0_19identity_decomposerEEEEE10hipError_tT0_T1_T2_jT3_P12ihipStream_tbPNSt15iterator_traitsISK_E10value_typeEPNSQ_ISL_E10value_typeEPSM_NS1_7vsmem_tEENKUlT_SK_SL_SM_E_clIPsSE_SF_SF_EESJ_SZ_SK_SL_SM_EUlSZ_E_NS1_11comp_targetILNS1_3genE10ELNS1_11target_archE1201ELNS1_3gpuE5ELNS1_3repE0EEENS1_48merge_mergepath_partition_config_static_selectorELNS0_4arch9wavefront6targetE1EEEvSL_
	.p2align	8
	.type	_ZN7rocprim17ROCPRIM_400000_NS6detail17trampoline_kernelINS0_14default_configENS1_38merge_sort_block_merge_config_selectorIsNS0_10empty_typeEEEZZNS1_27merge_sort_block_merge_implIS3_N6thrust23THRUST_200600_302600_NS6detail15normal_iteratorINS9_10device_ptrIsEEEEPS5_jNS1_19radix_merge_compareILb0ELb1EsNS0_19identity_decomposerEEEEE10hipError_tT0_T1_T2_jT3_P12ihipStream_tbPNSt15iterator_traitsISK_E10value_typeEPNSQ_ISL_E10value_typeEPSM_NS1_7vsmem_tEENKUlT_SK_SL_SM_E_clIPsSE_SF_SF_EESJ_SZ_SK_SL_SM_EUlSZ_E_NS1_11comp_targetILNS1_3genE10ELNS1_11target_archE1201ELNS1_3gpuE5ELNS1_3repE0EEENS1_48merge_mergepath_partition_config_static_selectorELNS0_4arch9wavefront6targetE1EEEvSL_,@function
_ZN7rocprim17ROCPRIM_400000_NS6detail17trampoline_kernelINS0_14default_configENS1_38merge_sort_block_merge_config_selectorIsNS0_10empty_typeEEEZZNS1_27merge_sort_block_merge_implIS3_N6thrust23THRUST_200600_302600_NS6detail15normal_iteratorINS9_10device_ptrIsEEEEPS5_jNS1_19radix_merge_compareILb0ELb1EsNS0_19identity_decomposerEEEEE10hipError_tT0_T1_T2_jT3_P12ihipStream_tbPNSt15iterator_traitsISK_E10value_typeEPNSQ_ISL_E10value_typeEPSM_NS1_7vsmem_tEENKUlT_SK_SL_SM_E_clIPsSE_SF_SF_EESJ_SZ_SK_SL_SM_EUlSZ_E_NS1_11comp_targetILNS1_3genE10ELNS1_11target_archE1201ELNS1_3gpuE5ELNS1_3repE0EEENS1_48merge_mergepath_partition_config_static_selectorELNS0_4arch9wavefront6targetE1EEEvSL_: ; @_ZN7rocprim17ROCPRIM_400000_NS6detail17trampoline_kernelINS0_14default_configENS1_38merge_sort_block_merge_config_selectorIsNS0_10empty_typeEEEZZNS1_27merge_sort_block_merge_implIS3_N6thrust23THRUST_200600_302600_NS6detail15normal_iteratorINS9_10device_ptrIsEEEEPS5_jNS1_19radix_merge_compareILb0ELb1EsNS0_19identity_decomposerEEEEE10hipError_tT0_T1_T2_jT3_P12ihipStream_tbPNSt15iterator_traitsISK_E10value_typeEPNSQ_ISL_E10value_typeEPSM_NS1_7vsmem_tEENKUlT_SK_SL_SM_E_clIPsSE_SF_SF_EESJ_SZ_SK_SL_SM_EUlSZ_E_NS1_11comp_targetILNS1_3genE10ELNS1_11target_archE1201ELNS1_3gpuE5ELNS1_3repE0EEENS1_48merge_mergepath_partition_config_static_selectorELNS0_4arch9wavefront6targetE1EEEvSL_
; %bb.0:
	.section	.rodata,"a",@progbits
	.p2align	6, 0x0
	.amdhsa_kernel _ZN7rocprim17ROCPRIM_400000_NS6detail17trampoline_kernelINS0_14default_configENS1_38merge_sort_block_merge_config_selectorIsNS0_10empty_typeEEEZZNS1_27merge_sort_block_merge_implIS3_N6thrust23THRUST_200600_302600_NS6detail15normal_iteratorINS9_10device_ptrIsEEEEPS5_jNS1_19radix_merge_compareILb0ELb1EsNS0_19identity_decomposerEEEEE10hipError_tT0_T1_T2_jT3_P12ihipStream_tbPNSt15iterator_traitsISK_E10value_typeEPNSQ_ISL_E10value_typeEPSM_NS1_7vsmem_tEENKUlT_SK_SL_SM_E_clIPsSE_SF_SF_EESJ_SZ_SK_SL_SM_EUlSZ_E_NS1_11comp_targetILNS1_3genE10ELNS1_11target_archE1201ELNS1_3gpuE5ELNS1_3repE0EEENS1_48merge_mergepath_partition_config_static_selectorELNS0_4arch9wavefront6targetE1EEEvSL_
		.amdhsa_group_segment_fixed_size 0
		.amdhsa_private_segment_fixed_size 0
		.amdhsa_kernarg_size 40
		.amdhsa_user_sgpr_count 2
		.amdhsa_user_sgpr_dispatch_ptr 0
		.amdhsa_user_sgpr_queue_ptr 0
		.amdhsa_user_sgpr_kernarg_segment_ptr 1
		.amdhsa_user_sgpr_dispatch_id 0
		.amdhsa_user_sgpr_kernarg_preload_length 0
		.amdhsa_user_sgpr_kernarg_preload_offset 0
		.amdhsa_user_sgpr_private_segment_size 0
		.amdhsa_uses_dynamic_stack 0
		.amdhsa_enable_private_segment 0
		.amdhsa_system_sgpr_workgroup_id_x 1
		.amdhsa_system_sgpr_workgroup_id_y 0
		.amdhsa_system_sgpr_workgroup_id_z 0
		.amdhsa_system_sgpr_workgroup_info 0
		.amdhsa_system_vgpr_workitem_id 0
		.amdhsa_next_free_vgpr 1
		.amdhsa_next_free_sgpr 0
		.amdhsa_accum_offset 4
		.amdhsa_reserve_vcc 0
		.amdhsa_float_round_mode_32 0
		.amdhsa_float_round_mode_16_64 0
		.amdhsa_float_denorm_mode_32 3
		.amdhsa_float_denorm_mode_16_64 3
		.amdhsa_dx10_clamp 1
		.amdhsa_ieee_mode 1
		.amdhsa_fp16_overflow 0
		.amdhsa_tg_split 0
		.amdhsa_exception_fp_ieee_invalid_op 0
		.amdhsa_exception_fp_denorm_src 0
		.amdhsa_exception_fp_ieee_div_zero 0
		.amdhsa_exception_fp_ieee_overflow 0
		.amdhsa_exception_fp_ieee_underflow 0
		.amdhsa_exception_fp_ieee_inexact 0
		.amdhsa_exception_int_div_zero 0
	.end_amdhsa_kernel
	.section	.text._ZN7rocprim17ROCPRIM_400000_NS6detail17trampoline_kernelINS0_14default_configENS1_38merge_sort_block_merge_config_selectorIsNS0_10empty_typeEEEZZNS1_27merge_sort_block_merge_implIS3_N6thrust23THRUST_200600_302600_NS6detail15normal_iteratorINS9_10device_ptrIsEEEEPS5_jNS1_19radix_merge_compareILb0ELb1EsNS0_19identity_decomposerEEEEE10hipError_tT0_T1_T2_jT3_P12ihipStream_tbPNSt15iterator_traitsISK_E10value_typeEPNSQ_ISL_E10value_typeEPSM_NS1_7vsmem_tEENKUlT_SK_SL_SM_E_clIPsSE_SF_SF_EESJ_SZ_SK_SL_SM_EUlSZ_E_NS1_11comp_targetILNS1_3genE10ELNS1_11target_archE1201ELNS1_3gpuE5ELNS1_3repE0EEENS1_48merge_mergepath_partition_config_static_selectorELNS0_4arch9wavefront6targetE1EEEvSL_,"axG",@progbits,_ZN7rocprim17ROCPRIM_400000_NS6detail17trampoline_kernelINS0_14default_configENS1_38merge_sort_block_merge_config_selectorIsNS0_10empty_typeEEEZZNS1_27merge_sort_block_merge_implIS3_N6thrust23THRUST_200600_302600_NS6detail15normal_iteratorINS9_10device_ptrIsEEEEPS5_jNS1_19radix_merge_compareILb0ELb1EsNS0_19identity_decomposerEEEEE10hipError_tT0_T1_T2_jT3_P12ihipStream_tbPNSt15iterator_traitsISK_E10value_typeEPNSQ_ISL_E10value_typeEPSM_NS1_7vsmem_tEENKUlT_SK_SL_SM_E_clIPsSE_SF_SF_EESJ_SZ_SK_SL_SM_EUlSZ_E_NS1_11comp_targetILNS1_3genE10ELNS1_11target_archE1201ELNS1_3gpuE5ELNS1_3repE0EEENS1_48merge_mergepath_partition_config_static_selectorELNS0_4arch9wavefront6targetE1EEEvSL_,comdat
.Lfunc_end1876:
	.size	_ZN7rocprim17ROCPRIM_400000_NS6detail17trampoline_kernelINS0_14default_configENS1_38merge_sort_block_merge_config_selectorIsNS0_10empty_typeEEEZZNS1_27merge_sort_block_merge_implIS3_N6thrust23THRUST_200600_302600_NS6detail15normal_iteratorINS9_10device_ptrIsEEEEPS5_jNS1_19radix_merge_compareILb0ELb1EsNS0_19identity_decomposerEEEEE10hipError_tT0_T1_T2_jT3_P12ihipStream_tbPNSt15iterator_traitsISK_E10value_typeEPNSQ_ISL_E10value_typeEPSM_NS1_7vsmem_tEENKUlT_SK_SL_SM_E_clIPsSE_SF_SF_EESJ_SZ_SK_SL_SM_EUlSZ_E_NS1_11comp_targetILNS1_3genE10ELNS1_11target_archE1201ELNS1_3gpuE5ELNS1_3repE0EEENS1_48merge_mergepath_partition_config_static_selectorELNS0_4arch9wavefront6targetE1EEEvSL_, .Lfunc_end1876-_ZN7rocprim17ROCPRIM_400000_NS6detail17trampoline_kernelINS0_14default_configENS1_38merge_sort_block_merge_config_selectorIsNS0_10empty_typeEEEZZNS1_27merge_sort_block_merge_implIS3_N6thrust23THRUST_200600_302600_NS6detail15normal_iteratorINS9_10device_ptrIsEEEEPS5_jNS1_19radix_merge_compareILb0ELb1EsNS0_19identity_decomposerEEEEE10hipError_tT0_T1_T2_jT3_P12ihipStream_tbPNSt15iterator_traitsISK_E10value_typeEPNSQ_ISL_E10value_typeEPSM_NS1_7vsmem_tEENKUlT_SK_SL_SM_E_clIPsSE_SF_SF_EESJ_SZ_SK_SL_SM_EUlSZ_E_NS1_11comp_targetILNS1_3genE10ELNS1_11target_archE1201ELNS1_3gpuE5ELNS1_3repE0EEENS1_48merge_mergepath_partition_config_static_selectorELNS0_4arch9wavefront6targetE1EEEvSL_
                                        ; -- End function
	.section	.AMDGPU.csdata,"",@progbits
; Kernel info:
; codeLenInByte = 0
; NumSgprs: 6
; NumVgprs: 0
; NumAgprs: 0
; TotalNumVgprs: 0
; ScratchSize: 0
; MemoryBound: 0
; FloatMode: 240
; IeeeMode: 1
; LDSByteSize: 0 bytes/workgroup (compile time only)
; SGPRBlocks: 0
; VGPRBlocks: 0
; NumSGPRsForWavesPerEU: 6
; NumVGPRsForWavesPerEU: 1
; AccumOffset: 4
; Occupancy: 8
; WaveLimiterHint : 0
; COMPUTE_PGM_RSRC2:SCRATCH_EN: 0
; COMPUTE_PGM_RSRC2:USER_SGPR: 2
; COMPUTE_PGM_RSRC2:TRAP_HANDLER: 0
; COMPUTE_PGM_RSRC2:TGID_X_EN: 1
; COMPUTE_PGM_RSRC2:TGID_Y_EN: 0
; COMPUTE_PGM_RSRC2:TGID_Z_EN: 0
; COMPUTE_PGM_RSRC2:TIDIG_COMP_CNT: 0
; COMPUTE_PGM_RSRC3_GFX90A:ACCUM_OFFSET: 0
; COMPUTE_PGM_RSRC3_GFX90A:TG_SPLIT: 0
	.section	.text._ZN7rocprim17ROCPRIM_400000_NS6detail17trampoline_kernelINS0_14default_configENS1_38merge_sort_block_merge_config_selectorIsNS0_10empty_typeEEEZZNS1_27merge_sort_block_merge_implIS3_N6thrust23THRUST_200600_302600_NS6detail15normal_iteratorINS9_10device_ptrIsEEEEPS5_jNS1_19radix_merge_compareILb0ELb1EsNS0_19identity_decomposerEEEEE10hipError_tT0_T1_T2_jT3_P12ihipStream_tbPNSt15iterator_traitsISK_E10value_typeEPNSQ_ISL_E10value_typeEPSM_NS1_7vsmem_tEENKUlT_SK_SL_SM_E_clIPsSE_SF_SF_EESJ_SZ_SK_SL_SM_EUlSZ_E_NS1_11comp_targetILNS1_3genE5ELNS1_11target_archE942ELNS1_3gpuE9ELNS1_3repE0EEENS1_48merge_mergepath_partition_config_static_selectorELNS0_4arch9wavefront6targetE1EEEvSL_,"axG",@progbits,_ZN7rocprim17ROCPRIM_400000_NS6detail17trampoline_kernelINS0_14default_configENS1_38merge_sort_block_merge_config_selectorIsNS0_10empty_typeEEEZZNS1_27merge_sort_block_merge_implIS3_N6thrust23THRUST_200600_302600_NS6detail15normal_iteratorINS9_10device_ptrIsEEEEPS5_jNS1_19radix_merge_compareILb0ELb1EsNS0_19identity_decomposerEEEEE10hipError_tT0_T1_T2_jT3_P12ihipStream_tbPNSt15iterator_traitsISK_E10value_typeEPNSQ_ISL_E10value_typeEPSM_NS1_7vsmem_tEENKUlT_SK_SL_SM_E_clIPsSE_SF_SF_EESJ_SZ_SK_SL_SM_EUlSZ_E_NS1_11comp_targetILNS1_3genE5ELNS1_11target_archE942ELNS1_3gpuE9ELNS1_3repE0EEENS1_48merge_mergepath_partition_config_static_selectorELNS0_4arch9wavefront6targetE1EEEvSL_,comdat
	.protected	_ZN7rocprim17ROCPRIM_400000_NS6detail17trampoline_kernelINS0_14default_configENS1_38merge_sort_block_merge_config_selectorIsNS0_10empty_typeEEEZZNS1_27merge_sort_block_merge_implIS3_N6thrust23THRUST_200600_302600_NS6detail15normal_iteratorINS9_10device_ptrIsEEEEPS5_jNS1_19radix_merge_compareILb0ELb1EsNS0_19identity_decomposerEEEEE10hipError_tT0_T1_T2_jT3_P12ihipStream_tbPNSt15iterator_traitsISK_E10value_typeEPNSQ_ISL_E10value_typeEPSM_NS1_7vsmem_tEENKUlT_SK_SL_SM_E_clIPsSE_SF_SF_EESJ_SZ_SK_SL_SM_EUlSZ_E_NS1_11comp_targetILNS1_3genE5ELNS1_11target_archE942ELNS1_3gpuE9ELNS1_3repE0EEENS1_48merge_mergepath_partition_config_static_selectorELNS0_4arch9wavefront6targetE1EEEvSL_ ; -- Begin function _ZN7rocprim17ROCPRIM_400000_NS6detail17trampoline_kernelINS0_14default_configENS1_38merge_sort_block_merge_config_selectorIsNS0_10empty_typeEEEZZNS1_27merge_sort_block_merge_implIS3_N6thrust23THRUST_200600_302600_NS6detail15normal_iteratorINS9_10device_ptrIsEEEEPS5_jNS1_19radix_merge_compareILb0ELb1EsNS0_19identity_decomposerEEEEE10hipError_tT0_T1_T2_jT3_P12ihipStream_tbPNSt15iterator_traitsISK_E10value_typeEPNSQ_ISL_E10value_typeEPSM_NS1_7vsmem_tEENKUlT_SK_SL_SM_E_clIPsSE_SF_SF_EESJ_SZ_SK_SL_SM_EUlSZ_E_NS1_11comp_targetILNS1_3genE5ELNS1_11target_archE942ELNS1_3gpuE9ELNS1_3repE0EEENS1_48merge_mergepath_partition_config_static_selectorELNS0_4arch9wavefront6targetE1EEEvSL_
	.globl	_ZN7rocprim17ROCPRIM_400000_NS6detail17trampoline_kernelINS0_14default_configENS1_38merge_sort_block_merge_config_selectorIsNS0_10empty_typeEEEZZNS1_27merge_sort_block_merge_implIS3_N6thrust23THRUST_200600_302600_NS6detail15normal_iteratorINS9_10device_ptrIsEEEEPS5_jNS1_19radix_merge_compareILb0ELb1EsNS0_19identity_decomposerEEEEE10hipError_tT0_T1_T2_jT3_P12ihipStream_tbPNSt15iterator_traitsISK_E10value_typeEPNSQ_ISL_E10value_typeEPSM_NS1_7vsmem_tEENKUlT_SK_SL_SM_E_clIPsSE_SF_SF_EESJ_SZ_SK_SL_SM_EUlSZ_E_NS1_11comp_targetILNS1_3genE5ELNS1_11target_archE942ELNS1_3gpuE9ELNS1_3repE0EEENS1_48merge_mergepath_partition_config_static_selectorELNS0_4arch9wavefront6targetE1EEEvSL_
	.p2align	8
	.type	_ZN7rocprim17ROCPRIM_400000_NS6detail17trampoline_kernelINS0_14default_configENS1_38merge_sort_block_merge_config_selectorIsNS0_10empty_typeEEEZZNS1_27merge_sort_block_merge_implIS3_N6thrust23THRUST_200600_302600_NS6detail15normal_iteratorINS9_10device_ptrIsEEEEPS5_jNS1_19radix_merge_compareILb0ELb1EsNS0_19identity_decomposerEEEEE10hipError_tT0_T1_T2_jT3_P12ihipStream_tbPNSt15iterator_traitsISK_E10value_typeEPNSQ_ISL_E10value_typeEPSM_NS1_7vsmem_tEENKUlT_SK_SL_SM_E_clIPsSE_SF_SF_EESJ_SZ_SK_SL_SM_EUlSZ_E_NS1_11comp_targetILNS1_3genE5ELNS1_11target_archE942ELNS1_3gpuE9ELNS1_3repE0EEENS1_48merge_mergepath_partition_config_static_selectorELNS0_4arch9wavefront6targetE1EEEvSL_,@function
_ZN7rocprim17ROCPRIM_400000_NS6detail17trampoline_kernelINS0_14default_configENS1_38merge_sort_block_merge_config_selectorIsNS0_10empty_typeEEEZZNS1_27merge_sort_block_merge_implIS3_N6thrust23THRUST_200600_302600_NS6detail15normal_iteratorINS9_10device_ptrIsEEEEPS5_jNS1_19radix_merge_compareILb0ELb1EsNS0_19identity_decomposerEEEEE10hipError_tT0_T1_T2_jT3_P12ihipStream_tbPNSt15iterator_traitsISK_E10value_typeEPNSQ_ISL_E10value_typeEPSM_NS1_7vsmem_tEENKUlT_SK_SL_SM_E_clIPsSE_SF_SF_EESJ_SZ_SK_SL_SM_EUlSZ_E_NS1_11comp_targetILNS1_3genE5ELNS1_11target_archE942ELNS1_3gpuE9ELNS1_3repE0EEENS1_48merge_mergepath_partition_config_static_selectorELNS0_4arch9wavefront6targetE1EEEvSL_: ; @_ZN7rocprim17ROCPRIM_400000_NS6detail17trampoline_kernelINS0_14default_configENS1_38merge_sort_block_merge_config_selectorIsNS0_10empty_typeEEEZZNS1_27merge_sort_block_merge_implIS3_N6thrust23THRUST_200600_302600_NS6detail15normal_iteratorINS9_10device_ptrIsEEEEPS5_jNS1_19radix_merge_compareILb0ELb1EsNS0_19identity_decomposerEEEEE10hipError_tT0_T1_T2_jT3_P12ihipStream_tbPNSt15iterator_traitsISK_E10value_typeEPNSQ_ISL_E10value_typeEPSM_NS1_7vsmem_tEENKUlT_SK_SL_SM_E_clIPsSE_SF_SF_EESJ_SZ_SK_SL_SM_EUlSZ_E_NS1_11comp_targetILNS1_3genE5ELNS1_11target_archE942ELNS1_3gpuE9ELNS1_3repE0EEENS1_48merge_mergepath_partition_config_static_selectorELNS0_4arch9wavefront6targetE1EEEvSL_
; %bb.0:
	s_load_dword s3, s[0:1], 0x0
	v_lshl_or_b32 v0, s2, 7, v0
	s_waitcnt lgkmcnt(0)
	v_cmp_gt_u32_e32 vcc, s3, v0
	s_and_saveexec_b64 s[2:3], vcc
	s_cbranch_execz .LBB1877_6
; %bb.1:
	s_load_dwordx2 s[4:5], s[0:1], 0x4
	s_load_dwordx2 s[2:3], s[0:1], 0x20
	s_waitcnt lgkmcnt(0)
	s_lshr_b32 s6, s4, 9
	s_and_b32 s6, s6, 0x7ffffe
	s_add_i32 s7, s6, -1
	s_sub_i32 s6, 0, s6
	v_and_b32_e32 v1, s6, v0
	v_lshlrev_b32_e32 v1, 10, v1
	v_min_u32_e32 v2, s5, v1
	v_add_u32_e32 v1, s4, v1
	v_min_u32_e32 v4, s5, v1
	v_add_u32_e32 v1, s4, v4
	v_and_b32_e32 v3, s7, v0
	v_min_u32_e32 v1, s5, v1
	v_sub_u32_e32 v5, v1, v2
	v_lshlrev_b32_e32 v3, 10, v3
	v_min_u32_e32 v10, v5, v3
	v_sub_u32_e32 v3, v4, v2
	v_sub_u32_e32 v1, v1, v4
	v_sub_u32_e64 v1, v10, v1 clamp
	v_min_u32_e32 v11, v10, v3
	v_cmp_lt_u32_e32 vcc, v1, v11
	s_and_saveexec_b64 s[4:5], vcc
	s_cbranch_execz .LBB1877_5
; %bb.2:
	s_load_dwordx2 s[8:9], s[0:1], 0x10
	s_load_dword s6, s[0:1], 0x18
	v_mov_b32_e32 v5, 0
	v_mov_b32_e32 v3, v5
	s_mov_b64 s[0:1], 0
	s_waitcnt lgkmcnt(0)
	v_lshl_add_u64 v[6:7], v[2:3], 1, s[8:9]
	v_lshl_add_u64 v[8:9], v[4:5], 1, s[8:9]
.LBB1877_3:                             ; =>This Inner Loop Header: Depth=1
	v_add_u32_e32 v3, v11, v1
	v_lshrrev_b32_e32 v16, 1, v3
	v_and_b32_e32 v4, -2, v3
	v_mov_b32_e32 v13, v5
	v_xad_u32 v12, v16, -1, v10
	v_lshl_add_u64 v[14:15], v[6:7], 0, v[4:5]
	v_lshl_add_u64 v[12:13], v[12:13], 1, v[8:9]
	global_load_ushort v3, v[14:15], off
	global_load_ushort v4, v[12:13], off
	v_add_u32_e32 v12, 1, v16
	s_waitcnt vmcnt(1)
	v_and_b32_e32 v3, s6, v3
	s_waitcnt vmcnt(0)
	v_and_b32_e32 v4, s6, v4
	v_cmp_gt_i16_e32 vcc, v3, v4
	s_nop 1
	v_cndmask_b32_e32 v11, v11, v16, vcc
	v_cndmask_b32_e32 v1, v12, v1, vcc
	v_cmp_ge_u32_e32 vcc, v1, v11
	s_or_b64 s[0:1], vcc, s[0:1]
	s_andn2_b64 exec, exec, s[0:1]
	s_cbranch_execnz .LBB1877_3
; %bb.4:
	s_or_b64 exec, exec, s[0:1]
.LBB1877_5:
	s_or_b64 exec, exec, s[4:5]
	v_add_u32_e32 v2, v1, v2
	v_mov_b32_e32 v1, 0
	v_lshl_add_u64 v[0:1], v[0:1], 2, s[2:3]
	global_store_dword v[0:1], v2, off
.LBB1877_6:
	s_endpgm
	.section	.rodata,"a",@progbits
	.p2align	6, 0x0
	.amdhsa_kernel _ZN7rocprim17ROCPRIM_400000_NS6detail17trampoline_kernelINS0_14default_configENS1_38merge_sort_block_merge_config_selectorIsNS0_10empty_typeEEEZZNS1_27merge_sort_block_merge_implIS3_N6thrust23THRUST_200600_302600_NS6detail15normal_iteratorINS9_10device_ptrIsEEEEPS5_jNS1_19radix_merge_compareILb0ELb1EsNS0_19identity_decomposerEEEEE10hipError_tT0_T1_T2_jT3_P12ihipStream_tbPNSt15iterator_traitsISK_E10value_typeEPNSQ_ISL_E10value_typeEPSM_NS1_7vsmem_tEENKUlT_SK_SL_SM_E_clIPsSE_SF_SF_EESJ_SZ_SK_SL_SM_EUlSZ_E_NS1_11comp_targetILNS1_3genE5ELNS1_11target_archE942ELNS1_3gpuE9ELNS1_3repE0EEENS1_48merge_mergepath_partition_config_static_selectorELNS0_4arch9wavefront6targetE1EEEvSL_
		.amdhsa_group_segment_fixed_size 0
		.amdhsa_private_segment_fixed_size 0
		.amdhsa_kernarg_size 40
		.amdhsa_user_sgpr_count 2
		.amdhsa_user_sgpr_dispatch_ptr 0
		.amdhsa_user_sgpr_queue_ptr 0
		.amdhsa_user_sgpr_kernarg_segment_ptr 1
		.amdhsa_user_sgpr_dispatch_id 0
		.amdhsa_user_sgpr_kernarg_preload_length 0
		.amdhsa_user_sgpr_kernarg_preload_offset 0
		.amdhsa_user_sgpr_private_segment_size 0
		.amdhsa_uses_dynamic_stack 0
		.amdhsa_enable_private_segment 0
		.amdhsa_system_sgpr_workgroup_id_x 1
		.amdhsa_system_sgpr_workgroup_id_y 0
		.amdhsa_system_sgpr_workgroup_id_z 0
		.amdhsa_system_sgpr_workgroup_info 0
		.amdhsa_system_vgpr_workitem_id 0
		.amdhsa_next_free_vgpr 17
		.amdhsa_next_free_sgpr 10
		.amdhsa_accum_offset 20
		.amdhsa_reserve_vcc 1
		.amdhsa_float_round_mode_32 0
		.amdhsa_float_round_mode_16_64 0
		.amdhsa_float_denorm_mode_32 3
		.amdhsa_float_denorm_mode_16_64 3
		.amdhsa_dx10_clamp 1
		.amdhsa_ieee_mode 1
		.amdhsa_fp16_overflow 0
		.amdhsa_tg_split 0
		.amdhsa_exception_fp_ieee_invalid_op 0
		.amdhsa_exception_fp_denorm_src 0
		.amdhsa_exception_fp_ieee_div_zero 0
		.amdhsa_exception_fp_ieee_overflow 0
		.amdhsa_exception_fp_ieee_underflow 0
		.amdhsa_exception_fp_ieee_inexact 0
		.amdhsa_exception_int_div_zero 0
	.end_amdhsa_kernel
	.section	.text._ZN7rocprim17ROCPRIM_400000_NS6detail17trampoline_kernelINS0_14default_configENS1_38merge_sort_block_merge_config_selectorIsNS0_10empty_typeEEEZZNS1_27merge_sort_block_merge_implIS3_N6thrust23THRUST_200600_302600_NS6detail15normal_iteratorINS9_10device_ptrIsEEEEPS5_jNS1_19radix_merge_compareILb0ELb1EsNS0_19identity_decomposerEEEEE10hipError_tT0_T1_T2_jT3_P12ihipStream_tbPNSt15iterator_traitsISK_E10value_typeEPNSQ_ISL_E10value_typeEPSM_NS1_7vsmem_tEENKUlT_SK_SL_SM_E_clIPsSE_SF_SF_EESJ_SZ_SK_SL_SM_EUlSZ_E_NS1_11comp_targetILNS1_3genE5ELNS1_11target_archE942ELNS1_3gpuE9ELNS1_3repE0EEENS1_48merge_mergepath_partition_config_static_selectorELNS0_4arch9wavefront6targetE1EEEvSL_,"axG",@progbits,_ZN7rocprim17ROCPRIM_400000_NS6detail17trampoline_kernelINS0_14default_configENS1_38merge_sort_block_merge_config_selectorIsNS0_10empty_typeEEEZZNS1_27merge_sort_block_merge_implIS3_N6thrust23THRUST_200600_302600_NS6detail15normal_iteratorINS9_10device_ptrIsEEEEPS5_jNS1_19radix_merge_compareILb0ELb1EsNS0_19identity_decomposerEEEEE10hipError_tT0_T1_T2_jT3_P12ihipStream_tbPNSt15iterator_traitsISK_E10value_typeEPNSQ_ISL_E10value_typeEPSM_NS1_7vsmem_tEENKUlT_SK_SL_SM_E_clIPsSE_SF_SF_EESJ_SZ_SK_SL_SM_EUlSZ_E_NS1_11comp_targetILNS1_3genE5ELNS1_11target_archE942ELNS1_3gpuE9ELNS1_3repE0EEENS1_48merge_mergepath_partition_config_static_selectorELNS0_4arch9wavefront6targetE1EEEvSL_,comdat
.Lfunc_end1877:
	.size	_ZN7rocprim17ROCPRIM_400000_NS6detail17trampoline_kernelINS0_14default_configENS1_38merge_sort_block_merge_config_selectorIsNS0_10empty_typeEEEZZNS1_27merge_sort_block_merge_implIS3_N6thrust23THRUST_200600_302600_NS6detail15normal_iteratorINS9_10device_ptrIsEEEEPS5_jNS1_19radix_merge_compareILb0ELb1EsNS0_19identity_decomposerEEEEE10hipError_tT0_T1_T2_jT3_P12ihipStream_tbPNSt15iterator_traitsISK_E10value_typeEPNSQ_ISL_E10value_typeEPSM_NS1_7vsmem_tEENKUlT_SK_SL_SM_E_clIPsSE_SF_SF_EESJ_SZ_SK_SL_SM_EUlSZ_E_NS1_11comp_targetILNS1_3genE5ELNS1_11target_archE942ELNS1_3gpuE9ELNS1_3repE0EEENS1_48merge_mergepath_partition_config_static_selectorELNS0_4arch9wavefront6targetE1EEEvSL_, .Lfunc_end1877-_ZN7rocprim17ROCPRIM_400000_NS6detail17trampoline_kernelINS0_14default_configENS1_38merge_sort_block_merge_config_selectorIsNS0_10empty_typeEEEZZNS1_27merge_sort_block_merge_implIS3_N6thrust23THRUST_200600_302600_NS6detail15normal_iteratorINS9_10device_ptrIsEEEEPS5_jNS1_19radix_merge_compareILb0ELb1EsNS0_19identity_decomposerEEEEE10hipError_tT0_T1_T2_jT3_P12ihipStream_tbPNSt15iterator_traitsISK_E10value_typeEPNSQ_ISL_E10value_typeEPSM_NS1_7vsmem_tEENKUlT_SK_SL_SM_E_clIPsSE_SF_SF_EESJ_SZ_SK_SL_SM_EUlSZ_E_NS1_11comp_targetILNS1_3genE5ELNS1_11target_archE942ELNS1_3gpuE9ELNS1_3repE0EEENS1_48merge_mergepath_partition_config_static_selectorELNS0_4arch9wavefront6targetE1EEEvSL_
                                        ; -- End function
	.section	.AMDGPU.csdata,"",@progbits
; Kernel info:
; codeLenInByte = 340
; NumSgprs: 16
; NumVgprs: 17
; NumAgprs: 0
; TotalNumVgprs: 17
; ScratchSize: 0
; MemoryBound: 0
; FloatMode: 240
; IeeeMode: 1
; LDSByteSize: 0 bytes/workgroup (compile time only)
; SGPRBlocks: 1
; VGPRBlocks: 2
; NumSGPRsForWavesPerEU: 16
; NumVGPRsForWavesPerEU: 17
; AccumOffset: 20
; Occupancy: 8
; WaveLimiterHint : 0
; COMPUTE_PGM_RSRC2:SCRATCH_EN: 0
; COMPUTE_PGM_RSRC2:USER_SGPR: 2
; COMPUTE_PGM_RSRC2:TRAP_HANDLER: 0
; COMPUTE_PGM_RSRC2:TGID_X_EN: 1
; COMPUTE_PGM_RSRC2:TGID_Y_EN: 0
; COMPUTE_PGM_RSRC2:TGID_Z_EN: 0
; COMPUTE_PGM_RSRC2:TIDIG_COMP_CNT: 0
; COMPUTE_PGM_RSRC3_GFX90A:ACCUM_OFFSET: 4
; COMPUTE_PGM_RSRC3_GFX90A:TG_SPLIT: 0
	.section	.text._ZN7rocprim17ROCPRIM_400000_NS6detail17trampoline_kernelINS0_14default_configENS1_38merge_sort_block_merge_config_selectorIsNS0_10empty_typeEEEZZNS1_27merge_sort_block_merge_implIS3_N6thrust23THRUST_200600_302600_NS6detail15normal_iteratorINS9_10device_ptrIsEEEEPS5_jNS1_19radix_merge_compareILb0ELb1EsNS0_19identity_decomposerEEEEE10hipError_tT0_T1_T2_jT3_P12ihipStream_tbPNSt15iterator_traitsISK_E10value_typeEPNSQ_ISL_E10value_typeEPSM_NS1_7vsmem_tEENKUlT_SK_SL_SM_E_clIPsSE_SF_SF_EESJ_SZ_SK_SL_SM_EUlSZ_E_NS1_11comp_targetILNS1_3genE4ELNS1_11target_archE910ELNS1_3gpuE8ELNS1_3repE0EEENS1_48merge_mergepath_partition_config_static_selectorELNS0_4arch9wavefront6targetE1EEEvSL_,"axG",@progbits,_ZN7rocprim17ROCPRIM_400000_NS6detail17trampoline_kernelINS0_14default_configENS1_38merge_sort_block_merge_config_selectorIsNS0_10empty_typeEEEZZNS1_27merge_sort_block_merge_implIS3_N6thrust23THRUST_200600_302600_NS6detail15normal_iteratorINS9_10device_ptrIsEEEEPS5_jNS1_19radix_merge_compareILb0ELb1EsNS0_19identity_decomposerEEEEE10hipError_tT0_T1_T2_jT3_P12ihipStream_tbPNSt15iterator_traitsISK_E10value_typeEPNSQ_ISL_E10value_typeEPSM_NS1_7vsmem_tEENKUlT_SK_SL_SM_E_clIPsSE_SF_SF_EESJ_SZ_SK_SL_SM_EUlSZ_E_NS1_11comp_targetILNS1_3genE4ELNS1_11target_archE910ELNS1_3gpuE8ELNS1_3repE0EEENS1_48merge_mergepath_partition_config_static_selectorELNS0_4arch9wavefront6targetE1EEEvSL_,comdat
	.protected	_ZN7rocprim17ROCPRIM_400000_NS6detail17trampoline_kernelINS0_14default_configENS1_38merge_sort_block_merge_config_selectorIsNS0_10empty_typeEEEZZNS1_27merge_sort_block_merge_implIS3_N6thrust23THRUST_200600_302600_NS6detail15normal_iteratorINS9_10device_ptrIsEEEEPS5_jNS1_19radix_merge_compareILb0ELb1EsNS0_19identity_decomposerEEEEE10hipError_tT0_T1_T2_jT3_P12ihipStream_tbPNSt15iterator_traitsISK_E10value_typeEPNSQ_ISL_E10value_typeEPSM_NS1_7vsmem_tEENKUlT_SK_SL_SM_E_clIPsSE_SF_SF_EESJ_SZ_SK_SL_SM_EUlSZ_E_NS1_11comp_targetILNS1_3genE4ELNS1_11target_archE910ELNS1_3gpuE8ELNS1_3repE0EEENS1_48merge_mergepath_partition_config_static_selectorELNS0_4arch9wavefront6targetE1EEEvSL_ ; -- Begin function _ZN7rocprim17ROCPRIM_400000_NS6detail17trampoline_kernelINS0_14default_configENS1_38merge_sort_block_merge_config_selectorIsNS0_10empty_typeEEEZZNS1_27merge_sort_block_merge_implIS3_N6thrust23THRUST_200600_302600_NS6detail15normal_iteratorINS9_10device_ptrIsEEEEPS5_jNS1_19radix_merge_compareILb0ELb1EsNS0_19identity_decomposerEEEEE10hipError_tT0_T1_T2_jT3_P12ihipStream_tbPNSt15iterator_traitsISK_E10value_typeEPNSQ_ISL_E10value_typeEPSM_NS1_7vsmem_tEENKUlT_SK_SL_SM_E_clIPsSE_SF_SF_EESJ_SZ_SK_SL_SM_EUlSZ_E_NS1_11comp_targetILNS1_3genE4ELNS1_11target_archE910ELNS1_3gpuE8ELNS1_3repE0EEENS1_48merge_mergepath_partition_config_static_selectorELNS0_4arch9wavefront6targetE1EEEvSL_
	.globl	_ZN7rocprim17ROCPRIM_400000_NS6detail17trampoline_kernelINS0_14default_configENS1_38merge_sort_block_merge_config_selectorIsNS0_10empty_typeEEEZZNS1_27merge_sort_block_merge_implIS3_N6thrust23THRUST_200600_302600_NS6detail15normal_iteratorINS9_10device_ptrIsEEEEPS5_jNS1_19radix_merge_compareILb0ELb1EsNS0_19identity_decomposerEEEEE10hipError_tT0_T1_T2_jT3_P12ihipStream_tbPNSt15iterator_traitsISK_E10value_typeEPNSQ_ISL_E10value_typeEPSM_NS1_7vsmem_tEENKUlT_SK_SL_SM_E_clIPsSE_SF_SF_EESJ_SZ_SK_SL_SM_EUlSZ_E_NS1_11comp_targetILNS1_3genE4ELNS1_11target_archE910ELNS1_3gpuE8ELNS1_3repE0EEENS1_48merge_mergepath_partition_config_static_selectorELNS0_4arch9wavefront6targetE1EEEvSL_
	.p2align	8
	.type	_ZN7rocprim17ROCPRIM_400000_NS6detail17trampoline_kernelINS0_14default_configENS1_38merge_sort_block_merge_config_selectorIsNS0_10empty_typeEEEZZNS1_27merge_sort_block_merge_implIS3_N6thrust23THRUST_200600_302600_NS6detail15normal_iteratorINS9_10device_ptrIsEEEEPS5_jNS1_19radix_merge_compareILb0ELb1EsNS0_19identity_decomposerEEEEE10hipError_tT0_T1_T2_jT3_P12ihipStream_tbPNSt15iterator_traitsISK_E10value_typeEPNSQ_ISL_E10value_typeEPSM_NS1_7vsmem_tEENKUlT_SK_SL_SM_E_clIPsSE_SF_SF_EESJ_SZ_SK_SL_SM_EUlSZ_E_NS1_11comp_targetILNS1_3genE4ELNS1_11target_archE910ELNS1_3gpuE8ELNS1_3repE0EEENS1_48merge_mergepath_partition_config_static_selectorELNS0_4arch9wavefront6targetE1EEEvSL_,@function
_ZN7rocprim17ROCPRIM_400000_NS6detail17trampoline_kernelINS0_14default_configENS1_38merge_sort_block_merge_config_selectorIsNS0_10empty_typeEEEZZNS1_27merge_sort_block_merge_implIS3_N6thrust23THRUST_200600_302600_NS6detail15normal_iteratorINS9_10device_ptrIsEEEEPS5_jNS1_19radix_merge_compareILb0ELb1EsNS0_19identity_decomposerEEEEE10hipError_tT0_T1_T2_jT3_P12ihipStream_tbPNSt15iterator_traitsISK_E10value_typeEPNSQ_ISL_E10value_typeEPSM_NS1_7vsmem_tEENKUlT_SK_SL_SM_E_clIPsSE_SF_SF_EESJ_SZ_SK_SL_SM_EUlSZ_E_NS1_11comp_targetILNS1_3genE4ELNS1_11target_archE910ELNS1_3gpuE8ELNS1_3repE0EEENS1_48merge_mergepath_partition_config_static_selectorELNS0_4arch9wavefront6targetE1EEEvSL_: ; @_ZN7rocprim17ROCPRIM_400000_NS6detail17trampoline_kernelINS0_14default_configENS1_38merge_sort_block_merge_config_selectorIsNS0_10empty_typeEEEZZNS1_27merge_sort_block_merge_implIS3_N6thrust23THRUST_200600_302600_NS6detail15normal_iteratorINS9_10device_ptrIsEEEEPS5_jNS1_19radix_merge_compareILb0ELb1EsNS0_19identity_decomposerEEEEE10hipError_tT0_T1_T2_jT3_P12ihipStream_tbPNSt15iterator_traitsISK_E10value_typeEPNSQ_ISL_E10value_typeEPSM_NS1_7vsmem_tEENKUlT_SK_SL_SM_E_clIPsSE_SF_SF_EESJ_SZ_SK_SL_SM_EUlSZ_E_NS1_11comp_targetILNS1_3genE4ELNS1_11target_archE910ELNS1_3gpuE8ELNS1_3repE0EEENS1_48merge_mergepath_partition_config_static_selectorELNS0_4arch9wavefront6targetE1EEEvSL_
; %bb.0:
	.section	.rodata,"a",@progbits
	.p2align	6, 0x0
	.amdhsa_kernel _ZN7rocprim17ROCPRIM_400000_NS6detail17trampoline_kernelINS0_14default_configENS1_38merge_sort_block_merge_config_selectorIsNS0_10empty_typeEEEZZNS1_27merge_sort_block_merge_implIS3_N6thrust23THRUST_200600_302600_NS6detail15normal_iteratorINS9_10device_ptrIsEEEEPS5_jNS1_19radix_merge_compareILb0ELb1EsNS0_19identity_decomposerEEEEE10hipError_tT0_T1_T2_jT3_P12ihipStream_tbPNSt15iterator_traitsISK_E10value_typeEPNSQ_ISL_E10value_typeEPSM_NS1_7vsmem_tEENKUlT_SK_SL_SM_E_clIPsSE_SF_SF_EESJ_SZ_SK_SL_SM_EUlSZ_E_NS1_11comp_targetILNS1_3genE4ELNS1_11target_archE910ELNS1_3gpuE8ELNS1_3repE0EEENS1_48merge_mergepath_partition_config_static_selectorELNS0_4arch9wavefront6targetE1EEEvSL_
		.amdhsa_group_segment_fixed_size 0
		.amdhsa_private_segment_fixed_size 0
		.amdhsa_kernarg_size 40
		.amdhsa_user_sgpr_count 2
		.amdhsa_user_sgpr_dispatch_ptr 0
		.amdhsa_user_sgpr_queue_ptr 0
		.amdhsa_user_sgpr_kernarg_segment_ptr 1
		.amdhsa_user_sgpr_dispatch_id 0
		.amdhsa_user_sgpr_kernarg_preload_length 0
		.amdhsa_user_sgpr_kernarg_preload_offset 0
		.amdhsa_user_sgpr_private_segment_size 0
		.amdhsa_uses_dynamic_stack 0
		.amdhsa_enable_private_segment 0
		.amdhsa_system_sgpr_workgroup_id_x 1
		.amdhsa_system_sgpr_workgroup_id_y 0
		.amdhsa_system_sgpr_workgroup_id_z 0
		.amdhsa_system_sgpr_workgroup_info 0
		.amdhsa_system_vgpr_workitem_id 0
		.amdhsa_next_free_vgpr 1
		.amdhsa_next_free_sgpr 0
		.amdhsa_accum_offset 4
		.amdhsa_reserve_vcc 0
		.amdhsa_float_round_mode_32 0
		.amdhsa_float_round_mode_16_64 0
		.amdhsa_float_denorm_mode_32 3
		.amdhsa_float_denorm_mode_16_64 3
		.amdhsa_dx10_clamp 1
		.amdhsa_ieee_mode 1
		.amdhsa_fp16_overflow 0
		.amdhsa_tg_split 0
		.amdhsa_exception_fp_ieee_invalid_op 0
		.amdhsa_exception_fp_denorm_src 0
		.amdhsa_exception_fp_ieee_div_zero 0
		.amdhsa_exception_fp_ieee_overflow 0
		.amdhsa_exception_fp_ieee_underflow 0
		.amdhsa_exception_fp_ieee_inexact 0
		.amdhsa_exception_int_div_zero 0
	.end_amdhsa_kernel
	.section	.text._ZN7rocprim17ROCPRIM_400000_NS6detail17trampoline_kernelINS0_14default_configENS1_38merge_sort_block_merge_config_selectorIsNS0_10empty_typeEEEZZNS1_27merge_sort_block_merge_implIS3_N6thrust23THRUST_200600_302600_NS6detail15normal_iteratorINS9_10device_ptrIsEEEEPS5_jNS1_19radix_merge_compareILb0ELb1EsNS0_19identity_decomposerEEEEE10hipError_tT0_T1_T2_jT3_P12ihipStream_tbPNSt15iterator_traitsISK_E10value_typeEPNSQ_ISL_E10value_typeEPSM_NS1_7vsmem_tEENKUlT_SK_SL_SM_E_clIPsSE_SF_SF_EESJ_SZ_SK_SL_SM_EUlSZ_E_NS1_11comp_targetILNS1_3genE4ELNS1_11target_archE910ELNS1_3gpuE8ELNS1_3repE0EEENS1_48merge_mergepath_partition_config_static_selectorELNS0_4arch9wavefront6targetE1EEEvSL_,"axG",@progbits,_ZN7rocprim17ROCPRIM_400000_NS6detail17trampoline_kernelINS0_14default_configENS1_38merge_sort_block_merge_config_selectorIsNS0_10empty_typeEEEZZNS1_27merge_sort_block_merge_implIS3_N6thrust23THRUST_200600_302600_NS6detail15normal_iteratorINS9_10device_ptrIsEEEEPS5_jNS1_19radix_merge_compareILb0ELb1EsNS0_19identity_decomposerEEEEE10hipError_tT0_T1_T2_jT3_P12ihipStream_tbPNSt15iterator_traitsISK_E10value_typeEPNSQ_ISL_E10value_typeEPSM_NS1_7vsmem_tEENKUlT_SK_SL_SM_E_clIPsSE_SF_SF_EESJ_SZ_SK_SL_SM_EUlSZ_E_NS1_11comp_targetILNS1_3genE4ELNS1_11target_archE910ELNS1_3gpuE8ELNS1_3repE0EEENS1_48merge_mergepath_partition_config_static_selectorELNS0_4arch9wavefront6targetE1EEEvSL_,comdat
.Lfunc_end1878:
	.size	_ZN7rocprim17ROCPRIM_400000_NS6detail17trampoline_kernelINS0_14default_configENS1_38merge_sort_block_merge_config_selectorIsNS0_10empty_typeEEEZZNS1_27merge_sort_block_merge_implIS3_N6thrust23THRUST_200600_302600_NS6detail15normal_iteratorINS9_10device_ptrIsEEEEPS5_jNS1_19radix_merge_compareILb0ELb1EsNS0_19identity_decomposerEEEEE10hipError_tT0_T1_T2_jT3_P12ihipStream_tbPNSt15iterator_traitsISK_E10value_typeEPNSQ_ISL_E10value_typeEPSM_NS1_7vsmem_tEENKUlT_SK_SL_SM_E_clIPsSE_SF_SF_EESJ_SZ_SK_SL_SM_EUlSZ_E_NS1_11comp_targetILNS1_3genE4ELNS1_11target_archE910ELNS1_3gpuE8ELNS1_3repE0EEENS1_48merge_mergepath_partition_config_static_selectorELNS0_4arch9wavefront6targetE1EEEvSL_, .Lfunc_end1878-_ZN7rocprim17ROCPRIM_400000_NS6detail17trampoline_kernelINS0_14default_configENS1_38merge_sort_block_merge_config_selectorIsNS0_10empty_typeEEEZZNS1_27merge_sort_block_merge_implIS3_N6thrust23THRUST_200600_302600_NS6detail15normal_iteratorINS9_10device_ptrIsEEEEPS5_jNS1_19radix_merge_compareILb0ELb1EsNS0_19identity_decomposerEEEEE10hipError_tT0_T1_T2_jT3_P12ihipStream_tbPNSt15iterator_traitsISK_E10value_typeEPNSQ_ISL_E10value_typeEPSM_NS1_7vsmem_tEENKUlT_SK_SL_SM_E_clIPsSE_SF_SF_EESJ_SZ_SK_SL_SM_EUlSZ_E_NS1_11comp_targetILNS1_3genE4ELNS1_11target_archE910ELNS1_3gpuE8ELNS1_3repE0EEENS1_48merge_mergepath_partition_config_static_selectorELNS0_4arch9wavefront6targetE1EEEvSL_
                                        ; -- End function
	.section	.AMDGPU.csdata,"",@progbits
; Kernel info:
; codeLenInByte = 0
; NumSgprs: 6
; NumVgprs: 0
; NumAgprs: 0
; TotalNumVgprs: 0
; ScratchSize: 0
; MemoryBound: 0
; FloatMode: 240
; IeeeMode: 1
; LDSByteSize: 0 bytes/workgroup (compile time only)
; SGPRBlocks: 0
; VGPRBlocks: 0
; NumSGPRsForWavesPerEU: 6
; NumVGPRsForWavesPerEU: 1
; AccumOffset: 4
; Occupancy: 8
; WaveLimiterHint : 0
; COMPUTE_PGM_RSRC2:SCRATCH_EN: 0
; COMPUTE_PGM_RSRC2:USER_SGPR: 2
; COMPUTE_PGM_RSRC2:TRAP_HANDLER: 0
; COMPUTE_PGM_RSRC2:TGID_X_EN: 1
; COMPUTE_PGM_RSRC2:TGID_Y_EN: 0
; COMPUTE_PGM_RSRC2:TGID_Z_EN: 0
; COMPUTE_PGM_RSRC2:TIDIG_COMP_CNT: 0
; COMPUTE_PGM_RSRC3_GFX90A:ACCUM_OFFSET: 0
; COMPUTE_PGM_RSRC3_GFX90A:TG_SPLIT: 0
	.section	.text._ZN7rocprim17ROCPRIM_400000_NS6detail17trampoline_kernelINS0_14default_configENS1_38merge_sort_block_merge_config_selectorIsNS0_10empty_typeEEEZZNS1_27merge_sort_block_merge_implIS3_N6thrust23THRUST_200600_302600_NS6detail15normal_iteratorINS9_10device_ptrIsEEEEPS5_jNS1_19radix_merge_compareILb0ELb1EsNS0_19identity_decomposerEEEEE10hipError_tT0_T1_T2_jT3_P12ihipStream_tbPNSt15iterator_traitsISK_E10value_typeEPNSQ_ISL_E10value_typeEPSM_NS1_7vsmem_tEENKUlT_SK_SL_SM_E_clIPsSE_SF_SF_EESJ_SZ_SK_SL_SM_EUlSZ_E_NS1_11comp_targetILNS1_3genE3ELNS1_11target_archE908ELNS1_3gpuE7ELNS1_3repE0EEENS1_48merge_mergepath_partition_config_static_selectorELNS0_4arch9wavefront6targetE1EEEvSL_,"axG",@progbits,_ZN7rocprim17ROCPRIM_400000_NS6detail17trampoline_kernelINS0_14default_configENS1_38merge_sort_block_merge_config_selectorIsNS0_10empty_typeEEEZZNS1_27merge_sort_block_merge_implIS3_N6thrust23THRUST_200600_302600_NS6detail15normal_iteratorINS9_10device_ptrIsEEEEPS5_jNS1_19radix_merge_compareILb0ELb1EsNS0_19identity_decomposerEEEEE10hipError_tT0_T1_T2_jT3_P12ihipStream_tbPNSt15iterator_traitsISK_E10value_typeEPNSQ_ISL_E10value_typeEPSM_NS1_7vsmem_tEENKUlT_SK_SL_SM_E_clIPsSE_SF_SF_EESJ_SZ_SK_SL_SM_EUlSZ_E_NS1_11comp_targetILNS1_3genE3ELNS1_11target_archE908ELNS1_3gpuE7ELNS1_3repE0EEENS1_48merge_mergepath_partition_config_static_selectorELNS0_4arch9wavefront6targetE1EEEvSL_,comdat
	.protected	_ZN7rocprim17ROCPRIM_400000_NS6detail17trampoline_kernelINS0_14default_configENS1_38merge_sort_block_merge_config_selectorIsNS0_10empty_typeEEEZZNS1_27merge_sort_block_merge_implIS3_N6thrust23THRUST_200600_302600_NS6detail15normal_iteratorINS9_10device_ptrIsEEEEPS5_jNS1_19radix_merge_compareILb0ELb1EsNS0_19identity_decomposerEEEEE10hipError_tT0_T1_T2_jT3_P12ihipStream_tbPNSt15iterator_traitsISK_E10value_typeEPNSQ_ISL_E10value_typeEPSM_NS1_7vsmem_tEENKUlT_SK_SL_SM_E_clIPsSE_SF_SF_EESJ_SZ_SK_SL_SM_EUlSZ_E_NS1_11comp_targetILNS1_3genE3ELNS1_11target_archE908ELNS1_3gpuE7ELNS1_3repE0EEENS1_48merge_mergepath_partition_config_static_selectorELNS0_4arch9wavefront6targetE1EEEvSL_ ; -- Begin function _ZN7rocprim17ROCPRIM_400000_NS6detail17trampoline_kernelINS0_14default_configENS1_38merge_sort_block_merge_config_selectorIsNS0_10empty_typeEEEZZNS1_27merge_sort_block_merge_implIS3_N6thrust23THRUST_200600_302600_NS6detail15normal_iteratorINS9_10device_ptrIsEEEEPS5_jNS1_19radix_merge_compareILb0ELb1EsNS0_19identity_decomposerEEEEE10hipError_tT0_T1_T2_jT3_P12ihipStream_tbPNSt15iterator_traitsISK_E10value_typeEPNSQ_ISL_E10value_typeEPSM_NS1_7vsmem_tEENKUlT_SK_SL_SM_E_clIPsSE_SF_SF_EESJ_SZ_SK_SL_SM_EUlSZ_E_NS1_11comp_targetILNS1_3genE3ELNS1_11target_archE908ELNS1_3gpuE7ELNS1_3repE0EEENS1_48merge_mergepath_partition_config_static_selectorELNS0_4arch9wavefront6targetE1EEEvSL_
	.globl	_ZN7rocprim17ROCPRIM_400000_NS6detail17trampoline_kernelINS0_14default_configENS1_38merge_sort_block_merge_config_selectorIsNS0_10empty_typeEEEZZNS1_27merge_sort_block_merge_implIS3_N6thrust23THRUST_200600_302600_NS6detail15normal_iteratorINS9_10device_ptrIsEEEEPS5_jNS1_19radix_merge_compareILb0ELb1EsNS0_19identity_decomposerEEEEE10hipError_tT0_T1_T2_jT3_P12ihipStream_tbPNSt15iterator_traitsISK_E10value_typeEPNSQ_ISL_E10value_typeEPSM_NS1_7vsmem_tEENKUlT_SK_SL_SM_E_clIPsSE_SF_SF_EESJ_SZ_SK_SL_SM_EUlSZ_E_NS1_11comp_targetILNS1_3genE3ELNS1_11target_archE908ELNS1_3gpuE7ELNS1_3repE0EEENS1_48merge_mergepath_partition_config_static_selectorELNS0_4arch9wavefront6targetE1EEEvSL_
	.p2align	8
	.type	_ZN7rocprim17ROCPRIM_400000_NS6detail17trampoline_kernelINS0_14default_configENS1_38merge_sort_block_merge_config_selectorIsNS0_10empty_typeEEEZZNS1_27merge_sort_block_merge_implIS3_N6thrust23THRUST_200600_302600_NS6detail15normal_iteratorINS9_10device_ptrIsEEEEPS5_jNS1_19radix_merge_compareILb0ELb1EsNS0_19identity_decomposerEEEEE10hipError_tT0_T1_T2_jT3_P12ihipStream_tbPNSt15iterator_traitsISK_E10value_typeEPNSQ_ISL_E10value_typeEPSM_NS1_7vsmem_tEENKUlT_SK_SL_SM_E_clIPsSE_SF_SF_EESJ_SZ_SK_SL_SM_EUlSZ_E_NS1_11comp_targetILNS1_3genE3ELNS1_11target_archE908ELNS1_3gpuE7ELNS1_3repE0EEENS1_48merge_mergepath_partition_config_static_selectorELNS0_4arch9wavefront6targetE1EEEvSL_,@function
_ZN7rocprim17ROCPRIM_400000_NS6detail17trampoline_kernelINS0_14default_configENS1_38merge_sort_block_merge_config_selectorIsNS0_10empty_typeEEEZZNS1_27merge_sort_block_merge_implIS3_N6thrust23THRUST_200600_302600_NS6detail15normal_iteratorINS9_10device_ptrIsEEEEPS5_jNS1_19radix_merge_compareILb0ELb1EsNS0_19identity_decomposerEEEEE10hipError_tT0_T1_T2_jT3_P12ihipStream_tbPNSt15iterator_traitsISK_E10value_typeEPNSQ_ISL_E10value_typeEPSM_NS1_7vsmem_tEENKUlT_SK_SL_SM_E_clIPsSE_SF_SF_EESJ_SZ_SK_SL_SM_EUlSZ_E_NS1_11comp_targetILNS1_3genE3ELNS1_11target_archE908ELNS1_3gpuE7ELNS1_3repE0EEENS1_48merge_mergepath_partition_config_static_selectorELNS0_4arch9wavefront6targetE1EEEvSL_: ; @_ZN7rocprim17ROCPRIM_400000_NS6detail17trampoline_kernelINS0_14default_configENS1_38merge_sort_block_merge_config_selectorIsNS0_10empty_typeEEEZZNS1_27merge_sort_block_merge_implIS3_N6thrust23THRUST_200600_302600_NS6detail15normal_iteratorINS9_10device_ptrIsEEEEPS5_jNS1_19radix_merge_compareILb0ELb1EsNS0_19identity_decomposerEEEEE10hipError_tT0_T1_T2_jT3_P12ihipStream_tbPNSt15iterator_traitsISK_E10value_typeEPNSQ_ISL_E10value_typeEPSM_NS1_7vsmem_tEENKUlT_SK_SL_SM_E_clIPsSE_SF_SF_EESJ_SZ_SK_SL_SM_EUlSZ_E_NS1_11comp_targetILNS1_3genE3ELNS1_11target_archE908ELNS1_3gpuE7ELNS1_3repE0EEENS1_48merge_mergepath_partition_config_static_selectorELNS0_4arch9wavefront6targetE1EEEvSL_
; %bb.0:
	.section	.rodata,"a",@progbits
	.p2align	6, 0x0
	.amdhsa_kernel _ZN7rocprim17ROCPRIM_400000_NS6detail17trampoline_kernelINS0_14default_configENS1_38merge_sort_block_merge_config_selectorIsNS0_10empty_typeEEEZZNS1_27merge_sort_block_merge_implIS3_N6thrust23THRUST_200600_302600_NS6detail15normal_iteratorINS9_10device_ptrIsEEEEPS5_jNS1_19radix_merge_compareILb0ELb1EsNS0_19identity_decomposerEEEEE10hipError_tT0_T1_T2_jT3_P12ihipStream_tbPNSt15iterator_traitsISK_E10value_typeEPNSQ_ISL_E10value_typeEPSM_NS1_7vsmem_tEENKUlT_SK_SL_SM_E_clIPsSE_SF_SF_EESJ_SZ_SK_SL_SM_EUlSZ_E_NS1_11comp_targetILNS1_3genE3ELNS1_11target_archE908ELNS1_3gpuE7ELNS1_3repE0EEENS1_48merge_mergepath_partition_config_static_selectorELNS0_4arch9wavefront6targetE1EEEvSL_
		.amdhsa_group_segment_fixed_size 0
		.amdhsa_private_segment_fixed_size 0
		.amdhsa_kernarg_size 40
		.amdhsa_user_sgpr_count 2
		.amdhsa_user_sgpr_dispatch_ptr 0
		.amdhsa_user_sgpr_queue_ptr 0
		.amdhsa_user_sgpr_kernarg_segment_ptr 1
		.amdhsa_user_sgpr_dispatch_id 0
		.amdhsa_user_sgpr_kernarg_preload_length 0
		.amdhsa_user_sgpr_kernarg_preload_offset 0
		.amdhsa_user_sgpr_private_segment_size 0
		.amdhsa_uses_dynamic_stack 0
		.amdhsa_enable_private_segment 0
		.amdhsa_system_sgpr_workgroup_id_x 1
		.amdhsa_system_sgpr_workgroup_id_y 0
		.amdhsa_system_sgpr_workgroup_id_z 0
		.amdhsa_system_sgpr_workgroup_info 0
		.amdhsa_system_vgpr_workitem_id 0
		.amdhsa_next_free_vgpr 1
		.amdhsa_next_free_sgpr 0
		.amdhsa_accum_offset 4
		.amdhsa_reserve_vcc 0
		.amdhsa_float_round_mode_32 0
		.amdhsa_float_round_mode_16_64 0
		.amdhsa_float_denorm_mode_32 3
		.amdhsa_float_denorm_mode_16_64 3
		.amdhsa_dx10_clamp 1
		.amdhsa_ieee_mode 1
		.amdhsa_fp16_overflow 0
		.amdhsa_tg_split 0
		.amdhsa_exception_fp_ieee_invalid_op 0
		.amdhsa_exception_fp_denorm_src 0
		.amdhsa_exception_fp_ieee_div_zero 0
		.amdhsa_exception_fp_ieee_overflow 0
		.amdhsa_exception_fp_ieee_underflow 0
		.amdhsa_exception_fp_ieee_inexact 0
		.amdhsa_exception_int_div_zero 0
	.end_amdhsa_kernel
	.section	.text._ZN7rocprim17ROCPRIM_400000_NS6detail17trampoline_kernelINS0_14default_configENS1_38merge_sort_block_merge_config_selectorIsNS0_10empty_typeEEEZZNS1_27merge_sort_block_merge_implIS3_N6thrust23THRUST_200600_302600_NS6detail15normal_iteratorINS9_10device_ptrIsEEEEPS5_jNS1_19radix_merge_compareILb0ELb1EsNS0_19identity_decomposerEEEEE10hipError_tT0_T1_T2_jT3_P12ihipStream_tbPNSt15iterator_traitsISK_E10value_typeEPNSQ_ISL_E10value_typeEPSM_NS1_7vsmem_tEENKUlT_SK_SL_SM_E_clIPsSE_SF_SF_EESJ_SZ_SK_SL_SM_EUlSZ_E_NS1_11comp_targetILNS1_3genE3ELNS1_11target_archE908ELNS1_3gpuE7ELNS1_3repE0EEENS1_48merge_mergepath_partition_config_static_selectorELNS0_4arch9wavefront6targetE1EEEvSL_,"axG",@progbits,_ZN7rocprim17ROCPRIM_400000_NS6detail17trampoline_kernelINS0_14default_configENS1_38merge_sort_block_merge_config_selectorIsNS0_10empty_typeEEEZZNS1_27merge_sort_block_merge_implIS3_N6thrust23THRUST_200600_302600_NS6detail15normal_iteratorINS9_10device_ptrIsEEEEPS5_jNS1_19radix_merge_compareILb0ELb1EsNS0_19identity_decomposerEEEEE10hipError_tT0_T1_T2_jT3_P12ihipStream_tbPNSt15iterator_traitsISK_E10value_typeEPNSQ_ISL_E10value_typeEPSM_NS1_7vsmem_tEENKUlT_SK_SL_SM_E_clIPsSE_SF_SF_EESJ_SZ_SK_SL_SM_EUlSZ_E_NS1_11comp_targetILNS1_3genE3ELNS1_11target_archE908ELNS1_3gpuE7ELNS1_3repE0EEENS1_48merge_mergepath_partition_config_static_selectorELNS0_4arch9wavefront6targetE1EEEvSL_,comdat
.Lfunc_end1879:
	.size	_ZN7rocprim17ROCPRIM_400000_NS6detail17trampoline_kernelINS0_14default_configENS1_38merge_sort_block_merge_config_selectorIsNS0_10empty_typeEEEZZNS1_27merge_sort_block_merge_implIS3_N6thrust23THRUST_200600_302600_NS6detail15normal_iteratorINS9_10device_ptrIsEEEEPS5_jNS1_19radix_merge_compareILb0ELb1EsNS0_19identity_decomposerEEEEE10hipError_tT0_T1_T2_jT3_P12ihipStream_tbPNSt15iterator_traitsISK_E10value_typeEPNSQ_ISL_E10value_typeEPSM_NS1_7vsmem_tEENKUlT_SK_SL_SM_E_clIPsSE_SF_SF_EESJ_SZ_SK_SL_SM_EUlSZ_E_NS1_11comp_targetILNS1_3genE3ELNS1_11target_archE908ELNS1_3gpuE7ELNS1_3repE0EEENS1_48merge_mergepath_partition_config_static_selectorELNS0_4arch9wavefront6targetE1EEEvSL_, .Lfunc_end1879-_ZN7rocprim17ROCPRIM_400000_NS6detail17trampoline_kernelINS0_14default_configENS1_38merge_sort_block_merge_config_selectorIsNS0_10empty_typeEEEZZNS1_27merge_sort_block_merge_implIS3_N6thrust23THRUST_200600_302600_NS6detail15normal_iteratorINS9_10device_ptrIsEEEEPS5_jNS1_19radix_merge_compareILb0ELb1EsNS0_19identity_decomposerEEEEE10hipError_tT0_T1_T2_jT3_P12ihipStream_tbPNSt15iterator_traitsISK_E10value_typeEPNSQ_ISL_E10value_typeEPSM_NS1_7vsmem_tEENKUlT_SK_SL_SM_E_clIPsSE_SF_SF_EESJ_SZ_SK_SL_SM_EUlSZ_E_NS1_11comp_targetILNS1_3genE3ELNS1_11target_archE908ELNS1_3gpuE7ELNS1_3repE0EEENS1_48merge_mergepath_partition_config_static_selectorELNS0_4arch9wavefront6targetE1EEEvSL_
                                        ; -- End function
	.section	.AMDGPU.csdata,"",@progbits
; Kernel info:
; codeLenInByte = 0
; NumSgprs: 6
; NumVgprs: 0
; NumAgprs: 0
; TotalNumVgprs: 0
; ScratchSize: 0
; MemoryBound: 0
; FloatMode: 240
; IeeeMode: 1
; LDSByteSize: 0 bytes/workgroup (compile time only)
; SGPRBlocks: 0
; VGPRBlocks: 0
; NumSGPRsForWavesPerEU: 6
; NumVGPRsForWavesPerEU: 1
; AccumOffset: 4
; Occupancy: 8
; WaveLimiterHint : 0
; COMPUTE_PGM_RSRC2:SCRATCH_EN: 0
; COMPUTE_PGM_RSRC2:USER_SGPR: 2
; COMPUTE_PGM_RSRC2:TRAP_HANDLER: 0
; COMPUTE_PGM_RSRC2:TGID_X_EN: 1
; COMPUTE_PGM_RSRC2:TGID_Y_EN: 0
; COMPUTE_PGM_RSRC2:TGID_Z_EN: 0
; COMPUTE_PGM_RSRC2:TIDIG_COMP_CNT: 0
; COMPUTE_PGM_RSRC3_GFX90A:ACCUM_OFFSET: 0
; COMPUTE_PGM_RSRC3_GFX90A:TG_SPLIT: 0
	.section	.text._ZN7rocprim17ROCPRIM_400000_NS6detail17trampoline_kernelINS0_14default_configENS1_38merge_sort_block_merge_config_selectorIsNS0_10empty_typeEEEZZNS1_27merge_sort_block_merge_implIS3_N6thrust23THRUST_200600_302600_NS6detail15normal_iteratorINS9_10device_ptrIsEEEEPS5_jNS1_19radix_merge_compareILb0ELb1EsNS0_19identity_decomposerEEEEE10hipError_tT0_T1_T2_jT3_P12ihipStream_tbPNSt15iterator_traitsISK_E10value_typeEPNSQ_ISL_E10value_typeEPSM_NS1_7vsmem_tEENKUlT_SK_SL_SM_E_clIPsSE_SF_SF_EESJ_SZ_SK_SL_SM_EUlSZ_E_NS1_11comp_targetILNS1_3genE2ELNS1_11target_archE906ELNS1_3gpuE6ELNS1_3repE0EEENS1_48merge_mergepath_partition_config_static_selectorELNS0_4arch9wavefront6targetE1EEEvSL_,"axG",@progbits,_ZN7rocprim17ROCPRIM_400000_NS6detail17trampoline_kernelINS0_14default_configENS1_38merge_sort_block_merge_config_selectorIsNS0_10empty_typeEEEZZNS1_27merge_sort_block_merge_implIS3_N6thrust23THRUST_200600_302600_NS6detail15normal_iteratorINS9_10device_ptrIsEEEEPS5_jNS1_19radix_merge_compareILb0ELb1EsNS0_19identity_decomposerEEEEE10hipError_tT0_T1_T2_jT3_P12ihipStream_tbPNSt15iterator_traitsISK_E10value_typeEPNSQ_ISL_E10value_typeEPSM_NS1_7vsmem_tEENKUlT_SK_SL_SM_E_clIPsSE_SF_SF_EESJ_SZ_SK_SL_SM_EUlSZ_E_NS1_11comp_targetILNS1_3genE2ELNS1_11target_archE906ELNS1_3gpuE6ELNS1_3repE0EEENS1_48merge_mergepath_partition_config_static_selectorELNS0_4arch9wavefront6targetE1EEEvSL_,comdat
	.protected	_ZN7rocprim17ROCPRIM_400000_NS6detail17trampoline_kernelINS0_14default_configENS1_38merge_sort_block_merge_config_selectorIsNS0_10empty_typeEEEZZNS1_27merge_sort_block_merge_implIS3_N6thrust23THRUST_200600_302600_NS6detail15normal_iteratorINS9_10device_ptrIsEEEEPS5_jNS1_19radix_merge_compareILb0ELb1EsNS0_19identity_decomposerEEEEE10hipError_tT0_T1_T2_jT3_P12ihipStream_tbPNSt15iterator_traitsISK_E10value_typeEPNSQ_ISL_E10value_typeEPSM_NS1_7vsmem_tEENKUlT_SK_SL_SM_E_clIPsSE_SF_SF_EESJ_SZ_SK_SL_SM_EUlSZ_E_NS1_11comp_targetILNS1_3genE2ELNS1_11target_archE906ELNS1_3gpuE6ELNS1_3repE0EEENS1_48merge_mergepath_partition_config_static_selectorELNS0_4arch9wavefront6targetE1EEEvSL_ ; -- Begin function _ZN7rocprim17ROCPRIM_400000_NS6detail17trampoline_kernelINS0_14default_configENS1_38merge_sort_block_merge_config_selectorIsNS0_10empty_typeEEEZZNS1_27merge_sort_block_merge_implIS3_N6thrust23THRUST_200600_302600_NS6detail15normal_iteratorINS9_10device_ptrIsEEEEPS5_jNS1_19radix_merge_compareILb0ELb1EsNS0_19identity_decomposerEEEEE10hipError_tT0_T1_T2_jT3_P12ihipStream_tbPNSt15iterator_traitsISK_E10value_typeEPNSQ_ISL_E10value_typeEPSM_NS1_7vsmem_tEENKUlT_SK_SL_SM_E_clIPsSE_SF_SF_EESJ_SZ_SK_SL_SM_EUlSZ_E_NS1_11comp_targetILNS1_3genE2ELNS1_11target_archE906ELNS1_3gpuE6ELNS1_3repE0EEENS1_48merge_mergepath_partition_config_static_selectorELNS0_4arch9wavefront6targetE1EEEvSL_
	.globl	_ZN7rocprim17ROCPRIM_400000_NS6detail17trampoline_kernelINS0_14default_configENS1_38merge_sort_block_merge_config_selectorIsNS0_10empty_typeEEEZZNS1_27merge_sort_block_merge_implIS3_N6thrust23THRUST_200600_302600_NS6detail15normal_iteratorINS9_10device_ptrIsEEEEPS5_jNS1_19radix_merge_compareILb0ELb1EsNS0_19identity_decomposerEEEEE10hipError_tT0_T1_T2_jT3_P12ihipStream_tbPNSt15iterator_traitsISK_E10value_typeEPNSQ_ISL_E10value_typeEPSM_NS1_7vsmem_tEENKUlT_SK_SL_SM_E_clIPsSE_SF_SF_EESJ_SZ_SK_SL_SM_EUlSZ_E_NS1_11comp_targetILNS1_3genE2ELNS1_11target_archE906ELNS1_3gpuE6ELNS1_3repE0EEENS1_48merge_mergepath_partition_config_static_selectorELNS0_4arch9wavefront6targetE1EEEvSL_
	.p2align	8
	.type	_ZN7rocprim17ROCPRIM_400000_NS6detail17trampoline_kernelINS0_14default_configENS1_38merge_sort_block_merge_config_selectorIsNS0_10empty_typeEEEZZNS1_27merge_sort_block_merge_implIS3_N6thrust23THRUST_200600_302600_NS6detail15normal_iteratorINS9_10device_ptrIsEEEEPS5_jNS1_19radix_merge_compareILb0ELb1EsNS0_19identity_decomposerEEEEE10hipError_tT0_T1_T2_jT3_P12ihipStream_tbPNSt15iterator_traitsISK_E10value_typeEPNSQ_ISL_E10value_typeEPSM_NS1_7vsmem_tEENKUlT_SK_SL_SM_E_clIPsSE_SF_SF_EESJ_SZ_SK_SL_SM_EUlSZ_E_NS1_11comp_targetILNS1_3genE2ELNS1_11target_archE906ELNS1_3gpuE6ELNS1_3repE0EEENS1_48merge_mergepath_partition_config_static_selectorELNS0_4arch9wavefront6targetE1EEEvSL_,@function
_ZN7rocprim17ROCPRIM_400000_NS6detail17trampoline_kernelINS0_14default_configENS1_38merge_sort_block_merge_config_selectorIsNS0_10empty_typeEEEZZNS1_27merge_sort_block_merge_implIS3_N6thrust23THRUST_200600_302600_NS6detail15normal_iteratorINS9_10device_ptrIsEEEEPS5_jNS1_19radix_merge_compareILb0ELb1EsNS0_19identity_decomposerEEEEE10hipError_tT0_T1_T2_jT3_P12ihipStream_tbPNSt15iterator_traitsISK_E10value_typeEPNSQ_ISL_E10value_typeEPSM_NS1_7vsmem_tEENKUlT_SK_SL_SM_E_clIPsSE_SF_SF_EESJ_SZ_SK_SL_SM_EUlSZ_E_NS1_11comp_targetILNS1_3genE2ELNS1_11target_archE906ELNS1_3gpuE6ELNS1_3repE0EEENS1_48merge_mergepath_partition_config_static_selectorELNS0_4arch9wavefront6targetE1EEEvSL_: ; @_ZN7rocprim17ROCPRIM_400000_NS6detail17trampoline_kernelINS0_14default_configENS1_38merge_sort_block_merge_config_selectorIsNS0_10empty_typeEEEZZNS1_27merge_sort_block_merge_implIS3_N6thrust23THRUST_200600_302600_NS6detail15normal_iteratorINS9_10device_ptrIsEEEEPS5_jNS1_19radix_merge_compareILb0ELb1EsNS0_19identity_decomposerEEEEE10hipError_tT0_T1_T2_jT3_P12ihipStream_tbPNSt15iterator_traitsISK_E10value_typeEPNSQ_ISL_E10value_typeEPSM_NS1_7vsmem_tEENKUlT_SK_SL_SM_E_clIPsSE_SF_SF_EESJ_SZ_SK_SL_SM_EUlSZ_E_NS1_11comp_targetILNS1_3genE2ELNS1_11target_archE906ELNS1_3gpuE6ELNS1_3repE0EEENS1_48merge_mergepath_partition_config_static_selectorELNS0_4arch9wavefront6targetE1EEEvSL_
; %bb.0:
	.section	.rodata,"a",@progbits
	.p2align	6, 0x0
	.amdhsa_kernel _ZN7rocprim17ROCPRIM_400000_NS6detail17trampoline_kernelINS0_14default_configENS1_38merge_sort_block_merge_config_selectorIsNS0_10empty_typeEEEZZNS1_27merge_sort_block_merge_implIS3_N6thrust23THRUST_200600_302600_NS6detail15normal_iteratorINS9_10device_ptrIsEEEEPS5_jNS1_19radix_merge_compareILb0ELb1EsNS0_19identity_decomposerEEEEE10hipError_tT0_T1_T2_jT3_P12ihipStream_tbPNSt15iterator_traitsISK_E10value_typeEPNSQ_ISL_E10value_typeEPSM_NS1_7vsmem_tEENKUlT_SK_SL_SM_E_clIPsSE_SF_SF_EESJ_SZ_SK_SL_SM_EUlSZ_E_NS1_11comp_targetILNS1_3genE2ELNS1_11target_archE906ELNS1_3gpuE6ELNS1_3repE0EEENS1_48merge_mergepath_partition_config_static_selectorELNS0_4arch9wavefront6targetE1EEEvSL_
		.amdhsa_group_segment_fixed_size 0
		.amdhsa_private_segment_fixed_size 0
		.amdhsa_kernarg_size 40
		.amdhsa_user_sgpr_count 2
		.amdhsa_user_sgpr_dispatch_ptr 0
		.amdhsa_user_sgpr_queue_ptr 0
		.amdhsa_user_sgpr_kernarg_segment_ptr 1
		.amdhsa_user_sgpr_dispatch_id 0
		.amdhsa_user_sgpr_kernarg_preload_length 0
		.amdhsa_user_sgpr_kernarg_preload_offset 0
		.amdhsa_user_sgpr_private_segment_size 0
		.amdhsa_uses_dynamic_stack 0
		.amdhsa_enable_private_segment 0
		.amdhsa_system_sgpr_workgroup_id_x 1
		.amdhsa_system_sgpr_workgroup_id_y 0
		.amdhsa_system_sgpr_workgroup_id_z 0
		.amdhsa_system_sgpr_workgroup_info 0
		.amdhsa_system_vgpr_workitem_id 0
		.amdhsa_next_free_vgpr 1
		.amdhsa_next_free_sgpr 0
		.amdhsa_accum_offset 4
		.amdhsa_reserve_vcc 0
		.amdhsa_float_round_mode_32 0
		.amdhsa_float_round_mode_16_64 0
		.amdhsa_float_denorm_mode_32 3
		.amdhsa_float_denorm_mode_16_64 3
		.amdhsa_dx10_clamp 1
		.amdhsa_ieee_mode 1
		.amdhsa_fp16_overflow 0
		.amdhsa_tg_split 0
		.amdhsa_exception_fp_ieee_invalid_op 0
		.amdhsa_exception_fp_denorm_src 0
		.amdhsa_exception_fp_ieee_div_zero 0
		.amdhsa_exception_fp_ieee_overflow 0
		.amdhsa_exception_fp_ieee_underflow 0
		.amdhsa_exception_fp_ieee_inexact 0
		.amdhsa_exception_int_div_zero 0
	.end_amdhsa_kernel
	.section	.text._ZN7rocprim17ROCPRIM_400000_NS6detail17trampoline_kernelINS0_14default_configENS1_38merge_sort_block_merge_config_selectorIsNS0_10empty_typeEEEZZNS1_27merge_sort_block_merge_implIS3_N6thrust23THRUST_200600_302600_NS6detail15normal_iteratorINS9_10device_ptrIsEEEEPS5_jNS1_19radix_merge_compareILb0ELb1EsNS0_19identity_decomposerEEEEE10hipError_tT0_T1_T2_jT3_P12ihipStream_tbPNSt15iterator_traitsISK_E10value_typeEPNSQ_ISL_E10value_typeEPSM_NS1_7vsmem_tEENKUlT_SK_SL_SM_E_clIPsSE_SF_SF_EESJ_SZ_SK_SL_SM_EUlSZ_E_NS1_11comp_targetILNS1_3genE2ELNS1_11target_archE906ELNS1_3gpuE6ELNS1_3repE0EEENS1_48merge_mergepath_partition_config_static_selectorELNS0_4arch9wavefront6targetE1EEEvSL_,"axG",@progbits,_ZN7rocprim17ROCPRIM_400000_NS6detail17trampoline_kernelINS0_14default_configENS1_38merge_sort_block_merge_config_selectorIsNS0_10empty_typeEEEZZNS1_27merge_sort_block_merge_implIS3_N6thrust23THRUST_200600_302600_NS6detail15normal_iteratorINS9_10device_ptrIsEEEEPS5_jNS1_19radix_merge_compareILb0ELb1EsNS0_19identity_decomposerEEEEE10hipError_tT0_T1_T2_jT3_P12ihipStream_tbPNSt15iterator_traitsISK_E10value_typeEPNSQ_ISL_E10value_typeEPSM_NS1_7vsmem_tEENKUlT_SK_SL_SM_E_clIPsSE_SF_SF_EESJ_SZ_SK_SL_SM_EUlSZ_E_NS1_11comp_targetILNS1_3genE2ELNS1_11target_archE906ELNS1_3gpuE6ELNS1_3repE0EEENS1_48merge_mergepath_partition_config_static_selectorELNS0_4arch9wavefront6targetE1EEEvSL_,comdat
.Lfunc_end1880:
	.size	_ZN7rocprim17ROCPRIM_400000_NS6detail17trampoline_kernelINS0_14default_configENS1_38merge_sort_block_merge_config_selectorIsNS0_10empty_typeEEEZZNS1_27merge_sort_block_merge_implIS3_N6thrust23THRUST_200600_302600_NS6detail15normal_iteratorINS9_10device_ptrIsEEEEPS5_jNS1_19radix_merge_compareILb0ELb1EsNS0_19identity_decomposerEEEEE10hipError_tT0_T1_T2_jT3_P12ihipStream_tbPNSt15iterator_traitsISK_E10value_typeEPNSQ_ISL_E10value_typeEPSM_NS1_7vsmem_tEENKUlT_SK_SL_SM_E_clIPsSE_SF_SF_EESJ_SZ_SK_SL_SM_EUlSZ_E_NS1_11comp_targetILNS1_3genE2ELNS1_11target_archE906ELNS1_3gpuE6ELNS1_3repE0EEENS1_48merge_mergepath_partition_config_static_selectorELNS0_4arch9wavefront6targetE1EEEvSL_, .Lfunc_end1880-_ZN7rocprim17ROCPRIM_400000_NS6detail17trampoline_kernelINS0_14default_configENS1_38merge_sort_block_merge_config_selectorIsNS0_10empty_typeEEEZZNS1_27merge_sort_block_merge_implIS3_N6thrust23THRUST_200600_302600_NS6detail15normal_iteratorINS9_10device_ptrIsEEEEPS5_jNS1_19radix_merge_compareILb0ELb1EsNS0_19identity_decomposerEEEEE10hipError_tT0_T1_T2_jT3_P12ihipStream_tbPNSt15iterator_traitsISK_E10value_typeEPNSQ_ISL_E10value_typeEPSM_NS1_7vsmem_tEENKUlT_SK_SL_SM_E_clIPsSE_SF_SF_EESJ_SZ_SK_SL_SM_EUlSZ_E_NS1_11comp_targetILNS1_3genE2ELNS1_11target_archE906ELNS1_3gpuE6ELNS1_3repE0EEENS1_48merge_mergepath_partition_config_static_selectorELNS0_4arch9wavefront6targetE1EEEvSL_
                                        ; -- End function
	.section	.AMDGPU.csdata,"",@progbits
; Kernel info:
; codeLenInByte = 0
; NumSgprs: 6
; NumVgprs: 0
; NumAgprs: 0
; TotalNumVgprs: 0
; ScratchSize: 0
; MemoryBound: 0
; FloatMode: 240
; IeeeMode: 1
; LDSByteSize: 0 bytes/workgroup (compile time only)
; SGPRBlocks: 0
; VGPRBlocks: 0
; NumSGPRsForWavesPerEU: 6
; NumVGPRsForWavesPerEU: 1
; AccumOffset: 4
; Occupancy: 8
; WaveLimiterHint : 0
; COMPUTE_PGM_RSRC2:SCRATCH_EN: 0
; COMPUTE_PGM_RSRC2:USER_SGPR: 2
; COMPUTE_PGM_RSRC2:TRAP_HANDLER: 0
; COMPUTE_PGM_RSRC2:TGID_X_EN: 1
; COMPUTE_PGM_RSRC2:TGID_Y_EN: 0
; COMPUTE_PGM_RSRC2:TGID_Z_EN: 0
; COMPUTE_PGM_RSRC2:TIDIG_COMP_CNT: 0
; COMPUTE_PGM_RSRC3_GFX90A:ACCUM_OFFSET: 0
; COMPUTE_PGM_RSRC3_GFX90A:TG_SPLIT: 0
	.section	.text._ZN7rocprim17ROCPRIM_400000_NS6detail17trampoline_kernelINS0_14default_configENS1_38merge_sort_block_merge_config_selectorIsNS0_10empty_typeEEEZZNS1_27merge_sort_block_merge_implIS3_N6thrust23THRUST_200600_302600_NS6detail15normal_iteratorINS9_10device_ptrIsEEEEPS5_jNS1_19radix_merge_compareILb0ELb1EsNS0_19identity_decomposerEEEEE10hipError_tT0_T1_T2_jT3_P12ihipStream_tbPNSt15iterator_traitsISK_E10value_typeEPNSQ_ISL_E10value_typeEPSM_NS1_7vsmem_tEENKUlT_SK_SL_SM_E_clIPsSE_SF_SF_EESJ_SZ_SK_SL_SM_EUlSZ_E_NS1_11comp_targetILNS1_3genE9ELNS1_11target_archE1100ELNS1_3gpuE3ELNS1_3repE0EEENS1_48merge_mergepath_partition_config_static_selectorELNS0_4arch9wavefront6targetE1EEEvSL_,"axG",@progbits,_ZN7rocprim17ROCPRIM_400000_NS6detail17trampoline_kernelINS0_14default_configENS1_38merge_sort_block_merge_config_selectorIsNS0_10empty_typeEEEZZNS1_27merge_sort_block_merge_implIS3_N6thrust23THRUST_200600_302600_NS6detail15normal_iteratorINS9_10device_ptrIsEEEEPS5_jNS1_19radix_merge_compareILb0ELb1EsNS0_19identity_decomposerEEEEE10hipError_tT0_T1_T2_jT3_P12ihipStream_tbPNSt15iterator_traitsISK_E10value_typeEPNSQ_ISL_E10value_typeEPSM_NS1_7vsmem_tEENKUlT_SK_SL_SM_E_clIPsSE_SF_SF_EESJ_SZ_SK_SL_SM_EUlSZ_E_NS1_11comp_targetILNS1_3genE9ELNS1_11target_archE1100ELNS1_3gpuE3ELNS1_3repE0EEENS1_48merge_mergepath_partition_config_static_selectorELNS0_4arch9wavefront6targetE1EEEvSL_,comdat
	.protected	_ZN7rocprim17ROCPRIM_400000_NS6detail17trampoline_kernelINS0_14default_configENS1_38merge_sort_block_merge_config_selectorIsNS0_10empty_typeEEEZZNS1_27merge_sort_block_merge_implIS3_N6thrust23THRUST_200600_302600_NS6detail15normal_iteratorINS9_10device_ptrIsEEEEPS5_jNS1_19radix_merge_compareILb0ELb1EsNS0_19identity_decomposerEEEEE10hipError_tT0_T1_T2_jT3_P12ihipStream_tbPNSt15iterator_traitsISK_E10value_typeEPNSQ_ISL_E10value_typeEPSM_NS1_7vsmem_tEENKUlT_SK_SL_SM_E_clIPsSE_SF_SF_EESJ_SZ_SK_SL_SM_EUlSZ_E_NS1_11comp_targetILNS1_3genE9ELNS1_11target_archE1100ELNS1_3gpuE3ELNS1_3repE0EEENS1_48merge_mergepath_partition_config_static_selectorELNS0_4arch9wavefront6targetE1EEEvSL_ ; -- Begin function _ZN7rocprim17ROCPRIM_400000_NS6detail17trampoline_kernelINS0_14default_configENS1_38merge_sort_block_merge_config_selectorIsNS0_10empty_typeEEEZZNS1_27merge_sort_block_merge_implIS3_N6thrust23THRUST_200600_302600_NS6detail15normal_iteratorINS9_10device_ptrIsEEEEPS5_jNS1_19radix_merge_compareILb0ELb1EsNS0_19identity_decomposerEEEEE10hipError_tT0_T1_T2_jT3_P12ihipStream_tbPNSt15iterator_traitsISK_E10value_typeEPNSQ_ISL_E10value_typeEPSM_NS1_7vsmem_tEENKUlT_SK_SL_SM_E_clIPsSE_SF_SF_EESJ_SZ_SK_SL_SM_EUlSZ_E_NS1_11comp_targetILNS1_3genE9ELNS1_11target_archE1100ELNS1_3gpuE3ELNS1_3repE0EEENS1_48merge_mergepath_partition_config_static_selectorELNS0_4arch9wavefront6targetE1EEEvSL_
	.globl	_ZN7rocprim17ROCPRIM_400000_NS6detail17trampoline_kernelINS0_14default_configENS1_38merge_sort_block_merge_config_selectorIsNS0_10empty_typeEEEZZNS1_27merge_sort_block_merge_implIS3_N6thrust23THRUST_200600_302600_NS6detail15normal_iteratorINS9_10device_ptrIsEEEEPS5_jNS1_19radix_merge_compareILb0ELb1EsNS0_19identity_decomposerEEEEE10hipError_tT0_T1_T2_jT3_P12ihipStream_tbPNSt15iterator_traitsISK_E10value_typeEPNSQ_ISL_E10value_typeEPSM_NS1_7vsmem_tEENKUlT_SK_SL_SM_E_clIPsSE_SF_SF_EESJ_SZ_SK_SL_SM_EUlSZ_E_NS1_11comp_targetILNS1_3genE9ELNS1_11target_archE1100ELNS1_3gpuE3ELNS1_3repE0EEENS1_48merge_mergepath_partition_config_static_selectorELNS0_4arch9wavefront6targetE1EEEvSL_
	.p2align	8
	.type	_ZN7rocprim17ROCPRIM_400000_NS6detail17trampoline_kernelINS0_14default_configENS1_38merge_sort_block_merge_config_selectorIsNS0_10empty_typeEEEZZNS1_27merge_sort_block_merge_implIS3_N6thrust23THRUST_200600_302600_NS6detail15normal_iteratorINS9_10device_ptrIsEEEEPS5_jNS1_19radix_merge_compareILb0ELb1EsNS0_19identity_decomposerEEEEE10hipError_tT0_T1_T2_jT3_P12ihipStream_tbPNSt15iterator_traitsISK_E10value_typeEPNSQ_ISL_E10value_typeEPSM_NS1_7vsmem_tEENKUlT_SK_SL_SM_E_clIPsSE_SF_SF_EESJ_SZ_SK_SL_SM_EUlSZ_E_NS1_11comp_targetILNS1_3genE9ELNS1_11target_archE1100ELNS1_3gpuE3ELNS1_3repE0EEENS1_48merge_mergepath_partition_config_static_selectorELNS0_4arch9wavefront6targetE1EEEvSL_,@function
_ZN7rocprim17ROCPRIM_400000_NS6detail17trampoline_kernelINS0_14default_configENS1_38merge_sort_block_merge_config_selectorIsNS0_10empty_typeEEEZZNS1_27merge_sort_block_merge_implIS3_N6thrust23THRUST_200600_302600_NS6detail15normal_iteratorINS9_10device_ptrIsEEEEPS5_jNS1_19radix_merge_compareILb0ELb1EsNS0_19identity_decomposerEEEEE10hipError_tT0_T1_T2_jT3_P12ihipStream_tbPNSt15iterator_traitsISK_E10value_typeEPNSQ_ISL_E10value_typeEPSM_NS1_7vsmem_tEENKUlT_SK_SL_SM_E_clIPsSE_SF_SF_EESJ_SZ_SK_SL_SM_EUlSZ_E_NS1_11comp_targetILNS1_3genE9ELNS1_11target_archE1100ELNS1_3gpuE3ELNS1_3repE0EEENS1_48merge_mergepath_partition_config_static_selectorELNS0_4arch9wavefront6targetE1EEEvSL_: ; @_ZN7rocprim17ROCPRIM_400000_NS6detail17trampoline_kernelINS0_14default_configENS1_38merge_sort_block_merge_config_selectorIsNS0_10empty_typeEEEZZNS1_27merge_sort_block_merge_implIS3_N6thrust23THRUST_200600_302600_NS6detail15normal_iteratorINS9_10device_ptrIsEEEEPS5_jNS1_19radix_merge_compareILb0ELb1EsNS0_19identity_decomposerEEEEE10hipError_tT0_T1_T2_jT3_P12ihipStream_tbPNSt15iterator_traitsISK_E10value_typeEPNSQ_ISL_E10value_typeEPSM_NS1_7vsmem_tEENKUlT_SK_SL_SM_E_clIPsSE_SF_SF_EESJ_SZ_SK_SL_SM_EUlSZ_E_NS1_11comp_targetILNS1_3genE9ELNS1_11target_archE1100ELNS1_3gpuE3ELNS1_3repE0EEENS1_48merge_mergepath_partition_config_static_selectorELNS0_4arch9wavefront6targetE1EEEvSL_
; %bb.0:
	.section	.rodata,"a",@progbits
	.p2align	6, 0x0
	.amdhsa_kernel _ZN7rocprim17ROCPRIM_400000_NS6detail17trampoline_kernelINS0_14default_configENS1_38merge_sort_block_merge_config_selectorIsNS0_10empty_typeEEEZZNS1_27merge_sort_block_merge_implIS3_N6thrust23THRUST_200600_302600_NS6detail15normal_iteratorINS9_10device_ptrIsEEEEPS5_jNS1_19radix_merge_compareILb0ELb1EsNS0_19identity_decomposerEEEEE10hipError_tT0_T1_T2_jT3_P12ihipStream_tbPNSt15iterator_traitsISK_E10value_typeEPNSQ_ISL_E10value_typeEPSM_NS1_7vsmem_tEENKUlT_SK_SL_SM_E_clIPsSE_SF_SF_EESJ_SZ_SK_SL_SM_EUlSZ_E_NS1_11comp_targetILNS1_3genE9ELNS1_11target_archE1100ELNS1_3gpuE3ELNS1_3repE0EEENS1_48merge_mergepath_partition_config_static_selectorELNS0_4arch9wavefront6targetE1EEEvSL_
		.amdhsa_group_segment_fixed_size 0
		.amdhsa_private_segment_fixed_size 0
		.amdhsa_kernarg_size 40
		.amdhsa_user_sgpr_count 2
		.amdhsa_user_sgpr_dispatch_ptr 0
		.amdhsa_user_sgpr_queue_ptr 0
		.amdhsa_user_sgpr_kernarg_segment_ptr 1
		.amdhsa_user_sgpr_dispatch_id 0
		.amdhsa_user_sgpr_kernarg_preload_length 0
		.amdhsa_user_sgpr_kernarg_preload_offset 0
		.amdhsa_user_sgpr_private_segment_size 0
		.amdhsa_uses_dynamic_stack 0
		.amdhsa_enable_private_segment 0
		.amdhsa_system_sgpr_workgroup_id_x 1
		.amdhsa_system_sgpr_workgroup_id_y 0
		.amdhsa_system_sgpr_workgroup_id_z 0
		.amdhsa_system_sgpr_workgroup_info 0
		.amdhsa_system_vgpr_workitem_id 0
		.amdhsa_next_free_vgpr 1
		.amdhsa_next_free_sgpr 0
		.amdhsa_accum_offset 4
		.amdhsa_reserve_vcc 0
		.amdhsa_float_round_mode_32 0
		.amdhsa_float_round_mode_16_64 0
		.amdhsa_float_denorm_mode_32 3
		.amdhsa_float_denorm_mode_16_64 3
		.amdhsa_dx10_clamp 1
		.amdhsa_ieee_mode 1
		.amdhsa_fp16_overflow 0
		.amdhsa_tg_split 0
		.amdhsa_exception_fp_ieee_invalid_op 0
		.amdhsa_exception_fp_denorm_src 0
		.amdhsa_exception_fp_ieee_div_zero 0
		.amdhsa_exception_fp_ieee_overflow 0
		.amdhsa_exception_fp_ieee_underflow 0
		.amdhsa_exception_fp_ieee_inexact 0
		.amdhsa_exception_int_div_zero 0
	.end_amdhsa_kernel
	.section	.text._ZN7rocprim17ROCPRIM_400000_NS6detail17trampoline_kernelINS0_14default_configENS1_38merge_sort_block_merge_config_selectorIsNS0_10empty_typeEEEZZNS1_27merge_sort_block_merge_implIS3_N6thrust23THRUST_200600_302600_NS6detail15normal_iteratorINS9_10device_ptrIsEEEEPS5_jNS1_19radix_merge_compareILb0ELb1EsNS0_19identity_decomposerEEEEE10hipError_tT0_T1_T2_jT3_P12ihipStream_tbPNSt15iterator_traitsISK_E10value_typeEPNSQ_ISL_E10value_typeEPSM_NS1_7vsmem_tEENKUlT_SK_SL_SM_E_clIPsSE_SF_SF_EESJ_SZ_SK_SL_SM_EUlSZ_E_NS1_11comp_targetILNS1_3genE9ELNS1_11target_archE1100ELNS1_3gpuE3ELNS1_3repE0EEENS1_48merge_mergepath_partition_config_static_selectorELNS0_4arch9wavefront6targetE1EEEvSL_,"axG",@progbits,_ZN7rocprim17ROCPRIM_400000_NS6detail17trampoline_kernelINS0_14default_configENS1_38merge_sort_block_merge_config_selectorIsNS0_10empty_typeEEEZZNS1_27merge_sort_block_merge_implIS3_N6thrust23THRUST_200600_302600_NS6detail15normal_iteratorINS9_10device_ptrIsEEEEPS5_jNS1_19radix_merge_compareILb0ELb1EsNS0_19identity_decomposerEEEEE10hipError_tT0_T1_T2_jT3_P12ihipStream_tbPNSt15iterator_traitsISK_E10value_typeEPNSQ_ISL_E10value_typeEPSM_NS1_7vsmem_tEENKUlT_SK_SL_SM_E_clIPsSE_SF_SF_EESJ_SZ_SK_SL_SM_EUlSZ_E_NS1_11comp_targetILNS1_3genE9ELNS1_11target_archE1100ELNS1_3gpuE3ELNS1_3repE0EEENS1_48merge_mergepath_partition_config_static_selectorELNS0_4arch9wavefront6targetE1EEEvSL_,comdat
.Lfunc_end1881:
	.size	_ZN7rocprim17ROCPRIM_400000_NS6detail17trampoline_kernelINS0_14default_configENS1_38merge_sort_block_merge_config_selectorIsNS0_10empty_typeEEEZZNS1_27merge_sort_block_merge_implIS3_N6thrust23THRUST_200600_302600_NS6detail15normal_iteratorINS9_10device_ptrIsEEEEPS5_jNS1_19radix_merge_compareILb0ELb1EsNS0_19identity_decomposerEEEEE10hipError_tT0_T1_T2_jT3_P12ihipStream_tbPNSt15iterator_traitsISK_E10value_typeEPNSQ_ISL_E10value_typeEPSM_NS1_7vsmem_tEENKUlT_SK_SL_SM_E_clIPsSE_SF_SF_EESJ_SZ_SK_SL_SM_EUlSZ_E_NS1_11comp_targetILNS1_3genE9ELNS1_11target_archE1100ELNS1_3gpuE3ELNS1_3repE0EEENS1_48merge_mergepath_partition_config_static_selectorELNS0_4arch9wavefront6targetE1EEEvSL_, .Lfunc_end1881-_ZN7rocprim17ROCPRIM_400000_NS6detail17trampoline_kernelINS0_14default_configENS1_38merge_sort_block_merge_config_selectorIsNS0_10empty_typeEEEZZNS1_27merge_sort_block_merge_implIS3_N6thrust23THRUST_200600_302600_NS6detail15normal_iteratorINS9_10device_ptrIsEEEEPS5_jNS1_19radix_merge_compareILb0ELb1EsNS0_19identity_decomposerEEEEE10hipError_tT0_T1_T2_jT3_P12ihipStream_tbPNSt15iterator_traitsISK_E10value_typeEPNSQ_ISL_E10value_typeEPSM_NS1_7vsmem_tEENKUlT_SK_SL_SM_E_clIPsSE_SF_SF_EESJ_SZ_SK_SL_SM_EUlSZ_E_NS1_11comp_targetILNS1_3genE9ELNS1_11target_archE1100ELNS1_3gpuE3ELNS1_3repE0EEENS1_48merge_mergepath_partition_config_static_selectorELNS0_4arch9wavefront6targetE1EEEvSL_
                                        ; -- End function
	.section	.AMDGPU.csdata,"",@progbits
; Kernel info:
; codeLenInByte = 0
; NumSgprs: 6
; NumVgprs: 0
; NumAgprs: 0
; TotalNumVgprs: 0
; ScratchSize: 0
; MemoryBound: 0
; FloatMode: 240
; IeeeMode: 1
; LDSByteSize: 0 bytes/workgroup (compile time only)
; SGPRBlocks: 0
; VGPRBlocks: 0
; NumSGPRsForWavesPerEU: 6
; NumVGPRsForWavesPerEU: 1
; AccumOffset: 4
; Occupancy: 8
; WaveLimiterHint : 0
; COMPUTE_PGM_RSRC2:SCRATCH_EN: 0
; COMPUTE_PGM_RSRC2:USER_SGPR: 2
; COMPUTE_PGM_RSRC2:TRAP_HANDLER: 0
; COMPUTE_PGM_RSRC2:TGID_X_EN: 1
; COMPUTE_PGM_RSRC2:TGID_Y_EN: 0
; COMPUTE_PGM_RSRC2:TGID_Z_EN: 0
; COMPUTE_PGM_RSRC2:TIDIG_COMP_CNT: 0
; COMPUTE_PGM_RSRC3_GFX90A:ACCUM_OFFSET: 0
; COMPUTE_PGM_RSRC3_GFX90A:TG_SPLIT: 0
	.section	.text._ZN7rocprim17ROCPRIM_400000_NS6detail17trampoline_kernelINS0_14default_configENS1_38merge_sort_block_merge_config_selectorIsNS0_10empty_typeEEEZZNS1_27merge_sort_block_merge_implIS3_N6thrust23THRUST_200600_302600_NS6detail15normal_iteratorINS9_10device_ptrIsEEEEPS5_jNS1_19radix_merge_compareILb0ELb1EsNS0_19identity_decomposerEEEEE10hipError_tT0_T1_T2_jT3_P12ihipStream_tbPNSt15iterator_traitsISK_E10value_typeEPNSQ_ISL_E10value_typeEPSM_NS1_7vsmem_tEENKUlT_SK_SL_SM_E_clIPsSE_SF_SF_EESJ_SZ_SK_SL_SM_EUlSZ_E_NS1_11comp_targetILNS1_3genE8ELNS1_11target_archE1030ELNS1_3gpuE2ELNS1_3repE0EEENS1_48merge_mergepath_partition_config_static_selectorELNS0_4arch9wavefront6targetE1EEEvSL_,"axG",@progbits,_ZN7rocprim17ROCPRIM_400000_NS6detail17trampoline_kernelINS0_14default_configENS1_38merge_sort_block_merge_config_selectorIsNS0_10empty_typeEEEZZNS1_27merge_sort_block_merge_implIS3_N6thrust23THRUST_200600_302600_NS6detail15normal_iteratorINS9_10device_ptrIsEEEEPS5_jNS1_19radix_merge_compareILb0ELb1EsNS0_19identity_decomposerEEEEE10hipError_tT0_T1_T2_jT3_P12ihipStream_tbPNSt15iterator_traitsISK_E10value_typeEPNSQ_ISL_E10value_typeEPSM_NS1_7vsmem_tEENKUlT_SK_SL_SM_E_clIPsSE_SF_SF_EESJ_SZ_SK_SL_SM_EUlSZ_E_NS1_11comp_targetILNS1_3genE8ELNS1_11target_archE1030ELNS1_3gpuE2ELNS1_3repE0EEENS1_48merge_mergepath_partition_config_static_selectorELNS0_4arch9wavefront6targetE1EEEvSL_,comdat
	.protected	_ZN7rocprim17ROCPRIM_400000_NS6detail17trampoline_kernelINS0_14default_configENS1_38merge_sort_block_merge_config_selectorIsNS0_10empty_typeEEEZZNS1_27merge_sort_block_merge_implIS3_N6thrust23THRUST_200600_302600_NS6detail15normal_iteratorINS9_10device_ptrIsEEEEPS5_jNS1_19radix_merge_compareILb0ELb1EsNS0_19identity_decomposerEEEEE10hipError_tT0_T1_T2_jT3_P12ihipStream_tbPNSt15iterator_traitsISK_E10value_typeEPNSQ_ISL_E10value_typeEPSM_NS1_7vsmem_tEENKUlT_SK_SL_SM_E_clIPsSE_SF_SF_EESJ_SZ_SK_SL_SM_EUlSZ_E_NS1_11comp_targetILNS1_3genE8ELNS1_11target_archE1030ELNS1_3gpuE2ELNS1_3repE0EEENS1_48merge_mergepath_partition_config_static_selectorELNS0_4arch9wavefront6targetE1EEEvSL_ ; -- Begin function _ZN7rocprim17ROCPRIM_400000_NS6detail17trampoline_kernelINS0_14default_configENS1_38merge_sort_block_merge_config_selectorIsNS0_10empty_typeEEEZZNS1_27merge_sort_block_merge_implIS3_N6thrust23THRUST_200600_302600_NS6detail15normal_iteratorINS9_10device_ptrIsEEEEPS5_jNS1_19radix_merge_compareILb0ELb1EsNS0_19identity_decomposerEEEEE10hipError_tT0_T1_T2_jT3_P12ihipStream_tbPNSt15iterator_traitsISK_E10value_typeEPNSQ_ISL_E10value_typeEPSM_NS1_7vsmem_tEENKUlT_SK_SL_SM_E_clIPsSE_SF_SF_EESJ_SZ_SK_SL_SM_EUlSZ_E_NS1_11comp_targetILNS1_3genE8ELNS1_11target_archE1030ELNS1_3gpuE2ELNS1_3repE0EEENS1_48merge_mergepath_partition_config_static_selectorELNS0_4arch9wavefront6targetE1EEEvSL_
	.globl	_ZN7rocprim17ROCPRIM_400000_NS6detail17trampoline_kernelINS0_14default_configENS1_38merge_sort_block_merge_config_selectorIsNS0_10empty_typeEEEZZNS1_27merge_sort_block_merge_implIS3_N6thrust23THRUST_200600_302600_NS6detail15normal_iteratorINS9_10device_ptrIsEEEEPS5_jNS1_19radix_merge_compareILb0ELb1EsNS0_19identity_decomposerEEEEE10hipError_tT0_T1_T2_jT3_P12ihipStream_tbPNSt15iterator_traitsISK_E10value_typeEPNSQ_ISL_E10value_typeEPSM_NS1_7vsmem_tEENKUlT_SK_SL_SM_E_clIPsSE_SF_SF_EESJ_SZ_SK_SL_SM_EUlSZ_E_NS1_11comp_targetILNS1_3genE8ELNS1_11target_archE1030ELNS1_3gpuE2ELNS1_3repE0EEENS1_48merge_mergepath_partition_config_static_selectorELNS0_4arch9wavefront6targetE1EEEvSL_
	.p2align	8
	.type	_ZN7rocprim17ROCPRIM_400000_NS6detail17trampoline_kernelINS0_14default_configENS1_38merge_sort_block_merge_config_selectorIsNS0_10empty_typeEEEZZNS1_27merge_sort_block_merge_implIS3_N6thrust23THRUST_200600_302600_NS6detail15normal_iteratorINS9_10device_ptrIsEEEEPS5_jNS1_19radix_merge_compareILb0ELb1EsNS0_19identity_decomposerEEEEE10hipError_tT0_T1_T2_jT3_P12ihipStream_tbPNSt15iterator_traitsISK_E10value_typeEPNSQ_ISL_E10value_typeEPSM_NS1_7vsmem_tEENKUlT_SK_SL_SM_E_clIPsSE_SF_SF_EESJ_SZ_SK_SL_SM_EUlSZ_E_NS1_11comp_targetILNS1_3genE8ELNS1_11target_archE1030ELNS1_3gpuE2ELNS1_3repE0EEENS1_48merge_mergepath_partition_config_static_selectorELNS0_4arch9wavefront6targetE1EEEvSL_,@function
_ZN7rocprim17ROCPRIM_400000_NS6detail17trampoline_kernelINS0_14default_configENS1_38merge_sort_block_merge_config_selectorIsNS0_10empty_typeEEEZZNS1_27merge_sort_block_merge_implIS3_N6thrust23THRUST_200600_302600_NS6detail15normal_iteratorINS9_10device_ptrIsEEEEPS5_jNS1_19radix_merge_compareILb0ELb1EsNS0_19identity_decomposerEEEEE10hipError_tT0_T1_T2_jT3_P12ihipStream_tbPNSt15iterator_traitsISK_E10value_typeEPNSQ_ISL_E10value_typeEPSM_NS1_7vsmem_tEENKUlT_SK_SL_SM_E_clIPsSE_SF_SF_EESJ_SZ_SK_SL_SM_EUlSZ_E_NS1_11comp_targetILNS1_3genE8ELNS1_11target_archE1030ELNS1_3gpuE2ELNS1_3repE0EEENS1_48merge_mergepath_partition_config_static_selectorELNS0_4arch9wavefront6targetE1EEEvSL_: ; @_ZN7rocprim17ROCPRIM_400000_NS6detail17trampoline_kernelINS0_14default_configENS1_38merge_sort_block_merge_config_selectorIsNS0_10empty_typeEEEZZNS1_27merge_sort_block_merge_implIS3_N6thrust23THRUST_200600_302600_NS6detail15normal_iteratorINS9_10device_ptrIsEEEEPS5_jNS1_19radix_merge_compareILb0ELb1EsNS0_19identity_decomposerEEEEE10hipError_tT0_T1_T2_jT3_P12ihipStream_tbPNSt15iterator_traitsISK_E10value_typeEPNSQ_ISL_E10value_typeEPSM_NS1_7vsmem_tEENKUlT_SK_SL_SM_E_clIPsSE_SF_SF_EESJ_SZ_SK_SL_SM_EUlSZ_E_NS1_11comp_targetILNS1_3genE8ELNS1_11target_archE1030ELNS1_3gpuE2ELNS1_3repE0EEENS1_48merge_mergepath_partition_config_static_selectorELNS0_4arch9wavefront6targetE1EEEvSL_
; %bb.0:
	.section	.rodata,"a",@progbits
	.p2align	6, 0x0
	.amdhsa_kernel _ZN7rocprim17ROCPRIM_400000_NS6detail17trampoline_kernelINS0_14default_configENS1_38merge_sort_block_merge_config_selectorIsNS0_10empty_typeEEEZZNS1_27merge_sort_block_merge_implIS3_N6thrust23THRUST_200600_302600_NS6detail15normal_iteratorINS9_10device_ptrIsEEEEPS5_jNS1_19radix_merge_compareILb0ELb1EsNS0_19identity_decomposerEEEEE10hipError_tT0_T1_T2_jT3_P12ihipStream_tbPNSt15iterator_traitsISK_E10value_typeEPNSQ_ISL_E10value_typeEPSM_NS1_7vsmem_tEENKUlT_SK_SL_SM_E_clIPsSE_SF_SF_EESJ_SZ_SK_SL_SM_EUlSZ_E_NS1_11comp_targetILNS1_3genE8ELNS1_11target_archE1030ELNS1_3gpuE2ELNS1_3repE0EEENS1_48merge_mergepath_partition_config_static_selectorELNS0_4arch9wavefront6targetE1EEEvSL_
		.amdhsa_group_segment_fixed_size 0
		.amdhsa_private_segment_fixed_size 0
		.amdhsa_kernarg_size 40
		.amdhsa_user_sgpr_count 2
		.amdhsa_user_sgpr_dispatch_ptr 0
		.amdhsa_user_sgpr_queue_ptr 0
		.amdhsa_user_sgpr_kernarg_segment_ptr 1
		.amdhsa_user_sgpr_dispatch_id 0
		.amdhsa_user_sgpr_kernarg_preload_length 0
		.amdhsa_user_sgpr_kernarg_preload_offset 0
		.amdhsa_user_sgpr_private_segment_size 0
		.amdhsa_uses_dynamic_stack 0
		.amdhsa_enable_private_segment 0
		.amdhsa_system_sgpr_workgroup_id_x 1
		.amdhsa_system_sgpr_workgroup_id_y 0
		.amdhsa_system_sgpr_workgroup_id_z 0
		.amdhsa_system_sgpr_workgroup_info 0
		.amdhsa_system_vgpr_workitem_id 0
		.amdhsa_next_free_vgpr 1
		.amdhsa_next_free_sgpr 0
		.amdhsa_accum_offset 4
		.amdhsa_reserve_vcc 0
		.amdhsa_float_round_mode_32 0
		.amdhsa_float_round_mode_16_64 0
		.amdhsa_float_denorm_mode_32 3
		.amdhsa_float_denorm_mode_16_64 3
		.amdhsa_dx10_clamp 1
		.amdhsa_ieee_mode 1
		.amdhsa_fp16_overflow 0
		.amdhsa_tg_split 0
		.amdhsa_exception_fp_ieee_invalid_op 0
		.amdhsa_exception_fp_denorm_src 0
		.amdhsa_exception_fp_ieee_div_zero 0
		.amdhsa_exception_fp_ieee_overflow 0
		.amdhsa_exception_fp_ieee_underflow 0
		.amdhsa_exception_fp_ieee_inexact 0
		.amdhsa_exception_int_div_zero 0
	.end_amdhsa_kernel
	.section	.text._ZN7rocprim17ROCPRIM_400000_NS6detail17trampoline_kernelINS0_14default_configENS1_38merge_sort_block_merge_config_selectorIsNS0_10empty_typeEEEZZNS1_27merge_sort_block_merge_implIS3_N6thrust23THRUST_200600_302600_NS6detail15normal_iteratorINS9_10device_ptrIsEEEEPS5_jNS1_19radix_merge_compareILb0ELb1EsNS0_19identity_decomposerEEEEE10hipError_tT0_T1_T2_jT3_P12ihipStream_tbPNSt15iterator_traitsISK_E10value_typeEPNSQ_ISL_E10value_typeEPSM_NS1_7vsmem_tEENKUlT_SK_SL_SM_E_clIPsSE_SF_SF_EESJ_SZ_SK_SL_SM_EUlSZ_E_NS1_11comp_targetILNS1_3genE8ELNS1_11target_archE1030ELNS1_3gpuE2ELNS1_3repE0EEENS1_48merge_mergepath_partition_config_static_selectorELNS0_4arch9wavefront6targetE1EEEvSL_,"axG",@progbits,_ZN7rocprim17ROCPRIM_400000_NS6detail17trampoline_kernelINS0_14default_configENS1_38merge_sort_block_merge_config_selectorIsNS0_10empty_typeEEEZZNS1_27merge_sort_block_merge_implIS3_N6thrust23THRUST_200600_302600_NS6detail15normal_iteratorINS9_10device_ptrIsEEEEPS5_jNS1_19radix_merge_compareILb0ELb1EsNS0_19identity_decomposerEEEEE10hipError_tT0_T1_T2_jT3_P12ihipStream_tbPNSt15iterator_traitsISK_E10value_typeEPNSQ_ISL_E10value_typeEPSM_NS1_7vsmem_tEENKUlT_SK_SL_SM_E_clIPsSE_SF_SF_EESJ_SZ_SK_SL_SM_EUlSZ_E_NS1_11comp_targetILNS1_3genE8ELNS1_11target_archE1030ELNS1_3gpuE2ELNS1_3repE0EEENS1_48merge_mergepath_partition_config_static_selectorELNS0_4arch9wavefront6targetE1EEEvSL_,comdat
.Lfunc_end1882:
	.size	_ZN7rocprim17ROCPRIM_400000_NS6detail17trampoline_kernelINS0_14default_configENS1_38merge_sort_block_merge_config_selectorIsNS0_10empty_typeEEEZZNS1_27merge_sort_block_merge_implIS3_N6thrust23THRUST_200600_302600_NS6detail15normal_iteratorINS9_10device_ptrIsEEEEPS5_jNS1_19radix_merge_compareILb0ELb1EsNS0_19identity_decomposerEEEEE10hipError_tT0_T1_T2_jT3_P12ihipStream_tbPNSt15iterator_traitsISK_E10value_typeEPNSQ_ISL_E10value_typeEPSM_NS1_7vsmem_tEENKUlT_SK_SL_SM_E_clIPsSE_SF_SF_EESJ_SZ_SK_SL_SM_EUlSZ_E_NS1_11comp_targetILNS1_3genE8ELNS1_11target_archE1030ELNS1_3gpuE2ELNS1_3repE0EEENS1_48merge_mergepath_partition_config_static_selectorELNS0_4arch9wavefront6targetE1EEEvSL_, .Lfunc_end1882-_ZN7rocprim17ROCPRIM_400000_NS6detail17trampoline_kernelINS0_14default_configENS1_38merge_sort_block_merge_config_selectorIsNS0_10empty_typeEEEZZNS1_27merge_sort_block_merge_implIS3_N6thrust23THRUST_200600_302600_NS6detail15normal_iteratorINS9_10device_ptrIsEEEEPS5_jNS1_19radix_merge_compareILb0ELb1EsNS0_19identity_decomposerEEEEE10hipError_tT0_T1_T2_jT3_P12ihipStream_tbPNSt15iterator_traitsISK_E10value_typeEPNSQ_ISL_E10value_typeEPSM_NS1_7vsmem_tEENKUlT_SK_SL_SM_E_clIPsSE_SF_SF_EESJ_SZ_SK_SL_SM_EUlSZ_E_NS1_11comp_targetILNS1_3genE8ELNS1_11target_archE1030ELNS1_3gpuE2ELNS1_3repE0EEENS1_48merge_mergepath_partition_config_static_selectorELNS0_4arch9wavefront6targetE1EEEvSL_
                                        ; -- End function
	.section	.AMDGPU.csdata,"",@progbits
; Kernel info:
; codeLenInByte = 0
; NumSgprs: 6
; NumVgprs: 0
; NumAgprs: 0
; TotalNumVgprs: 0
; ScratchSize: 0
; MemoryBound: 0
; FloatMode: 240
; IeeeMode: 1
; LDSByteSize: 0 bytes/workgroup (compile time only)
; SGPRBlocks: 0
; VGPRBlocks: 0
; NumSGPRsForWavesPerEU: 6
; NumVGPRsForWavesPerEU: 1
; AccumOffset: 4
; Occupancy: 8
; WaveLimiterHint : 0
; COMPUTE_PGM_RSRC2:SCRATCH_EN: 0
; COMPUTE_PGM_RSRC2:USER_SGPR: 2
; COMPUTE_PGM_RSRC2:TRAP_HANDLER: 0
; COMPUTE_PGM_RSRC2:TGID_X_EN: 1
; COMPUTE_PGM_RSRC2:TGID_Y_EN: 0
; COMPUTE_PGM_RSRC2:TGID_Z_EN: 0
; COMPUTE_PGM_RSRC2:TIDIG_COMP_CNT: 0
; COMPUTE_PGM_RSRC3_GFX90A:ACCUM_OFFSET: 0
; COMPUTE_PGM_RSRC3_GFX90A:TG_SPLIT: 0
	.section	.text._ZN7rocprim17ROCPRIM_400000_NS6detail17trampoline_kernelINS0_14default_configENS1_38merge_sort_block_merge_config_selectorIsNS0_10empty_typeEEEZZNS1_27merge_sort_block_merge_implIS3_N6thrust23THRUST_200600_302600_NS6detail15normal_iteratorINS9_10device_ptrIsEEEEPS5_jNS1_19radix_merge_compareILb0ELb1EsNS0_19identity_decomposerEEEEE10hipError_tT0_T1_T2_jT3_P12ihipStream_tbPNSt15iterator_traitsISK_E10value_typeEPNSQ_ISL_E10value_typeEPSM_NS1_7vsmem_tEENKUlT_SK_SL_SM_E_clIPsSE_SF_SF_EESJ_SZ_SK_SL_SM_EUlSZ_E0_NS1_11comp_targetILNS1_3genE0ELNS1_11target_archE4294967295ELNS1_3gpuE0ELNS1_3repE0EEENS1_38merge_mergepath_config_static_selectorELNS0_4arch9wavefront6targetE1EEEvSL_,"axG",@progbits,_ZN7rocprim17ROCPRIM_400000_NS6detail17trampoline_kernelINS0_14default_configENS1_38merge_sort_block_merge_config_selectorIsNS0_10empty_typeEEEZZNS1_27merge_sort_block_merge_implIS3_N6thrust23THRUST_200600_302600_NS6detail15normal_iteratorINS9_10device_ptrIsEEEEPS5_jNS1_19radix_merge_compareILb0ELb1EsNS0_19identity_decomposerEEEEE10hipError_tT0_T1_T2_jT3_P12ihipStream_tbPNSt15iterator_traitsISK_E10value_typeEPNSQ_ISL_E10value_typeEPSM_NS1_7vsmem_tEENKUlT_SK_SL_SM_E_clIPsSE_SF_SF_EESJ_SZ_SK_SL_SM_EUlSZ_E0_NS1_11comp_targetILNS1_3genE0ELNS1_11target_archE4294967295ELNS1_3gpuE0ELNS1_3repE0EEENS1_38merge_mergepath_config_static_selectorELNS0_4arch9wavefront6targetE1EEEvSL_,comdat
	.protected	_ZN7rocprim17ROCPRIM_400000_NS6detail17trampoline_kernelINS0_14default_configENS1_38merge_sort_block_merge_config_selectorIsNS0_10empty_typeEEEZZNS1_27merge_sort_block_merge_implIS3_N6thrust23THRUST_200600_302600_NS6detail15normal_iteratorINS9_10device_ptrIsEEEEPS5_jNS1_19radix_merge_compareILb0ELb1EsNS0_19identity_decomposerEEEEE10hipError_tT0_T1_T2_jT3_P12ihipStream_tbPNSt15iterator_traitsISK_E10value_typeEPNSQ_ISL_E10value_typeEPSM_NS1_7vsmem_tEENKUlT_SK_SL_SM_E_clIPsSE_SF_SF_EESJ_SZ_SK_SL_SM_EUlSZ_E0_NS1_11comp_targetILNS1_3genE0ELNS1_11target_archE4294967295ELNS1_3gpuE0ELNS1_3repE0EEENS1_38merge_mergepath_config_static_selectorELNS0_4arch9wavefront6targetE1EEEvSL_ ; -- Begin function _ZN7rocprim17ROCPRIM_400000_NS6detail17trampoline_kernelINS0_14default_configENS1_38merge_sort_block_merge_config_selectorIsNS0_10empty_typeEEEZZNS1_27merge_sort_block_merge_implIS3_N6thrust23THRUST_200600_302600_NS6detail15normal_iteratorINS9_10device_ptrIsEEEEPS5_jNS1_19radix_merge_compareILb0ELb1EsNS0_19identity_decomposerEEEEE10hipError_tT0_T1_T2_jT3_P12ihipStream_tbPNSt15iterator_traitsISK_E10value_typeEPNSQ_ISL_E10value_typeEPSM_NS1_7vsmem_tEENKUlT_SK_SL_SM_E_clIPsSE_SF_SF_EESJ_SZ_SK_SL_SM_EUlSZ_E0_NS1_11comp_targetILNS1_3genE0ELNS1_11target_archE4294967295ELNS1_3gpuE0ELNS1_3repE0EEENS1_38merge_mergepath_config_static_selectorELNS0_4arch9wavefront6targetE1EEEvSL_
	.globl	_ZN7rocprim17ROCPRIM_400000_NS6detail17trampoline_kernelINS0_14default_configENS1_38merge_sort_block_merge_config_selectorIsNS0_10empty_typeEEEZZNS1_27merge_sort_block_merge_implIS3_N6thrust23THRUST_200600_302600_NS6detail15normal_iteratorINS9_10device_ptrIsEEEEPS5_jNS1_19radix_merge_compareILb0ELb1EsNS0_19identity_decomposerEEEEE10hipError_tT0_T1_T2_jT3_P12ihipStream_tbPNSt15iterator_traitsISK_E10value_typeEPNSQ_ISL_E10value_typeEPSM_NS1_7vsmem_tEENKUlT_SK_SL_SM_E_clIPsSE_SF_SF_EESJ_SZ_SK_SL_SM_EUlSZ_E0_NS1_11comp_targetILNS1_3genE0ELNS1_11target_archE4294967295ELNS1_3gpuE0ELNS1_3repE0EEENS1_38merge_mergepath_config_static_selectorELNS0_4arch9wavefront6targetE1EEEvSL_
	.p2align	8
	.type	_ZN7rocprim17ROCPRIM_400000_NS6detail17trampoline_kernelINS0_14default_configENS1_38merge_sort_block_merge_config_selectorIsNS0_10empty_typeEEEZZNS1_27merge_sort_block_merge_implIS3_N6thrust23THRUST_200600_302600_NS6detail15normal_iteratorINS9_10device_ptrIsEEEEPS5_jNS1_19radix_merge_compareILb0ELb1EsNS0_19identity_decomposerEEEEE10hipError_tT0_T1_T2_jT3_P12ihipStream_tbPNSt15iterator_traitsISK_E10value_typeEPNSQ_ISL_E10value_typeEPSM_NS1_7vsmem_tEENKUlT_SK_SL_SM_E_clIPsSE_SF_SF_EESJ_SZ_SK_SL_SM_EUlSZ_E0_NS1_11comp_targetILNS1_3genE0ELNS1_11target_archE4294967295ELNS1_3gpuE0ELNS1_3repE0EEENS1_38merge_mergepath_config_static_selectorELNS0_4arch9wavefront6targetE1EEEvSL_,@function
_ZN7rocprim17ROCPRIM_400000_NS6detail17trampoline_kernelINS0_14default_configENS1_38merge_sort_block_merge_config_selectorIsNS0_10empty_typeEEEZZNS1_27merge_sort_block_merge_implIS3_N6thrust23THRUST_200600_302600_NS6detail15normal_iteratorINS9_10device_ptrIsEEEEPS5_jNS1_19radix_merge_compareILb0ELb1EsNS0_19identity_decomposerEEEEE10hipError_tT0_T1_T2_jT3_P12ihipStream_tbPNSt15iterator_traitsISK_E10value_typeEPNSQ_ISL_E10value_typeEPSM_NS1_7vsmem_tEENKUlT_SK_SL_SM_E_clIPsSE_SF_SF_EESJ_SZ_SK_SL_SM_EUlSZ_E0_NS1_11comp_targetILNS1_3genE0ELNS1_11target_archE4294967295ELNS1_3gpuE0ELNS1_3repE0EEENS1_38merge_mergepath_config_static_selectorELNS0_4arch9wavefront6targetE1EEEvSL_: ; @_ZN7rocprim17ROCPRIM_400000_NS6detail17trampoline_kernelINS0_14default_configENS1_38merge_sort_block_merge_config_selectorIsNS0_10empty_typeEEEZZNS1_27merge_sort_block_merge_implIS3_N6thrust23THRUST_200600_302600_NS6detail15normal_iteratorINS9_10device_ptrIsEEEEPS5_jNS1_19radix_merge_compareILb0ELb1EsNS0_19identity_decomposerEEEEE10hipError_tT0_T1_T2_jT3_P12ihipStream_tbPNSt15iterator_traitsISK_E10value_typeEPNSQ_ISL_E10value_typeEPSM_NS1_7vsmem_tEENKUlT_SK_SL_SM_E_clIPsSE_SF_SF_EESJ_SZ_SK_SL_SM_EUlSZ_E0_NS1_11comp_targetILNS1_3genE0ELNS1_11target_archE4294967295ELNS1_3gpuE0ELNS1_3repE0EEENS1_38merge_mergepath_config_static_selectorELNS0_4arch9wavefront6targetE1EEEvSL_
; %bb.0:
	.section	.rodata,"a",@progbits
	.p2align	6, 0x0
	.amdhsa_kernel _ZN7rocprim17ROCPRIM_400000_NS6detail17trampoline_kernelINS0_14default_configENS1_38merge_sort_block_merge_config_selectorIsNS0_10empty_typeEEEZZNS1_27merge_sort_block_merge_implIS3_N6thrust23THRUST_200600_302600_NS6detail15normal_iteratorINS9_10device_ptrIsEEEEPS5_jNS1_19radix_merge_compareILb0ELb1EsNS0_19identity_decomposerEEEEE10hipError_tT0_T1_T2_jT3_P12ihipStream_tbPNSt15iterator_traitsISK_E10value_typeEPNSQ_ISL_E10value_typeEPSM_NS1_7vsmem_tEENKUlT_SK_SL_SM_E_clIPsSE_SF_SF_EESJ_SZ_SK_SL_SM_EUlSZ_E0_NS1_11comp_targetILNS1_3genE0ELNS1_11target_archE4294967295ELNS1_3gpuE0ELNS1_3repE0EEENS1_38merge_mergepath_config_static_selectorELNS0_4arch9wavefront6targetE1EEEvSL_
		.amdhsa_group_segment_fixed_size 0
		.amdhsa_private_segment_fixed_size 0
		.amdhsa_kernarg_size 64
		.amdhsa_user_sgpr_count 2
		.amdhsa_user_sgpr_dispatch_ptr 0
		.amdhsa_user_sgpr_queue_ptr 0
		.amdhsa_user_sgpr_kernarg_segment_ptr 1
		.amdhsa_user_sgpr_dispatch_id 0
		.amdhsa_user_sgpr_kernarg_preload_length 0
		.amdhsa_user_sgpr_kernarg_preload_offset 0
		.amdhsa_user_sgpr_private_segment_size 0
		.amdhsa_uses_dynamic_stack 0
		.amdhsa_enable_private_segment 0
		.amdhsa_system_sgpr_workgroup_id_x 1
		.amdhsa_system_sgpr_workgroup_id_y 0
		.amdhsa_system_sgpr_workgroup_id_z 0
		.amdhsa_system_sgpr_workgroup_info 0
		.amdhsa_system_vgpr_workitem_id 0
		.amdhsa_next_free_vgpr 1
		.amdhsa_next_free_sgpr 0
		.amdhsa_accum_offset 4
		.amdhsa_reserve_vcc 0
		.amdhsa_float_round_mode_32 0
		.amdhsa_float_round_mode_16_64 0
		.amdhsa_float_denorm_mode_32 3
		.amdhsa_float_denorm_mode_16_64 3
		.amdhsa_dx10_clamp 1
		.amdhsa_ieee_mode 1
		.amdhsa_fp16_overflow 0
		.amdhsa_tg_split 0
		.amdhsa_exception_fp_ieee_invalid_op 0
		.amdhsa_exception_fp_denorm_src 0
		.amdhsa_exception_fp_ieee_div_zero 0
		.amdhsa_exception_fp_ieee_overflow 0
		.amdhsa_exception_fp_ieee_underflow 0
		.amdhsa_exception_fp_ieee_inexact 0
		.amdhsa_exception_int_div_zero 0
	.end_amdhsa_kernel
	.section	.text._ZN7rocprim17ROCPRIM_400000_NS6detail17trampoline_kernelINS0_14default_configENS1_38merge_sort_block_merge_config_selectorIsNS0_10empty_typeEEEZZNS1_27merge_sort_block_merge_implIS3_N6thrust23THRUST_200600_302600_NS6detail15normal_iteratorINS9_10device_ptrIsEEEEPS5_jNS1_19radix_merge_compareILb0ELb1EsNS0_19identity_decomposerEEEEE10hipError_tT0_T1_T2_jT3_P12ihipStream_tbPNSt15iterator_traitsISK_E10value_typeEPNSQ_ISL_E10value_typeEPSM_NS1_7vsmem_tEENKUlT_SK_SL_SM_E_clIPsSE_SF_SF_EESJ_SZ_SK_SL_SM_EUlSZ_E0_NS1_11comp_targetILNS1_3genE0ELNS1_11target_archE4294967295ELNS1_3gpuE0ELNS1_3repE0EEENS1_38merge_mergepath_config_static_selectorELNS0_4arch9wavefront6targetE1EEEvSL_,"axG",@progbits,_ZN7rocprim17ROCPRIM_400000_NS6detail17trampoline_kernelINS0_14default_configENS1_38merge_sort_block_merge_config_selectorIsNS0_10empty_typeEEEZZNS1_27merge_sort_block_merge_implIS3_N6thrust23THRUST_200600_302600_NS6detail15normal_iteratorINS9_10device_ptrIsEEEEPS5_jNS1_19radix_merge_compareILb0ELb1EsNS0_19identity_decomposerEEEEE10hipError_tT0_T1_T2_jT3_P12ihipStream_tbPNSt15iterator_traitsISK_E10value_typeEPNSQ_ISL_E10value_typeEPSM_NS1_7vsmem_tEENKUlT_SK_SL_SM_E_clIPsSE_SF_SF_EESJ_SZ_SK_SL_SM_EUlSZ_E0_NS1_11comp_targetILNS1_3genE0ELNS1_11target_archE4294967295ELNS1_3gpuE0ELNS1_3repE0EEENS1_38merge_mergepath_config_static_selectorELNS0_4arch9wavefront6targetE1EEEvSL_,comdat
.Lfunc_end1883:
	.size	_ZN7rocprim17ROCPRIM_400000_NS6detail17trampoline_kernelINS0_14default_configENS1_38merge_sort_block_merge_config_selectorIsNS0_10empty_typeEEEZZNS1_27merge_sort_block_merge_implIS3_N6thrust23THRUST_200600_302600_NS6detail15normal_iteratorINS9_10device_ptrIsEEEEPS5_jNS1_19radix_merge_compareILb0ELb1EsNS0_19identity_decomposerEEEEE10hipError_tT0_T1_T2_jT3_P12ihipStream_tbPNSt15iterator_traitsISK_E10value_typeEPNSQ_ISL_E10value_typeEPSM_NS1_7vsmem_tEENKUlT_SK_SL_SM_E_clIPsSE_SF_SF_EESJ_SZ_SK_SL_SM_EUlSZ_E0_NS1_11comp_targetILNS1_3genE0ELNS1_11target_archE4294967295ELNS1_3gpuE0ELNS1_3repE0EEENS1_38merge_mergepath_config_static_selectorELNS0_4arch9wavefront6targetE1EEEvSL_, .Lfunc_end1883-_ZN7rocprim17ROCPRIM_400000_NS6detail17trampoline_kernelINS0_14default_configENS1_38merge_sort_block_merge_config_selectorIsNS0_10empty_typeEEEZZNS1_27merge_sort_block_merge_implIS3_N6thrust23THRUST_200600_302600_NS6detail15normal_iteratorINS9_10device_ptrIsEEEEPS5_jNS1_19radix_merge_compareILb0ELb1EsNS0_19identity_decomposerEEEEE10hipError_tT0_T1_T2_jT3_P12ihipStream_tbPNSt15iterator_traitsISK_E10value_typeEPNSQ_ISL_E10value_typeEPSM_NS1_7vsmem_tEENKUlT_SK_SL_SM_E_clIPsSE_SF_SF_EESJ_SZ_SK_SL_SM_EUlSZ_E0_NS1_11comp_targetILNS1_3genE0ELNS1_11target_archE4294967295ELNS1_3gpuE0ELNS1_3repE0EEENS1_38merge_mergepath_config_static_selectorELNS0_4arch9wavefront6targetE1EEEvSL_
                                        ; -- End function
	.section	.AMDGPU.csdata,"",@progbits
; Kernel info:
; codeLenInByte = 0
; NumSgprs: 6
; NumVgprs: 0
; NumAgprs: 0
; TotalNumVgprs: 0
; ScratchSize: 0
; MemoryBound: 0
; FloatMode: 240
; IeeeMode: 1
; LDSByteSize: 0 bytes/workgroup (compile time only)
; SGPRBlocks: 0
; VGPRBlocks: 0
; NumSGPRsForWavesPerEU: 6
; NumVGPRsForWavesPerEU: 1
; AccumOffset: 4
; Occupancy: 8
; WaveLimiterHint : 0
; COMPUTE_PGM_RSRC2:SCRATCH_EN: 0
; COMPUTE_PGM_RSRC2:USER_SGPR: 2
; COMPUTE_PGM_RSRC2:TRAP_HANDLER: 0
; COMPUTE_PGM_RSRC2:TGID_X_EN: 1
; COMPUTE_PGM_RSRC2:TGID_Y_EN: 0
; COMPUTE_PGM_RSRC2:TGID_Z_EN: 0
; COMPUTE_PGM_RSRC2:TIDIG_COMP_CNT: 0
; COMPUTE_PGM_RSRC3_GFX90A:ACCUM_OFFSET: 0
; COMPUTE_PGM_RSRC3_GFX90A:TG_SPLIT: 0
	.section	.text._ZN7rocprim17ROCPRIM_400000_NS6detail17trampoline_kernelINS0_14default_configENS1_38merge_sort_block_merge_config_selectorIsNS0_10empty_typeEEEZZNS1_27merge_sort_block_merge_implIS3_N6thrust23THRUST_200600_302600_NS6detail15normal_iteratorINS9_10device_ptrIsEEEEPS5_jNS1_19radix_merge_compareILb0ELb1EsNS0_19identity_decomposerEEEEE10hipError_tT0_T1_T2_jT3_P12ihipStream_tbPNSt15iterator_traitsISK_E10value_typeEPNSQ_ISL_E10value_typeEPSM_NS1_7vsmem_tEENKUlT_SK_SL_SM_E_clIPsSE_SF_SF_EESJ_SZ_SK_SL_SM_EUlSZ_E0_NS1_11comp_targetILNS1_3genE10ELNS1_11target_archE1201ELNS1_3gpuE5ELNS1_3repE0EEENS1_38merge_mergepath_config_static_selectorELNS0_4arch9wavefront6targetE1EEEvSL_,"axG",@progbits,_ZN7rocprim17ROCPRIM_400000_NS6detail17trampoline_kernelINS0_14default_configENS1_38merge_sort_block_merge_config_selectorIsNS0_10empty_typeEEEZZNS1_27merge_sort_block_merge_implIS3_N6thrust23THRUST_200600_302600_NS6detail15normal_iteratorINS9_10device_ptrIsEEEEPS5_jNS1_19radix_merge_compareILb0ELb1EsNS0_19identity_decomposerEEEEE10hipError_tT0_T1_T2_jT3_P12ihipStream_tbPNSt15iterator_traitsISK_E10value_typeEPNSQ_ISL_E10value_typeEPSM_NS1_7vsmem_tEENKUlT_SK_SL_SM_E_clIPsSE_SF_SF_EESJ_SZ_SK_SL_SM_EUlSZ_E0_NS1_11comp_targetILNS1_3genE10ELNS1_11target_archE1201ELNS1_3gpuE5ELNS1_3repE0EEENS1_38merge_mergepath_config_static_selectorELNS0_4arch9wavefront6targetE1EEEvSL_,comdat
	.protected	_ZN7rocprim17ROCPRIM_400000_NS6detail17trampoline_kernelINS0_14default_configENS1_38merge_sort_block_merge_config_selectorIsNS0_10empty_typeEEEZZNS1_27merge_sort_block_merge_implIS3_N6thrust23THRUST_200600_302600_NS6detail15normal_iteratorINS9_10device_ptrIsEEEEPS5_jNS1_19radix_merge_compareILb0ELb1EsNS0_19identity_decomposerEEEEE10hipError_tT0_T1_T2_jT3_P12ihipStream_tbPNSt15iterator_traitsISK_E10value_typeEPNSQ_ISL_E10value_typeEPSM_NS1_7vsmem_tEENKUlT_SK_SL_SM_E_clIPsSE_SF_SF_EESJ_SZ_SK_SL_SM_EUlSZ_E0_NS1_11comp_targetILNS1_3genE10ELNS1_11target_archE1201ELNS1_3gpuE5ELNS1_3repE0EEENS1_38merge_mergepath_config_static_selectorELNS0_4arch9wavefront6targetE1EEEvSL_ ; -- Begin function _ZN7rocprim17ROCPRIM_400000_NS6detail17trampoline_kernelINS0_14default_configENS1_38merge_sort_block_merge_config_selectorIsNS0_10empty_typeEEEZZNS1_27merge_sort_block_merge_implIS3_N6thrust23THRUST_200600_302600_NS6detail15normal_iteratorINS9_10device_ptrIsEEEEPS5_jNS1_19radix_merge_compareILb0ELb1EsNS0_19identity_decomposerEEEEE10hipError_tT0_T1_T2_jT3_P12ihipStream_tbPNSt15iterator_traitsISK_E10value_typeEPNSQ_ISL_E10value_typeEPSM_NS1_7vsmem_tEENKUlT_SK_SL_SM_E_clIPsSE_SF_SF_EESJ_SZ_SK_SL_SM_EUlSZ_E0_NS1_11comp_targetILNS1_3genE10ELNS1_11target_archE1201ELNS1_3gpuE5ELNS1_3repE0EEENS1_38merge_mergepath_config_static_selectorELNS0_4arch9wavefront6targetE1EEEvSL_
	.globl	_ZN7rocprim17ROCPRIM_400000_NS6detail17trampoline_kernelINS0_14default_configENS1_38merge_sort_block_merge_config_selectorIsNS0_10empty_typeEEEZZNS1_27merge_sort_block_merge_implIS3_N6thrust23THRUST_200600_302600_NS6detail15normal_iteratorINS9_10device_ptrIsEEEEPS5_jNS1_19radix_merge_compareILb0ELb1EsNS0_19identity_decomposerEEEEE10hipError_tT0_T1_T2_jT3_P12ihipStream_tbPNSt15iterator_traitsISK_E10value_typeEPNSQ_ISL_E10value_typeEPSM_NS1_7vsmem_tEENKUlT_SK_SL_SM_E_clIPsSE_SF_SF_EESJ_SZ_SK_SL_SM_EUlSZ_E0_NS1_11comp_targetILNS1_3genE10ELNS1_11target_archE1201ELNS1_3gpuE5ELNS1_3repE0EEENS1_38merge_mergepath_config_static_selectorELNS0_4arch9wavefront6targetE1EEEvSL_
	.p2align	8
	.type	_ZN7rocprim17ROCPRIM_400000_NS6detail17trampoline_kernelINS0_14default_configENS1_38merge_sort_block_merge_config_selectorIsNS0_10empty_typeEEEZZNS1_27merge_sort_block_merge_implIS3_N6thrust23THRUST_200600_302600_NS6detail15normal_iteratorINS9_10device_ptrIsEEEEPS5_jNS1_19radix_merge_compareILb0ELb1EsNS0_19identity_decomposerEEEEE10hipError_tT0_T1_T2_jT3_P12ihipStream_tbPNSt15iterator_traitsISK_E10value_typeEPNSQ_ISL_E10value_typeEPSM_NS1_7vsmem_tEENKUlT_SK_SL_SM_E_clIPsSE_SF_SF_EESJ_SZ_SK_SL_SM_EUlSZ_E0_NS1_11comp_targetILNS1_3genE10ELNS1_11target_archE1201ELNS1_3gpuE5ELNS1_3repE0EEENS1_38merge_mergepath_config_static_selectorELNS0_4arch9wavefront6targetE1EEEvSL_,@function
_ZN7rocprim17ROCPRIM_400000_NS6detail17trampoline_kernelINS0_14default_configENS1_38merge_sort_block_merge_config_selectorIsNS0_10empty_typeEEEZZNS1_27merge_sort_block_merge_implIS3_N6thrust23THRUST_200600_302600_NS6detail15normal_iteratorINS9_10device_ptrIsEEEEPS5_jNS1_19radix_merge_compareILb0ELb1EsNS0_19identity_decomposerEEEEE10hipError_tT0_T1_T2_jT3_P12ihipStream_tbPNSt15iterator_traitsISK_E10value_typeEPNSQ_ISL_E10value_typeEPSM_NS1_7vsmem_tEENKUlT_SK_SL_SM_E_clIPsSE_SF_SF_EESJ_SZ_SK_SL_SM_EUlSZ_E0_NS1_11comp_targetILNS1_3genE10ELNS1_11target_archE1201ELNS1_3gpuE5ELNS1_3repE0EEENS1_38merge_mergepath_config_static_selectorELNS0_4arch9wavefront6targetE1EEEvSL_: ; @_ZN7rocprim17ROCPRIM_400000_NS6detail17trampoline_kernelINS0_14default_configENS1_38merge_sort_block_merge_config_selectorIsNS0_10empty_typeEEEZZNS1_27merge_sort_block_merge_implIS3_N6thrust23THRUST_200600_302600_NS6detail15normal_iteratorINS9_10device_ptrIsEEEEPS5_jNS1_19radix_merge_compareILb0ELb1EsNS0_19identity_decomposerEEEEE10hipError_tT0_T1_T2_jT3_P12ihipStream_tbPNSt15iterator_traitsISK_E10value_typeEPNSQ_ISL_E10value_typeEPSM_NS1_7vsmem_tEENKUlT_SK_SL_SM_E_clIPsSE_SF_SF_EESJ_SZ_SK_SL_SM_EUlSZ_E0_NS1_11comp_targetILNS1_3genE10ELNS1_11target_archE1201ELNS1_3gpuE5ELNS1_3repE0EEENS1_38merge_mergepath_config_static_selectorELNS0_4arch9wavefront6targetE1EEEvSL_
; %bb.0:
	.section	.rodata,"a",@progbits
	.p2align	6, 0x0
	.amdhsa_kernel _ZN7rocprim17ROCPRIM_400000_NS6detail17trampoline_kernelINS0_14default_configENS1_38merge_sort_block_merge_config_selectorIsNS0_10empty_typeEEEZZNS1_27merge_sort_block_merge_implIS3_N6thrust23THRUST_200600_302600_NS6detail15normal_iteratorINS9_10device_ptrIsEEEEPS5_jNS1_19radix_merge_compareILb0ELb1EsNS0_19identity_decomposerEEEEE10hipError_tT0_T1_T2_jT3_P12ihipStream_tbPNSt15iterator_traitsISK_E10value_typeEPNSQ_ISL_E10value_typeEPSM_NS1_7vsmem_tEENKUlT_SK_SL_SM_E_clIPsSE_SF_SF_EESJ_SZ_SK_SL_SM_EUlSZ_E0_NS1_11comp_targetILNS1_3genE10ELNS1_11target_archE1201ELNS1_3gpuE5ELNS1_3repE0EEENS1_38merge_mergepath_config_static_selectorELNS0_4arch9wavefront6targetE1EEEvSL_
		.amdhsa_group_segment_fixed_size 0
		.amdhsa_private_segment_fixed_size 0
		.amdhsa_kernarg_size 64
		.amdhsa_user_sgpr_count 2
		.amdhsa_user_sgpr_dispatch_ptr 0
		.amdhsa_user_sgpr_queue_ptr 0
		.amdhsa_user_sgpr_kernarg_segment_ptr 1
		.amdhsa_user_sgpr_dispatch_id 0
		.amdhsa_user_sgpr_kernarg_preload_length 0
		.amdhsa_user_sgpr_kernarg_preload_offset 0
		.amdhsa_user_sgpr_private_segment_size 0
		.amdhsa_uses_dynamic_stack 0
		.amdhsa_enable_private_segment 0
		.amdhsa_system_sgpr_workgroup_id_x 1
		.amdhsa_system_sgpr_workgroup_id_y 0
		.amdhsa_system_sgpr_workgroup_id_z 0
		.amdhsa_system_sgpr_workgroup_info 0
		.amdhsa_system_vgpr_workitem_id 0
		.amdhsa_next_free_vgpr 1
		.amdhsa_next_free_sgpr 0
		.amdhsa_accum_offset 4
		.amdhsa_reserve_vcc 0
		.amdhsa_float_round_mode_32 0
		.amdhsa_float_round_mode_16_64 0
		.amdhsa_float_denorm_mode_32 3
		.amdhsa_float_denorm_mode_16_64 3
		.amdhsa_dx10_clamp 1
		.amdhsa_ieee_mode 1
		.amdhsa_fp16_overflow 0
		.amdhsa_tg_split 0
		.amdhsa_exception_fp_ieee_invalid_op 0
		.amdhsa_exception_fp_denorm_src 0
		.amdhsa_exception_fp_ieee_div_zero 0
		.amdhsa_exception_fp_ieee_overflow 0
		.amdhsa_exception_fp_ieee_underflow 0
		.amdhsa_exception_fp_ieee_inexact 0
		.amdhsa_exception_int_div_zero 0
	.end_amdhsa_kernel
	.section	.text._ZN7rocprim17ROCPRIM_400000_NS6detail17trampoline_kernelINS0_14default_configENS1_38merge_sort_block_merge_config_selectorIsNS0_10empty_typeEEEZZNS1_27merge_sort_block_merge_implIS3_N6thrust23THRUST_200600_302600_NS6detail15normal_iteratorINS9_10device_ptrIsEEEEPS5_jNS1_19radix_merge_compareILb0ELb1EsNS0_19identity_decomposerEEEEE10hipError_tT0_T1_T2_jT3_P12ihipStream_tbPNSt15iterator_traitsISK_E10value_typeEPNSQ_ISL_E10value_typeEPSM_NS1_7vsmem_tEENKUlT_SK_SL_SM_E_clIPsSE_SF_SF_EESJ_SZ_SK_SL_SM_EUlSZ_E0_NS1_11comp_targetILNS1_3genE10ELNS1_11target_archE1201ELNS1_3gpuE5ELNS1_3repE0EEENS1_38merge_mergepath_config_static_selectorELNS0_4arch9wavefront6targetE1EEEvSL_,"axG",@progbits,_ZN7rocprim17ROCPRIM_400000_NS6detail17trampoline_kernelINS0_14default_configENS1_38merge_sort_block_merge_config_selectorIsNS0_10empty_typeEEEZZNS1_27merge_sort_block_merge_implIS3_N6thrust23THRUST_200600_302600_NS6detail15normal_iteratorINS9_10device_ptrIsEEEEPS5_jNS1_19radix_merge_compareILb0ELb1EsNS0_19identity_decomposerEEEEE10hipError_tT0_T1_T2_jT3_P12ihipStream_tbPNSt15iterator_traitsISK_E10value_typeEPNSQ_ISL_E10value_typeEPSM_NS1_7vsmem_tEENKUlT_SK_SL_SM_E_clIPsSE_SF_SF_EESJ_SZ_SK_SL_SM_EUlSZ_E0_NS1_11comp_targetILNS1_3genE10ELNS1_11target_archE1201ELNS1_3gpuE5ELNS1_3repE0EEENS1_38merge_mergepath_config_static_selectorELNS0_4arch9wavefront6targetE1EEEvSL_,comdat
.Lfunc_end1884:
	.size	_ZN7rocprim17ROCPRIM_400000_NS6detail17trampoline_kernelINS0_14default_configENS1_38merge_sort_block_merge_config_selectorIsNS0_10empty_typeEEEZZNS1_27merge_sort_block_merge_implIS3_N6thrust23THRUST_200600_302600_NS6detail15normal_iteratorINS9_10device_ptrIsEEEEPS5_jNS1_19radix_merge_compareILb0ELb1EsNS0_19identity_decomposerEEEEE10hipError_tT0_T1_T2_jT3_P12ihipStream_tbPNSt15iterator_traitsISK_E10value_typeEPNSQ_ISL_E10value_typeEPSM_NS1_7vsmem_tEENKUlT_SK_SL_SM_E_clIPsSE_SF_SF_EESJ_SZ_SK_SL_SM_EUlSZ_E0_NS1_11comp_targetILNS1_3genE10ELNS1_11target_archE1201ELNS1_3gpuE5ELNS1_3repE0EEENS1_38merge_mergepath_config_static_selectorELNS0_4arch9wavefront6targetE1EEEvSL_, .Lfunc_end1884-_ZN7rocprim17ROCPRIM_400000_NS6detail17trampoline_kernelINS0_14default_configENS1_38merge_sort_block_merge_config_selectorIsNS0_10empty_typeEEEZZNS1_27merge_sort_block_merge_implIS3_N6thrust23THRUST_200600_302600_NS6detail15normal_iteratorINS9_10device_ptrIsEEEEPS5_jNS1_19radix_merge_compareILb0ELb1EsNS0_19identity_decomposerEEEEE10hipError_tT0_T1_T2_jT3_P12ihipStream_tbPNSt15iterator_traitsISK_E10value_typeEPNSQ_ISL_E10value_typeEPSM_NS1_7vsmem_tEENKUlT_SK_SL_SM_E_clIPsSE_SF_SF_EESJ_SZ_SK_SL_SM_EUlSZ_E0_NS1_11comp_targetILNS1_3genE10ELNS1_11target_archE1201ELNS1_3gpuE5ELNS1_3repE0EEENS1_38merge_mergepath_config_static_selectorELNS0_4arch9wavefront6targetE1EEEvSL_
                                        ; -- End function
	.section	.AMDGPU.csdata,"",@progbits
; Kernel info:
; codeLenInByte = 0
; NumSgprs: 6
; NumVgprs: 0
; NumAgprs: 0
; TotalNumVgprs: 0
; ScratchSize: 0
; MemoryBound: 0
; FloatMode: 240
; IeeeMode: 1
; LDSByteSize: 0 bytes/workgroup (compile time only)
; SGPRBlocks: 0
; VGPRBlocks: 0
; NumSGPRsForWavesPerEU: 6
; NumVGPRsForWavesPerEU: 1
; AccumOffset: 4
; Occupancy: 8
; WaveLimiterHint : 0
; COMPUTE_PGM_RSRC2:SCRATCH_EN: 0
; COMPUTE_PGM_RSRC2:USER_SGPR: 2
; COMPUTE_PGM_RSRC2:TRAP_HANDLER: 0
; COMPUTE_PGM_RSRC2:TGID_X_EN: 1
; COMPUTE_PGM_RSRC2:TGID_Y_EN: 0
; COMPUTE_PGM_RSRC2:TGID_Z_EN: 0
; COMPUTE_PGM_RSRC2:TIDIG_COMP_CNT: 0
; COMPUTE_PGM_RSRC3_GFX90A:ACCUM_OFFSET: 0
; COMPUTE_PGM_RSRC3_GFX90A:TG_SPLIT: 0
	.section	.text._ZN7rocprim17ROCPRIM_400000_NS6detail17trampoline_kernelINS0_14default_configENS1_38merge_sort_block_merge_config_selectorIsNS0_10empty_typeEEEZZNS1_27merge_sort_block_merge_implIS3_N6thrust23THRUST_200600_302600_NS6detail15normal_iteratorINS9_10device_ptrIsEEEEPS5_jNS1_19radix_merge_compareILb0ELb1EsNS0_19identity_decomposerEEEEE10hipError_tT0_T1_T2_jT3_P12ihipStream_tbPNSt15iterator_traitsISK_E10value_typeEPNSQ_ISL_E10value_typeEPSM_NS1_7vsmem_tEENKUlT_SK_SL_SM_E_clIPsSE_SF_SF_EESJ_SZ_SK_SL_SM_EUlSZ_E0_NS1_11comp_targetILNS1_3genE5ELNS1_11target_archE942ELNS1_3gpuE9ELNS1_3repE0EEENS1_38merge_mergepath_config_static_selectorELNS0_4arch9wavefront6targetE1EEEvSL_,"axG",@progbits,_ZN7rocprim17ROCPRIM_400000_NS6detail17trampoline_kernelINS0_14default_configENS1_38merge_sort_block_merge_config_selectorIsNS0_10empty_typeEEEZZNS1_27merge_sort_block_merge_implIS3_N6thrust23THRUST_200600_302600_NS6detail15normal_iteratorINS9_10device_ptrIsEEEEPS5_jNS1_19radix_merge_compareILb0ELb1EsNS0_19identity_decomposerEEEEE10hipError_tT0_T1_T2_jT3_P12ihipStream_tbPNSt15iterator_traitsISK_E10value_typeEPNSQ_ISL_E10value_typeEPSM_NS1_7vsmem_tEENKUlT_SK_SL_SM_E_clIPsSE_SF_SF_EESJ_SZ_SK_SL_SM_EUlSZ_E0_NS1_11comp_targetILNS1_3genE5ELNS1_11target_archE942ELNS1_3gpuE9ELNS1_3repE0EEENS1_38merge_mergepath_config_static_selectorELNS0_4arch9wavefront6targetE1EEEvSL_,comdat
	.protected	_ZN7rocprim17ROCPRIM_400000_NS6detail17trampoline_kernelINS0_14default_configENS1_38merge_sort_block_merge_config_selectorIsNS0_10empty_typeEEEZZNS1_27merge_sort_block_merge_implIS3_N6thrust23THRUST_200600_302600_NS6detail15normal_iteratorINS9_10device_ptrIsEEEEPS5_jNS1_19radix_merge_compareILb0ELb1EsNS0_19identity_decomposerEEEEE10hipError_tT0_T1_T2_jT3_P12ihipStream_tbPNSt15iterator_traitsISK_E10value_typeEPNSQ_ISL_E10value_typeEPSM_NS1_7vsmem_tEENKUlT_SK_SL_SM_E_clIPsSE_SF_SF_EESJ_SZ_SK_SL_SM_EUlSZ_E0_NS1_11comp_targetILNS1_3genE5ELNS1_11target_archE942ELNS1_3gpuE9ELNS1_3repE0EEENS1_38merge_mergepath_config_static_selectorELNS0_4arch9wavefront6targetE1EEEvSL_ ; -- Begin function _ZN7rocprim17ROCPRIM_400000_NS6detail17trampoline_kernelINS0_14default_configENS1_38merge_sort_block_merge_config_selectorIsNS0_10empty_typeEEEZZNS1_27merge_sort_block_merge_implIS3_N6thrust23THRUST_200600_302600_NS6detail15normal_iteratorINS9_10device_ptrIsEEEEPS5_jNS1_19radix_merge_compareILb0ELb1EsNS0_19identity_decomposerEEEEE10hipError_tT0_T1_T2_jT3_P12ihipStream_tbPNSt15iterator_traitsISK_E10value_typeEPNSQ_ISL_E10value_typeEPSM_NS1_7vsmem_tEENKUlT_SK_SL_SM_E_clIPsSE_SF_SF_EESJ_SZ_SK_SL_SM_EUlSZ_E0_NS1_11comp_targetILNS1_3genE5ELNS1_11target_archE942ELNS1_3gpuE9ELNS1_3repE0EEENS1_38merge_mergepath_config_static_selectorELNS0_4arch9wavefront6targetE1EEEvSL_
	.globl	_ZN7rocprim17ROCPRIM_400000_NS6detail17trampoline_kernelINS0_14default_configENS1_38merge_sort_block_merge_config_selectorIsNS0_10empty_typeEEEZZNS1_27merge_sort_block_merge_implIS3_N6thrust23THRUST_200600_302600_NS6detail15normal_iteratorINS9_10device_ptrIsEEEEPS5_jNS1_19radix_merge_compareILb0ELb1EsNS0_19identity_decomposerEEEEE10hipError_tT0_T1_T2_jT3_P12ihipStream_tbPNSt15iterator_traitsISK_E10value_typeEPNSQ_ISL_E10value_typeEPSM_NS1_7vsmem_tEENKUlT_SK_SL_SM_E_clIPsSE_SF_SF_EESJ_SZ_SK_SL_SM_EUlSZ_E0_NS1_11comp_targetILNS1_3genE5ELNS1_11target_archE942ELNS1_3gpuE9ELNS1_3repE0EEENS1_38merge_mergepath_config_static_selectorELNS0_4arch9wavefront6targetE1EEEvSL_
	.p2align	8
	.type	_ZN7rocprim17ROCPRIM_400000_NS6detail17trampoline_kernelINS0_14default_configENS1_38merge_sort_block_merge_config_selectorIsNS0_10empty_typeEEEZZNS1_27merge_sort_block_merge_implIS3_N6thrust23THRUST_200600_302600_NS6detail15normal_iteratorINS9_10device_ptrIsEEEEPS5_jNS1_19radix_merge_compareILb0ELb1EsNS0_19identity_decomposerEEEEE10hipError_tT0_T1_T2_jT3_P12ihipStream_tbPNSt15iterator_traitsISK_E10value_typeEPNSQ_ISL_E10value_typeEPSM_NS1_7vsmem_tEENKUlT_SK_SL_SM_E_clIPsSE_SF_SF_EESJ_SZ_SK_SL_SM_EUlSZ_E0_NS1_11comp_targetILNS1_3genE5ELNS1_11target_archE942ELNS1_3gpuE9ELNS1_3repE0EEENS1_38merge_mergepath_config_static_selectorELNS0_4arch9wavefront6targetE1EEEvSL_,@function
_ZN7rocprim17ROCPRIM_400000_NS6detail17trampoline_kernelINS0_14default_configENS1_38merge_sort_block_merge_config_selectorIsNS0_10empty_typeEEEZZNS1_27merge_sort_block_merge_implIS3_N6thrust23THRUST_200600_302600_NS6detail15normal_iteratorINS9_10device_ptrIsEEEEPS5_jNS1_19radix_merge_compareILb0ELb1EsNS0_19identity_decomposerEEEEE10hipError_tT0_T1_T2_jT3_P12ihipStream_tbPNSt15iterator_traitsISK_E10value_typeEPNSQ_ISL_E10value_typeEPSM_NS1_7vsmem_tEENKUlT_SK_SL_SM_E_clIPsSE_SF_SF_EESJ_SZ_SK_SL_SM_EUlSZ_E0_NS1_11comp_targetILNS1_3genE5ELNS1_11target_archE942ELNS1_3gpuE9ELNS1_3repE0EEENS1_38merge_mergepath_config_static_selectorELNS0_4arch9wavefront6targetE1EEEvSL_: ; @_ZN7rocprim17ROCPRIM_400000_NS6detail17trampoline_kernelINS0_14default_configENS1_38merge_sort_block_merge_config_selectorIsNS0_10empty_typeEEEZZNS1_27merge_sort_block_merge_implIS3_N6thrust23THRUST_200600_302600_NS6detail15normal_iteratorINS9_10device_ptrIsEEEEPS5_jNS1_19radix_merge_compareILb0ELb1EsNS0_19identity_decomposerEEEEE10hipError_tT0_T1_T2_jT3_P12ihipStream_tbPNSt15iterator_traitsISK_E10value_typeEPNSQ_ISL_E10value_typeEPSM_NS1_7vsmem_tEENKUlT_SK_SL_SM_E_clIPsSE_SF_SF_EESJ_SZ_SK_SL_SM_EUlSZ_E0_NS1_11comp_targetILNS1_3genE5ELNS1_11target_archE942ELNS1_3gpuE9ELNS1_3repE0EEENS1_38merge_mergepath_config_static_selectorELNS0_4arch9wavefront6targetE1EEEvSL_
; %bb.0:
	s_load_dwordx2 s[12:13], s[0:1], 0x40
	s_load_dword s5, s[0:1], 0x30
	s_add_u32 s8, s0, 64
	s_addc_u32 s9, s1, 0
	s_waitcnt lgkmcnt(0)
	s_mul_i32 s4, s13, s4
	s_add_i32 s3, s4, s3
	s_mul_i32 s3, s3, s12
	s_add_i32 s10, s3, s2
	s_cmp_ge_u32 s10, s5
	s_cbranch_scc1 .LBB1885_43
; %bb.1:
	s_load_dwordx2 s[14:15], s[0:1], 0x28
	s_load_dwordx2 s[4:5], s[0:1], 0x38
	;; [unrolled: 1-line block ×3, first 2 shown]
	s_mov_b32 s11, 0
	v_mov_b32_e32 v7, 0
	s_waitcnt lgkmcnt(0)
	s_lshr_b32 s22, s14, 10
	s_cmp_lg_u32 s10, s22
	s_cselect_b64 s[18:19], -1, 0
	s_lshl_b64 s[16:17], s[10:11], 2
	s_add_u32 s4, s4, s16
	s_addc_u32 s5, s5, s17
	s_lshr_b32 s3, s15, 9
	s_and_b32 s3, s3, 0x7ffffe
	s_load_dwordx2 s[4:5], s[4:5], 0x0
	s_sub_i32 s3, 0, s3
	s_and_b32 s13, s10, s3
	s_lshl_b32 s17, s13, 10
	s_lshl_b32 s16, s10, 10
	;; [unrolled: 1-line block ×3, first 2 shown]
	s_sub_i32 s20, s16, s17
	s_add_i32 s13, s13, s15
	s_add_i32 s21, s13, s20
	s_waitcnt lgkmcnt(0)
	s_sub_i32 s20, s21, s4
	s_sub_i32 s21, s21, s5
	;; [unrolled: 1-line block ×3, first 2 shown]
	s_min_u32 s20, s14, s20
	s_addk_i32 s21, 0x400
	s_or_b32 s3, s10, s3
	s_min_u32 s17, s14, s13
	s_add_i32 s13, s13, s15
	s_cmp_eq_u32 s3, -1
	s_cselect_b32 s3, s13, s21
	s_cselect_b32 s5, s17, s5
	s_min_u32 s3, s3, s14
	s_sub_i32 s15, s5, s4
	s_mov_b32 s5, s11
	s_sub_i32 s13, s3, s20
	s_lshl_b64 s[4:5], s[4:5], 1
	s_add_u32 s4, s6, s4
	s_mov_b32 s21, s11
	s_addc_u32 s5, s7, s5
	s_lshl_b64 s[20:21], s[20:21], 1
	s_add_u32 s6, s6, s20
	s_addc_u32 s7, s7, s21
	s_cmp_lt_u32 s2, s12
	s_cselect_b32 s2, 12, 18
	global_load_dword v1, v7, s[8:9] offset:14
	s_add_u32 s2, s8, s2
	s_addc_u32 s3, s9, 0
	global_load_ushort v2, v7, s[2:3]
	s_cmp_eq_u32 s10, s22
	v_lshlrev_b32_e32 v6, 1, v0
	s_waitcnt vmcnt(1)
	v_lshrrev_b32_e32 v3, 16, v1
	v_and_b32_e32 v1, 0xffff, v1
	v_mul_lo_u32 v1, v1, v3
	s_waitcnt vmcnt(0)
	v_mul_lo_u32 v1, v1, v2
	v_add_u32_e32 v10, v1, v0
	v_add_u32_e32 v8, v10, v1
	s_cbranch_scc1 .LBB1885_3
; %bb.2:
	v_subrev_u32_e32 v4, s15, v0
	v_mov_b32_e32 v5, v7
	v_lshl_add_u64 v[2:3], s[4:5], 0, v[6:7]
	v_lshl_add_u64 v[4:5], v[4:5], 1, s[6:7]
	v_cmp_gt_u32_e32 vcc, s15, v0
	v_mov_b32_e32 v11, v7
	v_mov_b32_e32 v9, v7
	v_cndmask_b32_e32 v3, v5, v3, vcc
	v_cndmask_b32_e32 v2, v4, v2, vcc
	v_subrev_u32_e32 v4, s15, v10
	v_mov_b32_e32 v5, v7
	global_load_ushort v14, v[2:3], off
	v_lshl_add_u64 v[2:3], v[10:11], 1, s[4:5]
	v_lshl_add_u64 v[4:5], v[4:5], 1, s[6:7]
	v_cmp_gt_u32_e32 vcc, s15, v10
	v_mov_b32_e32 v13, v7
	s_mov_b32 s2, 0x5040100
	v_cndmask_b32_e32 v3, v5, v3, vcc
	v_cndmask_b32_e32 v2, v4, v2, vcc
	v_subrev_u32_e32 v4, s15, v8
	v_mov_b32_e32 v5, v7
	global_load_ushort v11, v[2:3], off
	v_lshl_add_u64 v[2:3], v[8:9], 1, s[4:5]
	v_lshl_add_u64 v[4:5], v[4:5], 1, s[6:7]
	v_cmp_gt_u32_e32 vcc, s15, v8
	s_add_i32 s17, s13, s15
	s_nop 0
	v_cndmask_b32_e32 v3, v5, v3, vcc
	v_cndmask_b32_e32 v2, v4, v2, vcc
	global_load_ushort v9, v[2:3], off
	v_add_u32_e32 v2, v8, v1
	v_mov_b32_e32 v3, v7
	v_subrev_u32_e32 v12, s15, v2
	v_lshl_add_u64 v[4:5], v[2:3], 1, s[4:5]
	v_lshl_add_u64 v[12:13], v[12:13], 1, s[6:7]
	v_cmp_gt_u32_e32 vcc, s15, v2
	v_add_u32_e32 v2, v2, v1
	s_nop 0
	v_cndmask_b32_e32 v5, v13, v5, vcc
	v_cndmask_b32_e32 v4, v12, v4, vcc
	v_subrev_u32_e32 v12, s15, v2
	v_mov_b32_e32 v13, v7
	global_load_ushort v15, v[4:5], off
	v_lshl_add_u64 v[4:5], v[2:3], 1, s[4:5]
	v_lshl_add_u64 v[12:13], v[12:13], 1, s[6:7]
	v_cmp_gt_u32_e32 vcc, s15, v2
	v_add_u32_e32 v2, v2, v1
	s_nop 0
	v_cndmask_b32_e32 v5, v13, v5, vcc
	v_cndmask_b32_e32 v4, v12, v4, vcc
	v_subrev_u32_e32 v12, s15, v2
	v_mov_b32_e32 v13, v7
	global_load_ushort v16, v[4:5], off
	;; [unrolled: 10-line block ×4, first 2 shown]
	v_lshl_add_u64 v[4:5], v[2:3], 1, s[4:5]
	v_lshl_add_u64 v[12:13], v[12:13], 1, s[6:7]
	v_cmp_gt_u32_e32 vcc, s15, v2
	s_nop 1
	v_cndmask_b32_e32 v3, v13, v5, vcc
	v_cndmask_b32_e32 v2, v12, v4, vcc
	global_load_ushort v5, v[2:3], off
	s_waitcnt vmcnt(6)
	v_perm_b32 v2, v11, v14, s2
	s_waitcnt vmcnt(4)
	v_perm_b32 v3, v15, v9, s2
	;; [unrolled: 2-line block ×4, first 2 shown]
	s_load_dwordx2 s[20:21], s[0:1], 0x10
	s_cbranch_execz .LBB1885_4
	s_branch .LBB1885_19
.LBB1885_3:
                                        ; implicit-def: $vgpr2_vgpr3_vgpr4_vgpr5
                                        ; implicit-def: $sgpr17
	s_load_dwordx2 s[20:21], s[0:1], 0x10
.LBB1885_4:
	s_add_i32 s17, s13, s15
	v_cmp_gt_u32_e32 vcc, s17, v0
                                        ; implicit-def: $vgpr2_vgpr3_vgpr4_vgpr5
	s_and_saveexec_b64 s[2:3], vcc
	s_cbranch_execnz .LBB1885_44
; %bb.5:
	s_or_b64 exec, exec, s[2:3]
	v_cmp_gt_u32_e32 vcc, s17, v10
	s_and_saveexec_b64 s[2:3], vcc
	s_cbranch_execnz .LBB1885_45
.LBB1885_6:
	s_or_b64 exec, exec, s[2:3]
	v_cmp_gt_u32_e32 vcc, s17, v8
	s_and_saveexec_b64 s[2:3], vcc
	s_cbranch_execz .LBB1885_8
.LBB1885_7:
	v_mov_b32_e32 v9, 0
	v_subrev_u32_e32 v12, s15, v8
	v_mov_b32_e32 v13, v9
	v_lshl_add_u64 v[10:11], v[8:9], 1, s[4:5]
	v_lshl_add_u64 v[12:13], v[12:13], 1, s[6:7]
	v_cmp_gt_u32_e32 vcc, s15, v8
	s_mov_b32 s8, 0xffff
	s_nop 0
	v_cndmask_b32_e32 v11, v13, v11, vcc
	v_cndmask_b32_e32 v10, v12, v10, vcc
	global_load_ushort v7, v[10:11], off
	s_waitcnt vmcnt(0)
	v_bfi_b32 v3, s8, v7, v3
.LBB1885_8:
	s_or_b64 exec, exec, s[2:3]
	v_add_u32_e32 v8, v8, v1
	v_cmp_gt_u32_e32 vcc, s17, v8
	s_and_saveexec_b64 s[2:3], vcc
	s_cbranch_execz .LBB1885_10
; %bb.9:
	v_mov_b32_e32 v9, 0
	v_subrev_u32_e32 v12, s15, v8
	v_mov_b32_e32 v13, v9
	v_lshl_add_u64 v[10:11], v[8:9], 1, s[4:5]
	v_lshl_add_u64 v[12:13], v[12:13], 1, s[6:7]
	v_cmp_gt_u32_e32 vcc, s15, v8
	s_mov_b32 s8, 0x5040100
	s_nop 0
	v_cndmask_b32_e32 v11, v13, v11, vcc
	v_cndmask_b32_e32 v10, v12, v10, vcc
	global_load_ushort v7, v[10:11], off
	s_waitcnt vmcnt(0)
	v_perm_b32 v3, v7, v3, s8
.LBB1885_10:
	s_or_b64 exec, exec, s[2:3]
	v_add_u32_e32 v8, v8, v1
	v_cmp_gt_u32_e32 vcc, s17, v8
	s_and_saveexec_b64 s[2:3], vcc
	s_cbranch_execz .LBB1885_12
; %bb.11:
	v_mov_b32_e32 v9, 0
	v_subrev_u32_e32 v12, s15, v8
	v_mov_b32_e32 v13, v9
	v_lshl_add_u64 v[10:11], v[8:9], 1, s[4:5]
	v_lshl_add_u64 v[12:13], v[12:13], 1, s[6:7]
	v_cmp_gt_u32_e32 vcc, s15, v8
	s_mov_b32 s8, 0xffff
	s_nop 0
	v_cndmask_b32_e32 v11, v13, v11, vcc
	v_cndmask_b32_e32 v10, v12, v10, vcc
	global_load_ushort v7, v[10:11], off
	s_waitcnt vmcnt(0)
	v_bfi_b32 v4, s8, v7, v4
.LBB1885_12:
	s_or_b64 exec, exec, s[2:3]
	v_add_u32_e32 v8, v8, v1
	v_cmp_gt_u32_e32 vcc, s17, v8
	s_and_saveexec_b64 s[2:3], vcc
	s_cbranch_execz .LBB1885_14
; %bb.13:
	v_mov_b32_e32 v9, 0
	v_subrev_u32_e32 v12, s15, v8
	v_mov_b32_e32 v13, v9
	v_lshl_add_u64 v[10:11], v[8:9], 1, s[4:5]
	v_lshl_add_u64 v[12:13], v[12:13], 1, s[6:7]
	v_cmp_gt_u32_e32 vcc, s15, v8
	s_mov_b32 s8, 0x5040100
	s_nop 0
	v_cndmask_b32_e32 v11, v13, v11, vcc
	v_cndmask_b32_e32 v10, v12, v10, vcc
	global_load_ushort v7, v[10:11], off
	s_waitcnt vmcnt(0)
	v_perm_b32 v4, v7, v4, s8
.LBB1885_14:
	s_or_b64 exec, exec, s[2:3]
	v_add_u32_e32 v8, v8, v1
	v_cmp_gt_u32_e32 vcc, s17, v8
	s_and_saveexec_b64 s[2:3], vcc
	s_cbranch_execz .LBB1885_16
; %bb.15:
	v_mov_b32_e32 v9, 0
	v_subrev_u32_e32 v12, s15, v8
	v_mov_b32_e32 v13, v9
	v_lshl_add_u64 v[10:11], v[8:9], 1, s[4:5]
	v_lshl_add_u64 v[12:13], v[12:13], 1, s[6:7]
	v_cmp_gt_u32_e32 vcc, s15, v8
	s_mov_b32 s8, 0xffff
	s_nop 0
	v_cndmask_b32_e32 v11, v13, v11, vcc
	v_cndmask_b32_e32 v10, v12, v10, vcc
	global_load_ushort v7, v[10:11], off
	s_waitcnt vmcnt(0)
	v_bfi_b32 v5, s8, v7, v5
.LBB1885_16:
	s_or_b64 exec, exec, s[2:3]
	v_add_u32_e32 v8, v8, v1
	v_cmp_gt_u32_e32 vcc, s17, v8
	s_and_saveexec_b64 s[2:3], vcc
	s_cbranch_execz .LBB1885_18
; %bb.17:
	v_mov_b32_e32 v9, 0
	v_lshl_add_u64 v[10:11], v[8:9], 1, s[4:5]
	v_cmp_gt_u32_e32 vcc, s15, v8
	v_subrev_u32_e32 v8, s15, v8
	v_lshl_add_u64 v[8:9], v[8:9], 1, s[6:7]
	v_cndmask_b32_e32 v9, v9, v11, vcc
	v_cndmask_b32_e32 v8, v8, v10, vcc
	global_load_ushort v1, v[8:9], off
	s_mov_b32 s4, 0x5040100
	s_waitcnt vmcnt(0)
	v_perm_b32 v5, v1, v5, s4
.LBB1885_18:
	s_or_b64 exec, exec, s[2:3]
.LBB1885_19:
	s_load_dword s24, s[0:1], 0x34
	v_lshlrev_b32_e32 v1, 3, v0
	v_min_u32_e32 v12, s17, v1
	v_sub_u32_e64 v11, v12, s13 clamp
	v_min_u32_e32 v13, s15, v12
	s_waitcnt vmcnt(0)
	v_lshrrev_b32_e32 v7, 16, v2
	v_lshrrev_b32_e32 v8, 16, v3
	;; [unrolled: 1-line block ×4, first 2 shown]
	v_cmp_lt_u32_e32 vcc, v11, v13
	ds_write_b16 v6, v2
	ds_write_b16 v6, v7 offset:256
	ds_write_b16 v6, v3 offset:512
	;; [unrolled: 1-line block ×7, first 2 shown]
	s_waitcnt lgkmcnt(0)
	s_barrier
	s_and_saveexec_b64 s[0:1], vcc
	s_cbranch_execz .LBB1885_23
; %bb.20:
	v_lshlrev_b32_e32 v14, 1, v12
	v_lshl_add_u32 v14, s15, 1, v14
	s_mov_b64 s[2:3], 0
.LBB1885_21:                            ; =>This Inner Loop Header: Depth=1
	v_add_u32_e32 v15, v13, v11
	v_lshrrev_b32_e32 v16, 1, v15
	v_not_b32_e32 v17, v16
	v_and_b32_e32 v15, -2, v15
	v_lshl_add_u32 v17, v17, 1, v14
	ds_read_u16 v15, v15
	ds_read_u16 v17, v17
	v_add_u32_e32 v18, 1, v16
	s_waitcnt lgkmcnt(1)
	v_and_b32_e32 v15, s24, v15
	s_waitcnt lgkmcnt(0)
	v_and_b32_e32 v17, s24, v17
	v_cmp_gt_i16_e32 vcc, v15, v17
	s_nop 1
	v_cndmask_b32_e32 v13, v13, v16, vcc
	v_cndmask_b32_e32 v11, v18, v11, vcc
	v_cmp_ge_u32_e32 vcc, v11, v13
	s_or_b64 s[2:3], vcc, s[2:3]
	s_andn2_b64 exec, exec, s[2:3]
	s_cbranch_execnz .LBB1885_21
; %bb.22:
	s_or_b64 exec, exec, s[2:3]
.LBB1885_23:
	s_or_b64 exec, exec, s[0:1]
	v_sub_u32_e32 v12, v12, v11
	v_add_u32_e32 v12, s15, v12
	v_cmp_ge_u32_e32 vcc, s15, v11
	v_cmp_ge_u32_e64 s[0:1], s17, v12
	s_or_b64 s[0:1], vcc, s[0:1]
	s_and_saveexec_b64 s[22:23], s[0:1]
	s_cbranch_execz .LBB1885_29
; %bb.24:
	v_cmp_gt_u32_e32 vcc, s15, v11
                                        ; implicit-def: $vgpr2
	s_and_saveexec_b64 s[0:1], vcc
	s_cbranch_execz .LBB1885_26
; %bb.25:
	v_lshlrev_b32_e32 v2, 1, v11
	ds_read_u16 v2, v2
.LBB1885_26:
	s_or_b64 exec, exec, s[0:1]
	v_cmp_le_u32_e64 s[0:1], s17, v12
	v_cmp_gt_u32_e64 s[2:3], s17, v12
                                        ; implicit-def: $vgpr3
	s_and_saveexec_b64 s[4:5], s[2:3]
	s_cbranch_execz .LBB1885_28
; %bb.27:
	v_lshlrev_b32_e32 v3, 1, v12
	ds_read_u16 v3, v3
.LBB1885_28:
	s_or_b64 exec, exec, s[4:5]
	s_waitcnt lgkmcnt(0)
	v_and_b32_e32 v4, s24, v3
	v_and_b32_e32 v5, s24, v2
	v_cmp_le_i16_e64 s[2:3], v5, v4
	s_and_b64 s[2:3], vcc, s[2:3]
	s_or_b64 vcc, s[0:1], s[2:3]
	v_mov_b32_e32 v5, s17
	v_mov_b32_e32 v8, s15
	v_cndmask_b32_e32 v4, v12, v11, vcc
	v_cndmask_b32_e32 v7, v5, v8, vcc
	v_add_u32_e32 v4, 1, v4
	v_add_u32_e32 v7, -1, v7
	v_min_u32_e32 v7, v4, v7
	v_lshlrev_b32_e32 v7, 1, v7
	ds_read_u16 v7, v7
	v_cndmask_b32_e32 v10, v4, v12, vcc
	v_cndmask_b32_e32 v4, v11, v4, vcc
	v_cmp_gt_u32_e64 s[2:3], s15, v4
	v_cmp_le_u32_e64 s[0:1], s17, v10
	s_waitcnt lgkmcnt(0)
	v_cndmask_b32_e32 v9, v7, v3, vcc
	v_cndmask_b32_e32 v7, v2, v7, vcc
	v_and_b32_e32 v11, s24, v9
	v_and_b32_e32 v12, s24, v7
	v_cmp_le_i16_e64 s[4:5], v12, v11
	s_and_b64 s[2:3], s[2:3], s[4:5]
	s_or_b64 s[0:1], s[0:1], s[2:3]
	v_cndmask_b32_e64 v11, v10, v4, s[0:1]
	v_cndmask_b32_e64 v12, v5, v8, s[0:1]
	v_add_u32_e32 v11, 1, v11
	v_add_u32_e32 v12, -1, v12
	v_min_u32_e32 v12, v11, v12
	v_lshlrev_b32_e32 v12, 1, v12
	ds_read_u16 v12, v12
	v_cndmask_b32_e64 v10, v11, v10, s[0:1]
	v_cndmask_b32_e64 v4, v4, v11, s[0:1]
	v_cmp_gt_u32_e64 s[4:5], s15, v4
	v_cmp_le_u32_e64 s[2:3], s17, v10
	s_waitcnt lgkmcnt(0)
	v_cndmask_b32_e64 v13, v12, v9, s[0:1]
	v_cndmask_b32_e64 v12, v7, v12, s[0:1]
	v_and_b32_e32 v11, s24, v13
	v_and_b32_e32 v14, s24, v12
	v_cmp_le_i16_e64 s[6:7], v14, v11
	s_and_b64 s[4:5], s[4:5], s[6:7]
	s_or_b64 s[2:3], s[2:3], s[4:5]
	v_cndmask_b32_e64 v11, v10, v4, s[2:3]
	v_cndmask_b32_e64 v14, v5, v8, s[2:3]
	v_add_u32_e32 v11, 1, v11
	v_add_u32_e32 v14, -1, v14
	v_min_u32_e32 v14, v11, v14
	v_lshlrev_b32_e32 v14, 1, v14
	ds_read_u16 v14, v14
	v_cndmask_b32_e64 v10, v11, v10, s[2:3]
	v_cndmask_b32_e64 v4, v4, v11, s[2:3]
	v_cmp_gt_u32_e64 s[6:7], s15, v4
	v_cmp_le_u32_e64 s[4:5], s17, v10
	s_waitcnt lgkmcnt(0)
	v_cndmask_b32_e64 v15, v14, v13, s[2:3]
	v_cndmask_b32_e64 v14, v12, v14, s[2:3]
	;; [unrolled: 19-line block ×4, first 2 shown]
	v_and_b32_e32 v11, s24, v19
	v_and_b32_e32 v20, s24, v18
	v_cmp_le_i16_e64 s[12:13], v20, v11
	s_and_b64 s[10:11], s[10:11], s[12:13]
	s_or_b64 s[8:9], s[8:9], s[10:11]
	v_cndmask_b32_e64 v11, v10, v4, s[8:9]
	v_cndmask_b32_e64 v20, v5, v8, s[8:9]
	v_add_u32_e32 v11, 1, v11
	v_add_u32_e32 v20, -1, v20
	v_min_u32_e32 v20, v11, v20
	v_lshlrev_b32_e32 v20, 1, v20
	ds_read_u16 v20, v20
	v_cndmask_b32_e32 v2, v3, v2, vcc
	v_cndmask_b32_e64 v3, v13, v12, s[2:3]
	v_cndmask_b32_e64 v7, v9, v7, s[0:1]
	;; [unrolled: 1-line block ×3, first 2 shown]
	s_waitcnt lgkmcnt(0)
	v_cndmask_b32_e64 v12, v20, v19, s[8:9]
	v_cndmask_b32_e64 v13, v18, v20, s[8:9]
	;; [unrolled: 1-line block ×3, first 2 shown]
	v_and_b32_e32 v4, s24, v12
	v_and_b32_e32 v9, s24, v13
	v_cmp_gt_u32_e64 s[0:1], s15, v11
	v_cmp_le_i16_e64 s[2:3], v9, v4
	v_cmp_le_u32_e32 vcc, s17, v10
	s_and_b64 s[0:1], s[0:1], s[2:3]
	s_or_b64 vcc, vcc, s[0:1]
	v_cndmask_b32_e32 v4, v10, v11, vcc
	v_cndmask_b32_e32 v5, v5, v8, vcc
	v_add_u32_e32 v20, 1, v4
	v_add_u32_e32 v4, -1, v5
	v_min_u32_e32 v4, v20, v4
	v_lshlrev_b32_e32 v4, 1, v4
	ds_read_u16 v21, v4
	v_cndmask_b32_e32 v5, v12, v13, vcc
	v_cndmask_b32_e32 v10, v20, v10, vcc
	;; [unrolled: 1-line block ×3, first 2 shown]
	v_cmp_gt_u32_e64 s[0:1], s15, v11
	s_waitcnt lgkmcnt(0)
	v_cndmask_b32_e32 v12, v21, v12, vcc
	v_cndmask_b32_e32 v13, v13, v21, vcc
	v_cmp_le_u32_e32 vcc, s17, v10
	v_and_b32_e32 v10, s24, v12
	v_and_b32_e32 v11, s24, v13
	v_cmp_le_i16_e64 s[2:3], v11, v10
	s_and_b64 s[0:1], s[0:1], s[2:3]
	s_or_b64 vcc, vcc, s[0:1]
	v_cndmask_b32_e64 v8, v15, v14, s[4:5]
	v_cndmask_b32_e64 v4, v17, v16, s[6:7]
	;; [unrolled: 1-line block ×3, first 2 shown]
	v_cndmask_b32_e32 v10, v12, v13, vcc
.LBB1885_29:
	s_or_b64 exec, exec, s[22:23]
	s_mov_b32 s17, 0
	s_lshl_b64 s[0:1], s[16:17], 1
	v_lshrrev_b32_e32 v11, 2, v0
	s_add_u32 s2, s20, s0
	v_and_b32_e32 v11, 30, v11
	s_mov_b32 s0, 0x5040100
	v_add_lshl_u32 v1, v11, v1, 1
	v_perm_b32 v3, v8, v3, s0
	v_perm_b32 v2, v7, v2, s0
	s_barrier
	s_barrier
	ds_write2_b32 v1, v2, v3 offset1:1
	v_perm_b32 v2, v10, v5, s0
	v_perm_b32 v3, v9, v4, s0
	ds_write2_b32 v1, v3, v2 offset0:2 offset1:3
	v_lshrrev_b32_e32 v1, 4, v0
	v_and_b32_e32 v1, 4, v1
	v_or_b32_e32 v11, 0x80, v0
	v_add_u32_e32 v12, v6, v1
	v_lshrrev_b32_e32 v1, 4, v11
	v_and_b32_e32 v1, 12, v1
	v_or_b32_e32 v10, 0x100, v0
	v_add_u32_e32 v13, v6, v1
	;; [unrolled: 4-line block ×6, first 2 shown]
	v_lshrrev_b32_e32 v1, 4, v4
	v_and_b32_e32 v1, 52, v1
	v_add_u32_e32 v18, v6, v1
	v_or_b32_e32 v1, 0x380, v0
	v_lshrrev_b32_e32 v2, 4, v1
	s_addc_u32 s3, s21, s1
	v_and_b32_e32 v2, 60, v2
	v_mov_b32_e32 v7, 0
	v_add_u32_e32 v19, v6, v2
	v_lshl_add_u64 v[2:3], s[2:3], 0, v[6:7]
	s_and_b64 vcc, exec, s[18:19]
	s_waitcnt lgkmcnt(0)
	s_cbranch_vccz .LBB1885_31
; %bb.30:
	s_barrier
	ds_read_u16 v6, v12
	ds_read_u16 v7, v13 offset:256
	ds_read_u16 v20, v14 offset:512
	;; [unrolled: 1-line block ×7, first 2 shown]
	s_waitcnt lgkmcnt(7)
	global_store_short v[2:3], v6, off
	s_waitcnt lgkmcnt(6)
	global_store_short v[2:3], v7, off offset:256
	s_waitcnt lgkmcnt(5)
	global_store_short v[2:3], v20, off offset:512
	;; [unrolled: 2-line block ×6, first 2 shown]
	s_waitcnt lgkmcnt(0)
	v_perm_b32 v6, v25, v24, s0
	s_mov_b64 s[0:1], -1
	s_cbranch_execz .LBB1885_32
	s_branch .LBB1885_41
.LBB1885_31:
	s_mov_b64 s[0:1], 0
                                        ; implicit-def: $vgpr6
.LBB1885_32:
	s_barrier
	ds_read_u16 v22, v12
	ds_read_u16 v21, v13 offset:256
	ds_read_u16 v20, v14 offset:512
	;; [unrolled: 1-line block ×7, first 2 shown]
	s_sub_i32 s2, s14, s16
	v_cmp_gt_u32_e32 vcc, s2, v0
	s_and_saveexec_b64 s[0:1], vcc
	s_cbranch_execnz .LBB1885_46
; %bb.33:
	s_or_b64 exec, exec, s[0:1]
	v_cmp_gt_u32_e32 vcc, s2, v11
	s_and_saveexec_b64 s[0:1], vcc
	s_cbranch_execnz .LBB1885_47
.LBB1885_34:
	s_or_b64 exec, exec, s[0:1]
	v_cmp_gt_u32_e32 vcc, s2, v10
	s_and_saveexec_b64 s[0:1], vcc
	s_cbranch_execnz .LBB1885_48
.LBB1885_35:
	s_or_b64 exec, exec, s[0:1]
	v_cmp_gt_u32_e32 vcc, s2, v9
	s_and_saveexec_b64 s[0:1], vcc
	s_cbranch_execnz .LBB1885_49
.LBB1885_36:
	s_or_b64 exec, exec, s[0:1]
	v_cmp_gt_u32_e32 vcc, s2, v8
	s_and_saveexec_b64 s[0:1], vcc
	s_cbranch_execnz .LBB1885_50
.LBB1885_37:
	s_or_b64 exec, exec, s[0:1]
	v_cmp_gt_u32_e32 vcc, s2, v5
	s_and_saveexec_b64 s[0:1], vcc
	s_cbranch_execnz .LBB1885_51
.LBB1885_38:
	s_or_b64 exec, exec, s[0:1]
	v_cmp_gt_u32_e32 vcc, s2, v4
	s_and_saveexec_b64 s[0:1], vcc
	s_cbranch_execz .LBB1885_40
.LBB1885_39:
	s_waitcnt lgkmcnt(1)
	global_store_short v[2:3], v6, off offset:1536
.LBB1885_40:
	s_or_b64 exec, exec, s[0:1]
	v_cmp_gt_u32_e64 s[0:1], s2, v1
	s_mov_b32 s2, 0x5040100
	s_waitcnt lgkmcnt(0)
	v_perm_b32 v6, v7, v6, s2
.LBB1885_41:
	s_and_saveexec_b64 s[2:3], s[0:1]
	s_cbranch_execz .LBB1885_43
; %bb.42:
	global_store_short_d16_hi v[2:3], v6, off offset:1792
.LBB1885_43:
	s_endpgm
.LBB1885_44:
	v_mov_b32_e32 v7, 0
	v_subrev_u32_e32 v4, s15, v0
	v_mov_b32_e32 v5, v7
	v_lshl_add_u64 v[2:3], s[4:5], 0, v[6:7]
	v_lshl_add_u64 v[4:5], v[4:5], 1, s[6:7]
	v_cmp_gt_u32_e32 vcc, s15, v0
	s_nop 1
	v_cndmask_b32_e32 v3, v5, v3, vcc
	v_cndmask_b32_e32 v2, v4, v2, vcc
	global_load_ushort v2, v[2:3], off
	s_or_b64 exec, exec, s[2:3]
	v_cmp_gt_u32_e32 vcc, s17, v10
	s_and_saveexec_b64 s[2:3], vcc
	s_cbranch_execz .LBB1885_6
.LBB1885_45:
	v_mov_b32_e32 v11, 0
	v_lshl_add_u64 v[12:13], v[10:11], 1, s[4:5]
	v_cmp_gt_u32_e32 vcc, s15, v10
	v_subrev_u32_e32 v10, s15, v10
	v_lshl_add_u64 v[10:11], v[10:11], 1, s[6:7]
	v_cndmask_b32_e32 v11, v11, v13, vcc
	v_cndmask_b32_e32 v10, v10, v12, vcc
	global_load_ushort v7, v[10:11], off
	s_mov_b32 s8, 0x5040100
	s_waitcnt vmcnt(0)
	v_perm_b32 v2, v7, v2, s8
	s_or_b64 exec, exec, s[2:3]
	v_cmp_gt_u32_e32 vcc, s17, v8
	s_and_saveexec_b64 s[2:3], vcc
	s_cbranch_execnz .LBB1885_7
	s_branch .LBB1885_8
.LBB1885_46:
	s_waitcnt lgkmcnt(7)
	global_store_short v[2:3], v22, off
	s_or_b64 exec, exec, s[0:1]
	v_cmp_gt_u32_e32 vcc, s2, v11
	s_and_saveexec_b64 s[0:1], vcc
	s_cbranch_execz .LBB1885_34
.LBB1885_47:
	s_waitcnt lgkmcnt(6)
	global_store_short v[2:3], v21, off offset:256
	s_or_b64 exec, exec, s[0:1]
	v_cmp_gt_u32_e32 vcc, s2, v10
	s_and_saveexec_b64 s[0:1], vcc
	s_cbranch_execz .LBB1885_35
.LBB1885_48:
	s_waitcnt lgkmcnt(5)
	global_store_short v[2:3], v20, off offset:512
	s_or_b64 exec, exec, s[0:1]
	v_cmp_gt_u32_e32 vcc, s2, v9
	s_and_saveexec_b64 s[0:1], vcc
	s_cbranch_execz .LBB1885_36
.LBB1885_49:
	s_waitcnt lgkmcnt(4)
	global_store_short v[2:3], v14, off offset:768
	s_or_b64 exec, exec, s[0:1]
	v_cmp_gt_u32_e32 vcc, s2, v8
	s_and_saveexec_b64 s[0:1], vcc
	s_cbranch_execz .LBB1885_37
.LBB1885_50:
	s_waitcnt lgkmcnt(3)
	global_store_short v[2:3], v13, off offset:1024
	s_or_b64 exec, exec, s[0:1]
	v_cmp_gt_u32_e32 vcc, s2, v5
	s_and_saveexec_b64 s[0:1], vcc
	s_cbranch_execz .LBB1885_38
.LBB1885_51:
	s_waitcnt lgkmcnt(2)
	global_store_short v[2:3], v12, off offset:1280
	s_or_b64 exec, exec, s[0:1]
	v_cmp_gt_u32_e32 vcc, s2, v4
	s_and_saveexec_b64 s[0:1], vcc
	s_cbranch_execnz .LBB1885_39
	s_branch .LBB1885_40
	.section	.rodata,"a",@progbits
	.p2align	6, 0x0
	.amdhsa_kernel _ZN7rocprim17ROCPRIM_400000_NS6detail17trampoline_kernelINS0_14default_configENS1_38merge_sort_block_merge_config_selectorIsNS0_10empty_typeEEEZZNS1_27merge_sort_block_merge_implIS3_N6thrust23THRUST_200600_302600_NS6detail15normal_iteratorINS9_10device_ptrIsEEEEPS5_jNS1_19radix_merge_compareILb0ELb1EsNS0_19identity_decomposerEEEEE10hipError_tT0_T1_T2_jT3_P12ihipStream_tbPNSt15iterator_traitsISK_E10value_typeEPNSQ_ISL_E10value_typeEPSM_NS1_7vsmem_tEENKUlT_SK_SL_SM_E_clIPsSE_SF_SF_EESJ_SZ_SK_SL_SM_EUlSZ_E0_NS1_11comp_targetILNS1_3genE5ELNS1_11target_archE942ELNS1_3gpuE9ELNS1_3repE0EEENS1_38merge_mergepath_config_static_selectorELNS0_4arch9wavefront6targetE1EEEvSL_
		.amdhsa_group_segment_fixed_size 2112
		.amdhsa_private_segment_fixed_size 0
		.amdhsa_kernarg_size 320
		.amdhsa_user_sgpr_count 2
		.amdhsa_user_sgpr_dispatch_ptr 0
		.amdhsa_user_sgpr_queue_ptr 0
		.amdhsa_user_sgpr_kernarg_segment_ptr 1
		.amdhsa_user_sgpr_dispatch_id 0
		.amdhsa_user_sgpr_kernarg_preload_length 0
		.amdhsa_user_sgpr_kernarg_preload_offset 0
		.amdhsa_user_sgpr_private_segment_size 0
		.amdhsa_uses_dynamic_stack 0
		.amdhsa_enable_private_segment 0
		.amdhsa_system_sgpr_workgroup_id_x 1
		.amdhsa_system_sgpr_workgroup_id_y 1
		.amdhsa_system_sgpr_workgroup_id_z 1
		.amdhsa_system_sgpr_workgroup_info 0
		.amdhsa_system_vgpr_workitem_id 0
		.amdhsa_next_free_vgpr 26
		.amdhsa_next_free_sgpr 25
		.amdhsa_accum_offset 28
		.amdhsa_reserve_vcc 1
		.amdhsa_float_round_mode_32 0
		.amdhsa_float_round_mode_16_64 0
		.amdhsa_float_denorm_mode_32 3
		.amdhsa_float_denorm_mode_16_64 3
		.amdhsa_dx10_clamp 1
		.amdhsa_ieee_mode 1
		.amdhsa_fp16_overflow 0
		.amdhsa_tg_split 0
		.amdhsa_exception_fp_ieee_invalid_op 0
		.amdhsa_exception_fp_denorm_src 0
		.amdhsa_exception_fp_ieee_div_zero 0
		.amdhsa_exception_fp_ieee_overflow 0
		.amdhsa_exception_fp_ieee_underflow 0
		.amdhsa_exception_fp_ieee_inexact 0
		.amdhsa_exception_int_div_zero 0
	.end_amdhsa_kernel
	.section	.text._ZN7rocprim17ROCPRIM_400000_NS6detail17trampoline_kernelINS0_14default_configENS1_38merge_sort_block_merge_config_selectorIsNS0_10empty_typeEEEZZNS1_27merge_sort_block_merge_implIS3_N6thrust23THRUST_200600_302600_NS6detail15normal_iteratorINS9_10device_ptrIsEEEEPS5_jNS1_19radix_merge_compareILb0ELb1EsNS0_19identity_decomposerEEEEE10hipError_tT0_T1_T2_jT3_P12ihipStream_tbPNSt15iterator_traitsISK_E10value_typeEPNSQ_ISL_E10value_typeEPSM_NS1_7vsmem_tEENKUlT_SK_SL_SM_E_clIPsSE_SF_SF_EESJ_SZ_SK_SL_SM_EUlSZ_E0_NS1_11comp_targetILNS1_3genE5ELNS1_11target_archE942ELNS1_3gpuE9ELNS1_3repE0EEENS1_38merge_mergepath_config_static_selectorELNS0_4arch9wavefront6targetE1EEEvSL_,"axG",@progbits,_ZN7rocprim17ROCPRIM_400000_NS6detail17trampoline_kernelINS0_14default_configENS1_38merge_sort_block_merge_config_selectorIsNS0_10empty_typeEEEZZNS1_27merge_sort_block_merge_implIS3_N6thrust23THRUST_200600_302600_NS6detail15normal_iteratorINS9_10device_ptrIsEEEEPS5_jNS1_19radix_merge_compareILb0ELb1EsNS0_19identity_decomposerEEEEE10hipError_tT0_T1_T2_jT3_P12ihipStream_tbPNSt15iterator_traitsISK_E10value_typeEPNSQ_ISL_E10value_typeEPSM_NS1_7vsmem_tEENKUlT_SK_SL_SM_E_clIPsSE_SF_SF_EESJ_SZ_SK_SL_SM_EUlSZ_E0_NS1_11comp_targetILNS1_3genE5ELNS1_11target_archE942ELNS1_3gpuE9ELNS1_3repE0EEENS1_38merge_mergepath_config_static_selectorELNS0_4arch9wavefront6targetE1EEEvSL_,comdat
.Lfunc_end1885:
	.size	_ZN7rocprim17ROCPRIM_400000_NS6detail17trampoline_kernelINS0_14default_configENS1_38merge_sort_block_merge_config_selectorIsNS0_10empty_typeEEEZZNS1_27merge_sort_block_merge_implIS3_N6thrust23THRUST_200600_302600_NS6detail15normal_iteratorINS9_10device_ptrIsEEEEPS5_jNS1_19radix_merge_compareILb0ELb1EsNS0_19identity_decomposerEEEEE10hipError_tT0_T1_T2_jT3_P12ihipStream_tbPNSt15iterator_traitsISK_E10value_typeEPNSQ_ISL_E10value_typeEPSM_NS1_7vsmem_tEENKUlT_SK_SL_SM_E_clIPsSE_SF_SF_EESJ_SZ_SK_SL_SM_EUlSZ_E0_NS1_11comp_targetILNS1_3genE5ELNS1_11target_archE942ELNS1_3gpuE9ELNS1_3repE0EEENS1_38merge_mergepath_config_static_selectorELNS0_4arch9wavefront6targetE1EEEvSL_, .Lfunc_end1885-_ZN7rocprim17ROCPRIM_400000_NS6detail17trampoline_kernelINS0_14default_configENS1_38merge_sort_block_merge_config_selectorIsNS0_10empty_typeEEEZZNS1_27merge_sort_block_merge_implIS3_N6thrust23THRUST_200600_302600_NS6detail15normal_iteratorINS9_10device_ptrIsEEEEPS5_jNS1_19radix_merge_compareILb0ELb1EsNS0_19identity_decomposerEEEEE10hipError_tT0_T1_T2_jT3_P12ihipStream_tbPNSt15iterator_traitsISK_E10value_typeEPNSQ_ISL_E10value_typeEPSM_NS1_7vsmem_tEENKUlT_SK_SL_SM_E_clIPsSE_SF_SF_EESJ_SZ_SK_SL_SM_EUlSZ_E0_NS1_11comp_targetILNS1_3genE5ELNS1_11target_archE942ELNS1_3gpuE9ELNS1_3repE0EEENS1_38merge_mergepath_config_static_selectorELNS0_4arch9wavefront6targetE1EEEvSL_
                                        ; -- End function
	.section	.AMDGPU.csdata,"",@progbits
; Kernel info:
; codeLenInByte = 3628
; NumSgprs: 31
; NumVgprs: 26
; NumAgprs: 0
; TotalNumVgprs: 26
; ScratchSize: 0
; MemoryBound: 0
; FloatMode: 240
; IeeeMode: 1
; LDSByteSize: 2112 bytes/workgroup (compile time only)
; SGPRBlocks: 3
; VGPRBlocks: 3
; NumSGPRsForWavesPerEU: 31
; NumVGPRsForWavesPerEU: 26
; AccumOffset: 28
; Occupancy: 8
; WaveLimiterHint : 1
; COMPUTE_PGM_RSRC2:SCRATCH_EN: 0
; COMPUTE_PGM_RSRC2:USER_SGPR: 2
; COMPUTE_PGM_RSRC2:TRAP_HANDLER: 0
; COMPUTE_PGM_RSRC2:TGID_X_EN: 1
; COMPUTE_PGM_RSRC2:TGID_Y_EN: 1
; COMPUTE_PGM_RSRC2:TGID_Z_EN: 1
; COMPUTE_PGM_RSRC2:TIDIG_COMP_CNT: 0
; COMPUTE_PGM_RSRC3_GFX90A:ACCUM_OFFSET: 6
; COMPUTE_PGM_RSRC3_GFX90A:TG_SPLIT: 0
	.section	.text._ZN7rocprim17ROCPRIM_400000_NS6detail17trampoline_kernelINS0_14default_configENS1_38merge_sort_block_merge_config_selectorIsNS0_10empty_typeEEEZZNS1_27merge_sort_block_merge_implIS3_N6thrust23THRUST_200600_302600_NS6detail15normal_iteratorINS9_10device_ptrIsEEEEPS5_jNS1_19radix_merge_compareILb0ELb1EsNS0_19identity_decomposerEEEEE10hipError_tT0_T1_T2_jT3_P12ihipStream_tbPNSt15iterator_traitsISK_E10value_typeEPNSQ_ISL_E10value_typeEPSM_NS1_7vsmem_tEENKUlT_SK_SL_SM_E_clIPsSE_SF_SF_EESJ_SZ_SK_SL_SM_EUlSZ_E0_NS1_11comp_targetILNS1_3genE4ELNS1_11target_archE910ELNS1_3gpuE8ELNS1_3repE0EEENS1_38merge_mergepath_config_static_selectorELNS0_4arch9wavefront6targetE1EEEvSL_,"axG",@progbits,_ZN7rocprim17ROCPRIM_400000_NS6detail17trampoline_kernelINS0_14default_configENS1_38merge_sort_block_merge_config_selectorIsNS0_10empty_typeEEEZZNS1_27merge_sort_block_merge_implIS3_N6thrust23THRUST_200600_302600_NS6detail15normal_iteratorINS9_10device_ptrIsEEEEPS5_jNS1_19radix_merge_compareILb0ELb1EsNS0_19identity_decomposerEEEEE10hipError_tT0_T1_T2_jT3_P12ihipStream_tbPNSt15iterator_traitsISK_E10value_typeEPNSQ_ISL_E10value_typeEPSM_NS1_7vsmem_tEENKUlT_SK_SL_SM_E_clIPsSE_SF_SF_EESJ_SZ_SK_SL_SM_EUlSZ_E0_NS1_11comp_targetILNS1_3genE4ELNS1_11target_archE910ELNS1_3gpuE8ELNS1_3repE0EEENS1_38merge_mergepath_config_static_selectorELNS0_4arch9wavefront6targetE1EEEvSL_,comdat
	.protected	_ZN7rocprim17ROCPRIM_400000_NS6detail17trampoline_kernelINS0_14default_configENS1_38merge_sort_block_merge_config_selectorIsNS0_10empty_typeEEEZZNS1_27merge_sort_block_merge_implIS3_N6thrust23THRUST_200600_302600_NS6detail15normal_iteratorINS9_10device_ptrIsEEEEPS5_jNS1_19radix_merge_compareILb0ELb1EsNS0_19identity_decomposerEEEEE10hipError_tT0_T1_T2_jT3_P12ihipStream_tbPNSt15iterator_traitsISK_E10value_typeEPNSQ_ISL_E10value_typeEPSM_NS1_7vsmem_tEENKUlT_SK_SL_SM_E_clIPsSE_SF_SF_EESJ_SZ_SK_SL_SM_EUlSZ_E0_NS1_11comp_targetILNS1_3genE4ELNS1_11target_archE910ELNS1_3gpuE8ELNS1_3repE0EEENS1_38merge_mergepath_config_static_selectorELNS0_4arch9wavefront6targetE1EEEvSL_ ; -- Begin function _ZN7rocprim17ROCPRIM_400000_NS6detail17trampoline_kernelINS0_14default_configENS1_38merge_sort_block_merge_config_selectorIsNS0_10empty_typeEEEZZNS1_27merge_sort_block_merge_implIS3_N6thrust23THRUST_200600_302600_NS6detail15normal_iteratorINS9_10device_ptrIsEEEEPS5_jNS1_19radix_merge_compareILb0ELb1EsNS0_19identity_decomposerEEEEE10hipError_tT0_T1_T2_jT3_P12ihipStream_tbPNSt15iterator_traitsISK_E10value_typeEPNSQ_ISL_E10value_typeEPSM_NS1_7vsmem_tEENKUlT_SK_SL_SM_E_clIPsSE_SF_SF_EESJ_SZ_SK_SL_SM_EUlSZ_E0_NS1_11comp_targetILNS1_3genE4ELNS1_11target_archE910ELNS1_3gpuE8ELNS1_3repE0EEENS1_38merge_mergepath_config_static_selectorELNS0_4arch9wavefront6targetE1EEEvSL_
	.globl	_ZN7rocprim17ROCPRIM_400000_NS6detail17trampoline_kernelINS0_14default_configENS1_38merge_sort_block_merge_config_selectorIsNS0_10empty_typeEEEZZNS1_27merge_sort_block_merge_implIS3_N6thrust23THRUST_200600_302600_NS6detail15normal_iteratorINS9_10device_ptrIsEEEEPS5_jNS1_19radix_merge_compareILb0ELb1EsNS0_19identity_decomposerEEEEE10hipError_tT0_T1_T2_jT3_P12ihipStream_tbPNSt15iterator_traitsISK_E10value_typeEPNSQ_ISL_E10value_typeEPSM_NS1_7vsmem_tEENKUlT_SK_SL_SM_E_clIPsSE_SF_SF_EESJ_SZ_SK_SL_SM_EUlSZ_E0_NS1_11comp_targetILNS1_3genE4ELNS1_11target_archE910ELNS1_3gpuE8ELNS1_3repE0EEENS1_38merge_mergepath_config_static_selectorELNS0_4arch9wavefront6targetE1EEEvSL_
	.p2align	8
	.type	_ZN7rocprim17ROCPRIM_400000_NS6detail17trampoline_kernelINS0_14default_configENS1_38merge_sort_block_merge_config_selectorIsNS0_10empty_typeEEEZZNS1_27merge_sort_block_merge_implIS3_N6thrust23THRUST_200600_302600_NS6detail15normal_iteratorINS9_10device_ptrIsEEEEPS5_jNS1_19radix_merge_compareILb0ELb1EsNS0_19identity_decomposerEEEEE10hipError_tT0_T1_T2_jT3_P12ihipStream_tbPNSt15iterator_traitsISK_E10value_typeEPNSQ_ISL_E10value_typeEPSM_NS1_7vsmem_tEENKUlT_SK_SL_SM_E_clIPsSE_SF_SF_EESJ_SZ_SK_SL_SM_EUlSZ_E0_NS1_11comp_targetILNS1_3genE4ELNS1_11target_archE910ELNS1_3gpuE8ELNS1_3repE0EEENS1_38merge_mergepath_config_static_selectorELNS0_4arch9wavefront6targetE1EEEvSL_,@function
_ZN7rocprim17ROCPRIM_400000_NS6detail17trampoline_kernelINS0_14default_configENS1_38merge_sort_block_merge_config_selectorIsNS0_10empty_typeEEEZZNS1_27merge_sort_block_merge_implIS3_N6thrust23THRUST_200600_302600_NS6detail15normal_iteratorINS9_10device_ptrIsEEEEPS5_jNS1_19radix_merge_compareILb0ELb1EsNS0_19identity_decomposerEEEEE10hipError_tT0_T1_T2_jT3_P12ihipStream_tbPNSt15iterator_traitsISK_E10value_typeEPNSQ_ISL_E10value_typeEPSM_NS1_7vsmem_tEENKUlT_SK_SL_SM_E_clIPsSE_SF_SF_EESJ_SZ_SK_SL_SM_EUlSZ_E0_NS1_11comp_targetILNS1_3genE4ELNS1_11target_archE910ELNS1_3gpuE8ELNS1_3repE0EEENS1_38merge_mergepath_config_static_selectorELNS0_4arch9wavefront6targetE1EEEvSL_: ; @_ZN7rocprim17ROCPRIM_400000_NS6detail17trampoline_kernelINS0_14default_configENS1_38merge_sort_block_merge_config_selectorIsNS0_10empty_typeEEEZZNS1_27merge_sort_block_merge_implIS3_N6thrust23THRUST_200600_302600_NS6detail15normal_iteratorINS9_10device_ptrIsEEEEPS5_jNS1_19radix_merge_compareILb0ELb1EsNS0_19identity_decomposerEEEEE10hipError_tT0_T1_T2_jT3_P12ihipStream_tbPNSt15iterator_traitsISK_E10value_typeEPNSQ_ISL_E10value_typeEPSM_NS1_7vsmem_tEENKUlT_SK_SL_SM_E_clIPsSE_SF_SF_EESJ_SZ_SK_SL_SM_EUlSZ_E0_NS1_11comp_targetILNS1_3genE4ELNS1_11target_archE910ELNS1_3gpuE8ELNS1_3repE0EEENS1_38merge_mergepath_config_static_selectorELNS0_4arch9wavefront6targetE1EEEvSL_
; %bb.0:
	.section	.rodata,"a",@progbits
	.p2align	6, 0x0
	.amdhsa_kernel _ZN7rocprim17ROCPRIM_400000_NS6detail17trampoline_kernelINS0_14default_configENS1_38merge_sort_block_merge_config_selectorIsNS0_10empty_typeEEEZZNS1_27merge_sort_block_merge_implIS3_N6thrust23THRUST_200600_302600_NS6detail15normal_iteratorINS9_10device_ptrIsEEEEPS5_jNS1_19radix_merge_compareILb0ELb1EsNS0_19identity_decomposerEEEEE10hipError_tT0_T1_T2_jT3_P12ihipStream_tbPNSt15iterator_traitsISK_E10value_typeEPNSQ_ISL_E10value_typeEPSM_NS1_7vsmem_tEENKUlT_SK_SL_SM_E_clIPsSE_SF_SF_EESJ_SZ_SK_SL_SM_EUlSZ_E0_NS1_11comp_targetILNS1_3genE4ELNS1_11target_archE910ELNS1_3gpuE8ELNS1_3repE0EEENS1_38merge_mergepath_config_static_selectorELNS0_4arch9wavefront6targetE1EEEvSL_
		.amdhsa_group_segment_fixed_size 0
		.amdhsa_private_segment_fixed_size 0
		.amdhsa_kernarg_size 64
		.amdhsa_user_sgpr_count 2
		.amdhsa_user_sgpr_dispatch_ptr 0
		.amdhsa_user_sgpr_queue_ptr 0
		.amdhsa_user_sgpr_kernarg_segment_ptr 1
		.amdhsa_user_sgpr_dispatch_id 0
		.amdhsa_user_sgpr_kernarg_preload_length 0
		.amdhsa_user_sgpr_kernarg_preload_offset 0
		.amdhsa_user_sgpr_private_segment_size 0
		.amdhsa_uses_dynamic_stack 0
		.amdhsa_enable_private_segment 0
		.amdhsa_system_sgpr_workgroup_id_x 1
		.amdhsa_system_sgpr_workgroup_id_y 0
		.amdhsa_system_sgpr_workgroup_id_z 0
		.amdhsa_system_sgpr_workgroup_info 0
		.amdhsa_system_vgpr_workitem_id 0
		.amdhsa_next_free_vgpr 1
		.amdhsa_next_free_sgpr 0
		.amdhsa_accum_offset 4
		.amdhsa_reserve_vcc 0
		.amdhsa_float_round_mode_32 0
		.amdhsa_float_round_mode_16_64 0
		.amdhsa_float_denorm_mode_32 3
		.amdhsa_float_denorm_mode_16_64 3
		.amdhsa_dx10_clamp 1
		.amdhsa_ieee_mode 1
		.amdhsa_fp16_overflow 0
		.amdhsa_tg_split 0
		.amdhsa_exception_fp_ieee_invalid_op 0
		.amdhsa_exception_fp_denorm_src 0
		.amdhsa_exception_fp_ieee_div_zero 0
		.amdhsa_exception_fp_ieee_overflow 0
		.amdhsa_exception_fp_ieee_underflow 0
		.amdhsa_exception_fp_ieee_inexact 0
		.amdhsa_exception_int_div_zero 0
	.end_amdhsa_kernel
	.section	.text._ZN7rocprim17ROCPRIM_400000_NS6detail17trampoline_kernelINS0_14default_configENS1_38merge_sort_block_merge_config_selectorIsNS0_10empty_typeEEEZZNS1_27merge_sort_block_merge_implIS3_N6thrust23THRUST_200600_302600_NS6detail15normal_iteratorINS9_10device_ptrIsEEEEPS5_jNS1_19radix_merge_compareILb0ELb1EsNS0_19identity_decomposerEEEEE10hipError_tT0_T1_T2_jT3_P12ihipStream_tbPNSt15iterator_traitsISK_E10value_typeEPNSQ_ISL_E10value_typeEPSM_NS1_7vsmem_tEENKUlT_SK_SL_SM_E_clIPsSE_SF_SF_EESJ_SZ_SK_SL_SM_EUlSZ_E0_NS1_11comp_targetILNS1_3genE4ELNS1_11target_archE910ELNS1_3gpuE8ELNS1_3repE0EEENS1_38merge_mergepath_config_static_selectorELNS0_4arch9wavefront6targetE1EEEvSL_,"axG",@progbits,_ZN7rocprim17ROCPRIM_400000_NS6detail17trampoline_kernelINS0_14default_configENS1_38merge_sort_block_merge_config_selectorIsNS0_10empty_typeEEEZZNS1_27merge_sort_block_merge_implIS3_N6thrust23THRUST_200600_302600_NS6detail15normal_iteratorINS9_10device_ptrIsEEEEPS5_jNS1_19radix_merge_compareILb0ELb1EsNS0_19identity_decomposerEEEEE10hipError_tT0_T1_T2_jT3_P12ihipStream_tbPNSt15iterator_traitsISK_E10value_typeEPNSQ_ISL_E10value_typeEPSM_NS1_7vsmem_tEENKUlT_SK_SL_SM_E_clIPsSE_SF_SF_EESJ_SZ_SK_SL_SM_EUlSZ_E0_NS1_11comp_targetILNS1_3genE4ELNS1_11target_archE910ELNS1_3gpuE8ELNS1_3repE0EEENS1_38merge_mergepath_config_static_selectorELNS0_4arch9wavefront6targetE1EEEvSL_,comdat
.Lfunc_end1886:
	.size	_ZN7rocprim17ROCPRIM_400000_NS6detail17trampoline_kernelINS0_14default_configENS1_38merge_sort_block_merge_config_selectorIsNS0_10empty_typeEEEZZNS1_27merge_sort_block_merge_implIS3_N6thrust23THRUST_200600_302600_NS6detail15normal_iteratorINS9_10device_ptrIsEEEEPS5_jNS1_19radix_merge_compareILb0ELb1EsNS0_19identity_decomposerEEEEE10hipError_tT0_T1_T2_jT3_P12ihipStream_tbPNSt15iterator_traitsISK_E10value_typeEPNSQ_ISL_E10value_typeEPSM_NS1_7vsmem_tEENKUlT_SK_SL_SM_E_clIPsSE_SF_SF_EESJ_SZ_SK_SL_SM_EUlSZ_E0_NS1_11comp_targetILNS1_3genE4ELNS1_11target_archE910ELNS1_3gpuE8ELNS1_3repE0EEENS1_38merge_mergepath_config_static_selectorELNS0_4arch9wavefront6targetE1EEEvSL_, .Lfunc_end1886-_ZN7rocprim17ROCPRIM_400000_NS6detail17trampoline_kernelINS0_14default_configENS1_38merge_sort_block_merge_config_selectorIsNS0_10empty_typeEEEZZNS1_27merge_sort_block_merge_implIS3_N6thrust23THRUST_200600_302600_NS6detail15normal_iteratorINS9_10device_ptrIsEEEEPS5_jNS1_19radix_merge_compareILb0ELb1EsNS0_19identity_decomposerEEEEE10hipError_tT0_T1_T2_jT3_P12ihipStream_tbPNSt15iterator_traitsISK_E10value_typeEPNSQ_ISL_E10value_typeEPSM_NS1_7vsmem_tEENKUlT_SK_SL_SM_E_clIPsSE_SF_SF_EESJ_SZ_SK_SL_SM_EUlSZ_E0_NS1_11comp_targetILNS1_3genE4ELNS1_11target_archE910ELNS1_3gpuE8ELNS1_3repE0EEENS1_38merge_mergepath_config_static_selectorELNS0_4arch9wavefront6targetE1EEEvSL_
                                        ; -- End function
	.section	.AMDGPU.csdata,"",@progbits
; Kernel info:
; codeLenInByte = 0
; NumSgprs: 6
; NumVgprs: 0
; NumAgprs: 0
; TotalNumVgprs: 0
; ScratchSize: 0
; MemoryBound: 0
; FloatMode: 240
; IeeeMode: 1
; LDSByteSize: 0 bytes/workgroup (compile time only)
; SGPRBlocks: 0
; VGPRBlocks: 0
; NumSGPRsForWavesPerEU: 6
; NumVGPRsForWavesPerEU: 1
; AccumOffset: 4
; Occupancy: 8
; WaveLimiterHint : 0
; COMPUTE_PGM_RSRC2:SCRATCH_EN: 0
; COMPUTE_PGM_RSRC2:USER_SGPR: 2
; COMPUTE_PGM_RSRC2:TRAP_HANDLER: 0
; COMPUTE_PGM_RSRC2:TGID_X_EN: 1
; COMPUTE_PGM_RSRC2:TGID_Y_EN: 0
; COMPUTE_PGM_RSRC2:TGID_Z_EN: 0
; COMPUTE_PGM_RSRC2:TIDIG_COMP_CNT: 0
; COMPUTE_PGM_RSRC3_GFX90A:ACCUM_OFFSET: 0
; COMPUTE_PGM_RSRC3_GFX90A:TG_SPLIT: 0
	.section	.text._ZN7rocprim17ROCPRIM_400000_NS6detail17trampoline_kernelINS0_14default_configENS1_38merge_sort_block_merge_config_selectorIsNS0_10empty_typeEEEZZNS1_27merge_sort_block_merge_implIS3_N6thrust23THRUST_200600_302600_NS6detail15normal_iteratorINS9_10device_ptrIsEEEEPS5_jNS1_19radix_merge_compareILb0ELb1EsNS0_19identity_decomposerEEEEE10hipError_tT0_T1_T2_jT3_P12ihipStream_tbPNSt15iterator_traitsISK_E10value_typeEPNSQ_ISL_E10value_typeEPSM_NS1_7vsmem_tEENKUlT_SK_SL_SM_E_clIPsSE_SF_SF_EESJ_SZ_SK_SL_SM_EUlSZ_E0_NS1_11comp_targetILNS1_3genE3ELNS1_11target_archE908ELNS1_3gpuE7ELNS1_3repE0EEENS1_38merge_mergepath_config_static_selectorELNS0_4arch9wavefront6targetE1EEEvSL_,"axG",@progbits,_ZN7rocprim17ROCPRIM_400000_NS6detail17trampoline_kernelINS0_14default_configENS1_38merge_sort_block_merge_config_selectorIsNS0_10empty_typeEEEZZNS1_27merge_sort_block_merge_implIS3_N6thrust23THRUST_200600_302600_NS6detail15normal_iteratorINS9_10device_ptrIsEEEEPS5_jNS1_19radix_merge_compareILb0ELb1EsNS0_19identity_decomposerEEEEE10hipError_tT0_T1_T2_jT3_P12ihipStream_tbPNSt15iterator_traitsISK_E10value_typeEPNSQ_ISL_E10value_typeEPSM_NS1_7vsmem_tEENKUlT_SK_SL_SM_E_clIPsSE_SF_SF_EESJ_SZ_SK_SL_SM_EUlSZ_E0_NS1_11comp_targetILNS1_3genE3ELNS1_11target_archE908ELNS1_3gpuE7ELNS1_3repE0EEENS1_38merge_mergepath_config_static_selectorELNS0_4arch9wavefront6targetE1EEEvSL_,comdat
	.protected	_ZN7rocprim17ROCPRIM_400000_NS6detail17trampoline_kernelINS0_14default_configENS1_38merge_sort_block_merge_config_selectorIsNS0_10empty_typeEEEZZNS1_27merge_sort_block_merge_implIS3_N6thrust23THRUST_200600_302600_NS6detail15normal_iteratorINS9_10device_ptrIsEEEEPS5_jNS1_19radix_merge_compareILb0ELb1EsNS0_19identity_decomposerEEEEE10hipError_tT0_T1_T2_jT3_P12ihipStream_tbPNSt15iterator_traitsISK_E10value_typeEPNSQ_ISL_E10value_typeEPSM_NS1_7vsmem_tEENKUlT_SK_SL_SM_E_clIPsSE_SF_SF_EESJ_SZ_SK_SL_SM_EUlSZ_E0_NS1_11comp_targetILNS1_3genE3ELNS1_11target_archE908ELNS1_3gpuE7ELNS1_3repE0EEENS1_38merge_mergepath_config_static_selectorELNS0_4arch9wavefront6targetE1EEEvSL_ ; -- Begin function _ZN7rocprim17ROCPRIM_400000_NS6detail17trampoline_kernelINS0_14default_configENS1_38merge_sort_block_merge_config_selectorIsNS0_10empty_typeEEEZZNS1_27merge_sort_block_merge_implIS3_N6thrust23THRUST_200600_302600_NS6detail15normal_iteratorINS9_10device_ptrIsEEEEPS5_jNS1_19radix_merge_compareILb0ELb1EsNS0_19identity_decomposerEEEEE10hipError_tT0_T1_T2_jT3_P12ihipStream_tbPNSt15iterator_traitsISK_E10value_typeEPNSQ_ISL_E10value_typeEPSM_NS1_7vsmem_tEENKUlT_SK_SL_SM_E_clIPsSE_SF_SF_EESJ_SZ_SK_SL_SM_EUlSZ_E0_NS1_11comp_targetILNS1_3genE3ELNS1_11target_archE908ELNS1_3gpuE7ELNS1_3repE0EEENS1_38merge_mergepath_config_static_selectorELNS0_4arch9wavefront6targetE1EEEvSL_
	.globl	_ZN7rocprim17ROCPRIM_400000_NS6detail17trampoline_kernelINS0_14default_configENS1_38merge_sort_block_merge_config_selectorIsNS0_10empty_typeEEEZZNS1_27merge_sort_block_merge_implIS3_N6thrust23THRUST_200600_302600_NS6detail15normal_iteratorINS9_10device_ptrIsEEEEPS5_jNS1_19radix_merge_compareILb0ELb1EsNS0_19identity_decomposerEEEEE10hipError_tT0_T1_T2_jT3_P12ihipStream_tbPNSt15iterator_traitsISK_E10value_typeEPNSQ_ISL_E10value_typeEPSM_NS1_7vsmem_tEENKUlT_SK_SL_SM_E_clIPsSE_SF_SF_EESJ_SZ_SK_SL_SM_EUlSZ_E0_NS1_11comp_targetILNS1_3genE3ELNS1_11target_archE908ELNS1_3gpuE7ELNS1_3repE0EEENS1_38merge_mergepath_config_static_selectorELNS0_4arch9wavefront6targetE1EEEvSL_
	.p2align	8
	.type	_ZN7rocprim17ROCPRIM_400000_NS6detail17trampoline_kernelINS0_14default_configENS1_38merge_sort_block_merge_config_selectorIsNS0_10empty_typeEEEZZNS1_27merge_sort_block_merge_implIS3_N6thrust23THRUST_200600_302600_NS6detail15normal_iteratorINS9_10device_ptrIsEEEEPS5_jNS1_19radix_merge_compareILb0ELb1EsNS0_19identity_decomposerEEEEE10hipError_tT0_T1_T2_jT3_P12ihipStream_tbPNSt15iterator_traitsISK_E10value_typeEPNSQ_ISL_E10value_typeEPSM_NS1_7vsmem_tEENKUlT_SK_SL_SM_E_clIPsSE_SF_SF_EESJ_SZ_SK_SL_SM_EUlSZ_E0_NS1_11comp_targetILNS1_3genE3ELNS1_11target_archE908ELNS1_3gpuE7ELNS1_3repE0EEENS1_38merge_mergepath_config_static_selectorELNS0_4arch9wavefront6targetE1EEEvSL_,@function
_ZN7rocprim17ROCPRIM_400000_NS6detail17trampoline_kernelINS0_14default_configENS1_38merge_sort_block_merge_config_selectorIsNS0_10empty_typeEEEZZNS1_27merge_sort_block_merge_implIS3_N6thrust23THRUST_200600_302600_NS6detail15normal_iteratorINS9_10device_ptrIsEEEEPS5_jNS1_19radix_merge_compareILb0ELb1EsNS0_19identity_decomposerEEEEE10hipError_tT0_T1_T2_jT3_P12ihipStream_tbPNSt15iterator_traitsISK_E10value_typeEPNSQ_ISL_E10value_typeEPSM_NS1_7vsmem_tEENKUlT_SK_SL_SM_E_clIPsSE_SF_SF_EESJ_SZ_SK_SL_SM_EUlSZ_E0_NS1_11comp_targetILNS1_3genE3ELNS1_11target_archE908ELNS1_3gpuE7ELNS1_3repE0EEENS1_38merge_mergepath_config_static_selectorELNS0_4arch9wavefront6targetE1EEEvSL_: ; @_ZN7rocprim17ROCPRIM_400000_NS6detail17trampoline_kernelINS0_14default_configENS1_38merge_sort_block_merge_config_selectorIsNS0_10empty_typeEEEZZNS1_27merge_sort_block_merge_implIS3_N6thrust23THRUST_200600_302600_NS6detail15normal_iteratorINS9_10device_ptrIsEEEEPS5_jNS1_19radix_merge_compareILb0ELb1EsNS0_19identity_decomposerEEEEE10hipError_tT0_T1_T2_jT3_P12ihipStream_tbPNSt15iterator_traitsISK_E10value_typeEPNSQ_ISL_E10value_typeEPSM_NS1_7vsmem_tEENKUlT_SK_SL_SM_E_clIPsSE_SF_SF_EESJ_SZ_SK_SL_SM_EUlSZ_E0_NS1_11comp_targetILNS1_3genE3ELNS1_11target_archE908ELNS1_3gpuE7ELNS1_3repE0EEENS1_38merge_mergepath_config_static_selectorELNS0_4arch9wavefront6targetE1EEEvSL_
; %bb.0:
	.section	.rodata,"a",@progbits
	.p2align	6, 0x0
	.amdhsa_kernel _ZN7rocprim17ROCPRIM_400000_NS6detail17trampoline_kernelINS0_14default_configENS1_38merge_sort_block_merge_config_selectorIsNS0_10empty_typeEEEZZNS1_27merge_sort_block_merge_implIS3_N6thrust23THRUST_200600_302600_NS6detail15normal_iteratorINS9_10device_ptrIsEEEEPS5_jNS1_19radix_merge_compareILb0ELb1EsNS0_19identity_decomposerEEEEE10hipError_tT0_T1_T2_jT3_P12ihipStream_tbPNSt15iterator_traitsISK_E10value_typeEPNSQ_ISL_E10value_typeEPSM_NS1_7vsmem_tEENKUlT_SK_SL_SM_E_clIPsSE_SF_SF_EESJ_SZ_SK_SL_SM_EUlSZ_E0_NS1_11comp_targetILNS1_3genE3ELNS1_11target_archE908ELNS1_3gpuE7ELNS1_3repE0EEENS1_38merge_mergepath_config_static_selectorELNS0_4arch9wavefront6targetE1EEEvSL_
		.amdhsa_group_segment_fixed_size 0
		.amdhsa_private_segment_fixed_size 0
		.amdhsa_kernarg_size 64
		.amdhsa_user_sgpr_count 2
		.amdhsa_user_sgpr_dispatch_ptr 0
		.amdhsa_user_sgpr_queue_ptr 0
		.amdhsa_user_sgpr_kernarg_segment_ptr 1
		.amdhsa_user_sgpr_dispatch_id 0
		.amdhsa_user_sgpr_kernarg_preload_length 0
		.amdhsa_user_sgpr_kernarg_preload_offset 0
		.amdhsa_user_sgpr_private_segment_size 0
		.amdhsa_uses_dynamic_stack 0
		.amdhsa_enable_private_segment 0
		.amdhsa_system_sgpr_workgroup_id_x 1
		.amdhsa_system_sgpr_workgroup_id_y 0
		.amdhsa_system_sgpr_workgroup_id_z 0
		.amdhsa_system_sgpr_workgroup_info 0
		.amdhsa_system_vgpr_workitem_id 0
		.amdhsa_next_free_vgpr 1
		.amdhsa_next_free_sgpr 0
		.amdhsa_accum_offset 4
		.amdhsa_reserve_vcc 0
		.amdhsa_float_round_mode_32 0
		.amdhsa_float_round_mode_16_64 0
		.amdhsa_float_denorm_mode_32 3
		.amdhsa_float_denorm_mode_16_64 3
		.amdhsa_dx10_clamp 1
		.amdhsa_ieee_mode 1
		.amdhsa_fp16_overflow 0
		.amdhsa_tg_split 0
		.amdhsa_exception_fp_ieee_invalid_op 0
		.amdhsa_exception_fp_denorm_src 0
		.amdhsa_exception_fp_ieee_div_zero 0
		.amdhsa_exception_fp_ieee_overflow 0
		.amdhsa_exception_fp_ieee_underflow 0
		.amdhsa_exception_fp_ieee_inexact 0
		.amdhsa_exception_int_div_zero 0
	.end_amdhsa_kernel
	.section	.text._ZN7rocprim17ROCPRIM_400000_NS6detail17trampoline_kernelINS0_14default_configENS1_38merge_sort_block_merge_config_selectorIsNS0_10empty_typeEEEZZNS1_27merge_sort_block_merge_implIS3_N6thrust23THRUST_200600_302600_NS6detail15normal_iteratorINS9_10device_ptrIsEEEEPS5_jNS1_19radix_merge_compareILb0ELb1EsNS0_19identity_decomposerEEEEE10hipError_tT0_T1_T2_jT3_P12ihipStream_tbPNSt15iterator_traitsISK_E10value_typeEPNSQ_ISL_E10value_typeEPSM_NS1_7vsmem_tEENKUlT_SK_SL_SM_E_clIPsSE_SF_SF_EESJ_SZ_SK_SL_SM_EUlSZ_E0_NS1_11comp_targetILNS1_3genE3ELNS1_11target_archE908ELNS1_3gpuE7ELNS1_3repE0EEENS1_38merge_mergepath_config_static_selectorELNS0_4arch9wavefront6targetE1EEEvSL_,"axG",@progbits,_ZN7rocprim17ROCPRIM_400000_NS6detail17trampoline_kernelINS0_14default_configENS1_38merge_sort_block_merge_config_selectorIsNS0_10empty_typeEEEZZNS1_27merge_sort_block_merge_implIS3_N6thrust23THRUST_200600_302600_NS6detail15normal_iteratorINS9_10device_ptrIsEEEEPS5_jNS1_19radix_merge_compareILb0ELb1EsNS0_19identity_decomposerEEEEE10hipError_tT0_T1_T2_jT3_P12ihipStream_tbPNSt15iterator_traitsISK_E10value_typeEPNSQ_ISL_E10value_typeEPSM_NS1_7vsmem_tEENKUlT_SK_SL_SM_E_clIPsSE_SF_SF_EESJ_SZ_SK_SL_SM_EUlSZ_E0_NS1_11comp_targetILNS1_3genE3ELNS1_11target_archE908ELNS1_3gpuE7ELNS1_3repE0EEENS1_38merge_mergepath_config_static_selectorELNS0_4arch9wavefront6targetE1EEEvSL_,comdat
.Lfunc_end1887:
	.size	_ZN7rocprim17ROCPRIM_400000_NS6detail17trampoline_kernelINS0_14default_configENS1_38merge_sort_block_merge_config_selectorIsNS0_10empty_typeEEEZZNS1_27merge_sort_block_merge_implIS3_N6thrust23THRUST_200600_302600_NS6detail15normal_iteratorINS9_10device_ptrIsEEEEPS5_jNS1_19radix_merge_compareILb0ELb1EsNS0_19identity_decomposerEEEEE10hipError_tT0_T1_T2_jT3_P12ihipStream_tbPNSt15iterator_traitsISK_E10value_typeEPNSQ_ISL_E10value_typeEPSM_NS1_7vsmem_tEENKUlT_SK_SL_SM_E_clIPsSE_SF_SF_EESJ_SZ_SK_SL_SM_EUlSZ_E0_NS1_11comp_targetILNS1_3genE3ELNS1_11target_archE908ELNS1_3gpuE7ELNS1_3repE0EEENS1_38merge_mergepath_config_static_selectorELNS0_4arch9wavefront6targetE1EEEvSL_, .Lfunc_end1887-_ZN7rocprim17ROCPRIM_400000_NS6detail17trampoline_kernelINS0_14default_configENS1_38merge_sort_block_merge_config_selectorIsNS0_10empty_typeEEEZZNS1_27merge_sort_block_merge_implIS3_N6thrust23THRUST_200600_302600_NS6detail15normal_iteratorINS9_10device_ptrIsEEEEPS5_jNS1_19radix_merge_compareILb0ELb1EsNS0_19identity_decomposerEEEEE10hipError_tT0_T1_T2_jT3_P12ihipStream_tbPNSt15iterator_traitsISK_E10value_typeEPNSQ_ISL_E10value_typeEPSM_NS1_7vsmem_tEENKUlT_SK_SL_SM_E_clIPsSE_SF_SF_EESJ_SZ_SK_SL_SM_EUlSZ_E0_NS1_11comp_targetILNS1_3genE3ELNS1_11target_archE908ELNS1_3gpuE7ELNS1_3repE0EEENS1_38merge_mergepath_config_static_selectorELNS0_4arch9wavefront6targetE1EEEvSL_
                                        ; -- End function
	.section	.AMDGPU.csdata,"",@progbits
; Kernel info:
; codeLenInByte = 0
; NumSgprs: 6
; NumVgprs: 0
; NumAgprs: 0
; TotalNumVgprs: 0
; ScratchSize: 0
; MemoryBound: 0
; FloatMode: 240
; IeeeMode: 1
; LDSByteSize: 0 bytes/workgroup (compile time only)
; SGPRBlocks: 0
; VGPRBlocks: 0
; NumSGPRsForWavesPerEU: 6
; NumVGPRsForWavesPerEU: 1
; AccumOffset: 4
; Occupancy: 8
; WaveLimiterHint : 0
; COMPUTE_PGM_RSRC2:SCRATCH_EN: 0
; COMPUTE_PGM_RSRC2:USER_SGPR: 2
; COMPUTE_PGM_RSRC2:TRAP_HANDLER: 0
; COMPUTE_PGM_RSRC2:TGID_X_EN: 1
; COMPUTE_PGM_RSRC2:TGID_Y_EN: 0
; COMPUTE_PGM_RSRC2:TGID_Z_EN: 0
; COMPUTE_PGM_RSRC2:TIDIG_COMP_CNT: 0
; COMPUTE_PGM_RSRC3_GFX90A:ACCUM_OFFSET: 0
; COMPUTE_PGM_RSRC3_GFX90A:TG_SPLIT: 0
	.section	.text._ZN7rocprim17ROCPRIM_400000_NS6detail17trampoline_kernelINS0_14default_configENS1_38merge_sort_block_merge_config_selectorIsNS0_10empty_typeEEEZZNS1_27merge_sort_block_merge_implIS3_N6thrust23THRUST_200600_302600_NS6detail15normal_iteratorINS9_10device_ptrIsEEEEPS5_jNS1_19radix_merge_compareILb0ELb1EsNS0_19identity_decomposerEEEEE10hipError_tT0_T1_T2_jT3_P12ihipStream_tbPNSt15iterator_traitsISK_E10value_typeEPNSQ_ISL_E10value_typeEPSM_NS1_7vsmem_tEENKUlT_SK_SL_SM_E_clIPsSE_SF_SF_EESJ_SZ_SK_SL_SM_EUlSZ_E0_NS1_11comp_targetILNS1_3genE2ELNS1_11target_archE906ELNS1_3gpuE6ELNS1_3repE0EEENS1_38merge_mergepath_config_static_selectorELNS0_4arch9wavefront6targetE1EEEvSL_,"axG",@progbits,_ZN7rocprim17ROCPRIM_400000_NS6detail17trampoline_kernelINS0_14default_configENS1_38merge_sort_block_merge_config_selectorIsNS0_10empty_typeEEEZZNS1_27merge_sort_block_merge_implIS3_N6thrust23THRUST_200600_302600_NS6detail15normal_iteratorINS9_10device_ptrIsEEEEPS5_jNS1_19radix_merge_compareILb0ELb1EsNS0_19identity_decomposerEEEEE10hipError_tT0_T1_T2_jT3_P12ihipStream_tbPNSt15iterator_traitsISK_E10value_typeEPNSQ_ISL_E10value_typeEPSM_NS1_7vsmem_tEENKUlT_SK_SL_SM_E_clIPsSE_SF_SF_EESJ_SZ_SK_SL_SM_EUlSZ_E0_NS1_11comp_targetILNS1_3genE2ELNS1_11target_archE906ELNS1_3gpuE6ELNS1_3repE0EEENS1_38merge_mergepath_config_static_selectorELNS0_4arch9wavefront6targetE1EEEvSL_,comdat
	.protected	_ZN7rocprim17ROCPRIM_400000_NS6detail17trampoline_kernelINS0_14default_configENS1_38merge_sort_block_merge_config_selectorIsNS0_10empty_typeEEEZZNS1_27merge_sort_block_merge_implIS3_N6thrust23THRUST_200600_302600_NS6detail15normal_iteratorINS9_10device_ptrIsEEEEPS5_jNS1_19radix_merge_compareILb0ELb1EsNS0_19identity_decomposerEEEEE10hipError_tT0_T1_T2_jT3_P12ihipStream_tbPNSt15iterator_traitsISK_E10value_typeEPNSQ_ISL_E10value_typeEPSM_NS1_7vsmem_tEENKUlT_SK_SL_SM_E_clIPsSE_SF_SF_EESJ_SZ_SK_SL_SM_EUlSZ_E0_NS1_11comp_targetILNS1_3genE2ELNS1_11target_archE906ELNS1_3gpuE6ELNS1_3repE0EEENS1_38merge_mergepath_config_static_selectorELNS0_4arch9wavefront6targetE1EEEvSL_ ; -- Begin function _ZN7rocprim17ROCPRIM_400000_NS6detail17trampoline_kernelINS0_14default_configENS1_38merge_sort_block_merge_config_selectorIsNS0_10empty_typeEEEZZNS1_27merge_sort_block_merge_implIS3_N6thrust23THRUST_200600_302600_NS6detail15normal_iteratorINS9_10device_ptrIsEEEEPS5_jNS1_19radix_merge_compareILb0ELb1EsNS0_19identity_decomposerEEEEE10hipError_tT0_T1_T2_jT3_P12ihipStream_tbPNSt15iterator_traitsISK_E10value_typeEPNSQ_ISL_E10value_typeEPSM_NS1_7vsmem_tEENKUlT_SK_SL_SM_E_clIPsSE_SF_SF_EESJ_SZ_SK_SL_SM_EUlSZ_E0_NS1_11comp_targetILNS1_3genE2ELNS1_11target_archE906ELNS1_3gpuE6ELNS1_3repE0EEENS1_38merge_mergepath_config_static_selectorELNS0_4arch9wavefront6targetE1EEEvSL_
	.globl	_ZN7rocprim17ROCPRIM_400000_NS6detail17trampoline_kernelINS0_14default_configENS1_38merge_sort_block_merge_config_selectorIsNS0_10empty_typeEEEZZNS1_27merge_sort_block_merge_implIS3_N6thrust23THRUST_200600_302600_NS6detail15normal_iteratorINS9_10device_ptrIsEEEEPS5_jNS1_19radix_merge_compareILb0ELb1EsNS0_19identity_decomposerEEEEE10hipError_tT0_T1_T2_jT3_P12ihipStream_tbPNSt15iterator_traitsISK_E10value_typeEPNSQ_ISL_E10value_typeEPSM_NS1_7vsmem_tEENKUlT_SK_SL_SM_E_clIPsSE_SF_SF_EESJ_SZ_SK_SL_SM_EUlSZ_E0_NS1_11comp_targetILNS1_3genE2ELNS1_11target_archE906ELNS1_3gpuE6ELNS1_3repE0EEENS1_38merge_mergepath_config_static_selectorELNS0_4arch9wavefront6targetE1EEEvSL_
	.p2align	8
	.type	_ZN7rocprim17ROCPRIM_400000_NS6detail17trampoline_kernelINS0_14default_configENS1_38merge_sort_block_merge_config_selectorIsNS0_10empty_typeEEEZZNS1_27merge_sort_block_merge_implIS3_N6thrust23THRUST_200600_302600_NS6detail15normal_iteratorINS9_10device_ptrIsEEEEPS5_jNS1_19radix_merge_compareILb0ELb1EsNS0_19identity_decomposerEEEEE10hipError_tT0_T1_T2_jT3_P12ihipStream_tbPNSt15iterator_traitsISK_E10value_typeEPNSQ_ISL_E10value_typeEPSM_NS1_7vsmem_tEENKUlT_SK_SL_SM_E_clIPsSE_SF_SF_EESJ_SZ_SK_SL_SM_EUlSZ_E0_NS1_11comp_targetILNS1_3genE2ELNS1_11target_archE906ELNS1_3gpuE6ELNS1_3repE0EEENS1_38merge_mergepath_config_static_selectorELNS0_4arch9wavefront6targetE1EEEvSL_,@function
_ZN7rocprim17ROCPRIM_400000_NS6detail17trampoline_kernelINS0_14default_configENS1_38merge_sort_block_merge_config_selectorIsNS0_10empty_typeEEEZZNS1_27merge_sort_block_merge_implIS3_N6thrust23THRUST_200600_302600_NS6detail15normal_iteratorINS9_10device_ptrIsEEEEPS5_jNS1_19radix_merge_compareILb0ELb1EsNS0_19identity_decomposerEEEEE10hipError_tT0_T1_T2_jT3_P12ihipStream_tbPNSt15iterator_traitsISK_E10value_typeEPNSQ_ISL_E10value_typeEPSM_NS1_7vsmem_tEENKUlT_SK_SL_SM_E_clIPsSE_SF_SF_EESJ_SZ_SK_SL_SM_EUlSZ_E0_NS1_11comp_targetILNS1_3genE2ELNS1_11target_archE906ELNS1_3gpuE6ELNS1_3repE0EEENS1_38merge_mergepath_config_static_selectorELNS0_4arch9wavefront6targetE1EEEvSL_: ; @_ZN7rocprim17ROCPRIM_400000_NS6detail17trampoline_kernelINS0_14default_configENS1_38merge_sort_block_merge_config_selectorIsNS0_10empty_typeEEEZZNS1_27merge_sort_block_merge_implIS3_N6thrust23THRUST_200600_302600_NS6detail15normal_iteratorINS9_10device_ptrIsEEEEPS5_jNS1_19radix_merge_compareILb0ELb1EsNS0_19identity_decomposerEEEEE10hipError_tT0_T1_T2_jT3_P12ihipStream_tbPNSt15iterator_traitsISK_E10value_typeEPNSQ_ISL_E10value_typeEPSM_NS1_7vsmem_tEENKUlT_SK_SL_SM_E_clIPsSE_SF_SF_EESJ_SZ_SK_SL_SM_EUlSZ_E0_NS1_11comp_targetILNS1_3genE2ELNS1_11target_archE906ELNS1_3gpuE6ELNS1_3repE0EEENS1_38merge_mergepath_config_static_selectorELNS0_4arch9wavefront6targetE1EEEvSL_
; %bb.0:
	.section	.rodata,"a",@progbits
	.p2align	6, 0x0
	.amdhsa_kernel _ZN7rocprim17ROCPRIM_400000_NS6detail17trampoline_kernelINS0_14default_configENS1_38merge_sort_block_merge_config_selectorIsNS0_10empty_typeEEEZZNS1_27merge_sort_block_merge_implIS3_N6thrust23THRUST_200600_302600_NS6detail15normal_iteratorINS9_10device_ptrIsEEEEPS5_jNS1_19radix_merge_compareILb0ELb1EsNS0_19identity_decomposerEEEEE10hipError_tT0_T1_T2_jT3_P12ihipStream_tbPNSt15iterator_traitsISK_E10value_typeEPNSQ_ISL_E10value_typeEPSM_NS1_7vsmem_tEENKUlT_SK_SL_SM_E_clIPsSE_SF_SF_EESJ_SZ_SK_SL_SM_EUlSZ_E0_NS1_11comp_targetILNS1_3genE2ELNS1_11target_archE906ELNS1_3gpuE6ELNS1_3repE0EEENS1_38merge_mergepath_config_static_selectorELNS0_4arch9wavefront6targetE1EEEvSL_
		.amdhsa_group_segment_fixed_size 0
		.amdhsa_private_segment_fixed_size 0
		.amdhsa_kernarg_size 64
		.amdhsa_user_sgpr_count 2
		.amdhsa_user_sgpr_dispatch_ptr 0
		.amdhsa_user_sgpr_queue_ptr 0
		.amdhsa_user_sgpr_kernarg_segment_ptr 1
		.amdhsa_user_sgpr_dispatch_id 0
		.amdhsa_user_sgpr_kernarg_preload_length 0
		.amdhsa_user_sgpr_kernarg_preload_offset 0
		.amdhsa_user_sgpr_private_segment_size 0
		.amdhsa_uses_dynamic_stack 0
		.amdhsa_enable_private_segment 0
		.amdhsa_system_sgpr_workgroup_id_x 1
		.amdhsa_system_sgpr_workgroup_id_y 0
		.amdhsa_system_sgpr_workgroup_id_z 0
		.amdhsa_system_sgpr_workgroup_info 0
		.amdhsa_system_vgpr_workitem_id 0
		.amdhsa_next_free_vgpr 1
		.amdhsa_next_free_sgpr 0
		.amdhsa_accum_offset 4
		.amdhsa_reserve_vcc 0
		.amdhsa_float_round_mode_32 0
		.amdhsa_float_round_mode_16_64 0
		.amdhsa_float_denorm_mode_32 3
		.amdhsa_float_denorm_mode_16_64 3
		.amdhsa_dx10_clamp 1
		.amdhsa_ieee_mode 1
		.amdhsa_fp16_overflow 0
		.amdhsa_tg_split 0
		.amdhsa_exception_fp_ieee_invalid_op 0
		.amdhsa_exception_fp_denorm_src 0
		.amdhsa_exception_fp_ieee_div_zero 0
		.amdhsa_exception_fp_ieee_overflow 0
		.amdhsa_exception_fp_ieee_underflow 0
		.amdhsa_exception_fp_ieee_inexact 0
		.amdhsa_exception_int_div_zero 0
	.end_amdhsa_kernel
	.section	.text._ZN7rocprim17ROCPRIM_400000_NS6detail17trampoline_kernelINS0_14default_configENS1_38merge_sort_block_merge_config_selectorIsNS0_10empty_typeEEEZZNS1_27merge_sort_block_merge_implIS3_N6thrust23THRUST_200600_302600_NS6detail15normal_iteratorINS9_10device_ptrIsEEEEPS5_jNS1_19radix_merge_compareILb0ELb1EsNS0_19identity_decomposerEEEEE10hipError_tT0_T1_T2_jT3_P12ihipStream_tbPNSt15iterator_traitsISK_E10value_typeEPNSQ_ISL_E10value_typeEPSM_NS1_7vsmem_tEENKUlT_SK_SL_SM_E_clIPsSE_SF_SF_EESJ_SZ_SK_SL_SM_EUlSZ_E0_NS1_11comp_targetILNS1_3genE2ELNS1_11target_archE906ELNS1_3gpuE6ELNS1_3repE0EEENS1_38merge_mergepath_config_static_selectorELNS0_4arch9wavefront6targetE1EEEvSL_,"axG",@progbits,_ZN7rocprim17ROCPRIM_400000_NS6detail17trampoline_kernelINS0_14default_configENS1_38merge_sort_block_merge_config_selectorIsNS0_10empty_typeEEEZZNS1_27merge_sort_block_merge_implIS3_N6thrust23THRUST_200600_302600_NS6detail15normal_iteratorINS9_10device_ptrIsEEEEPS5_jNS1_19radix_merge_compareILb0ELb1EsNS0_19identity_decomposerEEEEE10hipError_tT0_T1_T2_jT3_P12ihipStream_tbPNSt15iterator_traitsISK_E10value_typeEPNSQ_ISL_E10value_typeEPSM_NS1_7vsmem_tEENKUlT_SK_SL_SM_E_clIPsSE_SF_SF_EESJ_SZ_SK_SL_SM_EUlSZ_E0_NS1_11comp_targetILNS1_3genE2ELNS1_11target_archE906ELNS1_3gpuE6ELNS1_3repE0EEENS1_38merge_mergepath_config_static_selectorELNS0_4arch9wavefront6targetE1EEEvSL_,comdat
.Lfunc_end1888:
	.size	_ZN7rocprim17ROCPRIM_400000_NS6detail17trampoline_kernelINS0_14default_configENS1_38merge_sort_block_merge_config_selectorIsNS0_10empty_typeEEEZZNS1_27merge_sort_block_merge_implIS3_N6thrust23THRUST_200600_302600_NS6detail15normal_iteratorINS9_10device_ptrIsEEEEPS5_jNS1_19radix_merge_compareILb0ELb1EsNS0_19identity_decomposerEEEEE10hipError_tT0_T1_T2_jT3_P12ihipStream_tbPNSt15iterator_traitsISK_E10value_typeEPNSQ_ISL_E10value_typeEPSM_NS1_7vsmem_tEENKUlT_SK_SL_SM_E_clIPsSE_SF_SF_EESJ_SZ_SK_SL_SM_EUlSZ_E0_NS1_11comp_targetILNS1_3genE2ELNS1_11target_archE906ELNS1_3gpuE6ELNS1_3repE0EEENS1_38merge_mergepath_config_static_selectorELNS0_4arch9wavefront6targetE1EEEvSL_, .Lfunc_end1888-_ZN7rocprim17ROCPRIM_400000_NS6detail17trampoline_kernelINS0_14default_configENS1_38merge_sort_block_merge_config_selectorIsNS0_10empty_typeEEEZZNS1_27merge_sort_block_merge_implIS3_N6thrust23THRUST_200600_302600_NS6detail15normal_iteratorINS9_10device_ptrIsEEEEPS5_jNS1_19radix_merge_compareILb0ELb1EsNS0_19identity_decomposerEEEEE10hipError_tT0_T1_T2_jT3_P12ihipStream_tbPNSt15iterator_traitsISK_E10value_typeEPNSQ_ISL_E10value_typeEPSM_NS1_7vsmem_tEENKUlT_SK_SL_SM_E_clIPsSE_SF_SF_EESJ_SZ_SK_SL_SM_EUlSZ_E0_NS1_11comp_targetILNS1_3genE2ELNS1_11target_archE906ELNS1_3gpuE6ELNS1_3repE0EEENS1_38merge_mergepath_config_static_selectorELNS0_4arch9wavefront6targetE1EEEvSL_
                                        ; -- End function
	.section	.AMDGPU.csdata,"",@progbits
; Kernel info:
; codeLenInByte = 0
; NumSgprs: 6
; NumVgprs: 0
; NumAgprs: 0
; TotalNumVgprs: 0
; ScratchSize: 0
; MemoryBound: 0
; FloatMode: 240
; IeeeMode: 1
; LDSByteSize: 0 bytes/workgroup (compile time only)
; SGPRBlocks: 0
; VGPRBlocks: 0
; NumSGPRsForWavesPerEU: 6
; NumVGPRsForWavesPerEU: 1
; AccumOffset: 4
; Occupancy: 8
; WaveLimiterHint : 0
; COMPUTE_PGM_RSRC2:SCRATCH_EN: 0
; COMPUTE_PGM_RSRC2:USER_SGPR: 2
; COMPUTE_PGM_RSRC2:TRAP_HANDLER: 0
; COMPUTE_PGM_RSRC2:TGID_X_EN: 1
; COMPUTE_PGM_RSRC2:TGID_Y_EN: 0
; COMPUTE_PGM_RSRC2:TGID_Z_EN: 0
; COMPUTE_PGM_RSRC2:TIDIG_COMP_CNT: 0
; COMPUTE_PGM_RSRC3_GFX90A:ACCUM_OFFSET: 0
; COMPUTE_PGM_RSRC3_GFX90A:TG_SPLIT: 0
	.section	.text._ZN7rocprim17ROCPRIM_400000_NS6detail17trampoline_kernelINS0_14default_configENS1_38merge_sort_block_merge_config_selectorIsNS0_10empty_typeEEEZZNS1_27merge_sort_block_merge_implIS3_N6thrust23THRUST_200600_302600_NS6detail15normal_iteratorINS9_10device_ptrIsEEEEPS5_jNS1_19radix_merge_compareILb0ELb1EsNS0_19identity_decomposerEEEEE10hipError_tT0_T1_T2_jT3_P12ihipStream_tbPNSt15iterator_traitsISK_E10value_typeEPNSQ_ISL_E10value_typeEPSM_NS1_7vsmem_tEENKUlT_SK_SL_SM_E_clIPsSE_SF_SF_EESJ_SZ_SK_SL_SM_EUlSZ_E0_NS1_11comp_targetILNS1_3genE9ELNS1_11target_archE1100ELNS1_3gpuE3ELNS1_3repE0EEENS1_38merge_mergepath_config_static_selectorELNS0_4arch9wavefront6targetE1EEEvSL_,"axG",@progbits,_ZN7rocprim17ROCPRIM_400000_NS6detail17trampoline_kernelINS0_14default_configENS1_38merge_sort_block_merge_config_selectorIsNS0_10empty_typeEEEZZNS1_27merge_sort_block_merge_implIS3_N6thrust23THRUST_200600_302600_NS6detail15normal_iteratorINS9_10device_ptrIsEEEEPS5_jNS1_19radix_merge_compareILb0ELb1EsNS0_19identity_decomposerEEEEE10hipError_tT0_T1_T2_jT3_P12ihipStream_tbPNSt15iterator_traitsISK_E10value_typeEPNSQ_ISL_E10value_typeEPSM_NS1_7vsmem_tEENKUlT_SK_SL_SM_E_clIPsSE_SF_SF_EESJ_SZ_SK_SL_SM_EUlSZ_E0_NS1_11comp_targetILNS1_3genE9ELNS1_11target_archE1100ELNS1_3gpuE3ELNS1_3repE0EEENS1_38merge_mergepath_config_static_selectorELNS0_4arch9wavefront6targetE1EEEvSL_,comdat
	.protected	_ZN7rocprim17ROCPRIM_400000_NS6detail17trampoline_kernelINS0_14default_configENS1_38merge_sort_block_merge_config_selectorIsNS0_10empty_typeEEEZZNS1_27merge_sort_block_merge_implIS3_N6thrust23THRUST_200600_302600_NS6detail15normal_iteratorINS9_10device_ptrIsEEEEPS5_jNS1_19radix_merge_compareILb0ELb1EsNS0_19identity_decomposerEEEEE10hipError_tT0_T1_T2_jT3_P12ihipStream_tbPNSt15iterator_traitsISK_E10value_typeEPNSQ_ISL_E10value_typeEPSM_NS1_7vsmem_tEENKUlT_SK_SL_SM_E_clIPsSE_SF_SF_EESJ_SZ_SK_SL_SM_EUlSZ_E0_NS1_11comp_targetILNS1_3genE9ELNS1_11target_archE1100ELNS1_3gpuE3ELNS1_3repE0EEENS1_38merge_mergepath_config_static_selectorELNS0_4arch9wavefront6targetE1EEEvSL_ ; -- Begin function _ZN7rocprim17ROCPRIM_400000_NS6detail17trampoline_kernelINS0_14default_configENS1_38merge_sort_block_merge_config_selectorIsNS0_10empty_typeEEEZZNS1_27merge_sort_block_merge_implIS3_N6thrust23THRUST_200600_302600_NS6detail15normal_iteratorINS9_10device_ptrIsEEEEPS5_jNS1_19radix_merge_compareILb0ELb1EsNS0_19identity_decomposerEEEEE10hipError_tT0_T1_T2_jT3_P12ihipStream_tbPNSt15iterator_traitsISK_E10value_typeEPNSQ_ISL_E10value_typeEPSM_NS1_7vsmem_tEENKUlT_SK_SL_SM_E_clIPsSE_SF_SF_EESJ_SZ_SK_SL_SM_EUlSZ_E0_NS1_11comp_targetILNS1_3genE9ELNS1_11target_archE1100ELNS1_3gpuE3ELNS1_3repE0EEENS1_38merge_mergepath_config_static_selectorELNS0_4arch9wavefront6targetE1EEEvSL_
	.globl	_ZN7rocprim17ROCPRIM_400000_NS6detail17trampoline_kernelINS0_14default_configENS1_38merge_sort_block_merge_config_selectorIsNS0_10empty_typeEEEZZNS1_27merge_sort_block_merge_implIS3_N6thrust23THRUST_200600_302600_NS6detail15normal_iteratorINS9_10device_ptrIsEEEEPS5_jNS1_19radix_merge_compareILb0ELb1EsNS0_19identity_decomposerEEEEE10hipError_tT0_T1_T2_jT3_P12ihipStream_tbPNSt15iterator_traitsISK_E10value_typeEPNSQ_ISL_E10value_typeEPSM_NS1_7vsmem_tEENKUlT_SK_SL_SM_E_clIPsSE_SF_SF_EESJ_SZ_SK_SL_SM_EUlSZ_E0_NS1_11comp_targetILNS1_3genE9ELNS1_11target_archE1100ELNS1_3gpuE3ELNS1_3repE0EEENS1_38merge_mergepath_config_static_selectorELNS0_4arch9wavefront6targetE1EEEvSL_
	.p2align	8
	.type	_ZN7rocprim17ROCPRIM_400000_NS6detail17trampoline_kernelINS0_14default_configENS1_38merge_sort_block_merge_config_selectorIsNS0_10empty_typeEEEZZNS1_27merge_sort_block_merge_implIS3_N6thrust23THRUST_200600_302600_NS6detail15normal_iteratorINS9_10device_ptrIsEEEEPS5_jNS1_19radix_merge_compareILb0ELb1EsNS0_19identity_decomposerEEEEE10hipError_tT0_T1_T2_jT3_P12ihipStream_tbPNSt15iterator_traitsISK_E10value_typeEPNSQ_ISL_E10value_typeEPSM_NS1_7vsmem_tEENKUlT_SK_SL_SM_E_clIPsSE_SF_SF_EESJ_SZ_SK_SL_SM_EUlSZ_E0_NS1_11comp_targetILNS1_3genE9ELNS1_11target_archE1100ELNS1_3gpuE3ELNS1_3repE0EEENS1_38merge_mergepath_config_static_selectorELNS0_4arch9wavefront6targetE1EEEvSL_,@function
_ZN7rocprim17ROCPRIM_400000_NS6detail17trampoline_kernelINS0_14default_configENS1_38merge_sort_block_merge_config_selectorIsNS0_10empty_typeEEEZZNS1_27merge_sort_block_merge_implIS3_N6thrust23THRUST_200600_302600_NS6detail15normal_iteratorINS9_10device_ptrIsEEEEPS5_jNS1_19radix_merge_compareILb0ELb1EsNS0_19identity_decomposerEEEEE10hipError_tT0_T1_T2_jT3_P12ihipStream_tbPNSt15iterator_traitsISK_E10value_typeEPNSQ_ISL_E10value_typeEPSM_NS1_7vsmem_tEENKUlT_SK_SL_SM_E_clIPsSE_SF_SF_EESJ_SZ_SK_SL_SM_EUlSZ_E0_NS1_11comp_targetILNS1_3genE9ELNS1_11target_archE1100ELNS1_3gpuE3ELNS1_3repE0EEENS1_38merge_mergepath_config_static_selectorELNS0_4arch9wavefront6targetE1EEEvSL_: ; @_ZN7rocprim17ROCPRIM_400000_NS6detail17trampoline_kernelINS0_14default_configENS1_38merge_sort_block_merge_config_selectorIsNS0_10empty_typeEEEZZNS1_27merge_sort_block_merge_implIS3_N6thrust23THRUST_200600_302600_NS6detail15normal_iteratorINS9_10device_ptrIsEEEEPS5_jNS1_19radix_merge_compareILb0ELb1EsNS0_19identity_decomposerEEEEE10hipError_tT0_T1_T2_jT3_P12ihipStream_tbPNSt15iterator_traitsISK_E10value_typeEPNSQ_ISL_E10value_typeEPSM_NS1_7vsmem_tEENKUlT_SK_SL_SM_E_clIPsSE_SF_SF_EESJ_SZ_SK_SL_SM_EUlSZ_E0_NS1_11comp_targetILNS1_3genE9ELNS1_11target_archE1100ELNS1_3gpuE3ELNS1_3repE0EEENS1_38merge_mergepath_config_static_selectorELNS0_4arch9wavefront6targetE1EEEvSL_
; %bb.0:
	.section	.rodata,"a",@progbits
	.p2align	6, 0x0
	.amdhsa_kernel _ZN7rocprim17ROCPRIM_400000_NS6detail17trampoline_kernelINS0_14default_configENS1_38merge_sort_block_merge_config_selectorIsNS0_10empty_typeEEEZZNS1_27merge_sort_block_merge_implIS3_N6thrust23THRUST_200600_302600_NS6detail15normal_iteratorINS9_10device_ptrIsEEEEPS5_jNS1_19radix_merge_compareILb0ELb1EsNS0_19identity_decomposerEEEEE10hipError_tT0_T1_T2_jT3_P12ihipStream_tbPNSt15iterator_traitsISK_E10value_typeEPNSQ_ISL_E10value_typeEPSM_NS1_7vsmem_tEENKUlT_SK_SL_SM_E_clIPsSE_SF_SF_EESJ_SZ_SK_SL_SM_EUlSZ_E0_NS1_11comp_targetILNS1_3genE9ELNS1_11target_archE1100ELNS1_3gpuE3ELNS1_3repE0EEENS1_38merge_mergepath_config_static_selectorELNS0_4arch9wavefront6targetE1EEEvSL_
		.amdhsa_group_segment_fixed_size 0
		.amdhsa_private_segment_fixed_size 0
		.amdhsa_kernarg_size 64
		.amdhsa_user_sgpr_count 2
		.amdhsa_user_sgpr_dispatch_ptr 0
		.amdhsa_user_sgpr_queue_ptr 0
		.amdhsa_user_sgpr_kernarg_segment_ptr 1
		.amdhsa_user_sgpr_dispatch_id 0
		.amdhsa_user_sgpr_kernarg_preload_length 0
		.amdhsa_user_sgpr_kernarg_preload_offset 0
		.amdhsa_user_sgpr_private_segment_size 0
		.amdhsa_uses_dynamic_stack 0
		.amdhsa_enable_private_segment 0
		.amdhsa_system_sgpr_workgroup_id_x 1
		.amdhsa_system_sgpr_workgroup_id_y 0
		.amdhsa_system_sgpr_workgroup_id_z 0
		.amdhsa_system_sgpr_workgroup_info 0
		.amdhsa_system_vgpr_workitem_id 0
		.amdhsa_next_free_vgpr 1
		.amdhsa_next_free_sgpr 0
		.amdhsa_accum_offset 4
		.amdhsa_reserve_vcc 0
		.amdhsa_float_round_mode_32 0
		.amdhsa_float_round_mode_16_64 0
		.amdhsa_float_denorm_mode_32 3
		.amdhsa_float_denorm_mode_16_64 3
		.amdhsa_dx10_clamp 1
		.amdhsa_ieee_mode 1
		.amdhsa_fp16_overflow 0
		.amdhsa_tg_split 0
		.amdhsa_exception_fp_ieee_invalid_op 0
		.amdhsa_exception_fp_denorm_src 0
		.amdhsa_exception_fp_ieee_div_zero 0
		.amdhsa_exception_fp_ieee_overflow 0
		.amdhsa_exception_fp_ieee_underflow 0
		.amdhsa_exception_fp_ieee_inexact 0
		.amdhsa_exception_int_div_zero 0
	.end_amdhsa_kernel
	.section	.text._ZN7rocprim17ROCPRIM_400000_NS6detail17trampoline_kernelINS0_14default_configENS1_38merge_sort_block_merge_config_selectorIsNS0_10empty_typeEEEZZNS1_27merge_sort_block_merge_implIS3_N6thrust23THRUST_200600_302600_NS6detail15normal_iteratorINS9_10device_ptrIsEEEEPS5_jNS1_19radix_merge_compareILb0ELb1EsNS0_19identity_decomposerEEEEE10hipError_tT0_T1_T2_jT3_P12ihipStream_tbPNSt15iterator_traitsISK_E10value_typeEPNSQ_ISL_E10value_typeEPSM_NS1_7vsmem_tEENKUlT_SK_SL_SM_E_clIPsSE_SF_SF_EESJ_SZ_SK_SL_SM_EUlSZ_E0_NS1_11comp_targetILNS1_3genE9ELNS1_11target_archE1100ELNS1_3gpuE3ELNS1_3repE0EEENS1_38merge_mergepath_config_static_selectorELNS0_4arch9wavefront6targetE1EEEvSL_,"axG",@progbits,_ZN7rocprim17ROCPRIM_400000_NS6detail17trampoline_kernelINS0_14default_configENS1_38merge_sort_block_merge_config_selectorIsNS0_10empty_typeEEEZZNS1_27merge_sort_block_merge_implIS3_N6thrust23THRUST_200600_302600_NS6detail15normal_iteratorINS9_10device_ptrIsEEEEPS5_jNS1_19radix_merge_compareILb0ELb1EsNS0_19identity_decomposerEEEEE10hipError_tT0_T1_T2_jT3_P12ihipStream_tbPNSt15iterator_traitsISK_E10value_typeEPNSQ_ISL_E10value_typeEPSM_NS1_7vsmem_tEENKUlT_SK_SL_SM_E_clIPsSE_SF_SF_EESJ_SZ_SK_SL_SM_EUlSZ_E0_NS1_11comp_targetILNS1_3genE9ELNS1_11target_archE1100ELNS1_3gpuE3ELNS1_3repE0EEENS1_38merge_mergepath_config_static_selectorELNS0_4arch9wavefront6targetE1EEEvSL_,comdat
.Lfunc_end1889:
	.size	_ZN7rocprim17ROCPRIM_400000_NS6detail17trampoline_kernelINS0_14default_configENS1_38merge_sort_block_merge_config_selectorIsNS0_10empty_typeEEEZZNS1_27merge_sort_block_merge_implIS3_N6thrust23THRUST_200600_302600_NS6detail15normal_iteratorINS9_10device_ptrIsEEEEPS5_jNS1_19radix_merge_compareILb0ELb1EsNS0_19identity_decomposerEEEEE10hipError_tT0_T1_T2_jT3_P12ihipStream_tbPNSt15iterator_traitsISK_E10value_typeEPNSQ_ISL_E10value_typeEPSM_NS1_7vsmem_tEENKUlT_SK_SL_SM_E_clIPsSE_SF_SF_EESJ_SZ_SK_SL_SM_EUlSZ_E0_NS1_11comp_targetILNS1_3genE9ELNS1_11target_archE1100ELNS1_3gpuE3ELNS1_3repE0EEENS1_38merge_mergepath_config_static_selectorELNS0_4arch9wavefront6targetE1EEEvSL_, .Lfunc_end1889-_ZN7rocprim17ROCPRIM_400000_NS6detail17trampoline_kernelINS0_14default_configENS1_38merge_sort_block_merge_config_selectorIsNS0_10empty_typeEEEZZNS1_27merge_sort_block_merge_implIS3_N6thrust23THRUST_200600_302600_NS6detail15normal_iteratorINS9_10device_ptrIsEEEEPS5_jNS1_19radix_merge_compareILb0ELb1EsNS0_19identity_decomposerEEEEE10hipError_tT0_T1_T2_jT3_P12ihipStream_tbPNSt15iterator_traitsISK_E10value_typeEPNSQ_ISL_E10value_typeEPSM_NS1_7vsmem_tEENKUlT_SK_SL_SM_E_clIPsSE_SF_SF_EESJ_SZ_SK_SL_SM_EUlSZ_E0_NS1_11comp_targetILNS1_3genE9ELNS1_11target_archE1100ELNS1_3gpuE3ELNS1_3repE0EEENS1_38merge_mergepath_config_static_selectorELNS0_4arch9wavefront6targetE1EEEvSL_
                                        ; -- End function
	.section	.AMDGPU.csdata,"",@progbits
; Kernel info:
; codeLenInByte = 0
; NumSgprs: 6
; NumVgprs: 0
; NumAgprs: 0
; TotalNumVgprs: 0
; ScratchSize: 0
; MemoryBound: 0
; FloatMode: 240
; IeeeMode: 1
; LDSByteSize: 0 bytes/workgroup (compile time only)
; SGPRBlocks: 0
; VGPRBlocks: 0
; NumSGPRsForWavesPerEU: 6
; NumVGPRsForWavesPerEU: 1
; AccumOffset: 4
; Occupancy: 8
; WaveLimiterHint : 0
; COMPUTE_PGM_RSRC2:SCRATCH_EN: 0
; COMPUTE_PGM_RSRC2:USER_SGPR: 2
; COMPUTE_PGM_RSRC2:TRAP_HANDLER: 0
; COMPUTE_PGM_RSRC2:TGID_X_EN: 1
; COMPUTE_PGM_RSRC2:TGID_Y_EN: 0
; COMPUTE_PGM_RSRC2:TGID_Z_EN: 0
; COMPUTE_PGM_RSRC2:TIDIG_COMP_CNT: 0
; COMPUTE_PGM_RSRC3_GFX90A:ACCUM_OFFSET: 0
; COMPUTE_PGM_RSRC3_GFX90A:TG_SPLIT: 0
	.section	.text._ZN7rocprim17ROCPRIM_400000_NS6detail17trampoline_kernelINS0_14default_configENS1_38merge_sort_block_merge_config_selectorIsNS0_10empty_typeEEEZZNS1_27merge_sort_block_merge_implIS3_N6thrust23THRUST_200600_302600_NS6detail15normal_iteratorINS9_10device_ptrIsEEEEPS5_jNS1_19radix_merge_compareILb0ELb1EsNS0_19identity_decomposerEEEEE10hipError_tT0_T1_T2_jT3_P12ihipStream_tbPNSt15iterator_traitsISK_E10value_typeEPNSQ_ISL_E10value_typeEPSM_NS1_7vsmem_tEENKUlT_SK_SL_SM_E_clIPsSE_SF_SF_EESJ_SZ_SK_SL_SM_EUlSZ_E0_NS1_11comp_targetILNS1_3genE8ELNS1_11target_archE1030ELNS1_3gpuE2ELNS1_3repE0EEENS1_38merge_mergepath_config_static_selectorELNS0_4arch9wavefront6targetE1EEEvSL_,"axG",@progbits,_ZN7rocprim17ROCPRIM_400000_NS6detail17trampoline_kernelINS0_14default_configENS1_38merge_sort_block_merge_config_selectorIsNS0_10empty_typeEEEZZNS1_27merge_sort_block_merge_implIS3_N6thrust23THRUST_200600_302600_NS6detail15normal_iteratorINS9_10device_ptrIsEEEEPS5_jNS1_19radix_merge_compareILb0ELb1EsNS0_19identity_decomposerEEEEE10hipError_tT0_T1_T2_jT3_P12ihipStream_tbPNSt15iterator_traitsISK_E10value_typeEPNSQ_ISL_E10value_typeEPSM_NS1_7vsmem_tEENKUlT_SK_SL_SM_E_clIPsSE_SF_SF_EESJ_SZ_SK_SL_SM_EUlSZ_E0_NS1_11comp_targetILNS1_3genE8ELNS1_11target_archE1030ELNS1_3gpuE2ELNS1_3repE0EEENS1_38merge_mergepath_config_static_selectorELNS0_4arch9wavefront6targetE1EEEvSL_,comdat
	.protected	_ZN7rocprim17ROCPRIM_400000_NS6detail17trampoline_kernelINS0_14default_configENS1_38merge_sort_block_merge_config_selectorIsNS0_10empty_typeEEEZZNS1_27merge_sort_block_merge_implIS3_N6thrust23THRUST_200600_302600_NS6detail15normal_iteratorINS9_10device_ptrIsEEEEPS5_jNS1_19radix_merge_compareILb0ELb1EsNS0_19identity_decomposerEEEEE10hipError_tT0_T1_T2_jT3_P12ihipStream_tbPNSt15iterator_traitsISK_E10value_typeEPNSQ_ISL_E10value_typeEPSM_NS1_7vsmem_tEENKUlT_SK_SL_SM_E_clIPsSE_SF_SF_EESJ_SZ_SK_SL_SM_EUlSZ_E0_NS1_11comp_targetILNS1_3genE8ELNS1_11target_archE1030ELNS1_3gpuE2ELNS1_3repE0EEENS1_38merge_mergepath_config_static_selectorELNS0_4arch9wavefront6targetE1EEEvSL_ ; -- Begin function _ZN7rocprim17ROCPRIM_400000_NS6detail17trampoline_kernelINS0_14default_configENS1_38merge_sort_block_merge_config_selectorIsNS0_10empty_typeEEEZZNS1_27merge_sort_block_merge_implIS3_N6thrust23THRUST_200600_302600_NS6detail15normal_iteratorINS9_10device_ptrIsEEEEPS5_jNS1_19radix_merge_compareILb0ELb1EsNS0_19identity_decomposerEEEEE10hipError_tT0_T1_T2_jT3_P12ihipStream_tbPNSt15iterator_traitsISK_E10value_typeEPNSQ_ISL_E10value_typeEPSM_NS1_7vsmem_tEENKUlT_SK_SL_SM_E_clIPsSE_SF_SF_EESJ_SZ_SK_SL_SM_EUlSZ_E0_NS1_11comp_targetILNS1_3genE8ELNS1_11target_archE1030ELNS1_3gpuE2ELNS1_3repE0EEENS1_38merge_mergepath_config_static_selectorELNS0_4arch9wavefront6targetE1EEEvSL_
	.globl	_ZN7rocprim17ROCPRIM_400000_NS6detail17trampoline_kernelINS0_14default_configENS1_38merge_sort_block_merge_config_selectorIsNS0_10empty_typeEEEZZNS1_27merge_sort_block_merge_implIS3_N6thrust23THRUST_200600_302600_NS6detail15normal_iteratorINS9_10device_ptrIsEEEEPS5_jNS1_19radix_merge_compareILb0ELb1EsNS0_19identity_decomposerEEEEE10hipError_tT0_T1_T2_jT3_P12ihipStream_tbPNSt15iterator_traitsISK_E10value_typeEPNSQ_ISL_E10value_typeEPSM_NS1_7vsmem_tEENKUlT_SK_SL_SM_E_clIPsSE_SF_SF_EESJ_SZ_SK_SL_SM_EUlSZ_E0_NS1_11comp_targetILNS1_3genE8ELNS1_11target_archE1030ELNS1_3gpuE2ELNS1_3repE0EEENS1_38merge_mergepath_config_static_selectorELNS0_4arch9wavefront6targetE1EEEvSL_
	.p2align	8
	.type	_ZN7rocprim17ROCPRIM_400000_NS6detail17trampoline_kernelINS0_14default_configENS1_38merge_sort_block_merge_config_selectorIsNS0_10empty_typeEEEZZNS1_27merge_sort_block_merge_implIS3_N6thrust23THRUST_200600_302600_NS6detail15normal_iteratorINS9_10device_ptrIsEEEEPS5_jNS1_19radix_merge_compareILb0ELb1EsNS0_19identity_decomposerEEEEE10hipError_tT0_T1_T2_jT3_P12ihipStream_tbPNSt15iterator_traitsISK_E10value_typeEPNSQ_ISL_E10value_typeEPSM_NS1_7vsmem_tEENKUlT_SK_SL_SM_E_clIPsSE_SF_SF_EESJ_SZ_SK_SL_SM_EUlSZ_E0_NS1_11comp_targetILNS1_3genE8ELNS1_11target_archE1030ELNS1_3gpuE2ELNS1_3repE0EEENS1_38merge_mergepath_config_static_selectorELNS0_4arch9wavefront6targetE1EEEvSL_,@function
_ZN7rocprim17ROCPRIM_400000_NS6detail17trampoline_kernelINS0_14default_configENS1_38merge_sort_block_merge_config_selectorIsNS0_10empty_typeEEEZZNS1_27merge_sort_block_merge_implIS3_N6thrust23THRUST_200600_302600_NS6detail15normal_iteratorINS9_10device_ptrIsEEEEPS5_jNS1_19radix_merge_compareILb0ELb1EsNS0_19identity_decomposerEEEEE10hipError_tT0_T1_T2_jT3_P12ihipStream_tbPNSt15iterator_traitsISK_E10value_typeEPNSQ_ISL_E10value_typeEPSM_NS1_7vsmem_tEENKUlT_SK_SL_SM_E_clIPsSE_SF_SF_EESJ_SZ_SK_SL_SM_EUlSZ_E0_NS1_11comp_targetILNS1_3genE8ELNS1_11target_archE1030ELNS1_3gpuE2ELNS1_3repE0EEENS1_38merge_mergepath_config_static_selectorELNS0_4arch9wavefront6targetE1EEEvSL_: ; @_ZN7rocprim17ROCPRIM_400000_NS6detail17trampoline_kernelINS0_14default_configENS1_38merge_sort_block_merge_config_selectorIsNS0_10empty_typeEEEZZNS1_27merge_sort_block_merge_implIS3_N6thrust23THRUST_200600_302600_NS6detail15normal_iteratorINS9_10device_ptrIsEEEEPS5_jNS1_19radix_merge_compareILb0ELb1EsNS0_19identity_decomposerEEEEE10hipError_tT0_T1_T2_jT3_P12ihipStream_tbPNSt15iterator_traitsISK_E10value_typeEPNSQ_ISL_E10value_typeEPSM_NS1_7vsmem_tEENKUlT_SK_SL_SM_E_clIPsSE_SF_SF_EESJ_SZ_SK_SL_SM_EUlSZ_E0_NS1_11comp_targetILNS1_3genE8ELNS1_11target_archE1030ELNS1_3gpuE2ELNS1_3repE0EEENS1_38merge_mergepath_config_static_selectorELNS0_4arch9wavefront6targetE1EEEvSL_
; %bb.0:
	.section	.rodata,"a",@progbits
	.p2align	6, 0x0
	.amdhsa_kernel _ZN7rocprim17ROCPRIM_400000_NS6detail17trampoline_kernelINS0_14default_configENS1_38merge_sort_block_merge_config_selectorIsNS0_10empty_typeEEEZZNS1_27merge_sort_block_merge_implIS3_N6thrust23THRUST_200600_302600_NS6detail15normal_iteratorINS9_10device_ptrIsEEEEPS5_jNS1_19radix_merge_compareILb0ELb1EsNS0_19identity_decomposerEEEEE10hipError_tT0_T1_T2_jT3_P12ihipStream_tbPNSt15iterator_traitsISK_E10value_typeEPNSQ_ISL_E10value_typeEPSM_NS1_7vsmem_tEENKUlT_SK_SL_SM_E_clIPsSE_SF_SF_EESJ_SZ_SK_SL_SM_EUlSZ_E0_NS1_11comp_targetILNS1_3genE8ELNS1_11target_archE1030ELNS1_3gpuE2ELNS1_3repE0EEENS1_38merge_mergepath_config_static_selectorELNS0_4arch9wavefront6targetE1EEEvSL_
		.amdhsa_group_segment_fixed_size 0
		.amdhsa_private_segment_fixed_size 0
		.amdhsa_kernarg_size 64
		.amdhsa_user_sgpr_count 2
		.amdhsa_user_sgpr_dispatch_ptr 0
		.amdhsa_user_sgpr_queue_ptr 0
		.amdhsa_user_sgpr_kernarg_segment_ptr 1
		.amdhsa_user_sgpr_dispatch_id 0
		.amdhsa_user_sgpr_kernarg_preload_length 0
		.amdhsa_user_sgpr_kernarg_preload_offset 0
		.amdhsa_user_sgpr_private_segment_size 0
		.amdhsa_uses_dynamic_stack 0
		.amdhsa_enable_private_segment 0
		.amdhsa_system_sgpr_workgroup_id_x 1
		.amdhsa_system_sgpr_workgroup_id_y 0
		.amdhsa_system_sgpr_workgroup_id_z 0
		.amdhsa_system_sgpr_workgroup_info 0
		.amdhsa_system_vgpr_workitem_id 0
		.amdhsa_next_free_vgpr 1
		.amdhsa_next_free_sgpr 0
		.amdhsa_accum_offset 4
		.amdhsa_reserve_vcc 0
		.amdhsa_float_round_mode_32 0
		.amdhsa_float_round_mode_16_64 0
		.amdhsa_float_denorm_mode_32 3
		.amdhsa_float_denorm_mode_16_64 3
		.amdhsa_dx10_clamp 1
		.amdhsa_ieee_mode 1
		.amdhsa_fp16_overflow 0
		.amdhsa_tg_split 0
		.amdhsa_exception_fp_ieee_invalid_op 0
		.amdhsa_exception_fp_denorm_src 0
		.amdhsa_exception_fp_ieee_div_zero 0
		.amdhsa_exception_fp_ieee_overflow 0
		.amdhsa_exception_fp_ieee_underflow 0
		.amdhsa_exception_fp_ieee_inexact 0
		.amdhsa_exception_int_div_zero 0
	.end_amdhsa_kernel
	.section	.text._ZN7rocprim17ROCPRIM_400000_NS6detail17trampoline_kernelINS0_14default_configENS1_38merge_sort_block_merge_config_selectorIsNS0_10empty_typeEEEZZNS1_27merge_sort_block_merge_implIS3_N6thrust23THRUST_200600_302600_NS6detail15normal_iteratorINS9_10device_ptrIsEEEEPS5_jNS1_19radix_merge_compareILb0ELb1EsNS0_19identity_decomposerEEEEE10hipError_tT0_T1_T2_jT3_P12ihipStream_tbPNSt15iterator_traitsISK_E10value_typeEPNSQ_ISL_E10value_typeEPSM_NS1_7vsmem_tEENKUlT_SK_SL_SM_E_clIPsSE_SF_SF_EESJ_SZ_SK_SL_SM_EUlSZ_E0_NS1_11comp_targetILNS1_3genE8ELNS1_11target_archE1030ELNS1_3gpuE2ELNS1_3repE0EEENS1_38merge_mergepath_config_static_selectorELNS0_4arch9wavefront6targetE1EEEvSL_,"axG",@progbits,_ZN7rocprim17ROCPRIM_400000_NS6detail17trampoline_kernelINS0_14default_configENS1_38merge_sort_block_merge_config_selectorIsNS0_10empty_typeEEEZZNS1_27merge_sort_block_merge_implIS3_N6thrust23THRUST_200600_302600_NS6detail15normal_iteratorINS9_10device_ptrIsEEEEPS5_jNS1_19radix_merge_compareILb0ELb1EsNS0_19identity_decomposerEEEEE10hipError_tT0_T1_T2_jT3_P12ihipStream_tbPNSt15iterator_traitsISK_E10value_typeEPNSQ_ISL_E10value_typeEPSM_NS1_7vsmem_tEENKUlT_SK_SL_SM_E_clIPsSE_SF_SF_EESJ_SZ_SK_SL_SM_EUlSZ_E0_NS1_11comp_targetILNS1_3genE8ELNS1_11target_archE1030ELNS1_3gpuE2ELNS1_3repE0EEENS1_38merge_mergepath_config_static_selectorELNS0_4arch9wavefront6targetE1EEEvSL_,comdat
.Lfunc_end1890:
	.size	_ZN7rocprim17ROCPRIM_400000_NS6detail17trampoline_kernelINS0_14default_configENS1_38merge_sort_block_merge_config_selectorIsNS0_10empty_typeEEEZZNS1_27merge_sort_block_merge_implIS3_N6thrust23THRUST_200600_302600_NS6detail15normal_iteratorINS9_10device_ptrIsEEEEPS5_jNS1_19radix_merge_compareILb0ELb1EsNS0_19identity_decomposerEEEEE10hipError_tT0_T1_T2_jT3_P12ihipStream_tbPNSt15iterator_traitsISK_E10value_typeEPNSQ_ISL_E10value_typeEPSM_NS1_7vsmem_tEENKUlT_SK_SL_SM_E_clIPsSE_SF_SF_EESJ_SZ_SK_SL_SM_EUlSZ_E0_NS1_11comp_targetILNS1_3genE8ELNS1_11target_archE1030ELNS1_3gpuE2ELNS1_3repE0EEENS1_38merge_mergepath_config_static_selectorELNS0_4arch9wavefront6targetE1EEEvSL_, .Lfunc_end1890-_ZN7rocprim17ROCPRIM_400000_NS6detail17trampoline_kernelINS0_14default_configENS1_38merge_sort_block_merge_config_selectorIsNS0_10empty_typeEEEZZNS1_27merge_sort_block_merge_implIS3_N6thrust23THRUST_200600_302600_NS6detail15normal_iteratorINS9_10device_ptrIsEEEEPS5_jNS1_19radix_merge_compareILb0ELb1EsNS0_19identity_decomposerEEEEE10hipError_tT0_T1_T2_jT3_P12ihipStream_tbPNSt15iterator_traitsISK_E10value_typeEPNSQ_ISL_E10value_typeEPSM_NS1_7vsmem_tEENKUlT_SK_SL_SM_E_clIPsSE_SF_SF_EESJ_SZ_SK_SL_SM_EUlSZ_E0_NS1_11comp_targetILNS1_3genE8ELNS1_11target_archE1030ELNS1_3gpuE2ELNS1_3repE0EEENS1_38merge_mergepath_config_static_selectorELNS0_4arch9wavefront6targetE1EEEvSL_
                                        ; -- End function
	.section	.AMDGPU.csdata,"",@progbits
; Kernel info:
; codeLenInByte = 0
; NumSgprs: 6
; NumVgprs: 0
; NumAgprs: 0
; TotalNumVgprs: 0
; ScratchSize: 0
; MemoryBound: 0
; FloatMode: 240
; IeeeMode: 1
; LDSByteSize: 0 bytes/workgroup (compile time only)
; SGPRBlocks: 0
; VGPRBlocks: 0
; NumSGPRsForWavesPerEU: 6
; NumVGPRsForWavesPerEU: 1
; AccumOffset: 4
; Occupancy: 8
; WaveLimiterHint : 0
; COMPUTE_PGM_RSRC2:SCRATCH_EN: 0
; COMPUTE_PGM_RSRC2:USER_SGPR: 2
; COMPUTE_PGM_RSRC2:TRAP_HANDLER: 0
; COMPUTE_PGM_RSRC2:TGID_X_EN: 1
; COMPUTE_PGM_RSRC2:TGID_Y_EN: 0
; COMPUTE_PGM_RSRC2:TGID_Z_EN: 0
; COMPUTE_PGM_RSRC2:TIDIG_COMP_CNT: 0
; COMPUTE_PGM_RSRC3_GFX90A:ACCUM_OFFSET: 0
; COMPUTE_PGM_RSRC3_GFX90A:TG_SPLIT: 0
	.section	.text._ZN7rocprim17ROCPRIM_400000_NS6detail17trampoline_kernelINS0_14default_configENS1_38merge_sort_block_merge_config_selectorIsNS0_10empty_typeEEEZZNS1_27merge_sort_block_merge_implIS3_N6thrust23THRUST_200600_302600_NS6detail15normal_iteratorINS9_10device_ptrIsEEEEPS5_jNS1_19radix_merge_compareILb0ELb1EsNS0_19identity_decomposerEEEEE10hipError_tT0_T1_T2_jT3_P12ihipStream_tbPNSt15iterator_traitsISK_E10value_typeEPNSQ_ISL_E10value_typeEPSM_NS1_7vsmem_tEENKUlT_SK_SL_SM_E_clIPsSE_SF_SF_EESJ_SZ_SK_SL_SM_EUlSZ_E1_NS1_11comp_targetILNS1_3genE0ELNS1_11target_archE4294967295ELNS1_3gpuE0ELNS1_3repE0EEENS1_36merge_oddeven_config_static_selectorELNS0_4arch9wavefront6targetE1EEEvSL_,"axG",@progbits,_ZN7rocprim17ROCPRIM_400000_NS6detail17trampoline_kernelINS0_14default_configENS1_38merge_sort_block_merge_config_selectorIsNS0_10empty_typeEEEZZNS1_27merge_sort_block_merge_implIS3_N6thrust23THRUST_200600_302600_NS6detail15normal_iteratorINS9_10device_ptrIsEEEEPS5_jNS1_19radix_merge_compareILb0ELb1EsNS0_19identity_decomposerEEEEE10hipError_tT0_T1_T2_jT3_P12ihipStream_tbPNSt15iterator_traitsISK_E10value_typeEPNSQ_ISL_E10value_typeEPSM_NS1_7vsmem_tEENKUlT_SK_SL_SM_E_clIPsSE_SF_SF_EESJ_SZ_SK_SL_SM_EUlSZ_E1_NS1_11comp_targetILNS1_3genE0ELNS1_11target_archE4294967295ELNS1_3gpuE0ELNS1_3repE0EEENS1_36merge_oddeven_config_static_selectorELNS0_4arch9wavefront6targetE1EEEvSL_,comdat
	.protected	_ZN7rocprim17ROCPRIM_400000_NS6detail17trampoline_kernelINS0_14default_configENS1_38merge_sort_block_merge_config_selectorIsNS0_10empty_typeEEEZZNS1_27merge_sort_block_merge_implIS3_N6thrust23THRUST_200600_302600_NS6detail15normal_iteratorINS9_10device_ptrIsEEEEPS5_jNS1_19radix_merge_compareILb0ELb1EsNS0_19identity_decomposerEEEEE10hipError_tT0_T1_T2_jT3_P12ihipStream_tbPNSt15iterator_traitsISK_E10value_typeEPNSQ_ISL_E10value_typeEPSM_NS1_7vsmem_tEENKUlT_SK_SL_SM_E_clIPsSE_SF_SF_EESJ_SZ_SK_SL_SM_EUlSZ_E1_NS1_11comp_targetILNS1_3genE0ELNS1_11target_archE4294967295ELNS1_3gpuE0ELNS1_3repE0EEENS1_36merge_oddeven_config_static_selectorELNS0_4arch9wavefront6targetE1EEEvSL_ ; -- Begin function _ZN7rocprim17ROCPRIM_400000_NS6detail17trampoline_kernelINS0_14default_configENS1_38merge_sort_block_merge_config_selectorIsNS0_10empty_typeEEEZZNS1_27merge_sort_block_merge_implIS3_N6thrust23THRUST_200600_302600_NS6detail15normal_iteratorINS9_10device_ptrIsEEEEPS5_jNS1_19radix_merge_compareILb0ELb1EsNS0_19identity_decomposerEEEEE10hipError_tT0_T1_T2_jT3_P12ihipStream_tbPNSt15iterator_traitsISK_E10value_typeEPNSQ_ISL_E10value_typeEPSM_NS1_7vsmem_tEENKUlT_SK_SL_SM_E_clIPsSE_SF_SF_EESJ_SZ_SK_SL_SM_EUlSZ_E1_NS1_11comp_targetILNS1_3genE0ELNS1_11target_archE4294967295ELNS1_3gpuE0ELNS1_3repE0EEENS1_36merge_oddeven_config_static_selectorELNS0_4arch9wavefront6targetE1EEEvSL_
	.globl	_ZN7rocprim17ROCPRIM_400000_NS6detail17trampoline_kernelINS0_14default_configENS1_38merge_sort_block_merge_config_selectorIsNS0_10empty_typeEEEZZNS1_27merge_sort_block_merge_implIS3_N6thrust23THRUST_200600_302600_NS6detail15normal_iteratorINS9_10device_ptrIsEEEEPS5_jNS1_19radix_merge_compareILb0ELb1EsNS0_19identity_decomposerEEEEE10hipError_tT0_T1_T2_jT3_P12ihipStream_tbPNSt15iterator_traitsISK_E10value_typeEPNSQ_ISL_E10value_typeEPSM_NS1_7vsmem_tEENKUlT_SK_SL_SM_E_clIPsSE_SF_SF_EESJ_SZ_SK_SL_SM_EUlSZ_E1_NS1_11comp_targetILNS1_3genE0ELNS1_11target_archE4294967295ELNS1_3gpuE0ELNS1_3repE0EEENS1_36merge_oddeven_config_static_selectorELNS0_4arch9wavefront6targetE1EEEvSL_
	.p2align	8
	.type	_ZN7rocprim17ROCPRIM_400000_NS6detail17trampoline_kernelINS0_14default_configENS1_38merge_sort_block_merge_config_selectorIsNS0_10empty_typeEEEZZNS1_27merge_sort_block_merge_implIS3_N6thrust23THRUST_200600_302600_NS6detail15normal_iteratorINS9_10device_ptrIsEEEEPS5_jNS1_19radix_merge_compareILb0ELb1EsNS0_19identity_decomposerEEEEE10hipError_tT0_T1_T2_jT3_P12ihipStream_tbPNSt15iterator_traitsISK_E10value_typeEPNSQ_ISL_E10value_typeEPSM_NS1_7vsmem_tEENKUlT_SK_SL_SM_E_clIPsSE_SF_SF_EESJ_SZ_SK_SL_SM_EUlSZ_E1_NS1_11comp_targetILNS1_3genE0ELNS1_11target_archE4294967295ELNS1_3gpuE0ELNS1_3repE0EEENS1_36merge_oddeven_config_static_selectorELNS0_4arch9wavefront6targetE1EEEvSL_,@function
_ZN7rocprim17ROCPRIM_400000_NS6detail17trampoline_kernelINS0_14default_configENS1_38merge_sort_block_merge_config_selectorIsNS0_10empty_typeEEEZZNS1_27merge_sort_block_merge_implIS3_N6thrust23THRUST_200600_302600_NS6detail15normal_iteratorINS9_10device_ptrIsEEEEPS5_jNS1_19radix_merge_compareILb0ELb1EsNS0_19identity_decomposerEEEEE10hipError_tT0_T1_T2_jT3_P12ihipStream_tbPNSt15iterator_traitsISK_E10value_typeEPNSQ_ISL_E10value_typeEPSM_NS1_7vsmem_tEENKUlT_SK_SL_SM_E_clIPsSE_SF_SF_EESJ_SZ_SK_SL_SM_EUlSZ_E1_NS1_11comp_targetILNS1_3genE0ELNS1_11target_archE4294967295ELNS1_3gpuE0ELNS1_3repE0EEENS1_36merge_oddeven_config_static_selectorELNS0_4arch9wavefront6targetE1EEEvSL_: ; @_ZN7rocprim17ROCPRIM_400000_NS6detail17trampoline_kernelINS0_14default_configENS1_38merge_sort_block_merge_config_selectorIsNS0_10empty_typeEEEZZNS1_27merge_sort_block_merge_implIS3_N6thrust23THRUST_200600_302600_NS6detail15normal_iteratorINS9_10device_ptrIsEEEEPS5_jNS1_19radix_merge_compareILb0ELb1EsNS0_19identity_decomposerEEEEE10hipError_tT0_T1_T2_jT3_P12ihipStream_tbPNSt15iterator_traitsISK_E10value_typeEPNSQ_ISL_E10value_typeEPSM_NS1_7vsmem_tEENKUlT_SK_SL_SM_E_clIPsSE_SF_SF_EESJ_SZ_SK_SL_SM_EUlSZ_E1_NS1_11comp_targetILNS1_3genE0ELNS1_11target_archE4294967295ELNS1_3gpuE0ELNS1_3repE0EEENS1_36merge_oddeven_config_static_selectorELNS0_4arch9wavefront6targetE1EEEvSL_
; %bb.0:
	.section	.rodata,"a",@progbits
	.p2align	6, 0x0
	.amdhsa_kernel _ZN7rocprim17ROCPRIM_400000_NS6detail17trampoline_kernelINS0_14default_configENS1_38merge_sort_block_merge_config_selectorIsNS0_10empty_typeEEEZZNS1_27merge_sort_block_merge_implIS3_N6thrust23THRUST_200600_302600_NS6detail15normal_iteratorINS9_10device_ptrIsEEEEPS5_jNS1_19radix_merge_compareILb0ELb1EsNS0_19identity_decomposerEEEEE10hipError_tT0_T1_T2_jT3_P12ihipStream_tbPNSt15iterator_traitsISK_E10value_typeEPNSQ_ISL_E10value_typeEPSM_NS1_7vsmem_tEENKUlT_SK_SL_SM_E_clIPsSE_SF_SF_EESJ_SZ_SK_SL_SM_EUlSZ_E1_NS1_11comp_targetILNS1_3genE0ELNS1_11target_archE4294967295ELNS1_3gpuE0ELNS1_3repE0EEENS1_36merge_oddeven_config_static_selectorELNS0_4arch9wavefront6targetE1EEEvSL_
		.amdhsa_group_segment_fixed_size 0
		.amdhsa_private_segment_fixed_size 0
		.amdhsa_kernarg_size 48
		.amdhsa_user_sgpr_count 2
		.amdhsa_user_sgpr_dispatch_ptr 0
		.amdhsa_user_sgpr_queue_ptr 0
		.amdhsa_user_sgpr_kernarg_segment_ptr 1
		.amdhsa_user_sgpr_dispatch_id 0
		.amdhsa_user_sgpr_kernarg_preload_length 0
		.amdhsa_user_sgpr_kernarg_preload_offset 0
		.amdhsa_user_sgpr_private_segment_size 0
		.amdhsa_uses_dynamic_stack 0
		.amdhsa_enable_private_segment 0
		.amdhsa_system_sgpr_workgroup_id_x 1
		.amdhsa_system_sgpr_workgroup_id_y 0
		.amdhsa_system_sgpr_workgroup_id_z 0
		.amdhsa_system_sgpr_workgroup_info 0
		.amdhsa_system_vgpr_workitem_id 0
		.amdhsa_next_free_vgpr 1
		.amdhsa_next_free_sgpr 0
		.amdhsa_accum_offset 4
		.amdhsa_reserve_vcc 0
		.amdhsa_float_round_mode_32 0
		.amdhsa_float_round_mode_16_64 0
		.amdhsa_float_denorm_mode_32 3
		.amdhsa_float_denorm_mode_16_64 3
		.amdhsa_dx10_clamp 1
		.amdhsa_ieee_mode 1
		.amdhsa_fp16_overflow 0
		.amdhsa_tg_split 0
		.amdhsa_exception_fp_ieee_invalid_op 0
		.amdhsa_exception_fp_denorm_src 0
		.amdhsa_exception_fp_ieee_div_zero 0
		.amdhsa_exception_fp_ieee_overflow 0
		.amdhsa_exception_fp_ieee_underflow 0
		.amdhsa_exception_fp_ieee_inexact 0
		.amdhsa_exception_int_div_zero 0
	.end_amdhsa_kernel
	.section	.text._ZN7rocprim17ROCPRIM_400000_NS6detail17trampoline_kernelINS0_14default_configENS1_38merge_sort_block_merge_config_selectorIsNS0_10empty_typeEEEZZNS1_27merge_sort_block_merge_implIS3_N6thrust23THRUST_200600_302600_NS6detail15normal_iteratorINS9_10device_ptrIsEEEEPS5_jNS1_19radix_merge_compareILb0ELb1EsNS0_19identity_decomposerEEEEE10hipError_tT0_T1_T2_jT3_P12ihipStream_tbPNSt15iterator_traitsISK_E10value_typeEPNSQ_ISL_E10value_typeEPSM_NS1_7vsmem_tEENKUlT_SK_SL_SM_E_clIPsSE_SF_SF_EESJ_SZ_SK_SL_SM_EUlSZ_E1_NS1_11comp_targetILNS1_3genE0ELNS1_11target_archE4294967295ELNS1_3gpuE0ELNS1_3repE0EEENS1_36merge_oddeven_config_static_selectorELNS0_4arch9wavefront6targetE1EEEvSL_,"axG",@progbits,_ZN7rocprim17ROCPRIM_400000_NS6detail17trampoline_kernelINS0_14default_configENS1_38merge_sort_block_merge_config_selectorIsNS0_10empty_typeEEEZZNS1_27merge_sort_block_merge_implIS3_N6thrust23THRUST_200600_302600_NS6detail15normal_iteratorINS9_10device_ptrIsEEEEPS5_jNS1_19radix_merge_compareILb0ELb1EsNS0_19identity_decomposerEEEEE10hipError_tT0_T1_T2_jT3_P12ihipStream_tbPNSt15iterator_traitsISK_E10value_typeEPNSQ_ISL_E10value_typeEPSM_NS1_7vsmem_tEENKUlT_SK_SL_SM_E_clIPsSE_SF_SF_EESJ_SZ_SK_SL_SM_EUlSZ_E1_NS1_11comp_targetILNS1_3genE0ELNS1_11target_archE4294967295ELNS1_3gpuE0ELNS1_3repE0EEENS1_36merge_oddeven_config_static_selectorELNS0_4arch9wavefront6targetE1EEEvSL_,comdat
.Lfunc_end1891:
	.size	_ZN7rocprim17ROCPRIM_400000_NS6detail17trampoline_kernelINS0_14default_configENS1_38merge_sort_block_merge_config_selectorIsNS0_10empty_typeEEEZZNS1_27merge_sort_block_merge_implIS3_N6thrust23THRUST_200600_302600_NS6detail15normal_iteratorINS9_10device_ptrIsEEEEPS5_jNS1_19radix_merge_compareILb0ELb1EsNS0_19identity_decomposerEEEEE10hipError_tT0_T1_T2_jT3_P12ihipStream_tbPNSt15iterator_traitsISK_E10value_typeEPNSQ_ISL_E10value_typeEPSM_NS1_7vsmem_tEENKUlT_SK_SL_SM_E_clIPsSE_SF_SF_EESJ_SZ_SK_SL_SM_EUlSZ_E1_NS1_11comp_targetILNS1_3genE0ELNS1_11target_archE4294967295ELNS1_3gpuE0ELNS1_3repE0EEENS1_36merge_oddeven_config_static_selectorELNS0_4arch9wavefront6targetE1EEEvSL_, .Lfunc_end1891-_ZN7rocprim17ROCPRIM_400000_NS6detail17trampoline_kernelINS0_14default_configENS1_38merge_sort_block_merge_config_selectorIsNS0_10empty_typeEEEZZNS1_27merge_sort_block_merge_implIS3_N6thrust23THRUST_200600_302600_NS6detail15normal_iteratorINS9_10device_ptrIsEEEEPS5_jNS1_19radix_merge_compareILb0ELb1EsNS0_19identity_decomposerEEEEE10hipError_tT0_T1_T2_jT3_P12ihipStream_tbPNSt15iterator_traitsISK_E10value_typeEPNSQ_ISL_E10value_typeEPSM_NS1_7vsmem_tEENKUlT_SK_SL_SM_E_clIPsSE_SF_SF_EESJ_SZ_SK_SL_SM_EUlSZ_E1_NS1_11comp_targetILNS1_3genE0ELNS1_11target_archE4294967295ELNS1_3gpuE0ELNS1_3repE0EEENS1_36merge_oddeven_config_static_selectorELNS0_4arch9wavefront6targetE1EEEvSL_
                                        ; -- End function
	.section	.AMDGPU.csdata,"",@progbits
; Kernel info:
; codeLenInByte = 0
; NumSgprs: 6
; NumVgprs: 0
; NumAgprs: 0
; TotalNumVgprs: 0
; ScratchSize: 0
; MemoryBound: 0
; FloatMode: 240
; IeeeMode: 1
; LDSByteSize: 0 bytes/workgroup (compile time only)
; SGPRBlocks: 0
; VGPRBlocks: 0
; NumSGPRsForWavesPerEU: 6
; NumVGPRsForWavesPerEU: 1
; AccumOffset: 4
; Occupancy: 8
; WaveLimiterHint : 0
; COMPUTE_PGM_RSRC2:SCRATCH_EN: 0
; COMPUTE_PGM_RSRC2:USER_SGPR: 2
; COMPUTE_PGM_RSRC2:TRAP_HANDLER: 0
; COMPUTE_PGM_RSRC2:TGID_X_EN: 1
; COMPUTE_PGM_RSRC2:TGID_Y_EN: 0
; COMPUTE_PGM_RSRC2:TGID_Z_EN: 0
; COMPUTE_PGM_RSRC2:TIDIG_COMP_CNT: 0
; COMPUTE_PGM_RSRC3_GFX90A:ACCUM_OFFSET: 0
; COMPUTE_PGM_RSRC3_GFX90A:TG_SPLIT: 0
	.section	.text._ZN7rocprim17ROCPRIM_400000_NS6detail17trampoline_kernelINS0_14default_configENS1_38merge_sort_block_merge_config_selectorIsNS0_10empty_typeEEEZZNS1_27merge_sort_block_merge_implIS3_N6thrust23THRUST_200600_302600_NS6detail15normal_iteratorINS9_10device_ptrIsEEEEPS5_jNS1_19radix_merge_compareILb0ELb1EsNS0_19identity_decomposerEEEEE10hipError_tT0_T1_T2_jT3_P12ihipStream_tbPNSt15iterator_traitsISK_E10value_typeEPNSQ_ISL_E10value_typeEPSM_NS1_7vsmem_tEENKUlT_SK_SL_SM_E_clIPsSE_SF_SF_EESJ_SZ_SK_SL_SM_EUlSZ_E1_NS1_11comp_targetILNS1_3genE10ELNS1_11target_archE1201ELNS1_3gpuE5ELNS1_3repE0EEENS1_36merge_oddeven_config_static_selectorELNS0_4arch9wavefront6targetE1EEEvSL_,"axG",@progbits,_ZN7rocprim17ROCPRIM_400000_NS6detail17trampoline_kernelINS0_14default_configENS1_38merge_sort_block_merge_config_selectorIsNS0_10empty_typeEEEZZNS1_27merge_sort_block_merge_implIS3_N6thrust23THRUST_200600_302600_NS6detail15normal_iteratorINS9_10device_ptrIsEEEEPS5_jNS1_19radix_merge_compareILb0ELb1EsNS0_19identity_decomposerEEEEE10hipError_tT0_T1_T2_jT3_P12ihipStream_tbPNSt15iterator_traitsISK_E10value_typeEPNSQ_ISL_E10value_typeEPSM_NS1_7vsmem_tEENKUlT_SK_SL_SM_E_clIPsSE_SF_SF_EESJ_SZ_SK_SL_SM_EUlSZ_E1_NS1_11comp_targetILNS1_3genE10ELNS1_11target_archE1201ELNS1_3gpuE5ELNS1_3repE0EEENS1_36merge_oddeven_config_static_selectorELNS0_4arch9wavefront6targetE1EEEvSL_,comdat
	.protected	_ZN7rocprim17ROCPRIM_400000_NS6detail17trampoline_kernelINS0_14default_configENS1_38merge_sort_block_merge_config_selectorIsNS0_10empty_typeEEEZZNS1_27merge_sort_block_merge_implIS3_N6thrust23THRUST_200600_302600_NS6detail15normal_iteratorINS9_10device_ptrIsEEEEPS5_jNS1_19radix_merge_compareILb0ELb1EsNS0_19identity_decomposerEEEEE10hipError_tT0_T1_T2_jT3_P12ihipStream_tbPNSt15iterator_traitsISK_E10value_typeEPNSQ_ISL_E10value_typeEPSM_NS1_7vsmem_tEENKUlT_SK_SL_SM_E_clIPsSE_SF_SF_EESJ_SZ_SK_SL_SM_EUlSZ_E1_NS1_11comp_targetILNS1_3genE10ELNS1_11target_archE1201ELNS1_3gpuE5ELNS1_3repE0EEENS1_36merge_oddeven_config_static_selectorELNS0_4arch9wavefront6targetE1EEEvSL_ ; -- Begin function _ZN7rocprim17ROCPRIM_400000_NS6detail17trampoline_kernelINS0_14default_configENS1_38merge_sort_block_merge_config_selectorIsNS0_10empty_typeEEEZZNS1_27merge_sort_block_merge_implIS3_N6thrust23THRUST_200600_302600_NS6detail15normal_iteratorINS9_10device_ptrIsEEEEPS5_jNS1_19radix_merge_compareILb0ELb1EsNS0_19identity_decomposerEEEEE10hipError_tT0_T1_T2_jT3_P12ihipStream_tbPNSt15iterator_traitsISK_E10value_typeEPNSQ_ISL_E10value_typeEPSM_NS1_7vsmem_tEENKUlT_SK_SL_SM_E_clIPsSE_SF_SF_EESJ_SZ_SK_SL_SM_EUlSZ_E1_NS1_11comp_targetILNS1_3genE10ELNS1_11target_archE1201ELNS1_3gpuE5ELNS1_3repE0EEENS1_36merge_oddeven_config_static_selectorELNS0_4arch9wavefront6targetE1EEEvSL_
	.globl	_ZN7rocprim17ROCPRIM_400000_NS6detail17trampoline_kernelINS0_14default_configENS1_38merge_sort_block_merge_config_selectorIsNS0_10empty_typeEEEZZNS1_27merge_sort_block_merge_implIS3_N6thrust23THRUST_200600_302600_NS6detail15normal_iteratorINS9_10device_ptrIsEEEEPS5_jNS1_19radix_merge_compareILb0ELb1EsNS0_19identity_decomposerEEEEE10hipError_tT0_T1_T2_jT3_P12ihipStream_tbPNSt15iterator_traitsISK_E10value_typeEPNSQ_ISL_E10value_typeEPSM_NS1_7vsmem_tEENKUlT_SK_SL_SM_E_clIPsSE_SF_SF_EESJ_SZ_SK_SL_SM_EUlSZ_E1_NS1_11comp_targetILNS1_3genE10ELNS1_11target_archE1201ELNS1_3gpuE5ELNS1_3repE0EEENS1_36merge_oddeven_config_static_selectorELNS0_4arch9wavefront6targetE1EEEvSL_
	.p2align	8
	.type	_ZN7rocprim17ROCPRIM_400000_NS6detail17trampoline_kernelINS0_14default_configENS1_38merge_sort_block_merge_config_selectorIsNS0_10empty_typeEEEZZNS1_27merge_sort_block_merge_implIS3_N6thrust23THRUST_200600_302600_NS6detail15normal_iteratorINS9_10device_ptrIsEEEEPS5_jNS1_19radix_merge_compareILb0ELb1EsNS0_19identity_decomposerEEEEE10hipError_tT0_T1_T2_jT3_P12ihipStream_tbPNSt15iterator_traitsISK_E10value_typeEPNSQ_ISL_E10value_typeEPSM_NS1_7vsmem_tEENKUlT_SK_SL_SM_E_clIPsSE_SF_SF_EESJ_SZ_SK_SL_SM_EUlSZ_E1_NS1_11comp_targetILNS1_3genE10ELNS1_11target_archE1201ELNS1_3gpuE5ELNS1_3repE0EEENS1_36merge_oddeven_config_static_selectorELNS0_4arch9wavefront6targetE1EEEvSL_,@function
_ZN7rocprim17ROCPRIM_400000_NS6detail17trampoline_kernelINS0_14default_configENS1_38merge_sort_block_merge_config_selectorIsNS0_10empty_typeEEEZZNS1_27merge_sort_block_merge_implIS3_N6thrust23THRUST_200600_302600_NS6detail15normal_iteratorINS9_10device_ptrIsEEEEPS5_jNS1_19radix_merge_compareILb0ELb1EsNS0_19identity_decomposerEEEEE10hipError_tT0_T1_T2_jT3_P12ihipStream_tbPNSt15iterator_traitsISK_E10value_typeEPNSQ_ISL_E10value_typeEPSM_NS1_7vsmem_tEENKUlT_SK_SL_SM_E_clIPsSE_SF_SF_EESJ_SZ_SK_SL_SM_EUlSZ_E1_NS1_11comp_targetILNS1_3genE10ELNS1_11target_archE1201ELNS1_3gpuE5ELNS1_3repE0EEENS1_36merge_oddeven_config_static_selectorELNS0_4arch9wavefront6targetE1EEEvSL_: ; @_ZN7rocprim17ROCPRIM_400000_NS6detail17trampoline_kernelINS0_14default_configENS1_38merge_sort_block_merge_config_selectorIsNS0_10empty_typeEEEZZNS1_27merge_sort_block_merge_implIS3_N6thrust23THRUST_200600_302600_NS6detail15normal_iteratorINS9_10device_ptrIsEEEEPS5_jNS1_19radix_merge_compareILb0ELb1EsNS0_19identity_decomposerEEEEE10hipError_tT0_T1_T2_jT3_P12ihipStream_tbPNSt15iterator_traitsISK_E10value_typeEPNSQ_ISL_E10value_typeEPSM_NS1_7vsmem_tEENKUlT_SK_SL_SM_E_clIPsSE_SF_SF_EESJ_SZ_SK_SL_SM_EUlSZ_E1_NS1_11comp_targetILNS1_3genE10ELNS1_11target_archE1201ELNS1_3gpuE5ELNS1_3repE0EEENS1_36merge_oddeven_config_static_selectorELNS0_4arch9wavefront6targetE1EEEvSL_
; %bb.0:
	.section	.rodata,"a",@progbits
	.p2align	6, 0x0
	.amdhsa_kernel _ZN7rocprim17ROCPRIM_400000_NS6detail17trampoline_kernelINS0_14default_configENS1_38merge_sort_block_merge_config_selectorIsNS0_10empty_typeEEEZZNS1_27merge_sort_block_merge_implIS3_N6thrust23THRUST_200600_302600_NS6detail15normal_iteratorINS9_10device_ptrIsEEEEPS5_jNS1_19radix_merge_compareILb0ELb1EsNS0_19identity_decomposerEEEEE10hipError_tT0_T1_T2_jT3_P12ihipStream_tbPNSt15iterator_traitsISK_E10value_typeEPNSQ_ISL_E10value_typeEPSM_NS1_7vsmem_tEENKUlT_SK_SL_SM_E_clIPsSE_SF_SF_EESJ_SZ_SK_SL_SM_EUlSZ_E1_NS1_11comp_targetILNS1_3genE10ELNS1_11target_archE1201ELNS1_3gpuE5ELNS1_3repE0EEENS1_36merge_oddeven_config_static_selectorELNS0_4arch9wavefront6targetE1EEEvSL_
		.amdhsa_group_segment_fixed_size 0
		.amdhsa_private_segment_fixed_size 0
		.amdhsa_kernarg_size 48
		.amdhsa_user_sgpr_count 2
		.amdhsa_user_sgpr_dispatch_ptr 0
		.amdhsa_user_sgpr_queue_ptr 0
		.amdhsa_user_sgpr_kernarg_segment_ptr 1
		.amdhsa_user_sgpr_dispatch_id 0
		.amdhsa_user_sgpr_kernarg_preload_length 0
		.amdhsa_user_sgpr_kernarg_preload_offset 0
		.amdhsa_user_sgpr_private_segment_size 0
		.amdhsa_uses_dynamic_stack 0
		.amdhsa_enable_private_segment 0
		.amdhsa_system_sgpr_workgroup_id_x 1
		.amdhsa_system_sgpr_workgroup_id_y 0
		.amdhsa_system_sgpr_workgroup_id_z 0
		.amdhsa_system_sgpr_workgroup_info 0
		.amdhsa_system_vgpr_workitem_id 0
		.amdhsa_next_free_vgpr 1
		.amdhsa_next_free_sgpr 0
		.amdhsa_accum_offset 4
		.amdhsa_reserve_vcc 0
		.amdhsa_float_round_mode_32 0
		.amdhsa_float_round_mode_16_64 0
		.amdhsa_float_denorm_mode_32 3
		.amdhsa_float_denorm_mode_16_64 3
		.amdhsa_dx10_clamp 1
		.amdhsa_ieee_mode 1
		.amdhsa_fp16_overflow 0
		.amdhsa_tg_split 0
		.amdhsa_exception_fp_ieee_invalid_op 0
		.amdhsa_exception_fp_denorm_src 0
		.amdhsa_exception_fp_ieee_div_zero 0
		.amdhsa_exception_fp_ieee_overflow 0
		.amdhsa_exception_fp_ieee_underflow 0
		.amdhsa_exception_fp_ieee_inexact 0
		.amdhsa_exception_int_div_zero 0
	.end_amdhsa_kernel
	.section	.text._ZN7rocprim17ROCPRIM_400000_NS6detail17trampoline_kernelINS0_14default_configENS1_38merge_sort_block_merge_config_selectorIsNS0_10empty_typeEEEZZNS1_27merge_sort_block_merge_implIS3_N6thrust23THRUST_200600_302600_NS6detail15normal_iteratorINS9_10device_ptrIsEEEEPS5_jNS1_19radix_merge_compareILb0ELb1EsNS0_19identity_decomposerEEEEE10hipError_tT0_T1_T2_jT3_P12ihipStream_tbPNSt15iterator_traitsISK_E10value_typeEPNSQ_ISL_E10value_typeEPSM_NS1_7vsmem_tEENKUlT_SK_SL_SM_E_clIPsSE_SF_SF_EESJ_SZ_SK_SL_SM_EUlSZ_E1_NS1_11comp_targetILNS1_3genE10ELNS1_11target_archE1201ELNS1_3gpuE5ELNS1_3repE0EEENS1_36merge_oddeven_config_static_selectorELNS0_4arch9wavefront6targetE1EEEvSL_,"axG",@progbits,_ZN7rocprim17ROCPRIM_400000_NS6detail17trampoline_kernelINS0_14default_configENS1_38merge_sort_block_merge_config_selectorIsNS0_10empty_typeEEEZZNS1_27merge_sort_block_merge_implIS3_N6thrust23THRUST_200600_302600_NS6detail15normal_iteratorINS9_10device_ptrIsEEEEPS5_jNS1_19radix_merge_compareILb0ELb1EsNS0_19identity_decomposerEEEEE10hipError_tT0_T1_T2_jT3_P12ihipStream_tbPNSt15iterator_traitsISK_E10value_typeEPNSQ_ISL_E10value_typeEPSM_NS1_7vsmem_tEENKUlT_SK_SL_SM_E_clIPsSE_SF_SF_EESJ_SZ_SK_SL_SM_EUlSZ_E1_NS1_11comp_targetILNS1_3genE10ELNS1_11target_archE1201ELNS1_3gpuE5ELNS1_3repE0EEENS1_36merge_oddeven_config_static_selectorELNS0_4arch9wavefront6targetE1EEEvSL_,comdat
.Lfunc_end1892:
	.size	_ZN7rocprim17ROCPRIM_400000_NS6detail17trampoline_kernelINS0_14default_configENS1_38merge_sort_block_merge_config_selectorIsNS0_10empty_typeEEEZZNS1_27merge_sort_block_merge_implIS3_N6thrust23THRUST_200600_302600_NS6detail15normal_iteratorINS9_10device_ptrIsEEEEPS5_jNS1_19radix_merge_compareILb0ELb1EsNS0_19identity_decomposerEEEEE10hipError_tT0_T1_T2_jT3_P12ihipStream_tbPNSt15iterator_traitsISK_E10value_typeEPNSQ_ISL_E10value_typeEPSM_NS1_7vsmem_tEENKUlT_SK_SL_SM_E_clIPsSE_SF_SF_EESJ_SZ_SK_SL_SM_EUlSZ_E1_NS1_11comp_targetILNS1_3genE10ELNS1_11target_archE1201ELNS1_3gpuE5ELNS1_3repE0EEENS1_36merge_oddeven_config_static_selectorELNS0_4arch9wavefront6targetE1EEEvSL_, .Lfunc_end1892-_ZN7rocprim17ROCPRIM_400000_NS6detail17trampoline_kernelINS0_14default_configENS1_38merge_sort_block_merge_config_selectorIsNS0_10empty_typeEEEZZNS1_27merge_sort_block_merge_implIS3_N6thrust23THRUST_200600_302600_NS6detail15normal_iteratorINS9_10device_ptrIsEEEEPS5_jNS1_19radix_merge_compareILb0ELb1EsNS0_19identity_decomposerEEEEE10hipError_tT0_T1_T2_jT3_P12ihipStream_tbPNSt15iterator_traitsISK_E10value_typeEPNSQ_ISL_E10value_typeEPSM_NS1_7vsmem_tEENKUlT_SK_SL_SM_E_clIPsSE_SF_SF_EESJ_SZ_SK_SL_SM_EUlSZ_E1_NS1_11comp_targetILNS1_3genE10ELNS1_11target_archE1201ELNS1_3gpuE5ELNS1_3repE0EEENS1_36merge_oddeven_config_static_selectorELNS0_4arch9wavefront6targetE1EEEvSL_
                                        ; -- End function
	.section	.AMDGPU.csdata,"",@progbits
; Kernel info:
; codeLenInByte = 0
; NumSgprs: 6
; NumVgprs: 0
; NumAgprs: 0
; TotalNumVgprs: 0
; ScratchSize: 0
; MemoryBound: 0
; FloatMode: 240
; IeeeMode: 1
; LDSByteSize: 0 bytes/workgroup (compile time only)
; SGPRBlocks: 0
; VGPRBlocks: 0
; NumSGPRsForWavesPerEU: 6
; NumVGPRsForWavesPerEU: 1
; AccumOffset: 4
; Occupancy: 8
; WaveLimiterHint : 0
; COMPUTE_PGM_RSRC2:SCRATCH_EN: 0
; COMPUTE_PGM_RSRC2:USER_SGPR: 2
; COMPUTE_PGM_RSRC2:TRAP_HANDLER: 0
; COMPUTE_PGM_RSRC2:TGID_X_EN: 1
; COMPUTE_PGM_RSRC2:TGID_Y_EN: 0
; COMPUTE_PGM_RSRC2:TGID_Z_EN: 0
; COMPUTE_PGM_RSRC2:TIDIG_COMP_CNT: 0
; COMPUTE_PGM_RSRC3_GFX90A:ACCUM_OFFSET: 0
; COMPUTE_PGM_RSRC3_GFX90A:TG_SPLIT: 0
	.section	.text._ZN7rocprim17ROCPRIM_400000_NS6detail17trampoline_kernelINS0_14default_configENS1_38merge_sort_block_merge_config_selectorIsNS0_10empty_typeEEEZZNS1_27merge_sort_block_merge_implIS3_N6thrust23THRUST_200600_302600_NS6detail15normal_iteratorINS9_10device_ptrIsEEEEPS5_jNS1_19radix_merge_compareILb0ELb1EsNS0_19identity_decomposerEEEEE10hipError_tT0_T1_T2_jT3_P12ihipStream_tbPNSt15iterator_traitsISK_E10value_typeEPNSQ_ISL_E10value_typeEPSM_NS1_7vsmem_tEENKUlT_SK_SL_SM_E_clIPsSE_SF_SF_EESJ_SZ_SK_SL_SM_EUlSZ_E1_NS1_11comp_targetILNS1_3genE5ELNS1_11target_archE942ELNS1_3gpuE9ELNS1_3repE0EEENS1_36merge_oddeven_config_static_selectorELNS0_4arch9wavefront6targetE1EEEvSL_,"axG",@progbits,_ZN7rocprim17ROCPRIM_400000_NS6detail17trampoline_kernelINS0_14default_configENS1_38merge_sort_block_merge_config_selectorIsNS0_10empty_typeEEEZZNS1_27merge_sort_block_merge_implIS3_N6thrust23THRUST_200600_302600_NS6detail15normal_iteratorINS9_10device_ptrIsEEEEPS5_jNS1_19radix_merge_compareILb0ELb1EsNS0_19identity_decomposerEEEEE10hipError_tT0_T1_T2_jT3_P12ihipStream_tbPNSt15iterator_traitsISK_E10value_typeEPNSQ_ISL_E10value_typeEPSM_NS1_7vsmem_tEENKUlT_SK_SL_SM_E_clIPsSE_SF_SF_EESJ_SZ_SK_SL_SM_EUlSZ_E1_NS1_11comp_targetILNS1_3genE5ELNS1_11target_archE942ELNS1_3gpuE9ELNS1_3repE0EEENS1_36merge_oddeven_config_static_selectorELNS0_4arch9wavefront6targetE1EEEvSL_,comdat
	.protected	_ZN7rocprim17ROCPRIM_400000_NS6detail17trampoline_kernelINS0_14default_configENS1_38merge_sort_block_merge_config_selectorIsNS0_10empty_typeEEEZZNS1_27merge_sort_block_merge_implIS3_N6thrust23THRUST_200600_302600_NS6detail15normal_iteratorINS9_10device_ptrIsEEEEPS5_jNS1_19radix_merge_compareILb0ELb1EsNS0_19identity_decomposerEEEEE10hipError_tT0_T1_T2_jT3_P12ihipStream_tbPNSt15iterator_traitsISK_E10value_typeEPNSQ_ISL_E10value_typeEPSM_NS1_7vsmem_tEENKUlT_SK_SL_SM_E_clIPsSE_SF_SF_EESJ_SZ_SK_SL_SM_EUlSZ_E1_NS1_11comp_targetILNS1_3genE5ELNS1_11target_archE942ELNS1_3gpuE9ELNS1_3repE0EEENS1_36merge_oddeven_config_static_selectorELNS0_4arch9wavefront6targetE1EEEvSL_ ; -- Begin function _ZN7rocprim17ROCPRIM_400000_NS6detail17trampoline_kernelINS0_14default_configENS1_38merge_sort_block_merge_config_selectorIsNS0_10empty_typeEEEZZNS1_27merge_sort_block_merge_implIS3_N6thrust23THRUST_200600_302600_NS6detail15normal_iteratorINS9_10device_ptrIsEEEEPS5_jNS1_19radix_merge_compareILb0ELb1EsNS0_19identity_decomposerEEEEE10hipError_tT0_T1_T2_jT3_P12ihipStream_tbPNSt15iterator_traitsISK_E10value_typeEPNSQ_ISL_E10value_typeEPSM_NS1_7vsmem_tEENKUlT_SK_SL_SM_E_clIPsSE_SF_SF_EESJ_SZ_SK_SL_SM_EUlSZ_E1_NS1_11comp_targetILNS1_3genE5ELNS1_11target_archE942ELNS1_3gpuE9ELNS1_3repE0EEENS1_36merge_oddeven_config_static_selectorELNS0_4arch9wavefront6targetE1EEEvSL_
	.globl	_ZN7rocprim17ROCPRIM_400000_NS6detail17trampoline_kernelINS0_14default_configENS1_38merge_sort_block_merge_config_selectorIsNS0_10empty_typeEEEZZNS1_27merge_sort_block_merge_implIS3_N6thrust23THRUST_200600_302600_NS6detail15normal_iteratorINS9_10device_ptrIsEEEEPS5_jNS1_19radix_merge_compareILb0ELb1EsNS0_19identity_decomposerEEEEE10hipError_tT0_T1_T2_jT3_P12ihipStream_tbPNSt15iterator_traitsISK_E10value_typeEPNSQ_ISL_E10value_typeEPSM_NS1_7vsmem_tEENKUlT_SK_SL_SM_E_clIPsSE_SF_SF_EESJ_SZ_SK_SL_SM_EUlSZ_E1_NS1_11comp_targetILNS1_3genE5ELNS1_11target_archE942ELNS1_3gpuE9ELNS1_3repE0EEENS1_36merge_oddeven_config_static_selectorELNS0_4arch9wavefront6targetE1EEEvSL_
	.p2align	8
	.type	_ZN7rocprim17ROCPRIM_400000_NS6detail17trampoline_kernelINS0_14default_configENS1_38merge_sort_block_merge_config_selectorIsNS0_10empty_typeEEEZZNS1_27merge_sort_block_merge_implIS3_N6thrust23THRUST_200600_302600_NS6detail15normal_iteratorINS9_10device_ptrIsEEEEPS5_jNS1_19radix_merge_compareILb0ELb1EsNS0_19identity_decomposerEEEEE10hipError_tT0_T1_T2_jT3_P12ihipStream_tbPNSt15iterator_traitsISK_E10value_typeEPNSQ_ISL_E10value_typeEPSM_NS1_7vsmem_tEENKUlT_SK_SL_SM_E_clIPsSE_SF_SF_EESJ_SZ_SK_SL_SM_EUlSZ_E1_NS1_11comp_targetILNS1_3genE5ELNS1_11target_archE942ELNS1_3gpuE9ELNS1_3repE0EEENS1_36merge_oddeven_config_static_selectorELNS0_4arch9wavefront6targetE1EEEvSL_,@function
_ZN7rocprim17ROCPRIM_400000_NS6detail17trampoline_kernelINS0_14default_configENS1_38merge_sort_block_merge_config_selectorIsNS0_10empty_typeEEEZZNS1_27merge_sort_block_merge_implIS3_N6thrust23THRUST_200600_302600_NS6detail15normal_iteratorINS9_10device_ptrIsEEEEPS5_jNS1_19radix_merge_compareILb0ELb1EsNS0_19identity_decomposerEEEEE10hipError_tT0_T1_T2_jT3_P12ihipStream_tbPNSt15iterator_traitsISK_E10value_typeEPNSQ_ISL_E10value_typeEPSM_NS1_7vsmem_tEENKUlT_SK_SL_SM_E_clIPsSE_SF_SF_EESJ_SZ_SK_SL_SM_EUlSZ_E1_NS1_11comp_targetILNS1_3genE5ELNS1_11target_archE942ELNS1_3gpuE9ELNS1_3repE0EEENS1_36merge_oddeven_config_static_selectorELNS0_4arch9wavefront6targetE1EEEvSL_: ; @_ZN7rocprim17ROCPRIM_400000_NS6detail17trampoline_kernelINS0_14default_configENS1_38merge_sort_block_merge_config_selectorIsNS0_10empty_typeEEEZZNS1_27merge_sort_block_merge_implIS3_N6thrust23THRUST_200600_302600_NS6detail15normal_iteratorINS9_10device_ptrIsEEEEPS5_jNS1_19radix_merge_compareILb0ELb1EsNS0_19identity_decomposerEEEEE10hipError_tT0_T1_T2_jT3_P12ihipStream_tbPNSt15iterator_traitsISK_E10value_typeEPNSQ_ISL_E10value_typeEPSM_NS1_7vsmem_tEENKUlT_SK_SL_SM_E_clIPsSE_SF_SF_EESJ_SZ_SK_SL_SM_EUlSZ_E1_NS1_11comp_targetILNS1_3genE5ELNS1_11target_archE942ELNS1_3gpuE9ELNS1_3repE0EEENS1_36merge_oddeven_config_static_selectorELNS0_4arch9wavefront6targetE1EEEvSL_
; %bb.0:
	s_load_dword s18, s[0:1], 0x20
	s_waitcnt lgkmcnt(0)
	s_lshr_b32 s3, s18, 8
	s_cmp_lg_u32 s2, s3
	s_cselect_b64 s[14:15], -1, 0
	s_cmp_eq_u32 s2, s3
	s_cselect_b64 s[12:13], -1, 0
	s_lshl_b32 s16, s2, 8
	s_sub_i32 s3, s18, s16
	v_cmp_gt_u32_e64 s[6:7], s3, v0
	s_or_b64 s[4:5], s[14:15], s[6:7]
	s_and_saveexec_b64 s[8:9], s[4:5]
	s_cbranch_execz .LBB1893_20
; %bb.1:
	s_load_dwordx4 s[8:11], s[0:1], 0x0
	s_load_dword s19, s[0:1], 0x24
	s_mov_b32 s17, 0
	s_lshl_b64 s[4:5], s[16:17], 1
	v_lshlrev_b32_e32 v1, 1, v0
	s_waitcnt lgkmcnt(0)
	s_add_u32 s4, s8, s4
	s_addc_u32 s5, s9, s5
	global_load_ushort v2, v1, s[4:5]
	s_lshr_b32 s3, s19, 8
	s_sub_i32 s4, 0, s3
	s_and_b32 s2, s2, s4
	s_and_b32 s3, s2, s3
	s_lshl_b32 s20, s2, 8
	s_sub_i32 s17, 0, s19
	s_cmp_eq_u32 s3, 0
	s_cselect_b64 s[4:5], -1, 0
	s_and_b64 s[2:3], s[4:5], exec
	s_cselect_b32 s17, s19, s17
	s_add_i32 s17, s17, s20
	s_cmp_lt_u32 s17, s18
	v_add_u32_e32 v0, s16, v0
	s_cbranch_scc1 .LBB1893_3
; %bb.2:
	v_cmp_gt_u32_e32 vcc, s18, v0
	s_or_b64 s[2:3], vcc, s[14:15]
	s_and_b64 s[2:3], s[2:3], exec
	s_cbranch_execz .LBB1893_4
	s_branch .LBB1893_18
.LBB1893_3:
	s_mov_b64 s[2:3], 0
.LBB1893_4:
	s_load_dword s14, s[0:1], 0x28
	s_min_u32 s15, s17, s18
	s_add_i32 s0, s15, s19
	s_min_u32 s16, s0, s18
	s_min_u32 s0, s20, s15
	s_add_i32 s20, s20, s15
	v_subrev_u32_e32 v0, s20, v0
	v_add_u32_e32 v1, s0, v0
	s_and_b64 vcc, exec, s[12:13]
	s_cbranch_vccz .LBB1893_12
; %bb.5:
                                        ; implicit-def: $vgpr0
	s_and_saveexec_b64 s[0:1], s[6:7]
	s_cbranch_execz .LBB1893_11
; %bb.6:
	s_cmp_ge_u32 s17, s16
	v_mov_b32_e32 v0, s15
	s_cbranch_scc1 .LBB1893_10
; %bb.7:
	s_waitcnt vmcnt(0) lgkmcnt(0)
	v_and_b32_e32 v3, s14, v2
	s_mov_b64 s[6:7], 0
	v_mov_b32_e32 v4, s16
	v_mov_b32_e32 v0, s15
.LBB1893_8:                             ; =>This Inner Loop Header: Depth=1
	v_add_u32_e32 v5, v0, v4
	v_and_b32_e32 v6, -2, v5
	global_load_ushort v6, v6, s[8:9]
	v_lshrrev_b32_e32 v5, 1, v5
	v_add_u32_e32 v7, 1, v5
	s_waitcnt vmcnt(0)
	v_and_b32_e32 v6, s14, v6
	v_cmp_gt_i16_e32 vcc, v3, v6
	s_nop 1
	v_cndmask_b32_e64 v8, 0, 1, vcc
	v_cmp_le_i16_e32 vcc, v6, v3
	s_nop 1
	v_cndmask_b32_e64 v6, 0, 1, vcc
	v_cndmask_b32_e64 v6, v6, v8, s[4:5]
	v_and_b32_e32 v6, 1, v6
	v_cmp_eq_u32_e32 vcc, 1, v6
	s_nop 1
	v_cndmask_b32_e32 v4, v5, v4, vcc
	v_cndmask_b32_e32 v0, v0, v7, vcc
	v_cmp_ge_u32_e32 vcc, v0, v4
	s_or_b64 s[6:7], vcc, s[6:7]
	s_andn2_b64 exec, exec, s[6:7]
	s_cbranch_execnz .LBB1893_8
; %bb.9:
	s_or_b64 exec, exec, s[6:7]
.LBB1893_10:
	v_add_u32_e32 v0, v0, v1
	s_or_b64 s[2:3], s[2:3], exec
.LBB1893_11:
	s_or_b64 exec, exec, s[0:1]
	s_branch .LBB1893_18
.LBB1893_12:
                                        ; implicit-def: $vgpr0
	s_cbranch_execz .LBB1893_18
; %bb.13:
	s_cmp_ge_u32 s17, s16
	v_mov_b32_e32 v0, s15
	s_cbranch_scc1 .LBB1893_17
; %bb.14:
	s_waitcnt vmcnt(0) lgkmcnt(0)
	v_and_b32_e32 v3, s14, v2
	s_mov_b64 s[0:1], 0
	v_mov_b32_e32 v4, s16
	v_mov_b32_e32 v0, s15
.LBB1893_15:                            ; =>This Inner Loop Header: Depth=1
	v_add_u32_e32 v5, v0, v4
	v_and_b32_e32 v6, -2, v5
	global_load_ushort v6, v6, s[8:9]
	v_lshrrev_b32_e32 v5, 1, v5
	v_add_u32_e32 v7, 1, v5
	s_waitcnt vmcnt(0)
	v_and_b32_e32 v6, s14, v6
	v_cmp_gt_i16_e32 vcc, v3, v6
	s_nop 1
	v_cndmask_b32_e64 v8, 0, 1, vcc
	v_cmp_le_i16_e32 vcc, v6, v3
	s_nop 1
	v_cndmask_b32_e64 v6, 0, 1, vcc
	v_cndmask_b32_e64 v6, v6, v8, s[4:5]
	v_and_b32_e32 v6, 1, v6
	v_cmp_eq_u32_e32 vcc, 1, v6
	s_nop 1
	v_cndmask_b32_e32 v4, v5, v4, vcc
	v_cndmask_b32_e32 v0, v0, v7, vcc
	v_cmp_ge_u32_e32 vcc, v0, v4
	s_or_b64 s[0:1], vcc, s[0:1]
	s_andn2_b64 exec, exec, s[0:1]
	s_cbranch_execnz .LBB1893_15
; %bb.16:
	s_or_b64 exec, exec, s[0:1]
.LBB1893_17:
	v_add_u32_e32 v0, v0, v1
	s_mov_b64 s[2:3], -1
.LBB1893_18:
	s_and_b64 exec, exec, s[2:3]
	s_cbranch_execz .LBB1893_20
; %bb.19:
	v_mov_b32_e32 v4, s10
	v_mov_b32_e32 v5, s11
	;; [unrolled: 1-line block ×3, first 2 shown]
	v_lshl_add_u64 v[0:1], v[0:1], 1, v[4:5]
	s_waitcnt vmcnt(0)
	global_store_short v[0:1], v2, off
.LBB1893_20:
	s_endpgm
	.section	.rodata,"a",@progbits
	.p2align	6, 0x0
	.amdhsa_kernel _ZN7rocprim17ROCPRIM_400000_NS6detail17trampoline_kernelINS0_14default_configENS1_38merge_sort_block_merge_config_selectorIsNS0_10empty_typeEEEZZNS1_27merge_sort_block_merge_implIS3_N6thrust23THRUST_200600_302600_NS6detail15normal_iteratorINS9_10device_ptrIsEEEEPS5_jNS1_19radix_merge_compareILb0ELb1EsNS0_19identity_decomposerEEEEE10hipError_tT0_T1_T2_jT3_P12ihipStream_tbPNSt15iterator_traitsISK_E10value_typeEPNSQ_ISL_E10value_typeEPSM_NS1_7vsmem_tEENKUlT_SK_SL_SM_E_clIPsSE_SF_SF_EESJ_SZ_SK_SL_SM_EUlSZ_E1_NS1_11comp_targetILNS1_3genE5ELNS1_11target_archE942ELNS1_3gpuE9ELNS1_3repE0EEENS1_36merge_oddeven_config_static_selectorELNS0_4arch9wavefront6targetE1EEEvSL_
		.amdhsa_group_segment_fixed_size 0
		.amdhsa_private_segment_fixed_size 0
		.amdhsa_kernarg_size 48
		.amdhsa_user_sgpr_count 2
		.amdhsa_user_sgpr_dispatch_ptr 0
		.amdhsa_user_sgpr_queue_ptr 0
		.amdhsa_user_sgpr_kernarg_segment_ptr 1
		.amdhsa_user_sgpr_dispatch_id 0
		.amdhsa_user_sgpr_kernarg_preload_length 0
		.amdhsa_user_sgpr_kernarg_preload_offset 0
		.amdhsa_user_sgpr_private_segment_size 0
		.amdhsa_uses_dynamic_stack 0
		.amdhsa_enable_private_segment 0
		.amdhsa_system_sgpr_workgroup_id_x 1
		.amdhsa_system_sgpr_workgroup_id_y 0
		.amdhsa_system_sgpr_workgroup_id_z 0
		.amdhsa_system_sgpr_workgroup_info 0
		.amdhsa_system_vgpr_workitem_id 0
		.amdhsa_next_free_vgpr 9
		.amdhsa_next_free_sgpr 21
		.amdhsa_accum_offset 12
		.amdhsa_reserve_vcc 1
		.amdhsa_float_round_mode_32 0
		.amdhsa_float_round_mode_16_64 0
		.amdhsa_float_denorm_mode_32 3
		.amdhsa_float_denorm_mode_16_64 3
		.amdhsa_dx10_clamp 1
		.amdhsa_ieee_mode 1
		.amdhsa_fp16_overflow 0
		.amdhsa_tg_split 0
		.amdhsa_exception_fp_ieee_invalid_op 0
		.amdhsa_exception_fp_denorm_src 0
		.amdhsa_exception_fp_ieee_div_zero 0
		.amdhsa_exception_fp_ieee_overflow 0
		.amdhsa_exception_fp_ieee_underflow 0
		.amdhsa_exception_fp_ieee_inexact 0
		.amdhsa_exception_int_div_zero 0
	.end_amdhsa_kernel
	.section	.text._ZN7rocprim17ROCPRIM_400000_NS6detail17trampoline_kernelINS0_14default_configENS1_38merge_sort_block_merge_config_selectorIsNS0_10empty_typeEEEZZNS1_27merge_sort_block_merge_implIS3_N6thrust23THRUST_200600_302600_NS6detail15normal_iteratorINS9_10device_ptrIsEEEEPS5_jNS1_19radix_merge_compareILb0ELb1EsNS0_19identity_decomposerEEEEE10hipError_tT0_T1_T2_jT3_P12ihipStream_tbPNSt15iterator_traitsISK_E10value_typeEPNSQ_ISL_E10value_typeEPSM_NS1_7vsmem_tEENKUlT_SK_SL_SM_E_clIPsSE_SF_SF_EESJ_SZ_SK_SL_SM_EUlSZ_E1_NS1_11comp_targetILNS1_3genE5ELNS1_11target_archE942ELNS1_3gpuE9ELNS1_3repE0EEENS1_36merge_oddeven_config_static_selectorELNS0_4arch9wavefront6targetE1EEEvSL_,"axG",@progbits,_ZN7rocprim17ROCPRIM_400000_NS6detail17trampoline_kernelINS0_14default_configENS1_38merge_sort_block_merge_config_selectorIsNS0_10empty_typeEEEZZNS1_27merge_sort_block_merge_implIS3_N6thrust23THRUST_200600_302600_NS6detail15normal_iteratorINS9_10device_ptrIsEEEEPS5_jNS1_19radix_merge_compareILb0ELb1EsNS0_19identity_decomposerEEEEE10hipError_tT0_T1_T2_jT3_P12ihipStream_tbPNSt15iterator_traitsISK_E10value_typeEPNSQ_ISL_E10value_typeEPSM_NS1_7vsmem_tEENKUlT_SK_SL_SM_E_clIPsSE_SF_SF_EESJ_SZ_SK_SL_SM_EUlSZ_E1_NS1_11comp_targetILNS1_3genE5ELNS1_11target_archE942ELNS1_3gpuE9ELNS1_3repE0EEENS1_36merge_oddeven_config_static_selectorELNS0_4arch9wavefront6targetE1EEEvSL_,comdat
.Lfunc_end1893:
	.size	_ZN7rocprim17ROCPRIM_400000_NS6detail17trampoline_kernelINS0_14default_configENS1_38merge_sort_block_merge_config_selectorIsNS0_10empty_typeEEEZZNS1_27merge_sort_block_merge_implIS3_N6thrust23THRUST_200600_302600_NS6detail15normal_iteratorINS9_10device_ptrIsEEEEPS5_jNS1_19radix_merge_compareILb0ELb1EsNS0_19identity_decomposerEEEEE10hipError_tT0_T1_T2_jT3_P12ihipStream_tbPNSt15iterator_traitsISK_E10value_typeEPNSQ_ISL_E10value_typeEPSM_NS1_7vsmem_tEENKUlT_SK_SL_SM_E_clIPsSE_SF_SF_EESJ_SZ_SK_SL_SM_EUlSZ_E1_NS1_11comp_targetILNS1_3genE5ELNS1_11target_archE942ELNS1_3gpuE9ELNS1_3repE0EEENS1_36merge_oddeven_config_static_selectorELNS0_4arch9wavefront6targetE1EEEvSL_, .Lfunc_end1893-_ZN7rocprim17ROCPRIM_400000_NS6detail17trampoline_kernelINS0_14default_configENS1_38merge_sort_block_merge_config_selectorIsNS0_10empty_typeEEEZZNS1_27merge_sort_block_merge_implIS3_N6thrust23THRUST_200600_302600_NS6detail15normal_iteratorINS9_10device_ptrIsEEEEPS5_jNS1_19radix_merge_compareILb0ELb1EsNS0_19identity_decomposerEEEEE10hipError_tT0_T1_T2_jT3_P12ihipStream_tbPNSt15iterator_traitsISK_E10value_typeEPNSQ_ISL_E10value_typeEPSM_NS1_7vsmem_tEENKUlT_SK_SL_SM_E_clIPsSE_SF_SF_EESJ_SZ_SK_SL_SM_EUlSZ_E1_NS1_11comp_targetILNS1_3genE5ELNS1_11target_archE942ELNS1_3gpuE9ELNS1_3repE0EEENS1_36merge_oddeven_config_static_selectorELNS0_4arch9wavefront6targetE1EEEvSL_
                                        ; -- End function
	.section	.AMDGPU.csdata,"",@progbits
; Kernel info:
; codeLenInByte = 600
; NumSgprs: 27
; NumVgprs: 9
; NumAgprs: 0
; TotalNumVgprs: 9
; ScratchSize: 0
; MemoryBound: 0
; FloatMode: 240
; IeeeMode: 1
; LDSByteSize: 0 bytes/workgroup (compile time only)
; SGPRBlocks: 3
; VGPRBlocks: 1
; NumSGPRsForWavesPerEU: 27
; NumVGPRsForWavesPerEU: 9
; AccumOffset: 12
; Occupancy: 8
; WaveLimiterHint : 0
; COMPUTE_PGM_RSRC2:SCRATCH_EN: 0
; COMPUTE_PGM_RSRC2:USER_SGPR: 2
; COMPUTE_PGM_RSRC2:TRAP_HANDLER: 0
; COMPUTE_PGM_RSRC2:TGID_X_EN: 1
; COMPUTE_PGM_RSRC2:TGID_Y_EN: 0
; COMPUTE_PGM_RSRC2:TGID_Z_EN: 0
; COMPUTE_PGM_RSRC2:TIDIG_COMP_CNT: 0
; COMPUTE_PGM_RSRC3_GFX90A:ACCUM_OFFSET: 2
; COMPUTE_PGM_RSRC3_GFX90A:TG_SPLIT: 0
	.section	.text._ZN7rocprim17ROCPRIM_400000_NS6detail17trampoline_kernelINS0_14default_configENS1_38merge_sort_block_merge_config_selectorIsNS0_10empty_typeEEEZZNS1_27merge_sort_block_merge_implIS3_N6thrust23THRUST_200600_302600_NS6detail15normal_iteratorINS9_10device_ptrIsEEEEPS5_jNS1_19radix_merge_compareILb0ELb1EsNS0_19identity_decomposerEEEEE10hipError_tT0_T1_T2_jT3_P12ihipStream_tbPNSt15iterator_traitsISK_E10value_typeEPNSQ_ISL_E10value_typeEPSM_NS1_7vsmem_tEENKUlT_SK_SL_SM_E_clIPsSE_SF_SF_EESJ_SZ_SK_SL_SM_EUlSZ_E1_NS1_11comp_targetILNS1_3genE4ELNS1_11target_archE910ELNS1_3gpuE8ELNS1_3repE0EEENS1_36merge_oddeven_config_static_selectorELNS0_4arch9wavefront6targetE1EEEvSL_,"axG",@progbits,_ZN7rocprim17ROCPRIM_400000_NS6detail17trampoline_kernelINS0_14default_configENS1_38merge_sort_block_merge_config_selectorIsNS0_10empty_typeEEEZZNS1_27merge_sort_block_merge_implIS3_N6thrust23THRUST_200600_302600_NS6detail15normal_iteratorINS9_10device_ptrIsEEEEPS5_jNS1_19radix_merge_compareILb0ELb1EsNS0_19identity_decomposerEEEEE10hipError_tT0_T1_T2_jT3_P12ihipStream_tbPNSt15iterator_traitsISK_E10value_typeEPNSQ_ISL_E10value_typeEPSM_NS1_7vsmem_tEENKUlT_SK_SL_SM_E_clIPsSE_SF_SF_EESJ_SZ_SK_SL_SM_EUlSZ_E1_NS1_11comp_targetILNS1_3genE4ELNS1_11target_archE910ELNS1_3gpuE8ELNS1_3repE0EEENS1_36merge_oddeven_config_static_selectorELNS0_4arch9wavefront6targetE1EEEvSL_,comdat
	.protected	_ZN7rocprim17ROCPRIM_400000_NS6detail17trampoline_kernelINS0_14default_configENS1_38merge_sort_block_merge_config_selectorIsNS0_10empty_typeEEEZZNS1_27merge_sort_block_merge_implIS3_N6thrust23THRUST_200600_302600_NS6detail15normal_iteratorINS9_10device_ptrIsEEEEPS5_jNS1_19radix_merge_compareILb0ELb1EsNS0_19identity_decomposerEEEEE10hipError_tT0_T1_T2_jT3_P12ihipStream_tbPNSt15iterator_traitsISK_E10value_typeEPNSQ_ISL_E10value_typeEPSM_NS1_7vsmem_tEENKUlT_SK_SL_SM_E_clIPsSE_SF_SF_EESJ_SZ_SK_SL_SM_EUlSZ_E1_NS1_11comp_targetILNS1_3genE4ELNS1_11target_archE910ELNS1_3gpuE8ELNS1_3repE0EEENS1_36merge_oddeven_config_static_selectorELNS0_4arch9wavefront6targetE1EEEvSL_ ; -- Begin function _ZN7rocprim17ROCPRIM_400000_NS6detail17trampoline_kernelINS0_14default_configENS1_38merge_sort_block_merge_config_selectorIsNS0_10empty_typeEEEZZNS1_27merge_sort_block_merge_implIS3_N6thrust23THRUST_200600_302600_NS6detail15normal_iteratorINS9_10device_ptrIsEEEEPS5_jNS1_19radix_merge_compareILb0ELb1EsNS0_19identity_decomposerEEEEE10hipError_tT0_T1_T2_jT3_P12ihipStream_tbPNSt15iterator_traitsISK_E10value_typeEPNSQ_ISL_E10value_typeEPSM_NS1_7vsmem_tEENKUlT_SK_SL_SM_E_clIPsSE_SF_SF_EESJ_SZ_SK_SL_SM_EUlSZ_E1_NS1_11comp_targetILNS1_3genE4ELNS1_11target_archE910ELNS1_3gpuE8ELNS1_3repE0EEENS1_36merge_oddeven_config_static_selectorELNS0_4arch9wavefront6targetE1EEEvSL_
	.globl	_ZN7rocprim17ROCPRIM_400000_NS6detail17trampoline_kernelINS0_14default_configENS1_38merge_sort_block_merge_config_selectorIsNS0_10empty_typeEEEZZNS1_27merge_sort_block_merge_implIS3_N6thrust23THRUST_200600_302600_NS6detail15normal_iteratorINS9_10device_ptrIsEEEEPS5_jNS1_19radix_merge_compareILb0ELb1EsNS0_19identity_decomposerEEEEE10hipError_tT0_T1_T2_jT3_P12ihipStream_tbPNSt15iterator_traitsISK_E10value_typeEPNSQ_ISL_E10value_typeEPSM_NS1_7vsmem_tEENKUlT_SK_SL_SM_E_clIPsSE_SF_SF_EESJ_SZ_SK_SL_SM_EUlSZ_E1_NS1_11comp_targetILNS1_3genE4ELNS1_11target_archE910ELNS1_3gpuE8ELNS1_3repE0EEENS1_36merge_oddeven_config_static_selectorELNS0_4arch9wavefront6targetE1EEEvSL_
	.p2align	8
	.type	_ZN7rocprim17ROCPRIM_400000_NS6detail17trampoline_kernelINS0_14default_configENS1_38merge_sort_block_merge_config_selectorIsNS0_10empty_typeEEEZZNS1_27merge_sort_block_merge_implIS3_N6thrust23THRUST_200600_302600_NS6detail15normal_iteratorINS9_10device_ptrIsEEEEPS5_jNS1_19radix_merge_compareILb0ELb1EsNS0_19identity_decomposerEEEEE10hipError_tT0_T1_T2_jT3_P12ihipStream_tbPNSt15iterator_traitsISK_E10value_typeEPNSQ_ISL_E10value_typeEPSM_NS1_7vsmem_tEENKUlT_SK_SL_SM_E_clIPsSE_SF_SF_EESJ_SZ_SK_SL_SM_EUlSZ_E1_NS1_11comp_targetILNS1_3genE4ELNS1_11target_archE910ELNS1_3gpuE8ELNS1_3repE0EEENS1_36merge_oddeven_config_static_selectorELNS0_4arch9wavefront6targetE1EEEvSL_,@function
_ZN7rocprim17ROCPRIM_400000_NS6detail17trampoline_kernelINS0_14default_configENS1_38merge_sort_block_merge_config_selectorIsNS0_10empty_typeEEEZZNS1_27merge_sort_block_merge_implIS3_N6thrust23THRUST_200600_302600_NS6detail15normal_iteratorINS9_10device_ptrIsEEEEPS5_jNS1_19radix_merge_compareILb0ELb1EsNS0_19identity_decomposerEEEEE10hipError_tT0_T1_T2_jT3_P12ihipStream_tbPNSt15iterator_traitsISK_E10value_typeEPNSQ_ISL_E10value_typeEPSM_NS1_7vsmem_tEENKUlT_SK_SL_SM_E_clIPsSE_SF_SF_EESJ_SZ_SK_SL_SM_EUlSZ_E1_NS1_11comp_targetILNS1_3genE4ELNS1_11target_archE910ELNS1_3gpuE8ELNS1_3repE0EEENS1_36merge_oddeven_config_static_selectorELNS0_4arch9wavefront6targetE1EEEvSL_: ; @_ZN7rocprim17ROCPRIM_400000_NS6detail17trampoline_kernelINS0_14default_configENS1_38merge_sort_block_merge_config_selectorIsNS0_10empty_typeEEEZZNS1_27merge_sort_block_merge_implIS3_N6thrust23THRUST_200600_302600_NS6detail15normal_iteratorINS9_10device_ptrIsEEEEPS5_jNS1_19radix_merge_compareILb0ELb1EsNS0_19identity_decomposerEEEEE10hipError_tT0_T1_T2_jT3_P12ihipStream_tbPNSt15iterator_traitsISK_E10value_typeEPNSQ_ISL_E10value_typeEPSM_NS1_7vsmem_tEENKUlT_SK_SL_SM_E_clIPsSE_SF_SF_EESJ_SZ_SK_SL_SM_EUlSZ_E1_NS1_11comp_targetILNS1_3genE4ELNS1_11target_archE910ELNS1_3gpuE8ELNS1_3repE0EEENS1_36merge_oddeven_config_static_selectorELNS0_4arch9wavefront6targetE1EEEvSL_
; %bb.0:
	.section	.rodata,"a",@progbits
	.p2align	6, 0x0
	.amdhsa_kernel _ZN7rocprim17ROCPRIM_400000_NS6detail17trampoline_kernelINS0_14default_configENS1_38merge_sort_block_merge_config_selectorIsNS0_10empty_typeEEEZZNS1_27merge_sort_block_merge_implIS3_N6thrust23THRUST_200600_302600_NS6detail15normal_iteratorINS9_10device_ptrIsEEEEPS5_jNS1_19radix_merge_compareILb0ELb1EsNS0_19identity_decomposerEEEEE10hipError_tT0_T1_T2_jT3_P12ihipStream_tbPNSt15iterator_traitsISK_E10value_typeEPNSQ_ISL_E10value_typeEPSM_NS1_7vsmem_tEENKUlT_SK_SL_SM_E_clIPsSE_SF_SF_EESJ_SZ_SK_SL_SM_EUlSZ_E1_NS1_11comp_targetILNS1_3genE4ELNS1_11target_archE910ELNS1_3gpuE8ELNS1_3repE0EEENS1_36merge_oddeven_config_static_selectorELNS0_4arch9wavefront6targetE1EEEvSL_
		.amdhsa_group_segment_fixed_size 0
		.amdhsa_private_segment_fixed_size 0
		.amdhsa_kernarg_size 48
		.amdhsa_user_sgpr_count 2
		.amdhsa_user_sgpr_dispatch_ptr 0
		.amdhsa_user_sgpr_queue_ptr 0
		.amdhsa_user_sgpr_kernarg_segment_ptr 1
		.amdhsa_user_sgpr_dispatch_id 0
		.amdhsa_user_sgpr_kernarg_preload_length 0
		.amdhsa_user_sgpr_kernarg_preload_offset 0
		.amdhsa_user_sgpr_private_segment_size 0
		.amdhsa_uses_dynamic_stack 0
		.amdhsa_enable_private_segment 0
		.amdhsa_system_sgpr_workgroup_id_x 1
		.amdhsa_system_sgpr_workgroup_id_y 0
		.amdhsa_system_sgpr_workgroup_id_z 0
		.amdhsa_system_sgpr_workgroup_info 0
		.amdhsa_system_vgpr_workitem_id 0
		.amdhsa_next_free_vgpr 1
		.amdhsa_next_free_sgpr 0
		.amdhsa_accum_offset 4
		.amdhsa_reserve_vcc 0
		.amdhsa_float_round_mode_32 0
		.amdhsa_float_round_mode_16_64 0
		.amdhsa_float_denorm_mode_32 3
		.amdhsa_float_denorm_mode_16_64 3
		.amdhsa_dx10_clamp 1
		.amdhsa_ieee_mode 1
		.amdhsa_fp16_overflow 0
		.amdhsa_tg_split 0
		.amdhsa_exception_fp_ieee_invalid_op 0
		.amdhsa_exception_fp_denorm_src 0
		.amdhsa_exception_fp_ieee_div_zero 0
		.amdhsa_exception_fp_ieee_overflow 0
		.amdhsa_exception_fp_ieee_underflow 0
		.amdhsa_exception_fp_ieee_inexact 0
		.amdhsa_exception_int_div_zero 0
	.end_amdhsa_kernel
	.section	.text._ZN7rocprim17ROCPRIM_400000_NS6detail17trampoline_kernelINS0_14default_configENS1_38merge_sort_block_merge_config_selectorIsNS0_10empty_typeEEEZZNS1_27merge_sort_block_merge_implIS3_N6thrust23THRUST_200600_302600_NS6detail15normal_iteratorINS9_10device_ptrIsEEEEPS5_jNS1_19radix_merge_compareILb0ELb1EsNS0_19identity_decomposerEEEEE10hipError_tT0_T1_T2_jT3_P12ihipStream_tbPNSt15iterator_traitsISK_E10value_typeEPNSQ_ISL_E10value_typeEPSM_NS1_7vsmem_tEENKUlT_SK_SL_SM_E_clIPsSE_SF_SF_EESJ_SZ_SK_SL_SM_EUlSZ_E1_NS1_11comp_targetILNS1_3genE4ELNS1_11target_archE910ELNS1_3gpuE8ELNS1_3repE0EEENS1_36merge_oddeven_config_static_selectorELNS0_4arch9wavefront6targetE1EEEvSL_,"axG",@progbits,_ZN7rocprim17ROCPRIM_400000_NS6detail17trampoline_kernelINS0_14default_configENS1_38merge_sort_block_merge_config_selectorIsNS0_10empty_typeEEEZZNS1_27merge_sort_block_merge_implIS3_N6thrust23THRUST_200600_302600_NS6detail15normal_iteratorINS9_10device_ptrIsEEEEPS5_jNS1_19radix_merge_compareILb0ELb1EsNS0_19identity_decomposerEEEEE10hipError_tT0_T1_T2_jT3_P12ihipStream_tbPNSt15iterator_traitsISK_E10value_typeEPNSQ_ISL_E10value_typeEPSM_NS1_7vsmem_tEENKUlT_SK_SL_SM_E_clIPsSE_SF_SF_EESJ_SZ_SK_SL_SM_EUlSZ_E1_NS1_11comp_targetILNS1_3genE4ELNS1_11target_archE910ELNS1_3gpuE8ELNS1_3repE0EEENS1_36merge_oddeven_config_static_selectorELNS0_4arch9wavefront6targetE1EEEvSL_,comdat
.Lfunc_end1894:
	.size	_ZN7rocprim17ROCPRIM_400000_NS6detail17trampoline_kernelINS0_14default_configENS1_38merge_sort_block_merge_config_selectorIsNS0_10empty_typeEEEZZNS1_27merge_sort_block_merge_implIS3_N6thrust23THRUST_200600_302600_NS6detail15normal_iteratorINS9_10device_ptrIsEEEEPS5_jNS1_19radix_merge_compareILb0ELb1EsNS0_19identity_decomposerEEEEE10hipError_tT0_T1_T2_jT3_P12ihipStream_tbPNSt15iterator_traitsISK_E10value_typeEPNSQ_ISL_E10value_typeEPSM_NS1_7vsmem_tEENKUlT_SK_SL_SM_E_clIPsSE_SF_SF_EESJ_SZ_SK_SL_SM_EUlSZ_E1_NS1_11comp_targetILNS1_3genE4ELNS1_11target_archE910ELNS1_3gpuE8ELNS1_3repE0EEENS1_36merge_oddeven_config_static_selectorELNS0_4arch9wavefront6targetE1EEEvSL_, .Lfunc_end1894-_ZN7rocprim17ROCPRIM_400000_NS6detail17trampoline_kernelINS0_14default_configENS1_38merge_sort_block_merge_config_selectorIsNS0_10empty_typeEEEZZNS1_27merge_sort_block_merge_implIS3_N6thrust23THRUST_200600_302600_NS6detail15normal_iteratorINS9_10device_ptrIsEEEEPS5_jNS1_19radix_merge_compareILb0ELb1EsNS0_19identity_decomposerEEEEE10hipError_tT0_T1_T2_jT3_P12ihipStream_tbPNSt15iterator_traitsISK_E10value_typeEPNSQ_ISL_E10value_typeEPSM_NS1_7vsmem_tEENKUlT_SK_SL_SM_E_clIPsSE_SF_SF_EESJ_SZ_SK_SL_SM_EUlSZ_E1_NS1_11comp_targetILNS1_3genE4ELNS1_11target_archE910ELNS1_3gpuE8ELNS1_3repE0EEENS1_36merge_oddeven_config_static_selectorELNS0_4arch9wavefront6targetE1EEEvSL_
                                        ; -- End function
	.section	.AMDGPU.csdata,"",@progbits
; Kernel info:
; codeLenInByte = 0
; NumSgprs: 6
; NumVgprs: 0
; NumAgprs: 0
; TotalNumVgprs: 0
; ScratchSize: 0
; MemoryBound: 0
; FloatMode: 240
; IeeeMode: 1
; LDSByteSize: 0 bytes/workgroup (compile time only)
; SGPRBlocks: 0
; VGPRBlocks: 0
; NumSGPRsForWavesPerEU: 6
; NumVGPRsForWavesPerEU: 1
; AccumOffset: 4
; Occupancy: 8
; WaveLimiterHint : 0
; COMPUTE_PGM_RSRC2:SCRATCH_EN: 0
; COMPUTE_PGM_RSRC2:USER_SGPR: 2
; COMPUTE_PGM_RSRC2:TRAP_HANDLER: 0
; COMPUTE_PGM_RSRC2:TGID_X_EN: 1
; COMPUTE_PGM_RSRC2:TGID_Y_EN: 0
; COMPUTE_PGM_RSRC2:TGID_Z_EN: 0
; COMPUTE_PGM_RSRC2:TIDIG_COMP_CNT: 0
; COMPUTE_PGM_RSRC3_GFX90A:ACCUM_OFFSET: 0
; COMPUTE_PGM_RSRC3_GFX90A:TG_SPLIT: 0
	.section	.text._ZN7rocprim17ROCPRIM_400000_NS6detail17trampoline_kernelINS0_14default_configENS1_38merge_sort_block_merge_config_selectorIsNS0_10empty_typeEEEZZNS1_27merge_sort_block_merge_implIS3_N6thrust23THRUST_200600_302600_NS6detail15normal_iteratorINS9_10device_ptrIsEEEEPS5_jNS1_19radix_merge_compareILb0ELb1EsNS0_19identity_decomposerEEEEE10hipError_tT0_T1_T2_jT3_P12ihipStream_tbPNSt15iterator_traitsISK_E10value_typeEPNSQ_ISL_E10value_typeEPSM_NS1_7vsmem_tEENKUlT_SK_SL_SM_E_clIPsSE_SF_SF_EESJ_SZ_SK_SL_SM_EUlSZ_E1_NS1_11comp_targetILNS1_3genE3ELNS1_11target_archE908ELNS1_3gpuE7ELNS1_3repE0EEENS1_36merge_oddeven_config_static_selectorELNS0_4arch9wavefront6targetE1EEEvSL_,"axG",@progbits,_ZN7rocprim17ROCPRIM_400000_NS6detail17trampoline_kernelINS0_14default_configENS1_38merge_sort_block_merge_config_selectorIsNS0_10empty_typeEEEZZNS1_27merge_sort_block_merge_implIS3_N6thrust23THRUST_200600_302600_NS6detail15normal_iteratorINS9_10device_ptrIsEEEEPS5_jNS1_19radix_merge_compareILb0ELb1EsNS0_19identity_decomposerEEEEE10hipError_tT0_T1_T2_jT3_P12ihipStream_tbPNSt15iterator_traitsISK_E10value_typeEPNSQ_ISL_E10value_typeEPSM_NS1_7vsmem_tEENKUlT_SK_SL_SM_E_clIPsSE_SF_SF_EESJ_SZ_SK_SL_SM_EUlSZ_E1_NS1_11comp_targetILNS1_3genE3ELNS1_11target_archE908ELNS1_3gpuE7ELNS1_3repE0EEENS1_36merge_oddeven_config_static_selectorELNS0_4arch9wavefront6targetE1EEEvSL_,comdat
	.protected	_ZN7rocprim17ROCPRIM_400000_NS6detail17trampoline_kernelINS0_14default_configENS1_38merge_sort_block_merge_config_selectorIsNS0_10empty_typeEEEZZNS1_27merge_sort_block_merge_implIS3_N6thrust23THRUST_200600_302600_NS6detail15normal_iteratorINS9_10device_ptrIsEEEEPS5_jNS1_19radix_merge_compareILb0ELb1EsNS0_19identity_decomposerEEEEE10hipError_tT0_T1_T2_jT3_P12ihipStream_tbPNSt15iterator_traitsISK_E10value_typeEPNSQ_ISL_E10value_typeEPSM_NS1_7vsmem_tEENKUlT_SK_SL_SM_E_clIPsSE_SF_SF_EESJ_SZ_SK_SL_SM_EUlSZ_E1_NS1_11comp_targetILNS1_3genE3ELNS1_11target_archE908ELNS1_3gpuE7ELNS1_3repE0EEENS1_36merge_oddeven_config_static_selectorELNS0_4arch9wavefront6targetE1EEEvSL_ ; -- Begin function _ZN7rocprim17ROCPRIM_400000_NS6detail17trampoline_kernelINS0_14default_configENS1_38merge_sort_block_merge_config_selectorIsNS0_10empty_typeEEEZZNS1_27merge_sort_block_merge_implIS3_N6thrust23THRUST_200600_302600_NS6detail15normal_iteratorINS9_10device_ptrIsEEEEPS5_jNS1_19radix_merge_compareILb0ELb1EsNS0_19identity_decomposerEEEEE10hipError_tT0_T1_T2_jT3_P12ihipStream_tbPNSt15iterator_traitsISK_E10value_typeEPNSQ_ISL_E10value_typeEPSM_NS1_7vsmem_tEENKUlT_SK_SL_SM_E_clIPsSE_SF_SF_EESJ_SZ_SK_SL_SM_EUlSZ_E1_NS1_11comp_targetILNS1_3genE3ELNS1_11target_archE908ELNS1_3gpuE7ELNS1_3repE0EEENS1_36merge_oddeven_config_static_selectorELNS0_4arch9wavefront6targetE1EEEvSL_
	.globl	_ZN7rocprim17ROCPRIM_400000_NS6detail17trampoline_kernelINS0_14default_configENS1_38merge_sort_block_merge_config_selectorIsNS0_10empty_typeEEEZZNS1_27merge_sort_block_merge_implIS3_N6thrust23THRUST_200600_302600_NS6detail15normal_iteratorINS9_10device_ptrIsEEEEPS5_jNS1_19radix_merge_compareILb0ELb1EsNS0_19identity_decomposerEEEEE10hipError_tT0_T1_T2_jT3_P12ihipStream_tbPNSt15iterator_traitsISK_E10value_typeEPNSQ_ISL_E10value_typeEPSM_NS1_7vsmem_tEENKUlT_SK_SL_SM_E_clIPsSE_SF_SF_EESJ_SZ_SK_SL_SM_EUlSZ_E1_NS1_11comp_targetILNS1_3genE3ELNS1_11target_archE908ELNS1_3gpuE7ELNS1_3repE0EEENS1_36merge_oddeven_config_static_selectorELNS0_4arch9wavefront6targetE1EEEvSL_
	.p2align	8
	.type	_ZN7rocprim17ROCPRIM_400000_NS6detail17trampoline_kernelINS0_14default_configENS1_38merge_sort_block_merge_config_selectorIsNS0_10empty_typeEEEZZNS1_27merge_sort_block_merge_implIS3_N6thrust23THRUST_200600_302600_NS6detail15normal_iteratorINS9_10device_ptrIsEEEEPS5_jNS1_19radix_merge_compareILb0ELb1EsNS0_19identity_decomposerEEEEE10hipError_tT0_T1_T2_jT3_P12ihipStream_tbPNSt15iterator_traitsISK_E10value_typeEPNSQ_ISL_E10value_typeEPSM_NS1_7vsmem_tEENKUlT_SK_SL_SM_E_clIPsSE_SF_SF_EESJ_SZ_SK_SL_SM_EUlSZ_E1_NS1_11comp_targetILNS1_3genE3ELNS1_11target_archE908ELNS1_3gpuE7ELNS1_3repE0EEENS1_36merge_oddeven_config_static_selectorELNS0_4arch9wavefront6targetE1EEEvSL_,@function
_ZN7rocprim17ROCPRIM_400000_NS6detail17trampoline_kernelINS0_14default_configENS1_38merge_sort_block_merge_config_selectorIsNS0_10empty_typeEEEZZNS1_27merge_sort_block_merge_implIS3_N6thrust23THRUST_200600_302600_NS6detail15normal_iteratorINS9_10device_ptrIsEEEEPS5_jNS1_19radix_merge_compareILb0ELb1EsNS0_19identity_decomposerEEEEE10hipError_tT0_T1_T2_jT3_P12ihipStream_tbPNSt15iterator_traitsISK_E10value_typeEPNSQ_ISL_E10value_typeEPSM_NS1_7vsmem_tEENKUlT_SK_SL_SM_E_clIPsSE_SF_SF_EESJ_SZ_SK_SL_SM_EUlSZ_E1_NS1_11comp_targetILNS1_3genE3ELNS1_11target_archE908ELNS1_3gpuE7ELNS1_3repE0EEENS1_36merge_oddeven_config_static_selectorELNS0_4arch9wavefront6targetE1EEEvSL_: ; @_ZN7rocprim17ROCPRIM_400000_NS6detail17trampoline_kernelINS0_14default_configENS1_38merge_sort_block_merge_config_selectorIsNS0_10empty_typeEEEZZNS1_27merge_sort_block_merge_implIS3_N6thrust23THRUST_200600_302600_NS6detail15normal_iteratorINS9_10device_ptrIsEEEEPS5_jNS1_19radix_merge_compareILb0ELb1EsNS0_19identity_decomposerEEEEE10hipError_tT0_T1_T2_jT3_P12ihipStream_tbPNSt15iterator_traitsISK_E10value_typeEPNSQ_ISL_E10value_typeEPSM_NS1_7vsmem_tEENKUlT_SK_SL_SM_E_clIPsSE_SF_SF_EESJ_SZ_SK_SL_SM_EUlSZ_E1_NS1_11comp_targetILNS1_3genE3ELNS1_11target_archE908ELNS1_3gpuE7ELNS1_3repE0EEENS1_36merge_oddeven_config_static_selectorELNS0_4arch9wavefront6targetE1EEEvSL_
; %bb.0:
	.section	.rodata,"a",@progbits
	.p2align	6, 0x0
	.amdhsa_kernel _ZN7rocprim17ROCPRIM_400000_NS6detail17trampoline_kernelINS0_14default_configENS1_38merge_sort_block_merge_config_selectorIsNS0_10empty_typeEEEZZNS1_27merge_sort_block_merge_implIS3_N6thrust23THRUST_200600_302600_NS6detail15normal_iteratorINS9_10device_ptrIsEEEEPS5_jNS1_19radix_merge_compareILb0ELb1EsNS0_19identity_decomposerEEEEE10hipError_tT0_T1_T2_jT3_P12ihipStream_tbPNSt15iterator_traitsISK_E10value_typeEPNSQ_ISL_E10value_typeEPSM_NS1_7vsmem_tEENKUlT_SK_SL_SM_E_clIPsSE_SF_SF_EESJ_SZ_SK_SL_SM_EUlSZ_E1_NS1_11comp_targetILNS1_3genE3ELNS1_11target_archE908ELNS1_3gpuE7ELNS1_3repE0EEENS1_36merge_oddeven_config_static_selectorELNS0_4arch9wavefront6targetE1EEEvSL_
		.amdhsa_group_segment_fixed_size 0
		.amdhsa_private_segment_fixed_size 0
		.amdhsa_kernarg_size 48
		.amdhsa_user_sgpr_count 2
		.amdhsa_user_sgpr_dispatch_ptr 0
		.amdhsa_user_sgpr_queue_ptr 0
		.amdhsa_user_sgpr_kernarg_segment_ptr 1
		.amdhsa_user_sgpr_dispatch_id 0
		.amdhsa_user_sgpr_kernarg_preload_length 0
		.amdhsa_user_sgpr_kernarg_preload_offset 0
		.amdhsa_user_sgpr_private_segment_size 0
		.amdhsa_uses_dynamic_stack 0
		.amdhsa_enable_private_segment 0
		.amdhsa_system_sgpr_workgroup_id_x 1
		.amdhsa_system_sgpr_workgroup_id_y 0
		.amdhsa_system_sgpr_workgroup_id_z 0
		.amdhsa_system_sgpr_workgroup_info 0
		.amdhsa_system_vgpr_workitem_id 0
		.amdhsa_next_free_vgpr 1
		.amdhsa_next_free_sgpr 0
		.amdhsa_accum_offset 4
		.amdhsa_reserve_vcc 0
		.amdhsa_float_round_mode_32 0
		.amdhsa_float_round_mode_16_64 0
		.amdhsa_float_denorm_mode_32 3
		.amdhsa_float_denorm_mode_16_64 3
		.amdhsa_dx10_clamp 1
		.amdhsa_ieee_mode 1
		.amdhsa_fp16_overflow 0
		.amdhsa_tg_split 0
		.amdhsa_exception_fp_ieee_invalid_op 0
		.amdhsa_exception_fp_denorm_src 0
		.amdhsa_exception_fp_ieee_div_zero 0
		.amdhsa_exception_fp_ieee_overflow 0
		.amdhsa_exception_fp_ieee_underflow 0
		.amdhsa_exception_fp_ieee_inexact 0
		.amdhsa_exception_int_div_zero 0
	.end_amdhsa_kernel
	.section	.text._ZN7rocprim17ROCPRIM_400000_NS6detail17trampoline_kernelINS0_14default_configENS1_38merge_sort_block_merge_config_selectorIsNS0_10empty_typeEEEZZNS1_27merge_sort_block_merge_implIS3_N6thrust23THRUST_200600_302600_NS6detail15normal_iteratorINS9_10device_ptrIsEEEEPS5_jNS1_19radix_merge_compareILb0ELb1EsNS0_19identity_decomposerEEEEE10hipError_tT0_T1_T2_jT3_P12ihipStream_tbPNSt15iterator_traitsISK_E10value_typeEPNSQ_ISL_E10value_typeEPSM_NS1_7vsmem_tEENKUlT_SK_SL_SM_E_clIPsSE_SF_SF_EESJ_SZ_SK_SL_SM_EUlSZ_E1_NS1_11comp_targetILNS1_3genE3ELNS1_11target_archE908ELNS1_3gpuE7ELNS1_3repE0EEENS1_36merge_oddeven_config_static_selectorELNS0_4arch9wavefront6targetE1EEEvSL_,"axG",@progbits,_ZN7rocprim17ROCPRIM_400000_NS6detail17trampoline_kernelINS0_14default_configENS1_38merge_sort_block_merge_config_selectorIsNS0_10empty_typeEEEZZNS1_27merge_sort_block_merge_implIS3_N6thrust23THRUST_200600_302600_NS6detail15normal_iteratorINS9_10device_ptrIsEEEEPS5_jNS1_19radix_merge_compareILb0ELb1EsNS0_19identity_decomposerEEEEE10hipError_tT0_T1_T2_jT3_P12ihipStream_tbPNSt15iterator_traitsISK_E10value_typeEPNSQ_ISL_E10value_typeEPSM_NS1_7vsmem_tEENKUlT_SK_SL_SM_E_clIPsSE_SF_SF_EESJ_SZ_SK_SL_SM_EUlSZ_E1_NS1_11comp_targetILNS1_3genE3ELNS1_11target_archE908ELNS1_3gpuE7ELNS1_3repE0EEENS1_36merge_oddeven_config_static_selectorELNS0_4arch9wavefront6targetE1EEEvSL_,comdat
.Lfunc_end1895:
	.size	_ZN7rocprim17ROCPRIM_400000_NS6detail17trampoline_kernelINS0_14default_configENS1_38merge_sort_block_merge_config_selectorIsNS0_10empty_typeEEEZZNS1_27merge_sort_block_merge_implIS3_N6thrust23THRUST_200600_302600_NS6detail15normal_iteratorINS9_10device_ptrIsEEEEPS5_jNS1_19radix_merge_compareILb0ELb1EsNS0_19identity_decomposerEEEEE10hipError_tT0_T1_T2_jT3_P12ihipStream_tbPNSt15iterator_traitsISK_E10value_typeEPNSQ_ISL_E10value_typeEPSM_NS1_7vsmem_tEENKUlT_SK_SL_SM_E_clIPsSE_SF_SF_EESJ_SZ_SK_SL_SM_EUlSZ_E1_NS1_11comp_targetILNS1_3genE3ELNS1_11target_archE908ELNS1_3gpuE7ELNS1_3repE0EEENS1_36merge_oddeven_config_static_selectorELNS0_4arch9wavefront6targetE1EEEvSL_, .Lfunc_end1895-_ZN7rocprim17ROCPRIM_400000_NS6detail17trampoline_kernelINS0_14default_configENS1_38merge_sort_block_merge_config_selectorIsNS0_10empty_typeEEEZZNS1_27merge_sort_block_merge_implIS3_N6thrust23THRUST_200600_302600_NS6detail15normal_iteratorINS9_10device_ptrIsEEEEPS5_jNS1_19radix_merge_compareILb0ELb1EsNS0_19identity_decomposerEEEEE10hipError_tT0_T1_T2_jT3_P12ihipStream_tbPNSt15iterator_traitsISK_E10value_typeEPNSQ_ISL_E10value_typeEPSM_NS1_7vsmem_tEENKUlT_SK_SL_SM_E_clIPsSE_SF_SF_EESJ_SZ_SK_SL_SM_EUlSZ_E1_NS1_11comp_targetILNS1_3genE3ELNS1_11target_archE908ELNS1_3gpuE7ELNS1_3repE0EEENS1_36merge_oddeven_config_static_selectorELNS0_4arch9wavefront6targetE1EEEvSL_
                                        ; -- End function
	.section	.AMDGPU.csdata,"",@progbits
; Kernel info:
; codeLenInByte = 0
; NumSgprs: 6
; NumVgprs: 0
; NumAgprs: 0
; TotalNumVgprs: 0
; ScratchSize: 0
; MemoryBound: 0
; FloatMode: 240
; IeeeMode: 1
; LDSByteSize: 0 bytes/workgroup (compile time only)
; SGPRBlocks: 0
; VGPRBlocks: 0
; NumSGPRsForWavesPerEU: 6
; NumVGPRsForWavesPerEU: 1
; AccumOffset: 4
; Occupancy: 8
; WaveLimiterHint : 0
; COMPUTE_PGM_RSRC2:SCRATCH_EN: 0
; COMPUTE_PGM_RSRC2:USER_SGPR: 2
; COMPUTE_PGM_RSRC2:TRAP_HANDLER: 0
; COMPUTE_PGM_RSRC2:TGID_X_EN: 1
; COMPUTE_PGM_RSRC2:TGID_Y_EN: 0
; COMPUTE_PGM_RSRC2:TGID_Z_EN: 0
; COMPUTE_PGM_RSRC2:TIDIG_COMP_CNT: 0
; COMPUTE_PGM_RSRC3_GFX90A:ACCUM_OFFSET: 0
; COMPUTE_PGM_RSRC3_GFX90A:TG_SPLIT: 0
	.section	.text._ZN7rocprim17ROCPRIM_400000_NS6detail17trampoline_kernelINS0_14default_configENS1_38merge_sort_block_merge_config_selectorIsNS0_10empty_typeEEEZZNS1_27merge_sort_block_merge_implIS3_N6thrust23THRUST_200600_302600_NS6detail15normal_iteratorINS9_10device_ptrIsEEEEPS5_jNS1_19radix_merge_compareILb0ELb1EsNS0_19identity_decomposerEEEEE10hipError_tT0_T1_T2_jT3_P12ihipStream_tbPNSt15iterator_traitsISK_E10value_typeEPNSQ_ISL_E10value_typeEPSM_NS1_7vsmem_tEENKUlT_SK_SL_SM_E_clIPsSE_SF_SF_EESJ_SZ_SK_SL_SM_EUlSZ_E1_NS1_11comp_targetILNS1_3genE2ELNS1_11target_archE906ELNS1_3gpuE6ELNS1_3repE0EEENS1_36merge_oddeven_config_static_selectorELNS0_4arch9wavefront6targetE1EEEvSL_,"axG",@progbits,_ZN7rocprim17ROCPRIM_400000_NS6detail17trampoline_kernelINS0_14default_configENS1_38merge_sort_block_merge_config_selectorIsNS0_10empty_typeEEEZZNS1_27merge_sort_block_merge_implIS3_N6thrust23THRUST_200600_302600_NS6detail15normal_iteratorINS9_10device_ptrIsEEEEPS5_jNS1_19radix_merge_compareILb0ELb1EsNS0_19identity_decomposerEEEEE10hipError_tT0_T1_T2_jT3_P12ihipStream_tbPNSt15iterator_traitsISK_E10value_typeEPNSQ_ISL_E10value_typeEPSM_NS1_7vsmem_tEENKUlT_SK_SL_SM_E_clIPsSE_SF_SF_EESJ_SZ_SK_SL_SM_EUlSZ_E1_NS1_11comp_targetILNS1_3genE2ELNS1_11target_archE906ELNS1_3gpuE6ELNS1_3repE0EEENS1_36merge_oddeven_config_static_selectorELNS0_4arch9wavefront6targetE1EEEvSL_,comdat
	.protected	_ZN7rocprim17ROCPRIM_400000_NS6detail17trampoline_kernelINS0_14default_configENS1_38merge_sort_block_merge_config_selectorIsNS0_10empty_typeEEEZZNS1_27merge_sort_block_merge_implIS3_N6thrust23THRUST_200600_302600_NS6detail15normal_iteratorINS9_10device_ptrIsEEEEPS5_jNS1_19radix_merge_compareILb0ELb1EsNS0_19identity_decomposerEEEEE10hipError_tT0_T1_T2_jT3_P12ihipStream_tbPNSt15iterator_traitsISK_E10value_typeEPNSQ_ISL_E10value_typeEPSM_NS1_7vsmem_tEENKUlT_SK_SL_SM_E_clIPsSE_SF_SF_EESJ_SZ_SK_SL_SM_EUlSZ_E1_NS1_11comp_targetILNS1_3genE2ELNS1_11target_archE906ELNS1_3gpuE6ELNS1_3repE0EEENS1_36merge_oddeven_config_static_selectorELNS0_4arch9wavefront6targetE1EEEvSL_ ; -- Begin function _ZN7rocprim17ROCPRIM_400000_NS6detail17trampoline_kernelINS0_14default_configENS1_38merge_sort_block_merge_config_selectorIsNS0_10empty_typeEEEZZNS1_27merge_sort_block_merge_implIS3_N6thrust23THRUST_200600_302600_NS6detail15normal_iteratorINS9_10device_ptrIsEEEEPS5_jNS1_19radix_merge_compareILb0ELb1EsNS0_19identity_decomposerEEEEE10hipError_tT0_T1_T2_jT3_P12ihipStream_tbPNSt15iterator_traitsISK_E10value_typeEPNSQ_ISL_E10value_typeEPSM_NS1_7vsmem_tEENKUlT_SK_SL_SM_E_clIPsSE_SF_SF_EESJ_SZ_SK_SL_SM_EUlSZ_E1_NS1_11comp_targetILNS1_3genE2ELNS1_11target_archE906ELNS1_3gpuE6ELNS1_3repE0EEENS1_36merge_oddeven_config_static_selectorELNS0_4arch9wavefront6targetE1EEEvSL_
	.globl	_ZN7rocprim17ROCPRIM_400000_NS6detail17trampoline_kernelINS0_14default_configENS1_38merge_sort_block_merge_config_selectorIsNS0_10empty_typeEEEZZNS1_27merge_sort_block_merge_implIS3_N6thrust23THRUST_200600_302600_NS6detail15normal_iteratorINS9_10device_ptrIsEEEEPS5_jNS1_19radix_merge_compareILb0ELb1EsNS0_19identity_decomposerEEEEE10hipError_tT0_T1_T2_jT3_P12ihipStream_tbPNSt15iterator_traitsISK_E10value_typeEPNSQ_ISL_E10value_typeEPSM_NS1_7vsmem_tEENKUlT_SK_SL_SM_E_clIPsSE_SF_SF_EESJ_SZ_SK_SL_SM_EUlSZ_E1_NS1_11comp_targetILNS1_3genE2ELNS1_11target_archE906ELNS1_3gpuE6ELNS1_3repE0EEENS1_36merge_oddeven_config_static_selectorELNS0_4arch9wavefront6targetE1EEEvSL_
	.p2align	8
	.type	_ZN7rocprim17ROCPRIM_400000_NS6detail17trampoline_kernelINS0_14default_configENS1_38merge_sort_block_merge_config_selectorIsNS0_10empty_typeEEEZZNS1_27merge_sort_block_merge_implIS3_N6thrust23THRUST_200600_302600_NS6detail15normal_iteratorINS9_10device_ptrIsEEEEPS5_jNS1_19radix_merge_compareILb0ELb1EsNS0_19identity_decomposerEEEEE10hipError_tT0_T1_T2_jT3_P12ihipStream_tbPNSt15iterator_traitsISK_E10value_typeEPNSQ_ISL_E10value_typeEPSM_NS1_7vsmem_tEENKUlT_SK_SL_SM_E_clIPsSE_SF_SF_EESJ_SZ_SK_SL_SM_EUlSZ_E1_NS1_11comp_targetILNS1_3genE2ELNS1_11target_archE906ELNS1_3gpuE6ELNS1_3repE0EEENS1_36merge_oddeven_config_static_selectorELNS0_4arch9wavefront6targetE1EEEvSL_,@function
_ZN7rocprim17ROCPRIM_400000_NS6detail17trampoline_kernelINS0_14default_configENS1_38merge_sort_block_merge_config_selectorIsNS0_10empty_typeEEEZZNS1_27merge_sort_block_merge_implIS3_N6thrust23THRUST_200600_302600_NS6detail15normal_iteratorINS9_10device_ptrIsEEEEPS5_jNS1_19radix_merge_compareILb0ELb1EsNS0_19identity_decomposerEEEEE10hipError_tT0_T1_T2_jT3_P12ihipStream_tbPNSt15iterator_traitsISK_E10value_typeEPNSQ_ISL_E10value_typeEPSM_NS1_7vsmem_tEENKUlT_SK_SL_SM_E_clIPsSE_SF_SF_EESJ_SZ_SK_SL_SM_EUlSZ_E1_NS1_11comp_targetILNS1_3genE2ELNS1_11target_archE906ELNS1_3gpuE6ELNS1_3repE0EEENS1_36merge_oddeven_config_static_selectorELNS0_4arch9wavefront6targetE1EEEvSL_: ; @_ZN7rocprim17ROCPRIM_400000_NS6detail17trampoline_kernelINS0_14default_configENS1_38merge_sort_block_merge_config_selectorIsNS0_10empty_typeEEEZZNS1_27merge_sort_block_merge_implIS3_N6thrust23THRUST_200600_302600_NS6detail15normal_iteratorINS9_10device_ptrIsEEEEPS5_jNS1_19radix_merge_compareILb0ELb1EsNS0_19identity_decomposerEEEEE10hipError_tT0_T1_T2_jT3_P12ihipStream_tbPNSt15iterator_traitsISK_E10value_typeEPNSQ_ISL_E10value_typeEPSM_NS1_7vsmem_tEENKUlT_SK_SL_SM_E_clIPsSE_SF_SF_EESJ_SZ_SK_SL_SM_EUlSZ_E1_NS1_11comp_targetILNS1_3genE2ELNS1_11target_archE906ELNS1_3gpuE6ELNS1_3repE0EEENS1_36merge_oddeven_config_static_selectorELNS0_4arch9wavefront6targetE1EEEvSL_
; %bb.0:
	.section	.rodata,"a",@progbits
	.p2align	6, 0x0
	.amdhsa_kernel _ZN7rocprim17ROCPRIM_400000_NS6detail17trampoline_kernelINS0_14default_configENS1_38merge_sort_block_merge_config_selectorIsNS0_10empty_typeEEEZZNS1_27merge_sort_block_merge_implIS3_N6thrust23THRUST_200600_302600_NS6detail15normal_iteratorINS9_10device_ptrIsEEEEPS5_jNS1_19radix_merge_compareILb0ELb1EsNS0_19identity_decomposerEEEEE10hipError_tT0_T1_T2_jT3_P12ihipStream_tbPNSt15iterator_traitsISK_E10value_typeEPNSQ_ISL_E10value_typeEPSM_NS1_7vsmem_tEENKUlT_SK_SL_SM_E_clIPsSE_SF_SF_EESJ_SZ_SK_SL_SM_EUlSZ_E1_NS1_11comp_targetILNS1_3genE2ELNS1_11target_archE906ELNS1_3gpuE6ELNS1_3repE0EEENS1_36merge_oddeven_config_static_selectorELNS0_4arch9wavefront6targetE1EEEvSL_
		.amdhsa_group_segment_fixed_size 0
		.amdhsa_private_segment_fixed_size 0
		.amdhsa_kernarg_size 48
		.amdhsa_user_sgpr_count 2
		.amdhsa_user_sgpr_dispatch_ptr 0
		.amdhsa_user_sgpr_queue_ptr 0
		.amdhsa_user_sgpr_kernarg_segment_ptr 1
		.amdhsa_user_sgpr_dispatch_id 0
		.amdhsa_user_sgpr_kernarg_preload_length 0
		.amdhsa_user_sgpr_kernarg_preload_offset 0
		.amdhsa_user_sgpr_private_segment_size 0
		.amdhsa_uses_dynamic_stack 0
		.amdhsa_enable_private_segment 0
		.amdhsa_system_sgpr_workgroup_id_x 1
		.amdhsa_system_sgpr_workgroup_id_y 0
		.amdhsa_system_sgpr_workgroup_id_z 0
		.amdhsa_system_sgpr_workgroup_info 0
		.amdhsa_system_vgpr_workitem_id 0
		.amdhsa_next_free_vgpr 1
		.amdhsa_next_free_sgpr 0
		.amdhsa_accum_offset 4
		.amdhsa_reserve_vcc 0
		.amdhsa_float_round_mode_32 0
		.amdhsa_float_round_mode_16_64 0
		.amdhsa_float_denorm_mode_32 3
		.amdhsa_float_denorm_mode_16_64 3
		.amdhsa_dx10_clamp 1
		.amdhsa_ieee_mode 1
		.amdhsa_fp16_overflow 0
		.amdhsa_tg_split 0
		.amdhsa_exception_fp_ieee_invalid_op 0
		.amdhsa_exception_fp_denorm_src 0
		.amdhsa_exception_fp_ieee_div_zero 0
		.amdhsa_exception_fp_ieee_overflow 0
		.amdhsa_exception_fp_ieee_underflow 0
		.amdhsa_exception_fp_ieee_inexact 0
		.amdhsa_exception_int_div_zero 0
	.end_amdhsa_kernel
	.section	.text._ZN7rocprim17ROCPRIM_400000_NS6detail17trampoline_kernelINS0_14default_configENS1_38merge_sort_block_merge_config_selectorIsNS0_10empty_typeEEEZZNS1_27merge_sort_block_merge_implIS3_N6thrust23THRUST_200600_302600_NS6detail15normal_iteratorINS9_10device_ptrIsEEEEPS5_jNS1_19radix_merge_compareILb0ELb1EsNS0_19identity_decomposerEEEEE10hipError_tT0_T1_T2_jT3_P12ihipStream_tbPNSt15iterator_traitsISK_E10value_typeEPNSQ_ISL_E10value_typeEPSM_NS1_7vsmem_tEENKUlT_SK_SL_SM_E_clIPsSE_SF_SF_EESJ_SZ_SK_SL_SM_EUlSZ_E1_NS1_11comp_targetILNS1_3genE2ELNS1_11target_archE906ELNS1_3gpuE6ELNS1_3repE0EEENS1_36merge_oddeven_config_static_selectorELNS0_4arch9wavefront6targetE1EEEvSL_,"axG",@progbits,_ZN7rocprim17ROCPRIM_400000_NS6detail17trampoline_kernelINS0_14default_configENS1_38merge_sort_block_merge_config_selectorIsNS0_10empty_typeEEEZZNS1_27merge_sort_block_merge_implIS3_N6thrust23THRUST_200600_302600_NS6detail15normal_iteratorINS9_10device_ptrIsEEEEPS5_jNS1_19radix_merge_compareILb0ELb1EsNS0_19identity_decomposerEEEEE10hipError_tT0_T1_T2_jT3_P12ihipStream_tbPNSt15iterator_traitsISK_E10value_typeEPNSQ_ISL_E10value_typeEPSM_NS1_7vsmem_tEENKUlT_SK_SL_SM_E_clIPsSE_SF_SF_EESJ_SZ_SK_SL_SM_EUlSZ_E1_NS1_11comp_targetILNS1_3genE2ELNS1_11target_archE906ELNS1_3gpuE6ELNS1_3repE0EEENS1_36merge_oddeven_config_static_selectorELNS0_4arch9wavefront6targetE1EEEvSL_,comdat
.Lfunc_end1896:
	.size	_ZN7rocprim17ROCPRIM_400000_NS6detail17trampoline_kernelINS0_14default_configENS1_38merge_sort_block_merge_config_selectorIsNS0_10empty_typeEEEZZNS1_27merge_sort_block_merge_implIS3_N6thrust23THRUST_200600_302600_NS6detail15normal_iteratorINS9_10device_ptrIsEEEEPS5_jNS1_19radix_merge_compareILb0ELb1EsNS0_19identity_decomposerEEEEE10hipError_tT0_T1_T2_jT3_P12ihipStream_tbPNSt15iterator_traitsISK_E10value_typeEPNSQ_ISL_E10value_typeEPSM_NS1_7vsmem_tEENKUlT_SK_SL_SM_E_clIPsSE_SF_SF_EESJ_SZ_SK_SL_SM_EUlSZ_E1_NS1_11comp_targetILNS1_3genE2ELNS1_11target_archE906ELNS1_3gpuE6ELNS1_3repE0EEENS1_36merge_oddeven_config_static_selectorELNS0_4arch9wavefront6targetE1EEEvSL_, .Lfunc_end1896-_ZN7rocprim17ROCPRIM_400000_NS6detail17trampoline_kernelINS0_14default_configENS1_38merge_sort_block_merge_config_selectorIsNS0_10empty_typeEEEZZNS1_27merge_sort_block_merge_implIS3_N6thrust23THRUST_200600_302600_NS6detail15normal_iteratorINS9_10device_ptrIsEEEEPS5_jNS1_19radix_merge_compareILb0ELb1EsNS0_19identity_decomposerEEEEE10hipError_tT0_T1_T2_jT3_P12ihipStream_tbPNSt15iterator_traitsISK_E10value_typeEPNSQ_ISL_E10value_typeEPSM_NS1_7vsmem_tEENKUlT_SK_SL_SM_E_clIPsSE_SF_SF_EESJ_SZ_SK_SL_SM_EUlSZ_E1_NS1_11comp_targetILNS1_3genE2ELNS1_11target_archE906ELNS1_3gpuE6ELNS1_3repE0EEENS1_36merge_oddeven_config_static_selectorELNS0_4arch9wavefront6targetE1EEEvSL_
                                        ; -- End function
	.section	.AMDGPU.csdata,"",@progbits
; Kernel info:
; codeLenInByte = 0
; NumSgprs: 6
; NumVgprs: 0
; NumAgprs: 0
; TotalNumVgprs: 0
; ScratchSize: 0
; MemoryBound: 0
; FloatMode: 240
; IeeeMode: 1
; LDSByteSize: 0 bytes/workgroup (compile time only)
; SGPRBlocks: 0
; VGPRBlocks: 0
; NumSGPRsForWavesPerEU: 6
; NumVGPRsForWavesPerEU: 1
; AccumOffset: 4
; Occupancy: 8
; WaveLimiterHint : 0
; COMPUTE_PGM_RSRC2:SCRATCH_EN: 0
; COMPUTE_PGM_RSRC2:USER_SGPR: 2
; COMPUTE_PGM_RSRC2:TRAP_HANDLER: 0
; COMPUTE_PGM_RSRC2:TGID_X_EN: 1
; COMPUTE_PGM_RSRC2:TGID_Y_EN: 0
; COMPUTE_PGM_RSRC2:TGID_Z_EN: 0
; COMPUTE_PGM_RSRC2:TIDIG_COMP_CNT: 0
; COMPUTE_PGM_RSRC3_GFX90A:ACCUM_OFFSET: 0
; COMPUTE_PGM_RSRC3_GFX90A:TG_SPLIT: 0
	.section	.text._ZN7rocprim17ROCPRIM_400000_NS6detail17trampoline_kernelINS0_14default_configENS1_38merge_sort_block_merge_config_selectorIsNS0_10empty_typeEEEZZNS1_27merge_sort_block_merge_implIS3_N6thrust23THRUST_200600_302600_NS6detail15normal_iteratorINS9_10device_ptrIsEEEEPS5_jNS1_19radix_merge_compareILb0ELb1EsNS0_19identity_decomposerEEEEE10hipError_tT0_T1_T2_jT3_P12ihipStream_tbPNSt15iterator_traitsISK_E10value_typeEPNSQ_ISL_E10value_typeEPSM_NS1_7vsmem_tEENKUlT_SK_SL_SM_E_clIPsSE_SF_SF_EESJ_SZ_SK_SL_SM_EUlSZ_E1_NS1_11comp_targetILNS1_3genE9ELNS1_11target_archE1100ELNS1_3gpuE3ELNS1_3repE0EEENS1_36merge_oddeven_config_static_selectorELNS0_4arch9wavefront6targetE1EEEvSL_,"axG",@progbits,_ZN7rocprim17ROCPRIM_400000_NS6detail17trampoline_kernelINS0_14default_configENS1_38merge_sort_block_merge_config_selectorIsNS0_10empty_typeEEEZZNS1_27merge_sort_block_merge_implIS3_N6thrust23THRUST_200600_302600_NS6detail15normal_iteratorINS9_10device_ptrIsEEEEPS5_jNS1_19radix_merge_compareILb0ELb1EsNS0_19identity_decomposerEEEEE10hipError_tT0_T1_T2_jT3_P12ihipStream_tbPNSt15iterator_traitsISK_E10value_typeEPNSQ_ISL_E10value_typeEPSM_NS1_7vsmem_tEENKUlT_SK_SL_SM_E_clIPsSE_SF_SF_EESJ_SZ_SK_SL_SM_EUlSZ_E1_NS1_11comp_targetILNS1_3genE9ELNS1_11target_archE1100ELNS1_3gpuE3ELNS1_3repE0EEENS1_36merge_oddeven_config_static_selectorELNS0_4arch9wavefront6targetE1EEEvSL_,comdat
	.protected	_ZN7rocprim17ROCPRIM_400000_NS6detail17trampoline_kernelINS0_14default_configENS1_38merge_sort_block_merge_config_selectorIsNS0_10empty_typeEEEZZNS1_27merge_sort_block_merge_implIS3_N6thrust23THRUST_200600_302600_NS6detail15normal_iteratorINS9_10device_ptrIsEEEEPS5_jNS1_19radix_merge_compareILb0ELb1EsNS0_19identity_decomposerEEEEE10hipError_tT0_T1_T2_jT3_P12ihipStream_tbPNSt15iterator_traitsISK_E10value_typeEPNSQ_ISL_E10value_typeEPSM_NS1_7vsmem_tEENKUlT_SK_SL_SM_E_clIPsSE_SF_SF_EESJ_SZ_SK_SL_SM_EUlSZ_E1_NS1_11comp_targetILNS1_3genE9ELNS1_11target_archE1100ELNS1_3gpuE3ELNS1_3repE0EEENS1_36merge_oddeven_config_static_selectorELNS0_4arch9wavefront6targetE1EEEvSL_ ; -- Begin function _ZN7rocprim17ROCPRIM_400000_NS6detail17trampoline_kernelINS0_14default_configENS1_38merge_sort_block_merge_config_selectorIsNS0_10empty_typeEEEZZNS1_27merge_sort_block_merge_implIS3_N6thrust23THRUST_200600_302600_NS6detail15normal_iteratorINS9_10device_ptrIsEEEEPS5_jNS1_19radix_merge_compareILb0ELb1EsNS0_19identity_decomposerEEEEE10hipError_tT0_T1_T2_jT3_P12ihipStream_tbPNSt15iterator_traitsISK_E10value_typeEPNSQ_ISL_E10value_typeEPSM_NS1_7vsmem_tEENKUlT_SK_SL_SM_E_clIPsSE_SF_SF_EESJ_SZ_SK_SL_SM_EUlSZ_E1_NS1_11comp_targetILNS1_3genE9ELNS1_11target_archE1100ELNS1_3gpuE3ELNS1_3repE0EEENS1_36merge_oddeven_config_static_selectorELNS0_4arch9wavefront6targetE1EEEvSL_
	.globl	_ZN7rocprim17ROCPRIM_400000_NS6detail17trampoline_kernelINS0_14default_configENS1_38merge_sort_block_merge_config_selectorIsNS0_10empty_typeEEEZZNS1_27merge_sort_block_merge_implIS3_N6thrust23THRUST_200600_302600_NS6detail15normal_iteratorINS9_10device_ptrIsEEEEPS5_jNS1_19radix_merge_compareILb0ELb1EsNS0_19identity_decomposerEEEEE10hipError_tT0_T1_T2_jT3_P12ihipStream_tbPNSt15iterator_traitsISK_E10value_typeEPNSQ_ISL_E10value_typeEPSM_NS1_7vsmem_tEENKUlT_SK_SL_SM_E_clIPsSE_SF_SF_EESJ_SZ_SK_SL_SM_EUlSZ_E1_NS1_11comp_targetILNS1_3genE9ELNS1_11target_archE1100ELNS1_3gpuE3ELNS1_3repE0EEENS1_36merge_oddeven_config_static_selectorELNS0_4arch9wavefront6targetE1EEEvSL_
	.p2align	8
	.type	_ZN7rocprim17ROCPRIM_400000_NS6detail17trampoline_kernelINS0_14default_configENS1_38merge_sort_block_merge_config_selectorIsNS0_10empty_typeEEEZZNS1_27merge_sort_block_merge_implIS3_N6thrust23THRUST_200600_302600_NS6detail15normal_iteratorINS9_10device_ptrIsEEEEPS5_jNS1_19radix_merge_compareILb0ELb1EsNS0_19identity_decomposerEEEEE10hipError_tT0_T1_T2_jT3_P12ihipStream_tbPNSt15iterator_traitsISK_E10value_typeEPNSQ_ISL_E10value_typeEPSM_NS1_7vsmem_tEENKUlT_SK_SL_SM_E_clIPsSE_SF_SF_EESJ_SZ_SK_SL_SM_EUlSZ_E1_NS1_11comp_targetILNS1_3genE9ELNS1_11target_archE1100ELNS1_3gpuE3ELNS1_3repE0EEENS1_36merge_oddeven_config_static_selectorELNS0_4arch9wavefront6targetE1EEEvSL_,@function
_ZN7rocprim17ROCPRIM_400000_NS6detail17trampoline_kernelINS0_14default_configENS1_38merge_sort_block_merge_config_selectorIsNS0_10empty_typeEEEZZNS1_27merge_sort_block_merge_implIS3_N6thrust23THRUST_200600_302600_NS6detail15normal_iteratorINS9_10device_ptrIsEEEEPS5_jNS1_19radix_merge_compareILb0ELb1EsNS0_19identity_decomposerEEEEE10hipError_tT0_T1_T2_jT3_P12ihipStream_tbPNSt15iterator_traitsISK_E10value_typeEPNSQ_ISL_E10value_typeEPSM_NS1_7vsmem_tEENKUlT_SK_SL_SM_E_clIPsSE_SF_SF_EESJ_SZ_SK_SL_SM_EUlSZ_E1_NS1_11comp_targetILNS1_3genE9ELNS1_11target_archE1100ELNS1_3gpuE3ELNS1_3repE0EEENS1_36merge_oddeven_config_static_selectorELNS0_4arch9wavefront6targetE1EEEvSL_: ; @_ZN7rocprim17ROCPRIM_400000_NS6detail17trampoline_kernelINS0_14default_configENS1_38merge_sort_block_merge_config_selectorIsNS0_10empty_typeEEEZZNS1_27merge_sort_block_merge_implIS3_N6thrust23THRUST_200600_302600_NS6detail15normal_iteratorINS9_10device_ptrIsEEEEPS5_jNS1_19radix_merge_compareILb0ELb1EsNS0_19identity_decomposerEEEEE10hipError_tT0_T1_T2_jT3_P12ihipStream_tbPNSt15iterator_traitsISK_E10value_typeEPNSQ_ISL_E10value_typeEPSM_NS1_7vsmem_tEENKUlT_SK_SL_SM_E_clIPsSE_SF_SF_EESJ_SZ_SK_SL_SM_EUlSZ_E1_NS1_11comp_targetILNS1_3genE9ELNS1_11target_archE1100ELNS1_3gpuE3ELNS1_3repE0EEENS1_36merge_oddeven_config_static_selectorELNS0_4arch9wavefront6targetE1EEEvSL_
; %bb.0:
	.section	.rodata,"a",@progbits
	.p2align	6, 0x0
	.amdhsa_kernel _ZN7rocprim17ROCPRIM_400000_NS6detail17trampoline_kernelINS0_14default_configENS1_38merge_sort_block_merge_config_selectorIsNS0_10empty_typeEEEZZNS1_27merge_sort_block_merge_implIS3_N6thrust23THRUST_200600_302600_NS6detail15normal_iteratorINS9_10device_ptrIsEEEEPS5_jNS1_19radix_merge_compareILb0ELb1EsNS0_19identity_decomposerEEEEE10hipError_tT0_T1_T2_jT3_P12ihipStream_tbPNSt15iterator_traitsISK_E10value_typeEPNSQ_ISL_E10value_typeEPSM_NS1_7vsmem_tEENKUlT_SK_SL_SM_E_clIPsSE_SF_SF_EESJ_SZ_SK_SL_SM_EUlSZ_E1_NS1_11comp_targetILNS1_3genE9ELNS1_11target_archE1100ELNS1_3gpuE3ELNS1_3repE0EEENS1_36merge_oddeven_config_static_selectorELNS0_4arch9wavefront6targetE1EEEvSL_
		.amdhsa_group_segment_fixed_size 0
		.amdhsa_private_segment_fixed_size 0
		.amdhsa_kernarg_size 48
		.amdhsa_user_sgpr_count 2
		.amdhsa_user_sgpr_dispatch_ptr 0
		.amdhsa_user_sgpr_queue_ptr 0
		.amdhsa_user_sgpr_kernarg_segment_ptr 1
		.amdhsa_user_sgpr_dispatch_id 0
		.amdhsa_user_sgpr_kernarg_preload_length 0
		.amdhsa_user_sgpr_kernarg_preload_offset 0
		.amdhsa_user_sgpr_private_segment_size 0
		.amdhsa_uses_dynamic_stack 0
		.amdhsa_enable_private_segment 0
		.amdhsa_system_sgpr_workgroup_id_x 1
		.amdhsa_system_sgpr_workgroup_id_y 0
		.amdhsa_system_sgpr_workgroup_id_z 0
		.amdhsa_system_sgpr_workgroup_info 0
		.amdhsa_system_vgpr_workitem_id 0
		.amdhsa_next_free_vgpr 1
		.amdhsa_next_free_sgpr 0
		.amdhsa_accum_offset 4
		.amdhsa_reserve_vcc 0
		.amdhsa_float_round_mode_32 0
		.amdhsa_float_round_mode_16_64 0
		.amdhsa_float_denorm_mode_32 3
		.amdhsa_float_denorm_mode_16_64 3
		.amdhsa_dx10_clamp 1
		.amdhsa_ieee_mode 1
		.amdhsa_fp16_overflow 0
		.amdhsa_tg_split 0
		.amdhsa_exception_fp_ieee_invalid_op 0
		.amdhsa_exception_fp_denorm_src 0
		.amdhsa_exception_fp_ieee_div_zero 0
		.amdhsa_exception_fp_ieee_overflow 0
		.amdhsa_exception_fp_ieee_underflow 0
		.amdhsa_exception_fp_ieee_inexact 0
		.amdhsa_exception_int_div_zero 0
	.end_amdhsa_kernel
	.section	.text._ZN7rocprim17ROCPRIM_400000_NS6detail17trampoline_kernelINS0_14default_configENS1_38merge_sort_block_merge_config_selectorIsNS0_10empty_typeEEEZZNS1_27merge_sort_block_merge_implIS3_N6thrust23THRUST_200600_302600_NS6detail15normal_iteratorINS9_10device_ptrIsEEEEPS5_jNS1_19radix_merge_compareILb0ELb1EsNS0_19identity_decomposerEEEEE10hipError_tT0_T1_T2_jT3_P12ihipStream_tbPNSt15iterator_traitsISK_E10value_typeEPNSQ_ISL_E10value_typeEPSM_NS1_7vsmem_tEENKUlT_SK_SL_SM_E_clIPsSE_SF_SF_EESJ_SZ_SK_SL_SM_EUlSZ_E1_NS1_11comp_targetILNS1_3genE9ELNS1_11target_archE1100ELNS1_3gpuE3ELNS1_3repE0EEENS1_36merge_oddeven_config_static_selectorELNS0_4arch9wavefront6targetE1EEEvSL_,"axG",@progbits,_ZN7rocprim17ROCPRIM_400000_NS6detail17trampoline_kernelINS0_14default_configENS1_38merge_sort_block_merge_config_selectorIsNS0_10empty_typeEEEZZNS1_27merge_sort_block_merge_implIS3_N6thrust23THRUST_200600_302600_NS6detail15normal_iteratorINS9_10device_ptrIsEEEEPS5_jNS1_19radix_merge_compareILb0ELb1EsNS0_19identity_decomposerEEEEE10hipError_tT0_T1_T2_jT3_P12ihipStream_tbPNSt15iterator_traitsISK_E10value_typeEPNSQ_ISL_E10value_typeEPSM_NS1_7vsmem_tEENKUlT_SK_SL_SM_E_clIPsSE_SF_SF_EESJ_SZ_SK_SL_SM_EUlSZ_E1_NS1_11comp_targetILNS1_3genE9ELNS1_11target_archE1100ELNS1_3gpuE3ELNS1_3repE0EEENS1_36merge_oddeven_config_static_selectorELNS0_4arch9wavefront6targetE1EEEvSL_,comdat
.Lfunc_end1897:
	.size	_ZN7rocprim17ROCPRIM_400000_NS6detail17trampoline_kernelINS0_14default_configENS1_38merge_sort_block_merge_config_selectorIsNS0_10empty_typeEEEZZNS1_27merge_sort_block_merge_implIS3_N6thrust23THRUST_200600_302600_NS6detail15normal_iteratorINS9_10device_ptrIsEEEEPS5_jNS1_19radix_merge_compareILb0ELb1EsNS0_19identity_decomposerEEEEE10hipError_tT0_T1_T2_jT3_P12ihipStream_tbPNSt15iterator_traitsISK_E10value_typeEPNSQ_ISL_E10value_typeEPSM_NS1_7vsmem_tEENKUlT_SK_SL_SM_E_clIPsSE_SF_SF_EESJ_SZ_SK_SL_SM_EUlSZ_E1_NS1_11comp_targetILNS1_3genE9ELNS1_11target_archE1100ELNS1_3gpuE3ELNS1_3repE0EEENS1_36merge_oddeven_config_static_selectorELNS0_4arch9wavefront6targetE1EEEvSL_, .Lfunc_end1897-_ZN7rocprim17ROCPRIM_400000_NS6detail17trampoline_kernelINS0_14default_configENS1_38merge_sort_block_merge_config_selectorIsNS0_10empty_typeEEEZZNS1_27merge_sort_block_merge_implIS3_N6thrust23THRUST_200600_302600_NS6detail15normal_iteratorINS9_10device_ptrIsEEEEPS5_jNS1_19radix_merge_compareILb0ELb1EsNS0_19identity_decomposerEEEEE10hipError_tT0_T1_T2_jT3_P12ihipStream_tbPNSt15iterator_traitsISK_E10value_typeEPNSQ_ISL_E10value_typeEPSM_NS1_7vsmem_tEENKUlT_SK_SL_SM_E_clIPsSE_SF_SF_EESJ_SZ_SK_SL_SM_EUlSZ_E1_NS1_11comp_targetILNS1_3genE9ELNS1_11target_archE1100ELNS1_3gpuE3ELNS1_3repE0EEENS1_36merge_oddeven_config_static_selectorELNS0_4arch9wavefront6targetE1EEEvSL_
                                        ; -- End function
	.section	.AMDGPU.csdata,"",@progbits
; Kernel info:
; codeLenInByte = 0
; NumSgprs: 6
; NumVgprs: 0
; NumAgprs: 0
; TotalNumVgprs: 0
; ScratchSize: 0
; MemoryBound: 0
; FloatMode: 240
; IeeeMode: 1
; LDSByteSize: 0 bytes/workgroup (compile time only)
; SGPRBlocks: 0
; VGPRBlocks: 0
; NumSGPRsForWavesPerEU: 6
; NumVGPRsForWavesPerEU: 1
; AccumOffset: 4
; Occupancy: 8
; WaveLimiterHint : 0
; COMPUTE_PGM_RSRC2:SCRATCH_EN: 0
; COMPUTE_PGM_RSRC2:USER_SGPR: 2
; COMPUTE_PGM_RSRC2:TRAP_HANDLER: 0
; COMPUTE_PGM_RSRC2:TGID_X_EN: 1
; COMPUTE_PGM_RSRC2:TGID_Y_EN: 0
; COMPUTE_PGM_RSRC2:TGID_Z_EN: 0
; COMPUTE_PGM_RSRC2:TIDIG_COMP_CNT: 0
; COMPUTE_PGM_RSRC3_GFX90A:ACCUM_OFFSET: 0
; COMPUTE_PGM_RSRC3_GFX90A:TG_SPLIT: 0
	.section	.text._ZN7rocprim17ROCPRIM_400000_NS6detail17trampoline_kernelINS0_14default_configENS1_38merge_sort_block_merge_config_selectorIsNS0_10empty_typeEEEZZNS1_27merge_sort_block_merge_implIS3_N6thrust23THRUST_200600_302600_NS6detail15normal_iteratorINS9_10device_ptrIsEEEEPS5_jNS1_19radix_merge_compareILb0ELb1EsNS0_19identity_decomposerEEEEE10hipError_tT0_T1_T2_jT3_P12ihipStream_tbPNSt15iterator_traitsISK_E10value_typeEPNSQ_ISL_E10value_typeEPSM_NS1_7vsmem_tEENKUlT_SK_SL_SM_E_clIPsSE_SF_SF_EESJ_SZ_SK_SL_SM_EUlSZ_E1_NS1_11comp_targetILNS1_3genE8ELNS1_11target_archE1030ELNS1_3gpuE2ELNS1_3repE0EEENS1_36merge_oddeven_config_static_selectorELNS0_4arch9wavefront6targetE1EEEvSL_,"axG",@progbits,_ZN7rocprim17ROCPRIM_400000_NS6detail17trampoline_kernelINS0_14default_configENS1_38merge_sort_block_merge_config_selectorIsNS0_10empty_typeEEEZZNS1_27merge_sort_block_merge_implIS3_N6thrust23THRUST_200600_302600_NS6detail15normal_iteratorINS9_10device_ptrIsEEEEPS5_jNS1_19radix_merge_compareILb0ELb1EsNS0_19identity_decomposerEEEEE10hipError_tT0_T1_T2_jT3_P12ihipStream_tbPNSt15iterator_traitsISK_E10value_typeEPNSQ_ISL_E10value_typeEPSM_NS1_7vsmem_tEENKUlT_SK_SL_SM_E_clIPsSE_SF_SF_EESJ_SZ_SK_SL_SM_EUlSZ_E1_NS1_11comp_targetILNS1_3genE8ELNS1_11target_archE1030ELNS1_3gpuE2ELNS1_3repE0EEENS1_36merge_oddeven_config_static_selectorELNS0_4arch9wavefront6targetE1EEEvSL_,comdat
	.protected	_ZN7rocprim17ROCPRIM_400000_NS6detail17trampoline_kernelINS0_14default_configENS1_38merge_sort_block_merge_config_selectorIsNS0_10empty_typeEEEZZNS1_27merge_sort_block_merge_implIS3_N6thrust23THRUST_200600_302600_NS6detail15normal_iteratorINS9_10device_ptrIsEEEEPS5_jNS1_19radix_merge_compareILb0ELb1EsNS0_19identity_decomposerEEEEE10hipError_tT0_T1_T2_jT3_P12ihipStream_tbPNSt15iterator_traitsISK_E10value_typeEPNSQ_ISL_E10value_typeEPSM_NS1_7vsmem_tEENKUlT_SK_SL_SM_E_clIPsSE_SF_SF_EESJ_SZ_SK_SL_SM_EUlSZ_E1_NS1_11comp_targetILNS1_3genE8ELNS1_11target_archE1030ELNS1_3gpuE2ELNS1_3repE0EEENS1_36merge_oddeven_config_static_selectorELNS0_4arch9wavefront6targetE1EEEvSL_ ; -- Begin function _ZN7rocprim17ROCPRIM_400000_NS6detail17trampoline_kernelINS0_14default_configENS1_38merge_sort_block_merge_config_selectorIsNS0_10empty_typeEEEZZNS1_27merge_sort_block_merge_implIS3_N6thrust23THRUST_200600_302600_NS6detail15normal_iteratorINS9_10device_ptrIsEEEEPS5_jNS1_19radix_merge_compareILb0ELb1EsNS0_19identity_decomposerEEEEE10hipError_tT0_T1_T2_jT3_P12ihipStream_tbPNSt15iterator_traitsISK_E10value_typeEPNSQ_ISL_E10value_typeEPSM_NS1_7vsmem_tEENKUlT_SK_SL_SM_E_clIPsSE_SF_SF_EESJ_SZ_SK_SL_SM_EUlSZ_E1_NS1_11comp_targetILNS1_3genE8ELNS1_11target_archE1030ELNS1_3gpuE2ELNS1_3repE0EEENS1_36merge_oddeven_config_static_selectorELNS0_4arch9wavefront6targetE1EEEvSL_
	.globl	_ZN7rocprim17ROCPRIM_400000_NS6detail17trampoline_kernelINS0_14default_configENS1_38merge_sort_block_merge_config_selectorIsNS0_10empty_typeEEEZZNS1_27merge_sort_block_merge_implIS3_N6thrust23THRUST_200600_302600_NS6detail15normal_iteratorINS9_10device_ptrIsEEEEPS5_jNS1_19radix_merge_compareILb0ELb1EsNS0_19identity_decomposerEEEEE10hipError_tT0_T1_T2_jT3_P12ihipStream_tbPNSt15iterator_traitsISK_E10value_typeEPNSQ_ISL_E10value_typeEPSM_NS1_7vsmem_tEENKUlT_SK_SL_SM_E_clIPsSE_SF_SF_EESJ_SZ_SK_SL_SM_EUlSZ_E1_NS1_11comp_targetILNS1_3genE8ELNS1_11target_archE1030ELNS1_3gpuE2ELNS1_3repE0EEENS1_36merge_oddeven_config_static_selectorELNS0_4arch9wavefront6targetE1EEEvSL_
	.p2align	8
	.type	_ZN7rocprim17ROCPRIM_400000_NS6detail17trampoline_kernelINS0_14default_configENS1_38merge_sort_block_merge_config_selectorIsNS0_10empty_typeEEEZZNS1_27merge_sort_block_merge_implIS3_N6thrust23THRUST_200600_302600_NS6detail15normal_iteratorINS9_10device_ptrIsEEEEPS5_jNS1_19radix_merge_compareILb0ELb1EsNS0_19identity_decomposerEEEEE10hipError_tT0_T1_T2_jT3_P12ihipStream_tbPNSt15iterator_traitsISK_E10value_typeEPNSQ_ISL_E10value_typeEPSM_NS1_7vsmem_tEENKUlT_SK_SL_SM_E_clIPsSE_SF_SF_EESJ_SZ_SK_SL_SM_EUlSZ_E1_NS1_11comp_targetILNS1_3genE8ELNS1_11target_archE1030ELNS1_3gpuE2ELNS1_3repE0EEENS1_36merge_oddeven_config_static_selectorELNS0_4arch9wavefront6targetE1EEEvSL_,@function
_ZN7rocprim17ROCPRIM_400000_NS6detail17trampoline_kernelINS0_14default_configENS1_38merge_sort_block_merge_config_selectorIsNS0_10empty_typeEEEZZNS1_27merge_sort_block_merge_implIS3_N6thrust23THRUST_200600_302600_NS6detail15normal_iteratorINS9_10device_ptrIsEEEEPS5_jNS1_19radix_merge_compareILb0ELb1EsNS0_19identity_decomposerEEEEE10hipError_tT0_T1_T2_jT3_P12ihipStream_tbPNSt15iterator_traitsISK_E10value_typeEPNSQ_ISL_E10value_typeEPSM_NS1_7vsmem_tEENKUlT_SK_SL_SM_E_clIPsSE_SF_SF_EESJ_SZ_SK_SL_SM_EUlSZ_E1_NS1_11comp_targetILNS1_3genE8ELNS1_11target_archE1030ELNS1_3gpuE2ELNS1_3repE0EEENS1_36merge_oddeven_config_static_selectorELNS0_4arch9wavefront6targetE1EEEvSL_: ; @_ZN7rocprim17ROCPRIM_400000_NS6detail17trampoline_kernelINS0_14default_configENS1_38merge_sort_block_merge_config_selectorIsNS0_10empty_typeEEEZZNS1_27merge_sort_block_merge_implIS3_N6thrust23THRUST_200600_302600_NS6detail15normal_iteratorINS9_10device_ptrIsEEEEPS5_jNS1_19radix_merge_compareILb0ELb1EsNS0_19identity_decomposerEEEEE10hipError_tT0_T1_T2_jT3_P12ihipStream_tbPNSt15iterator_traitsISK_E10value_typeEPNSQ_ISL_E10value_typeEPSM_NS1_7vsmem_tEENKUlT_SK_SL_SM_E_clIPsSE_SF_SF_EESJ_SZ_SK_SL_SM_EUlSZ_E1_NS1_11comp_targetILNS1_3genE8ELNS1_11target_archE1030ELNS1_3gpuE2ELNS1_3repE0EEENS1_36merge_oddeven_config_static_selectorELNS0_4arch9wavefront6targetE1EEEvSL_
; %bb.0:
	.section	.rodata,"a",@progbits
	.p2align	6, 0x0
	.amdhsa_kernel _ZN7rocprim17ROCPRIM_400000_NS6detail17trampoline_kernelINS0_14default_configENS1_38merge_sort_block_merge_config_selectorIsNS0_10empty_typeEEEZZNS1_27merge_sort_block_merge_implIS3_N6thrust23THRUST_200600_302600_NS6detail15normal_iteratorINS9_10device_ptrIsEEEEPS5_jNS1_19radix_merge_compareILb0ELb1EsNS0_19identity_decomposerEEEEE10hipError_tT0_T1_T2_jT3_P12ihipStream_tbPNSt15iterator_traitsISK_E10value_typeEPNSQ_ISL_E10value_typeEPSM_NS1_7vsmem_tEENKUlT_SK_SL_SM_E_clIPsSE_SF_SF_EESJ_SZ_SK_SL_SM_EUlSZ_E1_NS1_11comp_targetILNS1_3genE8ELNS1_11target_archE1030ELNS1_3gpuE2ELNS1_3repE0EEENS1_36merge_oddeven_config_static_selectorELNS0_4arch9wavefront6targetE1EEEvSL_
		.amdhsa_group_segment_fixed_size 0
		.amdhsa_private_segment_fixed_size 0
		.amdhsa_kernarg_size 48
		.amdhsa_user_sgpr_count 2
		.amdhsa_user_sgpr_dispatch_ptr 0
		.amdhsa_user_sgpr_queue_ptr 0
		.amdhsa_user_sgpr_kernarg_segment_ptr 1
		.amdhsa_user_sgpr_dispatch_id 0
		.amdhsa_user_sgpr_kernarg_preload_length 0
		.amdhsa_user_sgpr_kernarg_preload_offset 0
		.amdhsa_user_sgpr_private_segment_size 0
		.amdhsa_uses_dynamic_stack 0
		.amdhsa_enable_private_segment 0
		.amdhsa_system_sgpr_workgroup_id_x 1
		.amdhsa_system_sgpr_workgroup_id_y 0
		.amdhsa_system_sgpr_workgroup_id_z 0
		.amdhsa_system_sgpr_workgroup_info 0
		.amdhsa_system_vgpr_workitem_id 0
		.amdhsa_next_free_vgpr 1
		.amdhsa_next_free_sgpr 0
		.amdhsa_accum_offset 4
		.amdhsa_reserve_vcc 0
		.amdhsa_float_round_mode_32 0
		.amdhsa_float_round_mode_16_64 0
		.amdhsa_float_denorm_mode_32 3
		.amdhsa_float_denorm_mode_16_64 3
		.amdhsa_dx10_clamp 1
		.amdhsa_ieee_mode 1
		.amdhsa_fp16_overflow 0
		.amdhsa_tg_split 0
		.amdhsa_exception_fp_ieee_invalid_op 0
		.amdhsa_exception_fp_denorm_src 0
		.amdhsa_exception_fp_ieee_div_zero 0
		.amdhsa_exception_fp_ieee_overflow 0
		.amdhsa_exception_fp_ieee_underflow 0
		.amdhsa_exception_fp_ieee_inexact 0
		.amdhsa_exception_int_div_zero 0
	.end_amdhsa_kernel
	.section	.text._ZN7rocprim17ROCPRIM_400000_NS6detail17trampoline_kernelINS0_14default_configENS1_38merge_sort_block_merge_config_selectorIsNS0_10empty_typeEEEZZNS1_27merge_sort_block_merge_implIS3_N6thrust23THRUST_200600_302600_NS6detail15normal_iteratorINS9_10device_ptrIsEEEEPS5_jNS1_19radix_merge_compareILb0ELb1EsNS0_19identity_decomposerEEEEE10hipError_tT0_T1_T2_jT3_P12ihipStream_tbPNSt15iterator_traitsISK_E10value_typeEPNSQ_ISL_E10value_typeEPSM_NS1_7vsmem_tEENKUlT_SK_SL_SM_E_clIPsSE_SF_SF_EESJ_SZ_SK_SL_SM_EUlSZ_E1_NS1_11comp_targetILNS1_3genE8ELNS1_11target_archE1030ELNS1_3gpuE2ELNS1_3repE0EEENS1_36merge_oddeven_config_static_selectorELNS0_4arch9wavefront6targetE1EEEvSL_,"axG",@progbits,_ZN7rocprim17ROCPRIM_400000_NS6detail17trampoline_kernelINS0_14default_configENS1_38merge_sort_block_merge_config_selectorIsNS0_10empty_typeEEEZZNS1_27merge_sort_block_merge_implIS3_N6thrust23THRUST_200600_302600_NS6detail15normal_iteratorINS9_10device_ptrIsEEEEPS5_jNS1_19radix_merge_compareILb0ELb1EsNS0_19identity_decomposerEEEEE10hipError_tT0_T1_T2_jT3_P12ihipStream_tbPNSt15iterator_traitsISK_E10value_typeEPNSQ_ISL_E10value_typeEPSM_NS1_7vsmem_tEENKUlT_SK_SL_SM_E_clIPsSE_SF_SF_EESJ_SZ_SK_SL_SM_EUlSZ_E1_NS1_11comp_targetILNS1_3genE8ELNS1_11target_archE1030ELNS1_3gpuE2ELNS1_3repE0EEENS1_36merge_oddeven_config_static_selectorELNS0_4arch9wavefront6targetE1EEEvSL_,comdat
.Lfunc_end1898:
	.size	_ZN7rocprim17ROCPRIM_400000_NS6detail17trampoline_kernelINS0_14default_configENS1_38merge_sort_block_merge_config_selectorIsNS0_10empty_typeEEEZZNS1_27merge_sort_block_merge_implIS3_N6thrust23THRUST_200600_302600_NS6detail15normal_iteratorINS9_10device_ptrIsEEEEPS5_jNS1_19radix_merge_compareILb0ELb1EsNS0_19identity_decomposerEEEEE10hipError_tT0_T1_T2_jT3_P12ihipStream_tbPNSt15iterator_traitsISK_E10value_typeEPNSQ_ISL_E10value_typeEPSM_NS1_7vsmem_tEENKUlT_SK_SL_SM_E_clIPsSE_SF_SF_EESJ_SZ_SK_SL_SM_EUlSZ_E1_NS1_11comp_targetILNS1_3genE8ELNS1_11target_archE1030ELNS1_3gpuE2ELNS1_3repE0EEENS1_36merge_oddeven_config_static_selectorELNS0_4arch9wavefront6targetE1EEEvSL_, .Lfunc_end1898-_ZN7rocprim17ROCPRIM_400000_NS6detail17trampoline_kernelINS0_14default_configENS1_38merge_sort_block_merge_config_selectorIsNS0_10empty_typeEEEZZNS1_27merge_sort_block_merge_implIS3_N6thrust23THRUST_200600_302600_NS6detail15normal_iteratorINS9_10device_ptrIsEEEEPS5_jNS1_19radix_merge_compareILb0ELb1EsNS0_19identity_decomposerEEEEE10hipError_tT0_T1_T2_jT3_P12ihipStream_tbPNSt15iterator_traitsISK_E10value_typeEPNSQ_ISL_E10value_typeEPSM_NS1_7vsmem_tEENKUlT_SK_SL_SM_E_clIPsSE_SF_SF_EESJ_SZ_SK_SL_SM_EUlSZ_E1_NS1_11comp_targetILNS1_3genE8ELNS1_11target_archE1030ELNS1_3gpuE2ELNS1_3repE0EEENS1_36merge_oddeven_config_static_selectorELNS0_4arch9wavefront6targetE1EEEvSL_
                                        ; -- End function
	.section	.AMDGPU.csdata,"",@progbits
; Kernel info:
; codeLenInByte = 0
; NumSgprs: 6
; NumVgprs: 0
; NumAgprs: 0
; TotalNumVgprs: 0
; ScratchSize: 0
; MemoryBound: 0
; FloatMode: 240
; IeeeMode: 1
; LDSByteSize: 0 bytes/workgroup (compile time only)
; SGPRBlocks: 0
; VGPRBlocks: 0
; NumSGPRsForWavesPerEU: 6
; NumVGPRsForWavesPerEU: 1
; AccumOffset: 4
; Occupancy: 8
; WaveLimiterHint : 0
; COMPUTE_PGM_RSRC2:SCRATCH_EN: 0
; COMPUTE_PGM_RSRC2:USER_SGPR: 2
; COMPUTE_PGM_RSRC2:TRAP_HANDLER: 0
; COMPUTE_PGM_RSRC2:TGID_X_EN: 1
; COMPUTE_PGM_RSRC2:TGID_Y_EN: 0
; COMPUTE_PGM_RSRC2:TGID_Z_EN: 0
; COMPUTE_PGM_RSRC2:TIDIG_COMP_CNT: 0
; COMPUTE_PGM_RSRC3_GFX90A:ACCUM_OFFSET: 0
; COMPUTE_PGM_RSRC3_GFX90A:TG_SPLIT: 0
	.section	.text._ZN7rocprim17ROCPRIM_400000_NS6detail17trampoline_kernelINS0_14default_configENS1_38merge_sort_block_merge_config_selectorIsNS0_10empty_typeEEEZZNS1_27merge_sort_block_merge_implIS3_N6thrust23THRUST_200600_302600_NS6detail15normal_iteratorINS9_10device_ptrIsEEEEPS5_jNS1_19radix_merge_compareILb0ELb1EsNS0_19identity_decomposerEEEEE10hipError_tT0_T1_T2_jT3_P12ihipStream_tbPNSt15iterator_traitsISK_E10value_typeEPNSQ_ISL_E10value_typeEPSM_NS1_7vsmem_tEENKUlT_SK_SL_SM_E_clISE_PsSF_SF_EESJ_SZ_SK_SL_SM_EUlSZ_E_NS1_11comp_targetILNS1_3genE0ELNS1_11target_archE4294967295ELNS1_3gpuE0ELNS1_3repE0EEENS1_48merge_mergepath_partition_config_static_selectorELNS0_4arch9wavefront6targetE1EEEvSL_,"axG",@progbits,_ZN7rocprim17ROCPRIM_400000_NS6detail17trampoline_kernelINS0_14default_configENS1_38merge_sort_block_merge_config_selectorIsNS0_10empty_typeEEEZZNS1_27merge_sort_block_merge_implIS3_N6thrust23THRUST_200600_302600_NS6detail15normal_iteratorINS9_10device_ptrIsEEEEPS5_jNS1_19radix_merge_compareILb0ELb1EsNS0_19identity_decomposerEEEEE10hipError_tT0_T1_T2_jT3_P12ihipStream_tbPNSt15iterator_traitsISK_E10value_typeEPNSQ_ISL_E10value_typeEPSM_NS1_7vsmem_tEENKUlT_SK_SL_SM_E_clISE_PsSF_SF_EESJ_SZ_SK_SL_SM_EUlSZ_E_NS1_11comp_targetILNS1_3genE0ELNS1_11target_archE4294967295ELNS1_3gpuE0ELNS1_3repE0EEENS1_48merge_mergepath_partition_config_static_selectorELNS0_4arch9wavefront6targetE1EEEvSL_,comdat
	.protected	_ZN7rocprim17ROCPRIM_400000_NS6detail17trampoline_kernelINS0_14default_configENS1_38merge_sort_block_merge_config_selectorIsNS0_10empty_typeEEEZZNS1_27merge_sort_block_merge_implIS3_N6thrust23THRUST_200600_302600_NS6detail15normal_iteratorINS9_10device_ptrIsEEEEPS5_jNS1_19radix_merge_compareILb0ELb1EsNS0_19identity_decomposerEEEEE10hipError_tT0_T1_T2_jT3_P12ihipStream_tbPNSt15iterator_traitsISK_E10value_typeEPNSQ_ISL_E10value_typeEPSM_NS1_7vsmem_tEENKUlT_SK_SL_SM_E_clISE_PsSF_SF_EESJ_SZ_SK_SL_SM_EUlSZ_E_NS1_11comp_targetILNS1_3genE0ELNS1_11target_archE4294967295ELNS1_3gpuE0ELNS1_3repE0EEENS1_48merge_mergepath_partition_config_static_selectorELNS0_4arch9wavefront6targetE1EEEvSL_ ; -- Begin function _ZN7rocprim17ROCPRIM_400000_NS6detail17trampoline_kernelINS0_14default_configENS1_38merge_sort_block_merge_config_selectorIsNS0_10empty_typeEEEZZNS1_27merge_sort_block_merge_implIS3_N6thrust23THRUST_200600_302600_NS6detail15normal_iteratorINS9_10device_ptrIsEEEEPS5_jNS1_19radix_merge_compareILb0ELb1EsNS0_19identity_decomposerEEEEE10hipError_tT0_T1_T2_jT3_P12ihipStream_tbPNSt15iterator_traitsISK_E10value_typeEPNSQ_ISL_E10value_typeEPSM_NS1_7vsmem_tEENKUlT_SK_SL_SM_E_clISE_PsSF_SF_EESJ_SZ_SK_SL_SM_EUlSZ_E_NS1_11comp_targetILNS1_3genE0ELNS1_11target_archE4294967295ELNS1_3gpuE0ELNS1_3repE0EEENS1_48merge_mergepath_partition_config_static_selectorELNS0_4arch9wavefront6targetE1EEEvSL_
	.globl	_ZN7rocprim17ROCPRIM_400000_NS6detail17trampoline_kernelINS0_14default_configENS1_38merge_sort_block_merge_config_selectorIsNS0_10empty_typeEEEZZNS1_27merge_sort_block_merge_implIS3_N6thrust23THRUST_200600_302600_NS6detail15normal_iteratorINS9_10device_ptrIsEEEEPS5_jNS1_19radix_merge_compareILb0ELb1EsNS0_19identity_decomposerEEEEE10hipError_tT0_T1_T2_jT3_P12ihipStream_tbPNSt15iterator_traitsISK_E10value_typeEPNSQ_ISL_E10value_typeEPSM_NS1_7vsmem_tEENKUlT_SK_SL_SM_E_clISE_PsSF_SF_EESJ_SZ_SK_SL_SM_EUlSZ_E_NS1_11comp_targetILNS1_3genE0ELNS1_11target_archE4294967295ELNS1_3gpuE0ELNS1_3repE0EEENS1_48merge_mergepath_partition_config_static_selectorELNS0_4arch9wavefront6targetE1EEEvSL_
	.p2align	8
	.type	_ZN7rocprim17ROCPRIM_400000_NS6detail17trampoline_kernelINS0_14default_configENS1_38merge_sort_block_merge_config_selectorIsNS0_10empty_typeEEEZZNS1_27merge_sort_block_merge_implIS3_N6thrust23THRUST_200600_302600_NS6detail15normal_iteratorINS9_10device_ptrIsEEEEPS5_jNS1_19radix_merge_compareILb0ELb1EsNS0_19identity_decomposerEEEEE10hipError_tT0_T1_T2_jT3_P12ihipStream_tbPNSt15iterator_traitsISK_E10value_typeEPNSQ_ISL_E10value_typeEPSM_NS1_7vsmem_tEENKUlT_SK_SL_SM_E_clISE_PsSF_SF_EESJ_SZ_SK_SL_SM_EUlSZ_E_NS1_11comp_targetILNS1_3genE0ELNS1_11target_archE4294967295ELNS1_3gpuE0ELNS1_3repE0EEENS1_48merge_mergepath_partition_config_static_selectorELNS0_4arch9wavefront6targetE1EEEvSL_,@function
_ZN7rocprim17ROCPRIM_400000_NS6detail17trampoline_kernelINS0_14default_configENS1_38merge_sort_block_merge_config_selectorIsNS0_10empty_typeEEEZZNS1_27merge_sort_block_merge_implIS3_N6thrust23THRUST_200600_302600_NS6detail15normal_iteratorINS9_10device_ptrIsEEEEPS5_jNS1_19radix_merge_compareILb0ELb1EsNS0_19identity_decomposerEEEEE10hipError_tT0_T1_T2_jT3_P12ihipStream_tbPNSt15iterator_traitsISK_E10value_typeEPNSQ_ISL_E10value_typeEPSM_NS1_7vsmem_tEENKUlT_SK_SL_SM_E_clISE_PsSF_SF_EESJ_SZ_SK_SL_SM_EUlSZ_E_NS1_11comp_targetILNS1_3genE0ELNS1_11target_archE4294967295ELNS1_3gpuE0ELNS1_3repE0EEENS1_48merge_mergepath_partition_config_static_selectorELNS0_4arch9wavefront6targetE1EEEvSL_: ; @_ZN7rocprim17ROCPRIM_400000_NS6detail17trampoline_kernelINS0_14default_configENS1_38merge_sort_block_merge_config_selectorIsNS0_10empty_typeEEEZZNS1_27merge_sort_block_merge_implIS3_N6thrust23THRUST_200600_302600_NS6detail15normal_iteratorINS9_10device_ptrIsEEEEPS5_jNS1_19radix_merge_compareILb0ELb1EsNS0_19identity_decomposerEEEEE10hipError_tT0_T1_T2_jT3_P12ihipStream_tbPNSt15iterator_traitsISK_E10value_typeEPNSQ_ISL_E10value_typeEPSM_NS1_7vsmem_tEENKUlT_SK_SL_SM_E_clISE_PsSF_SF_EESJ_SZ_SK_SL_SM_EUlSZ_E_NS1_11comp_targetILNS1_3genE0ELNS1_11target_archE4294967295ELNS1_3gpuE0ELNS1_3repE0EEENS1_48merge_mergepath_partition_config_static_selectorELNS0_4arch9wavefront6targetE1EEEvSL_
; %bb.0:
	.section	.rodata,"a",@progbits
	.p2align	6, 0x0
	.amdhsa_kernel _ZN7rocprim17ROCPRIM_400000_NS6detail17trampoline_kernelINS0_14default_configENS1_38merge_sort_block_merge_config_selectorIsNS0_10empty_typeEEEZZNS1_27merge_sort_block_merge_implIS3_N6thrust23THRUST_200600_302600_NS6detail15normal_iteratorINS9_10device_ptrIsEEEEPS5_jNS1_19radix_merge_compareILb0ELb1EsNS0_19identity_decomposerEEEEE10hipError_tT0_T1_T2_jT3_P12ihipStream_tbPNSt15iterator_traitsISK_E10value_typeEPNSQ_ISL_E10value_typeEPSM_NS1_7vsmem_tEENKUlT_SK_SL_SM_E_clISE_PsSF_SF_EESJ_SZ_SK_SL_SM_EUlSZ_E_NS1_11comp_targetILNS1_3genE0ELNS1_11target_archE4294967295ELNS1_3gpuE0ELNS1_3repE0EEENS1_48merge_mergepath_partition_config_static_selectorELNS0_4arch9wavefront6targetE1EEEvSL_
		.amdhsa_group_segment_fixed_size 0
		.amdhsa_private_segment_fixed_size 0
		.amdhsa_kernarg_size 40
		.amdhsa_user_sgpr_count 2
		.amdhsa_user_sgpr_dispatch_ptr 0
		.amdhsa_user_sgpr_queue_ptr 0
		.amdhsa_user_sgpr_kernarg_segment_ptr 1
		.amdhsa_user_sgpr_dispatch_id 0
		.amdhsa_user_sgpr_kernarg_preload_length 0
		.amdhsa_user_sgpr_kernarg_preload_offset 0
		.amdhsa_user_sgpr_private_segment_size 0
		.amdhsa_uses_dynamic_stack 0
		.amdhsa_enable_private_segment 0
		.amdhsa_system_sgpr_workgroup_id_x 1
		.amdhsa_system_sgpr_workgroup_id_y 0
		.amdhsa_system_sgpr_workgroup_id_z 0
		.amdhsa_system_sgpr_workgroup_info 0
		.amdhsa_system_vgpr_workitem_id 0
		.amdhsa_next_free_vgpr 1
		.amdhsa_next_free_sgpr 0
		.amdhsa_accum_offset 4
		.amdhsa_reserve_vcc 0
		.amdhsa_float_round_mode_32 0
		.amdhsa_float_round_mode_16_64 0
		.amdhsa_float_denorm_mode_32 3
		.amdhsa_float_denorm_mode_16_64 3
		.amdhsa_dx10_clamp 1
		.amdhsa_ieee_mode 1
		.amdhsa_fp16_overflow 0
		.amdhsa_tg_split 0
		.amdhsa_exception_fp_ieee_invalid_op 0
		.amdhsa_exception_fp_denorm_src 0
		.amdhsa_exception_fp_ieee_div_zero 0
		.amdhsa_exception_fp_ieee_overflow 0
		.amdhsa_exception_fp_ieee_underflow 0
		.amdhsa_exception_fp_ieee_inexact 0
		.amdhsa_exception_int_div_zero 0
	.end_amdhsa_kernel
	.section	.text._ZN7rocprim17ROCPRIM_400000_NS6detail17trampoline_kernelINS0_14default_configENS1_38merge_sort_block_merge_config_selectorIsNS0_10empty_typeEEEZZNS1_27merge_sort_block_merge_implIS3_N6thrust23THRUST_200600_302600_NS6detail15normal_iteratorINS9_10device_ptrIsEEEEPS5_jNS1_19radix_merge_compareILb0ELb1EsNS0_19identity_decomposerEEEEE10hipError_tT0_T1_T2_jT3_P12ihipStream_tbPNSt15iterator_traitsISK_E10value_typeEPNSQ_ISL_E10value_typeEPSM_NS1_7vsmem_tEENKUlT_SK_SL_SM_E_clISE_PsSF_SF_EESJ_SZ_SK_SL_SM_EUlSZ_E_NS1_11comp_targetILNS1_3genE0ELNS1_11target_archE4294967295ELNS1_3gpuE0ELNS1_3repE0EEENS1_48merge_mergepath_partition_config_static_selectorELNS0_4arch9wavefront6targetE1EEEvSL_,"axG",@progbits,_ZN7rocprim17ROCPRIM_400000_NS6detail17trampoline_kernelINS0_14default_configENS1_38merge_sort_block_merge_config_selectorIsNS0_10empty_typeEEEZZNS1_27merge_sort_block_merge_implIS3_N6thrust23THRUST_200600_302600_NS6detail15normal_iteratorINS9_10device_ptrIsEEEEPS5_jNS1_19radix_merge_compareILb0ELb1EsNS0_19identity_decomposerEEEEE10hipError_tT0_T1_T2_jT3_P12ihipStream_tbPNSt15iterator_traitsISK_E10value_typeEPNSQ_ISL_E10value_typeEPSM_NS1_7vsmem_tEENKUlT_SK_SL_SM_E_clISE_PsSF_SF_EESJ_SZ_SK_SL_SM_EUlSZ_E_NS1_11comp_targetILNS1_3genE0ELNS1_11target_archE4294967295ELNS1_3gpuE0ELNS1_3repE0EEENS1_48merge_mergepath_partition_config_static_selectorELNS0_4arch9wavefront6targetE1EEEvSL_,comdat
.Lfunc_end1899:
	.size	_ZN7rocprim17ROCPRIM_400000_NS6detail17trampoline_kernelINS0_14default_configENS1_38merge_sort_block_merge_config_selectorIsNS0_10empty_typeEEEZZNS1_27merge_sort_block_merge_implIS3_N6thrust23THRUST_200600_302600_NS6detail15normal_iteratorINS9_10device_ptrIsEEEEPS5_jNS1_19radix_merge_compareILb0ELb1EsNS0_19identity_decomposerEEEEE10hipError_tT0_T1_T2_jT3_P12ihipStream_tbPNSt15iterator_traitsISK_E10value_typeEPNSQ_ISL_E10value_typeEPSM_NS1_7vsmem_tEENKUlT_SK_SL_SM_E_clISE_PsSF_SF_EESJ_SZ_SK_SL_SM_EUlSZ_E_NS1_11comp_targetILNS1_3genE0ELNS1_11target_archE4294967295ELNS1_3gpuE0ELNS1_3repE0EEENS1_48merge_mergepath_partition_config_static_selectorELNS0_4arch9wavefront6targetE1EEEvSL_, .Lfunc_end1899-_ZN7rocprim17ROCPRIM_400000_NS6detail17trampoline_kernelINS0_14default_configENS1_38merge_sort_block_merge_config_selectorIsNS0_10empty_typeEEEZZNS1_27merge_sort_block_merge_implIS3_N6thrust23THRUST_200600_302600_NS6detail15normal_iteratorINS9_10device_ptrIsEEEEPS5_jNS1_19radix_merge_compareILb0ELb1EsNS0_19identity_decomposerEEEEE10hipError_tT0_T1_T2_jT3_P12ihipStream_tbPNSt15iterator_traitsISK_E10value_typeEPNSQ_ISL_E10value_typeEPSM_NS1_7vsmem_tEENKUlT_SK_SL_SM_E_clISE_PsSF_SF_EESJ_SZ_SK_SL_SM_EUlSZ_E_NS1_11comp_targetILNS1_3genE0ELNS1_11target_archE4294967295ELNS1_3gpuE0ELNS1_3repE0EEENS1_48merge_mergepath_partition_config_static_selectorELNS0_4arch9wavefront6targetE1EEEvSL_
                                        ; -- End function
	.section	.AMDGPU.csdata,"",@progbits
; Kernel info:
; codeLenInByte = 0
; NumSgprs: 6
; NumVgprs: 0
; NumAgprs: 0
; TotalNumVgprs: 0
; ScratchSize: 0
; MemoryBound: 0
; FloatMode: 240
; IeeeMode: 1
; LDSByteSize: 0 bytes/workgroup (compile time only)
; SGPRBlocks: 0
; VGPRBlocks: 0
; NumSGPRsForWavesPerEU: 6
; NumVGPRsForWavesPerEU: 1
; AccumOffset: 4
; Occupancy: 8
; WaveLimiterHint : 0
; COMPUTE_PGM_RSRC2:SCRATCH_EN: 0
; COMPUTE_PGM_RSRC2:USER_SGPR: 2
; COMPUTE_PGM_RSRC2:TRAP_HANDLER: 0
; COMPUTE_PGM_RSRC2:TGID_X_EN: 1
; COMPUTE_PGM_RSRC2:TGID_Y_EN: 0
; COMPUTE_PGM_RSRC2:TGID_Z_EN: 0
; COMPUTE_PGM_RSRC2:TIDIG_COMP_CNT: 0
; COMPUTE_PGM_RSRC3_GFX90A:ACCUM_OFFSET: 0
; COMPUTE_PGM_RSRC3_GFX90A:TG_SPLIT: 0
	.section	.text._ZN7rocprim17ROCPRIM_400000_NS6detail17trampoline_kernelINS0_14default_configENS1_38merge_sort_block_merge_config_selectorIsNS0_10empty_typeEEEZZNS1_27merge_sort_block_merge_implIS3_N6thrust23THRUST_200600_302600_NS6detail15normal_iteratorINS9_10device_ptrIsEEEEPS5_jNS1_19radix_merge_compareILb0ELb1EsNS0_19identity_decomposerEEEEE10hipError_tT0_T1_T2_jT3_P12ihipStream_tbPNSt15iterator_traitsISK_E10value_typeEPNSQ_ISL_E10value_typeEPSM_NS1_7vsmem_tEENKUlT_SK_SL_SM_E_clISE_PsSF_SF_EESJ_SZ_SK_SL_SM_EUlSZ_E_NS1_11comp_targetILNS1_3genE10ELNS1_11target_archE1201ELNS1_3gpuE5ELNS1_3repE0EEENS1_48merge_mergepath_partition_config_static_selectorELNS0_4arch9wavefront6targetE1EEEvSL_,"axG",@progbits,_ZN7rocprim17ROCPRIM_400000_NS6detail17trampoline_kernelINS0_14default_configENS1_38merge_sort_block_merge_config_selectorIsNS0_10empty_typeEEEZZNS1_27merge_sort_block_merge_implIS3_N6thrust23THRUST_200600_302600_NS6detail15normal_iteratorINS9_10device_ptrIsEEEEPS5_jNS1_19radix_merge_compareILb0ELb1EsNS0_19identity_decomposerEEEEE10hipError_tT0_T1_T2_jT3_P12ihipStream_tbPNSt15iterator_traitsISK_E10value_typeEPNSQ_ISL_E10value_typeEPSM_NS1_7vsmem_tEENKUlT_SK_SL_SM_E_clISE_PsSF_SF_EESJ_SZ_SK_SL_SM_EUlSZ_E_NS1_11comp_targetILNS1_3genE10ELNS1_11target_archE1201ELNS1_3gpuE5ELNS1_3repE0EEENS1_48merge_mergepath_partition_config_static_selectorELNS0_4arch9wavefront6targetE1EEEvSL_,comdat
	.protected	_ZN7rocprim17ROCPRIM_400000_NS6detail17trampoline_kernelINS0_14default_configENS1_38merge_sort_block_merge_config_selectorIsNS0_10empty_typeEEEZZNS1_27merge_sort_block_merge_implIS3_N6thrust23THRUST_200600_302600_NS6detail15normal_iteratorINS9_10device_ptrIsEEEEPS5_jNS1_19radix_merge_compareILb0ELb1EsNS0_19identity_decomposerEEEEE10hipError_tT0_T1_T2_jT3_P12ihipStream_tbPNSt15iterator_traitsISK_E10value_typeEPNSQ_ISL_E10value_typeEPSM_NS1_7vsmem_tEENKUlT_SK_SL_SM_E_clISE_PsSF_SF_EESJ_SZ_SK_SL_SM_EUlSZ_E_NS1_11comp_targetILNS1_3genE10ELNS1_11target_archE1201ELNS1_3gpuE5ELNS1_3repE0EEENS1_48merge_mergepath_partition_config_static_selectorELNS0_4arch9wavefront6targetE1EEEvSL_ ; -- Begin function _ZN7rocprim17ROCPRIM_400000_NS6detail17trampoline_kernelINS0_14default_configENS1_38merge_sort_block_merge_config_selectorIsNS0_10empty_typeEEEZZNS1_27merge_sort_block_merge_implIS3_N6thrust23THRUST_200600_302600_NS6detail15normal_iteratorINS9_10device_ptrIsEEEEPS5_jNS1_19radix_merge_compareILb0ELb1EsNS0_19identity_decomposerEEEEE10hipError_tT0_T1_T2_jT3_P12ihipStream_tbPNSt15iterator_traitsISK_E10value_typeEPNSQ_ISL_E10value_typeEPSM_NS1_7vsmem_tEENKUlT_SK_SL_SM_E_clISE_PsSF_SF_EESJ_SZ_SK_SL_SM_EUlSZ_E_NS1_11comp_targetILNS1_3genE10ELNS1_11target_archE1201ELNS1_3gpuE5ELNS1_3repE0EEENS1_48merge_mergepath_partition_config_static_selectorELNS0_4arch9wavefront6targetE1EEEvSL_
	.globl	_ZN7rocprim17ROCPRIM_400000_NS6detail17trampoline_kernelINS0_14default_configENS1_38merge_sort_block_merge_config_selectorIsNS0_10empty_typeEEEZZNS1_27merge_sort_block_merge_implIS3_N6thrust23THRUST_200600_302600_NS6detail15normal_iteratorINS9_10device_ptrIsEEEEPS5_jNS1_19radix_merge_compareILb0ELb1EsNS0_19identity_decomposerEEEEE10hipError_tT0_T1_T2_jT3_P12ihipStream_tbPNSt15iterator_traitsISK_E10value_typeEPNSQ_ISL_E10value_typeEPSM_NS1_7vsmem_tEENKUlT_SK_SL_SM_E_clISE_PsSF_SF_EESJ_SZ_SK_SL_SM_EUlSZ_E_NS1_11comp_targetILNS1_3genE10ELNS1_11target_archE1201ELNS1_3gpuE5ELNS1_3repE0EEENS1_48merge_mergepath_partition_config_static_selectorELNS0_4arch9wavefront6targetE1EEEvSL_
	.p2align	8
	.type	_ZN7rocprim17ROCPRIM_400000_NS6detail17trampoline_kernelINS0_14default_configENS1_38merge_sort_block_merge_config_selectorIsNS0_10empty_typeEEEZZNS1_27merge_sort_block_merge_implIS3_N6thrust23THRUST_200600_302600_NS6detail15normal_iteratorINS9_10device_ptrIsEEEEPS5_jNS1_19radix_merge_compareILb0ELb1EsNS0_19identity_decomposerEEEEE10hipError_tT0_T1_T2_jT3_P12ihipStream_tbPNSt15iterator_traitsISK_E10value_typeEPNSQ_ISL_E10value_typeEPSM_NS1_7vsmem_tEENKUlT_SK_SL_SM_E_clISE_PsSF_SF_EESJ_SZ_SK_SL_SM_EUlSZ_E_NS1_11comp_targetILNS1_3genE10ELNS1_11target_archE1201ELNS1_3gpuE5ELNS1_3repE0EEENS1_48merge_mergepath_partition_config_static_selectorELNS0_4arch9wavefront6targetE1EEEvSL_,@function
_ZN7rocprim17ROCPRIM_400000_NS6detail17trampoline_kernelINS0_14default_configENS1_38merge_sort_block_merge_config_selectorIsNS0_10empty_typeEEEZZNS1_27merge_sort_block_merge_implIS3_N6thrust23THRUST_200600_302600_NS6detail15normal_iteratorINS9_10device_ptrIsEEEEPS5_jNS1_19radix_merge_compareILb0ELb1EsNS0_19identity_decomposerEEEEE10hipError_tT0_T1_T2_jT3_P12ihipStream_tbPNSt15iterator_traitsISK_E10value_typeEPNSQ_ISL_E10value_typeEPSM_NS1_7vsmem_tEENKUlT_SK_SL_SM_E_clISE_PsSF_SF_EESJ_SZ_SK_SL_SM_EUlSZ_E_NS1_11comp_targetILNS1_3genE10ELNS1_11target_archE1201ELNS1_3gpuE5ELNS1_3repE0EEENS1_48merge_mergepath_partition_config_static_selectorELNS0_4arch9wavefront6targetE1EEEvSL_: ; @_ZN7rocprim17ROCPRIM_400000_NS6detail17trampoline_kernelINS0_14default_configENS1_38merge_sort_block_merge_config_selectorIsNS0_10empty_typeEEEZZNS1_27merge_sort_block_merge_implIS3_N6thrust23THRUST_200600_302600_NS6detail15normal_iteratorINS9_10device_ptrIsEEEEPS5_jNS1_19radix_merge_compareILb0ELb1EsNS0_19identity_decomposerEEEEE10hipError_tT0_T1_T2_jT3_P12ihipStream_tbPNSt15iterator_traitsISK_E10value_typeEPNSQ_ISL_E10value_typeEPSM_NS1_7vsmem_tEENKUlT_SK_SL_SM_E_clISE_PsSF_SF_EESJ_SZ_SK_SL_SM_EUlSZ_E_NS1_11comp_targetILNS1_3genE10ELNS1_11target_archE1201ELNS1_3gpuE5ELNS1_3repE0EEENS1_48merge_mergepath_partition_config_static_selectorELNS0_4arch9wavefront6targetE1EEEvSL_
; %bb.0:
	.section	.rodata,"a",@progbits
	.p2align	6, 0x0
	.amdhsa_kernel _ZN7rocprim17ROCPRIM_400000_NS6detail17trampoline_kernelINS0_14default_configENS1_38merge_sort_block_merge_config_selectorIsNS0_10empty_typeEEEZZNS1_27merge_sort_block_merge_implIS3_N6thrust23THRUST_200600_302600_NS6detail15normal_iteratorINS9_10device_ptrIsEEEEPS5_jNS1_19radix_merge_compareILb0ELb1EsNS0_19identity_decomposerEEEEE10hipError_tT0_T1_T2_jT3_P12ihipStream_tbPNSt15iterator_traitsISK_E10value_typeEPNSQ_ISL_E10value_typeEPSM_NS1_7vsmem_tEENKUlT_SK_SL_SM_E_clISE_PsSF_SF_EESJ_SZ_SK_SL_SM_EUlSZ_E_NS1_11comp_targetILNS1_3genE10ELNS1_11target_archE1201ELNS1_3gpuE5ELNS1_3repE0EEENS1_48merge_mergepath_partition_config_static_selectorELNS0_4arch9wavefront6targetE1EEEvSL_
		.amdhsa_group_segment_fixed_size 0
		.amdhsa_private_segment_fixed_size 0
		.amdhsa_kernarg_size 40
		.amdhsa_user_sgpr_count 2
		.amdhsa_user_sgpr_dispatch_ptr 0
		.amdhsa_user_sgpr_queue_ptr 0
		.amdhsa_user_sgpr_kernarg_segment_ptr 1
		.amdhsa_user_sgpr_dispatch_id 0
		.amdhsa_user_sgpr_kernarg_preload_length 0
		.amdhsa_user_sgpr_kernarg_preload_offset 0
		.amdhsa_user_sgpr_private_segment_size 0
		.amdhsa_uses_dynamic_stack 0
		.amdhsa_enable_private_segment 0
		.amdhsa_system_sgpr_workgroup_id_x 1
		.amdhsa_system_sgpr_workgroup_id_y 0
		.amdhsa_system_sgpr_workgroup_id_z 0
		.amdhsa_system_sgpr_workgroup_info 0
		.amdhsa_system_vgpr_workitem_id 0
		.amdhsa_next_free_vgpr 1
		.amdhsa_next_free_sgpr 0
		.amdhsa_accum_offset 4
		.amdhsa_reserve_vcc 0
		.amdhsa_float_round_mode_32 0
		.amdhsa_float_round_mode_16_64 0
		.amdhsa_float_denorm_mode_32 3
		.amdhsa_float_denorm_mode_16_64 3
		.amdhsa_dx10_clamp 1
		.amdhsa_ieee_mode 1
		.amdhsa_fp16_overflow 0
		.amdhsa_tg_split 0
		.amdhsa_exception_fp_ieee_invalid_op 0
		.amdhsa_exception_fp_denorm_src 0
		.amdhsa_exception_fp_ieee_div_zero 0
		.amdhsa_exception_fp_ieee_overflow 0
		.amdhsa_exception_fp_ieee_underflow 0
		.amdhsa_exception_fp_ieee_inexact 0
		.amdhsa_exception_int_div_zero 0
	.end_amdhsa_kernel
	.section	.text._ZN7rocprim17ROCPRIM_400000_NS6detail17trampoline_kernelINS0_14default_configENS1_38merge_sort_block_merge_config_selectorIsNS0_10empty_typeEEEZZNS1_27merge_sort_block_merge_implIS3_N6thrust23THRUST_200600_302600_NS6detail15normal_iteratorINS9_10device_ptrIsEEEEPS5_jNS1_19radix_merge_compareILb0ELb1EsNS0_19identity_decomposerEEEEE10hipError_tT0_T1_T2_jT3_P12ihipStream_tbPNSt15iterator_traitsISK_E10value_typeEPNSQ_ISL_E10value_typeEPSM_NS1_7vsmem_tEENKUlT_SK_SL_SM_E_clISE_PsSF_SF_EESJ_SZ_SK_SL_SM_EUlSZ_E_NS1_11comp_targetILNS1_3genE10ELNS1_11target_archE1201ELNS1_3gpuE5ELNS1_3repE0EEENS1_48merge_mergepath_partition_config_static_selectorELNS0_4arch9wavefront6targetE1EEEvSL_,"axG",@progbits,_ZN7rocprim17ROCPRIM_400000_NS6detail17trampoline_kernelINS0_14default_configENS1_38merge_sort_block_merge_config_selectorIsNS0_10empty_typeEEEZZNS1_27merge_sort_block_merge_implIS3_N6thrust23THRUST_200600_302600_NS6detail15normal_iteratorINS9_10device_ptrIsEEEEPS5_jNS1_19radix_merge_compareILb0ELb1EsNS0_19identity_decomposerEEEEE10hipError_tT0_T1_T2_jT3_P12ihipStream_tbPNSt15iterator_traitsISK_E10value_typeEPNSQ_ISL_E10value_typeEPSM_NS1_7vsmem_tEENKUlT_SK_SL_SM_E_clISE_PsSF_SF_EESJ_SZ_SK_SL_SM_EUlSZ_E_NS1_11comp_targetILNS1_3genE10ELNS1_11target_archE1201ELNS1_3gpuE5ELNS1_3repE0EEENS1_48merge_mergepath_partition_config_static_selectorELNS0_4arch9wavefront6targetE1EEEvSL_,comdat
.Lfunc_end1900:
	.size	_ZN7rocprim17ROCPRIM_400000_NS6detail17trampoline_kernelINS0_14default_configENS1_38merge_sort_block_merge_config_selectorIsNS0_10empty_typeEEEZZNS1_27merge_sort_block_merge_implIS3_N6thrust23THRUST_200600_302600_NS6detail15normal_iteratorINS9_10device_ptrIsEEEEPS5_jNS1_19radix_merge_compareILb0ELb1EsNS0_19identity_decomposerEEEEE10hipError_tT0_T1_T2_jT3_P12ihipStream_tbPNSt15iterator_traitsISK_E10value_typeEPNSQ_ISL_E10value_typeEPSM_NS1_7vsmem_tEENKUlT_SK_SL_SM_E_clISE_PsSF_SF_EESJ_SZ_SK_SL_SM_EUlSZ_E_NS1_11comp_targetILNS1_3genE10ELNS1_11target_archE1201ELNS1_3gpuE5ELNS1_3repE0EEENS1_48merge_mergepath_partition_config_static_selectorELNS0_4arch9wavefront6targetE1EEEvSL_, .Lfunc_end1900-_ZN7rocprim17ROCPRIM_400000_NS6detail17trampoline_kernelINS0_14default_configENS1_38merge_sort_block_merge_config_selectorIsNS0_10empty_typeEEEZZNS1_27merge_sort_block_merge_implIS3_N6thrust23THRUST_200600_302600_NS6detail15normal_iteratorINS9_10device_ptrIsEEEEPS5_jNS1_19radix_merge_compareILb0ELb1EsNS0_19identity_decomposerEEEEE10hipError_tT0_T1_T2_jT3_P12ihipStream_tbPNSt15iterator_traitsISK_E10value_typeEPNSQ_ISL_E10value_typeEPSM_NS1_7vsmem_tEENKUlT_SK_SL_SM_E_clISE_PsSF_SF_EESJ_SZ_SK_SL_SM_EUlSZ_E_NS1_11comp_targetILNS1_3genE10ELNS1_11target_archE1201ELNS1_3gpuE5ELNS1_3repE0EEENS1_48merge_mergepath_partition_config_static_selectorELNS0_4arch9wavefront6targetE1EEEvSL_
                                        ; -- End function
	.section	.AMDGPU.csdata,"",@progbits
; Kernel info:
; codeLenInByte = 0
; NumSgprs: 6
; NumVgprs: 0
; NumAgprs: 0
; TotalNumVgprs: 0
; ScratchSize: 0
; MemoryBound: 0
; FloatMode: 240
; IeeeMode: 1
; LDSByteSize: 0 bytes/workgroup (compile time only)
; SGPRBlocks: 0
; VGPRBlocks: 0
; NumSGPRsForWavesPerEU: 6
; NumVGPRsForWavesPerEU: 1
; AccumOffset: 4
; Occupancy: 8
; WaveLimiterHint : 0
; COMPUTE_PGM_RSRC2:SCRATCH_EN: 0
; COMPUTE_PGM_RSRC2:USER_SGPR: 2
; COMPUTE_PGM_RSRC2:TRAP_HANDLER: 0
; COMPUTE_PGM_RSRC2:TGID_X_EN: 1
; COMPUTE_PGM_RSRC2:TGID_Y_EN: 0
; COMPUTE_PGM_RSRC2:TGID_Z_EN: 0
; COMPUTE_PGM_RSRC2:TIDIG_COMP_CNT: 0
; COMPUTE_PGM_RSRC3_GFX90A:ACCUM_OFFSET: 0
; COMPUTE_PGM_RSRC3_GFX90A:TG_SPLIT: 0
	.section	.text._ZN7rocprim17ROCPRIM_400000_NS6detail17trampoline_kernelINS0_14default_configENS1_38merge_sort_block_merge_config_selectorIsNS0_10empty_typeEEEZZNS1_27merge_sort_block_merge_implIS3_N6thrust23THRUST_200600_302600_NS6detail15normal_iteratorINS9_10device_ptrIsEEEEPS5_jNS1_19radix_merge_compareILb0ELb1EsNS0_19identity_decomposerEEEEE10hipError_tT0_T1_T2_jT3_P12ihipStream_tbPNSt15iterator_traitsISK_E10value_typeEPNSQ_ISL_E10value_typeEPSM_NS1_7vsmem_tEENKUlT_SK_SL_SM_E_clISE_PsSF_SF_EESJ_SZ_SK_SL_SM_EUlSZ_E_NS1_11comp_targetILNS1_3genE5ELNS1_11target_archE942ELNS1_3gpuE9ELNS1_3repE0EEENS1_48merge_mergepath_partition_config_static_selectorELNS0_4arch9wavefront6targetE1EEEvSL_,"axG",@progbits,_ZN7rocprim17ROCPRIM_400000_NS6detail17trampoline_kernelINS0_14default_configENS1_38merge_sort_block_merge_config_selectorIsNS0_10empty_typeEEEZZNS1_27merge_sort_block_merge_implIS3_N6thrust23THRUST_200600_302600_NS6detail15normal_iteratorINS9_10device_ptrIsEEEEPS5_jNS1_19radix_merge_compareILb0ELb1EsNS0_19identity_decomposerEEEEE10hipError_tT0_T1_T2_jT3_P12ihipStream_tbPNSt15iterator_traitsISK_E10value_typeEPNSQ_ISL_E10value_typeEPSM_NS1_7vsmem_tEENKUlT_SK_SL_SM_E_clISE_PsSF_SF_EESJ_SZ_SK_SL_SM_EUlSZ_E_NS1_11comp_targetILNS1_3genE5ELNS1_11target_archE942ELNS1_3gpuE9ELNS1_3repE0EEENS1_48merge_mergepath_partition_config_static_selectorELNS0_4arch9wavefront6targetE1EEEvSL_,comdat
	.protected	_ZN7rocprim17ROCPRIM_400000_NS6detail17trampoline_kernelINS0_14default_configENS1_38merge_sort_block_merge_config_selectorIsNS0_10empty_typeEEEZZNS1_27merge_sort_block_merge_implIS3_N6thrust23THRUST_200600_302600_NS6detail15normal_iteratorINS9_10device_ptrIsEEEEPS5_jNS1_19radix_merge_compareILb0ELb1EsNS0_19identity_decomposerEEEEE10hipError_tT0_T1_T2_jT3_P12ihipStream_tbPNSt15iterator_traitsISK_E10value_typeEPNSQ_ISL_E10value_typeEPSM_NS1_7vsmem_tEENKUlT_SK_SL_SM_E_clISE_PsSF_SF_EESJ_SZ_SK_SL_SM_EUlSZ_E_NS1_11comp_targetILNS1_3genE5ELNS1_11target_archE942ELNS1_3gpuE9ELNS1_3repE0EEENS1_48merge_mergepath_partition_config_static_selectorELNS0_4arch9wavefront6targetE1EEEvSL_ ; -- Begin function _ZN7rocprim17ROCPRIM_400000_NS6detail17trampoline_kernelINS0_14default_configENS1_38merge_sort_block_merge_config_selectorIsNS0_10empty_typeEEEZZNS1_27merge_sort_block_merge_implIS3_N6thrust23THRUST_200600_302600_NS6detail15normal_iteratorINS9_10device_ptrIsEEEEPS5_jNS1_19radix_merge_compareILb0ELb1EsNS0_19identity_decomposerEEEEE10hipError_tT0_T1_T2_jT3_P12ihipStream_tbPNSt15iterator_traitsISK_E10value_typeEPNSQ_ISL_E10value_typeEPSM_NS1_7vsmem_tEENKUlT_SK_SL_SM_E_clISE_PsSF_SF_EESJ_SZ_SK_SL_SM_EUlSZ_E_NS1_11comp_targetILNS1_3genE5ELNS1_11target_archE942ELNS1_3gpuE9ELNS1_3repE0EEENS1_48merge_mergepath_partition_config_static_selectorELNS0_4arch9wavefront6targetE1EEEvSL_
	.globl	_ZN7rocprim17ROCPRIM_400000_NS6detail17trampoline_kernelINS0_14default_configENS1_38merge_sort_block_merge_config_selectorIsNS0_10empty_typeEEEZZNS1_27merge_sort_block_merge_implIS3_N6thrust23THRUST_200600_302600_NS6detail15normal_iteratorINS9_10device_ptrIsEEEEPS5_jNS1_19radix_merge_compareILb0ELb1EsNS0_19identity_decomposerEEEEE10hipError_tT0_T1_T2_jT3_P12ihipStream_tbPNSt15iterator_traitsISK_E10value_typeEPNSQ_ISL_E10value_typeEPSM_NS1_7vsmem_tEENKUlT_SK_SL_SM_E_clISE_PsSF_SF_EESJ_SZ_SK_SL_SM_EUlSZ_E_NS1_11comp_targetILNS1_3genE5ELNS1_11target_archE942ELNS1_3gpuE9ELNS1_3repE0EEENS1_48merge_mergepath_partition_config_static_selectorELNS0_4arch9wavefront6targetE1EEEvSL_
	.p2align	8
	.type	_ZN7rocprim17ROCPRIM_400000_NS6detail17trampoline_kernelINS0_14default_configENS1_38merge_sort_block_merge_config_selectorIsNS0_10empty_typeEEEZZNS1_27merge_sort_block_merge_implIS3_N6thrust23THRUST_200600_302600_NS6detail15normal_iteratorINS9_10device_ptrIsEEEEPS5_jNS1_19radix_merge_compareILb0ELb1EsNS0_19identity_decomposerEEEEE10hipError_tT0_T1_T2_jT3_P12ihipStream_tbPNSt15iterator_traitsISK_E10value_typeEPNSQ_ISL_E10value_typeEPSM_NS1_7vsmem_tEENKUlT_SK_SL_SM_E_clISE_PsSF_SF_EESJ_SZ_SK_SL_SM_EUlSZ_E_NS1_11comp_targetILNS1_3genE5ELNS1_11target_archE942ELNS1_3gpuE9ELNS1_3repE0EEENS1_48merge_mergepath_partition_config_static_selectorELNS0_4arch9wavefront6targetE1EEEvSL_,@function
_ZN7rocprim17ROCPRIM_400000_NS6detail17trampoline_kernelINS0_14default_configENS1_38merge_sort_block_merge_config_selectorIsNS0_10empty_typeEEEZZNS1_27merge_sort_block_merge_implIS3_N6thrust23THRUST_200600_302600_NS6detail15normal_iteratorINS9_10device_ptrIsEEEEPS5_jNS1_19radix_merge_compareILb0ELb1EsNS0_19identity_decomposerEEEEE10hipError_tT0_T1_T2_jT3_P12ihipStream_tbPNSt15iterator_traitsISK_E10value_typeEPNSQ_ISL_E10value_typeEPSM_NS1_7vsmem_tEENKUlT_SK_SL_SM_E_clISE_PsSF_SF_EESJ_SZ_SK_SL_SM_EUlSZ_E_NS1_11comp_targetILNS1_3genE5ELNS1_11target_archE942ELNS1_3gpuE9ELNS1_3repE0EEENS1_48merge_mergepath_partition_config_static_selectorELNS0_4arch9wavefront6targetE1EEEvSL_: ; @_ZN7rocprim17ROCPRIM_400000_NS6detail17trampoline_kernelINS0_14default_configENS1_38merge_sort_block_merge_config_selectorIsNS0_10empty_typeEEEZZNS1_27merge_sort_block_merge_implIS3_N6thrust23THRUST_200600_302600_NS6detail15normal_iteratorINS9_10device_ptrIsEEEEPS5_jNS1_19radix_merge_compareILb0ELb1EsNS0_19identity_decomposerEEEEE10hipError_tT0_T1_T2_jT3_P12ihipStream_tbPNSt15iterator_traitsISK_E10value_typeEPNSQ_ISL_E10value_typeEPSM_NS1_7vsmem_tEENKUlT_SK_SL_SM_E_clISE_PsSF_SF_EESJ_SZ_SK_SL_SM_EUlSZ_E_NS1_11comp_targetILNS1_3genE5ELNS1_11target_archE942ELNS1_3gpuE9ELNS1_3repE0EEENS1_48merge_mergepath_partition_config_static_selectorELNS0_4arch9wavefront6targetE1EEEvSL_
; %bb.0:
	s_load_dword s3, s[0:1], 0x0
	v_lshl_or_b32 v0, s2, 7, v0
	s_waitcnt lgkmcnt(0)
	v_cmp_gt_u32_e32 vcc, s3, v0
	s_and_saveexec_b64 s[2:3], vcc
	s_cbranch_execz .LBB1901_6
; %bb.1:
	s_load_dwordx2 s[4:5], s[0:1], 0x4
	s_load_dwordx2 s[2:3], s[0:1], 0x20
	s_waitcnt lgkmcnt(0)
	s_lshr_b32 s6, s4, 9
	s_and_b32 s6, s6, 0x7ffffe
	s_add_i32 s7, s6, -1
	s_sub_i32 s6, 0, s6
	v_and_b32_e32 v1, s6, v0
	v_lshlrev_b32_e32 v1, 10, v1
	v_min_u32_e32 v2, s5, v1
	v_add_u32_e32 v1, s4, v1
	v_min_u32_e32 v4, s5, v1
	v_add_u32_e32 v1, s4, v4
	v_and_b32_e32 v3, s7, v0
	v_min_u32_e32 v1, s5, v1
	v_sub_u32_e32 v5, v1, v2
	v_lshlrev_b32_e32 v3, 10, v3
	v_min_u32_e32 v10, v5, v3
	v_sub_u32_e32 v3, v4, v2
	v_sub_u32_e32 v1, v1, v4
	v_sub_u32_e64 v1, v10, v1 clamp
	v_min_u32_e32 v11, v10, v3
	v_cmp_lt_u32_e32 vcc, v1, v11
	s_and_saveexec_b64 s[4:5], vcc
	s_cbranch_execz .LBB1901_5
; %bb.2:
	s_load_dwordx2 s[8:9], s[0:1], 0x10
	s_load_dword s6, s[0:1], 0x18
	v_mov_b32_e32 v5, 0
	v_mov_b32_e32 v3, v5
	s_mov_b64 s[0:1], 0
	s_waitcnt lgkmcnt(0)
	v_lshl_add_u64 v[6:7], v[2:3], 1, s[8:9]
	v_lshl_add_u64 v[8:9], v[4:5], 1, s[8:9]
.LBB1901_3:                             ; =>This Inner Loop Header: Depth=1
	v_add_u32_e32 v3, v11, v1
	v_lshrrev_b32_e32 v16, 1, v3
	v_and_b32_e32 v4, -2, v3
	v_mov_b32_e32 v13, v5
	v_xad_u32 v12, v16, -1, v10
	v_lshl_add_u64 v[14:15], v[6:7], 0, v[4:5]
	v_lshl_add_u64 v[12:13], v[12:13], 1, v[8:9]
	flat_load_ushort v3, v[14:15]
	flat_load_ushort v4, v[12:13]
	v_add_u32_e32 v12, 1, v16
	s_waitcnt vmcnt(0) lgkmcnt(0)
	v_and_b32_e32 v3, s6, v3
	v_and_b32_e32 v4, s6, v4
	v_cmp_gt_i16_e32 vcc, v3, v4
	s_nop 1
	v_cndmask_b32_e32 v11, v11, v16, vcc
	v_cndmask_b32_e32 v1, v12, v1, vcc
	v_cmp_ge_u32_e32 vcc, v1, v11
	s_or_b64 s[0:1], vcc, s[0:1]
	s_andn2_b64 exec, exec, s[0:1]
	s_cbranch_execnz .LBB1901_3
; %bb.4:
	s_or_b64 exec, exec, s[0:1]
.LBB1901_5:
	s_or_b64 exec, exec, s[4:5]
	v_add_u32_e32 v2, v1, v2
	v_mov_b32_e32 v1, 0
	v_lshl_add_u64 v[0:1], v[0:1], 2, s[2:3]
	global_store_dword v[0:1], v2, off
.LBB1901_6:
	s_endpgm
	.section	.rodata,"a",@progbits
	.p2align	6, 0x0
	.amdhsa_kernel _ZN7rocprim17ROCPRIM_400000_NS6detail17trampoline_kernelINS0_14default_configENS1_38merge_sort_block_merge_config_selectorIsNS0_10empty_typeEEEZZNS1_27merge_sort_block_merge_implIS3_N6thrust23THRUST_200600_302600_NS6detail15normal_iteratorINS9_10device_ptrIsEEEEPS5_jNS1_19radix_merge_compareILb0ELb1EsNS0_19identity_decomposerEEEEE10hipError_tT0_T1_T2_jT3_P12ihipStream_tbPNSt15iterator_traitsISK_E10value_typeEPNSQ_ISL_E10value_typeEPSM_NS1_7vsmem_tEENKUlT_SK_SL_SM_E_clISE_PsSF_SF_EESJ_SZ_SK_SL_SM_EUlSZ_E_NS1_11comp_targetILNS1_3genE5ELNS1_11target_archE942ELNS1_3gpuE9ELNS1_3repE0EEENS1_48merge_mergepath_partition_config_static_selectorELNS0_4arch9wavefront6targetE1EEEvSL_
		.amdhsa_group_segment_fixed_size 0
		.amdhsa_private_segment_fixed_size 0
		.amdhsa_kernarg_size 40
		.amdhsa_user_sgpr_count 2
		.amdhsa_user_sgpr_dispatch_ptr 0
		.amdhsa_user_sgpr_queue_ptr 0
		.amdhsa_user_sgpr_kernarg_segment_ptr 1
		.amdhsa_user_sgpr_dispatch_id 0
		.amdhsa_user_sgpr_kernarg_preload_length 0
		.amdhsa_user_sgpr_kernarg_preload_offset 0
		.amdhsa_user_sgpr_private_segment_size 0
		.amdhsa_uses_dynamic_stack 0
		.amdhsa_enable_private_segment 0
		.amdhsa_system_sgpr_workgroup_id_x 1
		.amdhsa_system_sgpr_workgroup_id_y 0
		.amdhsa_system_sgpr_workgroup_id_z 0
		.amdhsa_system_sgpr_workgroup_info 0
		.amdhsa_system_vgpr_workitem_id 0
		.amdhsa_next_free_vgpr 17
		.amdhsa_next_free_sgpr 10
		.amdhsa_accum_offset 20
		.amdhsa_reserve_vcc 1
		.amdhsa_float_round_mode_32 0
		.amdhsa_float_round_mode_16_64 0
		.amdhsa_float_denorm_mode_32 3
		.amdhsa_float_denorm_mode_16_64 3
		.amdhsa_dx10_clamp 1
		.amdhsa_ieee_mode 1
		.amdhsa_fp16_overflow 0
		.amdhsa_tg_split 0
		.amdhsa_exception_fp_ieee_invalid_op 0
		.amdhsa_exception_fp_denorm_src 0
		.amdhsa_exception_fp_ieee_div_zero 0
		.amdhsa_exception_fp_ieee_overflow 0
		.amdhsa_exception_fp_ieee_underflow 0
		.amdhsa_exception_fp_ieee_inexact 0
		.amdhsa_exception_int_div_zero 0
	.end_amdhsa_kernel
	.section	.text._ZN7rocprim17ROCPRIM_400000_NS6detail17trampoline_kernelINS0_14default_configENS1_38merge_sort_block_merge_config_selectorIsNS0_10empty_typeEEEZZNS1_27merge_sort_block_merge_implIS3_N6thrust23THRUST_200600_302600_NS6detail15normal_iteratorINS9_10device_ptrIsEEEEPS5_jNS1_19radix_merge_compareILb0ELb1EsNS0_19identity_decomposerEEEEE10hipError_tT0_T1_T2_jT3_P12ihipStream_tbPNSt15iterator_traitsISK_E10value_typeEPNSQ_ISL_E10value_typeEPSM_NS1_7vsmem_tEENKUlT_SK_SL_SM_E_clISE_PsSF_SF_EESJ_SZ_SK_SL_SM_EUlSZ_E_NS1_11comp_targetILNS1_3genE5ELNS1_11target_archE942ELNS1_3gpuE9ELNS1_3repE0EEENS1_48merge_mergepath_partition_config_static_selectorELNS0_4arch9wavefront6targetE1EEEvSL_,"axG",@progbits,_ZN7rocprim17ROCPRIM_400000_NS6detail17trampoline_kernelINS0_14default_configENS1_38merge_sort_block_merge_config_selectorIsNS0_10empty_typeEEEZZNS1_27merge_sort_block_merge_implIS3_N6thrust23THRUST_200600_302600_NS6detail15normal_iteratorINS9_10device_ptrIsEEEEPS5_jNS1_19radix_merge_compareILb0ELb1EsNS0_19identity_decomposerEEEEE10hipError_tT0_T1_T2_jT3_P12ihipStream_tbPNSt15iterator_traitsISK_E10value_typeEPNSQ_ISL_E10value_typeEPSM_NS1_7vsmem_tEENKUlT_SK_SL_SM_E_clISE_PsSF_SF_EESJ_SZ_SK_SL_SM_EUlSZ_E_NS1_11comp_targetILNS1_3genE5ELNS1_11target_archE942ELNS1_3gpuE9ELNS1_3repE0EEENS1_48merge_mergepath_partition_config_static_selectorELNS0_4arch9wavefront6targetE1EEEvSL_,comdat
.Lfunc_end1901:
	.size	_ZN7rocprim17ROCPRIM_400000_NS6detail17trampoline_kernelINS0_14default_configENS1_38merge_sort_block_merge_config_selectorIsNS0_10empty_typeEEEZZNS1_27merge_sort_block_merge_implIS3_N6thrust23THRUST_200600_302600_NS6detail15normal_iteratorINS9_10device_ptrIsEEEEPS5_jNS1_19radix_merge_compareILb0ELb1EsNS0_19identity_decomposerEEEEE10hipError_tT0_T1_T2_jT3_P12ihipStream_tbPNSt15iterator_traitsISK_E10value_typeEPNSQ_ISL_E10value_typeEPSM_NS1_7vsmem_tEENKUlT_SK_SL_SM_E_clISE_PsSF_SF_EESJ_SZ_SK_SL_SM_EUlSZ_E_NS1_11comp_targetILNS1_3genE5ELNS1_11target_archE942ELNS1_3gpuE9ELNS1_3repE0EEENS1_48merge_mergepath_partition_config_static_selectorELNS0_4arch9wavefront6targetE1EEEvSL_, .Lfunc_end1901-_ZN7rocprim17ROCPRIM_400000_NS6detail17trampoline_kernelINS0_14default_configENS1_38merge_sort_block_merge_config_selectorIsNS0_10empty_typeEEEZZNS1_27merge_sort_block_merge_implIS3_N6thrust23THRUST_200600_302600_NS6detail15normal_iteratorINS9_10device_ptrIsEEEEPS5_jNS1_19radix_merge_compareILb0ELb1EsNS0_19identity_decomposerEEEEE10hipError_tT0_T1_T2_jT3_P12ihipStream_tbPNSt15iterator_traitsISK_E10value_typeEPNSQ_ISL_E10value_typeEPSM_NS1_7vsmem_tEENKUlT_SK_SL_SM_E_clISE_PsSF_SF_EESJ_SZ_SK_SL_SM_EUlSZ_E_NS1_11comp_targetILNS1_3genE5ELNS1_11target_archE942ELNS1_3gpuE9ELNS1_3repE0EEENS1_48merge_mergepath_partition_config_static_selectorELNS0_4arch9wavefront6targetE1EEEvSL_
                                        ; -- End function
	.section	.AMDGPU.csdata,"",@progbits
; Kernel info:
; codeLenInByte = 336
; NumSgprs: 16
; NumVgprs: 17
; NumAgprs: 0
; TotalNumVgprs: 17
; ScratchSize: 0
; MemoryBound: 0
; FloatMode: 240
; IeeeMode: 1
; LDSByteSize: 0 bytes/workgroup (compile time only)
; SGPRBlocks: 1
; VGPRBlocks: 2
; NumSGPRsForWavesPerEU: 16
; NumVGPRsForWavesPerEU: 17
; AccumOffset: 20
; Occupancy: 8
; WaveLimiterHint : 0
; COMPUTE_PGM_RSRC2:SCRATCH_EN: 0
; COMPUTE_PGM_RSRC2:USER_SGPR: 2
; COMPUTE_PGM_RSRC2:TRAP_HANDLER: 0
; COMPUTE_PGM_RSRC2:TGID_X_EN: 1
; COMPUTE_PGM_RSRC2:TGID_Y_EN: 0
; COMPUTE_PGM_RSRC2:TGID_Z_EN: 0
; COMPUTE_PGM_RSRC2:TIDIG_COMP_CNT: 0
; COMPUTE_PGM_RSRC3_GFX90A:ACCUM_OFFSET: 4
; COMPUTE_PGM_RSRC3_GFX90A:TG_SPLIT: 0
	.section	.text._ZN7rocprim17ROCPRIM_400000_NS6detail17trampoline_kernelINS0_14default_configENS1_38merge_sort_block_merge_config_selectorIsNS0_10empty_typeEEEZZNS1_27merge_sort_block_merge_implIS3_N6thrust23THRUST_200600_302600_NS6detail15normal_iteratorINS9_10device_ptrIsEEEEPS5_jNS1_19radix_merge_compareILb0ELb1EsNS0_19identity_decomposerEEEEE10hipError_tT0_T1_T2_jT3_P12ihipStream_tbPNSt15iterator_traitsISK_E10value_typeEPNSQ_ISL_E10value_typeEPSM_NS1_7vsmem_tEENKUlT_SK_SL_SM_E_clISE_PsSF_SF_EESJ_SZ_SK_SL_SM_EUlSZ_E_NS1_11comp_targetILNS1_3genE4ELNS1_11target_archE910ELNS1_3gpuE8ELNS1_3repE0EEENS1_48merge_mergepath_partition_config_static_selectorELNS0_4arch9wavefront6targetE1EEEvSL_,"axG",@progbits,_ZN7rocprim17ROCPRIM_400000_NS6detail17trampoline_kernelINS0_14default_configENS1_38merge_sort_block_merge_config_selectorIsNS0_10empty_typeEEEZZNS1_27merge_sort_block_merge_implIS3_N6thrust23THRUST_200600_302600_NS6detail15normal_iteratorINS9_10device_ptrIsEEEEPS5_jNS1_19radix_merge_compareILb0ELb1EsNS0_19identity_decomposerEEEEE10hipError_tT0_T1_T2_jT3_P12ihipStream_tbPNSt15iterator_traitsISK_E10value_typeEPNSQ_ISL_E10value_typeEPSM_NS1_7vsmem_tEENKUlT_SK_SL_SM_E_clISE_PsSF_SF_EESJ_SZ_SK_SL_SM_EUlSZ_E_NS1_11comp_targetILNS1_3genE4ELNS1_11target_archE910ELNS1_3gpuE8ELNS1_3repE0EEENS1_48merge_mergepath_partition_config_static_selectorELNS0_4arch9wavefront6targetE1EEEvSL_,comdat
	.protected	_ZN7rocprim17ROCPRIM_400000_NS6detail17trampoline_kernelINS0_14default_configENS1_38merge_sort_block_merge_config_selectorIsNS0_10empty_typeEEEZZNS1_27merge_sort_block_merge_implIS3_N6thrust23THRUST_200600_302600_NS6detail15normal_iteratorINS9_10device_ptrIsEEEEPS5_jNS1_19radix_merge_compareILb0ELb1EsNS0_19identity_decomposerEEEEE10hipError_tT0_T1_T2_jT3_P12ihipStream_tbPNSt15iterator_traitsISK_E10value_typeEPNSQ_ISL_E10value_typeEPSM_NS1_7vsmem_tEENKUlT_SK_SL_SM_E_clISE_PsSF_SF_EESJ_SZ_SK_SL_SM_EUlSZ_E_NS1_11comp_targetILNS1_3genE4ELNS1_11target_archE910ELNS1_3gpuE8ELNS1_3repE0EEENS1_48merge_mergepath_partition_config_static_selectorELNS0_4arch9wavefront6targetE1EEEvSL_ ; -- Begin function _ZN7rocprim17ROCPRIM_400000_NS6detail17trampoline_kernelINS0_14default_configENS1_38merge_sort_block_merge_config_selectorIsNS0_10empty_typeEEEZZNS1_27merge_sort_block_merge_implIS3_N6thrust23THRUST_200600_302600_NS6detail15normal_iteratorINS9_10device_ptrIsEEEEPS5_jNS1_19radix_merge_compareILb0ELb1EsNS0_19identity_decomposerEEEEE10hipError_tT0_T1_T2_jT3_P12ihipStream_tbPNSt15iterator_traitsISK_E10value_typeEPNSQ_ISL_E10value_typeEPSM_NS1_7vsmem_tEENKUlT_SK_SL_SM_E_clISE_PsSF_SF_EESJ_SZ_SK_SL_SM_EUlSZ_E_NS1_11comp_targetILNS1_3genE4ELNS1_11target_archE910ELNS1_3gpuE8ELNS1_3repE0EEENS1_48merge_mergepath_partition_config_static_selectorELNS0_4arch9wavefront6targetE1EEEvSL_
	.globl	_ZN7rocprim17ROCPRIM_400000_NS6detail17trampoline_kernelINS0_14default_configENS1_38merge_sort_block_merge_config_selectorIsNS0_10empty_typeEEEZZNS1_27merge_sort_block_merge_implIS3_N6thrust23THRUST_200600_302600_NS6detail15normal_iteratorINS9_10device_ptrIsEEEEPS5_jNS1_19radix_merge_compareILb0ELb1EsNS0_19identity_decomposerEEEEE10hipError_tT0_T1_T2_jT3_P12ihipStream_tbPNSt15iterator_traitsISK_E10value_typeEPNSQ_ISL_E10value_typeEPSM_NS1_7vsmem_tEENKUlT_SK_SL_SM_E_clISE_PsSF_SF_EESJ_SZ_SK_SL_SM_EUlSZ_E_NS1_11comp_targetILNS1_3genE4ELNS1_11target_archE910ELNS1_3gpuE8ELNS1_3repE0EEENS1_48merge_mergepath_partition_config_static_selectorELNS0_4arch9wavefront6targetE1EEEvSL_
	.p2align	8
	.type	_ZN7rocprim17ROCPRIM_400000_NS6detail17trampoline_kernelINS0_14default_configENS1_38merge_sort_block_merge_config_selectorIsNS0_10empty_typeEEEZZNS1_27merge_sort_block_merge_implIS3_N6thrust23THRUST_200600_302600_NS6detail15normal_iteratorINS9_10device_ptrIsEEEEPS5_jNS1_19radix_merge_compareILb0ELb1EsNS0_19identity_decomposerEEEEE10hipError_tT0_T1_T2_jT3_P12ihipStream_tbPNSt15iterator_traitsISK_E10value_typeEPNSQ_ISL_E10value_typeEPSM_NS1_7vsmem_tEENKUlT_SK_SL_SM_E_clISE_PsSF_SF_EESJ_SZ_SK_SL_SM_EUlSZ_E_NS1_11comp_targetILNS1_3genE4ELNS1_11target_archE910ELNS1_3gpuE8ELNS1_3repE0EEENS1_48merge_mergepath_partition_config_static_selectorELNS0_4arch9wavefront6targetE1EEEvSL_,@function
_ZN7rocprim17ROCPRIM_400000_NS6detail17trampoline_kernelINS0_14default_configENS1_38merge_sort_block_merge_config_selectorIsNS0_10empty_typeEEEZZNS1_27merge_sort_block_merge_implIS3_N6thrust23THRUST_200600_302600_NS6detail15normal_iteratorINS9_10device_ptrIsEEEEPS5_jNS1_19radix_merge_compareILb0ELb1EsNS0_19identity_decomposerEEEEE10hipError_tT0_T1_T2_jT3_P12ihipStream_tbPNSt15iterator_traitsISK_E10value_typeEPNSQ_ISL_E10value_typeEPSM_NS1_7vsmem_tEENKUlT_SK_SL_SM_E_clISE_PsSF_SF_EESJ_SZ_SK_SL_SM_EUlSZ_E_NS1_11comp_targetILNS1_3genE4ELNS1_11target_archE910ELNS1_3gpuE8ELNS1_3repE0EEENS1_48merge_mergepath_partition_config_static_selectorELNS0_4arch9wavefront6targetE1EEEvSL_: ; @_ZN7rocprim17ROCPRIM_400000_NS6detail17trampoline_kernelINS0_14default_configENS1_38merge_sort_block_merge_config_selectorIsNS0_10empty_typeEEEZZNS1_27merge_sort_block_merge_implIS3_N6thrust23THRUST_200600_302600_NS6detail15normal_iteratorINS9_10device_ptrIsEEEEPS5_jNS1_19radix_merge_compareILb0ELb1EsNS0_19identity_decomposerEEEEE10hipError_tT0_T1_T2_jT3_P12ihipStream_tbPNSt15iterator_traitsISK_E10value_typeEPNSQ_ISL_E10value_typeEPSM_NS1_7vsmem_tEENKUlT_SK_SL_SM_E_clISE_PsSF_SF_EESJ_SZ_SK_SL_SM_EUlSZ_E_NS1_11comp_targetILNS1_3genE4ELNS1_11target_archE910ELNS1_3gpuE8ELNS1_3repE0EEENS1_48merge_mergepath_partition_config_static_selectorELNS0_4arch9wavefront6targetE1EEEvSL_
; %bb.0:
	.section	.rodata,"a",@progbits
	.p2align	6, 0x0
	.amdhsa_kernel _ZN7rocprim17ROCPRIM_400000_NS6detail17trampoline_kernelINS0_14default_configENS1_38merge_sort_block_merge_config_selectorIsNS0_10empty_typeEEEZZNS1_27merge_sort_block_merge_implIS3_N6thrust23THRUST_200600_302600_NS6detail15normal_iteratorINS9_10device_ptrIsEEEEPS5_jNS1_19radix_merge_compareILb0ELb1EsNS0_19identity_decomposerEEEEE10hipError_tT0_T1_T2_jT3_P12ihipStream_tbPNSt15iterator_traitsISK_E10value_typeEPNSQ_ISL_E10value_typeEPSM_NS1_7vsmem_tEENKUlT_SK_SL_SM_E_clISE_PsSF_SF_EESJ_SZ_SK_SL_SM_EUlSZ_E_NS1_11comp_targetILNS1_3genE4ELNS1_11target_archE910ELNS1_3gpuE8ELNS1_3repE0EEENS1_48merge_mergepath_partition_config_static_selectorELNS0_4arch9wavefront6targetE1EEEvSL_
		.amdhsa_group_segment_fixed_size 0
		.amdhsa_private_segment_fixed_size 0
		.amdhsa_kernarg_size 40
		.amdhsa_user_sgpr_count 2
		.amdhsa_user_sgpr_dispatch_ptr 0
		.amdhsa_user_sgpr_queue_ptr 0
		.amdhsa_user_sgpr_kernarg_segment_ptr 1
		.amdhsa_user_sgpr_dispatch_id 0
		.amdhsa_user_sgpr_kernarg_preload_length 0
		.amdhsa_user_sgpr_kernarg_preload_offset 0
		.amdhsa_user_sgpr_private_segment_size 0
		.amdhsa_uses_dynamic_stack 0
		.amdhsa_enable_private_segment 0
		.amdhsa_system_sgpr_workgroup_id_x 1
		.amdhsa_system_sgpr_workgroup_id_y 0
		.amdhsa_system_sgpr_workgroup_id_z 0
		.amdhsa_system_sgpr_workgroup_info 0
		.amdhsa_system_vgpr_workitem_id 0
		.amdhsa_next_free_vgpr 1
		.amdhsa_next_free_sgpr 0
		.amdhsa_accum_offset 4
		.amdhsa_reserve_vcc 0
		.amdhsa_float_round_mode_32 0
		.amdhsa_float_round_mode_16_64 0
		.amdhsa_float_denorm_mode_32 3
		.amdhsa_float_denorm_mode_16_64 3
		.amdhsa_dx10_clamp 1
		.amdhsa_ieee_mode 1
		.amdhsa_fp16_overflow 0
		.amdhsa_tg_split 0
		.amdhsa_exception_fp_ieee_invalid_op 0
		.amdhsa_exception_fp_denorm_src 0
		.amdhsa_exception_fp_ieee_div_zero 0
		.amdhsa_exception_fp_ieee_overflow 0
		.amdhsa_exception_fp_ieee_underflow 0
		.amdhsa_exception_fp_ieee_inexact 0
		.amdhsa_exception_int_div_zero 0
	.end_amdhsa_kernel
	.section	.text._ZN7rocprim17ROCPRIM_400000_NS6detail17trampoline_kernelINS0_14default_configENS1_38merge_sort_block_merge_config_selectorIsNS0_10empty_typeEEEZZNS1_27merge_sort_block_merge_implIS3_N6thrust23THRUST_200600_302600_NS6detail15normal_iteratorINS9_10device_ptrIsEEEEPS5_jNS1_19radix_merge_compareILb0ELb1EsNS0_19identity_decomposerEEEEE10hipError_tT0_T1_T2_jT3_P12ihipStream_tbPNSt15iterator_traitsISK_E10value_typeEPNSQ_ISL_E10value_typeEPSM_NS1_7vsmem_tEENKUlT_SK_SL_SM_E_clISE_PsSF_SF_EESJ_SZ_SK_SL_SM_EUlSZ_E_NS1_11comp_targetILNS1_3genE4ELNS1_11target_archE910ELNS1_3gpuE8ELNS1_3repE0EEENS1_48merge_mergepath_partition_config_static_selectorELNS0_4arch9wavefront6targetE1EEEvSL_,"axG",@progbits,_ZN7rocprim17ROCPRIM_400000_NS6detail17trampoline_kernelINS0_14default_configENS1_38merge_sort_block_merge_config_selectorIsNS0_10empty_typeEEEZZNS1_27merge_sort_block_merge_implIS3_N6thrust23THRUST_200600_302600_NS6detail15normal_iteratorINS9_10device_ptrIsEEEEPS5_jNS1_19radix_merge_compareILb0ELb1EsNS0_19identity_decomposerEEEEE10hipError_tT0_T1_T2_jT3_P12ihipStream_tbPNSt15iterator_traitsISK_E10value_typeEPNSQ_ISL_E10value_typeEPSM_NS1_7vsmem_tEENKUlT_SK_SL_SM_E_clISE_PsSF_SF_EESJ_SZ_SK_SL_SM_EUlSZ_E_NS1_11comp_targetILNS1_3genE4ELNS1_11target_archE910ELNS1_3gpuE8ELNS1_3repE0EEENS1_48merge_mergepath_partition_config_static_selectorELNS0_4arch9wavefront6targetE1EEEvSL_,comdat
.Lfunc_end1902:
	.size	_ZN7rocprim17ROCPRIM_400000_NS6detail17trampoline_kernelINS0_14default_configENS1_38merge_sort_block_merge_config_selectorIsNS0_10empty_typeEEEZZNS1_27merge_sort_block_merge_implIS3_N6thrust23THRUST_200600_302600_NS6detail15normal_iteratorINS9_10device_ptrIsEEEEPS5_jNS1_19radix_merge_compareILb0ELb1EsNS0_19identity_decomposerEEEEE10hipError_tT0_T1_T2_jT3_P12ihipStream_tbPNSt15iterator_traitsISK_E10value_typeEPNSQ_ISL_E10value_typeEPSM_NS1_7vsmem_tEENKUlT_SK_SL_SM_E_clISE_PsSF_SF_EESJ_SZ_SK_SL_SM_EUlSZ_E_NS1_11comp_targetILNS1_3genE4ELNS1_11target_archE910ELNS1_3gpuE8ELNS1_3repE0EEENS1_48merge_mergepath_partition_config_static_selectorELNS0_4arch9wavefront6targetE1EEEvSL_, .Lfunc_end1902-_ZN7rocprim17ROCPRIM_400000_NS6detail17trampoline_kernelINS0_14default_configENS1_38merge_sort_block_merge_config_selectorIsNS0_10empty_typeEEEZZNS1_27merge_sort_block_merge_implIS3_N6thrust23THRUST_200600_302600_NS6detail15normal_iteratorINS9_10device_ptrIsEEEEPS5_jNS1_19radix_merge_compareILb0ELb1EsNS0_19identity_decomposerEEEEE10hipError_tT0_T1_T2_jT3_P12ihipStream_tbPNSt15iterator_traitsISK_E10value_typeEPNSQ_ISL_E10value_typeEPSM_NS1_7vsmem_tEENKUlT_SK_SL_SM_E_clISE_PsSF_SF_EESJ_SZ_SK_SL_SM_EUlSZ_E_NS1_11comp_targetILNS1_3genE4ELNS1_11target_archE910ELNS1_3gpuE8ELNS1_3repE0EEENS1_48merge_mergepath_partition_config_static_selectorELNS0_4arch9wavefront6targetE1EEEvSL_
                                        ; -- End function
	.section	.AMDGPU.csdata,"",@progbits
; Kernel info:
; codeLenInByte = 0
; NumSgprs: 6
; NumVgprs: 0
; NumAgprs: 0
; TotalNumVgprs: 0
; ScratchSize: 0
; MemoryBound: 0
; FloatMode: 240
; IeeeMode: 1
; LDSByteSize: 0 bytes/workgroup (compile time only)
; SGPRBlocks: 0
; VGPRBlocks: 0
; NumSGPRsForWavesPerEU: 6
; NumVGPRsForWavesPerEU: 1
; AccumOffset: 4
; Occupancy: 8
; WaveLimiterHint : 0
; COMPUTE_PGM_RSRC2:SCRATCH_EN: 0
; COMPUTE_PGM_RSRC2:USER_SGPR: 2
; COMPUTE_PGM_RSRC2:TRAP_HANDLER: 0
; COMPUTE_PGM_RSRC2:TGID_X_EN: 1
; COMPUTE_PGM_RSRC2:TGID_Y_EN: 0
; COMPUTE_PGM_RSRC2:TGID_Z_EN: 0
; COMPUTE_PGM_RSRC2:TIDIG_COMP_CNT: 0
; COMPUTE_PGM_RSRC3_GFX90A:ACCUM_OFFSET: 0
; COMPUTE_PGM_RSRC3_GFX90A:TG_SPLIT: 0
	.section	.text._ZN7rocprim17ROCPRIM_400000_NS6detail17trampoline_kernelINS0_14default_configENS1_38merge_sort_block_merge_config_selectorIsNS0_10empty_typeEEEZZNS1_27merge_sort_block_merge_implIS3_N6thrust23THRUST_200600_302600_NS6detail15normal_iteratorINS9_10device_ptrIsEEEEPS5_jNS1_19radix_merge_compareILb0ELb1EsNS0_19identity_decomposerEEEEE10hipError_tT0_T1_T2_jT3_P12ihipStream_tbPNSt15iterator_traitsISK_E10value_typeEPNSQ_ISL_E10value_typeEPSM_NS1_7vsmem_tEENKUlT_SK_SL_SM_E_clISE_PsSF_SF_EESJ_SZ_SK_SL_SM_EUlSZ_E_NS1_11comp_targetILNS1_3genE3ELNS1_11target_archE908ELNS1_3gpuE7ELNS1_3repE0EEENS1_48merge_mergepath_partition_config_static_selectorELNS0_4arch9wavefront6targetE1EEEvSL_,"axG",@progbits,_ZN7rocprim17ROCPRIM_400000_NS6detail17trampoline_kernelINS0_14default_configENS1_38merge_sort_block_merge_config_selectorIsNS0_10empty_typeEEEZZNS1_27merge_sort_block_merge_implIS3_N6thrust23THRUST_200600_302600_NS6detail15normal_iteratorINS9_10device_ptrIsEEEEPS5_jNS1_19radix_merge_compareILb0ELb1EsNS0_19identity_decomposerEEEEE10hipError_tT0_T1_T2_jT3_P12ihipStream_tbPNSt15iterator_traitsISK_E10value_typeEPNSQ_ISL_E10value_typeEPSM_NS1_7vsmem_tEENKUlT_SK_SL_SM_E_clISE_PsSF_SF_EESJ_SZ_SK_SL_SM_EUlSZ_E_NS1_11comp_targetILNS1_3genE3ELNS1_11target_archE908ELNS1_3gpuE7ELNS1_3repE0EEENS1_48merge_mergepath_partition_config_static_selectorELNS0_4arch9wavefront6targetE1EEEvSL_,comdat
	.protected	_ZN7rocprim17ROCPRIM_400000_NS6detail17trampoline_kernelINS0_14default_configENS1_38merge_sort_block_merge_config_selectorIsNS0_10empty_typeEEEZZNS1_27merge_sort_block_merge_implIS3_N6thrust23THRUST_200600_302600_NS6detail15normal_iteratorINS9_10device_ptrIsEEEEPS5_jNS1_19radix_merge_compareILb0ELb1EsNS0_19identity_decomposerEEEEE10hipError_tT0_T1_T2_jT3_P12ihipStream_tbPNSt15iterator_traitsISK_E10value_typeEPNSQ_ISL_E10value_typeEPSM_NS1_7vsmem_tEENKUlT_SK_SL_SM_E_clISE_PsSF_SF_EESJ_SZ_SK_SL_SM_EUlSZ_E_NS1_11comp_targetILNS1_3genE3ELNS1_11target_archE908ELNS1_3gpuE7ELNS1_3repE0EEENS1_48merge_mergepath_partition_config_static_selectorELNS0_4arch9wavefront6targetE1EEEvSL_ ; -- Begin function _ZN7rocprim17ROCPRIM_400000_NS6detail17trampoline_kernelINS0_14default_configENS1_38merge_sort_block_merge_config_selectorIsNS0_10empty_typeEEEZZNS1_27merge_sort_block_merge_implIS3_N6thrust23THRUST_200600_302600_NS6detail15normal_iteratorINS9_10device_ptrIsEEEEPS5_jNS1_19radix_merge_compareILb0ELb1EsNS0_19identity_decomposerEEEEE10hipError_tT0_T1_T2_jT3_P12ihipStream_tbPNSt15iterator_traitsISK_E10value_typeEPNSQ_ISL_E10value_typeEPSM_NS1_7vsmem_tEENKUlT_SK_SL_SM_E_clISE_PsSF_SF_EESJ_SZ_SK_SL_SM_EUlSZ_E_NS1_11comp_targetILNS1_3genE3ELNS1_11target_archE908ELNS1_3gpuE7ELNS1_3repE0EEENS1_48merge_mergepath_partition_config_static_selectorELNS0_4arch9wavefront6targetE1EEEvSL_
	.globl	_ZN7rocprim17ROCPRIM_400000_NS6detail17trampoline_kernelINS0_14default_configENS1_38merge_sort_block_merge_config_selectorIsNS0_10empty_typeEEEZZNS1_27merge_sort_block_merge_implIS3_N6thrust23THRUST_200600_302600_NS6detail15normal_iteratorINS9_10device_ptrIsEEEEPS5_jNS1_19radix_merge_compareILb0ELb1EsNS0_19identity_decomposerEEEEE10hipError_tT0_T1_T2_jT3_P12ihipStream_tbPNSt15iterator_traitsISK_E10value_typeEPNSQ_ISL_E10value_typeEPSM_NS1_7vsmem_tEENKUlT_SK_SL_SM_E_clISE_PsSF_SF_EESJ_SZ_SK_SL_SM_EUlSZ_E_NS1_11comp_targetILNS1_3genE3ELNS1_11target_archE908ELNS1_3gpuE7ELNS1_3repE0EEENS1_48merge_mergepath_partition_config_static_selectorELNS0_4arch9wavefront6targetE1EEEvSL_
	.p2align	8
	.type	_ZN7rocprim17ROCPRIM_400000_NS6detail17trampoline_kernelINS0_14default_configENS1_38merge_sort_block_merge_config_selectorIsNS0_10empty_typeEEEZZNS1_27merge_sort_block_merge_implIS3_N6thrust23THRUST_200600_302600_NS6detail15normal_iteratorINS9_10device_ptrIsEEEEPS5_jNS1_19radix_merge_compareILb0ELb1EsNS0_19identity_decomposerEEEEE10hipError_tT0_T1_T2_jT3_P12ihipStream_tbPNSt15iterator_traitsISK_E10value_typeEPNSQ_ISL_E10value_typeEPSM_NS1_7vsmem_tEENKUlT_SK_SL_SM_E_clISE_PsSF_SF_EESJ_SZ_SK_SL_SM_EUlSZ_E_NS1_11comp_targetILNS1_3genE3ELNS1_11target_archE908ELNS1_3gpuE7ELNS1_3repE0EEENS1_48merge_mergepath_partition_config_static_selectorELNS0_4arch9wavefront6targetE1EEEvSL_,@function
_ZN7rocprim17ROCPRIM_400000_NS6detail17trampoline_kernelINS0_14default_configENS1_38merge_sort_block_merge_config_selectorIsNS0_10empty_typeEEEZZNS1_27merge_sort_block_merge_implIS3_N6thrust23THRUST_200600_302600_NS6detail15normal_iteratorINS9_10device_ptrIsEEEEPS5_jNS1_19radix_merge_compareILb0ELb1EsNS0_19identity_decomposerEEEEE10hipError_tT0_T1_T2_jT3_P12ihipStream_tbPNSt15iterator_traitsISK_E10value_typeEPNSQ_ISL_E10value_typeEPSM_NS1_7vsmem_tEENKUlT_SK_SL_SM_E_clISE_PsSF_SF_EESJ_SZ_SK_SL_SM_EUlSZ_E_NS1_11comp_targetILNS1_3genE3ELNS1_11target_archE908ELNS1_3gpuE7ELNS1_3repE0EEENS1_48merge_mergepath_partition_config_static_selectorELNS0_4arch9wavefront6targetE1EEEvSL_: ; @_ZN7rocprim17ROCPRIM_400000_NS6detail17trampoline_kernelINS0_14default_configENS1_38merge_sort_block_merge_config_selectorIsNS0_10empty_typeEEEZZNS1_27merge_sort_block_merge_implIS3_N6thrust23THRUST_200600_302600_NS6detail15normal_iteratorINS9_10device_ptrIsEEEEPS5_jNS1_19radix_merge_compareILb0ELb1EsNS0_19identity_decomposerEEEEE10hipError_tT0_T1_T2_jT3_P12ihipStream_tbPNSt15iterator_traitsISK_E10value_typeEPNSQ_ISL_E10value_typeEPSM_NS1_7vsmem_tEENKUlT_SK_SL_SM_E_clISE_PsSF_SF_EESJ_SZ_SK_SL_SM_EUlSZ_E_NS1_11comp_targetILNS1_3genE3ELNS1_11target_archE908ELNS1_3gpuE7ELNS1_3repE0EEENS1_48merge_mergepath_partition_config_static_selectorELNS0_4arch9wavefront6targetE1EEEvSL_
; %bb.0:
	.section	.rodata,"a",@progbits
	.p2align	6, 0x0
	.amdhsa_kernel _ZN7rocprim17ROCPRIM_400000_NS6detail17trampoline_kernelINS0_14default_configENS1_38merge_sort_block_merge_config_selectorIsNS0_10empty_typeEEEZZNS1_27merge_sort_block_merge_implIS3_N6thrust23THRUST_200600_302600_NS6detail15normal_iteratorINS9_10device_ptrIsEEEEPS5_jNS1_19radix_merge_compareILb0ELb1EsNS0_19identity_decomposerEEEEE10hipError_tT0_T1_T2_jT3_P12ihipStream_tbPNSt15iterator_traitsISK_E10value_typeEPNSQ_ISL_E10value_typeEPSM_NS1_7vsmem_tEENKUlT_SK_SL_SM_E_clISE_PsSF_SF_EESJ_SZ_SK_SL_SM_EUlSZ_E_NS1_11comp_targetILNS1_3genE3ELNS1_11target_archE908ELNS1_3gpuE7ELNS1_3repE0EEENS1_48merge_mergepath_partition_config_static_selectorELNS0_4arch9wavefront6targetE1EEEvSL_
		.amdhsa_group_segment_fixed_size 0
		.amdhsa_private_segment_fixed_size 0
		.amdhsa_kernarg_size 40
		.amdhsa_user_sgpr_count 2
		.amdhsa_user_sgpr_dispatch_ptr 0
		.amdhsa_user_sgpr_queue_ptr 0
		.amdhsa_user_sgpr_kernarg_segment_ptr 1
		.amdhsa_user_sgpr_dispatch_id 0
		.amdhsa_user_sgpr_kernarg_preload_length 0
		.amdhsa_user_sgpr_kernarg_preload_offset 0
		.amdhsa_user_sgpr_private_segment_size 0
		.amdhsa_uses_dynamic_stack 0
		.amdhsa_enable_private_segment 0
		.amdhsa_system_sgpr_workgroup_id_x 1
		.amdhsa_system_sgpr_workgroup_id_y 0
		.amdhsa_system_sgpr_workgroup_id_z 0
		.amdhsa_system_sgpr_workgroup_info 0
		.amdhsa_system_vgpr_workitem_id 0
		.amdhsa_next_free_vgpr 1
		.amdhsa_next_free_sgpr 0
		.amdhsa_accum_offset 4
		.amdhsa_reserve_vcc 0
		.amdhsa_float_round_mode_32 0
		.amdhsa_float_round_mode_16_64 0
		.amdhsa_float_denorm_mode_32 3
		.amdhsa_float_denorm_mode_16_64 3
		.amdhsa_dx10_clamp 1
		.amdhsa_ieee_mode 1
		.amdhsa_fp16_overflow 0
		.amdhsa_tg_split 0
		.amdhsa_exception_fp_ieee_invalid_op 0
		.amdhsa_exception_fp_denorm_src 0
		.amdhsa_exception_fp_ieee_div_zero 0
		.amdhsa_exception_fp_ieee_overflow 0
		.amdhsa_exception_fp_ieee_underflow 0
		.amdhsa_exception_fp_ieee_inexact 0
		.amdhsa_exception_int_div_zero 0
	.end_amdhsa_kernel
	.section	.text._ZN7rocprim17ROCPRIM_400000_NS6detail17trampoline_kernelINS0_14default_configENS1_38merge_sort_block_merge_config_selectorIsNS0_10empty_typeEEEZZNS1_27merge_sort_block_merge_implIS3_N6thrust23THRUST_200600_302600_NS6detail15normal_iteratorINS9_10device_ptrIsEEEEPS5_jNS1_19radix_merge_compareILb0ELb1EsNS0_19identity_decomposerEEEEE10hipError_tT0_T1_T2_jT3_P12ihipStream_tbPNSt15iterator_traitsISK_E10value_typeEPNSQ_ISL_E10value_typeEPSM_NS1_7vsmem_tEENKUlT_SK_SL_SM_E_clISE_PsSF_SF_EESJ_SZ_SK_SL_SM_EUlSZ_E_NS1_11comp_targetILNS1_3genE3ELNS1_11target_archE908ELNS1_3gpuE7ELNS1_3repE0EEENS1_48merge_mergepath_partition_config_static_selectorELNS0_4arch9wavefront6targetE1EEEvSL_,"axG",@progbits,_ZN7rocprim17ROCPRIM_400000_NS6detail17trampoline_kernelINS0_14default_configENS1_38merge_sort_block_merge_config_selectorIsNS0_10empty_typeEEEZZNS1_27merge_sort_block_merge_implIS3_N6thrust23THRUST_200600_302600_NS6detail15normal_iteratorINS9_10device_ptrIsEEEEPS5_jNS1_19radix_merge_compareILb0ELb1EsNS0_19identity_decomposerEEEEE10hipError_tT0_T1_T2_jT3_P12ihipStream_tbPNSt15iterator_traitsISK_E10value_typeEPNSQ_ISL_E10value_typeEPSM_NS1_7vsmem_tEENKUlT_SK_SL_SM_E_clISE_PsSF_SF_EESJ_SZ_SK_SL_SM_EUlSZ_E_NS1_11comp_targetILNS1_3genE3ELNS1_11target_archE908ELNS1_3gpuE7ELNS1_3repE0EEENS1_48merge_mergepath_partition_config_static_selectorELNS0_4arch9wavefront6targetE1EEEvSL_,comdat
.Lfunc_end1903:
	.size	_ZN7rocprim17ROCPRIM_400000_NS6detail17trampoline_kernelINS0_14default_configENS1_38merge_sort_block_merge_config_selectorIsNS0_10empty_typeEEEZZNS1_27merge_sort_block_merge_implIS3_N6thrust23THRUST_200600_302600_NS6detail15normal_iteratorINS9_10device_ptrIsEEEEPS5_jNS1_19radix_merge_compareILb0ELb1EsNS0_19identity_decomposerEEEEE10hipError_tT0_T1_T2_jT3_P12ihipStream_tbPNSt15iterator_traitsISK_E10value_typeEPNSQ_ISL_E10value_typeEPSM_NS1_7vsmem_tEENKUlT_SK_SL_SM_E_clISE_PsSF_SF_EESJ_SZ_SK_SL_SM_EUlSZ_E_NS1_11comp_targetILNS1_3genE3ELNS1_11target_archE908ELNS1_3gpuE7ELNS1_3repE0EEENS1_48merge_mergepath_partition_config_static_selectorELNS0_4arch9wavefront6targetE1EEEvSL_, .Lfunc_end1903-_ZN7rocprim17ROCPRIM_400000_NS6detail17trampoline_kernelINS0_14default_configENS1_38merge_sort_block_merge_config_selectorIsNS0_10empty_typeEEEZZNS1_27merge_sort_block_merge_implIS3_N6thrust23THRUST_200600_302600_NS6detail15normal_iteratorINS9_10device_ptrIsEEEEPS5_jNS1_19radix_merge_compareILb0ELb1EsNS0_19identity_decomposerEEEEE10hipError_tT0_T1_T2_jT3_P12ihipStream_tbPNSt15iterator_traitsISK_E10value_typeEPNSQ_ISL_E10value_typeEPSM_NS1_7vsmem_tEENKUlT_SK_SL_SM_E_clISE_PsSF_SF_EESJ_SZ_SK_SL_SM_EUlSZ_E_NS1_11comp_targetILNS1_3genE3ELNS1_11target_archE908ELNS1_3gpuE7ELNS1_3repE0EEENS1_48merge_mergepath_partition_config_static_selectorELNS0_4arch9wavefront6targetE1EEEvSL_
                                        ; -- End function
	.section	.AMDGPU.csdata,"",@progbits
; Kernel info:
; codeLenInByte = 0
; NumSgprs: 6
; NumVgprs: 0
; NumAgprs: 0
; TotalNumVgprs: 0
; ScratchSize: 0
; MemoryBound: 0
; FloatMode: 240
; IeeeMode: 1
; LDSByteSize: 0 bytes/workgroup (compile time only)
; SGPRBlocks: 0
; VGPRBlocks: 0
; NumSGPRsForWavesPerEU: 6
; NumVGPRsForWavesPerEU: 1
; AccumOffset: 4
; Occupancy: 8
; WaveLimiterHint : 0
; COMPUTE_PGM_RSRC2:SCRATCH_EN: 0
; COMPUTE_PGM_RSRC2:USER_SGPR: 2
; COMPUTE_PGM_RSRC2:TRAP_HANDLER: 0
; COMPUTE_PGM_RSRC2:TGID_X_EN: 1
; COMPUTE_PGM_RSRC2:TGID_Y_EN: 0
; COMPUTE_PGM_RSRC2:TGID_Z_EN: 0
; COMPUTE_PGM_RSRC2:TIDIG_COMP_CNT: 0
; COMPUTE_PGM_RSRC3_GFX90A:ACCUM_OFFSET: 0
; COMPUTE_PGM_RSRC3_GFX90A:TG_SPLIT: 0
	.section	.text._ZN7rocprim17ROCPRIM_400000_NS6detail17trampoline_kernelINS0_14default_configENS1_38merge_sort_block_merge_config_selectorIsNS0_10empty_typeEEEZZNS1_27merge_sort_block_merge_implIS3_N6thrust23THRUST_200600_302600_NS6detail15normal_iteratorINS9_10device_ptrIsEEEEPS5_jNS1_19radix_merge_compareILb0ELb1EsNS0_19identity_decomposerEEEEE10hipError_tT0_T1_T2_jT3_P12ihipStream_tbPNSt15iterator_traitsISK_E10value_typeEPNSQ_ISL_E10value_typeEPSM_NS1_7vsmem_tEENKUlT_SK_SL_SM_E_clISE_PsSF_SF_EESJ_SZ_SK_SL_SM_EUlSZ_E_NS1_11comp_targetILNS1_3genE2ELNS1_11target_archE906ELNS1_3gpuE6ELNS1_3repE0EEENS1_48merge_mergepath_partition_config_static_selectorELNS0_4arch9wavefront6targetE1EEEvSL_,"axG",@progbits,_ZN7rocprim17ROCPRIM_400000_NS6detail17trampoline_kernelINS0_14default_configENS1_38merge_sort_block_merge_config_selectorIsNS0_10empty_typeEEEZZNS1_27merge_sort_block_merge_implIS3_N6thrust23THRUST_200600_302600_NS6detail15normal_iteratorINS9_10device_ptrIsEEEEPS5_jNS1_19radix_merge_compareILb0ELb1EsNS0_19identity_decomposerEEEEE10hipError_tT0_T1_T2_jT3_P12ihipStream_tbPNSt15iterator_traitsISK_E10value_typeEPNSQ_ISL_E10value_typeEPSM_NS1_7vsmem_tEENKUlT_SK_SL_SM_E_clISE_PsSF_SF_EESJ_SZ_SK_SL_SM_EUlSZ_E_NS1_11comp_targetILNS1_3genE2ELNS1_11target_archE906ELNS1_3gpuE6ELNS1_3repE0EEENS1_48merge_mergepath_partition_config_static_selectorELNS0_4arch9wavefront6targetE1EEEvSL_,comdat
	.protected	_ZN7rocprim17ROCPRIM_400000_NS6detail17trampoline_kernelINS0_14default_configENS1_38merge_sort_block_merge_config_selectorIsNS0_10empty_typeEEEZZNS1_27merge_sort_block_merge_implIS3_N6thrust23THRUST_200600_302600_NS6detail15normal_iteratorINS9_10device_ptrIsEEEEPS5_jNS1_19radix_merge_compareILb0ELb1EsNS0_19identity_decomposerEEEEE10hipError_tT0_T1_T2_jT3_P12ihipStream_tbPNSt15iterator_traitsISK_E10value_typeEPNSQ_ISL_E10value_typeEPSM_NS1_7vsmem_tEENKUlT_SK_SL_SM_E_clISE_PsSF_SF_EESJ_SZ_SK_SL_SM_EUlSZ_E_NS1_11comp_targetILNS1_3genE2ELNS1_11target_archE906ELNS1_3gpuE6ELNS1_3repE0EEENS1_48merge_mergepath_partition_config_static_selectorELNS0_4arch9wavefront6targetE1EEEvSL_ ; -- Begin function _ZN7rocprim17ROCPRIM_400000_NS6detail17trampoline_kernelINS0_14default_configENS1_38merge_sort_block_merge_config_selectorIsNS0_10empty_typeEEEZZNS1_27merge_sort_block_merge_implIS3_N6thrust23THRUST_200600_302600_NS6detail15normal_iteratorINS9_10device_ptrIsEEEEPS5_jNS1_19radix_merge_compareILb0ELb1EsNS0_19identity_decomposerEEEEE10hipError_tT0_T1_T2_jT3_P12ihipStream_tbPNSt15iterator_traitsISK_E10value_typeEPNSQ_ISL_E10value_typeEPSM_NS1_7vsmem_tEENKUlT_SK_SL_SM_E_clISE_PsSF_SF_EESJ_SZ_SK_SL_SM_EUlSZ_E_NS1_11comp_targetILNS1_3genE2ELNS1_11target_archE906ELNS1_3gpuE6ELNS1_3repE0EEENS1_48merge_mergepath_partition_config_static_selectorELNS0_4arch9wavefront6targetE1EEEvSL_
	.globl	_ZN7rocprim17ROCPRIM_400000_NS6detail17trampoline_kernelINS0_14default_configENS1_38merge_sort_block_merge_config_selectorIsNS0_10empty_typeEEEZZNS1_27merge_sort_block_merge_implIS3_N6thrust23THRUST_200600_302600_NS6detail15normal_iteratorINS9_10device_ptrIsEEEEPS5_jNS1_19radix_merge_compareILb0ELb1EsNS0_19identity_decomposerEEEEE10hipError_tT0_T1_T2_jT3_P12ihipStream_tbPNSt15iterator_traitsISK_E10value_typeEPNSQ_ISL_E10value_typeEPSM_NS1_7vsmem_tEENKUlT_SK_SL_SM_E_clISE_PsSF_SF_EESJ_SZ_SK_SL_SM_EUlSZ_E_NS1_11comp_targetILNS1_3genE2ELNS1_11target_archE906ELNS1_3gpuE6ELNS1_3repE0EEENS1_48merge_mergepath_partition_config_static_selectorELNS0_4arch9wavefront6targetE1EEEvSL_
	.p2align	8
	.type	_ZN7rocprim17ROCPRIM_400000_NS6detail17trampoline_kernelINS0_14default_configENS1_38merge_sort_block_merge_config_selectorIsNS0_10empty_typeEEEZZNS1_27merge_sort_block_merge_implIS3_N6thrust23THRUST_200600_302600_NS6detail15normal_iteratorINS9_10device_ptrIsEEEEPS5_jNS1_19radix_merge_compareILb0ELb1EsNS0_19identity_decomposerEEEEE10hipError_tT0_T1_T2_jT3_P12ihipStream_tbPNSt15iterator_traitsISK_E10value_typeEPNSQ_ISL_E10value_typeEPSM_NS1_7vsmem_tEENKUlT_SK_SL_SM_E_clISE_PsSF_SF_EESJ_SZ_SK_SL_SM_EUlSZ_E_NS1_11comp_targetILNS1_3genE2ELNS1_11target_archE906ELNS1_3gpuE6ELNS1_3repE0EEENS1_48merge_mergepath_partition_config_static_selectorELNS0_4arch9wavefront6targetE1EEEvSL_,@function
_ZN7rocprim17ROCPRIM_400000_NS6detail17trampoline_kernelINS0_14default_configENS1_38merge_sort_block_merge_config_selectorIsNS0_10empty_typeEEEZZNS1_27merge_sort_block_merge_implIS3_N6thrust23THRUST_200600_302600_NS6detail15normal_iteratorINS9_10device_ptrIsEEEEPS5_jNS1_19radix_merge_compareILb0ELb1EsNS0_19identity_decomposerEEEEE10hipError_tT0_T1_T2_jT3_P12ihipStream_tbPNSt15iterator_traitsISK_E10value_typeEPNSQ_ISL_E10value_typeEPSM_NS1_7vsmem_tEENKUlT_SK_SL_SM_E_clISE_PsSF_SF_EESJ_SZ_SK_SL_SM_EUlSZ_E_NS1_11comp_targetILNS1_3genE2ELNS1_11target_archE906ELNS1_3gpuE6ELNS1_3repE0EEENS1_48merge_mergepath_partition_config_static_selectorELNS0_4arch9wavefront6targetE1EEEvSL_: ; @_ZN7rocprim17ROCPRIM_400000_NS6detail17trampoline_kernelINS0_14default_configENS1_38merge_sort_block_merge_config_selectorIsNS0_10empty_typeEEEZZNS1_27merge_sort_block_merge_implIS3_N6thrust23THRUST_200600_302600_NS6detail15normal_iteratorINS9_10device_ptrIsEEEEPS5_jNS1_19radix_merge_compareILb0ELb1EsNS0_19identity_decomposerEEEEE10hipError_tT0_T1_T2_jT3_P12ihipStream_tbPNSt15iterator_traitsISK_E10value_typeEPNSQ_ISL_E10value_typeEPSM_NS1_7vsmem_tEENKUlT_SK_SL_SM_E_clISE_PsSF_SF_EESJ_SZ_SK_SL_SM_EUlSZ_E_NS1_11comp_targetILNS1_3genE2ELNS1_11target_archE906ELNS1_3gpuE6ELNS1_3repE0EEENS1_48merge_mergepath_partition_config_static_selectorELNS0_4arch9wavefront6targetE1EEEvSL_
; %bb.0:
	.section	.rodata,"a",@progbits
	.p2align	6, 0x0
	.amdhsa_kernel _ZN7rocprim17ROCPRIM_400000_NS6detail17trampoline_kernelINS0_14default_configENS1_38merge_sort_block_merge_config_selectorIsNS0_10empty_typeEEEZZNS1_27merge_sort_block_merge_implIS3_N6thrust23THRUST_200600_302600_NS6detail15normal_iteratorINS9_10device_ptrIsEEEEPS5_jNS1_19radix_merge_compareILb0ELb1EsNS0_19identity_decomposerEEEEE10hipError_tT0_T1_T2_jT3_P12ihipStream_tbPNSt15iterator_traitsISK_E10value_typeEPNSQ_ISL_E10value_typeEPSM_NS1_7vsmem_tEENKUlT_SK_SL_SM_E_clISE_PsSF_SF_EESJ_SZ_SK_SL_SM_EUlSZ_E_NS1_11comp_targetILNS1_3genE2ELNS1_11target_archE906ELNS1_3gpuE6ELNS1_3repE0EEENS1_48merge_mergepath_partition_config_static_selectorELNS0_4arch9wavefront6targetE1EEEvSL_
		.amdhsa_group_segment_fixed_size 0
		.amdhsa_private_segment_fixed_size 0
		.amdhsa_kernarg_size 40
		.amdhsa_user_sgpr_count 2
		.amdhsa_user_sgpr_dispatch_ptr 0
		.amdhsa_user_sgpr_queue_ptr 0
		.amdhsa_user_sgpr_kernarg_segment_ptr 1
		.amdhsa_user_sgpr_dispatch_id 0
		.amdhsa_user_sgpr_kernarg_preload_length 0
		.amdhsa_user_sgpr_kernarg_preload_offset 0
		.amdhsa_user_sgpr_private_segment_size 0
		.amdhsa_uses_dynamic_stack 0
		.amdhsa_enable_private_segment 0
		.amdhsa_system_sgpr_workgroup_id_x 1
		.amdhsa_system_sgpr_workgroup_id_y 0
		.amdhsa_system_sgpr_workgroup_id_z 0
		.amdhsa_system_sgpr_workgroup_info 0
		.amdhsa_system_vgpr_workitem_id 0
		.amdhsa_next_free_vgpr 1
		.amdhsa_next_free_sgpr 0
		.amdhsa_accum_offset 4
		.amdhsa_reserve_vcc 0
		.amdhsa_float_round_mode_32 0
		.amdhsa_float_round_mode_16_64 0
		.amdhsa_float_denorm_mode_32 3
		.amdhsa_float_denorm_mode_16_64 3
		.amdhsa_dx10_clamp 1
		.amdhsa_ieee_mode 1
		.amdhsa_fp16_overflow 0
		.amdhsa_tg_split 0
		.amdhsa_exception_fp_ieee_invalid_op 0
		.amdhsa_exception_fp_denorm_src 0
		.amdhsa_exception_fp_ieee_div_zero 0
		.amdhsa_exception_fp_ieee_overflow 0
		.amdhsa_exception_fp_ieee_underflow 0
		.amdhsa_exception_fp_ieee_inexact 0
		.amdhsa_exception_int_div_zero 0
	.end_amdhsa_kernel
	.section	.text._ZN7rocprim17ROCPRIM_400000_NS6detail17trampoline_kernelINS0_14default_configENS1_38merge_sort_block_merge_config_selectorIsNS0_10empty_typeEEEZZNS1_27merge_sort_block_merge_implIS3_N6thrust23THRUST_200600_302600_NS6detail15normal_iteratorINS9_10device_ptrIsEEEEPS5_jNS1_19radix_merge_compareILb0ELb1EsNS0_19identity_decomposerEEEEE10hipError_tT0_T1_T2_jT3_P12ihipStream_tbPNSt15iterator_traitsISK_E10value_typeEPNSQ_ISL_E10value_typeEPSM_NS1_7vsmem_tEENKUlT_SK_SL_SM_E_clISE_PsSF_SF_EESJ_SZ_SK_SL_SM_EUlSZ_E_NS1_11comp_targetILNS1_3genE2ELNS1_11target_archE906ELNS1_3gpuE6ELNS1_3repE0EEENS1_48merge_mergepath_partition_config_static_selectorELNS0_4arch9wavefront6targetE1EEEvSL_,"axG",@progbits,_ZN7rocprim17ROCPRIM_400000_NS6detail17trampoline_kernelINS0_14default_configENS1_38merge_sort_block_merge_config_selectorIsNS0_10empty_typeEEEZZNS1_27merge_sort_block_merge_implIS3_N6thrust23THRUST_200600_302600_NS6detail15normal_iteratorINS9_10device_ptrIsEEEEPS5_jNS1_19radix_merge_compareILb0ELb1EsNS0_19identity_decomposerEEEEE10hipError_tT0_T1_T2_jT3_P12ihipStream_tbPNSt15iterator_traitsISK_E10value_typeEPNSQ_ISL_E10value_typeEPSM_NS1_7vsmem_tEENKUlT_SK_SL_SM_E_clISE_PsSF_SF_EESJ_SZ_SK_SL_SM_EUlSZ_E_NS1_11comp_targetILNS1_3genE2ELNS1_11target_archE906ELNS1_3gpuE6ELNS1_3repE0EEENS1_48merge_mergepath_partition_config_static_selectorELNS0_4arch9wavefront6targetE1EEEvSL_,comdat
.Lfunc_end1904:
	.size	_ZN7rocprim17ROCPRIM_400000_NS6detail17trampoline_kernelINS0_14default_configENS1_38merge_sort_block_merge_config_selectorIsNS0_10empty_typeEEEZZNS1_27merge_sort_block_merge_implIS3_N6thrust23THRUST_200600_302600_NS6detail15normal_iteratorINS9_10device_ptrIsEEEEPS5_jNS1_19radix_merge_compareILb0ELb1EsNS0_19identity_decomposerEEEEE10hipError_tT0_T1_T2_jT3_P12ihipStream_tbPNSt15iterator_traitsISK_E10value_typeEPNSQ_ISL_E10value_typeEPSM_NS1_7vsmem_tEENKUlT_SK_SL_SM_E_clISE_PsSF_SF_EESJ_SZ_SK_SL_SM_EUlSZ_E_NS1_11comp_targetILNS1_3genE2ELNS1_11target_archE906ELNS1_3gpuE6ELNS1_3repE0EEENS1_48merge_mergepath_partition_config_static_selectorELNS0_4arch9wavefront6targetE1EEEvSL_, .Lfunc_end1904-_ZN7rocprim17ROCPRIM_400000_NS6detail17trampoline_kernelINS0_14default_configENS1_38merge_sort_block_merge_config_selectorIsNS0_10empty_typeEEEZZNS1_27merge_sort_block_merge_implIS3_N6thrust23THRUST_200600_302600_NS6detail15normal_iteratorINS9_10device_ptrIsEEEEPS5_jNS1_19radix_merge_compareILb0ELb1EsNS0_19identity_decomposerEEEEE10hipError_tT0_T1_T2_jT3_P12ihipStream_tbPNSt15iterator_traitsISK_E10value_typeEPNSQ_ISL_E10value_typeEPSM_NS1_7vsmem_tEENKUlT_SK_SL_SM_E_clISE_PsSF_SF_EESJ_SZ_SK_SL_SM_EUlSZ_E_NS1_11comp_targetILNS1_3genE2ELNS1_11target_archE906ELNS1_3gpuE6ELNS1_3repE0EEENS1_48merge_mergepath_partition_config_static_selectorELNS0_4arch9wavefront6targetE1EEEvSL_
                                        ; -- End function
	.section	.AMDGPU.csdata,"",@progbits
; Kernel info:
; codeLenInByte = 0
; NumSgprs: 6
; NumVgprs: 0
; NumAgprs: 0
; TotalNumVgprs: 0
; ScratchSize: 0
; MemoryBound: 0
; FloatMode: 240
; IeeeMode: 1
; LDSByteSize: 0 bytes/workgroup (compile time only)
; SGPRBlocks: 0
; VGPRBlocks: 0
; NumSGPRsForWavesPerEU: 6
; NumVGPRsForWavesPerEU: 1
; AccumOffset: 4
; Occupancy: 8
; WaveLimiterHint : 0
; COMPUTE_PGM_RSRC2:SCRATCH_EN: 0
; COMPUTE_PGM_RSRC2:USER_SGPR: 2
; COMPUTE_PGM_RSRC2:TRAP_HANDLER: 0
; COMPUTE_PGM_RSRC2:TGID_X_EN: 1
; COMPUTE_PGM_RSRC2:TGID_Y_EN: 0
; COMPUTE_PGM_RSRC2:TGID_Z_EN: 0
; COMPUTE_PGM_RSRC2:TIDIG_COMP_CNT: 0
; COMPUTE_PGM_RSRC3_GFX90A:ACCUM_OFFSET: 0
; COMPUTE_PGM_RSRC3_GFX90A:TG_SPLIT: 0
	.section	.text._ZN7rocprim17ROCPRIM_400000_NS6detail17trampoline_kernelINS0_14default_configENS1_38merge_sort_block_merge_config_selectorIsNS0_10empty_typeEEEZZNS1_27merge_sort_block_merge_implIS3_N6thrust23THRUST_200600_302600_NS6detail15normal_iteratorINS9_10device_ptrIsEEEEPS5_jNS1_19radix_merge_compareILb0ELb1EsNS0_19identity_decomposerEEEEE10hipError_tT0_T1_T2_jT3_P12ihipStream_tbPNSt15iterator_traitsISK_E10value_typeEPNSQ_ISL_E10value_typeEPSM_NS1_7vsmem_tEENKUlT_SK_SL_SM_E_clISE_PsSF_SF_EESJ_SZ_SK_SL_SM_EUlSZ_E_NS1_11comp_targetILNS1_3genE9ELNS1_11target_archE1100ELNS1_3gpuE3ELNS1_3repE0EEENS1_48merge_mergepath_partition_config_static_selectorELNS0_4arch9wavefront6targetE1EEEvSL_,"axG",@progbits,_ZN7rocprim17ROCPRIM_400000_NS6detail17trampoline_kernelINS0_14default_configENS1_38merge_sort_block_merge_config_selectorIsNS0_10empty_typeEEEZZNS1_27merge_sort_block_merge_implIS3_N6thrust23THRUST_200600_302600_NS6detail15normal_iteratorINS9_10device_ptrIsEEEEPS5_jNS1_19radix_merge_compareILb0ELb1EsNS0_19identity_decomposerEEEEE10hipError_tT0_T1_T2_jT3_P12ihipStream_tbPNSt15iterator_traitsISK_E10value_typeEPNSQ_ISL_E10value_typeEPSM_NS1_7vsmem_tEENKUlT_SK_SL_SM_E_clISE_PsSF_SF_EESJ_SZ_SK_SL_SM_EUlSZ_E_NS1_11comp_targetILNS1_3genE9ELNS1_11target_archE1100ELNS1_3gpuE3ELNS1_3repE0EEENS1_48merge_mergepath_partition_config_static_selectorELNS0_4arch9wavefront6targetE1EEEvSL_,comdat
	.protected	_ZN7rocprim17ROCPRIM_400000_NS6detail17trampoline_kernelINS0_14default_configENS1_38merge_sort_block_merge_config_selectorIsNS0_10empty_typeEEEZZNS1_27merge_sort_block_merge_implIS3_N6thrust23THRUST_200600_302600_NS6detail15normal_iteratorINS9_10device_ptrIsEEEEPS5_jNS1_19radix_merge_compareILb0ELb1EsNS0_19identity_decomposerEEEEE10hipError_tT0_T1_T2_jT3_P12ihipStream_tbPNSt15iterator_traitsISK_E10value_typeEPNSQ_ISL_E10value_typeEPSM_NS1_7vsmem_tEENKUlT_SK_SL_SM_E_clISE_PsSF_SF_EESJ_SZ_SK_SL_SM_EUlSZ_E_NS1_11comp_targetILNS1_3genE9ELNS1_11target_archE1100ELNS1_3gpuE3ELNS1_3repE0EEENS1_48merge_mergepath_partition_config_static_selectorELNS0_4arch9wavefront6targetE1EEEvSL_ ; -- Begin function _ZN7rocprim17ROCPRIM_400000_NS6detail17trampoline_kernelINS0_14default_configENS1_38merge_sort_block_merge_config_selectorIsNS0_10empty_typeEEEZZNS1_27merge_sort_block_merge_implIS3_N6thrust23THRUST_200600_302600_NS6detail15normal_iteratorINS9_10device_ptrIsEEEEPS5_jNS1_19radix_merge_compareILb0ELb1EsNS0_19identity_decomposerEEEEE10hipError_tT0_T1_T2_jT3_P12ihipStream_tbPNSt15iterator_traitsISK_E10value_typeEPNSQ_ISL_E10value_typeEPSM_NS1_7vsmem_tEENKUlT_SK_SL_SM_E_clISE_PsSF_SF_EESJ_SZ_SK_SL_SM_EUlSZ_E_NS1_11comp_targetILNS1_3genE9ELNS1_11target_archE1100ELNS1_3gpuE3ELNS1_3repE0EEENS1_48merge_mergepath_partition_config_static_selectorELNS0_4arch9wavefront6targetE1EEEvSL_
	.globl	_ZN7rocprim17ROCPRIM_400000_NS6detail17trampoline_kernelINS0_14default_configENS1_38merge_sort_block_merge_config_selectorIsNS0_10empty_typeEEEZZNS1_27merge_sort_block_merge_implIS3_N6thrust23THRUST_200600_302600_NS6detail15normal_iteratorINS9_10device_ptrIsEEEEPS5_jNS1_19radix_merge_compareILb0ELb1EsNS0_19identity_decomposerEEEEE10hipError_tT0_T1_T2_jT3_P12ihipStream_tbPNSt15iterator_traitsISK_E10value_typeEPNSQ_ISL_E10value_typeEPSM_NS1_7vsmem_tEENKUlT_SK_SL_SM_E_clISE_PsSF_SF_EESJ_SZ_SK_SL_SM_EUlSZ_E_NS1_11comp_targetILNS1_3genE9ELNS1_11target_archE1100ELNS1_3gpuE3ELNS1_3repE0EEENS1_48merge_mergepath_partition_config_static_selectorELNS0_4arch9wavefront6targetE1EEEvSL_
	.p2align	8
	.type	_ZN7rocprim17ROCPRIM_400000_NS6detail17trampoline_kernelINS0_14default_configENS1_38merge_sort_block_merge_config_selectorIsNS0_10empty_typeEEEZZNS1_27merge_sort_block_merge_implIS3_N6thrust23THRUST_200600_302600_NS6detail15normal_iteratorINS9_10device_ptrIsEEEEPS5_jNS1_19radix_merge_compareILb0ELb1EsNS0_19identity_decomposerEEEEE10hipError_tT0_T1_T2_jT3_P12ihipStream_tbPNSt15iterator_traitsISK_E10value_typeEPNSQ_ISL_E10value_typeEPSM_NS1_7vsmem_tEENKUlT_SK_SL_SM_E_clISE_PsSF_SF_EESJ_SZ_SK_SL_SM_EUlSZ_E_NS1_11comp_targetILNS1_3genE9ELNS1_11target_archE1100ELNS1_3gpuE3ELNS1_3repE0EEENS1_48merge_mergepath_partition_config_static_selectorELNS0_4arch9wavefront6targetE1EEEvSL_,@function
_ZN7rocprim17ROCPRIM_400000_NS6detail17trampoline_kernelINS0_14default_configENS1_38merge_sort_block_merge_config_selectorIsNS0_10empty_typeEEEZZNS1_27merge_sort_block_merge_implIS3_N6thrust23THRUST_200600_302600_NS6detail15normal_iteratorINS9_10device_ptrIsEEEEPS5_jNS1_19radix_merge_compareILb0ELb1EsNS0_19identity_decomposerEEEEE10hipError_tT0_T1_T2_jT3_P12ihipStream_tbPNSt15iterator_traitsISK_E10value_typeEPNSQ_ISL_E10value_typeEPSM_NS1_7vsmem_tEENKUlT_SK_SL_SM_E_clISE_PsSF_SF_EESJ_SZ_SK_SL_SM_EUlSZ_E_NS1_11comp_targetILNS1_3genE9ELNS1_11target_archE1100ELNS1_3gpuE3ELNS1_3repE0EEENS1_48merge_mergepath_partition_config_static_selectorELNS0_4arch9wavefront6targetE1EEEvSL_: ; @_ZN7rocprim17ROCPRIM_400000_NS6detail17trampoline_kernelINS0_14default_configENS1_38merge_sort_block_merge_config_selectorIsNS0_10empty_typeEEEZZNS1_27merge_sort_block_merge_implIS3_N6thrust23THRUST_200600_302600_NS6detail15normal_iteratorINS9_10device_ptrIsEEEEPS5_jNS1_19radix_merge_compareILb0ELb1EsNS0_19identity_decomposerEEEEE10hipError_tT0_T1_T2_jT3_P12ihipStream_tbPNSt15iterator_traitsISK_E10value_typeEPNSQ_ISL_E10value_typeEPSM_NS1_7vsmem_tEENKUlT_SK_SL_SM_E_clISE_PsSF_SF_EESJ_SZ_SK_SL_SM_EUlSZ_E_NS1_11comp_targetILNS1_3genE9ELNS1_11target_archE1100ELNS1_3gpuE3ELNS1_3repE0EEENS1_48merge_mergepath_partition_config_static_selectorELNS0_4arch9wavefront6targetE1EEEvSL_
; %bb.0:
	.section	.rodata,"a",@progbits
	.p2align	6, 0x0
	.amdhsa_kernel _ZN7rocprim17ROCPRIM_400000_NS6detail17trampoline_kernelINS0_14default_configENS1_38merge_sort_block_merge_config_selectorIsNS0_10empty_typeEEEZZNS1_27merge_sort_block_merge_implIS3_N6thrust23THRUST_200600_302600_NS6detail15normal_iteratorINS9_10device_ptrIsEEEEPS5_jNS1_19radix_merge_compareILb0ELb1EsNS0_19identity_decomposerEEEEE10hipError_tT0_T1_T2_jT3_P12ihipStream_tbPNSt15iterator_traitsISK_E10value_typeEPNSQ_ISL_E10value_typeEPSM_NS1_7vsmem_tEENKUlT_SK_SL_SM_E_clISE_PsSF_SF_EESJ_SZ_SK_SL_SM_EUlSZ_E_NS1_11comp_targetILNS1_3genE9ELNS1_11target_archE1100ELNS1_3gpuE3ELNS1_3repE0EEENS1_48merge_mergepath_partition_config_static_selectorELNS0_4arch9wavefront6targetE1EEEvSL_
		.amdhsa_group_segment_fixed_size 0
		.amdhsa_private_segment_fixed_size 0
		.amdhsa_kernarg_size 40
		.amdhsa_user_sgpr_count 2
		.amdhsa_user_sgpr_dispatch_ptr 0
		.amdhsa_user_sgpr_queue_ptr 0
		.amdhsa_user_sgpr_kernarg_segment_ptr 1
		.amdhsa_user_sgpr_dispatch_id 0
		.amdhsa_user_sgpr_kernarg_preload_length 0
		.amdhsa_user_sgpr_kernarg_preload_offset 0
		.amdhsa_user_sgpr_private_segment_size 0
		.amdhsa_uses_dynamic_stack 0
		.amdhsa_enable_private_segment 0
		.amdhsa_system_sgpr_workgroup_id_x 1
		.amdhsa_system_sgpr_workgroup_id_y 0
		.amdhsa_system_sgpr_workgroup_id_z 0
		.amdhsa_system_sgpr_workgroup_info 0
		.amdhsa_system_vgpr_workitem_id 0
		.amdhsa_next_free_vgpr 1
		.amdhsa_next_free_sgpr 0
		.amdhsa_accum_offset 4
		.amdhsa_reserve_vcc 0
		.amdhsa_float_round_mode_32 0
		.amdhsa_float_round_mode_16_64 0
		.amdhsa_float_denorm_mode_32 3
		.amdhsa_float_denorm_mode_16_64 3
		.amdhsa_dx10_clamp 1
		.amdhsa_ieee_mode 1
		.amdhsa_fp16_overflow 0
		.amdhsa_tg_split 0
		.amdhsa_exception_fp_ieee_invalid_op 0
		.amdhsa_exception_fp_denorm_src 0
		.amdhsa_exception_fp_ieee_div_zero 0
		.amdhsa_exception_fp_ieee_overflow 0
		.amdhsa_exception_fp_ieee_underflow 0
		.amdhsa_exception_fp_ieee_inexact 0
		.amdhsa_exception_int_div_zero 0
	.end_amdhsa_kernel
	.section	.text._ZN7rocprim17ROCPRIM_400000_NS6detail17trampoline_kernelINS0_14default_configENS1_38merge_sort_block_merge_config_selectorIsNS0_10empty_typeEEEZZNS1_27merge_sort_block_merge_implIS3_N6thrust23THRUST_200600_302600_NS6detail15normal_iteratorINS9_10device_ptrIsEEEEPS5_jNS1_19radix_merge_compareILb0ELb1EsNS0_19identity_decomposerEEEEE10hipError_tT0_T1_T2_jT3_P12ihipStream_tbPNSt15iterator_traitsISK_E10value_typeEPNSQ_ISL_E10value_typeEPSM_NS1_7vsmem_tEENKUlT_SK_SL_SM_E_clISE_PsSF_SF_EESJ_SZ_SK_SL_SM_EUlSZ_E_NS1_11comp_targetILNS1_3genE9ELNS1_11target_archE1100ELNS1_3gpuE3ELNS1_3repE0EEENS1_48merge_mergepath_partition_config_static_selectorELNS0_4arch9wavefront6targetE1EEEvSL_,"axG",@progbits,_ZN7rocprim17ROCPRIM_400000_NS6detail17trampoline_kernelINS0_14default_configENS1_38merge_sort_block_merge_config_selectorIsNS0_10empty_typeEEEZZNS1_27merge_sort_block_merge_implIS3_N6thrust23THRUST_200600_302600_NS6detail15normal_iteratorINS9_10device_ptrIsEEEEPS5_jNS1_19radix_merge_compareILb0ELb1EsNS0_19identity_decomposerEEEEE10hipError_tT0_T1_T2_jT3_P12ihipStream_tbPNSt15iterator_traitsISK_E10value_typeEPNSQ_ISL_E10value_typeEPSM_NS1_7vsmem_tEENKUlT_SK_SL_SM_E_clISE_PsSF_SF_EESJ_SZ_SK_SL_SM_EUlSZ_E_NS1_11comp_targetILNS1_3genE9ELNS1_11target_archE1100ELNS1_3gpuE3ELNS1_3repE0EEENS1_48merge_mergepath_partition_config_static_selectorELNS0_4arch9wavefront6targetE1EEEvSL_,comdat
.Lfunc_end1905:
	.size	_ZN7rocprim17ROCPRIM_400000_NS6detail17trampoline_kernelINS0_14default_configENS1_38merge_sort_block_merge_config_selectorIsNS0_10empty_typeEEEZZNS1_27merge_sort_block_merge_implIS3_N6thrust23THRUST_200600_302600_NS6detail15normal_iteratorINS9_10device_ptrIsEEEEPS5_jNS1_19radix_merge_compareILb0ELb1EsNS0_19identity_decomposerEEEEE10hipError_tT0_T1_T2_jT3_P12ihipStream_tbPNSt15iterator_traitsISK_E10value_typeEPNSQ_ISL_E10value_typeEPSM_NS1_7vsmem_tEENKUlT_SK_SL_SM_E_clISE_PsSF_SF_EESJ_SZ_SK_SL_SM_EUlSZ_E_NS1_11comp_targetILNS1_3genE9ELNS1_11target_archE1100ELNS1_3gpuE3ELNS1_3repE0EEENS1_48merge_mergepath_partition_config_static_selectorELNS0_4arch9wavefront6targetE1EEEvSL_, .Lfunc_end1905-_ZN7rocprim17ROCPRIM_400000_NS6detail17trampoline_kernelINS0_14default_configENS1_38merge_sort_block_merge_config_selectorIsNS0_10empty_typeEEEZZNS1_27merge_sort_block_merge_implIS3_N6thrust23THRUST_200600_302600_NS6detail15normal_iteratorINS9_10device_ptrIsEEEEPS5_jNS1_19radix_merge_compareILb0ELb1EsNS0_19identity_decomposerEEEEE10hipError_tT0_T1_T2_jT3_P12ihipStream_tbPNSt15iterator_traitsISK_E10value_typeEPNSQ_ISL_E10value_typeEPSM_NS1_7vsmem_tEENKUlT_SK_SL_SM_E_clISE_PsSF_SF_EESJ_SZ_SK_SL_SM_EUlSZ_E_NS1_11comp_targetILNS1_3genE9ELNS1_11target_archE1100ELNS1_3gpuE3ELNS1_3repE0EEENS1_48merge_mergepath_partition_config_static_selectorELNS0_4arch9wavefront6targetE1EEEvSL_
                                        ; -- End function
	.section	.AMDGPU.csdata,"",@progbits
; Kernel info:
; codeLenInByte = 0
; NumSgprs: 6
; NumVgprs: 0
; NumAgprs: 0
; TotalNumVgprs: 0
; ScratchSize: 0
; MemoryBound: 0
; FloatMode: 240
; IeeeMode: 1
; LDSByteSize: 0 bytes/workgroup (compile time only)
; SGPRBlocks: 0
; VGPRBlocks: 0
; NumSGPRsForWavesPerEU: 6
; NumVGPRsForWavesPerEU: 1
; AccumOffset: 4
; Occupancy: 8
; WaveLimiterHint : 0
; COMPUTE_PGM_RSRC2:SCRATCH_EN: 0
; COMPUTE_PGM_RSRC2:USER_SGPR: 2
; COMPUTE_PGM_RSRC2:TRAP_HANDLER: 0
; COMPUTE_PGM_RSRC2:TGID_X_EN: 1
; COMPUTE_PGM_RSRC2:TGID_Y_EN: 0
; COMPUTE_PGM_RSRC2:TGID_Z_EN: 0
; COMPUTE_PGM_RSRC2:TIDIG_COMP_CNT: 0
; COMPUTE_PGM_RSRC3_GFX90A:ACCUM_OFFSET: 0
; COMPUTE_PGM_RSRC3_GFX90A:TG_SPLIT: 0
	.section	.text._ZN7rocprim17ROCPRIM_400000_NS6detail17trampoline_kernelINS0_14default_configENS1_38merge_sort_block_merge_config_selectorIsNS0_10empty_typeEEEZZNS1_27merge_sort_block_merge_implIS3_N6thrust23THRUST_200600_302600_NS6detail15normal_iteratorINS9_10device_ptrIsEEEEPS5_jNS1_19radix_merge_compareILb0ELb1EsNS0_19identity_decomposerEEEEE10hipError_tT0_T1_T2_jT3_P12ihipStream_tbPNSt15iterator_traitsISK_E10value_typeEPNSQ_ISL_E10value_typeEPSM_NS1_7vsmem_tEENKUlT_SK_SL_SM_E_clISE_PsSF_SF_EESJ_SZ_SK_SL_SM_EUlSZ_E_NS1_11comp_targetILNS1_3genE8ELNS1_11target_archE1030ELNS1_3gpuE2ELNS1_3repE0EEENS1_48merge_mergepath_partition_config_static_selectorELNS0_4arch9wavefront6targetE1EEEvSL_,"axG",@progbits,_ZN7rocprim17ROCPRIM_400000_NS6detail17trampoline_kernelINS0_14default_configENS1_38merge_sort_block_merge_config_selectorIsNS0_10empty_typeEEEZZNS1_27merge_sort_block_merge_implIS3_N6thrust23THRUST_200600_302600_NS6detail15normal_iteratorINS9_10device_ptrIsEEEEPS5_jNS1_19radix_merge_compareILb0ELb1EsNS0_19identity_decomposerEEEEE10hipError_tT0_T1_T2_jT3_P12ihipStream_tbPNSt15iterator_traitsISK_E10value_typeEPNSQ_ISL_E10value_typeEPSM_NS1_7vsmem_tEENKUlT_SK_SL_SM_E_clISE_PsSF_SF_EESJ_SZ_SK_SL_SM_EUlSZ_E_NS1_11comp_targetILNS1_3genE8ELNS1_11target_archE1030ELNS1_3gpuE2ELNS1_3repE0EEENS1_48merge_mergepath_partition_config_static_selectorELNS0_4arch9wavefront6targetE1EEEvSL_,comdat
	.protected	_ZN7rocprim17ROCPRIM_400000_NS6detail17trampoline_kernelINS0_14default_configENS1_38merge_sort_block_merge_config_selectorIsNS0_10empty_typeEEEZZNS1_27merge_sort_block_merge_implIS3_N6thrust23THRUST_200600_302600_NS6detail15normal_iteratorINS9_10device_ptrIsEEEEPS5_jNS1_19radix_merge_compareILb0ELb1EsNS0_19identity_decomposerEEEEE10hipError_tT0_T1_T2_jT3_P12ihipStream_tbPNSt15iterator_traitsISK_E10value_typeEPNSQ_ISL_E10value_typeEPSM_NS1_7vsmem_tEENKUlT_SK_SL_SM_E_clISE_PsSF_SF_EESJ_SZ_SK_SL_SM_EUlSZ_E_NS1_11comp_targetILNS1_3genE8ELNS1_11target_archE1030ELNS1_3gpuE2ELNS1_3repE0EEENS1_48merge_mergepath_partition_config_static_selectorELNS0_4arch9wavefront6targetE1EEEvSL_ ; -- Begin function _ZN7rocprim17ROCPRIM_400000_NS6detail17trampoline_kernelINS0_14default_configENS1_38merge_sort_block_merge_config_selectorIsNS0_10empty_typeEEEZZNS1_27merge_sort_block_merge_implIS3_N6thrust23THRUST_200600_302600_NS6detail15normal_iteratorINS9_10device_ptrIsEEEEPS5_jNS1_19radix_merge_compareILb0ELb1EsNS0_19identity_decomposerEEEEE10hipError_tT0_T1_T2_jT3_P12ihipStream_tbPNSt15iterator_traitsISK_E10value_typeEPNSQ_ISL_E10value_typeEPSM_NS1_7vsmem_tEENKUlT_SK_SL_SM_E_clISE_PsSF_SF_EESJ_SZ_SK_SL_SM_EUlSZ_E_NS1_11comp_targetILNS1_3genE8ELNS1_11target_archE1030ELNS1_3gpuE2ELNS1_3repE0EEENS1_48merge_mergepath_partition_config_static_selectorELNS0_4arch9wavefront6targetE1EEEvSL_
	.globl	_ZN7rocprim17ROCPRIM_400000_NS6detail17trampoline_kernelINS0_14default_configENS1_38merge_sort_block_merge_config_selectorIsNS0_10empty_typeEEEZZNS1_27merge_sort_block_merge_implIS3_N6thrust23THRUST_200600_302600_NS6detail15normal_iteratorINS9_10device_ptrIsEEEEPS5_jNS1_19radix_merge_compareILb0ELb1EsNS0_19identity_decomposerEEEEE10hipError_tT0_T1_T2_jT3_P12ihipStream_tbPNSt15iterator_traitsISK_E10value_typeEPNSQ_ISL_E10value_typeEPSM_NS1_7vsmem_tEENKUlT_SK_SL_SM_E_clISE_PsSF_SF_EESJ_SZ_SK_SL_SM_EUlSZ_E_NS1_11comp_targetILNS1_3genE8ELNS1_11target_archE1030ELNS1_3gpuE2ELNS1_3repE0EEENS1_48merge_mergepath_partition_config_static_selectorELNS0_4arch9wavefront6targetE1EEEvSL_
	.p2align	8
	.type	_ZN7rocprim17ROCPRIM_400000_NS6detail17trampoline_kernelINS0_14default_configENS1_38merge_sort_block_merge_config_selectorIsNS0_10empty_typeEEEZZNS1_27merge_sort_block_merge_implIS3_N6thrust23THRUST_200600_302600_NS6detail15normal_iteratorINS9_10device_ptrIsEEEEPS5_jNS1_19radix_merge_compareILb0ELb1EsNS0_19identity_decomposerEEEEE10hipError_tT0_T1_T2_jT3_P12ihipStream_tbPNSt15iterator_traitsISK_E10value_typeEPNSQ_ISL_E10value_typeEPSM_NS1_7vsmem_tEENKUlT_SK_SL_SM_E_clISE_PsSF_SF_EESJ_SZ_SK_SL_SM_EUlSZ_E_NS1_11comp_targetILNS1_3genE8ELNS1_11target_archE1030ELNS1_3gpuE2ELNS1_3repE0EEENS1_48merge_mergepath_partition_config_static_selectorELNS0_4arch9wavefront6targetE1EEEvSL_,@function
_ZN7rocprim17ROCPRIM_400000_NS6detail17trampoline_kernelINS0_14default_configENS1_38merge_sort_block_merge_config_selectorIsNS0_10empty_typeEEEZZNS1_27merge_sort_block_merge_implIS3_N6thrust23THRUST_200600_302600_NS6detail15normal_iteratorINS9_10device_ptrIsEEEEPS5_jNS1_19radix_merge_compareILb0ELb1EsNS0_19identity_decomposerEEEEE10hipError_tT0_T1_T2_jT3_P12ihipStream_tbPNSt15iterator_traitsISK_E10value_typeEPNSQ_ISL_E10value_typeEPSM_NS1_7vsmem_tEENKUlT_SK_SL_SM_E_clISE_PsSF_SF_EESJ_SZ_SK_SL_SM_EUlSZ_E_NS1_11comp_targetILNS1_3genE8ELNS1_11target_archE1030ELNS1_3gpuE2ELNS1_3repE0EEENS1_48merge_mergepath_partition_config_static_selectorELNS0_4arch9wavefront6targetE1EEEvSL_: ; @_ZN7rocprim17ROCPRIM_400000_NS6detail17trampoline_kernelINS0_14default_configENS1_38merge_sort_block_merge_config_selectorIsNS0_10empty_typeEEEZZNS1_27merge_sort_block_merge_implIS3_N6thrust23THRUST_200600_302600_NS6detail15normal_iteratorINS9_10device_ptrIsEEEEPS5_jNS1_19radix_merge_compareILb0ELb1EsNS0_19identity_decomposerEEEEE10hipError_tT0_T1_T2_jT3_P12ihipStream_tbPNSt15iterator_traitsISK_E10value_typeEPNSQ_ISL_E10value_typeEPSM_NS1_7vsmem_tEENKUlT_SK_SL_SM_E_clISE_PsSF_SF_EESJ_SZ_SK_SL_SM_EUlSZ_E_NS1_11comp_targetILNS1_3genE8ELNS1_11target_archE1030ELNS1_3gpuE2ELNS1_3repE0EEENS1_48merge_mergepath_partition_config_static_selectorELNS0_4arch9wavefront6targetE1EEEvSL_
; %bb.0:
	.section	.rodata,"a",@progbits
	.p2align	6, 0x0
	.amdhsa_kernel _ZN7rocprim17ROCPRIM_400000_NS6detail17trampoline_kernelINS0_14default_configENS1_38merge_sort_block_merge_config_selectorIsNS0_10empty_typeEEEZZNS1_27merge_sort_block_merge_implIS3_N6thrust23THRUST_200600_302600_NS6detail15normal_iteratorINS9_10device_ptrIsEEEEPS5_jNS1_19radix_merge_compareILb0ELb1EsNS0_19identity_decomposerEEEEE10hipError_tT0_T1_T2_jT3_P12ihipStream_tbPNSt15iterator_traitsISK_E10value_typeEPNSQ_ISL_E10value_typeEPSM_NS1_7vsmem_tEENKUlT_SK_SL_SM_E_clISE_PsSF_SF_EESJ_SZ_SK_SL_SM_EUlSZ_E_NS1_11comp_targetILNS1_3genE8ELNS1_11target_archE1030ELNS1_3gpuE2ELNS1_3repE0EEENS1_48merge_mergepath_partition_config_static_selectorELNS0_4arch9wavefront6targetE1EEEvSL_
		.amdhsa_group_segment_fixed_size 0
		.amdhsa_private_segment_fixed_size 0
		.amdhsa_kernarg_size 40
		.amdhsa_user_sgpr_count 2
		.amdhsa_user_sgpr_dispatch_ptr 0
		.amdhsa_user_sgpr_queue_ptr 0
		.amdhsa_user_sgpr_kernarg_segment_ptr 1
		.amdhsa_user_sgpr_dispatch_id 0
		.amdhsa_user_sgpr_kernarg_preload_length 0
		.amdhsa_user_sgpr_kernarg_preload_offset 0
		.amdhsa_user_sgpr_private_segment_size 0
		.amdhsa_uses_dynamic_stack 0
		.amdhsa_enable_private_segment 0
		.amdhsa_system_sgpr_workgroup_id_x 1
		.amdhsa_system_sgpr_workgroup_id_y 0
		.amdhsa_system_sgpr_workgroup_id_z 0
		.amdhsa_system_sgpr_workgroup_info 0
		.amdhsa_system_vgpr_workitem_id 0
		.amdhsa_next_free_vgpr 1
		.amdhsa_next_free_sgpr 0
		.amdhsa_accum_offset 4
		.amdhsa_reserve_vcc 0
		.amdhsa_float_round_mode_32 0
		.amdhsa_float_round_mode_16_64 0
		.amdhsa_float_denorm_mode_32 3
		.amdhsa_float_denorm_mode_16_64 3
		.amdhsa_dx10_clamp 1
		.amdhsa_ieee_mode 1
		.amdhsa_fp16_overflow 0
		.amdhsa_tg_split 0
		.amdhsa_exception_fp_ieee_invalid_op 0
		.amdhsa_exception_fp_denorm_src 0
		.amdhsa_exception_fp_ieee_div_zero 0
		.amdhsa_exception_fp_ieee_overflow 0
		.amdhsa_exception_fp_ieee_underflow 0
		.amdhsa_exception_fp_ieee_inexact 0
		.amdhsa_exception_int_div_zero 0
	.end_amdhsa_kernel
	.section	.text._ZN7rocprim17ROCPRIM_400000_NS6detail17trampoline_kernelINS0_14default_configENS1_38merge_sort_block_merge_config_selectorIsNS0_10empty_typeEEEZZNS1_27merge_sort_block_merge_implIS3_N6thrust23THRUST_200600_302600_NS6detail15normal_iteratorINS9_10device_ptrIsEEEEPS5_jNS1_19radix_merge_compareILb0ELb1EsNS0_19identity_decomposerEEEEE10hipError_tT0_T1_T2_jT3_P12ihipStream_tbPNSt15iterator_traitsISK_E10value_typeEPNSQ_ISL_E10value_typeEPSM_NS1_7vsmem_tEENKUlT_SK_SL_SM_E_clISE_PsSF_SF_EESJ_SZ_SK_SL_SM_EUlSZ_E_NS1_11comp_targetILNS1_3genE8ELNS1_11target_archE1030ELNS1_3gpuE2ELNS1_3repE0EEENS1_48merge_mergepath_partition_config_static_selectorELNS0_4arch9wavefront6targetE1EEEvSL_,"axG",@progbits,_ZN7rocprim17ROCPRIM_400000_NS6detail17trampoline_kernelINS0_14default_configENS1_38merge_sort_block_merge_config_selectorIsNS0_10empty_typeEEEZZNS1_27merge_sort_block_merge_implIS3_N6thrust23THRUST_200600_302600_NS6detail15normal_iteratorINS9_10device_ptrIsEEEEPS5_jNS1_19radix_merge_compareILb0ELb1EsNS0_19identity_decomposerEEEEE10hipError_tT0_T1_T2_jT3_P12ihipStream_tbPNSt15iterator_traitsISK_E10value_typeEPNSQ_ISL_E10value_typeEPSM_NS1_7vsmem_tEENKUlT_SK_SL_SM_E_clISE_PsSF_SF_EESJ_SZ_SK_SL_SM_EUlSZ_E_NS1_11comp_targetILNS1_3genE8ELNS1_11target_archE1030ELNS1_3gpuE2ELNS1_3repE0EEENS1_48merge_mergepath_partition_config_static_selectorELNS0_4arch9wavefront6targetE1EEEvSL_,comdat
.Lfunc_end1906:
	.size	_ZN7rocprim17ROCPRIM_400000_NS6detail17trampoline_kernelINS0_14default_configENS1_38merge_sort_block_merge_config_selectorIsNS0_10empty_typeEEEZZNS1_27merge_sort_block_merge_implIS3_N6thrust23THRUST_200600_302600_NS6detail15normal_iteratorINS9_10device_ptrIsEEEEPS5_jNS1_19radix_merge_compareILb0ELb1EsNS0_19identity_decomposerEEEEE10hipError_tT0_T1_T2_jT3_P12ihipStream_tbPNSt15iterator_traitsISK_E10value_typeEPNSQ_ISL_E10value_typeEPSM_NS1_7vsmem_tEENKUlT_SK_SL_SM_E_clISE_PsSF_SF_EESJ_SZ_SK_SL_SM_EUlSZ_E_NS1_11comp_targetILNS1_3genE8ELNS1_11target_archE1030ELNS1_3gpuE2ELNS1_3repE0EEENS1_48merge_mergepath_partition_config_static_selectorELNS0_4arch9wavefront6targetE1EEEvSL_, .Lfunc_end1906-_ZN7rocprim17ROCPRIM_400000_NS6detail17trampoline_kernelINS0_14default_configENS1_38merge_sort_block_merge_config_selectorIsNS0_10empty_typeEEEZZNS1_27merge_sort_block_merge_implIS3_N6thrust23THRUST_200600_302600_NS6detail15normal_iteratorINS9_10device_ptrIsEEEEPS5_jNS1_19radix_merge_compareILb0ELb1EsNS0_19identity_decomposerEEEEE10hipError_tT0_T1_T2_jT3_P12ihipStream_tbPNSt15iterator_traitsISK_E10value_typeEPNSQ_ISL_E10value_typeEPSM_NS1_7vsmem_tEENKUlT_SK_SL_SM_E_clISE_PsSF_SF_EESJ_SZ_SK_SL_SM_EUlSZ_E_NS1_11comp_targetILNS1_3genE8ELNS1_11target_archE1030ELNS1_3gpuE2ELNS1_3repE0EEENS1_48merge_mergepath_partition_config_static_selectorELNS0_4arch9wavefront6targetE1EEEvSL_
                                        ; -- End function
	.section	.AMDGPU.csdata,"",@progbits
; Kernel info:
; codeLenInByte = 0
; NumSgprs: 6
; NumVgprs: 0
; NumAgprs: 0
; TotalNumVgprs: 0
; ScratchSize: 0
; MemoryBound: 0
; FloatMode: 240
; IeeeMode: 1
; LDSByteSize: 0 bytes/workgroup (compile time only)
; SGPRBlocks: 0
; VGPRBlocks: 0
; NumSGPRsForWavesPerEU: 6
; NumVGPRsForWavesPerEU: 1
; AccumOffset: 4
; Occupancy: 8
; WaveLimiterHint : 0
; COMPUTE_PGM_RSRC2:SCRATCH_EN: 0
; COMPUTE_PGM_RSRC2:USER_SGPR: 2
; COMPUTE_PGM_RSRC2:TRAP_HANDLER: 0
; COMPUTE_PGM_RSRC2:TGID_X_EN: 1
; COMPUTE_PGM_RSRC2:TGID_Y_EN: 0
; COMPUTE_PGM_RSRC2:TGID_Z_EN: 0
; COMPUTE_PGM_RSRC2:TIDIG_COMP_CNT: 0
; COMPUTE_PGM_RSRC3_GFX90A:ACCUM_OFFSET: 0
; COMPUTE_PGM_RSRC3_GFX90A:TG_SPLIT: 0
	.section	.text._ZN7rocprim17ROCPRIM_400000_NS6detail17trampoline_kernelINS0_14default_configENS1_38merge_sort_block_merge_config_selectorIsNS0_10empty_typeEEEZZNS1_27merge_sort_block_merge_implIS3_N6thrust23THRUST_200600_302600_NS6detail15normal_iteratorINS9_10device_ptrIsEEEEPS5_jNS1_19radix_merge_compareILb0ELb1EsNS0_19identity_decomposerEEEEE10hipError_tT0_T1_T2_jT3_P12ihipStream_tbPNSt15iterator_traitsISK_E10value_typeEPNSQ_ISL_E10value_typeEPSM_NS1_7vsmem_tEENKUlT_SK_SL_SM_E_clISE_PsSF_SF_EESJ_SZ_SK_SL_SM_EUlSZ_E0_NS1_11comp_targetILNS1_3genE0ELNS1_11target_archE4294967295ELNS1_3gpuE0ELNS1_3repE0EEENS1_38merge_mergepath_config_static_selectorELNS0_4arch9wavefront6targetE1EEEvSL_,"axG",@progbits,_ZN7rocprim17ROCPRIM_400000_NS6detail17trampoline_kernelINS0_14default_configENS1_38merge_sort_block_merge_config_selectorIsNS0_10empty_typeEEEZZNS1_27merge_sort_block_merge_implIS3_N6thrust23THRUST_200600_302600_NS6detail15normal_iteratorINS9_10device_ptrIsEEEEPS5_jNS1_19radix_merge_compareILb0ELb1EsNS0_19identity_decomposerEEEEE10hipError_tT0_T1_T2_jT3_P12ihipStream_tbPNSt15iterator_traitsISK_E10value_typeEPNSQ_ISL_E10value_typeEPSM_NS1_7vsmem_tEENKUlT_SK_SL_SM_E_clISE_PsSF_SF_EESJ_SZ_SK_SL_SM_EUlSZ_E0_NS1_11comp_targetILNS1_3genE0ELNS1_11target_archE4294967295ELNS1_3gpuE0ELNS1_3repE0EEENS1_38merge_mergepath_config_static_selectorELNS0_4arch9wavefront6targetE1EEEvSL_,comdat
	.protected	_ZN7rocprim17ROCPRIM_400000_NS6detail17trampoline_kernelINS0_14default_configENS1_38merge_sort_block_merge_config_selectorIsNS0_10empty_typeEEEZZNS1_27merge_sort_block_merge_implIS3_N6thrust23THRUST_200600_302600_NS6detail15normal_iteratorINS9_10device_ptrIsEEEEPS5_jNS1_19radix_merge_compareILb0ELb1EsNS0_19identity_decomposerEEEEE10hipError_tT0_T1_T2_jT3_P12ihipStream_tbPNSt15iterator_traitsISK_E10value_typeEPNSQ_ISL_E10value_typeEPSM_NS1_7vsmem_tEENKUlT_SK_SL_SM_E_clISE_PsSF_SF_EESJ_SZ_SK_SL_SM_EUlSZ_E0_NS1_11comp_targetILNS1_3genE0ELNS1_11target_archE4294967295ELNS1_3gpuE0ELNS1_3repE0EEENS1_38merge_mergepath_config_static_selectorELNS0_4arch9wavefront6targetE1EEEvSL_ ; -- Begin function _ZN7rocprim17ROCPRIM_400000_NS6detail17trampoline_kernelINS0_14default_configENS1_38merge_sort_block_merge_config_selectorIsNS0_10empty_typeEEEZZNS1_27merge_sort_block_merge_implIS3_N6thrust23THRUST_200600_302600_NS6detail15normal_iteratorINS9_10device_ptrIsEEEEPS5_jNS1_19radix_merge_compareILb0ELb1EsNS0_19identity_decomposerEEEEE10hipError_tT0_T1_T2_jT3_P12ihipStream_tbPNSt15iterator_traitsISK_E10value_typeEPNSQ_ISL_E10value_typeEPSM_NS1_7vsmem_tEENKUlT_SK_SL_SM_E_clISE_PsSF_SF_EESJ_SZ_SK_SL_SM_EUlSZ_E0_NS1_11comp_targetILNS1_3genE0ELNS1_11target_archE4294967295ELNS1_3gpuE0ELNS1_3repE0EEENS1_38merge_mergepath_config_static_selectorELNS0_4arch9wavefront6targetE1EEEvSL_
	.globl	_ZN7rocprim17ROCPRIM_400000_NS6detail17trampoline_kernelINS0_14default_configENS1_38merge_sort_block_merge_config_selectorIsNS0_10empty_typeEEEZZNS1_27merge_sort_block_merge_implIS3_N6thrust23THRUST_200600_302600_NS6detail15normal_iteratorINS9_10device_ptrIsEEEEPS5_jNS1_19radix_merge_compareILb0ELb1EsNS0_19identity_decomposerEEEEE10hipError_tT0_T1_T2_jT3_P12ihipStream_tbPNSt15iterator_traitsISK_E10value_typeEPNSQ_ISL_E10value_typeEPSM_NS1_7vsmem_tEENKUlT_SK_SL_SM_E_clISE_PsSF_SF_EESJ_SZ_SK_SL_SM_EUlSZ_E0_NS1_11comp_targetILNS1_3genE0ELNS1_11target_archE4294967295ELNS1_3gpuE0ELNS1_3repE0EEENS1_38merge_mergepath_config_static_selectorELNS0_4arch9wavefront6targetE1EEEvSL_
	.p2align	8
	.type	_ZN7rocprim17ROCPRIM_400000_NS6detail17trampoline_kernelINS0_14default_configENS1_38merge_sort_block_merge_config_selectorIsNS0_10empty_typeEEEZZNS1_27merge_sort_block_merge_implIS3_N6thrust23THRUST_200600_302600_NS6detail15normal_iteratorINS9_10device_ptrIsEEEEPS5_jNS1_19radix_merge_compareILb0ELb1EsNS0_19identity_decomposerEEEEE10hipError_tT0_T1_T2_jT3_P12ihipStream_tbPNSt15iterator_traitsISK_E10value_typeEPNSQ_ISL_E10value_typeEPSM_NS1_7vsmem_tEENKUlT_SK_SL_SM_E_clISE_PsSF_SF_EESJ_SZ_SK_SL_SM_EUlSZ_E0_NS1_11comp_targetILNS1_3genE0ELNS1_11target_archE4294967295ELNS1_3gpuE0ELNS1_3repE0EEENS1_38merge_mergepath_config_static_selectorELNS0_4arch9wavefront6targetE1EEEvSL_,@function
_ZN7rocprim17ROCPRIM_400000_NS6detail17trampoline_kernelINS0_14default_configENS1_38merge_sort_block_merge_config_selectorIsNS0_10empty_typeEEEZZNS1_27merge_sort_block_merge_implIS3_N6thrust23THRUST_200600_302600_NS6detail15normal_iteratorINS9_10device_ptrIsEEEEPS5_jNS1_19radix_merge_compareILb0ELb1EsNS0_19identity_decomposerEEEEE10hipError_tT0_T1_T2_jT3_P12ihipStream_tbPNSt15iterator_traitsISK_E10value_typeEPNSQ_ISL_E10value_typeEPSM_NS1_7vsmem_tEENKUlT_SK_SL_SM_E_clISE_PsSF_SF_EESJ_SZ_SK_SL_SM_EUlSZ_E0_NS1_11comp_targetILNS1_3genE0ELNS1_11target_archE4294967295ELNS1_3gpuE0ELNS1_3repE0EEENS1_38merge_mergepath_config_static_selectorELNS0_4arch9wavefront6targetE1EEEvSL_: ; @_ZN7rocprim17ROCPRIM_400000_NS6detail17trampoline_kernelINS0_14default_configENS1_38merge_sort_block_merge_config_selectorIsNS0_10empty_typeEEEZZNS1_27merge_sort_block_merge_implIS3_N6thrust23THRUST_200600_302600_NS6detail15normal_iteratorINS9_10device_ptrIsEEEEPS5_jNS1_19radix_merge_compareILb0ELb1EsNS0_19identity_decomposerEEEEE10hipError_tT0_T1_T2_jT3_P12ihipStream_tbPNSt15iterator_traitsISK_E10value_typeEPNSQ_ISL_E10value_typeEPSM_NS1_7vsmem_tEENKUlT_SK_SL_SM_E_clISE_PsSF_SF_EESJ_SZ_SK_SL_SM_EUlSZ_E0_NS1_11comp_targetILNS1_3genE0ELNS1_11target_archE4294967295ELNS1_3gpuE0ELNS1_3repE0EEENS1_38merge_mergepath_config_static_selectorELNS0_4arch9wavefront6targetE1EEEvSL_
; %bb.0:
	.section	.rodata,"a",@progbits
	.p2align	6, 0x0
	.amdhsa_kernel _ZN7rocprim17ROCPRIM_400000_NS6detail17trampoline_kernelINS0_14default_configENS1_38merge_sort_block_merge_config_selectorIsNS0_10empty_typeEEEZZNS1_27merge_sort_block_merge_implIS3_N6thrust23THRUST_200600_302600_NS6detail15normal_iteratorINS9_10device_ptrIsEEEEPS5_jNS1_19radix_merge_compareILb0ELb1EsNS0_19identity_decomposerEEEEE10hipError_tT0_T1_T2_jT3_P12ihipStream_tbPNSt15iterator_traitsISK_E10value_typeEPNSQ_ISL_E10value_typeEPSM_NS1_7vsmem_tEENKUlT_SK_SL_SM_E_clISE_PsSF_SF_EESJ_SZ_SK_SL_SM_EUlSZ_E0_NS1_11comp_targetILNS1_3genE0ELNS1_11target_archE4294967295ELNS1_3gpuE0ELNS1_3repE0EEENS1_38merge_mergepath_config_static_selectorELNS0_4arch9wavefront6targetE1EEEvSL_
		.amdhsa_group_segment_fixed_size 0
		.amdhsa_private_segment_fixed_size 0
		.amdhsa_kernarg_size 64
		.amdhsa_user_sgpr_count 2
		.amdhsa_user_sgpr_dispatch_ptr 0
		.amdhsa_user_sgpr_queue_ptr 0
		.amdhsa_user_sgpr_kernarg_segment_ptr 1
		.amdhsa_user_sgpr_dispatch_id 0
		.amdhsa_user_sgpr_kernarg_preload_length 0
		.amdhsa_user_sgpr_kernarg_preload_offset 0
		.amdhsa_user_sgpr_private_segment_size 0
		.amdhsa_uses_dynamic_stack 0
		.amdhsa_enable_private_segment 0
		.amdhsa_system_sgpr_workgroup_id_x 1
		.amdhsa_system_sgpr_workgroup_id_y 0
		.amdhsa_system_sgpr_workgroup_id_z 0
		.amdhsa_system_sgpr_workgroup_info 0
		.amdhsa_system_vgpr_workitem_id 0
		.amdhsa_next_free_vgpr 1
		.amdhsa_next_free_sgpr 0
		.amdhsa_accum_offset 4
		.amdhsa_reserve_vcc 0
		.amdhsa_float_round_mode_32 0
		.amdhsa_float_round_mode_16_64 0
		.amdhsa_float_denorm_mode_32 3
		.amdhsa_float_denorm_mode_16_64 3
		.amdhsa_dx10_clamp 1
		.amdhsa_ieee_mode 1
		.amdhsa_fp16_overflow 0
		.amdhsa_tg_split 0
		.amdhsa_exception_fp_ieee_invalid_op 0
		.amdhsa_exception_fp_denorm_src 0
		.amdhsa_exception_fp_ieee_div_zero 0
		.amdhsa_exception_fp_ieee_overflow 0
		.amdhsa_exception_fp_ieee_underflow 0
		.amdhsa_exception_fp_ieee_inexact 0
		.amdhsa_exception_int_div_zero 0
	.end_amdhsa_kernel
	.section	.text._ZN7rocprim17ROCPRIM_400000_NS6detail17trampoline_kernelINS0_14default_configENS1_38merge_sort_block_merge_config_selectorIsNS0_10empty_typeEEEZZNS1_27merge_sort_block_merge_implIS3_N6thrust23THRUST_200600_302600_NS6detail15normal_iteratorINS9_10device_ptrIsEEEEPS5_jNS1_19radix_merge_compareILb0ELb1EsNS0_19identity_decomposerEEEEE10hipError_tT0_T1_T2_jT3_P12ihipStream_tbPNSt15iterator_traitsISK_E10value_typeEPNSQ_ISL_E10value_typeEPSM_NS1_7vsmem_tEENKUlT_SK_SL_SM_E_clISE_PsSF_SF_EESJ_SZ_SK_SL_SM_EUlSZ_E0_NS1_11comp_targetILNS1_3genE0ELNS1_11target_archE4294967295ELNS1_3gpuE0ELNS1_3repE0EEENS1_38merge_mergepath_config_static_selectorELNS0_4arch9wavefront6targetE1EEEvSL_,"axG",@progbits,_ZN7rocprim17ROCPRIM_400000_NS6detail17trampoline_kernelINS0_14default_configENS1_38merge_sort_block_merge_config_selectorIsNS0_10empty_typeEEEZZNS1_27merge_sort_block_merge_implIS3_N6thrust23THRUST_200600_302600_NS6detail15normal_iteratorINS9_10device_ptrIsEEEEPS5_jNS1_19radix_merge_compareILb0ELb1EsNS0_19identity_decomposerEEEEE10hipError_tT0_T1_T2_jT3_P12ihipStream_tbPNSt15iterator_traitsISK_E10value_typeEPNSQ_ISL_E10value_typeEPSM_NS1_7vsmem_tEENKUlT_SK_SL_SM_E_clISE_PsSF_SF_EESJ_SZ_SK_SL_SM_EUlSZ_E0_NS1_11comp_targetILNS1_3genE0ELNS1_11target_archE4294967295ELNS1_3gpuE0ELNS1_3repE0EEENS1_38merge_mergepath_config_static_selectorELNS0_4arch9wavefront6targetE1EEEvSL_,comdat
.Lfunc_end1907:
	.size	_ZN7rocprim17ROCPRIM_400000_NS6detail17trampoline_kernelINS0_14default_configENS1_38merge_sort_block_merge_config_selectorIsNS0_10empty_typeEEEZZNS1_27merge_sort_block_merge_implIS3_N6thrust23THRUST_200600_302600_NS6detail15normal_iteratorINS9_10device_ptrIsEEEEPS5_jNS1_19radix_merge_compareILb0ELb1EsNS0_19identity_decomposerEEEEE10hipError_tT0_T1_T2_jT3_P12ihipStream_tbPNSt15iterator_traitsISK_E10value_typeEPNSQ_ISL_E10value_typeEPSM_NS1_7vsmem_tEENKUlT_SK_SL_SM_E_clISE_PsSF_SF_EESJ_SZ_SK_SL_SM_EUlSZ_E0_NS1_11comp_targetILNS1_3genE0ELNS1_11target_archE4294967295ELNS1_3gpuE0ELNS1_3repE0EEENS1_38merge_mergepath_config_static_selectorELNS0_4arch9wavefront6targetE1EEEvSL_, .Lfunc_end1907-_ZN7rocprim17ROCPRIM_400000_NS6detail17trampoline_kernelINS0_14default_configENS1_38merge_sort_block_merge_config_selectorIsNS0_10empty_typeEEEZZNS1_27merge_sort_block_merge_implIS3_N6thrust23THRUST_200600_302600_NS6detail15normal_iteratorINS9_10device_ptrIsEEEEPS5_jNS1_19radix_merge_compareILb0ELb1EsNS0_19identity_decomposerEEEEE10hipError_tT0_T1_T2_jT3_P12ihipStream_tbPNSt15iterator_traitsISK_E10value_typeEPNSQ_ISL_E10value_typeEPSM_NS1_7vsmem_tEENKUlT_SK_SL_SM_E_clISE_PsSF_SF_EESJ_SZ_SK_SL_SM_EUlSZ_E0_NS1_11comp_targetILNS1_3genE0ELNS1_11target_archE4294967295ELNS1_3gpuE0ELNS1_3repE0EEENS1_38merge_mergepath_config_static_selectorELNS0_4arch9wavefront6targetE1EEEvSL_
                                        ; -- End function
	.section	.AMDGPU.csdata,"",@progbits
; Kernel info:
; codeLenInByte = 0
; NumSgprs: 6
; NumVgprs: 0
; NumAgprs: 0
; TotalNumVgprs: 0
; ScratchSize: 0
; MemoryBound: 0
; FloatMode: 240
; IeeeMode: 1
; LDSByteSize: 0 bytes/workgroup (compile time only)
; SGPRBlocks: 0
; VGPRBlocks: 0
; NumSGPRsForWavesPerEU: 6
; NumVGPRsForWavesPerEU: 1
; AccumOffset: 4
; Occupancy: 8
; WaveLimiterHint : 0
; COMPUTE_PGM_RSRC2:SCRATCH_EN: 0
; COMPUTE_PGM_RSRC2:USER_SGPR: 2
; COMPUTE_PGM_RSRC2:TRAP_HANDLER: 0
; COMPUTE_PGM_RSRC2:TGID_X_EN: 1
; COMPUTE_PGM_RSRC2:TGID_Y_EN: 0
; COMPUTE_PGM_RSRC2:TGID_Z_EN: 0
; COMPUTE_PGM_RSRC2:TIDIG_COMP_CNT: 0
; COMPUTE_PGM_RSRC3_GFX90A:ACCUM_OFFSET: 0
; COMPUTE_PGM_RSRC3_GFX90A:TG_SPLIT: 0
	.section	.text._ZN7rocprim17ROCPRIM_400000_NS6detail17trampoline_kernelINS0_14default_configENS1_38merge_sort_block_merge_config_selectorIsNS0_10empty_typeEEEZZNS1_27merge_sort_block_merge_implIS3_N6thrust23THRUST_200600_302600_NS6detail15normal_iteratorINS9_10device_ptrIsEEEEPS5_jNS1_19radix_merge_compareILb0ELb1EsNS0_19identity_decomposerEEEEE10hipError_tT0_T1_T2_jT3_P12ihipStream_tbPNSt15iterator_traitsISK_E10value_typeEPNSQ_ISL_E10value_typeEPSM_NS1_7vsmem_tEENKUlT_SK_SL_SM_E_clISE_PsSF_SF_EESJ_SZ_SK_SL_SM_EUlSZ_E0_NS1_11comp_targetILNS1_3genE10ELNS1_11target_archE1201ELNS1_3gpuE5ELNS1_3repE0EEENS1_38merge_mergepath_config_static_selectorELNS0_4arch9wavefront6targetE1EEEvSL_,"axG",@progbits,_ZN7rocprim17ROCPRIM_400000_NS6detail17trampoline_kernelINS0_14default_configENS1_38merge_sort_block_merge_config_selectorIsNS0_10empty_typeEEEZZNS1_27merge_sort_block_merge_implIS3_N6thrust23THRUST_200600_302600_NS6detail15normal_iteratorINS9_10device_ptrIsEEEEPS5_jNS1_19radix_merge_compareILb0ELb1EsNS0_19identity_decomposerEEEEE10hipError_tT0_T1_T2_jT3_P12ihipStream_tbPNSt15iterator_traitsISK_E10value_typeEPNSQ_ISL_E10value_typeEPSM_NS1_7vsmem_tEENKUlT_SK_SL_SM_E_clISE_PsSF_SF_EESJ_SZ_SK_SL_SM_EUlSZ_E0_NS1_11comp_targetILNS1_3genE10ELNS1_11target_archE1201ELNS1_3gpuE5ELNS1_3repE0EEENS1_38merge_mergepath_config_static_selectorELNS0_4arch9wavefront6targetE1EEEvSL_,comdat
	.protected	_ZN7rocprim17ROCPRIM_400000_NS6detail17trampoline_kernelINS0_14default_configENS1_38merge_sort_block_merge_config_selectorIsNS0_10empty_typeEEEZZNS1_27merge_sort_block_merge_implIS3_N6thrust23THRUST_200600_302600_NS6detail15normal_iteratorINS9_10device_ptrIsEEEEPS5_jNS1_19radix_merge_compareILb0ELb1EsNS0_19identity_decomposerEEEEE10hipError_tT0_T1_T2_jT3_P12ihipStream_tbPNSt15iterator_traitsISK_E10value_typeEPNSQ_ISL_E10value_typeEPSM_NS1_7vsmem_tEENKUlT_SK_SL_SM_E_clISE_PsSF_SF_EESJ_SZ_SK_SL_SM_EUlSZ_E0_NS1_11comp_targetILNS1_3genE10ELNS1_11target_archE1201ELNS1_3gpuE5ELNS1_3repE0EEENS1_38merge_mergepath_config_static_selectorELNS0_4arch9wavefront6targetE1EEEvSL_ ; -- Begin function _ZN7rocprim17ROCPRIM_400000_NS6detail17trampoline_kernelINS0_14default_configENS1_38merge_sort_block_merge_config_selectorIsNS0_10empty_typeEEEZZNS1_27merge_sort_block_merge_implIS3_N6thrust23THRUST_200600_302600_NS6detail15normal_iteratorINS9_10device_ptrIsEEEEPS5_jNS1_19radix_merge_compareILb0ELb1EsNS0_19identity_decomposerEEEEE10hipError_tT0_T1_T2_jT3_P12ihipStream_tbPNSt15iterator_traitsISK_E10value_typeEPNSQ_ISL_E10value_typeEPSM_NS1_7vsmem_tEENKUlT_SK_SL_SM_E_clISE_PsSF_SF_EESJ_SZ_SK_SL_SM_EUlSZ_E0_NS1_11comp_targetILNS1_3genE10ELNS1_11target_archE1201ELNS1_3gpuE5ELNS1_3repE0EEENS1_38merge_mergepath_config_static_selectorELNS0_4arch9wavefront6targetE1EEEvSL_
	.globl	_ZN7rocprim17ROCPRIM_400000_NS6detail17trampoline_kernelINS0_14default_configENS1_38merge_sort_block_merge_config_selectorIsNS0_10empty_typeEEEZZNS1_27merge_sort_block_merge_implIS3_N6thrust23THRUST_200600_302600_NS6detail15normal_iteratorINS9_10device_ptrIsEEEEPS5_jNS1_19radix_merge_compareILb0ELb1EsNS0_19identity_decomposerEEEEE10hipError_tT0_T1_T2_jT3_P12ihipStream_tbPNSt15iterator_traitsISK_E10value_typeEPNSQ_ISL_E10value_typeEPSM_NS1_7vsmem_tEENKUlT_SK_SL_SM_E_clISE_PsSF_SF_EESJ_SZ_SK_SL_SM_EUlSZ_E0_NS1_11comp_targetILNS1_3genE10ELNS1_11target_archE1201ELNS1_3gpuE5ELNS1_3repE0EEENS1_38merge_mergepath_config_static_selectorELNS0_4arch9wavefront6targetE1EEEvSL_
	.p2align	8
	.type	_ZN7rocprim17ROCPRIM_400000_NS6detail17trampoline_kernelINS0_14default_configENS1_38merge_sort_block_merge_config_selectorIsNS0_10empty_typeEEEZZNS1_27merge_sort_block_merge_implIS3_N6thrust23THRUST_200600_302600_NS6detail15normal_iteratorINS9_10device_ptrIsEEEEPS5_jNS1_19radix_merge_compareILb0ELb1EsNS0_19identity_decomposerEEEEE10hipError_tT0_T1_T2_jT3_P12ihipStream_tbPNSt15iterator_traitsISK_E10value_typeEPNSQ_ISL_E10value_typeEPSM_NS1_7vsmem_tEENKUlT_SK_SL_SM_E_clISE_PsSF_SF_EESJ_SZ_SK_SL_SM_EUlSZ_E0_NS1_11comp_targetILNS1_3genE10ELNS1_11target_archE1201ELNS1_3gpuE5ELNS1_3repE0EEENS1_38merge_mergepath_config_static_selectorELNS0_4arch9wavefront6targetE1EEEvSL_,@function
_ZN7rocprim17ROCPRIM_400000_NS6detail17trampoline_kernelINS0_14default_configENS1_38merge_sort_block_merge_config_selectorIsNS0_10empty_typeEEEZZNS1_27merge_sort_block_merge_implIS3_N6thrust23THRUST_200600_302600_NS6detail15normal_iteratorINS9_10device_ptrIsEEEEPS5_jNS1_19radix_merge_compareILb0ELb1EsNS0_19identity_decomposerEEEEE10hipError_tT0_T1_T2_jT3_P12ihipStream_tbPNSt15iterator_traitsISK_E10value_typeEPNSQ_ISL_E10value_typeEPSM_NS1_7vsmem_tEENKUlT_SK_SL_SM_E_clISE_PsSF_SF_EESJ_SZ_SK_SL_SM_EUlSZ_E0_NS1_11comp_targetILNS1_3genE10ELNS1_11target_archE1201ELNS1_3gpuE5ELNS1_3repE0EEENS1_38merge_mergepath_config_static_selectorELNS0_4arch9wavefront6targetE1EEEvSL_: ; @_ZN7rocprim17ROCPRIM_400000_NS6detail17trampoline_kernelINS0_14default_configENS1_38merge_sort_block_merge_config_selectorIsNS0_10empty_typeEEEZZNS1_27merge_sort_block_merge_implIS3_N6thrust23THRUST_200600_302600_NS6detail15normal_iteratorINS9_10device_ptrIsEEEEPS5_jNS1_19radix_merge_compareILb0ELb1EsNS0_19identity_decomposerEEEEE10hipError_tT0_T1_T2_jT3_P12ihipStream_tbPNSt15iterator_traitsISK_E10value_typeEPNSQ_ISL_E10value_typeEPSM_NS1_7vsmem_tEENKUlT_SK_SL_SM_E_clISE_PsSF_SF_EESJ_SZ_SK_SL_SM_EUlSZ_E0_NS1_11comp_targetILNS1_3genE10ELNS1_11target_archE1201ELNS1_3gpuE5ELNS1_3repE0EEENS1_38merge_mergepath_config_static_selectorELNS0_4arch9wavefront6targetE1EEEvSL_
; %bb.0:
	.section	.rodata,"a",@progbits
	.p2align	6, 0x0
	.amdhsa_kernel _ZN7rocprim17ROCPRIM_400000_NS6detail17trampoline_kernelINS0_14default_configENS1_38merge_sort_block_merge_config_selectorIsNS0_10empty_typeEEEZZNS1_27merge_sort_block_merge_implIS3_N6thrust23THRUST_200600_302600_NS6detail15normal_iteratorINS9_10device_ptrIsEEEEPS5_jNS1_19radix_merge_compareILb0ELb1EsNS0_19identity_decomposerEEEEE10hipError_tT0_T1_T2_jT3_P12ihipStream_tbPNSt15iterator_traitsISK_E10value_typeEPNSQ_ISL_E10value_typeEPSM_NS1_7vsmem_tEENKUlT_SK_SL_SM_E_clISE_PsSF_SF_EESJ_SZ_SK_SL_SM_EUlSZ_E0_NS1_11comp_targetILNS1_3genE10ELNS1_11target_archE1201ELNS1_3gpuE5ELNS1_3repE0EEENS1_38merge_mergepath_config_static_selectorELNS0_4arch9wavefront6targetE1EEEvSL_
		.amdhsa_group_segment_fixed_size 0
		.amdhsa_private_segment_fixed_size 0
		.amdhsa_kernarg_size 64
		.amdhsa_user_sgpr_count 2
		.amdhsa_user_sgpr_dispatch_ptr 0
		.amdhsa_user_sgpr_queue_ptr 0
		.amdhsa_user_sgpr_kernarg_segment_ptr 1
		.amdhsa_user_sgpr_dispatch_id 0
		.amdhsa_user_sgpr_kernarg_preload_length 0
		.amdhsa_user_sgpr_kernarg_preload_offset 0
		.amdhsa_user_sgpr_private_segment_size 0
		.amdhsa_uses_dynamic_stack 0
		.amdhsa_enable_private_segment 0
		.amdhsa_system_sgpr_workgroup_id_x 1
		.amdhsa_system_sgpr_workgroup_id_y 0
		.amdhsa_system_sgpr_workgroup_id_z 0
		.amdhsa_system_sgpr_workgroup_info 0
		.amdhsa_system_vgpr_workitem_id 0
		.amdhsa_next_free_vgpr 1
		.amdhsa_next_free_sgpr 0
		.amdhsa_accum_offset 4
		.amdhsa_reserve_vcc 0
		.amdhsa_float_round_mode_32 0
		.amdhsa_float_round_mode_16_64 0
		.amdhsa_float_denorm_mode_32 3
		.amdhsa_float_denorm_mode_16_64 3
		.amdhsa_dx10_clamp 1
		.amdhsa_ieee_mode 1
		.amdhsa_fp16_overflow 0
		.amdhsa_tg_split 0
		.amdhsa_exception_fp_ieee_invalid_op 0
		.amdhsa_exception_fp_denorm_src 0
		.amdhsa_exception_fp_ieee_div_zero 0
		.amdhsa_exception_fp_ieee_overflow 0
		.amdhsa_exception_fp_ieee_underflow 0
		.amdhsa_exception_fp_ieee_inexact 0
		.amdhsa_exception_int_div_zero 0
	.end_amdhsa_kernel
	.section	.text._ZN7rocprim17ROCPRIM_400000_NS6detail17trampoline_kernelINS0_14default_configENS1_38merge_sort_block_merge_config_selectorIsNS0_10empty_typeEEEZZNS1_27merge_sort_block_merge_implIS3_N6thrust23THRUST_200600_302600_NS6detail15normal_iteratorINS9_10device_ptrIsEEEEPS5_jNS1_19radix_merge_compareILb0ELb1EsNS0_19identity_decomposerEEEEE10hipError_tT0_T1_T2_jT3_P12ihipStream_tbPNSt15iterator_traitsISK_E10value_typeEPNSQ_ISL_E10value_typeEPSM_NS1_7vsmem_tEENKUlT_SK_SL_SM_E_clISE_PsSF_SF_EESJ_SZ_SK_SL_SM_EUlSZ_E0_NS1_11comp_targetILNS1_3genE10ELNS1_11target_archE1201ELNS1_3gpuE5ELNS1_3repE0EEENS1_38merge_mergepath_config_static_selectorELNS0_4arch9wavefront6targetE1EEEvSL_,"axG",@progbits,_ZN7rocprim17ROCPRIM_400000_NS6detail17trampoline_kernelINS0_14default_configENS1_38merge_sort_block_merge_config_selectorIsNS0_10empty_typeEEEZZNS1_27merge_sort_block_merge_implIS3_N6thrust23THRUST_200600_302600_NS6detail15normal_iteratorINS9_10device_ptrIsEEEEPS5_jNS1_19radix_merge_compareILb0ELb1EsNS0_19identity_decomposerEEEEE10hipError_tT0_T1_T2_jT3_P12ihipStream_tbPNSt15iterator_traitsISK_E10value_typeEPNSQ_ISL_E10value_typeEPSM_NS1_7vsmem_tEENKUlT_SK_SL_SM_E_clISE_PsSF_SF_EESJ_SZ_SK_SL_SM_EUlSZ_E0_NS1_11comp_targetILNS1_3genE10ELNS1_11target_archE1201ELNS1_3gpuE5ELNS1_3repE0EEENS1_38merge_mergepath_config_static_selectorELNS0_4arch9wavefront6targetE1EEEvSL_,comdat
.Lfunc_end1908:
	.size	_ZN7rocprim17ROCPRIM_400000_NS6detail17trampoline_kernelINS0_14default_configENS1_38merge_sort_block_merge_config_selectorIsNS0_10empty_typeEEEZZNS1_27merge_sort_block_merge_implIS3_N6thrust23THRUST_200600_302600_NS6detail15normal_iteratorINS9_10device_ptrIsEEEEPS5_jNS1_19radix_merge_compareILb0ELb1EsNS0_19identity_decomposerEEEEE10hipError_tT0_T1_T2_jT3_P12ihipStream_tbPNSt15iterator_traitsISK_E10value_typeEPNSQ_ISL_E10value_typeEPSM_NS1_7vsmem_tEENKUlT_SK_SL_SM_E_clISE_PsSF_SF_EESJ_SZ_SK_SL_SM_EUlSZ_E0_NS1_11comp_targetILNS1_3genE10ELNS1_11target_archE1201ELNS1_3gpuE5ELNS1_3repE0EEENS1_38merge_mergepath_config_static_selectorELNS0_4arch9wavefront6targetE1EEEvSL_, .Lfunc_end1908-_ZN7rocprim17ROCPRIM_400000_NS6detail17trampoline_kernelINS0_14default_configENS1_38merge_sort_block_merge_config_selectorIsNS0_10empty_typeEEEZZNS1_27merge_sort_block_merge_implIS3_N6thrust23THRUST_200600_302600_NS6detail15normal_iteratorINS9_10device_ptrIsEEEEPS5_jNS1_19radix_merge_compareILb0ELb1EsNS0_19identity_decomposerEEEEE10hipError_tT0_T1_T2_jT3_P12ihipStream_tbPNSt15iterator_traitsISK_E10value_typeEPNSQ_ISL_E10value_typeEPSM_NS1_7vsmem_tEENKUlT_SK_SL_SM_E_clISE_PsSF_SF_EESJ_SZ_SK_SL_SM_EUlSZ_E0_NS1_11comp_targetILNS1_3genE10ELNS1_11target_archE1201ELNS1_3gpuE5ELNS1_3repE0EEENS1_38merge_mergepath_config_static_selectorELNS0_4arch9wavefront6targetE1EEEvSL_
                                        ; -- End function
	.section	.AMDGPU.csdata,"",@progbits
; Kernel info:
; codeLenInByte = 0
; NumSgprs: 6
; NumVgprs: 0
; NumAgprs: 0
; TotalNumVgprs: 0
; ScratchSize: 0
; MemoryBound: 0
; FloatMode: 240
; IeeeMode: 1
; LDSByteSize: 0 bytes/workgroup (compile time only)
; SGPRBlocks: 0
; VGPRBlocks: 0
; NumSGPRsForWavesPerEU: 6
; NumVGPRsForWavesPerEU: 1
; AccumOffset: 4
; Occupancy: 8
; WaveLimiterHint : 0
; COMPUTE_PGM_RSRC2:SCRATCH_EN: 0
; COMPUTE_PGM_RSRC2:USER_SGPR: 2
; COMPUTE_PGM_RSRC2:TRAP_HANDLER: 0
; COMPUTE_PGM_RSRC2:TGID_X_EN: 1
; COMPUTE_PGM_RSRC2:TGID_Y_EN: 0
; COMPUTE_PGM_RSRC2:TGID_Z_EN: 0
; COMPUTE_PGM_RSRC2:TIDIG_COMP_CNT: 0
; COMPUTE_PGM_RSRC3_GFX90A:ACCUM_OFFSET: 0
; COMPUTE_PGM_RSRC3_GFX90A:TG_SPLIT: 0
	.section	.text._ZN7rocprim17ROCPRIM_400000_NS6detail17trampoline_kernelINS0_14default_configENS1_38merge_sort_block_merge_config_selectorIsNS0_10empty_typeEEEZZNS1_27merge_sort_block_merge_implIS3_N6thrust23THRUST_200600_302600_NS6detail15normal_iteratorINS9_10device_ptrIsEEEEPS5_jNS1_19radix_merge_compareILb0ELb1EsNS0_19identity_decomposerEEEEE10hipError_tT0_T1_T2_jT3_P12ihipStream_tbPNSt15iterator_traitsISK_E10value_typeEPNSQ_ISL_E10value_typeEPSM_NS1_7vsmem_tEENKUlT_SK_SL_SM_E_clISE_PsSF_SF_EESJ_SZ_SK_SL_SM_EUlSZ_E0_NS1_11comp_targetILNS1_3genE5ELNS1_11target_archE942ELNS1_3gpuE9ELNS1_3repE0EEENS1_38merge_mergepath_config_static_selectorELNS0_4arch9wavefront6targetE1EEEvSL_,"axG",@progbits,_ZN7rocprim17ROCPRIM_400000_NS6detail17trampoline_kernelINS0_14default_configENS1_38merge_sort_block_merge_config_selectorIsNS0_10empty_typeEEEZZNS1_27merge_sort_block_merge_implIS3_N6thrust23THRUST_200600_302600_NS6detail15normal_iteratorINS9_10device_ptrIsEEEEPS5_jNS1_19radix_merge_compareILb0ELb1EsNS0_19identity_decomposerEEEEE10hipError_tT0_T1_T2_jT3_P12ihipStream_tbPNSt15iterator_traitsISK_E10value_typeEPNSQ_ISL_E10value_typeEPSM_NS1_7vsmem_tEENKUlT_SK_SL_SM_E_clISE_PsSF_SF_EESJ_SZ_SK_SL_SM_EUlSZ_E0_NS1_11comp_targetILNS1_3genE5ELNS1_11target_archE942ELNS1_3gpuE9ELNS1_3repE0EEENS1_38merge_mergepath_config_static_selectorELNS0_4arch9wavefront6targetE1EEEvSL_,comdat
	.protected	_ZN7rocprim17ROCPRIM_400000_NS6detail17trampoline_kernelINS0_14default_configENS1_38merge_sort_block_merge_config_selectorIsNS0_10empty_typeEEEZZNS1_27merge_sort_block_merge_implIS3_N6thrust23THRUST_200600_302600_NS6detail15normal_iteratorINS9_10device_ptrIsEEEEPS5_jNS1_19radix_merge_compareILb0ELb1EsNS0_19identity_decomposerEEEEE10hipError_tT0_T1_T2_jT3_P12ihipStream_tbPNSt15iterator_traitsISK_E10value_typeEPNSQ_ISL_E10value_typeEPSM_NS1_7vsmem_tEENKUlT_SK_SL_SM_E_clISE_PsSF_SF_EESJ_SZ_SK_SL_SM_EUlSZ_E0_NS1_11comp_targetILNS1_3genE5ELNS1_11target_archE942ELNS1_3gpuE9ELNS1_3repE0EEENS1_38merge_mergepath_config_static_selectorELNS0_4arch9wavefront6targetE1EEEvSL_ ; -- Begin function _ZN7rocprim17ROCPRIM_400000_NS6detail17trampoline_kernelINS0_14default_configENS1_38merge_sort_block_merge_config_selectorIsNS0_10empty_typeEEEZZNS1_27merge_sort_block_merge_implIS3_N6thrust23THRUST_200600_302600_NS6detail15normal_iteratorINS9_10device_ptrIsEEEEPS5_jNS1_19radix_merge_compareILb0ELb1EsNS0_19identity_decomposerEEEEE10hipError_tT0_T1_T2_jT3_P12ihipStream_tbPNSt15iterator_traitsISK_E10value_typeEPNSQ_ISL_E10value_typeEPSM_NS1_7vsmem_tEENKUlT_SK_SL_SM_E_clISE_PsSF_SF_EESJ_SZ_SK_SL_SM_EUlSZ_E0_NS1_11comp_targetILNS1_3genE5ELNS1_11target_archE942ELNS1_3gpuE9ELNS1_3repE0EEENS1_38merge_mergepath_config_static_selectorELNS0_4arch9wavefront6targetE1EEEvSL_
	.globl	_ZN7rocprim17ROCPRIM_400000_NS6detail17trampoline_kernelINS0_14default_configENS1_38merge_sort_block_merge_config_selectorIsNS0_10empty_typeEEEZZNS1_27merge_sort_block_merge_implIS3_N6thrust23THRUST_200600_302600_NS6detail15normal_iteratorINS9_10device_ptrIsEEEEPS5_jNS1_19radix_merge_compareILb0ELb1EsNS0_19identity_decomposerEEEEE10hipError_tT0_T1_T2_jT3_P12ihipStream_tbPNSt15iterator_traitsISK_E10value_typeEPNSQ_ISL_E10value_typeEPSM_NS1_7vsmem_tEENKUlT_SK_SL_SM_E_clISE_PsSF_SF_EESJ_SZ_SK_SL_SM_EUlSZ_E0_NS1_11comp_targetILNS1_3genE5ELNS1_11target_archE942ELNS1_3gpuE9ELNS1_3repE0EEENS1_38merge_mergepath_config_static_selectorELNS0_4arch9wavefront6targetE1EEEvSL_
	.p2align	8
	.type	_ZN7rocprim17ROCPRIM_400000_NS6detail17trampoline_kernelINS0_14default_configENS1_38merge_sort_block_merge_config_selectorIsNS0_10empty_typeEEEZZNS1_27merge_sort_block_merge_implIS3_N6thrust23THRUST_200600_302600_NS6detail15normal_iteratorINS9_10device_ptrIsEEEEPS5_jNS1_19radix_merge_compareILb0ELb1EsNS0_19identity_decomposerEEEEE10hipError_tT0_T1_T2_jT3_P12ihipStream_tbPNSt15iterator_traitsISK_E10value_typeEPNSQ_ISL_E10value_typeEPSM_NS1_7vsmem_tEENKUlT_SK_SL_SM_E_clISE_PsSF_SF_EESJ_SZ_SK_SL_SM_EUlSZ_E0_NS1_11comp_targetILNS1_3genE5ELNS1_11target_archE942ELNS1_3gpuE9ELNS1_3repE0EEENS1_38merge_mergepath_config_static_selectorELNS0_4arch9wavefront6targetE1EEEvSL_,@function
_ZN7rocprim17ROCPRIM_400000_NS6detail17trampoline_kernelINS0_14default_configENS1_38merge_sort_block_merge_config_selectorIsNS0_10empty_typeEEEZZNS1_27merge_sort_block_merge_implIS3_N6thrust23THRUST_200600_302600_NS6detail15normal_iteratorINS9_10device_ptrIsEEEEPS5_jNS1_19radix_merge_compareILb0ELb1EsNS0_19identity_decomposerEEEEE10hipError_tT0_T1_T2_jT3_P12ihipStream_tbPNSt15iterator_traitsISK_E10value_typeEPNSQ_ISL_E10value_typeEPSM_NS1_7vsmem_tEENKUlT_SK_SL_SM_E_clISE_PsSF_SF_EESJ_SZ_SK_SL_SM_EUlSZ_E0_NS1_11comp_targetILNS1_3genE5ELNS1_11target_archE942ELNS1_3gpuE9ELNS1_3repE0EEENS1_38merge_mergepath_config_static_selectorELNS0_4arch9wavefront6targetE1EEEvSL_: ; @_ZN7rocprim17ROCPRIM_400000_NS6detail17trampoline_kernelINS0_14default_configENS1_38merge_sort_block_merge_config_selectorIsNS0_10empty_typeEEEZZNS1_27merge_sort_block_merge_implIS3_N6thrust23THRUST_200600_302600_NS6detail15normal_iteratorINS9_10device_ptrIsEEEEPS5_jNS1_19radix_merge_compareILb0ELb1EsNS0_19identity_decomposerEEEEE10hipError_tT0_T1_T2_jT3_P12ihipStream_tbPNSt15iterator_traitsISK_E10value_typeEPNSQ_ISL_E10value_typeEPSM_NS1_7vsmem_tEENKUlT_SK_SL_SM_E_clISE_PsSF_SF_EESJ_SZ_SK_SL_SM_EUlSZ_E0_NS1_11comp_targetILNS1_3genE5ELNS1_11target_archE942ELNS1_3gpuE9ELNS1_3repE0EEENS1_38merge_mergepath_config_static_selectorELNS0_4arch9wavefront6targetE1EEEvSL_
; %bb.0:
	s_load_dwordx2 s[12:13], s[0:1], 0x40
	s_load_dword s5, s[0:1], 0x30
	s_add_u32 s8, s0, 64
	s_addc_u32 s9, s1, 0
	s_waitcnt lgkmcnt(0)
	s_mul_i32 s4, s13, s4
	s_add_i32 s3, s4, s3
	s_mul_i32 s3, s3, s12
	s_add_i32 s10, s3, s2
	s_cmp_ge_u32 s10, s5
	s_cbranch_scc1 .LBB1909_43
; %bb.1:
	s_load_dwordx2 s[14:15], s[0:1], 0x28
	s_load_dwordx2 s[4:5], s[0:1], 0x38
	;; [unrolled: 1-line block ×3, first 2 shown]
	s_mov_b32 s11, 0
	v_mov_b32_e32 v3, 0
	s_waitcnt lgkmcnt(0)
	s_lshr_b32 s22, s14, 10
	s_cmp_lg_u32 s10, s22
	s_cselect_b64 s[18:19], -1, 0
	s_lshl_b64 s[16:17], s[10:11], 2
	s_add_u32 s4, s4, s16
	s_addc_u32 s5, s5, s17
	s_lshr_b32 s3, s15, 9
	s_and_b32 s3, s3, 0x7ffffe
	s_load_dwordx2 s[4:5], s[4:5], 0x0
	s_sub_i32 s3, 0, s3
	s_and_b32 s13, s10, s3
	s_lshl_b32 s17, s13, 10
	s_lshl_b32 s16, s10, 10
	;; [unrolled: 1-line block ×3, first 2 shown]
	s_sub_i32 s20, s16, s17
	s_add_i32 s13, s13, s15
	s_add_i32 s21, s13, s20
	s_waitcnt lgkmcnt(0)
	s_sub_i32 s20, s21, s4
	s_sub_i32 s21, s21, s5
	;; [unrolled: 1-line block ×3, first 2 shown]
	s_min_u32 s20, s14, s20
	s_addk_i32 s21, 0x400
	s_or_b32 s3, s10, s3
	s_min_u32 s17, s14, s13
	s_add_i32 s13, s13, s15
	s_cmp_eq_u32 s3, -1
	s_cselect_b32 s3, s13, s21
	s_cselect_b32 s5, s17, s5
	s_min_u32 s3, s3, s14
	s_sub_i32 s15, s5, s4
	s_mov_b32 s5, s11
	s_sub_i32 s13, s3, s20
	s_lshl_b64 s[4:5], s[4:5], 1
	s_add_u32 s4, s6, s4
	s_mov_b32 s21, s11
	s_addc_u32 s5, s7, s5
	s_lshl_b64 s[20:21], s[20:21], 1
	s_add_u32 s6, s6, s20
	s_addc_u32 s7, s7, s21
	s_cmp_lt_u32 s2, s12
	s_cselect_b32 s2, 12, 18
	global_load_dword v1, v3, s[8:9] offset:14
	s_add_u32 s2, s8, s2
	s_addc_u32 s3, s9, 0
	global_load_ushort v2, v3, s[2:3]
	s_cmp_eq_u32 s10, s22
	v_lshlrev_b32_e32 v6, 1, v0
	s_waitcnt vmcnt(1)
	v_lshrrev_b32_e32 v4, 16, v1
	v_and_b32_e32 v1, 0xffff, v1
	v_mul_lo_u32 v1, v1, v4
	s_waitcnt vmcnt(0)
	v_mul_lo_u32 v1, v1, v2
	v_add_u32_e32 v10, v1, v0
	v_add_u32_e32 v8, v10, v1
	s_cbranch_scc1 .LBB1909_3
; %bb.2:
	v_subrev_u32_e32 v2, s15, v0
	v_mov_b32_e32 v7, v3
	v_lshl_add_u64 v[4:5], v[2:3], 1, s[6:7]
	v_lshl_add_u64 v[12:13], s[4:5], 0, v[6:7]
	v_cmp_gt_u32_e32 vcc, s15, v0
	v_subrev_u32_e32 v2, s15, v10
	v_mov_b32_e32 v11, v3
	v_cndmask_b32_e32 v5, v5, v13, vcc
	v_cndmask_b32_e32 v4, v4, v12, vcc
	global_load_ushort v7, v[4:5], off
	v_lshl_add_u64 v[4:5], v[2:3], 1, s[6:7]
	v_lshl_add_u64 v[12:13], v[10:11], 1, s[4:5]
	v_cmp_gt_u32_e32 vcc, s15, v10
	v_subrev_u32_e32 v2, s15, v8
	v_mov_b32_e32 v9, v3
	v_cndmask_b32_e32 v5, v5, v13, vcc
	v_cndmask_b32_e32 v4, v4, v12, vcc
	global_load_ushort v11, v[4:5], off
	v_lshl_add_u64 v[4:5], v[2:3], 1, s[6:7]
	v_lshl_add_u64 v[12:13], v[8:9], 1, s[4:5]
	v_cmp_gt_u32_e32 vcc, s15, v8
	s_mov_b32 s2, 0x5040100
	s_add_i32 s10, s13, s15
	v_cndmask_b32_e32 v5, v5, v13, vcc
	v_cndmask_b32_e32 v4, v4, v12, vcc
	global_load_ushort v9, v[4:5], off
	v_add_u32_e32 v4, v8, v1
	v_subrev_u32_e32 v2, s15, v4
	v_mov_b32_e32 v5, v3
	v_lshl_add_u64 v[12:13], v[2:3], 1, s[6:7]
	v_lshl_add_u64 v[14:15], v[4:5], 1, s[4:5]
	v_cmp_gt_u32_e32 vcc, s15, v4
	v_add_u32_e32 v4, v4, v1
	v_subrev_u32_e32 v2, s15, v4
	v_cndmask_b32_e32 v13, v13, v15, vcc
	v_cndmask_b32_e32 v12, v12, v14, vcc
	global_load_ushort v16, v[12:13], off
	v_lshl_add_u64 v[12:13], v[2:3], 1, s[6:7]
	v_lshl_add_u64 v[14:15], v[4:5], 1, s[4:5]
	v_cmp_gt_u32_e32 vcc, s15, v4
	v_add_u32_e32 v4, v4, v1
	v_subrev_u32_e32 v2, s15, v4
	v_cndmask_b32_e32 v13, v13, v15, vcc
	v_cndmask_b32_e32 v12, v12, v14, vcc
	global_load_ushort v17, v[12:13], off
	;; [unrolled: 8-line block ×3, first 2 shown]
	v_lshl_add_u64 v[12:13], v[2:3], 1, s[6:7]
	v_lshl_add_u64 v[2:3], v[4:5], 1, s[4:5]
	v_cmp_gt_u32_e32 vcc, s15, v4
	s_nop 1
	v_cndmask_b32_e32 v3, v13, v3, vcc
	v_cndmask_b32_e32 v2, v12, v2, vcc
	global_load_ushort v5, v[2:3], off
	v_add_u32_e32 v12, v4, v1
	s_waitcnt vmcnt(5)
	v_perm_b32 v2, v11, v7, s2
	s_waitcnt vmcnt(3)
	v_perm_b32 v3, v16, v9, s2
	s_waitcnt vmcnt(1)
	v_perm_b32 v4, v14, v17, s2
	s_mov_b64 s[2:3], -1
	s_cbranch_execz .LBB1909_4
	s_branch .LBB1909_17
.LBB1909_3:
	s_mov_b64 s[2:3], 0
                                        ; implicit-def: $vgpr12
                                        ; implicit-def: $vgpr2_vgpr3_vgpr4_vgpr5
                                        ; implicit-def: $sgpr10
.LBB1909_4:
	s_add_i32 s10, s13, s15
	v_cmp_gt_u32_e32 vcc, s10, v0
                                        ; implicit-def: $vgpr2_vgpr3_vgpr4_vgpr5
	s_and_saveexec_b64 s[2:3], vcc
	s_cbranch_execnz .LBB1909_44
; %bb.5:
	s_or_b64 exec, exec, s[2:3]
	v_cmp_gt_u32_e32 vcc, s10, v10
	s_and_saveexec_b64 s[2:3], vcc
	s_cbranch_execnz .LBB1909_45
.LBB1909_6:
	s_or_b64 exec, exec, s[2:3]
	v_cmp_gt_u32_e32 vcc, s10, v8
	s_and_saveexec_b64 s[2:3], vcc
	s_cbranch_execz .LBB1909_8
.LBB1909_7:
	v_mov_b32_e32 v9, 0
	v_subrev_u32_e32 v12, s15, v8
	v_mov_b32_e32 v13, v9
	v_lshl_add_u64 v[10:11], v[8:9], 1, s[4:5]
	v_lshl_add_u64 v[12:13], v[12:13], 1, s[6:7]
	v_cmp_gt_u32_e32 vcc, s15, v8
	s_mov_b32 s8, 0xffff
	s_nop 0
	v_cndmask_b32_e32 v11, v13, v11, vcc
	v_cndmask_b32_e32 v10, v12, v10, vcc
	global_load_ushort v7, v[10:11], off
	s_waitcnt vmcnt(0)
	v_bfi_b32 v3, s8, v7, v3
.LBB1909_8:
	s_or_b64 exec, exec, s[2:3]
	v_add_u32_e32 v8, v8, v1
	v_cmp_gt_u32_e32 vcc, s10, v8
	s_and_saveexec_b64 s[2:3], vcc
	s_cbranch_execz .LBB1909_10
; %bb.9:
	v_mov_b32_e32 v9, 0
	v_subrev_u32_e32 v12, s15, v8
	v_mov_b32_e32 v13, v9
	v_lshl_add_u64 v[10:11], v[8:9], 1, s[4:5]
	v_lshl_add_u64 v[12:13], v[12:13], 1, s[6:7]
	v_cmp_gt_u32_e32 vcc, s15, v8
	s_mov_b32 s8, 0x5040100
	s_nop 0
	v_cndmask_b32_e32 v11, v13, v11, vcc
	v_cndmask_b32_e32 v10, v12, v10, vcc
	global_load_ushort v7, v[10:11], off
	s_waitcnt vmcnt(0)
	v_perm_b32 v3, v7, v3, s8
.LBB1909_10:
	s_or_b64 exec, exec, s[2:3]
	v_add_u32_e32 v8, v8, v1
	v_cmp_gt_u32_e32 vcc, s10, v8
	s_and_saveexec_b64 s[2:3], vcc
	s_cbranch_execz .LBB1909_12
; %bb.11:
	v_mov_b32_e32 v9, 0
	v_subrev_u32_e32 v12, s15, v8
	v_mov_b32_e32 v13, v9
	v_lshl_add_u64 v[10:11], v[8:9], 1, s[4:5]
	v_lshl_add_u64 v[12:13], v[12:13], 1, s[6:7]
	v_cmp_gt_u32_e32 vcc, s15, v8
	s_mov_b32 s8, 0xffff
	s_nop 0
	v_cndmask_b32_e32 v11, v13, v11, vcc
	v_cndmask_b32_e32 v10, v12, v10, vcc
	global_load_ushort v7, v[10:11], off
	s_waitcnt vmcnt(0)
	v_bfi_b32 v4, s8, v7, v4
.LBB1909_12:
	s_or_b64 exec, exec, s[2:3]
	v_add_u32_e32 v8, v8, v1
	v_cmp_gt_u32_e32 vcc, s10, v8
	s_and_saveexec_b64 s[2:3], vcc
	s_cbranch_execz .LBB1909_14
; %bb.13:
	v_mov_b32_e32 v9, 0
	v_subrev_u32_e32 v12, s15, v8
	v_mov_b32_e32 v13, v9
	v_lshl_add_u64 v[10:11], v[8:9], 1, s[4:5]
	v_lshl_add_u64 v[12:13], v[12:13], 1, s[6:7]
	v_cmp_gt_u32_e32 vcc, s15, v8
	s_mov_b32 s8, 0x5040100
	s_nop 0
	v_cndmask_b32_e32 v11, v13, v11, vcc
	v_cndmask_b32_e32 v10, v12, v10, vcc
	global_load_ushort v7, v[10:11], off
	s_waitcnt vmcnt(0)
	v_perm_b32 v4, v7, v4, s8
.LBB1909_14:
	s_or_b64 exec, exec, s[2:3]
	v_add_u32_e32 v8, v8, v1
	v_cmp_gt_u32_e32 vcc, s10, v8
	s_and_saveexec_b64 s[2:3], vcc
	s_cbranch_execz .LBB1909_16
; %bb.15:
	v_mov_b32_e32 v9, 0
	v_subrev_u32_e32 v12, s15, v8
	v_mov_b32_e32 v13, v9
	v_lshl_add_u64 v[10:11], v[8:9], 1, s[4:5]
	v_lshl_add_u64 v[12:13], v[12:13], 1, s[6:7]
	v_cmp_gt_u32_e32 vcc, s15, v8
	s_mov_b32 s8, 0xffff
	s_nop 0
	v_cndmask_b32_e32 v11, v13, v11, vcc
	v_cndmask_b32_e32 v10, v12, v10, vcc
	global_load_ushort v7, v[10:11], off
	s_waitcnt vmcnt(0)
	v_bfi_b32 v5, s8, v7, v5
.LBB1909_16:
	s_or_b64 exec, exec, s[2:3]
	v_add_u32_e32 v12, v8, v1
	v_cmp_gt_u32_e64 s[2:3], s10, v12
.LBB1909_17:
	v_mov_b32_e32 v7, s10
	s_and_saveexec_b64 s[8:9], s[2:3]
	s_cbranch_execz .LBB1909_19
; %bb.18:
	v_mov_b32_e32 v9, 0
	v_subrev_u32_e32 v8, s15, v12
	v_mov_b32_e32 v13, v9
	v_lshl_add_u64 v[10:11], v[8:9], 1, s[6:7]
	v_lshl_add_u64 v[8:9], v[12:13], 1, s[4:5]
	v_cmp_gt_u32_e32 vcc, s15, v12
	s_mov_b32 s2, 0x5040100
	v_mov_b32_e32 v7, s10
	v_cndmask_b32_e32 v9, v11, v9, vcc
	v_cndmask_b32_e32 v8, v10, v8, vcc
	global_load_ushort v1, v[8:9], off
	s_waitcnt vmcnt(0)
	v_perm_b32 v5, v1, v5, s2
.LBB1909_19:
	s_or_b64 exec, exec, s[8:9]
	s_load_dwordx2 s[20:21], s[0:1], 0x10
	s_load_dword s17, s[0:1], 0x34
	v_lshlrev_b32_e32 v1, 3, v0
	v_min_u32_e32 v13, v7, v1
	v_sub_u32_e64 v12, v13, s13 clamp
	v_min_u32_e32 v14, s15, v13
	s_waitcnt vmcnt(0)
	v_lshrrev_b32_e32 v8, 16, v2
	v_lshrrev_b32_e32 v9, 16, v3
	;; [unrolled: 1-line block ×4, first 2 shown]
	v_cmp_lt_u32_e32 vcc, v12, v14
	ds_write_b16 v6, v2
	ds_write_b16 v6, v8 offset:256
	ds_write_b16 v6, v3 offset:512
	;; [unrolled: 1-line block ×7, first 2 shown]
	s_waitcnt lgkmcnt(0)
	s_barrier
	s_and_saveexec_b64 s[0:1], vcc
	s_cbranch_execz .LBB1909_23
; %bb.20:
	v_lshlrev_b32_e32 v15, 1, v13
	v_lshl_add_u32 v15, s15, 1, v15
	s_mov_b64 s[2:3], 0
.LBB1909_21:                            ; =>This Inner Loop Header: Depth=1
	v_add_u32_e32 v16, v14, v12
	v_lshrrev_b32_e32 v17, 1, v16
	v_not_b32_e32 v18, v17
	v_and_b32_e32 v16, -2, v16
	v_lshl_add_u32 v18, v18, 1, v15
	ds_read_u16 v16, v16
	ds_read_u16 v18, v18
	v_add_u32_e32 v19, 1, v17
	s_waitcnt lgkmcnt(1)
	v_and_b32_e32 v16, s17, v16
	s_waitcnt lgkmcnt(0)
	v_and_b32_e32 v18, s17, v18
	v_cmp_gt_i16_e32 vcc, v16, v18
	s_nop 1
	v_cndmask_b32_e32 v14, v14, v17, vcc
	v_cndmask_b32_e32 v12, v19, v12, vcc
	v_cmp_ge_u32_e32 vcc, v12, v14
	s_or_b64 s[2:3], vcc, s[2:3]
	s_andn2_b64 exec, exec, s[2:3]
	s_cbranch_execnz .LBB1909_21
; %bb.22:
	s_or_b64 exec, exec, s[2:3]
.LBB1909_23:
	s_or_b64 exec, exec, s[0:1]
	v_sub_u32_e32 v13, v13, v12
	v_add_u32_e32 v13, s15, v13
	v_cmp_ge_u32_e32 vcc, s15, v12
	v_cmp_le_u32_e64 s[0:1], v13, v7
	s_or_b64 s[0:1], vcc, s[0:1]
	s_and_saveexec_b64 s[22:23], s[0:1]
	s_cbranch_execz .LBB1909_29
; %bb.24:
	v_cmp_gt_u32_e32 vcc, s15, v12
                                        ; implicit-def: $vgpr2
	s_and_saveexec_b64 s[0:1], vcc
	s_cbranch_execz .LBB1909_26
; %bb.25:
	v_lshlrev_b32_e32 v2, 1, v12
	ds_read_u16 v2, v2
.LBB1909_26:
	s_or_b64 exec, exec, s[0:1]
	v_cmp_ge_u32_e64 s[0:1], v13, v7
	v_cmp_lt_u32_e64 s[2:3], v13, v7
                                        ; implicit-def: $vgpr3
	s_and_saveexec_b64 s[4:5], s[2:3]
	s_cbranch_execz .LBB1909_28
; %bb.27:
	v_lshlrev_b32_e32 v3, 1, v13
	ds_read_u16 v3, v3
.LBB1909_28:
	s_or_b64 exec, exec, s[4:5]
	s_waitcnt lgkmcnt(0)
	v_and_b32_e32 v4, s17, v3
	v_and_b32_e32 v5, s17, v2
	v_cmp_le_i16_e64 s[2:3], v5, v4
	s_and_b64 s[2:3], vcc, s[2:3]
	s_or_b64 vcc, s[0:1], s[2:3]
	v_mov_b32_e32 v5, s15
	v_cndmask_b32_e32 v4, v13, v12, vcc
	v_cndmask_b32_e32 v8, v7, v5, vcc
	v_add_u32_e32 v4, 1, v4
	v_add_u32_e32 v8, -1, v8
	v_min_u32_e32 v8, v4, v8
	v_lshlrev_b32_e32 v8, 1, v8
	ds_read_u16 v8, v8
	v_cndmask_b32_e32 v10, v4, v13, vcc
	v_cndmask_b32_e32 v4, v12, v4, vcc
	v_cmp_gt_u32_e64 s[2:3], s15, v4
	v_cmp_ge_u32_e64 s[0:1], v10, v7
	s_waitcnt lgkmcnt(0)
	v_cndmask_b32_e32 v9, v8, v3, vcc
	v_cndmask_b32_e32 v8, v2, v8, vcc
	v_and_b32_e32 v11, s17, v9
	v_and_b32_e32 v12, s17, v8
	v_cmp_le_i16_e64 s[4:5], v12, v11
	s_and_b64 s[2:3], s[2:3], s[4:5]
	s_or_b64 s[0:1], s[0:1], s[2:3]
	v_cndmask_b32_e64 v11, v10, v4, s[0:1]
	v_cndmask_b32_e64 v12, v7, v5, s[0:1]
	v_add_u32_e32 v11, 1, v11
	v_add_u32_e32 v12, -1, v12
	v_min_u32_e32 v12, v11, v12
	v_lshlrev_b32_e32 v12, 1, v12
	ds_read_u16 v12, v12
	v_cndmask_b32_e64 v10, v11, v10, s[0:1]
	v_cndmask_b32_e64 v4, v4, v11, s[0:1]
	v_cmp_gt_u32_e64 s[4:5], s15, v4
	v_cmp_ge_u32_e64 s[2:3], v10, v7
	s_waitcnt lgkmcnt(0)
	v_cndmask_b32_e64 v13, v12, v9, s[0:1]
	v_cndmask_b32_e64 v12, v8, v12, s[0:1]
	v_and_b32_e32 v11, s17, v13
	v_and_b32_e32 v14, s17, v12
	v_cmp_le_i16_e64 s[6:7], v14, v11
	s_and_b64 s[4:5], s[4:5], s[6:7]
	s_or_b64 s[2:3], s[2:3], s[4:5]
	v_cndmask_b32_e64 v11, v10, v4, s[2:3]
	v_cndmask_b32_e64 v14, v7, v5, s[2:3]
	v_add_u32_e32 v11, 1, v11
	v_add_u32_e32 v14, -1, v14
	v_min_u32_e32 v14, v11, v14
	v_lshlrev_b32_e32 v14, 1, v14
	ds_read_u16 v14, v14
	v_cndmask_b32_e64 v10, v11, v10, s[2:3]
	v_cndmask_b32_e64 v4, v4, v11, s[2:3]
	v_cmp_gt_u32_e64 s[6:7], s15, v4
	v_cmp_ge_u32_e64 s[4:5], v10, v7
	s_waitcnt lgkmcnt(0)
	v_cndmask_b32_e64 v15, v14, v13, s[2:3]
	v_cndmask_b32_e64 v14, v12, v14, s[2:3]
	;; [unrolled: 19-line block ×4, first 2 shown]
	v_and_b32_e32 v11, s17, v19
	v_and_b32_e32 v20, s17, v18
	v_cmp_le_i16_e64 s[12:13], v20, v11
	s_and_b64 s[10:11], s[10:11], s[12:13]
	s_or_b64 s[8:9], s[8:9], s[10:11]
	v_cndmask_b32_e64 v11, v10, v4, s[8:9]
	v_cndmask_b32_e64 v20, v7, v5, s[8:9]
	v_add_u32_e32 v11, 1, v11
	v_add_u32_e32 v20, -1, v20
	v_min_u32_e32 v20, v11, v20
	v_lshlrev_b32_e32 v20, 1, v20
	ds_read_u16 v20, v20
	v_cndmask_b32_e32 v2, v3, v2, vcc
	v_cndmask_b32_e64 v3, v13, v12, s[2:3]
	v_cndmask_b32_e64 v8, v9, v8, s[0:1]
	s_waitcnt lgkmcnt(0)
	v_cndmask_b32_e64 v12, v20, v19, s[8:9]
	v_cndmask_b32_e64 v13, v18, v20, s[8:9]
	;; [unrolled: 1-line block ×4, first 2 shown]
	v_and_b32_e32 v4, s17, v12
	v_and_b32_e32 v9, s17, v13
	v_cmp_gt_u32_e64 s[0:1], s15, v11
	v_cmp_le_i16_e64 s[2:3], v9, v4
	v_cmp_ge_u32_e32 vcc, v20, v7
	s_and_b64 s[0:1], s[0:1], s[2:3]
	s_or_b64 vcc, vcc, s[0:1]
	v_cndmask_b32_e32 v4, v20, v11, vcc
	v_cndmask_b32_e32 v5, v7, v5, vcc
	v_add_u32_e32 v21, 1, v4
	v_add_u32_e32 v4, -1, v5
	v_min_u32_e32 v4, v21, v4
	v_lshlrev_b32_e32 v4, 1, v4
	ds_read_u16 v22, v4
	v_cndmask_b32_e64 v9, v15, v14, s[4:5]
	v_cndmask_b32_e32 v5, v12, v13, vcc
	v_cndmask_b32_e32 v14, v21, v20, vcc
	;; [unrolled: 1-line block ×3, first 2 shown]
	s_waitcnt lgkmcnt(0)
	v_cndmask_b32_e32 v12, v22, v12, vcc
	v_cndmask_b32_e32 v13, v13, v22, vcc
	v_cmp_ge_u32_e32 vcc, v14, v7
	v_cmp_gt_u32_e64 s[0:1], s15, v11
	v_and_b32_e32 v7, s17, v12
	v_and_b32_e32 v11, s17, v13
	v_cmp_le_i16_e64 s[2:3], v11, v7
	s_and_b64 s[0:1], s[0:1], s[2:3]
	s_or_b64 vcc, vcc, s[0:1]
	v_cndmask_b32_e64 v4, v17, v16, s[6:7]
	v_cndmask_b32_e64 v10, v19, v18, s[8:9]
	v_cndmask_b32_e32 v11, v12, v13, vcc
.LBB1909_29:
	s_or_b64 exec, exec, s[22:23]
	v_lshrrev_b32_e32 v7, 2, v0
	v_and_b32_e32 v7, 30, v7
	s_mov_b32 s2, 0x5040100
	v_add_lshl_u32 v1, v7, v1, 1
	v_perm_b32 v3, v9, v3, s2
	v_perm_b32 v2, v8, v2, s2
	s_barrier
	s_barrier
	ds_write2_b32 v1, v2, v3 offset1:1
	v_perm_b32 v2, v11, v5, s2
	v_perm_b32 v3, v10, v4, s2
	ds_write2_b32 v1, v3, v2 offset0:2 offset1:3
	v_lshrrev_b32_e32 v1, 4, v0
	v_and_b32_e32 v1, 4, v1
	v_or_b32_e32 v11, 0x80, v0
	v_add_u32_e32 v12, v6, v1
	v_lshrrev_b32_e32 v1, 4, v11
	v_and_b32_e32 v1, 12, v1
	v_or_b32_e32 v10, 0x100, v0
	v_add_u32_e32 v13, v6, v1
	;; [unrolled: 4-line block ×6, first 2 shown]
	v_lshrrev_b32_e32 v1, 4, v4
	s_mov_b32 s17, 0
	v_and_b32_e32 v1, 52, v1
	s_lshl_b64 s[0:1], s[16:17], 1
	v_add_u32_e32 v18, v6, v1
	v_or_b32_e32 v1, 0x380, v0
	s_add_u32 s0, s20, s0
	v_lshrrev_b32_e32 v2, 4, v1
	s_addc_u32 s1, s21, s1
	v_and_b32_e32 v2, 60, v2
	v_mov_b32_e32 v7, 0
	v_add_u32_e32 v19, v6, v2
	v_lshl_add_u64 v[2:3], s[0:1], 0, v[6:7]
	s_and_b64 vcc, exec, s[18:19]
	s_waitcnt lgkmcnt(0)
	s_cbranch_vccz .LBB1909_31
; %bb.30:
	s_barrier
	ds_read_u16 v7, v12
	ds_read_u16 v20, v13 offset:256
	ds_read_u16 v21, v14 offset:512
	;; [unrolled: 1-line block ×7, first 2 shown]
	s_waitcnt lgkmcnt(7)
	global_store_short v[2:3], v7, off
	s_waitcnt lgkmcnt(6)
	global_store_short v[2:3], v20, off offset:256
	s_waitcnt lgkmcnt(5)
	global_store_short v[2:3], v21, off offset:512
	;; [unrolled: 2-line block ×6, first 2 shown]
	s_mov_b64 s[0:1], -1
	s_cbranch_execz .LBB1909_32
	s_branch .LBB1909_41
.LBB1909_31:
	s_mov_b64 s[0:1], 0
                                        ; implicit-def: $vgpr6
.LBB1909_32:
	s_barrier
	s_waitcnt lgkmcnt(0)
	ds_read_u16 v21, v13 offset:256
	ds_read_u16 v20, v14 offset:512
	;; [unrolled: 1-line block ×7, first 2 shown]
	s_sub_i32 s2, s14, s16
	v_cmp_gt_u32_e32 vcc, s2, v0
	s_and_saveexec_b64 s[0:1], vcc
	s_cbranch_execnz .LBB1909_46
; %bb.33:
	s_or_b64 exec, exec, s[0:1]
	v_cmp_gt_u32_e32 vcc, s2, v11
	s_and_saveexec_b64 s[0:1], vcc
	s_cbranch_execnz .LBB1909_47
.LBB1909_34:
	s_or_b64 exec, exec, s[0:1]
	v_cmp_gt_u32_e32 vcc, s2, v10
	s_and_saveexec_b64 s[0:1], vcc
	s_cbranch_execnz .LBB1909_48
.LBB1909_35:
	s_or_b64 exec, exec, s[0:1]
	v_cmp_gt_u32_e32 vcc, s2, v9
	s_and_saveexec_b64 s[0:1], vcc
	s_cbranch_execnz .LBB1909_49
.LBB1909_36:
	s_or_b64 exec, exec, s[0:1]
	v_cmp_gt_u32_e32 vcc, s2, v8
	s_and_saveexec_b64 s[0:1], vcc
	s_cbranch_execnz .LBB1909_50
.LBB1909_37:
	s_or_b64 exec, exec, s[0:1]
	v_cmp_gt_u32_e32 vcc, s2, v5
	s_and_saveexec_b64 s[0:1], vcc
	s_cbranch_execnz .LBB1909_51
.LBB1909_38:
	s_or_b64 exec, exec, s[0:1]
	v_cmp_gt_u32_e32 vcc, s2, v4
	s_and_saveexec_b64 s[0:1], vcc
	s_cbranch_execz .LBB1909_40
.LBB1909_39:
	s_waitcnt lgkmcnt(1)
	global_store_short v[2:3], v7, off offset:1536
.LBB1909_40:
	s_or_b64 exec, exec, s[0:1]
	v_cmp_gt_u32_e64 s[0:1], s2, v1
.LBB1909_41:
	s_and_saveexec_b64 s[2:3], s[0:1]
	s_cbranch_execz .LBB1909_43
; %bb.42:
	s_waitcnt lgkmcnt(0)
	global_store_short v[2:3], v6, off offset:1792
.LBB1909_43:
	s_endpgm
.LBB1909_44:
	v_mov_b32_e32 v7, 0
	v_subrev_u32_e32 v4, s15, v0
	s_waitcnt vmcnt(0)
	v_mov_b32_e32 v5, v7
	v_lshl_add_u64 v[2:3], s[4:5], 0, v[6:7]
	v_lshl_add_u64 v[4:5], v[4:5], 1, s[6:7]
	v_cmp_gt_u32_e32 vcc, s15, v0
	s_nop 1
	v_cndmask_b32_e32 v3, v5, v3, vcc
	v_cndmask_b32_e32 v2, v4, v2, vcc
	global_load_ushort v2, v[2:3], off
	s_or_b64 exec, exec, s[2:3]
	v_cmp_gt_u32_e32 vcc, s10, v10
	s_and_saveexec_b64 s[2:3], vcc
	s_cbranch_execz .LBB1909_6
.LBB1909_45:
	v_mov_b32_e32 v11, 0
	v_lshl_add_u64 v[12:13], v[10:11], 1, s[4:5]
	v_cmp_gt_u32_e32 vcc, s15, v10
	v_subrev_u32_e32 v10, s15, v10
	v_lshl_add_u64 v[10:11], v[10:11], 1, s[6:7]
	v_cndmask_b32_e32 v11, v11, v13, vcc
	v_cndmask_b32_e32 v10, v10, v12, vcc
	global_load_ushort v7, v[10:11], off
	s_mov_b32 s8, 0x5040100
	s_waitcnt vmcnt(0)
	v_perm_b32 v2, v7, v2, s8
	s_or_b64 exec, exec, s[2:3]
	v_cmp_gt_u32_e32 vcc, s10, v8
	s_and_saveexec_b64 s[2:3], vcc
	s_cbranch_execnz .LBB1909_7
	s_branch .LBB1909_8
.LBB1909_46:
	ds_read_u16 v0, v12
	s_waitcnt lgkmcnt(0)
	global_store_short v[2:3], v0, off
	s_or_b64 exec, exec, s[0:1]
	v_cmp_gt_u32_e32 vcc, s2, v11
	s_and_saveexec_b64 s[0:1], vcc
	s_cbranch_execz .LBB1909_34
.LBB1909_47:
	s_waitcnt lgkmcnt(6)
	global_store_short v[2:3], v21, off offset:256
	s_or_b64 exec, exec, s[0:1]
	v_cmp_gt_u32_e32 vcc, s2, v10
	s_and_saveexec_b64 s[0:1], vcc
	s_cbranch_execz .LBB1909_35
.LBB1909_48:
	s_waitcnt lgkmcnt(5)
	global_store_short v[2:3], v20, off offset:512
	s_or_b64 exec, exec, s[0:1]
	v_cmp_gt_u32_e32 vcc, s2, v9
	s_and_saveexec_b64 s[0:1], vcc
	s_cbranch_execz .LBB1909_36
.LBB1909_49:
	s_waitcnt lgkmcnt(4)
	global_store_short v[2:3], v15, off offset:768
	s_or_b64 exec, exec, s[0:1]
	v_cmp_gt_u32_e32 vcc, s2, v8
	s_and_saveexec_b64 s[0:1], vcc
	s_cbranch_execz .LBB1909_37
.LBB1909_50:
	s_waitcnt lgkmcnt(3)
	global_store_short v[2:3], v14, off offset:1024
	s_or_b64 exec, exec, s[0:1]
	v_cmp_gt_u32_e32 vcc, s2, v5
	s_and_saveexec_b64 s[0:1], vcc
	s_cbranch_execz .LBB1909_38
.LBB1909_51:
	s_waitcnt lgkmcnt(2)
	global_store_short v[2:3], v13, off offset:1280
	s_or_b64 exec, exec, s[0:1]
	v_cmp_gt_u32_e32 vcc, s2, v4
	s_and_saveexec_b64 s[0:1], vcc
	s_cbranch_execnz .LBB1909_39
	s_branch .LBB1909_40
	.section	.rodata,"a",@progbits
	.p2align	6, 0x0
	.amdhsa_kernel _ZN7rocprim17ROCPRIM_400000_NS6detail17trampoline_kernelINS0_14default_configENS1_38merge_sort_block_merge_config_selectorIsNS0_10empty_typeEEEZZNS1_27merge_sort_block_merge_implIS3_N6thrust23THRUST_200600_302600_NS6detail15normal_iteratorINS9_10device_ptrIsEEEEPS5_jNS1_19radix_merge_compareILb0ELb1EsNS0_19identity_decomposerEEEEE10hipError_tT0_T1_T2_jT3_P12ihipStream_tbPNSt15iterator_traitsISK_E10value_typeEPNSQ_ISL_E10value_typeEPSM_NS1_7vsmem_tEENKUlT_SK_SL_SM_E_clISE_PsSF_SF_EESJ_SZ_SK_SL_SM_EUlSZ_E0_NS1_11comp_targetILNS1_3genE5ELNS1_11target_archE942ELNS1_3gpuE9ELNS1_3repE0EEENS1_38merge_mergepath_config_static_selectorELNS0_4arch9wavefront6targetE1EEEvSL_
		.amdhsa_group_segment_fixed_size 2112
		.amdhsa_private_segment_fixed_size 0
		.amdhsa_kernarg_size 320
		.amdhsa_user_sgpr_count 2
		.amdhsa_user_sgpr_dispatch_ptr 0
		.amdhsa_user_sgpr_queue_ptr 0
		.amdhsa_user_sgpr_kernarg_segment_ptr 1
		.amdhsa_user_sgpr_dispatch_id 0
		.amdhsa_user_sgpr_kernarg_preload_length 0
		.amdhsa_user_sgpr_kernarg_preload_offset 0
		.amdhsa_user_sgpr_private_segment_size 0
		.amdhsa_uses_dynamic_stack 0
		.amdhsa_enable_private_segment 0
		.amdhsa_system_sgpr_workgroup_id_x 1
		.amdhsa_system_sgpr_workgroup_id_y 1
		.amdhsa_system_sgpr_workgroup_id_z 1
		.amdhsa_system_sgpr_workgroup_info 0
		.amdhsa_system_vgpr_workitem_id 0
		.amdhsa_next_free_vgpr 26
		.amdhsa_next_free_sgpr 24
		.amdhsa_accum_offset 28
		.amdhsa_reserve_vcc 1
		.amdhsa_float_round_mode_32 0
		.amdhsa_float_round_mode_16_64 0
		.amdhsa_float_denorm_mode_32 3
		.amdhsa_float_denorm_mode_16_64 3
		.amdhsa_dx10_clamp 1
		.amdhsa_ieee_mode 1
		.amdhsa_fp16_overflow 0
		.amdhsa_tg_split 0
		.amdhsa_exception_fp_ieee_invalid_op 0
		.amdhsa_exception_fp_denorm_src 0
		.amdhsa_exception_fp_ieee_div_zero 0
		.amdhsa_exception_fp_ieee_overflow 0
		.amdhsa_exception_fp_ieee_underflow 0
		.amdhsa_exception_fp_ieee_inexact 0
		.amdhsa_exception_int_div_zero 0
	.end_amdhsa_kernel
	.section	.text._ZN7rocprim17ROCPRIM_400000_NS6detail17trampoline_kernelINS0_14default_configENS1_38merge_sort_block_merge_config_selectorIsNS0_10empty_typeEEEZZNS1_27merge_sort_block_merge_implIS3_N6thrust23THRUST_200600_302600_NS6detail15normal_iteratorINS9_10device_ptrIsEEEEPS5_jNS1_19radix_merge_compareILb0ELb1EsNS0_19identity_decomposerEEEEE10hipError_tT0_T1_T2_jT3_P12ihipStream_tbPNSt15iterator_traitsISK_E10value_typeEPNSQ_ISL_E10value_typeEPSM_NS1_7vsmem_tEENKUlT_SK_SL_SM_E_clISE_PsSF_SF_EESJ_SZ_SK_SL_SM_EUlSZ_E0_NS1_11comp_targetILNS1_3genE5ELNS1_11target_archE942ELNS1_3gpuE9ELNS1_3repE0EEENS1_38merge_mergepath_config_static_selectorELNS0_4arch9wavefront6targetE1EEEvSL_,"axG",@progbits,_ZN7rocprim17ROCPRIM_400000_NS6detail17trampoline_kernelINS0_14default_configENS1_38merge_sort_block_merge_config_selectorIsNS0_10empty_typeEEEZZNS1_27merge_sort_block_merge_implIS3_N6thrust23THRUST_200600_302600_NS6detail15normal_iteratorINS9_10device_ptrIsEEEEPS5_jNS1_19radix_merge_compareILb0ELb1EsNS0_19identity_decomposerEEEEE10hipError_tT0_T1_T2_jT3_P12ihipStream_tbPNSt15iterator_traitsISK_E10value_typeEPNSQ_ISL_E10value_typeEPSM_NS1_7vsmem_tEENKUlT_SK_SL_SM_E_clISE_PsSF_SF_EESJ_SZ_SK_SL_SM_EUlSZ_E0_NS1_11comp_targetILNS1_3genE5ELNS1_11target_archE942ELNS1_3gpuE9ELNS1_3repE0EEENS1_38merge_mergepath_config_static_selectorELNS0_4arch9wavefront6targetE1EEEvSL_,comdat
.Lfunc_end1909:
	.size	_ZN7rocprim17ROCPRIM_400000_NS6detail17trampoline_kernelINS0_14default_configENS1_38merge_sort_block_merge_config_selectorIsNS0_10empty_typeEEEZZNS1_27merge_sort_block_merge_implIS3_N6thrust23THRUST_200600_302600_NS6detail15normal_iteratorINS9_10device_ptrIsEEEEPS5_jNS1_19radix_merge_compareILb0ELb1EsNS0_19identity_decomposerEEEEE10hipError_tT0_T1_T2_jT3_P12ihipStream_tbPNSt15iterator_traitsISK_E10value_typeEPNSQ_ISL_E10value_typeEPSM_NS1_7vsmem_tEENKUlT_SK_SL_SM_E_clISE_PsSF_SF_EESJ_SZ_SK_SL_SM_EUlSZ_E0_NS1_11comp_targetILNS1_3genE5ELNS1_11target_archE942ELNS1_3gpuE9ELNS1_3repE0EEENS1_38merge_mergepath_config_static_selectorELNS0_4arch9wavefront6targetE1EEEvSL_, .Lfunc_end1909-_ZN7rocprim17ROCPRIM_400000_NS6detail17trampoline_kernelINS0_14default_configENS1_38merge_sort_block_merge_config_selectorIsNS0_10empty_typeEEEZZNS1_27merge_sort_block_merge_implIS3_N6thrust23THRUST_200600_302600_NS6detail15normal_iteratorINS9_10device_ptrIsEEEEPS5_jNS1_19radix_merge_compareILb0ELb1EsNS0_19identity_decomposerEEEEE10hipError_tT0_T1_T2_jT3_P12ihipStream_tbPNSt15iterator_traitsISK_E10value_typeEPNSQ_ISL_E10value_typeEPSM_NS1_7vsmem_tEENKUlT_SK_SL_SM_E_clISE_PsSF_SF_EESJ_SZ_SK_SL_SM_EUlSZ_E0_NS1_11comp_targetILNS1_3genE5ELNS1_11target_archE942ELNS1_3gpuE9ELNS1_3repE0EEENS1_38merge_mergepath_config_static_selectorELNS0_4arch9wavefront6targetE1EEEvSL_
                                        ; -- End function
	.section	.AMDGPU.csdata,"",@progbits
; Kernel info:
; codeLenInByte = 3520
; NumSgprs: 30
; NumVgprs: 26
; NumAgprs: 0
; TotalNumVgprs: 26
; ScratchSize: 0
; MemoryBound: 0
; FloatMode: 240
; IeeeMode: 1
; LDSByteSize: 2112 bytes/workgroup (compile time only)
; SGPRBlocks: 3
; VGPRBlocks: 3
; NumSGPRsForWavesPerEU: 30
; NumVGPRsForWavesPerEU: 26
; AccumOffset: 28
; Occupancy: 8
; WaveLimiterHint : 1
; COMPUTE_PGM_RSRC2:SCRATCH_EN: 0
; COMPUTE_PGM_RSRC2:USER_SGPR: 2
; COMPUTE_PGM_RSRC2:TRAP_HANDLER: 0
; COMPUTE_PGM_RSRC2:TGID_X_EN: 1
; COMPUTE_PGM_RSRC2:TGID_Y_EN: 1
; COMPUTE_PGM_RSRC2:TGID_Z_EN: 1
; COMPUTE_PGM_RSRC2:TIDIG_COMP_CNT: 0
; COMPUTE_PGM_RSRC3_GFX90A:ACCUM_OFFSET: 6
; COMPUTE_PGM_RSRC3_GFX90A:TG_SPLIT: 0
	.section	.text._ZN7rocprim17ROCPRIM_400000_NS6detail17trampoline_kernelINS0_14default_configENS1_38merge_sort_block_merge_config_selectorIsNS0_10empty_typeEEEZZNS1_27merge_sort_block_merge_implIS3_N6thrust23THRUST_200600_302600_NS6detail15normal_iteratorINS9_10device_ptrIsEEEEPS5_jNS1_19radix_merge_compareILb0ELb1EsNS0_19identity_decomposerEEEEE10hipError_tT0_T1_T2_jT3_P12ihipStream_tbPNSt15iterator_traitsISK_E10value_typeEPNSQ_ISL_E10value_typeEPSM_NS1_7vsmem_tEENKUlT_SK_SL_SM_E_clISE_PsSF_SF_EESJ_SZ_SK_SL_SM_EUlSZ_E0_NS1_11comp_targetILNS1_3genE4ELNS1_11target_archE910ELNS1_3gpuE8ELNS1_3repE0EEENS1_38merge_mergepath_config_static_selectorELNS0_4arch9wavefront6targetE1EEEvSL_,"axG",@progbits,_ZN7rocprim17ROCPRIM_400000_NS6detail17trampoline_kernelINS0_14default_configENS1_38merge_sort_block_merge_config_selectorIsNS0_10empty_typeEEEZZNS1_27merge_sort_block_merge_implIS3_N6thrust23THRUST_200600_302600_NS6detail15normal_iteratorINS9_10device_ptrIsEEEEPS5_jNS1_19radix_merge_compareILb0ELb1EsNS0_19identity_decomposerEEEEE10hipError_tT0_T1_T2_jT3_P12ihipStream_tbPNSt15iterator_traitsISK_E10value_typeEPNSQ_ISL_E10value_typeEPSM_NS1_7vsmem_tEENKUlT_SK_SL_SM_E_clISE_PsSF_SF_EESJ_SZ_SK_SL_SM_EUlSZ_E0_NS1_11comp_targetILNS1_3genE4ELNS1_11target_archE910ELNS1_3gpuE8ELNS1_3repE0EEENS1_38merge_mergepath_config_static_selectorELNS0_4arch9wavefront6targetE1EEEvSL_,comdat
	.protected	_ZN7rocprim17ROCPRIM_400000_NS6detail17trampoline_kernelINS0_14default_configENS1_38merge_sort_block_merge_config_selectorIsNS0_10empty_typeEEEZZNS1_27merge_sort_block_merge_implIS3_N6thrust23THRUST_200600_302600_NS6detail15normal_iteratorINS9_10device_ptrIsEEEEPS5_jNS1_19radix_merge_compareILb0ELb1EsNS0_19identity_decomposerEEEEE10hipError_tT0_T1_T2_jT3_P12ihipStream_tbPNSt15iterator_traitsISK_E10value_typeEPNSQ_ISL_E10value_typeEPSM_NS1_7vsmem_tEENKUlT_SK_SL_SM_E_clISE_PsSF_SF_EESJ_SZ_SK_SL_SM_EUlSZ_E0_NS1_11comp_targetILNS1_3genE4ELNS1_11target_archE910ELNS1_3gpuE8ELNS1_3repE0EEENS1_38merge_mergepath_config_static_selectorELNS0_4arch9wavefront6targetE1EEEvSL_ ; -- Begin function _ZN7rocprim17ROCPRIM_400000_NS6detail17trampoline_kernelINS0_14default_configENS1_38merge_sort_block_merge_config_selectorIsNS0_10empty_typeEEEZZNS1_27merge_sort_block_merge_implIS3_N6thrust23THRUST_200600_302600_NS6detail15normal_iteratorINS9_10device_ptrIsEEEEPS5_jNS1_19radix_merge_compareILb0ELb1EsNS0_19identity_decomposerEEEEE10hipError_tT0_T1_T2_jT3_P12ihipStream_tbPNSt15iterator_traitsISK_E10value_typeEPNSQ_ISL_E10value_typeEPSM_NS1_7vsmem_tEENKUlT_SK_SL_SM_E_clISE_PsSF_SF_EESJ_SZ_SK_SL_SM_EUlSZ_E0_NS1_11comp_targetILNS1_3genE4ELNS1_11target_archE910ELNS1_3gpuE8ELNS1_3repE0EEENS1_38merge_mergepath_config_static_selectorELNS0_4arch9wavefront6targetE1EEEvSL_
	.globl	_ZN7rocprim17ROCPRIM_400000_NS6detail17trampoline_kernelINS0_14default_configENS1_38merge_sort_block_merge_config_selectorIsNS0_10empty_typeEEEZZNS1_27merge_sort_block_merge_implIS3_N6thrust23THRUST_200600_302600_NS6detail15normal_iteratorINS9_10device_ptrIsEEEEPS5_jNS1_19radix_merge_compareILb0ELb1EsNS0_19identity_decomposerEEEEE10hipError_tT0_T1_T2_jT3_P12ihipStream_tbPNSt15iterator_traitsISK_E10value_typeEPNSQ_ISL_E10value_typeEPSM_NS1_7vsmem_tEENKUlT_SK_SL_SM_E_clISE_PsSF_SF_EESJ_SZ_SK_SL_SM_EUlSZ_E0_NS1_11comp_targetILNS1_3genE4ELNS1_11target_archE910ELNS1_3gpuE8ELNS1_3repE0EEENS1_38merge_mergepath_config_static_selectorELNS0_4arch9wavefront6targetE1EEEvSL_
	.p2align	8
	.type	_ZN7rocprim17ROCPRIM_400000_NS6detail17trampoline_kernelINS0_14default_configENS1_38merge_sort_block_merge_config_selectorIsNS0_10empty_typeEEEZZNS1_27merge_sort_block_merge_implIS3_N6thrust23THRUST_200600_302600_NS6detail15normal_iteratorINS9_10device_ptrIsEEEEPS5_jNS1_19radix_merge_compareILb0ELb1EsNS0_19identity_decomposerEEEEE10hipError_tT0_T1_T2_jT3_P12ihipStream_tbPNSt15iterator_traitsISK_E10value_typeEPNSQ_ISL_E10value_typeEPSM_NS1_7vsmem_tEENKUlT_SK_SL_SM_E_clISE_PsSF_SF_EESJ_SZ_SK_SL_SM_EUlSZ_E0_NS1_11comp_targetILNS1_3genE4ELNS1_11target_archE910ELNS1_3gpuE8ELNS1_3repE0EEENS1_38merge_mergepath_config_static_selectorELNS0_4arch9wavefront6targetE1EEEvSL_,@function
_ZN7rocprim17ROCPRIM_400000_NS6detail17trampoline_kernelINS0_14default_configENS1_38merge_sort_block_merge_config_selectorIsNS0_10empty_typeEEEZZNS1_27merge_sort_block_merge_implIS3_N6thrust23THRUST_200600_302600_NS6detail15normal_iteratorINS9_10device_ptrIsEEEEPS5_jNS1_19radix_merge_compareILb0ELb1EsNS0_19identity_decomposerEEEEE10hipError_tT0_T1_T2_jT3_P12ihipStream_tbPNSt15iterator_traitsISK_E10value_typeEPNSQ_ISL_E10value_typeEPSM_NS1_7vsmem_tEENKUlT_SK_SL_SM_E_clISE_PsSF_SF_EESJ_SZ_SK_SL_SM_EUlSZ_E0_NS1_11comp_targetILNS1_3genE4ELNS1_11target_archE910ELNS1_3gpuE8ELNS1_3repE0EEENS1_38merge_mergepath_config_static_selectorELNS0_4arch9wavefront6targetE1EEEvSL_: ; @_ZN7rocprim17ROCPRIM_400000_NS6detail17trampoline_kernelINS0_14default_configENS1_38merge_sort_block_merge_config_selectorIsNS0_10empty_typeEEEZZNS1_27merge_sort_block_merge_implIS3_N6thrust23THRUST_200600_302600_NS6detail15normal_iteratorINS9_10device_ptrIsEEEEPS5_jNS1_19radix_merge_compareILb0ELb1EsNS0_19identity_decomposerEEEEE10hipError_tT0_T1_T2_jT3_P12ihipStream_tbPNSt15iterator_traitsISK_E10value_typeEPNSQ_ISL_E10value_typeEPSM_NS1_7vsmem_tEENKUlT_SK_SL_SM_E_clISE_PsSF_SF_EESJ_SZ_SK_SL_SM_EUlSZ_E0_NS1_11comp_targetILNS1_3genE4ELNS1_11target_archE910ELNS1_3gpuE8ELNS1_3repE0EEENS1_38merge_mergepath_config_static_selectorELNS0_4arch9wavefront6targetE1EEEvSL_
; %bb.0:
	.section	.rodata,"a",@progbits
	.p2align	6, 0x0
	.amdhsa_kernel _ZN7rocprim17ROCPRIM_400000_NS6detail17trampoline_kernelINS0_14default_configENS1_38merge_sort_block_merge_config_selectorIsNS0_10empty_typeEEEZZNS1_27merge_sort_block_merge_implIS3_N6thrust23THRUST_200600_302600_NS6detail15normal_iteratorINS9_10device_ptrIsEEEEPS5_jNS1_19radix_merge_compareILb0ELb1EsNS0_19identity_decomposerEEEEE10hipError_tT0_T1_T2_jT3_P12ihipStream_tbPNSt15iterator_traitsISK_E10value_typeEPNSQ_ISL_E10value_typeEPSM_NS1_7vsmem_tEENKUlT_SK_SL_SM_E_clISE_PsSF_SF_EESJ_SZ_SK_SL_SM_EUlSZ_E0_NS1_11comp_targetILNS1_3genE4ELNS1_11target_archE910ELNS1_3gpuE8ELNS1_3repE0EEENS1_38merge_mergepath_config_static_selectorELNS0_4arch9wavefront6targetE1EEEvSL_
		.amdhsa_group_segment_fixed_size 0
		.amdhsa_private_segment_fixed_size 0
		.amdhsa_kernarg_size 64
		.amdhsa_user_sgpr_count 2
		.amdhsa_user_sgpr_dispatch_ptr 0
		.amdhsa_user_sgpr_queue_ptr 0
		.amdhsa_user_sgpr_kernarg_segment_ptr 1
		.amdhsa_user_sgpr_dispatch_id 0
		.amdhsa_user_sgpr_kernarg_preload_length 0
		.amdhsa_user_sgpr_kernarg_preload_offset 0
		.amdhsa_user_sgpr_private_segment_size 0
		.amdhsa_uses_dynamic_stack 0
		.amdhsa_enable_private_segment 0
		.amdhsa_system_sgpr_workgroup_id_x 1
		.amdhsa_system_sgpr_workgroup_id_y 0
		.amdhsa_system_sgpr_workgroup_id_z 0
		.amdhsa_system_sgpr_workgroup_info 0
		.amdhsa_system_vgpr_workitem_id 0
		.amdhsa_next_free_vgpr 1
		.amdhsa_next_free_sgpr 0
		.amdhsa_accum_offset 4
		.amdhsa_reserve_vcc 0
		.amdhsa_float_round_mode_32 0
		.amdhsa_float_round_mode_16_64 0
		.amdhsa_float_denorm_mode_32 3
		.amdhsa_float_denorm_mode_16_64 3
		.amdhsa_dx10_clamp 1
		.amdhsa_ieee_mode 1
		.amdhsa_fp16_overflow 0
		.amdhsa_tg_split 0
		.amdhsa_exception_fp_ieee_invalid_op 0
		.amdhsa_exception_fp_denorm_src 0
		.amdhsa_exception_fp_ieee_div_zero 0
		.amdhsa_exception_fp_ieee_overflow 0
		.amdhsa_exception_fp_ieee_underflow 0
		.amdhsa_exception_fp_ieee_inexact 0
		.amdhsa_exception_int_div_zero 0
	.end_amdhsa_kernel
	.section	.text._ZN7rocprim17ROCPRIM_400000_NS6detail17trampoline_kernelINS0_14default_configENS1_38merge_sort_block_merge_config_selectorIsNS0_10empty_typeEEEZZNS1_27merge_sort_block_merge_implIS3_N6thrust23THRUST_200600_302600_NS6detail15normal_iteratorINS9_10device_ptrIsEEEEPS5_jNS1_19radix_merge_compareILb0ELb1EsNS0_19identity_decomposerEEEEE10hipError_tT0_T1_T2_jT3_P12ihipStream_tbPNSt15iterator_traitsISK_E10value_typeEPNSQ_ISL_E10value_typeEPSM_NS1_7vsmem_tEENKUlT_SK_SL_SM_E_clISE_PsSF_SF_EESJ_SZ_SK_SL_SM_EUlSZ_E0_NS1_11comp_targetILNS1_3genE4ELNS1_11target_archE910ELNS1_3gpuE8ELNS1_3repE0EEENS1_38merge_mergepath_config_static_selectorELNS0_4arch9wavefront6targetE1EEEvSL_,"axG",@progbits,_ZN7rocprim17ROCPRIM_400000_NS6detail17trampoline_kernelINS0_14default_configENS1_38merge_sort_block_merge_config_selectorIsNS0_10empty_typeEEEZZNS1_27merge_sort_block_merge_implIS3_N6thrust23THRUST_200600_302600_NS6detail15normal_iteratorINS9_10device_ptrIsEEEEPS5_jNS1_19radix_merge_compareILb0ELb1EsNS0_19identity_decomposerEEEEE10hipError_tT0_T1_T2_jT3_P12ihipStream_tbPNSt15iterator_traitsISK_E10value_typeEPNSQ_ISL_E10value_typeEPSM_NS1_7vsmem_tEENKUlT_SK_SL_SM_E_clISE_PsSF_SF_EESJ_SZ_SK_SL_SM_EUlSZ_E0_NS1_11comp_targetILNS1_3genE4ELNS1_11target_archE910ELNS1_3gpuE8ELNS1_3repE0EEENS1_38merge_mergepath_config_static_selectorELNS0_4arch9wavefront6targetE1EEEvSL_,comdat
.Lfunc_end1910:
	.size	_ZN7rocprim17ROCPRIM_400000_NS6detail17trampoline_kernelINS0_14default_configENS1_38merge_sort_block_merge_config_selectorIsNS0_10empty_typeEEEZZNS1_27merge_sort_block_merge_implIS3_N6thrust23THRUST_200600_302600_NS6detail15normal_iteratorINS9_10device_ptrIsEEEEPS5_jNS1_19radix_merge_compareILb0ELb1EsNS0_19identity_decomposerEEEEE10hipError_tT0_T1_T2_jT3_P12ihipStream_tbPNSt15iterator_traitsISK_E10value_typeEPNSQ_ISL_E10value_typeEPSM_NS1_7vsmem_tEENKUlT_SK_SL_SM_E_clISE_PsSF_SF_EESJ_SZ_SK_SL_SM_EUlSZ_E0_NS1_11comp_targetILNS1_3genE4ELNS1_11target_archE910ELNS1_3gpuE8ELNS1_3repE0EEENS1_38merge_mergepath_config_static_selectorELNS0_4arch9wavefront6targetE1EEEvSL_, .Lfunc_end1910-_ZN7rocprim17ROCPRIM_400000_NS6detail17trampoline_kernelINS0_14default_configENS1_38merge_sort_block_merge_config_selectorIsNS0_10empty_typeEEEZZNS1_27merge_sort_block_merge_implIS3_N6thrust23THRUST_200600_302600_NS6detail15normal_iteratorINS9_10device_ptrIsEEEEPS5_jNS1_19radix_merge_compareILb0ELb1EsNS0_19identity_decomposerEEEEE10hipError_tT0_T1_T2_jT3_P12ihipStream_tbPNSt15iterator_traitsISK_E10value_typeEPNSQ_ISL_E10value_typeEPSM_NS1_7vsmem_tEENKUlT_SK_SL_SM_E_clISE_PsSF_SF_EESJ_SZ_SK_SL_SM_EUlSZ_E0_NS1_11comp_targetILNS1_3genE4ELNS1_11target_archE910ELNS1_3gpuE8ELNS1_3repE0EEENS1_38merge_mergepath_config_static_selectorELNS0_4arch9wavefront6targetE1EEEvSL_
                                        ; -- End function
	.section	.AMDGPU.csdata,"",@progbits
; Kernel info:
; codeLenInByte = 0
; NumSgprs: 6
; NumVgprs: 0
; NumAgprs: 0
; TotalNumVgprs: 0
; ScratchSize: 0
; MemoryBound: 0
; FloatMode: 240
; IeeeMode: 1
; LDSByteSize: 0 bytes/workgroup (compile time only)
; SGPRBlocks: 0
; VGPRBlocks: 0
; NumSGPRsForWavesPerEU: 6
; NumVGPRsForWavesPerEU: 1
; AccumOffset: 4
; Occupancy: 8
; WaveLimiterHint : 0
; COMPUTE_PGM_RSRC2:SCRATCH_EN: 0
; COMPUTE_PGM_RSRC2:USER_SGPR: 2
; COMPUTE_PGM_RSRC2:TRAP_HANDLER: 0
; COMPUTE_PGM_RSRC2:TGID_X_EN: 1
; COMPUTE_PGM_RSRC2:TGID_Y_EN: 0
; COMPUTE_PGM_RSRC2:TGID_Z_EN: 0
; COMPUTE_PGM_RSRC2:TIDIG_COMP_CNT: 0
; COMPUTE_PGM_RSRC3_GFX90A:ACCUM_OFFSET: 0
; COMPUTE_PGM_RSRC3_GFX90A:TG_SPLIT: 0
	.section	.text._ZN7rocprim17ROCPRIM_400000_NS6detail17trampoline_kernelINS0_14default_configENS1_38merge_sort_block_merge_config_selectorIsNS0_10empty_typeEEEZZNS1_27merge_sort_block_merge_implIS3_N6thrust23THRUST_200600_302600_NS6detail15normal_iteratorINS9_10device_ptrIsEEEEPS5_jNS1_19radix_merge_compareILb0ELb1EsNS0_19identity_decomposerEEEEE10hipError_tT0_T1_T2_jT3_P12ihipStream_tbPNSt15iterator_traitsISK_E10value_typeEPNSQ_ISL_E10value_typeEPSM_NS1_7vsmem_tEENKUlT_SK_SL_SM_E_clISE_PsSF_SF_EESJ_SZ_SK_SL_SM_EUlSZ_E0_NS1_11comp_targetILNS1_3genE3ELNS1_11target_archE908ELNS1_3gpuE7ELNS1_3repE0EEENS1_38merge_mergepath_config_static_selectorELNS0_4arch9wavefront6targetE1EEEvSL_,"axG",@progbits,_ZN7rocprim17ROCPRIM_400000_NS6detail17trampoline_kernelINS0_14default_configENS1_38merge_sort_block_merge_config_selectorIsNS0_10empty_typeEEEZZNS1_27merge_sort_block_merge_implIS3_N6thrust23THRUST_200600_302600_NS6detail15normal_iteratorINS9_10device_ptrIsEEEEPS5_jNS1_19radix_merge_compareILb0ELb1EsNS0_19identity_decomposerEEEEE10hipError_tT0_T1_T2_jT3_P12ihipStream_tbPNSt15iterator_traitsISK_E10value_typeEPNSQ_ISL_E10value_typeEPSM_NS1_7vsmem_tEENKUlT_SK_SL_SM_E_clISE_PsSF_SF_EESJ_SZ_SK_SL_SM_EUlSZ_E0_NS1_11comp_targetILNS1_3genE3ELNS1_11target_archE908ELNS1_3gpuE7ELNS1_3repE0EEENS1_38merge_mergepath_config_static_selectorELNS0_4arch9wavefront6targetE1EEEvSL_,comdat
	.protected	_ZN7rocprim17ROCPRIM_400000_NS6detail17trampoline_kernelINS0_14default_configENS1_38merge_sort_block_merge_config_selectorIsNS0_10empty_typeEEEZZNS1_27merge_sort_block_merge_implIS3_N6thrust23THRUST_200600_302600_NS6detail15normal_iteratorINS9_10device_ptrIsEEEEPS5_jNS1_19radix_merge_compareILb0ELb1EsNS0_19identity_decomposerEEEEE10hipError_tT0_T1_T2_jT3_P12ihipStream_tbPNSt15iterator_traitsISK_E10value_typeEPNSQ_ISL_E10value_typeEPSM_NS1_7vsmem_tEENKUlT_SK_SL_SM_E_clISE_PsSF_SF_EESJ_SZ_SK_SL_SM_EUlSZ_E0_NS1_11comp_targetILNS1_3genE3ELNS1_11target_archE908ELNS1_3gpuE7ELNS1_3repE0EEENS1_38merge_mergepath_config_static_selectorELNS0_4arch9wavefront6targetE1EEEvSL_ ; -- Begin function _ZN7rocprim17ROCPRIM_400000_NS6detail17trampoline_kernelINS0_14default_configENS1_38merge_sort_block_merge_config_selectorIsNS0_10empty_typeEEEZZNS1_27merge_sort_block_merge_implIS3_N6thrust23THRUST_200600_302600_NS6detail15normal_iteratorINS9_10device_ptrIsEEEEPS5_jNS1_19radix_merge_compareILb0ELb1EsNS0_19identity_decomposerEEEEE10hipError_tT0_T1_T2_jT3_P12ihipStream_tbPNSt15iterator_traitsISK_E10value_typeEPNSQ_ISL_E10value_typeEPSM_NS1_7vsmem_tEENKUlT_SK_SL_SM_E_clISE_PsSF_SF_EESJ_SZ_SK_SL_SM_EUlSZ_E0_NS1_11comp_targetILNS1_3genE3ELNS1_11target_archE908ELNS1_3gpuE7ELNS1_3repE0EEENS1_38merge_mergepath_config_static_selectorELNS0_4arch9wavefront6targetE1EEEvSL_
	.globl	_ZN7rocprim17ROCPRIM_400000_NS6detail17trampoline_kernelINS0_14default_configENS1_38merge_sort_block_merge_config_selectorIsNS0_10empty_typeEEEZZNS1_27merge_sort_block_merge_implIS3_N6thrust23THRUST_200600_302600_NS6detail15normal_iteratorINS9_10device_ptrIsEEEEPS5_jNS1_19radix_merge_compareILb0ELb1EsNS0_19identity_decomposerEEEEE10hipError_tT0_T1_T2_jT3_P12ihipStream_tbPNSt15iterator_traitsISK_E10value_typeEPNSQ_ISL_E10value_typeEPSM_NS1_7vsmem_tEENKUlT_SK_SL_SM_E_clISE_PsSF_SF_EESJ_SZ_SK_SL_SM_EUlSZ_E0_NS1_11comp_targetILNS1_3genE3ELNS1_11target_archE908ELNS1_3gpuE7ELNS1_3repE0EEENS1_38merge_mergepath_config_static_selectorELNS0_4arch9wavefront6targetE1EEEvSL_
	.p2align	8
	.type	_ZN7rocprim17ROCPRIM_400000_NS6detail17trampoline_kernelINS0_14default_configENS1_38merge_sort_block_merge_config_selectorIsNS0_10empty_typeEEEZZNS1_27merge_sort_block_merge_implIS3_N6thrust23THRUST_200600_302600_NS6detail15normal_iteratorINS9_10device_ptrIsEEEEPS5_jNS1_19radix_merge_compareILb0ELb1EsNS0_19identity_decomposerEEEEE10hipError_tT0_T1_T2_jT3_P12ihipStream_tbPNSt15iterator_traitsISK_E10value_typeEPNSQ_ISL_E10value_typeEPSM_NS1_7vsmem_tEENKUlT_SK_SL_SM_E_clISE_PsSF_SF_EESJ_SZ_SK_SL_SM_EUlSZ_E0_NS1_11comp_targetILNS1_3genE3ELNS1_11target_archE908ELNS1_3gpuE7ELNS1_3repE0EEENS1_38merge_mergepath_config_static_selectorELNS0_4arch9wavefront6targetE1EEEvSL_,@function
_ZN7rocprim17ROCPRIM_400000_NS6detail17trampoline_kernelINS0_14default_configENS1_38merge_sort_block_merge_config_selectorIsNS0_10empty_typeEEEZZNS1_27merge_sort_block_merge_implIS3_N6thrust23THRUST_200600_302600_NS6detail15normal_iteratorINS9_10device_ptrIsEEEEPS5_jNS1_19radix_merge_compareILb0ELb1EsNS0_19identity_decomposerEEEEE10hipError_tT0_T1_T2_jT3_P12ihipStream_tbPNSt15iterator_traitsISK_E10value_typeEPNSQ_ISL_E10value_typeEPSM_NS1_7vsmem_tEENKUlT_SK_SL_SM_E_clISE_PsSF_SF_EESJ_SZ_SK_SL_SM_EUlSZ_E0_NS1_11comp_targetILNS1_3genE3ELNS1_11target_archE908ELNS1_3gpuE7ELNS1_3repE0EEENS1_38merge_mergepath_config_static_selectorELNS0_4arch9wavefront6targetE1EEEvSL_: ; @_ZN7rocprim17ROCPRIM_400000_NS6detail17trampoline_kernelINS0_14default_configENS1_38merge_sort_block_merge_config_selectorIsNS0_10empty_typeEEEZZNS1_27merge_sort_block_merge_implIS3_N6thrust23THRUST_200600_302600_NS6detail15normal_iteratorINS9_10device_ptrIsEEEEPS5_jNS1_19radix_merge_compareILb0ELb1EsNS0_19identity_decomposerEEEEE10hipError_tT0_T1_T2_jT3_P12ihipStream_tbPNSt15iterator_traitsISK_E10value_typeEPNSQ_ISL_E10value_typeEPSM_NS1_7vsmem_tEENKUlT_SK_SL_SM_E_clISE_PsSF_SF_EESJ_SZ_SK_SL_SM_EUlSZ_E0_NS1_11comp_targetILNS1_3genE3ELNS1_11target_archE908ELNS1_3gpuE7ELNS1_3repE0EEENS1_38merge_mergepath_config_static_selectorELNS0_4arch9wavefront6targetE1EEEvSL_
; %bb.0:
	.section	.rodata,"a",@progbits
	.p2align	6, 0x0
	.amdhsa_kernel _ZN7rocprim17ROCPRIM_400000_NS6detail17trampoline_kernelINS0_14default_configENS1_38merge_sort_block_merge_config_selectorIsNS0_10empty_typeEEEZZNS1_27merge_sort_block_merge_implIS3_N6thrust23THRUST_200600_302600_NS6detail15normal_iteratorINS9_10device_ptrIsEEEEPS5_jNS1_19radix_merge_compareILb0ELb1EsNS0_19identity_decomposerEEEEE10hipError_tT0_T1_T2_jT3_P12ihipStream_tbPNSt15iterator_traitsISK_E10value_typeEPNSQ_ISL_E10value_typeEPSM_NS1_7vsmem_tEENKUlT_SK_SL_SM_E_clISE_PsSF_SF_EESJ_SZ_SK_SL_SM_EUlSZ_E0_NS1_11comp_targetILNS1_3genE3ELNS1_11target_archE908ELNS1_3gpuE7ELNS1_3repE0EEENS1_38merge_mergepath_config_static_selectorELNS0_4arch9wavefront6targetE1EEEvSL_
		.amdhsa_group_segment_fixed_size 0
		.amdhsa_private_segment_fixed_size 0
		.amdhsa_kernarg_size 64
		.amdhsa_user_sgpr_count 2
		.amdhsa_user_sgpr_dispatch_ptr 0
		.amdhsa_user_sgpr_queue_ptr 0
		.amdhsa_user_sgpr_kernarg_segment_ptr 1
		.amdhsa_user_sgpr_dispatch_id 0
		.amdhsa_user_sgpr_kernarg_preload_length 0
		.amdhsa_user_sgpr_kernarg_preload_offset 0
		.amdhsa_user_sgpr_private_segment_size 0
		.amdhsa_uses_dynamic_stack 0
		.amdhsa_enable_private_segment 0
		.amdhsa_system_sgpr_workgroup_id_x 1
		.amdhsa_system_sgpr_workgroup_id_y 0
		.amdhsa_system_sgpr_workgroup_id_z 0
		.amdhsa_system_sgpr_workgroup_info 0
		.amdhsa_system_vgpr_workitem_id 0
		.amdhsa_next_free_vgpr 1
		.amdhsa_next_free_sgpr 0
		.amdhsa_accum_offset 4
		.amdhsa_reserve_vcc 0
		.amdhsa_float_round_mode_32 0
		.amdhsa_float_round_mode_16_64 0
		.amdhsa_float_denorm_mode_32 3
		.amdhsa_float_denorm_mode_16_64 3
		.amdhsa_dx10_clamp 1
		.amdhsa_ieee_mode 1
		.amdhsa_fp16_overflow 0
		.amdhsa_tg_split 0
		.amdhsa_exception_fp_ieee_invalid_op 0
		.amdhsa_exception_fp_denorm_src 0
		.amdhsa_exception_fp_ieee_div_zero 0
		.amdhsa_exception_fp_ieee_overflow 0
		.amdhsa_exception_fp_ieee_underflow 0
		.amdhsa_exception_fp_ieee_inexact 0
		.amdhsa_exception_int_div_zero 0
	.end_amdhsa_kernel
	.section	.text._ZN7rocprim17ROCPRIM_400000_NS6detail17trampoline_kernelINS0_14default_configENS1_38merge_sort_block_merge_config_selectorIsNS0_10empty_typeEEEZZNS1_27merge_sort_block_merge_implIS3_N6thrust23THRUST_200600_302600_NS6detail15normal_iteratorINS9_10device_ptrIsEEEEPS5_jNS1_19radix_merge_compareILb0ELb1EsNS0_19identity_decomposerEEEEE10hipError_tT0_T1_T2_jT3_P12ihipStream_tbPNSt15iterator_traitsISK_E10value_typeEPNSQ_ISL_E10value_typeEPSM_NS1_7vsmem_tEENKUlT_SK_SL_SM_E_clISE_PsSF_SF_EESJ_SZ_SK_SL_SM_EUlSZ_E0_NS1_11comp_targetILNS1_3genE3ELNS1_11target_archE908ELNS1_3gpuE7ELNS1_3repE0EEENS1_38merge_mergepath_config_static_selectorELNS0_4arch9wavefront6targetE1EEEvSL_,"axG",@progbits,_ZN7rocprim17ROCPRIM_400000_NS6detail17trampoline_kernelINS0_14default_configENS1_38merge_sort_block_merge_config_selectorIsNS0_10empty_typeEEEZZNS1_27merge_sort_block_merge_implIS3_N6thrust23THRUST_200600_302600_NS6detail15normal_iteratorINS9_10device_ptrIsEEEEPS5_jNS1_19radix_merge_compareILb0ELb1EsNS0_19identity_decomposerEEEEE10hipError_tT0_T1_T2_jT3_P12ihipStream_tbPNSt15iterator_traitsISK_E10value_typeEPNSQ_ISL_E10value_typeEPSM_NS1_7vsmem_tEENKUlT_SK_SL_SM_E_clISE_PsSF_SF_EESJ_SZ_SK_SL_SM_EUlSZ_E0_NS1_11comp_targetILNS1_3genE3ELNS1_11target_archE908ELNS1_3gpuE7ELNS1_3repE0EEENS1_38merge_mergepath_config_static_selectorELNS0_4arch9wavefront6targetE1EEEvSL_,comdat
.Lfunc_end1911:
	.size	_ZN7rocprim17ROCPRIM_400000_NS6detail17trampoline_kernelINS0_14default_configENS1_38merge_sort_block_merge_config_selectorIsNS0_10empty_typeEEEZZNS1_27merge_sort_block_merge_implIS3_N6thrust23THRUST_200600_302600_NS6detail15normal_iteratorINS9_10device_ptrIsEEEEPS5_jNS1_19radix_merge_compareILb0ELb1EsNS0_19identity_decomposerEEEEE10hipError_tT0_T1_T2_jT3_P12ihipStream_tbPNSt15iterator_traitsISK_E10value_typeEPNSQ_ISL_E10value_typeEPSM_NS1_7vsmem_tEENKUlT_SK_SL_SM_E_clISE_PsSF_SF_EESJ_SZ_SK_SL_SM_EUlSZ_E0_NS1_11comp_targetILNS1_3genE3ELNS1_11target_archE908ELNS1_3gpuE7ELNS1_3repE0EEENS1_38merge_mergepath_config_static_selectorELNS0_4arch9wavefront6targetE1EEEvSL_, .Lfunc_end1911-_ZN7rocprim17ROCPRIM_400000_NS6detail17trampoline_kernelINS0_14default_configENS1_38merge_sort_block_merge_config_selectorIsNS0_10empty_typeEEEZZNS1_27merge_sort_block_merge_implIS3_N6thrust23THRUST_200600_302600_NS6detail15normal_iteratorINS9_10device_ptrIsEEEEPS5_jNS1_19radix_merge_compareILb0ELb1EsNS0_19identity_decomposerEEEEE10hipError_tT0_T1_T2_jT3_P12ihipStream_tbPNSt15iterator_traitsISK_E10value_typeEPNSQ_ISL_E10value_typeEPSM_NS1_7vsmem_tEENKUlT_SK_SL_SM_E_clISE_PsSF_SF_EESJ_SZ_SK_SL_SM_EUlSZ_E0_NS1_11comp_targetILNS1_3genE3ELNS1_11target_archE908ELNS1_3gpuE7ELNS1_3repE0EEENS1_38merge_mergepath_config_static_selectorELNS0_4arch9wavefront6targetE1EEEvSL_
                                        ; -- End function
	.section	.AMDGPU.csdata,"",@progbits
; Kernel info:
; codeLenInByte = 0
; NumSgprs: 6
; NumVgprs: 0
; NumAgprs: 0
; TotalNumVgprs: 0
; ScratchSize: 0
; MemoryBound: 0
; FloatMode: 240
; IeeeMode: 1
; LDSByteSize: 0 bytes/workgroup (compile time only)
; SGPRBlocks: 0
; VGPRBlocks: 0
; NumSGPRsForWavesPerEU: 6
; NumVGPRsForWavesPerEU: 1
; AccumOffset: 4
; Occupancy: 8
; WaveLimiterHint : 0
; COMPUTE_PGM_RSRC2:SCRATCH_EN: 0
; COMPUTE_PGM_RSRC2:USER_SGPR: 2
; COMPUTE_PGM_RSRC2:TRAP_HANDLER: 0
; COMPUTE_PGM_RSRC2:TGID_X_EN: 1
; COMPUTE_PGM_RSRC2:TGID_Y_EN: 0
; COMPUTE_PGM_RSRC2:TGID_Z_EN: 0
; COMPUTE_PGM_RSRC2:TIDIG_COMP_CNT: 0
; COMPUTE_PGM_RSRC3_GFX90A:ACCUM_OFFSET: 0
; COMPUTE_PGM_RSRC3_GFX90A:TG_SPLIT: 0
	.section	.text._ZN7rocprim17ROCPRIM_400000_NS6detail17trampoline_kernelINS0_14default_configENS1_38merge_sort_block_merge_config_selectorIsNS0_10empty_typeEEEZZNS1_27merge_sort_block_merge_implIS3_N6thrust23THRUST_200600_302600_NS6detail15normal_iteratorINS9_10device_ptrIsEEEEPS5_jNS1_19radix_merge_compareILb0ELb1EsNS0_19identity_decomposerEEEEE10hipError_tT0_T1_T2_jT3_P12ihipStream_tbPNSt15iterator_traitsISK_E10value_typeEPNSQ_ISL_E10value_typeEPSM_NS1_7vsmem_tEENKUlT_SK_SL_SM_E_clISE_PsSF_SF_EESJ_SZ_SK_SL_SM_EUlSZ_E0_NS1_11comp_targetILNS1_3genE2ELNS1_11target_archE906ELNS1_3gpuE6ELNS1_3repE0EEENS1_38merge_mergepath_config_static_selectorELNS0_4arch9wavefront6targetE1EEEvSL_,"axG",@progbits,_ZN7rocprim17ROCPRIM_400000_NS6detail17trampoline_kernelINS0_14default_configENS1_38merge_sort_block_merge_config_selectorIsNS0_10empty_typeEEEZZNS1_27merge_sort_block_merge_implIS3_N6thrust23THRUST_200600_302600_NS6detail15normal_iteratorINS9_10device_ptrIsEEEEPS5_jNS1_19radix_merge_compareILb0ELb1EsNS0_19identity_decomposerEEEEE10hipError_tT0_T1_T2_jT3_P12ihipStream_tbPNSt15iterator_traitsISK_E10value_typeEPNSQ_ISL_E10value_typeEPSM_NS1_7vsmem_tEENKUlT_SK_SL_SM_E_clISE_PsSF_SF_EESJ_SZ_SK_SL_SM_EUlSZ_E0_NS1_11comp_targetILNS1_3genE2ELNS1_11target_archE906ELNS1_3gpuE6ELNS1_3repE0EEENS1_38merge_mergepath_config_static_selectorELNS0_4arch9wavefront6targetE1EEEvSL_,comdat
	.protected	_ZN7rocprim17ROCPRIM_400000_NS6detail17trampoline_kernelINS0_14default_configENS1_38merge_sort_block_merge_config_selectorIsNS0_10empty_typeEEEZZNS1_27merge_sort_block_merge_implIS3_N6thrust23THRUST_200600_302600_NS6detail15normal_iteratorINS9_10device_ptrIsEEEEPS5_jNS1_19radix_merge_compareILb0ELb1EsNS0_19identity_decomposerEEEEE10hipError_tT0_T1_T2_jT3_P12ihipStream_tbPNSt15iterator_traitsISK_E10value_typeEPNSQ_ISL_E10value_typeEPSM_NS1_7vsmem_tEENKUlT_SK_SL_SM_E_clISE_PsSF_SF_EESJ_SZ_SK_SL_SM_EUlSZ_E0_NS1_11comp_targetILNS1_3genE2ELNS1_11target_archE906ELNS1_3gpuE6ELNS1_3repE0EEENS1_38merge_mergepath_config_static_selectorELNS0_4arch9wavefront6targetE1EEEvSL_ ; -- Begin function _ZN7rocprim17ROCPRIM_400000_NS6detail17trampoline_kernelINS0_14default_configENS1_38merge_sort_block_merge_config_selectorIsNS0_10empty_typeEEEZZNS1_27merge_sort_block_merge_implIS3_N6thrust23THRUST_200600_302600_NS6detail15normal_iteratorINS9_10device_ptrIsEEEEPS5_jNS1_19radix_merge_compareILb0ELb1EsNS0_19identity_decomposerEEEEE10hipError_tT0_T1_T2_jT3_P12ihipStream_tbPNSt15iterator_traitsISK_E10value_typeEPNSQ_ISL_E10value_typeEPSM_NS1_7vsmem_tEENKUlT_SK_SL_SM_E_clISE_PsSF_SF_EESJ_SZ_SK_SL_SM_EUlSZ_E0_NS1_11comp_targetILNS1_3genE2ELNS1_11target_archE906ELNS1_3gpuE6ELNS1_3repE0EEENS1_38merge_mergepath_config_static_selectorELNS0_4arch9wavefront6targetE1EEEvSL_
	.globl	_ZN7rocprim17ROCPRIM_400000_NS6detail17trampoline_kernelINS0_14default_configENS1_38merge_sort_block_merge_config_selectorIsNS0_10empty_typeEEEZZNS1_27merge_sort_block_merge_implIS3_N6thrust23THRUST_200600_302600_NS6detail15normal_iteratorINS9_10device_ptrIsEEEEPS5_jNS1_19radix_merge_compareILb0ELb1EsNS0_19identity_decomposerEEEEE10hipError_tT0_T1_T2_jT3_P12ihipStream_tbPNSt15iterator_traitsISK_E10value_typeEPNSQ_ISL_E10value_typeEPSM_NS1_7vsmem_tEENKUlT_SK_SL_SM_E_clISE_PsSF_SF_EESJ_SZ_SK_SL_SM_EUlSZ_E0_NS1_11comp_targetILNS1_3genE2ELNS1_11target_archE906ELNS1_3gpuE6ELNS1_3repE0EEENS1_38merge_mergepath_config_static_selectorELNS0_4arch9wavefront6targetE1EEEvSL_
	.p2align	8
	.type	_ZN7rocprim17ROCPRIM_400000_NS6detail17trampoline_kernelINS0_14default_configENS1_38merge_sort_block_merge_config_selectorIsNS0_10empty_typeEEEZZNS1_27merge_sort_block_merge_implIS3_N6thrust23THRUST_200600_302600_NS6detail15normal_iteratorINS9_10device_ptrIsEEEEPS5_jNS1_19radix_merge_compareILb0ELb1EsNS0_19identity_decomposerEEEEE10hipError_tT0_T1_T2_jT3_P12ihipStream_tbPNSt15iterator_traitsISK_E10value_typeEPNSQ_ISL_E10value_typeEPSM_NS1_7vsmem_tEENKUlT_SK_SL_SM_E_clISE_PsSF_SF_EESJ_SZ_SK_SL_SM_EUlSZ_E0_NS1_11comp_targetILNS1_3genE2ELNS1_11target_archE906ELNS1_3gpuE6ELNS1_3repE0EEENS1_38merge_mergepath_config_static_selectorELNS0_4arch9wavefront6targetE1EEEvSL_,@function
_ZN7rocprim17ROCPRIM_400000_NS6detail17trampoline_kernelINS0_14default_configENS1_38merge_sort_block_merge_config_selectorIsNS0_10empty_typeEEEZZNS1_27merge_sort_block_merge_implIS3_N6thrust23THRUST_200600_302600_NS6detail15normal_iteratorINS9_10device_ptrIsEEEEPS5_jNS1_19radix_merge_compareILb0ELb1EsNS0_19identity_decomposerEEEEE10hipError_tT0_T1_T2_jT3_P12ihipStream_tbPNSt15iterator_traitsISK_E10value_typeEPNSQ_ISL_E10value_typeEPSM_NS1_7vsmem_tEENKUlT_SK_SL_SM_E_clISE_PsSF_SF_EESJ_SZ_SK_SL_SM_EUlSZ_E0_NS1_11comp_targetILNS1_3genE2ELNS1_11target_archE906ELNS1_3gpuE6ELNS1_3repE0EEENS1_38merge_mergepath_config_static_selectorELNS0_4arch9wavefront6targetE1EEEvSL_: ; @_ZN7rocprim17ROCPRIM_400000_NS6detail17trampoline_kernelINS0_14default_configENS1_38merge_sort_block_merge_config_selectorIsNS0_10empty_typeEEEZZNS1_27merge_sort_block_merge_implIS3_N6thrust23THRUST_200600_302600_NS6detail15normal_iteratorINS9_10device_ptrIsEEEEPS5_jNS1_19radix_merge_compareILb0ELb1EsNS0_19identity_decomposerEEEEE10hipError_tT0_T1_T2_jT3_P12ihipStream_tbPNSt15iterator_traitsISK_E10value_typeEPNSQ_ISL_E10value_typeEPSM_NS1_7vsmem_tEENKUlT_SK_SL_SM_E_clISE_PsSF_SF_EESJ_SZ_SK_SL_SM_EUlSZ_E0_NS1_11comp_targetILNS1_3genE2ELNS1_11target_archE906ELNS1_3gpuE6ELNS1_3repE0EEENS1_38merge_mergepath_config_static_selectorELNS0_4arch9wavefront6targetE1EEEvSL_
; %bb.0:
	.section	.rodata,"a",@progbits
	.p2align	6, 0x0
	.amdhsa_kernel _ZN7rocprim17ROCPRIM_400000_NS6detail17trampoline_kernelINS0_14default_configENS1_38merge_sort_block_merge_config_selectorIsNS0_10empty_typeEEEZZNS1_27merge_sort_block_merge_implIS3_N6thrust23THRUST_200600_302600_NS6detail15normal_iteratorINS9_10device_ptrIsEEEEPS5_jNS1_19radix_merge_compareILb0ELb1EsNS0_19identity_decomposerEEEEE10hipError_tT0_T1_T2_jT3_P12ihipStream_tbPNSt15iterator_traitsISK_E10value_typeEPNSQ_ISL_E10value_typeEPSM_NS1_7vsmem_tEENKUlT_SK_SL_SM_E_clISE_PsSF_SF_EESJ_SZ_SK_SL_SM_EUlSZ_E0_NS1_11comp_targetILNS1_3genE2ELNS1_11target_archE906ELNS1_3gpuE6ELNS1_3repE0EEENS1_38merge_mergepath_config_static_selectorELNS0_4arch9wavefront6targetE1EEEvSL_
		.amdhsa_group_segment_fixed_size 0
		.amdhsa_private_segment_fixed_size 0
		.amdhsa_kernarg_size 64
		.amdhsa_user_sgpr_count 2
		.amdhsa_user_sgpr_dispatch_ptr 0
		.amdhsa_user_sgpr_queue_ptr 0
		.amdhsa_user_sgpr_kernarg_segment_ptr 1
		.amdhsa_user_sgpr_dispatch_id 0
		.amdhsa_user_sgpr_kernarg_preload_length 0
		.amdhsa_user_sgpr_kernarg_preload_offset 0
		.amdhsa_user_sgpr_private_segment_size 0
		.amdhsa_uses_dynamic_stack 0
		.amdhsa_enable_private_segment 0
		.amdhsa_system_sgpr_workgroup_id_x 1
		.amdhsa_system_sgpr_workgroup_id_y 0
		.amdhsa_system_sgpr_workgroup_id_z 0
		.amdhsa_system_sgpr_workgroup_info 0
		.amdhsa_system_vgpr_workitem_id 0
		.amdhsa_next_free_vgpr 1
		.amdhsa_next_free_sgpr 0
		.amdhsa_accum_offset 4
		.amdhsa_reserve_vcc 0
		.amdhsa_float_round_mode_32 0
		.amdhsa_float_round_mode_16_64 0
		.amdhsa_float_denorm_mode_32 3
		.amdhsa_float_denorm_mode_16_64 3
		.amdhsa_dx10_clamp 1
		.amdhsa_ieee_mode 1
		.amdhsa_fp16_overflow 0
		.amdhsa_tg_split 0
		.amdhsa_exception_fp_ieee_invalid_op 0
		.amdhsa_exception_fp_denorm_src 0
		.amdhsa_exception_fp_ieee_div_zero 0
		.amdhsa_exception_fp_ieee_overflow 0
		.amdhsa_exception_fp_ieee_underflow 0
		.amdhsa_exception_fp_ieee_inexact 0
		.amdhsa_exception_int_div_zero 0
	.end_amdhsa_kernel
	.section	.text._ZN7rocprim17ROCPRIM_400000_NS6detail17trampoline_kernelINS0_14default_configENS1_38merge_sort_block_merge_config_selectorIsNS0_10empty_typeEEEZZNS1_27merge_sort_block_merge_implIS3_N6thrust23THRUST_200600_302600_NS6detail15normal_iteratorINS9_10device_ptrIsEEEEPS5_jNS1_19radix_merge_compareILb0ELb1EsNS0_19identity_decomposerEEEEE10hipError_tT0_T1_T2_jT3_P12ihipStream_tbPNSt15iterator_traitsISK_E10value_typeEPNSQ_ISL_E10value_typeEPSM_NS1_7vsmem_tEENKUlT_SK_SL_SM_E_clISE_PsSF_SF_EESJ_SZ_SK_SL_SM_EUlSZ_E0_NS1_11comp_targetILNS1_3genE2ELNS1_11target_archE906ELNS1_3gpuE6ELNS1_3repE0EEENS1_38merge_mergepath_config_static_selectorELNS0_4arch9wavefront6targetE1EEEvSL_,"axG",@progbits,_ZN7rocprim17ROCPRIM_400000_NS6detail17trampoline_kernelINS0_14default_configENS1_38merge_sort_block_merge_config_selectorIsNS0_10empty_typeEEEZZNS1_27merge_sort_block_merge_implIS3_N6thrust23THRUST_200600_302600_NS6detail15normal_iteratorINS9_10device_ptrIsEEEEPS5_jNS1_19radix_merge_compareILb0ELb1EsNS0_19identity_decomposerEEEEE10hipError_tT0_T1_T2_jT3_P12ihipStream_tbPNSt15iterator_traitsISK_E10value_typeEPNSQ_ISL_E10value_typeEPSM_NS1_7vsmem_tEENKUlT_SK_SL_SM_E_clISE_PsSF_SF_EESJ_SZ_SK_SL_SM_EUlSZ_E0_NS1_11comp_targetILNS1_3genE2ELNS1_11target_archE906ELNS1_3gpuE6ELNS1_3repE0EEENS1_38merge_mergepath_config_static_selectorELNS0_4arch9wavefront6targetE1EEEvSL_,comdat
.Lfunc_end1912:
	.size	_ZN7rocprim17ROCPRIM_400000_NS6detail17trampoline_kernelINS0_14default_configENS1_38merge_sort_block_merge_config_selectorIsNS0_10empty_typeEEEZZNS1_27merge_sort_block_merge_implIS3_N6thrust23THRUST_200600_302600_NS6detail15normal_iteratorINS9_10device_ptrIsEEEEPS5_jNS1_19radix_merge_compareILb0ELb1EsNS0_19identity_decomposerEEEEE10hipError_tT0_T1_T2_jT3_P12ihipStream_tbPNSt15iterator_traitsISK_E10value_typeEPNSQ_ISL_E10value_typeEPSM_NS1_7vsmem_tEENKUlT_SK_SL_SM_E_clISE_PsSF_SF_EESJ_SZ_SK_SL_SM_EUlSZ_E0_NS1_11comp_targetILNS1_3genE2ELNS1_11target_archE906ELNS1_3gpuE6ELNS1_3repE0EEENS1_38merge_mergepath_config_static_selectorELNS0_4arch9wavefront6targetE1EEEvSL_, .Lfunc_end1912-_ZN7rocprim17ROCPRIM_400000_NS6detail17trampoline_kernelINS0_14default_configENS1_38merge_sort_block_merge_config_selectorIsNS0_10empty_typeEEEZZNS1_27merge_sort_block_merge_implIS3_N6thrust23THRUST_200600_302600_NS6detail15normal_iteratorINS9_10device_ptrIsEEEEPS5_jNS1_19radix_merge_compareILb0ELb1EsNS0_19identity_decomposerEEEEE10hipError_tT0_T1_T2_jT3_P12ihipStream_tbPNSt15iterator_traitsISK_E10value_typeEPNSQ_ISL_E10value_typeEPSM_NS1_7vsmem_tEENKUlT_SK_SL_SM_E_clISE_PsSF_SF_EESJ_SZ_SK_SL_SM_EUlSZ_E0_NS1_11comp_targetILNS1_3genE2ELNS1_11target_archE906ELNS1_3gpuE6ELNS1_3repE0EEENS1_38merge_mergepath_config_static_selectorELNS0_4arch9wavefront6targetE1EEEvSL_
                                        ; -- End function
	.section	.AMDGPU.csdata,"",@progbits
; Kernel info:
; codeLenInByte = 0
; NumSgprs: 6
; NumVgprs: 0
; NumAgprs: 0
; TotalNumVgprs: 0
; ScratchSize: 0
; MemoryBound: 0
; FloatMode: 240
; IeeeMode: 1
; LDSByteSize: 0 bytes/workgroup (compile time only)
; SGPRBlocks: 0
; VGPRBlocks: 0
; NumSGPRsForWavesPerEU: 6
; NumVGPRsForWavesPerEU: 1
; AccumOffset: 4
; Occupancy: 8
; WaveLimiterHint : 0
; COMPUTE_PGM_RSRC2:SCRATCH_EN: 0
; COMPUTE_PGM_RSRC2:USER_SGPR: 2
; COMPUTE_PGM_RSRC2:TRAP_HANDLER: 0
; COMPUTE_PGM_RSRC2:TGID_X_EN: 1
; COMPUTE_PGM_RSRC2:TGID_Y_EN: 0
; COMPUTE_PGM_RSRC2:TGID_Z_EN: 0
; COMPUTE_PGM_RSRC2:TIDIG_COMP_CNT: 0
; COMPUTE_PGM_RSRC3_GFX90A:ACCUM_OFFSET: 0
; COMPUTE_PGM_RSRC3_GFX90A:TG_SPLIT: 0
	.section	.text._ZN7rocprim17ROCPRIM_400000_NS6detail17trampoline_kernelINS0_14default_configENS1_38merge_sort_block_merge_config_selectorIsNS0_10empty_typeEEEZZNS1_27merge_sort_block_merge_implIS3_N6thrust23THRUST_200600_302600_NS6detail15normal_iteratorINS9_10device_ptrIsEEEEPS5_jNS1_19radix_merge_compareILb0ELb1EsNS0_19identity_decomposerEEEEE10hipError_tT0_T1_T2_jT3_P12ihipStream_tbPNSt15iterator_traitsISK_E10value_typeEPNSQ_ISL_E10value_typeEPSM_NS1_7vsmem_tEENKUlT_SK_SL_SM_E_clISE_PsSF_SF_EESJ_SZ_SK_SL_SM_EUlSZ_E0_NS1_11comp_targetILNS1_3genE9ELNS1_11target_archE1100ELNS1_3gpuE3ELNS1_3repE0EEENS1_38merge_mergepath_config_static_selectorELNS0_4arch9wavefront6targetE1EEEvSL_,"axG",@progbits,_ZN7rocprim17ROCPRIM_400000_NS6detail17trampoline_kernelINS0_14default_configENS1_38merge_sort_block_merge_config_selectorIsNS0_10empty_typeEEEZZNS1_27merge_sort_block_merge_implIS3_N6thrust23THRUST_200600_302600_NS6detail15normal_iteratorINS9_10device_ptrIsEEEEPS5_jNS1_19radix_merge_compareILb0ELb1EsNS0_19identity_decomposerEEEEE10hipError_tT0_T1_T2_jT3_P12ihipStream_tbPNSt15iterator_traitsISK_E10value_typeEPNSQ_ISL_E10value_typeEPSM_NS1_7vsmem_tEENKUlT_SK_SL_SM_E_clISE_PsSF_SF_EESJ_SZ_SK_SL_SM_EUlSZ_E0_NS1_11comp_targetILNS1_3genE9ELNS1_11target_archE1100ELNS1_3gpuE3ELNS1_3repE0EEENS1_38merge_mergepath_config_static_selectorELNS0_4arch9wavefront6targetE1EEEvSL_,comdat
	.protected	_ZN7rocprim17ROCPRIM_400000_NS6detail17trampoline_kernelINS0_14default_configENS1_38merge_sort_block_merge_config_selectorIsNS0_10empty_typeEEEZZNS1_27merge_sort_block_merge_implIS3_N6thrust23THRUST_200600_302600_NS6detail15normal_iteratorINS9_10device_ptrIsEEEEPS5_jNS1_19radix_merge_compareILb0ELb1EsNS0_19identity_decomposerEEEEE10hipError_tT0_T1_T2_jT3_P12ihipStream_tbPNSt15iterator_traitsISK_E10value_typeEPNSQ_ISL_E10value_typeEPSM_NS1_7vsmem_tEENKUlT_SK_SL_SM_E_clISE_PsSF_SF_EESJ_SZ_SK_SL_SM_EUlSZ_E0_NS1_11comp_targetILNS1_3genE9ELNS1_11target_archE1100ELNS1_3gpuE3ELNS1_3repE0EEENS1_38merge_mergepath_config_static_selectorELNS0_4arch9wavefront6targetE1EEEvSL_ ; -- Begin function _ZN7rocprim17ROCPRIM_400000_NS6detail17trampoline_kernelINS0_14default_configENS1_38merge_sort_block_merge_config_selectorIsNS0_10empty_typeEEEZZNS1_27merge_sort_block_merge_implIS3_N6thrust23THRUST_200600_302600_NS6detail15normal_iteratorINS9_10device_ptrIsEEEEPS5_jNS1_19radix_merge_compareILb0ELb1EsNS0_19identity_decomposerEEEEE10hipError_tT0_T1_T2_jT3_P12ihipStream_tbPNSt15iterator_traitsISK_E10value_typeEPNSQ_ISL_E10value_typeEPSM_NS1_7vsmem_tEENKUlT_SK_SL_SM_E_clISE_PsSF_SF_EESJ_SZ_SK_SL_SM_EUlSZ_E0_NS1_11comp_targetILNS1_3genE9ELNS1_11target_archE1100ELNS1_3gpuE3ELNS1_3repE0EEENS1_38merge_mergepath_config_static_selectorELNS0_4arch9wavefront6targetE1EEEvSL_
	.globl	_ZN7rocprim17ROCPRIM_400000_NS6detail17trampoline_kernelINS0_14default_configENS1_38merge_sort_block_merge_config_selectorIsNS0_10empty_typeEEEZZNS1_27merge_sort_block_merge_implIS3_N6thrust23THRUST_200600_302600_NS6detail15normal_iteratorINS9_10device_ptrIsEEEEPS5_jNS1_19radix_merge_compareILb0ELb1EsNS0_19identity_decomposerEEEEE10hipError_tT0_T1_T2_jT3_P12ihipStream_tbPNSt15iterator_traitsISK_E10value_typeEPNSQ_ISL_E10value_typeEPSM_NS1_7vsmem_tEENKUlT_SK_SL_SM_E_clISE_PsSF_SF_EESJ_SZ_SK_SL_SM_EUlSZ_E0_NS1_11comp_targetILNS1_3genE9ELNS1_11target_archE1100ELNS1_3gpuE3ELNS1_3repE0EEENS1_38merge_mergepath_config_static_selectorELNS0_4arch9wavefront6targetE1EEEvSL_
	.p2align	8
	.type	_ZN7rocprim17ROCPRIM_400000_NS6detail17trampoline_kernelINS0_14default_configENS1_38merge_sort_block_merge_config_selectorIsNS0_10empty_typeEEEZZNS1_27merge_sort_block_merge_implIS3_N6thrust23THRUST_200600_302600_NS6detail15normal_iteratorINS9_10device_ptrIsEEEEPS5_jNS1_19radix_merge_compareILb0ELb1EsNS0_19identity_decomposerEEEEE10hipError_tT0_T1_T2_jT3_P12ihipStream_tbPNSt15iterator_traitsISK_E10value_typeEPNSQ_ISL_E10value_typeEPSM_NS1_7vsmem_tEENKUlT_SK_SL_SM_E_clISE_PsSF_SF_EESJ_SZ_SK_SL_SM_EUlSZ_E0_NS1_11comp_targetILNS1_3genE9ELNS1_11target_archE1100ELNS1_3gpuE3ELNS1_3repE0EEENS1_38merge_mergepath_config_static_selectorELNS0_4arch9wavefront6targetE1EEEvSL_,@function
_ZN7rocprim17ROCPRIM_400000_NS6detail17trampoline_kernelINS0_14default_configENS1_38merge_sort_block_merge_config_selectorIsNS0_10empty_typeEEEZZNS1_27merge_sort_block_merge_implIS3_N6thrust23THRUST_200600_302600_NS6detail15normal_iteratorINS9_10device_ptrIsEEEEPS5_jNS1_19radix_merge_compareILb0ELb1EsNS0_19identity_decomposerEEEEE10hipError_tT0_T1_T2_jT3_P12ihipStream_tbPNSt15iterator_traitsISK_E10value_typeEPNSQ_ISL_E10value_typeEPSM_NS1_7vsmem_tEENKUlT_SK_SL_SM_E_clISE_PsSF_SF_EESJ_SZ_SK_SL_SM_EUlSZ_E0_NS1_11comp_targetILNS1_3genE9ELNS1_11target_archE1100ELNS1_3gpuE3ELNS1_3repE0EEENS1_38merge_mergepath_config_static_selectorELNS0_4arch9wavefront6targetE1EEEvSL_: ; @_ZN7rocprim17ROCPRIM_400000_NS6detail17trampoline_kernelINS0_14default_configENS1_38merge_sort_block_merge_config_selectorIsNS0_10empty_typeEEEZZNS1_27merge_sort_block_merge_implIS3_N6thrust23THRUST_200600_302600_NS6detail15normal_iteratorINS9_10device_ptrIsEEEEPS5_jNS1_19radix_merge_compareILb0ELb1EsNS0_19identity_decomposerEEEEE10hipError_tT0_T1_T2_jT3_P12ihipStream_tbPNSt15iterator_traitsISK_E10value_typeEPNSQ_ISL_E10value_typeEPSM_NS1_7vsmem_tEENKUlT_SK_SL_SM_E_clISE_PsSF_SF_EESJ_SZ_SK_SL_SM_EUlSZ_E0_NS1_11comp_targetILNS1_3genE9ELNS1_11target_archE1100ELNS1_3gpuE3ELNS1_3repE0EEENS1_38merge_mergepath_config_static_selectorELNS0_4arch9wavefront6targetE1EEEvSL_
; %bb.0:
	.section	.rodata,"a",@progbits
	.p2align	6, 0x0
	.amdhsa_kernel _ZN7rocprim17ROCPRIM_400000_NS6detail17trampoline_kernelINS0_14default_configENS1_38merge_sort_block_merge_config_selectorIsNS0_10empty_typeEEEZZNS1_27merge_sort_block_merge_implIS3_N6thrust23THRUST_200600_302600_NS6detail15normal_iteratorINS9_10device_ptrIsEEEEPS5_jNS1_19radix_merge_compareILb0ELb1EsNS0_19identity_decomposerEEEEE10hipError_tT0_T1_T2_jT3_P12ihipStream_tbPNSt15iterator_traitsISK_E10value_typeEPNSQ_ISL_E10value_typeEPSM_NS1_7vsmem_tEENKUlT_SK_SL_SM_E_clISE_PsSF_SF_EESJ_SZ_SK_SL_SM_EUlSZ_E0_NS1_11comp_targetILNS1_3genE9ELNS1_11target_archE1100ELNS1_3gpuE3ELNS1_3repE0EEENS1_38merge_mergepath_config_static_selectorELNS0_4arch9wavefront6targetE1EEEvSL_
		.amdhsa_group_segment_fixed_size 0
		.amdhsa_private_segment_fixed_size 0
		.amdhsa_kernarg_size 64
		.amdhsa_user_sgpr_count 2
		.amdhsa_user_sgpr_dispatch_ptr 0
		.amdhsa_user_sgpr_queue_ptr 0
		.amdhsa_user_sgpr_kernarg_segment_ptr 1
		.amdhsa_user_sgpr_dispatch_id 0
		.amdhsa_user_sgpr_kernarg_preload_length 0
		.amdhsa_user_sgpr_kernarg_preload_offset 0
		.amdhsa_user_sgpr_private_segment_size 0
		.amdhsa_uses_dynamic_stack 0
		.amdhsa_enable_private_segment 0
		.amdhsa_system_sgpr_workgroup_id_x 1
		.amdhsa_system_sgpr_workgroup_id_y 0
		.amdhsa_system_sgpr_workgroup_id_z 0
		.amdhsa_system_sgpr_workgroup_info 0
		.amdhsa_system_vgpr_workitem_id 0
		.amdhsa_next_free_vgpr 1
		.amdhsa_next_free_sgpr 0
		.amdhsa_accum_offset 4
		.amdhsa_reserve_vcc 0
		.amdhsa_float_round_mode_32 0
		.amdhsa_float_round_mode_16_64 0
		.amdhsa_float_denorm_mode_32 3
		.amdhsa_float_denorm_mode_16_64 3
		.amdhsa_dx10_clamp 1
		.amdhsa_ieee_mode 1
		.amdhsa_fp16_overflow 0
		.amdhsa_tg_split 0
		.amdhsa_exception_fp_ieee_invalid_op 0
		.amdhsa_exception_fp_denorm_src 0
		.amdhsa_exception_fp_ieee_div_zero 0
		.amdhsa_exception_fp_ieee_overflow 0
		.amdhsa_exception_fp_ieee_underflow 0
		.amdhsa_exception_fp_ieee_inexact 0
		.amdhsa_exception_int_div_zero 0
	.end_amdhsa_kernel
	.section	.text._ZN7rocprim17ROCPRIM_400000_NS6detail17trampoline_kernelINS0_14default_configENS1_38merge_sort_block_merge_config_selectorIsNS0_10empty_typeEEEZZNS1_27merge_sort_block_merge_implIS3_N6thrust23THRUST_200600_302600_NS6detail15normal_iteratorINS9_10device_ptrIsEEEEPS5_jNS1_19radix_merge_compareILb0ELb1EsNS0_19identity_decomposerEEEEE10hipError_tT0_T1_T2_jT3_P12ihipStream_tbPNSt15iterator_traitsISK_E10value_typeEPNSQ_ISL_E10value_typeEPSM_NS1_7vsmem_tEENKUlT_SK_SL_SM_E_clISE_PsSF_SF_EESJ_SZ_SK_SL_SM_EUlSZ_E0_NS1_11comp_targetILNS1_3genE9ELNS1_11target_archE1100ELNS1_3gpuE3ELNS1_3repE0EEENS1_38merge_mergepath_config_static_selectorELNS0_4arch9wavefront6targetE1EEEvSL_,"axG",@progbits,_ZN7rocprim17ROCPRIM_400000_NS6detail17trampoline_kernelINS0_14default_configENS1_38merge_sort_block_merge_config_selectorIsNS0_10empty_typeEEEZZNS1_27merge_sort_block_merge_implIS3_N6thrust23THRUST_200600_302600_NS6detail15normal_iteratorINS9_10device_ptrIsEEEEPS5_jNS1_19radix_merge_compareILb0ELb1EsNS0_19identity_decomposerEEEEE10hipError_tT0_T1_T2_jT3_P12ihipStream_tbPNSt15iterator_traitsISK_E10value_typeEPNSQ_ISL_E10value_typeEPSM_NS1_7vsmem_tEENKUlT_SK_SL_SM_E_clISE_PsSF_SF_EESJ_SZ_SK_SL_SM_EUlSZ_E0_NS1_11comp_targetILNS1_3genE9ELNS1_11target_archE1100ELNS1_3gpuE3ELNS1_3repE0EEENS1_38merge_mergepath_config_static_selectorELNS0_4arch9wavefront6targetE1EEEvSL_,comdat
.Lfunc_end1913:
	.size	_ZN7rocprim17ROCPRIM_400000_NS6detail17trampoline_kernelINS0_14default_configENS1_38merge_sort_block_merge_config_selectorIsNS0_10empty_typeEEEZZNS1_27merge_sort_block_merge_implIS3_N6thrust23THRUST_200600_302600_NS6detail15normal_iteratorINS9_10device_ptrIsEEEEPS5_jNS1_19radix_merge_compareILb0ELb1EsNS0_19identity_decomposerEEEEE10hipError_tT0_T1_T2_jT3_P12ihipStream_tbPNSt15iterator_traitsISK_E10value_typeEPNSQ_ISL_E10value_typeEPSM_NS1_7vsmem_tEENKUlT_SK_SL_SM_E_clISE_PsSF_SF_EESJ_SZ_SK_SL_SM_EUlSZ_E0_NS1_11comp_targetILNS1_3genE9ELNS1_11target_archE1100ELNS1_3gpuE3ELNS1_3repE0EEENS1_38merge_mergepath_config_static_selectorELNS0_4arch9wavefront6targetE1EEEvSL_, .Lfunc_end1913-_ZN7rocprim17ROCPRIM_400000_NS6detail17trampoline_kernelINS0_14default_configENS1_38merge_sort_block_merge_config_selectorIsNS0_10empty_typeEEEZZNS1_27merge_sort_block_merge_implIS3_N6thrust23THRUST_200600_302600_NS6detail15normal_iteratorINS9_10device_ptrIsEEEEPS5_jNS1_19radix_merge_compareILb0ELb1EsNS0_19identity_decomposerEEEEE10hipError_tT0_T1_T2_jT3_P12ihipStream_tbPNSt15iterator_traitsISK_E10value_typeEPNSQ_ISL_E10value_typeEPSM_NS1_7vsmem_tEENKUlT_SK_SL_SM_E_clISE_PsSF_SF_EESJ_SZ_SK_SL_SM_EUlSZ_E0_NS1_11comp_targetILNS1_3genE9ELNS1_11target_archE1100ELNS1_3gpuE3ELNS1_3repE0EEENS1_38merge_mergepath_config_static_selectorELNS0_4arch9wavefront6targetE1EEEvSL_
                                        ; -- End function
	.section	.AMDGPU.csdata,"",@progbits
; Kernel info:
; codeLenInByte = 0
; NumSgprs: 6
; NumVgprs: 0
; NumAgprs: 0
; TotalNumVgprs: 0
; ScratchSize: 0
; MemoryBound: 0
; FloatMode: 240
; IeeeMode: 1
; LDSByteSize: 0 bytes/workgroup (compile time only)
; SGPRBlocks: 0
; VGPRBlocks: 0
; NumSGPRsForWavesPerEU: 6
; NumVGPRsForWavesPerEU: 1
; AccumOffset: 4
; Occupancy: 8
; WaveLimiterHint : 0
; COMPUTE_PGM_RSRC2:SCRATCH_EN: 0
; COMPUTE_PGM_RSRC2:USER_SGPR: 2
; COMPUTE_PGM_RSRC2:TRAP_HANDLER: 0
; COMPUTE_PGM_RSRC2:TGID_X_EN: 1
; COMPUTE_PGM_RSRC2:TGID_Y_EN: 0
; COMPUTE_PGM_RSRC2:TGID_Z_EN: 0
; COMPUTE_PGM_RSRC2:TIDIG_COMP_CNT: 0
; COMPUTE_PGM_RSRC3_GFX90A:ACCUM_OFFSET: 0
; COMPUTE_PGM_RSRC3_GFX90A:TG_SPLIT: 0
	.section	.text._ZN7rocprim17ROCPRIM_400000_NS6detail17trampoline_kernelINS0_14default_configENS1_38merge_sort_block_merge_config_selectorIsNS0_10empty_typeEEEZZNS1_27merge_sort_block_merge_implIS3_N6thrust23THRUST_200600_302600_NS6detail15normal_iteratorINS9_10device_ptrIsEEEEPS5_jNS1_19radix_merge_compareILb0ELb1EsNS0_19identity_decomposerEEEEE10hipError_tT0_T1_T2_jT3_P12ihipStream_tbPNSt15iterator_traitsISK_E10value_typeEPNSQ_ISL_E10value_typeEPSM_NS1_7vsmem_tEENKUlT_SK_SL_SM_E_clISE_PsSF_SF_EESJ_SZ_SK_SL_SM_EUlSZ_E0_NS1_11comp_targetILNS1_3genE8ELNS1_11target_archE1030ELNS1_3gpuE2ELNS1_3repE0EEENS1_38merge_mergepath_config_static_selectorELNS0_4arch9wavefront6targetE1EEEvSL_,"axG",@progbits,_ZN7rocprim17ROCPRIM_400000_NS6detail17trampoline_kernelINS0_14default_configENS1_38merge_sort_block_merge_config_selectorIsNS0_10empty_typeEEEZZNS1_27merge_sort_block_merge_implIS3_N6thrust23THRUST_200600_302600_NS6detail15normal_iteratorINS9_10device_ptrIsEEEEPS5_jNS1_19radix_merge_compareILb0ELb1EsNS0_19identity_decomposerEEEEE10hipError_tT0_T1_T2_jT3_P12ihipStream_tbPNSt15iterator_traitsISK_E10value_typeEPNSQ_ISL_E10value_typeEPSM_NS1_7vsmem_tEENKUlT_SK_SL_SM_E_clISE_PsSF_SF_EESJ_SZ_SK_SL_SM_EUlSZ_E0_NS1_11comp_targetILNS1_3genE8ELNS1_11target_archE1030ELNS1_3gpuE2ELNS1_3repE0EEENS1_38merge_mergepath_config_static_selectorELNS0_4arch9wavefront6targetE1EEEvSL_,comdat
	.protected	_ZN7rocprim17ROCPRIM_400000_NS6detail17trampoline_kernelINS0_14default_configENS1_38merge_sort_block_merge_config_selectorIsNS0_10empty_typeEEEZZNS1_27merge_sort_block_merge_implIS3_N6thrust23THRUST_200600_302600_NS6detail15normal_iteratorINS9_10device_ptrIsEEEEPS5_jNS1_19radix_merge_compareILb0ELb1EsNS0_19identity_decomposerEEEEE10hipError_tT0_T1_T2_jT3_P12ihipStream_tbPNSt15iterator_traitsISK_E10value_typeEPNSQ_ISL_E10value_typeEPSM_NS1_7vsmem_tEENKUlT_SK_SL_SM_E_clISE_PsSF_SF_EESJ_SZ_SK_SL_SM_EUlSZ_E0_NS1_11comp_targetILNS1_3genE8ELNS1_11target_archE1030ELNS1_3gpuE2ELNS1_3repE0EEENS1_38merge_mergepath_config_static_selectorELNS0_4arch9wavefront6targetE1EEEvSL_ ; -- Begin function _ZN7rocprim17ROCPRIM_400000_NS6detail17trampoline_kernelINS0_14default_configENS1_38merge_sort_block_merge_config_selectorIsNS0_10empty_typeEEEZZNS1_27merge_sort_block_merge_implIS3_N6thrust23THRUST_200600_302600_NS6detail15normal_iteratorINS9_10device_ptrIsEEEEPS5_jNS1_19radix_merge_compareILb0ELb1EsNS0_19identity_decomposerEEEEE10hipError_tT0_T1_T2_jT3_P12ihipStream_tbPNSt15iterator_traitsISK_E10value_typeEPNSQ_ISL_E10value_typeEPSM_NS1_7vsmem_tEENKUlT_SK_SL_SM_E_clISE_PsSF_SF_EESJ_SZ_SK_SL_SM_EUlSZ_E0_NS1_11comp_targetILNS1_3genE8ELNS1_11target_archE1030ELNS1_3gpuE2ELNS1_3repE0EEENS1_38merge_mergepath_config_static_selectorELNS0_4arch9wavefront6targetE1EEEvSL_
	.globl	_ZN7rocprim17ROCPRIM_400000_NS6detail17trampoline_kernelINS0_14default_configENS1_38merge_sort_block_merge_config_selectorIsNS0_10empty_typeEEEZZNS1_27merge_sort_block_merge_implIS3_N6thrust23THRUST_200600_302600_NS6detail15normal_iteratorINS9_10device_ptrIsEEEEPS5_jNS1_19radix_merge_compareILb0ELb1EsNS0_19identity_decomposerEEEEE10hipError_tT0_T1_T2_jT3_P12ihipStream_tbPNSt15iterator_traitsISK_E10value_typeEPNSQ_ISL_E10value_typeEPSM_NS1_7vsmem_tEENKUlT_SK_SL_SM_E_clISE_PsSF_SF_EESJ_SZ_SK_SL_SM_EUlSZ_E0_NS1_11comp_targetILNS1_3genE8ELNS1_11target_archE1030ELNS1_3gpuE2ELNS1_3repE0EEENS1_38merge_mergepath_config_static_selectorELNS0_4arch9wavefront6targetE1EEEvSL_
	.p2align	8
	.type	_ZN7rocprim17ROCPRIM_400000_NS6detail17trampoline_kernelINS0_14default_configENS1_38merge_sort_block_merge_config_selectorIsNS0_10empty_typeEEEZZNS1_27merge_sort_block_merge_implIS3_N6thrust23THRUST_200600_302600_NS6detail15normal_iteratorINS9_10device_ptrIsEEEEPS5_jNS1_19radix_merge_compareILb0ELb1EsNS0_19identity_decomposerEEEEE10hipError_tT0_T1_T2_jT3_P12ihipStream_tbPNSt15iterator_traitsISK_E10value_typeEPNSQ_ISL_E10value_typeEPSM_NS1_7vsmem_tEENKUlT_SK_SL_SM_E_clISE_PsSF_SF_EESJ_SZ_SK_SL_SM_EUlSZ_E0_NS1_11comp_targetILNS1_3genE8ELNS1_11target_archE1030ELNS1_3gpuE2ELNS1_3repE0EEENS1_38merge_mergepath_config_static_selectorELNS0_4arch9wavefront6targetE1EEEvSL_,@function
_ZN7rocprim17ROCPRIM_400000_NS6detail17trampoline_kernelINS0_14default_configENS1_38merge_sort_block_merge_config_selectorIsNS0_10empty_typeEEEZZNS1_27merge_sort_block_merge_implIS3_N6thrust23THRUST_200600_302600_NS6detail15normal_iteratorINS9_10device_ptrIsEEEEPS5_jNS1_19radix_merge_compareILb0ELb1EsNS0_19identity_decomposerEEEEE10hipError_tT0_T1_T2_jT3_P12ihipStream_tbPNSt15iterator_traitsISK_E10value_typeEPNSQ_ISL_E10value_typeEPSM_NS1_7vsmem_tEENKUlT_SK_SL_SM_E_clISE_PsSF_SF_EESJ_SZ_SK_SL_SM_EUlSZ_E0_NS1_11comp_targetILNS1_3genE8ELNS1_11target_archE1030ELNS1_3gpuE2ELNS1_3repE0EEENS1_38merge_mergepath_config_static_selectorELNS0_4arch9wavefront6targetE1EEEvSL_: ; @_ZN7rocprim17ROCPRIM_400000_NS6detail17trampoline_kernelINS0_14default_configENS1_38merge_sort_block_merge_config_selectorIsNS0_10empty_typeEEEZZNS1_27merge_sort_block_merge_implIS3_N6thrust23THRUST_200600_302600_NS6detail15normal_iteratorINS9_10device_ptrIsEEEEPS5_jNS1_19radix_merge_compareILb0ELb1EsNS0_19identity_decomposerEEEEE10hipError_tT0_T1_T2_jT3_P12ihipStream_tbPNSt15iterator_traitsISK_E10value_typeEPNSQ_ISL_E10value_typeEPSM_NS1_7vsmem_tEENKUlT_SK_SL_SM_E_clISE_PsSF_SF_EESJ_SZ_SK_SL_SM_EUlSZ_E0_NS1_11comp_targetILNS1_3genE8ELNS1_11target_archE1030ELNS1_3gpuE2ELNS1_3repE0EEENS1_38merge_mergepath_config_static_selectorELNS0_4arch9wavefront6targetE1EEEvSL_
; %bb.0:
	.section	.rodata,"a",@progbits
	.p2align	6, 0x0
	.amdhsa_kernel _ZN7rocprim17ROCPRIM_400000_NS6detail17trampoline_kernelINS0_14default_configENS1_38merge_sort_block_merge_config_selectorIsNS0_10empty_typeEEEZZNS1_27merge_sort_block_merge_implIS3_N6thrust23THRUST_200600_302600_NS6detail15normal_iteratorINS9_10device_ptrIsEEEEPS5_jNS1_19radix_merge_compareILb0ELb1EsNS0_19identity_decomposerEEEEE10hipError_tT0_T1_T2_jT3_P12ihipStream_tbPNSt15iterator_traitsISK_E10value_typeEPNSQ_ISL_E10value_typeEPSM_NS1_7vsmem_tEENKUlT_SK_SL_SM_E_clISE_PsSF_SF_EESJ_SZ_SK_SL_SM_EUlSZ_E0_NS1_11comp_targetILNS1_3genE8ELNS1_11target_archE1030ELNS1_3gpuE2ELNS1_3repE0EEENS1_38merge_mergepath_config_static_selectorELNS0_4arch9wavefront6targetE1EEEvSL_
		.amdhsa_group_segment_fixed_size 0
		.amdhsa_private_segment_fixed_size 0
		.amdhsa_kernarg_size 64
		.amdhsa_user_sgpr_count 2
		.amdhsa_user_sgpr_dispatch_ptr 0
		.amdhsa_user_sgpr_queue_ptr 0
		.amdhsa_user_sgpr_kernarg_segment_ptr 1
		.amdhsa_user_sgpr_dispatch_id 0
		.amdhsa_user_sgpr_kernarg_preload_length 0
		.amdhsa_user_sgpr_kernarg_preload_offset 0
		.amdhsa_user_sgpr_private_segment_size 0
		.amdhsa_uses_dynamic_stack 0
		.amdhsa_enable_private_segment 0
		.amdhsa_system_sgpr_workgroup_id_x 1
		.amdhsa_system_sgpr_workgroup_id_y 0
		.amdhsa_system_sgpr_workgroup_id_z 0
		.amdhsa_system_sgpr_workgroup_info 0
		.amdhsa_system_vgpr_workitem_id 0
		.amdhsa_next_free_vgpr 1
		.amdhsa_next_free_sgpr 0
		.amdhsa_accum_offset 4
		.amdhsa_reserve_vcc 0
		.amdhsa_float_round_mode_32 0
		.amdhsa_float_round_mode_16_64 0
		.amdhsa_float_denorm_mode_32 3
		.amdhsa_float_denorm_mode_16_64 3
		.amdhsa_dx10_clamp 1
		.amdhsa_ieee_mode 1
		.amdhsa_fp16_overflow 0
		.amdhsa_tg_split 0
		.amdhsa_exception_fp_ieee_invalid_op 0
		.amdhsa_exception_fp_denorm_src 0
		.amdhsa_exception_fp_ieee_div_zero 0
		.amdhsa_exception_fp_ieee_overflow 0
		.amdhsa_exception_fp_ieee_underflow 0
		.amdhsa_exception_fp_ieee_inexact 0
		.amdhsa_exception_int_div_zero 0
	.end_amdhsa_kernel
	.section	.text._ZN7rocprim17ROCPRIM_400000_NS6detail17trampoline_kernelINS0_14default_configENS1_38merge_sort_block_merge_config_selectorIsNS0_10empty_typeEEEZZNS1_27merge_sort_block_merge_implIS3_N6thrust23THRUST_200600_302600_NS6detail15normal_iteratorINS9_10device_ptrIsEEEEPS5_jNS1_19radix_merge_compareILb0ELb1EsNS0_19identity_decomposerEEEEE10hipError_tT0_T1_T2_jT3_P12ihipStream_tbPNSt15iterator_traitsISK_E10value_typeEPNSQ_ISL_E10value_typeEPSM_NS1_7vsmem_tEENKUlT_SK_SL_SM_E_clISE_PsSF_SF_EESJ_SZ_SK_SL_SM_EUlSZ_E0_NS1_11comp_targetILNS1_3genE8ELNS1_11target_archE1030ELNS1_3gpuE2ELNS1_3repE0EEENS1_38merge_mergepath_config_static_selectorELNS0_4arch9wavefront6targetE1EEEvSL_,"axG",@progbits,_ZN7rocprim17ROCPRIM_400000_NS6detail17trampoline_kernelINS0_14default_configENS1_38merge_sort_block_merge_config_selectorIsNS0_10empty_typeEEEZZNS1_27merge_sort_block_merge_implIS3_N6thrust23THRUST_200600_302600_NS6detail15normal_iteratorINS9_10device_ptrIsEEEEPS5_jNS1_19radix_merge_compareILb0ELb1EsNS0_19identity_decomposerEEEEE10hipError_tT0_T1_T2_jT3_P12ihipStream_tbPNSt15iterator_traitsISK_E10value_typeEPNSQ_ISL_E10value_typeEPSM_NS1_7vsmem_tEENKUlT_SK_SL_SM_E_clISE_PsSF_SF_EESJ_SZ_SK_SL_SM_EUlSZ_E0_NS1_11comp_targetILNS1_3genE8ELNS1_11target_archE1030ELNS1_3gpuE2ELNS1_3repE0EEENS1_38merge_mergepath_config_static_selectorELNS0_4arch9wavefront6targetE1EEEvSL_,comdat
.Lfunc_end1914:
	.size	_ZN7rocprim17ROCPRIM_400000_NS6detail17trampoline_kernelINS0_14default_configENS1_38merge_sort_block_merge_config_selectorIsNS0_10empty_typeEEEZZNS1_27merge_sort_block_merge_implIS3_N6thrust23THRUST_200600_302600_NS6detail15normal_iteratorINS9_10device_ptrIsEEEEPS5_jNS1_19radix_merge_compareILb0ELb1EsNS0_19identity_decomposerEEEEE10hipError_tT0_T1_T2_jT3_P12ihipStream_tbPNSt15iterator_traitsISK_E10value_typeEPNSQ_ISL_E10value_typeEPSM_NS1_7vsmem_tEENKUlT_SK_SL_SM_E_clISE_PsSF_SF_EESJ_SZ_SK_SL_SM_EUlSZ_E0_NS1_11comp_targetILNS1_3genE8ELNS1_11target_archE1030ELNS1_3gpuE2ELNS1_3repE0EEENS1_38merge_mergepath_config_static_selectorELNS0_4arch9wavefront6targetE1EEEvSL_, .Lfunc_end1914-_ZN7rocprim17ROCPRIM_400000_NS6detail17trampoline_kernelINS0_14default_configENS1_38merge_sort_block_merge_config_selectorIsNS0_10empty_typeEEEZZNS1_27merge_sort_block_merge_implIS3_N6thrust23THRUST_200600_302600_NS6detail15normal_iteratorINS9_10device_ptrIsEEEEPS5_jNS1_19radix_merge_compareILb0ELb1EsNS0_19identity_decomposerEEEEE10hipError_tT0_T1_T2_jT3_P12ihipStream_tbPNSt15iterator_traitsISK_E10value_typeEPNSQ_ISL_E10value_typeEPSM_NS1_7vsmem_tEENKUlT_SK_SL_SM_E_clISE_PsSF_SF_EESJ_SZ_SK_SL_SM_EUlSZ_E0_NS1_11comp_targetILNS1_3genE8ELNS1_11target_archE1030ELNS1_3gpuE2ELNS1_3repE0EEENS1_38merge_mergepath_config_static_selectorELNS0_4arch9wavefront6targetE1EEEvSL_
                                        ; -- End function
	.section	.AMDGPU.csdata,"",@progbits
; Kernel info:
; codeLenInByte = 0
; NumSgprs: 6
; NumVgprs: 0
; NumAgprs: 0
; TotalNumVgprs: 0
; ScratchSize: 0
; MemoryBound: 0
; FloatMode: 240
; IeeeMode: 1
; LDSByteSize: 0 bytes/workgroup (compile time only)
; SGPRBlocks: 0
; VGPRBlocks: 0
; NumSGPRsForWavesPerEU: 6
; NumVGPRsForWavesPerEU: 1
; AccumOffset: 4
; Occupancy: 8
; WaveLimiterHint : 0
; COMPUTE_PGM_RSRC2:SCRATCH_EN: 0
; COMPUTE_PGM_RSRC2:USER_SGPR: 2
; COMPUTE_PGM_RSRC2:TRAP_HANDLER: 0
; COMPUTE_PGM_RSRC2:TGID_X_EN: 1
; COMPUTE_PGM_RSRC2:TGID_Y_EN: 0
; COMPUTE_PGM_RSRC2:TGID_Z_EN: 0
; COMPUTE_PGM_RSRC2:TIDIG_COMP_CNT: 0
; COMPUTE_PGM_RSRC3_GFX90A:ACCUM_OFFSET: 0
; COMPUTE_PGM_RSRC3_GFX90A:TG_SPLIT: 0
	.section	.text._ZN7rocprim17ROCPRIM_400000_NS6detail17trampoline_kernelINS0_14default_configENS1_38merge_sort_block_merge_config_selectorIsNS0_10empty_typeEEEZZNS1_27merge_sort_block_merge_implIS3_N6thrust23THRUST_200600_302600_NS6detail15normal_iteratorINS9_10device_ptrIsEEEEPS5_jNS1_19radix_merge_compareILb0ELb1EsNS0_19identity_decomposerEEEEE10hipError_tT0_T1_T2_jT3_P12ihipStream_tbPNSt15iterator_traitsISK_E10value_typeEPNSQ_ISL_E10value_typeEPSM_NS1_7vsmem_tEENKUlT_SK_SL_SM_E_clISE_PsSF_SF_EESJ_SZ_SK_SL_SM_EUlSZ_E1_NS1_11comp_targetILNS1_3genE0ELNS1_11target_archE4294967295ELNS1_3gpuE0ELNS1_3repE0EEENS1_36merge_oddeven_config_static_selectorELNS0_4arch9wavefront6targetE1EEEvSL_,"axG",@progbits,_ZN7rocprim17ROCPRIM_400000_NS6detail17trampoline_kernelINS0_14default_configENS1_38merge_sort_block_merge_config_selectorIsNS0_10empty_typeEEEZZNS1_27merge_sort_block_merge_implIS3_N6thrust23THRUST_200600_302600_NS6detail15normal_iteratorINS9_10device_ptrIsEEEEPS5_jNS1_19radix_merge_compareILb0ELb1EsNS0_19identity_decomposerEEEEE10hipError_tT0_T1_T2_jT3_P12ihipStream_tbPNSt15iterator_traitsISK_E10value_typeEPNSQ_ISL_E10value_typeEPSM_NS1_7vsmem_tEENKUlT_SK_SL_SM_E_clISE_PsSF_SF_EESJ_SZ_SK_SL_SM_EUlSZ_E1_NS1_11comp_targetILNS1_3genE0ELNS1_11target_archE4294967295ELNS1_3gpuE0ELNS1_3repE0EEENS1_36merge_oddeven_config_static_selectorELNS0_4arch9wavefront6targetE1EEEvSL_,comdat
	.protected	_ZN7rocprim17ROCPRIM_400000_NS6detail17trampoline_kernelINS0_14default_configENS1_38merge_sort_block_merge_config_selectorIsNS0_10empty_typeEEEZZNS1_27merge_sort_block_merge_implIS3_N6thrust23THRUST_200600_302600_NS6detail15normal_iteratorINS9_10device_ptrIsEEEEPS5_jNS1_19radix_merge_compareILb0ELb1EsNS0_19identity_decomposerEEEEE10hipError_tT0_T1_T2_jT3_P12ihipStream_tbPNSt15iterator_traitsISK_E10value_typeEPNSQ_ISL_E10value_typeEPSM_NS1_7vsmem_tEENKUlT_SK_SL_SM_E_clISE_PsSF_SF_EESJ_SZ_SK_SL_SM_EUlSZ_E1_NS1_11comp_targetILNS1_3genE0ELNS1_11target_archE4294967295ELNS1_3gpuE0ELNS1_3repE0EEENS1_36merge_oddeven_config_static_selectorELNS0_4arch9wavefront6targetE1EEEvSL_ ; -- Begin function _ZN7rocprim17ROCPRIM_400000_NS6detail17trampoline_kernelINS0_14default_configENS1_38merge_sort_block_merge_config_selectorIsNS0_10empty_typeEEEZZNS1_27merge_sort_block_merge_implIS3_N6thrust23THRUST_200600_302600_NS6detail15normal_iteratorINS9_10device_ptrIsEEEEPS5_jNS1_19radix_merge_compareILb0ELb1EsNS0_19identity_decomposerEEEEE10hipError_tT0_T1_T2_jT3_P12ihipStream_tbPNSt15iterator_traitsISK_E10value_typeEPNSQ_ISL_E10value_typeEPSM_NS1_7vsmem_tEENKUlT_SK_SL_SM_E_clISE_PsSF_SF_EESJ_SZ_SK_SL_SM_EUlSZ_E1_NS1_11comp_targetILNS1_3genE0ELNS1_11target_archE4294967295ELNS1_3gpuE0ELNS1_3repE0EEENS1_36merge_oddeven_config_static_selectorELNS0_4arch9wavefront6targetE1EEEvSL_
	.globl	_ZN7rocprim17ROCPRIM_400000_NS6detail17trampoline_kernelINS0_14default_configENS1_38merge_sort_block_merge_config_selectorIsNS0_10empty_typeEEEZZNS1_27merge_sort_block_merge_implIS3_N6thrust23THRUST_200600_302600_NS6detail15normal_iteratorINS9_10device_ptrIsEEEEPS5_jNS1_19radix_merge_compareILb0ELb1EsNS0_19identity_decomposerEEEEE10hipError_tT0_T1_T2_jT3_P12ihipStream_tbPNSt15iterator_traitsISK_E10value_typeEPNSQ_ISL_E10value_typeEPSM_NS1_7vsmem_tEENKUlT_SK_SL_SM_E_clISE_PsSF_SF_EESJ_SZ_SK_SL_SM_EUlSZ_E1_NS1_11comp_targetILNS1_3genE0ELNS1_11target_archE4294967295ELNS1_3gpuE0ELNS1_3repE0EEENS1_36merge_oddeven_config_static_selectorELNS0_4arch9wavefront6targetE1EEEvSL_
	.p2align	8
	.type	_ZN7rocprim17ROCPRIM_400000_NS6detail17trampoline_kernelINS0_14default_configENS1_38merge_sort_block_merge_config_selectorIsNS0_10empty_typeEEEZZNS1_27merge_sort_block_merge_implIS3_N6thrust23THRUST_200600_302600_NS6detail15normal_iteratorINS9_10device_ptrIsEEEEPS5_jNS1_19radix_merge_compareILb0ELb1EsNS0_19identity_decomposerEEEEE10hipError_tT0_T1_T2_jT3_P12ihipStream_tbPNSt15iterator_traitsISK_E10value_typeEPNSQ_ISL_E10value_typeEPSM_NS1_7vsmem_tEENKUlT_SK_SL_SM_E_clISE_PsSF_SF_EESJ_SZ_SK_SL_SM_EUlSZ_E1_NS1_11comp_targetILNS1_3genE0ELNS1_11target_archE4294967295ELNS1_3gpuE0ELNS1_3repE0EEENS1_36merge_oddeven_config_static_selectorELNS0_4arch9wavefront6targetE1EEEvSL_,@function
_ZN7rocprim17ROCPRIM_400000_NS6detail17trampoline_kernelINS0_14default_configENS1_38merge_sort_block_merge_config_selectorIsNS0_10empty_typeEEEZZNS1_27merge_sort_block_merge_implIS3_N6thrust23THRUST_200600_302600_NS6detail15normal_iteratorINS9_10device_ptrIsEEEEPS5_jNS1_19radix_merge_compareILb0ELb1EsNS0_19identity_decomposerEEEEE10hipError_tT0_T1_T2_jT3_P12ihipStream_tbPNSt15iterator_traitsISK_E10value_typeEPNSQ_ISL_E10value_typeEPSM_NS1_7vsmem_tEENKUlT_SK_SL_SM_E_clISE_PsSF_SF_EESJ_SZ_SK_SL_SM_EUlSZ_E1_NS1_11comp_targetILNS1_3genE0ELNS1_11target_archE4294967295ELNS1_3gpuE0ELNS1_3repE0EEENS1_36merge_oddeven_config_static_selectorELNS0_4arch9wavefront6targetE1EEEvSL_: ; @_ZN7rocprim17ROCPRIM_400000_NS6detail17trampoline_kernelINS0_14default_configENS1_38merge_sort_block_merge_config_selectorIsNS0_10empty_typeEEEZZNS1_27merge_sort_block_merge_implIS3_N6thrust23THRUST_200600_302600_NS6detail15normal_iteratorINS9_10device_ptrIsEEEEPS5_jNS1_19radix_merge_compareILb0ELb1EsNS0_19identity_decomposerEEEEE10hipError_tT0_T1_T2_jT3_P12ihipStream_tbPNSt15iterator_traitsISK_E10value_typeEPNSQ_ISL_E10value_typeEPSM_NS1_7vsmem_tEENKUlT_SK_SL_SM_E_clISE_PsSF_SF_EESJ_SZ_SK_SL_SM_EUlSZ_E1_NS1_11comp_targetILNS1_3genE0ELNS1_11target_archE4294967295ELNS1_3gpuE0ELNS1_3repE0EEENS1_36merge_oddeven_config_static_selectorELNS0_4arch9wavefront6targetE1EEEvSL_
; %bb.0:
	.section	.rodata,"a",@progbits
	.p2align	6, 0x0
	.amdhsa_kernel _ZN7rocprim17ROCPRIM_400000_NS6detail17trampoline_kernelINS0_14default_configENS1_38merge_sort_block_merge_config_selectorIsNS0_10empty_typeEEEZZNS1_27merge_sort_block_merge_implIS3_N6thrust23THRUST_200600_302600_NS6detail15normal_iteratorINS9_10device_ptrIsEEEEPS5_jNS1_19radix_merge_compareILb0ELb1EsNS0_19identity_decomposerEEEEE10hipError_tT0_T1_T2_jT3_P12ihipStream_tbPNSt15iterator_traitsISK_E10value_typeEPNSQ_ISL_E10value_typeEPSM_NS1_7vsmem_tEENKUlT_SK_SL_SM_E_clISE_PsSF_SF_EESJ_SZ_SK_SL_SM_EUlSZ_E1_NS1_11comp_targetILNS1_3genE0ELNS1_11target_archE4294967295ELNS1_3gpuE0ELNS1_3repE0EEENS1_36merge_oddeven_config_static_selectorELNS0_4arch9wavefront6targetE1EEEvSL_
		.amdhsa_group_segment_fixed_size 0
		.amdhsa_private_segment_fixed_size 0
		.amdhsa_kernarg_size 48
		.amdhsa_user_sgpr_count 2
		.amdhsa_user_sgpr_dispatch_ptr 0
		.amdhsa_user_sgpr_queue_ptr 0
		.amdhsa_user_sgpr_kernarg_segment_ptr 1
		.amdhsa_user_sgpr_dispatch_id 0
		.amdhsa_user_sgpr_kernarg_preload_length 0
		.amdhsa_user_sgpr_kernarg_preload_offset 0
		.amdhsa_user_sgpr_private_segment_size 0
		.amdhsa_uses_dynamic_stack 0
		.amdhsa_enable_private_segment 0
		.amdhsa_system_sgpr_workgroup_id_x 1
		.amdhsa_system_sgpr_workgroup_id_y 0
		.amdhsa_system_sgpr_workgroup_id_z 0
		.amdhsa_system_sgpr_workgroup_info 0
		.amdhsa_system_vgpr_workitem_id 0
		.amdhsa_next_free_vgpr 1
		.amdhsa_next_free_sgpr 0
		.amdhsa_accum_offset 4
		.amdhsa_reserve_vcc 0
		.amdhsa_float_round_mode_32 0
		.amdhsa_float_round_mode_16_64 0
		.amdhsa_float_denorm_mode_32 3
		.amdhsa_float_denorm_mode_16_64 3
		.amdhsa_dx10_clamp 1
		.amdhsa_ieee_mode 1
		.amdhsa_fp16_overflow 0
		.amdhsa_tg_split 0
		.amdhsa_exception_fp_ieee_invalid_op 0
		.amdhsa_exception_fp_denorm_src 0
		.amdhsa_exception_fp_ieee_div_zero 0
		.amdhsa_exception_fp_ieee_overflow 0
		.amdhsa_exception_fp_ieee_underflow 0
		.amdhsa_exception_fp_ieee_inexact 0
		.amdhsa_exception_int_div_zero 0
	.end_amdhsa_kernel
	.section	.text._ZN7rocprim17ROCPRIM_400000_NS6detail17trampoline_kernelINS0_14default_configENS1_38merge_sort_block_merge_config_selectorIsNS0_10empty_typeEEEZZNS1_27merge_sort_block_merge_implIS3_N6thrust23THRUST_200600_302600_NS6detail15normal_iteratorINS9_10device_ptrIsEEEEPS5_jNS1_19radix_merge_compareILb0ELb1EsNS0_19identity_decomposerEEEEE10hipError_tT0_T1_T2_jT3_P12ihipStream_tbPNSt15iterator_traitsISK_E10value_typeEPNSQ_ISL_E10value_typeEPSM_NS1_7vsmem_tEENKUlT_SK_SL_SM_E_clISE_PsSF_SF_EESJ_SZ_SK_SL_SM_EUlSZ_E1_NS1_11comp_targetILNS1_3genE0ELNS1_11target_archE4294967295ELNS1_3gpuE0ELNS1_3repE0EEENS1_36merge_oddeven_config_static_selectorELNS0_4arch9wavefront6targetE1EEEvSL_,"axG",@progbits,_ZN7rocprim17ROCPRIM_400000_NS6detail17trampoline_kernelINS0_14default_configENS1_38merge_sort_block_merge_config_selectorIsNS0_10empty_typeEEEZZNS1_27merge_sort_block_merge_implIS3_N6thrust23THRUST_200600_302600_NS6detail15normal_iteratorINS9_10device_ptrIsEEEEPS5_jNS1_19radix_merge_compareILb0ELb1EsNS0_19identity_decomposerEEEEE10hipError_tT0_T1_T2_jT3_P12ihipStream_tbPNSt15iterator_traitsISK_E10value_typeEPNSQ_ISL_E10value_typeEPSM_NS1_7vsmem_tEENKUlT_SK_SL_SM_E_clISE_PsSF_SF_EESJ_SZ_SK_SL_SM_EUlSZ_E1_NS1_11comp_targetILNS1_3genE0ELNS1_11target_archE4294967295ELNS1_3gpuE0ELNS1_3repE0EEENS1_36merge_oddeven_config_static_selectorELNS0_4arch9wavefront6targetE1EEEvSL_,comdat
.Lfunc_end1915:
	.size	_ZN7rocprim17ROCPRIM_400000_NS6detail17trampoline_kernelINS0_14default_configENS1_38merge_sort_block_merge_config_selectorIsNS0_10empty_typeEEEZZNS1_27merge_sort_block_merge_implIS3_N6thrust23THRUST_200600_302600_NS6detail15normal_iteratorINS9_10device_ptrIsEEEEPS5_jNS1_19radix_merge_compareILb0ELb1EsNS0_19identity_decomposerEEEEE10hipError_tT0_T1_T2_jT3_P12ihipStream_tbPNSt15iterator_traitsISK_E10value_typeEPNSQ_ISL_E10value_typeEPSM_NS1_7vsmem_tEENKUlT_SK_SL_SM_E_clISE_PsSF_SF_EESJ_SZ_SK_SL_SM_EUlSZ_E1_NS1_11comp_targetILNS1_3genE0ELNS1_11target_archE4294967295ELNS1_3gpuE0ELNS1_3repE0EEENS1_36merge_oddeven_config_static_selectorELNS0_4arch9wavefront6targetE1EEEvSL_, .Lfunc_end1915-_ZN7rocprim17ROCPRIM_400000_NS6detail17trampoline_kernelINS0_14default_configENS1_38merge_sort_block_merge_config_selectorIsNS0_10empty_typeEEEZZNS1_27merge_sort_block_merge_implIS3_N6thrust23THRUST_200600_302600_NS6detail15normal_iteratorINS9_10device_ptrIsEEEEPS5_jNS1_19radix_merge_compareILb0ELb1EsNS0_19identity_decomposerEEEEE10hipError_tT0_T1_T2_jT3_P12ihipStream_tbPNSt15iterator_traitsISK_E10value_typeEPNSQ_ISL_E10value_typeEPSM_NS1_7vsmem_tEENKUlT_SK_SL_SM_E_clISE_PsSF_SF_EESJ_SZ_SK_SL_SM_EUlSZ_E1_NS1_11comp_targetILNS1_3genE0ELNS1_11target_archE4294967295ELNS1_3gpuE0ELNS1_3repE0EEENS1_36merge_oddeven_config_static_selectorELNS0_4arch9wavefront6targetE1EEEvSL_
                                        ; -- End function
	.section	.AMDGPU.csdata,"",@progbits
; Kernel info:
; codeLenInByte = 0
; NumSgprs: 6
; NumVgprs: 0
; NumAgprs: 0
; TotalNumVgprs: 0
; ScratchSize: 0
; MemoryBound: 0
; FloatMode: 240
; IeeeMode: 1
; LDSByteSize: 0 bytes/workgroup (compile time only)
; SGPRBlocks: 0
; VGPRBlocks: 0
; NumSGPRsForWavesPerEU: 6
; NumVGPRsForWavesPerEU: 1
; AccumOffset: 4
; Occupancy: 8
; WaveLimiterHint : 0
; COMPUTE_PGM_RSRC2:SCRATCH_EN: 0
; COMPUTE_PGM_RSRC2:USER_SGPR: 2
; COMPUTE_PGM_RSRC2:TRAP_HANDLER: 0
; COMPUTE_PGM_RSRC2:TGID_X_EN: 1
; COMPUTE_PGM_RSRC2:TGID_Y_EN: 0
; COMPUTE_PGM_RSRC2:TGID_Z_EN: 0
; COMPUTE_PGM_RSRC2:TIDIG_COMP_CNT: 0
; COMPUTE_PGM_RSRC3_GFX90A:ACCUM_OFFSET: 0
; COMPUTE_PGM_RSRC3_GFX90A:TG_SPLIT: 0
	.section	.text._ZN7rocprim17ROCPRIM_400000_NS6detail17trampoline_kernelINS0_14default_configENS1_38merge_sort_block_merge_config_selectorIsNS0_10empty_typeEEEZZNS1_27merge_sort_block_merge_implIS3_N6thrust23THRUST_200600_302600_NS6detail15normal_iteratorINS9_10device_ptrIsEEEEPS5_jNS1_19radix_merge_compareILb0ELb1EsNS0_19identity_decomposerEEEEE10hipError_tT0_T1_T2_jT3_P12ihipStream_tbPNSt15iterator_traitsISK_E10value_typeEPNSQ_ISL_E10value_typeEPSM_NS1_7vsmem_tEENKUlT_SK_SL_SM_E_clISE_PsSF_SF_EESJ_SZ_SK_SL_SM_EUlSZ_E1_NS1_11comp_targetILNS1_3genE10ELNS1_11target_archE1201ELNS1_3gpuE5ELNS1_3repE0EEENS1_36merge_oddeven_config_static_selectorELNS0_4arch9wavefront6targetE1EEEvSL_,"axG",@progbits,_ZN7rocprim17ROCPRIM_400000_NS6detail17trampoline_kernelINS0_14default_configENS1_38merge_sort_block_merge_config_selectorIsNS0_10empty_typeEEEZZNS1_27merge_sort_block_merge_implIS3_N6thrust23THRUST_200600_302600_NS6detail15normal_iteratorINS9_10device_ptrIsEEEEPS5_jNS1_19radix_merge_compareILb0ELb1EsNS0_19identity_decomposerEEEEE10hipError_tT0_T1_T2_jT3_P12ihipStream_tbPNSt15iterator_traitsISK_E10value_typeEPNSQ_ISL_E10value_typeEPSM_NS1_7vsmem_tEENKUlT_SK_SL_SM_E_clISE_PsSF_SF_EESJ_SZ_SK_SL_SM_EUlSZ_E1_NS1_11comp_targetILNS1_3genE10ELNS1_11target_archE1201ELNS1_3gpuE5ELNS1_3repE0EEENS1_36merge_oddeven_config_static_selectorELNS0_4arch9wavefront6targetE1EEEvSL_,comdat
	.protected	_ZN7rocprim17ROCPRIM_400000_NS6detail17trampoline_kernelINS0_14default_configENS1_38merge_sort_block_merge_config_selectorIsNS0_10empty_typeEEEZZNS1_27merge_sort_block_merge_implIS3_N6thrust23THRUST_200600_302600_NS6detail15normal_iteratorINS9_10device_ptrIsEEEEPS5_jNS1_19radix_merge_compareILb0ELb1EsNS0_19identity_decomposerEEEEE10hipError_tT0_T1_T2_jT3_P12ihipStream_tbPNSt15iterator_traitsISK_E10value_typeEPNSQ_ISL_E10value_typeEPSM_NS1_7vsmem_tEENKUlT_SK_SL_SM_E_clISE_PsSF_SF_EESJ_SZ_SK_SL_SM_EUlSZ_E1_NS1_11comp_targetILNS1_3genE10ELNS1_11target_archE1201ELNS1_3gpuE5ELNS1_3repE0EEENS1_36merge_oddeven_config_static_selectorELNS0_4arch9wavefront6targetE1EEEvSL_ ; -- Begin function _ZN7rocprim17ROCPRIM_400000_NS6detail17trampoline_kernelINS0_14default_configENS1_38merge_sort_block_merge_config_selectorIsNS0_10empty_typeEEEZZNS1_27merge_sort_block_merge_implIS3_N6thrust23THRUST_200600_302600_NS6detail15normal_iteratorINS9_10device_ptrIsEEEEPS5_jNS1_19radix_merge_compareILb0ELb1EsNS0_19identity_decomposerEEEEE10hipError_tT0_T1_T2_jT3_P12ihipStream_tbPNSt15iterator_traitsISK_E10value_typeEPNSQ_ISL_E10value_typeEPSM_NS1_7vsmem_tEENKUlT_SK_SL_SM_E_clISE_PsSF_SF_EESJ_SZ_SK_SL_SM_EUlSZ_E1_NS1_11comp_targetILNS1_3genE10ELNS1_11target_archE1201ELNS1_3gpuE5ELNS1_3repE0EEENS1_36merge_oddeven_config_static_selectorELNS0_4arch9wavefront6targetE1EEEvSL_
	.globl	_ZN7rocprim17ROCPRIM_400000_NS6detail17trampoline_kernelINS0_14default_configENS1_38merge_sort_block_merge_config_selectorIsNS0_10empty_typeEEEZZNS1_27merge_sort_block_merge_implIS3_N6thrust23THRUST_200600_302600_NS6detail15normal_iteratorINS9_10device_ptrIsEEEEPS5_jNS1_19radix_merge_compareILb0ELb1EsNS0_19identity_decomposerEEEEE10hipError_tT0_T1_T2_jT3_P12ihipStream_tbPNSt15iterator_traitsISK_E10value_typeEPNSQ_ISL_E10value_typeEPSM_NS1_7vsmem_tEENKUlT_SK_SL_SM_E_clISE_PsSF_SF_EESJ_SZ_SK_SL_SM_EUlSZ_E1_NS1_11comp_targetILNS1_3genE10ELNS1_11target_archE1201ELNS1_3gpuE5ELNS1_3repE0EEENS1_36merge_oddeven_config_static_selectorELNS0_4arch9wavefront6targetE1EEEvSL_
	.p2align	8
	.type	_ZN7rocprim17ROCPRIM_400000_NS6detail17trampoline_kernelINS0_14default_configENS1_38merge_sort_block_merge_config_selectorIsNS0_10empty_typeEEEZZNS1_27merge_sort_block_merge_implIS3_N6thrust23THRUST_200600_302600_NS6detail15normal_iteratorINS9_10device_ptrIsEEEEPS5_jNS1_19radix_merge_compareILb0ELb1EsNS0_19identity_decomposerEEEEE10hipError_tT0_T1_T2_jT3_P12ihipStream_tbPNSt15iterator_traitsISK_E10value_typeEPNSQ_ISL_E10value_typeEPSM_NS1_7vsmem_tEENKUlT_SK_SL_SM_E_clISE_PsSF_SF_EESJ_SZ_SK_SL_SM_EUlSZ_E1_NS1_11comp_targetILNS1_3genE10ELNS1_11target_archE1201ELNS1_3gpuE5ELNS1_3repE0EEENS1_36merge_oddeven_config_static_selectorELNS0_4arch9wavefront6targetE1EEEvSL_,@function
_ZN7rocprim17ROCPRIM_400000_NS6detail17trampoline_kernelINS0_14default_configENS1_38merge_sort_block_merge_config_selectorIsNS0_10empty_typeEEEZZNS1_27merge_sort_block_merge_implIS3_N6thrust23THRUST_200600_302600_NS6detail15normal_iteratorINS9_10device_ptrIsEEEEPS5_jNS1_19radix_merge_compareILb0ELb1EsNS0_19identity_decomposerEEEEE10hipError_tT0_T1_T2_jT3_P12ihipStream_tbPNSt15iterator_traitsISK_E10value_typeEPNSQ_ISL_E10value_typeEPSM_NS1_7vsmem_tEENKUlT_SK_SL_SM_E_clISE_PsSF_SF_EESJ_SZ_SK_SL_SM_EUlSZ_E1_NS1_11comp_targetILNS1_3genE10ELNS1_11target_archE1201ELNS1_3gpuE5ELNS1_3repE0EEENS1_36merge_oddeven_config_static_selectorELNS0_4arch9wavefront6targetE1EEEvSL_: ; @_ZN7rocprim17ROCPRIM_400000_NS6detail17trampoline_kernelINS0_14default_configENS1_38merge_sort_block_merge_config_selectorIsNS0_10empty_typeEEEZZNS1_27merge_sort_block_merge_implIS3_N6thrust23THRUST_200600_302600_NS6detail15normal_iteratorINS9_10device_ptrIsEEEEPS5_jNS1_19radix_merge_compareILb0ELb1EsNS0_19identity_decomposerEEEEE10hipError_tT0_T1_T2_jT3_P12ihipStream_tbPNSt15iterator_traitsISK_E10value_typeEPNSQ_ISL_E10value_typeEPSM_NS1_7vsmem_tEENKUlT_SK_SL_SM_E_clISE_PsSF_SF_EESJ_SZ_SK_SL_SM_EUlSZ_E1_NS1_11comp_targetILNS1_3genE10ELNS1_11target_archE1201ELNS1_3gpuE5ELNS1_3repE0EEENS1_36merge_oddeven_config_static_selectorELNS0_4arch9wavefront6targetE1EEEvSL_
; %bb.0:
	.section	.rodata,"a",@progbits
	.p2align	6, 0x0
	.amdhsa_kernel _ZN7rocprim17ROCPRIM_400000_NS6detail17trampoline_kernelINS0_14default_configENS1_38merge_sort_block_merge_config_selectorIsNS0_10empty_typeEEEZZNS1_27merge_sort_block_merge_implIS3_N6thrust23THRUST_200600_302600_NS6detail15normal_iteratorINS9_10device_ptrIsEEEEPS5_jNS1_19radix_merge_compareILb0ELb1EsNS0_19identity_decomposerEEEEE10hipError_tT0_T1_T2_jT3_P12ihipStream_tbPNSt15iterator_traitsISK_E10value_typeEPNSQ_ISL_E10value_typeEPSM_NS1_7vsmem_tEENKUlT_SK_SL_SM_E_clISE_PsSF_SF_EESJ_SZ_SK_SL_SM_EUlSZ_E1_NS1_11comp_targetILNS1_3genE10ELNS1_11target_archE1201ELNS1_3gpuE5ELNS1_3repE0EEENS1_36merge_oddeven_config_static_selectorELNS0_4arch9wavefront6targetE1EEEvSL_
		.amdhsa_group_segment_fixed_size 0
		.amdhsa_private_segment_fixed_size 0
		.amdhsa_kernarg_size 48
		.amdhsa_user_sgpr_count 2
		.amdhsa_user_sgpr_dispatch_ptr 0
		.amdhsa_user_sgpr_queue_ptr 0
		.amdhsa_user_sgpr_kernarg_segment_ptr 1
		.amdhsa_user_sgpr_dispatch_id 0
		.amdhsa_user_sgpr_kernarg_preload_length 0
		.amdhsa_user_sgpr_kernarg_preload_offset 0
		.amdhsa_user_sgpr_private_segment_size 0
		.amdhsa_uses_dynamic_stack 0
		.amdhsa_enable_private_segment 0
		.amdhsa_system_sgpr_workgroup_id_x 1
		.amdhsa_system_sgpr_workgroup_id_y 0
		.amdhsa_system_sgpr_workgroup_id_z 0
		.amdhsa_system_sgpr_workgroup_info 0
		.amdhsa_system_vgpr_workitem_id 0
		.amdhsa_next_free_vgpr 1
		.amdhsa_next_free_sgpr 0
		.amdhsa_accum_offset 4
		.amdhsa_reserve_vcc 0
		.amdhsa_float_round_mode_32 0
		.amdhsa_float_round_mode_16_64 0
		.amdhsa_float_denorm_mode_32 3
		.amdhsa_float_denorm_mode_16_64 3
		.amdhsa_dx10_clamp 1
		.amdhsa_ieee_mode 1
		.amdhsa_fp16_overflow 0
		.amdhsa_tg_split 0
		.amdhsa_exception_fp_ieee_invalid_op 0
		.amdhsa_exception_fp_denorm_src 0
		.amdhsa_exception_fp_ieee_div_zero 0
		.amdhsa_exception_fp_ieee_overflow 0
		.amdhsa_exception_fp_ieee_underflow 0
		.amdhsa_exception_fp_ieee_inexact 0
		.amdhsa_exception_int_div_zero 0
	.end_amdhsa_kernel
	.section	.text._ZN7rocprim17ROCPRIM_400000_NS6detail17trampoline_kernelINS0_14default_configENS1_38merge_sort_block_merge_config_selectorIsNS0_10empty_typeEEEZZNS1_27merge_sort_block_merge_implIS3_N6thrust23THRUST_200600_302600_NS6detail15normal_iteratorINS9_10device_ptrIsEEEEPS5_jNS1_19radix_merge_compareILb0ELb1EsNS0_19identity_decomposerEEEEE10hipError_tT0_T1_T2_jT3_P12ihipStream_tbPNSt15iterator_traitsISK_E10value_typeEPNSQ_ISL_E10value_typeEPSM_NS1_7vsmem_tEENKUlT_SK_SL_SM_E_clISE_PsSF_SF_EESJ_SZ_SK_SL_SM_EUlSZ_E1_NS1_11comp_targetILNS1_3genE10ELNS1_11target_archE1201ELNS1_3gpuE5ELNS1_3repE0EEENS1_36merge_oddeven_config_static_selectorELNS0_4arch9wavefront6targetE1EEEvSL_,"axG",@progbits,_ZN7rocprim17ROCPRIM_400000_NS6detail17trampoline_kernelINS0_14default_configENS1_38merge_sort_block_merge_config_selectorIsNS0_10empty_typeEEEZZNS1_27merge_sort_block_merge_implIS3_N6thrust23THRUST_200600_302600_NS6detail15normal_iteratorINS9_10device_ptrIsEEEEPS5_jNS1_19radix_merge_compareILb0ELb1EsNS0_19identity_decomposerEEEEE10hipError_tT0_T1_T2_jT3_P12ihipStream_tbPNSt15iterator_traitsISK_E10value_typeEPNSQ_ISL_E10value_typeEPSM_NS1_7vsmem_tEENKUlT_SK_SL_SM_E_clISE_PsSF_SF_EESJ_SZ_SK_SL_SM_EUlSZ_E1_NS1_11comp_targetILNS1_3genE10ELNS1_11target_archE1201ELNS1_3gpuE5ELNS1_3repE0EEENS1_36merge_oddeven_config_static_selectorELNS0_4arch9wavefront6targetE1EEEvSL_,comdat
.Lfunc_end1916:
	.size	_ZN7rocprim17ROCPRIM_400000_NS6detail17trampoline_kernelINS0_14default_configENS1_38merge_sort_block_merge_config_selectorIsNS0_10empty_typeEEEZZNS1_27merge_sort_block_merge_implIS3_N6thrust23THRUST_200600_302600_NS6detail15normal_iteratorINS9_10device_ptrIsEEEEPS5_jNS1_19radix_merge_compareILb0ELb1EsNS0_19identity_decomposerEEEEE10hipError_tT0_T1_T2_jT3_P12ihipStream_tbPNSt15iterator_traitsISK_E10value_typeEPNSQ_ISL_E10value_typeEPSM_NS1_7vsmem_tEENKUlT_SK_SL_SM_E_clISE_PsSF_SF_EESJ_SZ_SK_SL_SM_EUlSZ_E1_NS1_11comp_targetILNS1_3genE10ELNS1_11target_archE1201ELNS1_3gpuE5ELNS1_3repE0EEENS1_36merge_oddeven_config_static_selectorELNS0_4arch9wavefront6targetE1EEEvSL_, .Lfunc_end1916-_ZN7rocprim17ROCPRIM_400000_NS6detail17trampoline_kernelINS0_14default_configENS1_38merge_sort_block_merge_config_selectorIsNS0_10empty_typeEEEZZNS1_27merge_sort_block_merge_implIS3_N6thrust23THRUST_200600_302600_NS6detail15normal_iteratorINS9_10device_ptrIsEEEEPS5_jNS1_19radix_merge_compareILb0ELb1EsNS0_19identity_decomposerEEEEE10hipError_tT0_T1_T2_jT3_P12ihipStream_tbPNSt15iterator_traitsISK_E10value_typeEPNSQ_ISL_E10value_typeEPSM_NS1_7vsmem_tEENKUlT_SK_SL_SM_E_clISE_PsSF_SF_EESJ_SZ_SK_SL_SM_EUlSZ_E1_NS1_11comp_targetILNS1_3genE10ELNS1_11target_archE1201ELNS1_3gpuE5ELNS1_3repE0EEENS1_36merge_oddeven_config_static_selectorELNS0_4arch9wavefront6targetE1EEEvSL_
                                        ; -- End function
	.section	.AMDGPU.csdata,"",@progbits
; Kernel info:
; codeLenInByte = 0
; NumSgprs: 6
; NumVgprs: 0
; NumAgprs: 0
; TotalNumVgprs: 0
; ScratchSize: 0
; MemoryBound: 0
; FloatMode: 240
; IeeeMode: 1
; LDSByteSize: 0 bytes/workgroup (compile time only)
; SGPRBlocks: 0
; VGPRBlocks: 0
; NumSGPRsForWavesPerEU: 6
; NumVGPRsForWavesPerEU: 1
; AccumOffset: 4
; Occupancy: 8
; WaveLimiterHint : 0
; COMPUTE_PGM_RSRC2:SCRATCH_EN: 0
; COMPUTE_PGM_RSRC2:USER_SGPR: 2
; COMPUTE_PGM_RSRC2:TRAP_HANDLER: 0
; COMPUTE_PGM_RSRC2:TGID_X_EN: 1
; COMPUTE_PGM_RSRC2:TGID_Y_EN: 0
; COMPUTE_PGM_RSRC2:TGID_Z_EN: 0
; COMPUTE_PGM_RSRC2:TIDIG_COMP_CNT: 0
; COMPUTE_PGM_RSRC3_GFX90A:ACCUM_OFFSET: 0
; COMPUTE_PGM_RSRC3_GFX90A:TG_SPLIT: 0
	.section	.text._ZN7rocprim17ROCPRIM_400000_NS6detail17trampoline_kernelINS0_14default_configENS1_38merge_sort_block_merge_config_selectorIsNS0_10empty_typeEEEZZNS1_27merge_sort_block_merge_implIS3_N6thrust23THRUST_200600_302600_NS6detail15normal_iteratorINS9_10device_ptrIsEEEEPS5_jNS1_19radix_merge_compareILb0ELb1EsNS0_19identity_decomposerEEEEE10hipError_tT0_T1_T2_jT3_P12ihipStream_tbPNSt15iterator_traitsISK_E10value_typeEPNSQ_ISL_E10value_typeEPSM_NS1_7vsmem_tEENKUlT_SK_SL_SM_E_clISE_PsSF_SF_EESJ_SZ_SK_SL_SM_EUlSZ_E1_NS1_11comp_targetILNS1_3genE5ELNS1_11target_archE942ELNS1_3gpuE9ELNS1_3repE0EEENS1_36merge_oddeven_config_static_selectorELNS0_4arch9wavefront6targetE1EEEvSL_,"axG",@progbits,_ZN7rocprim17ROCPRIM_400000_NS6detail17trampoline_kernelINS0_14default_configENS1_38merge_sort_block_merge_config_selectorIsNS0_10empty_typeEEEZZNS1_27merge_sort_block_merge_implIS3_N6thrust23THRUST_200600_302600_NS6detail15normal_iteratorINS9_10device_ptrIsEEEEPS5_jNS1_19radix_merge_compareILb0ELb1EsNS0_19identity_decomposerEEEEE10hipError_tT0_T1_T2_jT3_P12ihipStream_tbPNSt15iterator_traitsISK_E10value_typeEPNSQ_ISL_E10value_typeEPSM_NS1_7vsmem_tEENKUlT_SK_SL_SM_E_clISE_PsSF_SF_EESJ_SZ_SK_SL_SM_EUlSZ_E1_NS1_11comp_targetILNS1_3genE5ELNS1_11target_archE942ELNS1_3gpuE9ELNS1_3repE0EEENS1_36merge_oddeven_config_static_selectorELNS0_4arch9wavefront6targetE1EEEvSL_,comdat
	.protected	_ZN7rocprim17ROCPRIM_400000_NS6detail17trampoline_kernelINS0_14default_configENS1_38merge_sort_block_merge_config_selectorIsNS0_10empty_typeEEEZZNS1_27merge_sort_block_merge_implIS3_N6thrust23THRUST_200600_302600_NS6detail15normal_iteratorINS9_10device_ptrIsEEEEPS5_jNS1_19radix_merge_compareILb0ELb1EsNS0_19identity_decomposerEEEEE10hipError_tT0_T1_T2_jT3_P12ihipStream_tbPNSt15iterator_traitsISK_E10value_typeEPNSQ_ISL_E10value_typeEPSM_NS1_7vsmem_tEENKUlT_SK_SL_SM_E_clISE_PsSF_SF_EESJ_SZ_SK_SL_SM_EUlSZ_E1_NS1_11comp_targetILNS1_3genE5ELNS1_11target_archE942ELNS1_3gpuE9ELNS1_3repE0EEENS1_36merge_oddeven_config_static_selectorELNS0_4arch9wavefront6targetE1EEEvSL_ ; -- Begin function _ZN7rocprim17ROCPRIM_400000_NS6detail17trampoline_kernelINS0_14default_configENS1_38merge_sort_block_merge_config_selectorIsNS0_10empty_typeEEEZZNS1_27merge_sort_block_merge_implIS3_N6thrust23THRUST_200600_302600_NS6detail15normal_iteratorINS9_10device_ptrIsEEEEPS5_jNS1_19radix_merge_compareILb0ELb1EsNS0_19identity_decomposerEEEEE10hipError_tT0_T1_T2_jT3_P12ihipStream_tbPNSt15iterator_traitsISK_E10value_typeEPNSQ_ISL_E10value_typeEPSM_NS1_7vsmem_tEENKUlT_SK_SL_SM_E_clISE_PsSF_SF_EESJ_SZ_SK_SL_SM_EUlSZ_E1_NS1_11comp_targetILNS1_3genE5ELNS1_11target_archE942ELNS1_3gpuE9ELNS1_3repE0EEENS1_36merge_oddeven_config_static_selectorELNS0_4arch9wavefront6targetE1EEEvSL_
	.globl	_ZN7rocprim17ROCPRIM_400000_NS6detail17trampoline_kernelINS0_14default_configENS1_38merge_sort_block_merge_config_selectorIsNS0_10empty_typeEEEZZNS1_27merge_sort_block_merge_implIS3_N6thrust23THRUST_200600_302600_NS6detail15normal_iteratorINS9_10device_ptrIsEEEEPS5_jNS1_19radix_merge_compareILb0ELb1EsNS0_19identity_decomposerEEEEE10hipError_tT0_T1_T2_jT3_P12ihipStream_tbPNSt15iterator_traitsISK_E10value_typeEPNSQ_ISL_E10value_typeEPSM_NS1_7vsmem_tEENKUlT_SK_SL_SM_E_clISE_PsSF_SF_EESJ_SZ_SK_SL_SM_EUlSZ_E1_NS1_11comp_targetILNS1_3genE5ELNS1_11target_archE942ELNS1_3gpuE9ELNS1_3repE0EEENS1_36merge_oddeven_config_static_selectorELNS0_4arch9wavefront6targetE1EEEvSL_
	.p2align	8
	.type	_ZN7rocprim17ROCPRIM_400000_NS6detail17trampoline_kernelINS0_14default_configENS1_38merge_sort_block_merge_config_selectorIsNS0_10empty_typeEEEZZNS1_27merge_sort_block_merge_implIS3_N6thrust23THRUST_200600_302600_NS6detail15normal_iteratorINS9_10device_ptrIsEEEEPS5_jNS1_19radix_merge_compareILb0ELb1EsNS0_19identity_decomposerEEEEE10hipError_tT0_T1_T2_jT3_P12ihipStream_tbPNSt15iterator_traitsISK_E10value_typeEPNSQ_ISL_E10value_typeEPSM_NS1_7vsmem_tEENKUlT_SK_SL_SM_E_clISE_PsSF_SF_EESJ_SZ_SK_SL_SM_EUlSZ_E1_NS1_11comp_targetILNS1_3genE5ELNS1_11target_archE942ELNS1_3gpuE9ELNS1_3repE0EEENS1_36merge_oddeven_config_static_selectorELNS0_4arch9wavefront6targetE1EEEvSL_,@function
_ZN7rocprim17ROCPRIM_400000_NS6detail17trampoline_kernelINS0_14default_configENS1_38merge_sort_block_merge_config_selectorIsNS0_10empty_typeEEEZZNS1_27merge_sort_block_merge_implIS3_N6thrust23THRUST_200600_302600_NS6detail15normal_iteratorINS9_10device_ptrIsEEEEPS5_jNS1_19radix_merge_compareILb0ELb1EsNS0_19identity_decomposerEEEEE10hipError_tT0_T1_T2_jT3_P12ihipStream_tbPNSt15iterator_traitsISK_E10value_typeEPNSQ_ISL_E10value_typeEPSM_NS1_7vsmem_tEENKUlT_SK_SL_SM_E_clISE_PsSF_SF_EESJ_SZ_SK_SL_SM_EUlSZ_E1_NS1_11comp_targetILNS1_3genE5ELNS1_11target_archE942ELNS1_3gpuE9ELNS1_3repE0EEENS1_36merge_oddeven_config_static_selectorELNS0_4arch9wavefront6targetE1EEEvSL_: ; @_ZN7rocprim17ROCPRIM_400000_NS6detail17trampoline_kernelINS0_14default_configENS1_38merge_sort_block_merge_config_selectorIsNS0_10empty_typeEEEZZNS1_27merge_sort_block_merge_implIS3_N6thrust23THRUST_200600_302600_NS6detail15normal_iteratorINS9_10device_ptrIsEEEEPS5_jNS1_19radix_merge_compareILb0ELb1EsNS0_19identity_decomposerEEEEE10hipError_tT0_T1_T2_jT3_P12ihipStream_tbPNSt15iterator_traitsISK_E10value_typeEPNSQ_ISL_E10value_typeEPSM_NS1_7vsmem_tEENKUlT_SK_SL_SM_E_clISE_PsSF_SF_EESJ_SZ_SK_SL_SM_EUlSZ_E1_NS1_11comp_targetILNS1_3genE5ELNS1_11target_archE942ELNS1_3gpuE9ELNS1_3repE0EEENS1_36merge_oddeven_config_static_selectorELNS0_4arch9wavefront6targetE1EEEvSL_
; %bb.0:
	s_load_dword s18, s[0:1], 0x20
	s_waitcnt lgkmcnt(0)
	s_lshr_b32 s3, s18, 8
	s_cmp_lg_u32 s2, s3
	s_cselect_b64 s[14:15], -1, 0
	s_cmp_eq_u32 s2, s3
	s_cselect_b64 s[12:13], -1, 0
	s_lshl_b32 s16, s2, 8
	s_sub_i32 s3, s18, s16
	v_cmp_gt_u32_e64 s[6:7], s3, v0
	s_or_b64 s[4:5], s[14:15], s[6:7]
	s_and_saveexec_b64 s[8:9], s[4:5]
	s_cbranch_execz .LBB1917_20
; %bb.1:
	s_load_dwordx4 s[8:11], s[0:1], 0x0
	s_load_dword s19, s[0:1], 0x24
	s_mov_b32 s17, 0
	s_lshl_b64 s[4:5], s[16:17], 1
	v_lshlrev_b32_e32 v1, 1, v0
	s_waitcnt lgkmcnt(0)
	s_add_u32 s4, s8, s4
	s_addc_u32 s5, s9, s5
	global_load_ushort v2, v1, s[4:5]
	s_lshr_b32 s3, s19, 8
	s_sub_i32 s4, 0, s3
	s_and_b32 s2, s2, s4
	s_and_b32 s3, s2, s3
	s_lshl_b32 s20, s2, 8
	s_sub_i32 s17, 0, s19
	s_cmp_eq_u32 s3, 0
	s_cselect_b64 s[4:5], -1, 0
	s_and_b64 s[2:3], s[4:5], exec
	s_cselect_b32 s17, s19, s17
	s_add_i32 s17, s17, s20
	s_cmp_lt_u32 s17, s18
	v_add_u32_e32 v0, s16, v0
	s_cbranch_scc1 .LBB1917_3
; %bb.2:
	v_cmp_gt_u32_e32 vcc, s18, v0
	s_or_b64 s[2:3], vcc, s[14:15]
	s_and_b64 s[2:3], s[2:3], exec
	s_cbranch_execz .LBB1917_4
	s_branch .LBB1917_18
.LBB1917_3:
	s_mov_b64 s[2:3], 0
.LBB1917_4:
	s_load_dword s14, s[0:1], 0x28
	s_min_u32 s15, s17, s18
	s_add_i32 s0, s15, s19
	s_min_u32 s16, s0, s18
	s_min_u32 s0, s20, s15
	s_add_i32 s20, s20, s15
	v_subrev_u32_e32 v0, s20, v0
	v_add_u32_e32 v1, s0, v0
	s_and_b64 vcc, exec, s[12:13]
	s_cbranch_vccz .LBB1917_12
; %bb.5:
                                        ; implicit-def: $vgpr0
	s_and_saveexec_b64 s[0:1], s[6:7]
	s_cbranch_execz .LBB1917_11
; %bb.6:
	s_cmp_ge_u32 s17, s16
	v_mov_b32_e32 v0, s15
	s_cbranch_scc1 .LBB1917_10
; %bb.7:
	s_waitcnt vmcnt(0) lgkmcnt(0)
	v_and_b32_e32 v3, s14, v2
	s_mov_b64 s[6:7], 0
	v_mov_b32_e32 v4, s16
	v_mov_b32_e32 v0, s15
.LBB1917_8:                             ; =>This Inner Loop Header: Depth=1
	v_add_u32_e32 v5, v0, v4
	v_and_b32_e32 v6, -2, v5
	global_load_ushort v6, v6, s[8:9]
	v_lshrrev_b32_e32 v5, 1, v5
	v_add_u32_e32 v7, 1, v5
	s_waitcnt vmcnt(0)
	v_and_b32_e32 v6, s14, v6
	v_cmp_gt_i16_e32 vcc, v3, v6
	s_nop 1
	v_cndmask_b32_e64 v8, 0, 1, vcc
	v_cmp_le_i16_e32 vcc, v6, v3
	s_nop 1
	v_cndmask_b32_e64 v6, 0, 1, vcc
	v_cndmask_b32_e64 v6, v6, v8, s[4:5]
	v_and_b32_e32 v6, 1, v6
	v_cmp_eq_u32_e32 vcc, 1, v6
	s_nop 1
	v_cndmask_b32_e32 v4, v5, v4, vcc
	v_cndmask_b32_e32 v0, v0, v7, vcc
	v_cmp_ge_u32_e32 vcc, v0, v4
	s_or_b64 s[6:7], vcc, s[6:7]
	s_andn2_b64 exec, exec, s[6:7]
	s_cbranch_execnz .LBB1917_8
; %bb.9:
	s_or_b64 exec, exec, s[6:7]
.LBB1917_10:
	v_add_u32_e32 v0, v0, v1
	s_or_b64 s[2:3], s[2:3], exec
.LBB1917_11:
	s_or_b64 exec, exec, s[0:1]
	s_branch .LBB1917_18
.LBB1917_12:
                                        ; implicit-def: $vgpr0
	s_cbranch_execz .LBB1917_18
; %bb.13:
	s_cmp_ge_u32 s17, s16
	v_mov_b32_e32 v0, s15
	s_cbranch_scc1 .LBB1917_17
; %bb.14:
	s_waitcnt vmcnt(0) lgkmcnt(0)
	v_and_b32_e32 v3, s14, v2
	s_mov_b64 s[0:1], 0
	v_mov_b32_e32 v4, s16
	v_mov_b32_e32 v0, s15
.LBB1917_15:                            ; =>This Inner Loop Header: Depth=1
	v_add_u32_e32 v5, v0, v4
	v_and_b32_e32 v6, -2, v5
	global_load_ushort v6, v6, s[8:9]
	v_lshrrev_b32_e32 v5, 1, v5
	v_add_u32_e32 v7, 1, v5
	s_waitcnt vmcnt(0)
	v_and_b32_e32 v6, s14, v6
	v_cmp_gt_i16_e32 vcc, v3, v6
	s_nop 1
	v_cndmask_b32_e64 v8, 0, 1, vcc
	v_cmp_le_i16_e32 vcc, v6, v3
	s_nop 1
	v_cndmask_b32_e64 v6, 0, 1, vcc
	v_cndmask_b32_e64 v6, v6, v8, s[4:5]
	v_and_b32_e32 v6, 1, v6
	v_cmp_eq_u32_e32 vcc, 1, v6
	s_nop 1
	v_cndmask_b32_e32 v4, v5, v4, vcc
	v_cndmask_b32_e32 v0, v0, v7, vcc
	v_cmp_ge_u32_e32 vcc, v0, v4
	s_or_b64 s[0:1], vcc, s[0:1]
	s_andn2_b64 exec, exec, s[0:1]
	s_cbranch_execnz .LBB1917_15
; %bb.16:
	s_or_b64 exec, exec, s[0:1]
.LBB1917_17:
	v_add_u32_e32 v0, v0, v1
	s_mov_b64 s[2:3], -1
.LBB1917_18:
	s_and_b64 exec, exec, s[2:3]
	s_cbranch_execz .LBB1917_20
; %bb.19:
	v_mov_b32_e32 v4, s10
	v_mov_b32_e32 v5, s11
	;; [unrolled: 1-line block ×3, first 2 shown]
	v_lshl_add_u64 v[0:1], v[0:1], 1, v[4:5]
	s_waitcnt vmcnt(0)
	global_store_short v[0:1], v2, off
.LBB1917_20:
	s_endpgm
	.section	.rodata,"a",@progbits
	.p2align	6, 0x0
	.amdhsa_kernel _ZN7rocprim17ROCPRIM_400000_NS6detail17trampoline_kernelINS0_14default_configENS1_38merge_sort_block_merge_config_selectorIsNS0_10empty_typeEEEZZNS1_27merge_sort_block_merge_implIS3_N6thrust23THRUST_200600_302600_NS6detail15normal_iteratorINS9_10device_ptrIsEEEEPS5_jNS1_19radix_merge_compareILb0ELb1EsNS0_19identity_decomposerEEEEE10hipError_tT0_T1_T2_jT3_P12ihipStream_tbPNSt15iterator_traitsISK_E10value_typeEPNSQ_ISL_E10value_typeEPSM_NS1_7vsmem_tEENKUlT_SK_SL_SM_E_clISE_PsSF_SF_EESJ_SZ_SK_SL_SM_EUlSZ_E1_NS1_11comp_targetILNS1_3genE5ELNS1_11target_archE942ELNS1_3gpuE9ELNS1_3repE0EEENS1_36merge_oddeven_config_static_selectorELNS0_4arch9wavefront6targetE1EEEvSL_
		.amdhsa_group_segment_fixed_size 0
		.amdhsa_private_segment_fixed_size 0
		.amdhsa_kernarg_size 48
		.amdhsa_user_sgpr_count 2
		.amdhsa_user_sgpr_dispatch_ptr 0
		.amdhsa_user_sgpr_queue_ptr 0
		.amdhsa_user_sgpr_kernarg_segment_ptr 1
		.amdhsa_user_sgpr_dispatch_id 0
		.amdhsa_user_sgpr_kernarg_preload_length 0
		.amdhsa_user_sgpr_kernarg_preload_offset 0
		.amdhsa_user_sgpr_private_segment_size 0
		.amdhsa_uses_dynamic_stack 0
		.amdhsa_enable_private_segment 0
		.amdhsa_system_sgpr_workgroup_id_x 1
		.amdhsa_system_sgpr_workgroup_id_y 0
		.amdhsa_system_sgpr_workgroup_id_z 0
		.amdhsa_system_sgpr_workgroup_info 0
		.amdhsa_system_vgpr_workitem_id 0
		.amdhsa_next_free_vgpr 9
		.amdhsa_next_free_sgpr 21
		.amdhsa_accum_offset 12
		.amdhsa_reserve_vcc 1
		.amdhsa_float_round_mode_32 0
		.amdhsa_float_round_mode_16_64 0
		.amdhsa_float_denorm_mode_32 3
		.amdhsa_float_denorm_mode_16_64 3
		.amdhsa_dx10_clamp 1
		.amdhsa_ieee_mode 1
		.amdhsa_fp16_overflow 0
		.amdhsa_tg_split 0
		.amdhsa_exception_fp_ieee_invalid_op 0
		.amdhsa_exception_fp_denorm_src 0
		.amdhsa_exception_fp_ieee_div_zero 0
		.amdhsa_exception_fp_ieee_overflow 0
		.amdhsa_exception_fp_ieee_underflow 0
		.amdhsa_exception_fp_ieee_inexact 0
		.amdhsa_exception_int_div_zero 0
	.end_amdhsa_kernel
	.section	.text._ZN7rocprim17ROCPRIM_400000_NS6detail17trampoline_kernelINS0_14default_configENS1_38merge_sort_block_merge_config_selectorIsNS0_10empty_typeEEEZZNS1_27merge_sort_block_merge_implIS3_N6thrust23THRUST_200600_302600_NS6detail15normal_iteratorINS9_10device_ptrIsEEEEPS5_jNS1_19radix_merge_compareILb0ELb1EsNS0_19identity_decomposerEEEEE10hipError_tT0_T1_T2_jT3_P12ihipStream_tbPNSt15iterator_traitsISK_E10value_typeEPNSQ_ISL_E10value_typeEPSM_NS1_7vsmem_tEENKUlT_SK_SL_SM_E_clISE_PsSF_SF_EESJ_SZ_SK_SL_SM_EUlSZ_E1_NS1_11comp_targetILNS1_3genE5ELNS1_11target_archE942ELNS1_3gpuE9ELNS1_3repE0EEENS1_36merge_oddeven_config_static_selectorELNS0_4arch9wavefront6targetE1EEEvSL_,"axG",@progbits,_ZN7rocprim17ROCPRIM_400000_NS6detail17trampoline_kernelINS0_14default_configENS1_38merge_sort_block_merge_config_selectorIsNS0_10empty_typeEEEZZNS1_27merge_sort_block_merge_implIS3_N6thrust23THRUST_200600_302600_NS6detail15normal_iteratorINS9_10device_ptrIsEEEEPS5_jNS1_19radix_merge_compareILb0ELb1EsNS0_19identity_decomposerEEEEE10hipError_tT0_T1_T2_jT3_P12ihipStream_tbPNSt15iterator_traitsISK_E10value_typeEPNSQ_ISL_E10value_typeEPSM_NS1_7vsmem_tEENKUlT_SK_SL_SM_E_clISE_PsSF_SF_EESJ_SZ_SK_SL_SM_EUlSZ_E1_NS1_11comp_targetILNS1_3genE5ELNS1_11target_archE942ELNS1_3gpuE9ELNS1_3repE0EEENS1_36merge_oddeven_config_static_selectorELNS0_4arch9wavefront6targetE1EEEvSL_,comdat
.Lfunc_end1917:
	.size	_ZN7rocprim17ROCPRIM_400000_NS6detail17trampoline_kernelINS0_14default_configENS1_38merge_sort_block_merge_config_selectorIsNS0_10empty_typeEEEZZNS1_27merge_sort_block_merge_implIS3_N6thrust23THRUST_200600_302600_NS6detail15normal_iteratorINS9_10device_ptrIsEEEEPS5_jNS1_19radix_merge_compareILb0ELb1EsNS0_19identity_decomposerEEEEE10hipError_tT0_T1_T2_jT3_P12ihipStream_tbPNSt15iterator_traitsISK_E10value_typeEPNSQ_ISL_E10value_typeEPSM_NS1_7vsmem_tEENKUlT_SK_SL_SM_E_clISE_PsSF_SF_EESJ_SZ_SK_SL_SM_EUlSZ_E1_NS1_11comp_targetILNS1_3genE5ELNS1_11target_archE942ELNS1_3gpuE9ELNS1_3repE0EEENS1_36merge_oddeven_config_static_selectorELNS0_4arch9wavefront6targetE1EEEvSL_, .Lfunc_end1917-_ZN7rocprim17ROCPRIM_400000_NS6detail17trampoline_kernelINS0_14default_configENS1_38merge_sort_block_merge_config_selectorIsNS0_10empty_typeEEEZZNS1_27merge_sort_block_merge_implIS3_N6thrust23THRUST_200600_302600_NS6detail15normal_iteratorINS9_10device_ptrIsEEEEPS5_jNS1_19radix_merge_compareILb0ELb1EsNS0_19identity_decomposerEEEEE10hipError_tT0_T1_T2_jT3_P12ihipStream_tbPNSt15iterator_traitsISK_E10value_typeEPNSQ_ISL_E10value_typeEPSM_NS1_7vsmem_tEENKUlT_SK_SL_SM_E_clISE_PsSF_SF_EESJ_SZ_SK_SL_SM_EUlSZ_E1_NS1_11comp_targetILNS1_3genE5ELNS1_11target_archE942ELNS1_3gpuE9ELNS1_3repE0EEENS1_36merge_oddeven_config_static_selectorELNS0_4arch9wavefront6targetE1EEEvSL_
                                        ; -- End function
	.section	.AMDGPU.csdata,"",@progbits
; Kernel info:
; codeLenInByte = 600
; NumSgprs: 27
; NumVgprs: 9
; NumAgprs: 0
; TotalNumVgprs: 9
; ScratchSize: 0
; MemoryBound: 0
; FloatMode: 240
; IeeeMode: 1
; LDSByteSize: 0 bytes/workgroup (compile time only)
; SGPRBlocks: 3
; VGPRBlocks: 1
; NumSGPRsForWavesPerEU: 27
; NumVGPRsForWavesPerEU: 9
; AccumOffset: 12
; Occupancy: 8
; WaveLimiterHint : 0
; COMPUTE_PGM_RSRC2:SCRATCH_EN: 0
; COMPUTE_PGM_RSRC2:USER_SGPR: 2
; COMPUTE_PGM_RSRC2:TRAP_HANDLER: 0
; COMPUTE_PGM_RSRC2:TGID_X_EN: 1
; COMPUTE_PGM_RSRC2:TGID_Y_EN: 0
; COMPUTE_PGM_RSRC2:TGID_Z_EN: 0
; COMPUTE_PGM_RSRC2:TIDIG_COMP_CNT: 0
; COMPUTE_PGM_RSRC3_GFX90A:ACCUM_OFFSET: 2
; COMPUTE_PGM_RSRC3_GFX90A:TG_SPLIT: 0
	.section	.text._ZN7rocprim17ROCPRIM_400000_NS6detail17trampoline_kernelINS0_14default_configENS1_38merge_sort_block_merge_config_selectorIsNS0_10empty_typeEEEZZNS1_27merge_sort_block_merge_implIS3_N6thrust23THRUST_200600_302600_NS6detail15normal_iteratorINS9_10device_ptrIsEEEEPS5_jNS1_19radix_merge_compareILb0ELb1EsNS0_19identity_decomposerEEEEE10hipError_tT0_T1_T2_jT3_P12ihipStream_tbPNSt15iterator_traitsISK_E10value_typeEPNSQ_ISL_E10value_typeEPSM_NS1_7vsmem_tEENKUlT_SK_SL_SM_E_clISE_PsSF_SF_EESJ_SZ_SK_SL_SM_EUlSZ_E1_NS1_11comp_targetILNS1_3genE4ELNS1_11target_archE910ELNS1_3gpuE8ELNS1_3repE0EEENS1_36merge_oddeven_config_static_selectorELNS0_4arch9wavefront6targetE1EEEvSL_,"axG",@progbits,_ZN7rocprim17ROCPRIM_400000_NS6detail17trampoline_kernelINS0_14default_configENS1_38merge_sort_block_merge_config_selectorIsNS0_10empty_typeEEEZZNS1_27merge_sort_block_merge_implIS3_N6thrust23THRUST_200600_302600_NS6detail15normal_iteratorINS9_10device_ptrIsEEEEPS5_jNS1_19radix_merge_compareILb0ELb1EsNS0_19identity_decomposerEEEEE10hipError_tT0_T1_T2_jT3_P12ihipStream_tbPNSt15iterator_traitsISK_E10value_typeEPNSQ_ISL_E10value_typeEPSM_NS1_7vsmem_tEENKUlT_SK_SL_SM_E_clISE_PsSF_SF_EESJ_SZ_SK_SL_SM_EUlSZ_E1_NS1_11comp_targetILNS1_3genE4ELNS1_11target_archE910ELNS1_3gpuE8ELNS1_3repE0EEENS1_36merge_oddeven_config_static_selectorELNS0_4arch9wavefront6targetE1EEEvSL_,comdat
	.protected	_ZN7rocprim17ROCPRIM_400000_NS6detail17trampoline_kernelINS0_14default_configENS1_38merge_sort_block_merge_config_selectorIsNS0_10empty_typeEEEZZNS1_27merge_sort_block_merge_implIS3_N6thrust23THRUST_200600_302600_NS6detail15normal_iteratorINS9_10device_ptrIsEEEEPS5_jNS1_19radix_merge_compareILb0ELb1EsNS0_19identity_decomposerEEEEE10hipError_tT0_T1_T2_jT3_P12ihipStream_tbPNSt15iterator_traitsISK_E10value_typeEPNSQ_ISL_E10value_typeEPSM_NS1_7vsmem_tEENKUlT_SK_SL_SM_E_clISE_PsSF_SF_EESJ_SZ_SK_SL_SM_EUlSZ_E1_NS1_11comp_targetILNS1_3genE4ELNS1_11target_archE910ELNS1_3gpuE8ELNS1_3repE0EEENS1_36merge_oddeven_config_static_selectorELNS0_4arch9wavefront6targetE1EEEvSL_ ; -- Begin function _ZN7rocprim17ROCPRIM_400000_NS6detail17trampoline_kernelINS0_14default_configENS1_38merge_sort_block_merge_config_selectorIsNS0_10empty_typeEEEZZNS1_27merge_sort_block_merge_implIS3_N6thrust23THRUST_200600_302600_NS6detail15normal_iteratorINS9_10device_ptrIsEEEEPS5_jNS1_19radix_merge_compareILb0ELb1EsNS0_19identity_decomposerEEEEE10hipError_tT0_T1_T2_jT3_P12ihipStream_tbPNSt15iterator_traitsISK_E10value_typeEPNSQ_ISL_E10value_typeEPSM_NS1_7vsmem_tEENKUlT_SK_SL_SM_E_clISE_PsSF_SF_EESJ_SZ_SK_SL_SM_EUlSZ_E1_NS1_11comp_targetILNS1_3genE4ELNS1_11target_archE910ELNS1_3gpuE8ELNS1_3repE0EEENS1_36merge_oddeven_config_static_selectorELNS0_4arch9wavefront6targetE1EEEvSL_
	.globl	_ZN7rocprim17ROCPRIM_400000_NS6detail17trampoline_kernelINS0_14default_configENS1_38merge_sort_block_merge_config_selectorIsNS0_10empty_typeEEEZZNS1_27merge_sort_block_merge_implIS3_N6thrust23THRUST_200600_302600_NS6detail15normal_iteratorINS9_10device_ptrIsEEEEPS5_jNS1_19radix_merge_compareILb0ELb1EsNS0_19identity_decomposerEEEEE10hipError_tT0_T1_T2_jT3_P12ihipStream_tbPNSt15iterator_traitsISK_E10value_typeEPNSQ_ISL_E10value_typeEPSM_NS1_7vsmem_tEENKUlT_SK_SL_SM_E_clISE_PsSF_SF_EESJ_SZ_SK_SL_SM_EUlSZ_E1_NS1_11comp_targetILNS1_3genE4ELNS1_11target_archE910ELNS1_3gpuE8ELNS1_3repE0EEENS1_36merge_oddeven_config_static_selectorELNS0_4arch9wavefront6targetE1EEEvSL_
	.p2align	8
	.type	_ZN7rocprim17ROCPRIM_400000_NS6detail17trampoline_kernelINS0_14default_configENS1_38merge_sort_block_merge_config_selectorIsNS0_10empty_typeEEEZZNS1_27merge_sort_block_merge_implIS3_N6thrust23THRUST_200600_302600_NS6detail15normal_iteratorINS9_10device_ptrIsEEEEPS5_jNS1_19radix_merge_compareILb0ELb1EsNS0_19identity_decomposerEEEEE10hipError_tT0_T1_T2_jT3_P12ihipStream_tbPNSt15iterator_traitsISK_E10value_typeEPNSQ_ISL_E10value_typeEPSM_NS1_7vsmem_tEENKUlT_SK_SL_SM_E_clISE_PsSF_SF_EESJ_SZ_SK_SL_SM_EUlSZ_E1_NS1_11comp_targetILNS1_3genE4ELNS1_11target_archE910ELNS1_3gpuE8ELNS1_3repE0EEENS1_36merge_oddeven_config_static_selectorELNS0_4arch9wavefront6targetE1EEEvSL_,@function
_ZN7rocprim17ROCPRIM_400000_NS6detail17trampoline_kernelINS0_14default_configENS1_38merge_sort_block_merge_config_selectorIsNS0_10empty_typeEEEZZNS1_27merge_sort_block_merge_implIS3_N6thrust23THRUST_200600_302600_NS6detail15normal_iteratorINS9_10device_ptrIsEEEEPS5_jNS1_19radix_merge_compareILb0ELb1EsNS0_19identity_decomposerEEEEE10hipError_tT0_T1_T2_jT3_P12ihipStream_tbPNSt15iterator_traitsISK_E10value_typeEPNSQ_ISL_E10value_typeEPSM_NS1_7vsmem_tEENKUlT_SK_SL_SM_E_clISE_PsSF_SF_EESJ_SZ_SK_SL_SM_EUlSZ_E1_NS1_11comp_targetILNS1_3genE4ELNS1_11target_archE910ELNS1_3gpuE8ELNS1_3repE0EEENS1_36merge_oddeven_config_static_selectorELNS0_4arch9wavefront6targetE1EEEvSL_: ; @_ZN7rocprim17ROCPRIM_400000_NS6detail17trampoline_kernelINS0_14default_configENS1_38merge_sort_block_merge_config_selectorIsNS0_10empty_typeEEEZZNS1_27merge_sort_block_merge_implIS3_N6thrust23THRUST_200600_302600_NS6detail15normal_iteratorINS9_10device_ptrIsEEEEPS5_jNS1_19radix_merge_compareILb0ELb1EsNS0_19identity_decomposerEEEEE10hipError_tT0_T1_T2_jT3_P12ihipStream_tbPNSt15iterator_traitsISK_E10value_typeEPNSQ_ISL_E10value_typeEPSM_NS1_7vsmem_tEENKUlT_SK_SL_SM_E_clISE_PsSF_SF_EESJ_SZ_SK_SL_SM_EUlSZ_E1_NS1_11comp_targetILNS1_3genE4ELNS1_11target_archE910ELNS1_3gpuE8ELNS1_3repE0EEENS1_36merge_oddeven_config_static_selectorELNS0_4arch9wavefront6targetE1EEEvSL_
; %bb.0:
	.section	.rodata,"a",@progbits
	.p2align	6, 0x0
	.amdhsa_kernel _ZN7rocprim17ROCPRIM_400000_NS6detail17trampoline_kernelINS0_14default_configENS1_38merge_sort_block_merge_config_selectorIsNS0_10empty_typeEEEZZNS1_27merge_sort_block_merge_implIS3_N6thrust23THRUST_200600_302600_NS6detail15normal_iteratorINS9_10device_ptrIsEEEEPS5_jNS1_19radix_merge_compareILb0ELb1EsNS0_19identity_decomposerEEEEE10hipError_tT0_T1_T2_jT3_P12ihipStream_tbPNSt15iterator_traitsISK_E10value_typeEPNSQ_ISL_E10value_typeEPSM_NS1_7vsmem_tEENKUlT_SK_SL_SM_E_clISE_PsSF_SF_EESJ_SZ_SK_SL_SM_EUlSZ_E1_NS1_11comp_targetILNS1_3genE4ELNS1_11target_archE910ELNS1_3gpuE8ELNS1_3repE0EEENS1_36merge_oddeven_config_static_selectorELNS0_4arch9wavefront6targetE1EEEvSL_
		.amdhsa_group_segment_fixed_size 0
		.amdhsa_private_segment_fixed_size 0
		.amdhsa_kernarg_size 48
		.amdhsa_user_sgpr_count 2
		.amdhsa_user_sgpr_dispatch_ptr 0
		.amdhsa_user_sgpr_queue_ptr 0
		.amdhsa_user_sgpr_kernarg_segment_ptr 1
		.amdhsa_user_sgpr_dispatch_id 0
		.amdhsa_user_sgpr_kernarg_preload_length 0
		.amdhsa_user_sgpr_kernarg_preload_offset 0
		.amdhsa_user_sgpr_private_segment_size 0
		.amdhsa_uses_dynamic_stack 0
		.amdhsa_enable_private_segment 0
		.amdhsa_system_sgpr_workgroup_id_x 1
		.amdhsa_system_sgpr_workgroup_id_y 0
		.amdhsa_system_sgpr_workgroup_id_z 0
		.amdhsa_system_sgpr_workgroup_info 0
		.amdhsa_system_vgpr_workitem_id 0
		.amdhsa_next_free_vgpr 1
		.amdhsa_next_free_sgpr 0
		.amdhsa_accum_offset 4
		.amdhsa_reserve_vcc 0
		.amdhsa_float_round_mode_32 0
		.amdhsa_float_round_mode_16_64 0
		.amdhsa_float_denorm_mode_32 3
		.amdhsa_float_denorm_mode_16_64 3
		.amdhsa_dx10_clamp 1
		.amdhsa_ieee_mode 1
		.amdhsa_fp16_overflow 0
		.amdhsa_tg_split 0
		.amdhsa_exception_fp_ieee_invalid_op 0
		.amdhsa_exception_fp_denorm_src 0
		.amdhsa_exception_fp_ieee_div_zero 0
		.amdhsa_exception_fp_ieee_overflow 0
		.amdhsa_exception_fp_ieee_underflow 0
		.amdhsa_exception_fp_ieee_inexact 0
		.amdhsa_exception_int_div_zero 0
	.end_amdhsa_kernel
	.section	.text._ZN7rocprim17ROCPRIM_400000_NS6detail17trampoline_kernelINS0_14default_configENS1_38merge_sort_block_merge_config_selectorIsNS0_10empty_typeEEEZZNS1_27merge_sort_block_merge_implIS3_N6thrust23THRUST_200600_302600_NS6detail15normal_iteratorINS9_10device_ptrIsEEEEPS5_jNS1_19radix_merge_compareILb0ELb1EsNS0_19identity_decomposerEEEEE10hipError_tT0_T1_T2_jT3_P12ihipStream_tbPNSt15iterator_traitsISK_E10value_typeEPNSQ_ISL_E10value_typeEPSM_NS1_7vsmem_tEENKUlT_SK_SL_SM_E_clISE_PsSF_SF_EESJ_SZ_SK_SL_SM_EUlSZ_E1_NS1_11comp_targetILNS1_3genE4ELNS1_11target_archE910ELNS1_3gpuE8ELNS1_3repE0EEENS1_36merge_oddeven_config_static_selectorELNS0_4arch9wavefront6targetE1EEEvSL_,"axG",@progbits,_ZN7rocprim17ROCPRIM_400000_NS6detail17trampoline_kernelINS0_14default_configENS1_38merge_sort_block_merge_config_selectorIsNS0_10empty_typeEEEZZNS1_27merge_sort_block_merge_implIS3_N6thrust23THRUST_200600_302600_NS6detail15normal_iteratorINS9_10device_ptrIsEEEEPS5_jNS1_19radix_merge_compareILb0ELb1EsNS0_19identity_decomposerEEEEE10hipError_tT0_T1_T2_jT3_P12ihipStream_tbPNSt15iterator_traitsISK_E10value_typeEPNSQ_ISL_E10value_typeEPSM_NS1_7vsmem_tEENKUlT_SK_SL_SM_E_clISE_PsSF_SF_EESJ_SZ_SK_SL_SM_EUlSZ_E1_NS1_11comp_targetILNS1_3genE4ELNS1_11target_archE910ELNS1_3gpuE8ELNS1_3repE0EEENS1_36merge_oddeven_config_static_selectorELNS0_4arch9wavefront6targetE1EEEvSL_,comdat
.Lfunc_end1918:
	.size	_ZN7rocprim17ROCPRIM_400000_NS6detail17trampoline_kernelINS0_14default_configENS1_38merge_sort_block_merge_config_selectorIsNS0_10empty_typeEEEZZNS1_27merge_sort_block_merge_implIS3_N6thrust23THRUST_200600_302600_NS6detail15normal_iteratorINS9_10device_ptrIsEEEEPS5_jNS1_19radix_merge_compareILb0ELb1EsNS0_19identity_decomposerEEEEE10hipError_tT0_T1_T2_jT3_P12ihipStream_tbPNSt15iterator_traitsISK_E10value_typeEPNSQ_ISL_E10value_typeEPSM_NS1_7vsmem_tEENKUlT_SK_SL_SM_E_clISE_PsSF_SF_EESJ_SZ_SK_SL_SM_EUlSZ_E1_NS1_11comp_targetILNS1_3genE4ELNS1_11target_archE910ELNS1_3gpuE8ELNS1_3repE0EEENS1_36merge_oddeven_config_static_selectorELNS0_4arch9wavefront6targetE1EEEvSL_, .Lfunc_end1918-_ZN7rocprim17ROCPRIM_400000_NS6detail17trampoline_kernelINS0_14default_configENS1_38merge_sort_block_merge_config_selectorIsNS0_10empty_typeEEEZZNS1_27merge_sort_block_merge_implIS3_N6thrust23THRUST_200600_302600_NS6detail15normal_iteratorINS9_10device_ptrIsEEEEPS5_jNS1_19radix_merge_compareILb0ELb1EsNS0_19identity_decomposerEEEEE10hipError_tT0_T1_T2_jT3_P12ihipStream_tbPNSt15iterator_traitsISK_E10value_typeEPNSQ_ISL_E10value_typeEPSM_NS1_7vsmem_tEENKUlT_SK_SL_SM_E_clISE_PsSF_SF_EESJ_SZ_SK_SL_SM_EUlSZ_E1_NS1_11comp_targetILNS1_3genE4ELNS1_11target_archE910ELNS1_3gpuE8ELNS1_3repE0EEENS1_36merge_oddeven_config_static_selectorELNS0_4arch9wavefront6targetE1EEEvSL_
                                        ; -- End function
	.section	.AMDGPU.csdata,"",@progbits
; Kernel info:
; codeLenInByte = 0
; NumSgprs: 6
; NumVgprs: 0
; NumAgprs: 0
; TotalNumVgprs: 0
; ScratchSize: 0
; MemoryBound: 0
; FloatMode: 240
; IeeeMode: 1
; LDSByteSize: 0 bytes/workgroup (compile time only)
; SGPRBlocks: 0
; VGPRBlocks: 0
; NumSGPRsForWavesPerEU: 6
; NumVGPRsForWavesPerEU: 1
; AccumOffset: 4
; Occupancy: 8
; WaveLimiterHint : 0
; COMPUTE_PGM_RSRC2:SCRATCH_EN: 0
; COMPUTE_PGM_RSRC2:USER_SGPR: 2
; COMPUTE_PGM_RSRC2:TRAP_HANDLER: 0
; COMPUTE_PGM_RSRC2:TGID_X_EN: 1
; COMPUTE_PGM_RSRC2:TGID_Y_EN: 0
; COMPUTE_PGM_RSRC2:TGID_Z_EN: 0
; COMPUTE_PGM_RSRC2:TIDIG_COMP_CNT: 0
; COMPUTE_PGM_RSRC3_GFX90A:ACCUM_OFFSET: 0
; COMPUTE_PGM_RSRC3_GFX90A:TG_SPLIT: 0
	.section	.text._ZN7rocprim17ROCPRIM_400000_NS6detail17trampoline_kernelINS0_14default_configENS1_38merge_sort_block_merge_config_selectorIsNS0_10empty_typeEEEZZNS1_27merge_sort_block_merge_implIS3_N6thrust23THRUST_200600_302600_NS6detail15normal_iteratorINS9_10device_ptrIsEEEEPS5_jNS1_19radix_merge_compareILb0ELb1EsNS0_19identity_decomposerEEEEE10hipError_tT0_T1_T2_jT3_P12ihipStream_tbPNSt15iterator_traitsISK_E10value_typeEPNSQ_ISL_E10value_typeEPSM_NS1_7vsmem_tEENKUlT_SK_SL_SM_E_clISE_PsSF_SF_EESJ_SZ_SK_SL_SM_EUlSZ_E1_NS1_11comp_targetILNS1_3genE3ELNS1_11target_archE908ELNS1_3gpuE7ELNS1_3repE0EEENS1_36merge_oddeven_config_static_selectorELNS0_4arch9wavefront6targetE1EEEvSL_,"axG",@progbits,_ZN7rocprim17ROCPRIM_400000_NS6detail17trampoline_kernelINS0_14default_configENS1_38merge_sort_block_merge_config_selectorIsNS0_10empty_typeEEEZZNS1_27merge_sort_block_merge_implIS3_N6thrust23THRUST_200600_302600_NS6detail15normal_iteratorINS9_10device_ptrIsEEEEPS5_jNS1_19radix_merge_compareILb0ELb1EsNS0_19identity_decomposerEEEEE10hipError_tT0_T1_T2_jT3_P12ihipStream_tbPNSt15iterator_traitsISK_E10value_typeEPNSQ_ISL_E10value_typeEPSM_NS1_7vsmem_tEENKUlT_SK_SL_SM_E_clISE_PsSF_SF_EESJ_SZ_SK_SL_SM_EUlSZ_E1_NS1_11comp_targetILNS1_3genE3ELNS1_11target_archE908ELNS1_3gpuE7ELNS1_3repE0EEENS1_36merge_oddeven_config_static_selectorELNS0_4arch9wavefront6targetE1EEEvSL_,comdat
	.protected	_ZN7rocprim17ROCPRIM_400000_NS6detail17trampoline_kernelINS0_14default_configENS1_38merge_sort_block_merge_config_selectorIsNS0_10empty_typeEEEZZNS1_27merge_sort_block_merge_implIS3_N6thrust23THRUST_200600_302600_NS6detail15normal_iteratorINS9_10device_ptrIsEEEEPS5_jNS1_19radix_merge_compareILb0ELb1EsNS0_19identity_decomposerEEEEE10hipError_tT0_T1_T2_jT3_P12ihipStream_tbPNSt15iterator_traitsISK_E10value_typeEPNSQ_ISL_E10value_typeEPSM_NS1_7vsmem_tEENKUlT_SK_SL_SM_E_clISE_PsSF_SF_EESJ_SZ_SK_SL_SM_EUlSZ_E1_NS1_11comp_targetILNS1_3genE3ELNS1_11target_archE908ELNS1_3gpuE7ELNS1_3repE0EEENS1_36merge_oddeven_config_static_selectorELNS0_4arch9wavefront6targetE1EEEvSL_ ; -- Begin function _ZN7rocprim17ROCPRIM_400000_NS6detail17trampoline_kernelINS0_14default_configENS1_38merge_sort_block_merge_config_selectorIsNS0_10empty_typeEEEZZNS1_27merge_sort_block_merge_implIS3_N6thrust23THRUST_200600_302600_NS6detail15normal_iteratorINS9_10device_ptrIsEEEEPS5_jNS1_19radix_merge_compareILb0ELb1EsNS0_19identity_decomposerEEEEE10hipError_tT0_T1_T2_jT3_P12ihipStream_tbPNSt15iterator_traitsISK_E10value_typeEPNSQ_ISL_E10value_typeEPSM_NS1_7vsmem_tEENKUlT_SK_SL_SM_E_clISE_PsSF_SF_EESJ_SZ_SK_SL_SM_EUlSZ_E1_NS1_11comp_targetILNS1_3genE3ELNS1_11target_archE908ELNS1_3gpuE7ELNS1_3repE0EEENS1_36merge_oddeven_config_static_selectorELNS0_4arch9wavefront6targetE1EEEvSL_
	.globl	_ZN7rocprim17ROCPRIM_400000_NS6detail17trampoline_kernelINS0_14default_configENS1_38merge_sort_block_merge_config_selectorIsNS0_10empty_typeEEEZZNS1_27merge_sort_block_merge_implIS3_N6thrust23THRUST_200600_302600_NS6detail15normal_iteratorINS9_10device_ptrIsEEEEPS5_jNS1_19radix_merge_compareILb0ELb1EsNS0_19identity_decomposerEEEEE10hipError_tT0_T1_T2_jT3_P12ihipStream_tbPNSt15iterator_traitsISK_E10value_typeEPNSQ_ISL_E10value_typeEPSM_NS1_7vsmem_tEENKUlT_SK_SL_SM_E_clISE_PsSF_SF_EESJ_SZ_SK_SL_SM_EUlSZ_E1_NS1_11comp_targetILNS1_3genE3ELNS1_11target_archE908ELNS1_3gpuE7ELNS1_3repE0EEENS1_36merge_oddeven_config_static_selectorELNS0_4arch9wavefront6targetE1EEEvSL_
	.p2align	8
	.type	_ZN7rocprim17ROCPRIM_400000_NS6detail17trampoline_kernelINS0_14default_configENS1_38merge_sort_block_merge_config_selectorIsNS0_10empty_typeEEEZZNS1_27merge_sort_block_merge_implIS3_N6thrust23THRUST_200600_302600_NS6detail15normal_iteratorINS9_10device_ptrIsEEEEPS5_jNS1_19radix_merge_compareILb0ELb1EsNS0_19identity_decomposerEEEEE10hipError_tT0_T1_T2_jT3_P12ihipStream_tbPNSt15iterator_traitsISK_E10value_typeEPNSQ_ISL_E10value_typeEPSM_NS1_7vsmem_tEENKUlT_SK_SL_SM_E_clISE_PsSF_SF_EESJ_SZ_SK_SL_SM_EUlSZ_E1_NS1_11comp_targetILNS1_3genE3ELNS1_11target_archE908ELNS1_3gpuE7ELNS1_3repE0EEENS1_36merge_oddeven_config_static_selectorELNS0_4arch9wavefront6targetE1EEEvSL_,@function
_ZN7rocprim17ROCPRIM_400000_NS6detail17trampoline_kernelINS0_14default_configENS1_38merge_sort_block_merge_config_selectorIsNS0_10empty_typeEEEZZNS1_27merge_sort_block_merge_implIS3_N6thrust23THRUST_200600_302600_NS6detail15normal_iteratorINS9_10device_ptrIsEEEEPS5_jNS1_19radix_merge_compareILb0ELb1EsNS0_19identity_decomposerEEEEE10hipError_tT0_T1_T2_jT3_P12ihipStream_tbPNSt15iterator_traitsISK_E10value_typeEPNSQ_ISL_E10value_typeEPSM_NS1_7vsmem_tEENKUlT_SK_SL_SM_E_clISE_PsSF_SF_EESJ_SZ_SK_SL_SM_EUlSZ_E1_NS1_11comp_targetILNS1_3genE3ELNS1_11target_archE908ELNS1_3gpuE7ELNS1_3repE0EEENS1_36merge_oddeven_config_static_selectorELNS0_4arch9wavefront6targetE1EEEvSL_: ; @_ZN7rocprim17ROCPRIM_400000_NS6detail17trampoline_kernelINS0_14default_configENS1_38merge_sort_block_merge_config_selectorIsNS0_10empty_typeEEEZZNS1_27merge_sort_block_merge_implIS3_N6thrust23THRUST_200600_302600_NS6detail15normal_iteratorINS9_10device_ptrIsEEEEPS5_jNS1_19radix_merge_compareILb0ELb1EsNS0_19identity_decomposerEEEEE10hipError_tT0_T1_T2_jT3_P12ihipStream_tbPNSt15iterator_traitsISK_E10value_typeEPNSQ_ISL_E10value_typeEPSM_NS1_7vsmem_tEENKUlT_SK_SL_SM_E_clISE_PsSF_SF_EESJ_SZ_SK_SL_SM_EUlSZ_E1_NS1_11comp_targetILNS1_3genE3ELNS1_11target_archE908ELNS1_3gpuE7ELNS1_3repE0EEENS1_36merge_oddeven_config_static_selectorELNS0_4arch9wavefront6targetE1EEEvSL_
; %bb.0:
	.section	.rodata,"a",@progbits
	.p2align	6, 0x0
	.amdhsa_kernel _ZN7rocprim17ROCPRIM_400000_NS6detail17trampoline_kernelINS0_14default_configENS1_38merge_sort_block_merge_config_selectorIsNS0_10empty_typeEEEZZNS1_27merge_sort_block_merge_implIS3_N6thrust23THRUST_200600_302600_NS6detail15normal_iteratorINS9_10device_ptrIsEEEEPS5_jNS1_19radix_merge_compareILb0ELb1EsNS0_19identity_decomposerEEEEE10hipError_tT0_T1_T2_jT3_P12ihipStream_tbPNSt15iterator_traitsISK_E10value_typeEPNSQ_ISL_E10value_typeEPSM_NS1_7vsmem_tEENKUlT_SK_SL_SM_E_clISE_PsSF_SF_EESJ_SZ_SK_SL_SM_EUlSZ_E1_NS1_11comp_targetILNS1_3genE3ELNS1_11target_archE908ELNS1_3gpuE7ELNS1_3repE0EEENS1_36merge_oddeven_config_static_selectorELNS0_4arch9wavefront6targetE1EEEvSL_
		.amdhsa_group_segment_fixed_size 0
		.amdhsa_private_segment_fixed_size 0
		.amdhsa_kernarg_size 48
		.amdhsa_user_sgpr_count 2
		.amdhsa_user_sgpr_dispatch_ptr 0
		.amdhsa_user_sgpr_queue_ptr 0
		.amdhsa_user_sgpr_kernarg_segment_ptr 1
		.amdhsa_user_sgpr_dispatch_id 0
		.amdhsa_user_sgpr_kernarg_preload_length 0
		.amdhsa_user_sgpr_kernarg_preload_offset 0
		.amdhsa_user_sgpr_private_segment_size 0
		.amdhsa_uses_dynamic_stack 0
		.amdhsa_enable_private_segment 0
		.amdhsa_system_sgpr_workgroup_id_x 1
		.amdhsa_system_sgpr_workgroup_id_y 0
		.amdhsa_system_sgpr_workgroup_id_z 0
		.amdhsa_system_sgpr_workgroup_info 0
		.amdhsa_system_vgpr_workitem_id 0
		.amdhsa_next_free_vgpr 1
		.amdhsa_next_free_sgpr 0
		.amdhsa_accum_offset 4
		.amdhsa_reserve_vcc 0
		.amdhsa_float_round_mode_32 0
		.amdhsa_float_round_mode_16_64 0
		.amdhsa_float_denorm_mode_32 3
		.amdhsa_float_denorm_mode_16_64 3
		.amdhsa_dx10_clamp 1
		.amdhsa_ieee_mode 1
		.amdhsa_fp16_overflow 0
		.amdhsa_tg_split 0
		.amdhsa_exception_fp_ieee_invalid_op 0
		.amdhsa_exception_fp_denorm_src 0
		.amdhsa_exception_fp_ieee_div_zero 0
		.amdhsa_exception_fp_ieee_overflow 0
		.amdhsa_exception_fp_ieee_underflow 0
		.amdhsa_exception_fp_ieee_inexact 0
		.amdhsa_exception_int_div_zero 0
	.end_amdhsa_kernel
	.section	.text._ZN7rocprim17ROCPRIM_400000_NS6detail17trampoline_kernelINS0_14default_configENS1_38merge_sort_block_merge_config_selectorIsNS0_10empty_typeEEEZZNS1_27merge_sort_block_merge_implIS3_N6thrust23THRUST_200600_302600_NS6detail15normal_iteratorINS9_10device_ptrIsEEEEPS5_jNS1_19radix_merge_compareILb0ELb1EsNS0_19identity_decomposerEEEEE10hipError_tT0_T1_T2_jT3_P12ihipStream_tbPNSt15iterator_traitsISK_E10value_typeEPNSQ_ISL_E10value_typeEPSM_NS1_7vsmem_tEENKUlT_SK_SL_SM_E_clISE_PsSF_SF_EESJ_SZ_SK_SL_SM_EUlSZ_E1_NS1_11comp_targetILNS1_3genE3ELNS1_11target_archE908ELNS1_3gpuE7ELNS1_3repE0EEENS1_36merge_oddeven_config_static_selectorELNS0_4arch9wavefront6targetE1EEEvSL_,"axG",@progbits,_ZN7rocprim17ROCPRIM_400000_NS6detail17trampoline_kernelINS0_14default_configENS1_38merge_sort_block_merge_config_selectorIsNS0_10empty_typeEEEZZNS1_27merge_sort_block_merge_implIS3_N6thrust23THRUST_200600_302600_NS6detail15normal_iteratorINS9_10device_ptrIsEEEEPS5_jNS1_19radix_merge_compareILb0ELb1EsNS0_19identity_decomposerEEEEE10hipError_tT0_T1_T2_jT3_P12ihipStream_tbPNSt15iterator_traitsISK_E10value_typeEPNSQ_ISL_E10value_typeEPSM_NS1_7vsmem_tEENKUlT_SK_SL_SM_E_clISE_PsSF_SF_EESJ_SZ_SK_SL_SM_EUlSZ_E1_NS1_11comp_targetILNS1_3genE3ELNS1_11target_archE908ELNS1_3gpuE7ELNS1_3repE0EEENS1_36merge_oddeven_config_static_selectorELNS0_4arch9wavefront6targetE1EEEvSL_,comdat
.Lfunc_end1919:
	.size	_ZN7rocprim17ROCPRIM_400000_NS6detail17trampoline_kernelINS0_14default_configENS1_38merge_sort_block_merge_config_selectorIsNS0_10empty_typeEEEZZNS1_27merge_sort_block_merge_implIS3_N6thrust23THRUST_200600_302600_NS6detail15normal_iteratorINS9_10device_ptrIsEEEEPS5_jNS1_19radix_merge_compareILb0ELb1EsNS0_19identity_decomposerEEEEE10hipError_tT0_T1_T2_jT3_P12ihipStream_tbPNSt15iterator_traitsISK_E10value_typeEPNSQ_ISL_E10value_typeEPSM_NS1_7vsmem_tEENKUlT_SK_SL_SM_E_clISE_PsSF_SF_EESJ_SZ_SK_SL_SM_EUlSZ_E1_NS1_11comp_targetILNS1_3genE3ELNS1_11target_archE908ELNS1_3gpuE7ELNS1_3repE0EEENS1_36merge_oddeven_config_static_selectorELNS0_4arch9wavefront6targetE1EEEvSL_, .Lfunc_end1919-_ZN7rocprim17ROCPRIM_400000_NS6detail17trampoline_kernelINS0_14default_configENS1_38merge_sort_block_merge_config_selectorIsNS0_10empty_typeEEEZZNS1_27merge_sort_block_merge_implIS3_N6thrust23THRUST_200600_302600_NS6detail15normal_iteratorINS9_10device_ptrIsEEEEPS5_jNS1_19radix_merge_compareILb0ELb1EsNS0_19identity_decomposerEEEEE10hipError_tT0_T1_T2_jT3_P12ihipStream_tbPNSt15iterator_traitsISK_E10value_typeEPNSQ_ISL_E10value_typeEPSM_NS1_7vsmem_tEENKUlT_SK_SL_SM_E_clISE_PsSF_SF_EESJ_SZ_SK_SL_SM_EUlSZ_E1_NS1_11comp_targetILNS1_3genE3ELNS1_11target_archE908ELNS1_3gpuE7ELNS1_3repE0EEENS1_36merge_oddeven_config_static_selectorELNS0_4arch9wavefront6targetE1EEEvSL_
                                        ; -- End function
	.section	.AMDGPU.csdata,"",@progbits
; Kernel info:
; codeLenInByte = 0
; NumSgprs: 6
; NumVgprs: 0
; NumAgprs: 0
; TotalNumVgprs: 0
; ScratchSize: 0
; MemoryBound: 0
; FloatMode: 240
; IeeeMode: 1
; LDSByteSize: 0 bytes/workgroup (compile time only)
; SGPRBlocks: 0
; VGPRBlocks: 0
; NumSGPRsForWavesPerEU: 6
; NumVGPRsForWavesPerEU: 1
; AccumOffset: 4
; Occupancy: 8
; WaveLimiterHint : 0
; COMPUTE_PGM_RSRC2:SCRATCH_EN: 0
; COMPUTE_PGM_RSRC2:USER_SGPR: 2
; COMPUTE_PGM_RSRC2:TRAP_HANDLER: 0
; COMPUTE_PGM_RSRC2:TGID_X_EN: 1
; COMPUTE_PGM_RSRC2:TGID_Y_EN: 0
; COMPUTE_PGM_RSRC2:TGID_Z_EN: 0
; COMPUTE_PGM_RSRC2:TIDIG_COMP_CNT: 0
; COMPUTE_PGM_RSRC3_GFX90A:ACCUM_OFFSET: 0
; COMPUTE_PGM_RSRC3_GFX90A:TG_SPLIT: 0
	.section	.text._ZN7rocprim17ROCPRIM_400000_NS6detail17trampoline_kernelINS0_14default_configENS1_38merge_sort_block_merge_config_selectorIsNS0_10empty_typeEEEZZNS1_27merge_sort_block_merge_implIS3_N6thrust23THRUST_200600_302600_NS6detail15normal_iteratorINS9_10device_ptrIsEEEEPS5_jNS1_19radix_merge_compareILb0ELb1EsNS0_19identity_decomposerEEEEE10hipError_tT0_T1_T2_jT3_P12ihipStream_tbPNSt15iterator_traitsISK_E10value_typeEPNSQ_ISL_E10value_typeEPSM_NS1_7vsmem_tEENKUlT_SK_SL_SM_E_clISE_PsSF_SF_EESJ_SZ_SK_SL_SM_EUlSZ_E1_NS1_11comp_targetILNS1_3genE2ELNS1_11target_archE906ELNS1_3gpuE6ELNS1_3repE0EEENS1_36merge_oddeven_config_static_selectorELNS0_4arch9wavefront6targetE1EEEvSL_,"axG",@progbits,_ZN7rocprim17ROCPRIM_400000_NS6detail17trampoline_kernelINS0_14default_configENS1_38merge_sort_block_merge_config_selectorIsNS0_10empty_typeEEEZZNS1_27merge_sort_block_merge_implIS3_N6thrust23THRUST_200600_302600_NS6detail15normal_iteratorINS9_10device_ptrIsEEEEPS5_jNS1_19radix_merge_compareILb0ELb1EsNS0_19identity_decomposerEEEEE10hipError_tT0_T1_T2_jT3_P12ihipStream_tbPNSt15iterator_traitsISK_E10value_typeEPNSQ_ISL_E10value_typeEPSM_NS1_7vsmem_tEENKUlT_SK_SL_SM_E_clISE_PsSF_SF_EESJ_SZ_SK_SL_SM_EUlSZ_E1_NS1_11comp_targetILNS1_3genE2ELNS1_11target_archE906ELNS1_3gpuE6ELNS1_3repE0EEENS1_36merge_oddeven_config_static_selectorELNS0_4arch9wavefront6targetE1EEEvSL_,comdat
	.protected	_ZN7rocprim17ROCPRIM_400000_NS6detail17trampoline_kernelINS0_14default_configENS1_38merge_sort_block_merge_config_selectorIsNS0_10empty_typeEEEZZNS1_27merge_sort_block_merge_implIS3_N6thrust23THRUST_200600_302600_NS6detail15normal_iteratorINS9_10device_ptrIsEEEEPS5_jNS1_19radix_merge_compareILb0ELb1EsNS0_19identity_decomposerEEEEE10hipError_tT0_T1_T2_jT3_P12ihipStream_tbPNSt15iterator_traitsISK_E10value_typeEPNSQ_ISL_E10value_typeEPSM_NS1_7vsmem_tEENKUlT_SK_SL_SM_E_clISE_PsSF_SF_EESJ_SZ_SK_SL_SM_EUlSZ_E1_NS1_11comp_targetILNS1_3genE2ELNS1_11target_archE906ELNS1_3gpuE6ELNS1_3repE0EEENS1_36merge_oddeven_config_static_selectorELNS0_4arch9wavefront6targetE1EEEvSL_ ; -- Begin function _ZN7rocprim17ROCPRIM_400000_NS6detail17trampoline_kernelINS0_14default_configENS1_38merge_sort_block_merge_config_selectorIsNS0_10empty_typeEEEZZNS1_27merge_sort_block_merge_implIS3_N6thrust23THRUST_200600_302600_NS6detail15normal_iteratorINS9_10device_ptrIsEEEEPS5_jNS1_19radix_merge_compareILb0ELb1EsNS0_19identity_decomposerEEEEE10hipError_tT0_T1_T2_jT3_P12ihipStream_tbPNSt15iterator_traitsISK_E10value_typeEPNSQ_ISL_E10value_typeEPSM_NS1_7vsmem_tEENKUlT_SK_SL_SM_E_clISE_PsSF_SF_EESJ_SZ_SK_SL_SM_EUlSZ_E1_NS1_11comp_targetILNS1_3genE2ELNS1_11target_archE906ELNS1_3gpuE6ELNS1_3repE0EEENS1_36merge_oddeven_config_static_selectorELNS0_4arch9wavefront6targetE1EEEvSL_
	.globl	_ZN7rocprim17ROCPRIM_400000_NS6detail17trampoline_kernelINS0_14default_configENS1_38merge_sort_block_merge_config_selectorIsNS0_10empty_typeEEEZZNS1_27merge_sort_block_merge_implIS3_N6thrust23THRUST_200600_302600_NS6detail15normal_iteratorINS9_10device_ptrIsEEEEPS5_jNS1_19radix_merge_compareILb0ELb1EsNS0_19identity_decomposerEEEEE10hipError_tT0_T1_T2_jT3_P12ihipStream_tbPNSt15iterator_traitsISK_E10value_typeEPNSQ_ISL_E10value_typeEPSM_NS1_7vsmem_tEENKUlT_SK_SL_SM_E_clISE_PsSF_SF_EESJ_SZ_SK_SL_SM_EUlSZ_E1_NS1_11comp_targetILNS1_3genE2ELNS1_11target_archE906ELNS1_3gpuE6ELNS1_3repE0EEENS1_36merge_oddeven_config_static_selectorELNS0_4arch9wavefront6targetE1EEEvSL_
	.p2align	8
	.type	_ZN7rocprim17ROCPRIM_400000_NS6detail17trampoline_kernelINS0_14default_configENS1_38merge_sort_block_merge_config_selectorIsNS0_10empty_typeEEEZZNS1_27merge_sort_block_merge_implIS3_N6thrust23THRUST_200600_302600_NS6detail15normal_iteratorINS9_10device_ptrIsEEEEPS5_jNS1_19radix_merge_compareILb0ELb1EsNS0_19identity_decomposerEEEEE10hipError_tT0_T1_T2_jT3_P12ihipStream_tbPNSt15iterator_traitsISK_E10value_typeEPNSQ_ISL_E10value_typeEPSM_NS1_7vsmem_tEENKUlT_SK_SL_SM_E_clISE_PsSF_SF_EESJ_SZ_SK_SL_SM_EUlSZ_E1_NS1_11comp_targetILNS1_3genE2ELNS1_11target_archE906ELNS1_3gpuE6ELNS1_3repE0EEENS1_36merge_oddeven_config_static_selectorELNS0_4arch9wavefront6targetE1EEEvSL_,@function
_ZN7rocprim17ROCPRIM_400000_NS6detail17trampoline_kernelINS0_14default_configENS1_38merge_sort_block_merge_config_selectorIsNS0_10empty_typeEEEZZNS1_27merge_sort_block_merge_implIS3_N6thrust23THRUST_200600_302600_NS6detail15normal_iteratorINS9_10device_ptrIsEEEEPS5_jNS1_19radix_merge_compareILb0ELb1EsNS0_19identity_decomposerEEEEE10hipError_tT0_T1_T2_jT3_P12ihipStream_tbPNSt15iterator_traitsISK_E10value_typeEPNSQ_ISL_E10value_typeEPSM_NS1_7vsmem_tEENKUlT_SK_SL_SM_E_clISE_PsSF_SF_EESJ_SZ_SK_SL_SM_EUlSZ_E1_NS1_11comp_targetILNS1_3genE2ELNS1_11target_archE906ELNS1_3gpuE6ELNS1_3repE0EEENS1_36merge_oddeven_config_static_selectorELNS0_4arch9wavefront6targetE1EEEvSL_: ; @_ZN7rocprim17ROCPRIM_400000_NS6detail17trampoline_kernelINS0_14default_configENS1_38merge_sort_block_merge_config_selectorIsNS0_10empty_typeEEEZZNS1_27merge_sort_block_merge_implIS3_N6thrust23THRUST_200600_302600_NS6detail15normal_iteratorINS9_10device_ptrIsEEEEPS5_jNS1_19radix_merge_compareILb0ELb1EsNS0_19identity_decomposerEEEEE10hipError_tT0_T1_T2_jT3_P12ihipStream_tbPNSt15iterator_traitsISK_E10value_typeEPNSQ_ISL_E10value_typeEPSM_NS1_7vsmem_tEENKUlT_SK_SL_SM_E_clISE_PsSF_SF_EESJ_SZ_SK_SL_SM_EUlSZ_E1_NS1_11comp_targetILNS1_3genE2ELNS1_11target_archE906ELNS1_3gpuE6ELNS1_3repE0EEENS1_36merge_oddeven_config_static_selectorELNS0_4arch9wavefront6targetE1EEEvSL_
; %bb.0:
	.section	.rodata,"a",@progbits
	.p2align	6, 0x0
	.amdhsa_kernel _ZN7rocprim17ROCPRIM_400000_NS6detail17trampoline_kernelINS0_14default_configENS1_38merge_sort_block_merge_config_selectorIsNS0_10empty_typeEEEZZNS1_27merge_sort_block_merge_implIS3_N6thrust23THRUST_200600_302600_NS6detail15normal_iteratorINS9_10device_ptrIsEEEEPS5_jNS1_19radix_merge_compareILb0ELb1EsNS0_19identity_decomposerEEEEE10hipError_tT0_T1_T2_jT3_P12ihipStream_tbPNSt15iterator_traitsISK_E10value_typeEPNSQ_ISL_E10value_typeEPSM_NS1_7vsmem_tEENKUlT_SK_SL_SM_E_clISE_PsSF_SF_EESJ_SZ_SK_SL_SM_EUlSZ_E1_NS1_11comp_targetILNS1_3genE2ELNS1_11target_archE906ELNS1_3gpuE6ELNS1_3repE0EEENS1_36merge_oddeven_config_static_selectorELNS0_4arch9wavefront6targetE1EEEvSL_
		.amdhsa_group_segment_fixed_size 0
		.amdhsa_private_segment_fixed_size 0
		.amdhsa_kernarg_size 48
		.amdhsa_user_sgpr_count 2
		.amdhsa_user_sgpr_dispatch_ptr 0
		.amdhsa_user_sgpr_queue_ptr 0
		.amdhsa_user_sgpr_kernarg_segment_ptr 1
		.amdhsa_user_sgpr_dispatch_id 0
		.amdhsa_user_sgpr_kernarg_preload_length 0
		.amdhsa_user_sgpr_kernarg_preload_offset 0
		.amdhsa_user_sgpr_private_segment_size 0
		.amdhsa_uses_dynamic_stack 0
		.amdhsa_enable_private_segment 0
		.amdhsa_system_sgpr_workgroup_id_x 1
		.amdhsa_system_sgpr_workgroup_id_y 0
		.amdhsa_system_sgpr_workgroup_id_z 0
		.amdhsa_system_sgpr_workgroup_info 0
		.amdhsa_system_vgpr_workitem_id 0
		.amdhsa_next_free_vgpr 1
		.amdhsa_next_free_sgpr 0
		.amdhsa_accum_offset 4
		.amdhsa_reserve_vcc 0
		.amdhsa_float_round_mode_32 0
		.amdhsa_float_round_mode_16_64 0
		.amdhsa_float_denorm_mode_32 3
		.amdhsa_float_denorm_mode_16_64 3
		.amdhsa_dx10_clamp 1
		.amdhsa_ieee_mode 1
		.amdhsa_fp16_overflow 0
		.amdhsa_tg_split 0
		.amdhsa_exception_fp_ieee_invalid_op 0
		.amdhsa_exception_fp_denorm_src 0
		.amdhsa_exception_fp_ieee_div_zero 0
		.amdhsa_exception_fp_ieee_overflow 0
		.amdhsa_exception_fp_ieee_underflow 0
		.amdhsa_exception_fp_ieee_inexact 0
		.amdhsa_exception_int_div_zero 0
	.end_amdhsa_kernel
	.section	.text._ZN7rocprim17ROCPRIM_400000_NS6detail17trampoline_kernelINS0_14default_configENS1_38merge_sort_block_merge_config_selectorIsNS0_10empty_typeEEEZZNS1_27merge_sort_block_merge_implIS3_N6thrust23THRUST_200600_302600_NS6detail15normal_iteratorINS9_10device_ptrIsEEEEPS5_jNS1_19radix_merge_compareILb0ELb1EsNS0_19identity_decomposerEEEEE10hipError_tT0_T1_T2_jT3_P12ihipStream_tbPNSt15iterator_traitsISK_E10value_typeEPNSQ_ISL_E10value_typeEPSM_NS1_7vsmem_tEENKUlT_SK_SL_SM_E_clISE_PsSF_SF_EESJ_SZ_SK_SL_SM_EUlSZ_E1_NS1_11comp_targetILNS1_3genE2ELNS1_11target_archE906ELNS1_3gpuE6ELNS1_3repE0EEENS1_36merge_oddeven_config_static_selectorELNS0_4arch9wavefront6targetE1EEEvSL_,"axG",@progbits,_ZN7rocprim17ROCPRIM_400000_NS6detail17trampoline_kernelINS0_14default_configENS1_38merge_sort_block_merge_config_selectorIsNS0_10empty_typeEEEZZNS1_27merge_sort_block_merge_implIS3_N6thrust23THRUST_200600_302600_NS6detail15normal_iteratorINS9_10device_ptrIsEEEEPS5_jNS1_19radix_merge_compareILb0ELb1EsNS0_19identity_decomposerEEEEE10hipError_tT0_T1_T2_jT3_P12ihipStream_tbPNSt15iterator_traitsISK_E10value_typeEPNSQ_ISL_E10value_typeEPSM_NS1_7vsmem_tEENKUlT_SK_SL_SM_E_clISE_PsSF_SF_EESJ_SZ_SK_SL_SM_EUlSZ_E1_NS1_11comp_targetILNS1_3genE2ELNS1_11target_archE906ELNS1_3gpuE6ELNS1_3repE0EEENS1_36merge_oddeven_config_static_selectorELNS0_4arch9wavefront6targetE1EEEvSL_,comdat
.Lfunc_end1920:
	.size	_ZN7rocprim17ROCPRIM_400000_NS6detail17trampoline_kernelINS0_14default_configENS1_38merge_sort_block_merge_config_selectorIsNS0_10empty_typeEEEZZNS1_27merge_sort_block_merge_implIS3_N6thrust23THRUST_200600_302600_NS6detail15normal_iteratorINS9_10device_ptrIsEEEEPS5_jNS1_19radix_merge_compareILb0ELb1EsNS0_19identity_decomposerEEEEE10hipError_tT0_T1_T2_jT3_P12ihipStream_tbPNSt15iterator_traitsISK_E10value_typeEPNSQ_ISL_E10value_typeEPSM_NS1_7vsmem_tEENKUlT_SK_SL_SM_E_clISE_PsSF_SF_EESJ_SZ_SK_SL_SM_EUlSZ_E1_NS1_11comp_targetILNS1_3genE2ELNS1_11target_archE906ELNS1_3gpuE6ELNS1_3repE0EEENS1_36merge_oddeven_config_static_selectorELNS0_4arch9wavefront6targetE1EEEvSL_, .Lfunc_end1920-_ZN7rocprim17ROCPRIM_400000_NS6detail17trampoline_kernelINS0_14default_configENS1_38merge_sort_block_merge_config_selectorIsNS0_10empty_typeEEEZZNS1_27merge_sort_block_merge_implIS3_N6thrust23THRUST_200600_302600_NS6detail15normal_iteratorINS9_10device_ptrIsEEEEPS5_jNS1_19radix_merge_compareILb0ELb1EsNS0_19identity_decomposerEEEEE10hipError_tT0_T1_T2_jT3_P12ihipStream_tbPNSt15iterator_traitsISK_E10value_typeEPNSQ_ISL_E10value_typeEPSM_NS1_7vsmem_tEENKUlT_SK_SL_SM_E_clISE_PsSF_SF_EESJ_SZ_SK_SL_SM_EUlSZ_E1_NS1_11comp_targetILNS1_3genE2ELNS1_11target_archE906ELNS1_3gpuE6ELNS1_3repE0EEENS1_36merge_oddeven_config_static_selectorELNS0_4arch9wavefront6targetE1EEEvSL_
                                        ; -- End function
	.section	.AMDGPU.csdata,"",@progbits
; Kernel info:
; codeLenInByte = 0
; NumSgprs: 6
; NumVgprs: 0
; NumAgprs: 0
; TotalNumVgprs: 0
; ScratchSize: 0
; MemoryBound: 0
; FloatMode: 240
; IeeeMode: 1
; LDSByteSize: 0 bytes/workgroup (compile time only)
; SGPRBlocks: 0
; VGPRBlocks: 0
; NumSGPRsForWavesPerEU: 6
; NumVGPRsForWavesPerEU: 1
; AccumOffset: 4
; Occupancy: 8
; WaveLimiterHint : 0
; COMPUTE_PGM_RSRC2:SCRATCH_EN: 0
; COMPUTE_PGM_RSRC2:USER_SGPR: 2
; COMPUTE_PGM_RSRC2:TRAP_HANDLER: 0
; COMPUTE_PGM_RSRC2:TGID_X_EN: 1
; COMPUTE_PGM_RSRC2:TGID_Y_EN: 0
; COMPUTE_PGM_RSRC2:TGID_Z_EN: 0
; COMPUTE_PGM_RSRC2:TIDIG_COMP_CNT: 0
; COMPUTE_PGM_RSRC3_GFX90A:ACCUM_OFFSET: 0
; COMPUTE_PGM_RSRC3_GFX90A:TG_SPLIT: 0
	.section	.text._ZN7rocprim17ROCPRIM_400000_NS6detail17trampoline_kernelINS0_14default_configENS1_38merge_sort_block_merge_config_selectorIsNS0_10empty_typeEEEZZNS1_27merge_sort_block_merge_implIS3_N6thrust23THRUST_200600_302600_NS6detail15normal_iteratorINS9_10device_ptrIsEEEEPS5_jNS1_19radix_merge_compareILb0ELb1EsNS0_19identity_decomposerEEEEE10hipError_tT0_T1_T2_jT3_P12ihipStream_tbPNSt15iterator_traitsISK_E10value_typeEPNSQ_ISL_E10value_typeEPSM_NS1_7vsmem_tEENKUlT_SK_SL_SM_E_clISE_PsSF_SF_EESJ_SZ_SK_SL_SM_EUlSZ_E1_NS1_11comp_targetILNS1_3genE9ELNS1_11target_archE1100ELNS1_3gpuE3ELNS1_3repE0EEENS1_36merge_oddeven_config_static_selectorELNS0_4arch9wavefront6targetE1EEEvSL_,"axG",@progbits,_ZN7rocprim17ROCPRIM_400000_NS6detail17trampoline_kernelINS0_14default_configENS1_38merge_sort_block_merge_config_selectorIsNS0_10empty_typeEEEZZNS1_27merge_sort_block_merge_implIS3_N6thrust23THRUST_200600_302600_NS6detail15normal_iteratorINS9_10device_ptrIsEEEEPS5_jNS1_19radix_merge_compareILb0ELb1EsNS0_19identity_decomposerEEEEE10hipError_tT0_T1_T2_jT3_P12ihipStream_tbPNSt15iterator_traitsISK_E10value_typeEPNSQ_ISL_E10value_typeEPSM_NS1_7vsmem_tEENKUlT_SK_SL_SM_E_clISE_PsSF_SF_EESJ_SZ_SK_SL_SM_EUlSZ_E1_NS1_11comp_targetILNS1_3genE9ELNS1_11target_archE1100ELNS1_3gpuE3ELNS1_3repE0EEENS1_36merge_oddeven_config_static_selectorELNS0_4arch9wavefront6targetE1EEEvSL_,comdat
	.protected	_ZN7rocprim17ROCPRIM_400000_NS6detail17trampoline_kernelINS0_14default_configENS1_38merge_sort_block_merge_config_selectorIsNS0_10empty_typeEEEZZNS1_27merge_sort_block_merge_implIS3_N6thrust23THRUST_200600_302600_NS6detail15normal_iteratorINS9_10device_ptrIsEEEEPS5_jNS1_19radix_merge_compareILb0ELb1EsNS0_19identity_decomposerEEEEE10hipError_tT0_T1_T2_jT3_P12ihipStream_tbPNSt15iterator_traitsISK_E10value_typeEPNSQ_ISL_E10value_typeEPSM_NS1_7vsmem_tEENKUlT_SK_SL_SM_E_clISE_PsSF_SF_EESJ_SZ_SK_SL_SM_EUlSZ_E1_NS1_11comp_targetILNS1_3genE9ELNS1_11target_archE1100ELNS1_3gpuE3ELNS1_3repE0EEENS1_36merge_oddeven_config_static_selectorELNS0_4arch9wavefront6targetE1EEEvSL_ ; -- Begin function _ZN7rocprim17ROCPRIM_400000_NS6detail17trampoline_kernelINS0_14default_configENS1_38merge_sort_block_merge_config_selectorIsNS0_10empty_typeEEEZZNS1_27merge_sort_block_merge_implIS3_N6thrust23THRUST_200600_302600_NS6detail15normal_iteratorINS9_10device_ptrIsEEEEPS5_jNS1_19radix_merge_compareILb0ELb1EsNS0_19identity_decomposerEEEEE10hipError_tT0_T1_T2_jT3_P12ihipStream_tbPNSt15iterator_traitsISK_E10value_typeEPNSQ_ISL_E10value_typeEPSM_NS1_7vsmem_tEENKUlT_SK_SL_SM_E_clISE_PsSF_SF_EESJ_SZ_SK_SL_SM_EUlSZ_E1_NS1_11comp_targetILNS1_3genE9ELNS1_11target_archE1100ELNS1_3gpuE3ELNS1_3repE0EEENS1_36merge_oddeven_config_static_selectorELNS0_4arch9wavefront6targetE1EEEvSL_
	.globl	_ZN7rocprim17ROCPRIM_400000_NS6detail17trampoline_kernelINS0_14default_configENS1_38merge_sort_block_merge_config_selectorIsNS0_10empty_typeEEEZZNS1_27merge_sort_block_merge_implIS3_N6thrust23THRUST_200600_302600_NS6detail15normal_iteratorINS9_10device_ptrIsEEEEPS5_jNS1_19radix_merge_compareILb0ELb1EsNS0_19identity_decomposerEEEEE10hipError_tT0_T1_T2_jT3_P12ihipStream_tbPNSt15iterator_traitsISK_E10value_typeEPNSQ_ISL_E10value_typeEPSM_NS1_7vsmem_tEENKUlT_SK_SL_SM_E_clISE_PsSF_SF_EESJ_SZ_SK_SL_SM_EUlSZ_E1_NS1_11comp_targetILNS1_3genE9ELNS1_11target_archE1100ELNS1_3gpuE3ELNS1_3repE0EEENS1_36merge_oddeven_config_static_selectorELNS0_4arch9wavefront6targetE1EEEvSL_
	.p2align	8
	.type	_ZN7rocprim17ROCPRIM_400000_NS6detail17trampoline_kernelINS0_14default_configENS1_38merge_sort_block_merge_config_selectorIsNS0_10empty_typeEEEZZNS1_27merge_sort_block_merge_implIS3_N6thrust23THRUST_200600_302600_NS6detail15normal_iteratorINS9_10device_ptrIsEEEEPS5_jNS1_19radix_merge_compareILb0ELb1EsNS0_19identity_decomposerEEEEE10hipError_tT0_T1_T2_jT3_P12ihipStream_tbPNSt15iterator_traitsISK_E10value_typeEPNSQ_ISL_E10value_typeEPSM_NS1_7vsmem_tEENKUlT_SK_SL_SM_E_clISE_PsSF_SF_EESJ_SZ_SK_SL_SM_EUlSZ_E1_NS1_11comp_targetILNS1_3genE9ELNS1_11target_archE1100ELNS1_3gpuE3ELNS1_3repE0EEENS1_36merge_oddeven_config_static_selectorELNS0_4arch9wavefront6targetE1EEEvSL_,@function
_ZN7rocprim17ROCPRIM_400000_NS6detail17trampoline_kernelINS0_14default_configENS1_38merge_sort_block_merge_config_selectorIsNS0_10empty_typeEEEZZNS1_27merge_sort_block_merge_implIS3_N6thrust23THRUST_200600_302600_NS6detail15normal_iteratorINS9_10device_ptrIsEEEEPS5_jNS1_19radix_merge_compareILb0ELb1EsNS0_19identity_decomposerEEEEE10hipError_tT0_T1_T2_jT3_P12ihipStream_tbPNSt15iterator_traitsISK_E10value_typeEPNSQ_ISL_E10value_typeEPSM_NS1_7vsmem_tEENKUlT_SK_SL_SM_E_clISE_PsSF_SF_EESJ_SZ_SK_SL_SM_EUlSZ_E1_NS1_11comp_targetILNS1_3genE9ELNS1_11target_archE1100ELNS1_3gpuE3ELNS1_3repE0EEENS1_36merge_oddeven_config_static_selectorELNS0_4arch9wavefront6targetE1EEEvSL_: ; @_ZN7rocprim17ROCPRIM_400000_NS6detail17trampoline_kernelINS0_14default_configENS1_38merge_sort_block_merge_config_selectorIsNS0_10empty_typeEEEZZNS1_27merge_sort_block_merge_implIS3_N6thrust23THRUST_200600_302600_NS6detail15normal_iteratorINS9_10device_ptrIsEEEEPS5_jNS1_19radix_merge_compareILb0ELb1EsNS0_19identity_decomposerEEEEE10hipError_tT0_T1_T2_jT3_P12ihipStream_tbPNSt15iterator_traitsISK_E10value_typeEPNSQ_ISL_E10value_typeEPSM_NS1_7vsmem_tEENKUlT_SK_SL_SM_E_clISE_PsSF_SF_EESJ_SZ_SK_SL_SM_EUlSZ_E1_NS1_11comp_targetILNS1_3genE9ELNS1_11target_archE1100ELNS1_3gpuE3ELNS1_3repE0EEENS1_36merge_oddeven_config_static_selectorELNS0_4arch9wavefront6targetE1EEEvSL_
; %bb.0:
	.section	.rodata,"a",@progbits
	.p2align	6, 0x0
	.amdhsa_kernel _ZN7rocprim17ROCPRIM_400000_NS6detail17trampoline_kernelINS0_14default_configENS1_38merge_sort_block_merge_config_selectorIsNS0_10empty_typeEEEZZNS1_27merge_sort_block_merge_implIS3_N6thrust23THRUST_200600_302600_NS6detail15normal_iteratorINS9_10device_ptrIsEEEEPS5_jNS1_19radix_merge_compareILb0ELb1EsNS0_19identity_decomposerEEEEE10hipError_tT0_T1_T2_jT3_P12ihipStream_tbPNSt15iterator_traitsISK_E10value_typeEPNSQ_ISL_E10value_typeEPSM_NS1_7vsmem_tEENKUlT_SK_SL_SM_E_clISE_PsSF_SF_EESJ_SZ_SK_SL_SM_EUlSZ_E1_NS1_11comp_targetILNS1_3genE9ELNS1_11target_archE1100ELNS1_3gpuE3ELNS1_3repE0EEENS1_36merge_oddeven_config_static_selectorELNS0_4arch9wavefront6targetE1EEEvSL_
		.amdhsa_group_segment_fixed_size 0
		.amdhsa_private_segment_fixed_size 0
		.amdhsa_kernarg_size 48
		.amdhsa_user_sgpr_count 2
		.amdhsa_user_sgpr_dispatch_ptr 0
		.amdhsa_user_sgpr_queue_ptr 0
		.amdhsa_user_sgpr_kernarg_segment_ptr 1
		.amdhsa_user_sgpr_dispatch_id 0
		.amdhsa_user_sgpr_kernarg_preload_length 0
		.amdhsa_user_sgpr_kernarg_preload_offset 0
		.amdhsa_user_sgpr_private_segment_size 0
		.amdhsa_uses_dynamic_stack 0
		.amdhsa_enable_private_segment 0
		.amdhsa_system_sgpr_workgroup_id_x 1
		.amdhsa_system_sgpr_workgroup_id_y 0
		.amdhsa_system_sgpr_workgroup_id_z 0
		.amdhsa_system_sgpr_workgroup_info 0
		.amdhsa_system_vgpr_workitem_id 0
		.amdhsa_next_free_vgpr 1
		.amdhsa_next_free_sgpr 0
		.amdhsa_accum_offset 4
		.amdhsa_reserve_vcc 0
		.amdhsa_float_round_mode_32 0
		.amdhsa_float_round_mode_16_64 0
		.amdhsa_float_denorm_mode_32 3
		.amdhsa_float_denorm_mode_16_64 3
		.amdhsa_dx10_clamp 1
		.amdhsa_ieee_mode 1
		.amdhsa_fp16_overflow 0
		.amdhsa_tg_split 0
		.amdhsa_exception_fp_ieee_invalid_op 0
		.amdhsa_exception_fp_denorm_src 0
		.amdhsa_exception_fp_ieee_div_zero 0
		.amdhsa_exception_fp_ieee_overflow 0
		.amdhsa_exception_fp_ieee_underflow 0
		.amdhsa_exception_fp_ieee_inexact 0
		.amdhsa_exception_int_div_zero 0
	.end_amdhsa_kernel
	.section	.text._ZN7rocprim17ROCPRIM_400000_NS6detail17trampoline_kernelINS0_14default_configENS1_38merge_sort_block_merge_config_selectorIsNS0_10empty_typeEEEZZNS1_27merge_sort_block_merge_implIS3_N6thrust23THRUST_200600_302600_NS6detail15normal_iteratorINS9_10device_ptrIsEEEEPS5_jNS1_19radix_merge_compareILb0ELb1EsNS0_19identity_decomposerEEEEE10hipError_tT0_T1_T2_jT3_P12ihipStream_tbPNSt15iterator_traitsISK_E10value_typeEPNSQ_ISL_E10value_typeEPSM_NS1_7vsmem_tEENKUlT_SK_SL_SM_E_clISE_PsSF_SF_EESJ_SZ_SK_SL_SM_EUlSZ_E1_NS1_11comp_targetILNS1_3genE9ELNS1_11target_archE1100ELNS1_3gpuE3ELNS1_3repE0EEENS1_36merge_oddeven_config_static_selectorELNS0_4arch9wavefront6targetE1EEEvSL_,"axG",@progbits,_ZN7rocprim17ROCPRIM_400000_NS6detail17trampoline_kernelINS0_14default_configENS1_38merge_sort_block_merge_config_selectorIsNS0_10empty_typeEEEZZNS1_27merge_sort_block_merge_implIS3_N6thrust23THRUST_200600_302600_NS6detail15normal_iteratorINS9_10device_ptrIsEEEEPS5_jNS1_19radix_merge_compareILb0ELb1EsNS0_19identity_decomposerEEEEE10hipError_tT0_T1_T2_jT3_P12ihipStream_tbPNSt15iterator_traitsISK_E10value_typeEPNSQ_ISL_E10value_typeEPSM_NS1_7vsmem_tEENKUlT_SK_SL_SM_E_clISE_PsSF_SF_EESJ_SZ_SK_SL_SM_EUlSZ_E1_NS1_11comp_targetILNS1_3genE9ELNS1_11target_archE1100ELNS1_3gpuE3ELNS1_3repE0EEENS1_36merge_oddeven_config_static_selectorELNS0_4arch9wavefront6targetE1EEEvSL_,comdat
.Lfunc_end1921:
	.size	_ZN7rocprim17ROCPRIM_400000_NS6detail17trampoline_kernelINS0_14default_configENS1_38merge_sort_block_merge_config_selectorIsNS0_10empty_typeEEEZZNS1_27merge_sort_block_merge_implIS3_N6thrust23THRUST_200600_302600_NS6detail15normal_iteratorINS9_10device_ptrIsEEEEPS5_jNS1_19radix_merge_compareILb0ELb1EsNS0_19identity_decomposerEEEEE10hipError_tT0_T1_T2_jT3_P12ihipStream_tbPNSt15iterator_traitsISK_E10value_typeEPNSQ_ISL_E10value_typeEPSM_NS1_7vsmem_tEENKUlT_SK_SL_SM_E_clISE_PsSF_SF_EESJ_SZ_SK_SL_SM_EUlSZ_E1_NS1_11comp_targetILNS1_3genE9ELNS1_11target_archE1100ELNS1_3gpuE3ELNS1_3repE0EEENS1_36merge_oddeven_config_static_selectorELNS0_4arch9wavefront6targetE1EEEvSL_, .Lfunc_end1921-_ZN7rocprim17ROCPRIM_400000_NS6detail17trampoline_kernelINS0_14default_configENS1_38merge_sort_block_merge_config_selectorIsNS0_10empty_typeEEEZZNS1_27merge_sort_block_merge_implIS3_N6thrust23THRUST_200600_302600_NS6detail15normal_iteratorINS9_10device_ptrIsEEEEPS5_jNS1_19radix_merge_compareILb0ELb1EsNS0_19identity_decomposerEEEEE10hipError_tT0_T1_T2_jT3_P12ihipStream_tbPNSt15iterator_traitsISK_E10value_typeEPNSQ_ISL_E10value_typeEPSM_NS1_7vsmem_tEENKUlT_SK_SL_SM_E_clISE_PsSF_SF_EESJ_SZ_SK_SL_SM_EUlSZ_E1_NS1_11comp_targetILNS1_3genE9ELNS1_11target_archE1100ELNS1_3gpuE3ELNS1_3repE0EEENS1_36merge_oddeven_config_static_selectorELNS0_4arch9wavefront6targetE1EEEvSL_
                                        ; -- End function
	.section	.AMDGPU.csdata,"",@progbits
; Kernel info:
; codeLenInByte = 0
; NumSgprs: 6
; NumVgprs: 0
; NumAgprs: 0
; TotalNumVgprs: 0
; ScratchSize: 0
; MemoryBound: 0
; FloatMode: 240
; IeeeMode: 1
; LDSByteSize: 0 bytes/workgroup (compile time only)
; SGPRBlocks: 0
; VGPRBlocks: 0
; NumSGPRsForWavesPerEU: 6
; NumVGPRsForWavesPerEU: 1
; AccumOffset: 4
; Occupancy: 8
; WaveLimiterHint : 0
; COMPUTE_PGM_RSRC2:SCRATCH_EN: 0
; COMPUTE_PGM_RSRC2:USER_SGPR: 2
; COMPUTE_PGM_RSRC2:TRAP_HANDLER: 0
; COMPUTE_PGM_RSRC2:TGID_X_EN: 1
; COMPUTE_PGM_RSRC2:TGID_Y_EN: 0
; COMPUTE_PGM_RSRC2:TGID_Z_EN: 0
; COMPUTE_PGM_RSRC2:TIDIG_COMP_CNT: 0
; COMPUTE_PGM_RSRC3_GFX90A:ACCUM_OFFSET: 0
; COMPUTE_PGM_RSRC3_GFX90A:TG_SPLIT: 0
	.section	.text._ZN7rocprim17ROCPRIM_400000_NS6detail17trampoline_kernelINS0_14default_configENS1_38merge_sort_block_merge_config_selectorIsNS0_10empty_typeEEEZZNS1_27merge_sort_block_merge_implIS3_N6thrust23THRUST_200600_302600_NS6detail15normal_iteratorINS9_10device_ptrIsEEEEPS5_jNS1_19radix_merge_compareILb0ELb1EsNS0_19identity_decomposerEEEEE10hipError_tT0_T1_T2_jT3_P12ihipStream_tbPNSt15iterator_traitsISK_E10value_typeEPNSQ_ISL_E10value_typeEPSM_NS1_7vsmem_tEENKUlT_SK_SL_SM_E_clISE_PsSF_SF_EESJ_SZ_SK_SL_SM_EUlSZ_E1_NS1_11comp_targetILNS1_3genE8ELNS1_11target_archE1030ELNS1_3gpuE2ELNS1_3repE0EEENS1_36merge_oddeven_config_static_selectorELNS0_4arch9wavefront6targetE1EEEvSL_,"axG",@progbits,_ZN7rocprim17ROCPRIM_400000_NS6detail17trampoline_kernelINS0_14default_configENS1_38merge_sort_block_merge_config_selectorIsNS0_10empty_typeEEEZZNS1_27merge_sort_block_merge_implIS3_N6thrust23THRUST_200600_302600_NS6detail15normal_iteratorINS9_10device_ptrIsEEEEPS5_jNS1_19radix_merge_compareILb0ELb1EsNS0_19identity_decomposerEEEEE10hipError_tT0_T1_T2_jT3_P12ihipStream_tbPNSt15iterator_traitsISK_E10value_typeEPNSQ_ISL_E10value_typeEPSM_NS1_7vsmem_tEENKUlT_SK_SL_SM_E_clISE_PsSF_SF_EESJ_SZ_SK_SL_SM_EUlSZ_E1_NS1_11comp_targetILNS1_3genE8ELNS1_11target_archE1030ELNS1_3gpuE2ELNS1_3repE0EEENS1_36merge_oddeven_config_static_selectorELNS0_4arch9wavefront6targetE1EEEvSL_,comdat
	.protected	_ZN7rocprim17ROCPRIM_400000_NS6detail17trampoline_kernelINS0_14default_configENS1_38merge_sort_block_merge_config_selectorIsNS0_10empty_typeEEEZZNS1_27merge_sort_block_merge_implIS3_N6thrust23THRUST_200600_302600_NS6detail15normal_iteratorINS9_10device_ptrIsEEEEPS5_jNS1_19radix_merge_compareILb0ELb1EsNS0_19identity_decomposerEEEEE10hipError_tT0_T1_T2_jT3_P12ihipStream_tbPNSt15iterator_traitsISK_E10value_typeEPNSQ_ISL_E10value_typeEPSM_NS1_7vsmem_tEENKUlT_SK_SL_SM_E_clISE_PsSF_SF_EESJ_SZ_SK_SL_SM_EUlSZ_E1_NS1_11comp_targetILNS1_3genE8ELNS1_11target_archE1030ELNS1_3gpuE2ELNS1_3repE0EEENS1_36merge_oddeven_config_static_selectorELNS0_4arch9wavefront6targetE1EEEvSL_ ; -- Begin function _ZN7rocprim17ROCPRIM_400000_NS6detail17trampoline_kernelINS0_14default_configENS1_38merge_sort_block_merge_config_selectorIsNS0_10empty_typeEEEZZNS1_27merge_sort_block_merge_implIS3_N6thrust23THRUST_200600_302600_NS6detail15normal_iteratorINS9_10device_ptrIsEEEEPS5_jNS1_19radix_merge_compareILb0ELb1EsNS0_19identity_decomposerEEEEE10hipError_tT0_T1_T2_jT3_P12ihipStream_tbPNSt15iterator_traitsISK_E10value_typeEPNSQ_ISL_E10value_typeEPSM_NS1_7vsmem_tEENKUlT_SK_SL_SM_E_clISE_PsSF_SF_EESJ_SZ_SK_SL_SM_EUlSZ_E1_NS1_11comp_targetILNS1_3genE8ELNS1_11target_archE1030ELNS1_3gpuE2ELNS1_3repE0EEENS1_36merge_oddeven_config_static_selectorELNS0_4arch9wavefront6targetE1EEEvSL_
	.globl	_ZN7rocprim17ROCPRIM_400000_NS6detail17trampoline_kernelINS0_14default_configENS1_38merge_sort_block_merge_config_selectorIsNS0_10empty_typeEEEZZNS1_27merge_sort_block_merge_implIS3_N6thrust23THRUST_200600_302600_NS6detail15normal_iteratorINS9_10device_ptrIsEEEEPS5_jNS1_19radix_merge_compareILb0ELb1EsNS0_19identity_decomposerEEEEE10hipError_tT0_T1_T2_jT3_P12ihipStream_tbPNSt15iterator_traitsISK_E10value_typeEPNSQ_ISL_E10value_typeEPSM_NS1_7vsmem_tEENKUlT_SK_SL_SM_E_clISE_PsSF_SF_EESJ_SZ_SK_SL_SM_EUlSZ_E1_NS1_11comp_targetILNS1_3genE8ELNS1_11target_archE1030ELNS1_3gpuE2ELNS1_3repE0EEENS1_36merge_oddeven_config_static_selectorELNS0_4arch9wavefront6targetE1EEEvSL_
	.p2align	8
	.type	_ZN7rocprim17ROCPRIM_400000_NS6detail17trampoline_kernelINS0_14default_configENS1_38merge_sort_block_merge_config_selectorIsNS0_10empty_typeEEEZZNS1_27merge_sort_block_merge_implIS3_N6thrust23THRUST_200600_302600_NS6detail15normal_iteratorINS9_10device_ptrIsEEEEPS5_jNS1_19radix_merge_compareILb0ELb1EsNS0_19identity_decomposerEEEEE10hipError_tT0_T1_T2_jT3_P12ihipStream_tbPNSt15iterator_traitsISK_E10value_typeEPNSQ_ISL_E10value_typeEPSM_NS1_7vsmem_tEENKUlT_SK_SL_SM_E_clISE_PsSF_SF_EESJ_SZ_SK_SL_SM_EUlSZ_E1_NS1_11comp_targetILNS1_3genE8ELNS1_11target_archE1030ELNS1_3gpuE2ELNS1_3repE0EEENS1_36merge_oddeven_config_static_selectorELNS0_4arch9wavefront6targetE1EEEvSL_,@function
_ZN7rocprim17ROCPRIM_400000_NS6detail17trampoline_kernelINS0_14default_configENS1_38merge_sort_block_merge_config_selectorIsNS0_10empty_typeEEEZZNS1_27merge_sort_block_merge_implIS3_N6thrust23THRUST_200600_302600_NS6detail15normal_iteratorINS9_10device_ptrIsEEEEPS5_jNS1_19radix_merge_compareILb0ELb1EsNS0_19identity_decomposerEEEEE10hipError_tT0_T1_T2_jT3_P12ihipStream_tbPNSt15iterator_traitsISK_E10value_typeEPNSQ_ISL_E10value_typeEPSM_NS1_7vsmem_tEENKUlT_SK_SL_SM_E_clISE_PsSF_SF_EESJ_SZ_SK_SL_SM_EUlSZ_E1_NS1_11comp_targetILNS1_3genE8ELNS1_11target_archE1030ELNS1_3gpuE2ELNS1_3repE0EEENS1_36merge_oddeven_config_static_selectorELNS0_4arch9wavefront6targetE1EEEvSL_: ; @_ZN7rocprim17ROCPRIM_400000_NS6detail17trampoline_kernelINS0_14default_configENS1_38merge_sort_block_merge_config_selectorIsNS0_10empty_typeEEEZZNS1_27merge_sort_block_merge_implIS3_N6thrust23THRUST_200600_302600_NS6detail15normal_iteratorINS9_10device_ptrIsEEEEPS5_jNS1_19radix_merge_compareILb0ELb1EsNS0_19identity_decomposerEEEEE10hipError_tT0_T1_T2_jT3_P12ihipStream_tbPNSt15iterator_traitsISK_E10value_typeEPNSQ_ISL_E10value_typeEPSM_NS1_7vsmem_tEENKUlT_SK_SL_SM_E_clISE_PsSF_SF_EESJ_SZ_SK_SL_SM_EUlSZ_E1_NS1_11comp_targetILNS1_3genE8ELNS1_11target_archE1030ELNS1_3gpuE2ELNS1_3repE0EEENS1_36merge_oddeven_config_static_selectorELNS0_4arch9wavefront6targetE1EEEvSL_
; %bb.0:
	.section	.rodata,"a",@progbits
	.p2align	6, 0x0
	.amdhsa_kernel _ZN7rocprim17ROCPRIM_400000_NS6detail17trampoline_kernelINS0_14default_configENS1_38merge_sort_block_merge_config_selectorIsNS0_10empty_typeEEEZZNS1_27merge_sort_block_merge_implIS3_N6thrust23THRUST_200600_302600_NS6detail15normal_iteratorINS9_10device_ptrIsEEEEPS5_jNS1_19radix_merge_compareILb0ELb1EsNS0_19identity_decomposerEEEEE10hipError_tT0_T1_T2_jT3_P12ihipStream_tbPNSt15iterator_traitsISK_E10value_typeEPNSQ_ISL_E10value_typeEPSM_NS1_7vsmem_tEENKUlT_SK_SL_SM_E_clISE_PsSF_SF_EESJ_SZ_SK_SL_SM_EUlSZ_E1_NS1_11comp_targetILNS1_3genE8ELNS1_11target_archE1030ELNS1_3gpuE2ELNS1_3repE0EEENS1_36merge_oddeven_config_static_selectorELNS0_4arch9wavefront6targetE1EEEvSL_
		.amdhsa_group_segment_fixed_size 0
		.amdhsa_private_segment_fixed_size 0
		.amdhsa_kernarg_size 48
		.amdhsa_user_sgpr_count 2
		.amdhsa_user_sgpr_dispatch_ptr 0
		.amdhsa_user_sgpr_queue_ptr 0
		.amdhsa_user_sgpr_kernarg_segment_ptr 1
		.amdhsa_user_sgpr_dispatch_id 0
		.amdhsa_user_sgpr_kernarg_preload_length 0
		.amdhsa_user_sgpr_kernarg_preload_offset 0
		.amdhsa_user_sgpr_private_segment_size 0
		.amdhsa_uses_dynamic_stack 0
		.amdhsa_enable_private_segment 0
		.amdhsa_system_sgpr_workgroup_id_x 1
		.amdhsa_system_sgpr_workgroup_id_y 0
		.amdhsa_system_sgpr_workgroup_id_z 0
		.amdhsa_system_sgpr_workgroup_info 0
		.amdhsa_system_vgpr_workitem_id 0
		.amdhsa_next_free_vgpr 1
		.amdhsa_next_free_sgpr 0
		.amdhsa_accum_offset 4
		.amdhsa_reserve_vcc 0
		.amdhsa_float_round_mode_32 0
		.amdhsa_float_round_mode_16_64 0
		.amdhsa_float_denorm_mode_32 3
		.amdhsa_float_denorm_mode_16_64 3
		.amdhsa_dx10_clamp 1
		.amdhsa_ieee_mode 1
		.amdhsa_fp16_overflow 0
		.amdhsa_tg_split 0
		.amdhsa_exception_fp_ieee_invalid_op 0
		.amdhsa_exception_fp_denorm_src 0
		.amdhsa_exception_fp_ieee_div_zero 0
		.amdhsa_exception_fp_ieee_overflow 0
		.amdhsa_exception_fp_ieee_underflow 0
		.amdhsa_exception_fp_ieee_inexact 0
		.amdhsa_exception_int_div_zero 0
	.end_amdhsa_kernel
	.section	.text._ZN7rocprim17ROCPRIM_400000_NS6detail17trampoline_kernelINS0_14default_configENS1_38merge_sort_block_merge_config_selectorIsNS0_10empty_typeEEEZZNS1_27merge_sort_block_merge_implIS3_N6thrust23THRUST_200600_302600_NS6detail15normal_iteratorINS9_10device_ptrIsEEEEPS5_jNS1_19radix_merge_compareILb0ELb1EsNS0_19identity_decomposerEEEEE10hipError_tT0_T1_T2_jT3_P12ihipStream_tbPNSt15iterator_traitsISK_E10value_typeEPNSQ_ISL_E10value_typeEPSM_NS1_7vsmem_tEENKUlT_SK_SL_SM_E_clISE_PsSF_SF_EESJ_SZ_SK_SL_SM_EUlSZ_E1_NS1_11comp_targetILNS1_3genE8ELNS1_11target_archE1030ELNS1_3gpuE2ELNS1_3repE0EEENS1_36merge_oddeven_config_static_selectorELNS0_4arch9wavefront6targetE1EEEvSL_,"axG",@progbits,_ZN7rocprim17ROCPRIM_400000_NS6detail17trampoline_kernelINS0_14default_configENS1_38merge_sort_block_merge_config_selectorIsNS0_10empty_typeEEEZZNS1_27merge_sort_block_merge_implIS3_N6thrust23THRUST_200600_302600_NS6detail15normal_iteratorINS9_10device_ptrIsEEEEPS5_jNS1_19radix_merge_compareILb0ELb1EsNS0_19identity_decomposerEEEEE10hipError_tT0_T1_T2_jT3_P12ihipStream_tbPNSt15iterator_traitsISK_E10value_typeEPNSQ_ISL_E10value_typeEPSM_NS1_7vsmem_tEENKUlT_SK_SL_SM_E_clISE_PsSF_SF_EESJ_SZ_SK_SL_SM_EUlSZ_E1_NS1_11comp_targetILNS1_3genE8ELNS1_11target_archE1030ELNS1_3gpuE2ELNS1_3repE0EEENS1_36merge_oddeven_config_static_selectorELNS0_4arch9wavefront6targetE1EEEvSL_,comdat
.Lfunc_end1922:
	.size	_ZN7rocprim17ROCPRIM_400000_NS6detail17trampoline_kernelINS0_14default_configENS1_38merge_sort_block_merge_config_selectorIsNS0_10empty_typeEEEZZNS1_27merge_sort_block_merge_implIS3_N6thrust23THRUST_200600_302600_NS6detail15normal_iteratorINS9_10device_ptrIsEEEEPS5_jNS1_19radix_merge_compareILb0ELb1EsNS0_19identity_decomposerEEEEE10hipError_tT0_T1_T2_jT3_P12ihipStream_tbPNSt15iterator_traitsISK_E10value_typeEPNSQ_ISL_E10value_typeEPSM_NS1_7vsmem_tEENKUlT_SK_SL_SM_E_clISE_PsSF_SF_EESJ_SZ_SK_SL_SM_EUlSZ_E1_NS1_11comp_targetILNS1_3genE8ELNS1_11target_archE1030ELNS1_3gpuE2ELNS1_3repE0EEENS1_36merge_oddeven_config_static_selectorELNS0_4arch9wavefront6targetE1EEEvSL_, .Lfunc_end1922-_ZN7rocprim17ROCPRIM_400000_NS6detail17trampoline_kernelINS0_14default_configENS1_38merge_sort_block_merge_config_selectorIsNS0_10empty_typeEEEZZNS1_27merge_sort_block_merge_implIS3_N6thrust23THRUST_200600_302600_NS6detail15normal_iteratorINS9_10device_ptrIsEEEEPS5_jNS1_19radix_merge_compareILb0ELb1EsNS0_19identity_decomposerEEEEE10hipError_tT0_T1_T2_jT3_P12ihipStream_tbPNSt15iterator_traitsISK_E10value_typeEPNSQ_ISL_E10value_typeEPSM_NS1_7vsmem_tEENKUlT_SK_SL_SM_E_clISE_PsSF_SF_EESJ_SZ_SK_SL_SM_EUlSZ_E1_NS1_11comp_targetILNS1_3genE8ELNS1_11target_archE1030ELNS1_3gpuE2ELNS1_3repE0EEENS1_36merge_oddeven_config_static_selectorELNS0_4arch9wavefront6targetE1EEEvSL_
                                        ; -- End function
	.section	.AMDGPU.csdata,"",@progbits
; Kernel info:
; codeLenInByte = 0
; NumSgprs: 6
; NumVgprs: 0
; NumAgprs: 0
; TotalNumVgprs: 0
; ScratchSize: 0
; MemoryBound: 0
; FloatMode: 240
; IeeeMode: 1
; LDSByteSize: 0 bytes/workgroup (compile time only)
; SGPRBlocks: 0
; VGPRBlocks: 0
; NumSGPRsForWavesPerEU: 6
; NumVGPRsForWavesPerEU: 1
; AccumOffset: 4
; Occupancy: 8
; WaveLimiterHint : 0
; COMPUTE_PGM_RSRC2:SCRATCH_EN: 0
; COMPUTE_PGM_RSRC2:USER_SGPR: 2
; COMPUTE_PGM_RSRC2:TRAP_HANDLER: 0
; COMPUTE_PGM_RSRC2:TGID_X_EN: 1
; COMPUTE_PGM_RSRC2:TGID_Y_EN: 0
; COMPUTE_PGM_RSRC2:TGID_Z_EN: 0
; COMPUTE_PGM_RSRC2:TIDIG_COMP_CNT: 0
; COMPUTE_PGM_RSRC3_GFX90A:ACCUM_OFFSET: 0
; COMPUTE_PGM_RSRC3_GFX90A:TG_SPLIT: 0
	.section	.text._ZN7rocprim17ROCPRIM_400000_NS6detail17trampoline_kernelINS0_14default_configENS1_35radix_sort_onesweep_config_selectorIsNS0_10empty_typeEEEZNS1_34radix_sort_onesweep_global_offsetsIS3_Lb0EN6thrust23THRUST_200600_302600_NS6detail15normal_iteratorINS9_10device_ptrIsEEEEPS5_jNS0_19identity_decomposerEEE10hipError_tT1_T2_PT3_SK_jT4_jjP12ihipStream_tbEUlT_E_NS1_11comp_targetILNS1_3genE0ELNS1_11target_archE4294967295ELNS1_3gpuE0ELNS1_3repE0EEENS1_52radix_sort_onesweep_histogram_config_static_selectorELNS0_4arch9wavefront6targetE1EEEvSI_,"axG",@progbits,_ZN7rocprim17ROCPRIM_400000_NS6detail17trampoline_kernelINS0_14default_configENS1_35radix_sort_onesweep_config_selectorIsNS0_10empty_typeEEEZNS1_34radix_sort_onesweep_global_offsetsIS3_Lb0EN6thrust23THRUST_200600_302600_NS6detail15normal_iteratorINS9_10device_ptrIsEEEEPS5_jNS0_19identity_decomposerEEE10hipError_tT1_T2_PT3_SK_jT4_jjP12ihipStream_tbEUlT_E_NS1_11comp_targetILNS1_3genE0ELNS1_11target_archE4294967295ELNS1_3gpuE0ELNS1_3repE0EEENS1_52radix_sort_onesweep_histogram_config_static_selectorELNS0_4arch9wavefront6targetE1EEEvSI_,comdat
	.protected	_ZN7rocprim17ROCPRIM_400000_NS6detail17trampoline_kernelINS0_14default_configENS1_35radix_sort_onesweep_config_selectorIsNS0_10empty_typeEEEZNS1_34radix_sort_onesweep_global_offsetsIS3_Lb0EN6thrust23THRUST_200600_302600_NS6detail15normal_iteratorINS9_10device_ptrIsEEEEPS5_jNS0_19identity_decomposerEEE10hipError_tT1_T2_PT3_SK_jT4_jjP12ihipStream_tbEUlT_E_NS1_11comp_targetILNS1_3genE0ELNS1_11target_archE4294967295ELNS1_3gpuE0ELNS1_3repE0EEENS1_52radix_sort_onesweep_histogram_config_static_selectorELNS0_4arch9wavefront6targetE1EEEvSI_ ; -- Begin function _ZN7rocprim17ROCPRIM_400000_NS6detail17trampoline_kernelINS0_14default_configENS1_35radix_sort_onesweep_config_selectorIsNS0_10empty_typeEEEZNS1_34radix_sort_onesweep_global_offsetsIS3_Lb0EN6thrust23THRUST_200600_302600_NS6detail15normal_iteratorINS9_10device_ptrIsEEEEPS5_jNS0_19identity_decomposerEEE10hipError_tT1_T2_PT3_SK_jT4_jjP12ihipStream_tbEUlT_E_NS1_11comp_targetILNS1_3genE0ELNS1_11target_archE4294967295ELNS1_3gpuE0ELNS1_3repE0EEENS1_52radix_sort_onesweep_histogram_config_static_selectorELNS0_4arch9wavefront6targetE1EEEvSI_
	.globl	_ZN7rocprim17ROCPRIM_400000_NS6detail17trampoline_kernelINS0_14default_configENS1_35radix_sort_onesweep_config_selectorIsNS0_10empty_typeEEEZNS1_34radix_sort_onesweep_global_offsetsIS3_Lb0EN6thrust23THRUST_200600_302600_NS6detail15normal_iteratorINS9_10device_ptrIsEEEEPS5_jNS0_19identity_decomposerEEE10hipError_tT1_T2_PT3_SK_jT4_jjP12ihipStream_tbEUlT_E_NS1_11comp_targetILNS1_3genE0ELNS1_11target_archE4294967295ELNS1_3gpuE0ELNS1_3repE0EEENS1_52radix_sort_onesweep_histogram_config_static_selectorELNS0_4arch9wavefront6targetE1EEEvSI_
	.p2align	8
	.type	_ZN7rocprim17ROCPRIM_400000_NS6detail17trampoline_kernelINS0_14default_configENS1_35radix_sort_onesweep_config_selectorIsNS0_10empty_typeEEEZNS1_34radix_sort_onesweep_global_offsetsIS3_Lb0EN6thrust23THRUST_200600_302600_NS6detail15normal_iteratorINS9_10device_ptrIsEEEEPS5_jNS0_19identity_decomposerEEE10hipError_tT1_T2_PT3_SK_jT4_jjP12ihipStream_tbEUlT_E_NS1_11comp_targetILNS1_3genE0ELNS1_11target_archE4294967295ELNS1_3gpuE0ELNS1_3repE0EEENS1_52radix_sort_onesweep_histogram_config_static_selectorELNS0_4arch9wavefront6targetE1EEEvSI_,@function
_ZN7rocprim17ROCPRIM_400000_NS6detail17trampoline_kernelINS0_14default_configENS1_35radix_sort_onesweep_config_selectorIsNS0_10empty_typeEEEZNS1_34radix_sort_onesweep_global_offsetsIS3_Lb0EN6thrust23THRUST_200600_302600_NS6detail15normal_iteratorINS9_10device_ptrIsEEEEPS5_jNS0_19identity_decomposerEEE10hipError_tT1_T2_PT3_SK_jT4_jjP12ihipStream_tbEUlT_E_NS1_11comp_targetILNS1_3genE0ELNS1_11target_archE4294967295ELNS1_3gpuE0ELNS1_3repE0EEENS1_52radix_sort_onesweep_histogram_config_static_selectorELNS0_4arch9wavefront6targetE1EEEvSI_: ; @_ZN7rocprim17ROCPRIM_400000_NS6detail17trampoline_kernelINS0_14default_configENS1_35radix_sort_onesweep_config_selectorIsNS0_10empty_typeEEEZNS1_34radix_sort_onesweep_global_offsetsIS3_Lb0EN6thrust23THRUST_200600_302600_NS6detail15normal_iteratorINS9_10device_ptrIsEEEEPS5_jNS0_19identity_decomposerEEE10hipError_tT1_T2_PT3_SK_jT4_jjP12ihipStream_tbEUlT_E_NS1_11comp_targetILNS1_3genE0ELNS1_11target_archE4294967295ELNS1_3gpuE0ELNS1_3repE0EEENS1_52radix_sort_onesweep_histogram_config_static_selectorELNS0_4arch9wavefront6targetE1EEEvSI_
; %bb.0:
	.section	.rodata,"a",@progbits
	.p2align	6, 0x0
	.amdhsa_kernel _ZN7rocprim17ROCPRIM_400000_NS6detail17trampoline_kernelINS0_14default_configENS1_35radix_sort_onesweep_config_selectorIsNS0_10empty_typeEEEZNS1_34radix_sort_onesweep_global_offsetsIS3_Lb0EN6thrust23THRUST_200600_302600_NS6detail15normal_iteratorINS9_10device_ptrIsEEEEPS5_jNS0_19identity_decomposerEEE10hipError_tT1_T2_PT3_SK_jT4_jjP12ihipStream_tbEUlT_E_NS1_11comp_targetILNS1_3genE0ELNS1_11target_archE4294967295ELNS1_3gpuE0ELNS1_3repE0EEENS1_52radix_sort_onesweep_histogram_config_static_selectorELNS0_4arch9wavefront6targetE1EEEvSI_
		.amdhsa_group_segment_fixed_size 0
		.amdhsa_private_segment_fixed_size 0
		.amdhsa_kernarg_size 40
		.amdhsa_user_sgpr_count 2
		.amdhsa_user_sgpr_dispatch_ptr 0
		.amdhsa_user_sgpr_queue_ptr 0
		.amdhsa_user_sgpr_kernarg_segment_ptr 1
		.amdhsa_user_sgpr_dispatch_id 0
		.amdhsa_user_sgpr_kernarg_preload_length 0
		.amdhsa_user_sgpr_kernarg_preload_offset 0
		.amdhsa_user_sgpr_private_segment_size 0
		.amdhsa_uses_dynamic_stack 0
		.amdhsa_enable_private_segment 0
		.amdhsa_system_sgpr_workgroup_id_x 1
		.amdhsa_system_sgpr_workgroup_id_y 0
		.amdhsa_system_sgpr_workgroup_id_z 0
		.amdhsa_system_sgpr_workgroup_info 0
		.amdhsa_system_vgpr_workitem_id 0
		.amdhsa_next_free_vgpr 1
		.amdhsa_next_free_sgpr 0
		.amdhsa_accum_offset 4
		.amdhsa_reserve_vcc 0
		.amdhsa_float_round_mode_32 0
		.amdhsa_float_round_mode_16_64 0
		.amdhsa_float_denorm_mode_32 3
		.amdhsa_float_denorm_mode_16_64 3
		.amdhsa_dx10_clamp 1
		.amdhsa_ieee_mode 1
		.amdhsa_fp16_overflow 0
		.amdhsa_tg_split 0
		.amdhsa_exception_fp_ieee_invalid_op 0
		.amdhsa_exception_fp_denorm_src 0
		.amdhsa_exception_fp_ieee_div_zero 0
		.amdhsa_exception_fp_ieee_overflow 0
		.amdhsa_exception_fp_ieee_underflow 0
		.amdhsa_exception_fp_ieee_inexact 0
		.amdhsa_exception_int_div_zero 0
	.end_amdhsa_kernel
	.section	.text._ZN7rocprim17ROCPRIM_400000_NS6detail17trampoline_kernelINS0_14default_configENS1_35radix_sort_onesweep_config_selectorIsNS0_10empty_typeEEEZNS1_34radix_sort_onesweep_global_offsetsIS3_Lb0EN6thrust23THRUST_200600_302600_NS6detail15normal_iteratorINS9_10device_ptrIsEEEEPS5_jNS0_19identity_decomposerEEE10hipError_tT1_T2_PT3_SK_jT4_jjP12ihipStream_tbEUlT_E_NS1_11comp_targetILNS1_3genE0ELNS1_11target_archE4294967295ELNS1_3gpuE0ELNS1_3repE0EEENS1_52radix_sort_onesweep_histogram_config_static_selectorELNS0_4arch9wavefront6targetE1EEEvSI_,"axG",@progbits,_ZN7rocprim17ROCPRIM_400000_NS6detail17trampoline_kernelINS0_14default_configENS1_35radix_sort_onesweep_config_selectorIsNS0_10empty_typeEEEZNS1_34radix_sort_onesweep_global_offsetsIS3_Lb0EN6thrust23THRUST_200600_302600_NS6detail15normal_iteratorINS9_10device_ptrIsEEEEPS5_jNS0_19identity_decomposerEEE10hipError_tT1_T2_PT3_SK_jT4_jjP12ihipStream_tbEUlT_E_NS1_11comp_targetILNS1_3genE0ELNS1_11target_archE4294967295ELNS1_3gpuE0ELNS1_3repE0EEENS1_52radix_sort_onesweep_histogram_config_static_selectorELNS0_4arch9wavefront6targetE1EEEvSI_,comdat
.Lfunc_end1923:
	.size	_ZN7rocprim17ROCPRIM_400000_NS6detail17trampoline_kernelINS0_14default_configENS1_35radix_sort_onesweep_config_selectorIsNS0_10empty_typeEEEZNS1_34radix_sort_onesweep_global_offsetsIS3_Lb0EN6thrust23THRUST_200600_302600_NS6detail15normal_iteratorINS9_10device_ptrIsEEEEPS5_jNS0_19identity_decomposerEEE10hipError_tT1_T2_PT3_SK_jT4_jjP12ihipStream_tbEUlT_E_NS1_11comp_targetILNS1_3genE0ELNS1_11target_archE4294967295ELNS1_3gpuE0ELNS1_3repE0EEENS1_52radix_sort_onesweep_histogram_config_static_selectorELNS0_4arch9wavefront6targetE1EEEvSI_, .Lfunc_end1923-_ZN7rocprim17ROCPRIM_400000_NS6detail17trampoline_kernelINS0_14default_configENS1_35radix_sort_onesweep_config_selectorIsNS0_10empty_typeEEEZNS1_34radix_sort_onesweep_global_offsetsIS3_Lb0EN6thrust23THRUST_200600_302600_NS6detail15normal_iteratorINS9_10device_ptrIsEEEEPS5_jNS0_19identity_decomposerEEE10hipError_tT1_T2_PT3_SK_jT4_jjP12ihipStream_tbEUlT_E_NS1_11comp_targetILNS1_3genE0ELNS1_11target_archE4294967295ELNS1_3gpuE0ELNS1_3repE0EEENS1_52radix_sort_onesweep_histogram_config_static_selectorELNS0_4arch9wavefront6targetE1EEEvSI_
                                        ; -- End function
	.section	.AMDGPU.csdata,"",@progbits
; Kernel info:
; codeLenInByte = 0
; NumSgprs: 6
; NumVgprs: 0
; NumAgprs: 0
; TotalNumVgprs: 0
; ScratchSize: 0
; MemoryBound: 0
; FloatMode: 240
; IeeeMode: 1
; LDSByteSize: 0 bytes/workgroup (compile time only)
; SGPRBlocks: 0
; VGPRBlocks: 0
; NumSGPRsForWavesPerEU: 6
; NumVGPRsForWavesPerEU: 1
; AccumOffset: 4
; Occupancy: 8
; WaveLimiterHint : 0
; COMPUTE_PGM_RSRC2:SCRATCH_EN: 0
; COMPUTE_PGM_RSRC2:USER_SGPR: 2
; COMPUTE_PGM_RSRC2:TRAP_HANDLER: 0
; COMPUTE_PGM_RSRC2:TGID_X_EN: 1
; COMPUTE_PGM_RSRC2:TGID_Y_EN: 0
; COMPUTE_PGM_RSRC2:TGID_Z_EN: 0
; COMPUTE_PGM_RSRC2:TIDIG_COMP_CNT: 0
; COMPUTE_PGM_RSRC3_GFX90A:ACCUM_OFFSET: 0
; COMPUTE_PGM_RSRC3_GFX90A:TG_SPLIT: 0
	.section	.text._ZN7rocprim17ROCPRIM_400000_NS6detail17trampoline_kernelINS0_14default_configENS1_35radix_sort_onesweep_config_selectorIsNS0_10empty_typeEEEZNS1_34radix_sort_onesweep_global_offsetsIS3_Lb0EN6thrust23THRUST_200600_302600_NS6detail15normal_iteratorINS9_10device_ptrIsEEEEPS5_jNS0_19identity_decomposerEEE10hipError_tT1_T2_PT3_SK_jT4_jjP12ihipStream_tbEUlT_E_NS1_11comp_targetILNS1_3genE6ELNS1_11target_archE950ELNS1_3gpuE13ELNS1_3repE0EEENS1_52radix_sort_onesweep_histogram_config_static_selectorELNS0_4arch9wavefront6targetE1EEEvSI_,"axG",@progbits,_ZN7rocprim17ROCPRIM_400000_NS6detail17trampoline_kernelINS0_14default_configENS1_35radix_sort_onesweep_config_selectorIsNS0_10empty_typeEEEZNS1_34radix_sort_onesweep_global_offsetsIS3_Lb0EN6thrust23THRUST_200600_302600_NS6detail15normal_iteratorINS9_10device_ptrIsEEEEPS5_jNS0_19identity_decomposerEEE10hipError_tT1_T2_PT3_SK_jT4_jjP12ihipStream_tbEUlT_E_NS1_11comp_targetILNS1_3genE6ELNS1_11target_archE950ELNS1_3gpuE13ELNS1_3repE0EEENS1_52radix_sort_onesweep_histogram_config_static_selectorELNS0_4arch9wavefront6targetE1EEEvSI_,comdat
	.protected	_ZN7rocprim17ROCPRIM_400000_NS6detail17trampoline_kernelINS0_14default_configENS1_35radix_sort_onesweep_config_selectorIsNS0_10empty_typeEEEZNS1_34radix_sort_onesweep_global_offsetsIS3_Lb0EN6thrust23THRUST_200600_302600_NS6detail15normal_iteratorINS9_10device_ptrIsEEEEPS5_jNS0_19identity_decomposerEEE10hipError_tT1_T2_PT3_SK_jT4_jjP12ihipStream_tbEUlT_E_NS1_11comp_targetILNS1_3genE6ELNS1_11target_archE950ELNS1_3gpuE13ELNS1_3repE0EEENS1_52radix_sort_onesweep_histogram_config_static_selectorELNS0_4arch9wavefront6targetE1EEEvSI_ ; -- Begin function _ZN7rocprim17ROCPRIM_400000_NS6detail17trampoline_kernelINS0_14default_configENS1_35radix_sort_onesweep_config_selectorIsNS0_10empty_typeEEEZNS1_34radix_sort_onesweep_global_offsetsIS3_Lb0EN6thrust23THRUST_200600_302600_NS6detail15normal_iteratorINS9_10device_ptrIsEEEEPS5_jNS0_19identity_decomposerEEE10hipError_tT1_T2_PT3_SK_jT4_jjP12ihipStream_tbEUlT_E_NS1_11comp_targetILNS1_3genE6ELNS1_11target_archE950ELNS1_3gpuE13ELNS1_3repE0EEENS1_52radix_sort_onesweep_histogram_config_static_selectorELNS0_4arch9wavefront6targetE1EEEvSI_
	.globl	_ZN7rocprim17ROCPRIM_400000_NS6detail17trampoline_kernelINS0_14default_configENS1_35radix_sort_onesweep_config_selectorIsNS0_10empty_typeEEEZNS1_34radix_sort_onesweep_global_offsetsIS3_Lb0EN6thrust23THRUST_200600_302600_NS6detail15normal_iteratorINS9_10device_ptrIsEEEEPS5_jNS0_19identity_decomposerEEE10hipError_tT1_T2_PT3_SK_jT4_jjP12ihipStream_tbEUlT_E_NS1_11comp_targetILNS1_3genE6ELNS1_11target_archE950ELNS1_3gpuE13ELNS1_3repE0EEENS1_52radix_sort_onesweep_histogram_config_static_selectorELNS0_4arch9wavefront6targetE1EEEvSI_
	.p2align	8
	.type	_ZN7rocprim17ROCPRIM_400000_NS6detail17trampoline_kernelINS0_14default_configENS1_35radix_sort_onesweep_config_selectorIsNS0_10empty_typeEEEZNS1_34radix_sort_onesweep_global_offsetsIS3_Lb0EN6thrust23THRUST_200600_302600_NS6detail15normal_iteratorINS9_10device_ptrIsEEEEPS5_jNS0_19identity_decomposerEEE10hipError_tT1_T2_PT3_SK_jT4_jjP12ihipStream_tbEUlT_E_NS1_11comp_targetILNS1_3genE6ELNS1_11target_archE950ELNS1_3gpuE13ELNS1_3repE0EEENS1_52radix_sort_onesweep_histogram_config_static_selectorELNS0_4arch9wavefront6targetE1EEEvSI_,@function
_ZN7rocprim17ROCPRIM_400000_NS6detail17trampoline_kernelINS0_14default_configENS1_35radix_sort_onesweep_config_selectorIsNS0_10empty_typeEEEZNS1_34radix_sort_onesweep_global_offsetsIS3_Lb0EN6thrust23THRUST_200600_302600_NS6detail15normal_iteratorINS9_10device_ptrIsEEEEPS5_jNS0_19identity_decomposerEEE10hipError_tT1_T2_PT3_SK_jT4_jjP12ihipStream_tbEUlT_E_NS1_11comp_targetILNS1_3genE6ELNS1_11target_archE950ELNS1_3gpuE13ELNS1_3repE0EEENS1_52radix_sort_onesweep_histogram_config_static_selectorELNS0_4arch9wavefront6targetE1EEEvSI_: ; @_ZN7rocprim17ROCPRIM_400000_NS6detail17trampoline_kernelINS0_14default_configENS1_35radix_sort_onesweep_config_selectorIsNS0_10empty_typeEEEZNS1_34radix_sort_onesweep_global_offsetsIS3_Lb0EN6thrust23THRUST_200600_302600_NS6detail15normal_iteratorINS9_10device_ptrIsEEEEPS5_jNS0_19identity_decomposerEEE10hipError_tT1_T2_PT3_SK_jT4_jjP12ihipStream_tbEUlT_E_NS1_11comp_targetILNS1_3genE6ELNS1_11target_archE950ELNS1_3gpuE13ELNS1_3repE0EEENS1_52radix_sort_onesweep_histogram_config_static_selectorELNS0_4arch9wavefront6targetE1EEEvSI_
; %bb.0:
	.section	.rodata,"a",@progbits
	.p2align	6, 0x0
	.amdhsa_kernel _ZN7rocprim17ROCPRIM_400000_NS6detail17trampoline_kernelINS0_14default_configENS1_35radix_sort_onesweep_config_selectorIsNS0_10empty_typeEEEZNS1_34radix_sort_onesweep_global_offsetsIS3_Lb0EN6thrust23THRUST_200600_302600_NS6detail15normal_iteratorINS9_10device_ptrIsEEEEPS5_jNS0_19identity_decomposerEEE10hipError_tT1_T2_PT3_SK_jT4_jjP12ihipStream_tbEUlT_E_NS1_11comp_targetILNS1_3genE6ELNS1_11target_archE950ELNS1_3gpuE13ELNS1_3repE0EEENS1_52radix_sort_onesweep_histogram_config_static_selectorELNS0_4arch9wavefront6targetE1EEEvSI_
		.amdhsa_group_segment_fixed_size 0
		.amdhsa_private_segment_fixed_size 0
		.amdhsa_kernarg_size 40
		.amdhsa_user_sgpr_count 2
		.amdhsa_user_sgpr_dispatch_ptr 0
		.amdhsa_user_sgpr_queue_ptr 0
		.amdhsa_user_sgpr_kernarg_segment_ptr 1
		.amdhsa_user_sgpr_dispatch_id 0
		.amdhsa_user_sgpr_kernarg_preload_length 0
		.amdhsa_user_sgpr_kernarg_preload_offset 0
		.amdhsa_user_sgpr_private_segment_size 0
		.amdhsa_uses_dynamic_stack 0
		.amdhsa_enable_private_segment 0
		.amdhsa_system_sgpr_workgroup_id_x 1
		.amdhsa_system_sgpr_workgroup_id_y 0
		.amdhsa_system_sgpr_workgroup_id_z 0
		.amdhsa_system_sgpr_workgroup_info 0
		.amdhsa_system_vgpr_workitem_id 0
		.amdhsa_next_free_vgpr 1
		.amdhsa_next_free_sgpr 0
		.amdhsa_accum_offset 4
		.amdhsa_reserve_vcc 0
		.amdhsa_float_round_mode_32 0
		.amdhsa_float_round_mode_16_64 0
		.amdhsa_float_denorm_mode_32 3
		.amdhsa_float_denorm_mode_16_64 3
		.amdhsa_dx10_clamp 1
		.amdhsa_ieee_mode 1
		.amdhsa_fp16_overflow 0
		.amdhsa_tg_split 0
		.amdhsa_exception_fp_ieee_invalid_op 0
		.amdhsa_exception_fp_denorm_src 0
		.amdhsa_exception_fp_ieee_div_zero 0
		.amdhsa_exception_fp_ieee_overflow 0
		.amdhsa_exception_fp_ieee_underflow 0
		.amdhsa_exception_fp_ieee_inexact 0
		.amdhsa_exception_int_div_zero 0
	.end_amdhsa_kernel
	.section	.text._ZN7rocprim17ROCPRIM_400000_NS6detail17trampoline_kernelINS0_14default_configENS1_35radix_sort_onesweep_config_selectorIsNS0_10empty_typeEEEZNS1_34radix_sort_onesweep_global_offsetsIS3_Lb0EN6thrust23THRUST_200600_302600_NS6detail15normal_iteratorINS9_10device_ptrIsEEEEPS5_jNS0_19identity_decomposerEEE10hipError_tT1_T2_PT3_SK_jT4_jjP12ihipStream_tbEUlT_E_NS1_11comp_targetILNS1_3genE6ELNS1_11target_archE950ELNS1_3gpuE13ELNS1_3repE0EEENS1_52radix_sort_onesweep_histogram_config_static_selectorELNS0_4arch9wavefront6targetE1EEEvSI_,"axG",@progbits,_ZN7rocprim17ROCPRIM_400000_NS6detail17trampoline_kernelINS0_14default_configENS1_35radix_sort_onesweep_config_selectorIsNS0_10empty_typeEEEZNS1_34radix_sort_onesweep_global_offsetsIS3_Lb0EN6thrust23THRUST_200600_302600_NS6detail15normal_iteratorINS9_10device_ptrIsEEEEPS5_jNS0_19identity_decomposerEEE10hipError_tT1_T2_PT3_SK_jT4_jjP12ihipStream_tbEUlT_E_NS1_11comp_targetILNS1_3genE6ELNS1_11target_archE950ELNS1_3gpuE13ELNS1_3repE0EEENS1_52radix_sort_onesweep_histogram_config_static_selectorELNS0_4arch9wavefront6targetE1EEEvSI_,comdat
.Lfunc_end1924:
	.size	_ZN7rocprim17ROCPRIM_400000_NS6detail17trampoline_kernelINS0_14default_configENS1_35radix_sort_onesweep_config_selectorIsNS0_10empty_typeEEEZNS1_34radix_sort_onesweep_global_offsetsIS3_Lb0EN6thrust23THRUST_200600_302600_NS6detail15normal_iteratorINS9_10device_ptrIsEEEEPS5_jNS0_19identity_decomposerEEE10hipError_tT1_T2_PT3_SK_jT4_jjP12ihipStream_tbEUlT_E_NS1_11comp_targetILNS1_3genE6ELNS1_11target_archE950ELNS1_3gpuE13ELNS1_3repE0EEENS1_52radix_sort_onesweep_histogram_config_static_selectorELNS0_4arch9wavefront6targetE1EEEvSI_, .Lfunc_end1924-_ZN7rocprim17ROCPRIM_400000_NS6detail17trampoline_kernelINS0_14default_configENS1_35radix_sort_onesweep_config_selectorIsNS0_10empty_typeEEEZNS1_34radix_sort_onesweep_global_offsetsIS3_Lb0EN6thrust23THRUST_200600_302600_NS6detail15normal_iteratorINS9_10device_ptrIsEEEEPS5_jNS0_19identity_decomposerEEE10hipError_tT1_T2_PT3_SK_jT4_jjP12ihipStream_tbEUlT_E_NS1_11comp_targetILNS1_3genE6ELNS1_11target_archE950ELNS1_3gpuE13ELNS1_3repE0EEENS1_52radix_sort_onesweep_histogram_config_static_selectorELNS0_4arch9wavefront6targetE1EEEvSI_
                                        ; -- End function
	.section	.AMDGPU.csdata,"",@progbits
; Kernel info:
; codeLenInByte = 0
; NumSgprs: 6
; NumVgprs: 0
; NumAgprs: 0
; TotalNumVgprs: 0
; ScratchSize: 0
; MemoryBound: 0
; FloatMode: 240
; IeeeMode: 1
; LDSByteSize: 0 bytes/workgroup (compile time only)
; SGPRBlocks: 0
; VGPRBlocks: 0
; NumSGPRsForWavesPerEU: 6
; NumVGPRsForWavesPerEU: 1
; AccumOffset: 4
; Occupancy: 8
; WaveLimiterHint : 0
; COMPUTE_PGM_RSRC2:SCRATCH_EN: 0
; COMPUTE_PGM_RSRC2:USER_SGPR: 2
; COMPUTE_PGM_RSRC2:TRAP_HANDLER: 0
; COMPUTE_PGM_RSRC2:TGID_X_EN: 1
; COMPUTE_PGM_RSRC2:TGID_Y_EN: 0
; COMPUTE_PGM_RSRC2:TGID_Z_EN: 0
; COMPUTE_PGM_RSRC2:TIDIG_COMP_CNT: 0
; COMPUTE_PGM_RSRC3_GFX90A:ACCUM_OFFSET: 0
; COMPUTE_PGM_RSRC3_GFX90A:TG_SPLIT: 0
	.section	.text._ZN7rocprim17ROCPRIM_400000_NS6detail17trampoline_kernelINS0_14default_configENS1_35radix_sort_onesweep_config_selectorIsNS0_10empty_typeEEEZNS1_34radix_sort_onesweep_global_offsetsIS3_Lb0EN6thrust23THRUST_200600_302600_NS6detail15normal_iteratorINS9_10device_ptrIsEEEEPS5_jNS0_19identity_decomposerEEE10hipError_tT1_T2_PT3_SK_jT4_jjP12ihipStream_tbEUlT_E_NS1_11comp_targetILNS1_3genE5ELNS1_11target_archE942ELNS1_3gpuE9ELNS1_3repE0EEENS1_52radix_sort_onesweep_histogram_config_static_selectorELNS0_4arch9wavefront6targetE1EEEvSI_,"axG",@progbits,_ZN7rocprim17ROCPRIM_400000_NS6detail17trampoline_kernelINS0_14default_configENS1_35radix_sort_onesweep_config_selectorIsNS0_10empty_typeEEEZNS1_34radix_sort_onesweep_global_offsetsIS3_Lb0EN6thrust23THRUST_200600_302600_NS6detail15normal_iteratorINS9_10device_ptrIsEEEEPS5_jNS0_19identity_decomposerEEE10hipError_tT1_T2_PT3_SK_jT4_jjP12ihipStream_tbEUlT_E_NS1_11comp_targetILNS1_3genE5ELNS1_11target_archE942ELNS1_3gpuE9ELNS1_3repE0EEENS1_52radix_sort_onesweep_histogram_config_static_selectorELNS0_4arch9wavefront6targetE1EEEvSI_,comdat
	.protected	_ZN7rocprim17ROCPRIM_400000_NS6detail17trampoline_kernelINS0_14default_configENS1_35radix_sort_onesweep_config_selectorIsNS0_10empty_typeEEEZNS1_34radix_sort_onesweep_global_offsetsIS3_Lb0EN6thrust23THRUST_200600_302600_NS6detail15normal_iteratorINS9_10device_ptrIsEEEEPS5_jNS0_19identity_decomposerEEE10hipError_tT1_T2_PT3_SK_jT4_jjP12ihipStream_tbEUlT_E_NS1_11comp_targetILNS1_3genE5ELNS1_11target_archE942ELNS1_3gpuE9ELNS1_3repE0EEENS1_52radix_sort_onesweep_histogram_config_static_selectorELNS0_4arch9wavefront6targetE1EEEvSI_ ; -- Begin function _ZN7rocprim17ROCPRIM_400000_NS6detail17trampoline_kernelINS0_14default_configENS1_35radix_sort_onesweep_config_selectorIsNS0_10empty_typeEEEZNS1_34radix_sort_onesweep_global_offsetsIS3_Lb0EN6thrust23THRUST_200600_302600_NS6detail15normal_iteratorINS9_10device_ptrIsEEEEPS5_jNS0_19identity_decomposerEEE10hipError_tT1_T2_PT3_SK_jT4_jjP12ihipStream_tbEUlT_E_NS1_11comp_targetILNS1_3genE5ELNS1_11target_archE942ELNS1_3gpuE9ELNS1_3repE0EEENS1_52radix_sort_onesweep_histogram_config_static_selectorELNS0_4arch9wavefront6targetE1EEEvSI_
	.globl	_ZN7rocprim17ROCPRIM_400000_NS6detail17trampoline_kernelINS0_14default_configENS1_35radix_sort_onesweep_config_selectorIsNS0_10empty_typeEEEZNS1_34radix_sort_onesweep_global_offsetsIS3_Lb0EN6thrust23THRUST_200600_302600_NS6detail15normal_iteratorINS9_10device_ptrIsEEEEPS5_jNS0_19identity_decomposerEEE10hipError_tT1_T2_PT3_SK_jT4_jjP12ihipStream_tbEUlT_E_NS1_11comp_targetILNS1_3genE5ELNS1_11target_archE942ELNS1_3gpuE9ELNS1_3repE0EEENS1_52radix_sort_onesweep_histogram_config_static_selectorELNS0_4arch9wavefront6targetE1EEEvSI_
	.p2align	8
	.type	_ZN7rocprim17ROCPRIM_400000_NS6detail17trampoline_kernelINS0_14default_configENS1_35radix_sort_onesweep_config_selectorIsNS0_10empty_typeEEEZNS1_34radix_sort_onesweep_global_offsetsIS3_Lb0EN6thrust23THRUST_200600_302600_NS6detail15normal_iteratorINS9_10device_ptrIsEEEEPS5_jNS0_19identity_decomposerEEE10hipError_tT1_T2_PT3_SK_jT4_jjP12ihipStream_tbEUlT_E_NS1_11comp_targetILNS1_3genE5ELNS1_11target_archE942ELNS1_3gpuE9ELNS1_3repE0EEENS1_52radix_sort_onesweep_histogram_config_static_selectorELNS0_4arch9wavefront6targetE1EEEvSI_,@function
_ZN7rocprim17ROCPRIM_400000_NS6detail17trampoline_kernelINS0_14default_configENS1_35radix_sort_onesweep_config_selectorIsNS0_10empty_typeEEEZNS1_34radix_sort_onesweep_global_offsetsIS3_Lb0EN6thrust23THRUST_200600_302600_NS6detail15normal_iteratorINS9_10device_ptrIsEEEEPS5_jNS0_19identity_decomposerEEE10hipError_tT1_T2_PT3_SK_jT4_jjP12ihipStream_tbEUlT_E_NS1_11comp_targetILNS1_3genE5ELNS1_11target_archE942ELNS1_3gpuE9ELNS1_3repE0EEENS1_52radix_sort_onesweep_histogram_config_static_selectorELNS0_4arch9wavefront6targetE1EEEvSI_: ; @_ZN7rocprim17ROCPRIM_400000_NS6detail17trampoline_kernelINS0_14default_configENS1_35radix_sort_onesweep_config_selectorIsNS0_10empty_typeEEEZNS1_34radix_sort_onesweep_global_offsetsIS3_Lb0EN6thrust23THRUST_200600_302600_NS6detail15normal_iteratorINS9_10device_ptrIsEEEEPS5_jNS0_19identity_decomposerEEE10hipError_tT1_T2_PT3_SK_jT4_jjP12ihipStream_tbEUlT_E_NS1_11comp_targetILNS1_3genE5ELNS1_11target_archE942ELNS1_3gpuE9ELNS1_3repE0EEENS1_52radix_sort_onesweep_histogram_config_static_selectorELNS0_4arch9wavefront6targetE1EEEvSI_
; %bb.0:
	s_load_dword s11, s[0:1], 0x14
	s_load_dwordx4 s[4:7], s[0:1], 0x0
	s_load_dwordx2 s[8:9], s[0:1], 0x1c
	s_lshl_b32 s10, s2, 15
	s_waitcnt lgkmcnt(0)
	s_cmp_ge_u32 s2, s11
	s_mov_b64 s[2:3], -1
	s_cbranch_scc0 .LBB1925_295
; %bb.1:
	s_load_dword s2, s[0:1], 0x10
	s_lshl_b32 s3, s11, 15
	s_mov_b32 s11, 0
	s_lshl_b64 s[0:1], s[10:11], 1
                                        ; implicit-def: $vgpr64
	s_waitcnt lgkmcnt(0)
	s_sub_i32 s11, s2, s3
	s_add_u32 s0, s4, s0
	s_addc_u32 s1, s5, s1
	v_cmp_gt_u32_e32 vcc, s11, v0
	s_and_saveexec_b64 s[2:3], vcc
	s_cbranch_execz .LBB1925_3
; %bb.2:
	v_lshlrev_b32_e32 v1, 1, v0
	global_load_ushort v64, v1, s[0:1]
.LBB1925_3:
	s_or_b64 exec, exec, s[2:3]
	v_or_b32_e32 v62, 0x400, v0
	v_cmp_gt_u32_e32 vcc, s11, v62
                                        ; implicit-def: $vgpr63
	s_and_saveexec_b64 s[2:3], vcc
	s_cbranch_execz .LBB1925_5
; %bb.4:
	v_lshlrev_b32_e32 v1, 1, v0
	global_load_ushort v63, v1, s[0:1] offset:2048
.LBB1925_5:
	s_or_b64 exec, exec, s[2:3]
	v_or_b32_e32 v60, 0x800, v0
	v_cmp_gt_u32_e32 vcc, s11, v60
                                        ; implicit-def: $vgpr61
	s_and_saveexec_b64 s[2:3], vcc
	s_cbranch_execz .LBB1925_7
; %bb.6:
	v_lshlrev_b32_e32 v1, 1, v60
	global_load_ushort v61, v1, s[0:1]
.LBB1925_7:
	s_or_b64 exec, exec, s[2:3]
	v_or_b32_e32 v58, 0xc00, v0
	v_cmp_gt_u32_e32 vcc, s11, v58
                                        ; implicit-def: $vgpr59
	s_and_saveexec_b64 s[2:3], vcc
	s_cbranch_execz .LBB1925_9
; %bb.8:
	v_lshlrev_b32_e32 v1, 1, v58
	global_load_ushort v59, v1, s[0:1]
.LBB1925_9:
	s_or_b64 exec, exec, s[2:3]
	v_or_b32_e32 v56, 0x1000, v0
	v_cmp_gt_u32_e32 vcc, s11, v56
                                        ; implicit-def: $vgpr57
	s_and_saveexec_b64 s[2:3], vcc
	s_cbranch_execz .LBB1925_11
; %bb.10:
	v_lshlrev_b32_e32 v1, 1, v56
	global_load_ushort v57, v1, s[0:1]
.LBB1925_11:
	s_or_b64 exec, exec, s[2:3]
	v_or_b32_e32 v54, 0x1400, v0
	v_cmp_gt_u32_e32 vcc, s11, v54
                                        ; implicit-def: $vgpr55
	s_and_saveexec_b64 s[2:3], vcc
	s_cbranch_execz .LBB1925_13
; %bb.12:
	v_lshlrev_b32_e32 v1, 1, v54
	global_load_ushort v55, v1, s[0:1]
.LBB1925_13:
	s_or_b64 exec, exec, s[2:3]
	v_or_b32_e32 v52, 0x1800, v0
	v_cmp_gt_u32_e32 vcc, s11, v52
                                        ; implicit-def: $vgpr53
	s_and_saveexec_b64 s[2:3], vcc
	s_cbranch_execz .LBB1925_15
; %bb.14:
	v_lshlrev_b32_e32 v1, 1, v52
	global_load_ushort v53, v1, s[0:1]
.LBB1925_15:
	s_or_b64 exec, exec, s[2:3]
	v_or_b32_e32 v50, 0x1c00, v0
	v_cmp_gt_u32_e32 vcc, s11, v50
                                        ; implicit-def: $vgpr51
	s_and_saveexec_b64 s[2:3], vcc
	s_cbranch_execz .LBB1925_17
; %bb.16:
	v_lshlrev_b32_e32 v1, 1, v50
	global_load_ushort v51, v1, s[0:1]
.LBB1925_17:
	s_or_b64 exec, exec, s[2:3]
	v_or_b32_e32 v48, 0x2000, v0
	v_cmp_gt_u32_e32 vcc, s11, v48
                                        ; implicit-def: $vgpr49
	s_and_saveexec_b64 s[2:3], vcc
	s_cbranch_execz .LBB1925_19
; %bb.18:
	v_lshlrev_b32_e32 v1, 1, v48
	global_load_ushort v49, v1, s[0:1]
.LBB1925_19:
	s_or_b64 exec, exec, s[2:3]
	v_or_b32_e32 v46, 0x2400, v0
	v_cmp_gt_u32_e32 vcc, s11, v46
                                        ; implicit-def: $vgpr47
	s_and_saveexec_b64 s[2:3], vcc
	s_cbranch_execz .LBB1925_21
; %bb.20:
	v_lshlrev_b32_e32 v1, 1, v46
	global_load_ushort v47, v1, s[0:1]
.LBB1925_21:
	s_or_b64 exec, exec, s[2:3]
	v_or_b32_e32 v44, 0x2800, v0
	v_cmp_gt_u32_e32 vcc, s11, v44
                                        ; implicit-def: $vgpr45
	s_and_saveexec_b64 s[2:3], vcc
	s_cbranch_execz .LBB1925_23
; %bb.22:
	v_lshlrev_b32_e32 v1, 1, v44
	global_load_ushort v45, v1, s[0:1]
.LBB1925_23:
	s_or_b64 exec, exec, s[2:3]
	v_or_b32_e32 v42, 0x2c00, v0
	v_cmp_gt_u32_e32 vcc, s11, v42
                                        ; implicit-def: $vgpr43
	s_and_saveexec_b64 s[2:3], vcc
	s_cbranch_execz .LBB1925_25
; %bb.24:
	v_lshlrev_b32_e32 v1, 1, v42
	global_load_ushort v43, v1, s[0:1]
.LBB1925_25:
	s_or_b64 exec, exec, s[2:3]
	v_or_b32_e32 v40, 0x3000, v0
	v_cmp_gt_u32_e32 vcc, s11, v40
                                        ; implicit-def: $vgpr41
	s_and_saveexec_b64 s[2:3], vcc
	s_cbranch_execz .LBB1925_27
; %bb.26:
	v_lshlrev_b32_e32 v1, 1, v40
	global_load_ushort v41, v1, s[0:1]
.LBB1925_27:
	s_or_b64 exec, exec, s[2:3]
	v_or_b32_e32 v38, 0x3400, v0
	v_cmp_gt_u32_e32 vcc, s11, v38
                                        ; implicit-def: $vgpr39
	s_and_saveexec_b64 s[2:3], vcc
	s_cbranch_execz .LBB1925_29
; %bb.28:
	v_lshlrev_b32_e32 v1, 1, v38
	global_load_ushort v39, v1, s[0:1]
.LBB1925_29:
	s_or_b64 exec, exec, s[2:3]
	v_or_b32_e32 v36, 0x3800, v0
	v_cmp_gt_u32_e32 vcc, s11, v36
                                        ; implicit-def: $vgpr37
	s_and_saveexec_b64 s[2:3], vcc
	s_cbranch_execz .LBB1925_31
; %bb.30:
	v_lshlrev_b32_e32 v1, 1, v36
	global_load_ushort v37, v1, s[0:1]
.LBB1925_31:
	s_or_b64 exec, exec, s[2:3]
	v_or_b32_e32 v34, 0x3c00, v0
	v_cmp_gt_u32_e32 vcc, s11, v34
                                        ; implicit-def: $vgpr35
	s_and_saveexec_b64 s[2:3], vcc
	s_cbranch_execz .LBB1925_33
; %bb.32:
	v_lshlrev_b32_e32 v1, 1, v34
	global_load_ushort v35, v1, s[0:1]
.LBB1925_33:
	s_or_b64 exec, exec, s[2:3]
	v_or_b32_e32 v32, 0x4000, v0
	v_cmp_gt_u32_e32 vcc, s11, v32
                                        ; implicit-def: $vgpr33
	s_and_saveexec_b64 s[2:3], vcc
	s_cbranch_execz .LBB1925_35
; %bb.34:
	v_lshlrev_b32_e32 v1, 1, v32
	global_load_ushort v33, v1, s[0:1]
.LBB1925_35:
	s_or_b64 exec, exec, s[2:3]
	v_or_b32_e32 v30, 0x4400, v0
	v_cmp_gt_u32_e32 vcc, s11, v30
                                        ; implicit-def: $vgpr31
	s_and_saveexec_b64 s[2:3], vcc
	s_cbranch_execz .LBB1925_37
; %bb.36:
	v_lshlrev_b32_e32 v1, 1, v30
	global_load_ushort v31, v1, s[0:1]
.LBB1925_37:
	s_or_b64 exec, exec, s[2:3]
	v_or_b32_e32 v28, 0x4800, v0
	v_cmp_gt_u32_e32 vcc, s11, v28
                                        ; implicit-def: $vgpr29
	s_and_saveexec_b64 s[2:3], vcc
	s_cbranch_execz .LBB1925_39
; %bb.38:
	v_lshlrev_b32_e32 v1, 1, v28
	global_load_ushort v29, v1, s[0:1]
.LBB1925_39:
	s_or_b64 exec, exec, s[2:3]
	v_or_b32_e32 v26, 0x4c00, v0
	v_cmp_gt_u32_e32 vcc, s11, v26
                                        ; implicit-def: $vgpr27
	s_and_saveexec_b64 s[2:3], vcc
	s_cbranch_execz .LBB1925_41
; %bb.40:
	v_lshlrev_b32_e32 v1, 1, v26
	global_load_ushort v27, v1, s[0:1]
.LBB1925_41:
	s_or_b64 exec, exec, s[2:3]
	v_or_b32_e32 v24, 0x5000, v0
	v_cmp_gt_u32_e32 vcc, s11, v24
                                        ; implicit-def: $vgpr25
	s_and_saveexec_b64 s[2:3], vcc
	s_cbranch_execz .LBB1925_43
; %bb.42:
	v_lshlrev_b32_e32 v1, 1, v24
	global_load_ushort v25, v1, s[0:1]
.LBB1925_43:
	s_or_b64 exec, exec, s[2:3]
	v_or_b32_e32 v22, 0x5400, v0
	v_cmp_gt_u32_e32 vcc, s11, v22
                                        ; implicit-def: $vgpr23
	s_and_saveexec_b64 s[2:3], vcc
	s_cbranch_execz .LBB1925_45
; %bb.44:
	v_lshlrev_b32_e32 v1, 1, v22
	global_load_ushort v23, v1, s[0:1]
.LBB1925_45:
	s_or_b64 exec, exec, s[2:3]
	v_or_b32_e32 v20, 0x5800, v0
	v_cmp_gt_u32_e32 vcc, s11, v20
                                        ; implicit-def: $vgpr21
	s_and_saveexec_b64 s[2:3], vcc
	s_cbranch_execz .LBB1925_47
; %bb.46:
	v_lshlrev_b32_e32 v1, 1, v20
	global_load_ushort v21, v1, s[0:1]
.LBB1925_47:
	s_or_b64 exec, exec, s[2:3]
	v_or_b32_e32 v18, 0x5c00, v0
	v_cmp_gt_u32_e32 vcc, s11, v18
                                        ; implicit-def: $vgpr19
	s_and_saveexec_b64 s[2:3], vcc
	s_cbranch_execz .LBB1925_49
; %bb.48:
	v_lshlrev_b32_e32 v1, 1, v18
	global_load_ushort v19, v1, s[0:1]
.LBB1925_49:
	s_or_b64 exec, exec, s[2:3]
	v_or_b32_e32 v16, 0x6000, v0
	v_cmp_gt_u32_e32 vcc, s11, v16
                                        ; implicit-def: $vgpr17
	s_and_saveexec_b64 s[2:3], vcc
	s_cbranch_execz .LBB1925_51
; %bb.50:
	v_lshlrev_b32_e32 v1, 1, v16
	global_load_ushort v17, v1, s[0:1]
.LBB1925_51:
	s_or_b64 exec, exec, s[2:3]
	v_or_b32_e32 v14, 0x6400, v0
	v_cmp_gt_u32_e32 vcc, s11, v14
                                        ; implicit-def: $vgpr15
	s_and_saveexec_b64 s[2:3], vcc
	s_cbranch_execz .LBB1925_53
; %bb.52:
	v_lshlrev_b32_e32 v1, 1, v14
	global_load_ushort v15, v1, s[0:1]
.LBB1925_53:
	s_or_b64 exec, exec, s[2:3]
	v_or_b32_e32 v12, 0x6800, v0
	v_cmp_gt_u32_e32 vcc, s11, v12
                                        ; implicit-def: $vgpr13
	s_and_saveexec_b64 s[2:3], vcc
	s_cbranch_execz .LBB1925_55
; %bb.54:
	v_lshlrev_b32_e32 v1, 1, v12
	global_load_ushort v13, v1, s[0:1]
.LBB1925_55:
	s_or_b64 exec, exec, s[2:3]
	v_or_b32_e32 v10, 0x6c00, v0
	v_cmp_gt_u32_e32 vcc, s11, v10
                                        ; implicit-def: $vgpr11
	s_and_saveexec_b64 s[2:3], vcc
	s_cbranch_execz .LBB1925_57
; %bb.56:
	v_lshlrev_b32_e32 v1, 1, v10
	global_load_ushort v11, v1, s[0:1]
.LBB1925_57:
	s_or_b64 exec, exec, s[2:3]
	v_or_b32_e32 v8, 0x7000, v0
	v_cmp_gt_u32_e32 vcc, s11, v8
                                        ; implicit-def: $vgpr9
	s_and_saveexec_b64 s[2:3], vcc
	s_cbranch_execz .LBB1925_59
; %bb.58:
	v_lshlrev_b32_e32 v1, 1, v8
	global_load_ushort v9, v1, s[0:1]
.LBB1925_59:
	s_or_b64 exec, exec, s[2:3]
	v_or_b32_e32 v6, 0x7400, v0
	v_cmp_gt_u32_e32 vcc, s11, v6
                                        ; implicit-def: $vgpr7
	s_and_saveexec_b64 s[2:3], vcc
	s_cbranch_execz .LBB1925_61
; %bb.60:
	v_lshlrev_b32_e32 v1, 1, v6
	global_load_ushort v7, v1, s[0:1]
.LBB1925_61:
	s_or_b64 exec, exec, s[2:3]
	v_or_b32_e32 v4, 0x7800, v0
	v_cmp_gt_u32_e32 vcc, s11, v4
                                        ; implicit-def: $vgpr5
	s_and_saveexec_b64 s[2:3], vcc
	s_cbranch_execz .LBB1925_63
; %bb.62:
	v_lshlrev_b32_e32 v1, 1, v4
	global_load_ushort v5, v1, s[0:1]
.LBB1925_63:
	s_or_b64 exec, exec, s[2:3]
	v_or_b32_e32 v2, 0x7c00, v0
	v_cmp_gt_u32_e32 vcc, s11, v2
                                        ; implicit-def: $vgpr3
	s_and_saveexec_b64 s[2:3], vcc
	s_cbranch_execz .LBB1925_65
; %bb.64:
	v_lshlrev_b32_e32 v1, 1, v2
	global_load_ushort v3, v1, s[0:1]
.LBB1925_65:
	s_or_b64 exec, exec, s[2:3]
	s_cmp_ge_u32 s8, s9
	s_cselect_b64 s[2:3], -1, 0
	v_cmp_le_u32_e32 vcc, s11, v0
	s_and_b64 s[0:1], s[2:3], exec
	v_lshlrev_b32_e32 v65, 2, v0
	v_mov_b32_e32 v66, 0
	s_cselect_b32 s16, 8, 10
	s_or_b64 s[0:1], s[2:3], vcc
	v_and_b32_e32 v1, 3, v0
	ds_write2st64_b32 v65, v66, v66 offset1:16
	s_waitcnt vmcnt(0)
	v_xor_b32_e32 v64, 0xffff8000, v64
	s_xor_b64 s[12:13], s[0:1], -1
	v_mov_b32_e32 v65, s16
	s_waitcnt lgkmcnt(0)
	s_barrier
	s_and_saveexec_b64 s[0:1], s[12:13]
	s_cbranch_execz .LBB1925_67
; %bb.66:
	s_sub_i32 s12, s9, s8
	s_min_u32 s12, s12, 8
	v_lshrrev_b32_sdwa v65, s8, v64 dst_sel:DWORD dst_unused:UNUSED_PAD src0_sel:DWORD src1_sel:WORD_0
	v_bfe_u32 v65, v65, 0, s12
	v_lshlrev_b32_e32 v66, 2, v1
	v_lshl_or_b32 v65, v65, 4, v66
	v_mov_b32_e32 v66, 1
	ds_add_u32 v65, v66
	v_mov_b32_e32 v65, 0
.LBB1925_67:
	s_or_b64 exec, exec, s[0:1]
	v_cmp_gt_i32_e64 s[0:1], 10, v65
	s_mov_b64 s[12:13], -1
	s_and_saveexec_b64 s[14:15], s[0:1]
; %bb.68:
	v_cmp_eq_u32_e64 s[0:1], 0, v65
	s_orn2_b64 s[12:13], s[0:1], exec
; %bb.69:
	s_or_b64 exec, exec, s[14:15]
	s_and_saveexec_b64 s[0:1], s[12:13]
	s_cbranch_execz .LBB1925_72
; %bb.70:
	s_add_i32 s12, s8, 8
	s_cmp_gt_u32 s9, s12
	s_cselect_b64 s[14:15], -1, 0
	s_xor_b64 s[18:19], vcc, -1
	s_and_b64 s[14:15], s[14:15], s[18:19]
	s_and_b64 exec, exec, s[14:15]
	s_cbranch_execz .LBB1925_72
; %bb.71:
	s_sub_i32 s13, s9, s12
	s_min_u32 s13, s13, 8
	v_lshrrev_b32_sdwa v64, s12, v64 dst_sel:DWORD dst_unused:UNUSED_PAD src0_sel:DWORD src1_sel:WORD_0
	v_bfe_u32 v64, v64, 0, s13
	v_lshlrev_b32_e32 v65, 2, v1
	v_lshl_or_b32 v64, v64, 4, v65
	v_mov_b32_e32 v65, 1
	ds_add_u32 v64, v65 offset:4096
.LBB1925_72:
	s_or_b64 exec, exec, s[0:1]
	v_cmp_le_u32_e32 vcc, s11, v62
	s_or_b64 s[0:1], s[2:3], vcc
	v_xor_b32_e32 v63, 0xffff8000, v63
	s_xor_b64 s[12:13], s[0:1], -1
	v_mov_b32_e32 v62, s16
	s_and_saveexec_b64 s[0:1], s[12:13]
	s_cbranch_execz .LBB1925_74
; %bb.73:
	s_sub_i32 s12, s9, s8
	s_min_u32 s12, s12, 8
	v_lshrrev_b32_sdwa v62, s8, v63 dst_sel:DWORD dst_unused:UNUSED_PAD src0_sel:DWORD src1_sel:WORD_0
	v_bfe_u32 v62, v62, 0, s12
	v_lshlrev_b32_e32 v64, 2, v1
	v_lshl_or_b32 v62, v62, 4, v64
	v_mov_b32_e32 v64, 1
	ds_add_u32 v62, v64
	v_mov_b32_e32 v62, 0
.LBB1925_74:
	s_or_b64 exec, exec, s[0:1]
	v_cmp_gt_i32_e64 s[0:1], 10, v62
	s_mov_b64 s[12:13], -1
	s_and_saveexec_b64 s[14:15], s[0:1]
; %bb.75:
	v_cmp_eq_u32_e64 s[0:1], 0, v62
	s_orn2_b64 s[12:13], s[0:1], exec
; %bb.76:
	s_or_b64 exec, exec, s[14:15]
	s_and_saveexec_b64 s[0:1], s[12:13]
	s_cbranch_execz .LBB1925_79
; %bb.77:
	s_add_i32 s12, s8, 8
	s_cmp_gt_u32 s9, s12
	s_cselect_b64 s[14:15], -1, 0
	s_xor_b64 s[18:19], vcc, -1
	s_and_b64 s[14:15], s[14:15], s[18:19]
	s_and_b64 exec, exec, s[14:15]
	s_cbranch_execz .LBB1925_79
; %bb.78:
	s_sub_i32 s13, s9, s12
	s_min_u32 s13, s13, 8
	v_lshrrev_b32_sdwa v62, s12, v63 dst_sel:DWORD dst_unused:UNUSED_PAD src0_sel:DWORD src1_sel:WORD_0
	v_bfe_u32 v62, v62, 0, s13
	v_lshlrev_b32_e32 v63, 2, v1
	v_lshl_or_b32 v62, v62, 4, v63
	v_mov_b32_e32 v63, 1
	ds_add_u32 v62, v63 offset:4096
.LBB1925_79:
	s_or_b64 exec, exec, s[0:1]
	v_cmp_le_u32_e32 vcc, s11, v60
	s_or_b64 s[0:1], s[2:3], vcc
	v_xor_b32_e32 v61, 0xffff8000, v61
	s_xor_b64 s[12:13], s[0:1], -1
	v_mov_b32_e32 v60, s16
	;; [unrolled: 48-line block ×31, first 2 shown]
	s_and_saveexec_b64 s[0:1], s[2:3]
	s_cbranch_execz .LBB1925_284
; %bb.283:
	s_sub_i32 s2, s9, s8
	s_min_u32 s2, s2, 8
	v_lshrrev_b32_sdwa v2, s8, v3 dst_sel:DWORD dst_unused:UNUSED_PAD src0_sel:DWORD src1_sel:WORD_0
	v_bfe_u32 v2, v2, 0, s2
	v_lshlrev_b32_e32 v4, 2, v1
	v_lshl_or_b32 v2, v2, 4, v4
	v_mov_b32_e32 v4, 1
	ds_add_u32 v2, v4
	v_mov_b32_e32 v2, 0
.LBB1925_284:
	s_or_b64 exec, exec, s[0:1]
	v_cmp_gt_i32_e64 s[0:1], 10, v2
	s_mov_b64 s[2:3], -1
	s_and_saveexec_b64 s[12:13], s[0:1]
; %bb.285:
	v_cmp_eq_u32_e64 s[0:1], 0, v2
	s_orn2_b64 s[2:3], s[0:1], exec
; %bb.286:
	s_or_b64 exec, exec, s[12:13]
	s_and_saveexec_b64 s[0:1], s[2:3]
	s_cbranch_execz .LBB1925_289
; %bb.287:
	s_add_i32 s2, s8, 8
	s_cmp_gt_u32 s9, s2
	s_cselect_b64 s[12:13], -1, 0
	s_xor_b64 s[14:15], vcc, -1
	s_and_b64 s[12:13], s[12:13], s[14:15]
	s_and_b64 exec, exec, s[12:13]
	s_cbranch_execz .LBB1925_289
; %bb.288:
	s_sub_i32 s3, s9, s2
	s_min_u32 s3, s3, 8
	v_lshrrev_b32_sdwa v2, s2, v3 dst_sel:DWORD dst_unused:UNUSED_PAD src0_sel:DWORD src1_sel:WORD_0
	v_bfe_u32 v2, v2, 0, s3
	v_lshlrev_b32_e32 v1, 2, v1
	v_lshl_or_b32 v1, v2, 4, v1
	v_mov_b32_e32 v2, 1
	ds_add_u32 v1, v2 offset:4096
.LBB1925_289:
	s_or_b64 exec, exec, s[0:1]
	s_cmp_lt_u32 s8, s9
	s_waitcnt lgkmcnt(0)
	s_barrier
	s_cbranch_scc0 .LBB1925_294
; %bb.290:
	s_movk_i32 s0, 0x100
	v_cmp_gt_u32_e32 vcc, s0, v0
	v_lshlrev_b32_e32 v1, 4, v0
	v_mov_b32_e32 v3, 0
	v_mov_b32_e32 v2, v0
	s_mov_b32 s2, s8
	s_branch .LBB1925_292
.LBB1925_291:                           ;   in Loop: Header=BB1925_292 Depth=1
	s_or_b64 exec, exec, s[0:1]
	s_add_i32 s2, s2, 8
	v_add_u32_e32 v2, 0x100, v2
	s_cmp_lt_u32 s2, s9
	v_add_u32_e32 v1, 0x1000, v1
	s_cbranch_scc0 .LBB1925_294
.LBB1925_292:                           ; =>This Inner Loop Header: Depth=1
	s_and_saveexec_b64 s[0:1], vcc
	s_cbranch_execz .LBB1925_291
; %bb.293:                              ;   in Loop: Header=BB1925_292 Depth=1
	ds_read2_b32 v[4:5], v1 offset1:1
	ds_read2_b32 v[6:7], v1 offset0:2 offset1:3
	s_waitcnt lgkmcnt(1)
	v_add_u32_e32 v4, v5, v4
	s_waitcnt lgkmcnt(0)
	v_add3_u32 v6, v4, v6, v7
	v_lshl_add_u64 v[4:5], v[2:3], 2, s[6:7]
	global_atomic_add v[4:5], v6, off
	s_branch .LBB1925_291
.LBB1925_294:
	s_mov_b64 s[2:3], 0
.LBB1925_295:
	s_and_b64 vcc, exec, s[2:3]
	s_cbranch_vccz .LBB1925_371
; %bb.296:
	s_cmp_eq_u32 s8, 0
	s_cselect_b64 s[0:1], -1, 0
	s_cmp_eq_u32 s9, 16
	s_mov_b32 s11, 0
	s_cselect_b64 s[2:3], -1, 0
	s_and_b64 s[0:1], s[0:1], s[2:3]
	s_lshl_b64 s[2:3], s[10:11], 1
	s_add_u32 s2, s4, s2
	s_addc_u32 s3, s5, s3
	v_mov_b32_e32 v3, 0
	v_lshlrev_b32_e32 v2, 1, v0
	v_lshl_add_u64 v[28:29], s[2:3], 0, v[2:3]
	s_movk_i32 s4, 0x1000
	v_add_co_u32_e32 v4, vcc, s4, v28
	s_movk_i32 s4, 0x2000
	s_nop 0
	v_addc_co_u32_e32 v5, vcc, 0, v29, vcc
	v_add_co_u32_e32 v12, vcc, s4, v28
	s_movk_i32 s4, 0x3000
	s_nop 0
	v_addc_co_u32_e32 v13, vcc, 0, v29, vcc
	;; [unrolled: 4-line block ×6, first 2 shown]
	v_add_co_u32_e32 v42, vcc, s4, v28
	s_mov_b32 s4, 0x8000
	s_nop 0
	v_addc_co_u32_e32 v43, vcc, 0, v29, vcc
	v_add_co_u32_e32 v24, vcc, s4, v28
	s_mov_b32 s4, 0x9000
	s_nop 0
	v_addc_co_u32_e32 v25, vcc, 0, v29, vcc
	;; [unrolled: 4-line block ×7, first 2 shown]
	v_add_co_u32_e32 v34, vcc, s4, v28
	global_load_ushort v8, v2, s[2:3] offset:2048
	global_load_ushort v9, v[12:13], off offset:-4096
	global_load_ushort v6, v[12:13], off
	global_load_ushort v7, v[12:13], off offset:2048
	global_load_ushort v10, v[20:21], off offset:-4096
	global_load_ushort v11, v[20:21], off
	v_addc_co_u32_e32 v35, vcc, 0, v29, vcc
	v_add_co_u32_e32 v50, vcc, 0xf000, v28
	global_load_ushort v17, v[20:21], off offset:2048
	global_load_ushort v18, v[22:23], off offset:-4096
	global_load_ushort v14, v[22:23], off
	global_load_ushort v15, v[22:23], off offset:2048
	global_load_ushort v16, v[24:25], off offset:-4096
	global_load_ushort v12, v[24:25], off
	global_load_ushort v13, v[24:25], off offset:2048
	global_load_ushort v19, v[30:31], off offset:-4096
	s_nop 0
	global_load_ushort v22, v[30:31], off
	global_load_ushort v23, v[30:31], off offset:2048
	global_load_ushort v24, v[32:33], off offset:-4096
	global_load_ushort v20, v[32:33], off
	global_load_ushort v21, v[32:33], off offset:2048
	global_load_ushort v25, v[34:35], off offset:-4096
	global_load_ushort v26, v[34:35], off
	global_load_ushort v27, v[34:35], off offset:2048
	v_addc_co_u32_e32 v51, vcc, 0, v29, vcc
	global_load_ushort v36, v[4:5], off offset:2048
	global_load_ushort v35, v[38:39], off offset:2048
	;; [unrolled: 1-line block ×7, first 2 shown]
	global_load_ushort v29, v[50:51], off
	global_load_ushort v37, v2, s[2:3]
	global_load_ushort v30, v[50:51], off offset:2048
	v_lshlrev_b32_e32 v1, 2, v0
	s_mov_b64 s[2:3], -1
	s_and_b64 vcc, exec, s[0:1]
	ds_write2st64_b32 v1, v3, v3 offset1:16
	s_waitcnt lgkmcnt(0)
	s_cbranch_vccnz .LBB1925_368
; %bb.297:
	s_cmp_lt_u32 s8, s9
	s_cselect_b64 s[2:3], -1, 0
	s_and_b64 vcc, exec, s[2:3]
	s_barrier
	s_cbranch_vccz .LBB1925_362
; %bb.298:
	s_sub_i32 s0, s9, s8
	s_min_u32 s0, s0, 8
	s_waitcnt vmcnt(1)
	v_xor_b32_e32 v4, 0xffff8000, v37
	s_lshl_b32 s0, -1, s0
	v_and_b32_e32 v2, 3, v0
	s_not_b32 s11, s0
	v_lshrrev_b32_sdwa v3, s8, v4 dst_sel:DWORD dst_unused:UNUSED_PAD src0_sel:DWORD src1_sel:WORD_0
	v_and_b32_e32 v3, s11, v3
	v_lshlrev_b32_e32 v2, 2, v2
	v_lshl_or_b32 v5, v3, 4, v2
	v_mov_b32_e32 v3, 1
	ds_add_u32 v5, v3
	s_add_i32 s10, s8, 8
	s_cmp_gt_u32 s9, s10
	s_cselect_b64 s[4:5], -1, 0
	s_cmp_le_u32 s9, s10
	s_cbranch_scc1 .LBB1925_300
; %bb.299:
	s_sub_i32 s0, s9, s10
	s_min_u32 s0, s0, 8
	v_lshrrev_b32_sdwa v4, s10, v4 dst_sel:DWORD dst_unused:UNUSED_PAD src0_sel:DWORD src1_sel:WORD_0
	v_bfe_u32 v4, v4, 0, s0
	v_lshl_or_b32 v4, v4, 4, v2
	ds_add_u32 v4, v3 offset:4096
.LBB1925_300:
	v_xor_b32_e32 v4, 0xffff8000, v8
	v_lshrrev_b32_sdwa v5, s8, v4 dst_sel:DWORD dst_unused:UNUSED_PAD src0_sel:DWORD src1_sel:WORD_0
	v_and_b32_e32 v5, s11, v5
	v_lshl_or_b32 v5, v5, 4, v2
	ds_add_u32 v5, v3
	v_cndmask_b32_e64 v3, 0, 1, s[4:5]
	v_cmp_ne_u32_e64 s[0:1], 1, v3
	s_andn2_b64 vcc, exec, s[4:5]
	s_cbranch_vccnz .LBB1925_302
; %bb.301:
	s_sub_i32 s4, s9, s10
	s_min_u32 s4, s4, 8
	v_lshrrev_b32_sdwa v3, s10, v4 dst_sel:DWORD dst_unused:UNUSED_PAD src0_sel:DWORD src1_sel:WORD_0
	v_bfe_u32 v3, v3, 0, s4
	v_lshl_or_b32 v3, v3, 4, v2
	v_mov_b32_e32 v4, 1
	ds_add_u32 v3, v4 offset:4096
.LBB1925_302:
	v_xor_b32_e32 v4, 0xffff8000, v9
	v_lshrrev_b32_sdwa v3, s8, v4 dst_sel:DWORD dst_unused:UNUSED_PAD src0_sel:DWORD src1_sel:WORD_0
	v_and_b32_e32 v3, s11, v3
	v_lshl_or_b32 v5, v3, 4, v2
	v_mov_b32_e32 v3, 1
	ds_add_u32 v5, v3
	s_and_b64 vcc, exec, s[0:1]
	s_cbranch_vccnz .LBB1925_304
; %bb.303:
	s_sub_i32 s4, s9, s10
	s_min_u32 s4, s4, 8
	v_lshrrev_b32_sdwa v4, s10, v4 dst_sel:DWORD dst_unused:UNUSED_PAD src0_sel:DWORD src1_sel:WORD_0
	v_bfe_u32 v4, v4, 0, s4
	v_lshl_or_b32 v4, v4, 4, v2
	ds_add_u32 v4, v3 offset:4096
.LBB1925_304:
	v_xor_b32_e32 v4, 0xffff8000, v36
	v_lshrrev_b32_sdwa v5, s8, v4 dst_sel:DWORD dst_unused:UNUSED_PAD src0_sel:DWORD src1_sel:WORD_0
	v_and_b32_e32 v5, s11, v5
	v_lshl_or_b32 v5, v5, 4, v2
	ds_add_u32 v5, v3
	s_and_b64 vcc, exec, s[0:1]
	s_cbranch_vccnz .LBB1925_306
; %bb.305:
	s_sub_i32 s4, s9, s10
	s_min_u32 s4, s4, 8
	v_lshrrev_b32_sdwa v3, s10, v4 dst_sel:DWORD dst_unused:UNUSED_PAD src0_sel:DWORD src1_sel:WORD_0
	v_bfe_u32 v3, v3, 0, s4
	v_lshl_or_b32 v3, v3, 4, v2
	v_mov_b32_e32 v4, 1
	ds_add_u32 v3, v4 offset:4096
.LBB1925_306:
	v_xor_b32_e32 v4, 0xffff8000, v6
	v_lshrrev_b32_sdwa v3, s8, v4 dst_sel:DWORD dst_unused:UNUSED_PAD src0_sel:DWORD src1_sel:WORD_0
	v_and_b32_e32 v3, s11, v3
	v_lshl_or_b32 v5, v3, 4, v2
	v_mov_b32_e32 v3, 1
	ds_add_u32 v5, v3
	s_and_b64 vcc, exec, s[0:1]
	s_cbranch_vccnz .LBB1925_308
; %bb.307:
	s_sub_i32 s4, s9, s10
	s_min_u32 s4, s4, 8
	v_lshrrev_b32_sdwa v4, s10, v4 dst_sel:DWORD dst_unused:UNUSED_PAD src0_sel:DWORD src1_sel:WORD_0
	v_bfe_u32 v4, v4, 0, s4
	v_lshl_or_b32 v4, v4, 4, v2
	ds_add_u32 v4, v3 offset:4096
.LBB1925_308:
	v_xor_b32_e32 v4, 0xffff8000, v7
	v_lshrrev_b32_sdwa v5, s8, v4 dst_sel:DWORD dst_unused:UNUSED_PAD src0_sel:DWORD src1_sel:WORD_0
	v_and_b32_e32 v5, s11, v5
	v_lshl_or_b32 v5, v5, 4, v2
	ds_add_u32 v5, v3
	s_and_b64 vcc, exec, s[0:1]
	;; [unrolled: 32-line block ×14, first 2 shown]
	s_cbranch_vccnz .LBB1925_358
; %bb.357:
	s_sub_i32 s4, s9, s10
	s_min_u32 s4, s4, 8
	v_lshrrev_b32_sdwa v3, s10, v4 dst_sel:DWORD dst_unused:UNUSED_PAD src0_sel:DWORD src1_sel:WORD_0
	v_bfe_u32 v3, v3, 0, s4
	v_lshl_or_b32 v3, v3, 4, v2
	v_mov_b32_e32 v4, 1
	ds_add_u32 v3, v4 offset:4096
.LBB1925_358:
	v_xor_b32_e32 v4, 0xffff8000, v29
	v_lshrrev_b32_sdwa v3, s8, v4 dst_sel:DWORD dst_unused:UNUSED_PAD src0_sel:DWORD src1_sel:WORD_0
	v_and_b32_e32 v3, s11, v3
	v_lshl_or_b32 v5, v3, 4, v2
	v_mov_b32_e32 v3, 1
	ds_add_u32 v5, v3
	s_and_b64 vcc, exec, s[0:1]
	s_cbranch_vccnz .LBB1925_360
; %bb.359:
	s_sub_i32 s4, s9, s10
	s_min_u32 s4, s4, 8
	v_lshrrev_b32_sdwa v4, s10, v4 dst_sel:DWORD dst_unused:UNUSED_PAD src0_sel:DWORD src1_sel:WORD_0
	v_bfe_u32 v4, v4, 0, s4
	v_lshl_or_b32 v4, v4, 4, v2
	ds_add_u32 v4, v3 offset:4096
.LBB1925_360:
	s_waitcnt vmcnt(0)
	v_xor_b32_e32 v4, 0xffff8000, v30
	v_lshrrev_b32_sdwa v5, s8, v4 dst_sel:DWORD dst_unused:UNUSED_PAD src0_sel:DWORD src1_sel:WORD_0
	v_and_b32_e32 v5, s11, v5
	v_lshl_or_b32 v5, v5, 4, v2
	ds_add_u32 v5, v3
	s_and_b64 vcc, exec, s[0:1]
	s_cbranch_vccnz .LBB1925_362
; %bb.361:
	s_sub_i32 s0, s9, s10
	s_min_u32 s0, s0, 8
	v_lshrrev_b32_sdwa v3, s10, v4 dst_sel:DWORD dst_unused:UNUSED_PAD src0_sel:DWORD src1_sel:WORD_0
	v_bfe_u32 v3, v3, 0, s0
	v_lshl_or_b32 v2, v3, 4, v2
	v_mov_b32_e32 v3, 1
	ds_add_u32 v2, v3 offset:4096
.LBB1925_362:
	s_and_b64 vcc, exec, s[2:3]
	s_waitcnt lgkmcnt(0)
	s_barrier
	s_cbranch_vccz .LBB1925_367
; %bb.363:
	s_movk_i32 s0, 0x100
	v_cmp_gt_u32_e32 vcc, s0, v0
	v_lshlrev_b32_e32 v4, 4, v0
	v_mov_b32_e32 v3, 0
	v_mov_b32_e32 v2, v0
	s_branch .LBB1925_365
.LBB1925_364:                           ;   in Loop: Header=BB1925_365 Depth=1
	s_or_b64 exec, exec, s[0:1]
	s_add_i32 s8, s8, 8
	v_add_u32_e32 v2, 0x100, v2
	s_cmp_ge_u32 s8, s9
	v_add_u32_e32 v4, 0x1000, v4
	s_cbranch_scc1 .LBB1925_367
.LBB1925_365:                           ; =>This Inner Loop Header: Depth=1
	s_and_saveexec_b64 s[0:1], vcc
	s_cbranch_execz .LBB1925_364
; %bb.366:                              ;   in Loop: Header=BB1925_365 Depth=1
	ds_read2_b32 v[38:39], v4 offset1:1
	ds_read2_b32 v[40:41], v4 offset0:2 offset1:3
	s_waitcnt lgkmcnt(1)
	v_add_u32_e32 v5, v39, v38
	s_waitcnt lgkmcnt(0)
	v_add3_u32 v5, v5, v40, v41
	v_lshl_add_u64 v[38:39], v[2:3], 2, s[6:7]
	global_atomic_add v[38:39], v5, off
	s_branch .LBB1925_364
.LBB1925_367:
	s_mov_b64 s[2:3], 0
.LBB1925_368:
	s_and_b64 vcc, exec, s[2:3]
	s_cbranch_vccz .LBB1925_371
; %bb.369:
	s_waitcnt vmcnt(1)
	v_xor_b32_e32 v3, 0xffff8000, v37
	v_xor_b32_e32 v38, 0xffff8000, v7
	;; [unrolled: 1-line block ×3, first 2 shown]
	v_and_b32_e32 v26, 0xffff, v3
	v_and_b32_e32 v2, 3, v0
	v_lshlrev_b32_e32 v3, 2, v26
	s_movk_i32 s0, 0x3fc
	v_and_or_b32 v3, v3, s0, v2
	v_bfe_u32 v26, v26, 8, 8
	v_xor_b32_e32 v8, 0xffff8000, v8
	v_xor_b32_e32 v37, 0xffff8000, v6
	;; [unrolled: 1-line block ×3, first 2 shown]
	v_lshlrev_b32_e32 v27, 2, v3
	v_mov_b32_e32 v3, 1
	v_lshl_or_b32 v26, v26, 2, v2
	s_barrier
	ds_add_u32 v27, v3
	v_lshlrev_b32_e32 v26, 2, v26
	v_and_b32_e32 v8, 0xffff, v8
	ds_add_u32 v26, v3 offset:4096
	v_lshlrev_b32_e32 v26, 2, v8
	v_and_or_b32 v26, v26, s0, v2
	v_bfe_u32 v8, v8, 8, 8
	v_lshlrev_b32_e32 v26, 2, v26
	v_lshl_or_b32 v8, v8, 2, v2
	v_xor_b32_e32 v9, 0xffff8000, v9
	ds_add_u32 v26, v3
	v_lshlrev_b32_e32 v8, 2, v8
	ds_add_u32 v8, v3 offset:4096
	v_and_b32_e32 v8, 0xffff, v9
	v_lshlrev_b32_e32 v9, 2, v8
	v_and_or_b32 v9, v9, s0, v2
	v_bfe_u32 v8, v8, 8, 8
	v_lshlrev_b32_e32 v9, 2, v9
	v_lshl_or_b32 v8, v8, 2, v2
	v_xor_b32_e32 v36, 0xffff8000, v36
	ds_add_u32 v9, v3
	v_lshlrev_b32_e32 v8, 2, v8
	ds_add_u32 v8, v3 offset:4096
	v_and_b32_e32 v8, 0xffff, v36
	v_lshlrev_b32_e32 v9, 2, v8
	v_and_or_b32 v9, v9, s0, v2
	v_bfe_u32 v8, v8, 8, 8
	v_lshlrev_b32_e32 v9, 2, v9
	v_lshl_or_b32 v8, v8, 2, v2
	ds_add_u32 v9, v3
	v_lshlrev_b32_e32 v8, 2, v8
	ds_add_u32 v8, v3 offset:4096
	v_and_b32_e32 v8, 0xffff, v37
	v_lshlrev_b32_e32 v9, 2, v8
	v_and_or_b32 v9, v9, s0, v2
	v_bfe_u32 v8, v8, 8, 8
	v_lshlrev_b32_e32 v9, 2, v9
	v_lshl_or_b32 v8, v8, 2, v2
	;; [unrolled: 9-line block ×3, first 2 shown]
	v_xor_b32_e32 v10, 0xffff8000, v10
	ds_add_u32 v9, v3
	v_lshlrev_b32_e32 v8, 2, v8
	ds_add_u32 v8, v3 offset:4096
	v_and_b32_e32 v8, 0xffff, v10
	v_lshlrev_b32_e32 v9, 2, v8
	v_and_or_b32 v9, v9, s0, v2
	v_bfe_u32 v8, v8, 8, 8
	v_lshlrev_b32_e32 v9, 2, v9
	v_lshl_or_b32 v8, v8, 2, v2
	v_xor_b32_e32 v35, 0xffff8000, v35
	ds_add_u32 v9, v3
	v_lshlrev_b32_e32 v8, 2, v8
	ds_add_u32 v8, v3 offset:4096
	v_and_b32_e32 v8, 0xffff, v35
	v_lshlrev_b32_e32 v9, 2, v8
	v_and_or_b32 v9, v9, s0, v2
	v_bfe_u32 v8, v8, 8, 8
	v_lshlrev_b32_e32 v9, 2, v9
	v_lshl_or_b32 v8, v8, 2, v2
	;; [unrolled: 10-line block ×22, first 2 shown]
	ds_add_u32 v9, v3
	v_lshlrev_b32_e32 v8, 2, v8
	v_and_b32_e32 v7, 0xffff, v7
	ds_add_u32 v8, v3 offset:4096
	v_lshlrev_b32_e32 v8, 2, v7
	v_and_or_b32 v8, v8, s0, v2
	v_bfe_u32 v7, v7, 8, 8
	v_lshlrev_b32_e32 v8, 2, v8
	v_lshl_or_b32 v7, v7, 2, v2
	ds_add_u32 v8, v3
	v_lshlrev_b32_e32 v7, 2, v7
	v_and_b32_e32 v6, 0xffff, v6
	ds_add_u32 v7, v3 offset:4096
	v_lshlrev_b32_e32 v7, 2, v6
	v_and_or_b32 v7, v7, s0, v2
	v_bfe_u32 v6, v6, 8, 8
	v_xor_b32_e32 v5, 0xffff8000, v29
	v_lshlrev_b32_e32 v7, 2, v7
	v_lshl_or_b32 v6, v6, 2, v2
	ds_add_u32 v7, v3
	v_lshlrev_b32_e32 v6, 2, v6
	v_and_b32_e32 v5, 0xffff, v5
	ds_add_u32 v6, v3 offset:4096
	v_lshlrev_b32_e32 v6, 2, v5
	v_and_or_b32 v6, v6, s0, v2
	v_bfe_u32 v5, v5, 8, 8
	s_waitcnt vmcnt(0)
	v_xor_b32_e32 v4, 0xffff8000, v30
	v_lshlrev_b32_e32 v6, 2, v6
	v_lshl_or_b32 v5, v5, 2, v2
	ds_add_u32 v6, v3
	v_lshlrev_b32_e32 v5, 2, v5
	v_and_b32_e32 v4, 0xffff, v4
	ds_add_u32 v5, v3 offset:4096
	v_lshlrev_b32_e32 v5, 2, v4
	v_and_or_b32 v5, v5, s0, v2
	v_bfe_u32 v4, v4, 8, 8
	v_lshlrev_b32_e32 v5, 2, v5
	v_lshl_or_b32 v2, v4, 2, v2
	ds_add_u32 v5, v3
	v_lshlrev_b32_e32 v2, 2, v2
	ds_add_u32 v2, v3 offset:4096
	s_movk_i32 s0, 0x100
	v_cmp_gt_u32_e32 vcc, s0, v0
	s_waitcnt lgkmcnt(0)
	s_barrier
	s_and_saveexec_b64 s[0:1], vcc
	s_cbranch_execz .LBB1925_371
; %bb.370:
	v_lshlrev_b32_e32 v0, 4, v0
	ds_read2_b32 v[2:3], v0 offset1:1
	ds_read2_b32 v[4:5], v0 offset0:2 offset1:3
	v_add_u32_e32 v6, 0x1000, v0
	v_add_u32_e32 v0, 0x1008, v0
	s_waitcnt lgkmcnt(1)
	v_add_u32_e32 v2, v3, v2
	s_waitcnt lgkmcnt(0)
	v_add3_u32 v2, v2, v4, v5
	global_atomic_add v1, v2, s[6:7]
	ds_read2_b32 v[2:3], v6 offset1:1
	ds_read2_b32 v[4:5], v0 offset1:1
	s_waitcnt lgkmcnt(1)
	v_add_u32_e32 v0, v3, v2
	s_waitcnt lgkmcnt(0)
	v_add3_u32 v0, v0, v4, v5
	global_atomic_add v1, v0, s[6:7] offset:1024
.LBB1925_371:
	s_endpgm
	.section	.rodata,"a",@progbits
	.p2align	6, 0x0
	.amdhsa_kernel _ZN7rocprim17ROCPRIM_400000_NS6detail17trampoline_kernelINS0_14default_configENS1_35radix_sort_onesweep_config_selectorIsNS0_10empty_typeEEEZNS1_34radix_sort_onesweep_global_offsetsIS3_Lb0EN6thrust23THRUST_200600_302600_NS6detail15normal_iteratorINS9_10device_ptrIsEEEEPS5_jNS0_19identity_decomposerEEE10hipError_tT1_T2_PT3_SK_jT4_jjP12ihipStream_tbEUlT_E_NS1_11comp_targetILNS1_3genE5ELNS1_11target_archE942ELNS1_3gpuE9ELNS1_3repE0EEENS1_52radix_sort_onesweep_histogram_config_static_selectorELNS0_4arch9wavefront6targetE1EEEvSI_
		.amdhsa_group_segment_fixed_size 8192
		.amdhsa_private_segment_fixed_size 0
		.amdhsa_kernarg_size 40
		.amdhsa_user_sgpr_count 2
		.amdhsa_user_sgpr_dispatch_ptr 0
		.amdhsa_user_sgpr_queue_ptr 0
		.amdhsa_user_sgpr_kernarg_segment_ptr 1
		.amdhsa_user_sgpr_dispatch_id 0
		.amdhsa_user_sgpr_kernarg_preload_length 0
		.amdhsa_user_sgpr_kernarg_preload_offset 0
		.amdhsa_user_sgpr_private_segment_size 0
		.amdhsa_uses_dynamic_stack 0
		.amdhsa_enable_private_segment 0
		.amdhsa_system_sgpr_workgroup_id_x 1
		.amdhsa_system_sgpr_workgroup_id_y 0
		.amdhsa_system_sgpr_workgroup_id_z 0
		.amdhsa_system_sgpr_workgroup_info 0
		.amdhsa_system_vgpr_workitem_id 0
		.amdhsa_next_free_vgpr 67
		.amdhsa_next_free_sgpr 20
		.amdhsa_accum_offset 68
		.amdhsa_reserve_vcc 1
		.amdhsa_float_round_mode_32 0
		.amdhsa_float_round_mode_16_64 0
		.amdhsa_float_denorm_mode_32 3
		.amdhsa_float_denorm_mode_16_64 3
		.amdhsa_dx10_clamp 1
		.amdhsa_ieee_mode 1
		.amdhsa_fp16_overflow 0
		.amdhsa_tg_split 0
		.amdhsa_exception_fp_ieee_invalid_op 0
		.amdhsa_exception_fp_denorm_src 0
		.amdhsa_exception_fp_ieee_div_zero 0
		.amdhsa_exception_fp_ieee_overflow 0
		.amdhsa_exception_fp_ieee_underflow 0
		.amdhsa_exception_fp_ieee_inexact 0
		.amdhsa_exception_int_div_zero 0
	.end_amdhsa_kernel
	.section	.text._ZN7rocprim17ROCPRIM_400000_NS6detail17trampoline_kernelINS0_14default_configENS1_35radix_sort_onesweep_config_selectorIsNS0_10empty_typeEEEZNS1_34radix_sort_onesweep_global_offsetsIS3_Lb0EN6thrust23THRUST_200600_302600_NS6detail15normal_iteratorINS9_10device_ptrIsEEEEPS5_jNS0_19identity_decomposerEEE10hipError_tT1_T2_PT3_SK_jT4_jjP12ihipStream_tbEUlT_E_NS1_11comp_targetILNS1_3genE5ELNS1_11target_archE942ELNS1_3gpuE9ELNS1_3repE0EEENS1_52radix_sort_onesweep_histogram_config_static_selectorELNS0_4arch9wavefront6targetE1EEEvSI_,"axG",@progbits,_ZN7rocprim17ROCPRIM_400000_NS6detail17trampoline_kernelINS0_14default_configENS1_35radix_sort_onesweep_config_selectorIsNS0_10empty_typeEEEZNS1_34radix_sort_onesweep_global_offsetsIS3_Lb0EN6thrust23THRUST_200600_302600_NS6detail15normal_iteratorINS9_10device_ptrIsEEEEPS5_jNS0_19identity_decomposerEEE10hipError_tT1_T2_PT3_SK_jT4_jjP12ihipStream_tbEUlT_E_NS1_11comp_targetILNS1_3genE5ELNS1_11target_archE942ELNS1_3gpuE9ELNS1_3repE0EEENS1_52radix_sort_onesweep_histogram_config_static_selectorELNS0_4arch9wavefront6targetE1EEEvSI_,comdat
.Lfunc_end1925:
	.size	_ZN7rocprim17ROCPRIM_400000_NS6detail17trampoline_kernelINS0_14default_configENS1_35radix_sort_onesweep_config_selectorIsNS0_10empty_typeEEEZNS1_34radix_sort_onesweep_global_offsetsIS3_Lb0EN6thrust23THRUST_200600_302600_NS6detail15normal_iteratorINS9_10device_ptrIsEEEEPS5_jNS0_19identity_decomposerEEE10hipError_tT1_T2_PT3_SK_jT4_jjP12ihipStream_tbEUlT_E_NS1_11comp_targetILNS1_3genE5ELNS1_11target_archE942ELNS1_3gpuE9ELNS1_3repE0EEENS1_52radix_sort_onesweep_histogram_config_static_selectorELNS0_4arch9wavefront6targetE1EEEvSI_, .Lfunc_end1925-_ZN7rocprim17ROCPRIM_400000_NS6detail17trampoline_kernelINS0_14default_configENS1_35radix_sort_onesweep_config_selectorIsNS0_10empty_typeEEEZNS1_34radix_sort_onesweep_global_offsetsIS3_Lb0EN6thrust23THRUST_200600_302600_NS6detail15normal_iteratorINS9_10device_ptrIsEEEEPS5_jNS0_19identity_decomposerEEE10hipError_tT1_T2_PT3_SK_jT4_jjP12ihipStream_tbEUlT_E_NS1_11comp_targetILNS1_3genE5ELNS1_11target_archE942ELNS1_3gpuE9ELNS1_3repE0EEENS1_52radix_sort_onesweep_histogram_config_static_selectorELNS0_4arch9wavefront6targetE1EEEvSI_
                                        ; -- End function
	.section	.AMDGPU.csdata,"",@progbits
; Kernel info:
; codeLenInByte = 14060
; NumSgprs: 26
; NumVgprs: 67
; NumAgprs: 0
; TotalNumVgprs: 67
; ScratchSize: 0
; MemoryBound: 0
; FloatMode: 240
; IeeeMode: 1
; LDSByteSize: 8192 bytes/workgroup (compile time only)
; SGPRBlocks: 3
; VGPRBlocks: 8
; NumSGPRsForWavesPerEU: 26
; NumVGPRsForWavesPerEU: 67
; AccumOffset: 68
; Occupancy: 7
; WaveLimiterHint : 1
; COMPUTE_PGM_RSRC2:SCRATCH_EN: 0
; COMPUTE_PGM_RSRC2:USER_SGPR: 2
; COMPUTE_PGM_RSRC2:TRAP_HANDLER: 0
; COMPUTE_PGM_RSRC2:TGID_X_EN: 1
; COMPUTE_PGM_RSRC2:TGID_Y_EN: 0
; COMPUTE_PGM_RSRC2:TGID_Z_EN: 0
; COMPUTE_PGM_RSRC2:TIDIG_COMP_CNT: 0
; COMPUTE_PGM_RSRC3_GFX90A:ACCUM_OFFSET: 16
; COMPUTE_PGM_RSRC3_GFX90A:TG_SPLIT: 0
	.section	.text._ZN7rocprim17ROCPRIM_400000_NS6detail17trampoline_kernelINS0_14default_configENS1_35radix_sort_onesweep_config_selectorIsNS0_10empty_typeEEEZNS1_34radix_sort_onesweep_global_offsetsIS3_Lb0EN6thrust23THRUST_200600_302600_NS6detail15normal_iteratorINS9_10device_ptrIsEEEEPS5_jNS0_19identity_decomposerEEE10hipError_tT1_T2_PT3_SK_jT4_jjP12ihipStream_tbEUlT_E_NS1_11comp_targetILNS1_3genE2ELNS1_11target_archE906ELNS1_3gpuE6ELNS1_3repE0EEENS1_52radix_sort_onesweep_histogram_config_static_selectorELNS0_4arch9wavefront6targetE1EEEvSI_,"axG",@progbits,_ZN7rocprim17ROCPRIM_400000_NS6detail17trampoline_kernelINS0_14default_configENS1_35radix_sort_onesweep_config_selectorIsNS0_10empty_typeEEEZNS1_34radix_sort_onesweep_global_offsetsIS3_Lb0EN6thrust23THRUST_200600_302600_NS6detail15normal_iteratorINS9_10device_ptrIsEEEEPS5_jNS0_19identity_decomposerEEE10hipError_tT1_T2_PT3_SK_jT4_jjP12ihipStream_tbEUlT_E_NS1_11comp_targetILNS1_3genE2ELNS1_11target_archE906ELNS1_3gpuE6ELNS1_3repE0EEENS1_52radix_sort_onesweep_histogram_config_static_selectorELNS0_4arch9wavefront6targetE1EEEvSI_,comdat
	.protected	_ZN7rocprim17ROCPRIM_400000_NS6detail17trampoline_kernelINS0_14default_configENS1_35radix_sort_onesweep_config_selectorIsNS0_10empty_typeEEEZNS1_34radix_sort_onesweep_global_offsetsIS3_Lb0EN6thrust23THRUST_200600_302600_NS6detail15normal_iteratorINS9_10device_ptrIsEEEEPS5_jNS0_19identity_decomposerEEE10hipError_tT1_T2_PT3_SK_jT4_jjP12ihipStream_tbEUlT_E_NS1_11comp_targetILNS1_3genE2ELNS1_11target_archE906ELNS1_3gpuE6ELNS1_3repE0EEENS1_52radix_sort_onesweep_histogram_config_static_selectorELNS0_4arch9wavefront6targetE1EEEvSI_ ; -- Begin function _ZN7rocprim17ROCPRIM_400000_NS6detail17trampoline_kernelINS0_14default_configENS1_35radix_sort_onesweep_config_selectorIsNS0_10empty_typeEEEZNS1_34radix_sort_onesweep_global_offsetsIS3_Lb0EN6thrust23THRUST_200600_302600_NS6detail15normal_iteratorINS9_10device_ptrIsEEEEPS5_jNS0_19identity_decomposerEEE10hipError_tT1_T2_PT3_SK_jT4_jjP12ihipStream_tbEUlT_E_NS1_11comp_targetILNS1_3genE2ELNS1_11target_archE906ELNS1_3gpuE6ELNS1_3repE0EEENS1_52radix_sort_onesweep_histogram_config_static_selectorELNS0_4arch9wavefront6targetE1EEEvSI_
	.globl	_ZN7rocprim17ROCPRIM_400000_NS6detail17trampoline_kernelINS0_14default_configENS1_35radix_sort_onesweep_config_selectorIsNS0_10empty_typeEEEZNS1_34radix_sort_onesweep_global_offsetsIS3_Lb0EN6thrust23THRUST_200600_302600_NS6detail15normal_iteratorINS9_10device_ptrIsEEEEPS5_jNS0_19identity_decomposerEEE10hipError_tT1_T2_PT3_SK_jT4_jjP12ihipStream_tbEUlT_E_NS1_11comp_targetILNS1_3genE2ELNS1_11target_archE906ELNS1_3gpuE6ELNS1_3repE0EEENS1_52radix_sort_onesweep_histogram_config_static_selectorELNS0_4arch9wavefront6targetE1EEEvSI_
	.p2align	8
	.type	_ZN7rocprim17ROCPRIM_400000_NS6detail17trampoline_kernelINS0_14default_configENS1_35radix_sort_onesweep_config_selectorIsNS0_10empty_typeEEEZNS1_34radix_sort_onesweep_global_offsetsIS3_Lb0EN6thrust23THRUST_200600_302600_NS6detail15normal_iteratorINS9_10device_ptrIsEEEEPS5_jNS0_19identity_decomposerEEE10hipError_tT1_T2_PT3_SK_jT4_jjP12ihipStream_tbEUlT_E_NS1_11comp_targetILNS1_3genE2ELNS1_11target_archE906ELNS1_3gpuE6ELNS1_3repE0EEENS1_52radix_sort_onesweep_histogram_config_static_selectorELNS0_4arch9wavefront6targetE1EEEvSI_,@function
_ZN7rocprim17ROCPRIM_400000_NS6detail17trampoline_kernelINS0_14default_configENS1_35radix_sort_onesweep_config_selectorIsNS0_10empty_typeEEEZNS1_34radix_sort_onesweep_global_offsetsIS3_Lb0EN6thrust23THRUST_200600_302600_NS6detail15normal_iteratorINS9_10device_ptrIsEEEEPS5_jNS0_19identity_decomposerEEE10hipError_tT1_T2_PT3_SK_jT4_jjP12ihipStream_tbEUlT_E_NS1_11comp_targetILNS1_3genE2ELNS1_11target_archE906ELNS1_3gpuE6ELNS1_3repE0EEENS1_52radix_sort_onesweep_histogram_config_static_selectorELNS0_4arch9wavefront6targetE1EEEvSI_: ; @_ZN7rocprim17ROCPRIM_400000_NS6detail17trampoline_kernelINS0_14default_configENS1_35radix_sort_onesweep_config_selectorIsNS0_10empty_typeEEEZNS1_34radix_sort_onesweep_global_offsetsIS3_Lb0EN6thrust23THRUST_200600_302600_NS6detail15normal_iteratorINS9_10device_ptrIsEEEEPS5_jNS0_19identity_decomposerEEE10hipError_tT1_T2_PT3_SK_jT4_jjP12ihipStream_tbEUlT_E_NS1_11comp_targetILNS1_3genE2ELNS1_11target_archE906ELNS1_3gpuE6ELNS1_3repE0EEENS1_52radix_sort_onesweep_histogram_config_static_selectorELNS0_4arch9wavefront6targetE1EEEvSI_
; %bb.0:
	.section	.rodata,"a",@progbits
	.p2align	6, 0x0
	.amdhsa_kernel _ZN7rocprim17ROCPRIM_400000_NS6detail17trampoline_kernelINS0_14default_configENS1_35radix_sort_onesweep_config_selectorIsNS0_10empty_typeEEEZNS1_34radix_sort_onesweep_global_offsetsIS3_Lb0EN6thrust23THRUST_200600_302600_NS6detail15normal_iteratorINS9_10device_ptrIsEEEEPS5_jNS0_19identity_decomposerEEE10hipError_tT1_T2_PT3_SK_jT4_jjP12ihipStream_tbEUlT_E_NS1_11comp_targetILNS1_3genE2ELNS1_11target_archE906ELNS1_3gpuE6ELNS1_3repE0EEENS1_52radix_sort_onesweep_histogram_config_static_selectorELNS0_4arch9wavefront6targetE1EEEvSI_
		.amdhsa_group_segment_fixed_size 0
		.amdhsa_private_segment_fixed_size 0
		.amdhsa_kernarg_size 40
		.amdhsa_user_sgpr_count 2
		.amdhsa_user_sgpr_dispatch_ptr 0
		.amdhsa_user_sgpr_queue_ptr 0
		.amdhsa_user_sgpr_kernarg_segment_ptr 1
		.amdhsa_user_sgpr_dispatch_id 0
		.amdhsa_user_sgpr_kernarg_preload_length 0
		.amdhsa_user_sgpr_kernarg_preload_offset 0
		.amdhsa_user_sgpr_private_segment_size 0
		.amdhsa_uses_dynamic_stack 0
		.amdhsa_enable_private_segment 0
		.amdhsa_system_sgpr_workgroup_id_x 1
		.amdhsa_system_sgpr_workgroup_id_y 0
		.amdhsa_system_sgpr_workgroup_id_z 0
		.amdhsa_system_sgpr_workgroup_info 0
		.amdhsa_system_vgpr_workitem_id 0
		.amdhsa_next_free_vgpr 1
		.amdhsa_next_free_sgpr 0
		.amdhsa_accum_offset 4
		.amdhsa_reserve_vcc 0
		.amdhsa_float_round_mode_32 0
		.amdhsa_float_round_mode_16_64 0
		.amdhsa_float_denorm_mode_32 3
		.amdhsa_float_denorm_mode_16_64 3
		.amdhsa_dx10_clamp 1
		.amdhsa_ieee_mode 1
		.amdhsa_fp16_overflow 0
		.amdhsa_tg_split 0
		.amdhsa_exception_fp_ieee_invalid_op 0
		.amdhsa_exception_fp_denorm_src 0
		.amdhsa_exception_fp_ieee_div_zero 0
		.amdhsa_exception_fp_ieee_overflow 0
		.amdhsa_exception_fp_ieee_underflow 0
		.amdhsa_exception_fp_ieee_inexact 0
		.amdhsa_exception_int_div_zero 0
	.end_amdhsa_kernel
	.section	.text._ZN7rocprim17ROCPRIM_400000_NS6detail17trampoline_kernelINS0_14default_configENS1_35radix_sort_onesweep_config_selectorIsNS0_10empty_typeEEEZNS1_34radix_sort_onesweep_global_offsetsIS3_Lb0EN6thrust23THRUST_200600_302600_NS6detail15normal_iteratorINS9_10device_ptrIsEEEEPS5_jNS0_19identity_decomposerEEE10hipError_tT1_T2_PT3_SK_jT4_jjP12ihipStream_tbEUlT_E_NS1_11comp_targetILNS1_3genE2ELNS1_11target_archE906ELNS1_3gpuE6ELNS1_3repE0EEENS1_52radix_sort_onesweep_histogram_config_static_selectorELNS0_4arch9wavefront6targetE1EEEvSI_,"axG",@progbits,_ZN7rocprim17ROCPRIM_400000_NS6detail17trampoline_kernelINS0_14default_configENS1_35radix_sort_onesweep_config_selectorIsNS0_10empty_typeEEEZNS1_34radix_sort_onesweep_global_offsetsIS3_Lb0EN6thrust23THRUST_200600_302600_NS6detail15normal_iteratorINS9_10device_ptrIsEEEEPS5_jNS0_19identity_decomposerEEE10hipError_tT1_T2_PT3_SK_jT4_jjP12ihipStream_tbEUlT_E_NS1_11comp_targetILNS1_3genE2ELNS1_11target_archE906ELNS1_3gpuE6ELNS1_3repE0EEENS1_52radix_sort_onesweep_histogram_config_static_selectorELNS0_4arch9wavefront6targetE1EEEvSI_,comdat
.Lfunc_end1926:
	.size	_ZN7rocprim17ROCPRIM_400000_NS6detail17trampoline_kernelINS0_14default_configENS1_35radix_sort_onesweep_config_selectorIsNS0_10empty_typeEEEZNS1_34radix_sort_onesweep_global_offsetsIS3_Lb0EN6thrust23THRUST_200600_302600_NS6detail15normal_iteratorINS9_10device_ptrIsEEEEPS5_jNS0_19identity_decomposerEEE10hipError_tT1_T2_PT3_SK_jT4_jjP12ihipStream_tbEUlT_E_NS1_11comp_targetILNS1_3genE2ELNS1_11target_archE906ELNS1_3gpuE6ELNS1_3repE0EEENS1_52radix_sort_onesweep_histogram_config_static_selectorELNS0_4arch9wavefront6targetE1EEEvSI_, .Lfunc_end1926-_ZN7rocprim17ROCPRIM_400000_NS6detail17trampoline_kernelINS0_14default_configENS1_35radix_sort_onesweep_config_selectorIsNS0_10empty_typeEEEZNS1_34radix_sort_onesweep_global_offsetsIS3_Lb0EN6thrust23THRUST_200600_302600_NS6detail15normal_iteratorINS9_10device_ptrIsEEEEPS5_jNS0_19identity_decomposerEEE10hipError_tT1_T2_PT3_SK_jT4_jjP12ihipStream_tbEUlT_E_NS1_11comp_targetILNS1_3genE2ELNS1_11target_archE906ELNS1_3gpuE6ELNS1_3repE0EEENS1_52radix_sort_onesweep_histogram_config_static_selectorELNS0_4arch9wavefront6targetE1EEEvSI_
                                        ; -- End function
	.section	.AMDGPU.csdata,"",@progbits
; Kernel info:
; codeLenInByte = 0
; NumSgprs: 6
; NumVgprs: 0
; NumAgprs: 0
; TotalNumVgprs: 0
; ScratchSize: 0
; MemoryBound: 0
; FloatMode: 240
; IeeeMode: 1
; LDSByteSize: 0 bytes/workgroup (compile time only)
; SGPRBlocks: 0
; VGPRBlocks: 0
; NumSGPRsForWavesPerEU: 6
; NumVGPRsForWavesPerEU: 1
; AccumOffset: 4
; Occupancy: 8
; WaveLimiterHint : 0
; COMPUTE_PGM_RSRC2:SCRATCH_EN: 0
; COMPUTE_PGM_RSRC2:USER_SGPR: 2
; COMPUTE_PGM_RSRC2:TRAP_HANDLER: 0
; COMPUTE_PGM_RSRC2:TGID_X_EN: 1
; COMPUTE_PGM_RSRC2:TGID_Y_EN: 0
; COMPUTE_PGM_RSRC2:TGID_Z_EN: 0
; COMPUTE_PGM_RSRC2:TIDIG_COMP_CNT: 0
; COMPUTE_PGM_RSRC3_GFX90A:ACCUM_OFFSET: 0
; COMPUTE_PGM_RSRC3_GFX90A:TG_SPLIT: 0
	.section	.text._ZN7rocprim17ROCPRIM_400000_NS6detail17trampoline_kernelINS0_14default_configENS1_35radix_sort_onesweep_config_selectorIsNS0_10empty_typeEEEZNS1_34radix_sort_onesweep_global_offsetsIS3_Lb0EN6thrust23THRUST_200600_302600_NS6detail15normal_iteratorINS9_10device_ptrIsEEEEPS5_jNS0_19identity_decomposerEEE10hipError_tT1_T2_PT3_SK_jT4_jjP12ihipStream_tbEUlT_E_NS1_11comp_targetILNS1_3genE4ELNS1_11target_archE910ELNS1_3gpuE8ELNS1_3repE0EEENS1_52radix_sort_onesweep_histogram_config_static_selectorELNS0_4arch9wavefront6targetE1EEEvSI_,"axG",@progbits,_ZN7rocprim17ROCPRIM_400000_NS6detail17trampoline_kernelINS0_14default_configENS1_35radix_sort_onesweep_config_selectorIsNS0_10empty_typeEEEZNS1_34radix_sort_onesweep_global_offsetsIS3_Lb0EN6thrust23THRUST_200600_302600_NS6detail15normal_iteratorINS9_10device_ptrIsEEEEPS5_jNS0_19identity_decomposerEEE10hipError_tT1_T2_PT3_SK_jT4_jjP12ihipStream_tbEUlT_E_NS1_11comp_targetILNS1_3genE4ELNS1_11target_archE910ELNS1_3gpuE8ELNS1_3repE0EEENS1_52radix_sort_onesweep_histogram_config_static_selectorELNS0_4arch9wavefront6targetE1EEEvSI_,comdat
	.protected	_ZN7rocprim17ROCPRIM_400000_NS6detail17trampoline_kernelINS0_14default_configENS1_35radix_sort_onesweep_config_selectorIsNS0_10empty_typeEEEZNS1_34radix_sort_onesweep_global_offsetsIS3_Lb0EN6thrust23THRUST_200600_302600_NS6detail15normal_iteratorINS9_10device_ptrIsEEEEPS5_jNS0_19identity_decomposerEEE10hipError_tT1_T2_PT3_SK_jT4_jjP12ihipStream_tbEUlT_E_NS1_11comp_targetILNS1_3genE4ELNS1_11target_archE910ELNS1_3gpuE8ELNS1_3repE0EEENS1_52radix_sort_onesweep_histogram_config_static_selectorELNS0_4arch9wavefront6targetE1EEEvSI_ ; -- Begin function _ZN7rocprim17ROCPRIM_400000_NS6detail17trampoline_kernelINS0_14default_configENS1_35radix_sort_onesweep_config_selectorIsNS0_10empty_typeEEEZNS1_34radix_sort_onesweep_global_offsetsIS3_Lb0EN6thrust23THRUST_200600_302600_NS6detail15normal_iteratorINS9_10device_ptrIsEEEEPS5_jNS0_19identity_decomposerEEE10hipError_tT1_T2_PT3_SK_jT4_jjP12ihipStream_tbEUlT_E_NS1_11comp_targetILNS1_3genE4ELNS1_11target_archE910ELNS1_3gpuE8ELNS1_3repE0EEENS1_52radix_sort_onesweep_histogram_config_static_selectorELNS0_4arch9wavefront6targetE1EEEvSI_
	.globl	_ZN7rocprim17ROCPRIM_400000_NS6detail17trampoline_kernelINS0_14default_configENS1_35radix_sort_onesweep_config_selectorIsNS0_10empty_typeEEEZNS1_34radix_sort_onesweep_global_offsetsIS3_Lb0EN6thrust23THRUST_200600_302600_NS6detail15normal_iteratorINS9_10device_ptrIsEEEEPS5_jNS0_19identity_decomposerEEE10hipError_tT1_T2_PT3_SK_jT4_jjP12ihipStream_tbEUlT_E_NS1_11comp_targetILNS1_3genE4ELNS1_11target_archE910ELNS1_3gpuE8ELNS1_3repE0EEENS1_52radix_sort_onesweep_histogram_config_static_selectorELNS0_4arch9wavefront6targetE1EEEvSI_
	.p2align	8
	.type	_ZN7rocprim17ROCPRIM_400000_NS6detail17trampoline_kernelINS0_14default_configENS1_35radix_sort_onesweep_config_selectorIsNS0_10empty_typeEEEZNS1_34radix_sort_onesweep_global_offsetsIS3_Lb0EN6thrust23THRUST_200600_302600_NS6detail15normal_iteratorINS9_10device_ptrIsEEEEPS5_jNS0_19identity_decomposerEEE10hipError_tT1_T2_PT3_SK_jT4_jjP12ihipStream_tbEUlT_E_NS1_11comp_targetILNS1_3genE4ELNS1_11target_archE910ELNS1_3gpuE8ELNS1_3repE0EEENS1_52radix_sort_onesweep_histogram_config_static_selectorELNS0_4arch9wavefront6targetE1EEEvSI_,@function
_ZN7rocprim17ROCPRIM_400000_NS6detail17trampoline_kernelINS0_14default_configENS1_35radix_sort_onesweep_config_selectorIsNS0_10empty_typeEEEZNS1_34radix_sort_onesweep_global_offsetsIS3_Lb0EN6thrust23THRUST_200600_302600_NS6detail15normal_iteratorINS9_10device_ptrIsEEEEPS5_jNS0_19identity_decomposerEEE10hipError_tT1_T2_PT3_SK_jT4_jjP12ihipStream_tbEUlT_E_NS1_11comp_targetILNS1_3genE4ELNS1_11target_archE910ELNS1_3gpuE8ELNS1_3repE0EEENS1_52radix_sort_onesweep_histogram_config_static_selectorELNS0_4arch9wavefront6targetE1EEEvSI_: ; @_ZN7rocprim17ROCPRIM_400000_NS6detail17trampoline_kernelINS0_14default_configENS1_35radix_sort_onesweep_config_selectorIsNS0_10empty_typeEEEZNS1_34radix_sort_onesweep_global_offsetsIS3_Lb0EN6thrust23THRUST_200600_302600_NS6detail15normal_iteratorINS9_10device_ptrIsEEEEPS5_jNS0_19identity_decomposerEEE10hipError_tT1_T2_PT3_SK_jT4_jjP12ihipStream_tbEUlT_E_NS1_11comp_targetILNS1_3genE4ELNS1_11target_archE910ELNS1_3gpuE8ELNS1_3repE0EEENS1_52radix_sort_onesweep_histogram_config_static_selectorELNS0_4arch9wavefront6targetE1EEEvSI_
; %bb.0:
	.section	.rodata,"a",@progbits
	.p2align	6, 0x0
	.amdhsa_kernel _ZN7rocprim17ROCPRIM_400000_NS6detail17trampoline_kernelINS0_14default_configENS1_35radix_sort_onesweep_config_selectorIsNS0_10empty_typeEEEZNS1_34radix_sort_onesweep_global_offsetsIS3_Lb0EN6thrust23THRUST_200600_302600_NS6detail15normal_iteratorINS9_10device_ptrIsEEEEPS5_jNS0_19identity_decomposerEEE10hipError_tT1_T2_PT3_SK_jT4_jjP12ihipStream_tbEUlT_E_NS1_11comp_targetILNS1_3genE4ELNS1_11target_archE910ELNS1_3gpuE8ELNS1_3repE0EEENS1_52radix_sort_onesweep_histogram_config_static_selectorELNS0_4arch9wavefront6targetE1EEEvSI_
		.amdhsa_group_segment_fixed_size 0
		.amdhsa_private_segment_fixed_size 0
		.amdhsa_kernarg_size 40
		.amdhsa_user_sgpr_count 2
		.amdhsa_user_sgpr_dispatch_ptr 0
		.amdhsa_user_sgpr_queue_ptr 0
		.amdhsa_user_sgpr_kernarg_segment_ptr 1
		.amdhsa_user_sgpr_dispatch_id 0
		.amdhsa_user_sgpr_kernarg_preload_length 0
		.amdhsa_user_sgpr_kernarg_preload_offset 0
		.amdhsa_user_sgpr_private_segment_size 0
		.amdhsa_uses_dynamic_stack 0
		.amdhsa_enable_private_segment 0
		.amdhsa_system_sgpr_workgroup_id_x 1
		.amdhsa_system_sgpr_workgroup_id_y 0
		.amdhsa_system_sgpr_workgroup_id_z 0
		.amdhsa_system_sgpr_workgroup_info 0
		.amdhsa_system_vgpr_workitem_id 0
		.amdhsa_next_free_vgpr 1
		.amdhsa_next_free_sgpr 0
		.amdhsa_accum_offset 4
		.amdhsa_reserve_vcc 0
		.amdhsa_float_round_mode_32 0
		.amdhsa_float_round_mode_16_64 0
		.amdhsa_float_denorm_mode_32 3
		.amdhsa_float_denorm_mode_16_64 3
		.amdhsa_dx10_clamp 1
		.amdhsa_ieee_mode 1
		.amdhsa_fp16_overflow 0
		.amdhsa_tg_split 0
		.amdhsa_exception_fp_ieee_invalid_op 0
		.amdhsa_exception_fp_denorm_src 0
		.amdhsa_exception_fp_ieee_div_zero 0
		.amdhsa_exception_fp_ieee_overflow 0
		.amdhsa_exception_fp_ieee_underflow 0
		.amdhsa_exception_fp_ieee_inexact 0
		.amdhsa_exception_int_div_zero 0
	.end_amdhsa_kernel
	.section	.text._ZN7rocprim17ROCPRIM_400000_NS6detail17trampoline_kernelINS0_14default_configENS1_35radix_sort_onesweep_config_selectorIsNS0_10empty_typeEEEZNS1_34radix_sort_onesweep_global_offsetsIS3_Lb0EN6thrust23THRUST_200600_302600_NS6detail15normal_iteratorINS9_10device_ptrIsEEEEPS5_jNS0_19identity_decomposerEEE10hipError_tT1_T2_PT3_SK_jT4_jjP12ihipStream_tbEUlT_E_NS1_11comp_targetILNS1_3genE4ELNS1_11target_archE910ELNS1_3gpuE8ELNS1_3repE0EEENS1_52radix_sort_onesweep_histogram_config_static_selectorELNS0_4arch9wavefront6targetE1EEEvSI_,"axG",@progbits,_ZN7rocprim17ROCPRIM_400000_NS6detail17trampoline_kernelINS0_14default_configENS1_35radix_sort_onesweep_config_selectorIsNS0_10empty_typeEEEZNS1_34radix_sort_onesweep_global_offsetsIS3_Lb0EN6thrust23THRUST_200600_302600_NS6detail15normal_iteratorINS9_10device_ptrIsEEEEPS5_jNS0_19identity_decomposerEEE10hipError_tT1_T2_PT3_SK_jT4_jjP12ihipStream_tbEUlT_E_NS1_11comp_targetILNS1_3genE4ELNS1_11target_archE910ELNS1_3gpuE8ELNS1_3repE0EEENS1_52radix_sort_onesweep_histogram_config_static_selectorELNS0_4arch9wavefront6targetE1EEEvSI_,comdat
.Lfunc_end1927:
	.size	_ZN7rocprim17ROCPRIM_400000_NS6detail17trampoline_kernelINS0_14default_configENS1_35radix_sort_onesweep_config_selectorIsNS0_10empty_typeEEEZNS1_34radix_sort_onesweep_global_offsetsIS3_Lb0EN6thrust23THRUST_200600_302600_NS6detail15normal_iteratorINS9_10device_ptrIsEEEEPS5_jNS0_19identity_decomposerEEE10hipError_tT1_T2_PT3_SK_jT4_jjP12ihipStream_tbEUlT_E_NS1_11comp_targetILNS1_3genE4ELNS1_11target_archE910ELNS1_3gpuE8ELNS1_3repE0EEENS1_52radix_sort_onesweep_histogram_config_static_selectorELNS0_4arch9wavefront6targetE1EEEvSI_, .Lfunc_end1927-_ZN7rocprim17ROCPRIM_400000_NS6detail17trampoline_kernelINS0_14default_configENS1_35radix_sort_onesweep_config_selectorIsNS0_10empty_typeEEEZNS1_34radix_sort_onesweep_global_offsetsIS3_Lb0EN6thrust23THRUST_200600_302600_NS6detail15normal_iteratorINS9_10device_ptrIsEEEEPS5_jNS0_19identity_decomposerEEE10hipError_tT1_T2_PT3_SK_jT4_jjP12ihipStream_tbEUlT_E_NS1_11comp_targetILNS1_3genE4ELNS1_11target_archE910ELNS1_3gpuE8ELNS1_3repE0EEENS1_52radix_sort_onesweep_histogram_config_static_selectorELNS0_4arch9wavefront6targetE1EEEvSI_
                                        ; -- End function
	.section	.AMDGPU.csdata,"",@progbits
; Kernel info:
; codeLenInByte = 0
; NumSgprs: 6
; NumVgprs: 0
; NumAgprs: 0
; TotalNumVgprs: 0
; ScratchSize: 0
; MemoryBound: 0
; FloatMode: 240
; IeeeMode: 1
; LDSByteSize: 0 bytes/workgroup (compile time only)
; SGPRBlocks: 0
; VGPRBlocks: 0
; NumSGPRsForWavesPerEU: 6
; NumVGPRsForWavesPerEU: 1
; AccumOffset: 4
; Occupancy: 8
; WaveLimiterHint : 0
; COMPUTE_PGM_RSRC2:SCRATCH_EN: 0
; COMPUTE_PGM_RSRC2:USER_SGPR: 2
; COMPUTE_PGM_RSRC2:TRAP_HANDLER: 0
; COMPUTE_PGM_RSRC2:TGID_X_EN: 1
; COMPUTE_PGM_RSRC2:TGID_Y_EN: 0
; COMPUTE_PGM_RSRC2:TGID_Z_EN: 0
; COMPUTE_PGM_RSRC2:TIDIG_COMP_CNT: 0
; COMPUTE_PGM_RSRC3_GFX90A:ACCUM_OFFSET: 0
; COMPUTE_PGM_RSRC3_GFX90A:TG_SPLIT: 0
	.section	.text._ZN7rocprim17ROCPRIM_400000_NS6detail17trampoline_kernelINS0_14default_configENS1_35radix_sort_onesweep_config_selectorIsNS0_10empty_typeEEEZNS1_34radix_sort_onesweep_global_offsetsIS3_Lb0EN6thrust23THRUST_200600_302600_NS6detail15normal_iteratorINS9_10device_ptrIsEEEEPS5_jNS0_19identity_decomposerEEE10hipError_tT1_T2_PT3_SK_jT4_jjP12ihipStream_tbEUlT_E_NS1_11comp_targetILNS1_3genE3ELNS1_11target_archE908ELNS1_3gpuE7ELNS1_3repE0EEENS1_52radix_sort_onesweep_histogram_config_static_selectorELNS0_4arch9wavefront6targetE1EEEvSI_,"axG",@progbits,_ZN7rocprim17ROCPRIM_400000_NS6detail17trampoline_kernelINS0_14default_configENS1_35radix_sort_onesweep_config_selectorIsNS0_10empty_typeEEEZNS1_34radix_sort_onesweep_global_offsetsIS3_Lb0EN6thrust23THRUST_200600_302600_NS6detail15normal_iteratorINS9_10device_ptrIsEEEEPS5_jNS0_19identity_decomposerEEE10hipError_tT1_T2_PT3_SK_jT4_jjP12ihipStream_tbEUlT_E_NS1_11comp_targetILNS1_3genE3ELNS1_11target_archE908ELNS1_3gpuE7ELNS1_3repE0EEENS1_52radix_sort_onesweep_histogram_config_static_selectorELNS0_4arch9wavefront6targetE1EEEvSI_,comdat
	.protected	_ZN7rocprim17ROCPRIM_400000_NS6detail17trampoline_kernelINS0_14default_configENS1_35radix_sort_onesweep_config_selectorIsNS0_10empty_typeEEEZNS1_34radix_sort_onesweep_global_offsetsIS3_Lb0EN6thrust23THRUST_200600_302600_NS6detail15normal_iteratorINS9_10device_ptrIsEEEEPS5_jNS0_19identity_decomposerEEE10hipError_tT1_T2_PT3_SK_jT4_jjP12ihipStream_tbEUlT_E_NS1_11comp_targetILNS1_3genE3ELNS1_11target_archE908ELNS1_3gpuE7ELNS1_3repE0EEENS1_52radix_sort_onesweep_histogram_config_static_selectorELNS0_4arch9wavefront6targetE1EEEvSI_ ; -- Begin function _ZN7rocprim17ROCPRIM_400000_NS6detail17trampoline_kernelINS0_14default_configENS1_35radix_sort_onesweep_config_selectorIsNS0_10empty_typeEEEZNS1_34radix_sort_onesweep_global_offsetsIS3_Lb0EN6thrust23THRUST_200600_302600_NS6detail15normal_iteratorINS9_10device_ptrIsEEEEPS5_jNS0_19identity_decomposerEEE10hipError_tT1_T2_PT3_SK_jT4_jjP12ihipStream_tbEUlT_E_NS1_11comp_targetILNS1_3genE3ELNS1_11target_archE908ELNS1_3gpuE7ELNS1_3repE0EEENS1_52radix_sort_onesweep_histogram_config_static_selectorELNS0_4arch9wavefront6targetE1EEEvSI_
	.globl	_ZN7rocprim17ROCPRIM_400000_NS6detail17trampoline_kernelINS0_14default_configENS1_35radix_sort_onesweep_config_selectorIsNS0_10empty_typeEEEZNS1_34radix_sort_onesweep_global_offsetsIS3_Lb0EN6thrust23THRUST_200600_302600_NS6detail15normal_iteratorINS9_10device_ptrIsEEEEPS5_jNS0_19identity_decomposerEEE10hipError_tT1_T2_PT3_SK_jT4_jjP12ihipStream_tbEUlT_E_NS1_11comp_targetILNS1_3genE3ELNS1_11target_archE908ELNS1_3gpuE7ELNS1_3repE0EEENS1_52radix_sort_onesweep_histogram_config_static_selectorELNS0_4arch9wavefront6targetE1EEEvSI_
	.p2align	8
	.type	_ZN7rocprim17ROCPRIM_400000_NS6detail17trampoline_kernelINS0_14default_configENS1_35radix_sort_onesweep_config_selectorIsNS0_10empty_typeEEEZNS1_34radix_sort_onesweep_global_offsetsIS3_Lb0EN6thrust23THRUST_200600_302600_NS6detail15normal_iteratorINS9_10device_ptrIsEEEEPS5_jNS0_19identity_decomposerEEE10hipError_tT1_T2_PT3_SK_jT4_jjP12ihipStream_tbEUlT_E_NS1_11comp_targetILNS1_3genE3ELNS1_11target_archE908ELNS1_3gpuE7ELNS1_3repE0EEENS1_52radix_sort_onesweep_histogram_config_static_selectorELNS0_4arch9wavefront6targetE1EEEvSI_,@function
_ZN7rocprim17ROCPRIM_400000_NS6detail17trampoline_kernelINS0_14default_configENS1_35radix_sort_onesweep_config_selectorIsNS0_10empty_typeEEEZNS1_34radix_sort_onesweep_global_offsetsIS3_Lb0EN6thrust23THRUST_200600_302600_NS6detail15normal_iteratorINS9_10device_ptrIsEEEEPS5_jNS0_19identity_decomposerEEE10hipError_tT1_T2_PT3_SK_jT4_jjP12ihipStream_tbEUlT_E_NS1_11comp_targetILNS1_3genE3ELNS1_11target_archE908ELNS1_3gpuE7ELNS1_3repE0EEENS1_52radix_sort_onesweep_histogram_config_static_selectorELNS0_4arch9wavefront6targetE1EEEvSI_: ; @_ZN7rocprim17ROCPRIM_400000_NS6detail17trampoline_kernelINS0_14default_configENS1_35radix_sort_onesweep_config_selectorIsNS0_10empty_typeEEEZNS1_34radix_sort_onesweep_global_offsetsIS3_Lb0EN6thrust23THRUST_200600_302600_NS6detail15normal_iteratorINS9_10device_ptrIsEEEEPS5_jNS0_19identity_decomposerEEE10hipError_tT1_T2_PT3_SK_jT4_jjP12ihipStream_tbEUlT_E_NS1_11comp_targetILNS1_3genE3ELNS1_11target_archE908ELNS1_3gpuE7ELNS1_3repE0EEENS1_52radix_sort_onesweep_histogram_config_static_selectorELNS0_4arch9wavefront6targetE1EEEvSI_
; %bb.0:
	.section	.rodata,"a",@progbits
	.p2align	6, 0x0
	.amdhsa_kernel _ZN7rocprim17ROCPRIM_400000_NS6detail17trampoline_kernelINS0_14default_configENS1_35radix_sort_onesweep_config_selectorIsNS0_10empty_typeEEEZNS1_34radix_sort_onesweep_global_offsetsIS3_Lb0EN6thrust23THRUST_200600_302600_NS6detail15normal_iteratorINS9_10device_ptrIsEEEEPS5_jNS0_19identity_decomposerEEE10hipError_tT1_T2_PT3_SK_jT4_jjP12ihipStream_tbEUlT_E_NS1_11comp_targetILNS1_3genE3ELNS1_11target_archE908ELNS1_3gpuE7ELNS1_3repE0EEENS1_52radix_sort_onesweep_histogram_config_static_selectorELNS0_4arch9wavefront6targetE1EEEvSI_
		.amdhsa_group_segment_fixed_size 0
		.amdhsa_private_segment_fixed_size 0
		.amdhsa_kernarg_size 40
		.amdhsa_user_sgpr_count 2
		.amdhsa_user_sgpr_dispatch_ptr 0
		.amdhsa_user_sgpr_queue_ptr 0
		.amdhsa_user_sgpr_kernarg_segment_ptr 1
		.amdhsa_user_sgpr_dispatch_id 0
		.amdhsa_user_sgpr_kernarg_preload_length 0
		.amdhsa_user_sgpr_kernarg_preload_offset 0
		.amdhsa_user_sgpr_private_segment_size 0
		.amdhsa_uses_dynamic_stack 0
		.amdhsa_enable_private_segment 0
		.amdhsa_system_sgpr_workgroup_id_x 1
		.amdhsa_system_sgpr_workgroup_id_y 0
		.amdhsa_system_sgpr_workgroup_id_z 0
		.amdhsa_system_sgpr_workgroup_info 0
		.amdhsa_system_vgpr_workitem_id 0
		.amdhsa_next_free_vgpr 1
		.amdhsa_next_free_sgpr 0
		.amdhsa_accum_offset 4
		.amdhsa_reserve_vcc 0
		.amdhsa_float_round_mode_32 0
		.amdhsa_float_round_mode_16_64 0
		.amdhsa_float_denorm_mode_32 3
		.amdhsa_float_denorm_mode_16_64 3
		.amdhsa_dx10_clamp 1
		.amdhsa_ieee_mode 1
		.amdhsa_fp16_overflow 0
		.amdhsa_tg_split 0
		.amdhsa_exception_fp_ieee_invalid_op 0
		.amdhsa_exception_fp_denorm_src 0
		.amdhsa_exception_fp_ieee_div_zero 0
		.amdhsa_exception_fp_ieee_overflow 0
		.amdhsa_exception_fp_ieee_underflow 0
		.amdhsa_exception_fp_ieee_inexact 0
		.amdhsa_exception_int_div_zero 0
	.end_amdhsa_kernel
	.section	.text._ZN7rocprim17ROCPRIM_400000_NS6detail17trampoline_kernelINS0_14default_configENS1_35radix_sort_onesweep_config_selectorIsNS0_10empty_typeEEEZNS1_34radix_sort_onesweep_global_offsetsIS3_Lb0EN6thrust23THRUST_200600_302600_NS6detail15normal_iteratorINS9_10device_ptrIsEEEEPS5_jNS0_19identity_decomposerEEE10hipError_tT1_T2_PT3_SK_jT4_jjP12ihipStream_tbEUlT_E_NS1_11comp_targetILNS1_3genE3ELNS1_11target_archE908ELNS1_3gpuE7ELNS1_3repE0EEENS1_52radix_sort_onesweep_histogram_config_static_selectorELNS0_4arch9wavefront6targetE1EEEvSI_,"axG",@progbits,_ZN7rocprim17ROCPRIM_400000_NS6detail17trampoline_kernelINS0_14default_configENS1_35radix_sort_onesweep_config_selectorIsNS0_10empty_typeEEEZNS1_34radix_sort_onesweep_global_offsetsIS3_Lb0EN6thrust23THRUST_200600_302600_NS6detail15normal_iteratorINS9_10device_ptrIsEEEEPS5_jNS0_19identity_decomposerEEE10hipError_tT1_T2_PT3_SK_jT4_jjP12ihipStream_tbEUlT_E_NS1_11comp_targetILNS1_3genE3ELNS1_11target_archE908ELNS1_3gpuE7ELNS1_3repE0EEENS1_52radix_sort_onesweep_histogram_config_static_selectorELNS0_4arch9wavefront6targetE1EEEvSI_,comdat
.Lfunc_end1928:
	.size	_ZN7rocprim17ROCPRIM_400000_NS6detail17trampoline_kernelINS0_14default_configENS1_35radix_sort_onesweep_config_selectorIsNS0_10empty_typeEEEZNS1_34radix_sort_onesweep_global_offsetsIS3_Lb0EN6thrust23THRUST_200600_302600_NS6detail15normal_iteratorINS9_10device_ptrIsEEEEPS5_jNS0_19identity_decomposerEEE10hipError_tT1_T2_PT3_SK_jT4_jjP12ihipStream_tbEUlT_E_NS1_11comp_targetILNS1_3genE3ELNS1_11target_archE908ELNS1_3gpuE7ELNS1_3repE0EEENS1_52radix_sort_onesweep_histogram_config_static_selectorELNS0_4arch9wavefront6targetE1EEEvSI_, .Lfunc_end1928-_ZN7rocprim17ROCPRIM_400000_NS6detail17trampoline_kernelINS0_14default_configENS1_35radix_sort_onesweep_config_selectorIsNS0_10empty_typeEEEZNS1_34radix_sort_onesweep_global_offsetsIS3_Lb0EN6thrust23THRUST_200600_302600_NS6detail15normal_iteratorINS9_10device_ptrIsEEEEPS5_jNS0_19identity_decomposerEEE10hipError_tT1_T2_PT3_SK_jT4_jjP12ihipStream_tbEUlT_E_NS1_11comp_targetILNS1_3genE3ELNS1_11target_archE908ELNS1_3gpuE7ELNS1_3repE0EEENS1_52radix_sort_onesweep_histogram_config_static_selectorELNS0_4arch9wavefront6targetE1EEEvSI_
                                        ; -- End function
	.section	.AMDGPU.csdata,"",@progbits
; Kernel info:
; codeLenInByte = 0
; NumSgprs: 6
; NumVgprs: 0
; NumAgprs: 0
; TotalNumVgprs: 0
; ScratchSize: 0
; MemoryBound: 0
; FloatMode: 240
; IeeeMode: 1
; LDSByteSize: 0 bytes/workgroup (compile time only)
; SGPRBlocks: 0
; VGPRBlocks: 0
; NumSGPRsForWavesPerEU: 6
; NumVGPRsForWavesPerEU: 1
; AccumOffset: 4
; Occupancy: 8
; WaveLimiterHint : 0
; COMPUTE_PGM_RSRC2:SCRATCH_EN: 0
; COMPUTE_PGM_RSRC2:USER_SGPR: 2
; COMPUTE_PGM_RSRC2:TRAP_HANDLER: 0
; COMPUTE_PGM_RSRC2:TGID_X_EN: 1
; COMPUTE_PGM_RSRC2:TGID_Y_EN: 0
; COMPUTE_PGM_RSRC2:TGID_Z_EN: 0
; COMPUTE_PGM_RSRC2:TIDIG_COMP_CNT: 0
; COMPUTE_PGM_RSRC3_GFX90A:ACCUM_OFFSET: 0
; COMPUTE_PGM_RSRC3_GFX90A:TG_SPLIT: 0
	.section	.text._ZN7rocprim17ROCPRIM_400000_NS6detail17trampoline_kernelINS0_14default_configENS1_35radix_sort_onesweep_config_selectorIsNS0_10empty_typeEEEZNS1_34radix_sort_onesweep_global_offsetsIS3_Lb0EN6thrust23THRUST_200600_302600_NS6detail15normal_iteratorINS9_10device_ptrIsEEEEPS5_jNS0_19identity_decomposerEEE10hipError_tT1_T2_PT3_SK_jT4_jjP12ihipStream_tbEUlT_E_NS1_11comp_targetILNS1_3genE10ELNS1_11target_archE1201ELNS1_3gpuE5ELNS1_3repE0EEENS1_52radix_sort_onesweep_histogram_config_static_selectorELNS0_4arch9wavefront6targetE1EEEvSI_,"axG",@progbits,_ZN7rocprim17ROCPRIM_400000_NS6detail17trampoline_kernelINS0_14default_configENS1_35radix_sort_onesweep_config_selectorIsNS0_10empty_typeEEEZNS1_34radix_sort_onesweep_global_offsetsIS3_Lb0EN6thrust23THRUST_200600_302600_NS6detail15normal_iteratorINS9_10device_ptrIsEEEEPS5_jNS0_19identity_decomposerEEE10hipError_tT1_T2_PT3_SK_jT4_jjP12ihipStream_tbEUlT_E_NS1_11comp_targetILNS1_3genE10ELNS1_11target_archE1201ELNS1_3gpuE5ELNS1_3repE0EEENS1_52radix_sort_onesweep_histogram_config_static_selectorELNS0_4arch9wavefront6targetE1EEEvSI_,comdat
	.protected	_ZN7rocprim17ROCPRIM_400000_NS6detail17trampoline_kernelINS0_14default_configENS1_35radix_sort_onesweep_config_selectorIsNS0_10empty_typeEEEZNS1_34radix_sort_onesweep_global_offsetsIS3_Lb0EN6thrust23THRUST_200600_302600_NS6detail15normal_iteratorINS9_10device_ptrIsEEEEPS5_jNS0_19identity_decomposerEEE10hipError_tT1_T2_PT3_SK_jT4_jjP12ihipStream_tbEUlT_E_NS1_11comp_targetILNS1_3genE10ELNS1_11target_archE1201ELNS1_3gpuE5ELNS1_3repE0EEENS1_52radix_sort_onesweep_histogram_config_static_selectorELNS0_4arch9wavefront6targetE1EEEvSI_ ; -- Begin function _ZN7rocprim17ROCPRIM_400000_NS6detail17trampoline_kernelINS0_14default_configENS1_35radix_sort_onesweep_config_selectorIsNS0_10empty_typeEEEZNS1_34radix_sort_onesweep_global_offsetsIS3_Lb0EN6thrust23THRUST_200600_302600_NS6detail15normal_iteratorINS9_10device_ptrIsEEEEPS5_jNS0_19identity_decomposerEEE10hipError_tT1_T2_PT3_SK_jT4_jjP12ihipStream_tbEUlT_E_NS1_11comp_targetILNS1_3genE10ELNS1_11target_archE1201ELNS1_3gpuE5ELNS1_3repE0EEENS1_52radix_sort_onesweep_histogram_config_static_selectorELNS0_4arch9wavefront6targetE1EEEvSI_
	.globl	_ZN7rocprim17ROCPRIM_400000_NS6detail17trampoline_kernelINS0_14default_configENS1_35radix_sort_onesweep_config_selectorIsNS0_10empty_typeEEEZNS1_34radix_sort_onesweep_global_offsetsIS3_Lb0EN6thrust23THRUST_200600_302600_NS6detail15normal_iteratorINS9_10device_ptrIsEEEEPS5_jNS0_19identity_decomposerEEE10hipError_tT1_T2_PT3_SK_jT4_jjP12ihipStream_tbEUlT_E_NS1_11comp_targetILNS1_3genE10ELNS1_11target_archE1201ELNS1_3gpuE5ELNS1_3repE0EEENS1_52radix_sort_onesweep_histogram_config_static_selectorELNS0_4arch9wavefront6targetE1EEEvSI_
	.p2align	8
	.type	_ZN7rocprim17ROCPRIM_400000_NS6detail17trampoline_kernelINS0_14default_configENS1_35radix_sort_onesweep_config_selectorIsNS0_10empty_typeEEEZNS1_34radix_sort_onesweep_global_offsetsIS3_Lb0EN6thrust23THRUST_200600_302600_NS6detail15normal_iteratorINS9_10device_ptrIsEEEEPS5_jNS0_19identity_decomposerEEE10hipError_tT1_T2_PT3_SK_jT4_jjP12ihipStream_tbEUlT_E_NS1_11comp_targetILNS1_3genE10ELNS1_11target_archE1201ELNS1_3gpuE5ELNS1_3repE0EEENS1_52radix_sort_onesweep_histogram_config_static_selectorELNS0_4arch9wavefront6targetE1EEEvSI_,@function
_ZN7rocprim17ROCPRIM_400000_NS6detail17trampoline_kernelINS0_14default_configENS1_35radix_sort_onesweep_config_selectorIsNS0_10empty_typeEEEZNS1_34radix_sort_onesweep_global_offsetsIS3_Lb0EN6thrust23THRUST_200600_302600_NS6detail15normal_iteratorINS9_10device_ptrIsEEEEPS5_jNS0_19identity_decomposerEEE10hipError_tT1_T2_PT3_SK_jT4_jjP12ihipStream_tbEUlT_E_NS1_11comp_targetILNS1_3genE10ELNS1_11target_archE1201ELNS1_3gpuE5ELNS1_3repE0EEENS1_52radix_sort_onesweep_histogram_config_static_selectorELNS0_4arch9wavefront6targetE1EEEvSI_: ; @_ZN7rocprim17ROCPRIM_400000_NS6detail17trampoline_kernelINS0_14default_configENS1_35radix_sort_onesweep_config_selectorIsNS0_10empty_typeEEEZNS1_34radix_sort_onesweep_global_offsetsIS3_Lb0EN6thrust23THRUST_200600_302600_NS6detail15normal_iteratorINS9_10device_ptrIsEEEEPS5_jNS0_19identity_decomposerEEE10hipError_tT1_T2_PT3_SK_jT4_jjP12ihipStream_tbEUlT_E_NS1_11comp_targetILNS1_3genE10ELNS1_11target_archE1201ELNS1_3gpuE5ELNS1_3repE0EEENS1_52radix_sort_onesweep_histogram_config_static_selectorELNS0_4arch9wavefront6targetE1EEEvSI_
; %bb.0:
	.section	.rodata,"a",@progbits
	.p2align	6, 0x0
	.amdhsa_kernel _ZN7rocprim17ROCPRIM_400000_NS6detail17trampoline_kernelINS0_14default_configENS1_35radix_sort_onesweep_config_selectorIsNS0_10empty_typeEEEZNS1_34radix_sort_onesweep_global_offsetsIS3_Lb0EN6thrust23THRUST_200600_302600_NS6detail15normal_iteratorINS9_10device_ptrIsEEEEPS5_jNS0_19identity_decomposerEEE10hipError_tT1_T2_PT3_SK_jT4_jjP12ihipStream_tbEUlT_E_NS1_11comp_targetILNS1_3genE10ELNS1_11target_archE1201ELNS1_3gpuE5ELNS1_3repE0EEENS1_52radix_sort_onesweep_histogram_config_static_selectorELNS0_4arch9wavefront6targetE1EEEvSI_
		.amdhsa_group_segment_fixed_size 0
		.amdhsa_private_segment_fixed_size 0
		.amdhsa_kernarg_size 40
		.amdhsa_user_sgpr_count 2
		.amdhsa_user_sgpr_dispatch_ptr 0
		.amdhsa_user_sgpr_queue_ptr 0
		.amdhsa_user_sgpr_kernarg_segment_ptr 1
		.amdhsa_user_sgpr_dispatch_id 0
		.amdhsa_user_sgpr_kernarg_preload_length 0
		.amdhsa_user_sgpr_kernarg_preload_offset 0
		.amdhsa_user_sgpr_private_segment_size 0
		.amdhsa_uses_dynamic_stack 0
		.amdhsa_enable_private_segment 0
		.amdhsa_system_sgpr_workgroup_id_x 1
		.amdhsa_system_sgpr_workgroup_id_y 0
		.amdhsa_system_sgpr_workgroup_id_z 0
		.amdhsa_system_sgpr_workgroup_info 0
		.amdhsa_system_vgpr_workitem_id 0
		.amdhsa_next_free_vgpr 1
		.amdhsa_next_free_sgpr 0
		.amdhsa_accum_offset 4
		.amdhsa_reserve_vcc 0
		.amdhsa_float_round_mode_32 0
		.amdhsa_float_round_mode_16_64 0
		.amdhsa_float_denorm_mode_32 3
		.amdhsa_float_denorm_mode_16_64 3
		.amdhsa_dx10_clamp 1
		.amdhsa_ieee_mode 1
		.amdhsa_fp16_overflow 0
		.amdhsa_tg_split 0
		.amdhsa_exception_fp_ieee_invalid_op 0
		.amdhsa_exception_fp_denorm_src 0
		.amdhsa_exception_fp_ieee_div_zero 0
		.amdhsa_exception_fp_ieee_overflow 0
		.amdhsa_exception_fp_ieee_underflow 0
		.amdhsa_exception_fp_ieee_inexact 0
		.amdhsa_exception_int_div_zero 0
	.end_amdhsa_kernel
	.section	.text._ZN7rocprim17ROCPRIM_400000_NS6detail17trampoline_kernelINS0_14default_configENS1_35radix_sort_onesweep_config_selectorIsNS0_10empty_typeEEEZNS1_34radix_sort_onesweep_global_offsetsIS3_Lb0EN6thrust23THRUST_200600_302600_NS6detail15normal_iteratorINS9_10device_ptrIsEEEEPS5_jNS0_19identity_decomposerEEE10hipError_tT1_T2_PT3_SK_jT4_jjP12ihipStream_tbEUlT_E_NS1_11comp_targetILNS1_3genE10ELNS1_11target_archE1201ELNS1_3gpuE5ELNS1_3repE0EEENS1_52radix_sort_onesweep_histogram_config_static_selectorELNS0_4arch9wavefront6targetE1EEEvSI_,"axG",@progbits,_ZN7rocprim17ROCPRIM_400000_NS6detail17trampoline_kernelINS0_14default_configENS1_35radix_sort_onesweep_config_selectorIsNS0_10empty_typeEEEZNS1_34radix_sort_onesweep_global_offsetsIS3_Lb0EN6thrust23THRUST_200600_302600_NS6detail15normal_iteratorINS9_10device_ptrIsEEEEPS5_jNS0_19identity_decomposerEEE10hipError_tT1_T2_PT3_SK_jT4_jjP12ihipStream_tbEUlT_E_NS1_11comp_targetILNS1_3genE10ELNS1_11target_archE1201ELNS1_3gpuE5ELNS1_3repE0EEENS1_52radix_sort_onesweep_histogram_config_static_selectorELNS0_4arch9wavefront6targetE1EEEvSI_,comdat
.Lfunc_end1929:
	.size	_ZN7rocprim17ROCPRIM_400000_NS6detail17trampoline_kernelINS0_14default_configENS1_35radix_sort_onesweep_config_selectorIsNS0_10empty_typeEEEZNS1_34radix_sort_onesweep_global_offsetsIS3_Lb0EN6thrust23THRUST_200600_302600_NS6detail15normal_iteratorINS9_10device_ptrIsEEEEPS5_jNS0_19identity_decomposerEEE10hipError_tT1_T2_PT3_SK_jT4_jjP12ihipStream_tbEUlT_E_NS1_11comp_targetILNS1_3genE10ELNS1_11target_archE1201ELNS1_3gpuE5ELNS1_3repE0EEENS1_52radix_sort_onesweep_histogram_config_static_selectorELNS0_4arch9wavefront6targetE1EEEvSI_, .Lfunc_end1929-_ZN7rocprim17ROCPRIM_400000_NS6detail17trampoline_kernelINS0_14default_configENS1_35radix_sort_onesweep_config_selectorIsNS0_10empty_typeEEEZNS1_34radix_sort_onesweep_global_offsetsIS3_Lb0EN6thrust23THRUST_200600_302600_NS6detail15normal_iteratorINS9_10device_ptrIsEEEEPS5_jNS0_19identity_decomposerEEE10hipError_tT1_T2_PT3_SK_jT4_jjP12ihipStream_tbEUlT_E_NS1_11comp_targetILNS1_3genE10ELNS1_11target_archE1201ELNS1_3gpuE5ELNS1_3repE0EEENS1_52radix_sort_onesweep_histogram_config_static_selectorELNS0_4arch9wavefront6targetE1EEEvSI_
                                        ; -- End function
	.section	.AMDGPU.csdata,"",@progbits
; Kernel info:
; codeLenInByte = 0
; NumSgprs: 6
; NumVgprs: 0
; NumAgprs: 0
; TotalNumVgprs: 0
; ScratchSize: 0
; MemoryBound: 0
; FloatMode: 240
; IeeeMode: 1
; LDSByteSize: 0 bytes/workgroup (compile time only)
; SGPRBlocks: 0
; VGPRBlocks: 0
; NumSGPRsForWavesPerEU: 6
; NumVGPRsForWavesPerEU: 1
; AccumOffset: 4
; Occupancy: 8
; WaveLimiterHint : 0
; COMPUTE_PGM_RSRC2:SCRATCH_EN: 0
; COMPUTE_PGM_RSRC2:USER_SGPR: 2
; COMPUTE_PGM_RSRC2:TRAP_HANDLER: 0
; COMPUTE_PGM_RSRC2:TGID_X_EN: 1
; COMPUTE_PGM_RSRC2:TGID_Y_EN: 0
; COMPUTE_PGM_RSRC2:TGID_Z_EN: 0
; COMPUTE_PGM_RSRC2:TIDIG_COMP_CNT: 0
; COMPUTE_PGM_RSRC3_GFX90A:ACCUM_OFFSET: 0
; COMPUTE_PGM_RSRC3_GFX90A:TG_SPLIT: 0
	.section	.text._ZN7rocprim17ROCPRIM_400000_NS6detail17trampoline_kernelINS0_14default_configENS1_35radix_sort_onesweep_config_selectorIsNS0_10empty_typeEEEZNS1_34radix_sort_onesweep_global_offsetsIS3_Lb0EN6thrust23THRUST_200600_302600_NS6detail15normal_iteratorINS9_10device_ptrIsEEEEPS5_jNS0_19identity_decomposerEEE10hipError_tT1_T2_PT3_SK_jT4_jjP12ihipStream_tbEUlT_E_NS1_11comp_targetILNS1_3genE9ELNS1_11target_archE1100ELNS1_3gpuE3ELNS1_3repE0EEENS1_52radix_sort_onesweep_histogram_config_static_selectorELNS0_4arch9wavefront6targetE1EEEvSI_,"axG",@progbits,_ZN7rocprim17ROCPRIM_400000_NS6detail17trampoline_kernelINS0_14default_configENS1_35radix_sort_onesweep_config_selectorIsNS0_10empty_typeEEEZNS1_34radix_sort_onesweep_global_offsetsIS3_Lb0EN6thrust23THRUST_200600_302600_NS6detail15normal_iteratorINS9_10device_ptrIsEEEEPS5_jNS0_19identity_decomposerEEE10hipError_tT1_T2_PT3_SK_jT4_jjP12ihipStream_tbEUlT_E_NS1_11comp_targetILNS1_3genE9ELNS1_11target_archE1100ELNS1_3gpuE3ELNS1_3repE0EEENS1_52radix_sort_onesweep_histogram_config_static_selectorELNS0_4arch9wavefront6targetE1EEEvSI_,comdat
	.protected	_ZN7rocprim17ROCPRIM_400000_NS6detail17trampoline_kernelINS0_14default_configENS1_35radix_sort_onesweep_config_selectorIsNS0_10empty_typeEEEZNS1_34radix_sort_onesweep_global_offsetsIS3_Lb0EN6thrust23THRUST_200600_302600_NS6detail15normal_iteratorINS9_10device_ptrIsEEEEPS5_jNS0_19identity_decomposerEEE10hipError_tT1_T2_PT3_SK_jT4_jjP12ihipStream_tbEUlT_E_NS1_11comp_targetILNS1_3genE9ELNS1_11target_archE1100ELNS1_3gpuE3ELNS1_3repE0EEENS1_52radix_sort_onesweep_histogram_config_static_selectorELNS0_4arch9wavefront6targetE1EEEvSI_ ; -- Begin function _ZN7rocprim17ROCPRIM_400000_NS6detail17trampoline_kernelINS0_14default_configENS1_35radix_sort_onesweep_config_selectorIsNS0_10empty_typeEEEZNS1_34radix_sort_onesweep_global_offsetsIS3_Lb0EN6thrust23THRUST_200600_302600_NS6detail15normal_iteratorINS9_10device_ptrIsEEEEPS5_jNS0_19identity_decomposerEEE10hipError_tT1_T2_PT3_SK_jT4_jjP12ihipStream_tbEUlT_E_NS1_11comp_targetILNS1_3genE9ELNS1_11target_archE1100ELNS1_3gpuE3ELNS1_3repE0EEENS1_52radix_sort_onesweep_histogram_config_static_selectorELNS0_4arch9wavefront6targetE1EEEvSI_
	.globl	_ZN7rocprim17ROCPRIM_400000_NS6detail17trampoline_kernelINS0_14default_configENS1_35radix_sort_onesweep_config_selectorIsNS0_10empty_typeEEEZNS1_34radix_sort_onesweep_global_offsetsIS3_Lb0EN6thrust23THRUST_200600_302600_NS6detail15normal_iteratorINS9_10device_ptrIsEEEEPS5_jNS0_19identity_decomposerEEE10hipError_tT1_T2_PT3_SK_jT4_jjP12ihipStream_tbEUlT_E_NS1_11comp_targetILNS1_3genE9ELNS1_11target_archE1100ELNS1_3gpuE3ELNS1_3repE0EEENS1_52radix_sort_onesweep_histogram_config_static_selectorELNS0_4arch9wavefront6targetE1EEEvSI_
	.p2align	8
	.type	_ZN7rocprim17ROCPRIM_400000_NS6detail17trampoline_kernelINS0_14default_configENS1_35radix_sort_onesweep_config_selectorIsNS0_10empty_typeEEEZNS1_34radix_sort_onesweep_global_offsetsIS3_Lb0EN6thrust23THRUST_200600_302600_NS6detail15normal_iteratorINS9_10device_ptrIsEEEEPS5_jNS0_19identity_decomposerEEE10hipError_tT1_T2_PT3_SK_jT4_jjP12ihipStream_tbEUlT_E_NS1_11comp_targetILNS1_3genE9ELNS1_11target_archE1100ELNS1_3gpuE3ELNS1_3repE0EEENS1_52radix_sort_onesweep_histogram_config_static_selectorELNS0_4arch9wavefront6targetE1EEEvSI_,@function
_ZN7rocprim17ROCPRIM_400000_NS6detail17trampoline_kernelINS0_14default_configENS1_35radix_sort_onesweep_config_selectorIsNS0_10empty_typeEEEZNS1_34radix_sort_onesweep_global_offsetsIS3_Lb0EN6thrust23THRUST_200600_302600_NS6detail15normal_iteratorINS9_10device_ptrIsEEEEPS5_jNS0_19identity_decomposerEEE10hipError_tT1_T2_PT3_SK_jT4_jjP12ihipStream_tbEUlT_E_NS1_11comp_targetILNS1_3genE9ELNS1_11target_archE1100ELNS1_3gpuE3ELNS1_3repE0EEENS1_52radix_sort_onesweep_histogram_config_static_selectorELNS0_4arch9wavefront6targetE1EEEvSI_: ; @_ZN7rocprim17ROCPRIM_400000_NS6detail17trampoline_kernelINS0_14default_configENS1_35radix_sort_onesweep_config_selectorIsNS0_10empty_typeEEEZNS1_34radix_sort_onesweep_global_offsetsIS3_Lb0EN6thrust23THRUST_200600_302600_NS6detail15normal_iteratorINS9_10device_ptrIsEEEEPS5_jNS0_19identity_decomposerEEE10hipError_tT1_T2_PT3_SK_jT4_jjP12ihipStream_tbEUlT_E_NS1_11comp_targetILNS1_3genE9ELNS1_11target_archE1100ELNS1_3gpuE3ELNS1_3repE0EEENS1_52radix_sort_onesweep_histogram_config_static_selectorELNS0_4arch9wavefront6targetE1EEEvSI_
; %bb.0:
	.section	.rodata,"a",@progbits
	.p2align	6, 0x0
	.amdhsa_kernel _ZN7rocprim17ROCPRIM_400000_NS6detail17trampoline_kernelINS0_14default_configENS1_35radix_sort_onesweep_config_selectorIsNS0_10empty_typeEEEZNS1_34radix_sort_onesweep_global_offsetsIS3_Lb0EN6thrust23THRUST_200600_302600_NS6detail15normal_iteratorINS9_10device_ptrIsEEEEPS5_jNS0_19identity_decomposerEEE10hipError_tT1_T2_PT3_SK_jT4_jjP12ihipStream_tbEUlT_E_NS1_11comp_targetILNS1_3genE9ELNS1_11target_archE1100ELNS1_3gpuE3ELNS1_3repE0EEENS1_52radix_sort_onesweep_histogram_config_static_selectorELNS0_4arch9wavefront6targetE1EEEvSI_
		.amdhsa_group_segment_fixed_size 0
		.amdhsa_private_segment_fixed_size 0
		.amdhsa_kernarg_size 40
		.amdhsa_user_sgpr_count 2
		.amdhsa_user_sgpr_dispatch_ptr 0
		.amdhsa_user_sgpr_queue_ptr 0
		.amdhsa_user_sgpr_kernarg_segment_ptr 1
		.amdhsa_user_sgpr_dispatch_id 0
		.amdhsa_user_sgpr_kernarg_preload_length 0
		.amdhsa_user_sgpr_kernarg_preload_offset 0
		.amdhsa_user_sgpr_private_segment_size 0
		.amdhsa_uses_dynamic_stack 0
		.amdhsa_enable_private_segment 0
		.amdhsa_system_sgpr_workgroup_id_x 1
		.amdhsa_system_sgpr_workgroup_id_y 0
		.amdhsa_system_sgpr_workgroup_id_z 0
		.amdhsa_system_sgpr_workgroup_info 0
		.amdhsa_system_vgpr_workitem_id 0
		.amdhsa_next_free_vgpr 1
		.amdhsa_next_free_sgpr 0
		.amdhsa_accum_offset 4
		.amdhsa_reserve_vcc 0
		.amdhsa_float_round_mode_32 0
		.amdhsa_float_round_mode_16_64 0
		.amdhsa_float_denorm_mode_32 3
		.amdhsa_float_denorm_mode_16_64 3
		.amdhsa_dx10_clamp 1
		.amdhsa_ieee_mode 1
		.amdhsa_fp16_overflow 0
		.amdhsa_tg_split 0
		.amdhsa_exception_fp_ieee_invalid_op 0
		.amdhsa_exception_fp_denorm_src 0
		.amdhsa_exception_fp_ieee_div_zero 0
		.amdhsa_exception_fp_ieee_overflow 0
		.amdhsa_exception_fp_ieee_underflow 0
		.amdhsa_exception_fp_ieee_inexact 0
		.amdhsa_exception_int_div_zero 0
	.end_amdhsa_kernel
	.section	.text._ZN7rocprim17ROCPRIM_400000_NS6detail17trampoline_kernelINS0_14default_configENS1_35radix_sort_onesweep_config_selectorIsNS0_10empty_typeEEEZNS1_34radix_sort_onesweep_global_offsetsIS3_Lb0EN6thrust23THRUST_200600_302600_NS6detail15normal_iteratorINS9_10device_ptrIsEEEEPS5_jNS0_19identity_decomposerEEE10hipError_tT1_T2_PT3_SK_jT4_jjP12ihipStream_tbEUlT_E_NS1_11comp_targetILNS1_3genE9ELNS1_11target_archE1100ELNS1_3gpuE3ELNS1_3repE0EEENS1_52radix_sort_onesweep_histogram_config_static_selectorELNS0_4arch9wavefront6targetE1EEEvSI_,"axG",@progbits,_ZN7rocprim17ROCPRIM_400000_NS6detail17trampoline_kernelINS0_14default_configENS1_35radix_sort_onesweep_config_selectorIsNS0_10empty_typeEEEZNS1_34radix_sort_onesweep_global_offsetsIS3_Lb0EN6thrust23THRUST_200600_302600_NS6detail15normal_iteratorINS9_10device_ptrIsEEEEPS5_jNS0_19identity_decomposerEEE10hipError_tT1_T2_PT3_SK_jT4_jjP12ihipStream_tbEUlT_E_NS1_11comp_targetILNS1_3genE9ELNS1_11target_archE1100ELNS1_3gpuE3ELNS1_3repE0EEENS1_52radix_sort_onesweep_histogram_config_static_selectorELNS0_4arch9wavefront6targetE1EEEvSI_,comdat
.Lfunc_end1930:
	.size	_ZN7rocprim17ROCPRIM_400000_NS6detail17trampoline_kernelINS0_14default_configENS1_35radix_sort_onesweep_config_selectorIsNS0_10empty_typeEEEZNS1_34radix_sort_onesweep_global_offsetsIS3_Lb0EN6thrust23THRUST_200600_302600_NS6detail15normal_iteratorINS9_10device_ptrIsEEEEPS5_jNS0_19identity_decomposerEEE10hipError_tT1_T2_PT3_SK_jT4_jjP12ihipStream_tbEUlT_E_NS1_11comp_targetILNS1_3genE9ELNS1_11target_archE1100ELNS1_3gpuE3ELNS1_3repE0EEENS1_52radix_sort_onesweep_histogram_config_static_selectorELNS0_4arch9wavefront6targetE1EEEvSI_, .Lfunc_end1930-_ZN7rocprim17ROCPRIM_400000_NS6detail17trampoline_kernelINS0_14default_configENS1_35radix_sort_onesweep_config_selectorIsNS0_10empty_typeEEEZNS1_34radix_sort_onesweep_global_offsetsIS3_Lb0EN6thrust23THRUST_200600_302600_NS6detail15normal_iteratorINS9_10device_ptrIsEEEEPS5_jNS0_19identity_decomposerEEE10hipError_tT1_T2_PT3_SK_jT4_jjP12ihipStream_tbEUlT_E_NS1_11comp_targetILNS1_3genE9ELNS1_11target_archE1100ELNS1_3gpuE3ELNS1_3repE0EEENS1_52radix_sort_onesweep_histogram_config_static_selectorELNS0_4arch9wavefront6targetE1EEEvSI_
                                        ; -- End function
	.section	.AMDGPU.csdata,"",@progbits
; Kernel info:
; codeLenInByte = 0
; NumSgprs: 6
; NumVgprs: 0
; NumAgprs: 0
; TotalNumVgprs: 0
; ScratchSize: 0
; MemoryBound: 0
; FloatMode: 240
; IeeeMode: 1
; LDSByteSize: 0 bytes/workgroup (compile time only)
; SGPRBlocks: 0
; VGPRBlocks: 0
; NumSGPRsForWavesPerEU: 6
; NumVGPRsForWavesPerEU: 1
; AccumOffset: 4
; Occupancy: 8
; WaveLimiterHint : 0
; COMPUTE_PGM_RSRC2:SCRATCH_EN: 0
; COMPUTE_PGM_RSRC2:USER_SGPR: 2
; COMPUTE_PGM_RSRC2:TRAP_HANDLER: 0
; COMPUTE_PGM_RSRC2:TGID_X_EN: 1
; COMPUTE_PGM_RSRC2:TGID_Y_EN: 0
; COMPUTE_PGM_RSRC2:TGID_Z_EN: 0
; COMPUTE_PGM_RSRC2:TIDIG_COMP_CNT: 0
; COMPUTE_PGM_RSRC3_GFX90A:ACCUM_OFFSET: 0
; COMPUTE_PGM_RSRC3_GFX90A:TG_SPLIT: 0
	.section	.text._ZN7rocprim17ROCPRIM_400000_NS6detail17trampoline_kernelINS0_14default_configENS1_35radix_sort_onesweep_config_selectorIsNS0_10empty_typeEEEZNS1_34radix_sort_onesweep_global_offsetsIS3_Lb0EN6thrust23THRUST_200600_302600_NS6detail15normal_iteratorINS9_10device_ptrIsEEEEPS5_jNS0_19identity_decomposerEEE10hipError_tT1_T2_PT3_SK_jT4_jjP12ihipStream_tbEUlT_E_NS1_11comp_targetILNS1_3genE8ELNS1_11target_archE1030ELNS1_3gpuE2ELNS1_3repE0EEENS1_52radix_sort_onesweep_histogram_config_static_selectorELNS0_4arch9wavefront6targetE1EEEvSI_,"axG",@progbits,_ZN7rocprim17ROCPRIM_400000_NS6detail17trampoline_kernelINS0_14default_configENS1_35radix_sort_onesweep_config_selectorIsNS0_10empty_typeEEEZNS1_34radix_sort_onesweep_global_offsetsIS3_Lb0EN6thrust23THRUST_200600_302600_NS6detail15normal_iteratorINS9_10device_ptrIsEEEEPS5_jNS0_19identity_decomposerEEE10hipError_tT1_T2_PT3_SK_jT4_jjP12ihipStream_tbEUlT_E_NS1_11comp_targetILNS1_3genE8ELNS1_11target_archE1030ELNS1_3gpuE2ELNS1_3repE0EEENS1_52radix_sort_onesweep_histogram_config_static_selectorELNS0_4arch9wavefront6targetE1EEEvSI_,comdat
	.protected	_ZN7rocprim17ROCPRIM_400000_NS6detail17trampoline_kernelINS0_14default_configENS1_35radix_sort_onesweep_config_selectorIsNS0_10empty_typeEEEZNS1_34radix_sort_onesweep_global_offsetsIS3_Lb0EN6thrust23THRUST_200600_302600_NS6detail15normal_iteratorINS9_10device_ptrIsEEEEPS5_jNS0_19identity_decomposerEEE10hipError_tT1_T2_PT3_SK_jT4_jjP12ihipStream_tbEUlT_E_NS1_11comp_targetILNS1_3genE8ELNS1_11target_archE1030ELNS1_3gpuE2ELNS1_3repE0EEENS1_52radix_sort_onesweep_histogram_config_static_selectorELNS0_4arch9wavefront6targetE1EEEvSI_ ; -- Begin function _ZN7rocprim17ROCPRIM_400000_NS6detail17trampoline_kernelINS0_14default_configENS1_35radix_sort_onesweep_config_selectorIsNS0_10empty_typeEEEZNS1_34radix_sort_onesweep_global_offsetsIS3_Lb0EN6thrust23THRUST_200600_302600_NS6detail15normal_iteratorINS9_10device_ptrIsEEEEPS5_jNS0_19identity_decomposerEEE10hipError_tT1_T2_PT3_SK_jT4_jjP12ihipStream_tbEUlT_E_NS1_11comp_targetILNS1_3genE8ELNS1_11target_archE1030ELNS1_3gpuE2ELNS1_3repE0EEENS1_52radix_sort_onesweep_histogram_config_static_selectorELNS0_4arch9wavefront6targetE1EEEvSI_
	.globl	_ZN7rocprim17ROCPRIM_400000_NS6detail17trampoline_kernelINS0_14default_configENS1_35radix_sort_onesweep_config_selectorIsNS0_10empty_typeEEEZNS1_34radix_sort_onesweep_global_offsetsIS3_Lb0EN6thrust23THRUST_200600_302600_NS6detail15normal_iteratorINS9_10device_ptrIsEEEEPS5_jNS0_19identity_decomposerEEE10hipError_tT1_T2_PT3_SK_jT4_jjP12ihipStream_tbEUlT_E_NS1_11comp_targetILNS1_3genE8ELNS1_11target_archE1030ELNS1_3gpuE2ELNS1_3repE0EEENS1_52radix_sort_onesweep_histogram_config_static_selectorELNS0_4arch9wavefront6targetE1EEEvSI_
	.p2align	8
	.type	_ZN7rocprim17ROCPRIM_400000_NS6detail17trampoline_kernelINS0_14default_configENS1_35radix_sort_onesweep_config_selectorIsNS0_10empty_typeEEEZNS1_34radix_sort_onesweep_global_offsetsIS3_Lb0EN6thrust23THRUST_200600_302600_NS6detail15normal_iteratorINS9_10device_ptrIsEEEEPS5_jNS0_19identity_decomposerEEE10hipError_tT1_T2_PT3_SK_jT4_jjP12ihipStream_tbEUlT_E_NS1_11comp_targetILNS1_3genE8ELNS1_11target_archE1030ELNS1_3gpuE2ELNS1_3repE0EEENS1_52radix_sort_onesweep_histogram_config_static_selectorELNS0_4arch9wavefront6targetE1EEEvSI_,@function
_ZN7rocprim17ROCPRIM_400000_NS6detail17trampoline_kernelINS0_14default_configENS1_35radix_sort_onesweep_config_selectorIsNS0_10empty_typeEEEZNS1_34radix_sort_onesweep_global_offsetsIS3_Lb0EN6thrust23THRUST_200600_302600_NS6detail15normal_iteratorINS9_10device_ptrIsEEEEPS5_jNS0_19identity_decomposerEEE10hipError_tT1_T2_PT3_SK_jT4_jjP12ihipStream_tbEUlT_E_NS1_11comp_targetILNS1_3genE8ELNS1_11target_archE1030ELNS1_3gpuE2ELNS1_3repE0EEENS1_52radix_sort_onesweep_histogram_config_static_selectorELNS0_4arch9wavefront6targetE1EEEvSI_: ; @_ZN7rocprim17ROCPRIM_400000_NS6detail17trampoline_kernelINS0_14default_configENS1_35radix_sort_onesweep_config_selectorIsNS0_10empty_typeEEEZNS1_34radix_sort_onesweep_global_offsetsIS3_Lb0EN6thrust23THRUST_200600_302600_NS6detail15normal_iteratorINS9_10device_ptrIsEEEEPS5_jNS0_19identity_decomposerEEE10hipError_tT1_T2_PT3_SK_jT4_jjP12ihipStream_tbEUlT_E_NS1_11comp_targetILNS1_3genE8ELNS1_11target_archE1030ELNS1_3gpuE2ELNS1_3repE0EEENS1_52radix_sort_onesweep_histogram_config_static_selectorELNS0_4arch9wavefront6targetE1EEEvSI_
; %bb.0:
	.section	.rodata,"a",@progbits
	.p2align	6, 0x0
	.amdhsa_kernel _ZN7rocprim17ROCPRIM_400000_NS6detail17trampoline_kernelINS0_14default_configENS1_35radix_sort_onesweep_config_selectorIsNS0_10empty_typeEEEZNS1_34radix_sort_onesweep_global_offsetsIS3_Lb0EN6thrust23THRUST_200600_302600_NS6detail15normal_iteratorINS9_10device_ptrIsEEEEPS5_jNS0_19identity_decomposerEEE10hipError_tT1_T2_PT3_SK_jT4_jjP12ihipStream_tbEUlT_E_NS1_11comp_targetILNS1_3genE8ELNS1_11target_archE1030ELNS1_3gpuE2ELNS1_3repE0EEENS1_52radix_sort_onesweep_histogram_config_static_selectorELNS0_4arch9wavefront6targetE1EEEvSI_
		.amdhsa_group_segment_fixed_size 0
		.amdhsa_private_segment_fixed_size 0
		.amdhsa_kernarg_size 40
		.amdhsa_user_sgpr_count 2
		.amdhsa_user_sgpr_dispatch_ptr 0
		.amdhsa_user_sgpr_queue_ptr 0
		.amdhsa_user_sgpr_kernarg_segment_ptr 1
		.amdhsa_user_sgpr_dispatch_id 0
		.amdhsa_user_sgpr_kernarg_preload_length 0
		.amdhsa_user_sgpr_kernarg_preload_offset 0
		.amdhsa_user_sgpr_private_segment_size 0
		.amdhsa_uses_dynamic_stack 0
		.amdhsa_enable_private_segment 0
		.amdhsa_system_sgpr_workgroup_id_x 1
		.amdhsa_system_sgpr_workgroup_id_y 0
		.amdhsa_system_sgpr_workgroup_id_z 0
		.amdhsa_system_sgpr_workgroup_info 0
		.amdhsa_system_vgpr_workitem_id 0
		.amdhsa_next_free_vgpr 1
		.amdhsa_next_free_sgpr 0
		.amdhsa_accum_offset 4
		.amdhsa_reserve_vcc 0
		.amdhsa_float_round_mode_32 0
		.amdhsa_float_round_mode_16_64 0
		.amdhsa_float_denorm_mode_32 3
		.amdhsa_float_denorm_mode_16_64 3
		.amdhsa_dx10_clamp 1
		.amdhsa_ieee_mode 1
		.amdhsa_fp16_overflow 0
		.amdhsa_tg_split 0
		.amdhsa_exception_fp_ieee_invalid_op 0
		.amdhsa_exception_fp_denorm_src 0
		.amdhsa_exception_fp_ieee_div_zero 0
		.amdhsa_exception_fp_ieee_overflow 0
		.amdhsa_exception_fp_ieee_underflow 0
		.amdhsa_exception_fp_ieee_inexact 0
		.amdhsa_exception_int_div_zero 0
	.end_amdhsa_kernel
	.section	.text._ZN7rocprim17ROCPRIM_400000_NS6detail17trampoline_kernelINS0_14default_configENS1_35radix_sort_onesweep_config_selectorIsNS0_10empty_typeEEEZNS1_34radix_sort_onesweep_global_offsetsIS3_Lb0EN6thrust23THRUST_200600_302600_NS6detail15normal_iteratorINS9_10device_ptrIsEEEEPS5_jNS0_19identity_decomposerEEE10hipError_tT1_T2_PT3_SK_jT4_jjP12ihipStream_tbEUlT_E_NS1_11comp_targetILNS1_3genE8ELNS1_11target_archE1030ELNS1_3gpuE2ELNS1_3repE0EEENS1_52radix_sort_onesweep_histogram_config_static_selectorELNS0_4arch9wavefront6targetE1EEEvSI_,"axG",@progbits,_ZN7rocprim17ROCPRIM_400000_NS6detail17trampoline_kernelINS0_14default_configENS1_35radix_sort_onesweep_config_selectorIsNS0_10empty_typeEEEZNS1_34radix_sort_onesweep_global_offsetsIS3_Lb0EN6thrust23THRUST_200600_302600_NS6detail15normal_iteratorINS9_10device_ptrIsEEEEPS5_jNS0_19identity_decomposerEEE10hipError_tT1_T2_PT3_SK_jT4_jjP12ihipStream_tbEUlT_E_NS1_11comp_targetILNS1_3genE8ELNS1_11target_archE1030ELNS1_3gpuE2ELNS1_3repE0EEENS1_52radix_sort_onesweep_histogram_config_static_selectorELNS0_4arch9wavefront6targetE1EEEvSI_,comdat
.Lfunc_end1931:
	.size	_ZN7rocprim17ROCPRIM_400000_NS6detail17trampoline_kernelINS0_14default_configENS1_35radix_sort_onesweep_config_selectorIsNS0_10empty_typeEEEZNS1_34radix_sort_onesweep_global_offsetsIS3_Lb0EN6thrust23THRUST_200600_302600_NS6detail15normal_iteratorINS9_10device_ptrIsEEEEPS5_jNS0_19identity_decomposerEEE10hipError_tT1_T2_PT3_SK_jT4_jjP12ihipStream_tbEUlT_E_NS1_11comp_targetILNS1_3genE8ELNS1_11target_archE1030ELNS1_3gpuE2ELNS1_3repE0EEENS1_52radix_sort_onesweep_histogram_config_static_selectorELNS0_4arch9wavefront6targetE1EEEvSI_, .Lfunc_end1931-_ZN7rocprim17ROCPRIM_400000_NS6detail17trampoline_kernelINS0_14default_configENS1_35radix_sort_onesweep_config_selectorIsNS0_10empty_typeEEEZNS1_34radix_sort_onesweep_global_offsetsIS3_Lb0EN6thrust23THRUST_200600_302600_NS6detail15normal_iteratorINS9_10device_ptrIsEEEEPS5_jNS0_19identity_decomposerEEE10hipError_tT1_T2_PT3_SK_jT4_jjP12ihipStream_tbEUlT_E_NS1_11comp_targetILNS1_3genE8ELNS1_11target_archE1030ELNS1_3gpuE2ELNS1_3repE0EEENS1_52radix_sort_onesweep_histogram_config_static_selectorELNS0_4arch9wavefront6targetE1EEEvSI_
                                        ; -- End function
	.section	.AMDGPU.csdata,"",@progbits
; Kernel info:
; codeLenInByte = 0
; NumSgprs: 6
; NumVgprs: 0
; NumAgprs: 0
; TotalNumVgprs: 0
; ScratchSize: 0
; MemoryBound: 0
; FloatMode: 240
; IeeeMode: 1
; LDSByteSize: 0 bytes/workgroup (compile time only)
; SGPRBlocks: 0
; VGPRBlocks: 0
; NumSGPRsForWavesPerEU: 6
; NumVGPRsForWavesPerEU: 1
; AccumOffset: 4
; Occupancy: 8
; WaveLimiterHint : 0
; COMPUTE_PGM_RSRC2:SCRATCH_EN: 0
; COMPUTE_PGM_RSRC2:USER_SGPR: 2
; COMPUTE_PGM_RSRC2:TRAP_HANDLER: 0
; COMPUTE_PGM_RSRC2:TGID_X_EN: 1
; COMPUTE_PGM_RSRC2:TGID_Y_EN: 0
; COMPUTE_PGM_RSRC2:TGID_Z_EN: 0
; COMPUTE_PGM_RSRC2:TIDIG_COMP_CNT: 0
; COMPUTE_PGM_RSRC3_GFX90A:ACCUM_OFFSET: 0
; COMPUTE_PGM_RSRC3_GFX90A:TG_SPLIT: 0
	.section	.text._ZN7rocprim17ROCPRIM_400000_NS6detail17trampoline_kernelINS0_14default_configENS1_35radix_sort_onesweep_config_selectorIsNS0_10empty_typeEEEZNS1_34radix_sort_onesweep_global_offsetsIS3_Lb0EN6thrust23THRUST_200600_302600_NS6detail15normal_iteratorINS9_10device_ptrIsEEEEPS5_jNS0_19identity_decomposerEEE10hipError_tT1_T2_PT3_SK_jT4_jjP12ihipStream_tbEUlT_E0_NS1_11comp_targetILNS1_3genE0ELNS1_11target_archE4294967295ELNS1_3gpuE0ELNS1_3repE0EEENS1_52radix_sort_onesweep_histogram_config_static_selectorELNS0_4arch9wavefront6targetE1EEEvSI_,"axG",@progbits,_ZN7rocprim17ROCPRIM_400000_NS6detail17trampoline_kernelINS0_14default_configENS1_35radix_sort_onesweep_config_selectorIsNS0_10empty_typeEEEZNS1_34radix_sort_onesweep_global_offsetsIS3_Lb0EN6thrust23THRUST_200600_302600_NS6detail15normal_iteratorINS9_10device_ptrIsEEEEPS5_jNS0_19identity_decomposerEEE10hipError_tT1_T2_PT3_SK_jT4_jjP12ihipStream_tbEUlT_E0_NS1_11comp_targetILNS1_3genE0ELNS1_11target_archE4294967295ELNS1_3gpuE0ELNS1_3repE0EEENS1_52radix_sort_onesweep_histogram_config_static_selectorELNS0_4arch9wavefront6targetE1EEEvSI_,comdat
	.protected	_ZN7rocprim17ROCPRIM_400000_NS6detail17trampoline_kernelINS0_14default_configENS1_35radix_sort_onesweep_config_selectorIsNS0_10empty_typeEEEZNS1_34radix_sort_onesweep_global_offsetsIS3_Lb0EN6thrust23THRUST_200600_302600_NS6detail15normal_iteratorINS9_10device_ptrIsEEEEPS5_jNS0_19identity_decomposerEEE10hipError_tT1_T2_PT3_SK_jT4_jjP12ihipStream_tbEUlT_E0_NS1_11comp_targetILNS1_3genE0ELNS1_11target_archE4294967295ELNS1_3gpuE0ELNS1_3repE0EEENS1_52radix_sort_onesweep_histogram_config_static_selectorELNS0_4arch9wavefront6targetE1EEEvSI_ ; -- Begin function _ZN7rocprim17ROCPRIM_400000_NS6detail17trampoline_kernelINS0_14default_configENS1_35radix_sort_onesweep_config_selectorIsNS0_10empty_typeEEEZNS1_34radix_sort_onesweep_global_offsetsIS3_Lb0EN6thrust23THRUST_200600_302600_NS6detail15normal_iteratorINS9_10device_ptrIsEEEEPS5_jNS0_19identity_decomposerEEE10hipError_tT1_T2_PT3_SK_jT4_jjP12ihipStream_tbEUlT_E0_NS1_11comp_targetILNS1_3genE0ELNS1_11target_archE4294967295ELNS1_3gpuE0ELNS1_3repE0EEENS1_52radix_sort_onesweep_histogram_config_static_selectorELNS0_4arch9wavefront6targetE1EEEvSI_
	.globl	_ZN7rocprim17ROCPRIM_400000_NS6detail17trampoline_kernelINS0_14default_configENS1_35radix_sort_onesweep_config_selectorIsNS0_10empty_typeEEEZNS1_34radix_sort_onesweep_global_offsetsIS3_Lb0EN6thrust23THRUST_200600_302600_NS6detail15normal_iteratorINS9_10device_ptrIsEEEEPS5_jNS0_19identity_decomposerEEE10hipError_tT1_T2_PT3_SK_jT4_jjP12ihipStream_tbEUlT_E0_NS1_11comp_targetILNS1_3genE0ELNS1_11target_archE4294967295ELNS1_3gpuE0ELNS1_3repE0EEENS1_52radix_sort_onesweep_histogram_config_static_selectorELNS0_4arch9wavefront6targetE1EEEvSI_
	.p2align	8
	.type	_ZN7rocprim17ROCPRIM_400000_NS6detail17trampoline_kernelINS0_14default_configENS1_35radix_sort_onesweep_config_selectorIsNS0_10empty_typeEEEZNS1_34radix_sort_onesweep_global_offsetsIS3_Lb0EN6thrust23THRUST_200600_302600_NS6detail15normal_iteratorINS9_10device_ptrIsEEEEPS5_jNS0_19identity_decomposerEEE10hipError_tT1_T2_PT3_SK_jT4_jjP12ihipStream_tbEUlT_E0_NS1_11comp_targetILNS1_3genE0ELNS1_11target_archE4294967295ELNS1_3gpuE0ELNS1_3repE0EEENS1_52radix_sort_onesweep_histogram_config_static_selectorELNS0_4arch9wavefront6targetE1EEEvSI_,@function
_ZN7rocprim17ROCPRIM_400000_NS6detail17trampoline_kernelINS0_14default_configENS1_35radix_sort_onesweep_config_selectorIsNS0_10empty_typeEEEZNS1_34radix_sort_onesweep_global_offsetsIS3_Lb0EN6thrust23THRUST_200600_302600_NS6detail15normal_iteratorINS9_10device_ptrIsEEEEPS5_jNS0_19identity_decomposerEEE10hipError_tT1_T2_PT3_SK_jT4_jjP12ihipStream_tbEUlT_E0_NS1_11comp_targetILNS1_3genE0ELNS1_11target_archE4294967295ELNS1_3gpuE0ELNS1_3repE0EEENS1_52radix_sort_onesweep_histogram_config_static_selectorELNS0_4arch9wavefront6targetE1EEEvSI_: ; @_ZN7rocprim17ROCPRIM_400000_NS6detail17trampoline_kernelINS0_14default_configENS1_35radix_sort_onesweep_config_selectorIsNS0_10empty_typeEEEZNS1_34radix_sort_onesweep_global_offsetsIS3_Lb0EN6thrust23THRUST_200600_302600_NS6detail15normal_iteratorINS9_10device_ptrIsEEEEPS5_jNS0_19identity_decomposerEEE10hipError_tT1_T2_PT3_SK_jT4_jjP12ihipStream_tbEUlT_E0_NS1_11comp_targetILNS1_3genE0ELNS1_11target_archE4294967295ELNS1_3gpuE0ELNS1_3repE0EEENS1_52radix_sort_onesweep_histogram_config_static_selectorELNS0_4arch9wavefront6targetE1EEEvSI_
; %bb.0:
	.section	.rodata,"a",@progbits
	.p2align	6, 0x0
	.amdhsa_kernel _ZN7rocprim17ROCPRIM_400000_NS6detail17trampoline_kernelINS0_14default_configENS1_35radix_sort_onesweep_config_selectorIsNS0_10empty_typeEEEZNS1_34radix_sort_onesweep_global_offsetsIS3_Lb0EN6thrust23THRUST_200600_302600_NS6detail15normal_iteratorINS9_10device_ptrIsEEEEPS5_jNS0_19identity_decomposerEEE10hipError_tT1_T2_PT3_SK_jT4_jjP12ihipStream_tbEUlT_E0_NS1_11comp_targetILNS1_3genE0ELNS1_11target_archE4294967295ELNS1_3gpuE0ELNS1_3repE0EEENS1_52radix_sort_onesweep_histogram_config_static_selectorELNS0_4arch9wavefront6targetE1EEEvSI_
		.amdhsa_group_segment_fixed_size 0
		.amdhsa_private_segment_fixed_size 0
		.amdhsa_kernarg_size 8
		.amdhsa_user_sgpr_count 2
		.amdhsa_user_sgpr_dispatch_ptr 0
		.amdhsa_user_sgpr_queue_ptr 0
		.amdhsa_user_sgpr_kernarg_segment_ptr 1
		.amdhsa_user_sgpr_dispatch_id 0
		.amdhsa_user_sgpr_kernarg_preload_length 0
		.amdhsa_user_sgpr_kernarg_preload_offset 0
		.amdhsa_user_sgpr_private_segment_size 0
		.amdhsa_uses_dynamic_stack 0
		.amdhsa_enable_private_segment 0
		.amdhsa_system_sgpr_workgroup_id_x 1
		.amdhsa_system_sgpr_workgroup_id_y 0
		.amdhsa_system_sgpr_workgroup_id_z 0
		.amdhsa_system_sgpr_workgroup_info 0
		.amdhsa_system_vgpr_workitem_id 0
		.amdhsa_next_free_vgpr 1
		.amdhsa_next_free_sgpr 0
		.amdhsa_accum_offset 4
		.amdhsa_reserve_vcc 0
		.amdhsa_float_round_mode_32 0
		.amdhsa_float_round_mode_16_64 0
		.amdhsa_float_denorm_mode_32 3
		.amdhsa_float_denorm_mode_16_64 3
		.amdhsa_dx10_clamp 1
		.amdhsa_ieee_mode 1
		.amdhsa_fp16_overflow 0
		.amdhsa_tg_split 0
		.amdhsa_exception_fp_ieee_invalid_op 0
		.amdhsa_exception_fp_denorm_src 0
		.amdhsa_exception_fp_ieee_div_zero 0
		.amdhsa_exception_fp_ieee_overflow 0
		.amdhsa_exception_fp_ieee_underflow 0
		.amdhsa_exception_fp_ieee_inexact 0
		.amdhsa_exception_int_div_zero 0
	.end_amdhsa_kernel
	.section	.text._ZN7rocprim17ROCPRIM_400000_NS6detail17trampoline_kernelINS0_14default_configENS1_35radix_sort_onesweep_config_selectorIsNS0_10empty_typeEEEZNS1_34radix_sort_onesweep_global_offsetsIS3_Lb0EN6thrust23THRUST_200600_302600_NS6detail15normal_iteratorINS9_10device_ptrIsEEEEPS5_jNS0_19identity_decomposerEEE10hipError_tT1_T2_PT3_SK_jT4_jjP12ihipStream_tbEUlT_E0_NS1_11comp_targetILNS1_3genE0ELNS1_11target_archE4294967295ELNS1_3gpuE0ELNS1_3repE0EEENS1_52radix_sort_onesweep_histogram_config_static_selectorELNS0_4arch9wavefront6targetE1EEEvSI_,"axG",@progbits,_ZN7rocprim17ROCPRIM_400000_NS6detail17trampoline_kernelINS0_14default_configENS1_35radix_sort_onesweep_config_selectorIsNS0_10empty_typeEEEZNS1_34radix_sort_onesweep_global_offsetsIS3_Lb0EN6thrust23THRUST_200600_302600_NS6detail15normal_iteratorINS9_10device_ptrIsEEEEPS5_jNS0_19identity_decomposerEEE10hipError_tT1_T2_PT3_SK_jT4_jjP12ihipStream_tbEUlT_E0_NS1_11comp_targetILNS1_3genE0ELNS1_11target_archE4294967295ELNS1_3gpuE0ELNS1_3repE0EEENS1_52radix_sort_onesweep_histogram_config_static_selectorELNS0_4arch9wavefront6targetE1EEEvSI_,comdat
.Lfunc_end1932:
	.size	_ZN7rocprim17ROCPRIM_400000_NS6detail17trampoline_kernelINS0_14default_configENS1_35radix_sort_onesweep_config_selectorIsNS0_10empty_typeEEEZNS1_34radix_sort_onesweep_global_offsetsIS3_Lb0EN6thrust23THRUST_200600_302600_NS6detail15normal_iteratorINS9_10device_ptrIsEEEEPS5_jNS0_19identity_decomposerEEE10hipError_tT1_T2_PT3_SK_jT4_jjP12ihipStream_tbEUlT_E0_NS1_11comp_targetILNS1_3genE0ELNS1_11target_archE4294967295ELNS1_3gpuE0ELNS1_3repE0EEENS1_52radix_sort_onesweep_histogram_config_static_selectorELNS0_4arch9wavefront6targetE1EEEvSI_, .Lfunc_end1932-_ZN7rocprim17ROCPRIM_400000_NS6detail17trampoline_kernelINS0_14default_configENS1_35radix_sort_onesweep_config_selectorIsNS0_10empty_typeEEEZNS1_34radix_sort_onesweep_global_offsetsIS3_Lb0EN6thrust23THRUST_200600_302600_NS6detail15normal_iteratorINS9_10device_ptrIsEEEEPS5_jNS0_19identity_decomposerEEE10hipError_tT1_T2_PT3_SK_jT4_jjP12ihipStream_tbEUlT_E0_NS1_11comp_targetILNS1_3genE0ELNS1_11target_archE4294967295ELNS1_3gpuE0ELNS1_3repE0EEENS1_52radix_sort_onesweep_histogram_config_static_selectorELNS0_4arch9wavefront6targetE1EEEvSI_
                                        ; -- End function
	.section	.AMDGPU.csdata,"",@progbits
; Kernel info:
; codeLenInByte = 0
; NumSgprs: 6
; NumVgprs: 0
; NumAgprs: 0
; TotalNumVgprs: 0
; ScratchSize: 0
; MemoryBound: 0
; FloatMode: 240
; IeeeMode: 1
; LDSByteSize: 0 bytes/workgroup (compile time only)
; SGPRBlocks: 0
; VGPRBlocks: 0
; NumSGPRsForWavesPerEU: 6
; NumVGPRsForWavesPerEU: 1
; AccumOffset: 4
; Occupancy: 8
; WaveLimiterHint : 0
; COMPUTE_PGM_RSRC2:SCRATCH_EN: 0
; COMPUTE_PGM_RSRC2:USER_SGPR: 2
; COMPUTE_PGM_RSRC2:TRAP_HANDLER: 0
; COMPUTE_PGM_RSRC2:TGID_X_EN: 1
; COMPUTE_PGM_RSRC2:TGID_Y_EN: 0
; COMPUTE_PGM_RSRC2:TGID_Z_EN: 0
; COMPUTE_PGM_RSRC2:TIDIG_COMP_CNT: 0
; COMPUTE_PGM_RSRC3_GFX90A:ACCUM_OFFSET: 0
; COMPUTE_PGM_RSRC3_GFX90A:TG_SPLIT: 0
	.section	.text._ZN7rocprim17ROCPRIM_400000_NS6detail17trampoline_kernelINS0_14default_configENS1_35radix_sort_onesweep_config_selectorIsNS0_10empty_typeEEEZNS1_34radix_sort_onesweep_global_offsetsIS3_Lb0EN6thrust23THRUST_200600_302600_NS6detail15normal_iteratorINS9_10device_ptrIsEEEEPS5_jNS0_19identity_decomposerEEE10hipError_tT1_T2_PT3_SK_jT4_jjP12ihipStream_tbEUlT_E0_NS1_11comp_targetILNS1_3genE6ELNS1_11target_archE950ELNS1_3gpuE13ELNS1_3repE0EEENS1_52radix_sort_onesweep_histogram_config_static_selectorELNS0_4arch9wavefront6targetE1EEEvSI_,"axG",@progbits,_ZN7rocprim17ROCPRIM_400000_NS6detail17trampoline_kernelINS0_14default_configENS1_35radix_sort_onesweep_config_selectorIsNS0_10empty_typeEEEZNS1_34radix_sort_onesweep_global_offsetsIS3_Lb0EN6thrust23THRUST_200600_302600_NS6detail15normal_iteratorINS9_10device_ptrIsEEEEPS5_jNS0_19identity_decomposerEEE10hipError_tT1_T2_PT3_SK_jT4_jjP12ihipStream_tbEUlT_E0_NS1_11comp_targetILNS1_3genE6ELNS1_11target_archE950ELNS1_3gpuE13ELNS1_3repE0EEENS1_52radix_sort_onesweep_histogram_config_static_selectorELNS0_4arch9wavefront6targetE1EEEvSI_,comdat
	.protected	_ZN7rocprim17ROCPRIM_400000_NS6detail17trampoline_kernelINS0_14default_configENS1_35radix_sort_onesweep_config_selectorIsNS0_10empty_typeEEEZNS1_34radix_sort_onesweep_global_offsetsIS3_Lb0EN6thrust23THRUST_200600_302600_NS6detail15normal_iteratorINS9_10device_ptrIsEEEEPS5_jNS0_19identity_decomposerEEE10hipError_tT1_T2_PT3_SK_jT4_jjP12ihipStream_tbEUlT_E0_NS1_11comp_targetILNS1_3genE6ELNS1_11target_archE950ELNS1_3gpuE13ELNS1_3repE0EEENS1_52radix_sort_onesweep_histogram_config_static_selectorELNS0_4arch9wavefront6targetE1EEEvSI_ ; -- Begin function _ZN7rocprim17ROCPRIM_400000_NS6detail17trampoline_kernelINS0_14default_configENS1_35radix_sort_onesweep_config_selectorIsNS0_10empty_typeEEEZNS1_34radix_sort_onesweep_global_offsetsIS3_Lb0EN6thrust23THRUST_200600_302600_NS6detail15normal_iteratorINS9_10device_ptrIsEEEEPS5_jNS0_19identity_decomposerEEE10hipError_tT1_T2_PT3_SK_jT4_jjP12ihipStream_tbEUlT_E0_NS1_11comp_targetILNS1_3genE6ELNS1_11target_archE950ELNS1_3gpuE13ELNS1_3repE0EEENS1_52radix_sort_onesweep_histogram_config_static_selectorELNS0_4arch9wavefront6targetE1EEEvSI_
	.globl	_ZN7rocprim17ROCPRIM_400000_NS6detail17trampoline_kernelINS0_14default_configENS1_35radix_sort_onesweep_config_selectorIsNS0_10empty_typeEEEZNS1_34radix_sort_onesweep_global_offsetsIS3_Lb0EN6thrust23THRUST_200600_302600_NS6detail15normal_iteratorINS9_10device_ptrIsEEEEPS5_jNS0_19identity_decomposerEEE10hipError_tT1_T2_PT3_SK_jT4_jjP12ihipStream_tbEUlT_E0_NS1_11comp_targetILNS1_3genE6ELNS1_11target_archE950ELNS1_3gpuE13ELNS1_3repE0EEENS1_52radix_sort_onesweep_histogram_config_static_selectorELNS0_4arch9wavefront6targetE1EEEvSI_
	.p2align	8
	.type	_ZN7rocprim17ROCPRIM_400000_NS6detail17trampoline_kernelINS0_14default_configENS1_35radix_sort_onesweep_config_selectorIsNS0_10empty_typeEEEZNS1_34radix_sort_onesweep_global_offsetsIS3_Lb0EN6thrust23THRUST_200600_302600_NS6detail15normal_iteratorINS9_10device_ptrIsEEEEPS5_jNS0_19identity_decomposerEEE10hipError_tT1_T2_PT3_SK_jT4_jjP12ihipStream_tbEUlT_E0_NS1_11comp_targetILNS1_3genE6ELNS1_11target_archE950ELNS1_3gpuE13ELNS1_3repE0EEENS1_52radix_sort_onesweep_histogram_config_static_selectorELNS0_4arch9wavefront6targetE1EEEvSI_,@function
_ZN7rocprim17ROCPRIM_400000_NS6detail17trampoline_kernelINS0_14default_configENS1_35radix_sort_onesweep_config_selectorIsNS0_10empty_typeEEEZNS1_34radix_sort_onesweep_global_offsetsIS3_Lb0EN6thrust23THRUST_200600_302600_NS6detail15normal_iteratorINS9_10device_ptrIsEEEEPS5_jNS0_19identity_decomposerEEE10hipError_tT1_T2_PT3_SK_jT4_jjP12ihipStream_tbEUlT_E0_NS1_11comp_targetILNS1_3genE6ELNS1_11target_archE950ELNS1_3gpuE13ELNS1_3repE0EEENS1_52radix_sort_onesweep_histogram_config_static_selectorELNS0_4arch9wavefront6targetE1EEEvSI_: ; @_ZN7rocprim17ROCPRIM_400000_NS6detail17trampoline_kernelINS0_14default_configENS1_35radix_sort_onesweep_config_selectorIsNS0_10empty_typeEEEZNS1_34radix_sort_onesweep_global_offsetsIS3_Lb0EN6thrust23THRUST_200600_302600_NS6detail15normal_iteratorINS9_10device_ptrIsEEEEPS5_jNS0_19identity_decomposerEEE10hipError_tT1_T2_PT3_SK_jT4_jjP12ihipStream_tbEUlT_E0_NS1_11comp_targetILNS1_3genE6ELNS1_11target_archE950ELNS1_3gpuE13ELNS1_3repE0EEENS1_52radix_sort_onesweep_histogram_config_static_selectorELNS0_4arch9wavefront6targetE1EEEvSI_
; %bb.0:
	.section	.rodata,"a",@progbits
	.p2align	6, 0x0
	.amdhsa_kernel _ZN7rocprim17ROCPRIM_400000_NS6detail17trampoline_kernelINS0_14default_configENS1_35radix_sort_onesweep_config_selectorIsNS0_10empty_typeEEEZNS1_34radix_sort_onesweep_global_offsetsIS3_Lb0EN6thrust23THRUST_200600_302600_NS6detail15normal_iteratorINS9_10device_ptrIsEEEEPS5_jNS0_19identity_decomposerEEE10hipError_tT1_T2_PT3_SK_jT4_jjP12ihipStream_tbEUlT_E0_NS1_11comp_targetILNS1_3genE6ELNS1_11target_archE950ELNS1_3gpuE13ELNS1_3repE0EEENS1_52radix_sort_onesweep_histogram_config_static_selectorELNS0_4arch9wavefront6targetE1EEEvSI_
		.amdhsa_group_segment_fixed_size 0
		.amdhsa_private_segment_fixed_size 0
		.amdhsa_kernarg_size 8
		.amdhsa_user_sgpr_count 2
		.amdhsa_user_sgpr_dispatch_ptr 0
		.amdhsa_user_sgpr_queue_ptr 0
		.amdhsa_user_sgpr_kernarg_segment_ptr 1
		.amdhsa_user_sgpr_dispatch_id 0
		.amdhsa_user_sgpr_kernarg_preload_length 0
		.amdhsa_user_sgpr_kernarg_preload_offset 0
		.amdhsa_user_sgpr_private_segment_size 0
		.amdhsa_uses_dynamic_stack 0
		.amdhsa_enable_private_segment 0
		.amdhsa_system_sgpr_workgroup_id_x 1
		.amdhsa_system_sgpr_workgroup_id_y 0
		.amdhsa_system_sgpr_workgroup_id_z 0
		.amdhsa_system_sgpr_workgroup_info 0
		.amdhsa_system_vgpr_workitem_id 0
		.amdhsa_next_free_vgpr 1
		.amdhsa_next_free_sgpr 0
		.amdhsa_accum_offset 4
		.amdhsa_reserve_vcc 0
		.amdhsa_float_round_mode_32 0
		.amdhsa_float_round_mode_16_64 0
		.amdhsa_float_denorm_mode_32 3
		.amdhsa_float_denorm_mode_16_64 3
		.amdhsa_dx10_clamp 1
		.amdhsa_ieee_mode 1
		.amdhsa_fp16_overflow 0
		.amdhsa_tg_split 0
		.amdhsa_exception_fp_ieee_invalid_op 0
		.amdhsa_exception_fp_denorm_src 0
		.amdhsa_exception_fp_ieee_div_zero 0
		.amdhsa_exception_fp_ieee_overflow 0
		.amdhsa_exception_fp_ieee_underflow 0
		.amdhsa_exception_fp_ieee_inexact 0
		.amdhsa_exception_int_div_zero 0
	.end_amdhsa_kernel
	.section	.text._ZN7rocprim17ROCPRIM_400000_NS6detail17trampoline_kernelINS0_14default_configENS1_35radix_sort_onesweep_config_selectorIsNS0_10empty_typeEEEZNS1_34radix_sort_onesweep_global_offsetsIS3_Lb0EN6thrust23THRUST_200600_302600_NS6detail15normal_iteratorINS9_10device_ptrIsEEEEPS5_jNS0_19identity_decomposerEEE10hipError_tT1_T2_PT3_SK_jT4_jjP12ihipStream_tbEUlT_E0_NS1_11comp_targetILNS1_3genE6ELNS1_11target_archE950ELNS1_3gpuE13ELNS1_3repE0EEENS1_52radix_sort_onesweep_histogram_config_static_selectorELNS0_4arch9wavefront6targetE1EEEvSI_,"axG",@progbits,_ZN7rocprim17ROCPRIM_400000_NS6detail17trampoline_kernelINS0_14default_configENS1_35radix_sort_onesweep_config_selectorIsNS0_10empty_typeEEEZNS1_34radix_sort_onesweep_global_offsetsIS3_Lb0EN6thrust23THRUST_200600_302600_NS6detail15normal_iteratorINS9_10device_ptrIsEEEEPS5_jNS0_19identity_decomposerEEE10hipError_tT1_T2_PT3_SK_jT4_jjP12ihipStream_tbEUlT_E0_NS1_11comp_targetILNS1_3genE6ELNS1_11target_archE950ELNS1_3gpuE13ELNS1_3repE0EEENS1_52radix_sort_onesweep_histogram_config_static_selectorELNS0_4arch9wavefront6targetE1EEEvSI_,comdat
.Lfunc_end1933:
	.size	_ZN7rocprim17ROCPRIM_400000_NS6detail17trampoline_kernelINS0_14default_configENS1_35radix_sort_onesweep_config_selectorIsNS0_10empty_typeEEEZNS1_34radix_sort_onesweep_global_offsetsIS3_Lb0EN6thrust23THRUST_200600_302600_NS6detail15normal_iteratorINS9_10device_ptrIsEEEEPS5_jNS0_19identity_decomposerEEE10hipError_tT1_T2_PT3_SK_jT4_jjP12ihipStream_tbEUlT_E0_NS1_11comp_targetILNS1_3genE6ELNS1_11target_archE950ELNS1_3gpuE13ELNS1_3repE0EEENS1_52radix_sort_onesweep_histogram_config_static_selectorELNS0_4arch9wavefront6targetE1EEEvSI_, .Lfunc_end1933-_ZN7rocprim17ROCPRIM_400000_NS6detail17trampoline_kernelINS0_14default_configENS1_35radix_sort_onesweep_config_selectorIsNS0_10empty_typeEEEZNS1_34radix_sort_onesweep_global_offsetsIS3_Lb0EN6thrust23THRUST_200600_302600_NS6detail15normal_iteratorINS9_10device_ptrIsEEEEPS5_jNS0_19identity_decomposerEEE10hipError_tT1_T2_PT3_SK_jT4_jjP12ihipStream_tbEUlT_E0_NS1_11comp_targetILNS1_3genE6ELNS1_11target_archE950ELNS1_3gpuE13ELNS1_3repE0EEENS1_52radix_sort_onesweep_histogram_config_static_selectorELNS0_4arch9wavefront6targetE1EEEvSI_
                                        ; -- End function
	.section	.AMDGPU.csdata,"",@progbits
; Kernel info:
; codeLenInByte = 0
; NumSgprs: 6
; NumVgprs: 0
; NumAgprs: 0
; TotalNumVgprs: 0
; ScratchSize: 0
; MemoryBound: 0
; FloatMode: 240
; IeeeMode: 1
; LDSByteSize: 0 bytes/workgroup (compile time only)
; SGPRBlocks: 0
; VGPRBlocks: 0
; NumSGPRsForWavesPerEU: 6
; NumVGPRsForWavesPerEU: 1
; AccumOffset: 4
; Occupancy: 8
; WaveLimiterHint : 0
; COMPUTE_PGM_RSRC2:SCRATCH_EN: 0
; COMPUTE_PGM_RSRC2:USER_SGPR: 2
; COMPUTE_PGM_RSRC2:TRAP_HANDLER: 0
; COMPUTE_PGM_RSRC2:TGID_X_EN: 1
; COMPUTE_PGM_RSRC2:TGID_Y_EN: 0
; COMPUTE_PGM_RSRC2:TGID_Z_EN: 0
; COMPUTE_PGM_RSRC2:TIDIG_COMP_CNT: 0
; COMPUTE_PGM_RSRC3_GFX90A:ACCUM_OFFSET: 0
; COMPUTE_PGM_RSRC3_GFX90A:TG_SPLIT: 0
	.section	.text._ZN7rocprim17ROCPRIM_400000_NS6detail17trampoline_kernelINS0_14default_configENS1_35radix_sort_onesweep_config_selectorIsNS0_10empty_typeEEEZNS1_34radix_sort_onesweep_global_offsetsIS3_Lb0EN6thrust23THRUST_200600_302600_NS6detail15normal_iteratorINS9_10device_ptrIsEEEEPS5_jNS0_19identity_decomposerEEE10hipError_tT1_T2_PT3_SK_jT4_jjP12ihipStream_tbEUlT_E0_NS1_11comp_targetILNS1_3genE5ELNS1_11target_archE942ELNS1_3gpuE9ELNS1_3repE0EEENS1_52radix_sort_onesweep_histogram_config_static_selectorELNS0_4arch9wavefront6targetE1EEEvSI_,"axG",@progbits,_ZN7rocprim17ROCPRIM_400000_NS6detail17trampoline_kernelINS0_14default_configENS1_35radix_sort_onesweep_config_selectorIsNS0_10empty_typeEEEZNS1_34radix_sort_onesweep_global_offsetsIS3_Lb0EN6thrust23THRUST_200600_302600_NS6detail15normal_iteratorINS9_10device_ptrIsEEEEPS5_jNS0_19identity_decomposerEEE10hipError_tT1_T2_PT3_SK_jT4_jjP12ihipStream_tbEUlT_E0_NS1_11comp_targetILNS1_3genE5ELNS1_11target_archE942ELNS1_3gpuE9ELNS1_3repE0EEENS1_52radix_sort_onesweep_histogram_config_static_selectorELNS0_4arch9wavefront6targetE1EEEvSI_,comdat
	.protected	_ZN7rocprim17ROCPRIM_400000_NS6detail17trampoline_kernelINS0_14default_configENS1_35radix_sort_onesweep_config_selectorIsNS0_10empty_typeEEEZNS1_34radix_sort_onesweep_global_offsetsIS3_Lb0EN6thrust23THRUST_200600_302600_NS6detail15normal_iteratorINS9_10device_ptrIsEEEEPS5_jNS0_19identity_decomposerEEE10hipError_tT1_T2_PT3_SK_jT4_jjP12ihipStream_tbEUlT_E0_NS1_11comp_targetILNS1_3genE5ELNS1_11target_archE942ELNS1_3gpuE9ELNS1_3repE0EEENS1_52radix_sort_onesweep_histogram_config_static_selectorELNS0_4arch9wavefront6targetE1EEEvSI_ ; -- Begin function _ZN7rocprim17ROCPRIM_400000_NS6detail17trampoline_kernelINS0_14default_configENS1_35radix_sort_onesweep_config_selectorIsNS0_10empty_typeEEEZNS1_34radix_sort_onesweep_global_offsetsIS3_Lb0EN6thrust23THRUST_200600_302600_NS6detail15normal_iteratorINS9_10device_ptrIsEEEEPS5_jNS0_19identity_decomposerEEE10hipError_tT1_T2_PT3_SK_jT4_jjP12ihipStream_tbEUlT_E0_NS1_11comp_targetILNS1_3genE5ELNS1_11target_archE942ELNS1_3gpuE9ELNS1_3repE0EEENS1_52radix_sort_onesweep_histogram_config_static_selectorELNS0_4arch9wavefront6targetE1EEEvSI_
	.globl	_ZN7rocprim17ROCPRIM_400000_NS6detail17trampoline_kernelINS0_14default_configENS1_35radix_sort_onesweep_config_selectorIsNS0_10empty_typeEEEZNS1_34radix_sort_onesweep_global_offsetsIS3_Lb0EN6thrust23THRUST_200600_302600_NS6detail15normal_iteratorINS9_10device_ptrIsEEEEPS5_jNS0_19identity_decomposerEEE10hipError_tT1_T2_PT3_SK_jT4_jjP12ihipStream_tbEUlT_E0_NS1_11comp_targetILNS1_3genE5ELNS1_11target_archE942ELNS1_3gpuE9ELNS1_3repE0EEENS1_52radix_sort_onesweep_histogram_config_static_selectorELNS0_4arch9wavefront6targetE1EEEvSI_
	.p2align	8
	.type	_ZN7rocprim17ROCPRIM_400000_NS6detail17trampoline_kernelINS0_14default_configENS1_35radix_sort_onesweep_config_selectorIsNS0_10empty_typeEEEZNS1_34radix_sort_onesweep_global_offsetsIS3_Lb0EN6thrust23THRUST_200600_302600_NS6detail15normal_iteratorINS9_10device_ptrIsEEEEPS5_jNS0_19identity_decomposerEEE10hipError_tT1_T2_PT3_SK_jT4_jjP12ihipStream_tbEUlT_E0_NS1_11comp_targetILNS1_3genE5ELNS1_11target_archE942ELNS1_3gpuE9ELNS1_3repE0EEENS1_52radix_sort_onesweep_histogram_config_static_selectorELNS0_4arch9wavefront6targetE1EEEvSI_,@function
_ZN7rocprim17ROCPRIM_400000_NS6detail17trampoline_kernelINS0_14default_configENS1_35radix_sort_onesweep_config_selectorIsNS0_10empty_typeEEEZNS1_34radix_sort_onesweep_global_offsetsIS3_Lb0EN6thrust23THRUST_200600_302600_NS6detail15normal_iteratorINS9_10device_ptrIsEEEEPS5_jNS0_19identity_decomposerEEE10hipError_tT1_T2_PT3_SK_jT4_jjP12ihipStream_tbEUlT_E0_NS1_11comp_targetILNS1_3genE5ELNS1_11target_archE942ELNS1_3gpuE9ELNS1_3repE0EEENS1_52radix_sort_onesweep_histogram_config_static_selectorELNS0_4arch9wavefront6targetE1EEEvSI_: ; @_ZN7rocprim17ROCPRIM_400000_NS6detail17trampoline_kernelINS0_14default_configENS1_35radix_sort_onesweep_config_selectorIsNS0_10empty_typeEEEZNS1_34radix_sort_onesweep_global_offsetsIS3_Lb0EN6thrust23THRUST_200600_302600_NS6detail15normal_iteratorINS9_10device_ptrIsEEEEPS5_jNS0_19identity_decomposerEEE10hipError_tT1_T2_PT3_SK_jT4_jjP12ihipStream_tbEUlT_E0_NS1_11comp_targetILNS1_3genE5ELNS1_11target_archE942ELNS1_3gpuE9ELNS1_3repE0EEENS1_52radix_sort_onesweep_histogram_config_static_selectorELNS0_4arch9wavefront6targetE1EEEvSI_
; %bb.0:
	s_load_dwordx2 s[0:1], s[0:1], 0x0
	s_lshl_b32 s2, s2, 8
	s_mov_b32 s3, 0
	s_lshl_b64 s[2:3], s[2:3], 2
	v_lshlrev_b32_e32 v1, 2, v0
	s_waitcnt lgkmcnt(0)
	s_add_u32 s10, s0, s2
	s_movk_i32 s0, 0x100
	s_addc_u32 s11, s1, s3
	v_cmp_gt_u32_e32 vcc, s0, v0
                                        ; implicit-def: $vgpr3
	s_and_saveexec_b64 s[0:1], vcc
	s_cbranch_execz .LBB1934_2
; %bb.1:
	global_load_dword v3, v1, s[10:11]
.LBB1934_2:
	s_or_b64 exec, exec, s[0:1]
	v_mbcnt_lo_u32_b32 v2, -1, 0
	v_mbcnt_hi_u32_b32 v2, -1, v2
	v_and_b32_e32 v4, 15, v2
	s_waitcnt vmcnt(0)
	v_mov_b32_dpp v5, v3 row_shr:1 row_mask:0xf bank_mask:0xf
	v_cmp_eq_u32_e64 s[0:1], 0, v4
	v_cmp_lt_u32_e64 s[2:3], 1, v4
	v_cmp_lt_u32_e64 s[4:5], 3, v4
	v_cndmask_b32_e64 v5, v5, 0, s[0:1]
	v_add_u32_e32 v3, v5, v3
	v_cmp_lt_u32_e64 s[6:7], 7, v4
	v_cmp_lt_u32_e64 s[8:9], 31, v2
	v_mov_b32_dpp v5, v3 row_shr:2 row_mask:0xf bank_mask:0xf
	v_cndmask_b32_e64 v5, 0, v5, s[2:3]
	v_add_u32_e32 v3, v3, v5
	s_nop 1
	v_mov_b32_dpp v5, v3 row_shr:4 row_mask:0xf bank_mask:0xf
	v_cndmask_b32_e64 v5, 0, v5, s[4:5]
	v_add_u32_e32 v3, v3, v5
	s_nop 1
	v_mov_b32_dpp v5, v3 row_shr:8 row_mask:0xf bank_mask:0xf
	v_cndmask_b32_e64 v4, 0, v5, s[6:7]
	v_add_u32_e32 v3, v3, v4
	v_bfe_i32 v5, v2, 4, 1
	s_nop 0
	v_mov_b32_dpp v4, v3 row_bcast:15 row_mask:0xf bank_mask:0xf
	v_and_b32_e32 v4, v5, v4
	v_add_u32_e32 v3, v3, v4
	v_and_b32_e32 v5, 63, v0
	s_nop 0
	v_mov_b32_dpp v4, v3 row_bcast:31 row_mask:0xf bank_mask:0xf
	v_cndmask_b32_e64 v4, 0, v4, s[8:9]
	v_add_u32_e32 v3, v3, v4
	v_lshrrev_b32_e32 v4, 6, v0
	v_cmp_eq_u32_e64 s[8:9], 63, v5
	s_and_saveexec_b64 s[12:13], s[8:9]
	s_cbranch_execz .LBB1934_4
; %bb.3:
	v_lshlrev_b32_e32 v5, 2, v4
	ds_write_b32 v5, v3
.LBB1934_4:
	s_or_b64 exec, exec, s[12:13]
	v_cmp_gt_u32_e64 s[8:9], 16, v0
	s_waitcnt lgkmcnt(0)
	s_barrier
	s_and_saveexec_b64 s[12:13], s[8:9]
	s_cbranch_execz .LBB1934_6
; %bb.5:
	ds_read_b32 v5, v1
	s_waitcnt lgkmcnt(0)
	s_nop 0
	v_mov_b32_dpp v6, v5 row_shr:1 row_mask:0xf bank_mask:0xf
	v_cndmask_b32_e64 v6, v6, 0, s[0:1]
	v_add_u32_e32 v5, v6, v5
	s_nop 1
	v_mov_b32_dpp v6, v5 row_shr:2 row_mask:0xf bank_mask:0xf
	v_cndmask_b32_e64 v6, 0, v6, s[2:3]
	v_add_u32_e32 v5, v5, v6
	;; [unrolled: 4-line block ×4, first 2 shown]
	ds_write_b32 v1, v5
.LBB1934_6:
	s_or_b64 exec, exec, s[12:13]
	v_cmp_lt_u32_e64 s[0:1], 63, v0
	v_mov_b32_e32 v0, 0
	s_waitcnt lgkmcnt(0)
	s_barrier
	s_and_saveexec_b64 s[2:3], s[0:1]
	s_cbranch_execz .LBB1934_8
; %bb.7:
	v_lshl_add_u32 v0, v4, 2, -4
	ds_read_b32 v0, v0
.LBB1934_8:
	s_or_b64 exec, exec, s[2:3]
	v_add_u32_e32 v4, -1, v2
	v_and_b32_e32 v5, 64, v2
	v_cmp_lt_i32_e64 s[0:1], v4, v5
	s_waitcnt lgkmcnt(0)
	v_add_u32_e32 v3, v0, v3
	v_cndmask_b32_e64 v4, v4, v2, s[0:1]
	v_lshlrev_b32_e32 v4, 2, v4
	ds_bpermute_b32 v3, v4, v3
	s_and_saveexec_b64 s[0:1], vcc
	s_cbranch_execz .LBB1934_10
; %bb.9:
	v_cmp_eq_u32_e32 vcc, 0, v2
	s_waitcnt lgkmcnt(0)
	s_nop 0
	v_cndmask_b32_e32 v0, v3, v0, vcc
	global_store_dword v1, v0, s[10:11]
.LBB1934_10:
	s_endpgm
	.section	.rodata,"a",@progbits
	.p2align	6, 0x0
	.amdhsa_kernel _ZN7rocprim17ROCPRIM_400000_NS6detail17trampoline_kernelINS0_14default_configENS1_35radix_sort_onesweep_config_selectorIsNS0_10empty_typeEEEZNS1_34radix_sort_onesweep_global_offsetsIS3_Lb0EN6thrust23THRUST_200600_302600_NS6detail15normal_iteratorINS9_10device_ptrIsEEEEPS5_jNS0_19identity_decomposerEEE10hipError_tT1_T2_PT3_SK_jT4_jjP12ihipStream_tbEUlT_E0_NS1_11comp_targetILNS1_3genE5ELNS1_11target_archE942ELNS1_3gpuE9ELNS1_3repE0EEENS1_52radix_sort_onesweep_histogram_config_static_selectorELNS0_4arch9wavefront6targetE1EEEvSI_
		.amdhsa_group_segment_fixed_size 64
		.amdhsa_private_segment_fixed_size 0
		.amdhsa_kernarg_size 8
		.amdhsa_user_sgpr_count 2
		.amdhsa_user_sgpr_dispatch_ptr 0
		.amdhsa_user_sgpr_queue_ptr 0
		.amdhsa_user_sgpr_kernarg_segment_ptr 1
		.amdhsa_user_sgpr_dispatch_id 0
		.amdhsa_user_sgpr_kernarg_preload_length 0
		.amdhsa_user_sgpr_kernarg_preload_offset 0
		.amdhsa_user_sgpr_private_segment_size 0
		.amdhsa_uses_dynamic_stack 0
		.amdhsa_enable_private_segment 0
		.amdhsa_system_sgpr_workgroup_id_x 1
		.amdhsa_system_sgpr_workgroup_id_y 0
		.amdhsa_system_sgpr_workgroup_id_z 0
		.amdhsa_system_sgpr_workgroup_info 0
		.amdhsa_system_vgpr_workitem_id 0
		.amdhsa_next_free_vgpr 7
		.amdhsa_next_free_sgpr 14
		.amdhsa_accum_offset 8
		.amdhsa_reserve_vcc 1
		.amdhsa_float_round_mode_32 0
		.amdhsa_float_round_mode_16_64 0
		.amdhsa_float_denorm_mode_32 3
		.amdhsa_float_denorm_mode_16_64 3
		.amdhsa_dx10_clamp 1
		.amdhsa_ieee_mode 1
		.amdhsa_fp16_overflow 0
		.amdhsa_tg_split 0
		.amdhsa_exception_fp_ieee_invalid_op 0
		.amdhsa_exception_fp_denorm_src 0
		.amdhsa_exception_fp_ieee_div_zero 0
		.amdhsa_exception_fp_ieee_overflow 0
		.amdhsa_exception_fp_ieee_underflow 0
		.amdhsa_exception_fp_ieee_inexact 0
		.amdhsa_exception_int_div_zero 0
	.end_amdhsa_kernel
	.section	.text._ZN7rocprim17ROCPRIM_400000_NS6detail17trampoline_kernelINS0_14default_configENS1_35radix_sort_onesweep_config_selectorIsNS0_10empty_typeEEEZNS1_34radix_sort_onesweep_global_offsetsIS3_Lb0EN6thrust23THRUST_200600_302600_NS6detail15normal_iteratorINS9_10device_ptrIsEEEEPS5_jNS0_19identity_decomposerEEE10hipError_tT1_T2_PT3_SK_jT4_jjP12ihipStream_tbEUlT_E0_NS1_11comp_targetILNS1_3genE5ELNS1_11target_archE942ELNS1_3gpuE9ELNS1_3repE0EEENS1_52radix_sort_onesweep_histogram_config_static_selectorELNS0_4arch9wavefront6targetE1EEEvSI_,"axG",@progbits,_ZN7rocprim17ROCPRIM_400000_NS6detail17trampoline_kernelINS0_14default_configENS1_35radix_sort_onesweep_config_selectorIsNS0_10empty_typeEEEZNS1_34radix_sort_onesweep_global_offsetsIS3_Lb0EN6thrust23THRUST_200600_302600_NS6detail15normal_iteratorINS9_10device_ptrIsEEEEPS5_jNS0_19identity_decomposerEEE10hipError_tT1_T2_PT3_SK_jT4_jjP12ihipStream_tbEUlT_E0_NS1_11comp_targetILNS1_3genE5ELNS1_11target_archE942ELNS1_3gpuE9ELNS1_3repE0EEENS1_52radix_sort_onesweep_histogram_config_static_selectorELNS0_4arch9wavefront6targetE1EEEvSI_,comdat
.Lfunc_end1934:
	.size	_ZN7rocprim17ROCPRIM_400000_NS6detail17trampoline_kernelINS0_14default_configENS1_35radix_sort_onesweep_config_selectorIsNS0_10empty_typeEEEZNS1_34radix_sort_onesweep_global_offsetsIS3_Lb0EN6thrust23THRUST_200600_302600_NS6detail15normal_iteratorINS9_10device_ptrIsEEEEPS5_jNS0_19identity_decomposerEEE10hipError_tT1_T2_PT3_SK_jT4_jjP12ihipStream_tbEUlT_E0_NS1_11comp_targetILNS1_3genE5ELNS1_11target_archE942ELNS1_3gpuE9ELNS1_3repE0EEENS1_52radix_sort_onesweep_histogram_config_static_selectorELNS0_4arch9wavefront6targetE1EEEvSI_, .Lfunc_end1934-_ZN7rocprim17ROCPRIM_400000_NS6detail17trampoline_kernelINS0_14default_configENS1_35radix_sort_onesweep_config_selectorIsNS0_10empty_typeEEEZNS1_34radix_sort_onesweep_global_offsetsIS3_Lb0EN6thrust23THRUST_200600_302600_NS6detail15normal_iteratorINS9_10device_ptrIsEEEEPS5_jNS0_19identity_decomposerEEE10hipError_tT1_T2_PT3_SK_jT4_jjP12ihipStream_tbEUlT_E0_NS1_11comp_targetILNS1_3genE5ELNS1_11target_archE942ELNS1_3gpuE9ELNS1_3repE0EEENS1_52radix_sort_onesweep_histogram_config_static_selectorELNS0_4arch9wavefront6targetE1EEEvSI_
                                        ; -- End function
	.section	.AMDGPU.csdata,"",@progbits
; Kernel info:
; codeLenInByte = 580
; NumSgprs: 20
; NumVgprs: 7
; NumAgprs: 0
; TotalNumVgprs: 7
; ScratchSize: 0
; MemoryBound: 0
; FloatMode: 240
; IeeeMode: 1
; LDSByteSize: 64 bytes/workgroup (compile time only)
; SGPRBlocks: 2
; VGPRBlocks: 0
; NumSGPRsForWavesPerEU: 20
; NumVGPRsForWavesPerEU: 7
; AccumOffset: 8
; Occupancy: 8
; WaveLimiterHint : 0
; COMPUTE_PGM_RSRC2:SCRATCH_EN: 0
; COMPUTE_PGM_RSRC2:USER_SGPR: 2
; COMPUTE_PGM_RSRC2:TRAP_HANDLER: 0
; COMPUTE_PGM_RSRC2:TGID_X_EN: 1
; COMPUTE_PGM_RSRC2:TGID_Y_EN: 0
; COMPUTE_PGM_RSRC2:TGID_Z_EN: 0
; COMPUTE_PGM_RSRC2:TIDIG_COMP_CNT: 0
; COMPUTE_PGM_RSRC3_GFX90A:ACCUM_OFFSET: 1
; COMPUTE_PGM_RSRC3_GFX90A:TG_SPLIT: 0
	.section	.text._ZN7rocprim17ROCPRIM_400000_NS6detail17trampoline_kernelINS0_14default_configENS1_35radix_sort_onesweep_config_selectorIsNS0_10empty_typeEEEZNS1_34radix_sort_onesweep_global_offsetsIS3_Lb0EN6thrust23THRUST_200600_302600_NS6detail15normal_iteratorINS9_10device_ptrIsEEEEPS5_jNS0_19identity_decomposerEEE10hipError_tT1_T2_PT3_SK_jT4_jjP12ihipStream_tbEUlT_E0_NS1_11comp_targetILNS1_3genE2ELNS1_11target_archE906ELNS1_3gpuE6ELNS1_3repE0EEENS1_52radix_sort_onesweep_histogram_config_static_selectorELNS0_4arch9wavefront6targetE1EEEvSI_,"axG",@progbits,_ZN7rocprim17ROCPRIM_400000_NS6detail17trampoline_kernelINS0_14default_configENS1_35radix_sort_onesweep_config_selectorIsNS0_10empty_typeEEEZNS1_34radix_sort_onesweep_global_offsetsIS3_Lb0EN6thrust23THRUST_200600_302600_NS6detail15normal_iteratorINS9_10device_ptrIsEEEEPS5_jNS0_19identity_decomposerEEE10hipError_tT1_T2_PT3_SK_jT4_jjP12ihipStream_tbEUlT_E0_NS1_11comp_targetILNS1_3genE2ELNS1_11target_archE906ELNS1_3gpuE6ELNS1_3repE0EEENS1_52radix_sort_onesweep_histogram_config_static_selectorELNS0_4arch9wavefront6targetE1EEEvSI_,comdat
	.protected	_ZN7rocprim17ROCPRIM_400000_NS6detail17trampoline_kernelINS0_14default_configENS1_35radix_sort_onesweep_config_selectorIsNS0_10empty_typeEEEZNS1_34radix_sort_onesweep_global_offsetsIS3_Lb0EN6thrust23THRUST_200600_302600_NS6detail15normal_iteratorINS9_10device_ptrIsEEEEPS5_jNS0_19identity_decomposerEEE10hipError_tT1_T2_PT3_SK_jT4_jjP12ihipStream_tbEUlT_E0_NS1_11comp_targetILNS1_3genE2ELNS1_11target_archE906ELNS1_3gpuE6ELNS1_3repE0EEENS1_52radix_sort_onesweep_histogram_config_static_selectorELNS0_4arch9wavefront6targetE1EEEvSI_ ; -- Begin function _ZN7rocprim17ROCPRIM_400000_NS6detail17trampoline_kernelINS0_14default_configENS1_35radix_sort_onesweep_config_selectorIsNS0_10empty_typeEEEZNS1_34radix_sort_onesweep_global_offsetsIS3_Lb0EN6thrust23THRUST_200600_302600_NS6detail15normal_iteratorINS9_10device_ptrIsEEEEPS5_jNS0_19identity_decomposerEEE10hipError_tT1_T2_PT3_SK_jT4_jjP12ihipStream_tbEUlT_E0_NS1_11comp_targetILNS1_3genE2ELNS1_11target_archE906ELNS1_3gpuE6ELNS1_3repE0EEENS1_52radix_sort_onesweep_histogram_config_static_selectorELNS0_4arch9wavefront6targetE1EEEvSI_
	.globl	_ZN7rocprim17ROCPRIM_400000_NS6detail17trampoline_kernelINS0_14default_configENS1_35radix_sort_onesweep_config_selectorIsNS0_10empty_typeEEEZNS1_34radix_sort_onesweep_global_offsetsIS3_Lb0EN6thrust23THRUST_200600_302600_NS6detail15normal_iteratorINS9_10device_ptrIsEEEEPS5_jNS0_19identity_decomposerEEE10hipError_tT1_T2_PT3_SK_jT4_jjP12ihipStream_tbEUlT_E0_NS1_11comp_targetILNS1_3genE2ELNS1_11target_archE906ELNS1_3gpuE6ELNS1_3repE0EEENS1_52radix_sort_onesweep_histogram_config_static_selectorELNS0_4arch9wavefront6targetE1EEEvSI_
	.p2align	8
	.type	_ZN7rocprim17ROCPRIM_400000_NS6detail17trampoline_kernelINS0_14default_configENS1_35radix_sort_onesweep_config_selectorIsNS0_10empty_typeEEEZNS1_34radix_sort_onesweep_global_offsetsIS3_Lb0EN6thrust23THRUST_200600_302600_NS6detail15normal_iteratorINS9_10device_ptrIsEEEEPS5_jNS0_19identity_decomposerEEE10hipError_tT1_T2_PT3_SK_jT4_jjP12ihipStream_tbEUlT_E0_NS1_11comp_targetILNS1_3genE2ELNS1_11target_archE906ELNS1_3gpuE6ELNS1_3repE0EEENS1_52radix_sort_onesweep_histogram_config_static_selectorELNS0_4arch9wavefront6targetE1EEEvSI_,@function
_ZN7rocprim17ROCPRIM_400000_NS6detail17trampoline_kernelINS0_14default_configENS1_35radix_sort_onesweep_config_selectorIsNS0_10empty_typeEEEZNS1_34radix_sort_onesweep_global_offsetsIS3_Lb0EN6thrust23THRUST_200600_302600_NS6detail15normal_iteratorINS9_10device_ptrIsEEEEPS5_jNS0_19identity_decomposerEEE10hipError_tT1_T2_PT3_SK_jT4_jjP12ihipStream_tbEUlT_E0_NS1_11comp_targetILNS1_3genE2ELNS1_11target_archE906ELNS1_3gpuE6ELNS1_3repE0EEENS1_52radix_sort_onesweep_histogram_config_static_selectorELNS0_4arch9wavefront6targetE1EEEvSI_: ; @_ZN7rocprim17ROCPRIM_400000_NS6detail17trampoline_kernelINS0_14default_configENS1_35radix_sort_onesweep_config_selectorIsNS0_10empty_typeEEEZNS1_34radix_sort_onesweep_global_offsetsIS3_Lb0EN6thrust23THRUST_200600_302600_NS6detail15normal_iteratorINS9_10device_ptrIsEEEEPS5_jNS0_19identity_decomposerEEE10hipError_tT1_T2_PT3_SK_jT4_jjP12ihipStream_tbEUlT_E0_NS1_11comp_targetILNS1_3genE2ELNS1_11target_archE906ELNS1_3gpuE6ELNS1_3repE0EEENS1_52radix_sort_onesweep_histogram_config_static_selectorELNS0_4arch9wavefront6targetE1EEEvSI_
; %bb.0:
	.section	.rodata,"a",@progbits
	.p2align	6, 0x0
	.amdhsa_kernel _ZN7rocprim17ROCPRIM_400000_NS6detail17trampoline_kernelINS0_14default_configENS1_35radix_sort_onesweep_config_selectorIsNS0_10empty_typeEEEZNS1_34radix_sort_onesweep_global_offsetsIS3_Lb0EN6thrust23THRUST_200600_302600_NS6detail15normal_iteratorINS9_10device_ptrIsEEEEPS5_jNS0_19identity_decomposerEEE10hipError_tT1_T2_PT3_SK_jT4_jjP12ihipStream_tbEUlT_E0_NS1_11comp_targetILNS1_3genE2ELNS1_11target_archE906ELNS1_3gpuE6ELNS1_3repE0EEENS1_52radix_sort_onesweep_histogram_config_static_selectorELNS0_4arch9wavefront6targetE1EEEvSI_
		.amdhsa_group_segment_fixed_size 0
		.amdhsa_private_segment_fixed_size 0
		.amdhsa_kernarg_size 8
		.amdhsa_user_sgpr_count 2
		.amdhsa_user_sgpr_dispatch_ptr 0
		.amdhsa_user_sgpr_queue_ptr 0
		.amdhsa_user_sgpr_kernarg_segment_ptr 1
		.amdhsa_user_sgpr_dispatch_id 0
		.amdhsa_user_sgpr_kernarg_preload_length 0
		.amdhsa_user_sgpr_kernarg_preload_offset 0
		.amdhsa_user_sgpr_private_segment_size 0
		.amdhsa_uses_dynamic_stack 0
		.amdhsa_enable_private_segment 0
		.amdhsa_system_sgpr_workgroup_id_x 1
		.amdhsa_system_sgpr_workgroup_id_y 0
		.amdhsa_system_sgpr_workgroup_id_z 0
		.amdhsa_system_sgpr_workgroup_info 0
		.amdhsa_system_vgpr_workitem_id 0
		.amdhsa_next_free_vgpr 1
		.amdhsa_next_free_sgpr 0
		.amdhsa_accum_offset 4
		.amdhsa_reserve_vcc 0
		.amdhsa_float_round_mode_32 0
		.amdhsa_float_round_mode_16_64 0
		.amdhsa_float_denorm_mode_32 3
		.amdhsa_float_denorm_mode_16_64 3
		.amdhsa_dx10_clamp 1
		.amdhsa_ieee_mode 1
		.amdhsa_fp16_overflow 0
		.amdhsa_tg_split 0
		.amdhsa_exception_fp_ieee_invalid_op 0
		.amdhsa_exception_fp_denorm_src 0
		.amdhsa_exception_fp_ieee_div_zero 0
		.amdhsa_exception_fp_ieee_overflow 0
		.amdhsa_exception_fp_ieee_underflow 0
		.amdhsa_exception_fp_ieee_inexact 0
		.amdhsa_exception_int_div_zero 0
	.end_amdhsa_kernel
	.section	.text._ZN7rocprim17ROCPRIM_400000_NS6detail17trampoline_kernelINS0_14default_configENS1_35radix_sort_onesweep_config_selectorIsNS0_10empty_typeEEEZNS1_34radix_sort_onesweep_global_offsetsIS3_Lb0EN6thrust23THRUST_200600_302600_NS6detail15normal_iteratorINS9_10device_ptrIsEEEEPS5_jNS0_19identity_decomposerEEE10hipError_tT1_T2_PT3_SK_jT4_jjP12ihipStream_tbEUlT_E0_NS1_11comp_targetILNS1_3genE2ELNS1_11target_archE906ELNS1_3gpuE6ELNS1_3repE0EEENS1_52radix_sort_onesweep_histogram_config_static_selectorELNS0_4arch9wavefront6targetE1EEEvSI_,"axG",@progbits,_ZN7rocprim17ROCPRIM_400000_NS6detail17trampoline_kernelINS0_14default_configENS1_35radix_sort_onesweep_config_selectorIsNS0_10empty_typeEEEZNS1_34radix_sort_onesweep_global_offsetsIS3_Lb0EN6thrust23THRUST_200600_302600_NS6detail15normal_iteratorINS9_10device_ptrIsEEEEPS5_jNS0_19identity_decomposerEEE10hipError_tT1_T2_PT3_SK_jT4_jjP12ihipStream_tbEUlT_E0_NS1_11comp_targetILNS1_3genE2ELNS1_11target_archE906ELNS1_3gpuE6ELNS1_3repE0EEENS1_52radix_sort_onesweep_histogram_config_static_selectorELNS0_4arch9wavefront6targetE1EEEvSI_,comdat
.Lfunc_end1935:
	.size	_ZN7rocprim17ROCPRIM_400000_NS6detail17trampoline_kernelINS0_14default_configENS1_35radix_sort_onesweep_config_selectorIsNS0_10empty_typeEEEZNS1_34radix_sort_onesweep_global_offsetsIS3_Lb0EN6thrust23THRUST_200600_302600_NS6detail15normal_iteratorINS9_10device_ptrIsEEEEPS5_jNS0_19identity_decomposerEEE10hipError_tT1_T2_PT3_SK_jT4_jjP12ihipStream_tbEUlT_E0_NS1_11comp_targetILNS1_3genE2ELNS1_11target_archE906ELNS1_3gpuE6ELNS1_3repE0EEENS1_52radix_sort_onesweep_histogram_config_static_selectorELNS0_4arch9wavefront6targetE1EEEvSI_, .Lfunc_end1935-_ZN7rocprim17ROCPRIM_400000_NS6detail17trampoline_kernelINS0_14default_configENS1_35radix_sort_onesweep_config_selectorIsNS0_10empty_typeEEEZNS1_34radix_sort_onesweep_global_offsetsIS3_Lb0EN6thrust23THRUST_200600_302600_NS6detail15normal_iteratorINS9_10device_ptrIsEEEEPS5_jNS0_19identity_decomposerEEE10hipError_tT1_T2_PT3_SK_jT4_jjP12ihipStream_tbEUlT_E0_NS1_11comp_targetILNS1_3genE2ELNS1_11target_archE906ELNS1_3gpuE6ELNS1_3repE0EEENS1_52radix_sort_onesweep_histogram_config_static_selectorELNS0_4arch9wavefront6targetE1EEEvSI_
                                        ; -- End function
	.section	.AMDGPU.csdata,"",@progbits
; Kernel info:
; codeLenInByte = 0
; NumSgprs: 6
; NumVgprs: 0
; NumAgprs: 0
; TotalNumVgprs: 0
; ScratchSize: 0
; MemoryBound: 0
; FloatMode: 240
; IeeeMode: 1
; LDSByteSize: 0 bytes/workgroup (compile time only)
; SGPRBlocks: 0
; VGPRBlocks: 0
; NumSGPRsForWavesPerEU: 6
; NumVGPRsForWavesPerEU: 1
; AccumOffset: 4
; Occupancy: 8
; WaveLimiterHint : 0
; COMPUTE_PGM_RSRC2:SCRATCH_EN: 0
; COMPUTE_PGM_RSRC2:USER_SGPR: 2
; COMPUTE_PGM_RSRC2:TRAP_HANDLER: 0
; COMPUTE_PGM_RSRC2:TGID_X_EN: 1
; COMPUTE_PGM_RSRC2:TGID_Y_EN: 0
; COMPUTE_PGM_RSRC2:TGID_Z_EN: 0
; COMPUTE_PGM_RSRC2:TIDIG_COMP_CNT: 0
; COMPUTE_PGM_RSRC3_GFX90A:ACCUM_OFFSET: 0
; COMPUTE_PGM_RSRC3_GFX90A:TG_SPLIT: 0
	.section	.text._ZN7rocprim17ROCPRIM_400000_NS6detail17trampoline_kernelINS0_14default_configENS1_35radix_sort_onesweep_config_selectorIsNS0_10empty_typeEEEZNS1_34radix_sort_onesweep_global_offsetsIS3_Lb0EN6thrust23THRUST_200600_302600_NS6detail15normal_iteratorINS9_10device_ptrIsEEEEPS5_jNS0_19identity_decomposerEEE10hipError_tT1_T2_PT3_SK_jT4_jjP12ihipStream_tbEUlT_E0_NS1_11comp_targetILNS1_3genE4ELNS1_11target_archE910ELNS1_3gpuE8ELNS1_3repE0EEENS1_52radix_sort_onesweep_histogram_config_static_selectorELNS0_4arch9wavefront6targetE1EEEvSI_,"axG",@progbits,_ZN7rocprim17ROCPRIM_400000_NS6detail17trampoline_kernelINS0_14default_configENS1_35radix_sort_onesweep_config_selectorIsNS0_10empty_typeEEEZNS1_34radix_sort_onesweep_global_offsetsIS3_Lb0EN6thrust23THRUST_200600_302600_NS6detail15normal_iteratorINS9_10device_ptrIsEEEEPS5_jNS0_19identity_decomposerEEE10hipError_tT1_T2_PT3_SK_jT4_jjP12ihipStream_tbEUlT_E0_NS1_11comp_targetILNS1_3genE4ELNS1_11target_archE910ELNS1_3gpuE8ELNS1_3repE0EEENS1_52radix_sort_onesweep_histogram_config_static_selectorELNS0_4arch9wavefront6targetE1EEEvSI_,comdat
	.protected	_ZN7rocprim17ROCPRIM_400000_NS6detail17trampoline_kernelINS0_14default_configENS1_35radix_sort_onesweep_config_selectorIsNS0_10empty_typeEEEZNS1_34radix_sort_onesweep_global_offsetsIS3_Lb0EN6thrust23THRUST_200600_302600_NS6detail15normal_iteratorINS9_10device_ptrIsEEEEPS5_jNS0_19identity_decomposerEEE10hipError_tT1_T2_PT3_SK_jT4_jjP12ihipStream_tbEUlT_E0_NS1_11comp_targetILNS1_3genE4ELNS1_11target_archE910ELNS1_3gpuE8ELNS1_3repE0EEENS1_52radix_sort_onesweep_histogram_config_static_selectorELNS0_4arch9wavefront6targetE1EEEvSI_ ; -- Begin function _ZN7rocprim17ROCPRIM_400000_NS6detail17trampoline_kernelINS0_14default_configENS1_35radix_sort_onesweep_config_selectorIsNS0_10empty_typeEEEZNS1_34radix_sort_onesweep_global_offsetsIS3_Lb0EN6thrust23THRUST_200600_302600_NS6detail15normal_iteratorINS9_10device_ptrIsEEEEPS5_jNS0_19identity_decomposerEEE10hipError_tT1_T2_PT3_SK_jT4_jjP12ihipStream_tbEUlT_E0_NS1_11comp_targetILNS1_3genE4ELNS1_11target_archE910ELNS1_3gpuE8ELNS1_3repE0EEENS1_52radix_sort_onesweep_histogram_config_static_selectorELNS0_4arch9wavefront6targetE1EEEvSI_
	.globl	_ZN7rocprim17ROCPRIM_400000_NS6detail17trampoline_kernelINS0_14default_configENS1_35radix_sort_onesweep_config_selectorIsNS0_10empty_typeEEEZNS1_34radix_sort_onesweep_global_offsetsIS3_Lb0EN6thrust23THRUST_200600_302600_NS6detail15normal_iteratorINS9_10device_ptrIsEEEEPS5_jNS0_19identity_decomposerEEE10hipError_tT1_T2_PT3_SK_jT4_jjP12ihipStream_tbEUlT_E0_NS1_11comp_targetILNS1_3genE4ELNS1_11target_archE910ELNS1_3gpuE8ELNS1_3repE0EEENS1_52radix_sort_onesweep_histogram_config_static_selectorELNS0_4arch9wavefront6targetE1EEEvSI_
	.p2align	8
	.type	_ZN7rocprim17ROCPRIM_400000_NS6detail17trampoline_kernelINS0_14default_configENS1_35radix_sort_onesweep_config_selectorIsNS0_10empty_typeEEEZNS1_34radix_sort_onesweep_global_offsetsIS3_Lb0EN6thrust23THRUST_200600_302600_NS6detail15normal_iteratorINS9_10device_ptrIsEEEEPS5_jNS0_19identity_decomposerEEE10hipError_tT1_T2_PT3_SK_jT4_jjP12ihipStream_tbEUlT_E0_NS1_11comp_targetILNS1_3genE4ELNS1_11target_archE910ELNS1_3gpuE8ELNS1_3repE0EEENS1_52radix_sort_onesweep_histogram_config_static_selectorELNS0_4arch9wavefront6targetE1EEEvSI_,@function
_ZN7rocprim17ROCPRIM_400000_NS6detail17trampoline_kernelINS0_14default_configENS1_35radix_sort_onesweep_config_selectorIsNS0_10empty_typeEEEZNS1_34radix_sort_onesweep_global_offsetsIS3_Lb0EN6thrust23THRUST_200600_302600_NS6detail15normal_iteratorINS9_10device_ptrIsEEEEPS5_jNS0_19identity_decomposerEEE10hipError_tT1_T2_PT3_SK_jT4_jjP12ihipStream_tbEUlT_E0_NS1_11comp_targetILNS1_3genE4ELNS1_11target_archE910ELNS1_3gpuE8ELNS1_3repE0EEENS1_52radix_sort_onesweep_histogram_config_static_selectorELNS0_4arch9wavefront6targetE1EEEvSI_: ; @_ZN7rocprim17ROCPRIM_400000_NS6detail17trampoline_kernelINS0_14default_configENS1_35radix_sort_onesweep_config_selectorIsNS0_10empty_typeEEEZNS1_34radix_sort_onesweep_global_offsetsIS3_Lb0EN6thrust23THRUST_200600_302600_NS6detail15normal_iteratorINS9_10device_ptrIsEEEEPS5_jNS0_19identity_decomposerEEE10hipError_tT1_T2_PT3_SK_jT4_jjP12ihipStream_tbEUlT_E0_NS1_11comp_targetILNS1_3genE4ELNS1_11target_archE910ELNS1_3gpuE8ELNS1_3repE0EEENS1_52radix_sort_onesweep_histogram_config_static_selectorELNS0_4arch9wavefront6targetE1EEEvSI_
; %bb.0:
	.section	.rodata,"a",@progbits
	.p2align	6, 0x0
	.amdhsa_kernel _ZN7rocprim17ROCPRIM_400000_NS6detail17trampoline_kernelINS0_14default_configENS1_35radix_sort_onesweep_config_selectorIsNS0_10empty_typeEEEZNS1_34radix_sort_onesweep_global_offsetsIS3_Lb0EN6thrust23THRUST_200600_302600_NS6detail15normal_iteratorINS9_10device_ptrIsEEEEPS5_jNS0_19identity_decomposerEEE10hipError_tT1_T2_PT3_SK_jT4_jjP12ihipStream_tbEUlT_E0_NS1_11comp_targetILNS1_3genE4ELNS1_11target_archE910ELNS1_3gpuE8ELNS1_3repE0EEENS1_52radix_sort_onesweep_histogram_config_static_selectorELNS0_4arch9wavefront6targetE1EEEvSI_
		.amdhsa_group_segment_fixed_size 0
		.amdhsa_private_segment_fixed_size 0
		.amdhsa_kernarg_size 8
		.amdhsa_user_sgpr_count 2
		.amdhsa_user_sgpr_dispatch_ptr 0
		.amdhsa_user_sgpr_queue_ptr 0
		.amdhsa_user_sgpr_kernarg_segment_ptr 1
		.amdhsa_user_sgpr_dispatch_id 0
		.amdhsa_user_sgpr_kernarg_preload_length 0
		.amdhsa_user_sgpr_kernarg_preload_offset 0
		.amdhsa_user_sgpr_private_segment_size 0
		.amdhsa_uses_dynamic_stack 0
		.amdhsa_enable_private_segment 0
		.amdhsa_system_sgpr_workgroup_id_x 1
		.amdhsa_system_sgpr_workgroup_id_y 0
		.amdhsa_system_sgpr_workgroup_id_z 0
		.amdhsa_system_sgpr_workgroup_info 0
		.amdhsa_system_vgpr_workitem_id 0
		.amdhsa_next_free_vgpr 1
		.amdhsa_next_free_sgpr 0
		.amdhsa_accum_offset 4
		.amdhsa_reserve_vcc 0
		.amdhsa_float_round_mode_32 0
		.amdhsa_float_round_mode_16_64 0
		.amdhsa_float_denorm_mode_32 3
		.amdhsa_float_denorm_mode_16_64 3
		.amdhsa_dx10_clamp 1
		.amdhsa_ieee_mode 1
		.amdhsa_fp16_overflow 0
		.amdhsa_tg_split 0
		.amdhsa_exception_fp_ieee_invalid_op 0
		.amdhsa_exception_fp_denorm_src 0
		.amdhsa_exception_fp_ieee_div_zero 0
		.amdhsa_exception_fp_ieee_overflow 0
		.amdhsa_exception_fp_ieee_underflow 0
		.amdhsa_exception_fp_ieee_inexact 0
		.amdhsa_exception_int_div_zero 0
	.end_amdhsa_kernel
	.section	.text._ZN7rocprim17ROCPRIM_400000_NS6detail17trampoline_kernelINS0_14default_configENS1_35radix_sort_onesweep_config_selectorIsNS0_10empty_typeEEEZNS1_34radix_sort_onesweep_global_offsetsIS3_Lb0EN6thrust23THRUST_200600_302600_NS6detail15normal_iteratorINS9_10device_ptrIsEEEEPS5_jNS0_19identity_decomposerEEE10hipError_tT1_T2_PT3_SK_jT4_jjP12ihipStream_tbEUlT_E0_NS1_11comp_targetILNS1_3genE4ELNS1_11target_archE910ELNS1_3gpuE8ELNS1_3repE0EEENS1_52radix_sort_onesweep_histogram_config_static_selectorELNS0_4arch9wavefront6targetE1EEEvSI_,"axG",@progbits,_ZN7rocprim17ROCPRIM_400000_NS6detail17trampoline_kernelINS0_14default_configENS1_35radix_sort_onesweep_config_selectorIsNS0_10empty_typeEEEZNS1_34radix_sort_onesweep_global_offsetsIS3_Lb0EN6thrust23THRUST_200600_302600_NS6detail15normal_iteratorINS9_10device_ptrIsEEEEPS5_jNS0_19identity_decomposerEEE10hipError_tT1_T2_PT3_SK_jT4_jjP12ihipStream_tbEUlT_E0_NS1_11comp_targetILNS1_3genE4ELNS1_11target_archE910ELNS1_3gpuE8ELNS1_3repE0EEENS1_52radix_sort_onesweep_histogram_config_static_selectorELNS0_4arch9wavefront6targetE1EEEvSI_,comdat
.Lfunc_end1936:
	.size	_ZN7rocprim17ROCPRIM_400000_NS6detail17trampoline_kernelINS0_14default_configENS1_35radix_sort_onesweep_config_selectorIsNS0_10empty_typeEEEZNS1_34radix_sort_onesweep_global_offsetsIS3_Lb0EN6thrust23THRUST_200600_302600_NS6detail15normal_iteratorINS9_10device_ptrIsEEEEPS5_jNS0_19identity_decomposerEEE10hipError_tT1_T2_PT3_SK_jT4_jjP12ihipStream_tbEUlT_E0_NS1_11comp_targetILNS1_3genE4ELNS1_11target_archE910ELNS1_3gpuE8ELNS1_3repE0EEENS1_52radix_sort_onesweep_histogram_config_static_selectorELNS0_4arch9wavefront6targetE1EEEvSI_, .Lfunc_end1936-_ZN7rocprim17ROCPRIM_400000_NS6detail17trampoline_kernelINS0_14default_configENS1_35radix_sort_onesweep_config_selectorIsNS0_10empty_typeEEEZNS1_34radix_sort_onesweep_global_offsetsIS3_Lb0EN6thrust23THRUST_200600_302600_NS6detail15normal_iteratorINS9_10device_ptrIsEEEEPS5_jNS0_19identity_decomposerEEE10hipError_tT1_T2_PT3_SK_jT4_jjP12ihipStream_tbEUlT_E0_NS1_11comp_targetILNS1_3genE4ELNS1_11target_archE910ELNS1_3gpuE8ELNS1_3repE0EEENS1_52radix_sort_onesweep_histogram_config_static_selectorELNS0_4arch9wavefront6targetE1EEEvSI_
                                        ; -- End function
	.section	.AMDGPU.csdata,"",@progbits
; Kernel info:
; codeLenInByte = 0
; NumSgprs: 6
; NumVgprs: 0
; NumAgprs: 0
; TotalNumVgprs: 0
; ScratchSize: 0
; MemoryBound: 0
; FloatMode: 240
; IeeeMode: 1
; LDSByteSize: 0 bytes/workgroup (compile time only)
; SGPRBlocks: 0
; VGPRBlocks: 0
; NumSGPRsForWavesPerEU: 6
; NumVGPRsForWavesPerEU: 1
; AccumOffset: 4
; Occupancy: 8
; WaveLimiterHint : 0
; COMPUTE_PGM_RSRC2:SCRATCH_EN: 0
; COMPUTE_PGM_RSRC2:USER_SGPR: 2
; COMPUTE_PGM_RSRC2:TRAP_HANDLER: 0
; COMPUTE_PGM_RSRC2:TGID_X_EN: 1
; COMPUTE_PGM_RSRC2:TGID_Y_EN: 0
; COMPUTE_PGM_RSRC2:TGID_Z_EN: 0
; COMPUTE_PGM_RSRC2:TIDIG_COMP_CNT: 0
; COMPUTE_PGM_RSRC3_GFX90A:ACCUM_OFFSET: 0
; COMPUTE_PGM_RSRC3_GFX90A:TG_SPLIT: 0
	.section	.text._ZN7rocprim17ROCPRIM_400000_NS6detail17trampoline_kernelINS0_14default_configENS1_35radix_sort_onesweep_config_selectorIsNS0_10empty_typeEEEZNS1_34radix_sort_onesweep_global_offsetsIS3_Lb0EN6thrust23THRUST_200600_302600_NS6detail15normal_iteratorINS9_10device_ptrIsEEEEPS5_jNS0_19identity_decomposerEEE10hipError_tT1_T2_PT3_SK_jT4_jjP12ihipStream_tbEUlT_E0_NS1_11comp_targetILNS1_3genE3ELNS1_11target_archE908ELNS1_3gpuE7ELNS1_3repE0EEENS1_52radix_sort_onesweep_histogram_config_static_selectorELNS0_4arch9wavefront6targetE1EEEvSI_,"axG",@progbits,_ZN7rocprim17ROCPRIM_400000_NS6detail17trampoline_kernelINS0_14default_configENS1_35radix_sort_onesweep_config_selectorIsNS0_10empty_typeEEEZNS1_34radix_sort_onesweep_global_offsetsIS3_Lb0EN6thrust23THRUST_200600_302600_NS6detail15normal_iteratorINS9_10device_ptrIsEEEEPS5_jNS0_19identity_decomposerEEE10hipError_tT1_T2_PT3_SK_jT4_jjP12ihipStream_tbEUlT_E0_NS1_11comp_targetILNS1_3genE3ELNS1_11target_archE908ELNS1_3gpuE7ELNS1_3repE0EEENS1_52radix_sort_onesweep_histogram_config_static_selectorELNS0_4arch9wavefront6targetE1EEEvSI_,comdat
	.protected	_ZN7rocprim17ROCPRIM_400000_NS6detail17trampoline_kernelINS0_14default_configENS1_35radix_sort_onesweep_config_selectorIsNS0_10empty_typeEEEZNS1_34radix_sort_onesweep_global_offsetsIS3_Lb0EN6thrust23THRUST_200600_302600_NS6detail15normal_iteratorINS9_10device_ptrIsEEEEPS5_jNS0_19identity_decomposerEEE10hipError_tT1_T2_PT3_SK_jT4_jjP12ihipStream_tbEUlT_E0_NS1_11comp_targetILNS1_3genE3ELNS1_11target_archE908ELNS1_3gpuE7ELNS1_3repE0EEENS1_52radix_sort_onesweep_histogram_config_static_selectorELNS0_4arch9wavefront6targetE1EEEvSI_ ; -- Begin function _ZN7rocprim17ROCPRIM_400000_NS6detail17trampoline_kernelINS0_14default_configENS1_35radix_sort_onesweep_config_selectorIsNS0_10empty_typeEEEZNS1_34radix_sort_onesweep_global_offsetsIS3_Lb0EN6thrust23THRUST_200600_302600_NS6detail15normal_iteratorINS9_10device_ptrIsEEEEPS5_jNS0_19identity_decomposerEEE10hipError_tT1_T2_PT3_SK_jT4_jjP12ihipStream_tbEUlT_E0_NS1_11comp_targetILNS1_3genE3ELNS1_11target_archE908ELNS1_3gpuE7ELNS1_3repE0EEENS1_52radix_sort_onesweep_histogram_config_static_selectorELNS0_4arch9wavefront6targetE1EEEvSI_
	.globl	_ZN7rocprim17ROCPRIM_400000_NS6detail17trampoline_kernelINS0_14default_configENS1_35radix_sort_onesweep_config_selectorIsNS0_10empty_typeEEEZNS1_34radix_sort_onesweep_global_offsetsIS3_Lb0EN6thrust23THRUST_200600_302600_NS6detail15normal_iteratorINS9_10device_ptrIsEEEEPS5_jNS0_19identity_decomposerEEE10hipError_tT1_T2_PT3_SK_jT4_jjP12ihipStream_tbEUlT_E0_NS1_11comp_targetILNS1_3genE3ELNS1_11target_archE908ELNS1_3gpuE7ELNS1_3repE0EEENS1_52radix_sort_onesweep_histogram_config_static_selectorELNS0_4arch9wavefront6targetE1EEEvSI_
	.p2align	8
	.type	_ZN7rocprim17ROCPRIM_400000_NS6detail17trampoline_kernelINS0_14default_configENS1_35radix_sort_onesweep_config_selectorIsNS0_10empty_typeEEEZNS1_34radix_sort_onesweep_global_offsetsIS3_Lb0EN6thrust23THRUST_200600_302600_NS6detail15normal_iteratorINS9_10device_ptrIsEEEEPS5_jNS0_19identity_decomposerEEE10hipError_tT1_T2_PT3_SK_jT4_jjP12ihipStream_tbEUlT_E0_NS1_11comp_targetILNS1_3genE3ELNS1_11target_archE908ELNS1_3gpuE7ELNS1_3repE0EEENS1_52radix_sort_onesweep_histogram_config_static_selectorELNS0_4arch9wavefront6targetE1EEEvSI_,@function
_ZN7rocprim17ROCPRIM_400000_NS6detail17trampoline_kernelINS0_14default_configENS1_35radix_sort_onesweep_config_selectorIsNS0_10empty_typeEEEZNS1_34radix_sort_onesweep_global_offsetsIS3_Lb0EN6thrust23THRUST_200600_302600_NS6detail15normal_iteratorINS9_10device_ptrIsEEEEPS5_jNS0_19identity_decomposerEEE10hipError_tT1_T2_PT3_SK_jT4_jjP12ihipStream_tbEUlT_E0_NS1_11comp_targetILNS1_3genE3ELNS1_11target_archE908ELNS1_3gpuE7ELNS1_3repE0EEENS1_52radix_sort_onesweep_histogram_config_static_selectorELNS0_4arch9wavefront6targetE1EEEvSI_: ; @_ZN7rocprim17ROCPRIM_400000_NS6detail17trampoline_kernelINS0_14default_configENS1_35radix_sort_onesweep_config_selectorIsNS0_10empty_typeEEEZNS1_34radix_sort_onesweep_global_offsetsIS3_Lb0EN6thrust23THRUST_200600_302600_NS6detail15normal_iteratorINS9_10device_ptrIsEEEEPS5_jNS0_19identity_decomposerEEE10hipError_tT1_T2_PT3_SK_jT4_jjP12ihipStream_tbEUlT_E0_NS1_11comp_targetILNS1_3genE3ELNS1_11target_archE908ELNS1_3gpuE7ELNS1_3repE0EEENS1_52radix_sort_onesweep_histogram_config_static_selectorELNS0_4arch9wavefront6targetE1EEEvSI_
; %bb.0:
	.section	.rodata,"a",@progbits
	.p2align	6, 0x0
	.amdhsa_kernel _ZN7rocprim17ROCPRIM_400000_NS6detail17trampoline_kernelINS0_14default_configENS1_35radix_sort_onesweep_config_selectorIsNS0_10empty_typeEEEZNS1_34radix_sort_onesweep_global_offsetsIS3_Lb0EN6thrust23THRUST_200600_302600_NS6detail15normal_iteratorINS9_10device_ptrIsEEEEPS5_jNS0_19identity_decomposerEEE10hipError_tT1_T2_PT3_SK_jT4_jjP12ihipStream_tbEUlT_E0_NS1_11comp_targetILNS1_3genE3ELNS1_11target_archE908ELNS1_3gpuE7ELNS1_3repE0EEENS1_52radix_sort_onesweep_histogram_config_static_selectorELNS0_4arch9wavefront6targetE1EEEvSI_
		.amdhsa_group_segment_fixed_size 0
		.amdhsa_private_segment_fixed_size 0
		.amdhsa_kernarg_size 8
		.amdhsa_user_sgpr_count 2
		.amdhsa_user_sgpr_dispatch_ptr 0
		.amdhsa_user_sgpr_queue_ptr 0
		.amdhsa_user_sgpr_kernarg_segment_ptr 1
		.amdhsa_user_sgpr_dispatch_id 0
		.amdhsa_user_sgpr_kernarg_preload_length 0
		.amdhsa_user_sgpr_kernarg_preload_offset 0
		.amdhsa_user_sgpr_private_segment_size 0
		.amdhsa_uses_dynamic_stack 0
		.amdhsa_enable_private_segment 0
		.amdhsa_system_sgpr_workgroup_id_x 1
		.amdhsa_system_sgpr_workgroup_id_y 0
		.amdhsa_system_sgpr_workgroup_id_z 0
		.amdhsa_system_sgpr_workgroup_info 0
		.amdhsa_system_vgpr_workitem_id 0
		.amdhsa_next_free_vgpr 1
		.amdhsa_next_free_sgpr 0
		.amdhsa_accum_offset 4
		.amdhsa_reserve_vcc 0
		.amdhsa_float_round_mode_32 0
		.amdhsa_float_round_mode_16_64 0
		.amdhsa_float_denorm_mode_32 3
		.amdhsa_float_denorm_mode_16_64 3
		.amdhsa_dx10_clamp 1
		.amdhsa_ieee_mode 1
		.amdhsa_fp16_overflow 0
		.amdhsa_tg_split 0
		.amdhsa_exception_fp_ieee_invalid_op 0
		.amdhsa_exception_fp_denorm_src 0
		.amdhsa_exception_fp_ieee_div_zero 0
		.amdhsa_exception_fp_ieee_overflow 0
		.amdhsa_exception_fp_ieee_underflow 0
		.amdhsa_exception_fp_ieee_inexact 0
		.amdhsa_exception_int_div_zero 0
	.end_amdhsa_kernel
	.section	.text._ZN7rocprim17ROCPRIM_400000_NS6detail17trampoline_kernelINS0_14default_configENS1_35radix_sort_onesweep_config_selectorIsNS0_10empty_typeEEEZNS1_34radix_sort_onesweep_global_offsetsIS3_Lb0EN6thrust23THRUST_200600_302600_NS6detail15normal_iteratorINS9_10device_ptrIsEEEEPS5_jNS0_19identity_decomposerEEE10hipError_tT1_T2_PT3_SK_jT4_jjP12ihipStream_tbEUlT_E0_NS1_11comp_targetILNS1_3genE3ELNS1_11target_archE908ELNS1_3gpuE7ELNS1_3repE0EEENS1_52radix_sort_onesweep_histogram_config_static_selectorELNS0_4arch9wavefront6targetE1EEEvSI_,"axG",@progbits,_ZN7rocprim17ROCPRIM_400000_NS6detail17trampoline_kernelINS0_14default_configENS1_35radix_sort_onesweep_config_selectorIsNS0_10empty_typeEEEZNS1_34radix_sort_onesweep_global_offsetsIS3_Lb0EN6thrust23THRUST_200600_302600_NS6detail15normal_iteratorINS9_10device_ptrIsEEEEPS5_jNS0_19identity_decomposerEEE10hipError_tT1_T2_PT3_SK_jT4_jjP12ihipStream_tbEUlT_E0_NS1_11comp_targetILNS1_3genE3ELNS1_11target_archE908ELNS1_3gpuE7ELNS1_3repE0EEENS1_52radix_sort_onesweep_histogram_config_static_selectorELNS0_4arch9wavefront6targetE1EEEvSI_,comdat
.Lfunc_end1937:
	.size	_ZN7rocprim17ROCPRIM_400000_NS6detail17trampoline_kernelINS0_14default_configENS1_35radix_sort_onesweep_config_selectorIsNS0_10empty_typeEEEZNS1_34radix_sort_onesweep_global_offsetsIS3_Lb0EN6thrust23THRUST_200600_302600_NS6detail15normal_iteratorINS9_10device_ptrIsEEEEPS5_jNS0_19identity_decomposerEEE10hipError_tT1_T2_PT3_SK_jT4_jjP12ihipStream_tbEUlT_E0_NS1_11comp_targetILNS1_3genE3ELNS1_11target_archE908ELNS1_3gpuE7ELNS1_3repE0EEENS1_52radix_sort_onesweep_histogram_config_static_selectorELNS0_4arch9wavefront6targetE1EEEvSI_, .Lfunc_end1937-_ZN7rocprim17ROCPRIM_400000_NS6detail17trampoline_kernelINS0_14default_configENS1_35radix_sort_onesweep_config_selectorIsNS0_10empty_typeEEEZNS1_34radix_sort_onesweep_global_offsetsIS3_Lb0EN6thrust23THRUST_200600_302600_NS6detail15normal_iteratorINS9_10device_ptrIsEEEEPS5_jNS0_19identity_decomposerEEE10hipError_tT1_T2_PT3_SK_jT4_jjP12ihipStream_tbEUlT_E0_NS1_11comp_targetILNS1_3genE3ELNS1_11target_archE908ELNS1_3gpuE7ELNS1_3repE0EEENS1_52radix_sort_onesweep_histogram_config_static_selectorELNS0_4arch9wavefront6targetE1EEEvSI_
                                        ; -- End function
	.section	.AMDGPU.csdata,"",@progbits
; Kernel info:
; codeLenInByte = 0
; NumSgprs: 6
; NumVgprs: 0
; NumAgprs: 0
; TotalNumVgprs: 0
; ScratchSize: 0
; MemoryBound: 0
; FloatMode: 240
; IeeeMode: 1
; LDSByteSize: 0 bytes/workgroup (compile time only)
; SGPRBlocks: 0
; VGPRBlocks: 0
; NumSGPRsForWavesPerEU: 6
; NumVGPRsForWavesPerEU: 1
; AccumOffset: 4
; Occupancy: 8
; WaveLimiterHint : 0
; COMPUTE_PGM_RSRC2:SCRATCH_EN: 0
; COMPUTE_PGM_RSRC2:USER_SGPR: 2
; COMPUTE_PGM_RSRC2:TRAP_HANDLER: 0
; COMPUTE_PGM_RSRC2:TGID_X_EN: 1
; COMPUTE_PGM_RSRC2:TGID_Y_EN: 0
; COMPUTE_PGM_RSRC2:TGID_Z_EN: 0
; COMPUTE_PGM_RSRC2:TIDIG_COMP_CNT: 0
; COMPUTE_PGM_RSRC3_GFX90A:ACCUM_OFFSET: 0
; COMPUTE_PGM_RSRC3_GFX90A:TG_SPLIT: 0
	.section	.text._ZN7rocprim17ROCPRIM_400000_NS6detail17trampoline_kernelINS0_14default_configENS1_35radix_sort_onesweep_config_selectorIsNS0_10empty_typeEEEZNS1_34radix_sort_onesweep_global_offsetsIS3_Lb0EN6thrust23THRUST_200600_302600_NS6detail15normal_iteratorINS9_10device_ptrIsEEEEPS5_jNS0_19identity_decomposerEEE10hipError_tT1_T2_PT3_SK_jT4_jjP12ihipStream_tbEUlT_E0_NS1_11comp_targetILNS1_3genE10ELNS1_11target_archE1201ELNS1_3gpuE5ELNS1_3repE0EEENS1_52radix_sort_onesweep_histogram_config_static_selectorELNS0_4arch9wavefront6targetE1EEEvSI_,"axG",@progbits,_ZN7rocprim17ROCPRIM_400000_NS6detail17trampoline_kernelINS0_14default_configENS1_35radix_sort_onesweep_config_selectorIsNS0_10empty_typeEEEZNS1_34radix_sort_onesweep_global_offsetsIS3_Lb0EN6thrust23THRUST_200600_302600_NS6detail15normal_iteratorINS9_10device_ptrIsEEEEPS5_jNS0_19identity_decomposerEEE10hipError_tT1_T2_PT3_SK_jT4_jjP12ihipStream_tbEUlT_E0_NS1_11comp_targetILNS1_3genE10ELNS1_11target_archE1201ELNS1_3gpuE5ELNS1_3repE0EEENS1_52radix_sort_onesweep_histogram_config_static_selectorELNS0_4arch9wavefront6targetE1EEEvSI_,comdat
	.protected	_ZN7rocprim17ROCPRIM_400000_NS6detail17trampoline_kernelINS0_14default_configENS1_35radix_sort_onesweep_config_selectorIsNS0_10empty_typeEEEZNS1_34radix_sort_onesweep_global_offsetsIS3_Lb0EN6thrust23THRUST_200600_302600_NS6detail15normal_iteratorINS9_10device_ptrIsEEEEPS5_jNS0_19identity_decomposerEEE10hipError_tT1_T2_PT3_SK_jT4_jjP12ihipStream_tbEUlT_E0_NS1_11comp_targetILNS1_3genE10ELNS1_11target_archE1201ELNS1_3gpuE5ELNS1_3repE0EEENS1_52radix_sort_onesweep_histogram_config_static_selectorELNS0_4arch9wavefront6targetE1EEEvSI_ ; -- Begin function _ZN7rocprim17ROCPRIM_400000_NS6detail17trampoline_kernelINS0_14default_configENS1_35radix_sort_onesweep_config_selectorIsNS0_10empty_typeEEEZNS1_34radix_sort_onesweep_global_offsetsIS3_Lb0EN6thrust23THRUST_200600_302600_NS6detail15normal_iteratorINS9_10device_ptrIsEEEEPS5_jNS0_19identity_decomposerEEE10hipError_tT1_T2_PT3_SK_jT4_jjP12ihipStream_tbEUlT_E0_NS1_11comp_targetILNS1_3genE10ELNS1_11target_archE1201ELNS1_3gpuE5ELNS1_3repE0EEENS1_52radix_sort_onesweep_histogram_config_static_selectorELNS0_4arch9wavefront6targetE1EEEvSI_
	.globl	_ZN7rocprim17ROCPRIM_400000_NS6detail17trampoline_kernelINS0_14default_configENS1_35radix_sort_onesweep_config_selectorIsNS0_10empty_typeEEEZNS1_34radix_sort_onesweep_global_offsetsIS3_Lb0EN6thrust23THRUST_200600_302600_NS6detail15normal_iteratorINS9_10device_ptrIsEEEEPS5_jNS0_19identity_decomposerEEE10hipError_tT1_T2_PT3_SK_jT4_jjP12ihipStream_tbEUlT_E0_NS1_11comp_targetILNS1_3genE10ELNS1_11target_archE1201ELNS1_3gpuE5ELNS1_3repE0EEENS1_52radix_sort_onesweep_histogram_config_static_selectorELNS0_4arch9wavefront6targetE1EEEvSI_
	.p2align	8
	.type	_ZN7rocprim17ROCPRIM_400000_NS6detail17trampoline_kernelINS0_14default_configENS1_35radix_sort_onesweep_config_selectorIsNS0_10empty_typeEEEZNS1_34radix_sort_onesweep_global_offsetsIS3_Lb0EN6thrust23THRUST_200600_302600_NS6detail15normal_iteratorINS9_10device_ptrIsEEEEPS5_jNS0_19identity_decomposerEEE10hipError_tT1_T2_PT3_SK_jT4_jjP12ihipStream_tbEUlT_E0_NS1_11comp_targetILNS1_3genE10ELNS1_11target_archE1201ELNS1_3gpuE5ELNS1_3repE0EEENS1_52radix_sort_onesweep_histogram_config_static_selectorELNS0_4arch9wavefront6targetE1EEEvSI_,@function
_ZN7rocprim17ROCPRIM_400000_NS6detail17trampoline_kernelINS0_14default_configENS1_35radix_sort_onesweep_config_selectorIsNS0_10empty_typeEEEZNS1_34radix_sort_onesweep_global_offsetsIS3_Lb0EN6thrust23THRUST_200600_302600_NS6detail15normal_iteratorINS9_10device_ptrIsEEEEPS5_jNS0_19identity_decomposerEEE10hipError_tT1_T2_PT3_SK_jT4_jjP12ihipStream_tbEUlT_E0_NS1_11comp_targetILNS1_3genE10ELNS1_11target_archE1201ELNS1_3gpuE5ELNS1_3repE0EEENS1_52radix_sort_onesweep_histogram_config_static_selectorELNS0_4arch9wavefront6targetE1EEEvSI_: ; @_ZN7rocprim17ROCPRIM_400000_NS6detail17trampoline_kernelINS0_14default_configENS1_35radix_sort_onesweep_config_selectorIsNS0_10empty_typeEEEZNS1_34radix_sort_onesweep_global_offsetsIS3_Lb0EN6thrust23THRUST_200600_302600_NS6detail15normal_iteratorINS9_10device_ptrIsEEEEPS5_jNS0_19identity_decomposerEEE10hipError_tT1_T2_PT3_SK_jT4_jjP12ihipStream_tbEUlT_E0_NS1_11comp_targetILNS1_3genE10ELNS1_11target_archE1201ELNS1_3gpuE5ELNS1_3repE0EEENS1_52radix_sort_onesweep_histogram_config_static_selectorELNS0_4arch9wavefront6targetE1EEEvSI_
; %bb.0:
	.section	.rodata,"a",@progbits
	.p2align	6, 0x0
	.amdhsa_kernel _ZN7rocprim17ROCPRIM_400000_NS6detail17trampoline_kernelINS0_14default_configENS1_35radix_sort_onesweep_config_selectorIsNS0_10empty_typeEEEZNS1_34radix_sort_onesweep_global_offsetsIS3_Lb0EN6thrust23THRUST_200600_302600_NS6detail15normal_iteratorINS9_10device_ptrIsEEEEPS5_jNS0_19identity_decomposerEEE10hipError_tT1_T2_PT3_SK_jT4_jjP12ihipStream_tbEUlT_E0_NS1_11comp_targetILNS1_3genE10ELNS1_11target_archE1201ELNS1_3gpuE5ELNS1_3repE0EEENS1_52radix_sort_onesweep_histogram_config_static_selectorELNS0_4arch9wavefront6targetE1EEEvSI_
		.amdhsa_group_segment_fixed_size 0
		.amdhsa_private_segment_fixed_size 0
		.amdhsa_kernarg_size 8
		.amdhsa_user_sgpr_count 2
		.amdhsa_user_sgpr_dispatch_ptr 0
		.amdhsa_user_sgpr_queue_ptr 0
		.amdhsa_user_sgpr_kernarg_segment_ptr 1
		.amdhsa_user_sgpr_dispatch_id 0
		.amdhsa_user_sgpr_kernarg_preload_length 0
		.amdhsa_user_sgpr_kernarg_preload_offset 0
		.amdhsa_user_sgpr_private_segment_size 0
		.amdhsa_uses_dynamic_stack 0
		.amdhsa_enable_private_segment 0
		.amdhsa_system_sgpr_workgroup_id_x 1
		.amdhsa_system_sgpr_workgroup_id_y 0
		.amdhsa_system_sgpr_workgroup_id_z 0
		.amdhsa_system_sgpr_workgroup_info 0
		.amdhsa_system_vgpr_workitem_id 0
		.amdhsa_next_free_vgpr 1
		.amdhsa_next_free_sgpr 0
		.amdhsa_accum_offset 4
		.amdhsa_reserve_vcc 0
		.amdhsa_float_round_mode_32 0
		.amdhsa_float_round_mode_16_64 0
		.amdhsa_float_denorm_mode_32 3
		.amdhsa_float_denorm_mode_16_64 3
		.amdhsa_dx10_clamp 1
		.amdhsa_ieee_mode 1
		.amdhsa_fp16_overflow 0
		.amdhsa_tg_split 0
		.amdhsa_exception_fp_ieee_invalid_op 0
		.amdhsa_exception_fp_denorm_src 0
		.amdhsa_exception_fp_ieee_div_zero 0
		.amdhsa_exception_fp_ieee_overflow 0
		.amdhsa_exception_fp_ieee_underflow 0
		.amdhsa_exception_fp_ieee_inexact 0
		.amdhsa_exception_int_div_zero 0
	.end_amdhsa_kernel
	.section	.text._ZN7rocprim17ROCPRIM_400000_NS6detail17trampoline_kernelINS0_14default_configENS1_35radix_sort_onesweep_config_selectorIsNS0_10empty_typeEEEZNS1_34radix_sort_onesweep_global_offsetsIS3_Lb0EN6thrust23THRUST_200600_302600_NS6detail15normal_iteratorINS9_10device_ptrIsEEEEPS5_jNS0_19identity_decomposerEEE10hipError_tT1_T2_PT3_SK_jT4_jjP12ihipStream_tbEUlT_E0_NS1_11comp_targetILNS1_3genE10ELNS1_11target_archE1201ELNS1_3gpuE5ELNS1_3repE0EEENS1_52radix_sort_onesweep_histogram_config_static_selectorELNS0_4arch9wavefront6targetE1EEEvSI_,"axG",@progbits,_ZN7rocprim17ROCPRIM_400000_NS6detail17trampoline_kernelINS0_14default_configENS1_35radix_sort_onesweep_config_selectorIsNS0_10empty_typeEEEZNS1_34radix_sort_onesweep_global_offsetsIS3_Lb0EN6thrust23THRUST_200600_302600_NS6detail15normal_iteratorINS9_10device_ptrIsEEEEPS5_jNS0_19identity_decomposerEEE10hipError_tT1_T2_PT3_SK_jT4_jjP12ihipStream_tbEUlT_E0_NS1_11comp_targetILNS1_3genE10ELNS1_11target_archE1201ELNS1_3gpuE5ELNS1_3repE0EEENS1_52radix_sort_onesweep_histogram_config_static_selectorELNS0_4arch9wavefront6targetE1EEEvSI_,comdat
.Lfunc_end1938:
	.size	_ZN7rocprim17ROCPRIM_400000_NS6detail17trampoline_kernelINS0_14default_configENS1_35radix_sort_onesweep_config_selectorIsNS0_10empty_typeEEEZNS1_34radix_sort_onesweep_global_offsetsIS3_Lb0EN6thrust23THRUST_200600_302600_NS6detail15normal_iteratorINS9_10device_ptrIsEEEEPS5_jNS0_19identity_decomposerEEE10hipError_tT1_T2_PT3_SK_jT4_jjP12ihipStream_tbEUlT_E0_NS1_11comp_targetILNS1_3genE10ELNS1_11target_archE1201ELNS1_3gpuE5ELNS1_3repE0EEENS1_52radix_sort_onesweep_histogram_config_static_selectorELNS0_4arch9wavefront6targetE1EEEvSI_, .Lfunc_end1938-_ZN7rocprim17ROCPRIM_400000_NS6detail17trampoline_kernelINS0_14default_configENS1_35radix_sort_onesweep_config_selectorIsNS0_10empty_typeEEEZNS1_34radix_sort_onesweep_global_offsetsIS3_Lb0EN6thrust23THRUST_200600_302600_NS6detail15normal_iteratorINS9_10device_ptrIsEEEEPS5_jNS0_19identity_decomposerEEE10hipError_tT1_T2_PT3_SK_jT4_jjP12ihipStream_tbEUlT_E0_NS1_11comp_targetILNS1_3genE10ELNS1_11target_archE1201ELNS1_3gpuE5ELNS1_3repE0EEENS1_52radix_sort_onesweep_histogram_config_static_selectorELNS0_4arch9wavefront6targetE1EEEvSI_
                                        ; -- End function
	.section	.AMDGPU.csdata,"",@progbits
; Kernel info:
; codeLenInByte = 0
; NumSgprs: 6
; NumVgprs: 0
; NumAgprs: 0
; TotalNumVgprs: 0
; ScratchSize: 0
; MemoryBound: 0
; FloatMode: 240
; IeeeMode: 1
; LDSByteSize: 0 bytes/workgroup (compile time only)
; SGPRBlocks: 0
; VGPRBlocks: 0
; NumSGPRsForWavesPerEU: 6
; NumVGPRsForWavesPerEU: 1
; AccumOffset: 4
; Occupancy: 8
; WaveLimiterHint : 0
; COMPUTE_PGM_RSRC2:SCRATCH_EN: 0
; COMPUTE_PGM_RSRC2:USER_SGPR: 2
; COMPUTE_PGM_RSRC2:TRAP_HANDLER: 0
; COMPUTE_PGM_RSRC2:TGID_X_EN: 1
; COMPUTE_PGM_RSRC2:TGID_Y_EN: 0
; COMPUTE_PGM_RSRC2:TGID_Z_EN: 0
; COMPUTE_PGM_RSRC2:TIDIG_COMP_CNT: 0
; COMPUTE_PGM_RSRC3_GFX90A:ACCUM_OFFSET: 0
; COMPUTE_PGM_RSRC3_GFX90A:TG_SPLIT: 0
	.section	.text._ZN7rocprim17ROCPRIM_400000_NS6detail17trampoline_kernelINS0_14default_configENS1_35radix_sort_onesweep_config_selectorIsNS0_10empty_typeEEEZNS1_34radix_sort_onesweep_global_offsetsIS3_Lb0EN6thrust23THRUST_200600_302600_NS6detail15normal_iteratorINS9_10device_ptrIsEEEEPS5_jNS0_19identity_decomposerEEE10hipError_tT1_T2_PT3_SK_jT4_jjP12ihipStream_tbEUlT_E0_NS1_11comp_targetILNS1_3genE9ELNS1_11target_archE1100ELNS1_3gpuE3ELNS1_3repE0EEENS1_52radix_sort_onesweep_histogram_config_static_selectorELNS0_4arch9wavefront6targetE1EEEvSI_,"axG",@progbits,_ZN7rocprim17ROCPRIM_400000_NS6detail17trampoline_kernelINS0_14default_configENS1_35radix_sort_onesweep_config_selectorIsNS0_10empty_typeEEEZNS1_34radix_sort_onesweep_global_offsetsIS3_Lb0EN6thrust23THRUST_200600_302600_NS6detail15normal_iteratorINS9_10device_ptrIsEEEEPS5_jNS0_19identity_decomposerEEE10hipError_tT1_T2_PT3_SK_jT4_jjP12ihipStream_tbEUlT_E0_NS1_11comp_targetILNS1_3genE9ELNS1_11target_archE1100ELNS1_3gpuE3ELNS1_3repE0EEENS1_52radix_sort_onesweep_histogram_config_static_selectorELNS0_4arch9wavefront6targetE1EEEvSI_,comdat
	.protected	_ZN7rocprim17ROCPRIM_400000_NS6detail17trampoline_kernelINS0_14default_configENS1_35radix_sort_onesweep_config_selectorIsNS0_10empty_typeEEEZNS1_34radix_sort_onesweep_global_offsetsIS3_Lb0EN6thrust23THRUST_200600_302600_NS6detail15normal_iteratorINS9_10device_ptrIsEEEEPS5_jNS0_19identity_decomposerEEE10hipError_tT1_T2_PT3_SK_jT4_jjP12ihipStream_tbEUlT_E0_NS1_11comp_targetILNS1_3genE9ELNS1_11target_archE1100ELNS1_3gpuE3ELNS1_3repE0EEENS1_52radix_sort_onesweep_histogram_config_static_selectorELNS0_4arch9wavefront6targetE1EEEvSI_ ; -- Begin function _ZN7rocprim17ROCPRIM_400000_NS6detail17trampoline_kernelINS0_14default_configENS1_35radix_sort_onesweep_config_selectorIsNS0_10empty_typeEEEZNS1_34radix_sort_onesweep_global_offsetsIS3_Lb0EN6thrust23THRUST_200600_302600_NS6detail15normal_iteratorINS9_10device_ptrIsEEEEPS5_jNS0_19identity_decomposerEEE10hipError_tT1_T2_PT3_SK_jT4_jjP12ihipStream_tbEUlT_E0_NS1_11comp_targetILNS1_3genE9ELNS1_11target_archE1100ELNS1_3gpuE3ELNS1_3repE0EEENS1_52radix_sort_onesweep_histogram_config_static_selectorELNS0_4arch9wavefront6targetE1EEEvSI_
	.globl	_ZN7rocprim17ROCPRIM_400000_NS6detail17trampoline_kernelINS0_14default_configENS1_35radix_sort_onesweep_config_selectorIsNS0_10empty_typeEEEZNS1_34radix_sort_onesweep_global_offsetsIS3_Lb0EN6thrust23THRUST_200600_302600_NS6detail15normal_iteratorINS9_10device_ptrIsEEEEPS5_jNS0_19identity_decomposerEEE10hipError_tT1_T2_PT3_SK_jT4_jjP12ihipStream_tbEUlT_E0_NS1_11comp_targetILNS1_3genE9ELNS1_11target_archE1100ELNS1_3gpuE3ELNS1_3repE0EEENS1_52radix_sort_onesweep_histogram_config_static_selectorELNS0_4arch9wavefront6targetE1EEEvSI_
	.p2align	8
	.type	_ZN7rocprim17ROCPRIM_400000_NS6detail17trampoline_kernelINS0_14default_configENS1_35radix_sort_onesweep_config_selectorIsNS0_10empty_typeEEEZNS1_34radix_sort_onesweep_global_offsetsIS3_Lb0EN6thrust23THRUST_200600_302600_NS6detail15normal_iteratorINS9_10device_ptrIsEEEEPS5_jNS0_19identity_decomposerEEE10hipError_tT1_T2_PT3_SK_jT4_jjP12ihipStream_tbEUlT_E0_NS1_11comp_targetILNS1_3genE9ELNS1_11target_archE1100ELNS1_3gpuE3ELNS1_3repE0EEENS1_52radix_sort_onesweep_histogram_config_static_selectorELNS0_4arch9wavefront6targetE1EEEvSI_,@function
_ZN7rocprim17ROCPRIM_400000_NS6detail17trampoline_kernelINS0_14default_configENS1_35radix_sort_onesweep_config_selectorIsNS0_10empty_typeEEEZNS1_34radix_sort_onesweep_global_offsetsIS3_Lb0EN6thrust23THRUST_200600_302600_NS6detail15normal_iteratorINS9_10device_ptrIsEEEEPS5_jNS0_19identity_decomposerEEE10hipError_tT1_T2_PT3_SK_jT4_jjP12ihipStream_tbEUlT_E0_NS1_11comp_targetILNS1_3genE9ELNS1_11target_archE1100ELNS1_3gpuE3ELNS1_3repE0EEENS1_52radix_sort_onesweep_histogram_config_static_selectorELNS0_4arch9wavefront6targetE1EEEvSI_: ; @_ZN7rocprim17ROCPRIM_400000_NS6detail17trampoline_kernelINS0_14default_configENS1_35radix_sort_onesweep_config_selectorIsNS0_10empty_typeEEEZNS1_34radix_sort_onesweep_global_offsetsIS3_Lb0EN6thrust23THRUST_200600_302600_NS6detail15normal_iteratorINS9_10device_ptrIsEEEEPS5_jNS0_19identity_decomposerEEE10hipError_tT1_T2_PT3_SK_jT4_jjP12ihipStream_tbEUlT_E0_NS1_11comp_targetILNS1_3genE9ELNS1_11target_archE1100ELNS1_3gpuE3ELNS1_3repE0EEENS1_52radix_sort_onesweep_histogram_config_static_selectorELNS0_4arch9wavefront6targetE1EEEvSI_
; %bb.0:
	.section	.rodata,"a",@progbits
	.p2align	6, 0x0
	.amdhsa_kernel _ZN7rocprim17ROCPRIM_400000_NS6detail17trampoline_kernelINS0_14default_configENS1_35radix_sort_onesweep_config_selectorIsNS0_10empty_typeEEEZNS1_34radix_sort_onesweep_global_offsetsIS3_Lb0EN6thrust23THRUST_200600_302600_NS6detail15normal_iteratorINS9_10device_ptrIsEEEEPS5_jNS0_19identity_decomposerEEE10hipError_tT1_T2_PT3_SK_jT4_jjP12ihipStream_tbEUlT_E0_NS1_11comp_targetILNS1_3genE9ELNS1_11target_archE1100ELNS1_3gpuE3ELNS1_3repE0EEENS1_52radix_sort_onesweep_histogram_config_static_selectorELNS0_4arch9wavefront6targetE1EEEvSI_
		.amdhsa_group_segment_fixed_size 0
		.amdhsa_private_segment_fixed_size 0
		.amdhsa_kernarg_size 8
		.amdhsa_user_sgpr_count 2
		.amdhsa_user_sgpr_dispatch_ptr 0
		.amdhsa_user_sgpr_queue_ptr 0
		.amdhsa_user_sgpr_kernarg_segment_ptr 1
		.amdhsa_user_sgpr_dispatch_id 0
		.amdhsa_user_sgpr_kernarg_preload_length 0
		.amdhsa_user_sgpr_kernarg_preload_offset 0
		.amdhsa_user_sgpr_private_segment_size 0
		.amdhsa_uses_dynamic_stack 0
		.amdhsa_enable_private_segment 0
		.amdhsa_system_sgpr_workgroup_id_x 1
		.amdhsa_system_sgpr_workgroup_id_y 0
		.amdhsa_system_sgpr_workgroup_id_z 0
		.amdhsa_system_sgpr_workgroup_info 0
		.amdhsa_system_vgpr_workitem_id 0
		.amdhsa_next_free_vgpr 1
		.amdhsa_next_free_sgpr 0
		.amdhsa_accum_offset 4
		.amdhsa_reserve_vcc 0
		.amdhsa_float_round_mode_32 0
		.amdhsa_float_round_mode_16_64 0
		.amdhsa_float_denorm_mode_32 3
		.amdhsa_float_denorm_mode_16_64 3
		.amdhsa_dx10_clamp 1
		.amdhsa_ieee_mode 1
		.amdhsa_fp16_overflow 0
		.amdhsa_tg_split 0
		.amdhsa_exception_fp_ieee_invalid_op 0
		.amdhsa_exception_fp_denorm_src 0
		.amdhsa_exception_fp_ieee_div_zero 0
		.amdhsa_exception_fp_ieee_overflow 0
		.amdhsa_exception_fp_ieee_underflow 0
		.amdhsa_exception_fp_ieee_inexact 0
		.amdhsa_exception_int_div_zero 0
	.end_amdhsa_kernel
	.section	.text._ZN7rocprim17ROCPRIM_400000_NS6detail17trampoline_kernelINS0_14default_configENS1_35radix_sort_onesweep_config_selectorIsNS0_10empty_typeEEEZNS1_34radix_sort_onesweep_global_offsetsIS3_Lb0EN6thrust23THRUST_200600_302600_NS6detail15normal_iteratorINS9_10device_ptrIsEEEEPS5_jNS0_19identity_decomposerEEE10hipError_tT1_T2_PT3_SK_jT4_jjP12ihipStream_tbEUlT_E0_NS1_11comp_targetILNS1_3genE9ELNS1_11target_archE1100ELNS1_3gpuE3ELNS1_3repE0EEENS1_52radix_sort_onesweep_histogram_config_static_selectorELNS0_4arch9wavefront6targetE1EEEvSI_,"axG",@progbits,_ZN7rocprim17ROCPRIM_400000_NS6detail17trampoline_kernelINS0_14default_configENS1_35radix_sort_onesweep_config_selectorIsNS0_10empty_typeEEEZNS1_34radix_sort_onesweep_global_offsetsIS3_Lb0EN6thrust23THRUST_200600_302600_NS6detail15normal_iteratorINS9_10device_ptrIsEEEEPS5_jNS0_19identity_decomposerEEE10hipError_tT1_T2_PT3_SK_jT4_jjP12ihipStream_tbEUlT_E0_NS1_11comp_targetILNS1_3genE9ELNS1_11target_archE1100ELNS1_3gpuE3ELNS1_3repE0EEENS1_52radix_sort_onesweep_histogram_config_static_selectorELNS0_4arch9wavefront6targetE1EEEvSI_,comdat
.Lfunc_end1939:
	.size	_ZN7rocprim17ROCPRIM_400000_NS6detail17trampoline_kernelINS0_14default_configENS1_35radix_sort_onesweep_config_selectorIsNS0_10empty_typeEEEZNS1_34radix_sort_onesweep_global_offsetsIS3_Lb0EN6thrust23THRUST_200600_302600_NS6detail15normal_iteratorINS9_10device_ptrIsEEEEPS5_jNS0_19identity_decomposerEEE10hipError_tT1_T2_PT3_SK_jT4_jjP12ihipStream_tbEUlT_E0_NS1_11comp_targetILNS1_3genE9ELNS1_11target_archE1100ELNS1_3gpuE3ELNS1_3repE0EEENS1_52radix_sort_onesweep_histogram_config_static_selectorELNS0_4arch9wavefront6targetE1EEEvSI_, .Lfunc_end1939-_ZN7rocprim17ROCPRIM_400000_NS6detail17trampoline_kernelINS0_14default_configENS1_35radix_sort_onesweep_config_selectorIsNS0_10empty_typeEEEZNS1_34radix_sort_onesweep_global_offsetsIS3_Lb0EN6thrust23THRUST_200600_302600_NS6detail15normal_iteratorINS9_10device_ptrIsEEEEPS5_jNS0_19identity_decomposerEEE10hipError_tT1_T2_PT3_SK_jT4_jjP12ihipStream_tbEUlT_E0_NS1_11comp_targetILNS1_3genE9ELNS1_11target_archE1100ELNS1_3gpuE3ELNS1_3repE0EEENS1_52radix_sort_onesweep_histogram_config_static_selectorELNS0_4arch9wavefront6targetE1EEEvSI_
                                        ; -- End function
	.section	.AMDGPU.csdata,"",@progbits
; Kernel info:
; codeLenInByte = 0
; NumSgprs: 6
; NumVgprs: 0
; NumAgprs: 0
; TotalNumVgprs: 0
; ScratchSize: 0
; MemoryBound: 0
; FloatMode: 240
; IeeeMode: 1
; LDSByteSize: 0 bytes/workgroup (compile time only)
; SGPRBlocks: 0
; VGPRBlocks: 0
; NumSGPRsForWavesPerEU: 6
; NumVGPRsForWavesPerEU: 1
; AccumOffset: 4
; Occupancy: 8
; WaveLimiterHint : 0
; COMPUTE_PGM_RSRC2:SCRATCH_EN: 0
; COMPUTE_PGM_RSRC2:USER_SGPR: 2
; COMPUTE_PGM_RSRC2:TRAP_HANDLER: 0
; COMPUTE_PGM_RSRC2:TGID_X_EN: 1
; COMPUTE_PGM_RSRC2:TGID_Y_EN: 0
; COMPUTE_PGM_RSRC2:TGID_Z_EN: 0
; COMPUTE_PGM_RSRC2:TIDIG_COMP_CNT: 0
; COMPUTE_PGM_RSRC3_GFX90A:ACCUM_OFFSET: 0
; COMPUTE_PGM_RSRC3_GFX90A:TG_SPLIT: 0
	.section	.text._ZN7rocprim17ROCPRIM_400000_NS6detail17trampoline_kernelINS0_14default_configENS1_35radix_sort_onesweep_config_selectorIsNS0_10empty_typeEEEZNS1_34radix_sort_onesweep_global_offsetsIS3_Lb0EN6thrust23THRUST_200600_302600_NS6detail15normal_iteratorINS9_10device_ptrIsEEEEPS5_jNS0_19identity_decomposerEEE10hipError_tT1_T2_PT3_SK_jT4_jjP12ihipStream_tbEUlT_E0_NS1_11comp_targetILNS1_3genE8ELNS1_11target_archE1030ELNS1_3gpuE2ELNS1_3repE0EEENS1_52radix_sort_onesweep_histogram_config_static_selectorELNS0_4arch9wavefront6targetE1EEEvSI_,"axG",@progbits,_ZN7rocprim17ROCPRIM_400000_NS6detail17trampoline_kernelINS0_14default_configENS1_35radix_sort_onesweep_config_selectorIsNS0_10empty_typeEEEZNS1_34radix_sort_onesweep_global_offsetsIS3_Lb0EN6thrust23THRUST_200600_302600_NS6detail15normal_iteratorINS9_10device_ptrIsEEEEPS5_jNS0_19identity_decomposerEEE10hipError_tT1_T2_PT3_SK_jT4_jjP12ihipStream_tbEUlT_E0_NS1_11comp_targetILNS1_3genE8ELNS1_11target_archE1030ELNS1_3gpuE2ELNS1_3repE0EEENS1_52radix_sort_onesweep_histogram_config_static_selectorELNS0_4arch9wavefront6targetE1EEEvSI_,comdat
	.protected	_ZN7rocprim17ROCPRIM_400000_NS6detail17trampoline_kernelINS0_14default_configENS1_35radix_sort_onesweep_config_selectorIsNS0_10empty_typeEEEZNS1_34radix_sort_onesweep_global_offsetsIS3_Lb0EN6thrust23THRUST_200600_302600_NS6detail15normal_iteratorINS9_10device_ptrIsEEEEPS5_jNS0_19identity_decomposerEEE10hipError_tT1_T2_PT3_SK_jT4_jjP12ihipStream_tbEUlT_E0_NS1_11comp_targetILNS1_3genE8ELNS1_11target_archE1030ELNS1_3gpuE2ELNS1_3repE0EEENS1_52radix_sort_onesweep_histogram_config_static_selectorELNS0_4arch9wavefront6targetE1EEEvSI_ ; -- Begin function _ZN7rocprim17ROCPRIM_400000_NS6detail17trampoline_kernelINS0_14default_configENS1_35radix_sort_onesweep_config_selectorIsNS0_10empty_typeEEEZNS1_34radix_sort_onesweep_global_offsetsIS3_Lb0EN6thrust23THRUST_200600_302600_NS6detail15normal_iteratorINS9_10device_ptrIsEEEEPS5_jNS0_19identity_decomposerEEE10hipError_tT1_T2_PT3_SK_jT4_jjP12ihipStream_tbEUlT_E0_NS1_11comp_targetILNS1_3genE8ELNS1_11target_archE1030ELNS1_3gpuE2ELNS1_3repE0EEENS1_52radix_sort_onesweep_histogram_config_static_selectorELNS0_4arch9wavefront6targetE1EEEvSI_
	.globl	_ZN7rocprim17ROCPRIM_400000_NS6detail17trampoline_kernelINS0_14default_configENS1_35radix_sort_onesweep_config_selectorIsNS0_10empty_typeEEEZNS1_34radix_sort_onesweep_global_offsetsIS3_Lb0EN6thrust23THRUST_200600_302600_NS6detail15normal_iteratorINS9_10device_ptrIsEEEEPS5_jNS0_19identity_decomposerEEE10hipError_tT1_T2_PT3_SK_jT4_jjP12ihipStream_tbEUlT_E0_NS1_11comp_targetILNS1_3genE8ELNS1_11target_archE1030ELNS1_3gpuE2ELNS1_3repE0EEENS1_52radix_sort_onesweep_histogram_config_static_selectorELNS0_4arch9wavefront6targetE1EEEvSI_
	.p2align	8
	.type	_ZN7rocprim17ROCPRIM_400000_NS6detail17trampoline_kernelINS0_14default_configENS1_35radix_sort_onesweep_config_selectorIsNS0_10empty_typeEEEZNS1_34radix_sort_onesweep_global_offsetsIS3_Lb0EN6thrust23THRUST_200600_302600_NS6detail15normal_iteratorINS9_10device_ptrIsEEEEPS5_jNS0_19identity_decomposerEEE10hipError_tT1_T2_PT3_SK_jT4_jjP12ihipStream_tbEUlT_E0_NS1_11comp_targetILNS1_3genE8ELNS1_11target_archE1030ELNS1_3gpuE2ELNS1_3repE0EEENS1_52radix_sort_onesweep_histogram_config_static_selectorELNS0_4arch9wavefront6targetE1EEEvSI_,@function
_ZN7rocprim17ROCPRIM_400000_NS6detail17trampoline_kernelINS0_14default_configENS1_35radix_sort_onesweep_config_selectorIsNS0_10empty_typeEEEZNS1_34radix_sort_onesweep_global_offsetsIS3_Lb0EN6thrust23THRUST_200600_302600_NS6detail15normal_iteratorINS9_10device_ptrIsEEEEPS5_jNS0_19identity_decomposerEEE10hipError_tT1_T2_PT3_SK_jT4_jjP12ihipStream_tbEUlT_E0_NS1_11comp_targetILNS1_3genE8ELNS1_11target_archE1030ELNS1_3gpuE2ELNS1_3repE0EEENS1_52radix_sort_onesweep_histogram_config_static_selectorELNS0_4arch9wavefront6targetE1EEEvSI_: ; @_ZN7rocprim17ROCPRIM_400000_NS6detail17trampoline_kernelINS0_14default_configENS1_35radix_sort_onesweep_config_selectorIsNS0_10empty_typeEEEZNS1_34radix_sort_onesweep_global_offsetsIS3_Lb0EN6thrust23THRUST_200600_302600_NS6detail15normal_iteratorINS9_10device_ptrIsEEEEPS5_jNS0_19identity_decomposerEEE10hipError_tT1_T2_PT3_SK_jT4_jjP12ihipStream_tbEUlT_E0_NS1_11comp_targetILNS1_3genE8ELNS1_11target_archE1030ELNS1_3gpuE2ELNS1_3repE0EEENS1_52radix_sort_onesweep_histogram_config_static_selectorELNS0_4arch9wavefront6targetE1EEEvSI_
; %bb.0:
	.section	.rodata,"a",@progbits
	.p2align	6, 0x0
	.amdhsa_kernel _ZN7rocprim17ROCPRIM_400000_NS6detail17trampoline_kernelINS0_14default_configENS1_35radix_sort_onesweep_config_selectorIsNS0_10empty_typeEEEZNS1_34radix_sort_onesweep_global_offsetsIS3_Lb0EN6thrust23THRUST_200600_302600_NS6detail15normal_iteratorINS9_10device_ptrIsEEEEPS5_jNS0_19identity_decomposerEEE10hipError_tT1_T2_PT3_SK_jT4_jjP12ihipStream_tbEUlT_E0_NS1_11comp_targetILNS1_3genE8ELNS1_11target_archE1030ELNS1_3gpuE2ELNS1_3repE0EEENS1_52radix_sort_onesweep_histogram_config_static_selectorELNS0_4arch9wavefront6targetE1EEEvSI_
		.amdhsa_group_segment_fixed_size 0
		.amdhsa_private_segment_fixed_size 0
		.amdhsa_kernarg_size 8
		.amdhsa_user_sgpr_count 2
		.amdhsa_user_sgpr_dispatch_ptr 0
		.amdhsa_user_sgpr_queue_ptr 0
		.amdhsa_user_sgpr_kernarg_segment_ptr 1
		.amdhsa_user_sgpr_dispatch_id 0
		.amdhsa_user_sgpr_kernarg_preload_length 0
		.amdhsa_user_sgpr_kernarg_preload_offset 0
		.amdhsa_user_sgpr_private_segment_size 0
		.amdhsa_uses_dynamic_stack 0
		.amdhsa_enable_private_segment 0
		.amdhsa_system_sgpr_workgroup_id_x 1
		.amdhsa_system_sgpr_workgroup_id_y 0
		.amdhsa_system_sgpr_workgroup_id_z 0
		.amdhsa_system_sgpr_workgroup_info 0
		.amdhsa_system_vgpr_workitem_id 0
		.amdhsa_next_free_vgpr 1
		.amdhsa_next_free_sgpr 0
		.amdhsa_accum_offset 4
		.amdhsa_reserve_vcc 0
		.amdhsa_float_round_mode_32 0
		.amdhsa_float_round_mode_16_64 0
		.amdhsa_float_denorm_mode_32 3
		.amdhsa_float_denorm_mode_16_64 3
		.amdhsa_dx10_clamp 1
		.amdhsa_ieee_mode 1
		.amdhsa_fp16_overflow 0
		.amdhsa_tg_split 0
		.amdhsa_exception_fp_ieee_invalid_op 0
		.amdhsa_exception_fp_denorm_src 0
		.amdhsa_exception_fp_ieee_div_zero 0
		.amdhsa_exception_fp_ieee_overflow 0
		.amdhsa_exception_fp_ieee_underflow 0
		.amdhsa_exception_fp_ieee_inexact 0
		.amdhsa_exception_int_div_zero 0
	.end_amdhsa_kernel
	.section	.text._ZN7rocprim17ROCPRIM_400000_NS6detail17trampoline_kernelINS0_14default_configENS1_35radix_sort_onesweep_config_selectorIsNS0_10empty_typeEEEZNS1_34radix_sort_onesweep_global_offsetsIS3_Lb0EN6thrust23THRUST_200600_302600_NS6detail15normal_iteratorINS9_10device_ptrIsEEEEPS5_jNS0_19identity_decomposerEEE10hipError_tT1_T2_PT3_SK_jT4_jjP12ihipStream_tbEUlT_E0_NS1_11comp_targetILNS1_3genE8ELNS1_11target_archE1030ELNS1_3gpuE2ELNS1_3repE0EEENS1_52radix_sort_onesweep_histogram_config_static_selectorELNS0_4arch9wavefront6targetE1EEEvSI_,"axG",@progbits,_ZN7rocprim17ROCPRIM_400000_NS6detail17trampoline_kernelINS0_14default_configENS1_35radix_sort_onesweep_config_selectorIsNS0_10empty_typeEEEZNS1_34radix_sort_onesweep_global_offsetsIS3_Lb0EN6thrust23THRUST_200600_302600_NS6detail15normal_iteratorINS9_10device_ptrIsEEEEPS5_jNS0_19identity_decomposerEEE10hipError_tT1_T2_PT3_SK_jT4_jjP12ihipStream_tbEUlT_E0_NS1_11comp_targetILNS1_3genE8ELNS1_11target_archE1030ELNS1_3gpuE2ELNS1_3repE0EEENS1_52radix_sort_onesweep_histogram_config_static_selectorELNS0_4arch9wavefront6targetE1EEEvSI_,comdat
.Lfunc_end1940:
	.size	_ZN7rocprim17ROCPRIM_400000_NS6detail17trampoline_kernelINS0_14default_configENS1_35radix_sort_onesweep_config_selectorIsNS0_10empty_typeEEEZNS1_34radix_sort_onesweep_global_offsetsIS3_Lb0EN6thrust23THRUST_200600_302600_NS6detail15normal_iteratorINS9_10device_ptrIsEEEEPS5_jNS0_19identity_decomposerEEE10hipError_tT1_T2_PT3_SK_jT4_jjP12ihipStream_tbEUlT_E0_NS1_11comp_targetILNS1_3genE8ELNS1_11target_archE1030ELNS1_3gpuE2ELNS1_3repE0EEENS1_52radix_sort_onesweep_histogram_config_static_selectorELNS0_4arch9wavefront6targetE1EEEvSI_, .Lfunc_end1940-_ZN7rocprim17ROCPRIM_400000_NS6detail17trampoline_kernelINS0_14default_configENS1_35radix_sort_onesweep_config_selectorIsNS0_10empty_typeEEEZNS1_34radix_sort_onesweep_global_offsetsIS3_Lb0EN6thrust23THRUST_200600_302600_NS6detail15normal_iteratorINS9_10device_ptrIsEEEEPS5_jNS0_19identity_decomposerEEE10hipError_tT1_T2_PT3_SK_jT4_jjP12ihipStream_tbEUlT_E0_NS1_11comp_targetILNS1_3genE8ELNS1_11target_archE1030ELNS1_3gpuE2ELNS1_3repE0EEENS1_52radix_sort_onesweep_histogram_config_static_selectorELNS0_4arch9wavefront6targetE1EEEvSI_
                                        ; -- End function
	.section	.AMDGPU.csdata,"",@progbits
; Kernel info:
; codeLenInByte = 0
; NumSgprs: 6
; NumVgprs: 0
; NumAgprs: 0
; TotalNumVgprs: 0
; ScratchSize: 0
; MemoryBound: 0
; FloatMode: 240
; IeeeMode: 1
; LDSByteSize: 0 bytes/workgroup (compile time only)
; SGPRBlocks: 0
; VGPRBlocks: 0
; NumSGPRsForWavesPerEU: 6
; NumVGPRsForWavesPerEU: 1
; AccumOffset: 4
; Occupancy: 8
; WaveLimiterHint : 0
; COMPUTE_PGM_RSRC2:SCRATCH_EN: 0
; COMPUTE_PGM_RSRC2:USER_SGPR: 2
; COMPUTE_PGM_RSRC2:TRAP_HANDLER: 0
; COMPUTE_PGM_RSRC2:TGID_X_EN: 1
; COMPUTE_PGM_RSRC2:TGID_Y_EN: 0
; COMPUTE_PGM_RSRC2:TGID_Z_EN: 0
; COMPUTE_PGM_RSRC2:TIDIG_COMP_CNT: 0
; COMPUTE_PGM_RSRC3_GFX90A:ACCUM_OFFSET: 0
; COMPUTE_PGM_RSRC3_GFX90A:TG_SPLIT: 0
	.section	.text._ZN7rocprim17ROCPRIM_400000_NS6detail17trampoline_kernelINS0_14default_configENS1_25transform_config_selectorIsLb0EEEZNS1_14transform_implILb0ES3_S5_N6thrust23THRUST_200600_302600_NS6detail15normal_iteratorINS8_10device_ptrIsEEEEPsNS0_8identityIsEEEE10hipError_tT2_T3_mT4_P12ihipStream_tbEUlT_E_NS1_11comp_targetILNS1_3genE0ELNS1_11target_archE4294967295ELNS1_3gpuE0ELNS1_3repE0EEENS1_30default_config_static_selectorELNS0_4arch9wavefront6targetE1EEEvT1_,"axG",@progbits,_ZN7rocprim17ROCPRIM_400000_NS6detail17trampoline_kernelINS0_14default_configENS1_25transform_config_selectorIsLb0EEEZNS1_14transform_implILb0ES3_S5_N6thrust23THRUST_200600_302600_NS6detail15normal_iteratorINS8_10device_ptrIsEEEEPsNS0_8identityIsEEEE10hipError_tT2_T3_mT4_P12ihipStream_tbEUlT_E_NS1_11comp_targetILNS1_3genE0ELNS1_11target_archE4294967295ELNS1_3gpuE0ELNS1_3repE0EEENS1_30default_config_static_selectorELNS0_4arch9wavefront6targetE1EEEvT1_,comdat
	.protected	_ZN7rocprim17ROCPRIM_400000_NS6detail17trampoline_kernelINS0_14default_configENS1_25transform_config_selectorIsLb0EEEZNS1_14transform_implILb0ES3_S5_N6thrust23THRUST_200600_302600_NS6detail15normal_iteratorINS8_10device_ptrIsEEEEPsNS0_8identityIsEEEE10hipError_tT2_T3_mT4_P12ihipStream_tbEUlT_E_NS1_11comp_targetILNS1_3genE0ELNS1_11target_archE4294967295ELNS1_3gpuE0ELNS1_3repE0EEENS1_30default_config_static_selectorELNS0_4arch9wavefront6targetE1EEEvT1_ ; -- Begin function _ZN7rocprim17ROCPRIM_400000_NS6detail17trampoline_kernelINS0_14default_configENS1_25transform_config_selectorIsLb0EEEZNS1_14transform_implILb0ES3_S5_N6thrust23THRUST_200600_302600_NS6detail15normal_iteratorINS8_10device_ptrIsEEEEPsNS0_8identityIsEEEE10hipError_tT2_T3_mT4_P12ihipStream_tbEUlT_E_NS1_11comp_targetILNS1_3genE0ELNS1_11target_archE4294967295ELNS1_3gpuE0ELNS1_3repE0EEENS1_30default_config_static_selectorELNS0_4arch9wavefront6targetE1EEEvT1_
	.globl	_ZN7rocprim17ROCPRIM_400000_NS6detail17trampoline_kernelINS0_14default_configENS1_25transform_config_selectorIsLb0EEEZNS1_14transform_implILb0ES3_S5_N6thrust23THRUST_200600_302600_NS6detail15normal_iteratorINS8_10device_ptrIsEEEEPsNS0_8identityIsEEEE10hipError_tT2_T3_mT4_P12ihipStream_tbEUlT_E_NS1_11comp_targetILNS1_3genE0ELNS1_11target_archE4294967295ELNS1_3gpuE0ELNS1_3repE0EEENS1_30default_config_static_selectorELNS0_4arch9wavefront6targetE1EEEvT1_
	.p2align	8
	.type	_ZN7rocprim17ROCPRIM_400000_NS6detail17trampoline_kernelINS0_14default_configENS1_25transform_config_selectorIsLb0EEEZNS1_14transform_implILb0ES3_S5_N6thrust23THRUST_200600_302600_NS6detail15normal_iteratorINS8_10device_ptrIsEEEEPsNS0_8identityIsEEEE10hipError_tT2_T3_mT4_P12ihipStream_tbEUlT_E_NS1_11comp_targetILNS1_3genE0ELNS1_11target_archE4294967295ELNS1_3gpuE0ELNS1_3repE0EEENS1_30default_config_static_selectorELNS0_4arch9wavefront6targetE1EEEvT1_,@function
_ZN7rocprim17ROCPRIM_400000_NS6detail17trampoline_kernelINS0_14default_configENS1_25transform_config_selectorIsLb0EEEZNS1_14transform_implILb0ES3_S5_N6thrust23THRUST_200600_302600_NS6detail15normal_iteratorINS8_10device_ptrIsEEEEPsNS0_8identityIsEEEE10hipError_tT2_T3_mT4_P12ihipStream_tbEUlT_E_NS1_11comp_targetILNS1_3genE0ELNS1_11target_archE4294967295ELNS1_3gpuE0ELNS1_3repE0EEENS1_30default_config_static_selectorELNS0_4arch9wavefront6targetE1EEEvT1_: ; @_ZN7rocprim17ROCPRIM_400000_NS6detail17trampoline_kernelINS0_14default_configENS1_25transform_config_selectorIsLb0EEEZNS1_14transform_implILb0ES3_S5_N6thrust23THRUST_200600_302600_NS6detail15normal_iteratorINS8_10device_ptrIsEEEEPsNS0_8identityIsEEEE10hipError_tT2_T3_mT4_P12ihipStream_tbEUlT_E_NS1_11comp_targetILNS1_3genE0ELNS1_11target_archE4294967295ELNS1_3gpuE0ELNS1_3repE0EEENS1_30default_config_static_selectorELNS0_4arch9wavefront6targetE1EEEvT1_
; %bb.0:
	.section	.rodata,"a",@progbits
	.p2align	6, 0x0
	.amdhsa_kernel _ZN7rocprim17ROCPRIM_400000_NS6detail17trampoline_kernelINS0_14default_configENS1_25transform_config_selectorIsLb0EEEZNS1_14transform_implILb0ES3_S5_N6thrust23THRUST_200600_302600_NS6detail15normal_iteratorINS8_10device_ptrIsEEEEPsNS0_8identityIsEEEE10hipError_tT2_T3_mT4_P12ihipStream_tbEUlT_E_NS1_11comp_targetILNS1_3genE0ELNS1_11target_archE4294967295ELNS1_3gpuE0ELNS1_3repE0EEENS1_30default_config_static_selectorELNS0_4arch9wavefront6targetE1EEEvT1_
		.amdhsa_group_segment_fixed_size 0
		.amdhsa_private_segment_fixed_size 0
		.amdhsa_kernarg_size 40
		.amdhsa_user_sgpr_count 2
		.amdhsa_user_sgpr_dispatch_ptr 0
		.amdhsa_user_sgpr_queue_ptr 0
		.amdhsa_user_sgpr_kernarg_segment_ptr 1
		.amdhsa_user_sgpr_dispatch_id 0
		.amdhsa_user_sgpr_kernarg_preload_length 0
		.amdhsa_user_sgpr_kernarg_preload_offset 0
		.amdhsa_user_sgpr_private_segment_size 0
		.amdhsa_uses_dynamic_stack 0
		.amdhsa_enable_private_segment 0
		.amdhsa_system_sgpr_workgroup_id_x 1
		.amdhsa_system_sgpr_workgroup_id_y 0
		.amdhsa_system_sgpr_workgroup_id_z 0
		.amdhsa_system_sgpr_workgroup_info 0
		.amdhsa_system_vgpr_workitem_id 0
		.amdhsa_next_free_vgpr 1
		.amdhsa_next_free_sgpr 0
		.amdhsa_accum_offset 4
		.amdhsa_reserve_vcc 0
		.amdhsa_float_round_mode_32 0
		.amdhsa_float_round_mode_16_64 0
		.amdhsa_float_denorm_mode_32 3
		.amdhsa_float_denorm_mode_16_64 3
		.amdhsa_dx10_clamp 1
		.amdhsa_ieee_mode 1
		.amdhsa_fp16_overflow 0
		.amdhsa_tg_split 0
		.amdhsa_exception_fp_ieee_invalid_op 0
		.amdhsa_exception_fp_denorm_src 0
		.amdhsa_exception_fp_ieee_div_zero 0
		.amdhsa_exception_fp_ieee_overflow 0
		.amdhsa_exception_fp_ieee_underflow 0
		.amdhsa_exception_fp_ieee_inexact 0
		.amdhsa_exception_int_div_zero 0
	.end_amdhsa_kernel
	.section	.text._ZN7rocprim17ROCPRIM_400000_NS6detail17trampoline_kernelINS0_14default_configENS1_25transform_config_selectorIsLb0EEEZNS1_14transform_implILb0ES3_S5_N6thrust23THRUST_200600_302600_NS6detail15normal_iteratorINS8_10device_ptrIsEEEEPsNS0_8identityIsEEEE10hipError_tT2_T3_mT4_P12ihipStream_tbEUlT_E_NS1_11comp_targetILNS1_3genE0ELNS1_11target_archE4294967295ELNS1_3gpuE0ELNS1_3repE0EEENS1_30default_config_static_selectorELNS0_4arch9wavefront6targetE1EEEvT1_,"axG",@progbits,_ZN7rocprim17ROCPRIM_400000_NS6detail17trampoline_kernelINS0_14default_configENS1_25transform_config_selectorIsLb0EEEZNS1_14transform_implILb0ES3_S5_N6thrust23THRUST_200600_302600_NS6detail15normal_iteratorINS8_10device_ptrIsEEEEPsNS0_8identityIsEEEE10hipError_tT2_T3_mT4_P12ihipStream_tbEUlT_E_NS1_11comp_targetILNS1_3genE0ELNS1_11target_archE4294967295ELNS1_3gpuE0ELNS1_3repE0EEENS1_30default_config_static_selectorELNS0_4arch9wavefront6targetE1EEEvT1_,comdat
.Lfunc_end1941:
	.size	_ZN7rocprim17ROCPRIM_400000_NS6detail17trampoline_kernelINS0_14default_configENS1_25transform_config_selectorIsLb0EEEZNS1_14transform_implILb0ES3_S5_N6thrust23THRUST_200600_302600_NS6detail15normal_iteratorINS8_10device_ptrIsEEEEPsNS0_8identityIsEEEE10hipError_tT2_T3_mT4_P12ihipStream_tbEUlT_E_NS1_11comp_targetILNS1_3genE0ELNS1_11target_archE4294967295ELNS1_3gpuE0ELNS1_3repE0EEENS1_30default_config_static_selectorELNS0_4arch9wavefront6targetE1EEEvT1_, .Lfunc_end1941-_ZN7rocprim17ROCPRIM_400000_NS6detail17trampoline_kernelINS0_14default_configENS1_25transform_config_selectorIsLb0EEEZNS1_14transform_implILb0ES3_S5_N6thrust23THRUST_200600_302600_NS6detail15normal_iteratorINS8_10device_ptrIsEEEEPsNS0_8identityIsEEEE10hipError_tT2_T3_mT4_P12ihipStream_tbEUlT_E_NS1_11comp_targetILNS1_3genE0ELNS1_11target_archE4294967295ELNS1_3gpuE0ELNS1_3repE0EEENS1_30default_config_static_selectorELNS0_4arch9wavefront6targetE1EEEvT1_
                                        ; -- End function
	.section	.AMDGPU.csdata,"",@progbits
; Kernel info:
; codeLenInByte = 0
; NumSgprs: 6
; NumVgprs: 0
; NumAgprs: 0
; TotalNumVgprs: 0
; ScratchSize: 0
; MemoryBound: 0
; FloatMode: 240
; IeeeMode: 1
; LDSByteSize: 0 bytes/workgroup (compile time only)
; SGPRBlocks: 0
; VGPRBlocks: 0
; NumSGPRsForWavesPerEU: 6
; NumVGPRsForWavesPerEU: 1
; AccumOffset: 4
; Occupancy: 8
; WaveLimiterHint : 0
; COMPUTE_PGM_RSRC2:SCRATCH_EN: 0
; COMPUTE_PGM_RSRC2:USER_SGPR: 2
; COMPUTE_PGM_RSRC2:TRAP_HANDLER: 0
; COMPUTE_PGM_RSRC2:TGID_X_EN: 1
; COMPUTE_PGM_RSRC2:TGID_Y_EN: 0
; COMPUTE_PGM_RSRC2:TGID_Z_EN: 0
; COMPUTE_PGM_RSRC2:TIDIG_COMP_CNT: 0
; COMPUTE_PGM_RSRC3_GFX90A:ACCUM_OFFSET: 0
; COMPUTE_PGM_RSRC3_GFX90A:TG_SPLIT: 0
	.section	.text._ZN7rocprim17ROCPRIM_400000_NS6detail17trampoline_kernelINS0_14default_configENS1_25transform_config_selectorIsLb0EEEZNS1_14transform_implILb0ES3_S5_N6thrust23THRUST_200600_302600_NS6detail15normal_iteratorINS8_10device_ptrIsEEEEPsNS0_8identityIsEEEE10hipError_tT2_T3_mT4_P12ihipStream_tbEUlT_E_NS1_11comp_targetILNS1_3genE5ELNS1_11target_archE942ELNS1_3gpuE9ELNS1_3repE0EEENS1_30default_config_static_selectorELNS0_4arch9wavefront6targetE1EEEvT1_,"axG",@progbits,_ZN7rocprim17ROCPRIM_400000_NS6detail17trampoline_kernelINS0_14default_configENS1_25transform_config_selectorIsLb0EEEZNS1_14transform_implILb0ES3_S5_N6thrust23THRUST_200600_302600_NS6detail15normal_iteratorINS8_10device_ptrIsEEEEPsNS0_8identityIsEEEE10hipError_tT2_T3_mT4_P12ihipStream_tbEUlT_E_NS1_11comp_targetILNS1_3genE5ELNS1_11target_archE942ELNS1_3gpuE9ELNS1_3repE0EEENS1_30default_config_static_selectorELNS0_4arch9wavefront6targetE1EEEvT1_,comdat
	.protected	_ZN7rocprim17ROCPRIM_400000_NS6detail17trampoline_kernelINS0_14default_configENS1_25transform_config_selectorIsLb0EEEZNS1_14transform_implILb0ES3_S5_N6thrust23THRUST_200600_302600_NS6detail15normal_iteratorINS8_10device_ptrIsEEEEPsNS0_8identityIsEEEE10hipError_tT2_T3_mT4_P12ihipStream_tbEUlT_E_NS1_11comp_targetILNS1_3genE5ELNS1_11target_archE942ELNS1_3gpuE9ELNS1_3repE0EEENS1_30default_config_static_selectorELNS0_4arch9wavefront6targetE1EEEvT1_ ; -- Begin function _ZN7rocprim17ROCPRIM_400000_NS6detail17trampoline_kernelINS0_14default_configENS1_25transform_config_selectorIsLb0EEEZNS1_14transform_implILb0ES3_S5_N6thrust23THRUST_200600_302600_NS6detail15normal_iteratorINS8_10device_ptrIsEEEEPsNS0_8identityIsEEEE10hipError_tT2_T3_mT4_P12ihipStream_tbEUlT_E_NS1_11comp_targetILNS1_3genE5ELNS1_11target_archE942ELNS1_3gpuE9ELNS1_3repE0EEENS1_30default_config_static_selectorELNS0_4arch9wavefront6targetE1EEEvT1_
	.globl	_ZN7rocprim17ROCPRIM_400000_NS6detail17trampoline_kernelINS0_14default_configENS1_25transform_config_selectorIsLb0EEEZNS1_14transform_implILb0ES3_S5_N6thrust23THRUST_200600_302600_NS6detail15normal_iteratorINS8_10device_ptrIsEEEEPsNS0_8identityIsEEEE10hipError_tT2_T3_mT4_P12ihipStream_tbEUlT_E_NS1_11comp_targetILNS1_3genE5ELNS1_11target_archE942ELNS1_3gpuE9ELNS1_3repE0EEENS1_30default_config_static_selectorELNS0_4arch9wavefront6targetE1EEEvT1_
	.p2align	8
	.type	_ZN7rocprim17ROCPRIM_400000_NS6detail17trampoline_kernelINS0_14default_configENS1_25transform_config_selectorIsLb0EEEZNS1_14transform_implILb0ES3_S5_N6thrust23THRUST_200600_302600_NS6detail15normal_iteratorINS8_10device_ptrIsEEEEPsNS0_8identityIsEEEE10hipError_tT2_T3_mT4_P12ihipStream_tbEUlT_E_NS1_11comp_targetILNS1_3genE5ELNS1_11target_archE942ELNS1_3gpuE9ELNS1_3repE0EEENS1_30default_config_static_selectorELNS0_4arch9wavefront6targetE1EEEvT1_,@function
_ZN7rocprim17ROCPRIM_400000_NS6detail17trampoline_kernelINS0_14default_configENS1_25transform_config_selectorIsLb0EEEZNS1_14transform_implILb0ES3_S5_N6thrust23THRUST_200600_302600_NS6detail15normal_iteratorINS8_10device_ptrIsEEEEPsNS0_8identityIsEEEE10hipError_tT2_T3_mT4_P12ihipStream_tbEUlT_E_NS1_11comp_targetILNS1_3genE5ELNS1_11target_archE942ELNS1_3gpuE9ELNS1_3repE0EEENS1_30default_config_static_selectorELNS0_4arch9wavefront6targetE1EEEvT1_: ; @_ZN7rocprim17ROCPRIM_400000_NS6detail17trampoline_kernelINS0_14default_configENS1_25transform_config_selectorIsLb0EEEZNS1_14transform_implILb0ES3_S5_N6thrust23THRUST_200600_302600_NS6detail15normal_iteratorINS8_10device_ptrIsEEEEPsNS0_8identityIsEEEE10hipError_tT2_T3_mT4_P12ihipStream_tbEUlT_E_NS1_11comp_targetILNS1_3genE5ELNS1_11target_archE942ELNS1_3gpuE9ELNS1_3repE0EEENS1_30default_config_static_selectorELNS0_4arch9wavefront6targetE1EEEvT1_
; %bb.0:
	s_load_dwordx8 s[4:11], s[0:1], 0x0
	s_load_dword s3, s[0:1], 0x28
	v_lshlrev_b32_e32 v6, 1, v0
	s_waitcnt lgkmcnt(0)
	s_lshl_b64 s[0:1], s[6:7], 1
	s_add_u32 s4, s4, s0
	s_addc_u32 s5, s5, s1
	s_add_u32 s22, s10, s0
	s_addc_u32 s23, s11, s1
	s_lshl_b32 s0, s2, 11
	s_mov_b32 s1, 0
	s_add_i32 s3, s3, -1
	s_lshl_b64 s[18:19], s[0:1], 1
	s_add_u32 s20, s4, s18
	s_addc_u32 s21, s5, s19
	s_cmp_lg_u32 s2, s3
	s_cbranch_scc0 .LBB1942_2
; %bb.1:
	v_mov_b32_e32 v7, 0
	v_lshl_add_u64 v[2:3], s[20:21], 0, v[6:7]
	flat_load_ushort v4, v[2:3]
	flat_load_ushort v5, v[2:3] offset:512
	flat_load_ushort v10, v[2:3] offset:1024
	;; [unrolled: 1-line block ×7, first 2 shown]
	s_add_u32 s4, s22, s18
	s_addc_u32 s5, s23, s19
	v_lshl_add_u64 v[8:9], s[4:5], 0, v[6:7]
	s_mov_b64 s[16:17], -1
	s_waitcnt vmcnt(0) lgkmcnt(0)
	global_store_short v6, v4, s[4:5]
	global_store_short v6, v5, s[4:5] offset:512
	global_store_short v6, v10, s[4:5] offset:1024
	;; [unrolled: 1-line block ×6, first 2 shown]
	s_cbranch_execz .LBB1942_3
	s_branch .LBB1942_34
.LBB1942_2:
	s_mov_b64 s[16:17], 0
                                        ; implicit-def: $vgpr1
                                        ; implicit-def: $vgpr8_vgpr9
.LBB1942_3:
	s_sub_i32 s14, s8, s0
	v_cmp_gt_u32_e32 vcc, s14, v0
                                        ; implicit-def: $vgpr2_vgpr3_vgpr4_vgpr5
	s_and_saveexec_b64 s[0:1], vcc
	s_cbranch_execz .LBB1942_5
; %bb.4:
	v_mov_b32_e32 v7, 0
	v_lshl_add_u64 v[2:3], s[20:21], 0, v[6:7]
	flat_load_ushort v2, v[2:3]
.LBB1942_5:
	s_or_b64 exec, exec, s[0:1]
	v_or_b32_e32 v1, 0x100, v0
	v_cmp_gt_u32_e64 s[0:1], s14, v1
	s_and_saveexec_b64 s[2:3], s[0:1]
	s_cbranch_execz .LBB1942_7
; %bb.6:
	v_mov_b32_e32 v7, 0
	v_lshl_add_u64 v[8:9], s[20:21], 0, v[6:7]
	flat_load_ushort v1, v[8:9] offset:512
	s_mov_b32 s4, 0x5040100
	s_waitcnt vmcnt(0) lgkmcnt(0)
	v_perm_b32 v2, v1, v2, s4
.LBB1942_7:
	s_or_b64 exec, exec, s[2:3]
	v_or_b32_e32 v1, 0x200, v0
	v_cmp_gt_u32_e64 s[2:3], s14, v1
	s_and_saveexec_b64 s[4:5], s[2:3]
	s_cbranch_execz .LBB1942_9
; %bb.8:
	v_mov_b32_e32 v7, 0
	v_lshl_add_u64 v[8:9], s[20:21], 0, v[6:7]
	flat_load_ushort v1, v[8:9] offset:1024
	s_mov_b32 s6, 0xffff
	s_waitcnt vmcnt(0) lgkmcnt(0)
	v_bfi_b32 v3, s6, v1, v3
.LBB1942_9:
	s_or_b64 exec, exec, s[4:5]
	v_or_b32_e32 v1, 0x300, v0
	v_cmp_gt_u32_e64 s[4:5], s14, v1
	s_and_saveexec_b64 s[6:7], s[4:5]
	s_cbranch_execz .LBB1942_11
; %bb.10:
	v_mov_b32_e32 v7, 0
	v_lshl_add_u64 v[8:9], s[20:21], 0, v[6:7]
	flat_load_ushort v1, v[8:9] offset:1536
	s_mov_b32 s8, 0x5040100
	s_waitcnt vmcnt(0) lgkmcnt(0)
	v_perm_b32 v3, v1, v3, s8
.LBB1942_11:
	s_or_b64 exec, exec, s[6:7]
	v_or_b32_e32 v1, 0x400, v0
	v_cmp_gt_u32_e64 s[6:7], s14, v1
	s_and_saveexec_b64 s[8:9], s[6:7]
	s_cbranch_execz .LBB1942_13
; %bb.12:
	v_mov_b32_e32 v7, 0
	v_lshl_add_u64 v[8:9], s[20:21], 0, v[6:7]
	flat_load_ushort v1, v[8:9] offset:2048
	s_mov_b32 s10, 0xffff
	s_waitcnt vmcnt(0) lgkmcnt(0)
	v_bfi_b32 v4, s10, v1, v4
.LBB1942_13:
	;; [unrolled: 26-line block ×3, first 2 shown]
	s_or_b64 exec, exec, s[12:13]
	v_or_b32_e32 v1, 0x700, v0
	v_cmp_gt_u32_e64 s[12:13], s14, v1
	v_cmp_le_u32_e64 s[14:15], s14, v1
	s_and_saveexec_b64 s[24:25], s[14:15]
	s_xor_b64 s[14:15], exec, s[24:25]
; %bb.18:
	v_mov_b32_e32 v1, 0
                                        ; implicit-def: $vgpr6
; %bb.19:
	s_andn2_saveexec_b64 s[14:15], s[14:15]
	s_cbranch_execz .LBB1942_21
; %bb.20:
	v_mov_b32_e32 v1, 0
	v_mov_b32_e32 v7, v1
	v_lshl_add_u64 v[6:7], s[20:21], 0, v[6:7]
	flat_load_ushort v6, v[6:7] offset:3584
	s_mov_b32 s20, 0x5040100
	s_waitcnt vmcnt(0) lgkmcnt(0)
	v_perm_b32 v5, v6, v5, s20
.LBB1942_21:
	s_or_b64 exec, exec, s[14:15]
	s_add_u32 s14, s22, s18
	s_addc_u32 s15, s23, s19
	v_lshl_add_u64 v[8:9], v[0:1], 1, s[14:15]
	s_and_saveexec_b64 s[14:15], vcc
	s_cbranch_execnz .LBB1942_37
; %bb.22:
	s_or_b64 exec, exec, s[14:15]
	s_and_saveexec_b64 s[14:15], s[0:1]
	s_cbranch_execnz .LBB1942_38
.LBB1942_23:
	s_or_b64 exec, exec, s[14:15]
	s_mov_b32 s14, 0xffff
	s_and_saveexec_b64 s[0:1], s[2:3]
	s_cbranch_execz .LBB1942_25
.LBB1942_24:
	global_store_short v[8:9], v3, off offset:1024
.LBB1942_25:
	s_or_b64 exec, exec, s[0:1]
	v_bfi_b32 v0, s14, v3, v3
	v_cndmask_b32_e64 v0, v0, v3, s[4:5]
	s_and_saveexec_b64 s[0:1], s[4:5]
	s_cbranch_execz .LBB1942_27
; %bb.26:
	global_store_short_d16_hi v[8:9], v0, off offset:1536
.LBB1942_27:
	s_or_b64 exec, exec, s[0:1]
	s_mov_b32 s2, 0xffff
	v_cndmask_b32_e64 v0, v4, v4, s[6:7]
	s_and_saveexec_b64 s[0:1], s[6:7]
	s_cbranch_execz .LBB1942_29
; %bb.28:
	global_store_short v[8:9], v0, off offset:2048
.LBB1942_29:
	s_or_b64 exec, exec, s[0:1]
	v_bfi_b32 v0, s2, v0, v4
	v_cndmask_b32_e64 v0, v0, v4, s[8:9]
	s_and_saveexec_b64 s[0:1], s[8:9]
	s_cbranch_execnz .LBB1942_39
; %bb.30:
	s_or_b64 exec, exec, s[0:1]
	s_and_saveexec_b64 s[0:1], s[10:11]
	s_cbranch_execnz .LBB1942_40
.LBB1942_31:
	s_or_b64 exec, exec, s[0:1]
                                        ; implicit-def: $vgpr1
	s_and_saveexec_b64 s[0:1], s[12:13]
.LBB1942_32:
	v_cndmask_b32_e64 v0, v5, v5, s[12:13]
	v_lshrrev_b32_e32 v1, 16, v0
	s_or_b64 s[16:17], s[16:17], exec
.LBB1942_33:
	s_or_b64 exec, exec, s[0:1]
.LBB1942_34:
	s_and_saveexec_b64 s[0:1], s[16:17]
	s_cbranch_execnz .LBB1942_36
; %bb.35:
	s_endpgm
.LBB1942_36:
	global_store_short v[8:9], v1, off offset:3584
	s_endpgm
.LBB1942_37:
	s_waitcnt vmcnt(0) lgkmcnt(0)
	global_store_short v[8:9], v2, off
	s_or_b64 exec, exec, s[14:15]
	s_and_saveexec_b64 s[14:15], s[0:1]
	s_cbranch_execz .LBB1942_23
.LBB1942_38:
	s_waitcnt vmcnt(0) lgkmcnt(0)
	global_store_short_d16_hi v[8:9], v2, off offset:512
	s_or_b64 exec, exec, s[14:15]
	s_mov_b32 s14, 0xffff
	s_and_saveexec_b64 s[0:1], s[2:3]
	s_cbranch_execnz .LBB1942_24
	s_branch .LBB1942_25
.LBB1942_39:
	global_store_short_d16_hi v[8:9], v0, off offset:2560
	s_or_b64 exec, exec, s[0:1]
	s_and_saveexec_b64 s[0:1], s[10:11]
	s_cbranch_execz .LBB1942_31
.LBB1942_40:
	v_cndmask_b32_e64 v0, v5, v5, s[10:11]
	global_store_short v[8:9], v0, off offset:3072
	s_or_b64 exec, exec, s[0:1]
                                        ; implicit-def: $vgpr1
	s_and_saveexec_b64 s[0:1], s[12:13]
	s_cbranch_execnz .LBB1942_32
	s_branch .LBB1942_33
	.section	.rodata,"a",@progbits
	.p2align	6, 0x0
	.amdhsa_kernel _ZN7rocprim17ROCPRIM_400000_NS6detail17trampoline_kernelINS0_14default_configENS1_25transform_config_selectorIsLb0EEEZNS1_14transform_implILb0ES3_S5_N6thrust23THRUST_200600_302600_NS6detail15normal_iteratorINS8_10device_ptrIsEEEEPsNS0_8identityIsEEEE10hipError_tT2_T3_mT4_P12ihipStream_tbEUlT_E_NS1_11comp_targetILNS1_3genE5ELNS1_11target_archE942ELNS1_3gpuE9ELNS1_3repE0EEENS1_30default_config_static_selectorELNS0_4arch9wavefront6targetE1EEEvT1_
		.amdhsa_group_segment_fixed_size 0
		.amdhsa_private_segment_fixed_size 0
		.amdhsa_kernarg_size 296
		.amdhsa_user_sgpr_count 2
		.amdhsa_user_sgpr_dispatch_ptr 0
		.amdhsa_user_sgpr_queue_ptr 0
		.amdhsa_user_sgpr_kernarg_segment_ptr 1
		.amdhsa_user_sgpr_dispatch_id 0
		.amdhsa_user_sgpr_kernarg_preload_length 0
		.amdhsa_user_sgpr_kernarg_preload_offset 0
		.amdhsa_user_sgpr_private_segment_size 0
		.amdhsa_uses_dynamic_stack 0
		.amdhsa_enable_private_segment 0
		.amdhsa_system_sgpr_workgroup_id_x 1
		.amdhsa_system_sgpr_workgroup_id_y 0
		.amdhsa_system_sgpr_workgroup_id_z 0
		.amdhsa_system_sgpr_workgroup_info 0
		.amdhsa_system_vgpr_workitem_id 0
		.amdhsa_next_free_vgpr 15
		.amdhsa_next_free_sgpr 26
		.amdhsa_accum_offset 16
		.amdhsa_reserve_vcc 1
		.amdhsa_float_round_mode_32 0
		.amdhsa_float_round_mode_16_64 0
		.amdhsa_float_denorm_mode_32 3
		.amdhsa_float_denorm_mode_16_64 3
		.amdhsa_dx10_clamp 1
		.amdhsa_ieee_mode 1
		.amdhsa_fp16_overflow 0
		.amdhsa_tg_split 0
		.amdhsa_exception_fp_ieee_invalid_op 0
		.amdhsa_exception_fp_denorm_src 0
		.amdhsa_exception_fp_ieee_div_zero 0
		.amdhsa_exception_fp_ieee_overflow 0
		.amdhsa_exception_fp_ieee_underflow 0
		.amdhsa_exception_fp_ieee_inexact 0
		.amdhsa_exception_int_div_zero 0
	.end_amdhsa_kernel
	.section	.text._ZN7rocprim17ROCPRIM_400000_NS6detail17trampoline_kernelINS0_14default_configENS1_25transform_config_selectorIsLb0EEEZNS1_14transform_implILb0ES3_S5_N6thrust23THRUST_200600_302600_NS6detail15normal_iteratorINS8_10device_ptrIsEEEEPsNS0_8identityIsEEEE10hipError_tT2_T3_mT4_P12ihipStream_tbEUlT_E_NS1_11comp_targetILNS1_3genE5ELNS1_11target_archE942ELNS1_3gpuE9ELNS1_3repE0EEENS1_30default_config_static_selectorELNS0_4arch9wavefront6targetE1EEEvT1_,"axG",@progbits,_ZN7rocprim17ROCPRIM_400000_NS6detail17trampoline_kernelINS0_14default_configENS1_25transform_config_selectorIsLb0EEEZNS1_14transform_implILb0ES3_S5_N6thrust23THRUST_200600_302600_NS6detail15normal_iteratorINS8_10device_ptrIsEEEEPsNS0_8identityIsEEEE10hipError_tT2_T3_mT4_P12ihipStream_tbEUlT_E_NS1_11comp_targetILNS1_3genE5ELNS1_11target_archE942ELNS1_3gpuE9ELNS1_3repE0EEENS1_30default_config_static_selectorELNS0_4arch9wavefront6targetE1EEEvT1_,comdat
.Lfunc_end1942:
	.size	_ZN7rocprim17ROCPRIM_400000_NS6detail17trampoline_kernelINS0_14default_configENS1_25transform_config_selectorIsLb0EEEZNS1_14transform_implILb0ES3_S5_N6thrust23THRUST_200600_302600_NS6detail15normal_iteratorINS8_10device_ptrIsEEEEPsNS0_8identityIsEEEE10hipError_tT2_T3_mT4_P12ihipStream_tbEUlT_E_NS1_11comp_targetILNS1_3genE5ELNS1_11target_archE942ELNS1_3gpuE9ELNS1_3repE0EEENS1_30default_config_static_selectorELNS0_4arch9wavefront6targetE1EEEvT1_, .Lfunc_end1942-_ZN7rocprim17ROCPRIM_400000_NS6detail17trampoline_kernelINS0_14default_configENS1_25transform_config_selectorIsLb0EEEZNS1_14transform_implILb0ES3_S5_N6thrust23THRUST_200600_302600_NS6detail15normal_iteratorINS8_10device_ptrIsEEEEPsNS0_8identityIsEEEE10hipError_tT2_T3_mT4_P12ihipStream_tbEUlT_E_NS1_11comp_targetILNS1_3genE5ELNS1_11target_archE942ELNS1_3gpuE9ELNS1_3repE0EEENS1_30default_config_static_selectorELNS0_4arch9wavefront6targetE1EEEvT1_
                                        ; -- End function
	.section	.AMDGPU.csdata,"",@progbits
; Kernel info:
; codeLenInByte = 1124
; NumSgprs: 32
; NumVgprs: 15
; NumAgprs: 0
; TotalNumVgprs: 15
; ScratchSize: 0
; MemoryBound: 0
; FloatMode: 240
; IeeeMode: 1
; LDSByteSize: 0 bytes/workgroup (compile time only)
; SGPRBlocks: 3
; VGPRBlocks: 1
; NumSGPRsForWavesPerEU: 32
; NumVGPRsForWavesPerEU: 15
; AccumOffset: 16
; Occupancy: 8
; WaveLimiterHint : 1
; COMPUTE_PGM_RSRC2:SCRATCH_EN: 0
; COMPUTE_PGM_RSRC2:USER_SGPR: 2
; COMPUTE_PGM_RSRC2:TRAP_HANDLER: 0
; COMPUTE_PGM_RSRC2:TGID_X_EN: 1
; COMPUTE_PGM_RSRC2:TGID_Y_EN: 0
; COMPUTE_PGM_RSRC2:TGID_Z_EN: 0
; COMPUTE_PGM_RSRC2:TIDIG_COMP_CNT: 0
; COMPUTE_PGM_RSRC3_GFX90A:ACCUM_OFFSET: 3
; COMPUTE_PGM_RSRC3_GFX90A:TG_SPLIT: 0
	.section	.text._ZN7rocprim17ROCPRIM_400000_NS6detail17trampoline_kernelINS0_14default_configENS1_25transform_config_selectorIsLb0EEEZNS1_14transform_implILb0ES3_S5_N6thrust23THRUST_200600_302600_NS6detail15normal_iteratorINS8_10device_ptrIsEEEEPsNS0_8identityIsEEEE10hipError_tT2_T3_mT4_P12ihipStream_tbEUlT_E_NS1_11comp_targetILNS1_3genE4ELNS1_11target_archE910ELNS1_3gpuE8ELNS1_3repE0EEENS1_30default_config_static_selectorELNS0_4arch9wavefront6targetE1EEEvT1_,"axG",@progbits,_ZN7rocprim17ROCPRIM_400000_NS6detail17trampoline_kernelINS0_14default_configENS1_25transform_config_selectorIsLb0EEEZNS1_14transform_implILb0ES3_S5_N6thrust23THRUST_200600_302600_NS6detail15normal_iteratorINS8_10device_ptrIsEEEEPsNS0_8identityIsEEEE10hipError_tT2_T3_mT4_P12ihipStream_tbEUlT_E_NS1_11comp_targetILNS1_3genE4ELNS1_11target_archE910ELNS1_3gpuE8ELNS1_3repE0EEENS1_30default_config_static_selectorELNS0_4arch9wavefront6targetE1EEEvT1_,comdat
	.protected	_ZN7rocprim17ROCPRIM_400000_NS6detail17trampoline_kernelINS0_14default_configENS1_25transform_config_selectorIsLb0EEEZNS1_14transform_implILb0ES3_S5_N6thrust23THRUST_200600_302600_NS6detail15normal_iteratorINS8_10device_ptrIsEEEEPsNS0_8identityIsEEEE10hipError_tT2_T3_mT4_P12ihipStream_tbEUlT_E_NS1_11comp_targetILNS1_3genE4ELNS1_11target_archE910ELNS1_3gpuE8ELNS1_3repE0EEENS1_30default_config_static_selectorELNS0_4arch9wavefront6targetE1EEEvT1_ ; -- Begin function _ZN7rocprim17ROCPRIM_400000_NS6detail17trampoline_kernelINS0_14default_configENS1_25transform_config_selectorIsLb0EEEZNS1_14transform_implILb0ES3_S5_N6thrust23THRUST_200600_302600_NS6detail15normal_iteratorINS8_10device_ptrIsEEEEPsNS0_8identityIsEEEE10hipError_tT2_T3_mT4_P12ihipStream_tbEUlT_E_NS1_11comp_targetILNS1_3genE4ELNS1_11target_archE910ELNS1_3gpuE8ELNS1_3repE0EEENS1_30default_config_static_selectorELNS0_4arch9wavefront6targetE1EEEvT1_
	.globl	_ZN7rocprim17ROCPRIM_400000_NS6detail17trampoline_kernelINS0_14default_configENS1_25transform_config_selectorIsLb0EEEZNS1_14transform_implILb0ES3_S5_N6thrust23THRUST_200600_302600_NS6detail15normal_iteratorINS8_10device_ptrIsEEEEPsNS0_8identityIsEEEE10hipError_tT2_T3_mT4_P12ihipStream_tbEUlT_E_NS1_11comp_targetILNS1_3genE4ELNS1_11target_archE910ELNS1_3gpuE8ELNS1_3repE0EEENS1_30default_config_static_selectorELNS0_4arch9wavefront6targetE1EEEvT1_
	.p2align	8
	.type	_ZN7rocprim17ROCPRIM_400000_NS6detail17trampoline_kernelINS0_14default_configENS1_25transform_config_selectorIsLb0EEEZNS1_14transform_implILb0ES3_S5_N6thrust23THRUST_200600_302600_NS6detail15normal_iteratorINS8_10device_ptrIsEEEEPsNS0_8identityIsEEEE10hipError_tT2_T3_mT4_P12ihipStream_tbEUlT_E_NS1_11comp_targetILNS1_3genE4ELNS1_11target_archE910ELNS1_3gpuE8ELNS1_3repE0EEENS1_30default_config_static_selectorELNS0_4arch9wavefront6targetE1EEEvT1_,@function
_ZN7rocprim17ROCPRIM_400000_NS6detail17trampoline_kernelINS0_14default_configENS1_25transform_config_selectorIsLb0EEEZNS1_14transform_implILb0ES3_S5_N6thrust23THRUST_200600_302600_NS6detail15normal_iteratorINS8_10device_ptrIsEEEEPsNS0_8identityIsEEEE10hipError_tT2_T3_mT4_P12ihipStream_tbEUlT_E_NS1_11comp_targetILNS1_3genE4ELNS1_11target_archE910ELNS1_3gpuE8ELNS1_3repE0EEENS1_30default_config_static_selectorELNS0_4arch9wavefront6targetE1EEEvT1_: ; @_ZN7rocprim17ROCPRIM_400000_NS6detail17trampoline_kernelINS0_14default_configENS1_25transform_config_selectorIsLb0EEEZNS1_14transform_implILb0ES3_S5_N6thrust23THRUST_200600_302600_NS6detail15normal_iteratorINS8_10device_ptrIsEEEEPsNS0_8identityIsEEEE10hipError_tT2_T3_mT4_P12ihipStream_tbEUlT_E_NS1_11comp_targetILNS1_3genE4ELNS1_11target_archE910ELNS1_3gpuE8ELNS1_3repE0EEENS1_30default_config_static_selectorELNS0_4arch9wavefront6targetE1EEEvT1_
; %bb.0:
	.section	.rodata,"a",@progbits
	.p2align	6, 0x0
	.amdhsa_kernel _ZN7rocprim17ROCPRIM_400000_NS6detail17trampoline_kernelINS0_14default_configENS1_25transform_config_selectorIsLb0EEEZNS1_14transform_implILb0ES3_S5_N6thrust23THRUST_200600_302600_NS6detail15normal_iteratorINS8_10device_ptrIsEEEEPsNS0_8identityIsEEEE10hipError_tT2_T3_mT4_P12ihipStream_tbEUlT_E_NS1_11comp_targetILNS1_3genE4ELNS1_11target_archE910ELNS1_3gpuE8ELNS1_3repE0EEENS1_30default_config_static_selectorELNS0_4arch9wavefront6targetE1EEEvT1_
		.amdhsa_group_segment_fixed_size 0
		.amdhsa_private_segment_fixed_size 0
		.amdhsa_kernarg_size 40
		.amdhsa_user_sgpr_count 2
		.amdhsa_user_sgpr_dispatch_ptr 0
		.amdhsa_user_sgpr_queue_ptr 0
		.amdhsa_user_sgpr_kernarg_segment_ptr 1
		.amdhsa_user_sgpr_dispatch_id 0
		.amdhsa_user_sgpr_kernarg_preload_length 0
		.amdhsa_user_sgpr_kernarg_preload_offset 0
		.amdhsa_user_sgpr_private_segment_size 0
		.amdhsa_uses_dynamic_stack 0
		.amdhsa_enable_private_segment 0
		.amdhsa_system_sgpr_workgroup_id_x 1
		.amdhsa_system_sgpr_workgroup_id_y 0
		.amdhsa_system_sgpr_workgroup_id_z 0
		.amdhsa_system_sgpr_workgroup_info 0
		.amdhsa_system_vgpr_workitem_id 0
		.amdhsa_next_free_vgpr 1
		.amdhsa_next_free_sgpr 0
		.amdhsa_accum_offset 4
		.amdhsa_reserve_vcc 0
		.amdhsa_float_round_mode_32 0
		.amdhsa_float_round_mode_16_64 0
		.amdhsa_float_denorm_mode_32 3
		.amdhsa_float_denorm_mode_16_64 3
		.amdhsa_dx10_clamp 1
		.amdhsa_ieee_mode 1
		.amdhsa_fp16_overflow 0
		.amdhsa_tg_split 0
		.amdhsa_exception_fp_ieee_invalid_op 0
		.amdhsa_exception_fp_denorm_src 0
		.amdhsa_exception_fp_ieee_div_zero 0
		.amdhsa_exception_fp_ieee_overflow 0
		.amdhsa_exception_fp_ieee_underflow 0
		.amdhsa_exception_fp_ieee_inexact 0
		.amdhsa_exception_int_div_zero 0
	.end_amdhsa_kernel
	.section	.text._ZN7rocprim17ROCPRIM_400000_NS6detail17trampoline_kernelINS0_14default_configENS1_25transform_config_selectorIsLb0EEEZNS1_14transform_implILb0ES3_S5_N6thrust23THRUST_200600_302600_NS6detail15normal_iteratorINS8_10device_ptrIsEEEEPsNS0_8identityIsEEEE10hipError_tT2_T3_mT4_P12ihipStream_tbEUlT_E_NS1_11comp_targetILNS1_3genE4ELNS1_11target_archE910ELNS1_3gpuE8ELNS1_3repE0EEENS1_30default_config_static_selectorELNS0_4arch9wavefront6targetE1EEEvT1_,"axG",@progbits,_ZN7rocprim17ROCPRIM_400000_NS6detail17trampoline_kernelINS0_14default_configENS1_25transform_config_selectorIsLb0EEEZNS1_14transform_implILb0ES3_S5_N6thrust23THRUST_200600_302600_NS6detail15normal_iteratorINS8_10device_ptrIsEEEEPsNS0_8identityIsEEEE10hipError_tT2_T3_mT4_P12ihipStream_tbEUlT_E_NS1_11comp_targetILNS1_3genE4ELNS1_11target_archE910ELNS1_3gpuE8ELNS1_3repE0EEENS1_30default_config_static_selectorELNS0_4arch9wavefront6targetE1EEEvT1_,comdat
.Lfunc_end1943:
	.size	_ZN7rocprim17ROCPRIM_400000_NS6detail17trampoline_kernelINS0_14default_configENS1_25transform_config_selectorIsLb0EEEZNS1_14transform_implILb0ES3_S5_N6thrust23THRUST_200600_302600_NS6detail15normal_iteratorINS8_10device_ptrIsEEEEPsNS0_8identityIsEEEE10hipError_tT2_T3_mT4_P12ihipStream_tbEUlT_E_NS1_11comp_targetILNS1_3genE4ELNS1_11target_archE910ELNS1_3gpuE8ELNS1_3repE0EEENS1_30default_config_static_selectorELNS0_4arch9wavefront6targetE1EEEvT1_, .Lfunc_end1943-_ZN7rocprim17ROCPRIM_400000_NS6detail17trampoline_kernelINS0_14default_configENS1_25transform_config_selectorIsLb0EEEZNS1_14transform_implILb0ES3_S5_N6thrust23THRUST_200600_302600_NS6detail15normal_iteratorINS8_10device_ptrIsEEEEPsNS0_8identityIsEEEE10hipError_tT2_T3_mT4_P12ihipStream_tbEUlT_E_NS1_11comp_targetILNS1_3genE4ELNS1_11target_archE910ELNS1_3gpuE8ELNS1_3repE0EEENS1_30default_config_static_selectorELNS0_4arch9wavefront6targetE1EEEvT1_
                                        ; -- End function
	.section	.AMDGPU.csdata,"",@progbits
; Kernel info:
; codeLenInByte = 0
; NumSgprs: 6
; NumVgprs: 0
; NumAgprs: 0
; TotalNumVgprs: 0
; ScratchSize: 0
; MemoryBound: 0
; FloatMode: 240
; IeeeMode: 1
; LDSByteSize: 0 bytes/workgroup (compile time only)
; SGPRBlocks: 0
; VGPRBlocks: 0
; NumSGPRsForWavesPerEU: 6
; NumVGPRsForWavesPerEU: 1
; AccumOffset: 4
; Occupancy: 8
; WaveLimiterHint : 0
; COMPUTE_PGM_RSRC2:SCRATCH_EN: 0
; COMPUTE_PGM_RSRC2:USER_SGPR: 2
; COMPUTE_PGM_RSRC2:TRAP_HANDLER: 0
; COMPUTE_PGM_RSRC2:TGID_X_EN: 1
; COMPUTE_PGM_RSRC2:TGID_Y_EN: 0
; COMPUTE_PGM_RSRC2:TGID_Z_EN: 0
; COMPUTE_PGM_RSRC2:TIDIG_COMP_CNT: 0
; COMPUTE_PGM_RSRC3_GFX90A:ACCUM_OFFSET: 0
; COMPUTE_PGM_RSRC3_GFX90A:TG_SPLIT: 0
	.section	.text._ZN7rocprim17ROCPRIM_400000_NS6detail17trampoline_kernelINS0_14default_configENS1_25transform_config_selectorIsLb0EEEZNS1_14transform_implILb0ES3_S5_N6thrust23THRUST_200600_302600_NS6detail15normal_iteratorINS8_10device_ptrIsEEEEPsNS0_8identityIsEEEE10hipError_tT2_T3_mT4_P12ihipStream_tbEUlT_E_NS1_11comp_targetILNS1_3genE3ELNS1_11target_archE908ELNS1_3gpuE7ELNS1_3repE0EEENS1_30default_config_static_selectorELNS0_4arch9wavefront6targetE1EEEvT1_,"axG",@progbits,_ZN7rocprim17ROCPRIM_400000_NS6detail17trampoline_kernelINS0_14default_configENS1_25transform_config_selectorIsLb0EEEZNS1_14transform_implILb0ES3_S5_N6thrust23THRUST_200600_302600_NS6detail15normal_iteratorINS8_10device_ptrIsEEEEPsNS0_8identityIsEEEE10hipError_tT2_T3_mT4_P12ihipStream_tbEUlT_E_NS1_11comp_targetILNS1_3genE3ELNS1_11target_archE908ELNS1_3gpuE7ELNS1_3repE0EEENS1_30default_config_static_selectorELNS0_4arch9wavefront6targetE1EEEvT1_,comdat
	.protected	_ZN7rocprim17ROCPRIM_400000_NS6detail17trampoline_kernelINS0_14default_configENS1_25transform_config_selectorIsLb0EEEZNS1_14transform_implILb0ES3_S5_N6thrust23THRUST_200600_302600_NS6detail15normal_iteratorINS8_10device_ptrIsEEEEPsNS0_8identityIsEEEE10hipError_tT2_T3_mT4_P12ihipStream_tbEUlT_E_NS1_11comp_targetILNS1_3genE3ELNS1_11target_archE908ELNS1_3gpuE7ELNS1_3repE0EEENS1_30default_config_static_selectorELNS0_4arch9wavefront6targetE1EEEvT1_ ; -- Begin function _ZN7rocprim17ROCPRIM_400000_NS6detail17trampoline_kernelINS0_14default_configENS1_25transform_config_selectorIsLb0EEEZNS1_14transform_implILb0ES3_S5_N6thrust23THRUST_200600_302600_NS6detail15normal_iteratorINS8_10device_ptrIsEEEEPsNS0_8identityIsEEEE10hipError_tT2_T3_mT4_P12ihipStream_tbEUlT_E_NS1_11comp_targetILNS1_3genE3ELNS1_11target_archE908ELNS1_3gpuE7ELNS1_3repE0EEENS1_30default_config_static_selectorELNS0_4arch9wavefront6targetE1EEEvT1_
	.globl	_ZN7rocprim17ROCPRIM_400000_NS6detail17trampoline_kernelINS0_14default_configENS1_25transform_config_selectorIsLb0EEEZNS1_14transform_implILb0ES3_S5_N6thrust23THRUST_200600_302600_NS6detail15normal_iteratorINS8_10device_ptrIsEEEEPsNS0_8identityIsEEEE10hipError_tT2_T3_mT4_P12ihipStream_tbEUlT_E_NS1_11comp_targetILNS1_3genE3ELNS1_11target_archE908ELNS1_3gpuE7ELNS1_3repE0EEENS1_30default_config_static_selectorELNS0_4arch9wavefront6targetE1EEEvT1_
	.p2align	8
	.type	_ZN7rocprim17ROCPRIM_400000_NS6detail17trampoline_kernelINS0_14default_configENS1_25transform_config_selectorIsLb0EEEZNS1_14transform_implILb0ES3_S5_N6thrust23THRUST_200600_302600_NS6detail15normal_iteratorINS8_10device_ptrIsEEEEPsNS0_8identityIsEEEE10hipError_tT2_T3_mT4_P12ihipStream_tbEUlT_E_NS1_11comp_targetILNS1_3genE3ELNS1_11target_archE908ELNS1_3gpuE7ELNS1_3repE0EEENS1_30default_config_static_selectorELNS0_4arch9wavefront6targetE1EEEvT1_,@function
_ZN7rocprim17ROCPRIM_400000_NS6detail17trampoline_kernelINS0_14default_configENS1_25transform_config_selectorIsLb0EEEZNS1_14transform_implILb0ES3_S5_N6thrust23THRUST_200600_302600_NS6detail15normal_iteratorINS8_10device_ptrIsEEEEPsNS0_8identityIsEEEE10hipError_tT2_T3_mT4_P12ihipStream_tbEUlT_E_NS1_11comp_targetILNS1_3genE3ELNS1_11target_archE908ELNS1_3gpuE7ELNS1_3repE0EEENS1_30default_config_static_selectorELNS0_4arch9wavefront6targetE1EEEvT1_: ; @_ZN7rocprim17ROCPRIM_400000_NS6detail17trampoline_kernelINS0_14default_configENS1_25transform_config_selectorIsLb0EEEZNS1_14transform_implILb0ES3_S5_N6thrust23THRUST_200600_302600_NS6detail15normal_iteratorINS8_10device_ptrIsEEEEPsNS0_8identityIsEEEE10hipError_tT2_T3_mT4_P12ihipStream_tbEUlT_E_NS1_11comp_targetILNS1_3genE3ELNS1_11target_archE908ELNS1_3gpuE7ELNS1_3repE0EEENS1_30default_config_static_selectorELNS0_4arch9wavefront6targetE1EEEvT1_
; %bb.0:
	.section	.rodata,"a",@progbits
	.p2align	6, 0x0
	.amdhsa_kernel _ZN7rocprim17ROCPRIM_400000_NS6detail17trampoline_kernelINS0_14default_configENS1_25transform_config_selectorIsLb0EEEZNS1_14transform_implILb0ES3_S5_N6thrust23THRUST_200600_302600_NS6detail15normal_iteratorINS8_10device_ptrIsEEEEPsNS0_8identityIsEEEE10hipError_tT2_T3_mT4_P12ihipStream_tbEUlT_E_NS1_11comp_targetILNS1_3genE3ELNS1_11target_archE908ELNS1_3gpuE7ELNS1_3repE0EEENS1_30default_config_static_selectorELNS0_4arch9wavefront6targetE1EEEvT1_
		.amdhsa_group_segment_fixed_size 0
		.amdhsa_private_segment_fixed_size 0
		.amdhsa_kernarg_size 40
		.amdhsa_user_sgpr_count 2
		.amdhsa_user_sgpr_dispatch_ptr 0
		.amdhsa_user_sgpr_queue_ptr 0
		.amdhsa_user_sgpr_kernarg_segment_ptr 1
		.amdhsa_user_sgpr_dispatch_id 0
		.amdhsa_user_sgpr_kernarg_preload_length 0
		.amdhsa_user_sgpr_kernarg_preload_offset 0
		.amdhsa_user_sgpr_private_segment_size 0
		.amdhsa_uses_dynamic_stack 0
		.amdhsa_enable_private_segment 0
		.amdhsa_system_sgpr_workgroup_id_x 1
		.amdhsa_system_sgpr_workgroup_id_y 0
		.amdhsa_system_sgpr_workgroup_id_z 0
		.amdhsa_system_sgpr_workgroup_info 0
		.amdhsa_system_vgpr_workitem_id 0
		.amdhsa_next_free_vgpr 1
		.amdhsa_next_free_sgpr 0
		.amdhsa_accum_offset 4
		.amdhsa_reserve_vcc 0
		.amdhsa_float_round_mode_32 0
		.amdhsa_float_round_mode_16_64 0
		.amdhsa_float_denorm_mode_32 3
		.amdhsa_float_denorm_mode_16_64 3
		.amdhsa_dx10_clamp 1
		.amdhsa_ieee_mode 1
		.amdhsa_fp16_overflow 0
		.amdhsa_tg_split 0
		.amdhsa_exception_fp_ieee_invalid_op 0
		.amdhsa_exception_fp_denorm_src 0
		.amdhsa_exception_fp_ieee_div_zero 0
		.amdhsa_exception_fp_ieee_overflow 0
		.amdhsa_exception_fp_ieee_underflow 0
		.amdhsa_exception_fp_ieee_inexact 0
		.amdhsa_exception_int_div_zero 0
	.end_amdhsa_kernel
	.section	.text._ZN7rocprim17ROCPRIM_400000_NS6detail17trampoline_kernelINS0_14default_configENS1_25transform_config_selectorIsLb0EEEZNS1_14transform_implILb0ES3_S5_N6thrust23THRUST_200600_302600_NS6detail15normal_iteratorINS8_10device_ptrIsEEEEPsNS0_8identityIsEEEE10hipError_tT2_T3_mT4_P12ihipStream_tbEUlT_E_NS1_11comp_targetILNS1_3genE3ELNS1_11target_archE908ELNS1_3gpuE7ELNS1_3repE0EEENS1_30default_config_static_selectorELNS0_4arch9wavefront6targetE1EEEvT1_,"axG",@progbits,_ZN7rocprim17ROCPRIM_400000_NS6detail17trampoline_kernelINS0_14default_configENS1_25transform_config_selectorIsLb0EEEZNS1_14transform_implILb0ES3_S5_N6thrust23THRUST_200600_302600_NS6detail15normal_iteratorINS8_10device_ptrIsEEEEPsNS0_8identityIsEEEE10hipError_tT2_T3_mT4_P12ihipStream_tbEUlT_E_NS1_11comp_targetILNS1_3genE3ELNS1_11target_archE908ELNS1_3gpuE7ELNS1_3repE0EEENS1_30default_config_static_selectorELNS0_4arch9wavefront6targetE1EEEvT1_,comdat
.Lfunc_end1944:
	.size	_ZN7rocprim17ROCPRIM_400000_NS6detail17trampoline_kernelINS0_14default_configENS1_25transform_config_selectorIsLb0EEEZNS1_14transform_implILb0ES3_S5_N6thrust23THRUST_200600_302600_NS6detail15normal_iteratorINS8_10device_ptrIsEEEEPsNS0_8identityIsEEEE10hipError_tT2_T3_mT4_P12ihipStream_tbEUlT_E_NS1_11comp_targetILNS1_3genE3ELNS1_11target_archE908ELNS1_3gpuE7ELNS1_3repE0EEENS1_30default_config_static_selectorELNS0_4arch9wavefront6targetE1EEEvT1_, .Lfunc_end1944-_ZN7rocprim17ROCPRIM_400000_NS6detail17trampoline_kernelINS0_14default_configENS1_25transform_config_selectorIsLb0EEEZNS1_14transform_implILb0ES3_S5_N6thrust23THRUST_200600_302600_NS6detail15normal_iteratorINS8_10device_ptrIsEEEEPsNS0_8identityIsEEEE10hipError_tT2_T3_mT4_P12ihipStream_tbEUlT_E_NS1_11comp_targetILNS1_3genE3ELNS1_11target_archE908ELNS1_3gpuE7ELNS1_3repE0EEENS1_30default_config_static_selectorELNS0_4arch9wavefront6targetE1EEEvT1_
                                        ; -- End function
	.section	.AMDGPU.csdata,"",@progbits
; Kernel info:
; codeLenInByte = 0
; NumSgprs: 6
; NumVgprs: 0
; NumAgprs: 0
; TotalNumVgprs: 0
; ScratchSize: 0
; MemoryBound: 0
; FloatMode: 240
; IeeeMode: 1
; LDSByteSize: 0 bytes/workgroup (compile time only)
; SGPRBlocks: 0
; VGPRBlocks: 0
; NumSGPRsForWavesPerEU: 6
; NumVGPRsForWavesPerEU: 1
; AccumOffset: 4
; Occupancy: 8
; WaveLimiterHint : 0
; COMPUTE_PGM_RSRC2:SCRATCH_EN: 0
; COMPUTE_PGM_RSRC2:USER_SGPR: 2
; COMPUTE_PGM_RSRC2:TRAP_HANDLER: 0
; COMPUTE_PGM_RSRC2:TGID_X_EN: 1
; COMPUTE_PGM_RSRC2:TGID_Y_EN: 0
; COMPUTE_PGM_RSRC2:TGID_Z_EN: 0
; COMPUTE_PGM_RSRC2:TIDIG_COMP_CNT: 0
; COMPUTE_PGM_RSRC3_GFX90A:ACCUM_OFFSET: 0
; COMPUTE_PGM_RSRC3_GFX90A:TG_SPLIT: 0
	.section	.text._ZN7rocprim17ROCPRIM_400000_NS6detail17trampoline_kernelINS0_14default_configENS1_25transform_config_selectorIsLb0EEEZNS1_14transform_implILb0ES3_S5_N6thrust23THRUST_200600_302600_NS6detail15normal_iteratorINS8_10device_ptrIsEEEEPsNS0_8identityIsEEEE10hipError_tT2_T3_mT4_P12ihipStream_tbEUlT_E_NS1_11comp_targetILNS1_3genE2ELNS1_11target_archE906ELNS1_3gpuE6ELNS1_3repE0EEENS1_30default_config_static_selectorELNS0_4arch9wavefront6targetE1EEEvT1_,"axG",@progbits,_ZN7rocprim17ROCPRIM_400000_NS6detail17trampoline_kernelINS0_14default_configENS1_25transform_config_selectorIsLb0EEEZNS1_14transform_implILb0ES3_S5_N6thrust23THRUST_200600_302600_NS6detail15normal_iteratorINS8_10device_ptrIsEEEEPsNS0_8identityIsEEEE10hipError_tT2_T3_mT4_P12ihipStream_tbEUlT_E_NS1_11comp_targetILNS1_3genE2ELNS1_11target_archE906ELNS1_3gpuE6ELNS1_3repE0EEENS1_30default_config_static_selectorELNS0_4arch9wavefront6targetE1EEEvT1_,comdat
	.protected	_ZN7rocprim17ROCPRIM_400000_NS6detail17trampoline_kernelINS0_14default_configENS1_25transform_config_selectorIsLb0EEEZNS1_14transform_implILb0ES3_S5_N6thrust23THRUST_200600_302600_NS6detail15normal_iteratorINS8_10device_ptrIsEEEEPsNS0_8identityIsEEEE10hipError_tT2_T3_mT4_P12ihipStream_tbEUlT_E_NS1_11comp_targetILNS1_3genE2ELNS1_11target_archE906ELNS1_3gpuE6ELNS1_3repE0EEENS1_30default_config_static_selectorELNS0_4arch9wavefront6targetE1EEEvT1_ ; -- Begin function _ZN7rocprim17ROCPRIM_400000_NS6detail17trampoline_kernelINS0_14default_configENS1_25transform_config_selectorIsLb0EEEZNS1_14transform_implILb0ES3_S5_N6thrust23THRUST_200600_302600_NS6detail15normal_iteratorINS8_10device_ptrIsEEEEPsNS0_8identityIsEEEE10hipError_tT2_T3_mT4_P12ihipStream_tbEUlT_E_NS1_11comp_targetILNS1_3genE2ELNS1_11target_archE906ELNS1_3gpuE6ELNS1_3repE0EEENS1_30default_config_static_selectorELNS0_4arch9wavefront6targetE1EEEvT1_
	.globl	_ZN7rocprim17ROCPRIM_400000_NS6detail17trampoline_kernelINS0_14default_configENS1_25transform_config_selectorIsLb0EEEZNS1_14transform_implILb0ES3_S5_N6thrust23THRUST_200600_302600_NS6detail15normal_iteratorINS8_10device_ptrIsEEEEPsNS0_8identityIsEEEE10hipError_tT2_T3_mT4_P12ihipStream_tbEUlT_E_NS1_11comp_targetILNS1_3genE2ELNS1_11target_archE906ELNS1_3gpuE6ELNS1_3repE0EEENS1_30default_config_static_selectorELNS0_4arch9wavefront6targetE1EEEvT1_
	.p2align	8
	.type	_ZN7rocprim17ROCPRIM_400000_NS6detail17trampoline_kernelINS0_14default_configENS1_25transform_config_selectorIsLb0EEEZNS1_14transform_implILb0ES3_S5_N6thrust23THRUST_200600_302600_NS6detail15normal_iteratorINS8_10device_ptrIsEEEEPsNS0_8identityIsEEEE10hipError_tT2_T3_mT4_P12ihipStream_tbEUlT_E_NS1_11comp_targetILNS1_3genE2ELNS1_11target_archE906ELNS1_3gpuE6ELNS1_3repE0EEENS1_30default_config_static_selectorELNS0_4arch9wavefront6targetE1EEEvT1_,@function
_ZN7rocprim17ROCPRIM_400000_NS6detail17trampoline_kernelINS0_14default_configENS1_25transform_config_selectorIsLb0EEEZNS1_14transform_implILb0ES3_S5_N6thrust23THRUST_200600_302600_NS6detail15normal_iteratorINS8_10device_ptrIsEEEEPsNS0_8identityIsEEEE10hipError_tT2_T3_mT4_P12ihipStream_tbEUlT_E_NS1_11comp_targetILNS1_3genE2ELNS1_11target_archE906ELNS1_3gpuE6ELNS1_3repE0EEENS1_30default_config_static_selectorELNS0_4arch9wavefront6targetE1EEEvT1_: ; @_ZN7rocprim17ROCPRIM_400000_NS6detail17trampoline_kernelINS0_14default_configENS1_25transform_config_selectorIsLb0EEEZNS1_14transform_implILb0ES3_S5_N6thrust23THRUST_200600_302600_NS6detail15normal_iteratorINS8_10device_ptrIsEEEEPsNS0_8identityIsEEEE10hipError_tT2_T3_mT4_P12ihipStream_tbEUlT_E_NS1_11comp_targetILNS1_3genE2ELNS1_11target_archE906ELNS1_3gpuE6ELNS1_3repE0EEENS1_30default_config_static_selectorELNS0_4arch9wavefront6targetE1EEEvT1_
; %bb.0:
	.section	.rodata,"a",@progbits
	.p2align	6, 0x0
	.amdhsa_kernel _ZN7rocprim17ROCPRIM_400000_NS6detail17trampoline_kernelINS0_14default_configENS1_25transform_config_selectorIsLb0EEEZNS1_14transform_implILb0ES3_S5_N6thrust23THRUST_200600_302600_NS6detail15normal_iteratorINS8_10device_ptrIsEEEEPsNS0_8identityIsEEEE10hipError_tT2_T3_mT4_P12ihipStream_tbEUlT_E_NS1_11comp_targetILNS1_3genE2ELNS1_11target_archE906ELNS1_3gpuE6ELNS1_3repE0EEENS1_30default_config_static_selectorELNS0_4arch9wavefront6targetE1EEEvT1_
		.amdhsa_group_segment_fixed_size 0
		.amdhsa_private_segment_fixed_size 0
		.amdhsa_kernarg_size 40
		.amdhsa_user_sgpr_count 2
		.amdhsa_user_sgpr_dispatch_ptr 0
		.amdhsa_user_sgpr_queue_ptr 0
		.amdhsa_user_sgpr_kernarg_segment_ptr 1
		.amdhsa_user_sgpr_dispatch_id 0
		.amdhsa_user_sgpr_kernarg_preload_length 0
		.amdhsa_user_sgpr_kernarg_preload_offset 0
		.amdhsa_user_sgpr_private_segment_size 0
		.amdhsa_uses_dynamic_stack 0
		.amdhsa_enable_private_segment 0
		.amdhsa_system_sgpr_workgroup_id_x 1
		.amdhsa_system_sgpr_workgroup_id_y 0
		.amdhsa_system_sgpr_workgroup_id_z 0
		.amdhsa_system_sgpr_workgroup_info 0
		.amdhsa_system_vgpr_workitem_id 0
		.amdhsa_next_free_vgpr 1
		.amdhsa_next_free_sgpr 0
		.amdhsa_accum_offset 4
		.amdhsa_reserve_vcc 0
		.amdhsa_float_round_mode_32 0
		.amdhsa_float_round_mode_16_64 0
		.amdhsa_float_denorm_mode_32 3
		.amdhsa_float_denorm_mode_16_64 3
		.amdhsa_dx10_clamp 1
		.amdhsa_ieee_mode 1
		.amdhsa_fp16_overflow 0
		.amdhsa_tg_split 0
		.amdhsa_exception_fp_ieee_invalid_op 0
		.amdhsa_exception_fp_denorm_src 0
		.amdhsa_exception_fp_ieee_div_zero 0
		.amdhsa_exception_fp_ieee_overflow 0
		.amdhsa_exception_fp_ieee_underflow 0
		.amdhsa_exception_fp_ieee_inexact 0
		.amdhsa_exception_int_div_zero 0
	.end_amdhsa_kernel
	.section	.text._ZN7rocprim17ROCPRIM_400000_NS6detail17trampoline_kernelINS0_14default_configENS1_25transform_config_selectorIsLb0EEEZNS1_14transform_implILb0ES3_S5_N6thrust23THRUST_200600_302600_NS6detail15normal_iteratorINS8_10device_ptrIsEEEEPsNS0_8identityIsEEEE10hipError_tT2_T3_mT4_P12ihipStream_tbEUlT_E_NS1_11comp_targetILNS1_3genE2ELNS1_11target_archE906ELNS1_3gpuE6ELNS1_3repE0EEENS1_30default_config_static_selectorELNS0_4arch9wavefront6targetE1EEEvT1_,"axG",@progbits,_ZN7rocprim17ROCPRIM_400000_NS6detail17trampoline_kernelINS0_14default_configENS1_25transform_config_selectorIsLb0EEEZNS1_14transform_implILb0ES3_S5_N6thrust23THRUST_200600_302600_NS6detail15normal_iteratorINS8_10device_ptrIsEEEEPsNS0_8identityIsEEEE10hipError_tT2_T3_mT4_P12ihipStream_tbEUlT_E_NS1_11comp_targetILNS1_3genE2ELNS1_11target_archE906ELNS1_3gpuE6ELNS1_3repE0EEENS1_30default_config_static_selectorELNS0_4arch9wavefront6targetE1EEEvT1_,comdat
.Lfunc_end1945:
	.size	_ZN7rocprim17ROCPRIM_400000_NS6detail17trampoline_kernelINS0_14default_configENS1_25transform_config_selectorIsLb0EEEZNS1_14transform_implILb0ES3_S5_N6thrust23THRUST_200600_302600_NS6detail15normal_iteratorINS8_10device_ptrIsEEEEPsNS0_8identityIsEEEE10hipError_tT2_T3_mT4_P12ihipStream_tbEUlT_E_NS1_11comp_targetILNS1_3genE2ELNS1_11target_archE906ELNS1_3gpuE6ELNS1_3repE0EEENS1_30default_config_static_selectorELNS0_4arch9wavefront6targetE1EEEvT1_, .Lfunc_end1945-_ZN7rocprim17ROCPRIM_400000_NS6detail17trampoline_kernelINS0_14default_configENS1_25transform_config_selectorIsLb0EEEZNS1_14transform_implILb0ES3_S5_N6thrust23THRUST_200600_302600_NS6detail15normal_iteratorINS8_10device_ptrIsEEEEPsNS0_8identityIsEEEE10hipError_tT2_T3_mT4_P12ihipStream_tbEUlT_E_NS1_11comp_targetILNS1_3genE2ELNS1_11target_archE906ELNS1_3gpuE6ELNS1_3repE0EEENS1_30default_config_static_selectorELNS0_4arch9wavefront6targetE1EEEvT1_
                                        ; -- End function
	.section	.AMDGPU.csdata,"",@progbits
; Kernel info:
; codeLenInByte = 0
; NumSgprs: 6
; NumVgprs: 0
; NumAgprs: 0
; TotalNumVgprs: 0
; ScratchSize: 0
; MemoryBound: 0
; FloatMode: 240
; IeeeMode: 1
; LDSByteSize: 0 bytes/workgroup (compile time only)
; SGPRBlocks: 0
; VGPRBlocks: 0
; NumSGPRsForWavesPerEU: 6
; NumVGPRsForWavesPerEU: 1
; AccumOffset: 4
; Occupancy: 8
; WaveLimiterHint : 0
; COMPUTE_PGM_RSRC2:SCRATCH_EN: 0
; COMPUTE_PGM_RSRC2:USER_SGPR: 2
; COMPUTE_PGM_RSRC2:TRAP_HANDLER: 0
; COMPUTE_PGM_RSRC2:TGID_X_EN: 1
; COMPUTE_PGM_RSRC2:TGID_Y_EN: 0
; COMPUTE_PGM_RSRC2:TGID_Z_EN: 0
; COMPUTE_PGM_RSRC2:TIDIG_COMP_CNT: 0
; COMPUTE_PGM_RSRC3_GFX90A:ACCUM_OFFSET: 0
; COMPUTE_PGM_RSRC3_GFX90A:TG_SPLIT: 0
	.section	.text._ZN7rocprim17ROCPRIM_400000_NS6detail17trampoline_kernelINS0_14default_configENS1_25transform_config_selectorIsLb0EEEZNS1_14transform_implILb0ES3_S5_N6thrust23THRUST_200600_302600_NS6detail15normal_iteratorINS8_10device_ptrIsEEEEPsNS0_8identityIsEEEE10hipError_tT2_T3_mT4_P12ihipStream_tbEUlT_E_NS1_11comp_targetILNS1_3genE10ELNS1_11target_archE1201ELNS1_3gpuE5ELNS1_3repE0EEENS1_30default_config_static_selectorELNS0_4arch9wavefront6targetE1EEEvT1_,"axG",@progbits,_ZN7rocprim17ROCPRIM_400000_NS6detail17trampoline_kernelINS0_14default_configENS1_25transform_config_selectorIsLb0EEEZNS1_14transform_implILb0ES3_S5_N6thrust23THRUST_200600_302600_NS6detail15normal_iteratorINS8_10device_ptrIsEEEEPsNS0_8identityIsEEEE10hipError_tT2_T3_mT4_P12ihipStream_tbEUlT_E_NS1_11comp_targetILNS1_3genE10ELNS1_11target_archE1201ELNS1_3gpuE5ELNS1_3repE0EEENS1_30default_config_static_selectorELNS0_4arch9wavefront6targetE1EEEvT1_,comdat
	.protected	_ZN7rocprim17ROCPRIM_400000_NS6detail17trampoline_kernelINS0_14default_configENS1_25transform_config_selectorIsLb0EEEZNS1_14transform_implILb0ES3_S5_N6thrust23THRUST_200600_302600_NS6detail15normal_iteratorINS8_10device_ptrIsEEEEPsNS0_8identityIsEEEE10hipError_tT2_T3_mT4_P12ihipStream_tbEUlT_E_NS1_11comp_targetILNS1_3genE10ELNS1_11target_archE1201ELNS1_3gpuE5ELNS1_3repE0EEENS1_30default_config_static_selectorELNS0_4arch9wavefront6targetE1EEEvT1_ ; -- Begin function _ZN7rocprim17ROCPRIM_400000_NS6detail17trampoline_kernelINS0_14default_configENS1_25transform_config_selectorIsLb0EEEZNS1_14transform_implILb0ES3_S5_N6thrust23THRUST_200600_302600_NS6detail15normal_iteratorINS8_10device_ptrIsEEEEPsNS0_8identityIsEEEE10hipError_tT2_T3_mT4_P12ihipStream_tbEUlT_E_NS1_11comp_targetILNS1_3genE10ELNS1_11target_archE1201ELNS1_3gpuE5ELNS1_3repE0EEENS1_30default_config_static_selectorELNS0_4arch9wavefront6targetE1EEEvT1_
	.globl	_ZN7rocprim17ROCPRIM_400000_NS6detail17trampoline_kernelINS0_14default_configENS1_25transform_config_selectorIsLb0EEEZNS1_14transform_implILb0ES3_S5_N6thrust23THRUST_200600_302600_NS6detail15normal_iteratorINS8_10device_ptrIsEEEEPsNS0_8identityIsEEEE10hipError_tT2_T3_mT4_P12ihipStream_tbEUlT_E_NS1_11comp_targetILNS1_3genE10ELNS1_11target_archE1201ELNS1_3gpuE5ELNS1_3repE0EEENS1_30default_config_static_selectorELNS0_4arch9wavefront6targetE1EEEvT1_
	.p2align	8
	.type	_ZN7rocprim17ROCPRIM_400000_NS6detail17trampoline_kernelINS0_14default_configENS1_25transform_config_selectorIsLb0EEEZNS1_14transform_implILb0ES3_S5_N6thrust23THRUST_200600_302600_NS6detail15normal_iteratorINS8_10device_ptrIsEEEEPsNS0_8identityIsEEEE10hipError_tT2_T3_mT4_P12ihipStream_tbEUlT_E_NS1_11comp_targetILNS1_3genE10ELNS1_11target_archE1201ELNS1_3gpuE5ELNS1_3repE0EEENS1_30default_config_static_selectorELNS0_4arch9wavefront6targetE1EEEvT1_,@function
_ZN7rocprim17ROCPRIM_400000_NS6detail17trampoline_kernelINS0_14default_configENS1_25transform_config_selectorIsLb0EEEZNS1_14transform_implILb0ES3_S5_N6thrust23THRUST_200600_302600_NS6detail15normal_iteratorINS8_10device_ptrIsEEEEPsNS0_8identityIsEEEE10hipError_tT2_T3_mT4_P12ihipStream_tbEUlT_E_NS1_11comp_targetILNS1_3genE10ELNS1_11target_archE1201ELNS1_3gpuE5ELNS1_3repE0EEENS1_30default_config_static_selectorELNS0_4arch9wavefront6targetE1EEEvT1_: ; @_ZN7rocprim17ROCPRIM_400000_NS6detail17trampoline_kernelINS0_14default_configENS1_25transform_config_selectorIsLb0EEEZNS1_14transform_implILb0ES3_S5_N6thrust23THRUST_200600_302600_NS6detail15normal_iteratorINS8_10device_ptrIsEEEEPsNS0_8identityIsEEEE10hipError_tT2_T3_mT4_P12ihipStream_tbEUlT_E_NS1_11comp_targetILNS1_3genE10ELNS1_11target_archE1201ELNS1_3gpuE5ELNS1_3repE0EEENS1_30default_config_static_selectorELNS0_4arch9wavefront6targetE1EEEvT1_
; %bb.0:
	.section	.rodata,"a",@progbits
	.p2align	6, 0x0
	.amdhsa_kernel _ZN7rocprim17ROCPRIM_400000_NS6detail17trampoline_kernelINS0_14default_configENS1_25transform_config_selectorIsLb0EEEZNS1_14transform_implILb0ES3_S5_N6thrust23THRUST_200600_302600_NS6detail15normal_iteratorINS8_10device_ptrIsEEEEPsNS0_8identityIsEEEE10hipError_tT2_T3_mT4_P12ihipStream_tbEUlT_E_NS1_11comp_targetILNS1_3genE10ELNS1_11target_archE1201ELNS1_3gpuE5ELNS1_3repE0EEENS1_30default_config_static_selectorELNS0_4arch9wavefront6targetE1EEEvT1_
		.amdhsa_group_segment_fixed_size 0
		.amdhsa_private_segment_fixed_size 0
		.amdhsa_kernarg_size 40
		.amdhsa_user_sgpr_count 2
		.amdhsa_user_sgpr_dispatch_ptr 0
		.amdhsa_user_sgpr_queue_ptr 0
		.amdhsa_user_sgpr_kernarg_segment_ptr 1
		.amdhsa_user_sgpr_dispatch_id 0
		.amdhsa_user_sgpr_kernarg_preload_length 0
		.amdhsa_user_sgpr_kernarg_preload_offset 0
		.amdhsa_user_sgpr_private_segment_size 0
		.amdhsa_uses_dynamic_stack 0
		.amdhsa_enable_private_segment 0
		.amdhsa_system_sgpr_workgroup_id_x 1
		.amdhsa_system_sgpr_workgroup_id_y 0
		.amdhsa_system_sgpr_workgroup_id_z 0
		.amdhsa_system_sgpr_workgroup_info 0
		.amdhsa_system_vgpr_workitem_id 0
		.amdhsa_next_free_vgpr 1
		.amdhsa_next_free_sgpr 0
		.amdhsa_accum_offset 4
		.amdhsa_reserve_vcc 0
		.amdhsa_float_round_mode_32 0
		.amdhsa_float_round_mode_16_64 0
		.amdhsa_float_denorm_mode_32 3
		.amdhsa_float_denorm_mode_16_64 3
		.amdhsa_dx10_clamp 1
		.amdhsa_ieee_mode 1
		.amdhsa_fp16_overflow 0
		.amdhsa_tg_split 0
		.amdhsa_exception_fp_ieee_invalid_op 0
		.amdhsa_exception_fp_denorm_src 0
		.amdhsa_exception_fp_ieee_div_zero 0
		.amdhsa_exception_fp_ieee_overflow 0
		.amdhsa_exception_fp_ieee_underflow 0
		.amdhsa_exception_fp_ieee_inexact 0
		.amdhsa_exception_int_div_zero 0
	.end_amdhsa_kernel
	.section	.text._ZN7rocprim17ROCPRIM_400000_NS6detail17trampoline_kernelINS0_14default_configENS1_25transform_config_selectorIsLb0EEEZNS1_14transform_implILb0ES3_S5_N6thrust23THRUST_200600_302600_NS6detail15normal_iteratorINS8_10device_ptrIsEEEEPsNS0_8identityIsEEEE10hipError_tT2_T3_mT4_P12ihipStream_tbEUlT_E_NS1_11comp_targetILNS1_3genE10ELNS1_11target_archE1201ELNS1_3gpuE5ELNS1_3repE0EEENS1_30default_config_static_selectorELNS0_4arch9wavefront6targetE1EEEvT1_,"axG",@progbits,_ZN7rocprim17ROCPRIM_400000_NS6detail17trampoline_kernelINS0_14default_configENS1_25transform_config_selectorIsLb0EEEZNS1_14transform_implILb0ES3_S5_N6thrust23THRUST_200600_302600_NS6detail15normal_iteratorINS8_10device_ptrIsEEEEPsNS0_8identityIsEEEE10hipError_tT2_T3_mT4_P12ihipStream_tbEUlT_E_NS1_11comp_targetILNS1_3genE10ELNS1_11target_archE1201ELNS1_3gpuE5ELNS1_3repE0EEENS1_30default_config_static_selectorELNS0_4arch9wavefront6targetE1EEEvT1_,comdat
.Lfunc_end1946:
	.size	_ZN7rocprim17ROCPRIM_400000_NS6detail17trampoline_kernelINS0_14default_configENS1_25transform_config_selectorIsLb0EEEZNS1_14transform_implILb0ES3_S5_N6thrust23THRUST_200600_302600_NS6detail15normal_iteratorINS8_10device_ptrIsEEEEPsNS0_8identityIsEEEE10hipError_tT2_T3_mT4_P12ihipStream_tbEUlT_E_NS1_11comp_targetILNS1_3genE10ELNS1_11target_archE1201ELNS1_3gpuE5ELNS1_3repE0EEENS1_30default_config_static_selectorELNS0_4arch9wavefront6targetE1EEEvT1_, .Lfunc_end1946-_ZN7rocprim17ROCPRIM_400000_NS6detail17trampoline_kernelINS0_14default_configENS1_25transform_config_selectorIsLb0EEEZNS1_14transform_implILb0ES3_S5_N6thrust23THRUST_200600_302600_NS6detail15normal_iteratorINS8_10device_ptrIsEEEEPsNS0_8identityIsEEEE10hipError_tT2_T3_mT4_P12ihipStream_tbEUlT_E_NS1_11comp_targetILNS1_3genE10ELNS1_11target_archE1201ELNS1_3gpuE5ELNS1_3repE0EEENS1_30default_config_static_selectorELNS0_4arch9wavefront6targetE1EEEvT1_
                                        ; -- End function
	.section	.AMDGPU.csdata,"",@progbits
; Kernel info:
; codeLenInByte = 0
; NumSgprs: 6
; NumVgprs: 0
; NumAgprs: 0
; TotalNumVgprs: 0
; ScratchSize: 0
; MemoryBound: 0
; FloatMode: 240
; IeeeMode: 1
; LDSByteSize: 0 bytes/workgroup (compile time only)
; SGPRBlocks: 0
; VGPRBlocks: 0
; NumSGPRsForWavesPerEU: 6
; NumVGPRsForWavesPerEU: 1
; AccumOffset: 4
; Occupancy: 8
; WaveLimiterHint : 0
; COMPUTE_PGM_RSRC2:SCRATCH_EN: 0
; COMPUTE_PGM_RSRC2:USER_SGPR: 2
; COMPUTE_PGM_RSRC2:TRAP_HANDLER: 0
; COMPUTE_PGM_RSRC2:TGID_X_EN: 1
; COMPUTE_PGM_RSRC2:TGID_Y_EN: 0
; COMPUTE_PGM_RSRC2:TGID_Z_EN: 0
; COMPUTE_PGM_RSRC2:TIDIG_COMP_CNT: 0
; COMPUTE_PGM_RSRC3_GFX90A:ACCUM_OFFSET: 0
; COMPUTE_PGM_RSRC3_GFX90A:TG_SPLIT: 0
	.section	.text._ZN7rocprim17ROCPRIM_400000_NS6detail17trampoline_kernelINS0_14default_configENS1_25transform_config_selectorIsLb0EEEZNS1_14transform_implILb0ES3_S5_N6thrust23THRUST_200600_302600_NS6detail15normal_iteratorINS8_10device_ptrIsEEEEPsNS0_8identityIsEEEE10hipError_tT2_T3_mT4_P12ihipStream_tbEUlT_E_NS1_11comp_targetILNS1_3genE10ELNS1_11target_archE1200ELNS1_3gpuE4ELNS1_3repE0EEENS1_30default_config_static_selectorELNS0_4arch9wavefront6targetE1EEEvT1_,"axG",@progbits,_ZN7rocprim17ROCPRIM_400000_NS6detail17trampoline_kernelINS0_14default_configENS1_25transform_config_selectorIsLb0EEEZNS1_14transform_implILb0ES3_S5_N6thrust23THRUST_200600_302600_NS6detail15normal_iteratorINS8_10device_ptrIsEEEEPsNS0_8identityIsEEEE10hipError_tT2_T3_mT4_P12ihipStream_tbEUlT_E_NS1_11comp_targetILNS1_3genE10ELNS1_11target_archE1200ELNS1_3gpuE4ELNS1_3repE0EEENS1_30default_config_static_selectorELNS0_4arch9wavefront6targetE1EEEvT1_,comdat
	.protected	_ZN7rocprim17ROCPRIM_400000_NS6detail17trampoline_kernelINS0_14default_configENS1_25transform_config_selectorIsLb0EEEZNS1_14transform_implILb0ES3_S5_N6thrust23THRUST_200600_302600_NS6detail15normal_iteratorINS8_10device_ptrIsEEEEPsNS0_8identityIsEEEE10hipError_tT2_T3_mT4_P12ihipStream_tbEUlT_E_NS1_11comp_targetILNS1_3genE10ELNS1_11target_archE1200ELNS1_3gpuE4ELNS1_3repE0EEENS1_30default_config_static_selectorELNS0_4arch9wavefront6targetE1EEEvT1_ ; -- Begin function _ZN7rocprim17ROCPRIM_400000_NS6detail17trampoline_kernelINS0_14default_configENS1_25transform_config_selectorIsLb0EEEZNS1_14transform_implILb0ES3_S5_N6thrust23THRUST_200600_302600_NS6detail15normal_iteratorINS8_10device_ptrIsEEEEPsNS0_8identityIsEEEE10hipError_tT2_T3_mT4_P12ihipStream_tbEUlT_E_NS1_11comp_targetILNS1_3genE10ELNS1_11target_archE1200ELNS1_3gpuE4ELNS1_3repE0EEENS1_30default_config_static_selectorELNS0_4arch9wavefront6targetE1EEEvT1_
	.globl	_ZN7rocprim17ROCPRIM_400000_NS6detail17trampoline_kernelINS0_14default_configENS1_25transform_config_selectorIsLb0EEEZNS1_14transform_implILb0ES3_S5_N6thrust23THRUST_200600_302600_NS6detail15normal_iteratorINS8_10device_ptrIsEEEEPsNS0_8identityIsEEEE10hipError_tT2_T3_mT4_P12ihipStream_tbEUlT_E_NS1_11comp_targetILNS1_3genE10ELNS1_11target_archE1200ELNS1_3gpuE4ELNS1_3repE0EEENS1_30default_config_static_selectorELNS0_4arch9wavefront6targetE1EEEvT1_
	.p2align	8
	.type	_ZN7rocprim17ROCPRIM_400000_NS6detail17trampoline_kernelINS0_14default_configENS1_25transform_config_selectorIsLb0EEEZNS1_14transform_implILb0ES3_S5_N6thrust23THRUST_200600_302600_NS6detail15normal_iteratorINS8_10device_ptrIsEEEEPsNS0_8identityIsEEEE10hipError_tT2_T3_mT4_P12ihipStream_tbEUlT_E_NS1_11comp_targetILNS1_3genE10ELNS1_11target_archE1200ELNS1_3gpuE4ELNS1_3repE0EEENS1_30default_config_static_selectorELNS0_4arch9wavefront6targetE1EEEvT1_,@function
_ZN7rocprim17ROCPRIM_400000_NS6detail17trampoline_kernelINS0_14default_configENS1_25transform_config_selectorIsLb0EEEZNS1_14transform_implILb0ES3_S5_N6thrust23THRUST_200600_302600_NS6detail15normal_iteratorINS8_10device_ptrIsEEEEPsNS0_8identityIsEEEE10hipError_tT2_T3_mT4_P12ihipStream_tbEUlT_E_NS1_11comp_targetILNS1_3genE10ELNS1_11target_archE1200ELNS1_3gpuE4ELNS1_3repE0EEENS1_30default_config_static_selectorELNS0_4arch9wavefront6targetE1EEEvT1_: ; @_ZN7rocprim17ROCPRIM_400000_NS6detail17trampoline_kernelINS0_14default_configENS1_25transform_config_selectorIsLb0EEEZNS1_14transform_implILb0ES3_S5_N6thrust23THRUST_200600_302600_NS6detail15normal_iteratorINS8_10device_ptrIsEEEEPsNS0_8identityIsEEEE10hipError_tT2_T3_mT4_P12ihipStream_tbEUlT_E_NS1_11comp_targetILNS1_3genE10ELNS1_11target_archE1200ELNS1_3gpuE4ELNS1_3repE0EEENS1_30default_config_static_selectorELNS0_4arch9wavefront6targetE1EEEvT1_
; %bb.0:
	.section	.rodata,"a",@progbits
	.p2align	6, 0x0
	.amdhsa_kernel _ZN7rocprim17ROCPRIM_400000_NS6detail17trampoline_kernelINS0_14default_configENS1_25transform_config_selectorIsLb0EEEZNS1_14transform_implILb0ES3_S5_N6thrust23THRUST_200600_302600_NS6detail15normal_iteratorINS8_10device_ptrIsEEEEPsNS0_8identityIsEEEE10hipError_tT2_T3_mT4_P12ihipStream_tbEUlT_E_NS1_11comp_targetILNS1_3genE10ELNS1_11target_archE1200ELNS1_3gpuE4ELNS1_3repE0EEENS1_30default_config_static_selectorELNS0_4arch9wavefront6targetE1EEEvT1_
		.amdhsa_group_segment_fixed_size 0
		.amdhsa_private_segment_fixed_size 0
		.amdhsa_kernarg_size 40
		.amdhsa_user_sgpr_count 2
		.amdhsa_user_sgpr_dispatch_ptr 0
		.amdhsa_user_sgpr_queue_ptr 0
		.amdhsa_user_sgpr_kernarg_segment_ptr 1
		.amdhsa_user_sgpr_dispatch_id 0
		.amdhsa_user_sgpr_kernarg_preload_length 0
		.amdhsa_user_sgpr_kernarg_preload_offset 0
		.amdhsa_user_sgpr_private_segment_size 0
		.amdhsa_uses_dynamic_stack 0
		.amdhsa_enable_private_segment 0
		.amdhsa_system_sgpr_workgroup_id_x 1
		.amdhsa_system_sgpr_workgroup_id_y 0
		.amdhsa_system_sgpr_workgroup_id_z 0
		.amdhsa_system_sgpr_workgroup_info 0
		.amdhsa_system_vgpr_workitem_id 0
		.amdhsa_next_free_vgpr 1
		.amdhsa_next_free_sgpr 0
		.amdhsa_accum_offset 4
		.amdhsa_reserve_vcc 0
		.amdhsa_float_round_mode_32 0
		.amdhsa_float_round_mode_16_64 0
		.amdhsa_float_denorm_mode_32 3
		.amdhsa_float_denorm_mode_16_64 3
		.amdhsa_dx10_clamp 1
		.amdhsa_ieee_mode 1
		.amdhsa_fp16_overflow 0
		.amdhsa_tg_split 0
		.amdhsa_exception_fp_ieee_invalid_op 0
		.amdhsa_exception_fp_denorm_src 0
		.amdhsa_exception_fp_ieee_div_zero 0
		.amdhsa_exception_fp_ieee_overflow 0
		.amdhsa_exception_fp_ieee_underflow 0
		.amdhsa_exception_fp_ieee_inexact 0
		.amdhsa_exception_int_div_zero 0
	.end_amdhsa_kernel
	.section	.text._ZN7rocprim17ROCPRIM_400000_NS6detail17trampoline_kernelINS0_14default_configENS1_25transform_config_selectorIsLb0EEEZNS1_14transform_implILb0ES3_S5_N6thrust23THRUST_200600_302600_NS6detail15normal_iteratorINS8_10device_ptrIsEEEEPsNS0_8identityIsEEEE10hipError_tT2_T3_mT4_P12ihipStream_tbEUlT_E_NS1_11comp_targetILNS1_3genE10ELNS1_11target_archE1200ELNS1_3gpuE4ELNS1_3repE0EEENS1_30default_config_static_selectorELNS0_4arch9wavefront6targetE1EEEvT1_,"axG",@progbits,_ZN7rocprim17ROCPRIM_400000_NS6detail17trampoline_kernelINS0_14default_configENS1_25transform_config_selectorIsLb0EEEZNS1_14transform_implILb0ES3_S5_N6thrust23THRUST_200600_302600_NS6detail15normal_iteratorINS8_10device_ptrIsEEEEPsNS0_8identityIsEEEE10hipError_tT2_T3_mT4_P12ihipStream_tbEUlT_E_NS1_11comp_targetILNS1_3genE10ELNS1_11target_archE1200ELNS1_3gpuE4ELNS1_3repE0EEENS1_30default_config_static_selectorELNS0_4arch9wavefront6targetE1EEEvT1_,comdat
.Lfunc_end1947:
	.size	_ZN7rocprim17ROCPRIM_400000_NS6detail17trampoline_kernelINS0_14default_configENS1_25transform_config_selectorIsLb0EEEZNS1_14transform_implILb0ES3_S5_N6thrust23THRUST_200600_302600_NS6detail15normal_iteratorINS8_10device_ptrIsEEEEPsNS0_8identityIsEEEE10hipError_tT2_T3_mT4_P12ihipStream_tbEUlT_E_NS1_11comp_targetILNS1_3genE10ELNS1_11target_archE1200ELNS1_3gpuE4ELNS1_3repE0EEENS1_30default_config_static_selectorELNS0_4arch9wavefront6targetE1EEEvT1_, .Lfunc_end1947-_ZN7rocprim17ROCPRIM_400000_NS6detail17trampoline_kernelINS0_14default_configENS1_25transform_config_selectorIsLb0EEEZNS1_14transform_implILb0ES3_S5_N6thrust23THRUST_200600_302600_NS6detail15normal_iteratorINS8_10device_ptrIsEEEEPsNS0_8identityIsEEEE10hipError_tT2_T3_mT4_P12ihipStream_tbEUlT_E_NS1_11comp_targetILNS1_3genE10ELNS1_11target_archE1200ELNS1_3gpuE4ELNS1_3repE0EEENS1_30default_config_static_selectorELNS0_4arch9wavefront6targetE1EEEvT1_
                                        ; -- End function
	.section	.AMDGPU.csdata,"",@progbits
; Kernel info:
; codeLenInByte = 0
; NumSgprs: 6
; NumVgprs: 0
; NumAgprs: 0
; TotalNumVgprs: 0
; ScratchSize: 0
; MemoryBound: 0
; FloatMode: 240
; IeeeMode: 1
; LDSByteSize: 0 bytes/workgroup (compile time only)
; SGPRBlocks: 0
; VGPRBlocks: 0
; NumSGPRsForWavesPerEU: 6
; NumVGPRsForWavesPerEU: 1
; AccumOffset: 4
; Occupancy: 8
; WaveLimiterHint : 0
; COMPUTE_PGM_RSRC2:SCRATCH_EN: 0
; COMPUTE_PGM_RSRC2:USER_SGPR: 2
; COMPUTE_PGM_RSRC2:TRAP_HANDLER: 0
; COMPUTE_PGM_RSRC2:TGID_X_EN: 1
; COMPUTE_PGM_RSRC2:TGID_Y_EN: 0
; COMPUTE_PGM_RSRC2:TGID_Z_EN: 0
; COMPUTE_PGM_RSRC2:TIDIG_COMP_CNT: 0
; COMPUTE_PGM_RSRC3_GFX90A:ACCUM_OFFSET: 0
; COMPUTE_PGM_RSRC3_GFX90A:TG_SPLIT: 0
	.section	.text._ZN7rocprim17ROCPRIM_400000_NS6detail17trampoline_kernelINS0_14default_configENS1_25transform_config_selectorIsLb0EEEZNS1_14transform_implILb0ES3_S5_N6thrust23THRUST_200600_302600_NS6detail15normal_iteratorINS8_10device_ptrIsEEEEPsNS0_8identityIsEEEE10hipError_tT2_T3_mT4_P12ihipStream_tbEUlT_E_NS1_11comp_targetILNS1_3genE9ELNS1_11target_archE1100ELNS1_3gpuE3ELNS1_3repE0EEENS1_30default_config_static_selectorELNS0_4arch9wavefront6targetE1EEEvT1_,"axG",@progbits,_ZN7rocprim17ROCPRIM_400000_NS6detail17trampoline_kernelINS0_14default_configENS1_25transform_config_selectorIsLb0EEEZNS1_14transform_implILb0ES3_S5_N6thrust23THRUST_200600_302600_NS6detail15normal_iteratorINS8_10device_ptrIsEEEEPsNS0_8identityIsEEEE10hipError_tT2_T3_mT4_P12ihipStream_tbEUlT_E_NS1_11comp_targetILNS1_3genE9ELNS1_11target_archE1100ELNS1_3gpuE3ELNS1_3repE0EEENS1_30default_config_static_selectorELNS0_4arch9wavefront6targetE1EEEvT1_,comdat
	.protected	_ZN7rocprim17ROCPRIM_400000_NS6detail17trampoline_kernelINS0_14default_configENS1_25transform_config_selectorIsLb0EEEZNS1_14transform_implILb0ES3_S5_N6thrust23THRUST_200600_302600_NS6detail15normal_iteratorINS8_10device_ptrIsEEEEPsNS0_8identityIsEEEE10hipError_tT2_T3_mT4_P12ihipStream_tbEUlT_E_NS1_11comp_targetILNS1_3genE9ELNS1_11target_archE1100ELNS1_3gpuE3ELNS1_3repE0EEENS1_30default_config_static_selectorELNS0_4arch9wavefront6targetE1EEEvT1_ ; -- Begin function _ZN7rocprim17ROCPRIM_400000_NS6detail17trampoline_kernelINS0_14default_configENS1_25transform_config_selectorIsLb0EEEZNS1_14transform_implILb0ES3_S5_N6thrust23THRUST_200600_302600_NS6detail15normal_iteratorINS8_10device_ptrIsEEEEPsNS0_8identityIsEEEE10hipError_tT2_T3_mT4_P12ihipStream_tbEUlT_E_NS1_11comp_targetILNS1_3genE9ELNS1_11target_archE1100ELNS1_3gpuE3ELNS1_3repE0EEENS1_30default_config_static_selectorELNS0_4arch9wavefront6targetE1EEEvT1_
	.globl	_ZN7rocprim17ROCPRIM_400000_NS6detail17trampoline_kernelINS0_14default_configENS1_25transform_config_selectorIsLb0EEEZNS1_14transform_implILb0ES3_S5_N6thrust23THRUST_200600_302600_NS6detail15normal_iteratorINS8_10device_ptrIsEEEEPsNS0_8identityIsEEEE10hipError_tT2_T3_mT4_P12ihipStream_tbEUlT_E_NS1_11comp_targetILNS1_3genE9ELNS1_11target_archE1100ELNS1_3gpuE3ELNS1_3repE0EEENS1_30default_config_static_selectorELNS0_4arch9wavefront6targetE1EEEvT1_
	.p2align	8
	.type	_ZN7rocprim17ROCPRIM_400000_NS6detail17trampoline_kernelINS0_14default_configENS1_25transform_config_selectorIsLb0EEEZNS1_14transform_implILb0ES3_S5_N6thrust23THRUST_200600_302600_NS6detail15normal_iteratorINS8_10device_ptrIsEEEEPsNS0_8identityIsEEEE10hipError_tT2_T3_mT4_P12ihipStream_tbEUlT_E_NS1_11comp_targetILNS1_3genE9ELNS1_11target_archE1100ELNS1_3gpuE3ELNS1_3repE0EEENS1_30default_config_static_selectorELNS0_4arch9wavefront6targetE1EEEvT1_,@function
_ZN7rocprim17ROCPRIM_400000_NS6detail17trampoline_kernelINS0_14default_configENS1_25transform_config_selectorIsLb0EEEZNS1_14transform_implILb0ES3_S5_N6thrust23THRUST_200600_302600_NS6detail15normal_iteratorINS8_10device_ptrIsEEEEPsNS0_8identityIsEEEE10hipError_tT2_T3_mT4_P12ihipStream_tbEUlT_E_NS1_11comp_targetILNS1_3genE9ELNS1_11target_archE1100ELNS1_3gpuE3ELNS1_3repE0EEENS1_30default_config_static_selectorELNS0_4arch9wavefront6targetE1EEEvT1_: ; @_ZN7rocprim17ROCPRIM_400000_NS6detail17trampoline_kernelINS0_14default_configENS1_25transform_config_selectorIsLb0EEEZNS1_14transform_implILb0ES3_S5_N6thrust23THRUST_200600_302600_NS6detail15normal_iteratorINS8_10device_ptrIsEEEEPsNS0_8identityIsEEEE10hipError_tT2_T3_mT4_P12ihipStream_tbEUlT_E_NS1_11comp_targetILNS1_3genE9ELNS1_11target_archE1100ELNS1_3gpuE3ELNS1_3repE0EEENS1_30default_config_static_selectorELNS0_4arch9wavefront6targetE1EEEvT1_
; %bb.0:
	.section	.rodata,"a",@progbits
	.p2align	6, 0x0
	.amdhsa_kernel _ZN7rocprim17ROCPRIM_400000_NS6detail17trampoline_kernelINS0_14default_configENS1_25transform_config_selectorIsLb0EEEZNS1_14transform_implILb0ES3_S5_N6thrust23THRUST_200600_302600_NS6detail15normal_iteratorINS8_10device_ptrIsEEEEPsNS0_8identityIsEEEE10hipError_tT2_T3_mT4_P12ihipStream_tbEUlT_E_NS1_11comp_targetILNS1_3genE9ELNS1_11target_archE1100ELNS1_3gpuE3ELNS1_3repE0EEENS1_30default_config_static_selectorELNS0_4arch9wavefront6targetE1EEEvT1_
		.amdhsa_group_segment_fixed_size 0
		.amdhsa_private_segment_fixed_size 0
		.amdhsa_kernarg_size 40
		.amdhsa_user_sgpr_count 2
		.amdhsa_user_sgpr_dispatch_ptr 0
		.amdhsa_user_sgpr_queue_ptr 0
		.amdhsa_user_sgpr_kernarg_segment_ptr 1
		.amdhsa_user_sgpr_dispatch_id 0
		.amdhsa_user_sgpr_kernarg_preload_length 0
		.amdhsa_user_sgpr_kernarg_preload_offset 0
		.amdhsa_user_sgpr_private_segment_size 0
		.amdhsa_uses_dynamic_stack 0
		.amdhsa_enable_private_segment 0
		.amdhsa_system_sgpr_workgroup_id_x 1
		.amdhsa_system_sgpr_workgroup_id_y 0
		.amdhsa_system_sgpr_workgroup_id_z 0
		.amdhsa_system_sgpr_workgroup_info 0
		.amdhsa_system_vgpr_workitem_id 0
		.amdhsa_next_free_vgpr 1
		.amdhsa_next_free_sgpr 0
		.amdhsa_accum_offset 4
		.amdhsa_reserve_vcc 0
		.amdhsa_float_round_mode_32 0
		.amdhsa_float_round_mode_16_64 0
		.amdhsa_float_denorm_mode_32 3
		.amdhsa_float_denorm_mode_16_64 3
		.amdhsa_dx10_clamp 1
		.amdhsa_ieee_mode 1
		.amdhsa_fp16_overflow 0
		.amdhsa_tg_split 0
		.amdhsa_exception_fp_ieee_invalid_op 0
		.amdhsa_exception_fp_denorm_src 0
		.amdhsa_exception_fp_ieee_div_zero 0
		.amdhsa_exception_fp_ieee_overflow 0
		.amdhsa_exception_fp_ieee_underflow 0
		.amdhsa_exception_fp_ieee_inexact 0
		.amdhsa_exception_int_div_zero 0
	.end_amdhsa_kernel
	.section	.text._ZN7rocprim17ROCPRIM_400000_NS6detail17trampoline_kernelINS0_14default_configENS1_25transform_config_selectorIsLb0EEEZNS1_14transform_implILb0ES3_S5_N6thrust23THRUST_200600_302600_NS6detail15normal_iteratorINS8_10device_ptrIsEEEEPsNS0_8identityIsEEEE10hipError_tT2_T3_mT4_P12ihipStream_tbEUlT_E_NS1_11comp_targetILNS1_3genE9ELNS1_11target_archE1100ELNS1_3gpuE3ELNS1_3repE0EEENS1_30default_config_static_selectorELNS0_4arch9wavefront6targetE1EEEvT1_,"axG",@progbits,_ZN7rocprim17ROCPRIM_400000_NS6detail17trampoline_kernelINS0_14default_configENS1_25transform_config_selectorIsLb0EEEZNS1_14transform_implILb0ES3_S5_N6thrust23THRUST_200600_302600_NS6detail15normal_iteratorINS8_10device_ptrIsEEEEPsNS0_8identityIsEEEE10hipError_tT2_T3_mT4_P12ihipStream_tbEUlT_E_NS1_11comp_targetILNS1_3genE9ELNS1_11target_archE1100ELNS1_3gpuE3ELNS1_3repE0EEENS1_30default_config_static_selectorELNS0_4arch9wavefront6targetE1EEEvT1_,comdat
.Lfunc_end1948:
	.size	_ZN7rocprim17ROCPRIM_400000_NS6detail17trampoline_kernelINS0_14default_configENS1_25transform_config_selectorIsLb0EEEZNS1_14transform_implILb0ES3_S5_N6thrust23THRUST_200600_302600_NS6detail15normal_iteratorINS8_10device_ptrIsEEEEPsNS0_8identityIsEEEE10hipError_tT2_T3_mT4_P12ihipStream_tbEUlT_E_NS1_11comp_targetILNS1_3genE9ELNS1_11target_archE1100ELNS1_3gpuE3ELNS1_3repE0EEENS1_30default_config_static_selectorELNS0_4arch9wavefront6targetE1EEEvT1_, .Lfunc_end1948-_ZN7rocprim17ROCPRIM_400000_NS6detail17trampoline_kernelINS0_14default_configENS1_25transform_config_selectorIsLb0EEEZNS1_14transform_implILb0ES3_S5_N6thrust23THRUST_200600_302600_NS6detail15normal_iteratorINS8_10device_ptrIsEEEEPsNS0_8identityIsEEEE10hipError_tT2_T3_mT4_P12ihipStream_tbEUlT_E_NS1_11comp_targetILNS1_3genE9ELNS1_11target_archE1100ELNS1_3gpuE3ELNS1_3repE0EEENS1_30default_config_static_selectorELNS0_4arch9wavefront6targetE1EEEvT1_
                                        ; -- End function
	.section	.AMDGPU.csdata,"",@progbits
; Kernel info:
; codeLenInByte = 0
; NumSgprs: 6
; NumVgprs: 0
; NumAgprs: 0
; TotalNumVgprs: 0
; ScratchSize: 0
; MemoryBound: 0
; FloatMode: 240
; IeeeMode: 1
; LDSByteSize: 0 bytes/workgroup (compile time only)
; SGPRBlocks: 0
; VGPRBlocks: 0
; NumSGPRsForWavesPerEU: 6
; NumVGPRsForWavesPerEU: 1
; AccumOffset: 4
; Occupancy: 8
; WaveLimiterHint : 0
; COMPUTE_PGM_RSRC2:SCRATCH_EN: 0
; COMPUTE_PGM_RSRC2:USER_SGPR: 2
; COMPUTE_PGM_RSRC2:TRAP_HANDLER: 0
; COMPUTE_PGM_RSRC2:TGID_X_EN: 1
; COMPUTE_PGM_RSRC2:TGID_Y_EN: 0
; COMPUTE_PGM_RSRC2:TGID_Z_EN: 0
; COMPUTE_PGM_RSRC2:TIDIG_COMP_CNT: 0
; COMPUTE_PGM_RSRC3_GFX90A:ACCUM_OFFSET: 0
; COMPUTE_PGM_RSRC3_GFX90A:TG_SPLIT: 0
	.section	.text._ZN7rocprim17ROCPRIM_400000_NS6detail17trampoline_kernelINS0_14default_configENS1_25transform_config_selectorIsLb0EEEZNS1_14transform_implILb0ES3_S5_N6thrust23THRUST_200600_302600_NS6detail15normal_iteratorINS8_10device_ptrIsEEEEPsNS0_8identityIsEEEE10hipError_tT2_T3_mT4_P12ihipStream_tbEUlT_E_NS1_11comp_targetILNS1_3genE8ELNS1_11target_archE1030ELNS1_3gpuE2ELNS1_3repE0EEENS1_30default_config_static_selectorELNS0_4arch9wavefront6targetE1EEEvT1_,"axG",@progbits,_ZN7rocprim17ROCPRIM_400000_NS6detail17trampoline_kernelINS0_14default_configENS1_25transform_config_selectorIsLb0EEEZNS1_14transform_implILb0ES3_S5_N6thrust23THRUST_200600_302600_NS6detail15normal_iteratorINS8_10device_ptrIsEEEEPsNS0_8identityIsEEEE10hipError_tT2_T3_mT4_P12ihipStream_tbEUlT_E_NS1_11comp_targetILNS1_3genE8ELNS1_11target_archE1030ELNS1_3gpuE2ELNS1_3repE0EEENS1_30default_config_static_selectorELNS0_4arch9wavefront6targetE1EEEvT1_,comdat
	.protected	_ZN7rocprim17ROCPRIM_400000_NS6detail17trampoline_kernelINS0_14default_configENS1_25transform_config_selectorIsLb0EEEZNS1_14transform_implILb0ES3_S5_N6thrust23THRUST_200600_302600_NS6detail15normal_iteratorINS8_10device_ptrIsEEEEPsNS0_8identityIsEEEE10hipError_tT2_T3_mT4_P12ihipStream_tbEUlT_E_NS1_11comp_targetILNS1_3genE8ELNS1_11target_archE1030ELNS1_3gpuE2ELNS1_3repE0EEENS1_30default_config_static_selectorELNS0_4arch9wavefront6targetE1EEEvT1_ ; -- Begin function _ZN7rocprim17ROCPRIM_400000_NS6detail17trampoline_kernelINS0_14default_configENS1_25transform_config_selectorIsLb0EEEZNS1_14transform_implILb0ES3_S5_N6thrust23THRUST_200600_302600_NS6detail15normal_iteratorINS8_10device_ptrIsEEEEPsNS0_8identityIsEEEE10hipError_tT2_T3_mT4_P12ihipStream_tbEUlT_E_NS1_11comp_targetILNS1_3genE8ELNS1_11target_archE1030ELNS1_3gpuE2ELNS1_3repE0EEENS1_30default_config_static_selectorELNS0_4arch9wavefront6targetE1EEEvT1_
	.globl	_ZN7rocprim17ROCPRIM_400000_NS6detail17trampoline_kernelINS0_14default_configENS1_25transform_config_selectorIsLb0EEEZNS1_14transform_implILb0ES3_S5_N6thrust23THRUST_200600_302600_NS6detail15normal_iteratorINS8_10device_ptrIsEEEEPsNS0_8identityIsEEEE10hipError_tT2_T3_mT4_P12ihipStream_tbEUlT_E_NS1_11comp_targetILNS1_3genE8ELNS1_11target_archE1030ELNS1_3gpuE2ELNS1_3repE0EEENS1_30default_config_static_selectorELNS0_4arch9wavefront6targetE1EEEvT1_
	.p2align	8
	.type	_ZN7rocprim17ROCPRIM_400000_NS6detail17trampoline_kernelINS0_14default_configENS1_25transform_config_selectorIsLb0EEEZNS1_14transform_implILb0ES3_S5_N6thrust23THRUST_200600_302600_NS6detail15normal_iteratorINS8_10device_ptrIsEEEEPsNS0_8identityIsEEEE10hipError_tT2_T3_mT4_P12ihipStream_tbEUlT_E_NS1_11comp_targetILNS1_3genE8ELNS1_11target_archE1030ELNS1_3gpuE2ELNS1_3repE0EEENS1_30default_config_static_selectorELNS0_4arch9wavefront6targetE1EEEvT1_,@function
_ZN7rocprim17ROCPRIM_400000_NS6detail17trampoline_kernelINS0_14default_configENS1_25transform_config_selectorIsLb0EEEZNS1_14transform_implILb0ES3_S5_N6thrust23THRUST_200600_302600_NS6detail15normal_iteratorINS8_10device_ptrIsEEEEPsNS0_8identityIsEEEE10hipError_tT2_T3_mT4_P12ihipStream_tbEUlT_E_NS1_11comp_targetILNS1_3genE8ELNS1_11target_archE1030ELNS1_3gpuE2ELNS1_3repE0EEENS1_30default_config_static_selectorELNS0_4arch9wavefront6targetE1EEEvT1_: ; @_ZN7rocprim17ROCPRIM_400000_NS6detail17trampoline_kernelINS0_14default_configENS1_25transform_config_selectorIsLb0EEEZNS1_14transform_implILb0ES3_S5_N6thrust23THRUST_200600_302600_NS6detail15normal_iteratorINS8_10device_ptrIsEEEEPsNS0_8identityIsEEEE10hipError_tT2_T3_mT4_P12ihipStream_tbEUlT_E_NS1_11comp_targetILNS1_3genE8ELNS1_11target_archE1030ELNS1_3gpuE2ELNS1_3repE0EEENS1_30default_config_static_selectorELNS0_4arch9wavefront6targetE1EEEvT1_
; %bb.0:
	.section	.rodata,"a",@progbits
	.p2align	6, 0x0
	.amdhsa_kernel _ZN7rocprim17ROCPRIM_400000_NS6detail17trampoline_kernelINS0_14default_configENS1_25transform_config_selectorIsLb0EEEZNS1_14transform_implILb0ES3_S5_N6thrust23THRUST_200600_302600_NS6detail15normal_iteratorINS8_10device_ptrIsEEEEPsNS0_8identityIsEEEE10hipError_tT2_T3_mT4_P12ihipStream_tbEUlT_E_NS1_11comp_targetILNS1_3genE8ELNS1_11target_archE1030ELNS1_3gpuE2ELNS1_3repE0EEENS1_30default_config_static_selectorELNS0_4arch9wavefront6targetE1EEEvT1_
		.amdhsa_group_segment_fixed_size 0
		.amdhsa_private_segment_fixed_size 0
		.amdhsa_kernarg_size 40
		.amdhsa_user_sgpr_count 2
		.amdhsa_user_sgpr_dispatch_ptr 0
		.amdhsa_user_sgpr_queue_ptr 0
		.amdhsa_user_sgpr_kernarg_segment_ptr 1
		.amdhsa_user_sgpr_dispatch_id 0
		.amdhsa_user_sgpr_kernarg_preload_length 0
		.amdhsa_user_sgpr_kernarg_preload_offset 0
		.amdhsa_user_sgpr_private_segment_size 0
		.amdhsa_uses_dynamic_stack 0
		.amdhsa_enable_private_segment 0
		.amdhsa_system_sgpr_workgroup_id_x 1
		.amdhsa_system_sgpr_workgroup_id_y 0
		.amdhsa_system_sgpr_workgroup_id_z 0
		.amdhsa_system_sgpr_workgroup_info 0
		.amdhsa_system_vgpr_workitem_id 0
		.amdhsa_next_free_vgpr 1
		.amdhsa_next_free_sgpr 0
		.amdhsa_accum_offset 4
		.amdhsa_reserve_vcc 0
		.amdhsa_float_round_mode_32 0
		.amdhsa_float_round_mode_16_64 0
		.amdhsa_float_denorm_mode_32 3
		.amdhsa_float_denorm_mode_16_64 3
		.amdhsa_dx10_clamp 1
		.amdhsa_ieee_mode 1
		.amdhsa_fp16_overflow 0
		.amdhsa_tg_split 0
		.amdhsa_exception_fp_ieee_invalid_op 0
		.amdhsa_exception_fp_denorm_src 0
		.amdhsa_exception_fp_ieee_div_zero 0
		.amdhsa_exception_fp_ieee_overflow 0
		.amdhsa_exception_fp_ieee_underflow 0
		.amdhsa_exception_fp_ieee_inexact 0
		.amdhsa_exception_int_div_zero 0
	.end_amdhsa_kernel
	.section	.text._ZN7rocprim17ROCPRIM_400000_NS6detail17trampoline_kernelINS0_14default_configENS1_25transform_config_selectorIsLb0EEEZNS1_14transform_implILb0ES3_S5_N6thrust23THRUST_200600_302600_NS6detail15normal_iteratorINS8_10device_ptrIsEEEEPsNS0_8identityIsEEEE10hipError_tT2_T3_mT4_P12ihipStream_tbEUlT_E_NS1_11comp_targetILNS1_3genE8ELNS1_11target_archE1030ELNS1_3gpuE2ELNS1_3repE0EEENS1_30default_config_static_selectorELNS0_4arch9wavefront6targetE1EEEvT1_,"axG",@progbits,_ZN7rocprim17ROCPRIM_400000_NS6detail17trampoline_kernelINS0_14default_configENS1_25transform_config_selectorIsLb0EEEZNS1_14transform_implILb0ES3_S5_N6thrust23THRUST_200600_302600_NS6detail15normal_iteratorINS8_10device_ptrIsEEEEPsNS0_8identityIsEEEE10hipError_tT2_T3_mT4_P12ihipStream_tbEUlT_E_NS1_11comp_targetILNS1_3genE8ELNS1_11target_archE1030ELNS1_3gpuE2ELNS1_3repE0EEENS1_30default_config_static_selectorELNS0_4arch9wavefront6targetE1EEEvT1_,comdat
.Lfunc_end1949:
	.size	_ZN7rocprim17ROCPRIM_400000_NS6detail17trampoline_kernelINS0_14default_configENS1_25transform_config_selectorIsLb0EEEZNS1_14transform_implILb0ES3_S5_N6thrust23THRUST_200600_302600_NS6detail15normal_iteratorINS8_10device_ptrIsEEEEPsNS0_8identityIsEEEE10hipError_tT2_T3_mT4_P12ihipStream_tbEUlT_E_NS1_11comp_targetILNS1_3genE8ELNS1_11target_archE1030ELNS1_3gpuE2ELNS1_3repE0EEENS1_30default_config_static_selectorELNS0_4arch9wavefront6targetE1EEEvT1_, .Lfunc_end1949-_ZN7rocprim17ROCPRIM_400000_NS6detail17trampoline_kernelINS0_14default_configENS1_25transform_config_selectorIsLb0EEEZNS1_14transform_implILb0ES3_S5_N6thrust23THRUST_200600_302600_NS6detail15normal_iteratorINS8_10device_ptrIsEEEEPsNS0_8identityIsEEEE10hipError_tT2_T3_mT4_P12ihipStream_tbEUlT_E_NS1_11comp_targetILNS1_3genE8ELNS1_11target_archE1030ELNS1_3gpuE2ELNS1_3repE0EEENS1_30default_config_static_selectorELNS0_4arch9wavefront6targetE1EEEvT1_
                                        ; -- End function
	.section	.AMDGPU.csdata,"",@progbits
; Kernel info:
; codeLenInByte = 0
; NumSgprs: 6
; NumVgprs: 0
; NumAgprs: 0
; TotalNumVgprs: 0
; ScratchSize: 0
; MemoryBound: 0
; FloatMode: 240
; IeeeMode: 1
; LDSByteSize: 0 bytes/workgroup (compile time only)
; SGPRBlocks: 0
; VGPRBlocks: 0
; NumSGPRsForWavesPerEU: 6
; NumVGPRsForWavesPerEU: 1
; AccumOffset: 4
; Occupancy: 8
; WaveLimiterHint : 0
; COMPUTE_PGM_RSRC2:SCRATCH_EN: 0
; COMPUTE_PGM_RSRC2:USER_SGPR: 2
; COMPUTE_PGM_RSRC2:TRAP_HANDLER: 0
; COMPUTE_PGM_RSRC2:TGID_X_EN: 1
; COMPUTE_PGM_RSRC2:TGID_Y_EN: 0
; COMPUTE_PGM_RSRC2:TGID_Z_EN: 0
; COMPUTE_PGM_RSRC2:TIDIG_COMP_CNT: 0
; COMPUTE_PGM_RSRC3_GFX90A:ACCUM_OFFSET: 0
; COMPUTE_PGM_RSRC3_GFX90A:TG_SPLIT: 0
	.section	.text._ZN7rocprim17ROCPRIM_400000_NS6detail17trampoline_kernelINS0_14default_configENS1_35radix_sort_onesweep_config_selectorIsNS0_10empty_typeEEEZZNS1_29radix_sort_onesweep_iterationIS3_Lb0EN6thrust23THRUST_200600_302600_NS6detail15normal_iteratorINS9_10device_ptrIsEEEESE_PS5_SF_jNS0_19identity_decomposerENS1_16block_id_wrapperIjLb1EEEEE10hipError_tT1_PNSt15iterator_traitsISK_E10value_typeET2_T3_PNSL_ISQ_E10value_typeET4_T5_PSV_SW_PNS1_23onesweep_lookback_stateEbbT6_jjT7_P12ihipStream_tbENKUlT_T0_SK_SP_E_clISE_SE_SF_SF_EEDaS13_S14_SK_SP_EUlS13_E_NS1_11comp_targetILNS1_3genE0ELNS1_11target_archE4294967295ELNS1_3gpuE0ELNS1_3repE0EEENS1_47radix_sort_onesweep_sort_config_static_selectorELNS0_4arch9wavefront6targetE1EEEvSK_,"axG",@progbits,_ZN7rocprim17ROCPRIM_400000_NS6detail17trampoline_kernelINS0_14default_configENS1_35radix_sort_onesweep_config_selectorIsNS0_10empty_typeEEEZZNS1_29radix_sort_onesweep_iterationIS3_Lb0EN6thrust23THRUST_200600_302600_NS6detail15normal_iteratorINS9_10device_ptrIsEEEESE_PS5_SF_jNS0_19identity_decomposerENS1_16block_id_wrapperIjLb1EEEEE10hipError_tT1_PNSt15iterator_traitsISK_E10value_typeET2_T3_PNSL_ISQ_E10value_typeET4_T5_PSV_SW_PNS1_23onesweep_lookback_stateEbbT6_jjT7_P12ihipStream_tbENKUlT_T0_SK_SP_E_clISE_SE_SF_SF_EEDaS13_S14_SK_SP_EUlS13_E_NS1_11comp_targetILNS1_3genE0ELNS1_11target_archE4294967295ELNS1_3gpuE0ELNS1_3repE0EEENS1_47radix_sort_onesweep_sort_config_static_selectorELNS0_4arch9wavefront6targetE1EEEvSK_,comdat
	.protected	_ZN7rocprim17ROCPRIM_400000_NS6detail17trampoline_kernelINS0_14default_configENS1_35radix_sort_onesweep_config_selectorIsNS0_10empty_typeEEEZZNS1_29radix_sort_onesweep_iterationIS3_Lb0EN6thrust23THRUST_200600_302600_NS6detail15normal_iteratorINS9_10device_ptrIsEEEESE_PS5_SF_jNS0_19identity_decomposerENS1_16block_id_wrapperIjLb1EEEEE10hipError_tT1_PNSt15iterator_traitsISK_E10value_typeET2_T3_PNSL_ISQ_E10value_typeET4_T5_PSV_SW_PNS1_23onesweep_lookback_stateEbbT6_jjT7_P12ihipStream_tbENKUlT_T0_SK_SP_E_clISE_SE_SF_SF_EEDaS13_S14_SK_SP_EUlS13_E_NS1_11comp_targetILNS1_3genE0ELNS1_11target_archE4294967295ELNS1_3gpuE0ELNS1_3repE0EEENS1_47radix_sort_onesweep_sort_config_static_selectorELNS0_4arch9wavefront6targetE1EEEvSK_ ; -- Begin function _ZN7rocprim17ROCPRIM_400000_NS6detail17trampoline_kernelINS0_14default_configENS1_35radix_sort_onesweep_config_selectorIsNS0_10empty_typeEEEZZNS1_29radix_sort_onesweep_iterationIS3_Lb0EN6thrust23THRUST_200600_302600_NS6detail15normal_iteratorINS9_10device_ptrIsEEEESE_PS5_SF_jNS0_19identity_decomposerENS1_16block_id_wrapperIjLb1EEEEE10hipError_tT1_PNSt15iterator_traitsISK_E10value_typeET2_T3_PNSL_ISQ_E10value_typeET4_T5_PSV_SW_PNS1_23onesweep_lookback_stateEbbT6_jjT7_P12ihipStream_tbENKUlT_T0_SK_SP_E_clISE_SE_SF_SF_EEDaS13_S14_SK_SP_EUlS13_E_NS1_11comp_targetILNS1_3genE0ELNS1_11target_archE4294967295ELNS1_3gpuE0ELNS1_3repE0EEENS1_47radix_sort_onesweep_sort_config_static_selectorELNS0_4arch9wavefront6targetE1EEEvSK_
	.globl	_ZN7rocprim17ROCPRIM_400000_NS6detail17trampoline_kernelINS0_14default_configENS1_35radix_sort_onesweep_config_selectorIsNS0_10empty_typeEEEZZNS1_29radix_sort_onesweep_iterationIS3_Lb0EN6thrust23THRUST_200600_302600_NS6detail15normal_iteratorINS9_10device_ptrIsEEEESE_PS5_SF_jNS0_19identity_decomposerENS1_16block_id_wrapperIjLb1EEEEE10hipError_tT1_PNSt15iterator_traitsISK_E10value_typeET2_T3_PNSL_ISQ_E10value_typeET4_T5_PSV_SW_PNS1_23onesweep_lookback_stateEbbT6_jjT7_P12ihipStream_tbENKUlT_T0_SK_SP_E_clISE_SE_SF_SF_EEDaS13_S14_SK_SP_EUlS13_E_NS1_11comp_targetILNS1_3genE0ELNS1_11target_archE4294967295ELNS1_3gpuE0ELNS1_3repE0EEENS1_47radix_sort_onesweep_sort_config_static_selectorELNS0_4arch9wavefront6targetE1EEEvSK_
	.p2align	8
	.type	_ZN7rocprim17ROCPRIM_400000_NS6detail17trampoline_kernelINS0_14default_configENS1_35radix_sort_onesweep_config_selectorIsNS0_10empty_typeEEEZZNS1_29radix_sort_onesweep_iterationIS3_Lb0EN6thrust23THRUST_200600_302600_NS6detail15normal_iteratorINS9_10device_ptrIsEEEESE_PS5_SF_jNS0_19identity_decomposerENS1_16block_id_wrapperIjLb1EEEEE10hipError_tT1_PNSt15iterator_traitsISK_E10value_typeET2_T3_PNSL_ISQ_E10value_typeET4_T5_PSV_SW_PNS1_23onesweep_lookback_stateEbbT6_jjT7_P12ihipStream_tbENKUlT_T0_SK_SP_E_clISE_SE_SF_SF_EEDaS13_S14_SK_SP_EUlS13_E_NS1_11comp_targetILNS1_3genE0ELNS1_11target_archE4294967295ELNS1_3gpuE0ELNS1_3repE0EEENS1_47radix_sort_onesweep_sort_config_static_selectorELNS0_4arch9wavefront6targetE1EEEvSK_,@function
_ZN7rocprim17ROCPRIM_400000_NS6detail17trampoline_kernelINS0_14default_configENS1_35radix_sort_onesweep_config_selectorIsNS0_10empty_typeEEEZZNS1_29radix_sort_onesweep_iterationIS3_Lb0EN6thrust23THRUST_200600_302600_NS6detail15normal_iteratorINS9_10device_ptrIsEEEESE_PS5_SF_jNS0_19identity_decomposerENS1_16block_id_wrapperIjLb1EEEEE10hipError_tT1_PNSt15iterator_traitsISK_E10value_typeET2_T3_PNSL_ISQ_E10value_typeET4_T5_PSV_SW_PNS1_23onesweep_lookback_stateEbbT6_jjT7_P12ihipStream_tbENKUlT_T0_SK_SP_E_clISE_SE_SF_SF_EEDaS13_S14_SK_SP_EUlS13_E_NS1_11comp_targetILNS1_3genE0ELNS1_11target_archE4294967295ELNS1_3gpuE0ELNS1_3repE0EEENS1_47radix_sort_onesweep_sort_config_static_selectorELNS0_4arch9wavefront6targetE1EEEvSK_: ; @_ZN7rocprim17ROCPRIM_400000_NS6detail17trampoline_kernelINS0_14default_configENS1_35radix_sort_onesweep_config_selectorIsNS0_10empty_typeEEEZZNS1_29radix_sort_onesweep_iterationIS3_Lb0EN6thrust23THRUST_200600_302600_NS6detail15normal_iteratorINS9_10device_ptrIsEEEESE_PS5_SF_jNS0_19identity_decomposerENS1_16block_id_wrapperIjLb1EEEEE10hipError_tT1_PNSt15iterator_traitsISK_E10value_typeET2_T3_PNSL_ISQ_E10value_typeET4_T5_PSV_SW_PNS1_23onesweep_lookback_stateEbbT6_jjT7_P12ihipStream_tbENKUlT_T0_SK_SP_E_clISE_SE_SF_SF_EEDaS13_S14_SK_SP_EUlS13_E_NS1_11comp_targetILNS1_3genE0ELNS1_11target_archE4294967295ELNS1_3gpuE0ELNS1_3repE0EEENS1_47radix_sort_onesweep_sort_config_static_selectorELNS0_4arch9wavefront6targetE1EEEvSK_
; %bb.0:
	.section	.rodata,"a",@progbits
	.p2align	6, 0x0
	.amdhsa_kernel _ZN7rocprim17ROCPRIM_400000_NS6detail17trampoline_kernelINS0_14default_configENS1_35radix_sort_onesweep_config_selectorIsNS0_10empty_typeEEEZZNS1_29radix_sort_onesweep_iterationIS3_Lb0EN6thrust23THRUST_200600_302600_NS6detail15normal_iteratorINS9_10device_ptrIsEEEESE_PS5_SF_jNS0_19identity_decomposerENS1_16block_id_wrapperIjLb1EEEEE10hipError_tT1_PNSt15iterator_traitsISK_E10value_typeET2_T3_PNSL_ISQ_E10value_typeET4_T5_PSV_SW_PNS1_23onesweep_lookback_stateEbbT6_jjT7_P12ihipStream_tbENKUlT_T0_SK_SP_E_clISE_SE_SF_SF_EEDaS13_S14_SK_SP_EUlS13_E_NS1_11comp_targetILNS1_3genE0ELNS1_11target_archE4294967295ELNS1_3gpuE0ELNS1_3repE0EEENS1_47radix_sort_onesweep_sort_config_static_selectorELNS0_4arch9wavefront6targetE1EEEvSK_
		.amdhsa_group_segment_fixed_size 0
		.amdhsa_private_segment_fixed_size 0
		.amdhsa_kernarg_size 88
		.amdhsa_user_sgpr_count 2
		.amdhsa_user_sgpr_dispatch_ptr 0
		.amdhsa_user_sgpr_queue_ptr 0
		.amdhsa_user_sgpr_kernarg_segment_ptr 1
		.amdhsa_user_sgpr_dispatch_id 0
		.amdhsa_user_sgpr_kernarg_preload_length 0
		.amdhsa_user_sgpr_kernarg_preload_offset 0
		.amdhsa_user_sgpr_private_segment_size 0
		.amdhsa_uses_dynamic_stack 0
		.amdhsa_enable_private_segment 0
		.amdhsa_system_sgpr_workgroup_id_x 1
		.amdhsa_system_sgpr_workgroup_id_y 0
		.amdhsa_system_sgpr_workgroup_id_z 0
		.amdhsa_system_sgpr_workgroup_info 0
		.amdhsa_system_vgpr_workitem_id 0
		.amdhsa_next_free_vgpr 1
		.amdhsa_next_free_sgpr 0
		.amdhsa_accum_offset 4
		.amdhsa_reserve_vcc 0
		.amdhsa_float_round_mode_32 0
		.amdhsa_float_round_mode_16_64 0
		.amdhsa_float_denorm_mode_32 3
		.amdhsa_float_denorm_mode_16_64 3
		.amdhsa_dx10_clamp 1
		.amdhsa_ieee_mode 1
		.amdhsa_fp16_overflow 0
		.amdhsa_tg_split 0
		.amdhsa_exception_fp_ieee_invalid_op 0
		.amdhsa_exception_fp_denorm_src 0
		.amdhsa_exception_fp_ieee_div_zero 0
		.amdhsa_exception_fp_ieee_overflow 0
		.amdhsa_exception_fp_ieee_underflow 0
		.amdhsa_exception_fp_ieee_inexact 0
		.amdhsa_exception_int_div_zero 0
	.end_amdhsa_kernel
	.section	.text._ZN7rocprim17ROCPRIM_400000_NS6detail17trampoline_kernelINS0_14default_configENS1_35radix_sort_onesweep_config_selectorIsNS0_10empty_typeEEEZZNS1_29radix_sort_onesweep_iterationIS3_Lb0EN6thrust23THRUST_200600_302600_NS6detail15normal_iteratorINS9_10device_ptrIsEEEESE_PS5_SF_jNS0_19identity_decomposerENS1_16block_id_wrapperIjLb1EEEEE10hipError_tT1_PNSt15iterator_traitsISK_E10value_typeET2_T3_PNSL_ISQ_E10value_typeET4_T5_PSV_SW_PNS1_23onesweep_lookback_stateEbbT6_jjT7_P12ihipStream_tbENKUlT_T0_SK_SP_E_clISE_SE_SF_SF_EEDaS13_S14_SK_SP_EUlS13_E_NS1_11comp_targetILNS1_3genE0ELNS1_11target_archE4294967295ELNS1_3gpuE0ELNS1_3repE0EEENS1_47radix_sort_onesweep_sort_config_static_selectorELNS0_4arch9wavefront6targetE1EEEvSK_,"axG",@progbits,_ZN7rocprim17ROCPRIM_400000_NS6detail17trampoline_kernelINS0_14default_configENS1_35radix_sort_onesweep_config_selectorIsNS0_10empty_typeEEEZZNS1_29radix_sort_onesweep_iterationIS3_Lb0EN6thrust23THRUST_200600_302600_NS6detail15normal_iteratorINS9_10device_ptrIsEEEESE_PS5_SF_jNS0_19identity_decomposerENS1_16block_id_wrapperIjLb1EEEEE10hipError_tT1_PNSt15iterator_traitsISK_E10value_typeET2_T3_PNSL_ISQ_E10value_typeET4_T5_PSV_SW_PNS1_23onesweep_lookback_stateEbbT6_jjT7_P12ihipStream_tbENKUlT_T0_SK_SP_E_clISE_SE_SF_SF_EEDaS13_S14_SK_SP_EUlS13_E_NS1_11comp_targetILNS1_3genE0ELNS1_11target_archE4294967295ELNS1_3gpuE0ELNS1_3repE0EEENS1_47radix_sort_onesweep_sort_config_static_selectorELNS0_4arch9wavefront6targetE1EEEvSK_,comdat
.Lfunc_end1950:
	.size	_ZN7rocprim17ROCPRIM_400000_NS6detail17trampoline_kernelINS0_14default_configENS1_35radix_sort_onesweep_config_selectorIsNS0_10empty_typeEEEZZNS1_29radix_sort_onesweep_iterationIS3_Lb0EN6thrust23THRUST_200600_302600_NS6detail15normal_iteratorINS9_10device_ptrIsEEEESE_PS5_SF_jNS0_19identity_decomposerENS1_16block_id_wrapperIjLb1EEEEE10hipError_tT1_PNSt15iterator_traitsISK_E10value_typeET2_T3_PNSL_ISQ_E10value_typeET4_T5_PSV_SW_PNS1_23onesweep_lookback_stateEbbT6_jjT7_P12ihipStream_tbENKUlT_T0_SK_SP_E_clISE_SE_SF_SF_EEDaS13_S14_SK_SP_EUlS13_E_NS1_11comp_targetILNS1_3genE0ELNS1_11target_archE4294967295ELNS1_3gpuE0ELNS1_3repE0EEENS1_47radix_sort_onesweep_sort_config_static_selectorELNS0_4arch9wavefront6targetE1EEEvSK_, .Lfunc_end1950-_ZN7rocprim17ROCPRIM_400000_NS6detail17trampoline_kernelINS0_14default_configENS1_35radix_sort_onesweep_config_selectorIsNS0_10empty_typeEEEZZNS1_29radix_sort_onesweep_iterationIS3_Lb0EN6thrust23THRUST_200600_302600_NS6detail15normal_iteratorINS9_10device_ptrIsEEEESE_PS5_SF_jNS0_19identity_decomposerENS1_16block_id_wrapperIjLb1EEEEE10hipError_tT1_PNSt15iterator_traitsISK_E10value_typeET2_T3_PNSL_ISQ_E10value_typeET4_T5_PSV_SW_PNS1_23onesweep_lookback_stateEbbT6_jjT7_P12ihipStream_tbENKUlT_T0_SK_SP_E_clISE_SE_SF_SF_EEDaS13_S14_SK_SP_EUlS13_E_NS1_11comp_targetILNS1_3genE0ELNS1_11target_archE4294967295ELNS1_3gpuE0ELNS1_3repE0EEENS1_47radix_sort_onesweep_sort_config_static_selectorELNS0_4arch9wavefront6targetE1EEEvSK_
                                        ; -- End function
	.section	.AMDGPU.csdata,"",@progbits
; Kernel info:
; codeLenInByte = 0
; NumSgprs: 6
; NumVgprs: 0
; NumAgprs: 0
; TotalNumVgprs: 0
; ScratchSize: 0
; MemoryBound: 0
; FloatMode: 240
; IeeeMode: 1
; LDSByteSize: 0 bytes/workgroup (compile time only)
; SGPRBlocks: 0
; VGPRBlocks: 0
; NumSGPRsForWavesPerEU: 6
; NumVGPRsForWavesPerEU: 1
; AccumOffset: 4
; Occupancy: 8
; WaveLimiterHint : 0
; COMPUTE_PGM_RSRC2:SCRATCH_EN: 0
; COMPUTE_PGM_RSRC2:USER_SGPR: 2
; COMPUTE_PGM_RSRC2:TRAP_HANDLER: 0
; COMPUTE_PGM_RSRC2:TGID_X_EN: 1
; COMPUTE_PGM_RSRC2:TGID_Y_EN: 0
; COMPUTE_PGM_RSRC2:TGID_Z_EN: 0
; COMPUTE_PGM_RSRC2:TIDIG_COMP_CNT: 0
; COMPUTE_PGM_RSRC3_GFX90A:ACCUM_OFFSET: 0
; COMPUTE_PGM_RSRC3_GFX90A:TG_SPLIT: 0
	.section	.text._ZN7rocprim17ROCPRIM_400000_NS6detail17trampoline_kernelINS0_14default_configENS1_35radix_sort_onesweep_config_selectorIsNS0_10empty_typeEEEZZNS1_29radix_sort_onesweep_iterationIS3_Lb0EN6thrust23THRUST_200600_302600_NS6detail15normal_iteratorINS9_10device_ptrIsEEEESE_PS5_SF_jNS0_19identity_decomposerENS1_16block_id_wrapperIjLb1EEEEE10hipError_tT1_PNSt15iterator_traitsISK_E10value_typeET2_T3_PNSL_ISQ_E10value_typeET4_T5_PSV_SW_PNS1_23onesweep_lookback_stateEbbT6_jjT7_P12ihipStream_tbENKUlT_T0_SK_SP_E_clISE_SE_SF_SF_EEDaS13_S14_SK_SP_EUlS13_E_NS1_11comp_targetILNS1_3genE6ELNS1_11target_archE950ELNS1_3gpuE13ELNS1_3repE0EEENS1_47radix_sort_onesweep_sort_config_static_selectorELNS0_4arch9wavefront6targetE1EEEvSK_,"axG",@progbits,_ZN7rocprim17ROCPRIM_400000_NS6detail17trampoline_kernelINS0_14default_configENS1_35radix_sort_onesweep_config_selectorIsNS0_10empty_typeEEEZZNS1_29radix_sort_onesweep_iterationIS3_Lb0EN6thrust23THRUST_200600_302600_NS6detail15normal_iteratorINS9_10device_ptrIsEEEESE_PS5_SF_jNS0_19identity_decomposerENS1_16block_id_wrapperIjLb1EEEEE10hipError_tT1_PNSt15iterator_traitsISK_E10value_typeET2_T3_PNSL_ISQ_E10value_typeET4_T5_PSV_SW_PNS1_23onesweep_lookback_stateEbbT6_jjT7_P12ihipStream_tbENKUlT_T0_SK_SP_E_clISE_SE_SF_SF_EEDaS13_S14_SK_SP_EUlS13_E_NS1_11comp_targetILNS1_3genE6ELNS1_11target_archE950ELNS1_3gpuE13ELNS1_3repE0EEENS1_47radix_sort_onesweep_sort_config_static_selectorELNS0_4arch9wavefront6targetE1EEEvSK_,comdat
	.protected	_ZN7rocprim17ROCPRIM_400000_NS6detail17trampoline_kernelINS0_14default_configENS1_35radix_sort_onesweep_config_selectorIsNS0_10empty_typeEEEZZNS1_29radix_sort_onesweep_iterationIS3_Lb0EN6thrust23THRUST_200600_302600_NS6detail15normal_iteratorINS9_10device_ptrIsEEEESE_PS5_SF_jNS0_19identity_decomposerENS1_16block_id_wrapperIjLb1EEEEE10hipError_tT1_PNSt15iterator_traitsISK_E10value_typeET2_T3_PNSL_ISQ_E10value_typeET4_T5_PSV_SW_PNS1_23onesweep_lookback_stateEbbT6_jjT7_P12ihipStream_tbENKUlT_T0_SK_SP_E_clISE_SE_SF_SF_EEDaS13_S14_SK_SP_EUlS13_E_NS1_11comp_targetILNS1_3genE6ELNS1_11target_archE950ELNS1_3gpuE13ELNS1_3repE0EEENS1_47radix_sort_onesweep_sort_config_static_selectorELNS0_4arch9wavefront6targetE1EEEvSK_ ; -- Begin function _ZN7rocprim17ROCPRIM_400000_NS6detail17trampoline_kernelINS0_14default_configENS1_35radix_sort_onesweep_config_selectorIsNS0_10empty_typeEEEZZNS1_29radix_sort_onesweep_iterationIS3_Lb0EN6thrust23THRUST_200600_302600_NS6detail15normal_iteratorINS9_10device_ptrIsEEEESE_PS5_SF_jNS0_19identity_decomposerENS1_16block_id_wrapperIjLb1EEEEE10hipError_tT1_PNSt15iterator_traitsISK_E10value_typeET2_T3_PNSL_ISQ_E10value_typeET4_T5_PSV_SW_PNS1_23onesweep_lookback_stateEbbT6_jjT7_P12ihipStream_tbENKUlT_T0_SK_SP_E_clISE_SE_SF_SF_EEDaS13_S14_SK_SP_EUlS13_E_NS1_11comp_targetILNS1_3genE6ELNS1_11target_archE950ELNS1_3gpuE13ELNS1_3repE0EEENS1_47radix_sort_onesweep_sort_config_static_selectorELNS0_4arch9wavefront6targetE1EEEvSK_
	.globl	_ZN7rocprim17ROCPRIM_400000_NS6detail17trampoline_kernelINS0_14default_configENS1_35radix_sort_onesweep_config_selectorIsNS0_10empty_typeEEEZZNS1_29radix_sort_onesweep_iterationIS3_Lb0EN6thrust23THRUST_200600_302600_NS6detail15normal_iteratorINS9_10device_ptrIsEEEESE_PS5_SF_jNS0_19identity_decomposerENS1_16block_id_wrapperIjLb1EEEEE10hipError_tT1_PNSt15iterator_traitsISK_E10value_typeET2_T3_PNSL_ISQ_E10value_typeET4_T5_PSV_SW_PNS1_23onesweep_lookback_stateEbbT6_jjT7_P12ihipStream_tbENKUlT_T0_SK_SP_E_clISE_SE_SF_SF_EEDaS13_S14_SK_SP_EUlS13_E_NS1_11comp_targetILNS1_3genE6ELNS1_11target_archE950ELNS1_3gpuE13ELNS1_3repE0EEENS1_47radix_sort_onesweep_sort_config_static_selectorELNS0_4arch9wavefront6targetE1EEEvSK_
	.p2align	8
	.type	_ZN7rocprim17ROCPRIM_400000_NS6detail17trampoline_kernelINS0_14default_configENS1_35radix_sort_onesweep_config_selectorIsNS0_10empty_typeEEEZZNS1_29radix_sort_onesweep_iterationIS3_Lb0EN6thrust23THRUST_200600_302600_NS6detail15normal_iteratorINS9_10device_ptrIsEEEESE_PS5_SF_jNS0_19identity_decomposerENS1_16block_id_wrapperIjLb1EEEEE10hipError_tT1_PNSt15iterator_traitsISK_E10value_typeET2_T3_PNSL_ISQ_E10value_typeET4_T5_PSV_SW_PNS1_23onesweep_lookback_stateEbbT6_jjT7_P12ihipStream_tbENKUlT_T0_SK_SP_E_clISE_SE_SF_SF_EEDaS13_S14_SK_SP_EUlS13_E_NS1_11comp_targetILNS1_3genE6ELNS1_11target_archE950ELNS1_3gpuE13ELNS1_3repE0EEENS1_47radix_sort_onesweep_sort_config_static_selectorELNS0_4arch9wavefront6targetE1EEEvSK_,@function
_ZN7rocprim17ROCPRIM_400000_NS6detail17trampoline_kernelINS0_14default_configENS1_35radix_sort_onesweep_config_selectorIsNS0_10empty_typeEEEZZNS1_29radix_sort_onesweep_iterationIS3_Lb0EN6thrust23THRUST_200600_302600_NS6detail15normal_iteratorINS9_10device_ptrIsEEEESE_PS5_SF_jNS0_19identity_decomposerENS1_16block_id_wrapperIjLb1EEEEE10hipError_tT1_PNSt15iterator_traitsISK_E10value_typeET2_T3_PNSL_ISQ_E10value_typeET4_T5_PSV_SW_PNS1_23onesweep_lookback_stateEbbT6_jjT7_P12ihipStream_tbENKUlT_T0_SK_SP_E_clISE_SE_SF_SF_EEDaS13_S14_SK_SP_EUlS13_E_NS1_11comp_targetILNS1_3genE6ELNS1_11target_archE950ELNS1_3gpuE13ELNS1_3repE0EEENS1_47radix_sort_onesweep_sort_config_static_selectorELNS0_4arch9wavefront6targetE1EEEvSK_: ; @_ZN7rocprim17ROCPRIM_400000_NS6detail17trampoline_kernelINS0_14default_configENS1_35radix_sort_onesweep_config_selectorIsNS0_10empty_typeEEEZZNS1_29radix_sort_onesweep_iterationIS3_Lb0EN6thrust23THRUST_200600_302600_NS6detail15normal_iteratorINS9_10device_ptrIsEEEESE_PS5_SF_jNS0_19identity_decomposerENS1_16block_id_wrapperIjLb1EEEEE10hipError_tT1_PNSt15iterator_traitsISK_E10value_typeET2_T3_PNSL_ISQ_E10value_typeET4_T5_PSV_SW_PNS1_23onesweep_lookback_stateEbbT6_jjT7_P12ihipStream_tbENKUlT_T0_SK_SP_E_clISE_SE_SF_SF_EEDaS13_S14_SK_SP_EUlS13_E_NS1_11comp_targetILNS1_3genE6ELNS1_11target_archE950ELNS1_3gpuE13ELNS1_3repE0EEENS1_47radix_sort_onesweep_sort_config_static_selectorELNS0_4arch9wavefront6targetE1EEEvSK_
; %bb.0:
	.section	.rodata,"a",@progbits
	.p2align	6, 0x0
	.amdhsa_kernel _ZN7rocprim17ROCPRIM_400000_NS6detail17trampoline_kernelINS0_14default_configENS1_35radix_sort_onesweep_config_selectorIsNS0_10empty_typeEEEZZNS1_29radix_sort_onesweep_iterationIS3_Lb0EN6thrust23THRUST_200600_302600_NS6detail15normal_iteratorINS9_10device_ptrIsEEEESE_PS5_SF_jNS0_19identity_decomposerENS1_16block_id_wrapperIjLb1EEEEE10hipError_tT1_PNSt15iterator_traitsISK_E10value_typeET2_T3_PNSL_ISQ_E10value_typeET4_T5_PSV_SW_PNS1_23onesweep_lookback_stateEbbT6_jjT7_P12ihipStream_tbENKUlT_T0_SK_SP_E_clISE_SE_SF_SF_EEDaS13_S14_SK_SP_EUlS13_E_NS1_11comp_targetILNS1_3genE6ELNS1_11target_archE950ELNS1_3gpuE13ELNS1_3repE0EEENS1_47radix_sort_onesweep_sort_config_static_selectorELNS0_4arch9wavefront6targetE1EEEvSK_
		.amdhsa_group_segment_fixed_size 0
		.amdhsa_private_segment_fixed_size 0
		.amdhsa_kernarg_size 88
		.amdhsa_user_sgpr_count 2
		.amdhsa_user_sgpr_dispatch_ptr 0
		.amdhsa_user_sgpr_queue_ptr 0
		.amdhsa_user_sgpr_kernarg_segment_ptr 1
		.amdhsa_user_sgpr_dispatch_id 0
		.amdhsa_user_sgpr_kernarg_preload_length 0
		.amdhsa_user_sgpr_kernarg_preload_offset 0
		.amdhsa_user_sgpr_private_segment_size 0
		.amdhsa_uses_dynamic_stack 0
		.amdhsa_enable_private_segment 0
		.amdhsa_system_sgpr_workgroup_id_x 1
		.amdhsa_system_sgpr_workgroup_id_y 0
		.amdhsa_system_sgpr_workgroup_id_z 0
		.amdhsa_system_sgpr_workgroup_info 0
		.amdhsa_system_vgpr_workitem_id 0
		.amdhsa_next_free_vgpr 1
		.amdhsa_next_free_sgpr 0
		.amdhsa_accum_offset 4
		.amdhsa_reserve_vcc 0
		.amdhsa_float_round_mode_32 0
		.amdhsa_float_round_mode_16_64 0
		.amdhsa_float_denorm_mode_32 3
		.amdhsa_float_denorm_mode_16_64 3
		.amdhsa_dx10_clamp 1
		.amdhsa_ieee_mode 1
		.amdhsa_fp16_overflow 0
		.amdhsa_tg_split 0
		.amdhsa_exception_fp_ieee_invalid_op 0
		.amdhsa_exception_fp_denorm_src 0
		.amdhsa_exception_fp_ieee_div_zero 0
		.amdhsa_exception_fp_ieee_overflow 0
		.amdhsa_exception_fp_ieee_underflow 0
		.amdhsa_exception_fp_ieee_inexact 0
		.amdhsa_exception_int_div_zero 0
	.end_amdhsa_kernel
	.section	.text._ZN7rocprim17ROCPRIM_400000_NS6detail17trampoline_kernelINS0_14default_configENS1_35radix_sort_onesweep_config_selectorIsNS0_10empty_typeEEEZZNS1_29radix_sort_onesweep_iterationIS3_Lb0EN6thrust23THRUST_200600_302600_NS6detail15normal_iteratorINS9_10device_ptrIsEEEESE_PS5_SF_jNS0_19identity_decomposerENS1_16block_id_wrapperIjLb1EEEEE10hipError_tT1_PNSt15iterator_traitsISK_E10value_typeET2_T3_PNSL_ISQ_E10value_typeET4_T5_PSV_SW_PNS1_23onesweep_lookback_stateEbbT6_jjT7_P12ihipStream_tbENKUlT_T0_SK_SP_E_clISE_SE_SF_SF_EEDaS13_S14_SK_SP_EUlS13_E_NS1_11comp_targetILNS1_3genE6ELNS1_11target_archE950ELNS1_3gpuE13ELNS1_3repE0EEENS1_47radix_sort_onesweep_sort_config_static_selectorELNS0_4arch9wavefront6targetE1EEEvSK_,"axG",@progbits,_ZN7rocprim17ROCPRIM_400000_NS6detail17trampoline_kernelINS0_14default_configENS1_35radix_sort_onesweep_config_selectorIsNS0_10empty_typeEEEZZNS1_29radix_sort_onesweep_iterationIS3_Lb0EN6thrust23THRUST_200600_302600_NS6detail15normal_iteratorINS9_10device_ptrIsEEEESE_PS5_SF_jNS0_19identity_decomposerENS1_16block_id_wrapperIjLb1EEEEE10hipError_tT1_PNSt15iterator_traitsISK_E10value_typeET2_T3_PNSL_ISQ_E10value_typeET4_T5_PSV_SW_PNS1_23onesweep_lookback_stateEbbT6_jjT7_P12ihipStream_tbENKUlT_T0_SK_SP_E_clISE_SE_SF_SF_EEDaS13_S14_SK_SP_EUlS13_E_NS1_11comp_targetILNS1_3genE6ELNS1_11target_archE950ELNS1_3gpuE13ELNS1_3repE0EEENS1_47radix_sort_onesweep_sort_config_static_selectorELNS0_4arch9wavefront6targetE1EEEvSK_,comdat
.Lfunc_end1951:
	.size	_ZN7rocprim17ROCPRIM_400000_NS6detail17trampoline_kernelINS0_14default_configENS1_35radix_sort_onesweep_config_selectorIsNS0_10empty_typeEEEZZNS1_29radix_sort_onesweep_iterationIS3_Lb0EN6thrust23THRUST_200600_302600_NS6detail15normal_iteratorINS9_10device_ptrIsEEEESE_PS5_SF_jNS0_19identity_decomposerENS1_16block_id_wrapperIjLb1EEEEE10hipError_tT1_PNSt15iterator_traitsISK_E10value_typeET2_T3_PNSL_ISQ_E10value_typeET4_T5_PSV_SW_PNS1_23onesweep_lookback_stateEbbT6_jjT7_P12ihipStream_tbENKUlT_T0_SK_SP_E_clISE_SE_SF_SF_EEDaS13_S14_SK_SP_EUlS13_E_NS1_11comp_targetILNS1_3genE6ELNS1_11target_archE950ELNS1_3gpuE13ELNS1_3repE0EEENS1_47radix_sort_onesweep_sort_config_static_selectorELNS0_4arch9wavefront6targetE1EEEvSK_, .Lfunc_end1951-_ZN7rocprim17ROCPRIM_400000_NS6detail17trampoline_kernelINS0_14default_configENS1_35radix_sort_onesweep_config_selectorIsNS0_10empty_typeEEEZZNS1_29radix_sort_onesweep_iterationIS3_Lb0EN6thrust23THRUST_200600_302600_NS6detail15normal_iteratorINS9_10device_ptrIsEEEESE_PS5_SF_jNS0_19identity_decomposerENS1_16block_id_wrapperIjLb1EEEEE10hipError_tT1_PNSt15iterator_traitsISK_E10value_typeET2_T3_PNSL_ISQ_E10value_typeET4_T5_PSV_SW_PNS1_23onesweep_lookback_stateEbbT6_jjT7_P12ihipStream_tbENKUlT_T0_SK_SP_E_clISE_SE_SF_SF_EEDaS13_S14_SK_SP_EUlS13_E_NS1_11comp_targetILNS1_3genE6ELNS1_11target_archE950ELNS1_3gpuE13ELNS1_3repE0EEENS1_47radix_sort_onesweep_sort_config_static_selectorELNS0_4arch9wavefront6targetE1EEEvSK_
                                        ; -- End function
	.section	.AMDGPU.csdata,"",@progbits
; Kernel info:
; codeLenInByte = 0
; NumSgprs: 6
; NumVgprs: 0
; NumAgprs: 0
; TotalNumVgprs: 0
; ScratchSize: 0
; MemoryBound: 0
; FloatMode: 240
; IeeeMode: 1
; LDSByteSize: 0 bytes/workgroup (compile time only)
; SGPRBlocks: 0
; VGPRBlocks: 0
; NumSGPRsForWavesPerEU: 6
; NumVGPRsForWavesPerEU: 1
; AccumOffset: 4
; Occupancy: 8
; WaveLimiterHint : 0
; COMPUTE_PGM_RSRC2:SCRATCH_EN: 0
; COMPUTE_PGM_RSRC2:USER_SGPR: 2
; COMPUTE_PGM_RSRC2:TRAP_HANDLER: 0
; COMPUTE_PGM_RSRC2:TGID_X_EN: 1
; COMPUTE_PGM_RSRC2:TGID_Y_EN: 0
; COMPUTE_PGM_RSRC2:TGID_Z_EN: 0
; COMPUTE_PGM_RSRC2:TIDIG_COMP_CNT: 0
; COMPUTE_PGM_RSRC3_GFX90A:ACCUM_OFFSET: 0
; COMPUTE_PGM_RSRC3_GFX90A:TG_SPLIT: 0
	.section	.text._ZN7rocprim17ROCPRIM_400000_NS6detail17trampoline_kernelINS0_14default_configENS1_35radix_sort_onesweep_config_selectorIsNS0_10empty_typeEEEZZNS1_29radix_sort_onesweep_iterationIS3_Lb0EN6thrust23THRUST_200600_302600_NS6detail15normal_iteratorINS9_10device_ptrIsEEEESE_PS5_SF_jNS0_19identity_decomposerENS1_16block_id_wrapperIjLb1EEEEE10hipError_tT1_PNSt15iterator_traitsISK_E10value_typeET2_T3_PNSL_ISQ_E10value_typeET4_T5_PSV_SW_PNS1_23onesweep_lookback_stateEbbT6_jjT7_P12ihipStream_tbENKUlT_T0_SK_SP_E_clISE_SE_SF_SF_EEDaS13_S14_SK_SP_EUlS13_E_NS1_11comp_targetILNS1_3genE5ELNS1_11target_archE942ELNS1_3gpuE9ELNS1_3repE0EEENS1_47radix_sort_onesweep_sort_config_static_selectorELNS0_4arch9wavefront6targetE1EEEvSK_,"axG",@progbits,_ZN7rocprim17ROCPRIM_400000_NS6detail17trampoline_kernelINS0_14default_configENS1_35radix_sort_onesweep_config_selectorIsNS0_10empty_typeEEEZZNS1_29radix_sort_onesweep_iterationIS3_Lb0EN6thrust23THRUST_200600_302600_NS6detail15normal_iteratorINS9_10device_ptrIsEEEESE_PS5_SF_jNS0_19identity_decomposerENS1_16block_id_wrapperIjLb1EEEEE10hipError_tT1_PNSt15iterator_traitsISK_E10value_typeET2_T3_PNSL_ISQ_E10value_typeET4_T5_PSV_SW_PNS1_23onesweep_lookback_stateEbbT6_jjT7_P12ihipStream_tbENKUlT_T0_SK_SP_E_clISE_SE_SF_SF_EEDaS13_S14_SK_SP_EUlS13_E_NS1_11comp_targetILNS1_3genE5ELNS1_11target_archE942ELNS1_3gpuE9ELNS1_3repE0EEENS1_47radix_sort_onesweep_sort_config_static_selectorELNS0_4arch9wavefront6targetE1EEEvSK_,comdat
	.protected	_ZN7rocprim17ROCPRIM_400000_NS6detail17trampoline_kernelINS0_14default_configENS1_35radix_sort_onesweep_config_selectorIsNS0_10empty_typeEEEZZNS1_29radix_sort_onesweep_iterationIS3_Lb0EN6thrust23THRUST_200600_302600_NS6detail15normal_iteratorINS9_10device_ptrIsEEEESE_PS5_SF_jNS0_19identity_decomposerENS1_16block_id_wrapperIjLb1EEEEE10hipError_tT1_PNSt15iterator_traitsISK_E10value_typeET2_T3_PNSL_ISQ_E10value_typeET4_T5_PSV_SW_PNS1_23onesweep_lookback_stateEbbT6_jjT7_P12ihipStream_tbENKUlT_T0_SK_SP_E_clISE_SE_SF_SF_EEDaS13_S14_SK_SP_EUlS13_E_NS1_11comp_targetILNS1_3genE5ELNS1_11target_archE942ELNS1_3gpuE9ELNS1_3repE0EEENS1_47radix_sort_onesweep_sort_config_static_selectorELNS0_4arch9wavefront6targetE1EEEvSK_ ; -- Begin function _ZN7rocprim17ROCPRIM_400000_NS6detail17trampoline_kernelINS0_14default_configENS1_35radix_sort_onesweep_config_selectorIsNS0_10empty_typeEEEZZNS1_29radix_sort_onesweep_iterationIS3_Lb0EN6thrust23THRUST_200600_302600_NS6detail15normal_iteratorINS9_10device_ptrIsEEEESE_PS5_SF_jNS0_19identity_decomposerENS1_16block_id_wrapperIjLb1EEEEE10hipError_tT1_PNSt15iterator_traitsISK_E10value_typeET2_T3_PNSL_ISQ_E10value_typeET4_T5_PSV_SW_PNS1_23onesweep_lookback_stateEbbT6_jjT7_P12ihipStream_tbENKUlT_T0_SK_SP_E_clISE_SE_SF_SF_EEDaS13_S14_SK_SP_EUlS13_E_NS1_11comp_targetILNS1_3genE5ELNS1_11target_archE942ELNS1_3gpuE9ELNS1_3repE0EEENS1_47radix_sort_onesweep_sort_config_static_selectorELNS0_4arch9wavefront6targetE1EEEvSK_
	.globl	_ZN7rocprim17ROCPRIM_400000_NS6detail17trampoline_kernelINS0_14default_configENS1_35radix_sort_onesweep_config_selectorIsNS0_10empty_typeEEEZZNS1_29radix_sort_onesweep_iterationIS3_Lb0EN6thrust23THRUST_200600_302600_NS6detail15normal_iteratorINS9_10device_ptrIsEEEESE_PS5_SF_jNS0_19identity_decomposerENS1_16block_id_wrapperIjLb1EEEEE10hipError_tT1_PNSt15iterator_traitsISK_E10value_typeET2_T3_PNSL_ISQ_E10value_typeET4_T5_PSV_SW_PNS1_23onesweep_lookback_stateEbbT6_jjT7_P12ihipStream_tbENKUlT_T0_SK_SP_E_clISE_SE_SF_SF_EEDaS13_S14_SK_SP_EUlS13_E_NS1_11comp_targetILNS1_3genE5ELNS1_11target_archE942ELNS1_3gpuE9ELNS1_3repE0EEENS1_47radix_sort_onesweep_sort_config_static_selectorELNS0_4arch9wavefront6targetE1EEEvSK_
	.p2align	8
	.type	_ZN7rocprim17ROCPRIM_400000_NS6detail17trampoline_kernelINS0_14default_configENS1_35radix_sort_onesweep_config_selectorIsNS0_10empty_typeEEEZZNS1_29radix_sort_onesweep_iterationIS3_Lb0EN6thrust23THRUST_200600_302600_NS6detail15normal_iteratorINS9_10device_ptrIsEEEESE_PS5_SF_jNS0_19identity_decomposerENS1_16block_id_wrapperIjLb1EEEEE10hipError_tT1_PNSt15iterator_traitsISK_E10value_typeET2_T3_PNSL_ISQ_E10value_typeET4_T5_PSV_SW_PNS1_23onesweep_lookback_stateEbbT6_jjT7_P12ihipStream_tbENKUlT_T0_SK_SP_E_clISE_SE_SF_SF_EEDaS13_S14_SK_SP_EUlS13_E_NS1_11comp_targetILNS1_3genE5ELNS1_11target_archE942ELNS1_3gpuE9ELNS1_3repE0EEENS1_47radix_sort_onesweep_sort_config_static_selectorELNS0_4arch9wavefront6targetE1EEEvSK_,@function
_ZN7rocprim17ROCPRIM_400000_NS6detail17trampoline_kernelINS0_14default_configENS1_35radix_sort_onesweep_config_selectorIsNS0_10empty_typeEEEZZNS1_29radix_sort_onesweep_iterationIS3_Lb0EN6thrust23THRUST_200600_302600_NS6detail15normal_iteratorINS9_10device_ptrIsEEEESE_PS5_SF_jNS0_19identity_decomposerENS1_16block_id_wrapperIjLb1EEEEE10hipError_tT1_PNSt15iterator_traitsISK_E10value_typeET2_T3_PNSL_ISQ_E10value_typeET4_T5_PSV_SW_PNS1_23onesweep_lookback_stateEbbT6_jjT7_P12ihipStream_tbENKUlT_T0_SK_SP_E_clISE_SE_SF_SF_EEDaS13_S14_SK_SP_EUlS13_E_NS1_11comp_targetILNS1_3genE5ELNS1_11target_archE942ELNS1_3gpuE9ELNS1_3repE0EEENS1_47radix_sort_onesweep_sort_config_static_selectorELNS0_4arch9wavefront6targetE1EEEvSK_: ; @_ZN7rocprim17ROCPRIM_400000_NS6detail17trampoline_kernelINS0_14default_configENS1_35radix_sort_onesweep_config_selectorIsNS0_10empty_typeEEEZZNS1_29radix_sort_onesweep_iterationIS3_Lb0EN6thrust23THRUST_200600_302600_NS6detail15normal_iteratorINS9_10device_ptrIsEEEESE_PS5_SF_jNS0_19identity_decomposerENS1_16block_id_wrapperIjLb1EEEEE10hipError_tT1_PNSt15iterator_traitsISK_E10value_typeET2_T3_PNSL_ISQ_E10value_typeET4_T5_PSV_SW_PNS1_23onesweep_lookback_stateEbbT6_jjT7_P12ihipStream_tbENKUlT_T0_SK_SP_E_clISE_SE_SF_SF_EEDaS13_S14_SK_SP_EUlS13_E_NS1_11comp_targetILNS1_3genE5ELNS1_11target_archE942ELNS1_3gpuE9ELNS1_3repE0EEENS1_47radix_sort_onesweep_sort_config_static_selectorELNS0_4arch9wavefront6targetE1EEEvSK_
; %bb.0:
	s_load_dwordx4 s[20:23], s[0:1], 0x28
	s_load_dwordx2 s[18:19], s[0:1], 0x38
	s_load_dwordx4 s[24:27], s[0:1], 0x44
	v_and_b32_e32 v10, 0x3ff, v0
	v_cmp_eq_u32_e64 s[10:11], 0, v10
	s_and_saveexec_b64 s[4:5], s[10:11]
	s_cbranch_execz .LBB1952_4
; %bb.1:
	s_mov_b64 s[8:9], exec
	v_mbcnt_lo_u32_b32 v1, s8, 0
	v_mbcnt_hi_u32_b32 v1, s9, v1
	v_cmp_eq_u32_e32 vcc, 0, v1
                                        ; implicit-def: $vgpr2
	s_and_saveexec_b64 s[6:7], vcc
	s_cbranch_execz .LBB1952_3
; %bb.2:
	s_load_dwordx2 s[12:13], s[0:1], 0x50
	s_bcnt1_i32_b64 s3, s[8:9]
	v_mov_b32_e32 v2, 0
	v_mov_b32_e32 v3, s3
	s_waitcnt lgkmcnt(0)
	global_atomic_add v2, v2, v3, s[12:13] sc0
.LBB1952_3:
	s_or_b64 exec, exec, s[6:7]
	s_waitcnt vmcnt(0)
	v_readfirstlane_b32 s3, v2
	v_mov_b32_e32 v2, 0
	s_nop 0
	v_add_u32_e32 v1, s3, v1
	ds_write_b32 v2, v1 offset:25600
.LBB1952_4:
	s_or_b64 exec, exec, s[4:5]
	v_mov_b32_e32 v3, 0
	s_load_dwordx4 s[28:31], s[0:1], 0x0
	s_load_dword s3, s[0:1], 0x20
	s_waitcnt lgkmcnt(0)
	s_barrier
	ds_read_b32 v1, v3 offset:25600
	s_waitcnt lgkmcnt(0)
	s_barrier
	v_readfirstlane_b32 s27, v1
	v_cmp_le_u32_e32 vcc, s26, v1
	s_mul_i32 s34, s27, 0x3000
	v_mbcnt_lo_u32_b32 v1, -1, 0
	s_cbranch_vccz .LBB1952_100
; %bb.5:
	s_mul_i32 s4, s26, 0xffffd000
	s_mov_b32 s35, 0
	s_add_i32 s3, s4, s3
	s_lshl_b64 s[4:5], s[34:35], 1
	v_mbcnt_hi_u32_b32 v11, -1, v1
	s_add_u32 s4, s28, s4
	v_and_b32_e32 v6, 63, v11
	v_and_b32_e32 v2, 0x3c0, v10
	s_addc_u32 s5, s29, s5
	v_mul_u32_u24_e32 v7, 12, v2
	v_lshlrev_b32_e32 v2, 1, v6
	v_lshl_add_u64 v[4:5], s[4:5], 0, v[2:3]
	s_mov_b32 s4, 0x7fff7fff
	v_lshlrev_b32_e32 v2, 1, v7
	s_mov_b32 s5, s4
	v_lshl_add_u64 v[12:13], v[4:5], 0, v[2:3]
	v_or_b32_e32 v14, v6, v7
	s_mov_b32 s6, s4
	s_mov_b32 s7, s4
	;; [unrolled: 1-line block ×4, first 2 shown]
	v_mov_b64_e32 v[2:3], s[4:5]
	v_cmp_gt_u32_e32 vcc, s3, v14
	v_mov_b64_e32 v[4:5], s[6:7]
	v_mov_b64_e32 v[6:7], s[8:9]
	;; [unrolled: 1-line block ×3, first 2 shown]
	s_and_saveexec_b64 s[4:5], vcc
	s_cbranch_execz .LBB1952_7
; %bb.6:
	global_load_ushort v2, v[12:13], off
	s_movk_i32 s6, 0x7fff
	v_mov_b32_e32 v7, 0x5040100
	v_mov_b32_e32 v3, 0x7fff7fff
	;; [unrolled: 1-line block ×5, first 2 shown]
	s_waitcnt vmcnt(0)
	v_perm_b32 v2, s6, v2, v7
	v_mov_b32_e32 v7, v3
.LBB1952_7:
	s_or_b64 exec, exec, s[4:5]
	v_or_b32_e32 v8, 64, v14
	v_cmp_gt_u32_e32 vcc, s3, v8
	s_and_saveexec_b64 s[4:5], vcc
	s_cbranch_execz .LBB1952_9
; %bb.8:
	global_load_ushort v8, v[12:13], off offset:128
	s_mov_b32 s6, 0x5040100
	s_waitcnt vmcnt(0)
	v_perm_b32 v2, v8, v2, s6
.LBB1952_9:
	s_or_b64 exec, exec, s[4:5]
	v_or_b32_e32 v8, 0x80, v14
	v_cmp_gt_u32_e32 vcc, s3, v8
	s_and_saveexec_b64 s[4:5], vcc
	s_cbranch_execz .LBB1952_11
; %bb.10:
	global_load_ushort v8, v[12:13], off offset:256
	s_mov_b32 s6, 0xffff
	s_waitcnt vmcnt(0)
	v_bfi_b32 v3, s6, v8, v3
.LBB1952_11:
	s_or_b64 exec, exec, s[4:5]
	v_or_b32_e32 v8, 0xc0, v14
	v_cmp_gt_u32_e32 vcc, s3, v8
	s_and_saveexec_b64 s[4:5], vcc
	s_cbranch_execz .LBB1952_13
; %bb.12:
	global_load_ushort v8, v[12:13], off offset:384
	s_mov_b32 s6, 0x5040100
	s_waitcnt vmcnt(0)
	v_perm_b32 v3, v8, v3, s6
.LBB1952_13:
	s_or_b64 exec, exec, s[4:5]
	v_add_u32_e32 v8, 0x100, v14
	v_cmp_gt_u32_e32 vcc, s3, v8
	s_and_saveexec_b64 s[4:5], vcc
	s_cbranch_execz .LBB1952_15
; %bb.14:
	global_load_ushort v8, v[12:13], off offset:512
	s_mov_b32 s6, 0xffff
	s_waitcnt vmcnt(0)
	v_bfi_b32 v4, s6, v8, v4
.LBB1952_15:
	s_or_b64 exec, exec, s[4:5]
	v_add_u32_e32 v8, 0x140, v14
	v_cmp_gt_u32_e32 vcc, s3, v8
	s_and_saveexec_b64 s[4:5], vcc
	s_cbranch_execz .LBB1952_17
; %bb.16:
	global_load_ushort v8, v[12:13], off offset:640
	s_mov_b32 s6, 0x5040100
	s_waitcnt vmcnt(0)
	v_perm_b32 v4, v8, v4, s6
.LBB1952_17:
	s_or_b64 exec, exec, s[4:5]
	v_add_u32_e32 v8, 0x180, v14
	v_cmp_gt_u32_e32 vcc, s3, v8
	s_and_saveexec_b64 s[4:5], vcc
	s_cbranch_execz .LBB1952_19
; %bb.18:
	global_load_ushort v8, v[12:13], off offset:768
	s_mov_b32 s6, 0xffff
	s_waitcnt vmcnt(0)
	v_bfi_b32 v5, s6, v8, v5
.LBB1952_19:
	s_or_b64 exec, exec, s[4:5]
	v_add_u32_e32 v8, 0x1c0, v14
	;; [unrolled: 22-line block ×4, first 2 shown]
	v_cmp_gt_u32_e32 vcc, s3, v8
	s_and_saveexec_b64 s[4:5], vcc
	s_cbranch_execz .LBB1952_29
; %bb.28:
	global_load_ushort v8, v[12:13], off offset:1408
	s_mov_b32 s6, 0x5040100
	s_waitcnt vmcnt(0)
	v_perm_b32 v7, v8, v7, s6
.LBB1952_29:
	s_or_b64 exec, exec, s[4:5]
	s_load_dword s4, s[0:1], 0x64
	s_load_dword s26, s[0:1], 0x58
	s_add_u32 s5, s0, 0x58
	s_addc_u32 s6, s1, 0
	v_mov_b32_e32 v9, 0
	s_waitcnt lgkmcnt(0)
	s_lshr_b32 s7, s4, 16
	s_cmp_lt_u32 s2, s26
	s_cselect_b32 s4, 12, 18
	s_add_u32 s4, s5, s4
	s_addc_u32 s5, s6, 0
	global_load_ushort v28, v9, s[4:5]
	v_xor_b32_e32 v14, 0xffff8000, v2
	s_lshl_b32 s4, -1, s25
	v_lshrrev_b32_sdwa v17, s24, v14 dst_sel:DWORD dst_unused:UNUSED_PAD src0_sel:DWORD src1_sel:WORD_0
	s_not_b32 s33, s4
	v_bfe_u32 v8, v0, 10, 10
	v_bfe_u32 v13, v0, 20, 10
	v_and_b32_e32 v30, s33, v17
	v_mul_u32_u24_e32 v12, 5, v10
	v_mad_u32_u24 v29, v13, s7, v8
	v_and_b32_e32 v8, 1, v30
	v_lshlrev_b32_e32 v13, 30, v30
	v_lshlrev_b32_e32 v15, 2, v12
	v_mov_b32_e32 v12, v9
	v_mov_b32_e32 v18, v9
	v_lshlrev_b32_e32 v17, 29, v30
	v_lshlrev_b32_e32 v19, 28, v30
	v_lshl_add_u64 v[26:27], v[8:9], 0, -1
	v_cmp_ne_u32_e32 vcc, 0, v8
	v_not_b32_e32 v8, v13
	v_mov_b32_e32 v16, v9
	v_mov_b32_e32 v20, v9
	v_lshlrev_b32_e32 v21, 27, v30
	v_cmp_gt_i64_e64 s[4:5], 0, v[12:13]
	v_not_b32_e32 v12, v17
	v_cmp_gt_i64_e64 s[8:9], 0, v[18:19]
	v_not_b32_e32 v13, v19
	v_xor_b32_e32 v19, vcc_hi, v27
	v_ashrrev_i32_e32 v8, 31, v8
	v_mov_b32_e32 v22, v9
	v_lshlrev_b32_e32 v23, 26, v30
	v_cmp_gt_i64_e64 s[6:7], 0, v[16:17]
	v_cmp_gt_i64_e64 s[12:13], 0, v[20:21]
	v_not_b32_e32 v16, v21
	v_xor_b32_e32 v20, vcc_lo, v26
	v_ashrrev_i32_e32 v12, 31, v12
	v_and_b32_e32 v19, exec_hi, v19
	v_xor_b32_e32 v21, s5, v8
	v_cmp_gt_i64_e64 s[14:15], 0, v[22:23]
	v_ashrrev_i32_e32 v13, 31, v13
	v_and_b32_e32 v20, exec_lo, v20
	v_xor_b32_e32 v8, s4, v8
	v_xor_b32_e32 v22, s7, v12
	v_and_b32_e32 v19, v19, v21
	v_mov_b32_e32 v24, v9
	v_lshlrev_b32_e32 v25, 25, v30
	v_not_b32_e32 v17, v23
	v_ashrrev_i32_e32 v16, 31, v16
	v_xor_b32_e32 v12, s6, v12
	v_xor_b32_e32 v23, s9, v13
	v_and_b32_e32 v8, v20, v8
	v_and_b32_e32 v19, v19, v22
	v_cmp_gt_i64_e64 s[16:17], 0, v[24:25]
	v_not_b32_e32 v18, v25
	v_ashrrev_i32_e32 v17, 31, v17
	v_xor_b32_e32 v24, s13, v16
	v_and_b32_e32 v8, v8, v12
	v_and_b32_e32 v12, v19, v23
	v_ashrrev_i32_e32 v18, 31, v18
	v_xor_b32_e32 v13, s8, v13
	v_xor_b32_e32 v25, s15, v17
	v_and_b32_e32 v12, v12, v24
	v_xor_b32_e32 v16, s12, v16
	v_xor_b32_e32 v26, s17, v18
	v_and_b32_e32 v8, v8, v13
	v_and_b32_e32 v12, v12, v25
	;; [unrolled: 1-line block ×4, first 2 shown]
	v_xor_b32_e32 v17, s14, v17
	v_xor_b32_e32 v18, s16, v18
	v_and_b32_e32 v8, v8, v17
	v_and_b32_e32 v8, v8, v18
	v_mul_u32_u24_e32 v31, 17, v30
	s_movk_i32 s35, 0x8000
	ds_write2_b32 v15, v9, v9 offset0:16 offset1:17
	ds_write2_b32 v15, v9, v9 offset0:18 offset1:19
	ds_write_b32 v15, v9 offset:80
	s_waitcnt lgkmcnt(0)
	s_barrier
	s_waitcnt lgkmcnt(0)
	; wave barrier
	s_waitcnt vmcnt(0)
	v_mad_u64_u32 v[12:13], s[4:5], v29, v28, v[10:11]
	v_lshrrev_b32_e32 v26, 6, v12
	v_lshlrev_b32_e32 v13, 24, v30
	v_mov_b32_e32 v12, v9
	v_cmp_gt_i64_e32 vcc, 0, v[12:13]
	v_not_b32_e32 v12, v13
	v_ashrrev_i32_e32 v12, 31, v12
	v_xor_b32_e32 v13, vcc_hi, v12
	v_xor_b32_e32 v12, vcc_lo, v12
	v_and_b32_e32 v12, v8, v12
	v_and_b32_e32 v13, v16, v13
	v_mbcnt_lo_u32_b32 v8, v12, 0
	v_mbcnt_hi_u32_b32 v16, v13, v8
	v_cmp_eq_u32_e32 vcc, 0, v16
	v_cmp_ne_u64_e64 s[4:5], 0, v[12:13]
	v_add_lshl_u32 v19, v26, v31, 2
	s_and_b64 s[6:7], s[4:5], vcc
	s_and_saveexec_b64 s[4:5], s[6:7]
	s_cbranch_execz .LBB1952_31
; %bb.30:
	v_bcnt_u32_b32 v8, v12, 0
	v_bcnt_u32_b32 v8, v13, v8
	ds_write_b32 v19, v8 offset:64
.LBB1952_31:
	s_or_b64 exec, exec, s[4:5]
	v_xor_b32_sdwa v17, v2, s35 dst_sel:DWORD dst_unused:UNUSED_PAD src0_sel:WORD_1 src1_sel:DWORD
	v_lshrrev_b32_sdwa v2, s24, v17 dst_sel:DWORD dst_unused:UNUSED_PAD src0_sel:DWORD src1_sel:WORD_0
	v_and_b32_e32 v2, s33, v2
	v_mul_u32_u24_e32 v8, 17, v2
	v_add_lshl_u32 v20, v26, v8, 2
	v_and_b32_e32 v8, 1, v2
	v_lshl_add_u64 v[12:13], v[8:9], 0, -1
	v_cmp_ne_u32_e32 vcc, 0, v8
	; wave barrier
	s_nop 1
	v_xor_b32_e32 v12, vcc_lo, v12
	v_xor_b32_e32 v8, vcc_hi, v13
	v_and_b32_e32 v21, exec_lo, v12
	v_lshlrev_b32_e32 v13, 30, v2
	v_mov_b32_e32 v12, v9
	v_cmp_gt_i64_e32 vcc, 0, v[12:13]
	v_not_b32_e32 v12, v13
	v_ashrrev_i32_e32 v12, 31, v12
	v_and_b32_e32 v8, exec_hi, v8
	v_xor_b32_e32 v13, vcc_hi, v12
	v_xor_b32_e32 v12, vcc_lo, v12
	v_and_b32_e32 v8, v8, v13
	v_and_b32_e32 v21, v21, v12
	v_lshlrev_b32_e32 v13, 29, v2
	v_mov_b32_e32 v12, v9
	v_cmp_gt_i64_e32 vcc, 0, v[12:13]
	v_not_b32_e32 v12, v13
	v_ashrrev_i32_e32 v12, 31, v12
	v_xor_b32_e32 v13, vcc_hi, v12
	v_xor_b32_e32 v12, vcc_lo, v12
	v_and_b32_e32 v8, v8, v13
	v_and_b32_e32 v21, v21, v12
	v_lshlrev_b32_e32 v13, 28, v2
	v_mov_b32_e32 v12, v9
	v_cmp_gt_i64_e32 vcc, 0, v[12:13]
	v_not_b32_e32 v12, v13
	v_ashrrev_i32_e32 v12, 31, v12
	;; [unrolled: 9-line block ×5, first 2 shown]
	v_xor_b32_e32 v13, vcc_hi, v12
	v_xor_b32_e32 v12, vcc_lo, v12
	v_and_b32_e32 v8, v8, v13
	v_lshlrev_b32_e32 v13, 24, v2
	v_and_b32_e32 v21, v21, v12
	v_mov_b32_e32 v12, v9
	v_not_b32_e32 v2, v13
	v_cmp_gt_i64_e32 vcc, 0, v[12:13]
	v_ashrrev_i32_e32 v2, 31, v2
	ds_read_b32 v18, v20 offset:64
	v_xor_b32_e32 v9, vcc_hi, v2
	v_xor_b32_e32 v2, vcc_lo, v2
	v_and_b32_e32 v9, v8, v9
	v_and_b32_e32 v8, v21, v2
	v_mbcnt_lo_u32_b32 v2, v8, 0
	v_mbcnt_hi_u32_b32 v21, v9, v2
	v_cmp_eq_u32_e32 vcc, 0, v21
	v_cmp_ne_u64_e64 s[4:5], 0, v[8:9]
	s_and_b64 s[6:7], s[4:5], vcc
	; wave barrier
	s_and_saveexec_b64 s[4:5], s[6:7]
	s_cbranch_execz .LBB1952_33
; %bb.32:
	v_bcnt_u32_b32 v2, v8, 0
	v_bcnt_u32_b32 v2, v9, v2
	s_waitcnt lgkmcnt(0)
	v_add_u32_e32 v2, v18, v2
	ds_write_b32 v20, v2 offset:64
.LBB1952_33:
	s_or_b64 exec, exec, s[4:5]
	v_xor_b32_e32 v22, 0xffff8000, v3
	v_lshrrev_b32_sdwa v2, s24, v22 dst_sel:DWORD dst_unused:UNUSED_PAD src0_sel:DWORD src1_sel:WORD_0
	v_and_b32_e32 v2, s33, v2
	v_mul_u32_u24_e32 v8, 17, v2
	v_add_lshl_u32 v24, v26, v8, 2
	v_and_b32_e32 v8, 1, v2
	v_mov_b32_e32 v9, 0
	v_lshl_add_u64 v[12:13], v[8:9], 0, -1
	v_cmp_ne_u32_e32 vcc, 0, v8
	; wave barrier
	s_nop 1
	v_xor_b32_e32 v12, vcc_lo, v12
	v_xor_b32_e32 v8, vcc_hi, v13
	v_and_b32_e32 v25, exec_lo, v12
	v_lshlrev_b32_e32 v13, 30, v2
	v_mov_b32_e32 v12, v9
	v_cmp_gt_i64_e32 vcc, 0, v[12:13]
	v_not_b32_e32 v12, v13
	v_ashrrev_i32_e32 v12, 31, v12
	v_and_b32_e32 v8, exec_hi, v8
	v_xor_b32_e32 v13, vcc_hi, v12
	v_xor_b32_e32 v12, vcc_lo, v12
	v_and_b32_e32 v8, v8, v13
	v_and_b32_e32 v25, v25, v12
	v_lshlrev_b32_e32 v13, 29, v2
	v_mov_b32_e32 v12, v9
	v_cmp_gt_i64_e32 vcc, 0, v[12:13]
	v_not_b32_e32 v12, v13
	v_ashrrev_i32_e32 v12, 31, v12
	v_xor_b32_e32 v13, vcc_hi, v12
	v_xor_b32_e32 v12, vcc_lo, v12
	v_and_b32_e32 v8, v8, v13
	v_and_b32_e32 v25, v25, v12
	v_lshlrev_b32_e32 v13, 28, v2
	v_mov_b32_e32 v12, v9
	v_cmp_gt_i64_e32 vcc, 0, v[12:13]
	v_not_b32_e32 v12, v13
	v_ashrrev_i32_e32 v12, 31, v12
	;; [unrolled: 9-line block ×5, first 2 shown]
	v_xor_b32_e32 v13, vcc_hi, v12
	v_xor_b32_e32 v12, vcc_lo, v12
	v_and_b32_e32 v8, v8, v13
	v_lshlrev_b32_e32 v13, 24, v2
	v_and_b32_e32 v25, v25, v12
	v_mov_b32_e32 v12, v9
	v_not_b32_e32 v2, v13
	v_cmp_gt_i64_e32 vcc, 0, v[12:13]
	v_ashrrev_i32_e32 v2, 31, v2
	ds_read_b32 v23, v24 offset:64
	v_xor_b32_e32 v12, vcc_hi, v2
	v_xor_b32_e32 v2, vcc_lo, v2
	v_and_b32_e32 v13, v8, v12
	v_and_b32_e32 v12, v25, v2
	v_mbcnt_lo_u32_b32 v2, v12, 0
	v_mbcnt_hi_u32_b32 v25, v13, v2
	v_cmp_eq_u32_e32 vcc, 0, v25
	v_cmp_ne_u64_e64 s[4:5], 0, v[12:13]
	s_movk_i32 s6, 0x8000
	s_and_b64 s[8:9], s[4:5], vcc
	; wave barrier
	s_and_saveexec_b64 s[4:5], s[8:9]
	s_cbranch_execz .LBB1952_35
; %bb.34:
	v_bcnt_u32_b32 v2, v12, 0
	v_bcnt_u32_b32 v2, v13, v2
	s_waitcnt lgkmcnt(0)
	v_add_u32_e32 v2, v23, v2
	ds_write_b32 v24, v2 offset:64
.LBB1952_35:
	s_or_b64 exec, exec, s[4:5]
	v_xor_b32_sdwa v12, v3, s6 dst_sel:DWORD dst_unused:UNUSED_PAD src0_sel:WORD_1 src1_sel:DWORD
	v_lshrrev_b32_sdwa v2, s24, v12 dst_sel:DWORD dst_unused:UNUSED_PAD src0_sel:DWORD src1_sel:WORD_0
	v_and_b32_e32 v28, s33, v2
	v_mul_u32_u24_e32 v2, 17, v28
	v_and_b32_e32 v8, 1, v28
	v_add_lshl_u32 v27, v26, v2, 2
	v_lshl_add_u64 v[2:3], v[8:9], 0, -1
	v_cmp_ne_u32_e32 vcc, 0, v8
	; wave barrier
	s_nop 1
	v_xor_b32_e32 v3, vcc_hi, v3
	v_xor_b32_e32 v2, vcc_lo, v2
	v_and_b32_e32 v8, exec_hi, v3
	v_and_b32_e32 v29, exec_lo, v2
	v_lshlrev_b32_e32 v3, 30, v28
	v_mov_b32_e32 v2, v9
	v_cmp_gt_i64_e32 vcc, 0, v[2:3]
	v_not_b32_e32 v2, v3
	v_ashrrev_i32_e32 v2, 31, v2
	v_xor_b32_e32 v3, vcc_hi, v2
	v_xor_b32_e32 v2, vcc_lo, v2
	v_and_b32_e32 v8, v8, v3
	v_and_b32_e32 v29, v29, v2
	v_lshlrev_b32_e32 v3, 29, v28
	v_mov_b32_e32 v2, v9
	v_cmp_gt_i64_e32 vcc, 0, v[2:3]
	v_not_b32_e32 v2, v3
	v_ashrrev_i32_e32 v2, 31, v2
	v_xor_b32_e32 v3, vcc_hi, v2
	v_xor_b32_e32 v2, vcc_lo, v2
	v_and_b32_e32 v8, v8, v3
	v_and_b32_e32 v29, v29, v2
	;; [unrolled: 9-line block ×6, first 2 shown]
	v_lshlrev_b32_e32 v3, 24, v28
	v_mov_b32_e32 v2, v9
	v_cmp_gt_i64_e32 vcc, 0, v[2:3]
	v_not_b32_e32 v2, v3
	v_ashrrev_i32_e32 v2, 31, v2
	v_xor_b32_e32 v3, vcc_hi, v2
	v_xor_b32_e32 v2, vcc_lo, v2
	ds_read_b32 v13, v27 offset:64
	v_and_b32_e32 v2, v29, v2
	v_and_b32_e32 v3, v8, v3
	v_mbcnt_lo_u32_b32 v8, v2, 0
	v_mbcnt_hi_u32_b32 v28, v3, v8
	v_cmp_eq_u32_e32 vcc, 0, v28
	v_cmp_ne_u64_e64 s[4:5], 0, v[2:3]
	s_and_b64 s[6:7], s[4:5], vcc
	; wave barrier
	s_and_saveexec_b64 s[4:5], s[6:7]
	s_cbranch_execz .LBB1952_37
; %bb.36:
	v_bcnt_u32_b32 v2, v2, 0
	v_bcnt_u32_b32 v2, v3, v2
	s_waitcnt lgkmcnt(0)
	v_add_u32_e32 v2, v13, v2
	ds_write_b32 v27, v2 offset:64
.LBB1952_37:
	s_or_b64 exec, exec, s[4:5]
	v_xor_b32_e32 v29, 0xffff8000, v4
	v_lshrrev_b32_sdwa v2, s24, v29 dst_sel:DWORD dst_unused:UNUSED_PAD src0_sel:DWORD src1_sel:WORD_0
	v_and_b32_e32 v32, s33, v2
	v_mul_u32_u24_e32 v2, 17, v32
	v_add_lshl_u32 v31, v26, v2, 2
	v_and_b32_e32 v2, 1, v32
	v_mov_b32_e32 v3, 0
	v_lshl_add_u64 v[8:9], v[2:3], 0, -1
	v_cmp_ne_u32_e32 vcc, 0, v2
	; wave barrier
	s_nop 1
	v_xor_b32_e32 v8, vcc_lo, v8
	v_xor_b32_e32 v2, vcc_hi, v9
	v_and_b32_e32 v33, exec_lo, v8
	v_lshlrev_b32_e32 v9, 30, v32
	v_mov_b32_e32 v8, v3
	v_cmp_gt_i64_e32 vcc, 0, v[8:9]
	v_not_b32_e32 v8, v9
	v_ashrrev_i32_e32 v8, 31, v8
	v_and_b32_e32 v2, exec_hi, v2
	v_xor_b32_e32 v9, vcc_hi, v8
	v_xor_b32_e32 v8, vcc_lo, v8
	v_and_b32_e32 v2, v2, v9
	v_and_b32_e32 v33, v33, v8
	v_lshlrev_b32_e32 v9, 29, v32
	v_mov_b32_e32 v8, v3
	v_cmp_gt_i64_e32 vcc, 0, v[8:9]
	v_not_b32_e32 v8, v9
	v_ashrrev_i32_e32 v8, 31, v8
	v_xor_b32_e32 v9, vcc_hi, v8
	v_xor_b32_e32 v8, vcc_lo, v8
	v_and_b32_e32 v2, v2, v9
	v_and_b32_e32 v33, v33, v8
	v_lshlrev_b32_e32 v9, 28, v32
	v_mov_b32_e32 v8, v3
	v_cmp_gt_i64_e32 vcc, 0, v[8:9]
	v_not_b32_e32 v8, v9
	v_ashrrev_i32_e32 v8, 31, v8
	;; [unrolled: 9-line block ×6, first 2 shown]
	v_xor_b32_e32 v9, vcc_hi, v8
	v_xor_b32_e32 v8, vcc_lo, v8
	ds_read_b32 v30, v31 offset:64
	v_and_b32_e32 v8, v33, v8
	v_and_b32_e32 v9, v2, v9
	v_mbcnt_lo_u32_b32 v2, v8, 0
	v_mbcnt_hi_u32_b32 v33, v9, v2
	v_cmp_eq_u32_e32 vcc, 0, v33
	v_cmp_ne_u64_e64 s[4:5], 0, v[8:9]
	s_movk_i32 s6, 0x8000
	s_and_b64 s[8:9], s[4:5], vcc
	; wave barrier
	s_and_saveexec_b64 s[4:5], s[8:9]
	s_cbranch_execz .LBB1952_39
; %bb.38:
	v_bcnt_u32_b32 v2, v8, 0
	v_bcnt_u32_b32 v2, v9, v2
	s_waitcnt lgkmcnt(0)
	v_add_u32_e32 v2, v30, v2
	ds_write_b32 v31, v2 offset:64
.LBB1952_39:
	s_or_b64 exec, exec, s[4:5]
	v_xor_b32_sdwa v32, v4, s6 dst_sel:DWORD dst_unused:UNUSED_PAD src0_sel:WORD_1 src1_sel:DWORD
	v_lshrrev_b32_sdwa v2, s24, v32 dst_sel:DWORD dst_unused:UNUSED_PAD src0_sel:DWORD src1_sel:WORD_0
	v_and_b32_e32 v4, s33, v2
	v_mul_u32_u24_e32 v2, 17, v4
	v_add_lshl_u32 v35, v26, v2, 2
	v_and_b32_e32 v2, 1, v4
	v_lshl_add_u64 v[8:9], v[2:3], 0, -1
	v_cmp_ne_u32_e32 vcc, 0, v2
	; wave barrier
	s_nop 1
	v_xor_b32_e32 v8, vcc_lo, v8
	v_xor_b32_e32 v2, vcc_hi, v9
	v_and_b32_e32 v36, exec_lo, v8
	v_lshlrev_b32_e32 v9, 30, v4
	v_mov_b32_e32 v8, v3
	v_cmp_gt_i64_e32 vcc, 0, v[8:9]
	v_not_b32_e32 v8, v9
	v_ashrrev_i32_e32 v8, 31, v8
	v_and_b32_e32 v2, exec_hi, v2
	v_xor_b32_e32 v9, vcc_hi, v8
	v_xor_b32_e32 v8, vcc_lo, v8
	v_and_b32_e32 v2, v2, v9
	v_and_b32_e32 v36, v36, v8
	v_lshlrev_b32_e32 v9, 29, v4
	v_mov_b32_e32 v8, v3
	v_cmp_gt_i64_e32 vcc, 0, v[8:9]
	v_not_b32_e32 v8, v9
	v_ashrrev_i32_e32 v8, 31, v8
	v_xor_b32_e32 v9, vcc_hi, v8
	v_xor_b32_e32 v8, vcc_lo, v8
	v_and_b32_e32 v2, v2, v9
	v_and_b32_e32 v36, v36, v8
	v_lshlrev_b32_e32 v9, 28, v4
	v_mov_b32_e32 v8, v3
	v_cmp_gt_i64_e32 vcc, 0, v[8:9]
	v_not_b32_e32 v8, v9
	v_ashrrev_i32_e32 v8, 31, v8
	;; [unrolled: 9-line block ×5, first 2 shown]
	v_xor_b32_e32 v9, vcc_hi, v8
	v_xor_b32_e32 v8, vcc_lo, v8
	v_and_b32_e32 v2, v2, v9
	v_lshlrev_b32_e32 v9, 24, v4
	v_and_b32_e32 v36, v36, v8
	v_mov_b32_e32 v8, v3
	v_not_b32_e32 v3, v9
	v_cmp_gt_i64_e32 vcc, 0, v[8:9]
	v_ashrrev_i32_e32 v3, 31, v3
	ds_read_b32 v34, v35 offset:64
	v_xor_b32_e32 v4, vcc_hi, v3
	v_xor_b32_e32 v8, vcc_lo, v3
	v_and_b32_e32 v3, v2, v4
	v_and_b32_e32 v2, v36, v8
	v_mbcnt_lo_u32_b32 v4, v2, 0
	v_mbcnt_hi_u32_b32 v37, v3, v4
	v_cmp_eq_u32_e32 vcc, 0, v37
	v_cmp_ne_u64_e64 s[4:5], 0, v[2:3]
	s_and_b64 s[6:7], s[4:5], vcc
	; wave barrier
	s_and_saveexec_b64 s[4:5], s[6:7]
	s_cbranch_execz .LBB1952_41
; %bb.40:
	v_bcnt_u32_b32 v2, v2, 0
	v_bcnt_u32_b32 v2, v3, v2
	s_waitcnt lgkmcnt(0)
	v_add_u32_e32 v2, v34, v2
	ds_write_b32 v35, v2 offset:64
.LBB1952_41:
	s_or_b64 exec, exec, s[4:5]
	v_xor_b32_e32 v36, 0xffff8000, v5
	v_lshrrev_b32_sdwa v2, s24, v36 dst_sel:DWORD dst_unused:UNUSED_PAD src0_sel:DWORD src1_sel:WORD_0
	v_and_b32_e32 v4, s33, v2
	v_mul_u32_u24_e32 v2, 17, v4
	v_add_lshl_u32 v39, v26, v2, 2
	v_and_b32_e32 v2, 1, v4
	v_mov_b32_e32 v3, 0
	v_lshl_add_u64 v[8:9], v[2:3], 0, -1
	v_cmp_ne_u32_e32 vcc, 0, v2
	; wave barrier
	s_nop 1
	v_xor_b32_e32 v8, vcc_lo, v8
	v_xor_b32_e32 v2, vcc_hi, v9
	v_and_b32_e32 v40, exec_lo, v8
	v_lshlrev_b32_e32 v9, 30, v4
	v_mov_b32_e32 v8, v3
	v_cmp_gt_i64_e32 vcc, 0, v[8:9]
	v_not_b32_e32 v8, v9
	v_ashrrev_i32_e32 v8, 31, v8
	v_and_b32_e32 v2, exec_hi, v2
	v_xor_b32_e32 v9, vcc_hi, v8
	v_xor_b32_e32 v8, vcc_lo, v8
	v_and_b32_e32 v2, v2, v9
	v_and_b32_e32 v40, v40, v8
	v_lshlrev_b32_e32 v9, 29, v4
	v_mov_b32_e32 v8, v3
	v_cmp_gt_i64_e32 vcc, 0, v[8:9]
	v_not_b32_e32 v8, v9
	v_ashrrev_i32_e32 v8, 31, v8
	v_xor_b32_e32 v9, vcc_hi, v8
	v_xor_b32_e32 v8, vcc_lo, v8
	v_and_b32_e32 v2, v2, v9
	v_and_b32_e32 v40, v40, v8
	v_lshlrev_b32_e32 v9, 28, v4
	v_mov_b32_e32 v8, v3
	v_cmp_gt_i64_e32 vcc, 0, v[8:9]
	v_not_b32_e32 v8, v9
	v_ashrrev_i32_e32 v8, 31, v8
	;; [unrolled: 9-line block ×5, first 2 shown]
	v_xor_b32_e32 v9, vcc_hi, v8
	v_xor_b32_e32 v8, vcc_lo, v8
	v_and_b32_e32 v2, v2, v9
	v_lshlrev_b32_e32 v9, 24, v4
	v_and_b32_e32 v40, v40, v8
	v_mov_b32_e32 v8, v3
	v_not_b32_e32 v4, v9
	v_cmp_gt_i64_e32 vcc, 0, v[8:9]
	v_ashrrev_i32_e32 v4, 31, v4
	ds_read_b32 v38, v39 offset:64
	v_xor_b32_e32 v8, vcc_hi, v4
	v_xor_b32_e32 v4, vcc_lo, v4
	v_and_b32_e32 v9, v2, v8
	v_and_b32_e32 v8, v40, v4
	v_mbcnt_lo_u32_b32 v2, v8, 0
	v_mbcnt_hi_u32_b32 v40, v9, v2
	v_cmp_eq_u32_e32 vcc, 0, v40
	v_cmp_ne_u64_e64 s[4:5], 0, v[8:9]
	s_movk_i32 s6, 0x8000
	s_and_b64 s[8:9], s[4:5], vcc
	; wave barrier
	s_and_saveexec_b64 s[4:5], s[8:9]
	s_cbranch_execz .LBB1952_43
; %bb.42:
	v_bcnt_u32_b32 v2, v8, 0
	v_bcnt_u32_b32 v2, v9, v2
	s_waitcnt lgkmcnt(0)
	v_add_u32_e32 v2, v38, v2
	ds_write_b32 v39, v2 offset:64
.LBB1952_43:
	s_or_b64 exec, exec, s[4:5]
	v_xor_b32_sdwa v8, v5, s6 dst_sel:DWORD dst_unused:UNUSED_PAD src0_sel:WORD_1 src1_sel:DWORD
	v_lshrrev_b32_sdwa v2, s24, v8 dst_sel:DWORD dst_unused:UNUSED_PAD src0_sel:DWORD src1_sel:WORD_0
	v_and_b32_e32 v42, s33, v2
	v_mul_u32_u24_e32 v2, 17, v42
	v_add_lshl_u32 v41, v26, v2, 2
	v_and_b32_e32 v2, 1, v42
	v_lshl_add_u64 v[4:5], v[2:3], 0, -1
	v_cmp_ne_u32_e32 vcc, 0, v2
	; wave barrier
	s_nop 1
	v_xor_b32_e32 v4, vcc_lo, v4
	v_xor_b32_e32 v2, vcc_hi, v5
	v_and_b32_e32 v43, exec_lo, v4
	v_lshlrev_b32_e32 v5, 30, v42
	v_mov_b32_e32 v4, v3
	v_cmp_gt_i64_e32 vcc, 0, v[4:5]
	v_not_b32_e32 v4, v5
	v_ashrrev_i32_e32 v4, 31, v4
	v_and_b32_e32 v2, exec_hi, v2
	v_xor_b32_e32 v5, vcc_hi, v4
	v_xor_b32_e32 v4, vcc_lo, v4
	v_and_b32_e32 v2, v2, v5
	v_and_b32_e32 v43, v43, v4
	v_lshlrev_b32_e32 v5, 29, v42
	v_mov_b32_e32 v4, v3
	v_cmp_gt_i64_e32 vcc, 0, v[4:5]
	v_not_b32_e32 v4, v5
	v_ashrrev_i32_e32 v4, 31, v4
	v_xor_b32_e32 v5, vcc_hi, v4
	v_xor_b32_e32 v4, vcc_lo, v4
	v_and_b32_e32 v2, v2, v5
	v_and_b32_e32 v43, v43, v4
	v_lshlrev_b32_e32 v5, 28, v42
	v_mov_b32_e32 v4, v3
	v_cmp_gt_i64_e32 vcc, 0, v[4:5]
	v_not_b32_e32 v4, v5
	v_ashrrev_i32_e32 v4, 31, v4
	;; [unrolled: 9-line block ×5, first 2 shown]
	v_xor_b32_e32 v5, vcc_hi, v4
	v_xor_b32_e32 v4, vcc_lo, v4
	v_and_b32_e32 v2, v2, v5
	v_lshlrev_b32_e32 v5, 24, v42
	v_and_b32_e32 v43, v43, v4
	v_mov_b32_e32 v4, v3
	v_not_b32_e32 v3, v5
	v_cmp_gt_i64_e32 vcc, 0, v[4:5]
	v_ashrrev_i32_e32 v3, 31, v3
	ds_read_b32 v9, v41 offset:64
	v_xor_b32_e32 v4, vcc_hi, v3
	v_xor_b32_e32 v5, vcc_lo, v3
	v_and_b32_e32 v3, v2, v4
	v_and_b32_e32 v2, v43, v5
	v_mbcnt_lo_u32_b32 v4, v2, 0
	v_mbcnt_hi_u32_b32 v43, v3, v4
	v_cmp_eq_u32_e32 vcc, 0, v43
	v_cmp_ne_u64_e64 s[4:5], 0, v[2:3]
	s_and_b64 s[6:7], s[4:5], vcc
	; wave barrier
	s_and_saveexec_b64 s[4:5], s[6:7]
	s_cbranch_execz .LBB1952_45
; %bb.44:
	v_bcnt_u32_b32 v2, v2, 0
	v_bcnt_u32_b32 v2, v3, v2
	s_waitcnt lgkmcnt(0)
	v_add_u32_e32 v2, v9, v2
	ds_write_b32 v41, v2 offset:64
.LBB1952_45:
	s_or_b64 exec, exec, s[4:5]
	v_xor_b32_e32 v42, 0xffff8000, v6
	v_lshrrev_b32_sdwa v2, s24, v42 dst_sel:DWORD dst_unused:UNUSED_PAD src0_sel:DWORD src1_sel:WORD_0
	v_and_b32_e32 v46, s33, v2
	v_mul_u32_u24_e32 v2, 17, v46
	v_add_lshl_u32 v45, v26, v2, 2
	v_and_b32_e32 v2, 1, v46
	v_mov_b32_e32 v3, 0
	v_lshl_add_u64 v[4:5], v[2:3], 0, -1
	v_cmp_ne_u32_e32 vcc, 0, v2
	; wave barrier
	s_nop 1
	v_xor_b32_e32 v4, vcc_lo, v4
	v_xor_b32_e32 v2, vcc_hi, v5
	v_and_b32_e32 v47, exec_lo, v4
	v_lshlrev_b32_e32 v5, 30, v46
	v_mov_b32_e32 v4, v3
	v_cmp_gt_i64_e32 vcc, 0, v[4:5]
	v_not_b32_e32 v4, v5
	v_ashrrev_i32_e32 v4, 31, v4
	v_and_b32_e32 v2, exec_hi, v2
	v_xor_b32_e32 v5, vcc_hi, v4
	v_xor_b32_e32 v4, vcc_lo, v4
	v_and_b32_e32 v2, v2, v5
	v_and_b32_e32 v47, v47, v4
	v_lshlrev_b32_e32 v5, 29, v46
	v_mov_b32_e32 v4, v3
	v_cmp_gt_i64_e32 vcc, 0, v[4:5]
	v_not_b32_e32 v4, v5
	v_ashrrev_i32_e32 v4, 31, v4
	v_xor_b32_e32 v5, vcc_hi, v4
	v_xor_b32_e32 v4, vcc_lo, v4
	v_and_b32_e32 v2, v2, v5
	v_and_b32_e32 v47, v47, v4
	v_lshlrev_b32_e32 v5, 28, v46
	v_mov_b32_e32 v4, v3
	v_cmp_gt_i64_e32 vcc, 0, v[4:5]
	v_not_b32_e32 v4, v5
	v_ashrrev_i32_e32 v4, 31, v4
	;; [unrolled: 9-line block ×6, first 2 shown]
	v_xor_b32_e32 v5, vcc_hi, v4
	v_xor_b32_e32 v4, vcc_lo, v4
	ds_read_b32 v44, v45 offset:64
	v_and_b32_e32 v4, v47, v4
	v_and_b32_e32 v5, v2, v5
	v_mbcnt_lo_u32_b32 v2, v4, 0
	v_mbcnt_hi_u32_b32 v46, v5, v2
	v_cmp_eq_u32_e32 vcc, 0, v46
	v_cmp_ne_u64_e64 s[4:5], 0, v[4:5]
	s_movk_i32 s6, 0x8000
	s_and_b64 s[8:9], s[4:5], vcc
	; wave barrier
	s_and_saveexec_b64 s[4:5], s[8:9]
	s_cbranch_execz .LBB1952_47
; %bb.46:
	v_bcnt_u32_b32 v2, v4, 0
	v_bcnt_u32_b32 v2, v5, v2
	s_waitcnt lgkmcnt(0)
	v_add_u32_e32 v2, v44, v2
	ds_write_b32 v45, v2 offset:64
.LBB1952_47:
	s_or_b64 exec, exec, s[4:5]
	v_xor_b32_sdwa v6, v6, s6 dst_sel:DWORD dst_unused:UNUSED_PAD src0_sel:WORD_1 src1_sel:DWORD
	v_lshrrev_b32_sdwa v2, s24, v6 dst_sel:DWORD dst_unused:UNUSED_PAD src0_sel:DWORD src1_sel:WORD_0
	v_and_b32_e32 v49, s33, v2
	v_mul_u32_u24_e32 v2, 17, v49
	v_add_lshl_u32 v48, v26, v2, 2
	v_and_b32_e32 v2, 1, v49
	v_lshl_add_u64 v[4:5], v[2:3], 0, -1
	v_cmp_ne_u32_e32 vcc, 0, v2
	; wave barrier
	s_nop 1
	v_xor_b32_e32 v4, vcc_lo, v4
	v_xor_b32_e32 v2, vcc_hi, v5
	v_and_b32_e32 v50, exec_lo, v4
	v_lshlrev_b32_e32 v5, 30, v49
	v_mov_b32_e32 v4, v3
	v_cmp_gt_i64_e32 vcc, 0, v[4:5]
	v_not_b32_e32 v4, v5
	v_ashrrev_i32_e32 v4, 31, v4
	v_and_b32_e32 v2, exec_hi, v2
	v_xor_b32_e32 v5, vcc_hi, v4
	v_xor_b32_e32 v4, vcc_lo, v4
	v_and_b32_e32 v2, v2, v5
	v_and_b32_e32 v50, v50, v4
	v_lshlrev_b32_e32 v5, 29, v49
	v_mov_b32_e32 v4, v3
	v_cmp_gt_i64_e32 vcc, 0, v[4:5]
	v_not_b32_e32 v4, v5
	v_ashrrev_i32_e32 v4, 31, v4
	v_xor_b32_e32 v5, vcc_hi, v4
	v_xor_b32_e32 v4, vcc_lo, v4
	v_and_b32_e32 v2, v2, v5
	v_and_b32_e32 v50, v50, v4
	v_lshlrev_b32_e32 v5, 28, v49
	v_mov_b32_e32 v4, v3
	v_cmp_gt_i64_e32 vcc, 0, v[4:5]
	v_not_b32_e32 v4, v5
	v_ashrrev_i32_e32 v4, 31, v4
	;; [unrolled: 9-line block ×5, first 2 shown]
	v_xor_b32_e32 v5, vcc_hi, v4
	v_xor_b32_e32 v4, vcc_lo, v4
	v_and_b32_e32 v2, v2, v5
	v_lshlrev_b32_e32 v5, 24, v49
	v_and_b32_e32 v50, v50, v4
	v_mov_b32_e32 v4, v3
	v_not_b32_e32 v3, v5
	v_cmp_gt_i64_e32 vcc, 0, v[4:5]
	v_ashrrev_i32_e32 v3, 31, v3
	ds_read_b32 v47, v48 offset:64
	v_xor_b32_e32 v4, vcc_hi, v3
	v_xor_b32_e32 v5, vcc_lo, v3
	v_and_b32_e32 v3, v2, v4
	v_and_b32_e32 v2, v50, v5
	v_mbcnt_lo_u32_b32 v4, v2, 0
	v_mbcnt_hi_u32_b32 v50, v3, v4
	v_cmp_eq_u32_e32 vcc, 0, v50
	v_cmp_ne_u64_e64 s[4:5], 0, v[2:3]
	s_and_b64 s[6:7], s[4:5], vcc
	; wave barrier
	s_and_saveexec_b64 s[4:5], s[6:7]
	s_cbranch_execz .LBB1952_49
; %bb.48:
	v_bcnt_u32_b32 v2, v2, 0
	v_bcnt_u32_b32 v2, v3, v2
	s_waitcnt lgkmcnt(0)
	v_add_u32_e32 v2, v47, v2
	ds_write_b32 v48, v2 offset:64
.LBB1952_49:
	s_or_b64 exec, exec, s[4:5]
	v_xor_b32_e32 v49, 0xffff8000, v7
	v_lshrrev_b32_sdwa v2, s24, v49 dst_sel:DWORD dst_unused:UNUSED_PAD src0_sel:DWORD src1_sel:WORD_0
	v_and_b32_e32 v53, s33, v2
	v_mul_u32_u24_e32 v2, 17, v53
	v_add_lshl_u32 v52, v26, v2, 2
	v_and_b32_e32 v2, 1, v53
	v_mov_b32_e32 v3, 0
	v_lshl_add_u64 v[4:5], v[2:3], 0, -1
	v_cmp_ne_u32_e32 vcc, 0, v2
	; wave barrier
	s_nop 1
	v_xor_b32_e32 v4, vcc_lo, v4
	v_xor_b32_e32 v2, vcc_hi, v5
	v_and_b32_e32 v54, exec_lo, v4
	v_lshlrev_b32_e32 v5, 30, v53
	v_mov_b32_e32 v4, v3
	v_cmp_gt_i64_e32 vcc, 0, v[4:5]
	v_not_b32_e32 v4, v5
	v_ashrrev_i32_e32 v4, 31, v4
	v_and_b32_e32 v2, exec_hi, v2
	v_xor_b32_e32 v5, vcc_hi, v4
	v_xor_b32_e32 v4, vcc_lo, v4
	v_and_b32_e32 v2, v2, v5
	v_and_b32_e32 v54, v54, v4
	v_lshlrev_b32_e32 v5, 29, v53
	v_mov_b32_e32 v4, v3
	v_cmp_gt_i64_e32 vcc, 0, v[4:5]
	v_not_b32_e32 v4, v5
	v_ashrrev_i32_e32 v4, 31, v4
	v_xor_b32_e32 v5, vcc_hi, v4
	v_xor_b32_e32 v4, vcc_lo, v4
	v_and_b32_e32 v2, v2, v5
	v_and_b32_e32 v54, v54, v4
	v_lshlrev_b32_e32 v5, 28, v53
	v_mov_b32_e32 v4, v3
	v_cmp_gt_i64_e32 vcc, 0, v[4:5]
	v_not_b32_e32 v4, v5
	v_ashrrev_i32_e32 v4, 31, v4
	;; [unrolled: 9-line block ×6, first 2 shown]
	v_xor_b32_e32 v5, vcc_hi, v4
	v_xor_b32_e32 v4, vcc_lo, v4
	ds_read_b32 v51, v52 offset:64
	v_and_b32_e32 v4, v54, v4
	v_and_b32_e32 v5, v2, v5
	v_mbcnt_lo_u32_b32 v2, v4, 0
	v_mbcnt_hi_u32_b32 v53, v5, v2
	v_cmp_eq_u32_e32 vcc, 0, v53
	v_cmp_ne_u64_e64 s[4:5], 0, v[4:5]
	s_movk_i32 s6, 0x8000
	s_and_b64 s[8:9], s[4:5], vcc
	; wave barrier
	s_and_saveexec_b64 s[4:5], s[8:9]
	s_cbranch_execz .LBB1952_51
; %bb.50:
	v_bcnt_u32_b32 v2, v4, 0
	v_bcnt_u32_b32 v2, v5, v2
	s_waitcnt lgkmcnt(0)
	v_add_u32_e32 v2, v51, v2
	ds_write_b32 v52, v2 offset:64
.LBB1952_51:
	s_or_b64 exec, exec, s[4:5]
	v_xor_b32_sdwa v7, v7, s6 dst_sel:DWORD dst_unused:UNUSED_PAD src0_sel:WORD_1 src1_sel:DWORD
	v_lshrrev_b32_sdwa v2, s24, v7 dst_sel:DWORD dst_unused:UNUSED_PAD src0_sel:DWORD src1_sel:WORD_0
	v_and_b32_e32 v56, s33, v2
	v_mul_u32_u24_e32 v2, 17, v56
	v_add_lshl_u32 v54, v26, v2, 2
	v_and_b32_e32 v2, 1, v56
	v_lshl_add_u64 v[4:5], v[2:3], 0, -1
	v_cmp_ne_u32_e32 vcc, 0, v2
	; wave barrier
	s_nop 1
	v_xor_b32_e32 v4, vcc_lo, v4
	v_xor_b32_e32 v2, vcc_hi, v5
	v_and_b32_e32 v57, exec_lo, v4
	v_lshlrev_b32_e32 v5, 30, v56
	v_mov_b32_e32 v4, v3
	v_cmp_gt_i64_e32 vcc, 0, v[4:5]
	v_not_b32_e32 v4, v5
	v_ashrrev_i32_e32 v4, 31, v4
	v_and_b32_e32 v2, exec_hi, v2
	v_xor_b32_e32 v5, vcc_hi, v4
	v_xor_b32_e32 v4, vcc_lo, v4
	v_and_b32_e32 v2, v2, v5
	v_and_b32_e32 v57, v57, v4
	v_lshlrev_b32_e32 v5, 29, v56
	v_mov_b32_e32 v4, v3
	v_cmp_gt_i64_e32 vcc, 0, v[4:5]
	v_not_b32_e32 v4, v5
	v_ashrrev_i32_e32 v4, 31, v4
	v_xor_b32_e32 v5, vcc_hi, v4
	v_xor_b32_e32 v4, vcc_lo, v4
	v_and_b32_e32 v2, v2, v5
	v_and_b32_e32 v57, v57, v4
	v_lshlrev_b32_e32 v5, 28, v56
	v_mov_b32_e32 v4, v3
	v_cmp_gt_i64_e32 vcc, 0, v[4:5]
	v_not_b32_e32 v4, v5
	v_ashrrev_i32_e32 v4, 31, v4
	;; [unrolled: 9-line block ×5, first 2 shown]
	v_xor_b32_e32 v5, vcc_hi, v4
	v_xor_b32_e32 v4, vcc_lo, v4
	v_and_b32_e32 v2, v2, v5
	v_lshlrev_b32_e32 v5, 24, v56
	v_and_b32_e32 v57, v57, v4
	v_mov_b32_e32 v4, v3
	v_not_b32_e32 v3, v5
	v_cmp_gt_i64_e32 vcc, 0, v[4:5]
	v_ashrrev_i32_e32 v3, 31, v3
	ds_read_b32 v26, v54 offset:64
	v_xor_b32_e32 v4, vcc_hi, v3
	v_xor_b32_e32 v5, vcc_lo, v3
	v_and_b32_e32 v3, v2, v4
	v_and_b32_e32 v2, v57, v5
	v_mbcnt_lo_u32_b32 v4, v2, 0
	v_mbcnt_hi_u32_b32 v56, v3, v4
	v_cmp_eq_u32_e32 vcc, 0, v56
	v_cmp_ne_u64_e64 s[4:5], 0, v[2:3]
	v_add_u32_e32 v55, 64, v15
	s_and_b64 s[6:7], s[4:5], vcc
	; wave barrier
	s_and_saveexec_b64 s[4:5], s[6:7]
	s_cbranch_execz .LBB1952_53
; %bb.52:
	v_bcnt_u32_b32 v2, v2, 0
	v_bcnt_u32_b32 v2, v3, v2
	s_waitcnt lgkmcnt(0)
	v_add_u32_e32 v2, v26, v2
	ds_write_b32 v54, v2 offset:64
.LBB1952_53:
	s_or_b64 exec, exec, s[4:5]
	; wave barrier
	s_waitcnt lgkmcnt(0)
	s_barrier
	ds_read2_b32 v[4:5], v15 offset0:16 offset1:17
	ds_read2_b32 v[2:3], v55 offset0:2 offset1:3
	ds_read_b32 v57, v55 offset:16
	v_cmp_lt_u32_e64 s[12:13], 31, v11
	s_waitcnt lgkmcnt(1)
	v_add3_u32 v58, v5, v4, v2
	s_waitcnt lgkmcnt(0)
	v_add3_u32 v57, v58, v3, v57
	v_and_b32_e32 v58, 15, v11
	v_cmp_eq_u32_e32 vcc, 0, v58
	v_mov_b32_dpp v59, v57 row_shr:1 row_mask:0xf bank_mask:0xf
	v_cmp_lt_u32_e64 s[4:5], 1, v58
	v_cndmask_b32_e64 v59, v59, 0, vcc
	v_add_u32_e32 v57, v59, v57
	v_cmp_lt_u32_e64 s[6:7], 3, v58
	v_cmp_lt_u32_e64 s[8:9], 7, v58
	v_mov_b32_dpp v59, v57 row_shr:2 row_mask:0xf bank_mask:0xf
	v_cndmask_b32_e64 v59, 0, v59, s[4:5]
	v_add_u32_e32 v57, v57, v59
	s_nop 1
	v_mov_b32_dpp v59, v57 row_shr:4 row_mask:0xf bank_mask:0xf
	v_cndmask_b32_e64 v59, 0, v59, s[6:7]
	v_add_u32_e32 v57, v57, v59
	s_nop 1
	v_mov_b32_dpp v59, v57 row_shr:8 row_mask:0xf bank_mask:0xf
	v_cndmask_b32_e64 v58, 0, v59, s[8:9]
	v_add_u32_e32 v57, v57, v58
	v_bfe_i32 v59, v11, 4, 1
	s_nop 0
	v_mov_b32_dpp v58, v57 row_bcast:15 row_mask:0xf bank_mask:0xf
	v_and_b32_e32 v58, v59, v58
	v_add_u32_e32 v57, v57, v58
	v_and_b32_e32 v59, 63, v10
	s_nop 0
	v_mov_b32_dpp v58, v57 row_bcast:31 row_mask:0xf bank_mask:0xf
	v_cndmask_b32_e64 v58, 0, v58, s[12:13]
	v_add_u32_e32 v57, v57, v58
	v_lshrrev_b32_e32 v58, 6, v10
	v_cmp_eq_u32_e64 s[12:13], 63, v59
	s_and_saveexec_b64 s[14:15], s[12:13]
	s_cbranch_execz .LBB1952_55
; %bb.54:
	v_lshlrev_b32_e32 v59, 2, v58
	ds_write_b32 v59, v57
.LBB1952_55:
	s_or_b64 exec, exec, s[14:15]
	v_cmp_gt_u32_e64 s[12:13], 16, v10
	s_waitcnt lgkmcnt(0)
	s_barrier
	s_and_saveexec_b64 s[14:15], s[12:13]
	s_cbranch_execz .LBB1952_57
; %bb.56:
	v_lshlrev_b32_e32 v59, 2, v10
	ds_read_b32 v60, v59
	s_waitcnt lgkmcnt(0)
	s_nop 0
	v_mov_b32_dpp v61, v60 row_shr:1 row_mask:0xf bank_mask:0xf
	v_cndmask_b32_e64 v61, v61, 0, vcc
	v_add_u32_e32 v60, v61, v60
	s_nop 1
	v_mov_b32_dpp v61, v60 row_shr:2 row_mask:0xf bank_mask:0xf
	v_cndmask_b32_e64 v61, 0, v61, s[4:5]
	v_add_u32_e32 v60, v60, v61
	s_nop 1
	v_mov_b32_dpp v61, v60 row_shr:4 row_mask:0xf bank_mask:0xf
	v_cndmask_b32_e64 v61, 0, v61, s[6:7]
	;; [unrolled: 4-line block ×3, first 2 shown]
	v_add_u32_e32 v60, v60, v61
	ds_write_b32 v59, v60
.LBB1952_57:
	s_or_b64 exec, exec, s[14:15]
	v_cmp_lt_u32_e32 vcc, 63, v10
	v_mov_b32_e32 v59, 0
	s_waitcnt lgkmcnt(0)
	s_barrier
	s_and_saveexec_b64 s[4:5], vcc
	s_cbranch_execz .LBB1952_59
; %bb.58:
	v_lshl_add_u32 v58, v58, 2, -4
	ds_read_b32 v59, v58
.LBB1952_59:
	s_or_b64 exec, exec, s[4:5]
	v_add_u32_e32 v58, -1, v11
	v_and_b32_e32 v60, 64, v11
	v_cmp_lt_i32_e32 vcc, v58, v60
	s_waitcnt lgkmcnt(0)
	v_add_u32_e32 v57, v59, v57
	s_movk_i32 s4, 0x100
	v_cndmask_b32_e32 v58, v58, v11, vcc
	v_lshlrev_b32_e32 v58, 2, v58
	ds_bpermute_b32 v57, v58, v57
	v_cmp_eq_u32_e32 vcc, 0, v11
	s_waitcnt lgkmcnt(0)
	s_nop 0
	v_cndmask_b32_e32 v11, v57, v59, vcc
	v_cndmask_b32_e64 v11, v11, 0, s[10:11]
	v_add_u32_e32 v4, v11, v4
	v_add_u32_e32 v5, v4, v5
	;; [unrolled: 1-line block ×4, first 2 shown]
	ds_write2_b32 v15, v11, v4 offset0:16 offset1:17
	ds_write2_b32 v55, v5, v2 offset0:2 offset1:3
	ds_write_b32 v55, v3 offset:16
	s_waitcnt lgkmcnt(0)
	s_barrier
	ds_read_b32 v59, v19 offset:64
	ds_read_b32 v58, v20 offset:64
	;; [unrolled: 1-line block ×12, first 2 shown]
	v_cmp_gt_u32_e32 vcc, s4, v10
                                        ; implicit-def: $vgpr11
                                        ; implicit-def: $vgpr15
	s_and_saveexec_b64 s[6:7], vcc
	s_cbranch_execz .LBB1952_63
; %bb.60:
	v_mul_u32_u24_e32 v11, 17, v10
	v_lshlrev_b32_e32 v31, 2, v11
	ds_read_b32 v11, v31 offset:64
	s_movk_i32 s4, 0xff
	v_cmp_ne_u32_e64 s[4:5], s4, v10
	v_mov_b32_e32 v15, 0x3000
	s_and_saveexec_b64 s[8:9], s[4:5]
	s_cbranch_execz .LBB1952_62
; %bb.61:
	ds_read_b32 v15, v31 offset:132
.LBB1952_62:
	s_or_b64 exec, exec, s[8:9]
	s_waitcnt lgkmcnt(0)
	v_sub_u32_e32 v15, v15, v11
.LBB1952_63:
	s_or_b64 exec, exec, s[6:7]
	v_add_u32_e32 v18, v21, v18
	s_waitcnt lgkmcnt(11)
	v_add_lshl_u32 v16, v59, v16, 1
	v_add_u32_e32 v13, v28, v13
	v_add_u32_e32 v23, v25, v23
	s_waitcnt lgkmcnt(0)
	s_barrier
	ds_write_b16 v16, v14 offset:1024
	v_add_lshl_u32 v14, v18, v58, 1
	v_add_u32_e32 v30, v33, v30
	ds_write_b16 v14, v17 offset:1024
	v_add_lshl_u32 v14, v23, v57, 1
	v_add_lshl_u32 v13, v13, v55, 1
	v_add_u32_e32 v34, v37, v34
	ds_write_b16 v14, v22 offset:1024
	ds_write_b16 v13, v12 offset:1024
	v_add_lshl_u32 v12, v30, v27, 1
	v_add_u32_e32 v26, v56, v26
	v_add_u32_e32 v31, v53, v51
	;; [unrolled: 1-line block ×6, first 2 shown]
	ds_write_b16 v12, v29 offset:1024
	v_add_lshl_u32 v12, v34, v24, 1
	ds_write_b16 v12, v32 offset:1024
	v_add_lshl_u32 v12, v38, v20, 1
	v_add_lshl_u32 v9, v9, v19, 1
	;; [unrolled: 1-line block ×6, first 2 shown]
	ds_write_b16 v12, v36 offset:1024
	ds_write_b16 v9, v8 offset:1024
	;; [unrolled: 1-line block ×6, first 2 shown]
	s_and_saveexec_b64 s[6:7], vcc
	s_cbranch_execz .LBB1952_73
; %bb.64:
	v_lshl_or_b32 v4, s27, 8, v10
	v_mov_b32_e32 v5, 0
	v_lshl_add_u64 v[2:3], v[4:5], 2, s[18:19]
	v_or_b32_e32 v4, 2.0, v15
	s_mov_b64 s[8:9], 0
	s_brev_b32 s16, 1
	s_mov_b32 s17, s27
	v_mov_b32_e32 v8, 0
	global_store_dword v[2:3], v4, off sc1
                                        ; implicit-def: $sgpr4_sgpr5
	s_branch .LBB1952_66
.LBB1952_65:                            ;   in Loop: Header=BB1952_66 Depth=1
	s_or_b64 exec, exec, s[12:13]
	v_and_b32_e32 v6, 0x3fffffff, v9
	v_add_u32_e32 v8, v6, v8
	v_cmp_eq_u32_e64 s[4:5], s16, v4
	s_and_b64 s[12:13], exec, s[4:5]
	s_or_b64 s[8:9], s[12:13], s[8:9]
	s_andn2_b64 exec, exec, s[8:9]
	s_cbranch_execz .LBB1952_72
.LBB1952_66:                            ; =>This Loop Header: Depth=1
                                        ;     Child Loop BB1952_69 Depth 2
	s_or_b64 s[4:5], s[4:5], exec
	s_cmp_eq_u32 s17, 0
	s_cbranch_scc1 .LBB1952_71
; %bb.67:                               ;   in Loop: Header=BB1952_66 Depth=1
	s_add_i32 s17, s17, -1
	v_lshl_or_b32 v4, s17, 8, v10
	v_lshl_add_u64 v[6:7], v[4:5], 2, s[18:19]
	global_load_dword v9, v[6:7], off sc1
	s_waitcnt vmcnt(0)
	v_and_b32_e32 v4, -2.0, v9
	v_cmp_eq_u32_e64 s[4:5], 0, v4
	s_and_saveexec_b64 s[12:13], s[4:5]
	s_cbranch_execz .LBB1952_65
; %bb.68:                               ;   in Loop: Header=BB1952_66 Depth=1
	s_mov_b64 s[14:15], 0
.LBB1952_69:                            ;   Parent Loop BB1952_66 Depth=1
                                        ; =>  This Inner Loop Header: Depth=2
	global_load_dword v9, v[6:7], off sc1
	s_waitcnt vmcnt(0)
	v_and_b32_e32 v4, -2.0, v9
	v_cmp_ne_u32_e64 s[4:5], 0, v4
	s_or_b64 s[14:15], s[4:5], s[14:15]
	s_andn2_b64 exec, exec, s[14:15]
	s_cbranch_execnz .LBB1952_69
; %bb.70:                               ;   in Loop: Header=BB1952_66 Depth=1
	s_or_b64 exec, exec, s[14:15]
	s_branch .LBB1952_65
.LBB1952_71:                            ;   in Loop: Header=BB1952_66 Depth=1
                                        ; implicit-def: $sgpr17
	s_and_b64 s[12:13], exec, s[4:5]
	s_or_b64 s[8:9], s[12:13], s[8:9]
	s_andn2_b64 exec, exec, s[8:9]
	s_cbranch_execnz .LBB1952_66
.LBB1952_72:
	s_or_b64 exec, exec, s[8:9]
	v_add_u32_e32 v4, v8, v15
	v_or_b32_e32 v4, 0x80000000, v4
	global_store_dword v[2:3], v4, off sc1
	v_lshlrev_b32_e32 v2, 2, v10
	global_load_dword v3, v2, s[20:21]
	v_sub_u32_e32 v4, v8, v11
	s_waitcnt vmcnt(0)
	v_add_u32_e32 v3, v4, v3
	ds_write_b32 v2, v3
.LBB1952_73:
	s_or_b64 exec, exec, s[6:7]
	v_cmp_gt_u32_e64 s[4:5], s3, v10
	s_waitcnt lgkmcnt(0)
	s_barrier
	s_and_saveexec_b64 s[6:7], s[4:5]
	s_cbranch_execz .LBB1952_75
; %bb.74:
	v_lshlrev_b32_e32 v2, 1, v10
	ds_read_u16 v2, v2 offset:1024
	s_waitcnt lgkmcnt(0)
	v_lshrrev_b32_sdwa v3, s24, v2 dst_sel:DWORD dst_unused:UNUSED_PAD src0_sel:DWORD src1_sel:WORD_0
	v_and_b32_e32 v3, s33, v3
	v_lshlrev_b32_e32 v3, 2, v3
	ds_read_b32 v3, v3
	v_xor_b32_e32 v4, 0xffff8000, v2
	s_waitcnt lgkmcnt(0)
	v_add_u32_e32 v2, v3, v10
	v_mov_b32_e32 v3, 0
	v_lshl_add_u64 v[2:3], v[2:3], 1, s[30:31]
	global_store_short v[2:3], v4, off
.LBB1952_75:
	s_or_b64 exec, exec, s[6:7]
	v_or_b32_e32 v2, 0x400, v10
	v_cmp_gt_u32_e64 s[4:5], s3, v2
	s_and_saveexec_b64 s[6:7], s[4:5]
	s_cbranch_execz .LBB1952_77
; %bb.76:
	v_lshlrev_b32_e32 v3, 1, v10
	ds_read_u16 v3, v3 offset:3072
	s_waitcnt lgkmcnt(0)
	v_lshrrev_b32_sdwa v4, s24, v3 dst_sel:DWORD dst_unused:UNUSED_PAD src0_sel:DWORD src1_sel:WORD_0
	v_and_b32_e32 v4, s33, v4
	v_lshlrev_b32_e32 v4, 2, v4
	ds_read_b32 v4, v4
	v_xor_b32_e32 v5, 0xffff8000, v3
	v_mov_b32_e32 v3, 0
	s_waitcnt lgkmcnt(0)
	v_add_u32_e32 v2, v4, v2
	v_lshl_add_u64 v[2:3], v[2:3], 1, s[30:31]
	global_store_short v[2:3], v5, off
.LBB1952_77:
	s_or_b64 exec, exec, s[6:7]
	v_or_b32_e32 v2, 0x800, v10
	v_cmp_gt_u32_e64 s[4:5], s3, v2
	s_and_saveexec_b64 s[6:7], s[4:5]
	s_cbranch_execz .LBB1952_79
; %bb.78:
	v_lshlrev_b32_e32 v3, 1, v10
	ds_read_u16 v3, v3 offset:5120
	s_waitcnt lgkmcnt(0)
	v_lshrrev_b32_sdwa v4, s24, v3 dst_sel:DWORD dst_unused:UNUSED_PAD src0_sel:DWORD src1_sel:WORD_0
	v_and_b32_e32 v4, s33, v4
	v_lshlrev_b32_e32 v4, 2, v4
	ds_read_b32 v4, v4
	v_xor_b32_e32 v5, 0xffff8000, v3
	v_mov_b32_e32 v3, 0
	s_waitcnt lgkmcnt(0)
	v_add_u32_e32 v2, v4, v2
	v_lshl_add_u64 v[2:3], v[2:3], 1, s[30:31]
	global_store_short v[2:3], v5, off
.LBB1952_79:
	;; [unrolled: 20-line block ×11, first 2 shown]
	s_or_b64 exec, exec, s[6:7]
	s_add_i32 s26, s26, -1
	s_cmp_eq_u32 s26, s27
	s_cselect_b64 s[4:5], -1, 0
	s_and_b64 s[6:7], vcc, s[4:5]
	s_mov_b64 s[4:5], 0
	s_mov_b64 s[8:9], 0
                                        ; implicit-def: $vgpr2
	s_and_saveexec_b64 s[12:13], s[6:7]
	s_xor_b64 s[6:7], exec, s[12:13]
; %bb.98:
	s_mov_b64 s[8:9], exec
	v_add_u32_e32 v2, v11, v15
	v_mov_b32_e32 v11, 0
; %bb.99:
	s_or_b64 exec, exec, s[6:7]
	s_and_b64 vcc, exec, s[4:5]
	s_cbranch_vccnz .LBB1952_101
	s_branch .LBB1952_150
.LBB1952_100:
	s_mov_b64 s[8:9], 0
                                        ; implicit-def: $vgpr2
	s_cbranch_execz .LBB1952_150
.LBB1952_101:
	s_mov_b32 s35, 0
	s_load_dword s3, s[0:1], 0x64
	s_load_dword s14, s[0:1], 0x58
	s_lshl_b64 s[4:5], s[34:35], 1
	s_add_u32 s4, s28, s4
	v_mbcnt_hi_u32_b32 v4, -1, v1
	s_addc_u32 s5, s29, s5
	v_and_b32_e32 v1, 63, v4
	v_and_b32_e32 v2, 0x3c0, v10
	v_mov_b32_e32 v3, 0
	v_mul_u32_u24_e32 v5, 12, v2
	v_lshlrev_b32_e32 v2, 1, v1
	s_add_u32 s0, s0, 0x58
	v_lshl_add_u64 v[6:7], s[4:5], 0, v[2:3]
	v_lshlrev_b32_e32 v2, 1, v5
	s_addc_u32 s1, s1, 0
	s_waitcnt lgkmcnt(0)
	s_lshr_b32 s3, s3, 16
	v_lshl_add_u64 v[6:7], v[6:7], 0, v[2:3]
	s_cmp_lt_u32 s2, s14
	global_load_ushort v1, v[6:7], off
	s_cselect_b32 s2, 12, 18
	s_add_u32 s0, s0, s2
	s_addc_u32 s1, s1, 0
	global_load_ushort v8, v3, s[0:1]
	v_bfe_u32 v2, v0, 10, 10
	v_bfe_u32 v11, v0, 20, 10
	v_mul_u32_u24_e32 v0, 5, v10
	v_lshlrev_b32_e32 v5, 2, v0
	ds_write2_b32 v5, v3, v3 offset0:16 offset1:17
	ds_write2_b32 v5, v3, v3 offset0:18 offset1:19
	ds_write_b32 v5, v3 offset:80
	global_load_ushort v9, v[6:7], off offset:128
	global_load_ushort v14, v[6:7], off offset:256
	;; [unrolled: 1-line block ×11, first 2 shown]
	s_lshl_b32 s0, -1, s25
	s_not_b32 s15, s0
	v_mad_u32_u24 v7, v11, s3, v2
	v_mov_b32_e32 v0, v3
	v_mov_b32_e32 v12, v3
	;; [unrolled: 1-line block ×4, first 2 shown]
	s_waitcnt lgkmcnt(0)
	s_barrier
	s_waitcnt lgkmcnt(0)
	; wave barrier
	s_waitcnt vmcnt(12)
	v_xor_b32_e32 v6, 0xffff8000, v1
	v_lshrrev_b32_sdwa v1, s24, v6 dst_sel:DWORD dst_unused:UNUSED_PAD src0_sel:DWORD src1_sel:WORD_0
	v_and_b32_e32 v11, s15, v1
	v_and_b32_e32 v2, 1, v11
	v_lshlrev_b32_e32 v1, 30, v11
	s_waitcnt vmcnt(11)
	v_mad_u64_u32 v[30:31], s[0:1], v7, v8, v[10:11]
	v_lshlrev_b32_e32 v13, 29, v11
	v_lshlrev_b32_e32 v19, 28, v11
	v_lshl_add_u64 v[36:37], v[2:3], 0, -1
	v_cmp_ne_u32_e32 vcc, 0, v2
	v_cmp_gt_i64_e64 s[0:1], 0, v[0:1]
	v_not_b32_e32 v0, v1
	v_mul_u32_u24_e32 v15, 17, v11
	v_cmp_gt_i64_e64 s[2:3], 0, v[12:13]
	v_not_b32_e32 v1, v13
	v_cmp_gt_i64_e64 s[4:5], 0, v[18:19]
	v_lshrrev_b32_e32 v18, 6, v30
	v_xor_b32_e32 v12, vcc_hi, v37
	v_xor_b32_e32 v13, vcc_lo, v36
	v_ashrrev_i32_e32 v0, 31, v0
	v_lshlrev_b32_e32 v27, 27, v11
	v_not_b32_e32 v2, v19
	v_ashrrev_i32_e32 v1, 31, v1
	v_add_lshl_u32 v8, v18, v15, 2
	v_and_b32_e32 v12, exec_hi, v12
	v_and_b32_e32 v13, exec_lo, v13
	v_xor_b32_e32 v15, s1, v0
	v_xor_b32_e32 v0, s0, v0
	v_not_b32_e32 v7, v27
	v_ashrrev_i32_e32 v2, 31, v2
	v_xor_b32_e32 v16, s3, v1
	v_xor_b32_e32 v1, s2, v1
	v_and_b32_e32 v12, v12, v15
	v_and_b32_e32 v0, v13, v0
	v_cmp_gt_i64_e64 s[6:7], 0, v[26:27]
	v_ashrrev_i32_e32 v7, 31, v7
	v_xor_b32_e32 v19, s5, v2
	v_xor_b32_e32 v2, s4, v2
	v_and_b32_e32 v12, v12, v16
	v_and_b32_e32 v0, v0, v1
	v_xor_b32_e32 v21, s7, v7
	v_and_b32_e32 v1, v12, v19
	v_and_b32_e32 v0, v0, v2
	;; [unrolled: 3-line block ×3, first 2 shown]
	v_lshlrev_b32_e32 v1, 26, v11
	v_mov_b32_e32 v0, v3
	v_cmp_gt_i64_e32 vcc, 0, v[0:1]
	v_not_b32_e32 v0, v1
	v_ashrrev_i32_e32 v0, 31, v0
	v_xor_b32_e32 v1, vcc_hi, v0
	v_xor_b32_e32 v0, vcc_lo, v0
	v_and_b32_e32 v7, v7, v1
	v_and_b32_e32 v2, v2, v0
	v_lshlrev_b32_e32 v1, 25, v11
	v_mov_b32_e32 v0, v3
	v_cmp_gt_i64_e32 vcc, 0, v[0:1]
	v_not_b32_e32 v0, v1
	v_ashrrev_i32_e32 v0, 31, v0
	v_xor_b32_e32 v1, vcc_hi, v0
	v_xor_b32_e32 v0, vcc_lo, v0
	v_and_b32_e32 v7, v7, v1
	v_and_b32_e32 v2, v2, v0
	;; [unrolled: 9-line block ×3, first 2 shown]
	v_mbcnt_lo_u32_b32 v2, v0, 0
	v_mbcnt_hi_u32_b32 v7, v1, v2
	v_cmp_eq_u32_e32 vcc, 0, v7
	v_cmp_ne_u64_e64 s[0:1], 0, v[0:1]
	s_and_b64 s[2:3], s[0:1], vcc
	s_and_saveexec_b64 s[0:1], s[2:3]
	s_cbranch_execz .LBB1952_103
; %bb.102:
	v_bcnt_u32_b32 v0, v0, 0
	v_bcnt_u32_b32 v0, v1, v0
	ds_write_b32 v8, v0 offset:64
.LBB1952_103:
	s_or_b64 exec, exec, s[0:1]
	s_waitcnt vmcnt(10)
	v_xor_b32_e32 v9, 0xffff8000, v9
	v_lshrrev_b32_sdwa v0, s24, v9 dst_sel:DWORD dst_unused:UNUSED_PAD src0_sel:DWORD src1_sel:WORD_0
	v_and_b32_e32 v13, s15, v0
	v_mul_u32_u24_e32 v0, 17, v13
	v_and_b32_e32 v2, 1, v13
	v_add_lshl_u32 v12, v18, v0, 2
	v_lshl_add_u64 v[0:1], v[2:3], 0, -1
	v_cmp_ne_u32_e32 vcc, 0, v2
	; wave barrier
	s_nop 1
	v_xor_b32_e32 v1, vcc_hi, v1
	v_xor_b32_e32 v0, vcc_lo, v0
	v_and_b32_e32 v2, exec_hi, v1
	v_and_b32_e32 v15, exec_lo, v0
	v_lshlrev_b32_e32 v1, 30, v13
	v_mov_b32_e32 v0, v3
	v_cmp_gt_i64_e32 vcc, 0, v[0:1]
	v_not_b32_e32 v0, v1
	v_ashrrev_i32_e32 v0, 31, v0
	v_xor_b32_e32 v1, vcc_hi, v0
	v_xor_b32_e32 v0, vcc_lo, v0
	v_and_b32_e32 v2, v2, v1
	v_and_b32_e32 v15, v15, v0
	v_lshlrev_b32_e32 v1, 29, v13
	v_mov_b32_e32 v0, v3
	v_cmp_gt_i64_e32 vcc, 0, v[0:1]
	v_not_b32_e32 v0, v1
	v_ashrrev_i32_e32 v0, 31, v0
	v_xor_b32_e32 v1, vcc_hi, v0
	v_xor_b32_e32 v0, vcc_lo, v0
	v_and_b32_e32 v2, v2, v1
	v_and_b32_e32 v15, v15, v0
	;; [unrolled: 9-line block ×6, first 2 shown]
	v_lshlrev_b32_e32 v1, 24, v13
	v_mov_b32_e32 v0, v3
	v_cmp_gt_i64_e32 vcc, 0, v[0:1]
	v_not_b32_e32 v0, v1
	v_ashrrev_i32_e32 v0, 31, v0
	v_xor_b32_e32 v1, vcc_hi, v0
	v_xor_b32_e32 v0, vcc_lo, v0
	ds_read_b32 v11, v12 offset:64
	v_and_b32_e32 v0, v15, v0
	v_and_b32_e32 v1, v2, v1
	v_mbcnt_lo_u32_b32 v2, v0, 0
	v_mbcnt_hi_u32_b32 v13, v1, v2
	v_cmp_eq_u32_e32 vcc, 0, v13
	v_cmp_ne_u64_e64 s[0:1], 0, v[0:1]
	s_and_b64 s[2:3], s[0:1], vcc
	; wave barrier
	s_and_saveexec_b64 s[0:1], s[2:3]
	s_cbranch_execz .LBB1952_105
; %bb.104:
	v_bcnt_u32_b32 v0, v0, 0
	v_bcnt_u32_b32 v0, v1, v0
	s_waitcnt lgkmcnt(0)
	v_add_u32_e32 v0, v11, v0
	ds_write_b32 v12, v0 offset:64
.LBB1952_105:
	s_or_b64 exec, exec, s[0:1]
	s_waitcnt vmcnt(9)
	v_xor_b32_e32 v14, 0xffff8000, v14
	v_lshrrev_b32_sdwa v0, s24, v14 dst_sel:DWORD dst_unused:UNUSED_PAD src0_sel:DWORD src1_sel:WORD_0
	v_and_b32_e32 v19, s15, v0
	v_mul_u32_u24_e32 v0, 17, v19
	v_add_lshl_u32 v16, v18, v0, 2
	v_and_b32_e32 v0, 1, v19
	v_mov_b32_e32 v1, 0
	v_lshl_add_u64 v[2:3], v[0:1], 0, -1
	v_cmp_ne_u32_e32 vcc, 0, v0
	; wave barrier
	s_nop 1
	v_xor_b32_e32 v2, vcc_lo, v2
	v_xor_b32_e32 v0, vcc_hi, v3
	v_and_b32_e32 v21, exec_lo, v2
	v_lshlrev_b32_e32 v3, 30, v19
	v_mov_b32_e32 v2, v1
	v_cmp_gt_i64_e32 vcc, 0, v[2:3]
	v_not_b32_e32 v2, v3
	v_ashrrev_i32_e32 v2, 31, v2
	v_and_b32_e32 v0, exec_hi, v0
	v_xor_b32_e32 v3, vcc_hi, v2
	v_xor_b32_e32 v2, vcc_lo, v2
	v_and_b32_e32 v0, v0, v3
	v_and_b32_e32 v21, v21, v2
	v_lshlrev_b32_e32 v3, 29, v19
	v_mov_b32_e32 v2, v1
	v_cmp_gt_i64_e32 vcc, 0, v[2:3]
	v_not_b32_e32 v2, v3
	v_ashrrev_i32_e32 v2, 31, v2
	v_xor_b32_e32 v3, vcc_hi, v2
	v_xor_b32_e32 v2, vcc_lo, v2
	v_and_b32_e32 v0, v0, v3
	v_and_b32_e32 v21, v21, v2
	v_lshlrev_b32_e32 v3, 28, v19
	v_mov_b32_e32 v2, v1
	v_cmp_gt_i64_e32 vcc, 0, v[2:3]
	v_not_b32_e32 v2, v3
	v_ashrrev_i32_e32 v2, 31, v2
	;; [unrolled: 9-line block ×6, first 2 shown]
	v_xor_b32_e32 v3, vcc_hi, v2
	v_xor_b32_e32 v2, vcc_lo, v2
	ds_read_b32 v15, v16 offset:64
	v_and_b32_e32 v2, v21, v2
	v_and_b32_e32 v3, v0, v3
	v_mbcnt_lo_u32_b32 v0, v2, 0
	v_mbcnt_hi_u32_b32 v19, v3, v0
	v_cmp_eq_u32_e32 vcc, 0, v19
	v_cmp_ne_u64_e64 s[0:1], 0, v[2:3]
	s_and_b64 s[2:3], s[0:1], vcc
	; wave barrier
	s_and_saveexec_b64 s[0:1], s[2:3]
	s_cbranch_execz .LBB1952_107
; %bb.106:
	v_bcnt_u32_b32 v0, v2, 0
	v_bcnt_u32_b32 v0, v3, v0
	s_waitcnt lgkmcnt(0)
	v_add_u32_e32 v0, v15, v0
	ds_write_b32 v16, v0 offset:64
.LBB1952_107:
	s_or_b64 exec, exec, s[0:1]
	s_waitcnt vmcnt(8)
	v_xor_b32_e32 v20, 0xffff8000, v20
	v_lshrrev_b32_sdwa v0, s24, v20 dst_sel:DWORD dst_unused:UNUSED_PAD src0_sel:DWORD src1_sel:WORD_0
	v_and_b32_e32 v24, s15, v0
	v_mul_u32_u24_e32 v0, 17, v24
	v_add_lshl_u32 v22, v18, v0, 2
	v_and_b32_e32 v0, 1, v24
	v_lshl_add_u64 v[2:3], v[0:1], 0, -1
	v_cmp_ne_u32_e32 vcc, 0, v0
	; wave barrier
	s_nop 1
	v_xor_b32_e32 v2, vcc_lo, v2
	v_xor_b32_e32 v0, vcc_hi, v3
	v_and_b32_e32 v26, exec_lo, v2
	v_lshlrev_b32_e32 v3, 30, v24
	v_mov_b32_e32 v2, v1
	v_cmp_gt_i64_e32 vcc, 0, v[2:3]
	v_not_b32_e32 v2, v3
	v_ashrrev_i32_e32 v2, 31, v2
	v_and_b32_e32 v0, exec_hi, v0
	v_xor_b32_e32 v3, vcc_hi, v2
	v_xor_b32_e32 v2, vcc_lo, v2
	v_and_b32_e32 v0, v0, v3
	v_and_b32_e32 v26, v26, v2
	v_lshlrev_b32_e32 v3, 29, v24
	v_mov_b32_e32 v2, v1
	v_cmp_gt_i64_e32 vcc, 0, v[2:3]
	v_not_b32_e32 v2, v3
	v_ashrrev_i32_e32 v2, 31, v2
	v_xor_b32_e32 v3, vcc_hi, v2
	v_xor_b32_e32 v2, vcc_lo, v2
	v_and_b32_e32 v0, v0, v3
	v_and_b32_e32 v26, v26, v2
	v_lshlrev_b32_e32 v3, 28, v24
	v_mov_b32_e32 v2, v1
	v_cmp_gt_i64_e32 vcc, 0, v[2:3]
	v_not_b32_e32 v2, v3
	v_ashrrev_i32_e32 v2, 31, v2
	;; [unrolled: 9-line block ×5, first 2 shown]
	v_xor_b32_e32 v3, vcc_hi, v2
	v_xor_b32_e32 v2, vcc_lo, v2
	v_and_b32_e32 v0, v0, v3
	v_lshlrev_b32_e32 v3, 24, v24
	v_and_b32_e32 v26, v26, v2
	v_mov_b32_e32 v2, v1
	v_not_b32_e32 v1, v3
	v_cmp_gt_i64_e32 vcc, 0, v[2:3]
	v_ashrrev_i32_e32 v1, 31, v1
	ds_read_b32 v21, v22 offset:64
	v_xor_b32_e32 v2, vcc_hi, v1
	v_xor_b32_e32 v3, vcc_lo, v1
	v_and_b32_e32 v1, v0, v2
	v_and_b32_e32 v0, v26, v3
	v_mbcnt_lo_u32_b32 v2, v0, 0
	v_mbcnt_hi_u32_b32 v24, v1, v2
	v_cmp_eq_u32_e32 vcc, 0, v24
	v_cmp_ne_u64_e64 s[0:1], 0, v[0:1]
	s_and_b64 s[2:3], s[0:1], vcc
	; wave barrier
	s_and_saveexec_b64 s[0:1], s[2:3]
	s_cbranch_execz .LBB1952_109
; %bb.108:
	v_bcnt_u32_b32 v0, v0, 0
	v_bcnt_u32_b32 v0, v1, v0
	s_waitcnt lgkmcnt(0)
	v_add_u32_e32 v0, v21, v0
	ds_write_b32 v22, v0 offset:64
.LBB1952_109:
	s_or_b64 exec, exec, s[0:1]
	s_waitcnt vmcnt(7)
	v_xor_b32_e32 v25, 0xffff8000, v25
	v_lshrrev_b32_sdwa v0, s24, v25 dst_sel:DWORD dst_unused:UNUSED_PAD src0_sel:DWORD src1_sel:WORD_0
	v_and_b32_e32 v30, s15, v0
	v_mul_u32_u24_e32 v0, 17, v30
	v_add_lshl_u32 v27, v18, v0, 2
	v_and_b32_e32 v0, 1, v30
	v_mov_b32_e32 v1, 0
	v_lshl_add_u64 v[2:3], v[0:1], 0, -1
	v_cmp_ne_u32_e32 vcc, 0, v0
	; wave barrier
	s_nop 1
	v_xor_b32_e32 v2, vcc_lo, v2
	v_xor_b32_e32 v0, vcc_hi, v3
	v_and_b32_e32 v31, exec_lo, v2
	v_lshlrev_b32_e32 v3, 30, v30
	v_mov_b32_e32 v2, v1
	v_cmp_gt_i64_e32 vcc, 0, v[2:3]
	v_not_b32_e32 v2, v3
	v_ashrrev_i32_e32 v2, 31, v2
	v_and_b32_e32 v0, exec_hi, v0
	v_xor_b32_e32 v3, vcc_hi, v2
	v_xor_b32_e32 v2, vcc_lo, v2
	v_and_b32_e32 v0, v0, v3
	v_and_b32_e32 v31, v31, v2
	v_lshlrev_b32_e32 v3, 29, v30
	v_mov_b32_e32 v2, v1
	v_cmp_gt_i64_e32 vcc, 0, v[2:3]
	v_not_b32_e32 v2, v3
	v_ashrrev_i32_e32 v2, 31, v2
	v_xor_b32_e32 v3, vcc_hi, v2
	v_xor_b32_e32 v2, vcc_lo, v2
	v_and_b32_e32 v0, v0, v3
	v_and_b32_e32 v31, v31, v2
	v_lshlrev_b32_e32 v3, 28, v30
	v_mov_b32_e32 v2, v1
	v_cmp_gt_i64_e32 vcc, 0, v[2:3]
	v_not_b32_e32 v2, v3
	v_ashrrev_i32_e32 v2, 31, v2
	;; [unrolled: 9-line block ×6, first 2 shown]
	v_xor_b32_e32 v3, vcc_hi, v2
	v_xor_b32_e32 v2, vcc_lo, v2
	ds_read_b32 v26, v27 offset:64
	v_and_b32_e32 v2, v31, v2
	v_and_b32_e32 v3, v0, v3
	v_mbcnt_lo_u32_b32 v0, v2, 0
	v_mbcnt_hi_u32_b32 v30, v3, v0
	v_cmp_eq_u32_e32 vcc, 0, v30
	v_cmp_ne_u64_e64 s[0:1], 0, v[2:3]
	s_and_b64 s[2:3], s[0:1], vcc
	; wave barrier
	s_and_saveexec_b64 s[0:1], s[2:3]
	s_cbranch_execz .LBB1952_111
; %bb.110:
	v_bcnt_u32_b32 v0, v2, 0
	v_bcnt_u32_b32 v0, v3, v0
	s_waitcnt lgkmcnt(0)
	v_add_u32_e32 v0, v26, v0
	ds_write_b32 v27, v0 offset:64
.LBB1952_111:
	s_or_b64 exec, exec, s[0:1]
	s_waitcnt vmcnt(6)
	v_xor_b32_e32 v29, 0xffff8000, v29
	v_lshrrev_b32_sdwa v0, s24, v29 dst_sel:DWORD dst_unused:UNUSED_PAD src0_sel:DWORD src1_sel:WORD_0
	v_and_b32_e32 v35, s15, v0
	v_mul_u32_u24_e32 v0, 17, v35
	v_add_lshl_u32 v32, v18, v0, 2
	v_and_b32_e32 v0, 1, v35
	v_lshl_add_u64 v[2:3], v[0:1], 0, -1
	v_cmp_ne_u32_e32 vcc, 0, v0
	; wave barrier
	s_nop 1
	v_xor_b32_e32 v2, vcc_lo, v2
	v_xor_b32_e32 v0, vcc_hi, v3
	v_and_b32_e32 v36, exec_lo, v2
	v_lshlrev_b32_e32 v3, 30, v35
	v_mov_b32_e32 v2, v1
	v_cmp_gt_i64_e32 vcc, 0, v[2:3]
	v_not_b32_e32 v2, v3
	v_ashrrev_i32_e32 v2, 31, v2
	v_and_b32_e32 v0, exec_hi, v0
	v_xor_b32_e32 v3, vcc_hi, v2
	v_xor_b32_e32 v2, vcc_lo, v2
	v_and_b32_e32 v0, v0, v3
	v_and_b32_e32 v36, v36, v2
	v_lshlrev_b32_e32 v3, 29, v35
	v_mov_b32_e32 v2, v1
	v_cmp_gt_i64_e32 vcc, 0, v[2:3]
	v_not_b32_e32 v2, v3
	v_ashrrev_i32_e32 v2, 31, v2
	v_xor_b32_e32 v3, vcc_hi, v2
	v_xor_b32_e32 v2, vcc_lo, v2
	v_and_b32_e32 v0, v0, v3
	v_and_b32_e32 v36, v36, v2
	v_lshlrev_b32_e32 v3, 28, v35
	v_mov_b32_e32 v2, v1
	v_cmp_gt_i64_e32 vcc, 0, v[2:3]
	v_not_b32_e32 v2, v3
	v_ashrrev_i32_e32 v2, 31, v2
	;; [unrolled: 9-line block ×5, first 2 shown]
	v_xor_b32_e32 v3, vcc_hi, v2
	v_xor_b32_e32 v2, vcc_lo, v2
	v_and_b32_e32 v0, v0, v3
	v_lshlrev_b32_e32 v3, 24, v35
	v_and_b32_e32 v36, v36, v2
	v_mov_b32_e32 v2, v1
	v_not_b32_e32 v1, v3
	v_cmp_gt_i64_e32 vcc, 0, v[2:3]
	v_ashrrev_i32_e32 v1, 31, v1
	ds_read_b32 v31, v32 offset:64
	v_xor_b32_e32 v2, vcc_hi, v1
	v_xor_b32_e32 v3, vcc_lo, v1
	v_and_b32_e32 v1, v0, v2
	v_and_b32_e32 v0, v36, v3
	v_mbcnt_lo_u32_b32 v2, v0, 0
	v_mbcnt_hi_u32_b32 v35, v1, v2
	v_cmp_eq_u32_e32 vcc, 0, v35
	v_cmp_ne_u64_e64 s[0:1], 0, v[0:1]
	s_and_b64 s[2:3], s[0:1], vcc
	; wave barrier
	s_and_saveexec_b64 s[0:1], s[2:3]
	s_cbranch_execz .LBB1952_113
; %bb.112:
	v_bcnt_u32_b32 v0, v0, 0
	v_bcnt_u32_b32 v0, v1, v0
	s_waitcnt lgkmcnt(0)
	v_add_u32_e32 v0, v31, v0
	ds_write_b32 v32, v0 offset:64
.LBB1952_113:
	s_or_b64 exec, exec, s[0:1]
	s_waitcnt vmcnt(5)
	v_xor_b32_e32 v34, 0xffff8000, v34
	v_lshrrev_b32_sdwa v0, s24, v34 dst_sel:DWORD dst_unused:UNUSED_PAD src0_sel:DWORD src1_sel:WORD_0
	v_and_b32_e32 v39, s15, v0
	v_mul_u32_u24_e32 v0, 17, v39
	v_add_lshl_u32 v37, v18, v0, 2
	v_and_b32_e32 v0, 1, v39
	v_mov_b32_e32 v1, 0
	v_lshl_add_u64 v[2:3], v[0:1], 0, -1
	v_cmp_ne_u32_e32 vcc, 0, v0
	; wave barrier
	s_nop 1
	v_xor_b32_e32 v2, vcc_lo, v2
	v_xor_b32_e32 v0, vcc_hi, v3
	v_and_b32_e32 v40, exec_lo, v2
	v_lshlrev_b32_e32 v3, 30, v39
	v_mov_b32_e32 v2, v1
	v_cmp_gt_i64_e32 vcc, 0, v[2:3]
	v_not_b32_e32 v2, v3
	v_ashrrev_i32_e32 v2, 31, v2
	v_and_b32_e32 v0, exec_hi, v0
	v_xor_b32_e32 v3, vcc_hi, v2
	v_xor_b32_e32 v2, vcc_lo, v2
	v_and_b32_e32 v0, v0, v3
	v_and_b32_e32 v40, v40, v2
	v_lshlrev_b32_e32 v3, 29, v39
	v_mov_b32_e32 v2, v1
	v_cmp_gt_i64_e32 vcc, 0, v[2:3]
	v_not_b32_e32 v2, v3
	v_ashrrev_i32_e32 v2, 31, v2
	v_xor_b32_e32 v3, vcc_hi, v2
	v_xor_b32_e32 v2, vcc_lo, v2
	v_and_b32_e32 v0, v0, v3
	v_and_b32_e32 v40, v40, v2
	v_lshlrev_b32_e32 v3, 28, v39
	v_mov_b32_e32 v2, v1
	v_cmp_gt_i64_e32 vcc, 0, v[2:3]
	v_not_b32_e32 v2, v3
	v_ashrrev_i32_e32 v2, 31, v2
	;; [unrolled: 9-line block ×6, first 2 shown]
	v_xor_b32_e32 v3, vcc_hi, v2
	v_xor_b32_e32 v2, vcc_lo, v2
	ds_read_b32 v36, v37 offset:64
	v_and_b32_e32 v2, v40, v2
	v_and_b32_e32 v3, v0, v3
	v_mbcnt_lo_u32_b32 v0, v2, 0
	v_mbcnt_hi_u32_b32 v39, v3, v0
	v_cmp_eq_u32_e32 vcc, 0, v39
	v_cmp_ne_u64_e64 s[0:1], 0, v[2:3]
	s_and_b64 s[2:3], s[0:1], vcc
	; wave barrier
	s_and_saveexec_b64 s[0:1], s[2:3]
	s_cbranch_execz .LBB1952_115
; %bb.114:
	v_bcnt_u32_b32 v0, v2, 0
	v_bcnt_u32_b32 v0, v3, v0
	s_waitcnt lgkmcnt(0)
	v_add_u32_e32 v0, v36, v0
	ds_write_b32 v37, v0 offset:64
.LBB1952_115:
	s_or_b64 exec, exec, s[0:1]
	s_waitcnt vmcnt(4)
	v_xor_b32_e32 v38, 0xffff8000, v38
	v_lshrrev_b32_sdwa v0, s24, v38 dst_sel:DWORD dst_unused:UNUSED_PAD src0_sel:DWORD src1_sel:WORD_0
	v_and_b32_e32 v42, s15, v0
	v_mul_u32_u24_e32 v0, 17, v42
	v_add_lshl_u32 v41, v18, v0, 2
	v_and_b32_e32 v0, 1, v42
	v_lshl_add_u64 v[2:3], v[0:1], 0, -1
	v_cmp_ne_u32_e32 vcc, 0, v0
	; wave barrier
	s_nop 1
	v_xor_b32_e32 v2, vcc_lo, v2
	v_xor_b32_e32 v0, vcc_hi, v3
	v_and_b32_e32 v43, exec_lo, v2
	v_lshlrev_b32_e32 v3, 30, v42
	v_mov_b32_e32 v2, v1
	v_cmp_gt_i64_e32 vcc, 0, v[2:3]
	v_not_b32_e32 v2, v3
	v_ashrrev_i32_e32 v2, 31, v2
	v_and_b32_e32 v0, exec_hi, v0
	v_xor_b32_e32 v3, vcc_hi, v2
	v_xor_b32_e32 v2, vcc_lo, v2
	v_and_b32_e32 v0, v0, v3
	v_and_b32_e32 v43, v43, v2
	v_lshlrev_b32_e32 v3, 29, v42
	v_mov_b32_e32 v2, v1
	v_cmp_gt_i64_e32 vcc, 0, v[2:3]
	v_not_b32_e32 v2, v3
	v_ashrrev_i32_e32 v2, 31, v2
	v_xor_b32_e32 v3, vcc_hi, v2
	v_xor_b32_e32 v2, vcc_lo, v2
	v_and_b32_e32 v0, v0, v3
	v_and_b32_e32 v43, v43, v2
	v_lshlrev_b32_e32 v3, 28, v42
	v_mov_b32_e32 v2, v1
	v_cmp_gt_i64_e32 vcc, 0, v[2:3]
	v_not_b32_e32 v2, v3
	v_ashrrev_i32_e32 v2, 31, v2
	;; [unrolled: 9-line block ×5, first 2 shown]
	v_xor_b32_e32 v3, vcc_hi, v2
	v_xor_b32_e32 v2, vcc_lo, v2
	v_and_b32_e32 v0, v0, v3
	v_lshlrev_b32_e32 v3, 24, v42
	v_and_b32_e32 v43, v43, v2
	v_mov_b32_e32 v2, v1
	v_not_b32_e32 v1, v3
	v_cmp_gt_i64_e32 vcc, 0, v[2:3]
	v_ashrrev_i32_e32 v1, 31, v1
	ds_read_b32 v40, v41 offset:64
	v_xor_b32_e32 v2, vcc_hi, v1
	v_xor_b32_e32 v3, vcc_lo, v1
	v_and_b32_e32 v1, v0, v2
	v_and_b32_e32 v0, v43, v3
	v_mbcnt_lo_u32_b32 v2, v0, 0
	v_mbcnt_hi_u32_b32 v42, v1, v2
	v_cmp_eq_u32_e32 vcc, 0, v42
	v_cmp_ne_u64_e64 s[0:1], 0, v[0:1]
	s_and_b64 s[2:3], s[0:1], vcc
	; wave barrier
	s_and_saveexec_b64 s[0:1], s[2:3]
	s_cbranch_execz .LBB1952_117
; %bb.116:
	v_bcnt_u32_b32 v0, v0, 0
	v_bcnt_u32_b32 v0, v1, v0
	s_waitcnt lgkmcnt(0)
	v_add_u32_e32 v0, v40, v0
	ds_write_b32 v41, v0 offset:64
.LBB1952_117:
	s_or_b64 exec, exec, s[0:1]
	s_waitcnt vmcnt(3)
	v_xor_b32_e32 v33, 0xffff8000, v33
	v_lshrrev_b32_sdwa v0, s24, v33 dst_sel:DWORD dst_unused:UNUSED_PAD src0_sel:DWORD src1_sel:WORD_0
	v_and_b32_e32 v45, s15, v0
	v_mul_u32_u24_e32 v0, 17, v45
	v_add_lshl_u32 v44, v18, v0, 2
	v_and_b32_e32 v0, 1, v45
	v_mov_b32_e32 v1, 0
	v_lshl_add_u64 v[2:3], v[0:1], 0, -1
	v_cmp_ne_u32_e32 vcc, 0, v0
	; wave barrier
	s_nop 1
	v_xor_b32_e32 v2, vcc_lo, v2
	v_xor_b32_e32 v0, vcc_hi, v3
	v_and_b32_e32 v46, exec_lo, v2
	v_lshlrev_b32_e32 v3, 30, v45
	v_mov_b32_e32 v2, v1
	v_cmp_gt_i64_e32 vcc, 0, v[2:3]
	v_not_b32_e32 v2, v3
	v_ashrrev_i32_e32 v2, 31, v2
	v_and_b32_e32 v0, exec_hi, v0
	v_xor_b32_e32 v3, vcc_hi, v2
	v_xor_b32_e32 v2, vcc_lo, v2
	v_and_b32_e32 v0, v0, v3
	v_and_b32_e32 v46, v46, v2
	v_lshlrev_b32_e32 v3, 29, v45
	v_mov_b32_e32 v2, v1
	v_cmp_gt_i64_e32 vcc, 0, v[2:3]
	v_not_b32_e32 v2, v3
	v_ashrrev_i32_e32 v2, 31, v2
	v_xor_b32_e32 v3, vcc_hi, v2
	v_xor_b32_e32 v2, vcc_lo, v2
	v_and_b32_e32 v0, v0, v3
	v_and_b32_e32 v46, v46, v2
	v_lshlrev_b32_e32 v3, 28, v45
	v_mov_b32_e32 v2, v1
	v_cmp_gt_i64_e32 vcc, 0, v[2:3]
	v_not_b32_e32 v2, v3
	v_ashrrev_i32_e32 v2, 31, v2
	;; [unrolled: 9-line block ×6, first 2 shown]
	v_xor_b32_e32 v3, vcc_hi, v2
	v_xor_b32_e32 v2, vcc_lo, v2
	ds_read_b32 v43, v44 offset:64
	v_and_b32_e32 v2, v46, v2
	v_and_b32_e32 v3, v0, v3
	v_mbcnt_lo_u32_b32 v0, v2, 0
	v_mbcnt_hi_u32_b32 v45, v3, v0
	v_cmp_eq_u32_e32 vcc, 0, v45
	v_cmp_ne_u64_e64 s[0:1], 0, v[2:3]
	s_and_b64 s[2:3], s[0:1], vcc
	; wave barrier
	s_and_saveexec_b64 s[0:1], s[2:3]
	s_cbranch_execz .LBB1952_119
; %bb.118:
	v_bcnt_u32_b32 v0, v2, 0
	v_bcnt_u32_b32 v0, v3, v0
	s_waitcnt lgkmcnt(0)
	v_add_u32_e32 v0, v43, v0
	ds_write_b32 v44, v0 offset:64
.LBB1952_119:
	s_or_b64 exec, exec, s[0:1]
	s_waitcnt vmcnt(2)
	v_xor_b32_e32 v28, 0xffff8000, v28
	v_lshrrev_b32_sdwa v0, s24, v28 dst_sel:DWORD dst_unused:UNUSED_PAD src0_sel:DWORD src1_sel:WORD_0
	v_and_b32_e32 v48, s15, v0
	v_mul_u32_u24_e32 v0, 17, v48
	v_add_lshl_u32 v47, v18, v0, 2
	v_and_b32_e32 v0, 1, v48
	v_lshl_add_u64 v[2:3], v[0:1], 0, -1
	v_cmp_ne_u32_e32 vcc, 0, v0
	; wave barrier
	s_nop 1
	v_xor_b32_e32 v2, vcc_lo, v2
	v_xor_b32_e32 v0, vcc_hi, v3
	v_and_b32_e32 v49, exec_lo, v2
	v_lshlrev_b32_e32 v3, 30, v48
	v_mov_b32_e32 v2, v1
	v_cmp_gt_i64_e32 vcc, 0, v[2:3]
	v_not_b32_e32 v2, v3
	v_ashrrev_i32_e32 v2, 31, v2
	v_and_b32_e32 v0, exec_hi, v0
	v_xor_b32_e32 v3, vcc_hi, v2
	v_xor_b32_e32 v2, vcc_lo, v2
	v_and_b32_e32 v0, v0, v3
	v_and_b32_e32 v49, v49, v2
	v_lshlrev_b32_e32 v3, 29, v48
	v_mov_b32_e32 v2, v1
	v_cmp_gt_i64_e32 vcc, 0, v[2:3]
	v_not_b32_e32 v2, v3
	v_ashrrev_i32_e32 v2, 31, v2
	v_xor_b32_e32 v3, vcc_hi, v2
	v_xor_b32_e32 v2, vcc_lo, v2
	v_and_b32_e32 v0, v0, v3
	v_and_b32_e32 v49, v49, v2
	v_lshlrev_b32_e32 v3, 28, v48
	v_mov_b32_e32 v2, v1
	v_cmp_gt_i64_e32 vcc, 0, v[2:3]
	v_not_b32_e32 v2, v3
	v_ashrrev_i32_e32 v2, 31, v2
	;; [unrolled: 9-line block ×5, first 2 shown]
	v_xor_b32_e32 v3, vcc_hi, v2
	v_xor_b32_e32 v2, vcc_lo, v2
	v_and_b32_e32 v0, v0, v3
	v_lshlrev_b32_e32 v3, 24, v48
	v_and_b32_e32 v49, v49, v2
	v_mov_b32_e32 v2, v1
	v_not_b32_e32 v1, v3
	v_cmp_gt_i64_e32 vcc, 0, v[2:3]
	v_ashrrev_i32_e32 v1, 31, v1
	ds_read_b32 v46, v47 offset:64
	v_xor_b32_e32 v2, vcc_hi, v1
	v_xor_b32_e32 v3, vcc_lo, v1
	v_and_b32_e32 v1, v0, v2
	v_and_b32_e32 v0, v49, v3
	v_mbcnt_lo_u32_b32 v2, v0, 0
	v_mbcnt_hi_u32_b32 v48, v1, v2
	v_cmp_eq_u32_e32 vcc, 0, v48
	v_cmp_ne_u64_e64 s[0:1], 0, v[0:1]
	s_and_b64 s[2:3], s[0:1], vcc
	; wave barrier
	s_and_saveexec_b64 s[0:1], s[2:3]
	s_cbranch_execz .LBB1952_121
; %bb.120:
	v_bcnt_u32_b32 v0, v0, 0
	v_bcnt_u32_b32 v0, v1, v0
	s_waitcnt lgkmcnt(0)
	v_add_u32_e32 v0, v46, v0
	ds_write_b32 v47, v0 offset:64
.LBB1952_121:
	s_or_b64 exec, exec, s[0:1]
	s_waitcnt vmcnt(1)
	v_xor_b32_e32 v23, 0xffff8000, v23
	v_lshrrev_b32_sdwa v0, s24, v23 dst_sel:DWORD dst_unused:UNUSED_PAD src0_sel:DWORD src1_sel:WORD_0
	v_and_b32_e32 v51, s15, v0
	v_mul_u32_u24_e32 v0, 17, v51
	v_add_lshl_u32 v50, v18, v0, 2
	v_and_b32_e32 v0, 1, v51
	v_mov_b32_e32 v1, 0
	v_lshl_add_u64 v[2:3], v[0:1], 0, -1
	v_cmp_ne_u32_e32 vcc, 0, v0
	; wave barrier
	s_nop 1
	v_xor_b32_e32 v2, vcc_lo, v2
	v_xor_b32_e32 v0, vcc_hi, v3
	v_and_b32_e32 v52, exec_lo, v2
	v_lshlrev_b32_e32 v3, 30, v51
	v_mov_b32_e32 v2, v1
	v_cmp_gt_i64_e32 vcc, 0, v[2:3]
	v_not_b32_e32 v2, v3
	v_ashrrev_i32_e32 v2, 31, v2
	v_and_b32_e32 v0, exec_hi, v0
	v_xor_b32_e32 v3, vcc_hi, v2
	v_xor_b32_e32 v2, vcc_lo, v2
	v_and_b32_e32 v0, v0, v3
	v_and_b32_e32 v52, v52, v2
	v_lshlrev_b32_e32 v3, 29, v51
	v_mov_b32_e32 v2, v1
	v_cmp_gt_i64_e32 vcc, 0, v[2:3]
	v_not_b32_e32 v2, v3
	v_ashrrev_i32_e32 v2, 31, v2
	v_xor_b32_e32 v3, vcc_hi, v2
	v_xor_b32_e32 v2, vcc_lo, v2
	v_and_b32_e32 v0, v0, v3
	v_and_b32_e32 v52, v52, v2
	v_lshlrev_b32_e32 v3, 28, v51
	v_mov_b32_e32 v2, v1
	v_cmp_gt_i64_e32 vcc, 0, v[2:3]
	v_not_b32_e32 v2, v3
	v_ashrrev_i32_e32 v2, 31, v2
	;; [unrolled: 9-line block ×6, first 2 shown]
	v_xor_b32_e32 v3, vcc_hi, v2
	v_xor_b32_e32 v2, vcc_lo, v2
	ds_read_b32 v49, v50 offset:64
	v_and_b32_e32 v2, v52, v2
	v_and_b32_e32 v3, v0, v3
	v_mbcnt_lo_u32_b32 v0, v2, 0
	v_mbcnt_hi_u32_b32 v51, v3, v0
	v_cmp_eq_u32_e32 vcc, 0, v51
	v_cmp_ne_u64_e64 s[0:1], 0, v[2:3]
	s_and_b64 s[2:3], s[0:1], vcc
	; wave barrier
	s_and_saveexec_b64 s[0:1], s[2:3]
	s_cbranch_execz .LBB1952_123
; %bb.122:
	v_bcnt_u32_b32 v0, v2, 0
	v_bcnt_u32_b32 v0, v3, v0
	s_waitcnt lgkmcnt(0)
	v_add_u32_e32 v0, v49, v0
	ds_write_b32 v50, v0 offset:64
.LBB1952_123:
	s_or_b64 exec, exec, s[0:1]
	s_waitcnt vmcnt(0)
	v_xor_b32_e32 v17, 0xffff8000, v17
	v_lshrrev_b32_sdwa v0, s24, v17 dst_sel:DWORD dst_unused:UNUSED_PAD src0_sel:DWORD src1_sel:WORD_0
	v_and_b32_e32 v55, s15, v0
	v_mul_u32_u24_e32 v0, 17, v55
	v_add_lshl_u32 v53, v18, v0, 2
	v_and_b32_e32 v0, 1, v55
	v_lshl_add_u64 v[2:3], v[0:1], 0, -1
	v_cmp_ne_u32_e32 vcc, 0, v0
	; wave barrier
	s_nop 1
	v_xor_b32_e32 v2, vcc_lo, v2
	v_xor_b32_e32 v0, vcc_hi, v3
	v_and_b32_e32 v18, exec_lo, v2
	v_lshlrev_b32_e32 v3, 30, v55
	v_mov_b32_e32 v2, v1
	v_cmp_gt_i64_e32 vcc, 0, v[2:3]
	v_not_b32_e32 v2, v3
	v_ashrrev_i32_e32 v2, 31, v2
	v_and_b32_e32 v0, exec_hi, v0
	v_xor_b32_e32 v3, vcc_hi, v2
	v_xor_b32_e32 v2, vcc_lo, v2
	v_and_b32_e32 v0, v0, v3
	v_and_b32_e32 v18, v18, v2
	v_lshlrev_b32_e32 v3, 29, v55
	v_mov_b32_e32 v2, v1
	v_cmp_gt_i64_e32 vcc, 0, v[2:3]
	v_not_b32_e32 v2, v3
	v_ashrrev_i32_e32 v2, 31, v2
	v_xor_b32_e32 v3, vcc_hi, v2
	v_xor_b32_e32 v2, vcc_lo, v2
	v_and_b32_e32 v0, v0, v3
	v_and_b32_e32 v18, v18, v2
	v_lshlrev_b32_e32 v3, 28, v55
	v_mov_b32_e32 v2, v1
	v_cmp_gt_i64_e32 vcc, 0, v[2:3]
	v_not_b32_e32 v2, v3
	v_ashrrev_i32_e32 v2, 31, v2
	;; [unrolled: 9-line block ×5, first 2 shown]
	v_xor_b32_e32 v3, vcc_hi, v2
	v_xor_b32_e32 v2, vcc_lo, v2
	v_and_b32_e32 v0, v0, v3
	v_lshlrev_b32_e32 v3, 24, v55
	v_and_b32_e32 v18, v18, v2
	v_mov_b32_e32 v2, v1
	v_not_b32_e32 v1, v3
	v_cmp_gt_i64_e32 vcc, 0, v[2:3]
	v_ashrrev_i32_e32 v1, 31, v1
	ds_read_b32 v52, v53 offset:64
	v_xor_b32_e32 v2, vcc_hi, v1
	v_xor_b32_e32 v3, vcc_lo, v1
	v_and_b32_e32 v1, v0, v2
	v_and_b32_e32 v0, v18, v3
	v_mbcnt_lo_u32_b32 v2, v0, 0
	v_mbcnt_hi_u32_b32 v55, v1, v2
	v_cmp_eq_u32_e32 vcc, 0, v55
	v_cmp_ne_u64_e64 s[0:1], 0, v[0:1]
	v_add_u32_e32 v54, 64, v5
	s_and_b64 s[2:3], s[0:1], vcc
	; wave barrier
	s_and_saveexec_b64 s[0:1], s[2:3]
	s_cbranch_execz .LBB1952_125
; %bb.124:
	v_bcnt_u32_b32 v0, v0, 0
	v_bcnt_u32_b32 v0, v1, v0
	s_waitcnt lgkmcnt(0)
	v_add_u32_e32 v0, v52, v0
	ds_write_b32 v53, v0 offset:64
.LBB1952_125:
	s_or_b64 exec, exec, s[0:1]
	; wave barrier
	s_waitcnt lgkmcnt(0)
	s_barrier
	ds_read2_b32 v[2:3], v5 offset0:16 offset1:17
	ds_read2_b32 v[0:1], v54 offset0:2 offset1:3
	ds_read_b32 v18, v54 offset:16
	v_cmp_lt_u32_e64 s[2:3], 31, v4
	s_waitcnt lgkmcnt(1)
	v_add3_u32 v56, v3, v2, v0
	s_waitcnt lgkmcnt(0)
	v_add3_u32 v18, v56, v1, v18
	v_and_b32_e32 v56, 15, v4
	v_cmp_eq_u32_e32 vcc, 0, v56
	v_mov_b32_dpp v57, v18 row_shr:1 row_mask:0xf bank_mask:0xf
	v_cmp_lt_u32_e64 s[0:1], 1, v56
	v_cndmask_b32_e64 v57, v57, 0, vcc
	v_add_u32_e32 v18, v57, v18
	v_cmp_lt_u32_e64 s[4:5], 3, v56
	v_cmp_lt_u32_e64 s[6:7], 7, v56
	v_mov_b32_dpp v57, v18 row_shr:2 row_mask:0xf bank_mask:0xf
	v_cndmask_b32_e64 v57, 0, v57, s[0:1]
	v_add_u32_e32 v18, v18, v57
	s_nop 1
	v_mov_b32_dpp v57, v18 row_shr:4 row_mask:0xf bank_mask:0xf
	v_cndmask_b32_e64 v57, 0, v57, s[4:5]
	v_add_u32_e32 v18, v18, v57
	s_nop 1
	v_mov_b32_dpp v57, v18 row_shr:8 row_mask:0xf bank_mask:0xf
	v_cndmask_b32_e64 v56, 0, v57, s[6:7]
	v_add_u32_e32 v18, v18, v56
	v_bfe_i32 v57, v4, 4, 1
	s_nop 0
	v_mov_b32_dpp v56, v18 row_bcast:15 row_mask:0xf bank_mask:0xf
	v_and_b32_e32 v56, v57, v56
	v_add_u32_e32 v18, v18, v56
	v_lshrrev_b32_e32 v57, 6, v10
	s_nop 0
	v_mov_b32_dpp v56, v18 row_bcast:31 row_mask:0xf bank_mask:0xf
	v_cndmask_b32_e64 v56, 0, v56, s[2:3]
	v_add_u32_e32 v56, v18, v56
	v_and_b32_e32 v18, 63, v10
	v_cmp_eq_u32_e64 s[2:3], 63, v18
	s_and_saveexec_b64 s[12:13], s[2:3]
	s_cbranch_execz .LBB1952_127
; %bb.126:
	v_lshlrev_b32_e32 v18, 2, v57
	ds_write_b32 v18, v56
.LBB1952_127:
	s_or_b64 exec, exec, s[12:13]
	v_cmp_gt_u32_e64 s[2:3], 16, v10
	v_lshlrev_b32_e32 v18, 2, v10
	s_waitcnt lgkmcnt(0)
	s_barrier
	s_and_saveexec_b64 s[12:13], s[2:3]
	s_cbranch_execz .LBB1952_129
; %bb.128:
	ds_read_b32 v58, v18
	s_waitcnt lgkmcnt(0)
	s_nop 0
	v_mov_b32_dpp v59, v58 row_shr:1 row_mask:0xf bank_mask:0xf
	v_cndmask_b32_e64 v59, v59, 0, vcc
	v_add_u32_e32 v58, v59, v58
	s_nop 1
	v_mov_b32_dpp v59, v58 row_shr:2 row_mask:0xf bank_mask:0xf
	v_cndmask_b32_e64 v59, 0, v59, s[0:1]
	v_add_u32_e32 v58, v58, v59
	s_nop 1
	v_mov_b32_dpp v59, v58 row_shr:4 row_mask:0xf bank_mask:0xf
	v_cndmask_b32_e64 v59, 0, v59, s[4:5]
	;; [unrolled: 4-line block ×3, first 2 shown]
	v_add_u32_e32 v58, v58, v59
	ds_write_b32 v18, v58
.LBB1952_129:
	s_or_b64 exec, exec, s[12:13]
	v_cmp_lt_u32_e32 vcc, 63, v10
	v_mov_b32_e32 v58, 0
	s_waitcnt lgkmcnt(0)
	s_barrier
	s_and_saveexec_b64 s[0:1], vcc
	s_cbranch_execz .LBB1952_131
; %bb.130:
	v_lshl_add_u32 v57, v57, 2, -4
	ds_read_b32 v58, v57
.LBB1952_131:
	s_or_b64 exec, exec, s[0:1]
	v_add_u32_e32 v57, -1, v4
	v_and_b32_e32 v59, 64, v4
	v_cmp_lt_i32_e32 vcc, v57, v59
	s_waitcnt lgkmcnt(0)
	v_add_u32_e32 v56, v58, v56
	s_movk_i32 s2, 0xff
	v_cndmask_b32_e32 v57, v57, v4, vcc
	v_lshlrev_b32_e32 v57, 2, v57
	ds_bpermute_b32 v56, v57, v56
	v_cmp_eq_u32_e32 vcc, 0, v4
	s_movk_i32 s3, 0x100
	v_cmp_lt_u32_e64 s[0:1], s2, v10
	s_waitcnt lgkmcnt(0)
	v_cndmask_b32_e32 v4, v56, v58, vcc
	v_cndmask_b32_e64 v4, v4, 0, s[10:11]
	v_add_u32_e32 v2, v4, v2
	v_add_u32_e32 v3, v2, v3
	;; [unrolled: 1-line block ×4, first 2 shown]
	ds_write2_b32 v5, v4, v2 offset0:16 offset1:17
	ds_write2_b32 v54, v3, v0 offset0:2 offset1:3
	ds_write_b32 v54, v1 offset:16
	s_waitcnt lgkmcnt(0)
	s_barrier
	ds_read_b32 v58, v8 offset:64
	ds_read_b32 v57, v12 offset:64
	;; [unrolled: 1-line block ×12, first 2 shown]
	v_cmp_gt_u32_e32 vcc, s3, v10
                                        ; implicit-def: $vgpr8
                                        ; implicit-def: $vgpr12
	s_and_saveexec_b64 s[4:5], vcc
	s_cbranch_execz .LBB1952_135
; %bb.132:
	v_mul_u32_u24_e32 v8, 17, v10
	v_lshlrev_b32_e32 v27, 2, v8
	ds_read_b32 v8, v27 offset:64
	v_cmp_ne_u32_e64 s[2:3], s2, v10
	v_mov_b32_e32 v12, 0x3000
	s_and_saveexec_b64 s[6:7], s[2:3]
	s_cbranch_execz .LBB1952_134
; %bb.133:
	ds_read_b32 v12, v27 offset:132
.LBB1952_134:
	s_or_b64 exec, exec, s[6:7]
	s_waitcnt lgkmcnt(0)
	v_sub_u32_e32 v12, v12, v8
.LBB1952_135:
	s_or_b64 exec, exec, s[4:5]
	v_add_u32_e32 v11, v13, v11
	s_waitcnt lgkmcnt(11)
	v_add_lshl_u32 v7, v58, v7, 1
	v_add_u32_e32 v15, v19, v15
	s_waitcnt lgkmcnt(0)
	s_barrier
	ds_write_b16 v7, v6 offset:1024
	v_add_lshl_u32 v6, v11, v57, 1
	v_add_u32_e32 v21, v24, v21
	ds_write_b16 v6, v9 offset:1024
	v_add_lshl_u32 v6, v15, v56, 1
	v_add_u32_e32 v26, v30, v26
	;; [unrolled: 3-line block ×3, first 2 shown]
	v_add_u32_e32 v32, v51, v49
	v_add_u32_e32 v37, v48, v46
	;; [unrolled: 1-line block ×6, first 2 shown]
	ds_write_b16 v6, v20 offset:1024
	v_add_lshl_u32 v6, v26, v22, 1
	ds_write_b16 v6, v25 offset:1024
	v_add_lshl_u32 v6, v31, v16, 1
	v_add_lshl_u32 v5, v36, v5, 1
	;; [unrolled: 1-line block ×7, first 2 shown]
	ds_write_b16 v6, v29 offset:1024
	ds_write_b16 v5, v34 offset:1024
	;; [unrolled: 1-line block ×7, first 2 shown]
	s_and_saveexec_b64 s[2:3], s[0:1]
	s_xor_b64 s[0:1], exec, s[2:3]
; %bb.136:
	v_mov_b32_e32 v11, 0
                                        ; implicit-def: $vgpr18
; %bb.137:
	s_andn2_saveexec_b64 s[2:3], s[0:1]
	s_cbranch_execz .LBB1952_147
; %bb.138:
	v_lshl_or_b32 v2, s27, 8, v10
	v_mov_b32_e32 v3, 0
	v_lshl_add_u64 v[0:1], v[2:3], 2, s[18:19]
	v_or_b32_e32 v2, 2.0, v12
	s_mov_b64 s[4:5], 0
	s_brev_b32 s12, 1
	s_mov_b32 s13, s27
	v_mov_b32_e32 v6, 0
	global_store_dword v[0:1], v2, off sc1
                                        ; implicit-def: $sgpr0_sgpr1
	s_branch .LBB1952_141
.LBB1952_139:                           ;   in Loop: Header=BB1952_141 Depth=1
	s_or_b64 exec, exec, s[10:11]
.LBB1952_140:                           ;   in Loop: Header=BB1952_141 Depth=1
	s_or_b64 exec, exec, s[6:7]
	v_and_b32_e32 v4, 0x3fffffff, v7
	v_add_u32_e32 v6, v4, v6
	v_cmp_eq_u32_e64 s[0:1], s12, v2
	s_and_b64 s[6:7], exec, s[0:1]
	s_or_b64 s[4:5], s[6:7], s[4:5]
	s_andn2_b64 exec, exec, s[4:5]
	s_cbranch_execz .LBB1952_146
.LBB1952_141:                           ; =>This Loop Header: Depth=1
                                        ;     Child Loop BB1952_144 Depth 2
	s_or_b64 s[0:1], s[0:1], exec
	s_cmp_eq_u32 s13, 0
	s_cbranch_scc1 .LBB1952_145
; %bb.142:                              ;   in Loop: Header=BB1952_141 Depth=1
	s_add_i32 s13, s13, -1
	v_lshl_or_b32 v2, s13, 8, v10
	v_lshl_add_u64 v[4:5], v[2:3], 2, s[18:19]
	global_load_dword v7, v[4:5], off sc1
	s_waitcnt vmcnt(0)
	v_and_b32_e32 v2, -2.0, v7
	v_cmp_eq_u32_e64 s[0:1], 0, v2
	s_and_saveexec_b64 s[6:7], s[0:1]
	s_cbranch_execz .LBB1952_140
; %bb.143:                              ;   in Loop: Header=BB1952_141 Depth=1
	s_mov_b64 s[10:11], 0
.LBB1952_144:                           ;   Parent Loop BB1952_141 Depth=1
                                        ; =>  This Inner Loop Header: Depth=2
	global_load_dword v7, v[4:5], off sc1
	s_waitcnt vmcnt(0)
	v_and_b32_e32 v2, -2.0, v7
	v_cmp_ne_u32_e64 s[0:1], 0, v2
	s_or_b64 s[10:11], s[0:1], s[10:11]
	s_andn2_b64 exec, exec, s[10:11]
	s_cbranch_execnz .LBB1952_144
	s_branch .LBB1952_139
.LBB1952_145:                           ;   in Loop: Header=BB1952_141 Depth=1
                                        ; implicit-def: $sgpr13
	s_and_b64 s[6:7], exec, s[0:1]
	s_or_b64 s[4:5], s[6:7], s[4:5]
	s_andn2_b64 exec, exec, s[4:5]
	s_cbranch_execnz .LBB1952_141
.LBB1952_146:
	s_or_b64 exec, exec, s[4:5]
	v_add_u32_e32 v2, v6, v12
	v_or_b32_e32 v2, 0x80000000, v2
	global_store_dword v[0:1], v2, off sc1
	global_load_dword v0, v18, s[20:21]
	v_sub_u32_e32 v1, v6, v8
	v_mov_b32_e32 v11, 0
	s_waitcnt vmcnt(0)
	v_add_u32_e32 v0, v1, v0
	ds_write_b32 v18, v0
.LBB1952_147:
	s_or_b64 exec, exec, s[2:3]
	v_lshlrev_b32_e32 v0, 1, v10
	s_waitcnt lgkmcnt(0)
	s_barrier
	v_lshlrev_b32_e32 v1, 1, v10
	ds_read_u16 v0, v0 offset:1024
	ds_read_u16 v4, v1 offset:3072
	;; [unrolled: 1-line block ×7, first 2 shown]
	s_waitcnt lgkmcnt(6)
	v_lshrrev_b32_sdwa v2, s24, v0 dst_sel:DWORD dst_unused:UNUSED_PAD src0_sel:DWORD src1_sel:WORD_0
	v_and_b32_e32 v2, s15, v2
	s_waitcnt lgkmcnt(4)
	v_lshrrev_b32_sdwa v3, s24, v5 dst_sel:DWORD dst_unused:UNUSED_PAD src0_sel:DWORD src1_sel:WORD_0
	v_xor_b32_e32 v14, 0xffff8000, v0
	v_lshlrev_b32_e32 v0, 2, v2
	v_lshrrev_b32_sdwa v2, s24, v4 dst_sel:DWORD dst_unused:UNUSED_PAD src0_sel:DWORD src1_sel:WORD_0
	v_and_b32_e32 v3, s15, v3
	v_and_b32_e32 v2, s15, v2
	v_lshlrev_b32_e32 v3, 2, v3
	v_lshlrev_b32_e32 v2, 2, v2
	ds_read_b32 v15, v3
	ds_read_b32 v0, v0
	ds_read_u16 v16, v1 offset:5120
	ds_read_u16 v17, v1 offset:9216
	;; [unrolled: 1-line block ×4, first 2 shown]
	ds_read_b32 v20, v2
	ds_read_u16 v21, v1 offset:21504
	s_waitcnt lgkmcnt(6)
	v_add_u32_e32 v0, v0, v10
	v_mov_b32_e32 v1, 0
	s_movk_i32 s0, 0x400
	v_lshl_add_u64 v[2:3], v[0:1], 1, s[30:31]
	s_waitcnt lgkmcnt(1)
	v_add3_u32 v0, v20, v10, s0
	global_store_short v[2:3], v14, off
	v_xor_b32_e32 v4, 0xffff8000, v4
	v_lshl_add_u64 v[2:3], v[0:1], 1, s[30:31]
	global_store_short v[2:3], v4, off
	v_lshrrev_b32_sdwa v0, s24, v16 dst_sel:DWORD dst_unused:UNUSED_PAD src0_sel:DWORD src1_sel:WORD_0
	v_xor_b32_e32 v4, 0xffff8000, v16
	v_lshrrev_b32_sdwa v14, s24, v18 dst_sel:DWORD dst_unused:UNUSED_PAD src0_sel:DWORD src1_sel:WORD_0
	v_lshrrev_b32_sdwa v16, s24, v7 dst_sel:DWORD dst_unused:UNUSED_PAD src0_sel:DWORD src1_sel:WORD_0
	;; [unrolled: 1-line block ×4, first 2 shown]
	s_waitcnt lgkmcnt(0)
	v_lshrrev_b32_sdwa v23, s24, v21 dst_sel:DWORD dst_unused:UNUSED_PAD src0_sel:DWORD src1_sel:WORD_0
	v_and_b32_e32 v0, s15, v0
	v_lshrrev_b32_sdwa v2, s24, v17 dst_sel:DWORD dst_unused:UNUSED_PAD src0_sel:DWORD src1_sel:WORD_0
	v_lshrrev_b32_sdwa v3, s24, v6 dst_sel:DWORD dst_unused:UNUSED_PAD src0_sel:DWORD src1_sel:WORD_0
	v_and_b32_e32 v14, s15, v14
	v_and_b32_e32 v16, s15, v16
	;; [unrolled: 1-line block ×5, first 2 shown]
	v_lshlrev_b32_e32 v0, 2, v0
	v_and_b32_e32 v2, s15, v2
	v_and_b32_e32 v3, s15, v3
	v_lshlrev_b32_e32 v14, 2, v14
	v_lshlrev_b32_e32 v16, 2, v16
	;; [unrolled: 1-line block ×5, first 2 shown]
	s_movk_i32 s0, 0x800
	v_lshlrev_b32_e32 v2, 2, v2
	v_lshlrev_b32_e32 v3, 2, v3
	ds_read_b32 v0, v0
	ds_read_b32 v24, v2
	ds_read_b32 v25, v3
	ds_read_b32 v14, v14
	ds_read_b32 v16, v16
	ds_read_b32 v20, v20
	ds_read_b32 v22, v22
	ds_read_b32 v23, v23
	s_waitcnt lgkmcnt(7)
	v_add3_u32 v0, v0, v10, s0
	s_movk_i32 s0, 0xc00
	v_lshl_add_u64 v[2:3], v[0:1], 1, s[30:31]
	v_add3_u32 v0, v15, v10, s0
	s_movk_i32 s0, 0x1000
	global_store_short v[2:3], v4, off
	v_xor_b32_e32 v4, 0xffff8000, v5
	v_lshl_add_u64 v[2:3], v[0:1], 1, s[30:31]
	s_waitcnt lgkmcnt(6)
	v_add3_u32 v0, v24, v10, s0
	s_movk_i32 s0, 0x1400
	global_store_short v[2:3], v4, off
	v_xor_b32_e32 v4, 0xffff8000, v17
	v_lshl_add_u64 v[2:3], v[0:1], 1, s[30:31]
	s_waitcnt lgkmcnt(5)
	;; [unrolled: 6-line block ×6, first 2 shown]
	v_add3_u32 v0, v22, v10, s0
	global_store_short v[2:3], v4, off
	v_xor_b32_e32 v4, 0xffff8000, v9
	v_lshl_add_u64 v[2:3], v[0:1], 1, s[30:31]
	global_store_short v[2:3], v4, off
	v_lshrrev_b32_sdwa v2, s24, v13 dst_sel:DWORD dst_unused:UNUSED_PAD src0_sel:DWORD src1_sel:WORD_0
	v_and_b32_e32 v2, s15, v2
	v_lshlrev_b32_e32 v2, 2, v2
	ds_read_b32 v5, v2
	s_movk_i32 s0, 0x2800
	s_add_i32 s14, s14, -1
	s_waitcnt lgkmcnt(1)
	v_add3_u32 v0, v23, v10, s0
	s_movk_i32 s0, 0x2c00
	s_cmp_eq_u32 s14, s27
	v_xor_b32_e32 v4, 0xffff8000, v21
	v_lshl_add_u64 v[2:3], v[0:1], 1, s[30:31]
	s_waitcnt lgkmcnt(0)
	v_add3_u32 v0, v5, v10, s0
	s_cselect_b64 s[0:1], -1, 0
	global_store_short v[2:3], v4, off
	v_xor_b32_e32 v2, 0xffff8000, v13
	v_lshl_add_u64 v[0:1], v[0:1], 1, s[30:31]
	s_and_b64 s[2:3], vcc, s[0:1]
	global_store_short v[0:1], v2, off
                                        ; implicit-def: $vgpr2
	s_and_saveexec_b64 s[0:1], s[2:3]
; %bb.148:
	v_add_u32_e32 v2, v8, v12
	s_or_b64 s[8:9], s[8:9], exec
; %bb.149:
	s_or_b64 exec, exec, s[0:1]
.LBB1952_150:
	s_and_saveexec_b64 s[0:1], s[8:9]
	s_cbranch_execnz .LBB1952_152
; %bb.151:
	s_endpgm
.LBB1952_152:
	v_lshlrev_b32_e32 v0, 2, v10
	ds_read_b32 v3, v0
	v_mov_b32_e32 v0, s22
	v_mov_b32_e32 v1, s23
	v_lshl_add_u64 v[0:1], v[10:11], 2, v[0:1]
	s_waitcnt lgkmcnt(0)
	v_add_u32_e32 v2, v3, v2
	global_store_dword v[0:1], v2, off
	s_endpgm
	.section	.rodata,"a",@progbits
	.p2align	6, 0x0
	.amdhsa_kernel _ZN7rocprim17ROCPRIM_400000_NS6detail17trampoline_kernelINS0_14default_configENS1_35radix_sort_onesweep_config_selectorIsNS0_10empty_typeEEEZZNS1_29radix_sort_onesweep_iterationIS3_Lb0EN6thrust23THRUST_200600_302600_NS6detail15normal_iteratorINS9_10device_ptrIsEEEESE_PS5_SF_jNS0_19identity_decomposerENS1_16block_id_wrapperIjLb1EEEEE10hipError_tT1_PNSt15iterator_traitsISK_E10value_typeET2_T3_PNSL_ISQ_E10value_typeET4_T5_PSV_SW_PNS1_23onesweep_lookback_stateEbbT6_jjT7_P12ihipStream_tbENKUlT_T0_SK_SP_E_clISE_SE_SF_SF_EEDaS13_S14_SK_SP_EUlS13_E_NS1_11comp_targetILNS1_3genE5ELNS1_11target_archE942ELNS1_3gpuE9ELNS1_3repE0EEENS1_47radix_sort_onesweep_sort_config_static_selectorELNS0_4arch9wavefront6targetE1EEEvSK_
		.amdhsa_group_segment_fixed_size 25608
		.amdhsa_private_segment_fixed_size 0
		.amdhsa_kernarg_size 344
		.amdhsa_user_sgpr_count 2
		.amdhsa_user_sgpr_dispatch_ptr 0
		.amdhsa_user_sgpr_queue_ptr 0
		.amdhsa_user_sgpr_kernarg_segment_ptr 1
		.amdhsa_user_sgpr_dispatch_id 0
		.amdhsa_user_sgpr_kernarg_preload_length 0
		.amdhsa_user_sgpr_kernarg_preload_offset 0
		.amdhsa_user_sgpr_private_segment_size 0
		.amdhsa_uses_dynamic_stack 0
		.amdhsa_enable_private_segment 0
		.amdhsa_system_sgpr_workgroup_id_x 1
		.amdhsa_system_sgpr_workgroup_id_y 0
		.amdhsa_system_sgpr_workgroup_id_z 0
		.amdhsa_system_sgpr_workgroup_info 0
		.amdhsa_system_vgpr_workitem_id 2
		.amdhsa_next_free_vgpr 62
		.amdhsa_next_free_sgpr 36
		.amdhsa_accum_offset 64
		.amdhsa_reserve_vcc 1
		.amdhsa_float_round_mode_32 0
		.amdhsa_float_round_mode_16_64 0
		.amdhsa_float_denorm_mode_32 3
		.amdhsa_float_denorm_mode_16_64 3
		.amdhsa_dx10_clamp 1
		.amdhsa_ieee_mode 1
		.amdhsa_fp16_overflow 0
		.amdhsa_tg_split 0
		.amdhsa_exception_fp_ieee_invalid_op 0
		.amdhsa_exception_fp_denorm_src 0
		.amdhsa_exception_fp_ieee_div_zero 0
		.amdhsa_exception_fp_ieee_overflow 0
		.amdhsa_exception_fp_ieee_underflow 0
		.amdhsa_exception_fp_ieee_inexact 0
		.amdhsa_exception_int_div_zero 0
	.end_amdhsa_kernel
	.section	.text._ZN7rocprim17ROCPRIM_400000_NS6detail17trampoline_kernelINS0_14default_configENS1_35radix_sort_onesweep_config_selectorIsNS0_10empty_typeEEEZZNS1_29radix_sort_onesweep_iterationIS3_Lb0EN6thrust23THRUST_200600_302600_NS6detail15normal_iteratorINS9_10device_ptrIsEEEESE_PS5_SF_jNS0_19identity_decomposerENS1_16block_id_wrapperIjLb1EEEEE10hipError_tT1_PNSt15iterator_traitsISK_E10value_typeET2_T3_PNSL_ISQ_E10value_typeET4_T5_PSV_SW_PNS1_23onesweep_lookback_stateEbbT6_jjT7_P12ihipStream_tbENKUlT_T0_SK_SP_E_clISE_SE_SF_SF_EEDaS13_S14_SK_SP_EUlS13_E_NS1_11comp_targetILNS1_3genE5ELNS1_11target_archE942ELNS1_3gpuE9ELNS1_3repE0EEENS1_47radix_sort_onesweep_sort_config_static_selectorELNS0_4arch9wavefront6targetE1EEEvSK_,"axG",@progbits,_ZN7rocprim17ROCPRIM_400000_NS6detail17trampoline_kernelINS0_14default_configENS1_35radix_sort_onesweep_config_selectorIsNS0_10empty_typeEEEZZNS1_29radix_sort_onesweep_iterationIS3_Lb0EN6thrust23THRUST_200600_302600_NS6detail15normal_iteratorINS9_10device_ptrIsEEEESE_PS5_SF_jNS0_19identity_decomposerENS1_16block_id_wrapperIjLb1EEEEE10hipError_tT1_PNSt15iterator_traitsISK_E10value_typeET2_T3_PNSL_ISQ_E10value_typeET4_T5_PSV_SW_PNS1_23onesweep_lookback_stateEbbT6_jjT7_P12ihipStream_tbENKUlT_T0_SK_SP_E_clISE_SE_SF_SF_EEDaS13_S14_SK_SP_EUlS13_E_NS1_11comp_targetILNS1_3genE5ELNS1_11target_archE942ELNS1_3gpuE9ELNS1_3repE0EEENS1_47radix_sort_onesweep_sort_config_static_selectorELNS0_4arch9wavefront6targetE1EEEvSK_,comdat
.Lfunc_end1952:
	.size	_ZN7rocprim17ROCPRIM_400000_NS6detail17trampoline_kernelINS0_14default_configENS1_35radix_sort_onesweep_config_selectorIsNS0_10empty_typeEEEZZNS1_29radix_sort_onesweep_iterationIS3_Lb0EN6thrust23THRUST_200600_302600_NS6detail15normal_iteratorINS9_10device_ptrIsEEEESE_PS5_SF_jNS0_19identity_decomposerENS1_16block_id_wrapperIjLb1EEEEE10hipError_tT1_PNSt15iterator_traitsISK_E10value_typeET2_T3_PNSL_ISQ_E10value_typeET4_T5_PSV_SW_PNS1_23onesweep_lookback_stateEbbT6_jjT7_P12ihipStream_tbENKUlT_T0_SK_SP_E_clISE_SE_SF_SF_EEDaS13_S14_SK_SP_EUlS13_E_NS1_11comp_targetILNS1_3genE5ELNS1_11target_archE942ELNS1_3gpuE9ELNS1_3repE0EEENS1_47radix_sort_onesweep_sort_config_static_selectorELNS0_4arch9wavefront6targetE1EEEvSK_, .Lfunc_end1952-_ZN7rocprim17ROCPRIM_400000_NS6detail17trampoline_kernelINS0_14default_configENS1_35radix_sort_onesweep_config_selectorIsNS0_10empty_typeEEEZZNS1_29radix_sort_onesweep_iterationIS3_Lb0EN6thrust23THRUST_200600_302600_NS6detail15normal_iteratorINS9_10device_ptrIsEEEESE_PS5_SF_jNS0_19identity_decomposerENS1_16block_id_wrapperIjLb1EEEEE10hipError_tT1_PNSt15iterator_traitsISK_E10value_typeET2_T3_PNSL_ISQ_E10value_typeET4_T5_PSV_SW_PNS1_23onesweep_lookback_stateEbbT6_jjT7_P12ihipStream_tbENKUlT_T0_SK_SP_E_clISE_SE_SF_SF_EEDaS13_S14_SK_SP_EUlS13_E_NS1_11comp_targetILNS1_3genE5ELNS1_11target_archE942ELNS1_3gpuE9ELNS1_3repE0EEENS1_47radix_sort_onesweep_sort_config_static_selectorELNS0_4arch9wavefront6targetE1EEEvSK_
                                        ; -- End function
	.section	.AMDGPU.csdata,"",@progbits
; Kernel info:
; codeLenInByte = 16164
; NumSgprs: 42
; NumVgprs: 62
; NumAgprs: 0
; TotalNumVgprs: 62
; ScratchSize: 0
; MemoryBound: 0
; FloatMode: 240
; IeeeMode: 1
; LDSByteSize: 25608 bytes/workgroup (compile time only)
; SGPRBlocks: 5
; VGPRBlocks: 7
; NumSGPRsForWavesPerEU: 42
; NumVGPRsForWavesPerEU: 62
; AccumOffset: 64
; Occupancy: 8
; WaveLimiterHint : 1
; COMPUTE_PGM_RSRC2:SCRATCH_EN: 0
; COMPUTE_PGM_RSRC2:USER_SGPR: 2
; COMPUTE_PGM_RSRC2:TRAP_HANDLER: 0
; COMPUTE_PGM_RSRC2:TGID_X_EN: 1
; COMPUTE_PGM_RSRC2:TGID_Y_EN: 0
; COMPUTE_PGM_RSRC2:TGID_Z_EN: 0
; COMPUTE_PGM_RSRC2:TIDIG_COMP_CNT: 2
; COMPUTE_PGM_RSRC3_GFX90A:ACCUM_OFFSET: 15
; COMPUTE_PGM_RSRC3_GFX90A:TG_SPLIT: 0
	.section	.text._ZN7rocprim17ROCPRIM_400000_NS6detail17trampoline_kernelINS0_14default_configENS1_35radix_sort_onesweep_config_selectorIsNS0_10empty_typeEEEZZNS1_29radix_sort_onesweep_iterationIS3_Lb0EN6thrust23THRUST_200600_302600_NS6detail15normal_iteratorINS9_10device_ptrIsEEEESE_PS5_SF_jNS0_19identity_decomposerENS1_16block_id_wrapperIjLb1EEEEE10hipError_tT1_PNSt15iterator_traitsISK_E10value_typeET2_T3_PNSL_ISQ_E10value_typeET4_T5_PSV_SW_PNS1_23onesweep_lookback_stateEbbT6_jjT7_P12ihipStream_tbENKUlT_T0_SK_SP_E_clISE_SE_SF_SF_EEDaS13_S14_SK_SP_EUlS13_E_NS1_11comp_targetILNS1_3genE2ELNS1_11target_archE906ELNS1_3gpuE6ELNS1_3repE0EEENS1_47radix_sort_onesweep_sort_config_static_selectorELNS0_4arch9wavefront6targetE1EEEvSK_,"axG",@progbits,_ZN7rocprim17ROCPRIM_400000_NS6detail17trampoline_kernelINS0_14default_configENS1_35radix_sort_onesweep_config_selectorIsNS0_10empty_typeEEEZZNS1_29radix_sort_onesweep_iterationIS3_Lb0EN6thrust23THRUST_200600_302600_NS6detail15normal_iteratorINS9_10device_ptrIsEEEESE_PS5_SF_jNS0_19identity_decomposerENS1_16block_id_wrapperIjLb1EEEEE10hipError_tT1_PNSt15iterator_traitsISK_E10value_typeET2_T3_PNSL_ISQ_E10value_typeET4_T5_PSV_SW_PNS1_23onesweep_lookback_stateEbbT6_jjT7_P12ihipStream_tbENKUlT_T0_SK_SP_E_clISE_SE_SF_SF_EEDaS13_S14_SK_SP_EUlS13_E_NS1_11comp_targetILNS1_3genE2ELNS1_11target_archE906ELNS1_3gpuE6ELNS1_3repE0EEENS1_47radix_sort_onesweep_sort_config_static_selectorELNS0_4arch9wavefront6targetE1EEEvSK_,comdat
	.protected	_ZN7rocprim17ROCPRIM_400000_NS6detail17trampoline_kernelINS0_14default_configENS1_35radix_sort_onesweep_config_selectorIsNS0_10empty_typeEEEZZNS1_29radix_sort_onesweep_iterationIS3_Lb0EN6thrust23THRUST_200600_302600_NS6detail15normal_iteratorINS9_10device_ptrIsEEEESE_PS5_SF_jNS0_19identity_decomposerENS1_16block_id_wrapperIjLb1EEEEE10hipError_tT1_PNSt15iterator_traitsISK_E10value_typeET2_T3_PNSL_ISQ_E10value_typeET4_T5_PSV_SW_PNS1_23onesweep_lookback_stateEbbT6_jjT7_P12ihipStream_tbENKUlT_T0_SK_SP_E_clISE_SE_SF_SF_EEDaS13_S14_SK_SP_EUlS13_E_NS1_11comp_targetILNS1_3genE2ELNS1_11target_archE906ELNS1_3gpuE6ELNS1_3repE0EEENS1_47radix_sort_onesweep_sort_config_static_selectorELNS0_4arch9wavefront6targetE1EEEvSK_ ; -- Begin function _ZN7rocprim17ROCPRIM_400000_NS6detail17trampoline_kernelINS0_14default_configENS1_35radix_sort_onesweep_config_selectorIsNS0_10empty_typeEEEZZNS1_29radix_sort_onesweep_iterationIS3_Lb0EN6thrust23THRUST_200600_302600_NS6detail15normal_iteratorINS9_10device_ptrIsEEEESE_PS5_SF_jNS0_19identity_decomposerENS1_16block_id_wrapperIjLb1EEEEE10hipError_tT1_PNSt15iterator_traitsISK_E10value_typeET2_T3_PNSL_ISQ_E10value_typeET4_T5_PSV_SW_PNS1_23onesweep_lookback_stateEbbT6_jjT7_P12ihipStream_tbENKUlT_T0_SK_SP_E_clISE_SE_SF_SF_EEDaS13_S14_SK_SP_EUlS13_E_NS1_11comp_targetILNS1_3genE2ELNS1_11target_archE906ELNS1_3gpuE6ELNS1_3repE0EEENS1_47radix_sort_onesweep_sort_config_static_selectorELNS0_4arch9wavefront6targetE1EEEvSK_
	.globl	_ZN7rocprim17ROCPRIM_400000_NS6detail17trampoline_kernelINS0_14default_configENS1_35radix_sort_onesweep_config_selectorIsNS0_10empty_typeEEEZZNS1_29radix_sort_onesweep_iterationIS3_Lb0EN6thrust23THRUST_200600_302600_NS6detail15normal_iteratorINS9_10device_ptrIsEEEESE_PS5_SF_jNS0_19identity_decomposerENS1_16block_id_wrapperIjLb1EEEEE10hipError_tT1_PNSt15iterator_traitsISK_E10value_typeET2_T3_PNSL_ISQ_E10value_typeET4_T5_PSV_SW_PNS1_23onesweep_lookback_stateEbbT6_jjT7_P12ihipStream_tbENKUlT_T0_SK_SP_E_clISE_SE_SF_SF_EEDaS13_S14_SK_SP_EUlS13_E_NS1_11comp_targetILNS1_3genE2ELNS1_11target_archE906ELNS1_3gpuE6ELNS1_3repE0EEENS1_47radix_sort_onesweep_sort_config_static_selectorELNS0_4arch9wavefront6targetE1EEEvSK_
	.p2align	8
	.type	_ZN7rocprim17ROCPRIM_400000_NS6detail17trampoline_kernelINS0_14default_configENS1_35radix_sort_onesweep_config_selectorIsNS0_10empty_typeEEEZZNS1_29radix_sort_onesweep_iterationIS3_Lb0EN6thrust23THRUST_200600_302600_NS6detail15normal_iteratorINS9_10device_ptrIsEEEESE_PS5_SF_jNS0_19identity_decomposerENS1_16block_id_wrapperIjLb1EEEEE10hipError_tT1_PNSt15iterator_traitsISK_E10value_typeET2_T3_PNSL_ISQ_E10value_typeET4_T5_PSV_SW_PNS1_23onesweep_lookback_stateEbbT6_jjT7_P12ihipStream_tbENKUlT_T0_SK_SP_E_clISE_SE_SF_SF_EEDaS13_S14_SK_SP_EUlS13_E_NS1_11comp_targetILNS1_3genE2ELNS1_11target_archE906ELNS1_3gpuE6ELNS1_3repE0EEENS1_47radix_sort_onesweep_sort_config_static_selectorELNS0_4arch9wavefront6targetE1EEEvSK_,@function
_ZN7rocprim17ROCPRIM_400000_NS6detail17trampoline_kernelINS0_14default_configENS1_35radix_sort_onesweep_config_selectorIsNS0_10empty_typeEEEZZNS1_29radix_sort_onesweep_iterationIS3_Lb0EN6thrust23THRUST_200600_302600_NS6detail15normal_iteratorINS9_10device_ptrIsEEEESE_PS5_SF_jNS0_19identity_decomposerENS1_16block_id_wrapperIjLb1EEEEE10hipError_tT1_PNSt15iterator_traitsISK_E10value_typeET2_T3_PNSL_ISQ_E10value_typeET4_T5_PSV_SW_PNS1_23onesweep_lookback_stateEbbT6_jjT7_P12ihipStream_tbENKUlT_T0_SK_SP_E_clISE_SE_SF_SF_EEDaS13_S14_SK_SP_EUlS13_E_NS1_11comp_targetILNS1_3genE2ELNS1_11target_archE906ELNS1_3gpuE6ELNS1_3repE0EEENS1_47radix_sort_onesweep_sort_config_static_selectorELNS0_4arch9wavefront6targetE1EEEvSK_: ; @_ZN7rocprim17ROCPRIM_400000_NS6detail17trampoline_kernelINS0_14default_configENS1_35radix_sort_onesweep_config_selectorIsNS0_10empty_typeEEEZZNS1_29radix_sort_onesweep_iterationIS3_Lb0EN6thrust23THRUST_200600_302600_NS6detail15normal_iteratorINS9_10device_ptrIsEEEESE_PS5_SF_jNS0_19identity_decomposerENS1_16block_id_wrapperIjLb1EEEEE10hipError_tT1_PNSt15iterator_traitsISK_E10value_typeET2_T3_PNSL_ISQ_E10value_typeET4_T5_PSV_SW_PNS1_23onesweep_lookback_stateEbbT6_jjT7_P12ihipStream_tbENKUlT_T0_SK_SP_E_clISE_SE_SF_SF_EEDaS13_S14_SK_SP_EUlS13_E_NS1_11comp_targetILNS1_3genE2ELNS1_11target_archE906ELNS1_3gpuE6ELNS1_3repE0EEENS1_47radix_sort_onesweep_sort_config_static_selectorELNS0_4arch9wavefront6targetE1EEEvSK_
; %bb.0:
	.section	.rodata,"a",@progbits
	.p2align	6, 0x0
	.amdhsa_kernel _ZN7rocprim17ROCPRIM_400000_NS6detail17trampoline_kernelINS0_14default_configENS1_35radix_sort_onesweep_config_selectorIsNS0_10empty_typeEEEZZNS1_29radix_sort_onesweep_iterationIS3_Lb0EN6thrust23THRUST_200600_302600_NS6detail15normal_iteratorINS9_10device_ptrIsEEEESE_PS5_SF_jNS0_19identity_decomposerENS1_16block_id_wrapperIjLb1EEEEE10hipError_tT1_PNSt15iterator_traitsISK_E10value_typeET2_T3_PNSL_ISQ_E10value_typeET4_T5_PSV_SW_PNS1_23onesweep_lookback_stateEbbT6_jjT7_P12ihipStream_tbENKUlT_T0_SK_SP_E_clISE_SE_SF_SF_EEDaS13_S14_SK_SP_EUlS13_E_NS1_11comp_targetILNS1_3genE2ELNS1_11target_archE906ELNS1_3gpuE6ELNS1_3repE0EEENS1_47radix_sort_onesweep_sort_config_static_selectorELNS0_4arch9wavefront6targetE1EEEvSK_
		.amdhsa_group_segment_fixed_size 0
		.amdhsa_private_segment_fixed_size 0
		.amdhsa_kernarg_size 88
		.amdhsa_user_sgpr_count 2
		.amdhsa_user_sgpr_dispatch_ptr 0
		.amdhsa_user_sgpr_queue_ptr 0
		.amdhsa_user_sgpr_kernarg_segment_ptr 1
		.amdhsa_user_sgpr_dispatch_id 0
		.amdhsa_user_sgpr_kernarg_preload_length 0
		.amdhsa_user_sgpr_kernarg_preload_offset 0
		.amdhsa_user_sgpr_private_segment_size 0
		.amdhsa_uses_dynamic_stack 0
		.amdhsa_enable_private_segment 0
		.amdhsa_system_sgpr_workgroup_id_x 1
		.amdhsa_system_sgpr_workgroup_id_y 0
		.amdhsa_system_sgpr_workgroup_id_z 0
		.amdhsa_system_sgpr_workgroup_info 0
		.amdhsa_system_vgpr_workitem_id 0
		.amdhsa_next_free_vgpr 1
		.amdhsa_next_free_sgpr 0
		.amdhsa_accum_offset 4
		.amdhsa_reserve_vcc 0
		.amdhsa_float_round_mode_32 0
		.amdhsa_float_round_mode_16_64 0
		.amdhsa_float_denorm_mode_32 3
		.amdhsa_float_denorm_mode_16_64 3
		.amdhsa_dx10_clamp 1
		.amdhsa_ieee_mode 1
		.amdhsa_fp16_overflow 0
		.amdhsa_tg_split 0
		.amdhsa_exception_fp_ieee_invalid_op 0
		.amdhsa_exception_fp_denorm_src 0
		.amdhsa_exception_fp_ieee_div_zero 0
		.amdhsa_exception_fp_ieee_overflow 0
		.amdhsa_exception_fp_ieee_underflow 0
		.amdhsa_exception_fp_ieee_inexact 0
		.amdhsa_exception_int_div_zero 0
	.end_amdhsa_kernel
	.section	.text._ZN7rocprim17ROCPRIM_400000_NS6detail17trampoline_kernelINS0_14default_configENS1_35radix_sort_onesweep_config_selectorIsNS0_10empty_typeEEEZZNS1_29radix_sort_onesweep_iterationIS3_Lb0EN6thrust23THRUST_200600_302600_NS6detail15normal_iteratorINS9_10device_ptrIsEEEESE_PS5_SF_jNS0_19identity_decomposerENS1_16block_id_wrapperIjLb1EEEEE10hipError_tT1_PNSt15iterator_traitsISK_E10value_typeET2_T3_PNSL_ISQ_E10value_typeET4_T5_PSV_SW_PNS1_23onesweep_lookback_stateEbbT6_jjT7_P12ihipStream_tbENKUlT_T0_SK_SP_E_clISE_SE_SF_SF_EEDaS13_S14_SK_SP_EUlS13_E_NS1_11comp_targetILNS1_3genE2ELNS1_11target_archE906ELNS1_3gpuE6ELNS1_3repE0EEENS1_47radix_sort_onesweep_sort_config_static_selectorELNS0_4arch9wavefront6targetE1EEEvSK_,"axG",@progbits,_ZN7rocprim17ROCPRIM_400000_NS6detail17trampoline_kernelINS0_14default_configENS1_35radix_sort_onesweep_config_selectorIsNS0_10empty_typeEEEZZNS1_29radix_sort_onesweep_iterationIS3_Lb0EN6thrust23THRUST_200600_302600_NS6detail15normal_iteratorINS9_10device_ptrIsEEEESE_PS5_SF_jNS0_19identity_decomposerENS1_16block_id_wrapperIjLb1EEEEE10hipError_tT1_PNSt15iterator_traitsISK_E10value_typeET2_T3_PNSL_ISQ_E10value_typeET4_T5_PSV_SW_PNS1_23onesweep_lookback_stateEbbT6_jjT7_P12ihipStream_tbENKUlT_T0_SK_SP_E_clISE_SE_SF_SF_EEDaS13_S14_SK_SP_EUlS13_E_NS1_11comp_targetILNS1_3genE2ELNS1_11target_archE906ELNS1_3gpuE6ELNS1_3repE0EEENS1_47radix_sort_onesweep_sort_config_static_selectorELNS0_4arch9wavefront6targetE1EEEvSK_,comdat
.Lfunc_end1953:
	.size	_ZN7rocprim17ROCPRIM_400000_NS6detail17trampoline_kernelINS0_14default_configENS1_35radix_sort_onesweep_config_selectorIsNS0_10empty_typeEEEZZNS1_29radix_sort_onesweep_iterationIS3_Lb0EN6thrust23THRUST_200600_302600_NS6detail15normal_iteratorINS9_10device_ptrIsEEEESE_PS5_SF_jNS0_19identity_decomposerENS1_16block_id_wrapperIjLb1EEEEE10hipError_tT1_PNSt15iterator_traitsISK_E10value_typeET2_T3_PNSL_ISQ_E10value_typeET4_T5_PSV_SW_PNS1_23onesweep_lookback_stateEbbT6_jjT7_P12ihipStream_tbENKUlT_T0_SK_SP_E_clISE_SE_SF_SF_EEDaS13_S14_SK_SP_EUlS13_E_NS1_11comp_targetILNS1_3genE2ELNS1_11target_archE906ELNS1_3gpuE6ELNS1_3repE0EEENS1_47radix_sort_onesweep_sort_config_static_selectorELNS0_4arch9wavefront6targetE1EEEvSK_, .Lfunc_end1953-_ZN7rocprim17ROCPRIM_400000_NS6detail17trampoline_kernelINS0_14default_configENS1_35radix_sort_onesweep_config_selectorIsNS0_10empty_typeEEEZZNS1_29radix_sort_onesweep_iterationIS3_Lb0EN6thrust23THRUST_200600_302600_NS6detail15normal_iteratorINS9_10device_ptrIsEEEESE_PS5_SF_jNS0_19identity_decomposerENS1_16block_id_wrapperIjLb1EEEEE10hipError_tT1_PNSt15iterator_traitsISK_E10value_typeET2_T3_PNSL_ISQ_E10value_typeET4_T5_PSV_SW_PNS1_23onesweep_lookback_stateEbbT6_jjT7_P12ihipStream_tbENKUlT_T0_SK_SP_E_clISE_SE_SF_SF_EEDaS13_S14_SK_SP_EUlS13_E_NS1_11comp_targetILNS1_3genE2ELNS1_11target_archE906ELNS1_3gpuE6ELNS1_3repE0EEENS1_47radix_sort_onesweep_sort_config_static_selectorELNS0_4arch9wavefront6targetE1EEEvSK_
                                        ; -- End function
	.section	.AMDGPU.csdata,"",@progbits
; Kernel info:
; codeLenInByte = 0
; NumSgprs: 6
; NumVgprs: 0
; NumAgprs: 0
; TotalNumVgprs: 0
; ScratchSize: 0
; MemoryBound: 0
; FloatMode: 240
; IeeeMode: 1
; LDSByteSize: 0 bytes/workgroup (compile time only)
; SGPRBlocks: 0
; VGPRBlocks: 0
; NumSGPRsForWavesPerEU: 6
; NumVGPRsForWavesPerEU: 1
; AccumOffset: 4
; Occupancy: 8
; WaveLimiterHint : 0
; COMPUTE_PGM_RSRC2:SCRATCH_EN: 0
; COMPUTE_PGM_RSRC2:USER_SGPR: 2
; COMPUTE_PGM_RSRC2:TRAP_HANDLER: 0
; COMPUTE_PGM_RSRC2:TGID_X_EN: 1
; COMPUTE_PGM_RSRC2:TGID_Y_EN: 0
; COMPUTE_PGM_RSRC2:TGID_Z_EN: 0
; COMPUTE_PGM_RSRC2:TIDIG_COMP_CNT: 0
; COMPUTE_PGM_RSRC3_GFX90A:ACCUM_OFFSET: 0
; COMPUTE_PGM_RSRC3_GFX90A:TG_SPLIT: 0
	.section	.text._ZN7rocprim17ROCPRIM_400000_NS6detail17trampoline_kernelINS0_14default_configENS1_35radix_sort_onesweep_config_selectorIsNS0_10empty_typeEEEZZNS1_29radix_sort_onesweep_iterationIS3_Lb0EN6thrust23THRUST_200600_302600_NS6detail15normal_iteratorINS9_10device_ptrIsEEEESE_PS5_SF_jNS0_19identity_decomposerENS1_16block_id_wrapperIjLb1EEEEE10hipError_tT1_PNSt15iterator_traitsISK_E10value_typeET2_T3_PNSL_ISQ_E10value_typeET4_T5_PSV_SW_PNS1_23onesweep_lookback_stateEbbT6_jjT7_P12ihipStream_tbENKUlT_T0_SK_SP_E_clISE_SE_SF_SF_EEDaS13_S14_SK_SP_EUlS13_E_NS1_11comp_targetILNS1_3genE4ELNS1_11target_archE910ELNS1_3gpuE8ELNS1_3repE0EEENS1_47radix_sort_onesweep_sort_config_static_selectorELNS0_4arch9wavefront6targetE1EEEvSK_,"axG",@progbits,_ZN7rocprim17ROCPRIM_400000_NS6detail17trampoline_kernelINS0_14default_configENS1_35radix_sort_onesweep_config_selectorIsNS0_10empty_typeEEEZZNS1_29radix_sort_onesweep_iterationIS3_Lb0EN6thrust23THRUST_200600_302600_NS6detail15normal_iteratorINS9_10device_ptrIsEEEESE_PS5_SF_jNS0_19identity_decomposerENS1_16block_id_wrapperIjLb1EEEEE10hipError_tT1_PNSt15iterator_traitsISK_E10value_typeET2_T3_PNSL_ISQ_E10value_typeET4_T5_PSV_SW_PNS1_23onesweep_lookback_stateEbbT6_jjT7_P12ihipStream_tbENKUlT_T0_SK_SP_E_clISE_SE_SF_SF_EEDaS13_S14_SK_SP_EUlS13_E_NS1_11comp_targetILNS1_3genE4ELNS1_11target_archE910ELNS1_3gpuE8ELNS1_3repE0EEENS1_47radix_sort_onesweep_sort_config_static_selectorELNS0_4arch9wavefront6targetE1EEEvSK_,comdat
	.protected	_ZN7rocprim17ROCPRIM_400000_NS6detail17trampoline_kernelINS0_14default_configENS1_35radix_sort_onesweep_config_selectorIsNS0_10empty_typeEEEZZNS1_29radix_sort_onesweep_iterationIS3_Lb0EN6thrust23THRUST_200600_302600_NS6detail15normal_iteratorINS9_10device_ptrIsEEEESE_PS5_SF_jNS0_19identity_decomposerENS1_16block_id_wrapperIjLb1EEEEE10hipError_tT1_PNSt15iterator_traitsISK_E10value_typeET2_T3_PNSL_ISQ_E10value_typeET4_T5_PSV_SW_PNS1_23onesweep_lookback_stateEbbT6_jjT7_P12ihipStream_tbENKUlT_T0_SK_SP_E_clISE_SE_SF_SF_EEDaS13_S14_SK_SP_EUlS13_E_NS1_11comp_targetILNS1_3genE4ELNS1_11target_archE910ELNS1_3gpuE8ELNS1_3repE0EEENS1_47radix_sort_onesweep_sort_config_static_selectorELNS0_4arch9wavefront6targetE1EEEvSK_ ; -- Begin function _ZN7rocprim17ROCPRIM_400000_NS6detail17trampoline_kernelINS0_14default_configENS1_35radix_sort_onesweep_config_selectorIsNS0_10empty_typeEEEZZNS1_29radix_sort_onesweep_iterationIS3_Lb0EN6thrust23THRUST_200600_302600_NS6detail15normal_iteratorINS9_10device_ptrIsEEEESE_PS5_SF_jNS0_19identity_decomposerENS1_16block_id_wrapperIjLb1EEEEE10hipError_tT1_PNSt15iterator_traitsISK_E10value_typeET2_T3_PNSL_ISQ_E10value_typeET4_T5_PSV_SW_PNS1_23onesweep_lookback_stateEbbT6_jjT7_P12ihipStream_tbENKUlT_T0_SK_SP_E_clISE_SE_SF_SF_EEDaS13_S14_SK_SP_EUlS13_E_NS1_11comp_targetILNS1_3genE4ELNS1_11target_archE910ELNS1_3gpuE8ELNS1_3repE0EEENS1_47radix_sort_onesweep_sort_config_static_selectorELNS0_4arch9wavefront6targetE1EEEvSK_
	.globl	_ZN7rocprim17ROCPRIM_400000_NS6detail17trampoline_kernelINS0_14default_configENS1_35radix_sort_onesweep_config_selectorIsNS0_10empty_typeEEEZZNS1_29radix_sort_onesweep_iterationIS3_Lb0EN6thrust23THRUST_200600_302600_NS6detail15normal_iteratorINS9_10device_ptrIsEEEESE_PS5_SF_jNS0_19identity_decomposerENS1_16block_id_wrapperIjLb1EEEEE10hipError_tT1_PNSt15iterator_traitsISK_E10value_typeET2_T3_PNSL_ISQ_E10value_typeET4_T5_PSV_SW_PNS1_23onesweep_lookback_stateEbbT6_jjT7_P12ihipStream_tbENKUlT_T0_SK_SP_E_clISE_SE_SF_SF_EEDaS13_S14_SK_SP_EUlS13_E_NS1_11comp_targetILNS1_3genE4ELNS1_11target_archE910ELNS1_3gpuE8ELNS1_3repE0EEENS1_47radix_sort_onesweep_sort_config_static_selectorELNS0_4arch9wavefront6targetE1EEEvSK_
	.p2align	8
	.type	_ZN7rocprim17ROCPRIM_400000_NS6detail17trampoline_kernelINS0_14default_configENS1_35radix_sort_onesweep_config_selectorIsNS0_10empty_typeEEEZZNS1_29radix_sort_onesweep_iterationIS3_Lb0EN6thrust23THRUST_200600_302600_NS6detail15normal_iteratorINS9_10device_ptrIsEEEESE_PS5_SF_jNS0_19identity_decomposerENS1_16block_id_wrapperIjLb1EEEEE10hipError_tT1_PNSt15iterator_traitsISK_E10value_typeET2_T3_PNSL_ISQ_E10value_typeET4_T5_PSV_SW_PNS1_23onesweep_lookback_stateEbbT6_jjT7_P12ihipStream_tbENKUlT_T0_SK_SP_E_clISE_SE_SF_SF_EEDaS13_S14_SK_SP_EUlS13_E_NS1_11comp_targetILNS1_3genE4ELNS1_11target_archE910ELNS1_3gpuE8ELNS1_3repE0EEENS1_47radix_sort_onesweep_sort_config_static_selectorELNS0_4arch9wavefront6targetE1EEEvSK_,@function
_ZN7rocprim17ROCPRIM_400000_NS6detail17trampoline_kernelINS0_14default_configENS1_35radix_sort_onesweep_config_selectorIsNS0_10empty_typeEEEZZNS1_29radix_sort_onesweep_iterationIS3_Lb0EN6thrust23THRUST_200600_302600_NS6detail15normal_iteratorINS9_10device_ptrIsEEEESE_PS5_SF_jNS0_19identity_decomposerENS1_16block_id_wrapperIjLb1EEEEE10hipError_tT1_PNSt15iterator_traitsISK_E10value_typeET2_T3_PNSL_ISQ_E10value_typeET4_T5_PSV_SW_PNS1_23onesweep_lookback_stateEbbT6_jjT7_P12ihipStream_tbENKUlT_T0_SK_SP_E_clISE_SE_SF_SF_EEDaS13_S14_SK_SP_EUlS13_E_NS1_11comp_targetILNS1_3genE4ELNS1_11target_archE910ELNS1_3gpuE8ELNS1_3repE0EEENS1_47radix_sort_onesweep_sort_config_static_selectorELNS0_4arch9wavefront6targetE1EEEvSK_: ; @_ZN7rocprim17ROCPRIM_400000_NS6detail17trampoline_kernelINS0_14default_configENS1_35radix_sort_onesweep_config_selectorIsNS0_10empty_typeEEEZZNS1_29radix_sort_onesweep_iterationIS3_Lb0EN6thrust23THRUST_200600_302600_NS6detail15normal_iteratorINS9_10device_ptrIsEEEESE_PS5_SF_jNS0_19identity_decomposerENS1_16block_id_wrapperIjLb1EEEEE10hipError_tT1_PNSt15iterator_traitsISK_E10value_typeET2_T3_PNSL_ISQ_E10value_typeET4_T5_PSV_SW_PNS1_23onesweep_lookback_stateEbbT6_jjT7_P12ihipStream_tbENKUlT_T0_SK_SP_E_clISE_SE_SF_SF_EEDaS13_S14_SK_SP_EUlS13_E_NS1_11comp_targetILNS1_3genE4ELNS1_11target_archE910ELNS1_3gpuE8ELNS1_3repE0EEENS1_47radix_sort_onesweep_sort_config_static_selectorELNS0_4arch9wavefront6targetE1EEEvSK_
; %bb.0:
	.section	.rodata,"a",@progbits
	.p2align	6, 0x0
	.amdhsa_kernel _ZN7rocprim17ROCPRIM_400000_NS6detail17trampoline_kernelINS0_14default_configENS1_35radix_sort_onesweep_config_selectorIsNS0_10empty_typeEEEZZNS1_29radix_sort_onesweep_iterationIS3_Lb0EN6thrust23THRUST_200600_302600_NS6detail15normal_iteratorINS9_10device_ptrIsEEEESE_PS5_SF_jNS0_19identity_decomposerENS1_16block_id_wrapperIjLb1EEEEE10hipError_tT1_PNSt15iterator_traitsISK_E10value_typeET2_T3_PNSL_ISQ_E10value_typeET4_T5_PSV_SW_PNS1_23onesweep_lookback_stateEbbT6_jjT7_P12ihipStream_tbENKUlT_T0_SK_SP_E_clISE_SE_SF_SF_EEDaS13_S14_SK_SP_EUlS13_E_NS1_11comp_targetILNS1_3genE4ELNS1_11target_archE910ELNS1_3gpuE8ELNS1_3repE0EEENS1_47radix_sort_onesweep_sort_config_static_selectorELNS0_4arch9wavefront6targetE1EEEvSK_
		.amdhsa_group_segment_fixed_size 0
		.amdhsa_private_segment_fixed_size 0
		.amdhsa_kernarg_size 88
		.amdhsa_user_sgpr_count 2
		.amdhsa_user_sgpr_dispatch_ptr 0
		.amdhsa_user_sgpr_queue_ptr 0
		.amdhsa_user_sgpr_kernarg_segment_ptr 1
		.amdhsa_user_sgpr_dispatch_id 0
		.amdhsa_user_sgpr_kernarg_preload_length 0
		.amdhsa_user_sgpr_kernarg_preload_offset 0
		.amdhsa_user_sgpr_private_segment_size 0
		.amdhsa_uses_dynamic_stack 0
		.amdhsa_enable_private_segment 0
		.amdhsa_system_sgpr_workgroup_id_x 1
		.amdhsa_system_sgpr_workgroup_id_y 0
		.amdhsa_system_sgpr_workgroup_id_z 0
		.amdhsa_system_sgpr_workgroup_info 0
		.amdhsa_system_vgpr_workitem_id 0
		.amdhsa_next_free_vgpr 1
		.amdhsa_next_free_sgpr 0
		.amdhsa_accum_offset 4
		.amdhsa_reserve_vcc 0
		.amdhsa_float_round_mode_32 0
		.amdhsa_float_round_mode_16_64 0
		.amdhsa_float_denorm_mode_32 3
		.amdhsa_float_denorm_mode_16_64 3
		.amdhsa_dx10_clamp 1
		.amdhsa_ieee_mode 1
		.amdhsa_fp16_overflow 0
		.amdhsa_tg_split 0
		.amdhsa_exception_fp_ieee_invalid_op 0
		.amdhsa_exception_fp_denorm_src 0
		.amdhsa_exception_fp_ieee_div_zero 0
		.amdhsa_exception_fp_ieee_overflow 0
		.amdhsa_exception_fp_ieee_underflow 0
		.amdhsa_exception_fp_ieee_inexact 0
		.amdhsa_exception_int_div_zero 0
	.end_amdhsa_kernel
	.section	.text._ZN7rocprim17ROCPRIM_400000_NS6detail17trampoline_kernelINS0_14default_configENS1_35radix_sort_onesweep_config_selectorIsNS0_10empty_typeEEEZZNS1_29radix_sort_onesweep_iterationIS3_Lb0EN6thrust23THRUST_200600_302600_NS6detail15normal_iteratorINS9_10device_ptrIsEEEESE_PS5_SF_jNS0_19identity_decomposerENS1_16block_id_wrapperIjLb1EEEEE10hipError_tT1_PNSt15iterator_traitsISK_E10value_typeET2_T3_PNSL_ISQ_E10value_typeET4_T5_PSV_SW_PNS1_23onesweep_lookback_stateEbbT6_jjT7_P12ihipStream_tbENKUlT_T0_SK_SP_E_clISE_SE_SF_SF_EEDaS13_S14_SK_SP_EUlS13_E_NS1_11comp_targetILNS1_3genE4ELNS1_11target_archE910ELNS1_3gpuE8ELNS1_3repE0EEENS1_47radix_sort_onesweep_sort_config_static_selectorELNS0_4arch9wavefront6targetE1EEEvSK_,"axG",@progbits,_ZN7rocprim17ROCPRIM_400000_NS6detail17trampoline_kernelINS0_14default_configENS1_35radix_sort_onesweep_config_selectorIsNS0_10empty_typeEEEZZNS1_29radix_sort_onesweep_iterationIS3_Lb0EN6thrust23THRUST_200600_302600_NS6detail15normal_iteratorINS9_10device_ptrIsEEEESE_PS5_SF_jNS0_19identity_decomposerENS1_16block_id_wrapperIjLb1EEEEE10hipError_tT1_PNSt15iterator_traitsISK_E10value_typeET2_T3_PNSL_ISQ_E10value_typeET4_T5_PSV_SW_PNS1_23onesweep_lookback_stateEbbT6_jjT7_P12ihipStream_tbENKUlT_T0_SK_SP_E_clISE_SE_SF_SF_EEDaS13_S14_SK_SP_EUlS13_E_NS1_11comp_targetILNS1_3genE4ELNS1_11target_archE910ELNS1_3gpuE8ELNS1_3repE0EEENS1_47radix_sort_onesweep_sort_config_static_selectorELNS0_4arch9wavefront6targetE1EEEvSK_,comdat
.Lfunc_end1954:
	.size	_ZN7rocprim17ROCPRIM_400000_NS6detail17trampoline_kernelINS0_14default_configENS1_35radix_sort_onesweep_config_selectorIsNS0_10empty_typeEEEZZNS1_29radix_sort_onesweep_iterationIS3_Lb0EN6thrust23THRUST_200600_302600_NS6detail15normal_iteratorINS9_10device_ptrIsEEEESE_PS5_SF_jNS0_19identity_decomposerENS1_16block_id_wrapperIjLb1EEEEE10hipError_tT1_PNSt15iterator_traitsISK_E10value_typeET2_T3_PNSL_ISQ_E10value_typeET4_T5_PSV_SW_PNS1_23onesweep_lookback_stateEbbT6_jjT7_P12ihipStream_tbENKUlT_T0_SK_SP_E_clISE_SE_SF_SF_EEDaS13_S14_SK_SP_EUlS13_E_NS1_11comp_targetILNS1_3genE4ELNS1_11target_archE910ELNS1_3gpuE8ELNS1_3repE0EEENS1_47radix_sort_onesweep_sort_config_static_selectorELNS0_4arch9wavefront6targetE1EEEvSK_, .Lfunc_end1954-_ZN7rocprim17ROCPRIM_400000_NS6detail17trampoline_kernelINS0_14default_configENS1_35radix_sort_onesweep_config_selectorIsNS0_10empty_typeEEEZZNS1_29radix_sort_onesweep_iterationIS3_Lb0EN6thrust23THRUST_200600_302600_NS6detail15normal_iteratorINS9_10device_ptrIsEEEESE_PS5_SF_jNS0_19identity_decomposerENS1_16block_id_wrapperIjLb1EEEEE10hipError_tT1_PNSt15iterator_traitsISK_E10value_typeET2_T3_PNSL_ISQ_E10value_typeET4_T5_PSV_SW_PNS1_23onesweep_lookback_stateEbbT6_jjT7_P12ihipStream_tbENKUlT_T0_SK_SP_E_clISE_SE_SF_SF_EEDaS13_S14_SK_SP_EUlS13_E_NS1_11comp_targetILNS1_3genE4ELNS1_11target_archE910ELNS1_3gpuE8ELNS1_3repE0EEENS1_47radix_sort_onesweep_sort_config_static_selectorELNS0_4arch9wavefront6targetE1EEEvSK_
                                        ; -- End function
	.section	.AMDGPU.csdata,"",@progbits
; Kernel info:
; codeLenInByte = 0
; NumSgprs: 6
; NumVgprs: 0
; NumAgprs: 0
; TotalNumVgprs: 0
; ScratchSize: 0
; MemoryBound: 0
; FloatMode: 240
; IeeeMode: 1
; LDSByteSize: 0 bytes/workgroup (compile time only)
; SGPRBlocks: 0
; VGPRBlocks: 0
; NumSGPRsForWavesPerEU: 6
; NumVGPRsForWavesPerEU: 1
; AccumOffset: 4
; Occupancy: 8
; WaveLimiterHint : 0
; COMPUTE_PGM_RSRC2:SCRATCH_EN: 0
; COMPUTE_PGM_RSRC2:USER_SGPR: 2
; COMPUTE_PGM_RSRC2:TRAP_HANDLER: 0
; COMPUTE_PGM_RSRC2:TGID_X_EN: 1
; COMPUTE_PGM_RSRC2:TGID_Y_EN: 0
; COMPUTE_PGM_RSRC2:TGID_Z_EN: 0
; COMPUTE_PGM_RSRC2:TIDIG_COMP_CNT: 0
; COMPUTE_PGM_RSRC3_GFX90A:ACCUM_OFFSET: 0
; COMPUTE_PGM_RSRC3_GFX90A:TG_SPLIT: 0
	.section	.text._ZN7rocprim17ROCPRIM_400000_NS6detail17trampoline_kernelINS0_14default_configENS1_35radix_sort_onesweep_config_selectorIsNS0_10empty_typeEEEZZNS1_29radix_sort_onesweep_iterationIS3_Lb0EN6thrust23THRUST_200600_302600_NS6detail15normal_iteratorINS9_10device_ptrIsEEEESE_PS5_SF_jNS0_19identity_decomposerENS1_16block_id_wrapperIjLb1EEEEE10hipError_tT1_PNSt15iterator_traitsISK_E10value_typeET2_T3_PNSL_ISQ_E10value_typeET4_T5_PSV_SW_PNS1_23onesweep_lookback_stateEbbT6_jjT7_P12ihipStream_tbENKUlT_T0_SK_SP_E_clISE_SE_SF_SF_EEDaS13_S14_SK_SP_EUlS13_E_NS1_11comp_targetILNS1_3genE3ELNS1_11target_archE908ELNS1_3gpuE7ELNS1_3repE0EEENS1_47radix_sort_onesweep_sort_config_static_selectorELNS0_4arch9wavefront6targetE1EEEvSK_,"axG",@progbits,_ZN7rocprim17ROCPRIM_400000_NS6detail17trampoline_kernelINS0_14default_configENS1_35radix_sort_onesweep_config_selectorIsNS0_10empty_typeEEEZZNS1_29radix_sort_onesweep_iterationIS3_Lb0EN6thrust23THRUST_200600_302600_NS6detail15normal_iteratorINS9_10device_ptrIsEEEESE_PS5_SF_jNS0_19identity_decomposerENS1_16block_id_wrapperIjLb1EEEEE10hipError_tT1_PNSt15iterator_traitsISK_E10value_typeET2_T3_PNSL_ISQ_E10value_typeET4_T5_PSV_SW_PNS1_23onesweep_lookback_stateEbbT6_jjT7_P12ihipStream_tbENKUlT_T0_SK_SP_E_clISE_SE_SF_SF_EEDaS13_S14_SK_SP_EUlS13_E_NS1_11comp_targetILNS1_3genE3ELNS1_11target_archE908ELNS1_3gpuE7ELNS1_3repE0EEENS1_47radix_sort_onesweep_sort_config_static_selectorELNS0_4arch9wavefront6targetE1EEEvSK_,comdat
	.protected	_ZN7rocprim17ROCPRIM_400000_NS6detail17trampoline_kernelINS0_14default_configENS1_35radix_sort_onesweep_config_selectorIsNS0_10empty_typeEEEZZNS1_29radix_sort_onesweep_iterationIS3_Lb0EN6thrust23THRUST_200600_302600_NS6detail15normal_iteratorINS9_10device_ptrIsEEEESE_PS5_SF_jNS0_19identity_decomposerENS1_16block_id_wrapperIjLb1EEEEE10hipError_tT1_PNSt15iterator_traitsISK_E10value_typeET2_T3_PNSL_ISQ_E10value_typeET4_T5_PSV_SW_PNS1_23onesweep_lookback_stateEbbT6_jjT7_P12ihipStream_tbENKUlT_T0_SK_SP_E_clISE_SE_SF_SF_EEDaS13_S14_SK_SP_EUlS13_E_NS1_11comp_targetILNS1_3genE3ELNS1_11target_archE908ELNS1_3gpuE7ELNS1_3repE0EEENS1_47radix_sort_onesweep_sort_config_static_selectorELNS0_4arch9wavefront6targetE1EEEvSK_ ; -- Begin function _ZN7rocprim17ROCPRIM_400000_NS6detail17trampoline_kernelINS0_14default_configENS1_35radix_sort_onesweep_config_selectorIsNS0_10empty_typeEEEZZNS1_29radix_sort_onesweep_iterationIS3_Lb0EN6thrust23THRUST_200600_302600_NS6detail15normal_iteratorINS9_10device_ptrIsEEEESE_PS5_SF_jNS0_19identity_decomposerENS1_16block_id_wrapperIjLb1EEEEE10hipError_tT1_PNSt15iterator_traitsISK_E10value_typeET2_T3_PNSL_ISQ_E10value_typeET4_T5_PSV_SW_PNS1_23onesweep_lookback_stateEbbT6_jjT7_P12ihipStream_tbENKUlT_T0_SK_SP_E_clISE_SE_SF_SF_EEDaS13_S14_SK_SP_EUlS13_E_NS1_11comp_targetILNS1_3genE3ELNS1_11target_archE908ELNS1_3gpuE7ELNS1_3repE0EEENS1_47radix_sort_onesweep_sort_config_static_selectorELNS0_4arch9wavefront6targetE1EEEvSK_
	.globl	_ZN7rocprim17ROCPRIM_400000_NS6detail17trampoline_kernelINS0_14default_configENS1_35radix_sort_onesweep_config_selectorIsNS0_10empty_typeEEEZZNS1_29radix_sort_onesweep_iterationIS3_Lb0EN6thrust23THRUST_200600_302600_NS6detail15normal_iteratorINS9_10device_ptrIsEEEESE_PS5_SF_jNS0_19identity_decomposerENS1_16block_id_wrapperIjLb1EEEEE10hipError_tT1_PNSt15iterator_traitsISK_E10value_typeET2_T3_PNSL_ISQ_E10value_typeET4_T5_PSV_SW_PNS1_23onesweep_lookback_stateEbbT6_jjT7_P12ihipStream_tbENKUlT_T0_SK_SP_E_clISE_SE_SF_SF_EEDaS13_S14_SK_SP_EUlS13_E_NS1_11comp_targetILNS1_3genE3ELNS1_11target_archE908ELNS1_3gpuE7ELNS1_3repE0EEENS1_47radix_sort_onesweep_sort_config_static_selectorELNS0_4arch9wavefront6targetE1EEEvSK_
	.p2align	8
	.type	_ZN7rocprim17ROCPRIM_400000_NS6detail17trampoline_kernelINS0_14default_configENS1_35radix_sort_onesweep_config_selectorIsNS0_10empty_typeEEEZZNS1_29radix_sort_onesweep_iterationIS3_Lb0EN6thrust23THRUST_200600_302600_NS6detail15normal_iteratorINS9_10device_ptrIsEEEESE_PS5_SF_jNS0_19identity_decomposerENS1_16block_id_wrapperIjLb1EEEEE10hipError_tT1_PNSt15iterator_traitsISK_E10value_typeET2_T3_PNSL_ISQ_E10value_typeET4_T5_PSV_SW_PNS1_23onesweep_lookback_stateEbbT6_jjT7_P12ihipStream_tbENKUlT_T0_SK_SP_E_clISE_SE_SF_SF_EEDaS13_S14_SK_SP_EUlS13_E_NS1_11comp_targetILNS1_3genE3ELNS1_11target_archE908ELNS1_3gpuE7ELNS1_3repE0EEENS1_47radix_sort_onesweep_sort_config_static_selectorELNS0_4arch9wavefront6targetE1EEEvSK_,@function
_ZN7rocprim17ROCPRIM_400000_NS6detail17trampoline_kernelINS0_14default_configENS1_35radix_sort_onesweep_config_selectorIsNS0_10empty_typeEEEZZNS1_29radix_sort_onesweep_iterationIS3_Lb0EN6thrust23THRUST_200600_302600_NS6detail15normal_iteratorINS9_10device_ptrIsEEEESE_PS5_SF_jNS0_19identity_decomposerENS1_16block_id_wrapperIjLb1EEEEE10hipError_tT1_PNSt15iterator_traitsISK_E10value_typeET2_T3_PNSL_ISQ_E10value_typeET4_T5_PSV_SW_PNS1_23onesweep_lookback_stateEbbT6_jjT7_P12ihipStream_tbENKUlT_T0_SK_SP_E_clISE_SE_SF_SF_EEDaS13_S14_SK_SP_EUlS13_E_NS1_11comp_targetILNS1_3genE3ELNS1_11target_archE908ELNS1_3gpuE7ELNS1_3repE0EEENS1_47radix_sort_onesweep_sort_config_static_selectorELNS0_4arch9wavefront6targetE1EEEvSK_: ; @_ZN7rocprim17ROCPRIM_400000_NS6detail17trampoline_kernelINS0_14default_configENS1_35radix_sort_onesweep_config_selectorIsNS0_10empty_typeEEEZZNS1_29radix_sort_onesweep_iterationIS3_Lb0EN6thrust23THRUST_200600_302600_NS6detail15normal_iteratorINS9_10device_ptrIsEEEESE_PS5_SF_jNS0_19identity_decomposerENS1_16block_id_wrapperIjLb1EEEEE10hipError_tT1_PNSt15iterator_traitsISK_E10value_typeET2_T3_PNSL_ISQ_E10value_typeET4_T5_PSV_SW_PNS1_23onesweep_lookback_stateEbbT6_jjT7_P12ihipStream_tbENKUlT_T0_SK_SP_E_clISE_SE_SF_SF_EEDaS13_S14_SK_SP_EUlS13_E_NS1_11comp_targetILNS1_3genE3ELNS1_11target_archE908ELNS1_3gpuE7ELNS1_3repE0EEENS1_47radix_sort_onesweep_sort_config_static_selectorELNS0_4arch9wavefront6targetE1EEEvSK_
; %bb.0:
	.section	.rodata,"a",@progbits
	.p2align	6, 0x0
	.amdhsa_kernel _ZN7rocprim17ROCPRIM_400000_NS6detail17trampoline_kernelINS0_14default_configENS1_35radix_sort_onesweep_config_selectorIsNS0_10empty_typeEEEZZNS1_29radix_sort_onesweep_iterationIS3_Lb0EN6thrust23THRUST_200600_302600_NS6detail15normal_iteratorINS9_10device_ptrIsEEEESE_PS5_SF_jNS0_19identity_decomposerENS1_16block_id_wrapperIjLb1EEEEE10hipError_tT1_PNSt15iterator_traitsISK_E10value_typeET2_T3_PNSL_ISQ_E10value_typeET4_T5_PSV_SW_PNS1_23onesweep_lookback_stateEbbT6_jjT7_P12ihipStream_tbENKUlT_T0_SK_SP_E_clISE_SE_SF_SF_EEDaS13_S14_SK_SP_EUlS13_E_NS1_11comp_targetILNS1_3genE3ELNS1_11target_archE908ELNS1_3gpuE7ELNS1_3repE0EEENS1_47radix_sort_onesweep_sort_config_static_selectorELNS0_4arch9wavefront6targetE1EEEvSK_
		.amdhsa_group_segment_fixed_size 0
		.amdhsa_private_segment_fixed_size 0
		.amdhsa_kernarg_size 88
		.amdhsa_user_sgpr_count 2
		.amdhsa_user_sgpr_dispatch_ptr 0
		.amdhsa_user_sgpr_queue_ptr 0
		.amdhsa_user_sgpr_kernarg_segment_ptr 1
		.amdhsa_user_sgpr_dispatch_id 0
		.amdhsa_user_sgpr_kernarg_preload_length 0
		.amdhsa_user_sgpr_kernarg_preload_offset 0
		.amdhsa_user_sgpr_private_segment_size 0
		.amdhsa_uses_dynamic_stack 0
		.amdhsa_enable_private_segment 0
		.amdhsa_system_sgpr_workgroup_id_x 1
		.amdhsa_system_sgpr_workgroup_id_y 0
		.amdhsa_system_sgpr_workgroup_id_z 0
		.amdhsa_system_sgpr_workgroup_info 0
		.amdhsa_system_vgpr_workitem_id 0
		.amdhsa_next_free_vgpr 1
		.amdhsa_next_free_sgpr 0
		.amdhsa_accum_offset 4
		.amdhsa_reserve_vcc 0
		.amdhsa_float_round_mode_32 0
		.amdhsa_float_round_mode_16_64 0
		.amdhsa_float_denorm_mode_32 3
		.amdhsa_float_denorm_mode_16_64 3
		.amdhsa_dx10_clamp 1
		.amdhsa_ieee_mode 1
		.amdhsa_fp16_overflow 0
		.amdhsa_tg_split 0
		.amdhsa_exception_fp_ieee_invalid_op 0
		.amdhsa_exception_fp_denorm_src 0
		.amdhsa_exception_fp_ieee_div_zero 0
		.amdhsa_exception_fp_ieee_overflow 0
		.amdhsa_exception_fp_ieee_underflow 0
		.amdhsa_exception_fp_ieee_inexact 0
		.amdhsa_exception_int_div_zero 0
	.end_amdhsa_kernel
	.section	.text._ZN7rocprim17ROCPRIM_400000_NS6detail17trampoline_kernelINS0_14default_configENS1_35radix_sort_onesweep_config_selectorIsNS0_10empty_typeEEEZZNS1_29radix_sort_onesweep_iterationIS3_Lb0EN6thrust23THRUST_200600_302600_NS6detail15normal_iteratorINS9_10device_ptrIsEEEESE_PS5_SF_jNS0_19identity_decomposerENS1_16block_id_wrapperIjLb1EEEEE10hipError_tT1_PNSt15iterator_traitsISK_E10value_typeET2_T3_PNSL_ISQ_E10value_typeET4_T5_PSV_SW_PNS1_23onesweep_lookback_stateEbbT6_jjT7_P12ihipStream_tbENKUlT_T0_SK_SP_E_clISE_SE_SF_SF_EEDaS13_S14_SK_SP_EUlS13_E_NS1_11comp_targetILNS1_3genE3ELNS1_11target_archE908ELNS1_3gpuE7ELNS1_3repE0EEENS1_47radix_sort_onesweep_sort_config_static_selectorELNS0_4arch9wavefront6targetE1EEEvSK_,"axG",@progbits,_ZN7rocprim17ROCPRIM_400000_NS6detail17trampoline_kernelINS0_14default_configENS1_35radix_sort_onesweep_config_selectorIsNS0_10empty_typeEEEZZNS1_29radix_sort_onesweep_iterationIS3_Lb0EN6thrust23THRUST_200600_302600_NS6detail15normal_iteratorINS9_10device_ptrIsEEEESE_PS5_SF_jNS0_19identity_decomposerENS1_16block_id_wrapperIjLb1EEEEE10hipError_tT1_PNSt15iterator_traitsISK_E10value_typeET2_T3_PNSL_ISQ_E10value_typeET4_T5_PSV_SW_PNS1_23onesweep_lookback_stateEbbT6_jjT7_P12ihipStream_tbENKUlT_T0_SK_SP_E_clISE_SE_SF_SF_EEDaS13_S14_SK_SP_EUlS13_E_NS1_11comp_targetILNS1_3genE3ELNS1_11target_archE908ELNS1_3gpuE7ELNS1_3repE0EEENS1_47radix_sort_onesweep_sort_config_static_selectorELNS0_4arch9wavefront6targetE1EEEvSK_,comdat
.Lfunc_end1955:
	.size	_ZN7rocprim17ROCPRIM_400000_NS6detail17trampoline_kernelINS0_14default_configENS1_35radix_sort_onesweep_config_selectorIsNS0_10empty_typeEEEZZNS1_29radix_sort_onesweep_iterationIS3_Lb0EN6thrust23THRUST_200600_302600_NS6detail15normal_iteratorINS9_10device_ptrIsEEEESE_PS5_SF_jNS0_19identity_decomposerENS1_16block_id_wrapperIjLb1EEEEE10hipError_tT1_PNSt15iterator_traitsISK_E10value_typeET2_T3_PNSL_ISQ_E10value_typeET4_T5_PSV_SW_PNS1_23onesweep_lookback_stateEbbT6_jjT7_P12ihipStream_tbENKUlT_T0_SK_SP_E_clISE_SE_SF_SF_EEDaS13_S14_SK_SP_EUlS13_E_NS1_11comp_targetILNS1_3genE3ELNS1_11target_archE908ELNS1_3gpuE7ELNS1_3repE0EEENS1_47radix_sort_onesweep_sort_config_static_selectorELNS0_4arch9wavefront6targetE1EEEvSK_, .Lfunc_end1955-_ZN7rocprim17ROCPRIM_400000_NS6detail17trampoline_kernelINS0_14default_configENS1_35radix_sort_onesweep_config_selectorIsNS0_10empty_typeEEEZZNS1_29radix_sort_onesweep_iterationIS3_Lb0EN6thrust23THRUST_200600_302600_NS6detail15normal_iteratorINS9_10device_ptrIsEEEESE_PS5_SF_jNS0_19identity_decomposerENS1_16block_id_wrapperIjLb1EEEEE10hipError_tT1_PNSt15iterator_traitsISK_E10value_typeET2_T3_PNSL_ISQ_E10value_typeET4_T5_PSV_SW_PNS1_23onesweep_lookback_stateEbbT6_jjT7_P12ihipStream_tbENKUlT_T0_SK_SP_E_clISE_SE_SF_SF_EEDaS13_S14_SK_SP_EUlS13_E_NS1_11comp_targetILNS1_3genE3ELNS1_11target_archE908ELNS1_3gpuE7ELNS1_3repE0EEENS1_47radix_sort_onesweep_sort_config_static_selectorELNS0_4arch9wavefront6targetE1EEEvSK_
                                        ; -- End function
	.section	.AMDGPU.csdata,"",@progbits
; Kernel info:
; codeLenInByte = 0
; NumSgprs: 6
; NumVgprs: 0
; NumAgprs: 0
; TotalNumVgprs: 0
; ScratchSize: 0
; MemoryBound: 0
; FloatMode: 240
; IeeeMode: 1
; LDSByteSize: 0 bytes/workgroup (compile time only)
; SGPRBlocks: 0
; VGPRBlocks: 0
; NumSGPRsForWavesPerEU: 6
; NumVGPRsForWavesPerEU: 1
; AccumOffset: 4
; Occupancy: 8
; WaveLimiterHint : 0
; COMPUTE_PGM_RSRC2:SCRATCH_EN: 0
; COMPUTE_PGM_RSRC2:USER_SGPR: 2
; COMPUTE_PGM_RSRC2:TRAP_HANDLER: 0
; COMPUTE_PGM_RSRC2:TGID_X_EN: 1
; COMPUTE_PGM_RSRC2:TGID_Y_EN: 0
; COMPUTE_PGM_RSRC2:TGID_Z_EN: 0
; COMPUTE_PGM_RSRC2:TIDIG_COMP_CNT: 0
; COMPUTE_PGM_RSRC3_GFX90A:ACCUM_OFFSET: 0
; COMPUTE_PGM_RSRC3_GFX90A:TG_SPLIT: 0
	.section	.text._ZN7rocprim17ROCPRIM_400000_NS6detail17trampoline_kernelINS0_14default_configENS1_35radix_sort_onesweep_config_selectorIsNS0_10empty_typeEEEZZNS1_29radix_sort_onesweep_iterationIS3_Lb0EN6thrust23THRUST_200600_302600_NS6detail15normal_iteratorINS9_10device_ptrIsEEEESE_PS5_SF_jNS0_19identity_decomposerENS1_16block_id_wrapperIjLb1EEEEE10hipError_tT1_PNSt15iterator_traitsISK_E10value_typeET2_T3_PNSL_ISQ_E10value_typeET4_T5_PSV_SW_PNS1_23onesweep_lookback_stateEbbT6_jjT7_P12ihipStream_tbENKUlT_T0_SK_SP_E_clISE_SE_SF_SF_EEDaS13_S14_SK_SP_EUlS13_E_NS1_11comp_targetILNS1_3genE10ELNS1_11target_archE1201ELNS1_3gpuE5ELNS1_3repE0EEENS1_47radix_sort_onesweep_sort_config_static_selectorELNS0_4arch9wavefront6targetE1EEEvSK_,"axG",@progbits,_ZN7rocprim17ROCPRIM_400000_NS6detail17trampoline_kernelINS0_14default_configENS1_35radix_sort_onesweep_config_selectorIsNS0_10empty_typeEEEZZNS1_29radix_sort_onesweep_iterationIS3_Lb0EN6thrust23THRUST_200600_302600_NS6detail15normal_iteratorINS9_10device_ptrIsEEEESE_PS5_SF_jNS0_19identity_decomposerENS1_16block_id_wrapperIjLb1EEEEE10hipError_tT1_PNSt15iterator_traitsISK_E10value_typeET2_T3_PNSL_ISQ_E10value_typeET4_T5_PSV_SW_PNS1_23onesweep_lookback_stateEbbT6_jjT7_P12ihipStream_tbENKUlT_T0_SK_SP_E_clISE_SE_SF_SF_EEDaS13_S14_SK_SP_EUlS13_E_NS1_11comp_targetILNS1_3genE10ELNS1_11target_archE1201ELNS1_3gpuE5ELNS1_3repE0EEENS1_47radix_sort_onesweep_sort_config_static_selectorELNS0_4arch9wavefront6targetE1EEEvSK_,comdat
	.protected	_ZN7rocprim17ROCPRIM_400000_NS6detail17trampoline_kernelINS0_14default_configENS1_35radix_sort_onesweep_config_selectorIsNS0_10empty_typeEEEZZNS1_29radix_sort_onesweep_iterationIS3_Lb0EN6thrust23THRUST_200600_302600_NS6detail15normal_iteratorINS9_10device_ptrIsEEEESE_PS5_SF_jNS0_19identity_decomposerENS1_16block_id_wrapperIjLb1EEEEE10hipError_tT1_PNSt15iterator_traitsISK_E10value_typeET2_T3_PNSL_ISQ_E10value_typeET4_T5_PSV_SW_PNS1_23onesweep_lookback_stateEbbT6_jjT7_P12ihipStream_tbENKUlT_T0_SK_SP_E_clISE_SE_SF_SF_EEDaS13_S14_SK_SP_EUlS13_E_NS1_11comp_targetILNS1_3genE10ELNS1_11target_archE1201ELNS1_3gpuE5ELNS1_3repE0EEENS1_47radix_sort_onesweep_sort_config_static_selectorELNS0_4arch9wavefront6targetE1EEEvSK_ ; -- Begin function _ZN7rocprim17ROCPRIM_400000_NS6detail17trampoline_kernelINS0_14default_configENS1_35radix_sort_onesweep_config_selectorIsNS0_10empty_typeEEEZZNS1_29radix_sort_onesweep_iterationIS3_Lb0EN6thrust23THRUST_200600_302600_NS6detail15normal_iteratorINS9_10device_ptrIsEEEESE_PS5_SF_jNS0_19identity_decomposerENS1_16block_id_wrapperIjLb1EEEEE10hipError_tT1_PNSt15iterator_traitsISK_E10value_typeET2_T3_PNSL_ISQ_E10value_typeET4_T5_PSV_SW_PNS1_23onesweep_lookback_stateEbbT6_jjT7_P12ihipStream_tbENKUlT_T0_SK_SP_E_clISE_SE_SF_SF_EEDaS13_S14_SK_SP_EUlS13_E_NS1_11comp_targetILNS1_3genE10ELNS1_11target_archE1201ELNS1_3gpuE5ELNS1_3repE0EEENS1_47radix_sort_onesweep_sort_config_static_selectorELNS0_4arch9wavefront6targetE1EEEvSK_
	.globl	_ZN7rocprim17ROCPRIM_400000_NS6detail17trampoline_kernelINS0_14default_configENS1_35radix_sort_onesweep_config_selectorIsNS0_10empty_typeEEEZZNS1_29radix_sort_onesweep_iterationIS3_Lb0EN6thrust23THRUST_200600_302600_NS6detail15normal_iteratorINS9_10device_ptrIsEEEESE_PS5_SF_jNS0_19identity_decomposerENS1_16block_id_wrapperIjLb1EEEEE10hipError_tT1_PNSt15iterator_traitsISK_E10value_typeET2_T3_PNSL_ISQ_E10value_typeET4_T5_PSV_SW_PNS1_23onesweep_lookback_stateEbbT6_jjT7_P12ihipStream_tbENKUlT_T0_SK_SP_E_clISE_SE_SF_SF_EEDaS13_S14_SK_SP_EUlS13_E_NS1_11comp_targetILNS1_3genE10ELNS1_11target_archE1201ELNS1_3gpuE5ELNS1_3repE0EEENS1_47radix_sort_onesweep_sort_config_static_selectorELNS0_4arch9wavefront6targetE1EEEvSK_
	.p2align	8
	.type	_ZN7rocprim17ROCPRIM_400000_NS6detail17trampoline_kernelINS0_14default_configENS1_35radix_sort_onesweep_config_selectorIsNS0_10empty_typeEEEZZNS1_29radix_sort_onesweep_iterationIS3_Lb0EN6thrust23THRUST_200600_302600_NS6detail15normal_iteratorINS9_10device_ptrIsEEEESE_PS5_SF_jNS0_19identity_decomposerENS1_16block_id_wrapperIjLb1EEEEE10hipError_tT1_PNSt15iterator_traitsISK_E10value_typeET2_T3_PNSL_ISQ_E10value_typeET4_T5_PSV_SW_PNS1_23onesweep_lookback_stateEbbT6_jjT7_P12ihipStream_tbENKUlT_T0_SK_SP_E_clISE_SE_SF_SF_EEDaS13_S14_SK_SP_EUlS13_E_NS1_11comp_targetILNS1_3genE10ELNS1_11target_archE1201ELNS1_3gpuE5ELNS1_3repE0EEENS1_47radix_sort_onesweep_sort_config_static_selectorELNS0_4arch9wavefront6targetE1EEEvSK_,@function
_ZN7rocprim17ROCPRIM_400000_NS6detail17trampoline_kernelINS0_14default_configENS1_35radix_sort_onesweep_config_selectorIsNS0_10empty_typeEEEZZNS1_29radix_sort_onesweep_iterationIS3_Lb0EN6thrust23THRUST_200600_302600_NS6detail15normal_iteratorINS9_10device_ptrIsEEEESE_PS5_SF_jNS0_19identity_decomposerENS1_16block_id_wrapperIjLb1EEEEE10hipError_tT1_PNSt15iterator_traitsISK_E10value_typeET2_T3_PNSL_ISQ_E10value_typeET4_T5_PSV_SW_PNS1_23onesweep_lookback_stateEbbT6_jjT7_P12ihipStream_tbENKUlT_T0_SK_SP_E_clISE_SE_SF_SF_EEDaS13_S14_SK_SP_EUlS13_E_NS1_11comp_targetILNS1_3genE10ELNS1_11target_archE1201ELNS1_3gpuE5ELNS1_3repE0EEENS1_47radix_sort_onesweep_sort_config_static_selectorELNS0_4arch9wavefront6targetE1EEEvSK_: ; @_ZN7rocprim17ROCPRIM_400000_NS6detail17trampoline_kernelINS0_14default_configENS1_35radix_sort_onesweep_config_selectorIsNS0_10empty_typeEEEZZNS1_29radix_sort_onesweep_iterationIS3_Lb0EN6thrust23THRUST_200600_302600_NS6detail15normal_iteratorINS9_10device_ptrIsEEEESE_PS5_SF_jNS0_19identity_decomposerENS1_16block_id_wrapperIjLb1EEEEE10hipError_tT1_PNSt15iterator_traitsISK_E10value_typeET2_T3_PNSL_ISQ_E10value_typeET4_T5_PSV_SW_PNS1_23onesweep_lookback_stateEbbT6_jjT7_P12ihipStream_tbENKUlT_T0_SK_SP_E_clISE_SE_SF_SF_EEDaS13_S14_SK_SP_EUlS13_E_NS1_11comp_targetILNS1_3genE10ELNS1_11target_archE1201ELNS1_3gpuE5ELNS1_3repE0EEENS1_47radix_sort_onesweep_sort_config_static_selectorELNS0_4arch9wavefront6targetE1EEEvSK_
; %bb.0:
	.section	.rodata,"a",@progbits
	.p2align	6, 0x0
	.amdhsa_kernel _ZN7rocprim17ROCPRIM_400000_NS6detail17trampoline_kernelINS0_14default_configENS1_35radix_sort_onesweep_config_selectorIsNS0_10empty_typeEEEZZNS1_29radix_sort_onesweep_iterationIS3_Lb0EN6thrust23THRUST_200600_302600_NS6detail15normal_iteratorINS9_10device_ptrIsEEEESE_PS5_SF_jNS0_19identity_decomposerENS1_16block_id_wrapperIjLb1EEEEE10hipError_tT1_PNSt15iterator_traitsISK_E10value_typeET2_T3_PNSL_ISQ_E10value_typeET4_T5_PSV_SW_PNS1_23onesweep_lookback_stateEbbT6_jjT7_P12ihipStream_tbENKUlT_T0_SK_SP_E_clISE_SE_SF_SF_EEDaS13_S14_SK_SP_EUlS13_E_NS1_11comp_targetILNS1_3genE10ELNS1_11target_archE1201ELNS1_3gpuE5ELNS1_3repE0EEENS1_47radix_sort_onesweep_sort_config_static_selectorELNS0_4arch9wavefront6targetE1EEEvSK_
		.amdhsa_group_segment_fixed_size 0
		.amdhsa_private_segment_fixed_size 0
		.amdhsa_kernarg_size 88
		.amdhsa_user_sgpr_count 2
		.amdhsa_user_sgpr_dispatch_ptr 0
		.amdhsa_user_sgpr_queue_ptr 0
		.amdhsa_user_sgpr_kernarg_segment_ptr 1
		.amdhsa_user_sgpr_dispatch_id 0
		.amdhsa_user_sgpr_kernarg_preload_length 0
		.amdhsa_user_sgpr_kernarg_preload_offset 0
		.amdhsa_user_sgpr_private_segment_size 0
		.amdhsa_uses_dynamic_stack 0
		.amdhsa_enable_private_segment 0
		.amdhsa_system_sgpr_workgroup_id_x 1
		.amdhsa_system_sgpr_workgroup_id_y 0
		.amdhsa_system_sgpr_workgroup_id_z 0
		.amdhsa_system_sgpr_workgroup_info 0
		.amdhsa_system_vgpr_workitem_id 0
		.amdhsa_next_free_vgpr 1
		.amdhsa_next_free_sgpr 0
		.amdhsa_accum_offset 4
		.amdhsa_reserve_vcc 0
		.amdhsa_float_round_mode_32 0
		.amdhsa_float_round_mode_16_64 0
		.amdhsa_float_denorm_mode_32 3
		.amdhsa_float_denorm_mode_16_64 3
		.amdhsa_dx10_clamp 1
		.amdhsa_ieee_mode 1
		.amdhsa_fp16_overflow 0
		.amdhsa_tg_split 0
		.amdhsa_exception_fp_ieee_invalid_op 0
		.amdhsa_exception_fp_denorm_src 0
		.amdhsa_exception_fp_ieee_div_zero 0
		.amdhsa_exception_fp_ieee_overflow 0
		.amdhsa_exception_fp_ieee_underflow 0
		.amdhsa_exception_fp_ieee_inexact 0
		.amdhsa_exception_int_div_zero 0
	.end_amdhsa_kernel
	.section	.text._ZN7rocprim17ROCPRIM_400000_NS6detail17trampoline_kernelINS0_14default_configENS1_35radix_sort_onesweep_config_selectorIsNS0_10empty_typeEEEZZNS1_29radix_sort_onesweep_iterationIS3_Lb0EN6thrust23THRUST_200600_302600_NS6detail15normal_iteratorINS9_10device_ptrIsEEEESE_PS5_SF_jNS0_19identity_decomposerENS1_16block_id_wrapperIjLb1EEEEE10hipError_tT1_PNSt15iterator_traitsISK_E10value_typeET2_T3_PNSL_ISQ_E10value_typeET4_T5_PSV_SW_PNS1_23onesweep_lookback_stateEbbT6_jjT7_P12ihipStream_tbENKUlT_T0_SK_SP_E_clISE_SE_SF_SF_EEDaS13_S14_SK_SP_EUlS13_E_NS1_11comp_targetILNS1_3genE10ELNS1_11target_archE1201ELNS1_3gpuE5ELNS1_3repE0EEENS1_47radix_sort_onesweep_sort_config_static_selectorELNS0_4arch9wavefront6targetE1EEEvSK_,"axG",@progbits,_ZN7rocprim17ROCPRIM_400000_NS6detail17trampoline_kernelINS0_14default_configENS1_35radix_sort_onesweep_config_selectorIsNS0_10empty_typeEEEZZNS1_29radix_sort_onesweep_iterationIS3_Lb0EN6thrust23THRUST_200600_302600_NS6detail15normal_iteratorINS9_10device_ptrIsEEEESE_PS5_SF_jNS0_19identity_decomposerENS1_16block_id_wrapperIjLb1EEEEE10hipError_tT1_PNSt15iterator_traitsISK_E10value_typeET2_T3_PNSL_ISQ_E10value_typeET4_T5_PSV_SW_PNS1_23onesweep_lookback_stateEbbT6_jjT7_P12ihipStream_tbENKUlT_T0_SK_SP_E_clISE_SE_SF_SF_EEDaS13_S14_SK_SP_EUlS13_E_NS1_11comp_targetILNS1_3genE10ELNS1_11target_archE1201ELNS1_3gpuE5ELNS1_3repE0EEENS1_47radix_sort_onesweep_sort_config_static_selectorELNS0_4arch9wavefront6targetE1EEEvSK_,comdat
.Lfunc_end1956:
	.size	_ZN7rocprim17ROCPRIM_400000_NS6detail17trampoline_kernelINS0_14default_configENS1_35radix_sort_onesweep_config_selectorIsNS0_10empty_typeEEEZZNS1_29radix_sort_onesweep_iterationIS3_Lb0EN6thrust23THRUST_200600_302600_NS6detail15normal_iteratorINS9_10device_ptrIsEEEESE_PS5_SF_jNS0_19identity_decomposerENS1_16block_id_wrapperIjLb1EEEEE10hipError_tT1_PNSt15iterator_traitsISK_E10value_typeET2_T3_PNSL_ISQ_E10value_typeET4_T5_PSV_SW_PNS1_23onesweep_lookback_stateEbbT6_jjT7_P12ihipStream_tbENKUlT_T0_SK_SP_E_clISE_SE_SF_SF_EEDaS13_S14_SK_SP_EUlS13_E_NS1_11comp_targetILNS1_3genE10ELNS1_11target_archE1201ELNS1_3gpuE5ELNS1_3repE0EEENS1_47radix_sort_onesweep_sort_config_static_selectorELNS0_4arch9wavefront6targetE1EEEvSK_, .Lfunc_end1956-_ZN7rocprim17ROCPRIM_400000_NS6detail17trampoline_kernelINS0_14default_configENS1_35radix_sort_onesweep_config_selectorIsNS0_10empty_typeEEEZZNS1_29radix_sort_onesweep_iterationIS3_Lb0EN6thrust23THRUST_200600_302600_NS6detail15normal_iteratorINS9_10device_ptrIsEEEESE_PS5_SF_jNS0_19identity_decomposerENS1_16block_id_wrapperIjLb1EEEEE10hipError_tT1_PNSt15iterator_traitsISK_E10value_typeET2_T3_PNSL_ISQ_E10value_typeET4_T5_PSV_SW_PNS1_23onesweep_lookback_stateEbbT6_jjT7_P12ihipStream_tbENKUlT_T0_SK_SP_E_clISE_SE_SF_SF_EEDaS13_S14_SK_SP_EUlS13_E_NS1_11comp_targetILNS1_3genE10ELNS1_11target_archE1201ELNS1_3gpuE5ELNS1_3repE0EEENS1_47radix_sort_onesweep_sort_config_static_selectorELNS0_4arch9wavefront6targetE1EEEvSK_
                                        ; -- End function
	.section	.AMDGPU.csdata,"",@progbits
; Kernel info:
; codeLenInByte = 0
; NumSgprs: 6
; NumVgprs: 0
; NumAgprs: 0
; TotalNumVgprs: 0
; ScratchSize: 0
; MemoryBound: 0
; FloatMode: 240
; IeeeMode: 1
; LDSByteSize: 0 bytes/workgroup (compile time only)
; SGPRBlocks: 0
; VGPRBlocks: 0
; NumSGPRsForWavesPerEU: 6
; NumVGPRsForWavesPerEU: 1
; AccumOffset: 4
; Occupancy: 8
; WaveLimiterHint : 0
; COMPUTE_PGM_RSRC2:SCRATCH_EN: 0
; COMPUTE_PGM_RSRC2:USER_SGPR: 2
; COMPUTE_PGM_RSRC2:TRAP_HANDLER: 0
; COMPUTE_PGM_RSRC2:TGID_X_EN: 1
; COMPUTE_PGM_RSRC2:TGID_Y_EN: 0
; COMPUTE_PGM_RSRC2:TGID_Z_EN: 0
; COMPUTE_PGM_RSRC2:TIDIG_COMP_CNT: 0
; COMPUTE_PGM_RSRC3_GFX90A:ACCUM_OFFSET: 0
; COMPUTE_PGM_RSRC3_GFX90A:TG_SPLIT: 0
	.section	.text._ZN7rocprim17ROCPRIM_400000_NS6detail17trampoline_kernelINS0_14default_configENS1_35radix_sort_onesweep_config_selectorIsNS0_10empty_typeEEEZZNS1_29radix_sort_onesweep_iterationIS3_Lb0EN6thrust23THRUST_200600_302600_NS6detail15normal_iteratorINS9_10device_ptrIsEEEESE_PS5_SF_jNS0_19identity_decomposerENS1_16block_id_wrapperIjLb1EEEEE10hipError_tT1_PNSt15iterator_traitsISK_E10value_typeET2_T3_PNSL_ISQ_E10value_typeET4_T5_PSV_SW_PNS1_23onesweep_lookback_stateEbbT6_jjT7_P12ihipStream_tbENKUlT_T0_SK_SP_E_clISE_SE_SF_SF_EEDaS13_S14_SK_SP_EUlS13_E_NS1_11comp_targetILNS1_3genE9ELNS1_11target_archE1100ELNS1_3gpuE3ELNS1_3repE0EEENS1_47radix_sort_onesweep_sort_config_static_selectorELNS0_4arch9wavefront6targetE1EEEvSK_,"axG",@progbits,_ZN7rocprim17ROCPRIM_400000_NS6detail17trampoline_kernelINS0_14default_configENS1_35radix_sort_onesweep_config_selectorIsNS0_10empty_typeEEEZZNS1_29radix_sort_onesweep_iterationIS3_Lb0EN6thrust23THRUST_200600_302600_NS6detail15normal_iteratorINS9_10device_ptrIsEEEESE_PS5_SF_jNS0_19identity_decomposerENS1_16block_id_wrapperIjLb1EEEEE10hipError_tT1_PNSt15iterator_traitsISK_E10value_typeET2_T3_PNSL_ISQ_E10value_typeET4_T5_PSV_SW_PNS1_23onesweep_lookback_stateEbbT6_jjT7_P12ihipStream_tbENKUlT_T0_SK_SP_E_clISE_SE_SF_SF_EEDaS13_S14_SK_SP_EUlS13_E_NS1_11comp_targetILNS1_3genE9ELNS1_11target_archE1100ELNS1_3gpuE3ELNS1_3repE0EEENS1_47radix_sort_onesweep_sort_config_static_selectorELNS0_4arch9wavefront6targetE1EEEvSK_,comdat
	.protected	_ZN7rocprim17ROCPRIM_400000_NS6detail17trampoline_kernelINS0_14default_configENS1_35radix_sort_onesweep_config_selectorIsNS0_10empty_typeEEEZZNS1_29radix_sort_onesweep_iterationIS3_Lb0EN6thrust23THRUST_200600_302600_NS6detail15normal_iteratorINS9_10device_ptrIsEEEESE_PS5_SF_jNS0_19identity_decomposerENS1_16block_id_wrapperIjLb1EEEEE10hipError_tT1_PNSt15iterator_traitsISK_E10value_typeET2_T3_PNSL_ISQ_E10value_typeET4_T5_PSV_SW_PNS1_23onesweep_lookback_stateEbbT6_jjT7_P12ihipStream_tbENKUlT_T0_SK_SP_E_clISE_SE_SF_SF_EEDaS13_S14_SK_SP_EUlS13_E_NS1_11comp_targetILNS1_3genE9ELNS1_11target_archE1100ELNS1_3gpuE3ELNS1_3repE0EEENS1_47radix_sort_onesweep_sort_config_static_selectorELNS0_4arch9wavefront6targetE1EEEvSK_ ; -- Begin function _ZN7rocprim17ROCPRIM_400000_NS6detail17trampoline_kernelINS0_14default_configENS1_35radix_sort_onesweep_config_selectorIsNS0_10empty_typeEEEZZNS1_29radix_sort_onesweep_iterationIS3_Lb0EN6thrust23THRUST_200600_302600_NS6detail15normal_iteratorINS9_10device_ptrIsEEEESE_PS5_SF_jNS0_19identity_decomposerENS1_16block_id_wrapperIjLb1EEEEE10hipError_tT1_PNSt15iterator_traitsISK_E10value_typeET2_T3_PNSL_ISQ_E10value_typeET4_T5_PSV_SW_PNS1_23onesweep_lookback_stateEbbT6_jjT7_P12ihipStream_tbENKUlT_T0_SK_SP_E_clISE_SE_SF_SF_EEDaS13_S14_SK_SP_EUlS13_E_NS1_11comp_targetILNS1_3genE9ELNS1_11target_archE1100ELNS1_3gpuE3ELNS1_3repE0EEENS1_47radix_sort_onesweep_sort_config_static_selectorELNS0_4arch9wavefront6targetE1EEEvSK_
	.globl	_ZN7rocprim17ROCPRIM_400000_NS6detail17trampoline_kernelINS0_14default_configENS1_35radix_sort_onesweep_config_selectorIsNS0_10empty_typeEEEZZNS1_29radix_sort_onesweep_iterationIS3_Lb0EN6thrust23THRUST_200600_302600_NS6detail15normal_iteratorINS9_10device_ptrIsEEEESE_PS5_SF_jNS0_19identity_decomposerENS1_16block_id_wrapperIjLb1EEEEE10hipError_tT1_PNSt15iterator_traitsISK_E10value_typeET2_T3_PNSL_ISQ_E10value_typeET4_T5_PSV_SW_PNS1_23onesweep_lookback_stateEbbT6_jjT7_P12ihipStream_tbENKUlT_T0_SK_SP_E_clISE_SE_SF_SF_EEDaS13_S14_SK_SP_EUlS13_E_NS1_11comp_targetILNS1_3genE9ELNS1_11target_archE1100ELNS1_3gpuE3ELNS1_3repE0EEENS1_47radix_sort_onesweep_sort_config_static_selectorELNS0_4arch9wavefront6targetE1EEEvSK_
	.p2align	8
	.type	_ZN7rocprim17ROCPRIM_400000_NS6detail17trampoline_kernelINS0_14default_configENS1_35radix_sort_onesweep_config_selectorIsNS0_10empty_typeEEEZZNS1_29radix_sort_onesweep_iterationIS3_Lb0EN6thrust23THRUST_200600_302600_NS6detail15normal_iteratorINS9_10device_ptrIsEEEESE_PS5_SF_jNS0_19identity_decomposerENS1_16block_id_wrapperIjLb1EEEEE10hipError_tT1_PNSt15iterator_traitsISK_E10value_typeET2_T3_PNSL_ISQ_E10value_typeET4_T5_PSV_SW_PNS1_23onesweep_lookback_stateEbbT6_jjT7_P12ihipStream_tbENKUlT_T0_SK_SP_E_clISE_SE_SF_SF_EEDaS13_S14_SK_SP_EUlS13_E_NS1_11comp_targetILNS1_3genE9ELNS1_11target_archE1100ELNS1_3gpuE3ELNS1_3repE0EEENS1_47radix_sort_onesweep_sort_config_static_selectorELNS0_4arch9wavefront6targetE1EEEvSK_,@function
_ZN7rocprim17ROCPRIM_400000_NS6detail17trampoline_kernelINS0_14default_configENS1_35radix_sort_onesweep_config_selectorIsNS0_10empty_typeEEEZZNS1_29radix_sort_onesweep_iterationIS3_Lb0EN6thrust23THRUST_200600_302600_NS6detail15normal_iteratorINS9_10device_ptrIsEEEESE_PS5_SF_jNS0_19identity_decomposerENS1_16block_id_wrapperIjLb1EEEEE10hipError_tT1_PNSt15iterator_traitsISK_E10value_typeET2_T3_PNSL_ISQ_E10value_typeET4_T5_PSV_SW_PNS1_23onesweep_lookback_stateEbbT6_jjT7_P12ihipStream_tbENKUlT_T0_SK_SP_E_clISE_SE_SF_SF_EEDaS13_S14_SK_SP_EUlS13_E_NS1_11comp_targetILNS1_3genE9ELNS1_11target_archE1100ELNS1_3gpuE3ELNS1_3repE0EEENS1_47radix_sort_onesweep_sort_config_static_selectorELNS0_4arch9wavefront6targetE1EEEvSK_: ; @_ZN7rocprim17ROCPRIM_400000_NS6detail17trampoline_kernelINS0_14default_configENS1_35radix_sort_onesweep_config_selectorIsNS0_10empty_typeEEEZZNS1_29radix_sort_onesweep_iterationIS3_Lb0EN6thrust23THRUST_200600_302600_NS6detail15normal_iteratorINS9_10device_ptrIsEEEESE_PS5_SF_jNS0_19identity_decomposerENS1_16block_id_wrapperIjLb1EEEEE10hipError_tT1_PNSt15iterator_traitsISK_E10value_typeET2_T3_PNSL_ISQ_E10value_typeET4_T5_PSV_SW_PNS1_23onesweep_lookback_stateEbbT6_jjT7_P12ihipStream_tbENKUlT_T0_SK_SP_E_clISE_SE_SF_SF_EEDaS13_S14_SK_SP_EUlS13_E_NS1_11comp_targetILNS1_3genE9ELNS1_11target_archE1100ELNS1_3gpuE3ELNS1_3repE0EEENS1_47radix_sort_onesweep_sort_config_static_selectorELNS0_4arch9wavefront6targetE1EEEvSK_
; %bb.0:
	.section	.rodata,"a",@progbits
	.p2align	6, 0x0
	.amdhsa_kernel _ZN7rocprim17ROCPRIM_400000_NS6detail17trampoline_kernelINS0_14default_configENS1_35radix_sort_onesweep_config_selectorIsNS0_10empty_typeEEEZZNS1_29radix_sort_onesweep_iterationIS3_Lb0EN6thrust23THRUST_200600_302600_NS6detail15normal_iteratorINS9_10device_ptrIsEEEESE_PS5_SF_jNS0_19identity_decomposerENS1_16block_id_wrapperIjLb1EEEEE10hipError_tT1_PNSt15iterator_traitsISK_E10value_typeET2_T3_PNSL_ISQ_E10value_typeET4_T5_PSV_SW_PNS1_23onesweep_lookback_stateEbbT6_jjT7_P12ihipStream_tbENKUlT_T0_SK_SP_E_clISE_SE_SF_SF_EEDaS13_S14_SK_SP_EUlS13_E_NS1_11comp_targetILNS1_3genE9ELNS1_11target_archE1100ELNS1_3gpuE3ELNS1_3repE0EEENS1_47radix_sort_onesweep_sort_config_static_selectorELNS0_4arch9wavefront6targetE1EEEvSK_
		.amdhsa_group_segment_fixed_size 0
		.amdhsa_private_segment_fixed_size 0
		.amdhsa_kernarg_size 88
		.amdhsa_user_sgpr_count 2
		.amdhsa_user_sgpr_dispatch_ptr 0
		.amdhsa_user_sgpr_queue_ptr 0
		.amdhsa_user_sgpr_kernarg_segment_ptr 1
		.amdhsa_user_sgpr_dispatch_id 0
		.amdhsa_user_sgpr_kernarg_preload_length 0
		.amdhsa_user_sgpr_kernarg_preload_offset 0
		.amdhsa_user_sgpr_private_segment_size 0
		.amdhsa_uses_dynamic_stack 0
		.amdhsa_enable_private_segment 0
		.amdhsa_system_sgpr_workgroup_id_x 1
		.amdhsa_system_sgpr_workgroup_id_y 0
		.amdhsa_system_sgpr_workgroup_id_z 0
		.amdhsa_system_sgpr_workgroup_info 0
		.amdhsa_system_vgpr_workitem_id 0
		.amdhsa_next_free_vgpr 1
		.amdhsa_next_free_sgpr 0
		.amdhsa_accum_offset 4
		.amdhsa_reserve_vcc 0
		.amdhsa_float_round_mode_32 0
		.amdhsa_float_round_mode_16_64 0
		.amdhsa_float_denorm_mode_32 3
		.amdhsa_float_denorm_mode_16_64 3
		.amdhsa_dx10_clamp 1
		.amdhsa_ieee_mode 1
		.amdhsa_fp16_overflow 0
		.amdhsa_tg_split 0
		.amdhsa_exception_fp_ieee_invalid_op 0
		.amdhsa_exception_fp_denorm_src 0
		.amdhsa_exception_fp_ieee_div_zero 0
		.amdhsa_exception_fp_ieee_overflow 0
		.amdhsa_exception_fp_ieee_underflow 0
		.amdhsa_exception_fp_ieee_inexact 0
		.amdhsa_exception_int_div_zero 0
	.end_amdhsa_kernel
	.section	.text._ZN7rocprim17ROCPRIM_400000_NS6detail17trampoline_kernelINS0_14default_configENS1_35radix_sort_onesweep_config_selectorIsNS0_10empty_typeEEEZZNS1_29radix_sort_onesweep_iterationIS3_Lb0EN6thrust23THRUST_200600_302600_NS6detail15normal_iteratorINS9_10device_ptrIsEEEESE_PS5_SF_jNS0_19identity_decomposerENS1_16block_id_wrapperIjLb1EEEEE10hipError_tT1_PNSt15iterator_traitsISK_E10value_typeET2_T3_PNSL_ISQ_E10value_typeET4_T5_PSV_SW_PNS1_23onesweep_lookback_stateEbbT6_jjT7_P12ihipStream_tbENKUlT_T0_SK_SP_E_clISE_SE_SF_SF_EEDaS13_S14_SK_SP_EUlS13_E_NS1_11comp_targetILNS1_3genE9ELNS1_11target_archE1100ELNS1_3gpuE3ELNS1_3repE0EEENS1_47radix_sort_onesweep_sort_config_static_selectorELNS0_4arch9wavefront6targetE1EEEvSK_,"axG",@progbits,_ZN7rocprim17ROCPRIM_400000_NS6detail17trampoline_kernelINS0_14default_configENS1_35radix_sort_onesweep_config_selectorIsNS0_10empty_typeEEEZZNS1_29radix_sort_onesweep_iterationIS3_Lb0EN6thrust23THRUST_200600_302600_NS6detail15normal_iteratorINS9_10device_ptrIsEEEESE_PS5_SF_jNS0_19identity_decomposerENS1_16block_id_wrapperIjLb1EEEEE10hipError_tT1_PNSt15iterator_traitsISK_E10value_typeET2_T3_PNSL_ISQ_E10value_typeET4_T5_PSV_SW_PNS1_23onesweep_lookback_stateEbbT6_jjT7_P12ihipStream_tbENKUlT_T0_SK_SP_E_clISE_SE_SF_SF_EEDaS13_S14_SK_SP_EUlS13_E_NS1_11comp_targetILNS1_3genE9ELNS1_11target_archE1100ELNS1_3gpuE3ELNS1_3repE0EEENS1_47radix_sort_onesweep_sort_config_static_selectorELNS0_4arch9wavefront6targetE1EEEvSK_,comdat
.Lfunc_end1957:
	.size	_ZN7rocprim17ROCPRIM_400000_NS6detail17trampoline_kernelINS0_14default_configENS1_35radix_sort_onesweep_config_selectorIsNS0_10empty_typeEEEZZNS1_29radix_sort_onesweep_iterationIS3_Lb0EN6thrust23THRUST_200600_302600_NS6detail15normal_iteratorINS9_10device_ptrIsEEEESE_PS5_SF_jNS0_19identity_decomposerENS1_16block_id_wrapperIjLb1EEEEE10hipError_tT1_PNSt15iterator_traitsISK_E10value_typeET2_T3_PNSL_ISQ_E10value_typeET4_T5_PSV_SW_PNS1_23onesweep_lookback_stateEbbT6_jjT7_P12ihipStream_tbENKUlT_T0_SK_SP_E_clISE_SE_SF_SF_EEDaS13_S14_SK_SP_EUlS13_E_NS1_11comp_targetILNS1_3genE9ELNS1_11target_archE1100ELNS1_3gpuE3ELNS1_3repE0EEENS1_47radix_sort_onesweep_sort_config_static_selectorELNS0_4arch9wavefront6targetE1EEEvSK_, .Lfunc_end1957-_ZN7rocprim17ROCPRIM_400000_NS6detail17trampoline_kernelINS0_14default_configENS1_35radix_sort_onesweep_config_selectorIsNS0_10empty_typeEEEZZNS1_29radix_sort_onesweep_iterationIS3_Lb0EN6thrust23THRUST_200600_302600_NS6detail15normal_iteratorINS9_10device_ptrIsEEEESE_PS5_SF_jNS0_19identity_decomposerENS1_16block_id_wrapperIjLb1EEEEE10hipError_tT1_PNSt15iterator_traitsISK_E10value_typeET2_T3_PNSL_ISQ_E10value_typeET4_T5_PSV_SW_PNS1_23onesweep_lookback_stateEbbT6_jjT7_P12ihipStream_tbENKUlT_T0_SK_SP_E_clISE_SE_SF_SF_EEDaS13_S14_SK_SP_EUlS13_E_NS1_11comp_targetILNS1_3genE9ELNS1_11target_archE1100ELNS1_3gpuE3ELNS1_3repE0EEENS1_47radix_sort_onesweep_sort_config_static_selectorELNS0_4arch9wavefront6targetE1EEEvSK_
                                        ; -- End function
	.section	.AMDGPU.csdata,"",@progbits
; Kernel info:
; codeLenInByte = 0
; NumSgprs: 6
; NumVgprs: 0
; NumAgprs: 0
; TotalNumVgprs: 0
; ScratchSize: 0
; MemoryBound: 0
; FloatMode: 240
; IeeeMode: 1
; LDSByteSize: 0 bytes/workgroup (compile time only)
; SGPRBlocks: 0
; VGPRBlocks: 0
; NumSGPRsForWavesPerEU: 6
; NumVGPRsForWavesPerEU: 1
; AccumOffset: 4
; Occupancy: 8
; WaveLimiterHint : 0
; COMPUTE_PGM_RSRC2:SCRATCH_EN: 0
; COMPUTE_PGM_RSRC2:USER_SGPR: 2
; COMPUTE_PGM_RSRC2:TRAP_HANDLER: 0
; COMPUTE_PGM_RSRC2:TGID_X_EN: 1
; COMPUTE_PGM_RSRC2:TGID_Y_EN: 0
; COMPUTE_PGM_RSRC2:TGID_Z_EN: 0
; COMPUTE_PGM_RSRC2:TIDIG_COMP_CNT: 0
; COMPUTE_PGM_RSRC3_GFX90A:ACCUM_OFFSET: 0
; COMPUTE_PGM_RSRC3_GFX90A:TG_SPLIT: 0
	.section	.text._ZN7rocprim17ROCPRIM_400000_NS6detail17trampoline_kernelINS0_14default_configENS1_35radix_sort_onesweep_config_selectorIsNS0_10empty_typeEEEZZNS1_29radix_sort_onesweep_iterationIS3_Lb0EN6thrust23THRUST_200600_302600_NS6detail15normal_iteratorINS9_10device_ptrIsEEEESE_PS5_SF_jNS0_19identity_decomposerENS1_16block_id_wrapperIjLb1EEEEE10hipError_tT1_PNSt15iterator_traitsISK_E10value_typeET2_T3_PNSL_ISQ_E10value_typeET4_T5_PSV_SW_PNS1_23onesweep_lookback_stateEbbT6_jjT7_P12ihipStream_tbENKUlT_T0_SK_SP_E_clISE_SE_SF_SF_EEDaS13_S14_SK_SP_EUlS13_E_NS1_11comp_targetILNS1_3genE8ELNS1_11target_archE1030ELNS1_3gpuE2ELNS1_3repE0EEENS1_47radix_sort_onesweep_sort_config_static_selectorELNS0_4arch9wavefront6targetE1EEEvSK_,"axG",@progbits,_ZN7rocprim17ROCPRIM_400000_NS6detail17trampoline_kernelINS0_14default_configENS1_35radix_sort_onesweep_config_selectorIsNS0_10empty_typeEEEZZNS1_29radix_sort_onesweep_iterationIS3_Lb0EN6thrust23THRUST_200600_302600_NS6detail15normal_iteratorINS9_10device_ptrIsEEEESE_PS5_SF_jNS0_19identity_decomposerENS1_16block_id_wrapperIjLb1EEEEE10hipError_tT1_PNSt15iterator_traitsISK_E10value_typeET2_T3_PNSL_ISQ_E10value_typeET4_T5_PSV_SW_PNS1_23onesweep_lookback_stateEbbT6_jjT7_P12ihipStream_tbENKUlT_T0_SK_SP_E_clISE_SE_SF_SF_EEDaS13_S14_SK_SP_EUlS13_E_NS1_11comp_targetILNS1_3genE8ELNS1_11target_archE1030ELNS1_3gpuE2ELNS1_3repE0EEENS1_47radix_sort_onesweep_sort_config_static_selectorELNS0_4arch9wavefront6targetE1EEEvSK_,comdat
	.protected	_ZN7rocprim17ROCPRIM_400000_NS6detail17trampoline_kernelINS0_14default_configENS1_35radix_sort_onesweep_config_selectorIsNS0_10empty_typeEEEZZNS1_29radix_sort_onesweep_iterationIS3_Lb0EN6thrust23THRUST_200600_302600_NS6detail15normal_iteratorINS9_10device_ptrIsEEEESE_PS5_SF_jNS0_19identity_decomposerENS1_16block_id_wrapperIjLb1EEEEE10hipError_tT1_PNSt15iterator_traitsISK_E10value_typeET2_T3_PNSL_ISQ_E10value_typeET4_T5_PSV_SW_PNS1_23onesweep_lookback_stateEbbT6_jjT7_P12ihipStream_tbENKUlT_T0_SK_SP_E_clISE_SE_SF_SF_EEDaS13_S14_SK_SP_EUlS13_E_NS1_11comp_targetILNS1_3genE8ELNS1_11target_archE1030ELNS1_3gpuE2ELNS1_3repE0EEENS1_47radix_sort_onesweep_sort_config_static_selectorELNS0_4arch9wavefront6targetE1EEEvSK_ ; -- Begin function _ZN7rocprim17ROCPRIM_400000_NS6detail17trampoline_kernelINS0_14default_configENS1_35radix_sort_onesweep_config_selectorIsNS0_10empty_typeEEEZZNS1_29radix_sort_onesweep_iterationIS3_Lb0EN6thrust23THRUST_200600_302600_NS6detail15normal_iteratorINS9_10device_ptrIsEEEESE_PS5_SF_jNS0_19identity_decomposerENS1_16block_id_wrapperIjLb1EEEEE10hipError_tT1_PNSt15iterator_traitsISK_E10value_typeET2_T3_PNSL_ISQ_E10value_typeET4_T5_PSV_SW_PNS1_23onesweep_lookback_stateEbbT6_jjT7_P12ihipStream_tbENKUlT_T0_SK_SP_E_clISE_SE_SF_SF_EEDaS13_S14_SK_SP_EUlS13_E_NS1_11comp_targetILNS1_3genE8ELNS1_11target_archE1030ELNS1_3gpuE2ELNS1_3repE0EEENS1_47radix_sort_onesweep_sort_config_static_selectorELNS0_4arch9wavefront6targetE1EEEvSK_
	.globl	_ZN7rocprim17ROCPRIM_400000_NS6detail17trampoline_kernelINS0_14default_configENS1_35radix_sort_onesweep_config_selectorIsNS0_10empty_typeEEEZZNS1_29radix_sort_onesweep_iterationIS3_Lb0EN6thrust23THRUST_200600_302600_NS6detail15normal_iteratorINS9_10device_ptrIsEEEESE_PS5_SF_jNS0_19identity_decomposerENS1_16block_id_wrapperIjLb1EEEEE10hipError_tT1_PNSt15iterator_traitsISK_E10value_typeET2_T3_PNSL_ISQ_E10value_typeET4_T5_PSV_SW_PNS1_23onesweep_lookback_stateEbbT6_jjT7_P12ihipStream_tbENKUlT_T0_SK_SP_E_clISE_SE_SF_SF_EEDaS13_S14_SK_SP_EUlS13_E_NS1_11comp_targetILNS1_3genE8ELNS1_11target_archE1030ELNS1_3gpuE2ELNS1_3repE0EEENS1_47radix_sort_onesweep_sort_config_static_selectorELNS0_4arch9wavefront6targetE1EEEvSK_
	.p2align	8
	.type	_ZN7rocprim17ROCPRIM_400000_NS6detail17trampoline_kernelINS0_14default_configENS1_35radix_sort_onesweep_config_selectorIsNS0_10empty_typeEEEZZNS1_29radix_sort_onesweep_iterationIS3_Lb0EN6thrust23THRUST_200600_302600_NS6detail15normal_iteratorINS9_10device_ptrIsEEEESE_PS5_SF_jNS0_19identity_decomposerENS1_16block_id_wrapperIjLb1EEEEE10hipError_tT1_PNSt15iterator_traitsISK_E10value_typeET2_T3_PNSL_ISQ_E10value_typeET4_T5_PSV_SW_PNS1_23onesweep_lookback_stateEbbT6_jjT7_P12ihipStream_tbENKUlT_T0_SK_SP_E_clISE_SE_SF_SF_EEDaS13_S14_SK_SP_EUlS13_E_NS1_11comp_targetILNS1_3genE8ELNS1_11target_archE1030ELNS1_3gpuE2ELNS1_3repE0EEENS1_47radix_sort_onesweep_sort_config_static_selectorELNS0_4arch9wavefront6targetE1EEEvSK_,@function
_ZN7rocprim17ROCPRIM_400000_NS6detail17trampoline_kernelINS0_14default_configENS1_35radix_sort_onesweep_config_selectorIsNS0_10empty_typeEEEZZNS1_29radix_sort_onesweep_iterationIS3_Lb0EN6thrust23THRUST_200600_302600_NS6detail15normal_iteratorINS9_10device_ptrIsEEEESE_PS5_SF_jNS0_19identity_decomposerENS1_16block_id_wrapperIjLb1EEEEE10hipError_tT1_PNSt15iterator_traitsISK_E10value_typeET2_T3_PNSL_ISQ_E10value_typeET4_T5_PSV_SW_PNS1_23onesweep_lookback_stateEbbT6_jjT7_P12ihipStream_tbENKUlT_T0_SK_SP_E_clISE_SE_SF_SF_EEDaS13_S14_SK_SP_EUlS13_E_NS1_11comp_targetILNS1_3genE8ELNS1_11target_archE1030ELNS1_3gpuE2ELNS1_3repE0EEENS1_47radix_sort_onesweep_sort_config_static_selectorELNS0_4arch9wavefront6targetE1EEEvSK_: ; @_ZN7rocprim17ROCPRIM_400000_NS6detail17trampoline_kernelINS0_14default_configENS1_35radix_sort_onesweep_config_selectorIsNS0_10empty_typeEEEZZNS1_29radix_sort_onesweep_iterationIS3_Lb0EN6thrust23THRUST_200600_302600_NS6detail15normal_iteratorINS9_10device_ptrIsEEEESE_PS5_SF_jNS0_19identity_decomposerENS1_16block_id_wrapperIjLb1EEEEE10hipError_tT1_PNSt15iterator_traitsISK_E10value_typeET2_T3_PNSL_ISQ_E10value_typeET4_T5_PSV_SW_PNS1_23onesweep_lookback_stateEbbT6_jjT7_P12ihipStream_tbENKUlT_T0_SK_SP_E_clISE_SE_SF_SF_EEDaS13_S14_SK_SP_EUlS13_E_NS1_11comp_targetILNS1_3genE8ELNS1_11target_archE1030ELNS1_3gpuE2ELNS1_3repE0EEENS1_47radix_sort_onesweep_sort_config_static_selectorELNS0_4arch9wavefront6targetE1EEEvSK_
; %bb.0:
	.section	.rodata,"a",@progbits
	.p2align	6, 0x0
	.amdhsa_kernel _ZN7rocprim17ROCPRIM_400000_NS6detail17trampoline_kernelINS0_14default_configENS1_35radix_sort_onesweep_config_selectorIsNS0_10empty_typeEEEZZNS1_29radix_sort_onesweep_iterationIS3_Lb0EN6thrust23THRUST_200600_302600_NS6detail15normal_iteratorINS9_10device_ptrIsEEEESE_PS5_SF_jNS0_19identity_decomposerENS1_16block_id_wrapperIjLb1EEEEE10hipError_tT1_PNSt15iterator_traitsISK_E10value_typeET2_T3_PNSL_ISQ_E10value_typeET4_T5_PSV_SW_PNS1_23onesweep_lookback_stateEbbT6_jjT7_P12ihipStream_tbENKUlT_T0_SK_SP_E_clISE_SE_SF_SF_EEDaS13_S14_SK_SP_EUlS13_E_NS1_11comp_targetILNS1_3genE8ELNS1_11target_archE1030ELNS1_3gpuE2ELNS1_3repE0EEENS1_47radix_sort_onesweep_sort_config_static_selectorELNS0_4arch9wavefront6targetE1EEEvSK_
		.amdhsa_group_segment_fixed_size 0
		.amdhsa_private_segment_fixed_size 0
		.amdhsa_kernarg_size 88
		.amdhsa_user_sgpr_count 2
		.amdhsa_user_sgpr_dispatch_ptr 0
		.amdhsa_user_sgpr_queue_ptr 0
		.amdhsa_user_sgpr_kernarg_segment_ptr 1
		.amdhsa_user_sgpr_dispatch_id 0
		.amdhsa_user_sgpr_kernarg_preload_length 0
		.amdhsa_user_sgpr_kernarg_preload_offset 0
		.amdhsa_user_sgpr_private_segment_size 0
		.amdhsa_uses_dynamic_stack 0
		.amdhsa_enable_private_segment 0
		.amdhsa_system_sgpr_workgroup_id_x 1
		.amdhsa_system_sgpr_workgroup_id_y 0
		.amdhsa_system_sgpr_workgroup_id_z 0
		.amdhsa_system_sgpr_workgroup_info 0
		.amdhsa_system_vgpr_workitem_id 0
		.amdhsa_next_free_vgpr 1
		.amdhsa_next_free_sgpr 0
		.amdhsa_accum_offset 4
		.amdhsa_reserve_vcc 0
		.amdhsa_float_round_mode_32 0
		.amdhsa_float_round_mode_16_64 0
		.amdhsa_float_denorm_mode_32 3
		.amdhsa_float_denorm_mode_16_64 3
		.amdhsa_dx10_clamp 1
		.amdhsa_ieee_mode 1
		.amdhsa_fp16_overflow 0
		.amdhsa_tg_split 0
		.amdhsa_exception_fp_ieee_invalid_op 0
		.amdhsa_exception_fp_denorm_src 0
		.amdhsa_exception_fp_ieee_div_zero 0
		.amdhsa_exception_fp_ieee_overflow 0
		.amdhsa_exception_fp_ieee_underflow 0
		.amdhsa_exception_fp_ieee_inexact 0
		.amdhsa_exception_int_div_zero 0
	.end_amdhsa_kernel
	.section	.text._ZN7rocprim17ROCPRIM_400000_NS6detail17trampoline_kernelINS0_14default_configENS1_35radix_sort_onesweep_config_selectorIsNS0_10empty_typeEEEZZNS1_29radix_sort_onesweep_iterationIS3_Lb0EN6thrust23THRUST_200600_302600_NS6detail15normal_iteratorINS9_10device_ptrIsEEEESE_PS5_SF_jNS0_19identity_decomposerENS1_16block_id_wrapperIjLb1EEEEE10hipError_tT1_PNSt15iterator_traitsISK_E10value_typeET2_T3_PNSL_ISQ_E10value_typeET4_T5_PSV_SW_PNS1_23onesweep_lookback_stateEbbT6_jjT7_P12ihipStream_tbENKUlT_T0_SK_SP_E_clISE_SE_SF_SF_EEDaS13_S14_SK_SP_EUlS13_E_NS1_11comp_targetILNS1_3genE8ELNS1_11target_archE1030ELNS1_3gpuE2ELNS1_3repE0EEENS1_47radix_sort_onesweep_sort_config_static_selectorELNS0_4arch9wavefront6targetE1EEEvSK_,"axG",@progbits,_ZN7rocprim17ROCPRIM_400000_NS6detail17trampoline_kernelINS0_14default_configENS1_35radix_sort_onesweep_config_selectorIsNS0_10empty_typeEEEZZNS1_29radix_sort_onesweep_iterationIS3_Lb0EN6thrust23THRUST_200600_302600_NS6detail15normal_iteratorINS9_10device_ptrIsEEEESE_PS5_SF_jNS0_19identity_decomposerENS1_16block_id_wrapperIjLb1EEEEE10hipError_tT1_PNSt15iterator_traitsISK_E10value_typeET2_T3_PNSL_ISQ_E10value_typeET4_T5_PSV_SW_PNS1_23onesweep_lookback_stateEbbT6_jjT7_P12ihipStream_tbENKUlT_T0_SK_SP_E_clISE_SE_SF_SF_EEDaS13_S14_SK_SP_EUlS13_E_NS1_11comp_targetILNS1_3genE8ELNS1_11target_archE1030ELNS1_3gpuE2ELNS1_3repE0EEENS1_47radix_sort_onesweep_sort_config_static_selectorELNS0_4arch9wavefront6targetE1EEEvSK_,comdat
.Lfunc_end1958:
	.size	_ZN7rocprim17ROCPRIM_400000_NS6detail17trampoline_kernelINS0_14default_configENS1_35radix_sort_onesweep_config_selectorIsNS0_10empty_typeEEEZZNS1_29radix_sort_onesweep_iterationIS3_Lb0EN6thrust23THRUST_200600_302600_NS6detail15normal_iteratorINS9_10device_ptrIsEEEESE_PS5_SF_jNS0_19identity_decomposerENS1_16block_id_wrapperIjLb1EEEEE10hipError_tT1_PNSt15iterator_traitsISK_E10value_typeET2_T3_PNSL_ISQ_E10value_typeET4_T5_PSV_SW_PNS1_23onesweep_lookback_stateEbbT6_jjT7_P12ihipStream_tbENKUlT_T0_SK_SP_E_clISE_SE_SF_SF_EEDaS13_S14_SK_SP_EUlS13_E_NS1_11comp_targetILNS1_3genE8ELNS1_11target_archE1030ELNS1_3gpuE2ELNS1_3repE0EEENS1_47radix_sort_onesweep_sort_config_static_selectorELNS0_4arch9wavefront6targetE1EEEvSK_, .Lfunc_end1958-_ZN7rocprim17ROCPRIM_400000_NS6detail17trampoline_kernelINS0_14default_configENS1_35radix_sort_onesweep_config_selectorIsNS0_10empty_typeEEEZZNS1_29radix_sort_onesweep_iterationIS3_Lb0EN6thrust23THRUST_200600_302600_NS6detail15normal_iteratorINS9_10device_ptrIsEEEESE_PS5_SF_jNS0_19identity_decomposerENS1_16block_id_wrapperIjLb1EEEEE10hipError_tT1_PNSt15iterator_traitsISK_E10value_typeET2_T3_PNSL_ISQ_E10value_typeET4_T5_PSV_SW_PNS1_23onesweep_lookback_stateEbbT6_jjT7_P12ihipStream_tbENKUlT_T0_SK_SP_E_clISE_SE_SF_SF_EEDaS13_S14_SK_SP_EUlS13_E_NS1_11comp_targetILNS1_3genE8ELNS1_11target_archE1030ELNS1_3gpuE2ELNS1_3repE0EEENS1_47radix_sort_onesweep_sort_config_static_selectorELNS0_4arch9wavefront6targetE1EEEvSK_
                                        ; -- End function
	.section	.AMDGPU.csdata,"",@progbits
; Kernel info:
; codeLenInByte = 0
; NumSgprs: 6
; NumVgprs: 0
; NumAgprs: 0
; TotalNumVgprs: 0
; ScratchSize: 0
; MemoryBound: 0
; FloatMode: 240
; IeeeMode: 1
; LDSByteSize: 0 bytes/workgroup (compile time only)
; SGPRBlocks: 0
; VGPRBlocks: 0
; NumSGPRsForWavesPerEU: 6
; NumVGPRsForWavesPerEU: 1
; AccumOffset: 4
; Occupancy: 8
; WaveLimiterHint : 0
; COMPUTE_PGM_RSRC2:SCRATCH_EN: 0
; COMPUTE_PGM_RSRC2:USER_SGPR: 2
; COMPUTE_PGM_RSRC2:TRAP_HANDLER: 0
; COMPUTE_PGM_RSRC2:TGID_X_EN: 1
; COMPUTE_PGM_RSRC2:TGID_Y_EN: 0
; COMPUTE_PGM_RSRC2:TGID_Z_EN: 0
; COMPUTE_PGM_RSRC2:TIDIG_COMP_CNT: 0
; COMPUTE_PGM_RSRC3_GFX90A:ACCUM_OFFSET: 0
; COMPUTE_PGM_RSRC3_GFX90A:TG_SPLIT: 0
	.section	.text._ZN7rocprim17ROCPRIM_400000_NS6detail17trampoline_kernelINS0_14default_configENS1_35radix_sort_onesweep_config_selectorIsNS0_10empty_typeEEEZZNS1_29radix_sort_onesweep_iterationIS3_Lb0EN6thrust23THRUST_200600_302600_NS6detail15normal_iteratorINS9_10device_ptrIsEEEESE_PS5_SF_jNS0_19identity_decomposerENS1_16block_id_wrapperIjLb1EEEEE10hipError_tT1_PNSt15iterator_traitsISK_E10value_typeET2_T3_PNSL_ISQ_E10value_typeET4_T5_PSV_SW_PNS1_23onesweep_lookback_stateEbbT6_jjT7_P12ihipStream_tbENKUlT_T0_SK_SP_E_clISE_PsSF_SF_EEDaS13_S14_SK_SP_EUlS13_E_NS1_11comp_targetILNS1_3genE0ELNS1_11target_archE4294967295ELNS1_3gpuE0ELNS1_3repE0EEENS1_47radix_sort_onesweep_sort_config_static_selectorELNS0_4arch9wavefront6targetE1EEEvSK_,"axG",@progbits,_ZN7rocprim17ROCPRIM_400000_NS6detail17trampoline_kernelINS0_14default_configENS1_35radix_sort_onesweep_config_selectorIsNS0_10empty_typeEEEZZNS1_29radix_sort_onesweep_iterationIS3_Lb0EN6thrust23THRUST_200600_302600_NS6detail15normal_iteratorINS9_10device_ptrIsEEEESE_PS5_SF_jNS0_19identity_decomposerENS1_16block_id_wrapperIjLb1EEEEE10hipError_tT1_PNSt15iterator_traitsISK_E10value_typeET2_T3_PNSL_ISQ_E10value_typeET4_T5_PSV_SW_PNS1_23onesweep_lookback_stateEbbT6_jjT7_P12ihipStream_tbENKUlT_T0_SK_SP_E_clISE_PsSF_SF_EEDaS13_S14_SK_SP_EUlS13_E_NS1_11comp_targetILNS1_3genE0ELNS1_11target_archE4294967295ELNS1_3gpuE0ELNS1_3repE0EEENS1_47radix_sort_onesweep_sort_config_static_selectorELNS0_4arch9wavefront6targetE1EEEvSK_,comdat
	.protected	_ZN7rocprim17ROCPRIM_400000_NS6detail17trampoline_kernelINS0_14default_configENS1_35radix_sort_onesweep_config_selectorIsNS0_10empty_typeEEEZZNS1_29radix_sort_onesweep_iterationIS3_Lb0EN6thrust23THRUST_200600_302600_NS6detail15normal_iteratorINS9_10device_ptrIsEEEESE_PS5_SF_jNS0_19identity_decomposerENS1_16block_id_wrapperIjLb1EEEEE10hipError_tT1_PNSt15iterator_traitsISK_E10value_typeET2_T3_PNSL_ISQ_E10value_typeET4_T5_PSV_SW_PNS1_23onesweep_lookback_stateEbbT6_jjT7_P12ihipStream_tbENKUlT_T0_SK_SP_E_clISE_PsSF_SF_EEDaS13_S14_SK_SP_EUlS13_E_NS1_11comp_targetILNS1_3genE0ELNS1_11target_archE4294967295ELNS1_3gpuE0ELNS1_3repE0EEENS1_47radix_sort_onesweep_sort_config_static_selectorELNS0_4arch9wavefront6targetE1EEEvSK_ ; -- Begin function _ZN7rocprim17ROCPRIM_400000_NS6detail17trampoline_kernelINS0_14default_configENS1_35radix_sort_onesweep_config_selectorIsNS0_10empty_typeEEEZZNS1_29radix_sort_onesweep_iterationIS3_Lb0EN6thrust23THRUST_200600_302600_NS6detail15normal_iteratorINS9_10device_ptrIsEEEESE_PS5_SF_jNS0_19identity_decomposerENS1_16block_id_wrapperIjLb1EEEEE10hipError_tT1_PNSt15iterator_traitsISK_E10value_typeET2_T3_PNSL_ISQ_E10value_typeET4_T5_PSV_SW_PNS1_23onesweep_lookback_stateEbbT6_jjT7_P12ihipStream_tbENKUlT_T0_SK_SP_E_clISE_PsSF_SF_EEDaS13_S14_SK_SP_EUlS13_E_NS1_11comp_targetILNS1_3genE0ELNS1_11target_archE4294967295ELNS1_3gpuE0ELNS1_3repE0EEENS1_47radix_sort_onesweep_sort_config_static_selectorELNS0_4arch9wavefront6targetE1EEEvSK_
	.globl	_ZN7rocprim17ROCPRIM_400000_NS6detail17trampoline_kernelINS0_14default_configENS1_35radix_sort_onesweep_config_selectorIsNS0_10empty_typeEEEZZNS1_29radix_sort_onesweep_iterationIS3_Lb0EN6thrust23THRUST_200600_302600_NS6detail15normal_iteratorINS9_10device_ptrIsEEEESE_PS5_SF_jNS0_19identity_decomposerENS1_16block_id_wrapperIjLb1EEEEE10hipError_tT1_PNSt15iterator_traitsISK_E10value_typeET2_T3_PNSL_ISQ_E10value_typeET4_T5_PSV_SW_PNS1_23onesweep_lookback_stateEbbT6_jjT7_P12ihipStream_tbENKUlT_T0_SK_SP_E_clISE_PsSF_SF_EEDaS13_S14_SK_SP_EUlS13_E_NS1_11comp_targetILNS1_3genE0ELNS1_11target_archE4294967295ELNS1_3gpuE0ELNS1_3repE0EEENS1_47radix_sort_onesweep_sort_config_static_selectorELNS0_4arch9wavefront6targetE1EEEvSK_
	.p2align	8
	.type	_ZN7rocprim17ROCPRIM_400000_NS6detail17trampoline_kernelINS0_14default_configENS1_35radix_sort_onesweep_config_selectorIsNS0_10empty_typeEEEZZNS1_29radix_sort_onesweep_iterationIS3_Lb0EN6thrust23THRUST_200600_302600_NS6detail15normal_iteratorINS9_10device_ptrIsEEEESE_PS5_SF_jNS0_19identity_decomposerENS1_16block_id_wrapperIjLb1EEEEE10hipError_tT1_PNSt15iterator_traitsISK_E10value_typeET2_T3_PNSL_ISQ_E10value_typeET4_T5_PSV_SW_PNS1_23onesweep_lookback_stateEbbT6_jjT7_P12ihipStream_tbENKUlT_T0_SK_SP_E_clISE_PsSF_SF_EEDaS13_S14_SK_SP_EUlS13_E_NS1_11comp_targetILNS1_3genE0ELNS1_11target_archE4294967295ELNS1_3gpuE0ELNS1_3repE0EEENS1_47radix_sort_onesweep_sort_config_static_selectorELNS0_4arch9wavefront6targetE1EEEvSK_,@function
_ZN7rocprim17ROCPRIM_400000_NS6detail17trampoline_kernelINS0_14default_configENS1_35radix_sort_onesweep_config_selectorIsNS0_10empty_typeEEEZZNS1_29radix_sort_onesweep_iterationIS3_Lb0EN6thrust23THRUST_200600_302600_NS6detail15normal_iteratorINS9_10device_ptrIsEEEESE_PS5_SF_jNS0_19identity_decomposerENS1_16block_id_wrapperIjLb1EEEEE10hipError_tT1_PNSt15iterator_traitsISK_E10value_typeET2_T3_PNSL_ISQ_E10value_typeET4_T5_PSV_SW_PNS1_23onesweep_lookback_stateEbbT6_jjT7_P12ihipStream_tbENKUlT_T0_SK_SP_E_clISE_PsSF_SF_EEDaS13_S14_SK_SP_EUlS13_E_NS1_11comp_targetILNS1_3genE0ELNS1_11target_archE4294967295ELNS1_3gpuE0ELNS1_3repE0EEENS1_47radix_sort_onesweep_sort_config_static_selectorELNS0_4arch9wavefront6targetE1EEEvSK_: ; @_ZN7rocprim17ROCPRIM_400000_NS6detail17trampoline_kernelINS0_14default_configENS1_35radix_sort_onesweep_config_selectorIsNS0_10empty_typeEEEZZNS1_29radix_sort_onesweep_iterationIS3_Lb0EN6thrust23THRUST_200600_302600_NS6detail15normal_iteratorINS9_10device_ptrIsEEEESE_PS5_SF_jNS0_19identity_decomposerENS1_16block_id_wrapperIjLb1EEEEE10hipError_tT1_PNSt15iterator_traitsISK_E10value_typeET2_T3_PNSL_ISQ_E10value_typeET4_T5_PSV_SW_PNS1_23onesweep_lookback_stateEbbT6_jjT7_P12ihipStream_tbENKUlT_T0_SK_SP_E_clISE_PsSF_SF_EEDaS13_S14_SK_SP_EUlS13_E_NS1_11comp_targetILNS1_3genE0ELNS1_11target_archE4294967295ELNS1_3gpuE0ELNS1_3repE0EEENS1_47radix_sort_onesweep_sort_config_static_selectorELNS0_4arch9wavefront6targetE1EEEvSK_
; %bb.0:
	.section	.rodata,"a",@progbits
	.p2align	6, 0x0
	.amdhsa_kernel _ZN7rocprim17ROCPRIM_400000_NS6detail17trampoline_kernelINS0_14default_configENS1_35radix_sort_onesweep_config_selectorIsNS0_10empty_typeEEEZZNS1_29radix_sort_onesweep_iterationIS3_Lb0EN6thrust23THRUST_200600_302600_NS6detail15normal_iteratorINS9_10device_ptrIsEEEESE_PS5_SF_jNS0_19identity_decomposerENS1_16block_id_wrapperIjLb1EEEEE10hipError_tT1_PNSt15iterator_traitsISK_E10value_typeET2_T3_PNSL_ISQ_E10value_typeET4_T5_PSV_SW_PNS1_23onesweep_lookback_stateEbbT6_jjT7_P12ihipStream_tbENKUlT_T0_SK_SP_E_clISE_PsSF_SF_EEDaS13_S14_SK_SP_EUlS13_E_NS1_11comp_targetILNS1_3genE0ELNS1_11target_archE4294967295ELNS1_3gpuE0ELNS1_3repE0EEENS1_47radix_sort_onesweep_sort_config_static_selectorELNS0_4arch9wavefront6targetE1EEEvSK_
		.amdhsa_group_segment_fixed_size 0
		.amdhsa_private_segment_fixed_size 0
		.amdhsa_kernarg_size 88
		.amdhsa_user_sgpr_count 2
		.amdhsa_user_sgpr_dispatch_ptr 0
		.amdhsa_user_sgpr_queue_ptr 0
		.amdhsa_user_sgpr_kernarg_segment_ptr 1
		.amdhsa_user_sgpr_dispatch_id 0
		.amdhsa_user_sgpr_kernarg_preload_length 0
		.amdhsa_user_sgpr_kernarg_preload_offset 0
		.amdhsa_user_sgpr_private_segment_size 0
		.amdhsa_uses_dynamic_stack 0
		.amdhsa_enable_private_segment 0
		.amdhsa_system_sgpr_workgroup_id_x 1
		.amdhsa_system_sgpr_workgroup_id_y 0
		.amdhsa_system_sgpr_workgroup_id_z 0
		.amdhsa_system_sgpr_workgroup_info 0
		.amdhsa_system_vgpr_workitem_id 0
		.amdhsa_next_free_vgpr 1
		.amdhsa_next_free_sgpr 0
		.amdhsa_accum_offset 4
		.amdhsa_reserve_vcc 0
		.amdhsa_float_round_mode_32 0
		.amdhsa_float_round_mode_16_64 0
		.amdhsa_float_denorm_mode_32 3
		.amdhsa_float_denorm_mode_16_64 3
		.amdhsa_dx10_clamp 1
		.amdhsa_ieee_mode 1
		.amdhsa_fp16_overflow 0
		.amdhsa_tg_split 0
		.amdhsa_exception_fp_ieee_invalid_op 0
		.amdhsa_exception_fp_denorm_src 0
		.amdhsa_exception_fp_ieee_div_zero 0
		.amdhsa_exception_fp_ieee_overflow 0
		.amdhsa_exception_fp_ieee_underflow 0
		.amdhsa_exception_fp_ieee_inexact 0
		.amdhsa_exception_int_div_zero 0
	.end_amdhsa_kernel
	.section	.text._ZN7rocprim17ROCPRIM_400000_NS6detail17trampoline_kernelINS0_14default_configENS1_35radix_sort_onesweep_config_selectorIsNS0_10empty_typeEEEZZNS1_29radix_sort_onesweep_iterationIS3_Lb0EN6thrust23THRUST_200600_302600_NS6detail15normal_iteratorINS9_10device_ptrIsEEEESE_PS5_SF_jNS0_19identity_decomposerENS1_16block_id_wrapperIjLb1EEEEE10hipError_tT1_PNSt15iterator_traitsISK_E10value_typeET2_T3_PNSL_ISQ_E10value_typeET4_T5_PSV_SW_PNS1_23onesweep_lookback_stateEbbT6_jjT7_P12ihipStream_tbENKUlT_T0_SK_SP_E_clISE_PsSF_SF_EEDaS13_S14_SK_SP_EUlS13_E_NS1_11comp_targetILNS1_3genE0ELNS1_11target_archE4294967295ELNS1_3gpuE0ELNS1_3repE0EEENS1_47radix_sort_onesweep_sort_config_static_selectorELNS0_4arch9wavefront6targetE1EEEvSK_,"axG",@progbits,_ZN7rocprim17ROCPRIM_400000_NS6detail17trampoline_kernelINS0_14default_configENS1_35radix_sort_onesweep_config_selectorIsNS0_10empty_typeEEEZZNS1_29radix_sort_onesweep_iterationIS3_Lb0EN6thrust23THRUST_200600_302600_NS6detail15normal_iteratorINS9_10device_ptrIsEEEESE_PS5_SF_jNS0_19identity_decomposerENS1_16block_id_wrapperIjLb1EEEEE10hipError_tT1_PNSt15iterator_traitsISK_E10value_typeET2_T3_PNSL_ISQ_E10value_typeET4_T5_PSV_SW_PNS1_23onesweep_lookback_stateEbbT6_jjT7_P12ihipStream_tbENKUlT_T0_SK_SP_E_clISE_PsSF_SF_EEDaS13_S14_SK_SP_EUlS13_E_NS1_11comp_targetILNS1_3genE0ELNS1_11target_archE4294967295ELNS1_3gpuE0ELNS1_3repE0EEENS1_47radix_sort_onesweep_sort_config_static_selectorELNS0_4arch9wavefront6targetE1EEEvSK_,comdat
.Lfunc_end1959:
	.size	_ZN7rocprim17ROCPRIM_400000_NS6detail17trampoline_kernelINS0_14default_configENS1_35radix_sort_onesweep_config_selectorIsNS0_10empty_typeEEEZZNS1_29radix_sort_onesweep_iterationIS3_Lb0EN6thrust23THRUST_200600_302600_NS6detail15normal_iteratorINS9_10device_ptrIsEEEESE_PS5_SF_jNS0_19identity_decomposerENS1_16block_id_wrapperIjLb1EEEEE10hipError_tT1_PNSt15iterator_traitsISK_E10value_typeET2_T3_PNSL_ISQ_E10value_typeET4_T5_PSV_SW_PNS1_23onesweep_lookback_stateEbbT6_jjT7_P12ihipStream_tbENKUlT_T0_SK_SP_E_clISE_PsSF_SF_EEDaS13_S14_SK_SP_EUlS13_E_NS1_11comp_targetILNS1_3genE0ELNS1_11target_archE4294967295ELNS1_3gpuE0ELNS1_3repE0EEENS1_47radix_sort_onesweep_sort_config_static_selectorELNS0_4arch9wavefront6targetE1EEEvSK_, .Lfunc_end1959-_ZN7rocprim17ROCPRIM_400000_NS6detail17trampoline_kernelINS0_14default_configENS1_35radix_sort_onesweep_config_selectorIsNS0_10empty_typeEEEZZNS1_29radix_sort_onesweep_iterationIS3_Lb0EN6thrust23THRUST_200600_302600_NS6detail15normal_iteratorINS9_10device_ptrIsEEEESE_PS5_SF_jNS0_19identity_decomposerENS1_16block_id_wrapperIjLb1EEEEE10hipError_tT1_PNSt15iterator_traitsISK_E10value_typeET2_T3_PNSL_ISQ_E10value_typeET4_T5_PSV_SW_PNS1_23onesweep_lookback_stateEbbT6_jjT7_P12ihipStream_tbENKUlT_T0_SK_SP_E_clISE_PsSF_SF_EEDaS13_S14_SK_SP_EUlS13_E_NS1_11comp_targetILNS1_3genE0ELNS1_11target_archE4294967295ELNS1_3gpuE0ELNS1_3repE0EEENS1_47radix_sort_onesweep_sort_config_static_selectorELNS0_4arch9wavefront6targetE1EEEvSK_
                                        ; -- End function
	.section	.AMDGPU.csdata,"",@progbits
; Kernel info:
; codeLenInByte = 0
; NumSgprs: 6
; NumVgprs: 0
; NumAgprs: 0
; TotalNumVgprs: 0
; ScratchSize: 0
; MemoryBound: 0
; FloatMode: 240
; IeeeMode: 1
; LDSByteSize: 0 bytes/workgroup (compile time only)
; SGPRBlocks: 0
; VGPRBlocks: 0
; NumSGPRsForWavesPerEU: 6
; NumVGPRsForWavesPerEU: 1
; AccumOffset: 4
; Occupancy: 8
; WaveLimiterHint : 0
; COMPUTE_PGM_RSRC2:SCRATCH_EN: 0
; COMPUTE_PGM_RSRC2:USER_SGPR: 2
; COMPUTE_PGM_RSRC2:TRAP_HANDLER: 0
; COMPUTE_PGM_RSRC2:TGID_X_EN: 1
; COMPUTE_PGM_RSRC2:TGID_Y_EN: 0
; COMPUTE_PGM_RSRC2:TGID_Z_EN: 0
; COMPUTE_PGM_RSRC2:TIDIG_COMP_CNT: 0
; COMPUTE_PGM_RSRC3_GFX90A:ACCUM_OFFSET: 0
; COMPUTE_PGM_RSRC3_GFX90A:TG_SPLIT: 0
	.section	.text._ZN7rocprim17ROCPRIM_400000_NS6detail17trampoline_kernelINS0_14default_configENS1_35radix_sort_onesweep_config_selectorIsNS0_10empty_typeEEEZZNS1_29radix_sort_onesweep_iterationIS3_Lb0EN6thrust23THRUST_200600_302600_NS6detail15normal_iteratorINS9_10device_ptrIsEEEESE_PS5_SF_jNS0_19identity_decomposerENS1_16block_id_wrapperIjLb1EEEEE10hipError_tT1_PNSt15iterator_traitsISK_E10value_typeET2_T3_PNSL_ISQ_E10value_typeET4_T5_PSV_SW_PNS1_23onesweep_lookback_stateEbbT6_jjT7_P12ihipStream_tbENKUlT_T0_SK_SP_E_clISE_PsSF_SF_EEDaS13_S14_SK_SP_EUlS13_E_NS1_11comp_targetILNS1_3genE6ELNS1_11target_archE950ELNS1_3gpuE13ELNS1_3repE0EEENS1_47radix_sort_onesweep_sort_config_static_selectorELNS0_4arch9wavefront6targetE1EEEvSK_,"axG",@progbits,_ZN7rocprim17ROCPRIM_400000_NS6detail17trampoline_kernelINS0_14default_configENS1_35radix_sort_onesweep_config_selectorIsNS0_10empty_typeEEEZZNS1_29radix_sort_onesweep_iterationIS3_Lb0EN6thrust23THRUST_200600_302600_NS6detail15normal_iteratorINS9_10device_ptrIsEEEESE_PS5_SF_jNS0_19identity_decomposerENS1_16block_id_wrapperIjLb1EEEEE10hipError_tT1_PNSt15iterator_traitsISK_E10value_typeET2_T3_PNSL_ISQ_E10value_typeET4_T5_PSV_SW_PNS1_23onesweep_lookback_stateEbbT6_jjT7_P12ihipStream_tbENKUlT_T0_SK_SP_E_clISE_PsSF_SF_EEDaS13_S14_SK_SP_EUlS13_E_NS1_11comp_targetILNS1_3genE6ELNS1_11target_archE950ELNS1_3gpuE13ELNS1_3repE0EEENS1_47radix_sort_onesweep_sort_config_static_selectorELNS0_4arch9wavefront6targetE1EEEvSK_,comdat
	.protected	_ZN7rocprim17ROCPRIM_400000_NS6detail17trampoline_kernelINS0_14default_configENS1_35radix_sort_onesweep_config_selectorIsNS0_10empty_typeEEEZZNS1_29radix_sort_onesweep_iterationIS3_Lb0EN6thrust23THRUST_200600_302600_NS6detail15normal_iteratorINS9_10device_ptrIsEEEESE_PS5_SF_jNS0_19identity_decomposerENS1_16block_id_wrapperIjLb1EEEEE10hipError_tT1_PNSt15iterator_traitsISK_E10value_typeET2_T3_PNSL_ISQ_E10value_typeET4_T5_PSV_SW_PNS1_23onesweep_lookback_stateEbbT6_jjT7_P12ihipStream_tbENKUlT_T0_SK_SP_E_clISE_PsSF_SF_EEDaS13_S14_SK_SP_EUlS13_E_NS1_11comp_targetILNS1_3genE6ELNS1_11target_archE950ELNS1_3gpuE13ELNS1_3repE0EEENS1_47radix_sort_onesweep_sort_config_static_selectorELNS0_4arch9wavefront6targetE1EEEvSK_ ; -- Begin function _ZN7rocprim17ROCPRIM_400000_NS6detail17trampoline_kernelINS0_14default_configENS1_35radix_sort_onesweep_config_selectorIsNS0_10empty_typeEEEZZNS1_29radix_sort_onesweep_iterationIS3_Lb0EN6thrust23THRUST_200600_302600_NS6detail15normal_iteratorINS9_10device_ptrIsEEEESE_PS5_SF_jNS0_19identity_decomposerENS1_16block_id_wrapperIjLb1EEEEE10hipError_tT1_PNSt15iterator_traitsISK_E10value_typeET2_T3_PNSL_ISQ_E10value_typeET4_T5_PSV_SW_PNS1_23onesweep_lookback_stateEbbT6_jjT7_P12ihipStream_tbENKUlT_T0_SK_SP_E_clISE_PsSF_SF_EEDaS13_S14_SK_SP_EUlS13_E_NS1_11comp_targetILNS1_3genE6ELNS1_11target_archE950ELNS1_3gpuE13ELNS1_3repE0EEENS1_47radix_sort_onesweep_sort_config_static_selectorELNS0_4arch9wavefront6targetE1EEEvSK_
	.globl	_ZN7rocprim17ROCPRIM_400000_NS6detail17trampoline_kernelINS0_14default_configENS1_35radix_sort_onesweep_config_selectorIsNS0_10empty_typeEEEZZNS1_29radix_sort_onesweep_iterationIS3_Lb0EN6thrust23THRUST_200600_302600_NS6detail15normal_iteratorINS9_10device_ptrIsEEEESE_PS5_SF_jNS0_19identity_decomposerENS1_16block_id_wrapperIjLb1EEEEE10hipError_tT1_PNSt15iterator_traitsISK_E10value_typeET2_T3_PNSL_ISQ_E10value_typeET4_T5_PSV_SW_PNS1_23onesweep_lookback_stateEbbT6_jjT7_P12ihipStream_tbENKUlT_T0_SK_SP_E_clISE_PsSF_SF_EEDaS13_S14_SK_SP_EUlS13_E_NS1_11comp_targetILNS1_3genE6ELNS1_11target_archE950ELNS1_3gpuE13ELNS1_3repE0EEENS1_47radix_sort_onesweep_sort_config_static_selectorELNS0_4arch9wavefront6targetE1EEEvSK_
	.p2align	8
	.type	_ZN7rocprim17ROCPRIM_400000_NS6detail17trampoline_kernelINS0_14default_configENS1_35radix_sort_onesweep_config_selectorIsNS0_10empty_typeEEEZZNS1_29radix_sort_onesweep_iterationIS3_Lb0EN6thrust23THRUST_200600_302600_NS6detail15normal_iteratorINS9_10device_ptrIsEEEESE_PS5_SF_jNS0_19identity_decomposerENS1_16block_id_wrapperIjLb1EEEEE10hipError_tT1_PNSt15iterator_traitsISK_E10value_typeET2_T3_PNSL_ISQ_E10value_typeET4_T5_PSV_SW_PNS1_23onesweep_lookback_stateEbbT6_jjT7_P12ihipStream_tbENKUlT_T0_SK_SP_E_clISE_PsSF_SF_EEDaS13_S14_SK_SP_EUlS13_E_NS1_11comp_targetILNS1_3genE6ELNS1_11target_archE950ELNS1_3gpuE13ELNS1_3repE0EEENS1_47radix_sort_onesweep_sort_config_static_selectorELNS0_4arch9wavefront6targetE1EEEvSK_,@function
_ZN7rocprim17ROCPRIM_400000_NS6detail17trampoline_kernelINS0_14default_configENS1_35radix_sort_onesweep_config_selectorIsNS0_10empty_typeEEEZZNS1_29radix_sort_onesweep_iterationIS3_Lb0EN6thrust23THRUST_200600_302600_NS6detail15normal_iteratorINS9_10device_ptrIsEEEESE_PS5_SF_jNS0_19identity_decomposerENS1_16block_id_wrapperIjLb1EEEEE10hipError_tT1_PNSt15iterator_traitsISK_E10value_typeET2_T3_PNSL_ISQ_E10value_typeET4_T5_PSV_SW_PNS1_23onesweep_lookback_stateEbbT6_jjT7_P12ihipStream_tbENKUlT_T0_SK_SP_E_clISE_PsSF_SF_EEDaS13_S14_SK_SP_EUlS13_E_NS1_11comp_targetILNS1_3genE6ELNS1_11target_archE950ELNS1_3gpuE13ELNS1_3repE0EEENS1_47radix_sort_onesweep_sort_config_static_selectorELNS0_4arch9wavefront6targetE1EEEvSK_: ; @_ZN7rocprim17ROCPRIM_400000_NS6detail17trampoline_kernelINS0_14default_configENS1_35radix_sort_onesweep_config_selectorIsNS0_10empty_typeEEEZZNS1_29radix_sort_onesweep_iterationIS3_Lb0EN6thrust23THRUST_200600_302600_NS6detail15normal_iteratorINS9_10device_ptrIsEEEESE_PS5_SF_jNS0_19identity_decomposerENS1_16block_id_wrapperIjLb1EEEEE10hipError_tT1_PNSt15iterator_traitsISK_E10value_typeET2_T3_PNSL_ISQ_E10value_typeET4_T5_PSV_SW_PNS1_23onesweep_lookback_stateEbbT6_jjT7_P12ihipStream_tbENKUlT_T0_SK_SP_E_clISE_PsSF_SF_EEDaS13_S14_SK_SP_EUlS13_E_NS1_11comp_targetILNS1_3genE6ELNS1_11target_archE950ELNS1_3gpuE13ELNS1_3repE0EEENS1_47radix_sort_onesweep_sort_config_static_selectorELNS0_4arch9wavefront6targetE1EEEvSK_
; %bb.0:
	.section	.rodata,"a",@progbits
	.p2align	6, 0x0
	.amdhsa_kernel _ZN7rocprim17ROCPRIM_400000_NS6detail17trampoline_kernelINS0_14default_configENS1_35radix_sort_onesweep_config_selectorIsNS0_10empty_typeEEEZZNS1_29radix_sort_onesweep_iterationIS3_Lb0EN6thrust23THRUST_200600_302600_NS6detail15normal_iteratorINS9_10device_ptrIsEEEESE_PS5_SF_jNS0_19identity_decomposerENS1_16block_id_wrapperIjLb1EEEEE10hipError_tT1_PNSt15iterator_traitsISK_E10value_typeET2_T3_PNSL_ISQ_E10value_typeET4_T5_PSV_SW_PNS1_23onesweep_lookback_stateEbbT6_jjT7_P12ihipStream_tbENKUlT_T0_SK_SP_E_clISE_PsSF_SF_EEDaS13_S14_SK_SP_EUlS13_E_NS1_11comp_targetILNS1_3genE6ELNS1_11target_archE950ELNS1_3gpuE13ELNS1_3repE0EEENS1_47radix_sort_onesweep_sort_config_static_selectorELNS0_4arch9wavefront6targetE1EEEvSK_
		.amdhsa_group_segment_fixed_size 0
		.amdhsa_private_segment_fixed_size 0
		.amdhsa_kernarg_size 88
		.amdhsa_user_sgpr_count 2
		.amdhsa_user_sgpr_dispatch_ptr 0
		.amdhsa_user_sgpr_queue_ptr 0
		.amdhsa_user_sgpr_kernarg_segment_ptr 1
		.amdhsa_user_sgpr_dispatch_id 0
		.amdhsa_user_sgpr_kernarg_preload_length 0
		.amdhsa_user_sgpr_kernarg_preload_offset 0
		.amdhsa_user_sgpr_private_segment_size 0
		.amdhsa_uses_dynamic_stack 0
		.amdhsa_enable_private_segment 0
		.amdhsa_system_sgpr_workgroup_id_x 1
		.amdhsa_system_sgpr_workgroup_id_y 0
		.amdhsa_system_sgpr_workgroup_id_z 0
		.amdhsa_system_sgpr_workgroup_info 0
		.amdhsa_system_vgpr_workitem_id 0
		.amdhsa_next_free_vgpr 1
		.amdhsa_next_free_sgpr 0
		.amdhsa_accum_offset 4
		.amdhsa_reserve_vcc 0
		.amdhsa_float_round_mode_32 0
		.amdhsa_float_round_mode_16_64 0
		.amdhsa_float_denorm_mode_32 3
		.amdhsa_float_denorm_mode_16_64 3
		.amdhsa_dx10_clamp 1
		.amdhsa_ieee_mode 1
		.amdhsa_fp16_overflow 0
		.amdhsa_tg_split 0
		.amdhsa_exception_fp_ieee_invalid_op 0
		.amdhsa_exception_fp_denorm_src 0
		.amdhsa_exception_fp_ieee_div_zero 0
		.amdhsa_exception_fp_ieee_overflow 0
		.amdhsa_exception_fp_ieee_underflow 0
		.amdhsa_exception_fp_ieee_inexact 0
		.amdhsa_exception_int_div_zero 0
	.end_amdhsa_kernel
	.section	.text._ZN7rocprim17ROCPRIM_400000_NS6detail17trampoline_kernelINS0_14default_configENS1_35radix_sort_onesweep_config_selectorIsNS0_10empty_typeEEEZZNS1_29radix_sort_onesweep_iterationIS3_Lb0EN6thrust23THRUST_200600_302600_NS6detail15normal_iteratorINS9_10device_ptrIsEEEESE_PS5_SF_jNS0_19identity_decomposerENS1_16block_id_wrapperIjLb1EEEEE10hipError_tT1_PNSt15iterator_traitsISK_E10value_typeET2_T3_PNSL_ISQ_E10value_typeET4_T5_PSV_SW_PNS1_23onesweep_lookback_stateEbbT6_jjT7_P12ihipStream_tbENKUlT_T0_SK_SP_E_clISE_PsSF_SF_EEDaS13_S14_SK_SP_EUlS13_E_NS1_11comp_targetILNS1_3genE6ELNS1_11target_archE950ELNS1_3gpuE13ELNS1_3repE0EEENS1_47radix_sort_onesweep_sort_config_static_selectorELNS0_4arch9wavefront6targetE1EEEvSK_,"axG",@progbits,_ZN7rocprim17ROCPRIM_400000_NS6detail17trampoline_kernelINS0_14default_configENS1_35radix_sort_onesweep_config_selectorIsNS0_10empty_typeEEEZZNS1_29radix_sort_onesweep_iterationIS3_Lb0EN6thrust23THRUST_200600_302600_NS6detail15normal_iteratorINS9_10device_ptrIsEEEESE_PS5_SF_jNS0_19identity_decomposerENS1_16block_id_wrapperIjLb1EEEEE10hipError_tT1_PNSt15iterator_traitsISK_E10value_typeET2_T3_PNSL_ISQ_E10value_typeET4_T5_PSV_SW_PNS1_23onesweep_lookback_stateEbbT6_jjT7_P12ihipStream_tbENKUlT_T0_SK_SP_E_clISE_PsSF_SF_EEDaS13_S14_SK_SP_EUlS13_E_NS1_11comp_targetILNS1_3genE6ELNS1_11target_archE950ELNS1_3gpuE13ELNS1_3repE0EEENS1_47radix_sort_onesweep_sort_config_static_selectorELNS0_4arch9wavefront6targetE1EEEvSK_,comdat
.Lfunc_end1960:
	.size	_ZN7rocprim17ROCPRIM_400000_NS6detail17trampoline_kernelINS0_14default_configENS1_35radix_sort_onesweep_config_selectorIsNS0_10empty_typeEEEZZNS1_29radix_sort_onesweep_iterationIS3_Lb0EN6thrust23THRUST_200600_302600_NS6detail15normal_iteratorINS9_10device_ptrIsEEEESE_PS5_SF_jNS0_19identity_decomposerENS1_16block_id_wrapperIjLb1EEEEE10hipError_tT1_PNSt15iterator_traitsISK_E10value_typeET2_T3_PNSL_ISQ_E10value_typeET4_T5_PSV_SW_PNS1_23onesweep_lookback_stateEbbT6_jjT7_P12ihipStream_tbENKUlT_T0_SK_SP_E_clISE_PsSF_SF_EEDaS13_S14_SK_SP_EUlS13_E_NS1_11comp_targetILNS1_3genE6ELNS1_11target_archE950ELNS1_3gpuE13ELNS1_3repE0EEENS1_47radix_sort_onesweep_sort_config_static_selectorELNS0_4arch9wavefront6targetE1EEEvSK_, .Lfunc_end1960-_ZN7rocprim17ROCPRIM_400000_NS6detail17trampoline_kernelINS0_14default_configENS1_35radix_sort_onesweep_config_selectorIsNS0_10empty_typeEEEZZNS1_29radix_sort_onesweep_iterationIS3_Lb0EN6thrust23THRUST_200600_302600_NS6detail15normal_iteratorINS9_10device_ptrIsEEEESE_PS5_SF_jNS0_19identity_decomposerENS1_16block_id_wrapperIjLb1EEEEE10hipError_tT1_PNSt15iterator_traitsISK_E10value_typeET2_T3_PNSL_ISQ_E10value_typeET4_T5_PSV_SW_PNS1_23onesweep_lookback_stateEbbT6_jjT7_P12ihipStream_tbENKUlT_T0_SK_SP_E_clISE_PsSF_SF_EEDaS13_S14_SK_SP_EUlS13_E_NS1_11comp_targetILNS1_3genE6ELNS1_11target_archE950ELNS1_3gpuE13ELNS1_3repE0EEENS1_47radix_sort_onesweep_sort_config_static_selectorELNS0_4arch9wavefront6targetE1EEEvSK_
                                        ; -- End function
	.section	.AMDGPU.csdata,"",@progbits
; Kernel info:
; codeLenInByte = 0
; NumSgprs: 6
; NumVgprs: 0
; NumAgprs: 0
; TotalNumVgprs: 0
; ScratchSize: 0
; MemoryBound: 0
; FloatMode: 240
; IeeeMode: 1
; LDSByteSize: 0 bytes/workgroup (compile time only)
; SGPRBlocks: 0
; VGPRBlocks: 0
; NumSGPRsForWavesPerEU: 6
; NumVGPRsForWavesPerEU: 1
; AccumOffset: 4
; Occupancy: 8
; WaveLimiterHint : 0
; COMPUTE_PGM_RSRC2:SCRATCH_EN: 0
; COMPUTE_PGM_RSRC2:USER_SGPR: 2
; COMPUTE_PGM_RSRC2:TRAP_HANDLER: 0
; COMPUTE_PGM_RSRC2:TGID_X_EN: 1
; COMPUTE_PGM_RSRC2:TGID_Y_EN: 0
; COMPUTE_PGM_RSRC2:TGID_Z_EN: 0
; COMPUTE_PGM_RSRC2:TIDIG_COMP_CNT: 0
; COMPUTE_PGM_RSRC3_GFX90A:ACCUM_OFFSET: 0
; COMPUTE_PGM_RSRC3_GFX90A:TG_SPLIT: 0
	.section	.text._ZN7rocprim17ROCPRIM_400000_NS6detail17trampoline_kernelINS0_14default_configENS1_35radix_sort_onesweep_config_selectorIsNS0_10empty_typeEEEZZNS1_29radix_sort_onesweep_iterationIS3_Lb0EN6thrust23THRUST_200600_302600_NS6detail15normal_iteratorINS9_10device_ptrIsEEEESE_PS5_SF_jNS0_19identity_decomposerENS1_16block_id_wrapperIjLb1EEEEE10hipError_tT1_PNSt15iterator_traitsISK_E10value_typeET2_T3_PNSL_ISQ_E10value_typeET4_T5_PSV_SW_PNS1_23onesweep_lookback_stateEbbT6_jjT7_P12ihipStream_tbENKUlT_T0_SK_SP_E_clISE_PsSF_SF_EEDaS13_S14_SK_SP_EUlS13_E_NS1_11comp_targetILNS1_3genE5ELNS1_11target_archE942ELNS1_3gpuE9ELNS1_3repE0EEENS1_47radix_sort_onesweep_sort_config_static_selectorELNS0_4arch9wavefront6targetE1EEEvSK_,"axG",@progbits,_ZN7rocprim17ROCPRIM_400000_NS6detail17trampoline_kernelINS0_14default_configENS1_35radix_sort_onesweep_config_selectorIsNS0_10empty_typeEEEZZNS1_29radix_sort_onesweep_iterationIS3_Lb0EN6thrust23THRUST_200600_302600_NS6detail15normal_iteratorINS9_10device_ptrIsEEEESE_PS5_SF_jNS0_19identity_decomposerENS1_16block_id_wrapperIjLb1EEEEE10hipError_tT1_PNSt15iterator_traitsISK_E10value_typeET2_T3_PNSL_ISQ_E10value_typeET4_T5_PSV_SW_PNS1_23onesweep_lookback_stateEbbT6_jjT7_P12ihipStream_tbENKUlT_T0_SK_SP_E_clISE_PsSF_SF_EEDaS13_S14_SK_SP_EUlS13_E_NS1_11comp_targetILNS1_3genE5ELNS1_11target_archE942ELNS1_3gpuE9ELNS1_3repE0EEENS1_47radix_sort_onesweep_sort_config_static_selectorELNS0_4arch9wavefront6targetE1EEEvSK_,comdat
	.protected	_ZN7rocprim17ROCPRIM_400000_NS6detail17trampoline_kernelINS0_14default_configENS1_35radix_sort_onesweep_config_selectorIsNS0_10empty_typeEEEZZNS1_29radix_sort_onesweep_iterationIS3_Lb0EN6thrust23THRUST_200600_302600_NS6detail15normal_iteratorINS9_10device_ptrIsEEEESE_PS5_SF_jNS0_19identity_decomposerENS1_16block_id_wrapperIjLb1EEEEE10hipError_tT1_PNSt15iterator_traitsISK_E10value_typeET2_T3_PNSL_ISQ_E10value_typeET4_T5_PSV_SW_PNS1_23onesweep_lookback_stateEbbT6_jjT7_P12ihipStream_tbENKUlT_T0_SK_SP_E_clISE_PsSF_SF_EEDaS13_S14_SK_SP_EUlS13_E_NS1_11comp_targetILNS1_3genE5ELNS1_11target_archE942ELNS1_3gpuE9ELNS1_3repE0EEENS1_47radix_sort_onesweep_sort_config_static_selectorELNS0_4arch9wavefront6targetE1EEEvSK_ ; -- Begin function _ZN7rocprim17ROCPRIM_400000_NS6detail17trampoline_kernelINS0_14default_configENS1_35radix_sort_onesweep_config_selectorIsNS0_10empty_typeEEEZZNS1_29radix_sort_onesweep_iterationIS3_Lb0EN6thrust23THRUST_200600_302600_NS6detail15normal_iteratorINS9_10device_ptrIsEEEESE_PS5_SF_jNS0_19identity_decomposerENS1_16block_id_wrapperIjLb1EEEEE10hipError_tT1_PNSt15iterator_traitsISK_E10value_typeET2_T3_PNSL_ISQ_E10value_typeET4_T5_PSV_SW_PNS1_23onesweep_lookback_stateEbbT6_jjT7_P12ihipStream_tbENKUlT_T0_SK_SP_E_clISE_PsSF_SF_EEDaS13_S14_SK_SP_EUlS13_E_NS1_11comp_targetILNS1_3genE5ELNS1_11target_archE942ELNS1_3gpuE9ELNS1_3repE0EEENS1_47radix_sort_onesweep_sort_config_static_selectorELNS0_4arch9wavefront6targetE1EEEvSK_
	.globl	_ZN7rocprim17ROCPRIM_400000_NS6detail17trampoline_kernelINS0_14default_configENS1_35radix_sort_onesweep_config_selectorIsNS0_10empty_typeEEEZZNS1_29radix_sort_onesweep_iterationIS3_Lb0EN6thrust23THRUST_200600_302600_NS6detail15normal_iteratorINS9_10device_ptrIsEEEESE_PS5_SF_jNS0_19identity_decomposerENS1_16block_id_wrapperIjLb1EEEEE10hipError_tT1_PNSt15iterator_traitsISK_E10value_typeET2_T3_PNSL_ISQ_E10value_typeET4_T5_PSV_SW_PNS1_23onesweep_lookback_stateEbbT6_jjT7_P12ihipStream_tbENKUlT_T0_SK_SP_E_clISE_PsSF_SF_EEDaS13_S14_SK_SP_EUlS13_E_NS1_11comp_targetILNS1_3genE5ELNS1_11target_archE942ELNS1_3gpuE9ELNS1_3repE0EEENS1_47radix_sort_onesweep_sort_config_static_selectorELNS0_4arch9wavefront6targetE1EEEvSK_
	.p2align	8
	.type	_ZN7rocprim17ROCPRIM_400000_NS6detail17trampoline_kernelINS0_14default_configENS1_35radix_sort_onesweep_config_selectorIsNS0_10empty_typeEEEZZNS1_29radix_sort_onesweep_iterationIS3_Lb0EN6thrust23THRUST_200600_302600_NS6detail15normal_iteratorINS9_10device_ptrIsEEEESE_PS5_SF_jNS0_19identity_decomposerENS1_16block_id_wrapperIjLb1EEEEE10hipError_tT1_PNSt15iterator_traitsISK_E10value_typeET2_T3_PNSL_ISQ_E10value_typeET4_T5_PSV_SW_PNS1_23onesweep_lookback_stateEbbT6_jjT7_P12ihipStream_tbENKUlT_T0_SK_SP_E_clISE_PsSF_SF_EEDaS13_S14_SK_SP_EUlS13_E_NS1_11comp_targetILNS1_3genE5ELNS1_11target_archE942ELNS1_3gpuE9ELNS1_3repE0EEENS1_47radix_sort_onesweep_sort_config_static_selectorELNS0_4arch9wavefront6targetE1EEEvSK_,@function
_ZN7rocprim17ROCPRIM_400000_NS6detail17trampoline_kernelINS0_14default_configENS1_35radix_sort_onesweep_config_selectorIsNS0_10empty_typeEEEZZNS1_29radix_sort_onesweep_iterationIS3_Lb0EN6thrust23THRUST_200600_302600_NS6detail15normal_iteratorINS9_10device_ptrIsEEEESE_PS5_SF_jNS0_19identity_decomposerENS1_16block_id_wrapperIjLb1EEEEE10hipError_tT1_PNSt15iterator_traitsISK_E10value_typeET2_T3_PNSL_ISQ_E10value_typeET4_T5_PSV_SW_PNS1_23onesweep_lookback_stateEbbT6_jjT7_P12ihipStream_tbENKUlT_T0_SK_SP_E_clISE_PsSF_SF_EEDaS13_S14_SK_SP_EUlS13_E_NS1_11comp_targetILNS1_3genE5ELNS1_11target_archE942ELNS1_3gpuE9ELNS1_3repE0EEENS1_47radix_sort_onesweep_sort_config_static_selectorELNS0_4arch9wavefront6targetE1EEEvSK_: ; @_ZN7rocprim17ROCPRIM_400000_NS6detail17trampoline_kernelINS0_14default_configENS1_35radix_sort_onesweep_config_selectorIsNS0_10empty_typeEEEZZNS1_29radix_sort_onesweep_iterationIS3_Lb0EN6thrust23THRUST_200600_302600_NS6detail15normal_iteratorINS9_10device_ptrIsEEEESE_PS5_SF_jNS0_19identity_decomposerENS1_16block_id_wrapperIjLb1EEEEE10hipError_tT1_PNSt15iterator_traitsISK_E10value_typeET2_T3_PNSL_ISQ_E10value_typeET4_T5_PSV_SW_PNS1_23onesweep_lookback_stateEbbT6_jjT7_P12ihipStream_tbENKUlT_T0_SK_SP_E_clISE_PsSF_SF_EEDaS13_S14_SK_SP_EUlS13_E_NS1_11comp_targetILNS1_3genE5ELNS1_11target_archE942ELNS1_3gpuE9ELNS1_3repE0EEENS1_47radix_sort_onesweep_sort_config_static_selectorELNS0_4arch9wavefront6targetE1EEEvSK_
; %bb.0:
	s_load_dwordx4 s[20:23], s[0:1], 0x28
	s_load_dwordx2 s[18:19], s[0:1], 0x38
	s_load_dwordx4 s[24:27], s[0:1], 0x44
	v_and_b32_e32 v10, 0x3ff, v0
	v_cmp_eq_u32_e64 s[10:11], 0, v10
	s_and_saveexec_b64 s[4:5], s[10:11]
	s_cbranch_execz .LBB1961_4
; %bb.1:
	s_mov_b64 s[8:9], exec
	v_mbcnt_lo_u32_b32 v1, s8, 0
	v_mbcnt_hi_u32_b32 v1, s9, v1
	v_cmp_eq_u32_e32 vcc, 0, v1
                                        ; implicit-def: $vgpr2
	s_and_saveexec_b64 s[6:7], vcc
	s_cbranch_execz .LBB1961_3
; %bb.2:
	s_load_dwordx2 s[12:13], s[0:1], 0x50
	s_bcnt1_i32_b64 s3, s[8:9]
	v_mov_b32_e32 v2, 0
	v_mov_b32_e32 v3, s3
	s_waitcnt lgkmcnt(0)
	global_atomic_add v2, v2, v3, s[12:13] sc0
.LBB1961_3:
	s_or_b64 exec, exec, s[6:7]
	s_waitcnt vmcnt(0)
	v_readfirstlane_b32 s3, v2
	v_mov_b32_e32 v2, 0
	s_nop 0
	v_add_u32_e32 v1, s3, v1
	ds_write_b32 v2, v1 offset:25600
.LBB1961_4:
	s_or_b64 exec, exec, s[4:5]
	v_mov_b32_e32 v3, 0
	s_load_dwordx4 s[28:31], s[0:1], 0x0
	s_load_dword s3, s[0:1], 0x20
	s_waitcnt lgkmcnt(0)
	s_barrier
	ds_read_b32 v1, v3 offset:25600
	s_waitcnt lgkmcnt(0)
	s_barrier
	v_readfirstlane_b32 s27, v1
	v_cmp_le_u32_e32 vcc, s26, v1
	s_mul_i32 s34, s27, 0x3000
	v_mbcnt_lo_u32_b32 v1, -1, 0
	s_cbranch_vccz .LBB1961_100
; %bb.5:
	s_mul_i32 s4, s26, 0xffffd000
	s_mov_b32 s35, 0
	s_add_i32 s3, s4, s3
	s_lshl_b64 s[4:5], s[34:35], 1
	v_mbcnt_hi_u32_b32 v11, -1, v1
	s_add_u32 s4, s28, s4
	v_and_b32_e32 v6, 63, v11
	v_and_b32_e32 v2, 0x3c0, v10
	s_addc_u32 s5, s29, s5
	v_mul_u32_u24_e32 v7, 12, v2
	v_lshlrev_b32_e32 v2, 1, v6
	v_lshl_add_u64 v[4:5], s[4:5], 0, v[2:3]
	s_mov_b32 s4, 0x7fff7fff
	v_lshlrev_b32_e32 v2, 1, v7
	s_mov_b32 s5, s4
	v_lshl_add_u64 v[12:13], v[4:5], 0, v[2:3]
	v_or_b32_e32 v14, v6, v7
	s_mov_b32 s6, s4
	s_mov_b32 s7, s4
	;; [unrolled: 1-line block ×4, first 2 shown]
	v_mov_b64_e32 v[2:3], s[4:5]
	v_cmp_gt_u32_e32 vcc, s3, v14
	v_mov_b64_e32 v[4:5], s[6:7]
	v_mov_b64_e32 v[6:7], s[8:9]
	;; [unrolled: 1-line block ×3, first 2 shown]
	s_and_saveexec_b64 s[4:5], vcc
	s_cbranch_execz .LBB1961_7
; %bb.6:
	global_load_ushort v2, v[12:13], off
	s_movk_i32 s6, 0x7fff
	v_mov_b32_e32 v7, 0x5040100
	v_mov_b32_e32 v3, 0x7fff7fff
	;; [unrolled: 1-line block ×5, first 2 shown]
	s_waitcnt vmcnt(0)
	v_perm_b32 v2, s6, v2, v7
	v_mov_b32_e32 v7, v3
.LBB1961_7:
	s_or_b64 exec, exec, s[4:5]
	v_or_b32_e32 v8, 64, v14
	v_cmp_gt_u32_e32 vcc, s3, v8
	s_and_saveexec_b64 s[4:5], vcc
	s_cbranch_execz .LBB1961_9
; %bb.8:
	global_load_ushort v8, v[12:13], off offset:128
	s_mov_b32 s6, 0x5040100
	s_waitcnt vmcnt(0)
	v_perm_b32 v2, v8, v2, s6
.LBB1961_9:
	s_or_b64 exec, exec, s[4:5]
	v_or_b32_e32 v8, 0x80, v14
	v_cmp_gt_u32_e32 vcc, s3, v8
	s_and_saveexec_b64 s[4:5], vcc
	s_cbranch_execz .LBB1961_11
; %bb.10:
	global_load_ushort v8, v[12:13], off offset:256
	s_mov_b32 s6, 0xffff
	s_waitcnt vmcnt(0)
	v_bfi_b32 v3, s6, v8, v3
.LBB1961_11:
	s_or_b64 exec, exec, s[4:5]
	v_or_b32_e32 v8, 0xc0, v14
	v_cmp_gt_u32_e32 vcc, s3, v8
	s_and_saveexec_b64 s[4:5], vcc
	s_cbranch_execz .LBB1961_13
; %bb.12:
	global_load_ushort v8, v[12:13], off offset:384
	s_mov_b32 s6, 0x5040100
	s_waitcnt vmcnt(0)
	v_perm_b32 v3, v8, v3, s6
.LBB1961_13:
	s_or_b64 exec, exec, s[4:5]
	v_add_u32_e32 v8, 0x100, v14
	v_cmp_gt_u32_e32 vcc, s3, v8
	s_and_saveexec_b64 s[4:5], vcc
	s_cbranch_execz .LBB1961_15
; %bb.14:
	global_load_ushort v8, v[12:13], off offset:512
	s_mov_b32 s6, 0xffff
	s_waitcnt vmcnt(0)
	v_bfi_b32 v4, s6, v8, v4
.LBB1961_15:
	s_or_b64 exec, exec, s[4:5]
	v_add_u32_e32 v8, 0x140, v14
	v_cmp_gt_u32_e32 vcc, s3, v8
	s_and_saveexec_b64 s[4:5], vcc
	s_cbranch_execz .LBB1961_17
; %bb.16:
	global_load_ushort v8, v[12:13], off offset:640
	s_mov_b32 s6, 0x5040100
	s_waitcnt vmcnt(0)
	v_perm_b32 v4, v8, v4, s6
.LBB1961_17:
	s_or_b64 exec, exec, s[4:5]
	v_add_u32_e32 v8, 0x180, v14
	v_cmp_gt_u32_e32 vcc, s3, v8
	s_and_saveexec_b64 s[4:5], vcc
	s_cbranch_execz .LBB1961_19
; %bb.18:
	global_load_ushort v8, v[12:13], off offset:768
	s_mov_b32 s6, 0xffff
	s_waitcnt vmcnt(0)
	v_bfi_b32 v5, s6, v8, v5
.LBB1961_19:
	s_or_b64 exec, exec, s[4:5]
	v_add_u32_e32 v8, 0x1c0, v14
	;; [unrolled: 22-line block ×4, first 2 shown]
	v_cmp_gt_u32_e32 vcc, s3, v8
	s_and_saveexec_b64 s[4:5], vcc
	s_cbranch_execz .LBB1961_29
; %bb.28:
	global_load_ushort v8, v[12:13], off offset:1408
	s_mov_b32 s6, 0x5040100
	s_waitcnt vmcnt(0)
	v_perm_b32 v7, v8, v7, s6
.LBB1961_29:
	s_or_b64 exec, exec, s[4:5]
	s_load_dword s4, s[0:1], 0x64
	s_load_dword s26, s[0:1], 0x58
	s_add_u32 s5, s0, 0x58
	s_addc_u32 s6, s1, 0
	v_mov_b32_e32 v9, 0
	s_waitcnt lgkmcnt(0)
	s_lshr_b32 s7, s4, 16
	s_cmp_lt_u32 s2, s26
	s_cselect_b32 s4, 12, 18
	s_add_u32 s4, s5, s4
	s_addc_u32 s5, s6, 0
	global_load_ushort v28, v9, s[4:5]
	v_xor_b32_e32 v14, 0xffff8000, v2
	s_lshl_b32 s4, -1, s25
	v_lshrrev_b32_sdwa v17, s24, v14 dst_sel:DWORD dst_unused:UNUSED_PAD src0_sel:DWORD src1_sel:WORD_0
	s_not_b32 s33, s4
	v_bfe_u32 v8, v0, 10, 10
	v_bfe_u32 v13, v0, 20, 10
	v_and_b32_e32 v30, s33, v17
	v_mul_u32_u24_e32 v12, 5, v10
	v_mad_u32_u24 v29, v13, s7, v8
	v_and_b32_e32 v8, 1, v30
	v_lshlrev_b32_e32 v13, 30, v30
	v_lshlrev_b32_e32 v15, 2, v12
	v_mov_b32_e32 v12, v9
	v_mov_b32_e32 v18, v9
	v_lshlrev_b32_e32 v17, 29, v30
	v_lshlrev_b32_e32 v19, 28, v30
	v_lshl_add_u64 v[26:27], v[8:9], 0, -1
	v_cmp_ne_u32_e32 vcc, 0, v8
	v_not_b32_e32 v8, v13
	v_mov_b32_e32 v16, v9
	v_mov_b32_e32 v20, v9
	v_lshlrev_b32_e32 v21, 27, v30
	v_cmp_gt_i64_e64 s[4:5], 0, v[12:13]
	v_not_b32_e32 v12, v17
	v_cmp_gt_i64_e64 s[8:9], 0, v[18:19]
	v_not_b32_e32 v13, v19
	v_xor_b32_e32 v19, vcc_hi, v27
	v_ashrrev_i32_e32 v8, 31, v8
	v_mov_b32_e32 v22, v9
	v_lshlrev_b32_e32 v23, 26, v30
	v_cmp_gt_i64_e64 s[6:7], 0, v[16:17]
	v_cmp_gt_i64_e64 s[12:13], 0, v[20:21]
	v_not_b32_e32 v16, v21
	v_xor_b32_e32 v20, vcc_lo, v26
	v_ashrrev_i32_e32 v12, 31, v12
	v_and_b32_e32 v19, exec_hi, v19
	v_xor_b32_e32 v21, s5, v8
	v_cmp_gt_i64_e64 s[14:15], 0, v[22:23]
	v_ashrrev_i32_e32 v13, 31, v13
	v_and_b32_e32 v20, exec_lo, v20
	v_xor_b32_e32 v8, s4, v8
	v_xor_b32_e32 v22, s7, v12
	v_and_b32_e32 v19, v19, v21
	v_mov_b32_e32 v24, v9
	v_lshlrev_b32_e32 v25, 25, v30
	v_not_b32_e32 v17, v23
	v_ashrrev_i32_e32 v16, 31, v16
	v_xor_b32_e32 v12, s6, v12
	v_xor_b32_e32 v23, s9, v13
	v_and_b32_e32 v8, v20, v8
	v_and_b32_e32 v19, v19, v22
	v_cmp_gt_i64_e64 s[16:17], 0, v[24:25]
	v_not_b32_e32 v18, v25
	v_ashrrev_i32_e32 v17, 31, v17
	v_xor_b32_e32 v24, s13, v16
	v_and_b32_e32 v8, v8, v12
	v_and_b32_e32 v12, v19, v23
	v_ashrrev_i32_e32 v18, 31, v18
	v_xor_b32_e32 v13, s8, v13
	v_xor_b32_e32 v25, s15, v17
	v_and_b32_e32 v12, v12, v24
	v_xor_b32_e32 v16, s12, v16
	v_xor_b32_e32 v26, s17, v18
	v_and_b32_e32 v8, v8, v13
	v_and_b32_e32 v12, v12, v25
	;; [unrolled: 1-line block ×4, first 2 shown]
	v_xor_b32_e32 v17, s14, v17
	v_xor_b32_e32 v18, s16, v18
	v_and_b32_e32 v8, v8, v17
	v_and_b32_e32 v8, v8, v18
	v_mul_u32_u24_e32 v31, 17, v30
	s_movk_i32 s35, 0x8000
	ds_write2_b32 v15, v9, v9 offset0:16 offset1:17
	ds_write2_b32 v15, v9, v9 offset0:18 offset1:19
	ds_write_b32 v15, v9 offset:80
	s_waitcnt lgkmcnt(0)
	s_barrier
	s_waitcnt lgkmcnt(0)
	; wave barrier
	s_waitcnt vmcnt(0)
	v_mad_u64_u32 v[12:13], s[4:5], v29, v28, v[10:11]
	v_lshrrev_b32_e32 v26, 6, v12
	v_lshlrev_b32_e32 v13, 24, v30
	v_mov_b32_e32 v12, v9
	v_cmp_gt_i64_e32 vcc, 0, v[12:13]
	v_not_b32_e32 v12, v13
	v_ashrrev_i32_e32 v12, 31, v12
	v_xor_b32_e32 v13, vcc_hi, v12
	v_xor_b32_e32 v12, vcc_lo, v12
	v_and_b32_e32 v12, v8, v12
	v_and_b32_e32 v13, v16, v13
	v_mbcnt_lo_u32_b32 v8, v12, 0
	v_mbcnt_hi_u32_b32 v16, v13, v8
	v_cmp_eq_u32_e32 vcc, 0, v16
	v_cmp_ne_u64_e64 s[4:5], 0, v[12:13]
	v_add_lshl_u32 v19, v26, v31, 2
	s_and_b64 s[6:7], s[4:5], vcc
	s_and_saveexec_b64 s[4:5], s[6:7]
	s_cbranch_execz .LBB1961_31
; %bb.30:
	v_bcnt_u32_b32 v8, v12, 0
	v_bcnt_u32_b32 v8, v13, v8
	ds_write_b32 v19, v8 offset:64
.LBB1961_31:
	s_or_b64 exec, exec, s[4:5]
	v_xor_b32_sdwa v17, v2, s35 dst_sel:DWORD dst_unused:UNUSED_PAD src0_sel:WORD_1 src1_sel:DWORD
	v_lshrrev_b32_sdwa v2, s24, v17 dst_sel:DWORD dst_unused:UNUSED_PAD src0_sel:DWORD src1_sel:WORD_0
	v_and_b32_e32 v2, s33, v2
	v_mul_u32_u24_e32 v8, 17, v2
	v_add_lshl_u32 v20, v26, v8, 2
	v_and_b32_e32 v8, 1, v2
	v_lshl_add_u64 v[12:13], v[8:9], 0, -1
	v_cmp_ne_u32_e32 vcc, 0, v8
	; wave barrier
	s_nop 1
	v_xor_b32_e32 v12, vcc_lo, v12
	v_xor_b32_e32 v8, vcc_hi, v13
	v_and_b32_e32 v21, exec_lo, v12
	v_lshlrev_b32_e32 v13, 30, v2
	v_mov_b32_e32 v12, v9
	v_cmp_gt_i64_e32 vcc, 0, v[12:13]
	v_not_b32_e32 v12, v13
	v_ashrrev_i32_e32 v12, 31, v12
	v_and_b32_e32 v8, exec_hi, v8
	v_xor_b32_e32 v13, vcc_hi, v12
	v_xor_b32_e32 v12, vcc_lo, v12
	v_and_b32_e32 v8, v8, v13
	v_and_b32_e32 v21, v21, v12
	v_lshlrev_b32_e32 v13, 29, v2
	v_mov_b32_e32 v12, v9
	v_cmp_gt_i64_e32 vcc, 0, v[12:13]
	v_not_b32_e32 v12, v13
	v_ashrrev_i32_e32 v12, 31, v12
	v_xor_b32_e32 v13, vcc_hi, v12
	v_xor_b32_e32 v12, vcc_lo, v12
	v_and_b32_e32 v8, v8, v13
	v_and_b32_e32 v21, v21, v12
	v_lshlrev_b32_e32 v13, 28, v2
	v_mov_b32_e32 v12, v9
	v_cmp_gt_i64_e32 vcc, 0, v[12:13]
	v_not_b32_e32 v12, v13
	v_ashrrev_i32_e32 v12, 31, v12
	;; [unrolled: 9-line block ×5, first 2 shown]
	v_xor_b32_e32 v13, vcc_hi, v12
	v_xor_b32_e32 v12, vcc_lo, v12
	v_and_b32_e32 v8, v8, v13
	v_lshlrev_b32_e32 v13, 24, v2
	v_and_b32_e32 v21, v21, v12
	v_mov_b32_e32 v12, v9
	v_not_b32_e32 v2, v13
	v_cmp_gt_i64_e32 vcc, 0, v[12:13]
	v_ashrrev_i32_e32 v2, 31, v2
	ds_read_b32 v18, v20 offset:64
	v_xor_b32_e32 v9, vcc_hi, v2
	v_xor_b32_e32 v2, vcc_lo, v2
	v_and_b32_e32 v9, v8, v9
	v_and_b32_e32 v8, v21, v2
	v_mbcnt_lo_u32_b32 v2, v8, 0
	v_mbcnt_hi_u32_b32 v21, v9, v2
	v_cmp_eq_u32_e32 vcc, 0, v21
	v_cmp_ne_u64_e64 s[4:5], 0, v[8:9]
	s_and_b64 s[6:7], s[4:5], vcc
	; wave barrier
	s_and_saveexec_b64 s[4:5], s[6:7]
	s_cbranch_execz .LBB1961_33
; %bb.32:
	v_bcnt_u32_b32 v2, v8, 0
	v_bcnt_u32_b32 v2, v9, v2
	s_waitcnt lgkmcnt(0)
	v_add_u32_e32 v2, v18, v2
	ds_write_b32 v20, v2 offset:64
.LBB1961_33:
	s_or_b64 exec, exec, s[4:5]
	v_xor_b32_e32 v22, 0xffff8000, v3
	v_lshrrev_b32_sdwa v2, s24, v22 dst_sel:DWORD dst_unused:UNUSED_PAD src0_sel:DWORD src1_sel:WORD_0
	v_and_b32_e32 v2, s33, v2
	v_mul_u32_u24_e32 v8, 17, v2
	v_add_lshl_u32 v24, v26, v8, 2
	v_and_b32_e32 v8, 1, v2
	v_mov_b32_e32 v9, 0
	v_lshl_add_u64 v[12:13], v[8:9], 0, -1
	v_cmp_ne_u32_e32 vcc, 0, v8
	; wave barrier
	s_nop 1
	v_xor_b32_e32 v12, vcc_lo, v12
	v_xor_b32_e32 v8, vcc_hi, v13
	v_and_b32_e32 v25, exec_lo, v12
	v_lshlrev_b32_e32 v13, 30, v2
	v_mov_b32_e32 v12, v9
	v_cmp_gt_i64_e32 vcc, 0, v[12:13]
	v_not_b32_e32 v12, v13
	v_ashrrev_i32_e32 v12, 31, v12
	v_and_b32_e32 v8, exec_hi, v8
	v_xor_b32_e32 v13, vcc_hi, v12
	v_xor_b32_e32 v12, vcc_lo, v12
	v_and_b32_e32 v8, v8, v13
	v_and_b32_e32 v25, v25, v12
	v_lshlrev_b32_e32 v13, 29, v2
	v_mov_b32_e32 v12, v9
	v_cmp_gt_i64_e32 vcc, 0, v[12:13]
	v_not_b32_e32 v12, v13
	v_ashrrev_i32_e32 v12, 31, v12
	v_xor_b32_e32 v13, vcc_hi, v12
	v_xor_b32_e32 v12, vcc_lo, v12
	v_and_b32_e32 v8, v8, v13
	v_and_b32_e32 v25, v25, v12
	v_lshlrev_b32_e32 v13, 28, v2
	v_mov_b32_e32 v12, v9
	v_cmp_gt_i64_e32 vcc, 0, v[12:13]
	v_not_b32_e32 v12, v13
	v_ashrrev_i32_e32 v12, 31, v12
	;; [unrolled: 9-line block ×5, first 2 shown]
	v_xor_b32_e32 v13, vcc_hi, v12
	v_xor_b32_e32 v12, vcc_lo, v12
	v_and_b32_e32 v8, v8, v13
	v_lshlrev_b32_e32 v13, 24, v2
	v_and_b32_e32 v25, v25, v12
	v_mov_b32_e32 v12, v9
	v_not_b32_e32 v2, v13
	v_cmp_gt_i64_e32 vcc, 0, v[12:13]
	v_ashrrev_i32_e32 v2, 31, v2
	ds_read_b32 v23, v24 offset:64
	v_xor_b32_e32 v12, vcc_hi, v2
	v_xor_b32_e32 v2, vcc_lo, v2
	v_and_b32_e32 v13, v8, v12
	v_and_b32_e32 v12, v25, v2
	v_mbcnt_lo_u32_b32 v2, v12, 0
	v_mbcnt_hi_u32_b32 v25, v13, v2
	v_cmp_eq_u32_e32 vcc, 0, v25
	v_cmp_ne_u64_e64 s[4:5], 0, v[12:13]
	s_movk_i32 s6, 0x8000
	s_and_b64 s[8:9], s[4:5], vcc
	; wave barrier
	s_and_saveexec_b64 s[4:5], s[8:9]
	s_cbranch_execz .LBB1961_35
; %bb.34:
	v_bcnt_u32_b32 v2, v12, 0
	v_bcnt_u32_b32 v2, v13, v2
	s_waitcnt lgkmcnt(0)
	v_add_u32_e32 v2, v23, v2
	ds_write_b32 v24, v2 offset:64
.LBB1961_35:
	s_or_b64 exec, exec, s[4:5]
	v_xor_b32_sdwa v12, v3, s6 dst_sel:DWORD dst_unused:UNUSED_PAD src0_sel:WORD_1 src1_sel:DWORD
	v_lshrrev_b32_sdwa v2, s24, v12 dst_sel:DWORD dst_unused:UNUSED_PAD src0_sel:DWORD src1_sel:WORD_0
	v_and_b32_e32 v28, s33, v2
	v_mul_u32_u24_e32 v2, 17, v28
	v_and_b32_e32 v8, 1, v28
	v_add_lshl_u32 v27, v26, v2, 2
	v_lshl_add_u64 v[2:3], v[8:9], 0, -1
	v_cmp_ne_u32_e32 vcc, 0, v8
	; wave barrier
	s_nop 1
	v_xor_b32_e32 v3, vcc_hi, v3
	v_xor_b32_e32 v2, vcc_lo, v2
	v_and_b32_e32 v8, exec_hi, v3
	v_and_b32_e32 v29, exec_lo, v2
	v_lshlrev_b32_e32 v3, 30, v28
	v_mov_b32_e32 v2, v9
	v_cmp_gt_i64_e32 vcc, 0, v[2:3]
	v_not_b32_e32 v2, v3
	v_ashrrev_i32_e32 v2, 31, v2
	v_xor_b32_e32 v3, vcc_hi, v2
	v_xor_b32_e32 v2, vcc_lo, v2
	v_and_b32_e32 v8, v8, v3
	v_and_b32_e32 v29, v29, v2
	v_lshlrev_b32_e32 v3, 29, v28
	v_mov_b32_e32 v2, v9
	v_cmp_gt_i64_e32 vcc, 0, v[2:3]
	v_not_b32_e32 v2, v3
	v_ashrrev_i32_e32 v2, 31, v2
	v_xor_b32_e32 v3, vcc_hi, v2
	v_xor_b32_e32 v2, vcc_lo, v2
	v_and_b32_e32 v8, v8, v3
	v_and_b32_e32 v29, v29, v2
	;; [unrolled: 9-line block ×6, first 2 shown]
	v_lshlrev_b32_e32 v3, 24, v28
	v_mov_b32_e32 v2, v9
	v_cmp_gt_i64_e32 vcc, 0, v[2:3]
	v_not_b32_e32 v2, v3
	v_ashrrev_i32_e32 v2, 31, v2
	v_xor_b32_e32 v3, vcc_hi, v2
	v_xor_b32_e32 v2, vcc_lo, v2
	ds_read_b32 v13, v27 offset:64
	v_and_b32_e32 v2, v29, v2
	v_and_b32_e32 v3, v8, v3
	v_mbcnt_lo_u32_b32 v8, v2, 0
	v_mbcnt_hi_u32_b32 v28, v3, v8
	v_cmp_eq_u32_e32 vcc, 0, v28
	v_cmp_ne_u64_e64 s[4:5], 0, v[2:3]
	s_and_b64 s[6:7], s[4:5], vcc
	; wave barrier
	s_and_saveexec_b64 s[4:5], s[6:7]
	s_cbranch_execz .LBB1961_37
; %bb.36:
	v_bcnt_u32_b32 v2, v2, 0
	v_bcnt_u32_b32 v2, v3, v2
	s_waitcnt lgkmcnt(0)
	v_add_u32_e32 v2, v13, v2
	ds_write_b32 v27, v2 offset:64
.LBB1961_37:
	s_or_b64 exec, exec, s[4:5]
	v_xor_b32_e32 v29, 0xffff8000, v4
	v_lshrrev_b32_sdwa v2, s24, v29 dst_sel:DWORD dst_unused:UNUSED_PAD src0_sel:DWORD src1_sel:WORD_0
	v_and_b32_e32 v32, s33, v2
	v_mul_u32_u24_e32 v2, 17, v32
	v_add_lshl_u32 v31, v26, v2, 2
	v_and_b32_e32 v2, 1, v32
	v_mov_b32_e32 v3, 0
	v_lshl_add_u64 v[8:9], v[2:3], 0, -1
	v_cmp_ne_u32_e32 vcc, 0, v2
	; wave barrier
	s_nop 1
	v_xor_b32_e32 v8, vcc_lo, v8
	v_xor_b32_e32 v2, vcc_hi, v9
	v_and_b32_e32 v33, exec_lo, v8
	v_lshlrev_b32_e32 v9, 30, v32
	v_mov_b32_e32 v8, v3
	v_cmp_gt_i64_e32 vcc, 0, v[8:9]
	v_not_b32_e32 v8, v9
	v_ashrrev_i32_e32 v8, 31, v8
	v_and_b32_e32 v2, exec_hi, v2
	v_xor_b32_e32 v9, vcc_hi, v8
	v_xor_b32_e32 v8, vcc_lo, v8
	v_and_b32_e32 v2, v2, v9
	v_and_b32_e32 v33, v33, v8
	v_lshlrev_b32_e32 v9, 29, v32
	v_mov_b32_e32 v8, v3
	v_cmp_gt_i64_e32 vcc, 0, v[8:9]
	v_not_b32_e32 v8, v9
	v_ashrrev_i32_e32 v8, 31, v8
	v_xor_b32_e32 v9, vcc_hi, v8
	v_xor_b32_e32 v8, vcc_lo, v8
	v_and_b32_e32 v2, v2, v9
	v_and_b32_e32 v33, v33, v8
	v_lshlrev_b32_e32 v9, 28, v32
	v_mov_b32_e32 v8, v3
	v_cmp_gt_i64_e32 vcc, 0, v[8:9]
	v_not_b32_e32 v8, v9
	v_ashrrev_i32_e32 v8, 31, v8
	;; [unrolled: 9-line block ×6, first 2 shown]
	v_xor_b32_e32 v9, vcc_hi, v8
	v_xor_b32_e32 v8, vcc_lo, v8
	ds_read_b32 v30, v31 offset:64
	v_and_b32_e32 v8, v33, v8
	v_and_b32_e32 v9, v2, v9
	v_mbcnt_lo_u32_b32 v2, v8, 0
	v_mbcnt_hi_u32_b32 v33, v9, v2
	v_cmp_eq_u32_e32 vcc, 0, v33
	v_cmp_ne_u64_e64 s[4:5], 0, v[8:9]
	s_movk_i32 s6, 0x8000
	s_and_b64 s[8:9], s[4:5], vcc
	; wave barrier
	s_and_saveexec_b64 s[4:5], s[8:9]
	s_cbranch_execz .LBB1961_39
; %bb.38:
	v_bcnt_u32_b32 v2, v8, 0
	v_bcnt_u32_b32 v2, v9, v2
	s_waitcnt lgkmcnt(0)
	v_add_u32_e32 v2, v30, v2
	ds_write_b32 v31, v2 offset:64
.LBB1961_39:
	s_or_b64 exec, exec, s[4:5]
	v_xor_b32_sdwa v32, v4, s6 dst_sel:DWORD dst_unused:UNUSED_PAD src0_sel:WORD_1 src1_sel:DWORD
	v_lshrrev_b32_sdwa v2, s24, v32 dst_sel:DWORD dst_unused:UNUSED_PAD src0_sel:DWORD src1_sel:WORD_0
	v_and_b32_e32 v4, s33, v2
	v_mul_u32_u24_e32 v2, 17, v4
	v_add_lshl_u32 v35, v26, v2, 2
	v_and_b32_e32 v2, 1, v4
	v_lshl_add_u64 v[8:9], v[2:3], 0, -1
	v_cmp_ne_u32_e32 vcc, 0, v2
	; wave barrier
	s_nop 1
	v_xor_b32_e32 v8, vcc_lo, v8
	v_xor_b32_e32 v2, vcc_hi, v9
	v_and_b32_e32 v36, exec_lo, v8
	v_lshlrev_b32_e32 v9, 30, v4
	v_mov_b32_e32 v8, v3
	v_cmp_gt_i64_e32 vcc, 0, v[8:9]
	v_not_b32_e32 v8, v9
	v_ashrrev_i32_e32 v8, 31, v8
	v_and_b32_e32 v2, exec_hi, v2
	v_xor_b32_e32 v9, vcc_hi, v8
	v_xor_b32_e32 v8, vcc_lo, v8
	v_and_b32_e32 v2, v2, v9
	v_and_b32_e32 v36, v36, v8
	v_lshlrev_b32_e32 v9, 29, v4
	v_mov_b32_e32 v8, v3
	v_cmp_gt_i64_e32 vcc, 0, v[8:9]
	v_not_b32_e32 v8, v9
	v_ashrrev_i32_e32 v8, 31, v8
	v_xor_b32_e32 v9, vcc_hi, v8
	v_xor_b32_e32 v8, vcc_lo, v8
	v_and_b32_e32 v2, v2, v9
	v_and_b32_e32 v36, v36, v8
	v_lshlrev_b32_e32 v9, 28, v4
	v_mov_b32_e32 v8, v3
	v_cmp_gt_i64_e32 vcc, 0, v[8:9]
	v_not_b32_e32 v8, v9
	v_ashrrev_i32_e32 v8, 31, v8
	;; [unrolled: 9-line block ×5, first 2 shown]
	v_xor_b32_e32 v9, vcc_hi, v8
	v_xor_b32_e32 v8, vcc_lo, v8
	v_and_b32_e32 v2, v2, v9
	v_lshlrev_b32_e32 v9, 24, v4
	v_and_b32_e32 v36, v36, v8
	v_mov_b32_e32 v8, v3
	v_not_b32_e32 v3, v9
	v_cmp_gt_i64_e32 vcc, 0, v[8:9]
	v_ashrrev_i32_e32 v3, 31, v3
	ds_read_b32 v34, v35 offset:64
	v_xor_b32_e32 v4, vcc_hi, v3
	v_xor_b32_e32 v8, vcc_lo, v3
	v_and_b32_e32 v3, v2, v4
	v_and_b32_e32 v2, v36, v8
	v_mbcnt_lo_u32_b32 v4, v2, 0
	v_mbcnt_hi_u32_b32 v37, v3, v4
	v_cmp_eq_u32_e32 vcc, 0, v37
	v_cmp_ne_u64_e64 s[4:5], 0, v[2:3]
	s_and_b64 s[6:7], s[4:5], vcc
	; wave barrier
	s_and_saveexec_b64 s[4:5], s[6:7]
	s_cbranch_execz .LBB1961_41
; %bb.40:
	v_bcnt_u32_b32 v2, v2, 0
	v_bcnt_u32_b32 v2, v3, v2
	s_waitcnt lgkmcnt(0)
	v_add_u32_e32 v2, v34, v2
	ds_write_b32 v35, v2 offset:64
.LBB1961_41:
	s_or_b64 exec, exec, s[4:5]
	v_xor_b32_e32 v36, 0xffff8000, v5
	v_lshrrev_b32_sdwa v2, s24, v36 dst_sel:DWORD dst_unused:UNUSED_PAD src0_sel:DWORD src1_sel:WORD_0
	v_and_b32_e32 v4, s33, v2
	v_mul_u32_u24_e32 v2, 17, v4
	v_add_lshl_u32 v39, v26, v2, 2
	v_and_b32_e32 v2, 1, v4
	v_mov_b32_e32 v3, 0
	v_lshl_add_u64 v[8:9], v[2:3], 0, -1
	v_cmp_ne_u32_e32 vcc, 0, v2
	; wave barrier
	s_nop 1
	v_xor_b32_e32 v8, vcc_lo, v8
	v_xor_b32_e32 v2, vcc_hi, v9
	v_and_b32_e32 v40, exec_lo, v8
	v_lshlrev_b32_e32 v9, 30, v4
	v_mov_b32_e32 v8, v3
	v_cmp_gt_i64_e32 vcc, 0, v[8:9]
	v_not_b32_e32 v8, v9
	v_ashrrev_i32_e32 v8, 31, v8
	v_and_b32_e32 v2, exec_hi, v2
	v_xor_b32_e32 v9, vcc_hi, v8
	v_xor_b32_e32 v8, vcc_lo, v8
	v_and_b32_e32 v2, v2, v9
	v_and_b32_e32 v40, v40, v8
	v_lshlrev_b32_e32 v9, 29, v4
	v_mov_b32_e32 v8, v3
	v_cmp_gt_i64_e32 vcc, 0, v[8:9]
	v_not_b32_e32 v8, v9
	v_ashrrev_i32_e32 v8, 31, v8
	v_xor_b32_e32 v9, vcc_hi, v8
	v_xor_b32_e32 v8, vcc_lo, v8
	v_and_b32_e32 v2, v2, v9
	v_and_b32_e32 v40, v40, v8
	v_lshlrev_b32_e32 v9, 28, v4
	v_mov_b32_e32 v8, v3
	v_cmp_gt_i64_e32 vcc, 0, v[8:9]
	v_not_b32_e32 v8, v9
	v_ashrrev_i32_e32 v8, 31, v8
	;; [unrolled: 9-line block ×5, first 2 shown]
	v_xor_b32_e32 v9, vcc_hi, v8
	v_xor_b32_e32 v8, vcc_lo, v8
	v_and_b32_e32 v2, v2, v9
	v_lshlrev_b32_e32 v9, 24, v4
	v_and_b32_e32 v40, v40, v8
	v_mov_b32_e32 v8, v3
	v_not_b32_e32 v4, v9
	v_cmp_gt_i64_e32 vcc, 0, v[8:9]
	v_ashrrev_i32_e32 v4, 31, v4
	ds_read_b32 v38, v39 offset:64
	v_xor_b32_e32 v8, vcc_hi, v4
	v_xor_b32_e32 v4, vcc_lo, v4
	v_and_b32_e32 v9, v2, v8
	v_and_b32_e32 v8, v40, v4
	v_mbcnt_lo_u32_b32 v2, v8, 0
	v_mbcnt_hi_u32_b32 v40, v9, v2
	v_cmp_eq_u32_e32 vcc, 0, v40
	v_cmp_ne_u64_e64 s[4:5], 0, v[8:9]
	s_movk_i32 s6, 0x8000
	s_and_b64 s[8:9], s[4:5], vcc
	; wave barrier
	s_and_saveexec_b64 s[4:5], s[8:9]
	s_cbranch_execz .LBB1961_43
; %bb.42:
	v_bcnt_u32_b32 v2, v8, 0
	v_bcnt_u32_b32 v2, v9, v2
	s_waitcnt lgkmcnt(0)
	v_add_u32_e32 v2, v38, v2
	ds_write_b32 v39, v2 offset:64
.LBB1961_43:
	s_or_b64 exec, exec, s[4:5]
	v_xor_b32_sdwa v8, v5, s6 dst_sel:DWORD dst_unused:UNUSED_PAD src0_sel:WORD_1 src1_sel:DWORD
	v_lshrrev_b32_sdwa v2, s24, v8 dst_sel:DWORD dst_unused:UNUSED_PAD src0_sel:DWORD src1_sel:WORD_0
	v_and_b32_e32 v42, s33, v2
	v_mul_u32_u24_e32 v2, 17, v42
	v_add_lshl_u32 v41, v26, v2, 2
	v_and_b32_e32 v2, 1, v42
	v_lshl_add_u64 v[4:5], v[2:3], 0, -1
	v_cmp_ne_u32_e32 vcc, 0, v2
	; wave barrier
	s_nop 1
	v_xor_b32_e32 v4, vcc_lo, v4
	v_xor_b32_e32 v2, vcc_hi, v5
	v_and_b32_e32 v43, exec_lo, v4
	v_lshlrev_b32_e32 v5, 30, v42
	v_mov_b32_e32 v4, v3
	v_cmp_gt_i64_e32 vcc, 0, v[4:5]
	v_not_b32_e32 v4, v5
	v_ashrrev_i32_e32 v4, 31, v4
	v_and_b32_e32 v2, exec_hi, v2
	v_xor_b32_e32 v5, vcc_hi, v4
	v_xor_b32_e32 v4, vcc_lo, v4
	v_and_b32_e32 v2, v2, v5
	v_and_b32_e32 v43, v43, v4
	v_lshlrev_b32_e32 v5, 29, v42
	v_mov_b32_e32 v4, v3
	v_cmp_gt_i64_e32 vcc, 0, v[4:5]
	v_not_b32_e32 v4, v5
	v_ashrrev_i32_e32 v4, 31, v4
	v_xor_b32_e32 v5, vcc_hi, v4
	v_xor_b32_e32 v4, vcc_lo, v4
	v_and_b32_e32 v2, v2, v5
	v_and_b32_e32 v43, v43, v4
	v_lshlrev_b32_e32 v5, 28, v42
	v_mov_b32_e32 v4, v3
	v_cmp_gt_i64_e32 vcc, 0, v[4:5]
	v_not_b32_e32 v4, v5
	v_ashrrev_i32_e32 v4, 31, v4
	;; [unrolled: 9-line block ×5, first 2 shown]
	v_xor_b32_e32 v5, vcc_hi, v4
	v_xor_b32_e32 v4, vcc_lo, v4
	v_and_b32_e32 v2, v2, v5
	v_lshlrev_b32_e32 v5, 24, v42
	v_and_b32_e32 v43, v43, v4
	v_mov_b32_e32 v4, v3
	v_not_b32_e32 v3, v5
	v_cmp_gt_i64_e32 vcc, 0, v[4:5]
	v_ashrrev_i32_e32 v3, 31, v3
	ds_read_b32 v9, v41 offset:64
	v_xor_b32_e32 v4, vcc_hi, v3
	v_xor_b32_e32 v5, vcc_lo, v3
	v_and_b32_e32 v3, v2, v4
	v_and_b32_e32 v2, v43, v5
	v_mbcnt_lo_u32_b32 v4, v2, 0
	v_mbcnt_hi_u32_b32 v43, v3, v4
	v_cmp_eq_u32_e32 vcc, 0, v43
	v_cmp_ne_u64_e64 s[4:5], 0, v[2:3]
	s_and_b64 s[6:7], s[4:5], vcc
	; wave barrier
	s_and_saveexec_b64 s[4:5], s[6:7]
	s_cbranch_execz .LBB1961_45
; %bb.44:
	v_bcnt_u32_b32 v2, v2, 0
	v_bcnt_u32_b32 v2, v3, v2
	s_waitcnt lgkmcnt(0)
	v_add_u32_e32 v2, v9, v2
	ds_write_b32 v41, v2 offset:64
.LBB1961_45:
	s_or_b64 exec, exec, s[4:5]
	v_xor_b32_e32 v42, 0xffff8000, v6
	v_lshrrev_b32_sdwa v2, s24, v42 dst_sel:DWORD dst_unused:UNUSED_PAD src0_sel:DWORD src1_sel:WORD_0
	v_and_b32_e32 v46, s33, v2
	v_mul_u32_u24_e32 v2, 17, v46
	v_add_lshl_u32 v45, v26, v2, 2
	v_and_b32_e32 v2, 1, v46
	v_mov_b32_e32 v3, 0
	v_lshl_add_u64 v[4:5], v[2:3], 0, -1
	v_cmp_ne_u32_e32 vcc, 0, v2
	; wave barrier
	s_nop 1
	v_xor_b32_e32 v4, vcc_lo, v4
	v_xor_b32_e32 v2, vcc_hi, v5
	v_and_b32_e32 v47, exec_lo, v4
	v_lshlrev_b32_e32 v5, 30, v46
	v_mov_b32_e32 v4, v3
	v_cmp_gt_i64_e32 vcc, 0, v[4:5]
	v_not_b32_e32 v4, v5
	v_ashrrev_i32_e32 v4, 31, v4
	v_and_b32_e32 v2, exec_hi, v2
	v_xor_b32_e32 v5, vcc_hi, v4
	v_xor_b32_e32 v4, vcc_lo, v4
	v_and_b32_e32 v2, v2, v5
	v_and_b32_e32 v47, v47, v4
	v_lshlrev_b32_e32 v5, 29, v46
	v_mov_b32_e32 v4, v3
	v_cmp_gt_i64_e32 vcc, 0, v[4:5]
	v_not_b32_e32 v4, v5
	v_ashrrev_i32_e32 v4, 31, v4
	v_xor_b32_e32 v5, vcc_hi, v4
	v_xor_b32_e32 v4, vcc_lo, v4
	v_and_b32_e32 v2, v2, v5
	v_and_b32_e32 v47, v47, v4
	v_lshlrev_b32_e32 v5, 28, v46
	v_mov_b32_e32 v4, v3
	v_cmp_gt_i64_e32 vcc, 0, v[4:5]
	v_not_b32_e32 v4, v5
	v_ashrrev_i32_e32 v4, 31, v4
	;; [unrolled: 9-line block ×6, first 2 shown]
	v_xor_b32_e32 v5, vcc_hi, v4
	v_xor_b32_e32 v4, vcc_lo, v4
	ds_read_b32 v44, v45 offset:64
	v_and_b32_e32 v4, v47, v4
	v_and_b32_e32 v5, v2, v5
	v_mbcnt_lo_u32_b32 v2, v4, 0
	v_mbcnt_hi_u32_b32 v46, v5, v2
	v_cmp_eq_u32_e32 vcc, 0, v46
	v_cmp_ne_u64_e64 s[4:5], 0, v[4:5]
	s_movk_i32 s6, 0x8000
	s_and_b64 s[8:9], s[4:5], vcc
	; wave barrier
	s_and_saveexec_b64 s[4:5], s[8:9]
	s_cbranch_execz .LBB1961_47
; %bb.46:
	v_bcnt_u32_b32 v2, v4, 0
	v_bcnt_u32_b32 v2, v5, v2
	s_waitcnt lgkmcnt(0)
	v_add_u32_e32 v2, v44, v2
	ds_write_b32 v45, v2 offset:64
.LBB1961_47:
	s_or_b64 exec, exec, s[4:5]
	v_xor_b32_sdwa v6, v6, s6 dst_sel:DWORD dst_unused:UNUSED_PAD src0_sel:WORD_1 src1_sel:DWORD
	v_lshrrev_b32_sdwa v2, s24, v6 dst_sel:DWORD dst_unused:UNUSED_PAD src0_sel:DWORD src1_sel:WORD_0
	v_and_b32_e32 v49, s33, v2
	v_mul_u32_u24_e32 v2, 17, v49
	v_add_lshl_u32 v48, v26, v2, 2
	v_and_b32_e32 v2, 1, v49
	v_lshl_add_u64 v[4:5], v[2:3], 0, -1
	v_cmp_ne_u32_e32 vcc, 0, v2
	; wave barrier
	s_nop 1
	v_xor_b32_e32 v4, vcc_lo, v4
	v_xor_b32_e32 v2, vcc_hi, v5
	v_and_b32_e32 v50, exec_lo, v4
	v_lshlrev_b32_e32 v5, 30, v49
	v_mov_b32_e32 v4, v3
	v_cmp_gt_i64_e32 vcc, 0, v[4:5]
	v_not_b32_e32 v4, v5
	v_ashrrev_i32_e32 v4, 31, v4
	v_and_b32_e32 v2, exec_hi, v2
	v_xor_b32_e32 v5, vcc_hi, v4
	v_xor_b32_e32 v4, vcc_lo, v4
	v_and_b32_e32 v2, v2, v5
	v_and_b32_e32 v50, v50, v4
	v_lshlrev_b32_e32 v5, 29, v49
	v_mov_b32_e32 v4, v3
	v_cmp_gt_i64_e32 vcc, 0, v[4:5]
	v_not_b32_e32 v4, v5
	v_ashrrev_i32_e32 v4, 31, v4
	v_xor_b32_e32 v5, vcc_hi, v4
	v_xor_b32_e32 v4, vcc_lo, v4
	v_and_b32_e32 v2, v2, v5
	v_and_b32_e32 v50, v50, v4
	v_lshlrev_b32_e32 v5, 28, v49
	v_mov_b32_e32 v4, v3
	v_cmp_gt_i64_e32 vcc, 0, v[4:5]
	v_not_b32_e32 v4, v5
	v_ashrrev_i32_e32 v4, 31, v4
	;; [unrolled: 9-line block ×5, first 2 shown]
	v_xor_b32_e32 v5, vcc_hi, v4
	v_xor_b32_e32 v4, vcc_lo, v4
	v_and_b32_e32 v2, v2, v5
	v_lshlrev_b32_e32 v5, 24, v49
	v_and_b32_e32 v50, v50, v4
	v_mov_b32_e32 v4, v3
	v_not_b32_e32 v3, v5
	v_cmp_gt_i64_e32 vcc, 0, v[4:5]
	v_ashrrev_i32_e32 v3, 31, v3
	ds_read_b32 v47, v48 offset:64
	v_xor_b32_e32 v4, vcc_hi, v3
	v_xor_b32_e32 v5, vcc_lo, v3
	v_and_b32_e32 v3, v2, v4
	v_and_b32_e32 v2, v50, v5
	v_mbcnt_lo_u32_b32 v4, v2, 0
	v_mbcnt_hi_u32_b32 v50, v3, v4
	v_cmp_eq_u32_e32 vcc, 0, v50
	v_cmp_ne_u64_e64 s[4:5], 0, v[2:3]
	s_and_b64 s[6:7], s[4:5], vcc
	; wave barrier
	s_and_saveexec_b64 s[4:5], s[6:7]
	s_cbranch_execz .LBB1961_49
; %bb.48:
	v_bcnt_u32_b32 v2, v2, 0
	v_bcnt_u32_b32 v2, v3, v2
	s_waitcnt lgkmcnt(0)
	v_add_u32_e32 v2, v47, v2
	ds_write_b32 v48, v2 offset:64
.LBB1961_49:
	s_or_b64 exec, exec, s[4:5]
	v_xor_b32_e32 v49, 0xffff8000, v7
	v_lshrrev_b32_sdwa v2, s24, v49 dst_sel:DWORD dst_unused:UNUSED_PAD src0_sel:DWORD src1_sel:WORD_0
	v_and_b32_e32 v53, s33, v2
	v_mul_u32_u24_e32 v2, 17, v53
	v_add_lshl_u32 v52, v26, v2, 2
	v_and_b32_e32 v2, 1, v53
	v_mov_b32_e32 v3, 0
	v_lshl_add_u64 v[4:5], v[2:3], 0, -1
	v_cmp_ne_u32_e32 vcc, 0, v2
	; wave barrier
	s_nop 1
	v_xor_b32_e32 v4, vcc_lo, v4
	v_xor_b32_e32 v2, vcc_hi, v5
	v_and_b32_e32 v54, exec_lo, v4
	v_lshlrev_b32_e32 v5, 30, v53
	v_mov_b32_e32 v4, v3
	v_cmp_gt_i64_e32 vcc, 0, v[4:5]
	v_not_b32_e32 v4, v5
	v_ashrrev_i32_e32 v4, 31, v4
	v_and_b32_e32 v2, exec_hi, v2
	v_xor_b32_e32 v5, vcc_hi, v4
	v_xor_b32_e32 v4, vcc_lo, v4
	v_and_b32_e32 v2, v2, v5
	v_and_b32_e32 v54, v54, v4
	v_lshlrev_b32_e32 v5, 29, v53
	v_mov_b32_e32 v4, v3
	v_cmp_gt_i64_e32 vcc, 0, v[4:5]
	v_not_b32_e32 v4, v5
	v_ashrrev_i32_e32 v4, 31, v4
	v_xor_b32_e32 v5, vcc_hi, v4
	v_xor_b32_e32 v4, vcc_lo, v4
	v_and_b32_e32 v2, v2, v5
	v_and_b32_e32 v54, v54, v4
	v_lshlrev_b32_e32 v5, 28, v53
	v_mov_b32_e32 v4, v3
	v_cmp_gt_i64_e32 vcc, 0, v[4:5]
	v_not_b32_e32 v4, v5
	v_ashrrev_i32_e32 v4, 31, v4
	;; [unrolled: 9-line block ×6, first 2 shown]
	v_xor_b32_e32 v5, vcc_hi, v4
	v_xor_b32_e32 v4, vcc_lo, v4
	ds_read_b32 v51, v52 offset:64
	v_and_b32_e32 v4, v54, v4
	v_and_b32_e32 v5, v2, v5
	v_mbcnt_lo_u32_b32 v2, v4, 0
	v_mbcnt_hi_u32_b32 v53, v5, v2
	v_cmp_eq_u32_e32 vcc, 0, v53
	v_cmp_ne_u64_e64 s[4:5], 0, v[4:5]
	s_movk_i32 s6, 0x8000
	s_and_b64 s[8:9], s[4:5], vcc
	; wave barrier
	s_and_saveexec_b64 s[4:5], s[8:9]
	s_cbranch_execz .LBB1961_51
; %bb.50:
	v_bcnt_u32_b32 v2, v4, 0
	v_bcnt_u32_b32 v2, v5, v2
	s_waitcnt lgkmcnt(0)
	v_add_u32_e32 v2, v51, v2
	ds_write_b32 v52, v2 offset:64
.LBB1961_51:
	s_or_b64 exec, exec, s[4:5]
	v_xor_b32_sdwa v7, v7, s6 dst_sel:DWORD dst_unused:UNUSED_PAD src0_sel:WORD_1 src1_sel:DWORD
	v_lshrrev_b32_sdwa v2, s24, v7 dst_sel:DWORD dst_unused:UNUSED_PAD src0_sel:DWORD src1_sel:WORD_0
	v_and_b32_e32 v56, s33, v2
	v_mul_u32_u24_e32 v2, 17, v56
	v_add_lshl_u32 v54, v26, v2, 2
	v_and_b32_e32 v2, 1, v56
	v_lshl_add_u64 v[4:5], v[2:3], 0, -1
	v_cmp_ne_u32_e32 vcc, 0, v2
	; wave barrier
	s_nop 1
	v_xor_b32_e32 v4, vcc_lo, v4
	v_xor_b32_e32 v2, vcc_hi, v5
	v_and_b32_e32 v57, exec_lo, v4
	v_lshlrev_b32_e32 v5, 30, v56
	v_mov_b32_e32 v4, v3
	v_cmp_gt_i64_e32 vcc, 0, v[4:5]
	v_not_b32_e32 v4, v5
	v_ashrrev_i32_e32 v4, 31, v4
	v_and_b32_e32 v2, exec_hi, v2
	v_xor_b32_e32 v5, vcc_hi, v4
	v_xor_b32_e32 v4, vcc_lo, v4
	v_and_b32_e32 v2, v2, v5
	v_and_b32_e32 v57, v57, v4
	v_lshlrev_b32_e32 v5, 29, v56
	v_mov_b32_e32 v4, v3
	v_cmp_gt_i64_e32 vcc, 0, v[4:5]
	v_not_b32_e32 v4, v5
	v_ashrrev_i32_e32 v4, 31, v4
	v_xor_b32_e32 v5, vcc_hi, v4
	v_xor_b32_e32 v4, vcc_lo, v4
	v_and_b32_e32 v2, v2, v5
	v_and_b32_e32 v57, v57, v4
	v_lshlrev_b32_e32 v5, 28, v56
	v_mov_b32_e32 v4, v3
	v_cmp_gt_i64_e32 vcc, 0, v[4:5]
	v_not_b32_e32 v4, v5
	v_ashrrev_i32_e32 v4, 31, v4
	;; [unrolled: 9-line block ×5, first 2 shown]
	v_xor_b32_e32 v5, vcc_hi, v4
	v_xor_b32_e32 v4, vcc_lo, v4
	v_and_b32_e32 v2, v2, v5
	v_lshlrev_b32_e32 v5, 24, v56
	v_and_b32_e32 v57, v57, v4
	v_mov_b32_e32 v4, v3
	v_not_b32_e32 v3, v5
	v_cmp_gt_i64_e32 vcc, 0, v[4:5]
	v_ashrrev_i32_e32 v3, 31, v3
	ds_read_b32 v26, v54 offset:64
	v_xor_b32_e32 v4, vcc_hi, v3
	v_xor_b32_e32 v5, vcc_lo, v3
	v_and_b32_e32 v3, v2, v4
	v_and_b32_e32 v2, v57, v5
	v_mbcnt_lo_u32_b32 v4, v2, 0
	v_mbcnt_hi_u32_b32 v56, v3, v4
	v_cmp_eq_u32_e32 vcc, 0, v56
	v_cmp_ne_u64_e64 s[4:5], 0, v[2:3]
	v_add_u32_e32 v55, 64, v15
	s_and_b64 s[6:7], s[4:5], vcc
	; wave barrier
	s_and_saveexec_b64 s[4:5], s[6:7]
	s_cbranch_execz .LBB1961_53
; %bb.52:
	v_bcnt_u32_b32 v2, v2, 0
	v_bcnt_u32_b32 v2, v3, v2
	s_waitcnt lgkmcnt(0)
	v_add_u32_e32 v2, v26, v2
	ds_write_b32 v54, v2 offset:64
.LBB1961_53:
	s_or_b64 exec, exec, s[4:5]
	; wave barrier
	s_waitcnt lgkmcnt(0)
	s_barrier
	ds_read2_b32 v[4:5], v15 offset0:16 offset1:17
	ds_read2_b32 v[2:3], v55 offset0:2 offset1:3
	ds_read_b32 v57, v55 offset:16
	v_cmp_lt_u32_e64 s[12:13], 31, v11
	s_waitcnt lgkmcnt(1)
	v_add3_u32 v58, v5, v4, v2
	s_waitcnt lgkmcnt(0)
	v_add3_u32 v57, v58, v3, v57
	v_and_b32_e32 v58, 15, v11
	v_cmp_eq_u32_e32 vcc, 0, v58
	v_mov_b32_dpp v59, v57 row_shr:1 row_mask:0xf bank_mask:0xf
	v_cmp_lt_u32_e64 s[4:5], 1, v58
	v_cndmask_b32_e64 v59, v59, 0, vcc
	v_add_u32_e32 v57, v59, v57
	v_cmp_lt_u32_e64 s[6:7], 3, v58
	v_cmp_lt_u32_e64 s[8:9], 7, v58
	v_mov_b32_dpp v59, v57 row_shr:2 row_mask:0xf bank_mask:0xf
	v_cndmask_b32_e64 v59, 0, v59, s[4:5]
	v_add_u32_e32 v57, v57, v59
	s_nop 1
	v_mov_b32_dpp v59, v57 row_shr:4 row_mask:0xf bank_mask:0xf
	v_cndmask_b32_e64 v59, 0, v59, s[6:7]
	v_add_u32_e32 v57, v57, v59
	s_nop 1
	v_mov_b32_dpp v59, v57 row_shr:8 row_mask:0xf bank_mask:0xf
	v_cndmask_b32_e64 v58, 0, v59, s[8:9]
	v_add_u32_e32 v57, v57, v58
	v_bfe_i32 v59, v11, 4, 1
	s_nop 0
	v_mov_b32_dpp v58, v57 row_bcast:15 row_mask:0xf bank_mask:0xf
	v_and_b32_e32 v58, v59, v58
	v_add_u32_e32 v57, v57, v58
	v_and_b32_e32 v59, 63, v10
	s_nop 0
	v_mov_b32_dpp v58, v57 row_bcast:31 row_mask:0xf bank_mask:0xf
	v_cndmask_b32_e64 v58, 0, v58, s[12:13]
	v_add_u32_e32 v57, v57, v58
	v_lshrrev_b32_e32 v58, 6, v10
	v_cmp_eq_u32_e64 s[12:13], 63, v59
	s_and_saveexec_b64 s[14:15], s[12:13]
	s_cbranch_execz .LBB1961_55
; %bb.54:
	v_lshlrev_b32_e32 v59, 2, v58
	ds_write_b32 v59, v57
.LBB1961_55:
	s_or_b64 exec, exec, s[14:15]
	v_cmp_gt_u32_e64 s[12:13], 16, v10
	s_waitcnt lgkmcnt(0)
	s_barrier
	s_and_saveexec_b64 s[14:15], s[12:13]
	s_cbranch_execz .LBB1961_57
; %bb.56:
	v_lshlrev_b32_e32 v59, 2, v10
	ds_read_b32 v60, v59
	s_waitcnt lgkmcnt(0)
	s_nop 0
	v_mov_b32_dpp v61, v60 row_shr:1 row_mask:0xf bank_mask:0xf
	v_cndmask_b32_e64 v61, v61, 0, vcc
	v_add_u32_e32 v60, v61, v60
	s_nop 1
	v_mov_b32_dpp v61, v60 row_shr:2 row_mask:0xf bank_mask:0xf
	v_cndmask_b32_e64 v61, 0, v61, s[4:5]
	v_add_u32_e32 v60, v60, v61
	s_nop 1
	v_mov_b32_dpp v61, v60 row_shr:4 row_mask:0xf bank_mask:0xf
	v_cndmask_b32_e64 v61, 0, v61, s[6:7]
	v_add_u32_e32 v60, v60, v61
	s_nop 1
	v_mov_b32_dpp v61, v60 row_shr:8 row_mask:0xf bank_mask:0xf
	v_cndmask_b32_e64 v61, 0, v61, s[8:9]
	v_add_u32_e32 v60, v60, v61
	ds_write_b32 v59, v60
.LBB1961_57:
	s_or_b64 exec, exec, s[14:15]
	v_cmp_lt_u32_e32 vcc, 63, v10
	v_mov_b32_e32 v59, 0
	s_waitcnt lgkmcnt(0)
	s_barrier
	s_and_saveexec_b64 s[4:5], vcc
	s_cbranch_execz .LBB1961_59
; %bb.58:
	v_lshl_add_u32 v58, v58, 2, -4
	ds_read_b32 v59, v58
.LBB1961_59:
	s_or_b64 exec, exec, s[4:5]
	v_add_u32_e32 v58, -1, v11
	v_and_b32_e32 v60, 64, v11
	v_cmp_lt_i32_e32 vcc, v58, v60
	s_waitcnt lgkmcnt(0)
	v_add_u32_e32 v57, v59, v57
	s_movk_i32 s4, 0x100
	v_cndmask_b32_e32 v58, v58, v11, vcc
	v_lshlrev_b32_e32 v58, 2, v58
	ds_bpermute_b32 v57, v58, v57
	v_cmp_eq_u32_e32 vcc, 0, v11
	s_waitcnt lgkmcnt(0)
	s_nop 0
	v_cndmask_b32_e32 v11, v57, v59, vcc
	v_cndmask_b32_e64 v11, v11, 0, s[10:11]
	v_add_u32_e32 v4, v11, v4
	v_add_u32_e32 v5, v4, v5
	;; [unrolled: 1-line block ×4, first 2 shown]
	ds_write2_b32 v15, v11, v4 offset0:16 offset1:17
	ds_write2_b32 v55, v5, v2 offset0:2 offset1:3
	ds_write_b32 v55, v3 offset:16
	s_waitcnt lgkmcnt(0)
	s_barrier
	ds_read_b32 v59, v19 offset:64
	ds_read_b32 v58, v20 offset:64
	;; [unrolled: 1-line block ×12, first 2 shown]
	v_cmp_gt_u32_e32 vcc, s4, v10
                                        ; implicit-def: $vgpr11
                                        ; implicit-def: $vgpr15
	s_and_saveexec_b64 s[6:7], vcc
	s_cbranch_execz .LBB1961_63
; %bb.60:
	v_mul_u32_u24_e32 v11, 17, v10
	v_lshlrev_b32_e32 v31, 2, v11
	ds_read_b32 v11, v31 offset:64
	s_movk_i32 s4, 0xff
	v_cmp_ne_u32_e64 s[4:5], s4, v10
	v_mov_b32_e32 v15, 0x3000
	s_and_saveexec_b64 s[8:9], s[4:5]
	s_cbranch_execz .LBB1961_62
; %bb.61:
	ds_read_b32 v15, v31 offset:132
.LBB1961_62:
	s_or_b64 exec, exec, s[8:9]
	s_waitcnt lgkmcnt(0)
	v_sub_u32_e32 v15, v15, v11
.LBB1961_63:
	s_or_b64 exec, exec, s[6:7]
	v_add_u32_e32 v18, v21, v18
	s_waitcnt lgkmcnt(11)
	v_add_lshl_u32 v16, v59, v16, 1
	v_add_u32_e32 v13, v28, v13
	v_add_u32_e32 v23, v25, v23
	s_waitcnt lgkmcnt(0)
	s_barrier
	ds_write_b16 v16, v14 offset:1024
	v_add_lshl_u32 v14, v18, v58, 1
	v_add_u32_e32 v30, v33, v30
	ds_write_b16 v14, v17 offset:1024
	v_add_lshl_u32 v14, v23, v57, 1
	v_add_lshl_u32 v13, v13, v55, 1
	v_add_u32_e32 v34, v37, v34
	ds_write_b16 v14, v22 offset:1024
	ds_write_b16 v13, v12 offset:1024
	v_add_lshl_u32 v12, v30, v27, 1
	v_add_u32_e32 v26, v56, v26
	v_add_u32_e32 v31, v53, v51
	;; [unrolled: 1-line block ×6, first 2 shown]
	ds_write_b16 v12, v29 offset:1024
	v_add_lshl_u32 v12, v34, v24, 1
	ds_write_b16 v12, v32 offset:1024
	v_add_lshl_u32 v12, v38, v20, 1
	v_add_lshl_u32 v9, v9, v19, 1
	;; [unrolled: 1-line block ×6, first 2 shown]
	ds_write_b16 v12, v36 offset:1024
	ds_write_b16 v9, v8 offset:1024
	;; [unrolled: 1-line block ×6, first 2 shown]
	s_and_saveexec_b64 s[6:7], vcc
	s_cbranch_execz .LBB1961_73
; %bb.64:
	v_lshl_or_b32 v4, s27, 8, v10
	v_mov_b32_e32 v5, 0
	v_lshl_add_u64 v[2:3], v[4:5], 2, s[18:19]
	v_or_b32_e32 v4, 2.0, v15
	s_mov_b64 s[8:9], 0
	s_brev_b32 s16, 1
	s_mov_b32 s17, s27
	v_mov_b32_e32 v8, 0
	global_store_dword v[2:3], v4, off sc1
                                        ; implicit-def: $sgpr4_sgpr5
	s_branch .LBB1961_66
.LBB1961_65:                            ;   in Loop: Header=BB1961_66 Depth=1
	s_or_b64 exec, exec, s[12:13]
	v_and_b32_e32 v6, 0x3fffffff, v9
	v_add_u32_e32 v8, v6, v8
	v_cmp_eq_u32_e64 s[4:5], s16, v4
	s_and_b64 s[12:13], exec, s[4:5]
	s_or_b64 s[8:9], s[12:13], s[8:9]
	s_andn2_b64 exec, exec, s[8:9]
	s_cbranch_execz .LBB1961_72
.LBB1961_66:                            ; =>This Loop Header: Depth=1
                                        ;     Child Loop BB1961_69 Depth 2
	s_or_b64 s[4:5], s[4:5], exec
	s_cmp_eq_u32 s17, 0
	s_cbranch_scc1 .LBB1961_71
; %bb.67:                               ;   in Loop: Header=BB1961_66 Depth=1
	s_add_i32 s17, s17, -1
	v_lshl_or_b32 v4, s17, 8, v10
	v_lshl_add_u64 v[6:7], v[4:5], 2, s[18:19]
	global_load_dword v9, v[6:7], off sc1
	s_waitcnt vmcnt(0)
	v_and_b32_e32 v4, -2.0, v9
	v_cmp_eq_u32_e64 s[4:5], 0, v4
	s_and_saveexec_b64 s[12:13], s[4:5]
	s_cbranch_execz .LBB1961_65
; %bb.68:                               ;   in Loop: Header=BB1961_66 Depth=1
	s_mov_b64 s[14:15], 0
.LBB1961_69:                            ;   Parent Loop BB1961_66 Depth=1
                                        ; =>  This Inner Loop Header: Depth=2
	global_load_dword v9, v[6:7], off sc1
	s_waitcnt vmcnt(0)
	v_and_b32_e32 v4, -2.0, v9
	v_cmp_ne_u32_e64 s[4:5], 0, v4
	s_or_b64 s[14:15], s[4:5], s[14:15]
	s_andn2_b64 exec, exec, s[14:15]
	s_cbranch_execnz .LBB1961_69
; %bb.70:                               ;   in Loop: Header=BB1961_66 Depth=1
	s_or_b64 exec, exec, s[14:15]
	s_branch .LBB1961_65
.LBB1961_71:                            ;   in Loop: Header=BB1961_66 Depth=1
                                        ; implicit-def: $sgpr17
	s_and_b64 s[12:13], exec, s[4:5]
	s_or_b64 s[8:9], s[12:13], s[8:9]
	s_andn2_b64 exec, exec, s[8:9]
	s_cbranch_execnz .LBB1961_66
.LBB1961_72:
	s_or_b64 exec, exec, s[8:9]
	v_add_u32_e32 v4, v8, v15
	v_or_b32_e32 v4, 0x80000000, v4
	global_store_dword v[2:3], v4, off sc1
	v_lshlrev_b32_e32 v2, 2, v10
	global_load_dword v3, v2, s[20:21]
	v_sub_u32_e32 v4, v8, v11
	s_waitcnt vmcnt(0)
	v_add_u32_e32 v3, v4, v3
	ds_write_b32 v2, v3
.LBB1961_73:
	s_or_b64 exec, exec, s[6:7]
	v_cmp_gt_u32_e64 s[4:5], s3, v10
	s_waitcnt lgkmcnt(0)
	s_barrier
	s_and_saveexec_b64 s[6:7], s[4:5]
	s_cbranch_execz .LBB1961_75
; %bb.74:
	v_lshlrev_b32_e32 v2, 1, v10
	ds_read_u16 v2, v2 offset:1024
	s_waitcnt lgkmcnt(0)
	v_lshrrev_b32_sdwa v3, s24, v2 dst_sel:DWORD dst_unused:UNUSED_PAD src0_sel:DWORD src1_sel:WORD_0
	v_and_b32_e32 v3, s33, v3
	v_lshlrev_b32_e32 v3, 2, v3
	ds_read_b32 v3, v3
	v_xor_b32_e32 v4, 0xffff8000, v2
	s_waitcnt lgkmcnt(0)
	v_add_u32_e32 v2, v3, v10
	v_mov_b32_e32 v3, 0
	v_lshl_add_u64 v[2:3], v[2:3], 1, s[30:31]
	global_store_short v[2:3], v4, off
.LBB1961_75:
	s_or_b64 exec, exec, s[6:7]
	v_or_b32_e32 v2, 0x400, v10
	v_cmp_gt_u32_e64 s[4:5], s3, v2
	s_and_saveexec_b64 s[6:7], s[4:5]
	s_cbranch_execz .LBB1961_77
; %bb.76:
	v_lshlrev_b32_e32 v3, 1, v10
	ds_read_u16 v3, v3 offset:3072
	s_waitcnt lgkmcnt(0)
	v_lshrrev_b32_sdwa v4, s24, v3 dst_sel:DWORD dst_unused:UNUSED_PAD src0_sel:DWORD src1_sel:WORD_0
	v_and_b32_e32 v4, s33, v4
	v_lshlrev_b32_e32 v4, 2, v4
	ds_read_b32 v4, v4
	v_xor_b32_e32 v5, 0xffff8000, v3
	v_mov_b32_e32 v3, 0
	s_waitcnt lgkmcnt(0)
	v_add_u32_e32 v2, v4, v2
	v_lshl_add_u64 v[2:3], v[2:3], 1, s[30:31]
	global_store_short v[2:3], v5, off
.LBB1961_77:
	s_or_b64 exec, exec, s[6:7]
	v_or_b32_e32 v2, 0x800, v10
	v_cmp_gt_u32_e64 s[4:5], s3, v2
	s_and_saveexec_b64 s[6:7], s[4:5]
	s_cbranch_execz .LBB1961_79
; %bb.78:
	v_lshlrev_b32_e32 v3, 1, v10
	ds_read_u16 v3, v3 offset:5120
	s_waitcnt lgkmcnt(0)
	v_lshrrev_b32_sdwa v4, s24, v3 dst_sel:DWORD dst_unused:UNUSED_PAD src0_sel:DWORD src1_sel:WORD_0
	v_and_b32_e32 v4, s33, v4
	v_lshlrev_b32_e32 v4, 2, v4
	ds_read_b32 v4, v4
	v_xor_b32_e32 v5, 0xffff8000, v3
	v_mov_b32_e32 v3, 0
	s_waitcnt lgkmcnt(0)
	v_add_u32_e32 v2, v4, v2
	v_lshl_add_u64 v[2:3], v[2:3], 1, s[30:31]
	global_store_short v[2:3], v5, off
.LBB1961_79:
	;; [unrolled: 20-line block ×11, first 2 shown]
	s_or_b64 exec, exec, s[6:7]
	s_add_i32 s26, s26, -1
	s_cmp_eq_u32 s26, s27
	s_cselect_b64 s[4:5], -1, 0
	s_and_b64 s[6:7], vcc, s[4:5]
	s_mov_b64 s[4:5], 0
	s_mov_b64 s[8:9], 0
                                        ; implicit-def: $vgpr2
	s_and_saveexec_b64 s[12:13], s[6:7]
	s_xor_b64 s[6:7], exec, s[12:13]
; %bb.98:
	s_mov_b64 s[8:9], exec
	v_add_u32_e32 v2, v11, v15
	v_mov_b32_e32 v11, 0
; %bb.99:
	s_or_b64 exec, exec, s[6:7]
	s_and_b64 vcc, exec, s[4:5]
	s_cbranch_vccnz .LBB1961_101
	s_branch .LBB1961_150
.LBB1961_100:
	s_mov_b64 s[8:9], 0
                                        ; implicit-def: $vgpr2
	s_cbranch_execz .LBB1961_150
.LBB1961_101:
	s_mov_b32 s35, 0
	s_load_dword s3, s[0:1], 0x64
	s_load_dword s14, s[0:1], 0x58
	s_lshl_b64 s[4:5], s[34:35], 1
	s_add_u32 s4, s28, s4
	v_mbcnt_hi_u32_b32 v4, -1, v1
	s_addc_u32 s5, s29, s5
	v_and_b32_e32 v1, 63, v4
	v_and_b32_e32 v2, 0x3c0, v10
	v_mov_b32_e32 v3, 0
	v_mul_u32_u24_e32 v5, 12, v2
	v_lshlrev_b32_e32 v2, 1, v1
	s_add_u32 s0, s0, 0x58
	v_lshl_add_u64 v[6:7], s[4:5], 0, v[2:3]
	v_lshlrev_b32_e32 v2, 1, v5
	s_addc_u32 s1, s1, 0
	s_waitcnt lgkmcnt(0)
	s_lshr_b32 s3, s3, 16
	v_lshl_add_u64 v[6:7], v[6:7], 0, v[2:3]
	s_cmp_lt_u32 s2, s14
	global_load_ushort v1, v[6:7], off
	s_cselect_b32 s2, 12, 18
	s_add_u32 s0, s0, s2
	s_addc_u32 s1, s1, 0
	global_load_ushort v8, v3, s[0:1]
	v_bfe_u32 v2, v0, 10, 10
	v_bfe_u32 v11, v0, 20, 10
	v_mul_u32_u24_e32 v0, 5, v10
	v_lshlrev_b32_e32 v5, 2, v0
	ds_write2_b32 v5, v3, v3 offset0:16 offset1:17
	ds_write2_b32 v5, v3, v3 offset0:18 offset1:19
	ds_write_b32 v5, v3 offset:80
	global_load_ushort v9, v[6:7], off offset:128
	global_load_ushort v14, v[6:7], off offset:256
	;; [unrolled: 1-line block ×11, first 2 shown]
	s_lshl_b32 s0, -1, s25
	s_not_b32 s15, s0
	v_mad_u32_u24 v7, v11, s3, v2
	v_mov_b32_e32 v0, v3
	v_mov_b32_e32 v12, v3
	;; [unrolled: 1-line block ×4, first 2 shown]
	s_waitcnt lgkmcnt(0)
	s_barrier
	s_waitcnt lgkmcnt(0)
	; wave barrier
	s_waitcnt vmcnt(12)
	v_xor_b32_e32 v6, 0xffff8000, v1
	v_lshrrev_b32_sdwa v1, s24, v6 dst_sel:DWORD dst_unused:UNUSED_PAD src0_sel:DWORD src1_sel:WORD_0
	v_and_b32_e32 v11, s15, v1
	v_and_b32_e32 v2, 1, v11
	v_lshlrev_b32_e32 v1, 30, v11
	s_waitcnt vmcnt(11)
	v_mad_u64_u32 v[30:31], s[0:1], v7, v8, v[10:11]
	v_lshlrev_b32_e32 v13, 29, v11
	v_lshlrev_b32_e32 v19, 28, v11
	v_lshl_add_u64 v[36:37], v[2:3], 0, -1
	v_cmp_ne_u32_e32 vcc, 0, v2
	v_cmp_gt_i64_e64 s[0:1], 0, v[0:1]
	v_not_b32_e32 v0, v1
	v_mul_u32_u24_e32 v15, 17, v11
	v_cmp_gt_i64_e64 s[2:3], 0, v[12:13]
	v_not_b32_e32 v1, v13
	v_cmp_gt_i64_e64 s[4:5], 0, v[18:19]
	v_lshrrev_b32_e32 v18, 6, v30
	v_xor_b32_e32 v12, vcc_hi, v37
	v_xor_b32_e32 v13, vcc_lo, v36
	v_ashrrev_i32_e32 v0, 31, v0
	v_lshlrev_b32_e32 v27, 27, v11
	v_not_b32_e32 v2, v19
	v_ashrrev_i32_e32 v1, 31, v1
	v_add_lshl_u32 v8, v18, v15, 2
	v_and_b32_e32 v12, exec_hi, v12
	v_and_b32_e32 v13, exec_lo, v13
	v_xor_b32_e32 v15, s1, v0
	v_xor_b32_e32 v0, s0, v0
	v_not_b32_e32 v7, v27
	v_ashrrev_i32_e32 v2, 31, v2
	v_xor_b32_e32 v16, s3, v1
	v_xor_b32_e32 v1, s2, v1
	v_and_b32_e32 v12, v12, v15
	v_and_b32_e32 v0, v13, v0
	v_cmp_gt_i64_e64 s[6:7], 0, v[26:27]
	v_ashrrev_i32_e32 v7, 31, v7
	v_xor_b32_e32 v19, s5, v2
	v_xor_b32_e32 v2, s4, v2
	v_and_b32_e32 v12, v12, v16
	v_and_b32_e32 v0, v0, v1
	v_xor_b32_e32 v21, s7, v7
	v_and_b32_e32 v1, v12, v19
	v_and_b32_e32 v0, v0, v2
	;; [unrolled: 3-line block ×3, first 2 shown]
	v_lshlrev_b32_e32 v1, 26, v11
	v_mov_b32_e32 v0, v3
	v_cmp_gt_i64_e32 vcc, 0, v[0:1]
	v_not_b32_e32 v0, v1
	v_ashrrev_i32_e32 v0, 31, v0
	v_xor_b32_e32 v1, vcc_hi, v0
	v_xor_b32_e32 v0, vcc_lo, v0
	v_and_b32_e32 v7, v7, v1
	v_and_b32_e32 v2, v2, v0
	v_lshlrev_b32_e32 v1, 25, v11
	v_mov_b32_e32 v0, v3
	v_cmp_gt_i64_e32 vcc, 0, v[0:1]
	v_not_b32_e32 v0, v1
	v_ashrrev_i32_e32 v0, 31, v0
	v_xor_b32_e32 v1, vcc_hi, v0
	v_xor_b32_e32 v0, vcc_lo, v0
	v_and_b32_e32 v7, v7, v1
	v_and_b32_e32 v2, v2, v0
	;; [unrolled: 9-line block ×3, first 2 shown]
	v_mbcnt_lo_u32_b32 v2, v0, 0
	v_mbcnt_hi_u32_b32 v7, v1, v2
	v_cmp_eq_u32_e32 vcc, 0, v7
	v_cmp_ne_u64_e64 s[0:1], 0, v[0:1]
	s_and_b64 s[2:3], s[0:1], vcc
	s_and_saveexec_b64 s[0:1], s[2:3]
	s_cbranch_execz .LBB1961_103
; %bb.102:
	v_bcnt_u32_b32 v0, v0, 0
	v_bcnt_u32_b32 v0, v1, v0
	ds_write_b32 v8, v0 offset:64
.LBB1961_103:
	s_or_b64 exec, exec, s[0:1]
	s_waitcnt vmcnt(10)
	v_xor_b32_e32 v9, 0xffff8000, v9
	v_lshrrev_b32_sdwa v0, s24, v9 dst_sel:DWORD dst_unused:UNUSED_PAD src0_sel:DWORD src1_sel:WORD_0
	v_and_b32_e32 v13, s15, v0
	v_mul_u32_u24_e32 v0, 17, v13
	v_and_b32_e32 v2, 1, v13
	v_add_lshl_u32 v12, v18, v0, 2
	v_lshl_add_u64 v[0:1], v[2:3], 0, -1
	v_cmp_ne_u32_e32 vcc, 0, v2
	; wave barrier
	s_nop 1
	v_xor_b32_e32 v1, vcc_hi, v1
	v_xor_b32_e32 v0, vcc_lo, v0
	v_and_b32_e32 v2, exec_hi, v1
	v_and_b32_e32 v15, exec_lo, v0
	v_lshlrev_b32_e32 v1, 30, v13
	v_mov_b32_e32 v0, v3
	v_cmp_gt_i64_e32 vcc, 0, v[0:1]
	v_not_b32_e32 v0, v1
	v_ashrrev_i32_e32 v0, 31, v0
	v_xor_b32_e32 v1, vcc_hi, v0
	v_xor_b32_e32 v0, vcc_lo, v0
	v_and_b32_e32 v2, v2, v1
	v_and_b32_e32 v15, v15, v0
	v_lshlrev_b32_e32 v1, 29, v13
	v_mov_b32_e32 v0, v3
	v_cmp_gt_i64_e32 vcc, 0, v[0:1]
	v_not_b32_e32 v0, v1
	v_ashrrev_i32_e32 v0, 31, v0
	v_xor_b32_e32 v1, vcc_hi, v0
	v_xor_b32_e32 v0, vcc_lo, v0
	v_and_b32_e32 v2, v2, v1
	v_and_b32_e32 v15, v15, v0
	;; [unrolled: 9-line block ×6, first 2 shown]
	v_lshlrev_b32_e32 v1, 24, v13
	v_mov_b32_e32 v0, v3
	v_cmp_gt_i64_e32 vcc, 0, v[0:1]
	v_not_b32_e32 v0, v1
	v_ashrrev_i32_e32 v0, 31, v0
	v_xor_b32_e32 v1, vcc_hi, v0
	v_xor_b32_e32 v0, vcc_lo, v0
	ds_read_b32 v11, v12 offset:64
	v_and_b32_e32 v0, v15, v0
	v_and_b32_e32 v1, v2, v1
	v_mbcnt_lo_u32_b32 v2, v0, 0
	v_mbcnt_hi_u32_b32 v13, v1, v2
	v_cmp_eq_u32_e32 vcc, 0, v13
	v_cmp_ne_u64_e64 s[0:1], 0, v[0:1]
	s_and_b64 s[2:3], s[0:1], vcc
	; wave barrier
	s_and_saveexec_b64 s[0:1], s[2:3]
	s_cbranch_execz .LBB1961_105
; %bb.104:
	v_bcnt_u32_b32 v0, v0, 0
	v_bcnt_u32_b32 v0, v1, v0
	s_waitcnt lgkmcnt(0)
	v_add_u32_e32 v0, v11, v0
	ds_write_b32 v12, v0 offset:64
.LBB1961_105:
	s_or_b64 exec, exec, s[0:1]
	s_waitcnt vmcnt(9)
	v_xor_b32_e32 v14, 0xffff8000, v14
	v_lshrrev_b32_sdwa v0, s24, v14 dst_sel:DWORD dst_unused:UNUSED_PAD src0_sel:DWORD src1_sel:WORD_0
	v_and_b32_e32 v19, s15, v0
	v_mul_u32_u24_e32 v0, 17, v19
	v_add_lshl_u32 v16, v18, v0, 2
	v_and_b32_e32 v0, 1, v19
	v_mov_b32_e32 v1, 0
	v_lshl_add_u64 v[2:3], v[0:1], 0, -1
	v_cmp_ne_u32_e32 vcc, 0, v0
	; wave barrier
	s_nop 1
	v_xor_b32_e32 v2, vcc_lo, v2
	v_xor_b32_e32 v0, vcc_hi, v3
	v_and_b32_e32 v21, exec_lo, v2
	v_lshlrev_b32_e32 v3, 30, v19
	v_mov_b32_e32 v2, v1
	v_cmp_gt_i64_e32 vcc, 0, v[2:3]
	v_not_b32_e32 v2, v3
	v_ashrrev_i32_e32 v2, 31, v2
	v_and_b32_e32 v0, exec_hi, v0
	v_xor_b32_e32 v3, vcc_hi, v2
	v_xor_b32_e32 v2, vcc_lo, v2
	v_and_b32_e32 v0, v0, v3
	v_and_b32_e32 v21, v21, v2
	v_lshlrev_b32_e32 v3, 29, v19
	v_mov_b32_e32 v2, v1
	v_cmp_gt_i64_e32 vcc, 0, v[2:3]
	v_not_b32_e32 v2, v3
	v_ashrrev_i32_e32 v2, 31, v2
	v_xor_b32_e32 v3, vcc_hi, v2
	v_xor_b32_e32 v2, vcc_lo, v2
	v_and_b32_e32 v0, v0, v3
	v_and_b32_e32 v21, v21, v2
	v_lshlrev_b32_e32 v3, 28, v19
	v_mov_b32_e32 v2, v1
	v_cmp_gt_i64_e32 vcc, 0, v[2:3]
	v_not_b32_e32 v2, v3
	v_ashrrev_i32_e32 v2, 31, v2
	;; [unrolled: 9-line block ×6, first 2 shown]
	v_xor_b32_e32 v3, vcc_hi, v2
	v_xor_b32_e32 v2, vcc_lo, v2
	ds_read_b32 v15, v16 offset:64
	v_and_b32_e32 v2, v21, v2
	v_and_b32_e32 v3, v0, v3
	v_mbcnt_lo_u32_b32 v0, v2, 0
	v_mbcnt_hi_u32_b32 v19, v3, v0
	v_cmp_eq_u32_e32 vcc, 0, v19
	v_cmp_ne_u64_e64 s[0:1], 0, v[2:3]
	s_and_b64 s[2:3], s[0:1], vcc
	; wave barrier
	s_and_saveexec_b64 s[0:1], s[2:3]
	s_cbranch_execz .LBB1961_107
; %bb.106:
	v_bcnt_u32_b32 v0, v2, 0
	v_bcnt_u32_b32 v0, v3, v0
	s_waitcnt lgkmcnt(0)
	v_add_u32_e32 v0, v15, v0
	ds_write_b32 v16, v0 offset:64
.LBB1961_107:
	s_or_b64 exec, exec, s[0:1]
	s_waitcnt vmcnt(8)
	v_xor_b32_e32 v20, 0xffff8000, v20
	v_lshrrev_b32_sdwa v0, s24, v20 dst_sel:DWORD dst_unused:UNUSED_PAD src0_sel:DWORD src1_sel:WORD_0
	v_and_b32_e32 v24, s15, v0
	v_mul_u32_u24_e32 v0, 17, v24
	v_add_lshl_u32 v22, v18, v0, 2
	v_and_b32_e32 v0, 1, v24
	v_lshl_add_u64 v[2:3], v[0:1], 0, -1
	v_cmp_ne_u32_e32 vcc, 0, v0
	; wave barrier
	s_nop 1
	v_xor_b32_e32 v2, vcc_lo, v2
	v_xor_b32_e32 v0, vcc_hi, v3
	v_and_b32_e32 v26, exec_lo, v2
	v_lshlrev_b32_e32 v3, 30, v24
	v_mov_b32_e32 v2, v1
	v_cmp_gt_i64_e32 vcc, 0, v[2:3]
	v_not_b32_e32 v2, v3
	v_ashrrev_i32_e32 v2, 31, v2
	v_and_b32_e32 v0, exec_hi, v0
	v_xor_b32_e32 v3, vcc_hi, v2
	v_xor_b32_e32 v2, vcc_lo, v2
	v_and_b32_e32 v0, v0, v3
	v_and_b32_e32 v26, v26, v2
	v_lshlrev_b32_e32 v3, 29, v24
	v_mov_b32_e32 v2, v1
	v_cmp_gt_i64_e32 vcc, 0, v[2:3]
	v_not_b32_e32 v2, v3
	v_ashrrev_i32_e32 v2, 31, v2
	v_xor_b32_e32 v3, vcc_hi, v2
	v_xor_b32_e32 v2, vcc_lo, v2
	v_and_b32_e32 v0, v0, v3
	v_and_b32_e32 v26, v26, v2
	v_lshlrev_b32_e32 v3, 28, v24
	v_mov_b32_e32 v2, v1
	v_cmp_gt_i64_e32 vcc, 0, v[2:3]
	v_not_b32_e32 v2, v3
	v_ashrrev_i32_e32 v2, 31, v2
	;; [unrolled: 9-line block ×5, first 2 shown]
	v_xor_b32_e32 v3, vcc_hi, v2
	v_xor_b32_e32 v2, vcc_lo, v2
	v_and_b32_e32 v0, v0, v3
	v_lshlrev_b32_e32 v3, 24, v24
	v_and_b32_e32 v26, v26, v2
	v_mov_b32_e32 v2, v1
	v_not_b32_e32 v1, v3
	v_cmp_gt_i64_e32 vcc, 0, v[2:3]
	v_ashrrev_i32_e32 v1, 31, v1
	ds_read_b32 v21, v22 offset:64
	v_xor_b32_e32 v2, vcc_hi, v1
	v_xor_b32_e32 v3, vcc_lo, v1
	v_and_b32_e32 v1, v0, v2
	v_and_b32_e32 v0, v26, v3
	v_mbcnt_lo_u32_b32 v2, v0, 0
	v_mbcnt_hi_u32_b32 v24, v1, v2
	v_cmp_eq_u32_e32 vcc, 0, v24
	v_cmp_ne_u64_e64 s[0:1], 0, v[0:1]
	s_and_b64 s[2:3], s[0:1], vcc
	; wave barrier
	s_and_saveexec_b64 s[0:1], s[2:3]
	s_cbranch_execz .LBB1961_109
; %bb.108:
	v_bcnt_u32_b32 v0, v0, 0
	v_bcnt_u32_b32 v0, v1, v0
	s_waitcnt lgkmcnt(0)
	v_add_u32_e32 v0, v21, v0
	ds_write_b32 v22, v0 offset:64
.LBB1961_109:
	s_or_b64 exec, exec, s[0:1]
	s_waitcnt vmcnt(7)
	v_xor_b32_e32 v25, 0xffff8000, v25
	v_lshrrev_b32_sdwa v0, s24, v25 dst_sel:DWORD dst_unused:UNUSED_PAD src0_sel:DWORD src1_sel:WORD_0
	v_and_b32_e32 v30, s15, v0
	v_mul_u32_u24_e32 v0, 17, v30
	v_add_lshl_u32 v27, v18, v0, 2
	v_and_b32_e32 v0, 1, v30
	v_mov_b32_e32 v1, 0
	v_lshl_add_u64 v[2:3], v[0:1], 0, -1
	v_cmp_ne_u32_e32 vcc, 0, v0
	; wave barrier
	s_nop 1
	v_xor_b32_e32 v2, vcc_lo, v2
	v_xor_b32_e32 v0, vcc_hi, v3
	v_and_b32_e32 v31, exec_lo, v2
	v_lshlrev_b32_e32 v3, 30, v30
	v_mov_b32_e32 v2, v1
	v_cmp_gt_i64_e32 vcc, 0, v[2:3]
	v_not_b32_e32 v2, v3
	v_ashrrev_i32_e32 v2, 31, v2
	v_and_b32_e32 v0, exec_hi, v0
	v_xor_b32_e32 v3, vcc_hi, v2
	v_xor_b32_e32 v2, vcc_lo, v2
	v_and_b32_e32 v0, v0, v3
	v_and_b32_e32 v31, v31, v2
	v_lshlrev_b32_e32 v3, 29, v30
	v_mov_b32_e32 v2, v1
	v_cmp_gt_i64_e32 vcc, 0, v[2:3]
	v_not_b32_e32 v2, v3
	v_ashrrev_i32_e32 v2, 31, v2
	v_xor_b32_e32 v3, vcc_hi, v2
	v_xor_b32_e32 v2, vcc_lo, v2
	v_and_b32_e32 v0, v0, v3
	v_and_b32_e32 v31, v31, v2
	v_lshlrev_b32_e32 v3, 28, v30
	v_mov_b32_e32 v2, v1
	v_cmp_gt_i64_e32 vcc, 0, v[2:3]
	v_not_b32_e32 v2, v3
	v_ashrrev_i32_e32 v2, 31, v2
	;; [unrolled: 9-line block ×6, first 2 shown]
	v_xor_b32_e32 v3, vcc_hi, v2
	v_xor_b32_e32 v2, vcc_lo, v2
	ds_read_b32 v26, v27 offset:64
	v_and_b32_e32 v2, v31, v2
	v_and_b32_e32 v3, v0, v3
	v_mbcnt_lo_u32_b32 v0, v2, 0
	v_mbcnt_hi_u32_b32 v30, v3, v0
	v_cmp_eq_u32_e32 vcc, 0, v30
	v_cmp_ne_u64_e64 s[0:1], 0, v[2:3]
	s_and_b64 s[2:3], s[0:1], vcc
	; wave barrier
	s_and_saveexec_b64 s[0:1], s[2:3]
	s_cbranch_execz .LBB1961_111
; %bb.110:
	v_bcnt_u32_b32 v0, v2, 0
	v_bcnt_u32_b32 v0, v3, v0
	s_waitcnt lgkmcnt(0)
	v_add_u32_e32 v0, v26, v0
	ds_write_b32 v27, v0 offset:64
.LBB1961_111:
	s_or_b64 exec, exec, s[0:1]
	s_waitcnt vmcnt(6)
	v_xor_b32_e32 v29, 0xffff8000, v29
	v_lshrrev_b32_sdwa v0, s24, v29 dst_sel:DWORD dst_unused:UNUSED_PAD src0_sel:DWORD src1_sel:WORD_0
	v_and_b32_e32 v35, s15, v0
	v_mul_u32_u24_e32 v0, 17, v35
	v_add_lshl_u32 v32, v18, v0, 2
	v_and_b32_e32 v0, 1, v35
	v_lshl_add_u64 v[2:3], v[0:1], 0, -1
	v_cmp_ne_u32_e32 vcc, 0, v0
	; wave barrier
	s_nop 1
	v_xor_b32_e32 v2, vcc_lo, v2
	v_xor_b32_e32 v0, vcc_hi, v3
	v_and_b32_e32 v36, exec_lo, v2
	v_lshlrev_b32_e32 v3, 30, v35
	v_mov_b32_e32 v2, v1
	v_cmp_gt_i64_e32 vcc, 0, v[2:3]
	v_not_b32_e32 v2, v3
	v_ashrrev_i32_e32 v2, 31, v2
	v_and_b32_e32 v0, exec_hi, v0
	v_xor_b32_e32 v3, vcc_hi, v2
	v_xor_b32_e32 v2, vcc_lo, v2
	v_and_b32_e32 v0, v0, v3
	v_and_b32_e32 v36, v36, v2
	v_lshlrev_b32_e32 v3, 29, v35
	v_mov_b32_e32 v2, v1
	v_cmp_gt_i64_e32 vcc, 0, v[2:3]
	v_not_b32_e32 v2, v3
	v_ashrrev_i32_e32 v2, 31, v2
	v_xor_b32_e32 v3, vcc_hi, v2
	v_xor_b32_e32 v2, vcc_lo, v2
	v_and_b32_e32 v0, v0, v3
	v_and_b32_e32 v36, v36, v2
	v_lshlrev_b32_e32 v3, 28, v35
	v_mov_b32_e32 v2, v1
	v_cmp_gt_i64_e32 vcc, 0, v[2:3]
	v_not_b32_e32 v2, v3
	v_ashrrev_i32_e32 v2, 31, v2
	;; [unrolled: 9-line block ×5, first 2 shown]
	v_xor_b32_e32 v3, vcc_hi, v2
	v_xor_b32_e32 v2, vcc_lo, v2
	v_and_b32_e32 v0, v0, v3
	v_lshlrev_b32_e32 v3, 24, v35
	v_and_b32_e32 v36, v36, v2
	v_mov_b32_e32 v2, v1
	v_not_b32_e32 v1, v3
	v_cmp_gt_i64_e32 vcc, 0, v[2:3]
	v_ashrrev_i32_e32 v1, 31, v1
	ds_read_b32 v31, v32 offset:64
	v_xor_b32_e32 v2, vcc_hi, v1
	v_xor_b32_e32 v3, vcc_lo, v1
	v_and_b32_e32 v1, v0, v2
	v_and_b32_e32 v0, v36, v3
	v_mbcnt_lo_u32_b32 v2, v0, 0
	v_mbcnt_hi_u32_b32 v35, v1, v2
	v_cmp_eq_u32_e32 vcc, 0, v35
	v_cmp_ne_u64_e64 s[0:1], 0, v[0:1]
	s_and_b64 s[2:3], s[0:1], vcc
	; wave barrier
	s_and_saveexec_b64 s[0:1], s[2:3]
	s_cbranch_execz .LBB1961_113
; %bb.112:
	v_bcnt_u32_b32 v0, v0, 0
	v_bcnt_u32_b32 v0, v1, v0
	s_waitcnt lgkmcnt(0)
	v_add_u32_e32 v0, v31, v0
	ds_write_b32 v32, v0 offset:64
.LBB1961_113:
	s_or_b64 exec, exec, s[0:1]
	s_waitcnt vmcnt(5)
	v_xor_b32_e32 v34, 0xffff8000, v34
	v_lshrrev_b32_sdwa v0, s24, v34 dst_sel:DWORD dst_unused:UNUSED_PAD src0_sel:DWORD src1_sel:WORD_0
	v_and_b32_e32 v39, s15, v0
	v_mul_u32_u24_e32 v0, 17, v39
	v_add_lshl_u32 v37, v18, v0, 2
	v_and_b32_e32 v0, 1, v39
	v_mov_b32_e32 v1, 0
	v_lshl_add_u64 v[2:3], v[0:1], 0, -1
	v_cmp_ne_u32_e32 vcc, 0, v0
	; wave barrier
	s_nop 1
	v_xor_b32_e32 v2, vcc_lo, v2
	v_xor_b32_e32 v0, vcc_hi, v3
	v_and_b32_e32 v40, exec_lo, v2
	v_lshlrev_b32_e32 v3, 30, v39
	v_mov_b32_e32 v2, v1
	v_cmp_gt_i64_e32 vcc, 0, v[2:3]
	v_not_b32_e32 v2, v3
	v_ashrrev_i32_e32 v2, 31, v2
	v_and_b32_e32 v0, exec_hi, v0
	v_xor_b32_e32 v3, vcc_hi, v2
	v_xor_b32_e32 v2, vcc_lo, v2
	v_and_b32_e32 v0, v0, v3
	v_and_b32_e32 v40, v40, v2
	v_lshlrev_b32_e32 v3, 29, v39
	v_mov_b32_e32 v2, v1
	v_cmp_gt_i64_e32 vcc, 0, v[2:3]
	v_not_b32_e32 v2, v3
	v_ashrrev_i32_e32 v2, 31, v2
	v_xor_b32_e32 v3, vcc_hi, v2
	v_xor_b32_e32 v2, vcc_lo, v2
	v_and_b32_e32 v0, v0, v3
	v_and_b32_e32 v40, v40, v2
	v_lshlrev_b32_e32 v3, 28, v39
	v_mov_b32_e32 v2, v1
	v_cmp_gt_i64_e32 vcc, 0, v[2:3]
	v_not_b32_e32 v2, v3
	v_ashrrev_i32_e32 v2, 31, v2
	;; [unrolled: 9-line block ×6, first 2 shown]
	v_xor_b32_e32 v3, vcc_hi, v2
	v_xor_b32_e32 v2, vcc_lo, v2
	ds_read_b32 v36, v37 offset:64
	v_and_b32_e32 v2, v40, v2
	v_and_b32_e32 v3, v0, v3
	v_mbcnt_lo_u32_b32 v0, v2, 0
	v_mbcnt_hi_u32_b32 v39, v3, v0
	v_cmp_eq_u32_e32 vcc, 0, v39
	v_cmp_ne_u64_e64 s[0:1], 0, v[2:3]
	s_and_b64 s[2:3], s[0:1], vcc
	; wave barrier
	s_and_saveexec_b64 s[0:1], s[2:3]
	s_cbranch_execz .LBB1961_115
; %bb.114:
	v_bcnt_u32_b32 v0, v2, 0
	v_bcnt_u32_b32 v0, v3, v0
	s_waitcnt lgkmcnt(0)
	v_add_u32_e32 v0, v36, v0
	ds_write_b32 v37, v0 offset:64
.LBB1961_115:
	s_or_b64 exec, exec, s[0:1]
	s_waitcnt vmcnt(4)
	v_xor_b32_e32 v38, 0xffff8000, v38
	v_lshrrev_b32_sdwa v0, s24, v38 dst_sel:DWORD dst_unused:UNUSED_PAD src0_sel:DWORD src1_sel:WORD_0
	v_and_b32_e32 v42, s15, v0
	v_mul_u32_u24_e32 v0, 17, v42
	v_add_lshl_u32 v41, v18, v0, 2
	v_and_b32_e32 v0, 1, v42
	v_lshl_add_u64 v[2:3], v[0:1], 0, -1
	v_cmp_ne_u32_e32 vcc, 0, v0
	; wave barrier
	s_nop 1
	v_xor_b32_e32 v2, vcc_lo, v2
	v_xor_b32_e32 v0, vcc_hi, v3
	v_and_b32_e32 v43, exec_lo, v2
	v_lshlrev_b32_e32 v3, 30, v42
	v_mov_b32_e32 v2, v1
	v_cmp_gt_i64_e32 vcc, 0, v[2:3]
	v_not_b32_e32 v2, v3
	v_ashrrev_i32_e32 v2, 31, v2
	v_and_b32_e32 v0, exec_hi, v0
	v_xor_b32_e32 v3, vcc_hi, v2
	v_xor_b32_e32 v2, vcc_lo, v2
	v_and_b32_e32 v0, v0, v3
	v_and_b32_e32 v43, v43, v2
	v_lshlrev_b32_e32 v3, 29, v42
	v_mov_b32_e32 v2, v1
	v_cmp_gt_i64_e32 vcc, 0, v[2:3]
	v_not_b32_e32 v2, v3
	v_ashrrev_i32_e32 v2, 31, v2
	v_xor_b32_e32 v3, vcc_hi, v2
	v_xor_b32_e32 v2, vcc_lo, v2
	v_and_b32_e32 v0, v0, v3
	v_and_b32_e32 v43, v43, v2
	v_lshlrev_b32_e32 v3, 28, v42
	v_mov_b32_e32 v2, v1
	v_cmp_gt_i64_e32 vcc, 0, v[2:3]
	v_not_b32_e32 v2, v3
	v_ashrrev_i32_e32 v2, 31, v2
	;; [unrolled: 9-line block ×5, first 2 shown]
	v_xor_b32_e32 v3, vcc_hi, v2
	v_xor_b32_e32 v2, vcc_lo, v2
	v_and_b32_e32 v0, v0, v3
	v_lshlrev_b32_e32 v3, 24, v42
	v_and_b32_e32 v43, v43, v2
	v_mov_b32_e32 v2, v1
	v_not_b32_e32 v1, v3
	v_cmp_gt_i64_e32 vcc, 0, v[2:3]
	v_ashrrev_i32_e32 v1, 31, v1
	ds_read_b32 v40, v41 offset:64
	v_xor_b32_e32 v2, vcc_hi, v1
	v_xor_b32_e32 v3, vcc_lo, v1
	v_and_b32_e32 v1, v0, v2
	v_and_b32_e32 v0, v43, v3
	v_mbcnt_lo_u32_b32 v2, v0, 0
	v_mbcnt_hi_u32_b32 v42, v1, v2
	v_cmp_eq_u32_e32 vcc, 0, v42
	v_cmp_ne_u64_e64 s[0:1], 0, v[0:1]
	s_and_b64 s[2:3], s[0:1], vcc
	; wave barrier
	s_and_saveexec_b64 s[0:1], s[2:3]
	s_cbranch_execz .LBB1961_117
; %bb.116:
	v_bcnt_u32_b32 v0, v0, 0
	v_bcnt_u32_b32 v0, v1, v0
	s_waitcnt lgkmcnt(0)
	v_add_u32_e32 v0, v40, v0
	ds_write_b32 v41, v0 offset:64
.LBB1961_117:
	s_or_b64 exec, exec, s[0:1]
	s_waitcnt vmcnt(3)
	v_xor_b32_e32 v33, 0xffff8000, v33
	v_lshrrev_b32_sdwa v0, s24, v33 dst_sel:DWORD dst_unused:UNUSED_PAD src0_sel:DWORD src1_sel:WORD_0
	v_and_b32_e32 v45, s15, v0
	v_mul_u32_u24_e32 v0, 17, v45
	v_add_lshl_u32 v44, v18, v0, 2
	v_and_b32_e32 v0, 1, v45
	v_mov_b32_e32 v1, 0
	v_lshl_add_u64 v[2:3], v[0:1], 0, -1
	v_cmp_ne_u32_e32 vcc, 0, v0
	; wave barrier
	s_nop 1
	v_xor_b32_e32 v2, vcc_lo, v2
	v_xor_b32_e32 v0, vcc_hi, v3
	v_and_b32_e32 v46, exec_lo, v2
	v_lshlrev_b32_e32 v3, 30, v45
	v_mov_b32_e32 v2, v1
	v_cmp_gt_i64_e32 vcc, 0, v[2:3]
	v_not_b32_e32 v2, v3
	v_ashrrev_i32_e32 v2, 31, v2
	v_and_b32_e32 v0, exec_hi, v0
	v_xor_b32_e32 v3, vcc_hi, v2
	v_xor_b32_e32 v2, vcc_lo, v2
	v_and_b32_e32 v0, v0, v3
	v_and_b32_e32 v46, v46, v2
	v_lshlrev_b32_e32 v3, 29, v45
	v_mov_b32_e32 v2, v1
	v_cmp_gt_i64_e32 vcc, 0, v[2:3]
	v_not_b32_e32 v2, v3
	v_ashrrev_i32_e32 v2, 31, v2
	v_xor_b32_e32 v3, vcc_hi, v2
	v_xor_b32_e32 v2, vcc_lo, v2
	v_and_b32_e32 v0, v0, v3
	v_and_b32_e32 v46, v46, v2
	v_lshlrev_b32_e32 v3, 28, v45
	v_mov_b32_e32 v2, v1
	v_cmp_gt_i64_e32 vcc, 0, v[2:3]
	v_not_b32_e32 v2, v3
	v_ashrrev_i32_e32 v2, 31, v2
	;; [unrolled: 9-line block ×6, first 2 shown]
	v_xor_b32_e32 v3, vcc_hi, v2
	v_xor_b32_e32 v2, vcc_lo, v2
	ds_read_b32 v43, v44 offset:64
	v_and_b32_e32 v2, v46, v2
	v_and_b32_e32 v3, v0, v3
	v_mbcnt_lo_u32_b32 v0, v2, 0
	v_mbcnt_hi_u32_b32 v45, v3, v0
	v_cmp_eq_u32_e32 vcc, 0, v45
	v_cmp_ne_u64_e64 s[0:1], 0, v[2:3]
	s_and_b64 s[2:3], s[0:1], vcc
	; wave barrier
	s_and_saveexec_b64 s[0:1], s[2:3]
	s_cbranch_execz .LBB1961_119
; %bb.118:
	v_bcnt_u32_b32 v0, v2, 0
	v_bcnt_u32_b32 v0, v3, v0
	s_waitcnt lgkmcnt(0)
	v_add_u32_e32 v0, v43, v0
	ds_write_b32 v44, v0 offset:64
.LBB1961_119:
	s_or_b64 exec, exec, s[0:1]
	s_waitcnt vmcnt(2)
	v_xor_b32_e32 v28, 0xffff8000, v28
	v_lshrrev_b32_sdwa v0, s24, v28 dst_sel:DWORD dst_unused:UNUSED_PAD src0_sel:DWORD src1_sel:WORD_0
	v_and_b32_e32 v48, s15, v0
	v_mul_u32_u24_e32 v0, 17, v48
	v_add_lshl_u32 v47, v18, v0, 2
	v_and_b32_e32 v0, 1, v48
	v_lshl_add_u64 v[2:3], v[0:1], 0, -1
	v_cmp_ne_u32_e32 vcc, 0, v0
	; wave barrier
	s_nop 1
	v_xor_b32_e32 v2, vcc_lo, v2
	v_xor_b32_e32 v0, vcc_hi, v3
	v_and_b32_e32 v49, exec_lo, v2
	v_lshlrev_b32_e32 v3, 30, v48
	v_mov_b32_e32 v2, v1
	v_cmp_gt_i64_e32 vcc, 0, v[2:3]
	v_not_b32_e32 v2, v3
	v_ashrrev_i32_e32 v2, 31, v2
	v_and_b32_e32 v0, exec_hi, v0
	v_xor_b32_e32 v3, vcc_hi, v2
	v_xor_b32_e32 v2, vcc_lo, v2
	v_and_b32_e32 v0, v0, v3
	v_and_b32_e32 v49, v49, v2
	v_lshlrev_b32_e32 v3, 29, v48
	v_mov_b32_e32 v2, v1
	v_cmp_gt_i64_e32 vcc, 0, v[2:3]
	v_not_b32_e32 v2, v3
	v_ashrrev_i32_e32 v2, 31, v2
	v_xor_b32_e32 v3, vcc_hi, v2
	v_xor_b32_e32 v2, vcc_lo, v2
	v_and_b32_e32 v0, v0, v3
	v_and_b32_e32 v49, v49, v2
	v_lshlrev_b32_e32 v3, 28, v48
	v_mov_b32_e32 v2, v1
	v_cmp_gt_i64_e32 vcc, 0, v[2:3]
	v_not_b32_e32 v2, v3
	v_ashrrev_i32_e32 v2, 31, v2
	v_xor_b32_e32 v3, vcc_hi, v2
	v_xor_b32_e32 v2, vcc_lo, v2
	v_and_b32_e32 v0, v0, v3
	v_and_b32_e32 v49, v49, v2
	v_lshlrev_b32_e32 v3, 27, v48
	v_mov_b32_e32 v2, v1
	v_cmp_gt_i64_e32 vcc, 0, v[2:3]
	v_not_b32_e32 v2, v3
	v_ashrrev_i32_e32 v2, 31, v2
	v_xor_b32_e32 v3, vcc_hi, v2
	v_xor_b32_e32 v2, vcc_lo, v2
	v_and_b32_e32 v0, v0, v3
	v_and_b32_e32 v49, v49, v2
	v_lshlrev_b32_e32 v3, 26, v48
	v_mov_b32_e32 v2, v1
	v_cmp_gt_i64_e32 vcc, 0, v[2:3]
	v_not_b32_e32 v2, v3
	v_ashrrev_i32_e32 v2, 31, v2
	v_xor_b32_e32 v3, vcc_hi, v2
	v_xor_b32_e32 v2, vcc_lo, v2
	v_and_b32_e32 v0, v0, v3
	v_and_b32_e32 v49, v49, v2
	v_lshlrev_b32_e32 v3, 25, v48
	v_mov_b32_e32 v2, v1
	v_cmp_gt_i64_e32 vcc, 0, v[2:3]
	v_not_b32_e32 v2, v3
	v_ashrrev_i32_e32 v2, 31, v2
	v_xor_b32_e32 v3, vcc_hi, v2
	v_xor_b32_e32 v2, vcc_lo, v2
	v_and_b32_e32 v0, v0, v3
	v_lshlrev_b32_e32 v3, 24, v48
	v_and_b32_e32 v49, v49, v2
	v_mov_b32_e32 v2, v1
	v_not_b32_e32 v1, v3
	v_cmp_gt_i64_e32 vcc, 0, v[2:3]
	v_ashrrev_i32_e32 v1, 31, v1
	ds_read_b32 v46, v47 offset:64
	v_xor_b32_e32 v2, vcc_hi, v1
	v_xor_b32_e32 v3, vcc_lo, v1
	v_and_b32_e32 v1, v0, v2
	v_and_b32_e32 v0, v49, v3
	v_mbcnt_lo_u32_b32 v2, v0, 0
	v_mbcnt_hi_u32_b32 v48, v1, v2
	v_cmp_eq_u32_e32 vcc, 0, v48
	v_cmp_ne_u64_e64 s[0:1], 0, v[0:1]
	s_and_b64 s[2:3], s[0:1], vcc
	; wave barrier
	s_and_saveexec_b64 s[0:1], s[2:3]
	s_cbranch_execz .LBB1961_121
; %bb.120:
	v_bcnt_u32_b32 v0, v0, 0
	v_bcnt_u32_b32 v0, v1, v0
	s_waitcnt lgkmcnt(0)
	v_add_u32_e32 v0, v46, v0
	ds_write_b32 v47, v0 offset:64
.LBB1961_121:
	s_or_b64 exec, exec, s[0:1]
	s_waitcnt vmcnt(1)
	v_xor_b32_e32 v23, 0xffff8000, v23
	v_lshrrev_b32_sdwa v0, s24, v23 dst_sel:DWORD dst_unused:UNUSED_PAD src0_sel:DWORD src1_sel:WORD_0
	v_and_b32_e32 v51, s15, v0
	v_mul_u32_u24_e32 v0, 17, v51
	v_add_lshl_u32 v50, v18, v0, 2
	v_and_b32_e32 v0, 1, v51
	v_mov_b32_e32 v1, 0
	v_lshl_add_u64 v[2:3], v[0:1], 0, -1
	v_cmp_ne_u32_e32 vcc, 0, v0
	; wave barrier
	s_nop 1
	v_xor_b32_e32 v2, vcc_lo, v2
	v_xor_b32_e32 v0, vcc_hi, v3
	v_and_b32_e32 v52, exec_lo, v2
	v_lshlrev_b32_e32 v3, 30, v51
	v_mov_b32_e32 v2, v1
	v_cmp_gt_i64_e32 vcc, 0, v[2:3]
	v_not_b32_e32 v2, v3
	v_ashrrev_i32_e32 v2, 31, v2
	v_and_b32_e32 v0, exec_hi, v0
	v_xor_b32_e32 v3, vcc_hi, v2
	v_xor_b32_e32 v2, vcc_lo, v2
	v_and_b32_e32 v0, v0, v3
	v_and_b32_e32 v52, v52, v2
	v_lshlrev_b32_e32 v3, 29, v51
	v_mov_b32_e32 v2, v1
	v_cmp_gt_i64_e32 vcc, 0, v[2:3]
	v_not_b32_e32 v2, v3
	v_ashrrev_i32_e32 v2, 31, v2
	v_xor_b32_e32 v3, vcc_hi, v2
	v_xor_b32_e32 v2, vcc_lo, v2
	v_and_b32_e32 v0, v0, v3
	v_and_b32_e32 v52, v52, v2
	v_lshlrev_b32_e32 v3, 28, v51
	v_mov_b32_e32 v2, v1
	v_cmp_gt_i64_e32 vcc, 0, v[2:3]
	v_not_b32_e32 v2, v3
	v_ashrrev_i32_e32 v2, 31, v2
	;; [unrolled: 9-line block ×6, first 2 shown]
	v_xor_b32_e32 v3, vcc_hi, v2
	v_xor_b32_e32 v2, vcc_lo, v2
	ds_read_b32 v49, v50 offset:64
	v_and_b32_e32 v2, v52, v2
	v_and_b32_e32 v3, v0, v3
	v_mbcnt_lo_u32_b32 v0, v2, 0
	v_mbcnt_hi_u32_b32 v51, v3, v0
	v_cmp_eq_u32_e32 vcc, 0, v51
	v_cmp_ne_u64_e64 s[0:1], 0, v[2:3]
	s_and_b64 s[2:3], s[0:1], vcc
	; wave barrier
	s_and_saveexec_b64 s[0:1], s[2:3]
	s_cbranch_execz .LBB1961_123
; %bb.122:
	v_bcnt_u32_b32 v0, v2, 0
	v_bcnt_u32_b32 v0, v3, v0
	s_waitcnt lgkmcnt(0)
	v_add_u32_e32 v0, v49, v0
	ds_write_b32 v50, v0 offset:64
.LBB1961_123:
	s_or_b64 exec, exec, s[0:1]
	s_waitcnt vmcnt(0)
	v_xor_b32_e32 v17, 0xffff8000, v17
	v_lshrrev_b32_sdwa v0, s24, v17 dst_sel:DWORD dst_unused:UNUSED_PAD src0_sel:DWORD src1_sel:WORD_0
	v_and_b32_e32 v55, s15, v0
	v_mul_u32_u24_e32 v0, 17, v55
	v_add_lshl_u32 v53, v18, v0, 2
	v_and_b32_e32 v0, 1, v55
	v_lshl_add_u64 v[2:3], v[0:1], 0, -1
	v_cmp_ne_u32_e32 vcc, 0, v0
	; wave barrier
	s_nop 1
	v_xor_b32_e32 v2, vcc_lo, v2
	v_xor_b32_e32 v0, vcc_hi, v3
	v_and_b32_e32 v18, exec_lo, v2
	v_lshlrev_b32_e32 v3, 30, v55
	v_mov_b32_e32 v2, v1
	v_cmp_gt_i64_e32 vcc, 0, v[2:3]
	v_not_b32_e32 v2, v3
	v_ashrrev_i32_e32 v2, 31, v2
	v_and_b32_e32 v0, exec_hi, v0
	v_xor_b32_e32 v3, vcc_hi, v2
	v_xor_b32_e32 v2, vcc_lo, v2
	v_and_b32_e32 v0, v0, v3
	v_and_b32_e32 v18, v18, v2
	v_lshlrev_b32_e32 v3, 29, v55
	v_mov_b32_e32 v2, v1
	v_cmp_gt_i64_e32 vcc, 0, v[2:3]
	v_not_b32_e32 v2, v3
	v_ashrrev_i32_e32 v2, 31, v2
	v_xor_b32_e32 v3, vcc_hi, v2
	v_xor_b32_e32 v2, vcc_lo, v2
	v_and_b32_e32 v0, v0, v3
	v_and_b32_e32 v18, v18, v2
	v_lshlrev_b32_e32 v3, 28, v55
	v_mov_b32_e32 v2, v1
	v_cmp_gt_i64_e32 vcc, 0, v[2:3]
	v_not_b32_e32 v2, v3
	v_ashrrev_i32_e32 v2, 31, v2
	;; [unrolled: 9-line block ×5, first 2 shown]
	v_xor_b32_e32 v3, vcc_hi, v2
	v_xor_b32_e32 v2, vcc_lo, v2
	v_and_b32_e32 v0, v0, v3
	v_lshlrev_b32_e32 v3, 24, v55
	v_and_b32_e32 v18, v18, v2
	v_mov_b32_e32 v2, v1
	v_not_b32_e32 v1, v3
	v_cmp_gt_i64_e32 vcc, 0, v[2:3]
	v_ashrrev_i32_e32 v1, 31, v1
	ds_read_b32 v52, v53 offset:64
	v_xor_b32_e32 v2, vcc_hi, v1
	v_xor_b32_e32 v3, vcc_lo, v1
	v_and_b32_e32 v1, v0, v2
	v_and_b32_e32 v0, v18, v3
	v_mbcnt_lo_u32_b32 v2, v0, 0
	v_mbcnt_hi_u32_b32 v55, v1, v2
	v_cmp_eq_u32_e32 vcc, 0, v55
	v_cmp_ne_u64_e64 s[0:1], 0, v[0:1]
	v_add_u32_e32 v54, 64, v5
	s_and_b64 s[2:3], s[0:1], vcc
	; wave barrier
	s_and_saveexec_b64 s[0:1], s[2:3]
	s_cbranch_execz .LBB1961_125
; %bb.124:
	v_bcnt_u32_b32 v0, v0, 0
	v_bcnt_u32_b32 v0, v1, v0
	s_waitcnt lgkmcnt(0)
	v_add_u32_e32 v0, v52, v0
	ds_write_b32 v53, v0 offset:64
.LBB1961_125:
	s_or_b64 exec, exec, s[0:1]
	; wave barrier
	s_waitcnt lgkmcnt(0)
	s_barrier
	ds_read2_b32 v[2:3], v5 offset0:16 offset1:17
	ds_read2_b32 v[0:1], v54 offset0:2 offset1:3
	ds_read_b32 v18, v54 offset:16
	v_cmp_lt_u32_e64 s[2:3], 31, v4
	s_waitcnt lgkmcnt(1)
	v_add3_u32 v56, v3, v2, v0
	s_waitcnt lgkmcnt(0)
	v_add3_u32 v18, v56, v1, v18
	v_and_b32_e32 v56, 15, v4
	v_cmp_eq_u32_e32 vcc, 0, v56
	v_mov_b32_dpp v57, v18 row_shr:1 row_mask:0xf bank_mask:0xf
	v_cmp_lt_u32_e64 s[0:1], 1, v56
	v_cndmask_b32_e64 v57, v57, 0, vcc
	v_add_u32_e32 v18, v57, v18
	v_cmp_lt_u32_e64 s[4:5], 3, v56
	v_cmp_lt_u32_e64 s[6:7], 7, v56
	v_mov_b32_dpp v57, v18 row_shr:2 row_mask:0xf bank_mask:0xf
	v_cndmask_b32_e64 v57, 0, v57, s[0:1]
	v_add_u32_e32 v18, v18, v57
	s_nop 1
	v_mov_b32_dpp v57, v18 row_shr:4 row_mask:0xf bank_mask:0xf
	v_cndmask_b32_e64 v57, 0, v57, s[4:5]
	v_add_u32_e32 v18, v18, v57
	s_nop 1
	v_mov_b32_dpp v57, v18 row_shr:8 row_mask:0xf bank_mask:0xf
	v_cndmask_b32_e64 v56, 0, v57, s[6:7]
	v_add_u32_e32 v18, v18, v56
	v_bfe_i32 v57, v4, 4, 1
	s_nop 0
	v_mov_b32_dpp v56, v18 row_bcast:15 row_mask:0xf bank_mask:0xf
	v_and_b32_e32 v56, v57, v56
	v_add_u32_e32 v18, v18, v56
	v_lshrrev_b32_e32 v57, 6, v10
	s_nop 0
	v_mov_b32_dpp v56, v18 row_bcast:31 row_mask:0xf bank_mask:0xf
	v_cndmask_b32_e64 v56, 0, v56, s[2:3]
	v_add_u32_e32 v56, v18, v56
	v_and_b32_e32 v18, 63, v10
	v_cmp_eq_u32_e64 s[2:3], 63, v18
	s_and_saveexec_b64 s[12:13], s[2:3]
	s_cbranch_execz .LBB1961_127
; %bb.126:
	v_lshlrev_b32_e32 v18, 2, v57
	ds_write_b32 v18, v56
.LBB1961_127:
	s_or_b64 exec, exec, s[12:13]
	v_cmp_gt_u32_e64 s[2:3], 16, v10
	v_lshlrev_b32_e32 v18, 2, v10
	s_waitcnt lgkmcnt(0)
	s_barrier
	s_and_saveexec_b64 s[12:13], s[2:3]
	s_cbranch_execz .LBB1961_129
; %bb.128:
	ds_read_b32 v58, v18
	s_waitcnt lgkmcnt(0)
	s_nop 0
	v_mov_b32_dpp v59, v58 row_shr:1 row_mask:0xf bank_mask:0xf
	v_cndmask_b32_e64 v59, v59, 0, vcc
	v_add_u32_e32 v58, v59, v58
	s_nop 1
	v_mov_b32_dpp v59, v58 row_shr:2 row_mask:0xf bank_mask:0xf
	v_cndmask_b32_e64 v59, 0, v59, s[0:1]
	v_add_u32_e32 v58, v58, v59
	s_nop 1
	v_mov_b32_dpp v59, v58 row_shr:4 row_mask:0xf bank_mask:0xf
	v_cndmask_b32_e64 v59, 0, v59, s[4:5]
	;; [unrolled: 4-line block ×3, first 2 shown]
	v_add_u32_e32 v58, v58, v59
	ds_write_b32 v18, v58
.LBB1961_129:
	s_or_b64 exec, exec, s[12:13]
	v_cmp_lt_u32_e32 vcc, 63, v10
	v_mov_b32_e32 v58, 0
	s_waitcnt lgkmcnt(0)
	s_barrier
	s_and_saveexec_b64 s[0:1], vcc
	s_cbranch_execz .LBB1961_131
; %bb.130:
	v_lshl_add_u32 v57, v57, 2, -4
	ds_read_b32 v58, v57
.LBB1961_131:
	s_or_b64 exec, exec, s[0:1]
	v_add_u32_e32 v57, -1, v4
	v_and_b32_e32 v59, 64, v4
	v_cmp_lt_i32_e32 vcc, v57, v59
	s_waitcnt lgkmcnt(0)
	v_add_u32_e32 v56, v58, v56
	s_movk_i32 s2, 0xff
	v_cndmask_b32_e32 v57, v57, v4, vcc
	v_lshlrev_b32_e32 v57, 2, v57
	ds_bpermute_b32 v56, v57, v56
	v_cmp_eq_u32_e32 vcc, 0, v4
	s_movk_i32 s3, 0x100
	v_cmp_lt_u32_e64 s[0:1], s2, v10
	s_waitcnt lgkmcnt(0)
	v_cndmask_b32_e32 v4, v56, v58, vcc
	v_cndmask_b32_e64 v4, v4, 0, s[10:11]
	v_add_u32_e32 v2, v4, v2
	v_add_u32_e32 v3, v2, v3
	;; [unrolled: 1-line block ×4, first 2 shown]
	ds_write2_b32 v5, v4, v2 offset0:16 offset1:17
	ds_write2_b32 v54, v3, v0 offset0:2 offset1:3
	ds_write_b32 v54, v1 offset:16
	s_waitcnt lgkmcnt(0)
	s_barrier
	ds_read_b32 v58, v8 offset:64
	ds_read_b32 v57, v12 offset:64
	;; [unrolled: 1-line block ×12, first 2 shown]
	v_cmp_gt_u32_e32 vcc, s3, v10
                                        ; implicit-def: $vgpr8
                                        ; implicit-def: $vgpr12
	s_and_saveexec_b64 s[4:5], vcc
	s_cbranch_execz .LBB1961_135
; %bb.132:
	v_mul_u32_u24_e32 v8, 17, v10
	v_lshlrev_b32_e32 v27, 2, v8
	ds_read_b32 v8, v27 offset:64
	v_cmp_ne_u32_e64 s[2:3], s2, v10
	v_mov_b32_e32 v12, 0x3000
	s_and_saveexec_b64 s[6:7], s[2:3]
	s_cbranch_execz .LBB1961_134
; %bb.133:
	ds_read_b32 v12, v27 offset:132
.LBB1961_134:
	s_or_b64 exec, exec, s[6:7]
	s_waitcnt lgkmcnt(0)
	v_sub_u32_e32 v12, v12, v8
.LBB1961_135:
	s_or_b64 exec, exec, s[4:5]
	v_add_u32_e32 v11, v13, v11
	s_waitcnt lgkmcnt(11)
	v_add_lshl_u32 v7, v58, v7, 1
	v_add_u32_e32 v15, v19, v15
	s_waitcnt lgkmcnt(0)
	s_barrier
	ds_write_b16 v7, v6 offset:1024
	v_add_lshl_u32 v6, v11, v57, 1
	v_add_u32_e32 v21, v24, v21
	ds_write_b16 v6, v9 offset:1024
	v_add_lshl_u32 v6, v15, v56, 1
	v_add_u32_e32 v26, v30, v26
	;; [unrolled: 3-line block ×3, first 2 shown]
	v_add_u32_e32 v32, v51, v49
	v_add_u32_e32 v37, v48, v46
	;; [unrolled: 1-line block ×6, first 2 shown]
	ds_write_b16 v6, v20 offset:1024
	v_add_lshl_u32 v6, v26, v22, 1
	ds_write_b16 v6, v25 offset:1024
	v_add_lshl_u32 v6, v31, v16, 1
	v_add_lshl_u32 v5, v36, v5, 1
	;; [unrolled: 1-line block ×7, first 2 shown]
	ds_write_b16 v6, v29 offset:1024
	ds_write_b16 v5, v34 offset:1024
	;; [unrolled: 1-line block ×7, first 2 shown]
	s_and_saveexec_b64 s[2:3], s[0:1]
	s_xor_b64 s[0:1], exec, s[2:3]
; %bb.136:
	v_mov_b32_e32 v11, 0
                                        ; implicit-def: $vgpr18
; %bb.137:
	s_andn2_saveexec_b64 s[2:3], s[0:1]
	s_cbranch_execz .LBB1961_147
; %bb.138:
	v_lshl_or_b32 v2, s27, 8, v10
	v_mov_b32_e32 v3, 0
	v_lshl_add_u64 v[0:1], v[2:3], 2, s[18:19]
	v_or_b32_e32 v2, 2.0, v12
	s_mov_b64 s[4:5], 0
	s_brev_b32 s12, 1
	s_mov_b32 s13, s27
	v_mov_b32_e32 v6, 0
	global_store_dword v[0:1], v2, off sc1
                                        ; implicit-def: $sgpr0_sgpr1
	s_branch .LBB1961_141
.LBB1961_139:                           ;   in Loop: Header=BB1961_141 Depth=1
	s_or_b64 exec, exec, s[10:11]
.LBB1961_140:                           ;   in Loop: Header=BB1961_141 Depth=1
	s_or_b64 exec, exec, s[6:7]
	v_and_b32_e32 v4, 0x3fffffff, v7
	v_add_u32_e32 v6, v4, v6
	v_cmp_eq_u32_e64 s[0:1], s12, v2
	s_and_b64 s[6:7], exec, s[0:1]
	s_or_b64 s[4:5], s[6:7], s[4:5]
	s_andn2_b64 exec, exec, s[4:5]
	s_cbranch_execz .LBB1961_146
.LBB1961_141:                           ; =>This Loop Header: Depth=1
                                        ;     Child Loop BB1961_144 Depth 2
	s_or_b64 s[0:1], s[0:1], exec
	s_cmp_eq_u32 s13, 0
	s_cbranch_scc1 .LBB1961_145
; %bb.142:                              ;   in Loop: Header=BB1961_141 Depth=1
	s_add_i32 s13, s13, -1
	v_lshl_or_b32 v2, s13, 8, v10
	v_lshl_add_u64 v[4:5], v[2:3], 2, s[18:19]
	global_load_dword v7, v[4:5], off sc1
	s_waitcnt vmcnt(0)
	v_and_b32_e32 v2, -2.0, v7
	v_cmp_eq_u32_e64 s[0:1], 0, v2
	s_and_saveexec_b64 s[6:7], s[0:1]
	s_cbranch_execz .LBB1961_140
; %bb.143:                              ;   in Loop: Header=BB1961_141 Depth=1
	s_mov_b64 s[10:11], 0
.LBB1961_144:                           ;   Parent Loop BB1961_141 Depth=1
                                        ; =>  This Inner Loop Header: Depth=2
	global_load_dword v7, v[4:5], off sc1
	s_waitcnt vmcnt(0)
	v_and_b32_e32 v2, -2.0, v7
	v_cmp_ne_u32_e64 s[0:1], 0, v2
	s_or_b64 s[10:11], s[0:1], s[10:11]
	s_andn2_b64 exec, exec, s[10:11]
	s_cbranch_execnz .LBB1961_144
	s_branch .LBB1961_139
.LBB1961_145:                           ;   in Loop: Header=BB1961_141 Depth=1
                                        ; implicit-def: $sgpr13
	s_and_b64 s[6:7], exec, s[0:1]
	s_or_b64 s[4:5], s[6:7], s[4:5]
	s_andn2_b64 exec, exec, s[4:5]
	s_cbranch_execnz .LBB1961_141
.LBB1961_146:
	s_or_b64 exec, exec, s[4:5]
	v_add_u32_e32 v2, v6, v12
	v_or_b32_e32 v2, 0x80000000, v2
	global_store_dword v[0:1], v2, off sc1
	global_load_dword v0, v18, s[20:21]
	v_sub_u32_e32 v1, v6, v8
	v_mov_b32_e32 v11, 0
	s_waitcnt vmcnt(0)
	v_add_u32_e32 v0, v1, v0
	ds_write_b32 v18, v0
.LBB1961_147:
	s_or_b64 exec, exec, s[2:3]
	v_lshlrev_b32_e32 v0, 1, v10
	s_waitcnt lgkmcnt(0)
	s_barrier
	v_lshlrev_b32_e32 v1, 1, v10
	ds_read_u16 v0, v0 offset:1024
	ds_read_u16 v4, v1 offset:3072
	;; [unrolled: 1-line block ×7, first 2 shown]
	s_waitcnt lgkmcnt(6)
	v_lshrrev_b32_sdwa v2, s24, v0 dst_sel:DWORD dst_unused:UNUSED_PAD src0_sel:DWORD src1_sel:WORD_0
	v_and_b32_e32 v2, s15, v2
	s_waitcnt lgkmcnt(4)
	v_lshrrev_b32_sdwa v3, s24, v5 dst_sel:DWORD dst_unused:UNUSED_PAD src0_sel:DWORD src1_sel:WORD_0
	v_xor_b32_e32 v14, 0xffff8000, v0
	v_lshlrev_b32_e32 v0, 2, v2
	v_lshrrev_b32_sdwa v2, s24, v4 dst_sel:DWORD dst_unused:UNUSED_PAD src0_sel:DWORD src1_sel:WORD_0
	v_and_b32_e32 v3, s15, v3
	v_and_b32_e32 v2, s15, v2
	v_lshlrev_b32_e32 v3, 2, v3
	v_lshlrev_b32_e32 v2, 2, v2
	ds_read_b32 v15, v3
	ds_read_b32 v0, v0
	ds_read_u16 v16, v1 offset:5120
	ds_read_u16 v17, v1 offset:9216
	;; [unrolled: 1-line block ×4, first 2 shown]
	ds_read_b32 v20, v2
	ds_read_u16 v21, v1 offset:21504
	s_waitcnt lgkmcnt(6)
	v_add_u32_e32 v0, v0, v10
	v_mov_b32_e32 v1, 0
	s_movk_i32 s0, 0x400
	v_lshl_add_u64 v[2:3], v[0:1], 1, s[30:31]
	s_waitcnt lgkmcnt(1)
	v_add3_u32 v0, v20, v10, s0
	global_store_short v[2:3], v14, off
	v_xor_b32_e32 v4, 0xffff8000, v4
	v_lshl_add_u64 v[2:3], v[0:1], 1, s[30:31]
	global_store_short v[2:3], v4, off
	v_lshrrev_b32_sdwa v0, s24, v16 dst_sel:DWORD dst_unused:UNUSED_PAD src0_sel:DWORD src1_sel:WORD_0
	v_xor_b32_e32 v4, 0xffff8000, v16
	v_lshrrev_b32_sdwa v14, s24, v18 dst_sel:DWORD dst_unused:UNUSED_PAD src0_sel:DWORD src1_sel:WORD_0
	v_lshrrev_b32_sdwa v16, s24, v7 dst_sel:DWORD dst_unused:UNUSED_PAD src0_sel:DWORD src1_sel:WORD_0
	;; [unrolled: 1-line block ×4, first 2 shown]
	s_waitcnt lgkmcnt(0)
	v_lshrrev_b32_sdwa v23, s24, v21 dst_sel:DWORD dst_unused:UNUSED_PAD src0_sel:DWORD src1_sel:WORD_0
	v_and_b32_e32 v0, s15, v0
	v_lshrrev_b32_sdwa v2, s24, v17 dst_sel:DWORD dst_unused:UNUSED_PAD src0_sel:DWORD src1_sel:WORD_0
	v_lshrrev_b32_sdwa v3, s24, v6 dst_sel:DWORD dst_unused:UNUSED_PAD src0_sel:DWORD src1_sel:WORD_0
	v_and_b32_e32 v14, s15, v14
	v_and_b32_e32 v16, s15, v16
	;; [unrolled: 1-line block ×5, first 2 shown]
	v_lshlrev_b32_e32 v0, 2, v0
	v_and_b32_e32 v2, s15, v2
	v_and_b32_e32 v3, s15, v3
	v_lshlrev_b32_e32 v14, 2, v14
	v_lshlrev_b32_e32 v16, 2, v16
	;; [unrolled: 1-line block ×5, first 2 shown]
	s_movk_i32 s0, 0x800
	v_lshlrev_b32_e32 v2, 2, v2
	v_lshlrev_b32_e32 v3, 2, v3
	ds_read_b32 v0, v0
	ds_read_b32 v24, v2
	;; [unrolled: 1-line block ×8, first 2 shown]
	s_waitcnt lgkmcnt(7)
	v_add3_u32 v0, v0, v10, s0
	s_movk_i32 s0, 0xc00
	v_lshl_add_u64 v[2:3], v[0:1], 1, s[30:31]
	v_add3_u32 v0, v15, v10, s0
	s_movk_i32 s0, 0x1000
	global_store_short v[2:3], v4, off
	v_xor_b32_e32 v4, 0xffff8000, v5
	v_lshl_add_u64 v[2:3], v[0:1], 1, s[30:31]
	s_waitcnt lgkmcnt(6)
	v_add3_u32 v0, v24, v10, s0
	s_movk_i32 s0, 0x1400
	global_store_short v[2:3], v4, off
	v_xor_b32_e32 v4, 0xffff8000, v17
	v_lshl_add_u64 v[2:3], v[0:1], 1, s[30:31]
	s_waitcnt lgkmcnt(5)
	;; [unrolled: 6-line block ×6, first 2 shown]
	v_add3_u32 v0, v22, v10, s0
	global_store_short v[2:3], v4, off
	v_xor_b32_e32 v4, 0xffff8000, v9
	v_lshl_add_u64 v[2:3], v[0:1], 1, s[30:31]
	global_store_short v[2:3], v4, off
	v_lshrrev_b32_sdwa v2, s24, v13 dst_sel:DWORD dst_unused:UNUSED_PAD src0_sel:DWORD src1_sel:WORD_0
	v_and_b32_e32 v2, s15, v2
	v_lshlrev_b32_e32 v2, 2, v2
	ds_read_b32 v5, v2
	s_movk_i32 s0, 0x2800
	s_add_i32 s14, s14, -1
	s_waitcnt lgkmcnt(1)
	v_add3_u32 v0, v23, v10, s0
	s_movk_i32 s0, 0x2c00
	s_cmp_eq_u32 s14, s27
	v_xor_b32_e32 v4, 0xffff8000, v21
	v_lshl_add_u64 v[2:3], v[0:1], 1, s[30:31]
	s_waitcnt lgkmcnt(0)
	v_add3_u32 v0, v5, v10, s0
	s_cselect_b64 s[0:1], -1, 0
	global_store_short v[2:3], v4, off
	v_xor_b32_e32 v2, 0xffff8000, v13
	v_lshl_add_u64 v[0:1], v[0:1], 1, s[30:31]
	s_and_b64 s[2:3], vcc, s[0:1]
	global_store_short v[0:1], v2, off
                                        ; implicit-def: $vgpr2
	s_and_saveexec_b64 s[0:1], s[2:3]
; %bb.148:
	v_add_u32_e32 v2, v8, v12
	s_or_b64 s[8:9], s[8:9], exec
; %bb.149:
	s_or_b64 exec, exec, s[0:1]
.LBB1961_150:
	s_and_saveexec_b64 s[0:1], s[8:9]
	s_cbranch_execnz .LBB1961_152
; %bb.151:
	s_endpgm
.LBB1961_152:
	v_lshlrev_b32_e32 v0, 2, v10
	ds_read_b32 v3, v0
	v_mov_b32_e32 v0, s22
	v_mov_b32_e32 v1, s23
	v_lshl_add_u64 v[0:1], v[10:11], 2, v[0:1]
	s_waitcnt lgkmcnt(0)
	v_add_u32_e32 v2, v3, v2
	global_store_dword v[0:1], v2, off
	s_endpgm
	.section	.rodata,"a",@progbits
	.p2align	6, 0x0
	.amdhsa_kernel _ZN7rocprim17ROCPRIM_400000_NS6detail17trampoline_kernelINS0_14default_configENS1_35radix_sort_onesweep_config_selectorIsNS0_10empty_typeEEEZZNS1_29radix_sort_onesweep_iterationIS3_Lb0EN6thrust23THRUST_200600_302600_NS6detail15normal_iteratorINS9_10device_ptrIsEEEESE_PS5_SF_jNS0_19identity_decomposerENS1_16block_id_wrapperIjLb1EEEEE10hipError_tT1_PNSt15iterator_traitsISK_E10value_typeET2_T3_PNSL_ISQ_E10value_typeET4_T5_PSV_SW_PNS1_23onesweep_lookback_stateEbbT6_jjT7_P12ihipStream_tbENKUlT_T0_SK_SP_E_clISE_PsSF_SF_EEDaS13_S14_SK_SP_EUlS13_E_NS1_11comp_targetILNS1_3genE5ELNS1_11target_archE942ELNS1_3gpuE9ELNS1_3repE0EEENS1_47radix_sort_onesweep_sort_config_static_selectorELNS0_4arch9wavefront6targetE1EEEvSK_
		.amdhsa_group_segment_fixed_size 25608
		.amdhsa_private_segment_fixed_size 0
		.amdhsa_kernarg_size 344
		.amdhsa_user_sgpr_count 2
		.amdhsa_user_sgpr_dispatch_ptr 0
		.amdhsa_user_sgpr_queue_ptr 0
		.amdhsa_user_sgpr_kernarg_segment_ptr 1
		.amdhsa_user_sgpr_dispatch_id 0
		.amdhsa_user_sgpr_kernarg_preload_length 0
		.amdhsa_user_sgpr_kernarg_preload_offset 0
		.amdhsa_user_sgpr_private_segment_size 0
		.amdhsa_uses_dynamic_stack 0
		.amdhsa_enable_private_segment 0
		.amdhsa_system_sgpr_workgroup_id_x 1
		.amdhsa_system_sgpr_workgroup_id_y 0
		.amdhsa_system_sgpr_workgroup_id_z 0
		.amdhsa_system_sgpr_workgroup_info 0
		.amdhsa_system_vgpr_workitem_id 2
		.amdhsa_next_free_vgpr 62
		.amdhsa_next_free_sgpr 36
		.amdhsa_accum_offset 64
		.amdhsa_reserve_vcc 1
		.amdhsa_float_round_mode_32 0
		.amdhsa_float_round_mode_16_64 0
		.amdhsa_float_denorm_mode_32 3
		.amdhsa_float_denorm_mode_16_64 3
		.amdhsa_dx10_clamp 1
		.amdhsa_ieee_mode 1
		.amdhsa_fp16_overflow 0
		.amdhsa_tg_split 0
		.amdhsa_exception_fp_ieee_invalid_op 0
		.amdhsa_exception_fp_denorm_src 0
		.amdhsa_exception_fp_ieee_div_zero 0
		.amdhsa_exception_fp_ieee_overflow 0
		.amdhsa_exception_fp_ieee_underflow 0
		.amdhsa_exception_fp_ieee_inexact 0
		.amdhsa_exception_int_div_zero 0
	.end_amdhsa_kernel
	.section	.text._ZN7rocprim17ROCPRIM_400000_NS6detail17trampoline_kernelINS0_14default_configENS1_35radix_sort_onesweep_config_selectorIsNS0_10empty_typeEEEZZNS1_29radix_sort_onesweep_iterationIS3_Lb0EN6thrust23THRUST_200600_302600_NS6detail15normal_iteratorINS9_10device_ptrIsEEEESE_PS5_SF_jNS0_19identity_decomposerENS1_16block_id_wrapperIjLb1EEEEE10hipError_tT1_PNSt15iterator_traitsISK_E10value_typeET2_T3_PNSL_ISQ_E10value_typeET4_T5_PSV_SW_PNS1_23onesweep_lookback_stateEbbT6_jjT7_P12ihipStream_tbENKUlT_T0_SK_SP_E_clISE_PsSF_SF_EEDaS13_S14_SK_SP_EUlS13_E_NS1_11comp_targetILNS1_3genE5ELNS1_11target_archE942ELNS1_3gpuE9ELNS1_3repE0EEENS1_47radix_sort_onesweep_sort_config_static_selectorELNS0_4arch9wavefront6targetE1EEEvSK_,"axG",@progbits,_ZN7rocprim17ROCPRIM_400000_NS6detail17trampoline_kernelINS0_14default_configENS1_35radix_sort_onesweep_config_selectorIsNS0_10empty_typeEEEZZNS1_29radix_sort_onesweep_iterationIS3_Lb0EN6thrust23THRUST_200600_302600_NS6detail15normal_iteratorINS9_10device_ptrIsEEEESE_PS5_SF_jNS0_19identity_decomposerENS1_16block_id_wrapperIjLb1EEEEE10hipError_tT1_PNSt15iterator_traitsISK_E10value_typeET2_T3_PNSL_ISQ_E10value_typeET4_T5_PSV_SW_PNS1_23onesweep_lookback_stateEbbT6_jjT7_P12ihipStream_tbENKUlT_T0_SK_SP_E_clISE_PsSF_SF_EEDaS13_S14_SK_SP_EUlS13_E_NS1_11comp_targetILNS1_3genE5ELNS1_11target_archE942ELNS1_3gpuE9ELNS1_3repE0EEENS1_47radix_sort_onesweep_sort_config_static_selectorELNS0_4arch9wavefront6targetE1EEEvSK_,comdat
.Lfunc_end1961:
	.size	_ZN7rocprim17ROCPRIM_400000_NS6detail17trampoline_kernelINS0_14default_configENS1_35radix_sort_onesweep_config_selectorIsNS0_10empty_typeEEEZZNS1_29radix_sort_onesweep_iterationIS3_Lb0EN6thrust23THRUST_200600_302600_NS6detail15normal_iteratorINS9_10device_ptrIsEEEESE_PS5_SF_jNS0_19identity_decomposerENS1_16block_id_wrapperIjLb1EEEEE10hipError_tT1_PNSt15iterator_traitsISK_E10value_typeET2_T3_PNSL_ISQ_E10value_typeET4_T5_PSV_SW_PNS1_23onesweep_lookback_stateEbbT6_jjT7_P12ihipStream_tbENKUlT_T0_SK_SP_E_clISE_PsSF_SF_EEDaS13_S14_SK_SP_EUlS13_E_NS1_11comp_targetILNS1_3genE5ELNS1_11target_archE942ELNS1_3gpuE9ELNS1_3repE0EEENS1_47radix_sort_onesweep_sort_config_static_selectorELNS0_4arch9wavefront6targetE1EEEvSK_, .Lfunc_end1961-_ZN7rocprim17ROCPRIM_400000_NS6detail17trampoline_kernelINS0_14default_configENS1_35radix_sort_onesweep_config_selectorIsNS0_10empty_typeEEEZZNS1_29radix_sort_onesweep_iterationIS3_Lb0EN6thrust23THRUST_200600_302600_NS6detail15normal_iteratorINS9_10device_ptrIsEEEESE_PS5_SF_jNS0_19identity_decomposerENS1_16block_id_wrapperIjLb1EEEEE10hipError_tT1_PNSt15iterator_traitsISK_E10value_typeET2_T3_PNSL_ISQ_E10value_typeET4_T5_PSV_SW_PNS1_23onesweep_lookback_stateEbbT6_jjT7_P12ihipStream_tbENKUlT_T0_SK_SP_E_clISE_PsSF_SF_EEDaS13_S14_SK_SP_EUlS13_E_NS1_11comp_targetILNS1_3genE5ELNS1_11target_archE942ELNS1_3gpuE9ELNS1_3repE0EEENS1_47radix_sort_onesweep_sort_config_static_selectorELNS0_4arch9wavefront6targetE1EEEvSK_
                                        ; -- End function
	.section	.AMDGPU.csdata,"",@progbits
; Kernel info:
; codeLenInByte = 16164
; NumSgprs: 42
; NumVgprs: 62
; NumAgprs: 0
; TotalNumVgprs: 62
; ScratchSize: 0
; MemoryBound: 0
; FloatMode: 240
; IeeeMode: 1
; LDSByteSize: 25608 bytes/workgroup (compile time only)
; SGPRBlocks: 5
; VGPRBlocks: 7
; NumSGPRsForWavesPerEU: 42
; NumVGPRsForWavesPerEU: 62
; AccumOffset: 64
; Occupancy: 8
; WaveLimiterHint : 1
; COMPUTE_PGM_RSRC2:SCRATCH_EN: 0
; COMPUTE_PGM_RSRC2:USER_SGPR: 2
; COMPUTE_PGM_RSRC2:TRAP_HANDLER: 0
; COMPUTE_PGM_RSRC2:TGID_X_EN: 1
; COMPUTE_PGM_RSRC2:TGID_Y_EN: 0
; COMPUTE_PGM_RSRC2:TGID_Z_EN: 0
; COMPUTE_PGM_RSRC2:TIDIG_COMP_CNT: 2
; COMPUTE_PGM_RSRC3_GFX90A:ACCUM_OFFSET: 15
; COMPUTE_PGM_RSRC3_GFX90A:TG_SPLIT: 0
	.section	.text._ZN7rocprim17ROCPRIM_400000_NS6detail17trampoline_kernelINS0_14default_configENS1_35radix_sort_onesweep_config_selectorIsNS0_10empty_typeEEEZZNS1_29radix_sort_onesweep_iterationIS3_Lb0EN6thrust23THRUST_200600_302600_NS6detail15normal_iteratorINS9_10device_ptrIsEEEESE_PS5_SF_jNS0_19identity_decomposerENS1_16block_id_wrapperIjLb1EEEEE10hipError_tT1_PNSt15iterator_traitsISK_E10value_typeET2_T3_PNSL_ISQ_E10value_typeET4_T5_PSV_SW_PNS1_23onesweep_lookback_stateEbbT6_jjT7_P12ihipStream_tbENKUlT_T0_SK_SP_E_clISE_PsSF_SF_EEDaS13_S14_SK_SP_EUlS13_E_NS1_11comp_targetILNS1_3genE2ELNS1_11target_archE906ELNS1_3gpuE6ELNS1_3repE0EEENS1_47radix_sort_onesweep_sort_config_static_selectorELNS0_4arch9wavefront6targetE1EEEvSK_,"axG",@progbits,_ZN7rocprim17ROCPRIM_400000_NS6detail17trampoline_kernelINS0_14default_configENS1_35radix_sort_onesweep_config_selectorIsNS0_10empty_typeEEEZZNS1_29radix_sort_onesweep_iterationIS3_Lb0EN6thrust23THRUST_200600_302600_NS6detail15normal_iteratorINS9_10device_ptrIsEEEESE_PS5_SF_jNS0_19identity_decomposerENS1_16block_id_wrapperIjLb1EEEEE10hipError_tT1_PNSt15iterator_traitsISK_E10value_typeET2_T3_PNSL_ISQ_E10value_typeET4_T5_PSV_SW_PNS1_23onesweep_lookback_stateEbbT6_jjT7_P12ihipStream_tbENKUlT_T0_SK_SP_E_clISE_PsSF_SF_EEDaS13_S14_SK_SP_EUlS13_E_NS1_11comp_targetILNS1_3genE2ELNS1_11target_archE906ELNS1_3gpuE6ELNS1_3repE0EEENS1_47radix_sort_onesweep_sort_config_static_selectorELNS0_4arch9wavefront6targetE1EEEvSK_,comdat
	.protected	_ZN7rocprim17ROCPRIM_400000_NS6detail17trampoline_kernelINS0_14default_configENS1_35radix_sort_onesweep_config_selectorIsNS0_10empty_typeEEEZZNS1_29radix_sort_onesweep_iterationIS3_Lb0EN6thrust23THRUST_200600_302600_NS6detail15normal_iteratorINS9_10device_ptrIsEEEESE_PS5_SF_jNS0_19identity_decomposerENS1_16block_id_wrapperIjLb1EEEEE10hipError_tT1_PNSt15iterator_traitsISK_E10value_typeET2_T3_PNSL_ISQ_E10value_typeET4_T5_PSV_SW_PNS1_23onesweep_lookback_stateEbbT6_jjT7_P12ihipStream_tbENKUlT_T0_SK_SP_E_clISE_PsSF_SF_EEDaS13_S14_SK_SP_EUlS13_E_NS1_11comp_targetILNS1_3genE2ELNS1_11target_archE906ELNS1_3gpuE6ELNS1_3repE0EEENS1_47radix_sort_onesweep_sort_config_static_selectorELNS0_4arch9wavefront6targetE1EEEvSK_ ; -- Begin function _ZN7rocprim17ROCPRIM_400000_NS6detail17trampoline_kernelINS0_14default_configENS1_35radix_sort_onesweep_config_selectorIsNS0_10empty_typeEEEZZNS1_29radix_sort_onesweep_iterationIS3_Lb0EN6thrust23THRUST_200600_302600_NS6detail15normal_iteratorINS9_10device_ptrIsEEEESE_PS5_SF_jNS0_19identity_decomposerENS1_16block_id_wrapperIjLb1EEEEE10hipError_tT1_PNSt15iterator_traitsISK_E10value_typeET2_T3_PNSL_ISQ_E10value_typeET4_T5_PSV_SW_PNS1_23onesweep_lookback_stateEbbT6_jjT7_P12ihipStream_tbENKUlT_T0_SK_SP_E_clISE_PsSF_SF_EEDaS13_S14_SK_SP_EUlS13_E_NS1_11comp_targetILNS1_3genE2ELNS1_11target_archE906ELNS1_3gpuE6ELNS1_3repE0EEENS1_47radix_sort_onesweep_sort_config_static_selectorELNS0_4arch9wavefront6targetE1EEEvSK_
	.globl	_ZN7rocprim17ROCPRIM_400000_NS6detail17trampoline_kernelINS0_14default_configENS1_35radix_sort_onesweep_config_selectorIsNS0_10empty_typeEEEZZNS1_29radix_sort_onesweep_iterationIS3_Lb0EN6thrust23THRUST_200600_302600_NS6detail15normal_iteratorINS9_10device_ptrIsEEEESE_PS5_SF_jNS0_19identity_decomposerENS1_16block_id_wrapperIjLb1EEEEE10hipError_tT1_PNSt15iterator_traitsISK_E10value_typeET2_T3_PNSL_ISQ_E10value_typeET4_T5_PSV_SW_PNS1_23onesweep_lookback_stateEbbT6_jjT7_P12ihipStream_tbENKUlT_T0_SK_SP_E_clISE_PsSF_SF_EEDaS13_S14_SK_SP_EUlS13_E_NS1_11comp_targetILNS1_3genE2ELNS1_11target_archE906ELNS1_3gpuE6ELNS1_3repE0EEENS1_47radix_sort_onesweep_sort_config_static_selectorELNS0_4arch9wavefront6targetE1EEEvSK_
	.p2align	8
	.type	_ZN7rocprim17ROCPRIM_400000_NS6detail17trampoline_kernelINS0_14default_configENS1_35radix_sort_onesweep_config_selectorIsNS0_10empty_typeEEEZZNS1_29radix_sort_onesweep_iterationIS3_Lb0EN6thrust23THRUST_200600_302600_NS6detail15normal_iteratorINS9_10device_ptrIsEEEESE_PS5_SF_jNS0_19identity_decomposerENS1_16block_id_wrapperIjLb1EEEEE10hipError_tT1_PNSt15iterator_traitsISK_E10value_typeET2_T3_PNSL_ISQ_E10value_typeET4_T5_PSV_SW_PNS1_23onesweep_lookback_stateEbbT6_jjT7_P12ihipStream_tbENKUlT_T0_SK_SP_E_clISE_PsSF_SF_EEDaS13_S14_SK_SP_EUlS13_E_NS1_11comp_targetILNS1_3genE2ELNS1_11target_archE906ELNS1_3gpuE6ELNS1_3repE0EEENS1_47radix_sort_onesweep_sort_config_static_selectorELNS0_4arch9wavefront6targetE1EEEvSK_,@function
_ZN7rocprim17ROCPRIM_400000_NS6detail17trampoline_kernelINS0_14default_configENS1_35radix_sort_onesweep_config_selectorIsNS0_10empty_typeEEEZZNS1_29radix_sort_onesweep_iterationIS3_Lb0EN6thrust23THRUST_200600_302600_NS6detail15normal_iteratorINS9_10device_ptrIsEEEESE_PS5_SF_jNS0_19identity_decomposerENS1_16block_id_wrapperIjLb1EEEEE10hipError_tT1_PNSt15iterator_traitsISK_E10value_typeET2_T3_PNSL_ISQ_E10value_typeET4_T5_PSV_SW_PNS1_23onesweep_lookback_stateEbbT6_jjT7_P12ihipStream_tbENKUlT_T0_SK_SP_E_clISE_PsSF_SF_EEDaS13_S14_SK_SP_EUlS13_E_NS1_11comp_targetILNS1_3genE2ELNS1_11target_archE906ELNS1_3gpuE6ELNS1_3repE0EEENS1_47radix_sort_onesweep_sort_config_static_selectorELNS0_4arch9wavefront6targetE1EEEvSK_: ; @_ZN7rocprim17ROCPRIM_400000_NS6detail17trampoline_kernelINS0_14default_configENS1_35radix_sort_onesweep_config_selectorIsNS0_10empty_typeEEEZZNS1_29radix_sort_onesweep_iterationIS3_Lb0EN6thrust23THRUST_200600_302600_NS6detail15normal_iteratorINS9_10device_ptrIsEEEESE_PS5_SF_jNS0_19identity_decomposerENS1_16block_id_wrapperIjLb1EEEEE10hipError_tT1_PNSt15iterator_traitsISK_E10value_typeET2_T3_PNSL_ISQ_E10value_typeET4_T5_PSV_SW_PNS1_23onesweep_lookback_stateEbbT6_jjT7_P12ihipStream_tbENKUlT_T0_SK_SP_E_clISE_PsSF_SF_EEDaS13_S14_SK_SP_EUlS13_E_NS1_11comp_targetILNS1_3genE2ELNS1_11target_archE906ELNS1_3gpuE6ELNS1_3repE0EEENS1_47radix_sort_onesweep_sort_config_static_selectorELNS0_4arch9wavefront6targetE1EEEvSK_
; %bb.0:
	.section	.rodata,"a",@progbits
	.p2align	6, 0x0
	.amdhsa_kernel _ZN7rocprim17ROCPRIM_400000_NS6detail17trampoline_kernelINS0_14default_configENS1_35radix_sort_onesweep_config_selectorIsNS0_10empty_typeEEEZZNS1_29radix_sort_onesweep_iterationIS3_Lb0EN6thrust23THRUST_200600_302600_NS6detail15normal_iteratorINS9_10device_ptrIsEEEESE_PS5_SF_jNS0_19identity_decomposerENS1_16block_id_wrapperIjLb1EEEEE10hipError_tT1_PNSt15iterator_traitsISK_E10value_typeET2_T3_PNSL_ISQ_E10value_typeET4_T5_PSV_SW_PNS1_23onesweep_lookback_stateEbbT6_jjT7_P12ihipStream_tbENKUlT_T0_SK_SP_E_clISE_PsSF_SF_EEDaS13_S14_SK_SP_EUlS13_E_NS1_11comp_targetILNS1_3genE2ELNS1_11target_archE906ELNS1_3gpuE6ELNS1_3repE0EEENS1_47radix_sort_onesweep_sort_config_static_selectorELNS0_4arch9wavefront6targetE1EEEvSK_
		.amdhsa_group_segment_fixed_size 0
		.amdhsa_private_segment_fixed_size 0
		.amdhsa_kernarg_size 88
		.amdhsa_user_sgpr_count 2
		.amdhsa_user_sgpr_dispatch_ptr 0
		.amdhsa_user_sgpr_queue_ptr 0
		.amdhsa_user_sgpr_kernarg_segment_ptr 1
		.amdhsa_user_sgpr_dispatch_id 0
		.amdhsa_user_sgpr_kernarg_preload_length 0
		.amdhsa_user_sgpr_kernarg_preload_offset 0
		.amdhsa_user_sgpr_private_segment_size 0
		.amdhsa_uses_dynamic_stack 0
		.amdhsa_enable_private_segment 0
		.amdhsa_system_sgpr_workgroup_id_x 1
		.amdhsa_system_sgpr_workgroup_id_y 0
		.amdhsa_system_sgpr_workgroup_id_z 0
		.amdhsa_system_sgpr_workgroup_info 0
		.amdhsa_system_vgpr_workitem_id 0
		.amdhsa_next_free_vgpr 1
		.amdhsa_next_free_sgpr 0
		.amdhsa_accum_offset 4
		.amdhsa_reserve_vcc 0
		.amdhsa_float_round_mode_32 0
		.amdhsa_float_round_mode_16_64 0
		.amdhsa_float_denorm_mode_32 3
		.amdhsa_float_denorm_mode_16_64 3
		.amdhsa_dx10_clamp 1
		.amdhsa_ieee_mode 1
		.amdhsa_fp16_overflow 0
		.amdhsa_tg_split 0
		.amdhsa_exception_fp_ieee_invalid_op 0
		.amdhsa_exception_fp_denorm_src 0
		.amdhsa_exception_fp_ieee_div_zero 0
		.amdhsa_exception_fp_ieee_overflow 0
		.amdhsa_exception_fp_ieee_underflow 0
		.amdhsa_exception_fp_ieee_inexact 0
		.amdhsa_exception_int_div_zero 0
	.end_amdhsa_kernel
	.section	.text._ZN7rocprim17ROCPRIM_400000_NS6detail17trampoline_kernelINS0_14default_configENS1_35radix_sort_onesweep_config_selectorIsNS0_10empty_typeEEEZZNS1_29radix_sort_onesweep_iterationIS3_Lb0EN6thrust23THRUST_200600_302600_NS6detail15normal_iteratorINS9_10device_ptrIsEEEESE_PS5_SF_jNS0_19identity_decomposerENS1_16block_id_wrapperIjLb1EEEEE10hipError_tT1_PNSt15iterator_traitsISK_E10value_typeET2_T3_PNSL_ISQ_E10value_typeET4_T5_PSV_SW_PNS1_23onesweep_lookback_stateEbbT6_jjT7_P12ihipStream_tbENKUlT_T0_SK_SP_E_clISE_PsSF_SF_EEDaS13_S14_SK_SP_EUlS13_E_NS1_11comp_targetILNS1_3genE2ELNS1_11target_archE906ELNS1_3gpuE6ELNS1_3repE0EEENS1_47radix_sort_onesweep_sort_config_static_selectorELNS0_4arch9wavefront6targetE1EEEvSK_,"axG",@progbits,_ZN7rocprim17ROCPRIM_400000_NS6detail17trampoline_kernelINS0_14default_configENS1_35radix_sort_onesweep_config_selectorIsNS0_10empty_typeEEEZZNS1_29radix_sort_onesweep_iterationIS3_Lb0EN6thrust23THRUST_200600_302600_NS6detail15normal_iteratorINS9_10device_ptrIsEEEESE_PS5_SF_jNS0_19identity_decomposerENS1_16block_id_wrapperIjLb1EEEEE10hipError_tT1_PNSt15iterator_traitsISK_E10value_typeET2_T3_PNSL_ISQ_E10value_typeET4_T5_PSV_SW_PNS1_23onesweep_lookback_stateEbbT6_jjT7_P12ihipStream_tbENKUlT_T0_SK_SP_E_clISE_PsSF_SF_EEDaS13_S14_SK_SP_EUlS13_E_NS1_11comp_targetILNS1_3genE2ELNS1_11target_archE906ELNS1_3gpuE6ELNS1_3repE0EEENS1_47radix_sort_onesweep_sort_config_static_selectorELNS0_4arch9wavefront6targetE1EEEvSK_,comdat
.Lfunc_end1962:
	.size	_ZN7rocprim17ROCPRIM_400000_NS6detail17trampoline_kernelINS0_14default_configENS1_35radix_sort_onesweep_config_selectorIsNS0_10empty_typeEEEZZNS1_29radix_sort_onesweep_iterationIS3_Lb0EN6thrust23THRUST_200600_302600_NS6detail15normal_iteratorINS9_10device_ptrIsEEEESE_PS5_SF_jNS0_19identity_decomposerENS1_16block_id_wrapperIjLb1EEEEE10hipError_tT1_PNSt15iterator_traitsISK_E10value_typeET2_T3_PNSL_ISQ_E10value_typeET4_T5_PSV_SW_PNS1_23onesweep_lookback_stateEbbT6_jjT7_P12ihipStream_tbENKUlT_T0_SK_SP_E_clISE_PsSF_SF_EEDaS13_S14_SK_SP_EUlS13_E_NS1_11comp_targetILNS1_3genE2ELNS1_11target_archE906ELNS1_3gpuE6ELNS1_3repE0EEENS1_47radix_sort_onesweep_sort_config_static_selectorELNS0_4arch9wavefront6targetE1EEEvSK_, .Lfunc_end1962-_ZN7rocprim17ROCPRIM_400000_NS6detail17trampoline_kernelINS0_14default_configENS1_35radix_sort_onesweep_config_selectorIsNS0_10empty_typeEEEZZNS1_29radix_sort_onesweep_iterationIS3_Lb0EN6thrust23THRUST_200600_302600_NS6detail15normal_iteratorINS9_10device_ptrIsEEEESE_PS5_SF_jNS0_19identity_decomposerENS1_16block_id_wrapperIjLb1EEEEE10hipError_tT1_PNSt15iterator_traitsISK_E10value_typeET2_T3_PNSL_ISQ_E10value_typeET4_T5_PSV_SW_PNS1_23onesweep_lookback_stateEbbT6_jjT7_P12ihipStream_tbENKUlT_T0_SK_SP_E_clISE_PsSF_SF_EEDaS13_S14_SK_SP_EUlS13_E_NS1_11comp_targetILNS1_3genE2ELNS1_11target_archE906ELNS1_3gpuE6ELNS1_3repE0EEENS1_47radix_sort_onesweep_sort_config_static_selectorELNS0_4arch9wavefront6targetE1EEEvSK_
                                        ; -- End function
	.section	.AMDGPU.csdata,"",@progbits
; Kernel info:
; codeLenInByte = 0
; NumSgprs: 6
; NumVgprs: 0
; NumAgprs: 0
; TotalNumVgprs: 0
; ScratchSize: 0
; MemoryBound: 0
; FloatMode: 240
; IeeeMode: 1
; LDSByteSize: 0 bytes/workgroup (compile time only)
; SGPRBlocks: 0
; VGPRBlocks: 0
; NumSGPRsForWavesPerEU: 6
; NumVGPRsForWavesPerEU: 1
; AccumOffset: 4
; Occupancy: 8
; WaveLimiterHint : 0
; COMPUTE_PGM_RSRC2:SCRATCH_EN: 0
; COMPUTE_PGM_RSRC2:USER_SGPR: 2
; COMPUTE_PGM_RSRC2:TRAP_HANDLER: 0
; COMPUTE_PGM_RSRC2:TGID_X_EN: 1
; COMPUTE_PGM_RSRC2:TGID_Y_EN: 0
; COMPUTE_PGM_RSRC2:TGID_Z_EN: 0
; COMPUTE_PGM_RSRC2:TIDIG_COMP_CNT: 0
; COMPUTE_PGM_RSRC3_GFX90A:ACCUM_OFFSET: 0
; COMPUTE_PGM_RSRC3_GFX90A:TG_SPLIT: 0
	.section	.text._ZN7rocprim17ROCPRIM_400000_NS6detail17trampoline_kernelINS0_14default_configENS1_35radix_sort_onesweep_config_selectorIsNS0_10empty_typeEEEZZNS1_29radix_sort_onesweep_iterationIS3_Lb0EN6thrust23THRUST_200600_302600_NS6detail15normal_iteratorINS9_10device_ptrIsEEEESE_PS5_SF_jNS0_19identity_decomposerENS1_16block_id_wrapperIjLb1EEEEE10hipError_tT1_PNSt15iterator_traitsISK_E10value_typeET2_T3_PNSL_ISQ_E10value_typeET4_T5_PSV_SW_PNS1_23onesweep_lookback_stateEbbT6_jjT7_P12ihipStream_tbENKUlT_T0_SK_SP_E_clISE_PsSF_SF_EEDaS13_S14_SK_SP_EUlS13_E_NS1_11comp_targetILNS1_3genE4ELNS1_11target_archE910ELNS1_3gpuE8ELNS1_3repE0EEENS1_47radix_sort_onesweep_sort_config_static_selectorELNS0_4arch9wavefront6targetE1EEEvSK_,"axG",@progbits,_ZN7rocprim17ROCPRIM_400000_NS6detail17trampoline_kernelINS0_14default_configENS1_35radix_sort_onesweep_config_selectorIsNS0_10empty_typeEEEZZNS1_29radix_sort_onesweep_iterationIS3_Lb0EN6thrust23THRUST_200600_302600_NS6detail15normal_iteratorINS9_10device_ptrIsEEEESE_PS5_SF_jNS0_19identity_decomposerENS1_16block_id_wrapperIjLb1EEEEE10hipError_tT1_PNSt15iterator_traitsISK_E10value_typeET2_T3_PNSL_ISQ_E10value_typeET4_T5_PSV_SW_PNS1_23onesweep_lookback_stateEbbT6_jjT7_P12ihipStream_tbENKUlT_T0_SK_SP_E_clISE_PsSF_SF_EEDaS13_S14_SK_SP_EUlS13_E_NS1_11comp_targetILNS1_3genE4ELNS1_11target_archE910ELNS1_3gpuE8ELNS1_3repE0EEENS1_47radix_sort_onesweep_sort_config_static_selectorELNS0_4arch9wavefront6targetE1EEEvSK_,comdat
	.protected	_ZN7rocprim17ROCPRIM_400000_NS6detail17trampoline_kernelINS0_14default_configENS1_35radix_sort_onesweep_config_selectorIsNS0_10empty_typeEEEZZNS1_29radix_sort_onesweep_iterationIS3_Lb0EN6thrust23THRUST_200600_302600_NS6detail15normal_iteratorINS9_10device_ptrIsEEEESE_PS5_SF_jNS0_19identity_decomposerENS1_16block_id_wrapperIjLb1EEEEE10hipError_tT1_PNSt15iterator_traitsISK_E10value_typeET2_T3_PNSL_ISQ_E10value_typeET4_T5_PSV_SW_PNS1_23onesweep_lookback_stateEbbT6_jjT7_P12ihipStream_tbENKUlT_T0_SK_SP_E_clISE_PsSF_SF_EEDaS13_S14_SK_SP_EUlS13_E_NS1_11comp_targetILNS1_3genE4ELNS1_11target_archE910ELNS1_3gpuE8ELNS1_3repE0EEENS1_47radix_sort_onesweep_sort_config_static_selectorELNS0_4arch9wavefront6targetE1EEEvSK_ ; -- Begin function _ZN7rocprim17ROCPRIM_400000_NS6detail17trampoline_kernelINS0_14default_configENS1_35radix_sort_onesweep_config_selectorIsNS0_10empty_typeEEEZZNS1_29radix_sort_onesweep_iterationIS3_Lb0EN6thrust23THRUST_200600_302600_NS6detail15normal_iteratorINS9_10device_ptrIsEEEESE_PS5_SF_jNS0_19identity_decomposerENS1_16block_id_wrapperIjLb1EEEEE10hipError_tT1_PNSt15iterator_traitsISK_E10value_typeET2_T3_PNSL_ISQ_E10value_typeET4_T5_PSV_SW_PNS1_23onesweep_lookback_stateEbbT6_jjT7_P12ihipStream_tbENKUlT_T0_SK_SP_E_clISE_PsSF_SF_EEDaS13_S14_SK_SP_EUlS13_E_NS1_11comp_targetILNS1_3genE4ELNS1_11target_archE910ELNS1_3gpuE8ELNS1_3repE0EEENS1_47radix_sort_onesweep_sort_config_static_selectorELNS0_4arch9wavefront6targetE1EEEvSK_
	.globl	_ZN7rocprim17ROCPRIM_400000_NS6detail17trampoline_kernelINS0_14default_configENS1_35radix_sort_onesweep_config_selectorIsNS0_10empty_typeEEEZZNS1_29radix_sort_onesweep_iterationIS3_Lb0EN6thrust23THRUST_200600_302600_NS6detail15normal_iteratorINS9_10device_ptrIsEEEESE_PS5_SF_jNS0_19identity_decomposerENS1_16block_id_wrapperIjLb1EEEEE10hipError_tT1_PNSt15iterator_traitsISK_E10value_typeET2_T3_PNSL_ISQ_E10value_typeET4_T5_PSV_SW_PNS1_23onesweep_lookback_stateEbbT6_jjT7_P12ihipStream_tbENKUlT_T0_SK_SP_E_clISE_PsSF_SF_EEDaS13_S14_SK_SP_EUlS13_E_NS1_11comp_targetILNS1_3genE4ELNS1_11target_archE910ELNS1_3gpuE8ELNS1_3repE0EEENS1_47radix_sort_onesweep_sort_config_static_selectorELNS0_4arch9wavefront6targetE1EEEvSK_
	.p2align	8
	.type	_ZN7rocprim17ROCPRIM_400000_NS6detail17trampoline_kernelINS0_14default_configENS1_35radix_sort_onesweep_config_selectorIsNS0_10empty_typeEEEZZNS1_29radix_sort_onesweep_iterationIS3_Lb0EN6thrust23THRUST_200600_302600_NS6detail15normal_iteratorINS9_10device_ptrIsEEEESE_PS5_SF_jNS0_19identity_decomposerENS1_16block_id_wrapperIjLb1EEEEE10hipError_tT1_PNSt15iterator_traitsISK_E10value_typeET2_T3_PNSL_ISQ_E10value_typeET4_T5_PSV_SW_PNS1_23onesweep_lookback_stateEbbT6_jjT7_P12ihipStream_tbENKUlT_T0_SK_SP_E_clISE_PsSF_SF_EEDaS13_S14_SK_SP_EUlS13_E_NS1_11comp_targetILNS1_3genE4ELNS1_11target_archE910ELNS1_3gpuE8ELNS1_3repE0EEENS1_47radix_sort_onesweep_sort_config_static_selectorELNS0_4arch9wavefront6targetE1EEEvSK_,@function
_ZN7rocprim17ROCPRIM_400000_NS6detail17trampoline_kernelINS0_14default_configENS1_35radix_sort_onesweep_config_selectorIsNS0_10empty_typeEEEZZNS1_29radix_sort_onesweep_iterationIS3_Lb0EN6thrust23THRUST_200600_302600_NS6detail15normal_iteratorINS9_10device_ptrIsEEEESE_PS5_SF_jNS0_19identity_decomposerENS1_16block_id_wrapperIjLb1EEEEE10hipError_tT1_PNSt15iterator_traitsISK_E10value_typeET2_T3_PNSL_ISQ_E10value_typeET4_T5_PSV_SW_PNS1_23onesweep_lookback_stateEbbT6_jjT7_P12ihipStream_tbENKUlT_T0_SK_SP_E_clISE_PsSF_SF_EEDaS13_S14_SK_SP_EUlS13_E_NS1_11comp_targetILNS1_3genE4ELNS1_11target_archE910ELNS1_3gpuE8ELNS1_3repE0EEENS1_47radix_sort_onesweep_sort_config_static_selectorELNS0_4arch9wavefront6targetE1EEEvSK_: ; @_ZN7rocprim17ROCPRIM_400000_NS6detail17trampoline_kernelINS0_14default_configENS1_35radix_sort_onesweep_config_selectorIsNS0_10empty_typeEEEZZNS1_29radix_sort_onesweep_iterationIS3_Lb0EN6thrust23THRUST_200600_302600_NS6detail15normal_iteratorINS9_10device_ptrIsEEEESE_PS5_SF_jNS0_19identity_decomposerENS1_16block_id_wrapperIjLb1EEEEE10hipError_tT1_PNSt15iterator_traitsISK_E10value_typeET2_T3_PNSL_ISQ_E10value_typeET4_T5_PSV_SW_PNS1_23onesweep_lookback_stateEbbT6_jjT7_P12ihipStream_tbENKUlT_T0_SK_SP_E_clISE_PsSF_SF_EEDaS13_S14_SK_SP_EUlS13_E_NS1_11comp_targetILNS1_3genE4ELNS1_11target_archE910ELNS1_3gpuE8ELNS1_3repE0EEENS1_47radix_sort_onesweep_sort_config_static_selectorELNS0_4arch9wavefront6targetE1EEEvSK_
; %bb.0:
	.section	.rodata,"a",@progbits
	.p2align	6, 0x0
	.amdhsa_kernel _ZN7rocprim17ROCPRIM_400000_NS6detail17trampoline_kernelINS0_14default_configENS1_35radix_sort_onesweep_config_selectorIsNS0_10empty_typeEEEZZNS1_29radix_sort_onesweep_iterationIS3_Lb0EN6thrust23THRUST_200600_302600_NS6detail15normal_iteratorINS9_10device_ptrIsEEEESE_PS5_SF_jNS0_19identity_decomposerENS1_16block_id_wrapperIjLb1EEEEE10hipError_tT1_PNSt15iterator_traitsISK_E10value_typeET2_T3_PNSL_ISQ_E10value_typeET4_T5_PSV_SW_PNS1_23onesweep_lookback_stateEbbT6_jjT7_P12ihipStream_tbENKUlT_T0_SK_SP_E_clISE_PsSF_SF_EEDaS13_S14_SK_SP_EUlS13_E_NS1_11comp_targetILNS1_3genE4ELNS1_11target_archE910ELNS1_3gpuE8ELNS1_3repE0EEENS1_47radix_sort_onesweep_sort_config_static_selectorELNS0_4arch9wavefront6targetE1EEEvSK_
		.amdhsa_group_segment_fixed_size 0
		.amdhsa_private_segment_fixed_size 0
		.amdhsa_kernarg_size 88
		.amdhsa_user_sgpr_count 2
		.amdhsa_user_sgpr_dispatch_ptr 0
		.amdhsa_user_sgpr_queue_ptr 0
		.amdhsa_user_sgpr_kernarg_segment_ptr 1
		.amdhsa_user_sgpr_dispatch_id 0
		.amdhsa_user_sgpr_kernarg_preload_length 0
		.amdhsa_user_sgpr_kernarg_preload_offset 0
		.amdhsa_user_sgpr_private_segment_size 0
		.amdhsa_uses_dynamic_stack 0
		.amdhsa_enable_private_segment 0
		.amdhsa_system_sgpr_workgroup_id_x 1
		.amdhsa_system_sgpr_workgroup_id_y 0
		.amdhsa_system_sgpr_workgroup_id_z 0
		.amdhsa_system_sgpr_workgroup_info 0
		.amdhsa_system_vgpr_workitem_id 0
		.amdhsa_next_free_vgpr 1
		.amdhsa_next_free_sgpr 0
		.amdhsa_accum_offset 4
		.amdhsa_reserve_vcc 0
		.amdhsa_float_round_mode_32 0
		.amdhsa_float_round_mode_16_64 0
		.amdhsa_float_denorm_mode_32 3
		.amdhsa_float_denorm_mode_16_64 3
		.amdhsa_dx10_clamp 1
		.amdhsa_ieee_mode 1
		.amdhsa_fp16_overflow 0
		.amdhsa_tg_split 0
		.amdhsa_exception_fp_ieee_invalid_op 0
		.amdhsa_exception_fp_denorm_src 0
		.amdhsa_exception_fp_ieee_div_zero 0
		.amdhsa_exception_fp_ieee_overflow 0
		.amdhsa_exception_fp_ieee_underflow 0
		.amdhsa_exception_fp_ieee_inexact 0
		.amdhsa_exception_int_div_zero 0
	.end_amdhsa_kernel
	.section	.text._ZN7rocprim17ROCPRIM_400000_NS6detail17trampoline_kernelINS0_14default_configENS1_35radix_sort_onesweep_config_selectorIsNS0_10empty_typeEEEZZNS1_29radix_sort_onesweep_iterationIS3_Lb0EN6thrust23THRUST_200600_302600_NS6detail15normal_iteratorINS9_10device_ptrIsEEEESE_PS5_SF_jNS0_19identity_decomposerENS1_16block_id_wrapperIjLb1EEEEE10hipError_tT1_PNSt15iterator_traitsISK_E10value_typeET2_T3_PNSL_ISQ_E10value_typeET4_T5_PSV_SW_PNS1_23onesweep_lookback_stateEbbT6_jjT7_P12ihipStream_tbENKUlT_T0_SK_SP_E_clISE_PsSF_SF_EEDaS13_S14_SK_SP_EUlS13_E_NS1_11comp_targetILNS1_3genE4ELNS1_11target_archE910ELNS1_3gpuE8ELNS1_3repE0EEENS1_47radix_sort_onesweep_sort_config_static_selectorELNS0_4arch9wavefront6targetE1EEEvSK_,"axG",@progbits,_ZN7rocprim17ROCPRIM_400000_NS6detail17trampoline_kernelINS0_14default_configENS1_35radix_sort_onesweep_config_selectorIsNS0_10empty_typeEEEZZNS1_29radix_sort_onesweep_iterationIS3_Lb0EN6thrust23THRUST_200600_302600_NS6detail15normal_iteratorINS9_10device_ptrIsEEEESE_PS5_SF_jNS0_19identity_decomposerENS1_16block_id_wrapperIjLb1EEEEE10hipError_tT1_PNSt15iterator_traitsISK_E10value_typeET2_T3_PNSL_ISQ_E10value_typeET4_T5_PSV_SW_PNS1_23onesweep_lookback_stateEbbT6_jjT7_P12ihipStream_tbENKUlT_T0_SK_SP_E_clISE_PsSF_SF_EEDaS13_S14_SK_SP_EUlS13_E_NS1_11comp_targetILNS1_3genE4ELNS1_11target_archE910ELNS1_3gpuE8ELNS1_3repE0EEENS1_47radix_sort_onesweep_sort_config_static_selectorELNS0_4arch9wavefront6targetE1EEEvSK_,comdat
.Lfunc_end1963:
	.size	_ZN7rocprim17ROCPRIM_400000_NS6detail17trampoline_kernelINS0_14default_configENS1_35radix_sort_onesweep_config_selectorIsNS0_10empty_typeEEEZZNS1_29radix_sort_onesweep_iterationIS3_Lb0EN6thrust23THRUST_200600_302600_NS6detail15normal_iteratorINS9_10device_ptrIsEEEESE_PS5_SF_jNS0_19identity_decomposerENS1_16block_id_wrapperIjLb1EEEEE10hipError_tT1_PNSt15iterator_traitsISK_E10value_typeET2_T3_PNSL_ISQ_E10value_typeET4_T5_PSV_SW_PNS1_23onesweep_lookback_stateEbbT6_jjT7_P12ihipStream_tbENKUlT_T0_SK_SP_E_clISE_PsSF_SF_EEDaS13_S14_SK_SP_EUlS13_E_NS1_11comp_targetILNS1_3genE4ELNS1_11target_archE910ELNS1_3gpuE8ELNS1_3repE0EEENS1_47radix_sort_onesweep_sort_config_static_selectorELNS0_4arch9wavefront6targetE1EEEvSK_, .Lfunc_end1963-_ZN7rocprim17ROCPRIM_400000_NS6detail17trampoline_kernelINS0_14default_configENS1_35radix_sort_onesweep_config_selectorIsNS0_10empty_typeEEEZZNS1_29radix_sort_onesweep_iterationIS3_Lb0EN6thrust23THRUST_200600_302600_NS6detail15normal_iteratorINS9_10device_ptrIsEEEESE_PS5_SF_jNS0_19identity_decomposerENS1_16block_id_wrapperIjLb1EEEEE10hipError_tT1_PNSt15iterator_traitsISK_E10value_typeET2_T3_PNSL_ISQ_E10value_typeET4_T5_PSV_SW_PNS1_23onesweep_lookback_stateEbbT6_jjT7_P12ihipStream_tbENKUlT_T0_SK_SP_E_clISE_PsSF_SF_EEDaS13_S14_SK_SP_EUlS13_E_NS1_11comp_targetILNS1_3genE4ELNS1_11target_archE910ELNS1_3gpuE8ELNS1_3repE0EEENS1_47radix_sort_onesweep_sort_config_static_selectorELNS0_4arch9wavefront6targetE1EEEvSK_
                                        ; -- End function
	.section	.AMDGPU.csdata,"",@progbits
; Kernel info:
; codeLenInByte = 0
; NumSgprs: 6
; NumVgprs: 0
; NumAgprs: 0
; TotalNumVgprs: 0
; ScratchSize: 0
; MemoryBound: 0
; FloatMode: 240
; IeeeMode: 1
; LDSByteSize: 0 bytes/workgroup (compile time only)
; SGPRBlocks: 0
; VGPRBlocks: 0
; NumSGPRsForWavesPerEU: 6
; NumVGPRsForWavesPerEU: 1
; AccumOffset: 4
; Occupancy: 8
; WaveLimiterHint : 0
; COMPUTE_PGM_RSRC2:SCRATCH_EN: 0
; COMPUTE_PGM_RSRC2:USER_SGPR: 2
; COMPUTE_PGM_RSRC2:TRAP_HANDLER: 0
; COMPUTE_PGM_RSRC2:TGID_X_EN: 1
; COMPUTE_PGM_RSRC2:TGID_Y_EN: 0
; COMPUTE_PGM_RSRC2:TGID_Z_EN: 0
; COMPUTE_PGM_RSRC2:TIDIG_COMP_CNT: 0
; COMPUTE_PGM_RSRC3_GFX90A:ACCUM_OFFSET: 0
; COMPUTE_PGM_RSRC3_GFX90A:TG_SPLIT: 0
	.section	.text._ZN7rocprim17ROCPRIM_400000_NS6detail17trampoline_kernelINS0_14default_configENS1_35radix_sort_onesweep_config_selectorIsNS0_10empty_typeEEEZZNS1_29radix_sort_onesweep_iterationIS3_Lb0EN6thrust23THRUST_200600_302600_NS6detail15normal_iteratorINS9_10device_ptrIsEEEESE_PS5_SF_jNS0_19identity_decomposerENS1_16block_id_wrapperIjLb1EEEEE10hipError_tT1_PNSt15iterator_traitsISK_E10value_typeET2_T3_PNSL_ISQ_E10value_typeET4_T5_PSV_SW_PNS1_23onesweep_lookback_stateEbbT6_jjT7_P12ihipStream_tbENKUlT_T0_SK_SP_E_clISE_PsSF_SF_EEDaS13_S14_SK_SP_EUlS13_E_NS1_11comp_targetILNS1_3genE3ELNS1_11target_archE908ELNS1_3gpuE7ELNS1_3repE0EEENS1_47radix_sort_onesweep_sort_config_static_selectorELNS0_4arch9wavefront6targetE1EEEvSK_,"axG",@progbits,_ZN7rocprim17ROCPRIM_400000_NS6detail17trampoline_kernelINS0_14default_configENS1_35radix_sort_onesweep_config_selectorIsNS0_10empty_typeEEEZZNS1_29radix_sort_onesweep_iterationIS3_Lb0EN6thrust23THRUST_200600_302600_NS6detail15normal_iteratorINS9_10device_ptrIsEEEESE_PS5_SF_jNS0_19identity_decomposerENS1_16block_id_wrapperIjLb1EEEEE10hipError_tT1_PNSt15iterator_traitsISK_E10value_typeET2_T3_PNSL_ISQ_E10value_typeET4_T5_PSV_SW_PNS1_23onesweep_lookback_stateEbbT6_jjT7_P12ihipStream_tbENKUlT_T0_SK_SP_E_clISE_PsSF_SF_EEDaS13_S14_SK_SP_EUlS13_E_NS1_11comp_targetILNS1_3genE3ELNS1_11target_archE908ELNS1_3gpuE7ELNS1_3repE0EEENS1_47radix_sort_onesweep_sort_config_static_selectorELNS0_4arch9wavefront6targetE1EEEvSK_,comdat
	.protected	_ZN7rocprim17ROCPRIM_400000_NS6detail17trampoline_kernelINS0_14default_configENS1_35radix_sort_onesweep_config_selectorIsNS0_10empty_typeEEEZZNS1_29radix_sort_onesweep_iterationIS3_Lb0EN6thrust23THRUST_200600_302600_NS6detail15normal_iteratorINS9_10device_ptrIsEEEESE_PS5_SF_jNS0_19identity_decomposerENS1_16block_id_wrapperIjLb1EEEEE10hipError_tT1_PNSt15iterator_traitsISK_E10value_typeET2_T3_PNSL_ISQ_E10value_typeET4_T5_PSV_SW_PNS1_23onesweep_lookback_stateEbbT6_jjT7_P12ihipStream_tbENKUlT_T0_SK_SP_E_clISE_PsSF_SF_EEDaS13_S14_SK_SP_EUlS13_E_NS1_11comp_targetILNS1_3genE3ELNS1_11target_archE908ELNS1_3gpuE7ELNS1_3repE0EEENS1_47radix_sort_onesweep_sort_config_static_selectorELNS0_4arch9wavefront6targetE1EEEvSK_ ; -- Begin function _ZN7rocprim17ROCPRIM_400000_NS6detail17trampoline_kernelINS0_14default_configENS1_35radix_sort_onesweep_config_selectorIsNS0_10empty_typeEEEZZNS1_29radix_sort_onesweep_iterationIS3_Lb0EN6thrust23THRUST_200600_302600_NS6detail15normal_iteratorINS9_10device_ptrIsEEEESE_PS5_SF_jNS0_19identity_decomposerENS1_16block_id_wrapperIjLb1EEEEE10hipError_tT1_PNSt15iterator_traitsISK_E10value_typeET2_T3_PNSL_ISQ_E10value_typeET4_T5_PSV_SW_PNS1_23onesweep_lookback_stateEbbT6_jjT7_P12ihipStream_tbENKUlT_T0_SK_SP_E_clISE_PsSF_SF_EEDaS13_S14_SK_SP_EUlS13_E_NS1_11comp_targetILNS1_3genE3ELNS1_11target_archE908ELNS1_3gpuE7ELNS1_3repE0EEENS1_47radix_sort_onesweep_sort_config_static_selectorELNS0_4arch9wavefront6targetE1EEEvSK_
	.globl	_ZN7rocprim17ROCPRIM_400000_NS6detail17trampoline_kernelINS0_14default_configENS1_35radix_sort_onesweep_config_selectorIsNS0_10empty_typeEEEZZNS1_29radix_sort_onesweep_iterationIS3_Lb0EN6thrust23THRUST_200600_302600_NS6detail15normal_iteratorINS9_10device_ptrIsEEEESE_PS5_SF_jNS0_19identity_decomposerENS1_16block_id_wrapperIjLb1EEEEE10hipError_tT1_PNSt15iterator_traitsISK_E10value_typeET2_T3_PNSL_ISQ_E10value_typeET4_T5_PSV_SW_PNS1_23onesweep_lookback_stateEbbT6_jjT7_P12ihipStream_tbENKUlT_T0_SK_SP_E_clISE_PsSF_SF_EEDaS13_S14_SK_SP_EUlS13_E_NS1_11comp_targetILNS1_3genE3ELNS1_11target_archE908ELNS1_3gpuE7ELNS1_3repE0EEENS1_47radix_sort_onesweep_sort_config_static_selectorELNS0_4arch9wavefront6targetE1EEEvSK_
	.p2align	8
	.type	_ZN7rocprim17ROCPRIM_400000_NS6detail17trampoline_kernelINS0_14default_configENS1_35radix_sort_onesweep_config_selectorIsNS0_10empty_typeEEEZZNS1_29radix_sort_onesweep_iterationIS3_Lb0EN6thrust23THRUST_200600_302600_NS6detail15normal_iteratorINS9_10device_ptrIsEEEESE_PS5_SF_jNS0_19identity_decomposerENS1_16block_id_wrapperIjLb1EEEEE10hipError_tT1_PNSt15iterator_traitsISK_E10value_typeET2_T3_PNSL_ISQ_E10value_typeET4_T5_PSV_SW_PNS1_23onesweep_lookback_stateEbbT6_jjT7_P12ihipStream_tbENKUlT_T0_SK_SP_E_clISE_PsSF_SF_EEDaS13_S14_SK_SP_EUlS13_E_NS1_11comp_targetILNS1_3genE3ELNS1_11target_archE908ELNS1_3gpuE7ELNS1_3repE0EEENS1_47radix_sort_onesweep_sort_config_static_selectorELNS0_4arch9wavefront6targetE1EEEvSK_,@function
_ZN7rocprim17ROCPRIM_400000_NS6detail17trampoline_kernelINS0_14default_configENS1_35radix_sort_onesweep_config_selectorIsNS0_10empty_typeEEEZZNS1_29radix_sort_onesweep_iterationIS3_Lb0EN6thrust23THRUST_200600_302600_NS6detail15normal_iteratorINS9_10device_ptrIsEEEESE_PS5_SF_jNS0_19identity_decomposerENS1_16block_id_wrapperIjLb1EEEEE10hipError_tT1_PNSt15iterator_traitsISK_E10value_typeET2_T3_PNSL_ISQ_E10value_typeET4_T5_PSV_SW_PNS1_23onesweep_lookback_stateEbbT6_jjT7_P12ihipStream_tbENKUlT_T0_SK_SP_E_clISE_PsSF_SF_EEDaS13_S14_SK_SP_EUlS13_E_NS1_11comp_targetILNS1_3genE3ELNS1_11target_archE908ELNS1_3gpuE7ELNS1_3repE0EEENS1_47radix_sort_onesweep_sort_config_static_selectorELNS0_4arch9wavefront6targetE1EEEvSK_: ; @_ZN7rocprim17ROCPRIM_400000_NS6detail17trampoline_kernelINS0_14default_configENS1_35radix_sort_onesweep_config_selectorIsNS0_10empty_typeEEEZZNS1_29radix_sort_onesweep_iterationIS3_Lb0EN6thrust23THRUST_200600_302600_NS6detail15normal_iteratorINS9_10device_ptrIsEEEESE_PS5_SF_jNS0_19identity_decomposerENS1_16block_id_wrapperIjLb1EEEEE10hipError_tT1_PNSt15iterator_traitsISK_E10value_typeET2_T3_PNSL_ISQ_E10value_typeET4_T5_PSV_SW_PNS1_23onesweep_lookback_stateEbbT6_jjT7_P12ihipStream_tbENKUlT_T0_SK_SP_E_clISE_PsSF_SF_EEDaS13_S14_SK_SP_EUlS13_E_NS1_11comp_targetILNS1_3genE3ELNS1_11target_archE908ELNS1_3gpuE7ELNS1_3repE0EEENS1_47radix_sort_onesweep_sort_config_static_selectorELNS0_4arch9wavefront6targetE1EEEvSK_
; %bb.0:
	.section	.rodata,"a",@progbits
	.p2align	6, 0x0
	.amdhsa_kernel _ZN7rocprim17ROCPRIM_400000_NS6detail17trampoline_kernelINS0_14default_configENS1_35radix_sort_onesweep_config_selectorIsNS0_10empty_typeEEEZZNS1_29radix_sort_onesweep_iterationIS3_Lb0EN6thrust23THRUST_200600_302600_NS6detail15normal_iteratorINS9_10device_ptrIsEEEESE_PS5_SF_jNS0_19identity_decomposerENS1_16block_id_wrapperIjLb1EEEEE10hipError_tT1_PNSt15iterator_traitsISK_E10value_typeET2_T3_PNSL_ISQ_E10value_typeET4_T5_PSV_SW_PNS1_23onesweep_lookback_stateEbbT6_jjT7_P12ihipStream_tbENKUlT_T0_SK_SP_E_clISE_PsSF_SF_EEDaS13_S14_SK_SP_EUlS13_E_NS1_11comp_targetILNS1_3genE3ELNS1_11target_archE908ELNS1_3gpuE7ELNS1_3repE0EEENS1_47radix_sort_onesweep_sort_config_static_selectorELNS0_4arch9wavefront6targetE1EEEvSK_
		.amdhsa_group_segment_fixed_size 0
		.amdhsa_private_segment_fixed_size 0
		.amdhsa_kernarg_size 88
		.amdhsa_user_sgpr_count 2
		.amdhsa_user_sgpr_dispatch_ptr 0
		.amdhsa_user_sgpr_queue_ptr 0
		.amdhsa_user_sgpr_kernarg_segment_ptr 1
		.amdhsa_user_sgpr_dispatch_id 0
		.amdhsa_user_sgpr_kernarg_preload_length 0
		.amdhsa_user_sgpr_kernarg_preload_offset 0
		.amdhsa_user_sgpr_private_segment_size 0
		.amdhsa_uses_dynamic_stack 0
		.amdhsa_enable_private_segment 0
		.amdhsa_system_sgpr_workgroup_id_x 1
		.amdhsa_system_sgpr_workgroup_id_y 0
		.amdhsa_system_sgpr_workgroup_id_z 0
		.amdhsa_system_sgpr_workgroup_info 0
		.amdhsa_system_vgpr_workitem_id 0
		.amdhsa_next_free_vgpr 1
		.amdhsa_next_free_sgpr 0
		.amdhsa_accum_offset 4
		.amdhsa_reserve_vcc 0
		.amdhsa_float_round_mode_32 0
		.amdhsa_float_round_mode_16_64 0
		.amdhsa_float_denorm_mode_32 3
		.amdhsa_float_denorm_mode_16_64 3
		.amdhsa_dx10_clamp 1
		.amdhsa_ieee_mode 1
		.amdhsa_fp16_overflow 0
		.amdhsa_tg_split 0
		.amdhsa_exception_fp_ieee_invalid_op 0
		.amdhsa_exception_fp_denorm_src 0
		.amdhsa_exception_fp_ieee_div_zero 0
		.amdhsa_exception_fp_ieee_overflow 0
		.amdhsa_exception_fp_ieee_underflow 0
		.amdhsa_exception_fp_ieee_inexact 0
		.amdhsa_exception_int_div_zero 0
	.end_amdhsa_kernel
	.section	.text._ZN7rocprim17ROCPRIM_400000_NS6detail17trampoline_kernelINS0_14default_configENS1_35radix_sort_onesweep_config_selectorIsNS0_10empty_typeEEEZZNS1_29radix_sort_onesweep_iterationIS3_Lb0EN6thrust23THRUST_200600_302600_NS6detail15normal_iteratorINS9_10device_ptrIsEEEESE_PS5_SF_jNS0_19identity_decomposerENS1_16block_id_wrapperIjLb1EEEEE10hipError_tT1_PNSt15iterator_traitsISK_E10value_typeET2_T3_PNSL_ISQ_E10value_typeET4_T5_PSV_SW_PNS1_23onesweep_lookback_stateEbbT6_jjT7_P12ihipStream_tbENKUlT_T0_SK_SP_E_clISE_PsSF_SF_EEDaS13_S14_SK_SP_EUlS13_E_NS1_11comp_targetILNS1_3genE3ELNS1_11target_archE908ELNS1_3gpuE7ELNS1_3repE0EEENS1_47radix_sort_onesweep_sort_config_static_selectorELNS0_4arch9wavefront6targetE1EEEvSK_,"axG",@progbits,_ZN7rocprim17ROCPRIM_400000_NS6detail17trampoline_kernelINS0_14default_configENS1_35radix_sort_onesweep_config_selectorIsNS0_10empty_typeEEEZZNS1_29radix_sort_onesweep_iterationIS3_Lb0EN6thrust23THRUST_200600_302600_NS6detail15normal_iteratorINS9_10device_ptrIsEEEESE_PS5_SF_jNS0_19identity_decomposerENS1_16block_id_wrapperIjLb1EEEEE10hipError_tT1_PNSt15iterator_traitsISK_E10value_typeET2_T3_PNSL_ISQ_E10value_typeET4_T5_PSV_SW_PNS1_23onesweep_lookback_stateEbbT6_jjT7_P12ihipStream_tbENKUlT_T0_SK_SP_E_clISE_PsSF_SF_EEDaS13_S14_SK_SP_EUlS13_E_NS1_11comp_targetILNS1_3genE3ELNS1_11target_archE908ELNS1_3gpuE7ELNS1_3repE0EEENS1_47radix_sort_onesweep_sort_config_static_selectorELNS0_4arch9wavefront6targetE1EEEvSK_,comdat
.Lfunc_end1964:
	.size	_ZN7rocprim17ROCPRIM_400000_NS6detail17trampoline_kernelINS0_14default_configENS1_35radix_sort_onesweep_config_selectorIsNS0_10empty_typeEEEZZNS1_29radix_sort_onesweep_iterationIS3_Lb0EN6thrust23THRUST_200600_302600_NS6detail15normal_iteratorINS9_10device_ptrIsEEEESE_PS5_SF_jNS0_19identity_decomposerENS1_16block_id_wrapperIjLb1EEEEE10hipError_tT1_PNSt15iterator_traitsISK_E10value_typeET2_T3_PNSL_ISQ_E10value_typeET4_T5_PSV_SW_PNS1_23onesweep_lookback_stateEbbT6_jjT7_P12ihipStream_tbENKUlT_T0_SK_SP_E_clISE_PsSF_SF_EEDaS13_S14_SK_SP_EUlS13_E_NS1_11comp_targetILNS1_3genE3ELNS1_11target_archE908ELNS1_3gpuE7ELNS1_3repE0EEENS1_47radix_sort_onesweep_sort_config_static_selectorELNS0_4arch9wavefront6targetE1EEEvSK_, .Lfunc_end1964-_ZN7rocprim17ROCPRIM_400000_NS6detail17trampoline_kernelINS0_14default_configENS1_35radix_sort_onesweep_config_selectorIsNS0_10empty_typeEEEZZNS1_29radix_sort_onesweep_iterationIS3_Lb0EN6thrust23THRUST_200600_302600_NS6detail15normal_iteratorINS9_10device_ptrIsEEEESE_PS5_SF_jNS0_19identity_decomposerENS1_16block_id_wrapperIjLb1EEEEE10hipError_tT1_PNSt15iterator_traitsISK_E10value_typeET2_T3_PNSL_ISQ_E10value_typeET4_T5_PSV_SW_PNS1_23onesweep_lookback_stateEbbT6_jjT7_P12ihipStream_tbENKUlT_T0_SK_SP_E_clISE_PsSF_SF_EEDaS13_S14_SK_SP_EUlS13_E_NS1_11comp_targetILNS1_3genE3ELNS1_11target_archE908ELNS1_3gpuE7ELNS1_3repE0EEENS1_47radix_sort_onesweep_sort_config_static_selectorELNS0_4arch9wavefront6targetE1EEEvSK_
                                        ; -- End function
	.section	.AMDGPU.csdata,"",@progbits
; Kernel info:
; codeLenInByte = 0
; NumSgprs: 6
; NumVgprs: 0
; NumAgprs: 0
; TotalNumVgprs: 0
; ScratchSize: 0
; MemoryBound: 0
; FloatMode: 240
; IeeeMode: 1
; LDSByteSize: 0 bytes/workgroup (compile time only)
; SGPRBlocks: 0
; VGPRBlocks: 0
; NumSGPRsForWavesPerEU: 6
; NumVGPRsForWavesPerEU: 1
; AccumOffset: 4
; Occupancy: 8
; WaveLimiterHint : 0
; COMPUTE_PGM_RSRC2:SCRATCH_EN: 0
; COMPUTE_PGM_RSRC2:USER_SGPR: 2
; COMPUTE_PGM_RSRC2:TRAP_HANDLER: 0
; COMPUTE_PGM_RSRC2:TGID_X_EN: 1
; COMPUTE_PGM_RSRC2:TGID_Y_EN: 0
; COMPUTE_PGM_RSRC2:TGID_Z_EN: 0
; COMPUTE_PGM_RSRC2:TIDIG_COMP_CNT: 0
; COMPUTE_PGM_RSRC3_GFX90A:ACCUM_OFFSET: 0
; COMPUTE_PGM_RSRC3_GFX90A:TG_SPLIT: 0
	.section	.text._ZN7rocprim17ROCPRIM_400000_NS6detail17trampoline_kernelINS0_14default_configENS1_35radix_sort_onesweep_config_selectorIsNS0_10empty_typeEEEZZNS1_29radix_sort_onesweep_iterationIS3_Lb0EN6thrust23THRUST_200600_302600_NS6detail15normal_iteratorINS9_10device_ptrIsEEEESE_PS5_SF_jNS0_19identity_decomposerENS1_16block_id_wrapperIjLb1EEEEE10hipError_tT1_PNSt15iterator_traitsISK_E10value_typeET2_T3_PNSL_ISQ_E10value_typeET4_T5_PSV_SW_PNS1_23onesweep_lookback_stateEbbT6_jjT7_P12ihipStream_tbENKUlT_T0_SK_SP_E_clISE_PsSF_SF_EEDaS13_S14_SK_SP_EUlS13_E_NS1_11comp_targetILNS1_3genE10ELNS1_11target_archE1201ELNS1_3gpuE5ELNS1_3repE0EEENS1_47radix_sort_onesweep_sort_config_static_selectorELNS0_4arch9wavefront6targetE1EEEvSK_,"axG",@progbits,_ZN7rocprim17ROCPRIM_400000_NS6detail17trampoline_kernelINS0_14default_configENS1_35radix_sort_onesweep_config_selectorIsNS0_10empty_typeEEEZZNS1_29radix_sort_onesweep_iterationIS3_Lb0EN6thrust23THRUST_200600_302600_NS6detail15normal_iteratorINS9_10device_ptrIsEEEESE_PS5_SF_jNS0_19identity_decomposerENS1_16block_id_wrapperIjLb1EEEEE10hipError_tT1_PNSt15iterator_traitsISK_E10value_typeET2_T3_PNSL_ISQ_E10value_typeET4_T5_PSV_SW_PNS1_23onesweep_lookback_stateEbbT6_jjT7_P12ihipStream_tbENKUlT_T0_SK_SP_E_clISE_PsSF_SF_EEDaS13_S14_SK_SP_EUlS13_E_NS1_11comp_targetILNS1_3genE10ELNS1_11target_archE1201ELNS1_3gpuE5ELNS1_3repE0EEENS1_47radix_sort_onesweep_sort_config_static_selectorELNS0_4arch9wavefront6targetE1EEEvSK_,comdat
	.protected	_ZN7rocprim17ROCPRIM_400000_NS6detail17trampoline_kernelINS0_14default_configENS1_35radix_sort_onesweep_config_selectorIsNS0_10empty_typeEEEZZNS1_29radix_sort_onesweep_iterationIS3_Lb0EN6thrust23THRUST_200600_302600_NS6detail15normal_iteratorINS9_10device_ptrIsEEEESE_PS5_SF_jNS0_19identity_decomposerENS1_16block_id_wrapperIjLb1EEEEE10hipError_tT1_PNSt15iterator_traitsISK_E10value_typeET2_T3_PNSL_ISQ_E10value_typeET4_T5_PSV_SW_PNS1_23onesweep_lookback_stateEbbT6_jjT7_P12ihipStream_tbENKUlT_T0_SK_SP_E_clISE_PsSF_SF_EEDaS13_S14_SK_SP_EUlS13_E_NS1_11comp_targetILNS1_3genE10ELNS1_11target_archE1201ELNS1_3gpuE5ELNS1_3repE0EEENS1_47radix_sort_onesweep_sort_config_static_selectorELNS0_4arch9wavefront6targetE1EEEvSK_ ; -- Begin function _ZN7rocprim17ROCPRIM_400000_NS6detail17trampoline_kernelINS0_14default_configENS1_35radix_sort_onesweep_config_selectorIsNS0_10empty_typeEEEZZNS1_29radix_sort_onesweep_iterationIS3_Lb0EN6thrust23THRUST_200600_302600_NS6detail15normal_iteratorINS9_10device_ptrIsEEEESE_PS5_SF_jNS0_19identity_decomposerENS1_16block_id_wrapperIjLb1EEEEE10hipError_tT1_PNSt15iterator_traitsISK_E10value_typeET2_T3_PNSL_ISQ_E10value_typeET4_T5_PSV_SW_PNS1_23onesweep_lookback_stateEbbT6_jjT7_P12ihipStream_tbENKUlT_T0_SK_SP_E_clISE_PsSF_SF_EEDaS13_S14_SK_SP_EUlS13_E_NS1_11comp_targetILNS1_3genE10ELNS1_11target_archE1201ELNS1_3gpuE5ELNS1_3repE0EEENS1_47radix_sort_onesweep_sort_config_static_selectorELNS0_4arch9wavefront6targetE1EEEvSK_
	.globl	_ZN7rocprim17ROCPRIM_400000_NS6detail17trampoline_kernelINS0_14default_configENS1_35radix_sort_onesweep_config_selectorIsNS0_10empty_typeEEEZZNS1_29radix_sort_onesweep_iterationIS3_Lb0EN6thrust23THRUST_200600_302600_NS6detail15normal_iteratorINS9_10device_ptrIsEEEESE_PS5_SF_jNS0_19identity_decomposerENS1_16block_id_wrapperIjLb1EEEEE10hipError_tT1_PNSt15iterator_traitsISK_E10value_typeET2_T3_PNSL_ISQ_E10value_typeET4_T5_PSV_SW_PNS1_23onesweep_lookback_stateEbbT6_jjT7_P12ihipStream_tbENKUlT_T0_SK_SP_E_clISE_PsSF_SF_EEDaS13_S14_SK_SP_EUlS13_E_NS1_11comp_targetILNS1_3genE10ELNS1_11target_archE1201ELNS1_3gpuE5ELNS1_3repE0EEENS1_47radix_sort_onesweep_sort_config_static_selectorELNS0_4arch9wavefront6targetE1EEEvSK_
	.p2align	8
	.type	_ZN7rocprim17ROCPRIM_400000_NS6detail17trampoline_kernelINS0_14default_configENS1_35radix_sort_onesweep_config_selectorIsNS0_10empty_typeEEEZZNS1_29radix_sort_onesweep_iterationIS3_Lb0EN6thrust23THRUST_200600_302600_NS6detail15normal_iteratorINS9_10device_ptrIsEEEESE_PS5_SF_jNS0_19identity_decomposerENS1_16block_id_wrapperIjLb1EEEEE10hipError_tT1_PNSt15iterator_traitsISK_E10value_typeET2_T3_PNSL_ISQ_E10value_typeET4_T5_PSV_SW_PNS1_23onesweep_lookback_stateEbbT6_jjT7_P12ihipStream_tbENKUlT_T0_SK_SP_E_clISE_PsSF_SF_EEDaS13_S14_SK_SP_EUlS13_E_NS1_11comp_targetILNS1_3genE10ELNS1_11target_archE1201ELNS1_3gpuE5ELNS1_3repE0EEENS1_47radix_sort_onesweep_sort_config_static_selectorELNS0_4arch9wavefront6targetE1EEEvSK_,@function
_ZN7rocprim17ROCPRIM_400000_NS6detail17trampoline_kernelINS0_14default_configENS1_35radix_sort_onesweep_config_selectorIsNS0_10empty_typeEEEZZNS1_29radix_sort_onesweep_iterationIS3_Lb0EN6thrust23THRUST_200600_302600_NS6detail15normal_iteratorINS9_10device_ptrIsEEEESE_PS5_SF_jNS0_19identity_decomposerENS1_16block_id_wrapperIjLb1EEEEE10hipError_tT1_PNSt15iterator_traitsISK_E10value_typeET2_T3_PNSL_ISQ_E10value_typeET4_T5_PSV_SW_PNS1_23onesweep_lookback_stateEbbT6_jjT7_P12ihipStream_tbENKUlT_T0_SK_SP_E_clISE_PsSF_SF_EEDaS13_S14_SK_SP_EUlS13_E_NS1_11comp_targetILNS1_3genE10ELNS1_11target_archE1201ELNS1_3gpuE5ELNS1_3repE0EEENS1_47radix_sort_onesweep_sort_config_static_selectorELNS0_4arch9wavefront6targetE1EEEvSK_: ; @_ZN7rocprim17ROCPRIM_400000_NS6detail17trampoline_kernelINS0_14default_configENS1_35radix_sort_onesweep_config_selectorIsNS0_10empty_typeEEEZZNS1_29radix_sort_onesweep_iterationIS3_Lb0EN6thrust23THRUST_200600_302600_NS6detail15normal_iteratorINS9_10device_ptrIsEEEESE_PS5_SF_jNS0_19identity_decomposerENS1_16block_id_wrapperIjLb1EEEEE10hipError_tT1_PNSt15iterator_traitsISK_E10value_typeET2_T3_PNSL_ISQ_E10value_typeET4_T5_PSV_SW_PNS1_23onesweep_lookback_stateEbbT6_jjT7_P12ihipStream_tbENKUlT_T0_SK_SP_E_clISE_PsSF_SF_EEDaS13_S14_SK_SP_EUlS13_E_NS1_11comp_targetILNS1_3genE10ELNS1_11target_archE1201ELNS1_3gpuE5ELNS1_3repE0EEENS1_47radix_sort_onesweep_sort_config_static_selectorELNS0_4arch9wavefront6targetE1EEEvSK_
; %bb.0:
	.section	.rodata,"a",@progbits
	.p2align	6, 0x0
	.amdhsa_kernel _ZN7rocprim17ROCPRIM_400000_NS6detail17trampoline_kernelINS0_14default_configENS1_35radix_sort_onesweep_config_selectorIsNS0_10empty_typeEEEZZNS1_29radix_sort_onesweep_iterationIS3_Lb0EN6thrust23THRUST_200600_302600_NS6detail15normal_iteratorINS9_10device_ptrIsEEEESE_PS5_SF_jNS0_19identity_decomposerENS1_16block_id_wrapperIjLb1EEEEE10hipError_tT1_PNSt15iterator_traitsISK_E10value_typeET2_T3_PNSL_ISQ_E10value_typeET4_T5_PSV_SW_PNS1_23onesweep_lookback_stateEbbT6_jjT7_P12ihipStream_tbENKUlT_T0_SK_SP_E_clISE_PsSF_SF_EEDaS13_S14_SK_SP_EUlS13_E_NS1_11comp_targetILNS1_3genE10ELNS1_11target_archE1201ELNS1_3gpuE5ELNS1_3repE0EEENS1_47radix_sort_onesweep_sort_config_static_selectorELNS0_4arch9wavefront6targetE1EEEvSK_
		.amdhsa_group_segment_fixed_size 0
		.amdhsa_private_segment_fixed_size 0
		.amdhsa_kernarg_size 88
		.amdhsa_user_sgpr_count 2
		.amdhsa_user_sgpr_dispatch_ptr 0
		.amdhsa_user_sgpr_queue_ptr 0
		.amdhsa_user_sgpr_kernarg_segment_ptr 1
		.amdhsa_user_sgpr_dispatch_id 0
		.amdhsa_user_sgpr_kernarg_preload_length 0
		.amdhsa_user_sgpr_kernarg_preload_offset 0
		.amdhsa_user_sgpr_private_segment_size 0
		.amdhsa_uses_dynamic_stack 0
		.amdhsa_enable_private_segment 0
		.amdhsa_system_sgpr_workgroup_id_x 1
		.amdhsa_system_sgpr_workgroup_id_y 0
		.amdhsa_system_sgpr_workgroup_id_z 0
		.amdhsa_system_sgpr_workgroup_info 0
		.amdhsa_system_vgpr_workitem_id 0
		.amdhsa_next_free_vgpr 1
		.amdhsa_next_free_sgpr 0
		.amdhsa_accum_offset 4
		.amdhsa_reserve_vcc 0
		.amdhsa_float_round_mode_32 0
		.amdhsa_float_round_mode_16_64 0
		.amdhsa_float_denorm_mode_32 3
		.amdhsa_float_denorm_mode_16_64 3
		.amdhsa_dx10_clamp 1
		.amdhsa_ieee_mode 1
		.amdhsa_fp16_overflow 0
		.amdhsa_tg_split 0
		.amdhsa_exception_fp_ieee_invalid_op 0
		.amdhsa_exception_fp_denorm_src 0
		.amdhsa_exception_fp_ieee_div_zero 0
		.amdhsa_exception_fp_ieee_overflow 0
		.amdhsa_exception_fp_ieee_underflow 0
		.amdhsa_exception_fp_ieee_inexact 0
		.amdhsa_exception_int_div_zero 0
	.end_amdhsa_kernel
	.section	.text._ZN7rocprim17ROCPRIM_400000_NS6detail17trampoline_kernelINS0_14default_configENS1_35radix_sort_onesweep_config_selectorIsNS0_10empty_typeEEEZZNS1_29radix_sort_onesweep_iterationIS3_Lb0EN6thrust23THRUST_200600_302600_NS6detail15normal_iteratorINS9_10device_ptrIsEEEESE_PS5_SF_jNS0_19identity_decomposerENS1_16block_id_wrapperIjLb1EEEEE10hipError_tT1_PNSt15iterator_traitsISK_E10value_typeET2_T3_PNSL_ISQ_E10value_typeET4_T5_PSV_SW_PNS1_23onesweep_lookback_stateEbbT6_jjT7_P12ihipStream_tbENKUlT_T0_SK_SP_E_clISE_PsSF_SF_EEDaS13_S14_SK_SP_EUlS13_E_NS1_11comp_targetILNS1_3genE10ELNS1_11target_archE1201ELNS1_3gpuE5ELNS1_3repE0EEENS1_47radix_sort_onesweep_sort_config_static_selectorELNS0_4arch9wavefront6targetE1EEEvSK_,"axG",@progbits,_ZN7rocprim17ROCPRIM_400000_NS6detail17trampoline_kernelINS0_14default_configENS1_35radix_sort_onesweep_config_selectorIsNS0_10empty_typeEEEZZNS1_29radix_sort_onesweep_iterationIS3_Lb0EN6thrust23THRUST_200600_302600_NS6detail15normal_iteratorINS9_10device_ptrIsEEEESE_PS5_SF_jNS0_19identity_decomposerENS1_16block_id_wrapperIjLb1EEEEE10hipError_tT1_PNSt15iterator_traitsISK_E10value_typeET2_T3_PNSL_ISQ_E10value_typeET4_T5_PSV_SW_PNS1_23onesweep_lookback_stateEbbT6_jjT7_P12ihipStream_tbENKUlT_T0_SK_SP_E_clISE_PsSF_SF_EEDaS13_S14_SK_SP_EUlS13_E_NS1_11comp_targetILNS1_3genE10ELNS1_11target_archE1201ELNS1_3gpuE5ELNS1_3repE0EEENS1_47radix_sort_onesweep_sort_config_static_selectorELNS0_4arch9wavefront6targetE1EEEvSK_,comdat
.Lfunc_end1965:
	.size	_ZN7rocprim17ROCPRIM_400000_NS6detail17trampoline_kernelINS0_14default_configENS1_35radix_sort_onesweep_config_selectorIsNS0_10empty_typeEEEZZNS1_29radix_sort_onesweep_iterationIS3_Lb0EN6thrust23THRUST_200600_302600_NS6detail15normal_iteratorINS9_10device_ptrIsEEEESE_PS5_SF_jNS0_19identity_decomposerENS1_16block_id_wrapperIjLb1EEEEE10hipError_tT1_PNSt15iterator_traitsISK_E10value_typeET2_T3_PNSL_ISQ_E10value_typeET4_T5_PSV_SW_PNS1_23onesweep_lookback_stateEbbT6_jjT7_P12ihipStream_tbENKUlT_T0_SK_SP_E_clISE_PsSF_SF_EEDaS13_S14_SK_SP_EUlS13_E_NS1_11comp_targetILNS1_3genE10ELNS1_11target_archE1201ELNS1_3gpuE5ELNS1_3repE0EEENS1_47radix_sort_onesweep_sort_config_static_selectorELNS0_4arch9wavefront6targetE1EEEvSK_, .Lfunc_end1965-_ZN7rocprim17ROCPRIM_400000_NS6detail17trampoline_kernelINS0_14default_configENS1_35radix_sort_onesweep_config_selectorIsNS0_10empty_typeEEEZZNS1_29radix_sort_onesweep_iterationIS3_Lb0EN6thrust23THRUST_200600_302600_NS6detail15normal_iteratorINS9_10device_ptrIsEEEESE_PS5_SF_jNS0_19identity_decomposerENS1_16block_id_wrapperIjLb1EEEEE10hipError_tT1_PNSt15iterator_traitsISK_E10value_typeET2_T3_PNSL_ISQ_E10value_typeET4_T5_PSV_SW_PNS1_23onesweep_lookback_stateEbbT6_jjT7_P12ihipStream_tbENKUlT_T0_SK_SP_E_clISE_PsSF_SF_EEDaS13_S14_SK_SP_EUlS13_E_NS1_11comp_targetILNS1_3genE10ELNS1_11target_archE1201ELNS1_3gpuE5ELNS1_3repE0EEENS1_47radix_sort_onesweep_sort_config_static_selectorELNS0_4arch9wavefront6targetE1EEEvSK_
                                        ; -- End function
	.section	.AMDGPU.csdata,"",@progbits
; Kernel info:
; codeLenInByte = 0
; NumSgprs: 6
; NumVgprs: 0
; NumAgprs: 0
; TotalNumVgprs: 0
; ScratchSize: 0
; MemoryBound: 0
; FloatMode: 240
; IeeeMode: 1
; LDSByteSize: 0 bytes/workgroup (compile time only)
; SGPRBlocks: 0
; VGPRBlocks: 0
; NumSGPRsForWavesPerEU: 6
; NumVGPRsForWavesPerEU: 1
; AccumOffset: 4
; Occupancy: 8
; WaveLimiterHint : 0
; COMPUTE_PGM_RSRC2:SCRATCH_EN: 0
; COMPUTE_PGM_RSRC2:USER_SGPR: 2
; COMPUTE_PGM_RSRC2:TRAP_HANDLER: 0
; COMPUTE_PGM_RSRC2:TGID_X_EN: 1
; COMPUTE_PGM_RSRC2:TGID_Y_EN: 0
; COMPUTE_PGM_RSRC2:TGID_Z_EN: 0
; COMPUTE_PGM_RSRC2:TIDIG_COMP_CNT: 0
; COMPUTE_PGM_RSRC3_GFX90A:ACCUM_OFFSET: 0
; COMPUTE_PGM_RSRC3_GFX90A:TG_SPLIT: 0
	.section	.text._ZN7rocprim17ROCPRIM_400000_NS6detail17trampoline_kernelINS0_14default_configENS1_35radix_sort_onesweep_config_selectorIsNS0_10empty_typeEEEZZNS1_29radix_sort_onesweep_iterationIS3_Lb0EN6thrust23THRUST_200600_302600_NS6detail15normal_iteratorINS9_10device_ptrIsEEEESE_PS5_SF_jNS0_19identity_decomposerENS1_16block_id_wrapperIjLb1EEEEE10hipError_tT1_PNSt15iterator_traitsISK_E10value_typeET2_T3_PNSL_ISQ_E10value_typeET4_T5_PSV_SW_PNS1_23onesweep_lookback_stateEbbT6_jjT7_P12ihipStream_tbENKUlT_T0_SK_SP_E_clISE_PsSF_SF_EEDaS13_S14_SK_SP_EUlS13_E_NS1_11comp_targetILNS1_3genE9ELNS1_11target_archE1100ELNS1_3gpuE3ELNS1_3repE0EEENS1_47radix_sort_onesweep_sort_config_static_selectorELNS0_4arch9wavefront6targetE1EEEvSK_,"axG",@progbits,_ZN7rocprim17ROCPRIM_400000_NS6detail17trampoline_kernelINS0_14default_configENS1_35radix_sort_onesweep_config_selectorIsNS0_10empty_typeEEEZZNS1_29radix_sort_onesweep_iterationIS3_Lb0EN6thrust23THRUST_200600_302600_NS6detail15normal_iteratorINS9_10device_ptrIsEEEESE_PS5_SF_jNS0_19identity_decomposerENS1_16block_id_wrapperIjLb1EEEEE10hipError_tT1_PNSt15iterator_traitsISK_E10value_typeET2_T3_PNSL_ISQ_E10value_typeET4_T5_PSV_SW_PNS1_23onesweep_lookback_stateEbbT6_jjT7_P12ihipStream_tbENKUlT_T0_SK_SP_E_clISE_PsSF_SF_EEDaS13_S14_SK_SP_EUlS13_E_NS1_11comp_targetILNS1_3genE9ELNS1_11target_archE1100ELNS1_3gpuE3ELNS1_3repE0EEENS1_47radix_sort_onesweep_sort_config_static_selectorELNS0_4arch9wavefront6targetE1EEEvSK_,comdat
	.protected	_ZN7rocprim17ROCPRIM_400000_NS6detail17trampoline_kernelINS0_14default_configENS1_35radix_sort_onesweep_config_selectorIsNS0_10empty_typeEEEZZNS1_29radix_sort_onesweep_iterationIS3_Lb0EN6thrust23THRUST_200600_302600_NS6detail15normal_iteratorINS9_10device_ptrIsEEEESE_PS5_SF_jNS0_19identity_decomposerENS1_16block_id_wrapperIjLb1EEEEE10hipError_tT1_PNSt15iterator_traitsISK_E10value_typeET2_T3_PNSL_ISQ_E10value_typeET4_T5_PSV_SW_PNS1_23onesweep_lookback_stateEbbT6_jjT7_P12ihipStream_tbENKUlT_T0_SK_SP_E_clISE_PsSF_SF_EEDaS13_S14_SK_SP_EUlS13_E_NS1_11comp_targetILNS1_3genE9ELNS1_11target_archE1100ELNS1_3gpuE3ELNS1_3repE0EEENS1_47radix_sort_onesweep_sort_config_static_selectorELNS0_4arch9wavefront6targetE1EEEvSK_ ; -- Begin function _ZN7rocprim17ROCPRIM_400000_NS6detail17trampoline_kernelINS0_14default_configENS1_35radix_sort_onesweep_config_selectorIsNS0_10empty_typeEEEZZNS1_29radix_sort_onesweep_iterationIS3_Lb0EN6thrust23THRUST_200600_302600_NS6detail15normal_iteratorINS9_10device_ptrIsEEEESE_PS5_SF_jNS0_19identity_decomposerENS1_16block_id_wrapperIjLb1EEEEE10hipError_tT1_PNSt15iterator_traitsISK_E10value_typeET2_T3_PNSL_ISQ_E10value_typeET4_T5_PSV_SW_PNS1_23onesweep_lookback_stateEbbT6_jjT7_P12ihipStream_tbENKUlT_T0_SK_SP_E_clISE_PsSF_SF_EEDaS13_S14_SK_SP_EUlS13_E_NS1_11comp_targetILNS1_3genE9ELNS1_11target_archE1100ELNS1_3gpuE3ELNS1_3repE0EEENS1_47radix_sort_onesweep_sort_config_static_selectorELNS0_4arch9wavefront6targetE1EEEvSK_
	.globl	_ZN7rocprim17ROCPRIM_400000_NS6detail17trampoline_kernelINS0_14default_configENS1_35radix_sort_onesweep_config_selectorIsNS0_10empty_typeEEEZZNS1_29radix_sort_onesweep_iterationIS3_Lb0EN6thrust23THRUST_200600_302600_NS6detail15normal_iteratorINS9_10device_ptrIsEEEESE_PS5_SF_jNS0_19identity_decomposerENS1_16block_id_wrapperIjLb1EEEEE10hipError_tT1_PNSt15iterator_traitsISK_E10value_typeET2_T3_PNSL_ISQ_E10value_typeET4_T5_PSV_SW_PNS1_23onesweep_lookback_stateEbbT6_jjT7_P12ihipStream_tbENKUlT_T0_SK_SP_E_clISE_PsSF_SF_EEDaS13_S14_SK_SP_EUlS13_E_NS1_11comp_targetILNS1_3genE9ELNS1_11target_archE1100ELNS1_3gpuE3ELNS1_3repE0EEENS1_47radix_sort_onesweep_sort_config_static_selectorELNS0_4arch9wavefront6targetE1EEEvSK_
	.p2align	8
	.type	_ZN7rocprim17ROCPRIM_400000_NS6detail17trampoline_kernelINS0_14default_configENS1_35radix_sort_onesweep_config_selectorIsNS0_10empty_typeEEEZZNS1_29radix_sort_onesweep_iterationIS3_Lb0EN6thrust23THRUST_200600_302600_NS6detail15normal_iteratorINS9_10device_ptrIsEEEESE_PS5_SF_jNS0_19identity_decomposerENS1_16block_id_wrapperIjLb1EEEEE10hipError_tT1_PNSt15iterator_traitsISK_E10value_typeET2_T3_PNSL_ISQ_E10value_typeET4_T5_PSV_SW_PNS1_23onesweep_lookback_stateEbbT6_jjT7_P12ihipStream_tbENKUlT_T0_SK_SP_E_clISE_PsSF_SF_EEDaS13_S14_SK_SP_EUlS13_E_NS1_11comp_targetILNS1_3genE9ELNS1_11target_archE1100ELNS1_3gpuE3ELNS1_3repE0EEENS1_47radix_sort_onesweep_sort_config_static_selectorELNS0_4arch9wavefront6targetE1EEEvSK_,@function
_ZN7rocprim17ROCPRIM_400000_NS6detail17trampoline_kernelINS0_14default_configENS1_35radix_sort_onesweep_config_selectorIsNS0_10empty_typeEEEZZNS1_29radix_sort_onesweep_iterationIS3_Lb0EN6thrust23THRUST_200600_302600_NS6detail15normal_iteratorINS9_10device_ptrIsEEEESE_PS5_SF_jNS0_19identity_decomposerENS1_16block_id_wrapperIjLb1EEEEE10hipError_tT1_PNSt15iterator_traitsISK_E10value_typeET2_T3_PNSL_ISQ_E10value_typeET4_T5_PSV_SW_PNS1_23onesweep_lookback_stateEbbT6_jjT7_P12ihipStream_tbENKUlT_T0_SK_SP_E_clISE_PsSF_SF_EEDaS13_S14_SK_SP_EUlS13_E_NS1_11comp_targetILNS1_3genE9ELNS1_11target_archE1100ELNS1_3gpuE3ELNS1_3repE0EEENS1_47radix_sort_onesweep_sort_config_static_selectorELNS0_4arch9wavefront6targetE1EEEvSK_: ; @_ZN7rocprim17ROCPRIM_400000_NS6detail17trampoline_kernelINS0_14default_configENS1_35radix_sort_onesweep_config_selectorIsNS0_10empty_typeEEEZZNS1_29radix_sort_onesweep_iterationIS3_Lb0EN6thrust23THRUST_200600_302600_NS6detail15normal_iteratorINS9_10device_ptrIsEEEESE_PS5_SF_jNS0_19identity_decomposerENS1_16block_id_wrapperIjLb1EEEEE10hipError_tT1_PNSt15iterator_traitsISK_E10value_typeET2_T3_PNSL_ISQ_E10value_typeET4_T5_PSV_SW_PNS1_23onesweep_lookback_stateEbbT6_jjT7_P12ihipStream_tbENKUlT_T0_SK_SP_E_clISE_PsSF_SF_EEDaS13_S14_SK_SP_EUlS13_E_NS1_11comp_targetILNS1_3genE9ELNS1_11target_archE1100ELNS1_3gpuE3ELNS1_3repE0EEENS1_47radix_sort_onesweep_sort_config_static_selectorELNS0_4arch9wavefront6targetE1EEEvSK_
; %bb.0:
	.section	.rodata,"a",@progbits
	.p2align	6, 0x0
	.amdhsa_kernel _ZN7rocprim17ROCPRIM_400000_NS6detail17trampoline_kernelINS0_14default_configENS1_35radix_sort_onesweep_config_selectorIsNS0_10empty_typeEEEZZNS1_29radix_sort_onesweep_iterationIS3_Lb0EN6thrust23THRUST_200600_302600_NS6detail15normal_iteratorINS9_10device_ptrIsEEEESE_PS5_SF_jNS0_19identity_decomposerENS1_16block_id_wrapperIjLb1EEEEE10hipError_tT1_PNSt15iterator_traitsISK_E10value_typeET2_T3_PNSL_ISQ_E10value_typeET4_T5_PSV_SW_PNS1_23onesweep_lookback_stateEbbT6_jjT7_P12ihipStream_tbENKUlT_T0_SK_SP_E_clISE_PsSF_SF_EEDaS13_S14_SK_SP_EUlS13_E_NS1_11comp_targetILNS1_3genE9ELNS1_11target_archE1100ELNS1_3gpuE3ELNS1_3repE0EEENS1_47radix_sort_onesweep_sort_config_static_selectorELNS0_4arch9wavefront6targetE1EEEvSK_
		.amdhsa_group_segment_fixed_size 0
		.amdhsa_private_segment_fixed_size 0
		.amdhsa_kernarg_size 88
		.amdhsa_user_sgpr_count 2
		.amdhsa_user_sgpr_dispatch_ptr 0
		.amdhsa_user_sgpr_queue_ptr 0
		.amdhsa_user_sgpr_kernarg_segment_ptr 1
		.amdhsa_user_sgpr_dispatch_id 0
		.amdhsa_user_sgpr_kernarg_preload_length 0
		.amdhsa_user_sgpr_kernarg_preload_offset 0
		.amdhsa_user_sgpr_private_segment_size 0
		.amdhsa_uses_dynamic_stack 0
		.amdhsa_enable_private_segment 0
		.amdhsa_system_sgpr_workgroup_id_x 1
		.amdhsa_system_sgpr_workgroup_id_y 0
		.amdhsa_system_sgpr_workgroup_id_z 0
		.amdhsa_system_sgpr_workgroup_info 0
		.amdhsa_system_vgpr_workitem_id 0
		.amdhsa_next_free_vgpr 1
		.amdhsa_next_free_sgpr 0
		.amdhsa_accum_offset 4
		.amdhsa_reserve_vcc 0
		.amdhsa_float_round_mode_32 0
		.amdhsa_float_round_mode_16_64 0
		.amdhsa_float_denorm_mode_32 3
		.amdhsa_float_denorm_mode_16_64 3
		.amdhsa_dx10_clamp 1
		.amdhsa_ieee_mode 1
		.amdhsa_fp16_overflow 0
		.amdhsa_tg_split 0
		.amdhsa_exception_fp_ieee_invalid_op 0
		.amdhsa_exception_fp_denorm_src 0
		.amdhsa_exception_fp_ieee_div_zero 0
		.amdhsa_exception_fp_ieee_overflow 0
		.amdhsa_exception_fp_ieee_underflow 0
		.amdhsa_exception_fp_ieee_inexact 0
		.amdhsa_exception_int_div_zero 0
	.end_amdhsa_kernel
	.section	.text._ZN7rocprim17ROCPRIM_400000_NS6detail17trampoline_kernelINS0_14default_configENS1_35radix_sort_onesweep_config_selectorIsNS0_10empty_typeEEEZZNS1_29radix_sort_onesweep_iterationIS3_Lb0EN6thrust23THRUST_200600_302600_NS6detail15normal_iteratorINS9_10device_ptrIsEEEESE_PS5_SF_jNS0_19identity_decomposerENS1_16block_id_wrapperIjLb1EEEEE10hipError_tT1_PNSt15iterator_traitsISK_E10value_typeET2_T3_PNSL_ISQ_E10value_typeET4_T5_PSV_SW_PNS1_23onesweep_lookback_stateEbbT6_jjT7_P12ihipStream_tbENKUlT_T0_SK_SP_E_clISE_PsSF_SF_EEDaS13_S14_SK_SP_EUlS13_E_NS1_11comp_targetILNS1_3genE9ELNS1_11target_archE1100ELNS1_3gpuE3ELNS1_3repE0EEENS1_47radix_sort_onesweep_sort_config_static_selectorELNS0_4arch9wavefront6targetE1EEEvSK_,"axG",@progbits,_ZN7rocprim17ROCPRIM_400000_NS6detail17trampoline_kernelINS0_14default_configENS1_35radix_sort_onesweep_config_selectorIsNS0_10empty_typeEEEZZNS1_29radix_sort_onesweep_iterationIS3_Lb0EN6thrust23THRUST_200600_302600_NS6detail15normal_iteratorINS9_10device_ptrIsEEEESE_PS5_SF_jNS0_19identity_decomposerENS1_16block_id_wrapperIjLb1EEEEE10hipError_tT1_PNSt15iterator_traitsISK_E10value_typeET2_T3_PNSL_ISQ_E10value_typeET4_T5_PSV_SW_PNS1_23onesweep_lookback_stateEbbT6_jjT7_P12ihipStream_tbENKUlT_T0_SK_SP_E_clISE_PsSF_SF_EEDaS13_S14_SK_SP_EUlS13_E_NS1_11comp_targetILNS1_3genE9ELNS1_11target_archE1100ELNS1_3gpuE3ELNS1_3repE0EEENS1_47radix_sort_onesweep_sort_config_static_selectorELNS0_4arch9wavefront6targetE1EEEvSK_,comdat
.Lfunc_end1966:
	.size	_ZN7rocprim17ROCPRIM_400000_NS6detail17trampoline_kernelINS0_14default_configENS1_35radix_sort_onesweep_config_selectorIsNS0_10empty_typeEEEZZNS1_29radix_sort_onesweep_iterationIS3_Lb0EN6thrust23THRUST_200600_302600_NS6detail15normal_iteratorINS9_10device_ptrIsEEEESE_PS5_SF_jNS0_19identity_decomposerENS1_16block_id_wrapperIjLb1EEEEE10hipError_tT1_PNSt15iterator_traitsISK_E10value_typeET2_T3_PNSL_ISQ_E10value_typeET4_T5_PSV_SW_PNS1_23onesweep_lookback_stateEbbT6_jjT7_P12ihipStream_tbENKUlT_T0_SK_SP_E_clISE_PsSF_SF_EEDaS13_S14_SK_SP_EUlS13_E_NS1_11comp_targetILNS1_3genE9ELNS1_11target_archE1100ELNS1_3gpuE3ELNS1_3repE0EEENS1_47radix_sort_onesweep_sort_config_static_selectorELNS0_4arch9wavefront6targetE1EEEvSK_, .Lfunc_end1966-_ZN7rocprim17ROCPRIM_400000_NS6detail17trampoline_kernelINS0_14default_configENS1_35radix_sort_onesweep_config_selectorIsNS0_10empty_typeEEEZZNS1_29radix_sort_onesweep_iterationIS3_Lb0EN6thrust23THRUST_200600_302600_NS6detail15normal_iteratorINS9_10device_ptrIsEEEESE_PS5_SF_jNS0_19identity_decomposerENS1_16block_id_wrapperIjLb1EEEEE10hipError_tT1_PNSt15iterator_traitsISK_E10value_typeET2_T3_PNSL_ISQ_E10value_typeET4_T5_PSV_SW_PNS1_23onesweep_lookback_stateEbbT6_jjT7_P12ihipStream_tbENKUlT_T0_SK_SP_E_clISE_PsSF_SF_EEDaS13_S14_SK_SP_EUlS13_E_NS1_11comp_targetILNS1_3genE9ELNS1_11target_archE1100ELNS1_3gpuE3ELNS1_3repE0EEENS1_47radix_sort_onesweep_sort_config_static_selectorELNS0_4arch9wavefront6targetE1EEEvSK_
                                        ; -- End function
	.section	.AMDGPU.csdata,"",@progbits
; Kernel info:
; codeLenInByte = 0
; NumSgprs: 6
; NumVgprs: 0
; NumAgprs: 0
; TotalNumVgprs: 0
; ScratchSize: 0
; MemoryBound: 0
; FloatMode: 240
; IeeeMode: 1
; LDSByteSize: 0 bytes/workgroup (compile time only)
; SGPRBlocks: 0
; VGPRBlocks: 0
; NumSGPRsForWavesPerEU: 6
; NumVGPRsForWavesPerEU: 1
; AccumOffset: 4
; Occupancy: 8
; WaveLimiterHint : 0
; COMPUTE_PGM_RSRC2:SCRATCH_EN: 0
; COMPUTE_PGM_RSRC2:USER_SGPR: 2
; COMPUTE_PGM_RSRC2:TRAP_HANDLER: 0
; COMPUTE_PGM_RSRC2:TGID_X_EN: 1
; COMPUTE_PGM_RSRC2:TGID_Y_EN: 0
; COMPUTE_PGM_RSRC2:TGID_Z_EN: 0
; COMPUTE_PGM_RSRC2:TIDIG_COMP_CNT: 0
; COMPUTE_PGM_RSRC3_GFX90A:ACCUM_OFFSET: 0
; COMPUTE_PGM_RSRC3_GFX90A:TG_SPLIT: 0
	.section	.text._ZN7rocprim17ROCPRIM_400000_NS6detail17trampoline_kernelINS0_14default_configENS1_35radix_sort_onesweep_config_selectorIsNS0_10empty_typeEEEZZNS1_29radix_sort_onesweep_iterationIS3_Lb0EN6thrust23THRUST_200600_302600_NS6detail15normal_iteratorINS9_10device_ptrIsEEEESE_PS5_SF_jNS0_19identity_decomposerENS1_16block_id_wrapperIjLb1EEEEE10hipError_tT1_PNSt15iterator_traitsISK_E10value_typeET2_T3_PNSL_ISQ_E10value_typeET4_T5_PSV_SW_PNS1_23onesweep_lookback_stateEbbT6_jjT7_P12ihipStream_tbENKUlT_T0_SK_SP_E_clISE_PsSF_SF_EEDaS13_S14_SK_SP_EUlS13_E_NS1_11comp_targetILNS1_3genE8ELNS1_11target_archE1030ELNS1_3gpuE2ELNS1_3repE0EEENS1_47radix_sort_onesweep_sort_config_static_selectorELNS0_4arch9wavefront6targetE1EEEvSK_,"axG",@progbits,_ZN7rocprim17ROCPRIM_400000_NS6detail17trampoline_kernelINS0_14default_configENS1_35radix_sort_onesweep_config_selectorIsNS0_10empty_typeEEEZZNS1_29radix_sort_onesweep_iterationIS3_Lb0EN6thrust23THRUST_200600_302600_NS6detail15normal_iteratorINS9_10device_ptrIsEEEESE_PS5_SF_jNS0_19identity_decomposerENS1_16block_id_wrapperIjLb1EEEEE10hipError_tT1_PNSt15iterator_traitsISK_E10value_typeET2_T3_PNSL_ISQ_E10value_typeET4_T5_PSV_SW_PNS1_23onesweep_lookback_stateEbbT6_jjT7_P12ihipStream_tbENKUlT_T0_SK_SP_E_clISE_PsSF_SF_EEDaS13_S14_SK_SP_EUlS13_E_NS1_11comp_targetILNS1_3genE8ELNS1_11target_archE1030ELNS1_3gpuE2ELNS1_3repE0EEENS1_47radix_sort_onesweep_sort_config_static_selectorELNS0_4arch9wavefront6targetE1EEEvSK_,comdat
	.protected	_ZN7rocprim17ROCPRIM_400000_NS6detail17trampoline_kernelINS0_14default_configENS1_35radix_sort_onesweep_config_selectorIsNS0_10empty_typeEEEZZNS1_29radix_sort_onesweep_iterationIS3_Lb0EN6thrust23THRUST_200600_302600_NS6detail15normal_iteratorINS9_10device_ptrIsEEEESE_PS5_SF_jNS0_19identity_decomposerENS1_16block_id_wrapperIjLb1EEEEE10hipError_tT1_PNSt15iterator_traitsISK_E10value_typeET2_T3_PNSL_ISQ_E10value_typeET4_T5_PSV_SW_PNS1_23onesweep_lookback_stateEbbT6_jjT7_P12ihipStream_tbENKUlT_T0_SK_SP_E_clISE_PsSF_SF_EEDaS13_S14_SK_SP_EUlS13_E_NS1_11comp_targetILNS1_3genE8ELNS1_11target_archE1030ELNS1_3gpuE2ELNS1_3repE0EEENS1_47radix_sort_onesweep_sort_config_static_selectorELNS0_4arch9wavefront6targetE1EEEvSK_ ; -- Begin function _ZN7rocprim17ROCPRIM_400000_NS6detail17trampoline_kernelINS0_14default_configENS1_35radix_sort_onesweep_config_selectorIsNS0_10empty_typeEEEZZNS1_29radix_sort_onesweep_iterationIS3_Lb0EN6thrust23THRUST_200600_302600_NS6detail15normal_iteratorINS9_10device_ptrIsEEEESE_PS5_SF_jNS0_19identity_decomposerENS1_16block_id_wrapperIjLb1EEEEE10hipError_tT1_PNSt15iterator_traitsISK_E10value_typeET2_T3_PNSL_ISQ_E10value_typeET4_T5_PSV_SW_PNS1_23onesweep_lookback_stateEbbT6_jjT7_P12ihipStream_tbENKUlT_T0_SK_SP_E_clISE_PsSF_SF_EEDaS13_S14_SK_SP_EUlS13_E_NS1_11comp_targetILNS1_3genE8ELNS1_11target_archE1030ELNS1_3gpuE2ELNS1_3repE0EEENS1_47radix_sort_onesweep_sort_config_static_selectorELNS0_4arch9wavefront6targetE1EEEvSK_
	.globl	_ZN7rocprim17ROCPRIM_400000_NS6detail17trampoline_kernelINS0_14default_configENS1_35radix_sort_onesweep_config_selectorIsNS0_10empty_typeEEEZZNS1_29radix_sort_onesweep_iterationIS3_Lb0EN6thrust23THRUST_200600_302600_NS6detail15normal_iteratorINS9_10device_ptrIsEEEESE_PS5_SF_jNS0_19identity_decomposerENS1_16block_id_wrapperIjLb1EEEEE10hipError_tT1_PNSt15iterator_traitsISK_E10value_typeET2_T3_PNSL_ISQ_E10value_typeET4_T5_PSV_SW_PNS1_23onesweep_lookback_stateEbbT6_jjT7_P12ihipStream_tbENKUlT_T0_SK_SP_E_clISE_PsSF_SF_EEDaS13_S14_SK_SP_EUlS13_E_NS1_11comp_targetILNS1_3genE8ELNS1_11target_archE1030ELNS1_3gpuE2ELNS1_3repE0EEENS1_47radix_sort_onesweep_sort_config_static_selectorELNS0_4arch9wavefront6targetE1EEEvSK_
	.p2align	8
	.type	_ZN7rocprim17ROCPRIM_400000_NS6detail17trampoline_kernelINS0_14default_configENS1_35radix_sort_onesweep_config_selectorIsNS0_10empty_typeEEEZZNS1_29radix_sort_onesweep_iterationIS3_Lb0EN6thrust23THRUST_200600_302600_NS6detail15normal_iteratorINS9_10device_ptrIsEEEESE_PS5_SF_jNS0_19identity_decomposerENS1_16block_id_wrapperIjLb1EEEEE10hipError_tT1_PNSt15iterator_traitsISK_E10value_typeET2_T3_PNSL_ISQ_E10value_typeET4_T5_PSV_SW_PNS1_23onesweep_lookback_stateEbbT6_jjT7_P12ihipStream_tbENKUlT_T0_SK_SP_E_clISE_PsSF_SF_EEDaS13_S14_SK_SP_EUlS13_E_NS1_11comp_targetILNS1_3genE8ELNS1_11target_archE1030ELNS1_3gpuE2ELNS1_3repE0EEENS1_47radix_sort_onesweep_sort_config_static_selectorELNS0_4arch9wavefront6targetE1EEEvSK_,@function
_ZN7rocprim17ROCPRIM_400000_NS6detail17trampoline_kernelINS0_14default_configENS1_35radix_sort_onesweep_config_selectorIsNS0_10empty_typeEEEZZNS1_29radix_sort_onesweep_iterationIS3_Lb0EN6thrust23THRUST_200600_302600_NS6detail15normal_iteratorINS9_10device_ptrIsEEEESE_PS5_SF_jNS0_19identity_decomposerENS1_16block_id_wrapperIjLb1EEEEE10hipError_tT1_PNSt15iterator_traitsISK_E10value_typeET2_T3_PNSL_ISQ_E10value_typeET4_T5_PSV_SW_PNS1_23onesweep_lookback_stateEbbT6_jjT7_P12ihipStream_tbENKUlT_T0_SK_SP_E_clISE_PsSF_SF_EEDaS13_S14_SK_SP_EUlS13_E_NS1_11comp_targetILNS1_3genE8ELNS1_11target_archE1030ELNS1_3gpuE2ELNS1_3repE0EEENS1_47radix_sort_onesweep_sort_config_static_selectorELNS0_4arch9wavefront6targetE1EEEvSK_: ; @_ZN7rocprim17ROCPRIM_400000_NS6detail17trampoline_kernelINS0_14default_configENS1_35radix_sort_onesweep_config_selectorIsNS0_10empty_typeEEEZZNS1_29radix_sort_onesweep_iterationIS3_Lb0EN6thrust23THRUST_200600_302600_NS6detail15normal_iteratorINS9_10device_ptrIsEEEESE_PS5_SF_jNS0_19identity_decomposerENS1_16block_id_wrapperIjLb1EEEEE10hipError_tT1_PNSt15iterator_traitsISK_E10value_typeET2_T3_PNSL_ISQ_E10value_typeET4_T5_PSV_SW_PNS1_23onesweep_lookback_stateEbbT6_jjT7_P12ihipStream_tbENKUlT_T0_SK_SP_E_clISE_PsSF_SF_EEDaS13_S14_SK_SP_EUlS13_E_NS1_11comp_targetILNS1_3genE8ELNS1_11target_archE1030ELNS1_3gpuE2ELNS1_3repE0EEENS1_47radix_sort_onesweep_sort_config_static_selectorELNS0_4arch9wavefront6targetE1EEEvSK_
; %bb.0:
	.section	.rodata,"a",@progbits
	.p2align	6, 0x0
	.amdhsa_kernel _ZN7rocprim17ROCPRIM_400000_NS6detail17trampoline_kernelINS0_14default_configENS1_35radix_sort_onesweep_config_selectorIsNS0_10empty_typeEEEZZNS1_29radix_sort_onesweep_iterationIS3_Lb0EN6thrust23THRUST_200600_302600_NS6detail15normal_iteratorINS9_10device_ptrIsEEEESE_PS5_SF_jNS0_19identity_decomposerENS1_16block_id_wrapperIjLb1EEEEE10hipError_tT1_PNSt15iterator_traitsISK_E10value_typeET2_T3_PNSL_ISQ_E10value_typeET4_T5_PSV_SW_PNS1_23onesweep_lookback_stateEbbT6_jjT7_P12ihipStream_tbENKUlT_T0_SK_SP_E_clISE_PsSF_SF_EEDaS13_S14_SK_SP_EUlS13_E_NS1_11comp_targetILNS1_3genE8ELNS1_11target_archE1030ELNS1_3gpuE2ELNS1_3repE0EEENS1_47radix_sort_onesweep_sort_config_static_selectorELNS0_4arch9wavefront6targetE1EEEvSK_
		.amdhsa_group_segment_fixed_size 0
		.amdhsa_private_segment_fixed_size 0
		.amdhsa_kernarg_size 88
		.amdhsa_user_sgpr_count 2
		.amdhsa_user_sgpr_dispatch_ptr 0
		.amdhsa_user_sgpr_queue_ptr 0
		.amdhsa_user_sgpr_kernarg_segment_ptr 1
		.amdhsa_user_sgpr_dispatch_id 0
		.amdhsa_user_sgpr_kernarg_preload_length 0
		.amdhsa_user_sgpr_kernarg_preload_offset 0
		.amdhsa_user_sgpr_private_segment_size 0
		.amdhsa_uses_dynamic_stack 0
		.amdhsa_enable_private_segment 0
		.amdhsa_system_sgpr_workgroup_id_x 1
		.amdhsa_system_sgpr_workgroup_id_y 0
		.amdhsa_system_sgpr_workgroup_id_z 0
		.amdhsa_system_sgpr_workgroup_info 0
		.amdhsa_system_vgpr_workitem_id 0
		.amdhsa_next_free_vgpr 1
		.amdhsa_next_free_sgpr 0
		.amdhsa_accum_offset 4
		.amdhsa_reserve_vcc 0
		.amdhsa_float_round_mode_32 0
		.amdhsa_float_round_mode_16_64 0
		.amdhsa_float_denorm_mode_32 3
		.amdhsa_float_denorm_mode_16_64 3
		.amdhsa_dx10_clamp 1
		.amdhsa_ieee_mode 1
		.amdhsa_fp16_overflow 0
		.amdhsa_tg_split 0
		.amdhsa_exception_fp_ieee_invalid_op 0
		.amdhsa_exception_fp_denorm_src 0
		.amdhsa_exception_fp_ieee_div_zero 0
		.amdhsa_exception_fp_ieee_overflow 0
		.amdhsa_exception_fp_ieee_underflow 0
		.amdhsa_exception_fp_ieee_inexact 0
		.amdhsa_exception_int_div_zero 0
	.end_amdhsa_kernel
	.section	.text._ZN7rocprim17ROCPRIM_400000_NS6detail17trampoline_kernelINS0_14default_configENS1_35radix_sort_onesweep_config_selectorIsNS0_10empty_typeEEEZZNS1_29radix_sort_onesweep_iterationIS3_Lb0EN6thrust23THRUST_200600_302600_NS6detail15normal_iteratorINS9_10device_ptrIsEEEESE_PS5_SF_jNS0_19identity_decomposerENS1_16block_id_wrapperIjLb1EEEEE10hipError_tT1_PNSt15iterator_traitsISK_E10value_typeET2_T3_PNSL_ISQ_E10value_typeET4_T5_PSV_SW_PNS1_23onesweep_lookback_stateEbbT6_jjT7_P12ihipStream_tbENKUlT_T0_SK_SP_E_clISE_PsSF_SF_EEDaS13_S14_SK_SP_EUlS13_E_NS1_11comp_targetILNS1_3genE8ELNS1_11target_archE1030ELNS1_3gpuE2ELNS1_3repE0EEENS1_47radix_sort_onesweep_sort_config_static_selectorELNS0_4arch9wavefront6targetE1EEEvSK_,"axG",@progbits,_ZN7rocprim17ROCPRIM_400000_NS6detail17trampoline_kernelINS0_14default_configENS1_35radix_sort_onesweep_config_selectorIsNS0_10empty_typeEEEZZNS1_29radix_sort_onesweep_iterationIS3_Lb0EN6thrust23THRUST_200600_302600_NS6detail15normal_iteratorINS9_10device_ptrIsEEEESE_PS5_SF_jNS0_19identity_decomposerENS1_16block_id_wrapperIjLb1EEEEE10hipError_tT1_PNSt15iterator_traitsISK_E10value_typeET2_T3_PNSL_ISQ_E10value_typeET4_T5_PSV_SW_PNS1_23onesweep_lookback_stateEbbT6_jjT7_P12ihipStream_tbENKUlT_T0_SK_SP_E_clISE_PsSF_SF_EEDaS13_S14_SK_SP_EUlS13_E_NS1_11comp_targetILNS1_3genE8ELNS1_11target_archE1030ELNS1_3gpuE2ELNS1_3repE0EEENS1_47radix_sort_onesweep_sort_config_static_selectorELNS0_4arch9wavefront6targetE1EEEvSK_,comdat
.Lfunc_end1967:
	.size	_ZN7rocprim17ROCPRIM_400000_NS6detail17trampoline_kernelINS0_14default_configENS1_35radix_sort_onesweep_config_selectorIsNS0_10empty_typeEEEZZNS1_29radix_sort_onesweep_iterationIS3_Lb0EN6thrust23THRUST_200600_302600_NS6detail15normal_iteratorINS9_10device_ptrIsEEEESE_PS5_SF_jNS0_19identity_decomposerENS1_16block_id_wrapperIjLb1EEEEE10hipError_tT1_PNSt15iterator_traitsISK_E10value_typeET2_T3_PNSL_ISQ_E10value_typeET4_T5_PSV_SW_PNS1_23onesweep_lookback_stateEbbT6_jjT7_P12ihipStream_tbENKUlT_T0_SK_SP_E_clISE_PsSF_SF_EEDaS13_S14_SK_SP_EUlS13_E_NS1_11comp_targetILNS1_3genE8ELNS1_11target_archE1030ELNS1_3gpuE2ELNS1_3repE0EEENS1_47radix_sort_onesweep_sort_config_static_selectorELNS0_4arch9wavefront6targetE1EEEvSK_, .Lfunc_end1967-_ZN7rocprim17ROCPRIM_400000_NS6detail17trampoline_kernelINS0_14default_configENS1_35radix_sort_onesweep_config_selectorIsNS0_10empty_typeEEEZZNS1_29radix_sort_onesweep_iterationIS3_Lb0EN6thrust23THRUST_200600_302600_NS6detail15normal_iteratorINS9_10device_ptrIsEEEESE_PS5_SF_jNS0_19identity_decomposerENS1_16block_id_wrapperIjLb1EEEEE10hipError_tT1_PNSt15iterator_traitsISK_E10value_typeET2_T3_PNSL_ISQ_E10value_typeET4_T5_PSV_SW_PNS1_23onesweep_lookback_stateEbbT6_jjT7_P12ihipStream_tbENKUlT_T0_SK_SP_E_clISE_PsSF_SF_EEDaS13_S14_SK_SP_EUlS13_E_NS1_11comp_targetILNS1_3genE8ELNS1_11target_archE1030ELNS1_3gpuE2ELNS1_3repE0EEENS1_47radix_sort_onesweep_sort_config_static_selectorELNS0_4arch9wavefront6targetE1EEEvSK_
                                        ; -- End function
	.section	.AMDGPU.csdata,"",@progbits
; Kernel info:
; codeLenInByte = 0
; NumSgprs: 6
; NumVgprs: 0
; NumAgprs: 0
; TotalNumVgprs: 0
; ScratchSize: 0
; MemoryBound: 0
; FloatMode: 240
; IeeeMode: 1
; LDSByteSize: 0 bytes/workgroup (compile time only)
; SGPRBlocks: 0
; VGPRBlocks: 0
; NumSGPRsForWavesPerEU: 6
; NumVGPRsForWavesPerEU: 1
; AccumOffset: 4
; Occupancy: 8
; WaveLimiterHint : 0
; COMPUTE_PGM_RSRC2:SCRATCH_EN: 0
; COMPUTE_PGM_RSRC2:USER_SGPR: 2
; COMPUTE_PGM_RSRC2:TRAP_HANDLER: 0
; COMPUTE_PGM_RSRC2:TGID_X_EN: 1
; COMPUTE_PGM_RSRC2:TGID_Y_EN: 0
; COMPUTE_PGM_RSRC2:TGID_Z_EN: 0
; COMPUTE_PGM_RSRC2:TIDIG_COMP_CNT: 0
; COMPUTE_PGM_RSRC3_GFX90A:ACCUM_OFFSET: 0
; COMPUTE_PGM_RSRC3_GFX90A:TG_SPLIT: 0
	.section	.text._ZN7rocprim17ROCPRIM_400000_NS6detail17trampoline_kernelINS0_14default_configENS1_35radix_sort_onesweep_config_selectorIsNS0_10empty_typeEEEZZNS1_29radix_sort_onesweep_iterationIS3_Lb0EN6thrust23THRUST_200600_302600_NS6detail15normal_iteratorINS9_10device_ptrIsEEEESE_PS5_SF_jNS0_19identity_decomposerENS1_16block_id_wrapperIjLb1EEEEE10hipError_tT1_PNSt15iterator_traitsISK_E10value_typeET2_T3_PNSL_ISQ_E10value_typeET4_T5_PSV_SW_PNS1_23onesweep_lookback_stateEbbT6_jjT7_P12ihipStream_tbENKUlT_T0_SK_SP_E_clIPsSE_SF_SF_EEDaS13_S14_SK_SP_EUlS13_E_NS1_11comp_targetILNS1_3genE0ELNS1_11target_archE4294967295ELNS1_3gpuE0ELNS1_3repE0EEENS1_47radix_sort_onesweep_sort_config_static_selectorELNS0_4arch9wavefront6targetE1EEEvSK_,"axG",@progbits,_ZN7rocprim17ROCPRIM_400000_NS6detail17trampoline_kernelINS0_14default_configENS1_35radix_sort_onesweep_config_selectorIsNS0_10empty_typeEEEZZNS1_29radix_sort_onesweep_iterationIS3_Lb0EN6thrust23THRUST_200600_302600_NS6detail15normal_iteratorINS9_10device_ptrIsEEEESE_PS5_SF_jNS0_19identity_decomposerENS1_16block_id_wrapperIjLb1EEEEE10hipError_tT1_PNSt15iterator_traitsISK_E10value_typeET2_T3_PNSL_ISQ_E10value_typeET4_T5_PSV_SW_PNS1_23onesweep_lookback_stateEbbT6_jjT7_P12ihipStream_tbENKUlT_T0_SK_SP_E_clIPsSE_SF_SF_EEDaS13_S14_SK_SP_EUlS13_E_NS1_11comp_targetILNS1_3genE0ELNS1_11target_archE4294967295ELNS1_3gpuE0ELNS1_3repE0EEENS1_47radix_sort_onesweep_sort_config_static_selectorELNS0_4arch9wavefront6targetE1EEEvSK_,comdat
	.protected	_ZN7rocprim17ROCPRIM_400000_NS6detail17trampoline_kernelINS0_14default_configENS1_35radix_sort_onesweep_config_selectorIsNS0_10empty_typeEEEZZNS1_29radix_sort_onesweep_iterationIS3_Lb0EN6thrust23THRUST_200600_302600_NS6detail15normal_iteratorINS9_10device_ptrIsEEEESE_PS5_SF_jNS0_19identity_decomposerENS1_16block_id_wrapperIjLb1EEEEE10hipError_tT1_PNSt15iterator_traitsISK_E10value_typeET2_T3_PNSL_ISQ_E10value_typeET4_T5_PSV_SW_PNS1_23onesweep_lookback_stateEbbT6_jjT7_P12ihipStream_tbENKUlT_T0_SK_SP_E_clIPsSE_SF_SF_EEDaS13_S14_SK_SP_EUlS13_E_NS1_11comp_targetILNS1_3genE0ELNS1_11target_archE4294967295ELNS1_3gpuE0ELNS1_3repE0EEENS1_47radix_sort_onesweep_sort_config_static_selectorELNS0_4arch9wavefront6targetE1EEEvSK_ ; -- Begin function _ZN7rocprim17ROCPRIM_400000_NS6detail17trampoline_kernelINS0_14default_configENS1_35radix_sort_onesweep_config_selectorIsNS0_10empty_typeEEEZZNS1_29radix_sort_onesweep_iterationIS3_Lb0EN6thrust23THRUST_200600_302600_NS6detail15normal_iteratorINS9_10device_ptrIsEEEESE_PS5_SF_jNS0_19identity_decomposerENS1_16block_id_wrapperIjLb1EEEEE10hipError_tT1_PNSt15iterator_traitsISK_E10value_typeET2_T3_PNSL_ISQ_E10value_typeET4_T5_PSV_SW_PNS1_23onesweep_lookback_stateEbbT6_jjT7_P12ihipStream_tbENKUlT_T0_SK_SP_E_clIPsSE_SF_SF_EEDaS13_S14_SK_SP_EUlS13_E_NS1_11comp_targetILNS1_3genE0ELNS1_11target_archE4294967295ELNS1_3gpuE0ELNS1_3repE0EEENS1_47radix_sort_onesweep_sort_config_static_selectorELNS0_4arch9wavefront6targetE1EEEvSK_
	.globl	_ZN7rocprim17ROCPRIM_400000_NS6detail17trampoline_kernelINS0_14default_configENS1_35radix_sort_onesweep_config_selectorIsNS0_10empty_typeEEEZZNS1_29radix_sort_onesweep_iterationIS3_Lb0EN6thrust23THRUST_200600_302600_NS6detail15normal_iteratorINS9_10device_ptrIsEEEESE_PS5_SF_jNS0_19identity_decomposerENS1_16block_id_wrapperIjLb1EEEEE10hipError_tT1_PNSt15iterator_traitsISK_E10value_typeET2_T3_PNSL_ISQ_E10value_typeET4_T5_PSV_SW_PNS1_23onesweep_lookback_stateEbbT6_jjT7_P12ihipStream_tbENKUlT_T0_SK_SP_E_clIPsSE_SF_SF_EEDaS13_S14_SK_SP_EUlS13_E_NS1_11comp_targetILNS1_3genE0ELNS1_11target_archE4294967295ELNS1_3gpuE0ELNS1_3repE0EEENS1_47radix_sort_onesweep_sort_config_static_selectorELNS0_4arch9wavefront6targetE1EEEvSK_
	.p2align	8
	.type	_ZN7rocprim17ROCPRIM_400000_NS6detail17trampoline_kernelINS0_14default_configENS1_35radix_sort_onesweep_config_selectorIsNS0_10empty_typeEEEZZNS1_29radix_sort_onesweep_iterationIS3_Lb0EN6thrust23THRUST_200600_302600_NS6detail15normal_iteratorINS9_10device_ptrIsEEEESE_PS5_SF_jNS0_19identity_decomposerENS1_16block_id_wrapperIjLb1EEEEE10hipError_tT1_PNSt15iterator_traitsISK_E10value_typeET2_T3_PNSL_ISQ_E10value_typeET4_T5_PSV_SW_PNS1_23onesweep_lookback_stateEbbT6_jjT7_P12ihipStream_tbENKUlT_T0_SK_SP_E_clIPsSE_SF_SF_EEDaS13_S14_SK_SP_EUlS13_E_NS1_11comp_targetILNS1_3genE0ELNS1_11target_archE4294967295ELNS1_3gpuE0ELNS1_3repE0EEENS1_47radix_sort_onesweep_sort_config_static_selectorELNS0_4arch9wavefront6targetE1EEEvSK_,@function
_ZN7rocprim17ROCPRIM_400000_NS6detail17trampoline_kernelINS0_14default_configENS1_35radix_sort_onesweep_config_selectorIsNS0_10empty_typeEEEZZNS1_29radix_sort_onesweep_iterationIS3_Lb0EN6thrust23THRUST_200600_302600_NS6detail15normal_iteratorINS9_10device_ptrIsEEEESE_PS5_SF_jNS0_19identity_decomposerENS1_16block_id_wrapperIjLb1EEEEE10hipError_tT1_PNSt15iterator_traitsISK_E10value_typeET2_T3_PNSL_ISQ_E10value_typeET4_T5_PSV_SW_PNS1_23onesweep_lookback_stateEbbT6_jjT7_P12ihipStream_tbENKUlT_T0_SK_SP_E_clIPsSE_SF_SF_EEDaS13_S14_SK_SP_EUlS13_E_NS1_11comp_targetILNS1_3genE0ELNS1_11target_archE4294967295ELNS1_3gpuE0ELNS1_3repE0EEENS1_47radix_sort_onesweep_sort_config_static_selectorELNS0_4arch9wavefront6targetE1EEEvSK_: ; @_ZN7rocprim17ROCPRIM_400000_NS6detail17trampoline_kernelINS0_14default_configENS1_35radix_sort_onesweep_config_selectorIsNS0_10empty_typeEEEZZNS1_29radix_sort_onesweep_iterationIS3_Lb0EN6thrust23THRUST_200600_302600_NS6detail15normal_iteratorINS9_10device_ptrIsEEEESE_PS5_SF_jNS0_19identity_decomposerENS1_16block_id_wrapperIjLb1EEEEE10hipError_tT1_PNSt15iterator_traitsISK_E10value_typeET2_T3_PNSL_ISQ_E10value_typeET4_T5_PSV_SW_PNS1_23onesweep_lookback_stateEbbT6_jjT7_P12ihipStream_tbENKUlT_T0_SK_SP_E_clIPsSE_SF_SF_EEDaS13_S14_SK_SP_EUlS13_E_NS1_11comp_targetILNS1_3genE0ELNS1_11target_archE4294967295ELNS1_3gpuE0ELNS1_3repE0EEENS1_47radix_sort_onesweep_sort_config_static_selectorELNS0_4arch9wavefront6targetE1EEEvSK_
; %bb.0:
	.section	.rodata,"a",@progbits
	.p2align	6, 0x0
	.amdhsa_kernel _ZN7rocprim17ROCPRIM_400000_NS6detail17trampoline_kernelINS0_14default_configENS1_35radix_sort_onesweep_config_selectorIsNS0_10empty_typeEEEZZNS1_29radix_sort_onesweep_iterationIS3_Lb0EN6thrust23THRUST_200600_302600_NS6detail15normal_iteratorINS9_10device_ptrIsEEEESE_PS5_SF_jNS0_19identity_decomposerENS1_16block_id_wrapperIjLb1EEEEE10hipError_tT1_PNSt15iterator_traitsISK_E10value_typeET2_T3_PNSL_ISQ_E10value_typeET4_T5_PSV_SW_PNS1_23onesweep_lookback_stateEbbT6_jjT7_P12ihipStream_tbENKUlT_T0_SK_SP_E_clIPsSE_SF_SF_EEDaS13_S14_SK_SP_EUlS13_E_NS1_11comp_targetILNS1_3genE0ELNS1_11target_archE4294967295ELNS1_3gpuE0ELNS1_3repE0EEENS1_47radix_sort_onesweep_sort_config_static_selectorELNS0_4arch9wavefront6targetE1EEEvSK_
		.amdhsa_group_segment_fixed_size 0
		.amdhsa_private_segment_fixed_size 0
		.amdhsa_kernarg_size 88
		.amdhsa_user_sgpr_count 2
		.amdhsa_user_sgpr_dispatch_ptr 0
		.amdhsa_user_sgpr_queue_ptr 0
		.amdhsa_user_sgpr_kernarg_segment_ptr 1
		.amdhsa_user_sgpr_dispatch_id 0
		.amdhsa_user_sgpr_kernarg_preload_length 0
		.amdhsa_user_sgpr_kernarg_preload_offset 0
		.amdhsa_user_sgpr_private_segment_size 0
		.amdhsa_uses_dynamic_stack 0
		.amdhsa_enable_private_segment 0
		.amdhsa_system_sgpr_workgroup_id_x 1
		.amdhsa_system_sgpr_workgroup_id_y 0
		.amdhsa_system_sgpr_workgroup_id_z 0
		.amdhsa_system_sgpr_workgroup_info 0
		.amdhsa_system_vgpr_workitem_id 0
		.amdhsa_next_free_vgpr 1
		.amdhsa_next_free_sgpr 0
		.amdhsa_accum_offset 4
		.amdhsa_reserve_vcc 0
		.amdhsa_float_round_mode_32 0
		.amdhsa_float_round_mode_16_64 0
		.amdhsa_float_denorm_mode_32 3
		.amdhsa_float_denorm_mode_16_64 3
		.amdhsa_dx10_clamp 1
		.amdhsa_ieee_mode 1
		.amdhsa_fp16_overflow 0
		.amdhsa_tg_split 0
		.amdhsa_exception_fp_ieee_invalid_op 0
		.amdhsa_exception_fp_denorm_src 0
		.amdhsa_exception_fp_ieee_div_zero 0
		.amdhsa_exception_fp_ieee_overflow 0
		.amdhsa_exception_fp_ieee_underflow 0
		.amdhsa_exception_fp_ieee_inexact 0
		.amdhsa_exception_int_div_zero 0
	.end_amdhsa_kernel
	.section	.text._ZN7rocprim17ROCPRIM_400000_NS6detail17trampoline_kernelINS0_14default_configENS1_35radix_sort_onesweep_config_selectorIsNS0_10empty_typeEEEZZNS1_29radix_sort_onesweep_iterationIS3_Lb0EN6thrust23THRUST_200600_302600_NS6detail15normal_iteratorINS9_10device_ptrIsEEEESE_PS5_SF_jNS0_19identity_decomposerENS1_16block_id_wrapperIjLb1EEEEE10hipError_tT1_PNSt15iterator_traitsISK_E10value_typeET2_T3_PNSL_ISQ_E10value_typeET4_T5_PSV_SW_PNS1_23onesweep_lookback_stateEbbT6_jjT7_P12ihipStream_tbENKUlT_T0_SK_SP_E_clIPsSE_SF_SF_EEDaS13_S14_SK_SP_EUlS13_E_NS1_11comp_targetILNS1_3genE0ELNS1_11target_archE4294967295ELNS1_3gpuE0ELNS1_3repE0EEENS1_47radix_sort_onesweep_sort_config_static_selectorELNS0_4arch9wavefront6targetE1EEEvSK_,"axG",@progbits,_ZN7rocprim17ROCPRIM_400000_NS6detail17trampoline_kernelINS0_14default_configENS1_35radix_sort_onesweep_config_selectorIsNS0_10empty_typeEEEZZNS1_29radix_sort_onesweep_iterationIS3_Lb0EN6thrust23THRUST_200600_302600_NS6detail15normal_iteratorINS9_10device_ptrIsEEEESE_PS5_SF_jNS0_19identity_decomposerENS1_16block_id_wrapperIjLb1EEEEE10hipError_tT1_PNSt15iterator_traitsISK_E10value_typeET2_T3_PNSL_ISQ_E10value_typeET4_T5_PSV_SW_PNS1_23onesweep_lookback_stateEbbT6_jjT7_P12ihipStream_tbENKUlT_T0_SK_SP_E_clIPsSE_SF_SF_EEDaS13_S14_SK_SP_EUlS13_E_NS1_11comp_targetILNS1_3genE0ELNS1_11target_archE4294967295ELNS1_3gpuE0ELNS1_3repE0EEENS1_47radix_sort_onesweep_sort_config_static_selectorELNS0_4arch9wavefront6targetE1EEEvSK_,comdat
.Lfunc_end1968:
	.size	_ZN7rocprim17ROCPRIM_400000_NS6detail17trampoline_kernelINS0_14default_configENS1_35radix_sort_onesweep_config_selectorIsNS0_10empty_typeEEEZZNS1_29radix_sort_onesweep_iterationIS3_Lb0EN6thrust23THRUST_200600_302600_NS6detail15normal_iteratorINS9_10device_ptrIsEEEESE_PS5_SF_jNS0_19identity_decomposerENS1_16block_id_wrapperIjLb1EEEEE10hipError_tT1_PNSt15iterator_traitsISK_E10value_typeET2_T3_PNSL_ISQ_E10value_typeET4_T5_PSV_SW_PNS1_23onesweep_lookback_stateEbbT6_jjT7_P12ihipStream_tbENKUlT_T0_SK_SP_E_clIPsSE_SF_SF_EEDaS13_S14_SK_SP_EUlS13_E_NS1_11comp_targetILNS1_3genE0ELNS1_11target_archE4294967295ELNS1_3gpuE0ELNS1_3repE0EEENS1_47radix_sort_onesweep_sort_config_static_selectorELNS0_4arch9wavefront6targetE1EEEvSK_, .Lfunc_end1968-_ZN7rocprim17ROCPRIM_400000_NS6detail17trampoline_kernelINS0_14default_configENS1_35radix_sort_onesweep_config_selectorIsNS0_10empty_typeEEEZZNS1_29radix_sort_onesweep_iterationIS3_Lb0EN6thrust23THRUST_200600_302600_NS6detail15normal_iteratorINS9_10device_ptrIsEEEESE_PS5_SF_jNS0_19identity_decomposerENS1_16block_id_wrapperIjLb1EEEEE10hipError_tT1_PNSt15iterator_traitsISK_E10value_typeET2_T3_PNSL_ISQ_E10value_typeET4_T5_PSV_SW_PNS1_23onesweep_lookback_stateEbbT6_jjT7_P12ihipStream_tbENKUlT_T0_SK_SP_E_clIPsSE_SF_SF_EEDaS13_S14_SK_SP_EUlS13_E_NS1_11comp_targetILNS1_3genE0ELNS1_11target_archE4294967295ELNS1_3gpuE0ELNS1_3repE0EEENS1_47radix_sort_onesweep_sort_config_static_selectorELNS0_4arch9wavefront6targetE1EEEvSK_
                                        ; -- End function
	.section	.AMDGPU.csdata,"",@progbits
; Kernel info:
; codeLenInByte = 0
; NumSgprs: 6
; NumVgprs: 0
; NumAgprs: 0
; TotalNumVgprs: 0
; ScratchSize: 0
; MemoryBound: 0
; FloatMode: 240
; IeeeMode: 1
; LDSByteSize: 0 bytes/workgroup (compile time only)
; SGPRBlocks: 0
; VGPRBlocks: 0
; NumSGPRsForWavesPerEU: 6
; NumVGPRsForWavesPerEU: 1
; AccumOffset: 4
; Occupancy: 8
; WaveLimiterHint : 0
; COMPUTE_PGM_RSRC2:SCRATCH_EN: 0
; COMPUTE_PGM_RSRC2:USER_SGPR: 2
; COMPUTE_PGM_RSRC2:TRAP_HANDLER: 0
; COMPUTE_PGM_RSRC2:TGID_X_EN: 1
; COMPUTE_PGM_RSRC2:TGID_Y_EN: 0
; COMPUTE_PGM_RSRC2:TGID_Z_EN: 0
; COMPUTE_PGM_RSRC2:TIDIG_COMP_CNT: 0
; COMPUTE_PGM_RSRC3_GFX90A:ACCUM_OFFSET: 0
; COMPUTE_PGM_RSRC3_GFX90A:TG_SPLIT: 0
	.section	.text._ZN7rocprim17ROCPRIM_400000_NS6detail17trampoline_kernelINS0_14default_configENS1_35radix_sort_onesweep_config_selectorIsNS0_10empty_typeEEEZZNS1_29radix_sort_onesweep_iterationIS3_Lb0EN6thrust23THRUST_200600_302600_NS6detail15normal_iteratorINS9_10device_ptrIsEEEESE_PS5_SF_jNS0_19identity_decomposerENS1_16block_id_wrapperIjLb1EEEEE10hipError_tT1_PNSt15iterator_traitsISK_E10value_typeET2_T3_PNSL_ISQ_E10value_typeET4_T5_PSV_SW_PNS1_23onesweep_lookback_stateEbbT6_jjT7_P12ihipStream_tbENKUlT_T0_SK_SP_E_clIPsSE_SF_SF_EEDaS13_S14_SK_SP_EUlS13_E_NS1_11comp_targetILNS1_3genE6ELNS1_11target_archE950ELNS1_3gpuE13ELNS1_3repE0EEENS1_47radix_sort_onesweep_sort_config_static_selectorELNS0_4arch9wavefront6targetE1EEEvSK_,"axG",@progbits,_ZN7rocprim17ROCPRIM_400000_NS6detail17trampoline_kernelINS0_14default_configENS1_35radix_sort_onesweep_config_selectorIsNS0_10empty_typeEEEZZNS1_29radix_sort_onesweep_iterationIS3_Lb0EN6thrust23THRUST_200600_302600_NS6detail15normal_iteratorINS9_10device_ptrIsEEEESE_PS5_SF_jNS0_19identity_decomposerENS1_16block_id_wrapperIjLb1EEEEE10hipError_tT1_PNSt15iterator_traitsISK_E10value_typeET2_T3_PNSL_ISQ_E10value_typeET4_T5_PSV_SW_PNS1_23onesweep_lookback_stateEbbT6_jjT7_P12ihipStream_tbENKUlT_T0_SK_SP_E_clIPsSE_SF_SF_EEDaS13_S14_SK_SP_EUlS13_E_NS1_11comp_targetILNS1_3genE6ELNS1_11target_archE950ELNS1_3gpuE13ELNS1_3repE0EEENS1_47radix_sort_onesweep_sort_config_static_selectorELNS0_4arch9wavefront6targetE1EEEvSK_,comdat
	.protected	_ZN7rocprim17ROCPRIM_400000_NS6detail17trampoline_kernelINS0_14default_configENS1_35radix_sort_onesweep_config_selectorIsNS0_10empty_typeEEEZZNS1_29radix_sort_onesweep_iterationIS3_Lb0EN6thrust23THRUST_200600_302600_NS6detail15normal_iteratorINS9_10device_ptrIsEEEESE_PS5_SF_jNS0_19identity_decomposerENS1_16block_id_wrapperIjLb1EEEEE10hipError_tT1_PNSt15iterator_traitsISK_E10value_typeET2_T3_PNSL_ISQ_E10value_typeET4_T5_PSV_SW_PNS1_23onesweep_lookback_stateEbbT6_jjT7_P12ihipStream_tbENKUlT_T0_SK_SP_E_clIPsSE_SF_SF_EEDaS13_S14_SK_SP_EUlS13_E_NS1_11comp_targetILNS1_3genE6ELNS1_11target_archE950ELNS1_3gpuE13ELNS1_3repE0EEENS1_47radix_sort_onesweep_sort_config_static_selectorELNS0_4arch9wavefront6targetE1EEEvSK_ ; -- Begin function _ZN7rocprim17ROCPRIM_400000_NS6detail17trampoline_kernelINS0_14default_configENS1_35radix_sort_onesweep_config_selectorIsNS0_10empty_typeEEEZZNS1_29radix_sort_onesweep_iterationIS3_Lb0EN6thrust23THRUST_200600_302600_NS6detail15normal_iteratorINS9_10device_ptrIsEEEESE_PS5_SF_jNS0_19identity_decomposerENS1_16block_id_wrapperIjLb1EEEEE10hipError_tT1_PNSt15iterator_traitsISK_E10value_typeET2_T3_PNSL_ISQ_E10value_typeET4_T5_PSV_SW_PNS1_23onesweep_lookback_stateEbbT6_jjT7_P12ihipStream_tbENKUlT_T0_SK_SP_E_clIPsSE_SF_SF_EEDaS13_S14_SK_SP_EUlS13_E_NS1_11comp_targetILNS1_3genE6ELNS1_11target_archE950ELNS1_3gpuE13ELNS1_3repE0EEENS1_47radix_sort_onesweep_sort_config_static_selectorELNS0_4arch9wavefront6targetE1EEEvSK_
	.globl	_ZN7rocprim17ROCPRIM_400000_NS6detail17trampoline_kernelINS0_14default_configENS1_35radix_sort_onesweep_config_selectorIsNS0_10empty_typeEEEZZNS1_29radix_sort_onesweep_iterationIS3_Lb0EN6thrust23THRUST_200600_302600_NS6detail15normal_iteratorINS9_10device_ptrIsEEEESE_PS5_SF_jNS0_19identity_decomposerENS1_16block_id_wrapperIjLb1EEEEE10hipError_tT1_PNSt15iterator_traitsISK_E10value_typeET2_T3_PNSL_ISQ_E10value_typeET4_T5_PSV_SW_PNS1_23onesweep_lookback_stateEbbT6_jjT7_P12ihipStream_tbENKUlT_T0_SK_SP_E_clIPsSE_SF_SF_EEDaS13_S14_SK_SP_EUlS13_E_NS1_11comp_targetILNS1_3genE6ELNS1_11target_archE950ELNS1_3gpuE13ELNS1_3repE0EEENS1_47radix_sort_onesweep_sort_config_static_selectorELNS0_4arch9wavefront6targetE1EEEvSK_
	.p2align	8
	.type	_ZN7rocprim17ROCPRIM_400000_NS6detail17trampoline_kernelINS0_14default_configENS1_35radix_sort_onesweep_config_selectorIsNS0_10empty_typeEEEZZNS1_29radix_sort_onesweep_iterationIS3_Lb0EN6thrust23THRUST_200600_302600_NS6detail15normal_iteratorINS9_10device_ptrIsEEEESE_PS5_SF_jNS0_19identity_decomposerENS1_16block_id_wrapperIjLb1EEEEE10hipError_tT1_PNSt15iterator_traitsISK_E10value_typeET2_T3_PNSL_ISQ_E10value_typeET4_T5_PSV_SW_PNS1_23onesweep_lookback_stateEbbT6_jjT7_P12ihipStream_tbENKUlT_T0_SK_SP_E_clIPsSE_SF_SF_EEDaS13_S14_SK_SP_EUlS13_E_NS1_11comp_targetILNS1_3genE6ELNS1_11target_archE950ELNS1_3gpuE13ELNS1_3repE0EEENS1_47radix_sort_onesweep_sort_config_static_selectorELNS0_4arch9wavefront6targetE1EEEvSK_,@function
_ZN7rocprim17ROCPRIM_400000_NS6detail17trampoline_kernelINS0_14default_configENS1_35radix_sort_onesweep_config_selectorIsNS0_10empty_typeEEEZZNS1_29radix_sort_onesweep_iterationIS3_Lb0EN6thrust23THRUST_200600_302600_NS6detail15normal_iteratorINS9_10device_ptrIsEEEESE_PS5_SF_jNS0_19identity_decomposerENS1_16block_id_wrapperIjLb1EEEEE10hipError_tT1_PNSt15iterator_traitsISK_E10value_typeET2_T3_PNSL_ISQ_E10value_typeET4_T5_PSV_SW_PNS1_23onesweep_lookback_stateEbbT6_jjT7_P12ihipStream_tbENKUlT_T0_SK_SP_E_clIPsSE_SF_SF_EEDaS13_S14_SK_SP_EUlS13_E_NS1_11comp_targetILNS1_3genE6ELNS1_11target_archE950ELNS1_3gpuE13ELNS1_3repE0EEENS1_47radix_sort_onesweep_sort_config_static_selectorELNS0_4arch9wavefront6targetE1EEEvSK_: ; @_ZN7rocprim17ROCPRIM_400000_NS6detail17trampoline_kernelINS0_14default_configENS1_35radix_sort_onesweep_config_selectorIsNS0_10empty_typeEEEZZNS1_29radix_sort_onesweep_iterationIS3_Lb0EN6thrust23THRUST_200600_302600_NS6detail15normal_iteratorINS9_10device_ptrIsEEEESE_PS5_SF_jNS0_19identity_decomposerENS1_16block_id_wrapperIjLb1EEEEE10hipError_tT1_PNSt15iterator_traitsISK_E10value_typeET2_T3_PNSL_ISQ_E10value_typeET4_T5_PSV_SW_PNS1_23onesweep_lookback_stateEbbT6_jjT7_P12ihipStream_tbENKUlT_T0_SK_SP_E_clIPsSE_SF_SF_EEDaS13_S14_SK_SP_EUlS13_E_NS1_11comp_targetILNS1_3genE6ELNS1_11target_archE950ELNS1_3gpuE13ELNS1_3repE0EEENS1_47radix_sort_onesweep_sort_config_static_selectorELNS0_4arch9wavefront6targetE1EEEvSK_
; %bb.0:
	.section	.rodata,"a",@progbits
	.p2align	6, 0x0
	.amdhsa_kernel _ZN7rocprim17ROCPRIM_400000_NS6detail17trampoline_kernelINS0_14default_configENS1_35radix_sort_onesweep_config_selectorIsNS0_10empty_typeEEEZZNS1_29radix_sort_onesweep_iterationIS3_Lb0EN6thrust23THRUST_200600_302600_NS6detail15normal_iteratorINS9_10device_ptrIsEEEESE_PS5_SF_jNS0_19identity_decomposerENS1_16block_id_wrapperIjLb1EEEEE10hipError_tT1_PNSt15iterator_traitsISK_E10value_typeET2_T3_PNSL_ISQ_E10value_typeET4_T5_PSV_SW_PNS1_23onesweep_lookback_stateEbbT6_jjT7_P12ihipStream_tbENKUlT_T0_SK_SP_E_clIPsSE_SF_SF_EEDaS13_S14_SK_SP_EUlS13_E_NS1_11comp_targetILNS1_3genE6ELNS1_11target_archE950ELNS1_3gpuE13ELNS1_3repE0EEENS1_47radix_sort_onesweep_sort_config_static_selectorELNS0_4arch9wavefront6targetE1EEEvSK_
		.amdhsa_group_segment_fixed_size 0
		.amdhsa_private_segment_fixed_size 0
		.amdhsa_kernarg_size 88
		.amdhsa_user_sgpr_count 2
		.amdhsa_user_sgpr_dispatch_ptr 0
		.amdhsa_user_sgpr_queue_ptr 0
		.amdhsa_user_sgpr_kernarg_segment_ptr 1
		.amdhsa_user_sgpr_dispatch_id 0
		.amdhsa_user_sgpr_kernarg_preload_length 0
		.amdhsa_user_sgpr_kernarg_preload_offset 0
		.amdhsa_user_sgpr_private_segment_size 0
		.amdhsa_uses_dynamic_stack 0
		.amdhsa_enable_private_segment 0
		.amdhsa_system_sgpr_workgroup_id_x 1
		.amdhsa_system_sgpr_workgroup_id_y 0
		.amdhsa_system_sgpr_workgroup_id_z 0
		.amdhsa_system_sgpr_workgroup_info 0
		.amdhsa_system_vgpr_workitem_id 0
		.amdhsa_next_free_vgpr 1
		.amdhsa_next_free_sgpr 0
		.amdhsa_accum_offset 4
		.amdhsa_reserve_vcc 0
		.amdhsa_float_round_mode_32 0
		.amdhsa_float_round_mode_16_64 0
		.amdhsa_float_denorm_mode_32 3
		.amdhsa_float_denorm_mode_16_64 3
		.amdhsa_dx10_clamp 1
		.amdhsa_ieee_mode 1
		.amdhsa_fp16_overflow 0
		.amdhsa_tg_split 0
		.amdhsa_exception_fp_ieee_invalid_op 0
		.amdhsa_exception_fp_denorm_src 0
		.amdhsa_exception_fp_ieee_div_zero 0
		.amdhsa_exception_fp_ieee_overflow 0
		.amdhsa_exception_fp_ieee_underflow 0
		.amdhsa_exception_fp_ieee_inexact 0
		.amdhsa_exception_int_div_zero 0
	.end_amdhsa_kernel
	.section	.text._ZN7rocprim17ROCPRIM_400000_NS6detail17trampoline_kernelINS0_14default_configENS1_35radix_sort_onesweep_config_selectorIsNS0_10empty_typeEEEZZNS1_29radix_sort_onesweep_iterationIS3_Lb0EN6thrust23THRUST_200600_302600_NS6detail15normal_iteratorINS9_10device_ptrIsEEEESE_PS5_SF_jNS0_19identity_decomposerENS1_16block_id_wrapperIjLb1EEEEE10hipError_tT1_PNSt15iterator_traitsISK_E10value_typeET2_T3_PNSL_ISQ_E10value_typeET4_T5_PSV_SW_PNS1_23onesweep_lookback_stateEbbT6_jjT7_P12ihipStream_tbENKUlT_T0_SK_SP_E_clIPsSE_SF_SF_EEDaS13_S14_SK_SP_EUlS13_E_NS1_11comp_targetILNS1_3genE6ELNS1_11target_archE950ELNS1_3gpuE13ELNS1_3repE0EEENS1_47radix_sort_onesweep_sort_config_static_selectorELNS0_4arch9wavefront6targetE1EEEvSK_,"axG",@progbits,_ZN7rocprim17ROCPRIM_400000_NS6detail17trampoline_kernelINS0_14default_configENS1_35radix_sort_onesweep_config_selectorIsNS0_10empty_typeEEEZZNS1_29radix_sort_onesweep_iterationIS3_Lb0EN6thrust23THRUST_200600_302600_NS6detail15normal_iteratorINS9_10device_ptrIsEEEESE_PS5_SF_jNS0_19identity_decomposerENS1_16block_id_wrapperIjLb1EEEEE10hipError_tT1_PNSt15iterator_traitsISK_E10value_typeET2_T3_PNSL_ISQ_E10value_typeET4_T5_PSV_SW_PNS1_23onesweep_lookback_stateEbbT6_jjT7_P12ihipStream_tbENKUlT_T0_SK_SP_E_clIPsSE_SF_SF_EEDaS13_S14_SK_SP_EUlS13_E_NS1_11comp_targetILNS1_3genE6ELNS1_11target_archE950ELNS1_3gpuE13ELNS1_3repE0EEENS1_47radix_sort_onesweep_sort_config_static_selectorELNS0_4arch9wavefront6targetE1EEEvSK_,comdat
.Lfunc_end1969:
	.size	_ZN7rocprim17ROCPRIM_400000_NS6detail17trampoline_kernelINS0_14default_configENS1_35radix_sort_onesweep_config_selectorIsNS0_10empty_typeEEEZZNS1_29radix_sort_onesweep_iterationIS3_Lb0EN6thrust23THRUST_200600_302600_NS6detail15normal_iteratorINS9_10device_ptrIsEEEESE_PS5_SF_jNS0_19identity_decomposerENS1_16block_id_wrapperIjLb1EEEEE10hipError_tT1_PNSt15iterator_traitsISK_E10value_typeET2_T3_PNSL_ISQ_E10value_typeET4_T5_PSV_SW_PNS1_23onesweep_lookback_stateEbbT6_jjT7_P12ihipStream_tbENKUlT_T0_SK_SP_E_clIPsSE_SF_SF_EEDaS13_S14_SK_SP_EUlS13_E_NS1_11comp_targetILNS1_3genE6ELNS1_11target_archE950ELNS1_3gpuE13ELNS1_3repE0EEENS1_47radix_sort_onesweep_sort_config_static_selectorELNS0_4arch9wavefront6targetE1EEEvSK_, .Lfunc_end1969-_ZN7rocprim17ROCPRIM_400000_NS6detail17trampoline_kernelINS0_14default_configENS1_35radix_sort_onesweep_config_selectorIsNS0_10empty_typeEEEZZNS1_29radix_sort_onesweep_iterationIS3_Lb0EN6thrust23THRUST_200600_302600_NS6detail15normal_iteratorINS9_10device_ptrIsEEEESE_PS5_SF_jNS0_19identity_decomposerENS1_16block_id_wrapperIjLb1EEEEE10hipError_tT1_PNSt15iterator_traitsISK_E10value_typeET2_T3_PNSL_ISQ_E10value_typeET4_T5_PSV_SW_PNS1_23onesweep_lookback_stateEbbT6_jjT7_P12ihipStream_tbENKUlT_T0_SK_SP_E_clIPsSE_SF_SF_EEDaS13_S14_SK_SP_EUlS13_E_NS1_11comp_targetILNS1_3genE6ELNS1_11target_archE950ELNS1_3gpuE13ELNS1_3repE0EEENS1_47radix_sort_onesweep_sort_config_static_selectorELNS0_4arch9wavefront6targetE1EEEvSK_
                                        ; -- End function
	.section	.AMDGPU.csdata,"",@progbits
; Kernel info:
; codeLenInByte = 0
; NumSgprs: 6
; NumVgprs: 0
; NumAgprs: 0
; TotalNumVgprs: 0
; ScratchSize: 0
; MemoryBound: 0
; FloatMode: 240
; IeeeMode: 1
; LDSByteSize: 0 bytes/workgroup (compile time only)
; SGPRBlocks: 0
; VGPRBlocks: 0
; NumSGPRsForWavesPerEU: 6
; NumVGPRsForWavesPerEU: 1
; AccumOffset: 4
; Occupancy: 8
; WaveLimiterHint : 0
; COMPUTE_PGM_RSRC2:SCRATCH_EN: 0
; COMPUTE_PGM_RSRC2:USER_SGPR: 2
; COMPUTE_PGM_RSRC2:TRAP_HANDLER: 0
; COMPUTE_PGM_RSRC2:TGID_X_EN: 1
; COMPUTE_PGM_RSRC2:TGID_Y_EN: 0
; COMPUTE_PGM_RSRC2:TGID_Z_EN: 0
; COMPUTE_PGM_RSRC2:TIDIG_COMP_CNT: 0
; COMPUTE_PGM_RSRC3_GFX90A:ACCUM_OFFSET: 0
; COMPUTE_PGM_RSRC3_GFX90A:TG_SPLIT: 0
	.section	.text._ZN7rocprim17ROCPRIM_400000_NS6detail17trampoline_kernelINS0_14default_configENS1_35radix_sort_onesweep_config_selectorIsNS0_10empty_typeEEEZZNS1_29radix_sort_onesweep_iterationIS3_Lb0EN6thrust23THRUST_200600_302600_NS6detail15normal_iteratorINS9_10device_ptrIsEEEESE_PS5_SF_jNS0_19identity_decomposerENS1_16block_id_wrapperIjLb1EEEEE10hipError_tT1_PNSt15iterator_traitsISK_E10value_typeET2_T3_PNSL_ISQ_E10value_typeET4_T5_PSV_SW_PNS1_23onesweep_lookback_stateEbbT6_jjT7_P12ihipStream_tbENKUlT_T0_SK_SP_E_clIPsSE_SF_SF_EEDaS13_S14_SK_SP_EUlS13_E_NS1_11comp_targetILNS1_3genE5ELNS1_11target_archE942ELNS1_3gpuE9ELNS1_3repE0EEENS1_47radix_sort_onesweep_sort_config_static_selectorELNS0_4arch9wavefront6targetE1EEEvSK_,"axG",@progbits,_ZN7rocprim17ROCPRIM_400000_NS6detail17trampoline_kernelINS0_14default_configENS1_35radix_sort_onesweep_config_selectorIsNS0_10empty_typeEEEZZNS1_29radix_sort_onesweep_iterationIS3_Lb0EN6thrust23THRUST_200600_302600_NS6detail15normal_iteratorINS9_10device_ptrIsEEEESE_PS5_SF_jNS0_19identity_decomposerENS1_16block_id_wrapperIjLb1EEEEE10hipError_tT1_PNSt15iterator_traitsISK_E10value_typeET2_T3_PNSL_ISQ_E10value_typeET4_T5_PSV_SW_PNS1_23onesweep_lookback_stateEbbT6_jjT7_P12ihipStream_tbENKUlT_T0_SK_SP_E_clIPsSE_SF_SF_EEDaS13_S14_SK_SP_EUlS13_E_NS1_11comp_targetILNS1_3genE5ELNS1_11target_archE942ELNS1_3gpuE9ELNS1_3repE0EEENS1_47radix_sort_onesweep_sort_config_static_selectorELNS0_4arch9wavefront6targetE1EEEvSK_,comdat
	.protected	_ZN7rocprim17ROCPRIM_400000_NS6detail17trampoline_kernelINS0_14default_configENS1_35radix_sort_onesweep_config_selectorIsNS0_10empty_typeEEEZZNS1_29radix_sort_onesweep_iterationIS3_Lb0EN6thrust23THRUST_200600_302600_NS6detail15normal_iteratorINS9_10device_ptrIsEEEESE_PS5_SF_jNS0_19identity_decomposerENS1_16block_id_wrapperIjLb1EEEEE10hipError_tT1_PNSt15iterator_traitsISK_E10value_typeET2_T3_PNSL_ISQ_E10value_typeET4_T5_PSV_SW_PNS1_23onesweep_lookback_stateEbbT6_jjT7_P12ihipStream_tbENKUlT_T0_SK_SP_E_clIPsSE_SF_SF_EEDaS13_S14_SK_SP_EUlS13_E_NS1_11comp_targetILNS1_3genE5ELNS1_11target_archE942ELNS1_3gpuE9ELNS1_3repE0EEENS1_47radix_sort_onesweep_sort_config_static_selectorELNS0_4arch9wavefront6targetE1EEEvSK_ ; -- Begin function _ZN7rocprim17ROCPRIM_400000_NS6detail17trampoline_kernelINS0_14default_configENS1_35radix_sort_onesweep_config_selectorIsNS0_10empty_typeEEEZZNS1_29radix_sort_onesweep_iterationIS3_Lb0EN6thrust23THRUST_200600_302600_NS6detail15normal_iteratorINS9_10device_ptrIsEEEESE_PS5_SF_jNS0_19identity_decomposerENS1_16block_id_wrapperIjLb1EEEEE10hipError_tT1_PNSt15iterator_traitsISK_E10value_typeET2_T3_PNSL_ISQ_E10value_typeET4_T5_PSV_SW_PNS1_23onesweep_lookback_stateEbbT6_jjT7_P12ihipStream_tbENKUlT_T0_SK_SP_E_clIPsSE_SF_SF_EEDaS13_S14_SK_SP_EUlS13_E_NS1_11comp_targetILNS1_3genE5ELNS1_11target_archE942ELNS1_3gpuE9ELNS1_3repE0EEENS1_47radix_sort_onesweep_sort_config_static_selectorELNS0_4arch9wavefront6targetE1EEEvSK_
	.globl	_ZN7rocprim17ROCPRIM_400000_NS6detail17trampoline_kernelINS0_14default_configENS1_35radix_sort_onesweep_config_selectorIsNS0_10empty_typeEEEZZNS1_29radix_sort_onesweep_iterationIS3_Lb0EN6thrust23THRUST_200600_302600_NS6detail15normal_iteratorINS9_10device_ptrIsEEEESE_PS5_SF_jNS0_19identity_decomposerENS1_16block_id_wrapperIjLb1EEEEE10hipError_tT1_PNSt15iterator_traitsISK_E10value_typeET2_T3_PNSL_ISQ_E10value_typeET4_T5_PSV_SW_PNS1_23onesweep_lookback_stateEbbT6_jjT7_P12ihipStream_tbENKUlT_T0_SK_SP_E_clIPsSE_SF_SF_EEDaS13_S14_SK_SP_EUlS13_E_NS1_11comp_targetILNS1_3genE5ELNS1_11target_archE942ELNS1_3gpuE9ELNS1_3repE0EEENS1_47radix_sort_onesweep_sort_config_static_selectorELNS0_4arch9wavefront6targetE1EEEvSK_
	.p2align	8
	.type	_ZN7rocprim17ROCPRIM_400000_NS6detail17trampoline_kernelINS0_14default_configENS1_35radix_sort_onesweep_config_selectorIsNS0_10empty_typeEEEZZNS1_29radix_sort_onesweep_iterationIS3_Lb0EN6thrust23THRUST_200600_302600_NS6detail15normal_iteratorINS9_10device_ptrIsEEEESE_PS5_SF_jNS0_19identity_decomposerENS1_16block_id_wrapperIjLb1EEEEE10hipError_tT1_PNSt15iterator_traitsISK_E10value_typeET2_T3_PNSL_ISQ_E10value_typeET4_T5_PSV_SW_PNS1_23onesweep_lookback_stateEbbT6_jjT7_P12ihipStream_tbENKUlT_T0_SK_SP_E_clIPsSE_SF_SF_EEDaS13_S14_SK_SP_EUlS13_E_NS1_11comp_targetILNS1_3genE5ELNS1_11target_archE942ELNS1_3gpuE9ELNS1_3repE0EEENS1_47radix_sort_onesweep_sort_config_static_selectorELNS0_4arch9wavefront6targetE1EEEvSK_,@function
_ZN7rocprim17ROCPRIM_400000_NS6detail17trampoline_kernelINS0_14default_configENS1_35radix_sort_onesweep_config_selectorIsNS0_10empty_typeEEEZZNS1_29radix_sort_onesweep_iterationIS3_Lb0EN6thrust23THRUST_200600_302600_NS6detail15normal_iteratorINS9_10device_ptrIsEEEESE_PS5_SF_jNS0_19identity_decomposerENS1_16block_id_wrapperIjLb1EEEEE10hipError_tT1_PNSt15iterator_traitsISK_E10value_typeET2_T3_PNSL_ISQ_E10value_typeET4_T5_PSV_SW_PNS1_23onesweep_lookback_stateEbbT6_jjT7_P12ihipStream_tbENKUlT_T0_SK_SP_E_clIPsSE_SF_SF_EEDaS13_S14_SK_SP_EUlS13_E_NS1_11comp_targetILNS1_3genE5ELNS1_11target_archE942ELNS1_3gpuE9ELNS1_3repE0EEENS1_47radix_sort_onesweep_sort_config_static_selectorELNS0_4arch9wavefront6targetE1EEEvSK_: ; @_ZN7rocprim17ROCPRIM_400000_NS6detail17trampoline_kernelINS0_14default_configENS1_35radix_sort_onesweep_config_selectorIsNS0_10empty_typeEEEZZNS1_29radix_sort_onesweep_iterationIS3_Lb0EN6thrust23THRUST_200600_302600_NS6detail15normal_iteratorINS9_10device_ptrIsEEEESE_PS5_SF_jNS0_19identity_decomposerENS1_16block_id_wrapperIjLb1EEEEE10hipError_tT1_PNSt15iterator_traitsISK_E10value_typeET2_T3_PNSL_ISQ_E10value_typeET4_T5_PSV_SW_PNS1_23onesweep_lookback_stateEbbT6_jjT7_P12ihipStream_tbENKUlT_T0_SK_SP_E_clIPsSE_SF_SF_EEDaS13_S14_SK_SP_EUlS13_E_NS1_11comp_targetILNS1_3genE5ELNS1_11target_archE942ELNS1_3gpuE9ELNS1_3repE0EEENS1_47radix_sort_onesweep_sort_config_static_selectorELNS0_4arch9wavefront6targetE1EEEvSK_
; %bb.0:
	s_load_dwordx4 s[20:23], s[0:1], 0x28
	s_load_dwordx2 s[18:19], s[0:1], 0x38
	s_load_dwordx4 s[24:27], s[0:1], 0x44
	v_and_b32_e32 v10, 0x3ff, v0
	v_cmp_eq_u32_e64 s[10:11], 0, v10
	s_and_saveexec_b64 s[4:5], s[10:11]
	s_cbranch_execz .LBB1970_4
; %bb.1:
	s_mov_b64 s[8:9], exec
	v_mbcnt_lo_u32_b32 v1, s8, 0
	v_mbcnt_hi_u32_b32 v1, s9, v1
	v_cmp_eq_u32_e32 vcc, 0, v1
                                        ; implicit-def: $vgpr2
	s_and_saveexec_b64 s[6:7], vcc
	s_cbranch_execz .LBB1970_3
; %bb.2:
	s_load_dwordx2 s[12:13], s[0:1], 0x50
	s_bcnt1_i32_b64 s3, s[8:9]
	v_mov_b32_e32 v2, 0
	v_mov_b32_e32 v3, s3
	s_waitcnt lgkmcnt(0)
	global_atomic_add v2, v2, v3, s[12:13] sc0
.LBB1970_3:
	s_or_b64 exec, exec, s[6:7]
	s_waitcnt vmcnt(0)
	v_readfirstlane_b32 s3, v2
	v_mov_b32_e32 v2, 0
	s_nop 0
	v_add_u32_e32 v1, s3, v1
	ds_write_b32 v2, v1 offset:25600
.LBB1970_4:
	s_or_b64 exec, exec, s[4:5]
	v_mov_b32_e32 v3, 0
	s_load_dwordx4 s[28:31], s[0:1], 0x0
	s_load_dword s3, s[0:1], 0x20
	s_waitcnt lgkmcnt(0)
	s_barrier
	ds_read_b32 v1, v3 offset:25600
	s_waitcnt lgkmcnt(0)
	s_barrier
	v_readfirstlane_b32 s27, v1
	v_cmp_le_u32_e32 vcc, s26, v1
	s_mul_i32 s34, s27, 0x3000
	v_mbcnt_lo_u32_b32 v1, -1, 0
	s_cbranch_vccz .LBB1970_100
; %bb.5:
	s_mul_i32 s4, s26, 0xffffd000
	s_mov_b32 s35, 0
	s_add_i32 s3, s4, s3
	s_lshl_b64 s[4:5], s[34:35], 1
	v_mbcnt_hi_u32_b32 v11, -1, v1
	s_add_u32 s4, s28, s4
	v_and_b32_e32 v6, 63, v11
	v_and_b32_e32 v2, 0x3c0, v10
	s_addc_u32 s5, s29, s5
	v_mul_u32_u24_e32 v7, 12, v2
	v_lshlrev_b32_e32 v2, 1, v6
	v_lshl_add_u64 v[4:5], s[4:5], 0, v[2:3]
	s_mov_b32 s4, 0x7fff7fff
	v_lshlrev_b32_e32 v2, 1, v7
	s_mov_b32 s5, s4
	v_lshl_add_u64 v[12:13], v[4:5], 0, v[2:3]
	v_or_b32_e32 v14, v6, v7
	s_mov_b32 s6, s4
	s_mov_b32 s7, s4
	s_mov_b32 s8, s4
	s_mov_b32 s9, s4
	v_mov_b64_e32 v[2:3], s[4:5]
	v_cmp_gt_u32_e32 vcc, s3, v14
	v_mov_b64_e32 v[4:5], s[6:7]
	v_mov_b64_e32 v[6:7], s[8:9]
	;; [unrolled: 1-line block ×3, first 2 shown]
	s_and_saveexec_b64 s[4:5], vcc
	s_cbranch_execz .LBB1970_7
; %bb.6:
	global_load_ushort v2, v[12:13], off
	s_movk_i32 s6, 0x7fff
	v_mov_b32_e32 v7, 0x5040100
	v_mov_b32_e32 v3, 0x7fff7fff
	;; [unrolled: 1-line block ×5, first 2 shown]
	s_waitcnt vmcnt(0)
	v_perm_b32 v2, s6, v2, v7
	v_mov_b32_e32 v7, v3
.LBB1970_7:
	s_or_b64 exec, exec, s[4:5]
	v_or_b32_e32 v8, 64, v14
	v_cmp_gt_u32_e32 vcc, s3, v8
	s_and_saveexec_b64 s[4:5], vcc
	s_cbranch_execz .LBB1970_9
; %bb.8:
	global_load_ushort v8, v[12:13], off offset:128
	s_mov_b32 s6, 0x5040100
	s_waitcnt vmcnt(0)
	v_perm_b32 v2, v8, v2, s6
.LBB1970_9:
	s_or_b64 exec, exec, s[4:5]
	v_or_b32_e32 v8, 0x80, v14
	v_cmp_gt_u32_e32 vcc, s3, v8
	s_and_saveexec_b64 s[4:5], vcc
	s_cbranch_execz .LBB1970_11
; %bb.10:
	global_load_ushort v8, v[12:13], off offset:256
	s_mov_b32 s6, 0xffff
	s_waitcnt vmcnt(0)
	v_bfi_b32 v3, s6, v8, v3
.LBB1970_11:
	s_or_b64 exec, exec, s[4:5]
	v_or_b32_e32 v8, 0xc0, v14
	v_cmp_gt_u32_e32 vcc, s3, v8
	s_and_saveexec_b64 s[4:5], vcc
	s_cbranch_execz .LBB1970_13
; %bb.12:
	global_load_ushort v8, v[12:13], off offset:384
	s_mov_b32 s6, 0x5040100
	s_waitcnt vmcnt(0)
	v_perm_b32 v3, v8, v3, s6
.LBB1970_13:
	s_or_b64 exec, exec, s[4:5]
	v_add_u32_e32 v8, 0x100, v14
	v_cmp_gt_u32_e32 vcc, s3, v8
	s_and_saveexec_b64 s[4:5], vcc
	s_cbranch_execz .LBB1970_15
; %bb.14:
	global_load_ushort v8, v[12:13], off offset:512
	s_mov_b32 s6, 0xffff
	s_waitcnt vmcnt(0)
	v_bfi_b32 v4, s6, v8, v4
.LBB1970_15:
	s_or_b64 exec, exec, s[4:5]
	v_add_u32_e32 v8, 0x140, v14
	v_cmp_gt_u32_e32 vcc, s3, v8
	s_and_saveexec_b64 s[4:5], vcc
	s_cbranch_execz .LBB1970_17
; %bb.16:
	global_load_ushort v8, v[12:13], off offset:640
	s_mov_b32 s6, 0x5040100
	s_waitcnt vmcnt(0)
	v_perm_b32 v4, v8, v4, s6
.LBB1970_17:
	s_or_b64 exec, exec, s[4:5]
	v_add_u32_e32 v8, 0x180, v14
	v_cmp_gt_u32_e32 vcc, s3, v8
	s_and_saveexec_b64 s[4:5], vcc
	s_cbranch_execz .LBB1970_19
; %bb.18:
	global_load_ushort v8, v[12:13], off offset:768
	s_mov_b32 s6, 0xffff
	s_waitcnt vmcnt(0)
	v_bfi_b32 v5, s6, v8, v5
.LBB1970_19:
	s_or_b64 exec, exec, s[4:5]
	v_add_u32_e32 v8, 0x1c0, v14
	v_cmp_gt_u32_e32 vcc, s3, v8
	s_and_saveexec_b64 s[4:5], vcc
	s_cbranch_execz .LBB1970_21
; %bb.20:
	global_load_ushort v8, v[12:13], off offset:896
	s_mov_b32 s6, 0x5040100
	s_waitcnt vmcnt(0)
	v_perm_b32 v5, v8, v5, s6
.LBB1970_21:
	s_or_b64 exec, exec, s[4:5]
	v_add_u32_e32 v8, 0x200, v14
	v_cmp_gt_u32_e32 vcc, s3, v8
	s_and_saveexec_b64 s[4:5], vcc
	s_cbranch_execz .LBB1970_23
; %bb.22:
	global_load_ushort v8, v[12:13], off offset:1024
	s_mov_b32 s6, 0xffff
	s_waitcnt vmcnt(0)
	v_bfi_b32 v6, s6, v8, v6
.LBB1970_23:
	s_or_b64 exec, exec, s[4:5]
	v_add_u32_e32 v8, 0x240, v14
	v_cmp_gt_u32_e32 vcc, s3, v8
	s_and_saveexec_b64 s[4:5], vcc
	s_cbranch_execz .LBB1970_25
; %bb.24:
	global_load_ushort v8, v[12:13], off offset:1152
	s_mov_b32 s6, 0x5040100
	s_waitcnt vmcnt(0)
	v_perm_b32 v6, v8, v6, s6
.LBB1970_25:
	s_or_b64 exec, exec, s[4:5]
	v_add_u32_e32 v8, 0x280, v14
	v_cmp_gt_u32_e32 vcc, s3, v8
	s_and_saveexec_b64 s[4:5], vcc
	s_cbranch_execz .LBB1970_27
; %bb.26:
	global_load_ushort v8, v[12:13], off offset:1280
	s_mov_b32 s6, 0xffff
	s_waitcnt vmcnt(0)
	v_bfi_b32 v7, s6, v8, v7
.LBB1970_27:
	s_or_b64 exec, exec, s[4:5]
	v_add_u32_e32 v8, 0x2c0, v14
	v_cmp_gt_u32_e32 vcc, s3, v8
	s_and_saveexec_b64 s[4:5], vcc
	s_cbranch_execz .LBB1970_29
; %bb.28:
	global_load_ushort v8, v[12:13], off offset:1408
	s_mov_b32 s6, 0x5040100
	s_waitcnt vmcnt(0)
	v_perm_b32 v7, v8, v7, s6
.LBB1970_29:
	s_or_b64 exec, exec, s[4:5]
	s_load_dword s4, s[0:1], 0x64
	s_load_dword s26, s[0:1], 0x58
	s_add_u32 s5, s0, 0x58
	s_addc_u32 s6, s1, 0
	v_mov_b32_e32 v9, 0
	s_waitcnt lgkmcnt(0)
	s_lshr_b32 s7, s4, 16
	s_cmp_lt_u32 s2, s26
	s_cselect_b32 s4, 12, 18
	s_add_u32 s4, s5, s4
	s_addc_u32 s5, s6, 0
	global_load_ushort v28, v9, s[4:5]
	v_xor_b32_e32 v14, 0xffff8000, v2
	s_lshl_b32 s4, -1, s25
	v_lshrrev_b32_sdwa v17, s24, v14 dst_sel:DWORD dst_unused:UNUSED_PAD src0_sel:DWORD src1_sel:WORD_0
	s_not_b32 s33, s4
	v_bfe_u32 v8, v0, 10, 10
	v_bfe_u32 v13, v0, 20, 10
	v_and_b32_e32 v30, s33, v17
	v_mul_u32_u24_e32 v12, 5, v10
	v_mad_u32_u24 v29, v13, s7, v8
	v_and_b32_e32 v8, 1, v30
	v_lshlrev_b32_e32 v13, 30, v30
	v_lshlrev_b32_e32 v15, 2, v12
	v_mov_b32_e32 v12, v9
	v_mov_b32_e32 v18, v9
	v_lshlrev_b32_e32 v17, 29, v30
	v_lshlrev_b32_e32 v19, 28, v30
	v_lshl_add_u64 v[26:27], v[8:9], 0, -1
	v_cmp_ne_u32_e32 vcc, 0, v8
	v_not_b32_e32 v8, v13
	v_mov_b32_e32 v16, v9
	v_mov_b32_e32 v20, v9
	v_lshlrev_b32_e32 v21, 27, v30
	v_cmp_gt_i64_e64 s[4:5], 0, v[12:13]
	v_not_b32_e32 v12, v17
	v_cmp_gt_i64_e64 s[8:9], 0, v[18:19]
	v_not_b32_e32 v13, v19
	v_xor_b32_e32 v19, vcc_hi, v27
	v_ashrrev_i32_e32 v8, 31, v8
	v_mov_b32_e32 v22, v9
	v_lshlrev_b32_e32 v23, 26, v30
	v_cmp_gt_i64_e64 s[6:7], 0, v[16:17]
	v_cmp_gt_i64_e64 s[12:13], 0, v[20:21]
	v_not_b32_e32 v16, v21
	v_xor_b32_e32 v20, vcc_lo, v26
	v_ashrrev_i32_e32 v12, 31, v12
	v_and_b32_e32 v19, exec_hi, v19
	v_xor_b32_e32 v21, s5, v8
	v_cmp_gt_i64_e64 s[14:15], 0, v[22:23]
	v_ashrrev_i32_e32 v13, 31, v13
	v_and_b32_e32 v20, exec_lo, v20
	v_xor_b32_e32 v8, s4, v8
	v_xor_b32_e32 v22, s7, v12
	v_and_b32_e32 v19, v19, v21
	v_mov_b32_e32 v24, v9
	v_lshlrev_b32_e32 v25, 25, v30
	v_not_b32_e32 v17, v23
	v_ashrrev_i32_e32 v16, 31, v16
	v_xor_b32_e32 v12, s6, v12
	v_xor_b32_e32 v23, s9, v13
	v_and_b32_e32 v8, v20, v8
	v_and_b32_e32 v19, v19, v22
	v_cmp_gt_i64_e64 s[16:17], 0, v[24:25]
	v_not_b32_e32 v18, v25
	v_ashrrev_i32_e32 v17, 31, v17
	v_xor_b32_e32 v24, s13, v16
	v_and_b32_e32 v8, v8, v12
	v_and_b32_e32 v12, v19, v23
	v_ashrrev_i32_e32 v18, 31, v18
	v_xor_b32_e32 v13, s8, v13
	v_xor_b32_e32 v25, s15, v17
	v_and_b32_e32 v12, v12, v24
	v_xor_b32_e32 v16, s12, v16
	v_xor_b32_e32 v26, s17, v18
	v_and_b32_e32 v8, v8, v13
	v_and_b32_e32 v12, v12, v25
	;; [unrolled: 1-line block ×4, first 2 shown]
	v_xor_b32_e32 v17, s14, v17
	v_xor_b32_e32 v18, s16, v18
	v_and_b32_e32 v8, v8, v17
	v_and_b32_e32 v8, v8, v18
	v_mul_u32_u24_e32 v31, 17, v30
	s_movk_i32 s35, 0x8000
	ds_write2_b32 v15, v9, v9 offset0:16 offset1:17
	ds_write2_b32 v15, v9, v9 offset0:18 offset1:19
	ds_write_b32 v15, v9 offset:80
	s_waitcnt lgkmcnt(0)
	s_barrier
	s_waitcnt lgkmcnt(0)
	; wave barrier
	s_waitcnt vmcnt(0)
	v_mad_u64_u32 v[12:13], s[4:5], v29, v28, v[10:11]
	v_lshrrev_b32_e32 v26, 6, v12
	v_lshlrev_b32_e32 v13, 24, v30
	v_mov_b32_e32 v12, v9
	v_cmp_gt_i64_e32 vcc, 0, v[12:13]
	v_not_b32_e32 v12, v13
	v_ashrrev_i32_e32 v12, 31, v12
	v_xor_b32_e32 v13, vcc_hi, v12
	v_xor_b32_e32 v12, vcc_lo, v12
	v_and_b32_e32 v12, v8, v12
	v_and_b32_e32 v13, v16, v13
	v_mbcnt_lo_u32_b32 v8, v12, 0
	v_mbcnt_hi_u32_b32 v16, v13, v8
	v_cmp_eq_u32_e32 vcc, 0, v16
	v_cmp_ne_u64_e64 s[4:5], 0, v[12:13]
	v_add_lshl_u32 v19, v26, v31, 2
	s_and_b64 s[6:7], s[4:5], vcc
	s_and_saveexec_b64 s[4:5], s[6:7]
	s_cbranch_execz .LBB1970_31
; %bb.30:
	v_bcnt_u32_b32 v8, v12, 0
	v_bcnt_u32_b32 v8, v13, v8
	ds_write_b32 v19, v8 offset:64
.LBB1970_31:
	s_or_b64 exec, exec, s[4:5]
	v_xor_b32_sdwa v17, v2, s35 dst_sel:DWORD dst_unused:UNUSED_PAD src0_sel:WORD_1 src1_sel:DWORD
	v_lshrrev_b32_sdwa v2, s24, v17 dst_sel:DWORD dst_unused:UNUSED_PAD src0_sel:DWORD src1_sel:WORD_0
	v_and_b32_e32 v2, s33, v2
	v_mul_u32_u24_e32 v8, 17, v2
	v_add_lshl_u32 v20, v26, v8, 2
	v_and_b32_e32 v8, 1, v2
	v_lshl_add_u64 v[12:13], v[8:9], 0, -1
	v_cmp_ne_u32_e32 vcc, 0, v8
	; wave barrier
	s_nop 1
	v_xor_b32_e32 v12, vcc_lo, v12
	v_xor_b32_e32 v8, vcc_hi, v13
	v_and_b32_e32 v21, exec_lo, v12
	v_lshlrev_b32_e32 v13, 30, v2
	v_mov_b32_e32 v12, v9
	v_cmp_gt_i64_e32 vcc, 0, v[12:13]
	v_not_b32_e32 v12, v13
	v_ashrrev_i32_e32 v12, 31, v12
	v_and_b32_e32 v8, exec_hi, v8
	v_xor_b32_e32 v13, vcc_hi, v12
	v_xor_b32_e32 v12, vcc_lo, v12
	v_and_b32_e32 v8, v8, v13
	v_and_b32_e32 v21, v21, v12
	v_lshlrev_b32_e32 v13, 29, v2
	v_mov_b32_e32 v12, v9
	v_cmp_gt_i64_e32 vcc, 0, v[12:13]
	v_not_b32_e32 v12, v13
	v_ashrrev_i32_e32 v12, 31, v12
	v_xor_b32_e32 v13, vcc_hi, v12
	v_xor_b32_e32 v12, vcc_lo, v12
	v_and_b32_e32 v8, v8, v13
	v_and_b32_e32 v21, v21, v12
	v_lshlrev_b32_e32 v13, 28, v2
	v_mov_b32_e32 v12, v9
	v_cmp_gt_i64_e32 vcc, 0, v[12:13]
	v_not_b32_e32 v12, v13
	v_ashrrev_i32_e32 v12, 31, v12
	;; [unrolled: 9-line block ×5, first 2 shown]
	v_xor_b32_e32 v13, vcc_hi, v12
	v_xor_b32_e32 v12, vcc_lo, v12
	v_and_b32_e32 v8, v8, v13
	v_lshlrev_b32_e32 v13, 24, v2
	v_and_b32_e32 v21, v21, v12
	v_mov_b32_e32 v12, v9
	v_not_b32_e32 v2, v13
	v_cmp_gt_i64_e32 vcc, 0, v[12:13]
	v_ashrrev_i32_e32 v2, 31, v2
	ds_read_b32 v18, v20 offset:64
	v_xor_b32_e32 v9, vcc_hi, v2
	v_xor_b32_e32 v2, vcc_lo, v2
	v_and_b32_e32 v9, v8, v9
	v_and_b32_e32 v8, v21, v2
	v_mbcnt_lo_u32_b32 v2, v8, 0
	v_mbcnt_hi_u32_b32 v21, v9, v2
	v_cmp_eq_u32_e32 vcc, 0, v21
	v_cmp_ne_u64_e64 s[4:5], 0, v[8:9]
	s_and_b64 s[6:7], s[4:5], vcc
	; wave barrier
	s_and_saveexec_b64 s[4:5], s[6:7]
	s_cbranch_execz .LBB1970_33
; %bb.32:
	v_bcnt_u32_b32 v2, v8, 0
	v_bcnt_u32_b32 v2, v9, v2
	s_waitcnt lgkmcnt(0)
	v_add_u32_e32 v2, v18, v2
	ds_write_b32 v20, v2 offset:64
.LBB1970_33:
	s_or_b64 exec, exec, s[4:5]
	v_xor_b32_e32 v22, 0xffff8000, v3
	v_lshrrev_b32_sdwa v2, s24, v22 dst_sel:DWORD dst_unused:UNUSED_PAD src0_sel:DWORD src1_sel:WORD_0
	v_and_b32_e32 v2, s33, v2
	v_mul_u32_u24_e32 v8, 17, v2
	v_add_lshl_u32 v24, v26, v8, 2
	v_and_b32_e32 v8, 1, v2
	v_mov_b32_e32 v9, 0
	v_lshl_add_u64 v[12:13], v[8:9], 0, -1
	v_cmp_ne_u32_e32 vcc, 0, v8
	; wave barrier
	s_nop 1
	v_xor_b32_e32 v12, vcc_lo, v12
	v_xor_b32_e32 v8, vcc_hi, v13
	v_and_b32_e32 v25, exec_lo, v12
	v_lshlrev_b32_e32 v13, 30, v2
	v_mov_b32_e32 v12, v9
	v_cmp_gt_i64_e32 vcc, 0, v[12:13]
	v_not_b32_e32 v12, v13
	v_ashrrev_i32_e32 v12, 31, v12
	v_and_b32_e32 v8, exec_hi, v8
	v_xor_b32_e32 v13, vcc_hi, v12
	v_xor_b32_e32 v12, vcc_lo, v12
	v_and_b32_e32 v8, v8, v13
	v_and_b32_e32 v25, v25, v12
	v_lshlrev_b32_e32 v13, 29, v2
	v_mov_b32_e32 v12, v9
	v_cmp_gt_i64_e32 vcc, 0, v[12:13]
	v_not_b32_e32 v12, v13
	v_ashrrev_i32_e32 v12, 31, v12
	v_xor_b32_e32 v13, vcc_hi, v12
	v_xor_b32_e32 v12, vcc_lo, v12
	v_and_b32_e32 v8, v8, v13
	v_and_b32_e32 v25, v25, v12
	v_lshlrev_b32_e32 v13, 28, v2
	v_mov_b32_e32 v12, v9
	v_cmp_gt_i64_e32 vcc, 0, v[12:13]
	v_not_b32_e32 v12, v13
	v_ashrrev_i32_e32 v12, 31, v12
	v_xor_b32_e32 v13, vcc_hi, v12
	v_xor_b32_e32 v12, vcc_lo, v12
	v_and_b32_e32 v8, v8, v13
	v_and_b32_e32 v25, v25, v12
	v_lshlrev_b32_e32 v13, 27, v2
	v_mov_b32_e32 v12, v9
	v_cmp_gt_i64_e32 vcc, 0, v[12:13]
	v_not_b32_e32 v12, v13
	v_ashrrev_i32_e32 v12, 31, v12
	v_xor_b32_e32 v13, vcc_hi, v12
	v_xor_b32_e32 v12, vcc_lo, v12
	v_and_b32_e32 v8, v8, v13
	v_and_b32_e32 v25, v25, v12
	v_lshlrev_b32_e32 v13, 26, v2
	v_mov_b32_e32 v12, v9
	v_cmp_gt_i64_e32 vcc, 0, v[12:13]
	v_not_b32_e32 v12, v13
	v_ashrrev_i32_e32 v12, 31, v12
	v_xor_b32_e32 v13, vcc_hi, v12
	v_xor_b32_e32 v12, vcc_lo, v12
	v_and_b32_e32 v8, v8, v13
	v_and_b32_e32 v25, v25, v12
	v_lshlrev_b32_e32 v13, 25, v2
	v_mov_b32_e32 v12, v9
	v_cmp_gt_i64_e32 vcc, 0, v[12:13]
	v_not_b32_e32 v12, v13
	v_ashrrev_i32_e32 v12, 31, v12
	v_xor_b32_e32 v13, vcc_hi, v12
	v_xor_b32_e32 v12, vcc_lo, v12
	v_and_b32_e32 v8, v8, v13
	v_lshlrev_b32_e32 v13, 24, v2
	v_and_b32_e32 v25, v25, v12
	v_mov_b32_e32 v12, v9
	v_not_b32_e32 v2, v13
	v_cmp_gt_i64_e32 vcc, 0, v[12:13]
	v_ashrrev_i32_e32 v2, 31, v2
	ds_read_b32 v23, v24 offset:64
	v_xor_b32_e32 v12, vcc_hi, v2
	v_xor_b32_e32 v2, vcc_lo, v2
	v_and_b32_e32 v13, v8, v12
	v_and_b32_e32 v12, v25, v2
	v_mbcnt_lo_u32_b32 v2, v12, 0
	v_mbcnt_hi_u32_b32 v25, v13, v2
	v_cmp_eq_u32_e32 vcc, 0, v25
	v_cmp_ne_u64_e64 s[4:5], 0, v[12:13]
	s_movk_i32 s6, 0x8000
	s_and_b64 s[8:9], s[4:5], vcc
	; wave barrier
	s_and_saveexec_b64 s[4:5], s[8:9]
	s_cbranch_execz .LBB1970_35
; %bb.34:
	v_bcnt_u32_b32 v2, v12, 0
	v_bcnt_u32_b32 v2, v13, v2
	s_waitcnt lgkmcnt(0)
	v_add_u32_e32 v2, v23, v2
	ds_write_b32 v24, v2 offset:64
.LBB1970_35:
	s_or_b64 exec, exec, s[4:5]
	v_xor_b32_sdwa v12, v3, s6 dst_sel:DWORD dst_unused:UNUSED_PAD src0_sel:WORD_1 src1_sel:DWORD
	v_lshrrev_b32_sdwa v2, s24, v12 dst_sel:DWORD dst_unused:UNUSED_PAD src0_sel:DWORD src1_sel:WORD_0
	v_and_b32_e32 v28, s33, v2
	v_mul_u32_u24_e32 v2, 17, v28
	v_and_b32_e32 v8, 1, v28
	v_add_lshl_u32 v27, v26, v2, 2
	v_lshl_add_u64 v[2:3], v[8:9], 0, -1
	v_cmp_ne_u32_e32 vcc, 0, v8
	; wave barrier
	s_nop 1
	v_xor_b32_e32 v3, vcc_hi, v3
	v_xor_b32_e32 v2, vcc_lo, v2
	v_and_b32_e32 v8, exec_hi, v3
	v_and_b32_e32 v29, exec_lo, v2
	v_lshlrev_b32_e32 v3, 30, v28
	v_mov_b32_e32 v2, v9
	v_cmp_gt_i64_e32 vcc, 0, v[2:3]
	v_not_b32_e32 v2, v3
	v_ashrrev_i32_e32 v2, 31, v2
	v_xor_b32_e32 v3, vcc_hi, v2
	v_xor_b32_e32 v2, vcc_lo, v2
	v_and_b32_e32 v8, v8, v3
	v_and_b32_e32 v29, v29, v2
	v_lshlrev_b32_e32 v3, 29, v28
	v_mov_b32_e32 v2, v9
	v_cmp_gt_i64_e32 vcc, 0, v[2:3]
	v_not_b32_e32 v2, v3
	v_ashrrev_i32_e32 v2, 31, v2
	v_xor_b32_e32 v3, vcc_hi, v2
	v_xor_b32_e32 v2, vcc_lo, v2
	v_and_b32_e32 v8, v8, v3
	v_and_b32_e32 v29, v29, v2
	;; [unrolled: 9-line block ×6, first 2 shown]
	v_lshlrev_b32_e32 v3, 24, v28
	v_mov_b32_e32 v2, v9
	v_cmp_gt_i64_e32 vcc, 0, v[2:3]
	v_not_b32_e32 v2, v3
	v_ashrrev_i32_e32 v2, 31, v2
	v_xor_b32_e32 v3, vcc_hi, v2
	v_xor_b32_e32 v2, vcc_lo, v2
	ds_read_b32 v13, v27 offset:64
	v_and_b32_e32 v2, v29, v2
	v_and_b32_e32 v3, v8, v3
	v_mbcnt_lo_u32_b32 v8, v2, 0
	v_mbcnt_hi_u32_b32 v28, v3, v8
	v_cmp_eq_u32_e32 vcc, 0, v28
	v_cmp_ne_u64_e64 s[4:5], 0, v[2:3]
	s_and_b64 s[6:7], s[4:5], vcc
	; wave barrier
	s_and_saveexec_b64 s[4:5], s[6:7]
	s_cbranch_execz .LBB1970_37
; %bb.36:
	v_bcnt_u32_b32 v2, v2, 0
	v_bcnt_u32_b32 v2, v3, v2
	s_waitcnt lgkmcnt(0)
	v_add_u32_e32 v2, v13, v2
	ds_write_b32 v27, v2 offset:64
.LBB1970_37:
	s_or_b64 exec, exec, s[4:5]
	v_xor_b32_e32 v29, 0xffff8000, v4
	v_lshrrev_b32_sdwa v2, s24, v29 dst_sel:DWORD dst_unused:UNUSED_PAD src0_sel:DWORD src1_sel:WORD_0
	v_and_b32_e32 v32, s33, v2
	v_mul_u32_u24_e32 v2, 17, v32
	v_add_lshl_u32 v31, v26, v2, 2
	v_and_b32_e32 v2, 1, v32
	v_mov_b32_e32 v3, 0
	v_lshl_add_u64 v[8:9], v[2:3], 0, -1
	v_cmp_ne_u32_e32 vcc, 0, v2
	; wave barrier
	s_nop 1
	v_xor_b32_e32 v8, vcc_lo, v8
	v_xor_b32_e32 v2, vcc_hi, v9
	v_and_b32_e32 v33, exec_lo, v8
	v_lshlrev_b32_e32 v9, 30, v32
	v_mov_b32_e32 v8, v3
	v_cmp_gt_i64_e32 vcc, 0, v[8:9]
	v_not_b32_e32 v8, v9
	v_ashrrev_i32_e32 v8, 31, v8
	v_and_b32_e32 v2, exec_hi, v2
	v_xor_b32_e32 v9, vcc_hi, v8
	v_xor_b32_e32 v8, vcc_lo, v8
	v_and_b32_e32 v2, v2, v9
	v_and_b32_e32 v33, v33, v8
	v_lshlrev_b32_e32 v9, 29, v32
	v_mov_b32_e32 v8, v3
	v_cmp_gt_i64_e32 vcc, 0, v[8:9]
	v_not_b32_e32 v8, v9
	v_ashrrev_i32_e32 v8, 31, v8
	v_xor_b32_e32 v9, vcc_hi, v8
	v_xor_b32_e32 v8, vcc_lo, v8
	v_and_b32_e32 v2, v2, v9
	v_and_b32_e32 v33, v33, v8
	v_lshlrev_b32_e32 v9, 28, v32
	v_mov_b32_e32 v8, v3
	v_cmp_gt_i64_e32 vcc, 0, v[8:9]
	v_not_b32_e32 v8, v9
	v_ashrrev_i32_e32 v8, 31, v8
	;; [unrolled: 9-line block ×6, first 2 shown]
	v_xor_b32_e32 v9, vcc_hi, v8
	v_xor_b32_e32 v8, vcc_lo, v8
	ds_read_b32 v30, v31 offset:64
	v_and_b32_e32 v8, v33, v8
	v_and_b32_e32 v9, v2, v9
	v_mbcnt_lo_u32_b32 v2, v8, 0
	v_mbcnt_hi_u32_b32 v33, v9, v2
	v_cmp_eq_u32_e32 vcc, 0, v33
	v_cmp_ne_u64_e64 s[4:5], 0, v[8:9]
	s_movk_i32 s6, 0x8000
	s_and_b64 s[8:9], s[4:5], vcc
	; wave barrier
	s_and_saveexec_b64 s[4:5], s[8:9]
	s_cbranch_execz .LBB1970_39
; %bb.38:
	v_bcnt_u32_b32 v2, v8, 0
	v_bcnt_u32_b32 v2, v9, v2
	s_waitcnt lgkmcnt(0)
	v_add_u32_e32 v2, v30, v2
	ds_write_b32 v31, v2 offset:64
.LBB1970_39:
	s_or_b64 exec, exec, s[4:5]
	v_xor_b32_sdwa v32, v4, s6 dst_sel:DWORD dst_unused:UNUSED_PAD src0_sel:WORD_1 src1_sel:DWORD
	v_lshrrev_b32_sdwa v2, s24, v32 dst_sel:DWORD dst_unused:UNUSED_PAD src0_sel:DWORD src1_sel:WORD_0
	v_and_b32_e32 v4, s33, v2
	v_mul_u32_u24_e32 v2, 17, v4
	v_add_lshl_u32 v35, v26, v2, 2
	v_and_b32_e32 v2, 1, v4
	v_lshl_add_u64 v[8:9], v[2:3], 0, -1
	v_cmp_ne_u32_e32 vcc, 0, v2
	; wave barrier
	s_nop 1
	v_xor_b32_e32 v8, vcc_lo, v8
	v_xor_b32_e32 v2, vcc_hi, v9
	v_and_b32_e32 v36, exec_lo, v8
	v_lshlrev_b32_e32 v9, 30, v4
	v_mov_b32_e32 v8, v3
	v_cmp_gt_i64_e32 vcc, 0, v[8:9]
	v_not_b32_e32 v8, v9
	v_ashrrev_i32_e32 v8, 31, v8
	v_and_b32_e32 v2, exec_hi, v2
	v_xor_b32_e32 v9, vcc_hi, v8
	v_xor_b32_e32 v8, vcc_lo, v8
	v_and_b32_e32 v2, v2, v9
	v_and_b32_e32 v36, v36, v8
	v_lshlrev_b32_e32 v9, 29, v4
	v_mov_b32_e32 v8, v3
	v_cmp_gt_i64_e32 vcc, 0, v[8:9]
	v_not_b32_e32 v8, v9
	v_ashrrev_i32_e32 v8, 31, v8
	v_xor_b32_e32 v9, vcc_hi, v8
	v_xor_b32_e32 v8, vcc_lo, v8
	v_and_b32_e32 v2, v2, v9
	v_and_b32_e32 v36, v36, v8
	v_lshlrev_b32_e32 v9, 28, v4
	v_mov_b32_e32 v8, v3
	v_cmp_gt_i64_e32 vcc, 0, v[8:9]
	v_not_b32_e32 v8, v9
	v_ashrrev_i32_e32 v8, 31, v8
	;; [unrolled: 9-line block ×5, first 2 shown]
	v_xor_b32_e32 v9, vcc_hi, v8
	v_xor_b32_e32 v8, vcc_lo, v8
	v_and_b32_e32 v2, v2, v9
	v_lshlrev_b32_e32 v9, 24, v4
	v_and_b32_e32 v36, v36, v8
	v_mov_b32_e32 v8, v3
	v_not_b32_e32 v3, v9
	v_cmp_gt_i64_e32 vcc, 0, v[8:9]
	v_ashrrev_i32_e32 v3, 31, v3
	ds_read_b32 v34, v35 offset:64
	v_xor_b32_e32 v4, vcc_hi, v3
	v_xor_b32_e32 v8, vcc_lo, v3
	v_and_b32_e32 v3, v2, v4
	v_and_b32_e32 v2, v36, v8
	v_mbcnt_lo_u32_b32 v4, v2, 0
	v_mbcnt_hi_u32_b32 v37, v3, v4
	v_cmp_eq_u32_e32 vcc, 0, v37
	v_cmp_ne_u64_e64 s[4:5], 0, v[2:3]
	s_and_b64 s[6:7], s[4:5], vcc
	; wave barrier
	s_and_saveexec_b64 s[4:5], s[6:7]
	s_cbranch_execz .LBB1970_41
; %bb.40:
	v_bcnt_u32_b32 v2, v2, 0
	v_bcnt_u32_b32 v2, v3, v2
	s_waitcnt lgkmcnt(0)
	v_add_u32_e32 v2, v34, v2
	ds_write_b32 v35, v2 offset:64
.LBB1970_41:
	s_or_b64 exec, exec, s[4:5]
	v_xor_b32_e32 v36, 0xffff8000, v5
	v_lshrrev_b32_sdwa v2, s24, v36 dst_sel:DWORD dst_unused:UNUSED_PAD src0_sel:DWORD src1_sel:WORD_0
	v_and_b32_e32 v4, s33, v2
	v_mul_u32_u24_e32 v2, 17, v4
	v_add_lshl_u32 v39, v26, v2, 2
	v_and_b32_e32 v2, 1, v4
	v_mov_b32_e32 v3, 0
	v_lshl_add_u64 v[8:9], v[2:3], 0, -1
	v_cmp_ne_u32_e32 vcc, 0, v2
	; wave barrier
	s_nop 1
	v_xor_b32_e32 v8, vcc_lo, v8
	v_xor_b32_e32 v2, vcc_hi, v9
	v_and_b32_e32 v40, exec_lo, v8
	v_lshlrev_b32_e32 v9, 30, v4
	v_mov_b32_e32 v8, v3
	v_cmp_gt_i64_e32 vcc, 0, v[8:9]
	v_not_b32_e32 v8, v9
	v_ashrrev_i32_e32 v8, 31, v8
	v_and_b32_e32 v2, exec_hi, v2
	v_xor_b32_e32 v9, vcc_hi, v8
	v_xor_b32_e32 v8, vcc_lo, v8
	v_and_b32_e32 v2, v2, v9
	v_and_b32_e32 v40, v40, v8
	v_lshlrev_b32_e32 v9, 29, v4
	v_mov_b32_e32 v8, v3
	v_cmp_gt_i64_e32 vcc, 0, v[8:9]
	v_not_b32_e32 v8, v9
	v_ashrrev_i32_e32 v8, 31, v8
	v_xor_b32_e32 v9, vcc_hi, v8
	v_xor_b32_e32 v8, vcc_lo, v8
	v_and_b32_e32 v2, v2, v9
	v_and_b32_e32 v40, v40, v8
	v_lshlrev_b32_e32 v9, 28, v4
	v_mov_b32_e32 v8, v3
	v_cmp_gt_i64_e32 vcc, 0, v[8:9]
	v_not_b32_e32 v8, v9
	v_ashrrev_i32_e32 v8, 31, v8
	;; [unrolled: 9-line block ×5, first 2 shown]
	v_xor_b32_e32 v9, vcc_hi, v8
	v_xor_b32_e32 v8, vcc_lo, v8
	v_and_b32_e32 v2, v2, v9
	v_lshlrev_b32_e32 v9, 24, v4
	v_and_b32_e32 v40, v40, v8
	v_mov_b32_e32 v8, v3
	v_not_b32_e32 v4, v9
	v_cmp_gt_i64_e32 vcc, 0, v[8:9]
	v_ashrrev_i32_e32 v4, 31, v4
	ds_read_b32 v38, v39 offset:64
	v_xor_b32_e32 v8, vcc_hi, v4
	v_xor_b32_e32 v4, vcc_lo, v4
	v_and_b32_e32 v9, v2, v8
	v_and_b32_e32 v8, v40, v4
	v_mbcnt_lo_u32_b32 v2, v8, 0
	v_mbcnt_hi_u32_b32 v40, v9, v2
	v_cmp_eq_u32_e32 vcc, 0, v40
	v_cmp_ne_u64_e64 s[4:5], 0, v[8:9]
	s_movk_i32 s6, 0x8000
	s_and_b64 s[8:9], s[4:5], vcc
	; wave barrier
	s_and_saveexec_b64 s[4:5], s[8:9]
	s_cbranch_execz .LBB1970_43
; %bb.42:
	v_bcnt_u32_b32 v2, v8, 0
	v_bcnt_u32_b32 v2, v9, v2
	s_waitcnt lgkmcnt(0)
	v_add_u32_e32 v2, v38, v2
	ds_write_b32 v39, v2 offset:64
.LBB1970_43:
	s_or_b64 exec, exec, s[4:5]
	v_xor_b32_sdwa v8, v5, s6 dst_sel:DWORD dst_unused:UNUSED_PAD src0_sel:WORD_1 src1_sel:DWORD
	v_lshrrev_b32_sdwa v2, s24, v8 dst_sel:DWORD dst_unused:UNUSED_PAD src0_sel:DWORD src1_sel:WORD_0
	v_and_b32_e32 v42, s33, v2
	v_mul_u32_u24_e32 v2, 17, v42
	v_add_lshl_u32 v41, v26, v2, 2
	v_and_b32_e32 v2, 1, v42
	v_lshl_add_u64 v[4:5], v[2:3], 0, -1
	v_cmp_ne_u32_e32 vcc, 0, v2
	; wave barrier
	s_nop 1
	v_xor_b32_e32 v4, vcc_lo, v4
	v_xor_b32_e32 v2, vcc_hi, v5
	v_and_b32_e32 v43, exec_lo, v4
	v_lshlrev_b32_e32 v5, 30, v42
	v_mov_b32_e32 v4, v3
	v_cmp_gt_i64_e32 vcc, 0, v[4:5]
	v_not_b32_e32 v4, v5
	v_ashrrev_i32_e32 v4, 31, v4
	v_and_b32_e32 v2, exec_hi, v2
	v_xor_b32_e32 v5, vcc_hi, v4
	v_xor_b32_e32 v4, vcc_lo, v4
	v_and_b32_e32 v2, v2, v5
	v_and_b32_e32 v43, v43, v4
	v_lshlrev_b32_e32 v5, 29, v42
	v_mov_b32_e32 v4, v3
	v_cmp_gt_i64_e32 vcc, 0, v[4:5]
	v_not_b32_e32 v4, v5
	v_ashrrev_i32_e32 v4, 31, v4
	v_xor_b32_e32 v5, vcc_hi, v4
	v_xor_b32_e32 v4, vcc_lo, v4
	v_and_b32_e32 v2, v2, v5
	v_and_b32_e32 v43, v43, v4
	v_lshlrev_b32_e32 v5, 28, v42
	v_mov_b32_e32 v4, v3
	v_cmp_gt_i64_e32 vcc, 0, v[4:5]
	v_not_b32_e32 v4, v5
	v_ashrrev_i32_e32 v4, 31, v4
	;; [unrolled: 9-line block ×5, first 2 shown]
	v_xor_b32_e32 v5, vcc_hi, v4
	v_xor_b32_e32 v4, vcc_lo, v4
	v_and_b32_e32 v2, v2, v5
	v_lshlrev_b32_e32 v5, 24, v42
	v_and_b32_e32 v43, v43, v4
	v_mov_b32_e32 v4, v3
	v_not_b32_e32 v3, v5
	v_cmp_gt_i64_e32 vcc, 0, v[4:5]
	v_ashrrev_i32_e32 v3, 31, v3
	ds_read_b32 v9, v41 offset:64
	v_xor_b32_e32 v4, vcc_hi, v3
	v_xor_b32_e32 v5, vcc_lo, v3
	v_and_b32_e32 v3, v2, v4
	v_and_b32_e32 v2, v43, v5
	v_mbcnt_lo_u32_b32 v4, v2, 0
	v_mbcnt_hi_u32_b32 v43, v3, v4
	v_cmp_eq_u32_e32 vcc, 0, v43
	v_cmp_ne_u64_e64 s[4:5], 0, v[2:3]
	s_and_b64 s[6:7], s[4:5], vcc
	; wave barrier
	s_and_saveexec_b64 s[4:5], s[6:7]
	s_cbranch_execz .LBB1970_45
; %bb.44:
	v_bcnt_u32_b32 v2, v2, 0
	v_bcnt_u32_b32 v2, v3, v2
	s_waitcnt lgkmcnt(0)
	v_add_u32_e32 v2, v9, v2
	ds_write_b32 v41, v2 offset:64
.LBB1970_45:
	s_or_b64 exec, exec, s[4:5]
	v_xor_b32_e32 v42, 0xffff8000, v6
	v_lshrrev_b32_sdwa v2, s24, v42 dst_sel:DWORD dst_unused:UNUSED_PAD src0_sel:DWORD src1_sel:WORD_0
	v_and_b32_e32 v46, s33, v2
	v_mul_u32_u24_e32 v2, 17, v46
	v_add_lshl_u32 v45, v26, v2, 2
	v_and_b32_e32 v2, 1, v46
	v_mov_b32_e32 v3, 0
	v_lshl_add_u64 v[4:5], v[2:3], 0, -1
	v_cmp_ne_u32_e32 vcc, 0, v2
	; wave barrier
	s_nop 1
	v_xor_b32_e32 v4, vcc_lo, v4
	v_xor_b32_e32 v2, vcc_hi, v5
	v_and_b32_e32 v47, exec_lo, v4
	v_lshlrev_b32_e32 v5, 30, v46
	v_mov_b32_e32 v4, v3
	v_cmp_gt_i64_e32 vcc, 0, v[4:5]
	v_not_b32_e32 v4, v5
	v_ashrrev_i32_e32 v4, 31, v4
	v_and_b32_e32 v2, exec_hi, v2
	v_xor_b32_e32 v5, vcc_hi, v4
	v_xor_b32_e32 v4, vcc_lo, v4
	v_and_b32_e32 v2, v2, v5
	v_and_b32_e32 v47, v47, v4
	v_lshlrev_b32_e32 v5, 29, v46
	v_mov_b32_e32 v4, v3
	v_cmp_gt_i64_e32 vcc, 0, v[4:5]
	v_not_b32_e32 v4, v5
	v_ashrrev_i32_e32 v4, 31, v4
	v_xor_b32_e32 v5, vcc_hi, v4
	v_xor_b32_e32 v4, vcc_lo, v4
	v_and_b32_e32 v2, v2, v5
	v_and_b32_e32 v47, v47, v4
	v_lshlrev_b32_e32 v5, 28, v46
	v_mov_b32_e32 v4, v3
	v_cmp_gt_i64_e32 vcc, 0, v[4:5]
	v_not_b32_e32 v4, v5
	v_ashrrev_i32_e32 v4, 31, v4
	;; [unrolled: 9-line block ×6, first 2 shown]
	v_xor_b32_e32 v5, vcc_hi, v4
	v_xor_b32_e32 v4, vcc_lo, v4
	ds_read_b32 v44, v45 offset:64
	v_and_b32_e32 v4, v47, v4
	v_and_b32_e32 v5, v2, v5
	v_mbcnt_lo_u32_b32 v2, v4, 0
	v_mbcnt_hi_u32_b32 v46, v5, v2
	v_cmp_eq_u32_e32 vcc, 0, v46
	v_cmp_ne_u64_e64 s[4:5], 0, v[4:5]
	s_movk_i32 s6, 0x8000
	s_and_b64 s[8:9], s[4:5], vcc
	; wave barrier
	s_and_saveexec_b64 s[4:5], s[8:9]
	s_cbranch_execz .LBB1970_47
; %bb.46:
	v_bcnt_u32_b32 v2, v4, 0
	v_bcnt_u32_b32 v2, v5, v2
	s_waitcnt lgkmcnt(0)
	v_add_u32_e32 v2, v44, v2
	ds_write_b32 v45, v2 offset:64
.LBB1970_47:
	s_or_b64 exec, exec, s[4:5]
	v_xor_b32_sdwa v6, v6, s6 dst_sel:DWORD dst_unused:UNUSED_PAD src0_sel:WORD_1 src1_sel:DWORD
	v_lshrrev_b32_sdwa v2, s24, v6 dst_sel:DWORD dst_unused:UNUSED_PAD src0_sel:DWORD src1_sel:WORD_0
	v_and_b32_e32 v49, s33, v2
	v_mul_u32_u24_e32 v2, 17, v49
	v_add_lshl_u32 v48, v26, v2, 2
	v_and_b32_e32 v2, 1, v49
	v_lshl_add_u64 v[4:5], v[2:3], 0, -1
	v_cmp_ne_u32_e32 vcc, 0, v2
	; wave barrier
	s_nop 1
	v_xor_b32_e32 v4, vcc_lo, v4
	v_xor_b32_e32 v2, vcc_hi, v5
	v_and_b32_e32 v50, exec_lo, v4
	v_lshlrev_b32_e32 v5, 30, v49
	v_mov_b32_e32 v4, v3
	v_cmp_gt_i64_e32 vcc, 0, v[4:5]
	v_not_b32_e32 v4, v5
	v_ashrrev_i32_e32 v4, 31, v4
	v_and_b32_e32 v2, exec_hi, v2
	v_xor_b32_e32 v5, vcc_hi, v4
	v_xor_b32_e32 v4, vcc_lo, v4
	v_and_b32_e32 v2, v2, v5
	v_and_b32_e32 v50, v50, v4
	v_lshlrev_b32_e32 v5, 29, v49
	v_mov_b32_e32 v4, v3
	v_cmp_gt_i64_e32 vcc, 0, v[4:5]
	v_not_b32_e32 v4, v5
	v_ashrrev_i32_e32 v4, 31, v4
	v_xor_b32_e32 v5, vcc_hi, v4
	v_xor_b32_e32 v4, vcc_lo, v4
	v_and_b32_e32 v2, v2, v5
	v_and_b32_e32 v50, v50, v4
	v_lshlrev_b32_e32 v5, 28, v49
	v_mov_b32_e32 v4, v3
	v_cmp_gt_i64_e32 vcc, 0, v[4:5]
	v_not_b32_e32 v4, v5
	v_ashrrev_i32_e32 v4, 31, v4
	;; [unrolled: 9-line block ×5, first 2 shown]
	v_xor_b32_e32 v5, vcc_hi, v4
	v_xor_b32_e32 v4, vcc_lo, v4
	v_and_b32_e32 v2, v2, v5
	v_lshlrev_b32_e32 v5, 24, v49
	v_and_b32_e32 v50, v50, v4
	v_mov_b32_e32 v4, v3
	v_not_b32_e32 v3, v5
	v_cmp_gt_i64_e32 vcc, 0, v[4:5]
	v_ashrrev_i32_e32 v3, 31, v3
	ds_read_b32 v47, v48 offset:64
	v_xor_b32_e32 v4, vcc_hi, v3
	v_xor_b32_e32 v5, vcc_lo, v3
	v_and_b32_e32 v3, v2, v4
	v_and_b32_e32 v2, v50, v5
	v_mbcnt_lo_u32_b32 v4, v2, 0
	v_mbcnt_hi_u32_b32 v50, v3, v4
	v_cmp_eq_u32_e32 vcc, 0, v50
	v_cmp_ne_u64_e64 s[4:5], 0, v[2:3]
	s_and_b64 s[6:7], s[4:5], vcc
	; wave barrier
	s_and_saveexec_b64 s[4:5], s[6:7]
	s_cbranch_execz .LBB1970_49
; %bb.48:
	v_bcnt_u32_b32 v2, v2, 0
	v_bcnt_u32_b32 v2, v3, v2
	s_waitcnt lgkmcnt(0)
	v_add_u32_e32 v2, v47, v2
	ds_write_b32 v48, v2 offset:64
.LBB1970_49:
	s_or_b64 exec, exec, s[4:5]
	v_xor_b32_e32 v49, 0xffff8000, v7
	v_lshrrev_b32_sdwa v2, s24, v49 dst_sel:DWORD dst_unused:UNUSED_PAD src0_sel:DWORD src1_sel:WORD_0
	v_and_b32_e32 v53, s33, v2
	v_mul_u32_u24_e32 v2, 17, v53
	v_add_lshl_u32 v52, v26, v2, 2
	v_and_b32_e32 v2, 1, v53
	v_mov_b32_e32 v3, 0
	v_lshl_add_u64 v[4:5], v[2:3], 0, -1
	v_cmp_ne_u32_e32 vcc, 0, v2
	; wave barrier
	s_nop 1
	v_xor_b32_e32 v4, vcc_lo, v4
	v_xor_b32_e32 v2, vcc_hi, v5
	v_and_b32_e32 v54, exec_lo, v4
	v_lshlrev_b32_e32 v5, 30, v53
	v_mov_b32_e32 v4, v3
	v_cmp_gt_i64_e32 vcc, 0, v[4:5]
	v_not_b32_e32 v4, v5
	v_ashrrev_i32_e32 v4, 31, v4
	v_and_b32_e32 v2, exec_hi, v2
	v_xor_b32_e32 v5, vcc_hi, v4
	v_xor_b32_e32 v4, vcc_lo, v4
	v_and_b32_e32 v2, v2, v5
	v_and_b32_e32 v54, v54, v4
	v_lshlrev_b32_e32 v5, 29, v53
	v_mov_b32_e32 v4, v3
	v_cmp_gt_i64_e32 vcc, 0, v[4:5]
	v_not_b32_e32 v4, v5
	v_ashrrev_i32_e32 v4, 31, v4
	v_xor_b32_e32 v5, vcc_hi, v4
	v_xor_b32_e32 v4, vcc_lo, v4
	v_and_b32_e32 v2, v2, v5
	v_and_b32_e32 v54, v54, v4
	v_lshlrev_b32_e32 v5, 28, v53
	v_mov_b32_e32 v4, v3
	v_cmp_gt_i64_e32 vcc, 0, v[4:5]
	v_not_b32_e32 v4, v5
	v_ashrrev_i32_e32 v4, 31, v4
	;; [unrolled: 9-line block ×6, first 2 shown]
	v_xor_b32_e32 v5, vcc_hi, v4
	v_xor_b32_e32 v4, vcc_lo, v4
	ds_read_b32 v51, v52 offset:64
	v_and_b32_e32 v4, v54, v4
	v_and_b32_e32 v5, v2, v5
	v_mbcnt_lo_u32_b32 v2, v4, 0
	v_mbcnt_hi_u32_b32 v53, v5, v2
	v_cmp_eq_u32_e32 vcc, 0, v53
	v_cmp_ne_u64_e64 s[4:5], 0, v[4:5]
	s_movk_i32 s6, 0x8000
	s_and_b64 s[8:9], s[4:5], vcc
	; wave barrier
	s_and_saveexec_b64 s[4:5], s[8:9]
	s_cbranch_execz .LBB1970_51
; %bb.50:
	v_bcnt_u32_b32 v2, v4, 0
	v_bcnt_u32_b32 v2, v5, v2
	s_waitcnt lgkmcnt(0)
	v_add_u32_e32 v2, v51, v2
	ds_write_b32 v52, v2 offset:64
.LBB1970_51:
	s_or_b64 exec, exec, s[4:5]
	v_xor_b32_sdwa v7, v7, s6 dst_sel:DWORD dst_unused:UNUSED_PAD src0_sel:WORD_1 src1_sel:DWORD
	v_lshrrev_b32_sdwa v2, s24, v7 dst_sel:DWORD dst_unused:UNUSED_PAD src0_sel:DWORD src1_sel:WORD_0
	v_and_b32_e32 v56, s33, v2
	v_mul_u32_u24_e32 v2, 17, v56
	v_add_lshl_u32 v54, v26, v2, 2
	v_and_b32_e32 v2, 1, v56
	v_lshl_add_u64 v[4:5], v[2:3], 0, -1
	v_cmp_ne_u32_e32 vcc, 0, v2
	; wave barrier
	s_nop 1
	v_xor_b32_e32 v4, vcc_lo, v4
	v_xor_b32_e32 v2, vcc_hi, v5
	v_and_b32_e32 v57, exec_lo, v4
	v_lshlrev_b32_e32 v5, 30, v56
	v_mov_b32_e32 v4, v3
	v_cmp_gt_i64_e32 vcc, 0, v[4:5]
	v_not_b32_e32 v4, v5
	v_ashrrev_i32_e32 v4, 31, v4
	v_and_b32_e32 v2, exec_hi, v2
	v_xor_b32_e32 v5, vcc_hi, v4
	v_xor_b32_e32 v4, vcc_lo, v4
	v_and_b32_e32 v2, v2, v5
	v_and_b32_e32 v57, v57, v4
	v_lshlrev_b32_e32 v5, 29, v56
	v_mov_b32_e32 v4, v3
	v_cmp_gt_i64_e32 vcc, 0, v[4:5]
	v_not_b32_e32 v4, v5
	v_ashrrev_i32_e32 v4, 31, v4
	v_xor_b32_e32 v5, vcc_hi, v4
	v_xor_b32_e32 v4, vcc_lo, v4
	v_and_b32_e32 v2, v2, v5
	v_and_b32_e32 v57, v57, v4
	v_lshlrev_b32_e32 v5, 28, v56
	v_mov_b32_e32 v4, v3
	v_cmp_gt_i64_e32 vcc, 0, v[4:5]
	v_not_b32_e32 v4, v5
	v_ashrrev_i32_e32 v4, 31, v4
	;; [unrolled: 9-line block ×5, first 2 shown]
	v_xor_b32_e32 v5, vcc_hi, v4
	v_xor_b32_e32 v4, vcc_lo, v4
	v_and_b32_e32 v2, v2, v5
	v_lshlrev_b32_e32 v5, 24, v56
	v_and_b32_e32 v57, v57, v4
	v_mov_b32_e32 v4, v3
	v_not_b32_e32 v3, v5
	v_cmp_gt_i64_e32 vcc, 0, v[4:5]
	v_ashrrev_i32_e32 v3, 31, v3
	ds_read_b32 v26, v54 offset:64
	v_xor_b32_e32 v4, vcc_hi, v3
	v_xor_b32_e32 v5, vcc_lo, v3
	v_and_b32_e32 v3, v2, v4
	v_and_b32_e32 v2, v57, v5
	v_mbcnt_lo_u32_b32 v4, v2, 0
	v_mbcnt_hi_u32_b32 v56, v3, v4
	v_cmp_eq_u32_e32 vcc, 0, v56
	v_cmp_ne_u64_e64 s[4:5], 0, v[2:3]
	v_add_u32_e32 v55, 64, v15
	s_and_b64 s[6:7], s[4:5], vcc
	; wave barrier
	s_and_saveexec_b64 s[4:5], s[6:7]
	s_cbranch_execz .LBB1970_53
; %bb.52:
	v_bcnt_u32_b32 v2, v2, 0
	v_bcnt_u32_b32 v2, v3, v2
	s_waitcnt lgkmcnt(0)
	v_add_u32_e32 v2, v26, v2
	ds_write_b32 v54, v2 offset:64
.LBB1970_53:
	s_or_b64 exec, exec, s[4:5]
	; wave barrier
	s_waitcnt lgkmcnt(0)
	s_barrier
	ds_read2_b32 v[4:5], v15 offset0:16 offset1:17
	ds_read2_b32 v[2:3], v55 offset0:2 offset1:3
	ds_read_b32 v57, v55 offset:16
	v_cmp_lt_u32_e64 s[12:13], 31, v11
	s_waitcnt lgkmcnt(1)
	v_add3_u32 v58, v5, v4, v2
	s_waitcnt lgkmcnt(0)
	v_add3_u32 v57, v58, v3, v57
	v_and_b32_e32 v58, 15, v11
	v_cmp_eq_u32_e32 vcc, 0, v58
	v_mov_b32_dpp v59, v57 row_shr:1 row_mask:0xf bank_mask:0xf
	v_cmp_lt_u32_e64 s[4:5], 1, v58
	v_cndmask_b32_e64 v59, v59, 0, vcc
	v_add_u32_e32 v57, v59, v57
	v_cmp_lt_u32_e64 s[6:7], 3, v58
	v_cmp_lt_u32_e64 s[8:9], 7, v58
	v_mov_b32_dpp v59, v57 row_shr:2 row_mask:0xf bank_mask:0xf
	v_cndmask_b32_e64 v59, 0, v59, s[4:5]
	v_add_u32_e32 v57, v57, v59
	s_nop 1
	v_mov_b32_dpp v59, v57 row_shr:4 row_mask:0xf bank_mask:0xf
	v_cndmask_b32_e64 v59, 0, v59, s[6:7]
	v_add_u32_e32 v57, v57, v59
	s_nop 1
	v_mov_b32_dpp v59, v57 row_shr:8 row_mask:0xf bank_mask:0xf
	v_cndmask_b32_e64 v58, 0, v59, s[8:9]
	v_add_u32_e32 v57, v57, v58
	v_bfe_i32 v59, v11, 4, 1
	s_nop 0
	v_mov_b32_dpp v58, v57 row_bcast:15 row_mask:0xf bank_mask:0xf
	v_and_b32_e32 v58, v59, v58
	v_add_u32_e32 v57, v57, v58
	v_and_b32_e32 v59, 63, v10
	s_nop 0
	v_mov_b32_dpp v58, v57 row_bcast:31 row_mask:0xf bank_mask:0xf
	v_cndmask_b32_e64 v58, 0, v58, s[12:13]
	v_add_u32_e32 v57, v57, v58
	v_lshrrev_b32_e32 v58, 6, v10
	v_cmp_eq_u32_e64 s[12:13], 63, v59
	s_and_saveexec_b64 s[14:15], s[12:13]
	s_cbranch_execz .LBB1970_55
; %bb.54:
	v_lshlrev_b32_e32 v59, 2, v58
	ds_write_b32 v59, v57
.LBB1970_55:
	s_or_b64 exec, exec, s[14:15]
	v_cmp_gt_u32_e64 s[12:13], 16, v10
	s_waitcnt lgkmcnt(0)
	s_barrier
	s_and_saveexec_b64 s[14:15], s[12:13]
	s_cbranch_execz .LBB1970_57
; %bb.56:
	v_lshlrev_b32_e32 v59, 2, v10
	ds_read_b32 v60, v59
	s_waitcnt lgkmcnt(0)
	s_nop 0
	v_mov_b32_dpp v61, v60 row_shr:1 row_mask:0xf bank_mask:0xf
	v_cndmask_b32_e64 v61, v61, 0, vcc
	v_add_u32_e32 v60, v61, v60
	s_nop 1
	v_mov_b32_dpp v61, v60 row_shr:2 row_mask:0xf bank_mask:0xf
	v_cndmask_b32_e64 v61, 0, v61, s[4:5]
	v_add_u32_e32 v60, v60, v61
	s_nop 1
	v_mov_b32_dpp v61, v60 row_shr:4 row_mask:0xf bank_mask:0xf
	v_cndmask_b32_e64 v61, 0, v61, s[6:7]
	;; [unrolled: 4-line block ×3, first 2 shown]
	v_add_u32_e32 v60, v60, v61
	ds_write_b32 v59, v60
.LBB1970_57:
	s_or_b64 exec, exec, s[14:15]
	v_cmp_lt_u32_e32 vcc, 63, v10
	v_mov_b32_e32 v59, 0
	s_waitcnt lgkmcnt(0)
	s_barrier
	s_and_saveexec_b64 s[4:5], vcc
	s_cbranch_execz .LBB1970_59
; %bb.58:
	v_lshl_add_u32 v58, v58, 2, -4
	ds_read_b32 v59, v58
.LBB1970_59:
	s_or_b64 exec, exec, s[4:5]
	v_add_u32_e32 v58, -1, v11
	v_and_b32_e32 v60, 64, v11
	v_cmp_lt_i32_e32 vcc, v58, v60
	s_waitcnt lgkmcnt(0)
	v_add_u32_e32 v57, v59, v57
	s_movk_i32 s4, 0x100
	v_cndmask_b32_e32 v58, v58, v11, vcc
	v_lshlrev_b32_e32 v58, 2, v58
	ds_bpermute_b32 v57, v58, v57
	v_cmp_eq_u32_e32 vcc, 0, v11
	s_waitcnt lgkmcnt(0)
	s_nop 0
	v_cndmask_b32_e32 v11, v57, v59, vcc
	v_cndmask_b32_e64 v11, v11, 0, s[10:11]
	v_add_u32_e32 v4, v11, v4
	v_add_u32_e32 v5, v4, v5
	;; [unrolled: 1-line block ×4, first 2 shown]
	ds_write2_b32 v15, v11, v4 offset0:16 offset1:17
	ds_write2_b32 v55, v5, v2 offset0:2 offset1:3
	ds_write_b32 v55, v3 offset:16
	s_waitcnt lgkmcnt(0)
	s_barrier
	ds_read_b32 v59, v19 offset:64
	ds_read_b32 v58, v20 offset:64
	ds_read_b32 v57, v24 offset:64
	ds_read_b32 v55, v27 offset:64
	ds_read_b32 v27, v31 offset:64
	ds_read_b32 v24, v35 offset:64
	ds_read_b32 v20, v39 offset:64
	ds_read_b32 v19, v41 offset:64
	ds_read_b32 v5, v45 offset:64
	ds_read_b32 v4, v48 offset:64
	ds_read_b32 v3, v52 offset:64
	ds_read_b32 v2, v54 offset:64
	v_cmp_gt_u32_e32 vcc, s4, v10
                                        ; implicit-def: $vgpr11
                                        ; implicit-def: $vgpr15
	s_and_saveexec_b64 s[6:7], vcc
	s_cbranch_execz .LBB1970_63
; %bb.60:
	v_mul_u32_u24_e32 v11, 17, v10
	v_lshlrev_b32_e32 v31, 2, v11
	ds_read_b32 v11, v31 offset:64
	s_movk_i32 s4, 0xff
	v_cmp_ne_u32_e64 s[4:5], s4, v10
	v_mov_b32_e32 v15, 0x3000
	s_and_saveexec_b64 s[8:9], s[4:5]
	s_cbranch_execz .LBB1970_62
; %bb.61:
	ds_read_b32 v15, v31 offset:132
.LBB1970_62:
	s_or_b64 exec, exec, s[8:9]
	s_waitcnt lgkmcnt(0)
	v_sub_u32_e32 v15, v15, v11
.LBB1970_63:
	s_or_b64 exec, exec, s[6:7]
	v_add_u32_e32 v18, v21, v18
	s_waitcnt lgkmcnt(11)
	v_add_lshl_u32 v16, v59, v16, 1
	v_add_u32_e32 v13, v28, v13
	v_add_u32_e32 v23, v25, v23
	s_waitcnt lgkmcnt(0)
	s_barrier
	ds_write_b16 v16, v14 offset:1024
	v_add_lshl_u32 v14, v18, v58, 1
	v_add_u32_e32 v30, v33, v30
	ds_write_b16 v14, v17 offset:1024
	v_add_lshl_u32 v14, v23, v57, 1
	v_add_lshl_u32 v13, v13, v55, 1
	v_add_u32_e32 v34, v37, v34
	ds_write_b16 v14, v22 offset:1024
	ds_write_b16 v13, v12 offset:1024
	v_add_lshl_u32 v12, v30, v27, 1
	v_add_u32_e32 v26, v56, v26
	v_add_u32_e32 v31, v53, v51
	;; [unrolled: 1-line block ×6, first 2 shown]
	ds_write_b16 v12, v29 offset:1024
	v_add_lshl_u32 v12, v34, v24, 1
	ds_write_b16 v12, v32 offset:1024
	v_add_lshl_u32 v12, v38, v20, 1
	v_add_lshl_u32 v9, v9, v19, 1
	;; [unrolled: 1-line block ×6, first 2 shown]
	ds_write_b16 v12, v36 offset:1024
	ds_write_b16 v9, v8 offset:1024
	;; [unrolled: 1-line block ×6, first 2 shown]
	s_and_saveexec_b64 s[6:7], vcc
	s_cbranch_execz .LBB1970_73
; %bb.64:
	v_lshl_or_b32 v4, s27, 8, v10
	v_mov_b32_e32 v5, 0
	v_lshl_add_u64 v[2:3], v[4:5], 2, s[18:19]
	v_or_b32_e32 v4, 2.0, v15
	s_mov_b64 s[8:9], 0
	s_brev_b32 s16, 1
	s_mov_b32 s17, s27
	v_mov_b32_e32 v8, 0
	global_store_dword v[2:3], v4, off sc1
                                        ; implicit-def: $sgpr4_sgpr5
	s_branch .LBB1970_66
.LBB1970_65:                            ;   in Loop: Header=BB1970_66 Depth=1
	s_or_b64 exec, exec, s[12:13]
	v_and_b32_e32 v6, 0x3fffffff, v9
	v_add_u32_e32 v8, v6, v8
	v_cmp_eq_u32_e64 s[4:5], s16, v4
	s_and_b64 s[12:13], exec, s[4:5]
	s_or_b64 s[8:9], s[12:13], s[8:9]
	s_andn2_b64 exec, exec, s[8:9]
	s_cbranch_execz .LBB1970_72
.LBB1970_66:                            ; =>This Loop Header: Depth=1
                                        ;     Child Loop BB1970_69 Depth 2
	s_or_b64 s[4:5], s[4:5], exec
	s_cmp_eq_u32 s17, 0
	s_cbranch_scc1 .LBB1970_71
; %bb.67:                               ;   in Loop: Header=BB1970_66 Depth=1
	s_add_i32 s17, s17, -1
	v_lshl_or_b32 v4, s17, 8, v10
	v_lshl_add_u64 v[6:7], v[4:5], 2, s[18:19]
	global_load_dword v9, v[6:7], off sc1
	s_waitcnt vmcnt(0)
	v_and_b32_e32 v4, -2.0, v9
	v_cmp_eq_u32_e64 s[4:5], 0, v4
	s_and_saveexec_b64 s[12:13], s[4:5]
	s_cbranch_execz .LBB1970_65
; %bb.68:                               ;   in Loop: Header=BB1970_66 Depth=1
	s_mov_b64 s[14:15], 0
.LBB1970_69:                            ;   Parent Loop BB1970_66 Depth=1
                                        ; =>  This Inner Loop Header: Depth=2
	global_load_dword v9, v[6:7], off sc1
	s_waitcnt vmcnt(0)
	v_and_b32_e32 v4, -2.0, v9
	v_cmp_ne_u32_e64 s[4:5], 0, v4
	s_or_b64 s[14:15], s[4:5], s[14:15]
	s_andn2_b64 exec, exec, s[14:15]
	s_cbranch_execnz .LBB1970_69
; %bb.70:                               ;   in Loop: Header=BB1970_66 Depth=1
	s_or_b64 exec, exec, s[14:15]
	s_branch .LBB1970_65
.LBB1970_71:                            ;   in Loop: Header=BB1970_66 Depth=1
                                        ; implicit-def: $sgpr17
	s_and_b64 s[12:13], exec, s[4:5]
	s_or_b64 s[8:9], s[12:13], s[8:9]
	s_andn2_b64 exec, exec, s[8:9]
	s_cbranch_execnz .LBB1970_66
.LBB1970_72:
	s_or_b64 exec, exec, s[8:9]
	v_add_u32_e32 v4, v8, v15
	v_or_b32_e32 v4, 0x80000000, v4
	global_store_dword v[2:3], v4, off sc1
	v_lshlrev_b32_e32 v2, 2, v10
	global_load_dword v3, v2, s[20:21]
	v_sub_u32_e32 v4, v8, v11
	s_waitcnt vmcnt(0)
	v_add_u32_e32 v3, v4, v3
	ds_write_b32 v2, v3
.LBB1970_73:
	s_or_b64 exec, exec, s[6:7]
	v_cmp_gt_u32_e64 s[4:5], s3, v10
	s_waitcnt lgkmcnt(0)
	s_barrier
	s_and_saveexec_b64 s[6:7], s[4:5]
	s_cbranch_execz .LBB1970_75
; %bb.74:
	v_lshlrev_b32_e32 v2, 1, v10
	ds_read_u16 v2, v2 offset:1024
	s_waitcnt lgkmcnt(0)
	v_lshrrev_b32_sdwa v3, s24, v2 dst_sel:DWORD dst_unused:UNUSED_PAD src0_sel:DWORD src1_sel:WORD_0
	v_and_b32_e32 v3, s33, v3
	v_lshlrev_b32_e32 v3, 2, v3
	ds_read_b32 v3, v3
	v_xor_b32_e32 v4, 0xffff8000, v2
	s_waitcnt lgkmcnt(0)
	v_add_u32_e32 v2, v3, v10
	v_mov_b32_e32 v3, 0
	v_lshl_add_u64 v[2:3], v[2:3], 1, s[30:31]
	global_store_short v[2:3], v4, off
.LBB1970_75:
	s_or_b64 exec, exec, s[6:7]
	v_or_b32_e32 v2, 0x400, v10
	v_cmp_gt_u32_e64 s[4:5], s3, v2
	s_and_saveexec_b64 s[6:7], s[4:5]
	s_cbranch_execz .LBB1970_77
; %bb.76:
	v_lshlrev_b32_e32 v3, 1, v10
	ds_read_u16 v3, v3 offset:3072
	s_waitcnt lgkmcnt(0)
	v_lshrrev_b32_sdwa v4, s24, v3 dst_sel:DWORD dst_unused:UNUSED_PAD src0_sel:DWORD src1_sel:WORD_0
	v_and_b32_e32 v4, s33, v4
	v_lshlrev_b32_e32 v4, 2, v4
	ds_read_b32 v4, v4
	v_xor_b32_e32 v5, 0xffff8000, v3
	v_mov_b32_e32 v3, 0
	s_waitcnt lgkmcnt(0)
	v_add_u32_e32 v2, v4, v2
	v_lshl_add_u64 v[2:3], v[2:3], 1, s[30:31]
	global_store_short v[2:3], v5, off
.LBB1970_77:
	s_or_b64 exec, exec, s[6:7]
	v_or_b32_e32 v2, 0x800, v10
	v_cmp_gt_u32_e64 s[4:5], s3, v2
	s_and_saveexec_b64 s[6:7], s[4:5]
	s_cbranch_execz .LBB1970_79
; %bb.78:
	v_lshlrev_b32_e32 v3, 1, v10
	ds_read_u16 v3, v3 offset:5120
	s_waitcnt lgkmcnt(0)
	v_lshrrev_b32_sdwa v4, s24, v3 dst_sel:DWORD dst_unused:UNUSED_PAD src0_sel:DWORD src1_sel:WORD_0
	v_and_b32_e32 v4, s33, v4
	v_lshlrev_b32_e32 v4, 2, v4
	ds_read_b32 v4, v4
	v_xor_b32_e32 v5, 0xffff8000, v3
	v_mov_b32_e32 v3, 0
	s_waitcnt lgkmcnt(0)
	v_add_u32_e32 v2, v4, v2
	v_lshl_add_u64 v[2:3], v[2:3], 1, s[30:31]
	global_store_short v[2:3], v5, off
.LBB1970_79:
	;; [unrolled: 20-line block ×11, first 2 shown]
	s_or_b64 exec, exec, s[6:7]
	s_add_i32 s26, s26, -1
	s_cmp_eq_u32 s26, s27
	s_cselect_b64 s[4:5], -1, 0
	s_and_b64 s[6:7], vcc, s[4:5]
	s_mov_b64 s[4:5], 0
	s_mov_b64 s[8:9], 0
                                        ; implicit-def: $vgpr2
	s_and_saveexec_b64 s[12:13], s[6:7]
	s_xor_b64 s[6:7], exec, s[12:13]
; %bb.98:
	s_mov_b64 s[8:9], exec
	v_add_u32_e32 v2, v11, v15
	v_mov_b32_e32 v11, 0
; %bb.99:
	s_or_b64 exec, exec, s[6:7]
	s_and_b64 vcc, exec, s[4:5]
	s_cbranch_vccnz .LBB1970_101
	s_branch .LBB1970_150
.LBB1970_100:
	s_mov_b64 s[8:9], 0
                                        ; implicit-def: $vgpr2
	s_cbranch_execz .LBB1970_150
.LBB1970_101:
	s_mov_b32 s35, 0
	s_load_dword s3, s[0:1], 0x64
	s_load_dword s14, s[0:1], 0x58
	s_lshl_b64 s[4:5], s[34:35], 1
	s_add_u32 s4, s28, s4
	v_mbcnt_hi_u32_b32 v4, -1, v1
	s_addc_u32 s5, s29, s5
	v_and_b32_e32 v1, 63, v4
	v_and_b32_e32 v2, 0x3c0, v10
	v_mov_b32_e32 v3, 0
	v_mul_u32_u24_e32 v5, 12, v2
	v_lshlrev_b32_e32 v2, 1, v1
	s_add_u32 s0, s0, 0x58
	v_lshl_add_u64 v[6:7], s[4:5], 0, v[2:3]
	v_lshlrev_b32_e32 v2, 1, v5
	s_addc_u32 s1, s1, 0
	s_waitcnt lgkmcnt(0)
	s_lshr_b32 s3, s3, 16
	v_lshl_add_u64 v[6:7], v[6:7], 0, v[2:3]
	s_cmp_lt_u32 s2, s14
	global_load_ushort v1, v[6:7], off
	s_cselect_b32 s2, 12, 18
	s_add_u32 s0, s0, s2
	s_addc_u32 s1, s1, 0
	global_load_ushort v8, v3, s[0:1]
	v_bfe_u32 v2, v0, 10, 10
	v_bfe_u32 v11, v0, 20, 10
	v_mul_u32_u24_e32 v0, 5, v10
	v_lshlrev_b32_e32 v5, 2, v0
	ds_write2_b32 v5, v3, v3 offset0:16 offset1:17
	ds_write2_b32 v5, v3, v3 offset0:18 offset1:19
	ds_write_b32 v5, v3 offset:80
	global_load_ushort v9, v[6:7], off offset:128
	global_load_ushort v14, v[6:7], off offset:256
	global_load_ushort v20, v[6:7], off offset:384
	global_load_ushort v25, v[6:7], off offset:512
	global_load_ushort v29, v[6:7], off offset:640
	global_load_ushort v34, v[6:7], off offset:768
	global_load_ushort v38, v[6:7], off offset:896
	global_load_ushort v33, v[6:7], off offset:1024
	global_load_ushort v28, v[6:7], off offset:1152
	global_load_ushort v23, v[6:7], off offset:1280
	global_load_ushort v17, v[6:7], off offset:1408
	s_lshl_b32 s0, -1, s25
	s_not_b32 s15, s0
	v_mad_u32_u24 v7, v11, s3, v2
	v_mov_b32_e32 v0, v3
	v_mov_b32_e32 v12, v3
	;; [unrolled: 1-line block ×4, first 2 shown]
	s_waitcnt lgkmcnt(0)
	s_barrier
	s_waitcnt lgkmcnt(0)
	; wave barrier
	s_waitcnt vmcnt(12)
	v_xor_b32_e32 v6, 0xffff8000, v1
	v_lshrrev_b32_sdwa v1, s24, v6 dst_sel:DWORD dst_unused:UNUSED_PAD src0_sel:DWORD src1_sel:WORD_0
	v_and_b32_e32 v11, s15, v1
	v_and_b32_e32 v2, 1, v11
	v_lshlrev_b32_e32 v1, 30, v11
	s_waitcnt vmcnt(11)
	v_mad_u64_u32 v[30:31], s[0:1], v7, v8, v[10:11]
	v_lshlrev_b32_e32 v13, 29, v11
	v_lshlrev_b32_e32 v19, 28, v11
	v_lshl_add_u64 v[36:37], v[2:3], 0, -1
	v_cmp_ne_u32_e32 vcc, 0, v2
	v_cmp_gt_i64_e64 s[0:1], 0, v[0:1]
	v_not_b32_e32 v0, v1
	v_mul_u32_u24_e32 v15, 17, v11
	v_cmp_gt_i64_e64 s[2:3], 0, v[12:13]
	v_not_b32_e32 v1, v13
	v_cmp_gt_i64_e64 s[4:5], 0, v[18:19]
	v_lshrrev_b32_e32 v18, 6, v30
	v_xor_b32_e32 v12, vcc_hi, v37
	v_xor_b32_e32 v13, vcc_lo, v36
	v_ashrrev_i32_e32 v0, 31, v0
	v_lshlrev_b32_e32 v27, 27, v11
	v_not_b32_e32 v2, v19
	v_ashrrev_i32_e32 v1, 31, v1
	v_add_lshl_u32 v8, v18, v15, 2
	v_and_b32_e32 v12, exec_hi, v12
	v_and_b32_e32 v13, exec_lo, v13
	v_xor_b32_e32 v15, s1, v0
	v_xor_b32_e32 v0, s0, v0
	v_not_b32_e32 v7, v27
	v_ashrrev_i32_e32 v2, 31, v2
	v_xor_b32_e32 v16, s3, v1
	v_xor_b32_e32 v1, s2, v1
	v_and_b32_e32 v12, v12, v15
	v_and_b32_e32 v0, v13, v0
	v_cmp_gt_i64_e64 s[6:7], 0, v[26:27]
	v_ashrrev_i32_e32 v7, 31, v7
	v_xor_b32_e32 v19, s5, v2
	v_xor_b32_e32 v2, s4, v2
	v_and_b32_e32 v12, v12, v16
	v_and_b32_e32 v0, v0, v1
	v_xor_b32_e32 v21, s7, v7
	v_and_b32_e32 v1, v12, v19
	v_and_b32_e32 v0, v0, v2
	;; [unrolled: 3-line block ×3, first 2 shown]
	v_lshlrev_b32_e32 v1, 26, v11
	v_mov_b32_e32 v0, v3
	v_cmp_gt_i64_e32 vcc, 0, v[0:1]
	v_not_b32_e32 v0, v1
	v_ashrrev_i32_e32 v0, 31, v0
	v_xor_b32_e32 v1, vcc_hi, v0
	v_xor_b32_e32 v0, vcc_lo, v0
	v_and_b32_e32 v7, v7, v1
	v_and_b32_e32 v2, v2, v0
	v_lshlrev_b32_e32 v1, 25, v11
	v_mov_b32_e32 v0, v3
	v_cmp_gt_i64_e32 vcc, 0, v[0:1]
	v_not_b32_e32 v0, v1
	v_ashrrev_i32_e32 v0, 31, v0
	v_xor_b32_e32 v1, vcc_hi, v0
	v_xor_b32_e32 v0, vcc_lo, v0
	v_and_b32_e32 v7, v7, v1
	v_and_b32_e32 v2, v2, v0
	;; [unrolled: 9-line block ×3, first 2 shown]
	v_mbcnt_lo_u32_b32 v2, v0, 0
	v_mbcnt_hi_u32_b32 v7, v1, v2
	v_cmp_eq_u32_e32 vcc, 0, v7
	v_cmp_ne_u64_e64 s[0:1], 0, v[0:1]
	s_and_b64 s[2:3], s[0:1], vcc
	s_and_saveexec_b64 s[0:1], s[2:3]
	s_cbranch_execz .LBB1970_103
; %bb.102:
	v_bcnt_u32_b32 v0, v0, 0
	v_bcnt_u32_b32 v0, v1, v0
	ds_write_b32 v8, v0 offset:64
.LBB1970_103:
	s_or_b64 exec, exec, s[0:1]
	s_waitcnt vmcnt(10)
	v_xor_b32_e32 v9, 0xffff8000, v9
	v_lshrrev_b32_sdwa v0, s24, v9 dst_sel:DWORD dst_unused:UNUSED_PAD src0_sel:DWORD src1_sel:WORD_0
	v_and_b32_e32 v13, s15, v0
	v_mul_u32_u24_e32 v0, 17, v13
	v_and_b32_e32 v2, 1, v13
	v_add_lshl_u32 v12, v18, v0, 2
	v_lshl_add_u64 v[0:1], v[2:3], 0, -1
	v_cmp_ne_u32_e32 vcc, 0, v2
	; wave barrier
	s_nop 1
	v_xor_b32_e32 v1, vcc_hi, v1
	v_xor_b32_e32 v0, vcc_lo, v0
	v_and_b32_e32 v2, exec_hi, v1
	v_and_b32_e32 v15, exec_lo, v0
	v_lshlrev_b32_e32 v1, 30, v13
	v_mov_b32_e32 v0, v3
	v_cmp_gt_i64_e32 vcc, 0, v[0:1]
	v_not_b32_e32 v0, v1
	v_ashrrev_i32_e32 v0, 31, v0
	v_xor_b32_e32 v1, vcc_hi, v0
	v_xor_b32_e32 v0, vcc_lo, v0
	v_and_b32_e32 v2, v2, v1
	v_and_b32_e32 v15, v15, v0
	v_lshlrev_b32_e32 v1, 29, v13
	v_mov_b32_e32 v0, v3
	v_cmp_gt_i64_e32 vcc, 0, v[0:1]
	v_not_b32_e32 v0, v1
	v_ashrrev_i32_e32 v0, 31, v0
	v_xor_b32_e32 v1, vcc_hi, v0
	v_xor_b32_e32 v0, vcc_lo, v0
	v_and_b32_e32 v2, v2, v1
	v_and_b32_e32 v15, v15, v0
	;; [unrolled: 9-line block ×6, first 2 shown]
	v_lshlrev_b32_e32 v1, 24, v13
	v_mov_b32_e32 v0, v3
	v_cmp_gt_i64_e32 vcc, 0, v[0:1]
	v_not_b32_e32 v0, v1
	v_ashrrev_i32_e32 v0, 31, v0
	v_xor_b32_e32 v1, vcc_hi, v0
	v_xor_b32_e32 v0, vcc_lo, v0
	ds_read_b32 v11, v12 offset:64
	v_and_b32_e32 v0, v15, v0
	v_and_b32_e32 v1, v2, v1
	v_mbcnt_lo_u32_b32 v2, v0, 0
	v_mbcnt_hi_u32_b32 v13, v1, v2
	v_cmp_eq_u32_e32 vcc, 0, v13
	v_cmp_ne_u64_e64 s[0:1], 0, v[0:1]
	s_and_b64 s[2:3], s[0:1], vcc
	; wave barrier
	s_and_saveexec_b64 s[0:1], s[2:3]
	s_cbranch_execz .LBB1970_105
; %bb.104:
	v_bcnt_u32_b32 v0, v0, 0
	v_bcnt_u32_b32 v0, v1, v0
	s_waitcnt lgkmcnt(0)
	v_add_u32_e32 v0, v11, v0
	ds_write_b32 v12, v0 offset:64
.LBB1970_105:
	s_or_b64 exec, exec, s[0:1]
	s_waitcnt vmcnt(9)
	v_xor_b32_e32 v14, 0xffff8000, v14
	v_lshrrev_b32_sdwa v0, s24, v14 dst_sel:DWORD dst_unused:UNUSED_PAD src0_sel:DWORD src1_sel:WORD_0
	v_and_b32_e32 v19, s15, v0
	v_mul_u32_u24_e32 v0, 17, v19
	v_add_lshl_u32 v16, v18, v0, 2
	v_and_b32_e32 v0, 1, v19
	v_mov_b32_e32 v1, 0
	v_lshl_add_u64 v[2:3], v[0:1], 0, -1
	v_cmp_ne_u32_e32 vcc, 0, v0
	; wave barrier
	s_nop 1
	v_xor_b32_e32 v2, vcc_lo, v2
	v_xor_b32_e32 v0, vcc_hi, v3
	v_and_b32_e32 v21, exec_lo, v2
	v_lshlrev_b32_e32 v3, 30, v19
	v_mov_b32_e32 v2, v1
	v_cmp_gt_i64_e32 vcc, 0, v[2:3]
	v_not_b32_e32 v2, v3
	v_ashrrev_i32_e32 v2, 31, v2
	v_and_b32_e32 v0, exec_hi, v0
	v_xor_b32_e32 v3, vcc_hi, v2
	v_xor_b32_e32 v2, vcc_lo, v2
	v_and_b32_e32 v0, v0, v3
	v_and_b32_e32 v21, v21, v2
	v_lshlrev_b32_e32 v3, 29, v19
	v_mov_b32_e32 v2, v1
	v_cmp_gt_i64_e32 vcc, 0, v[2:3]
	v_not_b32_e32 v2, v3
	v_ashrrev_i32_e32 v2, 31, v2
	v_xor_b32_e32 v3, vcc_hi, v2
	v_xor_b32_e32 v2, vcc_lo, v2
	v_and_b32_e32 v0, v0, v3
	v_and_b32_e32 v21, v21, v2
	v_lshlrev_b32_e32 v3, 28, v19
	v_mov_b32_e32 v2, v1
	v_cmp_gt_i64_e32 vcc, 0, v[2:3]
	v_not_b32_e32 v2, v3
	v_ashrrev_i32_e32 v2, 31, v2
	;; [unrolled: 9-line block ×6, first 2 shown]
	v_xor_b32_e32 v3, vcc_hi, v2
	v_xor_b32_e32 v2, vcc_lo, v2
	ds_read_b32 v15, v16 offset:64
	v_and_b32_e32 v2, v21, v2
	v_and_b32_e32 v3, v0, v3
	v_mbcnt_lo_u32_b32 v0, v2, 0
	v_mbcnt_hi_u32_b32 v19, v3, v0
	v_cmp_eq_u32_e32 vcc, 0, v19
	v_cmp_ne_u64_e64 s[0:1], 0, v[2:3]
	s_and_b64 s[2:3], s[0:1], vcc
	; wave barrier
	s_and_saveexec_b64 s[0:1], s[2:3]
	s_cbranch_execz .LBB1970_107
; %bb.106:
	v_bcnt_u32_b32 v0, v2, 0
	v_bcnt_u32_b32 v0, v3, v0
	s_waitcnt lgkmcnt(0)
	v_add_u32_e32 v0, v15, v0
	ds_write_b32 v16, v0 offset:64
.LBB1970_107:
	s_or_b64 exec, exec, s[0:1]
	s_waitcnt vmcnt(8)
	v_xor_b32_e32 v20, 0xffff8000, v20
	v_lshrrev_b32_sdwa v0, s24, v20 dst_sel:DWORD dst_unused:UNUSED_PAD src0_sel:DWORD src1_sel:WORD_0
	v_and_b32_e32 v24, s15, v0
	v_mul_u32_u24_e32 v0, 17, v24
	v_add_lshl_u32 v22, v18, v0, 2
	v_and_b32_e32 v0, 1, v24
	v_lshl_add_u64 v[2:3], v[0:1], 0, -1
	v_cmp_ne_u32_e32 vcc, 0, v0
	; wave barrier
	s_nop 1
	v_xor_b32_e32 v2, vcc_lo, v2
	v_xor_b32_e32 v0, vcc_hi, v3
	v_and_b32_e32 v26, exec_lo, v2
	v_lshlrev_b32_e32 v3, 30, v24
	v_mov_b32_e32 v2, v1
	v_cmp_gt_i64_e32 vcc, 0, v[2:3]
	v_not_b32_e32 v2, v3
	v_ashrrev_i32_e32 v2, 31, v2
	v_and_b32_e32 v0, exec_hi, v0
	v_xor_b32_e32 v3, vcc_hi, v2
	v_xor_b32_e32 v2, vcc_lo, v2
	v_and_b32_e32 v0, v0, v3
	v_and_b32_e32 v26, v26, v2
	v_lshlrev_b32_e32 v3, 29, v24
	v_mov_b32_e32 v2, v1
	v_cmp_gt_i64_e32 vcc, 0, v[2:3]
	v_not_b32_e32 v2, v3
	v_ashrrev_i32_e32 v2, 31, v2
	v_xor_b32_e32 v3, vcc_hi, v2
	v_xor_b32_e32 v2, vcc_lo, v2
	v_and_b32_e32 v0, v0, v3
	v_and_b32_e32 v26, v26, v2
	v_lshlrev_b32_e32 v3, 28, v24
	v_mov_b32_e32 v2, v1
	v_cmp_gt_i64_e32 vcc, 0, v[2:3]
	v_not_b32_e32 v2, v3
	v_ashrrev_i32_e32 v2, 31, v2
	;; [unrolled: 9-line block ×5, first 2 shown]
	v_xor_b32_e32 v3, vcc_hi, v2
	v_xor_b32_e32 v2, vcc_lo, v2
	v_and_b32_e32 v0, v0, v3
	v_lshlrev_b32_e32 v3, 24, v24
	v_and_b32_e32 v26, v26, v2
	v_mov_b32_e32 v2, v1
	v_not_b32_e32 v1, v3
	v_cmp_gt_i64_e32 vcc, 0, v[2:3]
	v_ashrrev_i32_e32 v1, 31, v1
	ds_read_b32 v21, v22 offset:64
	v_xor_b32_e32 v2, vcc_hi, v1
	v_xor_b32_e32 v3, vcc_lo, v1
	v_and_b32_e32 v1, v0, v2
	v_and_b32_e32 v0, v26, v3
	v_mbcnt_lo_u32_b32 v2, v0, 0
	v_mbcnt_hi_u32_b32 v24, v1, v2
	v_cmp_eq_u32_e32 vcc, 0, v24
	v_cmp_ne_u64_e64 s[0:1], 0, v[0:1]
	s_and_b64 s[2:3], s[0:1], vcc
	; wave barrier
	s_and_saveexec_b64 s[0:1], s[2:3]
	s_cbranch_execz .LBB1970_109
; %bb.108:
	v_bcnt_u32_b32 v0, v0, 0
	v_bcnt_u32_b32 v0, v1, v0
	s_waitcnt lgkmcnt(0)
	v_add_u32_e32 v0, v21, v0
	ds_write_b32 v22, v0 offset:64
.LBB1970_109:
	s_or_b64 exec, exec, s[0:1]
	s_waitcnt vmcnt(7)
	v_xor_b32_e32 v25, 0xffff8000, v25
	v_lshrrev_b32_sdwa v0, s24, v25 dst_sel:DWORD dst_unused:UNUSED_PAD src0_sel:DWORD src1_sel:WORD_0
	v_and_b32_e32 v30, s15, v0
	v_mul_u32_u24_e32 v0, 17, v30
	v_add_lshl_u32 v27, v18, v0, 2
	v_and_b32_e32 v0, 1, v30
	v_mov_b32_e32 v1, 0
	v_lshl_add_u64 v[2:3], v[0:1], 0, -1
	v_cmp_ne_u32_e32 vcc, 0, v0
	; wave barrier
	s_nop 1
	v_xor_b32_e32 v2, vcc_lo, v2
	v_xor_b32_e32 v0, vcc_hi, v3
	v_and_b32_e32 v31, exec_lo, v2
	v_lshlrev_b32_e32 v3, 30, v30
	v_mov_b32_e32 v2, v1
	v_cmp_gt_i64_e32 vcc, 0, v[2:3]
	v_not_b32_e32 v2, v3
	v_ashrrev_i32_e32 v2, 31, v2
	v_and_b32_e32 v0, exec_hi, v0
	v_xor_b32_e32 v3, vcc_hi, v2
	v_xor_b32_e32 v2, vcc_lo, v2
	v_and_b32_e32 v0, v0, v3
	v_and_b32_e32 v31, v31, v2
	v_lshlrev_b32_e32 v3, 29, v30
	v_mov_b32_e32 v2, v1
	v_cmp_gt_i64_e32 vcc, 0, v[2:3]
	v_not_b32_e32 v2, v3
	v_ashrrev_i32_e32 v2, 31, v2
	v_xor_b32_e32 v3, vcc_hi, v2
	v_xor_b32_e32 v2, vcc_lo, v2
	v_and_b32_e32 v0, v0, v3
	v_and_b32_e32 v31, v31, v2
	v_lshlrev_b32_e32 v3, 28, v30
	v_mov_b32_e32 v2, v1
	v_cmp_gt_i64_e32 vcc, 0, v[2:3]
	v_not_b32_e32 v2, v3
	v_ashrrev_i32_e32 v2, 31, v2
	;; [unrolled: 9-line block ×6, first 2 shown]
	v_xor_b32_e32 v3, vcc_hi, v2
	v_xor_b32_e32 v2, vcc_lo, v2
	ds_read_b32 v26, v27 offset:64
	v_and_b32_e32 v2, v31, v2
	v_and_b32_e32 v3, v0, v3
	v_mbcnt_lo_u32_b32 v0, v2, 0
	v_mbcnt_hi_u32_b32 v30, v3, v0
	v_cmp_eq_u32_e32 vcc, 0, v30
	v_cmp_ne_u64_e64 s[0:1], 0, v[2:3]
	s_and_b64 s[2:3], s[0:1], vcc
	; wave barrier
	s_and_saveexec_b64 s[0:1], s[2:3]
	s_cbranch_execz .LBB1970_111
; %bb.110:
	v_bcnt_u32_b32 v0, v2, 0
	v_bcnt_u32_b32 v0, v3, v0
	s_waitcnt lgkmcnt(0)
	v_add_u32_e32 v0, v26, v0
	ds_write_b32 v27, v0 offset:64
.LBB1970_111:
	s_or_b64 exec, exec, s[0:1]
	s_waitcnt vmcnt(6)
	v_xor_b32_e32 v29, 0xffff8000, v29
	v_lshrrev_b32_sdwa v0, s24, v29 dst_sel:DWORD dst_unused:UNUSED_PAD src0_sel:DWORD src1_sel:WORD_0
	v_and_b32_e32 v35, s15, v0
	v_mul_u32_u24_e32 v0, 17, v35
	v_add_lshl_u32 v32, v18, v0, 2
	v_and_b32_e32 v0, 1, v35
	v_lshl_add_u64 v[2:3], v[0:1], 0, -1
	v_cmp_ne_u32_e32 vcc, 0, v0
	; wave barrier
	s_nop 1
	v_xor_b32_e32 v2, vcc_lo, v2
	v_xor_b32_e32 v0, vcc_hi, v3
	v_and_b32_e32 v36, exec_lo, v2
	v_lshlrev_b32_e32 v3, 30, v35
	v_mov_b32_e32 v2, v1
	v_cmp_gt_i64_e32 vcc, 0, v[2:3]
	v_not_b32_e32 v2, v3
	v_ashrrev_i32_e32 v2, 31, v2
	v_and_b32_e32 v0, exec_hi, v0
	v_xor_b32_e32 v3, vcc_hi, v2
	v_xor_b32_e32 v2, vcc_lo, v2
	v_and_b32_e32 v0, v0, v3
	v_and_b32_e32 v36, v36, v2
	v_lshlrev_b32_e32 v3, 29, v35
	v_mov_b32_e32 v2, v1
	v_cmp_gt_i64_e32 vcc, 0, v[2:3]
	v_not_b32_e32 v2, v3
	v_ashrrev_i32_e32 v2, 31, v2
	v_xor_b32_e32 v3, vcc_hi, v2
	v_xor_b32_e32 v2, vcc_lo, v2
	v_and_b32_e32 v0, v0, v3
	v_and_b32_e32 v36, v36, v2
	v_lshlrev_b32_e32 v3, 28, v35
	v_mov_b32_e32 v2, v1
	v_cmp_gt_i64_e32 vcc, 0, v[2:3]
	v_not_b32_e32 v2, v3
	v_ashrrev_i32_e32 v2, 31, v2
	;; [unrolled: 9-line block ×5, first 2 shown]
	v_xor_b32_e32 v3, vcc_hi, v2
	v_xor_b32_e32 v2, vcc_lo, v2
	v_and_b32_e32 v0, v0, v3
	v_lshlrev_b32_e32 v3, 24, v35
	v_and_b32_e32 v36, v36, v2
	v_mov_b32_e32 v2, v1
	v_not_b32_e32 v1, v3
	v_cmp_gt_i64_e32 vcc, 0, v[2:3]
	v_ashrrev_i32_e32 v1, 31, v1
	ds_read_b32 v31, v32 offset:64
	v_xor_b32_e32 v2, vcc_hi, v1
	v_xor_b32_e32 v3, vcc_lo, v1
	v_and_b32_e32 v1, v0, v2
	v_and_b32_e32 v0, v36, v3
	v_mbcnt_lo_u32_b32 v2, v0, 0
	v_mbcnt_hi_u32_b32 v35, v1, v2
	v_cmp_eq_u32_e32 vcc, 0, v35
	v_cmp_ne_u64_e64 s[0:1], 0, v[0:1]
	s_and_b64 s[2:3], s[0:1], vcc
	; wave barrier
	s_and_saveexec_b64 s[0:1], s[2:3]
	s_cbranch_execz .LBB1970_113
; %bb.112:
	v_bcnt_u32_b32 v0, v0, 0
	v_bcnt_u32_b32 v0, v1, v0
	s_waitcnt lgkmcnt(0)
	v_add_u32_e32 v0, v31, v0
	ds_write_b32 v32, v0 offset:64
.LBB1970_113:
	s_or_b64 exec, exec, s[0:1]
	s_waitcnt vmcnt(5)
	v_xor_b32_e32 v34, 0xffff8000, v34
	v_lshrrev_b32_sdwa v0, s24, v34 dst_sel:DWORD dst_unused:UNUSED_PAD src0_sel:DWORD src1_sel:WORD_0
	v_and_b32_e32 v39, s15, v0
	v_mul_u32_u24_e32 v0, 17, v39
	v_add_lshl_u32 v37, v18, v0, 2
	v_and_b32_e32 v0, 1, v39
	v_mov_b32_e32 v1, 0
	v_lshl_add_u64 v[2:3], v[0:1], 0, -1
	v_cmp_ne_u32_e32 vcc, 0, v0
	; wave barrier
	s_nop 1
	v_xor_b32_e32 v2, vcc_lo, v2
	v_xor_b32_e32 v0, vcc_hi, v3
	v_and_b32_e32 v40, exec_lo, v2
	v_lshlrev_b32_e32 v3, 30, v39
	v_mov_b32_e32 v2, v1
	v_cmp_gt_i64_e32 vcc, 0, v[2:3]
	v_not_b32_e32 v2, v3
	v_ashrrev_i32_e32 v2, 31, v2
	v_and_b32_e32 v0, exec_hi, v0
	v_xor_b32_e32 v3, vcc_hi, v2
	v_xor_b32_e32 v2, vcc_lo, v2
	v_and_b32_e32 v0, v0, v3
	v_and_b32_e32 v40, v40, v2
	v_lshlrev_b32_e32 v3, 29, v39
	v_mov_b32_e32 v2, v1
	v_cmp_gt_i64_e32 vcc, 0, v[2:3]
	v_not_b32_e32 v2, v3
	v_ashrrev_i32_e32 v2, 31, v2
	v_xor_b32_e32 v3, vcc_hi, v2
	v_xor_b32_e32 v2, vcc_lo, v2
	v_and_b32_e32 v0, v0, v3
	v_and_b32_e32 v40, v40, v2
	v_lshlrev_b32_e32 v3, 28, v39
	v_mov_b32_e32 v2, v1
	v_cmp_gt_i64_e32 vcc, 0, v[2:3]
	v_not_b32_e32 v2, v3
	v_ashrrev_i32_e32 v2, 31, v2
	v_xor_b32_e32 v3, vcc_hi, v2
	v_xor_b32_e32 v2, vcc_lo, v2
	v_and_b32_e32 v0, v0, v3
	v_and_b32_e32 v40, v40, v2
	v_lshlrev_b32_e32 v3, 27, v39
	v_mov_b32_e32 v2, v1
	v_cmp_gt_i64_e32 vcc, 0, v[2:3]
	v_not_b32_e32 v2, v3
	v_ashrrev_i32_e32 v2, 31, v2
	v_xor_b32_e32 v3, vcc_hi, v2
	v_xor_b32_e32 v2, vcc_lo, v2
	v_and_b32_e32 v0, v0, v3
	v_and_b32_e32 v40, v40, v2
	v_lshlrev_b32_e32 v3, 26, v39
	v_mov_b32_e32 v2, v1
	v_cmp_gt_i64_e32 vcc, 0, v[2:3]
	v_not_b32_e32 v2, v3
	v_ashrrev_i32_e32 v2, 31, v2
	v_xor_b32_e32 v3, vcc_hi, v2
	v_xor_b32_e32 v2, vcc_lo, v2
	v_and_b32_e32 v0, v0, v3
	v_and_b32_e32 v40, v40, v2
	v_lshlrev_b32_e32 v3, 25, v39
	v_mov_b32_e32 v2, v1
	v_cmp_gt_i64_e32 vcc, 0, v[2:3]
	v_not_b32_e32 v2, v3
	v_ashrrev_i32_e32 v2, 31, v2
	v_xor_b32_e32 v3, vcc_hi, v2
	v_xor_b32_e32 v2, vcc_lo, v2
	v_and_b32_e32 v0, v0, v3
	v_and_b32_e32 v40, v40, v2
	v_lshlrev_b32_e32 v3, 24, v39
	v_mov_b32_e32 v2, v1
	v_cmp_gt_i64_e32 vcc, 0, v[2:3]
	v_not_b32_e32 v2, v3
	v_ashrrev_i32_e32 v2, 31, v2
	v_xor_b32_e32 v3, vcc_hi, v2
	v_xor_b32_e32 v2, vcc_lo, v2
	ds_read_b32 v36, v37 offset:64
	v_and_b32_e32 v2, v40, v2
	v_and_b32_e32 v3, v0, v3
	v_mbcnt_lo_u32_b32 v0, v2, 0
	v_mbcnt_hi_u32_b32 v39, v3, v0
	v_cmp_eq_u32_e32 vcc, 0, v39
	v_cmp_ne_u64_e64 s[0:1], 0, v[2:3]
	s_and_b64 s[2:3], s[0:1], vcc
	; wave barrier
	s_and_saveexec_b64 s[0:1], s[2:3]
	s_cbranch_execz .LBB1970_115
; %bb.114:
	v_bcnt_u32_b32 v0, v2, 0
	v_bcnt_u32_b32 v0, v3, v0
	s_waitcnt lgkmcnt(0)
	v_add_u32_e32 v0, v36, v0
	ds_write_b32 v37, v0 offset:64
.LBB1970_115:
	s_or_b64 exec, exec, s[0:1]
	s_waitcnt vmcnt(4)
	v_xor_b32_e32 v38, 0xffff8000, v38
	v_lshrrev_b32_sdwa v0, s24, v38 dst_sel:DWORD dst_unused:UNUSED_PAD src0_sel:DWORD src1_sel:WORD_0
	v_and_b32_e32 v42, s15, v0
	v_mul_u32_u24_e32 v0, 17, v42
	v_add_lshl_u32 v41, v18, v0, 2
	v_and_b32_e32 v0, 1, v42
	v_lshl_add_u64 v[2:3], v[0:1], 0, -1
	v_cmp_ne_u32_e32 vcc, 0, v0
	; wave barrier
	s_nop 1
	v_xor_b32_e32 v2, vcc_lo, v2
	v_xor_b32_e32 v0, vcc_hi, v3
	v_and_b32_e32 v43, exec_lo, v2
	v_lshlrev_b32_e32 v3, 30, v42
	v_mov_b32_e32 v2, v1
	v_cmp_gt_i64_e32 vcc, 0, v[2:3]
	v_not_b32_e32 v2, v3
	v_ashrrev_i32_e32 v2, 31, v2
	v_and_b32_e32 v0, exec_hi, v0
	v_xor_b32_e32 v3, vcc_hi, v2
	v_xor_b32_e32 v2, vcc_lo, v2
	v_and_b32_e32 v0, v0, v3
	v_and_b32_e32 v43, v43, v2
	v_lshlrev_b32_e32 v3, 29, v42
	v_mov_b32_e32 v2, v1
	v_cmp_gt_i64_e32 vcc, 0, v[2:3]
	v_not_b32_e32 v2, v3
	v_ashrrev_i32_e32 v2, 31, v2
	v_xor_b32_e32 v3, vcc_hi, v2
	v_xor_b32_e32 v2, vcc_lo, v2
	v_and_b32_e32 v0, v0, v3
	v_and_b32_e32 v43, v43, v2
	v_lshlrev_b32_e32 v3, 28, v42
	v_mov_b32_e32 v2, v1
	v_cmp_gt_i64_e32 vcc, 0, v[2:3]
	v_not_b32_e32 v2, v3
	v_ashrrev_i32_e32 v2, 31, v2
	;; [unrolled: 9-line block ×5, first 2 shown]
	v_xor_b32_e32 v3, vcc_hi, v2
	v_xor_b32_e32 v2, vcc_lo, v2
	v_and_b32_e32 v0, v0, v3
	v_lshlrev_b32_e32 v3, 24, v42
	v_and_b32_e32 v43, v43, v2
	v_mov_b32_e32 v2, v1
	v_not_b32_e32 v1, v3
	v_cmp_gt_i64_e32 vcc, 0, v[2:3]
	v_ashrrev_i32_e32 v1, 31, v1
	ds_read_b32 v40, v41 offset:64
	v_xor_b32_e32 v2, vcc_hi, v1
	v_xor_b32_e32 v3, vcc_lo, v1
	v_and_b32_e32 v1, v0, v2
	v_and_b32_e32 v0, v43, v3
	v_mbcnt_lo_u32_b32 v2, v0, 0
	v_mbcnt_hi_u32_b32 v42, v1, v2
	v_cmp_eq_u32_e32 vcc, 0, v42
	v_cmp_ne_u64_e64 s[0:1], 0, v[0:1]
	s_and_b64 s[2:3], s[0:1], vcc
	; wave barrier
	s_and_saveexec_b64 s[0:1], s[2:3]
	s_cbranch_execz .LBB1970_117
; %bb.116:
	v_bcnt_u32_b32 v0, v0, 0
	v_bcnt_u32_b32 v0, v1, v0
	s_waitcnt lgkmcnt(0)
	v_add_u32_e32 v0, v40, v0
	ds_write_b32 v41, v0 offset:64
.LBB1970_117:
	s_or_b64 exec, exec, s[0:1]
	s_waitcnt vmcnt(3)
	v_xor_b32_e32 v33, 0xffff8000, v33
	v_lshrrev_b32_sdwa v0, s24, v33 dst_sel:DWORD dst_unused:UNUSED_PAD src0_sel:DWORD src1_sel:WORD_0
	v_and_b32_e32 v45, s15, v0
	v_mul_u32_u24_e32 v0, 17, v45
	v_add_lshl_u32 v44, v18, v0, 2
	v_and_b32_e32 v0, 1, v45
	v_mov_b32_e32 v1, 0
	v_lshl_add_u64 v[2:3], v[0:1], 0, -1
	v_cmp_ne_u32_e32 vcc, 0, v0
	; wave barrier
	s_nop 1
	v_xor_b32_e32 v2, vcc_lo, v2
	v_xor_b32_e32 v0, vcc_hi, v3
	v_and_b32_e32 v46, exec_lo, v2
	v_lshlrev_b32_e32 v3, 30, v45
	v_mov_b32_e32 v2, v1
	v_cmp_gt_i64_e32 vcc, 0, v[2:3]
	v_not_b32_e32 v2, v3
	v_ashrrev_i32_e32 v2, 31, v2
	v_and_b32_e32 v0, exec_hi, v0
	v_xor_b32_e32 v3, vcc_hi, v2
	v_xor_b32_e32 v2, vcc_lo, v2
	v_and_b32_e32 v0, v0, v3
	v_and_b32_e32 v46, v46, v2
	v_lshlrev_b32_e32 v3, 29, v45
	v_mov_b32_e32 v2, v1
	v_cmp_gt_i64_e32 vcc, 0, v[2:3]
	v_not_b32_e32 v2, v3
	v_ashrrev_i32_e32 v2, 31, v2
	v_xor_b32_e32 v3, vcc_hi, v2
	v_xor_b32_e32 v2, vcc_lo, v2
	v_and_b32_e32 v0, v0, v3
	v_and_b32_e32 v46, v46, v2
	v_lshlrev_b32_e32 v3, 28, v45
	v_mov_b32_e32 v2, v1
	v_cmp_gt_i64_e32 vcc, 0, v[2:3]
	v_not_b32_e32 v2, v3
	v_ashrrev_i32_e32 v2, 31, v2
	;; [unrolled: 9-line block ×6, first 2 shown]
	v_xor_b32_e32 v3, vcc_hi, v2
	v_xor_b32_e32 v2, vcc_lo, v2
	ds_read_b32 v43, v44 offset:64
	v_and_b32_e32 v2, v46, v2
	v_and_b32_e32 v3, v0, v3
	v_mbcnt_lo_u32_b32 v0, v2, 0
	v_mbcnt_hi_u32_b32 v45, v3, v0
	v_cmp_eq_u32_e32 vcc, 0, v45
	v_cmp_ne_u64_e64 s[0:1], 0, v[2:3]
	s_and_b64 s[2:3], s[0:1], vcc
	; wave barrier
	s_and_saveexec_b64 s[0:1], s[2:3]
	s_cbranch_execz .LBB1970_119
; %bb.118:
	v_bcnt_u32_b32 v0, v2, 0
	v_bcnt_u32_b32 v0, v3, v0
	s_waitcnt lgkmcnt(0)
	v_add_u32_e32 v0, v43, v0
	ds_write_b32 v44, v0 offset:64
.LBB1970_119:
	s_or_b64 exec, exec, s[0:1]
	s_waitcnt vmcnt(2)
	v_xor_b32_e32 v28, 0xffff8000, v28
	v_lshrrev_b32_sdwa v0, s24, v28 dst_sel:DWORD dst_unused:UNUSED_PAD src0_sel:DWORD src1_sel:WORD_0
	v_and_b32_e32 v48, s15, v0
	v_mul_u32_u24_e32 v0, 17, v48
	v_add_lshl_u32 v47, v18, v0, 2
	v_and_b32_e32 v0, 1, v48
	v_lshl_add_u64 v[2:3], v[0:1], 0, -1
	v_cmp_ne_u32_e32 vcc, 0, v0
	; wave barrier
	s_nop 1
	v_xor_b32_e32 v2, vcc_lo, v2
	v_xor_b32_e32 v0, vcc_hi, v3
	v_and_b32_e32 v49, exec_lo, v2
	v_lshlrev_b32_e32 v3, 30, v48
	v_mov_b32_e32 v2, v1
	v_cmp_gt_i64_e32 vcc, 0, v[2:3]
	v_not_b32_e32 v2, v3
	v_ashrrev_i32_e32 v2, 31, v2
	v_and_b32_e32 v0, exec_hi, v0
	v_xor_b32_e32 v3, vcc_hi, v2
	v_xor_b32_e32 v2, vcc_lo, v2
	v_and_b32_e32 v0, v0, v3
	v_and_b32_e32 v49, v49, v2
	v_lshlrev_b32_e32 v3, 29, v48
	v_mov_b32_e32 v2, v1
	v_cmp_gt_i64_e32 vcc, 0, v[2:3]
	v_not_b32_e32 v2, v3
	v_ashrrev_i32_e32 v2, 31, v2
	v_xor_b32_e32 v3, vcc_hi, v2
	v_xor_b32_e32 v2, vcc_lo, v2
	v_and_b32_e32 v0, v0, v3
	v_and_b32_e32 v49, v49, v2
	v_lshlrev_b32_e32 v3, 28, v48
	v_mov_b32_e32 v2, v1
	v_cmp_gt_i64_e32 vcc, 0, v[2:3]
	v_not_b32_e32 v2, v3
	v_ashrrev_i32_e32 v2, 31, v2
	;; [unrolled: 9-line block ×5, first 2 shown]
	v_xor_b32_e32 v3, vcc_hi, v2
	v_xor_b32_e32 v2, vcc_lo, v2
	v_and_b32_e32 v0, v0, v3
	v_lshlrev_b32_e32 v3, 24, v48
	v_and_b32_e32 v49, v49, v2
	v_mov_b32_e32 v2, v1
	v_not_b32_e32 v1, v3
	v_cmp_gt_i64_e32 vcc, 0, v[2:3]
	v_ashrrev_i32_e32 v1, 31, v1
	ds_read_b32 v46, v47 offset:64
	v_xor_b32_e32 v2, vcc_hi, v1
	v_xor_b32_e32 v3, vcc_lo, v1
	v_and_b32_e32 v1, v0, v2
	v_and_b32_e32 v0, v49, v3
	v_mbcnt_lo_u32_b32 v2, v0, 0
	v_mbcnt_hi_u32_b32 v48, v1, v2
	v_cmp_eq_u32_e32 vcc, 0, v48
	v_cmp_ne_u64_e64 s[0:1], 0, v[0:1]
	s_and_b64 s[2:3], s[0:1], vcc
	; wave barrier
	s_and_saveexec_b64 s[0:1], s[2:3]
	s_cbranch_execz .LBB1970_121
; %bb.120:
	v_bcnt_u32_b32 v0, v0, 0
	v_bcnt_u32_b32 v0, v1, v0
	s_waitcnt lgkmcnt(0)
	v_add_u32_e32 v0, v46, v0
	ds_write_b32 v47, v0 offset:64
.LBB1970_121:
	s_or_b64 exec, exec, s[0:1]
	s_waitcnt vmcnt(1)
	v_xor_b32_e32 v23, 0xffff8000, v23
	v_lshrrev_b32_sdwa v0, s24, v23 dst_sel:DWORD dst_unused:UNUSED_PAD src0_sel:DWORD src1_sel:WORD_0
	v_and_b32_e32 v51, s15, v0
	v_mul_u32_u24_e32 v0, 17, v51
	v_add_lshl_u32 v50, v18, v0, 2
	v_and_b32_e32 v0, 1, v51
	v_mov_b32_e32 v1, 0
	v_lshl_add_u64 v[2:3], v[0:1], 0, -1
	v_cmp_ne_u32_e32 vcc, 0, v0
	; wave barrier
	s_nop 1
	v_xor_b32_e32 v2, vcc_lo, v2
	v_xor_b32_e32 v0, vcc_hi, v3
	v_and_b32_e32 v52, exec_lo, v2
	v_lshlrev_b32_e32 v3, 30, v51
	v_mov_b32_e32 v2, v1
	v_cmp_gt_i64_e32 vcc, 0, v[2:3]
	v_not_b32_e32 v2, v3
	v_ashrrev_i32_e32 v2, 31, v2
	v_and_b32_e32 v0, exec_hi, v0
	v_xor_b32_e32 v3, vcc_hi, v2
	v_xor_b32_e32 v2, vcc_lo, v2
	v_and_b32_e32 v0, v0, v3
	v_and_b32_e32 v52, v52, v2
	v_lshlrev_b32_e32 v3, 29, v51
	v_mov_b32_e32 v2, v1
	v_cmp_gt_i64_e32 vcc, 0, v[2:3]
	v_not_b32_e32 v2, v3
	v_ashrrev_i32_e32 v2, 31, v2
	v_xor_b32_e32 v3, vcc_hi, v2
	v_xor_b32_e32 v2, vcc_lo, v2
	v_and_b32_e32 v0, v0, v3
	v_and_b32_e32 v52, v52, v2
	v_lshlrev_b32_e32 v3, 28, v51
	v_mov_b32_e32 v2, v1
	v_cmp_gt_i64_e32 vcc, 0, v[2:3]
	v_not_b32_e32 v2, v3
	v_ashrrev_i32_e32 v2, 31, v2
	;; [unrolled: 9-line block ×6, first 2 shown]
	v_xor_b32_e32 v3, vcc_hi, v2
	v_xor_b32_e32 v2, vcc_lo, v2
	ds_read_b32 v49, v50 offset:64
	v_and_b32_e32 v2, v52, v2
	v_and_b32_e32 v3, v0, v3
	v_mbcnt_lo_u32_b32 v0, v2, 0
	v_mbcnt_hi_u32_b32 v51, v3, v0
	v_cmp_eq_u32_e32 vcc, 0, v51
	v_cmp_ne_u64_e64 s[0:1], 0, v[2:3]
	s_and_b64 s[2:3], s[0:1], vcc
	; wave barrier
	s_and_saveexec_b64 s[0:1], s[2:3]
	s_cbranch_execz .LBB1970_123
; %bb.122:
	v_bcnt_u32_b32 v0, v2, 0
	v_bcnt_u32_b32 v0, v3, v0
	s_waitcnt lgkmcnt(0)
	v_add_u32_e32 v0, v49, v0
	ds_write_b32 v50, v0 offset:64
.LBB1970_123:
	s_or_b64 exec, exec, s[0:1]
	s_waitcnt vmcnt(0)
	v_xor_b32_e32 v17, 0xffff8000, v17
	v_lshrrev_b32_sdwa v0, s24, v17 dst_sel:DWORD dst_unused:UNUSED_PAD src0_sel:DWORD src1_sel:WORD_0
	v_and_b32_e32 v55, s15, v0
	v_mul_u32_u24_e32 v0, 17, v55
	v_add_lshl_u32 v53, v18, v0, 2
	v_and_b32_e32 v0, 1, v55
	v_lshl_add_u64 v[2:3], v[0:1], 0, -1
	v_cmp_ne_u32_e32 vcc, 0, v0
	; wave barrier
	s_nop 1
	v_xor_b32_e32 v2, vcc_lo, v2
	v_xor_b32_e32 v0, vcc_hi, v3
	v_and_b32_e32 v18, exec_lo, v2
	v_lshlrev_b32_e32 v3, 30, v55
	v_mov_b32_e32 v2, v1
	v_cmp_gt_i64_e32 vcc, 0, v[2:3]
	v_not_b32_e32 v2, v3
	v_ashrrev_i32_e32 v2, 31, v2
	v_and_b32_e32 v0, exec_hi, v0
	v_xor_b32_e32 v3, vcc_hi, v2
	v_xor_b32_e32 v2, vcc_lo, v2
	v_and_b32_e32 v0, v0, v3
	v_and_b32_e32 v18, v18, v2
	v_lshlrev_b32_e32 v3, 29, v55
	v_mov_b32_e32 v2, v1
	v_cmp_gt_i64_e32 vcc, 0, v[2:3]
	v_not_b32_e32 v2, v3
	v_ashrrev_i32_e32 v2, 31, v2
	v_xor_b32_e32 v3, vcc_hi, v2
	v_xor_b32_e32 v2, vcc_lo, v2
	v_and_b32_e32 v0, v0, v3
	v_and_b32_e32 v18, v18, v2
	v_lshlrev_b32_e32 v3, 28, v55
	v_mov_b32_e32 v2, v1
	v_cmp_gt_i64_e32 vcc, 0, v[2:3]
	v_not_b32_e32 v2, v3
	v_ashrrev_i32_e32 v2, 31, v2
	;; [unrolled: 9-line block ×5, first 2 shown]
	v_xor_b32_e32 v3, vcc_hi, v2
	v_xor_b32_e32 v2, vcc_lo, v2
	v_and_b32_e32 v0, v0, v3
	v_lshlrev_b32_e32 v3, 24, v55
	v_and_b32_e32 v18, v18, v2
	v_mov_b32_e32 v2, v1
	v_not_b32_e32 v1, v3
	v_cmp_gt_i64_e32 vcc, 0, v[2:3]
	v_ashrrev_i32_e32 v1, 31, v1
	ds_read_b32 v52, v53 offset:64
	v_xor_b32_e32 v2, vcc_hi, v1
	v_xor_b32_e32 v3, vcc_lo, v1
	v_and_b32_e32 v1, v0, v2
	v_and_b32_e32 v0, v18, v3
	v_mbcnt_lo_u32_b32 v2, v0, 0
	v_mbcnt_hi_u32_b32 v55, v1, v2
	v_cmp_eq_u32_e32 vcc, 0, v55
	v_cmp_ne_u64_e64 s[0:1], 0, v[0:1]
	v_add_u32_e32 v54, 64, v5
	s_and_b64 s[2:3], s[0:1], vcc
	; wave barrier
	s_and_saveexec_b64 s[0:1], s[2:3]
	s_cbranch_execz .LBB1970_125
; %bb.124:
	v_bcnt_u32_b32 v0, v0, 0
	v_bcnt_u32_b32 v0, v1, v0
	s_waitcnt lgkmcnt(0)
	v_add_u32_e32 v0, v52, v0
	ds_write_b32 v53, v0 offset:64
.LBB1970_125:
	s_or_b64 exec, exec, s[0:1]
	; wave barrier
	s_waitcnt lgkmcnt(0)
	s_barrier
	ds_read2_b32 v[2:3], v5 offset0:16 offset1:17
	ds_read2_b32 v[0:1], v54 offset0:2 offset1:3
	ds_read_b32 v18, v54 offset:16
	v_cmp_lt_u32_e64 s[2:3], 31, v4
	s_waitcnt lgkmcnt(1)
	v_add3_u32 v56, v3, v2, v0
	s_waitcnt lgkmcnt(0)
	v_add3_u32 v18, v56, v1, v18
	v_and_b32_e32 v56, 15, v4
	v_cmp_eq_u32_e32 vcc, 0, v56
	v_mov_b32_dpp v57, v18 row_shr:1 row_mask:0xf bank_mask:0xf
	v_cmp_lt_u32_e64 s[0:1], 1, v56
	v_cndmask_b32_e64 v57, v57, 0, vcc
	v_add_u32_e32 v18, v57, v18
	v_cmp_lt_u32_e64 s[4:5], 3, v56
	v_cmp_lt_u32_e64 s[6:7], 7, v56
	v_mov_b32_dpp v57, v18 row_shr:2 row_mask:0xf bank_mask:0xf
	v_cndmask_b32_e64 v57, 0, v57, s[0:1]
	v_add_u32_e32 v18, v18, v57
	s_nop 1
	v_mov_b32_dpp v57, v18 row_shr:4 row_mask:0xf bank_mask:0xf
	v_cndmask_b32_e64 v57, 0, v57, s[4:5]
	v_add_u32_e32 v18, v18, v57
	s_nop 1
	v_mov_b32_dpp v57, v18 row_shr:8 row_mask:0xf bank_mask:0xf
	v_cndmask_b32_e64 v56, 0, v57, s[6:7]
	v_add_u32_e32 v18, v18, v56
	v_bfe_i32 v57, v4, 4, 1
	s_nop 0
	v_mov_b32_dpp v56, v18 row_bcast:15 row_mask:0xf bank_mask:0xf
	v_and_b32_e32 v56, v57, v56
	v_add_u32_e32 v18, v18, v56
	v_lshrrev_b32_e32 v57, 6, v10
	s_nop 0
	v_mov_b32_dpp v56, v18 row_bcast:31 row_mask:0xf bank_mask:0xf
	v_cndmask_b32_e64 v56, 0, v56, s[2:3]
	v_add_u32_e32 v56, v18, v56
	v_and_b32_e32 v18, 63, v10
	v_cmp_eq_u32_e64 s[2:3], 63, v18
	s_and_saveexec_b64 s[12:13], s[2:3]
	s_cbranch_execz .LBB1970_127
; %bb.126:
	v_lshlrev_b32_e32 v18, 2, v57
	ds_write_b32 v18, v56
.LBB1970_127:
	s_or_b64 exec, exec, s[12:13]
	v_cmp_gt_u32_e64 s[2:3], 16, v10
	v_lshlrev_b32_e32 v18, 2, v10
	s_waitcnt lgkmcnt(0)
	s_barrier
	s_and_saveexec_b64 s[12:13], s[2:3]
	s_cbranch_execz .LBB1970_129
; %bb.128:
	ds_read_b32 v58, v18
	s_waitcnt lgkmcnt(0)
	s_nop 0
	v_mov_b32_dpp v59, v58 row_shr:1 row_mask:0xf bank_mask:0xf
	v_cndmask_b32_e64 v59, v59, 0, vcc
	v_add_u32_e32 v58, v59, v58
	s_nop 1
	v_mov_b32_dpp v59, v58 row_shr:2 row_mask:0xf bank_mask:0xf
	v_cndmask_b32_e64 v59, 0, v59, s[0:1]
	v_add_u32_e32 v58, v58, v59
	s_nop 1
	v_mov_b32_dpp v59, v58 row_shr:4 row_mask:0xf bank_mask:0xf
	v_cndmask_b32_e64 v59, 0, v59, s[4:5]
	;; [unrolled: 4-line block ×3, first 2 shown]
	v_add_u32_e32 v58, v58, v59
	ds_write_b32 v18, v58
.LBB1970_129:
	s_or_b64 exec, exec, s[12:13]
	v_cmp_lt_u32_e32 vcc, 63, v10
	v_mov_b32_e32 v58, 0
	s_waitcnt lgkmcnt(0)
	s_barrier
	s_and_saveexec_b64 s[0:1], vcc
	s_cbranch_execz .LBB1970_131
; %bb.130:
	v_lshl_add_u32 v57, v57, 2, -4
	ds_read_b32 v58, v57
.LBB1970_131:
	s_or_b64 exec, exec, s[0:1]
	v_add_u32_e32 v57, -1, v4
	v_and_b32_e32 v59, 64, v4
	v_cmp_lt_i32_e32 vcc, v57, v59
	s_waitcnt lgkmcnt(0)
	v_add_u32_e32 v56, v58, v56
	s_movk_i32 s2, 0xff
	v_cndmask_b32_e32 v57, v57, v4, vcc
	v_lshlrev_b32_e32 v57, 2, v57
	ds_bpermute_b32 v56, v57, v56
	v_cmp_eq_u32_e32 vcc, 0, v4
	s_movk_i32 s3, 0x100
	v_cmp_lt_u32_e64 s[0:1], s2, v10
	s_waitcnt lgkmcnt(0)
	v_cndmask_b32_e32 v4, v56, v58, vcc
	v_cndmask_b32_e64 v4, v4, 0, s[10:11]
	v_add_u32_e32 v2, v4, v2
	v_add_u32_e32 v3, v2, v3
	;; [unrolled: 1-line block ×4, first 2 shown]
	ds_write2_b32 v5, v4, v2 offset0:16 offset1:17
	ds_write2_b32 v54, v3, v0 offset0:2 offset1:3
	ds_write_b32 v54, v1 offset:16
	s_waitcnt lgkmcnt(0)
	s_barrier
	ds_read_b32 v58, v8 offset:64
	ds_read_b32 v57, v12 offset:64
	;; [unrolled: 1-line block ×12, first 2 shown]
	v_cmp_gt_u32_e32 vcc, s3, v10
                                        ; implicit-def: $vgpr8
                                        ; implicit-def: $vgpr12
	s_and_saveexec_b64 s[4:5], vcc
	s_cbranch_execz .LBB1970_135
; %bb.132:
	v_mul_u32_u24_e32 v8, 17, v10
	v_lshlrev_b32_e32 v27, 2, v8
	ds_read_b32 v8, v27 offset:64
	v_cmp_ne_u32_e64 s[2:3], s2, v10
	v_mov_b32_e32 v12, 0x3000
	s_and_saveexec_b64 s[6:7], s[2:3]
	s_cbranch_execz .LBB1970_134
; %bb.133:
	ds_read_b32 v12, v27 offset:132
.LBB1970_134:
	s_or_b64 exec, exec, s[6:7]
	s_waitcnt lgkmcnt(0)
	v_sub_u32_e32 v12, v12, v8
.LBB1970_135:
	s_or_b64 exec, exec, s[4:5]
	v_add_u32_e32 v11, v13, v11
	s_waitcnt lgkmcnt(11)
	v_add_lshl_u32 v7, v58, v7, 1
	v_add_u32_e32 v15, v19, v15
	s_waitcnt lgkmcnt(0)
	s_barrier
	ds_write_b16 v7, v6 offset:1024
	v_add_lshl_u32 v6, v11, v57, 1
	v_add_u32_e32 v21, v24, v21
	ds_write_b16 v6, v9 offset:1024
	v_add_lshl_u32 v6, v15, v56, 1
	v_add_u32_e32 v26, v30, v26
	;; [unrolled: 3-line block ×3, first 2 shown]
	v_add_u32_e32 v32, v51, v49
	v_add_u32_e32 v37, v48, v46
	;; [unrolled: 1-line block ×6, first 2 shown]
	ds_write_b16 v6, v20 offset:1024
	v_add_lshl_u32 v6, v26, v22, 1
	ds_write_b16 v6, v25 offset:1024
	v_add_lshl_u32 v6, v31, v16, 1
	v_add_lshl_u32 v5, v36, v5, 1
	;; [unrolled: 1-line block ×7, first 2 shown]
	ds_write_b16 v6, v29 offset:1024
	ds_write_b16 v5, v34 offset:1024
	;; [unrolled: 1-line block ×7, first 2 shown]
	s_and_saveexec_b64 s[2:3], s[0:1]
	s_xor_b64 s[0:1], exec, s[2:3]
; %bb.136:
	v_mov_b32_e32 v11, 0
                                        ; implicit-def: $vgpr18
; %bb.137:
	s_andn2_saveexec_b64 s[2:3], s[0:1]
	s_cbranch_execz .LBB1970_147
; %bb.138:
	v_lshl_or_b32 v2, s27, 8, v10
	v_mov_b32_e32 v3, 0
	v_lshl_add_u64 v[0:1], v[2:3], 2, s[18:19]
	v_or_b32_e32 v2, 2.0, v12
	s_mov_b64 s[4:5], 0
	s_brev_b32 s12, 1
	s_mov_b32 s13, s27
	v_mov_b32_e32 v6, 0
	global_store_dword v[0:1], v2, off sc1
                                        ; implicit-def: $sgpr0_sgpr1
	s_branch .LBB1970_141
.LBB1970_139:                           ;   in Loop: Header=BB1970_141 Depth=1
	s_or_b64 exec, exec, s[10:11]
.LBB1970_140:                           ;   in Loop: Header=BB1970_141 Depth=1
	s_or_b64 exec, exec, s[6:7]
	v_and_b32_e32 v4, 0x3fffffff, v7
	v_add_u32_e32 v6, v4, v6
	v_cmp_eq_u32_e64 s[0:1], s12, v2
	s_and_b64 s[6:7], exec, s[0:1]
	s_or_b64 s[4:5], s[6:7], s[4:5]
	s_andn2_b64 exec, exec, s[4:5]
	s_cbranch_execz .LBB1970_146
.LBB1970_141:                           ; =>This Loop Header: Depth=1
                                        ;     Child Loop BB1970_144 Depth 2
	s_or_b64 s[0:1], s[0:1], exec
	s_cmp_eq_u32 s13, 0
	s_cbranch_scc1 .LBB1970_145
; %bb.142:                              ;   in Loop: Header=BB1970_141 Depth=1
	s_add_i32 s13, s13, -1
	v_lshl_or_b32 v2, s13, 8, v10
	v_lshl_add_u64 v[4:5], v[2:3], 2, s[18:19]
	global_load_dword v7, v[4:5], off sc1
	s_waitcnt vmcnt(0)
	v_and_b32_e32 v2, -2.0, v7
	v_cmp_eq_u32_e64 s[0:1], 0, v2
	s_and_saveexec_b64 s[6:7], s[0:1]
	s_cbranch_execz .LBB1970_140
; %bb.143:                              ;   in Loop: Header=BB1970_141 Depth=1
	s_mov_b64 s[10:11], 0
.LBB1970_144:                           ;   Parent Loop BB1970_141 Depth=1
                                        ; =>  This Inner Loop Header: Depth=2
	global_load_dword v7, v[4:5], off sc1
	s_waitcnt vmcnt(0)
	v_and_b32_e32 v2, -2.0, v7
	v_cmp_ne_u32_e64 s[0:1], 0, v2
	s_or_b64 s[10:11], s[0:1], s[10:11]
	s_andn2_b64 exec, exec, s[10:11]
	s_cbranch_execnz .LBB1970_144
	s_branch .LBB1970_139
.LBB1970_145:                           ;   in Loop: Header=BB1970_141 Depth=1
                                        ; implicit-def: $sgpr13
	s_and_b64 s[6:7], exec, s[0:1]
	s_or_b64 s[4:5], s[6:7], s[4:5]
	s_andn2_b64 exec, exec, s[4:5]
	s_cbranch_execnz .LBB1970_141
.LBB1970_146:
	s_or_b64 exec, exec, s[4:5]
	v_add_u32_e32 v2, v6, v12
	v_or_b32_e32 v2, 0x80000000, v2
	global_store_dword v[0:1], v2, off sc1
	global_load_dword v0, v18, s[20:21]
	v_sub_u32_e32 v1, v6, v8
	v_mov_b32_e32 v11, 0
	s_waitcnt vmcnt(0)
	v_add_u32_e32 v0, v1, v0
	ds_write_b32 v18, v0
.LBB1970_147:
	s_or_b64 exec, exec, s[2:3]
	v_lshlrev_b32_e32 v0, 1, v10
	s_waitcnt lgkmcnt(0)
	s_barrier
	v_lshlrev_b32_e32 v1, 1, v10
	ds_read_u16 v0, v0 offset:1024
	ds_read_u16 v4, v1 offset:3072
	;; [unrolled: 1-line block ×7, first 2 shown]
	s_waitcnt lgkmcnt(6)
	v_lshrrev_b32_sdwa v2, s24, v0 dst_sel:DWORD dst_unused:UNUSED_PAD src0_sel:DWORD src1_sel:WORD_0
	v_and_b32_e32 v2, s15, v2
	s_waitcnt lgkmcnt(4)
	v_lshrrev_b32_sdwa v3, s24, v5 dst_sel:DWORD dst_unused:UNUSED_PAD src0_sel:DWORD src1_sel:WORD_0
	v_xor_b32_e32 v14, 0xffff8000, v0
	v_lshlrev_b32_e32 v0, 2, v2
	v_lshrrev_b32_sdwa v2, s24, v4 dst_sel:DWORD dst_unused:UNUSED_PAD src0_sel:DWORD src1_sel:WORD_0
	v_and_b32_e32 v3, s15, v3
	v_and_b32_e32 v2, s15, v2
	v_lshlrev_b32_e32 v3, 2, v3
	v_lshlrev_b32_e32 v2, 2, v2
	ds_read_b32 v15, v3
	ds_read_b32 v0, v0
	ds_read_u16 v16, v1 offset:5120
	ds_read_u16 v17, v1 offset:9216
	;; [unrolled: 1-line block ×4, first 2 shown]
	ds_read_b32 v20, v2
	ds_read_u16 v21, v1 offset:21504
	s_waitcnt lgkmcnt(6)
	v_add_u32_e32 v0, v0, v10
	v_mov_b32_e32 v1, 0
	s_movk_i32 s0, 0x400
	v_lshl_add_u64 v[2:3], v[0:1], 1, s[30:31]
	s_waitcnt lgkmcnt(1)
	v_add3_u32 v0, v20, v10, s0
	global_store_short v[2:3], v14, off
	v_xor_b32_e32 v4, 0xffff8000, v4
	v_lshl_add_u64 v[2:3], v[0:1], 1, s[30:31]
	global_store_short v[2:3], v4, off
	v_lshrrev_b32_sdwa v0, s24, v16 dst_sel:DWORD dst_unused:UNUSED_PAD src0_sel:DWORD src1_sel:WORD_0
	v_xor_b32_e32 v4, 0xffff8000, v16
	v_lshrrev_b32_sdwa v14, s24, v18 dst_sel:DWORD dst_unused:UNUSED_PAD src0_sel:DWORD src1_sel:WORD_0
	v_lshrrev_b32_sdwa v16, s24, v7 dst_sel:DWORD dst_unused:UNUSED_PAD src0_sel:DWORD src1_sel:WORD_0
	;; [unrolled: 1-line block ×4, first 2 shown]
	s_waitcnt lgkmcnt(0)
	v_lshrrev_b32_sdwa v23, s24, v21 dst_sel:DWORD dst_unused:UNUSED_PAD src0_sel:DWORD src1_sel:WORD_0
	v_and_b32_e32 v0, s15, v0
	v_lshrrev_b32_sdwa v2, s24, v17 dst_sel:DWORD dst_unused:UNUSED_PAD src0_sel:DWORD src1_sel:WORD_0
	v_lshrrev_b32_sdwa v3, s24, v6 dst_sel:DWORD dst_unused:UNUSED_PAD src0_sel:DWORD src1_sel:WORD_0
	v_and_b32_e32 v14, s15, v14
	v_and_b32_e32 v16, s15, v16
	;; [unrolled: 1-line block ×5, first 2 shown]
	v_lshlrev_b32_e32 v0, 2, v0
	v_and_b32_e32 v2, s15, v2
	v_and_b32_e32 v3, s15, v3
	v_lshlrev_b32_e32 v14, 2, v14
	v_lshlrev_b32_e32 v16, 2, v16
	v_lshlrev_b32_e32 v20, 2, v20
	v_lshlrev_b32_e32 v22, 2, v22
	v_lshlrev_b32_e32 v23, 2, v23
	s_movk_i32 s0, 0x800
	v_lshlrev_b32_e32 v2, 2, v2
	v_lshlrev_b32_e32 v3, 2, v3
	ds_read_b32 v0, v0
	ds_read_b32 v24, v2
	;; [unrolled: 1-line block ×8, first 2 shown]
	s_waitcnt lgkmcnt(7)
	v_add3_u32 v0, v0, v10, s0
	s_movk_i32 s0, 0xc00
	v_lshl_add_u64 v[2:3], v[0:1], 1, s[30:31]
	v_add3_u32 v0, v15, v10, s0
	s_movk_i32 s0, 0x1000
	global_store_short v[2:3], v4, off
	v_xor_b32_e32 v4, 0xffff8000, v5
	v_lshl_add_u64 v[2:3], v[0:1], 1, s[30:31]
	s_waitcnt lgkmcnt(6)
	v_add3_u32 v0, v24, v10, s0
	s_movk_i32 s0, 0x1400
	global_store_short v[2:3], v4, off
	v_xor_b32_e32 v4, 0xffff8000, v17
	v_lshl_add_u64 v[2:3], v[0:1], 1, s[30:31]
	s_waitcnt lgkmcnt(5)
	;; [unrolled: 6-line block ×6, first 2 shown]
	v_add3_u32 v0, v22, v10, s0
	global_store_short v[2:3], v4, off
	v_xor_b32_e32 v4, 0xffff8000, v9
	v_lshl_add_u64 v[2:3], v[0:1], 1, s[30:31]
	global_store_short v[2:3], v4, off
	v_lshrrev_b32_sdwa v2, s24, v13 dst_sel:DWORD dst_unused:UNUSED_PAD src0_sel:DWORD src1_sel:WORD_0
	v_and_b32_e32 v2, s15, v2
	v_lshlrev_b32_e32 v2, 2, v2
	ds_read_b32 v5, v2
	s_movk_i32 s0, 0x2800
	s_add_i32 s14, s14, -1
	s_waitcnt lgkmcnt(1)
	v_add3_u32 v0, v23, v10, s0
	s_movk_i32 s0, 0x2c00
	s_cmp_eq_u32 s14, s27
	v_xor_b32_e32 v4, 0xffff8000, v21
	v_lshl_add_u64 v[2:3], v[0:1], 1, s[30:31]
	s_waitcnt lgkmcnt(0)
	v_add3_u32 v0, v5, v10, s0
	s_cselect_b64 s[0:1], -1, 0
	global_store_short v[2:3], v4, off
	v_xor_b32_e32 v2, 0xffff8000, v13
	v_lshl_add_u64 v[0:1], v[0:1], 1, s[30:31]
	s_and_b64 s[2:3], vcc, s[0:1]
	global_store_short v[0:1], v2, off
                                        ; implicit-def: $vgpr2
	s_and_saveexec_b64 s[0:1], s[2:3]
; %bb.148:
	v_add_u32_e32 v2, v8, v12
	s_or_b64 s[8:9], s[8:9], exec
; %bb.149:
	s_or_b64 exec, exec, s[0:1]
.LBB1970_150:
	s_and_saveexec_b64 s[0:1], s[8:9]
	s_cbranch_execnz .LBB1970_152
; %bb.151:
	s_endpgm
.LBB1970_152:
	v_lshlrev_b32_e32 v0, 2, v10
	ds_read_b32 v3, v0
	v_mov_b32_e32 v0, s22
	v_mov_b32_e32 v1, s23
	v_lshl_add_u64 v[0:1], v[10:11], 2, v[0:1]
	s_waitcnt lgkmcnt(0)
	v_add_u32_e32 v2, v3, v2
	global_store_dword v[0:1], v2, off
	s_endpgm
	.section	.rodata,"a",@progbits
	.p2align	6, 0x0
	.amdhsa_kernel _ZN7rocprim17ROCPRIM_400000_NS6detail17trampoline_kernelINS0_14default_configENS1_35radix_sort_onesweep_config_selectorIsNS0_10empty_typeEEEZZNS1_29radix_sort_onesweep_iterationIS3_Lb0EN6thrust23THRUST_200600_302600_NS6detail15normal_iteratorINS9_10device_ptrIsEEEESE_PS5_SF_jNS0_19identity_decomposerENS1_16block_id_wrapperIjLb1EEEEE10hipError_tT1_PNSt15iterator_traitsISK_E10value_typeET2_T3_PNSL_ISQ_E10value_typeET4_T5_PSV_SW_PNS1_23onesweep_lookback_stateEbbT6_jjT7_P12ihipStream_tbENKUlT_T0_SK_SP_E_clIPsSE_SF_SF_EEDaS13_S14_SK_SP_EUlS13_E_NS1_11comp_targetILNS1_3genE5ELNS1_11target_archE942ELNS1_3gpuE9ELNS1_3repE0EEENS1_47radix_sort_onesweep_sort_config_static_selectorELNS0_4arch9wavefront6targetE1EEEvSK_
		.amdhsa_group_segment_fixed_size 25608
		.amdhsa_private_segment_fixed_size 0
		.amdhsa_kernarg_size 344
		.amdhsa_user_sgpr_count 2
		.amdhsa_user_sgpr_dispatch_ptr 0
		.amdhsa_user_sgpr_queue_ptr 0
		.amdhsa_user_sgpr_kernarg_segment_ptr 1
		.amdhsa_user_sgpr_dispatch_id 0
		.amdhsa_user_sgpr_kernarg_preload_length 0
		.amdhsa_user_sgpr_kernarg_preload_offset 0
		.amdhsa_user_sgpr_private_segment_size 0
		.amdhsa_uses_dynamic_stack 0
		.amdhsa_enable_private_segment 0
		.amdhsa_system_sgpr_workgroup_id_x 1
		.amdhsa_system_sgpr_workgroup_id_y 0
		.amdhsa_system_sgpr_workgroup_id_z 0
		.amdhsa_system_sgpr_workgroup_info 0
		.amdhsa_system_vgpr_workitem_id 2
		.amdhsa_next_free_vgpr 62
		.amdhsa_next_free_sgpr 36
		.amdhsa_accum_offset 64
		.amdhsa_reserve_vcc 1
		.amdhsa_float_round_mode_32 0
		.amdhsa_float_round_mode_16_64 0
		.amdhsa_float_denorm_mode_32 3
		.amdhsa_float_denorm_mode_16_64 3
		.amdhsa_dx10_clamp 1
		.amdhsa_ieee_mode 1
		.amdhsa_fp16_overflow 0
		.amdhsa_tg_split 0
		.amdhsa_exception_fp_ieee_invalid_op 0
		.amdhsa_exception_fp_denorm_src 0
		.amdhsa_exception_fp_ieee_div_zero 0
		.amdhsa_exception_fp_ieee_overflow 0
		.amdhsa_exception_fp_ieee_underflow 0
		.amdhsa_exception_fp_ieee_inexact 0
		.amdhsa_exception_int_div_zero 0
	.end_amdhsa_kernel
	.section	.text._ZN7rocprim17ROCPRIM_400000_NS6detail17trampoline_kernelINS0_14default_configENS1_35radix_sort_onesweep_config_selectorIsNS0_10empty_typeEEEZZNS1_29radix_sort_onesweep_iterationIS3_Lb0EN6thrust23THRUST_200600_302600_NS6detail15normal_iteratorINS9_10device_ptrIsEEEESE_PS5_SF_jNS0_19identity_decomposerENS1_16block_id_wrapperIjLb1EEEEE10hipError_tT1_PNSt15iterator_traitsISK_E10value_typeET2_T3_PNSL_ISQ_E10value_typeET4_T5_PSV_SW_PNS1_23onesweep_lookback_stateEbbT6_jjT7_P12ihipStream_tbENKUlT_T0_SK_SP_E_clIPsSE_SF_SF_EEDaS13_S14_SK_SP_EUlS13_E_NS1_11comp_targetILNS1_3genE5ELNS1_11target_archE942ELNS1_3gpuE9ELNS1_3repE0EEENS1_47radix_sort_onesweep_sort_config_static_selectorELNS0_4arch9wavefront6targetE1EEEvSK_,"axG",@progbits,_ZN7rocprim17ROCPRIM_400000_NS6detail17trampoline_kernelINS0_14default_configENS1_35radix_sort_onesweep_config_selectorIsNS0_10empty_typeEEEZZNS1_29radix_sort_onesweep_iterationIS3_Lb0EN6thrust23THRUST_200600_302600_NS6detail15normal_iteratorINS9_10device_ptrIsEEEESE_PS5_SF_jNS0_19identity_decomposerENS1_16block_id_wrapperIjLb1EEEEE10hipError_tT1_PNSt15iterator_traitsISK_E10value_typeET2_T3_PNSL_ISQ_E10value_typeET4_T5_PSV_SW_PNS1_23onesweep_lookback_stateEbbT6_jjT7_P12ihipStream_tbENKUlT_T0_SK_SP_E_clIPsSE_SF_SF_EEDaS13_S14_SK_SP_EUlS13_E_NS1_11comp_targetILNS1_3genE5ELNS1_11target_archE942ELNS1_3gpuE9ELNS1_3repE0EEENS1_47radix_sort_onesweep_sort_config_static_selectorELNS0_4arch9wavefront6targetE1EEEvSK_,comdat
.Lfunc_end1970:
	.size	_ZN7rocprim17ROCPRIM_400000_NS6detail17trampoline_kernelINS0_14default_configENS1_35radix_sort_onesweep_config_selectorIsNS0_10empty_typeEEEZZNS1_29radix_sort_onesweep_iterationIS3_Lb0EN6thrust23THRUST_200600_302600_NS6detail15normal_iteratorINS9_10device_ptrIsEEEESE_PS5_SF_jNS0_19identity_decomposerENS1_16block_id_wrapperIjLb1EEEEE10hipError_tT1_PNSt15iterator_traitsISK_E10value_typeET2_T3_PNSL_ISQ_E10value_typeET4_T5_PSV_SW_PNS1_23onesweep_lookback_stateEbbT6_jjT7_P12ihipStream_tbENKUlT_T0_SK_SP_E_clIPsSE_SF_SF_EEDaS13_S14_SK_SP_EUlS13_E_NS1_11comp_targetILNS1_3genE5ELNS1_11target_archE942ELNS1_3gpuE9ELNS1_3repE0EEENS1_47radix_sort_onesweep_sort_config_static_selectorELNS0_4arch9wavefront6targetE1EEEvSK_, .Lfunc_end1970-_ZN7rocprim17ROCPRIM_400000_NS6detail17trampoline_kernelINS0_14default_configENS1_35radix_sort_onesweep_config_selectorIsNS0_10empty_typeEEEZZNS1_29radix_sort_onesweep_iterationIS3_Lb0EN6thrust23THRUST_200600_302600_NS6detail15normal_iteratorINS9_10device_ptrIsEEEESE_PS5_SF_jNS0_19identity_decomposerENS1_16block_id_wrapperIjLb1EEEEE10hipError_tT1_PNSt15iterator_traitsISK_E10value_typeET2_T3_PNSL_ISQ_E10value_typeET4_T5_PSV_SW_PNS1_23onesweep_lookback_stateEbbT6_jjT7_P12ihipStream_tbENKUlT_T0_SK_SP_E_clIPsSE_SF_SF_EEDaS13_S14_SK_SP_EUlS13_E_NS1_11comp_targetILNS1_3genE5ELNS1_11target_archE942ELNS1_3gpuE9ELNS1_3repE0EEENS1_47radix_sort_onesweep_sort_config_static_selectorELNS0_4arch9wavefront6targetE1EEEvSK_
                                        ; -- End function
	.section	.AMDGPU.csdata,"",@progbits
; Kernel info:
; codeLenInByte = 16164
; NumSgprs: 42
; NumVgprs: 62
; NumAgprs: 0
; TotalNumVgprs: 62
; ScratchSize: 0
; MemoryBound: 0
; FloatMode: 240
; IeeeMode: 1
; LDSByteSize: 25608 bytes/workgroup (compile time only)
; SGPRBlocks: 5
; VGPRBlocks: 7
; NumSGPRsForWavesPerEU: 42
; NumVGPRsForWavesPerEU: 62
; AccumOffset: 64
; Occupancy: 8
; WaveLimiterHint : 1
; COMPUTE_PGM_RSRC2:SCRATCH_EN: 0
; COMPUTE_PGM_RSRC2:USER_SGPR: 2
; COMPUTE_PGM_RSRC2:TRAP_HANDLER: 0
; COMPUTE_PGM_RSRC2:TGID_X_EN: 1
; COMPUTE_PGM_RSRC2:TGID_Y_EN: 0
; COMPUTE_PGM_RSRC2:TGID_Z_EN: 0
; COMPUTE_PGM_RSRC2:TIDIG_COMP_CNT: 2
; COMPUTE_PGM_RSRC3_GFX90A:ACCUM_OFFSET: 15
; COMPUTE_PGM_RSRC3_GFX90A:TG_SPLIT: 0
	.section	.text._ZN7rocprim17ROCPRIM_400000_NS6detail17trampoline_kernelINS0_14default_configENS1_35radix_sort_onesweep_config_selectorIsNS0_10empty_typeEEEZZNS1_29radix_sort_onesweep_iterationIS3_Lb0EN6thrust23THRUST_200600_302600_NS6detail15normal_iteratorINS9_10device_ptrIsEEEESE_PS5_SF_jNS0_19identity_decomposerENS1_16block_id_wrapperIjLb1EEEEE10hipError_tT1_PNSt15iterator_traitsISK_E10value_typeET2_T3_PNSL_ISQ_E10value_typeET4_T5_PSV_SW_PNS1_23onesweep_lookback_stateEbbT6_jjT7_P12ihipStream_tbENKUlT_T0_SK_SP_E_clIPsSE_SF_SF_EEDaS13_S14_SK_SP_EUlS13_E_NS1_11comp_targetILNS1_3genE2ELNS1_11target_archE906ELNS1_3gpuE6ELNS1_3repE0EEENS1_47radix_sort_onesweep_sort_config_static_selectorELNS0_4arch9wavefront6targetE1EEEvSK_,"axG",@progbits,_ZN7rocprim17ROCPRIM_400000_NS6detail17trampoline_kernelINS0_14default_configENS1_35radix_sort_onesweep_config_selectorIsNS0_10empty_typeEEEZZNS1_29radix_sort_onesweep_iterationIS3_Lb0EN6thrust23THRUST_200600_302600_NS6detail15normal_iteratorINS9_10device_ptrIsEEEESE_PS5_SF_jNS0_19identity_decomposerENS1_16block_id_wrapperIjLb1EEEEE10hipError_tT1_PNSt15iterator_traitsISK_E10value_typeET2_T3_PNSL_ISQ_E10value_typeET4_T5_PSV_SW_PNS1_23onesweep_lookback_stateEbbT6_jjT7_P12ihipStream_tbENKUlT_T0_SK_SP_E_clIPsSE_SF_SF_EEDaS13_S14_SK_SP_EUlS13_E_NS1_11comp_targetILNS1_3genE2ELNS1_11target_archE906ELNS1_3gpuE6ELNS1_3repE0EEENS1_47radix_sort_onesweep_sort_config_static_selectorELNS0_4arch9wavefront6targetE1EEEvSK_,comdat
	.protected	_ZN7rocprim17ROCPRIM_400000_NS6detail17trampoline_kernelINS0_14default_configENS1_35radix_sort_onesweep_config_selectorIsNS0_10empty_typeEEEZZNS1_29radix_sort_onesweep_iterationIS3_Lb0EN6thrust23THRUST_200600_302600_NS6detail15normal_iteratorINS9_10device_ptrIsEEEESE_PS5_SF_jNS0_19identity_decomposerENS1_16block_id_wrapperIjLb1EEEEE10hipError_tT1_PNSt15iterator_traitsISK_E10value_typeET2_T3_PNSL_ISQ_E10value_typeET4_T5_PSV_SW_PNS1_23onesweep_lookback_stateEbbT6_jjT7_P12ihipStream_tbENKUlT_T0_SK_SP_E_clIPsSE_SF_SF_EEDaS13_S14_SK_SP_EUlS13_E_NS1_11comp_targetILNS1_3genE2ELNS1_11target_archE906ELNS1_3gpuE6ELNS1_3repE0EEENS1_47radix_sort_onesweep_sort_config_static_selectorELNS0_4arch9wavefront6targetE1EEEvSK_ ; -- Begin function _ZN7rocprim17ROCPRIM_400000_NS6detail17trampoline_kernelINS0_14default_configENS1_35radix_sort_onesweep_config_selectorIsNS0_10empty_typeEEEZZNS1_29radix_sort_onesweep_iterationIS3_Lb0EN6thrust23THRUST_200600_302600_NS6detail15normal_iteratorINS9_10device_ptrIsEEEESE_PS5_SF_jNS0_19identity_decomposerENS1_16block_id_wrapperIjLb1EEEEE10hipError_tT1_PNSt15iterator_traitsISK_E10value_typeET2_T3_PNSL_ISQ_E10value_typeET4_T5_PSV_SW_PNS1_23onesweep_lookback_stateEbbT6_jjT7_P12ihipStream_tbENKUlT_T0_SK_SP_E_clIPsSE_SF_SF_EEDaS13_S14_SK_SP_EUlS13_E_NS1_11comp_targetILNS1_3genE2ELNS1_11target_archE906ELNS1_3gpuE6ELNS1_3repE0EEENS1_47radix_sort_onesweep_sort_config_static_selectorELNS0_4arch9wavefront6targetE1EEEvSK_
	.globl	_ZN7rocprim17ROCPRIM_400000_NS6detail17trampoline_kernelINS0_14default_configENS1_35radix_sort_onesweep_config_selectorIsNS0_10empty_typeEEEZZNS1_29radix_sort_onesweep_iterationIS3_Lb0EN6thrust23THRUST_200600_302600_NS6detail15normal_iteratorINS9_10device_ptrIsEEEESE_PS5_SF_jNS0_19identity_decomposerENS1_16block_id_wrapperIjLb1EEEEE10hipError_tT1_PNSt15iterator_traitsISK_E10value_typeET2_T3_PNSL_ISQ_E10value_typeET4_T5_PSV_SW_PNS1_23onesweep_lookback_stateEbbT6_jjT7_P12ihipStream_tbENKUlT_T0_SK_SP_E_clIPsSE_SF_SF_EEDaS13_S14_SK_SP_EUlS13_E_NS1_11comp_targetILNS1_3genE2ELNS1_11target_archE906ELNS1_3gpuE6ELNS1_3repE0EEENS1_47radix_sort_onesweep_sort_config_static_selectorELNS0_4arch9wavefront6targetE1EEEvSK_
	.p2align	8
	.type	_ZN7rocprim17ROCPRIM_400000_NS6detail17trampoline_kernelINS0_14default_configENS1_35radix_sort_onesweep_config_selectorIsNS0_10empty_typeEEEZZNS1_29radix_sort_onesweep_iterationIS3_Lb0EN6thrust23THRUST_200600_302600_NS6detail15normal_iteratorINS9_10device_ptrIsEEEESE_PS5_SF_jNS0_19identity_decomposerENS1_16block_id_wrapperIjLb1EEEEE10hipError_tT1_PNSt15iterator_traitsISK_E10value_typeET2_T3_PNSL_ISQ_E10value_typeET4_T5_PSV_SW_PNS1_23onesweep_lookback_stateEbbT6_jjT7_P12ihipStream_tbENKUlT_T0_SK_SP_E_clIPsSE_SF_SF_EEDaS13_S14_SK_SP_EUlS13_E_NS1_11comp_targetILNS1_3genE2ELNS1_11target_archE906ELNS1_3gpuE6ELNS1_3repE0EEENS1_47radix_sort_onesweep_sort_config_static_selectorELNS0_4arch9wavefront6targetE1EEEvSK_,@function
_ZN7rocprim17ROCPRIM_400000_NS6detail17trampoline_kernelINS0_14default_configENS1_35radix_sort_onesweep_config_selectorIsNS0_10empty_typeEEEZZNS1_29radix_sort_onesweep_iterationIS3_Lb0EN6thrust23THRUST_200600_302600_NS6detail15normal_iteratorINS9_10device_ptrIsEEEESE_PS5_SF_jNS0_19identity_decomposerENS1_16block_id_wrapperIjLb1EEEEE10hipError_tT1_PNSt15iterator_traitsISK_E10value_typeET2_T3_PNSL_ISQ_E10value_typeET4_T5_PSV_SW_PNS1_23onesweep_lookback_stateEbbT6_jjT7_P12ihipStream_tbENKUlT_T0_SK_SP_E_clIPsSE_SF_SF_EEDaS13_S14_SK_SP_EUlS13_E_NS1_11comp_targetILNS1_3genE2ELNS1_11target_archE906ELNS1_3gpuE6ELNS1_3repE0EEENS1_47radix_sort_onesweep_sort_config_static_selectorELNS0_4arch9wavefront6targetE1EEEvSK_: ; @_ZN7rocprim17ROCPRIM_400000_NS6detail17trampoline_kernelINS0_14default_configENS1_35radix_sort_onesweep_config_selectorIsNS0_10empty_typeEEEZZNS1_29radix_sort_onesweep_iterationIS3_Lb0EN6thrust23THRUST_200600_302600_NS6detail15normal_iteratorINS9_10device_ptrIsEEEESE_PS5_SF_jNS0_19identity_decomposerENS1_16block_id_wrapperIjLb1EEEEE10hipError_tT1_PNSt15iterator_traitsISK_E10value_typeET2_T3_PNSL_ISQ_E10value_typeET4_T5_PSV_SW_PNS1_23onesweep_lookback_stateEbbT6_jjT7_P12ihipStream_tbENKUlT_T0_SK_SP_E_clIPsSE_SF_SF_EEDaS13_S14_SK_SP_EUlS13_E_NS1_11comp_targetILNS1_3genE2ELNS1_11target_archE906ELNS1_3gpuE6ELNS1_3repE0EEENS1_47radix_sort_onesweep_sort_config_static_selectorELNS0_4arch9wavefront6targetE1EEEvSK_
; %bb.0:
	.section	.rodata,"a",@progbits
	.p2align	6, 0x0
	.amdhsa_kernel _ZN7rocprim17ROCPRIM_400000_NS6detail17trampoline_kernelINS0_14default_configENS1_35radix_sort_onesweep_config_selectorIsNS0_10empty_typeEEEZZNS1_29radix_sort_onesweep_iterationIS3_Lb0EN6thrust23THRUST_200600_302600_NS6detail15normal_iteratorINS9_10device_ptrIsEEEESE_PS5_SF_jNS0_19identity_decomposerENS1_16block_id_wrapperIjLb1EEEEE10hipError_tT1_PNSt15iterator_traitsISK_E10value_typeET2_T3_PNSL_ISQ_E10value_typeET4_T5_PSV_SW_PNS1_23onesweep_lookback_stateEbbT6_jjT7_P12ihipStream_tbENKUlT_T0_SK_SP_E_clIPsSE_SF_SF_EEDaS13_S14_SK_SP_EUlS13_E_NS1_11comp_targetILNS1_3genE2ELNS1_11target_archE906ELNS1_3gpuE6ELNS1_3repE0EEENS1_47radix_sort_onesweep_sort_config_static_selectorELNS0_4arch9wavefront6targetE1EEEvSK_
		.amdhsa_group_segment_fixed_size 0
		.amdhsa_private_segment_fixed_size 0
		.amdhsa_kernarg_size 88
		.amdhsa_user_sgpr_count 2
		.amdhsa_user_sgpr_dispatch_ptr 0
		.amdhsa_user_sgpr_queue_ptr 0
		.amdhsa_user_sgpr_kernarg_segment_ptr 1
		.amdhsa_user_sgpr_dispatch_id 0
		.amdhsa_user_sgpr_kernarg_preload_length 0
		.amdhsa_user_sgpr_kernarg_preload_offset 0
		.amdhsa_user_sgpr_private_segment_size 0
		.amdhsa_uses_dynamic_stack 0
		.amdhsa_enable_private_segment 0
		.amdhsa_system_sgpr_workgroup_id_x 1
		.amdhsa_system_sgpr_workgroup_id_y 0
		.amdhsa_system_sgpr_workgroup_id_z 0
		.amdhsa_system_sgpr_workgroup_info 0
		.amdhsa_system_vgpr_workitem_id 0
		.amdhsa_next_free_vgpr 1
		.amdhsa_next_free_sgpr 0
		.amdhsa_accum_offset 4
		.amdhsa_reserve_vcc 0
		.amdhsa_float_round_mode_32 0
		.amdhsa_float_round_mode_16_64 0
		.amdhsa_float_denorm_mode_32 3
		.amdhsa_float_denorm_mode_16_64 3
		.amdhsa_dx10_clamp 1
		.amdhsa_ieee_mode 1
		.amdhsa_fp16_overflow 0
		.amdhsa_tg_split 0
		.amdhsa_exception_fp_ieee_invalid_op 0
		.amdhsa_exception_fp_denorm_src 0
		.amdhsa_exception_fp_ieee_div_zero 0
		.amdhsa_exception_fp_ieee_overflow 0
		.amdhsa_exception_fp_ieee_underflow 0
		.amdhsa_exception_fp_ieee_inexact 0
		.amdhsa_exception_int_div_zero 0
	.end_amdhsa_kernel
	.section	.text._ZN7rocprim17ROCPRIM_400000_NS6detail17trampoline_kernelINS0_14default_configENS1_35radix_sort_onesweep_config_selectorIsNS0_10empty_typeEEEZZNS1_29radix_sort_onesweep_iterationIS3_Lb0EN6thrust23THRUST_200600_302600_NS6detail15normal_iteratorINS9_10device_ptrIsEEEESE_PS5_SF_jNS0_19identity_decomposerENS1_16block_id_wrapperIjLb1EEEEE10hipError_tT1_PNSt15iterator_traitsISK_E10value_typeET2_T3_PNSL_ISQ_E10value_typeET4_T5_PSV_SW_PNS1_23onesweep_lookback_stateEbbT6_jjT7_P12ihipStream_tbENKUlT_T0_SK_SP_E_clIPsSE_SF_SF_EEDaS13_S14_SK_SP_EUlS13_E_NS1_11comp_targetILNS1_3genE2ELNS1_11target_archE906ELNS1_3gpuE6ELNS1_3repE0EEENS1_47radix_sort_onesweep_sort_config_static_selectorELNS0_4arch9wavefront6targetE1EEEvSK_,"axG",@progbits,_ZN7rocprim17ROCPRIM_400000_NS6detail17trampoline_kernelINS0_14default_configENS1_35radix_sort_onesweep_config_selectorIsNS0_10empty_typeEEEZZNS1_29radix_sort_onesweep_iterationIS3_Lb0EN6thrust23THRUST_200600_302600_NS6detail15normal_iteratorINS9_10device_ptrIsEEEESE_PS5_SF_jNS0_19identity_decomposerENS1_16block_id_wrapperIjLb1EEEEE10hipError_tT1_PNSt15iterator_traitsISK_E10value_typeET2_T3_PNSL_ISQ_E10value_typeET4_T5_PSV_SW_PNS1_23onesweep_lookback_stateEbbT6_jjT7_P12ihipStream_tbENKUlT_T0_SK_SP_E_clIPsSE_SF_SF_EEDaS13_S14_SK_SP_EUlS13_E_NS1_11comp_targetILNS1_3genE2ELNS1_11target_archE906ELNS1_3gpuE6ELNS1_3repE0EEENS1_47radix_sort_onesweep_sort_config_static_selectorELNS0_4arch9wavefront6targetE1EEEvSK_,comdat
.Lfunc_end1971:
	.size	_ZN7rocprim17ROCPRIM_400000_NS6detail17trampoline_kernelINS0_14default_configENS1_35radix_sort_onesweep_config_selectorIsNS0_10empty_typeEEEZZNS1_29radix_sort_onesweep_iterationIS3_Lb0EN6thrust23THRUST_200600_302600_NS6detail15normal_iteratorINS9_10device_ptrIsEEEESE_PS5_SF_jNS0_19identity_decomposerENS1_16block_id_wrapperIjLb1EEEEE10hipError_tT1_PNSt15iterator_traitsISK_E10value_typeET2_T3_PNSL_ISQ_E10value_typeET4_T5_PSV_SW_PNS1_23onesweep_lookback_stateEbbT6_jjT7_P12ihipStream_tbENKUlT_T0_SK_SP_E_clIPsSE_SF_SF_EEDaS13_S14_SK_SP_EUlS13_E_NS1_11comp_targetILNS1_3genE2ELNS1_11target_archE906ELNS1_3gpuE6ELNS1_3repE0EEENS1_47radix_sort_onesweep_sort_config_static_selectorELNS0_4arch9wavefront6targetE1EEEvSK_, .Lfunc_end1971-_ZN7rocprim17ROCPRIM_400000_NS6detail17trampoline_kernelINS0_14default_configENS1_35radix_sort_onesweep_config_selectorIsNS0_10empty_typeEEEZZNS1_29radix_sort_onesweep_iterationIS3_Lb0EN6thrust23THRUST_200600_302600_NS6detail15normal_iteratorINS9_10device_ptrIsEEEESE_PS5_SF_jNS0_19identity_decomposerENS1_16block_id_wrapperIjLb1EEEEE10hipError_tT1_PNSt15iterator_traitsISK_E10value_typeET2_T3_PNSL_ISQ_E10value_typeET4_T5_PSV_SW_PNS1_23onesweep_lookback_stateEbbT6_jjT7_P12ihipStream_tbENKUlT_T0_SK_SP_E_clIPsSE_SF_SF_EEDaS13_S14_SK_SP_EUlS13_E_NS1_11comp_targetILNS1_3genE2ELNS1_11target_archE906ELNS1_3gpuE6ELNS1_3repE0EEENS1_47radix_sort_onesweep_sort_config_static_selectorELNS0_4arch9wavefront6targetE1EEEvSK_
                                        ; -- End function
	.section	.AMDGPU.csdata,"",@progbits
; Kernel info:
; codeLenInByte = 0
; NumSgprs: 6
; NumVgprs: 0
; NumAgprs: 0
; TotalNumVgprs: 0
; ScratchSize: 0
; MemoryBound: 0
; FloatMode: 240
; IeeeMode: 1
; LDSByteSize: 0 bytes/workgroup (compile time only)
; SGPRBlocks: 0
; VGPRBlocks: 0
; NumSGPRsForWavesPerEU: 6
; NumVGPRsForWavesPerEU: 1
; AccumOffset: 4
; Occupancy: 8
; WaveLimiterHint : 0
; COMPUTE_PGM_RSRC2:SCRATCH_EN: 0
; COMPUTE_PGM_RSRC2:USER_SGPR: 2
; COMPUTE_PGM_RSRC2:TRAP_HANDLER: 0
; COMPUTE_PGM_RSRC2:TGID_X_EN: 1
; COMPUTE_PGM_RSRC2:TGID_Y_EN: 0
; COMPUTE_PGM_RSRC2:TGID_Z_EN: 0
; COMPUTE_PGM_RSRC2:TIDIG_COMP_CNT: 0
; COMPUTE_PGM_RSRC3_GFX90A:ACCUM_OFFSET: 0
; COMPUTE_PGM_RSRC3_GFX90A:TG_SPLIT: 0
	.section	.text._ZN7rocprim17ROCPRIM_400000_NS6detail17trampoline_kernelINS0_14default_configENS1_35radix_sort_onesweep_config_selectorIsNS0_10empty_typeEEEZZNS1_29radix_sort_onesweep_iterationIS3_Lb0EN6thrust23THRUST_200600_302600_NS6detail15normal_iteratorINS9_10device_ptrIsEEEESE_PS5_SF_jNS0_19identity_decomposerENS1_16block_id_wrapperIjLb1EEEEE10hipError_tT1_PNSt15iterator_traitsISK_E10value_typeET2_T3_PNSL_ISQ_E10value_typeET4_T5_PSV_SW_PNS1_23onesweep_lookback_stateEbbT6_jjT7_P12ihipStream_tbENKUlT_T0_SK_SP_E_clIPsSE_SF_SF_EEDaS13_S14_SK_SP_EUlS13_E_NS1_11comp_targetILNS1_3genE4ELNS1_11target_archE910ELNS1_3gpuE8ELNS1_3repE0EEENS1_47radix_sort_onesweep_sort_config_static_selectorELNS0_4arch9wavefront6targetE1EEEvSK_,"axG",@progbits,_ZN7rocprim17ROCPRIM_400000_NS6detail17trampoline_kernelINS0_14default_configENS1_35radix_sort_onesweep_config_selectorIsNS0_10empty_typeEEEZZNS1_29radix_sort_onesweep_iterationIS3_Lb0EN6thrust23THRUST_200600_302600_NS6detail15normal_iteratorINS9_10device_ptrIsEEEESE_PS5_SF_jNS0_19identity_decomposerENS1_16block_id_wrapperIjLb1EEEEE10hipError_tT1_PNSt15iterator_traitsISK_E10value_typeET2_T3_PNSL_ISQ_E10value_typeET4_T5_PSV_SW_PNS1_23onesweep_lookback_stateEbbT6_jjT7_P12ihipStream_tbENKUlT_T0_SK_SP_E_clIPsSE_SF_SF_EEDaS13_S14_SK_SP_EUlS13_E_NS1_11comp_targetILNS1_3genE4ELNS1_11target_archE910ELNS1_3gpuE8ELNS1_3repE0EEENS1_47radix_sort_onesweep_sort_config_static_selectorELNS0_4arch9wavefront6targetE1EEEvSK_,comdat
	.protected	_ZN7rocprim17ROCPRIM_400000_NS6detail17trampoline_kernelINS0_14default_configENS1_35radix_sort_onesweep_config_selectorIsNS0_10empty_typeEEEZZNS1_29radix_sort_onesweep_iterationIS3_Lb0EN6thrust23THRUST_200600_302600_NS6detail15normal_iteratorINS9_10device_ptrIsEEEESE_PS5_SF_jNS0_19identity_decomposerENS1_16block_id_wrapperIjLb1EEEEE10hipError_tT1_PNSt15iterator_traitsISK_E10value_typeET2_T3_PNSL_ISQ_E10value_typeET4_T5_PSV_SW_PNS1_23onesweep_lookback_stateEbbT6_jjT7_P12ihipStream_tbENKUlT_T0_SK_SP_E_clIPsSE_SF_SF_EEDaS13_S14_SK_SP_EUlS13_E_NS1_11comp_targetILNS1_3genE4ELNS1_11target_archE910ELNS1_3gpuE8ELNS1_3repE0EEENS1_47radix_sort_onesweep_sort_config_static_selectorELNS0_4arch9wavefront6targetE1EEEvSK_ ; -- Begin function _ZN7rocprim17ROCPRIM_400000_NS6detail17trampoline_kernelINS0_14default_configENS1_35radix_sort_onesweep_config_selectorIsNS0_10empty_typeEEEZZNS1_29radix_sort_onesweep_iterationIS3_Lb0EN6thrust23THRUST_200600_302600_NS6detail15normal_iteratorINS9_10device_ptrIsEEEESE_PS5_SF_jNS0_19identity_decomposerENS1_16block_id_wrapperIjLb1EEEEE10hipError_tT1_PNSt15iterator_traitsISK_E10value_typeET2_T3_PNSL_ISQ_E10value_typeET4_T5_PSV_SW_PNS1_23onesweep_lookback_stateEbbT6_jjT7_P12ihipStream_tbENKUlT_T0_SK_SP_E_clIPsSE_SF_SF_EEDaS13_S14_SK_SP_EUlS13_E_NS1_11comp_targetILNS1_3genE4ELNS1_11target_archE910ELNS1_3gpuE8ELNS1_3repE0EEENS1_47radix_sort_onesweep_sort_config_static_selectorELNS0_4arch9wavefront6targetE1EEEvSK_
	.globl	_ZN7rocprim17ROCPRIM_400000_NS6detail17trampoline_kernelINS0_14default_configENS1_35radix_sort_onesweep_config_selectorIsNS0_10empty_typeEEEZZNS1_29radix_sort_onesweep_iterationIS3_Lb0EN6thrust23THRUST_200600_302600_NS6detail15normal_iteratorINS9_10device_ptrIsEEEESE_PS5_SF_jNS0_19identity_decomposerENS1_16block_id_wrapperIjLb1EEEEE10hipError_tT1_PNSt15iterator_traitsISK_E10value_typeET2_T3_PNSL_ISQ_E10value_typeET4_T5_PSV_SW_PNS1_23onesweep_lookback_stateEbbT6_jjT7_P12ihipStream_tbENKUlT_T0_SK_SP_E_clIPsSE_SF_SF_EEDaS13_S14_SK_SP_EUlS13_E_NS1_11comp_targetILNS1_3genE4ELNS1_11target_archE910ELNS1_3gpuE8ELNS1_3repE0EEENS1_47radix_sort_onesweep_sort_config_static_selectorELNS0_4arch9wavefront6targetE1EEEvSK_
	.p2align	8
	.type	_ZN7rocprim17ROCPRIM_400000_NS6detail17trampoline_kernelINS0_14default_configENS1_35radix_sort_onesweep_config_selectorIsNS0_10empty_typeEEEZZNS1_29radix_sort_onesweep_iterationIS3_Lb0EN6thrust23THRUST_200600_302600_NS6detail15normal_iteratorINS9_10device_ptrIsEEEESE_PS5_SF_jNS0_19identity_decomposerENS1_16block_id_wrapperIjLb1EEEEE10hipError_tT1_PNSt15iterator_traitsISK_E10value_typeET2_T3_PNSL_ISQ_E10value_typeET4_T5_PSV_SW_PNS1_23onesweep_lookback_stateEbbT6_jjT7_P12ihipStream_tbENKUlT_T0_SK_SP_E_clIPsSE_SF_SF_EEDaS13_S14_SK_SP_EUlS13_E_NS1_11comp_targetILNS1_3genE4ELNS1_11target_archE910ELNS1_3gpuE8ELNS1_3repE0EEENS1_47radix_sort_onesweep_sort_config_static_selectorELNS0_4arch9wavefront6targetE1EEEvSK_,@function
_ZN7rocprim17ROCPRIM_400000_NS6detail17trampoline_kernelINS0_14default_configENS1_35radix_sort_onesweep_config_selectorIsNS0_10empty_typeEEEZZNS1_29radix_sort_onesweep_iterationIS3_Lb0EN6thrust23THRUST_200600_302600_NS6detail15normal_iteratorINS9_10device_ptrIsEEEESE_PS5_SF_jNS0_19identity_decomposerENS1_16block_id_wrapperIjLb1EEEEE10hipError_tT1_PNSt15iterator_traitsISK_E10value_typeET2_T3_PNSL_ISQ_E10value_typeET4_T5_PSV_SW_PNS1_23onesweep_lookback_stateEbbT6_jjT7_P12ihipStream_tbENKUlT_T0_SK_SP_E_clIPsSE_SF_SF_EEDaS13_S14_SK_SP_EUlS13_E_NS1_11comp_targetILNS1_3genE4ELNS1_11target_archE910ELNS1_3gpuE8ELNS1_3repE0EEENS1_47radix_sort_onesweep_sort_config_static_selectorELNS0_4arch9wavefront6targetE1EEEvSK_: ; @_ZN7rocprim17ROCPRIM_400000_NS6detail17trampoline_kernelINS0_14default_configENS1_35radix_sort_onesweep_config_selectorIsNS0_10empty_typeEEEZZNS1_29radix_sort_onesweep_iterationIS3_Lb0EN6thrust23THRUST_200600_302600_NS6detail15normal_iteratorINS9_10device_ptrIsEEEESE_PS5_SF_jNS0_19identity_decomposerENS1_16block_id_wrapperIjLb1EEEEE10hipError_tT1_PNSt15iterator_traitsISK_E10value_typeET2_T3_PNSL_ISQ_E10value_typeET4_T5_PSV_SW_PNS1_23onesweep_lookback_stateEbbT6_jjT7_P12ihipStream_tbENKUlT_T0_SK_SP_E_clIPsSE_SF_SF_EEDaS13_S14_SK_SP_EUlS13_E_NS1_11comp_targetILNS1_3genE4ELNS1_11target_archE910ELNS1_3gpuE8ELNS1_3repE0EEENS1_47radix_sort_onesweep_sort_config_static_selectorELNS0_4arch9wavefront6targetE1EEEvSK_
; %bb.0:
	.section	.rodata,"a",@progbits
	.p2align	6, 0x0
	.amdhsa_kernel _ZN7rocprim17ROCPRIM_400000_NS6detail17trampoline_kernelINS0_14default_configENS1_35radix_sort_onesweep_config_selectorIsNS0_10empty_typeEEEZZNS1_29radix_sort_onesweep_iterationIS3_Lb0EN6thrust23THRUST_200600_302600_NS6detail15normal_iteratorINS9_10device_ptrIsEEEESE_PS5_SF_jNS0_19identity_decomposerENS1_16block_id_wrapperIjLb1EEEEE10hipError_tT1_PNSt15iterator_traitsISK_E10value_typeET2_T3_PNSL_ISQ_E10value_typeET4_T5_PSV_SW_PNS1_23onesweep_lookback_stateEbbT6_jjT7_P12ihipStream_tbENKUlT_T0_SK_SP_E_clIPsSE_SF_SF_EEDaS13_S14_SK_SP_EUlS13_E_NS1_11comp_targetILNS1_3genE4ELNS1_11target_archE910ELNS1_3gpuE8ELNS1_3repE0EEENS1_47radix_sort_onesweep_sort_config_static_selectorELNS0_4arch9wavefront6targetE1EEEvSK_
		.amdhsa_group_segment_fixed_size 0
		.amdhsa_private_segment_fixed_size 0
		.amdhsa_kernarg_size 88
		.amdhsa_user_sgpr_count 2
		.amdhsa_user_sgpr_dispatch_ptr 0
		.amdhsa_user_sgpr_queue_ptr 0
		.amdhsa_user_sgpr_kernarg_segment_ptr 1
		.amdhsa_user_sgpr_dispatch_id 0
		.amdhsa_user_sgpr_kernarg_preload_length 0
		.amdhsa_user_sgpr_kernarg_preload_offset 0
		.amdhsa_user_sgpr_private_segment_size 0
		.amdhsa_uses_dynamic_stack 0
		.amdhsa_enable_private_segment 0
		.amdhsa_system_sgpr_workgroup_id_x 1
		.amdhsa_system_sgpr_workgroup_id_y 0
		.amdhsa_system_sgpr_workgroup_id_z 0
		.amdhsa_system_sgpr_workgroup_info 0
		.amdhsa_system_vgpr_workitem_id 0
		.amdhsa_next_free_vgpr 1
		.amdhsa_next_free_sgpr 0
		.amdhsa_accum_offset 4
		.amdhsa_reserve_vcc 0
		.amdhsa_float_round_mode_32 0
		.amdhsa_float_round_mode_16_64 0
		.amdhsa_float_denorm_mode_32 3
		.amdhsa_float_denorm_mode_16_64 3
		.amdhsa_dx10_clamp 1
		.amdhsa_ieee_mode 1
		.amdhsa_fp16_overflow 0
		.amdhsa_tg_split 0
		.amdhsa_exception_fp_ieee_invalid_op 0
		.amdhsa_exception_fp_denorm_src 0
		.amdhsa_exception_fp_ieee_div_zero 0
		.amdhsa_exception_fp_ieee_overflow 0
		.amdhsa_exception_fp_ieee_underflow 0
		.amdhsa_exception_fp_ieee_inexact 0
		.amdhsa_exception_int_div_zero 0
	.end_amdhsa_kernel
	.section	.text._ZN7rocprim17ROCPRIM_400000_NS6detail17trampoline_kernelINS0_14default_configENS1_35radix_sort_onesweep_config_selectorIsNS0_10empty_typeEEEZZNS1_29radix_sort_onesweep_iterationIS3_Lb0EN6thrust23THRUST_200600_302600_NS6detail15normal_iteratorINS9_10device_ptrIsEEEESE_PS5_SF_jNS0_19identity_decomposerENS1_16block_id_wrapperIjLb1EEEEE10hipError_tT1_PNSt15iterator_traitsISK_E10value_typeET2_T3_PNSL_ISQ_E10value_typeET4_T5_PSV_SW_PNS1_23onesweep_lookback_stateEbbT6_jjT7_P12ihipStream_tbENKUlT_T0_SK_SP_E_clIPsSE_SF_SF_EEDaS13_S14_SK_SP_EUlS13_E_NS1_11comp_targetILNS1_3genE4ELNS1_11target_archE910ELNS1_3gpuE8ELNS1_3repE0EEENS1_47radix_sort_onesweep_sort_config_static_selectorELNS0_4arch9wavefront6targetE1EEEvSK_,"axG",@progbits,_ZN7rocprim17ROCPRIM_400000_NS6detail17trampoline_kernelINS0_14default_configENS1_35radix_sort_onesweep_config_selectorIsNS0_10empty_typeEEEZZNS1_29radix_sort_onesweep_iterationIS3_Lb0EN6thrust23THRUST_200600_302600_NS6detail15normal_iteratorINS9_10device_ptrIsEEEESE_PS5_SF_jNS0_19identity_decomposerENS1_16block_id_wrapperIjLb1EEEEE10hipError_tT1_PNSt15iterator_traitsISK_E10value_typeET2_T3_PNSL_ISQ_E10value_typeET4_T5_PSV_SW_PNS1_23onesweep_lookback_stateEbbT6_jjT7_P12ihipStream_tbENKUlT_T0_SK_SP_E_clIPsSE_SF_SF_EEDaS13_S14_SK_SP_EUlS13_E_NS1_11comp_targetILNS1_3genE4ELNS1_11target_archE910ELNS1_3gpuE8ELNS1_3repE0EEENS1_47radix_sort_onesweep_sort_config_static_selectorELNS0_4arch9wavefront6targetE1EEEvSK_,comdat
.Lfunc_end1972:
	.size	_ZN7rocprim17ROCPRIM_400000_NS6detail17trampoline_kernelINS0_14default_configENS1_35radix_sort_onesweep_config_selectorIsNS0_10empty_typeEEEZZNS1_29radix_sort_onesweep_iterationIS3_Lb0EN6thrust23THRUST_200600_302600_NS6detail15normal_iteratorINS9_10device_ptrIsEEEESE_PS5_SF_jNS0_19identity_decomposerENS1_16block_id_wrapperIjLb1EEEEE10hipError_tT1_PNSt15iterator_traitsISK_E10value_typeET2_T3_PNSL_ISQ_E10value_typeET4_T5_PSV_SW_PNS1_23onesweep_lookback_stateEbbT6_jjT7_P12ihipStream_tbENKUlT_T0_SK_SP_E_clIPsSE_SF_SF_EEDaS13_S14_SK_SP_EUlS13_E_NS1_11comp_targetILNS1_3genE4ELNS1_11target_archE910ELNS1_3gpuE8ELNS1_3repE0EEENS1_47radix_sort_onesweep_sort_config_static_selectorELNS0_4arch9wavefront6targetE1EEEvSK_, .Lfunc_end1972-_ZN7rocprim17ROCPRIM_400000_NS6detail17trampoline_kernelINS0_14default_configENS1_35radix_sort_onesweep_config_selectorIsNS0_10empty_typeEEEZZNS1_29radix_sort_onesweep_iterationIS3_Lb0EN6thrust23THRUST_200600_302600_NS6detail15normal_iteratorINS9_10device_ptrIsEEEESE_PS5_SF_jNS0_19identity_decomposerENS1_16block_id_wrapperIjLb1EEEEE10hipError_tT1_PNSt15iterator_traitsISK_E10value_typeET2_T3_PNSL_ISQ_E10value_typeET4_T5_PSV_SW_PNS1_23onesweep_lookback_stateEbbT6_jjT7_P12ihipStream_tbENKUlT_T0_SK_SP_E_clIPsSE_SF_SF_EEDaS13_S14_SK_SP_EUlS13_E_NS1_11comp_targetILNS1_3genE4ELNS1_11target_archE910ELNS1_3gpuE8ELNS1_3repE0EEENS1_47radix_sort_onesweep_sort_config_static_selectorELNS0_4arch9wavefront6targetE1EEEvSK_
                                        ; -- End function
	.section	.AMDGPU.csdata,"",@progbits
; Kernel info:
; codeLenInByte = 0
; NumSgprs: 6
; NumVgprs: 0
; NumAgprs: 0
; TotalNumVgprs: 0
; ScratchSize: 0
; MemoryBound: 0
; FloatMode: 240
; IeeeMode: 1
; LDSByteSize: 0 bytes/workgroup (compile time only)
; SGPRBlocks: 0
; VGPRBlocks: 0
; NumSGPRsForWavesPerEU: 6
; NumVGPRsForWavesPerEU: 1
; AccumOffset: 4
; Occupancy: 8
; WaveLimiterHint : 0
; COMPUTE_PGM_RSRC2:SCRATCH_EN: 0
; COMPUTE_PGM_RSRC2:USER_SGPR: 2
; COMPUTE_PGM_RSRC2:TRAP_HANDLER: 0
; COMPUTE_PGM_RSRC2:TGID_X_EN: 1
; COMPUTE_PGM_RSRC2:TGID_Y_EN: 0
; COMPUTE_PGM_RSRC2:TGID_Z_EN: 0
; COMPUTE_PGM_RSRC2:TIDIG_COMP_CNT: 0
; COMPUTE_PGM_RSRC3_GFX90A:ACCUM_OFFSET: 0
; COMPUTE_PGM_RSRC3_GFX90A:TG_SPLIT: 0
	.section	.text._ZN7rocprim17ROCPRIM_400000_NS6detail17trampoline_kernelINS0_14default_configENS1_35radix_sort_onesweep_config_selectorIsNS0_10empty_typeEEEZZNS1_29radix_sort_onesweep_iterationIS3_Lb0EN6thrust23THRUST_200600_302600_NS6detail15normal_iteratorINS9_10device_ptrIsEEEESE_PS5_SF_jNS0_19identity_decomposerENS1_16block_id_wrapperIjLb1EEEEE10hipError_tT1_PNSt15iterator_traitsISK_E10value_typeET2_T3_PNSL_ISQ_E10value_typeET4_T5_PSV_SW_PNS1_23onesweep_lookback_stateEbbT6_jjT7_P12ihipStream_tbENKUlT_T0_SK_SP_E_clIPsSE_SF_SF_EEDaS13_S14_SK_SP_EUlS13_E_NS1_11comp_targetILNS1_3genE3ELNS1_11target_archE908ELNS1_3gpuE7ELNS1_3repE0EEENS1_47radix_sort_onesweep_sort_config_static_selectorELNS0_4arch9wavefront6targetE1EEEvSK_,"axG",@progbits,_ZN7rocprim17ROCPRIM_400000_NS6detail17trampoline_kernelINS0_14default_configENS1_35radix_sort_onesweep_config_selectorIsNS0_10empty_typeEEEZZNS1_29radix_sort_onesweep_iterationIS3_Lb0EN6thrust23THRUST_200600_302600_NS6detail15normal_iteratorINS9_10device_ptrIsEEEESE_PS5_SF_jNS0_19identity_decomposerENS1_16block_id_wrapperIjLb1EEEEE10hipError_tT1_PNSt15iterator_traitsISK_E10value_typeET2_T3_PNSL_ISQ_E10value_typeET4_T5_PSV_SW_PNS1_23onesweep_lookback_stateEbbT6_jjT7_P12ihipStream_tbENKUlT_T0_SK_SP_E_clIPsSE_SF_SF_EEDaS13_S14_SK_SP_EUlS13_E_NS1_11comp_targetILNS1_3genE3ELNS1_11target_archE908ELNS1_3gpuE7ELNS1_3repE0EEENS1_47radix_sort_onesweep_sort_config_static_selectorELNS0_4arch9wavefront6targetE1EEEvSK_,comdat
	.protected	_ZN7rocprim17ROCPRIM_400000_NS6detail17trampoline_kernelINS0_14default_configENS1_35radix_sort_onesweep_config_selectorIsNS0_10empty_typeEEEZZNS1_29radix_sort_onesweep_iterationIS3_Lb0EN6thrust23THRUST_200600_302600_NS6detail15normal_iteratorINS9_10device_ptrIsEEEESE_PS5_SF_jNS0_19identity_decomposerENS1_16block_id_wrapperIjLb1EEEEE10hipError_tT1_PNSt15iterator_traitsISK_E10value_typeET2_T3_PNSL_ISQ_E10value_typeET4_T5_PSV_SW_PNS1_23onesweep_lookback_stateEbbT6_jjT7_P12ihipStream_tbENKUlT_T0_SK_SP_E_clIPsSE_SF_SF_EEDaS13_S14_SK_SP_EUlS13_E_NS1_11comp_targetILNS1_3genE3ELNS1_11target_archE908ELNS1_3gpuE7ELNS1_3repE0EEENS1_47radix_sort_onesweep_sort_config_static_selectorELNS0_4arch9wavefront6targetE1EEEvSK_ ; -- Begin function _ZN7rocprim17ROCPRIM_400000_NS6detail17trampoline_kernelINS0_14default_configENS1_35radix_sort_onesweep_config_selectorIsNS0_10empty_typeEEEZZNS1_29radix_sort_onesweep_iterationIS3_Lb0EN6thrust23THRUST_200600_302600_NS6detail15normal_iteratorINS9_10device_ptrIsEEEESE_PS5_SF_jNS0_19identity_decomposerENS1_16block_id_wrapperIjLb1EEEEE10hipError_tT1_PNSt15iterator_traitsISK_E10value_typeET2_T3_PNSL_ISQ_E10value_typeET4_T5_PSV_SW_PNS1_23onesweep_lookback_stateEbbT6_jjT7_P12ihipStream_tbENKUlT_T0_SK_SP_E_clIPsSE_SF_SF_EEDaS13_S14_SK_SP_EUlS13_E_NS1_11comp_targetILNS1_3genE3ELNS1_11target_archE908ELNS1_3gpuE7ELNS1_3repE0EEENS1_47radix_sort_onesweep_sort_config_static_selectorELNS0_4arch9wavefront6targetE1EEEvSK_
	.globl	_ZN7rocprim17ROCPRIM_400000_NS6detail17trampoline_kernelINS0_14default_configENS1_35radix_sort_onesweep_config_selectorIsNS0_10empty_typeEEEZZNS1_29radix_sort_onesweep_iterationIS3_Lb0EN6thrust23THRUST_200600_302600_NS6detail15normal_iteratorINS9_10device_ptrIsEEEESE_PS5_SF_jNS0_19identity_decomposerENS1_16block_id_wrapperIjLb1EEEEE10hipError_tT1_PNSt15iterator_traitsISK_E10value_typeET2_T3_PNSL_ISQ_E10value_typeET4_T5_PSV_SW_PNS1_23onesweep_lookback_stateEbbT6_jjT7_P12ihipStream_tbENKUlT_T0_SK_SP_E_clIPsSE_SF_SF_EEDaS13_S14_SK_SP_EUlS13_E_NS1_11comp_targetILNS1_3genE3ELNS1_11target_archE908ELNS1_3gpuE7ELNS1_3repE0EEENS1_47radix_sort_onesweep_sort_config_static_selectorELNS0_4arch9wavefront6targetE1EEEvSK_
	.p2align	8
	.type	_ZN7rocprim17ROCPRIM_400000_NS6detail17trampoline_kernelINS0_14default_configENS1_35radix_sort_onesweep_config_selectorIsNS0_10empty_typeEEEZZNS1_29radix_sort_onesweep_iterationIS3_Lb0EN6thrust23THRUST_200600_302600_NS6detail15normal_iteratorINS9_10device_ptrIsEEEESE_PS5_SF_jNS0_19identity_decomposerENS1_16block_id_wrapperIjLb1EEEEE10hipError_tT1_PNSt15iterator_traitsISK_E10value_typeET2_T3_PNSL_ISQ_E10value_typeET4_T5_PSV_SW_PNS1_23onesweep_lookback_stateEbbT6_jjT7_P12ihipStream_tbENKUlT_T0_SK_SP_E_clIPsSE_SF_SF_EEDaS13_S14_SK_SP_EUlS13_E_NS1_11comp_targetILNS1_3genE3ELNS1_11target_archE908ELNS1_3gpuE7ELNS1_3repE0EEENS1_47radix_sort_onesweep_sort_config_static_selectorELNS0_4arch9wavefront6targetE1EEEvSK_,@function
_ZN7rocprim17ROCPRIM_400000_NS6detail17trampoline_kernelINS0_14default_configENS1_35radix_sort_onesweep_config_selectorIsNS0_10empty_typeEEEZZNS1_29radix_sort_onesweep_iterationIS3_Lb0EN6thrust23THRUST_200600_302600_NS6detail15normal_iteratorINS9_10device_ptrIsEEEESE_PS5_SF_jNS0_19identity_decomposerENS1_16block_id_wrapperIjLb1EEEEE10hipError_tT1_PNSt15iterator_traitsISK_E10value_typeET2_T3_PNSL_ISQ_E10value_typeET4_T5_PSV_SW_PNS1_23onesweep_lookback_stateEbbT6_jjT7_P12ihipStream_tbENKUlT_T0_SK_SP_E_clIPsSE_SF_SF_EEDaS13_S14_SK_SP_EUlS13_E_NS1_11comp_targetILNS1_3genE3ELNS1_11target_archE908ELNS1_3gpuE7ELNS1_3repE0EEENS1_47radix_sort_onesweep_sort_config_static_selectorELNS0_4arch9wavefront6targetE1EEEvSK_: ; @_ZN7rocprim17ROCPRIM_400000_NS6detail17trampoline_kernelINS0_14default_configENS1_35radix_sort_onesweep_config_selectorIsNS0_10empty_typeEEEZZNS1_29radix_sort_onesweep_iterationIS3_Lb0EN6thrust23THRUST_200600_302600_NS6detail15normal_iteratorINS9_10device_ptrIsEEEESE_PS5_SF_jNS0_19identity_decomposerENS1_16block_id_wrapperIjLb1EEEEE10hipError_tT1_PNSt15iterator_traitsISK_E10value_typeET2_T3_PNSL_ISQ_E10value_typeET4_T5_PSV_SW_PNS1_23onesweep_lookback_stateEbbT6_jjT7_P12ihipStream_tbENKUlT_T0_SK_SP_E_clIPsSE_SF_SF_EEDaS13_S14_SK_SP_EUlS13_E_NS1_11comp_targetILNS1_3genE3ELNS1_11target_archE908ELNS1_3gpuE7ELNS1_3repE0EEENS1_47radix_sort_onesweep_sort_config_static_selectorELNS0_4arch9wavefront6targetE1EEEvSK_
; %bb.0:
	.section	.rodata,"a",@progbits
	.p2align	6, 0x0
	.amdhsa_kernel _ZN7rocprim17ROCPRIM_400000_NS6detail17trampoline_kernelINS0_14default_configENS1_35radix_sort_onesweep_config_selectorIsNS0_10empty_typeEEEZZNS1_29radix_sort_onesweep_iterationIS3_Lb0EN6thrust23THRUST_200600_302600_NS6detail15normal_iteratorINS9_10device_ptrIsEEEESE_PS5_SF_jNS0_19identity_decomposerENS1_16block_id_wrapperIjLb1EEEEE10hipError_tT1_PNSt15iterator_traitsISK_E10value_typeET2_T3_PNSL_ISQ_E10value_typeET4_T5_PSV_SW_PNS1_23onesweep_lookback_stateEbbT6_jjT7_P12ihipStream_tbENKUlT_T0_SK_SP_E_clIPsSE_SF_SF_EEDaS13_S14_SK_SP_EUlS13_E_NS1_11comp_targetILNS1_3genE3ELNS1_11target_archE908ELNS1_3gpuE7ELNS1_3repE0EEENS1_47radix_sort_onesweep_sort_config_static_selectorELNS0_4arch9wavefront6targetE1EEEvSK_
		.amdhsa_group_segment_fixed_size 0
		.amdhsa_private_segment_fixed_size 0
		.amdhsa_kernarg_size 88
		.amdhsa_user_sgpr_count 2
		.amdhsa_user_sgpr_dispatch_ptr 0
		.amdhsa_user_sgpr_queue_ptr 0
		.amdhsa_user_sgpr_kernarg_segment_ptr 1
		.amdhsa_user_sgpr_dispatch_id 0
		.amdhsa_user_sgpr_kernarg_preload_length 0
		.amdhsa_user_sgpr_kernarg_preload_offset 0
		.amdhsa_user_sgpr_private_segment_size 0
		.amdhsa_uses_dynamic_stack 0
		.amdhsa_enable_private_segment 0
		.amdhsa_system_sgpr_workgroup_id_x 1
		.amdhsa_system_sgpr_workgroup_id_y 0
		.amdhsa_system_sgpr_workgroup_id_z 0
		.amdhsa_system_sgpr_workgroup_info 0
		.amdhsa_system_vgpr_workitem_id 0
		.amdhsa_next_free_vgpr 1
		.amdhsa_next_free_sgpr 0
		.amdhsa_accum_offset 4
		.amdhsa_reserve_vcc 0
		.amdhsa_float_round_mode_32 0
		.amdhsa_float_round_mode_16_64 0
		.amdhsa_float_denorm_mode_32 3
		.amdhsa_float_denorm_mode_16_64 3
		.amdhsa_dx10_clamp 1
		.amdhsa_ieee_mode 1
		.amdhsa_fp16_overflow 0
		.amdhsa_tg_split 0
		.amdhsa_exception_fp_ieee_invalid_op 0
		.amdhsa_exception_fp_denorm_src 0
		.amdhsa_exception_fp_ieee_div_zero 0
		.amdhsa_exception_fp_ieee_overflow 0
		.amdhsa_exception_fp_ieee_underflow 0
		.amdhsa_exception_fp_ieee_inexact 0
		.amdhsa_exception_int_div_zero 0
	.end_amdhsa_kernel
	.section	.text._ZN7rocprim17ROCPRIM_400000_NS6detail17trampoline_kernelINS0_14default_configENS1_35radix_sort_onesweep_config_selectorIsNS0_10empty_typeEEEZZNS1_29radix_sort_onesweep_iterationIS3_Lb0EN6thrust23THRUST_200600_302600_NS6detail15normal_iteratorINS9_10device_ptrIsEEEESE_PS5_SF_jNS0_19identity_decomposerENS1_16block_id_wrapperIjLb1EEEEE10hipError_tT1_PNSt15iterator_traitsISK_E10value_typeET2_T3_PNSL_ISQ_E10value_typeET4_T5_PSV_SW_PNS1_23onesweep_lookback_stateEbbT6_jjT7_P12ihipStream_tbENKUlT_T0_SK_SP_E_clIPsSE_SF_SF_EEDaS13_S14_SK_SP_EUlS13_E_NS1_11comp_targetILNS1_3genE3ELNS1_11target_archE908ELNS1_3gpuE7ELNS1_3repE0EEENS1_47radix_sort_onesweep_sort_config_static_selectorELNS0_4arch9wavefront6targetE1EEEvSK_,"axG",@progbits,_ZN7rocprim17ROCPRIM_400000_NS6detail17trampoline_kernelINS0_14default_configENS1_35radix_sort_onesweep_config_selectorIsNS0_10empty_typeEEEZZNS1_29radix_sort_onesweep_iterationIS3_Lb0EN6thrust23THRUST_200600_302600_NS6detail15normal_iteratorINS9_10device_ptrIsEEEESE_PS5_SF_jNS0_19identity_decomposerENS1_16block_id_wrapperIjLb1EEEEE10hipError_tT1_PNSt15iterator_traitsISK_E10value_typeET2_T3_PNSL_ISQ_E10value_typeET4_T5_PSV_SW_PNS1_23onesweep_lookback_stateEbbT6_jjT7_P12ihipStream_tbENKUlT_T0_SK_SP_E_clIPsSE_SF_SF_EEDaS13_S14_SK_SP_EUlS13_E_NS1_11comp_targetILNS1_3genE3ELNS1_11target_archE908ELNS1_3gpuE7ELNS1_3repE0EEENS1_47radix_sort_onesweep_sort_config_static_selectorELNS0_4arch9wavefront6targetE1EEEvSK_,comdat
.Lfunc_end1973:
	.size	_ZN7rocprim17ROCPRIM_400000_NS6detail17trampoline_kernelINS0_14default_configENS1_35radix_sort_onesweep_config_selectorIsNS0_10empty_typeEEEZZNS1_29radix_sort_onesweep_iterationIS3_Lb0EN6thrust23THRUST_200600_302600_NS6detail15normal_iteratorINS9_10device_ptrIsEEEESE_PS5_SF_jNS0_19identity_decomposerENS1_16block_id_wrapperIjLb1EEEEE10hipError_tT1_PNSt15iterator_traitsISK_E10value_typeET2_T3_PNSL_ISQ_E10value_typeET4_T5_PSV_SW_PNS1_23onesweep_lookback_stateEbbT6_jjT7_P12ihipStream_tbENKUlT_T0_SK_SP_E_clIPsSE_SF_SF_EEDaS13_S14_SK_SP_EUlS13_E_NS1_11comp_targetILNS1_3genE3ELNS1_11target_archE908ELNS1_3gpuE7ELNS1_3repE0EEENS1_47radix_sort_onesweep_sort_config_static_selectorELNS0_4arch9wavefront6targetE1EEEvSK_, .Lfunc_end1973-_ZN7rocprim17ROCPRIM_400000_NS6detail17trampoline_kernelINS0_14default_configENS1_35radix_sort_onesweep_config_selectorIsNS0_10empty_typeEEEZZNS1_29radix_sort_onesweep_iterationIS3_Lb0EN6thrust23THRUST_200600_302600_NS6detail15normal_iteratorINS9_10device_ptrIsEEEESE_PS5_SF_jNS0_19identity_decomposerENS1_16block_id_wrapperIjLb1EEEEE10hipError_tT1_PNSt15iterator_traitsISK_E10value_typeET2_T3_PNSL_ISQ_E10value_typeET4_T5_PSV_SW_PNS1_23onesweep_lookback_stateEbbT6_jjT7_P12ihipStream_tbENKUlT_T0_SK_SP_E_clIPsSE_SF_SF_EEDaS13_S14_SK_SP_EUlS13_E_NS1_11comp_targetILNS1_3genE3ELNS1_11target_archE908ELNS1_3gpuE7ELNS1_3repE0EEENS1_47radix_sort_onesweep_sort_config_static_selectorELNS0_4arch9wavefront6targetE1EEEvSK_
                                        ; -- End function
	.section	.AMDGPU.csdata,"",@progbits
; Kernel info:
; codeLenInByte = 0
; NumSgprs: 6
; NumVgprs: 0
; NumAgprs: 0
; TotalNumVgprs: 0
; ScratchSize: 0
; MemoryBound: 0
; FloatMode: 240
; IeeeMode: 1
; LDSByteSize: 0 bytes/workgroup (compile time only)
; SGPRBlocks: 0
; VGPRBlocks: 0
; NumSGPRsForWavesPerEU: 6
; NumVGPRsForWavesPerEU: 1
; AccumOffset: 4
; Occupancy: 8
; WaveLimiterHint : 0
; COMPUTE_PGM_RSRC2:SCRATCH_EN: 0
; COMPUTE_PGM_RSRC2:USER_SGPR: 2
; COMPUTE_PGM_RSRC2:TRAP_HANDLER: 0
; COMPUTE_PGM_RSRC2:TGID_X_EN: 1
; COMPUTE_PGM_RSRC2:TGID_Y_EN: 0
; COMPUTE_PGM_RSRC2:TGID_Z_EN: 0
; COMPUTE_PGM_RSRC2:TIDIG_COMP_CNT: 0
; COMPUTE_PGM_RSRC3_GFX90A:ACCUM_OFFSET: 0
; COMPUTE_PGM_RSRC3_GFX90A:TG_SPLIT: 0
	.section	.text._ZN7rocprim17ROCPRIM_400000_NS6detail17trampoline_kernelINS0_14default_configENS1_35radix_sort_onesweep_config_selectorIsNS0_10empty_typeEEEZZNS1_29radix_sort_onesweep_iterationIS3_Lb0EN6thrust23THRUST_200600_302600_NS6detail15normal_iteratorINS9_10device_ptrIsEEEESE_PS5_SF_jNS0_19identity_decomposerENS1_16block_id_wrapperIjLb1EEEEE10hipError_tT1_PNSt15iterator_traitsISK_E10value_typeET2_T3_PNSL_ISQ_E10value_typeET4_T5_PSV_SW_PNS1_23onesweep_lookback_stateEbbT6_jjT7_P12ihipStream_tbENKUlT_T0_SK_SP_E_clIPsSE_SF_SF_EEDaS13_S14_SK_SP_EUlS13_E_NS1_11comp_targetILNS1_3genE10ELNS1_11target_archE1201ELNS1_3gpuE5ELNS1_3repE0EEENS1_47radix_sort_onesweep_sort_config_static_selectorELNS0_4arch9wavefront6targetE1EEEvSK_,"axG",@progbits,_ZN7rocprim17ROCPRIM_400000_NS6detail17trampoline_kernelINS0_14default_configENS1_35radix_sort_onesweep_config_selectorIsNS0_10empty_typeEEEZZNS1_29radix_sort_onesweep_iterationIS3_Lb0EN6thrust23THRUST_200600_302600_NS6detail15normal_iteratorINS9_10device_ptrIsEEEESE_PS5_SF_jNS0_19identity_decomposerENS1_16block_id_wrapperIjLb1EEEEE10hipError_tT1_PNSt15iterator_traitsISK_E10value_typeET2_T3_PNSL_ISQ_E10value_typeET4_T5_PSV_SW_PNS1_23onesweep_lookback_stateEbbT6_jjT7_P12ihipStream_tbENKUlT_T0_SK_SP_E_clIPsSE_SF_SF_EEDaS13_S14_SK_SP_EUlS13_E_NS1_11comp_targetILNS1_3genE10ELNS1_11target_archE1201ELNS1_3gpuE5ELNS1_3repE0EEENS1_47radix_sort_onesweep_sort_config_static_selectorELNS0_4arch9wavefront6targetE1EEEvSK_,comdat
	.protected	_ZN7rocprim17ROCPRIM_400000_NS6detail17trampoline_kernelINS0_14default_configENS1_35radix_sort_onesweep_config_selectorIsNS0_10empty_typeEEEZZNS1_29radix_sort_onesweep_iterationIS3_Lb0EN6thrust23THRUST_200600_302600_NS6detail15normal_iteratorINS9_10device_ptrIsEEEESE_PS5_SF_jNS0_19identity_decomposerENS1_16block_id_wrapperIjLb1EEEEE10hipError_tT1_PNSt15iterator_traitsISK_E10value_typeET2_T3_PNSL_ISQ_E10value_typeET4_T5_PSV_SW_PNS1_23onesweep_lookback_stateEbbT6_jjT7_P12ihipStream_tbENKUlT_T0_SK_SP_E_clIPsSE_SF_SF_EEDaS13_S14_SK_SP_EUlS13_E_NS1_11comp_targetILNS1_3genE10ELNS1_11target_archE1201ELNS1_3gpuE5ELNS1_3repE0EEENS1_47radix_sort_onesweep_sort_config_static_selectorELNS0_4arch9wavefront6targetE1EEEvSK_ ; -- Begin function _ZN7rocprim17ROCPRIM_400000_NS6detail17trampoline_kernelINS0_14default_configENS1_35radix_sort_onesweep_config_selectorIsNS0_10empty_typeEEEZZNS1_29radix_sort_onesweep_iterationIS3_Lb0EN6thrust23THRUST_200600_302600_NS6detail15normal_iteratorINS9_10device_ptrIsEEEESE_PS5_SF_jNS0_19identity_decomposerENS1_16block_id_wrapperIjLb1EEEEE10hipError_tT1_PNSt15iterator_traitsISK_E10value_typeET2_T3_PNSL_ISQ_E10value_typeET4_T5_PSV_SW_PNS1_23onesweep_lookback_stateEbbT6_jjT7_P12ihipStream_tbENKUlT_T0_SK_SP_E_clIPsSE_SF_SF_EEDaS13_S14_SK_SP_EUlS13_E_NS1_11comp_targetILNS1_3genE10ELNS1_11target_archE1201ELNS1_3gpuE5ELNS1_3repE0EEENS1_47radix_sort_onesweep_sort_config_static_selectorELNS0_4arch9wavefront6targetE1EEEvSK_
	.globl	_ZN7rocprim17ROCPRIM_400000_NS6detail17trampoline_kernelINS0_14default_configENS1_35radix_sort_onesweep_config_selectorIsNS0_10empty_typeEEEZZNS1_29radix_sort_onesweep_iterationIS3_Lb0EN6thrust23THRUST_200600_302600_NS6detail15normal_iteratorINS9_10device_ptrIsEEEESE_PS5_SF_jNS0_19identity_decomposerENS1_16block_id_wrapperIjLb1EEEEE10hipError_tT1_PNSt15iterator_traitsISK_E10value_typeET2_T3_PNSL_ISQ_E10value_typeET4_T5_PSV_SW_PNS1_23onesweep_lookback_stateEbbT6_jjT7_P12ihipStream_tbENKUlT_T0_SK_SP_E_clIPsSE_SF_SF_EEDaS13_S14_SK_SP_EUlS13_E_NS1_11comp_targetILNS1_3genE10ELNS1_11target_archE1201ELNS1_3gpuE5ELNS1_3repE0EEENS1_47radix_sort_onesweep_sort_config_static_selectorELNS0_4arch9wavefront6targetE1EEEvSK_
	.p2align	8
	.type	_ZN7rocprim17ROCPRIM_400000_NS6detail17trampoline_kernelINS0_14default_configENS1_35radix_sort_onesweep_config_selectorIsNS0_10empty_typeEEEZZNS1_29radix_sort_onesweep_iterationIS3_Lb0EN6thrust23THRUST_200600_302600_NS6detail15normal_iteratorINS9_10device_ptrIsEEEESE_PS5_SF_jNS0_19identity_decomposerENS1_16block_id_wrapperIjLb1EEEEE10hipError_tT1_PNSt15iterator_traitsISK_E10value_typeET2_T3_PNSL_ISQ_E10value_typeET4_T5_PSV_SW_PNS1_23onesweep_lookback_stateEbbT6_jjT7_P12ihipStream_tbENKUlT_T0_SK_SP_E_clIPsSE_SF_SF_EEDaS13_S14_SK_SP_EUlS13_E_NS1_11comp_targetILNS1_3genE10ELNS1_11target_archE1201ELNS1_3gpuE5ELNS1_3repE0EEENS1_47radix_sort_onesweep_sort_config_static_selectorELNS0_4arch9wavefront6targetE1EEEvSK_,@function
_ZN7rocprim17ROCPRIM_400000_NS6detail17trampoline_kernelINS0_14default_configENS1_35radix_sort_onesweep_config_selectorIsNS0_10empty_typeEEEZZNS1_29radix_sort_onesweep_iterationIS3_Lb0EN6thrust23THRUST_200600_302600_NS6detail15normal_iteratorINS9_10device_ptrIsEEEESE_PS5_SF_jNS0_19identity_decomposerENS1_16block_id_wrapperIjLb1EEEEE10hipError_tT1_PNSt15iterator_traitsISK_E10value_typeET2_T3_PNSL_ISQ_E10value_typeET4_T5_PSV_SW_PNS1_23onesweep_lookback_stateEbbT6_jjT7_P12ihipStream_tbENKUlT_T0_SK_SP_E_clIPsSE_SF_SF_EEDaS13_S14_SK_SP_EUlS13_E_NS1_11comp_targetILNS1_3genE10ELNS1_11target_archE1201ELNS1_3gpuE5ELNS1_3repE0EEENS1_47radix_sort_onesweep_sort_config_static_selectorELNS0_4arch9wavefront6targetE1EEEvSK_: ; @_ZN7rocprim17ROCPRIM_400000_NS6detail17trampoline_kernelINS0_14default_configENS1_35radix_sort_onesweep_config_selectorIsNS0_10empty_typeEEEZZNS1_29radix_sort_onesweep_iterationIS3_Lb0EN6thrust23THRUST_200600_302600_NS6detail15normal_iteratorINS9_10device_ptrIsEEEESE_PS5_SF_jNS0_19identity_decomposerENS1_16block_id_wrapperIjLb1EEEEE10hipError_tT1_PNSt15iterator_traitsISK_E10value_typeET2_T3_PNSL_ISQ_E10value_typeET4_T5_PSV_SW_PNS1_23onesweep_lookback_stateEbbT6_jjT7_P12ihipStream_tbENKUlT_T0_SK_SP_E_clIPsSE_SF_SF_EEDaS13_S14_SK_SP_EUlS13_E_NS1_11comp_targetILNS1_3genE10ELNS1_11target_archE1201ELNS1_3gpuE5ELNS1_3repE0EEENS1_47radix_sort_onesweep_sort_config_static_selectorELNS0_4arch9wavefront6targetE1EEEvSK_
; %bb.0:
	.section	.rodata,"a",@progbits
	.p2align	6, 0x0
	.amdhsa_kernel _ZN7rocprim17ROCPRIM_400000_NS6detail17trampoline_kernelINS0_14default_configENS1_35radix_sort_onesweep_config_selectorIsNS0_10empty_typeEEEZZNS1_29radix_sort_onesweep_iterationIS3_Lb0EN6thrust23THRUST_200600_302600_NS6detail15normal_iteratorINS9_10device_ptrIsEEEESE_PS5_SF_jNS0_19identity_decomposerENS1_16block_id_wrapperIjLb1EEEEE10hipError_tT1_PNSt15iterator_traitsISK_E10value_typeET2_T3_PNSL_ISQ_E10value_typeET4_T5_PSV_SW_PNS1_23onesweep_lookback_stateEbbT6_jjT7_P12ihipStream_tbENKUlT_T0_SK_SP_E_clIPsSE_SF_SF_EEDaS13_S14_SK_SP_EUlS13_E_NS1_11comp_targetILNS1_3genE10ELNS1_11target_archE1201ELNS1_3gpuE5ELNS1_3repE0EEENS1_47radix_sort_onesweep_sort_config_static_selectorELNS0_4arch9wavefront6targetE1EEEvSK_
		.amdhsa_group_segment_fixed_size 0
		.amdhsa_private_segment_fixed_size 0
		.amdhsa_kernarg_size 88
		.amdhsa_user_sgpr_count 2
		.amdhsa_user_sgpr_dispatch_ptr 0
		.amdhsa_user_sgpr_queue_ptr 0
		.amdhsa_user_sgpr_kernarg_segment_ptr 1
		.amdhsa_user_sgpr_dispatch_id 0
		.amdhsa_user_sgpr_kernarg_preload_length 0
		.amdhsa_user_sgpr_kernarg_preload_offset 0
		.amdhsa_user_sgpr_private_segment_size 0
		.amdhsa_uses_dynamic_stack 0
		.amdhsa_enable_private_segment 0
		.amdhsa_system_sgpr_workgroup_id_x 1
		.amdhsa_system_sgpr_workgroup_id_y 0
		.amdhsa_system_sgpr_workgroup_id_z 0
		.amdhsa_system_sgpr_workgroup_info 0
		.amdhsa_system_vgpr_workitem_id 0
		.amdhsa_next_free_vgpr 1
		.amdhsa_next_free_sgpr 0
		.amdhsa_accum_offset 4
		.amdhsa_reserve_vcc 0
		.amdhsa_float_round_mode_32 0
		.amdhsa_float_round_mode_16_64 0
		.amdhsa_float_denorm_mode_32 3
		.amdhsa_float_denorm_mode_16_64 3
		.amdhsa_dx10_clamp 1
		.amdhsa_ieee_mode 1
		.amdhsa_fp16_overflow 0
		.amdhsa_tg_split 0
		.amdhsa_exception_fp_ieee_invalid_op 0
		.amdhsa_exception_fp_denorm_src 0
		.amdhsa_exception_fp_ieee_div_zero 0
		.amdhsa_exception_fp_ieee_overflow 0
		.amdhsa_exception_fp_ieee_underflow 0
		.amdhsa_exception_fp_ieee_inexact 0
		.amdhsa_exception_int_div_zero 0
	.end_amdhsa_kernel
	.section	.text._ZN7rocprim17ROCPRIM_400000_NS6detail17trampoline_kernelINS0_14default_configENS1_35radix_sort_onesweep_config_selectorIsNS0_10empty_typeEEEZZNS1_29radix_sort_onesweep_iterationIS3_Lb0EN6thrust23THRUST_200600_302600_NS6detail15normal_iteratorINS9_10device_ptrIsEEEESE_PS5_SF_jNS0_19identity_decomposerENS1_16block_id_wrapperIjLb1EEEEE10hipError_tT1_PNSt15iterator_traitsISK_E10value_typeET2_T3_PNSL_ISQ_E10value_typeET4_T5_PSV_SW_PNS1_23onesweep_lookback_stateEbbT6_jjT7_P12ihipStream_tbENKUlT_T0_SK_SP_E_clIPsSE_SF_SF_EEDaS13_S14_SK_SP_EUlS13_E_NS1_11comp_targetILNS1_3genE10ELNS1_11target_archE1201ELNS1_3gpuE5ELNS1_3repE0EEENS1_47radix_sort_onesweep_sort_config_static_selectorELNS0_4arch9wavefront6targetE1EEEvSK_,"axG",@progbits,_ZN7rocprim17ROCPRIM_400000_NS6detail17trampoline_kernelINS0_14default_configENS1_35radix_sort_onesweep_config_selectorIsNS0_10empty_typeEEEZZNS1_29radix_sort_onesweep_iterationIS3_Lb0EN6thrust23THRUST_200600_302600_NS6detail15normal_iteratorINS9_10device_ptrIsEEEESE_PS5_SF_jNS0_19identity_decomposerENS1_16block_id_wrapperIjLb1EEEEE10hipError_tT1_PNSt15iterator_traitsISK_E10value_typeET2_T3_PNSL_ISQ_E10value_typeET4_T5_PSV_SW_PNS1_23onesweep_lookback_stateEbbT6_jjT7_P12ihipStream_tbENKUlT_T0_SK_SP_E_clIPsSE_SF_SF_EEDaS13_S14_SK_SP_EUlS13_E_NS1_11comp_targetILNS1_3genE10ELNS1_11target_archE1201ELNS1_3gpuE5ELNS1_3repE0EEENS1_47radix_sort_onesweep_sort_config_static_selectorELNS0_4arch9wavefront6targetE1EEEvSK_,comdat
.Lfunc_end1974:
	.size	_ZN7rocprim17ROCPRIM_400000_NS6detail17trampoline_kernelINS0_14default_configENS1_35radix_sort_onesweep_config_selectorIsNS0_10empty_typeEEEZZNS1_29radix_sort_onesweep_iterationIS3_Lb0EN6thrust23THRUST_200600_302600_NS6detail15normal_iteratorINS9_10device_ptrIsEEEESE_PS5_SF_jNS0_19identity_decomposerENS1_16block_id_wrapperIjLb1EEEEE10hipError_tT1_PNSt15iterator_traitsISK_E10value_typeET2_T3_PNSL_ISQ_E10value_typeET4_T5_PSV_SW_PNS1_23onesweep_lookback_stateEbbT6_jjT7_P12ihipStream_tbENKUlT_T0_SK_SP_E_clIPsSE_SF_SF_EEDaS13_S14_SK_SP_EUlS13_E_NS1_11comp_targetILNS1_3genE10ELNS1_11target_archE1201ELNS1_3gpuE5ELNS1_3repE0EEENS1_47radix_sort_onesweep_sort_config_static_selectorELNS0_4arch9wavefront6targetE1EEEvSK_, .Lfunc_end1974-_ZN7rocprim17ROCPRIM_400000_NS6detail17trampoline_kernelINS0_14default_configENS1_35radix_sort_onesweep_config_selectorIsNS0_10empty_typeEEEZZNS1_29radix_sort_onesweep_iterationIS3_Lb0EN6thrust23THRUST_200600_302600_NS6detail15normal_iteratorINS9_10device_ptrIsEEEESE_PS5_SF_jNS0_19identity_decomposerENS1_16block_id_wrapperIjLb1EEEEE10hipError_tT1_PNSt15iterator_traitsISK_E10value_typeET2_T3_PNSL_ISQ_E10value_typeET4_T5_PSV_SW_PNS1_23onesweep_lookback_stateEbbT6_jjT7_P12ihipStream_tbENKUlT_T0_SK_SP_E_clIPsSE_SF_SF_EEDaS13_S14_SK_SP_EUlS13_E_NS1_11comp_targetILNS1_3genE10ELNS1_11target_archE1201ELNS1_3gpuE5ELNS1_3repE0EEENS1_47radix_sort_onesweep_sort_config_static_selectorELNS0_4arch9wavefront6targetE1EEEvSK_
                                        ; -- End function
	.section	.AMDGPU.csdata,"",@progbits
; Kernel info:
; codeLenInByte = 0
; NumSgprs: 6
; NumVgprs: 0
; NumAgprs: 0
; TotalNumVgprs: 0
; ScratchSize: 0
; MemoryBound: 0
; FloatMode: 240
; IeeeMode: 1
; LDSByteSize: 0 bytes/workgroup (compile time only)
; SGPRBlocks: 0
; VGPRBlocks: 0
; NumSGPRsForWavesPerEU: 6
; NumVGPRsForWavesPerEU: 1
; AccumOffset: 4
; Occupancy: 8
; WaveLimiterHint : 0
; COMPUTE_PGM_RSRC2:SCRATCH_EN: 0
; COMPUTE_PGM_RSRC2:USER_SGPR: 2
; COMPUTE_PGM_RSRC2:TRAP_HANDLER: 0
; COMPUTE_PGM_RSRC2:TGID_X_EN: 1
; COMPUTE_PGM_RSRC2:TGID_Y_EN: 0
; COMPUTE_PGM_RSRC2:TGID_Z_EN: 0
; COMPUTE_PGM_RSRC2:TIDIG_COMP_CNT: 0
; COMPUTE_PGM_RSRC3_GFX90A:ACCUM_OFFSET: 0
; COMPUTE_PGM_RSRC3_GFX90A:TG_SPLIT: 0
	.section	.text._ZN7rocprim17ROCPRIM_400000_NS6detail17trampoline_kernelINS0_14default_configENS1_35radix_sort_onesweep_config_selectorIsNS0_10empty_typeEEEZZNS1_29radix_sort_onesweep_iterationIS3_Lb0EN6thrust23THRUST_200600_302600_NS6detail15normal_iteratorINS9_10device_ptrIsEEEESE_PS5_SF_jNS0_19identity_decomposerENS1_16block_id_wrapperIjLb1EEEEE10hipError_tT1_PNSt15iterator_traitsISK_E10value_typeET2_T3_PNSL_ISQ_E10value_typeET4_T5_PSV_SW_PNS1_23onesweep_lookback_stateEbbT6_jjT7_P12ihipStream_tbENKUlT_T0_SK_SP_E_clIPsSE_SF_SF_EEDaS13_S14_SK_SP_EUlS13_E_NS1_11comp_targetILNS1_3genE9ELNS1_11target_archE1100ELNS1_3gpuE3ELNS1_3repE0EEENS1_47radix_sort_onesweep_sort_config_static_selectorELNS0_4arch9wavefront6targetE1EEEvSK_,"axG",@progbits,_ZN7rocprim17ROCPRIM_400000_NS6detail17trampoline_kernelINS0_14default_configENS1_35radix_sort_onesweep_config_selectorIsNS0_10empty_typeEEEZZNS1_29radix_sort_onesweep_iterationIS3_Lb0EN6thrust23THRUST_200600_302600_NS6detail15normal_iteratorINS9_10device_ptrIsEEEESE_PS5_SF_jNS0_19identity_decomposerENS1_16block_id_wrapperIjLb1EEEEE10hipError_tT1_PNSt15iterator_traitsISK_E10value_typeET2_T3_PNSL_ISQ_E10value_typeET4_T5_PSV_SW_PNS1_23onesweep_lookback_stateEbbT6_jjT7_P12ihipStream_tbENKUlT_T0_SK_SP_E_clIPsSE_SF_SF_EEDaS13_S14_SK_SP_EUlS13_E_NS1_11comp_targetILNS1_3genE9ELNS1_11target_archE1100ELNS1_3gpuE3ELNS1_3repE0EEENS1_47radix_sort_onesweep_sort_config_static_selectorELNS0_4arch9wavefront6targetE1EEEvSK_,comdat
	.protected	_ZN7rocprim17ROCPRIM_400000_NS6detail17trampoline_kernelINS0_14default_configENS1_35radix_sort_onesweep_config_selectorIsNS0_10empty_typeEEEZZNS1_29radix_sort_onesweep_iterationIS3_Lb0EN6thrust23THRUST_200600_302600_NS6detail15normal_iteratorINS9_10device_ptrIsEEEESE_PS5_SF_jNS0_19identity_decomposerENS1_16block_id_wrapperIjLb1EEEEE10hipError_tT1_PNSt15iterator_traitsISK_E10value_typeET2_T3_PNSL_ISQ_E10value_typeET4_T5_PSV_SW_PNS1_23onesweep_lookback_stateEbbT6_jjT7_P12ihipStream_tbENKUlT_T0_SK_SP_E_clIPsSE_SF_SF_EEDaS13_S14_SK_SP_EUlS13_E_NS1_11comp_targetILNS1_3genE9ELNS1_11target_archE1100ELNS1_3gpuE3ELNS1_3repE0EEENS1_47radix_sort_onesweep_sort_config_static_selectorELNS0_4arch9wavefront6targetE1EEEvSK_ ; -- Begin function _ZN7rocprim17ROCPRIM_400000_NS6detail17trampoline_kernelINS0_14default_configENS1_35radix_sort_onesweep_config_selectorIsNS0_10empty_typeEEEZZNS1_29radix_sort_onesweep_iterationIS3_Lb0EN6thrust23THRUST_200600_302600_NS6detail15normal_iteratorINS9_10device_ptrIsEEEESE_PS5_SF_jNS0_19identity_decomposerENS1_16block_id_wrapperIjLb1EEEEE10hipError_tT1_PNSt15iterator_traitsISK_E10value_typeET2_T3_PNSL_ISQ_E10value_typeET4_T5_PSV_SW_PNS1_23onesweep_lookback_stateEbbT6_jjT7_P12ihipStream_tbENKUlT_T0_SK_SP_E_clIPsSE_SF_SF_EEDaS13_S14_SK_SP_EUlS13_E_NS1_11comp_targetILNS1_3genE9ELNS1_11target_archE1100ELNS1_3gpuE3ELNS1_3repE0EEENS1_47radix_sort_onesweep_sort_config_static_selectorELNS0_4arch9wavefront6targetE1EEEvSK_
	.globl	_ZN7rocprim17ROCPRIM_400000_NS6detail17trampoline_kernelINS0_14default_configENS1_35radix_sort_onesweep_config_selectorIsNS0_10empty_typeEEEZZNS1_29radix_sort_onesweep_iterationIS3_Lb0EN6thrust23THRUST_200600_302600_NS6detail15normal_iteratorINS9_10device_ptrIsEEEESE_PS5_SF_jNS0_19identity_decomposerENS1_16block_id_wrapperIjLb1EEEEE10hipError_tT1_PNSt15iterator_traitsISK_E10value_typeET2_T3_PNSL_ISQ_E10value_typeET4_T5_PSV_SW_PNS1_23onesweep_lookback_stateEbbT6_jjT7_P12ihipStream_tbENKUlT_T0_SK_SP_E_clIPsSE_SF_SF_EEDaS13_S14_SK_SP_EUlS13_E_NS1_11comp_targetILNS1_3genE9ELNS1_11target_archE1100ELNS1_3gpuE3ELNS1_3repE0EEENS1_47radix_sort_onesweep_sort_config_static_selectorELNS0_4arch9wavefront6targetE1EEEvSK_
	.p2align	8
	.type	_ZN7rocprim17ROCPRIM_400000_NS6detail17trampoline_kernelINS0_14default_configENS1_35radix_sort_onesweep_config_selectorIsNS0_10empty_typeEEEZZNS1_29radix_sort_onesweep_iterationIS3_Lb0EN6thrust23THRUST_200600_302600_NS6detail15normal_iteratorINS9_10device_ptrIsEEEESE_PS5_SF_jNS0_19identity_decomposerENS1_16block_id_wrapperIjLb1EEEEE10hipError_tT1_PNSt15iterator_traitsISK_E10value_typeET2_T3_PNSL_ISQ_E10value_typeET4_T5_PSV_SW_PNS1_23onesweep_lookback_stateEbbT6_jjT7_P12ihipStream_tbENKUlT_T0_SK_SP_E_clIPsSE_SF_SF_EEDaS13_S14_SK_SP_EUlS13_E_NS1_11comp_targetILNS1_3genE9ELNS1_11target_archE1100ELNS1_3gpuE3ELNS1_3repE0EEENS1_47radix_sort_onesweep_sort_config_static_selectorELNS0_4arch9wavefront6targetE1EEEvSK_,@function
_ZN7rocprim17ROCPRIM_400000_NS6detail17trampoline_kernelINS0_14default_configENS1_35radix_sort_onesweep_config_selectorIsNS0_10empty_typeEEEZZNS1_29radix_sort_onesweep_iterationIS3_Lb0EN6thrust23THRUST_200600_302600_NS6detail15normal_iteratorINS9_10device_ptrIsEEEESE_PS5_SF_jNS0_19identity_decomposerENS1_16block_id_wrapperIjLb1EEEEE10hipError_tT1_PNSt15iterator_traitsISK_E10value_typeET2_T3_PNSL_ISQ_E10value_typeET4_T5_PSV_SW_PNS1_23onesweep_lookback_stateEbbT6_jjT7_P12ihipStream_tbENKUlT_T0_SK_SP_E_clIPsSE_SF_SF_EEDaS13_S14_SK_SP_EUlS13_E_NS1_11comp_targetILNS1_3genE9ELNS1_11target_archE1100ELNS1_3gpuE3ELNS1_3repE0EEENS1_47radix_sort_onesweep_sort_config_static_selectorELNS0_4arch9wavefront6targetE1EEEvSK_: ; @_ZN7rocprim17ROCPRIM_400000_NS6detail17trampoline_kernelINS0_14default_configENS1_35radix_sort_onesweep_config_selectorIsNS0_10empty_typeEEEZZNS1_29radix_sort_onesweep_iterationIS3_Lb0EN6thrust23THRUST_200600_302600_NS6detail15normal_iteratorINS9_10device_ptrIsEEEESE_PS5_SF_jNS0_19identity_decomposerENS1_16block_id_wrapperIjLb1EEEEE10hipError_tT1_PNSt15iterator_traitsISK_E10value_typeET2_T3_PNSL_ISQ_E10value_typeET4_T5_PSV_SW_PNS1_23onesweep_lookback_stateEbbT6_jjT7_P12ihipStream_tbENKUlT_T0_SK_SP_E_clIPsSE_SF_SF_EEDaS13_S14_SK_SP_EUlS13_E_NS1_11comp_targetILNS1_3genE9ELNS1_11target_archE1100ELNS1_3gpuE3ELNS1_3repE0EEENS1_47radix_sort_onesweep_sort_config_static_selectorELNS0_4arch9wavefront6targetE1EEEvSK_
; %bb.0:
	.section	.rodata,"a",@progbits
	.p2align	6, 0x0
	.amdhsa_kernel _ZN7rocprim17ROCPRIM_400000_NS6detail17trampoline_kernelINS0_14default_configENS1_35radix_sort_onesweep_config_selectorIsNS0_10empty_typeEEEZZNS1_29radix_sort_onesweep_iterationIS3_Lb0EN6thrust23THRUST_200600_302600_NS6detail15normal_iteratorINS9_10device_ptrIsEEEESE_PS5_SF_jNS0_19identity_decomposerENS1_16block_id_wrapperIjLb1EEEEE10hipError_tT1_PNSt15iterator_traitsISK_E10value_typeET2_T3_PNSL_ISQ_E10value_typeET4_T5_PSV_SW_PNS1_23onesweep_lookback_stateEbbT6_jjT7_P12ihipStream_tbENKUlT_T0_SK_SP_E_clIPsSE_SF_SF_EEDaS13_S14_SK_SP_EUlS13_E_NS1_11comp_targetILNS1_3genE9ELNS1_11target_archE1100ELNS1_3gpuE3ELNS1_3repE0EEENS1_47radix_sort_onesweep_sort_config_static_selectorELNS0_4arch9wavefront6targetE1EEEvSK_
		.amdhsa_group_segment_fixed_size 0
		.amdhsa_private_segment_fixed_size 0
		.amdhsa_kernarg_size 88
		.amdhsa_user_sgpr_count 2
		.amdhsa_user_sgpr_dispatch_ptr 0
		.amdhsa_user_sgpr_queue_ptr 0
		.amdhsa_user_sgpr_kernarg_segment_ptr 1
		.amdhsa_user_sgpr_dispatch_id 0
		.amdhsa_user_sgpr_kernarg_preload_length 0
		.amdhsa_user_sgpr_kernarg_preload_offset 0
		.amdhsa_user_sgpr_private_segment_size 0
		.amdhsa_uses_dynamic_stack 0
		.amdhsa_enable_private_segment 0
		.amdhsa_system_sgpr_workgroup_id_x 1
		.amdhsa_system_sgpr_workgroup_id_y 0
		.amdhsa_system_sgpr_workgroup_id_z 0
		.amdhsa_system_sgpr_workgroup_info 0
		.amdhsa_system_vgpr_workitem_id 0
		.amdhsa_next_free_vgpr 1
		.amdhsa_next_free_sgpr 0
		.amdhsa_accum_offset 4
		.amdhsa_reserve_vcc 0
		.amdhsa_float_round_mode_32 0
		.amdhsa_float_round_mode_16_64 0
		.amdhsa_float_denorm_mode_32 3
		.amdhsa_float_denorm_mode_16_64 3
		.amdhsa_dx10_clamp 1
		.amdhsa_ieee_mode 1
		.amdhsa_fp16_overflow 0
		.amdhsa_tg_split 0
		.amdhsa_exception_fp_ieee_invalid_op 0
		.amdhsa_exception_fp_denorm_src 0
		.amdhsa_exception_fp_ieee_div_zero 0
		.amdhsa_exception_fp_ieee_overflow 0
		.amdhsa_exception_fp_ieee_underflow 0
		.amdhsa_exception_fp_ieee_inexact 0
		.amdhsa_exception_int_div_zero 0
	.end_amdhsa_kernel
	.section	.text._ZN7rocprim17ROCPRIM_400000_NS6detail17trampoline_kernelINS0_14default_configENS1_35radix_sort_onesweep_config_selectorIsNS0_10empty_typeEEEZZNS1_29radix_sort_onesweep_iterationIS3_Lb0EN6thrust23THRUST_200600_302600_NS6detail15normal_iteratorINS9_10device_ptrIsEEEESE_PS5_SF_jNS0_19identity_decomposerENS1_16block_id_wrapperIjLb1EEEEE10hipError_tT1_PNSt15iterator_traitsISK_E10value_typeET2_T3_PNSL_ISQ_E10value_typeET4_T5_PSV_SW_PNS1_23onesweep_lookback_stateEbbT6_jjT7_P12ihipStream_tbENKUlT_T0_SK_SP_E_clIPsSE_SF_SF_EEDaS13_S14_SK_SP_EUlS13_E_NS1_11comp_targetILNS1_3genE9ELNS1_11target_archE1100ELNS1_3gpuE3ELNS1_3repE0EEENS1_47radix_sort_onesweep_sort_config_static_selectorELNS0_4arch9wavefront6targetE1EEEvSK_,"axG",@progbits,_ZN7rocprim17ROCPRIM_400000_NS6detail17trampoline_kernelINS0_14default_configENS1_35radix_sort_onesweep_config_selectorIsNS0_10empty_typeEEEZZNS1_29radix_sort_onesweep_iterationIS3_Lb0EN6thrust23THRUST_200600_302600_NS6detail15normal_iteratorINS9_10device_ptrIsEEEESE_PS5_SF_jNS0_19identity_decomposerENS1_16block_id_wrapperIjLb1EEEEE10hipError_tT1_PNSt15iterator_traitsISK_E10value_typeET2_T3_PNSL_ISQ_E10value_typeET4_T5_PSV_SW_PNS1_23onesweep_lookback_stateEbbT6_jjT7_P12ihipStream_tbENKUlT_T0_SK_SP_E_clIPsSE_SF_SF_EEDaS13_S14_SK_SP_EUlS13_E_NS1_11comp_targetILNS1_3genE9ELNS1_11target_archE1100ELNS1_3gpuE3ELNS1_3repE0EEENS1_47radix_sort_onesweep_sort_config_static_selectorELNS0_4arch9wavefront6targetE1EEEvSK_,comdat
.Lfunc_end1975:
	.size	_ZN7rocprim17ROCPRIM_400000_NS6detail17trampoline_kernelINS0_14default_configENS1_35radix_sort_onesweep_config_selectorIsNS0_10empty_typeEEEZZNS1_29radix_sort_onesweep_iterationIS3_Lb0EN6thrust23THRUST_200600_302600_NS6detail15normal_iteratorINS9_10device_ptrIsEEEESE_PS5_SF_jNS0_19identity_decomposerENS1_16block_id_wrapperIjLb1EEEEE10hipError_tT1_PNSt15iterator_traitsISK_E10value_typeET2_T3_PNSL_ISQ_E10value_typeET4_T5_PSV_SW_PNS1_23onesweep_lookback_stateEbbT6_jjT7_P12ihipStream_tbENKUlT_T0_SK_SP_E_clIPsSE_SF_SF_EEDaS13_S14_SK_SP_EUlS13_E_NS1_11comp_targetILNS1_3genE9ELNS1_11target_archE1100ELNS1_3gpuE3ELNS1_3repE0EEENS1_47radix_sort_onesweep_sort_config_static_selectorELNS0_4arch9wavefront6targetE1EEEvSK_, .Lfunc_end1975-_ZN7rocprim17ROCPRIM_400000_NS6detail17trampoline_kernelINS0_14default_configENS1_35radix_sort_onesweep_config_selectorIsNS0_10empty_typeEEEZZNS1_29radix_sort_onesweep_iterationIS3_Lb0EN6thrust23THRUST_200600_302600_NS6detail15normal_iteratorINS9_10device_ptrIsEEEESE_PS5_SF_jNS0_19identity_decomposerENS1_16block_id_wrapperIjLb1EEEEE10hipError_tT1_PNSt15iterator_traitsISK_E10value_typeET2_T3_PNSL_ISQ_E10value_typeET4_T5_PSV_SW_PNS1_23onesweep_lookback_stateEbbT6_jjT7_P12ihipStream_tbENKUlT_T0_SK_SP_E_clIPsSE_SF_SF_EEDaS13_S14_SK_SP_EUlS13_E_NS1_11comp_targetILNS1_3genE9ELNS1_11target_archE1100ELNS1_3gpuE3ELNS1_3repE0EEENS1_47radix_sort_onesweep_sort_config_static_selectorELNS0_4arch9wavefront6targetE1EEEvSK_
                                        ; -- End function
	.section	.AMDGPU.csdata,"",@progbits
; Kernel info:
; codeLenInByte = 0
; NumSgprs: 6
; NumVgprs: 0
; NumAgprs: 0
; TotalNumVgprs: 0
; ScratchSize: 0
; MemoryBound: 0
; FloatMode: 240
; IeeeMode: 1
; LDSByteSize: 0 bytes/workgroup (compile time only)
; SGPRBlocks: 0
; VGPRBlocks: 0
; NumSGPRsForWavesPerEU: 6
; NumVGPRsForWavesPerEU: 1
; AccumOffset: 4
; Occupancy: 8
; WaveLimiterHint : 0
; COMPUTE_PGM_RSRC2:SCRATCH_EN: 0
; COMPUTE_PGM_RSRC2:USER_SGPR: 2
; COMPUTE_PGM_RSRC2:TRAP_HANDLER: 0
; COMPUTE_PGM_RSRC2:TGID_X_EN: 1
; COMPUTE_PGM_RSRC2:TGID_Y_EN: 0
; COMPUTE_PGM_RSRC2:TGID_Z_EN: 0
; COMPUTE_PGM_RSRC2:TIDIG_COMP_CNT: 0
; COMPUTE_PGM_RSRC3_GFX90A:ACCUM_OFFSET: 0
; COMPUTE_PGM_RSRC3_GFX90A:TG_SPLIT: 0
	.section	.text._ZN7rocprim17ROCPRIM_400000_NS6detail17trampoline_kernelINS0_14default_configENS1_35radix_sort_onesweep_config_selectorIsNS0_10empty_typeEEEZZNS1_29radix_sort_onesweep_iterationIS3_Lb0EN6thrust23THRUST_200600_302600_NS6detail15normal_iteratorINS9_10device_ptrIsEEEESE_PS5_SF_jNS0_19identity_decomposerENS1_16block_id_wrapperIjLb1EEEEE10hipError_tT1_PNSt15iterator_traitsISK_E10value_typeET2_T3_PNSL_ISQ_E10value_typeET4_T5_PSV_SW_PNS1_23onesweep_lookback_stateEbbT6_jjT7_P12ihipStream_tbENKUlT_T0_SK_SP_E_clIPsSE_SF_SF_EEDaS13_S14_SK_SP_EUlS13_E_NS1_11comp_targetILNS1_3genE8ELNS1_11target_archE1030ELNS1_3gpuE2ELNS1_3repE0EEENS1_47radix_sort_onesweep_sort_config_static_selectorELNS0_4arch9wavefront6targetE1EEEvSK_,"axG",@progbits,_ZN7rocprim17ROCPRIM_400000_NS6detail17trampoline_kernelINS0_14default_configENS1_35radix_sort_onesweep_config_selectorIsNS0_10empty_typeEEEZZNS1_29radix_sort_onesweep_iterationIS3_Lb0EN6thrust23THRUST_200600_302600_NS6detail15normal_iteratorINS9_10device_ptrIsEEEESE_PS5_SF_jNS0_19identity_decomposerENS1_16block_id_wrapperIjLb1EEEEE10hipError_tT1_PNSt15iterator_traitsISK_E10value_typeET2_T3_PNSL_ISQ_E10value_typeET4_T5_PSV_SW_PNS1_23onesweep_lookback_stateEbbT6_jjT7_P12ihipStream_tbENKUlT_T0_SK_SP_E_clIPsSE_SF_SF_EEDaS13_S14_SK_SP_EUlS13_E_NS1_11comp_targetILNS1_3genE8ELNS1_11target_archE1030ELNS1_3gpuE2ELNS1_3repE0EEENS1_47radix_sort_onesweep_sort_config_static_selectorELNS0_4arch9wavefront6targetE1EEEvSK_,comdat
	.protected	_ZN7rocprim17ROCPRIM_400000_NS6detail17trampoline_kernelINS0_14default_configENS1_35radix_sort_onesweep_config_selectorIsNS0_10empty_typeEEEZZNS1_29radix_sort_onesweep_iterationIS3_Lb0EN6thrust23THRUST_200600_302600_NS6detail15normal_iteratorINS9_10device_ptrIsEEEESE_PS5_SF_jNS0_19identity_decomposerENS1_16block_id_wrapperIjLb1EEEEE10hipError_tT1_PNSt15iterator_traitsISK_E10value_typeET2_T3_PNSL_ISQ_E10value_typeET4_T5_PSV_SW_PNS1_23onesweep_lookback_stateEbbT6_jjT7_P12ihipStream_tbENKUlT_T0_SK_SP_E_clIPsSE_SF_SF_EEDaS13_S14_SK_SP_EUlS13_E_NS1_11comp_targetILNS1_3genE8ELNS1_11target_archE1030ELNS1_3gpuE2ELNS1_3repE0EEENS1_47radix_sort_onesweep_sort_config_static_selectorELNS0_4arch9wavefront6targetE1EEEvSK_ ; -- Begin function _ZN7rocprim17ROCPRIM_400000_NS6detail17trampoline_kernelINS0_14default_configENS1_35radix_sort_onesweep_config_selectorIsNS0_10empty_typeEEEZZNS1_29radix_sort_onesweep_iterationIS3_Lb0EN6thrust23THRUST_200600_302600_NS6detail15normal_iteratorINS9_10device_ptrIsEEEESE_PS5_SF_jNS0_19identity_decomposerENS1_16block_id_wrapperIjLb1EEEEE10hipError_tT1_PNSt15iterator_traitsISK_E10value_typeET2_T3_PNSL_ISQ_E10value_typeET4_T5_PSV_SW_PNS1_23onesweep_lookback_stateEbbT6_jjT7_P12ihipStream_tbENKUlT_T0_SK_SP_E_clIPsSE_SF_SF_EEDaS13_S14_SK_SP_EUlS13_E_NS1_11comp_targetILNS1_3genE8ELNS1_11target_archE1030ELNS1_3gpuE2ELNS1_3repE0EEENS1_47radix_sort_onesweep_sort_config_static_selectorELNS0_4arch9wavefront6targetE1EEEvSK_
	.globl	_ZN7rocprim17ROCPRIM_400000_NS6detail17trampoline_kernelINS0_14default_configENS1_35radix_sort_onesweep_config_selectorIsNS0_10empty_typeEEEZZNS1_29radix_sort_onesweep_iterationIS3_Lb0EN6thrust23THRUST_200600_302600_NS6detail15normal_iteratorINS9_10device_ptrIsEEEESE_PS5_SF_jNS0_19identity_decomposerENS1_16block_id_wrapperIjLb1EEEEE10hipError_tT1_PNSt15iterator_traitsISK_E10value_typeET2_T3_PNSL_ISQ_E10value_typeET4_T5_PSV_SW_PNS1_23onesweep_lookback_stateEbbT6_jjT7_P12ihipStream_tbENKUlT_T0_SK_SP_E_clIPsSE_SF_SF_EEDaS13_S14_SK_SP_EUlS13_E_NS1_11comp_targetILNS1_3genE8ELNS1_11target_archE1030ELNS1_3gpuE2ELNS1_3repE0EEENS1_47radix_sort_onesweep_sort_config_static_selectorELNS0_4arch9wavefront6targetE1EEEvSK_
	.p2align	8
	.type	_ZN7rocprim17ROCPRIM_400000_NS6detail17trampoline_kernelINS0_14default_configENS1_35radix_sort_onesweep_config_selectorIsNS0_10empty_typeEEEZZNS1_29radix_sort_onesweep_iterationIS3_Lb0EN6thrust23THRUST_200600_302600_NS6detail15normal_iteratorINS9_10device_ptrIsEEEESE_PS5_SF_jNS0_19identity_decomposerENS1_16block_id_wrapperIjLb1EEEEE10hipError_tT1_PNSt15iterator_traitsISK_E10value_typeET2_T3_PNSL_ISQ_E10value_typeET4_T5_PSV_SW_PNS1_23onesweep_lookback_stateEbbT6_jjT7_P12ihipStream_tbENKUlT_T0_SK_SP_E_clIPsSE_SF_SF_EEDaS13_S14_SK_SP_EUlS13_E_NS1_11comp_targetILNS1_3genE8ELNS1_11target_archE1030ELNS1_3gpuE2ELNS1_3repE0EEENS1_47radix_sort_onesweep_sort_config_static_selectorELNS0_4arch9wavefront6targetE1EEEvSK_,@function
_ZN7rocprim17ROCPRIM_400000_NS6detail17trampoline_kernelINS0_14default_configENS1_35radix_sort_onesweep_config_selectorIsNS0_10empty_typeEEEZZNS1_29radix_sort_onesweep_iterationIS3_Lb0EN6thrust23THRUST_200600_302600_NS6detail15normal_iteratorINS9_10device_ptrIsEEEESE_PS5_SF_jNS0_19identity_decomposerENS1_16block_id_wrapperIjLb1EEEEE10hipError_tT1_PNSt15iterator_traitsISK_E10value_typeET2_T3_PNSL_ISQ_E10value_typeET4_T5_PSV_SW_PNS1_23onesweep_lookback_stateEbbT6_jjT7_P12ihipStream_tbENKUlT_T0_SK_SP_E_clIPsSE_SF_SF_EEDaS13_S14_SK_SP_EUlS13_E_NS1_11comp_targetILNS1_3genE8ELNS1_11target_archE1030ELNS1_3gpuE2ELNS1_3repE0EEENS1_47radix_sort_onesweep_sort_config_static_selectorELNS0_4arch9wavefront6targetE1EEEvSK_: ; @_ZN7rocprim17ROCPRIM_400000_NS6detail17trampoline_kernelINS0_14default_configENS1_35radix_sort_onesweep_config_selectorIsNS0_10empty_typeEEEZZNS1_29radix_sort_onesweep_iterationIS3_Lb0EN6thrust23THRUST_200600_302600_NS6detail15normal_iteratorINS9_10device_ptrIsEEEESE_PS5_SF_jNS0_19identity_decomposerENS1_16block_id_wrapperIjLb1EEEEE10hipError_tT1_PNSt15iterator_traitsISK_E10value_typeET2_T3_PNSL_ISQ_E10value_typeET4_T5_PSV_SW_PNS1_23onesweep_lookback_stateEbbT6_jjT7_P12ihipStream_tbENKUlT_T0_SK_SP_E_clIPsSE_SF_SF_EEDaS13_S14_SK_SP_EUlS13_E_NS1_11comp_targetILNS1_3genE8ELNS1_11target_archE1030ELNS1_3gpuE2ELNS1_3repE0EEENS1_47radix_sort_onesweep_sort_config_static_selectorELNS0_4arch9wavefront6targetE1EEEvSK_
; %bb.0:
	.section	.rodata,"a",@progbits
	.p2align	6, 0x0
	.amdhsa_kernel _ZN7rocprim17ROCPRIM_400000_NS6detail17trampoline_kernelINS0_14default_configENS1_35radix_sort_onesweep_config_selectorIsNS0_10empty_typeEEEZZNS1_29radix_sort_onesweep_iterationIS3_Lb0EN6thrust23THRUST_200600_302600_NS6detail15normal_iteratorINS9_10device_ptrIsEEEESE_PS5_SF_jNS0_19identity_decomposerENS1_16block_id_wrapperIjLb1EEEEE10hipError_tT1_PNSt15iterator_traitsISK_E10value_typeET2_T3_PNSL_ISQ_E10value_typeET4_T5_PSV_SW_PNS1_23onesweep_lookback_stateEbbT6_jjT7_P12ihipStream_tbENKUlT_T0_SK_SP_E_clIPsSE_SF_SF_EEDaS13_S14_SK_SP_EUlS13_E_NS1_11comp_targetILNS1_3genE8ELNS1_11target_archE1030ELNS1_3gpuE2ELNS1_3repE0EEENS1_47radix_sort_onesweep_sort_config_static_selectorELNS0_4arch9wavefront6targetE1EEEvSK_
		.amdhsa_group_segment_fixed_size 0
		.amdhsa_private_segment_fixed_size 0
		.amdhsa_kernarg_size 88
		.amdhsa_user_sgpr_count 2
		.amdhsa_user_sgpr_dispatch_ptr 0
		.amdhsa_user_sgpr_queue_ptr 0
		.amdhsa_user_sgpr_kernarg_segment_ptr 1
		.amdhsa_user_sgpr_dispatch_id 0
		.amdhsa_user_sgpr_kernarg_preload_length 0
		.amdhsa_user_sgpr_kernarg_preload_offset 0
		.amdhsa_user_sgpr_private_segment_size 0
		.amdhsa_uses_dynamic_stack 0
		.amdhsa_enable_private_segment 0
		.amdhsa_system_sgpr_workgroup_id_x 1
		.amdhsa_system_sgpr_workgroup_id_y 0
		.amdhsa_system_sgpr_workgroup_id_z 0
		.amdhsa_system_sgpr_workgroup_info 0
		.amdhsa_system_vgpr_workitem_id 0
		.amdhsa_next_free_vgpr 1
		.amdhsa_next_free_sgpr 0
		.amdhsa_accum_offset 4
		.amdhsa_reserve_vcc 0
		.amdhsa_float_round_mode_32 0
		.amdhsa_float_round_mode_16_64 0
		.amdhsa_float_denorm_mode_32 3
		.amdhsa_float_denorm_mode_16_64 3
		.amdhsa_dx10_clamp 1
		.amdhsa_ieee_mode 1
		.amdhsa_fp16_overflow 0
		.amdhsa_tg_split 0
		.amdhsa_exception_fp_ieee_invalid_op 0
		.amdhsa_exception_fp_denorm_src 0
		.amdhsa_exception_fp_ieee_div_zero 0
		.amdhsa_exception_fp_ieee_overflow 0
		.amdhsa_exception_fp_ieee_underflow 0
		.amdhsa_exception_fp_ieee_inexact 0
		.amdhsa_exception_int_div_zero 0
	.end_amdhsa_kernel
	.section	.text._ZN7rocprim17ROCPRIM_400000_NS6detail17trampoline_kernelINS0_14default_configENS1_35radix_sort_onesweep_config_selectorIsNS0_10empty_typeEEEZZNS1_29radix_sort_onesweep_iterationIS3_Lb0EN6thrust23THRUST_200600_302600_NS6detail15normal_iteratorINS9_10device_ptrIsEEEESE_PS5_SF_jNS0_19identity_decomposerENS1_16block_id_wrapperIjLb1EEEEE10hipError_tT1_PNSt15iterator_traitsISK_E10value_typeET2_T3_PNSL_ISQ_E10value_typeET4_T5_PSV_SW_PNS1_23onesweep_lookback_stateEbbT6_jjT7_P12ihipStream_tbENKUlT_T0_SK_SP_E_clIPsSE_SF_SF_EEDaS13_S14_SK_SP_EUlS13_E_NS1_11comp_targetILNS1_3genE8ELNS1_11target_archE1030ELNS1_3gpuE2ELNS1_3repE0EEENS1_47radix_sort_onesweep_sort_config_static_selectorELNS0_4arch9wavefront6targetE1EEEvSK_,"axG",@progbits,_ZN7rocprim17ROCPRIM_400000_NS6detail17trampoline_kernelINS0_14default_configENS1_35radix_sort_onesweep_config_selectorIsNS0_10empty_typeEEEZZNS1_29radix_sort_onesweep_iterationIS3_Lb0EN6thrust23THRUST_200600_302600_NS6detail15normal_iteratorINS9_10device_ptrIsEEEESE_PS5_SF_jNS0_19identity_decomposerENS1_16block_id_wrapperIjLb1EEEEE10hipError_tT1_PNSt15iterator_traitsISK_E10value_typeET2_T3_PNSL_ISQ_E10value_typeET4_T5_PSV_SW_PNS1_23onesweep_lookback_stateEbbT6_jjT7_P12ihipStream_tbENKUlT_T0_SK_SP_E_clIPsSE_SF_SF_EEDaS13_S14_SK_SP_EUlS13_E_NS1_11comp_targetILNS1_3genE8ELNS1_11target_archE1030ELNS1_3gpuE2ELNS1_3repE0EEENS1_47radix_sort_onesweep_sort_config_static_selectorELNS0_4arch9wavefront6targetE1EEEvSK_,comdat
.Lfunc_end1976:
	.size	_ZN7rocprim17ROCPRIM_400000_NS6detail17trampoline_kernelINS0_14default_configENS1_35radix_sort_onesweep_config_selectorIsNS0_10empty_typeEEEZZNS1_29radix_sort_onesweep_iterationIS3_Lb0EN6thrust23THRUST_200600_302600_NS6detail15normal_iteratorINS9_10device_ptrIsEEEESE_PS5_SF_jNS0_19identity_decomposerENS1_16block_id_wrapperIjLb1EEEEE10hipError_tT1_PNSt15iterator_traitsISK_E10value_typeET2_T3_PNSL_ISQ_E10value_typeET4_T5_PSV_SW_PNS1_23onesweep_lookback_stateEbbT6_jjT7_P12ihipStream_tbENKUlT_T0_SK_SP_E_clIPsSE_SF_SF_EEDaS13_S14_SK_SP_EUlS13_E_NS1_11comp_targetILNS1_3genE8ELNS1_11target_archE1030ELNS1_3gpuE2ELNS1_3repE0EEENS1_47radix_sort_onesweep_sort_config_static_selectorELNS0_4arch9wavefront6targetE1EEEvSK_, .Lfunc_end1976-_ZN7rocprim17ROCPRIM_400000_NS6detail17trampoline_kernelINS0_14default_configENS1_35radix_sort_onesweep_config_selectorIsNS0_10empty_typeEEEZZNS1_29radix_sort_onesweep_iterationIS3_Lb0EN6thrust23THRUST_200600_302600_NS6detail15normal_iteratorINS9_10device_ptrIsEEEESE_PS5_SF_jNS0_19identity_decomposerENS1_16block_id_wrapperIjLb1EEEEE10hipError_tT1_PNSt15iterator_traitsISK_E10value_typeET2_T3_PNSL_ISQ_E10value_typeET4_T5_PSV_SW_PNS1_23onesweep_lookback_stateEbbT6_jjT7_P12ihipStream_tbENKUlT_T0_SK_SP_E_clIPsSE_SF_SF_EEDaS13_S14_SK_SP_EUlS13_E_NS1_11comp_targetILNS1_3genE8ELNS1_11target_archE1030ELNS1_3gpuE2ELNS1_3repE0EEENS1_47radix_sort_onesweep_sort_config_static_selectorELNS0_4arch9wavefront6targetE1EEEvSK_
                                        ; -- End function
	.section	.AMDGPU.csdata,"",@progbits
; Kernel info:
; codeLenInByte = 0
; NumSgprs: 6
; NumVgprs: 0
; NumAgprs: 0
; TotalNumVgprs: 0
; ScratchSize: 0
; MemoryBound: 0
; FloatMode: 240
; IeeeMode: 1
; LDSByteSize: 0 bytes/workgroup (compile time only)
; SGPRBlocks: 0
; VGPRBlocks: 0
; NumSGPRsForWavesPerEU: 6
; NumVGPRsForWavesPerEU: 1
; AccumOffset: 4
; Occupancy: 8
; WaveLimiterHint : 0
; COMPUTE_PGM_RSRC2:SCRATCH_EN: 0
; COMPUTE_PGM_RSRC2:USER_SGPR: 2
; COMPUTE_PGM_RSRC2:TRAP_HANDLER: 0
; COMPUTE_PGM_RSRC2:TGID_X_EN: 1
; COMPUTE_PGM_RSRC2:TGID_Y_EN: 0
; COMPUTE_PGM_RSRC2:TGID_Z_EN: 0
; COMPUTE_PGM_RSRC2:TIDIG_COMP_CNT: 0
; COMPUTE_PGM_RSRC3_GFX90A:ACCUM_OFFSET: 0
; COMPUTE_PGM_RSRC3_GFX90A:TG_SPLIT: 0
	.section	.text._ZN7rocprim17ROCPRIM_400000_NS6detail17trampoline_kernelINS0_14default_configENS1_35radix_sort_onesweep_config_selectorIsNS0_10empty_typeEEEZZNS1_29radix_sort_onesweep_iterationIS3_Lb0EN6thrust23THRUST_200600_302600_NS6detail15normal_iteratorINS9_10device_ptrIsEEEESE_PS5_SF_jNS0_19identity_decomposerENS1_16block_id_wrapperIjLb0EEEEE10hipError_tT1_PNSt15iterator_traitsISK_E10value_typeET2_T3_PNSL_ISQ_E10value_typeET4_T5_PSV_SW_PNS1_23onesweep_lookback_stateEbbT6_jjT7_P12ihipStream_tbENKUlT_T0_SK_SP_E_clISE_SE_SF_SF_EEDaS13_S14_SK_SP_EUlS13_E_NS1_11comp_targetILNS1_3genE0ELNS1_11target_archE4294967295ELNS1_3gpuE0ELNS1_3repE0EEENS1_47radix_sort_onesweep_sort_config_static_selectorELNS0_4arch9wavefront6targetE1EEEvSK_,"axG",@progbits,_ZN7rocprim17ROCPRIM_400000_NS6detail17trampoline_kernelINS0_14default_configENS1_35radix_sort_onesweep_config_selectorIsNS0_10empty_typeEEEZZNS1_29radix_sort_onesweep_iterationIS3_Lb0EN6thrust23THRUST_200600_302600_NS6detail15normal_iteratorINS9_10device_ptrIsEEEESE_PS5_SF_jNS0_19identity_decomposerENS1_16block_id_wrapperIjLb0EEEEE10hipError_tT1_PNSt15iterator_traitsISK_E10value_typeET2_T3_PNSL_ISQ_E10value_typeET4_T5_PSV_SW_PNS1_23onesweep_lookback_stateEbbT6_jjT7_P12ihipStream_tbENKUlT_T0_SK_SP_E_clISE_SE_SF_SF_EEDaS13_S14_SK_SP_EUlS13_E_NS1_11comp_targetILNS1_3genE0ELNS1_11target_archE4294967295ELNS1_3gpuE0ELNS1_3repE0EEENS1_47radix_sort_onesweep_sort_config_static_selectorELNS0_4arch9wavefront6targetE1EEEvSK_,comdat
	.protected	_ZN7rocprim17ROCPRIM_400000_NS6detail17trampoline_kernelINS0_14default_configENS1_35radix_sort_onesweep_config_selectorIsNS0_10empty_typeEEEZZNS1_29radix_sort_onesweep_iterationIS3_Lb0EN6thrust23THRUST_200600_302600_NS6detail15normal_iteratorINS9_10device_ptrIsEEEESE_PS5_SF_jNS0_19identity_decomposerENS1_16block_id_wrapperIjLb0EEEEE10hipError_tT1_PNSt15iterator_traitsISK_E10value_typeET2_T3_PNSL_ISQ_E10value_typeET4_T5_PSV_SW_PNS1_23onesweep_lookback_stateEbbT6_jjT7_P12ihipStream_tbENKUlT_T0_SK_SP_E_clISE_SE_SF_SF_EEDaS13_S14_SK_SP_EUlS13_E_NS1_11comp_targetILNS1_3genE0ELNS1_11target_archE4294967295ELNS1_3gpuE0ELNS1_3repE0EEENS1_47radix_sort_onesweep_sort_config_static_selectorELNS0_4arch9wavefront6targetE1EEEvSK_ ; -- Begin function _ZN7rocprim17ROCPRIM_400000_NS6detail17trampoline_kernelINS0_14default_configENS1_35radix_sort_onesweep_config_selectorIsNS0_10empty_typeEEEZZNS1_29radix_sort_onesweep_iterationIS3_Lb0EN6thrust23THRUST_200600_302600_NS6detail15normal_iteratorINS9_10device_ptrIsEEEESE_PS5_SF_jNS0_19identity_decomposerENS1_16block_id_wrapperIjLb0EEEEE10hipError_tT1_PNSt15iterator_traitsISK_E10value_typeET2_T3_PNSL_ISQ_E10value_typeET4_T5_PSV_SW_PNS1_23onesweep_lookback_stateEbbT6_jjT7_P12ihipStream_tbENKUlT_T0_SK_SP_E_clISE_SE_SF_SF_EEDaS13_S14_SK_SP_EUlS13_E_NS1_11comp_targetILNS1_3genE0ELNS1_11target_archE4294967295ELNS1_3gpuE0ELNS1_3repE0EEENS1_47radix_sort_onesweep_sort_config_static_selectorELNS0_4arch9wavefront6targetE1EEEvSK_
	.globl	_ZN7rocprim17ROCPRIM_400000_NS6detail17trampoline_kernelINS0_14default_configENS1_35radix_sort_onesweep_config_selectorIsNS0_10empty_typeEEEZZNS1_29radix_sort_onesweep_iterationIS3_Lb0EN6thrust23THRUST_200600_302600_NS6detail15normal_iteratorINS9_10device_ptrIsEEEESE_PS5_SF_jNS0_19identity_decomposerENS1_16block_id_wrapperIjLb0EEEEE10hipError_tT1_PNSt15iterator_traitsISK_E10value_typeET2_T3_PNSL_ISQ_E10value_typeET4_T5_PSV_SW_PNS1_23onesweep_lookback_stateEbbT6_jjT7_P12ihipStream_tbENKUlT_T0_SK_SP_E_clISE_SE_SF_SF_EEDaS13_S14_SK_SP_EUlS13_E_NS1_11comp_targetILNS1_3genE0ELNS1_11target_archE4294967295ELNS1_3gpuE0ELNS1_3repE0EEENS1_47radix_sort_onesweep_sort_config_static_selectorELNS0_4arch9wavefront6targetE1EEEvSK_
	.p2align	8
	.type	_ZN7rocprim17ROCPRIM_400000_NS6detail17trampoline_kernelINS0_14default_configENS1_35radix_sort_onesweep_config_selectorIsNS0_10empty_typeEEEZZNS1_29radix_sort_onesweep_iterationIS3_Lb0EN6thrust23THRUST_200600_302600_NS6detail15normal_iteratorINS9_10device_ptrIsEEEESE_PS5_SF_jNS0_19identity_decomposerENS1_16block_id_wrapperIjLb0EEEEE10hipError_tT1_PNSt15iterator_traitsISK_E10value_typeET2_T3_PNSL_ISQ_E10value_typeET4_T5_PSV_SW_PNS1_23onesweep_lookback_stateEbbT6_jjT7_P12ihipStream_tbENKUlT_T0_SK_SP_E_clISE_SE_SF_SF_EEDaS13_S14_SK_SP_EUlS13_E_NS1_11comp_targetILNS1_3genE0ELNS1_11target_archE4294967295ELNS1_3gpuE0ELNS1_3repE0EEENS1_47radix_sort_onesweep_sort_config_static_selectorELNS0_4arch9wavefront6targetE1EEEvSK_,@function
_ZN7rocprim17ROCPRIM_400000_NS6detail17trampoline_kernelINS0_14default_configENS1_35radix_sort_onesweep_config_selectorIsNS0_10empty_typeEEEZZNS1_29radix_sort_onesweep_iterationIS3_Lb0EN6thrust23THRUST_200600_302600_NS6detail15normal_iteratorINS9_10device_ptrIsEEEESE_PS5_SF_jNS0_19identity_decomposerENS1_16block_id_wrapperIjLb0EEEEE10hipError_tT1_PNSt15iterator_traitsISK_E10value_typeET2_T3_PNSL_ISQ_E10value_typeET4_T5_PSV_SW_PNS1_23onesweep_lookback_stateEbbT6_jjT7_P12ihipStream_tbENKUlT_T0_SK_SP_E_clISE_SE_SF_SF_EEDaS13_S14_SK_SP_EUlS13_E_NS1_11comp_targetILNS1_3genE0ELNS1_11target_archE4294967295ELNS1_3gpuE0ELNS1_3repE0EEENS1_47radix_sort_onesweep_sort_config_static_selectorELNS0_4arch9wavefront6targetE1EEEvSK_: ; @_ZN7rocprim17ROCPRIM_400000_NS6detail17trampoline_kernelINS0_14default_configENS1_35radix_sort_onesweep_config_selectorIsNS0_10empty_typeEEEZZNS1_29radix_sort_onesweep_iterationIS3_Lb0EN6thrust23THRUST_200600_302600_NS6detail15normal_iteratorINS9_10device_ptrIsEEEESE_PS5_SF_jNS0_19identity_decomposerENS1_16block_id_wrapperIjLb0EEEEE10hipError_tT1_PNSt15iterator_traitsISK_E10value_typeET2_T3_PNSL_ISQ_E10value_typeET4_T5_PSV_SW_PNS1_23onesweep_lookback_stateEbbT6_jjT7_P12ihipStream_tbENKUlT_T0_SK_SP_E_clISE_SE_SF_SF_EEDaS13_S14_SK_SP_EUlS13_E_NS1_11comp_targetILNS1_3genE0ELNS1_11target_archE4294967295ELNS1_3gpuE0ELNS1_3repE0EEENS1_47radix_sort_onesweep_sort_config_static_selectorELNS0_4arch9wavefront6targetE1EEEvSK_
; %bb.0:
	.section	.rodata,"a",@progbits
	.p2align	6, 0x0
	.amdhsa_kernel _ZN7rocprim17ROCPRIM_400000_NS6detail17trampoline_kernelINS0_14default_configENS1_35radix_sort_onesweep_config_selectorIsNS0_10empty_typeEEEZZNS1_29radix_sort_onesweep_iterationIS3_Lb0EN6thrust23THRUST_200600_302600_NS6detail15normal_iteratorINS9_10device_ptrIsEEEESE_PS5_SF_jNS0_19identity_decomposerENS1_16block_id_wrapperIjLb0EEEEE10hipError_tT1_PNSt15iterator_traitsISK_E10value_typeET2_T3_PNSL_ISQ_E10value_typeET4_T5_PSV_SW_PNS1_23onesweep_lookback_stateEbbT6_jjT7_P12ihipStream_tbENKUlT_T0_SK_SP_E_clISE_SE_SF_SF_EEDaS13_S14_SK_SP_EUlS13_E_NS1_11comp_targetILNS1_3genE0ELNS1_11target_archE4294967295ELNS1_3gpuE0ELNS1_3repE0EEENS1_47radix_sort_onesweep_sort_config_static_selectorELNS0_4arch9wavefront6targetE1EEEvSK_
		.amdhsa_group_segment_fixed_size 0
		.amdhsa_private_segment_fixed_size 0
		.amdhsa_kernarg_size 88
		.amdhsa_user_sgpr_count 2
		.amdhsa_user_sgpr_dispatch_ptr 0
		.amdhsa_user_sgpr_queue_ptr 0
		.amdhsa_user_sgpr_kernarg_segment_ptr 1
		.amdhsa_user_sgpr_dispatch_id 0
		.amdhsa_user_sgpr_kernarg_preload_length 0
		.amdhsa_user_sgpr_kernarg_preload_offset 0
		.amdhsa_user_sgpr_private_segment_size 0
		.amdhsa_uses_dynamic_stack 0
		.amdhsa_enable_private_segment 0
		.amdhsa_system_sgpr_workgroup_id_x 1
		.amdhsa_system_sgpr_workgroup_id_y 0
		.amdhsa_system_sgpr_workgroup_id_z 0
		.amdhsa_system_sgpr_workgroup_info 0
		.amdhsa_system_vgpr_workitem_id 0
		.amdhsa_next_free_vgpr 1
		.amdhsa_next_free_sgpr 0
		.amdhsa_accum_offset 4
		.amdhsa_reserve_vcc 0
		.amdhsa_float_round_mode_32 0
		.amdhsa_float_round_mode_16_64 0
		.amdhsa_float_denorm_mode_32 3
		.amdhsa_float_denorm_mode_16_64 3
		.amdhsa_dx10_clamp 1
		.amdhsa_ieee_mode 1
		.amdhsa_fp16_overflow 0
		.amdhsa_tg_split 0
		.amdhsa_exception_fp_ieee_invalid_op 0
		.amdhsa_exception_fp_denorm_src 0
		.amdhsa_exception_fp_ieee_div_zero 0
		.amdhsa_exception_fp_ieee_overflow 0
		.amdhsa_exception_fp_ieee_underflow 0
		.amdhsa_exception_fp_ieee_inexact 0
		.amdhsa_exception_int_div_zero 0
	.end_amdhsa_kernel
	.section	.text._ZN7rocprim17ROCPRIM_400000_NS6detail17trampoline_kernelINS0_14default_configENS1_35radix_sort_onesweep_config_selectorIsNS0_10empty_typeEEEZZNS1_29radix_sort_onesweep_iterationIS3_Lb0EN6thrust23THRUST_200600_302600_NS6detail15normal_iteratorINS9_10device_ptrIsEEEESE_PS5_SF_jNS0_19identity_decomposerENS1_16block_id_wrapperIjLb0EEEEE10hipError_tT1_PNSt15iterator_traitsISK_E10value_typeET2_T3_PNSL_ISQ_E10value_typeET4_T5_PSV_SW_PNS1_23onesweep_lookback_stateEbbT6_jjT7_P12ihipStream_tbENKUlT_T0_SK_SP_E_clISE_SE_SF_SF_EEDaS13_S14_SK_SP_EUlS13_E_NS1_11comp_targetILNS1_3genE0ELNS1_11target_archE4294967295ELNS1_3gpuE0ELNS1_3repE0EEENS1_47radix_sort_onesweep_sort_config_static_selectorELNS0_4arch9wavefront6targetE1EEEvSK_,"axG",@progbits,_ZN7rocprim17ROCPRIM_400000_NS6detail17trampoline_kernelINS0_14default_configENS1_35radix_sort_onesweep_config_selectorIsNS0_10empty_typeEEEZZNS1_29radix_sort_onesweep_iterationIS3_Lb0EN6thrust23THRUST_200600_302600_NS6detail15normal_iteratorINS9_10device_ptrIsEEEESE_PS5_SF_jNS0_19identity_decomposerENS1_16block_id_wrapperIjLb0EEEEE10hipError_tT1_PNSt15iterator_traitsISK_E10value_typeET2_T3_PNSL_ISQ_E10value_typeET4_T5_PSV_SW_PNS1_23onesweep_lookback_stateEbbT6_jjT7_P12ihipStream_tbENKUlT_T0_SK_SP_E_clISE_SE_SF_SF_EEDaS13_S14_SK_SP_EUlS13_E_NS1_11comp_targetILNS1_3genE0ELNS1_11target_archE4294967295ELNS1_3gpuE0ELNS1_3repE0EEENS1_47radix_sort_onesweep_sort_config_static_selectorELNS0_4arch9wavefront6targetE1EEEvSK_,comdat
.Lfunc_end1977:
	.size	_ZN7rocprim17ROCPRIM_400000_NS6detail17trampoline_kernelINS0_14default_configENS1_35radix_sort_onesweep_config_selectorIsNS0_10empty_typeEEEZZNS1_29radix_sort_onesweep_iterationIS3_Lb0EN6thrust23THRUST_200600_302600_NS6detail15normal_iteratorINS9_10device_ptrIsEEEESE_PS5_SF_jNS0_19identity_decomposerENS1_16block_id_wrapperIjLb0EEEEE10hipError_tT1_PNSt15iterator_traitsISK_E10value_typeET2_T3_PNSL_ISQ_E10value_typeET4_T5_PSV_SW_PNS1_23onesweep_lookback_stateEbbT6_jjT7_P12ihipStream_tbENKUlT_T0_SK_SP_E_clISE_SE_SF_SF_EEDaS13_S14_SK_SP_EUlS13_E_NS1_11comp_targetILNS1_3genE0ELNS1_11target_archE4294967295ELNS1_3gpuE0ELNS1_3repE0EEENS1_47radix_sort_onesweep_sort_config_static_selectorELNS0_4arch9wavefront6targetE1EEEvSK_, .Lfunc_end1977-_ZN7rocprim17ROCPRIM_400000_NS6detail17trampoline_kernelINS0_14default_configENS1_35radix_sort_onesweep_config_selectorIsNS0_10empty_typeEEEZZNS1_29radix_sort_onesweep_iterationIS3_Lb0EN6thrust23THRUST_200600_302600_NS6detail15normal_iteratorINS9_10device_ptrIsEEEESE_PS5_SF_jNS0_19identity_decomposerENS1_16block_id_wrapperIjLb0EEEEE10hipError_tT1_PNSt15iterator_traitsISK_E10value_typeET2_T3_PNSL_ISQ_E10value_typeET4_T5_PSV_SW_PNS1_23onesweep_lookback_stateEbbT6_jjT7_P12ihipStream_tbENKUlT_T0_SK_SP_E_clISE_SE_SF_SF_EEDaS13_S14_SK_SP_EUlS13_E_NS1_11comp_targetILNS1_3genE0ELNS1_11target_archE4294967295ELNS1_3gpuE0ELNS1_3repE0EEENS1_47radix_sort_onesweep_sort_config_static_selectorELNS0_4arch9wavefront6targetE1EEEvSK_
                                        ; -- End function
	.section	.AMDGPU.csdata,"",@progbits
; Kernel info:
; codeLenInByte = 0
; NumSgprs: 6
; NumVgprs: 0
; NumAgprs: 0
; TotalNumVgprs: 0
; ScratchSize: 0
; MemoryBound: 0
; FloatMode: 240
; IeeeMode: 1
; LDSByteSize: 0 bytes/workgroup (compile time only)
; SGPRBlocks: 0
; VGPRBlocks: 0
; NumSGPRsForWavesPerEU: 6
; NumVGPRsForWavesPerEU: 1
; AccumOffset: 4
; Occupancy: 8
; WaveLimiterHint : 0
; COMPUTE_PGM_RSRC2:SCRATCH_EN: 0
; COMPUTE_PGM_RSRC2:USER_SGPR: 2
; COMPUTE_PGM_RSRC2:TRAP_HANDLER: 0
; COMPUTE_PGM_RSRC2:TGID_X_EN: 1
; COMPUTE_PGM_RSRC2:TGID_Y_EN: 0
; COMPUTE_PGM_RSRC2:TGID_Z_EN: 0
; COMPUTE_PGM_RSRC2:TIDIG_COMP_CNT: 0
; COMPUTE_PGM_RSRC3_GFX90A:ACCUM_OFFSET: 0
; COMPUTE_PGM_RSRC3_GFX90A:TG_SPLIT: 0
	.section	.text._ZN7rocprim17ROCPRIM_400000_NS6detail17trampoline_kernelINS0_14default_configENS1_35radix_sort_onesweep_config_selectorIsNS0_10empty_typeEEEZZNS1_29radix_sort_onesweep_iterationIS3_Lb0EN6thrust23THRUST_200600_302600_NS6detail15normal_iteratorINS9_10device_ptrIsEEEESE_PS5_SF_jNS0_19identity_decomposerENS1_16block_id_wrapperIjLb0EEEEE10hipError_tT1_PNSt15iterator_traitsISK_E10value_typeET2_T3_PNSL_ISQ_E10value_typeET4_T5_PSV_SW_PNS1_23onesweep_lookback_stateEbbT6_jjT7_P12ihipStream_tbENKUlT_T0_SK_SP_E_clISE_SE_SF_SF_EEDaS13_S14_SK_SP_EUlS13_E_NS1_11comp_targetILNS1_3genE6ELNS1_11target_archE950ELNS1_3gpuE13ELNS1_3repE0EEENS1_47radix_sort_onesweep_sort_config_static_selectorELNS0_4arch9wavefront6targetE1EEEvSK_,"axG",@progbits,_ZN7rocprim17ROCPRIM_400000_NS6detail17trampoline_kernelINS0_14default_configENS1_35radix_sort_onesweep_config_selectorIsNS0_10empty_typeEEEZZNS1_29radix_sort_onesweep_iterationIS3_Lb0EN6thrust23THRUST_200600_302600_NS6detail15normal_iteratorINS9_10device_ptrIsEEEESE_PS5_SF_jNS0_19identity_decomposerENS1_16block_id_wrapperIjLb0EEEEE10hipError_tT1_PNSt15iterator_traitsISK_E10value_typeET2_T3_PNSL_ISQ_E10value_typeET4_T5_PSV_SW_PNS1_23onesweep_lookback_stateEbbT6_jjT7_P12ihipStream_tbENKUlT_T0_SK_SP_E_clISE_SE_SF_SF_EEDaS13_S14_SK_SP_EUlS13_E_NS1_11comp_targetILNS1_3genE6ELNS1_11target_archE950ELNS1_3gpuE13ELNS1_3repE0EEENS1_47radix_sort_onesweep_sort_config_static_selectorELNS0_4arch9wavefront6targetE1EEEvSK_,comdat
	.protected	_ZN7rocprim17ROCPRIM_400000_NS6detail17trampoline_kernelINS0_14default_configENS1_35radix_sort_onesweep_config_selectorIsNS0_10empty_typeEEEZZNS1_29radix_sort_onesweep_iterationIS3_Lb0EN6thrust23THRUST_200600_302600_NS6detail15normal_iteratorINS9_10device_ptrIsEEEESE_PS5_SF_jNS0_19identity_decomposerENS1_16block_id_wrapperIjLb0EEEEE10hipError_tT1_PNSt15iterator_traitsISK_E10value_typeET2_T3_PNSL_ISQ_E10value_typeET4_T5_PSV_SW_PNS1_23onesweep_lookback_stateEbbT6_jjT7_P12ihipStream_tbENKUlT_T0_SK_SP_E_clISE_SE_SF_SF_EEDaS13_S14_SK_SP_EUlS13_E_NS1_11comp_targetILNS1_3genE6ELNS1_11target_archE950ELNS1_3gpuE13ELNS1_3repE0EEENS1_47radix_sort_onesweep_sort_config_static_selectorELNS0_4arch9wavefront6targetE1EEEvSK_ ; -- Begin function _ZN7rocprim17ROCPRIM_400000_NS6detail17trampoline_kernelINS0_14default_configENS1_35radix_sort_onesweep_config_selectorIsNS0_10empty_typeEEEZZNS1_29radix_sort_onesweep_iterationIS3_Lb0EN6thrust23THRUST_200600_302600_NS6detail15normal_iteratorINS9_10device_ptrIsEEEESE_PS5_SF_jNS0_19identity_decomposerENS1_16block_id_wrapperIjLb0EEEEE10hipError_tT1_PNSt15iterator_traitsISK_E10value_typeET2_T3_PNSL_ISQ_E10value_typeET4_T5_PSV_SW_PNS1_23onesweep_lookback_stateEbbT6_jjT7_P12ihipStream_tbENKUlT_T0_SK_SP_E_clISE_SE_SF_SF_EEDaS13_S14_SK_SP_EUlS13_E_NS1_11comp_targetILNS1_3genE6ELNS1_11target_archE950ELNS1_3gpuE13ELNS1_3repE0EEENS1_47radix_sort_onesweep_sort_config_static_selectorELNS0_4arch9wavefront6targetE1EEEvSK_
	.globl	_ZN7rocprim17ROCPRIM_400000_NS6detail17trampoline_kernelINS0_14default_configENS1_35radix_sort_onesweep_config_selectorIsNS0_10empty_typeEEEZZNS1_29radix_sort_onesweep_iterationIS3_Lb0EN6thrust23THRUST_200600_302600_NS6detail15normal_iteratorINS9_10device_ptrIsEEEESE_PS5_SF_jNS0_19identity_decomposerENS1_16block_id_wrapperIjLb0EEEEE10hipError_tT1_PNSt15iterator_traitsISK_E10value_typeET2_T3_PNSL_ISQ_E10value_typeET4_T5_PSV_SW_PNS1_23onesweep_lookback_stateEbbT6_jjT7_P12ihipStream_tbENKUlT_T0_SK_SP_E_clISE_SE_SF_SF_EEDaS13_S14_SK_SP_EUlS13_E_NS1_11comp_targetILNS1_3genE6ELNS1_11target_archE950ELNS1_3gpuE13ELNS1_3repE0EEENS1_47radix_sort_onesweep_sort_config_static_selectorELNS0_4arch9wavefront6targetE1EEEvSK_
	.p2align	8
	.type	_ZN7rocprim17ROCPRIM_400000_NS6detail17trampoline_kernelINS0_14default_configENS1_35radix_sort_onesweep_config_selectorIsNS0_10empty_typeEEEZZNS1_29radix_sort_onesweep_iterationIS3_Lb0EN6thrust23THRUST_200600_302600_NS6detail15normal_iteratorINS9_10device_ptrIsEEEESE_PS5_SF_jNS0_19identity_decomposerENS1_16block_id_wrapperIjLb0EEEEE10hipError_tT1_PNSt15iterator_traitsISK_E10value_typeET2_T3_PNSL_ISQ_E10value_typeET4_T5_PSV_SW_PNS1_23onesweep_lookback_stateEbbT6_jjT7_P12ihipStream_tbENKUlT_T0_SK_SP_E_clISE_SE_SF_SF_EEDaS13_S14_SK_SP_EUlS13_E_NS1_11comp_targetILNS1_3genE6ELNS1_11target_archE950ELNS1_3gpuE13ELNS1_3repE0EEENS1_47radix_sort_onesweep_sort_config_static_selectorELNS0_4arch9wavefront6targetE1EEEvSK_,@function
_ZN7rocprim17ROCPRIM_400000_NS6detail17trampoline_kernelINS0_14default_configENS1_35radix_sort_onesweep_config_selectorIsNS0_10empty_typeEEEZZNS1_29radix_sort_onesweep_iterationIS3_Lb0EN6thrust23THRUST_200600_302600_NS6detail15normal_iteratorINS9_10device_ptrIsEEEESE_PS5_SF_jNS0_19identity_decomposerENS1_16block_id_wrapperIjLb0EEEEE10hipError_tT1_PNSt15iterator_traitsISK_E10value_typeET2_T3_PNSL_ISQ_E10value_typeET4_T5_PSV_SW_PNS1_23onesweep_lookback_stateEbbT6_jjT7_P12ihipStream_tbENKUlT_T0_SK_SP_E_clISE_SE_SF_SF_EEDaS13_S14_SK_SP_EUlS13_E_NS1_11comp_targetILNS1_3genE6ELNS1_11target_archE950ELNS1_3gpuE13ELNS1_3repE0EEENS1_47radix_sort_onesweep_sort_config_static_selectorELNS0_4arch9wavefront6targetE1EEEvSK_: ; @_ZN7rocprim17ROCPRIM_400000_NS6detail17trampoline_kernelINS0_14default_configENS1_35radix_sort_onesweep_config_selectorIsNS0_10empty_typeEEEZZNS1_29radix_sort_onesweep_iterationIS3_Lb0EN6thrust23THRUST_200600_302600_NS6detail15normal_iteratorINS9_10device_ptrIsEEEESE_PS5_SF_jNS0_19identity_decomposerENS1_16block_id_wrapperIjLb0EEEEE10hipError_tT1_PNSt15iterator_traitsISK_E10value_typeET2_T3_PNSL_ISQ_E10value_typeET4_T5_PSV_SW_PNS1_23onesweep_lookback_stateEbbT6_jjT7_P12ihipStream_tbENKUlT_T0_SK_SP_E_clISE_SE_SF_SF_EEDaS13_S14_SK_SP_EUlS13_E_NS1_11comp_targetILNS1_3genE6ELNS1_11target_archE950ELNS1_3gpuE13ELNS1_3repE0EEENS1_47radix_sort_onesweep_sort_config_static_selectorELNS0_4arch9wavefront6targetE1EEEvSK_
; %bb.0:
	.section	.rodata,"a",@progbits
	.p2align	6, 0x0
	.amdhsa_kernel _ZN7rocprim17ROCPRIM_400000_NS6detail17trampoline_kernelINS0_14default_configENS1_35radix_sort_onesweep_config_selectorIsNS0_10empty_typeEEEZZNS1_29radix_sort_onesweep_iterationIS3_Lb0EN6thrust23THRUST_200600_302600_NS6detail15normal_iteratorINS9_10device_ptrIsEEEESE_PS5_SF_jNS0_19identity_decomposerENS1_16block_id_wrapperIjLb0EEEEE10hipError_tT1_PNSt15iterator_traitsISK_E10value_typeET2_T3_PNSL_ISQ_E10value_typeET4_T5_PSV_SW_PNS1_23onesweep_lookback_stateEbbT6_jjT7_P12ihipStream_tbENKUlT_T0_SK_SP_E_clISE_SE_SF_SF_EEDaS13_S14_SK_SP_EUlS13_E_NS1_11comp_targetILNS1_3genE6ELNS1_11target_archE950ELNS1_3gpuE13ELNS1_3repE0EEENS1_47radix_sort_onesweep_sort_config_static_selectorELNS0_4arch9wavefront6targetE1EEEvSK_
		.amdhsa_group_segment_fixed_size 0
		.amdhsa_private_segment_fixed_size 0
		.amdhsa_kernarg_size 88
		.amdhsa_user_sgpr_count 2
		.amdhsa_user_sgpr_dispatch_ptr 0
		.amdhsa_user_sgpr_queue_ptr 0
		.amdhsa_user_sgpr_kernarg_segment_ptr 1
		.amdhsa_user_sgpr_dispatch_id 0
		.amdhsa_user_sgpr_kernarg_preload_length 0
		.amdhsa_user_sgpr_kernarg_preload_offset 0
		.amdhsa_user_sgpr_private_segment_size 0
		.amdhsa_uses_dynamic_stack 0
		.amdhsa_enable_private_segment 0
		.amdhsa_system_sgpr_workgroup_id_x 1
		.amdhsa_system_sgpr_workgroup_id_y 0
		.amdhsa_system_sgpr_workgroup_id_z 0
		.amdhsa_system_sgpr_workgroup_info 0
		.amdhsa_system_vgpr_workitem_id 0
		.amdhsa_next_free_vgpr 1
		.amdhsa_next_free_sgpr 0
		.amdhsa_accum_offset 4
		.amdhsa_reserve_vcc 0
		.amdhsa_float_round_mode_32 0
		.amdhsa_float_round_mode_16_64 0
		.amdhsa_float_denorm_mode_32 3
		.amdhsa_float_denorm_mode_16_64 3
		.amdhsa_dx10_clamp 1
		.amdhsa_ieee_mode 1
		.amdhsa_fp16_overflow 0
		.amdhsa_tg_split 0
		.amdhsa_exception_fp_ieee_invalid_op 0
		.amdhsa_exception_fp_denorm_src 0
		.amdhsa_exception_fp_ieee_div_zero 0
		.amdhsa_exception_fp_ieee_overflow 0
		.amdhsa_exception_fp_ieee_underflow 0
		.amdhsa_exception_fp_ieee_inexact 0
		.amdhsa_exception_int_div_zero 0
	.end_amdhsa_kernel
	.section	.text._ZN7rocprim17ROCPRIM_400000_NS6detail17trampoline_kernelINS0_14default_configENS1_35radix_sort_onesweep_config_selectorIsNS0_10empty_typeEEEZZNS1_29radix_sort_onesweep_iterationIS3_Lb0EN6thrust23THRUST_200600_302600_NS6detail15normal_iteratorINS9_10device_ptrIsEEEESE_PS5_SF_jNS0_19identity_decomposerENS1_16block_id_wrapperIjLb0EEEEE10hipError_tT1_PNSt15iterator_traitsISK_E10value_typeET2_T3_PNSL_ISQ_E10value_typeET4_T5_PSV_SW_PNS1_23onesweep_lookback_stateEbbT6_jjT7_P12ihipStream_tbENKUlT_T0_SK_SP_E_clISE_SE_SF_SF_EEDaS13_S14_SK_SP_EUlS13_E_NS1_11comp_targetILNS1_3genE6ELNS1_11target_archE950ELNS1_3gpuE13ELNS1_3repE0EEENS1_47radix_sort_onesweep_sort_config_static_selectorELNS0_4arch9wavefront6targetE1EEEvSK_,"axG",@progbits,_ZN7rocprim17ROCPRIM_400000_NS6detail17trampoline_kernelINS0_14default_configENS1_35radix_sort_onesweep_config_selectorIsNS0_10empty_typeEEEZZNS1_29radix_sort_onesweep_iterationIS3_Lb0EN6thrust23THRUST_200600_302600_NS6detail15normal_iteratorINS9_10device_ptrIsEEEESE_PS5_SF_jNS0_19identity_decomposerENS1_16block_id_wrapperIjLb0EEEEE10hipError_tT1_PNSt15iterator_traitsISK_E10value_typeET2_T3_PNSL_ISQ_E10value_typeET4_T5_PSV_SW_PNS1_23onesweep_lookback_stateEbbT6_jjT7_P12ihipStream_tbENKUlT_T0_SK_SP_E_clISE_SE_SF_SF_EEDaS13_S14_SK_SP_EUlS13_E_NS1_11comp_targetILNS1_3genE6ELNS1_11target_archE950ELNS1_3gpuE13ELNS1_3repE0EEENS1_47radix_sort_onesweep_sort_config_static_selectorELNS0_4arch9wavefront6targetE1EEEvSK_,comdat
.Lfunc_end1978:
	.size	_ZN7rocprim17ROCPRIM_400000_NS6detail17trampoline_kernelINS0_14default_configENS1_35radix_sort_onesweep_config_selectorIsNS0_10empty_typeEEEZZNS1_29radix_sort_onesweep_iterationIS3_Lb0EN6thrust23THRUST_200600_302600_NS6detail15normal_iteratorINS9_10device_ptrIsEEEESE_PS5_SF_jNS0_19identity_decomposerENS1_16block_id_wrapperIjLb0EEEEE10hipError_tT1_PNSt15iterator_traitsISK_E10value_typeET2_T3_PNSL_ISQ_E10value_typeET4_T5_PSV_SW_PNS1_23onesweep_lookback_stateEbbT6_jjT7_P12ihipStream_tbENKUlT_T0_SK_SP_E_clISE_SE_SF_SF_EEDaS13_S14_SK_SP_EUlS13_E_NS1_11comp_targetILNS1_3genE6ELNS1_11target_archE950ELNS1_3gpuE13ELNS1_3repE0EEENS1_47radix_sort_onesweep_sort_config_static_selectorELNS0_4arch9wavefront6targetE1EEEvSK_, .Lfunc_end1978-_ZN7rocprim17ROCPRIM_400000_NS6detail17trampoline_kernelINS0_14default_configENS1_35radix_sort_onesweep_config_selectorIsNS0_10empty_typeEEEZZNS1_29radix_sort_onesweep_iterationIS3_Lb0EN6thrust23THRUST_200600_302600_NS6detail15normal_iteratorINS9_10device_ptrIsEEEESE_PS5_SF_jNS0_19identity_decomposerENS1_16block_id_wrapperIjLb0EEEEE10hipError_tT1_PNSt15iterator_traitsISK_E10value_typeET2_T3_PNSL_ISQ_E10value_typeET4_T5_PSV_SW_PNS1_23onesweep_lookback_stateEbbT6_jjT7_P12ihipStream_tbENKUlT_T0_SK_SP_E_clISE_SE_SF_SF_EEDaS13_S14_SK_SP_EUlS13_E_NS1_11comp_targetILNS1_3genE6ELNS1_11target_archE950ELNS1_3gpuE13ELNS1_3repE0EEENS1_47radix_sort_onesweep_sort_config_static_selectorELNS0_4arch9wavefront6targetE1EEEvSK_
                                        ; -- End function
	.section	.AMDGPU.csdata,"",@progbits
; Kernel info:
; codeLenInByte = 0
; NumSgprs: 6
; NumVgprs: 0
; NumAgprs: 0
; TotalNumVgprs: 0
; ScratchSize: 0
; MemoryBound: 0
; FloatMode: 240
; IeeeMode: 1
; LDSByteSize: 0 bytes/workgroup (compile time only)
; SGPRBlocks: 0
; VGPRBlocks: 0
; NumSGPRsForWavesPerEU: 6
; NumVGPRsForWavesPerEU: 1
; AccumOffset: 4
; Occupancy: 8
; WaveLimiterHint : 0
; COMPUTE_PGM_RSRC2:SCRATCH_EN: 0
; COMPUTE_PGM_RSRC2:USER_SGPR: 2
; COMPUTE_PGM_RSRC2:TRAP_HANDLER: 0
; COMPUTE_PGM_RSRC2:TGID_X_EN: 1
; COMPUTE_PGM_RSRC2:TGID_Y_EN: 0
; COMPUTE_PGM_RSRC2:TGID_Z_EN: 0
; COMPUTE_PGM_RSRC2:TIDIG_COMP_CNT: 0
; COMPUTE_PGM_RSRC3_GFX90A:ACCUM_OFFSET: 0
; COMPUTE_PGM_RSRC3_GFX90A:TG_SPLIT: 0
	.section	.text._ZN7rocprim17ROCPRIM_400000_NS6detail17trampoline_kernelINS0_14default_configENS1_35radix_sort_onesweep_config_selectorIsNS0_10empty_typeEEEZZNS1_29radix_sort_onesweep_iterationIS3_Lb0EN6thrust23THRUST_200600_302600_NS6detail15normal_iteratorINS9_10device_ptrIsEEEESE_PS5_SF_jNS0_19identity_decomposerENS1_16block_id_wrapperIjLb0EEEEE10hipError_tT1_PNSt15iterator_traitsISK_E10value_typeET2_T3_PNSL_ISQ_E10value_typeET4_T5_PSV_SW_PNS1_23onesweep_lookback_stateEbbT6_jjT7_P12ihipStream_tbENKUlT_T0_SK_SP_E_clISE_SE_SF_SF_EEDaS13_S14_SK_SP_EUlS13_E_NS1_11comp_targetILNS1_3genE5ELNS1_11target_archE942ELNS1_3gpuE9ELNS1_3repE0EEENS1_47radix_sort_onesweep_sort_config_static_selectorELNS0_4arch9wavefront6targetE1EEEvSK_,"axG",@progbits,_ZN7rocprim17ROCPRIM_400000_NS6detail17trampoline_kernelINS0_14default_configENS1_35radix_sort_onesweep_config_selectorIsNS0_10empty_typeEEEZZNS1_29radix_sort_onesweep_iterationIS3_Lb0EN6thrust23THRUST_200600_302600_NS6detail15normal_iteratorINS9_10device_ptrIsEEEESE_PS5_SF_jNS0_19identity_decomposerENS1_16block_id_wrapperIjLb0EEEEE10hipError_tT1_PNSt15iterator_traitsISK_E10value_typeET2_T3_PNSL_ISQ_E10value_typeET4_T5_PSV_SW_PNS1_23onesweep_lookback_stateEbbT6_jjT7_P12ihipStream_tbENKUlT_T0_SK_SP_E_clISE_SE_SF_SF_EEDaS13_S14_SK_SP_EUlS13_E_NS1_11comp_targetILNS1_3genE5ELNS1_11target_archE942ELNS1_3gpuE9ELNS1_3repE0EEENS1_47radix_sort_onesweep_sort_config_static_selectorELNS0_4arch9wavefront6targetE1EEEvSK_,comdat
	.protected	_ZN7rocprim17ROCPRIM_400000_NS6detail17trampoline_kernelINS0_14default_configENS1_35radix_sort_onesweep_config_selectorIsNS0_10empty_typeEEEZZNS1_29radix_sort_onesweep_iterationIS3_Lb0EN6thrust23THRUST_200600_302600_NS6detail15normal_iteratorINS9_10device_ptrIsEEEESE_PS5_SF_jNS0_19identity_decomposerENS1_16block_id_wrapperIjLb0EEEEE10hipError_tT1_PNSt15iterator_traitsISK_E10value_typeET2_T3_PNSL_ISQ_E10value_typeET4_T5_PSV_SW_PNS1_23onesweep_lookback_stateEbbT6_jjT7_P12ihipStream_tbENKUlT_T0_SK_SP_E_clISE_SE_SF_SF_EEDaS13_S14_SK_SP_EUlS13_E_NS1_11comp_targetILNS1_3genE5ELNS1_11target_archE942ELNS1_3gpuE9ELNS1_3repE0EEENS1_47radix_sort_onesweep_sort_config_static_selectorELNS0_4arch9wavefront6targetE1EEEvSK_ ; -- Begin function _ZN7rocprim17ROCPRIM_400000_NS6detail17trampoline_kernelINS0_14default_configENS1_35radix_sort_onesweep_config_selectorIsNS0_10empty_typeEEEZZNS1_29radix_sort_onesweep_iterationIS3_Lb0EN6thrust23THRUST_200600_302600_NS6detail15normal_iteratorINS9_10device_ptrIsEEEESE_PS5_SF_jNS0_19identity_decomposerENS1_16block_id_wrapperIjLb0EEEEE10hipError_tT1_PNSt15iterator_traitsISK_E10value_typeET2_T3_PNSL_ISQ_E10value_typeET4_T5_PSV_SW_PNS1_23onesweep_lookback_stateEbbT6_jjT7_P12ihipStream_tbENKUlT_T0_SK_SP_E_clISE_SE_SF_SF_EEDaS13_S14_SK_SP_EUlS13_E_NS1_11comp_targetILNS1_3genE5ELNS1_11target_archE942ELNS1_3gpuE9ELNS1_3repE0EEENS1_47radix_sort_onesweep_sort_config_static_selectorELNS0_4arch9wavefront6targetE1EEEvSK_
	.globl	_ZN7rocprim17ROCPRIM_400000_NS6detail17trampoline_kernelINS0_14default_configENS1_35radix_sort_onesweep_config_selectorIsNS0_10empty_typeEEEZZNS1_29radix_sort_onesweep_iterationIS3_Lb0EN6thrust23THRUST_200600_302600_NS6detail15normal_iteratorINS9_10device_ptrIsEEEESE_PS5_SF_jNS0_19identity_decomposerENS1_16block_id_wrapperIjLb0EEEEE10hipError_tT1_PNSt15iterator_traitsISK_E10value_typeET2_T3_PNSL_ISQ_E10value_typeET4_T5_PSV_SW_PNS1_23onesweep_lookback_stateEbbT6_jjT7_P12ihipStream_tbENKUlT_T0_SK_SP_E_clISE_SE_SF_SF_EEDaS13_S14_SK_SP_EUlS13_E_NS1_11comp_targetILNS1_3genE5ELNS1_11target_archE942ELNS1_3gpuE9ELNS1_3repE0EEENS1_47radix_sort_onesweep_sort_config_static_selectorELNS0_4arch9wavefront6targetE1EEEvSK_
	.p2align	8
	.type	_ZN7rocprim17ROCPRIM_400000_NS6detail17trampoline_kernelINS0_14default_configENS1_35radix_sort_onesweep_config_selectorIsNS0_10empty_typeEEEZZNS1_29radix_sort_onesweep_iterationIS3_Lb0EN6thrust23THRUST_200600_302600_NS6detail15normal_iteratorINS9_10device_ptrIsEEEESE_PS5_SF_jNS0_19identity_decomposerENS1_16block_id_wrapperIjLb0EEEEE10hipError_tT1_PNSt15iterator_traitsISK_E10value_typeET2_T3_PNSL_ISQ_E10value_typeET4_T5_PSV_SW_PNS1_23onesweep_lookback_stateEbbT6_jjT7_P12ihipStream_tbENKUlT_T0_SK_SP_E_clISE_SE_SF_SF_EEDaS13_S14_SK_SP_EUlS13_E_NS1_11comp_targetILNS1_3genE5ELNS1_11target_archE942ELNS1_3gpuE9ELNS1_3repE0EEENS1_47radix_sort_onesweep_sort_config_static_selectorELNS0_4arch9wavefront6targetE1EEEvSK_,@function
_ZN7rocprim17ROCPRIM_400000_NS6detail17trampoline_kernelINS0_14default_configENS1_35radix_sort_onesweep_config_selectorIsNS0_10empty_typeEEEZZNS1_29radix_sort_onesweep_iterationIS3_Lb0EN6thrust23THRUST_200600_302600_NS6detail15normal_iteratorINS9_10device_ptrIsEEEESE_PS5_SF_jNS0_19identity_decomposerENS1_16block_id_wrapperIjLb0EEEEE10hipError_tT1_PNSt15iterator_traitsISK_E10value_typeET2_T3_PNSL_ISQ_E10value_typeET4_T5_PSV_SW_PNS1_23onesweep_lookback_stateEbbT6_jjT7_P12ihipStream_tbENKUlT_T0_SK_SP_E_clISE_SE_SF_SF_EEDaS13_S14_SK_SP_EUlS13_E_NS1_11comp_targetILNS1_3genE5ELNS1_11target_archE942ELNS1_3gpuE9ELNS1_3repE0EEENS1_47radix_sort_onesweep_sort_config_static_selectorELNS0_4arch9wavefront6targetE1EEEvSK_: ; @_ZN7rocprim17ROCPRIM_400000_NS6detail17trampoline_kernelINS0_14default_configENS1_35radix_sort_onesweep_config_selectorIsNS0_10empty_typeEEEZZNS1_29radix_sort_onesweep_iterationIS3_Lb0EN6thrust23THRUST_200600_302600_NS6detail15normal_iteratorINS9_10device_ptrIsEEEESE_PS5_SF_jNS0_19identity_decomposerENS1_16block_id_wrapperIjLb0EEEEE10hipError_tT1_PNSt15iterator_traitsISK_E10value_typeET2_T3_PNSL_ISQ_E10value_typeET4_T5_PSV_SW_PNS1_23onesweep_lookback_stateEbbT6_jjT7_P12ihipStream_tbENKUlT_T0_SK_SP_E_clISE_SE_SF_SF_EEDaS13_S14_SK_SP_EUlS13_E_NS1_11comp_targetILNS1_3genE5ELNS1_11target_archE942ELNS1_3gpuE9ELNS1_3repE0EEENS1_47radix_sort_onesweep_sort_config_static_selectorELNS0_4arch9wavefront6targetE1EEEvSK_
; %bb.0:
	s_load_dwordx4 s[24:27], s[0:1], 0x44
	s_load_dwordx2 s[28:29], s[0:1], 0x38
	s_load_dwordx4 s[20:23], s[0:1], 0x0
	s_load_dwordx4 s[16:19], s[0:1], 0x28
	s_mul_i32 s30, s2, 0x3000
	s_waitcnt lgkmcnt(0)
	s_cmp_ge_u32 s2, s26
	v_mbcnt_lo_u32_b32 v1, -1, 0
	s_cbranch_scc0 .LBB1979_96
; %bb.1:
	s_load_dword s3, s[0:1], 0x20
	s_mul_i32 s6, s26, 0xffffd000
	s_mov_b32 s31, 0
	v_and_b32_e32 v10, 0x3ff, v0
	s_lshl_b64 s[4:5], s[30:31], 1
	s_waitcnt lgkmcnt(0)
	s_add_i32 s3, s3, s6
	v_mbcnt_hi_u32_b32 v11, -1, v1
	s_add_u32 s4, s20, s4
	v_and_b32_e32 v6, 63, v11
	v_and_b32_e32 v2, 0x3c0, v10
	s_addc_u32 s5, s21, s5
	v_mul_u32_u24_e32 v7, 12, v2
	v_lshlrev_b32_e32 v2, 1, v6
	v_mov_b32_e32 v3, 0
	v_lshl_add_u64 v[4:5], s[4:5], 0, v[2:3]
	s_mov_b32 s4, 0x7fff7fff
	v_lshlrev_b32_e32 v2, 1, v7
	s_mov_b32 s5, s4
	v_lshl_add_u64 v[12:13], v[4:5], 0, v[2:3]
	v_or_b32_e32 v14, v6, v7
	s_mov_b32 s6, s4
	s_mov_b32 s7, s4
	;; [unrolled: 1-line block ×4, first 2 shown]
	v_mov_b64_e32 v[2:3], s[4:5]
	v_cmp_gt_u32_e32 vcc, s3, v14
	v_mov_b64_e32 v[4:5], s[6:7]
	v_mov_b64_e32 v[6:7], s[8:9]
	;; [unrolled: 1-line block ×3, first 2 shown]
	s_and_saveexec_b64 s[4:5], vcc
	s_cbranch_execz .LBB1979_3
; %bb.2:
	global_load_ushort v2, v[12:13], off
	s_movk_i32 s6, 0x7fff
	v_mov_b32_e32 v7, 0x5040100
	v_mov_b32_e32 v3, 0x7fff7fff
	v_mov_b32_e32 v4, v3
	v_mov_b32_e32 v5, v3
	v_mov_b32_e32 v6, v3
	s_waitcnt vmcnt(0)
	v_perm_b32 v2, s6, v2, v7
	v_mov_b32_e32 v7, v3
.LBB1979_3:
	s_or_b64 exec, exec, s[4:5]
	v_or_b32_e32 v8, 64, v14
	v_cmp_gt_u32_e32 vcc, s3, v8
	s_and_saveexec_b64 s[4:5], vcc
	s_cbranch_execz .LBB1979_5
; %bb.4:
	global_load_ushort v8, v[12:13], off offset:128
	s_mov_b32 s6, 0x5040100
	s_waitcnt vmcnt(0)
	v_perm_b32 v2, v8, v2, s6
.LBB1979_5:
	s_or_b64 exec, exec, s[4:5]
	v_or_b32_e32 v8, 0x80, v14
	v_cmp_gt_u32_e32 vcc, s3, v8
	s_and_saveexec_b64 s[4:5], vcc
	s_cbranch_execz .LBB1979_7
; %bb.6:
	global_load_ushort v8, v[12:13], off offset:256
	s_mov_b32 s6, 0xffff
	s_waitcnt vmcnt(0)
	v_bfi_b32 v3, s6, v8, v3
.LBB1979_7:
	s_or_b64 exec, exec, s[4:5]
	v_or_b32_e32 v8, 0xc0, v14
	v_cmp_gt_u32_e32 vcc, s3, v8
	s_and_saveexec_b64 s[4:5], vcc
	s_cbranch_execz .LBB1979_9
; %bb.8:
	global_load_ushort v8, v[12:13], off offset:384
	s_mov_b32 s6, 0x5040100
	s_waitcnt vmcnt(0)
	v_perm_b32 v3, v8, v3, s6
.LBB1979_9:
	s_or_b64 exec, exec, s[4:5]
	v_add_u32_e32 v8, 0x100, v14
	v_cmp_gt_u32_e32 vcc, s3, v8
	s_and_saveexec_b64 s[4:5], vcc
	s_cbranch_execz .LBB1979_11
; %bb.10:
	global_load_ushort v8, v[12:13], off offset:512
	s_mov_b32 s6, 0xffff
	s_waitcnt vmcnt(0)
	v_bfi_b32 v4, s6, v8, v4
.LBB1979_11:
	s_or_b64 exec, exec, s[4:5]
	v_add_u32_e32 v8, 0x140, v14
	v_cmp_gt_u32_e32 vcc, s3, v8
	s_and_saveexec_b64 s[4:5], vcc
	s_cbranch_execz .LBB1979_13
; %bb.12:
	global_load_ushort v8, v[12:13], off offset:640
	s_mov_b32 s6, 0x5040100
	s_waitcnt vmcnt(0)
	v_perm_b32 v4, v8, v4, s6
.LBB1979_13:
	s_or_b64 exec, exec, s[4:5]
	v_add_u32_e32 v8, 0x180, v14
	v_cmp_gt_u32_e32 vcc, s3, v8
	s_and_saveexec_b64 s[4:5], vcc
	s_cbranch_execz .LBB1979_15
; %bb.14:
	global_load_ushort v8, v[12:13], off offset:768
	s_mov_b32 s6, 0xffff
	s_waitcnt vmcnt(0)
	v_bfi_b32 v5, s6, v8, v5
.LBB1979_15:
	s_or_b64 exec, exec, s[4:5]
	v_add_u32_e32 v8, 0x1c0, v14
	;; [unrolled: 22-line block ×4, first 2 shown]
	v_cmp_gt_u32_e32 vcc, s3, v8
	s_and_saveexec_b64 s[4:5], vcc
	s_cbranch_execz .LBB1979_25
; %bb.24:
	global_load_ushort v8, v[12:13], off offset:1408
	s_mov_b32 s6, 0x5040100
	s_waitcnt vmcnt(0)
	v_perm_b32 v7, v8, v7, s6
.LBB1979_25:
	s_or_b64 exec, exec, s[4:5]
	s_load_dword s4, s[0:1], 0x64
	s_load_dword s26, s[0:1], 0x58
	s_add_u32 s5, s0, 0x58
	s_addc_u32 s6, s1, 0
	v_mov_b32_e32 v9, 0
	s_waitcnt lgkmcnt(0)
	s_lshr_b32 s7, s4, 16
	s_cmp_lt_u32 s2, s26
	s_cselect_b32 s4, 12, 18
	s_add_u32 s4, s5, s4
	s_addc_u32 s5, s6, 0
	global_load_ushort v28, v9, s[4:5]
	v_xor_b32_e32 v14, 0xffff8000, v2
	s_lshl_b32 s4, -1, s25
	v_lshrrev_b32_sdwa v17, s24, v14 dst_sel:DWORD dst_unused:UNUSED_PAD src0_sel:DWORD src1_sel:WORD_0
	s_not_b32 s27, s4
	v_bfe_u32 v8, v0, 10, 10
	v_bfe_u32 v13, v0, 20, 10
	v_and_b32_e32 v30, s27, v17
	v_mul_u32_u24_e32 v12, 5, v10
	v_mad_u32_u24 v29, v13, s7, v8
	v_and_b32_e32 v8, 1, v30
	v_lshlrev_b32_e32 v13, 30, v30
	v_lshlrev_b32_e32 v15, 2, v12
	v_mov_b32_e32 v12, v9
	v_mov_b32_e32 v18, v9
	v_lshlrev_b32_e32 v17, 29, v30
	v_lshlrev_b32_e32 v19, 28, v30
	v_lshl_add_u64 v[26:27], v[8:9], 0, -1
	v_cmp_ne_u32_e32 vcc, 0, v8
	v_not_b32_e32 v8, v13
	v_mov_b32_e32 v16, v9
	v_mov_b32_e32 v20, v9
	v_lshlrev_b32_e32 v21, 27, v30
	v_cmp_gt_i64_e64 s[4:5], 0, v[12:13]
	v_not_b32_e32 v12, v17
	v_cmp_gt_i64_e64 s[8:9], 0, v[18:19]
	v_not_b32_e32 v13, v19
	v_xor_b32_e32 v19, vcc_hi, v27
	v_ashrrev_i32_e32 v8, 31, v8
	v_mov_b32_e32 v22, v9
	v_lshlrev_b32_e32 v23, 26, v30
	v_cmp_gt_i64_e64 s[6:7], 0, v[16:17]
	v_cmp_gt_i64_e64 s[10:11], 0, v[20:21]
	v_not_b32_e32 v16, v21
	v_xor_b32_e32 v20, vcc_lo, v26
	v_ashrrev_i32_e32 v12, 31, v12
	v_and_b32_e32 v19, exec_hi, v19
	v_xor_b32_e32 v21, s5, v8
	v_cmp_gt_i64_e64 s[12:13], 0, v[22:23]
	v_ashrrev_i32_e32 v13, 31, v13
	v_and_b32_e32 v20, exec_lo, v20
	v_xor_b32_e32 v8, s4, v8
	v_xor_b32_e32 v22, s7, v12
	v_and_b32_e32 v19, v19, v21
	v_mov_b32_e32 v24, v9
	v_lshlrev_b32_e32 v25, 25, v30
	v_not_b32_e32 v17, v23
	v_ashrrev_i32_e32 v16, 31, v16
	v_xor_b32_e32 v12, s6, v12
	v_xor_b32_e32 v23, s9, v13
	v_and_b32_e32 v8, v20, v8
	v_and_b32_e32 v19, v19, v22
	v_cmp_gt_i64_e64 s[14:15], 0, v[24:25]
	v_not_b32_e32 v18, v25
	v_ashrrev_i32_e32 v17, 31, v17
	v_xor_b32_e32 v24, s11, v16
	v_and_b32_e32 v8, v8, v12
	v_and_b32_e32 v12, v19, v23
	v_ashrrev_i32_e32 v18, 31, v18
	v_xor_b32_e32 v13, s8, v13
	v_xor_b32_e32 v25, s13, v17
	v_and_b32_e32 v12, v12, v24
	v_xor_b32_e32 v16, s10, v16
	v_xor_b32_e32 v26, s15, v18
	v_and_b32_e32 v8, v8, v13
	v_and_b32_e32 v12, v12, v25
	;; [unrolled: 1-line block ×4, first 2 shown]
	v_xor_b32_e32 v17, s12, v17
	v_xor_b32_e32 v18, s14, v18
	v_and_b32_e32 v8, v8, v17
	v_and_b32_e32 v8, v8, v18
	v_mul_u32_u24_e32 v31, 17, v30
	s_movk_i32 s31, 0x8000
	ds_write2_b32 v15, v9, v9 offset0:16 offset1:17
	ds_write2_b32 v15, v9, v9 offset0:18 offset1:19
	ds_write_b32 v15, v9 offset:80
	s_waitcnt lgkmcnt(0)
	s_barrier
	s_waitcnt lgkmcnt(0)
	; wave barrier
	s_waitcnt vmcnt(0)
	v_mad_u64_u32 v[12:13], s[4:5], v29, v28, v[10:11]
	v_lshrrev_b32_e32 v26, 6, v12
	v_lshlrev_b32_e32 v13, 24, v30
	v_mov_b32_e32 v12, v9
	v_cmp_gt_i64_e32 vcc, 0, v[12:13]
	v_not_b32_e32 v12, v13
	v_ashrrev_i32_e32 v12, 31, v12
	v_xor_b32_e32 v13, vcc_hi, v12
	v_xor_b32_e32 v12, vcc_lo, v12
	v_and_b32_e32 v12, v8, v12
	v_and_b32_e32 v13, v16, v13
	v_mbcnt_lo_u32_b32 v8, v12, 0
	v_mbcnt_hi_u32_b32 v16, v13, v8
	v_cmp_eq_u32_e32 vcc, 0, v16
	v_cmp_ne_u64_e64 s[4:5], 0, v[12:13]
	v_add_lshl_u32 v19, v26, v31, 2
	s_and_b64 s[6:7], s[4:5], vcc
	s_and_saveexec_b64 s[4:5], s[6:7]
	s_cbranch_execz .LBB1979_27
; %bb.26:
	v_bcnt_u32_b32 v8, v12, 0
	v_bcnt_u32_b32 v8, v13, v8
	ds_write_b32 v19, v8 offset:64
.LBB1979_27:
	s_or_b64 exec, exec, s[4:5]
	v_xor_b32_sdwa v17, v2, s31 dst_sel:DWORD dst_unused:UNUSED_PAD src0_sel:WORD_1 src1_sel:DWORD
	v_lshrrev_b32_sdwa v2, s24, v17 dst_sel:DWORD dst_unused:UNUSED_PAD src0_sel:DWORD src1_sel:WORD_0
	v_and_b32_e32 v2, s27, v2
	v_mul_u32_u24_e32 v8, 17, v2
	v_add_lshl_u32 v20, v26, v8, 2
	v_and_b32_e32 v8, 1, v2
	v_lshl_add_u64 v[12:13], v[8:9], 0, -1
	v_cmp_ne_u32_e32 vcc, 0, v8
	; wave barrier
	s_nop 1
	v_xor_b32_e32 v12, vcc_lo, v12
	v_xor_b32_e32 v8, vcc_hi, v13
	v_and_b32_e32 v21, exec_lo, v12
	v_lshlrev_b32_e32 v13, 30, v2
	v_mov_b32_e32 v12, v9
	v_cmp_gt_i64_e32 vcc, 0, v[12:13]
	v_not_b32_e32 v12, v13
	v_ashrrev_i32_e32 v12, 31, v12
	v_and_b32_e32 v8, exec_hi, v8
	v_xor_b32_e32 v13, vcc_hi, v12
	v_xor_b32_e32 v12, vcc_lo, v12
	v_and_b32_e32 v8, v8, v13
	v_and_b32_e32 v21, v21, v12
	v_lshlrev_b32_e32 v13, 29, v2
	v_mov_b32_e32 v12, v9
	v_cmp_gt_i64_e32 vcc, 0, v[12:13]
	v_not_b32_e32 v12, v13
	v_ashrrev_i32_e32 v12, 31, v12
	v_xor_b32_e32 v13, vcc_hi, v12
	v_xor_b32_e32 v12, vcc_lo, v12
	v_and_b32_e32 v8, v8, v13
	v_and_b32_e32 v21, v21, v12
	v_lshlrev_b32_e32 v13, 28, v2
	v_mov_b32_e32 v12, v9
	v_cmp_gt_i64_e32 vcc, 0, v[12:13]
	v_not_b32_e32 v12, v13
	v_ashrrev_i32_e32 v12, 31, v12
	;; [unrolled: 9-line block ×5, first 2 shown]
	v_xor_b32_e32 v13, vcc_hi, v12
	v_xor_b32_e32 v12, vcc_lo, v12
	v_and_b32_e32 v8, v8, v13
	v_lshlrev_b32_e32 v13, 24, v2
	v_and_b32_e32 v21, v21, v12
	v_mov_b32_e32 v12, v9
	v_not_b32_e32 v2, v13
	v_cmp_gt_i64_e32 vcc, 0, v[12:13]
	v_ashrrev_i32_e32 v2, 31, v2
	ds_read_b32 v18, v20 offset:64
	v_xor_b32_e32 v9, vcc_hi, v2
	v_xor_b32_e32 v2, vcc_lo, v2
	v_and_b32_e32 v9, v8, v9
	v_and_b32_e32 v8, v21, v2
	v_mbcnt_lo_u32_b32 v2, v8, 0
	v_mbcnt_hi_u32_b32 v21, v9, v2
	v_cmp_eq_u32_e32 vcc, 0, v21
	v_cmp_ne_u64_e64 s[4:5], 0, v[8:9]
	s_and_b64 s[6:7], s[4:5], vcc
	; wave barrier
	s_and_saveexec_b64 s[4:5], s[6:7]
	s_cbranch_execz .LBB1979_29
; %bb.28:
	v_bcnt_u32_b32 v2, v8, 0
	v_bcnt_u32_b32 v2, v9, v2
	s_waitcnt lgkmcnt(0)
	v_add_u32_e32 v2, v18, v2
	ds_write_b32 v20, v2 offset:64
.LBB1979_29:
	s_or_b64 exec, exec, s[4:5]
	v_xor_b32_e32 v22, 0xffff8000, v3
	v_lshrrev_b32_sdwa v2, s24, v22 dst_sel:DWORD dst_unused:UNUSED_PAD src0_sel:DWORD src1_sel:WORD_0
	v_and_b32_e32 v2, s27, v2
	v_mul_u32_u24_e32 v8, 17, v2
	v_add_lshl_u32 v24, v26, v8, 2
	v_and_b32_e32 v8, 1, v2
	v_mov_b32_e32 v9, 0
	v_lshl_add_u64 v[12:13], v[8:9], 0, -1
	v_cmp_ne_u32_e32 vcc, 0, v8
	; wave barrier
	s_nop 1
	v_xor_b32_e32 v12, vcc_lo, v12
	v_xor_b32_e32 v8, vcc_hi, v13
	v_and_b32_e32 v25, exec_lo, v12
	v_lshlrev_b32_e32 v13, 30, v2
	v_mov_b32_e32 v12, v9
	v_cmp_gt_i64_e32 vcc, 0, v[12:13]
	v_not_b32_e32 v12, v13
	v_ashrrev_i32_e32 v12, 31, v12
	v_and_b32_e32 v8, exec_hi, v8
	v_xor_b32_e32 v13, vcc_hi, v12
	v_xor_b32_e32 v12, vcc_lo, v12
	v_and_b32_e32 v8, v8, v13
	v_and_b32_e32 v25, v25, v12
	v_lshlrev_b32_e32 v13, 29, v2
	v_mov_b32_e32 v12, v9
	v_cmp_gt_i64_e32 vcc, 0, v[12:13]
	v_not_b32_e32 v12, v13
	v_ashrrev_i32_e32 v12, 31, v12
	v_xor_b32_e32 v13, vcc_hi, v12
	v_xor_b32_e32 v12, vcc_lo, v12
	v_and_b32_e32 v8, v8, v13
	v_and_b32_e32 v25, v25, v12
	v_lshlrev_b32_e32 v13, 28, v2
	v_mov_b32_e32 v12, v9
	v_cmp_gt_i64_e32 vcc, 0, v[12:13]
	v_not_b32_e32 v12, v13
	v_ashrrev_i32_e32 v12, 31, v12
	;; [unrolled: 9-line block ×5, first 2 shown]
	v_xor_b32_e32 v13, vcc_hi, v12
	v_xor_b32_e32 v12, vcc_lo, v12
	v_and_b32_e32 v8, v8, v13
	v_lshlrev_b32_e32 v13, 24, v2
	v_and_b32_e32 v25, v25, v12
	v_mov_b32_e32 v12, v9
	v_not_b32_e32 v2, v13
	v_cmp_gt_i64_e32 vcc, 0, v[12:13]
	v_ashrrev_i32_e32 v2, 31, v2
	ds_read_b32 v23, v24 offset:64
	v_xor_b32_e32 v12, vcc_hi, v2
	v_xor_b32_e32 v2, vcc_lo, v2
	v_and_b32_e32 v13, v8, v12
	v_and_b32_e32 v12, v25, v2
	v_mbcnt_lo_u32_b32 v2, v12, 0
	v_mbcnt_hi_u32_b32 v25, v13, v2
	v_cmp_eq_u32_e32 vcc, 0, v25
	v_cmp_ne_u64_e64 s[4:5], 0, v[12:13]
	s_movk_i32 s6, 0x8000
	s_and_b64 s[8:9], s[4:5], vcc
	; wave barrier
	s_and_saveexec_b64 s[4:5], s[8:9]
	s_cbranch_execz .LBB1979_31
; %bb.30:
	v_bcnt_u32_b32 v2, v12, 0
	v_bcnt_u32_b32 v2, v13, v2
	s_waitcnt lgkmcnt(0)
	v_add_u32_e32 v2, v23, v2
	ds_write_b32 v24, v2 offset:64
.LBB1979_31:
	s_or_b64 exec, exec, s[4:5]
	v_xor_b32_sdwa v12, v3, s6 dst_sel:DWORD dst_unused:UNUSED_PAD src0_sel:WORD_1 src1_sel:DWORD
	v_lshrrev_b32_sdwa v2, s24, v12 dst_sel:DWORD dst_unused:UNUSED_PAD src0_sel:DWORD src1_sel:WORD_0
	v_and_b32_e32 v28, s27, v2
	v_mul_u32_u24_e32 v2, 17, v28
	v_and_b32_e32 v8, 1, v28
	v_add_lshl_u32 v27, v26, v2, 2
	v_lshl_add_u64 v[2:3], v[8:9], 0, -1
	v_cmp_ne_u32_e32 vcc, 0, v8
	; wave barrier
	s_nop 1
	v_xor_b32_e32 v3, vcc_hi, v3
	v_xor_b32_e32 v2, vcc_lo, v2
	v_and_b32_e32 v8, exec_hi, v3
	v_and_b32_e32 v29, exec_lo, v2
	v_lshlrev_b32_e32 v3, 30, v28
	v_mov_b32_e32 v2, v9
	v_cmp_gt_i64_e32 vcc, 0, v[2:3]
	v_not_b32_e32 v2, v3
	v_ashrrev_i32_e32 v2, 31, v2
	v_xor_b32_e32 v3, vcc_hi, v2
	v_xor_b32_e32 v2, vcc_lo, v2
	v_and_b32_e32 v8, v8, v3
	v_and_b32_e32 v29, v29, v2
	v_lshlrev_b32_e32 v3, 29, v28
	v_mov_b32_e32 v2, v9
	v_cmp_gt_i64_e32 vcc, 0, v[2:3]
	v_not_b32_e32 v2, v3
	v_ashrrev_i32_e32 v2, 31, v2
	v_xor_b32_e32 v3, vcc_hi, v2
	v_xor_b32_e32 v2, vcc_lo, v2
	v_and_b32_e32 v8, v8, v3
	v_and_b32_e32 v29, v29, v2
	;; [unrolled: 9-line block ×6, first 2 shown]
	v_lshlrev_b32_e32 v3, 24, v28
	v_mov_b32_e32 v2, v9
	v_cmp_gt_i64_e32 vcc, 0, v[2:3]
	v_not_b32_e32 v2, v3
	v_ashrrev_i32_e32 v2, 31, v2
	v_xor_b32_e32 v3, vcc_hi, v2
	v_xor_b32_e32 v2, vcc_lo, v2
	ds_read_b32 v13, v27 offset:64
	v_and_b32_e32 v2, v29, v2
	v_and_b32_e32 v3, v8, v3
	v_mbcnt_lo_u32_b32 v8, v2, 0
	v_mbcnt_hi_u32_b32 v28, v3, v8
	v_cmp_eq_u32_e32 vcc, 0, v28
	v_cmp_ne_u64_e64 s[4:5], 0, v[2:3]
	s_and_b64 s[6:7], s[4:5], vcc
	; wave barrier
	s_and_saveexec_b64 s[4:5], s[6:7]
	s_cbranch_execz .LBB1979_33
; %bb.32:
	v_bcnt_u32_b32 v2, v2, 0
	v_bcnt_u32_b32 v2, v3, v2
	s_waitcnt lgkmcnt(0)
	v_add_u32_e32 v2, v13, v2
	ds_write_b32 v27, v2 offset:64
.LBB1979_33:
	s_or_b64 exec, exec, s[4:5]
	v_xor_b32_e32 v29, 0xffff8000, v4
	v_lshrrev_b32_sdwa v2, s24, v29 dst_sel:DWORD dst_unused:UNUSED_PAD src0_sel:DWORD src1_sel:WORD_0
	v_and_b32_e32 v32, s27, v2
	v_mul_u32_u24_e32 v2, 17, v32
	v_add_lshl_u32 v31, v26, v2, 2
	v_and_b32_e32 v2, 1, v32
	v_mov_b32_e32 v3, 0
	v_lshl_add_u64 v[8:9], v[2:3], 0, -1
	v_cmp_ne_u32_e32 vcc, 0, v2
	; wave barrier
	s_nop 1
	v_xor_b32_e32 v8, vcc_lo, v8
	v_xor_b32_e32 v2, vcc_hi, v9
	v_and_b32_e32 v33, exec_lo, v8
	v_lshlrev_b32_e32 v9, 30, v32
	v_mov_b32_e32 v8, v3
	v_cmp_gt_i64_e32 vcc, 0, v[8:9]
	v_not_b32_e32 v8, v9
	v_ashrrev_i32_e32 v8, 31, v8
	v_and_b32_e32 v2, exec_hi, v2
	v_xor_b32_e32 v9, vcc_hi, v8
	v_xor_b32_e32 v8, vcc_lo, v8
	v_and_b32_e32 v2, v2, v9
	v_and_b32_e32 v33, v33, v8
	v_lshlrev_b32_e32 v9, 29, v32
	v_mov_b32_e32 v8, v3
	v_cmp_gt_i64_e32 vcc, 0, v[8:9]
	v_not_b32_e32 v8, v9
	v_ashrrev_i32_e32 v8, 31, v8
	v_xor_b32_e32 v9, vcc_hi, v8
	v_xor_b32_e32 v8, vcc_lo, v8
	v_and_b32_e32 v2, v2, v9
	v_and_b32_e32 v33, v33, v8
	v_lshlrev_b32_e32 v9, 28, v32
	v_mov_b32_e32 v8, v3
	v_cmp_gt_i64_e32 vcc, 0, v[8:9]
	v_not_b32_e32 v8, v9
	v_ashrrev_i32_e32 v8, 31, v8
	;; [unrolled: 9-line block ×6, first 2 shown]
	v_xor_b32_e32 v9, vcc_hi, v8
	v_xor_b32_e32 v8, vcc_lo, v8
	ds_read_b32 v30, v31 offset:64
	v_and_b32_e32 v8, v33, v8
	v_and_b32_e32 v9, v2, v9
	v_mbcnt_lo_u32_b32 v2, v8, 0
	v_mbcnt_hi_u32_b32 v33, v9, v2
	v_cmp_eq_u32_e32 vcc, 0, v33
	v_cmp_ne_u64_e64 s[4:5], 0, v[8:9]
	s_movk_i32 s6, 0x8000
	s_and_b64 s[8:9], s[4:5], vcc
	; wave barrier
	s_and_saveexec_b64 s[4:5], s[8:9]
	s_cbranch_execz .LBB1979_35
; %bb.34:
	v_bcnt_u32_b32 v2, v8, 0
	v_bcnt_u32_b32 v2, v9, v2
	s_waitcnt lgkmcnt(0)
	v_add_u32_e32 v2, v30, v2
	ds_write_b32 v31, v2 offset:64
.LBB1979_35:
	s_or_b64 exec, exec, s[4:5]
	v_xor_b32_sdwa v32, v4, s6 dst_sel:DWORD dst_unused:UNUSED_PAD src0_sel:WORD_1 src1_sel:DWORD
	v_lshrrev_b32_sdwa v2, s24, v32 dst_sel:DWORD dst_unused:UNUSED_PAD src0_sel:DWORD src1_sel:WORD_0
	v_and_b32_e32 v4, s27, v2
	v_mul_u32_u24_e32 v2, 17, v4
	v_add_lshl_u32 v35, v26, v2, 2
	v_and_b32_e32 v2, 1, v4
	v_lshl_add_u64 v[8:9], v[2:3], 0, -1
	v_cmp_ne_u32_e32 vcc, 0, v2
	; wave barrier
	s_nop 1
	v_xor_b32_e32 v8, vcc_lo, v8
	v_xor_b32_e32 v2, vcc_hi, v9
	v_and_b32_e32 v36, exec_lo, v8
	v_lshlrev_b32_e32 v9, 30, v4
	v_mov_b32_e32 v8, v3
	v_cmp_gt_i64_e32 vcc, 0, v[8:9]
	v_not_b32_e32 v8, v9
	v_ashrrev_i32_e32 v8, 31, v8
	v_and_b32_e32 v2, exec_hi, v2
	v_xor_b32_e32 v9, vcc_hi, v8
	v_xor_b32_e32 v8, vcc_lo, v8
	v_and_b32_e32 v2, v2, v9
	v_and_b32_e32 v36, v36, v8
	v_lshlrev_b32_e32 v9, 29, v4
	v_mov_b32_e32 v8, v3
	v_cmp_gt_i64_e32 vcc, 0, v[8:9]
	v_not_b32_e32 v8, v9
	v_ashrrev_i32_e32 v8, 31, v8
	v_xor_b32_e32 v9, vcc_hi, v8
	v_xor_b32_e32 v8, vcc_lo, v8
	v_and_b32_e32 v2, v2, v9
	v_and_b32_e32 v36, v36, v8
	v_lshlrev_b32_e32 v9, 28, v4
	v_mov_b32_e32 v8, v3
	v_cmp_gt_i64_e32 vcc, 0, v[8:9]
	v_not_b32_e32 v8, v9
	v_ashrrev_i32_e32 v8, 31, v8
	;; [unrolled: 9-line block ×5, first 2 shown]
	v_xor_b32_e32 v9, vcc_hi, v8
	v_xor_b32_e32 v8, vcc_lo, v8
	v_and_b32_e32 v2, v2, v9
	v_lshlrev_b32_e32 v9, 24, v4
	v_and_b32_e32 v36, v36, v8
	v_mov_b32_e32 v8, v3
	v_not_b32_e32 v3, v9
	v_cmp_gt_i64_e32 vcc, 0, v[8:9]
	v_ashrrev_i32_e32 v3, 31, v3
	ds_read_b32 v34, v35 offset:64
	v_xor_b32_e32 v4, vcc_hi, v3
	v_xor_b32_e32 v8, vcc_lo, v3
	v_and_b32_e32 v3, v2, v4
	v_and_b32_e32 v2, v36, v8
	v_mbcnt_lo_u32_b32 v4, v2, 0
	v_mbcnt_hi_u32_b32 v37, v3, v4
	v_cmp_eq_u32_e32 vcc, 0, v37
	v_cmp_ne_u64_e64 s[4:5], 0, v[2:3]
	s_and_b64 s[6:7], s[4:5], vcc
	; wave barrier
	s_and_saveexec_b64 s[4:5], s[6:7]
	s_cbranch_execz .LBB1979_37
; %bb.36:
	v_bcnt_u32_b32 v2, v2, 0
	v_bcnt_u32_b32 v2, v3, v2
	s_waitcnt lgkmcnt(0)
	v_add_u32_e32 v2, v34, v2
	ds_write_b32 v35, v2 offset:64
.LBB1979_37:
	s_or_b64 exec, exec, s[4:5]
	v_xor_b32_e32 v36, 0xffff8000, v5
	v_lshrrev_b32_sdwa v2, s24, v36 dst_sel:DWORD dst_unused:UNUSED_PAD src0_sel:DWORD src1_sel:WORD_0
	v_and_b32_e32 v4, s27, v2
	v_mul_u32_u24_e32 v2, 17, v4
	v_add_lshl_u32 v39, v26, v2, 2
	v_and_b32_e32 v2, 1, v4
	v_mov_b32_e32 v3, 0
	v_lshl_add_u64 v[8:9], v[2:3], 0, -1
	v_cmp_ne_u32_e32 vcc, 0, v2
	; wave barrier
	s_nop 1
	v_xor_b32_e32 v8, vcc_lo, v8
	v_xor_b32_e32 v2, vcc_hi, v9
	v_and_b32_e32 v40, exec_lo, v8
	v_lshlrev_b32_e32 v9, 30, v4
	v_mov_b32_e32 v8, v3
	v_cmp_gt_i64_e32 vcc, 0, v[8:9]
	v_not_b32_e32 v8, v9
	v_ashrrev_i32_e32 v8, 31, v8
	v_and_b32_e32 v2, exec_hi, v2
	v_xor_b32_e32 v9, vcc_hi, v8
	v_xor_b32_e32 v8, vcc_lo, v8
	v_and_b32_e32 v2, v2, v9
	v_and_b32_e32 v40, v40, v8
	v_lshlrev_b32_e32 v9, 29, v4
	v_mov_b32_e32 v8, v3
	v_cmp_gt_i64_e32 vcc, 0, v[8:9]
	v_not_b32_e32 v8, v9
	v_ashrrev_i32_e32 v8, 31, v8
	v_xor_b32_e32 v9, vcc_hi, v8
	v_xor_b32_e32 v8, vcc_lo, v8
	v_and_b32_e32 v2, v2, v9
	v_and_b32_e32 v40, v40, v8
	v_lshlrev_b32_e32 v9, 28, v4
	v_mov_b32_e32 v8, v3
	v_cmp_gt_i64_e32 vcc, 0, v[8:9]
	v_not_b32_e32 v8, v9
	v_ashrrev_i32_e32 v8, 31, v8
	;; [unrolled: 9-line block ×5, first 2 shown]
	v_xor_b32_e32 v9, vcc_hi, v8
	v_xor_b32_e32 v8, vcc_lo, v8
	v_and_b32_e32 v2, v2, v9
	v_lshlrev_b32_e32 v9, 24, v4
	v_and_b32_e32 v40, v40, v8
	v_mov_b32_e32 v8, v3
	v_not_b32_e32 v4, v9
	v_cmp_gt_i64_e32 vcc, 0, v[8:9]
	v_ashrrev_i32_e32 v4, 31, v4
	ds_read_b32 v38, v39 offset:64
	v_xor_b32_e32 v8, vcc_hi, v4
	v_xor_b32_e32 v4, vcc_lo, v4
	v_and_b32_e32 v9, v2, v8
	v_and_b32_e32 v8, v40, v4
	v_mbcnt_lo_u32_b32 v2, v8, 0
	v_mbcnt_hi_u32_b32 v40, v9, v2
	v_cmp_eq_u32_e32 vcc, 0, v40
	v_cmp_ne_u64_e64 s[4:5], 0, v[8:9]
	s_movk_i32 s6, 0x8000
	s_and_b64 s[8:9], s[4:5], vcc
	; wave barrier
	s_and_saveexec_b64 s[4:5], s[8:9]
	s_cbranch_execz .LBB1979_39
; %bb.38:
	v_bcnt_u32_b32 v2, v8, 0
	v_bcnt_u32_b32 v2, v9, v2
	s_waitcnt lgkmcnt(0)
	v_add_u32_e32 v2, v38, v2
	ds_write_b32 v39, v2 offset:64
.LBB1979_39:
	s_or_b64 exec, exec, s[4:5]
	v_xor_b32_sdwa v8, v5, s6 dst_sel:DWORD dst_unused:UNUSED_PAD src0_sel:WORD_1 src1_sel:DWORD
	v_lshrrev_b32_sdwa v2, s24, v8 dst_sel:DWORD dst_unused:UNUSED_PAD src0_sel:DWORD src1_sel:WORD_0
	v_and_b32_e32 v42, s27, v2
	v_mul_u32_u24_e32 v2, 17, v42
	v_add_lshl_u32 v41, v26, v2, 2
	v_and_b32_e32 v2, 1, v42
	v_lshl_add_u64 v[4:5], v[2:3], 0, -1
	v_cmp_ne_u32_e32 vcc, 0, v2
	; wave barrier
	s_nop 1
	v_xor_b32_e32 v4, vcc_lo, v4
	v_xor_b32_e32 v2, vcc_hi, v5
	v_and_b32_e32 v43, exec_lo, v4
	v_lshlrev_b32_e32 v5, 30, v42
	v_mov_b32_e32 v4, v3
	v_cmp_gt_i64_e32 vcc, 0, v[4:5]
	v_not_b32_e32 v4, v5
	v_ashrrev_i32_e32 v4, 31, v4
	v_and_b32_e32 v2, exec_hi, v2
	v_xor_b32_e32 v5, vcc_hi, v4
	v_xor_b32_e32 v4, vcc_lo, v4
	v_and_b32_e32 v2, v2, v5
	v_and_b32_e32 v43, v43, v4
	v_lshlrev_b32_e32 v5, 29, v42
	v_mov_b32_e32 v4, v3
	v_cmp_gt_i64_e32 vcc, 0, v[4:5]
	v_not_b32_e32 v4, v5
	v_ashrrev_i32_e32 v4, 31, v4
	v_xor_b32_e32 v5, vcc_hi, v4
	v_xor_b32_e32 v4, vcc_lo, v4
	v_and_b32_e32 v2, v2, v5
	v_and_b32_e32 v43, v43, v4
	v_lshlrev_b32_e32 v5, 28, v42
	v_mov_b32_e32 v4, v3
	v_cmp_gt_i64_e32 vcc, 0, v[4:5]
	v_not_b32_e32 v4, v5
	v_ashrrev_i32_e32 v4, 31, v4
	;; [unrolled: 9-line block ×5, first 2 shown]
	v_xor_b32_e32 v5, vcc_hi, v4
	v_xor_b32_e32 v4, vcc_lo, v4
	v_and_b32_e32 v2, v2, v5
	v_lshlrev_b32_e32 v5, 24, v42
	v_and_b32_e32 v43, v43, v4
	v_mov_b32_e32 v4, v3
	v_not_b32_e32 v3, v5
	v_cmp_gt_i64_e32 vcc, 0, v[4:5]
	v_ashrrev_i32_e32 v3, 31, v3
	ds_read_b32 v9, v41 offset:64
	v_xor_b32_e32 v4, vcc_hi, v3
	v_xor_b32_e32 v5, vcc_lo, v3
	v_and_b32_e32 v3, v2, v4
	v_and_b32_e32 v2, v43, v5
	v_mbcnt_lo_u32_b32 v4, v2, 0
	v_mbcnt_hi_u32_b32 v43, v3, v4
	v_cmp_eq_u32_e32 vcc, 0, v43
	v_cmp_ne_u64_e64 s[4:5], 0, v[2:3]
	s_and_b64 s[6:7], s[4:5], vcc
	; wave barrier
	s_and_saveexec_b64 s[4:5], s[6:7]
	s_cbranch_execz .LBB1979_41
; %bb.40:
	v_bcnt_u32_b32 v2, v2, 0
	v_bcnt_u32_b32 v2, v3, v2
	s_waitcnt lgkmcnt(0)
	v_add_u32_e32 v2, v9, v2
	ds_write_b32 v41, v2 offset:64
.LBB1979_41:
	s_or_b64 exec, exec, s[4:5]
	v_xor_b32_e32 v42, 0xffff8000, v6
	v_lshrrev_b32_sdwa v2, s24, v42 dst_sel:DWORD dst_unused:UNUSED_PAD src0_sel:DWORD src1_sel:WORD_0
	v_and_b32_e32 v46, s27, v2
	v_mul_u32_u24_e32 v2, 17, v46
	v_add_lshl_u32 v45, v26, v2, 2
	v_and_b32_e32 v2, 1, v46
	v_mov_b32_e32 v3, 0
	v_lshl_add_u64 v[4:5], v[2:3], 0, -1
	v_cmp_ne_u32_e32 vcc, 0, v2
	; wave barrier
	s_nop 1
	v_xor_b32_e32 v4, vcc_lo, v4
	v_xor_b32_e32 v2, vcc_hi, v5
	v_and_b32_e32 v47, exec_lo, v4
	v_lshlrev_b32_e32 v5, 30, v46
	v_mov_b32_e32 v4, v3
	v_cmp_gt_i64_e32 vcc, 0, v[4:5]
	v_not_b32_e32 v4, v5
	v_ashrrev_i32_e32 v4, 31, v4
	v_and_b32_e32 v2, exec_hi, v2
	v_xor_b32_e32 v5, vcc_hi, v4
	v_xor_b32_e32 v4, vcc_lo, v4
	v_and_b32_e32 v2, v2, v5
	v_and_b32_e32 v47, v47, v4
	v_lshlrev_b32_e32 v5, 29, v46
	v_mov_b32_e32 v4, v3
	v_cmp_gt_i64_e32 vcc, 0, v[4:5]
	v_not_b32_e32 v4, v5
	v_ashrrev_i32_e32 v4, 31, v4
	v_xor_b32_e32 v5, vcc_hi, v4
	v_xor_b32_e32 v4, vcc_lo, v4
	v_and_b32_e32 v2, v2, v5
	v_and_b32_e32 v47, v47, v4
	v_lshlrev_b32_e32 v5, 28, v46
	v_mov_b32_e32 v4, v3
	v_cmp_gt_i64_e32 vcc, 0, v[4:5]
	v_not_b32_e32 v4, v5
	v_ashrrev_i32_e32 v4, 31, v4
	;; [unrolled: 9-line block ×6, first 2 shown]
	v_xor_b32_e32 v5, vcc_hi, v4
	v_xor_b32_e32 v4, vcc_lo, v4
	ds_read_b32 v44, v45 offset:64
	v_and_b32_e32 v4, v47, v4
	v_and_b32_e32 v5, v2, v5
	v_mbcnt_lo_u32_b32 v2, v4, 0
	v_mbcnt_hi_u32_b32 v46, v5, v2
	v_cmp_eq_u32_e32 vcc, 0, v46
	v_cmp_ne_u64_e64 s[4:5], 0, v[4:5]
	s_movk_i32 s6, 0x8000
	s_and_b64 s[8:9], s[4:5], vcc
	; wave barrier
	s_and_saveexec_b64 s[4:5], s[8:9]
	s_cbranch_execz .LBB1979_43
; %bb.42:
	v_bcnt_u32_b32 v2, v4, 0
	v_bcnt_u32_b32 v2, v5, v2
	s_waitcnt lgkmcnt(0)
	v_add_u32_e32 v2, v44, v2
	ds_write_b32 v45, v2 offset:64
.LBB1979_43:
	s_or_b64 exec, exec, s[4:5]
	v_xor_b32_sdwa v6, v6, s6 dst_sel:DWORD dst_unused:UNUSED_PAD src0_sel:WORD_1 src1_sel:DWORD
	v_lshrrev_b32_sdwa v2, s24, v6 dst_sel:DWORD dst_unused:UNUSED_PAD src0_sel:DWORD src1_sel:WORD_0
	v_and_b32_e32 v49, s27, v2
	v_mul_u32_u24_e32 v2, 17, v49
	v_add_lshl_u32 v48, v26, v2, 2
	v_and_b32_e32 v2, 1, v49
	v_lshl_add_u64 v[4:5], v[2:3], 0, -1
	v_cmp_ne_u32_e32 vcc, 0, v2
	; wave barrier
	s_nop 1
	v_xor_b32_e32 v4, vcc_lo, v4
	v_xor_b32_e32 v2, vcc_hi, v5
	v_and_b32_e32 v50, exec_lo, v4
	v_lshlrev_b32_e32 v5, 30, v49
	v_mov_b32_e32 v4, v3
	v_cmp_gt_i64_e32 vcc, 0, v[4:5]
	v_not_b32_e32 v4, v5
	v_ashrrev_i32_e32 v4, 31, v4
	v_and_b32_e32 v2, exec_hi, v2
	v_xor_b32_e32 v5, vcc_hi, v4
	v_xor_b32_e32 v4, vcc_lo, v4
	v_and_b32_e32 v2, v2, v5
	v_and_b32_e32 v50, v50, v4
	v_lshlrev_b32_e32 v5, 29, v49
	v_mov_b32_e32 v4, v3
	v_cmp_gt_i64_e32 vcc, 0, v[4:5]
	v_not_b32_e32 v4, v5
	v_ashrrev_i32_e32 v4, 31, v4
	v_xor_b32_e32 v5, vcc_hi, v4
	v_xor_b32_e32 v4, vcc_lo, v4
	v_and_b32_e32 v2, v2, v5
	v_and_b32_e32 v50, v50, v4
	v_lshlrev_b32_e32 v5, 28, v49
	v_mov_b32_e32 v4, v3
	v_cmp_gt_i64_e32 vcc, 0, v[4:5]
	v_not_b32_e32 v4, v5
	v_ashrrev_i32_e32 v4, 31, v4
	;; [unrolled: 9-line block ×5, first 2 shown]
	v_xor_b32_e32 v5, vcc_hi, v4
	v_xor_b32_e32 v4, vcc_lo, v4
	v_and_b32_e32 v2, v2, v5
	v_lshlrev_b32_e32 v5, 24, v49
	v_and_b32_e32 v50, v50, v4
	v_mov_b32_e32 v4, v3
	v_not_b32_e32 v3, v5
	v_cmp_gt_i64_e32 vcc, 0, v[4:5]
	v_ashrrev_i32_e32 v3, 31, v3
	ds_read_b32 v47, v48 offset:64
	v_xor_b32_e32 v4, vcc_hi, v3
	v_xor_b32_e32 v5, vcc_lo, v3
	v_and_b32_e32 v3, v2, v4
	v_and_b32_e32 v2, v50, v5
	v_mbcnt_lo_u32_b32 v4, v2, 0
	v_mbcnt_hi_u32_b32 v50, v3, v4
	v_cmp_eq_u32_e32 vcc, 0, v50
	v_cmp_ne_u64_e64 s[4:5], 0, v[2:3]
	s_and_b64 s[6:7], s[4:5], vcc
	; wave barrier
	s_and_saveexec_b64 s[4:5], s[6:7]
	s_cbranch_execz .LBB1979_45
; %bb.44:
	v_bcnt_u32_b32 v2, v2, 0
	v_bcnt_u32_b32 v2, v3, v2
	s_waitcnt lgkmcnt(0)
	v_add_u32_e32 v2, v47, v2
	ds_write_b32 v48, v2 offset:64
.LBB1979_45:
	s_or_b64 exec, exec, s[4:5]
	v_xor_b32_e32 v49, 0xffff8000, v7
	v_lshrrev_b32_sdwa v2, s24, v49 dst_sel:DWORD dst_unused:UNUSED_PAD src0_sel:DWORD src1_sel:WORD_0
	v_and_b32_e32 v53, s27, v2
	v_mul_u32_u24_e32 v2, 17, v53
	v_add_lshl_u32 v52, v26, v2, 2
	v_and_b32_e32 v2, 1, v53
	v_mov_b32_e32 v3, 0
	v_lshl_add_u64 v[4:5], v[2:3], 0, -1
	v_cmp_ne_u32_e32 vcc, 0, v2
	; wave barrier
	s_nop 1
	v_xor_b32_e32 v4, vcc_lo, v4
	v_xor_b32_e32 v2, vcc_hi, v5
	v_and_b32_e32 v54, exec_lo, v4
	v_lshlrev_b32_e32 v5, 30, v53
	v_mov_b32_e32 v4, v3
	v_cmp_gt_i64_e32 vcc, 0, v[4:5]
	v_not_b32_e32 v4, v5
	v_ashrrev_i32_e32 v4, 31, v4
	v_and_b32_e32 v2, exec_hi, v2
	v_xor_b32_e32 v5, vcc_hi, v4
	v_xor_b32_e32 v4, vcc_lo, v4
	v_and_b32_e32 v2, v2, v5
	v_and_b32_e32 v54, v54, v4
	v_lshlrev_b32_e32 v5, 29, v53
	v_mov_b32_e32 v4, v3
	v_cmp_gt_i64_e32 vcc, 0, v[4:5]
	v_not_b32_e32 v4, v5
	v_ashrrev_i32_e32 v4, 31, v4
	v_xor_b32_e32 v5, vcc_hi, v4
	v_xor_b32_e32 v4, vcc_lo, v4
	v_and_b32_e32 v2, v2, v5
	v_and_b32_e32 v54, v54, v4
	v_lshlrev_b32_e32 v5, 28, v53
	v_mov_b32_e32 v4, v3
	v_cmp_gt_i64_e32 vcc, 0, v[4:5]
	v_not_b32_e32 v4, v5
	v_ashrrev_i32_e32 v4, 31, v4
	;; [unrolled: 9-line block ×6, first 2 shown]
	v_xor_b32_e32 v5, vcc_hi, v4
	v_xor_b32_e32 v4, vcc_lo, v4
	ds_read_b32 v51, v52 offset:64
	v_and_b32_e32 v4, v54, v4
	v_and_b32_e32 v5, v2, v5
	v_mbcnt_lo_u32_b32 v2, v4, 0
	v_mbcnt_hi_u32_b32 v53, v5, v2
	v_cmp_eq_u32_e32 vcc, 0, v53
	v_cmp_ne_u64_e64 s[4:5], 0, v[4:5]
	s_movk_i32 s6, 0x8000
	s_and_b64 s[8:9], s[4:5], vcc
	; wave barrier
	s_and_saveexec_b64 s[4:5], s[8:9]
	s_cbranch_execz .LBB1979_47
; %bb.46:
	v_bcnt_u32_b32 v2, v4, 0
	v_bcnt_u32_b32 v2, v5, v2
	s_waitcnt lgkmcnt(0)
	v_add_u32_e32 v2, v51, v2
	ds_write_b32 v52, v2 offset:64
.LBB1979_47:
	s_or_b64 exec, exec, s[4:5]
	v_xor_b32_sdwa v7, v7, s6 dst_sel:DWORD dst_unused:UNUSED_PAD src0_sel:WORD_1 src1_sel:DWORD
	v_lshrrev_b32_sdwa v2, s24, v7 dst_sel:DWORD dst_unused:UNUSED_PAD src0_sel:DWORD src1_sel:WORD_0
	v_and_b32_e32 v54, s27, v2
	v_mul_u32_u24_e32 v2, 17, v54
	v_add_lshl_u32 v55, v26, v2, 2
	v_and_b32_e32 v2, 1, v54
	v_lshl_add_u64 v[4:5], v[2:3], 0, -1
	v_cmp_ne_u32_e32 vcc, 0, v2
	; wave barrier
	s_nop 1
	v_xor_b32_e32 v4, vcc_lo, v4
	v_xor_b32_e32 v2, vcc_hi, v5
	v_and_b32_e32 v57, exec_lo, v4
	v_lshlrev_b32_e32 v5, 30, v54
	v_mov_b32_e32 v4, v3
	v_cmp_gt_i64_e32 vcc, 0, v[4:5]
	v_not_b32_e32 v4, v5
	v_ashrrev_i32_e32 v4, 31, v4
	v_and_b32_e32 v2, exec_hi, v2
	v_xor_b32_e32 v5, vcc_hi, v4
	v_xor_b32_e32 v4, vcc_lo, v4
	v_and_b32_e32 v2, v2, v5
	v_and_b32_e32 v57, v57, v4
	v_lshlrev_b32_e32 v5, 29, v54
	v_mov_b32_e32 v4, v3
	v_cmp_gt_i64_e32 vcc, 0, v[4:5]
	v_not_b32_e32 v4, v5
	v_ashrrev_i32_e32 v4, 31, v4
	v_xor_b32_e32 v5, vcc_hi, v4
	v_xor_b32_e32 v4, vcc_lo, v4
	v_and_b32_e32 v2, v2, v5
	v_and_b32_e32 v57, v57, v4
	v_lshlrev_b32_e32 v5, 28, v54
	v_mov_b32_e32 v4, v3
	v_cmp_gt_i64_e32 vcc, 0, v[4:5]
	v_not_b32_e32 v4, v5
	v_ashrrev_i32_e32 v4, 31, v4
	;; [unrolled: 9-line block ×5, first 2 shown]
	v_xor_b32_e32 v5, vcc_hi, v4
	v_xor_b32_e32 v4, vcc_lo, v4
	v_and_b32_e32 v2, v2, v5
	v_lshlrev_b32_e32 v5, 24, v54
	v_and_b32_e32 v57, v57, v4
	v_mov_b32_e32 v4, v3
	v_not_b32_e32 v3, v5
	v_cmp_gt_i64_e32 vcc, 0, v[4:5]
	v_ashrrev_i32_e32 v3, 31, v3
	ds_read_b32 v26, v55 offset:64
	v_xor_b32_e32 v4, vcc_hi, v3
	v_xor_b32_e32 v5, vcc_lo, v3
	v_and_b32_e32 v3, v2, v4
	v_and_b32_e32 v2, v57, v5
	v_mbcnt_lo_u32_b32 v4, v2, 0
	v_mbcnt_hi_u32_b32 v57, v3, v4
	v_cmp_eq_u32_e32 vcc, 0, v57
	v_cmp_ne_u64_e64 s[4:5], 0, v[2:3]
	v_add_u32_e32 v56, 64, v15
	s_and_b64 s[6:7], s[4:5], vcc
	; wave barrier
	s_and_saveexec_b64 s[4:5], s[6:7]
	s_cbranch_execz .LBB1979_49
; %bb.48:
	v_bcnt_u32_b32 v2, v2, 0
	v_bcnt_u32_b32 v2, v3, v2
	s_waitcnt lgkmcnt(0)
	v_add_u32_e32 v2, v26, v2
	ds_write_b32 v55, v2 offset:64
.LBB1979_49:
	s_or_b64 exec, exec, s[4:5]
	; wave barrier
	s_waitcnt lgkmcnt(0)
	s_barrier
	ds_read2_b32 v[4:5], v15 offset0:16 offset1:17
	ds_read2_b32 v[2:3], v56 offset0:2 offset1:3
	ds_read_b32 v54, v56 offset:16
	v_cmp_lt_u32_e64 s[10:11], 31, v11
	s_waitcnt lgkmcnt(1)
	v_add3_u32 v58, v5, v4, v2
	s_waitcnt lgkmcnt(0)
	v_add3_u32 v54, v58, v3, v54
	v_and_b32_e32 v58, 15, v11
	v_cmp_eq_u32_e32 vcc, 0, v58
	v_mov_b32_dpp v59, v54 row_shr:1 row_mask:0xf bank_mask:0xf
	v_cmp_lt_u32_e64 s[8:9], 1, v58
	v_cndmask_b32_e64 v59, v59, 0, vcc
	v_add_u32_e32 v54, v59, v54
	v_cmp_lt_u32_e64 s[4:5], 3, v58
	v_cmp_lt_u32_e64 s[6:7], 7, v58
	v_mov_b32_dpp v59, v54 row_shr:2 row_mask:0xf bank_mask:0xf
	v_cndmask_b32_e64 v59, 0, v59, s[8:9]
	v_add_u32_e32 v54, v54, v59
	s_nop 1
	v_mov_b32_dpp v59, v54 row_shr:4 row_mask:0xf bank_mask:0xf
	v_cndmask_b32_e64 v59, 0, v59, s[4:5]
	v_add_u32_e32 v54, v54, v59
	s_nop 1
	v_mov_b32_dpp v59, v54 row_shr:8 row_mask:0xf bank_mask:0xf
	v_cndmask_b32_e64 v58, 0, v59, s[6:7]
	v_add_u32_e32 v54, v54, v58
	v_bfe_i32 v59, v11, 4, 1
	s_nop 0
	v_mov_b32_dpp v58, v54 row_bcast:15 row_mask:0xf bank_mask:0xf
	v_and_b32_e32 v58, v59, v58
	v_add_u32_e32 v54, v54, v58
	v_lshrrev_b32_e32 v59, 6, v10
	s_nop 0
	v_mov_b32_dpp v58, v54 row_bcast:31 row_mask:0xf bank_mask:0xf
	v_cndmask_b32_e64 v58, 0, v58, s[10:11]
	v_add_u32_e32 v58, v54, v58
	v_and_b32_e32 v54, 63, v10
	v_cmp_eq_u32_e64 s[10:11], 63, v54
	s_and_saveexec_b64 s[12:13], s[10:11]
	s_cbranch_execz .LBB1979_51
; %bb.50:
	v_lshlrev_b32_e32 v54, 2, v59
	ds_write_b32 v54, v58
.LBB1979_51:
	s_or_b64 exec, exec, s[12:13]
	v_cmp_gt_u32_e64 s[10:11], 16, v10
	v_lshlrev_b32_e32 v54, 2, v10
	s_waitcnt lgkmcnt(0)
	s_barrier
	s_and_saveexec_b64 s[12:13], s[10:11]
	s_cbranch_execz .LBB1979_53
; %bb.52:
	ds_read_b32 v60, v54
	s_waitcnt lgkmcnt(0)
	s_nop 0
	v_mov_b32_dpp v61, v60 row_shr:1 row_mask:0xf bank_mask:0xf
	v_cndmask_b32_e64 v61, v61, 0, vcc
	v_add_u32_e32 v60, v61, v60
	s_nop 1
	v_mov_b32_dpp v61, v60 row_shr:2 row_mask:0xf bank_mask:0xf
	v_cndmask_b32_e64 v61, 0, v61, s[8:9]
	v_add_u32_e32 v60, v60, v61
	s_nop 1
	v_mov_b32_dpp v61, v60 row_shr:4 row_mask:0xf bank_mask:0xf
	v_cndmask_b32_e64 v61, 0, v61, s[4:5]
	;; [unrolled: 4-line block ×3, first 2 shown]
	v_add_u32_e32 v60, v60, v61
	ds_write_b32 v54, v60
.LBB1979_53:
	s_or_b64 exec, exec, s[12:13]
	v_cmp_lt_u32_e32 vcc, 63, v10
	v_mov_b32_e32 v60, 0
	s_waitcnt lgkmcnt(0)
	s_barrier
	s_and_saveexec_b64 s[4:5], vcc
	s_cbranch_execz .LBB1979_55
; %bb.54:
	v_lshl_add_u32 v59, v59, 2, -4
	ds_read_b32 v60, v59
.LBB1979_55:
	s_or_b64 exec, exec, s[4:5]
	v_add_u32_e32 v59, -1, v11
	v_and_b32_e32 v61, 64, v11
	v_cmp_lt_i32_e32 vcc, v59, v61
	s_waitcnt lgkmcnt(0)
	v_add_u32_e32 v58, v60, v58
	s_movk_i32 s4, 0x100
	v_cndmask_b32_e32 v59, v59, v11, vcc
	v_lshlrev_b32_e32 v59, 2, v59
	ds_bpermute_b32 v58, v59, v58
	v_cmp_eq_u32_e32 vcc, 0, v11
	s_waitcnt lgkmcnt(0)
	s_nop 0
	v_cndmask_b32_e32 v11, v58, v60, vcc
	v_cmp_ne_u32_e32 vcc, 0, v10
	s_nop 1
	v_cndmask_b32_e32 v11, 0, v11, vcc
	v_add_u32_e32 v4, v11, v4
	v_add_u32_e32 v5, v4, v5
	;; [unrolled: 1-line block ×4, first 2 shown]
	ds_write2_b32 v15, v11, v4 offset0:16 offset1:17
	ds_write2_b32 v56, v5, v2 offset0:2 offset1:3
	ds_write_b32 v56, v3 offset:16
	s_waitcnt lgkmcnt(0)
	s_barrier
	ds_read_b32 v60, v19 offset:64
	ds_read_b32 v59, v20 offset:64
	;; [unrolled: 1-line block ×12, first 2 shown]
	v_cmp_gt_u32_e32 vcc, s4, v10
                                        ; implicit-def: $vgpr11
                                        ; implicit-def: $vgpr15
	s_and_saveexec_b64 s[6:7], vcc
	s_cbranch_execz .LBB1979_59
; %bb.56:
	v_mul_u32_u24_e32 v11, 17, v10
	v_lshlrev_b32_e32 v31, 2, v11
	ds_read_b32 v11, v31 offset:64
	s_movk_i32 s4, 0xff
	v_cmp_ne_u32_e64 s[4:5], s4, v10
	v_mov_b32_e32 v15, 0x3000
	s_and_saveexec_b64 s[8:9], s[4:5]
	s_cbranch_execz .LBB1979_58
; %bb.57:
	ds_read_b32 v15, v31 offset:132
.LBB1979_58:
	s_or_b64 exec, exec, s[8:9]
	s_waitcnt lgkmcnt(0)
	v_sub_u32_e32 v15, v15, v11
.LBB1979_59:
	s_or_b64 exec, exec, s[6:7]
	v_add_u32_e32 v18, v21, v18
	s_waitcnt lgkmcnt(11)
	v_add_lshl_u32 v16, v60, v16, 1
	v_add_u32_e32 v13, v28, v13
	v_add_u32_e32 v23, v25, v23
	s_waitcnt lgkmcnt(0)
	s_barrier
	ds_write_b16 v16, v14 offset:1024
	v_add_lshl_u32 v14, v18, v59, 1
	v_add_u32_e32 v30, v33, v30
	ds_write_b16 v14, v17 offset:1024
	v_add_lshl_u32 v14, v23, v58, 1
	v_add_lshl_u32 v13, v13, v56, 1
	v_add_u32_e32 v34, v37, v34
	ds_write_b16 v14, v22 offset:1024
	ds_write_b16 v13, v12 offset:1024
	v_add_lshl_u32 v12, v30, v27, 1
	v_add_u32_e32 v26, v57, v26
	v_add_u32_e32 v31, v53, v51
	v_add_u32_e32 v35, v50, v47
	v_add_u32_e32 v39, v46, v44
	v_add_u32_e32 v9, v43, v9
	v_add_u32_e32 v38, v40, v38
	ds_write_b16 v12, v29 offset:1024
	v_add_lshl_u32 v12, v34, v24, 1
	ds_write_b16 v12, v32 offset:1024
	v_add_lshl_u32 v12, v38, v20, 1
	v_add_lshl_u32 v9, v9, v19, 1
	;; [unrolled: 1-line block ×6, first 2 shown]
	ds_write_b16 v12, v36 offset:1024
	ds_write_b16 v9, v8 offset:1024
	;; [unrolled: 1-line block ×6, first 2 shown]
	s_and_saveexec_b64 s[6:7], vcc
	s_cbranch_execz .LBB1979_69
; %bb.60:
	v_lshl_or_b32 v4, s2, 8, v10
	v_mov_b32_e32 v5, 0
	v_lshl_add_u64 v[2:3], v[4:5], 2, s[28:29]
	v_or_b32_e32 v4, 2.0, v15
	s_mov_b64 s[8:9], 0
	s_brev_b32 s14, 1
	s_mov_b32 s15, s2
	v_mov_b32_e32 v8, 0
	global_store_dword v[2:3], v4, off sc1
                                        ; implicit-def: $sgpr4_sgpr5
	s_branch .LBB1979_62
.LBB1979_61:                            ;   in Loop: Header=BB1979_62 Depth=1
	s_or_b64 exec, exec, s[10:11]
	v_and_b32_e32 v6, 0x3fffffff, v9
	v_add_u32_e32 v8, v6, v8
	v_cmp_eq_u32_e64 s[4:5], s14, v4
	s_and_b64 s[10:11], exec, s[4:5]
	s_or_b64 s[8:9], s[10:11], s[8:9]
	s_andn2_b64 exec, exec, s[8:9]
	s_cbranch_execz .LBB1979_68
.LBB1979_62:                            ; =>This Loop Header: Depth=1
                                        ;     Child Loop BB1979_65 Depth 2
	s_or_b64 s[4:5], s[4:5], exec
	s_cmp_eq_u32 s15, 0
	s_cbranch_scc1 .LBB1979_67
; %bb.63:                               ;   in Loop: Header=BB1979_62 Depth=1
	s_add_i32 s15, s15, -1
	v_lshl_or_b32 v4, s15, 8, v10
	v_lshl_add_u64 v[6:7], v[4:5], 2, s[28:29]
	global_load_dword v9, v[6:7], off sc1
	s_waitcnt vmcnt(0)
	v_and_b32_e32 v4, -2.0, v9
	v_cmp_eq_u32_e64 s[4:5], 0, v4
	s_and_saveexec_b64 s[10:11], s[4:5]
	s_cbranch_execz .LBB1979_61
; %bb.64:                               ;   in Loop: Header=BB1979_62 Depth=1
	s_mov_b64 s[12:13], 0
.LBB1979_65:                            ;   Parent Loop BB1979_62 Depth=1
                                        ; =>  This Inner Loop Header: Depth=2
	global_load_dword v9, v[6:7], off sc1
	s_waitcnt vmcnt(0)
	v_and_b32_e32 v4, -2.0, v9
	v_cmp_ne_u32_e64 s[4:5], 0, v4
	s_or_b64 s[12:13], s[4:5], s[12:13]
	s_andn2_b64 exec, exec, s[12:13]
	s_cbranch_execnz .LBB1979_65
; %bb.66:                               ;   in Loop: Header=BB1979_62 Depth=1
	s_or_b64 exec, exec, s[12:13]
	s_branch .LBB1979_61
.LBB1979_67:                            ;   in Loop: Header=BB1979_62 Depth=1
                                        ; implicit-def: $sgpr15
	s_and_b64 s[10:11], exec, s[4:5]
	s_or_b64 s[8:9], s[10:11], s[8:9]
	s_andn2_b64 exec, exec, s[8:9]
	s_cbranch_execnz .LBB1979_62
.LBB1979_68:
	s_or_b64 exec, exec, s[8:9]
	v_add_u32_e32 v4, v8, v15
	v_or_b32_e32 v4, 0x80000000, v4
	global_store_dword v[2:3], v4, off sc1
	global_load_dword v2, v54, s[16:17]
	v_sub_u32_e32 v3, v8, v11
	s_waitcnt vmcnt(0)
	v_add_u32_e32 v2, v3, v2
	ds_write_b32 v54, v2
.LBB1979_69:
	s_or_b64 exec, exec, s[6:7]
	v_cmp_gt_u32_e64 s[4:5], s3, v10
	v_lshlrev_b32_e32 v2, 1, v10
	s_waitcnt lgkmcnt(0)
	s_barrier
	s_and_saveexec_b64 s[6:7], s[4:5]
	s_cbranch_execz .LBB1979_71
; %bb.70:
	ds_read_u16 v3, v2 offset:1024
	v_mov_b32_e32 v5, 0
	s_waitcnt lgkmcnt(0)
	v_lshrrev_b32_sdwa v4, s24, v3 dst_sel:DWORD dst_unused:UNUSED_PAD src0_sel:DWORD src1_sel:WORD_0
	v_and_b32_e32 v4, s27, v4
	v_lshlrev_b32_e32 v4, 2, v4
	ds_read_b32 v4, v4
	v_xor_b32_e32 v3, 0xffff8000, v3
	s_waitcnt lgkmcnt(0)
	v_add_u32_e32 v4, v4, v10
	v_lshl_add_u64 v[4:5], v[4:5], 1, s[22:23]
	global_store_short v[4:5], v3, off
.LBB1979_71:
	s_or_b64 exec, exec, s[6:7]
	v_or_b32_e32 v3, 0x400, v10
	v_cmp_gt_u32_e64 s[4:5], s3, v3
	s_and_saveexec_b64 s[6:7], s[4:5]
	s_cbranch_execz .LBB1979_73
; %bb.72:
	ds_read_u16 v4, v2 offset:3072
	s_waitcnt lgkmcnt(0)
	v_lshrrev_b32_sdwa v5, s24, v4 dst_sel:DWORD dst_unused:UNUSED_PAD src0_sel:DWORD src1_sel:WORD_0
	v_and_b32_e32 v5, s27, v5
	v_lshlrev_b32_e32 v5, 2, v5
	ds_read_b32 v5, v5
	v_xor_b32_e32 v6, 0xffff8000, v4
	s_waitcnt lgkmcnt(0)
	v_add_u32_e32 v4, v5, v3
	v_mov_b32_e32 v5, 0
	v_lshl_add_u64 v[4:5], v[4:5], 1, s[22:23]
	global_store_short v[4:5], v6, off
.LBB1979_73:
	s_or_b64 exec, exec, s[6:7]
	v_or_b32_e32 v3, 0x800, v10
	v_cmp_gt_u32_e64 s[4:5], s3, v3
	s_and_saveexec_b64 s[6:7], s[4:5]
	s_cbranch_execz .LBB1979_75
; %bb.74:
	ds_read_u16 v4, v2 offset:5120
	s_waitcnt lgkmcnt(0)
	v_lshrrev_b32_sdwa v5, s24, v4 dst_sel:DWORD dst_unused:UNUSED_PAD src0_sel:DWORD src1_sel:WORD_0
	v_and_b32_e32 v5, s27, v5
	v_lshlrev_b32_e32 v5, 2, v5
	ds_read_b32 v5, v5
	v_xor_b32_e32 v6, 0xffff8000, v4
	s_waitcnt lgkmcnt(0)
	v_add_u32_e32 v4, v5, v3
	v_mov_b32_e32 v5, 0
	v_lshl_add_u64 v[4:5], v[4:5], 1, s[22:23]
	global_store_short v[4:5], v6, off
.LBB1979_75:
	s_or_b64 exec, exec, s[6:7]
	v_or_b32_e32 v3, 0xc00, v10
	v_cmp_gt_u32_e64 s[4:5], s3, v3
	s_and_saveexec_b64 s[6:7], s[4:5]
	s_cbranch_execz .LBB1979_77
; %bb.76:
	ds_read_u16 v4, v2 offset:7168
	s_waitcnt lgkmcnt(0)
	v_lshrrev_b32_sdwa v5, s24, v4 dst_sel:DWORD dst_unused:UNUSED_PAD src0_sel:DWORD src1_sel:WORD_0
	v_and_b32_e32 v5, s27, v5
	v_lshlrev_b32_e32 v5, 2, v5
	ds_read_b32 v5, v5
	v_xor_b32_e32 v6, 0xffff8000, v4
	s_waitcnt lgkmcnt(0)
	v_add_u32_e32 v4, v5, v3
	v_mov_b32_e32 v5, 0
	v_lshl_add_u64 v[4:5], v[4:5], 1, s[22:23]
	global_store_short v[4:5], v6, off
.LBB1979_77:
	s_or_b64 exec, exec, s[6:7]
	v_or_b32_e32 v3, 0x1000, v10
	v_cmp_gt_u32_e64 s[4:5], s3, v3
	s_and_saveexec_b64 s[6:7], s[4:5]
	s_cbranch_execz .LBB1979_79
; %bb.78:
	ds_read_u16 v4, v2 offset:9216
	s_waitcnt lgkmcnt(0)
	v_lshrrev_b32_sdwa v5, s24, v4 dst_sel:DWORD dst_unused:UNUSED_PAD src0_sel:DWORD src1_sel:WORD_0
	v_and_b32_e32 v5, s27, v5
	v_lshlrev_b32_e32 v5, 2, v5
	ds_read_b32 v5, v5
	v_xor_b32_e32 v6, 0xffff8000, v4
	s_waitcnt lgkmcnt(0)
	v_add_u32_e32 v4, v5, v3
	v_mov_b32_e32 v5, 0
	v_lshl_add_u64 v[4:5], v[4:5], 1, s[22:23]
	global_store_short v[4:5], v6, off
.LBB1979_79:
	s_or_b64 exec, exec, s[6:7]
	v_or_b32_e32 v3, 0x1400, v10
	v_cmp_gt_u32_e64 s[4:5], s3, v3
	s_and_saveexec_b64 s[6:7], s[4:5]
	s_cbranch_execz .LBB1979_81
; %bb.80:
	ds_read_u16 v4, v2 offset:11264
	s_waitcnt lgkmcnt(0)
	v_lshrrev_b32_sdwa v5, s24, v4 dst_sel:DWORD dst_unused:UNUSED_PAD src0_sel:DWORD src1_sel:WORD_0
	v_and_b32_e32 v5, s27, v5
	v_lshlrev_b32_e32 v5, 2, v5
	ds_read_b32 v5, v5
	v_xor_b32_e32 v6, 0xffff8000, v4
	s_waitcnt lgkmcnt(0)
	v_add_u32_e32 v4, v5, v3
	v_mov_b32_e32 v5, 0
	v_lshl_add_u64 v[4:5], v[4:5], 1, s[22:23]
	global_store_short v[4:5], v6, off
.LBB1979_81:
	s_or_b64 exec, exec, s[6:7]
	v_or_b32_e32 v3, 0x1800, v10
	v_cmp_gt_u32_e64 s[4:5], s3, v3
	s_and_saveexec_b64 s[6:7], s[4:5]
	s_cbranch_execz .LBB1979_83
; %bb.82:
	ds_read_u16 v4, v2 offset:13312
	s_waitcnt lgkmcnt(0)
	v_lshrrev_b32_sdwa v5, s24, v4 dst_sel:DWORD dst_unused:UNUSED_PAD src0_sel:DWORD src1_sel:WORD_0
	v_and_b32_e32 v5, s27, v5
	v_lshlrev_b32_e32 v5, 2, v5
	ds_read_b32 v5, v5
	v_xor_b32_e32 v6, 0xffff8000, v4
	s_waitcnt lgkmcnt(0)
	v_add_u32_e32 v4, v5, v3
	v_mov_b32_e32 v5, 0
	v_lshl_add_u64 v[4:5], v[4:5], 1, s[22:23]
	global_store_short v[4:5], v6, off
.LBB1979_83:
	s_or_b64 exec, exec, s[6:7]
	v_or_b32_e32 v3, 0x1c00, v10
	v_cmp_gt_u32_e64 s[4:5], s3, v3
	s_and_saveexec_b64 s[6:7], s[4:5]
	s_cbranch_execz .LBB1979_85
; %bb.84:
	ds_read_u16 v4, v2 offset:15360
	s_waitcnt lgkmcnt(0)
	v_lshrrev_b32_sdwa v5, s24, v4 dst_sel:DWORD dst_unused:UNUSED_PAD src0_sel:DWORD src1_sel:WORD_0
	v_and_b32_e32 v5, s27, v5
	v_lshlrev_b32_e32 v5, 2, v5
	ds_read_b32 v5, v5
	v_xor_b32_e32 v6, 0xffff8000, v4
	s_waitcnt lgkmcnt(0)
	v_add_u32_e32 v4, v5, v3
	v_mov_b32_e32 v5, 0
	v_lshl_add_u64 v[4:5], v[4:5], 1, s[22:23]
	global_store_short v[4:5], v6, off
.LBB1979_85:
	s_or_b64 exec, exec, s[6:7]
	v_or_b32_e32 v3, 0x2000, v10
	v_cmp_gt_u32_e64 s[4:5], s3, v3
	s_and_saveexec_b64 s[6:7], s[4:5]
	s_cbranch_execz .LBB1979_87
; %bb.86:
	ds_read_u16 v4, v2 offset:17408
	s_waitcnt lgkmcnt(0)
	v_lshrrev_b32_sdwa v5, s24, v4 dst_sel:DWORD dst_unused:UNUSED_PAD src0_sel:DWORD src1_sel:WORD_0
	v_and_b32_e32 v5, s27, v5
	v_lshlrev_b32_e32 v5, 2, v5
	ds_read_b32 v5, v5
	v_xor_b32_e32 v6, 0xffff8000, v4
	s_waitcnt lgkmcnt(0)
	v_add_u32_e32 v4, v5, v3
	v_mov_b32_e32 v5, 0
	v_lshl_add_u64 v[4:5], v[4:5], 1, s[22:23]
	global_store_short v[4:5], v6, off
.LBB1979_87:
	s_or_b64 exec, exec, s[6:7]
	v_or_b32_e32 v3, 0x2400, v10
	v_cmp_gt_u32_e64 s[4:5], s3, v3
	s_and_saveexec_b64 s[6:7], s[4:5]
	s_cbranch_execz .LBB1979_89
; %bb.88:
	ds_read_u16 v4, v2 offset:19456
	s_waitcnt lgkmcnt(0)
	v_lshrrev_b32_sdwa v5, s24, v4 dst_sel:DWORD dst_unused:UNUSED_PAD src0_sel:DWORD src1_sel:WORD_0
	v_and_b32_e32 v5, s27, v5
	v_lshlrev_b32_e32 v5, 2, v5
	ds_read_b32 v5, v5
	v_xor_b32_e32 v6, 0xffff8000, v4
	s_waitcnt lgkmcnt(0)
	v_add_u32_e32 v4, v5, v3
	v_mov_b32_e32 v5, 0
	v_lshl_add_u64 v[4:5], v[4:5], 1, s[22:23]
	global_store_short v[4:5], v6, off
.LBB1979_89:
	s_or_b64 exec, exec, s[6:7]
	v_or_b32_e32 v3, 0x2800, v10
	v_cmp_gt_u32_e64 s[4:5], s3, v3
	s_and_saveexec_b64 s[6:7], s[4:5]
	s_cbranch_execz .LBB1979_91
; %bb.90:
	ds_read_u16 v4, v2 offset:21504
	s_waitcnt lgkmcnt(0)
	v_lshrrev_b32_sdwa v5, s24, v4 dst_sel:DWORD dst_unused:UNUSED_PAD src0_sel:DWORD src1_sel:WORD_0
	v_and_b32_e32 v5, s27, v5
	v_lshlrev_b32_e32 v5, 2, v5
	ds_read_b32 v5, v5
	v_xor_b32_e32 v6, 0xffff8000, v4
	s_waitcnt lgkmcnt(0)
	v_add_u32_e32 v4, v5, v3
	v_mov_b32_e32 v5, 0
	v_lshl_add_u64 v[4:5], v[4:5], 1, s[22:23]
	global_store_short v[4:5], v6, off
.LBB1979_91:
	s_or_b64 exec, exec, s[6:7]
	v_or_b32_e32 v3, 0x2c00, v10
	v_cmp_gt_u32_e64 s[4:5], s3, v3
	s_and_saveexec_b64 s[6:7], s[4:5]
	s_cbranch_execz .LBB1979_93
; %bb.92:
	ds_read_u16 v2, v2 offset:23552
	s_waitcnt lgkmcnt(0)
	v_lshrrev_b32_sdwa v4, s24, v2 dst_sel:DWORD dst_unused:UNUSED_PAD src0_sel:DWORD src1_sel:WORD_0
	v_and_b32_e32 v4, s27, v4
	v_lshlrev_b32_e32 v4, 2, v4
	ds_read_b32 v4, v4
	v_xor_b32_e32 v5, 0xffff8000, v2
	s_waitcnt lgkmcnt(0)
	v_add_u32_e32 v2, v4, v3
	v_mov_b32_e32 v3, 0
	v_lshl_add_u64 v[2:3], v[2:3], 1, s[22:23]
	global_store_short v[2:3], v5, off
.LBB1979_93:
	s_or_b64 exec, exec, s[6:7]
	s_add_i32 s26, s26, -1
	s_cmp_eq_u32 s26, s2
	s_cselect_b64 s[4:5], -1, 0
	s_and_b64 s[6:7], vcc, s[4:5]
	s_mov_b64 s[4:5], 0
	s_mov_b64 s[10:11], 0
                                        ; implicit-def: $vgpr2
	s_and_saveexec_b64 s[8:9], s[6:7]
	s_xor_b64 s[6:7], exec, s[8:9]
; %bb.94:
	s_mov_b64 s[10:11], exec
	v_add_u32_e32 v2, v11, v15
	v_mov_b32_e32 v11, 0
; %bb.95:
	s_or_b64 exec, exec, s[6:7]
	s_and_b64 vcc, exec, s[4:5]
	s_cbranch_vccnz .LBB1979_97
	s_branch .LBB1979_146
.LBB1979_96:
	s_mov_b64 s[10:11], 0
                                        ; implicit-def: $vgpr2
                                        ; implicit-def: $vgpr10_vgpr11
	s_cbranch_execz .LBB1979_146
.LBB1979_97:
	s_mov_b32 s31, 0
	v_and_b32_e32 v10, 0x3ff, v0
	s_lshl_b64 s[4:5], s[30:31], 1
	v_mbcnt_hi_u32_b32 v4, -1, v1
	s_add_u32 s4, s20, s4
	v_and_b32_e32 v1, 63, v4
	v_and_b32_e32 v2, 0x3c0, v10
	s_addc_u32 s5, s21, s5
	v_mov_b32_e32 v3, 0
	v_mul_u32_u24_e32 v5, 12, v2
	v_lshlrev_b32_e32 v2, 1, v1
	v_lshl_add_u64 v[6:7], s[4:5], 0, v[2:3]
	s_load_dword s4, s[0:1], 0x64
	s_load_dword s3, s[0:1], 0x58
	s_add_u32 s0, s0, 0x58
	v_lshlrev_b32_e32 v2, 1, v5
	s_addc_u32 s1, s1, 0
	s_waitcnt lgkmcnt(0)
	s_lshr_b32 s4, s4, 16
	v_lshl_add_u64 v[12:13], v[6:7], 0, v[2:3]
	s_cmp_lt_u32 s2, s3
	global_load_ushort v1, v[12:13], off
	s_cselect_b32 s5, 12, 18
	s_add_u32 s0, s0, s5
	s_addc_u32 s1, s1, 0
	global_load_ushort v7, v3, s[0:1]
	v_mul_u32_u24_e32 v6, 5, v10
	v_lshlrev_b32_e32 v6, 2, v6
	ds_write2_b32 v6, v3, v3 offset0:16 offset1:17
	ds_write2_b32 v6, v3, v3 offset0:18 offset1:19
	ds_write_b32 v6, v3 offset:80
	global_load_ushort v9, v[12:13], off offset:128
	global_load_ushort v14, v[12:13], off offset:256
	;; [unrolled: 1-line block ×11, first 2 shown]
	v_bfe_u32 v2, v0, 10, 10
	v_bfe_u32 v5, v0, 20, 10
	v_mad_u32_u24 v8, v5, s4, v2
	s_lshl_b32 s0, -1, s25
	s_not_b32 s14, s0
	v_mov_b32_e32 v0, v3
	v_mov_b32_e32 v18, v3
	;; [unrolled: 1-line block ×4, first 2 shown]
	s_waitcnt lgkmcnt(0)
	s_barrier
	s_waitcnt lgkmcnt(0)
	; wave barrier
	s_waitcnt vmcnt(12)
	v_xor_b32_e32 v5, 0xffff8000, v1
	v_lshrrev_b32_sdwa v1, s24, v5 dst_sel:DWORD dst_unused:UNUSED_PAD src0_sel:DWORD src1_sel:WORD_0
	v_and_b32_e32 v11, s14, v1
	v_and_b32_e32 v2, 1, v11
	v_lshlrev_b32_e32 v1, 30, v11
	s_waitcnt vmcnt(11)
	v_mad_u64_u32 v[12:13], s[0:1], v8, v7, v[10:11]
	v_lshlrev_b32_e32 v19, 29, v11
	v_lshl_add_u64 v[36:37], v[2:3], 0, -1
	v_cmp_ne_u32_e32 vcc, 0, v2
	v_cmp_gt_i64_e64 s[0:1], 0, v[0:1]
	v_not_b32_e32 v0, v1
	v_mul_u32_u24_e32 v15, 17, v11
	v_lshlrev_b32_e32 v27, 28, v11
	v_cmp_gt_i64_e64 s[4:5], 0, v[18:19]
	v_not_b32_e32 v1, v19
	v_lshrrev_b32_e32 v18, 6, v12
	v_xor_b32_e32 v12, vcc_hi, v37
	v_xor_b32_e32 v13, vcc_lo, v36
	v_ashrrev_i32_e32 v0, 31, v0
	v_lshlrev_b32_e32 v31, 27, v11
	v_not_b32_e32 v2, v27
	v_ashrrev_i32_e32 v1, 31, v1
	v_add_lshl_u32 v8, v18, v15, 2
	v_and_b32_e32 v12, exec_hi, v12
	v_and_b32_e32 v13, exec_lo, v13
	v_xor_b32_e32 v15, s1, v0
	v_xor_b32_e32 v0, s0, v0
	v_cmp_gt_i64_e64 s[6:7], 0, v[26:27]
	v_not_b32_e32 v7, v31
	v_ashrrev_i32_e32 v2, 31, v2
	v_xor_b32_e32 v16, s5, v1
	v_xor_b32_e32 v1, s4, v1
	v_and_b32_e32 v12, v12, v15
	v_and_b32_e32 v0, v13, v0
	v_cmp_gt_i64_e64 s[8:9], 0, v[30:31]
	v_ashrrev_i32_e32 v7, 31, v7
	v_xor_b32_e32 v19, s7, v2
	v_xor_b32_e32 v2, s6, v2
	v_and_b32_e32 v12, v12, v16
	v_and_b32_e32 v0, v0, v1
	;; [unrolled: 1-line block ×4, first 2 shown]
	v_xor_b32_e32 v2, s9, v7
	v_xor_b32_e32 v7, s8, v7
	v_and_b32_e32 v2, v1, v2
	v_and_b32_e32 v7, v0, v7
	v_lshlrev_b32_e32 v1, 26, v11
	v_mov_b32_e32 v0, v3
	v_cmp_gt_i64_e32 vcc, 0, v[0:1]
	v_not_b32_e32 v0, v1
	v_ashrrev_i32_e32 v0, 31, v0
	v_xor_b32_e32 v1, vcc_hi, v0
	v_xor_b32_e32 v0, vcc_lo, v0
	v_and_b32_e32 v2, v2, v1
	v_and_b32_e32 v7, v7, v0
	v_lshlrev_b32_e32 v1, 25, v11
	v_mov_b32_e32 v0, v3
	v_cmp_gt_i64_e32 vcc, 0, v[0:1]
	v_not_b32_e32 v0, v1
	v_ashrrev_i32_e32 v0, 31, v0
	v_xor_b32_e32 v1, vcc_hi, v0
	v_xor_b32_e32 v0, vcc_lo, v0
	;; [unrolled: 9-line block ×3, first 2 shown]
	v_and_b32_e32 v0, v7, v0
	v_and_b32_e32 v1, v2, v1
	v_mbcnt_lo_u32_b32 v2, v0, 0
	v_mbcnt_hi_u32_b32 v7, v1, v2
	v_cmp_eq_u32_e32 vcc, 0, v7
	v_cmp_ne_u64_e64 s[0:1], 0, v[0:1]
	s_and_b64 s[4:5], s[0:1], vcc
	s_and_saveexec_b64 s[0:1], s[4:5]
	s_cbranch_execz .LBB1979_99
; %bb.98:
	v_bcnt_u32_b32 v0, v0, 0
	v_bcnt_u32_b32 v0, v1, v0
	ds_write_b32 v8, v0 offset:64
.LBB1979_99:
	s_or_b64 exec, exec, s[0:1]
	s_waitcnt vmcnt(10)
	v_xor_b32_e32 v9, 0xffff8000, v9
	v_lshrrev_b32_sdwa v0, s24, v9 dst_sel:DWORD dst_unused:UNUSED_PAD src0_sel:DWORD src1_sel:WORD_0
	v_and_b32_e32 v13, s14, v0
	v_mul_u32_u24_e32 v0, 17, v13
	v_and_b32_e32 v2, 1, v13
	v_add_lshl_u32 v12, v18, v0, 2
	v_lshl_add_u64 v[0:1], v[2:3], 0, -1
	v_cmp_ne_u32_e32 vcc, 0, v2
	; wave barrier
	s_nop 1
	v_xor_b32_e32 v1, vcc_hi, v1
	v_xor_b32_e32 v0, vcc_lo, v0
	v_and_b32_e32 v2, exec_hi, v1
	v_and_b32_e32 v15, exec_lo, v0
	v_lshlrev_b32_e32 v1, 30, v13
	v_mov_b32_e32 v0, v3
	v_cmp_gt_i64_e32 vcc, 0, v[0:1]
	v_not_b32_e32 v0, v1
	v_ashrrev_i32_e32 v0, 31, v0
	v_xor_b32_e32 v1, vcc_hi, v0
	v_xor_b32_e32 v0, vcc_lo, v0
	v_and_b32_e32 v2, v2, v1
	v_and_b32_e32 v15, v15, v0
	v_lshlrev_b32_e32 v1, 29, v13
	v_mov_b32_e32 v0, v3
	v_cmp_gt_i64_e32 vcc, 0, v[0:1]
	v_not_b32_e32 v0, v1
	v_ashrrev_i32_e32 v0, 31, v0
	v_xor_b32_e32 v1, vcc_hi, v0
	v_xor_b32_e32 v0, vcc_lo, v0
	v_and_b32_e32 v2, v2, v1
	v_and_b32_e32 v15, v15, v0
	;; [unrolled: 9-line block ×6, first 2 shown]
	v_lshlrev_b32_e32 v1, 24, v13
	v_mov_b32_e32 v0, v3
	v_cmp_gt_i64_e32 vcc, 0, v[0:1]
	v_not_b32_e32 v0, v1
	v_ashrrev_i32_e32 v0, 31, v0
	v_xor_b32_e32 v1, vcc_hi, v0
	v_xor_b32_e32 v0, vcc_lo, v0
	ds_read_b32 v11, v12 offset:64
	v_and_b32_e32 v0, v15, v0
	v_and_b32_e32 v1, v2, v1
	v_mbcnt_lo_u32_b32 v2, v0, 0
	v_mbcnt_hi_u32_b32 v13, v1, v2
	v_cmp_eq_u32_e32 vcc, 0, v13
	v_cmp_ne_u64_e64 s[0:1], 0, v[0:1]
	s_and_b64 s[4:5], s[0:1], vcc
	; wave barrier
	s_and_saveexec_b64 s[0:1], s[4:5]
	s_cbranch_execz .LBB1979_101
; %bb.100:
	v_bcnt_u32_b32 v0, v0, 0
	v_bcnt_u32_b32 v0, v1, v0
	s_waitcnt lgkmcnt(0)
	v_add_u32_e32 v0, v11, v0
	ds_write_b32 v12, v0 offset:64
.LBB1979_101:
	s_or_b64 exec, exec, s[0:1]
	s_waitcnt vmcnt(9)
	v_xor_b32_e32 v14, 0xffff8000, v14
	v_lshrrev_b32_sdwa v0, s24, v14 dst_sel:DWORD dst_unused:UNUSED_PAD src0_sel:DWORD src1_sel:WORD_0
	v_and_b32_e32 v19, s14, v0
	v_mul_u32_u24_e32 v0, 17, v19
	v_add_lshl_u32 v16, v18, v0, 2
	v_and_b32_e32 v0, 1, v19
	v_mov_b32_e32 v1, 0
	v_lshl_add_u64 v[2:3], v[0:1], 0, -1
	v_cmp_ne_u32_e32 vcc, 0, v0
	; wave barrier
	s_nop 1
	v_xor_b32_e32 v2, vcc_lo, v2
	v_xor_b32_e32 v0, vcc_hi, v3
	v_and_b32_e32 v21, exec_lo, v2
	v_lshlrev_b32_e32 v3, 30, v19
	v_mov_b32_e32 v2, v1
	v_cmp_gt_i64_e32 vcc, 0, v[2:3]
	v_not_b32_e32 v2, v3
	v_ashrrev_i32_e32 v2, 31, v2
	v_and_b32_e32 v0, exec_hi, v0
	v_xor_b32_e32 v3, vcc_hi, v2
	v_xor_b32_e32 v2, vcc_lo, v2
	v_and_b32_e32 v0, v0, v3
	v_and_b32_e32 v21, v21, v2
	v_lshlrev_b32_e32 v3, 29, v19
	v_mov_b32_e32 v2, v1
	v_cmp_gt_i64_e32 vcc, 0, v[2:3]
	v_not_b32_e32 v2, v3
	v_ashrrev_i32_e32 v2, 31, v2
	v_xor_b32_e32 v3, vcc_hi, v2
	v_xor_b32_e32 v2, vcc_lo, v2
	v_and_b32_e32 v0, v0, v3
	v_and_b32_e32 v21, v21, v2
	v_lshlrev_b32_e32 v3, 28, v19
	v_mov_b32_e32 v2, v1
	v_cmp_gt_i64_e32 vcc, 0, v[2:3]
	v_not_b32_e32 v2, v3
	v_ashrrev_i32_e32 v2, 31, v2
	v_xor_b32_e32 v3, vcc_hi, v2
	v_xor_b32_e32 v2, vcc_lo, v2
	v_and_b32_e32 v0, v0, v3
	v_and_b32_e32 v21, v21, v2
	v_lshlrev_b32_e32 v3, 27, v19
	v_mov_b32_e32 v2, v1
	v_cmp_gt_i64_e32 vcc, 0, v[2:3]
	v_not_b32_e32 v2, v3
	v_ashrrev_i32_e32 v2, 31, v2
	v_xor_b32_e32 v3, vcc_hi, v2
	v_xor_b32_e32 v2, vcc_lo, v2
	v_and_b32_e32 v0, v0, v3
	v_and_b32_e32 v21, v21, v2
	v_lshlrev_b32_e32 v3, 26, v19
	v_mov_b32_e32 v2, v1
	v_cmp_gt_i64_e32 vcc, 0, v[2:3]
	v_not_b32_e32 v2, v3
	v_ashrrev_i32_e32 v2, 31, v2
	v_xor_b32_e32 v3, vcc_hi, v2
	v_xor_b32_e32 v2, vcc_lo, v2
	v_and_b32_e32 v0, v0, v3
	v_and_b32_e32 v21, v21, v2
	v_lshlrev_b32_e32 v3, 25, v19
	v_mov_b32_e32 v2, v1
	v_cmp_gt_i64_e32 vcc, 0, v[2:3]
	v_not_b32_e32 v2, v3
	v_ashrrev_i32_e32 v2, 31, v2
	v_xor_b32_e32 v3, vcc_hi, v2
	v_xor_b32_e32 v2, vcc_lo, v2
	v_and_b32_e32 v0, v0, v3
	v_and_b32_e32 v21, v21, v2
	v_lshlrev_b32_e32 v3, 24, v19
	v_mov_b32_e32 v2, v1
	v_cmp_gt_i64_e32 vcc, 0, v[2:3]
	v_not_b32_e32 v2, v3
	v_ashrrev_i32_e32 v2, 31, v2
	v_xor_b32_e32 v3, vcc_hi, v2
	v_xor_b32_e32 v2, vcc_lo, v2
	ds_read_b32 v15, v16 offset:64
	v_and_b32_e32 v2, v21, v2
	v_and_b32_e32 v3, v0, v3
	v_mbcnt_lo_u32_b32 v0, v2, 0
	v_mbcnt_hi_u32_b32 v19, v3, v0
	v_cmp_eq_u32_e32 vcc, 0, v19
	v_cmp_ne_u64_e64 s[0:1], 0, v[2:3]
	s_and_b64 s[4:5], s[0:1], vcc
	; wave barrier
	s_and_saveexec_b64 s[0:1], s[4:5]
	s_cbranch_execz .LBB1979_103
; %bb.102:
	v_bcnt_u32_b32 v0, v2, 0
	v_bcnt_u32_b32 v0, v3, v0
	s_waitcnt lgkmcnt(0)
	v_add_u32_e32 v0, v15, v0
	ds_write_b32 v16, v0 offset:64
.LBB1979_103:
	s_or_b64 exec, exec, s[0:1]
	s_waitcnt vmcnt(8)
	v_xor_b32_e32 v20, 0xffff8000, v20
	v_lshrrev_b32_sdwa v0, s24, v20 dst_sel:DWORD dst_unused:UNUSED_PAD src0_sel:DWORD src1_sel:WORD_0
	v_and_b32_e32 v24, s14, v0
	v_mul_u32_u24_e32 v0, 17, v24
	v_add_lshl_u32 v22, v18, v0, 2
	v_and_b32_e32 v0, 1, v24
	v_lshl_add_u64 v[2:3], v[0:1], 0, -1
	v_cmp_ne_u32_e32 vcc, 0, v0
	; wave barrier
	s_nop 1
	v_xor_b32_e32 v2, vcc_lo, v2
	v_xor_b32_e32 v0, vcc_hi, v3
	v_and_b32_e32 v26, exec_lo, v2
	v_lshlrev_b32_e32 v3, 30, v24
	v_mov_b32_e32 v2, v1
	v_cmp_gt_i64_e32 vcc, 0, v[2:3]
	v_not_b32_e32 v2, v3
	v_ashrrev_i32_e32 v2, 31, v2
	v_and_b32_e32 v0, exec_hi, v0
	v_xor_b32_e32 v3, vcc_hi, v2
	v_xor_b32_e32 v2, vcc_lo, v2
	v_and_b32_e32 v0, v0, v3
	v_and_b32_e32 v26, v26, v2
	v_lshlrev_b32_e32 v3, 29, v24
	v_mov_b32_e32 v2, v1
	v_cmp_gt_i64_e32 vcc, 0, v[2:3]
	v_not_b32_e32 v2, v3
	v_ashrrev_i32_e32 v2, 31, v2
	v_xor_b32_e32 v3, vcc_hi, v2
	v_xor_b32_e32 v2, vcc_lo, v2
	v_and_b32_e32 v0, v0, v3
	v_and_b32_e32 v26, v26, v2
	v_lshlrev_b32_e32 v3, 28, v24
	v_mov_b32_e32 v2, v1
	v_cmp_gt_i64_e32 vcc, 0, v[2:3]
	v_not_b32_e32 v2, v3
	v_ashrrev_i32_e32 v2, 31, v2
	;; [unrolled: 9-line block ×5, first 2 shown]
	v_xor_b32_e32 v3, vcc_hi, v2
	v_xor_b32_e32 v2, vcc_lo, v2
	v_and_b32_e32 v0, v0, v3
	v_lshlrev_b32_e32 v3, 24, v24
	v_and_b32_e32 v26, v26, v2
	v_mov_b32_e32 v2, v1
	v_not_b32_e32 v1, v3
	v_cmp_gt_i64_e32 vcc, 0, v[2:3]
	v_ashrrev_i32_e32 v1, 31, v1
	ds_read_b32 v21, v22 offset:64
	v_xor_b32_e32 v2, vcc_hi, v1
	v_xor_b32_e32 v3, vcc_lo, v1
	v_and_b32_e32 v1, v0, v2
	v_and_b32_e32 v0, v26, v3
	v_mbcnt_lo_u32_b32 v2, v0, 0
	v_mbcnt_hi_u32_b32 v24, v1, v2
	v_cmp_eq_u32_e32 vcc, 0, v24
	v_cmp_ne_u64_e64 s[0:1], 0, v[0:1]
	s_and_b64 s[4:5], s[0:1], vcc
	; wave barrier
	s_and_saveexec_b64 s[0:1], s[4:5]
	s_cbranch_execz .LBB1979_105
; %bb.104:
	v_bcnt_u32_b32 v0, v0, 0
	v_bcnt_u32_b32 v0, v1, v0
	s_waitcnt lgkmcnt(0)
	v_add_u32_e32 v0, v21, v0
	ds_write_b32 v22, v0 offset:64
.LBB1979_105:
	s_or_b64 exec, exec, s[0:1]
	s_waitcnt vmcnt(7)
	v_xor_b32_e32 v25, 0xffff8000, v25
	v_lshrrev_b32_sdwa v0, s24, v25 dst_sel:DWORD dst_unused:UNUSED_PAD src0_sel:DWORD src1_sel:WORD_0
	v_and_b32_e32 v30, s14, v0
	v_mul_u32_u24_e32 v0, 17, v30
	v_add_lshl_u32 v27, v18, v0, 2
	v_and_b32_e32 v0, 1, v30
	v_mov_b32_e32 v1, 0
	v_lshl_add_u64 v[2:3], v[0:1], 0, -1
	v_cmp_ne_u32_e32 vcc, 0, v0
	; wave barrier
	s_nop 1
	v_xor_b32_e32 v2, vcc_lo, v2
	v_xor_b32_e32 v0, vcc_hi, v3
	v_and_b32_e32 v31, exec_lo, v2
	v_lshlrev_b32_e32 v3, 30, v30
	v_mov_b32_e32 v2, v1
	v_cmp_gt_i64_e32 vcc, 0, v[2:3]
	v_not_b32_e32 v2, v3
	v_ashrrev_i32_e32 v2, 31, v2
	v_and_b32_e32 v0, exec_hi, v0
	v_xor_b32_e32 v3, vcc_hi, v2
	v_xor_b32_e32 v2, vcc_lo, v2
	v_and_b32_e32 v0, v0, v3
	v_and_b32_e32 v31, v31, v2
	v_lshlrev_b32_e32 v3, 29, v30
	v_mov_b32_e32 v2, v1
	v_cmp_gt_i64_e32 vcc, 0, v[2:3]
	v_not_b32_e32 v2, v3
	v_ashrrev_i32_e32 v2, 31, v2
	v_xor_b32_e32 v3, vcc_hi, v2
	v_xor_b32_e32 v2, vcc_lo, v2
	v_and_b32_e32 v0, v0, v3
	v_and_b32_e32 v31, v31, v2
	v_lshlrev_b32_e32 v3, 28, v30
	v_mov_b32_e32 v2, v1
	v_cmp_gt_i64_e32 vcc, 0, v[2:3]
	v_not_b32_e32 v2, v3
	v_ashrrev_i32_e32 v2, 31, v2
	;; [unrolled: 9-line block ×6, first 2 shown]
	v_xor_b32_e32 v3, vcc_hi, v2
	v_xor_b32_e32 v2, vcc_lo, v2
	ds_read_b32 v26, v27 offset:64
	v_and_b32_e32 v2, v31, v2
	v_and_b32_e32 v3, v0, v3
	v_mbcnt_lo_u32_b32 v0, v2, 0
	v_mbcnt_hi_u32_b32 v30, v3, v0
	v_cmp_eq_u32_e32 vcc, 0, v30
	v_cmp_ne_u64_e64 s[0:1], 0, v[2:3]
	s_and_b64 s[4:5], s[0:1], vcc
	; wave barrier
	s_and_saveexec_b64 s[0:1], s[4:5]
	s_cbranch_execz .LBB1979_107
; %bb.106:
	v_bcnt_u32_b32 v0, v2, 0
	v_bcnt_u32_b32 v0, v3, v0
	s_waitcnt lgkmcnt(0)
	v_add_u32_e32 v0, v26, v0
	ds_write_b32 v27, v0 offset:64
.LBB1979_107:
	s_or_b64 exec, exec, s[0:1]
	s_waitcnt vmcnt(6)
	v_xor_b32_e32 v29, 0xffff8000, v29
	v_lshrrev_b32_sdwa v0, s24, v29 dst_sel:DWORD dst_unused:UNUSED_PAD src0_sel:DWORD src1_sel:WORD_0
	v_and_b32_e32 v35, s14, v0
	v_mul_u32_u24_e32 v0, 17, v35
	v_add_lshl_u32 v32, v18, v0, 2
	v_and_b32_e32 v0, 1, v35
	v_lshl_add_u64 v[2:3], v[0:1], 0, -1
	v_cmp_ne_u32_e32 vcc, 0, v0
	; wave barrier
	s_nop 1
	v_xor_b32_e32 v2, vcc_lo, v2
	v_xor_b32_e32 v0, vcc_hi, v3
	v_and_b32_e32 v36, exec_lo, v2
	v_lshlrev_b32_e32 v3, 30, v35
	v_mov_b32_e32 v2, v1
	v_cmp_gt_i64_e32 vcc, 0, v[2:3]
	v_not_b32_e32 v2, v3
	v_ashrrev_i32_e32 v2, 31, v2
	v_and_b32_e32 v0, exec_hi, v0
	v_xor_b32_e32 v3, vcc_hi, v2
	v_xor_b32_e32 v2, vcc_lo, v2
	v_and_b32_e32 v0, v0, v3
	v_and_b32_e32 v36, v36, v2
	v_lshlrev_b32_e32 v3, 29, v35
	v_mov_b32_e32 v2, v1
	v_cmp_gt_i64_e32 vcc, 0, v[2:3]
	v_not_b32_e32 v2, v3
	v_ashrrev_i32_e32 v2, 31, v2
	v_xor_b32_e32 v3, vcc_hi, v2
	v_xor_b32_e32 v2, vcc_lo, v2
	v_and_b32_e32 v0, v0, v3
	v_and_b32_e32 v36, v36, v2
	v_lshlrev_b32_e32 v3, 28, v35
	v_mov_b32_e32 v2, v1
	v_cmp_gt_i64_e32 vcc, 0, v[2:3]
	v_not_b32_e32 v2, v3
	v_ashrrev_i32_e32 v2, 31, v2
	;; [unrolled: 9-line block ×5, first 2 shown]
	v_xor_b32_e32 v3, vcc_hi, v2
	v_xor_b32_e32 v2, vcc_lo, v2
	v_and_b32_e32 v0, v0, v3
	v_lshlrev_b32_e32 v3, 24, v35
	v_and_b32_e32 v36, v36, v2
	v_mov_b32_e32 v2, v1
	v_not_b32_e32 v1, v3
	v_cmp_gt_i64_e32 vcc, 0, v[2:3]
	v_ashrrev_i32_e32 v1, 31, v1
	ds_read_b32 v31, v32 offset:64
	v_xor_b32_e32 v2, vcc_hi, v1
	v_xor_b32_e32 v3, vcc_lo, v1
	v_and_b32_e32 v1, v0, v2
	v_and_b32_e32 v0, v36, v3
	v_mbcnt_lo_u32_b32 v2, v0, 0
	v_mbcnt_hi_u32_b32 v35, v1, v2
	v_cmp_eq_u32_e32 vcc, 0, v35
	v_cmp_ne_u64_e64 s[0:1], 0, v[0:1]
	s_and_b64 s[4:5], s[0:1], vcc
	; wave barrier
	s_and_saveexec_b64 s[0:1], s[4:5]
	s_cbranch_execz .LBB1979_109
; %bb.108:
	v_bcnt_u32_b32 v0, v0, 0
	v_bcnt_u32_b32 v0, v1, v0
	s_waitcnt lgkmcnt(0)
	v_add_u32_e32 v0, v31, v0
	ds_write_b32 v32, v0 offset:64
.LBB1979_109:
	s_or_b64 exec, exec, s[0:1]
	s_waitcnt vmcnt(5)
	v_xor_b32_e32 v34, 0xffff8000, v34
	v_lshrrev_b32_sdwa v0, s24, v34 dst_sel:DWORD dst_unused:UNUSED_PAD src0_sel:DWORD src1_sel:WORD_0
	v_and_b32_e32 v39, s14, v0
	v_mul_u32_u24_e32 v0, 17, v39
	v_add_lshl_u32 v37, v18, v0, 2
	v_and_b32_e32 v0, 1, v39
	v_mov_b32_e32 v1, 0
	v_lshl_add_u64 v[2:3], v[0:1], 0, -1
	v_cmp_ne_u32_e32 vcc, 0, v0
	; wave barrier
	s_nop 1
	v_xor_b32_e32 v2, vcc_lo, v2
	v_xor_b32_e32 v0, vcc_hi, v3
	v_and_b32_e32 v40, exec_lo, v2
	v_lshlrev_b32_e32 v3, 30, v39
	v_mov_b32_e32 v2, v1
	v_cmp_gt_i64_e32 vcc, 0, v[2:3]
	v_not_b32_e32 v2, v3
	v_ashrrev_i32_e32 v2, 31, v2
	v_and_b32_e32 v0, exec_hi, v0
	v_xor_b32_e32 v3, vcc_hi, v2
	v_xor_b32_e32 v2, vcc_lo, v2
	v_and_b32_e32 v0, v0, v3
	v_and_b32_e32 v40, v40, v2
	v_lshlrev_b32_e32 v3, 29, v39
	v_mov_b32_e32 v2, v1
	v_cmp_gt_i64_e32 vcc, 0, v[2:3]
	v_not_b32_e32 v2, v3
	v_ashrrev_i32_e32 v2, 31, v2
	v_xor_b32_e32 v3, vcc_hi, v2
	v_xor_b32_e32 v2, vcc_lo, v2
	v_and_b32_e32 v0, v0, v3
	v_and_b32_e32 v40, v40, v2
	v_lshlrev_b32_e32 v3, 28, v39
	v_mov_b32_e32 v2, v1
	v_cmp_gt_i64_e32 vcc, 0, v[2:3]
	v_not_b32_e32 v2, v3
	v_ashrrev_i32_e32 v2, 31, v2
	;; [unrolled: 9-line block ×6, first 2 shown]
	v_xor_b32_e32 v3, vcc_hi, v2
	v_xor_b32_e32 v2, vcc_lo, v2
	ds_read_b32 v36, v37 offset:64
	v_and_b32_e32 v2, v40, v2
	v_and_b32_e32 v3, v0, v3
	v_mbcnt_lo_u32_b32 v0, v2, 0
	v_mbcnt_hi_u32_b32 v39, v3, v0
	v_cmp_eq_u32_e32 vcc, 0, v39
	v_cmp_ne_u64_e64 s[0:1], 0, v[2:3]
	s_and_b64 s[4:5], s[0:1], vcc
	; wave barrier
	s_and_saveexec_b64 s[0:1], s[4:5]
	s_cbranch_execz .LBB1979_111
; %bb.110:
	v_bcnt_u32_b32 v0, v2, 0
	v_bcnt_u32_b32 v0, v3, v0
	s_waitcnt lgkmcnt(0)
	v_add_u32_e32 v0, v36, v0
	ds_write_b32 v37, v0 offset:64
.LBB1979_111:
	s_or_b64 exec, exec, s[0:1]
	s_waitcnt vmcnt(4)
	v_xor_b32_e32 v38, 0xffff8000, v38
	v_lshrrev_b32_sdwa v0, s24, v38 dst_sel:DWORD dst_unused:UNUSED_PAD src0_sel:DWORD src1_sel:WORD_0
	v_and_b32_e32 v42, s14, v0
	v_mul_u32_u24_e32 v0, 17, v42
	v_add_lshl_u32 v41, v18, v0, 2
	v_and_b32_e32 v0, 1, v42
	v_lshl_add_u64 v[2:3], v[0:1], 0, -1
	v_cmp_ne_u32_e32 vcc, 0, v0
	; wave barrier
	s_nop 1
	v_xor_b32_e32 v2, vcc_lo, v2
	v_xor_b32_e32 v0, vcc_hi, v3
	v_and_b32_e32 v43, exec_lo, v2
	v_lshlrev_b32_e32 v3, 30, v42
	v_mov_b32_e32 v2, v1
	v_cmp_gt_i64_e32 vcc, 0, v[2:3]
	v_not_b32_e32 v2, v3
	v_ashrrev_i32_e32 v2, 31, v2
	v_and_b32_e32 v0, exec_hi, v0
	v_xor_b32_e32 v3, vcc_hi, v2
	v_xor_b32_e32 v2, vcc_lo, v2
	v_and_b32_e32 v0, v0, v3
	v_and_b32_e32 v43, v43, v2
	v_lshlrev_b32_e32 v3, 29, v42
	v_mov_b32_e32 v2, v1
	v_cmp_gt_i64_e32 vcc, 0, v[2:3]
	v_not_b32_e32 v2, v3
	v_ashrrev_i32_e32 v2, 31, v2
	v_xor_b32_e32 v3, vcc_hi, v2
	v_xor_b32_e32 v2, vcc_lo, v2
	v_and_b32_e32 v0, v0, v3
	v_and_b32_e32 v43, v43, v2
	v_lshlrev_b32_e32 v3, 28, v42
	v_mov_b32_e32 v2, v1
	v_cmp_gt_i64_e32 vcc, 0, v[2:3]
	v_not_b32_e32 v2, v3
	v_ashrrev_i32_e32 v2, 31, v2
	;; [unrolled: 9-line block ×5, first 2 shown]
	v_xor_b32_e32 v3, vcc_hi, v2
	v_xor_b32_e32 v2, vcc_lo, v2
	v_and_b32_e32 v0, v0, v3
	v_lshlrev_b32_e32 v3, 24, v42
	v_and_b32_e32 v43, v43, v2
	v_mov_b32_e32 v2, v1
	v_not_b32_e32 v1, v3
	v_cmp_gt_i64_e32 vcc, 0, v[2:3]
	v_ashrrev_i32_e32 v1, 31, v1
	ds_read_b32 v40, v41 offset:64
	v_xor_b32_e32 v2, vcc_hi, v1
	v_xor_b32_e32 v3, vcc_lo, v1
	v_and_b32_e32 v1, v0, v2
	v_and_b32_e32 v0, v43, v3
	v_mbcnt_lo_u32_b32 v2, v0, 0
	v_mbcnt_hi_u32_b32 v42, v1, v2
	v_cmp_eq_u32_e32 vcc, 0, v42
	v_cmp_ne_u64_e64 s[0:1], 0, v[0:1]
	s_and_b64 s[4:5], s[0:1], vcc
	; wave barrier
	s_and_saveexec_b64 s[0:1], s[4:5]
	s_cbranch_execz .LBB1979_113
; %bb.112:
	v_bcnt_u32_b32 v0, v0, 0
	v_bcnt_u32_b32 v0, v1, v0
	s_waitcnt lgkmcnt(0)
	v_add_u32_e32 v0, v40, v0
	ds_write_b32 v41, v0 offset:64
.LBB1979_113:
	s_or_b64 exec, exec, s[0:1]
	s_waitcnt vmcnt(3)
	v_xor_b32_e32 v33, 0xffff8000, v33
	v_lshrrev_b32_sdwa v0, s24, v33 dst_sel:DWORD dst_unused:UNUSED_PAD src0_sel:DWORD src1_sel:WORD_0
	v_and_b32_e32 v45, s14, v0
	v_mul_u32_u24_e32 v0, 17, v45
	v_add_lshl_u32 v44, v18, v0, 2
	v_and_b32_e32 v0, 1, v45
	v_mov_b32_e32 v1, 0
	v_lshl_add_u64 v[2:3], v[0:1], 0, -1
	v_cmp_ne_u32_e32 vcc, 0, v0
	; wave barrier
	s_nop 1
	v_xor_b32_e32 v2, vcc_lo, v2
	v_xor_b32_e32 v0, vcc_hi, v3
	v_and_b32_e32 v46, exec_lo, v2
	v_lshlrev_b32_e32 v3, 30, v45
	v_mov_b32_e32 v2, v1
	v_cmp_gt_i64_e32 vcc, 0, v[2:3]
	v_not_b32_e32 v2, v3
	v_ashrrev_i32_e32 v2, 31, v2
	v_and_b32_e32 v0, exec_hi, v0
	v_xor_b32_e32 v3, vcc_hi, v2
	v_xor_b32_e32 v2, vcc_lo, v2
	v_and_b32_e32 v0, v0, v3
	v_and_b32_e32 v46, v46, v2
	v_lshlrev_b32_e32 v3, 29, v45
	v_mov_b32_e32 v2, v1
	v_cmp_gt_i64_e32 vcc, 0, v[2:3]
	v_not_b32_e32 v2, v3
	v_ashrrev_i32_e32 v2, 31, v2
	v_xor_b32_e32 v3, vcc_hi, v2
	v_xor_b32_e32 v2, vcc_lo, v2
	v_and_b32_e32 v0, v0, v3
	v_and_b32_e32 v46, v46, v2
	v_lshlrev_b32_e32 v3, 28, v45
	v_mov_b32_e32 v2, v1
	v_cmp_gt_i64_e32 vcc, 0, v[2:3]
	v_not_b32_e32 v2, v3
	v_ashrrev_i32_e32 v2, 31, v2
	;; [unrolled: 9-line block ×6, first 2 shown]
	v_xor_b32_e32 v3, vcc_hi, v2
	v_xor_b32_e32 v2, vcc_lo, v2
	ds_read_b32 v43, v44 offset:64
	v_and_b32_e32 v2, v46, v2
	v_and_b32_e32 v3, v0, v3
	v_mbcnt_lo_u32_b32 v0, v2, 0
	v_mbcnt_hi_u32_b32 v45, v3, v0
	v_cmp_eq_u32_e32 vcc, 0, v45
	v_cmp_ne_u64_e64 s[0:1], 0, v[2:3]
	s_and_b64 s[4:5], s[0:1], vcc
	; wave barrier
	s_and_saveexec_b64 s[0:1], s[4:5]
	s_cbranch_execz .LBB1979_115
; %bb.114:
	v_bcnt_u32_b32 v0, v2, 0
	v_bcnt_u32_b32 v0, v3, v0
	s_waitcnt lgkmcnt(0)
	v_add_u32_e32 v0, v43, v0
	ds_write_b32 v44, v0 offset:64
.LBB1979_115:
	s_or_b64 exec, exec, s[0:1]
	s_waitcnt vmcnt(2)
	v_xor_b32_e32 v28, 0xffff8000, v28
	v_lshrrev_b32_sdwa v0, s24, v28 dst_sel:DWORD dst_unused:UNUSED_PAD src0_sel:DWORD src1_sel:WORD_0
	v_and_b32_e32 v48, s14, v0
	v_mul_u32_u24_e32 v0, 17, v48
	v_add_lshl_u32 v47, v18, v0, 2
	v_and_b32_e32 v0, 1, v48
	v_lshl_add_u64 v[2:3], v[0:1], 0, -1
	v_cmp_ne_u32_e32 vcc, 0, v0
	; wave barrier
	s_nop 1
	v_xor_b32_e32 v2, vcc_lo, v2
	v_xor_b32_e32 v0, vcc_hi, v3
	v_and_b32_e32 v49, exec_lo, v2
	v_lshlrev_b32_e32 v3, 30, v48
	v_mov_b32_e32 v2, v1
	v_cmp_gt_i64_e32 vcc, 0, v[2:3]
	v_not_b32_e32 v2, v3
	v_ashrrev_i32_e32 v2, 31, v2
	v_and_b32_e32 v0, exec_hi, v0
	v_xor_b32_e32 v3, vcc_hi, v2
	v_xor_b32_e32 v2, vcc_lo, v2
	v_and_b32_e32 v0, v0, v3
	v_and_b32_e32 v49, v49, v2
	v_lshlrev_b32_e32 v3, 29, v48
	v_mov_b32_e32 v2, v1
	v_cmp_gt_i64_e32 vcc, 0, v[2:3]
	v_not_b32_e32 v2, v3
	v_ashrrev_i32_e32 v2, 31, v2
	v_xor_b32_e32 v3, vcc_hi, v2
	v_xor_b32_e32 v2, vcc_lo, v2
	v_and_b32_e32 v0, v0, v3
	v_and_b32_e32 v49, v49, v2
	v_lshlrev_b32_e32 v3, 28, v48
	v_mov_b32_e32 v2, v1
	v_cmp_gt_i64_e32 vcc, 0, v[2:3]
	v_not_b32_e32 v2, v3
	v_ashrrev_i32_e32 v2, 31, v2
	;; [unrolled: 9-line block ×5, first 2 shown]
	v_xor_b32_e32 v3, vcc_hi, v2
	v_xor_b32_e32 v2, vcc_lo, v2
	v_and_b32_e32 v0, v0, v3
	v_lshlrev_b32_e32 v3, 24, v48
	v_and_b32_e32 v49, v49, v2
	v_mov_b32_e32 v2, v1
	v_not_b32_e32 v1, v3
	v_cmp_gt_i64_e32 vcc, 0, v[2:3]
	v_ashrrev_i32_e32 v1, 31, v1
	ds_read_b32 v46, v47 offset:64
	v_xor_b32_e32 v2, vcc_hi, v1
	v_xor_b32_e32 v3, vcc_lo, v1
	v_and_b32_e32 v1, v0, v2
	v_and_b32_e32 v0, v49, v3
	v_mbcnt_lo_u32_b32 v2, v0, 0
	v_mbcnt_hi_u32_b32 v48, v1, v2
	v_cmp_eq_u32_e32 vcc, 0, v48
	v_cmp_ne_u64_e64 s[0:1], 0, v[0:1]
	s_and_b64 s[4:5], s[0:1], vcc
	; wave barrier
	s_and_saveexec_b64 s[0:1], s[4:5]
	s_cbranch_execz .LBB1979_117
; %bb.116:
	v_bcnt_u32_b32 v0, v0, 0
	v_bcnt_u32_b32 v0, v1, v0
	s_waitcnt lgkmcnt(0)
	v_add_u32_e32 v0, v46, v0
	ds_write_b32 v47, v0 offset:64
.LBB1979_117:
	s_or_b64 exec, exec, s[0:1]
	s_waitcnt vmcnt(1)
	v_xor_b32_e32 v23, 0xffff8000, v23
	v_lshrrev_b32_sdwa v0, s24, v23 dst_sel:DWORD dst_unused:UNUSED_PAD src0_sel:DWORD src1_sel:WORD_0
	v_and_b32_e32 v51, s14, v0
	v_mul_u32_u24_e32 v0, 17, v51
	v_add_lshl_u32 v50, v18, v0, 2
	v_and_b32_e32 v0, 1, v51
	v_mov_b32_e32 v1, 0
	v_lshl_add_u64 v[2:3], v[0:1], 0, -1
	v_cmp_ne_u32_e32 vcc, 0, v0
	; wave barrier
	s_nop 1
	v_xor_b32_e32 v2, vcc_lo, v2
	v_xor_b32_e32 v0, vcc_hi, v3
	v_and_b32_e32 v52, exec_lo, v2
	v_lshlrev_b32_e32 v3, 30, v51
	v_mov_b32_e32 v2, v1
	v_cmp_gt_i64_e32 vcc, 0, v[2:3]
	v_not_b32_e32 v2, v3
	v_ashrrev_i32_e32 v2, 31, v2
	v_and_b32_e32 v0, exec_hi, v0
	v_xor_b32_e32 v3, vcc_hi, v2
	v_xor_b32_e32 v2, vcc_lo, v2
	v_and_b32_e32 v0, v0, v3
	v_and_b32_e32 v52, v52, v2
	v_lshlrev_b32_e32 v3, 29, v51
	v_mov_b32_e32 v2, v1
	v_cmp_gt_i64_e32 vcc, 0, v[2:3]
	v_not_b32_e32 v2, v3
	v_ashrrev_i32_e32 v2, 31, v2
	v_xor_b32_e32 v3, vcc_hi, v2
	v_xor_b32_e32 v2, vcc_lo, v2
	v_and_b32_e32 v0, v0, v3
	v_and_b32_e32 v52, v52, v2
	v_lshlrev_b32_e32 v3, 28, v51
	v_mov_b32_e32 v2, v1
	v_cmp_gt_i64_e32 vcc, 0, v[2:3]
	v_not_b32_e32 v2, v3
	v_ashrrev_i32_e32 v2, 31, v2
	;; [unrolled: 9-line block ×6, first 2 shown]
	v_xor_b32_e32 v3, vcc_hi, v2
	v_xor_b32_e32 v2, vcc_lo, v2
	ds_read_b32 v49, v50 offset:64
	v_and_b32_e32 v2, v52, v2
	v_and_b32_e32 v3, v0, v3
	v_mbcnt_lo_u32_b32 v0, v2, 0
	v_mbcnt_hi_u32_b32 v51, v3, v0
	v_cmp_eq_u32_e32 vcc, 0, v51
	v_cmp_ne_u64_e64 s[0:1], 0, v[2:3]
	s_and_b64 s[4:5], s[0:1], vcc
	; wave barrier
	s_and_saveexec_b64 s[0:1], s[4:5]
	s_cbranch_execz .LBB1979_119
; %bb.118:
	v_bcnt_u32_b32 v0, v2, 0
	v_bcnt_u32_b32 v0, v3, v0
	s_waitcnt lgkmcnt(0)
	v_add_u32_e32 v0, v49, v0
	ds_write_b32 v50, v0 offset:64
.LBB1979_119:
	s_or_b64 exec, exec, s[0:1]
	s_waitcnt vmcnt(0)
	v_xor_b32_e32 v17, 0xffff8000, v17
	v_lshrrev_b32_sdwa v0, s24, v17 dst_sel:DWORD dst_unused:UNUSED_PAD src0_sel:DWORD src1_sel:WORD_0
	v_and_b32_e32 v55, s14, v0
	v_mul_u32_u24_e32 v0, 17, v55
	v_add_lshl_u32 v53, v18, v0, 2
	v_and_b32_e32 v0, 1, v55
	v_lshl_add_u64 v[2:3], v[0:1], 0, -1
	v_cmp_ne_u32_e32 vcc, 0, v0
	; wave barrier
	s_nop 1
	v_xor_b32_e32 v2, vcc_lo, v2
	v_xor_b32_e32 v0, vcc_hi, v3
	v_and_b32_e32 v18, exec_lo, v2
	v_lshlrev_b32_e32 v3, 30, v55
	v_mov_b32_e32 v2, v1
	v_cmp_gt_i64_e32 vcc, 0, v[2:3]
	v_not_b32_e32 v2, v3
	v_ashrrev_i32_e32 v2, 31, v2
	v_and_b32_e32 v0, exec_hi, v0
	v_xor_b32_e32 v3, vcc_hi, v2
	v_xor_b32_e32 v2, vcc_lo, v2
	v_and_b32_e32 v0, v0, v3
	v_and_b32_e32 v18, v18, v2
	v_lshlrev_b32_e32 v3, 29, v55
	v_mov_b32_e32 v2, v1
	v_cmp_gt_i64_e32 vcc, 0, v[2:3]
	v_not_b32_e32 v2, v3
	v_ashrrev_i32_e32 v2, 31, v2
	v_xor_b32_e32 v3, vcc_hi, v2
	v_xor_b32_e32 v2, vcc_lo, v2
	v_and_b32_e32 v0, v0, v3
	v_and_b32_e32 v18, v18, v2
	v_lshlrev_b32_e32 v3, 28, v55
	v_mov_b32_e32 v2, v1
	v_cmp_gt_i64_e32 vcc, 0, v[2:3]
	v_not_b32_e32 v2, v3
	v_ashrrev_i32_e32 v2, 31, v2
	;; [unrolled: 9-line block ×5, first 2 shown]
	v_xor_b32_e32 v3, vcc_hi, v2
	v_xor_b32_e32 v2, vcc_lo, v2
	v_and_b32_e32 v0, v0, v3
	v_lshlrev_b32_e32 v3, 24, v55
	v_and_b32_e32 v18, v18, v2
	v_mov_b32_e32 v2, v1
	v_not_b32_e32 v1, v3
	v_cmp_gt_i64_e32 vcc, 0, v[2:3]
	v_ashrrev_i32_e32 v1, 31, v1
	ds_read_b32 v52, v53 offset:64
	v_xor_b32_e32 v2, vcc_hi, v1
	v_xor_b32_e32 v3, vcc_lo, v1
	v_and_b32_e32 v1, v0, v2
	v_and_b32_e32 v0, v18, v3
	v_mbcnt_lo_u32_b32 v2, v0, 0
	v_mbcnt_hi_u32_b32 v55, v1, v2
	v_cmp_eq_u32_e32 vcc, 0, v55
	v_cmp_ne_u64_e64 s[0:1], 0, v[0:1]
	v_add_u32_e32 v54, 64, v6
	s_and_b64 s[4:5], s[0:1], vcc
	; wave barrier
	s_and_saveexec_b64 s[0:1], s[4:5]
	s_cbranch_execz .LBB1979_121
; %bb.120:
	v_bcnt_u32_b32 v0, v0, 0
	v_bcnt_u32_b32 v0, v1, v0
	s_waitcnt lgkmcnt(0)
	v_add_u32_e32 v0, v52, v0
	ds_write_b32 v53, v0 offset:64
.LBB1979_121:
	s_or_b64 exec, exec, s[0:1]
	; wave barrier
	s_waitcnt lgkmcnt(0)
	s_barrier
	ds_read2_b32 v[2:3], v6 offset0:16 offset1:17
	ds_read2_b32 v[0:1], v54 offset0:2 offset1:3
	ds_read_b32 v18, v54 offset:16
	v_cmp_lt_u32_e64 s[8:9], 31, v4
	s_waitcnt lgkmcnt(1)
	v_add3_u32 v56, v3, v2, v0
	s_waitcnt lgkmcnt(0)
	v_add3_u32 v18, v56, v1, v18
	v_and_b32_e32 v56, 15, v4
	v_cmp_eq_u32_e32 vcc, 0, v56
	v_mov_b32_dpp v57, v18 row_shr:1 row_mask:0xf bank_mask:0xf
	v_cmp_lt_u32_e64 s[0:1], 1, v56
	v_cndmask_b32_e64 v57, v57, 0, vcc
	v_add_u32_e32 v18, v57, v18
	v_cmp_lt_u32_e64 s[6:7], 3, v56
	v_cmp_lt_u32_e64 s[4:5], 7, v56
	v_mov_b32_dpp v57, v18 row_shr:2 row_mask:0xf bank_mask:0xf
	v_cndmask_b32_e64 v57, 0, v57, s[0:1]
	v_add_u32_e32 v18, v18, v57
	s_nop 1
	v_mov_b32_dpp v57, v18 row_shr:4 row_mask:0xf bank_mask:0xf
	v_cndmask_b32_e64 v57, 0, v57, s[6:7]
	v_add_u32_e32 v18, v18, v57
	s_nop 1
	v_mov_b32_dpp v57, v18 row_shr:8 row_mask:0xf bank_mask:0xf
	v_cndmask_b32_e64 v56, 0, v57, s[4:5]
	v_add_u32_e32 v18, v18, v56
	v_bfe_i32 v57, v4, 4, 1
	s_nop 0
	v_mov_b32_dpp v56, v18 row_bcast:15 row_mask:0xf bank_mask:0xf
	v_and_b32_e32 v56, v57, v56
	v_add_u32_e32 v18, v18, v56
	v_lshrrev_b32_e32 v57, 6, v10
	s_nop 0
	v_mov_b32_dpp v56, v18 row_bcast:31 row_mask:0xf bank_mask:0xf
	v_cndmask_b32_e64 v56, 0, v56, s[8:9]
	v_add_u32_e32 v56, v18, v56
	v_and_b32_e32 v18, 63, v10
	v_cmp_eq_u32_e64 s[8:9], 63, v18
	s_and_saveexec_b64 s[12:13], s[8:9]
	s_cbranch_execz .LBB1979_123
; %bb.122:
	v_lshlrev_b32_e32 v18, 2, v57
	ds_write_b32 v18, v56
.LBB1979_123:
	s_or_b64 exec, exec, s[12:13]
	v_cmp_gt_u32_e64 s[8:9], 16, v10
	v_lshlrev_b32_e32 v18, 2, v10
	s_waitcnt lgkmcnt(0)
	s_barrier
	s_and_saveexec_b64 s[12:13], s[8:9]
	s_cbranch_execz .LBB1979_125
; %bb.124:
	ds_read_b32 v58, v18
	s_waitcnt lgkmcnt(0)
	s_nop 0
	v_mov_b32_dpp v59, v58 row_shr:1 row_mask:0xf bank_mask:0xf
	v_cndmask_b32_e64 v59, v59, 0, vcc
	v_add_u32_e32 v58, v59, v58
	s_nop 1
	v_mov_b32_dpp v59, v58 row_shr:2 row_mask:0xf bank_mask:0xf
	v_cndmask_b32_e64 v59, 0, v59, s[0:1]
	v_add_u32_e32 v58, v58, v59
	s_nop 1
	v_mov_b32_dpp v59, v58 row_shr:4 row_mask:0xf bank_mask:0xf
	v_cndmask_b32_e64 v59, 0, v59, s[6:7]
	;; [unrolled: 4-line block ×3, first 2 shown]
	v_add_u32_e32 v58, v58, v59
	ds_write_b32 v18, v58
.LBB1979_125:
	s_or_b64 exec, exec, s[12:13]
	v_cmp_lt_u32_e32 vcc, 63, v10
	v_mov_b32_e32 v58, 0
	s_waitcnt lgkmcnt(0)
	s_barrier
	s_and_saveexec_b64 s[0:1], vcc
	s_cbranch_execz .LBB1979_127
; %bb.126:
	v_lshl_add_u32 v57, v57, 2, -4
	ds_read_b32 v58, v57
.LBB1979_127:
	s_or_b64 exec, exec, s[0:1]
	v_add_u32_e32 v57, -1, v4
	v_and_b32_e32 v59, 64, v4
	v_cmp_lt_i32_e32 vcc, v57, v59
	s_waitcnt lgkmcnt(0)
	v_add_u32_e32 v56, v58, v56
	s_movk_i32 s4, 0xff
	v_cndmask_b32_e32 v57, v57, v4, vcc
	v_lshlrev_b32_e32 v57, 2, v57
	ds_bpermute_b32 v56, v57, v56
	v_cmp_eq_u32_e32 vcc, 0, v4
	s_movk_i32 s5, 0x100
	v_cmp_lt_u32_e64 s[0:1], s4, v10
	s_waitcnt lgkmcnt(0)
	v_cndmask_b32_e32 v4, v56, v58, vcc
	v_cmp_ne_u32_e32 vcc, 0, v10
	s_nop 1
	v_cndmask_b32_e32 v4, 0, v4, vcc
	v_add_u32_e32 v2, v4, v2
	v_add_u32_e32 v3, v2, v3
	;; [unrolled: 1-line block ×4, first 2 shown]
	ds_write2_b32 v6, v4, v2 offset0:16 offset1:17
	ds_write2_b32 v54, v3, v0 offset0:2 offset1:3
	ds_write_b32 v54, v1 offset:16
	s_waitcnt lgkmcnt(0)
	s_barrier
	ds_read_b32 v58, v8 offset:64
	ds_read_b32 v57, v12 offset:64
	;; [unrolled: 1-line block ×12, first 2 shown]
	v_cmp_gt_u32_e32 vcc, s5, v10
                                        ; implicit-def: $vgpr6
                                        ; implicit-def: $vgpr8
	s_and_saveexec_b64 s[6:7], vcc
	s_cbranch_execz .LBB1979_131
; %bb.128:
	v_mul_u32_u24_e32 v6, 17, v10
	v_lshlrev_b32_e32 v27, 2, v6
	ds_read_b32 v6, v27 offset:64
	v_cmp_ne_u32_e64 s[4:5], s4, v10
	v_mov_b32_e32 v8, 0x3000
	s_and_saveexec_b64 s[8:9], s[4:5]
	s_cbranch_execz .LBB1979_130
; %bb.129:
	ds_read_b32 v8, v27 offset:132
.LBB1979_130:
	s_or_b64 exec, exec, s[8:9]
	s_waitcnt lgkmcnt(0)
	v_sub_u32_e32 v8, v8, v6
.LBB1979_131:
	s_or_b64 exec, exec, s[6:7]
	v_add_u32_e32 v11, v13, v11
	s_waitcnt lgkmcnt(11)
	v_add_lshl_u32 v7, v58, v7, 1
	v_add_u32_e32 v15, v19, v15
	s_waitcnt lgkmcnt(0)
	s_barrier
	ds_write_b16 v7, v5 offset:1024
	v_add_lshl_u32 v5, v11, v57, 1
	v_add_u32_e32 v21, v24, v21
	ds_write_b16 v5, v9 offset:1024
	v_add_lshl_u32 v5, v15, v56, 1
	v_add_u32_e32 v26, v30, v26
	;; [unrolled: 3-line block ×4, first 2 shown]
	v_add_u32_e32 v32, v51, v49
	v_add_u32_e32 v37, v48, v46
	;; [unrolled: 1-line block ×5, first 2 shown]
	ds_write_b16 v5, v25 offset:1024
	v_add_lshl_u32 v5, v31, v16, 1
	ds_write_b16 v5, v29 offset:1024
	v_add_lshl_u32 v5, v36, v12, 1
	v_add_lshl_u32 v4, v40, v4, 1
	v_add_lshl_u32 v3, v41, v3, 1
	v_add_lshl_u32 v2, v37, v2, 1
	v_add_lshl_u32 v1, v32, v1, 1
	v_add_lshl_u32 v0, v27, v0, 1
	ds_write_b16 v5, v34 offset:1024
	ds_write_b16 v4, v38 offset:1024
	;; [unrolled: 1-line block ×6, first 2 shown]
	s_and_saveexec_b64 s[4:5], s[0:1]
	s_xor_b64 s[0:1], exec, s[4:5]
; %bb.132:
	v_mov_b32_e32 v11, 0
                                        ; implicit-def: $vgpr18
; %bb.133:
	s_andn2_saveexec_b64 s[4:5], s[0:1]
	s_cbranch_execz .LBB1979_143
; %bb.134:
	v_lshl_or_b32 v2, s2, 8, v10
	v_mov_b32_e32 v3, 0
	v_lshl_add_u64 v[0:1], v[2:3], 2, s[28:29]
	v_or_b32_e32 v2, 2.0, v8
	s_mov_b64 s[6:7], 0
	s_brev_b32 s15, 1
	s_mov_b32 s20, s2
	v_mov_b32_e32 v7, 0
	global_store_dword v[0:1], v2, off sc1
                                        ; implicit-def: $sgpr0_sgpr1
	s_branch .LBB1979_137
.LBB1979_135:                           ;   in Loop: Header=BB1979_137 Depth=1
	s_or_b64 exec, exec, s[12:13]
.LBB1979_136:                           ;   in Loop: Header=BB1979_137 Depth=1
	s_or_b64 exec, exec, s[8:9]
	v_and_b32_e32 v4, 0x3fffffff, v9
	v_add_u32_e32 v7, v4, v7
	v_cmp_eq_u32_e64 s[0:1], s15, v2
	s_and_b64 s[8:9], exec, s[0:1]
	s_or_b64 s[6:7], s[8:9], s[6:7]
	s_andn2_b64 exec, exec, s[6:7]
	s_cbranch_execz .LBB1979_142
.LBB1979_137:                           ; =>This Loop Header: Depth=1
                                        ;     Child Loop BB1979_140 Depth 2
	s_or_b64 s[0:1], s[0:1], exec
	s_cmp_eq_u32 s20, 0
	s_cbranch_scc1 .LBB1979_141
; %bb.138:                              ;   in Loop: Header=BB1979_137 Depth=1
	s_add_i32 s20, s20, -1
	v_lshl_or_b32 v2, s20, 8, v10
	v_lshl_add_u64 v[4:5], v[2:3], 2, s[28:29]
	global_load_dword v9, v[4:5], off sc1
	s_waitcnt vmcnt(0)
	v_and_b32_e32 v2, -2.0, v9
	v_cmp_eq_u32_e64 s[0:1], 0, v2
	s_and_saveexec_b64 s[8:9], s[0:1]
	s_cbranch_execz .LBB1979_136
; %bb.139:                              ;   in Loop: Header=BB1979_137 Depth=1
	s_mov_b64 s[12:13], 0
.LBB1979_140:                           ;   Parent Loop BB1979_137 Depth=1
                                        ; =>  This Inner Loop Header: Depth=2
	global_load_dword v9, v[4:5], off sc1
	s_waitcnt vmcnt(0)
	v_and_b32_e32 v2, -2.0, v9
	v_cmp_ne_u32_e64 s[0:1], 0, v2
	s_or_b64 s[12:13], s[0:1], s[12:13]
	s_andn2_b64 exec, exec, s[12:13]
	s_cbranch_execnz .LBB1979_140
	s_branch .LBB1979_135
.LBB1979_141:                           ;   in Loop: Header=BB1979_137 Depth=1
                                        ; implicit-def: $sgpr20
	s_and_b64 s[8:9], exec, s[0:1]
	s_or_b64 s[6:7], s[8:9], s[6:7]
	s_andn2_b64 exec, exec, s[6:7]
	s_cbranch_execnz .LBB1979_137
.LBB1979_142:
	s_or_b64 exec, exec, s[6:7]
	v_add_u32_e32 v2, v7, v8
	v_or_b32_e32 v2, 0x80000000, v2
	global_store_dword v[0:1], v2, off sc1
	global_load_dword v0, v18, s[16:17]
	v_sub_u32_e32 v1, v7, v6
	v_mov_b32_e32 v11, 0
	s_waitcnt vmcnt(0)
	v_add_u32_e32 v0, v1, v0
	ds_write_b32 v18, v0
.LBB1979_143:
	s_or_b64 exec, exec, s[4:5]
	v_lshlrev_b32_e32 v0, 1, v10
	s_waitcnt lgkmcnt(0)
	s_barrier
	v_lshlrev_b32_e32 v1, 1, v10
	ds_read_u16 v0, v0 offset:1024
	ds_read_u16 v4, v1 offset:3072
	;; [unrolled: 1-line block ×7, first 2 shown]
	s_waitcnt lgkmcnt(6)
	v_lshrrev_b32_sdwa v2, s24, v0 dst_sel:DWORD dst_unused:UNUSED_PAD src0_sel:DWORD src1_sel:WORD_0
	v_and_b32_e32 v2, s14, v2
	s_waitcnt lgkmcnt(4)
	v_lshrrev_b32_sdwa v3, s24, v5 dst_sel:DWORD dst_unused:UNUSED_PAD src0_sel:DWORD src1_sel:WORD_0
	v_xor_b32_e32 v14, 0xffff8000, v0
	v_lshlrev_b32_e32 v0, 2, v2
	v_lshrrev_b32_sdwa v2, s24, v4 dst_sel:DWORD dst_unused:UNUSED_PAD src0_sel:DWORD src1_sel:WORD_0
	v_and_b32_e32 v3, s14, v3
	v_and_b32_e32 v2, s14, v2
	v_lshlrev_b32_e32 v3, 2, v3
	v_lshlrev_b32_e32 v2, 2, v2
	ds_read_b32 v15, v3
	ds_read_b32 v0, v0
	ds_read_u16 v16, v1 offset:5120
	ds_read_u16 v17, v1 offset:9216
	;; [unrolled: 1-line block ×4, first 2 shown]
	ds_read_b32 v20, v2
	ds_read_u16 v21, v1 offset:21504
	s_waitcnt lgkmcnt(6)
	v_add_u32_e32 v0, v0, v10
	v_mov_b32_e32 v1, 0
	s_movk_i32 s0, 0x400
	v_lshl_add_u64 v[2:3], v[0:1], 1, s[22:23]
	s_waitcnt lgkmcnt(1)
	v_add3_u32 v0, v20, v10, s0
	global_store_short v[2:3], v14, off
	v_xor_b32_e32 v4, 0xffff8000, v4
	v_lshl_add_u64 v[2:3], v[0:1], 1, s[22:23]
	global_store_short v[2:3], v4, off
	v_lshrrev_b32_sdwa v0, s24, v16 dst_sel:DWORD dst_unused:UNUSED_PAD src0_sel:DWORD src1_sel:WORD_0
	v_xor_b32_e32 v4, 0xffff8000, v16
	v_lshrrev_b32_sdwa v14, s24, v18 dst_sel:DWORD dst_unused:UNUSED_PAD src0_sel:DWORD src1_sel:WORD_0
	v_lshrrev_b32_sdwa v16, s24, v9 dst_sel:DWORD dst_unused:UNUSED_PAD src0_sel:DWORD src1_sel:WORD_0
	;; [unrolled: 1-line block ×4, first 2 shown]
	s_waitcnt lgkmcnt(0)
	v_lshrrev_b32_sdwa v23, s24, v21 dst_sel:DWORD dst_unused:UNUSED_PAD src0_sel:DWORD src1_sel:WORD_0
	v_and_b32_e32 v0, s14, v0
	v_lshrrev_b32_sdwa v2, s24, v17 dst_sel:DWORD dst_unused:UNUSED_PAD src0_sel:DWORD src1_sel:WORD_0
	v_lshrrev_b32_sdwa v3, s24, v7 dst_sel:DWORD dst_unused:UNUSED_PAD src0_sel:DWORD src1_sel:WORD_0
	v_and_b32_e32 v14, s14, v14
	v_and_b32_e32 v16, s14, v16
	v_and_b32_e32 v20, s14, v20
	v_and_b32_e32 v22, s14, v22
	v_and_b32_e32 v23, s14, v23
	v_lshlrev_b32_e32 v0, 2, v0
	v_and_b32_e32 v2, s14, v2
	v_and_b32_e32 v3, s14, v3
	v_lshlrev_b32_e32 v14, 2, v14
	v_lshlrev_b32_e32 v16, 2, v16
	;; [unrolled: 1-line block ×5, first 2 shown]
	s_movk_i32 s0, 0x800
	v_lshlrev_b32_e32 v2, 2, v2
	v_lshlrev_b32_e32 v3, 2, v3
	ds_read_b32 v0, v0
	ds_read_b32 v24, v2
	;; [unrolled: 1-line block ×8, first 2 shown]
	s_waitcnt lgkmcnt(7)
	v_add3_u32 v0, v0, v10, s0
	s_movk_i32 s0, 0xc00
	v_lshl_add_u64 v[2:3], v[0:1], 1, s[22:23]
	v_add3_u32 v0, v15, v10, s0
	s_movk_i32 s0, 0x1000
	global_store_short v[2:3], v4, off
	v_xor_b32_e32 v4, 0xffff8000, v5
	v_lshl_add_u64 v[2:3], v[0:1], 1, s[22:23]
	s_waitcnt lgkmcnt(6)
	v_add3_u32 v0, v24, v10, s0
	s_movk_i32 s0, 0x1400
	global_store_short v[2:3], v4, off
	v_xor_b32_e32 v4, 0xffff8000, v17
	v_lshl_add_u64 v[2:3], v[0:1], 1, s[22:23]
	s_waitcnt lgkmcnt(5)
	;; [unrolled: 6-line block ×6, first 2 shown]
	v_add3_u32 v0, v22, v10, s0
	global_store_short v[2:3], v4, off
	v_xor_b32_e32 v4, 0xffff8000, v12
	v_lshl_add_u64 v[2:3], v[0:1], 1, s[22:23]
	global_store_short v[2:3], v4, off
	v_lshrrev_b32_sdwa v2, s24, v13 dst_sel:DWORD dst_unused:UNUSED_PAD src0_sel:DWORD src1_sel:WORD_0
	v_and_b32_e32 v2, s14, v2
	v_lshlrev_b32_e32 v2, 2, v2
	ds_read_b32 v5, v2
	s_movk_i32 s0, 0x2800
	s_add_i32 s3, s3, -1
	s_waitcnt lgkmcnt(1)
	v_add3_u32 v0, v23, v10, s0
	s_movk_i32 s0, 0x2c00
	s_cmp_eq_u32 s3, s2
	v_xor_b32_e32 v4, 0xffff8000, v21
	v_lshl_add_u64 v[2:3], v[0:1], 1, s[22:23]
	s_waitcnt lgkmcnt(0)
	v_add3_u32 v0, v5, v10, s0
	s_cselect_b64 s[0:1], -1, 0
	global_store_short v[2:3], v4, off
	v_xor_b32_e32 v2, 0xffff8000, v13
	v_lshl_add_u64 v[0:1], v[0:1], 1, s[22:23]
	s_and_b64 s[2:3], vcc, s[0:1]
	global_store_short v[0:1], v2, off
                                        ; implicit-def: $vgpr2
	s_and_saveexec_b64 s[0:1], s[2:3]
; %bb.144:
	v_add_u32_e32 v2, v6, v8
	s_or_b64 s[10:11], s[10:11], exec
; %bb.145:
	s_or_b64 exec, exec, s[0:1]
.LBB1979_146:
	s_and_saveexec_b64 s[0:1], s[10:11]
	s_cbranch_execnz .LBB1979_148
; %bb.147:
	s_endpgm
.LBB1979_148:
	v_lshlrev_b32_e32 v0, 2, v10
	ds_read_b32 v3, v0
	v_mov_b32_e32 v0, s18
	v_mov_b32_e32 v1, s19
	v_lshl_add_u64 v[0:1], v[10:11], 2, v[0:1]
	s_waitcnt lgkmcnt(0)
	v_add_u32_e32 v2, v3, v2
	global_store_dword v[0:1], v2, off
	s_endpgm
	.section	.rodata,"a",@progbits
	.p2align	6, 0x0
	.amdhsa_kernel _ZN7rocprim17ROCPRIM_400000_NS6detail17trampoline_kernelINS0_14default_configENS1_35radix_sort_onesweep_config_selectorIsNS0_10empty_typeEEEZZNS1_29radix_sort_onesweep_iterationIS3_Lb0EN6thrust23THRUST_200600_302600_NS6detail15normal_iteratorINS9_10device_ptrIsEEEESE_PS5_SF_jNS0_19identity_decomposerENS1_16block_id_wrapperIjLb0EEEEE10hipError_tT1_PNSt15iterator_traitsISK_E10value_typeET2_T3_PNSL_ISQ_E10value_typeET4_T5_PSV_SW_PNS1_23onesweep_lookback_stateEbbT6_jjT7_P12ihipStream_tbENKUlT_T0_SK_SP_E_clISE_SE_SF_SF_EEDaS13_S14_SK_SP_EUlS13_E_NS1_11comp_targetILNS1_3genE5ELNS1_11target_archE942ELNS1_3gpuE9ELNS1_3repE0EEENS1_47radix_sort_onesweep_sort_config_static_selectorELNS0_4arch9wavefront6targetE1EEEvSK_
		.amdhsa_group_segment_fixed_size 25608
		.amdhsa_private_segment_fixed_size 0
		.amdhsa_kernarg_size 344
		.amdhsa_user_sgpr_count 2
		.amdhsa_user_sgpr_dispatch_ptr 0
		.amdhsa_user_sgpr_queue_ptr 0
		.amdhsa_user_sgpr_kernarg_segment_ptr 1
		.amdhsa_user_sgpr_dispatch_id 0
		.amdhsa_user_sgpr_kernarg_preload_length 0
		.amdhsa_user_sgpr_kernarg_preload_offset 0
		.amdhsa_user_sgpr_private_segment_size 0
		.amdhsa_uses_dynamic_stack 0
		.amdhsa_enable_private_segment 0
		.amdhsa_system_sgpr_workgroup_id_x 1
		.amdhsa_system_sgpr_workgroup_id_y 0
		.amdhsa_system_sgpr_workgroup_id_z 0
		.amdhsa_system_sgpr_workgroup_info 0
		.amdhsa_system_vgpr_workitem_id 2
		.amdhsa_next_free_vgpr 62
		.amdhsa_next_free_sgpr 32
		.amdhsa_accum_offset 64
		.amdhsa_reserve_vcc 1
		.amdhsa_float_round_mode_32 0
		.amdhsa_float_round_mode_16_64 0
		.amdhsa_float_denorm_mode_32 3
		.amdhsa_float_denorm_mode_16_64 3
		.amdhsa_dx10_clamp 1
		.amdhsa_ieee_mode 1
		.amdhsa_fp16_overflow 0
		.amdhsa_tg_split 0
		.amdhsa_exception_fp_ieee_invalid_op 0
		.amdhsa_exception_fp_denorm_src 0
		.amdhsa_exception_fp_ieee_div_zero 0
		.amdhsa_exception_fp_ieee_overflow 0
		.amdhsa_exception_fp_ieee_underflow 0
		.amdhsa_exception_fp_ieee_inexact 0
		.amdhsa_exception_int_div_zero 0
	.end_amdhsa_kernel
	.section	.text._ZN7rocprim17ROCPRIM_400000_NS6detail17trampoline_kernelINS0_14default_configENS1_35radix_sort_onesweep_config_selectorIsNS0_10empty_typeEEEZZNS1_29radix_sort_onesweep_iterationIS3_Lb0EN6thrust23THRUST_200600_302600_NS6detail15normal_iteratorINS9_10device_ptrIsEEEESE_PS5_SF_jNS0_19identity_decomposerENS1_16block_id_wrapperIjLb0EEEEE10hipError_tT1_PNSt15iterator_traitsISK_E10value_typeET2_T3_PNSL_ISQ_E10value_typeET4_T5_PSV_SW_PNS1_23onesweep_lookback_stateEbbT6_jjT7_P12ihipStream_tbENKUlT_T0_SK_SP_E_clISE_SE_SF_SF_EEDaS13_S14_SK_SP_EUlS13_E_NS1_11comp_targetILNS1_3genE5ELNS1_11target_archE942ELNS1_3gpuE9ELNS1_3repE0EEENS1_47radix_sort_onesweep_sort_config_static_selectorELNS0_4arch9wavefront6targetE1EEEvSK_,"axG",@progbits,_ZN7rocprim17ROCPRIM_400000_NS6detail17trampoline_kernelINS0_14default_configENS1_35radix_sort_onesweep_config_selectorIsNS0_10empty_typeEEEZZNS1_29radix_sort_onesweep_iterationIS3_Lb0EN6thrust23THRUST_200600_302600_NS6detail15normal_iteratorINS9_10device_ptrIsEEEESE_PS5_SF_jNS0_19identity_decomposerENS1_16block_id_wrapperIjLb0EEEEE10hipError_tT1_PNSt15iterator_traitsISK_E10value_typeET2_T3_PNSL_ISQ_E10value_typeET4_T5_PSV_SW_PNS1_23onesweep_lookback_stateEbbT6_jjT7_P12ihipStream_tbENKUlT_T0_SK_SP_E_clISE_SE_SF_SF_EEDaS13_S14_SK_SP_EUlS13_E_NS1_11comp_targetILNS1_3genE5ELNS1_11target_archE942ELNS1_3gpuE9ELNS1_3repE0EEENS1_47radix_sort_onesweep_sort_config_static_selectorELNS0_4arch9wavefront6targetE1EEEvSK_,comdat
.Lfunc_end1979:
	.size	_ZN7rocprim17ROCPRIM_400000_NS6detail17trampoline_kernelINS0_14default_configENS1_35radix_sort_onesweep_config_selectorIsNS0_10empty_typeEEEZZNS1_29radix_sort_onesweep_iterationIS3_Lb0EN6thrust23THRUST_200600_302600_NS6detail15normal_iteratorINS9_10device_ptrIsEEEESE_PS5_SF_jNS0_19identity_decomposerENS1_16block_id_wrapperIjLb0EEEEE10hipError_tT1_PNSt15iterator_traitsISK_E10value_typeET2_T3_PNSL_ISQ_E10value_typeET4_T5_PSV_SW_PNS1_23onesweep_lookback_stateEbbT6_jjT7_P12ihipStream_tbENKUlT_T0_SK_SP_E_clISE_SE_SF_SF_EEDaS13_S14_SK_SP_EUlS13_E_NS1_11comp_targetILNS1_3genE5ELNS1_11target_archE942ELNS1_3gpuE9ELNS1_3repE0EEENS1_47radix_sort_onesweep_sort_config_static_selectorELNS0_4arch9wavefront6targetE1EEEvSK_, .Lfunc_end1979-_ZN7rocprim17ROCPRIM_400000_NS6detail17trampoline_kernelINS0_14default_configENS1_35radix_sort_onesweep_config_selectorIsNS0_10empty_typeEEEZZNS1_29radix_sort_onesweep_iterationIS3_Lb0EN6thrust23THRUST_200600_302600_NS6detail15normal_iteratorINS9_10device_ptrIsEEEESE_PS5_SF_jNS0_19identity_decomposerENS1_16block_id_wrapperIjLb0EEEEE10hipError_tT1_PNSt15iterator_traitsISK_E10value_typeET2_T3_PNSL_ISQ_E10value_typeET4_T5_PSV_SW_PNS1_23onesweep_lookback_stateEbbT6_jjT7_P12ihipStream_tbENKUlT_T0_SK_SP_E_clISE_SE_SF_SF_EEDaS13_S14_SK_SP_EUlS13_E_NS1_11comp_targetILNS1_3genE5ELNS1_11target_archE942ELNS1_3gpuE9ELNS1_3repE0EEENS1_47radix_sort_onesweep_sort_config_static_selectorELNS0_4arch9wavefront6targetE1EEEvSK_
                                        ; -- End function
	.section	.AMDGPU.csdata,"",@progbits
; Kernel info:
; codeLenInByte = 15996
; NumSgprs: 38
; NumVgprs: 62
; NumAgprs: 0
; TotalNumVgprs: 62
; ScratchSize: 0
; MemoryBound: 0
; FloatMode: 240
; IeeeMode: 1
; LDSByteSize: 25608 bytes/workgroup (compile time only)
; SGPRBlocks: 4
; VGPRBlocks: 7
; NumSGPRsForWavesPerEU: 38
; NumVGPRsForWavesPerEU: 62
; AccumOffset: 64
; Occupancy: 8
; WaveLimiterHint : 1
; COMPUTE_PGM_RSRC2:SCRATCH_EN: 0
; COMPUTE_PGM_RSRC2:USER_SGPR: 2
; COMPUTE_PGM_RSRC2:TRAP_HANDLER: 0
; COMPUTE_PGM_RSRC2:TGID_X_EN: 1
; COMPUTE_PGM_RSRC2:TGID_Y_EN: 0
; COMPUTE_PGM_RSRC2:TGID_Z_EN: 0
; COMPUTE_PGM_RSRC2:TIDIG_COMP_CNT: 2
; COMPUTE_PGM_RSRC3_GFX90A:ACCUM_OFFSET: 15
; COMPUTE_PGM_RSRC3_GFX90A:TG_SPLIT: 0
	.section	.text._ZN7rocprim17ROCPRIM_400000_NS6detail17trampoline_kernelINS0_14default_configENS1_35radix_sort_onesweep_config_selectorIsNS0_10empty_typeEEEZZNS1_29radix_sort_onesweep_iterationIS3_Lb0EN6thrust23THRUST_200600_302600_NS6detail15normal_iteratorINS9_10device_ptrIsEEEESE_PS5_SF_jNS0_19identity_decomposerENS1_16block_id_wrapperIjLb0EEEEE10hipError_tT1_PNSt15iterator_traitsISK_E10value_typeET2_T3_PNSL_ISQ_E10value_typeET4_T5_PSV_SW_PNS1_23onesweep_lookback_stateEbbT6_jjT7_P12ihipStream_tbENKUlT_T0_SK_SP_E_clISE_SE_SF_SF_EEDaS13_S14_SK_SP_EUlS13_E_NS1_11comp_targetILNS1_3genE2ELNS1_11target_archE906ELNS1_3gpuE6ELNS1_3repE0EEENS1_47radix_sort_onesweep_sort_config_static_selectorELNS0_4arch9wavefront6targetE1EEEvSK_,"axG",@progbits,_ZN7rocprim17ROCPRIM_400000_NS6detail17trampoline_kernelINS0_14default_configENS1_35radix_sort_onesweep_config_selectorIsNS0_10empty_typeEEEZZNS1_29radix_sort_onesweep_iterationIS3_Lb0EN6thrust23THRUST_200600_302600_NS6detail15normal_iteratorINS9_10device_ptrIsEEEESE_PS5_SF_jNS0_19identity_decomposerENS1_16block_id_wrapperIjLb0EEEEE10hipError_tT1_PNSt15iterator_traitsISK_E10value_typeET2_T3_PNSL_ISQ_E10value_typeET4_T5_PSV_SW_PNS1_23onesweep_lookback_stateEbbT6_jjT7_P12ihipStream_tbENKUlT_T0_SK_SP_E_clISE_SE_SF_SF_EEDaS13_S14_SK_SP_EUlS13_E_NS1_11comp_targetILNS1_3genE2ELNS1_11target_archE906ELNS1_3gpuE6ELNS1_3repE0EEENS1_47radix_sort_onesweep_sort_config_static_selectorELNS0_4arch9wavefront6targetE1EEEvSK_,comdat
	.protected	_ZN7rocprim17ROCPRIM_400000_NS6detail17trampoline_kernelINS0_14default_configENS1_35radix_sort_onesweep_config_selectorIsNS0_10empty_typeEEEZZNS1_29radix_sort_onesweep_iterationIS3_Lb0EN6thrust23THRUST_200600_302600_NS6detail15normal_iteratorINS9_10device_ptrIsEEEESE_PS5_SF_jNS0_19identity_decomposerENS1_16block_id_wrapperIjLb0EEEEE10hipError_tT1_PNSt15iterator_traitsISK_E10value_typeET2_T3_PNSL_ISQ_E10value_typeET4_T5_PSV_SW_PNS1_23onesweep_lookback_stateEbbT6_jjT7_P12ihipStream_tbENKUlT_T0_SK_SP_E_clISE_SE_SF_SF_EEDaS13_S14_SK_SP_EUlS13_E_NS1_11comp_targetILNS1_3genE2ELNS1_11target_archE906ELNS1_3gpuE6ELNS1_3repE0EEENS1_47radix_sort_onesweep_sort_config_static_selectorELNS0_4arch9wavefront6targetE1EEEvSK_ ; -- Begin function _ZN7rocprim17ROCPRIM_400000_NS6detail17trampoline_kernelINS0_14default_configENS1_35radix_sort_onesweep_config_selectorIsNS0_10empty_typeEEEZZNS1_29radix_sort_onesweep_iterationIS3_Lb0EN6thrust23THRUST_200600_302600_NS6detail15normal_iteratorINS9_10device_ptrIsEEEESE_PS5_SF_jNS0_19identity_decomposerENS1_16block_id_wrapperIjLb0EEEEE10hipError_tT1_PNSt15iterator_traitsISK_E10value_typeET2_T3_PNSL_ISQ_E10value_typeET4_T5_PSV_SW_PNS1_23onesweep_lookback_stateEbbT6_jjT7_P12ihipStream_tbENKUlT_T0_SK_SP_E_clISE_SE_SF_SF_EEDaS13_S14_SK_SP_EUlS13_E_NS1_11comp_targetILNS1_3genE2ELNS1_11target_archE906ELNS1_3gpuE6ELNS1_3repE0EEENS1_47radix_sort_onesweep_sort_config_static_selectorELNS0_4arch9wavefront6targetE1EEEvSK_
	.globl	_ZN7rocprim17ROCPRIM_400000_NS6detail17trampoline_kernelINS0_14default_configENS1_35radix_sort_onesweep_config_selectorIsNS0_10empty_typeEEEZZNS1_29radix_sort_onesweep_iterationIS3_Lb0EN6thrust23THRUST_200600_302600_NS6detail15normal_iteratorINS9_10device_ptrIsEEEESE_PS5_SF_jNS0_19identity_decomposerENS1_16block_id_wrapperIjLb0EEEEE10hipError_tT1_PNSt15iterator_traitsISK_E10value_typeET2_T3_PNSL_ISQ_E10value_typeET4_T5_PSV_SW_PNS1_23onesweep_lookback_stateEbbT6_jjT7_P12ihipStream_tbENKUlT_T0_SK_SP_E_clISE_SE_SF_SF_EEDaS13_S14_SK_SP_EUlS13_E_NS1_11comp_targetILNS1_3genE2ELNS1_11target_archE906ELNS1_3gpuE6ELNS1_3repE0EEENS1_47radix_sort_onesweep_sort_config_static_selectorELNS0_4arch9wavefront6targetE1EEEvSK_
	.p2align	8
	.type	_ZN7rocprim17ROCPRIM_400000_NS6detail17trampoline_kernelINS0_14default_configENS1_35radix_sort_onesweep_config_selectorIsNS0_10empty_typeEEEZZNS1_29radix_sort_onesweep_iterationIS3_Lb0EN6thrust23THRUST_200600_302600_NS6detail15normal_iteratorINS9_10device_ptrIsEEEESE_PS5_SF_jNS0_19identity_decomposerENS1_16block_id_wrapperIjLb0EEEEE10hipError_tT1_PNSt15iterator_traitsISK_E10value_typeET2_T3_PNSL_ISQ_E10value_typeET4_T5_PSV_SW_PNS1_23onesweep_lookback_stateEbbT6_jjT7_P12ihipStream_tbENKUlT_T0_SK_SP_E_clISE_SE_SF_SF_EEDaS13_S14_SK_SP_EUlS13_E_NS1_11comp_targetILNS1_3genE2ELNS1_11target_archE906ELNS1_3gpuE6ELNS1_3repE0EEENS1_47radix_sort_onesweep_sort_config_static_selectorELNS0_4arch9wavefront6targetE1EEEvSK_,@function
_ZN7rocprim17ROCPRIM_400000_NS6detail17trampoline_kernelINS0_14default_configENS1_35radix_sort_onesweep_config_selectorIsNS0_10empty_typeEEEZZNS1_29radix_sort_onesweep_iterationIS3_Lb0EN6thrust23THRUST_200600_302600_NS6detail15normal_iteratorINS9_10device_ptrIsEEEESE_PS5_SF_jNS0_19identity_decomposerENS1_16block_id_wrapperIjLb0EEEEE10hipError_tT1_PNSt15iterator_traitsISK_E10value_typeET2_T3_PNSL_ISQ_E10value_typeET4_T5_PSV_SW_PNS1_23onesweep_lookback_stateEbbT6_jjT7_P12ihipStream_tbENKUlT_T0_SK_SP_E_clISE_SE_SF_SF_EEDaS13_S14_SK_SP_EUlS13_E_NS1_11comp_targetILNS1_3genE2ELNS1_11target_archE906ELNS1_3gpuE6ELNS1_3repE0EEENS1_47radix_sort_onesweep_sort_config_static_selectorELNS0_4arch9wavefront6targetE1EEEvSK_: ; @_ZN7rocprim17ROCPRIM_400000_NS6detail17trampoline_kernelINS0_14default_configENS1_35radix_sort_onesweep_config_selectorIsNS0_10empty_typeEEEZZNS1_29radix_sort_onesweep_iterationIS3_Lb0EN6thrust23THRUST_200600_302600_NS6detail15normal_iteratorINS9_10device_ptrIsEEEESE_PS5_SF_jNS0_19identity_decomposerENS1_16block_id_wrapperIjLb0EEEEE10hipError_tT1_PNSt15iterator_traitsISK_E10value_typeET2_T3_PNSL_ISQ_E10value_typeET4_T5_PSV_SW_PNS1_23onesweep_lookback_stateEbbT6_jjT7_P12ihipStream_tbENKUlT_T0_SK_SP_E_clISE_SE_SF_SF_EEDaS13_S14_SK_SP_EUlS13_E_NS1_11comp_targetILNS1_3genE2ELNS1_11target_archE906ELNS1_3gpuE6ELNS1_3repE0EEENS1_47radix_sort_onesweep_sort_config_static_selectorELNS0_4arch9wavefront6targetE1EEEvSK_
; %bb.0:
	.section	.rodata,"a",@progbits
	.p2align	6, 0x0
	.amdhsa_kernel _ZN7rocprim17ROCPRIM_400000_NS6detail17trampoline_kernelINS0_14default_configENS1_35radix_sort_onesweep_config_selectorIsNS0_10empty_typeEEEZZNS1_29radix_sort_onesweep_iterationIS3_Lb0EN6thrust23THRUST_200600_302600_NS6detail15normal_iteratorINS9_10device_ptrIsEEEESE_PS5_SF_jNS0_19identity_decomposerENS1_16block_id_wrapperIjLb0EEEEE10hipError_tT1_PNSt15iterator_traitsISK_E10value_typeET2_T3_PNSL_ISQ_E10value_typeET4_T5_PSV_SW_PNS1_23onesweep_lookback_stateEbbT6_jjT7_P12ihipStream_tbENKUlT_T0_SK_SP_E_clISE_SE_SF_SF_EEDaS13_S14_SK_SP_EUlS13_E_NS1_11comp_targetILNS1_3genE2ELNS1_11target_archE906ELNS1_3gpuE6ELNS1_3repE0EEENS1_47radix_sort_onesweep_sort_config_static_selectorELNS0_4arch9wavefront6targetE1EEEvSK_
		.amdhsa_group_segment_fixed_size 0
		.amdhsa_private_segment_fixed_size 0
		.amdhsa_kernarg_size 88
		.amdhsa_user_sgpr_count 2
		.amdhsa_user_sgpr_dispatch_ptr 0
		.amdhsa_user_sgpr_queue_ptr 0
		.amdhsa_user_sgpr_kernarg_segment_ptr 1
		.amdhsa_user_sgpr_dispatch_id 0
		.amdhsa_user_sgpr_kernarg_preload_length 0
		.amdhsa_user_sgpr_kernarg_preload_offset 0
		.amdhsa_user_sgpr_private_segment_size 0
		.amdhsa_uses_dynamic_stack 0
		.amdhsa_enable_private_segment 0
		.amdhsa_system_sgpr_workgroup_id_x 1
		.amdhsa_system_sgpr_workgroup_id_y 0
		.amdhsa_system_sgpr_workgroup_id_z 0
		.amdhsa_system_sgpr_workgroup_info 0
		.amdhsa_system_vgpr_workitem_id 0
		.amdhsa_next_free_vgpr 1
		.amdhsa_next_free_sgpr 0
		.amdhsa_accum_offset 4
		.amdhsa_reserve_vcc 0
		.amdhsa_float_round_mode_32 0
		.amdhsa_float_round_mode_16_64 0
		.amdhsa_float_denorm_mode_32 3
		.amdhsa_float_denorm_mode_16_64 3
		.amdhsa_dx10_clamp 1
		.amdhsa_ieee_mode 1
		.amdhsa_fp16_overflow 0
		.amdhsa_tg_split 0
		.amdhsa_exception_fp_ieee_invalid_op 0
		.amdhsa_exception_fp_denorm_src 0
		.amdhsa_exception_fp_ieee_div_zero 0
		.amdhsa_exception_fp_ieee_overflow 0
		.amdhsa_exception_fp_ieee_underflow 0
		.amdhsa_exception_fp_ieee_inexact 0
		.amdhsa_exception_int_div_zero 0
	.end_amdhsa_kernel
	.section	.text._ZN7rocprim17ROCPRIM_400000_NS6detail17trampoline_kernelINS0_14default_configENS1_35radix_sort_onesweep_config_selectorIsNS0_10empty_typeEEEZZNS1_29radix_sort_onesweep_iterationIS3_Lb0EN6thrust23THRUST_200600_302600_NS6detail15normal_iteratorINS9_10device_ptrIsEEEESE_PS5_SF_jNS0_19identity_decomposerENS1_16block_id_wrapperIjLb0EEEEE10hipError_tT1_PNSt15iterator_traitsISK_E10value_typeET2_T3_PNSL_ISQ_E10value_typeET4_T5_PSV_SW_PNS1_23onesweep_lookback_stateEbbT6_jjT7_P12ihipStream_tbENKUlT_T0_SK_SP_E_clISE_SE_SF_SF_EEDaS13_S14_SK_SP_EUlS13_E_NS1_11comp_targetILNS1_3genE2ELNS1_11target_archE906ELNS1_3gpuE6ELNS1_3repE0EEENS1_47radix_sort_onesweep_sort_config_static_selectorELNS0_4arch9wavefront6targetE1EEEvSK_,"axG",@progbits,_ZN7rocprim17ROCPRIM_400000_NS6detail17trampoline_kernelINS0_14default_configENS1_35radix_sort_onesweep_config_selectorIsNS0_10empty_typeEEEZZNS1_29radix_sort_onesweep_iterationIS3_Lb0EN6thrust23THRUST_200600_302600_NS6detail15normal_iteratorINS9_10device_ptrIsEEEESE_PS5_SF_jNS0_19identity_decomposerENS1_16block_id_wrapperIjLb0EEEEE10hipError_tT1_PNSt15iterator_traitsISK_E10value_typeET2_T3_PNSL_ISQ_E10value_typeET4_T5_PSV_SW_PNS1_23onesweep_lookback_stateEbbT6_jjT7_P12ihipStream_tbENKUlT_T0_SK_SP_E_clISE_SE_SF_SF_EEDaS13_S14_SK_SP_EUlS13_E_NS1_11comp_targetILNS1_3genE2ELNS1_11target_archE906ELNS1_3gpuE6ELNS1_3repE0EEENS1_47radix_sort_onesweep_sort_config_static_selectorELNS0_4arch9wavefront6targetE1EEEvSK_,comdat
.Lfunc_end1980:
	.size	_ZN7rocprim17ROCPRIM_400000_NS6detail17trampoline_kernelINS0_14default_configENS1_35radix_sort_onesweep_config_selectorIsNS0_10empty_typeEEEZZNS1_29radix_sort_onesweep_iterationIS3_Lb0EN6thrust23THRUST_200600_302600_NS6detail15normal_iteratorINS9_10device_ptrIsEEEESE_PS5_SF_jNS0_19identity_decomposerENS1_16block_id_wrapperIjLb0EEEEE10hipError_tT1_PNSt15iterator_traitsISK_E10value_typeET2_T3_PNSL_ISQ_E10value_typeET4_T5_PSV_SW_PNS1_23onesweep_lookback_stateEbbT6_jjT7_P12ihipStream_tbENKUlT_T0_SK_SP_E_clISE_SE_SF_SF_EEDaS13_S14_SK_SP_EUlS13_E_NS1_11comp_targetILNS1_3genE2ELNS1_11target_archE906ELNS1_3gpuE6ELNS1_3repE0EEENS1_47radix_sort_onesweep_sort_config_static_selectorELNS0_4arch9wavefront6targetE1EEEvSK_, .Lfunc_end1980-_ZN7rocprim17ROCPRIM_400000_NS6detail17trampoline_kernelINS0_14default_configENS1_35radix_sort_onesweep_config_selectorIsNS0_10empty_typeEEEZZNS1_29radix_sort_onesweep_iterationIS3_Lb0EN6thrust23THRUST_200600_302600_NS6detail15normal_iteratorINS9_10device_ptrIsEEEESE_PS5_SF_jNS0_19identity_decomposerENS1_16block_id_wrapperIjLb0EEEEE10hipError_tT1_PNSt15iterator_traitsISK_E10value_typeET2_T3_PNSL_ISQ_E10value_typeET4_T5_PSV_SW_PNS1_23onesweep_lookback_stateEbbT6_jjT7_P12ihipStream_tbENKUlT_T0_SK_SP_E_clISE_SE_SF_SF_EEDaS13_S14_SK_SP_EUlS13_E_NS1_11comp_targetILNS1_3genE2ELNS1_11target_archE906ELNS1_3gpuE6ELNS1_3repE0EEENS1_47radix_sort_onesweep_sort_config_static_selectorELNS0_4arch9wavefront6targetE1EEEvSK_
                                        ; -- End function
	.section	.AMDGPU.csdata,"",@progbits
; Kernel info:
; codeLenInByte = 0
; NumSgprs: 6
; NumVgprs: 0
; NumAgprs: 0
; TotalNumVgprs: 0
; ScratchSize: 0
; MemoryBound: 0
; FloatMode: 240
; IeeeMode: 1
; LDSByteSize: 0 bytes/workgroup (compile time only)
; SGPRBlocks: 0
; VGPRBlocks: 0
; NumSGPRsForWavesPerEU: 6
; NumVGPRsForWavesPerEU: 1
; AccumOffset: 4
; Occupancy: 8
; WaveLimiterHint : 0
; COMPUTE_PGM_RSRC2:SCRATCH_EN: 0
; COMPUTE_PGM_RSRC2:USER_SGPR: 2
; COMPUTE_PGM_RSRC2:TRAP_HANDLER: 0
; COMPUTE_PGM_RSRC2:TGID_X_EN: 1
; COMPUTE_PGM_RSRC2:TGID_Y_EN: 0
; COMPUTE_PGM_RSRC2:TGID_Z_EN: 0
; COMPUTE_PGM_RSRC2:TIDIG_COMP_CNT: 0
; COMPUTE_PGM_RSRC3_GFX90A:ACCUM_OFFSET: 0
; COMPUTE_PGM_RSRC3_GFX90A:TG_SPLIT: 0
	.section	.text._ZN7rocprim17ROCPRIM_400000_NS6detail17trampoline_kernelINS0_14default_configENS1_35radix_sort_onesweep_config_selectorIsNS0_10empty_typeEEEZZNS1_29radix_sort_onesweep_iterationIS3_Lb0EN6thrust23THRUST_200600_302600_NS6detail15normal_iteratorINS9_10device_ptrIsEEEESE_PS5_SF_jNS0_19identity_decomposerENS1_16block_id_wrapperIjLb0EEEEE10hipError_tT1_PNSt15iterator_traitsISK_E10value_typeET2_T3_PNSL_ISQ_E10value_typeET4_T5_PSV_SW_PNS1_23onesweep_lookback_stateEbbT6_jjT7_P12ihipStream_tbENKUlT_T0_SK_SP_E_clISE_SE_SF_SF_EEDaS13_S14_SK_SP_EUlS13_E_NS1_11comp_targetILNS1_3genE4ELNS1_11target_archE910ELNS1_3gpuE8ELNS1_3repE0EEENS1_47radix_sort_onesweep_sort_config_static_selectorELNS0_4arch9wavefront6targetE1EEEvSK_,"axG",@progbits,_ZN7rocprim17ROCPRIM_400000_NS6detail17trampoline_kernelINS0_14default_configENS1_35radix_sort_onesweep_config_selectorIsNS0_10empty_typeEEEZZNS1_29radix_sort_onesweep_iterationIS3_Lb0EN6thrust23THRUST_200600_302600_NS6detail15normal_iteratorINS9_10device_ptrIsEEEESE_PS5_SF_jNS0_19identity_decomposerENS1_16block_id_wrapperIjLb0EEEEE10hipError_tT1_PNSt15iterator_traitsISK_E10value_typeET2_T3_PNSL_ISQ_E10value_typeET4_T5_PSV_SW_PNS1_23onesweep_lookback_stateEbbT6_jjT7_P12ihipStream_tbENKUlT_T0_SK_SP_E_clISE_SE_SF_SF_EEDaS13_S14_SK_SP_EUlS13_E_NS1_11comp_targetILNS1_3genE4ELNS1_11target_archE910ELNS1_3gpuE8ELNS1_3repE0EEENS1_47radix_sort_onesweep_sort_config_static_selectorELNS0_4arch9wavefront6targetE1EEEvSK_,comdat
	.protected	_ZN7rocprim17ROCPRIM_400000_NS6detail17trampoline_kernelINS0_14default_configENS1_35radix_sort_onesweep_config_selectorIsNS0_10empty_typeEEEZZNS1_29radix_sort_onesweep_iterationIS3_Lb0EN6thrust23THRUST_200600_302600_NS6detail15normal_iteratorINS9_10device_ptrIsEEEESE_PS5_SF_jNS0_19identity_decomposerENS1_16block_id_wrapperIjLb0EEEEE10hipError_tT1_PNSt15iterator_traitsISK_E10value_typeET2_T3_PNSL_ISQ_E10value_typeET4_T5_PSV_SW_PNS1_23onesweep_lookback_stateEbbT6_jjT7_P12ihipStream_tbENKUlT_T0_SK_SP_E_clISE_SE_SF_SF_EEDaS13_S14_SK_SP_EUlS13_E_NS1_11comp_targetILNS1_3genE4ELNS1_11target_archE910ELNS1_3gpuE8ELNS1_3repE0EEENS1_47radix_sort_onesweep_sort_config_static_selectorELNS0_4arch9wavefront6targetE1EEEvSK_ ; -- Begin function _ZN7rocprim17ROCPRIM_400000_NS6detail17trampoline_kernelINS0_14default_configENS1_35radix_sort_onesweep_config_selectorIsNS0_10empty_typeEEEZZNS1_29radix_sort_onesweep_iterationIS3_Lb0EN6thrust23THRUST_200600_302600_NS6detail15normal_iteratorINS9_10device_ptrIsEEEESE_PS5_SF_jNS0_19identity_decomposerENS1_16block_id_wrapperIjLb0EEEEE10hipError_tT1_PNSt15iterator_traitsISK_E10value_typeET2_T3_PNSL_ISQ_E10value_typeET4_T5_PSV_SW_PNS1_23onesweep_lookback_stateEbbT6_jjT7_P12ihipStream_tbENKUlT_T0_SK_SP_E_clISE_SE_SF_SF_EEDaS13_S14_SK_SP_EUlS13_E_NS1_11comp_targetILNS1_3genE4ELNS1_11target_archE910ELNS1_3gpuE8ELNS1_3repE0EEENS1_47radix_sort_onesweep_sort_config_static_selectorELNS0_4arch9wavefront6targetE1EEEvSK_
	.globl	_ZN7rocprim17ROCPRIM_400000_NS6detail17trampoline_kernelINS0_14default_configENS1_35radix_sort_onesweep_config_selectorIsNS0_10empty_typeEEEZZNS1_29radix_sort_onesweep_iterationIS3_Lb0EN6thrust23THRUST_200600_302600_NS6detail15normal_iteratorINS9_10device_ptrIsEEEESE_PS5_SF_jNS0_19identity_decomposerENS1_16block_id_wrapperIjLb0EEEEE10hipError_tT1_PNSt15iterator_traitsISK_E10value_typeET2_T3_PNSL_ISQ_E10value_typeET4_T5_PSV_SW_PNS1_23onesweep_lookback_stateEbbT6_jjT7_P12ihipStream_tbENKUlT_T0_SK_SP_E_clISE_SE_SF_SF_EEDaS13_S14_SK_SP_EUlS13_E_NS1_11comp_targetILNS1_3genE4ELNS1_11target_archE910ELNS1_3gpuE8ELNS1_3repE0EEENS1_47radix_sort_onesweep_sort_config_static_selectorELNS0_4arch9wavefront6targetE1EEEvSK_
	.p2align	8
	.type	_ZN7rocprim17ROCPRIM_400000_NS6detail17trampoline_kernelINS0_14default_configENS1_35radix_sort_onesweep_config_selectorIsNS0_10empty_typeEEEZZNS1_29radix_sort_onesweep_iterationIS3_Lb0EN6thrust23THRUST_200600_302600_NS6detail15normal_iteratorINS9_10device_ptrIsEEEESE_PS5_SF_jNS0_19identity_decomposerENS1_16block_id_wrapperIjLb0EEEEE10hipError_tT1_PNSt15iterator_traitsISK_E10value_typeET2_T3_PNSL_ISQ_E10value_typeET4_T5_PSV_SW_PNS1_23onesweep_lookback_stateEbbT6_jjT7_P12ihipStream_tbENKUlT_T0_SK_SP_E_clISE_SE_SF_SF_EEDaS13_S14_SK_SP_EUlS13_E_NS1_11comp_targetILNS1_3genE4ELNS1_11target_archE910ELNS1_3gpuE8ELNS1_3repE0EEENS1_47radix_sort_onesweep_sort_config_static_selectorELNS0_4arch9wavefront6targetE1EEEvSK_,@function
_ZN7rocprim17ROCPRIM_400000_NS6detail17trampoline_kernelINS0_14default_configENS1_35radix_sort_onesweep_config_selectorIsNS0_10empty_typeEEEZZNS1_29radix_sort_onesweep_iterationIS3_Lb0EN6thrust23THRUST_200600_302600_NS6detail15normal_iteratorINS9_10device_ptrIsEEEESE_PS5_SF_jNS0_19identity_decomposerENS1_16block_id_wrapperIjLb0EEEEE10hipError_tT1_PNSt15iterator_traitsISK_E10value_typeET2_T3_PNSL_ISQ_E10value_typeET4_T5_PSV_SW_PNS1_23onesweep_lookback_stateEbbT6_jjT7_P12ihipStream_tbENKUlT_T0_SK_SP_E_clISE_SE_SF_SF_EEDaS13_S14_SK_SP_EUlS13_E_NS1_11comp_targetILNS1_3genE4ELNS1_11target_archE910ELNS1_3gpuE8ELNS1_3repE0EEENS1_47radix_sort_onesweep_sort_config_static_selectorELNS0_4arch9wavefront6targetE1EEEvSK_: ; @_ZN7rocprim17ROCPRIM_400000_NS6detail17trampoline_kernelINS0_14default_configENS1_35radix_sort_onesweep_config_selectorIsNS0_10empty_typeEEEZZNS1_29radix_sort_onesweep_iterationIS3_Lb0EN6thrust23THRUST_200600_302600_NS6detail15normal_iteratorINS9_10device_ptrIsEEEESE_PS5_SF_jNS0_19identity_decomposerENS1_16block_id_wrapperIjLb0EEEEE10hipError_tT1_PNSt15iterator_traitsISK_E10value_typeET2_T3_PNSL_ISQ_E10value_typeET4_T5_PSV_SW_PNS1_23onesweep_lookback_stateEbbT6_jjT7_P12ihipStream_tbENKUlT_T0_SK_SP_E_clISE_SE_SF_SF_EEDaS13_S14_SK_SP_EUlS13_E_NS1_11comp_targetILNS1_3genE4ELNS1_11target_archE910ELNS1_3gpuE8ELNS1_3repE0EEENS1_47radix_sort_onesweep_sort_config_static_selectorELNS0_4arch9wavefront6targetE1EEEvSK_
; %bb.0:
	.section	.rodata,"a",@progbits
	.p2align	6, 0x0
	.amdhsa_kernel _ZN7rocprim17ROCPRIM_400000_NS6detail17trampoline_kernelINS0_14default_configENS1_35radix_sort_onesweep_config_selectorIsNS0_10empty_typeEEEZZNS1_29radix_sort_onesweep_iterationIS3_Lb0EN6thrust23THRUST_200600_302600_NS6detail15normal_iteratorINS9_10device_ptrIsEEEESE_PS5_SF_jNS0_19identity_decomposerENS1_16block_id_wrapperIjLb0EEEEE10hipError_tT1_PNSt15iterator_traitsISK_E10value_typeET2_T3_PNSL_ISQ_E10value_typeET4_T5_PSV_SW_PNS1_23onesweep_lookback_stateEbbT6_jjT7_P12ihipStream_tbENKUlT_T0_SK_SP_E_clISE_SE_SF_SF_EEDaS13_S14_SK_SP_EUlS13_E_NS1_11comp_targetILNS1_3genE4ELNS1_11target_archE910ELNS1_3gpuE8ELNS1_3repE0EEENS1_47radix_sort_onesweep_sort_config_static_selectorELNS0_4arch9wavefront6targetE1EEEvSK_
		.amdhsa_group_segment_fixed_size 0
		.amdhsa_private_segment_fixed_size 0
		.amdhsa_kernarg_size 88
		.amdhsa_user_sgpr_count 2
		.amdhsa_user_sgpr_dispatch_ptr 0
		.amdhsa_user_sgpr_queue_ptr 0
		.amdhsa_user_sgpr_kernarg_segment_ptr 1
		.amdhsa_user_sgpr_dispatch_id 0
		.amdhsa_user_sgpr_kernarg_preload_length 0
		.amdhsa_user_sgpr_kernarg_preload_offset 0
		.amdhsa_user_sgpr_private_segment_size 0
		.amdhsa_uses_dynamic_stack 0
		.amdhsa_enable_private_segment 0
		.amdhsa_system_sgpr_workgroup_id_x 1
		.amdhsa_system_sgpr_workgroup_id_y 0
		.amdhsa_system_sgpr_workgroup_id_z 0
		.amdhsa_system_sgpr_workgroup_info 0
		.amdhsa_system_vgpr_workitem_id 0
		.amdhsa_next_free_vgpr 1
		.amdhsa_next_free_sgpr 0
		.amdhsa_accum_offset 4
		.amdhsa_reserve_vcc 0
		.amdhsa_float_round_mode_32 0
		.amdhsa_float_round_mode_16_64 0
		.amdhsa_float_denorm_mode_32 3
		.amdhsa_float_denorm_mode_16_64 3
		.amdhsa_dx10_clamp 1
		.amdhsa_ieee_mode 1
		.amdhsa_fp16_overflow 0
		.amdhsa_tg_split 0
		.amdhsa_exception_fp_ieee_invalid_op 0
		.amdhsa_exception_fp_denorm_src 0
		.amdhsa_exception_fp_ieee_div_zero 0
		.amdhsa_exception_fp_ieee_overflow 0
		.amdhsa_exception_fp_ieee_underflow 0
		.amdhsa_exception_fp_ieee_inexact 0
		.amdhsa_exception_int_div_zero 0
	.end_amdhsa_kernel
	.section	.text._ZN7rocprim17ROCPRIM_400000_NS6detail17trampoline_kernelINS0_14default_configENS1_35radix_sort_onesweep_config_selectorIsNS0_10empty_typeEEEZZNS1_29radix_sort_onesweep_iterationIS3_Lb0EN6thrust23THRUST_200600_302600_NS6detail15normal_iteratorINS9_10device_ptrIsEEEESE_PS5_SF_jNS0_19identity_decomposerENS1_16block_id_wrapperIjLb0EEEEE10hipError_tT1_PNSt15iterator_traitsISK_E10value_typeET2_T3_PNSL_ISQ_E10value_typeET4_T5_PSV_SW_PNS1_23onesweep_lookback_stateEbbT6_jjT7_P12ihipStream_tbENKUlT_T0_SK_SP_E_clISE_SE_SF_SF_EEDaS13_S14_SK_SP_EUlS13_E_NS1_11comp_targetILNS1_3genE4ELNS1_11target_archE910ELNS1_3gpuE8ELNS1_3repE0EEENS1_47radix_sort_onesweep_sort_config_static_selectorELNS0_4arch9wavefront6targetE1EEEvSK_,"axG",@progbits,_ZN7rocprim17ROCPRIM_400000_NS6detail17trampoline_kernelINS0_14default_configENS1_35radix_sort_onesweep_config_selectorIsNS0_10empty_typeEEEZZNS1_29radix_sort_onesweep_iterationIS3_Lb0EN6thrust23THRUST_200600_302600_NS6detail15normal_iteratorINS9_10device_ptrIsEEEESE_PS5_SF_jNS0_19identity_decomposerENS1_16block_id_wrapperIjLb0EEEEE10hipError_tT1_PNSt15iterator_traitsISK_E10value_typeET2_T3_PNSL_ISQ_E10value_typeET4_T5_PSV_SW_PNS1_23onesweep_lookback_stateEbbT6_jjT7_P12ihipStream_tbENKUlT_T0_SK_SP_E_clISE_SE_SF_SF_EEDaS13_S14_SK_SP_EUlS13_E_NS1_11comp_targetILNS1_3genE4ELNS1_11target_archE910ELNS1_3gpuE8ELNS1_3repE0EEENS1_47radix_sort_onesweep_sort_config_static_selectorELNS0_4arch9wavefront6targetE1EEEvSK_,comdat
.Lfunc_end1981:
	.size	_ZN7rocprim17ROCPRIM_400000_NS6detail17trampoline_kernelINS0_14default_configENS1_35radix_sort_onesweep_config_selectorIsNS0_10empty_typeEEEZZNS1_29radix_sort_onesweep_iterationIS3_Lb0EN6thrust23THRUST_200600_302600_NS6detail15normal_iteratorINS9_10device_ptrIsEEEESE_PS5_SF_jNS0_19identity_decomposerENS1_16block_id_wrapperIjLb0EEEEE10hipError_tT1_PNSt15iterator_traitsISK_E10value_typeET2_T3_PNSL_ISQ_E10value_typeET4_T5_PSV_SW_PNS1_23onesweep_lookback_stateEbbT6_jjT7_P12ihipStream_tbENKUlT_T0_SK_SP_E_clISE_SE_SF_SF_EEDaS13_S14_SK_SP_EUlS13_E_NS1_11comp_targetILNS1_3genE4ELNS1_11target_archE910ELNS1_3gpuE8ELNS1_3repE0EEENS1_47radix_sort_onesweep_sort_config_static_selectorELNS0_4arch9wavefront6targetE1EEEvSK_, .Lfunc_end1981-_ZN7rocprim17ROCPRIM_400000_NS6detail17trampoline_kernelINS0_14default_configENS1_35radix_sort_onesweep_config_selectorIsNS0_10empty_typeEEEZZNS1_29radix_sort_onesweep_iterationIS3_Lb0EN6thrust23THRUST_200600_302600_NS6detail15normal_iteratorINS9_10device_ptrIsEEEESE_PS5_SF_jNS0_19identity_decomposerENS1_16block_id_wrapperIjLb0EEEEE10hipError_tT1_PNSt15iterator_traitsISK_E10value_typeET2_T3_PNSL_ISQ_E10value_typeET4_T5_PSV_SW_PNS1_23onesweep_lookback_stateEbbT6_jjT7_P12ihipStream_tbENKUlT_T0_SK_SP_E_clISE_SE_SF_SF_EEDaS13_S14_SK_SP_EUlS13_E_NS1_11comp_targetILNS1_3genE4ELNS1_11target_archE910ELNS1_3gpuE8ELNS1_3repE0EEENS1_47radix_sort_onesweep_sort_config_static_selectorELNS0_4arch9wavefront6targetE1EEEvSK_
                                        ; -- End function
	.section	.AMDGPU.csdata,"",@progbits
; Kernel info:
; codeLenInByte = 0
; NumSgprs: 6
; NumVgprs: 0
; NumAgprs: 0
; TotalNumVgprs: 0
; ScratchSize: 0
; MemoryBound: 0
; FloatMode: 240
; IeeeMode: 1
; LDSByteSize: 0 bytes/workgroup (compile time only)
; SGPRBlocks: 0
; VGPRBlocks: 0
; NumSGPRsForWavesPerEU: 6
; NumVGPRsForWavesPerEU: 1
; AccumOffset: 4
; Occupancy: 8
; WaveLimiterHint : 0
; COMPUTE_PGM_RSRC2:SCRATCH_EN: 0
; COMPUTE_PGM_RSRC2:USER_SGPR: 2
; COMPUTE_PGM_RSRC2:TRAP_HANDLER: 0
; COMPUTE_PGM_RSRC2:TGID_X_EN: 1
; COMPUTE_PGM_RSRC2:TGID_Y_EN: 0
; COMPUTE_PGM_RSRC2:TGID_Z_EN: 0
; COMPUTE_PGM_RSRC2:TIDIG_COMP_CNT: 0
; COMPUTE_PGM_RSRC3_GFX90A:ACCUM_OFFSET: 0
; COMPUTE_PGM_RSRC3_GFX90A:TG_SPLIT: 0
	.section	.text._ZN7rocprim17ROCPRIM_400000_NS6detail17trampoline_kernelINS0_14default_configENS1_35radix_sort_onesweep_config_selectorIsNS0_10empty_typeEEEZZNS1_29radix_sort_onesweep_iterationIS3_Lb0EN6thrust23THRUST_200600_302600_NS6detail15normal_iteratorINS9_10device_ptrIsEEEESE_PS5_SF_jNS0_19identity_decomposerENS1_16block_id_wrapperIjLb0EEEEE10hipError_tT1_PNSt15iterator_traitsISK_E10value_typeET2_T3_PNSL_ISQ_E10value_typeET4_T5_PSV_SW_PNS1_23onesweep_lookback_stateEbbT6_jjT7_P12ihipStream_tbENKUlT_T0_SK_SP_E_clISE_SE_SF_SF_EEDaS13_S14_SK_SP_EUlS13_E_NS1_11comp_targetILNS1_3genE3ELNS1_11target_archE908ELNS1_3gpuE7ELNS1_3repE0EEENS1_47radix_sort_onesweep_sort_config_static_selectorELNS0_4arch9wavefront6targetE1EEEvSK_,"axG",@progbits,_ZN7rocprim17ROCPRIM_400000_NS6detail17trampoline_kernelINS0_14default_configENS1_35radix_sort_onesweep_config_selectorIsNS0_10empty_typeEEEZZNS1_29radix_sort_onesweep_iterationIS3_Lb0EN6thrust23THRUST_200600_302600_NS6detail15normal_iteratorINS9_10device_ptrIsEEEESE_PS5_SF_jNS0_19identity_decomposerENS1_16block_id_wrapperIjLb0EEEEE10hipError_tT1_PNSt15iterator_traitsISK_E10value_typeET2_T3_PNSL_ISQ_E10value_typeET4_T5_PSV_SW_PNS1_23onesweep_lookback_stateEbbT6_jjT7_P12ihipStream_tbENKUlT_T0_SK_SP_E_clISE_SE_SF_SF_EEDaS13_S14_SK_SP_EUlS13_E_NS1_11comp_targetILNS1_3genE3ELNS1_11target_archE908ELNS1_3gpuE7ELNS1_3repE0EEENS1_47radix_sort_onesweep_sort_config_static_selectorELNS0_4arch9wavefront6targetE1EEEvSK_,comdat
	.protected	_ZN7rocprim17ROCPRIM_400000_NS6detail17trampoline_kernelINS0_14default_configENS1_35radix_sort_onesweep_config_selectorIsNS0_10empty_typeEEEZZNS1_29radix_sort_onesweep_iterationIS3_Lb0EN6thrust23THRUST_200600_302600_NS6detail15normal_iteratorINS9_10device_ptrIsEEEESE_PS5_SF_jNS0_19identity_decomposerENS1_16block_id_wrapperIjLb0EEEEE10hipError_tT1_PNSt15iterator_traitsISK_E10value_typeET2_T3_PNSL_ISQ_E10value_typeET4_T5_PSV_SW_PNS1_23onesweep_lookback_stateEbbT6_jjT7_P12ihipStream_tbENKUlT_T0_SK_SP_E_clISE_SE_SF_SF_EEDaS13_S14_SK_SP_EUlS13_E_NS1_11comp_targetILNS1_3genE3ELNS1_11target_archE908ELNS1_3gpuE7ELNS1_3repE0EEENS1_47radix_sort_onesweep_sort_config_static_selectorELNS0_4arch9wavefront6targetE1EEEvSK_ ; -- Begin function _ZN7rocprim17ROCPRIM_400000_NS6detail17trampoline_kernelINS0_14default_configENS1_35radix_sort_onesweep_config_selectorIsNS0_10empty_typeEEEZZNS1_29radix_sort_onesweep_iterationIS3_Lb0EN6thrust23THRUST_200600_302600_NS6detail15normal_iteratorINS9_10device_ptrIsEEEESE_PS5_SF_jNS0_19identity_decomposerENS1_16block_id_wrapperIjLb0EEEEE10hipError_tT1_PNSt15iterator_traitsISK_E10value_typeET2_T3_PNSL_ISQ_E10value_typeET4_T5_PSV_SW_PNS1_23onesweep_lookback_stateEbbT6_jjT7_P12ihipStream_tbENKUlT_T0_SK_SP_E_clISE_SE_SF_SF_EEDaS13_S14_SK_SP_EUlS13_E_NS1_11comp_targetILNS1_3genE3ELNS1_11target_archE908ELNS1_3gpuE7ELNS1_3repE0EEENS1_47radix_sort_onesweep_sort_config_static_selectorELNS0_4arch9wavefront6targetE1EEEvSK_
	.globl	_ZN7rocprim17ROCPRIM_400000_NS6detail17trampoline_kernelINS0_14default_configENS1_35radix_sort_onesweep_config_selectorIsNS0_10empty_typeEEEZZNS1_29radix_sort_onesweep_iterationIS3_Lb0EN6thrust23THRUST_200600_302600_NS6detail15normal_iteratorINS9_10device_ptrIsEEEESE_PS5_SF_jNS0_19identity_decomposerENS1_16block_id_wrapperIjLb0EEEEE10hipError_tT1_PNSt15iterator_traitsISK_E10value_typeET2_T3_PNSL_ISQ_E10value_typeET4_T5_PSV_SW_PNS1_23onesweep_lookback_stateEbbT6_jjT7_P12ihipStream_tbENKUlT_T0_SK_SP_E_clISE_SE_SF_SF_EEDaS13_S14_SK_SP_EUlS13_E_NS1_11comp_targetILNS1_3genE3ELNS1_11target_archE908ELNS1_3gpuE7ELNS1_3repE0EEENS1_47radix_sort_onesweep_sort_config_static_selectorELNS0_4arch9wavefront6targetE1EEEvSK_
	.p2align	8
	.type	_ZN7rocprim17ROCPRIM_400000_NS6detail17trampoline_kernelINS0_14default_configENS1_35radix_sort_onesweep_config_selectorIsNS0_10empty_typeEEEZZNS1_29radix_sort_onesweep_iterationIS3_Lb0EN6thrust23THRUST_200600_302600_NS6detail15normal_iteratorINS9_10device_ptrIsEEEESE_PS5_SF_jNS0_19identity_decomposerENS1_16block_id_wrapperIjLb0EEEEE10hipError_tT1_PNSt15iterator_traitsISK_E10value_typeET2_T3_PNSL_ISQ_E10value_typeET4_T5_PSV_SW_PNS1_23onesweep_lookback_stateEbbT6_jjT7_P12ihipStream_tbENKUlT_T0_SK_SP_E_clISE_SE_SF_SF_EEDaS13_S14_SK_SP_EUlS13_E_NS1_11comp_targetILNS1_3genE3ELNS1_11target_archE908ELNS1_3gpuE7ELNS1_3repE0EEENS1_47radix_sort_onesweep_sort_config_static_selectorELNS0_4arch9wavefront6targetE1EEEvSK_,@function
_ZN7rocprim17ROCPRIM_400000_NS6detail17trampoline_kernelINS0_14default_configENS1_35radix_sort_onesweep_config_selectorIsNS0_10empty_typeEEEZZNS1_29radix_sort_onesweep_iterationIS3_Lb0EN6thrust23THRUST_200600_302600_NS6detail15normal_iteratorINS9_10device_ptrIsEEEESE_PS5_SF_jNS0_19identity_decomposerENS1_16block_id_wrapperIjLb0EEEEE10hipError_tT1_PNSt15iterator_traitsISK_E10value_typeET2_T3_PNSL_ISQ_E10value_typeET4_T5_PSV_SW_PNS1_23onesweep_lookback_stateEbbT6_jjT7_P12ihipStream_tbENKUlT_T0_SK_SP_E_clISE_SE_SF_SF_EEDaS13_S14_SK_SP_EUlS13_E_NS1_11comp_targetILNS1_3genE3ELNS1_11target_archE908ELNS1_3gpuE7ELNS1_3repE0EEENS1_47radix_sort_onesweep_sort_config_static_selectorELNS0_4arch9wavefront6targetE1EEEvSK_: ; @_ZN7rocprim17ROCPRIM_400000_NS6detail17trampoline_kernelINS0_14default_configENS1_35radix_sort_onesweep_config_selectorIsNS0_10empty_typeEEEZZNS1_29radix_sort_onesweep_iterationIS3_Lb0EN6thrust23THRUST_200600_302600_NS6detail15normal_iteratorINS9_10device_ptrIsEEEESE_PS5_SF_jNS0_19identity_decomposerENS1_16block_id_wrapperIjLb0EEEEE10hipError_tT1_PNSt15iterator_traitsISK_E10value_typeET2_T3_PNSL_ISQ_E10value_typeET4_T5_PSV_SW_PNS1_23onesweep_lookback_stateEbbT6_jjT7_P12ihipStream_tbENKUlT_T0_SK_SP_E_clISE_SE_SF_SF_EEDaS13_S14_SK_SP_EUlS13_E_NS1_11comp_targetILNS1_3genE3ELNS1_11target_archE908ELNS1_3gpuE7ELNS1_3repE0EEENS1_47radix_sort_onesweep_sort_config_static_selectorELNS0_4arch9wavefront6targetE1EEEvSK_
; %bb.0:
	.section	.rodata,"a",@progbits
	.p2align	6, 0x0
	.amdhsa_kernel _ZN7rocprim17ROCPRIM_400000_NS6detail17trampoline_kernelINS0_14default_configENS1_35radix_sort_onesweep_config_selectorIsNS0_10empty_typeEEEZZNS1_29radix_sort_onesweep_iterationIS3_Lb0EN6thrust23THRUST_200600_302600_NS6detail15normal_iteratorINS9_10device_ptrIsEEEESE_PS5_SF_jNS0_19identity_decomposerENS1_16block_id_wrapperIjLb0EEEEE10hipError_tT1_PNSt15iterator_traitsISK_E10value_typeET2_T3_PNSL_ISQ_E10value_typeET4_T5_PSV_SW_PNS1_23onesweep_lookback_stateEbbT6_jjT7_P12ihipStream_tbENKUlT_T0_SK_SP_E_clISE_SE_SF_SF_EEDaS13_S14_SK_SP_EUlS13_E_NS1_11comp_targetILNS1_3genE3ELNS1_11target_archE908ELNS1_3gpuE7ELNS1_3repE0EEENS1_47radix_sort_onesweep_sort_config_static_selectorELNS0_4arch9wavefront6targetE1EEEvSK_
		.amdhsa_group_segment_fixed_size 0
		.amdhsa_private_segment_fixed_size 0
		.amdhsa_kernarg_size 88
		.amdhsa_user_sgpr_count 2
		.amdhsa_user_sgpr_dispatch_ptr 0
		.amdhsa_user_sgpr_queue_ptr 0
		.amdhsa_user_sgpr_kernarg_segment_ptr 1
		.amdhsa_user_sgpr_dispatch_id 0
		.amdhsa_user_sgpr_kernarg_preload_length 0
		.amdhsa_user_sgpr_kernarg_preload_offset 0
		.amdhsa_user_sgpr_private_segment_size 0
		.amdhsa_uses_dynamic_stack 0
		.amdhsa_enable_private_segment 0
		.amdhsa_system_sgpr_workgroup_id_x 1
		.amdhsa_system_sgpr_workgroup_id_y 0
		.amdhsa_system_sgpr_workgroup_id_z 0
		.amdhsa_system_sgpr_workgroup_info 0
		.amdhsa_system_vgpr_workitem_id 0
		.amdhsa_next_free_vgpr 1
		.amdhsa_next_free_sgpr 0
		.amdhsa_accum_offset 4
		.amdhsa_reserve_vcc 0
		.amdhsa_float_round_mode_32 0
		.amdhsa_float_round_mode_16_64 0
		.amdhsa_float_denorm_mode_32 3
		.amdhsa_float_denorm_mode_16_64 3
		.amdhsa_dx10_clamp 1
		.amdhsa_ieee_mode 1
		.amdhsa_fp16_overflow 0
		.amdhsa_tg_split 0
		.amdhsa_exception_fp_ieee_invalid_op 0
		.amdhsa_exception_fp_denorm_src 0
		.amdhsa_exception_fp_ieee_div_zero 0
		.amdhsa_exception_fp_ieee_overflow 0
		.amdhsa_exception_fp_ieee_underflow 0
		.amdhsa_exception_fp_ieee_inexact 0
		.amdhsa_exception_int_div_zero 0
	.end_amdhsa_kernel
	.section	.text._ZN7rocprim17ROCPRIM_400000_NS6detail17trampoline_kernelINS0_14default_configENS1_35radix_sort_onesweep_config_selectorIsNS0_10empty_typeEEEZZNS1_29radix_sort_onesweep_iterationIS3_Lb0EN6thrust23THRUST_200600_302600_NS6detail15normal_iteratorINS9_10device_ptrIsEEEESE_PS5_SF_jNS0_19identity_decomposerENS1_16block_id_wrapperIjLb0EEEEE10hipError_tT1_PNSt15iterator_traitsISK_E10value_typeET2_T3_PNSL_ISQ_E10value_typeET4_T5_PSV_SW_PNS1_23onesweep_lookback_stateEbbT6_jjT7_P12ihipStream_tbENKUlT_T0_SK_SP_E_clISE_SE_SF_SF_EEDaS13_S14_SK_SP_EUlS13_E_NS1_11comp_targetILNS1_3genE3ELNS1_11target_archE908ELNS1_3gpuE7ELNS1_3repE0EEENS1_47radix_sort_onesweep_sort_config_static_selectorELNS0_4arch9wavefront6targetE1EEEvSK_,"axG",@progbits,_ZN7rocprim17ROCPRIM_400000_NS6detail17trampoline_kernelINS0_14default_configENS1_35radix_sort_onesweep_config_selectorIsNS0_10empty_typeEEEZZNS1_29radix_sort_onesweep_iterationIS3_Lb0EN6thrust23THRUST_200600_302600_NS6detail15normal_iteratorINS9_10device_ptrIsEEEESE_PS5_SF_jNS0_19identity_decomposerENS1_16block_id_wrapperIjLb0EEEEE10hipError_tT1_PNSt15iterator_traitsISK_E10value_typeET2_T3_PNSL_ISQ_E10value_typeET4_T5_PSV_SW_PNS1_23onesweep_lookback_stateEbbT6_jjT7_P12ihipStream_tbENKUlT_T0_SK_SP_E_clISE_SE_SF_SF_EEDaS13_S14_SK_SP_EUlS13_E_NS1_11comp_targetILNS1_3genE3ELNS1_11target_archE908ELNS1_3gpuE7ELNS1_3repE0EEENS1_47radix_sort_onesweep_sort_config_static_selectorELNS0_4arch9wavefront6targetE1EEEvSK_,comdat
.Lfunc_end1982:
	.size	_ZN7rocprim17ROCPRIM_400000_NS6detail17trampoline_kernelINS0_14default_configENS1_35radix_sort_onesweep_config_selectorIsNS0_10empty_typeEEEZZNS1_29radix_sort_onesweep_iterationIS3_Lb0EN6thrust23THRUST_200600_302600_NS6detail15normal_iteratorINS9_10device_ptrIsEEEESE_PS5_SF_jNS0_19identity_decomposerENS1_16block_id_wrapperIjLb0EEEEE10hipError_tT1_PNSt15iterator_traitsISK_E10value_typeET2_T3_PNSL_ISQ_E10value_typeET4_T5_PSV_SW_PNS1_23onesweep_lookback_stateEbbT6_jjT7_P12ihipStream_tbENKUlT_T0_SK_SP_E_clISE_SE_SF_SF_EEDaS13_S14_SK_SP_EUlS13_E_NS1_11comp_targetILNS1_3genE3ELNS1_11target_archE908ELNS1_3gpuE7ELNS1_3repE0EEENS1_47radix_sort_onesweep_sort_config_static_selectorELNS0_4arch9wavefront6targetE1EEEvSK_, .Lfunc_end1982-_ZN7rocprim17ROCPRIM_400000_NS6detail17trampoline_kernelINS0_14default_configENS1_35radix_sort_onesweep_config_selectorIsNS0_10empty_typeEEEZZNS1_29radix_sort_onesweep_iterationIS3_Lb0EN6thrust23THRUST_200600_302600_NS6detail15normal_iteratorINS9_10device_ptrIsEEEESE_PS5_SF_jNS0_19identity_decomposerENS1_16block_id_wrapperIjLb0EEEEE10hipError_tT1_PNSt15iterator_traitsISK_E10value_typeET2_T3_PNSL_ISQ_E10value_typeET4_T5_PSV_SW_PNS1_23onesweep_lookback_stateEbbT6_jjT7_P12ihipStream_tbENKUlT_T0_SK_SP_E_clISE_SE_SF_SF_EEDaS13_S14_SK_SP_EUlS13_E_NS1_11comp_targetILNS1_3genE3ELNS1_11target_archE908ELNS1_3gpuE7ELNS1_3repE0EEENS1_47radix_sort_onesweep_sort_config_static_selectorELNS0_4arch9wavefront6targetE1EEEvSK_
                                        ; -- End function
	.section	.AMDGPU.csdata,"",@progbits
; Kernel info:
; codeLenInByte = 0
; NumSgprs: 6
; NumVgprs: 0
; NumAgprs: 0
; TotalNumVgprs: 0
; ScratchSize: 0
; MemoryBound: 0
; FloatMode: 240
; IeeeMode: 1
; LDSByteSize: 0 bytes/workgroup (compile time only)
; SGPRBlocks: 0
; VGPRBlocks: 0
; NumSGPRsForWavesPerEU: 6
; NumVGPRsForWavesPerEU: 1
; AccumOffset: 4
; Occupancy: 8
; WaveLimiterHint : 0
; COMPUTE_PGM_RSRC2:SCRATCH_EN: 0
; COMPUTE_PGM_RSRC2:USER_SGPR: 2
; COMPUTE_PGM_RSRC2:TRAP_HANDLER: 0
; COMPUTE_PGM_RSRC2:TGID_X_EN: 1
; COMPUTE_PGM_RSRC2:TGID_Y_EN: 0
; COMPUTE_PGM_RSRC2:TGID_Z_EN: 0
; COMPUTE_PGM_RSRC2:TIDIG_COMP_CNT: 0
; COMPUTE_PGM_RSRC3_GFX90A:ACCUM_OFFSET: 0
; COMPUTE_PGM_RSRC3_GFX90A:TG_SPLIT: 0
	.section	.text._ZN7rocprim17ROCPRIM_400000_NS6detail17trampoline_kernelINS0_14default_configENS1_35radix_sort_onesweep_config_selectorIsNS0_10empty_typeEEEZZNS1_29radix_sort_onesweep_iterationIS3_Lb0EN6thrust23THRUST_200600_302600_NS6detail15normal_iteratorINS9_10device_ptrIsEEEESE_PS5_SF_jNS0_19identity_decomposerENS1_16block_id_wrapperIjLb0EEEEE10hipError_tT1_PNSt15iterator_traitsISK_E10value_typeET2_T3_PNSL_ISQ_E10value_typeET4_T5_PSV_SW_PNS1_23onesweep_lookback_stateEbbT6_jjT7_P12ihipStream_tbENKUlT_T0_SK_SP_E_clISE_SE_SF_SF_EEDaS13_S14_SK_SP_EUlS13_E_NS1_11comp_targetILNS1_3genE10ELNS1_11target_archE1201ELNS1_3gpuE5ELNS1_3repE0EEENS1_47radix_sort_onesweep_sort_config_static_selectorELNS0_4arch9wavefront6targetE1EEEvSK_,"axG",@progbits,_ZN7rocprim17ROCPRIM_400000_NS6detail17trampoline_kernelINS0_14default_configENS1_35radix_sort_onesweep_config_selectorIsNS0_10empty_typeEEEZZNS1_29radix_sort_onesweep_iterationIS3_Lb0EN6thrust23THRUST_200600_302600_NS6detail15normal_iteratorINS9_10device_ptrIsEEEESE_PS5_SF_jNS0_19identity_decomposerENS1_16block_id_wrapperIjLb0EEEEE10hipError_tT1_PNSt15iterator_traitsISK_E10value_typeET2_T3_PNSL_ISQ_E10value_typeET4_T5_PSV_SW_PNS1_23onesweep_lookback_stateEbbT6_jjT7_P12ihipStream_tbENKUlT_T0_SK_SP_E_clISE_SE_SF_SF_EEDaS13_S14_SK_SP_EUlS13_E_NS1_11comp_targetILNS1_3genE10ELNS1_11target_archE1201ELNS1_3gpuE5ELNS1_3repE0EEENS1_47radix_sort_onesweep_sort_config_static_selectorELNS0_4arch9wavefront6targetE1EEEvSK_,comdat
	.protected	_ZN7rocprim17ROCPRIM_400000_NS6detail17trampoline_kernelINS0_14default_configENS1_35radix_sort_onesweep_config_selectorIsNS0_10empty_typeEEEZZNS1_29radix_sort_onesweep_iterationIS3_Lb0EN6thrust23THRUST_200600_302600_NS6detail15normal_iteratorINS9_10device_ptrIsEEEESE_PS5_SF_jNS0_19identity_decomposerENS1_16block_id_wrapperIjLb0EEEEE10hipError_tT1_PNSt15iterator_traitsISK_E10value_typeET2_T3_PNSL_ISQ_E10value_typeET4_T5_PSV_SW_PNS1_23onesweep_lookback_stateEbbT6_jjT7_P12ihipStream_tbENKUlT_T0_SK_SP_E_clISE_SE_SF_SF_EEDaS13_S14_SK_SP_EUlS13_E_NS1_11comp_targetILNS1_3genE10ELNS1_11target_archE1201ELNS1_3gpuE5ELNS1_3repE0EEENS1_47radix_sort_onesweep_sort_config_static_selectorELNS0_4arch9wavefront6targetE1EEEvSK_ ; -- Begin function _ZN7rocprim17ROCPRIM_400000_NS6detail17trampoline_kernelINS0_14default_configENS1_35radix_sort_onesweep_config_selectorIsNS0_10empty_typeEEEZZNS1_29radix_sort_onesweep_iterationIS3_Lb0EN6thrust23THRUST_200600_302600_NS6detail15normal_iteratorINS9_10device_ptrIsEEEESE_PS5_SF_jNS0_19identity_decomposerENS1_16block_id_wrapperIjLb0EEEEE10hipError_tT1_PNSt15iterator_traitsISK_E10value_typeET2_T3_PNSL_ISQ_E10value_typeET4_T5_PSV_SW_PNS1_23onesweep_lookback_stateEbbT6_jjT7_P12ihipStream_tbENKUlT_T0_SK_SP_E_clISE_SE_SF_SF_EEDaS13_S14_SK_SP_EUlS13_E_NS1_11comp_targetILNS1_3genE10ELNS1_11target_archE1201ELNS1_3gpuE5ELNS1_3repE0EEENS1_47radix_sort_onesweep_sort_config_static_selectorELNS0_4arch9wavefront6targetE1EEEvSK_
	.globl	_ZN7rocprim17ROCPRIM_400000_NS6detail17trampoline_kernelINS0_14default_configENS1_35radix_sort_onesweep_config_selectorIsNS0_10empty_typeEEEZZNS1_29radix_sort_onesweep_iterationIS3_Lb0EN6thrust23THRUST_200600_302600_NS6detail15normal_iteratorINS9_10device_ptrIsEEEESE_PS5_SF_jNS0_19identity_decomposerENS1_16block_id_wrapperIjLb0EEEEE10hipError_tT1_PNSt15iterator_traitsISK_E10value_typeET2_T3_PNSL_ISQ_E10value_typeET4_T5_PSV_SW_PNS1_23onesweep_lookback_stateEbbT6_jjT7_P12ihipStream_tbENKUlT_T0_SK_SP_E_clISE_SE_SF_SF_EEDaS13_S14_SK_SP_EUlS13_E_NS1_11comp_targetILNS1_3genE10ELNS1_11target_archE1201ELNS1_3gpuE5ELNS1_3repE0EEENS1_47radix_sort_onesweep_sort_config_static_selectorELNS0_4arch9wavefront6targetE1EEEvSK_
	.p2align	8
	.type	_ZN7rocprim17ROCPRIM_400000_NS6detail17trampoline_kernelINS0_14default_configENS1_35radix_sort_onesweep_config_selectorIsNS0_10empty_typeEEEZZNS1_29radix_sort_onesweep_iterationIS3_Lb0EN6thrust23THRUST_200600_302600_NS6detail15normal_iteratorINS9_10device_ptrIsEEEESE_PS5_SF_jNS0_19identity_decomposerENS1_16block_id_wrapperIjLb0EEEEE10hipError_tT1_PNSt15iterator_traitsISK_E10value_typeET2_T3_PNSL_ISQ_E10value_typeET4_T5_PSV_SW_PNS1_23onesweep_lookback_stateEbbT6_jjT7_P12ihipStream_tbENKUlT_T0_SK_SP_E_clISE_SE_SF_SF_EEDaS13_S14_SK_SP_EUlS13_E_NS1_11comp_targetILNS1_3genE10ELNS1_11target_archE1201ELNS1_3gpuE5ELNS1_3repE0EEENS1_47radix_sort_onesweep_sort_config_static_selectorELNS0_4arch9wavefront6targetE1EEEvSK_,@function
_ZN7rocprim17ROCPRIM_400000_NS6detail17trampoline_kernelINS0_14default_configENS1_35radix_sort_onesweep_config_selectorIsNS0_10empty_typeEEEZZNS1_29radix_sort_onesweep_iterationIS3_Lb0EN6thrust23THRUST_200600_302600_NS6detail15normal_iteratorINS9_10device_ptrIsEEEESE_PS5_SF_jNS0_19identity_decomposerENS1_16block_id_wrapperIjLb0EEEEE10hipError_tT1_PNSt15iterator_traitsISK_E10value_typeET2_T3_PNSL_ISQ_E10value_typeET4_T5_PSV_SW_PNS1_23onesweep_lookback_stateEbbT6_jjT7_P12ihipStream_tbENKUlT_T0_SK_SP_E_clISE_SE_SF_SF_EEDaS13_S14_SK_SP_EUlS13_E_NS1_11comp_targetILNS1_3genE10ELNS1_11target_archE1201ELNS1_3gpuE5ELNS1_3repE0EEENS1_47radix_sort_onesweep_sort_config_static_selectorELNS0_4arch9wavefront6targetE1EEEvSK_: ; @_ZN7rocprim17ROCPRIM_400000_NS6detail17trampoline_kernelINS0_14default_configENS1_35radix_sort_onesweep_config_selectorIsNS0_10empty_typeEEEZZNS1_29radix_sort_onesweep_iterationIS3_Lb0EN6thrust23THRUST_200600_302600_NS6detail15normal_iteratorINS9_10device_ptrIsEEEESE_PS5_SF_jNS0_19identity_decomposerENS1_16block_id_wrapperIjLb0EEEEE10hipError_tT1_PNSt15iterator_traitsISK_E10value_typeET2_T3_PNSL_ISQ_E10value_typeET4_T5_PSV_SW_PNS1_23onesweep_lookback_stateEbbT6_jjT7_P12ihipStream_tbENKUlT_T0_SK_SP_E_clISE_SE_SF_SF_EEDaS13_S14_SK_SP_EUlS13_E_NS1_11comp_targetILNS1_3genE10ELNS1_11target_archE1201ELNS1_3gpuE5ELNS1_3repE0EEENS1_47radix_sort_onesweep_sort_config_static_selectorELNS0_4arch9wavefront6targetE1EEEvSK_
; %bb.0:
	.section	.rodata,"a",@progbits
	.p2align	6, 0x0
	.amdhsa_kernel _ZN7rocprim17ROCPRIM_400000_NS6detail17trampoline_kernelINS0_14default_configENS1_35radix_sort_onesweep_config_selectorIsNS0_10empty_typeEEEZZNS1_29radix_sort_onesweep_iterationIS3_Lb0EN6thrust23THRUST_200600_302600_NS6detail15normal_iteratorINS9_10device_ptrIsEEEESE_PS5_SF_jNS0_19identity_decomposerENS1_16block_id_wrapperIjLb0EEEEE10hipError_tT1_PNSt15iterator_traitsISK_E10value_typeET2_T3_PNSL_ISQ_E10value_typeET4_T5_PSV_SW_PNS1_23onesweep_lookback_stateEbbT6_jjT7_P12ihipStream_tbENKUlT_T0_SK_SP_E_clISE_SE_SF_SF_EEDaS13_S14_SK_SP_EUlS13_E_NS1_11comp_targetILNS1_3genE10ELNS1_11target_archE1201ELNS1_3gpuE5ELNS1_3repE0EEENS1_47radix_sort_onesweep_sort_config_static_selectorELNS0_4arch9wavefront6targetE1EEEvSK_
		.amdhsa_group_segment_fixed_size 0
		.amdhsa_private_segment_fixed_size 0
		.amdhsa_kernarg_size 88
		.amdhsa_user_sgpr_count 2
		.amdhsa_user_sgpr_dispatch_ptr 0
		.amdhsa_user_sgpr_queue_ptr 0
		.amdhsa_user_sgpr_kernarg_segment_ptr 1
		.amdhsa_user_sgpr_dispatch_id 0
		.amdhsa_user_sgpr_kernarg_preload_length 0
		.amdhsa_user_sgpr_kernarg_preload_offset 0
		.amdhsa_user_sgpr_private_segment_size 0
		.amdhsa_uses_dynamic_stack 0
		.amdhsa_enable_private_segment 0
		.amdhsa_system_sgpr_workgroup_id_x 1
		.amdhsa_system_sgpr_workgroup_id_y 0
		.amdhsa_system_sgpr_workgroup_id_z 0
		.amdhsa_system_sgpr_workgroup_info 0
		.amdhsa_system_vgpr_workitem_id 0
		.amdhsa_next_free_vgpr 1
		.amdhsa_next_free_sgpr 0
		.amdhsa_accum_offset 4
		.amdhsa_reserve_vcc 0
		.amdhsa_float_round_mode_32 0
		.amdhsa_float_round_mode_16_64 0
		.amdhsa_float_denorm_mode_32 3
		.amdhsa_float_denorm_mode_16_64 3
		.amdhsa_dx10_clamp 1
		.amdhsa_ieee_mode 1
		.amdhsa_fp16_overflow 0
		.amdhsa_tg_split 0
		.amdhsa_exception_fp_ieee_invalid_op 0
		.amdhsa_exception_fp_denorm_src 0
		.amdhsa_exception_fp_ieee_div_zero 0
		.amdhsa_exception_fp_ieee_overflow 0
		.amdhsa_exception_fp_ieee_underflow 0
		.amdhsa_exception_fp_ieee_inexact 0
		.amdhsa_exception_int_div_zero 0
	.end_amdhsa_kernel
	.section	.text._ZN7rocprim17ROCPRIM_400000_NS6detail17trampoline_kernelINS0_14default_configENS1_35radix_sort_onesweep_config_selectorIsNS0_10empty_typeEEEZZNS1_29radix_sort_onesweep_iterationIS3_Lb0EN6thrust23THRUST_200600_302600_NS6detail15normal_iteratorINS9_10device_ptrIsEEEESE_PS5_SF_jNS0_19identity_decomposerENS1_16block_id_wrapperIjLb0EEEEE10hipError_tT1_PNSt15iterator_traitsISK_E10value_typeET2_T3_PNSL_ISQ_E10value_typeET4_T5_PSV_SW_PNS1_23onesweep_lookback_stateEbbT6_jjT7_P12ihipStream_tbENKUlT_T0_SK_SP_E_clISE_SE_SF_SF_EEDaS13_S14_SK_SP_EUlS13_E_NS1_11comp_targetILNS1_3genE10ELNS1_11target_archE1201ELNS1_3gpuE5ELNS1_3repE0EEENS1_47radix_sort_onesweep_sort_config_static_selectorELNS0_4arch9wavefront6targetE1EEEvSK_,"axG",@progbits,_ZN7rocprim17ROCPRIM_400000_NS6detail17trampoline_kernelINS0_14default_configENS1_35radix_sort_onesweep_config_selectorIsNS0_10empty_typeEEEZZNS1_29radix_sort_onesweep_iterationIS3_Lb0EN6thrust23THRUST_200600_302600_NS6detail15normal_iteratorINS9_10device_ptrIsEEEESE_PS5_SF_jNS0_19identity_decomposerENS1_16block_id_wrapperIjLb0EEEEE10hipError_tT1_PNSt15iterator_traitsISK_E10value_typeET2_T3_PNSL_ISQ_E10value_typeET4_T5_PSV_SW_PNS1_23onesweep_lookback_stateEbbT6_jjT7_P12ihipStream_tbENKUlT_T0_SK_SP_E_clISE_SE_SF_SF_EEDaS13_S14_SK_SP_EUlS13_E_NS1_11comp_targetILNS1_3genE10ELNS1_11target_archE1201ELNS1_3gpuE5ELNS1_3repE0EEENS1_47radix_sort_onesweep_sort_config_static_selectorELNS0_4arch9wavefront6targetE1EEEvSK_,comdat
.Lfunc_end1983:
	.size	_ZN7rocprim17ROCPRIM_400000_NS6detail17trampoline_kernelINS0_14default_configENS1_35radix_sort_onesweep_config_selectorIsNS0_10empty_typeEEEZZNS1_29radix_sort_onesweep_iterationIS3_Lb0EN6thrust23THRUST_200600_302600_NS6detail15normal_iteratorINS9_10device_ptrIsEEEESE_PS5_SF_jNS0_19identity_decomposerENS1_16block_id_wrapperIjLb0EEEEE10hipError_tT1_PNSt15iterator_traitsISK_E10value_typeET2_T3_PNSL_ISQ_E10value_typeET4_T5_PSV_SW_PNS1_23onesweep_lookback_stateEbbT6_jjT7_P12ihipStream_tbENKUlT_T0_SK_SP_E_clISE_SE_SF_SF_EEDaS13_S14_SK_SP_EUlS13_E_NS1_11comp_targetILNS1_3genE10ELNS1_11target_archE1201ELNS1_3gpuE5ELNS1_3repE0EEENS1_47radix_sort_onesweep_sort_config_static_selectorELNS0_4arch9wavefront6targetE1EEEvSK_, .Lfunc_end1983-_ZN7rocprim17ROCPRIM_400000_NS6detail17trampoline_kernelINS0_14default_configENS1_35radix_sort_onesweep_config_selectorIsNS0_10empty_typeEEEZZNS1_29radix_sort_onesweep_iterationIS3_Lb0EN6thrust23THRUST_200600_302600_NS6detail15normal_iteratorINS9_10device_ptrIsEEEESE_PS5_SF_jNS0_19identity_decomposerENS1_16block_id_wrapperIjLb0EEEEE10hipError_tT1_PNSt15iterator_traitsISK_E10value_typeET2_T3_PNSL_ISQ_E10value_typeET4_T5_PSV_SW_PNS1_23onesweep_lookback_stateEbbT6_jjT7_P12ihipStream_tbENKUlT_T0_SK_SP_E_clISE_SE_SF_SF_EEDaS13_S14_SK_SP_EUlS13_E_NS1_11comp_targetILNS1_3genE10ELNS1_11target_archE1201ELNS1_3gpuE5ELNS1_3repE0EEENS1_47radix_sort_onesweep_sort_config_static_selectorELNS0_4arch9wavefront6targetE1EEEvSK_
                                        ; -- End function
	.section	.AMDGPU.csdata,"",@progbits
; Kernel info:
; codeLenInByte = 0
; NumSgprs: 6
; NumVgprs: 0
; NumAgprs: 0
; TotalNumVgprs: 0
; ScratchSize: 0
; MemoryBound: 0
; FloatMode: 240
; IeeeMode: 1
; LDSByteSize: 0 bytes/workgroup (compile time only)
; SGPRBlocks: 0
; VGPRBlocks: 0
; NumSGPRsForWavesPerEU: 6
; NumVGPRsForWavesPerEU: 1
; AccumOffset: 4
; Occupancy: 8
; WaveLimiterHint : 0
; COMPUTE_PGM_RSRC2:SCRATCH_EN: 0
; COMPUTE_PGM_RSRC2:USER_SGPR: 2
; COMPUTE_PGM_RSRC2:TRAP_HANDLER: 0
; COMPUTE_PGM_RSRC2:TGID_X_EN: 1
; COMPUTE_PGM_RSRC2:TGID_Y_EN: 0
; COMPUTE_PGM_RSRC2:TGID_Z_EN: 0
; COMPUTE_PGM_RSRC2:TIDIG_COMP_CNT: 0
; COMPUTE_PGM_RSRC3_GFX90A:ACCUM_OFFSET: 0
; COMPUTE_PGM_RSRC3_GFX90A:TG_SPLIT: 0
	.section	.text._ZN7rocprim17ROCPRIM_400000_NS6detail17trampoline_kernelINS0_14default_configENS1_35radix_sort_onesweep_config_selectorIsNS0_10empty_typeEEEZZNS1_29radix_sort_onesweep_iterationIS3_Lb0EN6thrust23THRUST_200600_302600_NS6detail15normal_iteratorINS9_10device_ptrIsEEEESE_PS5_SF_jNS0_19identity_decomposerENS1_16block_id_wrapperIjLb0EEEEE10hipError_tT1_PNSt15iterator_traitsISK_E10value_typeET2_T3_PNSL_ISQ_E10value_typeET4_T5_PSV_SW_PNS1_23onesweep_lookback_stateEbbT6_jjT7_P12ihipStream_tbENKUlT_T0_SK_SP_E_clISE_SE_SF_SF_EEDaS13_S14_SK_SP_EUlS13_E_NS1_11comp_targetILNS1_3genE9ELNS1_11target_archE1100ELNS1_3gpuE3ELNS1_3repE0EEENS1_47radix_sort_onesweep_sort_config_static_selectorELNS0_4arch9wavefront6targetE1EEEvSK_,"axG",@progbits,_ZN7rocprim17ROCPRIM_400000_NS6detail17trampoline_kernelINS0_14default_configENS1_35radix_sort_onesweep_config_selectorIsNS0_10empty_typeEEEZZNS1_29radix_sort_onesweep_iterationIS3_Lb0EN6thrust23THRUST_200600_302600_NS6detail15normal_iteratorINS9_10device_ptrIsEEEESE_PS5_SF_jNS0_19identity_decomposerENS1_16block_id_wrapperIjLb0EEEEE10hipError_tT1_PNSt15iterator_traitsISK_E10value_typeET2_T3_PNSL_ISQ_E10value_typeET4_T5_PSV_SW_PNS1_23onesweep_lookback_stateEbbT6_jjT7_P12ihipStream_tbENKUlT_T0_SK_SP_E_clISE_SE_SF_SF_EEDaS13_S14_SK_SP_EUlS13_E_NS1_11comp_targetILNS1_3genE9ELNS1_11target_archE1100ELNS1_3gpuE3ELNS1_3repE0EEENS1_47radix_sort_onesweep_sort_config_static_selectorELNS0_4arch9wavefront6targetE1EEEvSK_,comdat
	.protected	_ZN7rocprim17ROCPRIM_400000_NS6detail17trampoline_kernelINS0_14default_configENS1_35radix_sort_onesweep_config_selectorIsNS0_10empty_typeEEEZZNS1_29radix_sort_onesweep_iterationIS3_Lb0EN6thrust23THRUST_200600_302600_NS6detail15normal_iteratorINS9_10device_ptrIsEEEESE_PS5_SF_jNS0_19identity_decomposerENS1_16block_id_wrapperIjLb0EEEEE10hipError_tT1_PNSt15iterator_traitsISK_E10value_typeET2_T3_PNSL_ISQ_E10value_typeET4_T5_PSV_SW_PNS1_23onesweep_lookback_stateEbbT6_jjT7_P12ihipStream_tbENKUlT_T0_SK_SP_E_clISE_SE_SF_SF_EEDaS13_S14_SK_SP_EUlS13_E_NS1_11comp_targetILNS1_3genE9ELNS1_11target_archE1100ELNS1_3gpuE3ELNS1_3repE0EEENS1_47radix_sort_onesweep_sort_config_static_selectorELNS0_4arch9wavefront6targetE1EEEvSK_ ; -- Begin function _ZN7rocprim17ROCPRIM_400000_NS6detail17trampoline_kernelINS0_14default_configENS1_35radix_sort_onesweep_config_selectorIsNS0_10empty_typeEEEZZNS1_29radix_sort_onesweep_iterationIS3_Lb0EN6thrust23THRUST_200600_302600_NS6detail15normal_iteratorINS9_10device_ptrIsEEEESE_PS5_SF_jNS0_19identity_decomposerENS1_16block_id_wrapperIjLb0EEEEE10hipError_tT1_PNSt15iterator_traitsISK_E10value_typeET2_T3_PNSL_ISQ_E10value_typeET4_T5_PSV_SW_PNS1_23onesweep_lookback_stateEbbT6_jjT7_P12ihipStream_tbENKUlT_T0_SK_SP_E_clISE_SE_SF_SF_EEDaS13_S14_SK_SP_EUlS13_E_NS1_11comp_targetILNS1_3genE9ELNS1_11target_archE1100ELNS1_3gpuE3ELNS1_3repE0EEENS1_47radix_sort_onesweep_sort_config_static_selectorELNS0_4arch9wavefront6targetE1EEEvSK_
	.globl	_ZN7rocprim17ROCPRIM_400000_NS6detail17trampoline_kernelINS0_14default_configENS1_35radix_sort_onesweep_config_selectorIsNS0_10empty_typeEEEZZNS1_29radix_sort_onesweep_iterationIS3_Lb0EN6thrust23THRUST_200600_302600_NS6detail15normal_iteratorINS9_10device_ptrIsEEEESE_PS5_SF_jNS0_19identity_decomposerENS1_16block_id_wrapperIjLb0EEEEE10hipError_tT1_PNSt15iterator_traitsISK_E10value_typeET2_T3_PNSL_ISQ_E10value_typeET4_T5_PSV_SW_PNS1_23onesweep_lookback_stateEbbT6_jjT7_P12ihipStream_tbENKUlT_T0_SK_SP_E_clISE_SE_SF_SF_EEDaS13_S14_SK_SP_EUlS13_E_NS1_11comp_targetILNS1_3genE9ELNS1_11target_archE1100ELNS1_3gpuE3ELNS1_3repE0EEENS1_47radix_sort_onesweep_sort_config_static_selectorELNS0_4arch9wavefront6targetE1EEEvSK_
	.p2align	8
	.type	_ZN7rocprim17ROCPRIM_400000_NS6detail17trampoline_kernelINS0_14default_configENS1_35radix_sort_onesweep_config_selectorIsNS0_10empty_typeEEEZZNS1_29radix_sort_onesweep_iterationIS3_Lb0EN6thrust23THRUST_200600_302600_NS6detail15normal_iteratorINS9_10device_ptrIsEEEESE_PS5_SF_jNS0_19identity_decomposerENS1_16block_id_wrapperIjLb0EEEEE10hipError_tT1_PNSt15iterator_traitsISK_E10value_typeET2_T3_PNSL_ISQ_E10value_typeET4_T5_PSV_SW_PNS1_23onesweep_lookback_stateEbbT6_jjT7_P12ihipStream_tbENKUlT_T0_SK_SP_E_clISE_SE_SF_SF_EEDaS13_S14_SK_SP_EUlS13_E_NS1_11comp_targetILNS1_3genE9ELNS1_11target_archE1100ELNS1_3gpuE3ELNS1_3repE0EEENS1_47radix_sort_onesweep_sort_config_static_selectorELNS0_4arch9wavefront6targetE1EEEvSK_,@function
_ZN7rocprim17ROCPRIM_400000_NS6detail17trampoline_kernelINS0_14default_configENS1_35radix_sort_onesweep_config_selectorIsNS0_10empty_typeEEEZZNS1_29radix_sort_onesweep_iterationIS3_Lb0EN6thrust23THRUST_200600_302600_NS6detail15normal_iteratorINS9_10device_ptrIsEEEESE_PS5_SF_jNS0_19identity_decomposerENS1_16block_id_wrapperIjLb0EEEEE10hipError_tT1_PNSt15iterator_traitsISK_E10value_typeET2_T3_PNSL_ISQ_E10value_typeET4_T5_PSV_SW_PNS1_23onesweep_lookback_stateEbbT6_jjT7_P12ihipStream_tbENKUlT_T0_SK_SP_E_clISE_SE_SF_SF_EEDaS13_S14_SK_SP_EUlS13_E_NS1_11comp_targetILNS1_3genE9ELNS1_11target_archE1100ELNS1_3gpuE3ELNS1_3repE0EEENS1_47radix_sort_onesweep_sort_config_static_selectorELNS0_4arch9wavefront6targetE1EEEvSK_: ; @_ZN7rocprim17ROCPRIM_400000_NS6detail17trampoline_kernelINS0_14default_configENS1_35radix_sort_onesweep_config_selectorIsNS0_10empty_typeEEEZZNS1_29radix_sort_onesweep_iterationIS3_Lb0EN6thrust23THRUST_200600_302600_NS6detail15normal_iteratorINS9_10device_ptrIsEEEESE_PS5_SF_jNS0_19identity_decomposerENS1_16block_id_wrapperIjLb0EEEEE10hipError_tT1_PNSt15iterator_traitsISK_E10value_typeET2_T3_PNSL_ISQ_E10value_typeET4_T5_PSV_SW_PNS1_23onesweep_lookback_stateEbbT6_jjT7_P12ihipStream_tbENKUlT_T0_SK_SP_E_clISE_SE_SF_SF_EEDaS13_S14_SK_SP_EUlS13_E_NS1_11comp_targetILNS1_3genE9ELNS1_11target_archE1100ELNS1_3gpuE3ELNS1_3repE0EEENS1_47radix_sort_onesweep_sort_config_static_selectorELNS0_4arch9wavefront6targetE1EEEvSK_
; %bb.0:
	.section	.rodata,"a",@progbits
	.p2align	6, 0x0
	.amdhsa_kernel _ZN7rocprim17ROCPRIM_400000_NS6detail17trampoline_kernelINS0_14default_configENS1_35radix_sort_onesweep_config_selectorIsNS0_10empty_typeEEEZZNS1_29radix_sort_onesweep_iterationIS3_Lb0EN6thrust23THRUST_200600_302600_NS6detail15normal_iteratorINS9_10device_ptrIsEEEESE_PS5_SF_jNS0_19identity_decomposerENS1_16block_id_wrapperIjLb0EEEEE10hipError_tT1_PNSt15iterator_traitsISK_E10value_typeET2_T3_PNSL_ISQ_E10value_typeET4_T5_PSV_SW_PNS1_23onesweep_lookback_stateEbbT6_jjT7_P12ihipStream_tbENKUlT_T0_SK_SP_E_clISE_SE_SF_SF_EEDaS13_S14_SK_SP_EUlS13_E_NS1_11comp_targetILNS1_3genE9ELNS1_11target_archE1100ELNS1_3gpuE3ELNS1_3repE0EEENS1_47radix_sort_onesweep_sort_config_static_selectorELNS0_4arch9wavefront6targetE1EEEvSK_
		.amdhsa_group_segment_fixed_size 0
		.amdhsa_private_segment_fixed_size 0
		.amdhsa_kernarg_size 88
		.amdhsa_user_sgpr_count 2
		.amdhsa_user_sgpr_dispatch_ptr 0
		.amdhsa_user_sgpr_queue_ptr 0
		.amdhsa_user_sgpr_kernarg_segment_ptr 1
		.amdhsa_user_sgpr_dispatch_id 0
		.amdhsa_user_sgpr_kernarg_preload_length 0
		.amdhsa_user_sgpr_kernarg_preload_offset 0
		.amdhsa_user_sgpr_private_segment_size 0
		.amdhsa_uses_dynamic_stack 0
		.amdhsa_enable_private_segment 0
		.amdhsa_system_sgpr_workgroup_id_x 1
		.amdhsa_system_sgpr_workgroup_id_y 0
		.amdhsa_system_sgpr_workgroup_id_z 0
		.amdhsa_system_sgpr_workgroup_info 0
		.amdhsa_system_vgpr_workitem_id 0
		.amdhsa_next_free_vgpr 1
		.amdhsa_next_free_sgpr 0
		.amdhsa_accum_offset 4
		.amdhsa_reserve_vcc 0
		.amdhsa_float_round_mode_32 0
		.amdhsa_float_round_mode_16_64 0
		.amdhsa_float_denorm_mode_32 3
		.amdhsa_float_denorm_mode_16_64 3
		.amdhsa_dx10_clamp 1
		.amdhsa_ieee_mode 1
		.amdhsa_fp16_overflow 0
		.amdhsa_tg_split 0
		.amdhsa_exception_fp_ieee_invalid_op 0
		.amdhsa_exception_fp_denorm_src 0
		.amdhsa_exception_fp_ieee_div_zero 0
		.amdhsa_exception_fp_ieee_overflow 0
		.amdhsa_exception_fp_ieee_underflow 0
		.amdhsa_exception_fp_ieee_inexact 0
		.amdhsa_exception_int_div_zero 0
	.end_amdhsa_kernel
	.section	.text._ZN7rocprim17ROCPRIM_400000_NS6detail17trampoline_kernelINS0_14default_configENS1_35radix_sort_onesweep_config_selectorIsNS0_10empty_typeEEEZZNS1_29radix_sort_onesweep_iterationIS3_Lb0EN6thrust23THRUST_200600_302600_NS6detail15normal_iteratorINS9_10device_ptrIsEEEESE_PS5_SF_jNS0_19identity_decomposerENS1_16block_id_wrapperIjLb0EEEEE10hipError_tT1_PNSt15iterator_traitsISK_E10value_typeET2_T3_PNSL_ISQ_E10value_typeET4_T5_PSV_SW_PNS1_23onesweep_lookback_stateEbbT6_jjT7_P12ihipStream_tbENKUlT_T0_SK_SP_E_clISE_SE_SF_SF_EEDaS13_S14_SK_SP_EUlS13_E_NS1_11comp_targetILNS1_3genE9ELNS1_11target_archE1100ELNS1_3gpuE3ELNS1_3repE0EEENS1_47radix_sort_onesweep_sort_config_static_selectorELNS0_4arch9wavefront6targetE1EEEvSK_,"axG",@progbits,_ZN7rocprim17ROCPRIM_400000_NS6detail17trampoline_kernelINS0_14default_configENS1_35radix_sort_onesweep_config_selectorIsNS0_10empty_typeEEEZZNS1_29radix_sort_onesweep_iterationIS3_Lb0EN6thrust23THRUST_200600_302600_NS6detail15normal_iteratorINS9_10device_ptrIsEEEESE_PS5_SF_jNS0_19identity_decomposerENS1_16block_id_wrapperIjLb0EEEEE10hipError_tT1_PNSt15iterator_traitsISK_E10value_typeET2_T3_PNSL_ISQ_E10value_typeET4_T5_PSV_SW_PNS1_23onesweep_lookback_stateEbbT6_jjT7_P12ihipStream_tbENKUlT_T0_SK_SP_E_clISE_SE_SF_SF_EEDaS13_S14_SK_SP_EUlS13_E_NS1_11comp_targetILNS1_3genE9ELNS1_11target_archE1100ELNS1_3gpuE3ELNS1_3repE0EEENS1_47radix_sort_onesweep_sort_config_static_selectorELNS0_4arch9wavefront6targetE1EEEvSK_,comdat
.Lfunc_end1984:
	.size	_ZN7rocprim17ROCPRIM_400000_NS6detail17trampoline_kernelINS0_14default_configENS1_35radix_sort_onesweep_config_selectorIsNS0_10empty_typeEEEZZNS1_29radix_sort_onesweep_iterationIS3_Lb0EN6thrust23THRUST_200600_302600_NS6detail15normal_iteratorINS9_10device_ptrIsEEEESE_PS5_SF_jNS0_19identity_decomposerENS1_16block_id_wrapperIjLb0EEEEE10hipError_tT1_PNSt15iterator_traitsISK_E10value_typeET2_T3_PNSL_ISQ_E10value_typeET4_T5_PSV_SW_PNS1_23onesweep_lookback_stateEbbT6_jjT7_P12ihipStream_tbENKUlT_T0_SK_SP_E_clISE_SE_SF_SF_EEDaS13_S14_SK_SP_EUlS13_E_NS1_11comp_targetILNS1_3genE9ELNS1_11target_archE1100ELNS1_3gpuE3ELNS1_3repE0EEENS1_47radix_sort_onesweep_sort_config_static_selectorELNS0_4arch9wavefront6targetE1EEEvSK_, .Lfunc_end1984-_ZN7rocprim17ROCPRIM_400000_NS6detail17trampoline_kernelINS0_14default_configENS1_35radix_sort_onesweep_config_selectorIsNS0_10empty_typeEEEZZNS1_29radix_sort_onesweep_iterationIS3_Lb0EN6thrust23THRUST_200600_302600_NS6detail15normal_iteratorINS9_10device_ptrIsEEEESE_PS5_SF_jNS0_19identity_decomposerENS1_16block_id_wrapperIjLb0EEEEE10hipError_tT1_PNSt15iterator_traitsISK_E10value_typeET2_T3_PNSL_ISQ_E10value_typeET4_T5_PSV_SW_PNS1_23onesweep_lookback_stateEbbT6_jjT7_P12ihipStream_tbENKUlT_T0_SK_SP_E_clISE_SE_SF_SF_EEDaS13_S14_SK_SP_EUlS13_E_NS1_11comp_targetILNS1_3genE9ELNS1_11target_archE1100ELNS1_3gpuE3ELNS1_3repE0EEENS1_47radix_sort_onesweep_sort_config_static_selectorELNS0_4arch9wavefront6targetE1EEEvSK_
                                        ; -- End function
	.section	.AMDGPU.csdata,"",@progbits
; Kernel info:
; codeLenInByte = 0
; NumSgprs: 6
; NumVgprs: 0
; NumAgprs: 0
; TotalNumVgprs: 0
; ScratchSize: 0
; MemoryBound: 0
; FloatMode: 240
; IeeeMode: 1
; LDSByteSize: 0 bytes/workgroup (compile time only)
; SGPRBlocks: 0
; VGPRBlocks: 0
; NumSGPRsForWavesPerEU: 6
; NumVGPRsForWavesPerEU: 1
; AccumOffset: 4
; Occupancy: 8
; WaveLimiterHint : 0
; COMPUTE_PGM_RSRC2:SCRATCH_EN: 0
; COMPUTE_PGM_RSRC2:USER_SGPR: 2
; COMPUTE_PGM_RSRC2:TRAP_HANDLER: 0
; COMPUTE_PGM_RSRC2:TGID_X_EN: 1
; COMPUTE_PGM_RSRC2:TGID_Y_EN: 0
; COMPUTE_PGM_RSRC2:TGID_Z_EN: 0
; COMPUTE_PGM_RSRC2:TIDIG_COMP_CNT: 0
; COMPUTE_PGM_RSRC3_GFX90A:ACCUM_OFFSET: 0
; COMPUTE_PGM_RSRC3_GFX90A:TG_SPLIT: 0
	.section	.text._ZN7rocprim17ROCPRIM_400000_NS6detail17trampoline_kernelINS0_14default_configENS1_35radix_sort_onesweep_config_selectorIsNS0_10empty_typeEEEZZNS1_29radix_sort_onesweep_iterationIS3_Lb0EN6thrust23THRUST_200600_302600_NS6detail15normal_iteratorINS9_10device_ptrIsEEEESE_PS5_SF_jNS0_19identity_decomposerENS1_16block_id_wrapperIjLb0EEEEE10hipError_tT1_PNSt15iterator_traitsISK_E10value_typeET2_T3_PNSL_ISQ_E10value_typeET4_T5_PSV_SW_PNS1_23onesweep_lookback_stateEbbT6_jjT7_P12ihipStream_tbENKUlT_T0_SK_SP_E_clISE_SE_SF_SF_EEDaS13_S14_SK_SP_EUlS13_E_NS1_11comp_targetILNS1_3genE8ELNS1_11target_archE1030ELNS1_3gpuE2ELNS1_3repE0EEENS1_47radix_sort_onesweep_sort_config_static_selectorELNS0_4arch9wavefront6targetE1EEEvSK_,"axG",@progbits,_ZN7rocprim17ROCPRIM_400000_NS6detail17trampoline_kernelINS0_14default_configENS1_35radix_sort_onesweep_config_selectorIsNS0_10empty_typeEEEZZNS1_29radix_sort_onesweep_iterationIS3_Lb0EN6thrust23THRUST_200600_302600_NS6detail15normal_iteratorINS9_10device_ptrIsEEEESE_PS5_SF_jNS0_19identity_decomposerENS1_16block_id_wrapperIjLb0EEEEE10hipError_tT1_PNSt15iterator_traitsISK_E10value_typeET2_T3_PNSL_ISQ_E10value_typeET4_T5_PSV_SW_PNS1_23onesweep_lookback_stateEbbT6_jjT7_P12ihipStream_tbENKUlT_T0_SK_SP_E_clISE_SE_SF_SF_EEDaS13_S14_SK_SP_EUlS13_E_NS1_11comp_targetILNS1_3genE8ELNS1_11target_archE1030ELNS1_3gpuE2ELNS1_3repE0EEENS1_47radix_sort_onesweep_sort_config_static_selectorELNS0_4arch9wavefront6targetE1EEEvSK_,comdat
	.protected	_ZN7rocprim17ROCPRIM_400000_NS6detail17trampoline_kernelINS0_14default_configENS1_35radix_sort_onesweep_config_selectorIsNS0_10empty_typeEEEZZNS1_29radix_sort_onesweep_iterationIS3_Lb0EN6thrust23THRUST_200600_302600_NS6detail15normal_iteratorINS9_10device_ptrIsEEEESE_PS5_SF_jNS0_19identity_decomposerENS1_16block_id_wrapperIjLb0EEEEE10hipError_tT1_PNSt15iterator_traitsISK_E10value_typeET2_T3_PNSL_ISQ_E10value_typeET4_T5_PSV_SW_PNS1_23onesweep_lookback_stateEbbT6_jjT7_P12ihipStream_tbENKUlT_T0_SK_SP_E_clISE_SE_SF_SF_EEDaS13_S14_SK_SP_EUlS13_E_NS1_11comp_targetILNS1_3genE8ELNS1_11target_archE1030ELNS1_3gpuE2ELNS1_3repE0EEENS1_47radix_sort_onesweep_sort_config_static_selectorELNS0_4arch9wavefront6targetE1EEEvSK_ ; -- Begin function _ZN7rocprim17ROCPRIM_400000_NS6detail17trampoline_kernelINS0_14default_configENS1_35radix_sort_onesweep_config_selectorIsNS0_10empty_typeEEEZZNS1_29radix_sort_onesweep_iterationIS3_Lb0EN6thrust23THRUST_200600_302600_NS6detail15normal_iteratorINS9_10device_ptrIsEEEESE_PS5_SF_jNS0_19identity_decomposerENS1_16block_id_wrapperIjLb0EEEEE10hipError_tT1_PNSt15iterator_traitsISK_E10value_typeET2_T3_PNSL_ISQ_E10value_typeET4_T5_PSV_SW_PNS1_23onesweep_lookback_stateEbbT6_jjT7_P12ihipStream_tbENKUlT_T0_SK_SP_E_clISE_SE_SF_SF_EEDaS13_S14_SK_SP_EUlS13_E_NS1_11comp_targetILNS1_3genE8ELNS1_11target_archE1030ELNS1_3gpuE2ELNS1_3repE0EEENS1_47radix_sort_onesweep_sort_config_static_selectorELNS0_4arch9wavefront6targetE1EEEvSK_
	.globl	_ZN7rocprim17ROCPRIM_400000_NS6detail17trampoline_kernelINS0_14default_configENS1_35radix_sort_onesweep_config_selectorIsNS0_10empty_typeEEEZZNS1_29radix_sort_onesweep_iterationIS3_Lb0EN6thrust23THRUST_200600_302600_NS6detail15normal_iteratorINS9_10device_ptrIsEEEESE_PS5_SF_jNS0_19identity_decomposerENS1_16block_id_wrapperIjLb0EEEEE10hipError_tT1_PNSt15iterator_traitsISK_E10value_typeET2_T3_PNSL_ISQ_E10value_typeET4_T5_PSV_SW_PNS1_23onesweep_lookback_stateEbbT6_jjT7_P12ihipStream_tbENKUlT_T0_SK_SP_E_clISE_SE_SF_SF_EEDaS13_S14_SK_SP_EUlS13_E_NS1_11comp_targetILNS1_3genE8ELNS1_11target_archE1030ELNS1_3gpuE2ELNS1_3repE0EEENS1_47radix_sort_onesweep_sort_config_static_selectorELNS0_4arch9wavefront6targetE1EEEvSK_
	.p2align	8
	.type	_ZN7rocprim17ROCPRIM_400000_NS6detail17trampoline_kernelINS0_14default_configENS1_35radix_sort_onesweep_config_selectorIsNS0_10empty_typeEEEZZNS1_29radix_sort_onesweep_iterationIS3_Lb0EN6thrust23THRUST_200600_302600_NS6detail15normal_iteratorINS9_10device_ptrIsEEEESE_PS5_SF_jNS0_19identity_decomposerENS1_16block_id_wrapperIjLb0EEEEE10hipError_tT1_PNSt15iterator_traitsISK_E10value_typeET2_T3_PNSL_ISQ_E10value_typeET4_T5_PSV_SW_PNS1_23onesweep_lookback_stateEbbT6_jjT7_P12ihipStream_tbENKUlT_T0_SK_SP_E_clISE_SE_SF_SF_EEDaS13_S14_SK_SP_EUlS13_E_NS1_11comp_targetILNS1_3genE8ELNS1_11target_archE1030ELNS1_3gpuE2ELNS1_3repE0EEENS1_47radix_sort_onesweep_sort_config_static_selectorELNS0_4arch9wavefront6targetE1EEEvSK_,@function
_ZN7rocprim17ROCPRIM_400000_NS6detail17trampoline_kernelINS0_14default_configENS1_35radix_sort_onesweep_config_selectorIsNS0_10empty_typeEEEZZNS1_29radix_sort_onesweep_iterationIS3_Lb0EN6thrust23THRUST_200600_302600_NS6detail15normal_iteratorINS9_10device_ptrIsEEEESE_PS5_SF_jNS0_19identity_decomposerENS1_16block_id_wrapperIjLb0EEEEE10hipError_tT1_PNSt15iterator_traitsISK_E10value_typeET2_T3_PNSL_ISQ_E10value_typeET4_T5_PSV_SW_PNS1_23onesweep_lookback_stateEbbT6_jjT7_P12ihipStream_tbENKUlT_T0_SK_SP_E_clISE_SE_SF_SF_EEDaS13_S14_SK_SP_EUlS13_E_NS1_11comp_targetILNS1_3genE8ELNS1_11target_archE1030ELNS1_3gpuE2ELNS1_3repE0EEENS1_47radix_sort_onesweep_sort_config_static_selectorELNS0_4arch9wavefront6targetE1EEEvSK_: ; @_ZN7rocprim17ROCPRIM_400000_NS6detail17trampoline_kernelINS0_14default_configENS1_35radix_sort_onesweep_config_selectorIsNS0_10empty_typeEEEZZNS1_29radix_sort_onesweep_iterationIS3_Lb0EN6thrust23THRUST_200600_302600_NS6detail15normal_iteratorINS9_10device_ptrIsEEEESE_PS5_SF_jNS0_19identity_decomposerENS1_16block_id_wrapperIjLb0EEEEE10hipError_tT1_PNSt15iterator_traitsISK_E10value_typeET2_T3_PNSL_ISQ_E10value_typeET4_T5_PSV_SW_PNS1_23onesweep_lookback_stateEbbT6_jjT7_P12ihipStream_tbENKUlT_T0_SK_SP_E_clISE_SE_SF_SF_EEDaS13_S14_SK_SP_EUlS13_E_NS1_11comp_targetILNS1_3genE8ELNS1_11target_archE1030ELNS1_3gpuE2ELNS1_3repE0EEENS1_47radix_sort_onesweep_sort_config_static_selectorELNS0_4arch9wavefront6targetE1EEEvSK_
; %bb.0:
	.section	.rodata,"a",@progbits
	.p2align	6, 0x0
	.amdhsa_kernel _ZN7rocprim17ROCPRIM_400000_NS6detail17trampoline_kernelINS0_14default_configENS1_35radix_sort_onesweep_config_selectorIsNS0_10empty_typeEEEZZNS1_29radix_sort_onesweep_iterationIS3_Lb0EN6thrust23THRUST_200600_302600_NS6detail15normal_iteratorINS9_10device_ptrIsEEEESE_PS5_SF_jNS0_19identity_decomposerENS1_16block_id_wrapperIjLb0EEEEE10hipError_tT1_PNSt15iterator_traitsISK_E10value_typeET2_T3_PNSL_ISQ_E10value_typeET4_T5_PSV_SW_PNS1_23onesweep_lookback_stateEbbT6_jjT7_P12ihipStream_tbENKUlT_T0_SK_SP_E_clISE_SE_SF_SF_EEDaS13_S14_SK_SP_EUlS13_E_NS1_11comp_targetILNS1_3genE8ELNS1_11target_archE1030ELNS1_3gpuE2ELNS1_3repE0EEENS1_47radix_sort_onesweep_sort_config_static_selectorELNS0_4arch9wavefront6targetE1EEEvSK_
		.amdhsa_group_segment_fixed_size 0
		.amdhsa_private_segment_fixed_size 0
		.amdhsa_kernarg_size 88
		.amdhsa_user_sgpr_count 2
		.amdhsa_user_sgpr_dispatch_ptr 0
		.amdhsa_user_sgpr_queue_ptr 0
		.amdhsa_user_sgpr_kernarg_segment_ptr 1
		.amdhsa_user_sgpr_dispatch_id 0
		.amdhsa_user_sgpr_kernarg_preload_length 0
		.amdhsa_user_sgpr_kernarg_preload_offset 0
		.amdhsa_user_sgpr_private_segment_size 0
		.amdhsa_uses_dynamic_stack 0
		.amdhsa_enable_private_segment 0
		.amdhsa_system_sgpr_workgroup_id_x 1
		.amdhsa_system_sgpr_workgroup_id_y 0
		.amdhsa_system_sgpr_workgroup_id_z 0
		.amdhsa_system_sgpr_workgroup_info 0
		.amdhsa_system_vgpr_workitem_id 0
		.amdhsa_next_free_vgpr 1
		.amdhsa_next_free_sgpr 0
		.amdhsa_accum_offset 4
		.amdhsa_reserve_vcc 0
		.amdhsa_float_round_mode_32 0
		.amdhsa_float_round_mode_16_64 0
		.amdhsa_float_denorm_mode_32 3
		.amdhsa_float_denorm_mode_16_64 3
		.amdhsa_dx10_clamp 1
		.amdhsa_ieee_mode 1
		.amdhsa_fp16_overflow 0
		.amdhsa_tg_split 0
		.amdhsa_exception_fp_ieee_invalid_op 0
		.amdhsa_exception_fp_denorm_src 0
		.amdhsa_exception_fp_ieee_div_zero 0
		.amdhsa_exception_fp_ieee_overflow 0
		.amdhsa_exception_fp_ieee_underflow 0
		.amdhsa_exception_fp_ieee_inexact 0
		.amdhsa_exception_int_div_zero 0
	.end_amdhsa_kernel
	.section	.text._ZN7rocprim17ROCPRIM_400000_NS6detail17trampoline_kernelINS0_14default_configENS1_35radix_sort_onesweep_config_selectorIsNS0_10empty_typeEEEZZNS1_29radix_sort_onesweep_iterationIS3_Lb0EN6thrust23THRUST_200600_302600_NS6detail15normal_iteratorINS9_10device_ptrIsEEEESE_PS5_SF_jNS0_19identity_decomposerENS1_16block_id_wrapperIjLb0EEEEE10hipError_tT1_PNSt15iterator_traitsISK_E10value_typeET2_T3_PNSL_ISQ_E10value_typeET4_T5_PSV_SW_PNS1_23onesweep_lookback_stateEbbT6_jjT7_P12ihipStream_tbENKUlT_T0_SK_SP_E_clISE_SE_SF_SF_EEDaS13_S14_SK_SP_EUlS13_E_NS1_11comp_targetILNS1_3genE8ELNS1_11target_archE1030ELNS1_3gpuE2ELNS1_3repE0EEENS1_47radix_sort_onesweep_sort_config_static_selectorELNS0_4arch9wavefront6targetE1EEEvSK_,"axG",@progbits,_ZN7rocprim17ROCPRIM_400000_NS6detail17trampoline_kernelINS0_14default_configENS1_35radix_sort_onesweep_config_selectorIsNS0_10empty_typeEEEZZNS1_29radix_sort_onesweep_iterationIS3_Lb0EN6thrust23THRUST_200600_302600_NS6detail15normal_iteratorINS9_10device_ptrIsEEEESE_PS5_SF_jNS0_19identity_decomposerENS1_16block_id_wrapperIjLb0EEEEE10hipError_tT1_PNSt15iterator_traitsISK_E10value_typeET2_T3_PNSL_ISQ_E10value_typeET4_T5_PSV_SW_PNS1_23onesweep_lookback_stateEbbT6_jjT7_P12ihipStream_tbENKUlT_T0_SK_SP_E_clISE_SE_SF_SF_EEDaS13_S14_SK_SP_EUlS13_E_NS1_11comp_targetILNS1_3genE8ELNS1_11target_archE1030ELNS1_3gpuE2ELNS1_3repE0EEENS1_47radix_sort_onesweep_sort_config_static_selectorELNS0_4arch9wavefront6targetE1EEEvSK_,comdat
.Lfunc_end1985:
	.size	_ZN7rocprim17ROCPRIM_400000_NS6detail17trampoline_kernelINS0_14default_configENS1_35radix_sort_onesweep_config_selectorIsNS0_10empty_typeEEEZZNS1_29radix_sort_onesweep_iterationIS3_Lb0EN6thrust23THRUST_200600_302600_NS6detail15normal_iteratorINS9_10device_ptrIsEEEESE_PS5_SF_jNS0_19identity_decomposerENS1_16block_id_wrapperIjLb0EEEEE10hipError_tT1_PNSt15iterator_traitsISK_E10value_typeET2_T3_PNSL_ISQ_E10value_typeET4_T5_PSV_SW_PNS1_23onesweep_lookback_stateEbbT6_jjT7_P12ihipStream_tbENKUlT_T0_SK_SP_E_clISE_SE_SF_SF_EEDaS13_S14_SK_SP_EUlS13_E_NS1_11comp_targetILNS1_3genE8ELNS1_11target_archE1030ELNS1_3gpuE2ELNS1_3repE0EEENS1_47radix_sort_onesweep_sort_config_static_selectorELNS0_4arch9wavefront6targetE1EEEvSK_, .Lfunc_end1985-_ZN7rocprim17ROCPRIM_400000_NS6detail17trampoline_kernelINS0_14default_configENS1_35radix_sort_onesweep_config_selectorIsNS0_10empty_typeEEEZZNS1_29radix_sort_onesweep_iterationIS3_Lb0EN6thrust23THRUST_200600_302600_NS6detail15normal_iteratorINS9_10device_ptrIsEEEESE_PS5_SF_jNS0_19identity_decomposerENS1_16block_id_wrapperIjLb0EEEEE10hipError_tT1_PNSt15iterator_traitsISK_E10value_typeET2_T3_PNSL_ISQ_E10value_typeET4_T5_PSV_SW_PNS1_23onesweep_lookback_stateEbbT6_jjT7_P12ihipStream_tbENKUlT_T0_SK_SP_E_clISE_SE_SF_SF_EEDaS13_S14_SK_SP_EUlS13_E_NS1_11comp_targetILNS1_3genE8ELNS1_11target_archE1030ELNS1_3gpuE2ELNS1_3repE0EEENS1_47radix_sort_onesweep_sort_config_static_selectorELNS0_4arch9wavefront6targetE1EEEvSK_
                                        ; -- End function
	.section	.AMDGPU.csdata,"",@progbits
; Kernel info:
; codeLenInByte = 0
; NumSgprs: 6
; NumVgprs: 0
; NumAgprs: 0
; TotalNumVgprs: 0
; ScratchSize: 0
; MemoryBound: 0
; FloatMode: 240
; IeeeMode: 1
; LDSByteSize: 0 bytes/workgroup (compile time only)
; SGPRBlocks: 0
; VGPRBlocks: 0
; NumSGPRsForWavesPerEU: 6
; NumVGPRsForWavesPerEU: 1
; AccumOffset: 4
; Occupancy: 8
; WaveLimiterHint : 0
; COMPUTE_PGM_RSRC2:SCRATCH_EN: 0
; COMPUTE_PGM_RSRC2:USER_SGPR: 2
; COMPUTE_PGM_RSRC2:TRAP_HANDLER: 0
; COMPUTE_PGM_RSRC2:TGID_X_EN: 1
; COMPUTE_PGM_RSRC2:TGID_Y_EN: 0
; COMPUTE_PGM_RSRC2:TGID_Z_EN: 0
; COMPUTE_PGM_RSRC2:TIDIG_COMP_CNT: 0
; COMPUTE_PGM_RSRC3_GFX90A:ACCUM_OFFSET: 0
; COMPUTE_PGM_RSRC3_GFX90A:TG_SPLIT: 0
	.section	.text._ZN7rocprim17ROCPRIM_400000_NS6detail17trampoline_kernelINS0_14default_configENS1_35radix_sort_onesweep_config_selectorIsNS0_10empty_typeEEEZZNS1_29radix_sort_onesweep_iterationIS3_Lb0EN6thrust23THRUST_200600_302600_NS6detail15normal_iteratorINS9_10device_ptrIsEEEESE_PS5_SF_jNS0_19identity_decomposerENS1_16block_id_wrapperIjLb0EEEEE10hipError_tT1_PNSt15iterator_traitsISK_E10value_typeET2_T3_PNSL_ISQ_E10value_typeET4_T5_PSV_SW_PNS1_23onesweep_lookback_stateEbbT6_jjT7_P12ihipStream_tbENKUlT_T0_SK_SP_E_clISE_PsSF_SF_EEDaS13_S14_SK_SP_EUlS13_E_NS1_11comp_targetILNS1_3genE0ELNS1_11target_archE4294967295ELNS1_3gpuE0ELNS1_3repE0EEENS1_47radix_sort_onesweep_sort_config_static_selectorELNS0_4arch9wavefront6targetE1EEEvSK_,"axG",@progbits,_ZN7rocprim17ROCPRIM_400000_NS6detail17trampoline_kernelINS0_14default_configENS1_35radix_sort_onesweep_config_selectorIsNS0_10empty_typeEEEZZNS1_29radix_sort_onesweep_iterationIS3_Lb0EN6thrust23THRUST_200600_302600_NS6detail15normal_iteratorINS9_10device_ptrIsEEEESE_PS5_SF_jNS0_19identity_decomposerENS1_16block_id_wrapperIjLb0EEEEE10hipError_tT1_PNSt15iterator_traitsISK_E10value_typeET2_T3_PNSL_ISQ_E10value_typeET4_T5_PSV_SW_PNS1_23onesweep_lookback_stateEbbT6_jjT7_P12ihipStream_tbENKUlT_T0_SK_SP_E_clISE_PsSF_SF_EEDaS13_S14_SK_SP_EUlS13_E_NS1_11comp_targetILNS1_3genE0ELNS1_11target_archE4294967295ELNS1_3gpuE0ELNS1_3repE0EEENS1_47radix_sort_onesweep_sort_config_static_selectorELNS0_4arch9wavefront6targetE1EEEvSK_,comdat
	.protected	_ZN7rocprim17ROCPRIM_400000_NS6detail17trampoline_kernelINS0_14default_configENS1_35radix_sort_onesweep_config_selectorIsNS0_10empty_typeEEEZZNS1_29radix_sort_onesweep_iterationIS3_Lb0EN6thrust23THRUST_200600_302600_NS6detail15normal_iteratorINS9_10device_ptrIsEEEESE_PS5_SF_jNS0_19identity_decomposerENS1_16block_id_wrapperIjLb0EEEEE10hipError_tT1_PNSt15iterator_traitsISK_E10value_typeET2_T3_PNSL_ISQ_E10value_typeET4_T5_PSV_SW_PNS1_23onesweep_lookback_stateEbbT6_jjT7_P12ihipStream_tbENKUlT_T0_SK_SP_E_clISE_PsSF_SF_EEDaS13_S14_SK_SP_EUlS13_E_NS1_11comp_targetILNS1_3genE0ELNS1_11target_archE4294967295ELNS1_3gpuE0ELNS1_3repE0EEENS1_47radix_sort_onesweep_sort_config_static_selectorELNS0_4arch9wavefront6targetE1EEEvSK_ ; -- Begin function _ZN7rocprim17ROCPRIM_400000_NS6detail17trampoline_kernelINS0_14default_configENS1_35radix_sort_onesweep_config_selectorIsNS0_10empty_typeEEEZZNS1_29radix_sort_onesweep_iterationIS3_Lb0EN6thrust23THRUST_200600_302600_NS6detail15normal_iteratorINS9_10device_ptrIsEEEESE_PS5_SF_jNS0_19identity_decomposerENS1_16block_id_wrapperIjLb0EEEEE10hipError_tT1_PNSt15iterator_traitsISK_E10value_typeET2_T3_PNSL_ISQ_E10value_typeET4_T5_PSV_SW_PNS1_23onesweep_lookback_stateEbbT6_jjT7_P12ihipStream_tbENKUlT_T0_SK_SP_E_clISE_PsSF_SF_EEDaS13_S14_SK_SP_EUlS13_E_NS1_11comp_targetILNS1_3genE0ELNS1_11target_archE4294967295ELNS1_3gpuE0ELNS1_3repE0EEENS1_47radix_sort_onesweep_sort_config_static_selectorELNS0_4arch9wavefront6targetE1EEEvSK_
	.globl	_ZN7rocprim17ROCPRIM_400000_NS6detail17trampoline_kernelINS0_14default_configENS1_35radix_sort_onesweep_config_selectorIsNS0_10empty_typeEEEZZNS1_29radix_sort_onesweep_iterationIS3_Lb0EN6thrust23THRUST_200600_302600_NS6detail15normal_iteratorINS9_10device_ptrIsEEEESE_PS5_SF_jNS0_19identity_decomposerENS1_16block_id_wrapperIjLb0EEEEE10hipError_tT1_PNSt15iterator_traitsISK_E10value_typeET2_T3_PNSL_ISQ_E10value_typeET4_T5_PSV_SW_PNS1_23onesweep_lookback_stateEbbT6_jjT7_P12ihipStream_tbENKUlT_T0_SK_SP_E_clISE_PsSF_SF_EEDaS13_S14_SK_SP_EUlS13_E_NS1_11comp_targetILNS1_3genE0ELNS1_11target_archE4294967295ELNS1_3gpuE0ELNS1_3repE0EEENS1_47radix_sort_onesweep_sort_config_static_selectorELNS0_4arch9wavefront6targetE1EEEvSK_
	.p2align	8
	.type	_ZN7rocprim17ROCPRIM_400000_NS6detail17trampoline_kernelINS0_14default_configENS1_35radix_sort_onesweep_config_selectorIsNS0_10empty_typeEEEZZNS1_29radix_sort_onesweep_iterationIS3_Lb0EN6thrust23THRUST_200600_302600_NS6detail15normal_iteratorINS9_10device_ptrIsEEEESE_PS5_SF_jNS0_19identity_decomposerENS1_16block_id_wrapperIjLb0EEEEE10hipError_tT1_PNSt15iterator_traitsISK_E10value_typeET2_T3_PNSL_ISQ_E10value_typeET4_T5_PSV_SW_PNS1_23onesweep_lookback_stateEbbT6_jjT7_P12ihipStream_tbENKUlT_T0_SK_SP_E_clISE_PsSF_SF_EEDaS13_S14_SK_SP_EUlS13_E_NS1_11comp_targetILNS1_3genE0ELNS1_11target_archE4294967295ELNS1_3gpuE0ELNS1_3repE0EEENS1_47radix_sort_onesweep_sort_config_static_selectorELNS0_4arch9wavefront6targetE1EEEvSK_,@function
_ZN7rocprim17ROCPRIM_400000_NS6detail17trampoline_kernelINS0_14default_configENS1_35radix_sort_onesweep_config_selectorIsNS0_10empty_typeEEEZZNS1_29radix_sort_onesweep_iterationIS3_Lb0EN6thrust23THRUST_200600_302600_NS6detail15normal_iteratorINS9_10device_ptrIsEEEESE_PS5_SF_jNS0_19identity_decomposerENS1_16block_id_wrapperIjLb0EEEEE10hipError_tT1_PNSt15iterator_traitsISK_E10value_typeET2_T3_PNSL_ISQ_E10value_typeET4_T5_PSV_SW_PNS1_23onesweep_lookback_stateEbbT6_jjT7_P12ihipStream_tbENKUlT_T0_SK_SP_E_clISE_PsSF_SF_EEDaS13_S14_SK_SP_EUlS13_E_NS1_11comp_targetILNS1_3genE0ELNS1_11target_archE4294967295ELNS1_3gpuE0ELNS1_3repE0EEENS1_47radix_sort_onesweep_sort_config_static_selectorELNS0_4arch9wavefront6targetE1EEEvSK_: ; @_ZN7rocprim17ROCPRIM_400000_NS6detail17trampoline_kernelINS0_14default_configENS1_35radix_sort_onesweep_config_selectorIsNS0_10empty_typeEEEZZNS1_29radix_sort_onesweep_iterationIS3_Lb0EN6thrust23THRUST_200600_302600_NS6detail15normal_iteratorINS9_10device_ptrIsEEEESE_PS5_SF_jNS0_19identity_decomposerENS1_16block_id_wrapperIjLb0EEEEE10hipError_tT1_PNSt15iterator_traitsISK_E10value_typeET2_T3_PNSL_ISQ_E10value_typeET4_T5_PSV_SW_PNS1_23onesweep_lookback_stateEbbT6_jjT7_P12ihipStream_tbENKUlT_T0_SK_SP_E_clISE_PsSF_SF_EEDaS13_S14_SK_SP_EUlS13_E_NS1_11comp_targetILNS1_3genE0ELNS1_11target_archE4294967295ELNS1_3gpuE0ELNS1_3repE0EEENS1_47radix_sort_onesweep_sort_config_static_selectorELNS0_4arch9wavefront6targetE1EEEvSK_
; %bb.0:
	.section	.rodata,"a",@progbits
	.p2align	6, 0x0
	.amdhsa_kernel _ZN7rocprim17ROCPRIM_400000_NS6detail17trampoline_kernelINS0_14default_configENS1_35radix_sort_onesweep_config_selectorIsNS0_10empty_typeEEEZZNS1_29radix_sort_onesweep_iterationIS3_Lb0EN6thrust23THRUST_200600_302600_NS6detail15normal_iteratorINS9_10device_ptrIsEEEESE_PS5_SF_jNS0_19identity_decomposerENS1_16block_id_wrapperIjLb0EEEEE10hipError_tT1_PNSt15iterator_traitsISK_E10value_typeET2_T3_PNSL_ISQ_E10value_typeET4_T5_PSV_SW_PNS1_23onesweep_lookback_stateEbbT6_jjT7_P12ihipStream_tbENKUlT_T0_SK_SP_E_clISE_PsSF_SF_EEDaS13_S14_SK_SP_EUlS13_E_NS1_11comp_targetILNS1_3genE0ELNS1_11target_archE4294967295ELNS1_3gpuE0ELNS1_3repE0EEENS1_47radix_sort_onesweep_sort_config_static_selectorELNS0_4arch9wavefront6targetE1EEEvSK_
		.amdhsa_group_segment_fixed_size 0
		.amdhsa_private_segment_fixed_size 0
		.amdhsa_kernarg_size 88
		.amdhsa_user_sgpr_count 2
		.amdhsa_user_sgpr_dispatch_ptr 0
		.amdhsa_user_sgpr_queue_ptr 0
		.amdhsa_user_sgpr_kernarg_segment_ptr 1
		.amdhsa_user_sgpr_dispatch_id 0
		.amdhsa_user_sgpr_kernarg_preload_length 0
		.amdhsa_user_sgpr_kernarg_preload_offset 0
		.amdhsa_user_sgpr_private_segment_size 0
		.amdhsa_uses_dynamic_stack 0
		.amdhsa_enable_private_segment 0
		.amdhsa_system_sgpr_workgroup_id_x 1
		.amdhsa_system_sgpr_workgroup_id_y 0
		.amdhsa_system_sgpr_workgroup_id_z 0
		.amdhsa_system_sgpr_workgroup_info 0
		.amdhsa_system_vgpr_workitem_id 0
		.amdhsa_next_free_vgpr 1
		.amdhsa_next_free_sgpr 0
		.amdhsa_accum_offset 4
		.amdhsa_reserve_vcc 0
		.amdhsa_float_round_mode_32 0
		.amdhsa_float_round_mode_16_64 0
		.amdhsa_float_denorm_mode_32 3
		.amdhsa_float_denorm_mode_16_64 3
		.amdhsa_dx10_clamp 1
		.amdhsa_ieee_mode 1
		.amdhsa_fp16_overflow 0
		.amdhsa_tg_split 0
		.amdhsa_exception_fp_ieee_invalid_op 0
		.amdhsa_exception_fp_denorm_src 0
		.amdhsa_exception_fp_ieee_div_zero 0
		.amdhsa_exception_fp_ieee_overflow 0
		.amdhsa_exception_fp_ieee_underflow 0
		.amdhsa_exception_fp_ieee_inexact 0
		.amdhsa_exception_int_div_zero 0
	.end_amdhsa_kernel
	.section	.text._ZN7rocprim17ROCPRIM_400000_NS6detail17trampoline_kernelINS0_14default_configENS1_35radix_sort_onesweep_config_selectorIsNS0_10empty_typeEEEZZNS1_29radix_sort_onesweep_iterationIS3_Lb0EN6thrust23THRUST_200600_302600_NS6detail15normal_iteratorINS9_10device_ptrIsEEEESE_PS5_SF_jNS0_19identity_decomposerENS1_16block_id_wrapperIjLb0EEEEE10hipError_tT1_PNSt15iterator_traitsISK_E10value_typeET2_T3_PNSL_ISQ_E10value_typeET4_T5_PSV_SW_PNS1_23onesweep_lookback_stateEbbT6_jjT7_P12ihipStream_tbENKUlT_T0_SK_SP_E_clISE_PsSF_SF_EEDaS13_S14_SK_SP_EUlS13_E_NS1_11comp_targetILNS1_3genE0ELNS1_11target_archE4294967295ELNS1_3gpuE0ELNS1_3repE0EEENS1_47radix_sort_onesweep_sort_config_static_selectorELNS0_4arch9wavefront6targetE1EEEvSK_,"axG",@progbits,_ZN7rocprim17ROCPRIM_400000_NS6detail17trampoline_kernelINS0_14default_configENS1_35radix_sort_onesweep_config_selectorIsNS0_10empty_typeEEEZZNS1_29radix_sort_onesweep_iterationIS3_Lb0EN6thrust23THRUST_200600_302600_NS6detail15normal_iteratorINS9_10device_ptrIsEEEESE_PS5_SF_jNS0_19identity_decomposerENS1_16block_id_wrapperIjLb0EEEEE10hipError_tT1_PNSt15iterator_traitsISK_E10value_typeET2_T3_PNSL_ISQ_E10value_typeET4_T5_PSV_SW_PNS1_23onesweep_lookback_stateEbbT6_jjT7_P12ihipStream_tbENKUlT_T0_SK_SP_E_clISE_PsSF_SF_EEDaS13_S14_SK_SP_EUlS13_E_NS1_11comp_targetILNS1_3genE0ELNS1_11target_archE4294967295ELNS1_3gpuE0ELNS1_3repE0EEENS1_47radix_sort_onesweep_sort_config_static_selectorELNS0_4arch9wavefront6targetE1EEEvSK_,comdat
.Lfunc_end1986:
	.size	_ZN7rocprim17ROCPRIM_400000_NS6detail17trampoline_kernelINS0_14default_configENS1_35radix_sort_onesweep_config_selectorIsNS0_10empty_typeEEEZZNS1_29radix_sort_onesweep_iterationIS3_Lb0EN6thrust23THRUST_200600_302600_NS6detail15normal_iteratorINS9_10device_ptrIsEEEESE_PS5_SF_jNS0_19identity_decomposerENS1_16block_id_wrapperIjLb0EEEEE10hipError_tT1_PNSt15iterator_traitsISK_E10value_typeET2_T3_PNSL_ISQ_E10value_typeET4_T5_PSV_SW_PNS1_23onesweep_lookback_stateEbbT6_jjT7_P12ihipStream_tbENKUlT_T0_SK_SP_E_clISE_PsSF_SF_EEDaS13_S14_SK_SP_EUlS13_E_NS1_11comp_targetILNS1_3genE0ELNS1_11target_archE4294967295ELNS1_3gpuE0ELNS1_3repE0EEENS1_47radix_sort_onesweep_sort_config_static_selectorELNS0_4arch9wavefront6targetE1EEEvSK_, .Lfunc_end1986-_ZN7rocprim17ROCPRIM_400000_NS6detail17trampoline_kernelINS0_14default_configENS1_35radix_sort_onesweep_config_selectorIsNS0_10empty_typeEEEZZNS1_29radix_sort_onesweep_iterationIS3_Lb0EN6thrust23THRUST_200600_302600_NS6detail15normal_iteratorINS9_10device_ptrIsEEEESE_PS5_SF_jNS0_19identity_decomposerENS1_16block_id_wrapperIjLb0EEEEE10hipError_tT1_PNSt15iterator_traitsISK_E10value_typeET2_T3_PNSL_ISQ_E10value_typeET4_T5_PSV_SW_PNS1_23onesweep_lookback_stateEbbT6_jjT7_P12ihipStream_tbENKUlT_T0_SK_SP_E_clISE_PsSF_SF_EEDaS13_S14_SK_SP_EUlS13_E_NS1_11comp_targetILNS1_3genE0ELNS1_11target_archE4294967295ELNS1_3gpuE0ELNS1_3repE0EEENS1_47radix_sort_onesweep_sort_config_static_selectorELNS0_4arch9wavefront6targetE1EEEvSK_
                                        ; -- End function
	.section	.AMDGPU.csdata,"",@progbits
; Kernel info:
; codeLenInByte = 0
; NumSgprs: 6
; NumVgprs: 0
; NumAgprs: 0
; TotalNumVgprs: 0
; ScratchSize: 0
; MemoryBound: 0
; FloatMode: 240
; IeeeMode: 1
; LDSByteSize: 0 bytes/workgroup (compile time only)
; SGPRBlocks: 0
; VGPRBlocks: 0
; NumSGPRsForWavesPerEU: 6
; NumVGPRsForWavesPerEU: 1
; AccumOffset: 4
; Occupancy: 8
; WaveLimiterHint : 0
; COMPUTE_PGM_RSRC2:SCRATCH_EN: 0
; COMPUTE_PGM_RSRC2:USER_SGPR: 2
; COMPUTE_PGM_RSRC2:TRAP_HANDLER: 0
; COMPUTE_PGM_RSRC2:TGID_X_EN: 1
; COMPUTE_PGM_RSRC2:TGID_Y_EN: 0
; COMPUTE_PGM_RSRC2:TGID_Z_EN: 0
; COMPUTE_PGM_RSRC2:TIDIG_COMP_CNT: 0
; COMPUTE_PGM_RSRC3_GFX90A:ACCUM_OFFSET: 0
; COMPUTE_PGM_RSRC3_GFX90A:TG_SPLIT: 0
	.section	.text._ZN7rocprim17ROCPRIM_400000_NS6detail17trampoline_kernelINS0_14default_configENS1_35radix_sort_onesweep_config_selectorIsNS0_10empty_typeEEEZZNS1_29radix_sort_onesweep_iterationIS3_Lb0EN6thrust23THRUST_200600_302600_NS6detail15normal_iteratorINS9_10device_ptrIsEEEESE_PS5_SF_jNS0_19identity_decomposerENS1_16block_id_wrapperIjLb0EEEEE10hipError_tT1_PNSt15iterator_traitsISK_E10value_typeET2_T3_PNSL_ISQ_E10value_typeET4_T5_PSV_SW_PNS1_23onesweep_lookback_stateEbbT6_jjT7_P12ihipStream_tbENKUlT_T0_SK_SP_E_clISE_PsSF_SF_EEDaS13_S14_SK_SP_EUlS13_E_NS1_11comp_targetILNS1_3genE6ELNS1_11target_archE950ELNS1_3gpuE13ELNS1_3repE0EEENS1_47radix_sort_onesweep_sort_config_static_selectorELNS0_4arch9wavefront6targetE1EEEvSK_,"axG",@progbits,_ZN7rocprim17ROCPRIM_400000_NS6detail17trampoline_kernelINS0_14default_configENS1_35radix_sort_onesweep_config_selectorIsNS0_10empty_typeEEEZZNS1_29radix_sort_onesweep_iterationIS3_Lb0EN6thrust23THRUST_200600_302600_NS6detail15normal_iteratorINS9_10device_ptrIsEEEESE_PS5_SF_jNS0_19identity_decomposerENS1_16block_id_wrapperIjLb0EEEEE10hipError_tT1_PNSt15iterator_traitsISK_E10value_typeET2_T3_PNSL_ISQ_E10value_typeET4_T5_PSV_SW_PNS1_23onesweep_lookback_stateEbbT6_jjT7_P12ihipStream_tbENKUlT_T0_SK_SP_E_clISE_PsSF_SF_EEDaS13_S14_SK_SP_EUlS13_E_NS1_11comp_targetILNS1_3genE6ELNS1_11target_archE950ELNS1_3gpuE13ELNS1_3repE0EEENS1_47radix_sort_onesweep_sort_config_static_selectorELNS0_4arch9wavefront6targetE1EEEvSK_,comdat
	.protected	_ZN7rocprim17ROCPRIM_400000_NS6detail17trampoline_kernelINS0_14default_configENS1_35radix_sort_onesweep_config_selectorIsNS0_10empty_typeEEEZZNS1_29radix_sort_onesweep_iterationIS3_Lb0EN6thrust23THRUST_200600_302600_NS6detail15normal_iteratorINS9_10device_ptrIsEEEESE_PS5_SF_jNS0_19identity_decomposerENS1_16block_id_wrapperIjLb0EEEEE10hipError_tT1_PNSt15iterator_traitsISK_E10value_typeET2_T3_PNSL_ISQ_E10value_typeET4_T5_PSV_SW_PNS1_23onesweep_lookback_stateEbbT6_jjT7_P12ihipStream_tbENKUlT_T0_SK_SP_E_clISE_PsSF_SF_EEDaS13_S14_SK_SP_EUlS13_E_NS1_11comp_targetILNS1_3genE6ELNS1_11target_archE950ELNS1_3gpuE13ELNS1_3repE0EEENS1_47radix_sort_onesweep_sort_config_static_selectorELNS0_4arch9wavefront6targetE1EEEvSK_ ; -- Begin function _ZN7rocprim17ROCPRIM_400000_NS6detail17trampoline_kernelINS0_14default_configENS1_35radix_sort_onesweep_config_selectorIsNS0_10empty_typeEEEZZNS1_29radix_sort_onesweep_iterationIS3_Lb0EN6thrust23THRUST_200600_302600_NS6detail15normal_iteratorINS9_10device_ptrIsEEEESE_PS5_SF_jNS0_19identity_decomposerENS1_16block_id_wrapperIjLb0EEEEE10hipError_tT1_PNSt15iterator_traitsISK_E10value_typeET2_T3_PNSL_ISQ_E10value_typeET4_T5_PSV_SW_PNS1_23onesweep_lookback_stateEbbT6_jjT7_P12ihipStream_tbENKUlT_T0_SK_SP_E_clISE_PsSF_SF_EEDaS13_S14_SK_SP_EUlS13_E_NS1_11comp_targetILNS1_3genE6ELNS1_11target_archE950ELNS1_3gpuE13ELNS1_3repE0EEENS1_47radix_sort_onesweep_sort_config_static_selectorELNS0_4arch9wavefront6targetE1EEEvSK_
	.globl	_ZN7rocprim17ROCPRIM_400000_NS6detail17trampoline_kernelINS0_14default_configENS1_35radix_sort_onesweep_config_selectorIsNS0_10empty_typeEEEZZNS1_29radix_sort_onesweep_iterationIS3_Lb0EN6thrust23THRUST_200600_302600_NS6detail15normal_iteratorINS9_10device_ptrIsEEEESE_PS5_SF_jNS0_19identity_decomposerENS1_16block_id_wrapperIjLb0EEEEE10hipError_tT1_PNSt15iterator_traitsISK_E10value_typeET2_T3_PNSL_ISQ_E10value_typeET4_T5_PSV_SW_PNS1_23onesweep_lookback_stateEbbT6_jjT7_P12ihipStream_tbENKUlT_T0_SK_SP_E_clISE_PsSF_SF_EEDaS13_S14_SK_SP_EUlS13_E_NS1_11comp_targetILNS1_3genE6ELNS1_11target_archE950ELNS1_3gpuE13ELNS1_3repE0EEENS1_47radix_sort_onesweep_sort_config_static_selectorELNS0_4arch9wavefront6targetE1EEEvSK_
	.p2align	8
	.type	_ZN7rocprim17ROCPRIM_400000_NS6detail17trampoline_kernelINS0_14default_configENS1_35radix_sort_onesweep_config_selectorIsNS0_10empty_typeEEEZZNS1_29radix_sort_onesweep_iterationIS3_Lb0EN6thrust23THRUST_200600_302600_NS6detail15normal_iteratorINS9_10device_ptrIsEEEESE_PS5_SF_jNS0_19identity_decomposerENS1_16block_id_wrapperIjLb0EEEEE10hipError_tT1_PNSt15iterator_traitsISK_E10value_typeET2_T3_PNSL_ISQ_E10value_typeET4_T5_PSV_SW_PNS1_23onesweep_lookback_stateEbbT6_jjT7_P12ihipStream_tbENKUlT_T0_SK_SP_E_clISE_PsSF_SF_EEDaS13_S14_SK_SP_EUlS13_E_NS1_11comp_targetILNS1_3genE6ELNS1_11target_archE950ELNS1_3gpuE13ELNS1_3repE0EEENS1_47radix_sort_onesweep_sort_config_static_selectorELNS0_4arch9wavefront6targetE1EEEvSK_,@function
_ZN7rocprim17ROCPRIM_400000_NS6detail17trampoline_kernelINS0_14default_configENS1_35radix_sort_onesweep_config_selectorIsNS0_10empty_typeEEEZZNS1_29radix_sort_onesweep_iterationIS3_Lb0EN6thrust23THRUST_200600_302600_NS6detail15normal_iteratorINS9_10device_ptrIsEEEESE_PS5_SF_jNS0_19identity_decomposerENS1_16block_id_wrapperIjLb0EEEEE10hipError_tT1_PNSt15iterator_traitsISK_E10value_typeET2_T3_PNSL_ISQ_E10value_typeET4_T5_PSV_SW_PNS1_23onesweep_lookback_stateEbbT6_jjT7_P12ihipStream_tbENKUlT_T0_SK_SP_E_clISE_PsSF_SF_EEDaS13_S14_SK_SP_EUlS13_E_NS1_11comp_targetILNS1_3genE6ELNS1_11target_archE950ELNS1_3gpuE13ELNS1_3repE0EEENS1_47radix_sort_onesweep_sort_config_static_selectorELNS0_4arch9wavefront6targetE1EEEvSK_: ; @_ZN7rocprim17ROCPRIM_400000_NS6detail17trampoline_kernelINS0_14default_configENS1_35radix_sort_onesweep_config_selectorIsNS0_10empty_typeEEEZZNS1_29radix_sort_onesweep_iterationIS3_Lb0EN6thrust23THRUST_200600_302600_NS6detail15normal_iteratorINS9_10device_ptrIsEEEESE_PS5_SF_jNS0_19identity_decomposerENS1_16block_id_wrapperIjLb0EEEEE10hipError_tT1_PNSt15iterator_traitsISK_E10value_typeET2_T3_PNSL_ISQ_E10value_typeET4_T5_PSV_SW_PNS1_23onesweep_lookback_stateEbbT6_jjT7_P12ihipStream_tbENKUlT_T0_SK_SP_E_clISE_PsSF_SF_EEDaS13_S14_SK_SP_EUlS13_E_NS1_11comp_targetILNS1_3genE6ELNS1_11target_archE950ELNS1_3gpuE13ELNS1_3repE0EEENS1_47radix_sort_onesweep_sort_config_static_selectorELNS0_4arch9wavefront6targetE1EEEvSK_
; %bb.0:
	.section	.rodata,"a",@progbits
	.p2align	6, 0x0
	.amdhsa_kernel _ZN7rocprim17ROCPRIM_400000_NS6detail17trampoline_kernelINS0_14default_configENS1_35radix_sort_onesweep_config_selectorIsNS0_10empty_typeEEEZZNS1_29radix_sort_onesweep_iterationIS3_Lb0EN6thrust23THRUST_200600_302600_NS6detail15normal_iteratorINS9_10device_ptrIsEEEESE_PS5_SF_jNS0_19identity_decomposerENS1_16block_id_wrapperIjLb0EEEEE10hipError_tT1_PNSt15iterator_traitsISK_E10value_typeET2_T3_PNSL_ISQ_E10value_typeET4_T5_PSV_SW_PNS1_23onesweep_lookback_stateEbbT6_jjT7_P12ihipStream_tbENKUlT_T0_SK_SP_E_clISE_PsSF_SF_EEDaS13_S14_SK_SP_EUlS13_E_NS1_11comp_targetILNS1_3genE6ELNS1_11target_archE950ELNS1_3gpuE13ELNS1_3repE0EEENS1_47radix_sort_onesweep_sort_config_static_selectorELNS0_4arch9wavefront6targetE1EEEvSK_
		.amdhsa_group_segment_fixed_size 0
		.amdhsa_private_segment_fixed_size 0
		.amdhsa_kernarg_size 88
		.amdhsa_user_sgpr_count 2
		.amdhsa_user_sgpr_dispatch_ptr 0
		.amdhsa_user_sgpr_queue_ptr 0
		.amdhsa_user_sgpr_kernarg_segment_ptr 1
		.amdhsa_user_sgpr_dispatch_id 0
		.amdhsa_user_sgpr_kernarg_preload_length 0
		.amdhsa_user_sgpr_kernarg_preload_offset 0
		.amdhsa_user_sgpr_private_segment_size 0
		.amdhsa_uses_dynamic_stack 0
		.amdhsa_enable_private_segment 0
		.amdhsa_system_sgpr_workgroup_id_x 1
		.amdhsa_system_sgpr_workgroup_id_y 0
		.amdhsa_system_sgpr_workgroup_id_z 0
		.amdhsa_system_sgpr_workgroup_info 0
		.amdhsa_system_vgpr_workitem_id 0
		.amdhsa_next_free_vgpr 1
		.amdhsa_next_free_sgpr 0
		.amdhsa_accum_offset 4
		.amdhsa_reserve_vcc 0
		.amdhsa_float_round_mode_32 0
		.amdhsa_float_round_mode_16_64 0
		.amdhsa_float_denorm_mode_32 3
		.amdhsa_float_denorm_mode_16_64 3
		.amdhsa_dx10_clamp 1
		.amdhsa_ieee_mode 1
		.amdhsa_fp16_overflow 0
		.amdhsa_tg_split 0
		.amdhsa_exception_fp_ieee_invalid_op 0
		.amdhsa_exception_fp_denorm_src 0
		.amdhsa_exception_fp_ieee_div_zero 0
		.amdhsa_exception_fp_ieee_overflow 0
		.amdhsa_exception_fp_ieee_underflow 0
		.amdhsa_exception_fp_ieee_inexact 0
		.amdhsa_exception_int_div_zero 0
	.end_amdhsa_kernel
	.section	.text._ZN7rocprim17ROCPRIM_400000_NS6detail17trampoline_kernelINS0_14default_configENS1_35radix_sort_onesweep_config_selectorIsNS0_10empty_typeEEEZZNS1_29radix_sort_onesweep_iterationIS3_Lb0EN6thrust23THRUST_200600_302600_NS6detail15normal_iteratorINS9_10device_ptrIsEEEESE_PS5_SF_jNS0_19identity_decomposerENS1_16block_id_wrapperIjLb0EEEEE10hipError_tT1_PNSt15iterator_traitsISK_E10value_typeET2_T3_PNSL_ISQ_E10value_typeET4_T5_PSV_SW_PNS1_23onesweep_lookback_stateEbbT6_jjT7_P12ihipStream_tbENKUlT_T0_SK_SP_E_clISE_PsSF_SF_EEDaS13_S14_SK_SP_EUlS13_E_NS1_11comp_targetILNS1_3genE6ELNS1_11target_archE950ELNS1_3gpuE13ELNS1_3repE0EEENS1_47radix_sort_onesweep_sort_config_static_selectorELNS0_4arch9wavefront6targetE1EEEvSK_,"axG",@progbits,_ZN7rocprim17ROCPRIM_400000_NS6detail17trampoline_kernelINS0_14default_configENS1_35radix_sort_onesweep_config_selectorIsNS0_10empty_typeEEEZZNS1_29radix_sort_onesweep_iterationIS3_Lb0EN6thrust23THRUST_200600_302600_NS6detail15normal_iteratorINS9_10device_ptrIsEEEESE_PS5_SF_jNS0_19identity_decomposerENS1_16block_id_wrapperIjLb0EEEEE10hipError_tT1_PNSt15iterator_traitsISK_E10value_typeET2_T3_PNSL_ISQ_E10value_typeET4_T5_PSV_SW_PNS1_23onesweep_lookback_stateEbbT6_jjT7_P12ihipStream_tbENKUlT_T0_SK_SP_E_clISE_PsSF_SF_EEDaS13_S14_SK_SP_EUlS13_E_NS1_11comp_targetILNS1_3genE6ELNS1_11target_archE950ELNS1_3gpuE13ELNS1_3repE0EEENS1_47radix_sort_onesweep_sort_config_static_selectorELNS0_4arch9wavefront6targetE1EEEvSK_,comdat
.Lfunc_end1987:
	.size	_ZN7rocprim17ROCPRIM_400000_NS6detail17trampoline_kernelINS0_14default_configENS1_35radix_sort_onesweep_config_selectorIsNS0_10empty_typeEEEZZNS1_29radix_sort_onesweep_iterationIS3_Lb0EN6thrust23THRUST_200600_302600_NS6detail15normal_iteratorINS9_10device_ptrIsEEEESE_PS5_SF_jNS0_19identity_decomposerENS1_16block_id_wrapperIjLb0EEEEE10hipError_tT1_PNSt15iterator_traitsISK_E10value_typeET2_T3_PNSL_ISQ_E10value_typeET4_T5_PSV_SW_PNS1_23onesweep_lookback_stateEbbT6_jjT7_P12ihipStream_tbENKUlT_T0_SK_SP_E_clISE_PsSF_SF_EEDaS13_S14_SK_SP_EUlS13_E_NS1_11comp_targetILNS1_3genE6ELNS1_11target_archE950ELNS1_3gpuE13ELNS1_3repE0EEENS1_47radix_sort_onesweep_sort_config_static_selectorELNS0_4arch9wavefront6targetE1EEEvSK_, .Lfunc_end1987-_ZN7rocprim17ROCPRIM_400000_NS6detail17trampoline_kernelINS0_14default_configENS1_35radix_sort_onesweep_config_selectorIsNS0_10empty_typeEEEZZNS1_29radix_sort_onesweep_iterationIS3_Lb0EN6thrust23THRUST_200600_302600_NS6detail15normal_iteratorINS9_10device_ptrIsEEEESE_PS5_SF_jNS0_19identity_decomposerENS1_16block_id_wrapperIjLb0EEEEE10hipError_tT1_PNSt15iterator_traitsISK_E10value_typeET2_T3_PNSL_ISQ_E10value_typeET4_T5_PSV_SW_PNS1_23onesweep_lookback_stateEbbT6_jjT7_P12ihipStream_tbENKUlT_T0_SK_SP_E_clISE_PsSF_SF_EEDaS13_S14_SK_SP_EUlS13_E_NS1_11comp_targetILNS1_3genE6ELNS1_11target_archE950ELNS1_3gpuE13ELNS1_3repE0EEENS1_47radix_sort_onesweep_sort_config_static_selectorELNS0_4arch9wavefront6targetE1EEEvSK_
                                        ; -- End function
	.section	.AMDGPU.csdata,"",@progbits
; Kernel info:
; codeLenInByte = 0
; NumSgprs: 6
; NumVgprs: 0
; NumAgprs: 0
; TotalNumVgprs: 0
; ScratchSize: 0
; MemoryBound: 0
; FloatMode: 240
; IeeeMode: 1
; LDSByteSize: 0 bytes/workgroup (compile time only)
; SGPRBlocks: 0
; VGPRBlocks: 0
; NumSGPRsForWavesPerEU: 6
; NumVGPRsForWavesPerEU: 1
; AccumOffset: 4
; Occupancy: 8
; WaveLimiterHint : 0
; COMPUTE_PGM_RSRC2:SCRATCH_EN: 0
; COMPUTE_PGM_RSRC2:USER_SGPR: 2
; COMPUTE_PGM_RSRC2:TRAP_HANDLER: 0
; COMPUTE_PGM_RSRC2:TGID_X_EN: 1
; COMPUTE_PGM_RSRC2:TGID_Y_EN: 0
; COMPUTE_PGM_RSRC2:TGID_Z_EN: 0
; COMPUTE_PGM_RSRC2:TIDIG_COMP_CNT: 0
; COMPUTE_PGM_RSRC3_GFX90A:ACCUM_OFFSET: 0
; COMPUTE_PGM_RSRC3_GFX90A:TG_SPLIT: 0
	.section	.text._ZN7rocprim17ROCPRIM_400000_NS6detail17trampoline_kernelINS0_14default_configENS1_35radix_sort_onesweep_config_selectorIsNS0_10empty_typeEEEZZNS1_29radix_sort_onesweep_iterationIS3_Lb0EN6thrust23THRUST_200600_302600_NS6detail15normal_iteratorINS9_10device_ptrIsEEEESE_PS5_SF_jNS0_19identity_decomposerENS1_16block_id_wrapperIjLb0EEEEE10hipError_tT1_PNSt15iterator_traitsISK_E10value_typeET2_T3_PNSL_ISQ_E10value_typeET4_T5_PSV_SW_PNS1_23onesweep_lookback_stateEbbT6_jjT7_P12ihipStream_tbENKUlT_T0_SK_SP_E_clISE_PsSF_SF_EEDaS13_S14_SK_SP_EUlS13_E_NS1_11comp_targetILNS1_3genE5ELNS1_11target_archE942ELNS1_3gpuE9ELNS1_3repE0EEENS1_47radix_sort_onesweep_sort_config_static_selectorELNS0_4arch9wavefront6targetE1EEEvSK_,"axG",@progbits,_ZN7rocprim17ROCPRIM_400000_NS6detail17trampoline_kernelINS0_14default_configENS1_35radix_sort_onesweep_config_selectorIsNS0_10empty_typeEEEZZNS1_29radix_sort_onesweep_iterationIS3_Lb0EN6thrust23THRUST_200600_302600_NS6detail15normal_iteratorINS9_10device_ptrIsEEEESE_PS5_SF_jNS0_19identity_decomposerENS1_16block_id_wrapperIjLb0EEEEE10hipError_tT1_PNSt15iterator_traitsISK_E10value_typeET2_T3_PNSL_ISQ_E10value_typeET4_T5_PSV_SW_PNS1_23onesweep_lookback_stateEbbT6_jjT7_P12ihipStream_tbENKUlT_T0_SK_SP_E_clISE_PsSF_SF_EEDaS13_S14_SK_SP_EUlS13_E_NS1_11comp_targetILNS1_3genE5ELNS1_11target_archE942ELNS1_3gpuE9ELNS1_3repE0EEENS1_47radix_sort_onesweep_sort_config_static_selectorELNS0_4arch9wavefront6targetE1EEEvSK_,comdat
	.protected	_ZN7rocprim17ROCPRIM_400000_NS6detail17trampoline_kernelINS0_14default_configENS1_35radix_sort_onesweep_config_selectorIsNS0_10empty_typeEEEZZNS1_29radix_sort_onesweep_iterationIS3_Lb0EN6thrust23THRUST_200600_302600_NS6detail15normal_iteratorINS9_10device_ptrIsEEEESE_PS5_SF_jNS0_19identity_decomposerENS1_16block_id_wrapperIjLb0EEEEE10hipError_tT1_PNSt15iterator_traitsISK_E10value_typeET2_T3_PNSL_ISQ_E10value_typeET4_T5_PSV_SW_PNS1_23onesweep_lookback_stateEbbT6_jjT7_P12ihipStream_tbENKUlT_T0_SK_SP_E_clISE_PsSF_SF_EEDaS13_S14_SK_SP_EUlS13_E_NS1_11comp_targetILNS1_3genE5ELNS1_11target_archE942ELNS1_3gpuE9ELNS1_3repE0EEENS1_47radix_sort_onesweep_sort_config_static_selectorELNS0_4arch9wavefront6targetE1EEEvSK_ ; -- Begin function _ZN7rocprim17ROCPRIM_400000_NS6detail17trampoline_kernelINS0_14default_configENS1_35radix_sort_onesweep_config_selectorIsNS0_10empty_typeEEEZZNS1_29radix_sort_onesweep_iterationIS3_Lb0EN6thrust23THRUST_200600_302600_NS6detail15normal_iteratorINS9_10device_ptrIsEEEESE_PS5_SF_jNS0_19identity_decomposerENS1_16block_id_wrapperIjLb0EEEEE10hipError_tT1_PNSt15iterator_traitsISK_E10value_typeET2_T3_PNSL_ISQ_E10value_typeET4_T5_PSV_SW_PNS1_23onesweep_lookback_stateEbbT6_jjT7_P12ihipStream_tbENKUlT_T0_SK_SP_E_clISE_PsSF_SF_EEDaS13_S14_SK_SP_EUlS13_E_NS1_11comp_targetILNS1_3genE5ELNS1_11target_archE942ELNS1_3gpuE9ELNS1_3repE0EEENS1_47radix_sort_onesweep_sort_config_static_selectorELNS0_4arch9wavefront6targetE1EEEvSK_
	.globl	_ZN7rocprim17ROCPRIM_400000_NS6detail17trampoline_kernelINS0_14default_configENS1_35radix_sort_onesweep_config_selectorIsNS0_10empty_typeEEEZZNS1_29radix_sort_onesweep_iterationIS3_Lb0EN6thrust23THRUST_200600_302600_NS6detail15normal_iteratorINS9_10device_ptrIsEEEESE_PS5_SF_jNS0_19identity_decomposerENS1_16block_id_wrapperIjLb0EEEEE10hipError_tT1_PNSt15iterator_traitsISK_E10value_typeET2_T3_PNSL_ISQ_E10value_typeET4_T5_PSV_SW_PNS1_23onesweep_lookback_stateEbbT6_jjT7_P12ihipStream_tbENKUlT_T0_SK_SP_E_clISE_PsSF_SF_EEDaS13_S14_SK_SP_EUlS13_E_NS1_11comp_targetILNS1_3genE5ELNS1_11target_archE942ELNS1_3gpuE9ELNS1_3repE0EEENS1_47radix_sort_onesweep_sort_config_static_selectorELNS0_4arch9wavefront6targetE1EEEvSK_
	.p2align	8
	.type	_ZN7rocprim17ROCPRIM_400000_NS6detail17trampoline_kernelINS0_14default_configENS1_35radix_sort_onesweep_config_selectorIsNS0_10empty_typeEEEZZNS1_29radix_sort_onesweep_iterationIS3_Lb0EN6thrust23THRUST_200600_302600_NS6detail15normal_iteratorINS9_10device_ptrIsEEEESE_PS5_SF_jNS0_19identity_decomposerENS1_16block_id_wrapperIjLb0EEEEE10hipError_tT1_PNSt15iterator_traitsISK_E10value_typeET2_T3_PNSL_ISQ_E10value_typeET4_T5_PSV_SW_PNS1_23onesweep_lookback_stateEbbT6_jjT7_P12ihipStream_tbENKUlT_T0_SK_SP_E_clISE_PsSF_SF_EEDaS13_S14_SK_SP_EUlS13_E_NS1_11comp_targetILNS1_3genE5ELNS1_11target_archE942ELNS1_3gpuE9ELNS1_3repE0EEENS1_47radix_sort_onesweep_sort_config_static_selectorELNS0_4arch9wavefront6targetE1EEEvSK_,@function
_ZN7rocprim17ROCPRIM_400000_NS6detail17trampoline_kernelINS0_14default_configENS1_35radix_sort_onesweep_config_selectorIsNS0_10empty_typeEEEZZNS1_29radix_sort_onesweep_iterationIS3_Lb0EN6thrust23THRUST_200600_302600_NS6detail15normal_iteratorINS9_10device_ptrIsEEEESE_PS5_SF_jNS0_19identity_decomposerENS1_16block_id_wrapperIjLb0EEEEE10hipError_tT1_PNSt15iterator_traitsISK_E10value_typeET2_T3_PNSL_ISQ_E10value_typeET4_T5_PSV_SW_PNS1_23onesweep_lookback_stateEbbT6_jjT7_P12ihipStream_tbENKUlT_T0_SK_SP_E_clISE_PsSF_SF_EEDaS13_S14_SK_SP_EUlS13_E_NS1_11comp_targetILNS1_3genE5ELNS1_11target_archE942ELNS1_3gpuE9ELNS1_3repE0EEENS1_47radix_sort_onesweep_sort_config_static_selectorELNS0_4arch9wavefront6targetE1EEEvSK_: ; @_ZN7rocprim17ROCPRIM_400000_NS6detail17trampoline_kernelINS0_14default_configENS1_35radix_sort_onesweep_config_selectorIsNS0_10empty_typeEEEZZNS1_29radix_sort_onesweep_iterationIS3_Lb0EN6thrust23THRUST_200600_302600_NS6detail15normal_iteratorINS9_10device_ptrIsEEEESE_PS5_SF_jNS0_19identity_decomposerENS1_16block_id_wrapperIjLb0EEEEE10hipError_tT1_PNSt15iterator_traitsISK_E10value_typeET2_T3_PNSL_ISQ_E10value_typeET4_T5_PSV_SW_PNS1_23onesweep_lookback_stateEbbT6_jjT7_P12ihipStream_tbENKUlT_T0_SK_SP_E_clISE_PsSF_SF_EEDaS13_S14_SK_SP_EUlS13_E_NS1_11comp_targetILNS1_3genE5ELNS1_11target_archE942ELNS1_3gpuE9ELNS1_3repE0EEENS1_47radix_sort_onesweep_sort_config_static_selectorELNS0_4arch9wavefront6targetE1EEEvSK_
; %bb.0:
	s_load_dwordx4 s[24:27], s[0:1], 0x44
	s_load_dwordx2 s[28:29], s[0:1], 0x38
	s_load_dwordx4 s[20:23], s[0:1], 0x0
	s_load_dwordx4 s[16:19], s[0:1], 0x28
	s_mul_i32 s30, s2, 0x3000
	s_waitcnt lgkmcnt(0)
	s_cmp_ge_u32 s2, s26
	v_mbcnt_lo_u32_b32 v1, -1, 0
	s_cbranch_scc0 .LBB1988_96
; %bb.1:
	s_load_dword s3, s[0:1], 0x20
	s_mul_i32 s6, s26, 0xffffd000
	s_mov_b32 s31, 0
	v_and_b32_e32 v10, 0x3ff, v0
	s_lshl_b64 s[4:5], s[30:31], 1
	s_waitcnt lgkmcnt(0)
	s_add_i32 s3, s3, s6
	v_mbcnt_hi_u32_b32 v11, -1, v1
	s_add_u32 s4, s20, s4
	v_and_b32_e32 v6, 63, v11
	v_and_b32_e32 v2, 0x3c0, v10
	s_addc_u32 s5, s21, s5
	v_mul_u32_u24_e32 v7, 12, v2
	v_lshlrev_b32_e32 v2, 1, v6
	v_mov_b32_e32 v3, 0
	v_lshl_add_u64 v[4:5], s[4:5], 0, v[2:3]
	s_mov_b32 s4, 0x7fff7fff
	v_lshlrev_b32_e32 v2, 1, v7
	s_mov_b32 s5, s4
	v_lshl_add_u64 v[12:13], v[4:5], 0, v[2:3]
	v_or_b32_e32 v14, v6, v7
	s_mov_b32 s6, s4
	s_mov_b32 s7, s4
	;; [unrolled: 1-line block ×4, first 2 shown]
	v_mov_b64_e32 v[2:3], s[4:5]
	v_cmp_gt_u32_e32 vcc, s3, v14
	v_mov_b64_e32 v[4:5], s[6:7]
	v_mov_b64_e32 v[6:7], s[8:9]
	;; [unrolled: 1-line block ×3, first 2 shown]
	s_and_saveexec_b64 s[4:5], vcc
	s_cbranch_execz .LBB1988_3
; %bb.2:
	global_load_ushort v2, v[12:13], off
	s_movk_i32 s6, 0x7fff
	v_mov_b32_e32 v7, 0x5040100
	v_mov_b32_e32 v3, 0x7fff7fff
	;; [unrolled: 1-line block ×5, first 2 shown]
	s_waitcnt vmcnt(0)
	v_perm_b32 v2, s6, v2, v7
	v_mov_b32_e32 v7, v3
.LBB1988_3:
	s_or_b64 exec, exec, s[4:5]
	v_or_b32_e32 v8, 64, v14
	v_cmp_gt_u32_e32 vcc, s3, v8
	s_and_saveexec_b64 s[4:5], vcc
	s_cbranch_execz .LBB1988_5
; %bb.4:
	global_load_ushort v8, v[12:13], off offset:128
	s_mov_b32 s6, 0x5040100
	s_waitcnt vmcnt(0)
	v_perm_b32 v2, v8, v2, s6
.LBB1988_5:
	s_or_b64 exec, exec, s[4:5]
	v_or_b32_e32 v8, 0x80, v14
	v_cmp_gt_u32_e32 vcc, s3, v8
	s_and_saveexec_b64 s[4:5], vcc
	s_cbranch_execz .LBB1988_7
; %bb.6:
	global_load_ushort v8, v[12:13], off offset:256
	s_mov_b32 s6, 0xffff
	s_waitcnt vmcnt(0)
	v_bfi_b32 v3, s6, v8, v3
.LBB1988_7:
	s_or_b64 exec, exec, s[4:5]
	v_or_b32_e32 v8, 0xc0, v14
	v_cmp_gt_u32_e32 vcc, s3, v8
	s_and_saveexec_b64 s[4:5], vcc
	s_cbranch_execz .LBB1988_9
; %bb.8:
	global_load_ushort v8, v[12:13], off offset:384
	s_mov_b32 s6, 0x5040100
	s_waitcnt vmcnt(0)
	v_perm_b32 v3, v8, v3, s6
.LBB1988_9:
	s_or_b64 exec, exec, s[4:5]
	v_add_u32_e32 v8, 0x100, v14
	v_cmp_gt_u32_e32 vcc, s3, v8
	s_and_saveexec_b64 s[4:5], vcc
	s_cbranch_execz .LBB1988_11
; %bb.10:
	global_load_ushort v8, v[12:13], off offset:512
	s_mov_b32 s6, 0xffff
	s_waitcnt vmcnt(0)
	v_bfi_b32 v4, s6, v8, v4
.LBB1988_11:
	s_or_b64 exec, exec, s[4:5]
	v_add_u32_e32 v8, 0x140, v14
	v_cmp_gt_u32_e32 vcc, s3, v8
	s_and_saveexec_b64 s[4:5], vcc
	s_cbranch_execz .LBB1988_13
; %bb.12:
	global_load_ushort v8, v[12:13], off offset:640
	s_mov_b32 s6, 0x5040100
	s_waitcnt vmcnt(0)
	v_perm_b32 v4, v8, v4, s6
.LBB1988_13:
	s_or_b64 exec, exec, s[4:5]
	v_add_u32_e32 v8, 0x180, v14
	v_cmp_gt_u32_e32 vcc, s3, v8
	s_and_saveexec_b64 s[4:5], vcc
	s_cbranch_execz .LBB1988_15
; %bb.14:
	global_load_ushort v8, v[12:13], off offset:768
	s_mov_b32 s6, 0xffff
	s_waitcnt vmcnt(0)
	v_bfi_b32 v5, s6, v8, v5
.LBB1988_15:
	s_or_b64 exec, exec, s[4:5]
	v_add_u32_e32 v8, 0x1c0, v14
	;; [unrolled: 22-line block ×4, first 2 shown]
	v_cmp_gt_u32_e32 vcc, s3, v8
	s_and_saveexec_b64 s[4:5], vcc
	s_cbranch_execz .LBB1988_25
; %bb.24:
	global_load_ushort v8, v[12:13], off offset:1408
	s_mov_b32 s6, 0x5040100
	s_waitcnt vmcnt(0)
	v_perm_b32 v7, v8, v7, s6
.LBB1988_25:
	s_or_b64 exec, exec, s[4:5]
	s_load_dword s4, s[0:1], 0x64
	s_load_dword s26, s[0:1], 0x58
	s_add_u32 s5, s0, 0x58
	s_addc_u32 s6, s1, 0
	v_mov_b32_e32 v9, 0
	s_waitcnt lgkmcnt(0)
	s_lshr_b32 s7, s4, 16
	s_cmp_lt_u32 s2, s26
	s_cselect_b32 s4, 12, 18
	s_add_u32 s4, s5, s4
	s_addc_u32 s5, s6, 0
	global_load_ushort v28, v9, s[4:5]
	v_xor_b32_e32 v14, 0xffff8000, v2
	s_lshl_b32 s4, -1, s25
	v_lshrrev_b32_sdwa v17, s24, v14 dst_sel:DWORD dst_unused:UNUSED_PAD src0_sel:DWORD src1_sel:WORD_0
	s_not_b32 s27, s4
	v_bfe_u32 v8, v0, 10, 10
	v_bfe_u32 v13, v0, 20, 10
	v_and_b32_e32 v30, s27, v17
	v_mul_u32_u24_e32 v12, 5, v10
	v_mad_u32_u24 v29, v13, s7, v8
	v_and_b32_e32 v8, 1, v30
	v_lshlrev_b32_e32 v13, 30, v30
	v_lshlrev_b32_e32 v15, 2, v12
	v_mov_b32_e32 v12, v9
	v_mov_b32_e32 v18, v9
	v_lshlrev_b32_e32 v17, 29, v30
	v_lshlrev_b32_e32 v19, 28, v30
	v_lshl_add_u64 v[26:27], v[8:9], 0, -1
	v_cmp_ne_u32_e32 vcc, 0, v8
	v_not_b32_e32 v8, v13
	v_mov_b32_e32 v16, v9
	v_mov_b32_e32 v20, v9
	v_lshlrev_b32_e32 v21, 27, v30
	v_cmp_gt_i64_e64 s[4:5], 0, v[12:13]
	v_not_b32_e32 v12, v17
	v_cmp_gt_i64_e64 s[8:9], 0, v[18:19]
	v_not_b32_e32 v13, v19
	v_xor_b32_e32 v19, vcc_hi, v27
	v_ashrrev_i32_e32 v8, 31, v8
	v_mov_b32_e32 v22, v9
	v_lshlrev_b32_e32 v23, 26, v30
	v_cmp_gt_i64_e64 s[6:7], 0, v[16:17]
	v_cmp_gt_i64_e64 s[10:11], 0, v[20:21]
	v_not_b32_e32 v16, v21
	v_xor_b32_e32 v20, vcc_lo, v26
	v_ashrrev_i32_e32 v12, 31, v12
	v_and_b32_e32 v19, exec_hi, v19
	v_xor_b32_e32 v21, s5, v8
	v_cmp_gt_i64_e64 s[12:13], 0, v[22:23]
	v_ashrrev_i32_e32 v13, 31, v13
	v_and_b32_e32 v20, exec_lo, v20
	v_xor_b32_e32 v8, s4, v8
	v_xor_b32_e32 v22, s7, v12
	v_and_b32_e32 v19, v19, v21
	v_mov_b32_e32 v24, v9
	v_lshlrev_b32_e32 v25, 25, v30
	v_not_b32_e32 v17, v23
	v_ashrrev_i32_e32 v16, 31, v16
	v_xor_b32_e32 v12, s6, v12
	v_xor_b32_e32 v23, s9, v13
	v_and_b32_e32 v8, v20, v8
	v_and_b32_e32 v19, v19, v22
	v_cmp_gt_i64_e64 s[14:15], 0, v[24:25]
	v_not_b32_e32 v18, v25
	v_ashrrev_i32_e32 v17, 31, v17
	v_xor_b32_e32 v24, s11, v16
	v_and_b32_e32 v8, v8, v12
	v_and_b32_e32 v12, v19, v23
	v_ashrrev_i32_e32 v18, 31, v18
	v_xor_b32_e32 v13, s8, v13
	v_xor_b32_e32 v25, s13, v17
	v_and_b32_e32 v12, v12, v24
	v_xor_b32_e32 v16, s10, v16
	v_xor_b32_e32 v26, s15, v18
	v_and_b32_e32 v8, v8, v13
	v_and_b32_e32 v12, v12, v25
	;; [unrolled: 1-line block ×4, first 2 shown]
	v_xor_b32_e32 v17, s12, v17
	v_xor_b32_e32 v18, s14, v18
	v_and_b32_e32 v8, v8, v17
	v_and_b32_e32 v8, v8, v18
	v_mul_u32_u24_e32 v31, 17, v30
	s_movk_i32 s31, 0x8000
	ds_write2_b32 v15, v9, v9 offset0:16 offset1:17
	ds_write2_b32 v15, v9, v9 offset0:18 offset1:19
	ds_write_b32 v15, v9 offset:80
	s_waitcnt lgkmcnt(0)
	s_barrier
	s_waitcnt lgkmcnt(0)
	; wave barrier
	s_waitcnt vmcnt(0)
	v_mad_u64_u32 v[12:13], s[4:5], v29, v28, v[10:11]
	v_lshrrev_b32_e32 v26, 6, v12
	v_lshlrev_b32_e32 v13, 24, v30
	v_mov_b32_e32 v12, v9
	v_cmp_gt_i64_e32 vcc, 0, v[12:13]
	v_not_b32_e32 v12, v13
	v_ashrrev_i32_e32 v12, 31, v12
	v_xor_b32_e32 v13, vcc_hi, v12
	v_xor_b32_e32 v12, vcc_lo, v12
	v_and_b32_e32 v12, v8, v12
	v_and_b32_e32 v13, v16, v13
	v_mbcnt_lo_u32_b32 v8, v12, 0
	v_mbcnt_hi_u32_b32 v16, v13, v8
	v_cmp_eq_u32_e32 vcc, 0, v16
	v_cmp_ne_u64_e64 s[4:5], 0, v[12:13]
	v_add_lshl_u32 v19, v26, v31, 2
	s_and_b64 s[6:7], s[4:5], vcc
	s_and_saveexec_b64 s[4:5], s[6:7]
	s_cbranch_execz .LBB1988_27
; %bb.26:
	v_bcnt_u32_b32 v8, v12, 0
	v_bcnt_u32_b32 v8, v13, v8
	ds_write_b32 v19, v8 offset:64
.LBB1988_27:
	s_or_b64 exec, exec, s[4:5]
	v_xor_b32_sdwa v17, v2, s31 dst_sel:DWORD dst_unused:UNUSED_PAD src0_sel:WORD_1 src1_sel:DWORD
	v_lshrrev_b32_sdwa v2, s24, v17 dst_sel:DWORD dst_unused:UNUSED_PAD src0_sel:DWORD src1_sel:WORD_0
	v_and_b32_e32 v2, s27, v2
	v_mul_u32_u24_e32 v8, 17, v2
	v_add_lshl_u32 v20, v26, v8, 2
	v_and_b32_e32 v8, 1, v2
	v_lshl_add_u64 v[12:13], v[8:9], 0, -1
	v_cmp_ne_u32_e32 vcc, 0, v8
	; wave barrier
	s_nop 1
	v_xor_b32_e32 v12, vcc_lo, v12
	v_xor_b32_e32 v8, vcc_hi, v13
	v_and_b32_e32 v21, exec_lo, v12
	v_lshlrev_b32_e32 v13, 30, v2
	v_mov_b32_e32 v12, v9
	v_cmp_gt_i64_e32 vcc, 0, v[12:13]
	v_not_b32_e32 v12, v13
	v_ashrrev_i32_e32 v12, 31, v12
	v_and_b32_e32 v8, exec_hi, v8
	v_xor_b32_e32 v13, vcc_hi, v12
	v_xor_b32_e32 v12, vcc_lo, v12
	v_and_b32_e32 v8, v8, v13
	v_and_b32_e32 v21, v21, v12
	v_lshlrev_b32_e32 v13, 29, v2
	v_mov_b32_e32 v12, v9
	v_cmp_gt_i64_e32 vcc, 0, v[12:13]
	v_not_b32_e32 v12, v13
	v_ashrrev_i32_e32 v12, 31, v12
	v_xor_b32_e32 v13, vcc_hi, v12
	v_xor_b32_e32 v12, vcc_lo, v12
	v_and_b32_e32 v8, v8, v13
	v_and_b32_e32 v21, v21, v12
	v_lshlrev_b32_e32 v13, 28, v2
	v_mov_b32_e32 v12, v9
	v_cmp_gt_i64_e32 vcc, 0, v[12:13]
	v_not_b32_e32 v12, v13
	v_ashrrev_i32_e32 v12, 31, v12
	;; [unrolled: 9-line block ×5, first 2 shown]
	v_xor_b32_e32 v13, vcc_hi, v12
	v_xor_b32_e32 v12, vcc_lo, v12
	v_and_b32_e32 v8, v8, v13
	v_lshlrev_b32_e32 v13, 24, v2
	v_and_b32_e32 v21, v21, v12
	v_mov_b32_e32 v12, v9
	v_not_b32_e32 v2, v13
	v_cmp_gt_i64_e32 vcc, 0, v[12:13]
	v_ashrrev_i32_e32 v2, 31, v2
	ds_read_b32 v18, v20 offset:64
	v_xor_b32_e32 v9, vcc_hi, v2
	v_xor_b32_e32 v2, vcc_lo, v2
	v_and_b32_e32 v9, v8, v9
	v_and_b32_e32 v8, v21, v2
	v_mbcnt_lo_u32_b32 v2, v8, 0
	v_mbcnt_hi_u32_b32 v21, v9, v2
	v_cmp_eq_u32_e32 vcc, 0, v21
	v_cmp_ne_u64_e64 s[4:5], 0, v[8:9]
	s_and_b64 s[6:7], s[4:5], vcc
	; wave barrier
	s_and_saveexec_b64 s[4:5], s[6:7]
	s_cbranch_execz .LBB1988_29
; %bb.28:
	v_bcnt_u32_b32 v2, v8, 0
	v_bcnt_u32_b32 v2, v9, v2
	s_waitcnt lgkmcnt(0)
	v_add_u32_e32 v2, v18, v2
	ds_write_b32 v20, v2 offset:64
.LBB1988_29:
	s_or_b64 exec, exec, s[4:5]
	v_xor_b32_e32 v22, 0xffff8000, v3
	v_lshrrev_b32_sdwa v2, s24, v22 dst_sel:DWORD dst_unused:UNUSED_PAD src0_sel:DWORD src1_sel:WORD_0
	v_and_b32_e32 v2, s27, v2
	v_mul_u32_u24_e32 v8, 17, v2
	v_add_lshl_u32 v24, v26, v8, 2
	v_and_b32_e32 v8, 1, v2
	v_mov_b32_e32 v9, 0
	v_lshl_add_u64 v[12:13], v[8:9], 0, -1
	v_cmp_ne_u32_e32 vcc, 0, v8
	; wave barrier
	s_nop 1
	v_xor_b32_e32 v12, vcc_lo, v12
	v_xor_b32_e32 v8, vcc_hi, v13
	v_and_b32_e32 v25, exec_lo, v12
	v_lshlrev_b32_e32 v13, 30, v2
	v_mov_b32_e32 v12, v9
	v_cmp_gt_i64_e32 vcc, 0, v[12:13]
	v_not_b32_e32 v12, v13
	v_ashrrev_i32_e32 v12, 31, v12
	v_and_b32_e32 v8, exec_hi, v8
	v_xor_b32_e32 v13, vcc_hi, v12
	v_xor_b32_e32 v12, vcc_lo, v12
	v_and_b32_e32 v8, v8, v13
	v_and_b32_e32 v25, v25, v12
	v_lshlrev_b32_e32 v13, 29, v2
	v_mov_b32_e32 v12, v9
	v_cmp_gt_i64_e32 vcc, 0, v[12:13]
	v_not_b32_e32 v12, v13
	v_ashrrev_i32_e32 v12, 31, v12
	v_xor_b32_e32 v13, vcc_hi, v12
	v_xor_b32_e32 v12, vcc_lo, v12
	v_and_b32_e32 v8, v8, v13
	v_and_b32_e32 v25, v25, v12
	v_lshlrev_b32_e32 v13, 28, v2
	v_mov_b32_e32 v12, v9
	v_cmp_gt_i64_e32 vcc, 0, v[12:13]
	v_not_b32_e32 v12, v13
	v_ashrrev_i32_e32 v12, 31, v12
	;; [unrolled: 9-line block ×5, first 2 shown]
	v_xor_b32_e32 v13, vcc_hi, v12
	v_xor_b32_e32 v12, vcc_lo, v12
	v_and_b32_e32 v8, v8, v13
	v_lshlrev_b32_e32 v13, 24, v2
	v_and_b32_e32 v25, v25, v12
	v_mov_b32_e32 v12, v9
	v_not_b32_e32 v2, v13
	v_cmp_gt_i64_e32 vcc, 0, v[12:13]
	v_ashrrev_i32_e32 v2, 31, v2
	ds_read_b32 v23, v24 offset:64
	v_xor_b32_e32 v12, vcc_hi, v2
	v_xor_b32_e32 v2, vcc_lo, v2
	v_and_b32_e32 v13, v8, v12
	v_and_b32_e32 v12, v25, v2
	v_mbcnt_lo_u32_b32 v2, v12, 0
	v_mbcnt_hi_u32_b32 v25, v13, v2
	v_cmp_eq_u32_e32 vcc, 0, v25
	v_cmp_ne_u64_e64 s[4:5], 0, v[12:13]
	s_movk_i32 s6, 0x8000
	s_and_b64 s[8:9], s[4:5], vcc
	; wave barrier
	s_and_saveexec_b64 s[4:5], s[8:9]
	s_cbranch_execz .LBB1988_31
; %bb.30:
	v_bcnt_u32_b32 v2, v12, 0
	v_bcnt_u32_b32 v2, v13, v2
	s_waitcnt lgkmcnt(0)
	v_add_u32_e32 v2, v23, v2
	ds_write_b32 v24, v2 offset:64
.LBB1988_31:
	s_or_b64 exec, exec, s[4:5]
	v_xor_b32_sdwa v12, v3, s6 dst_sel:DWORD dst_unused:UNUSED_PAD src0_sel:WORD_1 src1_sel:DWORD
	v_lshrrev_b32_sdwa v2, s24, v12 dst_sel:DWORD dst_unused:UNUSED_PAD src0_sel:DWORD src1_sel:WORD_0
	v_and_b32_e32 v28, s27, v2
	v_mul_u32_u24_e32 v2, 17, v28
	v_and_b32_e32 v8, 1, v28
	v_add_lshl_u32 v27, v26, v2, 2
	v_lshl_add_u64 v[2:3], v[8:9], 0, -1
	v_cmp_ne_u32_e32 vcc, 0, v8
	; wave barrier
	s_nop 1
	v_xor_b32_e32 v3, vcc_hi, v3
	v_xor_b32_e32 v2, vcc_lo, v2
	v_and_b32_e32 v8, exec_hi, v3
	v_and_b32_e32 v29, exec_lo, v2
	v_lshlrev_b32_e32 v3, 30, v28
	v_mov_b32_e32 v2, v9
	v_cmp_gt_i64_e32 vcc, 0, v[2:3]
	v_not_b32_e32 v2, v3
	v_ashrrev_i32_e32 v2, 31, v2
	v_xor_b32_e32 v3, vcc_hi, v2
	v_xor_b32_e32 v2, vcc_lo, v2
	v_and_b32_e32 v8, v8, v3
	v_and_b32_e32 v29, v29, v2
	v_lshlrev_b32_e32 v3, 29, v28
	v_mov_b32_e32 v2, v9
	v_cmp_gt_i64_e32 vcc, 0, v[2:3]
	v_not_b32_e32 v2, v3
	v_ashrrev_i32_e32 v2, 31, v2
	v_xor_b32_e32 v3, vcc_hi, v2
	v_xor_b32_e32 v2, vcc_lo, v2
	v_and_b32_e32 v8, v8, v3
	v_and_b32_e32 v29, v29, v2
	;; [unrolled: 9-line block ×6, first 2 shown]
	v_lshlrev_b32_e32 v3, 24, v28
	v_mov_b32_e32 v2, v9
	v_cmp_gt_i64_e32 vcc, 0, v[2:3]
	v_not_b32_e32 v2, v3
	v_ashrrev_i32_e32 v2, 31, v2
	v_xor_b32_e32 v3, vcc_hi, v2
	v_xor_b32_e32 v2, vcc_lo, v2
	ds_read_b32 v13, v27 offset:64
	v_and_b32_e32 v2, v29, v2
	v_and_b32_e32 v3, v8, v3
	v_mbcnt_lo_u32_b32 v8, v2, 0
	v_mbcnt_hi_u32_b32 v28, v3, v8
	v_cmp_eq_u32_e32 vcc, 0, v28
	v_cmp_ne_u64_e64 s[4:5], 0, v[2:3]
	s_and_b64 s[6:7], s[4:5], vcc
	; wave barrier
	s_and_saveexec_b64 s[4:5], s[6:7]
	s_cbranch_execz .LBB1988_33
; %bb.32:
	v_bcnt_u32_b32 v2, v2, 0
	v_bcnt_u32_b32 v2, v3, v2
	s_waitcnt lgkmcnt(0)
	v_add_u32_e32 v2, v13, v2
	ds_write_b32 v27, v2 offset:64
.LBB1988_33:
	s_or_b64 exec, exec, s[4:5]
	v_xor_b32_e32 v29, 0xffff8000, v4
	v_lshrrev_b32_sdwa v2, s24, v29 dst_sel:DWORD dst_unused:UNUSED_PAD src0_sel:DWORD src1_sel:WORD_0
	v_and_b32_e32 v32, s27, v2
	v_mul_u32_u24_e32 v2, 17, v32
	v_add_lshl_u32 v31, v26, v2, 2
	v_and_b32_e32 v2, 1, v32
	v_mov_b32_e32 v3, 0
	v_lshl_add_u64 v[8:9], v[2:3], 0, -1
	v_cmp_ne_u32_e32 vcc, 0, v2
	; wave barrier
	s_nop 1
	v_xor_b32_e32 v8, vcc_lo, v8
	v_xor_b32_e32 v2, vcc_hi, v9
	v_and_b32_e32 v33, exec_lo, v8
	v_lshlrev_b32_e32 v9, 30, v32
	v_mov_b32_e32 v8, v3
	v_cmp_gt_i64_e32 vcc, 0, v[8:9]
	v_not_b32_e32 v8, v9
	v_ashrrev_i32_e32 v8, 31, v8
	v_and_b32_e32 v2, exec_hi, v2
	v_xor_b32_e32 v9, vcc_hi, v8
	v_xor_b32_e32 v8, vcc_lo, v8
	v_and_b32_e32 v2, v2, v9
	v_and_b32_e32 v33, v33, v8
	v_lshlrev_b32_e32 v9, 29, v32
	v_mov_b32_e32 v8, v3
	v_cmp_gt_i64_e32 vcc, 0, v[8:9]
	v_not_b32_e32 v8, v9
	v_ashrrev_i32_e32 v8, 31, v8
	v_xor_b32_e32 v9, vcc_hi, v8
	v_xor_b32_e32 v8, vcc_lo, v8
	v_and_b32_e32 v2, v2, v9
	v_and_b32_e32 v33, v33, v8
	v_lshlrev_b32_e32 v9, 28, v32
	v_mov_b32_e32 v8, v3
	v_cmp_gt_i64_e32 vcc, 0, v[8:9]
	v_not_b32_e32 v8, v9
	v_ashrrev_i32_e32 v8, 31, v8
	;; [unrolled: 9-line block ×6, first 2 shown]
	v_xor_b32_e32 v9, vcc_hi, v8
	v_xor_b32_e32 v8, vcc_lo, v8
	ds_read_b32 v30, v31 offset:64
	v_and_b32_e32 v8, v33, v8
	v_and_b32_e32 v9, v2, v9
	v_mbcnt_lo_u32_b32 v2, v8, 0
	v_mbcnt_hi_u32_b32 v33, v9, v2
	v_cmp_eq_u32_e32 vcc, 0, v33
	v_cmp_ne_u64_e64 s[4:5], 0, v[8:9]
	s_movk_i32 s6, 0x8000
	s_and_b64 s[8:9], s[4:5], vcc
	; wave barrier
	s_and_saveexec_b64 s[4:5], s[8:9]
	s_cbranch_execz .LBB1988_35
; %bb.34:
	v_bcnt_u32_b32 v2, v8, 0
	v_bcnt_u32_b32 v2, v9, v2
	s_waitcnt lgkmcnt(0)
	v_add_u32_e32 v2, v30, v2
	ds_write_b32 v31, v2 offset:64
.LBB1988_35:
	s_or_b64 exec, exec, s[4:5]
	v_xor_b32_sdwa v32, v4, s6 dst_sel:DWORD dst_unused:UNUSED_PAD src0_sel:WORD_1 src1_sel:DWORD
	v_lshrrev_b32_sdwa v2, s24, v32 dst_sel:DWORD dst_unused:UNUSED_PAD src0_sel:DWORD src1_sel:WORD_0
	v_and_b32_e32 v4, s27, v2
	v_mul_u32_u24_e32 v2, 17, v4
	v_add_lshl_u32 v35, v26, v2, 2
	v_and_b32_e32 v2, 1, v4
	v_lshl_add_u64 v[8:9], v[2:3], 0, -1
	v_cmp_ne_u32_e32 vcc, 0, v2
	; wave barrier
	s_nop 1
	v_xor_b32_e32 v8, vcc_lo, v8
	v_xor_b32_e32 v2, vcc_hi, v9
	v_and_b32_e32 v36, exec_lo, v8
	v_lshlrev_b32_e32 v9, 30, v4
	v_mov_b32_e32 v8, v3
	v_cmp_gt_i64_e32 vcc, 0, v[8:9]
	v_not_b32_e32 v8, v9
	v_ashrrev_i32_e32 v8, 31, v8
	v_and_b32_e32 v2, exec_hi, v2
	v_xor_b32_e32 v9, vcc_hi, v8
	v_xor_b32_e32 v8, vcc_lo, v8
	v_and_b32_e32 v2, v2, v9
	v_and_b32_e32 v36, v36, v8
	v_lshlrev_b32_e32 v9, 29, v4
	v_mov_b32_e32 v8, v3
	v_cmp_gt_i64_e32 vcc, 0, v[8:9]
	v_not_b32_e32 v8, v9
	v_ashrrev_i32_e32 v8, 31, v8
	v_xor_b32_e32 v9, vcc_hi, v8
	v_xor_b32_e32 v8, vcc_lo, v8
	v_and_b32_e32 v2, v2, v9
	v_and_b32_e32 v36, v36, v8
	v_lshlrev_b32_e32 v9, 28, v4
	v_mov_b32_e32 v8, v3
	v_cmp_gt_i64_e32 vcc, 0, v[8:9]
	v_not_b32_e32 v8, v9
	v_ashrrev_i32_e32 v8, 31, v8
	;; [unrolled: 9-line block ×5, first 2 shown]
	v_xor_b32_e32 v9, vcc_hi, v8
	v_xor_b32_e32 v8, vcc_lo, v8
	v_and_b32_e32 v2, v2, v9
	v_lshlrev_b32_e32 v9, 24, v4
	v_and_b32_e32 v36, v36, v8
	v_mov_b32_e32 v8, v3
	v_not_b32_e32 v3, v9
	v_cmp_gt_i64_e32 vcc, 0, v[8:9]
	v_ashrrev_i32_e32 v3, 31, v3
	ds_read_b32 v34, v35 offset:64
	v_xor_b32_e32 v4, vcc_hi, v3
	v_xor_b32_e32 v8, vcc_lo, v3
	v_and_b32_e32 v3, v2, v4
	v_and_b32_e32 v2, v36, v8
	v_mbcnt_lo_u32_b32 v4, v2, 0
	v_mbcnt_hi_u32_b32 v37, v3, v4
	v_cmp_eq_u32_e32 vcc, 0, v37
	v_cmp_ne_u64_e64 s[4:5], 0, v[2:3]
	s_and_b64 s[6:7], s[4:5], vcc
	; wave barrier
	s_and_saveexec_b64 s[4:5], s[6:7]
	s_cbranch_execz .LBB1988_37
; %bb.36:
	v_bcnt_u32_b32 v2, v2, 0
	v_bcnt_u32_b32 v2, v3, v2
	s_waitcnt lgkmcnt(0)
	v_add_u32_e32 v2, v34, v2
	ds_write_b32 v35, v2 offset:64
.LBB1988_37:
	s_or_b64 exec, exec, s[4:5]
	v_xor_b32_e32 v36, 0xffff8000, v5
	v_lshrrev_b32_sdwa v2, s24, v36 dst_sel:DWORD dst_unused:UNUSED_PAD src0_sel:DWORD src1_sel:WORD_0
	v_and_b32_e32 v4, s27, v2
	v_mul_u32_u24_e32 v2, 17, v4
	v_add_lshl_u32 v39, v26, v2, 2
	v_and_b32_e32 v2, 1, v4
	v_mov_b32_e32 v3, 0
	v_lshl_add_u64 v[8:9], v[2:3], 0, -1
	v_cmp_ne_u32_e32 vcc, 0, v2
	; wave barrier
	s_nop 1
	v_xor_b32_e32 v8, vcc_lo, v8
	v_xor_b32_e32 v2, vcc_hi, v9
	v_and_b32_e32 v40, exec_lo, v8
	v_lshlrev_b32_e32 v9, 30, v4
	v_mov_b32_e32 v8, v3
	v_cmp_gt_i64_e32 vcc, 0, v[8:9]
	v_not_b32_e32 v8, v9
	v_ashrrev_i32_e32 v8, 31, v8
	v_and_b32_e32 v2, exec_hi, v2
	v_xor_b32_e32 v9, vcc_hi, v8
	v_xor_b32_e32 v8, vcc_lo, v8
	v_and_b32_e32 v2, v2, v9
	v_and_b32_e32 v40, v40, v8
	v_lshlrev_b32_e32 v9, 29, v4
	v_mov_b32_e32 v8, v3
	v_cmp_gt_i64_e32 vcc, 0, v[8:9]
	v_not_b32_e32 v8, v9
	v_ashrrev_i32_e32 v8, 31, v8
	v_xor_b32_e32 v9, vcc_hi, v8
	v_xor_b32_e32 v8, vcc_lo, v8
	v_and_b32_e32 v2, v2, v9
	v_and_b32_e32 v40, v40, v8
	v_lshlrev_b32_e32 v9, 28, v4
	v_mov_b32_e32 v8, v3
	v_cmp_gt_i64_e32 vcc, 0, v[8:9]
	v_not_b32_e32 v8, v9
	v_ashrrev_i32_e32 v8, 31, v8
	;; [unrolled: 9-line block ×5, first 2 shown]
	v_xor_b32_e32 v9, vcc_hi, v8
	v_xor_b32_e32 v8, vcc_lo, v8
	v_and_b32_e32 v2, v2, v9
	v_lshlrev_b32_e32 v9, 24, v4
	v_and_b32_e32 v40, v40, v8
	v_mov_b32_e32 v8, v3
	v_not_b32_e32 v4, v9
	v_cmp_gt_i64_e32 vcc, 0, v[8:9]
	v_ashrrev_i32_e32 v4, 31, v4
	ds_read_b32 v38, v39 offset:64
	v_xor_b32_e32 v8, vcc_hi, v4
	v_xor_b32_e32 v4, vcc_lo, v4
	v_and_b32_e32 v9, v2, v8
	v_and_b32_e32 v8, v40, v4
	v_mbcnt_lo_u32_b32 v2, v8, 0
	v_mbcnt_hi_u32_b32 v40, v9, v2
	v_cmp_eq_u32_e32 vcc, 0, v40
	v_cmp_ne_u64_e64 s[4:5], 0, v[8:9]
	s_movk_i32 s6, 0x8000
	s_and_b64 s[8:9], s[4:5], vcc
	; wave barrier
	s_and_saveexec_b64 s[4:5], s[8:9]
	s_cbranch_execz .LBB1988_39
; %bb.38:
	v_bcnt_u32_b32 v2, v8, 0
	v_bcnt_u32_b32 v2, v9, v2
	s_waitcnt lgkmcnt(0)
	v_add_u32_e32 v2, v38, v2
	ds_write_b32 v39, v2 offset:64
.LBB1988_39:
	s_or_b64 exec, exec, s[4:5]
	v_xor_b32_sdwa v8, v5, s6 dst_sel:DWORD dst_unused:UNUSED_PAD src0_sel:WORD_1 src1_sel:DWORD
	v_lshrrev_b32_sdwa v2, s24, v8 dst_sel:DWORD dst_unused:UNUSED_PAD src0_sel:DWORD src1_sel:WORD_0
	v_and_b32_e32 v42, s27, v2
	v_mul_u32_u24_e32 v2, 17, v42
	v_add_lshl_u32 v41, v26, v2, 2
	v_and_b32_e32 v2, 1, v42
	v_lshl_add_u64 v[4:5], v[2:3], 0, -1
	v_cmp_ne_u32_e32 vcc, 0, v2
	; wave barrier
	s_nop 1
	v_xor_b32_e32 v4, vcc_lo, v4
	v_xor_b32_e32 v2, vcc_hi, v5
	v_and_b32_e32 v43, exec_lo, v4
	v_lshlrev_b32_e32 v5, 30, v42
	v_mov_b32_e32 v4, v3
	v_cmp_gt_i64_e32 vcc, 0, v[4:5]
	v_not_b32_e32 v4, v5
	v_ashrrev_i32_e32 v4, 31, v4
	v_and_b32_e32 v2, exec_hi, v2
	v_xor_b32_e32 v5, vcc_hi, v4
	v_xor_b32_e32 v4, vcc_lo, v4
	v_and_b32_e32 v2, v2, v5
	v_and_b32_e32 v43, v43, v4
	v_lshlrev_b32_e32 v5, 29, v42
	v_mov_b32_e32 v4, v3
	v_cmp_gt_i64_e32 vcc, 0, v[4:5]
	v_not_b32_e32 v4, v5
	v_ashrrev_i32_e32 v4, 31, v4
	v_xor_b32_e32 v5, vcc_hi, v4
	v_xor_b32_e32 v4, vcc_lo, v4
	v_and_b32_e32 v2, v2, v5
	v_and_b32_e32 v43, v43, v4
	v_lshlrev_b32_e32 v5, 28, v42
	v_mov_b32_e32 v4, v3
	v_cmp_gt_i64_e32 vcc, 0, v[4:5]
	v_not_b32_e32 v4, v5
	v_ashrrev_i32_e32 v4, 31, v4
	;; [unrolled: 9-line block ×5, first 2 shown]
	v_xor_b32_e32 v5, vcc_hi, v4
	v_xor_b32_e32 v4, vcc_lo, v4
	v_and_b32_e32 v2, v2, v5
	v_lshlrev_b32_e32 v5, 24, v42
	v_and_b32_e32 v43, v43, v4
	v_mov_b32_e32 v4, v3
	v_not_b32_e32 v3, v5
	v_cmp_gt_i64_e32 vcc, 0, v[4:5]
	v_ashrrev_i32_e32 v3, 31, v3
	ds_read_b32 v9, v41 offset:64
	v_xor_b32_e32 v4, vcc_hi, v3
	v_xor_b32_e32 v5, vcc_lo, v3
	v_and_b32_e32 v3, v2, v4
	v_and_b32_e32 v2, v43, v5
	v_mbcnt_lo_u32_b32 v4, v2, 0
	v_mbcnt_hi_u32_b32 v43, v3, v4
	v_cmp_eq_u32_e32 vcc, 0, v43
	v_cmp_ne_u64_e64 s[4:5], 0, v[2:3]
	s_and_b64 s[6:7], s[4:5], vcc
	; wave barrier
	s_and_saveexec_b64 s[4:5], s[6:7]
	s_cbranch_execz .LBB1988_41
; %bb.40:
	v_bcnt_u32_b32 v2, v2, 0
	v_bcnt_u32_b32 v2, v3, v2
	s_waitcnt lgkmcnt(0)
	v_add_u32_e32 v2, v9, v2
	ds_write_b32 v41, v2 offset:64
.LBB1988_41:
	s_or_b64 exec, exec, s[4:5]
	v_xor_b32_e32 v42, 0xffff8000, v6
	v_lshrrev_b32_sdwa v2, s24, v42 dst_sel:DWORD dst_unused:UNUSED_PAD src0_sel:DWORD src1_sel:WORD_0
	v_and_b32_e32 v46, s27, v2
	v_mul_u32_u24_e32 v2, 17, v46
	v_add_lshl_u32 v45, v26, v2, 2
	v_and_b32_e32 v2, 1, v46
	v_mov_b32_e32 v3, 0
	v_lshl_add_u64 v[4:5], v[2:3], 0, -1
	v_cmp_ne_u32_e32 vcc, 0, v2
	; wave barrier
	s_nop 1
	v_xor_b32_e32 v4, vcc_lo, v4
	v_xor_b32_e32 v2, vcc_hi, v5
	v_and_b32_e32 v47, exec_lo, v4
	v_lshlrev_b32_e32 v5, 30, v46
	v_mov_b32_e32 v4, v3
	v_cmp_gt_i64_e32 vcc, 0, v[4:5]
	v_not_b32_e32 v4, v5
	v_ashrrev_i32_e32 v4, 31, v4
	v_and_b32_e32 v2, exec_hi, v2
	v_xor_b32_e32 v5, vcc_hi, v4
	v_xor_b32_e32 v4, vcc_lo, v4
	v_and_b32_e32 v2, v2, v5
	v_and_b32_e32 v47, v47, v4
	v_lshlrev_b32_e32 v5, 29, v46
	v_mov_b32_e32 v4, v3
	v_cmp_gt_i64_e32 vcc, 0, v[4:5]
	v_not_b32_e32 v4, v5
	v_ashrrev_i32_e32 v4, 31, v4
	v_xor_b32_e32 v5, vcc_hi, v4
	v_xor_b32_e32 v4, vcc_lo, v4
	v_and_b32_e32 v2, v2, v5
	v_and_b32_e32 v47, v47, v4
	v_lshlrev_b32_e32 v5, 28, v46
	v_mov_b32_e32 v4, v3
	v_cmp_gt_i64_e32 vcc, 0, v[4:5]
	v_not_b32_e32 v4, v5
	v_ashrrev_i32_e32 v4, 31, v4
	;; [unrolled: 9-line block ×6, first 2 shown]
	v_xor_b32_e32 v5, vcc_hi, v4
	v_xor_b32_e32 v4, vcc_lo, v4
	ds_read_b32 v44, v45 offset:64
	v_and_b32_e32 v4, v47, v4
	v_and_b32_e32 v5, v2, v5
	v_mbcnt_lo_u32_b32 v2, v4, 0
	v_mbcnt_hi_u32_b32 v46, v5, v2
	v_cmp_eq_u32_e32 vcc, 0, v46
	v_cmp_ne_u64_e64 s[4:5], 0, v[4:5]
	s_movk_i32 s6, 0x8000
	s_and_b64 s[8:9], s[4:5], vcc
	; wave barrier
	s_and_saveexec_b64 s[4:5], s[8:9]
	s_cbranch_execz .LBB1988_43
; %bb.42:
	v_bcnt_u32_b32 v2, v4, 0
	v_bcnt_u32_b32 v2, v5, v2
	s_waitcnt lgkmcnt(0)
	v_add_u32_e32 v2, v44, v2
	ds_write_b32 v45, v2 offset:64
.LBB1988_43:
	s_or_b64 exec, exec, s[4:5]
	v_xor_b32_sdwa v6, v6, s6 dst_sel:DWORD dst_unused:UNUSED_PAD src0_sel:WORD_1 src1_sel:DWORD
	v_lshrrev_b32_sdwa v2, s24, v6 dst_sel:DWORD dst_unused:UNUSED_PAD src0_sel:DWORD src1_sel:WORD_0
	v_and_b32_e32 v49, s27, v2
	v_mul_u32_u24_e32 v2, 17, v49
	v_add_lshl_u32 v48, v26, v2, 2
	v_and_b32_e32 v2, 1, v49
	v_lshl_add_u64 v[4:5], v[2:3], 0, -1
	v_cmp_ne_u32_e32 vcc, 0, v2
	; wave barrier
	s_nop 1
	v_xor_b32_e32 v4, vcc_lo, v4
	v_xor_b32_e32 v2, vcc_hi, v5
	v_and_b32_e32 v50, exec_lo, v4
	v_lshlrev_b32_e32 v5, 30, v49
	v_mov_b32_e32 v4, v3
	v_cmp_gt_i64_e32 vcc, 0, v[4:5]
	v_not_b32_e32 v4, v5
	v_ashrrev_i32_e32 v4, 31, v4
	v_and_b32_e32 v2, exec_hi, v2
	v_xor_b32_e32 v5, vcc_hi, v4
	v_xor_b32_e32 v4, vcc_lo, v4
	v_and_b32_e32 v2, v2, v5
	v_and_b32_e32 v50, v50, v4
	v_lshlrev_b32_e32 v5, 29, v49
	v_mov_b32_e32 v4, v3
	v_cmp_gt_i64_e32 vcc, 0, v[4:5]
	v_not_b32_e32 v4, v5
	v_ashrrev_i32_e32 v4, 31, v4
	v_xor_b32_e32 v5, vcc_hi, v4
	v_xor_b32_e32 v4, vcc_lo, v4
	v_and_b32_e32 v2, v2, v5
	v_and_b32_e32 v50, v50, v4
	v_lshlrev_b32_e32 v5, 28, v49
	v_mov_b32_e32 v4, v3
	v_cmp_gt_i64_e32 vcc, 0, v[4:5]
	v_not_b32_e32 v4, v5
	v_ashrrev_i32_e32 v4, 31, v4
	;; [unrolled: 9-line block ×5, first 2 shown]
	v_xor_b32_e32 v5, vcc_hi, v4
	v_xor_b32_e32 v4, vcc_lo, v4
	v_and_b32_e32 v2, v2, v5
	v_lshlrev_b32_e32 v5, 24, v49
	v_and_b32_e32 v50, v50, v4
	v_mov_b32_e32 v4, v3
	v_not_b32_e32 v3, v5
	v_cmp_gt_i64_e32 vcc, 0, v[4:5]
	v_ashrrev_i32_e32 v3, 31, v3
	ds_read_b32 v47, v48 offset:64
	v_xor_b32_e32 v4, vcc_hi, v3
	v_xor_b32_e32 v5, vcc_lo, v3
	v_and_b32_e32 v3, v2, v4
	v_and_b32_e32 v2, v50, v5
	v_mbcnt_lo_u32_b32 v4, v2, 0
	v_mbcnt_hi_u32_b32 v50, v3, v4
	v_cmp_eq_u32_e32 vcc, 0, v50
	v_cmp_ne_u64_e64 s[4:5], 0, v[2:3]
	s_and_b64 s[6:7], s[4:5], vcc
	; wave barrier
	s_and_saveexec_b64 s[4:5], s[6:7]
	s_cbranch_execz .LBB1988_45
; %bb.44:
	v_bcnt_u32_b32 v2, v2, 0
	v_bcnt_u32_b32 v2, v3, v2
	s_waitcnt lgkmcnt(0)
	v_add_u32_e32 v2, v47, v2
	ds_write_b32 v48, v2 offset:64
.LBB1988_45:
	s_or_b64 exec, exec, s[4:5]
	v_xor_b32_e32 v49, 0xffff8000, v7
	v_lshrrev_b32_sdwa v2, s24, v49 dst_sel:DWORD dst_unused:UNUSED_PAD src0_sel:DWORD src1_sel:WORD_0
	v_and_b32_e32 v53, s27, v2
	v_mul_u32_u24_e32 v2, 17, v53
	v_add_lshl_u32 v52, v26, v2, 2
	v_and_b32_e32 v2, 1, v53
	v_mov_b32_e32 v3, 0
	v_lshl_add_u64 v[4:5], v[2:3], 0, -1
	v_cmp_ne_u32_e32 vcc, 0, v2
	; wave barrier
	s_nop 1
	v_xor_b32_e32 v4, vcc_lo, v4
	v_xor_b32_e32 v2, vcc_hi, v5
	v_and_b32_e32 v54, exec_lo, v4
	v_lshlrev_b32_e32 v5, 30, v53
	v_mov_b32_e32 v4, v3
	v_cmp_gt_i64_e32 vcc, 0, v[4:5]
	v_not_b32_e32 v4, v5
	v_ashrrev_i32_e32 v4, 31, v4
	v_and_b32_e32 v2, exec_hi, v2
	v_xor_b32_e32 v5, vcc_hi, v4
	v_xor_b32_e32 v4, vcc_lo, v4
	v_and_b32_e32 v2, v2, v5
	v_and_b32_e32 v54, v54, v4
	v_lshlrev_b32_e32 v5, 29, v53
	v_mov_b32_e32 v4, v3
	v_cmp_gt_i64_e32 vcc, 0, v[4:5]
	v_not_b32_e32 v4, v5
	v_ashrrev_i32_e32 v4, 31, v4
	v_xor_b32_e32 v5, vcc_hi, v4
	v_xor_b32_e32 v4, vcc_lo, v4
	v_and_b32_e32 v2, v2, v5
	v_and_b32_e32 v54, v54, v4
	v_lshlrev_b32_e32 v5, 28, v53
	v_mov_b32_e32 v4, v3
	v_cmp_gt_i64_e32 vcc, 0, v[4:5]
	v_not_b32_e32 v4, v5
	v_ashrrev_i32_e32 v4, 31, v4
	;; [unrolled: 9-line block ×6, first 2 shown]
	v_xor_b32_e32 v5, vcc_hi, v4
	v_xor_b32_e32 v4, vcc_lo, v4
	ds_read_b32 v51, v52 offset:64
	v_and_b32_e32 v4, v54, v4
	v_and_b32_e32 v5, v2, v5
	v_mbcnt_lo_u32_b32 v2, v4, 0
	v_mbcnt_hi_u32_b32 v53, v5, v2
	v_cmp_eq_u32_e32 vcc, 0, v53
	v_cmp_ne_u64_e64 s[4:5], 0, v[4:5]
	s_movk_i32 s6, 0x8000
	s_and_b64 s[8:9], s[4:5], vcc
	; wave barrier
	s_and_saveexec_b64 s[4:5], s[8:9]
	s_cbranch_execz .LBB1988_47
; %bb.46:
	v_bcnt_u32_b32 v2, v4, 0
	v_bcnt_u32_b32 v2, v5, v2
	s_waitcnt lgkmcnt(0)
	v_add_u32_e32 v2, v51, v2
	ds_write_b32 v52, v2 offset:64
.LBB1988_47:
	s_or_b64 exec, exec, s[4:5]
	v_xor_b32_sdwa v7, v7, s6 dst_sel:DWORD dst_unused:UNUSED_PAD src0_sel:WORD_1 src1_sel:DWORD
	v_lshrrev_b32_sdwa v2, s24, v7 dst_sel:DWORD dst_unused:UNUSED_PAD src0_sel:DWORD src1_sel:WORD_0
	v_and_b32_e32 v54, s27, v2
	v_mul_u32_u24_e32 v2, 17, v54
	v_add_lshl_u32 v55, v26, v2, 2
	v_and_b32_e32 v2, 1, v54
	v_lshl_add_u64 v[4:5], v[2:3], 0, -1
	v_cmp_ne_u32_e32 vcc, 0, v2
	; wave barrier
	s_nop 1
	v_xor_b32_e32 v4, vcc_lo, v4
	v_xor_b32_e32 v2, vcc_hi, v5
	v_and_b32_e32 v57, exec_lo, v4
	v_lshlrev_b32_e32 v5, 30, v54
	v_mov_b32_e32 v4, v3
	v_cmp_gt_i64_e32 vcc, 0, v[4:5]
	v_not_b32_e32 v4, v5
	v_ashrrev_i32_e32 v4, 31, v4
	v_and_b32_e32 v2, exec_hi, v2
	v_xor_b32_e32 v5, vcc_hi, v4
	v_xor_b32_e32 v4, vcc_lo, v4
	v_and_b32_e32 v2, v2, v5
	v_and_b32_e32 v57, v57, v4
	v_lshlrev_b32_e32 v5, 29, v54
	v_mov_b32_e32 v4, v3
	v_cmp_gt_i64_e32 vcc, 0, v[4:5]
	v_not_b32_e32 v4, v5
	v_ashrrev_i32_e32 v4, 31, v4
	v_xor_b32_e32 v5, vcc_hi, v4
	v_xor_b32_e32 v4, vcc_lo, v4
	v_and_b32_e32 v2, v2, v5
	v_and_b32_e32 v57, v57, v4
	v_lshlrev_b32_e32 v5, 28, v54
	v_mov_b32_e32 v4, v3
	v_cmp_gt_i64_e32 vcc, 0, v[4:5]
	v_not_b32_e32 v4, v5
	v_ashrrev_i32_e32 v4, 31, v4
	;; [unrolled: 9-line block ×5, first 2 shown]
	v_xor_b32_e32 v5, vcc_hi, v4
	v_xor_b32_e32 v4, vcc_lo, v4
	v_and_b32_e32 v2, v2, v5
	v_lshlrev_b32_e32 v5, 24, v54
	v_and_b32_e32 v57, v57, v4
	v_mov_b32_e32 v4, v3
	v_not_b32_e32 v3, v5
	v_cmp_gt_i64_e32 vcc, 0, v[4:5]
	v_ashrrev_i32_e32 v3, 31, v3
	ds_read_b32 v26, v55 offset:64
	v_xor_b32_e32 v4, vcc_hi, v3
	v_xor_b32_e32 v5, vcc_lo, v3
	v_and_b32_e32 v3, v2, v4
	v_and_b32_e32 v2, v57, v5
	v_mbcnt_lo_u32_b32 v4, v2, 0
	v_mbcnt_hi_u32_b32 v57, v3, v4
	v_cmp_eq_u32_e32 vcc, 0, v57
	v_cmp_ne_u64_e64 s[4:5], 0, v[2:3]
	v_add_u32_e32 v56, 64, v15
	s_and_b64 s[6:7], s[4:5], vcc
	; wave barrier
	s_and_saveexec_b64 s[4:5], s[6:7]
	s_cbranch_execz .LBB1988_49
; %bb.48:
	v_bcnt_u32_b32 v2, v2, 0
	v_bcnt_u32_b32 v2, v3, v2
	s_waitcnt lgkmcnt(0)
	v_add_u32_e32 v2, v26, v2
	ds_write_b32 v55, v2 offset:64
.LBB1988_49:
	s_or_b64 exec, exec, s[4:5]
	; wave barrier
	s_waitcnt lgkmcnt(0)
	s_barrier
	ds_read2_b32 v[4:5], v15 offset0:16 offset1:17
	ds_read2_b32 v[2:3], v56 offset0:2 offset1:3
	ds_read_b32 v54, v56 offset:16
	v_cmp_lt_u32_e64 s[10:11], 31, v11
	s_waitcnt lgkmcnt(1)
	v_add3_u32 v58, v5, v4, v2
	s_waitcnt lgkmcnt(0)
	v_add3_u32 v54, v58, v3, v54
	v_and_b32_e32 v58, 15, v11
	v_cmp_eq_u32_e32 vcc, 0, v58
	v_mov_b32_dpp v59, v54 row_shr:1 row_mask:0xf bank_mask:0xf
	v_cmp_lt_u32_e64 s[8:9], 1, v58
	v_cndmask_b32_e64 v59, v59, 0, vcc
	v_add_u32_e32 v54, v59, v54
	v_cmp_lt_u32_e64 s[4:5], 3, v58
	v_cmp_lt_u32_e64 s[6:7], 7, v58
	v_mov_b32_dpp v59, v54 row_shr:2 row_mask:0xf bank_mask:0xf
	v_cndmask_b32_e64 v59, 0, v59, s[8:9]
	v_add_u32_e32 v54, v54, v59
	s_nop 1
	v_mov_b32_dpp v59, v54 row_shr:4 row_mask:0xf bank_mask:0xf
	v_cndmask_b32_e64 v59, 0, v59, s[4:5]
	v_add_u32_e32 v54, v54, v59
	s_nop 1
	v_mov_b32_dpp v59, v54 row_shr:8 row_mask:0xf bank_mask:0xf
	v_cndmask_b32_e64 v58, 0, v59, s[6:7]
	v_add_u32_e32 v54, v54, v58
	v_bfe_i32 v59, v11, 4, 1
	s_nop 0
	v_mov_b32_dpp v58, v54 row_bcast:15 row_mask:0xf bank_mask:0xf
	v_and_b32_e32 v58, v59, v58
	v_add_u32_e32 v54, v54, v58
	v_lshrrev_b32_e32 v59, 6, v10
	s_nop 0
	v_mov_b32_dpp v58, v54 row_bcast:31 row_mask:0xf bank_mask:0xf
	v_cndmask_b32_e64 v58, 0, v58, s[10:11]
	v_add_u32_e32 v58, v54, v58
	v_and_b32_e32 v54, 63, v10
	v_cmp_eq_u32_e64 s[10:11], 63, v54
	s_and_saveexec_b64 s[12:13], s[10:11]
	s_cbranch_execz .LBB1988_51
; %bb.50:
	v_lshlrev_b32_e32 v54, 2, v59
	ds_write_b32 v54, v58
.LBB1988_51:
	s_or_b64 exec, exec, s[12:13]
	v_cmp_gt_u32_e64 s[10:11], 16, v10
	v_lshlrev_b32_e32 v54, 2, v10
	s_waitcnt lgkmcnt(0)
	s_barrier
	s_and_saveexec_b64 s[12:13], s[10:11]
	s_cbranch_execz .LBB1988_53
; %bb.52:
	ds_read_b32 v60, v54
	s_waitcnt lgkmcnt(0)
	s_nop 0
	v_mov_b32_dpp v61, v60 row_shr:1 row_mask:0xf bank_mask:0xf
	v_cndmask_b32_e64 v61, v61, 0, vcc
	v_add_u32_e32 v60, v61, v60
	s_nop 1
	v_mov_b32_dpp v61, v60 row_shr:2 row_mask:0xf bank_mask:0xf
	v_cndmask_b32_e64 v61, 0, v61, s[8:9]
	v_add_u32_e32 v60, v60, v61
	s_nop 1
	v_mov_b32_dpp v61, v60 row_shr:4 row_mask:0xf bank_mask:0xf
	v_cndmask_b32_e64 v61, 0, v61, s[4:5]
	;; [unrolled: 4-line block ×3, first 2 shown]
	v_add_u32_e32 v60, v60, v61
	ds_write_b32 v54, v60
.LBB1988_53:
	s_or_b64 exec, exec, s[12:13]
	v_cmp_lt_u32_e32 vcc, 63, v10
	v_mov_b32_e32 v60, 0
	s_waitcnt lgkmcnt(0)
	s_barrier
	s_and_saveexec_b64 s[4:5], vcc
	s_cbranch_execz .LBB1988_55
; %bb.54:
	v_lshl_add_u32 v59, v59, 2, -4
	ds_read_b32 v60, v59
.LBB1988_55:
	s_or_b64 exec, exec, s[4:5]
	v_add_u32_e32 v59, -1, v11
	v_and_b32_e32 v61, 64, v11
	v_cmp_lt_i32_e32 vcc, v59, v61
	s_waitcnt lgkmcnt(0)
	v_add_u32_e32 v58, v60, v58
	s_movk_i32 s4, 0x100
	v_cndmask_b32_e32 v59, v59, v11, vcc
	v_lshlrev_b32_e32 v59, 2, v59
	ds_bpermute_b32 v58, v59, v58
	v_cmp_eq_u32_e32 vcc, 0, v11
	s_waitcnt lgkmcnt(0)
	s_nop 0
	v_cndmask_b32_e32 v11, v58, v60, vcc
	v_cmp_ne_u32_e32 vcc, 0, v10
	s_nop 1
	v_cndmask_b32_e32 v11, 0, v11, vcc
	v_add_u32_e32 v4, v11, v4
	v_add_u32_e32 v5, v4, v5
	v_add_u32_e32 v2, v5, v2
	v_add_u32_e32 v3, v2, v3
	ds_write2_b32 v15, v11, v4 offset0:16 offset1:17
	ds_write2_b32 v56, v5, v2 offset0:2 offset1:3
	ds_write_b32 v56, v3 offset:16
	s_waitcnt lgkmcnt(0)
	s_barrier
	ds_read_b32 v60, v19 offset:64
	ds_read_b32 v59, v20 offset:64
	;; [unrolled: 1-line block ×12, first 2 shown]
	v_cmp_gt_u32_e32 vcc, s4, v10
                                        ; implicit-def: $vgpr11
                                        ; implicit-def: $vgpr15
	s_and_saveexec_b64 s[6:7], vcc
	s_cbranch_execz .LBB1988_59
; %bb.56:
	v_mul_u32_u24_e32 v11, 17, v10
	v_lshlrev_b32_e32 v31, 2, v11
	ds_read_b32 v11, v31 offset:64
	s_movk_i32 s4, 0xff
	v_cmp_ne_u32_e64 s[4:5], s4, v10
	v_mov_b32_e32 v15, 0x3000
	s_and_saveexec_b64 s[8:9], s[4:5]
	s_cbranch_execz .LBB1988_58
; %bb.57:
	ds_read_b32 v15, v31 offset:132
.LBB1988_58:
	s_or_b64 exec, exec, s[8:9]
	s_waitcnt lgkmcnt(0)
	v_sub_u32_e32 v15, v15, v11
.LBB1988_59:
	s_or_b64 exec, exec, s[6:7]
	v_add_u32_e32 v18, v21, v18
	s_waitcnt lgkmcnt(11)
	v_add_lshl_u32 v16, v60, v16, 1
	v_add_u32_e32 v13, v28, v13
	v_add_u32_e32 v23, v25, v23
	s_waitcnt lgkmcnt(0)
	s_barrier
	ds_write_b16 v16, v14 offset:1024
	v_add_lshl_u32 v14, v18, v59, 1
	v_add_u32_e32 v30, v33, v30
	ds_write_b16 v14, v17 offset:1024
	v_add_lshl_u32 v14, v23, v58, 1
	v_add_lshl_u32 v13, v13, v56, 1
	v_add_u32_e32 v34, v37, v34
	ds_write_b16 v14, v22 offset:1024
	ds_write_b16 v13, v12 offset:1024
	v_add_lshl_u32 v12, v30, v27, 1
	v_add_u32_e32 v26, v57, v26
	v_add_u32_e32 v31, v53, v51
	;; [unrolled: 1-line block ×6, first 2 shown]
	ds_write_b16 v12, v29 offset:1024
	v_add_lshl_u32 v12, v34, v24, 1
	ds_write_b16 v12, v32 offset:1024
	v_add_lshl_u32 v12, v38, v20, 1
	v_add_lshl_u32 v9, v9, v19, 1
	;; [unrolled: 1-line block ×6, first 2 shown]
	ds_write_b16 v12, v36 offset:1024
	ds_write_b16 v9, v8 offset:1024
	;; [unrolled: 1-line block ×6, first 2 shown]
	s_and_saveexec_b64 s[6:7], vcc
	s_cbranch_execz .LBB1988_69
; %bb.60:
	v_lshl_or_b32 v4, s2, 8, v10
	v_mov_b32_e32 v5, 0
	v_lshl_add_u64 v[2:3], v[4:5], 2, s[28:29]
	v_or_b32_e32 v4, 2.0, v15
	s_mov_b64 s[8:9], 0
	s_brev_b32 s14, 1
	s_mov_b32 s15, s2
	v_mov_b32_e32 v8, 0
	global_store_dword v[2:3], v4, off sc1
                                        ; implicit-def: $sgpr4_sgpr5
	s_branch .LBB1988_62
.LBB1988_61:                            ;   in Loop: Header=BB1988_62 Depth=1
	s_or_b64 exec, exec, s[10:11]
	v_and_b32_e32 v6, 0x3fffffff, v9
	v_add_u32_e32 v8, v6, v8
	v_cmp_eq_u32_e64 s[4:5], s14, v4
	s_and_b64 s[10:11], exec, s[4:5]
	s_or_b64 s[8:9], s[10:11], s[8:9]
	s_andn2_b64 exec, exec, s[8:9]
	s_cbranch_execz .LBB1988_68
.LBB1988_62:                            ; =>This Loop Header: Depth=1
                                        ;     Child Loop BB1988_65 Depth 2
	s_or_b64 s[4:5], s[4:5], exec
	s_cmp_eq_u32 s15, 0
	s_cbranch_scc1 .LBB1988_67
; %bb.63:                               ;   in Loop: Header=BB1988_62 Depth=1
	s_add_i32 s15, s15, -1
	v_lshl_or_b32 v4, s15, 8, v10
	v_lshl_add_u64 v[6:7], v[4:5], 2, s[28:29]
	global_load_dword v9, v[6:7], off sc1
	s_waitcnt vmcnt(0)
	v_and_b32_e32 v4, -2.0, v9
	v_cmp_eq_u32_e64 s[4:5], 0, v4
	s_and_saveexec_b64 s[10:11], s[4:5]
	s_cbranch_execz .LBB1988_61
; %bb.64:                               ;   in Loop: Header=BB1988_62 Depth=1
	s_mov_b64 s[12:13], 0
.LBB1988_65:                            ;   Parent Loop BB1988_62 Depth=1
                                        ; =>  This Inner Loop Header: Depth=2
	global_load_dword v9, v[6:7], off sc1
	s_waitcnt vmcnt(0)
	v_and_b32_e32 v4, -2.0, v9
	v_cmp_ne_u32_e64 s[4:5], 0, v4
	s_or_b64 s[12:13], s[4:5], s[12:13]
	s_andn2_b64 exec, exec, s[12:13]
	s_cbranch_execnz .LBB1988_65
; %bb.66:                               ;   in Loop: Header=BB1988_62 Depth=1
	s_or_b64 exec, exec, s[12:13]
	s_branch .LBB1988_61
.LBB1988_67:                            ;   in Loop: Header=BB1988_62 Depth=1
                                        ; implicit-def: $sgpr15
	s_and_b64 s[10:11], exec, s[4:5]
	s_or_b64 s[8:9], s[10:11], s[8:9]
	s_andn2_b64 exec, exec, s[8:9]
	s_cbranch_execnz .LBB1988_62
.LBB1988_68:
	s_or_b64 exec, exec, s[8:9]
	v_add_u32_e32 v4, v8, v15
	v_or_b32_e32 v4, 0x80000000, v4
	global_store_dword v[2:3], v4, off sc1
	global_load_dword v2, v54, s[16:17]
	v_sub_u32_e32 v3, v8, v11
	s_waitcnt vmcnt(0)
	v_add_u32_e32 v2, v3, v2
	ds_write_b32 v54, v2
.LBB1988_69:
	s_or_b64 exec, exec, s[6:7]
	v_cmp_gt_u32_e64 s[4:5], s3, v10
	v_lshlrev_b32_e32 v2, 1, v10
	s_waitcnt lgkmcnt(0)
	s_barrier
	s_and_saveexec_b64 s[6:7], s[4:5]
	s_cbranch_execz .LBB1988_71
; %bb.70:
	ds_read_u16 v3, v2 offset:1024
	v_mov_b32_e32 v5, 0
	s_waitcnt lgkmcnt(0)
	v_lshrrev_b32_sdwa v4, s24, v3 dst_sel:DWORD dst_unused:UNUSED_PAD src0_sel:DWORD src1_sel:WORD_0
	v_and_b32_e32 v4, s27, v4
	v_lshlrev_b32_e32 v4, 2, v4
	ds_read_b32 v4, v4
	v_xor_b32_e32 v3, 0xffff8000, v3
	s_waitcnt lgkmcnt(0)
	v_add_u32_e32 v4, v4, v10
	v_lshl_add_u64 v[4:5], v[4:5], 1, s[22:23]
	global_store_short v[4:5], v3, off
.LBB1988_71:
	s_or_b64 exec, exec, s[6:7]
	v_or_b32_e32 v3, 0x400, v10
	v_cmp_gt_u32_e64 s[4:5], s3, v3
	s_and_saveexec_b64 s[6:7], s[4:5]
	s_cbranch_execz .LBB1988_73
; %bb.72:
	ds_read_u16 v4, v2 offset:3072
	s_waitcnt lgkmcnt(0)
	v_lshrrev_b32_sdwa v5, s24, v4 dst_sel:DWORD dst_unused:UNUSED_PAD src0_sel:DWORD src1_sel:WORD_0
	v_and_b32_e32 v5, s27, v5
	v_lshlrev_b32_e32 v5, 2, v5
	ds_read_b32 v5, v5
	v_xor_b32_e32 v6, 0xffff8000, v4
	s_waitcnt lgkmcnt(0)
	v_add_u32_e32 v4, v5, v3
	v_mov_b32_e32 v5, 0
	v_lshl_add_u64 v[4:5], v[4:5], 1, s[22:23]
	global_store_short v[4:5], v6, off
.LBB1988_73:
	s_or_b64 exec, exec, s[6:7]
	v_or_b32_e32 v3, 0x800, v10
	v_cmp_gt_u32_e64 s[4:5], s3, v3
	s_and_saveexec_b64 s[6:7], s[4:5]
	s_cbranch_execz .LBB1988_75
; %bb.74:
	ds_read_u16 v4, v2 offset:5120
	s_waitcnt lgkmcnt(0)
	v_lshrrev_b32_sdwa v5, s24, v4 dst_sel:DWORD dst_unused:UNUSED_PAD src0_sel:DWORD src1_sel:WORD_0
	v_and_b32_e32 v5, s27, v5
	v_lshlrev_b32_e32 v5, 2, v5
	ds_read_b32 v5, v5
	v_xor_b32_e32 v6, 0xffff8000, v4
	s_waitcnt lgkmcnt(0)
	v_add_u32_e32 v4, v5, v3
	v_mov_b32_e32 v5, 0
	v_lshl_add_u64 v[4:5], v[4:5], 1, s[22:23]
	global_store_short v[4:5], v6, off
.LBB1988_75:
	;; [unrolled: 19-line block ×11, first 2 shown]
	s_or_b64 exec, exec, s[6:7]
	s_add_i32 s26, s26, -1
	s_cmp_eq_u32 s26, s2
	s_cselect_b64 s[4:5], -1, 0
	s_and_b64 s[6:7], vcc, s[4:5]
	s_mov_b64 s[4:5], 0
	s_mov_b64 s[10:11], 0
                                        ; implicit-def: $vgpr2
	s_and_saveexec_b64 s[8:9], s[6:7]
	s_xor_b64 s[6:7], exec, s[8:9]
; %bb.94:
	s_mov_b64 s[10:11], exec
	v_add_u32_e32 v2, v11, v15
	v_mov_b32_e32 v11, 0
; %bb.95:
	s_or_b64 exec, exec, s[6:7]
	s_and_b64 vcc, exec, s[4:5]
	s_cbranch_vccnz .LBB1988_97
	s_branch .LBB1988_146
.LBB1988_96:
	s_mov_b64 s[10:11], 0
                                        ; implicit-def: $vgpr2
                                        ; implicit-def: $vgpr10_vgpr11
	s_cbranch_execz .LBB1988_146
.LBB1988_97:
	s_mov_b32 s31, 0
	v_and_b32_e32 v10, 0x3ff, v0
	s_lshl_b64 s[4:5], s[30:31], 1
	v_mbcnt_hi_u32_b32 v4, -1, v1
	s_add_u32 s4, s20, s4
	v_and_b32_e32 v1, 63, v4
	v_and_b32_e32 v2, 0x3c0, v10
	s_addc_u32 s5, s21, s5
	v_mov_b32_e32 v3, 0
	v_mul_u32_u24_e32 v5, 12, v2
	v_lshlrev_b32_e32 v2, 1, v1
	v_lshl_add_u64 v[6:7], s[4:5], 0, v[2:3]
	s_load_dword s4, s[0:1], 0x64
	s_load_dword s3, s[0:1], 0x58
	s_add_u32 s0, s0, 0x58
	v_lshlrev_b32_e32 v2, 1, v5
	s_addc_u32 s1, s1, 0
	s_waitcnt lgkmcnt(0)
	s_lshr_b32 s4, s4, 16
	v_lshl_add_u64 v[12:13], v[6:7], 0, v[2:3]
	s_cmp_lt_u32 s2, s3
	global_load_ushort v1, v[12:13], off
	s_cselect_b32 s5, 12, 18
	s_add_u32 s0, s0, s5
	s_addc_u32 s1, s1, 0
	global_load_ushort v7, v3, s[0:1]
	v_mul_u32_u24_e32 v6, 5, v10
	v_lshlrev_b32_e32 v6, 2, v6
	ds_write2_b32 v6, v3, v3 offset0:16 offset1:17
	ds_write2_b32 v6, v3, v3 offset0:18 offset1:19
	ds_write_b32 v6, v3 offset:80
	global_load_ushort v9, v[12:13], off offset:128
	global_load_ushort v14, v[12:13], off offset:256
	;; [unrolled: 1-line block ×11, first 2 shown]
	v_bfe_u32 v2, v0, 10, 10
	v_bfe_u32 v5, v0, 20, 10
	v_mad_u32_u24 v8, v5, s4, v2
	s_lshl_b32 s0, -1, s25
	s_not_b32 s14, s0
	v_mov_b32_e32 v0, v3
	v_mov_b32_e32 v18, v3
	;; [unrolled: 1-line block ×4, first 2 shown]
	s_waitcnt lgkmcnt(0)
	s_barrier
	s_waitcnt lgkmcnt(0)
	; wave barrier
	s_waitcnt vmcnt(12)
	v_xor_b32_e32 v5, 0xffff8000, v1
	v_lshrrev_b32_sdwa v1, s24, v5 dst_sel:DWORD dst_unused:UNUSED_PAD src0_sel:DWORD src1_sel:WORD_0
	v_and_b32_e32 v11, s14, v1
	v_and_b32_e32 v2, 1, v11
	v_lshlrev_b32_e32 v1, 30, v11
	s_waitcnt vmcnt(11)
	v_mad_u64_u32 v[12:13], s[0:1], v8, v7, v[10:11]
	v_lshlrev_b32_e32 v19, 29, v11
	v_lshl_add_u64 v[36:37], v[2:3], 0, -1
	v_cmp_ne_u32_e32 vcc, 0, v2
	v_cmp_gt_i64_e64 s[0:1], 0, v[0:1]
	v_not_b32_e32 v0, v1
	v_mul_u32_u24_e32 v15, 17, v11
	v_lshlrev_b32_e32 v27, 28, v11
	v_cmp_gt_i64_e64 s[4:5], 0, v[18:19]
	v_not_b32_e32 v1, v19
	v_lshrrev_b32_e32 v18, 6, v12
	v_xor_b32_e32 v12, vcc_hi, v37
	v_xor_b32_e32 v13, vcc_lo, v36
	v_ashrrev_i32_e32 v0, 31, v0
	v_lshlrev_b32_e32 v31, 27, v11
	v_not_b32_e32 v2, v27
	v_ashrrev_i32_e32 v1, 31, v1
	v_add_lshl_u32 v8, v18, v15, 2
	v_and_b32_e32 v12, exec_hi, v12
	v_and_b32_e32 v13, exec_lo, v13
	v_xor_b32_e32 v15, s1, v0
	v_xor_b32_e32 v0, s0, v0
	v_cmp_gt_i64_e64 s[6:7], 0, v[26:27]
	v_not_b32_e32 v7, v31
	v_ashrrev_i32_e32 v2, 31, v2
	v_xor_b32_e32 v16, s5, v1
	v_xor_b32_e32 v1, s4, v1
	v_and_b32_e32 v12, v12, v15
	v_and_b32_e32 v0, v13, v0
	v_cmp_gt_i64_e64 s[8:9], 0, v[30:31]
	v_ashrrev_i32_e32 v7, 31, v7
	v_xor_b32_e32 v19, s7, v2
	v_xor_b32_e32 v2, s6, v2
	v_and_b32_e32 v12, v12, v16
	v_and_b32_e32 v0, v0, v1
	;; [unrolled: 1-line block ×4, first 2 shown]
	v_xor_b32_e32 v2, s9, v7
	v_xor_b32_e32 v7, s8, v7
	v_and_b32_e32 v2, v1, v2
	v_and_b32_e32 v7, v0, v7
	v_lshlrev_b32_e32 v1, 26, v11
	v_mov_b32_e32 v0, v3
	v_cmp_gt_i64_e32 vcc, 0, v[0:1]
	v_not_b32_e32 v0, v1
	v_ashrrev_i32_e32 v0, 31, v0
	v_xor_b32_e32 v1, vcc_hi, v0
	v_xor_b32_e32 v0, vcc_lo, v0
	v_and_b32_e32 v2, v2, v1
	v_and_b32_e32 v7, v7, v0
	v_lshlrev_b32_e32 v1, 25, v11
	v_mov_b32_e32 v0, v3
	v_cmp_gt_i64_e32 vcc, 0, v[0:1]
	v_not_b32_e32 v0, v1
	v_ashrrev_i32_e32 v0, 31, v0
	v_xor_b32_e32 v1, vcc_hi, v0
	v_xor_b32_e32 v0, vcc_lo, v0
	;; [unrolled: 9-line block ×3, first 2 shown]
	v_and_b32_e32 v0, v7, v0
	v_and_b32_e32 v1, v2, v1
	v_mbcnt_lo_u32_b32 v2, v0, 0
	v_mbcnt_hi_u32_b32 v7, v1, v2
	v_cmp_eq_u32_e32 vcc, 0, v7
	v_cmp_ne_u64_e64 s[0:1], 0, v[0:1]
	s_and_b64 s[4:5], s[0:1], vcc
	s_and_saveexec_b64 s[0:1], s[4:5]
	s_cbranch_execz .LBB1988_99
; %bb.98:
	v_bcnt_u32_b32 v0, v0, 0
	v_bcnt_u32_b32 v0, v1, v0
	ds_write_b32 v8, v0 offset:64
.LBB1988_99:
	s_or_b64 exec, exec, s[0:1]
	s_waitcnt vmcnt(10)
	v_xor_b32_e32 v9, 0xffff8000, v9
	v_lshrrev_b32_sdwa v0, s24, v9 dst_sel:DWORD dst_unused:UNUSED_PAD src0_sel:DWORD src1_sel:WORD_0
	v_and_b32_e32 v13, s14, v0
	v_mul_u32_u24_e32 v0, 17, v13
	v_and_b32_e32 v2, 1, v13
	v_add_lshl_u32 v12, v18, v0, 2
	v_lshl_add_u64 v[0:1], v[2:3], 0, -1
	v_cmp_ne_u32_e32 vcc, 0, v2
	; wave barrier
	s_nop 1
	v_xor_b32_e32 v1, vcc_hi, v1
	v_xor_b32_e32 v0, vcc_lo, v0
	v_and_b32_e32 v2, exec_hi, v1
	v_and_b32_e32 v15, exec_lo, v0
	v_lshlrev_b32_e32 v1, 30, v13
	v_mov_b32_e32 v0, v3
	v_cmp_gt_i64_e32 vcc, 0, v[0:1]
	v_not_b32_e32 v0, v1
	v_ashrrev_i32_e32 v0, 31, v0
	v_xor_b32_e32 v1, vcc_hi, v0
	v_xor_b32_e32 v0, vcc_lo, v0
	v_and_b32_e32 v2, v2, v1
	v_and_b32_e32 v15, v15, v0
	v_lshlrev_b32_e32 v1, 29, v13
	v_mov_b32_e32 v0, v3
	v_cmp_gt_i64_e32 vcc, 0, v[0:1]
	v_not_b32_e32 v0, v1
	v_ashrrev_i32_e32 v0, 31, v0
	v_xor_b32_e32 v1, vcc_hi, v0
	v_xor_b32_e32 v0, vcc_lo, v0
	v_and_b32_e32 v2, v2, v1
	v_and_b32_e32 v15, v15, v0
	;; [unrolled: 9-line block ×6, first 2 shown]
	v_lshlrev_b32_e32 v1, 24, v13
	v_mov_b32_e32 v0, v3
	v_cmp_gt_i64_e32 vcc, 0, v[0:1]
	v_not_b32_e32 v0, v1
	v_ashrrev_i32_e32 v0, 31, v0
	v_xor_b32_e32 v1, vcc_hi, v0
	v_xor_b32_e32 v0, vcc_lo, v0
	ds_read_b32 v11, v12 offset:64
	v_and_b32_e32 v0, v15, v0
	v_and_b32_e32 v1, v2, v1
	v_mbcnt_lo_u32_b32 v2, v0, 0
	v_mbcnt_hi_u32_b32 v13, v1, v2
	v_cmp_eq_u32_e32 vcc, 0, v13
	v_cmp_ne_u64_e64 s[0:1], 0, v[0:1]
	s_and_b64 s[4:5], s[0:1], vcc
	; wave barrier
	s_and_saveexec_b64 s[0:1], s[4:5]
	s_cbranch_execz .LBB1988_101
; %bb.100:
	v_bcnt_u32_b32 v0, v0, 0
	v_bcnt_u32_b32 v0, v1, v0
	s_waitcnt lgkmcnt(0)
	v_add_u32_e32 v0, v11, v0
	ds_write_b32 v12, v0 offset:64
.LBB1988_101:
	s_or_b64 exec, exec, s[0:1]
	s_waitcnt vmcnt(9)
	v_xor_b32_e32 v14, 0xffff8000, v14
	v_lshrrev_b32_sdwa v0, s24, v14 dst_sel:DWORD dst_unused:UNUSED_PAD src0_sel:DWORD src1_sel:WORD_0
	v_and_b32_e32 v19, s14, v0
	v_mul_u32_u24_e32 v0, 17, v19
	v_add_lshl_u32 v16, v18, v0, 2
	v_and_b32_e32 v0, 1, v19
	v_mov_b32_e32 v1, 0
	v_lshl_add_u64 v[2:3], v[0:1], 0, -1
	v_cmp_ne_u32_e32 vcc, 0, v0
	; wave barrier
	s_nop 1
	v_xor_b32_e32 v2, vcc_lo, v2
	v_xor_b32_e32 v0, vcc_hi, v3
	v_and_b32_e32 v21, exec_lo, v2
	v_lshlrev_b32_e32 v3, 30, v19
	v_mov_b32_e32 v2, v1
	v_cmp_gt_i64_e32 vcc, 0, v[2:3]
	v_not_b32_e32 v2, v3
	v_ashrrev_i32_e32 v2, 31, v2
	v_and_b32_e32 v0, exec_hi, v0
	v_xor_b32_e32 v3, vcc_hi, v2
	v_xor_b32_e32 v2, vcc_lo, v2
	v_and_b32_e32 v0, v0, v3
	v_and_b32_e32 v21, v21, v2
	v_lshlrev_b32_e32 v3, 29, v19
	v_mov_b32_e32 v2, v1
	v_cmp_gt_i64_e32 vcc, 0, v[2:3]
	v_not_b32_e32 v2, v3
	v_ashrrev_i32_e32 v2, 31, v2
	v_xor_b32_e32 v3, vcc_hi, v2
	v_xor_b32_e32 v2, vcc_lo, v2
	v_and_b32_e32 v0, v0, v3
	v_and_b32_e32 v21, v21, v2
	v_lshlrev_b32_e32 v3, 28, v19
	v_mov_b32_e32 v2, v1
	v_cmp_gt_i64_e32 vcc, 0, v[2:3]
	v_not_b32_e32 v2, v3
	v_ashrrev_i32_e32 v2, 31, v2
	;; [unrolled: 9-line block ×6, first 2 shown]
	v_xor_b32_e32 v3, vcc_hi, v2
	v_xor_b32_e32 v2, vcc_lo, v2
	ds_read_b32 v15, v16 offset:64
	v_and_b32_e32 v2, v21, v2
	v_and_b32_e32 v3, v0, v3
	v_mbcnt_lo_u32_b32 v0, v2, 0
	v_mbcnt_hi_u32_b32 v19, v3, v0
	v_cmp_eq_u32_e32 vcc, 0, v19
	v_cmp_ne_u64_e64 s[0:1], 0, v[2:3]
	s_and_b64 s[4:5], s[0:1], vcc
	; wave barrier
	s_and_saveexec_b64 s[0:1], s[4:5]
	s_cbranch_execz .LBB1988_103
; %bb.102:
	v_bcnt_u32_b32 v0, v2, 0
	v_bcnt_u32_b32 v0, v3, v0
	s_waitcnt lgkmcnt(0)
	v_add_u32_e32 v0, v15, v0
	ds_write_b32 v16, v0 offset:64
.LBB1988_103:
	s_or_b64 exec, exec, s[0:1]
	s_waitcnt vmcnt(8)
	v_xor_b32_e32 v20, 0xffff8000, v20
	v_lshrrev_b32_sdwa v0, s24, v20 dst_sel:DWORD dst_unused:UNUSED_PAD src0_sel:DWORD src1_sel:WORD_0
	v_and_b32_e32 v24, s14, v0
	v_mul_u32_u24_e32 v0, 17, v24
	v_add_lshl_u32 v22, v18, v0, 2
	v_and_b32_e32 v0, 1, v24
	v_lshl_add_u64 v[2:3], v[0:1], 0, -1
	v_cmp_ne_u32_e32 vcc, 0, v0
	; wave barrier
	s_nop 1
	v_xor_b32_e32 v2, vcc_lo, v2
	v_xor_b32_e32 v0, vcc_hi, v3
	v_and_b32_e32 v26, exec_lo, v2
	v_lshlrev_b32_e32 v3, 30, v24
	v_mov_b32_e32 v2, v1
	v_cmp_gt_i64_e32 vcc, 0, v[2:3]
	v_not_b32_e32 v2, v3
	v_ashrrev_i32_e32 v2, 31, v2
	v_and_b32_e32 v0, exec_hi, v0
	v_xor_b32_e32 v3, vcc_hi, v2
	v_xor_b32_e32 v2, vcc_lo, v2
	v_and_b32_e32 v0, v0, v3
	v_and_b32_e32 v26, v26, v2
	v_lshlrev_b32_e32 v3, 29, v24
	v_mov_b32_e32 v2, v1
	v_cmp_gt_i64_e32 vcc, 0, v[2:3]
	v_not_b32_e32 v2, v3
	v_ashrrev_i32_e32 v2, 31, v2
	v_xor_b32_e32 v3, vcc_hi, v2
	v_xor_b32_e32 v2, vcc_lo, v2
	v_and_b32_e32 v0, v0, v3
	v_and_b32_e32 v26, v26, v2
	v_lshlrev_b32_e32 v3, 28, v24
	v_mov_b32_e32 v2, v1
	v_cmp_gt_i64_e32 vcc, 0, v[2:3]
	v_not_b32_e32 v2, v3
	v_ashrrev_i32_e32 v2, 31, v2
	;; [unrolled: 9-line block ×5, first 2 shown]
	v_xor_b32_e32 v3, vcc_hi, v2
	v_xor_b32_e32 v2, vcc_lo, v2
	v_and_b32_e32 v0, v0, v3
	v_lshlrev_b32_e32 v3, 24, v24
	v_and_b32_e32 v26, v26, v2
	v_mov_b32_e32 v2, v1
	v_not_b32_e32 v1, v3
	v_cmp_gt_i64_e32 vcc, 0, v[2:3]
	v_ashrrev_i32_e32 v1, 31, v1
	ds_read_b32 v21, v22 offset:64
	v_xor_b32_e32 v2, vcc_hi, v1
	v_xor_b32_e32 v3, vcc_lo, v1
	v_and_b32_e32 v1, v0, v2
	v_and_b32_e32 v0, v26, v3
	v_mbcnt_lo_u32_b32 v2, v0, 0
	v_mbcnt_hi_u32_b32 v24, v1, v2
	v_cmp_eq_u32_e32 vcc, 0, v24
	v_cmp_ne_u64_e64 s[0:1], 0, v[0:1]
	s_and_b64 s[4:5], s[0:1], vcc
	; wave barrier
	s_and_saveexec_b64 s[0:1], s[4:5]
	s_cbranch_execz .LBB1988_105
; %bb.104:
	v_bcnt_u32_b32 v0, v0, 0
	v_bcnt_u32_b32 v0, v1, v0
	s_waitcnt lgkmcnt(0)
	v_add_u32_e32 v0, v21, v0
	ds_write_b32 v22, v0 offset:64
.LBB1988_105:
	s_or_b64 exec, exec, s[0:1]
	s_waitcnt vmcnt(7)
	v_xor_b32_e32 v25, 0xffff8000, v25
	v_lshrrev_b32_sdwa v0, s24, v25 dst_sel:DWORD dst_unused:UNUSED_PAD src0_sel:DWORD src1_sel:WORD_0
	v_and_b32_e32 v30, s14, v0
	v_mul_u32_u24_e32 v0, 17, v30
	v_add_lshl_u32 v27, v18, v0, 2
	v_and_b32_e32 v0, 1, v30
	v_mov_b32_e32 v1, 0
	v_lshl_add_u64 v[2:3], v[0:1], 0, -1
	v_cmp_ne_u32_e32 vcc, 0, v0
	; wave barrier
	s_nop 1
	v_xor_b32_e32 v2, vcc_lo, v2
	v_xor_b32_e32 v0, vcc_hi, v3
	v_and_b32_e32 v31, exec_lo, v2
	v_lshlrev_b32_e32 v3, 30, v30
	v_mov_b32_e32 v2, v1
	v_cmp_gt_i64_e32 vcc, 0, v[2:3]
	v_not_b32_e32 v2, v3
	v_ashrrev_i32_e32 v2, 31, v2
	v_and_b32_e32 v0, exec_hi, v0
	v_xor_b32_e32 v3, vcc_hi, v2
	v_xor_b32_e32 v2, vcc_lo, v2
	v_and_b32_e32 v0, v0, v3
	v_and_b32_e32 v31, v31, v2
	v_lshlrev_b32_e32 v3, 29, v30
	v_mov_b32_e32 v2, v1
	v_cmp_gt_i64_e32 vcc, 0, v[2:3]
	v_not_b32_e32 v2, v3
	v_ashrrev_i32_e32 v2, 31, v2
	v_xor_b32_e32 v3, vcc_hi, v2
	v_xor_b32_e32 v2, vcc_lo, v2
	v_and_b32_e32 v0, v0, v3
	v_and_b32_e32 v31, v31, v2
	v_lshlrev_b32_e32 v3, 28, v30
	v_mov_b32_e32 v2, v1
	v_cmp_gt_i64_e32 vcc, 0, v[2:3]
	v_not_b32_e32 v2, v3
	v_ashrrev_i32_e32 v2, 31, v2
	;; [unrolled: 9-line block ×6, first 2 shown]
	v_xor_b32_e32 v3, vcc_hi, v2
	v_xor_b32_e32 v2, vcc_lo, v2
	ds_read_b32 v26, v27 offset:64
	v_and_b32_e32 v2, v31, v2
	v_and_b32_e32 v3, v0, v3
	v_mbcnt_lo_u32_b32 v0, v2, 0
	v_mbcnt_hi_u32_b32 v30, v3, v0
	v_cmp_eq_u32_e32 vcc, 0, v30
	v_cmp_ne_u64_e64 s[0:1], 0, v[2:3]
	s_and_b64 s[4:5], s[0:1], vcc
	; wave barrier
	s_and_saveexec_b64 s[0:1], s[4:5]
	s_cbranch_execz .LBB1988_107
; %bb.106:
	v_bcnt_u32_b32 v0, v2, 0
	v_bcnt_u32_b32 v0, v3, v0
	s_waitcnt lgkmcnt(0)
	v_add_u32_e32 v0, v26, v0
	ds_write_b32 v27, v0 offset:64
.LBB1988_107:
	s_or_b64 exec, exec, s[0:1]
	s_waitcnt vmcnt(6)
	v_xor_b32_e32 v29, 0xffff8000, v29
	v_lshrrev_b32_sdwa v0, s24, v29 dst_sel:DWORD dst_unused:UNUSED_PAD src0_sel:DWORD src1_sel:WORD_0
	v_and_b32_e32 v35, s14, v0
	v_mul_u32_u24_e32 v0, 17, v35
	v_add_lshl_u32 v32, v18, v0, 2
	v_and_b32_e32 v0, 1, v35
	v_lshl_add_u64 v[2:3], v[0:1], 0, -1
	v_cmp_ne_u32_e32 vcc, 0, v0
	; wave barrier
	s_nop 1
	v_xor_b32_e32 v2, vcc_lo, v2
	v_xor_b32_e32 v0, vcc_hi, v3
	v_and_b32_e32 v36, exec_lo, v2
	v_lshlrev_b32_e32 v3, 30, v35
	v_mov_b32_e32 v2, v1
	v_cmp_gt_i64_e32 vcc, 0, v[2:3]
	v_not_b32_e32 v2, v3
	v_ashrrev_i32_e32 v2, 31, v2
	v_and_b32_e32 v0, exec_hi, v0
	v_xor_b32_e32 v3, vcc_hi, v2
	v_xor_b32_e32 v2, vcc_lo, v2
	v_and_b32_e32 v0, v0, v3
	v_and_b32_e32 v36, v36, v2
	v_lshlrev_b32_e32 v3, 29, v35
	v_mov_b32_e32 v2, v1
	v_cmp_gt_i64_e32 vcc, 0, v[2:3]
	v_not_b32_e32 v2, v3
	v_ashrrev_i32_e32 v2, 31, v2
	v_xor_b32_e32 v3, vcc_hi, v2
	v_xor_b32_e32 v2, vcc_lo, v2
	v_and_b32_e32 v0, v0, v3
	v_and_b32_e32 v36, v36, v2
	v_lshlrev_b32_e32 v3, 28, v35
	v_mov_b32_e32 v2, v1
	v_cmp_gt_i64_e32 vcc, 0, v[2:3]
	v_not_b32_e32 v2, v3
	v_ashrrev_i32_e32 v2, 31, v2
	;; [unrolled: 9-line block ×5, first 2 shown]
	v_xor_b32_e32 v3, vcc_hi, v2
	v_xor_b32_e32 v2, vcc_lo, v2
	v_and_b32_e32 v0, v0, v3
	v_lshlrev_b32_e32 v3, 24, v35
	v_and_b32_e32 v36, v36, v2
	v_mov_b32_e32 v2, v1
	v_not_b32_e32 v1, v3
	v_cmp_gt_i64_e32 vcc, 0, v[2:3]
	v_ashrrev_i32_e32 v1, 31, v1
	ds_read_b32 v31, v32 offset:64
	v_xor_b32_e32 v2, vcc_hi, v1
	v_xor_b32_e32 v3, vcc_lo, v1
	v_and_b32_e32 v1, v0, v2
	v_and_b32_e32 v0, v36, v3
	v_mbcnt_lo_u32_b32 v2, v0, 0
	v_mbcnt_hi_u32_b32 v35, v1, v2
	v_cmp_eq_u32_e32 vcc, 0, v35
	v_cmp_ne_u64_e64 s[0:1], 0, v[0:1]
	s_and_b64 s[4:5], s[0:1], vcc
	; wave barrier
	s_and_saveexec_b64 s[0:1], s[4:5]
	s_cbranch_execz .LBB1988_109
; %bb.108:
	v_bcnt_u32_b32 v0, v0, 0
	v_bcnt_u32_b32 v0, v1, v0
	s_waitcnt lgkmcnt(0)
	v_add_u32_e32 v0, v31, v0
	ds_write_b32 v32, v0 offset:64
.LBB1988_109:
	s_or_b64 exec, exec, s[0:1]
	s_waitcnt vmcnt(5)
	v_xor_b32_e32 v34, 0xffff8000, v34
	v_lshrrev_b32_sdwa v0, s24, v34 dst_sel:DWORD dst_unused:UNUSED_PAD src0_sel:DWORD src1_sel:WORD_0
	v_and_b32_e32 v39, s14, v0
	v_mul_u32_u24_e32 v0, 17, v39
	v_add_lshl_u32 v37, v18, v0, 2
	v_and_b32_e32 v0, 1, v39
	v_mov_b32_e32 v1, 0
	v_lshl_add_u64 v[2:3], v[0:1], 0, -1
	v_cmp_ne_u32_e32 vcc, 0, v0
	; wave barrier
	s_nop 1
	v_xor_b32_e32 v2, vcc_lo, v2
	v_xor_b32_e32 v0, vcc_hi, v3
	v_and_b32_e32 v40, exec_lo, v2
	v_lshlrev_b32_e32 v3, 30, v39
	v_mov_b32_e32 v2, v1
	v_cmp_gt_i64_e32 vcc, 0, v[2:3]
	v_not_b32_e32 v2, v3
	v_ashrrev_i32_e32 v2, 31, v2
	v_and_b32_e32 v0, exec_hi, v0
	v_xor_b32_e32 v3, vcc_hi, v2
	v_xor_b32_e32 v2, vcc_lo, v2
	v_and_b32_e32 v0, v0, v3
	v_and_b32_e32 v40, v40, v2
	v_lshlrev_b32_e32 v3, 29, v39
	v_mov_b32_e32 v2, v1
	v_cmp_gt_i64_e32 vcc, 0, v[2:3]
	v_not_b32_e32 v2, v3
	v_ashrrev_i32_e32 v2, 31, v2
	v_xor_b32_e32 v3, vcc_hi, v2
	v_xor_b32_e32 v2, vcc_lo, v2
	v_and_b32_e32 v0, v0, v3
	v_and_b32_e32 v40, v40, v2
	v_lshlrev_b32_e32 v3, 28, v39
	v_mov_b32_e32 v2, v1
	v_cmp_gt_i64_e32 vcc, 0, v[2:3]
	v_not_b32_e32 v2, v3
	v_ashrrev_i32_e32 v2, 31, v2
	v_xor_b32_e32 v3, vcc_hi, v2
	v_xor_b32_e32 v2, vcc_lo, v2
	v_and_b32_e32 v0, v0, v3
	v_and_b32_e32 v40, v40, v2
	v_lshlrev_b32_e32 v3, 27, v39
	v_mov_b32_e32 v2, v1
	v_cmp_gt_i64_e32 vcc, 0, v[2:3]
	v_not_b32_e32 v2, v3
	v_ashrrev_i32_e32 v2, 31, v2
	v_xor_b32_e32 v3, vcc_hi, v2
	v_xor_b32_e32 v2, vcc_lo, v2
	v_and_b32_e32 v0, v0, v3
	v_and_b32_e32 v40, v40, v2
	v_lshlrev_b32_e32 v3, 26, v39
	v_mov_b32_e32 v2, v1
	v_cmp_gt_i64_e32 vcc, 0, v[2:3]
	v_not_b32_e32 v2, v3
	v_ashrrev_i32_e32 v2, 31, v2
	v_xor_b32_e32 v3, vcc_hi, v2
	v_xor_b32_e32 v2, vcc_lo, v2
	v_and_b32_e32 v0, v0, v3
	v_and_b32_e32 v40, v40, v2
	v_lshlrev_b32_e32 v3, 25, v39
	v_mov_b32_e32 v2, v1
	v_cmp_gt_i64_e32 vcc, 0, v[2:3]
	v_not_b32_e32 v2, v3
	v_ashrrev_i32_e32 v2, 31, v2
	v_xor_b32_e32 v3, vcc_hi, v2
	v_xor_b32_e32 v2, vcc_lo, v2
	v_and_b32_e32 v0, v0, v3
	v_and_b32_e32 v40, v40, v2
	v_lshlrev_b32_e32 v3, 24, v39
	v_mov_b32_e32 v2, v1
	v_cmp_gt_i64_e32 vcc, 0, v[2:3]
	v_not_b32_e32 v2, v3
	v_ashrrev_i32_e32 v2, 31, v2
	v_xor_b32_e32 v3, vcc_hi, v2
	v_xor_b32_e32 v2, vcc_lo, v2
	ds_read_b32 v36, v37 offset:64
	v_and_b32_e32 v2, v40, v2
	v_and_b32_e32 v3, v0, v3
	v_mbcnt_lo_u32_b32 v0, v2, 0
	v_mbcnt_hi_u32_b32 v39, v3, v0
	v_cmp_eq_u32_e32 vcc, 0, v39
	v_cmp_ne_u64_e64 s[0:1], 0, v[2:3]
	s_and_b64 s[4:5], s[0:1], vcc
	; wave barrier
	s_and_saveexec_b64 s[0:1], s[4:5]
	s_cbranch_execz .LBB1988_111
; %bb.110:
	v_bcnt_u32_b32 v0, v2, 0
	v_bcnt_u32_b32 v0, v3, v0
	s_waitcnt lgkmcnt(0)
	v_add_u32_e32 v0, v36, v0
	ds_write_b32 v37, v0 offset:64
.LBB1988_111:
	s_or_b64 exec, exec, s[0:1]
	s_waitcnt vmcnt(4)
	v_xor_b32_e32 v38, 0xffff8000, v38
	v_lshrrev_b32_sdwa v0, s24, v38 dst_sel:DWORD dst_unused:UNUSED_PAD src0_sel:DWORD src1_sel:WORD_0
	v_and_b32_e32 v42, s14, v0
	v_mul_u32_u24_e32 v0, 17, v42
	v_add_lshl_u32 v41, v18, v0, 2
	v_and_b32_e32 v0, 1, v42
	v_lshl_add_u64 v[2:3], v[0:1], 0, -1
	v_cmp_ne_u32_e32 vcc, 0, v0
	; wave barrier
	s_nop 1
	v_xor_b32_e32 v2, vcc_lo, v2
	v_xor_b32_e32 v0, vcc_hi, v3
	v_and_b32_e32 v43, exec_lo, v2
	v_lshlrev_b32_e32 v3, 30, v42
	v_mov_b32_e32 v2, v1
	v_cmp_gt_i64_e32 vcc, 0, v[2:3]
	v_not_b32_e32 v2, v3
	v_ashrrev_i32_e32 v2, 31, v2
	v_and_b32_e32 v0, exec_hi, v0
	v_xor_b32_e32 v3, vcc_hi, v2
	v_xor_b32_e32 v2, vcc_lo, v2
	v_and_b32_e32 v0, v0, v3
	v_and_b32_e32 v43, v43, v2
	v_lshlrev_b32_e32 v3, 29, v42
	v_mov_b32_e32 v2, v1
	v_cmp_gt_i64_e32 vcc, 0, v[2:3]
	v_not_b32_e32 v2, v3
	v_ashrrev_i32_e32 v2, 31, v2
	v_xor_b32_e32 v3, vcc_hi, v2
	v_xor_b32_e32 v2, vcc_lo, v2
	v_and_b32_e32 v0, v0, v3
	v_and_b32_e32 v43, v43, v2
	v_lshlrev_b32_e32 v3, 28, v42
	v_mov_b32_e32 v2, v1
	v_cmp_gt_i64_e32 vcc, 0, v[2:3]
	v_not_b32_e32 v2, v3
	v_ashrrev_i32_e32 v2, 31, v2
	v_xor_b32_e32 v3, vcc_hi, v2
	v_xor_b32_e32 v2, vcc_lo, v2
	v_and_b32_e32 v0, v0, v3
	v_and_b32_e32 v43, v43, v2
	v_lshlrev_b32_e32 v3, 27, v42
	v_mov_b32_e32 v2, v1
	v_cmp_gt_i64_e32 vcc, 0, v[2:3]
	v_not_b32_e32 v2, v3
	v_ashrrev_i32_e32 v2, 31, v2
	v_xor_b32_e32 v3, vcc_hi, v2
	v_xor_b32_e32 v2, vcc_lo, v2
	v_and_b32_e32 v0, v0, v3
	v_and_b32_e32 v43, v43, v2
	v_lshlrev_b32_e32 v3, 26, v42
	v_mov_b32_e32 v2, v1
	v_cmp_gt_i64_e32 vcc, 0, v[2:3]
	v_not_b32_e32 v2, v3
	v_ashrrev_i32_e32 v2, 31, v2
	v_xor_b32_e32 v3, vcc_hi, v2
	v_xor_b32_e32 v2, vcc_lo, v2
	v_and_b32_e32 v0, v0, v3
	v_and_b32_e32 v43, v43, v2
	v_lshlrev_b32_e32 v3, 25, v42
	v_mov_b32_e32 v2, v1
	v_cmp_gt_i64_e32 vcc, 0, v[2:3]
	v_not_b32_e32 v2, v3
	v_ashrrev_i32_e32 v2, 31, v2
	v_xor_b32_e32 v3, vcc_hi, v2
	v_xor_b32_e32 v2, vcc_lo, v2
	v_and_b32_e32 v0, v0, v3
	v_lshlrev_b32_e32 v3, 24, v42
	v_and_b32_e32 v43, v43, v2
	v_mov_b32_e32 v2, v1
	v_not_b32_e32 v1, v3
	v_cmp_gt_i64_e32 vcc, 0, v[2:3]
	v_ashrrev_i32_e32 v1, 31, v1
	ds_read_b32 v40, v41 offset:64
	v_xor_b32_e32 v2, vcc_hi, v1
	v_xor_b32_e32 v3, vcc_lo, v1
	v_and_b32_e32 v1, v0, v2
	v_and_b32_e32 v0, v43, v3
	v_mbcnt_lo_u32_b32 v2, v0, 0
	v_mbcnt_hi_u32_b32 v42, v1, v2
	v_cmp_eq_u32_e32 vcc, 0, v42
	v_cmp_ne_u64_e64 s[0:1], 0, v[0:1]
	s_and_b64 s[4:5], s[0:1], vcc
	; wave barrier
	s_and_saveexec_b64 s[0:1], s[4:5]
	s_cbranch_execz .LBB1988_113
; %bb.112:
	v_bcnt_u32_b32 v0, v0, 0
	v_bcnt_u32_b32 v0, v1, v0
	s_waitcnt lgkmcnt(0)
	v_add_u32_e32 v0, v40, v0
	ds_write_b32 v41, v0 offset:64
.LBB1988_113:
	s_or_b64 exec, exec, s[0:1]
	s_waitcnt vmcnt(3)
	v_xor_b32_e32 v33, 0xffff8000, v33
	v_lshrrev_b32_sdwa v0, s24, v33 dst_sel:DWORD dst_unused:UNUSED_PAD src0_sel:DWORD src1_sel:WORD_0
	v_and_b32_e32 v45, s14, v0
	v_mul_u32_u24_e32 v0, 17, v45
	v_add_lshl_u32 v44, v18, v0, 2
	v_and_b32_e32 v0, 1, v45
	v_mov_b32_e32 v1, 0
	v_lshl_add_u64 v[2:3], v[0:1], 0, -1
	v_cmp_ne_u32_e32 vcc, 0, v0
	; wave barrier
	s_nop 1
	v_xor_b32_e32 v2, vcc_lo, v2
	v_xor_b32_e32 v0, vcc_hi, v3
	v_and_b32_e32 v46, exec_lo, v2
	v_lshlrev_b32_e32 v3, 30, v45
	v_mov_b32_e32 v2, v1
	v_cmp_gt_i64_e32 vcc, 0, v[2:3]
	v_not_b32_e32 v2, v3
	v_ashrrev_i32_e32 v2, 31, v2
	v_and_b32_e32 v0, exec_hi, v0
	v_xor_b32_e32 v3, vcc_hi, v2
	v_xor_b32_e32 v2, vcc_lo, v2
	v_and_b32_e32 v0, v0, v3
	v_and_b32_e32 v46, v46, v2
	v_lshlrev_b32_e32 v3, 29, v45
	v_mov_b32_e32 v2, v1
	v_cmp_gt_i64_e32 vcc, 0, v[2:3]
	v_not_b32_e32 v2, v3
	v_ashrrev_i32_e32 v2, 31, v2
	v_xor_b32_e32 v3, vcc_hi, v2
	v_xor_b32_e32 v2, vcc_lo, v2
	v_and_b32_e32 v0, v0, v3
	v_and_b32_e32 v46, v46, v2
	v_lshlrev_b32_e32 v3, 28, v45
	v_mov_b32_e32 v2, v1
	v_cmp_gt_i64_e32 vcc, 0, v[2:3]
	v_not_b32_e32 v2, v3
	v_ashrrev_i32_e32 v2, 31, v2
	;; [unrolled: 9-line block ×6, first 2 shown]
	v_xor_b32_e32 v3, vcc_hi, v2
	v_xor_b32_e32 v2, vcc_lo, v2
	ds_read_b32 v43, v44 offset:64
	v_and_b32_e32 v2, v46, v2
	v_and_b32_e32 v3, v0, v3
	v_mbcnt_lo_u32_b32 v0, v2, 0
	v_mbcnt_hi_u32_b32 v45, v3, v0
	v_cmp_eq_u32_e32 vcc, 0, v45
	v_cmp_ne_u64_e64 s[0:1], 0, v[2:3]
	s_and_b64 s[4:5], s[0:1], vcc
	; wave barrier
	s_and_saveexec_b64 s[0:1], s[4:5]
	s_cbranch_execz .LBB1988_115
; %bb.114:
	v_bcnt_u32_b32 v0, v2, 0
	v_bcnt_u32_b32 v0, v3, v0
	s_waitcnt lgkmcnt(0)
	v_add_u32_e32 v0, v43, v0
	ds_write_b32 v44, v0 offset:64
.LBB1988_115:
	s_or_b64 exec, exec, s[0:1]
	s_waitcnt vmcnt(2)
	v_xor_b32_e32 v28, 0xffff8000, v28
	v_lshrrev_b32_sdwa v0, s24, v28 dst_sel:DWORD dst_unused:UNUSED_PAD src0_sel:DWORD src1_sel:WORD_0
	v_and_b32_e32 v48, s14, v0
	v_mul_u32_u24_e32 v0, 17, v48
	v_add_lshl_u32 v47, v18, v0, 2
	v_and_b32_e32 v0, 1, v48
	v_lshl_add_u64 v[2:3], v[0:1], 0, -1
	v_cmp_ne_u32_e32 vcc, 0, v0
	; wave barrier
	s_nop 1
	v_xor_b32_e32 v2, vcc_lo, v2
	v_xor_b32_e32 v0, vcc_hi, v3
	v_and_b32_e32 v49, exec_lo, v2
	v_lshlrev_b32_e32 v3, 30, v48
	v_mov_b32_e32 v2, v1
	v_cmp_gt_i64_e32 vcc, 0, v[2:3]
	v_not_b32_e32 v2, v3
	v_ashrrev_i32_e32 v2, 31, v2
	v_and_b32_e32 v0, exec_hi, v0
	v_xor_b32_e32 v3, vcc_hi, v2
	v_xor_b32_e32 v2, vcc_lo, v2
	v_and_b32_e32 v0, v0, v3
	v_and_b32_e32 v49, v49, v2
	v_lshlrev_b32_e32 v3, 29, v48
	v_mov_b32_e32 v2, v1
	v_cmp_gt_i64_e32 vcc, 0, v[2:3]
	v_not_b32_e32 v2, v3
	v_ashrrev_i32_e32 v2, 31, v2
	v_xor_b32_e32 v3, vcc_hi, v2
	v_xor_b32_e32 v2, vcc_lo, v2
	v_and_b32_e32 v0, v0, v3
	v_and_b32_e32 v49, v49, v2
	v_lshlrev_b32_e32 v3, 28, v48
	v_mov_b32_e32 v2, v1
	v_cmp_gt_i64_e32 vcc, 0, v[2:3]
	v_not_b32_e32 v2, v3
	v_ashrrev_i32_e32 v2, 31, v2
	;; [unrolled: 9-line block ×5, first 2 shown]
	v_xor_b32_e32 v3, vcc_hi, v2
	v_xor_b32_e32 v2, vcc_lo, v2
	v_and_b32_e32 v0, v0, v3
	v_lshlrev_b32_e32 v3, 24, v48
	v_and_b32_e32 v49, v49, v2
	v_mov_b32_e32 v2, v1
	v_not_b32_e32 v1, v3
	v_cmp_gt_i64_e32 vcc, 0, v[2:3]
	v_ashrrev_i32_e32 v1, 31, v1
	ds_read_b32 v46, v47 offset:64
	v_xor_b32_e32 v2, vcc_hi, v1
	v_xor_b32_e32 v3, vcc_lo, v1
	v_and_b32_e32 v1, v0, v2
	v_and_b32_e32 v0, v49, v3
	v_mbcnt_lo_u32_b32 v2, v0, 0
	v_mbcnt_hi_u32_b32 v48, v1, v2
	v_cmp_eq_u32_e32 vcc, 0, v48
	v_cmp_ne_u64_e64 s[0:1], 0, v[0:1]
	s_and_b64 s[4:5], s[0:1], vcc
	; wave barrier
	s_and_saveexec_b64 s[0:1], s[4:5]
	s_cbranch_execz .LBB1988_117
; %bb.116:
	v_bcnt_u32_b32 v0, v0, 0
	v_bcnt_u32_b32 v0, v1, v0
	s_waitcnt lgkmcnt(0)
	v_add_u32_e32 v0, v46, v0
	ds_write_b32 v47, v0 offset:64
.LBB1988_117:
	s_or_b64 exec, exec, s[0:1]
	s_waitcnt vmcnt(1)
	v_xor_b32_e32 v23, 0xffff8000, v23
	v_lshrrev_b32_sdwa v0, s24, v23 dst_sel:DWORD dst_unused:UNUSED_PAD src0_sel:DWORD src1_sel:WORD_0
	v_and_b32_e32 v51, s14, v0
	v_mul_u32_u24_e32 v0, 17, v51
	v_add_lshl_u32 v50, v18, v0, 2
	v_and_b32_e32 v0, 1, v51
	v_mov_b32_e32 v1, 0
	v_lshl_add_u64 v[2:3], v[0:1], 0, -1
	v_cmp_ne_u32_e32 vcc, 0, v0
	; wave barrier
	s_nop 1
	v_xor_b32_e32 v2, vcc_lo, v2
	v_xor_b32_e32 v0, vcc_hi, v3
	v_and_b32_e32 v52, exec_lo, v2
	v_lshlrev_b32_e32 v3, 30, v51
	v_mov_b32_e32 v2, v1
	v_cmp_gt_i64_e32 vcc, 0, v[2:3]
	v_not_b32_e32 v2, v3
	v_ashrrev_i32_e32 v2, 31, v2
	v_and_b32_e32 v0, exec_hi, v0
	v_xor_b32_e32 v3, vcc_hi, v2
	v_xor_b32_e32 v2, vcc_lo, v2
	v_and_b32_e32 v0, v0, v3
	v_and_b32_e32 v52, v52, v2
	v_lshlrev_b32_e32 v3, 29, v51
	v_mov_b32_e32 v2, v1
	v_cmp_gt_i64_e32 vcc, 0, v[2:3]
	v_not_b32_e32 v2, v3
	v_ashrrev_i32_e32 v2, 31, v2
	v_xor_b32_e32 v3, vcc_hi, v2
	v_xor_b32_e32 v2, vcc_lo, v2
	v_and_b32_e32 v0, v0, v3
	v_and_b32_e32 v52, v52, v2
	v_lshlrev_b32_e32 v3, 28, v51
	v_mov_b32_e32 v2, v1
	v_cmp_gt_i64_e32 vcc, 0, v[2:3]
	v_not_b32_e32 v2, v3
	v_ashrrev_i32_e32 v2, 31, v2
	;; [unrolled: 9-line block ×6, first 2 shown]
	v_xor_b32_e32 v3, vcc_hi, v2
	v_xor_b32_e32 v2, vcc_lo, v2
	ds_read_b32 v49, v50 offset:64
	v_and_b32_e32 v2, v52, v2
	v_and_b32_e32 v3, v0, v3
	v_mbcnt_lo_u32_b32 v0, v2, 0
	v_mbcnt_hi_u32_b32 v51, v3, v0
	v_cmp_eq_u32_e32 vcc, 0, v51
	v_cmp_ne_u64_e64 s[0:1], 0, v[2:3]
	s_and_b64 s[4:5], s[0:1], vcc
	; wave barrier
	s_and_saveexec_b64 s[0:1], s[4:5]
	s_cbranch_execz .LBB1988_119
; %bb.118:
	v_bcnt_u32_b32 v0, v2, 0
	v_bcnt_u32_b32 v0, v3, v0
	s_waitcnt lgkmcnt(0)
	v_add_u32_e32 v0, v49, v0
	ds_write_b32 v50, v0 offset:64
.LBB1988_119:
	s_or_b64 exec, exec, s[0:1]
	s_waitcnt vmcnt(0)
	v_xor_b32_e32 v17, 0xffff8000, v17
	v_lshrrev_b32_sdwa v0, s24, v17 dst_sel:DWORD dst_unused:UNUSED_PAD src0_sel:DWORD src1_sel:WORD_0
	v_and_b32_e32 v55, s14, v0
	v_mul_u32_u24_e32 v0, 17, v55
	v_add_lshl_u32 v53, v18, v0, 2
	v_and_b32_e32 v0, 1, v55
	v_lshl_add_u64 v[2:3], v[0:1], 0, -1
	v_cmp_ne_u32_e32 vcc, 0, v0
	; wave barrier
	s_nop 1
	v_xor_b32_e32 v2, vcc_lo, v2
	v_xor_b32_e32 v0, vcc_hi, v3
	v_and_b32_e32 v18, exec_lo, v2
	v_lshlrev_b32_e32 v3, 30, v55
	v_mov_b32_e32 v2, v1
	v_cmp_gt_i64_e32 vcc, 0, v[2:3]
	v_not_b32_e32 v2, v3
	v_ashrrev_i32_e32 v2, 31, v2
	v_and_b32_e32 v0, exec_hi, v0
	v_xor_b32_e32 v3, vcc_hi, v2
	v_xor_b32_e32 v2, vcc_lo, v2
	v_and_b32_e32 v0, v0, v3
	v_and_b32_e32 v18, v18, v2
	v_lshlrev_b32_e32 v3, 29, v55
	v_mov_b32_e32 v2, v1
	v_cmp_gt_i64_e32 vcc, 0, v[2:3]
	v_not_b32_e32 v2, v3
	v_ashrrev_i32_e32 v2, 31, v2
	v_xor_b32_e32 v3, vcc_hi, v2
	v_xor_b32_e32 v2, vcc_lo, v2
	v_and_b32_e32 v0, v0, v3
	v_and_b32_e32 v18, v18, v2
	v_lshlrev_b32_e32 v3, 28, v55
	v_mov_b32_e32 v2, v1
	v_cmp_gt_i64_e32 vcc, 0, v[2:3]
	v_not_b32_e32 v2, v3
	v_ashrrev_i32_e32 v2, 31, v2
	;; [unrolled: 9-line block ×5, first 2 shown]
	v_xor_b32_e32 v3, vcc_hi, v2
	v_xor_b32_e32 v2, vcc_lo, v2
	v_and_b32_e32 v0, v0, v3
	v_lshlrev_b32_e32 v3, 24, v55
	v_and_b32_e32 v18, v18, v2
	v_mov_b32_e32 v2, v1
	v_not_b32_e32 v1, v3
	v_cmp_gt_i64_e32 vcc, 0, v[2:3]
	v_ashrrev_i32_e32 v1, 31, v1
	ds_read_b32 v52, v53 offset:64
	v_xor_b32_e32 v2, vcc_hi, v1
	v_xor_b32_e32 v3, vcc_lo, v1
	v_and_b32_e32 v1, v0, v2
	v_and_b32_e32 v0, v18, v3
	v_mbcnt_lo_u32_b32 v2, v0, 0
	v_mbcnt_hi_u32_b32 v55, v1, v2
	v_cmp_eq_u32_e32 vcc, 0, v55
	v_cmp_ne_u64_e64 s[0:1], 0, v[0:1]
	v_add_u32_e32 v54, 64, v6
	s_and_b64 s[4:5], s[0:1], vcc
	; wave barrier
	s_and_saveexec_b64 s[0:1], s[4:5]
	s_cbranch_execz .LBB1988_121
; %bb.120:
	v_bcnt_u32_b32 v0, v0, 0
	v_bcnt_u32_b32 v0, v1, v0
	s_waitcnt lgkmcnt(0)
	v_add_u32_e32 v0, v52, v0
	ds_write_b32 v53, v0 offset:64
.LBB1988_121:
	s_or_b64 exec, exec, s[0:1]
	; wave barrier
	s_waitcnt lgkmcnt(0)
	s_barrier
	ds_read2_b32 v[2:3], v6 offset0:16 offset1:17
	ds_read2_b32 v[0:1], v54 offset0:2 offset1:3
	ds_read_b32 v18, v54 offset:16
	v_cmp_lt_u32_e64 s[8:9], 31, v4
	s_waitcnt lgkmcnt(1)
	v_add3_u32 v56, v3, v2, v0
	s_waitcnt lgkmcnt(0)
	v_add3_u32 v18, v56, v1, v18
	v_and_b32_e32 v56, 15, v4
	v_cmp_eq_u32_e32 vcc, 0, v56
	v_mov_b32_dpp v57, v18 row_shr:1 row_mask:0xf bank_mask:0xf
	v_cmp_lt_u32_e64 s[0:1], 1, v56
	v_cndmask_b32_e64 v57, v57, 0, vcc
	v_add_u32_e32 v18, v57, v18
	v_cmp_lt_u32_e64 s[6:7], 3, v56
	v_cmp_lt_u32_e64 s[4:5], 7, v56
	v_mov_b32_dpp v57, v18 row_shr:2 row_mask:0xf bank_mask:0xf
	v_cndmask_b32_e64 v57, 0, v57, s[0:1]
	v_add_u32_e32 v18, v18, v57
	s_nop 1
	v_mov_b32_dpp v57, v18 row_shr:4 row_mask:0xf bank_mask:0xf
	v_cndmask_b32_e64 v57, 0, v57, s[6:7]
	v_add_u32_e32 v18, v18, v57
	s_nop 1
	v_mov_b32_dpp v57, v18 row_shr:8 row_mask:0xf bank_mask:0xf
	v_cndmask_b32_e64 v56, 0, v57, s[4:5]
	v_add_u32_e32 v18, v18, v56
	v_bfe_i32 v57, v4, 4, 1
	s_nop 0
	v_mov_b32_dpp v56, v18 row_bcast:15 row_mask:0xf bank_mask:0xf
	v_and_b32_e32 v56, v57, v56
	v_add_u32_e32 v18, v18, v56
	v_lshrrev_b32_e32 v57, 6, v10
	s_nop 0
	v_mov_b32_dpp v56, v18 row_bcast:31 row_mask:0xf bank_mask:0xf
	v_cndmask_b32_e64 v56, 0, v56, s[8:9]
	v_add_u32_e32 v56, v18, v56
	v_and_b32_e32 v18, 63, v10
	v_cmp_eq_u32_e64 s[8:9], 63, v18
	s_and_saveexec_b64 s[12:13], s[8:9]
	s_cbranch_execz .LBB1988_123
; %bb.122:
	v_lshlrev_b32_e32 v18, 2, v57
	ds_write_b32 v18, v56
.LBB1988_123:
	s_or_b64 exec, exec, s[12:13]
	v_cmp_gt_u32_e64 s[8:9], 16, v10
	v_lshlrev_b32_e32 v18, 2, v10
	s_waitcnt lgkmcnt(0)
	s_barrier
	s_and_saveexec_b64 s[12:13], s[8:9]
	s_cbranch_execz .LBB1988_125
; %bb.124:
	ds_read_b32 v58, v18
	s_waitcnt lgkmcnt(0)
	s_nop 0
	v_mov_b32_dpp v59, v58 row_shr:1 row_mask:0xf bank_mask:0xf
	v_cndmask_b32_e64 v59, v59, 0, vcc
	v_add_u32_e32 v58, v59, v58
	s_nop 1
	v_mov_b32_dpp v59, v58 row_shr:2 row_mask:0xf bank_mask:0xf
	v_cndmask_b32_e64 v59, 0, v59, s[0:1]
	v_add_u32_e32 v58, v58, v59
	s_nop 1
	v_mov_b32_dpp v59, v58 row_shr:4 row_mask:0xf bank_mask:0xf
	v_cndmask_b32_e64 v59, 0, v59, s[6:7]
	;; [unrolled: 4-line block ×3, first 2 shown]
	v_add_u32_e32 v58, v58, v59
	ds_write_b32 v18, v58
.LBB1988_125:
	s_or_b64 exec, exec, s[12:13]
	v_cmp_lt_u32_e32 vcc, 63, v10
	v_mov_b32_e32 v58, 0
	s_waitcnt lgkmcnt(0)
	s_barrier
	s_and_saveexec_b64 s[0:1], vcc
	s_cbranch_execz .LBB1988_127
; %bb.126:
	v_lshl_add_u32 v57, v57, 2, -4
	ds_read_b32 v58, v57
.LBB1988_127:
	s_or_b64 exec, exec, s[0:1]
	v_add_u32_e32 v57, -1, v4
	v_and_b32_e32 v59, 64, v4
	v_cmp_lt_i32_e32 vcc, v57, v59
	s_waitcnt lgkmcnt(0)
	v_add_u32_e32 v56, v58, v56
	s_movk_i32 s4, 0xff
	v_cndmask_b32_e32 v57, v57, v4, vcc
	v_lshlrev_b32_e32 v57, 2, v57
	ds_bpermute_b32 v56, v57, v56
	v_cmp_eq_u32_e32 vcc, 0, v4
	s_movk_i32 s5, 0x100
	v_cmp_lt_u32_e64 s[0:1], s4, v10
	s_waitcnt lgkmcnt(0)
	v_cndmask_b32_e32 v4, v56, v58, vcc
	v_cmp_ne_u32_e32 vcc, 0, v10
	s_nop 1
	v_cndmask_b32_e32 v4, 0, v4, vcc
	v_add_u32_e32 v2, v4, v2
	v_add_u32_e32 v3, v2, v3
	;; [unrolled: 1-line block ×4, first 2 shown]
	ds_write2_b32 v6, v4, v2 offset0:16 offset1:17
	ds_write2_b32 v54, v3, v0 offset0:2 offset1:3
	ds_write_b32 v54, v1 offset:16
	s_waitcnt lgkmcnt(0)
	s_barrier
	ds_read_b32 v58, v8 offset:64
	ds_read_b32 v57, v12 offset:64
	ds_read_b32 v56, v16 offset:64
	ds_read_b32 v54, v22 offset:64
	ds_read_b32 v22, v27 offset:64
	ds_read_b32 v16, v32 offset:64
	ds_read_b32 v12, v37 offset:64
	ds_read_b32 v4, v41 offset:64
	ds_read_b32 v3, v44 offset:64
	ds_read_b32 v2, v47 offset:64
	ds_read_b32 v1, v50 offset:64
	ds_read_b32 v0, v53 offset:64
	v_cmp_gt_u32_e32 vcc, s5, v10
                                        ; implicit-def: $vgpr6
                                        ; implicit-def: $vgpr8
	s_and_saveexec_b64 s[6:7], vcc
	s_cbranch_execz .LBB1988_131
; %bb.128:
	v_mul_u32_u24_e32 v6, 17, v10
	v_lshlrev_b32_e32 v27, 2, v6
	ds_read_b32 v6, v27 offset:64
	v_cmp_ne_u32_e64 s[4:5], s4, v10
	v_mov_b32_e32 v8, 0x3000
	s_and_saveexec_b64 s[8:9], s[4:5]
	s_cbranch_execz .LBB1988_130
; %bb.129:
	ds_read_b32 v8, v27 offset:132
.LBB1988_130:
	s_or_b64 exec, exec, s[8:9]
	s_waitcnt lgkmcnt(0)
	v_sub_u32_e32 v8, v8, v6
.LBB1988_131:
	s_or_b64 exec, exec, s[6:7]
	v_add_u32_e32 v11, v13, v11
	s_waitcnt lgkmcnt(11)
	v_add_lshl_u32 v7, v58, v7, 1
	v_add_u32_e32 v15, v19, v15
	s_waitcnt lgkmcnt(0)
	s_barrier
	ds_write_b16 v7, v5 offset:1024
	v_add_lshl_u32 v5, v11, v57, 1
	v_add_u32_e32 v21, v24, v21
	ds_write_b16 v5, v9 offset:1024
	v_add_lshl_u32 v5, v15, v56, 1
	v_add_u32_e32 v26, v30, v26
	ds_write_b16 v5, v14 offset:1024
	v_add_lshl_u32 v5, v21, v54, 1
	v_add_u32_e32 v31, v35, v31
	ds_write_b16 v5, v20 offset:1024
	v_add_lshl_u32 v5, v26, v22, 1
	v_add_u32_e32 v27, v55, v52
	v_add_u32_e32 v32, v51, v49
	v_add_u32_e32 v37, v48, v46
	;; [unrolled: 1-line block ×5, first 2 shown]
	ds_write_b16 v5, v25 offset:1024
	v_add_lshl_u32 v5, v31, v16, 1
	ds_write_b16 v5, v29 offset:1024
	v_add_lshl_u32 v5, v36, v12, 1
	v_add_lshl_u32 v4, v40, v4, 1
	;; [unrolled: 1-line block ×6, first 2 shown]
	ds_write_b16 v5, v34 offset:1024
	ds_write_b16 v4, v38 offset:1024
	;; [unrolled: 1-line block ×6, first 2 shown]
	s_and_saveexec_b64 s[4:5], s[0:1]
	s_xor_b64 s[0:1], exec, s[4:5]
; %bb.132:
	v_mov_b32_e32 v11, 0
                                        ; implicit-def: $vgpr18
; %bb.133:
	s_andn2_saveexec_b64 s[4:5], s[0:1]
	s_cbranch_execz .LBB1988_143
; %bb.134:
	v_lshl_or_b32 v2, s2, 8, v10
	v_mov_b32_e32 v3, 0
	v_lshl_add_u64 v[0:1], v[2:3], 2, s[28:29]
	v_or_b32_e32 v2, 2.0, v8
	s_mov_b64 s[6:7], 0
	s_brev_b32 s15, 1
	s_mov_b32 s20, s2
	v_mov_b32_e32 v7, 0
	global_store_dword v[0:1], v2, off sc1
                                        ; implicit-def: $sgpr0_sgpr1
	s_branch .LBB1988_137
.LBB1988_135:                           ;   in Loop: Header=BB1988_137 Depth=1
	s_or_b64 exec, exec, s[12:13]
.LBB1988_136:                           ;   in Loop: Header=BB1988_137 Depth=1
	s_or_b64 exec, exec, s[8:9]
	v_and_b32_e32 v4, 0x3fffffff, v9
	v_add_u32_e32 v7, v4, v7
	v_cmp_eq_u32_e64 s[0:1], s15, v2
	s_and_b64 s[8:9], exec, s[0:1]
	s_or_b64 s[6:7], s[8:9], s[6:7]
	s_andn2_b64 exec, exec, s[6:7]
	s_cbranch_execz .LBB1988_142
.LBB1988_137:                           ; =>This Loop Header: Depth=1
                                        ;     Child Loop BB1988_140 Depth 2
	s_or_b64 s[0:1], s[0:1], exec
	s_cmp_eq_u32 s20, 0
	s_cbranch_scc1 .LBB1988_141
; %bb.138:                              ;   in Loop: Header=BB1988_137 Depth=1
	s_add_i32 s20, s20, -1
	v_lshl_or_b32 v2, s20, 8, v10
	v_lshl_add_u64 v[4:5], v[2:3], 2, s[28:29]
	global_load_dword v9, v[4:5], off sc1
	s_waitcnt vmcnt(0)
	v_and_b32_e32 v2, -2.0, v9
	v_cmp_eq_u32_e64 s[0:1], 0, v2
	s_and_saveexec_b64 s[8:9], s[0:1]
	s_cbranch_execz .LBB1988_136
; %bb.139:                              ;   in Loop: Header=BB1988_137 Depth=1
	s_mov_b64 s[12:13], 0
.LBB1988_140:                           ;   Parent Loop BB1988_137 Depth=1
                                        ; =>  This Inner Loop Header: Depth=2
	global_load_dword v9, v[4:5], off sc1
	s_waitcnt vmcnt(0)
	v_and_b32_e32 v2, -2.0, v9
	v_cmp_ne_u32_e64 s[0:1], 0, v2
	s_or_b64 s[12:13], s[0:1], s[12:13]
	s_andn2_b64 exec, exec, s[12:13]
	s_cbranch_execnz .LBB1988_140
	s_branch .LBB1988_135
.LBB1988_141:                           ;   in Loop: Header=BB1988_137 Depth=1
                                        ; implicit-def: $sgpr20
	s_and_b64 s[8:9], exec, s[0:1]
	s_or_b64 s[6:7], s[8:9], s[6:7]
	s_andn2_b64 exec, exec, s[6:7]
	s_cbranch_execnz .LBB1988_137
.LBB1988_142:
	s_or_b64 exec, exec, s[6:7]
	v_add_u32_e32 v2, v7, v8
	v_or_b32_e32 v2, 0x80000000, v2
	global_store_dword v[0:1], v2, off sc1
	global_load_dword v0, v18, s[16:17]
	v_sub_u32_e32 v1, v7, v6
	v_mov_b32_e32 v11, 0
	s_waitcnt vmcnt(0)
	v_add_u32_e32 v0, v1, v0
	ds_write_b32 v18, v0
.LBB1988_143:
	s_or_b64 exec, exec, s[4:5]
	v_lshlrev_b32_e32 v0, 1, v10
	s_waitcnt lgkmcnt(0)
	s_barrier
	v_lshlrev_b32_e32 v1, 1, v10
	ds_read_u16 v0, v0 offset:1024
	ds_read_u16 v4, v1 offset:3072
	;; [unrolled: 1-line block ×7, first 2 shown]
	s_waitcnt lgkmcnt(6)
	v_lshrrev_b32_sdwa v2, s24, v0 dst_sel:DWORD dst_unused:UNUSED_PAD src0_sel:DWORD src1_sel:WORD_0
	v_and_b32_e32 v2, s14, v2
	s_waitcnt lgkmcnt(4)
	v_lshrrev_b32_sdwa v3, s24, v5 dst_sel:DWORD dst_unused:UNUSED_PAD src0_sel:DWORD src1_sel:WORD_0
	v_xor_b32_e32 v14, 0xffff8000, v0
	v_lshlrev_b32_e32 v0, 2, v2
	v_lshrrev_b32_sdwa v2, s24, v4 dst_sel:DWORD dst_unused:UNUSED_PAD src0_sel:DWORD src1_sel:WORD_0
	v_and_b32_e32 v3, s14, v3
	v_and_b32_e32 v2, s14, v2
	v_lshlrev_b32_e32 v3, 2, v3
	v_lshlrev_b32_e32 v2, 2, v2
	ds_read_b32 v15, v3
	ds_read_b32 v0, v0
	ds_read_u16 v16, v1 offset:5120
	ds_read_u16 v17, v1 offset:9216
	;; [unrolled: 1-line block ×4, first 2 shown]
	ds_read_b32 v20, v2
	ds_read_u16 v21, v1 offset:21504
	s_waitcnt lgkmcnt(6)
	v_add_u32_e32 v0, v0, v10
	v_mov_b32_e32 v1, 0
	s_movk_i32 s0, 0x400
	v_lshl_add_u64 v[2:3], v[0:1], 1, s[22:23]
	s_waitcnt lgkmcnt(1)
	v_add3_u32 v0, v20, v10, s0
	global_store_short v[2:3], v14, off
	v_xor_b32_e32 v4, 0xffff8000, v4
	v_lshl_add_u64 v[2:3], v[0:1], 1, s[22:23]
	global_store_short v[2:3], v4, off
	v_lshrrev_b32_sdwa v0, s24, v16 dst_sel:DWORD dst_unused:UNUSED_PAD src0_sel:DWORD src1_sel:WORD_0
	v_xor_b32_e32 v4, 0xffff8000, v16
	v_lshrrev_b32_sdwa v14, s24, v18 dst_sel:DWORD dst_unused:UNUSED_PAD src0_sel:DWORD src1_sel:WORD_0
	v_lshrrev_b32_sdwa v16, s24, v9 dst_sel:DWORD dst_unused:UNUSED_PAD src0_sel:DWORD src1_sel:WORD_0
	;; [unrolled: 1-line block ×4, first 2 shown]
	s_waitcnt lgkmcnt(0)
	v_lshrrev_b32_sdwa v23, s24, v21 dst_sel:DWORD dst_unused:UNUSED_PAD src0_sel:DWORD src1_sel:WORD_0
	v_and_b32_e32 v0, s14, v0
	v_lshrrev_b32_sdwa v2, s24, v17 dst_sel:DWORD dst_unused:UNUSED_PAD src0_sel:DWORD src1_sel:WORD_0
	v_lshrrev_b32_sdwa v3, s24, v7 dst_sel:DWORD dst_unused:UNUSED_PAD src0_sel:DWORD src1_sel:WORD_0
	v_and_b32_e32 v14, s14, v14
	v_and_b32_e32 v16, s14, v16
	v_and_b32_e32 v20, s14, v20
	v_and_b32_e32 v22, s14, v22
	v_and_b32_e32 v23, s14, v23
	v_lshlrev_b32_e32 v0, 2, v0
	v_and_b32_e32 v2, s14, v2
	v_and_b32_e32 v3, s14, v3
	v_lshlrev_b32_e32 v14, 2, v14
	v_lshlrev_b32_e32 v16, 2, v16
	;; [unrolled: 1-line block ×5, first 2 shown]
	s_movk_i32 s0, 0x800
	v_lshlrev_b32_e32 v2, 2, v2
	v_lshlrev_b32_e32 v3, 2, v3
	ds_read_b32 v0, v0
	ds_read_b32 v24, v2
	;; [unrolled: 1-line block ×8, first 2 shown]
	s_waitcnt lgkmcnt(7)
	v_add3_u32 v0, v0, v10, s0
	s_movk_i32 s0, 0xc00
	v_lshl_add_u64 v[2:3], v[0:1], 1, s[22:23]
	v_add3_u32 v0, v15, v10, s0
	s_movk_i32 s0, 0x1000
	global_store_short v[2:3], v4, off
	v_xor_b32_e32 v4, 0xffff8000, v5
	v_lshl_add_u64 v[2:3], v[0:1], 1, s[22:23]
	s_waitcnt lgkmcnt(6)
	v_add3_u32 v0, v24, v10, s0
	s_movk_i32 s0, 0x1400
	global_store_short v[2:3], v4, off
	v_xor_b32_e32 v4, 0xffff8000, v17
	v_lshl_add_u64 v[2:3], v[0:1], 1, s[22:23]
	s_waitcnt lgkmcnt(5)
	;; [unrolled: 6-line block ×6, first 2 shown]
	v_add3_u32 v0, v22, v10, s0
	global_store_short v[2:3], v4, off
	v_xor_b32_e32 v4, 0xffff8000, v12
	v_lshl_add_u64 v[2:3], v[0:1], 1, s[22:23]
	global_store_short v[2:3], v4, off
	v_lshrrev_b32_sdwa v2, s24, v13 dst_sel:DWORD dst_unused:UNUSED_PAD src0_sel:DWORD src1_sel:WORD_0
	v_and_b32_e32 v2, s14, v2
	v_lshlrev_b32_e32 v2, 2, v2
	ds_read_b32 v5, v2
	s_movk_i32 s0, 0x2800
	s_add_i32 s3, s3, -1
	s_waitcnt lgkmcnt(1)
	v_add3_u32 v0, v23, v10, s0
	s_movk_i32 s0, 0x2c00
	s_cmp_eq_u32 s3, s2
	v_xor_b32_e32 v4, 0xffff8000, v21
	v_lshl_add_u64 v[2:3], v[0:1], 1, s[22:23]
	s_waitcnt lgkmcnt(0)
	v_add3_u32 v0, v5, v10, s0
	s_cselect_b64 s[0:1], -1, 0
	global_store_short v[2:3], v4, off
	v_xor_b32_e32 v2, 0xffff8000, v13
	v_lshl_add_u64 v[0:1], v[0:1], 1, s[22:23]
	s_and_b64 s[2:3], vcc, s[0:1]
	global_store_short v[0:1], v2, off
                                        ; implicit-def: $vgpr2
	s_and_saveexec_b64 s[0:1], s[2:3]
; %bb.144:
	v_add_u32_e32 v2, v6, v8
	s_or_b64 s[10:11], s[10:11], exec
; %bb.145:
	s_or_b64 exec, exec, s[0:1]
.LBB1988_146:
	s_and_saveexec_b64 s[0:1], s[10:11]
	s_cbranch_execnz .LBB1988_148
; %bb.147:
	s_endpgm
.LBB1988_148:
	v_lshlrev_b32_e32 v0, 2, v10
	ds_read_b32 v3, v0
	v_mov_b32_e32 v0, s18
	v_mov_b32_e32 v1, s19
	v_lshl_add_u64 v[0:1], v[10:11], 2, v[0:1]
	s_waitcnt lgkmcnt(0)
	v_add_u32_e32 v2, v3, v2
	global_store_dword v[0:1], v2, off
	s_endpgm
	.section	.rodata,"a",@progbits
	.p2align	6, 0x0
	.amdhsa_kernel _ZN7rocprim17ROCPRIM_400000_NS6detail17trampoline_kernelINS0_14default_configENS1_35radix_sort_onesweep_config_selectorIsNS0_10empty_typeEEEZZNS1_29radix_sort_onesweep_iterationIS3_Lb0EN6thrust23THRUST_200600_302600_NS6detail15normal_iteratorINS9_10device_ptrIsEEEESE_PS5_SF_jNS0_19identity_decomposerENS1_16block_id_wrapperIjLb0EEEEE10hipError_tT1_PNSt15iterator_traitsISK_E10value_typeET2_T3_PNSL_ISQ_E10value_typeET4_T5_PSV_SW_PNS1_23onesweep_lookback_stateEbbT6_jjT7_P12ihipStream_tbENKUlT_T0_SK_SP_E_clISE_PsSF_SF_EEDaS13_S14_SK_SP_EUlS13_E_NS1_11comp_targetILNS1_3genE5ELNS1_11target_archE942ELNS1_3gpuE9ELNS1_3repE0EEENS1_47radix_sort_onesweep_sort_config_static_selectorELNS0_4arch9wavefront6targetE1EEEvSK_
		.amdhsa_group_segment_fixed_size 25608
		.amdhsa_private_segment_fixed_size 0
		.amdhsa_kernarg_size 344
		.amdhsa_user_sgpr_count 2
		.amdhsa_user_sgpr_dispatch_ptr 0
		.amdhsa_user_sgpr_queue_ptr 0
		.amdhsa_user_sgpr_kernarg_segment_ptr 1
		.amdhsa_user_sgpr_dispatch_id 0
		.amdhsa_user_sgpr_kernarg_preload_length 0
		.amdhsa_user_sgpr_kernarg_preload_offset 0
		.amdhsa_user_sgpr_private_segment_size 0
		.amdhsa_uses_dynamic_stack 0
		.amdhsa_enable_private_segment 0
		.amdhsa_system_sgpr_workgroup_id_x 1
		.amdhsa_system_sgpr_workgroup_id_y 0
		.amdhsa_system_sgpr_workgroup_id_z 0
		.amdhsa_system_sgpr_workgroup_info 0
		.amdhsa_system_vgpr_workitem_id 2
		.amdhsa_next_free_vgpr 62
		.amdhsa_next_free_sgpr 32
		.amdhsa_accum_offset 64
		.amdhsa_reserve_vcc 1
		.amdhsa_float_round_mode_32 0
		.amdhsa_float_round_mode_16_64 0
		.amdhsa_float_denorm_mode_32 3
		.amdhsa_float_denorm_mode_16_64 3
		.amdhsa_dx10_clamp 1
		.amdhsa_ieee_mode 1
		.amdhsa_fp16_overflow 0
		.amdhsa_tg_split 0
		.amdhsa_exception_fp_ieee_invalid_op 0
		.amdhsa_exception_fp_denorm_src 0
		.amdhsa_exception_fp_ieee_div_zero 0
		.amdhsa_exception_fp_ieee_overflow 0
		.amdhsa_exception_fp_ieee_underflow 0
		.amdhsa_exception_fp_ieee_inexact 0
		.amdhsa_exception_int_div_zero 0
	.end_amdhsa_kernel
	.section	.text._ZN7rocprim17ROCPRIM_400000_NS6detail17trampoline_kernelINS0_14default_configENS1_35radix_sort_onesweep_config_selectorIsNS0_10empty_typeEEEZZNS1_29radix_sort_onesweep_iterationIS3_Lb0EN6thrust23THRUST_200600_302600_NS6detail15normal_iteratorINS9_10device_ptrIsEEEESE_PS5_SF_jNS0_19identity_decomposerENS1_16block_id_wrapperIjLb0EEEEE10hipError_tT1_PNSt15iterator_traitsISK_E10value_typeET2_T3_PNSL_ISQ_E10value_typeET4_T5_PSV_SW_PNS1_23onesweep_lookback_stateEbbT6_jjT7_P12ihipStream_tbENKUlT_T0_SK_SP_E_clISE_PsSF_SF_EEDaS13_S14_SK_SP_EUlS13_E_NS1_11comp_targetILNS1_3genE5ELNS1_11target_archE942ELNS1_3gpuE9ELNS1_3repE0EEENS1_47radix_sort_onesweep_sort_config_static_selectorELNS0_4arch9wavefront6targetE1EEEvSK_,"axG",@progbits,_ZN7rocprim17ROCPRIM_400000_NS6detail17trampoline_kernelINS0_14default_configENS1_35radix_sort_onesweep_config_selectorIsNS0_10empty_typeEEEZZNS1_29radix_sort_onesweep_iterationIS3_Lb0EN6thrust23THRUST_200600_302600_NS6detail15normal_iteratorINS9_10device_ptrIsEEEESE_PS5_SF_jNS0_19identity_decomposerENS1_16block_id_wrapperIjLb0EEEEE10hipError_tT1_PNSt15iterator_traitsISK_E10value_typeET2_T3_PNSL_ISQ_E10value_typeET4_T5_PSV_SW_PNS1_23onesweep_lookback_stateEbbT6_jjT7_P12ihipStream_tbENKUlT_T0_SK_SP_E_clISE_PsSF_SF_EEDaS13_S14_SK_SP_EUlS13_E_NS1_11comp_targetILNS1_3genE5ELNS1_11target_archE942ELNS1_3gpuE9ELNS1_3repE0EEENS1_47radix_sort_onesweep_sort_config_static_selectorELNS0_4arch9wavefront6targetE1EEEvSK_,comdat
.Lfunc_end1988:
	.size	_ZN7rocprim17ROCPRIM_400000_NS6detail17trampoline_kernelINS0_14default_configENS1_35radix_sort_onesweep_config_selectorIsNS0_10empty_typeEEEZZNS1_29radix_sort_onesweep_iterationIS3_Lb0EN6thrust23THRUST_200600_302600_NS6detail15normal_iteratorINS9_10device_ptrIsEEEESE_PS5_SF_jNS0_19identity_decomposerENS1_16block_id_wrapperIjLb0EEEEE10hipError_tT1_PNSt15iterator_traitsISK_E10value_typeET2_T3_PNSL_ISQ_E10value_typeET4_T5_PSV_SW_PNS1_23onesweep_lookback_stateEbbT6_jjT7_P12ihipStream_tbENKUlT_T0_SK_SP_E_clISE_PsSF_SF_EEDaS13_S14_SK_SP_EUlS13_E_NS1_11comp_targetILNS1_3genE5ELNS1_11target_archE942ELNS1_3gpuE9ELNS1_3repE0EEENS1_47radix_sort_onesweep_sort_config_static_selectorELNS0_4arch9wavefront6targetE1EEEvSK_, .Lfunc_end1988-_ZN7rocprim17ROCPRIM_400000_NS6detail17trampoline_kernelINS0_14default_configENS1_35radix_sort_onesweep_config_selectorIsNS0_10empty_typeEEEZZNS1_29radix_sort_onesweep_iterationIS3_Lb0EN6thrust23THRUST_200600_302600_NS6detail15normal_iteratorINS9_10device_ptrIsEEEESE_PS5_SF_jNS0_19identity_decomposerENS1_16block_id_wrapperIjLb0EEEEE10hipError_tT1_PNSt15iterator_traitsISK_E10value_typeET2_T3_PNSL_ISQ_E10value_typeET4_T5_PSV_SW_PNS1_23onesweep_lookback_stateEbbT6_jjT7_P12ihipStream_tbENKUlT_T0_SK_SP_E_clISE_PsSF_SF_EEDaS13_S14_SK_SP_EUlS13_E_NS1_11comp_targetILNS1_3genE5ELNS1_11target_archE942ELNS1_3gpuE9ELNS1_3repE0EEENS1_47radix_sort_onesweep_sort_config_static_selectorELNS0_4arch9wavefront6targetE1EEEvSK_
                                        ; -- End function
	.section	.AMDGPU.csdata,"",@progbits
; Kernel info:
; codeLenInByte = 15996
; NumSgprs: 38
; NumVgprs: 62
; NumAgprs: 0
; TotalNumVgprs: 62
; ScratchSize: 0
; MemoryBound: 0
; FloatMode: 240
; IeeeMode: 1
; LDSByteSize: 25608 bytes/workgroup (compile time only)
; SGPRBlocks: 4
; VGPRBlocks: 7
; NumSGPRsForWavesPerEU: 38
; NumVGPRsForWavesPerEU: 62
; AccumOffset: 64
; Occupancy: 8
; WaveLimiterHint : 1
; COMPUTE_PGM_RSRC2:SCRATCH_EN: 0
; COMPUTE_PGM_RSRC2:USER_SGPR: 2
; COMPUTE_PGM_RSRC2:TRAP_HANDLER: 0
; COMPUTE_PGM_RSRC2:TGID_X_EN: 1
; COMPUTE_PGM_RSRC2:TGID_Y_EN: 0
; COMPUTE_PGM_RSRC2:TGID_Z_EN: 0
; COMPUTE_PGM_RSRC2:TIDIG_COMP_CNT: 2
; COMPUTE_PGM_RSRC3_GFX90A:ACCUM_OFFSET: 15
; COMPUTE_PGM_RSRC3_GFX90A:TG_SPLIT: 0
	.section	.text._ZN7rocprim17ROCPRIM_400000_NS6detail17trampoline_kernelINS0_14default_configENS1_35radix_sort_onesweep_config_selectorIsNS0_10empty_typeEEEZZNS1_29radix_sort_onesweep_iterationIS3_Lb0EN6thrust23THRUST_200600_302600_NS6detail15normal_iteratorINS9_10device_ptrIsEEEESE_PS5_SF_jNS0_19identity_decomposerENS1_16block_id_wrapperIjLb0EEEEE10hipError_tT1_PNSt15iterator_traitsISK_E10value_typeET2_T3_PNSL_ISQ_E10value_typeET4_T5_PSV_SW_PNS1_23onesweep_lookback_stateEbbT6_jjT7_P12ihipStream_tbENKUlT_T0_SK_SP_E_clISE_PsSF_SF_EEDaS13_S14_SK_SP_EUlS13_E_NS1_11comp_targetILNS1_3genE2ELNS1_11target_archE906ELNS1_3gpuE6ELNS1_3repE0EEENS1_47radix_sort_onesweep_sort_config_static_selectorELNS0_4arch9wavefront6targetE1EEEvSK_,"axG",@progbits,_ZN7rocprim17ROCPRIM_400000_NS6detail17trampoline_kernelINS0_14default_configENS1_35radix_sort_onesweep_config_selectorIsNS0_10empty_typeEEEZZNS1_29radix_sort_onesweep_iterationIS3_Lb0EN6thrust23THRUST_200600_302600_NS6detail15normal_iteratorINS9_10device_ptrIsEEEESE_PS5_SF_jNS0_19identity_decomposerENS1_16block_id_wrapperIjLb0EEEEE10hipError_tT1_PNSt15iterator_traitsISK_E10value_typeET2_T3_PNSL_ISQ_E10value_typeET4_T5_PSV_SW_PNS1_23onesweep_lookback_stateEbbT6_jjT7_P12ihipStream_tbENKUlT_T0_SK_SP_E_clISE_PsSF_SF_EEDaS13_S14_SK_SP_EUlS13_E_NS1_11comp_targetILNS1_3genE2ELNS1_11target_archE906ELNS1_3gpuE6ELNS1_3repE0EEENS1_47radix_sort_onesweep_sort_config_static_selectorELNS0_4arch9wavefront6targetE1EEEvSK_,comdat
	.protected	_ZN7rocprim17ROCPRIM_400000_NS6detail17trampoline_kernelINS0_14default_configENS1_35radix_sort_onesweep_config_selectorIsNS0_10empty_typeEEEZZNS1_29radix_sort_onesweep_iterationIS3_Lb0EN6thrust23THRUST_200600_302600_NS6detail15normal_iteratorINS9_10device_ptrIsEEEESE_PS5_SF_jNS0_19identity_decomposerENS1_16block_id_wrapperIjLb0EEEEE10hipError_tT1_PNSt15iterator_traitsISK_E10value_typeET2_T3_PNSL_ISQ_E10value_typeET4_T5_PSV_SW_PNS1_23onesweep_lookback_stateEbbT6_jjT7_P12ihipStream_tbENKUlT_T0_SK_SP_E_clISE_PsSF_SF_EEDaS13_S14_SK_SP_EUlS13_E_NS1_11comp_targetILNS1_3genE2ELNS1_11target_archE906ELNS1_3gpuE6ELNS1_3repE0EEENS1_47radix_sort_onesweep_sort_config_static_selectorELNS0_4arch9wavefront6targetE1EEEvSK_ ; -- Begin function _ZN7rocprim17ROCPRIM_400000_NS6detail17trampoline_kernelINS0_14default_configENS1_35radix_sort_onesweep_config_selectorIsNS0_10empty_typeEEEZZNS1_29radix_sort_onesweep_iterationIS3_Lb0EN6thrust23THRUST_200600_302600_NS6detail15normal_iteratorINS9_10device_ptrIsEEEESE_PS5_SF_jNS0_19identity_decomposerENS1_16block_id_wrapperIjLb0EEEEE10hipError_tT1_PNSt15iterator_traitsISK_E10value_typeET2_T3_PNSL_ISQ_E10value_typeET4_T5_PSV_SW_PNS1_23onesweep_lookback_stateEbbT6_jjT7_P12ihipStream_tbENKUlT_T0_SK_SP_E_clISE_PsSF_SF_EEDaS13_S14_SK_SP_EUlS13_E_NS1_11comp_targetILNS1_3genE2ELNS1_11target_archE906ELNS1_3gpuE6ELNS1_3repE0EEENS1_47radix_sort_onesweep_sort_config_static_selectorELNS0_4arch9wavefront6targetE1EEEvSK_
	.globl	_ZN7rocprim17ROCPRIM_400000_NS6detail17trampoline_kernelINS0_14default_configENS1_35radix_sort_onesweep_config_selectorIsNS0_10empty_typeEEEZZNS1_29radix_sort_onesweep_iterationIS3_Lb0EN6thrust23THRUST_200600_302600_NS6detail15normal_iteratorINS9_10device_ptrIsEEEESE_PS5_SF_jNS0_19identity_decomposerENS1_16block_id_wrapperIjLb0EEEEE10hipError_tT1_PNSt15iterator_traitsISK_E10value_typeET2_T3_PNSL_ISQ_E10value_typeET4_T5_PSV_SW_PNS1_23onesweep_lookback_stateEbbT6_jjT7_P12ihipStream_tbENKUlT_T0_SK_SP_E_clISE_PsSF_SF_EEDaS13_S14_SK_SP_EUlS13_E_NS1_11comp_targetILNS1_3genE2ELNS1_11target_archE906ELNS1_3gpuE6ELNS1_3repE0EEENS1_47radix_sort_onesweep_sort_config_static_selectorELNS0_4arch9wavefront6targetE1EEEvSK_
	.p2align	8
	.type	_ZN7rocprim17ROCPRIM_400000_NS6detail17trampoline_kernelINS0_14default_configENS1_35radix_sort_onesweep_config_selectorIsNS0_10empty_typeEEEZZNS1_29radix_sort_onesweep_iterationIS3_Lb0EN6thrust23THRUST_200600_302600_NS6detail15normal_iteratorINS9_10device_ptrIsEEEESE_PS5_SF_jNS0_19identity_decomposerENS1_16block_id_wrapperIjLb0EEEEE10hipError_tT1_PNSt15iterator_traitsISK_E10value_typeET2_T3_PNSL_ISQ_E10value_typeET4_T5_PSV_SW_PNS1_23onesweep_lookback_stateEbbT6_jjT7_P12ihipStream_tbENKUlT_T0_SK_SP_E_clISE_PsSF_SF_EEDaS13_S14_SK_SP_EUlS13_E_NS1_11comp_targetILNS1_3genE2ELNS1_11target_archE906ELNS1_3gpuE6ELNS1_3repE0EEENS1_47radix_sort_onesweep_sort_config_static_selectorELNS0_4arch9wavefront6targetE1EEEvSK_,@function
_ZN7rocprim17ROCPRIM_400000_NS6detail17trampoline_kernelINS0_14default_configENS1_35radix_sort_onesweep_config_selectorIsNS0_10empty_typeEEEZZNS1_29radix_sort_onesweep_iterationIS3_Lb0EN6thrust23THRUST_200600_302600_NS6detail15normal_iteratorINS9_10device_ptrIsEEEESE_PS5_SF_jNS0_19identity_decomposerENS1_16block_id_wrapperIjLb0EEEEE10hipError_tT1_PNSt15iterator_traitsISK_E10value_typeET2_T3_PNSL_ISQ_E10value_typeET4_T5_PSV_SW_PNS1_23onesweep_lookback_stateEbbT6_jjT7_P12ihipStream_tbENKUlT_T0_SK_SP_E_clISE_PsSF_SF_EEDaS13_S14_SK_SP_EUlS13_E_NS1_11comp_targetILNS1_3genE2ELNS1_11target_archE906ELNS1_3gpuE6ELNS1_3repE0EEENS1_47radix_sort_onesweep_sort_config_static_selectorELNS0_4arch9wavefront6targetE1EEEvSK_: ; @_ZN7rocprim17ROCPRIM_400000_NS6detail17trampoline_kernelINS0_14default_configENS1_35radix_sort_onesweep_config_selectorIsNS0_10empty_typeEEEZZNS1_29radix_sort_onesweep_iterationIS3_Lb0EN6thrust23THRUST_200600_302600_NS6detail15normal_iteratorINS9_10device_ptrIsEEEESE_PS5_SF_jNS0_19identity_decomposerENS1_16block_id_wrapperIjLb0EEEEE10hipError_tT1_PNSt15iterator_traitsISK_E10value_typeET2_T3_PNSL_ISQ_E10value_typeET4_T5_PSV_SW_PNS1_23onesweep_lookback_stateEbbT6_jjT7_P12ihipStream_tbENKUlT_T0_SK_SP_E_clISE_PsSF_SF_EEDaS13_S14_SK_SP_EUlS13_E_NS1_11comp_targetILNS1_3genE2ELNS1_11target_archE906ELNS1_3gpuE6ELNS1_3repE0EEENS1_47radix_sort_onesweep_sort_config_static_selectorELNS0_4arch9wavefront6targetE1EEEvSK_
; %bb.0:
	.section	.rodata,"a",@progbits
	.p2align	6, 0x0
	.amdhsa_kernel _ZN7rocprim17ROCPRIM_400000_NS6detail17trampoline_kernelINS0_14default_configENS1_35radix_sort_onesweep_config_selectorIsNS0_10empty_typeEEEZZNS1_29radix_sort_onesweep_iterationIS3_Lb0EN6thrust23THRUST_200600_302600_NS6detail15normal_iteratorINS9_10device_ptrIsEEEESE_PS5_SF_jNS0_19identity_decomposerENS1_16block_id_wrapperIjLb0EEEEE10hipError_tT1_PNSt15iterator_traitsISK_E10value_typeET2_T3_PNSL_ISQ_E10value_typeET4_T5_PSV_SW_PNS1_23onesweep_lookback_stateEbbT6_jjT7_P12ihipStream_tbENKUlT_T0_SK_SP_E_clISE_PsSF_SF_EEDaS13_S14_SK_SP_EUlS13_E_NS1_11comp_targetILNS1_3genE2ELNS1_11target_archE906ELNS1_3gpuE6ELNS1_3repE0EEENS1_47radix_sort_onesweep_sort_config_static_selectorELNS0_4arch9wavefront6targetE1EEEvSK_
		.amdhsa_group_segment_fixed_size 0
		.amdhsa_private_segment_fixed_size 0
		.amdhsa_kernarg_size 88
		.amdhsa_user_sgpr_count 2
		.amdhsa_user_sgpr_dispatch_ptr 0
		.amdhsa_user_sgpr_queue_ptr 0
		.amdhsa_user_sgpr_kernarg_segment_ptr 1
		.amdhsa_user_sgpr_dispatch_id 0
		.amdhsa_user_sgpr_kernarg_preload_length 0
		.amdhsa_user_sgpr_kernarg_preload_offset 0
		.amdhsa_user_sgpr_private_segment_size 0
		.amdhsa_uses_dynamic_stack 0
		.amdhsa_enable_private_segment 0
		.amdhsa_system_sgpr_workgroup_id_x 1
		.amdhsa_system_sgpr_workgroup_id_y 0
		.amdhsa_system_sgpr_workgroup_id_z 0
		.amdhsa_system_sgpr_workgroup_info 0
		.amdhsa_system_vgpr_workitem_id 0
		.amdhsa_next_free_vgpr 1
		.amdhsa_next_free_sgpr 0
		.amdhsa_accum_offset 4
		.amdhsa_reserve_vcc 0
		.amdhsa_float_round_mode_32 0
		.amdhsa_float_round_mode_16_64 0
		.amdhsa_float_denorm_mode_32 3
		.amdhsa_float_denorm_mode_16_64 3
		.amdhsa_dx10_clamp 1
		.amdhsa_ieee_mode 1
		.amdhsa_fp16_overflow 0
		.amdhsa_tg_split 0
		.amdhsa_exception_fp_ieee_invalid_op 0
		.amdhsa_exception_fp_denorm_src 0
		.amdhsa_exception_fp_ieee_div_zero 0
		.amdhsa_exception_fp_ieee_overflow 0
		.amdhsa_exception_fp_ieee_underflow 0
		.amdhsa_exception_fp_ieee_inexact 0
		.amdhsa_exception_int_div_zero 0
	.end_amdhsa_kernel
	.section	.text._ZN7rocprim17ROCPRIM_400000_NS6detail17trampoline_kernelINS0_14default_configENS1_35radix_sort_onesweep_config_selectorIsNS0_10empty_typeEEEZZNS1_29radix_sort_onesweep_iterationIS3_Lb0EN6thrust23THRUST_200600_302600_NS6detail15normal_iteratorINS9_10device_ptrIsEEEESE_PS5_SF_jNS0_19identity_decomposerENS1_16block_id_wrapperIjLb0EEEEE10hipError_tT1_PNSt15iterator_traitsISK_E10value_typeET2_T3_PNSL_ISQ_E10value_typeET4_T5_PSV_SW_PNS1_23onesweep_lookback_stateEbbT6_jjT7_P12ihipStream_tbENKUlT_T0_SK_SP_E_clISE_PsSF_SF_EEDaS13_S14_SK_SP_EUlS13_E_NS1_11comp_targetILNS1_3genE2ELNS1_11target_archE906ELNS1_3gpuE6ELNS1_3repE0EEENS1_47radix_sort_onesweep_sort_config_static_selectorELNS0_4arch9wavefront6targetE1EEEvSK_,"axG",@progbits,_ZN7rocprim17ROCPRIM_400000_NS6detail17trampoline_kernelINS0_14default_configENS1_35radix_sort_onesweep_config_selectorIsNS0_10empty_typeEEEZZNS1_29radix_sort_onesweep_iterationIS3_Lb0EN6thrust23THRUST_200600_302600_NS6detail15normal_iteratorINS9_10device_ptrIsEEEESE_PS5_SF_jNS0_19identity_decomposerENS1_16block_id_wrapperIjLb0EEEEE10hipError_tT1_PNSt15iterator_traitsISK_E10value_typeET2_T3_PNSL_ISQ_E10value_typeET4_T5_PSV_SW_PNS1_23onesweep_lookback_stateEbbT6_jjT7_P12ihipStream_tbENKUlT_T0_SK_SP_E_clISE_PsSF_SF_EEDaS13_S14_SK_SP_EUlS13_E_NS1_11comp_targetILNS1_3genE2ELNS1_11target_archE906ELNS1_3gpuE6ELNS1_3repE0EEENS1_47radix_sort_onesweep_sort_config_static_selectorELNS0_4arch9wavefront6targetE1EEEvSK_,comdat
.Lfunc_end1989:
	.size	_ZN7rocprim17ROCPRIM_400000_NS6detail17trampoline_kernelINS0_14default_configENS1_35radix_sort_onesweep_config_selectorIsNS0_10empty_typeEEEZZNS1_29radix_sort_onesweep_iterationIS3_Lb0EN6thrust23THRUST_200600_302600_NS6detail15normal_iteratorINS9_10device_ptrIsEEEESE_PS5_SF_jNS0_19identity_decomposerENS1_16block_id_wrapperIjLb0EEEEE10hipError_tT1_PNSt15iterator_traitsISK_E10value_typeET2_T3_PNSL_ISQ_E10value_typeET4_T5_PSV_SW_PNS1_23onesweep_lookback_stateEbbT6_jjT7_P12ihipStream_tbENKUlT_T0_SK_SP_E_clISE_PsSF_SF_EEDaS13_S14_SK_SP_EUlS13_E_NS1_11comp_targetILNS1_3genE2ELNS1_11target_archE906ELNS1_3gpuE6ELNS1_3repE0EEENS1_47radix_sort_onesweep_sort_config_static_selectorELNS0_4arch9wavefront6targetE1EEEvSK_, .Lfunc_end1989-_ZN7rocprim17ROCPRIM_400000_NS6detail17trampoline_kernelINS0_14default_configENS1_35radix_sort_onesweep_config_selectorIsNS0_10empty_typeEEEZZNS1_29radix_sort_onesweep_iterationIS3_Lb0EN6thrust23THRUST_200600_302600_NS6detail15normal_iteratorINS9_10device_ptrIsEEEESE_PS5_SF_jNS0_19identity_decomposerENS1_16block_id_wrapperIjLb0EEEEE10hipError_tT1_PNSt15iterator_traitsISK_E10value_typeET2_T3_PNSL_ISQ_E10value_typeET4_T5_PSV_SW_PNS1_23onesweep_lookback_stateEbbT6_jjT7_P12ihipStream_tbENKUlT_T0_SK_SP_E_clISE_PsSF_SF_EEDaS13_S14_SK_SP_EUlS13_E_NS1_11comp_targetILNS1_3genE2ELNS1_11target_archE906ELNS1_3gpuE6ELNS1_3repE0EEENS1_47radix_sort_onesweep_sort_config_static_selectorELNS0_4arch9wavefront6targetE1EEEvSK_
                                        ; -- End function
	.section	.AMDGPU.csdata,"",@progbits
; Kernel info:
; codeLenInByte = 0
; NumSgprs: 6
; NumVgprs: 0
; NumAgprs: 0
; TotalNumVgprs: 0
; ScratchSize: 0
; MemoryBound: 0
; FloatMode: 240
; IeeeMode: 1
; LDSByteSize: 0 bytes/workgroup (compile time only)
; SGPRBlocks: 0
; VGPRBlocks: 0
; NumSGPRsForWavesPerEU: 6
; NumVGPRsForWavesPerEU: 1
; AccumOffset: 4
; Occupancy: 8
; WaveLimiterHint : 0
; COMPUTE_PGM_RSRC2:SCRATCH_EN: 0
; COMPUTE_PGM_RSRC2:USER_SGPR: 2
; COMPUTE_PGM_RSRC2:TRAP_HANDLER: 0
; COMPUTE_PGM_RSRC2:TGID_X_EN: 1
; COMPUTE_PGM_RSRC2:TGID_Y_EN: 0
; COMPUTE_PGM_RSRC2:TGID_Z_EN: 0
; COMPUTE_PGM_RSRC2:TIDIG_COMP_CNT: 0
; COMPUTE_PGM_RSRC3_GFX90A:ACCUM_OFFSET: 0
; COMPUTE_PGM_RSRC3_GFX90A:TG_SPLIT: 0
	.section	.text._ZN7rocprim17ROCPRIM_400000_NS6detail17trampoline_kernelINS0_14default_configENS1_35radix_sort_onesweep_config_selectorIsNS0_10empty_typeEEEZZNS1_29radix_sort_onesweep_iterationIS3_Lb0EN6thrust23THRUST_200600_302600_NS6detail15normal_iteratorINS9_10device_ptrIsEEEESE_PS5_SF_jNS0_19identity_decomposerENS1_16block_id_wrapperIjLb0EEEEE10hipError_tT1_PNSt15iterator_traitsISK_E10value_typeET2_T3_PNSL_ISQ_E10value_typeET4_T5_PSV_SW_PNS1_23onesweep_lookback_stateEbbT6_jjT7_P12ihipStream_tbENKUlT_T0_SK_SP_E_clISE_PsSF_SF_EEDaS13_S14_SK_SP_EUlS13_E_NS1_11comp_targetILNS1_3genE4ELNS1_11target_archE910ELNS1_3gpuE8ELNS1_3repE0EEENS1_47radix_sort_onesweep_sort_config_static_selectorELNS0_4arch9wavefront6targetE1EEEvSK_,"axG",@progbits,_ZN7rocprim17ROCPRIM_400000_NS6detail17trampoline_kernelINS0_14default_configENS1_35radix_sort_onesweep_config_selectorIsNS0_10empty_typeEEEZZNS1_29radix_sort_onesweep_iterationIS3_Lb0EN6thrust23THRUST_200600_302600_NS6detail15normal_iteratorINS9_10device_ptrIsEEEESE_PS5_SF_jNS0_19identity_decomposerENS1_16block_id_wrapperIjLb0EEEEE10hipError_tT1_PNSt15iterator_traitsISK_E10value_typeET2_T3_PNSL_ISQ_E10value_typeET4_T5_PSV_SW_PNS1_23onesweep_lookback_stateEbbT6_jjT7_P12ihipStream_tbENKUlT_T0_SK_SP_E_clISE_PsSF_SF_EEDaS13_S14_SK_SP_EUlS13_E_NS1_11comp_targetILNS1_3genE4ELNS1_11target_archE910ELNS1_3gpuE8ELNS1_3repE0EEENS1_47radix_sort_onesweep_sort_config_static_selectorELNS0_4arch9wavefront6targetE1EEEvSK_,comdat
	.protected	_ZN7rocprim17ROCPRIM_400000_NS6detail17trampoline_kernelINS0_14default_configENS1_35radix_sort_onesweep_config_selectorIsNS0_10empty_typeEEEZZNS1_29radix_sort_onesweep_iterationIS3_Lb0EN6thrust23THRUST_200600_302600_NS6detail15normal_iteratorINS9_10device_ptrIsEEEESE_PS5_SF_jNS0_19identity_decomposerENS1_16block_id_wrapperIjLb0EEEEE10hipError_tT1_PNSt15iterator_traitsISK_E10value_typeET2_T3_PNSL_ISQ_E10value_typeET4_T5_PSV_SW_PNS1_23onesweep_lookback_stateEbbT6_jjT7_P12ihipStream_tbENKUlT_T0_SK_SP_E_clISE_PsSF_SF_EEDaS13_S14_SK_SP_EUlS13_E_NS1_11comp_targetILNS1_3genE4ELNS1_11target_archE910ELNS1_3gpuE8ELNS1_3repE0EEENS1_47radix_sort_onesweep_sort_config_static_selectorELNS0_4arch9wavefront6targetE1EEEvSK_ ; -- Begin function _ZN7rocprim17ROCPRIM_400000_NS6detail17trampoline_kernelINS0_14default_configENS1_35radix_sort_onesweep_config_selectorIsNS0_10empty_typeEEEZZNS1_29radix_sort_onesweep_iterationIS3_Lb0EN6thrust23THRUST_200600_302600_NS6detail15normal_iteratorINS9_10device_ptrIsEEEESE_PS5_SF_jNS0_19identity_decomposerENS1_16block_id_wrapperIjLb0EEEEE10hipError_tT1_PNSt15iterator_traitsISK_E10value_typeET2_T3_PNSL_ISQ_E10value_typeET4_T5_PSV_SW_PNS1_23onesweep_lookback_stateEbbT6_jjT7_P12ihipStream_tbENKUlT_T0_SK_SP_E_clISE_PsSF_SF_EEDaS13_S14_SK_SP_EUlS13_E_NS1_11comp_targetILNS1_3genE4ELNS1_11target_archE910ELNS1_3gpuE8ELNS1_3repE0EEENS1_47radix_sort_onesweep_sort_config_static_selectorELNS0_4arch9wavefront6targetE1EEEvSK_
	.globl	_ZN7rocprim17ROCPRIM_400000_NS6detail17trampoline_kernelINS0_14default_configENS1_35radix_sort_onesweep_config_selectorIsNS0_10empty_typeEEEZZNS1_29radix_sort_onesweep_iterationIS3_Lb0EN6thrust23THRUST_200600_302600_NS6detail15normal_iteratorINS9_10device_ptrIsEEEESE_PS5_SF_jNS0_19identity_decomposerENS1_16block_id_wrapperIjLb0EEEEE10hipError_tT1_PNSt15iterator_traitsISK_E10value_typeET2_T3_PNSL_ISQ_E10value_typeET4_T5_PSV_SW_PNS1_23onesweep_lookback_stateEbbT6_jjT7_P12ihipStream_tbENKUlT_T0_SK_SP_E_clISE_PsSF_SF_EEDaS13_S14_SK_SP_EUlS13_E_NS1_11comp_targetILNS1_3genE4ELNS1_11target_archE910ELNS1_3gpuE8ELNS1_3repE0EEENS1_47radix_sort_onesweep_sort_config_static_selectorELNS0_4arch9wavefront6targetE1EEEvSK_
	.p2align	8
	.type	_ZN7rocprim17ROCPRIM_400000_NS6detail17trampoline_kernelINS0_14default_configENS1_35radix_sort_onesweep_config_selectorIsNS0_10empty_typeEEEZZNS1_29radix_sort_onesweep_iterationIS3_Lb0EN6thrust23THRUST_200600_302600_NS6detail15normal_iteratorINS9_10device_ptrIsEEEESE_PS5_SF_jNS0_19identity_decomposerENS1_16block_id_wrapperIjLb0EEEEE10hipError_tT1_PNSt15iterator_traitsISK_E10value_typeET2_T3_PNSL_ISQ_E10value_typeET4_T5_PSV_SW_PNS1_23onesweep_lookback_stateEbbT6_jjT7_P12ihipStream_tbENKUlT_T0_SK_SP_E_clISE_PsSF_SF_EEDaS13_S14_SK_SP_EUlS13_E_NS1_11comp_targetILNS1_3genE4ELNS1_11target_archE910ELNS1_3gpuE8ELNS1_3repE0EEENS1_47radix_sort_onesweep_sort_config_static_selectorELNS0_4arch9wavefront6targetE1EEEvSK_,@function
_ZN7rocprim17ROCPRIM_400000_NS6detail17trampoline_kernelINS0_14default_configENS1_35radix_sort_onesweep_config_selectorIsNS0_10empty_typeEEEZZNS1_29radix_sort_onesweep_iterationIS3_Lb0EN6thrust23THRUST_200600_302600_NS6detail15normal_iteratorINS9_10device_ptrIsEEEESE_PS5_SF_jNS0_19identity_decomposerENS1_16block_id_wrapperIjLb0EEEEE10hipError_tT1_PNSt15iterator_traitsISK_E10value_typeET2_T3_PNSL_ISQ_E10value_typeET4_T5_PSV_SW_PNS1_23onesweep_lookback_stateEbbT6_jjT7_P12ihipStream_tbENKUlT_T0_SK_SP_E_clISE_PsSF_SF_EEDaS13_S14_SK_SP_EUlS13_E_NS1_11comp_targetILNS1_3genE4ELNS1_11target_archE910ELNS1_3gpuE8ELNS1_3repE0EEENS1_47radix_sort_onesweep_sort_config_static_selectorELNS0_4arch9wavefront6targetE1EEEvSK_: ; @_ZN7rocprim17ROCPRIM_400000_NS6detail17trampoline_kernelINS0_14default_configENS1_35radix_sort_onesweep_config_selectorIsNS0_10empty_typeEEEZZNS1_29radix_sort_onesweep_iterationIS3_Lb0EN6thrust23THRUST_200600_302600_NS6detail15normal_iteratorINS9_10device_ptrIsEEEESE_PS5_SF_jNS0_19identity_decomposerENS1_16block_id_wrapperIjLb0EEEEE10hipError_tT1_PNSt15iterator_traitsISK_E10value_typeET2_T3_PNSL_ISQ_E10value_typeET4_T5_PSV_SW_PNS1_23onesweep_lookback_stateEbbT6_jjT7_P12ihipStream_tbENKUlT_T0_SK_SP_E_clISE_PsSF_SF_EEDaS13_S14_SK_SP_EUlS13_E_NS1_11comp_targetILNS1_3genE4ELNS1_11target_archE910ELNS1_3gpuE8ELNS1_3repE0EEENS1_47radix_sort_onesweep_sort_config_static_selectorELNS0_4arch9wavefront6targetE1EEEvSK_
; %bb.0:
	.section	.rodata,"a",@progbits
	.p2align	6, 0x0
	.amdhsa_kernel _ZN7rocprim17ROCPRIM_400000_NS6detail17trampoline_kernelINS0_14default_configENS1_35radix_sort_onesweep_config_selectorIsNS0_10empty_typeEEEZZNS1_29radix_sort_onesweep_iterationIS3_Lb0EN6thrust23THRUST_200600_302600_NS6detail15normal_iteratorINS9_10device_ptrIsEEEESE_PS5_SF_jNS0_19identity_decomposerENS1_16block_id_wrapperIjLb0EEEEE10hipError_tT1_PNSt15iterator_traitsISK_E10value_typeET2_T3_PNSL_ISQ_E10value_typeET4_T5_PSV_SW_PNS1_23onesweep_lookback_stateEbbT6_jjT7_P12ihipStream_tbENKUlT_T0_SK_SP_E_clISE_PsSF_SF_EEDaS13_S14_SK_SP_EUlS13_E_NS1_11comp_targetILNS1_3genE4ELNS1_11target_archE910ELNS1_3gpuE8ELNS1_3repE0EEENS1_47radix_sort_onesweep_sort_config_static_selectorELNS0_4arch9wavefront6targetE1EEEvSK_
		.amdhsa_group_segment_fixed_size 0
		.amdhsa_private_segment_fixed_size 0
		.amdhsa_kernarg_size 88
		.amdhsa_user_sgpr_count 2
		.amdhsa_user_sgpr_dispatch_ptr 0
		.amdhsa_user_sgpr_queue_ptr 0
		.amdhsa_user_sgpr_kernarg_segment_ptr 1
		.amdhsa_user_sgpr_dispatch_id 0
		.amdhsa_user_sgpr_kernarg_preload_length 0
		.amdhsa_user_sgpr_kernarg_preload_offset 0
		.amdhsa_user_sgpr_private_segment_size 0
		.amdhsa_uses_dynamic_stack 0
		.amdhsa_enable_private_segment 0
		.amdhsa_system_sgpr_workgroup_id_x 1
		.amdhsa_system_sgpr_workgroup_id_y 0
		.amdhsa_system_sgpr_workgroup_id_z 0
		.amdhsa_system_sgpr_workgroup_info 0
		.amdhsa_system_vgpr_workitem_id 0
		.amdhsa_next_free_vgpr 1
		.amdhsa_next_free_sgpr 0
		.amdhsa_accum_offset 4
		.amdhsa_reserve_vcc 0
		.amdhsa_float_round_mode_32 0
		.amdhsa_float_round_mode_16_64 0
		.amdhsa_float_denorm_mode_32 3
		.amdhsa_float_denorm_mode_16_64 3
		.amdhsa_dx10_clamp 1
		.amdhsa_ieee_mode 1
		.amdhsa_fp16_overflow 0
		.amdhsa_tg_split 0
		.amdhsa_exception_fp_ieee_invalid_op 0
		.amdhsa_exception_fp_denorm_src 0
		.amdhsa_exception_fp_ieee_div_zero 0
		.amdhsa_exception_fp_ieee_overflow 0
		.amdhsa_exception_fp_ieee_underflow 0
		.amdhsa_exception_fp_ieee_inexact 0
		.amdhsa_exception_int_div_zero 0
	.end_amdhsa_kernel
	.section	.text._ZN7rocprim17ROCPRIM_400000_NS6detail17trampoline_kernelINS0_14default_configENS1_35radix_sort_onesweep_config_selectorIsNS0_10empty_typeEEEZZNS1_29radix_sort_onesweep_iterationIS3_Lb0EN6thrust23THRUST_200600_302600_NS6detail15normal_iteratorINS9_10device_ptrIsEEEESE_PS5_SF_jNS0_19identity_decomposerENS1_16block_id_wrapperIjLb0EEEEE10hipError_tT1_PNSt15iterator_traitsISK_E10value_typeET2_T3_PNSL_ISQ_E10value_typeET4_T5_PSV_SW_PNS1_23onesweep_lookback_stateEbbT6_jjT7_P12ihipStream_tbENKUlT_T0_SK_SP_E_clISE_PsSF_SF_EEDaS13_S14_SK_SP_EUlS13_E_NS1_11comp_targetILNS1_3genE4ELNS1_11target_archE910ELNS1_3gpuE8ELNS1_3repE0EEENS1_47radix_sort_onesweep_sort_config_static_selectorELNS0_4arch9wavefront6targetE1EEEvSK_,"axG",@progbits,_ZN7rocprim17ROCPRIM_400000_NS6detail17trampoline_kernelINS0_14default_configENS1_35radix_sort_onesweep_config_selectorIsNS0_10empty_typeEEEZZNS1_29radix_sort_onesweep_iterationIS3_Lb0EN6thrust23THRUST_200600_302600_NS6detail15normal_iteratorINS9_10device_ptrIsEEEESE_PS5_SF_jNS0_19identity_decomposerENS1_16block_id_wrapperIjLb0EEEEE10hipError_tT1_PNSt15iterator_traitsISK_E10value_typeET2_T3_PNSL_ISQ_E10value_typeET4_T5_PSV_SW_PNS1_23onesweep_lookback_stateEbbT6_jjT7_P12ihipStream_tbENKUlT_T0_SK_SP_E_clISE_PsSF_SF_EEDaS13_S14_SK_SP_EUlS13_E_NS1_11comp_targetILNS1_3genE4ELNS1_11target_archE910ELNS1_3gpuE8ELNS1_3repE0EEENS1_47radix_sort_onesweep_sort_config_static_selectorELNS0_4arch9wavefront6targetE1EEEvSK_,comdat
.Lfunc_end1990:
	.size	_ZN7rocprim17ROCPRIM_400000_NS6detail17trampoline_kernelINS0_14default_configENS1_35radix_sort_onesweep_config_selectorIsNS0_10empty_typeEEEZZNS1_29radix_sort_onesweep_iterationIS3_Lb0EN6thrust23THRUST_200600_302600_NS6detail15normal_iteratorINS9_10device_ptrIsEEEESE_PS5_SF_jNS0_19identity_decomposerENS1_16block_id_wrapperIjLb0EEEEE10hipError_tT1_PNSt15iterator_traitsISK_E10value_typeET2_T3_PNSL_ISQ_E10value_typeET4_T5_PSV_SW_PNS1_23onesweep_lookback_stateEbbT6_jjT7_P12ihipStream_tbENKUlT_T0_SK_SP_E_clISE_PsSF_SF_EEDaS13_S14_SK_SP_EUlS13_E_NS1_11comp_targetILNS1_3genE4ELNS1_11target_archE910ELNS1_3gpuE8ELNS1_3repE0EEENS1_47radix_sort_onesweep_sort_config_static_selectorELNS0_4arch9wavefront6targetE1EEEvSK_, .Lfunc_end1990-_ZN7rocprim17ROCPRIM_400000_NS6detail17trampoline_kernelINS0_14default_configENS1_35radix_sort_onesweep_config_selectorIsNS0_10empty_typeEEEZZNS1_29radix_sort_onesweep_iterationIS3_Lb0EN6thrust23THRUST_200600_302600_NS6detail15normal_iteratorINS9_10device_ptrIsEEEESE_PS5_SF_jNS0_19identity_decomposerENS1_16block_id_wrapperIjLb0EEEEE10hipError_tT1_PNSt15iterator_traitsISK_E10value_typeET2_T3_PNSL_ISQ_E10value_typeET4_T5_PSV_SW_PNS1_23onesweep_lookback_stateEbbT6_jjT7_P12ihipStream_tbENKUlT_T0_SK_SP_E_clISE_PsSF_SF_EEDaS13_S14_SK_SP_EUlS13_E_NS1_11comp_targetILNS1_3genE4ELNS1_11target_archE910ELNS1_3gpuE8ELNS1_3repE0EEENS1_47radix_sort_onesweep_sort_config_static_selectorELNS0_4arch9wavefront6targetE1EEEvSK_
                                        ; -- End function
	.section	.AMDGPU.csdata,"",@progbits
; Kernel info:
; codeLenInByte = 0
; NumSgprs: 6
; NumVgprs: 0
; NumAgprs: 0
; TotalNumVgprs: 0
; ScratchSize: 0
; MemoryBound: 0
; FloatMode: 240
; IeeeMode: 1
; LDSByteSize: 0 bytes/workgroup (compile time only)
; SGPRBlocks: 0
; VGPRBlocks: 0
; NumSGPRsForWavesPerEU: 6
; NumVGPRsForWavesPerEU: 1
; AccumOffset: 4
; Occupancy: 8
; WaveLimiterHint : 0
; COMPUTE_PGM_RSRC2:SCRATCH_EN: 0
; COMPUTE_PGM_RSRC2:USER_SGPR: 2
; COMPUTE_PGM_RSRC2:TRAP_HANDLER: 0
; COMPUTE_PGM_RSRC2:TGID_X_EN: 1
; COMPUTE_PGM_RSRC2:TGID_Y_EN: 0
; COMPUTE_PGM_RSRC2:TGID_Z_EN: 0
; COMPUTE_PGM_RSRC2:TIDIG_COMP_CNT: 0
; COMPUTE_PGM_RSRC3_GFX90A:ACCUM_OFFSET: 0
; COMPUTE_PGM_RSRC3_GFX90A:TG_SPLIT: 0
	.section	.text._ZN7rocprim17ROCPRIM_400000_NS6detail17trampoline_kernelINS0_14default_configENS1_35radix_sort_onesweep_config_selectorIsNS0_10empty_typeEEEZZNS1_29radix_sort_onesweep_iterationIS3_Lb0EN6thrust23THRUST_200600_302600_NS6detail15normal_iteratorINS9_10device_ptrIsEEEESE_PS5_SF_jNS0_19identity_decomposerENS1_16block_id_wrapperIjLb0EEEEE10hipError_tT1_PNSt15iterator_traitsISK_E10value_typeET2_T3_PNSL_ISQ_E10value_typeET4_T5_PSV_SW_PNS1_23onesweep_lookback_stateEbbT6_jjT7_P12ihipStream_tbENKUlT_T0_SK_SP_E_clISE_PsSF_SF_EEDaS13_S14_SK_SP_EUlS13_E_NS1_11comp_targetILNS1_3genE3ELNS1_11target_archE908ELNS1_3gpuE7ELNS1_3repE0EEENS1_47radix_sort_onesweep_sort_config_static_selectorELNS0_4arch9wavefront6targetE1EEEvSK_,"axG",@progbits,_ZN7rocprim17ROCPRIM_400000_NS6detail17trampoline_kernelINS0_14default_configENS1_35radix_sort_onesweep_config_selectorIsNS0_10empty_typeEEEZZNS1_29radix_sort_onesweep_iterationIS3_Lb0EN6thrust23THRUST_200600_302600_NS6detail15normal_iteratorINS9_10device_ptrIsEEEESE_PS5_SF_jNS0_19identity_decomposerENS1_16block_id_wrapperIjLb0EEEEE10hipError_tT1_PNSt15iterator_traitsISK_E10value_typeET2_T3_PNSL_ISQ_E10value_typeET4_T5_PSV_SW_PNS1_23onesweep_lookback_stateEbbT6_jjT7_P12ihipStream_tbENKUlT_T0_SK_SP_E_clISE_PsSF_SF_EEDaS13_S14_SK_SP_EUlS13_E_NS1_11comp_targetILNS1_3genE3ELNS1_11target_archE908ELNS1_3gpuE7ELNS1_3repE0EEENS1_47radix_sort_onesweep_sort_config_static_selectorELNS0_4arch9wavefront6targetE1EEEvSK_,comdat
	.protected	_ZN7rocprim17ROCPRIM_400000_NS6detail17trampoline_kernelINS0_14default_configENS1_35radix_sort_onesweep_config_selectorIsNS0_10empty_typeEEEZZNS1_29radix_sort_onesweep_iterationIS3_Lb0EN6thrust23THRUST_200600_302600_NS6detail15normal_iteratorINS9_10device_ptrIsEEEESE_PS5_SF_jNS0_19identity_decomposerENS1_16block_id_wrapperIjLb0EEEEE10hipError_tT1_PNSt15iterator_traitsISK_E10value_typeET2_T3_PNSL_ISQ_E10value_typeET4_T5_PSV_SW_PNS1_23onesweep_lookback_stateEbbT6_jjT7_P12ihipStream_tbENKUlT_T0_SK_SP_E_clISE_PsSF_SF_EEDaS13_S14_SK_SP_EUlS13_E_NS1_11comp_targetILNS1_3genE3ELNS1_11target_archE908ELNS1_3gpuE7ELNS1_3repE0EEENS1_47radix_sort_onesweep_sort_config_static_selectorELNS0_4arch9wavefront6targetE1EEEvSK_ ; -- Begin function _ZN7rocprim17ROCPRIM_400000_NS6detail17trampoline_kernelINS0_14default_configENS1_35radix_sort_onesweep_config_selectorIsNS0_10empty_typeEEEZZNS1_29radix_sort_onesweep_iterationIS3_Lb0EN6thrust23THRUST_200600_302600_NS6detail15normal_iteratorINS9_10device_ptrIsEEEESE_PS5_SF_jNS0_19identity_decomposerENS1_16block_id_wrapperIjLb0EEEEE10hipError_tT1_PNSt15iterator_traitsISK_E10value_typeET2_T3_PNSL_ISQ_E10value_typeET4_T5_PSV_SW_PNS1_23onesweep_lookback_stateEbbT6_jjT7_P12ihipStream_tbENKUlT_T0_SK_SP_E_clISE_PsSF_SF_EEDaS13_S14_SK_SP_EUlS13_E_NS1_11comp_targetILNS1_3genE3ELNS1_11target_archE908ELNS1_3gpuE7ELNS1_3repE0EEENS1_47radix_sort_onesweep_sort_config_static_selectorELNS0_4arch9wavefront6targetE1EEEvSK_
	.globl	_ZN7rocprim17ROCPRIM_400000_NS6detail17trampoline_kernelINS0_14default_configENS1_35radix_sort_onesweep_config_selectorIsNS0_10empty_typeEEEZZNS1_29radix_sort_onesweep_iterationIS3_Lb0EN6thrust23THRUST_200600_302600_NS6detail15normal_iteratorINS9_10device_ptrIsEEEESE_PS5_SF_jNS0_19identity_decomposerENS1_16block_id_wrapperIjLb0EEEEE10hipError_tT1_PNSt15iterator_traitsISK_E10value_typeET2_T3_PNSL_ISQ_E10value_typeET4_T5_PSV_SW_PNS1_23onesweep_lookback_stateEbbT6_jjT7_P12ihipStream_tbENKUlT_T0_SK_SP_E_clISE_PsSF_SF_EEDaS13_S14_SK_SP_EUlS13_E_NS1_11comp_targetILNS1_3genE3ELNS1_11target_archE908ELNS1_3gpuE7ELNS1_3repE0EEENS1_47radix_sort_onesweep_sort_config_static_selectorELNS0_4arch9wavefront6targetE1EEEvSK_
	.p2align	8
	.type	_ZN7rocprim17ROCPRIM_400000_NS6detail17trampoline_kernelINS0_14default_configENS1_35radix_sort_onesweep_config_selectorIsNS0_10empty_typeEEEZZNS1_29radix_sort_onesweep_iterationIS3_Lb0EN6thrust23THRUST_200600_302600_NS6detail15normal_iteratorINS9_10device_ptrIsEEEESE_PS5_SF_jNS0_19identity_decomposerENS1_16block_id_wrapperIjLb0EEEEE10hipError_tT1_PNSt15iterator_traitsISK_E10value_typeET2_T3_PNSL_ISQ_E10value_typeET4_T5_PSV_SW_PNS1_23onesweep_lookback_stateEbbT6_jjT7_P12ihipStream_tbENKUlT_T0_SK_SP_E_clISE_PsSF_SF_EEDaS13_S14_SK_SP_EUlS13_E_NS1_11comp_targetILNS1_3genE3ELNS1_11target_archE908ELNS1_3gpuE7ELNS1_3repE0EEENS1_47radix_sort_onesweep_sort_config_static_selectorELNS0_4arch9wavefront6targetE1EEEvSK_,@function
_ZN7rocprim17ROCPRIM_400000_NS6detail17trampoline_kernelINS0_14default_configENS1_35radix_sort_onesweep_config_selectorIsNS0_10empty_typeEEEZZNS1_29radix_sort_onesweep_iterationIS3_Lb0EN6thrust23THRUST_200600_302600_NS6detail15normal_iteratorINS9_10device_ptrIsEEEESE_PS5_SF_jNS0_19identity_decomposerENS1_16block_id_wrapperIjLb0EEEEE10hipError_tT1_PNSt15iterator_traitsISK_E10value_typeET2_T3_PNSL_ISQ_E10value_typeET4_T5_PSV_SW_PNS1_23onesweep_lookback_stateEbbT6_jjT7_P12ihipStream_tbENKUlT_T0_SK_SP_E_clISE_PsSF_SF_EEDaS13_S14_SK_SP_EUlS13_E_NS1_11comp_targetILNS1_3genE3ELNS1_11target_archE908ELNS1_3gpuE7ELNS1_3repE0EEENS1_47radix_sort_onesweep_sort_config_static_selectorELNS0_4arch9wavefront6targetE1EEEvSK_: ; @_ZN7rocprim17ROCPRIM_400000_NS6detail17trampoline_kernelINS0_14default_configENS1_35radix_sort_onesweep_config_selectorIsNS0_10empty_typeEEEZZNS1_29radix_sort_onesweep_iterationIS3_Lb0EN6thrust23THRUST_200600_302600_NS6detail15normal_iteratorINS9_10device_ptrIsEEEESE_PS5_SF_jNS0_19identity_decomposerENS1_16block_id_wrapperIjLb0EEEEE10hipError_tT1_PNSt15iterator_traitsISK_E10value_typeET2_T3_PNSL_ISQ_E10value_typeET4_T5_PSV_SW_PNS1_23onesweep_lookback_stateEbbT6_jjT7_P12ihipStream_tbENKUlT_T0_SK_SP_E_clISE_PsSF_SF_EEDaS13_S14_SK_SP_EUlS13_E_NS1_11comp_targetILNS1_3genE3ELNS1_11target_archE908ELNS1_3gpuE7ELNS1_3repE0EEENS1_47radix_sort_onesweep_sort_config_static_selectorELNS0_4arch9wavefront6targetE1EEEvSK_
; %bb.0:
	.section	.rodata,"a",@progbits
	.p2align	6, 0x0
	.amdhsa_kernel _ZN7rocprim17ROCPRIM_400000_NS6detail17trampoline_kernelINS0_14default_configENS1_35radix_sort_onesweep_config_selectorIsNS0_10empty_typeEEEZZNS1_29radix_sort_onesweep_iterationIS3_Lb0EN6thrust23THRUST_200600_302600_NS6detail15normal_iteratorINS9_10device_ptrIsEEEESE_PS5_SF_jNS0_19identity_decomposerENS1_16block_id_wrapperIjLb0EEEEE10hipError_tT1_PNSt15iterator_traitsISK_E10value_typeET2_T3_PNSL_ISQ_E10value_typeET4_T5_PSV_SW_PNS1_23onesweep_lookback_stateEbbT6_jjT7_P12ihipStream_tbENKUlT_T0_SK_SP_E_clISE_PsSF_SF_EEDaS13_S14_SK_SP_EUlS13_E_NS1_11comp_targetILNS1_3genE3ELNS1_11target_archE908ELNS1_3gpuE7ELNS1_3repE0EEENS1_47radix_sort_onesweep_sort_config_static_selectorELNS0_4arch9wavefront6targetE1EEEvSK_
		.amdhsa_group_segment_fixed_size 0
		.amdhsa_private_segment_fixed_size 0
		.amdhsa_kernarg_size 88
		.amdhsa_user_sgpr_count 2
		.amdhsa_user_sgpr_dispatch_ptr 0
		.amdhsa_user_sgpr_queue_ptr 0
		.amdhsa_user_sgpr_kernarg_segment_ptr 1
		.amdhsa_user_sgpr_dispatch_id 0
		.amdhsa_user_sgpr_kernarg_preload_length 0
		.amdhsa_user_sgpr_kernarg_preload_offset 0
		.amdhsa_user_sgpr_private_segment_size 0
		.amdhsa_uses_dynamic_stack 0
		.amdhsa_enable_private_segment 0
		.amdhsa_system_sgpr_workgroup_id_x 1
		.amdhsa_system_sgpr_workgroup_id_y 0
		.amdhsa_system_sgpr_workgroup_id_z 0
		.amdhsa_system_sgpr_workgroup_info 0
		.amdhsa_system_vgpr_workitem_id 0
		.amdhsa_next_free_vgpr 1
		.amdhsa_next_free_sgpr 0
		.amdhsa_accum_offset 4
		.amdhsa_reserve_vcc 0
		.amdhsa_float_round_mode_32 0
		.amdhsa_float_round_mode_16_64 0
		.amdhsa_float_denorm_mode_32 3
		.amdhsa_float_denorm_mode_16_64 3
		.amdhsa_dx10_clamp 1
		.amdhsa_ieee_mode 1
		.amdhsa_fp16_overflow 0
		.amdhsa_tg_split 0
		.amdhsa_exception_fp_ieee_invalid_op 0
		.amdhsa_exception_fp_denorm_src 0
		.amdhsa_exception_fp_ieee_div_zero 0
		.amdhsa_exception_fp_ieee_overflow 0
		.amdhsa_exception_fp_ieee_underflow 0
		.amdhsa_exception_fp_ieee_inexact 0
		.amdhsa_exception_int_div_zero 0
	.end_amdhsa_kernel
	.section	.text._ZN7rocprim17ROCPRIM_400000_NS6detail17trampoline_kernelINS0_14default_configENS1_35radix_sort_onesweep_config_selectorIsNS0_10empty_typeEEEZZNS1_29radix_sort_onesweep_iterationIS3_Lb0EN6thrust23THRUST_200600_302600_NS6detail15normal_iteratorINS9_10device_ptrIsEEEESE_PS5_SF_jNS0_19identity_decomposerENS1_16block_id_wrapperIjLb0EEEEE10hipError_tT1_PNSt15iterator_traitsISK_E10value_typeET2_T3_PNSL_ISQ_E10value_typeET4_T5_PSV_SW_PNS1_23onesweep_lookback_stateEbbT6_jjT7_P12ihipStream_tbENKUlT_T0_SK_SP_E_clISE_PsSF_SF_EEDaS13_S14_SK_SP_EUlS13_E_NS1_11comp_targetILNS1_3genE3ELNS1_11target_archE908ELNS1_3gpuE7ELNS1_3repE0EEENS1_47radix_sort_onesweep_sort_config_static_selectorELNS0_4arch9wavefront6targetE1EEEvSK_,"axG",@progbits,_ZN7rocprim17ROCPRIM_400000_NS6detail17trampoline_kernelINS0_14default_configENS1_35radix_sort_onesweep_config_selectorIsNS0_10empty_typeEEEZZNS1_29radix_sort_onesweep_iterationIS3_Lb0EN6thrust23THRUST_200600_302600_NS6detail15normal_iteratorINS9_10device_ptrIsEEEESE_PS5_SF_jNS0_19identity_decomposerENS1_16block_id_wrapperIjLb0EEEEE10hipError_tT1_PNSt15iterator_traitsISK_E10value_typeET2_T3_PNSL_ISQ_E10value_typeET4_T5_PSV_SW_PNS1_23onesweep_lookback_stateEbbT6_jjT7_P12ihipStream_tbENKUlT_T0_SK_SP_E_clISE_PsSF_SF_EEDaS13_S14_SK_SP_EUlS13_E_NS1_11comp_targetILNS1_3genE3ELNS1_11target_archE908ELNS1_3gpuE7ELNS1_3repE0EEENS1_47radix_sort_onesweep_sort_config_static_selectorELNS0_4arch9wavefront6targetE1EEEvSK_,comdat
.Lfunc_end1991:
	.size	_ZN7rocprim17ROCPRIM_400000_NS6detail17trampoline_kernelINS0_14default_configENS1_35radix_sort_onesweep_config_selectorIsNS0_10empty_typeEEEZZNS1_29radix_sort_onesweep_iterationIS3_Lb0EN6thrust23THRUST_200600_302600_NS6detail15normal_iteratorINS9_10device_ptrIsEEEESE_PS5_SF_jNS0_19identity_decomposerENS1_16block_id_wrapperIjLb0EEEEE10hipError_tT1_PNSt15iterator_traitsISK_E10value_typeET2_T3_PNSL_ISQ_E10value_typeET4_T5_PSV_SW_PNS1_23onesweep_lookback_stateEbbT6_jjT7_P12ihipStream_tbENKUlT_T0_SK_SP_E_clISE_PsSF_SF_EEDaS13_S14_SK_SP_EUlS13_E_NS1_11comp_targetILNS1_3genE3ELNS1_11target_archE908ELNS1_3gpuE7ELNS1_3repE0EEENS1_47radix_sort_onesweep_sort_config_static_selectorELNS0_4arch9wavefront6targetE1EEEvSK_, .Lfunc_end1991-_ZN7rocprim17ROCPRIM_400000_NS6detail17trampoline_kernelINS0_14default_configENS1_35radix_sort_onesweep_config_selectorIsNS0_10empty_typeEEEZZNS1_29radix_sort_onesweep_iterationIS3_Lb0EN6thrust23THRUST_200600_302600_NS6detail15normal_iteratorINS9_10device_ptrIsEEEESE_PS5_SF_jNS0_19identity_decomposerENS1_16block_id_wrapperIjLb0EEEEE10hipError_tT1_PNSt15iterator_traitsISK_E10value_typeET2_T3_PNSL_ISQ_E10value_typeET4_T5_PSV_SW_PNS1_23onesweep_lookback_stateEbbT6_jjT7_P12ihipStream_tbENKUlT_T0_SK_SP_E_clISE_PsSF_SF_EEDaS13_S14_SK_SP_EUlS13_E_NS1_11comp_targetILNS1_3genE3ELNS1_11target_archE908ELNS1_3gpuE7ELNS1_3repE0EEENS1_47radix_sort_onesweep_sort_config_static_selectorELNS0_4arch9wavefront6targetE1EEEvSK_
                                        ; -- End function
	.section	.AMDGPU.csdata,"",@progbits
; Kernel info:
; codeLenInByte = 0
; NumSgprs: 6
; NumVgprs: 0
; NumAgprs: 0
; TotalNumVgprs: 0
; ScratchSize: 0
; MemoryBound: 0
; FloatMode: 240
; IeeeMode: 1
; LDSByteSize: 0 bytes/workgroup (compile time only)
; SGPRBlocks: 0
; VGPRBlocks: 0
; NumSGPRsForWavesPerEU: 6
; NumVGPRsForWavesPerEU: 1
; AccumOffset: 4
; Occupancy: 8
; WaveLimiterHint : 0
; COMPUTE_PGM_RSRC2:SCRATCH_EN: 0
; COMPUTE_PGM_RSRC2:USER_SGPR: 2
; COMPUTE_PGM_RSRC2:TRAP_HANDLER: 0
; COMPUTE_PGM_RSRC2:TGID_X_EN: 1
; COMPUTE_PGM_RSRC2:TGID_Y_EN: 0
; COMPUTE_PGM_RSRC2:TGID_Z_EN: 0
; COMPUTE_PGM_RSRC2:TIDIG_COMP_CNT: 0
; COMPUTE_PGM_RSRC3_GFX90A:ACCUM_OFFSET: 0
; COMPUTE_PGM_RSRC3_GFX90A:TG_SPLIT: 0
	.section	.text._ZN7rocprim17ROCPRIM_400000_NS6detail17trampoline_kernelINS0_14default_configENS1_35radix_sort_onesweep_config_selectorIsNS0_10empty_typeEEEZZNS1_29radix_sort_onesweep_iterationIS3_Lb0EN6thrust23THRUST_200600_302600_NS6detail15normal_iteratorINS9_10device_ptrIsEEEESE_PS5_SF_jNS0_19identity_decomposerENS1_16block_id_wrapperIjLb0EEEEE10hipError_tT1_PNSt15iterator_traitsISK_E10value_typeET2_T3_PNSL_ISQ_E10value_typeET4_T5_PSV_SW_PNS1_23onesweep_lookback_stateEbbT6_jjT7_P12ihipStream_tbENKUlT_T0_SK_SP_E_clISE_PsSF_SF_EEDaS13_S14_SK_SP_EUlS13_E_NS1_11comp_targetILNS1_3genE10ELNS1_11target_archE1201ELNS1_3gpuE5ELNS1_3repE0EEENS1_47radix_sort_onesweep_sort_config_static_selectorELNS0_4arch9wavefront6targetE1EEEvSK_,"axG",@progbits,_ZN7rocprim17ROCPRIM_400000_NS6detail17trampoline_kernelINS0_14default_configENS1_35radix_sort_onesweep_config_selectorIsNS0_10empty_typeEEEZZNS1_29radix_sort_onesweep_iterationIS3_Lb0EN6thrust23THRUST_200600_302600_NS6detail15normal_iteratorINS9_10device_ptrIsEEEESE_PS5_SF_jNS0_19identity_decomposerENS1_16block_id_wrapperIjLb0EEEEE10hipError_tT1_PNSt15iterator_traitsISK_E10value_typeET2_T3_PNSL_ISQ_E10value_typeET4_T5_PSV_SW_PNS1_23onesweep_lookback_stateEbbT6_jjT7_P12ihipStream_tbENKUlT_T0_SK_SP_E_clISE_PsSF_SF_EEDaS13_S14_SK_SP_EUlS13_E_NS1_11comp_targetILNS1_3genE10ELNS1_11target_archE1201ELNS1_3gpuE5ELNS1_3repE0EEENS1_47radix_sort_onesweep_sort_config_static_selectorELNS0_4arch9wavefront6targetE1EEEvSK_,comdat
	.protected	_ZN7rocprim17ROCPRIM_400000_NS6detail17trampoline_kernelINS0_14default_configENS1_35radix_sort_onesweep_config_selectorIsNS0_10empty_typeEEEZZNS1_29radix_sort_onesweep_iterationIS3_Lb0EN6thrust23THRUST_200600_302600_NS6detail15normal_iteratorINS9_10device_ptrIsEEEESE_PS5_SF_jNS0_19identity_decomposerENS1_16block_id_wrapperIjLb0EEEEE10hipError_tT1_PNSt15iterator_traitsISK_E10value_typeET2_T3_PNSL_ISQ_E10value_typeET4_T5_PSV_SW_PNS1_23onesweep_lookback_stateEbbT6_jjT7_P12ihipStream_tbENKUlT_T0_SK_SP_E_clISE_PsSF_SF_EEDaS13_S14_SK_SP_EUlS13_E_NS1_11comp_targetILNS1_3genE10ELNS1_11target_archE1201ELNS1_3gpuE5ELNS1_3repE0EEENS1_47radix_sort_onesweep_sort_config_static_selectorELNS0_4arch9wavefront6targetE1EEEvSK_ ; -- Begin function _ZN7rocprim17ROCPRIM_400000_NS6detail17trampoline_kernelINS0_14default_configENS1_35radix_sort_onesweep_config_selectorIsNS0_10empty_typeEEEZZNS1_29radix_sort_onesweep_iterationIS3_Lb0EN6thrust23THRUST_200600_302600_NS6detail15normal_iteratorINS9_10device_ptrIsEEEESE_PS5_SF_jNS0_19identity_decomposerENS1_16block_id_wrapperIjLb0EEEEE10hipError_tT1_PNSt15iterator_traitsISK_E10value_typeET2_T3_PNSL_ISQ_E10value_typeET4_T5_PSV_SW_PNS1_23onesweep_lookback_stateEbbT6_jjT7_P12ihipStream_tbENKUlT_T0_SK_SP_E_clISE_PsSF_SF_EEDaS13_S14_SK_SP_EUlS13_E_NS1_11comp_targetILNS1_3genE10ELNS1_11target_archE1201ELNS1_3gpuE5ELNS1_3repE0EEENS1_47radix_sort_onesweep_sort_config_static_selectorELNS0_4arch9wavefront6targetE1EEEvSK_
	.globl	_ZN7rocprim17ROCPRIM_400000_NS6detail17trampoline_kernelINS0_14default_configENS1_35radix_sort_onesweep_config_selectorIsNS0_10empty_typeEEEZZNS1_29radix_sort_onesweep_iterationIS3_Lb0EN6thrust23THRUST_200600_302600_NS6detail15normal_iteratorINS9_10device_ptrIsEEEESE_PS5_SF_jNS0_19identity_decomposerENS1_16block_id_wrapperIjLb0EEEEE10hipError_tT1_PNSt15iterator_traitsISK_E10value_typeET2_T3_PNSL_ISQ_E10value_typeET4_T5_PSV_SW_PNS1_23onesweep_lookback_stateEbbT6_jjT7_P12ihipStream_tbENKUlT_T0_SK_SP_E_clISE_PsSF_SF_EEDaS13_S14_SK_SP_EUlS13_E_NS1_11comp_targetILNS1_3genE10ELNS1_11target_archE1201ELNS1_3gpuE5ELNS1_3repE0EEENS1_47radix_sort_onesweep_sort_config_static_selectorELNS0_4arch9wavefront6targetE1EEEvSK_
	.p2align	8
	.type	_ZN7rocprim17ROCPRIM_400000_NS6detail17trampoline_kernelINS0_14default_configENS1_35radix_sort_onesweep_config_selectorIsNS0_10empty_typeEEEZZNS1_29radix_sort_onesweep_iterationIS3_Lb0EN6thrust23THRUST_200600_302600_NS6detail15normal_iteratorINS9_10device_ptrIsEEEESE_PS5_SF_jNS0_19identity_decomposerENS1_16block_id_wrapperIjLb0EEEEE10hipError_tT1_PNSt15iterator_traitsISK_E10value_typeET2_T3_PNSL_ISQ_E10value_typeET4_T5_PSV_SW_PNS1_23onesweep_lookback_stateEbbT6_jjT7_P12ihipStream_tbENKUlT_T0_SK_SP_E_clISE_PsSF_SF_EEDaS13_S14_SK_SP_EUlS13_E_NS1_11comp_targetILNS1_3genE10ELNS1_11target_archE1201ELNS1_3gpuE5ELNS1_3repE0EEENS1_47radix_sort_onesweep_sort_config_static_selectorELNS0_4arch9wavefront6targetE1EEEvSK_,@function
_ZN7rocprim17ROCPRIM_400000_NS6detail17trampoline_kernelINS0_14default_configENS1_35radix_sort_onesweep_config_selectorIsNS0_10empty_typeEEEZZNS1_29radix_sort_onesweep_iterationIS3_Lb0EN6thrust23THRUST_200600_302600_NS6detail15normal_iteratorINS9_10device_ptrIsEEEESE_PS5_SF_jNS0_19identity_decomposerENS1_16block_id_wrapperIjLb0EEEEE10hipError_tT1_PNSt15iterator_traitsISK_E10value_typeET2_T3_PNSL_ISQ_E10value_typeET4_T5_PSV_SW_PNS1_23onesweep_lookback_stateEbbT6_jjT7_P12ihipStream_tbENKUlT_T0_SK_SP_E_clISE_PsSF_SF_EEDaS13_S14_SK_SP_EUlS13_E_NS1_11comp_targetILNS1_3genE10ELNS1_11target_archE1201ELNS1_3gpuE5ELNS1_3repE0EEENS1_47radix_sort_onesweep_sort_config_static_selectorELNS0_4arch9wavefront6targetE1EEEvSK_: ; @_ZN7rocprim17ROCPRIM_400000_NS6detail17trampoline_kernelINS0_14default_configENS1_35radix_sort_onesweep_config_selectorIsNS0_10empty_typeEEEZZNS1_29radix_sort_onesweep_iterationIS3_Lb0EN6thrust23THRUST_200600_302600_NS6detail15normal_iteratorINS9_10device_ptrIsEEEESE_PS5_SF_jNS0_19identity_decomposerENS1_16block_id_wrapperIjLb0EEEEE10hipError_tT1_PNSt15iterator_traitsISK_E10value_typeET2_T3_PNSL_ISQ_E10value_typeET4_T5_PSV_SW_PNS1_23onesweep_lookback_stateEbbT6_jjT7_P12ihipStream_tbENKUlT_T0_SK_SP_E_clISE_PsSF_SF_EEDaS13_S14_SK_SP_EUlS13_E_NS1_11comp_targetILNS1_3genE10ELNS1_11target_archE1201ELNS1_3gpuE5ELNS1_3repE0EEENS1_47radix_sort_onesweep_sort_config_static_selectorELNS0_4arch9wavefront6targetE1EEEvSK_
; %bb.0:
	.section	.rodata,"a",@progbits
	.p2align	6, 0x0
	.amdhsa_kernel _ZN7rocprim17ROCPRIM_400000_NS6detail17trampoline_kernelINS0_14default_configENS1_35radix_sort_onesweep_config_selectorIsNS0_10empty_typeEEEZZNS1_29radix_sort_onesweep_iterationIS3_Lb0EN6thrust23THRUST_200600_302600_NS6detail15normal_iteratorINS9_10device_ptrIsEEEESE_PS5_SF_jNS0_19identity_decomposerENS1_16block_id_wrapperIjLb0EEEEE10hipError_tT1_PNSt15iterator_traitsISK_E10value_typeET2_T3_PNSL_ISQ_E10value_typeET4_T5_PSV_SW_PNS1_23onesweep_lookback_stateEbbT6_jjT7_P12ihipStream_tbENKUlT_T0_SK_SP_E_clISE_PsSF_SF_EEDaS13_S14_SK_SP_EUlS13_E_NS1_11comp_targetILNS1_3genE10ELNS1_11target_archE1201ELNS1_3gpuE5ELNS1_3repE0EEENS1_47radix_sort_onesweep_sort_config_static_selectorELNS0_4arch9wavefront6targetE1EEEvSK_
		.amdhsa_group_segment_fixed_size 0
		.amdhsa_private_segment_fixed_size 0
		.amdhsa_kernarg_size 88
		.amdhsa_user_sgpr_count 2
		.amdhsa_user_sgpr_dispatch_ptr 0
		.amdhsa_user_sgpr_queue_ptr 0
		.amdhsa_user_sgpr_kernarg_segment_ptr 1
		.amdhsa_user_sgpr_dispatch_id 0
		.amdhsa_user_sgpr_kernarg_preload_length 0
		.amdhsa_user_sgpr_kernarg_preload_offset 0
		.amdhsa_user_sgpr_private_segment_size 0
		.amdhsa_uses_dynamic_stack 0
		.amdhsa_enable_private_segment 0
		.amdhsa_system_sgpr_workgroup_id_x 1
		.amdhsa_system_sgpr_workgroup_id_y 0
		.amdhsa_system_sgpr_workgroup_id_z 0
		.amdhsa_system_sgpr_workgroup_info 0
		.amdhsa_system_vgpr_workitem_id 0
		.amdhsa_next_free_vgpr 1
		.amdhsa_next_free_sgpr 0
		.amdhsa_accum_offset 4
		.amdhsa_reserve_vcc 0
		.amdhsa_float_round_mode_32 0
		.amdhsa_float_round_mode_16_64 0
		.amdhsa_float_denorm_mode_32 3
		.amdhsa_float_denorm_mode_16_64 3
		.amdhsa_dx10_clamp 1
		.amdhsa_ieee_mode 1
		.amdhsa_fp16_overflow 0
		.amdhsa_tg_split 0
		.amdhsa_exception_fp_ieee_invalid_op 0
		.amdhsa_exception_fp_denorm_src 0
		.amdhsa_exception_fp_ieee_div_zero 0
		.amdhsa_exception_fp_ieee_overflow 0
		.amdhsa_exception_fp_ieee_underflow 0
		.amdhsa_exception_fp_ieee_inexact 0
		.amdhsa_exception_int_div_zero 0
	.end_amdhsa_kernel
	.section	.text._ZN7rocprim17ROCPRIM_400000_NS6detail17trampoline_kernelINS0_14default_configENS1_35radix_sort_onesweep_config_selectorIsNS0_10empty_typeEEEZZNS1_29radix_sort_onesweep_iterationIS3_Lb0EN6thrust23THRUST_200600_302600_NS6detail15normal_iteratorINS9_10device_ptrIsEEEESE_PS5_SF_jNS0_19identity_decomposerENS1_16block_id_wrapperIjLb0EEEEE10hipError_tT1_PNSt15iterator_traitsISK_E10value_typeET2_T3_PNSL_ISQ_E10value_typeET4_T5_PSV_SW_PNS1_23onesweep_lookback_stateEbbT6_jjT7_P12ihipStream_tbENKUlT_T0_SK_SP_E_clISE_PsSF_SF_EEDaS13_S14_SK_SP_EUlS13_E_NS1_11comp_targetILNS1_3genE10ELNS1_11target_archE1201ELNS1_3gpuE5ELNS1_3repE0EEENS1_47radix_sort_onesweep_sort_config_static_selectorELNS0_4arch9wavefront6targetE1EEEvSK_,"axG",@progbits,_ZN7rocprim17ROCPRIM_400000_NS6detail17trampoline_kernelINS0_14default_configENS1_35radix_sort_onesweep_config_selectorIsNS0_10empty_typeEEEZZNS1_29radix_sort_onesweep_iterationIS3_Lb0EN6thrust23THRUST_200600_302600_NS6detail15normal_iteratorINS9_10device_ptrIsEEEESE_PS5_SF_jNS0_19identity_decomposerENS1_16block_id_wrapperIjLb0EEEEE10hipError_tT1_PNSt15iterator_traitsISK_E10value_typeET2_T3_PNSL_ISQ_E10value_typeET4_T5_PSV_SW_PNS1_23onesweep_lookback_stateEbbT6_jjT7_P12ihipStream_tbENKUlT_T0_SK_SP_E_clISE_PsSF_SF_EEDaS13_S14_SK_SP_EUlS13_E_NS1_11comp_targetILNS1_3genE10ELNS1_11target_archE1201ELNS1_3gpuE5ELNS1_3repE0EEENS1_47radix_sort_onesweep_sort_config_static_selectorELNS0_4arch9wavefront6targetE1EEEvSK_,comdat
.Lfunc_end1992:
	.size	_ZN7rocprim17ROCPRIM_400000_NS6detail17trampoline_kernelINS0_14default_configENS1_35radix_sort_onesweep_config_selectorIsNS0_10empty_typeEEEZZNS1_29radix_sort_onesweep_iterationIS3_Lb0EN6thrust23THRUST_200600_302600_NS6detail15normal_iteratorINS9_10device_ptrIsEEEESE_PS5_SF_jNS0_19identity_decomposerENS1_16block_id_wrapperIjLb0EEEEE10hipError_tT1_PNSt15iterator_traitsISK_E10value_typeET2_T3_PNSL_ISQ_E10value_typeET4_T5_PSV_SW_PNS1_23onesweep_lookback_stateEbbT6_jjT7_P12ihipStream_tbENKUlT_T0_SK_SP_E_clISE_PsSF_SF_EEDaS13_S14_SK_SP_EUlS13_E_NS1_11comp_targetILNS1_3genE10ELNS1_11target_archE1201ELNS1_3gpuE5ELNS1_3repE0EEENS1_47radix_sort_onesweep_sort_config_static_selectorELNS0_4arch9wavefront6targetE1EEEvSK_, .Lfunc_end1992-_ZN7rocprim17ROCPRIM_400000_NS6detail17trampoline_kernelINS0_14default_configENS1_35radix_sort_onesweep_config_selectorIsNS0_10empty_typeEEEZZNS1_29radix_sort_onesweep_iterationIS3_Lb0EN6thrust23THRUST_200600_302600_NS6detail15normal_iteratorINS9_10device_ptrIsEEEESE_PS5_SF_jNS0_19identity_decomposerENS1_16block_id_wrapperIjLb0EEEEE10hipError_tT1_PNSt15iterator_traitsISK_E10value_typeET2_T3_PNSL_ISQ_E10value_typeET4_T5_PSV_SW_PNS1_23onesweep_lookback_stateEbbT6_jjT7_P12ihipStream_tbENKUlT_T0_SK_SP_E_clISE_PsSF_SF_EEDaS13_S14_SK_SP_EUlS13_E_NS1_11comp_targetILNS1_3genE10ELNS1_11target_archE1201ELNS1_3gpuE5ELNS1_3repE0EEENS1_47radix_sort_onesweep_sort_config_static_selectorELNS0_4arch9wavefront6targetE1EEEvSK_
                                        ; -- End function
	.section	.AMDGPU.csdata,"",@progbits
; Kernel info:
; codeLenInByte = 0
; NumSgprs: 6
; NumVgprs: 0
; NumAgprs: 0
; TotalNumVgprs: 0
; ScratchSize: 0
; MemoryBound: 0
; FloatMode: 240
; IeeeMode: 1
; LDSByteSize: 0 bytes/workgroup (compile time only)
; SGPRBlocks: 0
; VGPRBlocks: 0
; NumSGPRsForWavesPerEU: 6
; NumVGPRsForWavesPerEU: 1
; AccumOffset: 4
; Occupancy: 8
; WaveLimiterHint : 0
; COMPUTE_PGM_RSRC2:SCRATCH_EN: 0
; COMPUTE_PGM_RSRC2:USER_SGPR: 2
; COMPUTE_PGM_RSRC2:TRAP_HANDLER: 0
; COMPUTE_PGM_RSRC2:TGID_X_EN: 1
; COMPUTE_PGM_RSRC2:TGID_Y_EN: 0
; COMPUTE_PGM_RSRC2:TGID_Z_EN: 0
; COMPUTE_PGM_RSRC2:TIDIG_COMP_CNT: 0
; COMPUTE_PGM_RSRC3_GFX90A:ACCUM_OFFSET: 0
; COMPUTE_PGM_RSRC3_GFX90A:TG_SPLIT: 0
	.section	.text._ZN7rocprim17ROCPRIM_400000_NS6detail17trampoline_kernelINS0_14default_configENS1_35radix_sort_onesweep_config_selectorIsNS0_10empty_typeEEEZZNS1_29radix_sort_onesweep_iterationIS3_Lb0EN6thrust23THRUST_200600_302600_NS6detail15normal_iteratorINS9_10device_ptrIsEEEESE_PS5_SF_jNS0_19identity_decomposerENS1_16block_id_wrapperIjLb0EEEEE10hipError_tT1_PNSt15iterator_traitsISK_E10value_typeET2_T3_PNSL_ISQ_E10value_typeET4_T5_PSV_SW_PNS1_23onesweep_lookback_stateEbbT6_jjT7_P12ihipStream_tbENKUlT_T0_SK_SP_E_clISE_PsSF_SF_EEDaS13_S14_SK_SP_EUlS13_E_NS1_11comp_targetILNS1_3genE9ELNS1_11target_archE1100ELNS1_3gpuE3ELNS1_3repE0EEENS1_47radix_sort_onesweep_sort_config_static_selectorELNS0_4arch9wavefront6targetE1EEEvSK_,"axG",@progbits,_ZN7rocprim17ROCPRIM_400000_NS6detail17trampoline_kernelINS0_14default_configENS1_35radix_sort_onesweep_config_selectorIsNS0_10empty_typeEEEZZNS1_29radix_sort_onesweep_iterationIS3_Lb0EN6thrust23THRUST_200600_302600_NS6detail15normal_iteratorINS9_10device_ptrIsEEEESE_PS5_SF_jNS0_19identity_decomposerENS1_16block_id_wrapperIjLb0EEEEE10hipError_tT1_PNSt15iterator_traitsISK_E10value_typeET2_T3_PNSL_ISQ_E10value_typeET4_T5_PSV_SW_PNS1_23onesweep_lookback_stateEbbT6_jjT7_P12ihipStream_tbENKUlT_T0_SK_SP_E_clISE_PsSF_SF_EEDaS13_S14_SK_SP_EUlS13_E_NS1_11comp_targetILNS1_3genE9ELNS1_11target_archE1100ELNS1_3gpuE3ELNS1_3repE0EEENS1_47radix_sort_onesweep_sort_config_static_selectorELNS0_4arch9wavefront6targetE1EEEvSK_,comdat
	.protected	_ZN7rocprim17ROCPRIM_400000_NS6detail17trampoline_kernelINS0_14default_configENS1_35radix_sort_onesweep_config_selectorIsNS0_10empty_typeEEEZZNS1_29radix_sort_onesweep_iterationIS3_Lb0EN6thrust23THRUST_200600_302600_NS6detail15normal_iteratorINS9_10device_ptrIsEEEESE_PS5_SF_jNS0_19identity_decomposerENS1_16block_id_wrapperIjLb0EEEEE10hipError_tT1_PNSt15iterator_traitsISK_E10value_typeET2_T3_PNSL_ISQ_E10value_typeET4_T5_PSV_SW_PNS1_23onesweep_lookback_stateEbbT6_jjT7_P12ihipStream_tbENKUlT_T0_SK_SP_E_clISE_PsSF_SF_EEDaS13_S14_SK_SP_EUlS13_E_NS1_11comp_targetILNS1_3genE9ELNS1_11target_archE1100ELNS1_3gpuE3ELNS1_3repE0EEENS1_47radix_sort_onesweep_sort_config_static_selectorELNS0_4arch9wavefront6targetE1EEEvSK_ ; -- Begin function _ZN7rocprim17ROCPRIM_400000_NS6detail17trampoline_kernelINS0_14default_configENS1_35radix_sort_onesweep_config_selectorIsNS0_10empty_typeEEEZZNS1_29radix_sort_onesweep_iterationIS3_Lb0EN6thrust23THRUST_200600_302600_NS6detail15normal_iteratorINS9_10device_ptrIsEEEESE_PS5_SF_jNS0_19identity_decomposerENS1_16block_id_wrapperIjLb0EEEEE10hipError_tT1_PNSt15iterator_traitsISK_E10value_typeET2_T3_PNSL_ISQ_E10value_typeET4_T5_PSV_SW_PNS1_23onesweep_lookback_stateEbbT6_jjT7_P12ihipStream_tbENKUlT_T0_SK_SP_E_clISE_PsSF_SF_EEDaS13_S14_SK_SP_EUlS13_E_NS1_11comp_targetILNS1_3genE9ELNS1_11target_archE1100ELNS1_3gpuE3ELNS1_3repE0EEENS1_47radix_sort_onesweep_sort_config_static_selectorELNS0_4arch9wavefront6targetE1EEEvSK_
	.globl	_ZN7rocprim17ROCPRIM_400000_NS6detail17trampoline_kernelINS0_14default_configENS1_35radix_sort_onesweep_config_selectorIsNS0_10empty_typeEEEZZNS1_29radix_sort_onesweep_iterationIS3_Lb0EN6thrust23THRUST_200600_302600_NS6detail15normal_iteratorINS9_10device_ptrIsEEEESE_PS5_SF_jNS0_19identity_decomposerENS1_16block_id_wrapperIjLb0EEEEE10hipError_tT1_PNSt15iterator_traitsISK_E10value_typeET2_T3_PNSL_ISQ_E10value_typeET4_T5_PSV_SW_PNS1_23onesweep_lookback_stateEbbT6_jjT7_P12ihipStream_tbENKUlT_T0_SK_SP_E_clISE_PsSF_SF_EEDaS13_S14_SK_SP_EUlS13_E_NS1_11comp_targetILNS1_3genE9ELNS1_11target_archE1100ELNS1_3gpuE3ELNS1_3repE0EEENS1_47radix_sort_onesweep_sort_config_static_selectorELNS0_4arch9wavefront6targetE1EEEvSK_
	.p2align	8
	.type	_ZN7rocprim17ROCPRIM_400000_NS6detail17trampoline_kernelINS0_14default_configENS1_35radix_sort_onesweep_config_selectorIsNS0_10empty_typeEEEZZNS1_29radix_sort_onesweep_iterationIS3_Lb0EN6thrust23THRUST_200600_302600_NS6detail15normal_iteratorINS9_10device_ptrIsEEEESE_PS5_SF_jNS0_19identity_decomposerENS1_16block_id_wrapperIjLb0EEEEE10hipError_tT1_PNSt15iterator_traitsISK_E10value_typeET2_T3_PNSL_ISQ_E10value_typeET4_T5_PSV_SW_PNS1_23onesweep_lookback_stateEbbT6_jjT7_P12ihipStream_tbENKUlT_T0_SK_SP_E_clISE_PsSF_SF_EEDaS13_S14_SK_SP_EUlS13_E_NS1_11comp_targetILNS1_3genE9ELNS1_11target_archE1100ELNS1_3gpuE3ELNS1_3repE0EEENS1_47radix_sort_onesweep_sort_config_static_selectorELNS0_4arch9wavefront6targetE1EEEvSK_,@function
_ZN7rocprim17ROCPRIM_400000_NS6detail17trampoline_kernelINS0_14default_configENS1_35radix_sort_onesweep_config_selectorIsNS0_10empty_typeEEEZZNS1_29radix_sort_onesweep_iterationIS3_Lb0EN6thrust23THRUST_200600_302600_NS6detail15normal_iteratorINS9_10device_ptrIsEEEESE_PS5_SF_jNS0_19identity_decomposerENS1_16block_id_wrapperIjLb0EEEEE10hipError_tT1_PNSt15iterator_traitsISK_E10value_typeET2_T3_PNSL_ISQ_E10value_typeET4_T5_PSV_SW_PNS1_23onesweep_lookback_stateEbbT6_jjT7_P12ihipStream_tbENKUlT_T0_SK_SP_E_clISE_PsSF_SF_EEDaS13_S14_SK_SP_EUlS13_E_NS1_11comp_targetILNS1_3genE9ELNS1_11target_archE1100ELNS1_3gpuE3ELNS1_3repE0EEENS1_47radix_sort_onesweep_sort_config_static_selectorELNS0_4arch9wavefront6targetE1EEEvSK_: ; @_ZN7rocprim17ROCPRIM_400000_NS6detail17trampoline_kernelINS0_14default_configENS1_35radix_sort_onesweep_config_selectorIsNS0_10empty_typeEEEZZNS1_29radix_sort_onesweep_iterationIS3_Lb0EN6thrust23THRUST_200600_302600_NS6detail15normal_iteratorINS9_10device_ptrIsEEEESE_PS5_SF_jNS0_19identity_decomposerENS1_16block_id_wrapperIjLb0EEEEE10hipError_tT1_PNSt15iterator_traitsISK_E10value_typeET2_T3_PNSL_ISQ_E10value_typeET4_T5_PSV_SW_PNS1_23onesweep_lookback_stateEbbT6_jjT7_P12ihipStream_tbENKUlT_T0_SK_SP_E_clISE_PsSF_SF_EEDaS13_S14_SK_SP_EUlS13_E_NS1_11comp_targetILNS1_3genE9ELNS1_11target_archE1100ELNS1_3gpuE3ELNS1_3repE0EEENS1_47radix_sort_onesweep_sort_config_static_selectorELNS0_4arch9wavefront6targetE1EEEvSK_
; %bb.0:
	.section	.rodata,"a",@progbits
	.p2align	6, 0x0
	.amdhsa_kernel _ZN7rocprim17ROCPRIM_400000_NS6detail17trampoline_kernelINS0_14default_configENS1_35radix_sort_onesweep_config_selectorIsNS0_10empty_typeEEEZZNS1_29radix_sort_onesweep_iterationIS3_Lb0EN6thrust23THRUST_200600_302600_NS6detail15normal_iteratorINS9_10device_ptrIsEEEESE_PS5_SF_jNS0_19identity_decomposerENS1_16block_id_wrapperIjLb0EEEEE10hipError_tT1_PNSt15iterator_traitsISK_E10value_typeET2_T3_PNSL_ISQ_E10value_typeET4_T5_PSV_SW_PNS1_23onesweep_lookback_stateEbbT6_jjT7_P12ihipStream_tbENKUlT_T0_SK_SP_E_clISE_PsSF_SF_EEDaS13_S14_SK_SP_EUlS13_E_NS1_11comp_targetILNS1_3genE9ELNS1_11target_archE1100ELNS1_3gpuE3ELNS1_3repE0EEENS1_47radix_sort_onesweep_sort_config_static_selectorELNS0_4arch9wavefront6targetE1EEEvSK_
		.amdhsa_group_segment_fixed_size 0
		.amdhsa_private_segment_fixed_size 0
		.amdhsa_kernarg_size 88
		.amdhsa_user_sgpr_count 2
		.amdhsa_user_sgpr_dispatch_ptr 0
		.amdhsa_user_sgpr_queue_ptr 0
		.amdhsa_user_sgpr_kernarg_segment_ptr 1
		.amdhsa_user_sgpr_dispatch_id 0
		.amdhsa_user_sgpr_kernarg_preload_length 0
		.amdhsa_user_sgpr_kernarg_preload_offset 0
		.amdhsa_user_sgpr_private_segment_size 0
		.amdhsa_uses_dynamic_stack 0
		.amdhsa_enable_private_segment 0
		.amdhsa_system_sgpr_workgroup_id_x 1
		.amdhsa_system_sgpr_workgroup_id_y 0
		.amdhsa_system_sgpr_workgroup_id_z 0
		.amdhsa_system_sgpr_workgroup_info 0
		.amdhsa_system_vgpr_workitem_id 0
		.amdhsa_next_free_vgpr 1
		.amdhsa_next_free_sgpr 0
		.amdhsa_accum_offset 4
		.amdhsa_reserve_vcc 0
		.amdhsa_float_round_mode_32 0
		.amdhsa_float_round_mode_16_64 0
		.amdhsa_float_denorm_mode_32 3
		.amdhsa_float_denorm_mode_16_64 3
		.amdhsa_dx10_clamp 1
		.amdhsa_ieee_mode 1
		.amdhsa_fp16_overflow 0
		.amdhsa_tg_split 0
		.amdhsa_exception_fp_ieee_invalid_op 0
		.amdhsa_exception_fp_denorm_src 0
		.amdhsa_exception_fp_ieee_div_zero 0
		.amdhsa_exception_fp_ieee_overflow 0
		.amdhsa_exception_fp_ieee_underflow 0
		.amdhsa_exception_fp_ieee_inexact 0
		.amdhsa_exception_int_div_zero 0
	.end_amdhsa_kernel
	.section	.text._ZN7rocprim17ROCPRIM_400000_NS6detail17trampoline_kernelINS0_14default_configENS1_35radix_sort_onesweep_config_selectorIsNS0_10empty_typeEEEZZNS1_29radix_sort_onesweep_iterationIS3_Lb0EN6thrust23THRUST_200600_302600_NS6detail15normal_iteratorINS9_10device_ptrIsEEEESE_PS5_SF_jNS0_19identity_decomposerENS1_16block_id_wrapperIjLb0EEEEE10hipError_tT1_PNSt15iterator_traitsISK_E10value_typeET2_T3_PNSL_ISQ_E10value_typeET4_T5_PSV_SW_PNS1_23onesweep_lookback_stateEbbT6_jjT7_P12ihipStream_tbENKUlT_T0_SK_SP_E_clISE_PsSF_SF_EEDaS13_S14_SK_SP_EUlS13_E_NS1_11comp_targetILNS1_3genE9ELNS1_11target_archE1100ELNS1_3gpuE3ELNS1_3repE0EEENS1_47radix_sort_onesweep_sort_config_static_selectorELNS0_4arch9wavefront6targetE1EEEvSK_,"axG",@progbits,_ZN7rocprim17ROCPRIM_400000_NS6detail17trampoline_kernelINS0_14default_configENS1_35radix_sort_onesweep_config_selectorIsNS0_10empty_typeEEEZZNS1_29radix_sort_onesweep_iterationIS3_Lb0EN6thrust23THRUST_200600_302600_NS6detail15normal_iteratorINS9_10device_ptrIsEEEESE_PS5_SF_jNS0_19identity_decomposerENS1_16block_id_wrapperIjLb0EEEEE10hipError_tT1_PNSt15iterator_traitsISK_E10value_typeET2_T3_PNSL_ISQ_E10value_typeET4_T5_PSV_SW_PNS1_23onesweep_lookback_stateEbbT6_jjT7_P12ihipStream_tbENKUlT_T0_SK_SP_E_clISE_PsSF_SF_EEDaS13_S14_SK_SP_EUlS13_E_NS1_11comp_targetILNS1_3genE9ELNS1_11target_archE1100ELNS1_3gpuE3ELNS1_3repE0EEENS1_47radix_sort_onesweep_sort_config_static_selectorELNS0_4arch9wavefront6targetE1EEEvSK_,comdat
.Lfunc_end1993:
	.size	_ZN7rocprim17ROCPRIM_400000_NS6detail17trampoline_kernelINS0_14default_configENS1_35radix_sort_onesweep_config_selectorIsNS0_10empty_typeEEEZZNS1_29radix_sort_onesweep_iterationIS3_Lb0EN6thrust23THRUST_200600_302600_NS6detail15normal_iteratorINS9_10device_ptrIsEEEESE_PS5_SF_jNS0_19identity_decomposerENS1_16block_id_wrapperIjLb0EEEEE10hipError_tT1_PNSt15iterator_traitsISK_E10value_typeET2_T3_PNSL_ISQ_E10value_typeET4_T5_PSV_SW_PNS1_23onesweep_lookback_stateEbbT6_jjT7_P12ihipStream_tbENKUlT_T0_SK_SP_E_clISE_PsSF_SF_EEDaS13_S14_SK_SP_EUlS13_E_NS1_11comp_targetILNS1_3genE9ELNS1_11target_archE1100ELNS1_3gpuE3ELNS1_3repE0EEENS1_47radix_sort_onesweep_sort_config_static_selectorELNS0_4arch9wavefront6targetE1EEEvSK_, .Lfunc_end1993-_ZN7rocprim17ROCPRIM_400000_NS6detail17trampoline_kernelINS0_14default_configENS1_35radix_sort_onesweep_config_selectorIsNS0_10empty_typeEEEZZNS1_29radix_sort_onesweep_iterationIS3_Lb0EN6thrust23THRUST_200600_302600_NS6detail15normal_iteratorINS9_10device_ptrIsEEEESE_PS5_SF_jNS0_19identity_decomposerENS1_16block_id_wrapperIjLb0EEEEE10hipError_tT1_PNSt15iterator_traitsISK_E10value_typeET2_T3_PNSL_ISQ_E10value_typeET4_T5_PSV_SW_PNS1_23onesweep_lookback_stateEbbT6_jjT7_P12ihipStream_tbENKUlT_T0_SK_SP_E_clISE_PsSF_SF_EEDaS13_S14_SK_SP_EUlS13_E_NS1_11comp_targetILNS1_3genE9ELNS1_11target_archE1100ELNS1_3gpuE3ELNS1_3repE0EEENS1_47radix_sort_onesweep_sort_config_static_selectorELNS0_4arch9wavefront6targetE1EEEvSK_
                                        ; -- End function
	.section	.AMDGPU.csdata,"",@progbits
; Kernel info:
; codeLenInByte = 0
; NumSgprs: 6
; NumVgprs: 0
; NumAgprs: 0
; TotalNumVgprs: 0
; ScratchSize: 0
; MemoryBound: 0
; FloatMode: 240
; IeeeMode: 1
; LDSByteSize: 0 bytes/workgroup (compile time only)
; SGPRBlocks: 0
; VGPRBlocks: 0
; NumSGPRsForWavesPerEU: 6
; NumVGPRsForWavesPerEU: 1
; AccumOffset: 4
; Occupancy: 8
; WaveLimiterHint : 0
; COMPUTE_PGM_RSRC2:SCRATCH_EN: 0
; COMPUTE_PGM_RSRC2:USER_SGPR: 2
; COMPUTE_PGM_RSRC2:TRAP_HANDLER: 0
; COMPUTE_PGM_RSRC2:TGID_X_EN: 1
; COMPUTE_PGM_RSRC2:TGID_Y_EN: 0
; COMPUTE_PGM_RSRC2:TGID_Z_EN: 0
; COMPUTE_PGM_RSRC2:TIDIG_COMP_CNT: 0
; COMPUTE_PGM_RSRC3_GFX90A:ACCUM_OFFSET: 0
; COMPUTE_PGM_RSRC3_GFX90A:TG_SPLIT: 0
	.section	.text._ZN7rocprim17ROCPRIM_400000_NS6detail17trampoline_kernelINS0_14default_configENS1_35radix_sort_onesweep_config_selectorIsNS0_10empty_typeEEEZZNS1_29radix_sort_onesweep_iterationIS3_Lb0EN6thrust23THRUST_200600_302600_NS6detail15normal_iteratorINS9_10device_ptrIsEEEESE_PS5_SF_jNS0_19identity_decomposerENS1_16block_id_wrapperIjLb0EEEEE10hipError_tT1_PNSt15iterator_traitsISK_E10value_typeET2_T3_PNSL_ISQ_E10value_typeET4_T5_PSV_SW_PNS1_23onesweep_lookback_stateEbbT6_jjT7_P12ihipStream_tbENKUlT_T0_SK_SP_E_clISE_PsSF_SF_EEDaS13_S14_SK_SP_EUlS13_E_NS1_11comp_targetILNS1_3genE8ELNS1_11target_archE1030ELNS1_3gpuE2ELNS1_3repE0EEENS1_47radix_sort_onesweep_sort_config_static_selectorELNS0_4arch9wavefront6targetE1EEEvSK_,"axG",@progbits,_ZN7rocprim17ROCPRIM_400000_NS6detail17trampoline_kernelINS0_14default_configENS1_35radix_sort_onesweep_config_selectorIsNS0_10empty_typeEEEZZNS1_29radix_sort_onesweep_iterationIS3_Lb0EN6thrust23THRUST_200600_302600_NS6detail15normal_iteratorINS9_10device_ptrIsEEEESE_PS5_SF_jNS0_19identity_decomposerENS1_16block_id_wrapperIjLb0EEEEE10hipError_tT1_PNSt15iterator_traitsISK_E10value_typeET2_T3_PNSL_ISQ_E10value_typeET4_T5_PSV_SW_PNS1_23onesweep_lookback_stateEbbT6_jjT7_P12ihipStream_tbENKUlT_T0_SK_SP_E_clISE_PsSF_SF_EEDaS13_S14_SK_SP_EUlS13_E_NS1_11comp_targetILNS1_3genE8ELNS1_11target_archE1030ELNS1_3gpuE2ELNS1_3repE0EEENS1_47radix_sort_onesweep_sort_config_static_selectorELNS0_4arch9wavefront6targetE1EEEvSK_,comdat
	.protected	_ZN7rocprim17ROCPRIM_400000_NS6detail17trampoline_kernelINS0_14default_configENS1_35radix_sort_onesweep_config_selectorIsNS0_10empty_typeEEEZZNS1_29radix_sort_onesweep_iterationIS3_Lb0EN6thrust23THRUST_200600_302600_NS6detail15normal_iteratorINS9_10device_ptrIsEEEESE_PS5_SF_jNS0_19identity_decomposerENS1_16block_id_wrapperIjLb0EEEEE10hipError_tT1_PNSt15iterator_traitsISK_E10value_typeET2_T3_PNSL_ISQ_E10value_typeET4_T5_PSV_SW_PNS1_23onesweep_lookback_stateEbbT6_jjT7_P12ihipStream_tbENKUlT_T0_SK_SP_E_clISE_PsSF_SF_EEDaS13_S14_SK_SP_EUlS13_E_NS1_11comp_targetILNS1_3genE8ELNS1_11target_archE1030ELNS1_3gpuE2ELNS1_3repE0EEENS1_47radix_sort_onesweep_sort_config_static_selectorELNS0_4arch9wavefront6targetE1EEEvSK_ ; -- Begin function _ZN7rocprim17ROCPRIM_400000_NS6detail17trampoline_kernelINS0_14default_configENS1_35radix_sort_onesweep_config_selectorIsNS0_10empty_typeEEEZZNS1_29radix_sort_onesweep_iterationIS3_Lb0EN6thrust23THRUST_200600_302600_NS6detail15normal_iteratorINS9_10device_ptrIsEEEESE_PS5_SF_jNS0_19identity_decomposerENS1_16block_id_wrapperIjLb0EEEEE10hipError_tT1_PNSt15iterator_traitsISK_E10value_typeET2_T3_PNSL_ISQ_E10value_typeET4_T5_PSV_SW_PNS1_23onesweep_lookback_stateEbbT6_jjT7_P12ihipStream_tbENKUlT_T0_SK_SP_E_clISE_PsSF_SF_EEDaS13_S14_SK_SP_EUlS13_E_NS1_11comp_targetILNS1_3genE8ELNS1_11target_archE1030ELNS1_3gpuE2ELNS1_3repE0EEENS1_47radix_sort_onesweep_sort_config_static_selectorELNS0_4arch9wavefront6targetE1EEEvSK_
	.globl	_ZN7rocprim17ROCPRIM_400000_NS6detail17trampoline_kernelINS0_14default_configENS1_35radix_sort_onesweep_config_selectorIsNS0_10empty_typeEEEZZNS1_29radix_sort_onesweep_iterationIS3_Lb0EN6thrust23THRUST_200600_302600_NS6detail15normal_iteratorINS9_10device_ptrIsEEEESE_PS5_SF_jNS0_19identity_decomposerENS1_16block_id_wrapperIjLb0EEEEE10hipError_tT1_PNSt15iterator_traitsISK_E10value_typeET2_T3_PNSL_ISQ_E10value_typeET4_T5_PSV_SW_PNS1_23onesweep_lookback_stateEbbT6_jjT7_P12ihipStream_tbENKUlT_T0_SK_SP_E_clISE_PsSF_SF_EEDaS13_S14_SK_SP_EUlS13_E_NS1_11comp_targetILNS1_3genE8ELNS1_11target_archE1030ELNS1_3gpuE2ELNS1_3repE0EEENS1_47radix_sort_onesweep_sort_config_static_selectorELNS0_4arch9wavefront6targetE1EEEvSK_
	.p2align	8
	.type	_ZN7rocprim17ROCPRIM_400000_NS6detail17trampoline_kernelINS0_14default_configENS1_35radix_sort_onesweep_config_selectorIsNS0_10empty_typeEEEZZNS1_29radix_sort_onesweep_iterationIS3_Lb0EN6thrust23THRUST_200600_302600_NS6detail15normal_iteratorINS9_10device_ptrIsEEEESE_PS5_SF_jNS0_19identity_decomposerENS1_16block_id_wrapperIjLb0EEEEE10hipError_tT1_PNSt15iterator_traitsISK_E10value_typeET2_T3_PNSL_ISQ_E10value_typeET4_T5_PSV_SW_PNS1_23onesweep_lookback_stateEbbT6_jjT7_P12ihipStream_tbENKUlT_T0_SK_SP_E_clISE_PsSF_SF_EEDaS13_S14_SK_SP_EUlS13_E_NS1_11comp_targetILNS1_3genE8ELNS1_11target_archE1030ELNS1_3gpuE2ELNS1_3repE0EEENS1_47radix_sort_onesweep_sort_config_static_selectorELNS0_4arch9wavefront6targetE1EEEvSK_,@function
_ZN7rocprim17ROCPRIM_400000_NS6detail17trampoline_kernelINS0_14default_configENS1_35radix_sort_onesweep_config_selectorIsNS0_10empty_typeEEEZZNS1_29radix_sort_onesweep_iterationIS3_Lb0EN6thrust23THRUST_200600_302600_NS6detail15normal_iteratorINS9_10device_ptrIsEEEESE_PS5_SF_jNS0_19identity_decomposerENS1_16block_id_wrapperIjLb0EEEEE10hipError_tT1_PNSt15iterator_traitsISK_E10value_typeET2_T3_PNSL_ISQ_E10value_typeET4_T5_PSV_SW_PNS1_23onesweep_lookback_stateEbbT6_jjT7_P12ihipStream_tbENKUlT_T0_SK_SP_E_clISE_PsSF_SF_EEDaS13_S14_SK_SP_EUlS13_E_NS1_11comp_targetILNS1_3genE8ELNS1_11target_archE1030ELNS1_3gpuE2ELNS1_3repE0EEENS1_47radix_sort_onesweep_sort_config_static_selectorELNS0_4arch9wavefront6targetE1EEEvSK_: ; @_ZN7rocprim17ROCPRIM_400000_NS6detail17trampoline_kernelINS0_14default_configENS1_35radix_sort_onesweep_config_selectorIsNS0_10empty_typeEEEZZNS1_29radix_sort_onesweep_iterationIS3_Lb0EN6thrust23THRUST_200600_302600_NS6detail15normal_iteratorINS9_10device_ptrIsEEEESE_PS5_SF_jNS0_19identity_decomposerENS1_16block_id_wrapperIjLb0EEEEE10hipError_tT1_PNSt15iterator_traitsISK_E10value_typeET2_T3_PNSL_ISQ_E10value_typeET4_T5_PSV_SW_PNS1_23onesweep_lookback_stateEbbT6_jjT7_P12ihipStream_tbENKUlT_T0_SK_SP_E_clISE_PsSF_SF_EEDaS13_S14_SK_SP_EUlS13_E_NS1_11comp_targetILNS1_3genE8ELNS1_11target_archE1030ELNS1_3gpuE2ELNS1_3repE0EEENS1_47radix_sort_onesweep_sort_config_static_selectorELNS0_4arch9wavefront6targetE1EEEvSK_
; %bb.0:
	.section	.rodata,"a",@progbits
	.p2align	6, 0x0
	.amdhsa_kernel _ZN7rocprim17ROCPRIM_400000_NS6detail17trampoline_kernelINS0_14default_configENS1_35radix_sort_onesweep_config_selectorIsNS0_10empty_typeEEEZZNS1_29radix_sort_onesweep_iterationIS3_Lb0EN6thrust23THRUST_200600_302600_NS6detail15normal_iteratorINS9_10device_ptrIsEEEESE_PS5_SF_jNS0_19identity_decomposerENS1_16block_id_wrapperIjLb0EEEEE10hipError_tT1_PNSt15iterator_traitsISK_E10value_typeET2_T3_PNSL_ISQ_E10value_typeET4_T5_PSV_SW_PNS1_23onesweep_lookback_stateEbbT6_jjT7_P12ihipStream_tbENKUlT_T0_SK_SP_E_clISE_PsSF_SF_EEDaS13_S14_SK_SP_EUlS13_E_NS1_11comp_targetILNS1_3genE8ELNS1_11target_archE1030ELNS1_3gpuE2ELNS1_3repE0EEENS1_47radix_sort_onesweep_sort_config_static_selectorELNS0_4arch9wavefront6targetE1EEEvSK_
		.amdhsa_group_segment_fixed_size 0
		.amdhsa_private_segment_fixed_size 0
		.amdhsa_kernarg_size 88
		.amdhsa_user_sgpr_count 2
		.amdhsa_user_sgpr_dispatch_ptr 0
		.amdhsa_user_sgpr_queue_ptr 0
		.amdhsa_user_sgpr_kernarg_segment_ptr 1
		.amdhsa_user_sgpr_dispatch_id 0
		.amdhsa_user_sgpr_kernarg_preload_length 0
		.amdhsa_user_sgpr_kernarg_preload_offset 0
		.amdhsa_user_sgpr_private_segment_size 0
		.amdhsa_uses_dynamic_stack 0
		.amdhsa_enable_private_segment 0
		.amdhsa_system_sgpr_workgroup_id_x 1
		.amdhsa_system_sgpr_workgroup_id_y 0
		.amdhsa_system_sgpr_workgroup_id_z 0
		.amdhsa_system_sgpr_workgroup_info 0
		.amdhsa_system_vgpr_workitem_id 0
		.amdhsa_next_free_vgpr 1
		.amdhsa_next_free_sgpr 0
		.amdhsa_accum_offset 4
		.amdhsa_reserve_vcc 0
		.amdhsa_float_round_mode_32 0
		.amdhsa_float_round_mode_16_64 0
		.amdhsa_float_denorm_mode_32 3
		.amdhsa_float_denorm_mode_16_64 3
		.amdhsa_dx10_clamp 1
		.amdhsa_ieee_mode 1
		.amdhsa_fp16_overflow 0
		.amdhsa_tg_split 0
		.amdhsa_exception_fp_ieee_invalid_op 0
		.amdhsa_exception_fp_denorm_src 0
		.amdhsa_exception_fp_ieee_div_zero 0
		.amdhsa_exception_fp_ieee_overflow 0
		.amdhsa_exception_fp_ieee_underflow 0
		.amdhsa_exception_fp_ieee_inexact 0
		.amdhsa_exception_int_div_zero 0
	.end_amdhsa_kernel
	.section	.text._ZN7rocprim17ROCPRIM_400000_NS6detail17trampoline_kernelINS0_14default_configENS1_35radix_sort_onesweep_config_selectorIsNS0_10empty_typeEEEZZNS1_29radix_sort_onesweep_iterationIS3_Lb0EN6thrust23THRUST_200600_302600_NS6detail15normal_iteratorINS9_10device_ptrIsEEEESE_PS5_SF_jNS0_19identity_decomposerENS1_16block_id_wrapperIjLb0EEEEE10hipError_tT1_PNSt15iterator_traitsISK_E10value_typeET2_T3_PNSL_ISQ_E10value_typeET4_T5_PSV_SW_PNS1_23onesweep_lookback_stateEbbT6_jjT7_P12ihipStream_tbENKUlT_T0_SK_SP_E_clISE_PsSF_SF_EEDaS13_S14_SK_SP_EUlS13_E_NS1_11comp_targetILNS1_3genE8ELNS1_11target_archE1030ELNS1_3gpuE2ELNS1_3repE0EEENS1_47radix_sort_onesweep_sort_config_static_selectorELNS0_4arch9wavefront6targetE1EEEvSK_,"axG",@progbits,_ZN7rocprim17ROCPRIM_400000_NS6detail17trampoline_kernelINS0_14default_configENS1_35radix_sort_onesweep_config_selectorIsNS0_10empty_typeEEEZZNS1_29radix_sort_onesweep_iterationIS3_Lb0EN6thrust23THRUST_200600_302600_NS6detail15normal_iteratorINS9_10device_ptrIsEEEESE_PS5_SF_jNS0_19identity_decomposerENS1_16block_id_wrapperIjLb0EEEEE10hipError_tT1_PNSt15iterator_traitsISK_E10value_typeET2_T3_PNSL_ISQ_E10value_typeET4_T5_PSV_SW_PNS1_23onesweep_lookback_stateEbbT6_jjT7_P12ihipStream_tbENKUlT_T0_SK_SP_E_clISE_PsSF_SF_EEDaS13_S14_SK_SP_EUlS13_E_NS1_11comp_targetILNS1_3genE8ELNS1_11target_archE1030ELNS1_3gpuE2ELNS1_3repE0EEENS1_47radix_sort_onesweep_sort_config_static_selectorELNS0_4arch9wavefront6targetE1EEEvSK_,comdat
.Lfunc_end1994:
	.size	_ZN7rocprim17ROCPRIM_400000_NS6detail17trampoline_kernelINS0_14default_configENS1_35radix_sort_onesweep_config_selectorIsNS0_10empty_typeEEEZZNS1_29radix_sort_onesweep_iterationIS3_Lb0EN6thrust23THRUST_200600_302600_NS6detail15normal_iteratorINS9_10device_ptrIsEEEESE_PS5_SF_jNS0_19identity_decomposerENS1_16block_id_wrapperIjLb0EEEEE10hipError_tT1_PNSt15iterator_traitsISK_E10value_typeET2_T3_PNSL_ISQ_E10value_typeET4_T5_PSV_SW_PNS1_23onesweep_lookback_stateEbbT6_jjT7_P12ihipStream_tbENKUlT_T0_SK_SP_E_clISE_PsSF_SF_EEDaS13_S14_SK_SP_EUlS13_E_NS1_11comp_targetILNS1_3genE8ELNS1_11target_archE1030ELNS1_3gpuE2ELNS1_3repE0EEENS1_47radix_sort_onesweep_sort_config_static_selectorELNS0_4arch9wavefront6targetE1EEEvSK_, .Lfunc_end1994-_ZN7rocprim17ROCPRIM_400000_NS6detail17trampoline_kernelINS0_14default_configENS1_35radix_sort_onesweep_config_selectorIsNS0_10empty_typeEEEZZNS1_29radix_sort_onesweep_iterationIS3_Lb0EN6thrust23THRUST_200600_302600_NS6detail15normal_iteratorINS9_10device_ptrIsEEEESE_PS5_SF_jNS0_19identity_decomposerENS1_16block_id_wrapperIjLb0EEEEE10hipError_tT1_PNSt15iterator_traitsISK_E10value_typeET2_T3_PNSL_ISQ_E10value_typeET4_T5_PSV_SW_PNS1_23onesweep_lookback_stateEbbT6_jjT7_P12ihipStream_tbENKUlT_T0_SK_SP_E_clISE_PsSF_SF_EEDaS13_S14_SK_SP_EUlS13_E_NS1_11comp_targetILNS1_3genE8ELNS1_11target_archE1030ELNS1_3gpuE2ELNS1_3repE0EEENS1_47radix_sort_onesweep_sort_config_static_selectorELNS0_4arch9wavefront6targetE1EEEvSK_
                                        ; -- End function
	.section	.AMDGPU.csdata,"",@progbits
; Kernel info:
; codeLenInByte = 0
; NumSgprs: 6
; NumVgprs: 0
; NumAgprs: 0
; TotalNumVgprs: 0
; ScratchSize: 0
; MemoryBound: 0
; FloatMode: 240
; IeeeMode: 1
; LDSByteSize: 0 bytes/workgroup (compile time only)
; SGPRBlocks: 0
; VGPRBlocks: 0
; NumSGPRsForWavesPerEU: 6
; NumVGPRsForWavesPerEU: 1
; AccumOffset: 4
; Occupancy: 8
; WaveLimiterHint : 0
; COMPUTE_PGM_RSRC2:SCRATCH_EN: 0
; COMPUTE_PGM_RSRC2:USER_SGPR: 2
; COMPUTE_PGM_RSRC2:TRAP_HANDLER: 0
; COMPUTE_PGM_RSRC2:TGID_X_EN: 1
; COMPUTE_PGM_RSRC2:TGID_Y_EN: 0
; COMPUTE_PGM_RSRC2:TGID_Z_EN: 0
; COMPUTE_PGM_RSRC2:TIDIG_COMP_CNT: 0
; COMPUTE_PGM_RSRC3_GFX90A:ACCUM_OFFSET: 0
; COMPUTE_PGM_RSRC3_GFX90A:TG_SPLIT: 0
	.section	.text._ZN7rocprim17ROCPRIM_400000_NS6detail17trampoline_kernelINS0_14default_configENS1_35radix_sort_onesweep_config_selectorIsNS0_10empty_typeEEEZZNS1_29radix_sort_onesweep_iterationIS3_Lb0EN6thrust23THRUST_200600_302600_NS6detail15normal_iteratorINS9_10device_ptrIsEEEESE_PS5_SF_jNS0_19identity_decomposerENS1_16block_id_wrapperIjLb0EEEEE10hipError_tT1_PNSt15iterator_traitsISK_E10value_typeET2_T3_PNSL_ISQ_E10value_typeET4_T5_PSV_SW_PNS1_23onesweep_lookback_stateEbbT6_jjT7_P12ihipStream_tbENKUlT_T0_SK_SP_E_clIPsSE_SF_SF_EEDaS13_S14_SK_SP_EUlS13_E_NS1_11comp_targetILNS1_3genE0ELNS1_11target_archE4294967295ELNS1_3gpuE0ELNS1_3repE0EEENS1_47radix_sort_onesweep_sort_config_static_selectorELNS0_4arch9wavefront6targetE1EEEvSK_,"axG",@progbits,_ZN7rocprim17ROCPRIM_400000_NS6detail17trampoline_kernelINS0_14default_configENS1_35radix_sort_onesweep_config_selectorIsNS0_10empty_typeEEEZZNS1_29radix_sort_onesweep_iterationIS3_Lb0EN6thrust23THRUST_200600_302600_NS6detail15normal_iteratorINS9_10device_ptrIsEEEESE_PS5_SF_jNS0_19identity_decomposerENS1_16block_id_wrapperIjLb0EEEEE10hipError_tT1_PNSt15iterator_traitsISK_E10value_typeET2_T3_PNSL_ISQ_E10value_typeET4_T5_PSV_SW_PNS1_23onesweep_lookback_stateEbbT6_jjT7_P12ihipStream_tbENKUlT_T0_SK_SP_E_clIPsSE_SF_SF_EEDaS13_S14_SK_SP_EUlS13_E_NS1_11comp_targetILNS1_3genE0ELNS1_11target_archE4294967295ELNS1_3gpuE0ELNS1_3repE0EEENS1_47radix_sort_onesweep_sort_config_static_selectorELNS0_4arch9wavefront6targetE1EEEvSK_,comdat
	.protected	_ZN7rocprim17ROCPRIM_400000_NS6detail17trampoline_kernelINS0_14default_configENS1_35radix_sort_onesweep_config_selectorIsNS0_10empty_typeEEEZZNS1_29radix_sort_onesweep_iterationIS3_Lb0EN6thrust23THRUST_200600_302600_NS6detail15normal_iteratorINS9_10device_ptrIsEEEESE_PS5_SF_jNS0_19identity_decomposerENS1_16block_id_wrapperIjLb0EEEEE10hipError_tT1_PNSt15iterator_traitsISK_E10value_typeET2_T3_PNSL_ISQ_E10value_typeET4_T5_PSV_SW_PNS1_23onesweep_lookback_stateEbbT6_jjT7_P12ihipStream_tbENKUlT_T0_SK_SP_E_clIPsSE_SF_SF_EEDaS13_S14_SK_SP_EUlS13_E_NS1_11comp_targetILNS1_3genE0ELNS1_11target_archE4294967295ELNS1_3gpuE0ELNS1_3repE0EEENS1_47radix_sort_onesweep_sort_config_static_selectorELNS0_4arch9wavefront6targetE1EEEvSK_ ; -- Begin function _ZN7rocprim17ROCPRIM_400000_NS6detail17trampoline_kernelINS0_14default_configENS1_35radix_sort_onesweep_config_selectorIsNS0_10empty_typeEEEZZNS1_29radix_sort_onesweep_iterationIS3_Lb0EN6thrust23THRUST_200600_302600_NS6detail15normal_iteratorINS9_10device_ptrIsEEEESE_PS5_SF_jNS0_19identity_decomposerENS1_16block_id_wrapperIjLb0EEEEE10hipError_tT1_PNSt15iterator_traitsISK_E10value_typeET2_T3_PNSL_ISQ_E10value_typeET4_T5_PSV_SW_PNS1_23onesweep_lookback_stateEbbT6_jjT7_P12ihipStream_tbENKUlT_T0_SK_SP_E_clIPsSE_SF_SF_EEDaS13_S14_SK_SP_EUlS13_E_NS1_11comp_targetILNS1_3genE0ELNS1_11target_archE4294967295ELNS1_3gpuE0ELNS1_3repE0EEENS1_47radix_sort_onesweep_sort_config_static_selectorELNS0_4arch9wavefront6targetE1EEEvSK_
	.globl	_ZN7rocprim17ROCPRIM_400000_NS6detail17trampoline_kernelINS0_14default_configENS1_35radix_sort_onesweep_config_selectorIsNS0_10empty_typeEEEZZNS1_29radix_sort_onesweep_iterationIS3_Lb0EN6thrust23THRUST_200600_302600_NS6detail15normal_iteratorINS9_10device_ptrIsEEEESE_PS5_SF_jNS0_19identity_decomposerENS1_16block_id_wrapperIjLb0EEEEE10hipError_tT1_PNSt15iterator_traitsISK_E10value_typeET2_T3_PNSL_ISQ_E10value_typeET4_T5_PSV_SW_PNS1_23onesweep_lookback_stateEbbT6_jjT7_P12ihipStream_tbENKUlT_T0_SK_SP_E_clIPsSE_SF_SF_EEDaS13_S14_SK_SP_EUlS13_E_NS1_11comp_targetILNS1_3genE0ELNS1_11target_archE4294967295ELNS1_3gpuE0ELNS1_3repE0EEENS1_47radix_sort_onesweep_sort_config_static_selectorELNS0_4arch9wavefront6targetE1EEEvSK_
	.p2align	8
	.type	_ZN7rocprim17ROCPRIM_400000_NS6detail17trampoline_kernelINS0_14default_configENS1_35radix_sort_onesweep_config_selectorIsNS0_10empty_typeEEEZZNS1_29radix_sort_onesweep_iterationIS3_Lb0EN6thrust23THRUST_200600_302600_NS6detail15normal_iteratorINS9_10device_ptrIsEEEESE_PS5_SF_jNS0_19identity_decomposerENS1_16block_id_wrapperIjLb0EEEEE10hipError_tT1_PNSt15iterator_traitsISK_E10value_typeET2_T3_PNSL_ISQ_E10value_typeET4_T5_PSV_SW_PNS1_23onesweep_lookback_stateEbbT6_jjT7_P12ihipStream_tbENKUlT_T0_SK_SP_E_clIPsSE_SF_SF_EEDaS13_S14_SK_SP_EUlS13_E_NS1_11comp_targetILNS1_3genE0ELNS1_11target_archE4294967295ELNS1_3gpuE0ELNS1_3repE0EEENS1_47radix_sort_onesweep_sort_config_static_selectorELNS0_4arch9wavefront6targetE1EEEvSK_,@function
_ZN7rocprim17ROCPRIM_400000_NS6detail17trampoline_kernelINS0_14default_configENS1_35radix_sort_onesweep_config_selectorIsNS0_10empty_typeEEEZZNS1_29radix_sort_onesweep_iterationIS3_Lb0EN6thrust23THRUST_200600_302600_NS6detail15normal_iteratorINS9_10device_ptrIsEEEESE_PS5_SF_jNS0_19identity_decomposerENS1_16block_id_wrapperIjLb0EEEEE10hipError_tT1_PNSt15iterator_traitsISK_E10value_typeET2_T3_PNSL_ISQ_E10value_typeET4_T5_PSV_SW_PNS1_23onesweep_lookback_stateEbbT6_jjT7_P12ihipStream_tbENKUlT_T0_SK_SP_E_clIPsSE_SF_SF_EEDaS13_S14_SK_SP_EUlS13_E_NS1_11comp_targetILNS1_3genE0ELNS1_11target_archE4294967295ELNS1_3gpuE0ELNS1_3repE0EEENS1_47radix_sort_onesweep_sort_config_static_selectorELNS0_4arch9wavefront6targetE1EEEvSK_: ; @_ZN7rocprim17ROCPRIM_400000_NS6detail17trampoline_kernelINS0_14default_configENS1_35radix_sort_onesweep_config_selectorIsNS0_10empty_typeEEEZZNS1_29radix_sort_onesweep_iterationIS3_Lb0EN6thrust23THRUST_200600_302600_NS6detail15normal_iteratorINS9_10device_ptrIsEEEESE_PS5_SF_jNS0_19identity_decomposerENS1_16block_id_wrapperIjLb0EEEEE10hipError_tT1_PNSt15iterator_traitsISK_E10value_typeET2_T3_PNSL_ISQ_E10value_typeET4_T5_PSV_SW_PNS1_23onesweep_lookback_stateEbbT6_jjT7_P12ihipStream_tbENKUlT_T0_SK_SP_E_clIPsSE_SF_SF_EEDaS13_S14_SK_SP_EUlS13_E_NS1_11comp_targetILNS1_3genE0ELNS1_11target_archE4294967295ELNS1_3gpuE0ELNS1_3repE0EEENS1_47radix_sort_onesweep_sort_config_static_selectorELNS0_4arch9wavefront6targetE1EEEvSK_
; %bb.0:
	.section	.rodata,"a",@progbits
	.p2align	6, 0x0
	.amdhsa_kernel _ZN7rocprim17ROCPRIM_400000_NS6detail17trampoline_kernelINS0_14default_configENS1_35radix_sort_onesweep_config_selectorIsNS0_10empty_typeEEEZZNS1_29radix_sort_onesweep_iterationIS3_Lb0EN6thrust23THRUST_200600_302600_NS6detail15normal_iteratorINS9_10device_ptrIsEEEESE_PS5_SF_jNS0_19identity_decomposerENS1_16block_id_wrapperIjLb0EEEEE10hipError_tT1_PNSt15iterator_traitsISK_E10value_typeET2_T3_PNSL_ISQ_E10value_typeET4_T5_PSV_SW_PNS1_23onesweep_lookback_stateEbbT6_jjT7_P12ihipStream_tbENKUlT_T0_SK_SP_E_clIPsSE_SF_SF_EEDaS13_S14_SK_SP_EUlS13_E_NS1_11comp_targetILNS1_3genE0ELNS1_11target_archE4294967295ELNS1_3gpuE0ELNS1_3repE0EEENS1_47radix_sort_onesweep_sort_config_static_selectorELNS0_4arch9wavefront6targetE1EEEvSK_
		.amdhsa_group_segment_fixed_size 0
		.amdhsa_private_segment_fixed_size 0
		.amdhsa_kernarg_size 88
		.amdhsa_user_sgpr_count 2
		.amdhsa_user_sgpr_dispatch_ptr 0
		.amdhsa_user_sgpr_queue_ptr 0
		.amdhsa_user_sgpr_kernarg_segment_ptr 1
		.amdhsa_user_sgpr_dispatch_id 0
		.amdhsa_user_sgpr_kernarg_preload_length 0
		.amdhsa_user_sgpr_kernarg_preload_offset 0
		.amdhsa_user_sgpr_private_segment_size 0
		.amdhsa_uses_dynamic_stack 0
		.amdhsa_enable_private_segment 0
		.amdhsa_system_sgpr_workgroup_id_x 1
		.amdhsa_system_sgpr_workgroup_id_y 0
		.amdhsa_system_sgpr_workgroup_id_z 0
		.amdhsa_system_sgpr_workgroup_info 0
		.amdhsa_system_vgpr_workitem_id 0
		.amdhsa_next_free_vgpr 1
		.amdhsa_next_free_sgpr 0
		.amdhsa_accum_offset 4
		.amdhsa_reserve_vcc 0
		.amdhsa_float_round_mode_32 0
		.amdhsa_float_round_mode_16_64 0
		.amdhsa_float_denorm_mode_32 3
		.amdhsa_float_denorm_mode_16_64 3
		.amdhsa_dx10_clamp 1
		.amdhsa_ieee_mode 1
		.amdhsa_fp16_overflow 0
		.amdhsa_tg_split 0
		.amdhsa_exception_fp_ieee_invalid_op 0
		.amdhsa_exception_fp_denorm_src 0
		.amdhsa_exception_fp_ieee_div_zero 0
		.amdhsa_exception_fp_ieee_overflow 0
		.amdhsa_exception_fp_ieee_underflow 0
		.amdhsa_exception_fp_ieee_inexact 0
		.amdhsa_exception_int_div_zero 0
	.end_amdhsa_kernel
	.section	.text._ZN7rocprim17ROCPRIM_400000_NS6detail17trampoline_kernelINS0_14default_configENS1_35radix_sort_onesweep_config_selectorIsNS0_10empty_typeEEEZZNS1_29radix_sort_onesweep_iterationIS3_Lb0EN6thrust23THRUST_200600_302600_NS6detail15normal_iteratorINS9_10device_ptrIsEEEESE_PS5_SF_jNS0_19identity_decomposerENS1_16block_id_wrapperIjLb0EEEEE10hipError_tT1_PNSt15iterator_traitsISK_E10value_typeET2_T3_PNSL_ISQ_E10value_typeET4_T5_PSV_SW_PNS1_23onesweep_lookback_stateEbbT6_jjT7_P12ihipStream_tbENKUlT_T0_SK_SP_E_clIPsSE_SF_SF_EEDaS13_S14_SK_SP_EUlS13_E_NS1_11comp_targetILNS1_3genE0ELNS1_11target_archE4294967295ELNS1_3gpuE0ELNS1_3repE0EEENS1_47radix_sort_onesweep_sort_config_static_selectorELNS0_4arch9wavefront6targetE1EEEvSK_,"axG",@progbits,_ZN7rocprim17ROCPRIM_400000_NS6detail17trampoline_kernelINS0_14default_configENS1_35radix_sort_onesweep_config_selectorIsNS0_10empty_typeEEEZZNS1_29radix_sort_onesweep_iterationIS3_Lb0EN6thrust23THRUST_200600_302600_NS6detail15normal_iteratorINS9_10device_ptrIsEEEESE_PS5_SF_jNS0_19identity_decomposerENS1_16block_id_wrapperIjLb0EEEEE10hipError_tT1_PNSt15iterator_traitsISK_E10value_typeET2_T3_PNSL_ISQ_E10value_typeET4_T5_PSV_SW_PNS1_23onesweep_lookback_stateEbbT6_jjT7_P12ihipStream_tbENKUlT_T0_SK_SP_E_clIPsSE_SF_SF_EEDaS13_S14_SK_SP_EUlS13_E_NS1_11comp_targetILNS1_3genE0ELNS1_11target_archE4294967295ELNS1_3gpuE0ELNS1_3repE0EEENS1_47radix_sort_onesweep_sort_config_static_selectorELNS0_4arch9wavefront6targetE1EEEvSK_,comdat
.Lfunc_end1995:
	.size	_ZN7rocprim17ROCPRIM_400000_NS6detail17trampoline_kernelINS0_14default_configENS1_35radix_sort_onesweep_config_selectorIsNS0_10empty_typeEEEZZNS1_29radix_sort_onesweep_iterationIS3_Lb0EN6thrust23THRUST_200600_302600_NS6detail15normal_iteratorINS9_10device_ptrIsEEEESE_PS5_SF_jNS0_19identity_decomposerENS1_16block_id_wrapperIjLb0EEEEE10hipError_tT1_PNSt15iterator_traitsISK_E10value_typeET2_T3_PNSL_ISQ_E10value_typeET4_T5_PSV_SW_PNS1_23onesweep_lookback_stateEbbT6_jjT7_P12ihipStream_tbENKUlT_T0_SK_SP_E_clIPsSE_SF_SF_EEDaS13_S14_SK_SP_EUlS13_E_NS1_11comp_targetILNS1_3genE0ELNS1_11target_archE4294967295ELNS1_3gpuE0ELNS1_3repE0EEENS1_47radix_sort_onesweep_sort_config_static_selectorELNS0_4arch9wavefront6targetE1EEEvSK_, .Lfunc_end1995-_ZN7rocprim17ROCPRIM_400000_NS6detail17trampoline_kernelINS0_14default_configENS1_35radix_sort_onesweep_config_selectorIsNS0_10empty_typeEEEZZNS1_29radix_sort_onesweep_iterationIS3_Lb0EN6thrust23THRUST_200600_302600_NS6detail15normal_iteratorINS9_10device_ptrIsEEEESE_PS5_SF_jNS0_19identity_decomposerENS1_16block_id_wrapperIjLb0EEEEE10hipError_tT1_PNSt15iterator_traitsISK_E10value_typeET2_T3_PNSL_ISQ_E10value_typeET4_T5_PSV_SW_PNS1_23onesweep_lookback_stateEbbT6_jjT7_P12ihipStream_tbENKUlT_T0_SK_SP_E_clIPsSE_SF_SF_EEDaS13_S14_SK_SP_EUlS13_E_NS1_11comp_targetILNS1_3genE0ELNS1_11target_archE4294967295ELNS1_3gpuE0ELNS1_3repE0EEENS1_47radix_sort_onesweep_sort_config_static_selectorELNS0_4arch9wavefront6targetE1EEEvSK_
                                        ; -- End function
	.section	.AMDGPU.csdata,"",@progbits
; Kernel info:
; codeLenInByte = 0
; NumSgprs: 6
; NumVgprs: 0
; NumAgprs: 0
; TotalNumVgprs: 0
; ScratchSize: 0
; MemoryBound: 0
; FloatMode: 240
; IeeeMode: 1
; LDSByteSize: 0 bytes/workgroup (compile time only)
; SGPRBlocks: 0
; VGPRBlocks: 0
; NumSGPRsForWavesPerEU: 6
; NumVGPRsForWavesPerEU: 1
; AccumOffset: 4
; Occupancy: 8
; WaveLimiterHint : 0
; COMPUTE_PGM_RSRC2:SCRATCH_EN: 0
; COMPUTE_PGM_RSRC2:USER_SGPR: 2
; COMPUTE_PGM_RSRC2:TRAP_HANDLER: 0
; COMPUTE_PGM_RSRC2:TGID_X_EN: 1
; COMPUTE_PGM_RSRC2:TGID_Y_EN: 0
; COMPUTE_PGM_RSRC2:TGID_Z_EN: 0
; COMPUTE_PGM_RSRC2:TIDIG_COMP_CNT: 0
; COMPUTE_PGM_RSRC3_GFX90A:ACCUM_OFFSET: 0
; COMPUTE_PGM_RSRC3_GFX90A:TG_SPLIT: 0
	.section	.text._ZN7rocprim17ROCPRIM_400000_NS6detail17trampoline_kernelINS0_14default_configENS1_35radix_sort_onesweep_config_selectorIsNS0_10empty_typeEEEZZNS1_29radix_sort_onesweep_iterationIS3_Lb0EN6thrust23THRUST_200600_302600_NS6detail15normal_iteratorINS9_10device_ptrIsEEEESE_PS5_SF_jNS0_19identity_decomposerENS1_16block_id_wrapperIjLb0EEEEE10hipError_tT1_PNSt15iterator_traitsISK_E10value_typeET2_T3_PNSL_ISQ_E10value_typeET4_T5_PSV_SW_PNS1_23onesweep_lookback_stateEbbT6_jjT7_P12ihipStream_tbENKUlT_T0_SK_SP_E_clIPsSE_SF_SF_EEDaS13_S14_SK_SP_EUlS13_E_NS1_11comp_targetILNS1_3genE6ELNS1_11target_archE950ELNS1_3gpuE13ELNS1_3repE0EEENS1_47radix_sort_onesweep_sort_config_static_selectorELNS0_4arch9wavefront6targetE1EEEvSK_,"axG",@progbits,_ZN7rocprim17ROCPRIM_400000_NS6detail17trampoline_kernelINS0_14default_configENS1_35radix_sort_onesweep_config_selectorIsNS0_10empty_typeEEEZZNS1_29radix_sort_onesweep_iterationIS3_Lb0EN6thrust23THRUST_200600_302600_NS6detail15normal_iteratorINS9_10device_ptrIsEEEESE_PS5_SF_jNS0_19identity_decomposerENS1_16block_id_wrapperIjLb0EEEEE10hipError_tT1_PNSt15iterator_traitsISK_E10value_typeET2_T3_PNSL_ISQ_E10value_typeET4_T5_PSV_SW_PNS1_23onesweep_lookback_stateEbbT6_jjT7_P12ihipStream_tbENKUlT_T0_SK_SP_E_clIPsSE_SF_SF_EEDaS13_S14_SK_SP_EUlS13_E_NS1_11comp_targetILNS1_3genE6ELNS1_11target_archE950ELNS1_3gpuE13ELNS1_3repE0EEENS1_47radix_sort_onesweep_sort_config_static_selectorELNS0_4arch9wavefront6targetE1EEEvSK_,comdat
	.protected	_ZN7rocprim17ROCPRIM_400000_NS6detail17trampoline_kernelINS0_14default_configENS1_35radix_sort_onesweep_config_selectorIsNS0_10empty_typeEEEZZNS1_29radix_sort_onesweep_iterationIS3_Lb0EN6thrust23THRUST_200600_302600_NS6detail15normal_iteratorINS9_10device_ptrIsEEEESE_PS5_SF_jNS0_19identity_decomposerENS1_16block_id_wrapperIjLb0EEEEE10hipError_tT1_PNSt15iterator_traitsISK_E10value_typeET2_T3_PNSL_ISQ_E10value_typeET4_T5_PSV_SW_PNS1_23onesweep_lookback_stateEbbT6_jjT7_P12ihipStream_tbENKUlT_T0_SK_SP_E_clIPsSE_SF_SF_EEDaS13_S14_SK_SP_EUlS13_E_NS1_11comp_targetILNS1_3genE6ELNS1_11target_archE950ELNS1_3gpuE13ELNS1_3repE0EEENS1_47radix_sort_onesweep_sort_config_static_selectorELNS0_4arch9wavefront6targetE1EEEvSK_ ; -- Begin function _ZN7rocprim17ROCPRIM_400000_NS6detail17trampoline_kernelINS0_14default_configENS1_35radix_sort_onesweep_config_selectorIsNS0_10empty_typeEEEZZNS1_29radix_sort_onesweep_iterationIS3_Lb0EN6thrust23THRUST_200600_302600_NS6detail15normal_iteratorINS9_10device_ptrIsEEEESE_PS5_SF_jNS0_19identity_decomposerENS1_16block_id_wrapperIjLb0EEEEE10hipError_tT1_PNSt15iterator_traitsISK_E10value_typeET2_T3_PNSL_ISQ_E10value_typeET4_T5_PSV_SW_PNS1_23onesweep_lookback_stateEbbT6_jjT7_P12ihipStream_tbENKUlT_T0_SK_SP_E_clIPsSE_SF_SF_EEDaS13_S14_SK_SP_EUlS13_E_NS1_11comp_targetILNS1_3genE6ELNS1_11target_archE950ELNS1_3gpuE13ELNS1_3repE0EEENS1_47radix_sort_onesweep_sort_config_static_selectorELNS0_4arch9wavefront6targetE1EEEvSK_
	.globl	_ZN7rocprim17ROCPRIM_400000_NS6detail17trampoline_kernelINS0_14default_configENS1_35radix_sort_onesweep_config_selectorIsNS0_10empty_typeEEEZZNS1_29radix_sort_onesweep_iterationIS3_Lb0EN6thrust23THRUST_200600_302600_NS6detail15normal_iteratorINS9_10device_ptrIsEEEESE_PS5_SF_jNS0_19identity_decomposerENS1_16block_id_wrapperIjLb0EEEEE10hipError_tT1_PNSt15iterator_traitsISK_E10value_typeET2_T3_PNSL_ISQ_E10value_typeET4_T5_PSV_SW_PNS1_23onesweep_lookback_stateEbbT6_jjT7_P12ihipStream_tbENKUlT_T0_SK_SP_E_clIPsSE_SF_SF_EEDaS13_S14_SK_SP_EUlS13_E_NS1_11comp_targetILNS1_3genE6ELNS1_11target_archE950ELNS1_3gpuE13ELNS1_3repE0EEENS1_47radix_sort_onesweep_sort_config_static_selectorELNS0_4arch9wavefront6targetE1EEEvSK_
	.p2align	8
	.type	_ZN7rocprim17ROCPRIM_400000_NS6detail17trampoline_kernelINS0_14default_configENS1_35radix_sort_onesweep_config_selectorIsNS0_10empty_typeEEEZZNS1_29radix_sort_onesweep_iterationIS3_Lb0EN6thrust23THRUST_200600_302600_NS6detail15normal_iteratorINS9_10device_ptrIsEEEESE_PS5_SF_jNS0_19identity_decomposerENS1_16block_id_wrapperIjLb0EEEEE10hipError_tT1_PNSt15iterator_traitsISK_E10value_typeET2_T3_PNSL_ISQ_E10value_typeET4_T5_PSV_SW_PNS1_23onesweep_lookback_stateEbbT6_jjT7_P12ihipStream_tbENKUlT_T0_SK_SP_E_clIPsSE_SF_SF_EEDaS13_S14_SK_SP_EUlS13_E_NS1_11comp_targetILNS1_3genE6ELNS1_11target_archE950ELNS1_3gpuE13ELNS1_3repE0EEENS1_47radix_sort_onesweep_sort_config_static_selectorELNS0_4arch9wavefront6targetE1EEEvSK_,@function
_ZN7rocprim17ROCPRIM_400000_NS6detail17trampoline_kernelINS0_14default_configENS1_35radix_sort_onesweep_config_selectorIsNS0_10empty_typeEEEZZNS1_29radix_sort_onesweep_iterationIS3_Lb0EN6thrust23THRUST_200600_302600_NS6detail15normal_iteratorINS9_10device_ptrIsEEEESE_PS5_SF_jNS0_19identity_decomposerENS1_16block_id_wrapperIjLb0EEEEE10hipError_tT1_PNSt15iterator_traitsISK_E10value_typeET2_T3_PNSL_ISQ_E10value_typeET4_T5_PSV_SW_PNS1_23onesweep_lookback_stateEbbT6_jjT7_P12ihipStream_tbENKUlT_T0_SK_SP_E_clIPsSE_SF_SF_EEDaS13_S14_SK_SP_EUlS13_E_NS1_11comp_targetILNS1_3genE6ELNS1_11target_archE950ELNS1_3gpuE13ELNS1_3repE0EEENS1_47radix_sort_onesweep_sort_config_static_selectorELNS0_4arch9wavefront6targetE1EEEvSK_: ; @_ZN7rocprim17ROCPRIM_400000_NS6detail17trampoline_kernelINS0_14default_configENS1_35radix_sort_onesweep_config_selectorIsNS0_10empty_typeEEEZZNS1_29radix_sort_onesweep_iterationIS3_Lb0EN6thrust23THRUST_200600_302600_NS6detail15normal_iteratorINS9_10device_ptrIsEEEESE_PS5_SF_jNS0_19identity_decomposerENS1_16block_id_wrapperIjLb0EEEEE10hipError_tT1_PNSt15iterator_traitsISK_E10value_typeET2_T3_PNSL_ISQ_E10value_typeET4_T5_PSV_SW_PNS1_23onesweep_lookback_stateEbbT6_jjT7_P12ihipStream_tbENKUlT_T0_SK_SP_E_clIPsSE_SF_SF_EEDaS13_S14_SK_SP_EUlS13_E_NS1_11comp_targetILNS1_3genE6ELNS1_11target_archE950ELNS1_3gpuE13ELNS1_3repE0EEENS1_47radix_sort_onesweep_sort_config_static_selectorELNS0_4arch9wavefront6targetE1EEEvSK_
; %bb.0:
	.section	.rodata,"a",@progbits
	.p2align	6, 0x0
	.amdhsa_kernel _ZN7rocprim17ROCPRIM_400000_NS6detail17trampoline_kernelINS0_14default_configENS1_35radix_sort_onesweep_config_selectorIsNS0_10empty_typeEEEZZNS1_29radix_sort_onesweep_iterationIS3_Lb0EN6thrust23THRUST_200600_302600_NS6detail15normal_iteratorINS9_10device_ptrIsEEEESE_PS5_SF_jNS0_19identity_decomposerENS1_16block_id_wrapperIjLb0EEEEE10hipError_tT1_PNSt15iterator_traitsISK_E10value_typeET2_T3_PNSL_ISQ_E10value_typeET4_T5_PSV_SW_PNS1_23onesweep_lookback_stateEbbT6_jjT7_P12ihipStream_tbENKUlT_T0_SK_SP_E_clIPsSE_SF_SF_EEDaS13_S14_SK_SP_EUlS13_E_NS1_11comp_targetILNS1_3genE6ELNS1_11target_archE950ELNS1_3gpuE13ELNS1_3repE0EEENS1_47radix_sort_onesweep_sort_config_static_selectorELNS0_4arch9wavefront6targetE1EEEvSK_
		.amdhsa_group_segment_fixed_size 0
		.amdhsa_private_segment_fixed_size 0
		.amdhsa_kernarg_size 88
		.amdhsa_user_sgpr_count 2
		.amdhsa_user_sgpr_dispatch_ptr 0
		.amdhsa_user_sgpr_queue_ptr 0
		.amdhsa_user_sgpr_kernarg_segment_ptr 1
		.amdhsa_user_sgpr_dispatch_id 0
		.amdhsa_user_sgpr_kernarg_preload_length 0
		.amdhsa_user_sgpr_kernarg_preload_offset 0
		.amdhsa_user_sgpr_private_segment_size 0
		.amdhsa_uses_dynamic_stack 0
		.amdhsa_enable_private_segment 0
		.amdhsa_system_sgpr_workgroup_id_x 1
		.amdhsa_system_sgpr_workgroup_id_y 0
		.amdhsa_system_sgpr_workgroup_id_z 0
		.amdhsa_system_sgpr_workgroup_info 0
		.amdhsa_system_vgpr_workitem_id 0
		.amdhsa_next_free_vgpr 1
		.amdhsa_next_free_sgpr 0
		.amdhsa_accum_offset 4
		.amdhsa_reserve_vcc 0
		.amdhsa_float_round_mode_32 0
		.amdhsa_float_round_mode_16_64 0
		.amdhsa_float_denorm_mode_32 3
		.amdhsa_float_denorm_mode_16_64 3
		.amdhsa_dx10_clamp 1
		.amdhsa_ieee_mode 1
		.amdhsa_fp16_overflow 0
		.amdhsa_tg_split 0
		.amdhsa_exception_fp_ieee_invalid_op 0
		.amdhsa_exception_fp_denorm_src 0
		.amdhsa_exception_fp_ieee_div_zero 0
		.amdhsa_exception_fp_ieee_overflow 0
		.amdhsa_exception_fp_ieee_underflow 0
		.amdhsa_exception_fp_ieee_inexact 0
		.amdhsa_exception_int_div_zero 0
	.end_amdhsa_kernel
	.section	.text._ZN7rocprim17ROCPRIM_400000_NS6detail17trampoline_kernelINS0_14default_configENS1_35radix_sort_onesweep_config_selectorIsNS0_10empty_typeEEEZZNS1_29radix_sort_onesweep_iterationIS3_Lb0EN6thrust23THRUST_200600_302600_NS6detail15normal_iteratorINS9_10device_ptrIsEEEESE_PS5_SF_jNS0_19identity_decomposerENS1_16block_id_wrapperIjLb0EEEEE10hipError_tT1_PNSt15iterator_traitsISK_E10value_typeET2_T3_PNSL_ISQ_E10value_typeET4_T5_PSV_SW_PNS1_23onesweep_lookback_stateEbbT6_jjT7_P12ihipStream_tbENKUlT_T0_SK_SP_E_clIPsSE_SF_SF_EEDaS13_S14_SK_SP_EUlS13_E_NS1_11comp_targetILNS1_3genE6ELNS1_11target_archE950ELNS1_3gpuE13ELNS1_3repE0EEENS1_47radix_sort_onesweep_sort_config_static_selectorELNS0_4arch9wavefront6targetE1EEEvSK_,"axG",@progbits,_ZN7rocprim17ROCPRIM_400000_NS6detail17trampoline_kernelINS0_14default_configENS1_35radix_sort_onesweep_config_selectorIsNS0_10empty_typeEEEZZNS1_29radix_sort_onesweep_iterationIS3_Lb0EN6thrust23THRUST_200600_302600_NS6detail15normal_iteratorINS9_10device_ptrIsEEEESE_PS5_SF_jNS0_19identity_decomposerENS1_16block_id_wrapperIjLb0EEEEE10hipError_tT1_PNSt15iterator_traitsISK_E10value_typeET2_T3_PNSL_ISQ_E10value_typeET4_T5_PSV_SW_PNS1_23onesweep_lookback_stateEbbT6_jjT7_P12ihipStream_tbENKUlT_T0_SK_SP_E_clIPsSE_SF_SF_EEDaS13_S14_SK_SP_EUlS13_E_NS1_11comp_targetILNS1_3genE6ELNS1_11target_archE950ELNS1_3gpuE13ELNS1_3repE0EEENS1_47radix_sort_onesweep_sort_config_static_selectorELNS0_4arch9wavefront6targetE1EEEvSK_,comdat
.Lfunc_end1996:
	.size	_ZN7rocprim17ROCPRIM_400000_NS6detail17trampoline_kernelINS0_14default_configENS1_35radix_sort_onesweep_config_selectorIsNS0_10empty_typeEEEZZNS1_29radix_sort_onesweep_iterationIS3_Lb0EN6thrust23THRUST_200600_302600_NS6detail15normal_iteratorINS9_10device_ptrIsEEEESE_PS5_SF_jNS0_19identity_decomposerENS1_16block_id_wrapperIjLb0EEEEE10hipError_tT1_PNSt15iterator_traitsISK_E10value_typeET2_T3_PNSL_ISQ_E10value_typeET4_T5_PSV_SW_PNS1_23onesweep_lookback_stateEbbT6_jjT7_P12ihipStream_tbENKUlT_T0_SK_SP_E_clIPsSE_SF_SF_EEDaS13_S14_SK_SP_EUlS13_E_NS1_11comp_targetILNS1_3genE6ELNS1_11target_archE950ELNS1_3gpuE13ELNS1_3repE0EEENS1_47radix_sort_onesweep_sort_config_static_selectorELNS0_4arch9wavefront6targetE1EEEvSK_, .Lfunc_end1996-_ZN7rocprim17ROCPRIM_400000_NS6detail17trampoline_kernelINS0_14default_configENS1_35radix_sort_onesweep_config_selectorIsNS0_10empty_typeEEEZZNS1_29radix_sort_onesweep_iterationIS3_Lb0EN6thrust23THRUST_200600_302600_NS6detail15normal_iteratorINS9_10device_ptrIsEEEESE_PS5_SF_jNS0_19identity_decomposerENS1_16block_id_wrapperIjLb0EEEEE10hipError_tT1_PNSt15iterator_traitsISK_E10value_typeET2_T3_PNSL_ISQ_E10value_typeET4_T5_PSV_SW_PNS1_23onesweep_lookback_stateEbbT6_jjT7_P12ihipStream_tbENKUlT_T0_SK_SP_E_clIPsSE_SF_SF_EEDaS13_S14_SK_SP_EUlS13_E_NS1_11comp_targetILNS1_3genE6ELNS1_11target_archE950ELNS1_3gpuE13ELNS1_3repE0EEENS1_47radix_sort_onesweep_sort_config_static_selectorELNS0_4arch9wavefront6targetE1EEEvSK_
                                        ; -- End function
	.section	.AMDGPU.csdata,"",@progbits
; Kernel info:
; codeLenInByte = 0
; NumSgprs: 6
; NumVgprs: 0
; NumAgprs: 0
; TotalNumVgprs: 0
; ScratchSize: 0
; MemoryBound: 0
; FloatMode: 240
; IeeeMode: 1
; LDSByteSize: 0 bytes/workgroup (compile time only)
; SGPRBlocks: 0
; VGPRBlocks: 0
; NumSGPRsForWavesPerEU: 6
; NumVGPRsForWavesPerEU: 1
; AccumOffset: 4
; Occupancy: 8
; WaveLimiterHint : 0
; COMPUTE_PGM_RSRC2:SCRATCH_EN: 0
; COMPUTE_PGM_RSRC2:USER_SGPR: 2
; COMPUTE_PGM_RSRC2:TRAP_HANDLER: 0
; COMPUTE_PGM_RSRC2:TGID_X_EN: 1
; COMPUTE_PGM_RSRC2:TGID_Y_EN: 0
; COMPUTE_PGM_RSRC2:TGID_Z_EN: 0
; COMPUTE_PGM_RSRC2:TIDIG_COMP_CNT: 0
; COMPUTE_PGM_RSRC3_GFX90A:ACCUM_OFFSET: 0
; COMPUTE_PGM_RSRC3_GFX90A:TG_SPLIT: 0
	.section	.text._ZN7rocprim17ROCPRIM_400000_NS6detail17trampoline_kernelINS0_14default_configENS1_35radix_sort_onesweep_config_selectorIsNS0_10empty_typeEEEZZNS1_29radix_sort_onesweep_iterationIS3_Lb0EN6thrust23THRUST_200600_302600_NS6detail15normal_iteratorINS9_10device_ptrIsEEEESE_PS5_SF_jNS0_19identity_decomposerENS1_16block_id_wrapperIjLb0EEEEE10hipError_tT1_PNSt15iterator_traitsISK_E10value_typeET2_T3_PNSL_ISQ_E10value_typeET4_T5_PSV_SW_PNS1_23onesweep_lookback_stateEbbT6_jjT7_P12ihipStream_tbENKUlT_T0_SK_SP_E_clIPsSE_SF_SF_EEDaS13_S14_SK_SP_EUlS13_E_NS1_11comp_targetILNS1_3genE5ELNS1_11target_archE942ELNS1_3gpuE9ELNS1_3repE0EEENS1_47radix_sort_onesweep_sort_config_static_selectorELNS0_4arch9wavefront6targetE1EEEvSK_,"axG",@progbits,_ZN7rocprim17ROCPRIM_400000_NS6detail17trampoline_kernelINS0_14default_configENS1_35radix_sort_onesweep_config_selectorIsNS0_10empty_typeEEEZZNS1_29radix_sort_onesweep_iterationIS3_Lb0EN6thrust23THRUST_200600_302600_NS6detail15normal_iteratorINS9_10device_ptrIsEEEESE_PS5_SF_jNS0_19identity_decomposerENS1_16block_id_wrapperIjLb0EEEEE10hipError_tT1_PNSt15iterator_traitsISK_E10value_typeET2_T3_PNSL_ISQ_E10value_typeET4_T5_PSV_SW_PNS1_23onesweep_lookback_stateEbbT6_jjT7_P12ihipStream_tbENKUlT_T0_SK_SP_E_clIPsSE_SF_SF_EEDaS13_S14_SK_SP_EUlS13_E_NS1_11comp_targetILNS1_3genE5ELNS1_11target_archE942ELNS1_3gpuE9ELNS1_3repE0EEENS1_47radix_sort_onesweep_sort_config_static_selectorELNS0_4arch9wavefront6targetE1EEEvSK_,comdat
	.protected	_ZN7rocprim17ROCPRIM_400000_NS6detail17trampoline_kernelINS0_14default_configENS1_35radix_sort_onesweep_config_selectorIsNS0_10empty_typeEEEZZNS1_29radix_sort_onesweep_iterationIS3_Lb0EN6thrust23THRUST_200600_302600_NS6detail15normal_iteratorINS9_10device_ptrIsEEEESE_PS5_SF_jNS0_19identity_decomposerENS1_16block_id_wrapperIjLb0EEEEE10hipError_tT1_PNSt15iterator_traitsISK_E10value_typeET2_T3_PNSL_ISQ_E10value_typeET4_T5_PSV_SW_PNS1_23onesweep_lookback_stateEbbT6_jjT7_P12ihipStream_tbENKUlT_T0_SK_SP_E_clIPsSE_SF_SF_EEDaS13_S14_SK_SP_EUlS13_E_NS1_11comp_targetILNS1_3genE5ELNS1_11target_archE942ELNS1_3gpuE9ELNS1_3repE0EEENS1_47radix_sort_onesweep_sort_config_static_selectorELNS0_4arch9wavefront6targetE1EEEvSK_ ; -- Begin function _ZN7rocprim17ROCPRIM_400000_NS6detail17trampoline_kernelINS0_14default_configENS1_35radix_sort_onesweep_config_selectorIsNS0_10empty_typeEEEZZNS1_29radix_sort_onesweep_iterationIS3_Lb0EN6thrust23THRUST_200600_302600_NS6detail15normal_iteratorINS9_10device_ptrIsEEEESE_PS5_SF_jNS0_19identity_decomposerENS1_16block_id_wrapperIjLb0EEEEE10hipError_tT1_PNSt15iterator_traitsISK_E10value_typeET2_T3_PNSL_ISQ_E10value_typeET4_T5_PSV_SW_PNS1_23onesweep_lookback_stateEbbT6_jjT7_P12ihipStream_tbENKUlT_T0_SK_SP_E_clIPsSE_SF_SF_EEDaS13_S14_SK_SP_EUlS13_E_NS1_11comp_targetILNS1_3genE5ELNS1_11target_archE942ELNS1_3gpuE9ELNS1_3repE0EEENS1_47radix_sort_onesweep_sort_config_static_selectorELNS0_4arch9wavefront6targetE1EEEvSK_
	.globl	_ZN7rocprim17ROCPRIM_400000_NS6detail17trampoline_kernelINS0_14default_configENS1_35radix_sort_onesweep_config_selectorIsNS0_10empty_typeEEEZZNS1_29radix_sort_onesweep_iterationIS3_Lb0EN6thrust23THRUST_200600_302600_NS6detail15normal_iteratorINS9_10device_ptrIsEEEESE_PS5_SF_jNS0_19identity_decomposerENS1_16block_id_wrapperIjLb0EEEEE10hipError_tT1_PNSt15iterator_traitsISK_E10value_typeET2_T3_PNSL_ISQ_E10value_typeET4_T5_PSV_SW_PNS1_23onesweep_lookback_stateEbbT6_jjT7_P12ihipStream_tbENKUlT_T0_SK_SP_E_clIPsSE_SF_SF_EEDaS13_S14_SK_SP_EUlS13_E_NS1_11comp_targetILNS1_3genE5ELNS1_11target_archE942ELNS1_3gpuE9ELNS1_3repE0EEENS1_47radix_sort_onesweep_sort_config_static_selectorELNS0_4arch9wavefront6targetE1EEEvSK_
	.p2align	8
	.type	_ZN7rocprim17ROCPRIM_400000_NS6detail17trampoline_kernelINS0_14default_configENS1_35radix_sort_onesweep_config_selectorIsNS0_10empty_typeEEEZZNS1_29radix_sort_onesweep_iterationIS3_Lb0EN6thrust23THRUST_200600_302600_NS6detail15normal_iteratorINS9_10device_ptrIsEEEESE_PS5_SF_jNS0_19identity_decomposerENS1_16block_id_wrapperIjLb0EEEEE10hipError_tT1_PNSt15iterator_traitsISK_E10value_typeET2_T3_PNSL_ISQ_E10value_typeET4_T5_PSV_SW_PNS1_23onesweep_lookback_stateEbbT6_jjT7_P12ihipStream_tbENKUlT_T0_SK_SP_E_clIPsSE_SF_SF_EEDaS13_S14_SK_SP_EUlS13_E_NS1_11comp_targetILNS1_3genE5ELNS1_11target_archE942ELNS1_3gpuE9ELNS1_3repE0EEENS1_47radix_sort_onesweep_sort_config_static_selectorELNS0_4arch9wavefront6targetE1EEEvSK_,@function
_ZN7rocprim17ROCPRIM_400000_NS6detail17trampoline_kernelINS0_14default_configENS1_35radix_sort_onesweep_config_selectorIsNS0_10empty_typeEEEZZNS1_29radix_sort_onesweep_iterationIS3_Lb0EN6thrust23THRUST_200600_302600_NS6detail15normal_iteratorINS9_10device_ptrIsEEEESE_PS5_SF_jNS0_19identity_decomposerENS1_16block_id_wrapperIjLb0EEEEE10hipError_tT1_PNSt15iterator_traitsISK_E10value_typeET2_T3_PNSL_ISQ_E10value_typeET4_T5_PSV_SW_PNS1_23onesweep_lookback_stateEbbT6_jjT7_P12ihipStream_tbENKUlT_T0_SK_SP_E_clIPsSE_SF_SF_EEDaS13_S14_SK_SP_EUlS13_E_NS1_11comp_targetILNS1_3genE5ELNS1_11target_archE942ELNS1_3gpuE9ELNS1_3repE0EEENS1_47radix_sort_onesweep_sort_config_static_selectorELNS0_4arch9wavefront6targetE1EEEvSK_: ; @_ZN7rocprim17ROCPRIM_400000_NS6detail17trampoline_kernelINS0_14default_configENS1_35radix_sort_onesweep_config_selectorIsNS0_10empty_typeEEEZZNS1_29radix_sort_onesweep_iterationIS3_Lb0EN6thrust23THRUST_200600_302600_NS6detail15normal_iteratorINS9_10device_ptrIsEEEESE_PS5_SF_jNS0_19identity_decomposerENS1_16block_id_wrapperIjLb0EEEEE10hipError_tT1_PNSt15iterator_traitsISK_E10value_typeET2_T3_PNSL_ISQ_E10value_typeET4_T5_PSV_SW_PNS1_23onesweep_lookback_stateEbbT6_jjT7_P12ihipStream_tbENKUlT_T0_SK_SP_E_clIPsSE_SF_SF_EEDaS13_S14_SK_SP_EUlS13_E_NS1_11comp_targetILNS1_3genE5ELNS1_11target_archE942ELNS1_3gpuE9ELNS1_3repE0EEENS1_47radix_sort_onesweep_sort_config_static_selectorELNS0_4arch9wavefront6targetE1EEEvSK_
; %bb.0:
	s_load_dwordx4 s[24:27], s[0:1], 0x44
	s_load_dwordx2 s[28:29], s[0:1], 0x38
	s_load_dwordx4 s[20:23], s[0:1], 0x0
	s_load_dwordx4 s[16:19], s[0:1], 0x28
	s_mul_i32 s30, s2, 0x3000
	s_waitcnt lgkmcnt(0)
	s_cmp_ge_u32 s2, s26
	v_mbcnt_lo_u32_b32 v1, -1, 0
	s_cbranch_scc0 .LBB1997_96
; %bb.1:
	s_load_dword s3, s[0:1], 0x20
	s_mul_i32 s6, s26, 0xffffd000
	s_mov_b32 s31, 0
	v_and_b32_e32 v10, 0x3ff, v0
	s_lshl_b64 s[4:5], s[30:31], 1
	s_waitcnt lgkmcnt(0)
	s_add_i32 s3, s3, s6
	v_mbcnt_hi_u32_b32 v11, -1, v1
	s_add_u32 s4, s20, s4
	v_and_b32_e32 v6, 63, v11
	v_and_b32_e32 v2, 0x3c0, v10
	s_addc_u32 s5, s21, s5
	v_mul_u32_u24_e32 v7, 12, v2
	v_lshlrev_b32_e32 v2, 1, v6
	v_mov_b32_e32 v3, 0
	v_lshl_add_u64 v[4:5], s[4:5], 0, v[2:3]
	s_mov_b32 s4, 0x7fff7fff
	v_lshlrev_b32_e32 v2, 1, v7
	s_mov_b32 s5, s4
	v_lshl_add_u64 v[12:13], v[4:5], 0, v[2:3]
	v_or_b32_e32 v14, v6, v7
	s_mov_b32 s6, s4
	s_mov_b32 s7, s4
	s_mov_b32 s8, s4
	s_mov_b32 s9, s4
	v_mov_b64_e32 v[2:3], s[4:5]
	v_cmp_gt_u32_e32 vcc, s3, v14
	v_mov_b64_e32 v[4:5], s[6:7]
	v_mov_b64_e32 v[6:7], s[8:9]
	;; [unrolled: 1-line block ×3, first 2 shown]
	s_and_saveexec_b64 s[4:5], vcc
	s_cbranch_execz .LBB1997_3
; %bb.2:
	global_load_ushort v2, v[12:13], off
	s_movk_i32 s6, 0x7fff
	v_mov_b32_e32 v7, 0x5040100
	v_mov_b32_e32 v3, 0x7fff7fff
	;; [unrolled: 1-line block ×5, first 2 shown]
	s_waitcnt vmcnt(0)
	v_perm_b32 v2, s6, v2, v7
	v_mov_b32_e32 v7, v3
.LBB1997_3:
	s_or_b64 exec, exec, s[4:5]
	v_or_b32_e32 v8, 64, v14
	v_cmp_gt_u32_e32 vcc, s3, v8
	s_and_saveexec_b64 s[4:5], vcc
	s_cbranch_execz .LBB1997_5
; %bb.4:
	global_load_ushort v8, v[12:13], off offset:128
	s_mov_b32 s6, 0x5040100
	s_waitcnt vmcnt(0)
	v_perm_b32 v2, v8, v2, s6
.LBB1997_5:
	s_or_b64 exec, exec, s[4:5]
	v_or_b32_e32 v8, 0x80, v14
	v_cmp_gt_u32_e32 vcc, s3, v8
	s_and_saveexec_b64 s[4:5], vcc
	s_cbranch_execz .LBB1997_7
; %bb.6:
	global_load_ushort v8, v[12:13], off offset:256
	s_mov_b32 s6, 0xffff
	s_waitcnt vmcnt(0)
	v_bfi_b32 v3, s6, v8, v3
.LBB1997_7:
	s_or_b64 exec, exec, s[4:5]
	v_or_b32_e32 v8, 0xc0, v14
	v_cmp_gt_u32_e32 vcc, s3, v8
	s_and_saveexec_b64 s[4:5], vcc
	s_cbranch_execz .LBB1997_9
; %bb.8:
	global_load_ushort v8, v[12:13], off offset:384
	s_mov_b32 s6, 0x5040100
	s_waitcnt vmcnt(0)
	v_perm_b32 v3, v8, v3, s6
.LBB1997_9:
	s_or_b64 exec, exec, s[4:5]
	v_add_u32_e32 v8, 0x100, v14
	v_cmp_gt_u32_e32 vcc, s3, v8
	s_and_saveexec_b64 s[4:5], vcc
	s_cbranch_execz .LBB1997_11
; %bb.10:
	global_load_ushort v8, v[12:13], off offset:512
	s_mov_b32 s6, 0xffff
	s_waitcnt vmcnt(0)
	v_bfi_b32 v4, s6, v8, v4
.LBB1997_11:
	s_or_b64 exec, exec, s[4:5]
	v_add_u32_e32 v8, 0x140, v14
	v_cmp_gt_u32_e32 vcc, s3, v8
	s_and_saveexec_b64 s[4:5], vcc
	s_cbranch_execz .LBB1997_13
; %bb.12:
	global_load_ushort v8, v[12:13], off offset:640
	s_mov_b32 s6, 0x5040100
	s_waitcnt vmcnt(0)
	v_perm_b32 v4, v8, v4, s6
.LBB1997_13:
	s_or_b64 exec, exec, s[4:5]
	v_add_u32_e32 v8, 0x180, v14
	v_cmp_gt_u32_e32 vcc, s3, v8
	s_and_saveexec_b64 s[4:5], vcc
	s_cbranch_execz .LBB1997_15
; %bb.14:
	global_load_ushort v8, v[12:13], off offset:768
	s_mov_b32 s6, 0xffff
	s_waitcnt vmcnt(0)
	v_bfi_b32 v5, s6, v8, v5
.LBB1997_15:
	s_or_b64 exec, exec, s[4:5]
	v_add_u32_e32 v8, 0x1c0, v14
	;; [unrolled: 22-line block ×4, first 2 shown]
	v_cmp_gt_u32_e32 vcc, s3, v8
	s_and_saveexec_b64 s[4:5], vcc
	s_cbranch_execz .LBB1997_25
; %bb.24:
	global_load_ushort v8, v[12:13], off offset:1408
	s_mov_b32 s6, 0x5040100
	s_waitcnt vmcnt(0)
	v_perm_b32 v7, v8, v7, s6
.LBB1997_25:
	s_or_b64 exec, exec, s[4:5]
	s_load_dword s4, s[0:1], 0x64
	s_load_dword s26, s[0:1], 0x58
	s_add_u32 s5, s0, 0x58
	s_addc_u32 s6, s1, 0
	v_mov_b32_e32 v9, 0
	s_waitcnt lgkmcnt(0)
	s_lshr_b32 s7, s4, 16
	s_cmp_lt_u32 s2, s26
	s_cselect_b32 s4, 12, 18
	s_add_u32 s4, s5, s4
	s_addc_u32 s5, s6, 0
	global_load_ushort v28, v9, s[4:5]
	v_xor_b32_e32 v14, 0xffff8000, v2
	s_lshl_b32 s4, -1, s25
	v_lshrrev_b32_sdwa v17, s24, v14 dst_sel:DWORD dst_unused:UNUSED_PAD src0_sel:DWORD src1_sel:WORD_0
	s_not_b32 s27, s4
	v_bfe_u32 v8, v0, 10, 10
	v_bfe_u32 v13, v0, 20, 10
	v_and_b32_e32 v30, s27, v17
	v_mul_u32_u24_e32 v12, 5, v10
	v_mad_u32_u24 v29, v13, s7, v8
	v_and_b32_e32 v8, 1, v30
	v_lshlrev_b32_e32 v13, 30, v30
	v_lshlrev_b32_e32 v15, 2, v12
	v_mov_b32_e32 v12, v9
	v_mov_b32_e32 v18, v9
	v_lshlrev_b32_e32 v17, 29, v30
	v_lshlrev_b32_e32 v19, 28, v30
	v_lshl_add_u64 v[26:27], v[8:9], 0, -1
	v_cmp_ne_u32_e32 vcc, 0, v8
	v_not_b32_e32 v8, v13
	v_mov_b32_e32 v16, v9
	v_mov_b32_e32 v20, v9
	v_lshlrev_b32_e32 v21, 27, v30
	v_cmp_gt_i64_e64 s[4:5], 0, v[12:13]
	v_not_b32_e32 v12, v17
	v_cmp_gt_i64_e64 s[8:9], 0, v[18:19]
	v_not_b32_e32 v13, v19
	v_xor_b32_e32 v19, vcc_hi, v27
	v_ashrrev_i32_e32 v8, 31, v8
	v_mov_b32_e32 v22, v9
	v_lshlrev_b32_e32 v23, 26, v30
	v_cmp_gt_i64_e64 s[6:7], 0, v[16:17]
	v_cmp_gt_i64_e64 s[10:11], 0, v[20:21]
	v_not_b32_e32 v16, v21
	v_xor_b32_e32 v20, vcc_lo, v26
	v_ashrrev_i32_e32 v12, 31, v12
	v_and_b32_e32 v19, exec_hi, v19
	v_xor_b32_e32 v21, s5, v8
	v_cmp_gt_i64_e64 s[12:13], 0, v[22:23]
	v_ashrrev_i32_e32 v13, 31, v13
	v_and_b32_e32 v20, exec_lo, v20
	v_xor_b32_e32 v8, s4, v8
	v_xor_b32_e32 v22, s7, v12
	v_and_b32_e32 v19, v19, v21
	v_mov_b32_e32 v24, v9
	v_lshlrev_b32_e32 v25, 25, v30
	v_not_b32_e32 v17, v23
	v_ashrrev_i32_e32 v16, 31, v16
	v_xor_b32_e32 v12, s6, v12
	v_xor_b32_e32 v23, s9, v13
	v_and_b32_e32 v8, v20, v8
	v_and_b32_e32 v19, v19, v22
	v_cmp_gt_i64_e64 s[14:15], 0, v[24:25]
	v_not_b32_e32 v18, v25
	v_ashrrev_i32_e32 v17, 31, v17
	v_xor_b32_e32 v24, s11, v16
	v_and_b32_e32 v8, v8, v12
	v_and_b32_e32 v12, v19, v23
	v_ashrrev_i32_e32 v18, 31, v18
	v_xor_b32_e32 v13, s8, v13
	v_xor_b32_e32 v25, s13, v17
	v_and_b32_e32 v12, v12, v24
	v_xor_b32_e32 v16, s10, v16
	v_xor_b32_e32 v26, s15, v18
	v_and_b32_e32 v8, v8, v13
	v_and_b32_e32 v12, v12, v25
	;; [unrolled: 1-line block ×4, first 2 shown]
	v_xor_b32_e32 v17, s12, v17
	v_xor_b32_e32 v18, s14, v18
	v_and_b32_e32 v8, v8, v17
	v_and_b32_e32 v8, v8, v18
	v_mul_u32_u24_e32 v31, 17, v30
	s_movk_i32 s31, 0x8000
	ds_write2_b32 v15, v9, v9 offset0:16 offset1:17
	ds_write2_b32 v15, v9, v9 offset0:18 offset1:19
	ds_write_b32 v15, v9 offset:80
	s_waitcnt lgkmcnt(0)
	s_barrier
	s_waitcnt lgkmcnt(0)
	; wave barrier
	s_waitcnt vmcnt(0)
	v_mad_u64_u32 v[12:13], s[4:5], v29, v28, v[10:11]
	v_lshrrev_b32_e32 v26, 6, v12
	v_lshlrev_b32_e32 v13, 24, v30
	v_mov_b32_e32 v12, v9
	v_cmp_gt_i64_e32 vcc, 0, v[12:13]
	v_not_b32_e32 v12, v13
	v_ashrrev_i32_e32 v12, 31, v12
	v_xor_b32_e32 v13, vcc_hi, v12
	v_xor_b32_e32 v12, vcc_lo, v12
	v_and_b32_e32 v12, v8, v12
	v_and_b32_e32 v13, v16, v13
	v_mbcnt_lo_u32_b32 v8, v12, 0
	v_mbcnt_hi_u32_b32 v16, v13, v8
	v_cmp_eq_u32_e32 vcc, 0, v16
	v_cmp_ne_u64_e64 s[4:5], 0, v[12:13]
	v_add_lshl_u32 v19, v26, v31, 2
	s_and_b64 s[6:7], s[4:5], vcc
	s_and_saveexec_b64 s[4:5], s[6:7]
	s_cbranch_execz .LBB1997_27
; %bb.26:
	v_bcnt_u32_b32 v8, v12, 0
	v_bcnt_u32_b32 v8, v13, v8
	ds_write_b32 v19, v8 offset:64
.LBB1997_27:
	s_or_b64 exec, exec, s[4:5]
	v_xor_b32_sdwa v17, v2, s31 dst_sel:DWORD dst_unused:UNUSED_PAD src0_sel:WORD_1 src1_sel:DWORD
	v_lshrrev_b32_sdwa v2, s24, v17 dst_sel:DWORD dst_unused:UNUSED_PAD src0_sel:DWORD src1_sel:WORD_0
	v_and_b32_e32 v2, s27, v2
	v_mul_u32_u24_e32 v8, 17, v2
	v_add_lshl_u32 v20, v26, v8, 2
	v_and_b32_e32 v8, 1, v2
	v_lshl_add_u64 v[12:13], v[8:9], 0, -1
	v_cmp_ne_u32_e32 vcc, 0, v8
	; wave barrier
	s_nop 1
	v_xor_b32_e32 v12, vcc_lo, v12
	v_xor_b32_e32 v8, vcc_hi, v13
	v_and_b32_e32 v21, exec_lo, v12
	v_lshlrev_b32_e32 v13, 30, v2
	v_mov_b32_e32 v12, v9
	v_cmp_gt_i64_e32 vcc, 0, v[12:13]
	v_not_b32_e32 v12, v13
	v_ashrrev_i32_e32 v12, 31, v12
	v_and_b32_e32 v8, exec_hi, v8
	v_xor_b32_e32 v13, vcc_hi, v12
	v_xor_b32_e32 v12, vcc_lo, v12
	v_and_b32_e32 v8, v8, v13
	v_and_b32_e32 v21, v21, v12
	v_lshlrev_b32_e32 v13, 29, v2
	v_mov_b32_e32 v12, v9
	v_cmp_gt_i64_e32 vcc, 0, v[12:13]
	v_not_b32_e32 v12, v13
	v_ashrrev_i32_e32 v12, 31, v12
	v_xor_b32_e32 v13, vcc_hi, v12
	v_xor_b32_e32 v12, vcc_lo, v12
	v_and_b32_e32 v8, v8, v13
	v_and_b32_e32 v21, v21, v12
	v_lshlrev_b32_e32 v13, 28, v2
	v_mov_b32_e32 v12, v9
	v_cmp_gt_i64_e32 vcc, 0, v[12:13]
	v_not_b32_e32 v12, v13
	v_ashrrev_i32_e32 v12, 31, v12
	;; [unrolled: 9-line block ×5, first 2 shown]
	v_xor_b32_e32 v13, vcc_hi, v12
	v_xor_b32_e32 v12, vcc_lo, v12
	v_and_b32_e32 v8, v8, v13
	v_lshlrev_b32_e32 v13, 24, v2
	v_and_b32_e32 v21, v21, v12
	v_mov_b32_e32 v12, v9
	v_not_b32_e32 v2, v13
	v_cmp_gt_i64_e32 vcc, 0, v[12:13]
	v_ashrrev_i32_e32 v2, 31, v2
	ds_read_b32 v18, v20 offset:64
	v_xor_b32_e32 v9, vcc_hi, v2
	v_xor_b32_e32 v2, vcc_lo, v2
	v_and_b32_e32 v9, v8, v9
	v_and_b32_e32 v8, v21, v2
	v_mbcnt_lo_u32_b32 v2, v8, 0
	v_mbcnt_hi_u32_b32 v21, v9, v2
	v_cmp_eq_u32_e32 vcc, 0, v21
	v_cmp_ne_u64_e64 s[4:5], 0, v[8:9]
	s_and_b64 s[6:7], s[4:5], vcc
	; wave barrier
	s_and_saveexec_b64 s[4:5], s[6:7]
	s_cbranch_execz .LBB1997_29
; %bb.28:
	v_bcnt_u32_b32 v2, v8, 0
	v_bcnt_u32_b32 v2, v9, v2
	s_waitcnt lgkmcnt(0)
	v_add_u32_e32 v2, v18, v2
	ds_write_b32 v20, v2 offset:64
.LBB1997_29:
	s_or_b64 exec, exec, s[4:5]
	v_xor_b32_e32 v22, 0xffff8000, v3
	v_lshrrev_b32_sdwa v2, s24, v22 dst_sel:DWORD dst_unused:UNUSED_PAD src0_sel:DWORD src1_sel:WORD_0
	v_and_b32_e32 v2, s27, v2
	v_mul_u32_u24_e32 v8, 17, v2
	v_add_lshl_u32 v24, v26, v8, 2
	v_and_b32_e32 v8, 1, v2
	v_mov_b32_e32 v9, 0
	v_lshl_add_u64 v[12:13], v[8:9], 0, -1
	v_cmp_ne_u32_e32 vcc, 0, v8
	; wave barrier
	s_nop 1
	v_xor_b32_e32 v12, vcc_lo, v12
	v_xor_b32_e32 v8, vcc_hi, v13
	v_and_b32_e32 v25, exec_lo, v12
	v_lshlrev_b32_e32 v13, 30, v2
	v_mov_b32_e32 v12, v9
	v_cmp_gt_i64_e32 vcc, 0, v[12:13]
	v_not_b32_e32 v12, v13
	v_ashrrev_i32_e32 v12, 31, v12
	v_and_b32_e32 v8, exec_hi, v8
	v_xor_b32_e32 v13, vcc_hi, v12
	v_xor_b32_e32 v12, vcc_lo, v12
	v_and_b32_e32 v8, v8, v13
	v_and_b32_e32 v25, v25, v12
	v_lshlrev_b32_e32 v13, 29, v2
	v_mov_b32_e32 v12, v9
	v_cmp_gt_i64_e32 vcc, 0, v[12:13]
	v_not_b32_e32 v12, v13
	v_ashrrev_i32_e32 v12, 31, v12
	v_xor_b32_e32 v13, vcc_hi, v12
	v_xor_b32_e32 v12, vcc_lo, v12
	v_and_b32_e32 v8, v8, v13
	v_and_b32_e32 v25, v25, v12
	v_lshlrev_b32_e32 v13, 28, v2
	v_mov_b32_e32 v12, v9
	v_cmp_gt_i64_e32 vcc, 0, v[12:13]
	v_not_b32_e32 v12, v13
	v_ashrrev_i32_e32 v12, 31, v12
	;; [unrolled: 9-line block ×5, first 2 shown]
	v_xor_b32_e32 v13, vcc_hi, v12
	v_xor_b32_e32 v12, vcc_lo, v12
	v_and_b32_e32 v8, v8, v13
	v_lshlrev_b32_e32 v13, 24, v2
	v_and_b32_e32 v25, v25, v12
	v_mov_b32_e32 v12, v9
	v_not_b32_e32 v2, v13
	v_cmp_gt_i64_e32 vcc, 0, v[12:13]
	v_ashrrev_i32_e32 v2, 31, v2
	ds_read_b32 v23, v24 offset:64
	v_xor_b32_e32 v12, vcc_hi, v2
	v_xor_b32_e32 v2, vcc_lo, v2
	v_and_b32_e32 v13, v8, v12
	v_and_b32_e32 v12, v25, v2
	v_mbcnt_lo_u32_b32 v2, v12, 0
	v_mbcnt_hi_u32_b32 v25, v13, v2
	v_cmp_eq_u32_e32 vcc, 0, v25
	v_cmp_ne_u64_e64 s[4:5], 0, v[12:13]
	s_movk_i32 s6, 0x8000
	s_and_b64 s[8:9], s[4:5], vcc
	; wave barrier
	s_and_saveexec_b64 s[4:5], s[8:9]
	s_cbranch_execz .LBB1997_31
; %bb.30:
	v_bcnt_u32_b32 v2, v12, 0
	v_bcnt_u32_b32 v2, v13, v2
	s_waitcnt lgkmcnt(0)
	v_add_u32_e32 v2, v23, v2
	ds_write_b32 v24, v2 offset:64
.LBB1997_31:
	s_or_b64 exec, exec, s[4:5]
	v_xor_b32_sdwa v12, v3, s6 dst_sel:DWORD dst_unused:UNUSED_PAD src0_sel:WORD_1 src1_sel:DWORD
	v_lshrrev_b32_sdwa v2, s24, v12 dst_sel:DWORD dst_unused:UNUSED_PAD src0_sel:DWORD src1_sel:WORD_0
	v_and_b32_e32 v28, s27, v2
	v_mul_u32_u24_e32 v2, 17, v28
	v_and_b32_e32 v8, 1, v28
	v_add_lshl_u32 v27, v26, v2, 2
	v_lshl_add_u64 v[2:3], v[8:9], 0, -1
	v_cmp_ne_u32_e32 vcc, 0, v8
	; wave barrier
	s_nop 1
	v_xor_b32_e32 v3, vcc_hi, v3
	v_xor_b32_e32 v2, vcc_lo, v2
	v_and_b32_e32 v8, exec_hi, v3
	v_and_b32_e32 v29, exec_lo, v2
	v_lshlrev_b32_e32 v3, 30, v28
	v_mov_b32_e32 v2, v9
	v_cmp_gt_i64_e32 vcc, 0, v[2:3]
	v_not_b32_e32 v2, v3
	v_ashrrev_i32_e32 v2, 31, v2
	v_xor_b32_e32 v3, vcc_hi, v2
	v_xor_b32_e32 v2, vcc_lo, v2
	v_and_b32_e32 v8, v8, v3
	v_and_b32_e32 v29, v29, v2
	v_lshlrev_b32_e32 v3, 29, v28
	v_mov_b32_e32 v2, v9
	v_cmp_gt_i64_e32 vcc, 0, v[2:3]
	v_not_b32_e32 v2, v3
	v_ashrrev_i32_e32 v2, 31, v2
	v_xor_b32_e32 v3, vcc_hi, v2
	v_xor_b32_e32 v2, vcc_lo, v2
	v_and_b32_e32 v8, v8, v3
	v_and_b32_e32 v29, v29, v2
	v_lshlrev_b32_e32 v3, 28, v28
	v_mov_b32_e32 v2, v9
	v_cmp_gt_i64_e32 vcc, 0, v[2:3]
	v_not_b32_e32 v2, v3
	v_ashrrev_i32_e32 v2, 31, v2
	v_xor_b32_e32 v3, vcc_hi, v2
	v_xor_b32_e32 v2, vcc_lo, v2
	v_and_b32_e32 v8, v8, v3
	v_and_b32_e32 v29, v29, v2
	v_lshlrev_b32_e32 v3, 27, v28
	v_mov_b32_e32 v2, v9
	v_cmp_gt_i64_e32 vcc, 0, v[2:3]
	v_not_b32_e32 v2, v3
	v_ashrrev_i32_e32 v2, 31, v2
	v_xor_b32_e32 v3, vcc_hi, v2
	v_xor_b32_e32 v2, vcc_lo, v2
	v_and_b32_e32 v8, v8, v3
	v_and_b32_e32 v29, v29, v2
	v_lshlrev_b32_e32 v3, 26, v28
	v_mov_b32_e32 v2, v9
	v_cmp_gt_i64_e32 vcc, 0, v[2:3]
	v_not_b32_e32 v2, v3
	v_ashrrev_i32_e32 v2, 31, v2
	v_xor_b32_e32 v3, vcc_hi, v2
	v_xor_b32_e32 v2, vcc_lo, v2
	v_and_b32_e32 v8, v8, v3
	v_and_b32_e32 v29, v29, v2
	v_lshlrev_b32_e32 v3, 25, v28
	v_mov_b32_e32 v2, v9
	v_cmp_gt_i64_e32 vcc, 0, v[2:3]
	v_not_b32_e32 v2, v3
	v_ashrrev_i32_e32 v2, 31, v2
	v_xor_b32_e32 v3, vcc_hi, v2
	v_xor_b32_e32 v2, vcc_lo, v2
	v_and_b32_e32 v8, v8, v3
	v_and_b32_e32 v29, v29, v2
	v_lshlrev_b32_e32 v3, 24, v28
	v_mov_b32_e32 v2, v9
	v_cmp_gt_i64_e32 vcc, 0, v[2:3]
	v_not_b32_e32 v2, v3
	v_ashrrev_i32_e32 v2, 31, v2
	v_xor_b32_e32 v3, vcc_hi, v2
	v_xor_b32_e32 v2, vcc_lo, v2
	ds_read_b32 v13, v27 offset:64
	v_and_b32_e32 v2, v29, v2
	v_and_b32_e32 v3, v8, v3
	v_mbcnt_lo_u32_b32 v8, v2, 0
	v_mbcnt_hi_u32_b32 v28, v3, v8
	v_cmp_eq_u32_e32 vcc, 0, v28
	v_cmp_ne_u64_e64 s[4:5], 0, v[2:3]
	s_and_b64 s[6:7], s[4:5], vcc
	; wave barrier
	s_and_saveexec_b64 s[4:5], s[6:7]
	s_cbranch_execz .LBB1997_33
; %bb.32:
	v_bcnt_u32_b32 v2, v2, 0
	v_bcnt_u32_b32 v2, v3, v2
	s_waitcnt lgkmcnt(0)
	v_add_u32_e32 v2, v13, v2
	ds_write_b32 v27, v2 offset:64
.LBB1997_33:
	s_or_b64 exec, exec, s[4:5]
	v_xor_b32_e32 v29, 0xffff8000, v4
	v_lshrrev_b32_sdwa v2, s24, v29 dst_sel:DWORD dst_unused:UNUSED_PAD src0_sel:DWORD src1_sel:WORD_0
	v_and_b32_e32 v32, s27, v2
	v_mul_u32_u24_e32 v2, 17, v32
	v_add_lshl_u32 v31, v26, v2, 2
	v_and_b32_e32 v2, 1, v32
	v_mov_b32_e32 v3, 0
	v_lshl_add_u64 v[8:9], v[2:3], 0, -1
	v_cmp_ne_u32_e32 vcc, 0, v2
	; wave barrier
	s_nop 1
	v_xor_b32_e32 v8, vcc_lo, v8
	v_xor_b32_e32 v2, vcc_hi, v9
	v_and_b32_e32 v33, exec_lo, v8
	v_lshlrev_b32_e32 v9, 30, v32
	v_mov_b32_e32 v8, v3
	v_cmp_gt_i64_e32 vcc, 0, v[8:9]
	v_not_b32_e32 v8, v9
	v_ashrrev_i32_e32 v8, 31, v8
	v_and_b32_e32 v2, exec_hi, v2
	v_xor_b32_e32 v9, vcc_hi, v8
	v_xor_b32_e32 v8, vcc_lo, v8
	v_and_b32_e32 v2, v2, v9
	v_and_b32_e32 v33, v33, v8
	v_lshlrev_b32_e32 v9, 29, v32
	v_mov_b32_e32 v8, v3
	v_cmp_gt_i64_e32 vcc, 0, v[8:9]
	v_not_b32_e32 v8, v9
	v_ashrrev_i32_e32 v8, 31, v8
	v_xor_b32_e32 v9, vcc_hi, v8
	v_xor_b32_e32 v8, vcc_lo, v8
	v_and_b32_e32 v2, v2, v9
	v_and_b32_e32 v33, v33, v8
	v_lshlrev_b32_e32 v9, 28, v32
	v_mov_b32_e32 v8, v3
	v_cmp_gt_i64_e32 vcc, 0, v[8:9]
	v_not_b32_e32 v8, v9
	v_ashrrev_i32_e32 v8, 31, v8
	;; [unrolled: 9-line block ×6, first 2 shown]
	v_xor_b32_e32 v9, vcc_hi, v8
	v_xor_b32_e32 v8, vcc_lo, v8
	ds_read_b32 v30, v31 offset:64
	v_and_b32_e32 v8, v33, v8
	v_and_b32_e32 v9, v2, v9
	v_mbcnt_lo_u32_b32 v2, v8, 0
	v_mbcnt_hi_u32_b32 v33, v9, v2
	v_cmp_eq_u32_e32 vcc, 0, v33
	v_cmp_ne_u64_e64 s[4:5], 0, v[8:9]
	s_movk_i32 s6, 0x8000
	s_and_b64 s[8:9], s[4:5], vcc
	; wave barrier
	s_and_saveexec_b64 s[4:5], s[8:9]
	s_cbranch_execz .LBB1997_35
; %bb.34:
	v_bcnt_u32_b32 v2, v8, 0
	v_bcnt_u32_b32 v2, v9, v2
	s_waitcnt lgkmcnt(0)
	v_add_u32_e32 v2, v30, v2
	ds_write_b32 v31, v2 offset:64
.LBB1997_35:
	s_or_b64 exec, exec, s[4:5]
	v_xor_b32_sdwa v32, v4, s6 dst_sel:DWORD dst_unused:UNUSED_PAD src0_sel:WORD_1 src1_sel:DWORD
	v_lshrrev_b32_sdwa v2, s24, v32 dst_sel:DWORD dst_unused:UNUSED_PAD src0_sel:DWORD src1_sel:WORD_0
	v_and_b32_e32 v4, s27, v2
	v_mul_u32_u24_e32 v2, 17, v4
	v_add_lshl_u32 v35, v26, v2, 2
	v_and_b32_e32 v2, 1, v4
	v_lshl_add_u64 v[8:9], v[2:3], 0, -1
	v_cmp_ne_u32_e32 vcc, 0, v2
	; wave barrier
	s_nop 1
	v_xor_b32_e32 v8, vcc_lo, v8
	v_xor_b32_e32 v2, vcc_hi, v9
	v_and_b32_e32 v36, exec_lo, v8
	v_lshlrev_b32_e32 v9, 30, v4
	v_mov_b32_e32 v8, v3
	v_cmp_gt_i64_e32 vcc, 0, v[8:9]
	v_not_b32_e32 v8, v9
	v_ashrrev_i32_e32 v8, 31, v8
	v_and_b32_e32 v2, exec_hi, v2
	v_xor_b32_e32 v9, vcc_hi, v8
	v_xor_b32_e32 v8, vcc_lo, v8
	v_and_b32_e32 v2, v2, v9
	v_and_b32_e32 v36, v36, v8
	v_lshlrev_b32_e32 v9, 29, v4
	v_mov_b32_e32 v8, v3
	v_cmp_gt_i64_e32 vcc, 0, v[8:9]
	v_not_b32_e32 v8, v9
	v_ashrrev_i32_e32 v8, 31, v8
	v_xor_b32_e32 v9, vcc_hi, v8
	v_xor_b32_e32 v8, vcc_lo, v8
	v_and_b32_e32 v2, v2, v9
	v_and_b32_e32 v36, v36, v8
	v_lshlrev_b32_e32 v9, 28, v4
	v_mov_b32_e32 v8, v3
	v_cmp_gt_i64_e32 vcc, 0, v[8:9]
	v_not_b32_e32 v8, v9
	v_ashrrev_i32_e32 v8, 31, v8
	;; [unrolled: 9-line block ×5, first 2 shown]
	v_xor_b32_e32 v9, vcc_hi, v8
	v_xor_b32_e32 v8, vcc_lo, v8
	v_and_b32_e32 v2, v2, v9
	v_lshlrev_b32_e32 v9, 24, v4
	v_and_b32_e32 v36, v36, v8
	v_mov_b32_e32 v8, v3
	v_not_b32_e32 v3, v9
	v_cmp_gt_i64_e32 vcc, 0, v[8:9]
	v_ashrrev_i32_e32 v3, 31, v3
	ds_read_b32 v34, v35 offset:64
	v_xor_b32_e32 v4, vcc_hi, v3
	v_xor_b32_e32 v8, vcc_lo, v3
	v_and_b32_e32 v3, v2, v4
	v_and_b32_e32 v2, v36, v8
	v_mbcnt_lo_u32_b32 v4, v2, 0
	v_mbcnt_hi_u32_b32 v37, v3, v4
	v_cmp_eq_u32_e32 vcc, 0, v37
	v_cmp_ne_u64_e64 s[4:5], 0, v[2:3]
	s_and_b64 s[6:7], s[4:5], vcc
	; wave barrier
	s_and_saveexec_b64 s[4:5], s[6:7]
	s_cbranch_execz .LBB1997_37
; %bb.36:
	v_bcnt_u32_b32 v2, v2, 0
	v_bcnt_u32_b32 v2, v3, v2
	s_waitcnt lgkmcnt(0)
	v_add_u32_e32 v2, v34, v2
	ds_write_b32 v35, v2 offset:64
.LBB1997_37:
	s_or_b64 exec, exec, s[4:5]
	v_xor_b32_e32 v36, 0xffff8000, v5
	v_lshrrev_b32_sdwa v2, s24, v36 dst_sel:DWORD dst_unused:UNUSED_PAD src0_sel:DWORD src1_sel:WORD_0
	v_and_b32_e32 v4, s27, v2
	v_mul_u32_u24_e32 v2, 17, v4
	v_add_lshl_u32 v39, v26, v2, 2
	v_and_b32_e32 v2, 1, v4
	v_mov_b32_e32 v3, 0
	v_lshl_add_u64 v[8:9], v[2:3], 0, -1
	v_cmp_ne_u32_e32 vcc, 0, v2
	; wave barrier
	s_nop 1
	v_xor_b32_e32 v8, vcc_lo, v8
	v_xor_b32_e32 v2, vcc_hi, v9
	v_and_b32_e32 v40, exec_lo, v8
	v_lshlrev_b32_e32 v9, 30, v4
	v_mov_b32_e32 v8, v3
	v_cmp_gt_i64_e32 vcc, 0, v[8:9]
	v_not_b32_e32 v8, v9
	v_ashrrev_i32_e32 v8, 31, v8
	v_and_b32_e32 v2, exec_hi, v2
	v_xor_b32_e32 v9, vcc_hi, v8
	v_xor_b32_e32 v8, vcc_lo, v8
	v_and_b32_e32 v2, v2, v9
	v_and_b32_e32 v40, v40, v8
	v_lshlrev_b32_e32 v9, 29, v4
	v_mov_b32_e32 v8, v3
	v_cmp_gt_i64_e32 vcc, 0, v[8:9]
	v_not_b32_e32 v8, v9
	v_ashrrev_i32_e32 v8, 31, v8
	v_xor_b32_e32 v9, vcc_hi, v8
	v_xor_b32_e32 v8, vcc_lo, v8
	v_and_b32_e32 v2, v2, v9
	v_and_b32_e32 v40, v40, v8
	v_lshlrev_b32_e32 v9, 28, v4
	v_mov_b32_e32 v8, v3
	v_cmp_gt_i64_e32 vcc, 0, v[8:9]
	v_not_b32_e32 v8, v9
	v_ashrrev_i32_e32 v8, 31, v8
	;; [unrolled: 9-line block ×5, first 2 shown]
	v_xor_b32_e32 v9, vcc_hi, v8
	v_xor_b32_e32 v8, vcc_lo, v8
	v_and_b32_e32 v2, v2, v9
	v_lshlrev_b32_e32 v9, 24, v4
	v_and_b32_e32 v40, v40, v8
	v_mov_b32_e32 v8, v3
	v_not_b32_e32 v4, v9
	v_cmp_gt_i64_e32 vcc, 0, v[8:9]
	v_ashrrev_i32_e32 v4, 31, v4
	ds_read_b32 v38, v39 offset:64
	v_xor_b32_e32 v8, vcc_hi, v4
	v_xor_b32_e32 v4, vcc_lo, v4
	v_and_b32_e32 v9, v2, v8
	v_and_b32_e32 v8, v40, v4
	v_mbcnt_lo_u32_b32 v2, v8, 0
	v_mbcnt_hi_u32_b32 v40, v9, v2
	v_cmp_eq_u32_e32 vcc, 0, v40
	v_cmp_ne_u64_e64 s[4:5], 0, v[8:9]
	s_movk_i32 s6, 0x8000
	s_and_b64 s[8:9], s[4:5], vcc
	; wave barrier
	s_and_saveexec_b64 s[4:5], s[8:9]
	s_cbranch_execz .LBB1997_39
; %bb.38:
	v_bcnt_u32_b32 v2, v8, 0
	v_bcnt_u32_b32 v2, v9, v2
	s_waitcnt lgkmcnt(0)
	v_add_u32_e32 v2, v38, v2
	ds_write_b32 v39, v2 offset:64
.LBB1997_39:
	s_or_b64 exec, exec, s[4:5]
	v_xor_b32_sdwa v8, v5, s6 dst_sel:DWORD dst_unused:UNUSED_PAD src0_sel:WORD_1 src1_sel:DWORD
	v_lshrrev_b32_sdwa v2, s24, v8 dst_sel:DWORD dst_unused:UNUSED_PAD src0_sel:DWORD src1_sel:WORD_0
	v_and_b32_e32 v42, s27, v2
	v_mul_u32_u24_e32 v2, 17, v42
	v_add_lshl_u32 v41, v26, v2, 2
	v_and_b32_e32 v2, 1, v42
	v_lshl_add_u64 v[4:5], v[2:3], 0, -1
	v_cmp_ne_u32_e32 vcc, 0, v2
	; wave barrier
	s_nop 1
	v_xor_b32_e32 v4, vcc_lo, v4
	v_xor_b32_e32 v2, vcc_hi, v5
	v_and_b32_e32 v43, exec_lo, v4
	v_lshlrev_b32_e32 v5, 30, v42
	v_mov_b32_e32 v4, v3
	v_cmp_gt_i64_e32 vcc, 0, v[4:5]
	v_not_b32_e32 v4, v5
	v_ashrrev_i32_e32 v4, 31, v4
	v_and_b32_e32 v2, exec_hi, v2
	v_xor_b32_e32 v5, vcc_hi, v4
	v_xor_b32_e32 v4, vcc_lo, v4
	v_and_b32_e32 v2, v2, v5
	v_and_b32_e32 v43, v43, v4
	v_lshlrev_b32_e32 v5, 29, v42
	v_mov_b32_e32 v4, v3
	v_cmp_gt_i64_e32 vcc, 0, v[4:5]
	v_not_b32_e32 v4, v5
	v_ashrrev_i32_e32 v4, 31, v4
	v_xor_b32_e32 v5, vcc_hi, v4
	v_xor_b32_e32 v4, vcc_lo, v4
	v_and_b32_e32 v2, v2, v5
	v_and_b32_e32 v43, v43, v4
	v_lshlrev_b32_e32 v5, 28, v42
	v_mov_b32_e32 v4, v3
	v_cmp_gt_i64_e32 vcc, 0, v[4:5]
	v_not_b32_e32 v4, v5
	v_ashrrev_i32_e32 v4, 31, v4
	;; [unrolled: 9-line block ×5, first 2 shown]
	v_xor_b32_e32 v5, vcc_hi, v4
	v_xor_b32_e32 v4, vcc_lo, v4
	v_and_b32_e32 v2, v2, v5
	v_lshlrev_b32_e32 v5, 24, v42
	v_and_b32_e32 v43, v43, v4
	v_mov_b32_e32 v4, v3
	v_not_b32_e32 v3, v5
	v_cmp_gt_i64_e32 vcc, 0, v[4:5]
	v_ashrrev_i32_e32 v3, 31, v3
	ds_read_b32 v9, v41 offset:64
	v_xor_b32_e32 v4, vcc_hi, v3
	v_xor_b32_e32 v5, vcc_lo, v3
	v_and_b32_e32 v3, v2, v4
	v_and_b32_e32 v2, v43, v5
	v_mbcnt_lo_u32_b32 v4, v2, 0
	v_mbcnt_hi_u32_b32 v43, v3, v4
	v_cmp_eq_u32_e32 vcc, 0, v43
	v_cmp_ne_u64_e64 s[4:5], 0, v[2:3]
	s_and_b64 s[6:7], s[4:5], vcc
	; wave barrier
	s_and_saveexec_b64 s[4:5], s[6:7]
	s_cbranch_execz .LBB1997_41
; %bb.40:
	v_bcnt_u32_b32 v2, v2, 0
	v_bcnt_u32_b32 v2, v3, v2
	s_waitcnt lgkmcnt(0)
	v_add_u32_e32 v2, v9, v2
	ds_write_b32 v41, v2 offset:64
.LBB1997_41:
	s_or_b64 exec, exec, s[4:5]
	v_xor_b32_e32 v42, 0xffff8000, v6
	v_lshrrev_b32_sdwa v2, s24, v42 dst_sel:DWORD dst_unused:UNUSED_PAD src0_sel:DWORD src1_sel:WORD_0
	v_and_b32_e32 v46, s27, v2
	v_mul_u32_u24_e32 v2, 17, v46
	v_add_lshl_u32 v45, v26, v2, 2
	v_and_b32_e32 v2, 1, v46
	v_mov_b32_e32 v3, 0
	v_lshl_add_u64 v[4:5], v[2:3], 0, -1
	v_cmp_ne_u32_e32 vcc, 0, v2
	; wave barrier
	s_nop 1
	v_xor_b32_e32 v4, vcc_lo, v4
	v_xor_b32_e32 v2, vcc_hi, v5
	v_and_b32_e32 v47, exec_lo, v4
	v_lshlrev_b32_e32 v5, 30, v46
	v_mov_b32_e32 v4, v3
	v_cmp_gt_i64_e32 vcc, 0, v[4:5]
	v_not_b32_e32 v4, v5
	v_ashrrev_i32_e32 v4, 31, v4
	v_and_b32_e32 v2, exec_hi, v2
	v_xor_b32_e32 v5, vcc_hi, v4
	v_xor_b32_e32 v4, vcc_lo, v4
	v_and_b32_e32 v2, v2, v5
	v_and_b32_e32 v47, v47, v4
	v_lshlrev_b32_e32 v5, 29, v46
	v_mov_b32_e32 v4, v3
	v_cmp_gt_i64_e32 vcc, 0, v[4:5]
	v_not_b32_e32 v4, v5
	v_ashrrev_i32_e32 v4, 31, v4
	v_xor_b32_e32 v5, vcc_hi, v4
	v_xor_b32_e32 v4, vcc_lo, v4
	v_and_b32_e32 v2, v2, v5
	v_and_b32_e32 v47, v47, v4
	v_lshlrev_b32_e32 v5, 28, v46
	v_mov_b32_e32 v4, v3
	v_cmp_gt_i64_e32 vcc, 0, v[4:5]
	v_not_b32_e32 v4, v5
	v_ashrrev_i32_e32 v4, 31, v4
	;; [unrolled: 9-line block ×6, first 2 shown]
	v_xor_b32_e32 v5, vcc_hi, v4
	v_xor_b32_e32 v4, vcc_lo, v4
	ds_read_b32 v44, v45 offset:64
	v_and_b32_e32 v4, v47, v4
	v_and_b32_e32 v5, v2, v5
	v_mbcnt_lo_u32_b32 v2, v4, 0
	v_mbcnt_hi_u32_b32 v46, v5, v2
	v_cmp_eq_u32_e32 vcc, 0, v46
	v_cmp_ne_u64_e64 s[4:5], 0, v[4:5]
	s_movk_i32 s6, 0x8000
	s_and_b64 s[8:9], s[4:5], vcc
	; wave barrier
	s_and_saveexec_b64 s[4:5], s[8:9]
	s_cbranch_execz .LBB1997_43
; %bb.42:
	v_bcnt_u32_b32 v2, v4, 0
	v_bcnt_u32_b32 v2, v5, v2
	s_waitcnt lgkmcnt(0)
	v_add_u32_e32 v2, v44, v2
	ds_write_b32 v45, v2 offset:64
.LBB1997_43:
	s_or_b64 exec, exec, s[4:5]
	v_xor_b32_sdwa v6, v6, s6 dst_sel:DWORD dst_unused:UNUSED_PAD src0_sel:WORD_1 src1_sel:DWORD
	v_lshrrev_b32_sdwa v2, s24, v6 dst_sel:DWORD dst_unused:UNUSED_PAD src0_sel:DWORD src1_sel:WORD_0
	v_and_b32_e32 v49, s27, v2
	v_mul_u32_u24_e32 v2, 17, v49
	v_add_lshl_u32 v48, v26, v2, 2
	v_and_b32_e32 v2, 1, v49
	v_lshl_add_u64 v[4:5], v[2:3], 0, -1
	v_cmp_ne_u32_e32 vcc, 0, v2
	; wave barrier
	s_nop 1
	v_xor_b32_e32 v4, vcc_lo, v4
	v_xor_b32_e32 v2, vcc_hi, v5
	v_and_b32_e32 v50, exec_lo, v4
	v_lshlrev_b32_e32 v5, 30, v49
	v_mov_b32_e32 v4, v3
	v_cmp_gt_i64_e32 vcc, 0, v[4:5]
	v_not_b32_e32 v4, v5
	v_ashrrev_i32_e32 v4, 31, v4
	v_and_b32_e32 v2, exec_hi, v2
	v_xor_b32_e32 v5, vcc_hi, v4
	v_xor_b32_e32 v4, vcc_lo, v4
	v_and_b32_e32 v2, v2, v5
	v_and_b32_e32 v50, v50, v4
	v_lshlrev_b32_e32 v5, 29, v49
	v_mov_b32_e32 v4, v3
	v_cmp_gt_i64_e32 vcc, 0, v[4:5]
	v_not_b32_e32 v4, v5
	v_ashrrev_i32_e32 v4, 31, v4
	v_xor_b32_e32 v5, vcc_hi, v4
	v_xor_b32_e32 v4, vcc_lo, v4
	v_and_b32_e32 v2, v2, v5
	v_and_b32_e32 v50, v50, v4
	v_lshlrev_b32_e32 v5, 28, v49
	v_mov_b32_e32 v4, v3
	v_cmp_gt_i64_e32 vcc, 0, v[4:5]
	v_not_b32_e32 v4, v5
	v_ashrrev_i32_e32 v4, 31, v4
	v_xor_b32_e32 v5, vcc_hi, v4
	v_xor_b32_e32 v4, vcc_lo, v4
	v_and_b32_e32 v2, v2, v5
	v_and_b32_e32 v50, v50, v4
	v_lshlrev_b32_e32 v5, 27, v49
	v_mov_b32_e32 v4, v3
	v_cmp_gt_i64_e32 vcc, 0, v[4:5]
	v_not_b32_e32 v4, v5
	v_ashrrev_i32_e32 v4, 31, v4
	v_xor_b32_e32 v5, vcc_hi, v4
	v_xor_b32_e32 v4, vcc_lo, v4
	v_and_b32_e32 v2, v2, v5
	v_and_b32_e32 v50, v50, v4
	v_lshlrev_b32_e32 v5, 26, v49
	v_mov_b32_e32 v4, v3
	v_cmp_gt_i64_e32 vcc, 0, v[4:5]
	v_not_b32_e32 v4, v5
	v_ashrrev_i32_e32 v4, 31, v4
	v_xor_b32_e32 v5, vcc_hi, v4
	v_xor_b32_e32 v4, vcc_lo, v4
	v_and_b32_e32 v2, v2, v5
	v_and_b32_e32 v50, v50, v4
	v_lshlrev_b32_e32 v5, 25, v49
	v_mov_b32_e32 v4, v3
	v_cmp_gt_i64_e32 vcc, 0, v[4:5]
	v_not_b32_e32 v4, v5
	v_ashrrev_i32_e32 v4, 31, v4
	v_xor_b32_e32 v5, vcc_hi, v4
	v_xor_b32_e32 v4, vcc_lo, v4
	v_and_b32_e32 v2, v2, v5
	v_lshlrev_b32_e32 v5, 24, v49
	v_and_b32_e32 v50, v50, v4
	v_mov_b32_e32 v4, v3
	v_not_b32_e32 v3, v5
	v_cmp_gt_i64_e32 vcc, 0, v[4:5]
	v_ashrrev_i32_e32 v3, 31, v3
	ds_read_b32 v47, v48 offset:64
	v_xor_b32_e32 v4, vcc_hi, v3
	v_xor_b32_e32 v5, vcc_lo, v3
	v_and_b32_e32 v3, v2, v4
	v_and_b32_e32 v2, v50, v5
	v_mbcnt_lo_u32_b32 v4, v2, 0
	v_mbcnt_hi_u32_b32 v50, v3, v4
	v_cmp_eq_u32_e32 vcc, 0, v50
	v_cmp_ne_u64_e64 s[4:5], 0, v[2:3]
	s_and_b64 s[6:7], s[4:5], vcc
	; wave barrier
	s_and_saveexec_b64 s[4:5], s[6:7]
	s_cbranch_execz .LBB1997_45
; %bb.44:
	v_bcnt_u32_b32 v2, v2, 0
	v_bcnt_u32_b32 v2, v3, v2
	s_waitcnt lgkmcnt(0)
	v_add_u32_e32 v2, v47, v2
	ds_write_b32 v48, v2 offset:64
.LBB1997_45:
	s_or_b64 exec, exec, s[4:5]
	v_xor_b32_e32 v49, 0xffff8000, v7
	v_lshrrev_b32_sdwa v2, s24, v49 dst_sel:DWORD dst_unused:UNUSED_PAD src0_sel:DWORD src1_sel:WORD_0
	v_and_b32_e32 v53, s27, v2
	v_mul_u32_u24_e32 v2, 17, v53
	v_add_lshl_u32 v52, v26, v2, 2
	v_and_b32_e32 v2, 1, v53
	v_mov_b32_e32 v3, 0
	v_lshl_add_u64 v[4:5], v[2:3], 0, -1
	v_cmp_ne_u32_e32 vcc, 0, v2
	; wave barrier
	s_nop 1
	v_xor_b32_e32 v4, vcc_lo, v4
	v_xor_b32_e32 v2, vcc_hi, v5
	v_and_b32_e32 v54, exec_lo, v4
	v_lshlrev_b32_e32 v5, 30, v53
	v_mov_b32_e32 v4, v3
	v_cmp_gt_i64_e32 vcc, 0, v[4:5]
	v_not_b32_e32 v4, v5
	v_ashrrev_i32_e32 v4, 31, v4
	v_and_b32_e32 v2, exec_hi, v2
	v_xor_b32_e32 v5, vcc_hi, v4
	v_xor_b32_e32 v4, vcc_lo, v4
	v_and_b32_e32 v2, v2, v5
	v_and_b32_e32 v54, v54, v4
	v_lshlrev_b32_e32 v5, 29, v53
	v_mov_b32_e32 v4, v3
	v_cmp_gt_i64_e32 vcc, 0, v[4:5]
	v_not_b32_e32 v4, v5
	v_ashrrev_i32_e32 v4, 31, v4
	v_xor_b32_e32 v5, vcc_hi, v4
	v_xor_b32_e32 v4, vcc_lo, v4
	v_and_b32_e32 v2, v2, v5
	v_and_b32_e32 v54, v54, v4
	v_lshlrev_b32_e32 v5, 28, v53
	v_mov_b32_e32 v4, v3
	v_cmp_gt_i64_e32 vcc, 0, v[4:5]
	v_not_b32_e32 v4, v5
	v_ashrrev_i32_e32 v4, 31, v4
	v_xor_b32_e32 v5, vcc_hi, v4
	v_xor_b32_e32 v4, vcc_lo, v4
	v_and_b32_e32 v2, v2, v5
	v_and_b32_e32 v54, v54, v4
	v_lshlrev_b32_e32 v5, 27, v53
	v_mov_b32_e32 v4, v3
	v_cmp_gt_i64_e32 vcc, 0, v[4:5]
	v_not_b32_e32 v4, v5
	v_ashrrev_i32_e32 v4, 31, v4
	v_xor_b32_e32 v5, vcc_hi, v4
	v_xor_b32_e32 v4, vcc_lo, v4
	v_and_b32_e32 v2, v2, v5
	v_and_b32_e32 v54, v54, v4
	v_lshlrev_b32_e32 v5, 26, v53
	v_mov_b32_e32 v4, v3
	v_cmp_gt_i64_e32 vcc, 0, v[4:5]
	v_not_b32_e32 v4, v5
	v_ashrrev_i32_e32 v4, 31, v4
	v_xor_b32_e32 v5, vcc_hi, v4
	v_xor_b32_e32 v4, vcc_lo, v4
	v_and_b32_e32 v2, v2, v5
	v_and_b32_e32 v54, v54, v4
	v_lshlrev_b32_e32 v5, 25, v53
	v_mov_b32_e32 v4, v3
	v_cmp_gt_i64_e32 vcc, 0, v[4:5]
	v_not_b32_e32 v4, v5
	v_ashrrev_i32_e32 v4, 31, v4
	v_xor_b32_e32 v5, vcc_hi, v4
	v_xor_b32_e32 v4, vcc_lo, v4
	v_and_b32_e32 v2, v2, v5
	v_and_b32_e32 v54, v54, v4
	v_lshlrev_b32_e32 v5, 24, v53
	v_mov_b32_e32 v4, v3
	v_cmp_gt_i64_e32 vcc, 0, v[4:5]
	v_not_b32_e32 v4, v5
	v_ashrrev_i32_e32 v4, 31, v4
	v_xor_b32_e32 v5, vcc_hi, v4
	v_xor_b32_e32 v4, vcc_lo, v4
	ds_read_b32 v51, v52 offset:64
	v_and_b32_e32 v4, v54, v4
	v_and_b32_e32 v5, v2, v5
	v_mbcnt_lo_u32_b32 v2, v4, 0
	v_mbcnt_hi_u32_b32 v53, v5, v2
	v_cmp_eq_u32_e32 vcc, 0, v53
	v_cmp_ne_u64_e64 s[4:5], 0, v[4:5]
	s_movk_i32 s6, 0x8000
	s_and_b64 s[8:9], s[4:5], vcc
	; wave barrier
	s_and_saveexec_b64 s[4:5], s[8:9]
	s_cbranch_execz .LBB1997_47
; %bb.46:
	v_bcnt_u32_b32 v2, v4, 0
	v_bcnt_u32_b32 v2, v5, v2
	s_waitcnt lgkmcnt(0)
	v_add_u32_e32 v2, v51, v2
	ds_write_b32 v52, v2 offset:64
.LBB1997_47:
	s_or_b64 exec, exec, s[4:5]
	v_xor_b32_sdwa v7, v7, s6 dst_sel:DWORD dst_unused:UNUSED_PAD src0_sel:WORD_1 src1_sel:DWORD
	v_lshrrev_b32_sdwa v2, s24, v7 dst_sel:DWORD dst_unused:UNUSED_PAD src0_sel:DWORD src1_sel:WORD_0
	v_and_b32_e32 v54, s27, v2
	v_mul_u32_u24_e32 v2, 17, v54
	v_add_lshl_u32 v55, v26, v2, 2
	v_and_b32_e32 v2, 1, v54
	v_lshl_add_u64 v[4:5], v[2:3], 0, -1
	v_cmp_ne_u32_e32 vcc, 0, v2
	; wave barrier
	s_nop 1
	v_xor_b32_e32 v4, vcc_lo, v4
	v_xor_b32_e32 v2, vcc_hi, v5
	v_and_b32_e32 v57, exec_lo, v4
	v_lshlrev_b32_e32 v5, 30, v54
	v_mov_b32_e32 v4, v3
	v_cmp_gt_i64_e32 vcc, 0, v[4:5]
	v_not_b32_e32 v4, v5
	v_ashrrev_i32_e32 v4, 31, v4
	v_and_b32_e32 v2, exec_hi, v2
	v_xor_b32_e32 v5, vcc_hi, v4
	v_xor_b32_e32 v4, vcc_lo, v4
	v_and_b32_e32 v2, v2, v5
	v_and_b32_e32 v57, v57, v4
	v_lshlrev_b32_e32 v5, 29, v54
	v_mov_b32_e32 v4, v3
	v_cmp_gt_i64_e32 vcc, 0, v[4:5]
	v_not_b32_e32 v4, v5
	v_ashrrev_i32_e32 v4, 31, v4
	v_xor_b32_e32 v5, vcc_hi, v4
	v_xor_b32_e32 v4, vcc_lo, v4
	v_and_b32_e32 v2, v2, v5
	v_and_b32_e32 v57, v57, v4
	v_lshlrev_b32_e32 v5, 28, v54
	v_mov_b32_e32 v4, v3
	v_cmp_gt_i64_e32 vcc, 0, v[4:5]
	v_not_b32_e32 v4, v5
	v_ashrrev_i32_e32 v4, 31, v4
	;; [unrolled: 9-line block ×5, first 2 shown]
	v_xor_b32_e32 v5, vcc_hi, v4
	v_xor_b32_e32 v4, vcc_lo, v4
	v_and_b32_e32 v2, v2, v5
	v_lshlrev_b32_e32 v5, 24, v54
	v_and_b32_e32 v57, v57, v4
	v_mov_b32_e32 v4, v3
	v_not_b32_e32 v3, v5
	v_cmp_gt_i64_e32 vcc, 0, v[4:5]
	v_ashrrev_i32_e32 v3, 31, v3
	ds_read_b32 v26, v55 offset:64
	v_xor_b32_e32 v4, vcc_hi, v3
	v_xor_b32_e32 v5, vcc_lo, v3
	v_and_b32_e32 v3, v2, v4
	v_and_b32_e32 v2, v57, v5
	v_mbcnt_lo_u32_b32 v4, v2, 0
	v_mbcnt_hi_u32_b32 v57, v3, v4
	v_cmp_eq_u32_e32 vcc, 0, v57
	v_cmp_ne_u64_e64 s[4:5], 0, v[2:3]
	v_add_u32_e32 v56, 64, v15
	s_and_b64 s[6:7], s[4:5], vcc
	; wave barrier
	s_and_saveexec_b64 s[4:5], s[6:7]
	s_cbranch_execz .LBB1997_49
; %bb.48:
	v_bcnt_u32_b32 v2, v2, 0
	v_bcnt_u32_b32 v2, v3, v2
	s_waitcnt lgkmcnt(0)
	v_add_u32_e32 v2, v26, v2
	ds_write_b32 v55, v2 offset:64
.LBB1997_49:
	s_or_b64 exec, exec, s[4:5]
	; wave barrier
	s_waitcnt lgkmcnt(0)
	s_barrier
	ds_read2_b32 v[4:5], v15 offset0:16 offset1:17
	ds_read2_b32 v[2:3], v56 offset0:2 offset1:3
	ds_read_b32 v54, v56 offset:16
	v_cmp_lt_u32_e64 s[10:11], 31, v11
	s_waitcnt lgkmcnt(1)
	v_add3_u32 v58, v5, v4, v2
	s_waitcnt lgkmcnt(0)
	v_add3_u32 v54, v58, v3, v54
	v_and_b32_e32 v58, 15, v11
	v_cmp_eq_u32_e32 vcc, 0, v58
	v_mov_b32_dpp v59, v54 row_shr:1 row_mask:0xf bank_mask:0xf
	v_cmp_lt_u32_e64 s[8:9], 1, v58
	v_cndmask_b32_e64 v59, v59, 0, vcc
	v_add_u32_e32 v54, v59, v54
	v_cmp_lt_u32_e64 s[4:5], 3, v58
	v_cmp_lt_u32_e64 s[6:7], 7, v58
	v_mov_b32_dpp v59, v54 row_shr:2 row_mask:0xf bank_mask:0xf
	v_cndmask_b32_e64 v59, 0, v59, s[8:9]
	v_add_u32_e32 v54, v54, v59
	s_nop 1
	v_mov_b32_dpp v59, v54 row_shr:4 row_mask:0xf bank_mask:0xf
	v_cndmask_b32_e64 v59, 0, v59, s[4:5]
	v_add_u32_e32 v54, v54, v59
	s_nop 1
	v_mov_b32_dpp v59, v54 row_shr:8 row_mask:0xf bank_mask:0xf
	v_cndmask_b32_e64 v58, 0, v59, s[6:7]
	v_add_u32_e32 v54, v54, v58
	v_bfe_i32 v59, v11, 4, 1
	s_nop 0
	v_mov_b32_dpp v58, v54 row_bcast:15 row_mask:0xf bank_mask:0xf
	v_and_b32_e32 v58, v59, v58
	v_add_u32_e32 v54, v54, v58
	v_lshrrev_b32_e32 v59, 6, v10
	s_nop 0
	v_mov_b32_dpp v58, v54 row_bcast:31 row_mask:0xf bank_mask:0xf
	v_cndmask_b32_e64 v58, 0, v58, s[10:11]
	v_add_u32_e32 v58, v54, v58
	v_and_b32_e32 v54, 63, v10
	v_cmp_eq_u32_e64 s[10:11], 63, v54
	s_and_saveexec_b64 s[12:13], s[10:11]
	s_cbranch_execz .LBB1997_51
; %bb.50:
	v_lshlrev_b32_e32 v54, 2, v59
	ds_write_b32 v54, v58
.LBB1997_51:
	s_or_b64 exec, exec, s[12:13]
	v_cmp_gt_u32_e64 s[10:11], 16, v10
	v_lshlrev_b32_e32 v54, 2, v10
	s_waitcnt lgkmcnt(0)
	s_barrier
	s_and_saveexec_b64 s[12:13], s[10:11]
	s_cbranch_execz .LBB1997_53
; %bb.52:
	ds_read_b32 v60, v54
	s_waitcnt lgkmcnt(0)
	s_nop 0
	v_mov_b32_dpp v61, v60 row_shr:1 row_mask:0xf bank_mask:0xf
	v_cndmask_b32_e64 v61, v61, 0, vcc
	v_add_u32_e32 v60, v61, v60
	s_nop 1
	v_mov_b32_dpp v61, v60 row_shr:2 row_mask:0xf bank_mask:0xf
	v_cndmask_b32_e64 v61, 0, v61, s[8:9]
	v_add_u32_e32 v60, v60, v61
	s_nop 1
	v_mov_b32_dpp v61, v60 row_shr:4 row_mask:0xf bank_mask:0xf
	v_cndmask_b32_e64 v61, 0, v61, s[4:5]
	;; [unrolled: 4-line block ×3, first 2 shown]
	v_add_u32_e32 v60, v60, v61
	ds_write_b32 v54, v60
.LBB1997_53:
	s_or_b64 exec, exec, s[12:13]
	v_cmp_lt_u32_e32 vcc, 63, v10
	v_mov_b32_e32 v60, 0
	s_waitcnt lgkmcnt(0)
	s_barrier
	s_and_saveexec_b64 s[4:5], vcc
	s_cbranch_execz .LBB1997_55
; %bb.54:
	v_lshl_add_u32 v59, v59, 2, -4
	ds_read_b32 v60, v59
.LBB1997_55:
	s_or_b64 exec, exec, s[4:5]
	v_add_u32_e32 v59, -1, v11
	v_and_b32_e32 v61, 64, v11
	v_cmp_lt_i32_e32 vcc, v59, v61
	s_waitcnt lgkmcnt(0)
	v_add_u32_e32 v58, v60, v58
	s_movk_i32 s4, 0x100
	v_cndmask_b32_e32 v59, v59, v11, vcc
	v_lshlrev_b32_e32 v59, 2, v59
	ds_bpermute_b32 v58, v59, v58
	v_cmp_eq_u32_e32 vcc, 0, v11
	s_waitcnt lgkmcnt(0)
	s_nop 0
	v_cndmask_b32_e32 v11, v58, v60, vcc
	v_cmp_ne_u32_e32 vcc, 0, v10
	s_nop 1
	v_cndmask_b32_e32 v11, 0, v11, vcc
	v_add_u32_e32 v4, v11, v4
	v_add_u32_e32 v5, v4, v5
	;; [unrolled: 1-line block ×4, first 2 shown]
	ds_write2_b32 v15, v11, v4 offset0:16 offset1:17
	ds_write2_b32 v56, v5, v2 offset0:2 offset1:3
	ds_write_b32 v56, v3 offset:16
	s_waitcnt lgkmcnt(0)
	s_barrier
	ds_read_b32 v60, v19 offset:64
	ds_read_b32 v59, v20 offset:64
	;; [unrolled: 1-line block ×12, first 2 shown]
	v_cmp_gt_u32_e32 vcc, s4, v10
                                        ; implicit-def: $vgpr11
                                        ; implicit-def: $vgpr15
	s_and_saveexec_b64 s[6:7], vcc
	s_cbranch_execz .LBB1997_59
; %bb.56:
	v_mul_u32_u24_e32 v11, 17, v10
	v_lshlrev_b32_e32 v31, 2, v11
	ds_read_b32 v11, v31 offset:64
	s_movk_i32 s4, 0xff
	v_cmp_ne_u32_e64 s[4:5], s4, v10
	v_mov_b32_e32 v15, 0x3000
	s_and_saveexec_b64 s[8:9], s[4:5]
	s_cbranch_execz .LBB1997_58
; %bb.57:
	ds_read_b32 v15, v31 offset:132
.LBB1997_58:
	s_or_b64 exec, exec, s[8:9]
	s_waitcnt lgkmcnt(0)
	v_sub_u32_e32 v15, v15, v11
.LBB1997_59:
	s_or_b64 exec, exec, s[6:7]
	v_add_u32_e32 v18, v21, v18
	s_waitcnt lgkmcnt(11)
	v_add_lshl_u32 v16, v60, v16, 1
	v_add_u32_e32 v13, v28, v13
	v_add_u32_e32 v23, v25, v23
	s_waitcnt lgkmcnt(0)
	s_barrier
	ds_write_b16 v16, v14 offset:1024
	v_add_lshl_u32 v14, v18, v59, 1
	v_add_u32_e32 v30, v33, v30
	ds_write_b16 v14, v17 offset:1024
	v_add_lshl_u32 v14, v23, v58, 1
	v_add_lshl_u32 v13, v13, v56, 1
	v_add_u32_e32 v34, v37, v34
	ds_write_b16 v14, v22 offset:1024
	ds_write_b16 v13, v12 offset:1024
	v_add_lshl_u32 v12, v30, v27, 1
	v_add_u32_e32 v26, v57, v26
	v_add_u32_e32 v31, v53, v51
	;; [unrolled: 1-line block ×6, first 2 shown]
	ds_write_b16 v12, v29 offset:1024
	v_add_lshl_u32 v12, v34, v24, 1
	ds_write_b16 v12, v32 offset:1024
	v_add_lshl_u32 v12, v38, v20, 1
	v_add_lshl_u32 v9, v9, v19, 1
	v_add_lshl_u32 v5, v39, v5, 1
	v_add_lshl_u32 v4, v35, v4, 1
	v_add_lshl_u32 v3, v31, v3, 1
	v_add_lshl_u32 v2, v26, v2, 1
	ds_write_b16 v12, v36 offset:1024
	ds_write_b16 v9, v8 offset:1024
	ds_write_b16 v5, v42 offset:1024
	ds_write_b16 v4, v6 offset:1024
	ds_write_b16 v3, v49 offset:1024
	ds_write_b16 v2, v7 offset:1024
	s_and_saveexec_b64 s[6:7], vcc
	s_cbranch_execz .LBB1997_69
; %bb.60:
	v_lshl_or_b32 v4, s2, 8, v10
	v_mov_b32_e32 v5, 0
	v_lshl_add_u64 v[2:3], v[4:5], 2, s[28:29]
	v_or_b32_e32 v4, 2.0, v15
	s_mov_b64 s[8:9], 0
	s_brev_b32 s14, 1
	s_mov_b32 s15, s2
	v_mov_b32_e32 v8, 0
	global_store_dword v[2:3], v4, off sc1
                                        ; implicit-def: $sgpr4_sgpr5
	s_branch .LBB1997_62
.LBB1997_61:                            ;   in Loop: Header=BB1997_62 Depth=1
	s_or_b64 exec, exec, s[10:11]
	v_and_b32_e32 v6, 0x3fffffff, v9
	v_add_u32_e32 v8, v6, v8
	v_cmp_eq_u32_e64 s[4:5], s14, v4
	s_and_b64 s[10:11], exec, s[4:5]
	s_or_b64 s[8:9], s[10:11], s[8:9]
	s_andn2_b64 exec, exec, s[8:9]
	s_cbranch_execz .LBB1997_68
.LBB1997_62:                            ; =>This Loop Header: Depth=1
                                        ;     Child Loop BB1997_65 Depth 2
	s_or_b64 s[4:5], s[4:5], exec
	s_cmp_eq_u32 s15, 0
	s_cbranch_scc1 .LBB1997_67
; %bb.63:                               ;   in Loop: Header=BB1997_62 Depth=1
	s_add_i32 s15, s15, -1
	v_lshl_or_b32 v4, s15, 8, v10
	v_lshl_add_u64 v[6:7], v[4:5], 2, s[28:29]
	global_load_dword v9, v[6:7], off sc1
	s_waitcnt vmcnt(0)
	v_and_b32_e32 v4, -2.0, v9
	v_cmp_eq_u32_e64 s[4:5], 0, v4
	s_and_saveexec_b64 s[10:11], s[4:5]
	s_cbranch_execz .LBB1997_61
; %bb.64:                               ;   in Loop: Header=BB1997_62 Depth=1
	s_mov_b64 s[12:13], 0
.LBB1997_65:                            ;   Parent Loop BB1997_62 Depth=1
                                        ; =>  This Inner Loop Header: Depth=2
	global_load_dword v9, v[6:7], off sc1
	s_waitcnt vmcnt(0)
	v_and_b32_e32 v4, -2.0, v9
	v_cmp_ne_u32_e64 s[4:5], 0, v4
	s_or_b64 s[12:13], s[4:5], s[12:13]
	s_andn2_b64 exec, exec, s[12:13]
	s_cbranch_execnz .LBB1997_65
; %bb.66:                               ;   in Loop: Header=BB1997_62 Depth=1
	s_or_b64 exec, exec, s[12:13]
	s_branch .LBB1997_61
.LBB1997_67:                            ;   in Loop: Header=BB1997_62 Depth=1
                                        ; implicit-def: $sgpr15
	s_and_b64 s[10:11], exec, s[4:5]
	s_or_b64 s[8:9], s[10:11], s[8:9]
	s_andn2_b64 exec, exec, s[8:9]
	s_cbranch_execnz .LBB1997_62
.LBB1997_68:
	s_or_b64 exec, exec, s[8:9]
	v_add_u32_e32 v4, v8, v15
	v_or_b32_e32 v4, 0x80000000, v4
	global_store_dword v[2:3], v4, off sc1
	global_load_dword v2, v54, s[16:17]
	v_sub_u32_e32 v3, v8, v11
	s_waitcnt vmcnt(0)
	v_add_u32_e32 v2, v3, v2
	ds_write_b32 v54, v2
.LBB1997_69:
	s_or_b64 exec, exec, s[6:7]
	v_cmp_gt_u32_e64 s[4:5], s3, v10
	v_lshlrev_b32_e32 v2, 1, v10
	s_waitcnt lgkmcnt(0)
	s_barrier
	s_and_saveexec_b64 s[6:7], s[4:5]
	s_cbranch_execz .LBB1997_71
; %bb.70:
	ds_read_u16 v3, v2 offset:1024
	v_mov_b32_e32 v5, 0
	s_waitcnt lgkmcnt(0)
	v_lshrrev_b32_sdwa v4, s24, v3 dst_sel:DWORD dst_unused:UNUSED_PAD src0_sel:DWORD src1_sel:WORD_0
	v_and_b32_e32 v4, s27, v4
	v_lshlrev_b32_e32 v4, 2, v4
	ds_read_b32 v4, v4
	v_xor_b32_e32 v3, 0xffff8000, v3
	s_waitcnt lgkmcnt(0)
	v_add_u32_e32 v4, v4, v10
	v_lshl_add_u64 v[4:5], v[4:5], 1, s[22:23]
	global_store_short v[4:5], v3, off
.LBB1997_71:
	s_or_b64 exec, exec, s[6:7]
	v_or_b32_e32 v3, 0x400, v10
	v_cmp_gt_u32_e64 s[4:5], s3, v3
	s_and_saveexec_b64 s[6:7], s[4:5]
	s_cbranch_execz .LBB1997_73
; %bb.72:
	ds_read_u16 v4, v2 offset:3072
	s_waitcnt lgkmcnt(0)
	v_lshrrev_b32_sdwa v5, s24, v4 dst_sel:DWORD dst_unused:UNUSED_PAD src0_sel:DWORD src1_sel:WORD_0
	v_and_b32_e32 v5, s27, v5
	v_lshlrev_b32_e32 v5, 2, v5
	ds_read_b32 v5, v5
	v_xor_b32_e32 v6, 0xffff8000, v4
	s_waitcnt lgkmcnt(0)
	v_add_u32_e32 v4, v5, v3
	v_mov_b32_e32 v5, 0
	v_lshl_add_u64 v[4:5], v[4:5], 1, s[22:23]
	global_store_short v[4:5], v6, off
.LBB1997_73:
	s_or_b64 exec, exec, s[6:7]
	v_or_b32_e32 v3, 0x800, v10
	v_cmp_gt_u32_e64 s[4:5], s3, v3
	s_and_saveexec_b64 s[6:7], s[4:5]
	s_cbranch_execz .LBB1997_75
; %bb.74:
	ds_read_u16 v4, v2 offset:5120
	s_waitcnt lgkmcnt(0)
	v_lshrrev_b32_sdwa v5, s24, v4 dst_sel:DWORD dst_unused:UNUSED_PAD src0_sel:DWORD src1_sel:WORD_0
	v_and_b32_e32 v5, s27, v5
	v_lshlrev_b32_e32 v5, 2, v5
	ds_read_b32 v5, v5
	v_xor_b32_e32 v6, 0xffff8000, v4
	s_waitcnt lgkmcnt(0)
	v_add_u32_e32 v4, v5, v3
	v_mov_b32_e32 v5, 0
	v_lshl_add_u64 v[4:5], v[4:5], 1, s[22:23]
	global_store_short v[4:5], v6, off
.LBB1997_75:
	;; [unrolled: 19-line block ×11, first 2 shown]
	s_or_b64 exec, exec, s[6:7]
	s_add_i32 s26, s26, -1
	s_cmp_eq_u32 s26, s2
	s_cselect_b64 s[4:5], -1, 0
	s_and_b64 s[6:7], vcc, s[4:5]
	s_mov_b64 s[4:5], 0
	s_mov_b64 s[10:11], 0
                                        ; implicit-def: $vgpr2
	s_and_saveexec_b64 s[8:9], s[6:7]
	s_xor_b64 s[6:7], exec, s[8:9]
; %bb.94:
	s_mov_b64 s[10:11], exec
	v_add_u32_e32 v2, v11, v15
	v_mov_b32_e32 v11, 0
; %bb.95:
	s_or_b64 exec, exec, s[6:7]
	s_and_b64 vcc, exec, s[4:5]
	s_cbranch_vccnz .LBB1997_97
	s_branch .LBB1997_146
.LBB1997_96:
	s_mov_b64 s[10:11], 0
                                        ; implicit-def: $vgpr2
                                        ; implicit-def: $vgpr10_vgpr11
	s_cbranch_execz .LBB1997_146
.LBB1997_97:
	s_mov_b32 s31, 0
	v_and_b32_e32 v10, 0x3ff, v0
	s_lshl_b64 s[4:5], s[30:31], 1
	v_mbcnt_hi_u32_b32 v4, -1, v1
	s_add_u32 s4, s20, s4
	v_and_b32_e32 v1, 63, v4
	v_and_b32_e32 v2, 0x3c0, v10
	s_addc_u32 s5, s21, s5
	v_mov_b32_e32 v3, 0
	v_mul_u32_u24_e32 v5, 12, v2
	v_lshlrev_b32_e32 v2, 1, v1
	v_lshl_add_u64 v[6:7], s[4:5], 0, v[2:3]
	s_load_dword s4, s[0:1], 0x64
	s_load_dword s3, s[0:1], 0x58
	s_add_u32 s0, s0, 0x58
	v_lshlrev_b32_e32 v2, 1, v5
	s_addc_u32 s1, s1, 0
	s_waitcnt lgkmcnt(0)
	s_lshr_b32 s4, s4, 16
	v_lshl_add_u64 v[12:13], v[6:7], 0, v[2:3]
	s_cmp_lt_u32 s2, s3
	global_load_ushort v1, v[12:13], off
	s_cselect_b32 s5, 12, 18
	s_add_u32 s0, s0, s5
	s_addc_u32 s1, s1, 0
	global_load_ushort v7, v3, s[0:1]
	v_mul_u32_u24_e32 v6, 5, v10
	v_lshlrev_b32_e32 v6, 2, v6
	ds_write2_b32 v6, v3, v3 offset0:16 offset1:17
	ds_write2_b32 v6, v3, v3 offset0:18 offset1:19
	ds_write_b32 v6, v3 offset:80
	global_load_ushort v9, v[12:13], off offset:128
	global_load_ushort v14, v[12:13], off offset:256
	;; [unrolled: 1-line block ×11, first 2 shown]
	v_bfe_u32 v2, v0, 10, 10
	v_bfe_u32 v5, v0, 20, 10
	v_mad_u32_u24 v8, v5, s4, v2
	s_lshl_b32 s0, -1, s25
	s_not_b32 s14, s0
	v_mov_b32_e32 v0, v3
	v_mov_b32_e32 v18, v3
	;; [unrolled: 1-line block ×4, first 2 shown]
	s_waitcnt lgkmcnt(0)
	s_barrier
	s_waitcnt lgkmcnt(0)
	; wave barrier
	s_waitcnt vmcnt(12)
	v_xor_b32_e32 v5, 0xffff8000, v1
	v_lshrrev_b32_sdwa v1, s24, v5 dst_sel:DWORD dst_unused:UNUSED_PAD src0_sel:DWORD src1_sel:WORD_0
	v_and_b32_e32 v11, s14, v1
	v_and_b32_e32 v2, 1, v11
	v_lshlrev_b32_e32 v1, 30, v11
	s_waitcnt vmcnt(11)
	v_mad_u64_u32 v[12:13], s[0:1], v8, v7, v[10:11]
	v_lshlrev_b32_e32 v19, 29, v11
	v_lshl_add_u64 v[36:37], v[2:3], 0, -1
	v_cmp_ne_u32_e32 vcc, 0, v2
	v_cmp_gt_i64_e64 s[0:1], 0, v[0:1]
	v_not_b32_e32 v0, v1
	v_mul_u32_u24_e32 v15, 17, v11
	v_lshlrev_b32_e32 v27, 28, v11
	v_cmp_gt_i64_e64 s[4:5], 0, v[18:19]
	v_not_b32_e32 v1, v19
	v_lshrrev_b32_e32 v18, 6, v12
	v_xor_b32_e32 v12, vcc_hi, v37
	v_xor_b32_e32 v13, vcc_lo, v36
	v_ashrrev_i32_e32 v0, 31, v0
	v_lshlrev_b32_e32 v31, 27, v11
	v_not_b32_e32 v2, v27
	v_ashrrev_i32_e32 v1, 31, v1
	v_add_lshl_u32 v8, v18, v15, 2
	v_and_b32_e32 v12, exec_hi, v12
	v_and_b32_e32 v13, exec_lo, v13
	v_xor_b32_e32 v15, s1, v0
	v_xor_b32_e32 v0, s0, v0
	v_cmp_gt_i64_e64 s[6:7], 0, v[26:27]
	v_not_b32_e32 v7, v31
	v_ashrrev_i32_e32 v2, 31, v2
	v_xor_b32_e32 v16, s5, v1
	v_xor_b32_e32 v1, s4, v1
	v_and_b32_e32 v12, v12, v15
	v_and_b32_e32 v0, v13, v0
	v_cmp_gt_i64_e64 s[8:9], 0, v[30:31]
	v_ashrrev_i32_e32 v7, 31, v7
	v_xor_b32_e32 v19, s7, v2
	v_xor_b32_e32 v2, s6, v2
	v_and_b32_e32 v12, v12, v16
	v_and_b32_e32 v0, v0, v1
	;; [unrolled: 1-line block ×4, first 2 shown]
	v_xor_b32_e32 v2, s9, v7
	v_xor_b32_e32 v7, s8, v7
	v_and_b32_e32 v2, v1, v2
	v_and_b32_e32 v7, v0, v7
	v_lshlrev_b32_e32 v1, 26, v11
	v_mov_b32_e32 v0, v3
	v_cmp_gt_i64_e32 vcc, 0, v[0:1]
	v_not_b32_e32 v0, v1
	v_ashrrev_i32_e32 v0, 31, v0
	v_xor_b32_e32 v1, vcc_hi, v0
	v_xor_b32_e32 v0, vcc_lo, v0
	v_and_b32_e32 v2, v2, v1
	v_and_b32_e32 v7, v7, v0
	v_lshlrev_b32_e32 v1, 25, v11
	v_mov_b32_e32 v0, v3
	v_cmp_gt_i64_e32 vcc, 0, v[0:1]
	v_not_b32_e32 v0, v1
	v_ashrrev_i32_e32 v0, 31, v0
	v_xor_b32_e32 v1, vcc_hi, v0
	v_xor_b32_e32 v0, vcc_lo, v0
	;; [unrolled: 9-line block ×3, first 2 shown]
	v_and_b32_e32 v0, v7, v0
	v_and_b32_e32 v1, v2, v1
	v_mbcnt_lo_u32_b32 v2, v0, 0
	v_mbcnt_hi_u32_b32 v7, v1, v2
	v_cmp_eq_u32_e32 vcc, 0, v7
	v_cmp_ne_u64_e64 s[0:1], 0, v[0:1]
	s_and_b64 s[4:5], s[0:1], vcc
	s_and_saveexec_b64 s[0:1], s[4:5]
	s_cbranch_execz .LBB1997_99
; %bb.98:
	v_bcnt_u32_b32 v0, v0, 0
	v_bcnt_u32_b32 v0, v1, v0
	ds_write_b32 v8, v0 offset:64
.LBB1997_99:
	s_or_b64 exec, exec, s[0:1]
	s_waitcnt vmcnt(10)
	v_xor_b32_e32 v9, 0xffff8000, v9
	v_lshrrev_b32_sdwa v0, s24, v9 dst_sel:DWORD dst_unused:UNUSED_PAD src0_sel:DWORD src1_sel:WORD_0
	v_and_b32_e32 v13, s14, v0
	v_mul_u32_u24_e32 v0, 17, v13
	v_and_b32_e32 v2, 1, v13
	v_add_lshl_u32 v12, v18, v0, 2
	v_lshl_add_u64 v[0:1], v[2:3], 0, -1
	v_cmp_ne_u32_e32 vcc, 0, v2
	; wave barrier
	s_nop 1
	v_xor_b32_e32 v1, vcc_hi, v1
	v_xor_b32_e32 v0, vcc_lo, v0
	v_and_b32_e32 v2, exec_hi, v1
	v_and_b32_e32 v15, exec_lo, v0
	v_lshlrev_b32_e32 v1, 30, v13
	v_mov_b32_e32 v0, v3
	v_cmp_gt_i64_e32 vcc, 0, v[0:1]
	v_not_b32_e32 v0, v1
	v_ashrrev_i32_e32 v0, 31, v0
	v_xor_b32_e32 v1, vcc_hi, v0
	v_xor_b32_e32 v0, vcc_lo, v0
	v_and_b32_e32 v2, v2, v1
	v_and_b32_e32 v15, v15, v0
	v_lshlrev_b32_e32 v1, 29, v13
	v_mov_b32_e32 v0, v3
	v_cmp_gt_i64_e32 vcc, 0, v[0:1]
	v_not_b32_e32 v0, v1
	v_ashrrev_i32_e32 v0, 31, v0
	v_xor_b32_e32 v1, vcc_hi, v0
	v_xor_b32_e32 v0, vcc_lo, v0
	v_and_b32_e32 v2, v2, v1
	v_and_b32_e32 v15, v15, v0
	;; [unrolled: 9-line block ×6, first 2 shown]
	v_lshlrev_b32_e32 v1, 24, v13
	v_mov_b32_e32 v0, v3
	v_cmp_gt_i64_e32 vcc, 0, v[0:1]
	v_not_b32_e32 v0, v1
	v_ashrrev_i32_e32 v0, 31, v0
	v_xor_b32_e32 v1, vcc_hi, v0
	v_xor_b32_e32 v0, vcc_lo, v0
	ds_read_b32 v11, v12 offset:64
	v_and_b32_e32 v0, v15, v0
	v_and_b32_e32 v1, v2, v1
	v_mbcnt_lo_u32_b32 v2, v0, 0
	v_mbcnt_hi_u32_b32 v13, v1, v2
	v_cmp_eq_u32_e32 vcc, 0, v13
	v_cmp_ne_u64_e64 s[0:1], 0, v[0:1]
	s_and_b64 s[4:5], s[0:1], vcc
	; wave barrier
	s_and_saveexec_b64 s[0:1], s[4:5]
	s_cbranch_execz .LBB1997_101
; %bb.100:
	v_bcnt_u32_b32 v0, v0, 0
	v_bcnt_u32_b32 v0, v1, v0
	s_waitcnt lgkmcnt(0)
	v_add_u32_e32 v0, v11, v0
	ds_write_b32 v12, v0 offset:64
.LBB1997_101:
	s_or_b64 exec, exec, s[0:1]
	s_waitcnt vmcnt(9)
	v_xor_b32_e32 v14, 0xffff8000, v14
	v_lshrrev_b32_sdwa v0, s24, v14 dst_sel:DWORD dst_unused:UNUSED_PAD src0_sel:DWORD src1_sel:WORD_0
	v_and_b32_e32 v19, s14, v0
	v_mul_u32_u24_e32 v0, 17, v19
	v_add_lshl_u32 v16, v18, v0, 2
	v_and_b32_e32 v0, 1, v19
	v_mov_b32_e32 v1, 0
	v_lshl_add_u64 v[2:3], v[0:1], 0, -1
	v_cmp_ne_u32_e32 vcc, 0, v0
	; wave barrier
	s_nop 1
	v_xor_b32_e32 v2, vcc_lo, v2
	v_xor_b32_e32 v0, vcc_hi, v3
	v_and_b32_e32 v21, exec_lo, v2
	v_lshlrev_b32_e32 v3, 30, v19
	v_mov_b32_e32 v2, v1
	v_cmp_gt_i64_e32 vcc, 0, v[2:3]
	v_not_b32_e32 v2, v3
	v_ashrrev_i32_e32 v2, 31, v2
	v_and_b32_e32 v0, exec_hi, v0
	v_xor_b32_e32 v3, vcc_hi, v2
	v_xor_b32_e32 v2, vcc_lo, v2
	v_and_b32_e32 v0, v0, v3
	v_and_b32_e32 v21, v21, v2
	v_lshlrev_b32_e32 v3, 29, v19
	v_mov_b32_e32 v2, v1
	v_cmp_gt_i64_e32 vcc, 0, v[2:3]
	v_not_b32_e32 v2, v3
	v_ashrrev_i32_e32 v2, 31, v2
	v_xor_b32_e32 v3, vcc_hi, v2
	v_xor_b32_e32 v2, vcc_lo, v2
	v_and_b32_e32 v0, v0, v3
	v_and_b32_e32 v21, v21, v2
	v_lshlrev_b32_e32 v3, 28, v19
	v_mov_b32_e32 v2, v1
	v_cmp_gt_i64_e32 vcc, 0, v[2:3]
	v_not_b32_e32 v2, v3
	v_ashrrev_i32_e32 v2, 31, v2
	;; [unrolled: 9-line block ×6, first 2 shown]
	v_xor_b32_e32 v3, vcc_hi, v2
	v_xor_b32_e32 v2, vcc_lo, v2
	ds_read_b32 v15, v16 offset:64
	v_and_b32_e32 v2, v21, v2
	v_and_b32_e32 v3, v0, v3
	v_mbcnt_lo_u32_b32 v0, v2, 0
	v_mbcnt_hi_u32_b32 v19, v3, v0
	v_cmp_eq_u32_e32 vcc, 0, v19
	v_cmp_ne_u64_e64 s[0:1], 0, v[2:3]
	s_and_b64 s[4:5], s[0:1], vcc
	; wave barrier
	s_and_saveexec_b64 s[0:1], s[4:5]
	s_cbranch_execz .LBB1997_103
; %bb.102:
	v_bcnt_u32_b32 v0, v2, 0
	v_bcnt_u32_b32 v0, v3, v0
	s_waitcnt lgkmcnt(0)
	v_add_u32_e32 v0, v15, v0
	ds_write_b32 v16, v0 offset:64
.LBB1997_103:
	s_or_b64 exec, exec, s[0:1]
	s_waitcnt vmcnt(8)
	v_xor_b32_e32 v20, 0xffff8000, v20
	v_lshrrev_b32_sdwa v0, s24, v20 dst_sel:DWORD dst_unused:UNUSED_PAD src0_sel:DWORD src1_sel:WORD_0
	v_and_b32_e32 v24, s14, v0
	v_mul_u32_u24_e32 v0, 17, v24
	v_add_lshl_u32 v22, v18, v0, 2
	v_and_b32_e32 v0, 1, v24
	v_lshl_add_u64 v[2:3], v[0:1], 0, -1
	v_cmp_ne_u32_e32 vcc, 0, v0
	; wave barrier
	s_nop 1
	v_xor_b32_e32 v2, vcc_lo, v2
	v_xor_b32_e32 v0, vcc_hi, v3
	v_and_b32_e32 v26, exec_lo, v2
	v_lshlrev_b32_e32 v3, 30, v24
	v_mov_b32_e32 v2, v1
	v_cmp_gt_i64_e32 vcc, 0, v[2:3]
	v_not_b32_e32 v2, v3
	v_ashrrev_i32_e32 v2, 31, v2
	v_and_b32_e32 v0, exec_hi, v0
	v_xor_b32_e32 v3, vcc_hi, v2
	v_xor_b32_e32 v2, vcc_lo, v2
	v_and_b32_e32 v0, v0, v3
	v_and_b32_e32 v26, v26, v2
	v_lshlrev_b32_e32 v3, 29, v24
	v_mov_b32_e32 v2, v1
	v_cmp_gt_i64_e32 vcc, 0, v[2:3]
	v_not_b32_e32 v2, v3
	v_ashrrev_i32_e32 v2, 31, v2
	v_xor_b32_e32 v3, vcc_hi, v2
	v_xor_b32_e32 v2, vcc_lo, v2
	v_and_b32_e32 v0, v0, v3
	v_and_b32_e32 v26, v26, v2
	v_lshlrev_b32_e32 v3, 28, v24
	v_mov_b32_e32 v2, v1
	v_cmp_gt_i64_e32 vcc, 0, v[2:3]
	v_not_b32_e32 v2, v3
	v_ashrrev_i32_e32 v2, 31, v2
	;; [unrolled: 9-line block ×5, first 2 shown]
	v_xor_b32_e32 v3, vcc_hi, v2
	v_xor_b32_e32 v2, vcc_lo, v2
	v_and_b32_e32 v0, v0, v3
	v_lshlrev_b32_e32 v3, 24, v24
	v_and_b32_e32 v26, v26, v2
	v_mov_b32_e32 v2, v1
	v_not_b32_e32 v1, v3
	v_cmp_gt_i64_e32 vcc, 0, v[2:3]
	v_ashrrev_i32_e32 v1, 31, v1
	ds_read_b32 v21, v22 offset:64
	v_xor_b32_e32 v2, vcc_hi, v1
	v_xor_b32_e32 v3, vcc_lo, v1
	v_and_b32_e32 v1, v0, v2
	v_and_b32_e32 v0, v26, v3
	v_mbcnt_lo_u32_b32 v2, v0, 0
	v_mbcnt_hi_u32_b32 v24, v1, v2
	v_cmp_eq_u32_e32 vcc, 0, v24
	v_cmp_ne_u64_e64 s[0:1], 0, v[0:1]
	s_and_b64 s[4:5], s[0:1], vcc
	; wave barrier
	s_and_saveexec_b64 s[0:1], s[4:5]
	s_cbranch_execz .LBB1997_105
; %bb.104:
	v_bcnt_u32_b32 v0, v0, 0
	v_bcnt_u32_b32 v0, v1, v0
	s_waitcnt lgkmcnt(0)
	v_add_u32_e32 v0, v21, v0
	ds_write_b32 v22, v0 offset:64
.LBB1997_105:
	s_or_b64 exec, exec, s[0:1]
	s_waitcnt vmcnt(7)
	v_xor_b32_e32 v25, 0xffff8000, v25
	v_lshrrev_b32_sdwa v0, s24, v25 dst_sel:DWORD dst_unused:UNUSED_PAD src0_sel:DWORD src1_sel:WORD_0
	v_and_b32_e32 v30, s14, v0
	v_mul_u32_u24_e32 v0, 17, v30
	v_add_lshl_u32 v27, v18, v0, 2
	v_and_b32_e32 v0, 1, v30
	v_mov_b32_e32 v1, 0
	v_lshl_add_u64 v[2:3], v[0:1], 0, -1
	v_cmp_ne_u32_e32 vcc, 0, v0
	; wave barrier
	s_nop 1
	v_xor_b32_e32 v2, vcc_lo, v2
	v_xor_b32_e32 v0, vcc_hi, v3
	v_and_b32_e32 v31, exec_lo, v2
	v_lshlrev_b32_e32 v3, 30, v30
	v_mov_b32_e32 v2, v1
	v_cmp_gt_i64_e32 vcc, 0, v[2:3]
	v_not_b32_e32 v2, v3
	v_ashrrev_i32_e32 v2, 31, v2
	v_and_b32_e32 v0, exec_hi, v0
	v_xor_b32_e32 v3, vcc_hi, v2
	v_xor_b32_e32 v2, vcc_lo, v2
	v_and_b32_e32 v0, v0, v3
	v_and_b32_e32 v31, v31, v2
	v_lshlrev_b32_e32 v3, 29, v30
	v_mov_b32_e32 v2, v1
	v_cmp_gt_i64_e32 vcc, 0, v[2:3]
	v_not_b32_e32 v2, v3
	v_ashrrev_i32_e32 v2, 31, v2
	v_xor_b32_e32 v3, vcc_hi, v2
	v_xor_b32_e32 v2, vcc_lo, v2
	v_and_b32_e32 v0, v0, v3
	v_and_b32_e32 v31, v31, v2
	v_lshlrev_b32_e32 v3, 28, v30
	v_mov_b32_e32 v2, v1
	v_cmp_gt_i64_e32 vcc, 0, v[2:3]
	v_not_b32_e32 v2, v3
	v_ashrrev_i32_e32 v2, 31, v2
	;; [unrolled: 9-line block ×6, first 2 shown]
	v_xor_b32_e32 v3, vcc_hi, v2
	v_xor_b32_e32 v2, vcc_lo, v2
	ds_read_b32 v26, v27 offset:64
	v_and_b32_e32 v2, v31, v2
	v_and_b32_e32 v3, v0, v3
	v_mbcnt_lo_u32_b32 v0, v2, 0
	v_mbcnt_hi_u32_b32 v30, v3, v0
	v_cmp_eq_u32_e32 vcc, 0, v30
	v_cmp_ne_u64_e64 s[0:1], 0, v[2:3]
	s_and_b64 s[4:5], s[0:1], vcc
	; wave barrier
	s_and_saveexec_b64 s[0:1], s[4:5]
	s_cbranch_execz .LBB1997_107
; %bb.106:
	v_bcnt_u32_b32 v0, v2, 0
	v_bcnt_u32_b32 v0, v3, v0
	s_waitcnt lgkmcnt(0)
	v_add_u32_e32 v0, v26, v0
	ds_write_b32 v27, v0 offset:64
.LBB1997_107:
	s_or_b64 exec, exec, s[0:1]
	s_waitcnt vmcnt(6)
	v_xor_b32_e32 v29, 0xffff8000, v29
	v_lshrrev_b32_sdwa v0, s24, v29 dst_sel:DWORD dst_unused:UNUSED_PAD src0_sel:DWORD src1_sel:WORD_0
	v_and_b32_e32 v35, s14, v0
	v_mul_u32_u24_e32 v0, 17, v35
	v_add_lshl_u32 v32, v18, v0, 2
	v_and_b32_e32 v0, 1, v35
	v_lshl_add_u64 v[2:3], v[0:1], 0, -1
	v_cmp_ne_u32_e32 vcc, 0, v0
	; wave barrier
	s_nop 1
	v_xor_b32_e32 v2, vcc_lo, v2
	v_xor_b32_e32 v0, vcc_hi, v3
	v_and_b32_e32 v36, exec_lo, v2
	v_lshlrev_b32_e32 v3, 30, v35
	v_mov_b32_e32 v2, v1
	v_cmp_gt_i64_e32 vcc, 0, v[2:3]
	v_not_b32_e32 v2, v3
	v_ashrrev_i32_e32 v2, 31, v2
	v_and_b32_e32 v0, exec_hi, v0
	v_xor_b32_e32 v3, vcc_hi, v2
	v_xor_b32_e32 v2, vcc_lo, v2
	v_and_b32_e32 v0, v0, v3
	v_and_b32_e32 v36, v36, v2
	v_lshlrev_b32_e32 v3, 29, v35
	v_mov_b32_e32 v2, v1
	v_cmp_gt_i64_e32 vcc, 0, v[2:3]
	v_not_b32_e32 v2, v3
	v_ashrrev_i32_e32 v2, 31, v2
	v_xor_b32_e32 v3, vcc_hi, v2
	v_xor_b32_e32 v2, vcc_lo, v2
	v_and_b32_e32 v0, v0, v3
	v_and_b32_e32 v36, v36, v2
	v_lshlrev_b32_e32 v3, 28, v35
	v_mov_b32_e32 v2, v1
	v_cmp_gt_i64_e32 vcc, 0, v[2:3]
	v_not_b32_e32 v2, v3
	v_ashrrev_i32_e32 v2, 31, v2
	;; [unrolled: 9-line block ×5, first 2 shown]
	v_xor_b32_e32 v3, vcc_hi, v2
	v_xor_b32_e32 v2, vcc_lo, v2
	v_and_b32_e32 v0, v0, v3
	v_lshlrev_b32_e32 v3, 24, v35
	v_and_b32_e32 v36, v36, v2
	v_mov_b32_e32 v2, v1
	v_not_b32_e32 v1, v3
	v_cmp_gt_i64_e32 vcc, 0, v[2:3]
	v_ashrrev_i32_e32 v1, 31, v1
	ds_read_b32 v31, v32 offset:64
	v_xor_b32_e32 v2, vcc_hi, v1
	v_xor_b32_e32 v3, vcc_lo, v1
	v_and_b32_e32 v1, v0, v2
	v_and_b32_e32 v0, v36, v3
	v_mbcnt_lo_u32_b32 v2, v0, 0
	v_mbcnt_hi_u32_b32 v35, v1, v2
	v_cmp_eq_u32_e32 vcc, 0, v35
	v_cmp_ne_u64_e64 s[0:1], 0, v[0:1]
	s_and_b64 s[4:5], s[0:1], vcc
	; wave barrier
	s_and_saveexec_b64 s[0:1], s[4:5]
	s_cbranch_execz .LBB1997_109
; %bb.108:
	v_bcnt_u32_b32 v0, v0, 0
	v_bcnt_u32_b32 v0, v1, v0
	s_waitcnt lgkmcnt(0)
	v_add_u32_e32 v0, v31, v0
	ds_write_b32 v32, v0 offset:64
.LBB1997_109:
	s_or_b64 exec, exec, s[0:1]
	s_waitcnt vmcnt(5)
	v_xor_b32_e32 v34, 0xffff8000, v34
	v_lshrrev_b32_sdwa v0, s24, v34 dst_sel:DWORD dst_unused:UNUSED_PAD src0_sel:DWORD src1_sel:WORD_0
	v_and_b32_e32 v39, s14, v0
	v_mul_u32_u24_e32 v0, 17, v39
	v_add_lshl_u32 v37, v18, v0, 2
	v_and_b32_e32 v0, 1, v39
	v_mov_b32_e32 v1, 0
	v_lshl_add_u64 v[2:3], v[0:1], 0, -1
	v_cmp_ne_u32_e32 vcc, 0, v0
	; wave barrier
	s_nop 1
	v_xor_b32_e32 v2, vcc_lo, v2
	v_xor_b32_e32 v0, vcc_hi, v3
	v_and_b32_e32 v40, exec_lo, v2
	v_lshlrev_b32_e32 v3, 30, v39
	v_mov_b32_e32 v2, v1
	v_cmp_gt_i64_e32 vcc, 0, v[2:3]
	v_not_b32_e32 v2, v3
	v_ashrrev_i32_e32 v2, 31, v2
	v_and_b32_e32 v0, exec_hi, v0
	v_xor_b32_e32 v3, vcc_hi, v2
	v_xor_b32_e32 v2, vcc_lo, v2
	v_and_b32_e32 v0, v0, v3
	v_and_b32_e32 v40, v40, v2
	v_lshlrev_b32_e32 v3, 29, v39
	v_mov_b32_e32 v2, v1
	v_cmp_gt_i64_e32 vcc, 0, v[2:3]
	v_not_b32_e32 v2, v3
	v_ashrrev_i32_e32 v2, 31, v2
	v_xor_b32_e32 v3, vcc_hi, v2
	v_xor_b32_e32 v2, vcc_lo, v2
	v_and_b32_e32 v0, v0, v3
	v_and_b32_e32 v40, v40, v2
	v_lshlrev_b32_e32 v3, 28, v39
	v_mov_b32_e32 v2, v1
	v_cmp_gt_i64_e32 vcc, 0, v[2:3]
	v_not_b32_e32 v2, v3
	v_ashrrev_i32_e32 v2, 31, v2
	;; [unrolled: 9-line block ×6, first 2 shown]
	v_xor_b32_e32 v3, vcc_hi, v2
	v_xor_b32_e32 v2, vcc_lo, v2
	ds_read_b32 v36, v37 offset:64
	v_and_b32_e32 v2, v40, v2
	v_and_b32_e32 v3, v0, v3
	v_mbcnt_lo_u32_b32 v0, v2, 0
	v_mbcnt_hi_u32_b32 v39, v3, v0
	v_cmp_eq_u32_e32 vcc, 0, v39
	v_cmp_ne_u64_e64 s[0:1], 0, v[2:3]
	s_and_b64 s[4:5], s[0:1], vcc
	; wave barrier
	s_and_saveexec_b64 s[0:1], s[4:5]
	s_cbranch_execz .LBB1997_111
; %bb.110:
	v_bcnt_u32_b32 v0, v2, 0
	v_bcnt_u32_b32 v0, v3, v0
	s_waitcnt lgkmcnt(0)
	v_add_u32_e32 v0, v36, v0
	ds_write_b32 v37, v0 offset:64
.LBB1997_111:
	s_or_b64 exec, exec, s[0:1]
	s_waitcnt vmcnt(4)
	v_xor_b32_e32 v38, 0xffff8000, v38
	v_lshrrev_b32_sdwa v0, s24, v38 dst_sel:DWORD dst_unused:UNUSED_PAD src0_sel:DWORD src1_sel:WORD_0
	v_and_b32_e32 v42, s14, v0
	v_mul_u32_u24_e32 v0, 17, v42
	v_add_lshl_u32 v41, v18, v0, 2
	v_and_b32_e32 v0, 1, v42
	v_lshl_add_u64 v[2:3], v[0:1], 0, -1
	v_cmp_ne_u32_e32 vcc, 0, v0
	; wave barrier
	s_nop 1
	v_xor_b32_e32 v2, vcc_lo, v2
	v_xor_b32_e32 v0, vcc_hi, v3
	v_and_b32_e32 v43, exec_lo, v2
	v_lshlrev_b32_e32 v3, 30, v42
	v_mov_b32_e32 v2, v1
	v_cmp_gt_i64_e32 vcc, 0, v[2:3]
	v_not_b32_e32 v2, v3
	v_ashrrev_i32_e32 v2, 31, v2
	v_and_b32_e32 v0, exec_hi, v0
	v_xor_b32_e32 v3, vcc_hi, v2
	v_xor_b32_e32 v2, vcc_lo, v2
	v_and_b32_e32 v0, v0, v3
	v_and_b32_e32 v43, v43, v2
	v_lshlrev_b32_e32 v3, 29, v42
	v_mov_b32_e32 v2, v1
	v_cmp_gt_i64_e32 vcc, 0, v[2:3]
	v_not_b32_e32 v2, v3
	v_ashrrev_i32_e32 v2, 31, v2
	v_xor_b32_e32 v3, vcc_hi, v2
	v_xor_b32_e32 v2, vcc_lo, v2
	v_and_b32_e32 v0, v0, v3
	v_and_b32_e32 v43, v43, v2
	v_lshlrev_b32_e32 v3, 28, v42
	v_mov_b32_e32 v2, v1
	v_cmp_gt_i64_e32 vcc, 0, v[2:3]
	v_not_b32_e32 v2, v3
	v_ashrrev_i32_e32 v2, 31, v2
	;; [unrolled: 9-line block ×5, first 2 shown]
	v_xor_b32_e32 v3, vcc_hi, v2
	v_xor_b32_e32 v2, vcc_lo, v2
	v_and_b32_e32 v0, v0, v3
	v_lshlrev_b32_e32 v3, 24, v42
	v_and_b32_e32 v43, v43, v2
	v_mov_b32_e32 v2, v1
	v_not_b32_e32 v1, v3
	v_cmp_gt_i64_e32 vcc, 0, v[2:3]
	v_ashrrev_i32_e32 v1, 31, v1
	ds_read_b32 v40, v41 offset:64
	v_xor_b32_e32 v2, vcc_hi, v1
	v_xor_b32_e32 v3, vcc_lo, v1
	v_and_b32_e32 v1, v0, v2
	v_and_b32_e32 v0, v43, v3
	v_mbcnt_lo_u32_b32 v2, v0, 0
	v_mbcnt_hi_u32_b32 v42, v1, v2
	v_cmp_eq_u32_e32 vcc, 0, v42
	v_cmp_ne_u64_e64 s[0:1], 0, v[0:1]
	s_and_b64 s[4:5], s[0:1], vcc
	; wave barrier
	s_and_saveexec_b64 s[0:1], s[4:5]
	s_cbranch_execz .LBB1997_113
; %bb.112:
	v_bcnt_u32_b32 v0, v0, 0
	v_bcnt_u32_b32 v0, v1, v0
	s_waitcnt lgkmcnt(0)
	v_add_u32_e32 v0, v40, v0
	ds_write_b32 v41, v0 offset:64
.LBB1997_113:
	s_or_b64 exec, exec, s[0:1]
	s_waitcnt vmcnt(3)
	v_xor_b32_e32 v33, 0xffff8000, v33
	v_lshrrev_b32_sdwa v0, s24, v33 dst_sel:DWORD dst_unused:UNUSED_PAD src0_sel:DWORD src1_sel:WORD_0
	v_and_b32_e32 v45, s14, v0
	v_mul_u32_u24_e32 v0, 17, v45
	v_add_lshl_u32 v44, v18, v0, 2
	v_and_b32_e32 v0, 1, v45
	v_mov_b32_e32 v1, 0
	v_lshl_add_u64 v[2:3], v[0:1], 0, -1
	v_cmp_ne_u32_e32 vcc, 0, v0
	; wave barrier
	s_nop 1
	v_xor_b32_e32 v2, vcc_lo, v2
	v_xor_b32_e32 v0, vcc_hi, v3
	v_and_b32_e32 v46, exec_lo, v2
	v_lshlrev_b32_e32 v3, 30, v45
	v_mov_b32_e32 v2, v1
	v_cmp_gt_i64_e32 vcc, 0, v[2:3]
	v_not_b32_e32 v2, v3
	v_ashrrev_i32_e32 v2, 31, v2
	v_and_b32_e32 v0, exec_hi, v0
	v_xor_b32_e32 v3, vcc_hi, v2
	v_xor_b32_e32 v2, vcc_lo, v2
	v_and_b32_e32 v0, v0, v3
	v_and_b32_e32 v46, v46, v2
	v_lshlrev_b32_e32 v3, 29, v45
	v_mov_b32_e32 v2, v1
	v_cmp_gt_i64_e32 vcc, 0, v[2:3]
	v_not_b32_e32 v2, v3
	v_ashrrev_i32_e32 v2, 31, v2
	v_xor_b32_e32 v3, vcc_hi, v2
	v_xor_b32_e32 v2, vcc_lo, v2
	v_and_b32_e32 v0, v0, v3
	v_and_b32_e32 v46, v46, v2
	v_lshlrev_b32_e32 v3, 28, v45
	v_mov_b32_e32 v2, v1
	v_cmp_gt_i64_e32 vcc, 0, v[2:3]
	v_not_b32_e32 v2, v3
	v_ashrrev_i32_e32 v2, 31, v2
	;; [unrolled: 9-line block ×6, first 2 shown]
	v_xor_b32_e32 v3, vcc_hi, v2
	v_xor_b32_e32 v2, vcc_lo, v2
	ds_read_b32 v43, v44 offset:64
	v_and_b32_e32 v2, v46, v2
	v_and_b32_e32 v3, v0, v3
	v_mbcnt_lo_u32_b32 v0, v2, 0
	v_mbcnt_hi_u32_b32 v45, v3, v0
	v_cmp_eq_u32_e32 vcc, 0, v45
	v_cmp_ne_u64_e64 s[0:1], 0, v[2:3]
	s_and_b64 s[4:5], s[0:1], vcc
	; wave barrier
	s_and_saveexec_b64 s[0:1], s[4:5]
	s_cbranch_execz .LBB1997_115
; %bb.114:
	v_bcnt_u32_b32 v0, v2, 0
	v_bcnt_u32_b32 v0, v3, v0
	s_waitcnt lgkmcnt(0)
	v_add_u32_e32 v0, v43, v0
	ds_write_b32 v44, v0 offset:64
.LBB1997_115:
	s_or_b64 exec, exec, s[0:1]
	s_waitcnt vmcnt(2)
	v_xor_b32_e32 v28, 0xffff8000, v28
	v_lshrrev_b32_sdwa v0, s24, v28 dst_sel:DWORD dst_unused:UNUSED_PAD src0_sel:DWORD src1_sel:WORD_0
	v_and_b32_e32 v48, s14, v0
	v_mul_u32_u24_e32 v0, 17, v48
	v_add_lshl_u32 v47, v18, v0, 2
	v_and_b32_e32 v0, 1, v48
	v_lshl_add_u64 v[2:3], v[0:1], 0, -1
	v_cmp_ne_u32_e32 vcc, 0, v0
	; wave barrier
	s_nop 1
	v_xor_b32_e32 v2, vcc_lo, v2
	v_xor_b32_e32 v0, vcc_hi, v3
	v_and_b32_e32 v49, exec_lo, v2
	v_lshlrev_b32_e32 v3, 30, v48
	v_mov_b32_e32 v2, v1
	v_cmp_gt_i64_e32 vcc, 0, v[2:3]
	v_not_b32_e32 v2, v3
	v_ashrrev_i32_e32 v2, 31, v2
	v_and_b32_e32 v0, exec_hi, v0
	v_xor_b32_e32 v3, vcc_hi, v2
	v_xor_b32_e32 v2, vcc_lo, v2
	v_and_b32_e32 v0, v0, v3
	v_and_b32_e32 v49, v49, v2
	v_lshlrev_b32_e32 v3, 29, v48
	v_mov_b32_e32 v2, v1
	v_cmp_gt_i64_e32 vcc, 0, v[2:3]
	v_not_b32_e32 v2, v3
	v_ashrrev_i32_e32 v2, 31, v2
	v_xor_b32_e32 v3, vcc_hi, v2
	v_xor_b32_e32 v2, vcc_lo, v2
	v_and_b32_e32 v0, v0, v3
	v_and_b32_e32 v49, v49, v2
	v_lshlrev_b32_e32 v3, 28, v48
	v_mov_b32_e32 v2, v1
	v_cmp_gt_i64_e32 vcc, 0, v[2:3]
	v_not_b32_e32 v2, v3
	v_ashrrev_i32_e32 v2, 31, v2
	;; [unrolled: 9-line block ×5, first 2 shown]
	v_xor_b32_e32 v3, vcc_hi, v2
	v_xor_b32_e32 v2, vcc_lo, v2
	v_and_b32_e32 v0, v0, v3
	v_lshlrev_b32_e32 v3, 24, v48
	v_and_b32_e32 v49, v49, v2
	v_mov_b32_e32 v2, v1
	v_not_b32_e32 v1, v3
	v_cmp_gt_i64_e32 vcc, 0, v[2:3]
	v_ashrrev_i32_e32 v1, 31, v1
	ds_read_b32 v46, v47 offset:64
	v_xor_b32_e32 v2, vcc_hi, v1
	v_xor_b32_e32 v3, vcc_lo, v1
	v_and_b32_e32 v1, v0, v2
	v_and_b32_e32 v0, v49, v3
	v_mbcnt_lo_u32_b32 v2, v0, 0
	v_mbcnt_hi_u32_b32 v48, v1, v2
	v_cmp_eq_u32_e32 vcc, 0, v48
	v_cmp_ne_u64_e64 s[0:1], 0, v[0:1]
	s_and_b64 s[4:5], s[0:1], vcc
	; wave barrier
	s_and_saveexec_b64 s[0:1], s[4:5]
	s_cbranch_execz .LBB1997_117
; %bb.116:
	v_bcnt_u32_b32 v0, v0, 0
	v_bcnt_u32_b32 v0, v1, v0
	s_waitcnt lgkmcnt(0)
	v_add_u32_e32 v0, v46, v0
	ds_write_b32 v47, v0 offset:64
.LBB1997_117:
	s_or_b64 exec, exec, s[0:1]
	s_waitcnt vmcnt(1)
	v_xor_b32_e32 v23, 0xffff8000, v23
	v_lshrrev_b32_sdwa v0, s24, v23 dst_sel:DWORD dst_unused:UNUSED_PAD src0_sel:DWORD src1_sel:WORD_0
	v_and_b32_e32 v51, s14, v0
	v_mul_u32_u24_e32 v0, 17, v51
	v_add_lshl_u32 v50, v18, v0, 2
	v_and_b32_e32 v0, 1, v51
	v_mov_b32_e32 v1, 0
	v_lshl_add_u64 v[2:3], v[0:1], 0, -1
	v_cmp_ne_u32_e32 vcc, 0, v0
	; wave barrier
	s_nop 1
	v_xor_b32_e32 v2, vcc_lo, v2
	v_xor_b32_e32 v0, vcc_hi, v3
	v_and_b32_e32 v52, exec_lo, v2
	v_lshlrev_b32_e32 v3, 30, v51
	v_mov_b32_e32 v2, v1
	v_cmp_gt_i64_e32 vcc, 0, v[2:3]
	v_not_b32_e32 v2, v3
	v_ashrrev_i32_e32 v2, 31, v2
	v_and_b32_e32 v0, exec_hi, v0
	v_xor_b32_e32 v3, vcc_hi, v2
	v_xor_b32_e32 v2, vcc_lo, v2
	v_and_b32_e32 v0, v0, v3
	v_and_b32_e32 v52, v52, v2
	v_lshlrev_b32_e32 v3, 29, v51
	v_mov_b32_e32 v2, v1
	v_cmp_gt_i64_e32 vcc, 0, v[2:3]
	v_not_b32_e32 v2, v3
	v_ashrrev_i32_e32 v2, 31, v2
	v_xor_b32_e32 v3, vcc_hi, v2
	v_xor_b32_e32 v2, vcc_lo, v2
	v_and_b32_e32 v0, v0, v3
	v_and_b32_e32 v52, v52, v2
	v_lshlrev_b32_e32 v3, 28, v51
	v_mov_b32_e32 v2, v1
	v_cmp_gt_i64_e32 vcc, 0, v[2:3]
	v_not_b32_e32 v2, v3
	v_ashrrev_i32_e32 v2, 31, v2
	;; [unrolled: 9-line block ×6, first 2 shown]
	v_xor_b32_e32 v3, vcc_hi, v2
	v_xor_b32_e32 v2, vcc_lo, v2
	ds_read_b32 v49, v50 offset:64
	v_and_b32_e32 v2, v52, v2
	v_and_b32_e32 v3, v0, v3
	v_mbcnt_lo_u32_b32 v0, v2, 0
	v_mbcnt_hi_u32_b32 v51, v3, v0
	v_cmp_eq_u32_e32 vcc, 0, v51
	v_cmp_ne_u64_e64 s[0:1], 0, v[2:3]
	s_and_b64 s[4:5], s[0:1], vcc
	; wave barrier
	s_and_saveexec_b64 s[0:1], s[4:5]
	s_cbranch_execz .LBB1997_119
; %bb.118:
	v_bcnt_u32_b32 v0, v2, 0
	v_bcnt_u32_b32 v0, v3, v0
	s_waitcnt lgkmcnt(0)
	v_add_u32_e32 v0, v49, v0
	ds_write_b32 v50, v0 offset:64
.LBB1997_119:
	s_or_b64 exec, exec, s[0:1]
	s_waitcnt vmcnt(0)
	v_xor_b32_e32 v17, 0xffff8000, v17
	v_lshrrev_b32_sdwa v0, s24, v17 dst_sel:DWORD dst_unused:UNUSED_PAD src0_sel:DWORD src1_sel:WORD_0
	v_and_b32_e32 v55, s14, v0
	v_mul_u32_u24_e32 v0, 17, v55
	v_add_lshl_u32 v53, v18, v0, 2
	v_and_b32_e32 v0, 1, v55
	v_lshl_add_u64 v[2:3], v[0:1], 0, -1
	v_cmp_ne_u32_e32 vcc, 0, v0
	; wave barrier
	s_nop 1
	v_xor_b32_e32 v2, vcc_lo, v2
	v_xor_b32_e32 v0, vcc_hi, v3
	v_and_b32_e32 v18, exec_lo, v2
	v_lshlrev_b32_e32 v3, 30, v55
	v_mov_b32_e32 v2, v1
	v_cmp_gt_i64_e32 vcc, 0, v[2:3]
	v_not_b32_e32 v2, v3
	v_ashrrev_i32_e32 v2, 31, v2
	v_and_b32_e32 v0, exec_hi, v0
	v_xor_b32_e32 v3, vcc_hi, v2
	v_xor_b32_e32 v2, vcc_lo, v2
	v_and_b32_e32 v0, v0, v3
	v_and_b32_e32 v18, v18, v2
	v_lshlrev_b32_e32 v3, 29, v55
	v_mov_b32_e32 v2, v1
	v_cmp_gt_i64_e32 vcc, 0, v[2:3]
	v_not_b32_e32 v2, v3
	v_ashrrev_i32_e32 v2, 31, v2
	v_xor_b32_e32 v3, vcc_hi, v2
	v_xor_b32_e32 v2, vcc_lo, v2
	v_and_b32_e32 v0, v0, v3
	v_and_b32_e32 v18, v18, v2
	v_lshlrev_b32_e32 v3, 28, v55
	v_mov_b32_e32 v2, v1
	v_cmp_gt_i64_e32 vcc, 0, v[2:3]
	v_not_b32_e32 v2, v3
	v_ashrrev_i32_e32 v2, 31, v2
	;; [unrolled: 9-line block ×5, first 2 shown]
	v_xor_b32_e32 v3, vcc_hi, v2
	v_xor_b32_e32 v2, vcc_lo, v2
	v_and_b32_e32 v0, v0, v3
	v_lshlrev_b32_e32 v3, 24, v55
	v_and_b32_e32 v18, v18, v2
	v_mov_b32_e32 v2, v1
	v_not_b32_e32 v1, v3
	v_cmp_gt_i64_e32 vcc, 0, v[2:3]
	v_ashrrev_i32_e32 v1, 31, v1
	ds_read_b32 v52, v53 offset:64
	v_xor_b32_e32 v2, vcc_hi, v1
	v_xor_b32_e32 v3, vcc_lo, v1
	v_and_b32_e32 v1, v0, v2
	v_and_b32_e32 v0, v18, v3
	v_mbcnt_lo_u32_b32 v2, v0, 0
	v_mbcnt_hi_u32_b32 v55, v1, v2
	v_cmp_eq_u32_e32 vcc, 0, v55
	v_cmp_ne_u64_e64 s[0:1], 0, v[0:1]
	v_add_u32_e32 v54, 64, v6
	s_and_b64 s[4:5], s[0:1], vcc
	; wave barrier
	s_and_saveexec_b64 s[0:1], s[4:5]
	s_cbranch_execz .LBB1997_121
; %bb.120:
	v_bcnt_u32_b32 v0, v0, 0
	v_bcnt_u32_b32 v0, v1, v0
	s_waitcnt lgkmcnt(0)
	v_add_u32_e32 v0, v52, v0
	ds_write_b32 v53, v0 offset:64
.LBB1997_121:
	s_or_b64 exec, exec, s[0:1]
	; wave barrier
	s_waitcnt lgkmcnt(0)
	s_barrier
	ds_read2_b32 v[2:3], v6 offset0:16 offset1:17
	ds_read2_b32 v[0:1], v54 offset0:2 offset1:3
	ds_read_b32 v18, v54 offset:16
	v_cmp_lt_u32_e64 s[8:9], 31, v4
	s_waitcnt lgkmcnt(1)
	v_add3_u32 v56, v3, v2, v0
	s_waitcnt lgkmcnt(0)
	v_add3_u32 v18, v56, v1, v18
	v_and_b32_e32 v56, 15, v4
	v_cmp_eq_u32_e32 vcc, 0, v56
	v_mov_b32_dpp v57, v18 row_shr:1 row_mask:0xf bank_mask:0xf
	v_cmp_lt_u32_e64 s[0:1], 1, v56
	v_cndmask_b32_e64 v57, v57, 0, vcc
	v_add_u32_e32 v18, v57, v18
	v_cmp_lt_u32_e64 s[6:7], 3, v56
	v_cmp_lt_u32_e64 s[4:5], 7, v56
	v_mov_b32_dpp v57, v18 row_shr:2 row_mask:0xf bank_mask:0xf
	v_cndmask_b32_e64 v57, 0, v57, s[0:1]
	v_add_u32_e32 v18, v18, v57
	s_nop 1
	v_mov_b32_dpp v57, v18 row_shr:4 row_mask:0xf bank_mask:0xf
	v_cndmask_b32_e64 v57, 0, v57, s[6:7]
	v_add_u32_e32 v18, v18, v57
	s_nop 1
	v_mov_b32_dpp v57, v18 row_shr:8 row_mask:0xf bank_mask:0xf
	v_cndmask_b32_e64 v56, 0, v57, s[4:5]
	v_add_u32_e32 v18, v18, v56
	v_bfe_i32 v57, v4, 4, 1
	s_nop 0
	v_mov_b32_dpp v56, v18 row_bcast:15 row_mask:0xf bank_mask:0xf
	v_and_b32_e32 v56, v57, v56
	v_add_u32_e32 v18, v18, v56
	v_lshrrev_b32_e32 v57, 6, v10
	s_nop 0
	v_mov_b32_dpp v56, v18 row_bcast:31 row_mask:0xf bank_mask:0xf
	v_cndmask_b32_e64 v56, 0, v56, s[8:9]
	v_add_u32_e32 v56, v18, v56
	v_and_b32_e32 v18, 63, v10
	v_cmp_eq_u32_e64 s[8:9], 63, v18
	s_and_saveexec_b64 s[12:13], s[8:9]
	s_cbranch_execz .LBB1997_123
; %bb.122:
	v_lshlrev_b32_e32 v18, 2, v57
	ds_write_b32 v18, v56
.LBB1997_123:
	s_or_b64 exec, exec, s[12:13]
	v_cmp_gt_u32_e64 s[8:9], 16, v10
	v_lshlrev_b32_e32 v18, 2, v10
	s_waitcnt lgkmcnt(0)
	s_barrier
	s_and_saveexec_b64 s[12:13], s[8:9]
	s_cbranch_execz .LBB1997_125
; %bb.124:
	ds_read_b32 v58, v18
	s_waitcnt lgkmcnt(0)
	s_nop 0
	v_mov_b32_dpp v59, v58 row_shr:1 row_mask:0xf bank_mask:0xf
	v_cndmask_b32_e64 v59, v59, 0, vcc
	v_add_u32_e32 v58, v59, v58
	s_nop 1
	v_mov_b32_dpp v59, v58 row_shr:2 row_mask:0xf bank_mask:0xf
	v_cndmask_b32_e64 v59, 0, v59, s[0:1]
	v_add_u32_e32 v58, v58, v59
	s_nop 1
	v_mov_b32_dpp v59, v58 row_shr:4 row_mask:0xf bank_mask:0xf
	v_cndmask_b32_e64 v59, 0, v59, s[6:7]
	;; [unrolled: 4-line block ×3, first 2 shown]
	v_add_u32_e32 v58, v58, v59
	ds_write_b32 v18, v58
.LBB1997_125:
	s_or_b64 exec, exec, s[12:13]
	v_cmp_lt_u32_e32 vcc, 63, v10
	v_mov_b32_e32 v58, 0
	s_waitcnt lgkmcnt(0)
	s_barrier
	s_and_saveexec_b64 s[0:1], vcc
	s_cbranch_execz .LBB1997_127
; %bb.126:
	v_lshl_add_u32 v57, v57, 2, -4
	ds_read_b32 v58, v57
.LBB1997_127:
	s_or_b64 exec, exec, s[0:1]
	v_add_u32_e32 v57, -1, v4
	v_and_b32_e32 v59, 64, v4
	v_cmp_lt_i32_e32 vcc, v57, v59
	s_waitcnt lgkmcnt(0)
	v_add_u32_e32 v56, v58, v56
	s_movk_i32 s4, 0xff
	v_cndmask_b32_e32 v57, v57, v4, vcc
	v_lshlrev_b32_e32 v57, 2, v57
	ds_bpermute_b32 v56, v57, v56
	v_cmp_eq_u32_e32 vcc, 0, v4
	s_movk_i32 s5, 0x100
	v_cmp_lt_u32_e64 s[0:1], s4, v10
	s_waitcnt lgkmcnt(0)
	v_cndmask_b32_e32 v4, v56, v58, vcc
	v_cmp_ne_u32_e32 vcc, 0, v10
	s_nop 1
	v_cndmask_b32_e32 v4, 0, v4, vcc
	v_add_u32_e32 v2, v4, v2
	v_add_u32_e32 v3, v2, v3
	;; [unrolled: 1-line block ×4, first 2 shown]
	ds_write2_b32 v6, v4, v2 offset0:16 offset1:17
	ds_write2_b32 v54, v3, v0 offset0:2 offset1:3
	ds_write_b32 v54, v1 offset:16
	s_waitcnt lgkmcnt(0)
	s_barrier
	ds_read_b32 v58, v8 offset:64
	ds_read_b32 v57, v12 offset:64
	;; [unrolled: 1-line block ×12, first 2 shown]
	v_cmp_gt_u32_e32 vcc, s5, v10
                                        ; implicit-def: $vgpr6
                                        ; implicit-def: $vgpr8
	s_and_saveexec_b64 s[6:7], vcc
	s_cbranch_execz .LBB1997_131
; %bb.128:
	v_mul_u32_u24_e32 v6, 17, v10
	v_lshlrev_b32_e32 v27, 2, v6
	ds_read_b32 v6, v27 offset:64
	v_cmp_ne_u32_e64 s[4:5], s4, v10
	v_mov_b32_e32 v8, 0x3000
	s_and_saveexec_b64 s[8:9], s[4:5]
	s_cbranch_execz .LBB1997_130
; %bb.129:
	ds_read_b32 v8, v27 offset:132
.LBB1997_130:
	s_or_b64 exec, exec, s[8:9]
	s_waitcnt lgkmcnt(0)
	v_sub_u32_e32 v8, v8, v6
.LBB1997_131:
	s_or_b64 exec, exec, s[6:7]
	v_add_u32_e32 v11, v13, v11
	s_waitcnt lgkmcnt(11)
	v_add_lshl_u32 v7, v58, v7, 1
	v_add_u32_e32 v15, v19, v15
	s_waitcnt lgkmcnt(0)
	s_barrier
	ds_write_b16 v7, v5 offset:1024
	v_add_lshl_u32 v5, v11, v57, 1
	v_add_u32_e32 v21, v24, v21
	ds_write_b16 v5, v9 offset:1024
	v_add_lshl_u32 v5, v15, v56, 1
	v_add_u32_e32 v26, v30, v26
	;; [unrolled: 3-line block ×4, first 2 shown]
	v_add_u32_e32 v32, v51, v49
	v_add_u32_e32 v37, v48, v46
	;; [unrolled: 1-line block ×5, first 2 shown]
	ds_write_b16 v5, v25 offset:1024
	v_add_lshl_u32 v5, v31, v16, 1
	ds_write_b16 v5, v29 offset:1024
	v_add_lshl_u32 v5, v36, v12, 1
	v_add_lshl_u32 v4, v40, v4, 1
	v_add_lshl_u32 v3, v41, v3, 1
	v_add_lshl_u32 v2, v37, v2, 1
	v_add_lshl_u32 v1, v32, v1, 1
	v_add_lshl_u32 v0, v27, v0, 1
	ds_write_b16 v5, v34 offset:1024
	ds_write_b16 v4, v38 offset:1024
	;; [unrolled: 1-line block ×6, first 2 shown]
	s_and_saveexec_b64 s[4:5], s[0:1]
	s_xor_b64 s[0:1], exec, s[4:5]
; %bb.132:
	v_mov_b32_e32 v11, 0
                                        ; implicit-def: $vgpr18
; %bb.133:
	s_andn2_saveexec_b64 s[4:5], s[0:1]
	s_cbranch_execz .LBB1997_143
; %bb.134:
	v_lshl_or_b32 v2, s2, 8, v10
	v_mov_b32_e32 v3, 0
	v_lshl_add_u64 v[0:1], v[2:3], 2, s[28:29]
	v_or_b32_e32 v2, 2.0, v8
	s_mov_b64 s[6:7], 0
	s_brev_b32 s15, 1
	s_mov_b32 s20, s2
	v_mov_b32_e32 v7, 0
	global_store_dword v[0:1], v2, off sc1
                                        ; implicit-def: $sgpr0_sgpr1
	s_branch .LBB1997_137
.LBB1997_135:                           ;   in Loop: Header=BB1997_137 Depth=1
	s_or_b64 exec, exec, s[12:13]
.LBB1997_136:                           ;   in Loop: Header=BB1997_137 Depth=1
	s_or_b64 exec, exec, s[8:9]
	v_and_b32_e32 v4, 0x3fffffff, v9
	v_add_u32_e32 v7, v4, v7
	v_cmp_eq_u32_e64 s[0:1], s15, v2
	s_and_b64 s[8:9], exec, s[0:1]
	s_or_b64 s[6:7], s[8:9], s[6:7]
	s_andn2_b64 exec, exec, s[6:7]
	s_cbranch_execz .LBB1997_142
.LBB1997_137:                           ; =>This Loop Header: Depth=1
                                        ;     Child Loop BB1997_140 Depth 2
	s_or_b64 s[0:1], s[0:1], exec
	s_cmp_eq_u32 s20, 0
	s_cbranch_scc1 .LBB1997_141
; %bb.138:                              ;   in Loop: Header=BB1997_137 Depth=1
	s_add_i32 s20, s20, -1
	v_lshl_or_b32 v2, s20, 8, v10
	v_lshl_add_u64 v[4:5], v[2:3], 2, s[28:29]
	global_load_dword v9, v[4:5], off sc1
	s_waitcnt vmcnt(0)
	v_and_b32_e32 v2, -2.0, v9
	v_cmp_eq_u32_e64 s[0:1], 0, v2
	s_and_saveexec_b64 s[8:9], s[0:1]
	s_cbranch_execz .LBB1997_136
; %bb.139:                              ;   in Loop: Header=BB1997_137 Depth=1
	s_mov_b64 s[12:13], 0
.LBB1997_140:                           ;   Parent Loop BB1997_137 Depth=1
                                        ; =>  This Inner Loop Header: Depth=2
	global_load_dword v9, v[4:5], off sc1
	s_waitcnt vmcnt(0)
	v_and_b32_e32 v2, -2.0, v9
	v_cmp_ne_u32_e64 s[0:1], 0, v2
	s_or_b64 s[12:13], s[0:1], s[12:13]
	s_andn2_b64 exec, exec, s[12:13]
	s_cbranch_execnz .LBB1997_140
	s_branch .LBB1997_135
.LBB1997_141:                           ;   in Loop: Header=BB1997_137 Depth=1
                                        ; implicit-def: $sgpr20
	s_and_b64 s[8:9], exec, s[0:1]
	s_or_b64 s[6:7], s[8:9], s[6:7]
	s_andn2_b64 exec, exec, s[6:7]
	s_cbranch_execnz .LBB1997_137
.LBB1997_142:
	s_or_b64 exec, exec, s[6:7]
	v_add_u32_e32 v2, v7, v8
	v_or_b32_e32 v2, 0x80000000, v2
	global_store_dword v[0:1], v2, off sc1
	global_load_dword v0, v18, s[16:17]
	v_sub_u32_e32 v1, v7, v6
	v_mov_b32_e32 v11, 0
	s_waitcnt vmcnt(0)
	v_add_u32_e32 v0, v1, v0
	ds_write_b32 v18, v0
.LBB1997_143:
	s_or_b64 exec, exec, s[4:5]
	v_lshlrev_b32_e32 v0, 1, v10
	s_waitcnt lgkmcnt(0)
	s_barrier
	v_lshlrev_b32_e32 v1, 1, v10
	ds_read_u16 v0, v0 offset:1024
	ds_read_u16 v4, v1 offset:3072
	;; [unrolled: 1-line block ×7, first 2 shown]
	s_waitcnt lgkmcnt(6)
	v_lshrrev_b32_sdwa v2, s24, v0 dst_sel:DWORD dst_unused:UNUSED_PAD src0_sel:DWORD src1_sel:WORD_0
	v_and_b32_e32 v2, s14, v2
	s_waitcnt lgkmcnt(4)
	v_lshrrev_b32_sdwa v3, s24, v5 dst_sel:DWORD dst_unused:UNUSED_PAD src0_sel:DWORD src1_sel:WORD_0
	v_xor_b32_e32 v14, 0xffff8000, v0
	v_lshlrev_b32_e32 v0, 2, v2
	v_lshrrev_b32_sdwa v2, s24, v4 dst_sel:DWORD dst_unused:UNUSED_PAD src0_sel:DWORD src1_sel:WORD_0
	v_and_b32_e32 v3, s14, v3
	v_and_b32_e32 v2, s14, v2
	v_lshlrev_b32_e32 v3, 2, v3
	v_lshlrev_b32_e32 v2, 2, v2
	ds_read_b32 v15, v3
	ds_read_b32 v0, v0
	ds_read_u16 v16, v1 offset:5120
	ds_read_u16 v17, v1 offset:9216
	ds_read_u16 v18, v1 offset:13312
	ds_read_u16 v19, v1 offset:17408
	ds_read_b32 v20, v2
	ds_read_u16 v21, v1 offset:21504
	s_waitcnt lgkmcnt(6)
	v_add_u32_e32 v0, v0, v10
	v_mov_b32_e32 v1, 0
	s_movk_i32 s0, 0x400
	v_lshl_add_u64 v[2:3], v[0:1], 1, s[22:23]
	s_waitcnt lgkmcnt(1)
	v_add3_u32 v0, v20, v10, s0
	global_store_short v[2:3], v14, off
	v_xor_b32_e32 v4, 0xffff8000, v4
	v_lshl_add_u64 v[2:3], v[0:1], 1, s[22:23]
	global_store_short v[2:3], v4, off
	v_lshrrev_b32_sdwa v0, s24, v16 dst_sel:DWORD dst_unused:UNUSED_PAD src0_sel:DWORD src1_sel:WORD_0
	v_xor_b32_e32 v4, 0xffff8000, v16
	v_lshrrev_b32_sdwa v14, s24, v18 dst_sel:DWORD dst_unused:UNUSED_PAD src0_sel:DWORD src1_sel:WORD_0
	v_lshrrev_b32_sdwa v16, s24, v9 dst_sel:DWORD dst_unused:UNUSED_PAD src0_sel:DWORD src1_sel:WORD_0
	;; [unrolled: 1-line block ×4, first 2 shown]
	s_waitcnt lgkmcnt(0)
	v_lshrrev_b32_sdwa v23, s24, v21 dst_sel:DWORD dst_unused:UNUSED_PAD src0_sel:DWORD src1_sel:WORD_0
	v_and_b32_e32 v0, s14, v0
	v_lshrrev_b32_sdwa v2, s24, v17 dst_sel:DWORD dst_unused:UNUSED_PAD src0_sel:DWORD src1_sel:WORD_0
	v_lshrrev_b32_sdwa v3, s24, v7 dst_sel:DWORD dst_unused:UNUSED_PAD src0_sel:DWORD src1_sel:WORD_0
	v_and_b32_e32 v14, s14, v14
	v_and_b32_e32 v16, s14, v16
	;; [unrolled: 1-line block ×5, first 2 shown]
	v_lshlrev_b32_e32 v0, 2, v0
	v_and_b32_e32 v2, s14, v2
	v_and_b32_e32 v3, s14, v3
	v_lshlrev_b32_e32 v14, 2, v14
	v_lshlrev_b32_e32 v16, 2, v16
	v_lshlrev_b32_e32 v20, 2, v20
	v_lshlrev_b32_e32 v22, 2, v22
	v_lshlrev_b32_e32 v23, 2, v23
	s_movk_i32 s0, 0x800
	v_lshlrev_b32_e32 v2, 2, v2
	v_lshlrev_b32_e32 v3, 2, v3
	ds_read_b32 v0, v0
	ds_read_b32 v24, v2
	;; [unrolled: 1-line block ×8, first 2 shown]
	s_waitcnt lgkmcnt(7)
	v_add3_u32 v0, v0, v10, s0
	s_movk_i32 s0, 0xc00
	v_lshl_add_u64 v[2:3], v[0:1], 1, s[22:23]
	v_add3_u32 v0, v15, v10, s0
	s_movk_i32 s0, 0x1000
	global_store_short v[2:3], v4, off
	v_xor_b32_e32 v4, 0xffff8000, v5
	v_lshl_add_u64 v[2:3], v[0:1], 1, s[22:23]
	s_waitcnt lgkmcnt(6)
	v_add3_u32 v0, v24, v10, s0
	s_movk_i32 s0, 0x1400
	global_store_short v[2:3], v4, off
	v_xor_b32_e32 v4, 0xffff8000, v17
	v_lshl_add_u64 v[2:3], v[0:1], 1, s[22:23]
	s_waitcnt lgkmcnt(5)
	;; [unrolled: 6-line block ×6, first 2 shown]
	v_add3_u32 v0, v22, v10, s0
	global_store_short v[2:3], v4, off
	v_xor_b32_e32 v4, 0xffff8000, v12
	v_lshl_add_u64 v[2:3], v[0:1], 1, s[22:23]
	global_store_short v[2:3], v4, off
	v_lshrrev_b32_sdwa v2, s24, v13 dst_sel:DWORD dst_unused:UNUSED_PAD src0_sel:DWORD src1_sel:WORD_0
	v_and_b32_e32 v2, s14, v2
	v_lshlrev_b32_e32 v2, 2, v2
	ds_read_b32 v5, v2
	s_movk_i32 s0, 0x2800
	s_add_i32 s3, s3, -1
	s_waitcnt lgkmcnt(1)
	v_add3_u32 v0, v23, v10, s0
	s_movk_i32 s0, 0x2c00
	s_cmp_eq_u32 s3, s2
	v_xor_b32_e32 v4, 0xffff8000, v21
	v_lshl_add_u64 v[2:3], v[0:1], 1, s[22:23]
	s_waitcnt lgkmcnt(0)
	v_add3_u32 v0, v5, v10, s0
	s_cselect_b64 s[0:1], -1, 0
	global_store_short v[2:3], v4, off
	v_xor_b32_e32 v2, 0xffff8000, v13
	v_lshl_add_u64 v[0:1], v[0:1], 1, s[22:23]
	s_and_b64 s[2:3], vcc, s[0:1]
	global_store_short v[0:1], v2, off
                                        ; implicit-def: $vgpr2
	s_and_saveexec_b64 s[0:1], s[2:3]
; %bb.144:
	v_add_u32_e32 v2, v6, v8
	s_or_b64 s[10:11], s[10:11], exec
; %bb.145:
	s_or_b64 exec, exec, s[0:1]
.LBB1997_146:
	s_and_saveexec_b64 s[0:1], s[10:11]
	s_cbranch_execnz .LBB1997_148
; %bb.147:
	s_endpgm
.LBB1997_148:
	v_lshlrev_b32_e32 v0, 2, v10
	ds_read_b32 v3, v0
	v_mov_b32_e32 v0, s18
	v_mov_b32_e32 v1, s19
	v_lshl_add_u64 v[0:1], v[10:11], 2, v[0:1]
	s_waitcnt lgkmcnt(0)
	v_add_u32_e32 v2, v3, v2
	global_store_dword v[0:1], v2, off
	s_endpgm
	.section	.rodata,"a",@progbits
	.p2align	6, 0x0
	.amdhsa_kernel _ZN7rocprim17ROCPRIM_400000_NS6detail17trampoline_kernelINS0_14default_configENS1_35radix_sort_onesweep_config_selectorIsNS0_10empty_typeEEEZZNS1_29radix_sort_onesweep_iterationIS3_Lb0EN6thrust23THRUST_200600_302600_NS6detail15normal_iteratorINS9_10device_ptrIsEEEESE_PS5_SF_jNS0_19identity_decomposerENS1_16block_id_wrapperIjLb0EEEEE10hipError_tT1_PNSt15iterator_traitsISK_E10value_typeET2_T3_PNSL_ISQ_E10value_typeET4_T5_PSV_SW_PNS1_23onesweep_lookback_stateEbbT6_jjT7_P12ihipStream_tbENKUlT_T0_SK_SP_E_clIPsSE_SF_SF_EEDaS13_S14_SK_SP_EUlS13_E_NS1_11comp_targetILNS1_3genE5ELNS1_11target_archE942ELNS1_3gpuE9ELNS1_3repE0EEENS1_47radix_sort_onesweep_sort_config_static_selectorELNS0_4arch9wavefront6targetE1EEEvSK_
		.amdhsa_group_segment_fixed_size 25608
		.amdhsa_private_segment_fixed_size 0
		.amdhsa_kernarg_size 344
		.amdhsa_user_sgpr_count 2
		.amdhsa_user_sgpr_dispatch_ptr 0
		.amdhsa_user_sgpr_queue_ptr 0
		.amdhsa_user_sgpr_kernarg_segment_ptr 1
		.amdhsa_user_sgpr_dispatch_id 0
		.amdhsa_user_sgpr_kernarg_preload_length 0
		.amdhsa_user_sgpr_kernarg_preload_offset 0
		.amdhsa_user_sgpr_private_segment_size 0
		.amdhsa_uses_dynamic_stack 0
		.amdhsa_enable_private_segment 0
		.amdhsa_system_sgpr_workgroup_id_x 1
		.amdhsa_system_sgpr_workgroup_id_y 0
		.amdhsa_system_sgpr_workgroup_id_z 0
		.amdhsa_system_sgpr_workgroup_info 0
		.amdhsa_system_vgpr_workitem_id 2
		.amdhsa_next_free_vgpr 62
		.amdhsa_next_free_sgpr 32
		.amdhsa_accum_offset 64
		.amdhsa_reserve_vcc 1
		.amdhsa_float_round_mode_32 0
		.amdhsa_float_round_mode_16_64 0
		.amdhsa_float_denorm_mode_32 3
		.amdhsa_float_denorm_mode_16_64 3
		.amdhsa_dx10_clamp 1
		.amdhsa_ieee_mode 1
		.amdhsa_fp16_overflow 0
		.amdhsa_tg_split 0
		.amdhsa_exception_fp_ieee_invalid_op 0
		.amdhsa_exception_fp_denorm_src 0
		.amdhsa_exception_fp_ieee_div_zero 0
		.amdhsa_exception_fp_ieee_overflow 0
		.amdhsa_exception_fp_ieee_underflow 0
		.amdhsa_exception_fp_ieee_inexact 0
		.amdhsa_exception_int_div_zero 0
	.end_amdhsa_kernel
	.section	.text._ZN7rocprim17ROCPRIM_400000_NS6detail17trampoline_kernelINS0_14default_configENS1_35radix_sort_onesweep_config_selectorIsNS0_10empty_typeEEEZZNS1_29radix_sort_onesweep_iterationIS3_Lb0EN6thrust23THRUST_200600_302600_NS6detail15normal_iteratorINS9_10device_ptrIsEEEESE_PS5_SF_jNS0_19identity_decomposerENS1_16block_id_wrapperIjLb0EEEEE10hipError_tT1_PNSt15iterator_traitsISK_E10value_typeET2_T3_PNSL_ISQ_E10value_typeET4_T5_PSV_SW_PNS1_23onesweep_lookback_stateEbbT6_jjT7_P12ihipStream_tbENKUlT_T0_SK_SP_E_clIPsSE_SF_SF_EEDaS13_S14_SK_SP_EUlS13_E_NS1_11comp_targetILNS1_3genE5ELNS1_11target_archE942ELNS1_3gpuE9ELNS1_3repE0EEENS1_47radix_sort_onesweep_sort_config_static_selectorELNS0_4arch9wavefront6targetE1EEEvSK_,"axG",@progbits,_ZN7rocprim17ROCPRIM_400000_NS6detail17trampoline_kernelINS0_14default_configENS1_35radix_sort_onesweep_config_selectorIsNS0_10empty_typeEEEZZNS1_29radix_sort_onesweep_iterationIS3_Lb0EN6thrust23THRUST_200600_302600_NS6detail15normal_iteratorINS9_10device_ptrIsEEEESE_PS5_SF_jNS0_19identity_decomposerENS1_16block_id_wrapperIjLb0EEEEE10hipError_tT1_PNSt15iterator_traitsISK_E10value_typeET2_T3_PNSL_ISQ_E10value_typeET4_T5_PSV_SW_PNS1_23onesweep_lookback_stateEbbT6_jjT7_P12ihipStream_tbENKUlT_T0_SK_SP_E_clIPsSE_SF_SF_EEDaS13_S14_SK_SP_EUlS13_E_NS1_11comp_targetILNS1_3genE5ELNS1_11target_archE942ELNS1_3gpuE9ELNS1_3repE0EEENS1_47radix_sort_onesweep_sort_config_static_selectorELNS0_4arch9wavefront6targetE1EEEvSK_,comdat
.Lfunc_end1997:
	.size	_ZN7rocprim17ROCPRIM_400000_NS6detail17trampoline_kernelINS0_14default_configENS1_35radix_sort_onesweep_config_selectorIsNS0_10empty_typeEEEZZNS1_29radix_sort_onesweep_iterationIS3_Lb0EN6thrust23THRUST_200600_302600_NS6detail15normal_iteratorINS9_10device_ptrIsEEEESE_PS5_SF_jNS0_19identity_decomposerENS1_16block_id_wrapperIjLb0EEEEE10hipError_tT1_PNSt15iterator_traitsISK_E10value_typeET2_T3_PNSL_ISQ_E10value_typeET4_T5_PSV_SW_PNS1_23onesweep_lookback_stateEbbT6_jjT7_P12ihipStream_tbENKUlT_T0_SK_SP_E_clIPsSE_SF_SF_EEDaS13_S14_SK_SP_EUlS13_E_NS1_11comp_targetILNS1_3genE5ELNS1_11target_archE942ELNS1_3gpuE9ELNS1_3repE0EEENS1_47radix_sort_onesweep_sort_config_static_selectorELNS0_4arch9wavefront6targetE1EEEvSK_, .Lfunc_end1997-_ZN7rocprim17ROCPRIM_400000_NS6detail17trampoline_kernelINS0_14default_configENS1_35radix_sort_onesweep_config_selectorIsNS0_10empty_typeEEEZZNS1_29radix_sort_onesweep_iterationIS3_Lb0EN6thrust23THRUST_200600_302600_NS6detail15normal_iteratorINS9_10device_ptrIsEEEESE_PS5_SF_jNS0_19identity_decomposerENS1_16block_id_wrapperIjLb0EEEEE10hipError_tT1_PNSt15iterator_traitsISK_E10value_typeET2_T3_PNSL_ISQ_E10value_typeET4_T5_PSV_SW_PNS1_23onesweep_lookback_stateEbbT6_jjT7_P12ihipStream_tbENKUlT_T0_SK_SP_E_clIPsSE_SF_SF_EEDaS13_S14_SK_SP_EUlS13_E_NS1_11comp_targetILNS1_3genE5ELNS1_11target_archE942ELNS1_3gpuE9ELNS1_3repE0EEENS1_47radix_sort_onesweep_sort_config_static_selectorELNS0_4arch9wavefront6targetE1EEEvSK_
                                        ; -- End function
	.section	.AMDGPU.csdata,"",@progbits
; Kernel info:
; codeLenInByte = 15996
; NumSgprs: 38
; NumVgprs: 62
; NumAgprs: 0
; TotalNumVgprs: 62
; ScratchSize: 0
; MemoryBound: 0
; FloatMode: 240
; IeeeMode: 1
; LDSByteSize: 25608 bytes/workgroup (compile time only)
; SGPRBlocks: 4
; VGPRBlocks: 7
; NumSGPRsForWavesPerEU: 38
; NumVGPRsForWavesPerEU: 62
; AccumOffset: 64
; Occupancy: 8
; WaveLimiterHint : 1
; COMPUTE_PGM_RSRC2:SCRATCH_EN: 0
; COMPUTE_PGM_RSRC2:USER_SGPR: 2
; COMPUTE_PGM_RSRC2:TRAP_HANDLER: 0
; COMPUTE_PGM_RSRC2:TGID_X_EN: 1
; COMPUTE_PGM_RSRC2:TGID_Y_EN: 0
; COMPUTE_PGM_RSRC2:TGID_Z_EN: 0
; COMPUTE_PGM_RSRC2:TIDIG_COMP_CNT: 2
; COMPUTE_PGM_RSRC3_GFX90A:ACCUM_OFFSET: 15
; COMPUTE_PGM_RSRC3_GFX90A:TG_SPLIT: 0
	.section	.text._ZN7rocprim17ROCPRIM_400000_NS6detail17trampoline_kernelINS0_14default_configENS1_35radix_sort_onesweep_config_selectorIsNS0_10empty_typeEEEZZNS1_29radix_sort_onesweep_iterationIS3_Lb0EN6thrust23THRUST_200600_302600_NS6detail15normal_iteratorINS9_10device_ptrIsEEEESE_PS5_SF_jNS0_19identity_decomposerENS1_16block_id_wrapperIjLb0EEEEE10hipError_tT1_PNSt15iterator_traitsISK_E10value_typeET2_T3_PNSL_ISQ_E10value_typeET4_T5_PSV_SW_PNS1_23onesweep_lookback_stateEbbT6_jjT7_P12ihipStream_tbENKUlT_T0_SK_SP_E_clIPsSE_SF_SF_EEDaS13_S14_SK_SP_EUlS13_E_NS1_11comp_targetILNS1_3genE2ELNS1_11target_archE906ELNS1_3gpuE6ELNS1_3repE0EEENS1_47radix_sort_onesweep_sort_config_static_selectorELNS0_4arch9wavefront6targetE1EEEvSK_,"axG",@progbits,_ZN7rocprim17ROCPRIM_400000_NS6detail17trampoline_kernelINS0_14default_configENS1_35radix_sort_onesweep_config_selectorIsNS0_10empty_typeEEEZZNS1_29radix_sort_onesweep_iterationIS3_Lb0EN6thrust23THRUST_200600_302600_NS6detail15normal_iteratorINS9_10device_ptrIsEEEESE_PS5_SF_jNS0_19identity_decomposerENS1_16block_id_wrapperIjLb0EEEEE10hipError_tT1_PNSt15iterator_traitsISK_E10value_typeET2_T3_PNSL_ISQ_E10value_typeET4_T5_PSV_SW_PNS1_23onesweep_lookback_stateEbbT6_jjT7_P12ihipStream_tbENKUlT_T0_SK_SP_E_clIPsSE_SF_SF_EEDaS13_S14_SK_SP_EUlS13_E_NS1_11comp_targetILNS1_3genE2ELNS1_11target_archE906ELNS1_3gpuE6ELNS1_3repE0EEENS1_47radix_sort_onesweep_sort_config_static_selectorELNS0_4arch9wavefront6targetE1EEEvSK_,comdat
	.protected	_ZN7rocprim17ROCPRIM_400000_NS6detail17trampoline_kernelINS0_14default_configENS1_35radix_sort_onesweep_config_selectorIsNS0_10empty_typeEEEZZNS1_29radix_sort_onesweep_iterationIS3_Lb0EN6thrust23THRUST_200600_302600_NS6detail15normal_iteratorINS9_10device_ptrIsEEEESE_PS5_SF_jNS0_19identity_decomposerENS1_16block_id_wrapperIjLb0EEEEE10hipError_tT1_PNSt15iterator_traitsISK_E10value_typeET2_T3_PNSL_ISQ_E10value_typeET4_T5_PSV_SW_PNS1_23onesweep_lookback_stateEbbT6_jjT7_P12ihipStream_tbENKUlT_T0_SK_SP_E_clIPsSE_SF_SF_EEDaS13_S14_SK_SP_EUlS13_E_NS1_11comp_targetILNS1_3genE2ELNS1_11target_archE906ELNS1_3gpuE6ELNS1_3repE0EEENS1_47radix_sort_onesweep_sort_config_static_selectorELNS0_4arch9wavefront6targetE1EEEvSK_ ; -- Begin function _ZN7rocprim17ROCPRIM_400000_NS6detail17trampoline_kernelINS0_14default_configENS1_35radix_sort_onesweep_config_selectorIsNS0_10empty_typeEEEZZNS1_29radix_sort_onesweep_iterationIS3_Lb0EN6thrust23THRUST_200600_302600_NS6detail15normal_iteratorINS9_10device_ptrIsEEEESE_PS5_SF_jNS0_19identity_decomposerENS1_16block_id_wrapperIjLb0EEEEE10hipError_tT1_PNSt15iterator_traitsISK_E10value_typeET2_T3_PNSL_ISQ_E10value_typeET4_T5_PSV_SW_PNS1_23onesweep_lookback_stateEbbT6_jjT7_P12ihipStream_tbENKUlT_T0_SK_SP_E_clIPsSE_SF_SF_EEDaS13_S14_SK_SP_EUlS13_E_NS1_11comp_targetILNS1_3genE2ELNS1_11target_archE906ELNS1_3gpuE6ELNS1_3repE0EEENS1_47radix_sort_onesweep_sort_config_static_selectorELNS0_4arch9wavefront6targetE1EEEvSK_
	.globl	_ZN7rocprim17ROCPRIM_400000_NS6detail17trampoline_kernelINS0_14default_configENS1_35radix_sort_onesweep_config_selectorIsNS0_10empty_typeEEEZZNS1_29radix_sort_onesweep_iterationIS3_Lb0EN6thrust23THRUST_200600_302600_NS6detail15normal_iteratorINS9_10device_ptrIsEEEESE_PS5_SF_jNS0_19identity_decomposerENS1_16block_id_wrapperIjLb0EEEEE10hipError_tT1_PNSt15iterator_traitsISK_E10value_typeET2_T3_PNSL_ISQ_E10value_typeET4_T5_PSV_SW_PNS1_23onesweep_lookback_stateEbbT6_jjT7_P12ihipStream_tbENKUlT_T0_SK_SP_E_clIPsSE_SF_SF_EEDaS13_S14_SK_SP_EUlS13_E_NS1_11comp_targetILNS1_3genE2ELNS1_11target_archE906ELNS1_3gpuE6ELNS1_3repE0EEENS1_47radix_sort_onesweep_sort_config_static_selectorELNS0_4arch9wavefront6targetE1EEEvSK_
	.p2align	8
	.type	_ZN7rocprim17ROCPRIM_400000_NS6detail17trampoline_kernelINS0_14default_configENS1_35radix_sort_onesweep_config_selectorIsNS0_10empty_typeEEEZZNS1_29radix_sort_onesweep_iterationIS3_Lb0EN6thrust23THRUST_200600_302600_NS6detail15normal_iteratorINS9_10device_ptrIsEEEESE_PS5_SF_jNS0_19identity_decomposerENS1_16block_id_wrapperIjLb0EEEEE10hipError_tT1_PNSt15iterator_traitsISK_E10value_typeET2_T3_PNSL_ISQ_E10value_typeET4_T5_PSV_SW_PNS1_23onesweep_lookback_stateEbbT6_jjT7_P12ihipStream_tbENKUlT_T0_SK_SP_E_clIPsSE_SF_SF_EEDaS13_S14_SK_SP_EUlS13_E_NS1_11comp_targetILNS1_3genE2ELNS1_11target_archE906ELNS1_3gpuE6ELNS1_3repE0EEENS1_47radix_sort_onesweep_sort_config_static_selectorELNS0_4arch9wavefront6targetE1EEEvSK_,@function
_ZN7rocprim17ROCPRIM_400000_NS6detail17trampoline_kernelINS0_14default_configENS1_35radix_sort_onesweep_config_selectorIsNS0_10empty_typeEEEZZNS1_29radix_sort_onesweep_iterationIS3_Lb0EN6thrust23THRUST_200600_302600_NS6detail15normal_iteratorINS9_10device_ptrIsEEEESE_PS5_SF_jNS0_19identity_decomposerENS1_16block_id_wrapperIjLb0EEEEE10hipError_tT1_PNSt15iterator_traitsISK_E10value_typeET2_T3_PNSL_ISQ_E10value_typeET4_T5_PSV_SW_PNS1_23onesweep_lookback_stateEbbT6_jjT7_P12ihipStream_tbENKUlT_T0_SK_SP_E_clIPsSE_SF_SF_EEDaS13_S14_SK_SP_EUlS13_E_NS1_11comp_targetILNS1_3genE2ELNS1_11target_archE906ELNS1_3gpuE6ELNS1_3repE0EEENS1_47radix_sort_onesweep_sort_config_static_selectorELNS0_4arch9wavefront6targetE1EEEvSK_: ; @_ZN7rocprim17ROCPRIM_400000_NS6detail17trampoline_kernelINS0_14default_configENS1_35radix_sort_onesweep_config_selectorIsNS0_10empty_typeEEEZZNS1_29radix_sort_onesweep_iterationIS3_Lb0EN6thrust23THRUST_200600_302600_NS6detail15normal_iteratorINS9_10device_ptrIsEEEESE_PS5_SF_jNS0_19identity_decomposerENS1_16block_id_wrapperIjLb0EEEEE10hipError_tT1_PNSt15iterator_traitsISK_E10value_typeET2_T3_PNSL_ISQ_E10value_typeET4_T5_PSV_SW_PNS1_23onesweep_lookback_stateEbbT6_jjT7_P12ihipStream_tbENKUlT_T0_SK_SP_E_clIPsSE_SF_SF_EEDaS13_S14_SK_SP_EUlS13_E_NS1_11comp_targetILNS1_3genE2ELNS1_11target_archE906ELNS1_3gpuE6ELNS1_3repE0EEENS1_47radix_sort_onesweep_sort_config_static_selectorELNS0_4arch9wavefront6targetE1EEEvSK_
; %bb.0:
	.section	.rodata,"a",@progbits
	.p2align	6, 0x0
	.amdhsa_kernel _ZN7rocprim17ROCPRIM_400000_NS6detail17trampoline_kernelINS0_14default_configENS1_35radix_sort_onesweep_config_selectorIsNS0_10empty_typeEEEZZNS1_29radix_sort_onesweep_iterationIS3_Lb0EN6thrust23THRUST_200600_302600_NS6detail15normal_iteratorINS9_10device_ptrIsEEEESE_PS5_SF_jNS0_19identity_decomposerENS1_16block_id_wrapperIjLb0EEEEE10hipError_tT1_PNSt15iterator_traitsISK_E10value_typeET2_T3_PNSL_ISQ_E10value_typeET4_T5_PSV_SW_PNS1_23onesweep_lookback_stateEbbT6_jjT7_P12ihipStream_tbENKUlT_T0_SK_SP_E_clIPsSE_SF_SF_EEDaS13_S14_SK_SP_EUlS13_E_NS1_11comp_targetILNS1_3genE2ELNS1_11target_archE906ELNS1_3gpuE6ELNS1_3repE0EEENS1_47radix_sort_onesweep_sort_config_static_selectorELNS0_4arch9wavefront6targetE1EEEvSK_
		.amdhsa_group_segment_fixed_size 0
		.amdhsa_private_segment_fixed_size 0
		.amdhsa_kernarg_size 88
		.amdhsa_user_sgpr_count 2
		.amdhsa_user_sgpr_dispatch_ptr 0
		.amdhsa_user_sgpr_queue_ptr 0
		.amdhsa_user_sgpr_kernarg_segment_ptr 1
		.amdhsa_user_sgpr_dispatch_id 0
		.amdhsa_user_sgpr_kernarg_preload_length 0
		.amdhsa_user_sgpr_kernarg_preload_offset 0
		.amdhsa_user_sgpr_private_segment_size 0
		.amdhsa_uses_dynamic_stack 0
		.amdhsa_enable_private_segment 0
		.amdhsa_system_sgpr_workgroup_id_x 1
		.amdhsa_system_sgpr_workgroup_id_y 0
		.amdhsa_system_sgpr_workgroup_id_z 0
		.amdhsa_system_sgpr_workgroup_info 0
		.amdhsa_system_vgpr_workitem_id 0
		.amdhsa_next_free_vgpr 1
		.amdhsa_next_free_sgpr 0
		.amdhsa_accum_offset 4
		.amdhsa_reserve_vcc 0
		.amdhsa_float_round_mode_32 0
		.amdhsa_float_round_mode_16_64 0
		.amdhsa_float_denorm_mode_32 3
		.amdhsa_float_denorm_mode_16_64 3
		.amdhsa_dx10_clamp 1
		.amdhsa_ieee_mode 1
		.amdhsa_fp16_overflow 0
		.amdhsa_tg_split 0
		.amdhsa_exception_fp_ieee_invalid_op 0
		.amdhsa_exception_fp_denorm_src 0
		.amdhsa_exception_fp_ieee_div_zero 0
		.amdhsa_exception_fp_ieee_overflow 0
		.amdhsa_exception_fp_ieee_underflow 0
		.amdhsa_exception_fp_ieee_inexact 0
		.amdhsa_exception_int_div_zero 0
	.end_amdhsa_kernel
	.section	.text._ZN7rocprim17ROCPRIM_400000_NS6detail17trampoline_kernelINS0_14default_configENS1_35radix_sort_onesweep_config_selectorIsNS0_10empty_typeEEEZZNS1_29radix_sort_onesweep_iterationIS3_Lb0EN6thrust23THRUST_200600_302600_NS6detail15normal_iteratorINS9_10device_ptrIsEEEESE_PS5_SF_jNS0_19identity_decomposerENS1_16block_id_wrapperIjLb0EEEEE10hipError_tT1_PNSt15iterator_traitsISK_E10value_typeET2_T3_PNSL_ISQ_E10value_typeET4_T5_PSV_SW_PNS1_23onesweep_lookback_stateEbbT6_jjT7_P12ihipStream_tbENKUlT_T0_SK_SP_E_clIPsSE_SF_SF_EEDaS13_S14_SK_SP_EUlS13_E_NS1_11comp_targetILNS1_3genE2ELNS1_11target_archE906ELNS1_3gpuE6ELNS1_3repE0EEENS1_47radix_sort_onesweep_sort_config_static_selectorELNS0_4arch9wavefront6targetE1EEEvSK_,"axG",@progbits,_ZN7rocprim17ROCPRIM_400000_NS6detail17trampoline_kernelINS0_14default_configENS1_35radix_sort_onesweep_config_selectorIsNS0_10empty_typeEEEZZNS1_29radix_sort_onesweep_iterationIS3_Lb0EN6thrust23THRUST_200600_302600_NS6detail15normal_iteratorINS9_10device_ptrIsEEEESE_PS5_SF_jNS0_19identity_decomposerENS1_16block_id_wrapperIjLb0EEEEE10hipError_tT1_PNSt15iterator_traitsISK_E10value_typeET2_T3_PNSL_ISQ_E10value_typeET4_T5_PSV_SW_PNS1_23onesweep_lookback_stateEbbT6_jjT7_P12ihipStream_tbENKUlT_T0_SK_SP_E_clIPsSE_SF_SF_EEDaS13_S14_SK_SP_EUlS13_E_NS1_11comp_targetILNS1_3genE2ELNS1_11target_archE906ELNS1_3gpuE6ELNS1_3repE0EEENS1_47radix_sort_onesweep_sort_config_static_selectorELNS0_4arch9wavefront6targetE1EEEvSK_,comdat
.Lfunc_end1998:
	.size	_ZN7rocprim17ROCPRIM_400000_NS6detail17trampoline_kernelINS0_14default_configENS1_35radix_sort_onesweep_config_selectorIsNS0_10empty_typeEEEZZNS1_29radix_sort_onesweep_iterationIS3_Lb0EN6thrust23THRUST_200600_302600_NS6detail15normal_iteratorINS9_10device_ptrIsEEEESE_PS5_SF_jNS0_19identity_decomposerENS1_16block_id_wrapperIjLb0EEEEE10hipError_tT1_PNSt15iterator_traitsISK_E10value_typeET2_T3_PNSL_ISQ_E10value_typeET4_T5_PSV_SW_PNS1_23onesweep_lookback_stateEbbT6_jjT7_P12ihipStream_tbENKUlT_T0_SK_SP_E_clIPsSE_SF_SF_EEDaS13_S14_SK_SP_EUlS13_E_NS1_11comp_targetILNS1_3genE2ELNS1_11target_archE906ELNS1_3gpuE6ELNS1_3repE0EEENS1_47radix_sort_onesweep_sort_config_static_selectorELNS0_4arch9wavefront6targetE1EEEvSK_, .Lfunc_end1998-_ZN7rocprim17ROCPRIM_400000_NS6detail17trampoline_kernelINS0_14default_configENS1_35radix_sort_onesweep_config_selectorIsNS0_10empty_typeEEEZZNS1_29radix_sort_onesweep_iterationIS3_Lb0EN6thrust23THRUST_200600_302600_NS6detail15normal_iteratorINS9_10device_ptrIsEEEESE_PS5_SF_jNS0_19identity_decomposerENS1_16block_id_wrapperIjLb0EEEEE10hipError_tT1_PNSt15iterator_traitsISK_E10value_typeET2_T3_PNSL_ISQ_E10value_typeET4_T5_PSV_SW_PNS1_23onesweep_lookback_stateEbbT6_jjT7_P12ihipStream_tbENKUlT_T0_SK_SP_E_clIPsSE_SF_SF_EEDaS13_S14_SK_SP_EUlS13_E_NS1_11comp_targetILNS1_3genE2ELNS1_11target_archE906ELNS1_3gpuE6ELNS1_3repE0EEENS1_47radix_sort_onesweep_sort_config_static_selectorELNS0_4arch9wavefront6targetE1EEEvSK_
                                        ; -- End function
	.section	.AMDGPU.csdata,"",@progbits
; Kernel info:
; codeLenInByte = 0
; NumSgprs: 6
; NumVgprs: 0
; NumAgprs: 0
; TotalNumVgprs: 0
; ScratchSize: 0
; MemoryBound: 0
; FloatMode: 240
; IeeeMode: 1
; LDSByteSize: 0 bytes/workgroup (compile time only)
; SGPRBlocks: 0
; VGPRBlocks: 0
; NumSGPRsForWavesPerEU: 6
; NumVGPRsForWavesPerEU: 1
; AccumOffset: 4
; Occupancy: 8
; WaveLimiterHint : 0
; COMPUTE_PGM_RSRC2:SCRATCH_EN: 0
; COMPUTE_PGM_RSRC2:USER_SGPR: 2
; COMPUTE_PGM_RSRC2:TRAP_HANDLER: 0
; COMPUTE_PGM_RSRC2:TGID_X_EN: 1
; COMPUTE_PGM_RSRC2:TGID_Y_EN: 0
; COMPUTE_PGM_RSRC2:TGID_Z_EN: 0
; COMPUTE_PGM_RSRC2:TIDIG_COMP_CNT: 0
; COMPUTE_PGM_RSRC3_GFX90A:ACCUM_OFFSET: 0
; COMPUTE_PGM_RSRC3_GFX90A:TG_SPLIT: 0
	.section	.text._ZN7rocprim17ROCPRIM_400000_NS6detail17trampoline_kernelINS0_14default_configENS1_35radix_sort_onesweep_config_selectorIsNS0_10empty_typeEEEZZNS1_29radix_sort_onesweep_iterationIS3_Lb0EN6thrust23THRUST_200600_302600_NS6detail15normal_iteratorINS9_10device_ptrIsEEEESE_PS5_SF_jNS0_19identity_decomposerENS1_16block_id_wrapperIjLb0EEEEE10hipError_tT1_PNSt15iterator_traitsISK_E10value_typeET2_T3_PNSL_ISQ_E10value_typeET4_T5_PSV_SW_PNS1_23onesweep_lookback_stateEbbT6_jjT7_P12ihipStream_tbENKUlT_T0_SK_SP_E_clIPsSE_SF_SF_EEDaS13_S14_SK_SP_EUlS13_E_NS1_11comp_targetILNS1_3genE4ELNS1_11target_archE910ELNS1_3gpuE8ELNS1_3repE0EEENS1_47radix_sort_onesweep_sort_config_static_selectorELNS0_4arch9wavefront6targetE1EEEvSK_,"axG",@progbits,_ZN7rocprim17ROCPRIM_400000_NS6detail17trampoline_kernelINS0_14default_configENS1_35radix_sort_onesweep_config_selectorIsNS0_10empty_typeEEEZZNS1_29radix_sort_onesweep_iterationIS3_Lb0EN6thrust23THRUST_200600_302600_NS6detail15normal_iteratorINS9_10device_ptrIsEEEESE_PS5_SF_jNS0_19identity_decomposerENS1_16block_id_wrapperIjLb0EEEEE10hipError_tT1_PNSt15iterator_traitsISK_E10value_typeET2_T3_PNSL_ISQ_E10value_typeET4_T5_PSV_SW_PNS1_23onesweep_lookback_stateEbbT6_jjT7_P12ihipStream_tbENKUlT_T0_SK_SP_E_clIPsSE_SF_SF_EEDaS13_S14_SK_SP_EUlS13_E_NS1_11comp_targetILNS1_3genE4ELNS1_11target_archE910ELNS1_3gpuE8ELNS1_3repE0EEENS1_47radix_sort_onesweep_sort_config_static_selectorELNS0_4arch9wavefront6targetE1EEEvSK_,comdat
	.protected	_ZN7rocprim17ROCPRIM_400000_NS6detail17trampoline_kernelINS0_14default_configENS1_35radix_sort_onesweep_config_selectorIsNS0_10empty_typeEEEZZNS1_29radix_sort_onesweep_iterationIS3_Lb0EN6thrust23THRUST_200600_302600_NS6detail15normal_iteratorINS9_10device_ptrIsEEEESE_PS5_SF_jNS0_19identity_decomposerENS1_16block_id_wrapperIjLb0EEEEE10hipError_tT1_PNSt15iterator_traitsISK_E10value_typeET2_T3_PNSL_ISQ_E10value_typeET4_T5_PSV_SW_PNS1_23onesweep_lookback_stateEbbT6_jjT7_P12ihipStream_tbENKUlT_T0_SK_SP_E_clIPsSE_SF_SF_EEDaS13_S14_SK_SP_EUlS13_E_NS1_11comp_targetILNS1_3genE4ELNS1_11target_archE910ELNS1_3gpuE8ELNS1_3repE0EEENS1_47radix_sort_onesweep_sort_config_static_selectorELNS0_4arch9wavefront6targetE1EEEvSK_ ; -- Begin function _ZN7rocprim17ROCPRIM_400000_NS6detail17trampoline_kernelINS0_14default_configENS1_35radix_sort_onesweep_config_selectorIsNS0_10empty_typeEEEZZNS1_29radix_sort_onesweep_iterationIS3_Lb0EN6thrust23THRUST_200600_302600_NS6detail15normal_iteratorINS9_10device_ptrIsEEEESE_PS5_SF_jNS0_19identity_decomposerENS1_16block_id_wrapperIjLb0EEEEE10hipError_tT1_PNSt15iterator_traitsISK_E10value_typeET2_T3_PNSL_ISQ_E10value_typeET4_T5_PSV_SW_PNS1_23onesweep_lookback_stateEbbT6_jjT7_P12ihipStream_tbENKUlT_T0_SK_SP_E_clIPsSE_SF_SF_EEDaS13_S14_SK_SP_EUlS13_E_NS1_11comp_targetILNS1_3genE4ELNS1_11target_archE910ELNS1_3gpuE8ELNS1_3repE0EEENS1_47radix_sort_onesweep_sort_config_static_selectorELNS0_4arch9wavefront6targetE1EEEvSK_
	.globl	_ZN7rocprim17ROCPRIM_400000_NS6detail17trampoline_kernelINS0_14default_configENS1_35radix_sort_onesweep_config_selectorIsNS0_10empty_typeEEEZZNS1_29radix_sort_onesweep_iterationIS3_Lb0EN6thrust23THRUST_200600_302600_NS6detail15normal_iteratorINS9_10device_ptrIsEEEESE_PS5_SF_jNS0_19identity_decomposerENS1_16block_id_wrapperIjLb0EEEEE10hipError_tT1_PNSt15iterator_traitsISK_E10value_typeET2_T3_PNSL_ISQ_E10value_typeET4_T5_PSV_SW_PNS1_23onesweep_lookback_stateEbbT6_jjT7_P12ihipStream_tbENKUlT_T0_SK_SP_E_clIPsSE_SF_SF_EEDaS13_S14_SK_SP_EUlS13_E_NS1_11comp_targetILNS1_3genE4ELNS1_11target_archE910ELNS1_3gpuE8ELNS1_3repE0EEENS1_47radix_sort_onesweep_sort_config_static_selectorELNS0_4arch9wavefront6targetE1EEEvSK_
	.p2align	8
	.type	_ZN7rocprim17ROCPRIM_400000_NS6detail17trampoline_kernelINS0_14default_configENS1_35radix_sort_onesweep_config_selectorIsNS0_10empty_typeEEEZZNS1_29radix_sort_onesweep_iterationIS3_Lb0EN6thrust23THRUST_200600_302600_NS6detail15normal_iteratorINS9_10device_ptrIsEEEESE_PS5_SF_jNS0_19identity_decomposerENS1_16block_id_wrapperIjLb0EEEEE10hipError_tT1_PNSt15iterator_traitsISK_E10value_typeET2_T3_PNSL_ISQ_E10value_typeET4_T5_PSV_SW_PNS1_23onesweep_lookback_stateEbbT6_jjT7_P12ihipStream_tbENKUlT_T0_SK_SP_E_clIPsSE_SF_SF_EEDaS13_S14_SK_SP_EUlS13_E_NS1_11comp_targetILNS1_3genE4ELNS1_11target_archE910ELNS1_3gpuE8ELNS1_3repE0EEENS1_47radix_sort_onesweep_sort_config_static_selectorELNS0_4arch9wavefront6targetE1EEEvSK_,@function
_ZN7rocprim17ROCPRIM_400000_NS6detail17trampoline_kernelINS0_14default_configENS1_35radix_sort_onesweep_config_selectorIsNS0_10empty_typeEEEZZNS1_29radix_sort_onesweep_iterationIS3_Lb0EN6thrust23THRUST_200600_302600_NS6detail15normal_iteratorINS9_10device_ptrIsEEEESE_PS5_SF_jNS0_19identity_decomposerENS1_16block_id_wrapperIjLb0EEEEE10hipError_tT1_PNSt15iterator_traitsISK_E10value_typeET2_T3_PNSL_ISQ_E10value_typeET4_T5_PSV_SW_PNS1_23onesweep_lookback_stateEbbT6_jjT7_P12ihipStream_tbENKUlT_T0_SK_SP_E_clIPsSE_SF_SF_EEDaS13_S14_SK_SP_EUlS13_E_NS1_11comp_targetILNS1_3genE4ELNS1_11target_archE910ELNS1_3gpuE8ELNS1_3repE0EEENS1_47radix_sort_onesweep_sort_config_static_selectorELNS0_4arch9wavefront6targetE1EEEvSK_: ; @_ZN7rocprim17ROCPRIM_400000_NS6detail17trampoline_kernelINS0_14default_configENS1_35radix_sort_onesweep_config_selectorIsNS0_10empty_typeEEEZZNS1_29radix_sort_onesweep_iterationIS3_Lb0EN6thrust23THRUST_200600_302600_NS6detail15normal_iteratorINS9_10device_ptrIsEEEESE_PS5_SF_jNS0_19identity_decomposerENS1_16block_id_wrapperIjLb0EEEEE10hipError_tT1_PNSt15iterator_traitsISK_E10value_typeET2_T3_PNSL_ISQ_E10value_typeET4_T5_PSV_SW_PNS1_23onesweep_lookback_stateEbbT6_jjT7_P12ihipStream_tbENKUlT_T0_SK_SP_E_clIPsSE_SF_SF_EEDaS13_S14_SK_SP_EUlS13_E_NS1_11comp_targetILNS1_3genE4ELNS1_11target_archE910ELNS1_3gpuE8ELNS1_3repE0EEENS1_47radix_sort_onesweep_sort_config_static_selectorELNS0_4arch9wavefront6targetE1EEEvSK_
; %bb.0:
	.section	.rodata,"a",@progbits
	.p2align	6, 0x0
	.amdhsa_kernel _ZN7rocprim17ROCPRIM_400000_NS6detail17trampoline_kernelINS0_14default_configENS1_35radix_sort_onesweep_config_selectorIsNS0_10empty_typeEEEZZNS1_29radix_sort_onesweep_iterationIS3_Lb0EN6thrust23THRUST_200600_302600_NS6detail15normal_iteratorINS9_10device_ptrIsEEEESE_PS5_SF_jNS0_19identity_decomposerENS1_16block_id_wrapperIjLb0EEEEE10hipError_tT1_PNSt15iterator_traitsISK_E10value_typeET2_T3_PNSL_ISQ_E10value_typeET4_T5_PSV_SW_PNS1_23onesweep_lookback_stateEbbT6_jjT7_P12ihipStream_tbENKUlT_T0_SK_SP_E_clIPsSE_SF_SF_EEDaS13_S14_SK_SP_EUlS13_E_NS1_11comp_targetILNS1_3genE4ELNS1_11target_archE910ELNS1_3gpuE8ELNS1_3repE0EEENS1_47radix_sort_onesweep_sort_config_static_selectorELNS0_4arch9wavefront6targetE1EEEvSK_
		.amdhsa_group_segment_fixed_size 0
		.amdhsa_private_segment_fixed_size 0
		.amdhsa_kernarg_size 88
		.amdhsa_user_sgpr_count 2
		.amdhsa_user_sgpr_dispatch_ptr 0
		.amdhsa_user_sgpr_queue_ptr 0
		.amdhsa_user_sgpr_kernarg_segment_ptr 1
		.amdhsa_user_sgpr_dispatch_id 0
		.amdhsa_user_sgpr_kernarg_preload_length 0
		.amdhsa_user_sgpr_kernarg_preload_offset 0
		.amdhsa_user_sgpr_private_segment_size 0
		.amdhsa_uses_dynamic_stack 0
		.amdhsa_enable_private_segment 0
		.amdhsa_system_sgpr_workgroup_id_x 1
		.amdhsa_system_sgpr_workgroup_id_y 0
		.amdhsa_system_sgpr_workgroup_id_z 0
		.amdhsa_system_sgpr_workgroup_info 0
		.amdhsa_system_vgpr_workitem_id 0
		.amdhsa_next_free_vgpr 1
		.amdhsa_next_free_sgpr 0
		.amdhsa_accum_offset 4
		.amdhsa_reserve_vcc 0
		.amdhsa_float_round_mode_32 0
		.amdhsa_float_round_mode_16_64 0
		.amdhsa_float_denorm_mode_32 3
		.amdhsa_float_denorm_mode_16_64 3
		.amdhsa_dx10_clamp 1
		.amdhsa_ieee_mode 1
		.amdhsa_fp16_overflow 0
		.amdhsa_tg_split 0
		.amdhsa_exception_fp_ieee_invalid_op 0
		.amdhsa_exception_fp_denorm_src 0
		.amdhsa_exception_fp_ieee_div_zero 0
		.amdhsa_exception_fp_ieee_overflow 0
		.amdhsa_exception_fp_ieee_underflow 0
		.amdhsa_exception_fp_ieee_inexact 0
		.amdhsa_exception_int_div_zero 0
	.end_amdhsa_kernel
	.section	.text._ZN7rocprim17ROCPRIM_400000_NS6detail17trampoline_kernelINS0_14default_configENS1_35radix_sort_onesweep_config_selectorIsNS0_10empty_typeEEEZZNS1_29radix_sort_onesweep_iterationIS3_Lb0EN6thrust23THRUST_200600_302600_NS6detail15normal_iteratorINS9_10device_ptrIsEEEESE_PS5_SF_jNS0_19identity_decomposerENS1_16block_id_wrapperIjLb0EEEEE10hipError_tT1_PNSt15iterator_traitsISK_E10value_typeET2_T3_PNSL_ISQ_E10value_typeET4_T5_PSV_SW_PNS1_23onesweep_lookback_stateEbbT6_jjT7_P12ihipStream_tbENKUlT_T0_SK_SP_E_clIPsSE_SF_SF_EEDaS13_S14_SK_SP_EUlS13_E_NS1_11comp_targetILNS1_3genE4ELNS1_11target_archE910ELNS1_3gpuE8ELNS1_3repE0EEENS1_47radix_sort_onesweep_sort_config_static_selectorELNS0_4arch9wavefront6targetE1EEEvSK_,"axG",@progbits,_ZN7rocprim17ROCPRIM_400000_NS6detail17trampoline_kernelINS0_14default_configENS1_35radix_sort_onesweep_config_selectorIsNS0_10empty_typeEEEZZNS1_29radix_sort_onesweep_iterationIS3_Lb0EN6thrust23THRUST_200600_302600_NS6detail15normal_iteratorINS9_10device_ptrIsEEEESE_PS5_SF_jNS0_19identity_decomposerENS1_16block_id_wrapperIjLb0EEEEE10hipError_tT1_PNSt15iterator_traitsISK_E10value_typeET2_T3_PNSL_ISQ_E10value_typeET4_T5_PSV_SW_PNS1_23onesweep_lookback_stateEbbT6_jjT7_P12ihipStream_tbENKUlT_T0_SK_SP_E_clIPsSE_SF_SF_EEDaS13_S14_SK_SP_EUlS13_E_NS1_11comp_targetILNS1_3genE4ELNS1_11target_archE910ELNS1_3gpuE8ELNS1_3repE0EEENS1_47radix_sort_onesweep_sort_config_static_selectorELNS0_4arch9wavefront6targetE1EEEvSK_,comdat
.Lfunc_end1999:
	.size	_ZN7rocprim17ROCPRIM_400000_NS6detail17trampoline_kernelINS0_14default_configENS1_35radix_sort_onesweep_config_selectorIsNS0_10empty_typeEEEZZNS1_29radix_sort_onesweep_iterationIS3_Lb0EN6thrust23THRUST_200600_302600_NS6detail15normal_iteratorINS9_10device_ptrIsEEEESE_PS5_SF_jNS0_19identity_decomposerENS1_16block_id_wrapperIjLb0EEEEE10hipError_tT1_PNSt15iterator_traitsISK_E10value_typeET2_T3_PNSL_ISQ_E10value_typeET4_T5_PSV_SW_PNS1_23onesweep_lookback_stateEbbT6_jjT7_P12ihipStream_tbENKUlT_T0_SK_SP_E_clIPsSE_SF_SF_EEDaS13_S14_SK_SP_EUlS13_E_NS1_11comp_targetILNS1_3genE4ELNS1_11target_archE910ELNS1_3gpuE8ELNS1_3repE0EEENS1_47radix_sort_onesweep_sort_config_static_selectorELNS0_4arch9wavefront6targetE1EEEvSK_, .Lfunc_end1999-_ZN7rocprim17ROCPRIM_400000_NS6detail17trampoline_kernelINS0_14default_configENS1_35radix_sort_onesweep_config_selectorIsNS0_10empty_typeEEEZZNS1_29radix_sort_onesweep_iterationIS3_Lb0EN6thrust23THRUST_200600_302600_NS6detail15normal_iteratorINS9_10device_ptrIsEEEESE_PS5_SF_jNS0_19identity_decomposerENS1_16block_id_wrapperIjLb0EEEEE10hipError_tT1_PNSt15iterator_traitsISK_E10value_typeET2_T3_PNSL_ISQ_E10value_typeET4_T5_PSV_SW_PNS1_23onesweep_lookback_stateEbbT6_jjT7_P12ihipStream_tbENKUlT_T0_SK_SP_E_clIPsSE_SF_SF_EEDaS13_S14_SK_SP_EUlS13_E_NS1_11comp_targetILNS1_3genE4ELNS1_11target_archE910ELNS1_3gpuE8ELNS1_3repE0EEENS1_47radix_sort_onesweep_sort_config_static_selectorELNS0_4arch9wavefront6targetE1EEEvSK_
                                        ; -- End function
	.section	.AMDGPU.csdata,"",@progbits
; Kernel info:
; codeLenInByte = 0
; NumSgprs: 6
; NumVgprs: 0
; NumAgprs: 0
; TotalNumVgprs: 0
; ScratchSize: 0
; MemoryBound: 0
; FloatMode: 240
; IeeeMode: 1
; LDSByteSize: 0 bytes/workgroup (compile time only)
; SGPRBlocks: 0
; VGPRBlocks: 0
; NumSGPRsForWavesPerEU: 6
; NumVGPRsForWavesPerEU: 1
; AccumOffset: 4
; Occupancy: 8
; WaveLimiterHint : 0
; COMPUTE_PGM_RSRC2:SCRATCH_EN: 0
; COMPUTE_PGM_RSRC2:USER_SGPR: 2
; COMPUTE_PGM_RSRC2:TRAP_HANDLER: 0
; COMPUTE_PGM_RSRC2:TGID_X_EN: 1
; COMPUTE_PGM_RSRC2:TGID_Y_EN: 0
; COMPUTE_PGM_RSRC2:TGID_Z_EN: 0
; COMPUTE_PGM_RSRC2:TIDIG_COMP_CNT: 0
; COMPUTE_PGM_RSRC3_GFX90A:ACCUM_OFFSET: 0
; COMPUTE_PGM_RSRC3_GFX90A:TG_SPLIT: 0
	.section	.text._ZN7rocprim17ROCPRIM_400000_NS6detail17trampoline_kernelINS0_14default_configENS1_35radix_sort_onesweep_config_selectorIsNS0_10empty_typeEEEZZNS1_29radix_sort_onesweep_iterationIS3_Lb0EN6thrust23THRUST_200600_302600_NS6detail15normal_iteratorINS9_10device_ptrIsEEEESE_PS5_SF_jNS0_19identity_decomposerENS1_16block_id_wrapperIjLb0EEEEE10hipError_tT1_PNSt15iterator_traitsISK_E10value_typeET2_T3_PNSL_ISQ_E10value_typeET4_T5_PSV_SW_PNS1_23onesweep_lookback_stateEbbT6_jjT7_P12ihipStream_tbENKUlT_T0_SK_SP_E_clIPsSE_SF_SF_EEDaS13_S14_SK_SP_EUlS13_E_NS1_11comp_targetILNS1_3genE3ELNS1_11target_archE908ELNS1_3gpuE7ELNS1_3repE0EEENS1_47radix_sort_onesweep_sort_config_static_selectorELNS0_4arch9wavefront6targetE1EEEvSK_,"axG",@progbits,_ZN7rocprim17ROCPRIM_400000_NS6detail17trampoline_kernelINS0_14default_configENS1_35radix_sort_onesweep_config_selectorIsNS0_10empty_typeEEEZZNS1_29radix_sort_onesweep_iterationIS3_Lb0EN6thrust23THRUST_200600_302600_NS6detail15normal_iteratorINS9_10device_ptrIsEEEESE_PS5_SF_jNS0_19identity_decomposerENS1_16block_id_wrapperIjLb0EEEEE10hipError_tT1_PNSt15iterator_traitsISK_E10value_typeET2_T3_PNSL_ISQ_E10value_typeET4_T5_PSV_SW_PNS1_23onesweep_lookback_stateEbbT6_jjT7_P12ihipStream_tbENKUlT_T0_SK_SP_E_clIPsSE_SF_SF_EEDaS13_S14_SK_SP_EUlS13_E_NS1_11comp_targetILNS1_3genE3ELNS1_11target_archE908ELNS1_3gpuE7ELNS1_3repE0EEENS1_47radix_sort_onesweep_sort_config_static_selectorELNS0_4arch9wavefront6targetE1EEEvSK_,comdat
	.protected	_ZN7rocprim17ROCPRIM_400000_NS6detail17trampoline_kernelINS0_14default_configENS1_35radix_sort_onesweep_config_selectorIsNS0_10empty_typeEEEZZNS1_29radix_sort_onesweep_iterationIS3_Lb0EN6thrust23THRUST_200600_302600_NS6detail15normal_iteratorINS9_10device_ptrIsEEEESE_PS5_SF_jNS0_19identity_decomposerENS1_16block_id_wrapperIjLb0EEEEE10hipError_tT1_PNSt15iterator_traitsISK_E10value_typeET2_T3_PNSL_ISQ_E10value_typeET4_T5_PSV_SW_PNS1_23onesweep_lookback_stateEbbT6_jjT7_P12ihipStream_tbENKUlT_T0_SK_SP_E_clIPsSE_SF_SF_EEDaS13_S14_SK_SP_EUlS13_E_NS1_11comp_targetILNS1_3genE3ELNS1_11target_archE908ELNS1_3gpuE7ELNS1_3repE0EEENS1_47radix_sort_onesweep_sort_config_static_selectorELNS0_4arch9wavefront6targetE1EEEvSK_ ; -- Begin function _ZN7rocprim17ROCPRIM_400000_NS6detail17trampoline_kernelINS0_14default_configENS1_35radix_sort_onesweep_config_selectorIsNS0_10empty_typeEEEZZNS1_29radix_sort_onesweep_iterationIS3_Lb0EN6thrust23THRUST_200600_302600_NS6detail15normal_iteratorINS9_10device_ptrIsEEEESE_PS5_SF_jNS0_19identity_decomposerENS1_16block_id_wrapperIjLb0EEEEE10hipError_tT1_PNSt15iterator_traitsISK_E10value_typeET2_T3_PNSL_ISQ_E10value_typeET4_T5_PSV_SW_PNS1_23onesweep_lookback_stateEbbT6_jjT7_P12ihipStream_tbENKUlT_T0_SK_SP_E_clIPsSE_SF_SF_EEDaS13_S14_SK_SP_EUlS13_E_NS1_11comp_targetILNS1_3genE3ELNS1_11target_archE908ELNS1_3gpuE7ELNS1_3repE0EEENS1_47radix_sort_onesweep_sort_config_static_selectorELNS0_4arch9wavefront6targetE1EEEvSK_
	.globl	_ZN7rocprim17ROCPRIM_400000_NS6detail17trampoline_kernelINS0_14default_configENS1_35radix_sort_onesweep_config_selectorIsNS0_10empty_typeEEEZZNS1_29radix_sort_onesweep_iterationIS3_Lb0EN6thrust23THRUST_200600_302600_NS6detail15normal_iteratorINS9_10device_ptrIsEEEESE_PS5_SF_jNS0_19identity_decomposerENS1_16block_id_wrapperIjLb0EEEEE10hipError_tT1_PNSt15iterator_traitsISK_E10value_typeET2_T3_PNSL_ISQ_E10value_typeET4_T5_PSV_SW_PNS1_23onesweep_lookback_stateEbbT6_jjT7_P12ihipStream_tbENKUlT_T0_SK_SP_E_clIPsSE_SF_SF_EEDaS13_S14_SK_SP_EUlS13_E_NS1_11comp_targetILNS1_3genE3ELNS1_11target_archE908ELNS1_3gpuE7ELNS1_3repE0EEENS1_47radix_sort_onesweep_sort_config_static_selectorELNS0_4arch9wavefront6targetE1EEEvSK_
	.p2align	8
	.type	_ZN7rocprim17ROCPRIM_400000_NS6detail17trampoline_kernelINS0_14default_configENS1_35radix_sort_onesweep_config_selectorIsNS0_10empty_typeEEEZZNS1_29radix_sort_onesweep_iterationIS3_Lb0EN6thrust23THRUST_200600_302600_NS6detail15normal_iteratorINS9_10device_ptrIsEEEESE_PS5_SF_jNS0_19identity_decomposerENS1_16block_id_wrapperIjLb0EEEEE10hipError_tT1_PNSt15iterator_traitsISK_E10value_typeET2_T3_PNSL_ISQ_E10value_typeET4_T5_PSV_SW_PNS1_23onesweep_lookback_stateEbbT6_jjT7_P12ihipStream_tbENKUlT_T0_SK_SP_E_clIPsSE_SF_SF_EEDaS13_S14_SK_SP_EUlS13_E_NS1_11comp_targetILNS1_3genE3ELNS1_11target_archE908ELNS1_3gpuE7ELNS1_3repE0EEENS1_47radix_sort_onesweep_sort_config_static_selectorELNS0_4arch9wavefront6targetE1EEEvSK_,@function
_ZN7rocprim17ROCPRIM_400000_NS6detail17trampoline_kernelINS0_14default_configENS1_35radix_sort_onesweep_config_selectorIsNS0_10empty_typeEEEZZNS1_29radix_sort_onesweep_iterationIS3_Lb0EN6thrust23THRUST_200600_302600_NS6detail15normal_iteratorINS9_10device_ptrIsEEEESE_PS5_SF_jNS0_19identity_decomposerENS1_16block_id_wrapperIjLb0EEEEE10hipError_tT1_PNSt15iterator_traitsISK_E10value_typeET2_T3_PNSL_ISQ_E10value_typeET4_T5_PSV_SW_PNS1_23onesweep_lookback_stateEbbT6_jjT7_P12ihipStream_tbENKUlT_T0_SK_SP_E_clIPsSE_SF_SF_EEDaS13_S14_SK_SP_EUlS13_E_NS1_11comp_targetILNS1_3genE3ELNS1_11target_archE908ELNS1_3gpuE7ELNS1_3repE0EEENS1_47radix_sort_onesweep_sort_config_static_selectorELNS0_4arch9wavefront6targetE1EEEvSK_: ; @_ZN7rocprim17ROCPRIM_400000_NS6detail17trampoline_kernelINS0_14default_configENS1_35radix_sort_onesweep_config_selectorIsNS0_10empty_typeEEEZZNS1_29radix_sort_onesweep_iterationIS3_Lb0EN6thrust23THRUST_200600_302600_NS6detail15normal_iteratorINS9_10device_ptrIsEEEESE_PS5_SF_jNS0_19identity_decomposerENS1_16block_id_wrapperIjLb0EEEEE10hipError_tT1_PNSt15iterator_traitsISK_E10value_typeET2_T3_PNSL_ISQ_E10value_typeET4_T5_PSV_SW_PNS1_23onesweep_lookback_stateEbbT6_jjT7_P12ihipStream_tbENKUlT_T0_SK_SP_E_clIPsSE_SF_SF_EEDaS13_S14_SK_SP_EUlS13_E_NS1_11comp_targetILNS1_3genE3ELNS1_11target_archE908ELNS1_3gpuE7ELNS1_3repE0EEENS1_47radix_sort_onesweep_sort_config_static_selectorELNS0_4arch9wavefront6targetE1EEEvSK_
; %bb.0:
	.section	.rodata,"a",@progbits
	.p2align	6, 0x0
	.amdhsa_kernel _ZN7rocprim17ROCPRIM_400000_NS6detail17trampoline_kernelINS0_14default_configENS1_35radix_sort_onesweep_config_selectorIsNS0_10empty_typeEEEZZNS1_29radix_sort_onesweep_iterationIS3_Lb0EN6thrust23THRUST_200600_302600_NS6detail15normal_iteratorINS9_10device_ptrIsEEEESE_PS5_SF_jNS0_19identity_decomposerENS1_16block_id_wrapperIjLb0EEEEE10hipError_tT1_PNSt15iterator_traitsISK_E10value_typeET2_T3_PNSL_ISQ_E10value_typeET4_T5_PSV_SW_PNS1_23onesweep_lookback_stateEbbT6_jjT7_P12ihipStream_tbENKUlT_T0_SK_SP_E_clIPsSE_SF_SF_EEDaS13_S14_SK_SP_EUlS13_E_NS1_11comp_targetILNS1_3genE3ELNS1_11target_archE908ELNS1_3gpuE7ELNS1_3repE0EEENS1_47radix_sort_onesweep_sort_config_static_selectorELNS0_4arch9wavefront6targetE1EEEvSK_
		.amdhsa_group_segment_fixed_size 0
		.amdhsa_private_segment_fixed_size 0
		.amdhsa_kernarg_size 88
		.amdhsa_user_sgpr_count 2
		.amdhsa_user_sgpr_dispatch_ptr 0
		.amdhsa_user_sgpr_queue_ptr 0
		.amdhsa_user_sgpr_kernarg_segment_ptr 1
		.amdhsa_user_sgpr_dispatch_id 0
		.amdhsa_user_sgpr_kernarg_preload_length 0
		.amdhsa_user_sgpr_kernarg_preload_offset 0
		.amdhsa_user_sgpr_private_segment_size 0
		.amdhsa_uses_dynamic_stack 0
		.amdhsa_enable_private_segment 0
		.amdhsa_system_sgpr_workgroup_id_x 1
		.amdhsa_system_sgpr_workgroup_id_y 0
		.amdhsa_system_sgpr_workgroup_id_z 0
		.amdhsa_system_sgpr_workgroup_info 0
		.amdhsa_system_vgpr_workitem_id 0
		.amdhsa_next_free_vgpr 1
		.amdhsa_next_free_sgpr 0
		.amdhsa_accum_offset 4
		.amdhsa_reserve_vcc 0
		.amdhsa_float_round_mode_32 0
		.amdhsa_float_round_mode_16_64 0
		.amdhsa_float_denorm_mode_32 3
		.amdhsa_float_denorm_mode_16_64 3
		.amdhsa_dx10_clamp 1
		.amdhsa_ieee_mode 1
		.amdhsa_fp16_overflow 0
		.amdhsa_tg_split 0
		.amdhsa_exception_fp_ieee_invalid_op 0
		.amdhsa_exception_fp_denorm_src 0
		.amdhsa_exception_fp_ieee_div_zero 0
		.amdhsa_exception_fp_ieee_overflow 0
		.amdhsa_exception_fp_ieee_underflow 0
		.amdhsa_exception_fp_ieee_inexact 0
		.amdhsa_exception_int_div_zero 0
	.end_amdhsa_kernel
	.section	.text._ZN7rocprim17ROCPRIM_400000_NS6detail17trampoline_kernelINS0_14default_configENS1_35radix_sort_onesweep_config_selectorIsNS0_10empty_typeEEEZZNS1_29radix_sort_onesweep_iterationIS3_Lb0EN6thrust23THRUST_200600_302600_NS6detail15normal_iteratorINS9_10device_ptrIsEEEESE_PS5_SF_jNS0_19identity_decomposerENS1_16block_id_wrapperIjLb0EEEEE10hipError_tT1_PNSt15iterator_traitsISK_E10value_typeET2_T3_PNSL_ISQ_E10value_typeET4_T5_PSV_SW_PNS1_23onesweep_lookback_stateEbbT6_jjT7_P12ihipStream_tbENKUlT_T0_SK_SP_E_clIPsSE_SF_SF_EEDaS13_S14_SK_SP_EUlS13_E_NS1_11comp_targetILNS1_3genE3ELNS1_11target_archE908ELNS1_3gpuE7ELNS1_3repE0EEENS1_47radix_sort_onesweep_sort_config_static_selectorELNS0_4arch9wavefront6targetE1EEEvSK_,"axG",@progbits,_ZN7rocprim17ROCPRIM_400000_NS6detail17trampoline_kernelINS0_14default_configENS1_35radix_sort_onesweep_config_selectorIsNS0_10empty_typeEEEZZNS1_29radix_sort_onesweep_iterationIS3_Lb0EN6thrust23THRUST_200600_302600_NS6detail15normal_iteratorINS9_10device_ptrIsEEEESE_PS5_SF_jNS0_19identity_decomposerENS1_16block_id_wrapperIjLb0EEEEE10hipError_tT1_PNSt15iterator_traitsISK_E10value_typeET2_T3_PNSL_ISQ_E10value_typeET4_T5_PSV_SW_PNS1_23onesweep_lookback_stateEbbT6_jjT7_P12ihipStream_tbENKUlT_T0_SK_SP_E_clIPsSE_SF_SF_EEDaS13_S14_SK_SP_EUlS13_E_NS1_11comp_targetILNS1_3genE3ELNS1_11target_archE908ELNS1_3gpuE7ELNS1_3repE0EEENS1_47radix_sort_onesweep_sort_config_static_selectorELNS0_4arch9wavefront6targetE1EEEvSK_,comdat
.Lfunc_end2000:
	.size	_ZN7rocprim17ROCPRIM_400000_NS6detail17trampoline_kernelINS0_14default_configENS1_35radix_sort_onesweep_config_selectorIsNS0_10empty_typeEEEZZNS1_29radix_sort_onesweep_iterationIS3_Lb0EN6thrust23THRUST_200600_302600_NS6detail15normal_iteratorINS9_10device_ptrIsEEEESE_PS5_SF_jNS0_19identity_decomposerENS1_16block_id_wrapperIjLb0EEEEE10hipError_tT1_PNSt15iterator_traitsISK_E10value_typeET2_T3_PNSL_ISQ_E10value_typeET4_T5_PSV_SW_PNS1_23onesweep_lookback_stateEbbT6_jjT7_P12ihipStream_tbENKUlT_T0_SK_SP_E_clIPsSE_SF_SF_EEDaS13_S14_SK_SP_EUlS13_E_NS1_11comp_targetILNS1_3genE3ELNS1_11target_archE908ELNS1_3gpuE7ELNS1_3repE0EEENS1_47radix_sort_onesweep_sort_config_static_selectorELNS0_4arch9wavefront6targetE1EEEvSK_, .Lfunc_end2000-_ZN7rocprim17ROCPRIM_400000_NS6detail17trampoline_kernelINS0_14default_configENS1_35radix_sort_onesweep_config_selectorIsNS0_10empty_typeEEEZZNS1_29radix_sort_onesweep_iterationIS3_Lb0EN6thrust23THRUST_200600_302600_NS6detail15normal_iteratorINS9_10device_ptrIsEEEESE_PS5_SF_jNS0_19identity_decomposerENS1_16block_id_wrapperIjLb0EEEEE10hipError_tT1_PNSt15iterator_traitsISK_E10value_typeET2_T3_PNSL_ISQ_E10value_typeET4_T5_PSV_SW_PNS1_23onesweep_lookback_stateEbbT6_jjT7_P12ihipStream_tbENKUlT_T0_SK_SP_E_clIPsSE_SF_SF_EEDaS13_S14_SK_SP_EUlS13_E_NS1_11comp_targetILNS1_3genE3ELNS1_11target_archE908ELNS1_3gpuE7ELNS1_3repE0EEENS1_47radix_sort_onesweep_sort_config_static_selectorELNS0_4arch9wavefront6targetE1EEEvSK_
                                        ; -- End function
	.section	.AMDGPU.csdata,"",@progbits
; Kernel info:
; codeLenInByte = 0
; NumSgprs: 6
; NumVgprs: 0
; NumAgprs: 0
; TotalNumVgprs: 0
; ScratchSize: 0
; MemoryBound: 0
; FloatMode: 240
; IeeeMode: 1
; LDSByteSize: 0 bytes/workgroup (compile time only)
; SGPRBlocks: 0
; VGPRBlocks: 0
; NumSGPRsForWavesPerEU: 6
; NumVGPRsForWavesPerEU: 1
; AccumOffset: 4
; Occupancy: 8
; WaveLimiterHint : 0
; COMPUTE_PGM_RSRC2:SCRATCH_EN: 0
; COMPUTE_PGM_RSRC2:USER_SGPR: 2
; COMPUTE_PGM_RSRC2:TRAP_HANDLER: 0
; COMPUTE_PGM_RSRC2:TGID_X_EN: 1
; COMPUTE_PGM_RSRC2:TGID_Y_EN: 0
; COMPUTE_PGM_RSRC2:TGID_Z_EN: 0
; COMPUTE_PGM_RSRC2:TIDIG_COMP_CNT: 0
; COMPUTE_PGM_RSRC3_GFX90A:ACCUM_OFFSET: 0
; COMPUTE_PGM_RSRC3_GFX90A:TG_SPLIT: 0
	.section	.text._ZN7rocprim17ROCPRIM_400000_NS6detail17trampoline_kernelINS0_14default_configENS1_35radix_sort_onesweep_config_selectorIsNS0_10empty_typeEEEZZNS1_29radix_sort_onesweep_iterationIS3_Lb0EN6thrust23THRUST_200600_302600_NS6detail15normal_iteratorINS9_10device_ptrIsEEEESE_PS5_SF_jNS0_19identity_decomposerENS1_16block_id_wrapperIjLb0EEEEE10hipError_tT1_PNSt15iterator_traitsISK_E10value_typeET2_T3_PNSL_ISQ_E10value_typeET4_T5_PSV_SW_PNS1_23onesweep_lookback_stateEbbT6_jjT7_P12ihipStream_tbENKUlT_T0_SK_SP_E_clIPsSE_SF_SF_EEDaS13_S14_SK_SP_EUlS13_E_NS1_11comp_targetILNS1_3genE10ELNS1_11target_archE1201ELNS1_3gpuE5ELNS1_3repE0EEENS1_47radix_sort_onesweep_sort_config_static_selectorELNS0_4arch9wavefront6targetE1EEEvSK_,"axG",@progbits,_ZN7rocprim17ROCPRIM_400000_NS6detail17trampoline_kernelINS0_14default_configENS1_35radix_sort_onesweep_config_selectorIsNS0_10empty_typeEEEZZNS1_29radix_sort_onesweep_iterationIS3_Lb0EN6thrust23THRUST_200600_302600_NS6detail15normal_iteratorINS9_10device_ptrIsEEEESE_PS5_SF_jNS0_19identity_decomposerENS1_16block_id_wrapperIjLb0EEEEE10hipError_tT1_PNSt15iterator_traitsISK_E10value_typeET2_T3_PNSL_ISQ_E10value_typeET4_T5_PSV_SW_PNS1_23onesweep_lookback_stateEbbT6_jjT7_P12ihipStream_tbENKUlT_T0_SK_SP_E_clIPsSE_SF_SF_EEDaS13_S14_SK_SP_EUlS13_E_NS1_11comp_targetILNS1_3genE10ELNS1_11target_archE1201ELNS1_3gpuE5ELNS1_3repE0EEENS1_47radix_sort_onesweep_sort_config_static_selectorELNS0_4arch9wavefront6targetE1EEEvSK_,comdat
	.protected	_ZN7rocprim17ROCPRIM_400000_NS6detail17trampoline_kernelINS0_14default_configENS1_35radix_sort_onesweep_config_selectorIsNS0_10empty_typeEEEZZNS1_29radix_sort_onesweep_iterationIS3_Lb0EN6thrust23THRUST_200600_302600_NS6detail15normal_iteratorINS9_10device_ptrIsEEEESE_PS5_SF_jNS0_19identity_decomposerENS1_16block_id_wrapperIjLb0EEEEE10hipError_tT1_PNSt15iterator_traitsISK_E10value_typeET2_T3_PNSL_ISQ_E10value_typeET4_T5_PSV_SW_PNS1_23onesweep_lookback_stateEbbT6_jjT7_P12ihipStream_tbENKUlT_T0_SK_SP_E_clIPsSE_SF_SF_EEDaS13_S14_SK_SP_EUlS13_E_NS1_11comp_targetILNS1_3genE10ELNS1_11target_archE1201ELNS1_3gpuE5ELNS1_3repE0EEENS1_47radix_sort_onesweep_sort_config_static_selectorELNS0_4arch9wavefront6targetE1EEEvSK_ ; -- Begin function _ZN7rocprim17ROCPRIM_400000_NS6detail17trampoline_kernelINS0_14default_configENS1_35radix_sort_onesweep_config_selectorIsNS0_10empty_typeEEEZZNS1_29radix_sort_onesweep_iterationIS3_Lb0EN6thrust23THRUST_200600_302600_NS6detail15normal_iteratorINS9_10device_ptrIsEEEESE_PS5_SF_jNS0_19identity_decomposerENS1_16block_id_wrapperIjLb0EEEEE10hipError_tT1_PNSt15iterator_traitsISK_E10value_typeET2_T3_PNSL_ISQ_E10value_typeET4_T5_PSV_SW_PNS1_23onesweep_lookback_stateEbbT6_jjT7_P12ihipStream_tbENKUlT_T0_SK_SP_E_clIPsSE_SF_SF_EEDaS13_S14_SK_SP_EUlS13_E_NS1_11comp_targetILNS1_3genE10ELNS1_11target_archE1201ELNS1_3gpuE5ELNS1_3repE0EEENS1_47radix_sort_onesweep_sort_config_static_selectorELNS0_4arch9wavefront6targetE1EEEvSK_
	.globl	_ZN7rocprim17ROCPRIM_400000_NS6detail17trampoline_kernelINS0_14default_configENS1_35radix_sort_onesweep_config_selectorIsNS0_10empty_typeEEEZZNS1_29radix_sort_onesweep_iterationIS3_Lb0EN6thrust23THRUST_200600_302600_NS6detail15normal_iteratorINS9_10device_ptrIsEEEESE_PS5_SF_jNS0_19identity_decomposerENS1_16block_id_wrapperIjLb0EEEEE10hipError_tT1_PNSt15iterator_traitsISK_E10value_typeET2_T3_PNSL_ISQ_E10value_typeET4_T5_PSV_SW_PNS1_23onesweep_lookback_stateEbbT6_jjT7_P12ihipStream_tbENKUlT_T0_SK_SP_E_clIPsSE_SF_SF_EEDaS13_S14_SK_SP_EUlS13_E_NS1_11comp_targetILNS1_3genE10ELNS1_11target_archE1201ELNS1_3gpuE5ELNS1_3repE0EEENS1_47radix_sort_onesweep_sort_config_static_selectorELNS0_4arch9wavefront6targetE1EEEvSK_
	.p2align	8
	.type	_ZN7rocprim17ROCPRIM_400000_NS6detail17trampoline_kernelINS0_14default_configENS1_35radix_sort_onesweep_config_selectorIsNS0_10empty_typeEEEZZNS1_29radix_sort_onesweep_iterationIS3_Lb0EN6thrust23THRUST_200600_302600_NS6detail15normal_iteratorINS9_10device_ptrIsEEEESE_PS5_SF_jNS0_19identity_decomposerENS1_16block_id_wrapperIjLb0EEEEE10hipError_tT1_PNSt15iterator_traitsISK_E10value_typeET2_T3_PNSL_ISQ_E10value_typeET4_T5_PSV_SW_PNS1_23onesweep_lookback_stateEbbT6_jjT7_P12ihipStream_tbENKUlT_T0_SK_SP_E_clIPsSE_SF_SF_EEDaS13_S14_SK_SP_EUlS13_E_NS1_11comp_targetILNS1_3genE10ELNS1_11target_archE1201ELNS1_3gpuE5ELNS1_3repE0EEENS1_47radix_sort_onesweep_sort_config_static_selectorELNS0_4arch9wavefront6targetE1EEEvSK_,@function
_ZN7rocprim17ROCPRIM_400000_NS6detail17trampoline_kernelINS0_14default_configENS1_35radix_sort_onesweep_config_selectorIsNS0_10empty_typeEEEZZNS1_29radix_sort_onesweep_iterationIS3_Lb0EN6thrust23THRUST_200600_302600_NS6detail15normal_iteratorINS9_10device_ptrIsEEEESE_PS5_SF_jNS0_19identity_decomposerENS1_16block_id_wrapperIjLb0EEEEE10hipError_tT1_PNSt15iterator_traitsISK_E10value_typeET2_T3_PNSL_ISQ_E10value_typeET4_T5_PSV_SW_PNS1_23onesweep_lookback_stateEbbT6_jjT7_P12ihipStream_tbENKUlT_T0_SK_SP_E_clIPsSE_SF_SF_EEDaS13_S14_SK_SP_EUlS13_E_NS1_11comp_targetILNS1_3genE10ELNS1_11target_archE1201ELNS1_3gpuE5ELNS1_3repE0EEENS1_47radix_sort_onesweep_sort_config_static_selectorELNS0_4arch9wavefront6targetE1EEEvSK_: ; @_ZN7rocprim17ROCPRIM_400000_NS6detail17trampoline_kernelINS0_14default_configENS1_35radix_sort_onesweep_config_selectorIsNS0_10empty_typeEEEZZNS1_29radix_sort_onesweep_iterationIS3_Lb0EN6thrust23THRUST_200600_302600_NS6detail15normal_iteratorINS9_10device_ptrIsEEEESE_PS5_SF_jNS0_19identity_decomposerENS1_16block_id_wrapperIjLb0EEEEE10hipError_tT1_PNSt15iterator_traitsISK_E10value_typeET2_T3_PNSL_ISQ_E10value_typeET4_T5_PSV_SW_PNS1_23onesweep_lookback_stateEbbT6_jjT7_P12ihipStream_tbENKUlT_T0_SK_SP_E_clIPsSE_SF_SF_EEDaS13_S14_SK_SP_EUlS13_E_NS1_11comp_targetILNS1_3genE10ELNS1_11target_archE1201ELNS1_3gpuE5ELNS1_3repE0EEENS1_47radix_sort_onesweep_sort_config_static_selectorELNS0_4arch9wavefront6targetE1EEEvSK_
; %bb.0:
	.section	.rodata,"a",@progbits
	.p2align	6, 0x0
	.amdhsa_kernel _ZN7rocprim17ROCPRIM_400000_NS6detail17trampoline_kernelINS0_14default_configENS1_35radix_sort_onesweep_config_selectorIsNS0_10empty_typeEEEZZNS1_29radix_sort_onesweep_iterationIS3_Lb0EN6thrust23THRUST_200600_302600_NS6detail15normal_iteratorINS9_10device_ptrIsEEEESE_PS5_SF_jNS0_19identity_decomposerENS1_16block_id_wrapperIjLb0EEEEE10hipError_tT1_PNSt15iterator_traitsISK_E10value_typeET2_T3_PNSL_ISQ_E10value_typeET4_T5_PSV_SW_PNS1_23onesweep_lookback_stateEbbT6_jjT7_P12ihipStream_tbENKUlT_T0_SK_SP_E_clIPsSE_SF_SF_EEDaS13_S14_SK_SP_EUlS13_E_NS1_11comp_targetILNS1_3genE10ELNS1_11target_archE1201ELNS1_3gpuE5ELNS1_3repE0EEENS1_47radix_sort_onesweep_sort_config_static_selectorELNS0_4arch9wavefront6targetE1EEEvSK_
		.amdhsa_group_segment_fixed_size 0
		.amdhsa_private_segment_fixed_size 0
		.amdhsa_kernarg_size 88
		.amdhsa_user_sgpr_count 2
		.amdhsa_user_sgpr_dispatch_ptr 0
		.amdhsa_user_sgpr_queue_ptr 0
		.amdhsa_user_sgpr_kernarg_segment_ptr 1
		.amdhsa_user_sgpr_dispatch_id 0
		.amdhsa_user_sgpr_kernarg_preload_length 0
		.amdhsa_user_sgpr_kernarg_preload_offset 0
		.amdhsa_user_sgpr_private_segment_size 0
		.amdhsa_uses_dynamic_stack 0
		.amdhsa_enable_private_segment 0
		.amdhsa_system_sgpr_workgroup_id_x 1
		.amdhsa_system_sgpr_workgroup_id_y 0
		.amdhsa_system_sgpr_workgroup_id_z 0
		.amdhsa_system_sgpr_workgroup_info 0
		.amdhsa_system_vgpr_workitem_id 0
		.amdhsa_next_free_vgpr 1
		.amdhsa_next_free_sgpr 0
		.amdhsa_accum_offset 4
		.amdhsa_reserve_vcc 0
		.amdhsa_float_round_mode_32 0
		.amdhsa_float_round_mode_16_64 0
		.amdhsa_float_denorm_mode_32 3
		.amdhsa_float_denorm_mode_16_64 3
		.amdhsa_dx10_clamp 1
		.amdhsa_ieee_mode 1
		.amdhsa_fp16_overflow 0
		.amdhsa_tg_split 0
		.amdhsa_exception_fp_ieee_invalid_op 0
		.amdhsa_exception_fp_denorm_src 0
		.amdhsa_exception_fp_ieee_div_zero 0
		.amdhsa_exception_fp_ieee_overflow 0
		.amdhsa_exception_fp_ieee_underflow 0
		.amdhsa_exception_fp_ieee_inexact 0
		.amdhsa_exception_int_div_zero 0
	.end_amdhsa_kernel
	.section	.text._ZN7rocprim17ROCPRIM_400000_NS6detail17trampoline_kernelINS0_14default_configENS1_35radix_sort_onesweep_config_selectorIsNS0_10empty_typeEEEZZNS1_29radix_sort_onesweep_iterationIS3_Lb0EN6thrust23THRUST_200600_302600_NS6detail15normal_iteratorINS9_10device_ptrIsEEEESE_PS5_SF_jNS0_19identity_decomposerENS1_16block_id_wrapperIjLb0EEEEE10hipError_tT1_PNSt15iterator_traitsISK_E10value_typeET2_T3_PNSL_ISQ_E10value_typeET4_T5_PSV_SW_PNS1_23onesweep_lookback_stateEbbT6_jjT7_P12ihipStream_tbENKUlT_T0_SK_SP_E_clIPsSE_SF_SF_EEDaS13_S14_SK_SP_EUlS13_E_NS1_11comp_targetILNS1_3genE10ELNS1_11target_archE1201ELNS1_3gpuE5ELNS1_3repE0EEENS1_47radix_sort_onesweep_sort_config_static_selectorELNS0_4arch9wavefront6targetE1EEEvSK_,"axG",@progbits,_ZN7rocprim17ROCPRIM_400000_NS6detail17trampoline_kernelINS0_14default_configENS1_35radix_sort_onesweep_config_selectorIsNS0_10empty_typeEEEZZNS1_29radix_sort_onesweep_iterationIS3_Lb0EN6thrust23THRUST_200600_302600_NS6detail15normal_iteratorINS9_10device_ptrIsEEEESE_PS5_SF_jNS0_19identity_decomposerENS1_16block_id_wrapperIjLb0EEEEE10hipError_tT1_PNSt15iterator_traitsISK_E10value_typeET2_T3_PNSL_ISQ_E10value_typeET4_T5_PSV_SW_PNS1_23onesweep_lookback_stateEbbT6_jjT7_P12ihipStream_tbENKUlT_T0_SK_SP_E_clIPsSE_SF_SF_EEDaS13_S14_SK_SP_EUlS13_E_NS1_11comp_targetILNS1_3genE10ELNS1_11target_archE1201ELNS1_3gpuE5ELNS1_3repE0EEENS1_47radix_sort_onesweep_sort_config_static_selectorELNS0_4arch9wavefront6targetE1EEEvSK_,comdat
.Lfunc_end2001:
	.size	_ZN7rocprim17ROCPRIM_400000_NS6detail17trampoline_kernelINS0_14default_configENS1_35radix_sort_onesweep_config_selectorIsNS0_10empty_typeEEEZZNS1_29radix_sort_onesweep_iterationIS3_Lb0EN6thrust23THRUST_200600_302600_NS6detail15normal_iteratorINS9_10device_ptrIsEEEESE_PS5_SF_jNS0_19identity_decomposerENS1_16block_id_wrapperIjLb0EEEEE10hipError_tT1_PNSt15iterator_traitsISK_E10value_typeET2_T3_PNSL_ISQ_E10value_typeET4_T5_PSV_SW_PNS1_23onesweep_lookback_stateEbbT6_jjT7_P12ihipStream_tbENKUlT_T0_SK_SP_E_clIPsSE_SF_SF_EEDaS13_S14_SK_SP_EUlS13_E_NS1_11comp_targetILNS1_3genE10ELNS1_11target_archE1201ELNS1_3gpuE5ELNS1_3repE0EEENS1_47radix_sort_onesweep_sort_config_static_selectorELNS0_4arch9wavefront6targetE1EEEvSK_, .Lfunc_end2001-_ZN7rocprim17ROCPRIM_400000_NS6detail17trampoline_kernelINS0_14default_configENS1_35radix_sort_onesweep_config_selectorIsNS0_10empty_typeEEEZZNS1_29radix_sort_onesweep_iterationIS3_Lb0EN6thrust23THRUST_200600_302600_NS6detail15normal_iteratorINS9_10device_ptrIsEEEESE_PS5_SF_jNS0_19identity_decomposerENS1_16block_id_wrapperIjLb0EEEEE10hipError_tT1_PNSt15iterator_traitsISK_E10value_typeET2_T3_PNSL_ISQ_E10value_typeET4_T5_PSV_SW_PNS1_23onesweep_lookback_stateEbbT6_jjT7_P12ihipStream_tbENKUlT_T0_SK_SP_E_clIPsSE_SF_SF_EEDaS13_S14_SK_SP_EUlS13_E_NS1_11comp_targetILNS1_3genE10ELNS1_11target_archE1201ELNS1_3gpuE5ELNS1_3repE0EEENS1_47radix_sort_onesweep_sort_config_static_selectorELNS0_4arch9wavefront6targetE1EEEvSK_
                                        ; -- End function
	.section	.AMDGPU.csdata,"",@progbits
; Kernel info:
; codeLenInByte = 0
; NumSgprs: 6
; NumVgprs: 0
; NumAgprs: 0
; TotalNumVgprs: 0
; ScratchSize: 0
; MemoryBound: 0
; FloatMode: 240
; IeeeMode: 1
; LDSByteSize: 0 bytes/workgroup (compile time only)
; SGPRBlocks: 0
; VGPRBlocks: 0
; NumSGPRsForWavesPerEU: 6
; NumVGPRsForWavesPerEU: 1
; AccumOffset: 4
; Occupancy: 8
; WaveLimiterHint : 0
; COMPUTE_PGM_RSRC2:SCRATCH_EN: 0
; COMPUTE_PGM_RSRC2:USER_SGPR: 2
; COMPUTE_PGM_RSRC2:TRAP_HANDLER: 0
; COMPUTE_PGM_RSRC2:TGID_X_EN: 1
; COMPUTE_PGM_RSRC2:TGID_Y_EN: 0
; COMPUTE_PGM_RSRC2:TGID_Z_EN: 0
; COMPUTE_PGM_RSRC2:TIDIG_COMP_CNT: 0
; COMPUTE_PGM_RSRC3_GFX90A:ACCUM_OFFSET: 0
; COMPUTE_PGM_RSRC3_GFX90A:TG_SPLIT: 0
	.section	.text._ZN7rocprim17ROCPRIM_400000_NS6detail17trampoline_kernelINS0_14default_configENS1_35radix_sort_onesweep_config_selectorIsNS0_10empty_typeEEEZZNS1_29radix_sort_onesweep_iterationIS3_Lb0EN6thrust23THRUST_200600_302600_NS6detail15normal_iteratorINS9_10device_ptrIsEEEESE_PS5_SF_jNS0_19identity_decomposerENS1_16block_id_wrapperIjLb0EEEEE10hipError_tT1_PNSt15iterator_traitsISK_E10value_typeET2_T3_PNSL_ISQ_E10value_typeET4_T5_PSV_SW_PNS1_23onesweep_lookback_stateEbbT6_jjT7_P12ihipStream_tbENKUlT_T0_SK_SP_E_clIPsSE_SF_SF_EEDaS13_S14_SK_SP_EUlS13_E_NS1_11comp_targetILNS1_3genE9ELNS1_11target_archE1100ELNS1_3gpuE3ELNS1_3repE0EEENS1_47radix_sort_onesweep_sort_config_static_selectorELNS0_4arch9wavefront6targetE1EEEvSK_,"axG",@progbits,_ZN7rocprim17ROCPRIM_400000_NS6detail17trampoline_kernelINS0_14default_configENS1_35radix_sort_onesweep_config_selectorIsNS0_10empty_typeEEEZZNS1_29radix_sort_onesweep_iterationIS3_Lb0EN6thrust23THRUST_200600_302600_NS6detail15normal_iteratorINS9_10device_ptrIsEEEESE_PS5_SF_jNS0_19identity_decomposerENS1_16block_id_wrapperIjLb0EEEEE10hipError_tT1_PNSt15iterator_traitsISK_E10value_typeET2_T3_PNSL_ISQ_E10value_typeET4_T5_PSV_SW_PNS1_23onesweep_lookback_stateEbbT6_jjT7_P12ihipStream_tbENKUlT_T0_SK_SP_E_clIPsSE_SF_SF_EEDaS13_S14_SK_SP_EUlS13_E_NS1_11comp_targetILNS1_3genE9ELNS1_11target_archE1100ELNS1_3gpuE3ELNS1_3repE0EEENS1_47radix_sort_onesweep_sort_config_static_selectorELNS0_4arch9wavefront6targetE1EEEvSK_,comdat
	.protected	_ZN7rocprim17ROCPRIM_400000_NS6detail17trampoline_kernelINS0_14default_configENS1_35radix_sort_onesweep_config_selectorIsNS0_10empty_typeEEEZZNS1_29radix_sort_onesweep_iterationIS3_Lb0EN6thrust23THRUST_200600_302600_NS6detail15normal_iteratorINS9_10device_ptrIsEEEESE_PS5_SF_jNS0_19identity_decomposerENS1_16block_id_wrapperIjLb0EEEEE10hipError_tT1_PNSt15iterator_traitsISK_E10value_typeET2_T3_PNSL_ISQ_E10value_typeET4_T5_PSV_SW_PNS1_23onesweep_lookback_stateEbbT6_jjT7_P12ihipStream_tbENKUlT_T0_SK_SP_E_clIPsSE_SF_SF_EEDaS13_S14_SK_SP_EUlS13_E_NS1_11comp_targetILNS1_3genE9ELNS1_11target_archE1100ELNS1_3gpuE3ELNS1_3repE0EEENS1_47radix_sort_onesweep_sort_config_static_selectorELNS0_4arch9wavefront6targetE1EEEvSK_ ; -- Begin function _ZN7rocprim17ROCPRIM_400000_NS6detail17trampoline_kernelINS0_14default_configENS1_35radix_sort_onesweep_config_selectorIsNS0_10empty_typeEEEZZNS1_29radix_sort_onesweep_iterationIS3_Lb0EN6thrust23THRUST_200600_302600_NS6detail15normal_iteratorINS9_10device_ptrIsEEEESE_PS5_SF_jNS0_19identity_decomposerENS1_16block_id_wrapperIjLb0EEEEE10hipError_tT1_PNSt15iterator_traitsISK_E10value_typeET2_T3_PNSL_ISQ_E10value_typeET4_T5_PSV_SW_PNS1_23onesweep_lookback_stateEbbT6_jjT7_P12ihipStream_tbENKUlT_T0_SK_SP_E_clIPsSE_SF_SF_EEDaS13_S14_SK_SP_EUlS13_E_NS1_11comp_targetILNS1_3genE9ELNS1_11target_archE1100ELNS1_3gpuE3ELNS1_3repE0EEENS1_47radix_sort_onesweep_sort_config_static_selectorELNS0_4arch9wavefront6targetE1EEEvSK_
	.globl	_ZN7rocprim17ROCPRIM_400000_NS6detail17trampoline_kernelINS0_14default_configENS1_35radix_sort_onesweep_config_selectorIsNS0_10empty_typeEEEZZNS1_29radix_sort_onesweep_iterationIS3_Lb0EN6thrust23THRUST_200600_302600_NS6detail15normal_iteratorINS9_10device_ptrIsEEEESE_PS5_SF_jNS0_19identity_decomposerENS1_16block_id_wrapperIjLb0EEEEE10hipError_tT1_PNSt15iterator_traitsISK_E10value_typeET2_T3_PNSL_ISQ_E10value_typeET4_T5_PSV_SW_PNS1_23onesweep_lookback_stateEbbT6_jjT7_P12ihipStream_tbENKUlT_T0_SK_SP_E_clIPsSE_SF_SF_EEDaS13_S14_SK_SP_EUlS13_E_NS1_11comp_targetILNS1_3genE9ELNS1_11target_archE1100ELNS1_3gpuE3ELNS1_3repE0EEENS1_47radix_sort_onesweep_sort_config_static_selectorELNS0_4arch9wavefront6targetE1EEEvSK_
	.p2align	8
	.type	_ZN7rocprim17ROCPRIM_400000_NS6detail17trampoline_kernelINS0_14default_configENS1_35radix_sort_onesweep_config_selectorIsNS0_10empty_typeEEEZZNS1_29radix_sort_onesweep_iterationIS3_Lb0EN6thrust23THRUST_200600_302600_NS6detail15normal_iteratorINS9_10device_ptrIsEEEESE_PS5_SF_jNS0_19identity_decomposerENS1_16block_id_wrapperIjLb0EEEEE10hipError_tT1_PNSt15iterator_traitsISK_E10value_typeET2_T3_PNSL_ISQ_E10value_typeET4_T5_PSV_SW_PNS1_23onesweep_lookback_stateEbbT6_jjT7_P12ihipStream_tbENKUlT_T0_SK_SP_E_clIPsSE_SF_SF_EEDaS13_S14_SK_SP_EUlS13_E_NS1_11comp_targetILNS1_3genE9ELNS1_11target_archE1100ELNS1_3gpuE3ELNS1_3repE0EEENS1_47radix_sort_onesweep_sort_config_static_selectorELNS0_4arch9wavefront6targetE1EEEvSK_,@function
_ZN7rocprim17ROCPRIM_400000_NS6detail17trampoline_kernelINS0_14default_configENS1_35radix_sort_onesweep_config_selectorIsNS0_10empty_typeEEEZZNS1_29radix_sort_onesweep_iterationIS3_Lb0EN6thrust23THRUST_200600_302600_NS6detail15normal_iteratorINS9_10device_ptrIsEEEESE_PS5_SF_jNS0_19identity_decomposerENS1_16block_id_wrapperIjLb0EEEEE10hipError_tT1_PNSt15iterator_traitsISK_E10value_typeET2_T3_PNSL_ISQ_E10value_typeET4_T5_PSV_SW_PNS1_23onesweep_lookback_stateEbbT6_jjT7_P12ihipStream_tbENKUlT_T0_SK_SP_E_clIPsSE_SF_SF_EEDaS13_S14_SK_SP_EUlS13_E_NS1_11comp_targetILNS1_3genE9ELNS1_11target_archE1100ELNS1_3gpuE3ELNS1_3repE0EEENS1_47radix_sort_onesweep_sort_config_static_selectorELNS0_4arch9wavefront6targetE1EEEvSK_: ; @_ZN7rocprim17ROCPRIM_400000_NS6detail17trampoline_kernelINS0_14default_configENS1_35radix_sort_onesweep_config_selectorIsNS0_10empty_typeEEEZZNS1_29radix_sort_onesweep_iterationIS3_Lb0EN6thrust23THRUST_200600_302600_NS6detail15normal_iteratorINS9_10device_ptrIsEEEESE_PS5_SF_jNS0_19identity_decomposerENS1_16block_id_wrapperIjLb0EEEEE10hipError_tT1_PNSt15iterator_traitsISK_E10value_typeET2_T3_PNSL_ISQ_E10value_typeET4_T5_PSV_SW_PNS1_23onesweep_lookback_stateEbbT6_jjT7_P12ihipStream_tbENKUlT_T0_SK_SP_E_clIPsSE_SF_SF_EEDaS13_S14_SK_SP_EUlS13_E_NS1_11comp_targetILNS1_3genE9ELNS1_11target_archE1100ELNS1_3gpuE3ELNS1_3repE0EEENS1_47radix_sort_onesweep_sort_config_static_selectorELNS0_4arch9wavefront6targetE1EEEvSK_
; %bb.0:
	.section	.rodata,"a",@progbits
	.p2align	6, 0x0
	.amdhsa_kernel _ZN7rocprim17ROCPRIM_400000_NS6detail17trampoline_kernelINS0_14default_configENS1_35radix_sort_onesweep_config_selectorIsNS0_10empty_typeEEEZZNS1_29radix_sort_onesweep_iterationIS3_Lb0EN6thrust23THRUST_200600_302600_NS6detail15normal_iteratorINS9_10device_ptrIsEEEESE_PS5_SF_jNS0_19identity_decomposerENS1_16block_id_wrapperIjLb0EEEEE10hipError_tT1_PNSt15iterator_traitsISK_E10value_typeET2_T3_PNSL_ISQ_E10value_typeET4_T5_PSV_SW_PNS1_23onesweep_lookback_stateEbbT6_jjT7_P12ihipStream_tbENKUlT_T0_SK_SP_E_clIPsSE_SF_SF_EEDaS13_S14_SK_SP_EUlS13_E_NS1_11comp_targetILNS1_3genE9ELNS1_11target_archE1100ELNS1_3gpuE3ELNS1_3repE0EEENS1_47radix_sort_onesweep_sort_config_static_selectorELNS0_4arch9wavefront6targetE1EEEvSK_
		.amdhsa_group_segment_fixed_size 0
		.amdhsa_private_segment_fixed_size 0
		.amdhsa_kernarg_size 88
		.amdhsa_user_sgpr_count 2
		.amdhsa_user_sgpr_dispatch_ptr 0
		.amdhsa_user_sgpr_queue_ptr 0
		.amdhsa_user_sgpr_kernarg_segment_ptr 1
		.amdhsa_user_sgpr_dispatch_id 0
		.amdhsa_user_sgpr_kernarg_preload_length 0
		.amdhsa_user_sgpr_kernarg_preload_offset 0
		.amdhsa_user_sgpr_private_segment_size 0
		.amdhsa_uses_dynamic_stack 0
		.amdhsa_enable_private_segment 0
		.amdhsa_system_sgpr_workgroup_id_x 1
		.amdhsa_system_sgpr_workgroup_id_y 0
		.amdhsa_system_sgpr_workgroup_id_z 0
		.amdhsa_system_sgpr_workgroup_info 0
		.amdhsa_system_vgpr_workitem_id 0
		.amdhsa_next_free_vgpr 1
		.amdhsa_next_free_sgpr 0
		.amdhsa_accum_offset 4
		.amdhsa_reserve_vcc 0
		.amdhsa_float_round_mode_32 0
		.amdhsa_float_round_mode_16_64 0
		.amdhsa_float_denorm_mode_32 3
		.amdhsa_float_denorm_mode_16_64 3
		.amdhsa_dx10_clamp 1
		.amdhsa_ieee_mode 1
		.amdhsa_fp16_overflow 0
		.amdhsa_tg_split 0
		.amdhsa_exception_fp_ieee_invalid_op 0
		.amdhsa_exception_fp_denorm_src 0
		.amdhsa_exception_fp_ieee_div_zero 0
		.amdhsa_exception_fp_ieee_overflow 0
		.amdhsa_exception_fp_ieee_underflow 0
		.amdhsa_exception_fp_ieee_inexact 0
		.amdhsa_exception_int_div_zero 0
	.end_amdhsa_kernel
	.section	.text._ZN7rocprim17ROCPRIM_400000_NS6detail17trampoline_kernelINS0_14default_configENS1_35radix_sort_onesweep_config_selectorIsNS0_10empty_typeEEEZZNS1_29radix_sort_onesweep_iterationIS3_Lb0EN6thrust23THRUST_200600_302600_NS6detail15normal_iteratorINS9_10device_ptrIsEEEESE_PS5_SF_jNS0_19identity_decomposerENS1_16block_id_wrapperIjLb0EEEEE10hipError_tT1_PNSt15iterator_traitsISK_E10value_typeET2_T3_PNSL_ISQ_E10value_typeET4_T5_PSV_SW_PNS1_23onesweep_lookback_stateEbbT6_jjT7_P12ihipStream_tbENKUlT_T0_SK_SP_E_clIPsSE_SF_SF_EEDaS13_S14_SK_SP_EUlS13_E_NS1_11comp_targetILNS1_3genE9ELNS1_11target_archE1100ELNS1_3gpuE3ELNS1_3repE0EEENS1_47radix_sort_onesweep_sort_config_static_selectorELNS0_4arch9wavefront6targetE1EEEvSK_,"axG",@progbits,_ZN7rocprim17ROCPRIM_400000_NS6detail17trampoline_kernelINS0_14default_configENS1_35radix_sort_onesweep_config_selectorIsNS0_10empty_typeEEEZZNS1_29radix_sort_onesweep_iterationIS3_Lb0EN6thrust23THRUST_200600_302600_NS6detail15normal_iteratorINS9_10device_ptrIsEEEESE_PS5_SF_jNS0_19identity_decomposerENS1_16block_id_wrapperIjLb0EEEEE10hipError_tT1_PNSt15iterator_traitsISK_E10value_typeET2_T3_PNSL_ISQ_E10value_typeET4_T5_PSV_SW_PNS1_23onesweep_lookback_stateEbbT6_jjT7_P12ihipStream_tbENKUlT_T0_SK_SP_E_clIPsSE_SF_SF_EEDaS13_S14_SK_SP_EUlS13_E_NS1_11comp_targetILNS1_3genE9ELNS1_11target_archE1100ELNS1_3gpuE3ELNS1_3repE0EEENS1_47radix_sort_onesweep_sort_config_static_selectorELNS0_4arch9wavefront6targetE1EEEvSK_,comdat
.Lfunc_end2002:
	.size	_ZN7rocprim17ROCPRIM_400000_NS6detail17trampoline_kernelINS0_14default_configENS1_35radix_sort_onesweep_config_selectorIsNS0_10empty_typeEEEZZNS1_29radix_sort_onesweep_iterationIS3_Lb0EN6thrust23THRUST_200600_302600_NS6detail15normal_iteratorINS9_10device_ptrIsEEEESE_PS5_SF_jNS0_19identity_decomposerENS1_16block_id_wrapperIjLb0EEEEE10hipError_tT1_PNSt15iterator_traitsISK_E10value_typeET2_T3_PNSL_ISQ_E10value_typeET4_T5_PSV_SW_PNS1_23onesweep_lookback_stateEbbT6_jjT7_P12ihipStream_tbENKUlT_T0_SK_SP_E_clIPsSE_SF_SF_EEDaS13_S14_SK_SP_EUlS13_E_NS1_11comp_targetILNS1_3genE9ELNS1_11target_archE1100ELNS1_3gpuE3ELNS1_3repE0EEENS1_47radix_sort_onesweep_sort_config_static_selectorELNS0_4arch9wavefront6targetE1EEEvSK_, .Lfunc_end2002-_ZN7rocprim17ROCPRIM_400000_NS6detail17trampoline_kernelINS0_14default_configENS1_35radix_sort_onesweep_config_selectorIsNS0_10empty_typeEEEZZNS1_29radix_sort_onesweep_iterationIS3_Lb0EN6thrust23THRUST_200600_302600_NS6detail15normal_iteratorINS9_10device_ptrIsEEEESE_PS5_SF_jNS0_19identity_decomposerENS1_16block_id_wrapperIjLb0EEEEE10hipError_tT1_PNSt15iterator_traitsISK_E10value_typeET2_T3_PNSL_ISQ_E10value_typeET4_T5_PSV_SW_PNS1_23onesweep_lookback_stateEbbT6_jjT7_P12ihipStream_tbENKUlT_T0_SK_SP_E_clIPsSE_SF_SF_EEDaS13_S14_SK_SP_EUlS13_E_NS1_11comp_targetILNS1_3genE9ELNS1_11target_archE1100ELNS1_3gpuE3ELNS1_3repE0EEENS1_47radix_sort_onesweep_sort_config_static_selectorELNS0_4arch9wavefront6targetE1EEEvSK_
                                        ; -- End function
	.section	.AMDGPU.csdata,"",@progbits
; Kernel info:
; codeLenInByte = 0
; NumSgprs: 6
; NumVgprs: 0
; NumAgprs: 0
; TotalNumVgprs: 0
; ScratchSize: 0
; MemoryBound: 0
; FloatMode: 240
; IeeeMode: 1
; LDSByteSize: 0 bytes/workgroup (compile time only)
; SGPRBlocks: 0
; VGPRBlocks: 0
; NumSGPRsForWavesPerEU: 6
; NumVGPRsForWavesPerEU: 1
; AccumOffset: 4
; Occupancy: 8
; WaveLimiterHint : 0
; COMPUTE_PGM_RSRC2:SCRATCH_EN: 0
; COMPUTE_PGM_RSRC2:USER_SGPR: 2
; COMPUTE_PGM_RSRC2:TRAP_HANDLER: 0
; COMPUTE_PGM_RSRC2:TGID_X_EN: 1
; COMPUTE_PGM_RSRC2:TGID_Y_EN: 0
; COMPUTE_PGM_RSRC2:TGID_Z_EN: 0
; COMPUTE_PGM_RSRC2:TIDIG_COMP_CNT: 0
; COMPUTE_PGM_RSRC3_GFX90A:ACCUM_OFFSET: 0
; COMPUTE_PGM_RSRC3_GFX90A:TG_SPLIT: 0
	.section	.text._ZN7rocprim17ROCPRIM_400000_NS6detail17trampoline_kernelINS0_14default_configENS1_35radix_sort_onesweep_config_selectorIsNS0_10empty_typeEEEZZNS1_29radix_sort_onesweep_iterationIS3_Lb0EN6thrust23THRUST_200600_302600_NS6detail15normal_iteratorINS9_10device_ptrIsEEEESE_PS5_SF_jNS0_19identity_decomposerENS1_16block_id_wrapperIjLb0EEEEE10hipError_tT1_PNSt15iterator_traitsISK_E10value_typeET2_T3_PNSL_ISQ_E10value_typeET4_T5_PSV_SW_PNS1_23onesweep_lookback_stateEbbT6_jjT7_P12ihipStream_tbENKUlT_T0_SK_SP_E_clIPsSE_SF_SF_EEDaS13_S14_SK_SP_EUlS13_E_NS1_11comp_targetILNS1_3genE8ELNS1_11target_archE1030ELNS1_3gpuE2ELNS1_3repE0EEENS1_47radix_sort_onesweep_sort_config_static_selectorELNS0_4arch9wavefront6targetE1EEEvSK_,"axG",@progbits,_ZN7rocprim17ROCPRIM_400000_NS6detail17trampoline_kernelINS0_14default_configENS1_35radix_sort_onesweep_config_selectorIsNS0_10empty_typeEEEZZNS1_29radix_sort_onesweep_iterationIS3_Lb0EN6thrust23THRUST_200600_302600_NS6detail15normal_iteratorINS9_10device_ptrIsEEEESE_PS5_SF_jNS0_19identity_decomposerENS1_16block_id_wrapperIjLb0EEEEE10hipError_tT1_PNSt15iterator_traitsISK_E10value_typeET2_T3_PNSL_ISQ_E10value_typeET4_T5_PSV_SW_PNS1_23onesweep_lookback_stateEbbT6_jjT7_P12ihipStream_tbENKUlT_T0_SK_SP_E_clIPsSE_SF_SF_EEDaS13_S14_SK_SP_EUlS13_E_NS1_11comp_targetILNS1_3genE8ELNS1_11target_archE1030ELNS1_3gpuE2ELNS1_3repE0EEENS1_47radix_sort_onesweep_sort_config_static_selectorELNS0_4arch9wavefront6targetE1EEEvSK_,comdat
	.protected	_ZN7rocprim17ROCPRIM_400000_NS6detail17trampoline_kernelINS0_14default_configENS1_35radix_sort_onesweep_config_selectorIsNS0_10empty_typeEEEZZNS1_29radix_sort_onesweep_iterationIS3_Lb0EN6thrust23THRUST_200600_302600_NS6detail15normal_iteratorINS9_10device_ptrIsEEEESE_PS5_SF_jNS0_19identity_decomposerENS1_16block_id_wrapperIjLb0EEEEE10hipError_tT1_PNSt15iterator_traitsISK_E10value_typeET2_T3_PNSL_ISQ_E10value_typeET4_T5_PSV_SW_PNS1_23onesweep_lookback_stateEbbT6_jjT7_P12ihipStream_tbENKUlT_T0_SK_SP_E_clIPsSE_SF_SF_EEDaS13_S14_SK_SP_EUlS13_E_NS1_11comp_targetILNS1_3genE8ELNS1_11target_archE1030ELNS1_3gpuE2ELNS1_3repE0EEENS1_47radix_sort_onesweep_sort_config_static_selectorELNS0_4arch9wavefront6targetE1EEEvSK_ ; -- Begin function _ZN7rocprim17ROCPRIM_400000_NS6detail17trampoline_kernelINS0_14default_configENS1_35radix_sort_onesweep_config_selectorIsNS0_10empty_typeEEEZZNS1_29radix_sort_onesweep_iterationIS3_Lb0EN6thrust23THRUST_200600_302600_NS6detail15normal_iteratorINS9_10device_ptrIsEEEESE_PS5_SF_jNS0_19identity_decomposerENS1_16block_id_wrapperIjLb0EEEEE10hipError_tT1_PNSt15iterator_traitsISK_E10value_typeET2_T3_PNSL_ISQ_E10value_typeET4_T5_PSV_SW_PNS1_23onesweep_lookback_stateEbbT6_jjT7_P12ihipStream_tbENKUlT_T0_SK_SP_E_clIPsSE_SF_SF_EEDaS13_S14_SK_SP_EUlS13_E_NS1_11comp_targetILNS1_3genE8ELNS1_11target_archE1030ELNS1_3gpuE2ELNS1_3repE0EEENS1_47radix_sort_onesweep_sort_config_static_selectorELNS0_4arch9wavefront6targetE1EEEvSK_
	.globl	_ZN7rocprim17ROCPRIM_400000_NS6detail17trampoline_kernelINS0_14default_configENS1_35radix_sort_onesweep_config_selectorIsNS0_10empty_typeEEEZZNS1_29radix_sort_onesweep_iterationIS3_Lb0EN6thrust23THRUST_200600_302600_NS6detail15normal_iteratorINS9_10device_ptrIsEEEESE_PS5_SF_jNS0_19identity_decomposerENS1_16block_id_wrapperIjLb0EEEEE10hipError_tT1_PNSt15iterator_traitsISK_E10value_typeET2_T3_PNSL_ISQ_E10value_typeET4_T5_PSV_SW_PNS1_23onesweep_lookback_stateEbbT6_jjT7_P12ihipStream_tbENKUlT_T0_SK_SP_E_clIPsSE_SF_SF_EEDaS13_S14_SK_SP_EUlS13_E_NS1_11comp_targetILNS1_3genE8ELNS1_11target_archE1030ELNS1_3gpuE2ELNS1_3repE0EEENS1_47radix_sort_onesweep_sort_config_static_selectorELNS0_4arch9wavefront6targetE1EEEvSK_
	.p2align	8
	.type	_ZN7rocprim17ROCPRIM_400000_NS6detail17trampoline_kernelINS0_14default_configENS1_35radix_sort_onesweep_config_selectorIsNS0_10empty_typeEEEZZNS1_29radix_sort_onesweep_iterationIS3_Lb0EN6thrust23THRUST_200600_302600_NS6detail15normal_iteratorINS9_10device_ptrIsEEEESE_PS5_SF_jNS0_19identity_decomposerENS1_16block_id_wrapperIjLb0EEEEE10hipError_tT1_PNSt15iterator_traitsISK_E10value_typeET2_T3_PNSL_ISQ_E10value_typeET4_T5_PSV_SW_PNS1_23onesweep_lookback_stateEbbT6_jjT7_P12ihipStream_tbENKUlT_T0_SK_SP_E_clIPsSE_SF_SF_EEDaS13_S14_SK_SP_EUlS13_E_NS1_11comp_targetILNS1_3genE8ELNS1_11target_archE1030ELNS1_3gpuE2ELNS1_3repE0EEENS1_47radix_sort_onesweep_sort_config_static_selectorELNS0_4arch9wavefront6targetE1EEEvSK_,@function
_ZN7rocprim17ROCPRIM_400000_NS6detail17trampoline_kernelINS0_14default_configENS1_35radix_sort_onesweep_config_selectorIsNS0_10empty_typeEEEZZNS1_29radix_sort_onesweep_iterationIS3_Lb0EN6thrust23THRUST_200600_302600_NS6detail15normal_iteratorINS9_10device_ptrIsEEEESE_PS5_SF_jNS0_19identity_decomposerENS1_16block_id_wrapperIjLb0EEEEE10hipError_tT1_PNSt15iterator_traitsISK_E10value_typeET2_T3_PNSL_ISQ_E10value_typeET4_T5_PSV_SW_PNS1_23onesweep_lookback_stateEbbT6_jjT7_P12ihipStream_tbENKUlT_T0_SK_SP_E_clIPsSE_SF_SF_EEDaS13_S14_SK_SP_EUlS13_E_NS1_11comp_targetILNS1_3genE8ELNS1_11target_archE1030ELNS1_3gpuE2ELNS1_3repE0EEENS1_47radix_sort_onesweep_sort_config_static_selectorELNS0_4arch9wavefront6targetE1EEEvSK_: ; @_ZN7rocprim17ROCPRIM_400000_NS6detail17trampoline_kernelINS0_14default_configENS1_35radix_sort_onesweep_config_selectorIsNS0_10empty_typeEEEZZNS1_29radix_sort_onesweep_iterationIS3_Lb0EN6thrust23THRUST_200600_302600_NS6detail15normal_iteratorINS9_10device_ptrIsEEEESE_PS5_SF_jNS0_19identity_decomposerENS1_16block_id_wrapperIjLb0EEEEE10hipError_tT1_PNSt15iterator_traitsISK_E10value_typeET2_T3_PNSL_ISQ_E10value_typeET4_T5_PSV_SW_PNS1_23onesweep_lookback_stateEbbT6_jjT7_P12ihipStream_tbENKUlT_T0_SK_SP_E_clIPsSE_SF_SF_EEDaS13_S14_SK_SP_EUlS13_E_NS1_11comp_targetILNS1_3genE8ELNS1_11target_archE1030ELNS1_3gpuE2ELNS1_3repE0EEENS1_47radix_sort_onesweep_sort_config_static_selectorELNS0_4arch9wavefront6targetE1EEEvSK_
; %bb.0:
	.section	.rodata,"a",@progbits
	.p2align	6, 0x0
	.amdhsa_kernel _ZN7rocprim17ROCPRIM_400000_NS6detail17trampoline_kernelINS0_14default_configENS1_35radix_sort_onesweep_config_selectorIsNS0_10empty_typeEEEZZNS1_29radix_sort_onesweep_iterationIS3_Lb0EN6thrust23THRUST_200600_302600_NS6detail15normal_iteratorINS9_10device_ptrIsEEEESE_PS5_SF_jNS0_19identity_decomposerENS1_16block_id_wrapperIjLb0EEEEE10hipError_tT1_PNSt15iterator_traitsISK_E10value_typeET2_T3_PNSL_ISQ_E10value_typeET4_T5_PSV_SW_PNS1_23onesweep_lookback_stateEbbT6_jjT7_P12ihipStream_tbENKUlT_T0_SK_SP_E_clIPsSE_SF_SF_EEDaS13_S14_SK_SP_EUlS13_E_NS1_11comp_targetILNS1_3genE8ELNS1_11target_archE1030ELNS1_3gpuE2ELNS1_3repE0EEENS1_47radix_sort_onesweep_sort_config_static_selectorELNS0_4arch9wavefront6targetE1EEEvSK_
		.amdhsa_group_segment_fixed_size 0
		.amdhsa_private_segment_fixed_size 0
		.amdhsa_kernarg_size 88
		.amdhsa_user_sgpr_count 2
		.amdhsa_user_sgpr_dispatch_ptr 0
		.amdhsa_user_sgpr_queue_ptr 0
		.amdhsa_user_sgpr_kernarg_segment_ptr 1
		.amdhsa_user_sgpr_dispatch_id 0
		.amdhsa_user_sgpr_kernarg_preload_length 0
		.amdhsa_user_sgpr_kernarg_preload_offset 0
		.amdhsa_user_sgpr_private_segment_size 0
		.amdhsa_uses_dynamic_stack 0
		.amdhsa_enable_private_segment 0
		.amdhsa_system_sgpr_workgroup_id_x 1
		.amdhsa_system_sgpr_workgroup_id_y 0
		.amdhsa_system_sgpr_workgroup_id_z 0
		.amdhsa_system_sgpr_workgroup_info 0
		.amdhsa_system_vgpr_workitem_id 0
		.amdhsa_next_free_vgpr 1
		.amdhsa_next_free_sgpr 0
		.amdhsa_accum_offset 4
		.amdhsa_reserve_vcc 0
		.amdhsa_float_round_mode_32 0
		.amdhsa_float_round_mode_16_64 0
		.amdhsa_float_denorm_mode_32 3
		.amdhsa_float_denorm_mode_16_64 3
		.amdhsa_dx10_clamp 1
		.amdhsa_ieee_mode 1
		.amdhsa_fp16_overflow 0
		.amdhsa_tg_split 0
		.amdhsa_exception_fp_ieee_invalid_op 0
		.amdhsa_exception_fp_denorm_src 0
		.amdhsa_exception_fp_ieee_div_zero 0
		.amdhsa_exception_fp_ieee_overflow 0
		.amdhsa_exception_fp_ieee_underflow 0
		.amdhsa_exception_fp_ieee_inexact 0
		.amdhsa_exception_int_div_zero 0
	.end_amdhsa_kernel
	.section	.text._ZN7rocprim17ROCPRIM_400000_NS6detail17trampoline_kernelINS0_14default_configENS1_35radix_sort_onesweep_config_selectorIsNS0_10empty_typeEEEZZNS1_29radix_sort_onesweep_iterationIS3_Lb0EN6thrust23THRUST_200600_302600_NS6detail15normal_iteratorINS9_10device_ptrIsEEEESE_PS5_SF_jNS0_19identity_decomposerENS1_16block_id_wrapperIjLb0EEEEE10hipError_tT1_PNSt15iterator_traitsISK_E10value_typeET2_T3_PNSL_ISQ_E10value_typeET4_T5_PSV_SW_PNS1_23onesweep_lookback_stateEbbT6_jjT7_P12ihipStream_tbENKUlT_T0_SK_SP_E_clIPsSE_SF_SF_EEDaS13_S14_SK_SP_EUlS13_E_NS1_11comp_targetILNS1_3genE8ELNS1_11target_archE1030ELNS1_3gpuE2ELNS1_3repE0EEENS1_47radix_sort_onesweep_sort_config_static_selectorELNS0_4arch9wavefront6targetE1EEEvSK_,"axG",@progbits,_ZN7rocprim17ROCPRIM_400000_NS6detail17trampoline_kernelINS0_14default_configENS1_35radix_sort_onesweep_config_selectorIsNS0_10empty_typeEEEZZNS1_29radix_sort_onesweep_iterationIS3_Lb0EN6thrust23THRUST_200600_302600_NS6detail15normal_iteratorINS9_10device_ptrIsEEEESE_PS5_SF_jNS0_19identity_decomposerENS1_16block_id_wrapperIjLb0EEEEE10hipError_tT1_PNSt15iterator_traitsISK_E10value_typeET2_T3_PNSL_ISQ_E10value_typeET4_T5_PSV_SW_PNS1_23onesweep_lookback_stateEbbT6_jjT7_P12ihipStream_tbENKUlT_T0_SK_SP_E_clIPsSE_SF_SF_EEDaS13_S14_SK_SP_EUlS13_E_NS1_11comp_targetILNS1_3genE8ELNS1_11target_archE1030ELNS1_3gpuE2ELNS1_3repE0EEENS1_47radix_sort_onesweep_sort_config_static_selectorELNS0_4arch9wavefront6targetE1EEEvSK_,comdat
.Lfunc_end2003:
	.size	_ZN7rocprim17ROCPRIM_400000_NS6detail17trampoline_kernelINS0_14default_configENS1_35radix_sort_onesweep_config_selectorIsNS0_10empty_typeEEEZZNS1_29radix_sort_onesweep_iterationIS3_Lb0EN6thrust23THRUST_200600_302600_NS6detail15normal_iteratorINS9_10device_ptrIsEEEESE_PS5_SF_jNS0_19identity_decomposerENS1_16block_id_wrapperIjLb0EEEEE10hipError_tT1_PNSt15iterator_traitsISK_E10value_typeET2_T3_PNSL_ISQ_E10value_typeET4_T5_PSV_SW_PNS1_23onesweep_lookback_stateEbbT6_jjT7_P12ihipStream_tbENKUlT_T0_SK_SP_E_clIPsSE_SF_SF_EEDaS13_S14_SK_SP_EUlS13_E_NS1_11comp_targetILNS1_3genE8ELNS1_11target_archE1030ELNS1_3gpuE2ELNS1_3repE0EEENS1_47radix_sort_onesweep_sort_config_static_selectorELNS0_4arch9wavefront6targetE1EEEvSK_, .Lfunc_end2003-_ZN7rocprim17ROCPRIM_400000_NS6detail17trampoline_kernelINS0_14default_configENS1_35radix_sort_onesweep_config_selectorIsNS0_10empty_typeEEEZZNS1_29radix_sort_onesweep_iterationIS3_Lb0EN6thrust23THRUST_200600_302600_NS6detail15normal_iteratorINS9_10device_ptrIsEEEESE_PS5_SF_jNS0_19identity_decomposerENS1_16block_id_wrapperIjLb0EEEEE10hipError_tT1_PNSt15iterator_traitsISK_E10value_typeET2_T3_PNSL_ISQ_E10value_typeET4_T5_PSV_SW_PNS1_23onesweep_lookback_stateEbbT6_jjT7_P12ihipStream_tbENKUlT_T0_SK_SP_E_clIPsSE_SF_SF_EEDaS13_S14_SK_SP_EUlS13_E_NS1_11comp_targetILNS1_3genE8ELNS1_11target_archE1030ELNS1_3gpuE2ELNS1_3repE0EEENS1_47radix_sort_onesweep_sort_config_static_selectorELNS0_4arch9wavefront6targetE1EEEvSK_
                                        ; -- End function
	.section	.AMDGPU.csdata,"",@progbits
; Kernel info:
; codeLenInByte = 0
; NumSgprs: 6
; NumVgprs: 0
; NumAgprs: 0
; TotalNumVgprs: 0
; ScratchSize: 0
; MemoryBound: 0
; FloatMode: 240
; IeeeMode: 1
; LDSByteSize: 0 bytes/workgroup (compile time only)
; SGPRBlocks: 0
; VGPRBlocks: 0
; NumSGPRsForWavesPerEU: 6
; NumVGPRsForWavesPerEU: 1
; AccumOffset: 4
; Occupancy: 8
; WaveLimiterHint : 0
; COMPUTE_PGM_RSRC2:SCRATCH_EN: 0
; COMPUTE_PGM_RSRC2:USER_SGPR: 2
; COMPUTE_PGM_RSRC2:TRAP_HANDLER: 0
; COMPUTE_PGM_RSRC2:TGID_X_EN: 1
; COMPUTE_PGM_RSRC2:TGID_Y_EN: 0
; COMPUTE_PGM_RSRC2:TGID_Z_EN: 0
; COMPUTE_PGM_RSRC2:TIDIG_COMP_CNT: 0
; COMPUTE_PGM_RSRC3_GFX90A:ACCUM_OFFSET: 0
; COMPUTE_PGM_RSRC3_GFX90A:TG_SPLIT: 0
	.section	.text._ZN7rocprim17ROCPRIM_400000_NS6detail17trampoline_kernelINS0_14default_configENS1_25partition_config_selectorILNS1_17partition_subalgoE2EyNS0_10empty_typeEbEEZZNS1_14partition_implILS5_2ELb0ES3_jN6thrust23THRUST_200600_302600_NS6detail15normal_iteratorINSA_7pointerIyNSA_11hip_rocprim3tagENSA_11use_defaultESG_EEEEPS6_NSA_18transform_iteratorI7is_evenIyENSC_INSA_10device_ptrIyEEEESG_SG_EENS0_5tupleIJPySJ_EEENSR_IJSJ_SJ_EEES6_PlJS6_EEE10hipError_tPvRmT3_T4_T5_T6_T7_T9_mT8_P12ihipStream_tbDpT10_ENKUlT_T0_E_clISt17integral_constantIbLb0EES1F_EEDaS1A_S1B_EUlS1A_E_NS1_11comp_targetILNS1_3genE0ELNS1_11target_archE4294967295ELNS1_3gpuE0ELNS1_3repE0EEENS1_30default_config_static_selectorELNS0_4arch9wavefront6targetE1EEEvT1_,"axG",@progbits,_ZN7rocprim17ROCPRIM_400000_NS6detail17trampoline_kernelINS0_14default_configENS1_25partition_config_selectorILNS1_17partition_subalgoE2EyNS0_10empty_typeEbEEZZNS1_14partition_implILS5_2ELb0ES3_jN6thrust23THRUST_200600_302600_NS6detail15normal_iteratorINSA_7pointerIyNSA_11hip_rocprim3tagENSA_11use_defaultESG_EEEEPS6_NSA_18transform_iteratorI7is_evenIyENSC_INSA_10device_ptrIyEEEESG_SG_EENS0_5tupleIJPySJ_EEENSR_IJSJ_SJ_EEES6_PlJS6_EEE10hipError_tPvRmT3_T4_T5_T6_T7_T9_mT8_P12ihipStream_tbDpT10_ENKUlT_T0_E_clISt17integral_constantIbLb0EES1F_EEDaS1A_S1B_EUlS1A_E_NS1_11comp_targetILNS1_3genE0ELNS1_11target_archE4294967295ELNS1_3gpuE0ELNS1_3repE0EEENS1_30default_config_static_selectorELNS0_4arch9wavefront6targetE1EEEvT1_,comdat
	.protected	_ZN7rocprim17ROCPRIM_400000_NS6detail17trampoline_kernelINS0_14default_configENS1_25partition_config_selectorILNS1_17partition_subalgoE2EyNS0_10empty_typeEbEEZZNS1_14partition_implILS5_2ELb0ES3_jN6thrust23THRUST_200600_302600_NS6detail15normal_iteratorINSA_7pointerIyNSA_11hip_rocprim3tagENSA_11use_defaultESG_EEEEPS6_NSA_18transform_iteratorI7is_evenIyENSC_INSA_10device_ptrIyEEEESG_SG_EENS0_5tupleIJPySJ_EEENSR_IJSJ_SJ_EEES6_PlJS6_EEE10hipError_tPvRmT3_T4_T5_T6_T7_T9_mT8_P12ihipStream_tbDpT10_ENKUlT_T0_E_clISt17integral_constantIbLb0EES1F_EEDaS1A_S1B_EUlS1A_E_NS1_11comp_targetILNS1_3genE0ELNS1_11target_archE4294967295ELNS1_3gpuE0ELNS1_3repE0EEENS1_30default_config_static_selectorELNS0_4arch9wavefront6targetE1EEEvT1_ ; -- Begin function _ZN7rocprim17ROCPRIM_400000_NS6detail17trampoline_kernelINS0_14default_configENS1_25partition_config_selectorILNS1_17partition_subalgoE2EyNS0_10empty_typeEbEEZZNS1_14partition_implILS5_2ELb0ES3_jN6thrust23THRUST_200600_302600_NS6detail15normal_iteratorINSA_7pointerIyNSA_11hip_rocprim3tagENSA_11use_defaultESG_EEEEPS6_NSA_18transform_iteratorI7is_evenIyENSC_INSA_10device_ptrIyEEEESG_SG_EENS0_5tupleIJPySJ_EEENSR_IJSJ_SJ_EEES6_PlJS6_EEE10hipError_tPvRmT3_T4_T5_T6_T7_T9_mT8_P12ihipStream_tbDpT10_ENKUlT_T0_E_clISt17integral_constantIbLb0EES1F_EEDaS1A_S1B_EUlS1A_E_NS1_11comp_targetILNS1_3genE0ELNS1_11target_archE4294967295ELNS1_3gpuE0ELNS1_3repE0EEENS1_30default_config_static_selectorELNS0_4arch9wavefront6targetE1EEEvT1_
	.globl	_ZN7rocprim17ROCPRIM_400000_NS6detail17trampoline_kernelINS0_14default_configENS1_25partition_config_selectorILNS1_17partition_subalgoE2EyNS0_10empty_typeEbEEZZNS1_14partition_implILS5_2ELb0ES3_jN6thrust23THRUST_200600_302600_NS6detail15normal_iteratorINSA_7pointerIyNSA_11hip_rocprim3tagENSA_11use_defaultESG_EEEEPS6_NSA_18transform_iteratorI7is_evenIyENSC_INSA_10device_ptrIyEEEESG_SG_EENS0_5tupleIJPySJ_EEENSR_IJSJ_SJ_EEES6_PlJS6_EEE10hipError_tPvRmT3_T4_T5_T6_T7_T9_mT8_P12ihipStream_tbDpT10_ENKUlT_T0_E_clISt17integral_constantIbLb0EES1F_EEDaS1A_S1B_EUlS1A_E_NS1_11comp_targetILNS1_3genE0ELNS1_11target_archE4294967295ELNS1_3gpuE0ELNS1_3repE0EEENS1_30default_config_static_selectorELNS0_4arch9wavefront6targetE1EEEvT1_
	.p2align	8
	.type	_ZN7rocprim17ROCPRIM_400000_NS6detail17trampoline_kernelINS0_14default_configENS1_25partition_config_selectorILNS1_17partition_subalgoE2EyNS0_10empty_typeEbEEZZNS1_14partition_implILS5_2ELb0ES3_jN6thrust23THRUST_200600_302600_NS6detail15normal_iteratorINSA_7pointerIyNSA_11hip_rocprim3tagENSA_11use_defaultESG_EEEEPS6_NSA_18transform_iteratorI7is_evenIyENSC_INSA_10device_ptrIyEEEESG_SG_EENS0_5tupleIJPySJ_EEENSR_IJSJ_SJ_EEES6_PlJS6_EEE10hipError_tPvRmT3_T4_T5_T6_T7_T9_mT8_P12ihipStream_tbDpT10_ENKUlT_T0_E_clISt17integral_constantIbLb0EES1F_EEDaS1A_S1B_EUlS1A_E_NS1_11comp_targetILNS1_3genE0ELNS1_11target_archE4294967295ELNS1_3gpuE0ELNS1_3repE0EEENS1_30default_config_static_selectorELNS0_4arch9wavefront6targetE1EEEvT1_,@function
_ZN7rocprim17ROCPRIM_400000_NS6detail17trampoline_kernelINS0_14default_configENS1_25partition_config_selectorILNS1_17partition_subalgoE2EyNS0_10empty_typeEbEEZZNS1_14partition_implILS5_2ELb0ES3_jN6thrust23THRUST_200600_302600_NS6detail15normal_iteratorINSA_7pointerIyNSA_11hip_rocprim3tagENSA_11use_defaultESG_EEEEPS6_NSA_18transform_iteratorI7is_evenIyENSC_INSA_10device_ptrIyEEEESG_SG_EENS0_5tupleIJPySJ_EEENSR_IJSJ_SJ_EEES6_PlJS6_EEE10hipError_tPvRmT3_T4_T5_T6_T7_T9_mT8_P12ihipStream_tbDpT10_ENKUlT_T0_E_clISt17integral_constantIbLb0EES1F_EEDaS1A_S1B_EUlS1A_E_NS1_11comp_targetILNS1_3genE0ELNS1_11target_archE4294967295ELNS1_3gpuE0ELNS1_3repE0EEENS1_30default_config_static_selectorELNS0_4arch9wavefront6targetE1EEEvT1_: ; @_ZN7rocprim17ROCPRIM_400000_NS6detail17trampoline_kernelINS0_14default_configENS1_25partition_config_selectorILNS1_17partition_subalgoE2EyNS0_10empty_typeEbEEZZNS1_14partition_implILS5_2ELb0ES3_jN6thrust23THRUST_200600_302600_NS6detail15normal_iteratorINSA_7pointerIyNSA_11hip_rocprim3tagENSA_11use_defaultESG_EEEEPS6_NSA_18transform_iteratorI7is_evenIyENSC_INSA_10device_ptrIyEEEESG_SG_EENS0_5tupleIJPySJ_EEENSR_IJSJ_SJ_EEES6_PlJS6_EEE10hipError_tPvRmT3_T4_T5_T6_T7_T9_mT8_P12ihipStream_tbDpT10_ENKUlT_T0_E_clISt17integral_constantIbLb0EES1F_EEDaS1A_S1B_EUlS1A_E_NS1_11comp_targetILNS1_3genE0ELNS1_11target_archE4294967295ELNS1_3gpuE0ELNS1_3repE0EEENS1_30default_config_static_selectorELNS0_4arch9wavefront6targetE1EEEvT1_
; %bb.0:
	.section	.rodata,"a",@progbits
	.p2align	6, 0x0
	.amdhsa_kernel _ZN7rocprim17ROCPRIM_400000_NS6detail17trampoline_kernelINS0_14default_configENS1_25partition_config_selectorILNS1_17partition_subalgoE2EyNS0_10empty_typeEbEEZZNS1_14partition_implILS5_2ELb0ES3_jN6thrust23THRUST_200600_302600_NS6detail15normal_iteratorINSA_7pointerIyNSA_11hip_rocprim3tagENSA_11use_defaultESG_EEEEPS6_NSA_18transform_iteratorI7is_evenIyENSC_INSA_10device_ptrIyEEEESG_SG_EENS0_5tupleIJPySJ_EEENSR_IJSJ_SJ_EEES6_PlJS6_EEE10hipError_tPvRmT3_T4_T5_T6_T7_T9_mT8_P12ihipStream_tbDpT10_ENKUlT_T0_E_clISt17integral_constantIbLb0EES1F_EEDaS1A_S1B_EUlS1A_E_NS1_11comp_targetILNS1_3genE0ELNS1_11target_archE4294967295ELNS1_3gpuE0ELNS1_3repE0EEENS1_30default_config_static_selectorELNS0_4arch9wavefront6targetE1EEEvT1_
		.amdhsa_group_segment_fixed_size 0
		.amdhsa_private_segment_fixed_size 0
		.amdhsa_kernarg_size 128
		.amdhsa_user_sgpr_count 2
		.amdhsa_user_sgpr_dispatch_ptr 0
		.amdhsa_user_sgpr_queue_ptr 0
		.amdhsa_user_sgpr_kernarg_segment_ptr 1
		.amdhsa_user_sgpr_dispatch_id 0
		.amdhsa_user_sgpr_kernarg_preload_length 0
		.amdhsa_user_sgpr_kernarg_preload_offset 0
		.amdhsa_user_sgpr_private_segment_size 0
		.amdhsa_uses_dynamic_stack 0
		.amdhsa_enable_private_segment 0
		.amdhsa_system_sgpr_workgroup_id_x 1
		.amdhsa_system_sgpr_workgroup_id_y 0
		.amdhsa_system_sgpr_workgroup_id_z 0
		.amdhsa_system_sgpr_workgroup_info 0
		.amdhsa_system_vgpr_workitem_id 0
		.amdhsa_next_free_vgpr 1
		.amdhsa_next_free_sgpr 0
		.amdhsa_accum_offset 4
		.amdhsa_reserve_vcc 0
		.amdhsa_float_round_mode_32 0
		.amdhsa_float_round_mode_16_64 0
		.amdhsa_float_denorm_mode_32 3
		.amdhsa_float_denorm_mode_16_64 3
		.amdhsa_dx10_clamp 1
		.amdhsa_ieee_mode 1
		.amdhsa_fp16_overflow 0
		.amdhsa_tg_split 0
		.amdhsa_exception_fp_ieee_invalid_op 0
		.amdhsa_exception_fp_denorm_src 0
		.amdhsa_exception_fp_ieee_div_zero 0
		.amdhsa_exception_fp_ieee_overflow 0
		.amdhsa_exception_fp_ieee_underflow 0
		.amdhsa_exception_fp_ieee_inexact 0
		.amdhsa_exception_int_div_zero 0
	.end_amdhsa_kernel
	.section	.text._ZN7rocprim17ROCPRIM_400000_NS6detail17trampoline_kernelINS0_14default_configENS1_25partition_config_selectorILNS1_17partition_subalgoE2EyNS0_10empty_typeEbEEZZNS1_14partition_implILS5_2ELb0ES3_jN6thrust23THRUST_200600_302600_NS6detail15normal_iteratorINSA_7pointerIyNSA_11hip_rocprim3tagENSA_11use_defaultESG_EEEEPS6_NSA_18transform_iteratorI7is_evenIyENSC_INSA_10device_ptrIyEEEESG_SG_EENS0_5tupleIJPySJ_EEENSR_IJSJ_SJ_EEES6_PlJS6_EEE10hipError_tPvRmT3_T4_T5_T6_T7_T9_mT8_P12ihipStream_tbDpT10_ENKUlT_T0_E_clISt17integral_constantIbLb0EES1F_EEDaS1A_S1B_EUlS1A_E_NS1_11comp_targetILNS1_3genE0ELNS1_11target_archE4294967295ELNS1_3gpuE0ELNS1_3repE0EEENS1_30default_config_static_selectorELNS0_4arch9wavefront6targetE1EEEvT1_,"axG",@progbits,_ZN7rocprim17ROCPRIM_400000_NS6detail17trampoline_kernelINS0_14default_configENS1_25partition_config_selectorILNS1_17partition_subalgoE2EyNS0_10empty_typeEbEEZZNS1_14partition_implILS5_2ELb0ES3_jN6thrust23THRUST_200600_302600_NS6detail15normal_iteratorINSA_7pointerIyNSA_11hip_rocprim3tagENSA_11use_defaultESG_EEEEPS6_NSA_18transform_iteratorI7is_evenIyENSC_INSA_10device_ptrIyEEEESG_SG_EENS0_5tupleIJPySJ_EEENSR_IJSJ_SJ_EEES6_PlJS6_EEE10hipError_tPvRmT3_T4_T5_T6_T7_T9_mT8_P12ihipStream_tbDpT10_ENKUlT_T0_E_clISt17integral_constantIbLb0EES1F_EEDaS1A_S1B_EUlS1A_E_NS1_11comp_targetILNS1_3genE0ELNS1_11target_archE4294967295ELNS1_3gpuE0ELNS1_3repE0EEENS1_30default_config_static_selectorELNS0_4arch9wavefront6targetE1EEEvT1_,comdat
.Lfunc_end2004:
	.size	_ZN7rocprim17ROCPRIM_400000_NS6detail17trampoline_kernelINS0_14default_configENS1_25partition_config_selectorILNS1_17partition_subalgoE2EyNS0_10empty_typeEbEEZZNS1_14partition_implILS5_2ELb0ES3_jN6thrust23THRUST_200600_302600_NS6detail15normal_iteratorINSA_7pointerIyNSA_11hip_rocprim3tagENSA_11use_defaultESG_EEEEPS6_NSA_18transform_iteratorI7is_evenIyENSC_INSA_10device_ptrIyEEEESG_SG_EENS0_5tupleIJPySJ_EEENSR_IJSJ_SJ_EEES6_PlJS6_EEE10hipError_tPvRmT3_T4_T5_T6_T7_T9_mT8_P12ihipStream_tbDpT10_ENKUlT_T0_E_clISt17integral_constantIbLb0EES1F_EEDaS1A_S1B_EUlS1A_E_NS1_11comp_targetILNS1_3genE0ELNS1_11target_archE4294967295ELNS1_3gpuE0ELNS1_3repE0EEENS1_30default_config_static_selectorELNS0_4arch9wavefront6targetE1EEEvT1_, .Lfunc_end2004-_ZN7rocprim17ROCPRIM_400000_NS6detail17trampoline_kernelINS0_14default_configENS1_25partition_config_selectorILNS1_17partition_subalgoE2EyNS0_10empty_typeEbEEZZNS1_14partition_implILS5_2ELb0ES3_jN6thrust23THRUST_200600_302600_NS6detail15normal_iteratorINSA_7pointerIyNSA_11hip_rocprim3tagENSA_11use_defaultESG_EEEEPS6_NSA_18transform_iteratorI7is_evenIyENSC_INSA_10device_ptrIyEEEESG_SG_EENS0_5tupleIJPySJ_EEENSR_IJSJ_SJ_EEES6_PlJS6_EEE10hipError_tPvRmT3_T4_T5_T6_T7_T9_mT8_P12ihipStream_tbDpT10_ENKUlT_T0_E_clISt17integral_constantIbLb0EES1F_EEDaS1A_S1B_EUlS1A_E_NS1_11comp_targetILNS1_3genE0ELNS1_11target_archE4294967295ELNS1_3gpuE0ELNS1_3repE0EEENS1_30default_config_static_selectorELNS0_4arch9wavefront6targetE1EEEvT1_
                                        ; -- End function
	.section	.AMDGPU.csdata,"",@progbits
; Kernel info:
; codeLenInByte = 0
; NumSgprs: 6
; NumVgprs: 0
; NumAgprs: 0
; TotalNumVgprs: 0
; ScratchSize: 0
; MemoryBound: 0
; FloatMode: 240
; IeeeMode: 1
; LDSByteSize: 0 bytes/workgroup (compile time only)
; SGPRBlocks: 0
; VGPRBlocks: 0
; NumSGPRsForWavesPerEU: 6
; NumVGPRsForWavesPerEU: 1
; AccumOffset: 4
; Occupancy: 8
; WaveLimiterHint : 0
; COMPUTE_PGM_RSRC2:SCRATCH_EN: 0
; COMPUTE_PGM_RSRC2:USER_SGPR: 2
; COMPUTE_PGM_RSRC2:TRAP_HANDLER: 0
; COMPUTE_PGM_RSRC2:TGID_X_EN: 1
; COMPUTE_PGM_RSRC2:TGID_Y_EN: 0
; COMPUTE_PGM_RSRC2:TGID_Z_EN: 0
; COMPUTE_PGM_RSRC2:TIDIG_COMP_CNT: 0
; COMPUTE_PGM_RSRC3_GFX90A:ACCUM_OFFSET: 0
; COMPUTE_PGM_RSRC3_GFX90A:TG_SPLIT: 0
	.section	.text._ZN7rocprim17ROCPRIM_400000_NS6detail17trampoline_kernelINS0_14default_configENS1_25partition_config_selectorILNS1_17partition_subalgoE2EyNS0_10empty_typeEbEEZZNS1_14partition_implILS5_2ELb0ES3_jN6thrust23THRUST_200600_302600_NS6detail15normal_iteratorINSA_7pointerIyNSA_11hip_rocprim3tagENSA_11use_defaultESG_EEEEPS6_NSA_18transform_iteratorI7is_evenIyENSC_INSA_10device_ptrIyEEEESG_SG_EENS0_5tupleIJPySJ_EEENSR_IJSJ_SJ_EEES6_PlJS6_EEE10hipError_tPvRmT3_T4_T5_T6_T7_T9_mT8_P12ihipStream_tbDpT10_ENKUlT_T0_E_clISt17integral_constantIbLb0EES1F_EEDaS1A_S1B_EUlS1A_E_NS1_11comp_targetILNS1_3genE5ELNS1_11target_archE942ELNS1_3gpuE9ELNS1_3repE0EEENS1_30default_config_static_selectorELNS0_4arch9wavefront6targetE1EEEvT1_,"axG",@progbits,_ZN7rocprim17ROCPRIM_400000_NS6detail17trampoline_kernelINS0_14default_configENS1_25partition_config_selectorILNS1_17partition_subalgoE2EyNS0_10empty_typeEbEEZZNS1_14partition_implILS5_2ELb0ES3_jN6thrust23THRUST_200600_302600_NS6detail15normal_iteratorINSA_7pointerIyNSA_11hip_rocprim3tagENSA_11use_defaultESG_EEEEPS6_NSA_18transform_iteratorI7is_evenIyENSC_INSA_10device_ptrIyEEEESG_SG_EENS0_5tupleIJPySJ_EEENSR_IJSJ_SJ_EEES6_PlJS6_EEE10hipError_tPvRmT3_T4_T5_T6_T7_T9_mT8_P12ihipStream_tbDpT10_ENKUlT_T0_E_clISt17integral_constantIbLb0EES1F_EEDaS1A_S1B_EUlS1A_E_NS1_11comp_targetILNS1_3genE5ELNS1_11target_archE942ELNS1_3gpuE9ELNS1_3repE0EEENS1_30default_config_static_selectorELNS0_4arch9wavefront6targetE1EEEvT1_,comdat
	.protected	_ZN7rocprim17ROCPRIM_400000_NS6detail17trampoline_kernelINS0_14default_configENS1_25partition_config_selectorILNS1_17partition_subalgoE2EyNS0_10empty_typeEbEEZZNS1_14partition_implILS5_2ELb0ES3_jN6thrust23THRUST_200600_302600_NS6detail15normal_iteratorINSA_7pointerIyNSA_11hip_rocprim3tagENSA_11use_defaultESG_EEEEPS6_NSA_18transform_iteratorI7is_evenIyENSC_INSA_10device_ptrIyEEEESG_SG_EENS0_5tupleIJPySJ_EEENSR_IJSJ_SJ_EEES6_PlJS6_EEE10hipError_tPvRmT3_T4_T5_T6_T7_T9_mT8_P12ihipStream_tbDpT10_ENKUlT_T0_E_clISt17integral_constantIbLb0EES1F_EEDaS1A_S1B_EUlS1A_E_NS1_11comp_targetILNS1_3genE5ELNS1_11target_archE942ELNS1_3gpuE9ELNS1_3repE0EEENS1_30default_config_static_selectorELNS0_4arch9wavefront6targetE1EEEvT1_ ; -- Begin function _ZN7rocprim17ROCPRIM_400000_NS6detail17trampoline_kernelINS0_14default_configENS1_25partition_config_selectorILNS1_17partition_subalgoE2EyNS0_10empty_typeEbEEZZNS1_14partition_implILS5_2ELb0ES3_jN6thrust23THRUST_200600_302600_NS6detail15normal_iteratorINSA_7pointerIyNSA_11hip_rocprim3tagENSA_11use_defaultESG_EEEEPS6_NSA_18transform_iteratorI7is_evenIyENSC_INSA_10device_ptrIyEEEESG_SG_EENS0_5tupleIJPySJ_EEENSR_IJSJ_SJ_EEES6_PlJS6_EEE10hipError_tPvRmT3_T4_T5_T6_T7_T9_mT8_P12ihipStream_tbDpT10_ENKUlT_T0_E_clISt17integral_constantIbLb0EES1F_EEDaS1A_S1B_EUlS1A_E_NS1_11comp_targetILNS1_3genE5ELNS1_11target_archE942ELNS1_3gpuE9ELNS1_3repE0EEENS1_30default_config_static_selectorELNS0_4arch9wavefront6targetE1EEEvT1_
	.globl	_ZN7rocprim17ROCPRIM_400000_NS6detail17trampoline_kernelINS0_14default_configENS1_25partition_config_selectorILNS1_17partition_subalgoE2EyNS0_10empty_typeEbEEZZNS1_14partition_implILS5_2ELb0ES3_jN6thrust23THRUST_200600_302600_NS6detail15normal_iteratorINSA_7pointerIyNSA_11hip_rocprim3tagENSA_11use_defaultESG_EEEEPS6_NSA_18transform_iteratorI7is_evenIyENSC_INSA_10device_ptrIyEEEESG_SG_EENS0_5tupleIJPySJ_EEENSR_IJSJ_SJ_EEES6_PlJS6_EEE10hipError_tPvRmT3_T4_T5_T6_T7_T9_mT8_P12ihipStream_tbDpT10_ENKUlT_T0_E_clISt17integral_constantIbLb0EES1F_EEDaS1A_S1B_EUlS1A_E_NS1_11comp_targetILNS1_3genE5ELNS1_11target_archE942ELNS1_3gpuE9ELNS1_3repE0EEENS1_30default_config_static_selectorELNS0_4arch9wavefront6targetE1EEEvT1_
	.p2align	8
	.type	_ZN7rocprim17ROCPRIM_400000_NS6detail17trampoline_kernelINS0_14default_configENS1_25partition_config_selectorILNS1_17partition_subalgoE2EyNS0_10empty_typeEbEEZZNS1_14partition_implILS5_2ELb0ES3_jN6thrust23THRUST_200600_302600_NS6detail15normal_iteratorINSA_7pointerIyNSA_11hip_rocprim3tagENSA_11use_defaultESG_EEEEPS6_NSA_18transform_iteratorI7is_evenIyENSC_INSA_10device_ptrIyEEEESG_SG_EENS0_5tupleIJPySJ_EEENSR_IJSJ_SJ_EEES6_PlJS6_EEE10hipError_tPvRmT3_T4_T5_T6_T7_T9_mT8_P12ihipStream_tbDpT10_ENKUlT_T0_E_clISt17integral_constantIbLb0EES1F_EEDaS1A_S1B_EUlS1A_E_NS1_11comp_targetILNS1_3genE5ELNS1_11target_archE942ELNS1_3gpuE9ELNS1_3repE0EEENS1_30default_config_static_selectorELNS0_4arch9wavefront6targetE1EEEvT1_,@function
_ZN7rocprim17ROCPRIM_400000_NS6detail17trampoline_kernelINS0_14default_configENS1_25partition_config_selectorILNS1_17partition_subalgoE2EyNS0_10empty_typeEbEEZZNS1_14partition_implILS5_2ELb0ES3_jN6thrust23THRUST_200600_302600_NS6detail15normal_iteratorINSA_7pointerIyNSA_11hip_rocprim3tagENSA_11use_defaultESG_EEEEPS6_NSA_18transform_iteratorI7is_evenIyENSC_INSA_10device_ptrIyEEEESG_SG_EENS0_5tupleIJPySJ_EEENSR_IJSJ_SJ_EEES6_PlJS6_EEE10hipError_tPvRmT3_T4_T5_T6_T7_T9_mT8_P12ihipStream_tbDpT10_ENKUlT_T0_E_clISt17integral_constantIbLb0EES1F_EEDaS1A_S1B_EUlS1A_E_NS1_11comp_targetILNS1_3genE5ELNS1_11target_archE942ELNS1_3gpuE9ELNS1_3repE0EEENS1_30default_config_static_selectorELNS0_4arch9wavefront6targetE1EEEvT1_: ; @_ZN7rocprim17ROCPRIM_400000_NS6detail17trampoline_kernelINS0_14default_configENS1_25partition_config_selectorILNS1_17partition_subalgoE2EyNS0_10empty_typeEbEEZZNS1_14partition_implILS5_2ELb0ES3_jN6thrust23THRUST_200600_302600_NS6detail15normal_iteratorINSA_7pointerIyNSA_11hip_rocprim3tagENSA_11use_defaultESG_EEEEPS6_NSA_18transform_iteratorI7is_evenIyENSC_INSA_10device_ptrIyEEEESG_SG_EENS0_5tupleIJPySJ_EEENSR_IJSJ_SJ_EEES6_PlJS6_EEE10hipError_tPvRmT3_T4_T5_T6_T7_T9_mT8_P12ihipStream_tbDpT10_ENKUlT_T0_E_clISt17integral_constantIbLb0EES1F_EEDaS1A_S1B_EUlS1A_E_NS1_11comp_targetILNS1_3genE5ELNS1_11target_archE942ELNS1_3gpuE9ELNS1_3repE0EEENS1_30default_config_static_selectorELNS0_4arch9wavefront6targetE1EEEvT1_
; %bb.0:
	s_load_dwordx4 s[24:27], s[0:1], 0x8
	s_load_dwordx2 s[6:7], s[0:1], 0x20
	s_load_dwordx2 s[28:29], s[0:1], 0x60
	s_load_dwordx4 s[20:23], s[0:1], 0x50
	s_load_dword s3, s[0:1], 0x78
	s_waitcnt lgkmcnt(0)
	s_lshl_b64 s[8:9], s[26:27], 3
	s_add_u32 s12, s24, s8
	s_addc_u32 s13, s25, s9
	s_load_dwordx2 s[30:31], s[22:23], 0x0
	s_add_i32 s10, s3, -1
	s_mulk_i32 s3, 0xe00
	s_add_i32 s4, s3, s26
	s_sub_i32 s33, s28, s4
	s_addk_i32 s33, 0xe00
	s_add_u32 s4, s26, s3
	s_addc_u32 s5, s27, 0
	s_cmp_eq_u32 s2, s10
	v_mov_b64_e32 v[2:3], s[28:29]
	s_cselect_b64 s[22:23], -1, 0
	s_cmp_lg_u32 s2, s10
	s_mul_i32 s24, s2, 0xe00
	s_mov_b32 s25, 0
	v_cmp_lt_u64_e32 vcc, s[4:5], v[2:3]
	s_cselect_b64 s[4:5], -1, 0
	s_or_b64 s[34:35], s[4:5], vcc
	s_lshl_b64 s[10:11], s[24:25], 3
	s_add_u32 s12, s12, s10
	s_addc_u32 s13, s13, s11
	s_mov_b64 s[4:5], -1
	s_and_b64 vcc, exec, s[34:35]
	v_lshlrev_b32_e32 v18, 3, v0
	s_cbranch_vccz .LBB2005_2
; %bb.1:
	v_mov_b32_e32 v19, 0
	v_lshl_add_u64 v[2:3], s[12:13], 0, v[18:19]
	v_add_co_u32_e32 v4, vcc, 0x1000, v2
	s_mov_b64 s[4:5], 0
	s_nop 0
	v_addc_co_u32_e32 v5, vcc, 0, v3, vcc
	v_add_co_u32_e32 v6, vcc, 0x2000, v2
	s_nop 1
	v_addc_co_u32_e32 v7, vcc, 0, v3, vcc
	v_add_co_u32_e32 v8, vcc, 0x3000, v2
	s_nop 1
	v_addc_co_u32_e32 v9, vcc, 0, v3, vcc
	flat_load_dwordx2 v[10:11], v[2:3]
	flat_load_dwordx2 v[12:13], v[4:5]
	flat_load_dwordx2 v[14:15], v[6:7]
	flat_load_dwordx2 v[16:17], v[8:9]
	v_add_co_u32_e32 v4, vcc, 0x4000, v2
	s_nop 1
	v_addc_co_u32_e32 v5, vcc, 0, v3, vcc
	v_add_co_u32_e32 v6, vcc, 0x5000, v2
	s_nop 1
	v_addc_co_u32_e32 v7, vcc, 0, v3, vcc
	;; [unrolled: 3-line block ×3, first 2 shown]
	flat_load_dwordx2 v[8:9], v[4:5]
	flat_load_dwordx2 v[20:21], v[6:7]
	;; [unrolled: 1-line block ×3, first 2 shown]
	s_waitcnt vmcnt(0) lgkmcnt(0)
	ds_write2st64_b64 v18, v[10:11], v[12:13] offset1:8
	ds_write2st64_b64 v18, v[14:15], v[16:17] offset0:16 offset1:24
	ds_write2st64_b64 v18, v[8:9], v[20:21] offset0:32 offset1:40
	ds_write_b64 v18, v[22:23] offset:24576
	s_waitcnt lgkmcnt(0)
	s_barrier
.LBB2005_2:
	s_andn2_b64 vcc, exec, s[4:5]
	v_cmp_gt_u32_e64 s[4:5], s33, v0
	s_cbranch_vccnz .LBB2005_18
; %bb.3:
                                        ; implicit-def: $vgpr2_vgpr3_vgpr4_vgpr5_vgpr6_vgpr7_vgpr8_vgpr9_vgpr10_vgpr11_vgpr12_vgpr13_vgpr14_vgpr15_vgpr16_vgpr17
	s_and_saveexec_b64 s[14:15], s[4:5]
	s_cbranch_execz .LBB2005_5
; %bb.4:
	v_mov_b32_e32 v19, 0
	v_lshl_add_u64 v[2:3], s[12:13], 0, v[18:19]
	flat_load_dwordx2 v[2:3], v[2:3]
.LBB2005_5:
	s_or_b64 exec, exec, s[14:15]
	v_or_b32_e32 v1, 0x200, v0
	v_cmp_gt_u32_e32 vcc, s33, v1
	s_and_saveexec_b64 s[4:5], vcc
	s_cbranch_execz .LBB2005_7
; %bb.6:
	v_lshlrev_b32_e32 v4, 3, v1
	v_mov_b32_e32 v5, 0
	v_lshl_add_u64 v[4:5], s[12:13], 0, v[4:5]
	flat_load_dwordx2 v[4:5], v[4:5]
.LBB2005_7:
	s_or_b64 exec, exec, s[4:5]
	v_or_b32_e32 v1, 0x400, v0
	v_cmp_gt_u32_e32 vcc, s33, v1
	s_and_saveexec_b64 s[4:5], vcc
	s_cbranch_execz .LBB2005_9
; %bb.8:
	v_lshlrev_b32_e32 v6, 3, v1
	v_mov_b32_e32 v7, 0
	v_lshl_add_u64 v[6:7], s[12:13], 0, v[6:7]
	flat_load_dwordx2 v[6:7], v[6:7]
.LBB2005_9:
	;; [unrolled: 11-line block ×6, first 2 shown]
	s_or_b64 exec, exec, s[4:5]
	s_waitcnt vmcnt(0) lgkmcnt(0)
	ds_write2st64_b64 v18, v[2:3], v[4:5] offset1:8
	ds_write2st64_b64 v18, v[6:7], v[8:9] offset0:16 offset1:24
	ds_write2st64_b64 v18, v[10:11], v[12:13] offset0:32 offset1:40
	ds_write_b64 v18, v[14:15] offset:24576
	s_waitcnt lgkmcnt(0)
	s_barrier
.LBB2005_18:
	v_mul_u32_u24_e32 v1, 7, v0
	v_lshlrev_b32_e32 v16, 3, v1
	s_waitcnt lgkmcnt(0)
	ds_read2_b64 v[10:13], v16 offset1:1
	ds_read2_b64 v[6:9], v16 offset0:2 offset1:3
	ds_read2_b64 v[2:5], v16 offset0:4 offset1:5
	ds_read_b64 v[14:15], v16 offset:48
	s_add_u32 s3, s6, s8
	s_addc_u32 s5, s7, s9
	s_add_u32 s4, s3, s10
	s_addc_u32 s5, s5, s11
	s_mov_b64 s[6:7], -1
	s_and_b64 vcc, exec, s[34:35]
	s_waitcnt lgkmcnt(0)
	s_barrier
	s_cbranch_vccz .LBB2005_20
; %bb.19:
	v_mov_b32_e32 v19, 0
	v_lshl_add_u64 v[20:21], s[4:5], 0, v[18:19]
	v_add_co_u32_e32 v24, vcc, 0x1000, v20
	global_load_dwordx2 v[22:23], v18, s[4:5]
	s_nop 0
	v_addc_co_u32_e32 v25, vcc, 0, v21, vcc
	v_add_co_u32_e32 v26, vcc, 0x2000, v20
	s_mov_b64 s[6:7], 0
	s_nop 0
	v_addc_co_u32_e32 v27, vcc, 0, v21, vcc
	v_add_co_u32_e32 v28, vcc, 0x3000, v20
	s_waitcnt vmcnt(0)
	v_xor_b32_e32 v17, -1, v22
	v_addc_co_u32_e32 v29, vcc, 0, v21, vcc
	v_add_co_u32_e32 v30, vcc, 0x4000, v20
	v_and_b32_e32 v17, 1, v17
	s_nop 0
	v_addc_co_u32_e32 v31, vcc, 0, v21, vcc
	global_load_dwordx2 v[32:33], v[24:25], off
	global_load_dwordx2 v[34:35], v[26:27], off
	;; [unrolled: 1-line block ×4, first 2 shown]
	v_add_co_u32_e32 v24, vcc, 0x5000, v20
	ds_write_b8 v0, v17
	s_nop 0
	v_addc_co_u32_e32 v25, vcc, 0, v21, vcc
	v_add_co_u32_e32 v20, vcc, 0x6000, v20
	global_load_dwordx2 v[24:25], v[24:25], off
	s_nop 0
	v_addc_co_u32_e32 v21, vcc, 0, v21, vcc
	global_load_dwordx2 v[20:21], v[20:21], off
	s_waitcnt vmcnt(5)
	v_xor_b32_e32 v17, -1, v32
	v_and_b32_e32 v17, 1, v17
	s_waitcnt vmcnt(4)
	v_xor_b32_e32 v19, -1, v34
	s_waitcnt vmcnt(0)
	v_xor_b32_e32 v21, -1, v36
	v_and_b32_e32 v19, 1, v19
	ds_write_b8 v0, v17 offset:512
	v_and_b32_e32 v17, 1, v21
	v_xor_b32_e32 v21, -1, v38
	ds_write_b8 v0, v19 offset:1024
	v_and_b32_e32 v19, 1, v21
	ds_write_b8 v0, v17 offset:1536
	v_xor_b32_e32 v21, -1, v24
	v_and_b32_e32 v17, 1, v21
	ds_write_b8 v0, v19 offset:2048
	v_xor_b32_e32 v20, -1, v20
	v_and_b32_e32 v19, 1, v20
	ds_write_b8 v0, v17 offset:2560
	ds_write_b8 v0, v19 offset:3072
	s_waitcnt lgkmcnt(0)
	s_barrier
.LBB2005_20:
	s_load_dwordx2 s[36:37], s[0:1], 0x70
	s_andn2_b64 vcc, exec, s[6:7]
	s_cbranch_vccnz .LBB2005_36
; %bb.21:
	v_cmp_gt_u32_e32 vcc, s33, v0
	v_mov_b32_e32 v17, 0
	v_mov_b32_e32 v19, 0
	s_and_saveexec_b64 s[6:7], vcc
	s_cbranch_execz .LBB2005_23
; %bb.22:
	global_load_dwordx2 v[20:21], v18, s[4:5]
	s_waitcnt vmcnt(0)
	v_xor_b32_e32 v19, -1, v20
	v_and_b32_e32 v19, 1, v19
.LBB2005_23:
	s_or_b64 exec, exec, s[6:7]
	v_or_b32_e32 v20, 0x200, v0
	v_cmp_gt_u32_e32 vcc, s33, v20
	s_and_saveexec_b64 s[6:7], vcc
	s_cbranch_execz .LBB2005_25
; %bb.24:
	v_lshlrev_b32_e32 v17, 3, v20
	global_load_dwordx2 v[20:21], v17, s[4:5]
	s_waitcnt vmcnt(0)
	v_xor_b32_e32 v17, -1, v20
	v_and_b32_e32 v17, 1, v17
.LBB2005_25:
	s_or_b64 exec, exec, s[6:7]
	v_or_b32_e32 v22, 0x400, v0
	v_cmp_gt_u32_e32 vcc, s33, v22
	v_mov_b32_e32 v20, 0
	v_mov_b32_e32 v21, 0
	s_and_saveexec_b64 s[6:7], vcc
	s_cbranch_execz .LBB2005_27
; %bb.26:
	v_lshlrev_b32_e32 v21, 3, v22
	global_load_dwordx2 v[22:23], v21, s[4:5]
	s_waitcnt vmcnt(0)
	v_xor_b32_e32 v21, -1, v22
	v_and_b32_e32 v21, 1, v21
.LBB2005_27:
	s_or_b64 exec, exec, s[6:7]
	v_or_b32_e32 v22, 0x600, v0
	v_cmp_gt_u32_e32 vcc, s33, v22
	s_and_saveexec_b64 s[6:7], vcc
	s_cbranch_execz .LBB2005_29
; %bb.28:
	v_lshlrev_b32_e32 v20, 3, v22
	global_load_dwordx2 v[22:23], v20, s[4:5]
	s_waitcnt vmcnt(0)
	v_xor_b32_e32 v20, -1, v22
	v_and_b32_e32 v20, 1, v20
.LBB2005_29:
	s_or_b64 exec, exec, s[6:7]
	v_or_b32_e32 v24, 0x800, v0
	v_cmp_gt_u32_e32 vcc, s33, v24
	v_mov_b32_e32 v22, 0
	v_mov_b32_e32 v23, 0
	s_and_saveexec_b64 s[6:7], vcc
	s_cbranch_execz .LBB2005_31
; %bb.30:
	v_lshlrev_b32_e32 v23, 3, v24
	global_load_dwordx2 v[24:25], v23, s[4:5]
	s_waitcnt vmcnt(0)
	v_xor_b32_e32 v23, -1, v24
	v_and_b32_e32 v23, 1, v23
.LBB2005_31:
	s_or_b64 exec, exec, s[6:7]
	v_or_b32_e32 v24, 0xa00, v0
	v_cmp_gt_u32_e32 vcc, s33, v24
	s_and_saveexec_b64 s[6:7], vcc
	s_cbranch_execz .LBB2005_33
; %bb.32:
	v_lshlrev_b32_e32 v22, 3, v24
	global_load_dwordx2 v[24:25], v22, s[4:5]
	s_waitcnt vmcnt(0)
	v_xor_b32_e32 v22, -1, v24
	v_and_b32_e32 v22, 1, v22
.LBB2005_33:
	s_or_b64 exec, exec, s[6:7]
	v_or_b32_e32 v25, 0xc00, v0
	v_cmp_gt_u32_e32 vcc, s33, v25
	v_mov_b32_e32 v24, 0
	s_and_saveexec_b64 s[6:7], vcc
	s_cbranch_execz .LBB2005_35
; %bb.34:
	v_lshlrev_b32_e32 v24, 3, v25
	global_load_dwordx2 v[24:25], v24, s[4:5]
	s_waitcnt vmcnt(0)
	v_xor_b32_e32 v24, -1, v24
	v_and_b32_e32 v24, 1, v24
.LBB2005_35:
	s_or_b64 exec, exec, s[6:7]
	ds_write_b8 v0, v19
	ds_write_b8 v0, v17 offset:512
	ds_write_b8 v0, v21 offset:1024
	;; [unrolled: 1-line block ×6, first 2 shown]
	s_waitcnt lgkmcnt(0)
	s_barrier
.LBB2005_36:
	s_movk_i32 s3, 0xffcf
	v_mad_i32_i24 v35, v0, s3, v16
	s_waitcnt lgkmcnt(0)
	ds_read_u8 v16, v35
	ds_read_u8 v17, v35 offset:1
	ds_read_u8 v19, v35 offset:2
	;; [unrolled: 1-line block ×6, first 2 shown]
	s_waitcnt lgkmcnt(6)
	v_and_b32_e32 v33, 1, v16
	s_waitcnt lgkmcnt(5)
	v_and_b32_e32 v32, 1, v17
	;; [unrolled: 2-line block ×5, first 2 shown]
	v_add3_u32 v16, v32, v33, v31
	s_waitcnt lgkmcnt(1)
	v_and_b32_e32 v28, 1, v22
	s_waitcnt lgkmcnt(0)
	v_and_b32_e32 v19, 1, v23
	v_add3_u32 v16, v16, v30, v29
	v_add3_u32 v37, v16, v28, v19
	v_mbcnt_lo_u32_b32 v16, -1, 0
	v_mbcnt_hi_u32_b32 v34, -1, v16
	v_and_b32_e32 v16, 15, v34
	v_cmp_eq_u32_e64 s[14:15], 0, v16
	v_cmp_lt_u32_e64 s[12:13], 1, v16
	v_cmp_lt_u32_e64 s[10:11], 3, v16
	;; [unrolled: 1-line block ×3, first 2 shown]
	v_and_b32_e32 v16, 16, v34
	v_cmp_eq_u32_e64 s[6:7], 0, v16
	v_or_b32_e32 v16, 63, v0
	s_cmp_lg_u32 s2, 0
	v_cmp_lt_u32_e64 s[18:19], 31, v34
	v_lshrrev_b32_e32 v36, 6, v0
	v_cmp_eq_u32_e64 s[4:5], v16, v0
	s_barrier
	s_cbranch_scc0 .LBB2005_63
; %bb.37:
	v_mov_b32_dpp v16, v37 row_shr:1 row_mask:0xf bank_mask:0xf
	v_cndmask_b32_e64 v16, v16, 0, s[14:15]
	v_add_u32_e32 v16, v16, v37
	s_nop 1
	v_mov_b32_dpp v17, v16 row_shr:2 row_mask:0xf bank_mask:0xf
	v_cndmask_b32_e64 v17, 0, v17, s[12:13]
	v_add_u32_e32 v16, v16, v17
	s_nop 1
	;; [unrolled: 4-line block ×4, first 2 shown]
	v_mov_b32_dpp v17, v16 row_bcast:15 row_mask:0xf bank_mask:0xf
	v_cndmask_b32_e64 v17, v17, 0, s[6:7]
	v_add_u32_e32 v16, v16, v17
	s_nop 1
	v_mov_b32_dpp v17, v16 row_bcast:31 row_mask:0xf bank_mask:0xf
	v_cndmask_b32_e64 v17, 0, v17, s[18:19]
	v_add_u32_e32 v16, v16, v17
	s_and_saveexec_b64 s[16:17], s[4:5]
	s_cbranch_execz .LBB2005_39
; %bb.38:
	v_lshlrev_b32_e32 v17, 2, v36
	ds_write_b32 v17, v16
.LBB2005_39:
	s_or_b64 exec, exec, s[16:17]
	v_cmp_gt_u32_e32 vcc, 8, v0
	s_waitcnt lgkmcnt(0)
	s_barrier
	s_and_saveexec_b64 s[16:17], vcc
	s_cbranch_execz .LBB2005_41
; %bb.40:
	v_lshlrev_b32_e32 v17, 2, v0
	ds_read_b32 v20, v17
	v_and_b32_e32 v21, 7, v34
	v_cmp_ne_u32_e32 vcc, 0, v21
	s_waitcnt lgkmcnt(0)
	v_mov_b32_dpp v22, v20 row_shr:1 row_mask:0xf bank_mask:0xf
	v_cndmask_b32_e32 v22, 0, v22, vcc
	v_add_u32_e32 v20, v22, v20
	v_cmp_lt_u32_e32 vcc, 1, v21
	s_nop 0
	v_mov_b32_dpp v22, v20 row_shr:2 row_mask:0xf bank_mask:0xf
	v_cndmask_b32_e32 v22, 0, v22, vcc
	v_add_u32_e32 v20, v20, v22
	v_cmp_lt_u32_e32 vcc, 3, v21
	s_nop 0
	v_mov_b32_dpp v22, v20 row_shr:4 row_mask:0xf bank_mask:0xf
	v_cndmask_b32_e32 v21, 0, v22, vcc
	v_add_u32_e32 v20, v20, v21
	ds_write_b32 v17, v20
.LBB2005_41:
	s_or_b64 exec, exec, s[16:17]
	v_cmp_gt_u32_e32 vcc, 64, v0
	v_cmp_lt_u32_e64 s[16:17], 63, v0
	s_waitcnt lgkmcnt(0)
	s_barrier
	s_waitcnt lgkmcnt(0)
                                        ; implicit-def: $vgpr38
	s_and_saveexec_b64 s[38:39], s[16:17]
	s_cbranch_execz .LBB2005_43
; %bb.42:
	v_lshl_add_u32 v17, v36, 2, -4
	ds_read_b32 v38, v17
	s_waitcnt lgkmcnt(0)
	v_add_u32_e32 v16, v38, v16
.LBB2005_43:
	s_or_b64 exec, exec, s[38:39]
	v_add_u32_e32 v17, -1, v34
	v_and_b32_e32 v20, 64, v34
	v_cmp_lt_i32_e64 s[16:17], v17, v20
	s_nop 1
	v_cndmask_b32_e64 v17, v17, v34, s[16:17]
	v_lshlrev_b32_e32 v17, 2, v17
	ds_bpermute_b32 v39, v17, v16
	v_cmp_eq_u32_e64 s[16:17], 0, v34
	s_and_saveexec_b64 s[38:39], vcc
	s_cbranch_execz .LBB2005_62
; %bb.44:
	v_mov_b32_e32 v25, 0
	ds_read_b32 v16, v25 offset:28
	s_and_saveexec_b64 s[40:41], s[16:17]
	s_cbranch_execz .LBB2005_46
; %bb.45:
	s_add_i32 s42, s2, 64
	s_mov_b32 s43, 0
	s_lshl_b64 s[42:43], s[42:43], 3
	s_add_u32 s42, s36, s42
	v_mov_b32_e32 v17, 1
	s_addc_u32 s43, s37, s43
	s_waitcnt lgkmcnt(0)
	global_store_dwordx2 v25, v[16:17], s[42:43] sc1
.LBB2005_46:
	s_or_b64 exec, exec, s[40:41]
	v_xad_u32 v20, v34, -1, s2
	v_add_u32_e32 v24, 64, v20
	v_lshl_add_u64 v[26:27], v[24:25], 3, s[36:37]
	global_load_dwordx2 v[22:23], v[26:27], off sc1
	s_waitcnt vmcnt(0)
	v_cmp_eq_u16_sdwa s[42:43], v23, v25 src0_sel:BYTE_0 src1_sel:DWORD
	s_and_saveexec_b64 s[40:41], s[42:43]
	s_cbranch_execz .LBB2005_50
; %bb.47:
	s_mov_b64 s[42:43], 0
	v_mov_b32_e32 v17, 0
.LBB2005_48:                            ; =>This Inner Loop Header: Depth=1
	global_load_dwordx2 v[22:23], v[26:27], off sc1
	s_waitcnt vmcnt(0)
	v_cmp_ne_u16_sdwa s[44:45], v23, v17 src0_sel:BYTE_0 src1_sel:DWORD
	s_or_b64 s[42:43], s[44:45], s[42:43]
	s_andn2_b64 exec, exec, s[42:43]
	s_cbranch_execnz .LBB2005_48
; %bb.49:
	s_or_b64 exec, exec, s[42:43]
.LBB2005_50:
	s_or_b64 exec, exec, s[40:41]
	v_and_b32_e32 v41, 63, v34
	v_mov_b32_e32 v40, 2
	v_cmp_ne_u32_e32 vcc, 63, v41
	v_cmp_eq_u16_sdwa s[40:41], v23, v40 src0_sel:BYTE_0 src1_sel:DWORD
	v_lshlrev_b64 v[24:25], v34, -1
	v_addc_co_u32_e32 v26, vcc, 0, v34, vcc
	v_and_b32_e32 v17, s41, v25
	v_lshlrev_b32_e32 v42, 2, v26
	v_or_b32_e32 v17, 0x80000000, v17
	ds_bpermute_b32 v26, v42, v22
	v_and_b32_e32 v21, s40, v24
	v_ffbl_b32_e32 v17, v17
	v_add_u32_e32 v17, 32, v17
	v_ffbl_b32_e32 v21, v21
	v_min_u32_e32 v17, v21, v17
	v_cmp_lt_u32_e32 vcc, v41, v17
	v_add_u32_e32 v44, 2, v41
	v_add_u32_e32 v46, 4, v41
	s_waitcnt lgkmcnt(0)
	v_cndmask_b32_e32 v21, 0, v26, vcc
	v_cmp_gt_u32_e32 vcc, 62, v41
	v_add_u32_e32 v21, v21, v22
	v_add_u32_e32 v48, 8, v41
	v_cndmask_b32_e64 v22, 0, 1, vcc
	v_lshlrev_b32_e32 v22, 1, v22
	v_add_lshl_u32 v43, v22, v34, 2
	ds_bpermute_b32 v22, v43, v21
	v_cmp_le_u32_e32 vcc, v44, v17
	v_add_u32_e32 v50, 16, v41
	v_add_u32_e32 v52, 32, v41
	s_waitcnt lgkmcnt(0)
	v_cndmask_b32_e32 v22, 0, v22, vcc
	v_cmp_gt_u32_e32 vcc, 60, v41
	v_add_u32_e32 v21, v21, v22
	s_nop 0
	v_cndmask_b32_e64 v22, 0, 1, vcc
	v_lshlrev_b32_e32 v22, 2, v22
	v_add_lshl_u32 v45, v22, v34, 2
	ds_bpermute_b32 v22, v45, v21
	v_cmp_le_u32_e32 vcc, v46, v17
	s_waitcnt lgkmcnt(0)
	s_nop 0
	v_cndmask_b32_e32 v22, 0, v22, vcc
	v_cmp_gt_u32_e32 vcc, 56, v41
	v_add_u32_e32 v21, v21, v22
	s_nop 0
	v_cndmask_b32_e64 v22, 0, 1, vcc
	v_lshlrev_b32_e32 v22, 3, v22
	v_add_lshl_u32 v47, v22, v34, 2
	ds_bpermute_b32 v22, v47, v21
	v_cmp_le_u32_e32 vcc, v48, v17
	s_waitcnt lgkmcnt(0)
	s_nop 0
	;; [unrolled: 11-line block ×4, first 2 shown]
	v_cndmask_b32_e32 v17, 0, v22, vcc
	v_add_u32_e32 v22, v21, v17
	v_mov_b32_e32 v21, 0
	s_branch .LBB2005_52
.LBB2005_51:                            ;   in Loop: Header=BB2005_52 Depth=1
	s_or_b64 exec, exec, s[40:41]
	v_cmp_eq_u16_sdwa s[40:41], v23, v40 src0_sel:BYTE_0 src1_sel:DWORD
	ds_bpermute_b32 v53, v42, v22
	v_subrev_u32_e32 v20, 64, v20
	v_and_b32_e32 v26, s41, v25
	v_or_b32_e32 v26, 0x80000000, v26
	v_and_b32_e32 v27, s40, v24
	v_ffbl_b32_e32 v26, v26
	v_add_u32_e32 v26, 32, v26
	v_ffbl_b32_e32 v27, v27
	v_min_u32_e32 v26, v27, v26
	v_cmp_lt_u32_e32 vcc, v41, v26
	s_waitcnt lgkmcnt(0)
	s_nop 0
	v_cndmask_b32_e32 v27, 0, v53, vcc
	v_add_u32_e32 v22, v27, v22
	ds_bpermute_b32 v27, v43, v22
	v_cmp_le_u32_e32 vcc, v44, v26
	s_waitcnt lgkmcnt(0)
	s_nop 0
	v_cndmask_b32_e32 v27, 0, v27, vcc
	v_add_u32_e32 v22, v22, v27
	ds_bpermute_b32 v27, v45, v22
	v_cmp_le_u32_e32 vcc, v46, v26
	;; [unrolled: 6-line block ×5, first 2 shown]
	s_waitcnt lgkmcnt(0)
	s_nop 0
	v_cndmask_b32_e32 v26, 0, v27, vcc
	v_add3_u32 v22, v26, v17, v22
.LBB2005_52:                            ; =>This Loop Header: Depth=1
                                        ;     Child Loop BB2005_55 Depth 2
	v_cmp_ne_u16_sdwa s[40:41], v23, v40 src0_sel:BYTE_0 src1_sel:DWORD
	s_nop 1
	v_cndmask_b32_e64 v17, 0, 1, s[40:41]
	;;#ASMSTART
	;;#ASMEND
	s_nop 0
	v_cmp_ne_u32_e32 vcc, 0, v17
	s_cmp_lg_u64 vcc, exec
	v_mov_b32_e32 v17, v22
	s_cbranch_scc1 .LBB2005_57
; %bb.53:                               ;   in Loop: Header=BB2005_52 Depth=1
	v_lshl_add_u64 v[26:27], v[20:21], 3, s[36:37]
	global_load_dwordx2 v[22:23], v[26:27], off sc1
	s_waitcnt vmcnt(0)
	v_cmp_eq_u16_sdwa s[42:43], v23, v21 src0_sel:BYTE_0 src1_sel:DWORD
	s_and_saveexec_b64 s[40:41], s[42:43]
	s_cbranch_execz .LBB2005_51
; %bb.54:                               ;   in Loop: Header=BB2005_52 Depth=1
	s_mov_b64 s[42:43], 0
.LBB2005_55:                            ;   Parent Loop BB2005_52 Depth=1
                                        ; =>  This Inner Loop Header: Depth=2
	global_load_dwordx2 v[22:23], v[26:27], off sc1
	s_waitcnt vmcnt(0)
	v_cmp_ne_u16_sdwa s[44:45], v23, v21 src0_sel:BYTE_0 src1_sel:DWORD
	s_or_b64 s[42:43], s[44:45], s[42:43]
	s_andn2_b64 exec, exec, s[42:43]
	s_cbranch_execnz .LBB2005_55
; %bb.56:                               ;   in Loop: Header=BB2005_52 Depth=1
	s_or_b64 exec, exec, s[42:43]
	s_branch .LBB2005_51
.LBB2005_57:                            ;   in Loop: Header=BB2005_52 Depth=1
                                        ; implicit-def: $vgpr22
                                        ; implicit-def: $vgpr23
	s_cbranch_execz .LBB2005_52
; %bb.58:
	s_and_saveexec_b64 s[40:41], s[16:17]
	s_cbranch_execz .LBB2005_60
; %bb.59:
	s_add_i32 s2, s2, 64
	s_mov_b32 s3, 0
	s_lshl_b64 s[2:3], s[2:3], 3
	s_add_u32 s2, s36, s2
	v_add_u32_e32 v20, v17, v16
	v_mov_b32_e32 v21, 2
	s_addc_u32 s3, s37, s3
	v_mov_b32_e32 v22, 0
	global_store_dwordx2 v22, v[20:21], s[2:3] sc1
	ds_write_b64 v22, v[16:17] offset:28672
.LBB2005_60:
	s_or_b64 exec, exec, s[40:41]
	v_cmp_eq_u32_e32 vcc, 0, v0
	s_and_b64 exec, exec, vcc
	s_cbranch_execz .LBB2005_62
; %bb.61:
	v_mov_b32_e32 v16, 0
	ds_write_b32 v16, v17 offset:28
.LBB2005_62:
	s_or_b64 exec, exec, s[38:39]
	v_mov_b32_e32 v16, 0
	s_waitcnt lgkmcnt(0)
	s_barrier
	ds_read_b32 v17, v16 offset:28
	v_cndmask_b32_e64 v20, v39, v38, s[16:17]
	v_cmp_ne_u32_e32 vcc, 0, v0
	s_waitcnt lgkmcnt(0)
	s_barrier
	v_cndmask_b32_e32 v20, 0, v20, vcc
	v_add_u32_e32 v27, v17, v20
	v_add_u32_e32 v26, v27, v33
	ds_read_b64 v[16:17], v16 offset:28672
	v_add_u32_e32 v25, v26, v32
	v_add_u32_e32 v23, v25, v31
	;; [unrolled: 1-line block ×5, first 2 shown]
	s_waitcnt lgkmcnt(0)
	v_mov_b32_e32 v22, v17
	s_load_dwordx2 s[2:3], s[0:1], 0x30
	s_branch .LBB2005_73
.LBB2005_63:
                                        ; implicit-def: $vgpr22
                                        ; implicit-def: $vgpr16
                                        ; implicit-def: $vgpr20
                                        ; implicit-def: $vgpr21
                                        ; implicit-def: $vgpr24
                                        ; implicit-def: $vgpr23
                                        ; implicit-def: $vgpr25
                                        ; implicit-def: $vgpr26
                                        ; implicit-def: $vgpr27
	s_load_dwordx2 s[2:3], s[0:1], 0x30
	s_cbranch_execz .LBB2005_73
; %bb.64:
	v_mov_b32_dpp v16, v37 row_shr:1 row_mask:0xf bank_mask:0xf
	v_cndmask_b32_e64 v16, v16, 0, s[14:15]
	v_add_u32_e32 v16, v16, v37
	s_nop 1
	v_mov_b32_dpp v17, v16 row_shr:2 row_mask:0xf bank_mask:0xf
	v_cndmask_b32_e64 v17, 0, v17, s[12:13]
	v_add_u32_e32 v16, v16, v17
	s_nop 1
	;; [unrolled: 4-line block ×4, first 2 shown]
	v_mov_b32_dpp v17, v16 row_bcast:15 row_mask:0xf bank_mask:0xf
	v_cndmask_b32_e64 v17, v17, 0, s[6:7]
	v_add_u32_e32 v16, v16, v17
	s_nop 1
	v_mov_b32_dpp v17, v16 row_bcast:31 row_mask:0xf bank_mask:0xf
	v_cndmask_b32_e64 v17, 0, v17, s[18:19]
	v_add_u32_e32 v16, v16, v17
	s_and_saveexec_b64 s[0:1], s[4:5]
	s_cbranch_execz .LBB2005_66
; %bb.65:
	v_lshlrev_b32_e32 v17, 2, v36
	ds_write_b32 v17, v16
.LBB2005_66:
	s_or_b64 exec, exec, s[0:1]
	v_cmp_gt_u32_e32 vcc, 8, v0
	s_waitcnt lgkmcnt(0)
	s_barrier
	s_and_saveexec_b64 s[0:1], vcc
	s_cbranch_execz .LBB2005_68
; %bb.67:
	v_mad_i32_i24 v17, v0, -3, v35
	ds_read_b32 v20, v17
	v_and_b32_e32 v21, 7, v34
	v_cmp_ne_u32_e32 vcc, 0, v21
	s_waitcnt lgkmcnt(0)
	v_mov_b32_dpp v22, v20 row_shr:1 row_mask:0xf bank_mask:0xf
	v_cndmask_b32_e32 v22, 0, v22, vcc
	v_add_u32_e32 v20, v22, v20
	v_cmp_lt_u32_e32 vcc, 1, v21
	s_nop 0
	v_mov_b32_dpp v22, v20 row_shr:2 row_mask:0xf bank_mask:0xf
	v_cndmask_b32_e32 v22, 0, v22, vcc
	v_add_u32_e32 v20, v20, v22
	v_cmp_lt_u32_e32 vcc, 3, v21
	s_nop 0
	v_mov_b32_dpp v22, v20 row_shr:4 row_mask:0xf bank_mask:0xf
	v_cndmask_b32_e32 v21, 0, v22, vcc
	v_add_u32_e32 v20, v20, v21
	ds_write_b32 v17, v20
.LBB2005_68:
	s_or_b64 exec, exec, s[0:1]
	v_cmp_lt_u32_e32 vcc, 63, v0
	v_mov_b32_e32 v17, 0
	v_mov_b32_e32 v20, 0
	s_waitcnt lgkmcnt(0)
	s_barrier
	s_and_saveexec_b64 s[0:1], vcc
	s_cbranch_execz .LBB2005_70
; %bb.69:
	v_lshl_add_u32 v20, v36, 2, -4
	ds_read_b32 v20, v20
.LBB2005_70:
	s_or_b64 exec, exec, s[0:1]
	v_add_u32_e32 v21, -1, v34
	v_and_b32_e32 v22, 64, v34
	v_cmp_lt_i32_e32 vcc, v21, v22
	s_waitcnt lgkmcnt(0)
	v_add_u32_e32 v16, v20, v16
	v_cndmask_b32_e32 v21, v21, v34, vcc
	v_lshlrev_b32_e32 v21, 2, v21
	ds_bpermute_b32 v21, v21, v16
	ds_read_b32 v16, v17 offset:28
	v_cmp_eq_u32_e32 vcc, 0, v0
	s_and_saveexec_b64 s[0:1], vcc
	s_cbranch_execz .LBB2005_72
; %bb.71:
	v_mov_b32_e32 v22, 0
	v_mov_b32_e32 v17, 2
	s_waitcnt lgkmcnt(0)
	global_store_dwordx2 v22, v[16:17], s[36:37] offset:512 sc1
.LBB2005_72:
	s_or_b64 exec, exec, s[0:1]
	v_cmp_eq_u32_e64 s[0:1], 0, v34
	v_mov_b32_e32 v22, 0
	s_waitcnt lgkmcnt(0)
	v_cndmask_b32_e64 v17, v21, v20, s[0:1]
	v_cndmask_b32_e64 v27, v17, 0, vcc
	v_add_u32_e32 v26, v27, v33
	v_add_u32_e32 v25, v26, v32
	;; [unrolled: 1-line block ×6, first 2 shown]
	s_barrier
.LBB2005_73:
	v_add_u32_e32 v1, v16, v1
	v_sub_u32_e32 v17, v27, v22
	v_sub_u32_e32 v27, v1, v17
	v_cmp_eq_u32_e32 vcc, 1, v33
	s_add_u32 s0, s26, s24
	s_addc_u32 s1, s27, 0
	v_cndmask_b32_e32 v17, v27, v17, vcc
	v_lshlrev_b32_e32 v17, 3, v17
	ds_write_b64 v17, v[10:11]
	v_sub_u32_e32 v10, v26, v22
	v_sub_u32_e32 v11, v1, v10
	v_add_u32_e32 v11, 1, v11
	v_cmp_eq_u32_e32 vcc, 1, v32
	s_sub_u32 s0, s28, s0
	s_subb_u32 s1, s29, s1
	v_cndmask_b32_e32 v10, v11, v10, vcc
	v_lshlrev_b32_e32 v10, 3, v10
	ds_write_b64 v10, v[12:13]
	v_sub_u32_e32 v10, v25, v22
	v_sub_u32_e32 v11, v1, v10
	v_add_u32_e32 v11, 2, v11
	v_cmp_eq_u32_e32 vcc, 1, v31
	v_or_b32_e32 v32, 0x200, v0
	v_or_b32_e32 v26, 0x800, v0
	v_cndmask_b32_e32 v10, v11, v10, vcc
	v_lshlrev_b32_e32 v10, 3, v10
	ds_write_b64 v10, v[6:7]
	v_sub_u32_e32 v6, v23, v22
	v_sub_u32_e32 v7, v1, v6
	v_add_u32_e32 v7, 3, v7
	v_cmp_eq_u32_e32 vcc, 1, v30
	v_or_b32_e32 v30, 0x400, v0
	s_nop 0
	v_cndmask_b32_e32 v6, v7, v6, vcc
	v_lshlrev_b32_e32 v6, 3, v6
	ds_write_b64 v6, v[8:9]
	v_sub_u32_e32 v6, v24, v22
	v_sub_u32_e32 v7, v1, v6
	v_add_u32_e32 v7, 4, v7
	v_cmp_eq_u32_e32 vcc, 1, v29
	v_or_b32_e32 v24, 0xa00, v0
	s_nop 0
	;; [unrolled: 9-line block ×4, first 2 shown]
	v_cndmask_b32_e32 v1, v1, v2, vcc
	v_lshlrev_b32_e32 v1, 3, v1
	ds_write_b64 v1, v[14:15]
	s_waitcnt lgkmcnt(0)
	s_barrier
	ds_read2st64_b64 v[10:13], v18 offset1:8
	ds_read2st64_b64 v[6:9], v18 offset0:16 offset1:24
	ds_read2st64_b64 v[2:5], v18 offset0:32 offset1:40
	ds_read_b64 v[18:19], v18 offset:24576
	v_mov_b32_e32 v1, 0
	v_mov_b32_e32 v23, v1
	;; [unrolled: 1-line block ×3, first 2 shown]
	v_lshl_add_u64 v[14:15], s[30:31], 0, v[22:23]
	v_lshl_add_u64 v[22:23], s[0:1], 0, v[16:17]
	v_mov_b32_e32 v33, v1
	v_mov_b32_e32 v31, v1
	;; [unrolled: 1-line block ×6, first 2 shown]
	s_andn2_b64 vcc, exec, s[34:35]
	v_lshl_add_u64 v[22:23], v[22:23], 0, v[14:15]
	s_cbranch_vccnz .LBB2005_103
; %bb.74:
	v_cmp_ge_u32_e32 vcc, v0, v16
                                        ; implicit-def: $vgpr34_vgpr35
	s_and_saveexec_b64 s[0:1], vcc
	s_xor_b64 s[0:1], exec, s[0:1]
; %bb.75:
	v_not_b32_e32 v34, v0
	v_ashrrev_i32_e32 v35, 31, v34
	v_lshl_add_u64 v[34:35], v[22:23], 0, v[34:35]
; %bb.76:
	s_andn2_saveexec_b64 s[0:1], s[0:1]
; %bb.77:
	v_lshl_add_u64 v[34:35], v[14:15], 0, v[0:1]
; %bb.78:
	s_or_b64 exec, exec, s[0:1]
	v_lshl_add_u64 v[34:35], v[34:35], 3, s[2:3]
	v_cmp_ge_u32_e32 vcc, v32, v16
	s_waitcnt lgkmcnt(3)
	global_store_dwordx2 v[34:35], v[10:11], off
                                        ; implicit-def: $vgpr34_vgpr35
	s_and_saveexec_b64 s[0:1], vcc
	s_xor_b64 s[0:1], exec, s[0:1]
; %bb.79:
	v_xor_b32_e32 v34, 0xfffffdff, v0
	v_ashrrev_i32_e32 v35, 31, v34
	v_lshl_add_u64 v[34:35], v[22:23], 0, v[34:35]
; %bb.80:
	s_andn2_saveexec_b64 s[0:1], s[0:1]
; %bb.81:
	v_lshl_add_u64 v[34:35], v[14:15], 0, v[32:33]
; %bb.82:
	s_or_b64 exec, exec, s[0:1]
	v_lshl_add_u64 v[34:35], v[34:35], 3, s[2:3]
	v_cmp_ge_u32_e32 vcc, v30, v16
	global_store_dwordx2 v[34:35], v[12:13], off
                                        ; implicit-def: $vgpr34_vgpr35
	s_and_saveexec_b64 s[0:1], vcc
	s_xor_b64 s[0:1], exec, s[0:1]
; %bb.83:
	v_xor_b32_e32 v34, 0xfffffbff, v0
	v_ashrrev_i32_e32 v35, 31, v34
	v_lshl_add_u64 v[34:35], v[22:23], 0, v[34:35]
; %bb.84:
	s_andn2_saveexec_b64 s[0:1], s[0:1]
; %bb.85:
	v_lshl_add_u64 v[34:35], v[14:15], 0, v[30:31]
; %bb.86:
	s_or_b64 exec, exec, s[0:1]
	v_lshl_add_u64 v[34:35], v[34:35], 3, s[2:3]
	v_cmp_ge_u32_e32 vcc, v28, v16
	s_waitcnt lgkmcnt(2)
	global_store_dwordx2 v[34:35], v[6:7], off
                                        ; implicit-def: $vgpr34_vgpr35
	s_and_saveexec_b64 s[0:1], vcc
	s_xor_b64 s[0:1], exec, s[0:1]
; %bb.87:
	v_xor_b32_e32 v34, 0xfffff9ff, v0
	v_ashrrev_i32_e32 v35, 31, v34
	v_lshl_add_u64 v[34:35], v[22:23], 0, v[34:35]
; %bb.88:
	s_andn2_saveexec_b64 s[0:1], s[0:1]
; %bb.89:
	v_lshl_add_u64 v[34:35], v[14:15], 0, v[28:29]
; %bb.90:
	s_or_b64 exec, exec, s[0:1]
	v_lshl_add_u64 v[34:35], v[34:35], 3, s[2:3]
	v_cmp_ge_u32_e32 vcc, v26, v16
	global_store_dwordx2 v[34:35], v[8:9], off
                                        ; implicit-def: $vgpr34_vgpr35
	s_and_saveexec_b64 s[0:1], vcc
	s_xor_b64 s[0:1], exec, s[0:1]
; %bb.91:
	v_xor_b32_e32 v34, 0xfffff7ff, v0
	;; [unrolled: 33-line block ×3, first 2 shown]
	v_ashrrev_i32_e32 v35, 31, v34
	v_lshl_add_u64 v[34:35], v[22:23], 0, v[34:35]
; %bb.100:
	s_andn2_saveexec_b64 s[0:1], s[0:1]
; %bb.101:
	v_lshl_add_u64 v[34:35], v[14:15], 0, v[20:21]
; %bb.102:
	s_or_b64 exec, exec, s[0:1]
	s_mov_b64 s[0:1], -1
	s_branch .LBB2005_147
.LBB2005_103:
	s_mov_b64 s[0:1], 0
                                        ; implicit-def: $vgpr34_vgpr35
	s_cbranch_execz .LBB2005_147
; %bb.104:
	v_cmp_gt_u32_e32 vcc, s33, v0
	s_and_saveexec_b64 s[4:5], vcc
	s_cbranch_execz .LBB2005_122
; %bb.105:
	v_cmp_ge_u32_e32 vcc, v0, v16
                                        ; implicit-def: $vgpr34_vgpr35
	s_and_saveexec_b64 s[6:7], vcc
	s_xor_b64 s[6:7], exec, s[6:7]
; %bb.106:
	v_not_b32_e32 v34, v0
	v_ashrrev_i32_e32 v35, 31, v34
	v_lshl_add_u64 v[34:35], v[22:23], 0, v[34:35]
; %bb.107:
	s_andn2_saveexec_b64 s[6:7], s[6:7]
; %bb.108:
	v_lshl_add_u64 v[34:35], v[14:15], 0, v[0:1]
; %bb.109:
	s_or_b64 exec, exec, s[6:7]
	v_lshl_add_u64 v[34:35], v[34:35], 3, s[2:3]
	s_waitcnt lgkmcnt(3)
	global_store_dwordx2 v[34:35], v[10:11], off
	s_or_b64 exec, exec, s[4:5]
	v_cmp_gt_u32_e32 vcc, s33, v32
	s_and_saveexec_b64 s[4:5], vcc
	s_cbranch_execnz .LBB2005_123
.LBB2005_110:
	s_or_b64 exec, exec, s[4:5]
	v_cmp_gt_u32_e32 vcc, s33, v30
	s_and_saveexec_b64 s[4:5], vcc
	s_cbranch_execz .LBB2005_128
.LBB2005_111:
	v_cmp_ge_u32_e32 vcc, v30, v16
                                        ; implicit-def: $vgpr10_vgpr11
	s_and_saveexec_b64 s[6:7], vcc
	s_xor_b64 s[6:7], exec, s[6:7]
	s_cbranch_execz .LBB2005_113
; %bb.112:
	s_waitcnt lgkmcnt(3)
	v_xor_b32_e32 v10, 0xfffffbff, v0
	v_ashrrev_i32_e32 v11, 31, v10
	v_lshl_add_u64 v[10:11], v[22:23], 0, v[10:11]
                                        ; implicit-def: $vgpr30_vgpr31
.LBB2005_113:
	s_andn2_saveexec_b64 s[6:7], s[6:7]
	s_cbranch_execz .LBB2005_115
; %bb.114:
	s_waitcnt lgkmcnt(3)
	v_lshl_add_u64 v[10:11], v[14:15], 0, v[30:31]
.LBB2005_115:
	s_or_b64 exec, exec, s[6:7]
	s_waitcnt lgkmcnt(3)
	v_lshl_add_u64 v[10:11], v[10:11], 3, s[2:3]
	s_waitcnt lgkmcnt(2)
	global_store_dwordx2 v[10:11], v[6:7], off
	s_or_b64 exec, exec, s[4:5]
	v_cmp_gt_u32_e32 vcc, s33, v28
	s_and_saveexec_b64 s[4:5], vcc
	s_cbranch_execnz .LBB2005_129
.LBB2005_116:
	s_or_b64 exec, exec, s[4:5]
	v_cmp_gt_u32_e32 vcc, s33, v26
	s_and_saveexec_b64 s[4:5], vcc
	s_cbranch_execz .LBB2005_134
.LBB2005_117:
	v_cmp_ge_u32_e32 vcc, v26, v16
                                        ; implicit-def: $vgpr6_vgpr7
	s_and_saveexec_b64 s[6:7], vcc
	s_xor_b64 s[6:7], exec, s[6:7]
	s_cbranch_execz .LBB2005_119
; %bb.118:
	s_waitcnt lgkmcnt(2)
	v_xor_b32_e32 v6, 0xfffff7ff, v0
	v_ashrrev_i32_e32 v7, 31, v6
	v_lshl_add_u64 v[6:7], v[22:23], 0, v[6:7]
                                        ; implicit-def: $vgpr26_vgpr27
.LBB2005_119:
	s_andn2_saveexec_b64 s[6:7], s[6:7]
	s_cbranch_execz .LBB2005_121
; %bb.120:
	s_waitcnt lgkmcnt(2)
	v_lshl_add_u64 v[6:7], v[14:15], 0, v[26:27]
.LBB2005_121:
	s_or_b64 exec, exec, s[6:7]
	s_waitcnt lgkmcnt(2)
	v_lshl_add_u64 v[6:7], v[6:7], 3, s[2:3]
	s_waitcnt lgkmcnt(1)
	global_store_dwordx2 v[6:7], v[2:3], off
	s_or_b64 exec, exec, s[4:5]
	v_cmp_gt_u32_e32 vcc, s33, v24
	s_and_saveexec_b64 s[4:5], vcc
	s_cbranch_execz .LBB2005_140
	s_branch .LBB2005_135
.LBB2005_122:
	s_or_b64 exec, exec, s[4:5]
	v_cmp_gt_u32_e32 vcc, s33, v32
	s_and_saveexec_b64 s[4:5], vcc
	s_cbranch_execz .LBB2005_110
.LBB2005_123:
	v_cmp_ge_u32_e32 vcc, v32, v16
                                        ; implicit-def: $vgpr10_vgpr11
	s_and_saveexec_b64 s[6:7], vcc
	s_xor_b64 s[6:7], exec, s[6:7]
	s_cbranch_execz .LBB2005_125
; %bb.124:
	s_waitcnt lgkmcnt(3)
	v_xor_b32_e32 v10, 0xfffffdff, v0
	v_ashrrev_i32_e32 v11, 31, v10
	v_lshl_add_u64 v[10:11], v[22:23], 0, v[10:11]
                                        ; implicit-def: $vgpr32_vgpr33
.LBB2005_125:
	s_andn2_saveexec_b64 s[6:7], s[6:7]
	s_cbranch_execz .LBB2005_127
; %bb.126:
	s_waitcnt lgkmcnt(3)
	v_lshl_add_u64 v[10:11], v[14:15], 0, v[32:33]
.LBB2005_127:
	s_or_b64 exec, exec, s[6:7]
	s_waitcnt lgkmcnt(3)
	v_lshl_add_u64 v[10:11], v[10:11], 3, s[2:3]
	global_store_dwordx2 v[10:11], v[12:13], off
	s_or_b64 exec, exec, s[4:5]
	v_cmp_gt_u32_e32 vcc, s33, v30
	s_and_saveexec_b64 s[4:5], vcc
	s_cbranch_execnz .LBB2005_111
.LBB2005_128:
	s_or_b64 exec, exec, s[4:5]
	v_cmp_gt_u32_e32 vcc, s33, v28
	s_and_saveexec_b64 s[4:5], vcc
	s_cbranch_execz .LBB2005_116
.LBB2005_129:
	v_cmp_ge_u32_e32 vcc, v28, v16
                                        ; implicit-def: $vgpr6_vgpr7
	s_and_saveexec_b64 s[6:7], vcc
	s_xor_b64 s[6:7], exec, s[6:7]
	s_cbranch_execz .LBB2005_131
; %bb.130:
	s_waitcnt lgkmcnt(2)
	v_xor_b32_e32 v6, 0xfffff9ff, v0
	v_ashrrev_i32_e32 v7, 31, v6
	v_lshl_add_u64 v[6:7], v[22:23], 0, v[6:7]
                                        ; implicit-def: $vgpr28_vgpr29
.LBB2005_131:
	s_andn2_saveexec_b64 s[6:7], s[6:7]
	s_cbranch_execz .LBB2005_133
; %bb.132:
	s_waitcnt lgkmcnt(2)
	v_lshl_add_u64 v[6:7], v[14:15], 0, v[28:29]
.LBB2005_133:
	s_or_b64 exec, exec, s[6:7]
	s_waitcnt lgkmcnt(2)
	v_lshl_add_u64 v[6:7], v[6:7], 3, s[2:3]
	global_store_dwordx2 v[6:7], v[8:9], off
	s_or_b64 exec, exec, s[4:5]
	v_cmp_gt_u32_e32 vcc, s33, v26
	s_and_saveexec_b64 s[4:5], vcc
	s_cbranch_execnz .LBB2005_117
.LBB2005_134:
	s_or_b64 exec, exec, s[4:5]
	v_cmp_gt_u32_e32 vcc, s33, v24
	s_and_saveexec_b64 s[4:5], vcc
	s_cbranch_execz .LBB2005_140
.LBB2005_135:
	v_cmp_ge_u32_e32 vcc, v24, v16
                                        ; implicit-def: $vgpr2_vgpr3
	s_and_saveexec_b64 s[6:7], vcc
	s_xor_b64 s[6:7], exec, s[6:7]
	s_cbranch_execz .LBB2005_137
; %bb.136:
	s_waitcnt lgkmcnt(1)
	v_xor_b32_e32 v2, 0xfffff5ff, v0
	v_ashrrev_i32_e32 v3, 31, v2
	v_lshl_add_u64 v[2:3], v[22:23], 0, v[2:3]
                                        ; implicit-def: $vgpr24_vgpr25
.LBB2005_137:
	s_andn2_saveexec_b64 s[6:7], s[6:7]
	s_cbranch_execz .LBB2005_139
; %bb.138:
	s_waitcnt lgkmcnt(1)
	v_lshl_add_u64 v[2:3], v[14:15], 0, v[24:25]
.LBB2005_139:
	s_or_b64 exec, exec, s[6:7]
	s_waitcnt lgkmcnt(1)
	v_lshl_add_u64 v[2:3], v[2:3], 3, s[2:3]
	global_store_dwordx2 v[2:3], v[4:5], off
.LBB2005_140:
	s_or_b64 exec, exec, s[4:5]
	v_cmp_gt_u32_e32 vcc, s33, v20
                                        ; implicit-def: $vgpr34_vgpr35
	s_and_saveexec_b64 s[4:5], vcc
	s_cbranch_execz .LBB2005_146
; %bb.141:
	v_cmp_ge_u32_e32 vcc, v20, v16
                                        ; implicit-def: $vgpr34_vgpr35
	s_and_saveexec_b64 s[6:7], vcc
	s_xor_b64 s[6:7], exec, s[6:7]
	s_cbranch_execz .LBB2005_143
; %bb.142:
	s_waitcnt lgkmcnt(1)
	v_xor_b32_e32 v2, 0xfffff3ff, v0
	v_ashrrev_i32_e32 v3, 31, v2
	v_lshl_add_u64 v[34:35], v[22:23], 0, v[2:3]
                                        ; implicit-def: $vgpr20_vgpr21
.LBB2005_143:
	s_andn2_saveexec_b64 s[6:7], s[6:7]
; %bb.144:
	v_lshl_add_u64 v[34:35], v[14:15], 0, v[20:21]
; %bb.145:
	s_or_b64 exec, exec, s[6:7]
	s_or_b64 s[0:1], s[0:1], exec
.LBB2005_146:
	s_or_b64 exec, exec, s[4:5]
.LBB2005_147:
	s_and_saveexec_b64 s[4:5], s[0:1]
	s_cbranch_execz .LBB2005_149
; %bb.148:
	s_waitcnt lgkmcnt(1)
	v_lshl_add_u64 v[2:3], v[34:35], 3, s[2:3]
	s_waitcnt lgkmcnt(0)
	global_store_dwordx2 v[2:3], v[18:19], off
.LBB2005_149:
	s_or_b64 exec, exec, s[4:5]
	v_cmp_eq_u32_e32 vcc, 0, v0
	s_and_b64 s[0:1], vcc, s[22:23]
	s_and_saveexec_b64 s[2:3], s[0:1]
	s_cbranch_execz .LBB2005_151
; %bb.150:
	s_waitcnt lgkmcnt(1)
	v_mov_b32_e32 v2, 0
	v_lshl_add_u64 v[0:1], v[14:15], 0, v[16:17]
	global_store_dwordx2 v2, v[0:1], s[20:21]
.LBB2005_151:
	s_endpgm
	.section	.rodata,"a",@progbits
	.p2align	6, 0x0
	.amdhsa_kernel _ZN7rocprim17ROCPRIM_400000_NS6detail17trampoline_kernelINS0_14default_configENS1_25partition_config_selectorILNS1_17partition_subalgoE2EyNS0_10empty_typeEbEEZZNS1_14partition_implILS5_2ELb0ES3_jN6thrust23THRUST_200600_302600_NS6detail15normal_iteratorINSA_7pointerIyNSA_11hip_rocprim3tagENSA_11use_defaultESG_EEEEPS6_NSA_18transform_iteratorI7is_evenIyENSC_INSA_10device_ptrIyEEEESG_SG_EENS0_5tupleIJPySJ_EEENSR_IJSJ_SJ_EEES6_PlJS6_EEE10hipError_tPvRmT3_T4_T5_T6_T7_T9_mT8_P12ihipStream_tbDpT10_ENKUlT_T0_E_clISt17integral_constantIbLb0EES1F_EEDaS1A_S1B_EUlS1A_E_NS1_11comp_targetILNS1_3genE5ELNS1_11target_archE942ELNS1_3gpuE9ELNS1_3repE0EEENS1_30default_config_static_selectorELNS0_4arch9wavefront6targetE1EEEvT1_
		.amdhsa_group_segment_fixed_size 28680
		.amdhsa_private_segment_fixed_size 0
		.amdhsa_kernarg_size 128
		.amdhsa_user_sgpr_count 2
		.amdhsa_user_sgpr_dispatch_ptr 0
		.amdhsa_user_sgpr_queue_ptr 0
		.amdhsa_user_sgpr_kernarg_segment_ptr 1
		.amdhsa_user_sgpr_dispatch_id 0
		.amdhsa_user_sgpr_kernarg_preload_length 0
		.amdhsa_user_sgpr_kernarg_preload_offset 0
		.amdhsa_user_sgpr_private_segment_size 0
		.amdhsa_uses_dynamic_stack 0
		.amdhsa_enable_private_segment 0
		.amdhsa_system_sgpr_workgroup_id_x 1
		.amdhsa_system_sgpr_workgroup_id_y 0
		.amdhsa_system_sgpr_workgroup_id_z 0
		.amdhsa_system_sgpr_workgroup_info 0
		.amdhsa_system_vgpr_workitem_id 0
		.amdhsa_next_free_vgpr 54
		.amdhsa_next_free_sgpr 46
		.amdhsa_accum_offset 56
		.amdhsa_reserve_vcc 1
		.amdhsa_float_round_mode_32 0
		.amdhsa_float_round_mode_16_64 0
		.amdhsa_float_denorm_mode_32 3
		.amdhsa_float_denorm_mode_16_64 3
		.amdhsa_dx10_clamp 1
		.amdhsa_ieee_mode 1
		.amdhsa_fp16_overflow 0
		.amdhsa_tg_split 0
		.amdhsa_exception_fp_ieee_invalid_op 0
		.amdhsa_exception_fp_denorm_src 0
		.amdhsa_exception_fp_ieee_div_zero 0
		.amdhsa_exception_fp_ieee_overflow 0
		.amdhsa_exception_fp_ieee_underflow 0
		.amdhsa_exception_fp_ieee_inexact 0
		.amdhsa_exception_int_div_zero 0
	.end_amdhsa_kernel
	.section	.text._ZN7rocprim17ROCPRIM_400000_NS6detail17trampoline_kernelINS0_14default_configENS1_25partition_config_selectorILNS1_17partition_subalgoE2EyNS0_10empty_typeEbEEZZNS1_14partition_implILS5_2ELb0ES3_jN6thrust23THRUST_200600_302600_NS6detail15normal_iteratorINSA_7pointerIyNSA_11hip_rocprim3tagENSA_11use_defaultESG_EEEEPS6_NSA_18transform_iteratorI7is_evenIyENSC_INSA_10device_ptrIyEEEESG_SG_EENS0_5tupleIJPySJ_EEENSR_IJSJ_SJ_EEES6_PlJS6_EEE10hipError_tPvRmT3_T4_T5_T6_T7_T9_mT8_P12ihipStream_tbDpT10_ENKUlT_T0_E_clISt17integral_constantIbLb0EES1F_EEDaS1A_S1B_EUlS1A_E_NS1_11comp_targetILNS1_3genE5ELNS1_11target_archE942ELNS1_3gpuE9ELNS1_3repE0EEENS1_30default_config_static_selectorELNS0_4arch9wavefront6targetE1EEEvT1_,"axG",@progbits,_ZN7rocprim17ROCPRIM_400000_NS6detail17trampoline_kernelINS0_14default_configENS1_25partition_config_selectorILNS1_17partition_subalgoE2EyNS0_10empty_typeEbEEZZNS1_14partition_implILS5_2ELb0ES3_jN6thrust23THRUST_200600_302600_NS6detail15normal_iteratorINSA_7pointerIyNSA_11hip_rocprim3tagENSA_11use_defaultESG_EEEEPS6_NSA_18transform_iteratorI7is_evenIyENSC_INSA_10device_ptrIyEEEESG_SG_EENS0_5tupleIJPySJ_EEENSR_IJSJ_SJ_EEES6_PlJS6_EEE10hipError_tPvRmT3_T4_T5_T6_T7_T9_mT8_P12ihipStream_tbDpT10_ENKUlT_T0_E_clISt17integral_constantIbLb0EES1F_EEDaS1A_S1B_EUlS1A_E_NS1_11comp_targetILNS1_3genE5ELNS1_11target_archE942ELNS1_3gpuE9ELNS1_3repE0EEENS1_30default_config_static_selectorELNS0_4arch9wavefront6targetE1EEEvT1_,comdat
.Lfunc_end2005:
	.size	_ZN7rocprim17ROCPRIM_400000_NS6detail17trampoline_kernelINS0_14default_configENS1_25partition_config_selectorILNS1_17partition_subalgoE2EyNS0_10empty_typeEbEEZZNS1_14partition_implILS5_2ELb0ES3_jN6thrust23THRUST_200600_302600_NS6detail15normal_iteratorINSA_7pointerIyNSA_11hip_rocprim3tagENSA_11use_defaultESG_EEEEPS6_NSA_18transform_iteratorI7is_evenIyENSC_INSA_10device_ptrIyEEEESG_SG_EENS0_5tupleIJPySJ_EEENSR_IJSJ_SJ_EEES6_PlJS6_EEE10hipError_tPvRmT3_T4_T5_T6_T7_T9_mT8_P12ihipStream_tbDpT10_ENKUlT_T0_E_clISt17integral_constantIbLb0EES1F_EEDaS1A_S1B_EUlS1A_E_NS1_11comp_targetILNS1_3genE5ELNS1_11target_archE942ELNS1_3gpuE9ELNS1_3repE0EEENS1_30default_config_static_selectorELNS0_4arch9wavefront6targetE1EEEvT1_, .Lfunc_end2005-_ZN7rocprim17ROCPRIM_400000_NS6detail17trampoline_kernelINS0_14default_configENS1_25partition_config_selectorILNS1_17partition_subalgoE2EyNS0_10empty_typeEbEEZZNS1_14partition_implILS5_2ELb0ES3_jN6thrust23THRUST_200600_302600_NS6detail15normal_iteratorINSA_7pointerIyNSA_11hip_rocprim3tagENSA_11use_defaultESG_EEEEPS6_NSA_18transform_iteratorI7is_evenIyENSC_INSA_10device_ptrIyEEEESG_SG_EENS0_5tupleIJPySJ_EEENSR_IJSJ_SJ_EEES6_PlJS6_EEE10hipError_tPvRmT3_T4_T5_T6_T7_T9_mT8_P12ihipStream_tbDpT10_ENKUlT_T0_E_clISt17integral_constantIbLb0EES1F_EEDaS1A_S1B_EUlS1A_E_NS1_11comp_targetILNS1_3genE5ELNS1_11target_archE942ELNS1_3gpuE9ELNS1_3repE0EEENS1_30default_config_static_selectorELNS0_4arch9wavefront6targetE1EEEvT1_
                                        ; -- End function
	.section	.AMDGPU.csdata,"",@progbits
; Kernel info:
; codeLenInByte = 5480
; NumSgprs: 52
; NumVgprs: 54
; NumAgprs: 0
; TotalNumVgprs: 54
; ScratchSize: 0
; MemoryBound: 0
; FloatMode: 240
; IeeeMode: 1
; LDSByteSize: 28680 bytes/workgroup (compile time only)
; SGPRBlocks: 6
; VGPRBlocks: 6
; NumSGPRsForWavesPerEU: 52
; NumVGPRsForWavesPerEU: 54
; AccumOffset: 56
; Occupancy: 4
; WaveLimiterHint : 1
; COMPUTE_PGM_RSRC2:SCRATCH_EN: 0
; COMPUTE_PGM_RSRC2:USER_SGPR: 2
; COMPUTE_PGM_RSRC2:TRAP_HANDLER: 0
; COMPUTE_PGM_RSRC2:TGID_X_EN: 1
; COMPUTE_PGM_RSRC2:TGID_Y_EN: 0
; COMPUTE_PGM_RSRC2:TGID_Z_EN: 0
; COMPUTE_PGM_RSRC2:TIDIG_COMP_CNT: 0
; COMPUTE_PGM_RSRC3_GFX90A:ACCUM_OFFSET: 13
; COMPUTE_PGM_RSRC3_GFX90A:TG_SPLIT: 0
	.section	.text._ZN7rocprim17ROCPRIM_400000_NS6detail17trampoline_kernelINS0_14default_configENS1_25partition_config_selectorILNS1_17partition_subalgoE2EyNS0_10empty_typeEbEEZZNS1_14partition_implILS5_2ELb0ES3_jN6thrust23THRUST_200600_302600_NS6detail15normal_iteratorINSA_7pointerIyNSA_11hip_rocprim3tagENSA_11use_defaultESG_EEEEPS6_NSA_18transform_iteratorI7is_evenIyENSC_INSA_10device_ptrIyEEEESG_SG_EENS0_5tupleIJPySJ_EEENSR_IJSJ_SJ_EEES6_PlJS6_EEE10hipError_tPvRmT3_T4_T5_T6_T7_T9_mT8_P12ihipStream_tbDpT10_ENKUlT_T0_E_clISt17integral_constantIbLb0EES1F_EEDaS1A_S1B_EUlS1A_E_NS1_11comp_targetILNS1_3genE4ELNS1_11target_archE910ELNS1_3gpuE8ELNS1_3repE0EEENS1_30default_config_static_selectorELNS0_4arch9wavefront6targetE1EEEvT1_,"axG",@progbits,_ZN7rocprim17ROCPRIM_400000_NS6detail17trampoline_kernelINS0_14default_configENS1_25partition_config_selectorILNS1_17partition_subalgoE2EyNS0_10empty_typeEbEEZZNS1_14partition_implILS5_2ELb0ES3_jN6thrust23THRUST_200600_302600_NS6detail15normal_iteratorINSA_7pointerIyNSA_11hip_rocprim3tagENSA_11use_defaultESG_EEEEPS6_NSA_18transform_iteratorI7is_evenIyENSC_INSA_10device_ptrIyEEEESG_SG_EENS0_5tupleIJPySJ_EEENSR_IJSJ_SJ_EEES6_PlJS6_EEE10hipError_tPvRmT3_T4_T5_T6_T7_T9_mT8_P12ihipStream_tbDpT10_ENKUlT_T0_E_clISt17integral_constantIbLb0EES1F_EEDaS1A_S1B_EUlS1A_E_NS1_11comp_targetILNS1_3genE4ELNS1_11target_archE910ELNS1_3gpuE8ELNS1_3repE0EEENS1_30default_config_static_selectorELNS0_4arch9wavefront6targetE1EEEvT1_,comdat
	.protected	_ZN7rocprim17ROCPRIM_400000_NS6detail17trampoline_kernelINS0_14default_configENS1_25partition_config_selectorILNS1_17partition_subalgoE2EyNS0_10empty_typeEbEEZZNS1_14partition_implILS5_2ELb0ES3_jN6thrust23THRUST_200600_302600_NS6detail15normal_iteratorINSA_7pointerIyNSA_11hip_rocprim3tagENSA_11use_defaultESG_EEEEPS6_NSA_18transform_iteratorI7is_evenIyENSC_INSA_10device_ptrIyEEEESG_SG_EENS0_5tupleIJPySJ_EEENSR_IJSJ_SJ_EEES6_PlJS6_EEE10hipError_tPvRmT3_T4_T5_T6_T7_T9_mT8_P12ihipStream_tbDpT10_ENKUlT_T0_E_clISt17integral_constantIbLb0EES1F_EEDaS1A_S1B_EUlS1A_E_NS1_11comp_targetILNS1_3genE4ELNS1_11target_archE910ELNS1_3gpuE8ELNS1_3repE0EEENS1_30default_config_static_selectorELNS0_4arch9wavefront6targetE1EEEvT1_ ; -- Begin function _ZN7rocprim17ROCPRIM_400000_NS6detail17trampoline_kernelINS0_14default_configENS1_25partition_config_selectorILNS1_17partition_subalgoE2EyNS0_10empty_typeEbEEZZNS1_14partition_implILS5_2ELb0ES3_jN6thrust23THRUST_200600_302600_NS6detail15normal_iteratorINSA_7pointerIyNSA_11hip_rocprim3tagENSA_11use_defaultESG_EEEEPS6_NSA_18transform_iteratorI7is_evenIyENSC_INSA_10device_ptrIyEEEESG_SG_EENS0_5tupleIJPySJ_EEENSR_IJSJ_SJ_EEES6_PlJS6_EEE10hipError_tPvRmT3_T4_T5_T6_T7_T9_mT8_P12ihipStream_tbDpT10_ENKUlT_T0_E_clISt17integral_constantIbLb0EES1F_EEDaS1A_S1B_EUlS1A_E_NS1_11comp_targetILNS1_3genE4ELNS1_11target_archE910ELNS1_3gpuE8ELNS1_3repE0EEENS1_30default_config_static_selectorELNS0_4arch9wavefront6targetE1EEEvT1_
	.globl	_ZN7rocprim17ROCPRIM_400000_NS6detail17trampoline_kernelINS0_14default_configENS1_25partition_config_selectorILNS1_17partition_subalgoE2EyNS0_10empty_typeEbEEZZNS1_14partition_implILS5_2ELb0ES3_jN6thrust23THRUST_200600_302600_NS6detail15normal_iteratorINSA_7pointerIyNSA_11hip_rocprim3tagENSA_11use_defaultESG_EEEEPS6_NSA_18transform_iteratorI7is_evenIyENSC_INSA_10device_ptrIyEEEESG_SG_EENS0_5tupleIJPySJ_EEENSR_IJSJ_SJ_EEES6_PlJS6_EEE10hipError_tPvRmT3_T4_T5_T6_T7_T9_mT8_P12ihipStream_tbDpT10_ENKUlT_T0_E_clISt17integral_constantIbLb0EES1F_EEDaS1A_S1B_EUlS1A_E_NS1_11comp_targetILNS1_3genE4ELNS1_11target_archE910ELNS1_3gpuE8ELNS1_3repE0EEENS1_30default_config_static_selectorELNS0_4arch9wavefront6targetE1EEEvT1_
	.p2align	8
	.type	_ZN7rocprim17ROCPRIM_400000_NS6detail17trampoline_kernelINS0_14default_configENS1_25partition_config_selectorILNS1_17partition_subalgoE2EyNS0_10empty_typeEbEEZZNS1_14partition_implILS5_2ELb0ES3_jN6thrust23THRUST_200600_302600_NS6detail15normal_iteratorINSA_7pointerIyNSA_11hip_rocprim3tagENSA_11use_defaultESG_EEEEPS6_NSA_18transform_iteratorI7is_evenIyENSC_INSA_10device_ptrIyEEEESG_SG_EENS0_5tupleIJPySJ_EEENSR_IJSJ_SJ_EEES6_PlJS6_EEE10hipError_tPvRmT3_T4_T5_T6_T7_T9_mT8_P12ihipStream_tbDpT10_ENKUlT_T0_E_clISt17integral_constantIbLb0EES1F_EEDaS1A_S1B_EUlS1A_E_NS1_11comp_targetILNS1_3genE4ELNS1_11target_archE910ELNS1_3gpuE8ELNS1_3repE0EEENS1_30default_config_static_selectorELNS0_4arch9wavefront6targetE1EEEvT1_,@function
_ZN7rocprim17ROCPRIM_400000_NS6detail17trampoline_kernelINS0_14default_configENS1_25partition_config_selectorILNS1_17partition_subalgoE2EyNS0_10empty_typeEbEEZZNS1_14partition_implILS5_2ELb0ES3_jN6thrust23THRUST_200600_302600_NS6detail15normal_iteratorINSA_7pointerIyNSA_11hip_rocprim3tagENSA_11use_defaultESG_EEEEPS6_NSA_18transform_iteratorI7is_evenIyENSC_INSA_10device_ptrIyEEEESG_SG_EENS0_5tupleIJPySJ_EEENSR_IJSJ_SJ_EEES6_PlJS6_EEE10hipError_tPvRmT3_T4_T5_T6_T7_T9_mT8_P12ihipStream_tbDpT10_ENKUlT_T0_E_clISt17integral_constantIbLb0EES1F_EEDaS1A_S1B_EUlS1A_E_NS1_11comp_targetILNS1_3genE4ELNS1_11target_archE910ELNS1_3gpuE8ELNS1_3repE0EEENS1_30default_config_static_selectorELNS0_4arch9wavefront6targetE1EEEvT1_: ; @_ZN7rocprim17ROCPRIM_400000_NS6detail17trampoline_kernelINS0_14default_configENS1_25partition_config_selectorILNS1_17partition_subalgoE2EyNS0_10empty_typeEbEEZZNS1_14partition_implILS5_2ELb0ES3_jN6thrust23THRUST_200600_302600_NS6detail15normal_iteratorINSA_7pointerIyNSA_11hip_rocprim3tagENSA_11use_defaultESG_EEEEPS6_NSA_18transform_iteratorI7is_evenIyENSC_INSA_10device_ptrIyEEEESG_SG_EENS0_5tupleIJPySJ_EEENSR_IJSJ_SJ_EEES6_PlJS6_EEE10hipError_tPvRmT3_T4_T5_T6_T7_T9_mT8_P12ihipStream_tbDpT10_ENKUlT_T0_E_clISt17integral_constantIbLb0EES1F_EEDaS1A_S1B_EUlS1A_E_NS1_11comp_targetILNS1_3genE4ELNS1_11target_archE910ELNS1_3gpuE8ELNS1_3repE0EEENS1_30default_config_static_selectorELNS0_4arch9wavefront6targetE1EEEvT1_
; %bb.0:
	.section	.rodata,"a",@progbits
	.p2align	6, 0x0
	.amdhsa_kernel _ZN7rocprim17ROCPRIM_400000_NS6detail17trampoline_kernelINS0_14default_configENS1_25partition_config_selectorILNS1_17partition_subalgoE2EyNS0_10empty_typeEbEEZZNS1_14partition_implILS5_2ELb0ES3_jN6thrust23THRUST_200600_302600_NS6detail15normal_iteratorINSA_7pointerIyNSA_11hip_rocprim3tagENSA_11use_defaultESG_EEEEPS6_NSA_18transform_iteratorI7is_evenIyENSC_INSA_10device_ptrIyEEEESG_SG_EENS0_5tupleIJPySJ_EEENSR_IJSJ_SJ_EEES6_PlJS6_EEE10hipError_tPvRmT3_T4_T5_T6_T7_T9_mT8_P12ihipStream_tbDpT10_ENKUlT_T0_E_clISt17integral_constantIbLb0EES1F_EEDaS1A_S1B_EUlS1A_E_NS1_11comp_targetILNS1_3genE4ELNS1_11target_archE910ELNS1_3gpuE8ELNS1_3repE0EEENS1_30default_config_static_selectorELNS0_4arch9wavefront6targetE1EEEvT1_
		.amdhsa_group_segment_fixed_size 0
		.amdhsa_private_segment_fixed_size 0
		.amdhsa_kernarg_size 128
		.amdhsa_user_sgpr_count 2
		.amdhsa_user_sgpr_dispatch_ptr 0
		.amdhsa_user_sgpr_queue_ptr 0
		.amdhsa_user_sgpr_kernarg_segment_ptr 1
		.amdhsa_user_sgpr_dispatch_id 0
		.amdhsa_user_sgpr_kernarg_preload_length 0
		.amdhsa_user_sgpr_kernarg_preload_offset 0
		.amdhsa_user_sgpr_private_segment_size 0
		.amdhsa_uses_dynamic_stack 0
		.amdhsa_enable_private_segment 0
		.amdhsa_system_sgpr_workgroup_id_x 1
		.amdhsa_system_sgpr_workgroup_id_y 0
		.amdhsa_system_sgpr_workgroup_id_z 0
		.amdhsa_system_sgpr_workgroup_info 0
		.amdhsa_system_vgpr_workitem_id 0
		.amdhsa_next_free_vgpr 1
		.amdhsa_next_free_sgpr 0
		.amdhsa_accum_offset 4
		.amdhsa_reserve_vcc 0
		.amdhsa_float_round_mode_32 0
		.amdhsa_float_round_mode_16_64 0
		.amdhsa_float_denorm_mode_32 3
		.amdhsa_float_denorm_mode_16_64 3
		.amdhsa_dx10_clamp 1
		.amdhsa_ieee_mode 1
		.amdhsa_fp16_overflow 0
		.amdhsa_tg_split 0
		.amdhsa_exception_fp_ieee_invalid_op 0
		.amdhsa_exception_fp_denorm_src 0
		.amdhsa_exception_fp_ieee_div_zero 0
		.amdhsa_exception_fp_ieee_overflow 0
		.amdhsa_exception_fp_ieee_underflow 0
		.amdhsa_exception_fp_ieee_inexact 0
		.amdhsa_exception_int_div_zero 0
	.end_amdhsa_kernel
	.section	.text._ZN7rocprim17ROCPRIM_400000_NS6detail17trampoline_kernelINS0_14default_configENS1_25partition_config_selectorILNS1_17partition_subalgoE2EyNS0_10empty_typeEbEEZZNS1_14partition_implILS5_2ELb0ES3_jN6thrust23THRUST_200600_302600_NS6detail15normal_iteratorINSA_7pointerIyNSA_11hip_rocprim3tagENSA_11use_defaultESG_EEEEPS6_NSA_18transform_iteratorI7is_evenIyENSC_INSA_10device_ptrIyEEEESG_SG_EENS0_5tupleIJPySJ_EEENSR_IJSJ_SJ_EEES6_PlJS6_EEE10hipError_tPvRmT3_T4_T5_T6_T7_T9_mT8_P12ihipStream_tbDpT10_ENKUlT_T0_E_clISt17integral_constantIbLb0EES1F_EEDaS1A_S1B_EUlS1A_E_NS1_11comp_targetILNS1_3genE4ELNS1_11target_archE910ELNS1_3gpuE8ELNS1_3repE0EEENS1_30default_config_static_selectorELNS0_4arch9wavefront6targetE1EEEvT1_,"axG",@progbits,_ZN7rocprim17ROCPRIM_400000_NS6detail17trampoline_kernelINS0_14default_configENS1_25partition_config_selectorILNS1_17partition_subalgoE2EyNS0_10empty_typeEbEEZZNS1_14partition_implILS5_2ELb0ES3_jN6thrust23THRUST_200600_302600_NS6detail15normal_iteratorINSA_7pointerIyNSA_11hip_rocprim3tagENSA_11use_defaultESG_EEEEPS6_NSA_18transform_iteratorI7is_evenIyENSC_INSA_10device_ptrIyEEEESG_SG_EENS0_5tupleIJPySJ_EEENSR_IJSJ_SJ_EEES6_PlJS6_EEE10hipError_tPvRmT3_T4_T5_T6_T7_T9_mT8_P12ihipStream_tbDpT10_ENKUlT_T0_E_clISt17integral_constantIbLb0EES1F_EEDaS1A_S1B_EUlS1A_E_NS1_11comp_targetILNS1_3genE4ELNS1_11target_archE910ELNS1_3gpuE8ELNS1_3repE0EEENS1_30default_config_static_selectorELNS0_4arch9wavefront6targetE1EEEvT1_,comdat
.Lfunc_end2006:
	.size	_ZN7rocprim17ROCPRIM_400000_NS6detail17trampoline_kernelINS0_14default_configENS1_25partition_config_selectorILNS1_17partition_subalgoE2EyNS0_10empty_typeEbEEZZNS1_14partition_implILS5_2ELb0ES3_jN6thrust23THRUST_200600_302600_NS6detail15normal_iteratorINSA_7pointerIyNSA_11hip_rocprim3tagENSA_11use_defaultESG_EEEEPS6_NSA_18transform_iteratorI7is_evenIyENSC_INSA_10device_ptrIyEEEESG_SG_EENS0_5tupleIJPySJ_EEENSR_IJSJ_SJ_EEES6_PlJS6_EEE10hipError_tPvRmT3_T4_T5_T6_T7_T9_mT8_P12ihipStream_tbDpT10_ENKUlT_T0_E_clISt17integral_constantIbLb0EES1F_EEDaS1A_S1B_EUlS1A_E_NS1_11comp_targetILNS1_3genE4ELNS1_11target_archE910ELNS1_3gpuE8ELNS1_3repE0EEENS1_30default_config_static_selectorELNS0_4arch9wavefront6targetE1EEEvT1_, .Lfunc_end2006-_ZN7rocprim17ROCPRIM_400000_NS6detail17trampoline_kernelINS0_14default_configENS1_25partition_config_selectorILNS1_17partition_subalgoE2EyNS0_10empty_typeEbEEZZNS1_14partition_implILS5_2ELb0ES3_jN6thrust23THRUST_200600_302600_NS6detail15normal_iteratorINSA_7pointerIyNSA_11hip_rocprim3tagENSA_11use_defaultESG_EEEEPS6_NSA_18transform_iteratorI7is_evenIyENSC_INSA_10device_ptrIyEEEESG_SG_EENS0_5tupleIJPySJ_EEENSR_IJSJ_SJ_EEES6_PlJS6_EEE10hipError_tPvRmT3_T4_T5_T6_T7_T9_mT8_P12ihipStream_tbDpT10_ENKUlT_T0_E_clISt17integral_constantIbLb0EES1F_EEDaS1A_S1B_EUlS1A_E_NS1_11comp_targetILNS1_3genE4ELNS1_11target_archE910ELNS1_3gpuE8ELNS1_3repE0EEENS1_30default_config_static_selectorELNS0_4arch9wavefront6targetE1EEEvT1_
                                        ; -- End function
	.section	.AMDGPU.csdata,"",@progbits
; Kernel info:
; codeLenInByte = 0
; NumSgprs: 6
; NumVgprs: 0
; NumAgprs: 0
; TotalNumVgprs: 0
; ScratchSize: 0
; MemoryBound: 0
; FloatMode: 240
; IeeeMode: 1
; LDSByteSize: 0 bytes/workgroup (compile time only)
; SGPRBlocks: 0
; VGPRBlocks: 0
; NumSGPRsForWavesPerEU: 6
; NumVGPRsForWavesPerEU: 1
; AccumOffset: 4
; Occupancy: 8
; WaveLimiterHint : 0
; COMPUTE_PGM_RSRC2:SCRATCH_EN: 0
; COMPUTE_PGM_RSRC2:USER_SGPR: 2
; COMPUTE_PGM_RSRC2:TRAP_HANDLER: 0
; COMPUTE_PGM_RSRC2:TGID_X_EN: 1
; COMPUTE_PGM_RSRC2:TGID_Y_EN: 0
; COMPUTE_PGM_RSRC2:TGID_Z_EN: 0
; COMPUTE_PGM_RSRC2:TIDIG_COMP_CNT: 0
; COMPUTE_PGM_RSRC3_GFX90A:ACCUM_OFFSET: 0
; COMPUTE_PGM_RSRC3_GFX90A:TG_SPLIT: 0
	.section	.text._ZN7rocprim17ROCPRIM_400000_NS6detail17trampoline_kernelINS0_14default_configENS1_25partition_config_selectorILNS1_17partition_subalgoE2EyNS0_10empty_typeEbEEZZNS1_14partition_implILS5_2ELb0ES3_jN6thrust23THRUST_200600_302600_NS6detail15normal_iteratorINSA_7pointerIyNSA_11hip_rocprim3tagENSA_11use_defaultESG_EEEEPS6_NSA_18transform_iteratorI7is_evenIyENSC_INSA_10device_ptrIyEEEESG_SG_EENS0_5tupleIJPySJ_EEENSR_IJSJ_SJ_EEES6_PlJS6_EEE10hipError_tPvRmT3_T4_T5_T6_T7_T9_mT8_P12ihipStream_tbDpT10_ENKUlT_T0_E_clISt17integral_constantIbLb0EES1F_EEDaS1A_S1B_EUlS1A_E_NS1_11comp_targetILNS1_3genE3ELNS1_11target_archE908ELNS1_3gpuE7ELNS1_3repE0EEENS1_30default_config_static_selectorELNS0_4arch9wavefront6targetE1EEEvT1_,"axG",@progbits,_ZN7rocprim17ROCPRIM_400000_NS6detail17trampoline_kernelINS0_14default_configENS1_25partition_config_selectorILNS1_17partition_subalgoE2EyNS0_10empty_typeEbEEZZNS1_14partition_implILS5_2ELb0ES3_jN6thrust23THRUST_200600_302600_NS6detail15normal_iteratorINSA_7pointerIyNSA_11hip_rocprim3tagENSA_11use_defaultESG_EEEEPS6_NSA_18transform_iteratorI7is_evenIyENSC_INSA_10device_ptrIyEEEESG_SG_EENS0_5tupleIJPySJ_EEENSR_IJSJ_SJ_EEES6_PlJS6_EEE10hipError_tPvRmT3_T4_T5_T6_T7_T9_mT8_P12ihipStream_tbDpT10_ENKUlT_T0_E_clISt17integral_constantIbLb0EES1F_EEDaS1A_S1B_EUlS1A_E_NS1_11comp_targetILNS1_3genE3ELNS1_11target_archE908ELNS1_3gpuE7ELNS1_3repE0EEENS1_30default_config_static_selectorELNS0_4arch9wavefront6targetE1EEEvT1_,comdat
	.protected	_ZN7rocprim17ROCPRIM_400000_NS6detail17trampoline_kernelINS0_14default_configENS1_25partition_config_selectorILNS1_17partition_subalgoE2EyNS0_10empty_typeEbEEZZNS1_14partition_implILS5_2ELb0ES3_jN6thrust23THRUST_200600_302600_NS6detail15normal_iteratorINSA_7pointerIyNSA_11hip_rocprim3tagENSA_11use_defaultESG_EEEEPS6_NSA_18transform_iteratorI7is_evenIyENSC_INSA_10device_ptrIyEEEESG_SG_EENS0_5tupleIJPySJ_EEENSR_IJSJ_SJ_EEES6_PlJS6_EEE10hipError_tPvRmT3_T4_T5_T6_T7_T9_mT8_P12ihipStream_tbDpT10_ENKUlT_T0_E_clISt17integral_constantIbLb0EES1F_EEDaS1A_S1B_EUlS1A_E_NS1_11comp_targetILNS1_3genE3ELNS1_11target_archE908ELNS1_3gpuE7ELNS1_3repE0EEENS1_30default_config_static_selectorELNS0_4arch9wavefront6targetE1EEEvT1_ ; -- Begin function _ZN7rocprim17ROCPRIM_400000_NS6detail17trampoline_kernelINS0_14default_configENS1_25partition_config_selectorILNS1_17partition_subalgoE2EyNS0_10empty_typeEbEEZZNS1_14partition_implILS5_2ELb0ES3_jN6thrust23THRUST_200600_302600_NS6detail15normal_iteratorINSA_7pointerIyNSA_11hip_rocprim3tagENSA_11use_defaultESG_EEEEPS6_NSA_18transform_iteratorI7is_evenIyENSC_INSA_10device_ptrIyEEEESG_SG_EENS0_5tupleIJPySJ_EEENSR_IJSJ_SJ_EEES6_PlJS6_EEE10hipError_tPvRmT3_T4_T5_T6_T7_T9_mT8_P12ihipStream_tbDpT10_ENKUlT_T0_E_clISt17integral_constantIbLb0EES1F_EEDaS1A_S1B_EUlS1A_E_NS1_11comp_targetILNS1_3genE3ELNS1_11target_archE908ELNS1_3gpuE7ELNS1_3repE0EEENS1_30default_config_static_selectorELNS0_4arch9wavefront6targetE1EEEvT1_
	.globl	_ZN7rocprim17ROCPRIM_400000_NS6detail17trampoline_kernelINS0_14default_configENS1_25partition_config_selectorILNS1_17partition_subalgoE2EyNS0_10empty_typeEbEEZZNS1_14partition_implILS5_2ELb0ES3_jN6thrust23THRUST_200600_302600_NS6detail15normal_iteratorINSA_7pointerIyNSA_11hip_rocprim3tagENSA_11use_defaultESG_EEEEPS6_NSA_18transform_iteratorI7is_evenIyENSC_INSA_10device_ptrIyEEEESG_SG_EENS0_5tupleIJPySJ_EEENSR_IJSJ_SJ_EEES6_PlJS6_EEE10hipError_tPvRmT3_T4_T5_T6_T7_T9_mT8_P12ihipStream_tbDpT10_ENKUlT_T0_E_clISt17integral_constantIbLb0EES1F_EEDaS1A_S1B_EUlS1A_E_NS1_11comp_targetILNS1_3genE3ELNS1_11target_archE908ELNS1_3gpuE7ELNS1_3repE0EEENS1_30default_config_static_selectorELNS0_4arch9wavefront6targetE1EEEvT1_
	.p2align	8
	.type	_ZN7rocprim17ROCPRIM_400000_NS6detail17trampoline_kernelINS0_14default_configENS1_25partition_config_selectorILNS1_17partition_subalgoE2EyNS0_10empty_typeEbEEZZNS1_14partition_implILS5_2ELb0ES3_jN6thrust23THRUST_200600_302600_NS6detail15normal_iteratorINSA_7pointerIyNSA_11hip_rocprim3tagENSA_11use_defaultESG_EEEEPS6_NSA_18transform_iteratorI7is_evenIyENSC_INSA_10device_ptrIyEEEESG_SG_EENS0_5tupleIJPySJ_EEENSR_IJSJ_SJ_EEES6_PlJS6_EEE10hipError_tPvRmT3_T4_T5_T6_T7_T9_mT8_P12ihipStream_tbDpT10_ENKUlT_T0_E_clISt17integral_constantIbLb0EES1F_EEDaS1A_S1B_EUlS1A_E_NS1_11comp_targetILNS1_3genE3ELNS1_11target_archE908ELNS1_3gpuE7ELNS1_3repE0EEENS1_30default_config_static_selectorELNS0_4arch9wavefront6targetE1EEEvT1_,@function
_ZN7rocprim17ROCPRIM_400000_NS6detail17trampoline_kernelINS0_14default_configENS1_25partition_config_selectorILNS1_17partition_subalgoE2EyNS0_10empty_typeEbEEZZNS1_14partition_implILS5_2ELb0ES3_jN6thrust23THRUST_200600_302600_NS6detail15normal_iteratorINSA_7pointerIyNSA_11hip_rocprim3tagENSA_11use_defaultESG_EEEEPS6_NSA_18transform_iteratorI7is_evenIyENSC_INSA_10device_ptrIyEEEESG_SG_EENS0_5tupleIJPySJ_EEENSR_IJSJ_SJ_EEES6_PlJS6_EEE10hipError_tPvRmT3_T4_T5_T6_T7_T9_mT8_P12ihipStream_tbDpT10_ENKUlT_T0_E_clISt17integral_constantIbLb0EES1F_EEDaS1A_S1B_EUlS1A_E_NS1_11comp_targetILNS1_3genE3ELNS1_11target_archE908ELNS1_3gpuE7ELNS1_3repE0EEENS1_30default_config_static_selectorELNS0_4arch9wavefront6targetE1EEEvT1_: ; @_ZN7rocprim17ROCPRIM_400000_NS6detail17trampoline_kernelINS0_14default_configENS1_25partition_config_selectorILNS1_17partition_subalgoE2EyNS0_10empty_typeEbEEZZNS1_14partition_implILS5_2ELb0ES3_jN6thrust23THRUST_200600_302600_NS6detail15normal_iteratorINSA_7pointerIyNSA_11hip_rocprim3tagENSA_11use_defaultESG_EEEEPS6_NSA_18transform_iteratorI7is_evenIyENSC_INSA_10device_ptrIyEEEESG_SG_EENS0_5tupleIJPySJ_EEENSR_IJSJ_SJ_EEES6_PlJS6_EEE10hipError_tPvRmT3_T4_T5_T6_T7_T9_mT8_P12ihipStream_tbDpT10_ENKUlT_T0_E_clISt17integral_constantIbLb0EES1F_EEDaS1A_S1B_EUlS1A_E_NS1_11comp_targetILNS1_3genE3ELNS1_11target_archE908ELNS1_3gpuE7ELNS1_3repE0EEENS1_30default_config_static_selectorELNS0_4arch9wavefront6targetE1EEEvT1_
; %bb.0:
	.section	.rodata,"a",@progbits
	.p2align	6, 0x0
	.amdhsa_kernel _ZN7rocprim17ROCPRIM_400000_NS6detail17trampoline_kernelINS0_14default_configENS1_25partition_config_selectorILNS1_17partition_subalgoE2EyNS0_10empty_typeEbEEZZNS1_14partition_implILS5_2ELb0ES3_jN6thrust23THRUST_200600_302600_NS6detail15normal_iteratorINSA_7pointerIyNSA_11hip_rocprim3tagENSA_11use_defaultESG_EEEEPS6_NSA_18transform_iteratorI7is_evenIyENSC_INSA_10device_ptrIyEEEESG_SG_EENS0_5tupleIJPySJ_EEENSR_IJSJ_SJ_EEES6_PlJS6_EEE10hipError_tPvRmT3_T4_T5_T6_T7_T9_mT8_P12ihipStream_tbDpT10_ENKUlT_T0_E_clISt17integral_constantIbLb0EES1F_EEDaS1A_S1B_EUlS1A_E_NS1_11comp_targetILNS1_3genE3ELNS1_11target_archE908ELNS1_3gpuE7ELNS1_3repE0EEENS1_30default_config_static_selectorELNS0_4arch9wavefront6targetE1EEEvT1_
		.amdhsa_group_segment_fixed_size 0
		.amdhsa_private_segment_fixed_size 0
		.amdhsa_kernarg_size 128
		.amdhsa_user_sgpr_count 2
		.amdhsa_user_sgpr_dispatch_ptr 0
		.amdhsa_user_sgpr_queue_ptr 0
		.amdhsa_user_sgpr_kernarg_segment_ptr 1
		.amdhsa_user_sgpr_dispatch_id 0
		.amdhsa_user_sgpr_kernarg_preload_length 0
		.amdhsa_user_sgpr_kernarg_preload_offset 0
		.amdhsa_user_sgpr_private_segment_size 0
		.amdhsa_uses_dynamic_stack 0
		.amdhsa_enable_private_segment 0
		.amdhsa_system_sgpr_workgroup_id_x 1
		.amdhsa_system_sgpr_workgroup_id_y 0
		.amdhsa_system_sgpr_workgroup_id_z 0
		.amdhsa_system_sgpr_workgroup_info 0
		.amdhsa_system_vgpr_workitem_id 0
		.amdhsa_next_free_vgpr 1
		.amdhsa_next_free_sgpr 0
		.amdhsa_accum_offset 4
		.amdhsa_reserve_vcc 0
		.amdhsa_float_round_mode_32 0
		.amdhsa_float_round_mode_16_64 0
		.amdhsa_float_denorm_mode_32 3
		.amdhsa_float_denorm_mode_16_64 3
		.amdhsa_dx10_clamp 1
		.amdhsa_ieee_mode 1
		.amdhsa_fp16_overflow 0
		.amdhsa_tg_split 0
		.amdhsa_exception_fp_ieee_invalid_op 0
		.amdhsa_exception_fp_denorm_src 0
		.amdhsa_exception_fp_ieee_div_zero 0
		.amdhsa_exception_fp_ieee_overflow 0
		.amdhsa_exception_fp_ieee_underflow 0
		.amdhsa_exception_fp_ieee_inexact 0
		.amdhsa_exception_int_div_zero 0
	.end_amdhsa_kernel
	.section	.text._ZN7rocprim17ROCPRIM_400000_NS6detail17trampoline_kernelINS0_14default_configENS1_25partition_config_selectorILNS1_17partition_subalgoE2EyNS0_10empty_typeEbEEZZNS1_14partition_implILS5_2ELb0ES3_jN6thrust23THRUST_200600_302600_NS6detail15normal_iteratorINSA_7pointerIyNSA_11hip_rocprim3tagENSA_11use_defaultESG_EEEEPS6_NSA_18transform_iteratorI7is_evenIyENSC_INSA_10device_ptrIyEEEESG_SG_EENS0_5tupleIJPySJ_EEENSR_IJSJ_SJ_EEES6_PlJS6_EEE10hipError_tPvRmT3_T4_T5_T6_T7_T9_mT8_P12ihipStream_tbDpT10_ENKUlT_T0_E_clISt17integral_constantIbLb0EES1F_EEDaS1A_S1B_EUlS1A_E_NS1_11comp_targetILNS1_3genE3ELNS1_11target_archE908ELNS1_3gpuE7ELNS1_3repE0EEENS1_30default_config_static_selectorELNS0_4arch9wavefront6targetE1EEEvT1_,"axG",@progbits,_ZN7rocprim17ROCPRIM_400000_NS6detail17trampoline_kernelINS0_14default_configENS1_25partition_config_selectorILNS1_17partition_subalgoE2EyNS0_10empty_typeEbEEZZNS1_14partition_implILS5_2ELb0ES3_jN6thrust23THRUST_200600_302600_NS6detail15normal_iteratorINSA_7pointerIyNSA_11hip_rocprim3tagENSA_11use_defaultESG_EEEEPS6_NSA_18transform_iteratorI7is_evenIyENSC_INSA_10device_ptrIyEEEESG_SG_EENS0_5tupleIJPySJ_EEENSR_IJSJ_SJ_EEES6_PlJS6_EEE10hipError_tPvRmT3_T4_T5_T6_T7_T9_mT8_P12ihipStream_tbDpT10_ENKUlT_T0_E_clISt17integral_constantIbLb0EES1F_EEDaS1A_S1B_EUlS1A_E_NS1_11comp_targetILNS1_3genE3ELNS1_11target_archE908ELNS1_3gpuE7ELNS1_3repE0EEENS1_30default_config_static_selectorELNS0_4arch9wavefront6targetE1EEEvT1_,comdat
.Lfunc_end2007:
	.size	_ZN7rocprim17ROCPRIM_400000_NS6detail17trampoline_kernelINS0_14default_configENS1_25partition_config_selectorILNS1_17partition_subalgoE2EyNS0_10empty_typeEbEEZZNS1_14partition_implILS5_2ELb0ES3_jN6thrust23THRUST_200600_302600_NS6detail15normal_iteratorINSA_7pointerIyNSA_11hip_rocprim3tagENSA_11use_defaultESG_EEEEPS6_NSA_18transform_iteratorI7is_evenIyENSC_INSA_10device_ptrIyEEEESG_SG_EENS0_5tupleIJPySJ_EEENSR_IJSJ_SJ_EEES6_PlJS6_EEE10hipError_tPvRmT3_T4_T5_T6_T7_T9_mT8_P12ihipStream_tbDpT10_ENKUlT_T0_E_clISt17integral_constantIbLb0EES1F_EEDaS1A_S1B_EUlS1A_E_NS1_11comp_targetILNS1_3genE3ELNS1_11target_archE908ELNS1_3gpuE7ELNS1_3repE0EEENS1_30default_config_static_selectorELNS0_4arch9wavefront6targetE1EEEvT1_, .Lfunc_end2007-_ZN7rocprim17ROCPRIM_400000_NS6detail17trampoline_kernelINS0_14default_configENS1_25partition_config_selectorILNS1_17partition_subalgoE2EyNS0_10empty_typeEbEEZZNS1_14partition_implILS5_2ELb0ES3_jN6thrust23THRUST_200600_302600_NS6detail15normal_iteratorINSA_7pointerIyNSA_11hip_rocprim3tagENSA_11use_defaultESG_EEEEPS6_NSA_18transform_iteratorI7is_evenIyENSC_INSA_10device_ptrIyEEEESG_SG_EENS0_5tupleIJPySJ_EEENSR_IJSJ_SJ_EEES6_PlJS6_EEE10hipError_tPvRmT3_T4_T5_T6_T7_T9_mT8_P12ihipStream_tbDpT10_ENKUlT_T0_E_clISt17integral_constantIbLb0EES1F_EEDaS1A_S1B_EUlS1A_E_NS1_11comp_targetILNS1_3genE3ELNS1_11target_archE908ELNS1_3gpuE7ELNS1_3repE0EEENS1_30default_config_static_selectorELNS0_4arch9wavefront6targetE1EEEvT1_
                                        ; -- End function
	.section	.AMDGPU.csdata,"",@progbits
; Kernel info:
; codeLenInByte = 0
; NumSgprs: 6
; NumVgprs: 0
; NumAgprs: 0
; TotalNumVgprs: 0
; ScratchSize: 0
; MemoryBound: 0
; FloatMode: 240
; IeeeMode: 1
; LDSByteSize: 0 bytes/workgroup (compile time only)
; SGPRBlocks: 0
; VGPRBlocks: 0
; NumSGPRsForWavesPerEU: 6
; NumVGPRsForWavesPerEU: 1
; AccumOffset: 4
; Occupancy: 8
; WaveLimiterHint : 0
; COMPUTE_PGM_RSRC2:SCRATCH_EN: 0
; COMPUTE_PGM_RSRC2:USER_SGPR: 2
; COMPUTE_PGM_RSRC2:TRAP_HANDLER: 0
; COMPUTE_PGM_RSRC2:TGID_X_EN: 1
; COMPUTE_PGM_RSRC2:TGID_Y_EN: 0
; COMPUTE_PGM_RSRC2:TGID_Z_EN: 0
; COMPUTE_PGM_RSRC2:TIDIG_COMP_CNT: 0
; COMPUTE_PGM_RSRC3_GFX90A:ACCUM_OFFSET: 0
; COMPUTE_PGM_RSRC3_GFX90A:TG_SPLIT: 0
	.section	.text._ZN7rocprim17ROCPRIM_400000_NS6detail17trampoline_kernelINS0_14default_configENS1_25partition_config_selectorILNS1_17partition_subalgoE2EyNS0_10empty_typeEbEEZZNS1_14partition_implILS5_2ELb0ES3_jN6thrust23THRUST_200600_302600_NS6detail15normal_iteratorINSA_7pointerIyNSA_11hip_rocprim3tagENSA_11use_defaultESG_EEEEPS6_NSA_18transform_iteratorI7is_evenIyENSC_INSA_10device_ptrIyEEEESG_SG_EENS0_5tupleIJPySJ_EEENSR_IJSJ_SJ_EEES6_PlJS6_EEE10hipError_tPvRmT3_T4_T5_T6_T7_T9_mT8_P12ihipStream_tbDpT10_ENKUlT_T0_E_clISt17integral_constantIbLb0EES1F_EEDaS1A_S1B_EUlS1A_E_NS1_11comp_targetILNS1_3genE2ELNS1_11target_archE906ELNS1_3gpuE6ELNS1_3repE0EEENS1_30default_config_static_selectorELNS0_4arch9wavefront6targetE1EEEvT1_,"axG",@progbits,_ZN7rocprim17ROCPRIM_400000_NS6detail17trampoline_kernelINS0_14default_configENS1_25partition_config_selectorILNS1_17partition_subalgoE2EyNS0_10empty_typeEbEEZZNS1_14partition_implILS5_2ELb0ES3_jN6thrust23THRUST_200600_302600_NS6detail15normal_iteratorINSA_7pointerIyNSA_11hip_rocprim3tagENSA_11use_defaultESG_EEEEPS6_NSA_18transform_iteratorI7is_evenIyENSC_INSA_10device_ptrIyEEEESG_SG_EENS0_5tupleIJPySJ_EEENSR_IJSJ_SJ_EEES6_PlJS6_EEE10hipError_tPvRmT3_T4_T5_T6_T7_T9_mT8_P12ihipStream_tbDpT10_ENKUlT_T0_E_clISt17integral_constantIbLb0EES1F_EEDaS1A_S1B_EUlS1A_E_NS1_11comp_targetILNS1_3genE2ELNS1_11target_archE906ELNS1_3gpuE6ELNS1_3repE0EEENS1_30default_config_static_selectorELNS0_4arch9wavefront6targetE1EEEvT1_,comdat
	.protected	_ZN7rocprim17ROCPRIM_400000_NS6detail17trampoline_kernelINS0_14default_configENS1_25partition_config_selectorILNS1_17partition_subalgoE2EyNS0_10empty_typeEbEEZZNS1_14partition_implILS5_2ELb0ES3_jN6thrust23THRUST_200600_302600_NS6detail15normal_iteratorINSA_7pointerIyNSA_11hip_rocprim3tagENSA_11use_defaultESG_EEEEPS6_NSA_18transform_iteratorI7is_evenIyENSC_INSA_10device_ptrIyEEEESG_SG_EENS0_5tupleIJPySJ_EEENSR_IJSJ_SJ_EEES6_PlJS6_EEE10hipError_tPvRmT3_T4_T5_T6_T7_T9_mT8_P12ihipStream_tbDpT10_ENKUlT_T0_E_clISt17integral_constantIbLb0EES1F_EEDaS1A_S1B_EUlS1A_E_NS1_11comp_targetILNS1_3genE2ELNS1_11target_archE906ELNS1_3gpuE6ELNS1_3repE0EEENS1_30default_config_static_selectorELNS0_4arch9wavefront6targetE1EEEvT1_ ; -- Begin function _ZN7rocprim17ROCPRIM_400000_NS6detail17trampoline_kernelINS0_14default_configENS1_25partition_config_selectorILNS1_17partition_subalgoE2EyNS0_10empty_typeEbEEZZNS1_14partition_implILS5_2ELb0ES3_jN6thrust23THRUST_200600_302600_NS6detail15normal_iteratorINSA_7pointerIyNSA_11hip_rocprim3tagENSA_11use_defaultESG_EEEEPS6_NSA_18transform_iteratorI7is_evenIyENSC_INSA_10device_ptrIyEEEESG_SG_EENS0_5tupleIJPySJ_EEENSR_IJSJ_SJ_EEES6_PlJS6_EEE10hipError_tPvRmT3_T4_T5_T6_T7_T9_mT8_P12ihipStream_tbDpT10_ENKUlT_T0_E_clISt17integral_constantIbLb0EES1F_EEDaS1A_S1B_EUlS1A_E_NS1_11comp_targetILNS1_3genE2ELNS1_11target_archE906ELNS1_3gpuE6ELNS1_3repE0EEENS1_30default_config_static_selectorELNS0_4arch9wavefront6targetE1EEEvT1_
	.globl	_ZN7rocprim17ROCPRIM_400000_NS6detail17trampoline_kernelINS0_14default_configENS1_25partition_config_selectorILNS1_17partition_subalgoE2EyNS0_10empty_typeEbEEZZNS1_14partition_implILS5_2ELb0ES3_jN6thrust23THRUST_200600_302600_NS6detail15normal_iteratorINSA_7pointerIyNSA_11hip_rocprim3tagENSA_11use_defaultESG_EEEEPS6_NSA_18transform_iteratorI7is_evenIyENSC_INSA_10device_ptrIyEEEESG_SG_EENS0_5tupleIJPySJ_EEENSR_IJSJ_SJ_EEES6_PlJS6_EEE10hipError_tPvRmT3_T4_T5_T6_T7_T9_mT8_P12ihipStream_tbDpT10_ENKUlT_T0_E_clISt17integral_constantIbLb0EES1F_EEDaS1A_S1B_EUlS1A_E_NS1_11comp_targetILNS1_3genE2ELNS1_11target_archE906ELNS1_3gpuE6ELNS1_3repE0EEENS1_30default_config_static_selectorELNS0_4arch9wavefront6targetE1EEEvT1_
	.p2align	8
	.type	_ZN7rocprim17ROCPRIM_400000_NS6detail17trampoline_kernelINS0_14default_configENS1_25partition_config_selectorILNS1_17partition_subalgoE2EyNS0_10empty_typeEbEEZZNS1_14partition_implILS5_2ELb0ES3_jN6thrust23THRUST_200600_302600_NS6detail15normal_iteratorINSA_7pointerIyNSA_11hip_rocprim3tagENSA_11use_defaultESG_EEEEPS6_NSA_18transform_iteratorI7is_evenIyENSC_INSA_10device_ptrIyEEEESG_SG_EENS0_5tupleIJPySJ_EEENSR_IJSJ_SJ_EEES6_PlJS6_EEE10hipError_tPvRmT3_T4_T5_T6_T7_T9_mT8_P12ihipStream_tbDpT10_ENKUlT_T0_E_clISt17integral_constantIbLb0EES1F_EEDaS1A_S1B_EUlS1A_E_NS1_11comp_targetILNS1_3genE2ELNS1_11target_archE906ELNS1_3gpuE6ELNS1_3repE0EEENS1_30default_config_static_selectorELNS0_4arch9wavefront6targetE1EEEvT1_,@function
_ZN7rocprim17ROCPRIM_400000_NS6detail17trampoline_kernelINS0_14default_configENS1_25partition_config_selectorILNS1_17partition_subalgoE2EyNS0_10empty_typeEbEEZZNS1_14partition_implILS5_2ELb0ES3_jN6thrust23THRUST_200600_302600_NS6detail15normal_iteratorINSA_7pointerIyNSA_11hip_rocprim3tagENSA_11use_defaultESG_EEEEPS6_NSA_18transform_iteratorI7is_evenIyENSC_INSA_10device_ptrIyEEEESG_SG_EENS0_5tupleIJPySJ_EEENSR_IJSJ_SJ_EEES6_PlJS6_EEE10hipError_tPvRmT3_T4_T5_T6_T7_T9_mT8_P12ihipStream_tbDpT10_ENKUlT_T0_E_clISt17integral_constantIbLb0EES1F_EEDaS1A_S1B_EUlS1A_E_NS1_11comp_targetILNS1_3genE2ELNS1_11target_archE906ELNS1_3gpuE6ELNS1_3repE0EEENS1_30default_config_static_selectorELNS0_4arch9wavefront6targetE1EEEvT1_: ; @_ZN7rocprim17ROCPRIM_400000_NS6detail17trampoline_kernelINS0_14default_configENS1_25partition_config_selectorILNS1_17partition_subalgoE2EyNS0_10empty_typeEbEEZZNS1_14partition_implILS5_2ELb0ES3_jN6thrust23THRUST_200600_302600_NS6detail15normal_iteratorINSA_7pointerIyNSA_11hip_rocprim3tagENSA_11use_defaultESG_EEEEPS6_NSA_18transform_iteratorI7is_evenIyENSC_INSA_10device_ptrIyEEEESG_SG_EENS0_5tupleIJPySJ_EEENSR_IJSJ_SJ_EEES6_PlJS6_EEE10hipError_tPvRmT3_T4_T5_T6_T7_T9_mT8_P12ihipStream_tbDpT10_ENKUlT_T0_E_clISt17integral_constantIbLb0EES1F_EEDaS1A_S1B_EUlS1A_E_NS1_11comp_targetILNS1_3genE2ELNS1_11target_archE906ELNS1_3gpuE6ELNS1_3repE0EEENS1_30default_config_static_selectorELNS0_4arch9wavefront6targetE1EEEvT1_
; %bb.0:
	.section	.rodata,"a",@progbits
	.p2align	6, 0x0
	.amdhsa_kernel _ZN7rocprim17ROCPRIM_400000_NS6detail17trampoline_kernelINS0_14default_configENS1_25partition_config_selectorILNS1_17partition_subalgoE2EyNS0_10empty_typeEbEEZZNS1_14partition_implILS5_2ELb0ES3_jN6thrust23THRUST_200600_302600_NS6detail15normal_iteratorINSA_7pointerIyNSA_11hip_rocprim3tagENSA_11use_defaultESG_EEEEPS6_NSA_18transform_iteratorI7is_evenIyENSC_INSA_10device_ptrIyEEEESG_SG_EENS0_5tupleIJPySJ_EEENSR_IJSJ_SJ_EEES6_PlJS6_EEE10hipError_tPvRmT3_T4_T5_T6_T7_T9_mT8_P12ihipStream_tbDpT10_ENKUlT_T0_E_clISt17integral_constantIbLb0EES1F_EEDaS1A_S1B_EUlS1A_E_NS1_11comp_targetILNS1_3genE2ELNS1_11target_archE906ELNS1_3gpuE6ELNS1_3repE0EEENS1_30default_config_static_selectorELNS0_4arch9wavefront6targetE1EEEvT1_
		.amdhsa_group_segment_fixed_size 0
		.amdhsa_private_segment_fixed_size 0
		.amdhsa_kernarg_size 128
		.amdhsa_user_sgpr_count 2
		.amdhsa_user_sgpr_dispatch_ptr 0
		.amdhsa_user_sgpr_queue_ptr 0
		.amdhsa_user_sgpr_kernarg_segment_ptr 1
		.amdhsa_user_sgpr_dispatch_id 0
		.amdhsa_user_sgpr_kernarg_preload_length 0
		.amdhsa_user_sgpr_kernarg_preload_offset 0
		.amdhsa_user_sgpr_private_segment_size 0
		.amdhsa_uses_dynamic_stack 0
		.amdhsa_enable_private_segment 0
		.amdhsa_system_sgpr_workgroup_id_x 1
		.amdhsa_system_sgpr_workgroup_id_y 0
		.amdhsa_system_sgpr_workgroup_id_z 0
		.amdhsa_system_sgpr_workgroup_info 0
		.amdhsa_system_vgpr_workitem_id 0
		.amdhsa_next_free_vgpr 1
		.amdhsa_next_free_sgpr 0
		.amdhsa_accum_offset 4
		.amdhsa_reserve_vcc 0
		.amdhsa_float_round_mode_32 0
		.amdhsa_float_round_mode_16_64 0
		.amdhsa_float_denorm_mode_32 3
		.amdhsa_float_denorm_mode_16_64 3
		.amdhsa_dx10_clamp 1
		.amdhsa_ieee_mode 1
		.amdhsa_fp16_overflow 0
		.amdhsa_tg_split 0
		.amdhsa_exception_fp_ieee_invalid_op 0
		.amdhsa_exception_fp_denorm_src 0
		.amdhsa_exception_fp_ieee_div_zero 0
		.amdhsa_exception_fp_ieee_overflow 0
		.amdhsa_exception_fp_ieee_underflow 0
		.amdhsa_exception_fp_ieee_inexact 0
		.amdhsa_exception_int_div_zero 0
	.end_amdhsa_kernel
	.section	.text._ZN7rocprim17ROCPRIM_400000_NS6detail17trampoline_kernelINS0_14default_configENS1_25partition_config_selectorILNS1_17partition_subalgoE2EyNS0_10empty_typeEbEEZZNS1_14partition_implILS5_2ELb0ES3_jN6thrust23THRUST_200600_302600_NS6detail15normal_iteratorINSA_7pointerIyNSA_11hip_rocprim3tagENSA_11use_defaultESG_EEEEPS6_NSA_18transform_iteratorI7is_evenIyENSC_INSA_10device_ptrIyEEEESG_SG_EENS0_5tupleIJPySJ_EEENSR_IJSJ_SJ_EEES6_PlJS6_EEE10hipError_tPvRmT3_T4_T5_T6_T7_T9_mT8_P12ihipStream_tbDpT10_ENKUlT_T0_E_clISt17integral_constantIbLb0EES1F_EEDaS1A_S1B_EUlS1A_E_NS1_11comp_targetILNS1_3genE2ELNS1_11target_archE906ELNS1_3gpuE6ELNS1_3repE0EEENS1_30default_config_static_selectorELNS0_4arch9wavefront6targetE1EEEvT1_,"axG",@progbits,_ZN7rocprim17ROCPRIM_400000_NS6detail17trampoline_kernelINS0_14default_configENS1_25partition_config_selectorILNS1_17partition_subalgoE2EyNS0_10empty_typeEbEEZZNS1_14partition_implILS5_2ELb0ES3_jN6thrust23THRUST_200600_302600_NS6detail15normal_iteratorINSA_7pointerIyNSA_11hip_rocprim3tagENSA_11use_defaultESG_EEEEPS6_NSA_18transform_iteratorI7is_evenIyENSC_INSA_10device_ptrIyEEEESG_SG_EENS0_5tupleIJPySJ_EEENSR_IJSJ_SJ_EEES6_PlJS6_EEE10hipError_tPvRmT3_T4_T5_T6_T7_T9_mT8_P12ihipStream_tbDpT10_ENKUlT_T0_E_clISt17integral_constantIbLb0EES1F_EEDaS1A_S1B_EUlS1A_E_NS1_11comp_targetILNS1_3genE2ELNS1_11target_archE906ELNS1_3gpuE6ELNS1_3repE0EEENS1_30default_config_static_selectorELNS0_4arch9wavefront6targetE1EEEvT1_,comdat
.Lfunc_end2008:
	.size	_ZN7rocprim17ROCPRIM_400000_NS6detail17trampoline_kernelINS0_14default_configENS1_25partition_config_selectorILNS1_17partition_subalgoE2EyNS0_10empty_typeEbEEZZNS1_14partition_implILS5_2ELb0ES3_jN6thrust23THRUST_200600_302600_NS6detail15normal_iteratorINSA_7pointerIyNSA_11hip_rocprim3tagENSA_11use_defaultESG_EEEEPS6_NSA_18transform_iteratorI7is_evenIyENSC_INSA_10device_ptrIyEEEESG_SG_EENS0_5tupleIJPySJ_EEENSR_IJSJ_SJ_EEES6_PlJS6_EEE10hipError_tPvRmT3_T4_T5_T6_T7_T9_mT8_P12ihipStream_tbDpT10_ENKUlT_T0_E_clISt17integral_constantIbLb0EES1F_EEDaS1A_S1B_EUlS1A_E_NS1_11comp_targetILNS1_3genE2ELNS1_11target_archE906ELNS1_3gpuE6ELNS1_3repE0EEENS1_30default_config_static_selectorELNS0_4arch9wavefront6targetE1EEEvT1_, .Lfunc_end2008-_ZN7rocprim17ROCPRIM_400000_NS6detail17trampoline_kernelINS0_14default_configENS1_25partition_config_selectorILNS1_17partition_subalgoE2EyNS0_10empty_typeEbEEZZNS1_14partition_implILS5_2ELb0ES3_jN6thrust23THRUST_200600_302600_NS6detail15normal_iteratorINSA_7pointerIyNSA_11hip_rocprim3tagENSA_11use_defaultESG_EEEEPS6_NSA_18transform_iteratorI7is_evenIyENSC_INSA_10device_ptrIyEEEESG_SG_EENS0_5tupleIJPySJ_EEENSR_IJSJ_SJ_EEES6_PlJS6_EEE10hipError_tPvRmT3_T4_T5_T6_T7_T9_mT8_P12ihipStream_tbDpT10_ENKUlT_T0_E_clISt17integral_constantIbLb0EES1F_EEDaS1A_S1B_EUlS1A_E_NS1_11comp_targetILNS1_3genE2ELNS1_11target_archE906ELNS1_3gpuE6ELNS1_3repE0EEENS1_30default_config_static_selectorELNS0_4arch9wavefront6targetE1EEEvT1_
                                        ; -- End function
	.section	.AMDGPU.csdata,"",@progbits
; Kernel info:
; codeLenInByte = 0
; NumSgprs: 6
; NumVgprs: 0
; NumAgprs: 0
; TotalNumVgprs: 0
; ScratchSize: 0
; MemoryBound: 0
; FloatMode: 240
; IeeeMode: 1
; LDSByteSize: 0 bytes/workgroup (compile time only)
; SGPRBlocks: 0
; VGPRBlocks: 0
; NumSGPRsForWavesPerEU: 6
; NumVGPRsForWavesPerEU: 1
; AccumOffset: 4
; Occupancy: 8
; WaveLimiterHint : 0
; COMPUTE_PGM_RSRC2:SCRATCH_EN: 0
; COMPUTE_PGM_RSRC2:USER_SGPR: 2
; COMPUTE_PGM_RSRC2:TRAP_HANDLER: 0
; COMPUTE_PGM_RSRC2:TGID_X_EN: 1
; COMPUTE_PGM_RSRC2:TGID_Y_EN: 0
; COMPUTE_PGM_RSRC2:TGID_Z_EN: 0
; COMPUTE_PGM_RSRC2:TIDIG_COMP_CNT: 0
; COMPUTE_PGM_RSRC3_GFX90A:ACCUM_OFFSET: 0
; COMPUTE_PGM_RSRC3_GFX90A:TG_SPLIT: 0
	.section	.text._ZN7rocprim17ROCPRIM_400000_NS6detail17trampoline_kernelINS0_14default_configENS1_25partition_config_selectorILNS1_17partition_subalgoE2EyNS0_10empty_typeEbEEZZNS1_14partition_implILS5_2ELb0ES3_jN6thrust23THRUST_200600_302600_NS6detail15normal_iteratorINSA_7pointerIyNSA_11hip_rocprim3tagENSA_11use_defaultESG_EEEEPS6_NSA_18transform_iteratorI7is_evenIyENSC_INSA_10device_ptrIyEEEESG_SG_EENS0_5tupleIJPySJ_EEENSR_IJSJ_SJ_EEES6_PlJS6_EEE10hipError_tPvRmT3_T4_T5_T6_T7_T9_mT8_P12ihipStream_tbDpT10_ENKUlT_T0_E_clISt17integral_constantIbLb0EES1F_EEDaS1A_S1B_EUlS1A_E_NS1_11comp_targetILNS1_3genE10ELNS1_11target_archE1200ELNS1_3gpuE4ELNS1_3repE0EEENS1_30default_config_static_selectorELNS0_4arch9wavefront6targetE1EEEvT1_,"axG",@progbits,_ZN7rocprim17ROCPRIM_400000_NS6detail17trampoline_kernelINS0_14default_configENS1_25partition_config_selectorILNS1_17partition_subalgoE2EyNS0_10empty_typeEbEEZZNS1_14partition_implILS5_2ELb0ES3_jN6thrust23THRUST_200600_302600_NS6detail15normal_iteratorINSA_7pointerIyNSA_11hip_rocprim3tagENSA_11use_defaultESG_EEEEPS6_NSA_18transform_iteratorI7is_evenIyENSC_INSA_10device_ptrIyEEEESG_SG_EENS0_5tupleIJPySJ_EEENSR_IJSJ_SJ_EEES6_PlJS6_EEE10hipError_tPvRmT3_T4_T5_T6_T7_T9_mT8_P12ihipStream_tbDpT10_ENKUlT_T0_E_clISt17integral_constantIbLb0EES1F_EEDaS1A_S1B_EUlS1A_E_NS1_11comp_targetILNS1_3genE10ELNS1_11target_archE1200ELNS1_3gpuE4ELNS1_3repE0EEENS1_30default_config_static_selectorELNS0_4arch9wavefront6targetE1EEEvT1_,comdat
	.protected	_ZN7rocprim17ROCPRIM_400000_NS6detail17trampoline_kernelINS0_14default_configENS1_25partition_config_selectorILNS1_17partition_subalgoE2EyNS0_10empty_typeEbEEZZNS1_14partition_implILS5_2ELb0ES3_jN6thrust23THRUST_200600_302600_NS6detail15normal_iteratorINSA_7pointerIyNSA_11hip_rocprim3tagENSA_11use_defaultESG_EEEEPS6_NSA_18transform_iteratorI7is_evenIyENSC_INSA_10device_ptrIyEEEESG_SG_EENS0_5tupleIJPySJ_EEENSR_IJSJ_SJ_EEES6_PlJS6_EEE10hipError_tPvRmT3_T4_T5_T6_T7_T9_mT8_P12ihipStream_tbDpT10_ENKUlT_T0_E_clISt17integral_constantIbLb0EES1F_EEDaS1A_S1B_EUlS1A_E_NS1_11comp_targetILNS1_3genE10ELNS1_11target_archE1200ELNS1_3gpuE4ELNS1_3repE0EEENS1_30default_config_static_selectorELNS0_4arch9wavefront6targetE1EEEvT1_ ; -- Begin function _ZN7rocprim17ROCPRIM_400000_NS6detail17trampoline_kernelINS0_14default_configENS1_25partition_config_selectorILNS1_17partition_subalgoE2EyNS0_10empty_typeEbEEZZNS1_14partition_implILS5_2ELb0ES3_jN6thrust23THRUST_200600_302600_NS6detail15normal_iteratorINSA_7pointerIyNSA_11hip_rocprim3tagENSA_11use_defaultESG_EEEEPS6_NSA_18transform_iteratorI7is_evenIyENSC_INSA_10device_ptrIyEEEESG_SG_EENS0_5tupleIJPySJ_EEENSR_IJSJ_SJ_EEES6_PlJS6_EEE10hipError_tPvRmT3_T4_T5_T6_T7_T9_mT8_P12ihipStream_tbDpT10_ENKUlT_T0_E_clISt17integral_constantIbLb0EES1F_EEDaS1A_S1B_EUlS1A_E_NS1_11comp_targetILNS1_3genE10ELNS1_11target_archE1200ELNS1_3gpuE4ELNS1_3repE0EEENS1_30default_config_static_selectorELNS0_4arch9wavefront6targetE1EEEvT1_
	.globl	_ZN7rocprim17ROCPRIM_400000_NS6detail17trampoline_kernelINS0_14default_configENS1_25partition_config_selectorILNS1_17partition_subalgoE2EyNS0_10empty_typeEbEEZZNS1_14partition_implILS5_2ELb0ES3_jN6thrust23THRUST_200600_302600_NS6detail15normal_iteratorINSA_7pointerIyNSA_11hip_rocprim3tagENSA_11use_defaultESG_EEEEPS6_NSA_18transform_iteratorI7is_evenIyENSC_INSA_10device_ptrIyEEEESG_SG_EENS0_5tupleIJPySJ_EEENSR_IJSJ_SJ_EEES6_PlJS6_EEE10hipError_tPvRmT3_T4_T5_T6_T7_T9_mT8_P12ihipStream_tbDpT10_ENKUlT_T0_E_clISt17integral_constantIbLb0EES1F_EEDaS1A_S1B_EUlS1A_E_NS1_11comp_targetILNS1_3genE10ELNS1_11target_archE1200ELNS1_3gpuE4ELNS1_3repE0EEENS1_30default_config_static_selectorELNS0_4arch9wavefront6targetE1EEEvT1_
	.p2align	8
	.type	_ZN7rocprim17ROCPRIM_400000_NS6detail17trampoline_kernelINS0_14default_configENS1_25partition_config_selectorILNS1_17partition_subalgoE2EyNS0_10empty_typeEbEEZZNS1_14partition_implILS5_2ELb0ES3_jN6thrust23THRUST_200600_302600_NS6detail15normal_iteratorINSA_7pointerIyNSA_11hip_rocprim3tagENSA_11use_defaultESG_EEEEPS6_NSA_18transform_iteratorI7is_evenIyENSC_INSA_10device_ptrIyEEEESG_SG_EENS0_5tupleIJPySJ_EEENSR_IJSJ_SJ_EEES6_PlJS6_EEE10hipError_tPvRmT3_T4_T5_T6_T7_T9_mT8_P12ihipStream_tbDpT10_ENKUlT_T0_E_clISt17integral_constantIbLb0EES1F_EEDaS1A_S1B_EUlS1A_E_NS1_11comp_targetILNS1_3genE10ELNS1_11target_archE1200ELNS1_3gpuE4ELNS1_3repE0EEENS1_30default_config_static_selectorELNS0_4arch9wavefront6targetE1EEEvT1_,@function
_ZN7rocprim17ROCPRIM_400000_NS6detail17trampoline_kernelINS0_14default_configENS1_25partition_config_selectorILNS1_17partition_subalgoE2EyNS0_10empty_typeEbEEZZNS1_14partition_implILS5_2ELb0ES3_jN6thrust23THRUST_200600_302600_NS6detail15normal_iteratorINSA_7pointerIyNSA_11hip_rocprim3tagENSA_11use_defaultESG_EEEEPS6_NSA_18transform_iteratorI7is_evenIyENSC_INSA_10device_ptrIyEEEESG_SG_EENS0_5tupleIJPySJ_EEENSR_IJSJ_SJ_EEES6_PlJS6_EEE10hipError_tPvRmT3_T4_T5_T6_T7_T9_mT8_P12ihipStream_tbDpT10_ENKUlT_T0_E_clISt17integral_constantIbLb0EES1F_EEDaS1A_S1B_EUlS1A_E_NS1_11comp_targetILNS1_3genE10ELNS1_11target_archE1200ELNS1_3gpuE4ELNS1_3repE0EEENS1_30default_config_static_selectorELNS0_4arch9wavefront6targetE1EEEvT1_: ; @_ZN7rocprim17ROCPRIM_400000_NS6detail17trampoline_kernelINS0_14default_configENS1_25partition_config_selectorILNS1_17partition_subalgoE2EyNS0_10empty_typeEbEEZZNS1_14partition_implILS5_2ELb0ES3_jN6thrust23THRUST_200600_302600_NS6detail15normal_iteratorINSA_7pointerIyNSA_11hip_rocprim3tagENSA_11use_defaultESG_EEEEPS6_NSA_18transform_iteratorI7is_evenIyENSC_INSA_10device_ptrIyEEEESG_SG_EENS0_5tupleIJPySJ_EEENSR_IJSJ_SJ_EEES6_PlJS6_EEE10hipError_tPvRmT3_T4_T5_T6_T7_T9_mT8_P12ihipStream_tbDpT10_ENKUlT_T0_E_clISt17integral_constantIbLb0EES1F_EEDaS1A_S1B_EUlS1A_E_NS1_11comp_targetILNS1_3genE10ELNS1_11target_archE1200ELNS1_3gpuE4ELNS1_3repE0EEENS1_30default_config_static_selectorELNS0_4arch9wavefront6targetE1EEEvT1_
; %bb.0:
	.section	.rodata,"a",@progbits
	.p2align	6, 0x0
	.amdhsa_kernel _ZN7rocprim17ROCPRIM_400000_NS6detail17trampoline_kernelINS0_14default_configENS1_25partition_config_selectorILNS1_17partition_subalgoE2EyNS0_10empty_typeEbEEZZNS1_14partition_implILS5_2ELb0ES3_jN6thrust23THRUST_200600_302600_NS6detail15normal_iteratorINSA_7pointerIyNSA_11hip_rocprim3tagENSA_11use_defaultESG_EEEEPS6_NSA_18transform_iteratorI7is_evenIyENSC_INSA_10device_ptrIyEEEESG_SG_EENS0_5tupleIJPySJ_EEENSR_IJSJ_SJ_EEES6_PlJS6_EEE10hipError_tPvRmT3_T4_T5_T6_T7_T9_mT8_P12ihipStream_tbDpT10_ENKUlT_T0_E_clISt17integral_constantIbLb0EES1F_EEDaS1A_S1B_EUlS1A_E_NS1_11comp_targetILNS1_3genE10ELNS1_11target_archE1200ELNS1_3gpuE4ELNS1_3repE0EEENS1_30default_config_static_selectorELNS0_4arch9wavefront6targetE1EEEvT1_
		.amdhsa_group_segment_fixed_size 0
		.amdhsa_private_segment_fixed_size 0
		.amdhsa_kernarg_size 128
		.amdhsa_user_sgpr_count 2
		.amdhsa_user_sgpr_dispatch_ptr 0
		.amdhsa_user_sgpr_queue_ptr 0
		.amdhsa_user_sgpr_kernarg_segment_ptr 1
		.amdhsa_user_sgpr_dispatch_id 0
		.amdhsa_user_sgpr_kernarg_preload_length 0
		.amdhsa_user_sgpr_kernarg_preload_offset 0
		.amdhsa_user_sgpr_private_segment_size 0
		.amdhsa_uses_dynamic_stack 0
		.amdhsa_enable_private_segment 0
		.amdhsa_system_sgpr_workgroup_id_x 1
		.amdhsa_system_sgpr_workgroup_id_y 0
		.amdhsa_system_sgpr_workgroup_id_z 0
		.amdhsa_system_sgpr_workgroup_info 0
		.amdhsa_system_vgpr_workitem_id 0
		.amdhsa_next_free_vgpr 1
		.amdhsa_next_free_sgpr 0
		.amdhsa_accum_offset 4
		.amdhsa_reserve_vcc 0
		.amdhsa_float_round_mode_32 0
		.amdhsa_float_round_mode_16_64 0
		.amdhsa_float_denorm_mode_32 3
		.amdhsa_float_denorm_mode_16_64 3
		.amdhsa_dx10_clamp 1
		.amdhsa_ieee_mode 1
		.amdhsa_fp16_overflow 0
		.amdhsa_tg_split 0
		.amdhsa_exception_fp_ieee_invalid_op 0
		.amdhsa_exception_fp_denorm_src 0
		.amdhsa_exception_fp_ieee_div_zero 0
		.amdhsa_exception_fp_ieee_overflow 0
		.amdhsa_exception_fp_ieee_underflow 0
		.amdhsa_exception_fp_ieee_inexact 0
		.amdhsa_exception_int_div_zero 0
	.end_amdhsa_kernel
	.section	.text._ZN7rocprim17ROCPRIM_400000_NS6detail17trampoline_kernelINS0_14default_configENS1_25partition_config_selectorILNS1_17partition_subalgoE2EyNS0_10empty_typeEbEEZZNS1_14partition_implILS5_2ELb0ES3_jN6thrust23THRUST_200600_302600_NS6detail15normal_iteratorINSA_7pointerIyNSA_11hip_rocprim3tagENSA_11use_defaultESG_EEEEPS6_NSA_18transform_iteratorI7is_evenIyENSC_INSA_10device_ptrIyEEEESG_SG_EENS0_5tupleIJPySJ_EEENSR_IJSJ_SJ_EEES6_PlJS6_EEE10hipError_tPvRmT3_T4_T5_T6_T7_T9_mT8_P12ihipStream_tbDpT10_ENKUlT_T0_E_clISt17integral_constantIbLb0EES1F_EEDaS1A_S1B_EUlS1A_E_NS1_11comp_targetILNS1_3genE10ELNS1_11target_archE1200ELNS1_3gpuE4ELNS1_3repE0EEENS1_30default_config_static_selectorELNS0_4arch9wavefront6targetE1EEEvT1_,"axG",@progbits,_ZN7rocprim17ROCPRIM_400000_NS6detail17trampoline_kernelINS0_14default_configENS1_25partition_config_selectorILNS1_17partition_subalgoE2EyNS0_10empty_typeEbEEZZNS1_14partition_implILS5_2ELb0ES3_jN6thrust23THRUST_200600_302600_NS6detail15normal_iteratorINSA_7pointerIyNSA_11hip_rocprim3tagENSA_11use_defaultESG_EEEEPS6_NSA_18transform_iteratorI7is_evenIyENSC_INSA_10device_ptrIyEEEESG_SG_EENS0_5tupleIJPySJ_EEENSR_IJSJ_SJ_EEES6_PlJS6_EEE10hipError_tPvRmT3_T4_T5_T6_T7_T9_mT8_P12ihipStream_tbDpT10_ENKUlT_T0_E_clISt17integral_constantIbLb0EES1F_EEDaS1A_S1B_EUlS1A_E_NS1_11comp_targetILNS1_3genE10ELNS1_11target_archE1200ELNS1_3gpuE4ELNS1_3repE0EEENS1_30default_config_static_selectorELNS0_4arch9wavefront6targetE1EEEvT1_,comdat
.Lfunc_end2009:
	.size	_ZN7rocprim17ROCPRIM_400000_NS6detail17trampoline_kernelINS0_14default_configENS1_25partition_config_selectorILNS1_17partition_subalgoE2EyNS0_10empty_typeEbEEZZNS1_14partition_implILS5_2ELb0ES3_jN6thrust23THRUST_200600_302600_NS6detail15normal_iteratorINSA_7pointerIyNSA_11hip_rocprim3tagENSA_11use_defaultESG_EEEEPS6_NSA_18transform_iteratorI7is_evenIyENSC_INSA_10device_ptrIyEEEESG_SG_EENS0_5tupleIJPySJ_EEENSR_IJSJ_SJ_EEES6_PlJS6_EEE10hipError_tPvRmT3_T4_T5_T6_T7_T9_mT8_P12ihipStream_tbDpT10_ENKUlT_T0_E_clISt17integral_constantIbLb0EES1F_EEDaS1A_S1B_EUlS1A_E_NS1_11comp_targetILNS1_3genE10ELNS1_11target_archE1200ELNS1_3gpuE4ELNS1_3repE0EEENS1_30default_config_static_selectorELNS0_4arch9wavefront6targetE1EEEvT1_, .Lfunc_end2009-_ZN7rocprim17ROCPRIM_400000_NS6detail17trampoline_kernelINS0_14default_configENS1_25partition_config_selectorILNS1_17partition_subalgoE2EyNS0_10empty_typeEbEEZZNS1_14partition_implILS5_2ELb0ES3_jN6thrust23THRUST_200600_302600_NS6detail15normal_iteratorINSA_7pointerIyNSA_11hip_rocprim3tagENSA_11use_defaultESG_EEEEPS6_NSA_18transform_iteratorI7is_evenIyENSC_INSA_10device_ptrIyEEEESG_SG_EENS0_5tupleIJPySJ_EEENSR_IJSJ_SJ_EEES6_PlJS6_EEE10hipError_tPvRmT3_T4_T5_T6_T7_T9_mT8_P12ihipStream_tbDpT10_ENKUlT_T0_E_clISt17integral_constantIbLb0EES1F_EEDaS1A_S1B_EUlS1A_E_NS1_11comp_targetILNS1_3genE10ELNS1_11target_archE1200ELNS1_3gpuE4ELNS1_3repE0EEENS1_30default_config_static_selectorELNS0_4arch9wavefront6targetE1EEEvT1_
                                        ; -- End function
	.section	.AMDGPU.csdata,"",@progbits
; Kernel info:
; codeLenInByte = 0
; NumSgprs: 6
; NumVgprs: 0
; NumAgprs: 0
; TotalNumVgprs: 0
; ScratchSize: 0
; MemoryBound: 0
; FloatMode: 240
; IeeeMode: 1
; LDSByteSize: 0 bytes/workgroup (compile time only)
; SGPRBlocks: 0
; VGPRBlocks: 0
; NumSGPRsForWavesPerEU: 6
; NumVGPRsForWavesPerEU: 1
; AccumOffset: 4
; Occupancy: 8
; WaveLimiterHint : 0
; COMPUTE_PGM_RSRC2:SCRATCH_EN: 0
; COMPUTE_PGM_RSRC2:USER_SGPR: 2
; COMPUTE_PGM_RSRC2:TRAP_HANDLER: 0
; COMPUTE_PGM_RSRC2:TGID_X_EN: 1
; COMPUTE_PGM_RSRC2:TGID_Y_EN: 0
; COMPUTE_PGM_RSRC2:TGID_Z_EN: 0
; COMPUTE_PGM_RSRC2:TIDIG_COMP_CNT: 0
; COMPUTE_PGM_RSRC3_GFX90A:ACCUM_OFFSET: 0
; COMPUTE_PGM_RSRC3_GFX90A:TG_SPLIT: 0
	.section	.text._ZN7rocprim17ROCPRIM_400000_NS6detail17trampoline_kernelINS0_14default_configENS1_25partition_config_selectorILNS1_17partition_subalgoE2EyNS0_10empty_typeEbEEZZNS1_14partition_implILS5_2ELb0ES3_jN6thrust23THRUST_200600_302600_NS6detail15normal_iteratorINSA_7pointerIyNSA_11hip_rocprim3tagENSA_11use_defaultESG_EEEEPS6_NSA_18transform_iteratorI7is_evenIyENSC_INSA_10device_ptrIyEEEESG_SG_EENS0_5tupleIJPySJ_EEENSR_IJSJ_SJ_EEES6_PlJS6_EEE10hipError_tPvRmT3_T4_T5_T6_T7_T9_mT8_P12ihipStream_tbDpT10_ENKUlT_T0_E_clISt17integral_constantIbLb0EES1F_EEDaS1A_S1B_EUlS1A_E_NS1_11comp_targetILNS1_3genE9ELNS1_11target_archE1100ELNS1_3gpuE3ELNS1_3repE0EEENS1_30default_config_static_selectorELNS0_4arch9wavefront6targetE1EEEvT1_,"axG",@progbits,_ZN7rocprim17ROCPRIM_400000_NS6detail17trampoline_kernelINS0_14default_configENS1_25partition_config_selectorILNS1_17partition_subalgoE2EyNS0_10empty_typeEbEEZZNS1_14partition_implILS5_2ELb0ES3_jN6thrust23THRUST_200600_302600_NS6detail15normal_iteratorINSA_7pointerIyNSA_11hip_rocprim3tagENSA_11use_defaultESG_EEEEPS6_NSA_18transform_iteratorI7is_evenIyENSC_INSA_10device_ptrIyEEEESG_SG_EENS0_5tupleIJPySJ_EEENSR_IJSJ_SJ_EEES6_PlJS6_EEE10hipError_tPvRmT3_T4_T5_T6_T7_T9_mT8_P12ihipStream_tbDpT10_ENKUlT_T0_E_clISt17integral_constantIbLb0EES1F_EEDaS1A_S1B_EUlS1A_E_NS1_11comp_targetILNS1_3genE9ELNS1_11target_archE1100ELNS1_3gpuE3ELNS1_3repE0EEENS1_30default_config_static_selectorELNS0_4arch9wavefront6targetE1EEEvT1_,comdat
	.protected	_ZN7rocprim17ROCPRIM_400000_NS6detail17trampoline_kernelINS0_14default_configENS1_25partition_config_selectorILNS1_17partition_subalgoE2EyNS0_10empty_typeEbEEZZNS1_14partition_implILS5_2ELb0ES3_jN6thrust23THRUST_200600_302600_NS6detail15normal_iteratorINSA_7pointerIyNSA_11hip_rocprim3tagENSA_11use_defaultESG_EEEEPS6_NSA_18transform_iteratorI7is_evenIyENSC_INSA_10device_ptrIyEEEESG_SG_EENS0_5tupleIJPySJ_EEENSR_IJSJ_SJ_EEES6_PlJS6_EEE10hipError_tPvRmT3_T4_T5_T6_T7_T9_mT8_P12ihipStream_tbDpT10_ENKUlT_T0_E_clISt17integral_constantIbLb0EES1F_EEDaS1A_S1B_EUlS1A_E_NS1_11comp_targetILNS1_3genE9ELNS1_11target_archE1100ELNS1_3gpuE3ELNS1_3repE0EEENS1_30default_config_static_selectorELNS0_4arch9wavefront6targetE1EEEvT1_ ; -- Begin function _ZN7rocprim17ROCPRIM_400000_NS6detail17trampoline_kernelINS0_14default_configENS1_25partition_config_selectorILNS1_17partition_subalgoE2EyNS0_10empty_typeEbEEZZNS1_14partition_implILS5_2ELb0ES3_jN6thrust23THRUST_200600_302600_NS6detail15normal_iteratorINSA_7pointerIyNSA_11hip_rocprim3tagENSA_11use_defaultESG_EEEEPS6_NSA_18transform_iteratorI7is_evenIyENSC_INSA_10device_ptrIyEEEESG_SG_EENS0_5tupleIJPySJ_EEENSR_IJSJ_SJ_EEES6_PlJS6_EEE10hipError_tPvRmT3_T4_T5_T6_T7_T9_mT8_P12ihipStream_tbDpT10_ENKUlT_T0_E_clISt17integral_constantIbLb0EES1F_EEDaS1A_S1B_EUlS1A_E_NS1_11comp_targetILNS1_3genE9ELNS1_11target_archE1100ELNS1_3gpuE3ELNS1_3repE0EEENS1_30default_config_static_selectorELNS0_4arch9wavefront6targetE1EEEvT1_
	.globl	_ZN7rocprim17ROCPRIM_400000_NS6detail17trampoline_kernelINS0_14default_configENS1_25partition_config_selectorILNS1_17partition_subalgoE2EyNS0_10empty_typeEbEEZZNS1_14partition_implILS5_2ELb0ES3_jN6thrust23THRUST_200600_302600_NS6detail15normal_iteratorINSA_7pointerIyNSA_11hip_rocprim3tagENSA_11use_defaultESG_EEEEPS6_NSA_18transform_iteratorI7is_evenIyENSC_INSA_10device_ptrIyEEEESG_SG_EENS0_5tupleIJPySJ_EEENSR_IJSJ_SJ_EEES6_PlJS6_EEE10hipError_tPvRmT3_T4_T5_T6_T7_T9_mT8_P12ihipStream_tbDpT10_ENKUlT_T0_E_clISt17integral_constantIbLb0EES1F_EEDaS1A_S1B_EUlS1A_E_NS1_11comp_targetILNS1_3genE9ELNS1_11target_archE1100ELNS1_3gpuE3ELNS1_3repE0EEENS1_30default_config_static_selectorELNS0_4arch9wavefront6targetE1EEEvT1_
	.p2align	8
	.type	_ZN7rocprim17ROCPRIM_400000_NS6detail17trampoline_kernelINS0_14default_configENS1_25partition_config_selectorILNS1_17partition_subalgoE2EyNS0_10empty_typeEbEEZZNS1_14partition_implILS5_2ELb0ES3_jN6thrust23THRUST_200600_302600_NS6detail15normal_iteratorINSA_7pointerIyNSA_11hip_rocprim3tagENSA_11use_defaultESG_EEEEPS6_NSA_18transform_iteratorI7is_evenIyENSC_INSA_10device_ptrIyEEEESG_SG_EENS0_5tupleIJPySJ_EEENSR_IJSJ_SJ_EEES6_PlJS6_EEE10hipError_tPvRmT3_T4_T5_T6_T7_T9_mT8_P12ihipStream_tbDpT10_ENKUlT_T0_E_clISt17integral_constantIbLb0EES1F_EEDaS1A_S1B_EUlS1A_E_NS1_11comp_targetILNS1_3genE9ELNS1_11target_archE1100ELNS1_3gpuE3ELNS1_3repE0EEENS1_30default_config_static_selectorELNS0_4arch9wavefront6targetE1EEEvT1_,@function
_ZN7rocprim17ROCPRIM_400000_NS6detail17trampoline_kernelINS0_14default_configENS1_25partition_config_selectorILNS1_17partition_subalgoE2EyNS0_10empty_typeEbEEZZNS1_14partition_implILS5_2ELb0ES3_jN6thrust23THRUST_200600_302600_NS6detail15normal_iteratorINSA_7pointerIyNSA_11hip_rocprim3tagENSA_11use_defaultESG_EEEEPS6_NSA_18transform_iteratorI7is_evenIyENSC_INSA_10device_ptrIyEEEESG_SG_EENS0_5tupleIJPySJ_EEENSR_IJSJ_SJ_EEES6_PlJS6_EEE10hipError_tPvRmT3_T4_T5_T6_T7_T9_mT8_P12ihipStream_tbDpT10_ENKUlT_T0_E_clISt17integral_constantIbLb0EES1F_EEDaS1A_S1B_EUlS1A_E_NS1_11comp_targetILNS1_3genE9ELNS1_11target_archE1100ELNS1_3gpuE3ELNS1_3repE0EEENS1_30default_config_static_selectorELNS0_4arch9wavefront6targetE1EEEvT1_: ; @_ZN7rocprim17ROCPRIM_400000_NS6detail17trampoline_kernelINS0_14default_configENS1_25partition_config_selectorILNS1_17partition_subalgoE2EyNS0_10empty_typeEbEEZZNS1_14partition_implILS5_2ELb0ES3_jN6thrust23THRUST_200600_302600_NS6detail15normal_iteratorINSA_7pointerIyNSA_11hip_rocprim3tagENSA_11use_defaultESG_EEEEPS6_NSA_18transform_iteratorI7is_evenIyENSC_INSA_10device_ptrIyEEEESG_SG_EENS0_5tupleIJPySJ_EEENSR_IJSJ_SJ_EEES6_PlJS6_EEE10hipError_tPvRmT3_T4_T5_T6_T7_T9_mT8_P12ihipStream_tbDpT10_ENKUlT_T0_E_clISt17integral_constantIbLb0EES1F_EEDaS1A_S1B_EUlS1A_E_NS1_11comp_targetILNS1_3genE9ELNS1_11target_archE1100ELNS1_3gpuE3ELNS1_3repE0EEENS1_30default_config_static_selectorELNS0_4arch9wavefront6targetE1EEEvT1_
; %bb.0:
	.section	.rodata,"a",@progbits
	.p2align	6, 0x0
	.amdhsa_kernel _ZN7rocprim17ROCPRIM_400000_NS6detail17trampoline_kernelINS0_14default_configENS1_25partition_config_selectorILNS1_17partition_subalgoE2EyNS0_10empty_typeEbEEZZNS1_14partition_implILS5_2ELb0ES3_jN6thrust23THRUST_200600_302600_NS6detail15normal_iteratorINSA_7pointerIyNSA_11hip_rocprim3tagENSA_11use_defaultESG_EEEEPS6_NSA_18transform_iteratorI7is_evenIyENSC_INSA_10device_ptrIyEEEESG_SG_EENS0_5tupleIJPySJ_EEENSR_IJSJ_SJ_EEES6_PlJS6_EEE10hipError_tPvRmT3_T4_T5_T6_T7_T9_mT8_P12ihipStream_tbDpT10_ENKUlT_T0_E_clISt17integral_constantIbLb0EES1F_EEDaS1A_S1B_EUlS1A_E_NS1_11comp_targetILNS1_3genE9ELNS1_11target_archE1100ELNS1_3gpuE3ELNS1_3repE0EEENS1_30default_config_static_selectorELNS0_4arch9wavefront6targetE1EEEvT1_
		.amdhsa_group_segment_fixed_size 0
		.amdhsa_private_segment_fixed_size 0
		.amdhsa_kernarg_size 128
		.amdhsa_user_sgpr_count 2
		.amdhsa_user_sgpr_dispatch_ptr 0
		.amdhsa_user_sgpr_queue_ptr 0
		.amdhsa_user_sgpr_kernarg_segment_ptr 1
		.amdhsa_user_sgpr_dispatch_id 0
		.amdhsa_user_sgpr_kernarg_preload_length 0
		.amdhsa_user_sgpr_kernarg_preload_offset 0
		.amdhsa_user_sgpr_private_segment_size 0
		.amdhsa_uses_dynamic_stack 0
		.amdhsa_enable_private_segment 0
		.amdhsa_system_sgpr_workgroup_id_x 1
		.amdhsa_system_sgpr_workgroup_id_y 0
		.amdhsa_system_sgpr_workgroup_id_z 0
		.amdhsa_system_sgpr_workgroup_info 0
		.amdhsa_system_vgpr_workitem_id 0
		.amdhsa_next_free_vgpr 1
		.amdhsa_next_free_sgpr 0
		.amdhsa_accum_offset 4
		.amdhsa_reserve_vcc 0
		.amdhsa_float_round_mode_32 0
		.amdhsa_float_round_mode_16_64 0
		.amdhsa_float_denorm_mode_32 3
		.amdhsa_float_denorm_mode_16_64 3
		.amdhsa_dx10_clamp 1
		.amdhsa_ieee_mode 1
		.amdhsa_fp16_overflow 0
		.amdhsa_tg_split 0
		.amdhsa_exception_fp_ieee_invalid_op 0
		.amdhsa_exception_fp_denorm_src 0
		.amdhsa_exception_fp_ieee_div_zero 0
		.amdhsa_exception_fp_ieee_overflow 0
		.amdhsa_exception_fp_ieee_underflow 0
		.amdhsa_exception_fp_ieee_inexact 0
		.amdhsa_exception_int_div_zero 0
	.end_amdhsa_kernel
	.section	.text._ZN7rocprim17ROCPRIM_400000_NS6detail17trampoline_kernelINS0_14default_configENS1_25partition_config_selectorILNS1_17partition_subalgoE2EyNS0_10empty_typeEbEEZZNS1_14partition_implILS5_2ELb0ES3_jN6thrust23THRUST_200600_302600_NS6detail15normal_iteratorINSA_7pointerIyNSA_11hip_rocprim3tagENSA_11use_defaultESG_EEEEPS6_NSA_18transform_iteratorI7is_evenIyENSC_INSA_10device_ptrIyEEEESG_SG_EENS0_5tupleIJPySJ_EEENSR_IJSJ_SJ_EEES6_PlJS6_EEE10hipError_tPvRmT3_T4_T5_T6_T7_T9_mT8_P12ihipStream_tbDpT10_ENKUlT_T0_E_clISt17integral_constantIbLb0EES1F_EEDaS1A_S1B_EUlS1A_E_NS1_11comp_targetILNS1_3genE9ELNS1_11target_archE1100ELNS1_3gpuE3ELNS1_3repE0EEENS1_30default_config_static_selectorELNS0_4arch9wavefront6targetE1EEEvT1_,"axG",@progbits,_ZN7rocprim17ROCPRIM_400000_NS6detail17trampoline_kernelINS0_14default_configENS1_25partition_config_selectorILNS1_17partition_subalgoE2EyNS0_10empty_typeEbEEZZNS1_14partition_implILS5_2ELb0ES3_jN6thrust23THRUST_200600_302600_NS6detail15normal_iteratorINSA_7pointerIyNSA_11hip_rocprim3tagENSA_11use_defaultESG_EEEEPS6_NSA_18transform_iteratorI7is_evenIyENSC_INSA_10device_ptrIyEEEESG_SG_EENS0_5tupleIJPySJ_EEENSR_IJSJ_SJ_EEES6_PlJS6_EEE10hipError_tPvRmT3_T4_T5_T6_T7_T9_mT8_P12ihipStream_tbDpT10_ENKUlT_T0_E_clISt17integral_constantIbLb0EES1F_EEDaS1A_S1B_EUlS1A_E_NS1_11comp_targetILNS1_3genE9ELNS1_11target_archE1100ELNS1_3gpuE3ELNS1_3repE0EEENS1_30default_config_static_selectorELNS0_4arch9wavefront6targetE1EEEvT1_,comdat
.Lfunc_end2010:
	.size	_ZN7rocprim17ROCPRIM_400000_NS6detail17trampoline_kernelINS0_14default_configENS1_25partition_config_selectorILNS1_17partition_subalgoE2EyNS0_10empty_typeEbEEZZNS1_14partition_implILS5_2ELb0ES3_jN6thrust23THRUST_200600_302600_NS6detail15normal_iteratorINSA_7pointerIyNSA_11hip_rocprim3tagENSA_11use_defaultESG_EEEEPS6_NSA_18transform_iteratorI7is_evenIyENSC_INSA_10device_ptrIyEEEESG_SG_EENS0_5tupleIJPySJ_EEENSR_IJSJ_SJ_EEES6_PlJS6_EEE10hipError_tPvRmT3_T4_T5_T6_T7_T9_mT8_P12ihipStream_tbDpT10_ENKUlT_T0_E_clISt17integral_constantIbLb0EES1F_EEDaS1A_S1B_EUlS1A_E_NS1_11comp_targetILNS1_3genE9ELNS1_11target_archE1100ELNS1_3gpuE3ELNS1_3repE0EEENS1_30default_config_static_selectorELNS0_4arch9wavefront6targetE1EEEvT1_, .Lfunc_end2010-_ZN7rocprim17ROCPRIM_400000_NS6detail17trampoline_kernelINS0_14default_configENS1_25partition_config_selectorILNS1_17partition_subalgoE2EyNS0_10empty_typeEbEEZZNS1_14partition_implILS5_2ELb0ES3_jN6thrust23THRUST_200600_302600_NS6detail15normal_iteratorINSA_7pointerIyNSA_11hip_rocprim3tagENSA_11use_defaultESG_EEEEPS6_NSA_18transform_iteratorI7is_evenIyENSC_INSA_10device_ptrIyEEEESG_SG_EENS0_5tupleIJPySJ_EEENSR_IJSJ_SJ_EEES6_PlJS6_EEE10hipError_tPvRmT3_T4_T5_T6_T7_T9_mT8_P12ihipStream_tbDpT10_ENKUlT_T0_E_clISt17integral_constantIbLb0EES1F_EEDaS1A_S1B_EUlS1A_E_NS1_11comp_targetILNS1_3genE9ELNS1_11target_archE1100ELNS1_3gpuE3ELNS1_3repE0EEENS1_30default_config_static_selectorELNS0_4arch9wavefront6targetE1EEEvT1_
                                        ; -- End function
	.section	.AMDGPU.csdata,"",@progbits
; Kernel info:
; codeLenInByte = 0
; NumSgprs: 6
; NumVgprs: 0
; NumAgprs: 0
; TotalNumVgprs: 0
; ScratchSize: 0
; MemoryBound: 0
; FloatMode: 240
; IeeeMode: 1
; LDSByteSize: 0 bytes/workgroup (compile time only)
; SGPRBlocks: 0
; VGPRBlocks: 0
; NumSGPRsForWavesPerEU: 6
; NumVGPRsForWavesPerEU: 1
; AccumOffset: 4
; Occupancy: 8
; WaveLimiterHint : 0
; COMPUTE_PGM_RSRC2:SCRATCH_EN: 0
; COMPUTE_PGM_RSRC2:USER_SGPR: 2
; COMPUTE_PGM_RSRC2:TRAP_HANDLER: 0
; COMPUTE_PGM_RSRC2:TGID_X_EN: 1
; COMPUTE_PGM_RSRC2:TGID_Y_EN: 0
; COMPUTE_PGM_RSRC2:TGID_Z_EN: 0
; COMPUTE_PGM_RSRC2:TIDIG_COMP_CNT: 0
; COMPUTE_PGM_RSRC3_GFX90A:ACCUM_OFFSET: 0
; COMPUTE_PGM_RSRC3_GFX90A:TG_SPLIT: 0
	.section	.text._ZN7rocprim17ROCPRIM_400000_NS6detail17trampoline_kernelINS0_14default_configENS1_25partition_config_selectorILNS1_17partition_subalgoE2EyNS0_10empty_typeEbEEZZNS1_14partition_implILS5_2ELb0ES3_jN6thrust23THRUST_200600_302600_NS6detail15normal_iteratorINSA_7pointerIyNSA_11hip_rocprim3tagENSA_11use_defaultESG_EEEEPS6_NSA_18transform_iteratorI7is_evenIyENSC_INSA_10device_ptrIyEEEESG_SG_EENS0_5tupleIJPySJ_EEENSR_IJSJ_SJ_EEES6_PlJS6_EEE10hipError_tPvRmT3_T4_T5_T6_T7_T9_mT8_P12ihipStream_tbDpT10_ENKUlT_T0_E_clISt17integral_constantIbLb0EES1F_EEDaS1A_S1B_EUlS1A_E_NS1_11comp_targetILNS1_3genE8ELNS1_11target_archE1030ELNS1_3gpuE2ELNS1_3repE0EEENS1_30default_config_static_selectorELNS0_4arch9wavefront6targetE1EEEvT1_,"axG",@progbits,_ZN7rocprim17ROCPRIM_400000_NS6detail17trampoline_kernelINS0_14default_configENS1_25partition_config_selectorILNS1_17partition_subalgoE2EyNS0_10empty_typeEbEEZZNS1_14partition_implILS5_2ELb0ES3_jN6thrust23THRUST_200600_302600_NS6detail15normal_iteratorINSA_7pointerIyNSA_11hip_rocprim3tagENSA_11use_defaultESG_EEEEPS6_NSA_18transform_iteratorI7is_evenIyENSC_INSA_10device_ptrIyEEEESG_SG_EENS0_5tupleIJPySJ_EEENSR_IJSJ_SJ_EEES6_PlJS6_EEE10hipError_tPvRmT3_T4_T5_T6_T7_T9_mT8_P12ihipStream_tbDpT10_ENKUlT_T0_E_clISt17integral_constantIbLb0EES1F_EEDaS1A_S1B_EUlS1A_E_NS1_11comp_targetILNS1_3genE8ELNS1_11target_archE1030ELNS1_3gpuE2ELNS1_3repE0EEENS1_30default_config_static_selectorELNS0_4arch9wavefront6targetE1EEEvT1_,comdat
	.protected	_ZN7rocprim17ROCPRIM_400000_NS6detail17trampoline_kernelINS0_14default_configENS1_25partition_config_selectorILNS1_17partition_subalgoE2EyNS0_10empty_typeEbEEZZNS1_14partition_implILS5_2ELb0ES3_jN6thrust23THRUST_200600_302600_NS6detail15normal_iteratorINSA_7pointerIyNSA_11hip_rocprim3tagENSA_11use_defaultESG_EEEEPS6_NSA_18transform_iteratorI7is_evenIyENSC_INSA_10device_ptrIyEEEESG_SG_EENS0_5tupleIJPySJ_EEENSR_IJSJ_SJ_EEES6_PlJS6_EEE10hipError_tPvRmT3_T4_T5_T6_T7_T9_mT8_P12ihipStream_tbDpT10_ENKUlT_T0_E_clISt17integral_constantIbLb0EES1F_EEDaS1A_S1B_EUlS1A_E_NS1_11comp_targetILNS1_3genE8ELNS1_11target_archE1030ELNS1_3gpuE2ELNS1_3repE0EEENS1_30default_config_static_selectorELNS0_4arch9wavefront6targetE1EEEvT1_ ; -- Begin function _ZN7rocprim17ROCPRIM_400000_NS6detail17trampoline_kernelINS0_14default_configENS1_25partition_config_selectorILNS1_17partition_subalgoE2EyNS0_10empty_typeEbEEZZNS1_14partition_implILS5_2ELb0ES3_jN6thrust23THRUST_200600_302600_NS6detail15normal_iteratorINSA_7pointerIyNSA_11hip_rocprim3tagENSA_11use_defaultESG_EEEEPS6_NSA_18transform_iteratorI7is_evenIyENSC_INSA_10device_ptrIyEEEESG_SG_EENS0_5tupleIJPySJ_EEENSR_IJSJ_SJ_EEES6_PlJS6_EEE10hipError_tPvRmT3_T4_T5_T6_T7_T9_mT8_P12ihipStream_tbDpT10_ENKUlT_T0_E_clISt17integral_constantIbLb0EES1F_EEDaS1A_S1B_EUlS1A_E_NS1_11comp_targetILNS1_3genE8ELNS1_11target_archE1030ELNS1_3gpuE2ELNS1_3repE0EEENS1_30default_config_static_selectorELNS0_4arch9wavefront6targetE1EEEvT1_
	.globl	_ZN7rocprim17ROCPRIM_400000_NS6detail17trampoline_kernelINS0_14default_configENS1_25partition_config_selectorILNS1_17partition_subalgoE2EyNS0_10empty_typeEbEEZZNS1_14partition_implILS5_2ELb0ES3_jN6thrust23THRUST_200600_302600_NS6detail15normal_iteratorINSA_7pointerIyNSA_11hip_rocprim3tagENSA_11use_defaultESG_EEEEPS6_NSA_18transform_iteratorI7is_evenIyENSC_INSA_10device_ptrIyEEEESG_SG_EENS0_5tupleIJPySJ_EEENSR_IJSJ_SJ_EEES6_PlJS6_EEE10hipError_tPvRmT3_T4_T5_T6_T7_T9_mT8_P12ihipStream_tbDpT10_ENKUlT_T0_E_clISt17integral_constantIbLb0EES1F_EEDaS1A_S1B_EUlS1A_E_NS1_11comp_targetILNS1_3genE8ELNS1_11target_archE1030ELNS1_3gpuE2ELNS1_3repE0EEENS1_30default_config_static_selectorELNS0_4arch9wavefront6targetE1EEEvT1_
	.p2align	8
	.type	_ZN7rocprim17ROCPRIM_400000_NS6detail17trampoline_kernelINS0_14default_configENS1_25partition_config_selectorILNS1_17partition_subalgoE2EyNS0_10empty_typeEbEEZZNS1_14partition_implILS5_2ELb0ES3_jN6thrust23THRUST_200600_302600_NS6detail15normal_iteratorINSA_7pointerIyNSA_11hip_rocprim3tagENSA_11use_defaultESG_EEEEPS6_NSA_18transform_iteratorI7is_evenIyENSC_INSA_10device_ptrIyEEEESG_SG_EENS0_5tupleIJPySJ_EEENSR_IJSJ_SJ_EEES6_PlJS6_EEE10hipError_tPvRmT3_T4_T5_T6_T7_T9_mT8_P12ihipStream_tbDpT10_ENKUlT_T0_E_clISt17integral_constantIbLb0EES1F_EEDaS1A_S1B_EUlS1A_E_NS1_11comp_targetILNS1_3genE8ELNS1_11target_archE1030ELNS1_3gpuE2ELNS1_3repE0EEENS1_30default_config_static_selectorELNS0_4arch9wavefront6targetE1EEEvT1_,@function
_ZN7rocprim17ROCPRIM_400000_NS6detail17trampoline_kernelINS0_14default_configENS1_25partition_config_selectorILNS1_17partition_subalgoE2EyNS0_10empty_typeEbEEZZNS1_14partition_implILS5_2ELb0ES3_jN6thrust23THRUST_200600_302600_NS6detail15normal_iteratorINSA_7pointerIyNSA_11hip_rocprim3tagENSA_11use_defaultESG_EEEEPS6_NSA_18transform_iteratorI7is_evenIyENSC_INSA_10device_ptrIyEEEESG_SG_EENS0_5tupleIJPySJ_EEENSR_IJSJ_SJ_EEES6_PlJS6_EEE10hipError_tPvRmT3_T4_T5_T6_T7_T9_mT8_P12ihipStream_tbDpT10_ENKUlT_T0_E_clISt17integral_constantIbLb0EES1F_EEDaS1A_S1B_EUlS1A_E_NS1_11comp_targetILNS1_3genE8ELNS1_11target_archE1030ELNS1_3gpuE2ELNS1_3repE0EEENS1_30default_config_static_selectorELNS0_4arch9wavefront6targetE1EEEvT1_: ; @_ZN7rocprim17ROCPRIM_400000_NS6detail17trampoline_kernelINS0_14default_configENS1_25partition_config_selectorILNS1_17partition_subalgoE2EyNS0_10empty_typeEbEEZZNS1_14partition_implILS5_2ELb0ES3_jN6thrust23THRUST_200600_302600_NS6detail15normal_iteratorINSA_7pointerIyNSA_11hip_rocprim3tagENSA_11use_defaultESG_EEEEPS6_NSA_18transform_iteratorI7is_evenIyENSC_INSA_10device_ptrIyEEEESG_SG_EENS0_5tupleIJPySJ_EEENSR_IJSJ_SJ_EEES6_PlJS6_EEE10hipError_tPvRmT3_T4_T5_T6_T7_T9_mT8_P12ihipStream_tbDpT10_ENKUlT_T0_E_clISt17integral_constantIbLb0EES1F_EEDaS1A_S1B_EUlS1A_E_NS1_11comp_targetILNS1_3genE8ELNS1_11target_archE1030ELNS1_3gpuE2ELNS1_3repE0EEENS1_30default_config_static_selectorELNS0_4arch9wavefront6targetE1EEEvT1_
; %bb.0:
	.section	.rodata,"a",@progbits
	.p2align	6, 0x0
	.amdhsa_kernel _ZN7rocprim17ROCPRIM_400000_NS6detail17trampoline_kernelINS0_14default_configENS1_25partition_config_selectorILNS1_17partition_subalgoE2EyNS0_10empty_typeEbEEZZNS1_14partition_implILS5_2ELb0ES3_jN6thrust23THRUST_200600_302600_NS6detail15normal_iteratorINSA_7pointerIyNSA_11hip_rocprim3tagENSA_11use_defaultESG_EEEEPS6_NSA_18transform_iteratorI7is_evenIyENSC_INSA_10device_ptrIyEEEESG_SG_EENS0_5tupleIJPySJ_EEENSR_IJSJ_SJ_EEES6_PlJS6_EEE10hipError_tPvRmT3_T4_T5_T6_T7_T9_mT8_P12ihipStream_tbDpT10_ENKUlT_T0_E_clISt17integral_constantIbLb0EES1F_EEDaS1A_S1B_EUlS1A_E_NS1_11comp_targetILNS1_3genE8ELNS1_11target_archE1030ELNS1_3gpuE2ELNS1_3repE0EEENS1_30default_config_static_selectorELNS0_4arch9wavefront6targetE1EEEvT1_
		.amdhsa_group_segment_fixed_size 0
		.amdhsa_private_segment_fixed_size 0
		.amdhsa_kernarg_size 128
		.amdhsa_user_sgpr_count 2
		.amdhsa_user_sgpr_dispatch_ptr 0
		.amdhsa_user_sgpr_queue_ptr 0
		.amdhsa_user_sgpr_kernarg_segment_ptr 1
		.amdhsa_user_sgpr_dispatch_id 0
		.amdhsa_user_sgpr_kernarg_preload_length 0
		.amdhsa_user_sgpr_kernarg_preload_offset 0
		.amdhsa_user_sgpr_private_segment_size 0
		.amdhsa_uses_dynamic_stack 0
		.amdhsa_enable_private_segment 0
		.amdhsa_system_sgpr_workgroup_id_x 1
		.amdhsa_system_sgpr_workgroup_id_y 0
		.amdhsa_system_sgpr_workgroup_id_z 0
		.amdhsa_system_sgpr_workgroup_info 0
		.amdhsa_system_vgpr_workitem_id 0
		.amdhsa_next_free_vgpr 1
		.amdhsa_next_free_sgpr 0
		.amdhsa_accum_offset 4
		.amdhsa_reserve_vcc 0
		.amdhsa_float_round_mode_32 0
		.amdhsa_float_round_mode_16_64 0
		.amdhsa_float_denorm_mode_32 3
		.amdhsa_float_denorm_mode_16_64 3
		.amdhsa_dx10_clamp 1
		.amdhsa_ieee_mode 1
		.amdhsa_fp16_overflow 0
		.amdhsa_tg_split 0
		.amdhsa_exception_fp_ieee_invalid_op 0
		.amdhsa_exception_fp_denorm_src 0
		.amdhsa_exception_fp_ieee_div_zero 0
		.amdhsa_exception_fp_ieee_overflow 0
		.amdhsa_exception_fp_ieee_underflow 0
		.amdhsa_exception_fp_ieee_inexact 0
		.amdhsa_exception_int_div_zero 0
	.end_amdhsa_kernel
	.section	.text._ZN7rocprim17ROCPRIM_400000_NS6detail17trampoline_kernelINS0_14default_configENS1_25partition_config_selectorILNS1_17partition_subalgoE2EyNS0_10empty_typeEbEEZZNS1_14partition_implILS5_2ELb0ES3_jN6thrust23THRUST_200600_302600_NS6detail15normal_iteratorINSA_7pointerIyNSA_11hip_rocprim3tagENSA_11use_defaultESG_EEEEPS6_NSA_18transform_iteratorI7is_evenIyENSC_INSA_10device_ptrIyEEEESG_SG_EENS0_5tupleIJPySJ_EEENSR_IJSJ_SJ_EEES6_PlJS6_EEE10hipError_tPvRmT3_T4_T5_T6_T7_T9_mT8_P12ihipStream_tbDpT10_ENKUlT_T0_E_clISt17integral_constantIbLb0EES1F_EEDaS1A_S1B_EUlS1A_E_NS1_11comp_targetILNS1_3genE8ELNS1_11target_archE1030ELNS1_3gpuE2ELNS1_3repE0EEENS1_30default_config_static_selectorELNS0_4arch9wavefront6targetE1EEEvT1_,"axG",@progbits,_ZN7rocprim17ROCPRIM_400000_NS6detail17trampoline_kernelINS0_14default_configENS1_25partition_config_selectorILNS1_17partition_subalgoE2EyNS0_10empty_typeEbEEZZNS1_14partition_implILS5_2ELb0ES3_jN6thrust23THRUST_200600_302600_NS6detail15normal_iteratorINSA_7pointerIyNSA_11hip_rocprim3tagENSA_11use_defaultESG_EEEEPS6_NSA_18transform_iteratorI7is_evenIyENSC_INSA_10device_ptrIyEEEESG_SG_EENS0_5tupleIJPySJ_EEENSR_IJSJ_SJ_EEES6_PlJS6_EEE10hipError_tPvRmT3_T4_T5_T6_T7_T9_mT8_P12ihipStream_tbDpT10_ENKUlT_T0_E_clISt17integral_constantIbLb0EES1F_EEDaS1A_S1B_EUlS1A_E_NS1_11comp_targetILNS1_3genE8ELNS1_11target_archE1030ELNS1_3gpuE2ELNS1_3repE0EEENS1_30default_config_static_selectorELNS0_4arch9wavefront6targetE1EEEvT1_,comdat
.Lfunc_end2011:
	.size	_ZN7rocprim17ROCPRIM_400000_NS6detail17trampoline_kernelINS0_14default_configENS1_25partition_config_selectorILNS1_17partition_subalgoE2EyNS0_10empty_typeEbEEZZNS1_14partition_implILS5_2ELb0ES3_jN6thrust23THRUST_200600_302600_NS6detail15normal_iteratorINSA_7pointerIyNSA_11hip_rocprim3tagENSA_11use_defaultESG_EEEEPS6_NSA_18transform_iteratorI7is_evenIyENSC_INSA_10device_ptrIyEEEESG_SG_EENS0_5tupleIJPySJ_EEENSR_IJSJ_SJ_EEES6_PlJS6_EEE10hipError_tPvRmT3_T4_T5_T6_T7_T9_mT8_P12ihipStream_tbDpT10_ENKUlT_T0_E_clISt17integral_constantIbLb0EES1F_EEDaS1A_S1B_EUlS1A_E_NS1_11comp_targetILNS1_3genE8ELNS1_11target_archE1030ELNS1_3gpuE2ELNS1_3repE0EEENS1_30default_config_static_selectorELNS0_4arch9wavefront6targetE1EEEvT1_, .Lfunc_end2011-_ZN7rocprim17ROCPRIM_400000_NS6detail17trampoline_kernelINS0_14default_configENS1_25partition_config_selectorILNS1_17partition_subalgoE2EyNS0_10empty_typeEbEEZZNS1_14partition_implILS5_2ELb0ES3_jN6thrust23THRUST_200600_302600_NS6detail15normal_iteratorINSA_7pointerIyNSA_11hip_rocprim3tagENSA_11use_defaultESG_EEEEPS6_NSA_18transform_iteratorI7is_evenIyENSC_INSA_10device_ptrIyEEEESG_SG_EENS0_5tupleIJPySJ_EEENSR_IJSJ_SJ_EEES6_PlJS6_EEE10hipError_tPvRmT3_T4_T5_T6_T7_T9_mT8_P12ihipStream_tbDpT10_ENKUlT_T0_E_clISt17integral_constantIbLb0EES1F_EEDaS1A_S1B_EUlS1A_E_NS1_11comp_targetILNS1_3genE8ELNS1_11target_archE1030ELNS1_3gpuE2ELNS1_3repE0EEENS1_30default_config_static_selectorELNS0_4arch9wavefront6targetE1EEEvT1_
                                        ; -- End function
	.section	.AMDGPU.csdata,"",@progbits
; Kernel info:
; codeLenInByte = 0
; NumSgprs: 6
; NumVgprs: 0
; NumAgprs: 0
; TotalNumVgprs: 0
; ScratchSize: 0
; MemoryBound: 0
; FloatMode: 240
; IeeeMode: 1
; LDSByteSize: 0 bytes/workgroup (compile time only)
; SGPRBlocks: 0
; VGPRBlocks: 0
; NumSGPRsForWavesPerEU: 6
; NumVGPRsForWavesPerEU: 1
; AccumOffset: 4
; Occupancy: 8
; WaveLimiterHint : 0
; COMPUTE_PGM_RSRC2:SCRATCH_EN: 0
; COMPUTE_PGM_RSRC2:USER_SGPR: 2
; COMPUTE_PGM_RSRC2:TRAP_HANDLER: 0
; COMPUTE_PGM_RSRC2:TGID_X_EN: 1
; COMPUTE_PGM_RSRC2:TGID_Y_EN: 0
; COMPUTE_PGM_RSRC2:TGID_Z_EN: 0
; COMPUTE_PGM_RSRC2:TIDIG_COMP_CNT: 0
; COMPUTE_PGM_RSRC3_GFX90A:ACCUM_OFFSET: 0
; COMPUTE_PGM_RSRC3_GFX90A:TG_SPLIT: 0
	.section	.text._ZN7rocprim17ROCPRIM_400000_NS6detail17trampoline_kernelINS0_14default_configENS1_25partition_config_selectorILNS1_17partition_subalgoE2EyNS0_10empty_typeEbEEZZNS1_14partition_implILS5_2ELb0ES3_jN6thrust23THRUST_200600_302600_NS6detail15normal_iteratorINSA_7pointerIyNSA_11hip_rocprim3tagENSA_11use_defaultESG_EEEEPS6_NSA_18transform_iteratorI7is_evenIyENSC_INSA_10device_ptrIyEEEESG_SG_EENS0_5tupleIJPySJ_EEENSR_IJSJ_SJ_EEES6_PlJS6_EEE10hipError_tPvRmT3_T4_T5_T6_T7_T9_mT8_P12ihipStream_tbDpT10_ENKUlT_T0_E_clISt17integral_constantIbLb1EES1F_EEDaS1A_S1B_EUlS1A_E_NS1_11comp_targetILNS1_3genE0ELNS1_11target_archE4294967295ELNS1_3gpuE0ELNS1_3repE0EEENS1_30default_config_static_selectorELNS0_4arch9wavefront6targetE1EEEvT1_,"axG",@progbits,_ZN7rocprim17ROCPRIM_400000_NS6detail17trampoline_kernelINS0_14default_configENS1_25partition_config_selectorILNS1_17partition_subalgoE2EyNS0_10empty_typeEbEEZZNS1_14partition_implILS5_2ELb0ES3_jN6thrust23THRUST_200600_302600_NS6detail15normal_iteratorINSA_7pointerIyNSA_11hip_rocprim3tagENSA_11use_defaultESG_EEEEPS6_NSA_18transform_iteratorI7is_evenIyENSC_INSA_10device_ptrIyEEEESG_SG_EENS0_5tupleIJPySJ_EEENSR_IJSJ_SJ_EEES6_PlJS6_EEE10hipError_tPvRmT3_T4_T5_T6_T7_T9_mT8_P12ihipStream_tbDpT10_ENKUlT_T0_E_clISt17integral_constantIbLb1EES1F_EEDaS1A_S1B_EUlS1A_E_NS1_11comp_targetILNS1_3genE0ELNS1_11target_archE4294967295ELNS1_3gpuE0ELNS1_3repE0EEENS1_30default_config_static_selectorELNS0_4arch9wavefront6targetE1EEEvT1_,comdat
	.protected	_ZN7rocprim17ROCPRIM_400000_NS6detail17trampoline_kernelINS0_14default_configENS1_25partition_config_selectorILNS1_17partition_subalgoE2EyNS0_10empty_typeEbEEZZNS1_14partition_implILS5_2ELb0ES3_jN6thrust23THRUST_200600_302600_NS6detail15normal_iteratorINSA_7pointerIyNSA_11hip_rocprim3tagENSA_11use_defaultESG_EEEEPS6_NSA_18transform_iteratorI7is_evenIyENSC_INSA_10device_ptrIyEEEESG_SG_EENS0_5tupleIJPySJ_EEENSR_IJSJ_SJ_EEES6_PlJS6_EEE10hipError_tPvRmT3_T4_T5_T6_T7_T9_mT8_P12ihipStream_tbDpT10_ENKUlT_T0_E_clISt17integral_constantIbLb1EES1F_EEDaS1A_S1B_EUlS1A_E_NS1_11comp_targetILNS1_3genE0ELNS1_11target_archE4294967295ELNS1_3gpuE0ELNS1_3repE0EEENS1_30default_config_static_selectorELNS0_4arch9wavefront6targetE1EEEvT1_ ; -- Begin function _ZN7rocprim17ROCPRIM_400000_NS6detail17trampoline_kernelINS0_14default_configENS1_25partition_config_selectorILNS1_17partition_subalgoE2EyNS0_10empty_typeEbEEZZNS1_14partition_implILS5_2ELb0ES3_jN6thrust23THRUST_200600_302600_NS6detail15normal_iteratorINSA_7pointerIyNSA_11hip_rocprim3tagENSA_11use_defaultESG_EEEEPS6_NSA_18transform_iteratorI7is_evenIyENSC_INSA_10device_ptrIyEEEESG_SG_EENS0_5tupleIJPySJ_EEENSR_IJSJ_SJ_EEES6_PlJS6_EEE10hipError_tPvRmT3_T4_T5_T6_T7_T9_mT8_P12ihipStream_tbDpT10_ENKUlT_T0_E_clISt17integral_constantIbLb1EES1F_EEDaS1A_S1B_EUlS1A_E_NS1_11comp_targetILNS1_3genE0ELNS1_11target_archE4294967295ELNS1_3gpuE0ELNS1_3repE0EEENS1_30default_config_static_selectorELNS0_4arch9wavefront6targetE1EEEvT1_
	.globl	_ZN7rocprim17ROCPRIM_400000_NS6detail17trampoline_kernelINS0_14default_configENS1_25partition_config_selectorILNS1_17partition_subalgoE2EyNS0_10empty_typeEbEEZZNS1_14partition_implILS5_2ELb0ES3_jN6thrust23THRUST_200600_302600_NS6detail15normal_iteratorINSA_7pointerIyNSA_11hip_rocprim3tagENSA_11use_defaultESG_EEEEPS6_NSA_18transform_iteratorI7is_evenIyENSC_INSA_10device_ptrIyEEEESG_SG_EENS0_5tupleIJPySJ_EEENSR_IJSJ_SJ_EEES6_PlJS6_EEE10hipError_tPvRmT3_T4_T5_T6_T7_T9_mT8_P12ihipStream_tbDpT10_ENKUlT_T0_E_clISt17integral_constantIbLb1EES1F_EEDaS1A_S1B_EUlS1A_E_NS1_11comp_targetILNS1_3genE0ELNS1_11target_archE4294967295ELNS1_3gpuE0ELNS1_3repE0EEENS1_30default_config_static_selectorELNS0_4arch9wavefront6targetE1EEEvT1_
	.p2align	8
	.type	_ZN7rocprim17ROCPRIM_400000_NS6detail17trampoline_kernelINS0_14default_configENS1_25partition_config_selectorILNS1_17partition_subalgoE2EyNS0_10empty_typeEbEEZZNS1_14partition_implILS5_2ELb0ES3_jN6thrust23THRUST_200600_302600_NS6detail15normal_iteratorINSA_7pointerIyNSA_11hip_rocprim3tagENSA_11use_defaultESG_EEEEPS6_NSA_18transform_iteratorI7is_evenIyENSC_INSA_10device_ptrIyEEEESG_SG_EENS0_5tupleIJPySJ_EEENSR_IJSJ_SJ_EEES6_PlJS6_EEE10hipError_tPvRmT3_T4_T5_T6_T7_T9_mT8_P12ihipStream_tbDpT10_ENKUlT_T0_E_clISt17integral_constantIbLb1EES1F_EEDaS1A_S1B_EUlS1A_E_NS1_11comp_targetILNS1_3genE0ELNS1_11target_archE4294967295ELNS1_3gpuE0ELNS1_3repE0EEENS1_30default_config_static_selectorELNS0_4arch9wavefront6targetE1EEEvT1_,@function
_ZN7rocprim17ROCPRIM_400000_NS6detail17trampoline_kernelINS0_14default_configENS1_25partition_config_selectorILNS1_17partition_subalgoE2EyNS0_10empty_typeEbEEZZNS1_14partition_implILS5_2ELb0ES3_jN6thrust23THRUST_200600_302600_NS6detail15normal_iteratorINSA_7pointerIyNSA_11hip_rocprim3tagENSA_11use_defaultESG_EEEEPS6_NSA_18transform_iteratorI7is_evenIyENSC_INSA_10device_ptrIyEEEESG_SG_EENS0_5tupleIJPySJ_EEENSR_IJSJ_SJ_EEES6_PlJS6_EEE10hipError_tPvRmT3_T4_T5_T6_T7_T9_mT8_P12ihipStream_tbDpT10_ENKUlT_T0_E_clISt17integral_constantIbLb1EES1F_EEDaS1A_S1B_EUlS1A_E_NS1_11comp_targetILNS1_3genE0ELNS1_11target_archE4294967295ELNS1_3gpuE0ELNS1_3repE0EEENS1_30default_config_static_selectorELNS0_4arch9wavefront6targetE1EEEvT1_: ; @_ZN7rocprim17ROCPRIM_400000_NS6detail17trampoline_kernelINS0_14default_configENS1_25partition_config_selectorILNS1_17partition_subalgoE2EyNS0_10empty_typeEbEEZZNS1_14partition_implILS5_2ELb0ES3_jN6thrust23THRUST_200600_302600_NS6detail15normal_iteratorINSA_7pointerIyNSA_11hip_rocprim3tagENSA_11use_defaultESG_EEEEPS6_NSA_18transform_iteratorI7is_evenIyENSC_INSA_10device_ptrIyEEEESG_SG_EENS0_5tupleIJPySJ_EEENSR_IJSJ_SJ_EEES6_PlJS6_EEE10hipError_tPvRmT3_T4_T5_T6_T7_T9_mT8_P12ihipStream_tbDpT10_ENKUlT_T0_E_clISt17integral_constantIbLb1EES1F_EEDaS1A_S1B_EUlS1A_E_NS1_11comp_targetILNS1_3genE0ELNS1_11target_archE4294967295ELNS1_3gpuE0ELNS1_3repE0EEENS1_30default_config_static_selectorELNS0_4arch9wavefront6targetE1EEEvT1_
; %bb.0:
	.section	.rodata,"a",@progbits
	.p2align	6, 0x0
	.amdhsa_kernel _ZN7rocprim17ROCPRIM_400000_NS6detail17trampoline_kernelINS0_14default_configENS1_25partition_config_selectorILNS1_17partition_subalgoE2EyNS0_10empty_typeEbEEZZNS1_14partition_implILS5_2ELb0ES3_jN6thrust23THRUST_200600_302600_NS6detail15normal_iteratorINSA_7pointerIyNSA_11hip_rocprim3tagENSA_11use_defaultESG_EEEEPS6_NSA_18transform_iteratorI7is_evenIyENSC_INSA_10device_ptrIyEEEESG_SG_EENS0_5tupleIJPySJ_EEENSR_IJSJ_SJ_EEES6_PlJS6_EEE10hipError_tPvRmT3_T4_T5_T6_T7_T9_mT8_P12ihipStream_tbDpT10_ENKUlT_T0_E_clISt17integral_constantIbLb1EES1F_EEDaS1A_S1B_EUlS1A_E_NS1_11comp_targetILNS1_3genE0ELNS1_11target_archE4294967295ELNS1_3gpuE0ELNS1_3repE0EEENS1_30default_config_static_selectorELNS0_4arch9wavefront6targetE1EEEvT1_
		.amdhsa_group_segment_fixed_size 0
		.amdhsa_private_segment_fixed_size 0
		.amdhsa_kernarg_size 144
		.amdhsa_user_sgpr_count 2
		.amdhsa_user_sgpr_dispatch_ptr 0
		.amdhsa_user_sgpr_queue_ptr 0
		.amdhsa_user_sgpr_kernarg_segment_ptr 1
		.amdhsa_user_sgpr_dispatch_id 0
		.amdhsa_user_sgpr_kernarg_preload_length 0
		.amdhsa_user_sgpr_kernarg_preload_offset 0
		.amdhsa_user_sgpr_private_segment_size 0
		.amdhsa_uses_dynamic_stack 0
		.amdhsa_enable_private_segment 0
		.amdhsa_system_sgpr_workgroup_id_x 1
		.amdhsa_system_sgpr_workgroup_id_y 0
		.amdhsa_system_sgpr_workgroup_id_z 0
		.amdhsa_system_sgpr_workgroup_info 0
		.amdhsa_system_vgpr_workitem_id 0
		.amdhsa_next_free_vgpr 1
		.amdhsa_next_free_sgpr 0
		.amdhsa_accum_offset 4
		.amdhsa_reserve_vcc 0
		.amdhsa_float_round_mode_32 0
		.amdhsa_float_round_mode_16_64 0
		.amdhsa_float_denorm_mode_32 3
		.amdhsa_float_denorm_mode_16_64 3
		.amdhsa_dx10_clamp 1
		.amdhsa_ieee_mode 1
		.amdhsa_fp16_overflow 0
		.amdhsa_tg_split 0
		.amdhsa_exception_fp_ieee_invalid_op 0
		.amdhsa_exception_fp_denorm_src 0
		.amdhsa_exception_fp_ieee_div_zero 0
		.amdhsa_exception_fp_ieee_overflow 0
		.amdhsa_exception_fp_ieee_underflow 0
		.amdhsa_exception_fp_ieee_inexact 0
		.amdhsa_exception_int_div_zero 0
	.end_amdhsa_kernel
	.section	.text._ZN7rocprim17ROCPRIM_400000_NS6detail17trampoline_kernelINS0_14default_configENS1_25partition_config_selectorILNS1_17partition_subalgoE2EyNS0_10empty_typeEbEEZZNS1_14partition_implILS5_2ELb0ES3_jN6thrust23THRUST_200600_302600_NS6detail15normal_iteratorINSA_7pointerIyNSA_11hip_rocprim3tagENSA_11use_defaultESG_EEEEPS6_NSA_18transform_iteratorI7is_evenIyENSC_INSA_10device_ptrIyEEEESG_SG_EENS0_5tupleIJPySJ_EEENSR_IJSJ_SJ_EEES6_PlJS6_EEE10hipError_tPvRmT3_T4_T5_T6_T7_T9_mT8_P12ihipStream_tbDpT10_ENKUlT_T0_E_clISt17integral_constantIbLb1EES1F_EEDaS1A_S1B_EUlS1A_E_NS1_11comp_targetILNS1_3genE0ELNS1_11target_archE4294967295ELNS1_3gpuE0ELNS1_3repE0EEENS1_30default_config_static_selectorELNS0_4arch9wavefront6targetE1EEEvT1_,"axG",@progbits,_ZN7rocprim17ROCPRIM_400000_NS6detail17trampoline_kernelINS0_14default_configENS1_25partition_config_selectorILNS1_17partition_subalgoE2EyNS0_10empty_typeEbEEZZNS1_14partition_implILS5_2ELb0ES3_jN6thrust23THRUST_200600_302600_NS6detail15normal_iteratorINSA_7pointerIyNSA_11hip_rocprim3tagENSA_11use_defaultESG_EEEEPS6_NSA_18transform_iteratorI7is_evenIyENSC_INSA_10device_ptrIyEEEESG_SG_EENS0_5tupleIJPySJ_EEENSR_IJSJ_SJ_EEES6_PlJS6_EEE10hipError_tPvRmT3_T4_T5_T6_T7_T9_mT8_P12ihipStream_tbDpT10_ENKUlT_T0_E_clISt17integral_constantIbLb1EES1F_EEDaS1A_S1B_EUlS1A_E_NS1_11comp_targetILNS1_3genE0ELNS1_11target_archE4294967295ELNS1_3gpuE0ELNS1_3repE0EEENS1_30default_config_static_selectorELNS0_4arch9wavefront6targetE1EEEvT1_,comdat
.Lfunc_end2012:
	.size	_ZN7rocprim17ROCPRIM_400000_NS6detail17trampoline_kernelINS0_14default_configENS1_25partition_config_selectorILNS1_17partition_subalgoE2EyNS0_10empty_typeEbEEZZNS1_14partition_implILS5_2ELb0ES3_jN6thrust23THRUST_200600_302600_NS6detail15normal_iteratorINSA_7pointerIyNSA_11hip_rocprim3tagENSA_11use_defaultESG_EEEEPS6_NSA_18transform_iteratorI7is_evenIyENSC_INSA_10device_ptrIyEEEESG_SG_EENS0_5tupleIJPySJ_EEENSR_IJSJ_SJ_EEES6_PlJS6_EEE10hipError_tPvRmT3_T4_T5_T6_T7_T9_mT8_P12ihipStream_tbDpT10_ENKUlT_T0_E_clISt17integral_constantIbLb1EES1F_EEDaS1A_S1B_EUlS1A_E_NS1_11comp_targetILNS1_3genE0ELNS1_11target_archE4294967295ELNS1_3gpuE0ELNS1_3repE0EEENS1_30default_config_static_selectorELNS0_4arch9wavefront6targetE1EEEvT1_, .Lfunc_end2012-_ZN7rocprim17ROCPRIM_400000_NS6detail17trampoline_kernelINS0_14default_configENS1_25partition_config_selectorILNS1_17partition_subalgoE2EyNS0_10empty_typeEbEEZZNS1_14partition_implILS5_2ELb0ES3_jN6thrust23THRUST_200600_302600_NS6detail15normal_iteratorINSA_7pointerIyNSA_11hip_rocprim3tagENSA_11use_defaultESG_EEEEPS6_NSA_18transform_iteratorI7is_evenIyENSC_INSA_10device_ptrIyEEEESG_SG_EENS0_5tupleIJPySJ_EEENSR_IJSJ_SJ_EEES6_PlJS6_EEE10hipError_tPvRmT3_T4_T5_T6_T7_T9_mT8_P12ihipStream_tbDpT10_ENKUlT_T0_E_clISt17integral_constantIbLb1EES1F_EEDaS1A_S1B_EUlS1A_E_NS1_11comp_targetILNS1_3genE0ELNS1_11target_archE4294967295ELNS1_3gpuE0ELNS1_3repE0EEENS1_30default_config_static_selectorELNS0_4arch9wavefront6targetE1EEEvT1_
                                        ; -- End function
	.section	.AMDGPU.csdata,"",@progbits
; Kernel info:
; codeLenInByte = 0
; NumSgprs: 6
; NumVgprs: 0
; NumAgprs: 0
; TotalNumVgprs: 0
; ScratchSize: 0
; MemoryBound: 0
; FloatMode: 240
; IeeeMode: 1
; LDSByteSize: 0 bytes/workgroup (compile time only)
; SGPRBlocks: 0
; VGPRBlocks: 0
; NumSGPRsForWavesPerEU: 6
; NumVGPRsForWavesPerEU: 1
; AccumOffset: 4
; Occupancy: 8
; WaveLimiterHint : 0
; COMPUTE_PGM_RSRC2:SCRATCH_EN: 0
; COMPUTE_PGM_RSRC2:USER_SGPR: 2
; COMPUTE_PGM_RSRC2:TRAP_HANDLER: 0
; COMPUTE_PGM_RSRC2:TGID_X_EN: 1
; COMPUTE_PGM_RSRC2:TGID_Y_EN: 0
; COMPUTE_PGM_RSRC2:TGID_Z_EN: 0
; COMPUTE_PGM_RSRC2:TIDIG_COMP_CNT: 0
; COMPUTE_PGM_RSRC3_GFX90A:ACCUM_OFFSET: 0
; COMPUTE_PGM_RSRC3_GFX90A:TG_SPLIT: 0
	.section	.text._ZN7rocprim17ROCPRIM_400000_NS6detail17trampoline_kernelINS0_14default_configENS1_25partition_config_selectorILNS1_17partition_subalgoE2EyNS0_10empty_typeEbEEZZNS1_14partition_implILS5_2ELb0ES3_jN6thrust23THRUST_200600_302600_NS6detail15normal_iteratorINSA_7pointerIyNSA_11hip_rocprim3tagENSA_11use_defaultESG_EEEEPS6_NSA_18transform_iteratorI7is_evenIyENSC_INSA_10device_ptrIyEEEESG_SG_EENS0_5tupleIJPySJ_EEENSR_IJSJ_SJ_EEES6_PlJS6_EEE10hipError_tPvRmT3_T4_T5_T6_T7_T9_mT8_P12ihipStream_tbDpT10_ENKUlT_T0_E_clISt17integral_constantIbLb1EES1F_EEDaS1A_S1B_EUlS1A_E_NS1_11comp_targetILNS1_3genE5ELNS1_11target_archE942ELNS1_3gpuE9ELNS1_3repE0EEENS1_30default_config_static_selectorELNS0_4arch9wavefront6targetE1EEEvT1_,"axG",@progbits,_ZN7rocprim17ROCPRIM_400000_NS6detail17trampoline_kernelINS0_14default_configENS1_25partition_config_selectorILNS1_17partition_subalgoE2EyNS0_10empty_typeEbEEZZNS1_14partition_implILS5_2ELb0ES3_jN6thrust23THRUST_200600_302600_NS6detail15normal_iteratorINSA_7pointerIyNSA_11hip_rocprim3tagENSA_11use_defaultESG_EEEEPS6_NSA_18transform_iteratorI7is_evenIyENSC_INSA_10device_ptrIyEEEESG_SG_EENS0_5tupleIJPySJ_EEENSR_IJSJ_SJ_EEES6_PlJS6_EEE10hipError_tPvRmT3_T4_T5_T6_T7_T9_mT8_P12ihipStream_tbDpT10_ENKUlT_T0_E_clISt17integral_constantIbLb1EES1F_EEDaS1A_S1B_EUlS1A_E_NS1_11comp_targetILNS1_3genE5ELNS1_11target_archE942ELNS1_3gpuE9ELNS1_3repE0EEENS1_30default_config_static_selectorELNS0_4arch9wavefront6targetE1EEEvT1_,comdat
	.protected	_ZN7rocprim17ROCPRIM_400000_NS6detail17trampoline_kernelINS0_14default_configENS1_25partition_config_selectorILNS1_17partition_subalgoE2EyNS0_10empty_typeEbEEZZNS1_14partition_implILS5_2ELb0ES3_jN6thrust23THRUST_200600_302600_NS6detail15normal_iteratorINSA_7pointerIyNSA_11hip_rocprim3tagENSA_11use_defaultESG_EEEEPS6_NSA_18transform_iteratorI7is_evenIyENSC_INSA_10device_ptrIyEEEESG_SG_EENS0_5tupleIJPySJ_EEENSR_IJSJ_SJ_EEES6_PlJS6_EEE10hipError_tPvRmT3_T4_T5_T6_T7_T9_mT8_P12ihipStream_tbDpT10_ENKUlT_T0_E_clISt17integral_constantIbLb1EES1F_EEDaS1A_S1B_EUlS1A_E_NS1_11comp_targetILNS1_3genE5ELNS1_11target_archE942ELNS1_3gpuE9ELNS1_3repE0EEENS1_30default_config_static_selectorELNS0_4arch9wavefront6targetE1EEEvT1_ ; -- Begin function _ZN7rocprim17ROCPRIM_400000_NS6detail17trampoline_kernelINS0_14default_configENS1_25partition_config_selectorILNS1_17partition_subalgoE2EyNS0_10empty_typeEbEEZZNS1_14partition_implILS5_2ELb0ES3_jN6thrust23THRUST_200600_302600_NS6detail15normal_iteratorINSA_7pointerIyNSA_11hip_rocprim3tagENSA_11use_defaultESG_EEEEPS6_NSA_18transform_iteratorI7is_evenIyENSC_INSA_10device_ptrIyEEEESG_SG_EENS0_5tupleIJPySJ_EEENSR_IJSJ_SJ_EEES6_PlJS6_EEE10hipError_tPvRmT3_T4_T5_T6_T7_T9_mT8_P12ihipStream_tbDpT10_ENKUlT_T0_E_clISt17integral_constantIbLb1EES1F_EEDaS1A_S1B_EUlS1A_E_NS1_11comp_targetILNS1_3genE5ELNS1_11target_archE942ELNS1_3gpuE9ELNS1_3repE0EEENS1_30default_config_static_selectorELNS0_4arch9wavefront6targetE1EEEvT1_
	.globl	_ZN7rocprim17ROCPRIM_400000_NS6detail17trampoline_kernelINS0_14default_configENS1_25partition_config_selectorILNS1_17partition_subalgoE2EyNS0_10empty_typeEbEEZZNS1_14partition_implILS5_2ELb0ES3_jN6thrust23THRUST_200600_302600_NS6detail15normal_iteratorINSA_7pointerIyNSA_11hip_rocprim3tagENSA_11use_defaultESG_EEEEPS6_NSA_18transform_iteratorI7is_evenIyENSC_INSA_10device_ptrIyEEEESG_SG_EENS0_5tupleIJPySJ_EEENSR_IJSJ_SJ_EEES6_PlJS6_EEE10hipError_tPvRmT3_T4_T5_T6_T7_T9_mT8_P12ihipStream_tbDpT10_ENKUlT_T0_E_clISt17integral_constantIbLb1EES1F_EEDaS1A_S1B_EUlS1A_E_NS1_11comp_targetILNS1_3genE5ELNS1_11target_archE942ELNS1_3gpuE9ELNS1_3repE0EEENS1_30default_config_static_selectorELNS0_4arch9wavefront6targetE1EEEvT1_
	.p2align	8
	.type	_ZN7rocprim17ROCPRIM_400000_NS6detail17trampoline_kernelINS0_14default_configENS1_25partition_config_selectorILNS1_17partition_subalgoE2EyNS0_10empty_typeEbEEZZNS1_14partition_implILS5_2ELb0ES3_jN6thrust23THRUST_200600_302600_NS6detail15normal_iteratorINSA_7pointerIyNSA_11hip_rocprim3tagENSA_11use_defaultESG_EEEEPS6_NSA_18transform_iteratorI7is_evenIyENSC_INSA_10device_ptrIyEEEESG_SG_EENS0_5tupleIJPySJ_EEENSR_IJSJ_SJ_EEES6_PlJS6_EEE10hipError_tPvRmT3_T4_T5_T6_T7_T9_mT8_P12ihipStream_tbDpT10_ENKUlT_T0_E_clISt17integral_constantIbLb1EES1F_EEDaS1A_S1B_EUlS1A_E_NS1_11comp_targetILNS1_3genE5ELNS1_11target_archE942ELNS1_3gpuE9ELNS1_3repE0EEENS1_30default_config_static_selectorELNS0_4arch9wavefront6targetE1EEEvT1_,@function
_ZN7rocprim17ROCPRIM_400000_NS6detail17trampoline_kernelINS0_14default_configENS1_25partition_config_selectorILNS1_17partition_subalgoE2EyNS0_10empty_typeEbEEZZNS1_14partition_implILS5_2ELb0ES3_jN6thrust23THRUST_200600_302600_NS6detail15normal_iteratorINSA_7pointerIyNSA_11hip_rocprim3tagENSA_11use_defaultESG_EEEEPS6_NSA_18transform_iteratorI7is_evenIyENSC_INSA_10device_ptrIyEEEESG_SG_EENS0_5tupleIJPySJ_EEENSR_IJSJ_SJ_EEES6_PlJS6_EEE10hipError_tPvRmT3_T4_T5_T6_T7_T9_mT8_P12ihipStream_tbDpT10_ENKUlT_T0_E_clISt17integral_constantIbLb1EES1F_EEDaS1A_S1B_EUlS1A_E_NS1_11comp_targetILNS1_3genE5ELNS1_11target_archE942ELNS1_3gpuE9ELNS1_3repE0EEENS1_30default_config_static_selectorELNS0_4arch9wavefront6targetE1EEEvT1_: ; @_ZN7rocprim17ROCPRIM_400000_NS6detail17trampoline_kernelINS0_14default_configENS1_25partition_config_selectorILNS1_17partition_subalgoE2EyNS0_10empty_typeEbEEZZNS1_14partition_implILS5_2ELb0ES3_jN6thrust23THRUST_200600_302600_NS6detail15normal_iteratorINSA_7pointerIyNSA_11hip_rocprim3tagENSA_11use_defaultESG_EEEEPS6_NSA_18transform_iteratorI7is_evenIyENSC_INSA_10device_ptrIyEEEESG_SG_EENS0_5tupleIJPySJ_EEENSR_IJSJ_SJ_EEES6_PlJS6_EEE10hipError_tPvRmT3_T4_T5_T6_T7_T9_mT8_P12ihipStream_tbDpT10_ENKUlT_T0_E_clISt17integral_constantIbLb1EES1F_EEDaS1A_S1B_EUlS1A_E_NS1_11comp_targetILNS1_3genE5ELNS1_11target_archE942ELNS1_3gpuE9ELNS1_3repE0EEENS1_30default_config_static_selectorELNS0_4arch9wavefront6targetE1EEEvT1_
; %bb.0:
	s_load_dwordx2 s[2:3], s[0:1], 0x20
	s_load_dwordx2 s[28:29], s[0:1], 0x30
	;; [unrolled: 1-line block ×3, first 2 shown]
	s_load_dwordx4 s[20:23], s[0:1], 0x50
	s_load_dwordx2 s[36:37], s[0:1], 0x70
	v_cmp_eq_u32_e64 s[18:19], 0, v0
	s_and_saveexec_b64 s[4:5], s[18:19]
	s_cbranch_execz .LBB2013_4
; %bb.1:
	s_mov_b64 s[8:9], exec
	v_mbcnt_lo_u32_b32 v1, s8, 0
	v_mbcnt_hi_u32_b32 v1, s9, v1
	v_cmp_eq_u32_e32 vcc, 0, v1
                                        ; implicit-def: $vgpr2
	s_and_saveexec_b64 s[6:7], vcc
	s_cbranch_execz .LBB2013_3
; %bb.2:
	s_load_dwordx2 s[10:11], s[0:1], 0x80
	s_bcnt1_i32_b64 s8, s[8:9]
	v_mov_b32_e32 v2, 0
	v_mov_b32_e32 v3, s8
	s_waitcnt lgkmcnt(0)
	global_atomic_add v2, v2, v3, s[10:11] sc0
.LBB2013_3:
	s_or_b64 exec, exec, s[6:7]
	s_waitcnt vmcnt(0)
	v_readfirstlane_b32 s6, v2
	v_mov_b32_e32 v2, 0
	s_nop 0
	v_add_u32_e32 v1, s6, v1
	ds_write_b32 v2, v1
.LBB2013_4:
	s_or_b64 exec, exec, s[4:5]
	v_mov_b32_e32 v19, 0
	s_load_dwordx4 s[24:27], s[0:1], 0x8
	s_load_dword s6, s[0:1], 0x78
	s_waitcnt lgkmcnt(0)
	s_barrier
	ds_read_b32 v1, v19
	s_waitcnt lgkmcnt(0)
	s_barrier
	global_load_dwordx2 v[20:21], v19, s[22:23]
	s_lshl_b64 s[4:5], s[26:27], 3
	s_add_u32 s8, s24, s4
	s_mul_i32 s0, s6, 0xe00
	s_addc_u32 s9, s25, s5
	s_add_i32 s1, s0, s26
	s_sub_i32 s33, s30, s1
	s_add_i32 s7, s6, -1
	s_addk_i32 s33, 0xe00
	s_add_u32 s0, s26, s0
	v_readfirstlane_b32 s42, v1
	s_addc_u32 s1, s27, 0
	s_cmp_eq_u32 s42, s7
	v_mov_b64_e32 v[2:3], s[30:31]
	s_cselect_b64 s[22:23], -1, 0
	s_cmp_lg_u32 s42, s7
	s_mul_i32 s24, s42, 0xe00
	s_mov_b32 s25, 0
	v_cmp_lt_u64_e32 vcc, s[0:1], v[2:3]
	s_cselect_b64 s[0:1], -1, 0
	s_or_b64 s[34:35], vcc, s[0:1]
	s_lshl_b64 s[6:7], s[24:25], 3
	s_add_u32 s8, s8, s6
	s_addc_u32 s9, s9, s7
	s_mov_b64 s[0:1], -1
	s_and_b64 vcc, exec, s[34:35]
	v_lshlrev_b32_e32 v18, 3, v0
	s_cbranch_vccz .LBB2013_6
; %bb.5:
	v_lshl_add_u64 v[2:3], s[8:9], 0, v[18:19]
	v_add_co_u32_e32 v4, vcc, 0x1000, v2
	s_mov_b64 s[0:1], 0
	s_nop 0
	v_addc_co_u32_e32 v5, vcc, 0, v3, vcc
	v_add_co_u32_e32 v6, vcc, 0x2000, v2
	s_nop 1
	v_addc_co_u32_e32 v7, vcc, 0, v3, vcc
	v_add_co_u32_e32 v8, vcc, 0x3000, v2
	s_nop 1
	v_addc_co_u32_e32 v9, vcc, 0, v3, vcc
	flat_load_dwordx2 v[10:11], v[2:3]
	flat_load_dwordx2 v[12:13], v[4:5]
	;; [unrolled: 1-line block ×4, first 2 shown]
	v_add_co_u32_e32 v4, vcc, 0x4000, v2
	s_nop 1
	v_addc_co_u32_e32 v5, vcc, 0, v3, vcc
	v_add_co_u32_e32 v6, vcc, 0x5000, v2
	s_nop 1
	v_addc_co_u32_e32 v7, vcc, 0, v3, vcc
	;; [unrolled: 3-line block ×3, first 2 shown]
	flat_load_dwordx2 v[8:9], v[4:5]
	flat_load_dwordx2 v[22:23], v[6:7]
	;; [unrolled: 1-line block ×3, first 2 shown]
	s_waitcnt vmcnt(0) lgkmcnt(0)
	ds_write2st64_b64 v18, v[10:11], v[12:13] offset1:8
	ds_write2st64_b64 v18, v[14:15], v[16:17] offset0:16 offset1:24
	ds_write2st64_b64 v18, v[8:9], v[22:23] offset0:32 offset1:40
	ds_write_b64 v18, v[24:25] offset:24576
	s_waitcnt lgkmcnt(0)
	s_barrier
.LBB2013_6:
	s_andn2_b64 vcc, exec, s[0:1]
	v_cmp_gt_u32_e64 s[0:1], s33, v0
	s_cbranch_vccnz .LBB2013_22
; %bb.7:
                                        ; implicit-def: $vgpr2_vgpr3_vgpr4_vgpr5_vgpr6_vgpr7_vgpr8_vgpr9_vgpr10_vgpr11_vgpr12_vgpr13_vgpr14_vgpr15_vgpr16_vgpr17
	s_and_saveexec_b64 s[10:11], s[0:1]
	s_cbranch_execz .LBB2013_9
; %bb.8:
	v_mov_b32_e32 v19, 0
	v_lshl_add_u64 v[2:3], s[8:9], 0, v[18:19]
	flat_load_dwordx2 v[2:3], v[2:3]
.LBB2013_9:
	s_or_b64 exec, exec, s[10:11]
	v_or_b32_e32 v1, 0x200, v0
	v_cmp_gt_u32_e32 vcc, s33, v1
	s_and_saveexec_b64 s[0:1], vcc
	s_cbranch_execz .LBB2013_11
; %bb.10:
	v_lshlrev_b32_e32 v4, 3, v1
	v_mov_b32_e32 v5, 0
	v_lshl_add_u64 v[4:5], s[8:9], 0, v[4:5]
	flat_load_dwordx2 v[4:5], v[4:5]
.LBB2013_11:
	s_or_b64 exec, exec, s[0:1]
	v_or_b32_e32 v1, 0x400, v0
	v_cmp_gt_u32_e32 vcc, s33, v1
	s_and_saveexec_b64 s[0:1], vcc
	s_cbranch_execz .LBB2013_13
; %bb.12:
	v_lshlrev_b32_e32 v6, 3, v1
	v_mov_b32_e32 v7, 0
	v_lshl_add_u64 v[6:7], s[8:9], 0, v[6:7]
	flat_load_dwordx2 v[6:7], v[6:7]
.LBB2013_13:
	;; [unrolled: 11-line block ×6, first 2 shown]
	s_or_b64 exec, exec, s[0:1]
	s_waitcnt vmcnt(0) lgkmcnt(0)
	ds_write2st64_b64 v18, v[2:3], v[4:5] offset1:8
	ds_write2st64_b64 v18, v[6:7], v[8:9] offset0:16 offset1:24
	ds_write2st64_b64 v18, v[10:11], v[12:13] offset0:32 offset1:40
	ds_write_b64 v18, v[14:15] offset:24576
	s_waitcnt lgkmcnt(0)
	s_barrier
.LBB2013_22:
	v_mul_u32_u24_e32 v1, 7, v0
	v_lshlrev_b32_e32 v16, 3, v1
	ds_read2_b64 v[10:13], v16 offset1:1
	ds_read2_b64 v[6:9], v16 offset0:2 offset1:3
	ds_read2_b64 v[2:5], v16 offset0:4 offset1:5
	ds_read_b64 v[14:15], v16 offset:48
	s_add_u32 s0, s2, s4
	s_addc_u32 s1, s3, s5
	s_add_u32 s0, s0, s6
	s_addc_u32 s1, s1, s7
	s_mov_b64 s[2:3], -1
	s_and_b64 vcc, exec, s[34:35]
	s_waitcnt lgkmcnt(0)
	s_barrier
	s_cbranch_vccz .LBB2013_24
; %bb.23:
	v_mov_b32_e32 v19, 0
	v_lshl_add_u64 v[22:23], s[0:1], 0, v[18:19]
	v_add_co_u32_e32 v26, vcc, 0x1000, v22
	global_load_dwordx2 v[24:25], v18, s[0:1]
	s_nop 0
	v_addc_co_u32_e32 v27, vcc, 0, v23, vcc
	v_add_co_u32_e32 v28, vcc, 0x2000, v22
	s_mov_b64 s[2:3], 0
	s_nop 0
	v_addc_co_u32_e32 v29, vcc, 0, v23, vcc
	v_add_co_u32_e32 v30, vcc, 0x3000, v22
	s_waitcnt vmcnt(0)
	v_xor_b32_e32 v17, -1, v24
	v_addc_co_u32_e32 v31, vcc, 0, v23, vcc
	v_add_co_u32_e32 v32, vcc, 0x4000, v22
	v_and_b32_e32 v17, 1, v17
	s_nop 0
	v_addc_co_u32_e32 v33, vcc, 0, v23, vcc
	global_load_dwordx2 v[34:35], v[26:27], off
	global_load_dwordx2 v[36:37], v[28:29], off
	;; [unrolled: 1-line block ×4, first 2 shown]
	v_add_co_u32_e32 v26, vcc, 0x5000, v22
	ds_write_b8 v0, v17
	s_nop 0
	v_addc_co_u32_e32 v27, vcc, 0, v23, vcc
	v_add_co_u32_e32 v22, vcc, 0x6000, v22
	global_load_dwordx2 v[26:27], v[26:27], off
	s_nop 0
	v_addc_co_u32_e32 v23, vcc, 0, v23, vcc
	global_load_dwordx2 v[22:23], v[22:23], off
	s_waitcnt vmcnt(5)
	v_xor_b32_e32 v17, -1, v34
	v_and_b32_e32 v17, 1, v17
	s_waitcnt vmcnt(4)
	v_xor_b32_e32 v19, -1, v36
	s_waitcnt vmcnt(0)
	v_xor_b32_e32 v23, -1, v38
	v_and_b32_e32 v19, 1, v19
	ds_write_b8 v0, v17 offset:512
	v_and_b32_e32 v17, 1, v23
	v_xor_b32_e32 v23, -1, v40
	ds_write_b8 v0, v19 offset:1024
	v_and_b32_e32 v19, 1, v23
	ds_write_b8 v0, v17 offset:1536
	v_xor_b32_e32 v23, -1, v26
	v_and_b32_e32 v17, 1, v23
	ds_write_b8 v0, v19 offset:2048
	v_xor_b32_e32 v22, -1, v22
	v_and_b32_e32 v19, 1, v22
	ds_write_b8 v0, v17 offset:2560
	ds_write_b8 v0, v19 offset:3072
	s_waitcnt lgkmcnt(0)
	s_barrier
.LBB2013_24:
	s_andn2_b64 vcc, exec, s[2:3]
	s_cbranch_vccnz .LBB2013_40
; %bb.25:
	v_cmp_gt_u32_e32 vcc, s33, v0
	v_mov_b32_e32 v17, 0
	v_mov_b32_e32 v19, 0
	s_and_saveexec_b64 s[2:3], vcc
	s_cbranch_execz .LBB2013_27
; %bb.26:
	global_load_dwordx2 v[22:23], v18, s[0:1]
	s_waitcnt vmcnt(0)
	v_xor_b32_e32 v19, -1, v22
	v_and_b32_e32 v19, 1, v19
.LBB2013_27:
	s_or_b64 exec, exec, s[2:3]
	v_or_b32_e32 v22, 0x200, v0
	v_cmp_gt_u32_e32 vcc, s33, v22
	s_and_saveexec_b64 s[2:3], vcc
	s_cbranch_execz .LBB2013_29
; %bb.28:
	v_lshlrev_b32_e32 v17, 3, v22
	global_load_dwordx2 v[22:23], v17, s[0:1]
	s_waitcnt vmcnt(0)
	v_xor_b32_e32 v17, -1, v22
	v_and_b32_e32 v17, 1, v17
.LBB2013_29:
	s_or_b64 exec, exec, s[2:3]
	v_or_b32_e32 v24, 0x400, v0
	v_cmp_gt_u32_e32 vcc, s33, v24
	v_mov_b32_e32 v22, 0
	v_mov_b32_e32 v23, 0
	s_and_saveexec_b64 s[2:3], vcc
	s_cbranch_execz .LBB2013_31
; %bb.30:
	v_lshlrev_b32_e32 v23, 3, v24
	global_load_dwordx2 v[24:25], v23, s[0:1]
	s_waitcnt vmcnt(0)
	v_xor_b32_e32 v23, -1, v24
	v_and_b32_e32 v23, 1, v23
.LBB2013_31:
	s_or_b64 exec, exec, s[2:3]
	v_or_b32_e32 v24, 0x600, v0
	v_cmp_gt_u32_e32 vcc, s33, v24
	s_and_saveexec_b64 s[2:3], vcc
	s_cbranch_execz .LBB2013_33
; %bb.32:
	v_lshlrev_b32_e32 v22, 3, v24
	global_load_dwordx2 v[24:25], v22, s[0:1]
	s_waitcnt vmcnt(0)
	v_xor_b32_e32 v22, -1, v24
	v_and_b32_e32 v22, 1, v22
.LBB2013_33:
	s_or_b64 exec, exec, s[2:3]
	v_or_b32_e32 v26, 0x800, v0
	v_cmp_gt_u32_e32 vcc, s33, v26
	v_mov_b32_e32 v24, 0
	v_mov_b32_e32 v25, 0
	s_and_saveexec_b64 s[2:3], vcc
	s_cbranch_execz .LBB2013_35
; %bb.34:
	v_lshlrev_b32_e32 v25, 3, v26
	global_load_dwordx2 v[26:27], v25, s[0:1]
	s_waitcnt vmcnt(0)
	v_xor_b32_e32 v25, -1, v26
	v_and_b32_e32 v25, 1, v25
.LBB2013_35:
	s_or_b64 exec, exec, s[2:3]
	v_or_b32_e32 v26, 0xa00, v0
	v_cmp_gt_u32_e32 vcc, s33, v26
	s_and_saveexec_b64 s[2:3], vcc
	s_cbranch_execz .LBB2013_37
; %bb.36:
	v_lshlrev_b32_e32 v24, 3, v26
	global_load_dwordx2 v[26:27], v24, s[0:1]
	s_waitcnt vmcnt(0)
	v_xor_b32_e32 v24, -1, v26
	v_and_b32_e32 v24, 1, v24
.LBB2013_37:
	s_or_b64 exec, exec, s[2:3]
	v_or_b32_e32 v27, 0xc00, v0
	v_cmp_gt_u32_e32 vcc, s33, v27
	v_mov_b32_e32 v26, 0
	s_and_saveexec_b64 s[2:3], vcc
	s_cbranch_execz .LBB2013_39
; %bb.38:
	v_lshlrev_b32_e32 v26, 3, v27
	global_load_dwordx2 v[26:27], v26, s[0:1]
	s_waitcnt vmcnt(0)
	v_xor_b32_e32 v26, -1, v26
	v_and_b32_e32 v26, 1, v26
.LBB2013_39:
	s_or_b64 exec, exec, s[2:3]
	ds_write_b8 v0, v19
	ds_write_b8 v0, v17 offset:512
	ds_write_b8 v0, v23 offset:1024
	;; [unrolled: 1-line block ×6, first 2 shown]
	s_waitcnt lgkmcnt(0)
	s_barrier
.LBB2013_40:
	s_movk_i32 s0, 0xffcf
	v_mad_i32_i24 v38, v0, s0, v16
	ds_read_u8 v16, v38
	ds_read_u8 v17, v38 offset:1
	ds_read_u8 v19, v38 offset:2
	;; [unrolled: 1-line block ×6, first 2 shown]
	s_waitcnt lgkmcnt(6)
	v_and_b32_e32 v36, 1, v16
	s_waitcnt lgkmcnt(5)
	v_and_b32_e32 v35, 1, v17
	;; [unrolled: 2-line block ×5, first 2 shown]
	v_add3_u32 v16, v35, v36, v33
	s_waitcnt lgkmcnt(1)
	v_and_b32_e32 v30, 1, v24
	s_waitcnt lgkmcnt(0)
	v_and_b32_e32 v19, 1, v25
	v_add3_u32 v16, v16, v32, v31
	v_add3_u32 v40, v16, v30, v19
	v_mbcnt_lo_u32_b32 v16, -1, 0
	v_mbcnt_hi_u32_b32 v37, -1, v16
	v_and_b32_e32 v16, 15, v37
	v_cmp_eq_u32_e64 s[14:15], 0, v16
	v_cmp_lt_u32_e64 s[12:13], 1, v16
	v_cmp_lt_u32_e64 s[10:11], 3, v16
	;; [unrolled: 1-line block ×3, first 2 shown]
	v_and_b32_e32 v16, 16, v37
	v_cmp_eq_u32_e64 s[6:7], 0, v16
	v_or_b32_e32 v16, 63, v0
	s_cmp_lg_u32 s42, 0
	v_cmp_lt_u32_e64 s[2:3], 31, v37
	v_lshrrev_b32_e32 v39, 6, v0
	v_cmp_eq_u32_e64 s[4:5], v16, v0
	s_barrier
	s_cbranch_scc0 .LBB2013_71
; %bb.41:
	v_mov_b32_dpp v16, v40 row_shr:1 row_mask:0xf bank_mask:0xf
	v_cndmask_b32_e64 v16, v16, 0, s[14:15]
	v_add_u32_e32 v16, v16, v40
	s_nop 1
	v_mov_b32_dpp v17, v16 row_shr:2 row_mask:0xf bank_mask:0xf
	v_cndmask_b32_e64 v17, 0, v17, s[12:13]
	v_add_u32_e32 v16, v16, v17
	s_nop 1
	;; [unrolled: 4-line block ×4, first 2 shown]
	v_mov_b32_dpp v17, v16 row_bcast:15 row_mask:0xf bank_mask:0xf
	v_cndmask_b32_e64 v17, v17, 0, s[6:7]
	v_add_u32_e32 v16, v16, v17
	s_nop 1
	v_mov_b32_dpp v17, v16 row_bcast:31 row_mask:0xf bank_mask:0xf
	v_cndmask_b32_e64 v17, 0, v17, s[2:3]
	v_add_u32_e32 v16, v16, v17
	s_and_saveexec_b64 s[0:1], s[4:5]
	s_cbranch_execz .LBB2013_43
; %bb.42:
	v_lshlrev_b32_e32 v17, 2, v39
	ds_write_b32 v17, v16
.LBB2013_43:
	s_or_b64 exec, exec, s[0:1]
	v_cmp_gt_u32_e32 vcc, 8, v0
	s_waitcnt lgkmcnt(0)
	s_barrier
	s_and_saveexec_b64 s[0:1], vcc
	s_cbranch_execz .LBB2013_45
; %bb.44:
	v_lshlrev_b32_e32 v17, 2, v0
	ds_read_b32 v22, v17
	v_and_b32_e32 v23, 7, v37
	v_cmp_ne_u32_e32 vcc, 0, v23
	s_waitcnt lgkmcnt(0)
	v_mov_b32_dpp v24, v22 row_shr:1 row_mask:0xf bank_mask:0xf
	v_cndmask_b32_e32 v24, 0, v24, vcc
	v_add_u32_e32 v22, v24, v22
	v_cmp_lt_u32_e32 vcc, 1, v23
	s_nop 0
	v_mov_b32_dpp v24, v22 row_shr:2 row_mask:0xf bank_mask:0xf
	v_cndmask_b32_e32 v24, 0, v24, vcc
	v_add_u32_e32 v22, v22, v24
	v_cmp_lt_u32_e32 vcc, 3, v23
	s_nop 0
	v_mov_b32_dpp v24, v22 row_shr:4 row_mask:0xf bank_mask:0xf
	v_cndmask_b32_e32 v23, 0, v24, vcc
	v_add_u32_e32 v22, v22, v23
	ds_write_b32 v17, v22
.LBB2013_45:
	s_or_b64 exec, exec, s[0:1]
	v_cmp_gt_u32_e32 vcc, 64, v0
	v_cmp_lt_u32_e64 s[0:1], 63, v0
	s_waitcnt lgkmcnt(0)
	s_barrier
	s_waitcnt lgkmcnt(0)
                                        ; implicit-def: $vgpr34
	s_and_saveexec_b64 s[16:17], s[0:1]
	s_cbranch_execz .LBB2013_47
; %bb.46:
	v_lshl_add_u32 v17, v39, 2, -4
	ds_read_b32 v34, v17
	s_waitcnt lgkmcnt(0)
	v_add_u32_e32 v16, v34, v16
.LBB2013_47:
	s_or_b64 exec, exec, s[16:17]
	v_add_u32_e32 v17, -1, v37
	v_and_b32_e32 v22, 64, v37
	v_cmp_lt_i32_e64 s[0:1], v17, v22
	v_cmp_eq_u32_e64 s[16:17], 0, v37
	s_nop 0
	v_cndmask_b32_e64 v17, v17, v37, s[0:1]
	v_lshlrev_b32_e32 v17, 2, v17
	ds_bpermute_b32 v41, v17, v16
	s_and_saveexec_b64 s[0:1], vcc
	s_cbranch_execz .LBB2013_70
; %bb.48:
	v_mov_b32_e32 v29, 0
	ds_read_b32 v16, v29 offset:28
	s_and_saveexec_b64 s[38:39], s[16:17]
	s_cbranch_execz .LBB2013_50
; %bb.49:
	s_add_i32 s40, s42, 64
	s_mov_b32 s41, 0
	s_lshl_b64 s[40:41], s[40:41], 3
	s_add_u32 s40, s36, s40
	v_mov_b32_e32 v17, 1
	s_addc_u32 s41, s37, s41
	s_waitcnt lgkmcnt(0)
	global_store_dwordx2 v29, v[16:17], s[40:41] sc1
.LBB2013_50:
	s_or_b64 exec, exec, s[38:39]
	v_xad_u32 v22, v37, -1, s42
	v_add_u32_e32 v28, 64, v22
	v_lshl_add_u64 v[24:25], v[28:29], 3, s[36:37]
	global_load_dwordx2 v[26:27], v[24:25], off sc1
	s_waitcnt vmcnt(0)
	v_cmp_eq_u16_sdwa s[40:41], v27, v29 src0_sel:BYTE_0 src1_sel:DWORD
	s_and_saveexec_b64 s[38:39], s[40:41]
	s_cbranch_execz .LBB2013_56
; %bb.51:
	s_mov_b32 s25, 1
	s_mov_b64 s[40:41], 0
	v_mov_b32_e32 v17, 0
.LBB2013_52:                            ; =>This Loop Header: Depth=1
                                        ;     Child Loop BB2013_53 Depth 2
	s_max_u32 s43, s25, 1
.LBB2013_53:                            ;   Parent Loop BB2013_52 Depth=1
                                        ; =>  This Inner Loop Header: Depth=2
	s_add_i32 s43, s43, -1
	s_cmp_eq_u32 s43, 0
	s_sleep 1
	s_cbranch_scc0 .LBB2013_53
; %bb.54:                               ;   in Loop: Header=BB2013_52 Depth=1
	global_load_dwordx2 v[26:27], v[24:25], off sc1
	s_cmp_lt_u32 s25, 32
	s_cselect_b64 s[44:45], -1, 0
	s_cmp_lg_u64 s[44:45], 0
	s_addc_u32 s25, s25, 0
	s_waitcnt vmcnt(0)
	v_cmp_ne_u16_sdwa s[44:45], v27, v17 src0_sel:BYTE_0 src1_sel:DWORD
	s_or_b64 s[40:41], s[44:45], s[40:41]
	s_andn2_b64 exec, exec, s[40:41]
	s_cbranch_execnz .LBB2013_52
; %bb.55:
	s_or_b64 exec, exec, s[40:41]
.LBB2013_56:
	s_or_b64 exec, exec, s[38:39]
	v_and_b32_e32 v43, 63, v37
	v_mov_b32_e32 v42, 2
	v_cmp_ne_u32_e32 vcc, 63, v43
	v_cmp_eq_u16_sdwa s[38:39], v27, v42 src0_sel:BYTE_0 src1_sel:DWORD
	v_lshlrev_b64 v[24:25], v37, -1
	v_addc_co_u32_e32 v28, vcc, 0, v37, vcc
	v_and_b32_e32 v17, s39, v25
	v_lshlrev_b32_e32 v44, 2, v28
	v_or_b32_e32 v17, 0x80000000, v17
	ds_bpermute_b32 v28, v44, v26
	v_and_b32_e32 v23, s38, v24
	v_ffbl_b32_e32 v17, v17
	v_add_u32_e32 v17, 32, v17
	v_ffbl_b32_e32 v23, v23
	v_min_u32_e32 v17, v23, v17
	v_cmp_lt_u32_e32 vcc, v43, v17
	v_add_u32_e32 v46, 2, v43
	v_add_u32_e32 v48, 4, v43
	s_waitcnt lgkmcnt(0)
	v_cndmask_b32_e32 v23, 0, v28, vcc
	v_cmp_gt_u32_e32 vcc, 62, v43
	v_add_u32_e32 v23, v23, v26
	v_add_u32_e32 v50, 8, v43
	v_cndmask_b32_e64 v26, 0, 1, vcc
	v_lshlrev_b32_e32 v26, 1, v26
	v_add_lshl_u32 v45, v26, v37, 2
	ds_bpermute_b32 v26, v45, v23
	v_cmp_le_u32_e32 vcc, v46, v17
	v_add_u32_e32 v52, 16, v43
	v_add_u32_e32 v54, 32, v43
	s_waitcnt lgkmcnt(0)
	v_cndmask_b32_e32 v26, 0, v26, vcc
	v_cmp_gt_u32_e32 vcc, 60, v43
	v_add_u32_e32 v23, v23, v26
	s_nop 0
	v_cndmask_b32_e64 v26, 0, 1, vcc
	v_lshlrev_b32_e32 v26, 2, v26
	v_add_lshl_u32 v47, v26, v37, 2
	ds_bpermute_b32 v26, v47, v23
	v_cmp_le_u32_e32 vcc, v48, v17
	s_waitcnt lgkmcnt(0)
	s_nop 0
	v_cndmask_b32_e32 v26, 0, v26, vcc
	v_cmp_gt_u32_e32 vcc, 56, v43
	v_add_u32_e32 v23, v23, v26
	s_nop 0
	v_cndmask_b32_e64 v26, 0, 1, vcc
	v_lshlrev_b32_e32 v26, 3, v26
	v_add_lshl_u32 v49, v26, v37, 2
	ds_bpermute_b32 v26, v49, v23
	v_cmp_le_u32_e32 vcc, v50, v17
	s_waitcnt lgkmcnt(0)
	s_nop 0
	;; [unrolled: 11-line block ×4, first 2 shown]
	v_cndmask_b32_e32 v17, 0, v26, vcc
	v_add_u32_e32 v26, v23, v17
	v_mov_b32_e32 v23, 0
	s_branch .LBB2013_58
.LBB2013_57:                            ;   in Loop: Header=BB2013_58 Depth=1
	s_or_b64 exec, exec, s[38:39]
	v_cmp_eq_u16_sdwa s[38:39], v27, v42 src0_sel:BYTE_0 src1_sel:DWORD
	ds_bpermute_b32 v55, v44, v26
	v_subrev_u32_e32 v22, 64, v22
	v_and_b32_e32 v28, s39, v25
	v_or_b32_e32 v28, 0x80000000, v28
	v_and_b32_e32 v29, s38, v24
	v_ffbl_b32_e32 v28, v28
	v_add_u32_e32 v28, 32, v28
	v_ffbl_b32_e32 v29, v29
	v_min_u32_e32 v28, v29, v28
	v_cmp_lt_u32_e32 vcc, v43, v28
	s_waitcnt lgkmcnt(0)
	s_nop 0
	v_cndmask_b32_e32 v29, 0, v55, vcc
	v_add_u32_e32 v26, v29, v26
	ds_bpermute_b32 v29, v45, v26
	v_cmp_le_u32_e32 vcc, v46, v28
	s_waitcnt lgkmcnt(0)
	s_nop 0
	v_cndmask_b32_e32 v29, 0, v29, vcc
	v_add_u32_e32 v26, v26, v29
	ds_bpermute_b32 v29, v47, v26
	v_cmp_le_u32_e32 vcc, v48, v28
	;; [unrolled: 6-line block ×5, first 2 shown]
	s_waitcnt lgkmcnt(0)
	s_nop 0
	v_cndmask_b32_e32 v28, 0, v29, vcc
	v_add3_u32 v26, v28, v17, v26
.LBB2013_58:                            ; =>This Loop Header: Depth=1
                                        ;     Child Loop BB2013_61 Depth 2
                                        ;       Child Loop BB2013_62 Depth 3
	v_cmp_ne_u16_sdwa s[38:39], v27, v42 src0_sel:BYTE_0 src1_sel:DWORD
	s_nop 1
	v_cndmask_b32_e64 v17, 0, 1, s[38:39]
	;;#ASMSTART
	;;#ASMEND
	s_nop 0
	v_cmp_ne_u32_e32 vcc, 0, v17
	s_cmp_lg_u64 vcc, exec
	v_mov_b32_e32 v17, v26
	s_cbranch_scc1 .LBB2013_65
; %bb.59:                               ;   in Loop: Header=BB2013_58 Depth=1
	v_lshl_add_u64 v[28:29], v[22:23], 3, s[36:37]
	global_load_dwordx2 v[26:27], v[28:29], off sc1
	s_waitcnt vmcnt(0)
	v_cmp_eq_u16_sdwa s[40:41], v27, v23 src0_sel:BYTE_0 src1_sel:DWORD
	s_and_saveexec_b64 s[38:39], s[40:41]
	s_cbranch_execz .LBB2013_57
; %bb.60:                               ;   in Loop: Header=BB2013_58 Depth=1
	s_mov_b32 s25, 1
	s_mov_b64 s[40:41], 0
.LBB2013_61:                            ;   Parent Loop BB2013_58 Depth=1
                                        ; =>  This Loop Header: Depth=2
                                        ;       Child Loop BB2013_62 Depth 3
	s_max_u32 s43, s25, 1
.LBB2013_62:                            ;   Parent Loop BB2013_58 Depth=1
                                        ;     Parent Loop BB2013_61 Depth=2
                                        ; =>    This Inner Loop Header: Depth=3
	s_add_i32 s43, s43, -1
	s_cmp_eq_u32 s43, 0
	s_sleep 1
	s_cbranch_scc0 .LBB2013_62
; %bb.63:                               ;   in Loop: Header=BB2013_61 Depth=2
	global_load_dwordx2 v[26:27], v[28:29], off sc1
	s_cmp_lt_u32 s25, 32
	s_cselect_b64 s[44:45], -1, 0
	s_cmp_lg_u64 s[44:45], 0
	s_addc_u32 s25, s25, 0
	s_waitcnt vmcnt(0)
	v_cmp_ne_u16_sdwa s[44:45], v27, v23 src0_sel:BYTE_0 src1_sel:DWORD
	s_or_b64 s[40:41], s[44:45], s[40:41]
	s_andn2_b64 exec, exec, s[40:41]
	s_cbranch_execnz .LBB2013_61
; %bb.64:                               ;   in Loop: Header=BB2013_58 Depth=1
	s_or_b64 exec, exec, s[40:41]
	s_branch .LBB2013_57
.LBB2013_65:                            ;   in Loop: Header=BB2013_58 Depth=1
                                        ; implicit-def: $vgpr26
                                        ; implicit-def: $vgpr27
	s_cbranch_execz .LBB2013_58
; %bb.66:
	s_and_saveexec_b64 s[38:39], s[16:17]
	s_cbranch_execz .LBB2013_68
; %bb.67:
	s_add_i32 s40, s42, 64
	s_mov_b32 s41, 0
	s_lshl_b64 s[40:41], s[40:41], 3
	s_add_u32 s40, s36, s40
	v_add_u32_e32 v22, v17, v16
	v_mov_b32_e32 v23, 2
	s_addc_u32 s41, s37, s41
	v_mov_b32_e32 v24, 0
	global_store_dwordx2 v24, v[22:23], s[40:41] sc1
	ds_write_b64 v24, v[16:17] offset:28672
.LBB2013_68:
	s_or_b64 exec, exec, s[38:39]
	s_and_b64 exec, exec, s[18:19]
	s_cbranch_execz .LBB2013_70
; %bb.69:
	v_mov_b32_e32 v16, 0
	ds_write_b32 v16, v17 offset:28
.LBB2013_70:
	s_or_b64 exec, exec, s[0:1]
	v_mov_b32_e32 v16, 0
	s_waitcnt lgkmcnt(0)
	s_barrier
	ds_read_b32 v17, v16 offset:28
	v_cndmask_b32_e64 v22, v41, v34, s[16:17]
	v_cndmask_b32_e64 v22, v22, 0, s[18:19]
	s_waitcnt lgkmcnt(0)
	s_barrier
	v_add_u32_e32 v28, v17, v22
	v_add_u32_e32 v27, v28, v36
	ds_read_b64 v[16:17], v16 offset:28672
	v_add_u32_e32 v26, v27, v35
	v_add_u32_e32 v24, v26, v33
	;; [unrolled: 1-line block ×5, first 2 shown]
	s_waitcnt lgkmcnt(0)
	v_mov_b32_e32 v34, v17
	s_branch .LBB2013_81
.LBB2013_71:
                                        ; implicit-def: $vgpr34
                                        ; implicit-def: $vgpr16
                                        ; implicit-def: $vgpr22
                                        ; implicit-def: $vgpr23
                                        ; implicit-def: $vgpr25
                                        ; implicit-def: $vgpr24
                                        ; implicit-def: $vgpr26
                                        ; implicit-def: $vgpr27
                                        ; implicit-def: $vgpr28
	s_cbranch_execz .LBB2013_81
; %bb.72:
	s_nop 0
	v_mov_b32_dpp v16, v40 row_shr:1 row_mask:0xf bank_mask:0xf
	v_cndmask_b32_e64 v16, v16, 0, s[14:15]
	v_add_u32_e32 v16, v16, v40
	s_nop 1
	v_mov_b32_dpp v17, v16 row_shr:2 row_mask:0xf bank_mask:0xf
	v_cndmask_b32_e64 v17, 0, v17, s[12:13]
	v_add_u32_e32 v16, v16, v17
	;; [unrolled: 4-line block ×4, first 2 shown]
	s_nop 1
	v_mov_b32_dpp v17, v16 row_bcast:15 row_mask:0xf bank_mask:0xf
	v_cndmask_b32_e64 v17, v17, 0, s[6:7]
	v_add_u32_e32 v16, v16, v17
	s_nop 1
	v_mov_b32_dpp v17, v16 row_bcast:31 row_mask:0xf bank_mask:0xf
	v_cndmask_b32_e64 v17, 0, v17, s[2:3]
	v_add_u32_e32 v16, v16, v17
	s_and_saveexec_b64 s[0:1], s[4:5]
	s_cbranch_execz .LBB2013_74
; %bb.73:
	v_lshlrev_b32_e32 v17, 2, v39
	ds_write_b32 v17, v16
.LBB2013_74:
	s_or_b64 exec, exec, s[0:1]
	v_cmp_gt_u32_e32 vcc, 8, v0
	s_waitcnt lgkmcnt(0)
	s_barrier
	s_and_saveexec_b64 s[0:1], vcc
	s_cbranch_execz .LBB2013_76
; %bb.75:
	v_mad_i32_i24 v17, v0, -3, v38
	ds_read_b32 v22, v17
	v_and_b32_e32 v23, 7, v37
	v_cmp_ne_u32_e32 vcc, 0, v23
	s_waitcnt lgkmcnt(0)
	v_mov_b32_dpp v24, v22 row_shr:1 row_mask:0xf bank_mask:0xf
	v_cndmask_b32_e32 v24, 0, v24, vcc
	v_add_u32_e32 v22, v24, v22
	v_cmp_lt_u32_e32 vcc, 1, v23
	s_nop 0
	v_mov_b32_dpp v24, v22 row_shr:2 row_mask:0xf bank_mask:0xf
	v_cndmask_b32_e32 v24, 0, v24, vcc
	v_add_u32_e32 v22, v22, v24
	v_cmp_lt_u32_e32 vcc, 3, v23
	s_nop 0
	v_mov_b32_dpp v24, v22 row_shr:4 row_mask:0xf bank_mask:0xf
	v_cndmask_b32_e32 v23, 0, v24, vcc
	v_add_u32_e32 v22, v22, v23
	ds_write_b32 v17, v22
.LBB2013_76:
	s_or_b64 exec, exec, s[0:1]
	v_cmp_lt_u32_e32 vcc, 63, v0
	v_mov_b32_e32 v17, 0
	v_mov_b32_e32 v22, 0
	s_waitcnt lgkmcnt(0)
	s_barrier
	s_and_saveexec_b64 s[0:1], vcc
	s_cbranch_execz .LBB2013_78
; %bb.77:
	v_lshl_add_u32 v22, v39, 2, -4
	ds_read_b32 v22, v22
.LBB2013_78:
	s_or_b64 exec, exec, s[0:1]
	v_add_u32_e32 v23, -1, v37
	v_and_b32_e32 v24, 64, v37
	v_cmp_lt_i32_e32 vcc, v23, v24
	s_waitcnt lgkmcnt(0)
	v_add_u32_e32 v16, v22, v16
	v_cndmask_b32_e32 v23, v23, v37, vcc
	v_lshlrev_b32_e32 v23, 2, v23
	ds_bpermute_b32 v23, v23, v16
	ds_read_b32 v16, v17 offset:28
	s_and_saveexec_b64 s[0:1], s[18:19]
	s_cbranch_execz .LBB2013_80
; %bb.79:
	v_mov_b32_e32 v24, 0
	v_mov_b32_e32 v17, 2
	s_waitcnt lgkmcnt(0)
	global_store_dwordx2 v24, v[16:17], s[36:37] offset:512 sc1
.LBB2013_80:
	s_or_b64 exec, exec, s[0:1]
	v_cmp_eq_u32_e32 vcc, 0, v37
	v_mov_b32_e32 v34, 0
	s_waitcnt lgkmcnt(0)
	v_cndmask_b32_e32 v17, v23, v22, vcc
	v_cndmask_b32_e64 v28, v17, 0, s[18:19]
	v_add_u32_e32 v27, v28, v36
	v_add_u32_e32 v26, v27, v35
	;; [unrolled: 1-line block ×6, first 2 shown]
	s_barrier
.LBB2013_81:
	v_add_u32_e32 v1, v16, v1
	v_sub_u32_e32 v17, v28, v34
	v_sub_u32_e32 v28, v1, v17
	v_cmp_eq_u32_e32 vcc, 1, v36
	s_add_u32 s0, s26, s24
	s_addc_u32 s1, s27, 0
	v_cndmask_b32_e32 v17, v28, v17, vcc
	v_lshlrev_b32_e32 v17, 3, v17
	ds_write_b64 v17, v[10:11]
	v_sub_u32_e32 v10, v27, v34
	v_sub_u32_e32 v11, v1, v10
	v_add_u32_e32 v11, 1, v11
	v_cmp_eq_u32_e32 vcc, 1, v35
	s_sub_u32 s0, s30, s0
	s_subb_u32 s1, s31, s1
	v_cndmask_b32_e32 v10, v11, v10, vcc
	v_lshlrev_b32_e32 v10, 3, v10
	ds_write_b64 v10, v[12:13]
	v_sub_u32_e32 v10, v26, v34
	v_sub_u32_e32 v11, v1, v10
	v_add_u32_e32 v11, 2, v11
	v_cmp_eq_u32_e32 vcc, 1, v33
	v_or_b32_e32 v28, 0x600, v0
	v_or_b32_e32 v26, 0x800, v0
	v_cndmask_b32_e32 v10, v11, v10, vcc
	v_lshlrev_b32_e32 v10, 3, v10
	ds_write_b64 v10, v[6:7]
	v_sub_u32_e32 v6, v24, v34
	v_sub_u32_e32 v7, v1, v6
	v_add_u32_e32 v7, 3, v7
	v_cmp_eq_u32_e32 vcc, 1, v32
	v_or_b32_e32 v32, 0x200, v0
	v_or_b32_e32 v24, 0xa00, v0
	v_cndmask_b32_e32 v6, v7, v6, vcc
	v_lshlrev_b32_e32 v6, 3, v6
	ds_write_b64 v6, v[8:9]
	v_sub_u32_e32 v6, v25, v34
	v_sub_u32_e32 v7, v1, v6
	v_add_u32_e32 v7, 4, v7
	v_cmp_eq_u32_e32 vcc, 1, v31
	s_nop 1
	v_cndmask_b32_e32 v6, v7, v6, vcc
	v_lshlrev_b32_e32 v6, 3, v6
	ds_write_b64 v6, v[2:3]
	v_sub_u32_e32 v2, v23, v34
	v_sub_u32_e32 v3, v1, v2
	v_add_u32_e32 v3, 5, v3
	v_cmp_eq_u32_e32 vcc, 1, v30
	v_or_b32_e32 v30, 0x400, v0
	s_nop 0
	v_cndmask_b32_e32 v2, v3, v2, vcc
	v_lshlrev_b32_e32 v2, 3, v2
	ds_write_b64 v2, v[4:5]
	v_sub_u32_e32 v2, v22, v34
	v_sub_u32_e32 v1, v1, v2
	v_add_u32_e32 v1, 6, v1
	v_cmp_eq_u32_e32 vcc, 1, v19
	v_or_b32_e32 v22, 0xc00, v0
	s_nop 0
	v_cndmask_b32_e32 v1, v1, v2, vcc
	v_lshlrev_b32_e32 v1, 3, v1
	ds_write_b64 v1, v[14:15]
	s_waitcnt lgkmcnt(0)
	s_barrier
	ds_read2st64_b64 v[10:13], v18 offset1:8
	ds_read2st64_b64 v[6:9], v18 offset0:16 offset1:24
	ds_read2st64_b64 v[2:5], v18 offset0:32 offset1:40
	ds_read_b64 v[18:19], v18 offset:24576
	v_mov_b32_e32 v1, 0
	v_mov_b32_e32 v35, v1
	;; [unrolled: 1-line block ×3, first 2 shown]
	s_waitcnt vmcnt(0)
	v_lshl_add_u64 v[14:15], v[20:21], 0, v[34:35]
	v_lshl_add_u64 v[20:21], s[0:1], 0, v[16:17]
	v_mov_b32_e32 v33, v1
	v_mov_b32_e32 v31, v1
	;; [unrolled: 1-line block ×6, first 2 shown]
	s_andn2_b64 vcc, exec, s[34:35]
	v_lshl_add_u64 v[20:21], v[20:21], 0, v[14:15]
	s_cbranch_vccnz .LBB2013_114
; %bb.82:
	v_cmp_ge_u32_e32 vcc, v0, v16
                                        ; implicit-def: $vgpr34_vgpr35
	s_and_saveexec_b64 s[0:1], vcc
	s_xor_b64 s[0:1], exec, s[0:1]
; %bb.83:
	v_not_b32_e32 v34, v0
	v_ashrrev_i32_e32 v35, 31, v34
	v_lshl_add_u64 v[34:35], v[20:21], 0, v[34:35]
; %bb.84:
	s_andn2_saveexec_b64 s[0:1], s[0:1]
; %bb.85:
	v_lshl_add_u64 v[34:35], v[14:15], 0, v[0:1]
; %bb.86:
	s_or_b64 exec, exec, s[0:1]
	v_lshl_add_u64 v[34:35], v[34:35], 3, s[28:29]
	v_cmp_ge_u32_e32 vcc, v32, v16
	s_waitcnt lgkmcnt(3)
	global_store_dwordx2 v[34:35], v[10:11], off
                                        ; implicit-def: $vgpr34_vgpr35
	s_and_saveexec_b64 s[0:1], vcc
	s_xor_b64 s[0:1], exec, s[0:1]
; %bb.87:
	v_xor_b32_e32 v34, 0xfffffdff, v0
	v_ashrrev_i32_e32 v35, 31, v34
	v_lshl_add_u64 v[34:35], v[20:21], 0, v[34:35]
; %bb.88:
	s_andn2_saveexec_b64 s[0:1], s[0:1]
; %bb.89:
	v_lshl_add_u64 v[34:35], v[14:15], 0, v[32:33]
; %bb.90:
	s_or_b64 exec, exec, s[0:1]
	v_lshl_add_u64 v[34:35], v[34:35], 3, s[28:29]
	v_cmp_ge_u32_e32 vcc, v30, v16
	global_store_dwordx2 v[34:35], v[12:13], off
                                        ; implicit-def: $vgpr34_vgpr35
	s_and_saveexec_b64 s[0:1], vcc
	s_xor_b64 s[0:1], exec, s[0:1]
; %bb.91:
	v_xor_b32_e32 v34, 0xfffffbff, v0
	v_ashrrev_i32_e32 v35, 31, v34
	v_lshl_add_u64 v[34:35], v[20:21], 0, v[34:35]
; %bb.92:
	s_andn2_saveexec_b64 s[0:1], s[0:1]
; %bb.93:
	v_lshl_add_u64 v[34:35], v[14:15], 0, v[30:31]
; %bb.94:
	s_or_b64 exec, exec, s[0:1]
	v_lshl_add_u64 v[34:35], v[34:35], 3, s[28:29]
	v_cmp_ge_u32_e32 vcc, v28, v16
	s_waitcnt lgkmcnt(2)
	global_store_dwordx2 v[34:35], v[6:7], off
                                        ; implicit-def: $vgpr34_vgpr35
	s_and_saveexec_b64 s[0:1], vcc
	s_xor_b64 s[0:1], exec, s[0:1]
; %bb.95:
	v_xor_b32_e32 v34, 0xfffff9ff, v0
	v_ashrrev_i32_e32 v35, 31, v34
	v_lshl_add_u64 v[34:35], v[20:21], 0, v[34:35]
; %bb.96:
	s_andn2_saveexec_b64 s[0:1], s[0:1]
; %bb.97:
	v_lshl_add_u64 v[34:35], v[14:15], 0, v[28:29]
; %bb.98:
	s_or_b64 exec, exec, s[0:1]
	v_lshl_add_u64 v[34:35], v[34:35], 3, s[28:29]
	v_cmp_ge_u32_e32 vcc, v26, v16
	global_store_dwordx2 v[34:35], v[8:9], off
                                        ; implicit-def: $vgpr34_vgpr35
	s_and_saveexec_b64 s[0:1], vcc
	s_xor_b64 s[0:1], exec, s[0:1]
; %bb.99:
	v_xor_b32_e32 v34, 0xfffff7ff, v0
	;; [unrolled: 33-line block ×3, first 2 shown]
	v_ashrrev_i32_e32 v35, 31, v34
	v_lshl_add_u64 v[34:35], v[20:21], 0, v[34:35]
; %bb.108:
	s_andn2_saveexec_b64 s[0:1], s[0:1]
; %bb.109:
	v_lshl_add_u64 v[34:35], v[14:15], 0, v[22:23]
; %bb.110:
	s_or_b64 exec, exec, s[0:1]
	s_mov_b64 s[0:1], -1
.LBB2013_111:
	s_and_saveexec_b64 s[2:3], s[0:1]
	s_cbranch_execz .LBB2013_158
.LBB2013_112:
	v_lshl_add_u64 v[0:1], v[34:35], 3, s[28:29]
	s_waitcnt lgkmcnt(0)
	global_store_dwordx2 v[0:1], v[18:19], off
	s_or_b64 exec, exec, s[2:3]
	s_and_b64 s[0:1], s[18:19], s[22:23]
	s_and_saveexec_b64 s[2:3], s[0:1]
	s_cbranch_execnz .LBB2013_159
.LBB2013_113:
	s_endpgm
.LBB2013_114:
	s_mov_b64 s[0:1], 0
                                        ; implicit-def: $vgpr34_vgpr35
	s_cbranch_execz .LBB2013_111
; %bb.115:
	v_cmp_gt_u32_e32 vcc, s33, v0
	s_and_saveexec_b64 s[2:3], vcc
	s_cbranch_execz .LBB2013_133
; %bb.116:
	v_cmp_ge_u32_e32 vcc, v0, v16
                                        ; implicit-def: $vgpr34_vgpr35
	s_and_saveexec_b64 s[4:5], vcc
	s_xor_b64 s[4:5], exec, s[4:5]
; %bb.117:
	v_not_b32_e32 v34, v0
	v_ashrrev_i32_e32 v35, 31, v34
	v_lshl_add_u64 v[34:35], v[20:21], 0, v[34:35]
; %bb.118:
	s_andn2_saveexec_b64 s[4:5], s[4:5]
; %bb.119:
	v_lshl_add_u64 v[34:35], v[14:15], 0, v[0:1]
; %bb.120:
	s_or_b64 exec, exec, s[4:5]
	v_lshl_add_u64 v[34:35], v[34:35], 3, s[28:29]
	s_waitcnt lgkmcnt(3)
	global_store_dwordx2 v[34:35], v[10:11], off
	s_or_b64 exec, exec, s[2:3]
	v_cmp_gt_u32_e32 vcc, s33, v32
	s_and_saveexec_b64 s[2:3], vcc
	s_cbranch_execnz .LBB2013_134
.LBB2013_121:
	s_or_b64 exec, exec, s[2:3]
	v_cmp_gt_u32_e32 vcc, s33, v30
	s_and_saveexec_b64 s[2:3], vcc
	s_cbranch_execz .LBB2013_139
.LBB2013_122:
	v_cmp_ge_u32_e32 vcc, v30, v16
                                        ; implicit-def: $vgpr10_vgpr11
	s_and_saveexec_b64 s[4:5], vcc
	s_xor_b64 s[4:5], exec, s[4:5]
	s_cbranch_execz .LBB2013_124
; %bb.123:
	s_waitcnt lgkmcnt(3)
	v_xor_b32_e32 v10, 0xfffffbff, v0
	v_ashrrev_i32_e32 v11, 31, v10
	v_lshl_add_u64 v[10:11], v[20:21], 0, v[10:11]
                                        ; implicit-def: $vgpr30_vgpr31
.LBB2013_124:
	s_andn2_saveexec_b64 s[4:5], s[4:5]
	s_cbranch_execz .LBB2013_126
; %bb.125:
	s_waitcnt lgkmcnt(3)
	v_lshl_add_u64 v[10:11], v[14:15], 0, v[30:31]
.LBB2013_126:
	s_or_b64 exec, exec, s[4:5]
	s_waitcnt lgkmcnt(3)
	v_lshl_add_u64 v[10:11], v[10:11], 3, s[28:29]
	s_waitcnt lgkmcnt(2)
	global_store_dwordx2 v[10:11], v[6:7], off
	s_or_b64 exec, exec, s[2:3]
	v_cmp_gt_u32_e32 vcc, s33, v28
	s_and_saveexec_b64 s[2:3], vcc
	s_cbranch_execnz .LBB2013_140
.LBB2013_127:
	s_or_b64 exec, exec, s[2:3]
	v_cmp_gt_u32_e32 vcc, s33, v26
	s_and_saveexec_b64 s[2:3], vcc
	s_cbranch_execz .LBB2013_145
.LBB2013_128:
	v_cmp_ge_u32_e32 vcc, v26, v16
                                        ; implicit-def: $vgpr6_vgpr7
	s_and_saveexec_b64 s[4:5], vcc
	s_xor_b64 s[4:5], exec, s[4:5]
	s_cbranch_execz .LBB2013_130
; %bb.129:
	s_waitcnt lgkmcnt(2)
	v_xor_b32_e32 v6, 0xfffff7ff, v0
	v_ashrrev_i32_e32 v7, 31, v6
	v_lshl_add_u64 v[6:7], v[20:21], 0, v[6:7]
                                        ; implicit-def: $vgpr26_vgpr27
.LBB2013_130:
	s_andn2_saveexec_b64 s[4:5], s[4:5]
	s_cbranch_execz .LBB2013_132
; %bb.131:
	s_waitcnt lgkmcnt(2)
	v_lshl_add_u64 v[6:7], v[14:15], 0, v[26:27]
.LBB2013_132:
	s_or_b64 exec, exec, s[4:5]
	s_waitcnt lgkmcnt(2)
	v_lshl_add_u64 v[6:7], v[6:7], 3, s[28:29]
	s_waitcnt lgkmcnt(1)
	global_store_dwordx2 v[6:7], v[2:3], off
	s_or_b64 exec, exec, s[2:3]
	v_cmp_gt_u32_e32 vcc, s33, v24
	s_and_saveexec_b64 s[2:3], vcc
	s_cbranch_execz .LBB2013_151
	s_branch .LBB2013_146
.LBB2013_133:
	s_or_b64 exec, exec, s[2:3]
	v_cmp_gt_u32_e32 vcc, s33, v32
	s_and_saveexec_b64 s[2:3], vcc
	s_cbranch_execz .LBB2013_121
.LBB2013_134:
	v_cmp_ge_u32_e32 vcc, v32, v16
                                        ; implicit-def: $vgpr10_vgpr11
	s_and_saveexec_b64 s[4:5], vcc
	s_xor_b64 s[4:5], exec, s[4:5]
	s_cbranch_execz .LBB2013_136
; %bb.135:
	s_waitcnt lgkmcnt(3)
	v_xor_b32_e32 v10, 0xfffffdff, v0
	v_ashrrev_i32_e32 v11, 31, v10
	v_lshl_add_u64 v[10:11], v[20:21], 0, v[10:11]
                                        ; implicit-def: $vgpr32_vgpr33
.LBB2013_136:
	s_andn2_saveexec_b64 s[4:5], s[4:5]
	s_cbranch_execz .LBB2013_138
; %bb.137:
	s_waitcnt lgkmcnt(3)
	v_lshl_add_u64 v[10:11], v[14:15], 0, v[32:33]
.LBB2013_138:
	s_or_b64 exec, exec, s[4:5]
	s_waitcnt lgkmcnt(3)
	v_lshl_add_u64 v[10:11], v[10:11], 3, s[28:29]
	global_store_dwordx2 v[10:11], v[12:13], off
	s_or_b64 exec, exec, s[2:3]
	v_cmp_gt_u32_e32 vcc, s33, v30
	s_and_saveexec_b64 s[2:3], vcc
	s_cbranch_execnz .LBB2013_122
.LBB2013_139:
	s_or_b64 exec, exec, s[2:3]
	v_cmp_gt_u32_e32 vcc, s33, v28
	s_and_saveexec_b64 s[2:3], vcc
	s_cbranch_execz .LBB2013_127
.LBB2013_140:
	v_cmp_ge_u32_e32 vcc, v28, v16
                                        ; implicit-def: $vgpr6_vgpr7
	s_and_saveexec_b64 s[4:5], vcc
	s_xor_b64 s[4:5], exec, s[4:5]
	s_cbranch_execz .LBB2013_142
; %bb.141:
	s_waitcnt lgkmcnt(2)
	v_xor_b32_e32 v6, 0xfffff9ff, v0
	v_ashrrev_i32_e32 v7, 31, v6
	v_lshl_add_u64 v[6:7], v[20:21], 0, v[6:7]
                                        ; implicit-def: $vgpr28_vgpr29
.LBB2013_142:
	s_andn2_saveexec_b64 s[4:5], s[4:5]
	s_cbranch_execz .LBB2013_144
; %bb.143:
	s_waitcnt lgkmcnt(2)
	v_lshl_add_u64 v[6:7], v[14:15], 0, v[28:29]
.LBB2013_144:
	s_or_b64 exec, exec, s[4:5]
	s_waitcnt lgkmcnt(2)
	v_lshl_add_u64 v[6:7], v[6:7], 3, s[28:29]
	global_store_dwordx2 v[6:7], v[8:9], off
	s_or_b64 exec, exec, s[2:3]
	v_cmp_gt_u32_e32 vcc, s33, v26
	s_and_saveexec_b64 s[2:3], vcc
	s_cbranch_execnz .LBB2013_128
.LBB2013_145:
	s_or_b64 exec, exec, s[2:3]
	v_cmp_gt_u32_e32 vcc, s33, v24
	s_and_saveexec_b64 s[2:3], vcc
	s_cbranch_execz .LBB2013_151
.LBB2013_146:
	v_cmp_ge_u32_e32 vcc, v24, v16
                                        ; implicit-def: $vgpr2_vgpr3
	s_and_saveexec_b64 s[4:5], vcc
	s_xor_b64 s[4:5], exec, s[4:5]
	s_cbranch_execz .LBB2013_148
; %bb.147:
	s_waitcnt lgkmcnt(1)
	v_xor_b32_e32 v2, 0xfffff5ff, v0
	v_ashrrev_i32_e32 v3, 31, v2
	v_lshl_add_u64 v[2:3], v[20:21], 0, v[2:3]
                                        ; implicit-def: $vgpr24_vgpr25
.LBB2013_148:
	s_andn2_saveexec_b64 s[4:5], s[4:5]
	s_cbranch_execz .LBB2013_150
; %bb.149:
	s_waitcnt lgkmcnt(1)
	v_lshl_add_u64 v[2:3], v[14:15], 0, v[24:25]
.LBB2013_150:
	s_or_b64 exec, exec, s[4:5]
	s_waitcnt lgkmcnt(1)
	v_lshl_add_u64 v[2:3], v[2:3], 3, s[28:29]
	global_store_dwordx2 v[2:3], v[4:5], off
.LBB2013_151:
	s_or_b64 exec, exec, s[2:3]
	v_cmp_gt_u32_e32 vcc, s33, v22
                                        ; implicit-def: $vgpr34_vgpr35
	s_and_saveexec_b64 s[2:3], vcc
	s_cbranch_execz .LBB2013_157
; %bb.152:
	v_cmp_ge_u32_e32 vcc, v22, v16
                                        ; implicit-def: $vgpr34_vgpr35
	s_and_saveexec_b64 s[4:5], vcc
	s_xor_b64 s[4:5], exec, s[4:5]
; %bb.153:
	v_xor_b32_e32 v0, 0xfffff3ff, v0
	v_ashrrev_i32_e32 v1, 31, v0
	v_lshl_add_u64 v[34:35], v[20:21], 0, v[0:1]
                                        ; implicit-def: $vgpr22_vgpr23
; %bb.154:
	s_andn2_saveexec_b64 s[4:5], s[4:5]
; %bb.155:
	v_lshl_add_u64 v[34:35], v[14:15], 0, v[22:23]
; %bb.156:
	s_or_b64 exec, exec, s[4:5]
	s_or_b64 s[0:1], s[0:1], exec
.LBB2013_157:
	s_or_b64 exec, exec, s[2:3]
	s_and_saveexec_b64 s[2:3], s[0:1]
	s_cbranch_execnz .LBB2013_112
.LBB2013_158:
	s_or_b64 exec, exec, s[2:3]
	s_and_b64 s[0:1], s[18:19], s[22:23]
	s_and_saveexec_b64 s[2:3], s[0:1]
	s_cbranch_execz .LBB2013_113
.LBB2013_159:
	s_waitcnt lgkmcnt(1)
	v_mov_b32_e32 v2, 0
	v_lshl_add_u64 v[0:1], v[14:15], 0, v[16:17]
	global_store_dwordx2 v2, v[0:1], s[20:21]
	s_endpgm
	.section	.rodata,"a",@progbits
	.p2align	6, 0x0
	.amdhsa_kernel _ZN7rocprim17ROCPRIM_400000_NS6detail17trampoline_kernelINS0_14default_configENS1_25partition_config_selectorILNS1_17partition_subalgoE2EyNS0_10empty_typeEbEEZZNS1_14partition_implILS5_2ELb0ES3_jN6thrust23THRUST_200600_302600_NS6detail15normal_iteratorINSA_7pointerIyNSA_11hip_rocprim3tagENSA_11use_defaultESG_EEEEPS6_NSA_18transform_iteratorI7is_evenIyENSC_INSA_10device_ptrIyEEEESG_SG_EENS0_5tupleIJPySJ_EEENSR_IJSJ_SJ_EEES6_PlJS6_EEE10hipError_tPvRmT3_T4_T5_T6_T7_T9_mT8_P12ihipStream_tbDpT10_ENKUlT_T0_E_clISt17integral_constantIbLb1EES1F_EEDaS1A_S1B_EUlS1A_E_NS1_11comp_targetILNS1_3genE5ELNS1_11target_archE942ELNS1_3gpuE9ELNS1_3repE0EEENS1_30default_config_static_selectorELNS0_4arch9wavefront6targetE1EEEvT1_
		.amdhsa_group_segment_fixed_size 28680
		.amdhsa_private_segment_fixed_size 0
		.amdhsa_kernarg_size 144
		.amdhsa_user_sgpr_count 2
		.amdhsa_user_sgpr_dispatch_ptr 0
		.amdhsa_user_sgpr_queue_ptr 0
		.amdhsa_user_sgpr_kernarg_segment_ptr 1
		.amdhsa_user_sgpr_dispatch_id 0
		.amdhsa_user_sgpr_kernarg_preload_length 0
		.amdhsa_user_sgpr_kernarg_preload_offset 0
		.amdhsa_user_sgpr_private_segment_size 0
		.amdhsa_uses_dynamic_stack 0
		.amdhsa_enable_private_segment 0
		.amdhsa_system_sgpr_workgroup_id_x 1
		.amdhsa_system_sgpr_workgroup_id_y 0
		.amdhsa_system_sgpr_workgroup_id_z 0
		.amdhsa_system_sgpr_workgroup_info 0
		.amdhsa_system_vgpr_workitem_id 0
		.amdhsa_next_free_vgpr 56
		.amdhsa_next_free_sgpr 46
		.amdhsa_accum_offset 56
		.amdhsa_reserve_vcc 1
		.amdhsa_float_round_mode_32 0
		.amdhsa_float_round_mode_16_64 0
		.amdhsa_float_denorm_mode_32 3
		.amdhsa_float_denorm_mode_16_64 3
		.amdhsa_dx10_clamp 1
		.amdhsa_ieee_mode 1
		.amdhsa_fp16_overflow 0
		.amdhsa_tg_split 0
		.amdhsa_exception_fp_ieee_invalid_op 0
		.amdhsa_exception_fp_denorm_src 0
		.amdhsa_exception_fp_ieee_div_zero 0
		.amdhsa_exception_fp_ieee_overflow 0
		.amdhsa_exception_fp_ieee_underflow 0
		.amdhsa_exception_fp_ieee_inexact 0
		.amdhsa_exception_int_div_zero 0
	.end_amdhsa_kernel
	.section	.text._ZN7rocprim17ROCPRIM_400000_NS6detail17trampoline_kernelINS0_14default_configENS1_25partition_config_selectorILNS1_17partition_subalgoE2EyNS0_10empty_typeEbEEZZNS1_14partition_implILS5_2ELb0ES3_jN6thrust23THRUST_200600_302600_NS6detail15normal_iteratorINSA_7pointerIyNSA_11hip_rocprim3tagENSA_11use_defaultESG_EEEEPS6_NSA_18transform_iteratorI7is_evenIyENSC_INSA_10device_ptrIyEEEESG_SG_EENS0_5tupleIJPySJ_EEENSR_IJSJ_SJ_EEES6_PlJS6_EEE10hipError_tPvRmT3_T4_T5_T6_T7_T9_mT8_P12ihipStream_tbDpT10_ENKUlT_T0_E_clISt17integral_constantIbLb1EES1F_EEDaS1A_S1B_EUlS1A_E_NS1_11comp_targetILNS1_3genE5ELNS1_11target_archE942ELNS1_3gpuE9ELNS1_3repE0EEENS1_30default_config_static_selectorELNS0_4arch9wavefront6targetE1EEEvT1_,"axG",@progbits,_ZN7rocprim17ROCPRIM_400000_NS6detail17trampoline_kernelINS0_14default_configENS1_25partition_config_selectorILNS1_17partition_subalgoE2EyNS0_10empty_typeEbEEZZNS1_14partition_implILS5_2ELb0ES3_jN6thrust23THRUST_200600_302600_NS6detail15normal_iteratorINSA_7pointerIyNSA_11hip_rocprim3tagENSA_11use_defaultESG_EEEEPS6_NSA_18transform_iteratorI7is_evenIyENSC_INSA_10device_ptrIyEEEESG_SG_EENS0_5tupleIJPySJ_EEENSR_IJSJ_SJ_EEES6_PlJS6_EEE10hipError_tPvRmT3_T4_T5_T6_T7_T9_mT8_P12ihipStream_tbDpT10_ENKUlT_T0_E_clISt17integral_constantIbLb1EES1F_EEDaS1A_S1B_EUlS1A_E_NS1_11comp_targetILNS1_3genE5ELNS1_11target_archE942ELNS1_3gpuE9ELNS1_3repE0EEENS1_30default_config_static_selectorELNS0_4arch9wavefront6targetE1EEEvT1_,comdat
.Lfunc_end2013:
	.size	_ZN7rocprim17ROCPRIM_400000_NS6detail17trampoline_kernelINS0_14default_configENS1_25partition_config_selectorILNS1_17partition_subalgoE2EyNS0_10empty_typeEbEEZZNS1_14partition_implILS5_2ELb0ES3_jN6thrust23THRUST_200600_302600_NS6detail15normal_iteratorINSA_7pointerIyNSA_11hip_rocprim3tagENSA_11use_defaultESG_EEEEPS6_NSA_18transform_iteratorI7is_evenIyENSC_INSA_10device_ptrIyEEEESG_SG_EENS0_5tupleIJPySJ_EEENSR_IJSJ_SJ_EEES6_PlJS6_EEE10hipError_tPvRmT3_T4_T5_T6_T7_T9_mT8_P12ihipStream_tbDpT10_ENKUlT_T0_E_clISt17integral_constantIbLb1EES1F_EEDaS1A_S1B_EUlS1A_E_NS1_11comp_targetILNS1_3genE5ELNS1_11target_archE942ELNS1_3gpuE9ELNS1_3repE0EEENS1_30default_config_static_selectorELNS0_4arch9wavefront6targetE1EEEvT1_, .Lfunc_end2013-_ZN7rocprim17ROCPRIM_400000_NS6detail17trampoline_kernelINS0_14default_configENS1_25partition_config_selectorILNS1_17partition_subalgoE2EyNS0_10empty_typeEbEEZZNS1_14partition_implILS5_2ELb0ES3_jN6thrust23THRUST_200600_302600_NS6detail15normal_iteratorINSA_7pointerIyNSA_11hip_rocprim3tagENSA_11use_defaultESG_EEEEPS6_NSA_18transform_iteratorI7is_evenIyENSC_INSA_10device_ptrIyEEEESG_SG_EENS0_5tupleIJPySJ_EEENSR_IJSJ_SJ_EEES6_PlJS6_EEE10hipError_tPvRmT3_T4_T5_T6_T7_T9_mT8_P12ihipStream_tbDpT10_ENKUlT_T0_E_clISt17integral_constantIbLb1EES1F_EEDaS1A_S1B_EUlS1A_E_NS1_11comp_targetILNS1_3genE5ELNS1_11target_archE942ELNS1_3gpuE9ELNS1_3repE0EEENS1_30default_config_static_selectorELNS0_4arch9wavefront6targetE1EEEvT1_
                                        ; -- End function
	.section	.AMDGPU.csdata,"",@progbits
; Kernel info:
; codeLenInByte = 5684
; NumSgprs: 52
; NumVgprs: 56
; NumAgprs: 0
; TotalNumVgprs: 56
; ScratchSize: 0
; MemoryBound: 0
; FloatMode: 240
; IeeeMode: 1
; LDSByteSize: 28680 bytes/workgroup (compile time only)
; SGPRBlocks: 6
; VGPRBlocks: 6
; NumSGPRsForWavesPerEU: 52
; NumVGPRsForWavesPerEU: 56
; AccumOffset: 56
; Occupancy: 4
; WaveLimiterHint : 1
; COMPUTE_PGM_RSRC2:SCRATCH_EN: 0
; COMPUTE_PGM_RSRC2:USER_SGPR: 2
; COMPUTE_PGM_RSRC2:TRAP_HANDLER: 0
; COMPUTE_PGM_RSRC2:TGID_X_EN: 1
; COMPUTE_PGM_RSRC2:TGID_Y_EN: 0
; COMPUTE_PGM_RSRC2:TGID_Z_EN: 0
; COMPUTE_PGM_RSRC2:TIDIG_COMP_CNT: 0
; COMPUTE_PGM_RSRC3_GFX90A:ACCUM_OFFSET: 13
; COMPUTE_PGM_RSRC3_GFX90A:TG_SPLIT: 0
	.section	.text._ZN7rocprim17ROCPRIM_400000_NS6detail17trampoline_kernelINS0_14default_configENS1_25partition_config_selectorILNS1_17partition_subalgoE2EyNS0_10empty_typeEbEEZZNS1_14partition_implILS5_2ELb0ES3_jN6thrust23THRUST_200600_302600_NS6detail15normal_iteratorINSA_7pointerIyNSA_11hip_rocprim3tagENSA_11use_defaultESG_EEEEPS6_NSA_18transform_iteratorI7is_evenIyENSC_INSA_10device_ptrIyEEEESG_SG_EENS0_5tupleIJPySJ_EEENSR_IJSJ_SJ_EEES6_PlJS6_EEE10hipError_tPvRmT3_T4_T5_T6_T7_T9_mT8_P12ihipStream_tbDpT10_ENKUlT_T0_E_clISt17integral_constantIbLb1EES1F_EEDaS1A_S1B_EUlS1A_E_NS1_11comp_targetILNS1_3genE4ELNS1_11target_archE910ELNS1_3gpuE8ELNS1_3repE0EEENS1_30default_config_static_selectorELNS0_4arch9wavefront6targetE1EEEvT1_,"axG",@progbits,_ZN7rocprim17ROCPRIM_400000_NS6detail17trampoline_kernelINS0_14default_configENS1_25partition_config_selectorILNS1_17partition_subalgoE2EyNS0_10empty_typeEbEEZZNS1_14partition_implILS5_2ELb0ES3_jN6thrust23THRUST_200600_302600_NS6detail15normal_iteratorINSA_7pointerIyNSA_11hip_rocprim3tagENSA_11use_defaultESG_EEEEPS6_NSA_18transform_iteratorI7is_evenIyENSC_INSA_10device_ptrIyEEEESG_SG_EENS0_5tupleIJPySJ_EEENSR_IJSJ_SJ_EEES6_PlJS6_EEE10hipError_tPvRmT3_T4_T5_T6_T7_T9_mT8_P12ihipStream_tbDpT10_ENKUlT_T0_E_clISt17integral_constantIbLb1EES1F_EEDaS1A_S1B_EUlS1A_E_NS1_11comp_targetILNS1_3genE4ELNS1_11target_archE910ELNS1_3gpuE8ELNS1_3repE0EEENS1_30default_config_static_selectorELNS0_4arch9wavefront6targetE1EEEvT1_,comdat
	.protected	_ZN7rocprim17ROCPRIM_400000_NS6detail17trampoline_kernelINS0_14default_configENS1_25partition_config_selectorILNS1_17partition_subalgoE2EyNS0_10empty_typeEbEEZZNS1_14partition_implILS5_2ELb0ES3_jN6thrust23THRUST_200600_302600_NS6detail15normal_iteratorINSA_7pointerIyNSA_11hip_rocprim3tagENSA_11use_defaultESG_EEEEPS6_NSA_18transform_iteratorI7is_evenIyENSC_INSA_10device_ptrIyEEEESG_SG_EENS0_5tupleIJPySJ_EEENSR_IJSJ_SJ_EEES6_PlJS6_EEE10hipError_tPvRmT3_T4_T5_T6_T7_T9_mT8_P12ihipStream_tbDpT10_ENKUlT_T0_E_clISt17integral_constantIbLb1EES1F_EEDaS1A_S1B_EUlS1A_E_NS1_11comp_targetILNS1_3genE4ELNS1_11target_archE910ELNS1_3gpuE8ELNS1_3repE0EEENS1_30default_config_static_selectorELNS0_4arch9wavefront6targetE1EEEvT1_ ; -- Begin function _ZN7rocprim17ROCPRIM_400000_NS6detail17trampoline_kernelINS0_14default_configENS1_25partition_config_selectorILNS1_17partition_subalgoE2EyNS0_10empty_typeEbEEZZNS1_14partition_implILS5_2ELb0ES3_jN6thrust23THRUST_200600_302600_NS6detail15normal_iteratorINSA_7pointerIyNSA_11hip_rocprim3tagENSA_11use_defaultESG_EEEEPS6_NSA_18transform_iteratorI7is_evenIyENSC_INSA_10device_ptrIyEEEESG_SG_EENS0_5tupleIJPySJ_EEENSR_IJSJ_SJ_EEES6_PlJS6_EEE10hipError_tPvRmT3_T4_T5_T6_T7_T9_mT8_P12ihipStream_tbDpT10_ENKUlT_T0_E_clISt17integral_constantIbLb1EES1F_EEDaS1A_S1B_EUlS1A_E_NS1_11comp_targetILNS1_3genE4ELNS1_11target_archE910ELNS1_3gpuE8ELNS1_3repE0EEENS1_30default_config_static_selectorELNS0_4arch9wavefront6targetE1EEEvT1_
	.globl	_ZN7rocprim17ROCPRIM_400000_NS6detail17trampoline_kernelINS0_14default_configENS1_25partition_config_selectorILNS1_17partition_subalgoE2EyNS0_10empty_typeEbEEZZNS1_14partition_implILS5_2ELb0ES3_jN6thrust23THRUST_200600_302600_NS6detail15normal_iteratorINSA_7pointerIyNSA_11hip_rocprim3tagENSA_11use_defaultESG_EEEEPS6_NSA_18transform_iteratorI7is_evenIyENSC_INSA_10device_ptrIyEEEESG_SG_EENS0_5tupleIJPySJ_EEENSR_IJSJ_SJ_EEES6_PlJS6_EEE10hipError_tPvRmT3_T4_T5_T6_T7_T9_mT8_P12ihipStream_tbDpT10_ENKUlT_T0_E_clISt17integral_constantIbLb1EES1F_EEDaS1A_S1B_EUlS1A_E_NS1_11comp_targetILNS1_3genE4ELNS1_11target_archE910ELNS1_3gpuE8ELNS1_3repE0EEENS1_30default_config_static_selectorELNS0_4arch9wavefront6targetE1EEEvT1_
	.p2align	8
	.type	_ZN7rocprim17ROCPRIM_400000_NS6detail17trampoline_kernelINS0_14default_configENS1_25partition_config_selectorILNS1_17partition_subalgoE2EyNS0_10empty_typeEbEEZZNS1_14partition_implILS5_2ELb0ES3_jN6thrust23THRUST_200600_302600_NS6detail15normal_iteratorINSA_7pointerIyNSA_11hip_rocprim3tagENSA_11use_defaultESG_EEEEPS6_NSA_18transform_iteratorI7is_evenIyENSC_INSA_10device_ptrIyEEEESG_SG_EENS0_5tupleIJPySJ_EEENSR_IJSJ_SJ_EEES6_PlJS6_EEE10hipError_tPvRmT3_T4_T5_T6_T7_T9_mT8_P12ihipStream_tbDpT10_ENKUlT_T0_E_clISt17integral_constantIbLb1EES1F_EEDaS1A_S1B_EUlS1A_E_NS1_11comp_targetILNS1_3genE4ELNS1_11target_archE910ELNS1_3gpuE8ELNS1_3repE0EEENS1_30default_config_static_selectorELNS0_4arch9wavefront6targetE1EEEvT1_,@function
_ZN7rocprim17ROCPRIM_400000_NS6detail17trampoline_kernelINS0_14default_configENS1_25partition_config_selectorILNS1_17partition_subalgoE2EyNS0_10empty_typeEbEEZZNS1_14partition_implILS5_2ELb0ES3_jN6thrust23THRUST_200600_302600_NS6detail15normal_iteratorINSA_7pointerIyNSA_11hip_rocprim3tagENSA_11use_defaultESG_EEEEPS6_NSA_18transform_iteratorI7is_evenIyENSC_INSA_10device_ptrIyEEEESG_SG_EENS0_5tupleIJPySJ_EEENSR_IJSJ_SJ_EEES6_PlJS6_EEE10hipError_tPvRmT3_T4_T5_T6_T7_T9_mT8_P12ihipStream_tbDpT10_ENKUlT_T0_E_clISt17integral_constantIbLb1EES1F_EEDaS1A_S1B_EUlS1A_E_NS1_11comp_targetILNS1_3genE4ELNS1_11target_archE910ELNS1_3gpuE8ELNS1_3repE0EEENS1_30default_config_static_selectorELNS0_4arch9wavefront6targetE1EEEvT1_: ; @_ZN7rocprim17ROCPRIM_400000_NS6detail17trampoline_kernelINS0_14default_configENS1_25partition_config_selectorILNS1_17partition_subalgoE2EyNS0_10empty_typeEbEEZZNS1_14partition_implILS5_2ELb0ES3_jN6thrust23THRUST_200600_302600_NS6detail15normal_iteratorINSA_7pointerIyNSA_11hip_rocprim3tagENSA_11use_defaultESG_EEEEPS6_NSA_18transform_iteratorI7is_evenIyENSC_INSA_10device_ptrIyEEEESG_SG_EENS0_5tupleIJPySJ_EEENSR_IJSJ_SJ_EEES6_PlJS6_EEE10hipError_tPvRmT3_T4_T5_T6_T7_T9_mT8_P12ihipStream_tbDpT10_ENKUlT_T0_E_clISt17integral_constantIbLb1EES1F_EEDaS1A_S1B_EUlS1A_E_NS1_11comp_targetILNS1_3genE4ELNS1_11target_archE910ELNS1_3gpuE8ELNS1_3repE0EEENS1_30default_config_static_selectorELNS0_4arch9wavefront6targetE1EEEvT1_
; %bb.0:
	.section	.rodata,"a",@progbits
	.p2align	6, 0x0
	.amdhsa_kernel _ZN7rocprim17ROCPRIM_400000_NS6detail17trampoline_kernelINS0_14default_configENS1_25partition_config_selectorILNS1_17partition_subalgoE2EyNS0_10empty_typeEbEEZZNS1_14partition_implILS5_2ELb0ES3_jN6thrust23THRUST_200600_302600_NS6detail15normal_iteratorINSA_7pointerIyNSA_11hip_rocprim3tagENSA_11use_defaultESG_EEEEPS6_NSA_18transform_iteratorI7is_evenIyENSC_INSA_10device_ptrIyEEEESG_SG_EENS0_5tupleIJPySJ_EEENSR_IJSJ_SJ_EEES6_PlJS6_EEE10hipError_tPvRmT3_T4_T5_T6_T7_T9_mT8_P12ihipStream_tbDpT10_ENKUlT_T0_E_clISt17integral_constantIbLb1EES1F_EEDaS1A_S1B_EUlS1A_E_NS1_11comp_targetILNS1_3genE4ELNS1_11target_archE910ELNS1_3gpuE8ELNS1_3repE0EEENS1_30default_config_static_selectorELNS0_4arch9wavefront6targetE1EEEvT1_
		.amdhsa_group_segment_fixed_size 0
		.amdhsa_private_segment_fixed_size 0
		.amdhsa_kernarg_size 144
		.amdhsa_user_sgpr_count 2
		.amdhsa_user_sgpr_dispatch_ptr 0
		.amdhsa_user_sgpr_queue_ptr 0
		.amdhsa_user_sgpr_kernarg_segment_ptr 1
		.amdhsa_user_sgpr_dispatch_id 0
		.amdhsa_user_sgpr_kernarg_preload_length 0
		.amdhsa_user_sgpr_kernarg_preload_offset 0
		.amdhsa_user_sgpr_private_segment_size 0
		.amdhsa_uses_dynamic_stack 0
		.amdhsa_enable_private_segment 0
		.amdhsa_system_sgpr_workgroup_id_x 1
		.amdhsa_system_sgpr_workgroup_id_y 0
		.amdhsa_system_sgpr_workgroup_id_z 0
		.amdhsa_system_sgpr_workgroup_info 0
		.amdhsa_system_vgpr_workitem_id 0
		.amdhsa_next_free_vgpr 1
		.amdhsa_next_free_sgpr 0
		.amdhsa_accum_offset 4
		.amdhsa_reserve_vcc 0
		.amdhsa_float_round_mode_32 0
		.amdhsa_float_round_mode_16_64 0
		.amdhsa_float_denorm_mode_32 3
		.amdhsa_float_denorm_mode_16_64 3
		.amdhsa_dx10_clamp 1
		.amdhsa_ieee_mode 1
		.amdhsa_fp16_overflow 0
		.amdhsa_tg_split 0
		.amdhsa_exception_fp_ieee_invalid_op 0
		.amdhsa_exception_fp_denorm_src 0
		.amdhsa_exception_fp_ieee_div_zero 0
		.amdhsa_exception_fp_ieee_overflow 0
		.amdhsa_exception_fp_ieee_underflow 0
		.amdhsa_exception_fp_ieee_inexact 0
		.amdhsa_exception_int_div_zero 0
	.end_amdhsa_kernel
	.section	.text._ZN7rocprim17ROCPRIM_400000_NS6detail17trampoline_kernelINS0_14default_configENS1_25partition_config_selectorILNS1_17partition_subalgoE2EyNS0_10empty_typeEbEEZZNS1_14partition_implILS5_2ELb0ES3_jN6thrust23THRUST_200600_302600_NS6detail15normal_iteratorINSA_7pointerIyNSA_11hip_rocprim3tagENSA_11use_defaultESG_EEEEPS6_NSA_18transform_iteratorI7is_evenIyENSC_INSA_10device_ptrIyEEEESG_SG_EENS0_5tupleIJPySJ_EEENSR_IJSJ_SJ_EEES6_PlJS6_EEE10hipError_tPvRmT3_T4_T5_T6_T7_T9_mT8_P12ihipStream_tbDpT10_ENKUlT_T0_E_clISt17integral_constantIbLb1EES1F_EEDaS1A_S1B_EUlS1A_E_NS1_11comp_targetILNS1_3genE4ELNS1_11target_archE910ELNS1_3gpuE8ELNS1_3repE0EEENS1_30default_config_static_selectorELNS0_4arch9wavefront6targetE1EEEvT1_,"axG",@progbits,_ZN7rocprim17ROCPRIM_400000_NS6detail17trampoline_kernelINS0_14default_configENS1_25partition_config_selectorILNS1_17partition_subalgoE2EyNS0_10empty_typeEbEEZZNS1_14partition_implILS5_2ELb0ES3_jN6thrust23THRUST_200600_302600_NS6detail15normal_iteratorINSA_7pointerIyNSA_11hip_rocprim3tagENSA_11use_defaultESG_EEEEPS6_NSA_18transform_iteratorI7is_evenIyENSC_INSA_10device_ptrIyEEEESG_SG_EENS0_5tupleIJPySJ_EEENSR_IJSJ_SJ_EEES6_PlJS6_EEE10hipError_tPvRmT3_T4_T5_T6_T7_T9_mT8_P12ihipStream_tbDpT10_ENKUlT_T0_E_clISt17integral_constantIbLb1EES1F_EEDaS1A_S1B_EUlS1A_E_NS1_11comp_targetILNS1_3genE4ELNS1_11target_archE910ELNS1_3gpuE8ELNS1_3repE0EEENS1_30default_config_static_selectorELNS0_4arch9wavefront6targetE1EEEvT1_,comdat
.Lfunc_end2014:
	.size	_ZN7rocprim17ROCPRIM_400000_NS6detail17trampoline_kernelINS0_14default_configENS1_25partition_config_selectorILNS1_17partition_subalgoE2EyNS0_10empty_typeEbEEZZNS1_14partition_implILS5_2ELb0ES3_jN6thrust23THRUST_200600_302600_NS6detail15normal_iteratorINSA_7pointerIyNSA_11hip_rocprim3tagENSA_11use_defaultESG_EEEEPS6_NSA_18transform_iteratorI7is_evenIyENSC_INSA_10device_ptrIyEEEESG_SG_EENS0_5tupleIJPySJ_EEENSR_IJSJ_SJ_EEES6_PlJS6_EEE10hipError_tPvRmT3_T4_T5_T6_T7_T9_mT8_P12ihipStream_tbDpT10_ENKUlT_T0_E_clISt17integral_constantIbLb1EES1F_EEDaS1A_S1B_EUlS1A_E_NS1_11comp_targetILNS1_3genE4ELNS1_11target_archE910ELNS1_3gpuE8ELNS1_3repE0EEENS1_30default_config_static_selectorELNS0_4arch9wavefront6targetE1EEEvT1_, .Lfunc_end2014-_ZN7rocprim17ROCPRIM_400000_NS6detail17trampoline_kernelINS0_14default_configENS1_25partition_config_selectorILNS1_17partition_subalgoE2EyNS0_10empty_typeEbEEZZNS1_14partition_implILS5_2ELb0ES3_jN6thrust23THRUST_200600_302600_NS6detail15normal_iteratorINSA_7pointerIyNSA_11hip_rocprim3tagENSA_11use_defaultESG_EEEEPS6_NSA_18transform_iteratorI7is_evenIyENSC_INSA_10device_ptrIyEEEESG_SG_EENS0_5tupleIJPySJ_EEENSR_IJSJ_SJ_EEES6_PlJS6_EEE10hipError_tPvRmT3_T4_T5_T6_T7_T9_mT8_P12ihipStream_tbDpT10_ENKUlT_T0_E_clISt17integral_constantIbLb1EES1F_EEDaS1A_S1B_EUlS1A_E_NS1_11comp_targetILNS1_3genE4ELNS1_11target_archE910ELNS1_3gpuE8ELNS1_3repE0EEENS1_30default_config_static_selectorELNS0_4arch9wavefront6targetE1EEEvT1_
                                        ; -- End function
	.section	.AMDGPU.csdata,"",@progbits
; Kernel info:
; codeLenInByte = 0
; NumSgprs: 6
; NumVgprs: 0
; NumAgprs: 0
; TotalNumVgprs: 0
; ScratchSize: 0
; MemoryBound: 0
; FloatMode: 240
; IeeeMode: 1
; LDSByteSize: 0 bytes/workgroup (compile time only)
; SGPRBlocks: 0
; VGPRBlocks: 0
; NumSGPRsForWavesPerEU: 6
; NumVGPRsForWavesPerEU: 1
; AccumOffset: 4
; Occupancy: 8
; WaveLimiterHint : 0
; COMPUTE_PGM_RSRC2:SCRATCH_EN: 0
; COMPUTE_PGM_RSRC2:USER_SGPR: 2
; COMPUTE_PGM_RSRC2:TRAP_HANDLER: 0
; COMPUTE_PGM_RSRC2:TGID_X_EN: 1
; COMPUTE_PGM_RSRC2:TGID_Y_EN: 0
; COMPUTE_PGM_RSRC2:TGID_Z_EN: 0
; COMPUTE_PGM_RSRC2:TIDIG_COMP_CNT: 0
; COMPUTE_PGM_RSRC3_GFX90A:ACCUM_OFFSET: 0
; COMPUTE_PGM_RSRC3_GFX90A:TG_SPLIT: 0
	.section	.text._ZN7rocprim17ROCPRIM_400000_NS6detail17trampoline_kernelINS0_14default_configENS1_25partition_config_selectorILNS1_17partition_subalgoE2EyNS0_10empty_typeEbEEZZNS1_14partition_implILS5_2ELb0ES3_jN6thrust23THRUST_200600_302600_NS6detail15normal_iteratorINSA_7pointerIyNSA_11hip_rocprim3tagENSA_11use_defaultESG_EEEEPS6_NSA_18transform_iteratorI7is_evenIyENSC_INSA_10device_ptrIyEEEESG_SG_EENS0_5tupleIJPySJ_EEENSR_IJSJ_SJ_EEES6_PlJS6_EEE10hipError_tPvRmT3_T4_T5_T6_T7_T9_mT8_P12ihipStream_tbDpT10_ENKUlT_T0_E_clISt17integral_constantIbLb1EES1F_EEDaS1A_S1B_EUlS1A_E_NS1_11comp_targetILNS1_3genE3ELNS1_11target_archE908ELNS1_3gpuE7ELNS1_3repE0EEENS1_30default_config_static_selectorELNS0_4arch9wavefront6targetE1EEEvT1_,"axG",@progbits,_ZN7rocprim17ROCPRIM_400000_NS6detail17trampoline_kernelINS0_14default_configENS1_25partition_config_selectorILNS1_17partition_subalgoE2EyNS0_10empty_typeEbEEZZNS1_14partition_implILS5_2ELb0ES3_jN6thrust23THRUST_200600_302600_NS6detail15normal_iteratorINSA_7pointerIyNSA_11hip_rocprim3tagENSA_11use_defaultESG_EEEEPS6_NSA_18transform_iteratorI7is_evenIyENSC_INSA_10device_ptrIyEEEESG_SG_EENS0_5tupleIJPySJ_EEENSR_IJSJ_SJ_EEES6_PlJS6_EEE10hipError_tPvRmT3_T4_T5_T6_T7_T9_mT8_P12ihipStream_tbDpT10_ENKUlT_T0_E_clISt17integral_constantIbLb1EES1F_EEDaS1A_S1B_EUlS1A_E_NS1_11comp_targetILNS1_3genE3ELNS1_11target_archE908ELNS1_3gpuE7ELNS1_3repE0EEENS1_30default_config_static_selectorELNS0_4arch9wavefront6targetE1EEEvT1_,comdat
	.protected	_ZN7rocprim17ROCPRIM_400000_NS6detail17trampoline_kernelINS0_14default_configENS1_25partition_config_selectorILNS1_17partition_subalgoE2EyNS0_10empty_typeEbEEZZNS1_14partition_implILS5_2ELb0ES3_jN6thrust23THRUST_200600_302600_NS6detail15normal_iteratorINSA_7pointerIyNSA_11hip_rocprim3tagENSA_11use_defaultESG_EEEEPS6_NSA_18transform_iteratorI7is_evenIyENSC_INSA_10device_ptrIyEEEESG_SG_EENS0_5tupleIJPySJ_EEENSR_IJSJ_SJ_EEES6_PlJS6_EEE10hipError_tPvRmT3_T4_T5_T6_T7_T9_mT8_P12ihipStream_tbDpT10_ENKUlT_T0_E_clISt17integral_constantIbLb1EES1F_EEDaS1A_S1B_EUlS1A_E_NS1_11comp_targetILNS1_3genE3ELNS1_11target_archE908ELNS1_3gpuE7ELNS1_3repE0EEENS1_30default_config_static_selectorELNS0_4arch9wavefront6targetE1EEEvT1_ ; -- Begin function _ZN7rocprim17ROCPRIM_400000_NS6detail17trampoline_kernelINS0_14default_configENS1_25partition_config_selectorILNS1_17partition_subalgoE2EyNS0_10empty_typeEbEEZZNS1_14partition_implILS5_2ELb0ES3_jN6thrust23THRUST_200600_302600_NS6detail15normal_iteratorINSA_7pointerIyNSA_11hip_rocprim3tagENSA_11use_defaultESG_EEEEPS6_NSA_18transform_iteratorI7is_evenIyENSC_INSA_10device_ptrIyEEEESG_SG_EENS0_5tupleIJPySJ_EEENSR_IJSJ_SJ_EEES6_PlJS6_EEE10hipError_tPvRmT3_T4_T5_T6_T7_T9_mT8_P12ihipStream_tbDpT10_ENKUlT_T0_E_clISt17integral_constantIbLb1EES1F_EEDaS1A_S1B_EUlS1A_E_NS1_11comp_targetILNS1_3genE3ELNS1_11target_archE908ELNS1_3gpuE7ELNS1_3repE0EEENS1_30default_config_static_selectorELNS0_4arch9wavefront6targetE1EEEvT1_
	.globl	_ZN7rocprim17ROCPRIM_400000_NS6detail17trampoline_kernelINS0_14default_configENS1_25partition_config_selectorILNS1_17partition_subalgoE2EyNS0_10empty_typeEbEEZZNS1_14partition_implILS5_2ELb0ES3_jN6thrust23THRUST_200600_302600_NS6detail15normal_iteratorINSA_7pointerIyNSA_11hip_rocprim3tagENSA_11use_defaultESG_EEEEPS6_NSA_18transform_iteratorI7is_evenIyENSC_INSA_10device_ptrIyEEEESG_SG_EENS0_5tupleIJPySJ_EEENSR_IJSJ_SJ_EEES6_PlJS6_EEE10hipError_tPvRmT3_T4_T5_T6_T7_T9_mT8_P12ihipStream_tbDpT10_ENKUlT_T0_E_clISt17integral_constantIbLb1EES1F_EEDaS1A_S1B_EUlS1A_E_NS1_11comp_targetILNS1_3genE3ELNS1_11target_archE908ELNS1_3gpuE7ELNS1_3repE0EEENS1_30default_config_static_selectorELNS0_4arch9wavefront6targetE1EEEvT1_
	.p2align	8
	.type	_ZN7rocprim17ROCPRIM_400000_NS6detail17trampoline_kernelINS0_14default_configENS1_25partition_config_selectorILNS1_17partition_subalgoE2EyNS0_10empty_typeEbEEZZNS1_14partition_implILS5_2ELb0ES3_jN6thrust23THRUST_200600_302600_NS6detail15normal_iteratorINSA_7pointerIyNSA_11hip_rocprim3tagENSA_11use_defaultESG_EEEEPS6_NSA_18transform_iteratorI7is_evenIyENSC_INSA_10device_ptrIyEEEESG_SG_EENS0_5tupleIJPySJ_EEENSR_IJSJ_SJ_EEES6_PlJS6_EEE10hipError_tPvRmT3_T4_T5_T6_T7_T9_mT8_P12ihipStream_tbDpT10_ENKUlT_T0_E_clISt17integral_constantIbLb1EES1F_EEDaS1A_S1B_EUlS1A_E_NS1_11comp_targetILNS1_3genE3ELNS1_11target_archE908ELNS1_3gpuE7ELNS1_3repE0EEENS1_30default_config_static_selectorELNS0_4arch9wavefront6targetE1EEEvT1_,@function
_ZN7rocprim17ROCPRIM_400000_NS6detail17trampoline_kernelINS0_14default_configENS1_25partition_config_selectorILNS1_17partition_subalgoE2EyNS0_10empty_typeEbEEZZNS1_14partition_implILS5_2ELb0ES3_jN6thrust23THRUST_200600_302600_NS6detail15normal_iteratorINSA_7pointerIyNSA_11hip_rocprim3tagENSA_11use_defaultESG_EEEEPS6_NSA_18transform_iteratorI7is_evenIyENSC_INSA_10device_ptrIyEEEESG_SG_EENS0_5tupleIJPySJ_EEENSR_IJSJ_SJ_EEES6_PlJS6_EEE10hipError_tPvRmT3_T4_T5_T6_T7_T9_mT8_P12ihipStream_tbDpT10_ENKUlT_T0_E_clISt17integral_constantIbLb1EES1F_EEDaS1A_S1B_EUlS1A_E_NS1_11comp_targetILNS1_3genE3ELNS1_11target_archE908ELNS1_3gpuE7ELNS1_3repE0EEENS1_30default_config_static_selectorELNS0_4arch9wavefront6targetE1EEEvT1_: ; @_ZN7rocprim17ROCPRIM_400000_NS6detail17trampoline_kernelINS0_14default_configENS1_25partition_config_selectorILNS1_17partition_subalgoE2EyNS0_10empty_typeEbEEZZNS1_14partition_implILS5_2ELb0ES3_jN6thrust23THRUST_200600_302600_NS6detail15normal_iteratorINSA_7pointerIyNSA_11hip_rocprim3tagENSA_11use_defaultESG_EEEEPS6_NSA_18transform_iteratorI7is_evenIyENSC_INSA_10device_ptrIyEEEESG_SG_EENS0_5tupleIJPySJ_EEENSR_IJSJ_SJ_EEES6_PlJS6_EEE10hipError_tPvRmT3_T4_T5_T6_T7_T9_mT8_P12ihipStream_tbDpT10_ENKUlT_T0_E_clISt17integral_constantIbLb1EES1F_EEDaS1A_S1B_EUlS1A_E_NS1_11comp_targetILNS1_3genE3ELNS1_11target_archE908ELNS1_3gpuE7ELNS1_3repE0EEENS1_30default_config_static_selectorELNS0_4arch9wavefront6targetE1EEEvT1_
; %bb.0:
	.section	.rodata,"a",@progbits
	.p2align	6, 0x0
	.amdhsa_kernel _ZN7rocprim17ROCPRIM_400000_NS6detail17trampoline_kernelINS0_14default_configENS1_25partition_config_selectorILNS1_17partition_subalgoE2EyNS0_10empty_typeEbEEZZNS1_14partition_implILS5_2ELb0ES3_jN6thrust23THRUST_200600_302600_NS6detail15normal_iteratorINSA_7pointerIyNSA_11hip_rocprim3tagENSA_11use_defaultESG_EEEEPS6_NSA_18transform_iteratorI7is_evenIyENSC_INSA_10device_ptrIyEEEESG_SG_EENS0_5tupleIJPySJ_EEENSR_IJSJ_SJ_EEES6_PlJS6_EEE10hipError_tPvRmT3_T4_T5_T6_T7_T9_mT8_P12ihipStream_tbDpT10_ENKUlT_T0_E_clISt17integral_constantIbLb1EES1F_EEDaS1A_S1B_EUlS1A_E_NS1_11comp_targetILNS1_3genE3ELNS1_11target_archE908ELNS1_3gpuE7ELNS1_3repE0EEENS1_30default_config_static_selectorELNS0_4arch9wavefront6targetE1EEEvT1_
		.amdhsa_group_segment_fixed_size 0
		.amdhsa_private_segment_fixed_size 0
		.amdhsa_kernarg_size 144
		.amdhsa_user_sgpr_count 2
		.amdhsa_user_sgpr_dispatch_ptr 0
		.amdhsa_user_sgpr_queue_ptr 0
		.amdhsa_user_sgpr_kernarg_segment_ptr 1
		.amdhsa_user_sgpr_dispatch_id 0
		.amdhsa_user_sgpr_kernarg_preload_length 0
		.amdhsa_user_sgpr_kernarg_preload_offset 0
		.amdhsa_user_sgpr_private_segment_size 0
		.amdhsa_uses_dynamic_stack 0
		.amdhsa_enable_private_segment 0
		.amdhsa_system_sgpr_workgroup_id_x 1
		.amdhsa_system_sgpr_workgroup_id_y 0
		.amdhsa_system_sgpr_workgroup_id_z 0
		.amdhsa_system_sgpr_workgroup_info 0
		.amdhsa_system_vgpr_workitem_id 0
		.amdhsa_next_free_vgpr 1
		.amdhsa_next_free_sgpr 0
		.amdhsa_accum_offset 4
		.amdhsa_reserve_vcc 0
		.amdhsa_float_round_mode_32 0
		.amdhsa_float_round_mode_16_64 0
		.amdhsa_float_denorm_mode_32 3
		.amdhsa_float_denorm_mode_16_64 3
		.amdhsa_dx10_clamp 1
		.amdhsa_ieee_mode 1
		.amdhsa_fp16_overflow 0
		.amdhsa_tg_split 0
		.amdhsa_exception_fp_ieee_invalid_op 0
		.amdhsa_exception_fp_denorm_src 0
		.amdhsa_exception_fp_ieee_div_zero 0
		.amdhsa_exception_fp_ieee_overflow 0
		.amdhsa_exception_fp_ieee_underflow 0
		.amdhsa_exception_fp_ieee_inexact 0
		.amdhsa_exception_int_div_zero 0
	.end_amdhsa_kernel
	.section	.text._ZN7rocprim17ROCPRIM_400000_NS6detail17trampoline_kernelINS0_14default_configENS1_25partition_config_selectorILNS1_17partition_subalgoE2EyNS0_10empty_typeEbEEZZNS1_14partition_implILS5_2ELb0ES3_jN6thrust23THRUST_200600_302600_NS6detail15normal_iteratorINSA_7pointerIyNSA_11hip_rocprim3tagENSA_11use_defaultESG_EEEEPS6_NSA_18transform_iteratorI7is_evenIyENSC_INSA_10device_ptrIyEEEESG_SG_EENS0_5tupleIJPySJ_EEENSR_IJSJ_SJ_EEES6_PlJS6_EEE10hipError_tPvRmT3_T4_T5_T6_T7_T9_mT8_P12ihipStream_tbDpT10_ENKUlT_T0_E_clISt17integral_constantIbLb1EES1F_EEDaS1A_S1B_EUlS1A_E_NS1_11comp_targetILNS1_3genE3ELNS1_11target_archE908ELNS1_3gpuE7ELNS1_3repE0EEENS1_30default_config_static_selectorELNS0_4arch9wavefront6targetE1EEEvT1_,"axG",@progbits,_ZN7rocprim17ROCPRIM_400000_NS6detail17trampoline_kernelINS0_14default_configENS1_25partition_config_selectorILNS1_17partition_subalgoE2EyNS0_10empty_typeEbEEZZNS1_14partition_implILS5_2ELb0ES3_jN6thrust23THRUST_200600_302600_NS6detail15normal_iteratorINSA_7pointerIyNSA_11hip_rocprim3tagENSA_11use_defaultESG_EEEEPS6_NSA_18transform_iteratorI7is_evenIyENSC_INSA_10device_ptrIyEEEESG_SG_EENS0_5tupleIJPySJ_EEENSR_IJSJ_SJ_EEES6_PlJS6_EEE10hipError_tPvRmT3_T4_T5_T6_T7_T9_mT8_P12ihipStream_tbDpT10_ENKUlT_T0_E_clISt17integral_constantIbLb1EES1F_EEDaS1A_S1B_EUlS1A_E_NS1_11comp_targetILNS1_3genE3ELNS1_11target_archE908ELNS1_3gpuE7ELNS1_3repE0EEENS1_30default_config_static_selectorELNS0_4arch9wavefront6targetE1EEEvT1_,comdat
.Lfunc_end2015:
	.size	_ZN7rocprim17ROCPRIM_400000_NS6detail17trampoline_kernelINS0_14default_configENS1_25partition_config_selectorILNS1_17partition_subalgoE2EyNS0_10empty_typeEbEEZZNS1_14partition_implILS5_2ELb0ES3_jN6thrust23THRUST_200600_302600_NS6detail15normal_iteratorINSA_7pointerIyNSA_11hip_rocprim3tagENSA_11use_defaultESG_EEEEPS6_NSA_18transform_iteratorI7is_evenIyENSC_INSA_10device_ptrIyEEEESG_SG_EENS0_5tupleIJPySJ_EEENSR_IJSJ_SJ_EEES6_PlJS6_EEE10hipError_tPvRmT3_T4_T5_T6_T7_T9_mT8_P12ihipStream_tbDpT10_ENKUlT_T0_E_clISt17integral_constantIbLb1EES1F_EEDaS1A_S1B_EUlS1A_E_NS1_11comp_targetILNS1_3genE3ELNS1_11target_archE908ELNS1_3gpuE7ELNS1_3repE0EEENS1_30default_config_static_selectorELNS0_4arch9wavefront6targetE1EEEvT1_, .Lfunc_end2015-_ZN7rocprim17ROCPRIM_400000_NS6detail17trampoline_kernelINS0_14default_configENS1_25partition_config_selectorILNS1_17partition_subalgoE2EyNS0_10empty_typeEbEEZZNS1_14partition_implILS5_2ELb0ES3_jN6thrust23THRUST_200600_302600_NS6detail15normal_iteratorINSA_7pointerIyNSA_11hip_rocprim3tagENSA_11use_defaultESG_EEEEPS6_NSA_18transform_iteratorI7is_evenIyENSC_INSA_10device_ptrIyEEEESG_SG_EENS0_5tupleIJPySJ_EEENSR_IJSJ_SJ_EEES6_PlJS6_EEE10hipError_tPvRmT3_T4_T5_T6_T7_T9_mT8_P12ihipStream_tbDpT10_ENKUlT_T0_E_clISt17integral_constantIbLb1EES1F_EEDaS1A_S1B_EUlS1A_E_NS1_11comp_targetILNS1_3genE3ELNS1_11target_archE908ELNS1_3gpuE7ELNS1_3repE0EEENS1_30default_config_static_selectorELNS0_4arch9wavefront6targetE1EEEvT1_
                                        ; -- End function
	.section	.AMDGPU.csdata,"",@progbits
; Kernel info:
; codeLenInByte = 0
; NumSgprs: 6
; NumVgprs: 0
; NumAgprs: 0
; TotalNumVgprs: 0
; ScratchSize: 0
; MemoryBound: 0
; FloatMode: 240
; IeeeMode: 1
; LDSByteSize: 0 bytes/workgroup (compile time only)
; SGPRBlocks: 0
; VGPRBlocks: 0
; NumSGPRsForWavesPerEU: 6
; NumVGPRsForWavesPerEU: 1
; AccumOffset: 4
; Occupancy: 8
; WaveLimiterHint : 0
; COMPUTE_PGM_RSRC2:SCRATCH_EN: 0
; COMPUTE_PGM_RSRC2:USER_SGPR: 2
; COMPUTE_PGM_RSRC2:TRAP_HANDLER: 0
; COMPUTE_PGM_RSRC2:TGID_X_EN: 1
; COMPUTE_PGM_RSRC2:TGID_Y_EN: 0
; COMPUTE_PGM_RSRC2:TGID_Z_EN: 0
; COMPUTE_PGM_RSRC2:TIDIG_COMP_CNT: 0
; COMPUTE_PGM_RSRC3_GFX90A:ACCUM_OFFSET: 0
; COMPUTE_PGM_RSRC3_GFX90A:TG_SPLIT: 0
	.section	.text._ZN7rocprim17ROCPRIM_400000_NS6detail17trampoline_kernelINS0_14default_configENS1_25partition_config_selectorILNS1_17partition_subalgoE2EyNS0_10empty_typeEbEEZZNS1_14partition_implILS5_2ELb0ES3_jN6thrust23THRUST_200600_302600_NS6detail15normal_iteratorINSA_7pointerIyNSA_11hip_rocprim3tagENSA_11use_defaultESG_EEEEPS6_NSA_18transform_iteratorI7is_evenIyENSC_INSA_10device_ptrIyEEEESG_SG_EENS0_5tupleIJPySJ_EEENSR_IJSJ_SJ_EEES6_PlJS6_EEE10hipError_tPvRmT3_T4_T5_T6_T7_T9_mT8_P12ihipStream_tbDpT10_ENKUlT_T0_E_clISt17integral_constantIbLb1EES1F_EEDaS1A_S1B_EUlS1A_E_NS1_11comp_targetILNS1_3genE2ELNS1_11target_archE906ELNS1_3gpuE6ELNS1_3repE0EEENS1_30default_config_static_selectorELNS0_4arch9wavefront6targetE1EEEvT1_,"axG",@progbits,_ZN7rocprim17ROCPRIM_400000_NS6detail17trampoline_kernelINS0_14default_configENS1_25partition_config_selectorILNS1_17partition_subalgoE2EyNS0_10empty_typeEbEEZZNS1_14partition_implILS5_2ELb0ES3_jN6thrust23THRUST_200600_302600_NS6detail15normal_iteratorINSA_7pointerIyNSA_11hip_rocprim3tagENSA_11use_defaultESG_EEEEPS6_NSA_18transform_iteratorI7is_evenIyENSC_INSA_10device_ptrIyEEEESG_SG_EENS0_5tupleIJPySJ_EEENSR_IJSJ_SJ_EEES6_PlJS6_EEE10hipError_tPvRmT3_T4_T5_T6_T7_T9_mT8_P12ihipStream_tbDpT10_ENKUlT_T0_E_clISt17integral_constantIbLb1EES1F_EEDaS1A_S1B_EUlS1A_E_NS1_11comp_targetILNS1_3genE2ELNS1_11target_archE906ELNS1_3gpuE6ELNS1_3repE0EEENS1_30default_config_static_selectorELNS0_4arch9wavefront6targetE1EEEvT1_,comdat
	.protected	_ZN7rocprim17ROCPRIM_400000_NS6detail17trampoline_kernelINS0_14default_configENS1_25partition_config_selectorILNS1_17partition_subalgoE2EyNS0_10empty_typeEbEEZZNS1_14partition_implILS5_2ELb0ES3_jN6thrust23THRUST_200600_302600_NS6detail15normal_iteratorINSA_7pointerIyNSA_11hip_rocprim3tagENSA_11use_defaultESG_EEEEPS6_NSA_18transform_iteratorI7is_evenIyENSC_INSA_10device_ptrIyEEEESG_SG_EENS0_5tupleIJPySJ_EEENSR_IJSJ_SJ_EEES6_PlJS6_EEE10hipError_tPvRmT3_T4_T5_T6_T7_T9_mT8_P12ihipStream_tbDpT10_ENKUlT_T0_E_clISt17integral_constantIbLb1EES1F_EEDaS1A_S1B_EUlS1A_E_NS1_11comp_targetILNS1_3genE2ELNS1_11target_archE906ELNS1_3gpuE6ELNS1_3repE0EEENS1_30default_config_static_selectorELNS0_4arch9wavefront6targetE1EEEvT1_ ; -- Begin function _ZN7rocprim17ROCPRIM_400000_NS6detail17trampoline_kernelINS0_14default_configENS1_25partition_config_selectorILNS1_17partition_subalgoE2EyNS0_10empty_typeEbEEZZNS1_14partition_implILS5_2ELb0ES3_jN6thrust23THRUST_200600_302600_NS6detail15normal_iteratorINSA_7pointerIyNSA_11hip_rocprim3tagENSA_11use_defaultESG_EEEEPS6_NSA_18transform_iteratorI7is_evenIyENSC_INSA_10device_ptrIyEEEESG_SG_EENS0_5tupleIJPySJ_EEENSR_IJSJ_SJ_EEES6_PlJS6_EEE10hipError_tPvRmT3_T4_T5_T6_T7_T9_mT8_P12ihipStream_tbDpT10_ENKUlT_T0_E_clISt17integral_constantIbLb1EES1F_EEDaS1A_S1B_EUlS1A_E_NS1_11comp_targetILNS1_3genE2ELNS1_11target_archE906ELNS1_3gpuE6ELNS1_3repE0EEENS1_30default_config_static_selectorELNS0_4arch9wavefront6targetE1EEEvT1_
	.globl	_ZN7rocprim17ROCPRIM_400000_NS6detail17trampoline_kernelINS0_14default_configENS1_25partition_config_selectorILNS1_17partition_subalgoE2EyNS0_10empty_typeEbEEZZNS1_14partition_implILS5_2ELb0ES3_jN6thrust23THRUST_200600_302600_NS6detail15normal_iteratorINSA_7pointerIyNSA_11hip_rocprim3tagENSA_11use_defaultESG_EEEEPS6_NSA_18transform_iteratorI7is_evenIyENSC_INSA_10device_ptrIyEEEESG_SG_EENS0_5tupleIJPySJ_EEENSR_IJSJ_SJ_EEES6_PlJS6_EEE10hipError_tPvRmT3_T4_T5_T6_T7_T9_mT8_P12ihipStream_tbDpT10_ENKUlT_T0_E_clISt17integral_constantIbLb1EES1F_EEDaS1A_S1B_EUlS1A_E_NS1_11comp_targetILNS1_3genE2ELNS1_11target_archE906ELNS1_3gpuE6ELNS1_3repE0EEENS1_30default_config_static_selectorELNS0_4arch9wavefront6targetE1EEEvT1_
	.p2align	8
	.type	_ZN7rocprim17ROCPRIM_400000_NS6detail17trampoline_kernelINS0_14default_configENS1_25partition_config_selectorILNS1_17partition_subalgoE2EyNS0_10empty_typeEbEEZZNS1_14partition_implILS5_2ELb0ES3_jN6thrust23THRUST_200600_302600_NS6detail15normal_iteratorINSA_7pointerIyNSA_11hip_rocprim3tagENSA_11use_defaultESG_EEEEPS6_NSA_18transform_iteratorI7is_evenIyENSC_INSA_10device_ptrIyEEEESG_SG_EENS0_5tupleIJPySJ_EEENSR_IJSJ_SJ_EEES6_PlJS6_EEE10hipError_tPvRmT3_T4_T5_T6_T7_T9_mT8_P12ihipStream_tbDpT10_ENKUlT_T0_E_clISt17integral_constantIbLb1EES1F_EEDaS1A_S1B_EUlS1A_E_NS1_11comp_targetILNS1_3genE2ELNS1_11target_archE906ELNS1_3gpuE6ELNS1_3repE0EEENS1_30default_config_static_selectorELNS0_4arch9wavefront6targetE1EEEvT1_,@function
_ZN7rocprim17ROCPRIM_400000_NS6detail17trampoline_kernelINS0_14default_configENS1_25partition_config_selectorILNS1_17partition_subalgoE2EyNS0_10empty_typeEbEEZZNS1_14partition_implILS5_2ELb0ES3_jN6thrust23THRUST_200600_302600_NS6detail15normal_iteratorINSA_7pointerIyNSA_11hip_rocprim3tagENSA_11use_defaultESG_EEEEPS6_NSA_18transform_iteratorI7is_evenIyENSC_INSA_10device_ptrIyEEEESG_SG_EENS0_5tupleIJPySJ_EEENSR_IJSJ_SJ_EEES6_PlJS6_EEE10hipError_tPvRmT3_T4_T5_T6_T7_T9_mT8_P12ihipStream_tbDpT10_ENKUlT_T0_E_clISt17integral_constantIbLb1EES1F_EEDaS1A_S1B_EUlS1A_E_NS1_11comp_targetILNS1_3genE2ELNS1_11target_archE906ELNS1_3gpuE6ELNS1_3repE0EEENS1_30default_config_static_selectorELNS0_4arch9wavefront6targetE1EEEvT1_: ; @_ZN7rocprim17ROCPRIM_400000_NS6detail17trampoline_kernelINS0_14default_configENS1_25partition_config_selectorILNS1_17partition_subalgoE2EyNS0_10empty_typeEbEEZZNS1_14partition_implILS5_2ELb0ES3_jN6thrust23THRUST_200600_302600_NS6detail15normal_iteratorINSA_7pointerIyNSA_11hip_rocprim3tagENSA_11use_defaultESG_EEEEPS6_NSA_18transform_iteratorI7is_evenIyENSC_INSA_10device_ptrIyEEEESG_SG_EENS0_5tupleIJPySJ_EEENSR_IJSJ_SJ_EEES6_PlJS6_EEE10hipError_tPvRmT3_T4_T5_T6_T7_T9_mT8_P12ihipStream_tbDpT10_ENKUlT_T0_E_clISt17integral_constantIbLb1EES1F_EEDaS1A_S1B_EUlS1A_E_NS1_11comp_targetILNS1_3genE2ELNS1_11target_archE906ELNS1_3gpuE6ELNS1_3repE0EEENS1_30default_config_static_selectorELNS0_4arch9wavefront6targetE1EEEvT1_
; %bb.0:
	.section	.rodata,"a",@progbits
	.p2align	6, 0x0
	.amdhsa_kernel _ZN7rocprim17ROCPRIM_400000_NS6detail17trampoline_kernelINS0_14default_configENS1_25partition_config_selectorILNS1_17partition_subalgoE2EyNS0_10empty_typeEbEEZZNS1_14partition_implILS5_2ELb0ES3_jN6thrust23THRUST_200600_302600_NS6detail15normal_iteratorINSA_7pointerIyNSA_11hip_rocprim3tagENSA_11use_defaultESG_EEEEPS6_NSA_18transform_iteratorI7is_evenIyENSC_INSA_10device_ptrIyEEEESG_SG_EENS0_5tupleIJPySJ_EEENSR_IJSJ_SJ_EEES6_PlJS6_EEE10hipError_tPvRmT3_T4_T5_T6_T7_T9_mT8_P12ihipStream_tbDpT10_ENKUlT_T0_E_clISt17integral_constantIbLb1EES1F_EEDaS1A_S1B_EUlS1A_E_NS1_11comp_targetILNS1_3genE2ELNS1_11target_archE906ELNS1_3gpuE6ELNS1_3repE0EEENS1_30default_config_static_selectorELNS0_4arch9wavefront6targetE1EEEvT1_
		.amdhsa_group_segment_fixed_size 0
		.amdhsa_private_segment_fixed_size 0
		.amdhsa_kernarg_size 144
		.amdhsa_user_sgpr_count 2
		.amdhsa_user_sgpr_dispatch_ptr 0
		.amdhsa_user_sgpr_queue_ptr 0
		.amdhsa_user_sgpr_kernarg_segment_ptr 1
		.amdhsa_user_sgpr_dispatch_id 0
		.amdhsa_user_sgpr_kernarg_preload_length 0
		.amdhsa_user_sgpr_kernarg_preload_offset 0
		.amdhsa_user_sgpr_private_segment_size 0
		.amdhsa_uses_dynamic_stack 0
		.amdhsa_enable_private_segment 0
		.amdhsa_system_sgpr_workgroup_id_x 1
		.amdhsa_system_sgpr_workgroup_id_y 0
		.amdhsa_system_sgpr_workgroup_id_z 0
		.amdhsa_system_sgpr_workgroup_info 0
		.amdhsa_system_vgpr_workitem_id 0
		.amdhsa_next_free_vgpr 1
		.amdhsa_next_free_sgpr 0
		.amdhsa_accum_offset 4
		.amdhsa_reserve_vcc 0
		.amdhsa_float_round_mode_32 0
		.amdhsa_float_round_mode_16_64 0
		.amdhsa_float_denorm_mode_32 3
		.amdhsa_float_denorm_mode_16_64 3
		.amdhsa_dx10_clamp 1
		.amdhsa_ieee_mode 1
		.amdhsa_fp16_overflow 0
		.amdhsa_tg_split 0
		.amdhsa_exception_fp_ieee_invalid_op 0
		.amdhsa_exception_fp_denorm_src 0
		.amdhsa_exception_fp_ieee_div_zero 0
		.amdhsa_exception_fp_ieee_overflow 0
		.amdhsa_exception_fp_ieee_underflow 0
		.amdhsa_exception_fp_ieee_inexact 0
		.amdhsa_exception_int_div_zero 0
	.end_amdhsa_kernel
	.section	.text._ZN7rocprim17ROCPRIM_400000_NS6detail17trampoline_kernelINS0_14default_configENS1_25partition_config_selectorILNS1_17partition_subalgoE2EyNS0_10empty_typeEbEEZZNS1_14partition_implILS5_2ELb0ES3_jN6thrust23THRUST_200600_302600_NS6detail15normal_iteratorINSA_7pointerIyNSA_11hip_rocprim3tagENSA_11use_defaultESG_EEEEPS6_NSA_18transform_iteratorI7is_evenIyENSC_INSA_10device_ptrIyEEEESG_SG_EENS0_5tupleIJPySJ_EEENSR_IJSJ_SJ_EEES6_PlJS6_EEE10hipError_tPvRmT3_T4_T5_T6_T7_T9_mT8_P12ihipStream_tbDpT10_ENKUlT_T0_E_clISt17integral_constantIbLb1EES1F_EEDaS1A_S1B_EUlS1A_E_NS1_11comp_targetILNS1_3genE2ELNS1_11target_archE906ELNS1_3gpuE6ELNS1_3repE0EEENS1_30default_config_static_selectorELNS0_4arch9wavefront6targetE1EEEvT1_,"axG",@progbits,_ZN7rocprim17ROCPRIM_400000_NS6detail17trampoline_kernelINS0_14default_configENS1_25partition_config_selectorILNS1_17partition_subalgoE2EyNS0_10empty_typeEbEEZZNS1_14partition_implILS5_2ELb0ES3_jN6thrust23THRUST_200600_302600_NS6detail15normal_iteratorINSA_7pointerIyNSA_11hip_rocprim3tagENSA_11use_defaultESG_EEEEPS6_NSA_18transform_iteratorI7is_evenIyENSC_INSA_10device_ptrIyEEEESG_SG_EENS0_5tupleIJPySJ_EEENSR_IJSJ_SJ_EEES6_PlJS6_EEE10hipError_tPvRmT3_T4_T5_T6_T7_T9_mT8_P12ihipStream_tbDpT10_ENKUlT_T0_E_clISt17integral_constantIbLb1EES1F_EEDaS1A_S1B_EUlS1A_E_NS1_11comp_targetILNS1_3genE2ELNS1_11target_archE906ELNS1_3gpuE6ELNS1_3repE0EEENS1_30default_config_static_selectorELNS0_4arch9wavefront6targetE1EEEvT1_,comdat
.Lfunc_end2016:
	.size	_ZN7rocprim17ROCPRIM_400000_NS6detail17trampoline_kernelINS0_14default_configENS1_25partition_config_selectorILNS1_17partition_subalgoE2EyNS0_10empty_typeEbEEZZNS1_14partition_implILS5_2ELb0ES3_jN6thrust23THRUST_200600_302600_NS6detail15normal_iteratorINSA_7pointerIyNSA_11hip_rocprim3tagENSA_11use_defaultESG_EEEEPS6_NSA_18transform_iteratorI7is_evenIyENSC_INSA_10device_ptrIyEEEESG_SG_EENS0_5tupleIJPySJ_EEENSR_IJSJ_SJ_EEES6_PlJS6_EEE10hipError_tPvRmT3_T4_T5_T6_T7_T9_mT8_P12ihipStream_tbDpT10_ENKUlT_T0_E_clISt17integral_constantIbLb1EES1F_EEDaS1A_S1B_EUlS1A_E_NS1_11comp_targetILNS1_3genE2ELNS1_11target_archE906ELNS1_3gpuE6ELNS1_3repE0EEENS1_30default_config_static_selectorELNS0_4arch9wavefront6targetE1EEEvT1_, .Lfunc_end2016-_ZN7rocprim17ROCPRIM_400000_NS6detail17trampoline_kernelINS0_14default_configENS1_25partition_config_selectorILNS1_17partition_subalgoE2EyNS0_10empty_typeEbEEZZNS1_14partition_implILS5_2ELb0ES3_jN6thrust23THRUST_200600_302600_NS6detail15normal_iteratorINSA_7pointerIyNSA_11hip_rocprim3tagENSA_11use_defaultESG_EEEEPS6_NSA_18transform_iteratorI7is_evenIyENSC_INSA_10device_ptrIyEEEESG_SG_EENS0_5tupleIJPySJ_EEENSR_IJSJ_SJ_EEES6_PlJS6_EEE10hipError_tPvRmT3_T4_T5_T6_T7_T9_mT8_P12ihipStream_tbDpT10_ENKUlT_T0_E_clISt17integral_constantIbLb1EES1F_EEDaS1A_S1B_EUlS1A_E_NS1_11comp_targetILNS1_3genE2ELNS1_11target_archE906ELNS1_3gpuE6ELNS1_3repE0EEENS1_30default_config_static_selectorELNS0_4arch9wavefront6targetE1EEEvT1_
                                        ; -- End function
	.section	.AMDGPU.csdata,"",@progbits
; Kernel info:
; codeLenInByte = 0
; NumSgprs: 6
; NumVgprs: 0
; NumAgprs: 0
; TotalNumVgprs: 0
; ScratchSize: 0
; MemoryBound: 0
; FloatMode: 240
; IeeeMode: 1
; LDSByteSize: 0 bytes/workgroup (compile time only)
; SGPRBlocks: 0
; VGPRBlocks: 0
; NumSGPRsForWavesPerEU: 6
; NumVGPRsForWavesPerEU: 1
; AccumOffset: 4
; Occupancy: 8
; WaveLimiterHint : 0
; COMPUTE_PGM_RSRC2:SCRATCH_EN: 0
; COMPUTE_PGM_RSRC2:USER_SGPR: 2
; COMPUTE_PGM_RSRC2:TRAP_HANDLER: 0
; COMPUTE_PGM_RSRC2:TGID_X_EN: 1
; COMPUTE_PGM_RSRC2:TGID_Y_EN: 0
; COMPUTE_PGM_RSRC2:TGID_Z_EN: 0
; COMPUTE_PGM_RSRC2:TIDIG_COMP_CNT: 0
; COMPUTE_PGM_RSRC3_GFX90A:ACCUM_OFFSET: 0
; COMPUTE_PGM_RSRC3_GFX90A:TG_SPLIT: 0
	.section	.text._ZN7rocprim17ROCPRIM_400000_NS6detail17trampoline_kernelINS0_14default_configENS1_25partition_config_selectorILNS1_17partition_subalgoE2EyNS0_10empty_typeEbEEZZNS1_14partition_implILS5_2ELb0ES3_jN6thrust23THRUST_200600_302600_NS6detail15normal_iteratorINSA_7pointerIyNSA_11hip_rocprim3tagENSA_11use_defaultESG_EEEEPS6_NSA_18transform_iteratorI7is_evenIyENSC_INSA_10device_ptrIyEEEESG_SG_EENS0_5tupleIJPySJ_EEENSR_IJSJ_SJ_EEES6_PlJS6_EEE10hipError_tPvRmT3_T4_T5_T6_T7_T9_mT8_P12ihipStream_tbDpT10_ENKUlT_T0_E_clISt17integral_constantIbLb1EES1F_EEDaS1A_S1B_EUlS1A_E_NS1_11comp_targetILNS1_3genE10ELNS1_11target_archE1200ELNS1_3gpuE4ELNS1_3repE0EEENS1_30default_config_static_selectorELNS0_4arch9wavefront6targetE1EEEvT1_,"axG",@progbits,_ZN7rocprim17ROCPRIM_400000_NS6detail17trampoline_kernelINS0_14default_configENS1_25partition_config_selectorILNS1_17partition_subalgoE2EyNS0_10empty_typeEbEEZZNS1_14partition_implILS5_2ELb0ES3_jN6thrust23THRUST_200600_302600_NS6detail15normal_iteratorINSA_7pointerIyNSA_11hip_rocprim3tagENSA_11use_defaultESG_EEEEPS6_NSA_18transform_iteratorI7is_evenIyENSC_INSA_10device_ptrIyEEEESG_SG_EENS0_5tupleIJPySJ_EEENSR_IJSJ_SJ_EEES6_PlJS6_EEE10hipError_tPvRmT3_T4_T5_T6_T7_T9_mT8_P12ihipStream_tbDpT10_ENKUlT_T0_E_clISt17integral_constantIbLb1EES1F_EEDaS1A_S1B_EUlS1A_E_NS1_11comp_targetILNS1_3genE10ELNS1_11target_archE1200ELNS1_3gpuE4ELNS1_3repE0EEENS1_30default_config_static_selectorELNS0_4arch9wavefront6targetE1EEEvT1_,comdat
	.protected	_ZN7rocprim17ROCPRIM_400000_NS6detail17trampoline_kernelINS0_14default_configENS1_25partition_config_selectorILNS1_17partition_subalgoE2EyNS0_10empty_typeEbEEZZNS1_14partition_implILS5_2ELb0ES3_jN6thrust23THRUST_200600_302600_NS6detail15normal_iteratorINSA_7pointerIyNSA_11hip_rocprim3tagENSA_11use_defaultESG_EEEEPS6_NSA_18transform_iteratorI7is_evenIyENSC_INSA_10device_ptrIyEEEESG_SG_EENS0_5tupleIJPySJ_EEENSR_IJSJ_SJ_EEES6_PlJS6_EEE10hipError_tPvRmT3_T4_T5_T6_T7_T9_mT8_P12ihipStream_tbDpT10_ENKUlT_T0_E_clISt17integral_constantIbLb1EES1F_EEDaS1A_S1B_EUlS1A_E_NS1_11comp_targetILNS1_3genE10ELNS1_11target_archE1200ELNS1_3gpuE4ELNS1_3repE0EEENS1_30default_config_static_selectorELNS0_4arch9wavefront6targetE1EEEvT1_ ; -- Begin function _ZN7rocprim17ROCPRIM_400000_NS6detail17trampoline_kernelINS0_14default_configENS1_25partition_config_selectorILNS1_17partition_subalgoE2EyNS0_10empty_typeEbEEZZNS1_14partition_implILS5_2ELb0ES3_jN6thrust23THRUST_200600_302600_NS6detail15normal_iteratorINSA_7pointerIyNSA_11hip_rocprim3tagENSA_11use_defaultESG_EEEEPS6_NSA_18transform_iteratorI7is_evenIyENSC_INSA_10device_ptrIyEEEESG_SG_EENS0_5tupleIJPySJ_EEENSR_IJSJ_SJ_EEES6_PlJS6_EEE10hipError_tPvRmT3_T4_T5_T6_T7_T9_mT8_P12ihipStream_tbDpT10_ENKUlT_T0_E_clISt17integral_constantIbLb1EES1F_EEDaS1A_S1B_EUlS1A_E_NS1_11comp_targetILNS1_3genE10ELNS1_11target_archE1200ELNS1_3gpuE4ELNS1_3repE0EEENS1_30default_config_static_selectorELNS0_4arch9wavefront6targetE1EEEvT1_
	.globl	_ZN7rocprim17ROCPRIM_400000_NS6detail17trampoline_kernelINS0_14default_configENS1_25partition_config_selectorILNS1_17partition_subalgoE2EyNS0_10empty_typeEbEEZZNS1_14partition_implILS5_2ELb0ES3_jN6thrust23THRUST_200600_302600_NS6detail15normal_iteratorINSA_7pointerIyNSA_11hip_rocprim3tagENSA_11use_defaultESG_EEEEPS6_NSA_18transform_iteratorI7is_evenIyENSC_INSA_10device_ptrIyEEEESG_SG_EENS0_5tupleIJPySJ_EEENSR_IJSJ_SJ_EEES6_PlJS6_EEE10hipError_tPvRmT3_T4_T5_T6_T7_T9_mT8_P12ihipStream_tbDpT10_ENKUlT_T0_E_clISt17integral_constantIbLb1EES1F_EEDaS1A_S1B_EUlS1A_E_NS1_11comp_targetILNS1_3genE10ELNS1_11target_archE1200ELNS1_3gpuE4ELNS1_3repE0EEENS1_30default_config_static_selectorELNS0_4arch9wavefront6targetE1EEEvT1_
	.p2align	8
	.type	_ZN7rocprim17ROCPRIM_400000_NS6detail17trampoline_kernelINS0_14default_configENS1_25partition_config_selectorILNS1_17partition_subalgoE2EyNS0_10empty_typeEbEEZZNS1_14partition_implILS5_2ELb0ES3_jN6thrust23THRUST_200600_302600_NS6detail15normal_iteratorINSA_7pointerIyNSA_11hip_rocprim3tagENSA_11use_defaultESG_EEEEPS6_NSA_18transform_iteratorI7is_evenIyENSC_INSA_10device_ptrIyEEEESG_SG_EENS0_5tupleIJPySJ_EEENSR_IJSJ_SJ_EEES6_PlJS6_EEE10hipError_tPvRmT3_T4_T5_T6_T7_T9_mT8_P12ihipStream_tbDpT10_ENKUlT_T0_E_clISt17integral_constantIbLb1EES1F_EEDaS1A_S1B_EUlS1A_E_NS1_11comp_targetILNS1_3genE10ELNS1_11target_archE1200ELNS1_3gpuE4ELNS1_3repE0EEENS1_30default_config_static_selectorELNS0_4arch9wavefront6targetE1EEEvT1_,@function
_ZN7rocprim17ROCPRIM_400000_NS6detail17trampoline_kernelINS0_14default_configENS1_25partition_config_selectorILNS1_17partition_subalgoE2EyNS0_10empty_typeEbEEZZNS1_14partition_implILS5_2ELb0ES3_jN6thrust23THRUST_200600_302600_NS6detail15normal_iteratorINSA_7pointerIyNSA_11hip_rocprim3tagENSA_11use_defaultESG_EEEEPS6_NSA_18transform_iteratorI7is_evenIyENSC_INSA_10device_ptrIyEEEESG_SG_EENS0_5tupleIJPySJ_EEENSR_IJSJ_SJ_EEES6_PlJS6_EEE10hipError_tPvRmT3_T4_T5_T6_T7_T9_mT8_P12ihipStream_tbDpT10_ENKUlT_T0_E_clISt17integral_constantIbLb1EES1F_EEDaS1A_S1B_EUlS1A_E_NS1_11comp_targetILNS1_3genE10ELNS1_11target_archE1200ELNS1_3gpuE4ELNS1_3repE0EEENS1_30default_config_static_selectorELNS0_4arch9wavefront6targetE1EEEvT1_: ; @_ZN7rocprim17ROCPRIM_400000_NS6detail17trampoline_kernelINS0_14default_configENS1_25partition_config_selectorILNS1_17partition_subalgoE2EyNS0_10empty_typeEbEEZZNS1_14partition_implILS5_2ELb0ES3_jN6thrust23THRUST_200600_302600_NS6detail15normal_iteratorINSA_7pointerIyNSA_11hip_rocprim3tagENSA_11use_defaultESG_EEEEPS6_NSA_18transform_iteratorI7is_evenIyENSC_INSA_10device_ptrIyEEEESG_SG_EENS0_5tupleIJPySJ_EEENSR_IJSJ_SJ_EEES6_PlJS6_EEE10hipError_tPvRmT3_T4_T5_T6_T7_T9_mT8_P12ihipStream_tbDpT10_ENKUlT_T0_E_clISt17integral_constantIbLb1EES1F_EEDaS1A_S1B_EUlS1A_E_NS1_11comp_targetILNS1_3genE10ELNS1_11target_archE1200ELNS1_3gpuE4ELNS1_3repE0EEENS1_30default_config_static_selectorELNS0_4arch9wavefront6targetE1EEEvT1_
; %bb.0:
	.section	.rodata,"a",@progbits
	.p2align	6, 0x0
	.amdhsa_kernel _ZN7rocprim17ROCPRIM_400000_NS6detail17trampoline_kernelINS0_14default_configENS1_25partition_config_selectorILNS1_17partition_subalgoE2EyNS0_10empty_typeEbEEZZNS1_14partition_implILS5_2ELb0ES3_jN6thrust23THRUST_200600_302600_NS6detail15normal_iteratorINSA_7pointerIyNSA_11hip_rocprim3tagENSA_11use_defaultESG_EEEEPS6_NSA_18transform_iteratorI7is_evenIyENSC_INSA_10device_ptrIyEEEESG_SG_EENS0_5tupleIJPySJ_EEENSR_IJSJ_SJ_EEES6_PlJS6_EEE10hipError_tPvRmT3_T4_T5_T6_T7_T9_mT8_P12ihipStream_tbDpT10_ENKUlT_T0_E_clISt17integral_constantIbLb1EES1F_EEDaS1A_S1B_EUlS1A_E_NS1_11comp_targetILNS1_3genE10ELNS1_11target_archE1200ELNS1_3gpuE4ELNS1_3repE0EEENS1_30default_config_static_selectorELNS0_4arch9wavefront6targetE1EEEvT1_
		.amdhsa_group_segment_fixed_size 0
		.amdhsa_private_segment_fixed_size 0
		.amdhsa_kernarg_size 144
		.amdhsa_user_sgpr_count 2
		.amdhsa_user_sgpr_dispatch_ptr 0
		.amdhsa_user_sgpr_queue_ptr 0
		.amdhsa_user_sgpr_kernarg_segment_ptr 1
		.amdhsa_user_sgpr_dispatch_id 0
		.amdhsa_user_sgpr_kernarg_preload_length 0
		.amdhsa_user_sgpr_kernarg_preload_offset 0
		.amdhsa_user_sgpr_private_segment_size 0
		.amdhsa_uses_dynamic_stack 0
		.amdhsa_enable_private_segment 0
		.amdhsa_system_sgpr_workgroup_id_x 1
		.amdhsa_system_sgpr_workgroup_id_y 0
		.amdhsa_system_sgpr_workgroup_id_z 0
		.amdhsa_system_sgpr_workgroup_info 0
		.amdhsa_system_vgpr_workitem_id 0
		.amdhsa_next_free_vgpr 1
		.amdhsa_next_free_sgpr 0
		.amdhsa_accum_offset 4
		.amdhsa_reserve_vcc 0
		.amdhsa_float_round_mode_32 0
		.amdhsa_float_round_mode_16_64 0
		.amdhsa_float_denorm_mode_32 3
		.amdhsa_float_denorm_mode_16_64 3
		.amdhsa_dx10_clamp 1
		.amdhsa_ieee_mode 1
		.amdhsa_fp16_overflow 0
		.amdhsa_tg_split 0
		.amdhsa_exception_fp_ieee_invalid_op 0
		.amdhsa_exception_fp_denorm_src 0
		.amdhsa_exception_fp_ieee_div_zero 0
		.amdhsa_exception_fp_ieee_overflow 0
		.amdhsa_exception_fp_ieee_underflow 0
		.amdhsa_exception_fp_ieee_inexact 0
		.amdhsa_exception_int_div_zero 0
	.end_amdhsa_kernel
	.section	.text._ZN7rocprim17ROCPRIM_400000_NS6detail17trampoline_kernelINS0_14default_configENS1_25partition_config_selectorILNS1_17partition_subalgoE2EyNS0_10empty_typeEbEEZZNS1_14partition_implILS5_2ELb0ES3_jN6thrust23THRUST_200600_302600_NS6detail15normal_iteratorINSA_7pointerIyNSA_11hip_rocprim3tagENSA_11use_defaultESG_EEEEPS6_NSA_18transform_iteratorI7is_evenIyENSC_INSA_10device_ptrIyEEEESG_SG_EENS0_5tupleIJPySJ_EEENSR_IJSJ_SJ_EEES6_PlJS6_EEE10hipError_tPvRmT3_T4_T5_T6_T7_T9_mT8_P12ihipStream_tbDpT10_ENKUlT_T0_E_clISt17integral_constantIbLb1EES1F_EEDaS1A_S1B_EUlS1A_E_NS1_11comp_targetILNS1_3genE10ELNS1_11target_archE1200ELNS1_3gpuE4ELNS1_3repE0EEENS1_30default_config_static_selectorELNS0_4arch9wavefront6targetE1EEEvT1_,"axG",@progbits,_ZN7rocprim17ROCPRIM_400000_NS6detail17trampoline_kernelINS0_14default_configENS1_25partition_config_selectorILNS1_17partition_subalgoE2EyNS0_10empty_typeEbEEZZNS1_14partition_implILS5_2ELb0ES3_jN6thrust23THRUST_200600_302600_NS6detail15normal_iteratorINSA_7pointerIyNSA_11hip_rocprim3tagENSA_11use_defaultESG_EEEEPS6_NSA_18transform_iteratorI7is_evenIyENSC_INSA_10device_ptrIyEEEESG_SG_EENS0_5tupleIJPySJ_EEENSR_IJSJ_SJ_EEES6_PlJS6_EEE10hipError_tPvRmT3_T4_T5_T6_T7_T9_mT8_P12ihipStream_tbDpT10_ENKUlT_T0_E_clISt17integral_constantIbLb1EES1F_EEDaS1A_S1B_EUlS1A_E_NS1_11comp_targetILNS1_3genE10ELNS1_11target_archE1200ELNS1_3gpuE4ELNS1_3repE0EEENS1_30default_config_static_selectorELNS0_4arch9wavefront6targetE1EEEvT1_,comdat
.Lfunc_end2017:
	.size	_ZN7rocprim17ROCPRIM_400000_NS6detail17trampoline_kernelINS0_14default_configENS1_25partition_config_selectorILNS1_17partition_subalgoE2EyNS0_10empty_typeEbEEZZNS1_14partition_implILS5_2ELb0ES3_jN6thrust23THRUST_200600_302600_NS6detail15normal_iteratorINSA_7pointerIyNSA_11hip_rocprim3tagENSA_11use_defaultESG_EEEEPS6_NSA_18transform_iteratorI7is_evenIyENSC_INSA_10device_ptrIyEEEESG_SG_EENS0_5tupleIJPySJ_EEENSR_IJSJ_SJ_EEES6_PlJS6_EEE10hipError_tPvRmT3_T4_T5_T6_T7_T9_mT8_P12ihipStream_tbDpT10_ENKUlT_T0_E_clISt17integral_constantIbLb1EES1F_EEDaS1A_S1B_EUlS1A_E_NS1_11comp_targetILNS1_3genE10ELNS1_11target_archE1200ELNS1_3gpuE4ELNS1_3repE0EEENS1_30default_config_static_selectorELNS0_4arch9wavefront6targetE1EEEvT1_, .Lfunc_end2017-_ZN7rocprim17ROCPRIM_400000_NS6detail17trampoline_kernelINS0_14default_configENS1_25partition_config_selectorILNS1_17partition_subalgoE2EyNS0_10empty_typeEbEEZZNS1_14partition_implILS5_2ELb0ES3_jN6thrust23THRUST_200600_302600_NS6detail15normal_iteratorINSA_7pointerIyNSA_11hip_rocprim3tagENSA_11use_defaultESG_EEEEPS6_NSA_18transform_iteratorI7is_evenIyENSC_INSA_10device_ptrIyEEEESG_SG_EENS0_5tupleIJPySJ_EEENSR_IJSJ_SJ_EEES6_PlJS6_EEE10hipError_tPvRmT3_T4_T5_T6_T7_T9_mT8_P12ihipStream_tbDpT10_ENKUlT_T0_E_clISt17integral_constantIbLb1EES1F_EEDaS1A_S1B_EUlS1A_E_NS1_11comp_targetILNS1_3genE10ELNS1_11target_archE1200ELNS1_3gpuE4ELNS1_3repE0EEENS1_30default_config_static_selectorELNS0_4arch9wavefront6targetE1EEEvT1_
                                        ; -- End function
	.section	.AMDGPU.csdata,"",@progbits
; Kernel info:
; codeLenInByte = 0
; NumSgprs: 6
; NumVgprs: 0
; NumAgprs: 0
; TotalNumVgprs: 0
; ScratchSize: 0
; MemoryBound: 0
; FloatMode: 240
; IeeeMode: 1
; LDSByteSize: 0 bytes/workgroup (compile time only)
; SGPRBlocks: 0
; VGPRBlocks: 0
; NumSGPRsForWavesPerEU: 6
; NumVGPRsForWavesPerEU: 1
; AccumOffset: 4
; Occupancy: 8
; WaveLimiterHint : 0
; COMPUTE_PGM_RSRC2:SCRATCH_EN: 0
; COMPUTE_PGM_RSRC2:USER_SGPR: 2
; COMPUTE_PGM_RSRC2:TRAP_HANDLER: 0
; COMPUTE_PGM_RSRC2:TGID_X_EN: 1
; COMPUTE_PGM_RSRC2:TGID_Y_EN: 0
; COMPUTE_PGM_RSRC2:TGID_Z_EN: 0
; COMPUTE_PGM_RSRC2:TIDIG_COMP_CNT: 0
; COMPUTE_PGM_RSRC3_GFX90A:ACCUM_OFFSET: 0
; COMPUTE_PGM_RSRC3_GFX90A:TG_SPLIT: 0
	.section	.text._ZN7rocprim17ROCPRIM_400000_NS6detail17trampoline_kernelINS0_14default_configENS1_25partition_config_selectorILNS1_17partition_subalgoE2EyNS0_10empty_typeEbEEZZNS1_14partition_implILS5_2ELb0ES3_jN6thrust23THRUST_200600_302600_NS6detail15normal_iteratorINSA_7pointerIyNSA_11hip_rocprim3tagENSA_11use_defaultESG_EEEEPS6_NSA_18transform_iteratorI7is_evenIyENSC_INSA_10device_ptrIyEEEESG_SG_EENS0_5tupleIJPySJ_EEENSR_IJSJ_SJ_EEES6_PlJS6_EEE10hipError_tPvRmT3_T4_T5_T6_T7_T9_mT8_P12ihipStream_tbDpT10_ENKUlT_T0_E_clISt17integral_constantIbLb1EES1F_EEDaS1A_S1B_EUlS1A_E_NS1_11comp_targetILNS1_3genE9ELNS1_11target_archE1100ELNS1_3gpuE3ELNS1_3repE0EEENS1_30default_config_static_selectorELNS0_4arch9wavefront6targetE1EEEvT1_,"axG",@progbits,_ZN7rocprim17ROCPRIM_400000_NS6detail17trampoline_kernelINS0_14default_configENS1_25partition_config_selectorILNS1_17partition_subalgoE2EyNS0_10empty_typeEbEEZZNS1_14partition_implILS5_2ELb0ES3_jN6thrust23THRUST_200600_302600_NS6detail15normal_iteratorINSA_7pointerIyNSA_11hip_rocprim3tagENSA_11use_defaultESG_EEEEPS6_NSA_18transform_iteratorI7is_evenIyENSC_INSA_10device_ptrIyEEEESG_SG_EENS0_5tupleIJPySJ_EEENSR_IJSJ_SJ_EEES6_PlJS6_EEE10hipError_tPvRmT3_T4_T5_T6_T7_T9_mT8_P12ihipStream_tbDpT10_ENKUlT_T0_E_clISt17integral_constantIbLb1EES1F_EEDaS1A_S1B_EUlS1A_E_NS1_11comp_targetILNS1_3genE9ELNS1_11target_archE1100ELNS1_3gpuE3ELNS1_3repE0EEENS1_30default_config_static_selectorELNS0_4arch9wavefront6targetE1EEEvT1_,comdat
	.protected	_ZN7rocprim17ROCPRIM_400000_NS6detail17trampoline_kernelINS0_14default_configENS1_25partition_config_selectorILNS1_17partition_subalgoE2EyNS0_10empty_typeEbEEZZNS1_14partition_implILS5_2ELb0ES3_jN6thrust23THRUST_200600_302600_NS6detail15normal_iteratorINSA_7pointerIyNSA_11hip_rocprim3tagENSA_11use_defaultESG_EEEEPS6_NSA_18transform_iteratorI7is_evenIyENSC_INSA_10device_ptrIyEEEESG_SG_EENS0_5tupleIJPySJ_EEENSR_IJSJ_SJ_EEES6_PlJS6_EEE10hipError_tPvRmT3_T4_T5_T6_T7_T9_mT8_P12ihipStream_tbDpT10_ENKUlT_T0_E_clISt17integral_constantIbLb1EES1F_EEDaS1A_S1B_EUlS1A_E_NS1_11comp_targetILNS1_3genE9ELNS1_11target_archE1100ELNS1_3gpuE3ELNS1_3repE0EEENS1_30default_config_static_selectorELNS0_4arch9wavefront6targetE1EEEvT1_ ; -- Begin function _ZN7rocprim17ROCPRIM_400000_NS6detail17trampoline_kernelINS0_14default_configENS1_25partition_config_selectorILNS1_17partition_subalgoE2EyNS0_10empty_typeEbEEZZNS1_14partition_implILS5_2ELb0ES3_jN6thrust23THRUST_200600_302600_NS6detail15normal_iteratorINSA_7pointerIyNSA_11hip_rocprim3tagENSA_11use_defaultESG_EEEEPS6_NSA_18transform_iteratorI7is_evenIyENSC_INSA_10device_ptrIyEEEESG_SG_EENS0_5tupleIJPySJ_EEENSR_IJSJ_SJ_EEES6_PlJS6_EEE10hipError_tPvRmT3_T4_T5_T6_T7_T9_mT8_P12ihipStream_tbDpT10_ENKUlT_T0_E_clISt17integral_constantIbLb1EES1F_EEDaS1A_S1B_EUlS1A_E_NS1_11comp_targetILNS1_3genE9ELNS1_11target_archE1100ELNS1_3gpuE3ELNS1_3repE0EEENS1_30default_config_static_selectorELNS0_4arch9wavefront6targetE1EEEvT1_
	.globl	_ZN7rocprim17ROCPRIM_400000_NS6detail17trampoline_kernelINS0_14default_configENS1_25partition_config_selectorILNS1_17partition_subalgoE2EyNS0_10empty_typeEbEEZZNS1_14partition_implILS5_2ELb0ES3_jN6thrust23THRUST_200600_302600_NS6detail15normal_iteratorINSA_7pointerIyNSA_11hip_rocprim3tagENSA_11use_defaultESG_EEEEPS6_NSA_18transform_iteratorI7is_evenIyENSC_INSA_10device_ptrIyEEEESG_SG_EENS0_5tupleIJPySJ_EEENSR_IJSJ_SJ_EEES6_PlJS6_EEE10hipError_tPvRmT3_T4_T5_T6_T7_T9_mT8_P12ihipStream_tbDpT10_ENKUlT_T0_E_clISt17integral_constantIbLb1EES1F_EEDaS1A_S1B_EUlS1A_E_NS1_11comp_targetILNS1_3genE9ELNS1_11target_archE1100ELNS1_3gpuE3ELNS1_3repE0EEENS1_30default_config_static_selectorELNS0_4arch9wavefront6targetE1EEEvT1_
	.p2align	8
	.type	_ZN7rocprim17ROCPRIM_400000_NS6detail17trampoline_kernelINS0_14default_configENS1_25partition_config_selectorILNS1_17partition_subalgoE2EyNS0_10empty_typeEbEEZZNS1_14partition_implILS5_2ELb0ES3_jN6thrust23THRUST_200600_302600_NS6detail15normal_iteratorINSA_7pointerIyNSA_11hip_rocprim3tagENSA_11use_defaultESG_EEEEPS6_NSA_18transform_iteratorI7is_evenIyENSC_INSA_10device_ptrIyEEEESG_SG_EENS0_5tupleIJPySJ_EEENSR_IJSJ_SJ_EEES6_PlJS6_EEE10hipError_tPvRmT3_T4_T5_T6_T7_T9_mT8_P12ihipStream_tbDpT10_ENKUlT_T0_E_clISt17integral_constantIbLb1EES1F_EEDaS1A_S1B_EUlS1A_E_NS1_11comp_targetILNS1_3genE9ELNS1_11target_archE1100ELNS1_3gpuE3ELNS1_3repE0EEENS1_30default_config_static_selectorELNS0_4arch9wavefront6targetE1EEEvT1_,@function
_ZN7rocprim17ROCPRIM_400000_NS6detail17trampoline_kernelINS0_14default_configENS1_25partition_config_selectorILNS1_17partition_subalgoE2EyNS0_10empty_typeEbEEZZNS1_14partition_implILS5_2ELb0ES3_jN6thrust23THRUST_200600_302600_NS6detail15normal_iteratorINSA_7pointerIyNSA_11hip_rocprim3tagENSA_11use_defaultESG_EEEEPS6_NSA_18transform_iteratorI7is_evenIyENSC_INSA_10device_ptrIyEEEESG_SG_EENS0_5tupleIJPySJ_EEENSR_IJSJ_SJ_EEES6_PlJS6_EEE10hipError_tPvRmT3_T4_T5_T6_T7_T9_mT8_P12ihipStream_tbDpT10_ENKUlT_T0_E_clISt17integral_constantIbLb1EES1F_EEDaS1A_S1B_EUlS1A_E_NS1_11comp_targetILNS1_3genE9ELNS1_11target_archE1100ELNS1_3gpuE3ELNS1_3repE0EEENS1_30default_config_static_selectorELNS0_4arch9wavefront6targetE1EEEvT1_: ; @_ZN7rocprim17ROCPRIM_400000_NS6detail17trampoline_kernelINS0_14default_configENS1_25partition_config_selectorILNS1_17partition_subalgoE2EyNS0_10empty_typeEbEEZZNS1_14partition_implILS5_2ELb0ES3_jN6thrust23THRUST_200600_302600_NS6detail15normal_iteratorINSA_7pointerIyNSA_11hip_rocprim3tagENSA_11use_defaultESG_EEEEPS6_NSA_18transform_iteratorI7is_evenIyENSC_INSA_10device_ptrIyEEEESG_SG_EENS0_5tupleIJPySJ_EEENSR_IJSJ_SJ_EEES6_PlJS6_EEE10hipError_tPvRmT3_T4_T5_T6_T7_T9_mT8_P12ihipStream_tbDpT10_ENKUlT_T0_E_clISt17integral_constantIbLb1EES1F_EEDaS1A_S1B_EUlS1A_E_NS1_11comp_targetILNS1_3genE9ELNS1_11target_archE1100ELNS1_3gpuE3ELNS1_3repE0EEENS1_30default_config_static_selectorELNS0_4arch9wavefront6targetE1EEEvT1_
; %bb.0:
	.section	.rodata,"a",@progbits
	.p2align	6, 0x0
	.amdhsa_kernel _ZN7rocprim17ROCPRIM_400000_NS6detail17trampoline_kernelINS0_14default_configENS1_25partition_config_selectorILNS1_17partition_subalgoE2EyNS0_10empty_typeEbEEZZNS1_14partition_implILS5_2ELb0ES3_jN6thrust23THRUST_200600_302600_NS6detail15normal_iteratorINSA_7pointerIyNSA_11hip_rocprim3tagENSA_11use_defaultESG_EEEEPS6_NSA_18transform_iteratorI7is_evenIyENSC_INSA_10device_ptrIyEEEESG_SG_EENS0_5tupleIJPySJ_EEENSR_IJSJ_SJ_EEES6_PlJS6_EEE10hipError_tPvRmT3_T4_T5_T6_T7_T9_mT8_P12ihipStream_tbDpT10_ENKUlT_T0_E_clISt17integral_constantIbLb1EES1F_EEDaS1A_S1B_EUlS1A_E_NS1_11comp_targetILNS1_3genE9ELNS1_11target_archE1100ELNS1_3gpuE3ELNS1_3repE0EEENS1_30default_config_static_selectorELNS0_4arch9wavefront6targetE1EEEvT1_
		.amdhsa_group_segment_fixed_size 0
		.amdhsa_private_segment_fixed_size 0
		.amdhsa_kernarg_size 144
		.amdhsa_user_sgpr_count 2
		.amdhsa_user_sgpr_dispatch_ptr 0
		.amdhsa_user_sgpr_queue_ptr 0
		.amdhsa_user_sgpr_kernarg_segment_ptr 1
		.amdhsa_user_sgpr_dispatch_id 0
		.amdhsa_user_sgpr_kernarg_preload_length 0
		.amdhsa_user_sgpr_kernarg_preload_offset 0
		.amdhsa_user_sgpr_private_segment_size 0
		.amdhsa_uses_dynamic_stack 0
		.amdhsa_enable_private_segment 0
		.amdhsa_system_sgpr_workgroup_id_x 1
		.amdhsa_system_sgpr_workgroup_id_y 0
		.amdhsa_system_sgpr_workgroup_id_z 0
		.amdhsa_system_sgpr_workgroup_info 0
		.amdhsa_system_vgpr_workitem_id 0
		.amdhsa_next_free_vgpr 1
		.amdhsa_next_free_sgpr 0
		.amdhsa_accum_offset 4
		.amdhsa_reserve_vcc 0
		.amdhsa_float_round_mode_32 0
		.amdhsa_float_round_mode_16_64 0
		.amdhsa_float_denorm_mode_32 3
		.amdhsa_float_denorm_mode_16_64 3
		.amdhsa_dx10_clamp 1
		.amdhsa_ieee_mode 1
		.amdhsa_fp16_overflow 0
		.amdhsa_tg_split 0
		.amdhsa_exception_fp_ieee_invalid_op 0
		.amdhsa_exception_fp_denorm_src 0
		.amdhsa_exception_fp_ieee_div_zero 0
		.amdhsa_exception_fp_ieee_overflow 0
		.amdhsa_exception_fp_ieee_underflow 0
		.amdhsa_exception_fp_ieee_inexact 0
		.amdhsa_exception_int_div_zero 0
	.end_amdhsa_kernel
	.section	.text._ZN7rocprim17ROCPRIM_400000_NS6detail17trampoline_kernelINS0_14default_configENS1_25partition_config_selectorILNS1_17partition_subalgoE2EyNS0_10empty_typeEbEEZZNS1_14partition_implILS5_2ELb0ES3_jN6thrust23THRUST_200600_302600_NS6detail15normal_iteratorINSA_7pointerIyNSA_11hip_rocprim3tagENSA_11use_defaultESG_EEEEPS6_NSA_18transform_iteratorI7is_evenIyENSC_INSA_10device_ptrIyEEEESG_SG_EENS0_5tupleIJPySJ_EEENSR_IJSJ_SJ_EEES6_PlJS6_EEE10hipError_tPvRmT3_T4_T5_T6_T7_T9_mT8_P12ihipStream_tbDpT10_ENKUlT_T0_E_clISt17integral_constantIbLb1EES1F_EEDaS1A_S1B_EUlS1A_E_NS1_11comp_targetILNS1_3genE9ELNS1_11target_archE1100ELNS1_3gpuE3ELNS1_3repE0EEENS1_30default_config_static_selectorELNS0_4arch9wavefront6targetE1EEEvT1_,"axG",@progbits,_ZN7rocprim17ROCPRIM_400000_NS6detail17trampoline_kernelINS0_14default_configENS1_25partition_config_selectorILNS1_17partition_subalgoE2EyNS0_10empty_typeEbEEZZNS1_14partition_implILS5_2ELb0ES3_jN6thrust23THRUST_200600_302600_NS6detail15normal_iteratorINSA_7pointerIyNSA_11hip_rocprim3tagENSA_11use_defaultESG_EEEEPS6_NSA_18transform_iteratorI7is_evenIyENSC_INSA_10device_ptrIyEEEESG_SG_EENS0_5tupleIJPySJ_EEENSR_IJSJ_SJ_EEES6_PlJS6_EEE10hipError_tPvRmT3_T4_T5_T6_T7_T9_mT8_P12ihipStream_tbDpT10_ENKUlT_T0_E_clISt17integral_constantIbLb1EES1F_EEDaS1A_S1B_EUlS1A_E_NS1_11comp_targetILNS1_3genE9ELNS1_11target_archE1100ELNS1_3gpuE3ELNS1_3repE0EEENS1_30default_config_static_selectorELNS0_4arch9wavefront6targetE1EEEvT1_,comdat
.Lfunc_end2018:
	.size	_ZN7rocprim17ROCPRIM_400000_NS6detail17trampoline_kernelINS0_14default_configENS1_25partition_config_selectorILNS1_17partition_subalgoE2EyNS0_10empty_typeEbEEZZNS1_14partition_implILS5_2ELb0ES3_jN6thrust23THRUST_200600_302600_NS6detail15normal_iteratorINSA_7pointerIyNSA_11hip_rocprim3tagENSA_11use_defaultESG_EEEEPS6_NSA_18transform_iteratorI7is_evenIyENSC_INSA_10device_ptrIyEEEESG_SG_EENS0_5tupleIJPySJ_EEENSR_IJSJ_SJ_EEES6_PlJS6_EEE10hipError_tPvRmT3_T4_T5_T6_T7_T9_mT8_P12ihipStream_tbDpT10_ENKUlT_T0_E_clISt17integral_constantIbLb1EES1F_EEDaS1A_S1B_EUlS1A_E_NS1_11comp_targetILNS1_3genE9ELNS1_11target_archE1100ELNS1_3gpuE3ELNS1_3repE0EEENS1_30default_config_static_selectorELNS0_4arch9wavefront6targetE1EEEvT1_, .Lfunc_end2018-_ZN7rocprim17ROCPRIM_400000_NS6detail17trampoline_kernelINS0_14default_configENS1_25partition_config_selectorILNS1_17partition_subalgoE2EyNS0_10empty_typeEbEEZZNS1_14partition_implILS5_2ELb0ES3_jN6thrust23THRUST_200600_302600_NS6detail15normal_iteratorINSA_7pointerIyNSA_11hip_rocprim3tagENSA_11use_defaultESG_EEEEPS6_NSA_18transform_iteratorI7is_evenIyENSC_INSA_10device_ptrIyEEEESG_SG_EENS0_5tupleIJPySJ_EEENSR_IJSJ_SJ_EEES6_PlJS6_EEE10hipError_tPvRmT3_T4_T5_T6_T7_T9_mT8_P12ihipStream_tbDpT10_ENKUlT_T0_E_clISt17integral_constantIbLb1EES1F_EEDaS1A_S1B_EUlS1A_E_NS1_11comp_targetILNS1_3genE9ELNS1_11target_archE1100ELNS1_3gpuE3ELNS1_3repE0EEENS1_30default_config_static_selectorELNS0_4arch9wavefront6targetE1EEEvT1_
                                        ; -- End function
	.section	.AMDGPU.csdata,"",@progbits
; Kernel info:
; codeLenInByte = 0
; NumSgprs: 6
; NumVgprs: 0
; NumAgprs: 0
; TotalNumVgprs: 0
; ScratchSize: 0
; MemoryBound: 0
; FloatMode: 240
; IeeeMode: 1
; LDSByteSize: 0 bytes/workgroup (compile time only)
; SGPRBlocks: 0
; VGPRBlocks: 0
; NumSGPRsForWavesPerEU: 6
; NumVGPRsForWavesPerEU: 1
; AccumOffset: 4
; Occupancy: 8
; WaveLimiterHint : 0
; COMPUTE_PGM_RSRC2:SCRATCH_EN: 0
; COMPUTE_PGM_RSRC2:USER_SGPR: 2
; COMPUTE_PGM_RSRC2:TRAP_HANDLER: 0
; COMPUTE_PGM_RSRC2:TGID_X_EN: 1
; COMPUTE_PGM_RSRC2:TGID_Y_EN: 0
; COMPUTE_PGM_RSRC2:TGID_Z_EN: 0
; COMPUTE_PGM_RSRC2:TIDIG_COMP_CNT: 0
; COMPUTE_PGM_RSRC3_GFX90A:ACCUM_OFFSET: 0
; COMPUTE_PGM_RSRC3_GFX90A:TG_SPLIT: 0
	.section	.text._ZN7rocprim17ROCPRIM_400000_NS6detail17trampoline_kernelINS0_14default_configENS1_25partition_config_selectorILNS1_17partition_subalgoE2EyNS0_10empty_typeEbEEZZNS1_14partition_implILS5_2ELb0ES3_jN6thrust23THRUST_200600_302600_NS6detail15normal_iteratorINSA_7pointerIyNSA_11hip_rocprim3tagENSA_11use_defaultESG_EEEEPS6_NSA_18transform_iteratorI7is_evenIyENSC_INSA_10device_ptrIyEEEESG_SG_EENS0_5tupleIJPySJ_EEENSR_IJSJ_SJ_EEES6_PlJS6_EEE10hipError_tPvRmT3_T4_T5_T6_T7_T9_mT8_P12ihipStream_tbDpT10_ENKUlT_T0_E_clISt17integral_constantIbLb1EES1F_EEDaS1A_S1B_EUlS1A_E_NS1_11comp_targetILNS1_3genE8ELNS1_11target_archE1030ELNS1_3gpuE2ELNS1_3repE0EEENS1_30default_config_static_selectorELNS0_4arch9wavefront6targetE1EEEvT1_,"axG",@progbits,_ZN7rocprim17ROCPRIM_400000_NS6detail17trampoline_kernelINS0_14default_configENS1_25partition_config_selectorILNS1_17partition_subalgoE2EyNS0_10empty_typeEbEEZZNS1_14partition_implILS5_2ELb0ES3_jN6thrust23THRUST_200600_302600_NS6detail15normal_iteratorINSA_7pointerIyNSA_11hip_rocprim3tagENSA_11use_defaultESG_EEEEPS6_NSA_18transform_iteratorI7is_evenIyENSC_INSA_10device_ptrIyEEEESG_SG_EENS0_5tupleIJPySJ_EEENSR_IJSJ_SJ_EEES6_PlJS6_EEE10hipError_tPvRmT3_T4_T5_T6_T7_T9_mT8_P12ihipStream_tbDpT10_ENKUlT_T0_E_clISt17integral_constantIbLb1EES1F_EEDaS1A_S1B_EUlS1A_E_NS1_11comp_targetILNS1_3genE8ELNS1_11target_archE1030ELNS1_3gpuE2ELNS1_3repE0EEENS1_30default_config_static_selectorELNS0_4arch9wavefront6targetE1EEEvT1_,comdat
	.protected	_ZN7rocprim17ROCPRIM_400000_NS6detail17trampoline_kernelINS0_14default_configENS1_25partition_config_selectorILNS1_17partition_subalgoE2EyNS0_10empty_typeEbEEZZNS1_14partition_implILS5_2ELb0ES3_jN6thrust23THRUST_200600_302600_NS6detail15normal_iteratorINSA_7pointerIyNSA_11hip_rocprim3tagENSA_11use_defaultESG_EEEEPS6_NSA_18transform_iteratorI7is_evenIyENSC_INSA_10device_ptrIyEEEESG_SG_EENS0_5tupleIJPySJ_EEENSR_IJSJ_SJ_EEES6_PlJS6_EEE10hipError_tPvRmT3_T4_T5_T6_T7_T9_mT8_P12ihipStream_tbDpT10_ENKUlT_T0_E_clISt17integral_constantIbLb1EES1F_EEDaS1A_S1B_EUlS1A_E_NS1_11comp_targetILNS1_3genE8ELNS1_11target_archE1030ELNS1_3gpuE2ELNS1_3repE0EEENS1_30default_config_static_selectorELNS0_4arch9wavefront6targetE1EEEvT1_ ; -- Begin function _ZN7rocprim17ROCPRIM_400000_NS6detail17trampoline_kernelINS0_14default_configENS1_25partition_config_selectorILNS1_17partition_subalgoE2EyNS0_10empty_typeEbEEZZNS1_14partition_implILS5_2ELb0ES3_jN6thrust23THRUST_200600_302600_NS6detail15normal_iteratorINSA_7pointerIyNSA_11hip_rocprim3tagENSA_11use_defaultESG_EEEEPS6_NSA_18transform_iteratorI7is_evenIyENSC_INSA_10device_ptrIyEEEESG_SG_EENS0_5tupleIJPySJ_EEENSR_IJSJ_SJ_EEES6_PlJS6_EEE10hipError_tPvRmT3_T4_T5_T6_T7_T9_mT8_P12ihipStream_tbDpT10_ENKUlT_T0_E_clISt17integral_constantIbLb1EES1F_EEDaS1A_S1B_EUlS1A_E_NS1_11comp_targetILNS1_3genE8ELNS1_11target_archE1030ELNS1_3gpuE2ELNS1_3repE0EEENS1_30default_config_static_selectorELNS0_4arch9wavefront6targetE1EEEvT1_
	.globl	_ZN7rocprim17ROCPRIM_400000_NS6detail17trampoline_kernelINS0_14default_configENS1_25partition_config_selectorILNS1_17partition_subalgoE2EyNS0_10empty_typeEbEEZZNS1_14partition_implILS5_2ELb0ES3_jN6thrust23THRUST_200600_302600_NS6detail15normal_iteratorINSA_7pointerIyNSA_11hip_rocprim3tagENSA_11use_defaultESG_EEEEPS6_NSA_18transform_iteratorI7is_evenIyENSC_INSA_10device_ptrIyEEEESG_SG_EENS0_5tupleIJPySJ_EEENSR_IJSJ_SJ_EEES6_PlJS6_EEE10hipError_tPvRmT3_T4_T5_T6_T7_T9_mT8_P12ihipStream_tbDpT10_ENKUlT_T0_E_clISt17integral_constantIbLb1EES1F_EEDaS1A_S1B_EUlS1A_E_NS1_11comp_targetILNS1_3genE8ELNS1_11target_archE1030ELNS1_3gpuE2ELNS1_3repE0EEENS1_30default_config_static_selectorELNS0_4arch9wavefront6targetE1EEEvT1_
	.p2align	8
	.type	_ZN7rocprim17ROCPRIM_400000_NS6detail17trampoline_kernelINS0_14default_configENS1_25partition_config_selectorILNS1_17partition_subalgoE2EyNS0_10empty_typeEbEEZZNS1_14partition_implILS5_2ELb0ES3_jN6thrust23THRUST_200600_302600_NS6detail15normal_iteratorINSA_7pointerIyNSA_11hip_rocprim3tagENSA_11use_defaultESG_EEEEPS6_NSA_18transform_iteratorI7is_evenIyENSC_INSA_10device_ptrIyEEEESG_SG_EENS0_5tupleIJPySJ_EEENSR_IJSJ_SJ_EEES6_PlJS6_EEE10hipError_tPvRmT3_T4_T5_T6_T7_T9_mT8_P12ihipStream_tbDpT10_ENKUlT_T0_E_clISt17integral_constantIbLb1EES1F_EEDaS1A_S1B_EUlS1A_E_NS1_11comp_targetILNS1_3genE8ELNS1_11target_archE1030ELNS1_3gpuE2ELNS1_3repE0EEENS1_30default_config_static_selectorELNS0_4arch9wavefront6targetE1EEEvT1_,@function
_ZN7rocprim17ROCPRIM_400000_NS6detail17trampoline_kernelINS0_14default_configENS1_25partition_config_selectorILNS1_17partition_subalgoE2EyNS0_10empty_typeEbEEZZNS1_14partition_implILS5_2ELb0ES3_jN6thrust23THRUST_200600_302600_NS6detail15normal_iteratorINSA_7pointerIyNSA_11hip_rocprim3tagENSA_11use_defaultESG_EEEEPS6_NSA_18transform_iteratorI7is_evenIyENSC_INSA_10device_ptrIyEEEESG_SG_EENS0_5tupleIJPySJ_EEENSR_IJSJ_SJ_EEES6_PlJS6_EEE10hipError_tPvRmT3_T4_T5_T6_T7_T9_mT8_P12ihipStream_tbDpT10_ENKUlT_T0_E_clISt17integral_constantIbLb1EES1F_EEDaS1A_S1B_EUlS1A_E_NS1_11comp_targetILNS1_3genE8ELNS1_11target_archE1030ELNS1_3gpuE2ELNS1_3repE0EEENS1_30default_config_static_selectorELNS0_4arch9wavefront6targetE1EEEvT1_: ; @_ZN7rocprim17ROCPRIM_400000_NS6detail17trampoline_kernelINS0_14default_configENS1_25partition_config_selectorILNS1_17partition_subalgoE2EyNS0_10empty_typeEbEEZZNS1_14partition_implILS5_2ELb0ES3_jN6thrust23THRUST_200600_302600_NS6detail15normal_iteratorINSA_7pointerIyNSA_11hip_rocprim3tagENSA_11use_defaultESG_EEEEPS6_NSA_18transform_iteratorI7is_evenIyENSC_INSA_10device_ptrIyEEEESG_SG_EENS0_5tupleIJPySJ_EEENSR_IJSJ_SJ_EEES6_PlJS6_EEE10hipError_tPvRmT3_T4_T5_T6_T7_T9_mT8_P12ihipStream_tbDpT10_ENKUlT_T0_E_clISt17integral_constantIbLb1EES1F_EEDaS1A_S1B_EUlS1A_E_NS1_11comp_targetILNS1_3genE8ELNS1_11target_archE1030ELNS1_3gpuE2ELNS1_3repE0EEENS1_30default_config_static_selectorELNS0_4arch9wavefront6targetE1EEEvT1_
; %bb.0:
	.section	.rodata,"a",@progbits
	.p2align	6, 0x0
	.amdhsa_kernel _ZN7rocprim17ROCPRIM_400000_NS6detail17trampoline_kernelINS0_14default_configENS1_25partition_config_selectorILNS1_17partition_subalgoE2EyNS0_10empty_typeEbEEZZNS1_14partition_implILS5_2ELb0ES3_jN6thrust23THRUST_200600_302600_NS6detail15normal_iteratorINSA_7pointerIyNSA_11hip_rocprim3tagENSA_11use_defaultESG_EEEEPS6_NSA_18transform_iteratorI7is_evenIyENSC_INSA_10device_ptrIyEEEESG_SG_EENS0_5tupleIJPySJ_EEENSR_IJSJ_SJ_EEES6_PlJS6_EEE10hipError_tPvRmT3_T4_T5_T6_T7_T9_mT8_P12ihipStream_tbDpT10_ENKUlT_T0_E_clISt17integral_constantIbLb1EES1F_EEDaS1A_S1B_EUlS1A_E_NS1_11comp_targetILNS1_3genE8ELNS1_11target_archE1030ELNS1_3gpuE2ELNS1_3repE0EEENS1_30default_config_static_selectorELNS0_4arch9wavefront6targetE1EEEvT1_
		.amdhsa_group_segment_fixed_size 0
		.amdhsa_private_segment_fixed_size 0
		.amdhsa_kernarg_size 144
		.amdhsa_user_sgpr_count 2
		.amdhsa_user_sgpr_dispatch_ptr 0
		.amdhsa_user_sgpr_queue_ptr 0
		.amdhsa_user_sgpr_kernarg_segment_ptr 1
		.amdhsa_user_sgpr_dispatch_id 0
		.amdhsa_user_sgpr_kernarg_preload_length 0
		.amdhsa_user_sgpr_kernarg_preload_offset 0
		.amdhsa_user_sgpr_private_segment_size 0
		.amdhsa_uses_dynamic_stack 0
		.amdhsa_enable_private_segment 0
		.amdhsa_system_sgpr_workgroup_id_x 1
		.amdhsa_system_sgpr_workgroup_id_y 0
		.amdhsa_system_sgpr_workgroup_id_z 0
		.amdhsa_system_sgpr_workgroup_info 0
		.amdhsa_system_vgpr_workitem_id 0
		.amdhsa_next_free_vgpr 1
		.amdhsa_next_free_sgpr 0
		.amdhsa_accum_offset 4
		.amdhsa_reserve_vcc 0
		.amdhsa_float_round_mode_32 0
		.amdhsa_float_round_mode_16_64 0
		.amdhsa_float_denorm_mode_32 3
		.amdhsa_float_denorm_mode_16_64 3
		.amdhsa_dx10_clamp 1
		.amdhsa_ieee_mode 1
		.amdhsa_fp16_overflow 0
		.amdhsa_tg_split 0
		.amdhsa_exception_fp_ieee_invalid_op 0
		.amdhsa_exception_fp_denorm_src 0
		.amdhsa_exception_fp_ieee_div_zero 0
		.amdhsa_exception_fp_ieee_overflow 0
		.amdhsa_exception_fp_ieee_underflow 0
		.amdhsa_exception_fp_ieee_inexact 0
		.amdhsa_exception_int_div_zero 0
	.end_amdhsa_kernel
	.section	.text._ZN7rocprim17ROCPRIM_400000_NS6detail17trampoline_kernelINS0_14default_configENS1_25partition_config_selectorILNS1_17partition_subalgoE2EyNS0_10empty_typeEbEEZZNS1_14partition_implILS5_2ELb0ES3_jN6thrust23THRUST_200600_302600_NS6detail15normal_iteratorINSA_7pointerIyNSA_11hip_rocprim3tagENSA_11use_defaultESG_EEEEPS6_NSA_18transform_iteratorI7is_evenIyENSC_INSA_10device_ptrIyEEEESG_SG_EENS0_5tupleIJPySJ_EEENSR_IJSJ_SJ_EEES6_PlJS6_EEE10hipError_tPvRmT3_T4_T5_T6_T7_T9_mT8_P12ihipStream_tbDpT10_ENKUlT_T0_E_clISt17integral_constantIbLb1EES1F_EEDaS1A_S1B_EUlS1A_E_NS1_11comp_targetILNS1_3genE8ELNS1_11target_archE1030ELNS1_3gpuE2ELNS1_3repE0EEENS1_30default_config_static_selectorELNS0_4arch9wavefront6targetE1EEEvT1_,"axG",@progbits,_ZN7rocprim17ROCPRIM_400000_NS6detail17trampoline_kernelINS0_14default_configENS1_25partition_config_selectorILNS1_17partition_subalgoE2EyNS0_10empty_typeEbEEZZNS1_14partition_implILS5_2ELb0ES3_jN6thrust23THRUST_200600_302600_NS6detail15normal_iteratorINSA_7pointerIyNSA_11hip_rocprim3tagENSA_11use_defaultESG_EEEEPS6_NSA_18transform_iteratorI7is_evenIyENSC_INSA_10device_ptrIyEEEESG_SG_EENS0_5tupleIJPySJ_EEENSR_IJSJ_SJ_EEES6_PlJS6_EEE10hipError_tPvRmT3_T4_T5_T6_T7_T9_mT8_P12ihipStream_tbDpT10_ENKUlT_T0_E_clISt17integral_constantIbLb1EES1F_EEDaS1A_S1B_EUlS1A_E_NS1_11comp_targetILNS1_3genE8ELNS1_11target_archE1030ELNS1_3gpuE2ELNS1_3repE0EEENS1_30default_config_static_selectorELNS0_4arch9wavefront6targetE1EEEvT1_,comdat
.Lfunc_end2019:
	.size	_ZN7rocprim17ROCPRIM_400000_NS6detail17trampoline_kernelINS0_14default_configENS1_25partition_config_selectorILNS1_17partition_subalgoE2EyNS0_10empty_typeEbEEZZNS1_14partition_implILS5_2ELb0ES3_jN6thrust23THRUST_200600_302600_NS6detail15normal_iteratorINSA_7pointerIyNSA_11hip_rocprim3tagENSA_11use_defaultESG_EEEEPS6_NSA_18transform_iteratorI7is_evenIyENSC_INSA_10device_ptrIyEEEESG_SG_EENS0_5tupleIJPySJ_EEENSR_IJSJ_SJ_EEES6_PlJS6_EEE10hipError_tPvRmT3_T4_T5_T6_T7_T9_mT8_P12ihipStream_tbDpT10_ENKUlT_T0_E_clISt17integral_constantIbLb1EES1F_EEDaS1A_S1B_EUlS1A_E_NS1_11comp_targetILNS1_3genE8ELNS1_11target_archE1030ELNS1_3gpuE2ELNS1_3repE0EEENS1_30default_config_static_selectorELNS0_4arch9wavefront6targetE1EEEvT1_, .Lfunc_end2019-_ZN7rocprim17ROCPRIM_400000_NS6detail17trampoline_kernelINS0_14default_configENS1_25partition_config_selectorILNS1_17partition_subalgoE2EyNS0_10empty_typeEbEEZZNS1_14partition_implILS5_2ELb0ES3_jN6thrust23THRUST_200600_302600_NS6detail15normal_iteratorINSA_7pointerIyNSA_11hip_rocprim3tagENSA_11use_defaultESG_EEEEPS6_NSA_18transform_iteratorI7is_evenIyENSC_INSA_10device_ptrIyEEEESG_SG_EENS0_5tupleIJPySJ_EEENSR_IJSJ_SJ_EEES6_PlJS6_EEE10hipError_tPvRmT3_T4_T5_T6_T7_T9_mT8_P12ihipStream_tbDpT10_ENKUlT_T0_E_clISt17integral_constantIbLb1EES1F_EEDaS1A_S1B_EUlS1A_E_NS1_11comp_targetILNS1_3genE8ELNS1_11target_archE1030ELNS1_3gpuE2ELNS1_3repE0EEENS1_30default_config_static_selectorELNS0_4arch9wavefront6targetE1EEEvT1_
                                        ; -- End function
	.section	.AMDGPU.csdata,"",@progbits
; Kernel info:
; codeLenInByte = 0
; NumSgprs: 6
; NumVgprs: 0
; NumAgprs: 0
; TotalNumVgprs: 0
; ScratchSize: 0
; MemoryBound: 0
; FloatMode: 240
; IeeeMode: 1
; LDSByteSize: 0 bytes/workgroup (compile time only)
; SGPRBlocks: 0
; VGPRBlocks: 0
; NumSGPRsForWavesPerEU: 6
; NumVGPRsForWavesPerEU: 1
; AccumOffset: 4
; Occupancy: 8
; WaveLimiterHint : 0
; COMPUTE_PGM_RSRC2:SCRATCH_EN: 0
; COMPUTE_PGM_RSRC2:USER_SGPR: 2
; COMPUTE_PGM_RSRC2:TRAP_HANDLER: 0
; COMPUTE_PGM_RSRC2:TGID_X_EN: 1
; COMPUTE_PGM_RSRC2:TGID_Y_EN: 0
; COMPUTE_PGM_RSRC2:TGID_Z_EN: 0
; COMPUTE_PGM_RSRC2:TIDIG_COMP_CNT: 0
; COMPUTE_PGM_RSRC3_GFX90A:ACCUM_OFFSET: 0
; COMPUTE_PGM_RSRC3_GFX90A:TG_SPLIT: 0
	.section	.text._ZN7rocprim17ROCPRIM_400000_NS6detail17trampoline_kernelINS0_14default_configENS1_25partition_config_selectorILNS1_17partition_subalgoE2EyNS0_10empty_typeEbEEZZNS1_14partition_implILS5_2ELb0ES3_jN6thrust23THRUST_200600_302600_NS6detail15normal_iteratorINSA_7pointerIyNSA_11hip_rocprim3tagENSA_11use_defaultESG_EEEEPS6_NSA_18transform_iteratorI7is_evenIyENSC_INSA_10device_ptrIyEEEESG_SG_EENS0_5tupleIJPySJ_EEENSR_IJSJ_SJ_EEES6_PlJS6_EEE10hipError_tPvRmT3_T4_T5_T6_T7_T9_mT8_P12ihipStream_tbDpT10_ENKUlT_T0_E_clISt17integral_constantIbLb1EES1E_IbLb0EEEEDaS1A_S1B_EUlS1A_E_NS1_11comp_targetILNS1_3genE0ELNS1_11target_archE4294967295ELNS1_3gpuE0ELNS1_3repE0EEENS1_30default_config_static_selectorELNS0_4arch9wavefront6targetE1EEEvT1_,"axG",@progbits,_ZN7rocprim17ROCPRIM_400000_NS6detail17trampoline_kernelINS0_14default_configENS1_25partition_config_selectorILNS1_17partition_subalgoE2EyNS0_10empty_typeEbEEZZNS1_14partition_implILS5_2ELb0ES3_jN6thrust23THRUST_200600_302600_NS6detail15normal_iteratorINSA_7pointerIyNSA_11hip_rocprim3tagENSA_11use_defaultESG_EEEEPS6_NSA_18transform_iteratorI7is_evenIyENSC_INSA_10device_ptrIyEEEESG_SG_EENS0_5tupleIJPySJ_EEENSR_IJSJ_SJ_EEES6_PlJS6_EEE10hipError_tPvRmT3_T4_T5_T6_T7_T9_mT8_P12ihipStream_tbDpT10_ENKUlT_T0_E_clISt17integral_constantIbLb1EES1E_IbLb0EEEEDaS1A_S1B_EUlS1A_E_NS1_11comp_targetILNS1_3genE0ELNS1_11target_archE4294967295ELNS1_3gpuE0ELNS1_3repE0EEENS1_30default_config_static_selectorELNS0_4arch9wavefront6targetE1EEEvT1_,comdat
	.protected	_ZN7rocprim17ROCPRIM_400000_NS6detail17trampoline_kernelINS0_14default_configENS1_25partition_config_selectorILNS1_17partition_subalgoE2EyNS0_10empty_typeEbEEZZNS1_14partition_implILS5_2ELb0ES3_jN6thrust23THRUST_200600_302600_NS6detail15normal_iteratorINSA_7pointerIyNSA_11hip_rocprim3tagENSA_11use_defaultESG_EEEEPS6_NSA_18transform_iteratorI7is_evenIyENSC_INSA_10device_ptrIyEEEESG_SG_EENS0_5tupleIJPySJ_EEENSR_IJSJ_SJ_EEES6_PlJS6_EEE10hipError_tPvRmT3_T4_T5_T6_T7_T9_mT8_P12ihipStream_tbDpT10_ENKUlT_T0_E_clISt17integral_constantIbLb1EES1E_IbLb0EEEEDaS1A_S1B_EUlS1A_E_NS1_11comp_targetILNS1_3genE0ELNS1_11target_archE4294967295ELNS1_3gpuE0ELNS1_3repE0EEENS1_30default_config_static_selectorELNS0_4arch9wavefront6targetE1EEEvT1_ ; -- Begin function _ZN7rocprim17ROCPRIM_400000_NS6detail17trampoline_kernelINS0_14default_configENS1_25partition_config_selectorILNS1_17partition_subalgoE2EyNS0_10empty_typeEbEEZZNS1_14partition_implILS5_2ELb0ES3_jN6thrust23THRUST_200600_302600_NS6detail15normal_iteratorINSA_7pointerIyNSA_11hip_rocprim3tagENSA_11use_defaultESG_EEEEPS6_NSA_18transform_iteratorI7is_evenIyENSC_INSA_10device_ptrIyEEEESG_SG_EENS0_5tupleIJPySJ_EEENSR_IJSJ_SJ_EEES6_PlJS6_EEE10hipError_tPvRmT3_T4_T5_T6_T7_T9_mT8_P12ihipStream_tbDpT10_ENKUlT_T0_E_clISt17integral_constantIbLb1EES1E_IbLb0EEEEDaS1A_S1B_EUlS1A_E_NS1_11comp_targetILNS1_3genE0ELNS1_11target_archE4294967295ELNS1_3gpuE0ELNS1_3repE0EEENS1_30default_config_static_selectorELNS0_4arch9wavefront6targetE1EEEvT1_
	.globl	_ZN7rocprim17ROCPRIM_400000_NS6detail17trampoline_kernelINS0_14default_configENS1_25partition_config_selectorILNS1_17partition_subalgoE2EyNS0_10empty_typeEbEEZZNS1_14partition_implILS5_2ELb0ES3_jN6thrust23THRUST_200600_302600_NS6detail15normal_iteratorINSA_7pointerIyNSA_11hip_rocprim3tagENSA_11use_defaultESG_EEEEPS6_NSA_18transform_iteratorI7is_evenIyENSC_INSA_10device_ptrIyEEEESG_SG_EENS0_5tupleIJPySJ_EEENSR_IJSJ_SJ_EEES6_PlJS6_EEE10hipError_tPvRmT3_T4_T5_T6_T7_T9_mT8_P12ihipStream_tbDpT10_ENKUlT_T0_E_clISt17integral_constantIbLb1EES1E_IbLb0EEEEDaS1A_S1B_EUlS1A_E_NS1_11comp_targetILNS1_3genE0ELNS1_11target_archE4294967295ELNS1_3gpuE0ELNS1_3repE0EEENS1_30default_config_static_selectorELNS0_4arch9wavefront6targetE1EEEvT1_
	.p2align	8
	.type	_ZN7rocprim17ROCPRIM_400000_NS6detail17trampoline_kernelINS0_14default_configENS1_25partition_config_selectorILNS1_17partition_subalgoE2EyNS0_10empty_typeEbEEZZNS1_14partition_implILS5_2ELb0ES3_jN6thrust23THRUST_200600_302600_NS6detail15normal_iteratorINSA_7pointerIyNSA_11hip_rocprim3tagENSA_11use_defaultESG_EEEEPS6_NSA_18transform_iteratorI7is_evenIyENSC_INSA_10device_ptrIyEEEESG_SG_EENS0_5tupleIJPySJ_EEENSR_IJSJ_SJ_EEES6_PlJS6_EEE10hipError_tPvRmT3_T4_T5_T6_T7_T9_mT8_P12ihipStream_tbDpT10_ENKUlT_T0_E_clISt17integral_constantIbLb1EES1E_IbLb0EEEEDaS1A_S1B_EUlS1A_E_NS1_11comp_targetILNS1_3genE0ELNS1_11target_archE4294967295ELNS1_3gpuE0ELNS1_3repE0EEENS1_30default_config_static_selectorELNS0_4arch9wavefront6targetE1EEEvT1_,@function
_ZN7rocprim17ROCPRIM_400000_NS6detail17trampoline_kernelINS0_14default_configENS1_25partition_config_selectorILNS1_17partition_subalgoE2EyNS0_10empty_typeEbEEZZNS1_14partition_implILS5_2ELb0ES3_jN6thrust23THRUST_200600_302600_NS6detail15normal_iteratorINSA_7pointerIyNSA_11hip_rocprim3tagENSA_11use_defaultESG_EEEEPS6_NSA_18transform_iteratorI7is_evenIyENSC_INSA_10device_ptrIyEEEESG_SG_EENS0_5tupleIJPySJ_EEENSR_IJSJ_SJ_EEES6_PlJS6_EEE10hipError_tPvRmT3_T4_T5_T6_T7_T9_mT8_P12ihipStream_tbDpT10_ENKUlT_T0_E_clISt17integral_constantIbLb1EES1E_IbLb0EEEEDaS1A_S1B_EUlS1A_E_NS1_11comp_targetILNS1_3genE0ELNS1_11target_archE4294967295ELNS1_3gpuE0ELNS1_3repE0EEENS1_30default_config_static_selectorELNS0_4arch9wavefront6targetE1EEEvT1_: ; @_ZN7rocprim17ROCPRIM_400000_NS6detail17trampoline_kernelINS0_14default_configENS1_25partition_config_selectorILNS1_17partition_subalgoE2EyNS0_10empty_typeEbEEZZNS1_14partition_implILS5_2ELb0ES3_jN6thrust23THRUST_200600_302600_NS6detail15normal_iteratorINSA_7pointerIyNSA_11hip_rocprim3tagENSA_11use_defaultESG_EEEEPS6_NSA_18transform_iteratorI7is_evenIyENSC_INSA_10device_ptrIyEEEESG_SG_EENS0_5tupleIJPySJ_EEENSR_IJSJ_SJ_EEES6_PlJS6_EEE10hipError_tPvRmT3_T4_T5_T6_T7_T9_mT8_P12ihipStream_tbDpT10_ENKUlT_T0_E_clISt17integral_constantIbLb1EES1E_IbLb0EEEEDaS1A_S1B_EUlS1A_E_NS1_11comp_targetILNS1_3genE0ELNS1_11target_archE4294967295ELNS1_3gpuE0ELNS1_3repE0EEENS1_30default_config_static_selectorELNS0_4arch9wavefront6targetE1EEEvT1_
; %bb.0:
	.section	.rodata,"a",@progbits
	.p2align	6, 0x0
	.amdhsa_kernel _ZN7rocprim17ROCPRIM_400000_NS6detail17trampoline_kernelINS0_14default_configENS1_25partition_config_selectorILNS1_17partition_subalgoE2EyNS0_10empty_typeEbEEZZNS1_14partition_implILS5_2ELb0ES3_jN6thrust23THRUST_200600_302600_NS6detail15normal_iteratorINSA_7pointerIyNSA_11hip_rocprim3tagENSA_11use_defaultESG_EEEEPS6_NSA_18transform_iteratorI7is_evenIyENSC_INSA_10device_ptrIyEEEESG_SG_EENS0_5tupleIJPySJ_EEENSR_IJSJ_SJ_EEES6_PlJS6_EEE10hipError_tPvRmT3_T4_T5_T6_T7_T9_mT8_P12ihipStream_tbDpT10_ENKUlT_T0_E_clISt17integral_constantIbLb1EES1E_IbLb0EEEEDaS1A_S1B_EUlS1A_E_NS1_11comp_targetILNS1_3genE0ELNS1_11target_archE4294967295ELNS1_3gpuE0ELNS1_3repE0EEENS1_30default_config_static_selectorELNS0_4arch9wavefront6targetE1EEEvT1_
		.amdhsa_group_segment_fixed_size 0
		.amdhsa_private_segment_fixed_size 0
		.amdhsa_kernarg_size 128
		.amdhsa_user_sgpr_count 2
		.amdhsa_user_sgpr_dispatch_ptr 0
		.amdhsa_user_sgpr_queue_ptr 0
		.amdhsa_user_sgpr_kernarg_segment_ptr 1
		.amdhsa_user_sgpr_dispatch_id 0
		.amdhsa_user_sgpr_kernarg_preload_length 0
		.amdhsa_user_sgpr_kernarg_preload_offset 0
		.amdhsa_user_sgpr_private_segment_size 0
		.amdhsa_uses_dynamic_stack 0
		.amdhsa_enable_private_segment 0
		.amdhsa_system_sgpr_workgroup_id_x 1
		.amdhsa_system_sgpr_workgroup_id_y 0
		.amdhsa_system_sgpr_workgroup_id_z 0
		.amdhsa_system_sgpr_workgroup_info 0
		.amdhsa_system_vgpr_workitem_id 0
		.amdhsa_next_free_vgpr 1
		.amdhsa_next_free_sgpr 0
		.amdhsa_accum_offset 4
		.amdhsa_reserve_vcc 0
		.amdhsa_float_round_mode_32 0
		.amdhsa_float_round_mode_16_64 0
		.amdhsa_float_denorm_mode_32 3
		.amdhsa_float_denorm_mode_16_64 3
		.amdhsa_dx10_clamp 1
		.amdhsa_ieee_mode 1
		.amdhsa_fp16_overflow 0
		.amdhsa_tg_split 0
		.amdhsa_exception_fp_ieee_invalid_op 0
		.amdhsa_exception_fp_denorm_src 0
		.amdhsa_exception_fp_ieee_div_zero 0
		.amdhsa_exception_fp_ieee_overflow 0
		.amdhsa_exception_fp_ieee_underflow 0
		.amdhsa_exception_fp_ieee_inexact 0
		.amdhsa_exception_int_div_zero 0
	.end_amdhsa_kernel
	.section	.text._ZN7rocprim17ROCPRIM_400000_NS6detail17trampoline_kernelINS0_14default_configENS1_25partition_config_selectorILNS1_17partition_subalgoE2EyNS0_10empty_typeEbEEZZNS1_14partition_implILS5_2ELb0ES3_jN6thrust23THRUST_200600_302600_NS6detail15normal_iteratorINSA_7pointerIyNSA_11hip_rocprim3tagENSA_11use_defaultESG_EEEEPS6_NSA_18transform_iteratorI7is_evenIyENSC_INSA_10device_ptrIyEEEESG_SG_EENS0_5tupleIJPySJ_EEENSR_IJSJ_SJ_EEES6_PlJS6_EEE10hipError_tPvRmT3_T4_T5_T6_T7_T9_mT8_P12ihipStream_tbDpT10_ENKUlT_T0_E_clISt17integral_constantIbLb1EES1E_IbLb0EEEEDaS1A_S1B_EUlS1A_E_NS1_11comp_targetILNS1_3genE0ELNS1_11target_archE4294967295ELNS1_3gpuE0ELNS1_3repE0EEENS1_30default_config_static_selectorELNS0_4arch9wavefront6targetE1EEEvT1_,"axG",@progbits,_ZN7rocprim17ROCPRIM_400000_NS6detail17trampoline_kernelINS0_14default_configENS1_25partition_config_selectorILNS1_17partition_subalgoE2EyNS0_10empty_typeEbEEZZNS1_14partition_implILS5_2ELb0ES3_jN6thrust23THRUST_200600_302600_NS6detail15normal_iteratorINSA_7pointerIyNSA_11hip_rocprim3tagENSA_11use_defaultESG_EEEEPS6_NSA_18transform_iteratorI7is_evenIyENSC_INSA_10device_ptrIyEEEESG_SG_EENS0_5tupleIJPySJ_EEENSR_IJSJ_SJ_EEES6_PlJS6_EEE10hipError_tPvRmT3_T4_T5_T6_T7_T9_mT8_P12ihipStream_tbDpT10_ENKUlT_T0_E_clISt17integral_constantIbLb1EES1E_IbLb0EEEEDaS1A_S1B_EUlS1A_E_NS1_11comp_targetILNS1_3genE0ELNS1_11target_archE4294967295ELNS1_3gpuE0ELNS1_3repE0EEENS1_30default_config_static_selectorELNS0_4arch9wavefront6targetE1EEEvT1_,comdat
.Lfunc_end2020:
	.size	_ZN7rocprim17ROCPRIM_400000_NS6detail17trampoline_kernelINS0_14default_configENS1_25partition_config_selectorILNS1_17partition_subalgoE2EyNS0_10empty_typeEbEEZZNS1_14partition_implILS5_2ELb0ES3_jN6thrust23THRUST_200600_302600_NS6detail15normal_iteratorINSA_7pointerIyNSA_11hip_rocprim3tagENSA_11use_defaultESG_EEEEPS6_NSA_18transform_iteratorI7is_evenIyENSC_INSA_10device_ptrIyEEEESG_SG_EENS0_5tupleIJPySJ_EEENSR_IJSJ_SJ_EEES6_PlJS6_EEE10hipError_tPvRmT3_T4_T5_T6_T7_T9_mT8_P12ihipStream_tbDpT10_ENKUlT_T0_E_clISt17integral_constantIbLb1EES1E_IbLb0EEEEDaS1A_S1B_EUlS1A_E_NS1_11comp_targetILNS1_3genE0ELNS1_11target_archE4294967295ELNS1_3gpuE0ELNS1_3repE0EEENS1_30default_config_static_selectorELNS0_4arch9wavefront6targetE1EEEvT1_, .Lfunc_end2020-_ZN7rocprim17ROCPRIM_400000_NS6detail17trampoline_kernelINS0_14default_configENS1_25partition_config_selectorILNS1_17partition_subalgoE2EyNS0_10empty_typeEbEEZZNS1_14partition_implILS5_2ELb0ES3_jN6thrust23THRUST_200600_302600_NS6detail15normal_iteratorINSA_7pointerIyNSA_11hip_rocprim3tagENSA_11use_defaultESG_EEEEPS6_NSA_18transform_iteratorI7is_evenIyENSC_INSA_10device_ptrIyEEEESG_SG_EENS0_5tupleIJPySJ_EEENSR_IJSJ_SJ_EEES6_PlJS6_EEE10hipError_tPvRmT3_T4_T5_T6_T7_T9_mT8_P12ihipStream_tbDpT10_ENKUlT_T0_E_clISt17integral_constantIbLb1EES1E_IbLb0EEEEDaS1A_S1B_EUlS1A_E_NS1_11comp_targetILNS1_3genE0ELNS1_11target_archE4294967295ELNS1_3gpuE0ELNS1_3repE0EEENS1_30default_config_static_selectorELNS0_4arch9wavefront6targetE1EEEvT1_
                                        ; -- End function
	.section	.AMDGPU.csdata,"",@progbits
; Kernel info:
; codeLenInByte = 0
; NumSgprs: 6
; NumVgprs: 0
; NumAgprs: 0
; TotalNumVgprs: 0
; ScratchSize: 0
; MemoryBound: 0
; FloatMode: 240
; IeeeMode: 1
; LDSByteSize: 0 bytes/workgroup (compile time only)
; SGPRBlocks: 0
; VGPRBlocks: 0
; NumSGPRsForWavesPerEU: 6
; NumVGPRsForWavesPerEU: 1
; AccumOffset: 4
; Occupancy: 8
; WaveLimiterHint : 0
; COMPUTE_PGM_RSRC2:SCRATCH_EN: 0
; COMPUTE_PGM_RSRC2:USER_SGPR: 2
; COMPUTE_PGM_RSRC2:TRAP_HANDLER: 0
; COMPUTE_PGM_RSRC2:TGID_X_EN: 1
; COMPUTE_PGM_RSRC2:TGID_Y_EN: 0
; COMPUTE_PGM_RSRC2:TGID_Z_EN: 0
; COMPUTE_PGM_RSRC2:TIDIG_COMP_CNT: 0
; COMPUTE_PGM_RSRC3_GFX90A:ACCUM_OFFSET: 0
; COMPUTE_PGM_RSRC3_GFX90A:TG_SPLIT: 0
	.section	.text._ZN7rocprim17ROCPRIM_400000_NS6detail17trampoline_kernelINS0_14default_configENS1_25partition_config_selectorILNS1_17partition_subalgoE2EyNS0_10empty_typeEbEEZZNS1_14partition_implILS5_2ELb0ES3_jN6thrust23THRUST_200600_302600_NS6detail15normal_iteratorINSA_7pointerIyNSA_11hip_rocprim3tagENSA_11use_defaultESG_EEEEPS6_NSA_18transform_iteratorI7is_evenIyENSC_INSA_10device_ptrIyEEEESG_SG_EENS0_5tupleIJPySJ_EEENSR_IJSJ_SJ_EEES6_PlJS6_EEE10hipError_tPvRmT3_T4_T5_T6_T7_T9_mT8_P12ihipStream_tbDpT10_ENKUlT_T0_E_clISt17integral_constantIbLb1EES1E_IbLb0EEEEDaS1A_S1B_EUlS1A_E_NS1_11comp_targetILNS1_3genE5ELNS1_11target_archE942ELNS1_3gpuE9ELNS1_3repE0EEENS1_30default_config_static_selectorELNS0_4arch9wavefront6targetE1EEEvT1_,"axG",@progbits,_ZN7rocprim17ROCPRIM_400000_NS6detail17trampoline_kernelINS0_14default_configENS1_25partition_config_selectorILNS1_17partition_subalgoE2EyNS0_10empty_typeEbEEZZNS1_14partition_implILS5_2ELb0ES3_jN6thrust23THRUST_200600_302600_NS6detail15normal_iteratorINSA_7pointerIyNSA_11hip_rocprim3tagENSA_11use_defaultESG_EEEEPS6_NSA_18transform_iteratorI7is_evenIyENSC_INSA_10device_ptrIyEEEESG_SG_EENS0_5tupleIJPySJ_EEENSR_IJSJ_SJ_EEES6_PlJS6_EEE10hipError_tPvRmT3_T4_T5_T6_T7_T9_mT8_P12ihipStream_tbDpT10_ENKUlT_T0_E_clISt17integral_constantIbLb1EES1E_IbLb0EEEEDaS1A_S1B_EUlS1A_E_NS1_11comp_targetILNS1_3genE5ELNS1_11target_archE942ELNS1_3gpuE9ELNS1_3repE0EEENS1_30default_config_static_selectorELNS0_4arch9wavefront6targetE1EEEvT1_,comdat
	.protected	_ZN7rocprim17ROCPRIM_400000_NS6detail17trampoline_kernelINS0_14default_configENS1_25partition_config_selectorILNS1_17partition_subalgoE2EyNS0_10empty_typeEbEEZZNS1_14partition_implILS5_2ELb0ES3_jN6thrust23THRUST_200600_302600_NS6detail15normal_iteratorINSA_7pointerIyNSA_11hip_rocprim3tagENSA_11use_defaultESG_EEEEPS6_NSA_18transform_iteratorI7is_evenIyENSC_INSA_10device_ptrIyEEEESG_SG_EENS0_5tupleIJPySJ_EEENSR_IJSJ_SJ_EEES6_PlJS6_EEE10hipError_tPvRmT3_T4_T5_T6_T7_T9_mT8_P12ihipStream_tbDpT10_ENKUlT_T0_E_clISt17integral_constantIbLb1EES1E_IbLb0EEEEDaS1A_S1B_EUlS1A_E_NS1_11comp_targetILNS1_3genE5ELNS1_11target_archE942ELNS1_3gpuE9ELNS1_3repE0EEENS1_30default_config_static_selectorELNS0_4arch9wavefront6targetE1EEEvT1_ ; -- Begin function _ZN7rocprim17ROCPRIM_400000_NS6detail17trampoline_kernelINS0_14default_configENS1_25partition_config_selectorILNS1_17partition_subalgoE2EyNS0_10empty_typeEbEEZZNS1_14partition_implILS5_2ELb0ES3_jN6thrust23THRUST_200600_302600_NS6detail15normal_iteratorINSA_7pointerIyNSA_11hip_rocprim3tagENSA_11use_defaultESG_EEEEPS6_NSA_18transform_iteratorI7is_evenIyENSC_INSA_10device_ptrIyEEEESG_SG_EENS0_5tupleIJPySJ_EEENSR_IJSJ_SJ_EEES6_PlJS6_EEE10hipError_tPvRmT3_T4_T5_T6_T7_T9_mT8_P12ihipStream_tbDpT10_ENKUlT_T0_E_clISt17integral_constantIbLb1EES1E_IbLb0EEEEDaS1A_S1B_EUlS1A_E_NS1_11comp_targetILNS1_3genE5ELNS1_11target_archE942ELNS1_3gpuE9ELNS1_3repE0EEENS1_30default_config_static_selectorELNS0_4arch9wavefront6targetE1EEEvT1_
	.globl	_ZN7rocprim17ROCPRIM_400000_NS6detail17trampoline_kernelINS0_14default_configENS1_25partition_config_selectorILNS1_17partition_subalgoE2EyNS0_10empty_typeEbEEZZNS1_14partition_implILS5_2ELb0ES3_jN6thrust23THRUST_200600_302600_NS6detail15normal_iteratorINSA_7pointerIyNSA_11hip_rocprim3tagENSA_11use_defaultESG_EEEEPS6_NSA_18transform_iteratorI7is_evenIyENSC_INSA_10device_ptrIyEEEESG_SG_EENS0_5tupleIJPySJ_EEENSR_IJSJ_SJ_EEES6_PlJS6_EEE10hipError_tPvRmT3_T4_T5_T6_T7_T9_mT8_P12ihipStream_tbDpT10_ENKUlT_T0_E_clISt17integral_constantIbLb1EES1E_IbLb0EEEEDaS1A_S1B_EUlS1A_E_NS1_11comp_targetILNS1_3genE5ELNS1_11target_archE942ELNS1_3gpuE9ELNS1_3repE0EEENS1_30default_config_static_selectorELNS0_4arch9wavefront6targetE1EEEvT1_
	.p2align	8
	.type	_ZN7rocprim17ROCPRIM_400000_NS6detail17trampoline_kernelINS0_14default_configENS1_25partition_config_selectorILNS1_17partition_subalgoE2EyNS0_10empty_typeEbEEZZNS1_14partition_implILS5_2ELb0ES3_jN6thrust23THRUST_200600_302600_NS6detail15normal_iteratorINSA_7pointerIyNSA_11hip_rocprim3tagENSA_11use_defaultESG_EEEEPS6_NSA_18transform_iteratorI7is_evenIyENSC_INSA_10device_ptrIyEEEESG_SG_EENS0_5tupleIJPySJ_EEENSR_IJSJ_SJ_EEES6_PlJS6_EEE10hipError_tPvRmT3_T4_T5_T6_T7_T9_mT8_P12ihipStream_tbDpT10_ENKUlT_T0_E_clISt17integral_constantIbLb1EES1E_IbLb0EEEEDaS1A_S1B_EUlS1A_E_NS1_11comp_targetILNS1_3genE5ELNS1_11target_archE942ELNS1_3gpuE9ELNS1_3repE0EEENS1_30default_config_static_selectorELNS0_4arch9wavefront6targetE1EEEvT1_,@function
_ZN7rocprim17ROCPRIM_400000_NS6detail17trampoline_kernelINS0_14default_configENS1_25partition_config_selectorILNS1_17partition_subalgoE2EyNS0_10empty_typeEbEEZZNS1_14partition_implILS5_2ELb0ES3_jN6thrust23THRUST_200600_302600_NS6detail15normal_iteratorINSA_7pointerIyNSA_11hip_rocprim3tagENSA_11use_defaultESG_EEEEPS6_NSA_18transform_iteratorI7is_evenIyENSC_INSA_10device_ptrIyEEEESG_SG_EENS0_5tupleIJPySJ_EEENSR_IJSJ_SJ_EEES6_PlJS6_EEE10hipError_tPvRmT3_T4_T5_T6_T7_T9_mT8_P12ihipStream_tbDpT10_ENKUlT_T0_E_clISt17integral_constantIbLb1EES1E_IbLb0EEEEDaS1A_S1B_EUlS1A_E_NS1_11comp_targetILNS1_3genE5ELNS1_11target_archE942ELNS1_3gpuE9ELNS1_3repE0EEENS1_30default_config_static_selectorELNS0_4arch9wavefront6targetE1EEEvT1_: ; @_ZN7rocprim17ROCPRIM_400000_NS6detail17trampoline_kernelINS0_14default_configENS1_25partition_config_selectorILNS1_17partition_subalgoE2EyNS0_10empty_typeEbEEZZNS1_14partition_implILS5_2ELb0ES3_jN6thrust23THRUST_200600_302600_NS6detail15normal_iteratorINSA_7pointerIyNSA_11hip_rocprim3tagENSA_11use_defaultESG_EEEEPS6_NSA_18transform_iteratorI7is_evenIyENSC_INSA_10device_ptrIyEEEESG_SG_EENS0_5tupleIJPySJ_EEENSR_IJSJ_SJ_EEES6_PlJS6_EEE10hipError_tPvRmT3_T4_T5_T6_T7_T9_mT8_P12ihipStream_tbDpT10_ENKUlT_T0_E_clISt17integral_constantIbLb1EES1E_IbLb0EEEEDaS1A_S1B_EUlS1A_E_NS1_11comp_targetILNS1_3genE5ELNS1_11target_archE942ELNS1_3gpuE9ELNS1_3repE0EEENS1_30default_config_static_selectorELNS0_4arch9wavefront6targetE1EEEvT1_
; %bb.0:
	s_load_dwordx4 s[24:27], s[0:1], 0x8
	s_load_dwordx2 s[6:7], s[0:1], 0x20
	s_load_dwordx2 s[28:29], s[0:1], 0x60
	s_load_dwordx4 s[20:23], s[0:1], 0x50
	s_load_dword s3, s[0:1], 0x78
	s_waitcnt lgkmcnt(0)
	s_lshl_b64 s[8:9], s[26:27], 3
	s_add_u32 s12, s24, s8
	s_addc_u32 s13, s25, s9
	s_load_dwordx2 s[30:31], s[22:23], 0x0
	s_add_i32 s10, s3, -1
	s_mulk_i32 s3, 0xe00
	s_add_i32 s4, s3, s26
	s_sub_i32 s33, s28, s4
	s_addk_i32 s33, 0xe00
	s_add_u32 s4, s26, s3
	s_addc_u32 s5, s27, 0
	s_cmp_eq_u32 s2, s10
	v_mov_b64_e32 v[2:3], s[28:29]
	s_cselect_b64 s[22:23], -1, 0
	s_cmp_lg_u32 s2, s10
	s_mul_i32 s24, s2, 0xe00
	s_mov_b32 s25, 0
	v_cmp_lt_u64_e32 vcc, s[4:5], v[2:3]
	s_cselect_b64 s[4:5], -1, 0
	s_or_b64 s[34:35], s[4:5], vcc
	s_lshl_b64 s[10:11], s[24:25], 3
	s_add_u32 s12, s12, s10
	s_addc_u32 s13, s13, s11
	s_mov_b64 s[4:5], -1
	s_and_b64 vcc, exec, s[34:35]
	v_lshlrev_b32_e32 v18, 3, v0
	s_cbranch_vccz .LBB2021_2
; %bb.1:
	v_mov_b32_e32 v19, 0
	v_lshl_add_u64 v[2:3], s[12:13], 0, v[18:19]
	v_add_co_u32_e32 v4, vcc, 0x1000, v2
	s_mov_b64 s[4:5], 0
	s_nop 0
	v_addc_co_u32_e32 v5, vcc, 0, v3, vcc
	v_add_co_u32_e32 v6, vcc, 0x2000, v2
	s_nop 1
	v_addc_co_u32_e32 v7, vcc, 0, v3, vcc
	v_add_co_u32_e32 v8, vcc, 0x3000, v2
	s_nop 1
	v_addc_co_u32_e32 v9, vcc, 0, v3, vcc
	flat_load_dwordx2 v[10:11], v[2:3]
	flat_load_dwordx2 v[12:13], v[4:5]
	;; [unrolled: 1-line block ×4, first 2 shown]
	v_add_co_u32_e32 v4, vcc, 0x4000, v2
	s_nop 1
	v_addc_co_u32_e32 v5, vcc, 0, v3, vcc
	v_add_co_u32_e32 v6, vcc, 0x5000, v2
	s_nop 1
	v_addc_co_u32_e32 v7, vcc, 0, v3, vcc
	;; [unrolled: 3-line block ×3, first 2 shown]
	flat_load_dwordx2 v[8:9], v[4:5]
	flat_load_dwordx2 v[20:21], v[6:7]
	;; [unrolled: 1-line block ×3, first 2 shown]
	s_waitcnt vmcnt(0) lgkmcnt(0)
	ds_write2st64_b64 v18, v[10:11], v[12:13] offset1:8
	ds_write2st64_b64 v18, v[14:15], v[16:17] offset0:16 offset1:24
	ds_write2st64_b64 v18, v[8:9], v[20:21] offset0:32 offset1:40
	ds_write_b64 v18, v[22:23] offset:24576
	s_waitcnt lgkmcnt(0)
	s_barrier
.LBB2021_2:
	s_andn2_b64 vcc, exec, s[4:5]
	v_cmp_gt_u32_e64 s[4:5], s33, v0
	s_cbranch_vccnz .LBB2021_18
; %bb.3:
                                        ; implicit-def: $vgpr2_vgpr3_vgpr4_vgpr5_vgpr6_vgpr7_vgpr8_vgpr9_vgpr10_vgpr11_vgpr12_vgpr13_vgpr14_vgpr15_vgpr16_vgpr17
	s_and_saveexec_b64 s[14:15], s[4:5]
	s_cbranch_execz .LBB2021_5
; %bb.4:
	v_mov_b32_e32 v19, 0
	v_lshl_add_u64 v[2:3], s[12:13], 0, v[18:19]
	flat_load_dwordx2 v[2:3], v[2:3]
.LBB2021_5:
	s_or_b64 exec, exec, s[14:15]
	v_or_b32_e32 v1, 0x200, v0
	v_cmp_gt_u32_e32 vcc, s33, v1
	s_and_saveexec_b64 s[4:5], vcc
	s_cbranch_execz .LBB2021_7
; %bb.6:
	v_lshlrev_b32_e32 v4, 3, v1
	v_mov_b32_e32 v5, 0
	v_lshl_add_u64 v[4:5], s[12:13], 0, v[4:5]
	flat_load_dwordx2 v[4:5], v[4:5]
.LBB2021_7:
	s_or_b64 exec, exec, s[4:5]
	v_or_b32_e32 v1, 0x400, v0
	v_cmp_gt_u32_e32 vcc, s33, v1
	s_and_saveexec_b64 s[4:5], vcc
	s_cbranch_execz .LBB2021_9
; %bb.8:
	v_lshlrev_b32_e32 v6, 3, v1
	v_mov_b32_e32 v7, 0
	v_lshl_add_u64 v[6:7], s[12:13], 0, v[6:7]
	flat_load_dwordx2 v[6:7], v[6:7]
.LBB2021_9:
	;; [unrolled: 11-line block ×6, first 2 shown]
	s_or_b64 exec, exec, s[4:5]
	s_waitcnt vmcnt(0) lgkmcnt(0)
	ds_write2st64_b64 v18, v[2:3], v[4:5] offset1:8
	ds_write2st64_b64 v18, v[6:7], v[8:9] offset0:16 offset1:24
	ds_write2st64_b64 v18, v[10:11], v[12:13] offset0:32 offset1:40
	ds_write_b64 v18, v[14:15] offset:24576
	s_waitcnt lgkmcnt(0)
	s_barrier
.LBB2021_18:
	v_mul_u32_u24_e32 v1, 7, v0
	v_lshlrev_b32_e32 v16, 3, v1
	s_waitcnt lgkmcnt(0)
	ds_read2_b64 v[10:13], v16 offset1:1
	ds_read2_b64 v[6:9], v16 offset0:2 offset1:3
	ds_read2_b64 v[2:5], v16 offset0:4 offset1:5
	ds_read_b64 v[14:15], v16 offset:48
	s_add_u32 s3, s6, s8
	s_addc_u32 s5, s7, s9
	s_add_u32 s4, s3, s10
	s_addc_u32 s5, s5, s11
	s_mov_b64 s[6:7], -1
	s_and_b64 vcc, exec, s[34:35]
	s_waitcnt lgkmcnt(0)
	s_barrier
	s_cbranch_vccz .LBB2021_20
; %bb.19:
	v_mov_b32_e32 v19, 0
	v_lshl_add_u64 v[20:21], s[4:5], 0, v[18:19]
	v_add_co_u32_e32 v24, vcc, 0x1000, v20
	global_load_dwordx2 v[22:23], v18, s[4:5]
	s_nop 0
	v_addc_co_u32_e32 v25, vcc, 0, v21, vcc
	v_add_co_u32_e32 v26, vcc, 0x2000, v20
	s_mov_b64 s[6:7], 0
	s_nop 0
	v_addc_co_u32_e32 v27, vcc, 0, v21, vcc
	v_add_co_u32_e32 v28, vcc, 0x3000, v20
	s_waitcnt vmcnt(0)
	v_xor_b32_e32 v17, -1, v22
	v_addc_co_u32_e32 v29, vcc, 0, v21, vcc
	v_add_co_u32_e32 v30, vcc, 0x4000, v20
	v_and_b32_e32 v17, 1, v17
	s_nop 0
	v_addc_co_u32_e32 v31, vcc, 0, v21, vcc
	global_load_dwordx2 v[32:33], v[24:25], off
	global_load_dwordx2 v[34:35], v[26:27], off
	;; [unrolled: 1-line block ×4, first 2 shown]
	v_add_co_u32_e32 v24, vcc, 0x5000, v20
	ds_write_b8 v0, v17
	s_nop 0
	v_addc_co_u32_e32 v25, vcc, 0, v21, vcc
	v_add_co_u32_e32 v20, vcc, 0x6000, v20
	global_load_dwordx2 v[24:25], v[24:25], off
	s_nop 0
	v_addc_co_u32_e32 v21, vcc, 0, v21, vcc
	global_load_dwordx2 v[20:21], v[20:21], off
	s_waitcnt vmcnt(5)
	v_xor_b32_e32 v17, -1, v32
	v_and_b32_e32 v17, 1, v17
	s_waitcnt vmcnt(4)
	v_xor_b32_e32 v19, -1, v34
	s_waitcnt vmcnt(0)
	v_xor_b32_e32 v21, -1, v36
	v_and_b32_e32 v19, 1, v19
	ds_write_b8 v0, v17 offset:512
	v_and_b32_e32 v17, 1, v21
	v_xor_b32_e32 v21, -1, v38
	ds_write_b8 v0, v19 offset:1024
	v_and_b32_e32 v19, 1, v21
	ds_write_b8 v0, v17 offset:1536
	v_xor_b32_e32 v21, -1, v24
	v_and_b32_e32 v17, 1, v21
	ds_write_b8 v0, v19 offset:2048
	v_xor_b32_e32 v20, -1, v20
	v_and_b32_e32 v19, 1, v20
	ds_write_b8 v0, v17 offset:2560
	ds_write_b8 v0, v19 offset:3072
	s_waitcnt lgkmcnt(0)
	s_barrier
.LBB2021_20:
	s_load_dwordx2 s[36:37], s[0:1], 0x70
	s_andn2_b64 vcc, exec, s[6:7]
	s_cbranch_vccnz .LBB2021_36
; %bb.21:
	v_cmp_gt_u32_e32 vcc, s33, v0
	v_mov_b32_e32 v17, 0
	v_mov_b32_e32 v19, 0
	s_and_saveexec_b64 s[6:7], vcc
	s_cbranch_execz .LBB2021_23
; %bb.22:
	global_load_dwordx2 v[20:21], v18, s[4:5]
	s_waitcnt vmcnt(0)
	v_xor_b32_e32 v19, -1, v20
	v_and_b32_e32 v19, 1, v19
.LBB2021_23:
	s_or_b64 exec, exec, s[6:7]
	v_or_b32_e32 v20, 0x200, v0
	v_cmp_gt_u32_e32 vcc, s33, v20
	s_and_saveexec_b64 s[6:7], vcc
	s_cbranch_execz .LBB2021_25
; %bb.24:
	v_lshlrev_b32_e32 v17, 3, v20
	global_load_dwordx2 v[20:21], v17, s[4:5]
	s_waitcnt vmcnt(0)
	v_xor_b32_e32 v17, -1, v20
	v_and_b32_e32 v17, 1, v17
.LBB2021_25:
	s_or_b64 exec, exec, s[6:7]
	v_or_b32_e32 v22, 0x400, v0
	v_cmp_gt_u32_e32 vcc, s33, v22
	v_mov_b32_e32 v20, 0
	v_mov_b32_e32 v21, 0
	s_and_saveexec_b64 s[6:7], vcc
	s_cbranch_execz .LBB2021_27
; %bb.26:
	v_lshlrev_b32_e32 v21, 3, v22
	global_load_dwordx2 v[22:23], v21, s[4:5]
	s_waitcnt vmcnt(0)
	v_xor_b32_e32 v21, -1, v22
	v_and_b32_e32 v21, 1, v21
.LBB2021_27:
	s_or_b64 exec, exec, s[6:7]
	v_or_b32_e32 v22, 0x600, v0
	v_cmp_gt_u32_e32 vcc, s33, v22
	s_and_saveexec_b64 s[6:7], vcc
	s_cbranch_execz .LBB2021_29
; %bb.28:
	v_lshlrev_b32_e32 v20, 3, v22
	global_load_dwordx2 v[22:23], v20, s[4:5]
	s_waitcnt vmcnt(0)
	v_xor_b32_e32 v20, -1, v22
	v_and_b32_e32 v20, 1, v20
.LBB2021_29:
	s_or_b64 exec, exec, s[6:7]
	v_or_b32_e32 v24, 0x800, v0
	v_cmp_gt_u32_e32 vcc, s33, v24
	v_mov_b32_e32 v22, 0
	v_mov_b32_e32 v23, 0
	s_and_saveexec_b64 s[6:7], vcc
	s_cbranch_execz .LBB2021_31
; %bb.30:
	v_lshlrev_b32_e32 v23, 3, v24
	global_load_dwordx2 v[24:25], v23, s[4:5]
	s_waitcnt vmcnt(0)
	v_xor_b32_e32 v23, -1, v24
	v_and_b32_e32 v23, 1, v23
.LBB2021_31:
	s_or_b64 exec, exec, s[6:7]
	v_or_b32_e32 v24, 0xa00, v0
	v_cmp_gt_u32_e32 vcc, s33, v24
	s_and_saveexec_b64 s[6:7], vcc
	s_cbranch_execz .LBB2021_33
; %bb.32:
	v_lshlrev_b32_e32 v22, 3, v24
	global_load_dwordx2 v[24:25], v22, s[4:5]
	s_waitcnt vmcnt(0)
	v_xor_b32_e32 v22, -1, v24
	v_and_b32_e32 v22, 1, v22
.LBB2021_33:
	s_or_b64 exec, exec, s[6:7]
	v_or_b32_e32 v25, 0xc00, v0
	v_cmp_gt_u32_e32 vcc, s33, v25
	v_mov_b32_e32 v24, 0
	s_and_saveexec_b64 s[6:7], vcc
	s_cbranch_execz .LBB2021_35
; %bb.34:
	v_lshlrev_b32_e32 v24, 3, v25
	global_load_dwordx2 v[24:25], v24, s[4:5]
	s_waitcnt vmcnt(0)
	v_xor_b32_e32 v24, -1, v24
	v_and_b32_e32 v24, 1, v24
.LBB2021_35:
	s_or_b64 exec, exec, s[6:7]
	ds_write_b8 v0, v19
	ds_write_b8 v0, v17 offset:512
	ds_write_b8 v0, v21 offset:1024
	;; [unrolled: 1-line block ×6, first 2 shown]
	s_waitcnt lgkmcnt(0)
	s_barrier
.LBB2021_36:
	s_movk_i32 s3, 0xffcf
	v_mad_i32_i24 v35, v0, s3, v16
	s_waitcnt lgkmcnt(0)
	ds_read_u8 v16, v35
	ds_read_u8 v17, v35 offset:1
	ds_read_u8 v19, v35 offset:2
	;; [unrolled: 1-line block ×6, first 2 shown]
	s_waitcnt lgkmcnt(6)
	v_and_b32_e32 v33, 1, v16
	s_waitcnt lgkmcnt(5)
	v_and_b32_e32 v32, 1, v17
	;; [unrolled: 2-line block ×5, first 2 shown]
	v_add3_u32 v16, v32, v33, v31
	s_waitcnt lgkmcnt(1)
	v_and_b32_e32 v28, 1, v22
	s_waitcnt lgkmcnt(0)
	v_and_b32_e32 v19, 1, v23
	v_add3_u32 v16, v16, v30, v29
	v_add3_u32 v37, v16, v28, v19
	v_mbcnt_lo_u32_b32 v16, -1, 0
	v_mbcnt_hi_u32_b32 v34, -1, v16
	v_and_b32_e32 v16, 15, v34
	v_cmp_eq_u32_e64 s[14:15], 0, v16
	v_cmp_lt_u32_e64 s[12:13], 1, v16
	v_cmp_lt_u32_e64 s[10:11], 3, v16
	;; [unrolled: 1-line block ×3, first 2 shown]
	v_and_b32_e32 v16, 16, v34
	v_cmp_eq_u32_e64 s[6:7], 0, v16
	v_or_b32_e32 v16, 63, v0
	s_cmp_lg_u32 s2, 0
	v_cmp_lt_u32_e64 s[18:19], 31, v34
	v_lshrrev_b32_e32 v36, 6, v0
	v_cmp_eq_u32_e64 s[4:5], v16, v0
	s_barrier
	s_cbranch_scc0 .LBB2021_67
; %bb.37:
	v_mov_b32_dpp v16, v37 row_shr:1 row_mask:0xf bank_mask:0xf
	v_cndmask_b32_e64 v16, v16, 0, s[14:15]
	v_add_u32_e32 v16, v16, v37
	s_nop 1
	v_mov_b32_dpp v17, v16 row_shr:2 row_mask:0xf bank_mask:0xf
	v_cndmask_b32_e64 v17, 0, v17, s[12:13]
	v_add_u32_e32 v16, v16, v17
	s_nop 1
	;; [unrolled: 4-line block ×4, first 2 shown]
	v_mov_b32_dpp v17, v16 row_bcast:15 row_mask:0xf bank_mask:0xf
	v_cndmask_b32_e64 v17, v17, 0, s[6:7]
	v_add_u32_e32 v16, v16, v17
	s_nop 1
	v_mov_b32_dpp v17, v16 row_bcast:31 row_mask:0xf bank_mask:0xf
	v_cndmask_b32_e64 v17, 0, v17, s[18:19]
	v_add_u32_e32 v16, v16, v17
	s_and_saveexec_b64 s[16:17], s[4:5]
	s_cbranch_execz .LBB2021_39
; %bb.38:
	v_lshlrev_b32_e32 v17, 2, v36
	ds_write_b32 v17, v16
.LBB2021_39:
	s_or_b64 exec, exec, s[16:17]
	v_cmp_gt_u32_e32 vcc, 8, v0
	s_waitcnt lgkmcnt(0)
	s_barrier
	s_and_saveexec_b64 s[16:17], vcc
	s_cbranch_execz .LBB2021_41
; %bb.40:
	v_lshlrev_b32_e32 v17, 2, v0
	ds_read_b32 v20, v17
	v_and_b32_e32 v21, 7, v34
	v_cmp_ne_u32_e32 vcc, 0, v21
	s_waitcnt lgkmcnt(0)
	v_mov_b32_dpp v22, v20 row_shr:1 row_mask:0xf bank_mask:0xf
	v_cndmask_b32_e32 v22, 0, v22, vcc
	v_add_u32_e32 v20, v22, v20
	v_cmp_lt_u32_e32 vcc, 1, v21
	s_nop 0
	v_mov_b32_dpp v22, v20 row_shr:2 row_mask:0xf bank_mask:0xf
	v_cndmask_b32_e32 v22, 0, v22, vcc
	v_add_u32_e32 v20, v20, v22
	v_cmp_lt_u32_e32 vcc, 3, v21
	s_nop 0
	v_mov_b32_dpp v22, v20 row_shr:4 row_mask:0xf bank_mask:0xf
	v_cndmask_b32_e32 v21, 0, v22, vcc
	v_add_u32_e32 v20, v20, v21
	ds_write_b32 v17, v20
.LBB2021_41:
	s_or_b64 exec, exec, s[16:17]
	v_cmp_gt_u32_e32 vcc, 64, v0
	v_cmp_lt_u32_e64 s[16:17], 63, v0
	s_waitcnt lgkmcnt(0)
	s_barrier
	s_waitcnt lgkmcnt(0)
                                        ; implicit-def: $vgpr38
	s_and_saveexec_b64 s[38:39], s[16:17]
	s_cbranch_execz .LBB2021_43
; %bb.42:
	v_lshl_add_u32 v17, v36, 2, -4
	ds_read_b32 v38, v17
	s_waitcnt lgkmcnt(0)
	v_add_u32_e32 v16, v38, v16
.LBB2021_43:
	s_or_b64 exec, exec, s[38:39]
	v_add_u32_e32 v17, -1, v34
	v_and_b32_e32 v20, 64, v34
	v_cmp_lt_i32_e64 s[16:17], v17, v20
	s_nop 1
	v_cndmask_b32_e64 v17, v17, v34, s[16:17]
	v_lshlrev_b32_e32 v17, 2, v17
	ds_bpermute_b32 v39, v17, v16
	v_cmp_eq_u32_e64 s[16:17], 0, v34
	s_and_saveexec_b64 s[38:39], vcc
	s_cbranch_execz .LBB2021_66
; %bb.44:
	v_mov_b32_e32 v27, 0
	ds_read_b32 v16, v27 offset:28
	s_and_saveexec_b64 s[40:41], s[16:17]
	s_cbranch_execz .LBB2021_46
; %bb.45:
	s_add_i32 s42, s2, 64
	s_mov_b32 s43, 0
	s_lshl_b64 s[42:43], s[42:43], 3
	s_add_u32 s42, s36, s42
	v_mov_b32_e32 v17, 1
	s_addc_u32 s43, s37, s43
	s_waitcnt lgkmcnt(0)
	global_store_dwordx2 v27, v[16:17], s[42:43] sc1
.LBB2021_46:
	s_or_b64 exec, exec, s[40:41]
	v_xad_u32 v20, v34, -1, s2
	v_add_u32_e32 v26, 64, v20
	v_lshl_add_u64 v[22:23], v[26:27], 3, s[36:37]
	global_load_dwordx2 v[24:25], v[22:23], off sc1
	s_waitcnt vmcnt(0)
	v_cmp_eq_u16_sdwa s[42:43], v25, v27 src0_sel:BYTE_0 src1_sel:DWORD
	s_and_saveexec_b64 s[40:41], s[42:43]
	s_cbranch_execz .LBB2021_52
; %bb.47:
	s_mov_b32 s3, 1
	s_mov_b64 s[42:43], 0
	v_mov_b32_e32 v17, 0
.LBB2021_48:                            ; =>This Loop Header: Depth=1
                                        ;     Child Loop BB2021_49 Depth 2
	s_max_u32 s25, s3, 1
.LBB2021_49:                            ;   Parent Loop BB2021_48 Depth=1
                                        ; =>  This Inner Loop Header: Depth=2
	s_add_i32 s25, s25, -1
	s_cmp_eq_u32 s25, 0
	s_sleep 1
	s_cbranch_scc0 .LBB2021_49
; %bb.50:                               ;   in Loop: Header=BB2021_48 Depth=1
	global_load_dwordx2 v[24:25], v[22:23], off sc1
	s_cmp_lt_u32 s3, 32
	s_cselect_b64 s[44:45], -1, 0
	s_cmp_lg_u64 s[44:45], 0
	s_addc_u32 s3, s3, 0
	s_waitcnt vmcnt(0)
	v_cmp_ne_u16_sdwa s[44:45], v25, v17 src0_sel:BYTE_0 src1_sel:DWORD
	s_or_b64 s[42:43], s[44:45], s[42:43]
	s_andn2_b64 exec, exec, s[42:43]
	s_cbranch_execnz .LBB2021_48
; %bb.51:
	s_or_b64 exec, exec, s[42:43]
.LBB2021_52:
	s_or_b64 exec, exec, s[40:41]
	v_and_b32_e32 v41, 63, v34
	v_mov_b32_e32 v40, 2
	v_cmp_ne_u32_e32 vcc, 63, v41
	v_cmp_eq_u16_sdwa s[40:41], v25, v40 src0_sel:BYTE_0 src1_sel:DWORD
	v_lshlrev_b64 v[22:23], v34, -1
	v_addc_co_u32_e32 v26, vcc, 0, v34, vcc
	v_and_b32_e32 v17, s41, v23
	v_lshlrev_b32_e32 v42, 2, v26
	v_or_b32_e32 v17, 0x80000000, v17
	ds_bpermute_b32 v26, v42, v24
	v_and_b32_e32 v21, s40, v22
	v_ffbl_b32_e32 v17, v17
	v_add_u32_e32 v17, 32, v17
	v_ffbl_b32_e32 v21, v21
	v_min_u32_e32 v17, v21, v17
	v_cmp_lt_u32_e32 vcc, v41, v17
	v_add_u32_e32 v44, 2, v41
	v_add_u32_e32 v46, 4, v41
	s_waitcnt lgkmcnt(0)
	v_cndmask_b32_e32 v21, 0, v26, vcc
	v_cmp_gt_u32_e32 vcc, 62, v41
	v_add_u32_e32 v21, v21, v24
	v_add_u32_e32 v48, 8, v41
	v_cndmask_b32_e64 v24, 0, 1, vcc
	v_lshlrev_b32_e32 v24, 1, v24
	v_add_lshl_u32 v43, v24, v34, 2
	ds_bpermute_b32 v24, v43, v21
	v_cmp_le_u32_e32 vcc, v44, v17
	v_add_u32_e32 v50, 16, v41
	v_add_u32_e32 v52, 32, v41
	s_waitcnt lgkmcnt(0)
	v_cndmask_b32_e32 v24, 0, v24, vcc
	v_cmp_gt_u32_e32 vcc, 60, v41
	v_add_u32_e32 v21, v21, v24
	s_nop 0
	v_cndmask_b32_e64 v24, 0, 1, vcc
	v_lshlrev_b32_e32 v24, 2, v24
	v_add_lshl_u32 v45, v24, v34, 2
	ds_bpermute_b32 v24, v45, v21
	v_cmp_le_u32_e32 vcc, v46, v17
	s_waitcnt lgkmcnt(0)
	s_nop 0
	v_cndmask_b32_e32 v24, 0, v24, vcc
	v_cmp_gt_u32_e32 vcc, 56, v41
	v_add_u32_e32 v21, v21, v24
	s_nop 0
	v_cndmask_b32_e64 v24, 0, 1, vcc
	v_lshlrev_b32_e32 v24, 3, v24
	v_add_lshl_u32 v47, v24, v34, 2
	ds_bpermute_b32 v24, v47, v21
	v_cmp_le_u32_e32 vcc, v48, v17
	s_waitcnt lgkmcnt(0)
	s_nop 0
	;; [unrolled: 11-line block ×4, first 2 shown]
	v_cndmask_b32_e32 v17, 0, v24, vcc
	v_add_u32_e32 v24, v21, v17
	v_mov_b32_e32 v21, 0
	s_branch .LBB2021_54
.LBB2021_53:                            ;   in Loop: Header=BB2021_54 Depth=1
	s_or_b64 exec, exec, s[40:41]
	v_cmp_eq_u16_sdwa s[40:41], v25, v40 src0_sel:BYTE_0 src1_sel:DWORD
	ds_bpermute_b32 v53, v42, v24
	v_subrev_u32_e32 v20, 64, v20
	v_and_b32_e32 v26, s41, v23
	v_or_b32_e32 v26, 0x80000000, v26
	v_and_b32_e32 v27, s40, v22
	v_ffbl_b32_e32 v26, v26
	v_add_u32_e32 v26, 32, v26
	v_ffbl_b32_e32 v27, v27
	v_min_u32_e32 v26, v27, v26
	v_cmp_lt_u32_e32 vcc, v41, v26
	s_waitcnt lgkmcnt(0)
	s_nop 0
	v_cndmask_b32_e32 v27, 0, v53, vcc
	v_add_u32_e32 v24, v27, v24
	ds_bpermute_b32 v27, v43, v24
	v_cmp_le_u32_e32 vcc, v44, v26
	s_waitcnt lgkmcnt(0)
	s_nop 0
	v_cndmask_b32_e32 v27, 0, v27, vcc
	v_add_u32_e32 v24, v24, v27
	ds_bpermute_b32 v27, v45, v24
	v_cmp_le_u32_e32 vcc, v46, v26
	;; [unrolled: 6-line block ×5, first 2 shown]
	s_waitcnt lgkmcnt(0)
	s_nop 0
	v_cndmask_b32_e32 v26, 0, v27, vcc
	v_add3_u32 v24, v26, v17, v24
.LBB2021_54:                            ; =>This Loop Header: Depth=1
                                        ;     Child Loop BB2021_57 Depth 2
                                        ;       Child Loop BB2021_58 Depth 3
	v_cmp_ne_u16_sdwa s[40:41], v25, v40 src0_sel:BYTE_0 src1_sel:DWORD
	s_nop 1
	v_cndmask_b32_e64 v17, 0, 1, s[40:41]
	;;#ASMSTART
	;;#ASMEND
	s_nop 0
	v_cmp_ne_u32_e32 vcc, 0, v17
	s_cmp_lg_u64 vcc, exec
	v_mov_b32_e32 v17, v24
	s_cbranch_scc1 .LBB2021_61
; %bb.55:                               ;   in Loop: Header=BB2021_54 Depth=1
	v_lshl_add_u64 v[26:27], v[20:21], 3, s[36:37]
	global_load_dwordx2 v[24:25], v[26:27], off sc1
	s_waitcnt vmcnt(0)
	v_cmp_eq_u16_sdwa s[42:43], v25, v21 src0_sel:BYTE_0 src1_sel:DWORD
	s_and_saveexec_b64 s[40:41], s[42:43]
	s_cbranch_execz .LBB2021_53
; %bb.56:                               ;   in Loop: Header=BB2021_54 Depth=1
	s_mov_b32 s3, 1
	s_mov_b64 s[42:43], 0
.LBB2021_57:                            ;   Parent Loop BB2021_54 Depth=1
                                        ; =>  This Loop Header: Depth=2
                                        ;       Child Loop BB2021_58 Depth 3
	s_max_u32 s25, s3, 1
.LBB2021_58:                            ;   Parent Loop BB2021_54 Depth=1
                                        ;     Parent Loop BB2021_57 Depth=2
                                        ; =>    This Inner Loop Header: Depth=3
	s_add_i32 s25, s25, -1
	s_cmp_eq_u32 s25, 0
	s_sleep 1
	s_cbranch_scc0 .LBB2021_58
; %bb.59:                               ;   in Loop: Header=BB2021_57 Depth=2
	global_load_dwordx2 v[24:25], v[26:27], off sc1
	s_cmp_lt_u32 s3, 32
	s_cselect_b64 s[44:45], -1, 0
	s_cmp_lg_u64 s[44:45], 0
	s_addc_u32 s3, s3, 0
	s_waitcnt vmcnt(0)
	v_cmp_ne_u16_sdwa s[44:45], v25, v21 src0_sel:BYTE_0 src1_sel:DWORD
	s_or_b64 s[42:43], s[44:45], s[42:43]
	s_andn2_b64 exec, exec, s[42:43]
	s_cbranch_execnz .LBB2021_57
; %bb.60:                               ;   in Loop: Header=BB2021_54 Depth=1
	s_or_b64 exec, exec, s[42:43]
	s_branch .LBB2021_53
.LBB2021_61:                            ;   in Loop: Header=BB2021_54 Depth=1
                                        ; implicit-def: $vgpr24
                                        ; implicit-def: $vgpr25
	s_cbranch_execz .LBB2021_54
; %bb.62:
	s_and_saveexec_b64 s[40:41], s[16:17]
	s_cbranch_execz .LBB2021_64
; %bb.63:
	s_add_i32 s2, s2, 64
	s_mov_b32 s3, 0
	s_lshl_b64 s[2:3], s[2:3], 3
	s_add_u32 s2, s36, s2
	v_add_u32_e32 v20, v17, v16
	v_mov_b32_e32 v21, 2
	s_addc_u32 s3, s37, s3
	v_mov_b32_e32 v22, 0
	global_store_dwordx2 v22, v[20:21], s[2:3] sc1
	ds_write_b64 v22, v[16:17] offset:28672
.LBB2021_64:
	s_or_b64 exec, exec, s[40:41]
	v_cmp_eq_u32_e32 vcc, 0, v0
	s_and_b64 exec, exec, vcc
	s_cbranch_execz .LBB2021_66
; %bb.65:
	v_mov_b32_e32 v16, 0
	ds_write_b32 v16, v17 offset:28
.LBB2021_66:
	s_or_b64 exec, exec, s[38:39]
	v_mov_b32_e32 v16, 0
	s_waitcnt lgkmcnt(0)
	s_barrier
	ds_read_b32 v17, v16 offset:28
	v_cndmask_b32_e64 v20, v39, v38, s[16:17]
	v_cmp_ne_u32_e32 vcc, 0, v0
	s_waitcnt lgkmcnt(0)
	s_barrier
	v_cndmask_b32_e32 v20, 0, v20, vcc
	v_add_u32_e32 v27, v17, v20
	v_add_u32_e32 v26, v27, v33
	ds_read_b64 v[16:17], v16 offset:28672
	v_add_u32_e32 v25, v26, v32
	v_add_u32_e32 v23, v25, v31
	v_add_u32_e32 v24, v23, v30
	v_add_u32_e32 v21, v24, v29
	v_add_u32_e32 v20, v21, v28
	s_waitcnt lgkmcnt(0)
	v_mov_b32_e32 v22, v17
	s_load_dwordx2 s[2:3], s[0:1], 0x30
	s_branch .LBB2021_77
.LBB2021_67:
                                        ; implicit-def: $vgpr22
                                        ; implicit-def: $vgpr16
                                        ; implicit-def: $vgpr20
                                        ; implicit-def: $vgpr21
                                        ; implicit-def: $vgpr24
                                        ; implicit-def: $vgpr23
                                        ; implicit-def: $vgpr25
                                        ; implicit-def: $vgpr26
                                        ; implicit-def: $vgpr27
	s_load_dwordx2 s[2:3], s[0:1], 0x30
	s_cbranch_execz .LBB2021_77
; %bb.68:
	v_mov_b32_dpp v16, v37 row_shr:1 row_mask:0xf bank_mask:0xf
	v_cndmask_b32_e64 v16, v16, 0, s[14:15]
	v_add_u32_e32 v16, v16, v37
	s_nop 1
	v_mov_b32_dpp v17, v16 row_shr:2 row_mask:0xf bank_mask:0xf
	v_cndmask_b32_e64 v17, 0, v17, s[12:13]
	v_add_u32_e32 v16, v16, v17
	s_nop 1
	;; [unrolled: 4-line block ×4, first 2 shown]
	v_mov_b32_dpp v17, v16 row_bcast:15 row_mask:0xf bank_mask:0xf
	v_cndmask_b32_e64 v17, v17, 0, s[6:7]
	v_add_u32_e32 v16, v16, v17
	s_nop 1
	v_mov_b32_dpp v17, v16 row_bcast:31 row_mask:0xf bank_mask:0xf
	v_cndmask_b32_e64 v17, 0, v17, s[18:19]
	v_add_u32_e32 v16, v16, v17
	s_and_saveexec_b64 s[0:1], s[4:5]
	s_cbranch_execz .LBB2021_70
; %bb.69:
	v_lshlrev_b32_e32 v17, 2, v36
	ds_write_b32 v17, v16
.LBB2021_70:
	s_or_b64 exec, exec, s[0:1]
	v_cmp_gt_u32_e32 vcc, 8, v0
	s_waitcnt lgkmcnt(0)
	s_barrier
	s_and_saveexec_b64 s[0:1], vcc
	s_cbranch_execz .LBB2021_72
; %bb.71:
	v_mad_i32_i24 v17, v0, -3, v35
	ds_read_b32 v20, v17
	v_and_b32_e32 v21, 7, v34
	v_cmp_ne_u32_e32 vcc, 0, v21
	s_waitcnt lgkmcnt(0)
	v_mov_b32_dpp v22, v20 row_shr:1 row_mask:0xf bank_mask:0xf
	v_cndmask_b32_e32 v22, 0, v22, vcc
	v_add_u32_e32 v20, v22, v20
	v_cmp_lt_u32_e32 vcc, 1, v21
	s_nop 0
	v_mov_b32_dpp v22, v20 row_shr:2 row_mask:0xf bank_mask:0xf
	v_cndmask_b32_e32 v22, 0, v22, vcc
	v_add_u32_e32 v20, v20, v22
	v_cmp_lt_u32_e32 vcc, 3, v21
	s_nop 0
	v_mov_b32_dpp v22, v20 row_shr:4 row_mask:0xf bank_mask:0xf
	v_cndmask_b32_e32 v21, 0, v22, vcc
	v_add_u32_e32 v20, v20, v21
	ds_write_b32 v17, v20
.LBB2021_72:
	s_or_b64 exec, exec, s[0:1]
	v_cmp_lt_u32_e32 vcc, 63, v0
	v_mov_b32_e32 v17, 0
	v_mov_b32_e32 v20, 0
	s_waitcnt lgkmcnt(0)
	s_barrier
	s_and_saveexec_b64 s[0:1], vcc
	s_cbranch_execz .LBB2021_74
; %bb.73:
	v_lshl_add_u32 v20, v36, 2, -4
	ds_read_b32 v20, v20
.LBB2021_74:
	s_or_b64 exec, exec, s[0:1]
	v_add_u32_e32 v21, -1, v34
	v_and_b32_e32 v22, 64, v34
	v_cmp_lt_i32_e32 vcc, v21, v22
	s_waitcnt lgkmcnt(0)
	v_add_u32_e32 v16, v20, v16
	v_cndmask_b32_e32 v21, v21, v34, vcc
	v_lshlrev_b32_e32 v21, 2, v21
	ds_bpermute_b32 v21, v21, v16
	ds_read_b32 v16, v17 offset:28
	v_cmp_eq_u32_e32 vcc, 0, v0
	s_and_saveexec_b64 s[0:1], vcc
	s_cbranch_execz .LBB2021_76
; %bb.75:
	v_mov_b32_e32 v22, 0
	v_mov_b32_e32 v17, 2
	s_waitcnt lgkmcnt(0)
	global_store_dwordx2 v22, v[16:17], s[36:37] offset:512 sc1
.LBB2021_76:
	s_or_b64 exec, exec, s[0:1]
	v_cmp_eq_u32_e64 s[0:1], 0, v34
	v_mov_b32_e32 v22, 0
	s_waitcnt lgkmcnt(0)
	v_cndmask_b32_e64 v17, v21, v20, s[0:1]
	v_cndmask_b32_e64 v27, v17, 0, vcc
	v_add_u32_e32 v26, v27, v33
	v_add_u32_e32 v25, v26, v32
	v_add_u32_e32 v23, v25, v31
	v_add_u32_e32 v24, v23, v30
	v_add_u32_e32 v21, v24, v29
	v_add_u32_e32 v20, v21, v28
	s_barrier
.LBB2021_77:
	v_add_u32_e32 v1, v16, v1
	v_sub_u32_e32 v17, v27, v22
	v_sub_u32_e32 v27, v1, v17
	v_cmp_eq_u32_e32 vcc, 1, v33
	s_add_u32 s0, s26, s24
	s_addc_u32 s1, s27, 0
	v_cndmask_b32_e32 v17, v27, v17, vcc
	v_lshlrev_b32_e32 v17, 3, v17
	ds_write_b64 v17, v[10:11]
	v_sub_u32_e32 v10, v26, v22
	v_sub_u32_e32 v11, v1, v10
	v_add_u32_e32 v11, 1, v11
	v_cmp_eq_u32_e32 vcc, 1, v32
	s_sub_u32 s0, s28, s0
	s_subb_u32 s1, s29, s1
	v_cndmask_b32_e32 v10, v11, v10, vcc
	v_lshlrev_b32_e32 v10, 3, v10
	ds_write_b64 v10, v[12:13]
	v_sub_u32_e32 v10, v25, v22
	v_sub_u32_e32 v11, v1, v10
	v_add_u32_e32 v11, 2, v11
	v_cmp_eq_u32_e32 vcc, 1, v31
	v_or_b32_e32 v32, 0x200, v0
	v_or_b32_e32 v26, 0x800, v0
	v_cndmask_b32_e32 v10, v11, v10, vcc
	v_lshlrev_b32_e32 v10, 3, v10
	ds_write_b64 v10, v[6:7]
	v_sub_u32_e32 v6, v23, v22
	v_sub_u32_e32 v7, v1, v6
	v_add_u32_e32 v7, 3, v7
	v_cmp_eq_u32_e32 vcc, 1, v30
	v_or_b32_e32 v30, 0x400, v0
	s_nop 0
	v_cndmask_b32_e32 v6, v7, v6, vcc
	v_lshlrev_b32_e32 v6, 3, v6
	ds_write_b64 v6, v[8:9]
	v_sub_u32_e32 v6, v24, v22
	v_sub_u32_e32 v7, v1, v6
	v_add_u32_e32 v7, 4, v7
	v_cmp_eq_u32_e32 vcc, 1, v29
	v_or_b32_e32 v24, 0xa00, v0
	s_nop 0
	;; [unrolled: 9-line block ×4, first 2 shown]
	v_cndmask_b32_e32 v1, v1, v2, vcc
	v_lshlrev_b32_e32 v1, 3, v1
	ds_write_b64 v1, v[14:15]
	s_waitcnt lgkmcnt(0)
	s_barrier
	ds_read2st64_b64 v[10:13], v18 offset1:8
	ds_read2st64_b64 v[6:9], v18 offset0:16 offset1:24
	ds_read2st64_b64 v[2:5], v18 offset0:32 offset1:40
	ds_read_b64 v[18:19], v18 offset:24576
	v_mov_b32_e32 v1, 0
	v_mov_b32_e32 v23, v1
	;; [unrolled: 1-line block ×3, first 2 shown]
	v_lshl_add_u64 v[14:15], s[30:31], 0, v[22:23]
	v_lshl_add_u64 v[22:23], s[0:1], 0, v[16:17]
	v_mov_b32_e32 v33, v1
	v_mov_b32_e32 v31, v1
	;; [unrolled: 1-line block ×6, first 2 shown]
	s_andn2_b64 vcc, exec, s[34:35]
	v_lshl_add_u64 v[22:23], v[22:23], 0, v[14:15]
	s_cbranch_vccnz .LBB2021_107
; %bb.78:
	v_cmp_ge_u32_e32 vcc, v0, v16
                                        ; implicit-def: $vgpr34_vgpr35
	s_and_saveexec_b64 s[0:1], vcc
	s_xor_b64 s[0:1], exec, s[0:1]
; %bb.79:
	v_not_b32_e32 v34, v0
	v_ashrrev_i32_e32 v35, 31, v34
	v_lshl_add_u64 v[34:35], v[22:23], 0, v[34:35]
; %bb.80:
	s_andn2_saveexec_b64 s[0:1], s[0:1]
; %bb.81:
	v_lshl_add_u64 v[34:35], v[14:15], 0, v[0:1]
; %bb.82:
	s_or_b64 exec, exec, s[0:1]
	v_lshl_add_u64 v[34:35], v[34:35], 3, s[2:3]
	v_cmp_ge_u32_e32 vcc, v32, v16
	s_waitcnt lgkmcnt(3)
	global_store_dwordx2 v[34:35], v[10:11], off
                                        ; implicit-def: $vgpr34_vgpr35
	s_and_saveexec_b64 s[0:1], vcc
	s_xor_b64 s[0:1], exec, s[0:1]
; %bb.83:
	v_xor_b32_e32 v34, 0xfffffdff, v0
	v_ashrrev_i32_e32 v35, 31, v34
	v_lshl_add_u64 v[34:35], v[22:23], 0, v[34:35]
; %bb.84:
	s_andn2_saveexec_b64 s[0:1], s[0:1]
; %bb.85:
	v_lshl_add_u64 v[34:35], v[14:15], 0, v[32:33]
; %bb.86:
	s_or_b64 exec, exec, s[0:1]
	v_lshl_add_u64 v[34:35], v[34:35], 3, s[2:3]
	v_cmp_ge_u32_e32 vcc, v30, v16
	global_store_dwordx2 v[34:35], v[12:13], off
                                        ; implicit-def: $vgpr34_vgpr35
	s_and_saveexec_b64 s[0:1], vcc
	s_xor_b64 s[0:1], exec, s[0:1]
; %bb.87:
	v_xor_b32_e32 v34, 0xfffffbff, v0
	v_ashrrev_i32_e32 v35, 31, v34
	v_lshl_add_u64 v[34:35], v[22:23], 0, v[34:35]
; %bb.88:
	s_andn2_saveexec_b64 s[0:1], s[0:1]
; %bb.89:
	v_lshl_add_u64 v[34:35], v[14:15], 0, v[30:31]
; %bb.90:
	s_or_b64 exec, exec, s[0:1]
	v_lshl_add_u64 v[34:35], v[34:35], 3, s[2:3]
	v_cmp_ge_u32_e32 vcc, v28, v16
	s_waitcnt lgkmcnt(2)
	global_store_dwordx2 v[34:35], v[6:7], off
                                        ; implicit-def: $vgpr34_vgpr35
	s_and_saveexec_b64 s[0:1], vcc
	s_xor_b64 s[0:1], exec, s[0:1]
; %bb.91:
	v_xor_b32_e32 v34, 0xfffff9ff, v0
	v_ashrrev_i32_e32 v35, 31, v34
	v_lshl_add_u64 v[34:35], v[22:23], 0, v[34:35]
; %bb.92:
	s_andn2_saveexec_b64 s[0:1], s[0:1]
; %bb.93:
	v_lshl_add_u64 v[34:35], v[14:15], 0, v[28:29]
; %bb.94:
	s_or_b64 exec, exec, s[0:1]
	v_lshl_add_u64 v[34:35], v[34:35], 3, s[2:3]
	v_cmp_ge_u32_e32 vcc, v26, v16
	global_store_dwordx2 v[34:35], v[8:9], off
                                        ; implicit-def: $vgpr34_vgpr35
	s_and_saveexec_b64 s[0:1], vcc
	s_xor_b64 s[0:1], exec, s[0:1]
; %bb.95:
	v_xor_b32_e32 v34, 0xfffff7ff, v0
	;; [unrolled: 33-line block ×3, first 2 shown]
	v_ashrrev_i32_e32 v35, 31, v34
	v_lshl_add_u64 v[34:35], v[22:23], 0, v[34:35]
; %bb.104:
	s_andn2_saveexec_b64 s[0:1], s[0:1]
; %bb.105:
	v_lshl_add_u64 v[34:35], v[14:15], 0, v[20:21]
; %bb.106:
	s_or_b64 exec, exec, s[0:1]
	s_mov_b64 s[0:1], -1
	s_branch .LBB2021_151
.LBB2021_107:
	s_mov_b64 s[0:1], 0
                                        ; implicit-def: $vgpr34_vgpr35
	s_cbranch_execz .LBB2021_151
; %bb.108:
	v_cmp_gt_u32_e32 vcc, s33, v0
	s_and_saveexec_b64 s[4:5], vcc
	s_cbranch_execz .LBB2021_126
; %bb.109:
	v_cmp_ge_u32_e32 vcc, v0, v16
                                        ; implicit-def: $vgpr34_vgpr35
	s_and_saveexec_b64 s[6:7], vcc
	s_xor_b64 s[6:7], exec, s[6:7]
; %bb.110:
	v_not_b32_e32 v34, v0
	v_ashrrev_i32_e32 v35, 31, v34
	v_lshl_add_u64 v[34:35], v[22:23], 0, v[34:35]
; %bb.111:
	s_andn2_saveexec_b64 s[6:7], s[6:7]
; %bb.112:
	v_lshl_add_u64 v[34:35], v[14:15], 0, v[0:1]
; %bb.113:
	s_or_b64 exec, exec, s[6:7]
	v_lshl_add_u64 v[34:35], v[34:35], 3, s[2:3]
	s_waitcnt lgkmcnt(3)
	global_store_dwordx2 v[34:35], v[10:11], off
	s_or_b64 exec, exec, s[4:5]
	v_cmp_gt_u32_e32 vcc, s33, v32
	s_and_saveexec_b64 s[4:5], vcc
	s_cbranch_execnz .LBB2021_127
.LBB2021_114:
	s_or_b64 exec, exec, s[4:5]
	v_cmp_gt_u32_e32 vcc, s33, v30
	s_and_saveexec_b64 s[4:5], vcc
	s_cbranch_execz .LBB2021_132
.LBB2021_115:
	v_cmp_ge_u32_e32 vcc, v30, v16
                                        ; implicit-def: $vgpr10_vgpr11
	s_and_saveexec_b64 s[6:7], vcc
	s_xor_b64 s[6:7], exec, s[6:7]
	s_cbranch_execz .LBB2021_117
; %bb.116:
	s_waitcnt lgkmcnt(3)
	v_xor_b32_e32 v10, 0xfffffbff, v0
	v_ashrrev_i32_e32 v11, 31, v10
	v_lshl_add_u64 v[10:11], v[22:23], 0, v[10:11]
                                        ; implicit-def: $vgpr30_vgpr31
.LBB2021_117:
	s_andn2_saveexec_b64 s[6:7], s[6:7]
	s_cbranch_execz .LBB2021_119
; %bb.118:
	s_waitcnt lgkmcnt(3)
	v_lshl_add_u64 v[10:11], v[14:15], 0, v[30:31]
.LBB2021_119:
	s_or_b64 exec, exec, s[6:7]
	s_waitcnt lgkmcnt(3)
	v_lshl_add_u64 v[10:11], v[10:11], 3, s[2:3]
	s_waitcnt lgkmcnt(2)
	global_store_dwordx2 v[10:11], v[6:7], off
	s_or_b64 exec, exec, s[4:5]
	v_cmp_gt_u32_e32 vcc, s33, v28
	s_and_saveexec_b64 s[4:5], vcc
	s_cbranch_execnz .LBB2021_133
.LBB2021_120:
	s_or_b64 exec, exec, s[4:5]
	v_cmp_gt_u32_e32 vcc, s33, v26
	s_and_saveexec_b64 s[4:5], vcc
	s_cbranch_execz .LBB2021_138
.LBB2021_121:
	v_cmp_ge_u32_e32 vcc, v26, v16
                                        ; implicit-def: $vgpr6_vgpr7
	s_and_saveexec_b64 s[6:7], vcc
	s_xor_b64 s[6:7], exec, s[6:7]
	s_cbranch_execz .LBB2021_123
; %bb.122:
	s_waitcnt lgkmcnt(2)
	v_xor_b32_e32 v6, 0xfffff7ff, v0
	v_ashrrev_i32_e32 v7, 31, v6
	v_lshl_add_u64 v[6:7], v[22:23], 0, v[6:7]
                                        ; implicit-def: $vgpr26_vgpr27
.LBB2021_123:
	s_andn2_saveexec_b64 s[6:7], s[6:7]
	s_cbranch_execz .LBB2021_125
; %bb.124:
	s_waitcnt lgkmcnt(2)
	v_lshl_add_u64 v[6:7], v[14:15], 0, v[26:27]
.LBB2021_125:
	s_or_b64 exec, exec, s[6:7]
	s_waitcnt lgkmcnt(2)
	v_lshl_add_u64 v[6:7], v[6:7], 3, s[2:3]
	s_waitcnt lgkmcnt(1)
	global_store_dwordx2 v[6:7], v[2:3], off
	s_or_b64 exec, exec, s[4:5]
	v_cmp_gt_u32_e32 vcc, s33, v24
	s_and_saveexec_b64 s[4:5], vcc
	s_cbranch_execz .LBB2021_144
	s_branch .LBB2021_139
.LBB2021_126:
	s_or_b64 exec, exec, s[4:5]
	v_cmp_gt_u32_e32 vcc, s33, v32
	s_and_saveexec_b64 s[4:5], vcc
	s_cbranch_execz .LBB2021_114
.LBB2021_127:
	v_cmp_ge_u32_e32 vcc, v32, v16
                                        ; implicit-def: $vgpr10_vgpr11
	s_and_saveexec_b64 s[6:7], vcc
	s_xor_b64 s[6:7], exec, s[6:7]
	s_cbranch_execz .LBB2021_129
; %bb.128:
	s_waitcnt lgkmcnt(3)
	v_xor_b32_e32 v10, 0xfffffdff, v0
	v_ashrrev_i32_e32 v11, 31, v10
	v_lshl_add_u64 v[10:11], v[22:23], 0, v[10:11]
                                        ; implicit-def: $vgpr32_vgpr33
.LBB2021_129:
	s_andn2_saveexec_b64 s[6:7], s[6:7]
	s_cbranch_execz .LBB2021_131
; %bb.130:
	s_waitcnt lgkmcnt(3)
	v_lshl_add_u64 v[10:11], v[14:15], 0, v[32:33]
.LBB2021_131:
	s_or_b64 exec, exec, s[6:7]
	s_waitcnt lgkmcnt(3)
	v_lshl_add_u64 v[10:11], v[10:11], 3, s[2:3]
	global_store_dwordx2 v[10:11], v[12:13], off
	s_or_b64 exec, exec, s[4:5]
	v_cmp_gt_u32_e32 vcc, s33, v30
	s_and_saveexec_b64 s[4:5], vcc
	s_cbranch_execnz .LBB2021_115
.LBB2021_132:
	s_or_b64 exec, exec, s[4:5]
	v_cmp_gt_u32_e32 vcc, s33, v28
	s_and_saveexec_b64 s[4:5], vcc
	s_cbranch_execz .LBB2021_120
.LBB2021_133:
	v_cmp_ge_u32_e32 vcc, v28, v16
                                        ; implicit-def: $vgpr6_vgpr7
	s_and_saveexec_b64 s[6:7], vcc
	s_xor_b64 s[6:7], exec, s[6:7]
	s_cbranch_execz .LBB2021_135
; %bb.134:
	s_waitcnt lgkmcnt(2)
	v_xor_b32_e32 v6, 0xfffff9ff, v0
	v_ashrrev_i32_e32 v7, 31, v6
	v_lshl_add_u64 v[6:7], v[22:23], 0, v[6:7]
                                        ; implicit-def: $vgpr28_vgpr29
.LBB2021_135:
	s_andn2_saveexec_b64 s[6:7], s[6:7]
	s_cbranch_execz .LBB2021_137
; %bb.136:
	s_waitcnt lgkmcnt(2)
	v_lshl_add_u64 v[6:7], v[14:15], 0, v[28:29]
.LBB2021_137:
	s_or_b64 exec, exec, s[6:7]
	s_waitcnt lgkmcnt(2)
	v_lshl_add_u64 v[6:7], v[6:7], 3, s[2:3]
	global_store_dwordx2 v[6:7], v[8:9], off
	s_or_b64 exec, exec, s[4:5]
	v_cmp_gt_u32_e32 vcc, s33, v26
	s_and_saveexec_b64 s[4:5], vcc
	s_cbranch_execnz .LBB2021_121
.LBB2021_138:
	s_or_b64 exec, exec, s[4:5]
	v_cmp_gt_u32_e32 vcc, s33, v24
	s_and_saveexec_b64 s[4:5], vcc
	s_cbranch_execz .LBB2021_144
.LBB2021_139:
	v_cmp_ge_u32_e32 vcc, v24, v16
                                        ; implicit-def: $vgpr2_vgpr3
	s_and_saveexec_b64 s[6:7], vcc
	s_xor_b64 s[6:7], exec, s[6:7]
	s_cbranch_execz .LBB2021_141
; %bb.140:
	s_waitcnt lgkmcnt(1)
	v_xor_b32_e32 v2, 0xfffff5ff, v0
	v_ashrrev_i32_e32 v3, 31, v2
	v_lshl_add_u64 v[2:3], v[22:23], 0, v[2:3]
                                        ; implicit-def: $vgpr24_vgpr25
.LBB2021_141:
	s_andn2_saveexec_b64 s[6:7], s[6:7]
	s_cbranch_execz .LBB2021_143
; %bb.142:
	s_waitcnt lgkmcnt(1)
	v_lshl_add_u64 v[2:3], v[14:15], 0, v[24:25]
.LBB2021_143:
	s_or_b64 exec, exec, s[6:7]
	s_waitcnt lgkmcnt(1)
	v_lshl_add_u64 v[2:3], v[2:3], 3, s[2:3]
	global_store_dwordx2 v[2:3], v[4:5], off
.LBB2021_144:
	s_or_b64 exec, exec, s[4:5]
	v_cmp_gt_u32_e32 vcc, s33, v20
                                        ; implicit-def: $vgpr34_vgpr35
	s_and_saveexec_b64 s[4:5], vcc
	s_cbranch_execz .LBB2021_150
; %bb.145:
	v_cmp_ge_u32_e32 vcc, v20, v16
                                        ; implicit-def: $vgpr34_vgpr35
	s_and_saveexec_b64 s[6:7], vcc
	s_xor_b64 s[6:7], exec, s[6:7]
	s_cbranch_execz .LBB2021_147
; %bb.146:
	s_waitcnt lgkmcnt(1)
	v_xor_b32_e32 v2, 0xfffff3ff, v0
	v_ashrrev_i32_e32 v3, 31, v2
	v_lshl_add_u64 v[34:35], v[22:23], 0, v[2:3]
                                        ; implicit-def: $vgpr20_vgpr21
.LBB2021_147:
	s_andn2_saveexec_b64 s[6:7], s[6:7]
; %bb.148:
	v_lshl_add_u64 v[34:35], v[14:15], 0, v[20:21]
; %bb.149:
	s_or_b64 exec, exec, s[6:7]
	s_or_b64 s[0:1], s[0:1], exec
.LBB2021_150:
	s_or_b64 exec, exec, s[4:5]
.LBB2021_151:
	s_and_saveexec_b64 s[4:5], s[0:1]
	s_cbranch_execz .LBB2021_153
; %bb.152:
	s_waitcnt lgkmcnt(1)
	v_lshl_add_u64 v[2:3], v[34:35], 3, s[2:3]
	s_waitcnt lgkmcnt(0)
	global_store_dwordx2 v[2:3], v[18:19], off
.LBB2021_153:
	s_or_b64 exec, exec, s[4:5]
	v_cmp_eq_u32_e32 vcc, 0, v0
	s_and_b64 s[0:1], vcc, s[22:23]
	s_and_saveexec_b64 s[2:3], s[0:1]
	s_cbranch_execz .LBB2021_155
; %bb.154:
	s_waitcnt lgkmcnt(1)
	v_mov_b32_e32 v2, 0
	v_lshl_add_u64 v[0:1], v[14:15], 0, v[16:17]
	global_store_dwordx2 v2, v[0:1], s[20:21]
.LBB2021_155:
	s_endpgm
	.section	.rodata,"a",@progbits
	.p2align	6, 0x0
	.amdhsa_kernel _ZN7rocprim17ROCPRIM_400000_NS6detail17trampoline_kernelINS0_14default_configENS1_25partition_config_selectorILNS1_17partition_subalgoE2EyNS0_10empty_typeEbEEZZNS1_14partition_implILS5_2ELb0ES3_jN6thrust23THRUST_200600_302600_NS6detail15normal_iteratorINSA_7pointerIyNSA_11hip_rocprim3tagENSA_11use_defaultESG_EEEEPS6_NSA_18transform_iteratorI7is_evenIyENSC_INSA_10device_ptrIyEEEESG_SG_EENS0_5tupleIJPySJ_EEENSR_IJSJ_SJ_EEES6_PlJS6_EEE10hipError_tPvRmT3_T4_T5_T6_T7_T9_mT8_P12ihipStream_tbDpT10_ENKUlT_T0_E_clISt17integral_constantIbLb1EES1E_IbLb0EEEEDaS1A_S1B_EUlS1A_E_NS1_11comp_targetILNS1_3genE5ELNS1_11target_archE942ELNS1_3gpuE9ELNS1_3repE0EEENS1_30default_config_static_selectorELNS0_4arch9wavefront6targetE1EEEvT1_
		.amdhsa_group_segment_fixed_size 28680
		.amdhsa_private_segment_fixed_size 0
		.amdhsa_kernarg_size 128
		.amdhsa_user_sgpr_count 2
		.amdhsa_user_sgpr_dispatch_ptr 0
		.amdhsa_user_sgpr_queue_ptr 0
		.amdhsa_user_sgpr_kernarg_segment_ptr 1
		.amdhsa_user_sgpr_dispatch_id 0
		.amdhsa_user_sgpr_kernarg_preload_length 0
		.amdhsa_user_sgpr_kernarg_preload_offset 0
		.amdhsa_user_sgpr_private_segment_size 0
		.amdhsa_uses_dynamic_stack 0
		.amdhsa_enable_private_segment 0
		.amdhsa_system_sgpr_workgroup_id_x 1
		.amdhsa_system_sgpr_workgroup_id_y 0
		.amdhsa_system_sgpr_workgroup_id_z 0
		.amdhsa_system_sgpr_workgroup_info 0
		.amdhsa_system_vgpr_workitem_id 0
		.amdhsa_next_free_vgpr 54
		.amdhsa_next_free_sgpr 46
		.amdhsa_accum_offset 56
		.amdhsa_reserve_vcc 1
		.amdhsa_float_round_mode_32 0
		.amdhsa_float_round_mode_16_64 0
		.amdhsa_float_denorm_mode_32 3
		.amdhsa_float_denorm_mode_16_64 3
		.amdhsa_dx10_clamp 1
		.amdhsa_ieee_mode 1
		.amdhsa_fp16_overflow 0
		.amdhsa_tg_split 0
		.amdhsa_exception_fp_ieee_invalid_op 0
		.amdhsa_exception_fp_denorm_src 0
		.amdhsa_exception_fp_ieee_div_zero 0
		.amdhsa_exception_fp_ieee_overflow 0
		.amdhsa_exception_fp_ieee_underflow 0
		.amdhsa_exception_fp_ieee_inexact 0
		.amdhsa_exception_int_div_zero 0
	.end_amdhsa_kernel
	.section	.text._ZN7rocprim17ROCPRIM_400000_NS6detail17trampoline_kernelINS0_14default_configENS1_25partition_config_selectorILNS1_17partition_subalgoE2EyNS0_10empty_typeEbEEZZNS1_14partition_implILS5_2ELb0ES3_jN6thrust23THRUST_200600_302600_NS6detail15normal_iteratorINSA_7pointerIyNSA_11hip_rocprim3tagENSA_11use_defaultESG_EEEEPS6_NSA_18transform_iteratorI7is_evenIyENSC_INSA_10device_ptrIyEEEESG_SG_EENS0_5tupleIJPySJ_EEENSR_IJSJ_SJ_EEES6_PlJS6_EEE10hipError_tPvRmT3_T4_T5_T6_T7_T9_mT8_P12ihipStream_tbDpT10_ENKUlT_T0_E_clISt17integral_constantIbLb1EES1E_IbLb0EEEEDaS1A_S1B_EUlS1A_E_NS1_11comp_targetILNS1_3genE5ELNS1_11target_archE942ELNS1_3gpuE9ELNS1_3repE0EEENS1_30default_config_static_selectorELNS0_4arch9wavefront6targetE1EEEvT1_,"axG",@progbits,_ZN7rocprim17ROCPRIM_400000_NS6detail17trampoline_kernelINS0_14default_configENS1_25partition_config_selectorILNS1_17partition_subalgoE2EyNS0_10empty_typeEbEEZZNS1_14partition_implILS5_2ELb0ES3_jN6thrust23THRUST_200600_302600_NS6detail15normal_iteratorINSA_7pointerIyNSA_11hip_rocprim3tagENSA_11use_defaultESG_EEEEPS6_NSA_18transform_iteratorI7is_evenIyENSC_INSA_10device_ptrIyEEEESG_SG_EENS0_5tupleIJPySJ_EEENSR_IJSJ_SJ_EEES6_PlJS6_EEE10hipError_tPvRmT3_T4_T5_T6_T7_T9_mT8_P12ihipStream_tbDpT10_ENKUlT_T0_E_clISt17integral_constantIbLb1EES1E_IbLb0EEEEDaS1A_S1B_EUlS1A_E_NS1_11comp_targetILNS1_3genE5ELNS1_11target_archE942ELNS1_3gpuE9ELNS1_3repE0EEENS1_30default_config_static_selectorELNS0_4arch9wavefront6targetE1EEEvT1_,comdat
.Lfunc_end2021:
	.size	_ZN7rocprim17ROCPRIM_400000_NS6detail17trampoline_kernelINS0_14default_configENS1_25partition_config_selectorILNS1_17partition_subalgoE2EyNS0_10empty_typeEbEEZZNS1_14partition_implILS5_2ELb0ES3_jN6thrust23THRUST_200600_302600_NS6detail15normal_iteratorINSA_7pointerIyNSA_11hip_rocprim3tagENSA_11use_defaultESG_EEEEPS6_NSA_18transform_iteratorI7is_evenIyENSC_INSA_10device_ptrIyEEEESG_SG_EENS0_5tupleIJPySJ_EEENSR_IJSJ_SJ_EEES6_PlJS6_EEE10hipError_tPvRmT3_T4_T5_T6_T7_T9_mT8_P12ihipStream_tbDpT10_ENKUlT_T0_E_clISt17integral_constantIbLb1EES1E_IbLb0EEEEDaS1A_S1B_EUlS1A_E_NS1_11comp_targetILNS1_3genE5ELNS1_11target_archE942ELNS1_3gpuE9ELNS1_3repE0EEENS1_30default_config_static_selectorELNS0_4arch9wavefront6targetE1EEEvT1_, .Lfunc_end2021-_ZN7rocprim17ROCPRIM_400000_NS6detail17trampoline_kernelINS0_14default_configENS1_25partition_config_selectorILNS1_17partition_subalgoE2EyNS0_10empty_typeEbEEZZNS1_14partition_implILS5_2ELb0ES3_jN6thrust23THRUST_200600_302600_NS6detail15normal_iteratorINSA_7pointerIyNSA_11hip_rocprim3tagENSA_11use_defaultESG_EEEEPS6_NSA_18transform_iteratorI7is_evenIyENSC_INSA_10device_ptrIyEEEESG_SG_EENS0_5tupleIJPySJ_EEENSR_IJSJ_SJ_EEES6_PlJS6_EEE10hipError_tPvRmT3_T4_T5_T6_T7_T9_mT8_P12ihipStream_tbDpT10_ENKUlT_T0_E_clISt17integral_constantIbLb1EES1E_IbLb0EEEEDaS1A_S1B_EUlS1A_E_NS1_11comp_targetILNS1_3genE5ELNS1_11target_archE942ELNS1_3gpuE9ELNS1_3repE0EEENS1_30default_config_static_selectorELNS0_4arch9wavefront6targetE1EEEvT1_
                                        ; -- End function
	.section	.AMDGPU.csdata,"",@progbits
; Kernel info:
; codeLenInByte = 5560
; NumSgprs: 52
; NumVgprs: 54
; NumAgprs: 0
; TotalNumVgprs: 54
; ScratchSize: 0
; MemoryBound: 0
; FloatMode: 240
; IeeeMode: 1
; LDSByteSize: 28680 bytes/workgroup (compile time only)
; SGPRBlocks: 6
; VGPRBlocks: 6
; NumSGPRsForWavesPerEU: 52
; NumVGPRsForWavesPerEU: 54
; AccumOffset: 56
; Occupancy: 4
; WaveLimiterHint : 1
; COMPUTE_PGM_RSRC2:SCRATCH_EN: 0
; COMPUTE_PGM_RSRC2:USER_SGPR: 2
; COMPUTE_PGM_RSRC2:TRAP_HANDLER: 0
; COMPUTE_PGM_RSRC2:TGID_X_EN: 1
; COMPUTE_PGM_RSRC2:TGID_Y_EN: 0
; COMPUTE_PGM_RSRC2:TGID_Z_EN: 0
; COMPUTE_PGM_RSRC2:TIDIG_COMP_CNT: 0
; COMPUTE_PGM_RSRC3_GFX90A:ACCUM_OFFSET: 13
; COMPUTE_PGM_RSRC3_GFX90A:TG_SPLIT: 0
	.section	.text._ZN7rocprim17ROCPRIM_400000_NS6detail17trampoline_kernelINS0_14default_configENS1_25partition_config_selectorILNS1_17partition_subalgoE2EyNS0_10empty_typeEbEEZZNS1_14partition_implILS5_2ELb0ES3_jN6thrust23THRUST_200600_302600_NS6detail15normal_iteratorINSA_7pointerIyNSA_11hip_rocprim3tagENSA_11use_defaultESG_EEEEPS6_NSA_18transform_iteratorI7is_evenIyENSC_INSA_10device_ptrIyEEEESG_SG_EENS0_5tupleIJPySJ_EEENSR_IJSJ_SJ_EEES6_PlJS6_EEE10hipError_tPvRmT3_T4_T5_T6_T7_T9_mT8_P12ihipStream_tbDpT10_ENKUlT_T0_E_clISt17integral_constantIbLb1EES1E_IbLb0EEEEDaS1A_S1B_EUlS1A_E_NS1_11comp_targetILNS1_3genE4ELNS1_11target_archE910ELNS1_3gpuE8ELNS1_3repE0EEENS1_30default_config_static_selectorELNS0_4arch9wavefront6targetE1EEEvT1_,"axG",@progbits,_ZN7rocprim17ROCPRIM_400000_NS6detail17trampoline_kernelINS0_14default_configENS1_25partition_config_selectorILNS1_17partition_subalgoE2EyNS0_10empty_typeEbEEZZNS1_14partition_implILS5_2ELb0ES3_jN6thrust23THRUST_200600_302600_NS6detail15normal_iteratorINSA_7pointerIyNSA_11hip_rocprim3tagENSA_11use_defaultESG_EEEEPS6_NSA_18transform_iteratorI7is_evenIyENSC_INSA_10device_ptrIyEEEESG_SG_EENS0_5tupleIJPySJ_EEENSR_IJSJ_SJ_EEES6_PlJS6_EEE10hipError_tPvRmT3_T4_T5_T6_T7_T9_mT8_P12ihipStream_tbDpT10_ENKUlT_T0_E_clISt17integral_constantIbLb1EES1E_IbLb0EEEEDaS1A_S1B_EUlS1A_E_NS1_11comp_targetILNS1_3genE4ELNS1_11target_archE910ELNS1_3gpuE8ELNS1_3repE0EEENS1_30default_config_static_selectorELNS0_4arch9wavefront6targetE1EEEvT1_,comdat
	.protected	_ZN7rocprim17ROCPRIM_400000_NS6detail17trampoline_kernelINS0_14default_configENS1_25partition_config_selectorILNS1_17partition_subalgoE2EyNS0_10empty_typeEbEEZZNS1_14partition_implILS5_2ELb0ES3_jN6thrust23THRUST_200600_302600_NS6detail15normal_iteratorINSA_7pointerIyNSA_11hip_rocprim3tagENSA_11use_defaultESG_EEEEPS6_NSA_18transform_iteratorI7is_evenIyENSC_INSA_10device_ptrIyEEEESG_SG_EENS0_5tupleIJPySJ_EEENSR_IJSJ_SJ_EEES6_PlJS6_EEE10hipError_tPvRmT3_T4_T5_T6_T7_T9_mT8_P12ihipStream_tbDpT10_ENKUlT_T0_E_clISt17integral_constantIbLb1EES1E_IbLb0EEEEDaS1A_S1B_EUlS1A_E_NS1_11comp_targetILNS1_3genE4ELNS1_11target_archE910ELNS1_3gpuE8ELNS1_3repE0EEENS1_30default_config_static_selectorELNS0_4arch9wavefront6targetE1EEEvT1_ ; -- Begin function _ZN7rocprim17ROCPRIM_400000_NS6detail17trampoline_kernelINS0_14default_configENS1_25partition_config_selectorILNS1_17partition_subalgoE2EyNS0_10empty_typeEbEEZZNS1_14partition_implILS5_2ELb0ES3_jN6thrust23THRUST_200600_302600_NS6detail15normal_iteratorINSA_7pointerIyNSA_11hip_rocprim3tagENSA_11use_defaultESG_EEEEPS6_NSA_18transform_iteratorI7is_evenIyENSC_INSA_10device_ptrIyEEEESG_SG_EENS0_5tupleIJPySJ_EEENSR_IJSJ_SJ_EEES6_PlJS6_EEE10hipError_tPvRmT3_T4_T5_T6_T7_T9_mT8_P12ihipStream_tbDpT10_ENKUlT_T0_E_clISt17integral_constantIbLb1EES1E_IbLb0EEEEDaS1A_S1B_EUlS1A_E_NS1_11comp_targetILNS1_3genE4ELNS1_11target_archE910ELNS1_3gpuE8ELNS1_3repE0EEENS1_30default_config_static_selectorELNS0_4arch9wavefront6targetE1EEEvT1_
	.globl	_ZN7rocprim17ROCPRIM_400000_NS6detail17trampoline_kernelINS0_14default_configENS1_25partition_config_selectorILNS1_17partition_subalgoE2EyNS0_10empty_typeEbEEZZNS1_14partition_implILS5_2ELb0ES3_jN6thrust23THRUST_200600_302600_NS6detail15normal_iteratorINSA_7pointerIyNSA_11hip_rocprim3tagENSA_11use_defaultESG_EEEEPS6_NSA_18transform_iteratorI7is_evenIyENSC_INSA_10device_ptrIyEEEESG_SG_EENS0_5tupleIJPySJ_EEENSR_IJSJ_SJ_EEES6_PlJS6_EEE10hipError_tPvRmT3_T4_T5_T6_T7_T9_mT8_P12ihipStream_tbDpT10_ENKUlT_T0_E_clISt17integral_constantIbLb1EES1E_IbLb0EEEEDaS1A_S1B_EUlS1A_E_NS1_11comp_targetILNS1_3genE4ELNS1_11target_archE910ELNS1_3gpuE8ELNS1_3repE0EEENS1_30default_config_static_selectorELNS0_4arch9wavefront6targetE1EEEvT1_
	.p2align	8
	.type	_ZN7rocprim17ROCPRIM_400000_NS6detail17trampoline_kernelINS0_14default_configENS1_25partition_config_selectorILNS1_17partition_subalgoE2EyNS0_10empty_typeEbEEZZNS1_14partition_implILS5_2ELb0ES3_jN6thrust23THRUST_200600_302600_NS6detail15normal_iteratorINSA_7pointerIyNSA_11hip_rocprim3tagENSA_11use_defaultESG_EEEEPS6_NSA_18transform_iteratorI7is_evenIyENSC_INSA_10device_ptrIyEEEESG_SG_EENS0_5tupleIJPySJ_EEENSR_IJSJ_SJ_EEES6_PlJS6_EEE10hipError_tPvRmT3_T4_T5_T6_T7_T9_mT8_P12ihipStream_tbDpT10_ENKUlT_T0_E_clISt17integral_constantIbLb1EES1E_IbLb0EEEEDaS1A_S1B_EUlS1A_E_NS1_11comp_targetILNS1_3genE4ELNS1_11target_archE910ELNS1_3gpuE8ELNS1_3repE0EEENS1_30default_config_static_selectorELNS0_4arch9wavefront6targetE1EEEvT1_,@function
_ZN7rocprim17ROCPRIM_400000_NS6detail17trampoline_kernelINS0_14default_configENS1_25partition_config_selectorILNS1_17partition_subalgoE2EyNS0_10empty_typeEbEEZZNS1_14partition_implILS5_2ELb0ES3_jN6thrust23THRUST_200600_302600_NS6detail15normal_iteratorINSA_7pointerIyNSA_11hip_rocprim3tagENSA_11use_defaultESG_EEEEPS6_NSA_18transform_iteratorI7is_evenIyENSC_INSA_10device_ptrIyEEEESG_SG_EENS0_5tupleIJPySJ_EEENSR_IJSJ_SJ_EEES6_PlJS6_EEE10hipError_tPvRmT3_T4_T5_T6_T7_T9_mT8_P12ihipStream_tbDpT10_ENKUlT_T0_E_clISt17integral_constantIbLb1EES1E_IbLb0EEEEDaS1A_S1B_EUlS1A_E_NS1_11comp_targetILNS1_3genE4ELNS1_11target_archE910ELNS1_3gpuE8ELNS1_3repE0EEENS1_30default_config_static_selectorELNS0_4arch9wavefront6targetE1EEEvT1_: ; @_ZN7rocprim17ROCPRIM_400000_NS6detail17trampoline_kernelINS0_14default_configENS1_25partition_config_selectorILNS1_17partition_subalgoE2EyNS0_10empty_typeEbEEZZNS1_14partition_implILS5_2ELb0ES3_jN6thrust23THRUST_200600_302600_NS6detail15normal_iteratorINSA_7pointerIyNSA_11hip_rocprim3tagENSA_11use_defaultESG_EEEEPS6_NSA_18transform_iteratorI7is_evenIyENSC_INSA_10device_ptrIyEEEESG_SG_EENS0_5tupleIJPySJ_EEENSR_IJSJ_SJ_EEES6_PlJS6_EEE10hipError_tPvRmT3_T4_T5_T6_T7_T9_mT8_P12ihipStream_tbDpT10_ENKUlT_T0_E_clISt17integral_constantIbLb1EES1E_IbLb0EEEEDaS1A_S1B_EUlS1A_E_NS1_11comp_targetILNS1_3genE4ELNS1_11target_archE910ELNS1_3gpuE8ELNS1_3repE0EEENS1_30default_config_static_selectorELNS0_4arch9wavefront6targetE1EEEvT1_
; %bb.0:
	.section	.rodata,"a",@progbits
	.p2align	6, 0x0
	.amdhsa_kernel _ZN7rocprim17ROCPRIM_400000_NS6detail17trampoline_kernelINS0_14default_configENS1_25partition_config_selectorILNS1_17partition_subalgoE2EyNS0_10empty_typeEbEEZZNS1_14partition_implILS5_2ELb0ES3_jN6thrust23THRUST_200600_302600_NS6detail15normal_iteratorINSA_7pointerIyNSA_11hip_rocprim3tagENSA_11use_defaultESG_EEEEPS6_NSA_18transform_iteratorI7is_evenIyENSC_INSA_10device_ptrIyEEEESG_SG_EENS0_5tupleIJPySJ_EEENSR_IJSJ_SJ_EEES6_PlJS6_EEE10hipError_tPvRmT3_T4_T5_T6_T7_T9_mT8_P12ihipStream_tbDpT10_ENKUlT_T0_E_clISt17integral_constantIbLb1EES1E_IbLb0EEEEDaS1A_S1B_EUlS1A_E_NS1_11comp_targetILNS1_3genE4ELNS1_11target_archE910ELNS1_3gpuE8ELNS1_3repE0EEENS1_30default_config_static_selectorELNS0_4arch9wavefront6targetE1EEEvT1_
		.amdhsa_group_segment_fixed_size 0
		.amdhsa_private_segment_fixed_size 0
		.amdhsa_kernarg_size 128
		.amdhsa_user_sgpr_count 2
		.amdhsa_user_sgpr_dispatch_ptr 0
		.amdhsa_user_sgpr_queue_ptr 0
		.amdhsa_user_sgpr_kernarg_segment_ptr 1
		.amdhsa_user_sgpr_dispatch_id 0
		.amdhsa_user_sgpr_kernarg_preload_length 0
		.amdhsa_user_sgpr_kernarg_preload_offset 0
		.amdhsa_user_sgpr_private_segment_size 0
		.amdhsa_uses_dynamic_stack 0
		.amdhsa_enable_private_segment 0
		.amdhsa_system_sgpr_workgroup_id_x 1
		.amdhsa_system_sgpr_workgroup_id_y 0
		.amdhsa_system_sgpr_workgroup_id_z 0
		.amdhsa_system_sgpr_workgroup_info 0
		.amdhsa_system_vgpr_workitem_id 0
		.amdhsa_next_free_vgpr 1
		.amdhsa_next_free_sgpr 0
		.amdhsa_accum_offset 4
		.amdhsa_reserve_vcc 0
		.amdhsa_float_round_mode_32 0
		.amdhsa_float_round_mode_16_64 0
		.amdhsa_float_denorm_mode_32 3
		.amdhsa_float_denorm_mode_16_64 3
		.amdhsa_dx10_clamp 1
		.amdhsa_ieee_mode 1
		.amdhsa_fp16_overflow 0
		.amdhsa_tg_split 0
		.amdhsa_exception_fp_ieee_invalid_op 0
		.amdhsa_exception_fp_denorm_src 0
		.amdhsa_exception_fp_ieee_div_zero 0
		.amdhsa_exception_fp_ieee_overflow 0
		.amdhsa_exception_fp_ieee_underflow 0
		.amdhsa_exception_fp_ieee_inexact 0
		.amdhsa_exception_int_div_zero 0
	.end_amdhsa_kernel
	.section	.text._ZN7rocprim17ROCPRIM_400000_NS6detail17trampoline_kernelINS0_14default_configENS1_25partition_config_selectorILNS1_17partition_subalgoE2EyNS0_10empty_typeEbEEZZNS1_14partition_implILS5_2ELb0ES3_jN6thrust23THRUST_200600_302600_NS6detail15normal_iteratorINSA_7pointerIyNSA_11hip_rocprim3tagENSA_11use_defaultESG_EEEEPS6_NSA_18transform_iteratorI7is_evenIyENSC_INSA_10device_ptrIyEEEESG_SG_EENS0_5tupleIJPySJ_EEENSR_IJSJ_SJ_EEES6_PlJS6_EEE10hipError_tPvRmT3_T4_T5_T6_T7_T9_mT8_P12ihipStream_tbDpT10_ENKUlT_T0_E_clISt17integral_constantIbLb1EES1E_IbLb0EEEEDaS1A_S1B_EUlS1A_E_NS1_11comp_targetILNS1_3genE4ELNS1_11target_archE910ELNS1_3gpuE8ELNS1_3repE0EEENS1_30default_config_static_selectorELNS0_4arch9wavefront6targetE1EEEvT1_,"axG",@progbits,_ZN7rocprim17ROCPRIM_400000_NS6detail17trampoline_kernelINS0_14default_configENS1_25partition_config_selectorILNS1_17partition_subalgoE2EyNS0_10empty_typeEbEEZZNS1_14partition_implILS5_2ELb0ES3_jN6thrust23THRUST_200600_302600_NS6detail15normal_iteratorINSA_7pointerIyNSA_11hip_rocprim3tagENSA_11use_defaultESG_EEEEPS6_NSA_18transform_iteratorI7is_evenIyENSC_INSA_10device_ptrIyEEEESG_SG_EENS0_5tupleIJPySJ_EEENSR_IJSJ_SJ_EEES6_PlJS6_EEE10hipError_tPvRmT3_T4_T5_T6_T7_T9_mT8_P12ihipStream_tbDpT10_ENKUlT_T0_E_clISt17integral_constantIbLb1EES1E_IbLb0EEEEDaS1A_S1B_EUlS1A_E_NS1_11comp_targetILNS1_3genE4ELNS1_11target_archE910ELNS1_3gpuE8ELNS1_3repE0EEENS1_30default_config_static_selectorELNS0_4arch9wavefront6targetE1EEEvT1_,comdat
.Lfunc_end2022:
	.size	_ZN7rocprim17ROCPRIM_400000_NS6detail17trampoline_kernelINS0_14default_configENS1_25partition_config_selectorILNS1_17partition_subalgoE2EyNS0_10empty_typeEbEEZZNS1_14partition_implILS5_2ELb0ES3_jN6thrust23THRUST_200600_302600_NS6detail15normal_iteratorINSA_7pointerIyNSA_11hip_rocprim3tagENSA_11use_defaultESG_EEEEPS6_NSA_18transform_iteratorI7is_evenIyENSC_INSA_10device_ptrIyEEEESG_SG_EENS0_5tupleIJPySJ_EEENSR_IJSJ_SJ_EEES6_PlJS6_EEE10hipError_tPvRmT3_T4_T5_T6_T7_T9_mT8_P12ihipStream_tbDpT10_ENKUlT_T0_E_clISt17integral_constantIbLb1EES1E_IbLb0EEEEDaS1A_S1B_EUlS1A_E_NS1_11comp_targetILNS1_3genE4ELNS1_11target_archE910ELNS1_3gpuE8ELNS1_3repE0EEENS1_30default_config_static_selectorELNS0_4arch9wavefront6targetE1EEEvT1_, .Lfunc_end2022-_ZN7rocprim17ROCPRIM_400000_NS6detail17trampoline_kernelINS0_14default_configENS1_25partition_config_selectorILNS1_17partition_subalgoE2EyNS0_10empty_typeEbEEZZNS1_14partition_implILS5_2ELb0ES3_jN6thrust23THRUST_200600_302600_NS6detail15normal_iteratorINSA_7pointerIyNSA_11hip_rocprim3tagENSA_11use_defaultESG_EEEEPS6_NSA_18transform_iteratorI7is_evenIyENSC_INSA_10device_ptrIyEEEESG_SG_EENS0_5tupleIJPySJ_EEENSR_IJSJ_SJ_EEES6_PlJS6_EEE10hipError_tPvRmT3_T4_T5_T6_T7_T9_mT8_P12ihipStream_tbDpT10_ENKUlT_T0_E_clISt17integral_constantIbLb1EES1E_IbLb0EEEEDaS1A_S1B_EUlS1A_E_NS1_11comp_targetILNS1_3genE4ELNS1_11target_archE910ELNS1_3gpuE8ELNS1_3repE0EEENS1_30default_config_static_selectorELNS0_4arch9wavefront6targetE1EEEvT1_
                                        ; -- End function
	.section	.AMDGPU.csdata,"",@progbits
; Kernel info:
; codeLenInByte = 0
; NumSgprs: 6
; NumVgprs: 0
; NumAgprs: 0
; TotalNumVgprs: 0
; ScratchSize: 0
; MemoryBound: 0
; FloatMode: 240
; IeeeMode: 1
; LDSByteSize: 0 bytes/workgroup (compile time only)
; SGPRBlocks: 0
; VGPRBlocks: 0
; NumSGPRsForWavesPerEU: 6
; NumVGPRsForWavesPerEU: 1
; AccumOffset: 4
; Occupancy: 8
; WaveLimiterHint : 0
; COMPUTE_PGM_RSRC2:SCRATCH_EN: 0
; COMPUTE_PGM_RSRC2:USER_SGPR: 2
; COMPUTE_PGM_RSRC2:TRAP_HANDLER: 0
; COMPUTE_PGM_RSRC2:TGID_X_EN: 1
; COMPUTE_PGM_RSRC2:TGID_Y_EN: 0
; COMPUTE_PGM_RSRC2:TGID_Z_EN: 0
; COMPUTE_PGM_RSRC2:TIDIG_COMP_CNT: 0
; COMPUTE_PGM_RSRC3_GFX90A:ACCUM_OFFSET: 0
; COMPUTE_PGM_RSRC3_GFX90A:TG_SPLIT: 0
	.section	.text._ZN7rocprim17ROCPRIM_400000_NS6detail17trampoline_kernelINS0_14default_configENS1_25partition_config_selectorILNS1_17partition_subalgoE2EyNS0_10empty_typeEbEEZZNS1_14partition_implILS5_2ELb0ES3_jN6thrust23THRUST_200600_302600_NS6detail15normal_iteratorINSA_7pointerIyNSA_11hip_rocprim3tagENSA_11use_defaultESG_EEEEPS6_NSA_18transform_iteratorI7is_evenIyENSC_INSA_10device_ptrIyEEEESG_SG_EENS0_5tupleIJPySJ_EEENSR_IJSJ_SJ_EEES6_PlJS6_EEE10hipError_tPvRmT3_T4_T5_T6_T7_T9_mT8_P12ihipStream_tbDpT10_ENKUlT_T0_E_clISt17integral_constantIbLb1EES1E_IbLb0EEEEDaS1A_S1B_EUlS1A_E_NS1_11comp_targetILNS1_3genE3ELNS1_11target_archE908ELNS1_3gpuE7ELNS1_3repE0EEENS1_30default_config_static_selectorELNS0_4arch9wavefront6targetE1EEEvT1_,"axG",@progbits,_ZN7rocprim17ROCPRIM_400000_NS6detail17trampoline_kernelINS0_14default_configENS1_25partition_config_selectorILNS1_17partition_subalgoE2EyNS0_10empty_typeEbEEZZNS1_14partition_implILS5_2ELb0ES3_jN6thrust23THRUST_200600_302600_NS6detail15normal_iteratorINSA_7pointerIyNSA_11hip_rocprim3tagENSA_11use_defaultESG_EEEEPS6_NSA_18transform_iteratorI7is_evenIyENSC_INSA_10device_ptrIyEEEESG_SG_EENS0_5tupleIJPySJ_EEENSR_IJSJ_SJ_EEES6_PlJS6_EEE10hipError_tPvRmT3_T4_T5_T6_T7_T9_mT8_P12ihipStream_tbDpT10_ENKUlT_T0_E_clISt17integral_constantIbLb1EES1E_IbLb0EEEEDaS1A_S1B_EUlS1A_E_NS1_11comp_targetILNS1_3genE3ELNS1_11target_archE908ELNS1_3gpuE7ELNS1_3repE0EEENS1_30default_config_static_selectorELNS0_4arch9wavefront6targetE1EEEvT1_,comdat
	.protected	_ZN7rocprim17ROCPRIM_400000_NS6detail17trampoline_kernelINS0_14default_configENS1_25partition_config_selectorILNS1_17partition_subalgoE2EyNS0_10empty_typeEbEEZZNS1_14partition_implILS5_2ELb0ES3_jN6thrust23THRUST_200600_302600_NS6detail15normal_iteratorINSA_7pointerIyNSA_11hip_rocprim3tagENSA_11use_defaultESG_EEEEPS6_NSA_18transform_iteratorI7is_evenIyENSC_INSA_10device_ptrIyEEEESG_SG_EENS0_5tupleIJPySJ_EEENSR_IJSJ_SJ_EEES6_PlJS6_EEE10hipError_tPvRmT3_T4_T5_T6_T7_T9_mT8_P12ihipStream_tbDpT10_ENKUlT_T0_E_clISt17integral_constantIbLb1EES1E_IbLb0EEEEDaS1A_S1B_EUlS1A_E_NS1_11comp_targetILNS1_3genE3ELNS1_11target_archE908ELNS1_3gpuE7ELNS1_3repE0EEENS1_30default_config_static_selectorELNS0_4arch9wavefront6targetE1EEEvT1_ ; -- Begin function _ZN7rocprim17ROCPRIM_400000_NS6detail17trampoline_kernelINS0_14default_configENS1_25partition_config_selectorILNS1_17partition_subalgoE2EyNS0_10empty_typeEbEEZZNS1_14partition_implILS5_2ELb0ES3_jN6thrust23THRUST_200600_302600_NS6detail15normal_iteratorINSA_7pointerIyNSA_11hip_rocprim3tagENSA_11use_defaultESG_EEEEPS6_NSA_18transform_iteratorI7is_evenIyENSC_INSA_10device_ptrIyEEEESG_SG_EENS0_5tupleIJPySJ_EEENSR_IJSJ_SJ_EEES6_PlJS6_EEE10hipError_tPvRmT3_T4_T5_T6_T7_T9_mT8_P12ihipStream_tbDpT10_ENKUlT_T0_E_clISt17integral_constantIbLb1EES1E_IbLb0EEEEDaS1A_S1B_EUlS1A_E_NS1_11comp_targetILNS1_3genE3ELNS1_11target_archE908ELNS1_3gpuE7ELNS1_3repE0EEENS1_30default_config_static_selectorELNS0_4arch9wavefront6targetE1EEEvT1_
	.globl	_ZN7rocprim17ROCPRIM_400000_NS6detail17trampoline_kernelINS0_14default_configENS1_25partition_config_selectorILNS1_17partition_subalgoE2EyNS0_10empty_typeEbEEZZNS1_14partition_implILS5_2ELb0ES3_jN6thrust23THRUST_200600_302600_NS6detail15normal_iteratorINSA_7pointerIyNSA_11hip_rocprim3tagENSA_11use_defaultESG_EEEEPS6_NSA_18transform_iteratorI7is_evenIyENSC_INSA_10device_ptrIyEEEESG_SG_EENS0_5tupleIJPySJ_EEENSR_IJSJ_SJ_EEES6_PlJS6_EEE10hipError_tPvRmT3_T4_T5_T6_T7_T9_mT8_P12ihipStream_tbDpT10_ENKUlT_T0_E_clISt17integral_constantIbLb1EES1E_IbLb0EEEEDaS1A_S1B_EUlS1A_E_NS1_11comp_targetILNS1_3genE3ELNS1_11target_archE908ELNS1_3gpuE7ELNS1_3repE0EEENS1_30default_config_static_selectorELNS0_4arch9wavefront6targetE1EEEvT1_
	.p2align	8
	.type	_ZN7rocprim17ROCPRIM_400000_NS6detail17trampoline_kernelINS0_14default_configENS1_25partition_config_selectorILNS1_17partition_subalgoE2EyNS0_10empty_typeEbEEZZNS1_14partition_implILS5_2ELb0ES3_jN6thrust23THRUST_200600_302600_NS6detail15normal_iteratorINSA_7pointerIyNSA_11hip_rocprim3tagENSA_11use_defaultESG_EEEEPS6_NSA_18transform_iteratorI7is_evenIyENSC_INSA_10device_ptrIyEEEESG_SG_EENS0_5tupleIJPySJ_EEENSR_IJSJ_SJ_EEES6_PlJS6_EEE10hipError_tPvRmT3_T4_T5_T6_T7_T9_mT8_P12ihipStream_tbDpT10_ENKUlT_T0_E_clISt17integral_constantIbLb1EES1E_IbLb0EEEEDaS1A_S1B_EUlS1A_E_NS1_11comp_targetILNS1_3genE3ELNS1_11target_archE908ELNS1_3gpuE7ELNS1_3repE0EEENS1_30default_config_static_selectorELNS0_4arch9wavefront6targetE1EEEvT1_,@function
_ZN7rocprim17ROCPRIM_400000_NS6detail17trampoline_kernelINS0_14default_configENS1_25partition_config_selectorILNS1_17partition_subalgoE2EyNS0_10empty_typeEbEEZZNS1_14partition_implILS5_2ELb0ES3_jN6thrust23THRUST_200600_302600_NS6detail15normal_iteratorINSA_7pointerIyNSA_11hip_rocprim3tagENSA_11use_defaultESG_EEEEPS6_NSA_18transform_iteratorI7is_evenIyENSC_INSA_10device_ptrIyEEEESG_SG_EENS0_5tupleIJPySJ_EEENSR_IJSJ_SJ_EEES6_PlJS6_EEE10hipError_tPvRmT3_T4_T5_T6_T7_T9_mT8_P12ihipStream_tbDpT10_ENKUlT_T0_E_clISt17integral_constantIbLb1EES1E_IbLb0EEEEDaS1A_S1B_EUlS1A_E_NS1_11comp_targetILNS1_3genE3ELNS1_11target_archE908ELNS1_3gpuE7ELNS1_3repE0EEENS1_30default_config_static_selectorELNS0_4arch9wavefront6targetE1EEEvT1_: ; @_ZN7rocprim17ROCPRIM_400000_NS6detail17trampoline_kernelINS0_14default_configENS1_25partition_config_selectorILNS1_17partition_subalgoE2EyNS0_10empty_typeEbEEZZNS1_14partition_implILS5_2ELb0ES3_jN6thrust23THRUST_200600_302600_NS6detail15normal_iteratorINSA_7pointerIyNSA_11hip_rocprim3tagENSA_11use_defaultESG_EEEEPS6_NSA_18transform_iteratorI7is_evenIyENSC_INSA_10device_ptrIyEEEESG_SG_EENS0_5tupleIJPySJ_EEENSR_IJSJ_SJ_EEES6_PlJS6_EEE10hipError_tPvRmT3_T4_T5_T6_T7_T9_mT8_P12ihipStream_tbDpT10_ENKUlT_T0_E_clISt17integral_constantIbLb1EES1E_IbLb0EEEEDaS1A_S1B_EUlS1A_E_NS1_11comp_targetILNS1_3genE3ELNS1_11target_archE908ELNS1_3gpuE7ELNS1_3repE0EEENS1_30default_config_static_selectorELNS0_4arch9wavefront6targetE1EEEvT1_
; %bb.0:
	.section	.rodata,"a",@progbits
	.p2align	6, 0x0
	.amdhsa_kernel _ZN7rocprim17ROCPRIM_400000_NS6detail17trampoline_kernelINS0_14default_configENS1_25partition_config_selectorILNS1_17partition_subalgoE2EyNS0_10empty_typeEbEEZZNS1_14partition_implILS5_2ELb0ES3_jN6thrust23THRUST_200600_302600_NS6detail15normal_iteratorINSA_7pointerIyNSA_11hip_rocprim3tagENSA_11use_defaultESG_EEEEPS6_NSA_18transform_iteratorI7is_evenIyENSC_INSA_10device_ptrIyEEEESG_SG_EENS0_5tupleIJPySJ_EEENSR_IJSJ_SJ_EEES6_PlJS6_EEE10hipError_tPvRmT3_T4_T5_T6_T7_T9_mT8_P12ihipStream_tbDpT10_ENKUlT_T0_E_clISt17integral_constantIbLb1EES1E_IbLb0EEEEDaS1A_S1B_EUlS1A_E_NS1_11comp_targetILNS1_3genE3ELNS1_11target_archE908ELNS1_3gpuE7ELNS1_3repE0EEENS1_30default_config_static_selectorELNS0_4arch9wavefront6targetE1EEEvT1_
		.amdhsa_group_segment_fixed_size 0
		.amdhsa_private_segment_fixed_size 0
		.amdhsa_kernarg_size 128
		.amdhsa_user_sgpr_count 2
		.amdhsa_user_sgpr_dispatch_ptr 0
		.amdhsa_user_sgpr_queue_ptr 0
		.amdhsa_user_sgpr_kernarg_segment_ptr 1
		.amdhsa_user_sgpr_dispatch_id 0
		.amdhsa_user_sgpr_kernarg_preload_length 0
		.amdhsa_user_sgpr_kernarg_preload_offset 0
		.amdhsa_user_sgpr_private_segment_size 0
		.amdhsa_uses_dynamic_stack 0
		.amdhsa_enable_private_segment 0
		.amdhsa_system_sgpr_workgroup_id_x 1
		.amdhsa_system_sgpr_workgroup_id_y 0
		.amdhsa_system_sgpr_workgroup_id_z 0
		.amdhsa_system_sgpr_workgroup_info 0
		.amdhsa_system_vgpr_workitem_id 0
		.amdhsa_next_free_vgpr 1
		.amdhsa_next_free_sgpr 0
		.amdhsa_accum_offset 4
		.amdhsa_reserve_vcc 0
		.amdhsa_float_round_mode_32 0
		.amdhsa_float_round_mode_16_64 0
		.amdhsa_float_denorm_mode_32 3
		.amdhsa_float_denorm_mode_16_64 3
		.amdhsa_dx10_clamp 1
		.amdhsa_ieee_mode 1
		.amdhsa_fp16_overflow 0
		.amdhsa_tg_split 0
		.amdhsa_exception_fp_ieee_invalid_op 0
		.amdhsa_exception_fp_denorm_src 0
		.amdhsa_exception_fp_ieee_div_zero 0
		.amdhsa_exception_fp_ieee_overflow 0
		.amdhsa_exception_fp_ieee_underflow 0
		.amdhsa_exception_fp_ieee_inexact 0
		.amdhsa_exception_int_div_zero 0
	.end_amdhsa_kernel
	.section	.text._ZN7rocprim17ROCPRIM_400000_NS6detail17trampoline_kernelINS0_14default_configENS1_25partition_config_selectorILNS1_17partition_subalgoE2EyNS0_10empty_typeEbEEZZNS1_14partition_implILS5_2ELb0ES3_jN6thrust23THRUST_200600_302600_NS6detail15normal_iteratorINSA_7pointerIyNSA_11hip_rocprim3tagENSA_11use_defaultESG_EEEEPS6_NSA_18transform_iteratorI7is_evenIyENSC_INSA_10device_ptrIyEEEESG_SG_EENS0_5tupleIJPySJ_EEENSR_IJSJ_SJ_EEES6_PlJS6_EEE10hipError_tPvRmT3_T4_T5_T6_T7_T9_mT8_P12ihipStream_tbDpT10_ENKUlT_T0_E_clISt17integral_constantIbLb1EES1E_IbLb0EEEEDaS1A_S1B_EUlS1A_E_NS1_11comp_targetILNS1_3genE3ELNS1_11target_archE908ELNS1_3gpuE7ELNS1_3repE0EEENS1_30default_config_static_selectorELNS0_4arch9wavefront6targetE1EEEvT1_,"axG",@progbits,_ZN7rocprim17ROCPRIM_400000_NS6detail17trampoline_kernelINS0_14default_configENS1_25partition_config_selectorILNS1_17partition_subalgoE2EyNS0_10empty_typeEbEEZZNS1_14partition_implILS5_2ELb0ES3_jN6thrust23THRUST_200600_302600_NS6detail15normal_iteratorINSA_7pointerIyNSA_11hip_rocprim3tagENSA_11use_defaultESG_EEEEPS6_NSA_18transform_iteratorI7is_evenIyENSC_INSA_10device_ptrIyEEEESG_SG_EENS0_5tupleIJPySJ_EEENSR_IJSJ_SJ_EEES6_PlJS6_EEE10hipError_tPvRmT3_T4_T5_T6_T7_T9_mT8_P12ihipStream_tbDpT10_ENKUlT_T0_E_clISt17integral_constantIbLb1EES1E_IbLb0EEEEDaS1A_S1B_EUlS1A_E_NS1_11comp_targetILNS1_3genE3ELNS1_11target_archE908ELNS1_3gpuE7ELNS1_3repE0EEENS1_30default_config_static_selectorELNS0_4arch9wavefront6targetE1EEEvT1_,comdat
.Lfunc_end2023:
	.size	_ZN7rocprim17ROCPRIM_400000_NS6detail17trampoline_kernelINS0_14default_configENS1_25partition_config_selectorILNS1_17partition_subalgoE2EyNS0_10empty_typeEbEEZZNS1_14partition_implILS5_2ELb0ES3_jN6thrust23THRUST_200600_302600_NS6detail15normal_iteratorINSA_7pointerIyNSA_11hip_rocprim3tagENSA_11use_defaultESG_EEEEPS6_NSA_18transform_iteratorI7is_evenIyENSC_INSA_10device_ptrIyEEEESG_SG_EENS0_5tupleIJPySJ_EEENSR_IJSJ_SJ_EEES6_PlJS6_EEE10hipError_tPvRmT3_T4_T5_T6_T7_T9_mT8_P12ihipStream_tbDpT10_ENKUlT_T0_E_clISt17integral_constantIbLb1EES1E_IbLb0EEEEDaS1A_S1B_EUlS1A_E_NS1_11comp_targetILNS1_3genE3ELNS1_11target_archE908ELNS1_3gpuE7ELNS1_3repE0EEENS1_30default_config_static_selectorELNS0_4arch9wavefront6targetE1EEEvT1_, .Lfunc_end2023-_ZN7rocprim17ROCPRIM_400000_NS6detail17trampoline_kernelINS0_14default_configENS1_25partition_config_selectorILNS1_17partition_subalgoE2EyNS0_10empty_typeEbEEZZNS1_14partition_implILS5_2ELb0ES3_jN6thrust23THRUST_200600_302600_NS6detail15normal_iteratorINSA_7pointerIyNSA_11hip_rocprim3tagENSA_11use_defaultESG_EEEEPS6_NSA_18transform_iteratorI7is_evenIyENSC_INSA_10device_ptrIyEEEESG_SG_EENS0_5tupleIJPySJ_EEENSR_IJSJ_SJ_EEES6_PlJS6_EEE10hipError_tPvRmT3_T4_T5_T6_T7_T9_mT8_P12ihipStream_tbDpT10_ENKUlT_T0_E_clISt17integral_constantIbLb1EES1E_IbLb0EEEEDaS1A_S1B_EUlS1A_E_NS1_11comp_targetILNS1_3genE3ELNS1_11target_archE908ELNS1_3gpuE7ELNS1_3repE0EEENS1_30default_config_static_selectorELNS0_4arch9wavefront6targetE1EEEvT1_
                                        ; -- End function
	.section	.AMDGPU.csdata,"",@progbits
; Kernel info:
; codeLenInByte = 0
; NumSgprs: 6
; NumVgprs: 0
; NumAgprs: 0
; TotalNumVgprs: 0
; ScratchSize: 0
; MemoryBound: 0
; FloatMode: 240
; IeeeMode: 1
; LDSByteSize: 0 bytes/workgroup (compile time only)
; SGPRBlocks: 0
; VGPRBlocks: 0
; NumSGPRsForWavesPerEU: 6
; NumVGPRsForWavesPerEU: 1
; AccumOffset: 4
; Occupancy: 8
; WaveLimiterHint : 0
; COMPUTE_PGM_RSRC2:SCRATCH_EN: 0
; COMPUTE_PGM_RSRC2:USER_SGPR: 2
; COMPUTE_PGM_RSRC2:TRAP_HANDLER: 0
; COMPUTE_PGM_RSRC2:TGID_X_EN: 1
; COMPUTE_PGM_RSRC2:TGID_Y_EN: 0
; COMPUTE_PGM_RSRC2:TGID_Z_EN: 0
; COMPUTE_PGM_RSRC2:TIDIG_COMP_CNT: 0
; COMPUTE_PGM_RSRC3_GFX90A:ACCUM_OFFSET: 0
; COMPUTE_PGM_RSRC3_GFX90A:TG_SPLIT: 0
	.section	.text._ZN7rocprim17ROCPRIM_400000_NS6detail17trampoline_kernelINS0_14default_configENS1_25partition_config_selectorILNS1_17partition_subalgoE2EyNS0_10empty_typeEbEEZZNS1_14partition_implILS5_2ELb0ES3_jN6thrust23THRUST_200600_302600_NS6detail15normal_iteratorINSA_7pointerIyNSA_11hip_rocprim3tagENSA_11use_defaultESG_EEEEPS6_NSA_18transform_iteratorI7is_evenIyENSC_INSA_10device_ptrIyEEEESG_SG_EENS0_5tupleIJPySJ_EEENSR_IJSJ_SJ_EEES6_PlJS6_EEE10hipError_tPvRmT3_T4_T5_T6_T7_T9_mT8_P12ihipStream_tbDpT10_ENKUlT_T0_E_clISt17integral_constantIbLb1EES1E_IbLb0EEEEDaS1A_S1B_EUlS1A_E_NS1_11comp_targetILNS1_3genE2ELNS1_11target_archE906ELNS1_3gpuE6ELNS1_3repE0EEENS1_30default_config_static_selectorELNS0_4arch9wavefront6targetE1EEEvT1_,"axG",@progbits,_ZN7rocprim17ROCPRIM_400000_NS6detail17trampoline_kernelINS0_14default_configENS1_25partition_config_selectorILNS1_17partition_subalgoE2EyNS0_10empty_typeEbEEZZNS1_14partition_implILS5_2ELb0ES3_jN6thrust23THRUST_200600_302600_NS6detail15normal_iteratorINSA_7pointerIyNSA_11hip_rocprim3tagENSA_11use_defaultESG_EEEEPS6_NSA_18transform_iteratorI7is_evenIyENSC_INSA_10device_ptrIyEEEESG_SG_EENS0_5tupleIJPySJ_EEENSR_IJSJ_SJ_EEES6_PlJS6_EEE10hipError_tPvRmT3_T4_T5_T6_T7_T9_mT8_P12ihipStream_tbDpT10_ENKUlT_T0_E_clISt17integral_constantIbLb1EES1E_IbLb0EEEEDaS1A_S1B_EUlS1A_E_NS1_11comp_targetILNS1_3genE2ELNS1_11target_archE906ELNS1_3gpuE6ELNS1_3repE0EEENS1_30default_config_static_selectorELNS0_4arch9wavefront6targetE1EEEvT1_,comdat
	.protected	_ZN7rocprim17ROCPRIM_400000_NS6detail17trampoline_kernelINS0_14default_configENS1_25partition_config_selectorILNS1_17partition_subalgoE2EyNS0_10empty_typeEbEEZZNS1_14partition_implILS5_2ELb0ES3_jN6thrust23THRUST_200600_302600_NS6detail15normal_iteratorINSA_7pointerIyNSA_11hip_rocprim3tagENSA_11use_defaultESG_EEEEPS6_NSA_18transform_iteratorI7is_evenIyENSC_INSA_10device_ptrIyEEEESG_SG_EENS0_5tupleIJPySJ_EEENSR_IJSJ_SJ_EEES6_PlJS6_EEE10hipError_tPvRmT3_T4_T5_T6_T7_T9_mT8_P12ihipStream_tbDpT10_ENKUlT_T0_E_clISt17integral_constantIbLb1EES1E_IbLb0EEEEDaS1A_S1B_EUlS1A_E_NS1_11comp_targetILNS1_3genE2ELNS1_11target_archE906ELNS1_3gpuE6ELNS1_3repE0EEENS1_30default_config_static_selectorELNS0_4arch9wavefront6targetE1EEEvT1_ ; -- Begin function _ZN7rocprim17ROCPRIM_400000_NS6detail17trampoline_kernelINS0_14default_configENS1_25partition_config_selectorILNS1_17partition_subalgoE2EyNS0_10empty_typeEbEEZZNS1_14partition_implILS5_2ELb0ES3_jN6thrust23THRUST_200600_302600_NS6detail15normal_iteratorINSA_7pointerIyNSA_11hip_rocprim3tagENSA_11use_defaultESG_EEEEPS6_NSA_18transform_iteratorI7is_evenIyENSC_INSA_10device_ptrIyEEEESG_SG_EENS0_5tupleIJPySJ_EEENSR_IJSJ_SJ_EEES6_PlJS6_EEE10hipError_tPvRmT3_T4_T5_T6_T7_T9_mT8_P12ihipStream_tbDpT10_ENKUlT_T0_E_clISt17integral_constantIbLb1EES1E_IbLb0EEEEDaS1A_S1B_EUlS1A_E_NS1_11comp_targetILNS1_3genE2ELNS1_11target_archE906ELNS1_3gpuE6ELNS1_3repE0EEENS1_30default_config_static_selectorELNS0_4arch9wavefront6targetE1EEEvT1_
	.globl	_ZN7rocprim17ROCPRIM_400000_NS6detail17trampoline_kernelINS0_14default_configENS1_25partition_config_selectorILNS1_17partition_subalgoE2EyNS0_10empty_typeEbEEZZNS1_14partition_implILS5_2ELb0ES3_jN6thrust23THRUST_200600_302600_NS6detail15normal_iteratorINSA_7pointerIyNSA_11hip_rocprim3tagENSA_11use_defaultESG_EEEEPS6_NSA_18transform_iteratorI7is_evenIyENSC_INSA_10device_ptrIyEEEESG_SG_EENS0_5tupleIJPySJ_EEENSR_IJSJ_SJ_EEES6_PlJS6_EEE10hipError_tPvRmT3_T4_T5_T6_T7_T9_mT8_P12ihipStream_tbDpT10_ENKUlT_T0_E_clISt17integral_constantIbLb1EES1E_IbLb0EEEEDaS1A_S1B_EUlS1A_E_NS1_11comp_targetILNS1_3genE2ELNS1_11target_archE906ELNS1_3gpuE6ELNS1_3repE0EEENS1_30default_config_static_selectorELNS0_4arch9wavefront6targetE1EEEvT1_
	.p2align	8
	.type	_ZN7rocprim17ROCPRIM_400000_NS6detail17trampoline_kernelINS0_14default_configENS1_25partition_config_selectorILNS1_17partition_subalgoE2EyNS0_10empty_typeEbEEZZNS1_14partition_implILS5_2ELb0ES3_jN6thrust23THRUST_200600_302600_NS6detail15normal_iteratorINSA_7pointerIyNSA_11hip_rocprim3tagENSA_11use_defaultESG_EEEEPS6_NSA_18transform_iteratorI7is_evenIyENSC_INSA_10device_ptrIyEEEESG_SG_EENS0_5tupleIJPySJ_EEENSR_IJSJ_SJ_EEES6_PlJS6_EEE10hipError_tPvRmT3_T4_T5_T6_T7_T9_mT8_P12ihipStream_tbDpT10_ENKUlT_T0_E_clISt17integral_constantIbLb1EES1E_IbLb0EEEEDaS1A_S1B_EUlS1A_E_NS1_11comp_targetILNS1_3genE2ELNS1_11target_archE906ELNS1_3gpuE6ELNS1_3repE0EEENS1_30default_config_static_selectorELNS0_4arch9wavefront6targetE1EEEvT1_,@function
_ZN7rocprim17ROCPRIM_400000_NS6detail17trampoline_kernelINS0_14default_configENS1_25partition_config_selectorILNS1_17partition_subalgoE2EyNS0_10empty_typeEbEEZZNS1_14partition_implILS5_2ELb0ES3_jN6thrust23THRUST_200600_302600_NS6detail15normal_iteratorINSA_7pointerIyNSA_11hip_rocprim3tagENSA_11use_defaultESG_EEEEPS6_NSA_18transform_iteratorI7is_evenIyENSC_INSA_10device_ptrIyEEEESG_SG_EENS0_5tupleIJPySJ_EEENSR_IJSJ_SJ_EEES6_PlJS6_EEE10hipError_tPvRmT3_T4_T5_T6_T7_T9_mT8_P12ihipStream_tbDpT10_ENKUlT_T0_E_clISt17integral_constantIbLb1EES1E_IbLb0EEEEDaS1A_S1B_EUlS1A_E_NS1_11comp_targetILNS1_3genE2ELNS1_11target_archE906ELNS1_3gpuE6ELNS1_3repE0EEENS1_30default_config_static_selectorELNS0_4arch9wavefront6targetE1EEEvT1_: ; @_ZN7rocprim17ROCPRIM_400000_NS6detail17trampoline_kernelINS0_14default_configENS1_25partition_config_selectorILNS1_17partition_subalgoE2EyNS0_10empty_typeEbEEZZNS1_14partition_implILS5_2ELb0ES3_jN6thrust23THRUST_200600_302600_NS6detail15normal_iteratorINSA_7pointerIyNSA_11hip_rocprim3tagENSA_11use_defaultESG_EEEEPS6_NSA_18transform_iteratorI7is_evenIyENSC_INSA_10device_ptrIyEEEESG_SG_EENS0_5tupleIJPySJ_EEENSR_IJSJ_SJ_EEES6_PlJS6_EEE10hipError_tPvRmT3_T4_T5_T6_T7_T9_mT8_P12ihipStream_tbDpT10_ENKUlT_T0_E_clISt17integral_constantIbLb1EES1E_IbLb0EEEEDaS1A_S1B_EUlS1A_E_NS1_11comp_targetILNS1_3genE2ELNS1_11target_archE906ELNS1_3gpuE6ELNS1_3repE0EEENS1_30default_config_static_selectorELNS0_4arch9wavefront6targetE1EEEvT1_
; %bb.0:
	.section	.rodata,"a",@progbits
	.p2align	6, 0x0
	.amdhsa_kernel _ZN7rocprim17ROCPRIM_400000_NS6detail17trampoline_kernelINS0_14default_configENS1_25partition_config_selectorILNS1_17partition_subalgoE2EyNS0_10empty_typeEbEEZZNS1_14partition_implILS5_2ELb0ES3_jN6thrust23THRUST_200600_302600_NS6detail15normal_iteratorINSA_7pointerIyNSA_11hip_rocprim3tagENSA_11use_defaultESG_EEEEPS6_NSA_18transform_iteratorI7is_evenIyENSC_INSA_10device_ptrIyEEEESG_SG_EENS0_5tupleIJPySJ_EEENSR_IJSJ_SJ_EEES6_PlJS6_EEE10hipError_tPvRmT3_T4_T5_T6_T7_T9_mT8_P12ihipStream_tbDpT10_ENKUlT_T0_E_clISt17integral_constantIbLb1EES1E_IbLb0EEEEDaS1A_S1B_EUlS1A_E_NS1_11comp_targetILNS1_3genE2ELNS1_11target_archE906ELNS1_3gpuE6ELNS1_3repE0EEENS1_30default_config_static_selectorELNS0_4arch9wavefront6targetE1EEEvT1_
		.amdhsa_group_segment_fixed_size 0
		.amdhsa_private_segment_fixed_size 0
		.amdhsa_kernarg_size 128
		.amdhsa_user_sgpr_count 2
		.amdhsa_user_sgpr_dispatch_ptr 0
		.amdhsa_user_sgpr_queue_ptr 0
		.amdhsa_user_sgpr_kernarg_segment_ptr 1
		.amdhsa_user_sgpr_dispatch_id 0
		.amdhsa_user_sgpr_kernarg_preload_length 0
		.amdhsa_user_sgpr_kernarg_preload_offset 0
		.amdhsa_user_sgpr_private_segment_size 0
		.amdhsa_uses_dynamic_stack 0
		.amdhsa_enable_private_segment 0
		.amdhsa_system_sgpr_workgroup_id_x 1
		.amdhsa_system_sgpr_workgroup_id_y 0
		.amdhsa_system_sgpr_workgroup_id_z 0
		.amdhsa_system_sgpr_workgroup_info 0
		.amdhsa_system_vgpr_workitem_id 0
		.amdhsa_next_free_vgpr 1
		.amdhsa_next_free_sgpr 0
		.amdhsa_accum_offset 4
		.amdhsa_reserve_vcc 0
		.amdhsa_float_round_mode_32 0
		.amdhsa_float_round_mode_16_64 0
		.amdhsa_float_denorm_mode_32 3
		.amdhsa_float_denorm_mode_16_64 3
		.amdhsa_dx10_clamp 1
		.amdhsa_ieee_mode 1
		.amdhsa_fp16_overflow 0
		.amdhsa_tg_split 0
		.amdhsa_exception_fp_ieee_invalid_op 0
		.amdhsa_exception_fp_denorm_src 0
		.amdhsa_exception_fp_ieee_div_zero 0
		.amdhsa_exception_fp_ieee_overflow 0
		.amdhsa_exception_fp_ieee_underflow 0
		.amdhsa_exception_fp_ieee_inexact 0
		.amdhsa_exception_int_div_zero 0
	.end_amdhsa_kernel
	.section	.text._ZN7rocprim17ROCPRIM_400000_NS6detail17trampoline_kernelINS0_14default_configENS1_25partition_config_selectorILNS1_17partition_subalgoE2EyNS0_10empty_typeEbEEZZNS1_14partition_implILS5_2ELb0ES3_jN6thrust23THRUST_200600_302600_NS6detail15normal_iteratorINSA_7pointerIyNSA_11hip_rocprim3tagENSA_11use_defaultESG_EEEEPS6_NSA_18transform_iteratorI7is_evenIyENSC_INSA_10device_ptrIyEEEESG_SG_EENS0_5tupleIJPySJ_EEENSR_IJSJ_SJ_EEES6_PlJS6_EEE10hipError_tPvRmT3_T4_T5_T6_T7_T9_mT8_P12ihipStream_tbDpT10_ENKUlT_T0_E_clISt17integral_constantIbLb1EES1E_IbLb0EEEEDaS1A_S1B_EUlS1A_E_NS1_11comp_targetILNS1_3genE2ELNS1_11target_archE906ELNS1_3gpuE6ELNS1_3repE0EEENS1_30default_config_static_selectorELNS0_4arch9wavefront6targetE1EEEvT1_,"axG",@progbits,_ZN7rocprim17ROCPRIM_400000_NS6detail17trampoline_kernelINS0_14default_configENS1_25partition_config_selectorILNS1_17partition_subalgoE2EyNS0_10empty_typeEbEEZZNS1_14partition_implILS5_2ELb0ES3_jN6thrust23THRUST_200600_302600_NS6detail15normal_iteratorINSA_7pointerIyNSA_11hip_rocprim3tagENSA_11use_defaultESG_EEEEPS6_NSA_18transform_iteratorI7is_evenIyENSC_INSA_10device_ptrIyEEEESG_SG_EENS0_5tupleIJPySJ_EEENSR_IJSJ_SJ_EEES6_PlJS6_EEE10hipError_tPvRmT3_T4_T5_T6_T7_T9_mT8_P12ihipStream_tbDpT10_ENKUlT_T0_E_clISt17integral_constantIbLb1EES1E_IbLb0EEEEDaS1A_S1B_EUlS1A_E_NS1_11comp_targetILNS1_3genE2ELNS1_11target_archE906ELNS1_3gpuE6ELNS1_3repE0EEENS1_30default_config_static_selectorELNS0_4arch9wavefront6targetE1EEEvT1_,comdat
.Lfunc_end2024:
	.size	_ZN7rocprim17ROCPRIM_400000_NS6detail17trampoline_kernelINS0_14default_configENS1_25partition_config_selectorILNS1_17partition_subalgoE2EyNS0_10empty_typeEbEEZZNS1_14partition_implILS5_2ELb0ES3_jN6thrust23THRUST_200600_302600_NS6detail15normal_iteratorINSA_7pointerIyNSA_11hip_rocprim3tagENSA_11use_defaultESG_EEEEPS6_NSA_18transform_iteratorI7is_evenIyENSC_INSA_10device_ptrIyEEEESG_SG_EENS0_5tupleIJPySJ_EEENSR_IJSJ_SJ_EEES6_PlJS6_EEE10hipError_tPvRmT3_T4_T5_T6_T7_T9_mT8_P12ihipStream_tbDpT10_ENKUlT_T0_E_clISt17integral_constantIbLb1EES1E_IbLb0EEEEDaS1A_S1B_EUlS1A_E_NS1_11comp_targetILNS1_3genE2ELNS1_11target_archE906ELNS1_3gpuE6ELNS1_3repE0EEENS1_30default_config_static_selectorELNS0_4arch9wavefront6targetE1EEEvT1_, .Lfunc_end2024-_ZN7rocprim17ROCPRIM_400000_NS6detail17trampoline_kernelINS0_14default_configENS1_25partition_config_selectorILNS1_17partition_subalgoE2EyNS0_10empty_typeEbEEZZNS1_14partition_implILS5_2ELb0ES3_jN6thrust23THRUST_200600_302600_NS6detail15normal_iteratorINSA_7pointerIyNSA_11hip_rocprim3tagENSA_11use_defaultESG_EEEEPS6_NSA_18transform_iteratorI7is_evenIyENSC_INSA_10device_ptrIyEEEESG_SG_EENS0_5tupleIJPySJ_EEENSR_IJSJ_SJ_EEES6_PlJS6_EEE10hipError_tPvRmT3_T4_T5_T6_T7_T9_mT8_P12ihipStream_tbDpT10_ENKUlT_T0_E_clISt17integral_constantIbLb1EES1E_IbLb0EEEEDaS1A_S1B_EUlS1A_E_NS1_11comp_targetILNS1_3genE2ELNS1_11target_archE906ELNS1_3gpuE6ELNS1_3repE0EEENS1_30default_config_static_selectorELNS0_4arch9wavefront6targetE1EEEvT1_
                                        ; -- End function
	.section	.AMDGPU.csdata,"",@progbits
; Kernel info:
; codeLenInByte = 0
; NumSgprs: 6
; NumVgprs: 0
; NumAgprs: 0
; TotalNumVgprs: 0
; ScratchSize: 0
; MemoryBound: 0
; FloatMode: 240
; IeeeMode: 1
; LDSByteSize: 0 bytes/workgroup (compile time only)
; SGPRBlocks: 0
; VGPRBlocks: 0
; NumSGPRsForWavesPerEU: 6
; NumVGPRsForWavesPerEU: 1
; AccumOffset: 4
; Occupancy: 8
; WaveLimiterHint : 0
; COMPUTE_PGM_RSRC2:SCRATCH_EN: 0
; COMPUTE_PGM_RSRC2:USER_SGPR: 2
; COMPUTE_PGM_RSRC2:TRAP_HANDLER: 0
; COMPUTE_PGM_RSRC2:TGID_X_EN: 1
; COMPUTE_PGM_RSRC2:TGID_Y_EN: 0
; COMPUTE_PGM_RSRC2:TGID_Z_EN: 0
; COMPUTE_PGM_RSRC2:TIDIG_COMP_CNT: 0
; COMPUTE_PGM_RSRC3_GFX90A:ACCUM_OFFSET: 0
; COMPUTE_PGM_RSRC3_GFX90A:TG_SPLIT: 0
	.section	.text._ZN7rocprim17ROCPRIM_400000_NS6detail17trampoline_kernelINS0_14default_configENS1_25partition_config_selectorILNS1_17partition_subalgoE2EyNS0_10empty_typeEbEEZZNS1_14partition_implILS5_2ELb0ES3_jN6thrust23THRUST_200600_302600_NS6detail15normal_iteratorINSA_7pointerIyNSA_11hip_rocprim3tagENSA_11use_defaultESG_EEEEPS6_NSA_18transform_iteratorI7is_evenIyENSC_INSA_10device_ptrIyEEEESG_SG_EENS0_5tupleIJPySJ_EEENSR_IJSJ_SJ_EEES6_PlJS6_EEE10hipError_tPvRmT3_T4_T5_T6_T7_T9_mT8_P12ihipStream_tbDpT10_ENKUlT_T0_E_clISt17integral_constantIbLb1EES1E_IbLb0EEEEDaS1A_S1B_EUlS1A_E_NS1_11comp_targetILNS1_3genE10ELNS1_11target_archE1200ELNS1_3gpuE4ELNS1_3repE0EEENS1_30default_config_static_selectorELNS0_4arch9wavefront6targetE1EEEvT1_,"axG",@progbits,_ZN7rocprim17ROCPRIM_400000_NS6detail17trampoline_kernelINS0_14default_configENS1_25partition_config_selectorILNS1_17partition_subalgoE2EyNS0_10empty_typeEbEEZZNS1_14partition_implILS5_2ELb0ES3_jN6thrust23THRUST_200600_302600_NS6detail15normal_iteratorINSA_7pointerIyNSA_11hip_rocprim3tagENSA_11use_defaultESG_EEEEPS6_NSA_18transform_iteratorI7is_evenIyENSC_INSA_10device_ptrIyEEEESG_SG_EENS0_5tupleIJPySJ_EEENSR_IJSJ_SJ_EEES6_PlJS6_EEE10hipError_tPvRmT3_T4_T5_T6_T7_T9_mT8_P12ihipStream_tbDpT10_ENKUlT_T0_E_clISt17integral_constantIbLb1EES1E_IbLb0EEEEDaS1A_S1B_EUlS1A_E_NS1_11comp_targetILNS1_3genE10ELNS1_11target_archE1200ELNS1_3gpuE4ELNS1_3repE0EEENS1_30default_config_static_selectorELNS0_4arch9wavefront6targetE1EEEvT1_,comdat
	.protected	_ZN7rocprim17ROCPRIM_400000_NS6detail17trampoline_kernelINS0_14default_configENS1_25partition_config_selectorILNS1_17partition_subalgoE2EyNS0_10empty_typeEbEEZZNS1_14partition_implILS5_2ELb0ES3_jN6thrust23THRUST_200600_302600_NS6detail15normal_iteratorINSA_7pointerIyNSA_11hip_rocprim3tagENSA_11use_defaultESG_EEEEPS6_NSA_18transform_iteratorI7is_evenIyENSC_INSA_10device_ptrIyEEEESG_SG_EENS0_5tupleIJPySJ_EEENSR_IJSJ_SJ_EEES6_PlJS6_EEE10hipError_tPvRmT3_T4_T5_T6_T7_T9_mT8_P12ihipStream_tbDpT10_ENKUlT_T0_E_clISt17integral_constantIbLb1EES1E_IbLb0EEEEDaS1A_S1B_EUlS1A_E_NS1_11comp_targetILNS1_3genE10ELNS1_11target_archE1200ELNS1_3gpuE4ELNS1_3repE0EEENS1_30default_config_static_selectorELNS0_4arch9wavefront6targetE1EEEvT1_ ; -- Begin function _ZN7rocprim17ROCPRIM_400000_NS6detail17trampoline_kernelINS0_14default_configENS1_25partition_config_selectorILNS1_17partition_subalgoE2EyNS0_10empty_typeEbEEZZNS1_14partition_implILS5_2ELb0ES3_jN6thrust23THRUST_200600_302600_NS6detail15normal_iteratorINSA_7pointerIyNSA_11hip_rocprim3tagENSA_11use_defaultESG_EEEEPS6_NSA_18transform_iteratorI7is_evenIyENSC_INSA_10device_ptrIyEEEESG_SG_EENS0_5tupleIJPySJ_EEENSR_IJSJ_SJ_EEES6_PlJS6_EEE10hipError_tPvRmT3_T4_T5_T6_T7_T9_mT8_P12ihipStream_tbDpT10_ENKUlT_T0_E_clISt17integral_constantIbLb1EES1E_IbLb0EEEEDaS1A_S1B_EUlS1A_E_NS1_11comp_targetILNS1_3genE10ELNS1_11target_archE1200ELNS1_3gpuE4ELNS1_3repE0EEENS1_30default_config_static_selectorELNS0_4arch9wavefront6targetE1EEEvT1_
	.globl	_ZN7rocprim17ROCPRIM_400000_NS6detail17trampoline_kernelINS0_14default_configENS1_25partition_config_selectorILNS1_17partition_subalgoE2EyNS0_10empty_typeEbEEZZNS1_14partition_implILS5_2ELb0ES3_jN6thrust23THRUST_200600_302600_NS6detail15normal_iteratorINSA_7pointerIyNSA_11hip_rocprim3tagENSA_11use_defaultESG_EEEEPS6_NSA_18transform_iteratorI7is_evenIyENSC_INSA_10device_ptrIyEEEESG_SG_EENS0_5tupleIJPySJ_EEENSR_IJSJ_SJ_EEES6_PlJS6_EEE10hipError_tPvRmT3_T4_T5_T6_T7_T9_mT8_P12ihipStream_tbDpT10_ENKUlT_T0_E_clISt17integral_constantIbLb1EES1E_IbLb0EEEEDaS1A_S1B_EUlS1A_E_NS1_11comp_targetILNS1_3genE10ELNS1_11target_archE1200ELNS1_3gpuE4ELNS1_3repE0EEENS1_30default_config_static_selectorELNS0_4arch9wavefront6targetE1EEEvT1_
	.p2align	8
	.type	_ZN7rocprim17ROCPRIM_400000_NS6detail17trampoline_kernelINS0_14default_configENS1_25partition_config_selectorILNS1_17partition_subalgoE2EyNS0_10empty_typeEbEEZZNS1_14partition_implILS5_2ELb0ES3_jN6thrust23THRUST_200600_302600_NS6detail15normal_iteratorINSA_7pointerIyNSA_11hip_rocprim3tagENSA_11use_defaultESG_EEEEPS6_NSA_18transform_iteratorI7is_evenIyENSC_INSA_10device_ptrIyEEEESG_SG_EENS0_5tupleIJPySJ_EEENSR_IJSJ_SJ_EEES6_PlJS6_EEE10hipError_tPvRmT3_T4_T5_T6_T7_T9_mT8_P12ihipStream_tbDpT10_ENKUlT_T0_E_clISt17integral_constantIbLb1EES1E_IbLb0EEEEDaS1A_S1B_EUlS1A_E_NS1_11comp_targetILNS1_3genE10ELNS1_11target_archE1200ELNS1_3gpuE4ELNS1_3repE0EEENS1_30default_config_static_selectorELNS0_4arch9wavefront6targetE1EEEvT1_,@function
_ZN7rocprim17ROCPRIM_400000_NS6detail17trampoline_kernelINS0_14default_configENS1_25partition_config_selectorILNS1_17partition_subalgoE2EyNS0_10empty_typeEbEEZZNS1_14partition_implILS5_2ELb0ES3_jN6thrust23THRUST_200600_302600_NS6detail15normal_iteratorINSA_7pointerIyNSA_11hip_rocprim3tagENSA_11use_defaultESG_EEEEPS6_NSA_18transform_iteratorI7is_evenIyENSC_INSA_10device_ptrIyEEEESG_SG_EENS0_5tupleIJPySJ_EEENSR_IJSJ_SJ_EEES6_PlJS6_EEE10hipError_tPvRmT3_T4_T5_T6_T7_T9_mT8_P12ihipStream_tbDpT10_ENKUlT_T0_E_clISt17integral_constantIbLb1EES1E_IbLb0EEEEDaS1A_S1B_EUlS1A_E_NS1_11comp_targetILNS1_3genE10ELNS1_11target_archE1200ELNS1_3gpuE4ELNS1_3repE0EEENS1_30default_config_static_selectorELNS0_4arch9wavefront6targetE1EEEvT1_: ; @_ZN7rocprim17ROCPRIM_400000_NS6detail17trampoline_kernelINS0_14default_configENS1_25partition_config_selectorILNS1_17partition_subalgoE2EyNS0_10empty_typeEbEEZZNS1_14partition_implILS5_2ELb0ES3_jN6thrust23THRUST_200600_302600_NS6detail15normal_iteratorINSA_7pointerIyNSA_11hip_rocprim3tagENSA_11use_defaultESG_EEEEPS6_NSA_18transform_iteratorI7is_evenIyENSC_INSA_10device_ptrIyEEEESG_SG_EENS0_5tupleIJPySJ_EEENSR_IJSJ_SJ_EEES6_PlJS6_EEE10hipError_tPvRmT3_T4_T5_T6_T7_T9_mT8_P12ihipStream_tbDpT10_ENKUlT_T0_E_clISt17integral_constantIbLb1EES1E_IbLb0EEEEDaS1A_S1B_EUlS1A_E_NS1_11comp_targetILNS1_3genE10ELNS1_11target_archE1200ELNS1_3gpuE4ELNS1_3repE0EEENS1_30default_config_static_selectorELNS0_4arch9wavefront6targetE1EEEvT1_
; %bb.0:
	.section	.rodata,"a",@progbits
	.p2align	6, 0x0
	.amdhsa_kernel _ZN7rocprim17ROCPRIM_400000_NS6detail17trampoline_kernelINS0_14default_configENS1_25partition_config_selectorILNS1_17partition_subalgoE2EyNS0_10empty_typeEbEEZZNS1_14partition_implILS5_2ELb0ES3_jN6thrust23THRUST_200600_302600_NS6detail15normal_iteratorINSA_7pointerIyNSA_11hip_rocprim3tagENSA_11use_defaultESG_EEEEPS6_NSA_18transform_iteratorI7is_evenIyENSC_INSA_10device_ptrIyEEEESG_SG_EENS0_5tupleIJPySJ_EEENSR_IJSJ_SJ_EEES6_PlJS6_EEE10hipError_tPvRmT3_T4_T5_T6_T7_T9_mT8_P12ihipStream_tbDpT10_ENKUlT_T0_E_clISt17integral_constantIbLb1EES1E_IbLb0EEEEDaS1A_S1B_EUlS1A_E_NS1_11comp_targetILNS1_3genE10ELNS1_11target_archE1200ELNS1_3gpuE4ELNS1_3repE0EEENS1_30default_config_static_selectorELNS0_4arch9wavefront6targetE1EEEvT1_
		.amdhsa_group_segment_fixed_size 0
		.amdhsa_private_segment_fixed_size 0
		.amdhsa_kernarg_size 128
		.amdhsa_user_sgpr_count 2
		.amdhsa_user_sgpr_dispatch_ptr 0
		.amdhsa_user_sgpr_queue_ptr 0
		.amdhsa_user_sgpr_kernarg_segment_ptr 1
		.amdhsa_user_sgpr_dispatch_id 0
		.amdhsa_user_sgpr_kernarg_preload_length 0
		.amdhsa_user_sgpr_kernarg_preload_offset 0
		.amdhsa_user_sgpr_private_segment_size 0
		.amdhsa_uses_dynamic_stack 0
		.amdhsa_enable_private_segment 0
		.amdhsa_system_sgpr_workgroup_id_x 1
		.amdhsa_system_sgpr_workgroup_id_y 0
		.amdhsa_system_sgpr_workgroup_id_z 0
		.amdhsa_system_sgpr_workgroup_info 0
		.amdhsa_system_vgpr_workitem_id 0
		.amdhsa_next_free_vgpr 1
		.amdhsa_next_free_sgpr 0
		.amdhsa_accum_offset 4
		.amdhsa_reserve_vcc 0
		.amdhsa_float_round_mode_32 0
		.amdhsa_float_round_mode_16_64 0
		.amdhsa_float_denorm_mode_32 3
		.amdhsa_float_denorm_mode_16_64 3
		.amdhsa_dx10_clamp 1
		.amdhsa_ieee_mode 1
		.amdhsa_fp16_overflow 0
		.amdhsa_tg_split 0
		.amdhsa_exception_fp_ieee_invalid_op 0
		.amdhsa_exception_fp_denorm_src 0
		.amdhsa_exception_fp_ieee_div_zero 0
		.amdhsa_exception_fp_ieee_overflow 0
		.amdhsa_exception_fp_ieee_underflow 0
		.amdhsa_exception_fp_ieee_inexact 0
		.amdhsa_exception_int_div_zero 0
	.end_amdhsa_kernel
	.section	.text._ZN7rocprim17ROCPRIM_400000_NS6detail17trampoline_kernelINS0_14default_configENS1_25partition_config_selectorILNS1_17partition_subalgoE2EyNS0_10empty_typeEbEEZZNS1_14partition_implILS5_2ELb0ES3_jN6thrust23THRUST_200600_302600_NS6detail15normal_iteratorINSA_7pointerIyNSA_11hip_rocprim3tagENSA_11use_defaultESG_EEEEPS6_NSA_18transform_iteratorI7is_evenIyENSC_INSA_10device_ptrIyEEEESG_SG_EENS0_5tupleIJPySJ_EEENSR_IJSJ_SJ_EEES6_PlJS6_EEE10hipError_tPvRmT3_T4_T5_T6_T7_T9_mT8_P12ihipStream_tbDpT10_ENKUlT_T0_E_clISt17integral_constantIbLb1EES1E_IbLb0EEEEDaS1A_S1B_EUlS1A_E_NS1_11comp_targetILNS1_3genE10ELNS1_11target_archE1200ELNS1_3gpuE4ELNS1_3repE0EEENS1_30default_config_static_selectorELNS0_4arch9wavefront6targetE1EEEvT1_,"axG",@progbits,_ZN7rocprim17ROCPRIM_400000_NS6detail17trampoline_kernelINS0_14default_configENS1_25partition_config_selectorILNS1_17partition_subalgoE2EyNS0_10empty_typeEbEEZZNS1_14partition_implILS5_2ELb0ES3_jN6thrust23THRUST_200600_302600_NS6detail15normal_iteratorINSA_7pointerIyNSA_11hip_rocprim3tagENSA_11use_defaultESG_EEEEPS6_NSA_18transform_iteratorI7is_evenIyENSC_INSA_10device_ptrIyEEEESG_SG_EENS0_5tupleIJPySJ_EEENSR_IJSJ_SJ_EEES6_PlJS6_EEE10hipError_tPvRmT3_T4_T5_T6_T7_T9_mT8_P12ihipStream_tbDpT10_ENKUlT_T0_E_clISt17integral_constantIbLb1EES1E_IbLb0EEEEDaS1A_S1B_EUlS1A_E_NS1_11comp_targetILNS1_3genE10ELNS1_11target_archE1200ELNS1_3gpuE4ELNS1_3repE0EEENS1_30default_config_static_selectorELNS0_4arch9wavefront6targetE1EEEvT1_,comdat
.Lfunc_end2025:
	.size	_ZN7rocprim17ROCPRIM_400000_NS6detail17trampoline_kernelINS0_14default_configENS1_25partition_config_selectorILNS1_17partition_subalgoE2EyNS0_10empty_typeEbEEZZNS1_14partition_implILS5_2ELb0ES3_jN6thrust23THRUST_200600_302600_NS6detail15normal_iteratorINSA_7pointerIyNSA_11hip_rocprim3tagENSA_11use_defaultESG_EEEEPS6_NSA_18transform_iteratorI7is_evenIyENSC_INSA_10device_ptrIyEEEESG_SG_EENS0_5tupleIJPySJ_EEENSR_IJSJ_SJ_EEES6_PlJS6_EEE10hipError_tPvRmT3_T4_T5_T6_T7_T9_mT8_P12ihipStream_tbDpT10_ENKUlT_T0_E_clISt17integral_constantIbLb1EES1E_IbLb0EEEEDaS1A_S1B_EUlS1A_E_NS1_11comp_targetILNS1_3genE10ELNS1_11target_archE1200ELNS1_3gpuE4ELNS1_3repE0EEENS1_30default_config_static_selectorELNS0_4arch9wavefront6targetE1EEEvT1_, .Lfunc_end2025-_ZN7rocprim17ROCPRIM_400000_NS6detail17trampoline_kernelINS0_14default_configENS1_25partition_config_selectorILNS1_17partition_subalgoE2EyNS0_10empty_typeEbEEZZNS1_14partition_implILS5_2ELb0ES3_jN6thrust23THRUST_200600_302600_NS6detail15normal_iteratorINSA_7pointerIyNSA_11hip_rocprim3tagENSA_11use_defaultESG_EEEEPS6_NSA_18transform_iteratorI7is_evenIyENSC_INSA_10device_ptrIyEEEESG_SG_EENS0_5tupleIJPySJ_EEENSR_IJSJ_SJ_EEES6_PlJS6_EEE10hipError_tPvRmT3_T4_T5_T6_T7_T9_mT8_P12ihipStream_tbDpT10_ENKUlT_T0_E_clISt17integral_constantIbLb1EES1E_IbLb0EEEEDaS1A_S1B_EUlS1A_E_NS1_11comp_targetILNS1_3genE10ELNS1_11target_archE1200ELNS1_3gpuE4ELNS1_3repE0EEENS1_30default_config_static_selectorELNS0_4arch9wavefront6targetE1EEEvT1_
                                        ; -- End function
	.section	.AMDGPU.csdata,"",@progbits
; Kernel info:
; codeLenInByte = 0
; NumSgprs: 6
; NumVgprs: 0
; NumAgprs: 0
; TotalNumVgprs: 0
; ScratchSize: 0
; MemoryBound: 0
; FloatMode: 240
; IeeeMode: 1
; LDSByteSize: 0 bytes/workgroup (compile time only)
; SGPRBlocks: 0
; VGPRBlocks: 0
; NumSGPRsForWavesPerEU: 6
; NumVGPRsForWavesPerEU: 1
; AccumOffset: 4
; Occupancy: 8
; WaveLimiterHint : 0
; COMPUTE_PGM_RSRC2:SCRATCH_EN: 0
; COMPUTE_PGM_RSRC2:USER_SGPR: 2
; COMPUTE_PGM_RSRC2:TRAP_HANDLER: 0
; COMPUTE_PGM_RSRC2:TGID_X_EN: 1
; COMPUTE_PGM_RSRC2:TGID_Y_EN: 0
; COMPUTE_PGM_RSRC2:TGID_Z_EN: 0
; COMPUTE_PGM_RSRC2:TIDIG_COMP_CNT: 0
; COMPUTE_PGM_RSRC3_GFX90A:ACCUM_OFFSET: 0
; COMPUTE_PGM_RSRC3_GFX90A:TG_SPLIT: 0
	.section	.text._ZN7rocprim17ROCPRIM_400000_NS6detail17trampoline_kernelINS0_14default_configENS1_25partition_config_selectorILNS1_17partition_subalgoE2EyNS0_10empty_typeEbEEZZNS1_14partition_implILS5_2ELb0ES3_jN6thrust23THRUST_200600_302600_NS6detail15normal_iteratorINSA_7pointerIyNSA_11hip_rocprim3tagENSA_11use_defaultESG_EEEEPS6_NSA_18transform_iteratorI7is_evenIyENSC_INSA_10device_ptrIyEEEESG_SG_EENS0_5tupleIJPySJ_EEENSR_IJSJ_SJ_EEES6_PlJS6_EEE10hipError_tPvRmT3_T4_T5_T6_T7_T9_mT8_P12ihipStream_tbDpT10_ENKUlT_T0_E_clISt17integral_constantIbLb1EES1E_IbLb0EEEEDaS1A_S1B_EUlS1A_E_NS1_11comp_targetILNS1_3genE9ELNS1_11target_archE1100ELNS1_3gpuE3ELNS1_3repE0EEENS1_30default_config_static_selectorELNS0_4arch9wavefront6targetE1EEEvT1_,"axG",@progbits,_ZN7rocprim17ROCPRIM_400000_NS6detail17trampoline_kernelINS0_14default_configENS1_25partition_config_selectorILNS1_17partition_subalgoE2EyNS0_10empty_typeEbEEZZNS1_14partition_implILS5_2ELb0ES3_jN6thrust23THRUST_200600_302600_NS6detail15normal_iteratorINSA_7pointerIyNSA_11hip_rocprim3tagENSA_11use_defaultESG_EEEEPS6_NSA_18transform_iteratorI7is_evenIyENSC_INSA_10device_ptrIyEEEESG_SG_EENS0_5tupleIJPySJ_EEENSR_IJSJ_SJ_EEES6_PlJS6_EEE10hipError_tPvRmT3_T4_T5_T6_T7_T9_mT8_P12ihipStream_tbDpT10_ENKUlT_T0_E_clISt17integral_constantIbLb1EES1E_IbLb0EEEEDaS1A_S1B_EUlS1A_E_NS1_11comp_targetILNS1_3genE9ELNS1_11target_archE1100ELNS1_3gpuE3ELNS1_3repE0EEENS1_30default_config_static_selectorELNS0_4arch9wavefront6targetE1EEEvT1_,comdat
	.protected	_ZN7rocprim17ROCPRIM_400000_NS6detail17trampoline_kernelINS0_14default_configENS1_25partition_config_selectorILNS1_17partition_subalgoE2EyNS0_10empty_typeEbEEZZNS1_14partition_implILS5_2ELb0ES3_jN6thrust23THRUST_200600_302600_NS6detail15normal_iteratorINSA_7pointerIyNSA_11hip_rocprim3tagENSA_11use_defaultESG_EEEEPS6_NSA_18transform_iteratorI7is_evenIyENSC_INSA_10device_ptrIyEEEESG_SG_EENS0_5tupleIJPySJ_EEENSR_IJSJ_SJ_EEES6_PlJS6_EEE10hipError_tPvRmT3_T4_T5_T6_T7_T9_mT8_P12ihipStream_tbDpT10_ENKUlT_T0_E_clISt17integral_constantIbLb1EES1E_IbLb0EEEEDaS1A_S1B_EUlS1A_E_NS1_11comp_targetILNS1_3genE9ELNS1_11target_archE1100ELNS1_3gpuE3ELNS1_3repE0EEENS1_30default_config_static_selectorELNS0_4arch9wavefront6targetE1EEEvT1_ ; -- Begin function _ZN7rocprim17ROCPRIM_400000_NS6detail17trampoline_kernelINS0_14default_configENS1_25partition_config_selectorILNS1_17partition_subalgoE2EyNS0_10empty_typeEbEEZZNS1_14partition_implILS5_2ELb0ES3_jN6thrust23THRUST_200600_302600_NS6detail15normal_iteratorINSA_7pointerIyNSA_11hip_rocprim3tagENSA_11use_defaultESG_EEEEPS6_NSA_18transform_iteratorI7is_evenIyENSC_INSA_10device_ptrIyEEEESG_SG_EENS0_5tupleIJPySJ_EEENSR_IJSJ_SJ_EEES6_PlJS6_EEE10hipError_tPvRmT3_T4_T5_T6_T7_T9_mT8_P12ihipStream_tbDpT10_ENKUlT_T0_E_clISt17integral_constantIbLb1EES1E_IbLb0EEEEDaS1A_S1B_EUlS1A_E_NS1_11comp_targetILNS1_3genE9ELNS1_11target_archE1100ELNS1_3gpuE3ELNS1_3repE0EEENS1_30default_config_static_selectorELNS0_4arch9wavefront6targetE1EEEvT1_
	.globl	_ZN7rocprim17ROCPRIM_400000_NS6detail17trampoline_kernelINS0_14default_configENS1_25partition_config_selectorILNS1_17partition_subalgoE2EyNS0_10empty_typeEbEEZZNS1_14partition_implILS5_2ELb0ES3_jN6thrust23THRUST_200600_302600_NS6detail15normal_iteratorINSA_7pointerIyNSA_11hip_rocprim3tagENSA_11use_defaultESG_EEEEPS6_NSA_18transform_iteratorI7is_evenIyENSC_INSA_10device_ptrIyEEEESG_SG_EENS0_5tupleIJPySJ_EEENSR_IJSJ_SJ_EEES6_PlJS6_EEE10hipError_tPvRmT3_T4_T5_T6_T7_T9_mT8_P12ihipStream_tbDpT10_ENKUlT_T0_E_clISt17integral_constantIbLb1EES1E_IbLb0EEEEDaS1A_S1B_EUlS1A_E_NS1_11comp_targetILNS1_3genE9ELNS1_11target_archE1100ELNS1_3gpuE3ELNS1_3repE0EEENS1_30default_config_static_selectorELNS0_4arch9wavefront6targetE1EEEvT1_
	.p2align	8
	.type	_ZN7rocprim17ROCPRIM_400000_NS6detail17trampoline_kernelINS0_14default_configENS1_25partition_config_selectorILNS1_17partition_subalgoE2EyNS0_10empty_typeEbEEZZNS1_14partition_implILS5_2ELb0ES3_jN6thrust23THRUST_200600_302600_NS6detail15normal_iteratorINSA_7pointerIyNSA_11hip_rocprim3tagENSA_11use_defaultESG_EEEEPS6_NSA_18transform_iteratorI7is_evenIyENSC_INSA_10device_ptrIyEEEESG_SG_EENS0_5tupleIJPySJ_EEENSR_IJSJ_SJ_EEES6_PlJS6_EEE10hipError_tPvRmT3_T4_T5_T6_T7_T9_mT8_P12ihipStream_tbDpT10_ENKUlT_T0_E_clISt17integral_constantIbLb1EES1E_IbLb0EEEEDaS1A_S1B_EUlS1A_E_NS1_11comp_targetILNS1_3genE9ELNS1_11target_archE1100ELNS1_3gpuE3ELNS1_3repE0EEENS1_30default_config_static_selectorELNS0_4arch9wavefront6targetE1EEEvT1_,@function
_ZN7rocprim17ROCPRIM_400000_NS6detail17trampoline_kernelINS0_14default_configENS1_25partition_config_selectorILNS1_17partition_subalgoE2EyNS0_10empty_typeEbEEZZNS1_14partition_implILS5_2ELb0ES3_jN6thrust23THRUST_200600_302600_NS6detail15normal_iteratorINSA_7pointerIyNSA_11hip_rocprim3tagENSA_11use_defaultESG_EEEEPS6_NSA_18transform_iteratorI7is_evenIyENSC_INSA_10device_ptrIyEEEESG_SG_EENS0_5tupleIJPySJ_EEENSR_IJSJ_SJ_EEES6_PlJS6_EEE10hipError_tPvRmT3_T4_T5_T6_T7_T9_mT8_P12ihipStream_tbDpT10_ENKUlT_T0_E_clISt17integral_constantIbLb1EES1E_IbLb0EEEEDaS1A_S1B_EUlS1A_E_NS1_11comp_targetILNS1_3genE9ELNS1_11target_archE1100ELNS1_3gpuE3ELNS1_3repE0EEENS1_30default_config_static_selectorELNS0_4arch9wavefront6targetE1EEEvT1_: ; @_ZN7rocprim17ROCPRIM_400000_NS6detail17trampoline_kernelINS0_14default_configENS1_25partition_config_selectorILNS1_17partition_subalgoE2EyNS0_10empty_typeEbEEZZNS1_14partition_implILS5_2ELb0ES3_jN6thrust23THRUST_200600_302600_NS6detail15normal_iteratorINSA_7pointerIyNSA_11hip_rocprim3tagENSA_11use_defaultESG_EEEEPS6_NSA_18transform_iteratorI7is_evenIyENSC_INSA_10device_ptrIyEEEESG_SG_EENS0_5tupleIJPySJ_EEENSR_IJSJ_SJ_EEES6_PlJS6_EEE10hipError_tPvRmT3_T4_T5_T6_T7_T9_mT8_P12ihipStream_tbDpT10_ENKUlT_T0_E_clISt17integral_constantIbLb1EES1E_IbLb0EEEEDaS1A_S1B_EUlS1A_E_NS1_11comp_targetILNS1_3genE9ELNS1_11target_archE1100ELNS1_3gpuE3ELNS1_3repE0EEENS1_30default_config_static_selectorELNS0_4arch9wavefront6targetE1EEEvT1_
; %bb.0:
	.section	.rodata,"a",@progbits
	.p2align	6, 0x0
	.amdhsa_kernel _ZN7rocprim17ROCPRIM_400000_NS6detail17trampoline_kernelINS0_14default_configENS1_25partition_config_selectorILNS1_17partition_subalgoE2EyNS0_10empty_typeEbEEZZNS1_14partition_implILS5_2ELb0ES3_jN6thrust23THRUST_200600_302600_NS6detail15normal_iteratorINSA_7pointerIyNSA_11hip_rocprim3tagENSA_11use_defaultESG_EEEEPS6_NSA_18transform_iteratorI7is_evenIyENSC_INSA_10device_ptrIyEEEESG_SG_EENS0_5tupleIJPySJ_EEENSR_IJSJ_SJ_EEES6_PlJS6_EEE10hipError_tPvRmT3_T4_T5_T6_T7_T9_mT8_P12ihipStream_tbDpT10_ENKUlT_T0_E_clISt17integral_constantIbLb1EES1E_IbLb0EEEEDaS1A_S1B_EUlS1A_E_NS1_11comp_targetILNS1_3genE9ELNS1_11target_archE1100ELNS1_3gpuE3ELNS1_3repE0EEENS1_30default_config_static_selectorELNS0_4arch9wavefront6targetE1EEEvT1_
		.amdhsa_group_segment_fixed_size 0
		.amdhsa_private_segment_fixed_size 0
		.amdhsa_kernarg_size 128
		.amdhsa_user_sgpr_count 2
		.amdhsa_user_sgpr_dispatch_ptr 0
		.amdhsa_user_sgpr_queue_ptr 0
		.amdhsa_user_sgpr_kernarg_segment_ptr 1
		.amdhsa_user_sgpr_dispatch_id 0
		.amdhsa_user_sgpr_kernarg_preload_length 0
		.amdhsa_user_sgpr_kernarg_preload_offset 0
		.amdhsa_user_sgpr_private_segment_size 0
		.amdhsa_uses_dynamic_stack 0
		.amdhsa_enable_private_segment 0
		.amdhsa_system_sgpr_workgroup_id_x 1
		.amdhsa_system_sgpr_workgroup_id_y 0
		.amdhsa_system_sgpr_workgroup_id_z 0
		.amdhsa_system_sgpr_workgroup_info 0
		.amdhsa_system_vgpr_workitem_id 0
		.amdhsa_next_free_vgpr 1
		.amdhsa_next_free_sgpr 0
		.amdhsa_accum_offset 4
		.amdhsa_reserve_vcc 0
		.amdhsa_float_round_mode_32 0
		.amdhsa_float_round_mode_16_64 0
		.amdhsa_float_denorm_mode_32 3
		.amdhsa_float_denorm_mode_16_64 3
		.amdhsa_dx10_clamp 1
		.amdhsa_ieee_mode 1
		.amdhsa_fp16_overflow 0
		.amdhsa_tg_split 0
		.amdhsa_exception_fp_ieee_invalid_op 0
		.amdhsa_exception_fp_denorm_src 0
		.amdhsa_exception_fp_ieee_div_zero 0
		.amdhsa_exception_fp_ieee_overflow 0
		.amdhsa_exception_fp_ieee_underflow 0
		.amdhsa_exception_fp_ieee_inexact 0
		.amdhsa_exception_int_div_zero 0
	.end_amdhsa_kernel
	.section	.text._ZN7rocprim17ROCPRIM_400000_NS6detail17trampoline_kernelINS0_14default_configENS1_25partition_config_selectorILNS1_17partition_subalgoE2EyNS0_10empty_typeEbEEZZNS1_14partition_implILS5_2ELb0ES3_jN6thrust23THRUST_200600_302600_NS6detail15normal_iteratorINSA_7pointerIyNSA_11hip_rocprim3tagENSA_11use_defaultESG_EEEEPS6_NSA_18transform_iteratorI7is_evenIyENSC_INSA_10device_ptrIyEEEESG_SG_EENS0_5tupleIJPySJ_EEENSR_IJSJ_SJ_EEES6_PlJS6_EEE10hipError_tPvRmT3_T4_T5_T6_T7_T9_mT8_P12ihipStream_tbDpT10_ENKUlT_T0_E_clISt17integral_constantIbLb1EES1E_IbLb0EEEEDaS1A_S1B_EUlS1A_E_NS1_11comp_targetILNS1_3genE9ELNS1_11target_archE1100ELNS1_3gpuE3ELNS1_3repE0EEENS1_30default_config_static_selectorELNS0_4arch9wavefront6targetE1EEEvT1_,"axG",@progbits,_ZN7rocprim17ROCPRIM_400000_NS6detail17trampoline_kernelINS0_14default_configENS1_25partition_config_selectorILNS1_17partition_subalgoE2EyNS0_10empty_typeEbEEZZNS1_14partition_implILS5_2ELb0ES3_jN6thrust23THRUST_200600_302600_NS6detail15normal_iteratorINSA_7pointerIyNSA_11hip_rocprim3tagENSA_11use_defaultESG_EEEEPS6_NSA_18transform_iteratorI7is_evenIyENSC_INSA_10device_ptrIyEEEESG_SG_EENS0_5tupleIJPySJ_EEENSR_IJSJ_SJ_EEES6_PlJS6_EEE10hipError_tPvRmT3_T4_T5_T6_T7_T9_mT8_P12ihipStream_tbDpT10_ENKUlT_T0_E_clISt17integral_constantIbLb1EES1E_IbLb0EEEEDaS1A_S1B_EUlS1A_E_NS1_11comp_targetILNS1_3genE9ELNS1_11target_archE1100ELNS1_3gpuE3ELNS1_3repE0EEENS1_30default_config_static_selectorELNS0_4arch9wavefront6targetE1EEEvT1_,comdat
.Lfunc_end2026:
	.size	_ZN7rocprim17ROCPRIM_400000_NS6detail17trampoline_kernelINS0_14default_configENS1_25partition_config_selectorILNS1_17partition_subalgoE2EyNS0_10empty_typeEbEEZZNS1_14partition_implILS5_2ELb0ES3_jN6thrust23THRUST_200600_302600_NS6detail15normal_iteratorINSA_7pointerIyNSA_11hip_rocprim3tagENSA_11use_defaultESG_EEEEPS6_NSA_18transform_iteratorI7is_evenIyENSC_INSA_10device_ptrIyEEEESG_SG_EENS0_5tupleIJPySJ_EEENSR_IJSJ_SJ_EEES6_PlJS6_EEE10hipError_tPvRmT3_T4_T5_T6_T7_T9_mT8_P12ihipStream_tbDpT10_ENKUlT_T0_E_clISt17integral_constantIbLb1EES1E_IbLb0EEEEDaS1A_S1B_EUlS1A_E_NS1_11comp_targetILNS1_3genE9ELNS1_11target_archE1100ELNS1_3gpuE3ELNS1_3repE0EEENS1_30default_config_static_selectorELNS0_4arch9wavefront6targetE1EEEvT1_, .Lfunc_end2026-_ZN7rocprim17ROCPRIM_400000_NS6detail17trampoline_kernelINS0_14default_configENS1_25partition_config_selectorILNS1_17partition_subalgoE2EyNS0_10empty_typeEbEEZZNS1_14partition_implILS5_2ELb0ES3_jN6thrust23THRUST_200600_302600_NS6detail15normal_iteratorINSA_7pointerIyNSA_11hip_rocprim3tagENSA_11use_defaultESG_EEEEPS6_NSA_18transform_iteratorI7is_evenIyENSC_INSA_10device_ptrIyEEEESG_SG_EENS0_5tupleIJPySJ_EEENSR_IJSJ_SJ_EEES6_PlJS6_EEE10hipError_tPvRmT3_T4_T5_T6_T7_T9_mT8_P12ihipStream_tbDpT10_ENKUlT_T0_E_clISt17integral_constantIbLb1EES1E_IbLb0EEEEDaS1A_S1B_EUlS1A_E_NS1_11comp_targetILNS1_3genE9ELNS1_11target_archE1100ELNS1_3gpuE3ELNS1_3repE0EEENS1_30default_config_static_selectorELNS0_4arch9wavefront6targetE1EEEvT1_
                                        ; -- End function
	.section	.AMDGPU.csdata,"",@progbits
; Kernel info:
; codeLenInByte = 0
; NumSgprs: 6
; NumVgprs: 0
; NumAgprs: 0
; TotalNumVgprs: 0
; ScratchSize: 0
; MemoryBound: 0
; FloatMode: 240
; IeeeMode: 1
; LDSByteSize: 0 bytes/workgroup (compile time only)
; SGPRBlocks: 0
; VGPRBlocks: 0
; NumSGPRsForWavesPerEU: 6
; NumVGPRsForWavesPerEU: 1
; AccumOffset: 4
; Occupancy: 8
; WaveLimiterHint : 0
; COMPUTE_PGM_RSRC2:SCRATCH_EN: 0
; COMPUTE_PGM_RSRC2:USER_SGPR: 2
; COMPUTE_PGM_RSRC2:TRAP_HANDLER: 0
; COMPUTE_PGM_RSRC2:TGID_X_EN: 1
; COMPUTE_PGM_RSRC2:TGID_Y_EN: 0
; COMPUTE_PGM_RSRC2:TGID_Z_EN: 0
; COMPUTE_PGM_RSRC2:TIDIG_COMP_CNT: 0
; COMPUTE_PGM_RSRC3_GFX90A:ACCUM_OFFSET: 0
; COMPUTE_PGM_RSRC3_GFX90A:TG_SPLIT: 0
	.section	.text._ZN7rocprim17ROCPRIM_400000_NS6detail17trampoline_kernelINS0_14default_configENS1_25partition_config_selectorILNS1_17partition_subalgoE2EyNS0_10empty_typeEbEEZZNS1_14partition_implILS5_2ELb0ES3_jN6thrust23THRUST_200600_302600_NS6detail15normal_iteratorINSA_7pointerIyNSA_11hip_rocprim3tagENSA_11use_defaultESG_EEEEPS6_NSA_18transform_iteratorI7is_evenIyENSC_INSA_10device_ptrIyEEEESG_SG_EENS0_5tupleIJPySJ_EEENSR_IJSJ_SJ_EEES6_PlJS6_EEE10hipError_tPvRmT3_T4_T5_T6_T7_T9_mT8_P12ihipStream_tbDpT10_ENKUlT_T0_E_clISt17integral_constantIbLb1EES1E_IbLb0EEEEDaS1A_S1B_EUlS1A_E_NS1_11comp_targetILNS1_3genE8ELNS1_11target_archE1030ELNS1_3gpuE2ELNS1_3repE0EEENS1_30default_config_static_selectorELNS0_4arch9wavefront6targetE1EEEvT1_,"axG",@progbits,_ZN7rocprim17ROCPRIM_400000_NS6detail17trampoline_kernelINS0_14default_configENS1_25partition_config_selectorILNS1_17partition_subalgoE2EyNS0_10empty_typeEbEEZZNS1_14partition_implILS5_2ELb0ES3_jN6thrust23THRUST_200600_302600_NS6detail15normal_iteratorINSA_7pointerIyNSA_11hip_rocprim3tagENSA_11use_defaultESG_EEEEPS6_NSA_18transform_iteratorI7is_evenIyENSC_INSA_10device_ptrIyEEEESG_SG_EENS0_5tupleIJPySJ_EEENSR_IJSJ_SJ_EEES6_PlJS6_EEE10hipError_tPvRmT3_T4_T5_T6_T7_T9_mT8_P12ihipStream_tbDpT10_ENKUlT_T0_E_clISt17integral_constantIbLb1EES1E_IbLb0EEEEDaS1A_S1B_EUlS1A_E_NS1_11comp_targetILNS1_3genE8ELNS1_11target_archE1030ELNS1_3gpuE2ELNS1_3repE0EEENS1_30default_config_static_selectorELNS0_4arch9wavefront6targetE1EEEvT1_,comdat
	.protected	_ZN7rocprim17ROCPRIM_400000_NS6detail17trampoline_kernelINS0_14default_configENS1_25partition_config_selectorILNS1_17partition_subalgoE2EyNS0_10empty_typeEbEEZZNS1_14partition_implILS5_2ELb0ES3_jN6thrust23THRUST_200600_302600_NS6detail15normal_iteratorINSA_7pointerIyNSA_11hip_rocprim3tagENSA_11use_defaultESG_EEEEPS6_NSA_18transform_iteratorI7is_evenIyENSC_INSA_10device_ptrIyEEEESG_SG_EENS0_5tupleIJPySJ_EEENSR_IJSJ_SJ_EEES6_PlJS6_EEE10hipError_tPvRmT3_T4_T5_T6_T7_T9_mT8_P12ihipStream_tbDpT10_ENKUlT_T0_E_clISt17integral_constantIbLb1EES1E_IbLb0EEEEDaS1A_S1B_EUlS1A_E_NS1_11comp_targetILNS1_3genE8ELNS1_11target_archE1030ELNS1_3gpuE2ELNS1_3repE0EEENS1_30default_config_static_selectorELNS0_4arch9wavefront6targetE1EEEvT1_ ; -- Begin function _ZN7rocprim17ROCPRIM_400000_NS6detail17trampoline_kernelINS0_14default_configENS1_25partition_config_selectorILNS1_17partition_subalgoE2EyNS0_10empty_typeEbEEZZNS1_14partition_implILS5_2ELb0ES3_jN6thrust23THRUST_200600_302600_NS6detail15normal_iteratorINSA_7pointerIyNSA_11hip_rocprim3tagENSA_11use_defaultESG_EEEEPS6_NSA_18transform_iteratorI7is_evenIyENSC_INSA_10device_ptrIyEEEESG_SG_EENS0_5tupleIJPySJ_EEENSR_IJSJ_SJ_EEES6_PlJS6_EEE10hipError_tPvRmT3_T4_T5_T6_T7_T9_mT8_P12ihipStream_tbDpT10_ENKUlT_T0_E_clISt17integral_constantIbLb1EES1E_IbLb0EEEEDaS1A_S1B_EUlS1A_E_NS1_11comp_targetILNS1_3genE8ELNS1_11target_archE1030ELNS1_3gpuE2ELNS1_3repE0EEENS1_30default_config_static_selectorELNS0_4arch9wavefront6targetE1EEEvT1_
	.globl	_ZN7rocprim17ROCPRIM_400000_NS6detail17trampoline_kernelINS0_14default_configENS1_25partition_config_selectorILNS1_17partition_subalgoE2EyNS0_10empty_typeEbEEZZNS1_14partition_implILS5_2ELb0ES3_jN6thrust23THRUST_200600_302600_NS6detail15normal_iteratorINSA_7pointerIyNSA_11hip_rocprim3tagENSA_11use_defaultESG_EEEEPS6_NSA_18transform_iteratorI7is_evenIyENSC_INSA_10device_ptrIyEEEESG_SG_EENS0_5tupleIJPySJ_EEENSR_IJSJ_SJ_EEES6_PlJS6_EEE10hipError_tPvRmT3_T4_T5_T6_T7_T9_mT8_P12ihipStream_tbDpT10_ENKUlT_T0_E_clISt17integral_constantIbLb1EES1E_IbLb0EEEEDaS1A_S1B_EUlS1A_E_NS1_11comp_targetILNS1_3genE8ELNS1_11target_archE1030ELNS1_3gpuE2ELNS1_3repE0EEENS1_30default_config_static_selectorELNS0_4arch9wavefront6targetE1EEEvT1_
	.p2align	8
	.type	_ZN7rocprim17ROCPRIM_400000_NS6detail17trampoline_kernelINS0_14default_configENS1_25partition_config_selectorILNS1_17partition_subalgoE2EyNS0_10empty_typeEbEEZZNS1_14partition_implILS5_2ELb0ES3_jN6thrust23THRUST_200600_302600_NS6detail15normal_iteratorINSA_7pointerIyNSA_11hip_rocprim3tagENSA_11use_defaultESG_EEEEPS6_NSA_18transform_iteratorI7is_evenIyENSC_INSA_10device_ptrIyEEEESG_SG_EENS0_5tupleIJPySJ_EEENSR_IJSJ_SJ_EEES6_PlJS6_EEE10hipError_tPvRmT3_T4_T5_T6_T7_T9_mT8_P12ihipStream_tbDpT10_ENKUlT_T0_E_clISt17integral_constantIbLb1EES1E_IbLb0EEEEDaS1A_S1B_EUlS1A_E_NS1_11comp_targetILNS1_3genE8ELNS1_11target_archE1030ELNS1_3gpuE2ELNS1_3repE0EEENS1_30default_config_static_selectorELNS0_4arch9wavefront6targetE1EEEvT1_,@function
_ZN7rocprim17ROCPRIM_400000_NS6detail17trampoline_kernelINS0_14default_configENS1_25partition_config_selectorILNS1_17partition_subalgoE2EyNS0_10empty_typeEbEEZZNS1_14partition_implILS5_2ELb0ES3_jN6thrust23THRUST_200600_302600_NS6detail15normal_iteratorINSA_7pointerIyNSA_11hip_rocprim3tagENSA_11use_defaultESG_EEEEPS6_NSA_18transform_iteratorI7is_evenIyENSC_INSA_10device_ptrIyEEEESG_SG_EENS0_5tupleIJPySJ_EEENSR_IJSJ_SJ_EEES6_PlJS6_EEE10hipError_tPvRmT3_T4_T5_T6_T7_T9_mT8_P12ihipStream_tbDpT10_ENKUlT_T0_E_clISt17integral_constantIbLb1EES1E_IbLb0EEEEDaS1A_S1B_EUlS1A_E_NS1_11comp_targetILNS1_3genE8ELNS1_11target_archE1030ELNS1_3gpuE2ELNS1_3repE0EEENS1_30default_config_static_selectorELNS0_4arch9wavefront6targetE1EEEvT1_: ; @_ZN7rocprim17ROCPRIM_400000_NS6detail17trampoline_kernelINS0_14default_configENS1_25partition_config_selectorILNS1_17partition_subalgoE2EyNS0_10empty_typeEbEEZZNS1_14partition_implILS5_2ELb0ES3_jN6thrust23THRUST_200600_302600_NS6detail15normal_iteratorINSA_7pointerIyNSA_11hip_rocprim3tagENSA_11use_defaultESG_EEEEPS6_NSA_18transform_iteratorI7is_evenIyENSC_INSA_10device_ptrIyEEEESG_SG_EENS0_5tupleIJPySJ_EEENSR_IJSJ_SJ_EEES6_PlJS6_EEE10hipError_tPvRmT3_T4_T5_T6_T7_T9_mT8_P12ihipStream_tbDpT10_ENKUlT_T0_E_clISt17integral_constantIbLb1EES1E_IbLb0EEEEDaS1A_S1B_EUlS1A_E_NS1_11comp_targetILNS1_3genE8ELNS1_11target_archE1030ELNS1_3gpuE2ELNS1_3repE0EEENS1_30default_config_static_selectorELNS0_4arch9wavefront6targetE1EEEvT1_
; %bb.0:
	.section	.rodata,"a",@progbits
	.p2align	6, 0x0
	.amdhsa_kernel _ZN7rocprim17ROCPRIM_400000_NS6detail17trampoline_kernelINS0_14default_configENS1_25partition_config_selectorILNS1_17partition_subalgoE2EyNS0_10empty_typeEbEEZZNS1_14partition_implILS5_2ELb0ES3_jN6thrust23THRUST_200600_302600_NS6detail15normal_iteratorINSA_7pointerIyNSA_11hip_rocprim3tagENSA_11use_defaultESG_EEEEPS6_NSA_18transform_iteratorI7is_evenIyENSC_INSA_10device_ptrIyEEEESG_SG_EENS0_5tupleIJPySJ_EEENSR_IJSJ_SJ_EEES6_PlJS6_EEE10hipError_tPvRmT3_T4_T5_T6_T7_T9_mT8_P12ihipStream_tbDpT10_ENKUlT_T0_E_clISt17integral_constantIbLb1EES1E_IbLb0EEEEDaS1A_S1B_EUlS1A_E_NS1_11comp_targetILNS1_3genE8ELNS1_11target_archE1030ELNS1_3gpuE2ELNS1_3repE0EEENS1_30default_config_static_selectorELNS0_4arch9wavefront6targetE1EEEvT1_
		.amdhsa_group_segment_fixed_size 0
		.amdhsa_private_segment_fixed_size 0
		.amdhsa_kernarg_size 128
		.amdhsa_user_sgpr_count 2
		.amdhsa_user_sgpr_dispatch_ptr 0
		.amdhsa_user_sgpr_queue_ptr 0
		.amdhsa_user_sgpr_kernarg_segment_ptr 1
		.amdhsa_user_sgpr_dispatch_id 0
		.amdhsa_user_sgpr_kernarg_preload_length 0
		.amdhsa_user_sgpr_kernarg_preload_offset 0
		.amdhsa_user_sgpr_private_segment_size 0
		.amdhsa_uses_dynamic_stack 0
		.amdhsa_enable_private_segment 0
		.amdhsa_system_sgpr_workgroup_id_x 1
		.amdhsa_system_sgpr_workgroup_id_y 0
		.amdhsa_system_sgpr_workgroup_id_z 0
		.amdhsa_system_sgpr_workgroup_info 0
		.amdhsa_system_vgpr_workitem_id 0
		.amdhsa_next_free_vgpr 1
		.amdhsa_next_free_sgpr 0
		.amdhsa_accum_offset 4
		.amdhsa_reserve_vcc 0
		.amdhsa_float_round_mode_32 0
		.amdhsa_float_round_mode_16_64 0
		.amdhsa_float_denorm_mode_32 3
		.amdhsa_float_denorm_mode_16_64 3
		.amdhsa_dx10_clamp 1
		.amdhsa_ieee_mode 1
		.amdhsa_fp16_overflow 0
		.amdhsa_tg_split 0
		.amdhsa_exception_fp_ieee_invalid_op 0
		.amdhsa_exception_fp_denorm_src 0
		.amdhsa_exception_fp_ieee_div_zero 0
		.amdhsa_exception_fp_ieee_overflow 0
		.amdhsa_exception_fp_ieee_underflow 0
		.amdhsa_exception_fp_ieee_inexact 0
		.amdhsa_exception_int_div_zero 0
	.end_amdhsa_kernel
	.section	.text._ZN7rocprim17ROCPRIM_400000_NS6detail17trampoline_kernelINS0_14default_configENS1_25partition_config_selectorILNS1_17partition_subalgoE2EyNS0_10empty_typeEbEEZZNS1_14partition_implILS5_2ELb0ES3_jN6thrust23THRUST_200600_302600_NS6detail15normal_iteratorINSA_7pointerIyNSA_11hip_rocprim3tagENSA_11use_defaultESG_EEEEPS6_NSA_18transform_iteratorI7is_evenIyENSC_INSA_10device_ptrIyEEEESG_SG_EENS0_5tupleIJPySJ_EEENSR_IJSJ_SJ_EEES6_PlJS6_EEE10hipError_tPvRmT3_T4_T5_T6_T7_T9_mT8_P12ihipStream_tbDpT10_ENKUlT_T0_E_clISt17integral_constantIbLb1EES1E_IbLb0EEEEDaS1A_S1B_EUlS1A_E_NS1_11comp_targetILNS1_3genE8ELNS1_11target_archE1030ELNS1_3gpuE2ELNS1_3repE0EEENS1_30default_config_static_selectorELNS0_4arch9wavefront6targetE1EEEvT1_,"axG",@progbits,_ZN7rocprim17ROCPRIM_400000_NS6detail17trampoline_kernelINS0_14default_configENS1_25partition_config_selectorILNS1_17partition_subalgoE2EyNS0_10empty_typeEbEEZZNS1_14partition_implILS5_2ELb0ES3_jN6thrust23THRUST_200600_302600_NS6detail15normal_iteratorINSA_7pointerIyNSA_11hip_rocprim3tagENSA_11use_defaultESG_EEEEPS6_NSA_18transform_iteratorI7is_evenIyENSC_INSA_10device_ptrIyEEEESG_SG_EENS0_5tupleIJPySJ_EEENSR_IJSJ_SJ_EEES6_PlJS6_EEE10hipError_tPvRmT3_T4_T5_T6_T7_T9_mT8_P12ihipStream_tbDpT10_ENKUlT_T0_E_clISt17integral_constantIbLb1EES1E_IbLb0EEEEDaS1A_S1B_EUlS1A_E_NS1_11comp_targetILNS1_3genE8ELNS1_11target_archE1030ELNS1_3gpuE2ELNS1_3repE0EEENS1_30default_config_static_selectorELNS0_4arch9wavefront6targetE1EEEvT1_,comdat
.Lfunc_end2027:
	.size	_ZN7rocprim17ROCPRIM_400000_NS6detail17trampoline_kernelINS0_14default_configENS1_25partition_config_selectorILNS1_17partition_subalgoE2EyNS0_10empty_typeEbEEZZNS1_14partition_implILS5_2ELb0ES3_jN6thrust23THRUST_200600_302600_NS6detail15normal_iteratorINSA_7pointerIyNSA_11hip_rocprim3tagENSA_11use_defaultESG_EEEEPS6_NSA_18transform_iteratorI7is_evenIyENSC_INSA_10device_ptrIyEEEESG_SG_EENS0_5tupleIJPySJ_EEENSR_IJSJ_SJ_EEES6_PlJS6_EEE10hipError_tPvRmT3_T4_T5_T6_T7_T9_mT8_P12ihipStream_tbDpT10_ENKUlT_T0_E_clISt17integral_constantIbLb1EES1E_IbLb0EEEEDaS1A_S1B_EUlS1A_E_NS1_11comp_targetILNS1_3genE8ELNS1_11target_archE1030ELNS1_3gpuE2ELNS1_3repE0EEENS1_30default_config_static_selectorELNS0_4arch9wavefront6targetE1EEEvT1_, .Lfunc_end2027-_ZN7rocprim17ROCPRIM_400000_NS6detail17trampoline_kernelINS0_14default_configENS1_25partition_config_selectorILNS1_17partition_subalgoE2EyNS0_10empty_typeEbEEZZNS1_14partition_implILS5_2ELb0ES3_jN6thrust23THRUST_200600_302600_NS6detail15normal_iteratorINSA_7pointerIyNSA_11hip_rocprim3tagENSA_11use_defaultESG_EEEEPS6_NSA_18transform_iteratorI7is_evenIyENSC_INSA_10device_ptrIyEEEESG_SG_EENS0_5tupleIJPySJ_EEENSR_IJSJ_SJ_EEES6_PlJS6_EEE10hipError_tPvRmT3_T4_T5_T6_T7_T9_mT8_P12ihipStream_tbDpT10_ENKUlT_T0_E_clISt17integral_constantIbLb1EES1E_IbLb0EEEEDaS1A_S1B_EUlS1A_E_NS1_11comp_targetILNS1_3genE8ELNS1_11target_archE1030ELNS1_3gpuE2ELNS1_3repE0EEENS1_30default_config_static_selectorELNS0_4arch9wavefront6targetE1EEEvT1_
                                        ; -- End function
	.section	.AMDGPU.csdata,"",@progbits
; Kernel info:
; codeLenInByte = 0
; NumSgprs: 6
; NumVgprs: 0
; NumAgprs: 0
; TotalNumVgprs: 0
; ScratchSize: 0
; MemoryBound: 0
; FloatMode: 240
; IeeeMode: 1
; LDSByteSize: 0 bytes/workgroup (compile time only)
; SGPRBlocks: 0
; VGPRBlocks: 0
; NumSGPRsForWavesPerEU: 6
; NumVGPRsForWavesPerEU: 1
; AccumOffset: 4
; Occupancy: 8
; WaveLimiterHint : 0
; COMPUTE_PGM_RSRC2:SCRATCH_EN: 0
; COMPUTE_PGM_RSRC2:USER_SGPR: 2
; COMPUTE_PGM_RSRC2:TRAP_HANDLER: 0
; COMPUTE_PGM_RSRC2:TGID_X_EN: 1
; COMPUTE_PGM_RSRC2:TGID_Y_EN: 0
; COMPUTE_PGM_RSRC2:TGID_Z_EN: 0
; COMPUTE_PGM_RSRC2:TIDIG_COMP_CNT: 0
; COMPUTE_PGM_RSRC3_GFX90A:ACCUM_OFFSET: 0
; COMPUTE_PGM_RSRC3_GFX90A:TG_SPLIT: 0
	.section	.text._ZN7rocprim17ROCPRIM_400000_NS6detail17trampoline_kernelINS0_14default_configENS1_25partition_config_selectorILNS1_17partition_subalgoE2EyNS0_10empty_typeEbEEZZNS1_14partition_implILS5_2ELb0ES3_jN6thrust23THRUST_200600_302600_NS6detail15normal_iteratorINSA_7pointerIyNSA_11hip_rocprim3tagENSA_11use_defaultESG_EEEEPS6_NSA_18transform_iteratorI7is_evenIyENSC_INSA_10device_ptrIyEEEESG_SG_EENS0_5tupleIJPySJ_EEENSR_IJSJ_SJ_EEES6_PlJS6_EEE10hipError_tPvRmT3_T4_T5_T6_T7_T9_mT8_P12ihipStream_tbDpT10_ENKUlT_T0_E_clISt17integral_constantIbLb0EES1E_IbLb1EEEEDaS1A_S1B_EUlS1A_E_NS1_11comp_targetILNS1_3genE0ELNS1_11target_archE4294967295ELNS1_3gpuE0ELNS1_3repE0EEENS1_30default_config_static_selectorELNS0_4arch9wavefront6targetE1EEEvT1_,"axG",@progbits,_ZN7rocprim17ROCPRIM_400000_NS6detail17trampoline_kernelINS0_14default_configENS1_25partition_config_selectorILNS1_17partition_subalgoE2EyNS0_10empty_typeEbEEZZNS1_14partition_implILS5_2ELb0ES3_jN6thrust23THRUST_200600_302600_NS6detail15normal_iteratorINSA_7pointerIyNSA_11hip_rocprim3tagENSA_11use_defaultESG_EEEEPS6_NSA_18transform_iteratorI7is_evenIyENSC_INSA_10device_ptrIyEEEESG_SG_EENS0_5tupleIJPySJ_EEENSR_IJSJ_SJ_EEES6_PlJS6_EEE10hipError_tPvRmT3_T4_T5_T6_T7_T9_mT8_P12ihipStream_tbDpT10_ENKUlT_T0_E_clISt17integral_constantIbLb0EES1E_IbLb1EEEEDaS1A_S1B_EUlS1A_E_NS1_11comp_targetILNS1_3genE0ELNS1_11target_archE4294967295ELNS1_3gpuE0ELNS1_3repE0EEENS1_30default_config_static_selectorELNS0_4arch9wavefront6targetE1EEEvT1_,comdat
	.protected	_ZN7rocprim17ROCPRIM_400000_NS6detail17trampoline_kernelINS0_14default_configENS1_25partition_config_selectorILNS1_17partition_subalgoE2EyNS0_10empty_typeEbEEZZNS1_14partition_implILS5_2ELb0ES3_jN6thrust23THRUST_200600_302600_NS6detail15normal_iteratorINSA_7pointerIyNSA_11hip_rocprim3tagENSA_11use_defaultESG_EEEEPS6_NSA_18transform_iteratorI7is_evenIyENSC_INSA_10device_ptrIyEEEESG_SG_EENS0_5tupleIJPySJ_EEENSR_IJSJ_SJ_EEES6_PlJS6_EEE10hipError_tPvRmT3_T4_T5_T6_T7_T9_mT8_P12ihipStream_tbDpT10_ENKUlT_T0_E_clISt17integral_constantIbLb0EES1E_IbLb1EEEEDaS1A_S1B_EUlS1A_E_NS1_11comp_targetILNS1_3genE0ELNS1_11target_archE4294967295ELNS1_3gpuE0ELNS1_3repE0EEENS1_30default_config_static_selectorELNS0_4arch9wavefront6targetE1EEEvT1_ ; -- Begin function _ZN7rocprim17ROCPRIM_400000_NS6detail17trampoline_kernelINS0_14default_configENS1_25partition_config_selectorILNS1_17partition_subalgoE2EyNS0_10empty_typeEbEEZZNS1_14partition_implILS5_2ELb0ES3_jN6thrust23THRUST_200600_302600_NS6detail15normal_iteratorINSA_7pointerIyNSA_11hip_rocprim3tagENSA_11use_defaultESG_EEEEPS6_NSA_18transform_iteratorI7is_evenIyENSC_INSA_10device_ptrIyEEEESG_SG_EENS0_5tupleIJPySJ_EEENSR_IJSJ_SJ_EEES6_PlJS6_EEE10hipError_tPvRmT3_T4_T5_T6_T7_T9_mT8_P12ihipStream_tbDpT10_ENKUlT_T0_E_clISt17integral_constantIbLb0EES1E_IbLb1EEEEDaS1A_S1B_EUlS1A_E_NS1_11comp_targetILNS1_3genE0ELNS1_11target_archE4294967295ELNS1_3gpuE0ELNS1_3repE0EEENS1_30default_config_static_selectorELNS0_4arch9wavefront6targetE1EEEvT1_
	.globl	_ZN7rocprim17ROCPRIM_400000_NS6detail17trampoline_kernelINS0_14default_configENS1_25partition_config_selectorILNS1_17partition_subalgoE2EyNS0_10empty_typeEbEEZZNS1_14partition_implILS5_2ELb0ES3_jN6thrust23THRUST_200600_302600_NS6detail15normal_iteratorINSA_7pointerIyNSA_11hip_rocprim3tagENSA_11use_defaultESG_EEEEPS6_NSA_18transform_iteratorI7is_evenIyENSC_INSA_10device_ptrIyEEEESG_SG_EENS0_5tupleIJPySJ_EEENSR_IJSJ_SJ_EEES6_PlJS6_EEE10hipError_tPvRmT3_T4_T5_T6_T7_T9_mT8_P12ihipStream_tbDpT10_ENKUlT_T0_E_clISt17integral_constantIbLb0EES1E_IbLb1EEEEDaS1A_S1B_EUlS1A_E_NS1_11comp_targetILNS1_3genE0ELNS1_11target_archE4294967295ELNS1_3gpuE0ELNS1_3repE0EEENS1_30default_config_static_selectorELNS0_4arch9wavefront6targetE1EEEvT1_
	.p2align	8
	.type	_ZN7rocprim17ROCPRIM_400000_NS6detail17trampoline_kernelINS0_14default_configENS1_25partition_config_selectorILNS1_17partition_subalgoE2EyNS0_10empty_typeEbEEZZNS1_14partition_implILS5_2ELb0ES3_jN6thrust23THRUST_200600_302600_NS6detail15normal_iteratorINSA_7pointerIyNSA_11hip_rocprim3tagENSA_11use_defaultESG_EEEEPS6_NSA_18transform_iteratorI7is_evenIyENSC_INSA_10device_ptrIyEEEESG_SG_EENS0_5tupleIJPySJ_EEENSR_IJSJ_SJ_EEES6_PlJS6_EEE10hipError_tPvRmT3_T4_T5_T6_T7_T9_mT8_P12ihipStream_tbDpT10_ENKUlT_T0_E_clISt17integral_constantIbLb0EES1E_IbLb1EEEEDaS1A_S1B_EUlS1A_E_NS1_11comp_targetILNS1_3genE0ELNS1_11target_archE4294967295ELNS1_3gpuE0ELNS1_3repE0EEENS1_30default_config_static_selectorELNS0_4arch9wavefront6targetE1EEEvT1_,@function
_ZN7rocprim17ROCPRIM_400000_NS6detail17trampoline_kernelINS0_14default_configENS1_25partition_config_selectorILNS1_17partition_subalgoE2EyNS0_10empty_typeEbEEZZNS1_14partition_implILS5_2ELb0ES3_jN6thrust23THRUST_200600_302600_NS6detail15normal_iteratorINSA_7pointerIyNSA_11hip_rocprim3tagENSA_11use_defaultESG_EEEEPS6_NSA_18transform_iteratorI7is_evenIyENSC_INSA_10device_ptrIyEEEESG_SG_EENS0_5tupleIJPySJ_EEENSR_IJSJ_SJ_EEES6_PlJS6_EEE10hipError_tPvRmT3_T4_T5_T6_T7_T9_mT8_P12ihipStream_tbDpT10_ENKUlT_T0_E_clISt17integral_constantIbLb0EES1E_IbLb1EEEEDaS1A_S1B_EUlS1A_E_NS1_11comp_targetILNS1_3genE0ELNS1_11target_archE4294967295ELNS1_3gpuE0ELNS1_3repE0EEENS1_30default_config_static_selectorELNS0_4arch9wavefront6targetE1EEEvT1_: ; @_ZN7rocprim17ROCPRIM_400000_NS6detail17trampoline_kernelINS0_14default_configENS1_25partition_config_selectorILNS1_17partition_subalgoE2EyNS0_10empty_typeEbEEZZNS1_14partition_implILS5_2ELb0ES3_jN6thrust23THRUST_200600_302600_NS6detail15normal_iteratorINSA_7pointerIyNSA_11hip_rocprim3tagENSA_11use_defaultESG_EEEEPS6_NSA_18transform_iteratorI7is_evenIyENSC_INSA_10device_ptrIyEEEESG_SG_EENS0_5tupleIJPySJ_EEENSR_IJSJ_SJ_EEES6_PlJS6_EEE10hipError_tPvRmT3_T4_T5_T6_T7_T9_mT8_P12ihipStream_tbDpT10_ENKUlT_T0_E_clISt17integral_constantIbLb0EES1E_IbLb1EEEEDaS1A_S1B_EUlS1A_E_NS1_11comp_targetILNS1_3genE0ELNS1_11target_archE4294967295ELNS1_3gpuE0ELNS1_3repE0EEENS1_30default_config_static_selectorELNS0_4arch9wavefront6targetE1EEEvT1_
; %bb.0:
	.section	.rodata,"a",@progbits
	.p2align	6, 0x0
	.amdhsa_kernel _ZN7rocprim17ROCPRIM_400000_NS6detail17trampoline_kernelINS0_14default_configENS1_25partition_config_selectorILNS1_17partition_subalgoE2EyNS0_10empty_typeEbEEZZNS1_14partition_implILS5_2ELb0ES3_jN6thrust23THRUST_200600_302600_NS6detail15normal_iteratorINSA_7pointerIyNSA_11hip_rocprim3tagENSA_11use_defaultESG_EEEEPS6_NSA_18transform_iteratorI7is_evenIyENSC_INSA_10device_ptrIyEEEESG_SG_EENS0_5tupleIJPySJ_EEENSR_IJSJ_SJ_EEES6_PlJS6_EEE10hipError_tPvRmT3_T4_T5_T6_T7_T9_mT8_P12ihipStream_tbDpT10_ENKUlT_T0_E_clISt17integral_constantIbLb0EES1E_IbLb1EEEEDaS1A_S1B_EUlS1A_E_NS1_11comp_targetILNS1_3genE0ELNS1_11target_archE4294967295ELNS1_3gpuE0ELNS1_3repE0EEENS1_30default_config_static_selectorELNS0_4arch9wavefront6targetE1EEEvT1_
		.amdhsa_group_segment_fixed_size 0
		.amdhsa_private_segment_fixed_size 0
		.amdhsa_kernarg_size 144
		.amdhsa_user_sgpr_count 2
		.amdhsa_user_sgpr_dispatch_ptr 0
		.amdhsa_user_sgpr_queue_ptr 0
		.amdhsa_user_sgpr_kernarg_segment_ptr 1
		.amdhsa_user_sgpr_dispatch_id 0
		.amdhsa_user_sgpr_kernarg_preload_length 0
		.amdhsa_user_sgpr_kernarg_preload_offset 0
		.amdhsa_user_sgpr_private_segment_size 0
		.amdhsa_uses_dynamic_stack 0
		.amdhsa_enable_private_segment 0
		.amdhsa_system_sgpr_workgroup_id_x 1
		.amdhsa_system_sgpr_workgroup_id_y 0
		.amdhsa_system_sgpr_workgroup_id_z 0
		.amdhsa_system_sgpr_workgroup_info 0
		.amdhsa_system_vgpr_workitem_id 0
		.amdhsa_next_free_vgpr 1
		.amdhsa_next_free_sgpr 0
		.amdhsa_accum_offset 4
		.amdhsa_reserve_vcc 0
		.amdhsa_float_round_mode_32 0
		.amdhsa_float_round_mode_16_64 0
		.amdhsa_float_denorm_mode_32 3
		.amdhsa_float_denorm_mode_16_64 3
		.amdhsa_dx10_clamp 1
		.amdhsa_ieee_mode 1
		.amdhsa_fp16_overflow 0
		.amdhsa_tg_split 0
		.amdhsa_exception_fp_ieee_invalid_op 0
		.amdhsa_exception_fp_denorm_src 0
		.amdhsa_exception_fp_ieee_div_zero 0
		.amdhsa_exception_fp_ieee_overflow 0
		.amdhsa_exception_fp_ieee_underflow 0
		.amdhsa_exception_fp_ieee_inexact 0
		.amdhsa_exception_int_div_zero 0
	.end_amdhsa_kernel
	.section	.text._ZN7rocprim17ROCPRIM_400000_NS6detail17trampoline_kernelINS0_14default_configENS1_25partition_config_selectorILNS1_17partition_subalgoE2EyNS0_10empty_typeEbEEZZNS1_14partition_implILS5_2ELb0ES3_jN6thrust23THRUST_200600_302600_NS6detail15normal_iteratorINSA_7pointerIyNSA_11hip_rocprim3tagENSA_11use_defaultESG_EEEEPS6_NSA_18transform_iteratorI7is_evenIyENSC_INSA_10device_ptrIyEEEESG_SG_EENS0_5tupleIJPySJ_EEENSR_IJSJ_SJ_EEES6_PlJS6_EEE10hipError_tPvRmT3_T4_T5_T6_T7_T9_mT8_P12ihipStream_tbDpT10_ENKUlT_T0_E_clISt17integral_constantIbLb0EES1E_IbLb1EEEEDaS1A_S1B_EUlS1A_E_NS1_11comp_targetILNS1_3genE0ELNS1_11target_archE4294967295ELNS1_3gpuE0ELNS1_3repE0EEENS1_30default_config_static_selectorELNS0_4arch9wavefront6targetE1EEEvT1_,"axG",@progbits,_ZN7rocprim17ROCPRIM_400000_NS6detail17trampoline_kernelINS0_14default_configENS1_25partition_config_selectorILNS1_17partition_subalgoE2EyNS0_10empty_typeEbEEZZNS1_14partition_implILS5_2ELb0ES3_jN6thrust23THRUST_200600_302600_NS6detail15normal_iteratorINSA_7pointerIyNSA_11hip_rocprim3tagENSA_11use_defaultESG_EEEEPS6_NSA_18transform_iteratorI7is_evenIyENSC_INSA_10device_ptrIyEEEESG_SG_EENS0_5tupleIJPySJ_EEENSR_IJSJ_SJ_EEES6_PlJS6_EEE10hipError_tPvRmT3_T4_T5_T6_T7_T9_mT8_P12ihipStream_tbDpT10_ENKUlT_T0_E_clISt17integral_constantIbLb0EES1E_IbLb1EEEEDaS1A_S1B_EUlS1A_E_NS1_11comp_targetILNS1_3genE0ELNS1_11target_archE4294967295ELNS1_3gpuE0ELNS1_3repE0EEENS1_30default_config_static_selectorELNS0_4arch9wavefront6targetE1EEEvT1_,comdat
.Lfunc_end2028:
	.size	_ZN7rocprim17ROCPRIM_400000_NS6detail17trampoline_kernelINS0_14default_configENS1_25partition_config_selectorILNS1_17partition_subalgoE2EyNS0_10empty_typeEbEEZZNS1_14partition_implILS5_2ELb0ES3_jN6thrust23THRUST_200600_302600_NS6detail15normal_iteratorINSA_7pointerIyNSA_11hip_rocprim3tagENSA_11use_defaultESG_EEEEPS6_NSA_18transform_iteratorI7is_evenIyENSC_INSA_10device_ptrIyEEEESG_SG_EENS0_5tupleIJPySJ_EEENSR_IJSJ_SJ_EEES6_PlJS6_EEE10hipError_tPvRmT3_T4_T5_T6_T7_T9_mT8_P12ihipStream_tbDpT10_ENKUlT_T0_E_clISt17integral_constantIbLb0EES1E_IbLb1EEEEDaS1A_S1B_EUlS1A_E_NS1_11comp_targetILNS1_3genE0ELNS1_11target_archE4294967295ELNS1_3gpuE0ELNS1_3repE0EEENS1_30default_config_static_selectorELNS0_4arch9wavefront6targetE1EEEvT1_, .Lfunc_end2028-_ZN7rocprim17ROCPRIM_400000_NS6detail17trampoline_kernelINS0_14default_configENS1_25partition_config_selectorILNS1_17partition_subalgoE2EyNS0_10empty_typeEbEEZZNS1_14partition_implILS5_2ELb0ES3_jN6thrust23THRUST_200600_302600_NS6detail15normal_iteratorINSA_7pointerIyNSA_11hip_rocprim3tagENSA_11use_defaultESG_EEEEPS6_NSA_18transform_iteratorI7is_evenIyENSC_INSA_10device_ptrIyEEEESG_SG_EENS0_5tupleIJPySJ_EEENSR_IJSJ_SJ_EEES6_PlJS6_EEE10hipError_tPvRmT3_T4_T5_T6_T7_T9_mT8_P12ihipStream_tbDpT10_ENKUlT_T0_E_clISt17integral_constantIbLb0EES1E_IbLb1EEEEDaS1A_S1B_EUlS1A_E_NS1_11comp_targetILNS1_3genE0ELNS1_11target_archE4294967295ELNS1_3gpuE0ELNS1_3repE0EEENS1_30default_config_static_selectorELNS0_4arch9wavefront6targetE1EEEvT1_
                                        ; -- End function
	.section	.AMDGPU.csdata,"",@progbits
; Kernel info:
; codeLenInByte = 0
; NumSgprs: 6
; NumVgprs: 0
; NumAgprs: 0
; TotalNumVgprs: 0
; ScratchSize: 0
; MemoryBound: 0
; FloatMode: 240
; IeeeMode: 1
; LDSByteSize: 0 bytes/workgroup (compile time only)
; SGPRBlocks: 0
; VGPRBlocks: 0
; NumSGPRsForWavesPerEU: 6
; NumVGPRsForWavesPerEU: 1
; AccumOffset: 4
; Occupancy: 8
; WaveLimiterHint : 0
; COMPUTE_PGM_RSRC2:SCRATCH_EN: 0
; COMPUTE_PGM_RSRC2:USER_SGPR: 2
; COMPUTE_PGM_RSRC2:TRAP_HANDLER: 0
; COMPUTE_PGM_RSRC2:TGID_X_EN: 1
; COMPUTE_PGM_RSRC2:TGID_Y_EN: 0
; COMPUTE_PGM_RSRC2:TGID_Z_EN: 0
; COMPUTE_PGM_RSRC2:TIDIG_COMP_CNT: 0
; COMPUTE_PGM_RSRC3_GFX90A:ACCUM_OFFSET: 0
; COMPUTE_PGM_RSRC3_GFX90A:TG_SPLIT: 0
	.section	.text._ZN7rocprim17ROCPRIM_400000_NS6detail17trampoline_kernelINS0_14default_configENS1_25partition_config_selectorILNS1_17partition_subalgoE2EyNS0_10empty_typeEbEEZZNS1_14partition_implILS5_2ELb0ES3_jN6thrust23THRUST_200600_302600_NS6detail15normal_iteratorINSA_7pointerIyNSA_11hip_rocprim3tagENSA_11use_defaultESG_EEEEPS6_NSA_18transform_iteratorI7is_evenIyENSC_INSA_10device_ptrIyEEEESG_SG_EENS0_5tupleIJPySJ_EEENSR_IJSJ_SJ_EEES6_PlJS6_EEE10hipError_tPvRmT3_T4_T5_T6_T7_T9_mT8_P12ihipStream_tbDpT10_ENKUlT_T0_E_clISt17integral_constantIbLb0EES1E_IbLb1EEEEDaS1A_S1B_EUlS1A_E_NS1_11comp_targetILNS1_3genE5ELNS1_11target_archE942ELNS1_3gpuE9ELNS1_3repE0EEENS1_30default_config_static_selectorELNS0_4arch9wavefront6targetE1EEEvT1_,"axG",@progbits,_ZN7rocprim17ROCPRIM_400000_NS6detail17trampoline_kernelINS0_14default_configENS1_25partition_config_selectorILNS1_17partition_subalgoE2EyNS0_10empty_typeEbEEZZNS1_14partition_implILS5_2ELb0ES3_jN6thrust23THRUST_200600_302600_NS6detail15normal_iteratorINSA_7pointerIyNSA_11hip_rocprim3tagENSA_11use_defaultESG_EEEEPS6_NSA_18transform_iteratorI7is_evenIyENSC_INSA_10device_ptrIyEEEESG_SG_EENS0_5tupleIJPySJ_EEENSR_IJSJ_SJ_EEES6_PlJS6_EEE10hipError_tPvRmT3_T4_T5_T6_T7_T9_mT8_P12ihipStream_tbDpT10_ENKUlT_T0_E_clISt17integral_constantIbLb0EES1E_IbLb1EEEEDaS1A_S1B_EUlS1A_E_NS1_11comp_targetILNS1_3genE5ELNS1_11target_archE942ELNS1_3gpuE9ELNS1_3repE0EEENS1_30default_config_static_selectorELNS0_4arch9wavefront6targetE1EEEvT1_,comdat
	.protected	_ZN7rocprim17ROCPRIM_400000_NS6detail17trampoline_kernelINS0_14default_configENS1_25partition_config_selectorILNS1_17partition_subalgoE2EyNS0_10empty_typeEbEEZZNS1_14partition_implILS5_2ELb0ES3_jN6thrust23THRUST_200600_302600_NS6detail15normal_iteratorINSA_7pointerIyNSA_11hip_rocprim3tagENSA_11use_defaultESG_EEEEPS6_NSA_18transform_iteratorI7is_evenIyENSC_INSA_10device_ptrIyEEEESG_SG_EENS0_5tupleIJPySJ_EEENSR_IJSJ_SJ_EEES6_PlJS6_EEE10hipError_tPvRmT3_T4_T5_T6_T7_T9_mT8_P12ihipStream_tbDpT10_ENKUlT_T0_E_clISt17integral_constantIbLb0EES1E_IbLb1EEEEDaS1A_S1B_EUlS1A_E_NS1_11comp_targetILNS1_3genE5ELNS1_11target_archE942ELNS1_3gpuE9ELNS1_3repE0EEENS1_30default_config_static_selectorELNS0_4arch9wavefront6targetE1EEEvT1_ ; -- Begin function _ZN7rocprim17ROCPRIM_400000_NS6detail17trampoline_kernelINS0_14default_configENS1_25partition_config_selectorILNS1_17partition_subalgoE2EyNS0_10empty_typeEbEEZZNS1_14partition_implILS5_2ELb0ES3_jN6thrust23THRUST_200600_302600_NS6detail15normal_iteratorINSA_7pointerIyNSA_11hip_rocprim3tagENSA_11use_defaultESG_EEEEPS6_NSA_18transform_iteratorI7is_evenIyENSC_INSA_10device_ptrIyEEEESG_SG_EENS0_5tupleIJPySJ_EEENSR_IJSJ_SJ_EEES6_PlJS6_EEE10hipError_tPvRmT3_T4_T5_T6_T7_T9_mT8_P12ihipStream_tbDpT10_ENKUlT_T0_E_clISt17integral_constantIbLb0EES1E_IbLb1EEEEDaS1A_S1B_EUlS1A_E_NS1_11comp_targetILNS1_3genE5ELNS1_11target_archE942ELNS1_3gpuE9ELNS1_3repE0EEENS1_30default_config_static_selectorELNS0_4arch9wavefront6targetE1EEEvT1_
	.globl	_ZN7rocprim17ROCPRIM_400000_NS6detail17trampoline_kernelINS0_14default_configENS1_25partition_config_selectorILNS1_17partition_subalgoE2EyNS0_10empty_typeEbEEZZNS1_14partition_implILS5_2ELb0ES3_jN6thrust23THRUST_200600_302600_NS6detail15normal_iteratorINSA_7pointerIyNSA_11hip_rocprim3tagENSA_11use_defaultESG_EEEEPS6_NSA_18transform_iteratorI7is_evenIyENSC_INSA_10device_ptrIyEEEESG_SG_EENS0_5tupleIJPySJ_EEENSR_IJSJ_SJ_EEES6_PlJS6_EEE10hipError_tPvRmT3_T4_T5_T6_T7_T9_mT8_P12ihipStream_tbDpT10_ENKUlT_T0_E_clISt17integral_constantIbLb0EES1E_IbLb1EEEEDaS1A_S1B_EUlS1A_E_NS1_11comp_targetILNS1_3genE5ELNS1_11target_archE942ELNS1_3gpuE9ELNS1_3repE0EEENS1_30default_config_static_selectorELNS0_4arch9wavefront6targetE1EEEvT1_
	.p2align	8
	.type	_ZN7rocprim17ROCPRIM_400000_NS6detail17trampoline_kernelINS0_14default_configENS1_25partition_config_selectorILNS1_17partition_subalgoE2EyNS0_10empty_typeEbEEZZNS1_14partition_implILS5_2ELb0ES3_jN6thrust23THRUST_200600_302600_NS6detail15normal_iteratorINSA_7pointerIyNSA_11hip_rocprim3tagENSA_11use_defaultESG_EEEEPS6_NSA_18transform_iteratorI7is_evenIyENSC_INSA_10device_ptrIyEEEESG_SG_EENS0_5tupleIJPySJ_EEENSR_IJSJ_SJ_EEES6_PlJS6_EEE10hipError_tPvRmT3_T4_T5_T6_T7_T9_mT8_P12ihipStream_tbDpT10_ENKUlT_T0_E_clISt17integral_constantIbLb0EES1E_IbLb1EEEEDaS1A_S1B_EUlS1A_E_NS1_11comp_targetILNS1_3genE5ELNS1_11target_archE942ELNS1_3gpuE9ELNS1_3repE0EEENS1_30default_config_static_selectorELNS0_4arch9wavefront6targetE1EEEvT1_,@function
_ZN7rocprim17ROCPRIM_400000_NS6detail17trampoline_kernelINS0_14default_configENS1_25partition_config_selectorILNS1_17partition_subalgoE2EyNS0_10empty_typeEbEEZZNS1_14partition_implILS5_2ELb0ES3_jN6thrust23THRUST_200600_302600_NS6detail15normal_iteratorINSA_7pointerIyNSA_11hip_rocprim3tagENSA_11use_defaultESG_EEEEPS6_NSA_18transform_iteratorI7is_evenIyENSC_INSA_10device_ptrIyEEEESG_SG_EENS0_5tupleIJPySJ_EEENSR_IJSJ_SJ_EEES6_PlJS6_EEE10hipError_tPvRmT3_T4_T5_T6_T7_T9_mT8_P12ihipStream_tbDpT10_ENKUlT_T0_E_clISt17integral_constantIbLb0EES1E_IbLb1EEEEDaS1A_S1B_EUlS1A_E_NS1_11comp_targetILNS1_3genE5ELNS1_11target_archE942ELNS1_3gpuE9ELNS1_3repE0EEENS1_30default_config_static_selectorELNS0_4arch9wavefront6targetE1EEEvT1_: ; @_ZN7rocprim17ROCPRIM_400000_NS6detail17trampoline_kernelINS0_14default_configENS1_25partition_config_selectorILNS1_17partition_subalgoE2EyNS0_10empty_typeEbEEZZNS1_14partition_implILS5_2ELb0ES3_jN6thrust23THRUST_200600_302600_NS6detail15normal_iteratorINSA_7pointerIyNSA_11hip_rocprim3tagENSA_11use_defaultESG_EEEEPS6_NSA_18transform_iteratorI7is_evenIyENSC_INSA_10device_ptrIyEEEESG_SG_EENS0_5tupleIJPySJ_EEENSR_IJSJ_SJ_EEES6_PlJS6_EEE10hipError_tPvRmT3_T4_T5_T6_T7_T9_mT8_P12ihipStream_tbDpT10_ENKUlT_T0_E_clISt17integral_constantIbLb0EES1E_IbLb1EEEEDaS1A_S1B_EUlS1A_E_NS1_11comp_targetILNS1_3genE5ELNS1_11target_archE942ELNS1_3gpuE9ELNS1_3repE0EEENS1_30default_config_static_selectorELNS0_4arch9wavefront6targetE1EEEvT1_
; %bb.0:
	s_load_dwordx2 s[2:3], s[0:1], 0x20
	s_load_dwordx2 s[28:29], s[0:1], 0x30
	;; [unrolled: 1-line block ×3, first 2 shown]
	s_load_dwordx4 s[20:23], s[0:1], 0x50
	s_load_dwordx2 s[36:37], s[0:1], 0x70
	v_cmp_eq_u32_e64 s[18:19], 0, v0
	s_and_saveexec_b64 s[4:5], s[18:19]
	s_cbranch_execz .LBB2029_4
; %bb.1:
	s_mov_b64 s[8:9], exec
	v_mbcnt_lo_u32_b32 v1, s8, 0
	v_mbcnt_hi_u32_b32 v1, s9, v1
	v_cmp_eq_u32_e32 vcc, 0, v1
                                        ; implicit-def: $vgpr2
	s_and_saveexec_b64 s[6:7], vcc
	s_cbranch_execz .LBB2029_3
; %bb.2:
	s_load_dwordx2 s[10:11], s[0:1], 0x80
	s_bcnt1_i32_b64 s8, s[8:9]
	v_mov_b32_e32 v2, 0
	v_mov_b32_e32 v3, s8
	s_waitcnt lgkmcnt(0)
	global_atomic_add v2, v2, v3, s[10:11] sc0
.LBB2029_3:
	s_or_b64 exec, exec, s[6:7]
	s_waitcnt vmcnt(0)
	v_readfirstlane_b32 s6, v2
	v_mov_b32_e32 v2, 0
	s_nop 0
	v_add_u32_e32 v1, s6, v1
	ds_write_b32 v2, v1
.LBB2029_4:
	s_or_b64 exec, exec, s[4:5]
	v_mov_b32_e32 v19, 0
	s_load_dwordx4 s[24:27], s[0:1], 0x8
	s_load_dword s6, s[0:1], 0x78
	s_waitcnt lgkmcnt(0)
	s_barrier
	ds_read_b32 v1, v19
	s_waitcnt lgkmcnt(0)
	s_barrier
	global_load_dwordx2 v[20:21], v19, s[22:23]
	s_lshl_b64 s[4:5], s[26:27], 3
	s_add_u32 s8, s24, s4
	s_mul_i32 s0, s6, 0xe00
	s_addc_u32 s9, s25, s5
	s_add_i32 s1, s0, s26
	s_sub_i32 s33, s30, s1
	s_add_i32 s7, s6, -1
	s_addk_i32 s33, 0xe00
	s_add_u32 s0, s26, s0
	v_readfirstlane_b32 s42, v1
	s_addc_u32 s1, s27, 0
	s_cmp_eq_u32 s42, s7
	v_mov_b64_e32 v[2:3], s[30:31]
	s_cselect_b64 s[22:23], -1, 0
	s_cmp_lg_u32 s42, s7
	s_mul_i32 s24, s42, 0xe00
	s_mov_b32 s25, 0
	v_cmp_lt_u64_e32 vcc, s[0:1], v[2:3]
	s_cselect_b64 s[0:1], -1, 0
	s_or_b64 s[34:35], vcc, s[0:1]
	s_lshl_b64 s[6:7], s[24:25], 3
	s_add_u32 s8, s8, s6
	s_addc_u32 s9, s9, s7
	s_mov_b64 s[0:1], -1
	s_and_b64 vcc, exec, s[34:35]
	v_lshlrev_b32_e32 v18, 3, v0
	s_cbranch_vccz .LBB2029_6
; %bb.5:
	v_lshl_add_u64 v[2:3], s[8:9], 0, v[18:19]
	v_add_co_u32_e32 v4, vcc, 0x1000, v2
	s_mov_b64 s[0:1], 0
	s_nop 0
	v_addc_co_u32_e32 v5, vcc, 0, v3, vcc
	v_add_co_u32_e32 v6, vcc, 0x2000, v2
	s_nop 1
	v_addc_co_u32_e32 v7, vcc, 0, v3, vcc
	v_add_co_u32_e32 v8, vcc, 0x3000, v2
	s_nop 1
	v_addc_co_u32_e32 v9, vcc, 0, v3, vcc
	flat_load_dwordx2 v[10:11], v[2:3]
	flat_load_dwordx2 v[12:13], v[4:5]
	;; [unrolled: 1-line block ×4, first 2 shown]
	v_add_co_u32_e32 v4, vcc, 0x4000, v2
	s_nop 1
	v_addc_co_u32_e32 v5, vcc, 0, v3, vcc
	v_add_co_u32_e32 v6, vcc, 0x5000, v2
	s_nop 1
	v_addc_co_u32_e32 v7, vcc, 0, v3, vcc
	;; [unrolled: 3-line block ×3, first 2 shown]
	flat_load_dwordx2 v[8:9], v[4:5]
	flat_load_dwordx2 v[22:23], v[6:7]
	;; [unrolled: 1-line block ×3, first 2 shown]
	s_waitcnt vmcnt(0) lgkmcnt(0)
	ds_write2st64_b64 v18, v[10:11], v[12:13] offset1:8
	ds_write2st64_b64 v18, v[14:15], v[16:17] offset0:16 offset1:24
	ds_write2st64_b64 v18, v[8:9], v[22:23] offset0:32 offset1:40
	ds_write_b64 v18, v[24:25] offset:24576
	s_waitcnt lgkmcnt(0)
	s_barrier
.LBB2029_6:
	s_andn2_b64 vcc, exec, s[0:1]
	v_cmp_gt_u32_e64 s[0:1], s33, v0
	s_cbranch_vccnz .LBB2029_22
; %bb.7:
                                        ; implicit-def: $vgpr2_vgpr3_vgpr4_vgpr5_vgpr6_vgpr7_vgpr8_vgpr9_vgpr10_vgpr11_vgpr12_vgpr13_vgpr14_vgpr15_vgpr16_vgpr17
	s_and_saveexec_b64 s[10:11], s[0:1]
	s_cbranch_execz .LBB2029_9
; %bb.8:
	v_mov_b32_e32 v19, 0
	v_lshl_add_u64 v[2:3], s[8:9], 0, v[18:19]
	flat_load_dwordx2 v[2:3], v[2:3]
.LBB2029_9:
	s_or_b64 exec, exec, s[10:11]
	v_or_b32_e32 v1, 0x200, v0
	v_cmp_gt_u32_e32 vcc, s33, v1
	s_and_saveexec_b64 s[0:1], vcc
	s_cbranch_execz .LBB2029_11
; %bb.10:
	v_lshlrev_b32_e32 v4, 3, v1
	v_mov_b32_e32 v5, 0
	v_lshl_add_u64 v[4:5], s[8:9], 0, v[4:5]
	flat_load_dwordx2 v[4:5], v[4:5]
.LBB2029_11:
	s_or_b64 exec, exec, s[0:1]
	v_or_b32_e32 v1, 0x400, v0
	v_cmp_gt_u32_e32 vcc, s33, v1
	s_and_saveexec_b64 s[0:1], vcc
	s_cbranch_execz .LBB2029_13
; %bb.12:
	v_lshlrev_b32_e32 v6, 3, v1
	v_mov_b32_e32 v7, 0
	v_lshl_add_u64 v[6:7], s[8:9], 0, v[6:7]
	flat_load_dwordx2 v[6:7], v[6:7]
.LBB2029_13:
	;; [unrolled: 11-line block ×6, first 2 shown]
	s_or_b64 exec, exec, s[0:1]
	s_waitcnt vmcnt(0) lgkmcnt(0)
	ds_write2st64_b64 v18, v[2:3], v[4:5] offset1:8
	ds_write2st64_b64 v18, v[6:7], v[8:9] offset0:16 offset1:24
	ds_write2st64_b64 v18, v[10:11], v[12:13] offset0:32 offset1:40
	ds_write_b64 v18, v[14:15] offset:24576
	s_waitcnt lgkmcnt(0)
	s_barrier
.LBB2029_22:
	v_mul_u32_u24_e32 v1, 7, v0
	v_lshlrev_b32_e32 v16, 3, v1
	ds_read2_b64 v[10:13], v16 offset1:1
	ds_read2_b64 v[6:9], v16 offset0:2 offset1:3
	ds_read2_b64 v[2:5], v16 offset0:4 offset1:5
	ds_read_b64 v[14:15], v16 offset:48
	s_add_u32 s0, s2, s4
	s_addc_u32 s1, s3, s5
	s_add_u32 s0, s0, s6
	s_addc_u32 s1, s1, s7
	s_mov_b64 s[2:3], -1
	s_and_b64 vcc, exec, s[34:35]
	s_waitcnt lgkmcnt(0)
	s_barrier
	s_cbranch_vccz .LBB2029_24
; %bb.23:
	v_mov_b32_e32 v19, 0
	v_lshl_add_u64 v[22:23], s[0:1], 0, v[18:19]
	v_add_co_u32_e32 v26, vcc, 0x1000, v22
	global_load_dwordx2 v[24:25], v18, s[0:1]
	s_nop 0
	v_addc_co_u32_e32 v27, vcc, 0, v23, vcc
	v_add_co_u32_e32 v28, vcc, 0x2000, v22
	s_mov_b64 s[2:3], 0
	s_nop 0
	v_addc_co_u32_e32 v29, vcc, 0, v23, vcc
	v_add_co_u32_e32 v30, vcc, 0x3000, v22
	s_waitcnt vmcnt(0)
	v_xor_b32_e32 v17, -1, v24
	v_addc_co_u32_e32 v31, vcc, 0, v23, vcc
	v_add_co_u32_e32 v32, vcc, 0x4000, v22
	v_and_b32_e32 v17, 1, v17
	s_nop 0
	v_addc_co_u32_e32 v33, vcc, 0, v23, vcc
	global_load_dwordx2 v[34:35], v[26:27], off
	global_load_dwordx2 v[36:37], v[28:29], off
	;; [unrolled: 1-line block ×4, first 2 shown]
	v_add_co_u32_e32 v26, vcc, 0x5000, v22
	ds_write_b8 v0, v17
	s_nop 0
	v_addc_co_u32_e32 v27, vcc, 0, v23, vcc
	v_add_co_u32_e32 v22, vcc, 0x6000, v22
	global_load_dwordx2 v[26:27], v[26:27], off
	s_nop 0
	v_addc_co_u32_e32 v23, vcc, 0, v23, vcc
	global_load_dwordx2 v[22:23], v[22:23], off
	s_waitcnt vmcnt(5)
	v_xor_b32_e32 v17, -1, v34
	v_and_b32_e32 v17, 1, v17
	s_waitcnt vmcnt(4)
	v_xor_b32_e32 v19, -1, v36
	s_waitcnt vmcnt(0)
	v_xor_b32_e32 v23, -1, v38
	v_and_b32_e32 v19, 1, v19
	ds_write_b8 v0, v17 offset:512
	v_and_b32_e32 v17, 1, v23
	v_xor_b32_e32 v23, -1, v40
	ds_write_b8 v0, v19 offset:1024
	v_and_b32_e32 v19, 1, v23
	ds_write_b8 v0, v17 offset:1536
	v_xor_b32_e32 v23, -1, v26
	v_and_b32_e32 v17, 1, v23
	ds_write_b8 v0, v19 offset:2048
	v_xor_b32_e32 v22, -1, v22
	v_and_b32_e32 v19, 1, v22
	ds_write_b8 v0, v17 offset:2560
	ds_write_b8 v0, v19 offset:3072
	s_waitcnt lgkmcnt(0)
	s_barrier
.LBB2029_24:
	s_andn2_b64 vcc, exec, s[2:3]
	s_cbranch_vccnz .LBB2029_40
; %bb.25:
	v_cmp_gt_u32_e32 vcc, s33, v0
	v_mov_b32_e32 v17, 0
	v_mov_b32_e32 v19, 0
	s_and_saveexec_b64 s[2:3], vcc
	s_cbranch_execz .LBB2029_27
; %bb.26:
	global_load_dwordx2 v[22:23], v18, s[0:1]
	s_waitcnt vmcnt(0)
	v_xor_b32_e32 v19, -1, v22
	v_and_b32_e32 v19, 1, v19
.LBB2029_27:
	s_or_b64 exec, exec, s[2:3]
	v_or_b32_e32 v22, 0x200, v0
	v_cmp_gt_u32_e32 vcc, s33, v22
	s_and_saveexec_b64 s[2:3], vcc
	s_cbranch_execz .LBB2029_29
; %bb.28:
	v_lshlrev_b32_e32 v17, 3, v22
	global_load_dwordx2 v[22:23], v17, s[0:1]
	s_waitcnt vmcnt(0)
	v_xor_b32_e32 v17, -1, v22
	v_and_b32_e32 v17, 1, v17
.LBB2029_29:
	s_or_b64 exec, exec, s[2:3]
	v_or_b32_e32 v24, 0x400, v0
	v_cmp_gt_u32_e32 vcc, s33, v24
	v_mov_b32_e32 v22, 0
	v_mov_b32_e32 v23, 0
	s_and_saveexec_b64 s[2:3], vcc
	s_cbranch_execz .LBB2029_31
; %bb.30:
	v_lshlrev_b32_e32 v23, 3, v24
	global_load_dwordx2 v[24:25], v23, s[0:1]
	s_waitcnt vmcnt(0)
	v_xor_b32_e32 v23, -1, v24
	v_and_b32_e32 v23, 1, v23
.LBB2029_31:
	s_or_b64 exec, exec, s[2:3]
	v_or_b32_e32 v24, 0x600, v0
	v_cmp_gt_u32_e32 vcc, s33, v24
	s_and_saveexec_b64 s[2:3], vcc
	s_cbranch_execz .LBB2029_33
; %bb.32:
	v_lshlrev_b32_e32 v22, 3, v24
	global_load_dwordx2 v[24:25], v22, s[0:1]
	s_waitcnt vmcnt(0)
	v_xor_b32_e32 v22, -1, v24
	v_and_b32_e32 v22, 1, v22
.LBB2029_33:
	s_or_b64 exec, exec, s[2:3]
	v_or_b32_e32 v26, 0x800, v0
	v_cmp_gt_u32_e32 vcc, s33, v26
	v_mov_b32_e32 v24, 0
	v_mov_b32_e32 v25, 0
	s_and_saveexec_b64 s[2:3], vcc
	s_cbranch_execz .LBB2029_35
; %bb.34:
	v_lshlrev_b32_e32 v25, 3, v26
	global_load_dwordx2 v[26:27], v25, s[0:1]
	s_waitcnt vmcnt(0)
	v_xor_b32_e32 v25, -1, v26
	v_and_b32_e32 v25, 1, v25
.LBB2029_35:
	s_or_b64 exec, exec, s[2:3]
	v_or_b32_e32 v26, 0xa00, v0
	v_cmp_gt_u32_e32 vcc, s33, v26
	s_and_saveexec_b64 s[2:3], vcc
	s_cbranch_execz .LBB2029_37
; %bb.36:
	v_lshlrev_b32_e32 v24, 3, v26
	global_load_dwordx2 v[26:27], v24, s[0:1]
	s_waitcnt vmcnt(0)
	v_xor_b32_e32 v24, -1, v26
	v_and_b32_e32 v24, 1, v24
.LBB2029_37:
	s_or_b64 exec, exec, s[2:3]
	v_or_b32_e32 v27, 0xc00, v0
	v_cmp_gt_u32_e32 vcc, s33, v27
	v_mov_b32_e32 v26, 0
	s_and_saveexec_b64 s[2:3], vcc
	s_cbranch_execz .LBB2029_39
; %bb.38:
	v_lshlrev_b32_e32 v26, 3, v27
	global_load_dwordx2 v[26:27], v26, s[0:1]
	s_waitcnt vmcnt(0)
	v_xor_b32_e32 v26, -1, v26
	v_and_b32_e32 v26, 1, v26
.LBB2029_39:
	s_or_b64 exec, exec, s[2:3]
	ds_write_b8 v0, v19
	ds_write_b8 v0, v17 offset:512
	ds_write_b8 v0, v23 offset:1024
	;; [unrolled: 1-line block ×6, first 2 shown]
	s_waitcnt lgkmcnt(0)
	s_barrier
.LBB2029_40:
	s_movk_i32 s0, 0xffcf
	v_mad_i32_i24 v38, v0, s0, v16
	ds_read_u8 v16, v38
	ds_read_u8 v17, v38 offset:1
	ds_read_u8 v19, v38 offset:2
	;; [unrolled: 1-line block ×6, first 2 shown]
	s_waitcnt lgkmcnt(6)
	v_and_b32_e32 v36, 1, v16
	s_waitcnt lgkmcnt(5)
	v_and_b32_e32 v35, 1, v17
	;; [unrolled: 2-line block ×5, first 2 shown]
	v_add3_u32 v16, v35, v36, v33
	s_waitcnt lgkmcnt(1)
	v_and_b32_e32 v30, 1, v24
	s_waitcnt lgkmcnt(0)
	v_and_b32_e32 v19, 1, v25
	v_add3_u32 v16, v16, v32, v31
	v_add3_u32 v40, v16, v30, v19
	v_mbcnt_lo_u32_b32 v16, -1, 0
	v_mbcnt_hi_u32_b32 v37, -1, v16
	v_and_b32_e32 v16, 15, v37
	v_cmp_eq_u32_e64 s[14:15], 0, v16
	v_cmp_lt_u32_e64 s[12:13], 1, v16
	v_cmp_lt_u32_e64 s[10:11], 3, v16
	;; [unrolled: 1-line block ×3, first 2 shown]
	v_and_b32_e32 v16, 16, v37
	v_cmp_eq_u32_e64 s[6:7], 0, v16
	v_or_b32_e32 v16, 63, v0
	s_cmp_lg_u32 s42, 0
	v_cmp_lt_u32_e64 s[2:3], 31, v37
	v_lshrrev_b32_e32 v39, 6, v0
	v_cmp_eq_u32_e64 s[4:5], v16, v0
	s_barrier
	s_cbranch_scc0 .LBB2029_67
; %bb.41:
	v_mov_b32_dpp v16, v40 row_shr:1 row_mask:0xf bank_mask:0xf
	v_cndmask_b32_e64 v16, v16, 0, s[14:15]
	v_add_u32_e32 v16, v16, v40
	s_nop 1
	v_mov_b32_dpp v17, v16 row_shr:2 row_mask:0xf bank_mask:0xf
	v_cndmask_b32_e64 v17, 0, v17, s[12:13]
	v_add_u32_e32 v16, v16, v17
	s_nop 1
	;; [unrolled: 4-line block ×4, first 2 shown]
	v_mov_b32_dpp v17, v16 row_bcast:15 row_mask:0xf bank_mask:0xf
	v_cndmask_b32_e64 v17, v17, 0, s[6:7]
	v_add_u32_e32 v16, v16, v17
	s_nop 1
	v_mov_b32_dpp v17, v16 row_bcast:31 row_mask:0xf bank_mask:0xf
	v_cndmask_b32_e64 v17, 0, v17, s[2:3]
	v_add_u32_e32 v16, v16, v17
	s_and_saveexec_b64 s[0:1], s[4:5]
	s_cbranch_execz .LBB2029_43
; %bb.42:
	v_lshlrev_b32_e32 v17, 2, v39
	ds_write_b32 v17, v16
.LBB2029_43:
	s_or_b64 exec, exec, s[0:1]
	v_cmp_gt_u32_e32 vcc, 8, v0
	s_waitcnt lgkmcnt(0)
	s_barrier
	s_and_saveexec_b64 s[0:1], vcc
	s_cbranch_execz .LBB2029_45
; %bb.44:
	v_lshlrev_b32_e32 v17, 2, v0
	ds_read_b32 v22, v17
	v_and_b32_e32 v23, 7, v37
	v_cmp_ne_u32_e32 vcc, 0, v23
	s_waitcnt lgkmcnt(0)
	v_mov_b32_dpp v24, v22 row_shr:1 row_mask:0xf bank_mask:0xf
	v_cndmask_b32_e32 v24, 0, v24, vcc
	v_add_u32_e32 v22, v24, v22
	v_cmp_lt_u32_e32 vcc, 1, v23
	s_nop 0
	v_mov_b32_dpp v24, v22 row_shr:2 row_mask:0xf bank_mask:0xf
	v_cndmask_b32_e32 v24, 0, v24, vcc
	v_add_u32_e32 v22, v22, v24
	v_cmp_lt_u32_e32 vcc, 3, v23
	s_nop 0
	v_mov_b32_dpp v24, v22 row_shr:4 row_mask:0xf bank_mask:0xf
	v_cndmask_b32_e32 v23, 0, v24, vcc
	v_add_u32_e32 v22, v22, v23
	ds_write_b32 v17, v22
.LBB2029_45:
	s_or_b64 exec, exec, s[0:1]
	v_cmp_gt_u32_e32 vcc, 64, v0
	v_cmp_lt_u32_e64 s[0:1], 63, v0
	s_waitcnt lgkmcnt(0)
	s_barrier
	s_waitcnt lgkmcnt(0)
                                        ; implicit-def: $vgpr34
	s_and_saveexec_b64 s[16:17], s[0:1]
	s_cbranch_execz .LBB2029_47
; %bb.46:
	v_lshl_add_u32 v17, v39, 2, -4
	ds_read_b32 v34, v17
	s_waitcnt lgkmcnt(0)
	v_add_u32_e32 v16, v34, v16
.LBB2029_47:
	s_or_b64 exec, exec, s[16:17]
	v_add_u32_e32 v17, -1, v37
	v_and_b32_e32 v22, 64, v37
	v_cmp_lt_i32_e64 s[0:1], v17, v22
	v_cmp_eq_u32_e64 s[16:17], 0, v37
	s_nop 0
	v_cndmask_b32_e64 v17, v17, v37, s[0:1]
	v_lshlrev_b32_e32 v17, 2, v17
	ds_bpermute_b32 v41, v17, v16
	s_and_saveexec_b64 s[0:1], vcc
	s_cbranch_execz .LBB2029_66
; %bb.48:
	v_mov_b32_e32 v27, 0
	ds_read_b32 v16, v27 offset:28
	s_and_saveexec_b64 s[38:39], s[16:17]
	s_cbranch_execz .LBB2029_50
; %bb.49:
	s_add_i32 s40, s42, 64
	s_mov_b32 s41, 0
	s_lshl_b64 s[40:41], s[40:41], 3
	s_add_u32 s40, s36, s40
	v_mov_b32_e32 v17, 1
	s_addc_u32 s41, s37, s41
	s_waitcnt lgkmcnt(0)
	global_store_dwordx2 v27, v[16:17], s[40:41] sc1
.LBB2029_50:
	s_or_b64 exec, exec, s[38:39]
	v_xad_u32 v22, v37, -1, s42
	v_add_u32_e32 v26, 64, v22
	v_lshl_add_u64 v[28:29], v[26:27], 3, s[36:37]
	global_load_dwordx2 v[24:25], v[28:29], off sc1
	s_waitcnt vmcnt(0)
	v_cmp_eq_u16_sdwa s[40:41], v25, v27 src0_sel:BYTE_0 src1_sel:DWORD
	s_and_saveexec_b64 s[38:39], s[40:41]
	s_cbranch_execz .LBB2029_54
; %bb.51:
	s_mov_b64 s[40:41], 0
	v_mov_b32_e32 v17, 0
.LBB2029_52:                            ; =>This Inner Loop Header: Depth=1
	global_load_dwordx2 v[24:25], v[28:29], off sc1
	s_waitcnt vmcnt(0)
	v_cmp_ne_u16_sdwa s[44:45], v25, v17 src0_sel:BYTE_0 src1_sel:DWORD
	s_or_b64 s[40:41], s[44:45], s[40:41]
	s_andn2_b64 exec, exec, s[40:41]
	s_cbranch_execnz .LBB2029_52
; %bb.53:
	s_or_b64 exec, exec, s[40:41]
.LBB2029_54:
	s_or_b64 exec, exec, s[38:39]
	v_and_b32_e32 v43, 63, v37
	v_mov_b32_e32 v42, 2
	v_cmp_ne_u32_e32 vcc, 63, v43
	v_cmp_eq_u16_sdwa s[38:39], v25, v42 src0_sel:BYTE_0 src1_sel:DWORD
	v_lshlrev_b64 v[26:27], v37, -1
	v_addc_co_u32_e32 v28, vcc, 0, v37, vcc
	v_and_b32_e32 v17, s39, v27
	v_lshlrev_b32_e32 v44, 2, v28
	v_or_b32_e32 v17, 0x80000000, v17
	ds_bpermute_b32 v28, v44, v24
	v_and_b32_e32 v23, s38, v26
	v_ffbl_b32_e32 v17, v17
	v_add_u32_e32 v17, 32, v17
	v_ffbl_b32_e32 v23, v23
	v_min_u32_e32 v17, v23, v17
	v_cmp_lt_u32_e32 vcc, v43, v17
	v_add_u32_e32 v46, 2, v43
	v_add_u32_e32 v48, 4, v43
	s_waitcnt lgkmcnt(0)
	v_cndmask_b32_e32 v23, 0, v28, vcc
	v_cmp_gt_u32_e32 vcc, 62, v43
	v_add_u32_e32 v23, v23, v24
	v_add_u32_e32 v50, 8, v43
	v_cndmask_b32_e64 v24, 0, 1, vcc
	v_lshlrev_b32_e32 v24, 1, v24
	v_add_lshl_u32 v45, v24, v37, 2
	ds_bpermute_b32 v24, v45, v23
	v_cmp_le_u32_e32 vcc, v46, v17
	v_add_u32_e32 v52, 16, v43
	v_add_u32_e32 v54, 32, v43
	s_waitcnt lgkmcnt(0)
	v_cndmask_b32_e32 v24, 0, v24, vcc
	v_cmp_gt_u32_e32 vcc, 60, v43
	v_add_u32_e32 v23, v23, v24
	s_nop 0
	v_cndmask_b32_e64 v24, 0, 1, vcc
	v_lshlrev_b32_e32 v24, 2, v24
	v_add_lshl_u32 v47, v24, v37, 2
	ds_bpermute_b32 v24, v47, v23
	v_cmp_le_u32_e32 vcc, v48, v17
	s_waitcnt lgkmcnt(0)
	s_nop 0
	v_cndmask_b32_e32 v24, 0, v24, vcc
	v_cmp_gt_u32_e32 vcc, 56, v43
	v_add_u32_e32 v23, v23, v24
	s_nop 0
	v_cndmask_b32_e64 v24, 0, 1, vcc
	v_lshlrev_b32_e32 v24, 3, v24
	v_add_lshl_u32 v49, v24, v37, 2
	ds_bpermute_b32 v24, v49, v23
	v_cmp_le_u32_e32 vcc, v50, v17
	s_waitcnt lgkmcnt(0)
	s_nop 0
	;; [unrolled: 11-line block ×4, first 2 shown]
	v_cndmask_b32_e32 v17, 0, v24, vcc
	v_add_u32_e32 v24, v23, v17
	v_mov_b32_e32 v23, 0
	s_branch .LBB2029_56
.LBB2029_55:                            ;   in Loop: Header=BB2029_56 Depth=1
	s_or_b64 exec, exec, s[38:39]
	v_cmp_eq_u16_sdwa s[38:39], v25, v42 src0_sel:BYTE_0 src1_sel:DWORD
	ds_bpermute_b32 v55, v44, v24
	v_subrev_u32_e32 v22, 64, v22
	v_and_b32_e32 v28, s39, v27
	v_or_b32_e32 v28, 0x80000000, v28
	v_and_b32_e32 v29, s38, v26
	v_ffbl_b32_e32 v28, v28
	v_add_u32_e32 v28, 32, v28
	v_ffbl_b32_e32 v29, v29
	v_min_u32_e32 v28, v29, v28
	v_cmp_lt_u32_e32 vcc, v43, v28
	s_waitcnt lgkmcnt(0)
	s_nop 0
	v_cndmask_b32_e32 v29, 0, v55, vcc
	v_add_u32_e32 v24, v29, v24
	ds_bpermute_b32 v29, v45, v24
	v_cmp_le_u32_e32 vcc, v46, v28
	s_waitcnt lgkmcnt(0)
	s_nop 0
	v_cndmask_b32_e32 v29, 0, v29, vcc
	v_add_u32_e32 v24, v24, v29
	ds_bpermute_b32 v29, v47, v24
	v_cmp_le_u32_e32 vcc, v48, v28
	;; [unrolled: 6-line block ×5, first 2 shown]
	s_waitcnt lgkmcnt(0)
	s_nop 0
	v_cndmask_b32_e32 v28, 0, v29, vcc
	v_add3_u32 v24, v28, v17, v24
.LBB2029_56:                            ; =>This Loop Header: Depth=1
                                        ;     Child Loop BB2029_59 Depth 2
	v_cmp_ne_u16_sdwa s[38:39], v25, v42 src0_sel:BYTE_0 src1_sel:DWORD
	s_nop 1
	v_cndmask_b32_e64 v17, 0, 1, s[38:39]
	;;#ASMSTART
	;;#ASMEND
	s_nop 0
	v_cmp_ne_u32_e32 vcc, 0, v17
	s_cmp_lg_u64 vcc, exec
	v_mov_b32_e32 v17, v24
	s_cbranch_scc1 .LBB2029_61
; %bb.57:                               ;   in Loop: Header=BB2029_56 Depth=1
	v_lshl_add_u64 v[28:29], v[22:23], 3, s[36:37]
	global_load_dwordx2 v[24:25], v[28:29], off sc1
	s_waitcnt vmcnt(0)
	v_cmp_eq_u16_sdwa s[40:41], v25, v23 src0_sel:BYTE_0 src1_sel:DWORD
	s_and_saveexec_b64 s[38:39], s[40:41]
	s_cbranch_execz .LBB2029_55
; %bb.58:                               ;   in Loop: Header=BB2029_56 Depth=1
	s_mov_b64 s[40:41], 0
.LBB2029_59:                            ;   Parent Loop BB2029_56 Depth=1
                                        ; =>  This Inner Loop Header: Depth=2
	global_load_dwordx2 v[24:25], v[28:29], off sc1
	s_waitcnt vmcnt(0)
	v_cmp_ne_u16_sdwa s[44:45], v25, v23 src0_sel:BYTE_0 src1_sel:DWORD
	s_or_b64 s[40:41], s[44:45], s[40:41]
	s_andn2_b64 exec, exec, s[40:41]
	s_cbranch_execnz .LBB2029_59
; %bb.60:                               ;   in Loop: Header=BB2029_56 Depth=1
	s_or_b64 exec, exec, s[40:41]
	s_branch .LBB2029_55
.LBB2029_61:                            ;   in Loop: Header=BB2029_56 Depth=1
                                        ; implicit-def: $vgpr24
                                        ; implicit-def: $vgpr25
	s_cbranch_execz .LBB2029_56
; %bb.62:
	s_and_saveexec_b64 s[38:39], s[16:17]
	s_cbranch_execz .LBB2029_64
; %bb.63:
	s_add_i32 s40, s42, 64
	s_mov_b32 s41, 0
	s_lshl_b64 s[40:41], s[40:41], 3
	s_add_u32 s40, s36, s40
	v_add_u32_e32 v22, v17, v16
	v_mov_b32_e32 v23, 2
	s_addc_u32 s41, s37, s41
	v_mov_b32_e32 v24, 0
	global_store_dwordx2 v24, v[22:23], s[40:41] sc1
	ds_write_b64 v24, v[16:17] offset:28672
.LBB2029_64:
	s_or_b64 exec, exec, s[38:39]
	s_and_b64 exec, exec, s[18:19]
	s_cbranch_execz .LBB2029_66
; %bb.65:
	v_mov_b32_e32 v16, 0
	ds_write_b32 v16, v17 offset:28
.LBB2029_66:
	s_or_b64 exec, exec, s[0:1]
	v_mov_b32_e32 v16, 0
	s_waitcnt lgkmcnt(0)
	s_barrier
	ds_read_b32 v17, v16 offset:28
	v_cndmask_b32_e64 v22, v41, v34, s[16:17]
	v_cndmask_b32_e64 v22, v22, 0, s[18:19]
	s_waitcnt lgkmcnt(0)
	s_barrier
	v_add_u32_e32 v28, v17, v22
	v_add_u32_e32 v27, v28, v36
	ds_read_b64 v[16:17], v16 offset:28672
	v_add_u32_e32 v26, v27, v35
	v_add_u32_e32 v24, v26, v33
	;; [unrolled: 1-line block ×5, first 2 shown]
	s_waitcnt lgkmcnt(0)
	v_mov_b32_e32 v34, v17
	s_branch .LBB2029_77
.LBB2029_67:
                                        ; implicit-def: $vgpr34
                                        ; implicit-def: $vgpr16
                                        ; implicit-def: $vgpr22
                                        ; implicit-def: $vgpr23
                                        ; implicit-def: $vgpr25
                                        ; implicit-def: $vgpr24
                                        ; implicit-def: $vgpr26
                                        ; implicit-def: $vgpr27
                                        ; implicit-def: $vgpr28
	s_cbranch_execz .LBB2029_77
; %bb.68:
	s_nop 0
	v_mov_b32_dpp v16, v40 row_shr:1 row_mask:0xf bank_mask:0xf
	v_cndmask_b32_e64 v16, v16, 0, s[14:15]
	v_add_u32_e32 v16, v16, v40
	s_nop 1
	v_mov_b32_dpp v17, v16 row_shr:2 row_mask:0xf bank_mask:0xf
	v_cndmask_b32_e64 v17, 0, v17, s[12:13]
	v_add_u32_e32 v16, v16, v17
	s_nop 1
	v_mov_b32_dpp v17, v16 row_shr:4 row_mask:0xf bank_mask:0xf
	v_cndmask_b32_e64 v17, 0, v17, s[10:11]
	v_add_u32_e32 v16, v16, v17
	s_nop 1
	v_mov_b32_dpp v17, v16 row_shr:8 row_mask:0xf bank_mask:0xf
	v_cndmask_b32_e64 v17, 0, v17, s[8:9]
	v_add_u32_e32 v16, v16, v17
	s_nop 1
	v_mov_b32_dpp v17, v16 row_bcast:15 row_mask:0xf bank_mask:0xf
	v_cndmask_b32_e64 v17, v17, 0, s[6:7]
	v_add_u32_e32 v16, v16, v17
	s_nop 1
	v_mov_b32_dpp v17, v16 row_bcast:31 row_mask:0xf bank_mask:0xf
	v_cndmask_b32_e64 v17, 0, v17, s[2:3]
	v_add_u32_e32 v16, v16, v17
	s_and_saveexec_b64 s[0:1], s[4:5]
	s_cbranch_execz .LBB2029_70
; %bb.69:
	v_lshlrev_b32_e32 v17, 2, v39
	ds_write_b32 v17, v16
.LBB2029_70:
	s_or_b64 exec, exec, s[0:1]
	v_cmp_gt_u32_e32 vcc, 8, v0
	s_waitcnt lgkmcnt(0)
	s_barrier
	s_and_saveexec_b64 s[0:1], vcc
	s_cbranch_execz .LBB2029_72
; %bb.71:
	v_mad_i32_i24 v17, v0, -3, v38
	ds_read_b32 v22, v17
	v_and_b32_e32 v23, 7, v37
	v_cmp_ne_u32_e32 vcc, 0, v23
	s_waitcnt lgkmcnt(0)
	v_mov_b32_dpp v24, v22 row_shr:1 row_mask:0xf bank_mask:0xf
	v_cndmask_b32_e32 v24, 0, v24, vcc
	v_add_u32_e32 v22, v24, v22
	v_cmp_lt_u32_e32 vcc, 1, v23
	s_nop 0
	v_mov_b32_dpp v24, v22 row_shr:2 row_mask:0xf bank_mask:0xf
	v_cndmask_b32_e32 v24, 0, v24, vcc
	v_add_u32_e32 v22, v22, v24
	v_cmp_lt_u32_e32 vcc, 3, v23
	s_nop 0
	v_mov_b32_dpp v24, v22 row_shr:4 row_mask:0xf bank_mask:0xf
	v_cndmask_b32_e32 v23, 0, v24, vcc
	v_add_u32_e32 v22, v22, v23
	ds_write_b32 v17, v22
.LBB2029_72:
	s_or_b64 exec, exec, s[0:1]
	v_cmp_lt_u32_e32 vcc, 63, v0
	v_mov_b32_e32 v17, 0
	v_mov_b32_e32 v22, 0
	s_waitcnt lgkmcnt(0)
	s_barrier
	s_and_saveexec_b64 s[0:1], vcc
	s_cbranch_execz .LBB2029_74
; %bb.73:
	v_lshl_add_u32 v22, v39, 2, -4
	ds_read_b32 v22, v22
.LBB2029_74:
	s_or_b64 exec, exec, s[0:1]
	v_add_u32_e32 v23, -1, v37
	v_and_b32_e32 v24, 64, v37
	v_cmp_lt_i32_e32 vcc, v23, v24
	s_waitcnt lgkmcnt(0)
	v_add_u32_e32 v16, v22, v16
	v_cndmask_b32_e32 v23, v23, v37, vcc
	v_lshlrev_b32_e32 v23, 2, v23
	ds_bpermute_b32 v23, v23, v16
	ds_read_b32 v16, v17 offset:28
	s_and_saveexec_b64 s[0:1], s[18:19]
	s_cbranch_execz .LBB2029_76
; %bb.75:
	v_mov_b32_e32 v24, 0
	v_mov_b32_e32 v17, 2
	s_waitcnt lgkmcnt(0)
	global_store_dwordx2 v24, v[16:17], s[36:37] offset:512 sc1
.LBB2029_76:
	s_or_b64 exec, exec, s[0:1]
	v_cmp_eq_u32_e32 vcc, 0, v37
	v_mov_b32_e32 v34, 0
	s_waitcnt lgkmcnt(0)
	v_cndmask_b32_e32 v17, v23, v22, vcc
	v_cndmask_b32_e64 v28, v17, 0, s[18:19]
	v_add_u32_e32 v27, v28, v36
	v_add_u32_e32 v26, v27, v35
	;; [unrolled: 1-line block ×6, first 2 shown]
	s_barrier
.LBB2029_77:
	v_add_u32_e32 v1, v16, v1
	v_sub_u32_e32 v17, v28, v34
	v_sub_u32_e32 v28, v1, v17
	v_cmp_eq_u32_e32 vcc, 1, v36
	s_add_u32 s0, s26, s24
	s_addc_u32 s1, s27, 0
	v_cndmask_b32_e32 v17, v28, v17, vcc
	v_lshlrev_b32_e32 v17, 3, v17
	ds_write_b64 v17, v[10:11]
	v_sub_u32_e32 v10, v27, v34
	v_sub_u32_e32 v11, v1, v10
	v_add_u32_e32 v11, 1, v11
	v_cmp_eq_u32_e32 vcc, 1, v35
	s_sub_u32 s0, s30, s0
	s_subb_u32 s1, s31, s1
	v_cndmask_b32_e32 v10, v11, v10, vcc
	v_lshlrev_b32_e32 v10, 3, v10
	ds_write_b64 v10, v[12:13]
	v_sub_u32_e32 v10, v26, v34
	v_sub_u32_e32 v11, v1, v10
	v_add_u32_e32 v11, 2, v11
	v_cmp_eq_u32_e32 vcc, 1, v33
	v_or_b32_e32 v28, 0x600, v0
	v_or_b32_e32 v26, 0x800, v0
	v_cndmask_b32_e32 v10, v11, v10, vcc
	v_lshlrev_b32_e32 v10, 3, v10
	ds_write_b64 v10, v[6:7]
	v_sub_u32_e32 v6, v24, v34
	v_sub_u32_e32 v7, v1, v6
	v_add_u32_e32 v7, 3, v7
	v_cmp_eq_u32_e32 vcc, 1, v32
	v_or_b32_e32 v32, 0x200, v0
	v_or_b32_e32 v24, 0xa00, v0
	v_cndmask_b32_e32 v6, v7, v6, vcc
	v_lshlrev_b32_e32 v6, 3, v6
	ds_write_b64 v6, v[8:9]
	v_sub_u32_e32 v6, v25, v34
	v_sub_u32_e32 v7, v1, v6
	v_add_u32_e32 v7, 4, v7
	v_cmp_eq_u32_e32 vcc, 1, v31
	s_nop 1
	v_cndmask_b32_e32 v6, v7, v6, vcc
	v_lshlrev_b32_e32 v6, 3, v6
	ds_write_b64 v6, v[2:3]
	v_sub_u32_e32 v2, v23, v34
	v_sub_u32_e32 v3, v1, v2
	v_add_u32_e32 v3, 5, v3
	v_cmp_eq_u32_e32 vcc, 1, v30
	v_or_b32_e32 v30, 0x400, v0
	s_nop 0
	v_cndmask_b32_e32 v2, v3, v2, vcc
	v_lshlrev_b32_e32 v2, 3, v2
	ds_write_b64 v2, v[4:5]
	v_sub_u32_e32 v2, v22, v34
	v_sub_u32_e32 v1, v1, v2
	v_add_u32_e32 v1, 6, v1
	v_cmp_eq_u32_e32 vcc, 1, v19
	v_or_b32_e32 v22, 0xc00, v0
	s_nop 0
	v_cndmask_b32_e32 v1, v1, v2, vcc
	v_lshlrev_b32_e32 v1, 3, v1
	ds_write_b64 v1, v[14:15]
	s_waitcnt lgkmcnt(0)
	s_barrier
	ds_read2st64_b64 v[10:13], v18 offset1:8
	ds_read2st64_b64 v[6:9], v18 offset0:16 offset1:24
	ds_read2st64_b64 v[2:5], v18 offset0:32 offset1:40
	ds_read_b64 v[18:19], v18 offset:24576
	v_mov_b32_e32 v1, 0
	v_mov_b32_e32 v35, v1
	;; [unrolled: 1-line block ×3, first 2 shown]
	s_waitcnt vmcnt(0)
	v_lshl_add_u64 v[14:15], v[20:21], 0, v[34:35]
	v_lshl_add_u64 v[20:21], s[0:1], 0, v[16:17]
	v_mov_b32_e32 v33, v1
	v_mov_b32_e32 v31, v1
	v_mov_b32_e32 v29, v1
	v_mov_b32_e32 v27, v1
	v_mov_b32_e32 v25, v1
	v_mov_b32_e32 v23, v1
	s_andn2_b64 vcc, exec, s[34:35]
	v_lshl_add_u64 v[20:21], v[20:21], 0, v[14:15]
	s_cbranch_vccnz .LBB2029_110
; %bb.78:
	v_cmp_ge_u32_e32 vcc, v0, v16
                                        ; implicit-def: $vgpr34_vgpr35
	s_and_saveexec_b64 s[0:1], vcc
	s_xor_b64 s[0:1], exec, s[0:1]
; %bb.79:
	v_not_b32_e32 v34, v0
	v_ashrrev_i32_e32 v35, 31, v34
	v_lshl_add_u64 v[34:35], v[20:21], 0, v[34:35]
; %bb.80:
	s_andn2_saveexec_b64 s[0:1], s[0:1]
; %bb.81:
	v_lshl_add_u64 v[34:35], v[14:15], 0, v[0:1]
; %bb.82:
	s_or_b64 exec, exec, s[0:1]
	v_lshl_add_u64 v[34:35], v[34:35], 3, s[28:29]
	v_cmp_ge_u32_e32 vcc, v32, v16
	s_waitcnt lgkmcnt(3)
	global_store_dwordx2 v[34:35], v[10:11], off
                                        ; implicit-def: $vgpr34_vgpr35
	s_and_saveexec_b64 s[0:1], vcc
	s_xor_b64 s[0:1], exec, s[0:1]
; %bb.83:
	v_xor_b32_e32 v34, 0xfffffdff, v0
	v_ashrrev_i32_e32 v35, 31, v34
	v_lshl_add_u64 v[34:35], v[20:21], 0, v[34:35]
; %bb.84:
	s_andn2_saveexec_b64 s[0:1], s[0:1]
; %bb.85:
	v_lshl_add_u64 v[34:35], v[14:15], 0, v[32:33]
; %bb.86:
	s_or_b64 exec, exec, s[0:1]
	v_lshl_add_u64 v[34:35], v[34:35], 3, s[28:29]
	v_cmp_ge_u32_e32 vcc, v30, v16
	global_store_dwordx2 v[34:35], v[12:13], off
                                        ; implicit-def: $vgpr34_vgpr35
	s_and_saveexec_b64 s[0:1], vcc
	s_xor_b64 s[0:1], exec, s[0:1]
; %bb.87:
	v_xor_b32_e32 v34, 0xfffffbff, v0
	v_ashrrev_i32_e32 v35, 31, v34
	v_lshl_add_u64 v[34:35], v[20:21], 0, v[34:35]
; %bb.88:
	s_andn2_saveexec_b64 s[0:1], s[0:1]
; %bb.89:
	v_lshl_add_u64 v[34:35], v[14:15], 0, v[30:31]
; %bb.90:
	s_or_b64 exec, exec, s[0:1]
	v_lshl_add_u64 v[34:35], v[34:35], 3, s[28:29]
	v_cmp_ge_u32_e32 vcc, v28, v16
	s_waitcnt lgkmcnt(2)
	global_store_dwordx2 v[34:35], v[6:7], off
                                        ; implicit-def: $vgpr34_vgpr35
	s_and_saveexec_b64 s[0:1], vcc
	s_xor_b64 s[0:1], exec, s[0:1]
; %bb.91:
	v_xor_b32_e32 v34, 0xfffff9ff, v0
	v_ashrrev_i32_e32 v35, 31, v34
	v_lshl_add_u64 v[34:35], v[20:21], 0, v[34:35]
; %bb.92:
	s_andn2_saveexec_b64 s[0:1], s[0:1]
; %bb.93:
	v_lshl_add_u64 v[34:35], v[14:15], 0, v[28:29]
; %bb.94:
	s_or_b64 exec, exec, s[0:1]
	v_lshl_add_u64 v[34:35], v[34:35], 3, s[28:29]
	v_cmp_ge_u32_e32 vcc, v26, v16
	global_store_dwordx2 v[34:35], v[8:9], off
                                        ; implicit-def: $vgpr34_vgpr35
	s_and_saveexec_b64 s[0:1], vcc
	s_xor_b64 s[0:1], exec, s[0:1]
; %bb.95:
	v_xor_b32_e32 v34, 0xfffff7ff, v0
	;; [unrolled: 33-line block ×3, first 2 shown]
	v_ashrrev_i32_e32 v35, 31, v34
	v_lshl_add_u64 v[34:35], v[20:21], 0, v[34:35]
; %bb.104:
	s_andn2_saveexec_b64 s[0:1], s[0:1]
; %bb.105:
	v_lshl_add_u64 v[34:35], v[14:15], 0, v[22:23]
; %bb.106:
	s_or_b64 exec, exec, s[0:1]
	s_mov_b64 s[0:1], -1
.LBB2029_107:
	s_and_saveexec_b64 s[2:3], s[0:1]
	s_cbranch_execz .LBB2029_154
.LBB2029_108:
	v_lshl_add_u64 v[0:1], v[34:35], 3, s[28:29]
	s_waitcnt lgkmcnt(0)
	global_store_dwordx2 v[0:1], v[18:19], off
	s_or_b64 exec, exec, s[2:3]
	s_and_b64 s[0:1], s[18:19], s[22:23]
	s_and_saveexec_b64 s[2:3], s[0:1]
	s_cbranch_execnz .LBB2029_155
.LBB2029_109:
	s_endpgm
.LBB2029_110:
	s_mov_b64 s[0:1], 0
                                        ; implicit-def: $vgpr34_vgpr35
	s_cbranch_execz .LBB2029_107
; %bb.111:
	v_cmp_gt_u32_e32 vcc, s33, v0
	s_and_saveexec_b64 s[2:3], vcc
	s_cbranch_execz .LBB2029_129
; %bb.112:
	v_cmp_ge_u32_e32 vcc, v0, v16
                                        ; implicit-def: $vgpr34_vgpr35
	s_and_saveexec_b64 s[4:5], vcc
	s_xor_b64 s[4:5], exec, s[4:5]
; %bb.113:
	v_not_b32_e32 v34, v0
	v_ashrrev_i32_e32 v35, 31, v34
	v_lshl_add_u64 v[34:35], v[20:21], 0, v[34:35]
; %bb.114:
	s_andn2_saveexec_b64 s[4:5], s[4:5]
; %bb.115:
	v_lshl_add_u64 v[34:35], v[14:15], 0, v[0:1]
; %bb.116:
	s_or_b64 exec, exec, s[4:5]
	v_lshl_add_u64 v[34:35], v[34:35], 3, s[28:29]
	s_waitcnt lgkmcnt(3)
	global_store_dwordx2 v[34:35], v[10:11], off
	s_or_b64 exec, exec, s[2:3]
	v_cmp_gt_u32_e32 vcc, s33, v32
	s_and_saveexec_b64 s[2:3], vcc
	s_cbranch_execnz .LBB2029_130
.LBB2029_117:
	s_or_b64 exec, exec, s[2:3]
	v_cmp_gt_u32_e32 vcc, s33, v30
	s_and_saveexec_b64 s[2:3], vcc
	s_cbranch_execz .LBB2029_135
.LBB2029_118:
	v_cmp_ge_u32_e32 vcc, v30, v16
                                        ; implicit-def: $vgpr10_vgpr11
	s_and_saveexec_b64 s[4:5], vcc
	s_xor_b64 s[4:5], exec, s[4:5]
	s_cbranch_execz .LBB2029_120
; %bb.119:
	s_waitcnt lgkmcnt(3)
	v_xor_b32_e32 v10, 0xfffffbff, v0
	v_ashrrev_i32_e32 v11, 31, v10
	v_lshl_add_u64 v[10:11], v[20:21], 0, v[10:11]
                                        ; implicit-def: $vgpr30_vgpr31
.LBB2029_120:
	s_andn2_saveexec_b64 s[4:5], s[4:5]
	s_cbranch_execz .LBB2029_122
; %bb.121:
	s_waitcnt lgkmcnt(3)
	v_lshl_add_u64 v[10:11], v[14:15], 0, v[30:31]
.LBB2029_122:
	s_or_b64 exec, exec, s[4:5]
	s_waitcnt lgkmcnt(3)
	v_lshl_add_u64 v[10:11], v[10:11], 3, s[28:29]
	s_waitcnt lgkmcnt(2)
	global_store_dwordx2 v[10:11], v[6:7], off
	s_or_b64 exec, exec, s[2:3]
	v_cmp_gt_u32_e32 vcc, s33, v28
	s_and_saveexec_b64 s[2:3], vcc
	s_cbranch_execnz .LBB2029_136
.LBB2029_123:
	s_or_b64 exec, exec, s[2:3]
	v_cmp_gt_u32_e32 vcc, s33, v26
	s_and_saveexec_b64 s[2:3], vcc
	s_cbranch_execz .LBB2029_141
.LBB2029_124:
	v_cmp_ge_u32_e32 vcc, v26, v16
                                        ; implicit-def: $vgpr6_vgpr7
	s_and_saveexec_b64 s[4:5], vcc
	s_xor_b64 s[4:5], exec, s[4:5]
	s_cbranch_execz .LBB2029_126
; %bb.125:
	s_waitcnt lgkmcnt(2)
	v_xor_b32_e32 v6, 0xfffff7ff, v0
	v_ashrrev_i32_e32 v7, 31, v6
	v_lshl_add_u64 v[6:7], v[20:21], 0, v[6:7]
                                        ; implicit-def: $vgpr26_vgpr27
.LBB2029_126:
	s_andn2_saveexec_b64 s[4:5], s[4:5]
	s_cbranch_execz .LBB2029_128
; %bb.127:
	s_waitcnt lgkmcnt(2)
	v_lshl_add_u64 v[6:7], v[14:15], 0, v[26:27]
.LBB2029_128:
	s_or_b64 exec, exec, s[4:5]
	s_waitcnt lgkmcnt(2)
	v_lshl_add_u64 v[6:7], v[6:7], 3, s[28:29]
	s_waitcnt lgkmcnt(1)
	global_store_dwordx2 v[6:7], v[2:3], off
	s_or_b64 exec, exec, s[2:3]
	v_cmp_gt_u32_e32 vcc, s33, v24
	s_and_saveexec_b64 s[2:3], vcc
	s_cbranch_execz .LBB2029_147
	s_branch .LBB2029_142
.LBB2029_129:
	s_or_b64 exec, exec, s[2:3]
	v_cmp_gt_u32_e32 vcc, s33, v32
	s_and_saveexec_b64 s[2:3], vcc
	s_cbranch_execz .LBB2029_117
.LBB2029_130:
	v_cmp_ge_u32_e32 vcc, v32, v16
                                        ; implicit-def: $vgpr10_vgpr11
	s_and_saveexec_b64 s[4:5], vcc
	s_xor_b64 s[4:5], exec, s[4:5]
	s_cbranch_execz .LBB2029_132
; %bb.131:
	s_waitcnt lgkmcnt(3)
	v_xor_b32_e32 v10, 0xfffffdff, v0
	v_ashrrev_i32_e32 v11, 31, v10
	v_lshl_add_u64 v[10:11], v[20:21], 0, v[10:11]
                                        ; implicit-def: $vgpr32_vgpr33
.LBB2029_132:
	s_andn2_saveexec_b64 s[4:5], s[4:5]
	s_cbranch_execz .LBB2029_134
; %bb.133:
	s_waitcnt lgkmcnt(3)
	v_lshl_add_u64 v[10:11], v[14:15], 0, v[32:33]
.LBB2029_134:
	s_or_b64 exec, exec, s[4:5]
	s_waitcnt lgkmcnt(3)
	v_lshl_add_u64 v[10:11], v[10:11], 3, s[28:29]
	global_store_dwordx2 v[10:11], v[12:13], off
	s_or_b64 exec, exec, s[2:3]
	v_cmp_gt_u32_e32 vcc, s33, v30
	s_and_saveexec_b64 s[2:3], vcc
	s_cbranch_execnz .LBB2029_118
.LBB2029_135:
	s_or_b64 exec, exec, s[2:3]
	v_cmp_gt_u32_e32 vcc, s33, v28
	s_and_saveexec_b64 s[2:3], vcc
	s_cbranch_execz .LBB2029_123
.LBB2029_136:
	v_cmp_ge_u32_e32 vcc, v28, v16
                                        ; implicit-def: $vgpr6_vgpr7
	s_and_saveexec_b64 s[4:5], vcc
	s_xor_b64 s[4:5], exec, s[4:5]
	s_cbranch_execz .LBB2029_138
; %bb.137:
	s_waitcnt lgkmcnt(2)
	v_xor_b32_e32 v6, 0xfffff9ff, v0
	v_ashrrev_i32_e32 v7, 31, v6
	v_lshl_add_u64 v[6:7], v[20:21], 0, v[6:7]
                                        ; implicit-def: $vgpr28_vgpr29
.LBB2029_138:
	s_andn2_saveexec_b64 s[4:5], s[4:5]
	s_cbranch_execz .LBB2029_140
; %bb.139:
	s_waitcnt lgkmcnt(2)
	v_lshl_add_u64 v[6:7], v[14:15], 0, v[28:29]
.LBB2029_140:
	s_or_b64 exec, exec, s[4:5]
	s_waitcnt lgkmcnt(2)
	v_lshl_add_u64 v[6:7], v[6:7], 3, s[28:29]
	global_store_dwordx2 v[6:7], v[8:9], off
	s_or_b64 exec, exec, s[2:3]
	v_cmp_gt_u32_e32 vcc, s33, v26
	s_and_saveexec_b64 s[2:3], vcc
	s_cbranch_execnz .LBB2029_124
.LBB2029_141:
	s_or_b64 exec, exec, s[2:3]
	v_cmp_gt_u32_e32 vcc, s33, v24
	s_and_saveexec_b64 s[2:3], vcc
	s_cbranch_execz .LBB2029_147
.LBB2029_142:
	v_cmp_ge_u32_e32 vcc, v24, v16
                                        ; implicit-def: $vgpr2_vgpr3
	s_and_saveexec_b64 s[4:5], vcc
	s_xor_b64 s[4:5], exec, s[4:5]
	s_cbranch_execz .LBB2029_144
; %bb.143:
	s_waitcnt lgkmcnt(1)
	v_xor_b32_e32 v2, 0xfffff5ff, v0
	v_ashrrev_i32_e32 v3, 31, v2
	v_lshl_add_u64 v[2:3], v[20:21], 0, v[2:3]
                                        ; implicit-def: $vgpr24_vgpr25
.LBB2029_144:
	s_andn2_saveexec_b64 s[4:5], s[4:5]
	s_cbranch_execz .LBB2029_146
; %bb.145:
	s_waitcnt lgkmcnt(1)
	v_lshl_add_u64 v[2:3], v[14:15], 0, v[24:25]
.LBB2029_146:
	s_or_b64 exec, exec, s[4:5]
	s_waitcnt lgkmcnt(1)
	v_lshl_add_u64 v[2:3], v[2:3], 3, s[28:29]
	global_store_dwordx2 v[2:3], v[4:5], off
.LBB2029_147:
	s_or_b64 exec, exec, s[2:3]
	v_cmp_gt_u32_e32 vcc, s33, v22
                                        ; implicit-def: $vgpr34_vgpr35
	s_and_saveexec_b64 s[2:3], vcc
	s_cbranch_execz .LBB2029_153
; %bb.148:
	v_cmp_ge_u32_e32 vcc, v22, v16
                                        ; implicit-def: $vgpr34_vgpr35
	s_and_saveexec_b64 s[4:5], vcc
	s_xor_b64 s[4:5], exec, s[4:5]
; %bb.149:
	v_xor_b32_e32 v0, 0xfffff3ff, v0
	v_ashrrev_i32_e32 v1, 31, v0
	v_lshl_add_u64 v[34:35], v[20:21], 0, v[0:1]
                                        ; implicit-def: $vgpr22_vgpr23
; %bb.150:
	s_andn2_saveexec_b64 s[4:5], s[4:5]
; %bb.151:
	v_lshl_add_u64 v[34:35], v[14:15], 0, v[22:23]
; %bb.152:
	s_or_b64 exec, exec, s[4:5]
	s_or_b64 s[0:1], s[0:1], exec
.LBB2029_153:
	s_or_b64 exec, exec, s[2:3]
	s_and_saveexec_b64 s[2:3], s[0:1]
	s_cbranch_execnz .LBB2029_108
.LBB2029_154:
	s_or_b64 exec, exec, s[2:3]
	s_and_b64 s[0:1], s[18:19], s[22:23]
	s_and_saveexec_b64 s[2:3], s[0:1]
	s_cbranch_execz .LBB2029_109
.LBB2029_155:
	s_waitcnt lgkmcnt(1)
	v_mov_b32_e32 v2, 0
	v_lshl_add_u64 v[0:1], v[14:15], 0, v[16:17]
	global_store_dwordx2 v2, v[0:1], s[20:21]
	s_endpgm
	.section	.rodata,"a",@progbits
	.p2align	6, 0x0
	.amdhsa_kernel _ZN7rocprim17ROCPRIM_400000_NS6detail17trampoline_kernelINS0_14default_configENS1_25partition_config_selectorILNS1_17partition_subalgoE2EyNS0_10empty_typeEbEEZZNS1_14partition_implILS5_2ELb0ES3_jN6thrust23THRUST_200600_302600_NS6detail15normal_iteratorINSA_7pointerIyNSA_11hip_rocprim3tagENSA_11use_defaultESG_EEEEPS6_NSA_18transform_iteratorI7is_evenIyENSC_INSA_10device_ptrIyEEEESG_SG_EENS0_5tupleIJPySJ_EEENSR_IJSJ_SJ_EEES6_PlJS6_EEE10hipError_tPvRmT3_T4_T5_T6_T7_T9_mT8_P12ihipStream_tbDpT10_ENKUlT_T0_E_clISt17integral_constantIbLb0EES1E_IbLb1EEEEDaS1A_S1B_EUlS1A_E_NS1_11comp_targetILNS1_3genE5ELNS1_11target_archE942ELNS1_3gpuE9ELNS1_3repE0EEENS1_30default_config_static_selectorELNS0_4arch9wavefront6targetE1EEEvT1_
		.amdhsa_group_segment_fixed_size 28680
		.amdhsa_private_segment_fixed_size 0
		.amdhsa_kernarg_size 144
		.amdhsa_user_sgpr_count 2
		.amdhsa_user_sgpr_dispatch_ptr 0
		.amdhsa_user_sgpr_queue_ptr 0
		.amdhsa_user_sgpr_kernarg_segment_ptr 1
		.amdhsa_user_sgpr_dispatch_id 0
		.amdhsa_user_sgpr_kernarg_preload_length 0
		.amdhsa_user_sgpr_kernarg_preload_offset 0
		.amdhsa_user_sgpr_private_segment_size 0
		.amdhsa_uses_dynamic_stack 0
		.amdhsa_enable_private_segment 0
		.amdhsa_system_sgpr_workgroup_id_x 1
		.amdhsa_system_sgpr_workgroup_id_y 0
		.amdhsa_system_sgpr_workgroup_id_z 0
		.amdhsa_system_sgpr_workgroup_info 0
		.amdhsa_system_vgpr_workitem_id 0
		.amdhsa_next_free_vgpr 56
		.amdhsa_next_free_sgpr 46
		.amdhsa_accum_offset 56
		.amdhsa_reserve_vcc 1
		.amdhsa_float_round_mode_32 0
		.amdhsa_float_round_mode_16_64 0
		.amdhsa_float_denorm_mode_32 3
		.amdhsa_float_denorm_mode_16_64 3
		.amdhsa_dx10_clamp 1
		.amdhsa_ieee_mode 1
		.amdhsa_fp16_overflow 0
		.amdhsa_tg_split 0
		.amdhsa_exception_fp_ieee_invalid_op 0
		.amdhsa_exception_fp_denorm_src 0
		.amdhsa_exception_fp_ieee_div_zero 0
		.amdhsa_exception_fp_ieee_overflow 0
		.amdhsa_exception_fp_ieee_underflow 0
		.amdhsa_exception_fp_ieee_inexact 0
		.amdhsa_exception_int_div_zero 0
	.end_amdhsa_kernel
	.section	.text._ZN7rocprim17ROCPRIM_400000_NS6detail17trampoline_kernelINS0_14default_configENS1_25partition_config_selectorILNS1_17partition_subalgoE2EyNS0_10empty_typeEbEEZZNS1_14partition_implILS5_2ELb0ES3_jN6thrust23THRUST_200600_302600_NS6detail15normal_iteratorINSA_7pointerIyNSA_11hip_rocprim3tagENSA_11use_defaultESG_EEEEPS6_NSA_18transform_iteratorI7is_evenIyENSC_INSA_10device_ptrIyEEEESG_SG_EENS0_5tupleIJPySJ_EEENSR_IJSJ_SJ_EEES6_PlJS6_EEE10hipError_tPvRmT3_T4_T5_T6_T7_T9_mT8_P12ihipStream_tbDpT10_ENKUlT_T0_E_clISt17integral_constantIbLb0EES1E_IbLb1EEEEDaS1A_S1B_EUlS1A_E_NS1_11comp_targetILNS1_3genE5ELNS1_11target_archE942ELNS1_3gpuE9ELNS1_3repE0EEENS1_30default_config_static_selectorELNS0_4arch9wavefront6targetE1EEEvT1_,"axG",@progbits,_ZN7rocprim17ROCPRIM_400000_NS6detail17trampoline_kernelINS0_14default_configENS1_25partition_config_selectorILNS1_17partition_subalgoE2EyNS0_10empty_typeEbEEZZNS1_14partition_implILS5_2ELb0ES3_jN6thrust23THRUST_200600_302600_NS6detail15normal_iteratorINSA_7pointerIyNSA_11hip_rocprim3tagENSA_11use_defaultESG_EEEEPS6_NSA_18transform_iteratorI7is_evenIyENSC_INSA_10device_ptrIyEEEESG_SG_EENS0_5tupleIJPySJ_EEENSR_IJSJ_SJ_EEES6_PlJS6_EEE10hipError_tPvRmT3_T4_T5_T6_T7_T9_mT8_P12ihipStream_tbDpT10_ENKUlT_T0_E_clISt17integral_constantIbLb0EES1E_IbLb1EEEEDaS1A_S1B_EUlS1A_E_NS1_11comp_targetILNS1_3genE5ELNS1_11target_archE942ELNS1_3gpuE9ELNS1_3repE0EEENS1_30default_config_static_selectorELNS0_4arch9wavefront6targetE1EEEvT1_,comdat
.Lfunc_end2029:
	.size	_ZN7rocprim17ROCPRIM_400000_NS6detail17trampoline_kernelINS0_14default_configENS1_25partition_config_selectorILNS1_17partition_subalgoE2EyNS0_10empty_typeEbEEZZNS1_14partition_implILS5_2ELb0ES3_jN6thrust23THRUST_200600_302600_NS6detail15normal_iteratorINSA_7pointerIyNSA_11hip_rocprim3tagENSA_11use_defaultESG_EEEEPS6_NSA_18transform_iteratorI7is_evenIyENSC_INSA_10device_ptrIyEEEESG_SG_EENS0_5tupleIJPySJ_EEENSR_IJSJ_SJ_EEES6_PlJS6_EEE10hipError_tPvRmT3_T4_T5_T6_T7_T9_mT8_P12ihipStream_tbDpT10_ENKUlT_T0_E_clISt17integral_constantIbLb0EES1E_IbLb1EEEEDaS1A_S1B_EUlS1A_E_NS1_11comp_targetILNS1_3genE5ELNS1_11target_archE942ELNS1_3gpuE9ELNS1_3repE0EEENS1_30default_config_static_selectorELNS0_4arch9wavefront6targetE1EEEvT1_, .Lfunc_end2029-_ZN7rocprim17ROCPRIM_400000_NS6detail17trampoline_kernelINS0_14default_configENS1_25partition_config_selectorILNS1_17partition_subalgoE2EyNS0_10empty_typeEbEEZZNS1_14partition_implILS5_2ELb0ES3_jN6thrust23THRUST_200600_302600_NS6detail15normal_iteratorINSA_7pointerIyNSA_11hip_rocprim3tagENSA_11use_defaultESG_EEEEPS6_NSA_18transform_iteratorI7is_evenIyENSC_INSA_10device_ptrIyEEEESG_SG_EENS0_5tupleIJPySJ_EEENSR_IJSJ_SJ_EEES6_PlJS6_EEE10hipError_tPvRmT3_T4_T5_T6_T7_T9_mT8_P12ihipStream_tbDpT10_ENKUlT_T0_E_clISt17integral_constantIbLb0EES1E_IbLb1EEEEDaS1A_S1B_EUlS1A_E_NS1_11comp_targetILNS1_3genE5ELNS1_11target_archE942ELNS1_3gpuE9ELNS1_3repE0EEENS1_30default_config_static_selectorELNS0_4arch9wavefront6targetE1EEEvT1_
                                        ; -- End function
	.section	.AMDGPU.csdata,"",@progbits
; Kernel info:
; codeLenInByte = 5604
; NumSgprs: 52
; NumVgprs: 56
; NumAgprs: 0
; TotalNumVgprs: 56
; ScratchSize: 0
; MemoryBound: 0
; FloatMode: 240
; IeeeMode: 1
; LDSByteSize: 28680 bytes/workgroup (compile time only)
; SGPRBlocks: 6
; VGPRBlocks: 6
; NumSGPRsForWavesPerEU: 52
; NumVGPRsForWavesPerEU: 56
; AccumOffset: 56
; Occupancy: 4
; WaveLimiterHint : 1
; COMPUTE_PGM_RSRC2:SCRATCH_EN: 0
; COMPUTE_PGM_RSRC2:USER_SGPR: 2
; COMPUTE_PGM_RSRC2:TRAP_HANDLER: 0
; COMPUTE_PGM_RSRC2:TGID_X_EN: 1
; COMPUTE_PGM_RSRC2:TGID_Y_EN: 0
; COMPUTE_PGM_RSRC2:TGID_Z_EN: 0
; COMPUTE_PGM_RSRC2:TIDIG_COMP_CNT: 0
; COMPUTE_PGM_RSRC3_GFX90A:ACCUM_OFFSET: 13
; COMPUTE_PGM_RSRC3_GFX90A:TG_SPLIT: 0
	.section	.text._ZN7rocprim17ROCPRIM_400000_NS6detail17trampoline_kernelINS0_14default_configENS1_25partition_config_selectorILNS1_17partition_subalgoE2EyNS0_10empty_typeEbEEZZNS1_14partition_implILS5_2ELb0ES3_jN6thrust23THRUST_200600_302600_NS6detail15normal_iteratorINSA_7pointerIyNSA_11hip_rocprim3tagENSA_11use_defaultESG_EEEEPS6_NSA_18transform_iteratorI7is_evenIyENSC_INSA_10device_ptrIyEEEESG_SG_EENS0_5tupleIJPySJ_EEENSR_IJSJ_SJ_EEES6_PlJS6_EEE10hipError_tPvRmT3_T4_T5_T6_T7_T9_mT8_P12ihipStream_tbDpT10_ENKUlT_T0_E_clISt17integral_constantIbLb0EES1E_IbLb1EEEEDaS1A_S1B_EUlS1A_E_NS1_11comp_targetILNS1_3genE4ELNS1_11target_archE910ELNS1_3gpuE8ELNS1_3repE0EEENS1_30default_config_static_selectorELNS0_4arch9wavefront6targetE1EEEvT1_,"axG",@progbits,_ZN7rocprim17ROCPRIM_400000_NS6detail17trampoline_kernelINS0_14default_configENS1_25partition_config_selectorILNS1_17partition_subalgoE2EyNS0_10empty_typeEbEEZZNS1_14partition_implILS5_2ELb0ES3_jN6thrust23THRUST_200600_302600_NS6detail15normal_iteratorINSA_7pointerIyNSA_11hip_rocprim3tagENSA_11use_defaultESG_EEEEPS6_NSA_18transform_iteratorI7is_evenIyENSC_INSA_10device_ptrIyEEEESG_SG_EENS0_5tupleIJPySJ_EEENSR_IJSJ_SJ_EEES6_PlJS6_EEE10hipError_tPvRmT3_T4_T5_T6_T7_T9_mT8_P12ihipStream_tbDpT10_ENKUlT_T0_E_clISt17integral_constantIbLb0EES1E_IbLb1EEEEDaS1A_S1B_EUlS1A_E_NS1_11comp_targetILNS1_3genE4ELNS1_11target_archE910ELNS1_3gpuE8ELNS1_3repE0EEENS1_30default_config_static_selectorELNS0_4arch9wavefront6targetE1EEEvT1_,comdat
	.protected	_ZN7rocprim17ROCPRIM_400000_NS6detail17trampoline_kernelINS0_14default_configENS1_25partition_config_selectorILNS1_17partition_subalgoE2EyNS0_10empty_typeEbEEZZNS1_14partition_implILS5_2ELb0ES3_jN6thrust23THRUST_200600_302600_NS6detail15normal_iteratorINSA_7pointerIyNSA_11hip_rocprim3tagENSA_11use_defaultESG_EEEEPS6_NSA_18transform_iteratorI7is_evenIyENSC_INSA_10device_ptrIyEEEESG_SG_EENS0_5tupleIJPySJ_EEENSR_IJSJ_SJ_EEES6_PlJS6_EEE10hipError_tPvRmT3_T4_T5_T6_T7_T9_mT8_P12ihipStream_tbDpT10_ENKUlT_T0_E_clISt17integral_constantIbLb0EES1E_IbLb1EEEEDaS1A_S1B_EUlS1A_E_NS1_11comp_targetILNS1_3genE4ELNS1_11target_archE910ELNS1_3gpuE8ELNS1_3repE0EEENS1_30default_config_static_selectorELNS0_4arch9wavefront6targetE1EEEvT1_ ; -- Begin function _ZN7rocprim17ROCPRIM_400000_NS6detail17trampoline_kernelINS0_14default_configENS1_25partition_config_selectorILNS1_17partition_subalgoE2EyNS0_10empty_typeEbEEZZNS1_14partition_implILS5_2ELb0ES3_jN6thrust23THRUST_200600_302600_NS6detail15normal_iteratorINSA_7pointerIyNSA_11hip_rocprim3tagENSA_11use_defaultESG_EEEEPS6_NSA_18transform_iteratorI7is_evenIyENSC_INSA_10device_ptrIyEEEESG_SG_EENS0_5tupleIJPySJ_EEENSR_IJSJ_SJ_EEES6_PlJS6_EEE10hipError_tPvRmT3_T4_T5_T6_T7_T9_mT8_P12ihipStream_tbDpT10_ENKUlT_T0_E_clISt17integral_constantIbLb0EES1E_IbLb1EEEEDaS1A_S1B_EUlS1A_E_NS1_11comp_targetILNS1_3genE4ELNS1_11target_archE910ELNS1_3gpuE8ELNS1_3repE0EEENS1_30default_config_static_selectorELNS0_4arch9wavefront6targetE1EEEvT1_
	.globl	_ZN7rocprim17ROCPRIM_400000_NS6detail17trampoline_kernelINS0_14default_configENS1_25partition_config_selectorILNS1_17partition_subalgoE2EyNS0_10empty_typeEbEEZZNS1_14partition_implILS5_2ELb0ES3_jN6thrust23THRUST_200600_302600_NS6detail15normal_iteratorINSA_7pointerIyNSA_11hip_rocprim3tagENSA_11use_defaultESG_EEEEPS6_NSA_18transform_iteratorI7is_evenIyENSC_INSA_10device_ptrIyEEEESG_SG_EENS0_5tupleIJPySJ_EEENSR_IJSJ_SJ_EEES6_PlJS6_EEE10hipError_tPvRmT3_T4_T5_T6_T7_T9_mT8_P12ihipStream_tbDpT10_ENKUlT_T0_E_clISt17integral_constantIbLb0EES1E_IbLb1EEEEDaS1A_S1B_EUlS1A_E_NS1_11comp_targetILNS1_3genE4ELNS1_11target_archE910ELNS1_3gpuE8ELNS1_3repE0EEENS1_30default_config_static_selectorELNS0_4arch9wavefront6targetE1EEEvT1_
	.p2align	8
	.type	_ZN7rocprim17ROCPRIM_400000_NS6detail17trampoline_kernelINS0_14default_configENS1_25partition_config_selectorILNS1_17partition_subalgoE2EyNS0_10empty_typeEbEEZZNS1_14partition_implILS5_2ELb0ES3_jN6thrust23THRUST_200600_302600_NS6detail15normal_iteratorINSA_7pointerIyNSA_11hip_rocprim3tagENSA_11use_defaultESG_EEEEPS6_NSA_18transform_iteratorI7is_evenIyENSC_INSA_10device_ptrIyEEEESG_SG_EENS0_5tupleIJPySJ_EEENSR_IJSJ_SJ_EEES6_PlJS6_EEE10hipError_tPvRmT3_T4_T5_T6_T7_T9_mT8_P12ihipStream_tbDpT10_ENKUlT_T0_E_clISt17integral_constantIbLb0EES1E_IbLb1EEEEDaS1A_S1B_EUlS1A_E_NS1_11comp_targetILNS1_3genE4ELNS1_11target_archE910ELNS1_3gpuE8ELNS1_3repE0EEENS1_30default_config_static_selectorELNS0_4arch9wavefront6targetE1EEEvT1_,@function
_ZN7rocprim17ROCPRIM_400000_NS6detail17trampoline_kernelINS0_14default_configENS1_25partition_config_selectorILNS1_17partition_subalgoE2EyNS0_10empty_typeEbEEZZNS1_14partition_implILS5_2ELb0ES3_jN6thrust23THRUST_200600_302600_NS6detail15normal_iteratorINSA_7pointerIyNSA_11hip_rocprim3tagENSA_11use_defaultESG_EEEEPS6_NSA_18transform_iteratorI7is_evenIyENSC_INSA_10device_ptrIyEEEESG_SG_EENS0_5tupleIJPySJ_EEENSR_IJSJ_SJ_EEES6_PlJS6_EEE10hipError_tPvRmT3_T4_T5_T6_T7_T9_mT8_P12ihipStream_tbDpT10_ENKUlT_T0_E_clISt17integral_constantIbLb0EES1E_IbLb1EEEEDaS1A_S1B_EUlS1A_E_NS1_11comp_targetILNS1_3genE4ELNS1_11target_archE910ELNS1_3gpuE8ELNS1_3repE0EEENS1_30default_config_static_selectorELNS0_4arch9wavefront6targetE1EEEvT1_: ; @_ZN7rocprim17ROCPRIM_400000_NS6detail17trampoline_kernelINS0_14default_configENS1_25partition_config_selectorILNS1_17partition_subalgoE2EyNS0_10empty_typeEbEEZZNS1_14partition_implILS5_2ELb0ES3_jN6thrust23THRUST_200600_302600_NS6detail15normal_iteratorINSA_7pointerIyNSA_11hip_rocprim3tagENSA_11use_defaultESG_EEEEPS6_NSA_18transform_iteratorI7is_evenIyENSC_INSA_10device_ptrIyEEEESG_SG_EENS0_5tupleIJPySJ_EEENSR_IJSJ_SJ_EEES6_PlJS6_EEE10hipError_tPvRmT3_T4_T5_T6_T7_T9_mT8_P12ihipStream_tbDpT10_ENKUlT_T0_E_clISt17integral_constantIbLb0EES1E_IbLb1EEEEDaS1A_S1B_EUlS1A_E_NS1_11comp_targetILNS1_3genE4ELNS1_11target_archE910ELNS1_3gpuE8ELNS1_3repE0EEENS1_30default_config_static_selectorELNS0_4arch9wavefront6targetE1EEEvT1_
; %bb.0:
	.section	.rodata,"a",@progbits
	.p2align	6, 0x0
	.amdhsa_kernel _ZN7rocprim17ROCPRIM_400000_NS6detail17trampoline_kernelINS0_14default_configENS1_25partition_config_selectorILNS1_17partition_subalgoE2EyNS0_10empty_typeEbEEZZNS1_14partition_implILS5_2ELb0ES3_jN6thrust23THRUST_200600_302600_NS6detail15normal_iteratorINSA_7pointerIyNSA_11hip_rocprim3tagENSA_11use_defaultESG_EEEEPS6_NSA_18transform_iteratorI7is_evenIyENSC_INSA_10device_ptrIyEEEESG_SG_EENS0_5tupleIJPySJ_EEENSR_IJSJ_SJ_EEES6_PlJS6_EEE10hipError_tPvRmT3_T4_T5_T6_T7_T9_mT8_P12ihipStream_tbDpT10_ENKUlT_T0_E_clISt17integral_constantIbLb0EES1E_IbLb1EEEEDaS1A_S1B_EUlS1A_E_NS1_11comp_targetILNS1_3genE4ELNS1_11target_archE910ELNS1_3gpuE8ELNS1_3repE0EEENS1_30default_config_static_selectorELNS0_4arch9wavefront6targetE1EEEvT1_
		.amdhsa_group_segment_fixed_size 0
		.amdhsa_private_segment_fixed_size 0
		.amdhsa_kernarg_size 144
		.amdhsa_user_sgpr_count 2
		.amdhsa_user_sgpr_dispatch_ptr 0
		.amdhsa_user_sgpr_queue_ptr 0
		.amdhsa_user_sgpr_kernarg_segment_ptr 1
		.amdhsa_user_sgpr_dispatch_id 0
		.amdhsa_user_sgpr_kernarg_preload_length 0
		.amdhsa_user_sgpr_kernarg_preload_offset 0
		.amdhsa_user_sgpr_private_segment_size 0
		.amdhsa_uses_dynamic_stack 0
		.amdhsa_enable_private_segment 0
		.amdhsa_system_sgpr_workgroup_id_x 1
		.amdhsa_system_sgpr_workgroup_id_y 0
		.amdhsa_system_sgpr_workgroup_id_z 0
		.amdhsa_system_sgpr_workgroup_info 0
		.amdhsa_system_vgpr_workitem_id 0
		.amdhsa_next_free_vgpr 1
		.amdhsa_next_free_sgpr 0
		.amdhsa_accum_offset 4
		.amdhsa_reserve_vcc 0
		.amdhsa_float_round_mode_32 0
		.amdhsa_float_round_mode_16_64 0
		.amdhsa_float_denorm_mode_32 3
		.amdhsa_float_denorm_mode_16_64 3
		.amdhsa_dx10_clamp 1
		.amdhsa_ieee_mode 1
		.amdhsa_fp16_overflow 0
		.amdhsa_tg_split 0
		.amdhsa_exception_fp_ieee_invalid_op 0
		.amdhsa_exception_fp_denorm_src 0
		.amdhsa_exception_fp_ieee_div_zero 0
		.amdhsa_exception_fp_ieee_overflow 0
		.amdhsa_exception_fp_ieee_underflow 0
		.amdhsa_exception_fp_ieee_inexact 0
		.amdhsa_exception_int_div_zero 0
	.end_amdhsa_kernel
	.section	.text._ZN7rocprim17ROCPRIM_400000_NS6detail17trampoline_kernelINS0_14default_configENS1_25partition_config_selectorILNS1_17partition_subalgoE2EyNS0_10empty_typeEbEEZZNS1_14partition_implILS5_2ELb0ES3_jN6thrust23THRUST_200600_302600_NS6detail15normal_iteratorINSA_7pointerIyNSA_11hip_rocprim3tagENSA_11use_defaultESG_EEEEPS6_NSA_18transform_iteratorI7is_evenIyENSC_INSA_10device_ptrIyEEEESG_SG_EENS0_5tupleIJPySJ_EEENSR_IJSJ_SJ_EEES6_PlJS6_EEE10hipError_tPvRmT3_T4_T5_T6_T7_T9_mT8_P12ihipStream_tbDpT10_ENKUlT_T0_E_clISt17integral_constantIbLb0EES1E_IbLb1EEEEDaS1A_S1B_EUlS1A_E_NS1_11comp_targetILNS1_3genE4ELNS1_11target_archE910ELNS1_3gpuE8ELNS1_3repE0EEENS1_30default_config_static_selectorELNS0_4arch9wavefront6targetE1EEEvT1_,"axG",@progbits,_ZN7rocprim17ROCPRIM_400000_NS6detail17trampoline_kernelINS0_14default_configENS1_25partition_config_selectorILNS1_17partition_subalgoE2EyNS0_10empty_typeEbEEZZNS1_14partition_implILS5_2ELb0ES3_jN6thrust23THRUST_200600_302600_NS6detail15normal_iteratorINSA_7pointerIyNSA_11hip_rocprim3tagENSA_11use_defaultESG_EEEEPS6_NSA_18transform_iteratorI7is_evenIyENSC_INSA_10device_ptrIyEEEESG_SG_EENS0_5tupleIJPySJ_EEENSR_IJSJ_SJ_EEES6_PlJS6_EEE10hipError_tPvRmT3_T4_T5_T6_T7_T9_mT8_P12ihipStream_tbDpT10_ENKUlT_T0_E_clISt17integral_constantIbLb0EES1E_IbLb1EEEEDaS1A_S1B_EUlS1A_E_NS1_11comp_targetILNS1_3genE4ELNS1_11target_archE910ELNS1_3gpuE8ELNS1_3repE0EEENS1_30default_config_static_selectorELNS0_4arch9wavefront6targetE1EEEvT1_,comdat
.Lfunc_end2030:
	.size	_ZN7rocprim17ROCPRIM_400000_NS6detail17trampoline_kernelINS0_14default_configENS1_25partition_config_selectorILNS1_17partition_subalgoE2EyNS0_10empty_typeEbEEZZNS1_14partition_implILS5_2ELb0ES3_jN6thrust23THRUST_200600_302600_NS6detail15normal_iteratorINSA_7pointerIyNSA_11hip_rocprim3tagENSA_11use_defaultESG_EEEEPS6_NSA_18transform_iteratorI7is_evenIyENSC_INSA_10device_ptrIyEEEESG_SG_EENS0_5tupleIJPySJ_EEENSR_IJSJ_SJ_EEES6_PlJS6_EEE10hipError_tPvRmT3_T4_T5_T6_T7_T9_mT8_P12ihipStream_tbDpT10_ENKUlT_T0_E_clISt17integral_constantIbLb0EES1E_IbLb1EEEEDaS1A_S1B_EUlS1A_E_NS1_11comp_targetILNS1_3genE4ELNS1_11target_archE910ELNS1_3gpuE8ELNS1_3repE0EEENS1_30default_config_static_selectorELNS0_4arch9wavefront6targetE1EEEvT1_, .Lfunc_end2030-_ZN7rocprim17ROCPRIM_400000_NS6detail17trampoline_kernelINS0_14default_configENS1_25partition_config_selectorILNS1_17partition_subalgoE2EyNS0_10empty_typeEbEEZZNS1_14partition_implILS5_2ELb0ES3_jN6thrust23THRUST_200600_302600_NS6detail15normal_iteratorINSA_7pointerIyNSA_11hip_rocprim3tagENSA_11use_defaultESG_EEEEPS6_NSA_18transform_iteratorI7is_evenIyENSC_INSA_10device_ptrIyEEEESG_SG_EENS0_5tupleIJPySJ_EEENSR_IJSJ_SJ_EEES6_PlJS6_EEE10hipError_tPvRmT3_T4_T5_T6_T7_T9_mT8_P12ihipStream_tbDpT10_ENKUlT_T0_E_clISt17integral_constantIbLb0EES1E_IbLb1EEEEDaS1A_S1B_EUlS1A_E_NS1_11comp_targetILNS1_3genE4ELNS1_11target_archE910ELNS1_3gpuE8ELNS1_3repE0EEENS1_30default_config_static_selectorELNS0_4arch9wavefront6targetE1EEEvT1_
                                        ; -- End function
	.section	.AMDGPU.csdata,"",@progbits
; Kernel info:
; codeLenInByte = 0
; NumSgprs: 6
; NumVgprs: 0
; NumAgprs: 0
; TotalNumVgprs: 0
; ScratchSize: 0
; MemoryBound: 0
; FloatMode: 240
; IeeeMode: 1
; LDSByteSize: 0 bytes/workgroup (compile time only)
; SGPRBlocks: 0
; VGPRBlocks: 0
; NumSGPRsForWavesPerEU: 6
; NumVGPRsForWavesPerEU: 1
; AccumOffset: 4
; Occupancy: 8
; WaveLimiterHint : 0
; COMPUTE_PGM_RSRC2:SCRATCH_EN: 0
; COMPUTE_PGM_RSRC2:USER_SGPR: 2
; COMPUTE_PGM_RSRC2:TRAP_HANDLER: 0
; COMPUTE_PGM_RSRC2:TGID_X_EN: 1
; COMPUTE_PGM_RSRC2:TGID_Y_EN: 0
; COMPUTE_PGM_RSRC2:TGID_Z_EN: 0
; COMPUTE_PGM_RSRC2:TIDIG_COMP_CNT: 0
; COMPUTE_PGM_RSRC3_GFX90A:ACCUM_OFFSET: 0
; COMPUTE_PGM_RSRC3_GFX90A:TG_SPLIT: 0
	.section	.text._ZN7rocprim17ROCPRIM_400000_NS6detail17trampoline_kernelINS0_14default_configENS1_25partition_config_selectorILNS1_17partition_subalgoE2EyNS0_10empty_typeEbEEZZNS1_14partition_implILS5_2ELb0ES3_jN6thrust23THRUST_200600_302600_NS6detail15normal_iteratorINSA_7pointerIyNSA_11hip_rocprim3tagENSA_11use_defaultESG_EEEEPS6_NSA_18transform_iteratorI7is_evenIyENSC_INSA_10device_ptrIyEEEESG_SG_EENS0_5tupleIJPySJ_EEENSR_IJSJ_SJ_EEES6_PlJS6_EEE10hipError_tPvRmT3_T4_T5_T6_T7_T9_mT8_P12ihipStream_tbDpT10_ENKUlT_T0_E_clISt17integral_constantIbLb0EES1E_IbLb1EEEEDaS1A_S1B_EUlS1A_E_NS1_11comp_targetILNS1_3genE3ELNS1_11target_archE908ELNS1_3gpuE7ELNS1_3repE0EEENS1_30default_config_static_selectorELNS0_4arch9wavefront6targetE1EEEvT1_,"axG",@progbits,_ZN7rocprim17ROCPRIM_400000_NS6detail17trampoline_kernelINS0_14default_configENS1_25partition_config_selectorILNS1_17partition_subalgoE2EyNS0_10empty_typeEbEEZZNS1_14partition_implILS5_2ELb0ES3_jN6thrust23THRUST_200600_302600_NS6detail15normal_iteratorINSA_7pointerIyNSA_11hip_rocprim3tagENSA_11use_defaultESG_EEEEPS6_NSA_18transform_iteratorI7is_evenIyENSC_INSA_10device_ptrIyEEEESG_SG_EENS0_5tupleIJPySJ_EEENSR_IJSJ_SJ_EEES6_PlJS6_EEE10hipError_tPvRmT3_T4_T5_T6_T7_T9_mT8_P12ihipStream_tbDpT10_ENKUlT_T0_E_clISt17integral_constantIbLb0EES1E_IbLb1EEEEDaS1A_S1B_EUlS1A_E_NS1_11comp_targetILNS1_3genE3ELNS1_11target_archE908ELNS1_3gpuE7ELNS1_3repE0EEENS1_30default_config_static_selectorELNS0_4arch9wavefront6targetE1EEEvT1_,comdat
	.protected	_ZN7rocprim17ROCPRIM_400000_NS6detail17trampoline_kernelINS0_14default_configENS1_25partition_config_selectorILNS1_17partition_subalgoE2EyNS0_10empty_typeEbEEZZNS1_14partition_implILS5_2ELb0ES3_jN6thrust23THRUST_200600_302600_NS6detail15normal_iteratorINSA_7pointerIyNSA_11hip_rocprim3tagENSA_11use_defaultESG_EEEEPS6_NSA_18transform_iteratorI7is_evenIyENSC_INSA_10device_ptrIyEEEESG_SG_EENS0_5tupleIJPySJ_EEENSR_IJSJ_SJ_EEES6_PlJS6_EEE10hipError_tPvRmT3_T4_T5_T6_T7_T9_mT8_P12ihipStream_tbDpT10_ENKUlT_T0_E_clISt17integral_constantIbLb0EES1E_IbLb1EEEEDaS1A_S1B_EUlS1A_E_NS1_11comp_targetILNS1_3genE3ELNS1_11target_archE908ELNS1_3gpuE7ELNS1_3repE0EEENS1_30default_config_static_selectorELNS0_4arch9wavefront6targetE1EEEvT1_ ; -- Begin function _ZN7rocprim17ROCPRIM_400000_NS6detail17trampoline_kernelINS0_14default_configENS1_25partition_config_selectorILNS1_17partition_subalgoE2EyNS0_10empty_typeEbEEZZNS1_14partition_implILS5_2ELb0ES3_jN6thrust23THRUST_200600_302600_NS6detail15normal_iteratorINSA_7pointerIyNSA_11hip_rocprim3tagENSA_11use_defaultESG_EEEEPS6_NSA_18transform_iteratorI7is_evenIyENSC_INSA_10device_ptrIyEEEESG_SG_EENS0_5tupleIJPySJ_EEENSR_IJSJ_SJ_EEES6_PlJS6_EEE10hipError_tPvRmT3_T4_T5_T6_T7_T9_mT8_P12ihipStream_tbDpT10_ENKUlT_T0_E_clISt17integral_constantIbLb0EES1E_IbLb1EEEEDaS1A_S1B_EUlS1A_E_NS1_11comp_targetILNS1_3genE3ELNS1_11target_archE908ELNS1_3gpuE7ELNS1_3repE0EEENS1_30default_config_static_selectorELNS0_4arch9wavefront6targetE1EEEvT1_
	.globl	_ZN7rocprim17ROCPRIM_400000_NS6detail17trampoline_kernelINS0_14default_configENS1_25partition_config_selectorILNS1_17partition_subalgoE2EyNS0_10empty_typeEbEEZZNS1_14partition_implILS5_2ELb0ES3_jN6thrust23THRUST_200600_302600_NS6detail15normal_iteratorINSA_7pointerIyNSA_11hip_rocprim3tagENSA_11use_defaultESG_EEEEPS6_NSA_18transform_iteratorI7is_evenIyENSC_INSA_10device_ptrIyEEEESG_SG_EENS0_5tupleIJPySJ_EEENSR_IJSJ_SJ_EEES6_PlJS6_EEE10hipError_tPvRmT3_T4_T5_T6_T7_T9_mT8_P12ihipStream_tbDpT10_ENKUlT_T0_E_clISt17integral_constantIbLb0EES1E_IbLb1EEEEDaS1A_S1B_EUlS1A_E_NS1_11comp_targetILNS1_3genE3ELNS1_11target_archE908ELNS1_3gpuE7ELNS1_3repE0EEENS1_30default_config_static_selectorELNS0_4arch9wavefront6targetE1EEEvT1_
	.p2align	8
	.type	_ZN7rocprim17ROCPRIM_400000_NS6detail17trampoline_kernelINS0_14default_configENS1_25partition_config_selectorILNS1_17partition_subalgoE2EyNS0_10empty_typeEbEEZZNS1_14partition_implILS5_2ELb0ES3_jN6thrust23THRUST_200600_302600_NS6detail15normal_iteratorINSA_7pointerIyNSA_11hip_rocprim3tagENSA_11use_defaultESG_EEEEPS6_NSA_18transform_iteratorI7is_evenIyENSC_INSA_10device_ptrIyEEEESG_SG_EENS0_5tupleIJPySJ_EEENSR_IJSJ_SJ_EEES6_PlJS6_EEE10hipError_tPvRmT3_T4_T5_T6_T7_T9_mT8_P12ihipStream_tbDpT10_ENKUlT_T0_E_clISt17integral_constantIbLb0EES1E_IbLb1EEEEDaS1A_S1B_EUlS1A_E_NS1_11comp_targetILNS1_3genE3ELNS1_11target_archE908ELNS1_3gpuE7ELNS1_3repE0EEENS1_30default_config_static_selectorELNS0_4arch9wavefront6targetE1EEEvT1_,@function
_ZN7rocprim17ROCPRIM_400000_NS6detail17trampoline_kernelINS0_14default_configENS1_25partition_config_selectorILNS1_17partition_subalgoE2EyNS0_10empty_typeEbEEZZNS1_14partition_implILS5_2ELb0ES3_jN6thrust23THRUST_200600_302600_NS6detail15normal_iteratorINSA_7pointerIyNSA_11hip_rocprim3tagENSA_11use_defaultESG_EEEEPS6_NSA_18transform_iteratorI7is_evenIyENSC_INSA_10device_ptrIyEEEESG_SG_EENS0_5tupleIJPySJ_EEENSR_IJSJ_SJ_EEES6_PlJS6_EEE10hipError_tPvRmT3_T4_T5_T6_T7_T9_mT8_P12ihipStream_tbDpT10_ENKUlT_T0_E_clISt17integral_constantIbLb0EES1E_IbLb1EEEEDaS1A_S1B_EUlS1A_E_NS1_11comp_targetILNS1_3genE3ELNS1_11target_archE908ELNS1_3gpuE7ELNS1_3repE0EEENS1_30default_config_static_selectorELNS0_4arch9wavefront6targetE1EEEvT1_: ; @_ZN7rocprim17ROCPRIM_400000_NS6detail17trampoline_kernelINS0_14default_configENS1_25partition_config_selectorILNS1_17partition_subalgoE2EyNS0_10empty_typeEbEEZZNS1_14partition_implILS5_2ELb0ES3_jN6thrust23THRUST_200600_302600_NS6detail15normal_iteratorINSA_7pointerIyNSA_11hip_rocprim3tagENSA_11use_defaultESG_EEEEPS6_NSA_18transform_iteratorI7is_evenIyENSC_INSA_10device_ptrIyEEEESG_SG_EENS0_5tupleIJPySJ_EEENSR_IJSJ_SJ_EEES6_PlJS6_EEE10hipError_tPvRmT3_T4_T5_T6_T7_T9_mT8_P12ihipStream_tbDpT10_ENKUlT_T0_E_clISt17integral_constantIbLb0EES1E_IbLb1EEEEDaS1A_S1B_EUlS1A_E_NS1_11comp_targetILNS1_3genE3ELNS1_11target_archE908ELNS1_3gpuE7ELNS1_3repE0EEENS1_30default_config_static_selectorELNS0_4arch9wavefront6targetE1EEEvT1_
; %bb.0:
	.section	.rodata,"a",@progbits
	.p2align	6, 0x0
	.amdhsa_kernel _ZN7rocprim17ROCPRIM_400000_NS6detail17trampoline_kernelINS0_14default_configENS1_25partition_config_selectorILNS1_17partition_subalgoE2EyNS0_10empty_typeEbEEZZNS1_14partition_implILS5_2ELb0ES3_jN6thrust23THRUST_200600_302600_NS6detail15normal_iteratorINSA_7pointerIyNSA_11hip_rocprim3tagENSA_11use_defaultESG_EEEEPS6_NSA_18transform_iteratorI7is_evenIyENSC_INSA_10device_ptrIyEEEESG_SG_EENS0_5tupleIJPySJ_EEENSR_IJSJ_SJ_EEES6_PlJS6_EEE10hipError_tPvRmT3_T4_T5_T6_T7_T9_mT8_P12ihipStream_tbDpT10_ENKUlT_T0_E_clISt17integral_constantIbLb0EES1E_IbLb1EEEEDaS1A_S1B_EUlS1A_E_NS1_11comp_targetILNS1_3genE3ELNS1_11target_archE908ELNS1_3gpuE7ELNS1_3repE0EEENS1_30default_config_static_selectorELNS0_4arch9wavefront6targetE1EEEvT1_
		.amdhsa_group_segment_fixed_size 0
		.amdhsa_private_segment_fixed_size 0
		.amdhsa_kernarg_size 144
		.amdhsa_user_sgpr_count 2
		.amdhsa_user_sgpr_dispatch_ptr 0
		.amdhsa_user_sgpr_queue_ptr 0
		.amdhsa_user_sgpr_kernarg_segment_ptr 1
		.amdhsa_user_sgpr_dispatch_id 0
		.amdhsa_user_sgpr_kernarg_preload_length 0
		.amdhsa_user_sgpr_kernarg_preload_offset 0
		.amdhsa_user_sgpr_private_segment_size 0
		.amdhsa_uses_dynamic_stack 0
		.amdhsa_enable_private_segment 0
		.amdhsa_system_sgpr_workgroup_id_x 1
		.amdhsa_system_sgpr_workgroup_id_y 0
		.amdhsa_system_sgpr_workgroup_id_z 0
		.amdhsa_system_sgpr_workgroup_info 0
		.amdhsa_system_vgpr_workitem_id 0
		.amdhsa_next_free_vgpr 1
		.amdhsa_next_free_sgpr 0
		.amdhsa_accum_offset 4
		.amdhsa_reserve_vcc 0
		.amdhsa_float_round_mode_32 0
		.amdhsa_float_round_mode_16_64 0
		.amdhsa_float_denorm_mode_32 3
		.amdhsa_float_denorm_mode_16_64 3
		.amdhsa_dx10_clamp 1
		.amdhsa_ieee_mode 1
		.amdhsa_fp16_overflow 0
		.amdhsa_tg_split 0
		.amdhsa_exception_fp_ieee_invalid_op 0
		.amdhsa_exception_fp_denorm_src 0
		.amdhsa_exception_fp_ieee_div_zero 0
		.amdhsa_exception_fp_ieee_overflow 0
		.amdhsa_exception_fp_ieee_underflow 0
		.amdhsa_exception_fp_ieee_inexact 0
		.amdhsa_exception_int_div_zero 0
	.end_amdhsa_kernel
	.section	.text._ZN7rocprim17ROCPRIM_400000_NS6detail17trampoline_kernelINS0_14default_configENS1_25partition_config_selectorILNS1_17partition_subalgoE2EyNS0_10empty_typeEbEEZZNS1_14partition_implILS5_2ELb0ES3_jN6thrust23THRUST_200600_302600_NS6detail15normal_iteratorINSA_7pointerIyNSA_11hip_rocprim3tagENSA_11use_defaultESG_EEEEPS6_NSA_18transform_iteratorI7is_evenIyENSC_INSA_10device_ptrIyEEEESG_SG_EENS0_5tupleIJPySJ_EEENSR_IJSJ_SJ_EEES6_PlJS6_EEE10hipError_tPvRmT3_T4_T5_T6_T7_T9_mT8_P12ihipStream_tbDpT10_ENKUlT_T0_E_clISt17integral_constantIbLb0EES1E_IbLb1EEEEDaS1A_S1B_EUlS1A_E_NS1_11comp_targetILNS1_3genE3ELNS1_11target_archE908ELNS1_3gpuE7ELNS1_3repE0EEENS1_30default_config_static_selectorELNS0_4arch9wavefront6targetE1EEEvT1_,"axG",@progbits,_ZN7rocprim17ROCPRIM_400000_NS6detail17trampoline_kernelINS0_14default_configENS1_25partition_config_selectorILNS1_17partition_subalgoE2EyNS0_10empty_typeEbEEZZNS1_14partition_implILS5_2ELb0ES3_jN6thrust23THRUST_200600_302600_NS6detail15normal_iteratorINSA_7pointerIyNSA_11hip_rocprim3tagENSA_11use_defaultESG_EEEEPS6_NSA_18transform_iteratorI7is_evenIyENSC_INSA_10device_ptrIyEEEESG_SG_EENS0_5tupleIJPySJ_EEENSR_IJSJ_SJ_EEES6_PlJS6_EEE10hipError_tPvRmT3_T4_T5_T6_T7_T9_mT8_P12ihipStream_tbDpT10_ENKUlT_T0_E_clISt17integral_constantIbLb0EES1E_IbLb1EEEEDaS1A_S1B_EUlS1A_E_NS1_11comp_targetILNS1_3genE3ELNS1_11target_archE908ELNS1_3gpuE7ELNS1_3repE0EEENS1_30default_config_static_selectorELNS0_4arch9wavefront6targetE1EEEvT1_,comdat
.Lfunc_end2031:
	.size	_ZN7rocprim17ROCPRIM_400000_NS6detail17trampoline_kernelINS0_14default_configENS1_25partition_config_selectorILNS1_17partition_subalgoE2EyNS0_10empty_typeEbEEZZNS1_14partition_implILS5_2ELb0ES3_jN6thrust23THRUST_200600_302600_NS6detail15normal_iteratorINSA_7pointerIyNSA_11hip_rocprim3tagENSA_11use_defaultESG_EEEEPS6_NSA_18transform_iteratorI7is_evenIyENSC_INSA_10device_ptrIyEEEESG_SG_EENS0_5tupleIJPySJ_EEENSR_IJSJ_SJ_EEES6_PlJS6_EEE10hipError_tPvRmT3_T4_T5_T6_T7_T9_mT8_P12ihipStream_tbDpT10_ENKUlT_T0_E_clISt17integral_constantIbLb0EES1E_IbLb1EEEEDaS1A_S1B_EUlS1A_E_NS1_11comp_targetILNS1_3genE3ELNS1_11target_archE908ELNS1_3gpuE7ELNS1_3repE0EEENS1_30default_config_static_selectorELNS0_4arch9wavefront6targetE1EEEvT1_, .Lfunc_end2031-_ZN7rocprim17ROCPRIM_400000_NS6detail17trampoline_kernelINS0_14default_configENS1_25partition_config_selectorILNS1_17partition_subalgoE2EyNS0_10empty_typeEbEEZZNS1_14partition_implILS5_2ELb0ES3_jN6thrust23THRUST_200600_302600_NS6detail15normal_iteratorINSA_7pointerIyNSA_11hip_rocprim3tagENSA_11use_defaultESG_EEEEPS6_NSA_18transform_iteratorI7is_evenIyENSC_INSA_10device_ptrIyEEEESG_SG_EENS0_5tupleIJPySJ_EEENSR_IJSJ_SJ_EEES6_PlJS6_EEE10hipError_tPvRmT3_T4_T5_T6_T7_T9_mT8_P12ihipStream_tbDpT10_ENKUlT_T0_E_clISt17integral_constantIbLb0EES1E_IbLb1EEEEDaS1A_S1B_EUlS1A_E_NS1_11comp_targetILNS1_3genE3ELNS1_11target_archE908ELNS1_3gpuE7ELNS1_3repE0EEENS1_30default_config_static_selectorELNS0_4arch9wavefront6targetE1EEEvT1_
                                        ; -- End function
	.section	.AMDGPU.csdata,"",@progbits
; Kernel info:
; codeLenInByte = 0
; NumSgprs: 6
; NumVgprs: 0
; NumAgprs: 0
; TotalNumVgprs: 0
; ScratchSize: 0
; MemoryBound: 0
; FloatMode: 240
; IeeeMode: 1
; LDSByteSize: 0 bytes/workgroup (compile time only)
; SGPRBlocks: 0
; VGPRBlocks: 0
; NumSGPRsForWavesPerEU: 6
; NumVGPRsForWavesPerEU: 1
; AccumOffset: 4
; Occupancy: 8
; WaveLimiterHint : 0
; COMPUTE_PGM_RSRC2:SCRATCH_EN: 0
; COMPUTE_PGM_RSRC2:USER_SGPR: 2
; COMPUTE_PGM_RSRC2:TRAP_HANDLER: 0
; COMPUTE_PGM_RSRC2:TGID_X_EN: 1
; COMPUTE_PGM_RSRC2:TGID_Y_EN: 0
; COMPUTE_PGM_RSRC2:TGID_Z_EN: 0
; COMPUTE_PGM_RSRC2:TIDIG_COMP_CNT: 0
; COMPUTE_PGM_RSRC3_GFX90A:ACCUM_OFFSET: 0
; COMPUTE_PGM_RSRC3_GFX90A:TG_SPLIT: 0
	.section	.text._ZN7rocprim17ROCPRIM_400000_NS6detail17trampoline_kernelINS0_14default_configENS1_25partition_config_selectorILNS1_17partition_subalgoE2EyNS0_10empty_typeEbEEZZNS1_14partition_implILS5_2ELb0ES3_jN6thrust23THRUST_200600_302600_NS6detail15normal_iteratorINSA_7pointerIyNSA_11hip_rocprim3tagENSA_11use_defaultESG_EEEEPS6_NSA_18transform_iteratorI7is_evenIyENSC_INSA_10device_ptrIyEEEESG_SG_EENS0_5tupleIJPySJ_EEENSR_IJSJ_SJ_EEES6_PlJS6_EEE10hipError_tPvRmT3_T4_T5_T6_T7_T9_mT8_P12ihipStream_tbDpT10_ENKUlT_T0_E_clISt17integral_constantIbLb0EES1E_IbLb1EEEEDaS1A_S1B_EUlS1A_E_NS1_11comp_targetILNS1_3genE2ELNS1_11target_archE906ELNS1_3gpuE6ELNS1_3repE0EEENS1_30default_config_static_selectorELNS0_4arch9wavefront6targetE1EEEvT1_,"axG",@progbits,_ZN7rocprim17ROCPRIM_400000_NS6detail17trampoline_kernelINS0_14default_configENS1_25partition_config_selectorILNS1_17partition_subalgoE2EyNS0_10empty_typeEbEEZZNS1_14partition_implILS5_2ELb0ES3_jN6thrust23THRUST_200600_302600_NS6detail15normal_iteratorINSA_7pointerIyNSA_11hip_rocprim3tagENSA_11use_defaultESG_EEEEPS6_NSA_18transform_iteratorI7is_evenIyENSC_INSA_10device_ptrIyEEEESG_SG_EENS0_5tupleIJPySJ_EEENSR_IJSJ_SJ_EEES6_PlJS6_EEE10hipError_tPvRmT3_T4_T5_T6_T7_T9_mT8_P12ihipStream_tbDpT10_ENKUlT_T0_E_clISt17integral_constantIbLb0EES1E_IbLb1EEEEDaS1A_S1B_EUlS1A_E_NS1_11comp_targetILNS1_3genE2ELNS1_11target_archE906ELNS1_3gpuE6ELNS1_3repE0EEENS1_30default_config_static_selectorELNS0_4arch9wavefront6targetE1EEEvT1_,comdat
	.protected	_ZN7rocprim17ROCPRIM_400000_NS6detail17trampoline_kernelINS0_14default_configENS1_25partition_config_selectorILNS1_17partition_subalgoE2EyNS0_10empty_typeEbEEZZNS1_14partition_implILS5_2ELb0ES3_jN6thrust23THRUST_200600_302600_NS6detail15normal_iteratorINSA_7pointerIyNSA_11hip_rocprim3tagENSA_11use_defaultESG_EEEEPS6_NSA_18transform_iteratorI7is_evenIyENSC_INSA_10device_ptrIyEEEESG_SG_EENS0_5tupleIJPySJ_EEENSR_IJSJ_SJ_EEES6_PlJS6_EEE10hipError_tPvRmT3_T4_T5_T6_T7_T9_mT8_P12ihipStream_tbDpT10_ENKUlT_T0_E_clISt17integral_constantIbLb0EES1E_IbLb1EEEEDaS1A_S1B_EUlS1A_E_NS1_11comp_targetILNS1_3genE2ELNS1_11target_archE906ELNS1_3gpuE6ELNS1_3repE0EEENS1_30default_config_static_selectorELNS0_4arch9wavefront6targetE1EEEvT1_ ; -- Begin function _ZN7rocprim17ROCPRIM_400000_NS6detail17trampoline_kernelINS0_14default_configENS1_25partition_config_selectorILNS1_17partition_subalgoE2EyNS0_10empty_typeEbEEZZNS1_14partition_implILS5_2ELb0ES3_jN6thrust23THRUST_200600_302600_NS6detail15normal_iteratorINSA_7pointerIyNSA_11hip_rocprim3tagENSA_11use_defaultESG_EEEEPS6_NSA_18transform_iteratorI7is_evenIyENSC_INSA_10device_ptrIyEEEESG_SG_EENS0_5tupleIJPySJ_EEENSR_IJSJ_SJ_EEES6_PlJS6_EEE10hipError_tPvRmT3_T4_T5_T6_T7_T9_mT8_P12ihipStream_tbDpT10_ENKUlT_T0_E_clISt17integral_constantIbLb0EES1E_IbLb1EEEEDaS1A_S1B_EUlS1A_E_NS1_11comp_targetILNS1_3genE2ELNS1_11target_archE906ELNS1_3gpuE6ELNS1_3repE0EEENS1_30default_config_static_selectorELNS0_4arch9wavefront6targetE1EEEvT1_
	.globl	_ZN7rocprim17ROCPRIM_400000_NS6detail17trampoline_kernelINS0_14default_configENS1_25partition_config_selectorILNS1_17partition_subalgoE2EyNS0_10empty_typeEbEEZZNS1_14partition_implILS5_2ELb0ES3_jN6thrust23THRUST_200600_302600_NS6detail15normal_iteratorINSA_7pointerIyNSA_11hip_rocprim3tagENSA_11use_defaultESG_EEEEPS6_NSA_18transform_iteratorI7is_evenIyENSC_INSA_10device_ptrIyEEEESG_SG_EENS0_5tupleIJPySJ_EEENSR_IJSJ_SJ_EEES6_PlJS6_EEE10hipError_tPvRmT3_T4_T5_T6_T7_T9_mT8_P12ihipStream_tbDpT10_ENKUlT_T0_E_clISt17integral_constantIbLb0EES1E_IbLb1EEEEDaS1A_S1B_EUlS1A_E_NS1_11comp_targetILNS1_3genE2ELNS1_11target_archE906ELNS1_3gpuE6ELNS1_3repE0EEENS1_30default_config_static_selectorELNS0_4arch9wavefront6targetE1EEEvT1_
	.p2align	8
	.type	_ZN7rocprim17ROCPRIM_400000_NS6detail17trampoline_kernelINS0_14default_configENS1_25partition_config_selectorILNS1_17partition_subalgoE2EyNS0_10empty_typeEbEEZZNS1_14partition_implILS5_2ELb0ES3_jN6thrust23THRUST_200600_302600_NS6detail15normal_iteratorINSA_7pointerIyNSA_11hip_rocprim3tagENSA_11use_defaultESG_EEEEPS6_NSA_18transform_iteratorI7is_evenIyENSC_INSA_10device_ptrIyEEEESG_SG_EENS0_5tupleIJPySJ_EEENSR_IJSJ_SJ_EEES6_PlJS6_EEE10hipError_tPvRmT3_T4_T5_T6_T7_T9_mT8_P12ihipStream_tbDpT10_ENKUlT_T0_E_clISt17integral_constantIbLb0EES1E_IbLb1EEEEDaS1A_S1B_EUlS1A_E_NS1_11comp_targetILNS1_3genE2ELNS1_11target_archE906ELNS1_3gpuE6ELNS1_3repE0EEENS1_30default_config_static_selectorELNS0_4arch9wavefront6targetE1EEEvT1_,@function
_ZN7rocprim17ROCPRIM_400000_NS6detail17trampoline_kernelINS0_14default_configENS1_25partition_config_selectorILNS1_17partition_subalgoE2EyNS0_10empty_typeEbEEZZNS1_14partition_implILS5_2ELb0ES3_jN6thrust23THRUST_200600_302600_NS6detail15normal_iteratorINSA_7pointerIyNSA_11hip_rocprim3tagENSA_11use_defaultESG_EEEEPS6_NSA_18transform_iteratorI7is_evenIyENSC_INSA_10device_ptrIyEEEESG_SG_EENS0_5tupleIJPySJ_EEENSR_IJSJ_SJ_EEES6_PlJS6_EEE10hipError_tPvRmT3_T4_T5_T6_T7_T9_mT8_P12ihipStream_tbDpT10_ENKUlT_T0_E_clISt17integral_constantIbLb0EES1E_IbLb1EEEEDaS1A_S1B_EUlS1A_E_NS1_11comp_targetILNS1_3genE2ELNS1_11target_archE906ELNS1_3gpuE6ELNS1_3repE0EEENS1_30default_config_static_selectorELNS0_4arch9wavefront6targetE1EEEvT1_: ; @_ZN7rocprim17ROCPRIM_400000_NS6detail17trampoline_kernelINS0_14default_configENS1_25partition_config_selectorILNS1_17partition_subalgoE2EyNS0_10empty_typeEbEEZZNS1_14partition_implILS5_2ELb0ES3_jN6thrust23THRUST_200600_302600_NS6detail15normal_iteratorINSA_7pointerIyNSA_11hip_rocprim3tagENSA_11use_defaultESG_EEEEPS6_NSA_18transform_iteratorI7is_evenIyENSC_INSA_10device_ptrIyEEEESG_SG_EENS0_5tupleIJPySJ_EEENSR_IJSJ_SJ_EEES6_PlJS6_EEE10hipError_tPvRmT3_T4_T5_T6_T7_T9_mT8_P12ihipStream_tbDpT10_ENKUlT_T0_E_clISt17integral_constantIbLb0EES1E_IbLb1EEEEDaS1A_S1B_EUlS1A_E_NS1_11comp_targetILNS1_3genE2ELNS1_11target_archE906ELNS1_3gpuE6ELNS1_3repE0EEENS1_30default_config_static_selectorELNS0_4arch9wavefront6targetE1EEEvT1_
; %bb.0:
	.section	.rodata,"a",@progbits
	.p2align	6, 0x0
	.amdhsa_kernel _ZN7rocprim17ROCPRIM_400000_NS6detail17trampoline_kernelINS0_14default_configENS1_25partition_config_selectorILNS1_17partition_subalgoE2EyNS0_10empty_typeEbEEZZNS1_14partition_implILS5_2ELb0ES3_jN6thrust23THRUST_200600_302600_NS6detail15normal_iteratorINSA_7pointerIyNSA_11hip_rocprim3tagENSA_11use_defaultESG_EEEEPS6_NSA_18transform_iteratorI7is_evenIyENSC_INSA_10device_ptrIyEEEESG_SG_EENS0_5tupleIJPySJ_EEENSR_IJSJ_SJ_EEES6_PlJS6_EEE10hipError_tPvRmT3_T4_T5_T6_T7_T9_mT8_P12ihipStream_tbDpT10_ENKUlT_T0_E_clISt17integral_constantIbLb0EES1E_IbLb1EEEEDaS1A_S1B_EUlS1A_E_NS1_11comp_targetILNS1_3genE2ELNS1_11target_archE906ELNS1_3gpuE6ELNS1_3repE0EEENS1_30default_config_static_selectorELNS0_4arch9wavefront6targetE1EEEvT1_
		.amdhsa_group_segment_fixed_size 0
		.amdhsa_private_segment_fixed_size 0
		.amdhsa_kernarg_size 144
		.amdhsa_user_sgpr_count 2
		.amdhsa_user_sgpr_dispatch_ptr 0
		.amdhsa_user_sgpr_queue_ptr 0
		.amdhsa_user_sgpr_kernarg_segment_ptr 1
		.amdhsa_user_sgpr_dispatch_id 0
		.amdhsa_user_sgpr_kernarg_preload_length 0
		.amdhsa_user_sgpr_kernarg_preload_offset 0
		.amdhsa_user_sgpr_private_segment_size 0
		.amdhsa_uses_dynamic_stack 0
		.amdhsa_enable_private_segment 0
		.amdhsa_system_sgpr_workgroup_id_x 1
		.amdhsa_system_sgpr_workgroup_id_y 0
		.amdhsa_system_sgpr_workgroup_id_z 0
		.amdhsa_system_sgpr_workgroup_info 0
		.amdhsa_system_vgpr_workitem_id 0
		.amdhsa_next_free_vgpr 1
		.amdhsa_next_free_sgpr 0
		.amdhsa_accum_offset 4
		.amdhsa_reserve_vcc 0
		.amdhsa_float_round_mode_32 0
		.amdhsa_float_round_mode_16_64 0
		.amdhsa_float_denorm_mode_32 3
		.amdhsa_float_denorm_mode_16_64 3
		.amdhsa_dx10_clamp 1
		.amdhsa_ieee_mode 1
		.amdhsa_fp16_overflow 0
		.amdhsa_tg_split 0
		.amdhsa_exception_fp_ieee_invalid_op 0
		.amdhsa_exception_fp_denorm_src 0
		.amdhsa_exception_fp_ieee_div_zero 0
		.amdhsa_exception_fp_ieee_overflow 0
		.amdhsa_exception_fp_ieee_underflow 0
		.amdhsa_exception_fp_ieee_inexact 0
		.amdhsa_exception_int_div_zero 0
	.end_amdhsa_kernel
	.section	.text._ZN7rocprim17ROCPRIM_400000_NS6detail17trampoline_kernelINS0_14default_configENS1_25partition_config_selectorILNS1_17partition_subalgoE2EyNS0_10empty_typeEbEEZZNS1_14partition_implILS5_2ELb0ES3_jN6thrust23THRUST_200600_302600_NS6detail15normal_iteratorINSA_7pointerIyNSA_11hip_rocprim3tagENSA_11use_defaultESG_EEEEPS6_NSA_18transform_iteratorI7is_evenIyENSC_INSA_10device_ptrIyEEEESG_SG_EENS0_5tupleIJPySJ_EEENSR_IJSJ_SJ_EEES6_PlJS6_EEE10hipError_tPvRmT3_T4_T5_T6_T7_T9_mT8_P12ihipStream_tbDpT10_ENKUlT_T0_E_clISt17integral_constantIbLb0EES1E_IbLb1EEEEDaS1A_S1B_EUlS1A_E_NS1_11comp_targetILNS1_3genE2ELNS1_11target_archE906ELNS1_3gpuE6ELNS1_3repE0EEENS1_30default_config_static_selectorELNS0_4arch9wavefront6targetE1EEEvT1_,"axG",@progbits,_ZN7rocprim17ROCPRIM_400000_NS6detail17trampoline_kernelINS0_14default_configENS1_25partition_config_selectorILNS1_17partition_subalgoE2EyNS0_10empty_typeEbEEZZNS1_14partition_implILS5_2ELb0ES3_jN6thrust23THRUST_200600_302600_NS6detail15normal_iteratorINSA_7pointerIyNSA_11hip_rocprim3tagENSA_11use_defaultESG_EEEEPS6_NSA_18transform_iteratorI7is_evenIyENSC_INSA_10device_ptrIyEEEESG_SG_EENS0_5tupleIJPySJ_EEENSR_IJSJ_SJ_EEES6_PlJS6_EEE10hipError_tPvRmT3_T4_T5_T6_T7_T9_mT8_P12ihipStream_tbDpT10_ENKUlT_T0_E_clISt17integral_constantIbLb0EES1E_IbLb1EEEEDaS1A_S1B_EUlS1A_E_NS1_11comp_targetILNS1_3genE2ELNS1_11target_archE906ELNS1_3gpuE6ELNS1_3repE0EEENS1_30default_config_static_selectorELNS0_4arch9wavefront6targetE1EEEvT1_,comdat
.Lfunc_end2032:
	.size	_ZN7rocprim17ROCPRIM_400000_NS6detail17trampoline_kernelINS0_14default_configENS1_25partition_config_selectorILNS1_17partition_subalgoE2EyNS0_10empty_typeEbEEZZNS1_14partition_implILS5_2ELb0ES3_jN6thrust23THRUST_200600_302600_NS6detail15normal_iteratorINSA_7pointerIyNSA_11hip_rocprim3tagENSA_11use_defaultESG_EEEEPS6_NSA_18transform_iteratorI7is_evenIyENSC_INSA_10device_ptrIyEEEESG_SG_EENS0_5tupleIJPySJ_EEENSR_IJSJ_SJ_EEES6_PlJS6_EEE10hipError_tPvRmT3_T4_T5_T6_T7_T9_mT8_P12ihipStream_tbDpT10_ENKUlT_T0_E_clISt17integral_constantIbLb0EES1E_IbLb1EEEEDaS1A_S1B_EUlS1A_E_NS1_11comp_targetILNS1_3genE2ELNS1_11target_archE906ELNS1_3gpuE6ELNS1_3repE0EEENS1_30default_config_static_selectorELNS0_4arch9wavefront6targetE1EEEvT1_, .Lfunc_end2032-_ZN7rocprim17ROCPRIM_400000_NS6detail17trampoline_kernelINS0_14default_configENS1_25partition_config_selectorILNS1_17partition_subalgoE2EyNS0_10empty_typeEbEEZZNS1_14partition_implILS5_2ELb0ES3_jN6thrust23THRUST_200600_302600_NS6detail15normal_iteratorINSA_7pointerIyNSA_11hip_rocprim3tagENSA_11use_defaultESG_EEEEPS6_NSA_18transform_iteratorI7is_evenIyENSC_INSA_10device_ptrIyEEEESG_SG_EENS0_5tupleIJPySJ_EEENSR_IJSJ_SJ_EEES6_PlJS6_EEE10hipError_tPvRmT3_T4_T5_T6_T7_T9_mT8_P12ihipStream_tbDpT10_ENKUlT_T0_E_clISt17integral_constantIbLb0EES1E_IbLb1EEEEDaS1A_S1B_EUlS1A_E_NS1_11comp_targetILNS1_3genE2ELNS1_11target_archE906ELNS1_3gpuE6ELNS1_3repE0EEENS1_30default_config_static_selectorELNS0_4arch9wavefront6targetE1EEEvT1_
                                        ; -- End function
	.section	.AMDGPU.csdata,"",@progbits
; Kernel info:
; codeLenInByte = 0
; NumSgprs: 6
; NumVgprs: 0
; NumAgprs: 0
; TotalNumVgprs: 0
; ScratchSize: 0
; MemoryBound: 0
; FloatMode: 240
; IeeeMode: 1
; LDSByteSize: 0 bytes/workgroup (compile time only)
; SGPRBlocks: 0
; VGPRBlocks: 0
; NumSGPRsForWavesPerEU: 6
; NumVGPRsForWavesPerEU: 1
; AccumOffset: 4
; Occupancy: 8
; WaveLimiterHint : 0
; COMPUTE_PGM_RSRC2:SCRATCH_EN: 0
; COMPUTE_PGM_RSRC2:USER_SGPR: 2
; COMPUTE_PGM_RSRC2:TRAP_HANDLER: 0
; COMPUTE_PGM_RSRC2:TGID_X_EN: 1
; COMPUTE_PGM_RSRC2:TGID_Y_EN: 0
; COMPUTE_PGM_RSRC2:TGID_Z_EN: 0
; COMPUTE_PGM_RSRC2:TIDIG_COMP_CNT: 0
; COMPUTE_PGM_RSRC3_GFX90A:ACCUM_OFFSET: 0
; COMPUTE_PGM_RSRC3_GFX90A:TG_SPLIT: 0
	.section	.text._ZN7rocprim17ROCPRIM_400000_NS6detail17trampoline_kernelINS0_14default_configENS1_25partition_config_selectorILNS1_17partition_subalgoE2EyNS0_10empty_typeEbEEZZNS1_14partition_implILS5_2ELb0ES3_jN6thrust23THRUST_200600_302600_NS6detail15normal_iteratorINSA_7pointerIyNSA_11hip_rocprim3tagENSA_11use_defaultESG_EEEEPS6_NSA_18transform_iteratorI7is_evenIyENSC_INSA_10device_ptrIyEEEESG_SG_EENS0_5tupleIJPySJ_EEENSR_IJSJ_SJ_EEES6_PlJS6_EEE10hipError_tPvRmT3_T4_T5_T6_T7_T9_mT8_P12ihipStream_tbDpT10_ENKUlT_T0_E_clISt17integral_constantIbLb0EES1E_IbLb1EEEEDaS1A_S1B_EUlS1A_E_NS1_11comp_targetILNS1_3genE10ELNS1_11target_archE1200ELNS1_3gpuE4ELNS1_3repE0EEENS1_30default_config_static_selectorELNS0_4arch9wavefront6targetE1EEEvT1_,"axG",@progbits,_ZN7rocprim17ROCPRIM_400000_NS6detail17trampoline_kernelINS0_14default_configENS1_25partition_config_selectorILNS1_17partition_subalgoE2EyNS0_10empty_typeEbEEZZNS1_14partition_implILS5_2ELb0ES3_jN6thrust23THRUST_200600_302600_NS6detail15normal_iteratorINSA_7pointerIyNSA_11hip_rocprim3tagENSA_11use_defaultESG_EEEEPS6_NSA_18transform_iteratorI7is_evenIyENSC_INSA_10device_ptrIyEEEESG_SG_EENS0_5tupleIJPySJ_EEENSR_IJSJ_SJ_EEES6_PlJS6_EEE10hipError_tPvRmT3_T4_T5_T6_T7_T9_mT8_P12ihipStream_tbDpT10_ENKUlT_T0_E_clISt17integral_constantIbLb0EES1E_IbLb1EEEEDaS1A_S1B_EUlS1A_E_NS1_11comp_targetILNS1_3genE10ELNS1_11target_archE1200ELNS1_3gpuE4ELNS1_3repE0EEENS1_30default_config_static_selectorELNS0_4arch9wavefront6targetE1EEEvT1_,comdat
	.protected	_ZN7rocprim17ROCPRIM_400000_NS6detail17trampoline_kernelINS0_14default_configENS1_25partition_config_selectorILNS1_17partition_subalgoE2EyNS0_10empty_typeEbEEZZNS1_14partition_implILS5_2ELb0ES3_jN6thrust23THRUST_200600_302600_NS6detail15normal_iteratorINSA_7pointerIyNSA_11hip_rocprim3tagENSA_11use_defaultESG_EEEEPS6_NSA_18transform_iteratorI7is_evenIyENSC_INSA_10device_ptrIyEEEESG_SG_EENS0_5tupleIJPySJ_EEENSR_IJSJ_SJ_EEES6_PlJS6_EEE10hipError_tPvRmT3_T4_T5_T6_T7_T9_mT8_P12ihipStream_tbDpT10_ENKUlT_T0_E_clISt17integral_constantIbLb0EES1E_IbLb1EEEEDaS1A_S1B_EUlS1A_E_NS1_11comp_targetILNS1_3genE10ELNS1_11target_archE1200ELNS1_3gpuE4ELNS1_3repE0EEENS1_30default_config_static_selectorELNS0_4arch9wavefront6targetE1EEEvT1_ ; -- Begin function _ZN7rocprim17ROCPRIM_400000_NS6detail17trampoline_kernelINS0_14default_configENS1_25partition_config_selectorILNS1_17partition_subalgoE2EyNS0_10empty_typeEbEEZZNS1_14partition_implILS5_2ELb0ES3_jN6thrust23THRUST_200600_302600_NS6detail15normal_iteratorINSA_7pointerIyNSA_11hip_rocprim3tagENSA_11use_defaultESG_EEEEPS6_NSA_18transform_iteratorI7is_evenIyENSC_INSA_10device_ptrIyEEEESG_SG_EENS0_5tupleIJPySJ_EEENSR_IJSJ_SJ_EEES6_PlJS6_EEE10hipError_tPvRmT3_T4_T5_T6_T7_T9_mT8_P12ihipStream_tbDpT10_ENKUlT_T0_E_clISt17integral_constantIbLb0EES1E_IbLb1EEEEDaS1A_S1B_EUlS1A_E_NS1_11comp_targetILNS1_3genE10ELNS1_11target_archE1200ELNS1_3gpuE4ELNS1_3repE0EEENS1_30default_config_static_selectorELNS0_4arch9wavefront6targetE1EEEvT1_
	.globl	_ZN7rocprim17ROCPRIM_400000_NS6detail17trampoline_kernelINS0_14default_configENS1_25partition_config_selectorILNS1_17partition_subalgoE2EyNS0_10empty_typeEbEEZZNS1_14partition_implILS5_2ELb0ES3_jN6thrust23THRUST_200600_302600_NS6detail15normal_iteratorINSA_7pointerIyNSA_11hip_rocprim3tagENSA_11use_defaultESG_EEEEPS6_NSA_18transform_iteratorI7is_evenIyENSC_INSA_10device_ptrIyEEEESG_SG_EENS0_5tupleIJPySJ_EEENSR_IJSJ_SJ_EEES6_PlJS6_EEE10hipError_tPvRmT3_T4_T5_T6_T7_T9_mT8_P12ihipStream_tbDpT10_ENKUlT_T0_E_clISt17integral_constantIbLb0EES1E_IbLb1EEEEDaS1A_S1B_EUlS1A_E_NS1_11comp_targetILNS1_3genE10ELNS1_11target_archE1200ELNS1_3gpuE4ELNS1_3repE0EEENS1_30default_config_static_selectorELNS0_4arch9wavefront6targetE1EEEvT1_
	.p2align	8
	.type	_ZN7rocprim17ROCPRIM_400000_NS6detail17trampoline_kernelINS0_14default_configENS1_25partition_config_selectorILNS1_17partition_subalgoE2EyNS0_10empty_typeEbEEZZNS1_14partition_implILS5_2ELb0ES3_jN6thrust23THRUST_200600_302600_NS6detail15normal_iteratorINSA_7pointerIyNSA_11hip_rocprim3tagENSA_11use_defaultESG_EEEEPS6_NSA_18transform_iteratorI7is_evenIyENSC_INSA_10device_ptrIyEEEESG_SG_EENS0_5tupleIJPySJ_EEENSR_IJSJ_SJ_EEES6_PlJS6_EEE10hipError_tPvRmT3_T4_T5_T6_T7_T9_mT8_P12ihipStream_tbDpT10_ENKUlT_T0_E_clISt17integral_constantIbLb0EES1E_IbLb1EEEEDaS1A_S1B_EUlS1A_E_NS1_11comp_targetILNS1_3genE10ELNS1_11target_archE1200ELNS1_3gpuE4ELNS1_3repE0EEENS1_30default_config_static_selectorELNS0_4arch9wavefront6targetE1EEEvT1_,@function
_ZN7rocprim17ROCPRIM_400000_NS6detail17trampoline_kernelINS0_14default_configENS1_25partition_config_selectorILNS1_17partition_subalgoE2EyNS0_10empty_typeEbEEZZNS1_14partition_implILS5_2ELb0ES3_jN6thrust23THRUST_200600_302600_NS6detail15normal_iteratorINSA_7pointerIyNSA_11hip_rocprim3tagENSA_11use_defaultESG_EEEEPS6_NSA_18transform_iteratorI7is_evenIyENSC_INSA_10device_ptrIyEEEESG_SG_EENS0_5tupleIJPySJ_EEENSR_IJSJ_SJ_EEES6_PlJS6_EEE10hipError_tPvRmT3_T4_T5_T6_T7_T9_mT8_P12ihipStream_tbDpT10_ENKUlT_T0_E_clISt17integral_constantIbLb0EES1E_IbLb1EEEEDaS1A_S1B_EUlS1A_E_NS1_11comp_targetILNS1_3genE10ELNS1_11target_archE1200ELNS1_3gpuE4ELNS1_3repE0EEENS1_30default_config_static_selectorELNS0_4arch9wavefront6targetE1EEEvT1_: ; @_ZN7rocprim17ROCPRIM_400000_NS6detail17trampoline_kernelINS0_14default_configENS1_25partition_config_selectorILNS1_17partition_subalgoE2EyNS0_10empty_typeEbEEZZNS1_14partition_implILS5_2ELb0ES3_jN6thrust23THRUST_200600_302600_NS6detail15normal_iteratorINSA_7pointerIyNSA_11hip_rocprim3tagENSA_11use_defaultESG_EEEEPS6_NSA_18transform_iteratorI7is_evenIyENSC_INSA_10device_ptrIyEEEESG_SG_EENS0_5tupleIJPySJ_EEENSR_IJSJ_SJ_EEES6_PlJS6_EEE10hipError_tPvRmT3_T4_T5_T6_T7_T9_mT8_P12ihipStream_tbDpT10_ENKUlT_T0_E_clISt17integral_constantIbLb0EES1E_IbLb1EEEEDaS1A_S1B_EUlS1A_E_NS1_11comp_targetILNS1_3genE10ELNS1_11target_archE1200ELNS1_3gpuE4ELNS1_3repE0EEENS1_30default_config_static_selectorELNS0_4arch9wavefront6targetE1EEEvT1_
; %bb.0:
	.section	.rodata,"a",@progbits
	.p2align	6, 0x0
	.amdhsa_kernel _ZN7rocprim17ROCPRIM_400000_NS6detail17trampoline_kernelINS0_14default_configENS1_25partition_config_selectorILNS1_17partition_subalgoE2EyNS0_10empty_typeEbEEZZNS1_14partition_implILS5_2ELb0ES3_jN6thrust23THRUST_200600_302600_NS6detail15normal_iteratorINSA_7pointerIyNSA_11hip_rocprim3tagENSA_11use_defaultESG_EEEEPS6_NSA_18transform_iteratorI7is_evenIyENSC_INSA_10device_ptrIyEEEESG_SG_EENS0_5tupleIJPySJ_EEENSR_IJSJ_SJ_EEES6_PlJS6_EEE10hipError_tPvRmT3_T4_T5_T6_T7_T9_mT8_P12ihipStream_tbDpT10_ENKUlT_T0_E_clISt17integral_constantIbLb0EES1E_IbLb1EEEEDaS1A_S1B_EUlS1A_E_NS1_11comp_targetILNS1_3genE10ELNS1_11target_archE1200ELNS1_3gpuE4ELNS1_3repE0EEENS1_30default_config_static_selectorELNS0_4arch9wavefront6targetE1EEEvT1_
		.amdhsa_group_segment_fixed_size 0
		.amdhsa_private_segment_fixed_size 0
		.amdhsa_kernarg_size 144
		.amdhsa_user_sgpr_count 2
		.amdhsa_user_sgpr_dispatch_ptr 0
		.amdhsa_user_sgpr_queue_ptr 0
		.amdhsa_user_sgpr_kernarg_segment_ptr 1
		.amdhsa_user_sgpr_dispatch_id 0
		.amdhsa_user_sgpr_kernarg_preload_length 0
		.amdhsa_user_sgpr_kernarg_preload_offset 0
		.amdhsa_user_sgpr_private_segment_size 0
		.amdhsa_uses_dynamic_stack 0
		.amdhsa_enable_private_segment 0
		.amdhsa_system_sgpr_workgroup_id_x 1
		.amdhsa_system_sgpr_workgroup_id_y 0
		.amdhsa_system_sgpr_workgroup_id_z 0
		.amdhsa_system_sgpr_workgroup_info 0
		.amdhsa_system_vgpr_workitem_id 0
		.amdhsa_next_free_vgpr 1
		.amdhsa_next_free_sgpr 0
		.amdhsa_accum_offset 4
		.amdhsa_reserve_vcc 0
		.amdhsa_float_round_mode_32 0
		.amdhsa_float_round_mode_16_64 0
		.amdhsa_float_denorm_mode_32 3
		.amdhsa_float_denorm_mode_16_64 3
		.amdhsa_dx10_clamp 1
		.amdhsa_ieee_mode 1
		.amdhsa_fp16_overflow 0
		.amdhsa_tg_split 0
		.amdhsa_exception_fp_ieee_invalid_op 0
		.amdhsa_exception_fp_denorm_src 0
		.amdhsa_exception_fp_ieee_div_zero 0
		.amdhsa_exception_fp_ieee_overflow 0
		.amdhsa_exception_fp_ieee_underflow 0
		.amdhsa_exception_fp_ieee_inexact 0
		.amdhsa_exception_int_div_zero 0
	.end_amdhsa_kernel
	.section	.text._ZN7rocprim17ROCPRIM_400000_NS6detail17trampoline_kernelINS0_14default_configENS1_25partition_config_selectorILNS1_17partition_subalgoE2EyNS0_10empty_typeEbEEZZNS1_14partition_implILS5_2ELb0ES3_jN6thrust23THRUST_200600_302600_NS6detail15normal_iteratorINSA_7pointerIyNSA_11hip_rocprim3tagENSA_11use_defaultESG_EEEEPS6_NSA_18transform_iteratorI7is_evenIyENSC_INSA_10device_ptrIyEEEESG_SG_EENS0_5tupleIJPySJ_EEENSR_IJSJ_SJ_EEES6_PlJS6_EEE10hipError_tPvRmT3_T4_T5_T6_T7_T9_mT8_P12ihipStream_tbDpT10_ENKUlT_T0_E_clISt17integral_constantIbLb0EES1E_IbLb1EEEEDaS1A_S1B_EUlS1A_E_NS1_11comp_targetILNS1_3genE10ELNS1_11target_archE1200ELNS1_3gpuE4ELNS1_3repE0EEENS1_30default_config_static_selectorELNS0_4arch9wavefront6targetE1EEEvT1_,"axG",@progbits,_ZN7rocprim17ROCPRIM_400000_NS6detail17trampoline_kernelINS0_14default_configENS1_25partition_config_selectorILNS1_17partition_subalgoE2EyNS0_10empty_typeEbEEZZNS1_14partition_implILS5_2ELb0ES3_jN6thrust23THRUST_200600_302600_NS6detail15normal_iteratorINSA_7pointerIyNSA_11hip_rocprim3tagENSA_11use_defaultESG_EEEEPS6_NSA_18transform_iteratorI7is_evenIyENSC_INSA_10device_ptrIyEEEESG_SG_EENS0_5tupleIJPySJ_EEENSR_IJSJ_SJ_EEES6_PlJS6_EEE10hipError_tPvRmT3_T4_T5_T6_T7_T9_mT8_P12ihipStream_tbDpT10_ENKUlT_T0_E_clISt17integral_constantIbLb0EES1E_IbLb1EEEEDaS1A_S1B_EUlS1A_E_NS1_11comp_targetILNS1_3genE10ELNS1_11target_archE1200ELNS1_3gpuE4ELNS1_3repE0EEENS1_30default_config_static_selectorELNS0_4arch9wavefront6targetE1EEEvT1_,comdat
.Lfunc_end2033:
	.size	_ZN7rocprim17ROCPRIM_400000_NS6detail17trampoline_kernelINS0_14default_configENS1_25partition_config_selectorILNS1_17partition_subalgoE2EyNS0_10empty_typeEbEEZZNS1_14partition_implILS5_2ELb0ES3_jN6thrust23THRUST_200600_302600_NS6detail15normal_iteratorINSA_7pointerIyNSA_11hip_rocprim3tagENSA_11use_defaultESG_EEEEPS6_NSA_18transform_iteratorI7is_evenIyENSC_INSA_10device_ptrIyEEEESG_SG_EENS0_5tupleIJPySJ_EEENSR_IJSJ_SJ_EEES6_PlJS6_EEE10hipError_tPvRmT3_T4_T5_T6_T7_T9_mT8_P12ihipStream_tbDpT10_ENKUlT_T0_E_clISt17integral_constantIbLb0EES1E_IbLb1EEEEDaS1A_S1B_EUlS1A_E_NS1_11comp_targetILNS1_3genE10ELNS1_11target_archE1200ELNS1_3gpuE4ELNS1_3repE0EEENS1_30default_config_static_selectorELNS0_4arch9wavefront6targetE1EEEvT1_, .Lfunc_end2033-_ZN7rocprim17ROCPRIM_400000_NS6detail17trampoline_kernelINS0_14default_configENS1_25partition_config_selectorILNS1_17partition_subalgoE2EyNS0_10empty_typeEbEEZZNS1_14partition_implILS5_2ELb0ES3_jN6thrust23THRUST_200600_302600_NS6detail15normal_iteratorINSA_7pointerIyNSA_11hip_rocprim3tagENSA_11use_defaultESG_EEEEPS6_NSA_18transform_iteratorI7is_evenIyENSC_INSA_10device_ptrIyEEEESG_SG_EENS0_5tupleIJPySJ_EEENSR_IJSJ_SJ_EEES6_PlJS6_EEE10hipError_tPvRmT3_T4_T5_T6_T7_T9_mT8_P12ihipStream_tbDpT10_ENKUlT_T0_E_clISt17integral_constantIbLb0EES1E_IbLb1EEEEDaS1A_S1B_EUlS1A_E_NS1_11comp_targetILNS1_3genE10ELNS1_11target_archE1200ELNS1_3gpuE4ELNS1_3repE0EEENS1_30default_config_static_selectorELNS0_4arch9wavefront6targetE1EEEvT1_
                                        ; -- End function
	.section	.AMDGPU.csdata,"",@progbits
; Kernel info:
; codeLenInByte = 0
; NumSgprs: 6
; NumVgprs: 0
; NumAgprs: 0
; TotalNumVgprs: 0
; ScratchSize: 0
; MemoryBound: 0
; FloatMode: 240
; IeeeMode: 1
; LDSByteSize: 0 bytes/workgroup (compile time only)
; SGPRBlocks: 0
; VGPRBlocks: 0
; NumSGPRsForWavesPerEU: 6
; NumVGPRsForWavesPerEU: 1
; AccumOffset: 4
; Occupancy: 8
; WaveLimiterHint : 0
; COMPUTE_PGM_RSRC2:SCRATCH_EN: 0
; COMPUTE_PGM_RSRC2:USER_SGPR: 2
; COMPUTE_PGM_RSRC2:TRAP_HANDLER: 0
; COMPUTE_PGM_RSRC2:TGID_X_EN: 1
; COMPUTE_PGM_RSRC2:TGID_Y_EN: 0
; COMPUTE_PGM_RSRC2:TGID_Z_EN: 0
; COMPUTE_PGM_RSRC2:TIDIG_COMP_CNT: 0
; COMPUTE_PGM_RSRC3_GFX90A:ACCUM_OFFSET: 0
; COMPUTE_PGM_RSRC3_GFX90A:TG_SPLIT: 0
	.section	.text._ZN7rocprim17ROCPRIM_400000_NS6detail17trampoline_kernelINS0_14default_configENS1_25partition_config_selectorILNS1_17partition_subalgoE2EyNS0_10empty_typeEbEEZZNS1_14partition_implILS5_2ELb0ES3_jN6thrust23THRUST_200600_302600_NS6detail15normal_iteratorINSA_7pointerIyNSA_11hip_rocprim3tagENSA_11use_defaultESG_EEEEPS6_NSA_18transform_iteratorI7is_evenIyENSC_INSA_10device_ptrIyEEEESG_SG_EENS0_5tupleIJPySJ_EEENSR_IJSJ_SJ_EEES6_PlJS6_EEE10hipError_tPvRmT3_T4_T5_T6_T7_T9_mT8_P12ihipStream_tbDpT10_ENKUlT_T0_E_clISt17integral_constantIbLb0EES1E_IbLb1EEEEDaS1A_S1B_EUlS1A_E_NS1_11comp_targetILNS1_3genE9ELNS1_11target_archE1100ELNS1_3gpuE3ELNS1_3repE0EEENS1_30default_config_static_selectorELNS0_4arch9wavefront6targetE1EEEvT1_,"axG",@progbits,_ZN7rocprim17ROCPRIM_400000_NS6detail17trampoline_kernelINS0_14default_configENS1_25partition_config_selectorILNS1_17partition_subalgoE2EyNS0_10empty_typeEbEEZZNS1_14partition_implILS5_2ELb0ES3_jN6thrust23THRUST_200600_302600_NS6detail15normal_iteratorINSA_7pointerIyNSA_11hip_rocprim3tagENSA_11use_defaultESG_EEEEPS6_NSA_18transform_iteratorI7is_evenIyENSC_INSA_10device_ptrIyEEEESG_SG_EENS0_5tupleIJPySJ_EEENSR_IJSJ_SJ_EEES6_PlJS6_EEE10hipError_tPvRmT3_T4_T5_T6_T7_T9_mT8_P12ihipStream_tbDpT10_ENKUlT_T0_E_clISt17integral_constantIbLb0EES1E_IbLb1EEEEDaS1A_S1B_EUlS1A_E_NS1_11comp_targetILNS1_3genE9ELNS1_11target_archE1100ELNS1_3gpuE3ELNS1_3repE0EEENS1_30default_config_static_selectorELNS0_4arch9wavefront6targetE1EEEvT1_,comdat
	.protected	_ZN7rocprim17ROCPRIM_400000_NS6detail17trampoline_kernelINS0_14default_configENS1_25partition_config_selectorILNS1_17partition_subalgoE2EyNS0_10empty_typeEbEEZZNS1_14partition_implILS5_2ELb0ES3_jN6thrust23THRUST_200600_302600_NS6detail15normal_iteratorINSA_7pointerIyNSA_11hip_rocprim3tagENSA_11use_defaultESG_EEEEPS6_NSA_18transform_iteratorI7is_evenIyENSC_INSA_10device_ptrIyEEEESG_SG_EENS0_5tupleIJPySJ_EEENSR_IJSJ_SJ_EEES6_PlJS6_EEE10hipError_tPvRmT3_T4_T5_T6_T7_T9_mT8_P12ihipStream_tbDpT10_ENKUlT_T0_E_clISt17integral_constantIbLb0EES1E_IbLb1EEEEDaS1A_S1B_EUlS1A_E_NS1_11comp_targetILNS1_3genE9ELNS1_11target_archE1100ELNS1_3gpuE3ELNS1_3repE0EEENS1_30default_config_static_selectorELNS0_4arch9wavefront6targetE1EEEvT1_ ; -- Begin function _ZN7rocprim17ROCPRIM_400000_NS6detail17trampoline_kernelINS0_14default_configENS1_25partition_config_selectorILNS1_17partition_subalgoE2EyNS0_10empty_typeEbEEZZNS1_14partition_implILS5_2ELb0ES3_jN6thrust23THRUST_200600_302600_NS6detail15normal_iteratorINSA_7pointerIyNSA_11hip_rocprim3tagENSA_11use_defaultESG_EEEEPS6_NSA_18transform_iteratorI7is_evenIyENSC_INSA_10device_ptrIyEEEESG_SG_EENS0_5tupleIJPySJ_EEENSR_IJSJ_SJ_EEES6_PlJS6_EEE10hipError_tPvRmT3_T4_T5_T6_T7_T9_mT8_P12ihipStream_tbDpT10_ENKUlT_T0_E_clISt17integral_constantIbLb0EES1E_IbLb1EEEEDaS1A_S1B_EUlS1A_E_NS1_11comp_targetILNS1_3genE9ELNS1_11target_archE1100ELNS1_3gpuE3ELNS1_3repE0EEENS1_30default_config_static_selectorELNS0_4arch9wavefront6targetE1EEEvT1_
	.globl	_ZN7rocprim17ROCPRIM_400000_NS6detail17trampoline_kernelINS0_14default_configENS1_25partition_config_selectorILNS1_17partition_subalgoE2EyNS0_10empty_typeEbEEZZNS1_14partition_implILS5_2ELb0ES3_jN6thrust23THRUST_200600_302600_NS6detail15normal_iteratorINSA_7pointerIyNSA_11hip_rocprim3tagENSA_11use_defaultESG_EEEEPS6_NSA_18transform_iteratorI7is_evenIyENSC_INSA_10device_ptrIyEEEESG_SG_EENS0_5tupleIJPySJ_EEENSR_IJSJ_SJ_EEES6_PlJS6_EEE10hipError_tPvRmT3_T4_T5_T6_T7_T9_mT8_P12ihipStream_tbDpT10_ENKUlT_T0_E_clISt17integral_constantIbLb0EES1E_IbLb1EEEEDaS1A_S1B_EUlS1A_E_NS1_11comp_targetILNS1_3genE9ELNS1_11target_archE1100ELNS1_3gpuE3ELNS1_3repE0EEENS1_30default_config_static_selectorELNS0_4arch9wavefront6targetE1EEEvT1_
	.p2align	8
	.type	_ZN7rocprim17ROCPRIM_400000_NS6detail17trampoline_kernelINS0_14default_configENS1_25partition_config_selectorILNS1_17partition_subalgoE2EyNS0_10empty_typeEbEEZZNS1_14partition_implILS5_2ELb0ES3_jN6thrust23THRUST_200600_302600_NS6detail15normal_iteratorINSA_7pointerIyNSA_11hip_rocprim3tagENSA_11use_defaultESG_EEEEPS6_NSA_18transform_iteratorI7is_evenIyENSC_INSA_10device_ptrIyEEEESG_SG_EENS0_5tupleIJPySJ_EEENSR_IJSJ_SJ_EEES6_PlJS6_EEE10hipError_tPvRmT3_T4_T5_T6_T7_T9_mT8_P12ihipStream_tbDpT10_ENKUlT_T0_E_clISt17integral_constantIbLb0EES1E_IbLb1EEEEDaS1A_S1B_EUlS1A_E_NS1_11comp_targetILNS1_3genE9ELNS1_11target_archE1100ELNS1_3gpuE3ELNS1_3repE0EEENS1_30default_config_static_selectorELNS0_4arch9wavefront6targetE1EEEvT1_,@function
_ZN7rocprim17ROCPRIM_400000_NS6detail17trampoline_kernelINS0_14default_configENS1_25partition_config_selectorILNS1_17partition_subalgoE2EyNS0_10empty_typeEbEEZZNS1_14partition_implILS5_2ELb0ES3_jN6thrust23THRUST_200600_302600_NS6detail15normal_iteratorINSA_7pointerIyNSA_11hip_rocprim3tagENSA_11use_defaultESG_EEEEPS6_NSA_18transform_iteratorI7is_evenIyENSC_INSA_10device_ptrIyEEEESG_SG_EENS0_5tupleIJPySJ_EEENSR_IJSJ_SJ_EEES6_PlJS6_EEE10hipError_tPvRmT3_T4_T5_T6_T7_T9_mT8_P12ihipStream_tbDpT10_ENKUlT_T0_E_clISt17integral_constantIbLb0EES1E_IbLb1EEEEDaS1A_S1B_EUlS1A_E_NS1_11comp_targetILNS1_3genE9ELNS1_11target_archE1100ELNS1_3gpuE3ELNS1_3repE0EEENS1_30default_config_static_selectorELNS0_4arch9wavefront6targetE1EEEvT1_: ; @_ZN7rocprim17ROCPRIM_400000_NS6detail17trampoline_kernelINS0_14default_configENS1_25partition_config_selectorILNS1_17partition_subalgoE2EyNS0_10empty_typeEbEEZZNS1_14partition_implILS5_2ELb0ES3_jN6thrust23THRUST_200600_302600_NS6detail15normal_iteratorINSA_7pointerIyNSA_11hip_rocprim3tagENSA_11use_defaultESG_EEEEPS6_NSA_18transform_iteratorI7is_evenIyENSC_INSA_10device_ptrIyEEEESG_SG_EENS0_5tupleIJPySJ_EEENSR_IJSJ_SJ_EEES6_PlJS6_EEE10hipError_tPvRmT3_T4_T5_T6_T7_T9_mT8_P12ihipStream_tbDpT10_ENKUlT_T0_E_clISt17integral_constantIbLb0EES1E_IbLb1EEEEDaS1A_S1B_EUlS1A_E_NS1_11comp_targetILNS1_3genE9ELNS1_11target_archE1100ELNS1_3gpuE3ELNS1_3repE0EEENS1_30default_config_static_selectorELNS0_4arch9wavefront6targetE1EEEvT1_
; %bb.0:
	.section	.rodata,"a",@progbits
	.p2align	6, 0x0
	.amdhsa_kernel _ZN7rocprim17ROCPRIM_400000_NS6detail17trampoline_kernelINS0_14default_configENS1_25partition_config_selectorILNS1_17partition_subalgoE2EyNS0_10empty_typeEbEEZZNS1_14partition_implILS5_2ELb0ES3_jN6thrust23THRUST_200600_302600_NS6detail15normal_iteratorINSA_7pointerIyNSA_11hip_rocprim3tagENSA_11use_defaultESG_EEEEPS6_NSA_18transform_iteratorI7is_evenIyENSC_INSA_10device_ptrIyEEEESG_SG_EENS0_5tupleIJPySJ_EEENSR_IJSJ_SJ_EEES6_PlJS6_EEE10hipError_tPvRmT3_T4_T5_T6_T7_T9_mT8_P12ihipStream_tbDpT10_ENKUlT_T0_E_clISt17integral_constantIbLb0EES1E_IbLb1EEEEDaS1A_S1B_EUlS1A_E_NS1_11comp_targetILNS1_3genE9ELNS1_11target_archE1100ELNS1_3gpuE3ELNS1_3repE0EEENS1_30default_config_static_selectorELNS0_4arch9wavefront6targetE1EEEvT1_
		.amdhsa_group_segment_fixed_size 0
		.amdhsa_private_segment_fixed_size 0
		.amdhsa_kernarg_size 144
		.amdhsa_user_sgpr_count 2
		.amdhsa_user_sgpr_dispatch_ptr 0
		.amdhsa_user_sgpr_queue_ptr 0
		.amdhsa_user_sgpr_kernarg_segment_ptr 1
		.amdhsa_user_sgpr_dispatch_id 0
		.amdhsa_user_sgpr_kernarg_preload_length 0
		.amdhsa_user_sgpr_kernarg_preload_offset 0
		.amdhsa_user_sgpr_private_segment_size 0
		.amdhsa_uses_dynamic_stack 0
		.amdhsa_enable_private_segment 0
		.amdhsa_system_sgpr_workgroup_id_x 1
		.amdhsa_system_sgpr_workgroup_id_y 0
		.amdhsa_system_sgpr_workgroup_id_z 0
		.amdhsa_system_sgpr_workgroup_info 0
		.amdhsa_system_vgpr_workitem_id 0
		.amdhsa_next_free_vgpr 1
		.amdhsa_next_free_sgpr 0
		.amdhsa_accum_offset 4
		.amdhsa_reserve_vcc 0
		.amdhsa_float_round_mode_32 0
		.amdhsa_float_round_mode_16_64 0
		.amdhsa_float_denorm_mode_32 3
		.amdhsa_float_denorm_mode_16_64 3
		.amdhsa_dx10_clamp 1
		.amdhsa_ieee_mode 1
		.amdhsa_fp16_overflow 0
		.amdhsa_tg_split 0
		.amdhsa_exception_fp_ieee_invalid_op 0
		.amdhsa_exception_fp_denorm_src 0
		.amdhsa_exception_fp_ieee_div_zero 0
		.amdhsa_exception_fp_ieee_overflow 0
		.amdhsa_exception_fp_ieee_underflow 0
		.amdhsa_exception_fp_ieee_inexact 0
		.amdhsa_exception_int_div_zero 0
	.end_amdhsa_kernel
	.section	.text._ZN7rocprim17ROCPRIM_400000_NS6detail17trampoline_kernelINS0_14default_configENS1_25partition_config_selectorILNS1_17partition_subalgoE2EyNS0_10empty_typeEbEEZZNS1_14partition_implILS5_2ELb0ES3_jN6thrust23THRUST_200600_302600_NS6detail15normal_iteratorINSA_7pointerIyNSA_11hip_rocprim3tagENSA_11use_defaultESG_EEEEPS6_NSA_18transform_iteratorI7is_evenIyENSC_INSA_10device_ptrIyEEEESG_SG_EENS0_5tupleIJPySJ_EEENSR_IJSJ_SJ_EEES6_PlJS6_EEE10hipError_tPvRmT3_T4_T5_T6_T7_T9_mT8_P12ihipStream_tbDpT10_ENKUlT_T0_E_clISt17integral_constantIbLb0EES1E_IbLb1EEEEDaS1A_S1B_EUlS1A_E_NS1_11comp_targetILNS1_3genE9ELNS1_11target_archE1100ELNS1_3gpuE3ELNS1_3repE0EEENS1_30default_config_static_selectorELNS0_4arch9wavefront6targetE1EEEvT1_,"axG",@progbits,_ZN7rocprim17ROCPRIM_400000_NS6detail17trampoline_kernelINS0_14default_configENS1_25partition_config_selectorILNS1_17partition_subalgoE2EyNS0_10empty_typeEbEEZZNS1_14partition_implILS5_2ELb0ES3_jN6thrust23THRUST_200600_302600_NS6detail15normal_iteratorINSA_7pointerIyNSA_11hip_rocprim3tagENSA_11use_defaultESG_EEEEPS6_NSA_18transform_iteratorI7is_evenIyENSC_INSA_10device_ptrIyEEEESG_SG_EENS0_5tupleIJPySJ_EEENSR_IJSJ_SJ_EEES6_PlJS6_EEE10hipError_tPvRmT3_T4_T5_T6_T7_T9_mT8_P12ihipStream_tbDpT10_ENKUlT_T0_E_clISt17integral_constantIbLb0EES1E_IbLb1EEEEDaS1A_S1B_EUlS1A_E_NS1_11comp_targetILNS1_3genE9ELNS1_11target_archE1100ELNS1_3gpuE3ELNS1_3repE0EEENS1_30default_config_static_selectorELNS0_4arch9wavefront6targetE1EEEvT1_,comdat
.Lfunc_end2034:
	.size	_ZN7rocprim17ROCPRIM_400000_NS6detail17trampoline_kernelINS0_14default_configENS1_25partition_config_selectorILNS1_17partition_subalgoE2EyNS0_10empty_typeEbEEZZNS1_14partition_implILS5_2ELb0ES3_jN6thrust23THRUST_200600_302600_NS6detail15normal_iteratorINSA_7pointerIyNSA_11hip_rocprim3tagENSA_11use_defaultESG_EEEEPS6_NSA_18transform_iteratorI7is_evenIyENSC_INSA_10device_ptrIyEEEESG_SG_EENS0_5tupleIJPySJ_EEENSR_IJSJ_SJ_EEES6_PlJS6_EEE10hipError_tPvRmT3_T4_T5_T6_T7_T9_mT8_P12ihipStream_tbDpT10_ENKUlT_T0_E_clISt17integral_constantIbLb0EES1E_IbLb1EEEEDaS1A_S1B_EUlS1A_E_NS1_11comp_targetILNS1_3genE9ELNS1_11target_archE1100ELNS1_3gpuE3ELNS1_3repE0EEENS1_30default_config_static_selectorELNS0_4arch9wavefront6targetE1EEEvT1_, .Lfunc_end2034-_ZN7rocprim17ROCPRIM_400000_NS6detail17trampoline_kernelINS0_14default_configENS1_25partition_config_selectorILNS1_17partition_subalgoE2EyNS0_10empty_typeEbEEZZNS1_14partition_implILS5_2ELb0ES3_jN6thrust23THRUST_200600_302600_NS6detail15normal_iteratorINSA_7pointerIyNSA_11hip_rocprim3tagENSA_11use_defaultESG_EEEEPS6_NSA_18transform_iteratorI7is_evenIyENSC_INSA_10device_ptrIyEEEESG_SG_EENS0_5tupleIJPySJ_EEENSR_IJSJ_SJ_EEES6_PlJS6_EEE10hipError_tPvRmT3_T4_T5_T6_T7_T9_mT8_P12ihipStream_tbDpT10_ENKUlT_T0_E_clISt17integral_constantIbLb0EES1E_IbLb1EEEEDaS1A_S1B_EUlS1A_E_NS1_11comp_targetILNS1_3genE9ELNS1_11target_archE1100ELNS1_3gpuE3ELNS1_3repE0EEENS1_30default_config_static_selectorELNS0_4arch9wavefront6targetE1EEEvT1_
                                        ; -- End function
	.section	.AMDGPU.csdata,"",@progbits
; Kernel info:
; codeLenInByte = 0
; NumSgprs: 6
; NumVgprs: 0
; NumAgprs: 0
; TotalNumVgprs: 0
; ScratchSize: 0
; MemoryBound: 0
; FloatMode: 240
; IeeeMode: 1
; LDSByteSize: 0 bytes/workgroup (compile time only)
; SGPRBlocks: 0
; VGPRBlocks: 0
; NumSGPRsForWavesPerEU: 6
; NumVGPRsForWavesPerEU: 1
; AccumOffset: 4
; Occupancy: 8
; WaveLimiterHint : 0
; COMPUTE_PGM_RSRC2:SCRATCH_EN: 0
; COMPUTE_PGM_RSRC2:USER_SGPR: 2
; COMPUTE_PGM_RSRC2:TRAP_HANDLER: 0
; COMPUTE_PGM_RSRC2:TGID_X_EN: 1
; COMPUTE_PGM_RSRC2:TGID_Y_EN: 0
; COMPUTE_PGM_RSRC2:TGID_Z_EN: 0
; COMPUTE_PGM_RSRC2:TIDIG_COMP_CNT: 0
; COMPUTE_PGM_RSRC3_GFX90A:ACCUM_OFFSET: 0
; COMPUTE_PGM_RSRC3_GFX90A:TG_SPLIT: 0
	.section	.text._ZN7rocprim17ROCPRIM_400000_NS6detail17trampoline_kernelINS0_14default_configENS1_25partition_config_selectorILNS1_17partition_subalgoE2EyNS0_10empty_typeEbEEZZNS1_14partition_implILS5_2ELb0ES3_jN6thrust23THRUST_200600_302600_NS6detail15normal_iteratorINSA_7pointerIyNSA_11hip_rocprim3tagENSA_11use_defaultESG_EEEEPS6_NSA_18transform_iteratorI7is_evenIyENSC_INSA_10device_ptrIyEEEESG_SG_EENS0_5tupleIJPySJ_EEENSR_IJSJ_SJ_EEES6_PlJS6_EEE10hipError_tPvRmT3_T4_T5_T6_T7_T9_mT8_P12ihipStream_tbDpT10_ENKUlT_T0_E_clISt17integral_constantIbLb0EES1E_IbLb1EEEEDaS1A_S1B_EUlS1A_E_NS1_11comp_targetILNS1_3genE8ELNS1_11target_archE1030ELNS1_3gpuE2ELNS1_3repE0EEENS1_30default_config_static_selectorELNS0_4arch9wavefront6targetE1EEEvT1_,"axG",@progbits,_ZN7rocprim17ROCPRIM_400000_NS6detail17trampoline_kernelINS0_14default_configENS1_25partition_config_selectorILNS1_17partition_subalgoE2EyNS0_10empty_typeEbEEZZNS1_14partition_implILS5_2ELb0ES3_jN6thrust23THRUST_200600_302600_NS6detail15normal_iteratorINSA_7pointerIyNSA_11hip_rocprim3tagENSA_11use_defaultESG_EEEEPS6_NSA_18transform_iteratorI7is_evenIyENSC_INSA_10device_ptrIyEEEESG_SG_EENS0_5tupleIJPySJ_EEENSR_IJSJ_SJ_EEES6_PlJS6_EEE10hipError_tPvRmT3_T4_T5_T6_T7_T9_mT8_P12ihipStream_tbDpT10_ENKUlT_T0_E_clISt17integral_constantIbLb0EES1E_IbLb1EEEEDaS1A_S1B_EUlS1A_E_NS1_11comp_targetILNS1_3genE8ELNS1_11target_archE1030ELNS1_3gpuE2ELNS1_3repE0EEENS1_30default_config_static_selectorELNS0_4arch9wavefront6targetE1EEEvT1_,comdat
	.protected	_ZN7rocprim17ROCPRIM_400000_NS6detail17trampoline_kernelINS0_14default_configENS1_25partition_config_selectorILNS1_17partition_subalgoE2EyNS0_10empty_typeEbEEZZNS1_14partition_implILS5_2ELb0ES3_jN6thrust23THRUST_200600_302600_NS6detail15normal_iteratorINSA_7pointerIyNSA_11hip_rocprim3tagENSA_11use_defaultESG_EEEEPS6_NSA_18transform_iteratorI7is_evenIyENSC_INSA_10device_ptrIyEEEESG_SG_EENS0_5tupleIJPySJ_EEENSR_IJSJ_SJ_EEES6_PlJS6_EEE10hipError_tPvRmT3_T4_T5_T6_T7_T9_mT8_P12ihipStream_tbDpT10_ENKUlT_T0_E_clISt17integral_constantIbLb0EES1E_IbLb1EEEEDaS1A_S1B_EUlS1A_E_NS1_11comp_targetILNS1_3genE8ELNS1_11target_archE1030ELNS1_3gpuE2ELNS1_3repE0EEENS1_30default_config_static_selectorELNS0_4arch9wavefront6targetE1EEEvT1_ ; -- Begin function _ZN7rocprim17ROCPRIM_400000_NS6detail17trampoline_kernelINS0_14default_configENS1_25partition_config_selectorILNS1_17partition_subalgoE2EyNS0_10empty_typeEbEEZZNS1_14partition_implILS5_2ELb0ES3_jN6thrust23THRUST_200600_302600_NS6detail15normal_iteratorINSA_7pointerIyNSA_11hip_rocprim3tagENSA_11use_defaultESG_EEEEPS6_NSA_18transform_iteratorI7is_evenIyENSC_INSA_10device_ptrIyEEEESG_SG_EENS0_5tupleIJPySJ_EEENSR_IJSJ_SJ_EEES6_PlJS6_EEE10hipError_tPvRmT3_T4_T5_T6_T7_T9_mT8_P12ihipStream_tbDpT10_ENKUlT_T0_E_clISt17integral_constantIbLb0EES1E_IbLb1EEEEDaS1A_S1B_EUlS1A_E_NS1_11comp_targetILNS1_3genE8ELNS1_11target_archE1030ELNS1_3gpuE2ELNS1_3repE0EEENS1_30default_config_static_selectorELNS0_4arch9wavefront6targetE1EEEvT1_
	.globl	_ZN7rocprim17ROCPRIM_400000_NS6detail17trampoline_kernelINS0_14default_configENS1_25partition_config_selectorILNS1_17partition_subalgoE2EyNS0_10empty_typeEbEEZZNS1_14partition_implILS5_2ELb0ES3_jN6thrust23THRUST_200600_302600_NS6detail15normal_iteratorINSA_7pointerIyNSA_11hip_rocprim3tagENSA_11use_defaultESG_EEEEPS6_NSA_18transform_iteratorI7is_evenIyENSC_INSA_10device_ptrIyEEEESG_SG_EENS0_5tupleIJPySJ_EEENSR_IJSJ_SJ_EEES6_PlJS6_EEE10hipError_tPvRmT3_T4_T5_T6_T7_T9_mT8_P12ihipStream_tbDpT10_ENKUlT_T0_E_clISt17integral_constantIbLb0EES1E_IbLb1EEEEDaS1A_S1B_EUlS1A_E_NS1_11comp_targetILNS1_3genE8ELNS1_11target_archE1030ELNS1_3gpuE2ELNS1_3repE0EEENS1_30default_config_static_selectorELNS0_4arch9wavefront6targetE1EEEvT1_
	.p2align	8
	.type	_ZN7rocprim17ROCPRIM_400000_NS6detail17trampoline_kernelINS0_14default_configENS1_25partition_config_selectorILNS1_17partition_subalgoE2EyNS0_10empty_typeEbEEZZNS1_14partition_implILS5_2ELb0ES3_jN6thrust23THRUST_200600_302600_NS6detail15normal_iteratorINSA_7pointerIyNSA_11hip_rocprim3tagENSA_11use_defaultESG_EEEEPS6_NSA_18transform_iteratorI7is_evenIyENSC_INSA_10device_ptrIyEEEESG_SG_EENS0_5tupleIJPySJ_EEENSR_IJSJ_SJ_EEES6_PlJS6_EEE10hipError_tPvRmT3_T4_T5_T6_T7_T9_mT8_P12ihipStream_tbDpT10_ENKUlT_T0_E_clISt17integral_constantIbLb0EES1E_IbLb1EEEEDaS1A_S1B_EUlS1A_E_NS1_11comp_targetILNS1_3genE8ELNS1_11target_archE1030ELNS1_3gpuE2ELNS1_3repE0EEENS1_30default_config_static_selectorELNS0_4arch9wavefront6targetE1EEEvT1_,@function
_ZN7rocprim17ROCPRIM_400000_NS6detail17trampoline_kernelINS0_14default_configENS1_25partition_config_selectorILNS1_17partition_subalgoE2EyNS0_10empty_typeEbEEZZNS1_14partition_implILS5_2ELb0ES3_jN6thrust23THRUST_200600_302600_NS6detail15normal_iteratorINSA_7pointerIyNSA_11hip_rocprim3tagENSA_11use_defaultESG_EEEEPS6_NSA_18transform_iteratorI7is_evenIyENSC_INSA_10device_ptrIyEEEESG_SG_EENS0_5tupleIJPySJ_EEENSR_IJSJ_SJ_EEES6_PlJS6_EEE10hipError_tPvRmT3_T4_T5_T6_T7_T9_mT8_P12ihipStream_tbDpT10_ENKUlT_T0_E_clISt17integral_constantIbLb0EES1E_IbLb1EEEEDaS1A_S1B_EUlS1A_E_NS1_11comp_targetILNS1_3genE8ELNS1_11target_archE1030ELNS1_3gpuE2ELNS1_3repE0EEENS1_30default_config_static_selectorELNS0_4arch9wavefront6targetE1EEEvT1_: ; @_ZN7rocprim17ROCPRIM_400000_NS6detail17trampoline_kernelINS0_14default_configENS1_25partition_config_selectorILNS1_17partition_subalgoE2EyNS0_10empty_typeEbEEZZNS1_14partition_implILS5_2ELb0ES3_jN6thrust23THRUST_200600_302600_NS6detail15normal_iteratorINSA_7pointerIyNSA_11hip_rocprim3tagENSA_11use_defaultESG_EEEEPS6_NSA_18transform_iteratorI7is_evenIyENSC_INSA_10device_ptrIyEEEESG_SG_EENS0_5tupleIJPySJ_EEENSR_IJSJ_SJ_EEES6_PlJS6_EEE10hipError_tPvRmT3_T4_T5_T6_T7_T9_mT8_P12ihipStream_tbDpT10_ENKUlT_T0_E_clISt17integral_constantIbLb0EES1E_IbLb1EEEEDaS1A_S1B_EUlS1A_E_NS1_11comp_targetILNS1_3genE8ELNS1_11target_archE1030ELNS1_3gpuE2ELNS1_3repE0EEENS1_30default_config_static_selectorELNS0_4arch9wavefront6targetE1EEEvT1_
; %bb.0:
	.section	.rodata,"a",@progbits
	.p2align	6, 0x0
	.amdhsa_kernel _ZN7rocprim17ROCPRIM_400000_NS6detail17trampoline_kernelINS0_14default_configENS1_25partition_config_selectorILNS1_17partition_subalgoE2EyNS0_10empty_typeEbEEZZNS1_14partition_implILS5_2ELb0ES3_jN6thrust23THRUST_200600_302600_NS6detail15normal_iteratorINSA_7pointerIyNSA_11hip_rocprim3tagENSA_11use_defaultESG_EEEEPS6_NSA_18transform_iteratorI7is_evenIyENSC_INSA_10device_ptrIyEEEESG_SG_EENS0_5tupleIJPySJ_EEENSR_IJSJ_SJ_EEES6_PlJS6_EEE10hipError_tPvRmT3_T4_T5_T6_T7_T9_mT8_P12ihipStream_tbDpT10_ENKUlT_T0_E_clISt17integral_constantIbLb0EES1E_IbLb1EEEEDaS1A_S1B_EUlS1A_E_NS1_11comp_targetILNS1_3genE8ELNS1_11target_archE1030ELNS1_3gpuE2ELNS1_3repE0EEENS1_30default_config_static_selectorELNS0_4arch9wavefront6targetE1EEEvT1_
		.amdhsa_group_segment_fixed_size 0
		.amdhsa_private_segment_fixed_size 0
		.amdhsa_kernarg_size 144
		.amdhsa_user_sgpr_count 2
		.amdhsa_user_sgpr_dispatch_ptr 0
		.amdhsa_user_sgpr_queue_ptr 0
		.amdhsa_user_sgpr_kernarg_segment_ptr 1
		.amdhsa_user_sgpr_dispatch_id 0
		.amdhsa_user_sgpr_kernarg_preload_length 0
		.amdhsa_user_sgpr_kernarg_preload_offset 0
		.amdhsa_user_sgpr_private_segment_size 0
		.amdhsa_uses_dynamic_stack 0
		.amdhsa_enable_private_segment 0
		.amdhsa_system_sgpr_workgroup_id_x 1
		.amdhsa_system_sgpr_workgroup_id_y 0
		.amdhsa_system_sgpr_workgroup_id_z 0
		.amdhsa_system_sgpr_workgroup_info 0
		.amdhsa_system_vgpr_workitem_id 0
		.amdhsa_next_free_vgpr 1
		.amdhsa_next_free_sgpr 0
		.amdhsa_accum_offset 4
		.amdhsa_reserve_vcc 0
		.amdhsa_float_round_mode_32 0
		.amdhsa_float_round_mode_16_64 0
		.amdhsa_float_denorm_mode_32 3
		.amdhsa_float_denorm_mode_16_64 3
		.amdhsa_dx10_clamp 1
		.amdhsa_ieee_mode 1
		.amdhsa_fp16_overflow 0
		.amdhsa_tg_split 0
		.amdhsa_exception_fp_ieee_invalid_op 0
		.amdhsa_exception_fp_denorm_src 0
		.amdhsa_exception_fp_ieee_div_zero 0
		.amdhsa_exception_fp_ieee_overflow 0
		.amdhsa_exception_fp_ieee_underflow 0
		.amdhsa_exception_fp_ieee_inexact 0
		.amdhsa_exception_int_div_zero 0
	.end_amdhsa_kernel
	.section	.text._ZN7rocprim17ROCPRIM_400000_NS6detail17trampoline_kernelINS0_14default_configENS1_25partition_config_selectorILNS1_17partition_subalgoE2EyNS0_10empty_typeEbEEZZNS1_14partition_implILS5_2ELb0ES3_jN6thrust23THRUST_200600_302600_NS6detail15normal_iteratorINSA_7pointerIyNSA_11hip_rocprim3tagENSA_11use_defaultESG_EEEEPS6_NSA_18transform_iteratorI7is_evenIyENSC_INSA_10device_ptrIyEEEESG_SG_EENS0_5tupleIJPySJ_EEENSR_IJSJ_SJ_EEES6_PlJS6_EEE10hipError_tPvRmT3_T4_T5_T6_T7_T9_mT8_P12ihipStream_tbDpT10_ENKUlT_T0_E_clISt17integral_constantIbLb0EES1E_IbLb1EEEEDaS1A_S1B_EUlS1A_E_NS1_11comp_targetILNS1_3genE8ELNS1_11target_archE1030ELNS1_3gpuE2ELNS1_3repE0EEENS1_30default_config_static_selectorELNS0_4arch9wavefront6targetE1EEEvT1_,"axG",@progbits,_ZN7rocprim17ROCPRIM_400000_NS6detail17trampoline_kernelINS0_14default_configENS1_25partition_config_selectorILNS1_17partition_subalgoE2EyNS0_10empty_typeEbEEZZNS1_14partition_implILS5_2ELb0ES3_jN6thrust23THRUST_200600_302600_NS6detail15normal_iteratorINSA_7pointerIyNSA_11hip_rocprim3tagENSA_11use_defaultESG_EEEEPS6_NSA_18transform_iteratorI7is_evenIyENSC_INSA_10device_ptrIyEEEESG_SG_EENS0_5tupleIJPySJ_EEENSR_IJSJ_SJ_EEES6_PlJS6_EEE10hipError_tPvRmT3_T4_T5_T6_T7_T9_mT8_P12ihipStream_tbDpT10_ENKUlT_T0_E_clISt17integral_constantIbLb0EES1E_IbLb1EEEEDaS1A_S1B_EUlS1A_E_NS1_11comp_targetILNS1_3genE8ELNS1_11target_archE1030ELNS1_3gpuE2ELNS1_3repE0EEENS1_30default_config_static_selectorELNS0_4arch9wavefront6targetE1EEEvT1_,comdat
.Lfunc_end2035:
	.size	_ZN7rocprim17ROCPRIM_400000_NS6detail17trampoline_kernelINS0_14default_configENS1_25partition_config_selectorILNS1_17partition_subalgoE2EyNS0_10empty_typeEbEEZZNS1_14partition_implILS5_2ELb0ES3_jN6thrust23THRUST_200600_302600_NS6detail15normal_iteratorINSA_7pointerIyNSA_11hip_rocprim3tagENSA_11use_defaultESG_EEEEPS6_NSA_18transform_iteratorI7is_evenIyENSC_INSA_10device_ptrIyEEEESG_SG_EENS0_5tupleIJPySJ_EEENSR_IJSJ_SJ_EEES6_PlJS6_EEE10hipError_tPvRmT3_T4_T5_T6_T7_T9_mT8_P12ihipStream_tbDpT10_ENKUlT_T0_E_clISt17integral_constantIbLb0EES1E_IbLb1EEEEDaS1A_S1B_EUlS1A_E_NS1_11comp_targetILNS1_3genE8ELNS1_11target_archE1030ELNS1_3gpuE2ELNS1_3repE0EEENS1_30default_config_static_selectorELNS0_4arch9wavefront6targetE1EEEvT1_, .Lfunc_end2035-_ZN7rocprim17ROCPRIM_400000_NS6detail17trampoline_kernelINS0_14default_configENS1_25partition_config_selectorILNS1_17partition_subalgoE2EyNS0_10empty_typeEbEEZZNS1_14partition_implILS5_2ELb0ES3_jN6thrust23THRUST_200600_302600_NS6detail15normal_iteratorINSA_7pointerIyNSA_11hip_rocprim3tagENSA_11use_defaultESG_EEEEPS6_NSA_18transform_iteratorI7is_evenIyENSC_INSA_10device_ptrIyEEEESG_SG_EENS0_5tupleIJPySJ_EEENSR_IJSJ_SJ_EEES6_PlJS6_EEE10hipError_tPvRmT3_T4_T5_T6_T7_T9_mT8_P12ihipStream_tbDpT10_ENKUlT_T0_E_clISt17integral_constantIbLb0EES1E_IbLb1EEEEDaS1A_S1B_EUlS1A_E_NS1_11comp_targetILNS1_3genE8ELNS1_11target_archE1030ELNS1_3gpuE2ELNS1_3repE0EEENS1_30default_config_static_selectorELNS0_4arch9wavefront6targetE1EEEvT1_
                                        ; -- End function
	.section	.AMDGPU.csdata,"",@progbits
; Kernel info:
; codeLenInByte = 0
; NumSgprs: 6
; NumVgprs: 0
; NumAgprs: 0
; TotalNumVgprs: 0
; ScratchSize: 0
; MemoryBound: 0
; FloatMode: 240
; IeeeMode: 1
; LDSByteSize: 0 bytes/workgroup (compile time only)
; SGPRBlocks: 0
; VGPRBlocks: 0
; NumSGPRsForWavesPerEU: 6
; NumVGPRsForWavesPerEU: 1
; AccumOffset: 4
; Occupancy: 8
; WaveLimiterHint : 0
; COMPUTE_PGM_RSRC2:SCRATCH_EN: 0
; COMPUTE_PGM_RSRC2:USER_SGPR: 2
; COMPUTE_PGM_RSRC2:TRAP_HANDLER: 0
; COMPUTE_PGM_RSRC2:TGID_X_EN: 1
; COMPUTE_PGM_RSRC2:TGID_Y_EN: 0
; COMPUTE_PGM_RSRC2:TGID_Z_EN: 0
; COMPUTE_PGM_RSRC2:TIDIG_COMP_CNT: 0
; COMPUTE_PGM_RSRC3_GFX90A:ACCUM_OFFSET: 0
; COMPUTE_PGM_RSRC3_GFX90A:TG_SPLIT: 0
	.section	.text._ZN6thrust23THRUST_200600_302600_NS11hip_rocprim14__parallel_for6kernelILj256ENS1_13__swap_ranges6swap_fINS0_6detail15normal_iteratorINS0_10device_ptrIyEEEENS0_16reverse_iteratorISA_EEEElLj1EEEvT0_T1_SF_,"axG",@progbits,_ZN6thrust23THRUST_200600_302600_NS11hip_rocprim14__parallel_for6kernelILj256ENS1_13__swap_ranges6swap_fINS0_6detail15normal_iteratorINS0_10device_ptrIyEEEENS0_16reverse_iteratorISA_EEEElLj1EEEvT0_T1_SF_,comdat
	.protected	_ZN6thrust23THRUST_200600_302600_NS11hip_rocprim14__parallel_for6kernelILj256ENS1_13__swap_ranges6swap_fINS0_6detail15normal_iteratorINS0_10device_ptrIyEEEENS0_16reverse_iteratorISA_EEEElLj1EEEvT0_T1_SF_ ; -- Begin function _ZN6thrust23THRUST_200600_302600_NS11hip_rocprim14__parallel_for6kernelILj256ENS1_13__swap_ranges6swap_fINS0_6detail15normal_iteratorINS0_10device_ptrIyEEEENS0_16reverse_iteratorISA_EEEElLj1EEEvT0_T1_SF_
	.globl	_ZN6thrust23THRUST_200600_302600_NS11hip_rocprim14__parallel_for6kernelILj256ENS1_13__swap_ranges6swap_fINS0_6detail15normal_iteratorINS0_10device_ptrIyEEEENS0_16reverse_iteratorISA_EEEElLj1EEEvT0_T1_SF_
	.p2align	8
	.type	_ZN6thrust23THRUST_200600_302600_NS11hip_rocprim14__parallel_for6kernelILj256ENS1_13__swap_ranges6swap_fINS0_6detail15normal_iteratorINS0_10device_ptrIyEEEENS0_16reverse_iteratorISA_EEEElLj1EEEvT0_T1_SF_,@function
_ZN6thrust23THRUST_200600_302600_NS11hip_rocprim14__parallel_for6kernelILj256ENS1_13__swap_ranges6swap_fINS0_6detail15normal_iteratorINS0_10device_ptrIyEEEENS0_16reverse_iteratorISA_EEEElLj1EEEvT0_T1_SF_: ; @_ZN6thrust23THRUST_200600_302600_NS11hip_rocprim14__parallel_for6kernelILj256ENS1_13__swap_ranges6swap_fINS0_6detail15normal_iteratorINS0_10device_ptrIyEEEENS0_16reverse_iteratorISA_EEEElLj1EEEvT0_T1_SF_
; %bb.0:
	s_load_dwordx8 s[4:11], s[0:1], 0x0
	s_lshl_b32 s0, s2, 8
	v_mov_b64_e32 v[2:3], 0x100
	s_waitcnt lgkmcnt(0)
	s_add_u32 s0, s0, s10
	s_addc_u32 s1, 0, s11
	s_sub_u32 s2, s8, s0
	s_subb_u32 s3, s9, s1
	v_cmp_lt_i64_e32 vcc, s[2:3], v[2:3]
	s_and_b64 s[8:9], vcc, exec
	s_cselect_b32 s8, s2, 0x100
	s_cmpk_lg_i32 s8, 0x100
	s_mov_b64 s[2:3], -1
	s_cbranch_scc1 .LBB2036_3
; %bb.1:
	s_andn2_b64 vcc, exec, s[2:3]
	s_cbranch_vccz .LBB2036_6
.LBB2036_2:
	s_endpgm
.LBB2036_3:
	v_cmp_gt_u32_e32 vcc, s8, v0
	s_and_saveexec_b64 s[2:3], vcc
	s_cbranch_execz .LBB2036_5
; %bb.4:
	v_mov_b32_e32 v1, 0
	v_lshl_add_u64 v[2:3], s[0:1], 0, v[0:1]
	v_lshlrev_b64 v[2:3], 3, v[2:3]
	v_mov_b32_e32 v1, s7
	v_sub_co_u32_e32 v4, vcc, s6, v2
	s_nop 1
	v_subb_co_u32_e32 v1, vcc, v1, v3, vcc
	v_add_co_u32_e32 v4, vcc, -8, v4
	v_lshl_add_u64 v[2:3], s[4:5], 0, v[2:3]
	s_nop 0
	v_addc_co_u32_e32 v5, vcc, -1, v1, vcc
	flat_load_dwordx2 v[6:7], v[4:5]
	flat_load_dwordx2 v[8:9], v[2:3]
	s_waitcnt vmcnt(0) lgkmcnt(0)
	flat_store_dwordx2 v[2:3], v[6:7]
	flat_store_dwordx2 v[4:5], v[8:9]
.LBB2036_5:
	s_or_b64 exec, exec, s[2:3]
	s_cbranch_execnz .LBB2036_2
.LBB2036_6:
	v_mov_b32_e32 v1, 0
	v_lshl_add_u64 v[0:1], s[0:1], 0, v[0:1]
	v_lshlrev_b64 v[0:1], 3, v[0:1]
	v_lshl_add_u64 v[2:3], s[4:5], 0, v[0:1]
	v_mov_b32_e32 v4, s7
	v_sub_co_u32_e32 v0, vcc, s6, v0
	s_nop 1
	v_subb_co_u32_e32 v1, vcc, v4, v1, vcc
	v_add_co_u32_e32 v0, vcc, -8, v0
	s_nop 1
	v_addc_co_u32_e32 v1, vcc, -1, v1, vcc
	flat_load_dwordx2 v[4:5], v[0:1]
	flat_load_dwordx2 v[6:7], v[2:3]
	s_waitcnt vmcnt(0) lgkmcnt(0)
	flat_store_dwordx2 v[2:3], v[4:5]
	flat_store_dwordx2 v[0:1], v[6:7]
	s_endpgm
	.section	.rodata,"a",@progbits
	.p2align	6, 0x0
	.amdhsa_kernel _ZN6thrust23THRUST_200600_302600_NS11hip_rocprim14__parallel_for6kernelILj256ENS1_13__swap_ranges6swap_fINS0_6detail15normal_iteratorINS0_10device_ptrIyEEEENS0_16reverse_iteratorISA_EEEElLj1EEEvT0_T1_SF_
		.amdhsa_group_segment_fixed_size 0
		.amdhsa_private_segment_fixed_size 0
		.amdhsa_kernarg_size 32
		.amdhsa_user_sgpr_count 2
		.amdhsa_user_sgpr_dispatch_ptr 0
		.amdhsa_user_sgpr_queue_ptr 0
		.amdhsa_user_sgpr_kernarg_segment_ptr 1
		.amdhsa_user_sgpr_dispatch_id 0
		.amdhsa_user_sgpr_kernarg_preload_length 0
		.amdhsa_user_sgpr_kernarg_preload_offset 0
		.amdhsa_user_sgpr_private_segment_size 0
		.amdhsa_uses_dynamic_stack 0
		.amdhsa_enable_private_segment 0
		.amdhsa_system_sgpr_workgroup_id_x 1
		.amdhsa_system_sgpr_workgroup_id_y 0
		.amdhsa_system_sgpr_workgroup_id_z 0
		.amdhsa_system_sgpr_workgroup_info 0
		.amdhsa_system_vgpr_workitem_id 0
		.amdhsa_next_free_vgpr 10
		.amdhsa_next_free_sgpr 12
		.amdhsa_accum_offset 12
		.amdhsa_reserve_vcc 1
		.amdhsa_float_round_mode_32 0
		.amdhsa_float_round_mode_16_64 0
		.amdhsa_float_denorm_mode_32 3
		.amdhsa_float_denorm_mode_16_64 3
		.amdhsa_dx10_clamp 1
		.amdhsa_ieee_mode 1
		.amdhsa_fp16_overflow 0
		.amdhsa_tg_split 0
		.amdhsa_exception_fp_ieee_invalid_op 0
		.amdhsa_exception_fp_denorm_src 0
		.amdhsa_exception_fp_ieee_div_zero 0
		.amdhsa_exception_fp_ieee_overflow 0
		.amdhsa_exception_fp_ieee_underflow 0
		.amdhsa_exception_fp_ieee_inexact 0
		.amdhsa_exception_int_div_zero 0
	.end_amdhsa_kernel
	.section	.text._ZN6thrust23THRUST_200600_302600_NS11hip_rocprim14__parallel_for6kernelILj256ENS1_13__swap_ranges6swap_fINS0_6detail15normal_iteratorINS0_10device_ptrIyEEEENS0_16reverse_iteratorISA_EEEElLj1EEEvT0_T1_SF_,"axG",@progbits,_ZN6thrust23THRUST_200600_302600_NS11hip_rocprim14__parallel_for6kernelILj256ENS1_13__swap_ranges6swap_fINS0_6detail15normal_iteratorINS0_10device_ptrIyEEEENS0_16reverse_iteratorISA_EEEElLj1EEEvT0_T1_SF_,comdat
.Lfunc_end2036:
	.size	_ZN6thrust23THRUST_200600_302600_NS11hip_rocprim14__parallel_for6kernelILj256ENS1_13__swap_ranges6swap_fINS0_6detail15normal_iteratorINS0_10device_ptrIyEEEENS0_16reverse_iteratorISA_EEEElLj1EEEvT0_T1_SF_, .Lfunc_end2036-_ZN6thrust23THRUST_200600_302600_NS11hip_rocprim14__parallel_for6kernelILj256ENS1_13__swap_ranges6swap_fINS0_6detail15normal_iteratorINS0_10device_ptrIyEEEENS0_16reverse_iteratorISA_EEEElLj1EEEvT0_T1_SF_
                                        ; -- End function
	.section	.AMDGPU.csdata,"",@progbits
; Kernel info:
; codeLenInByte = 288
; NumSgprs: 18
; NumVgprs: 10
; NumAgprs: 0
; TotalNumVgprs: 10
; ScratchSize: 0
; MemoryBound: 0
; FloatMode: 240
; IeeeMode: 1
; LDSByteSize: 0 bytes/workgroup (compile time only)
; SGPRBlocks: 2
; VGPRBlocks: 1
; NumSGPRsForWavesPerEU: 18
; NumVGPRsForWavesPerEU: 10
; AccumOffset: 12
; Occupancy: 8
; WaveLimiterHint : 0
; COMPUTE_PGM_RSRC2:SCRATCH_EN: 0
; COMPUTE_PGM_RSRC2:USER_SGPR: 2
; COMPUTE_PGM_RSRC2:TRAP_HANDLER: 0
; COMPUTE_PGM_RSRC2:TGID_X_EN: 1
; COMPUTE_PGM_RSRC2:TGID_Y_EN: 0
; COMPUTE_PGM_RSRC2:TGID_Z_EN: 0
; COMPUTE_PGM_RSRC2:TIDIG_COMP_CNT: 0
; COMPUTE_PGM_RSRC3_GFX90A:ACCUM_OFFSET: 2
; COMPUTE_PGM_RSRC3_GFX90A:TG_SPLIT: 0
	.section	.text._ZN7rocprim17ROCPRIM_400000_NS6detail17trampoline_kernelINS0_14default_configENS1_25partition_config_selectorILNS1_17partition_subalgoE2EjNS0_10empty_typeEbEEZZNS1_14partition_implILS5_2ELb0ES3_jN6thrust23THRUST_200600_302600_NS6detail15normal_iteratorINSA_7pointerIjNSA_11hip_rocprim3tagENSA_11use_defaultESG_EEEEPS6_NSA_18transform_iteratorI7is_evenIjENSC_INSA_10device_ptrIjEEEESG_SG_EENS0_5tupleIJPjSJ_EEENSR_IJSJ_SJ_EEES6_PlJS6_EEE10hipError_tPvRmT3_T4_T5_T6_T7_T9_mT8_P12ihipStream_tbDpT10_ENKUlT_T0_E_clISt17integral_constantIbLb0EES1F_EEDaS1A_S1B_EUlS1A_E_NS1_11comp_targetILNS1_3genE0ELNS1_11target_archE4294967295ELNS1_3gpuE0ELNS1_3repE0EEENS1_30default_config_static_selectorELNS0_4arch9wavefront6targetE1EEEvT1_,"axG",@progbits,_ZN7rocprim17ROCPRIM_400000_NS6detail17trampoline_kernelINS0_14default_configENS1_25partition_config_selectorILNS1_17partition_subalgoE2EjNS0_10empty_typeEbEEZZNS1_14partition_implILS5_2ELb0ES3_jN6thrust23THRUST_200600_302600_NS6detail15normal_iteratorINSA_7pointerIjNSA_11hip_rocprim3tagENSA_11use_defaultESG_EEEEPS6_NSA_18transform_iteratorI7is_evenIjENSC_INSA_10device_ptrIjEEEESG_SG_EENS0_5tupleIJPjSJ_EEENSR_IJSJ_SJ_EEES6_PlJS6_EEE10hipError_tPvRmT3_T4_T5_T6_T7_T9_mT8_P12ihipStream_tbDpT10_ENKUlT_T0_E_clISt17integral_constantIbLb0EES1F_EEDaS1A_S1B_EUlS1A_E_NS1_11comp_targetILNS1_3genE0ELNS1_11target_archE4294967295ELNS1_3gpuE0ELNS1_3repE0EEENS1_30default_config_static_selectorELNS0_4arch9wavefront6targetE1EEEvT1_,comdat
	.protected	_ZN7rocprim17ROCPRIM_400000_NS6detail17trampoline_kernelINS0_14default_configENS1_25partition_config_selectorILNS1_17partition_subalgoE2EjNS0_10empty_typeEbEEZZNS1_14partition_implILS5_2ELb0ES3_jN6thrust23THRUST_200600_302600_NS6detail15normal_iteratorINSA_7pointerIjNSA_11hip_rocprim3tagENSA_11use_defaultESG_EEEEPS6_NSA_18transform_iteratorI7is_evenIjENSC_INSA_10device_ptrIjEEEESG_SG_EENS0_5tupleIJPjSJ_EEENSR_IJSJ_SJ_EEES6_PlJS6_EEE10hipError_tPvRmT3_T4_T5_T6_T7_T9_mT8_P12ihipStream_tbDpT10_ENKUlT_T0_E_clISt17integral_constantIbLb0EES1F_EEDaS1A_S1B_EUlS1A_E_NS1_11comp_targetILNS1_3genE0ELNS1_11target_archE4294967295ELNS1_3gpuE0ELNS1_3repE0EEENS1_30default_config_static_selectorELNS0_4arch9wavefront6targetE1EEEvT1_ ; -- Begin function _ZN7rocprim17ROCPRIM_400000_NS6detail17trampoline_kernelINS0_14default_configENS1_25partition_config_selectorILNS1_17partition_subalgoE2EjNS0_10empty_typeEbEEZZNS1_14partition_implILS5_2ELb0ES3_jN6thrust23THRUST_200600_302600_NS6detail15normal_iteratorINSA_7pointerIjNSA_11hip_rocprim3tagENSA_11use_defaultESG_EEEEPS6_NSA_18transform_iteratorI7is_evenIjENSC_INSA_10device_ptrIjEEEESG_SG_EENS0_5tupleIJPjSJ_EEENSR_IJSJ_SJ_EEES6_PlJS6_EEE10hipError_tPvRmT3_T4_T5_T6_T7_T9_mT8_P12ihipStream_tbDpT10_ENKUlT_T0_E_clISt17integral_constantIbLb0EES1F_EEDaS1A_S1B_EUlS1A_E_NS1_11comp_targetILNS1_3genE0ELNS1_11target_archE4294967295ELNS1_3gpuE0ELNS1_3repE0EEENS1_30default_config_static_selectorELNS0_4arch9wavefront6targetE1EEEvT1_
	.globl	_ZN7rocprim17ROCPRIM_400000_NS6detail17trampoline_kernelINS0_14default_configENS1_25partition_config_selectorILNS1_17partition_subalgoE2EjNS0_10empty_typeEbEEZZNS1_14partition_implILS5_2ELb0ES3_jN6thrust23THRUST_200600_302600_NS6detail15normal_iteratorINSA_7pointerIjNSA_11hip_rocprim3tagENSA_11use_defaultESG_EEEEPS6_NSA_18transform_iteratorI7is_evenIjENSC_INSA_10device_ptrIjEEEESG_SG_EENS0_5tupleIJPjSJ_EEENSR_IJSJ_SJ_EEES6_PlJS6_EEE10hipError_tPvRmT3_T4_T5_T6_T7_T9_mT8_P12ihipStream_tbDpT10_ENKUlT_T0_E_clISt17integral_constantIbLb0EES1F_EEDaS1A_S1B_EUlS1A_E_NS1_11comp_targetILNS1_3genE0ELNS1_11target_archE4294967295ELNS1_3gpuE0ELNS1_3repE0EEENS1_30default_config_static_selectorELNS0_4arch9wavefront6targetE1EEEvT1_
	.p2align	8
	.type	_ZN7rocprim17ROCPRIM_400000_NS6detail17trampoline_kernelINS0_14default_configENS1_25partition_config_selectorILNS1_17partition_subalgoE2EjNS0_10empty_typeEbEEZZNS1_14partition_implILS5_2ELb0ES3_jN6thrust23THRUST_200600_302600_NS6detail15normal_iteratorINSA_7pointerIjNSA_11hip_rocprim3tagENSA_11use_defaultESG_EEEEPS6_NSA_18transform_iteratorI7is_evenIjENSC_INSA_10device_ptrIjEEEESG_SG_EENS0_5tupleIJPjSJ_EEENSR_IJSJ_SJ_EEES6_PlJS6_EEE10hipError_tPvRmT3_T4_T5_T6_T7_T9_mT8_P12ihipStream_tbDpT10_ENKUlT_T0_E_clISt17integral_constantIbLb0EES1F_EEDaS1A_S1B_EUlS1A_E_NS1_11comp_targetILNS1_3genE0ELNS1_11target_archE4294967295ELNS1_3gpuE0ELNS1_3repE0EEENS1_30default_config_static_selectorELNS0_4arch9wavefront6targetE1EEEvT1_,@function
_ZN7rocprim17ROCPRIM_400000_NS6detail17trampoline_kernelINS0_14default_configENS1_25partition_config_selectorILNS1_17partition_subalgoE2EjNS0_10empty_typeEbEEZZNS1_14partition_implILS5_2ELb0ES3_jN6thrust23THRUST_200600_302600_NS6detail15normal_iteratorINSA_7pointerIjNSA_11hip_rocprim3tagENSA_11use_defaultESG_EEEEPS6_NSA_18transform_iteratorI7is_evenIjENSC_INSA_10device_ptrIjEEEESG_SG_EENS0_5tupleIJPjSJ_EEENSR_IJSJ_SJ_EEES6_PlJS6_EEE10hipError_tPvRmT3_T4_T5_T6_T7_T9_mT8_P12ihipStream_tbDpT10_ENKUlT_T0_E_clISt17integral_constantIbLb0EES1F_EEDaS1A_S1B_EUlS1A_E_NS1_11comp_targetILNS1_3genE0ELNS1_11target_archE4294967295ELNS1_3gpuE0ELNS1_3repE0EEENS1_30default_config_static_selectorELNS0_4arch9wavefront6targetE1EEEvT1_: ; @_ZN7rocprim17ROCPRIM_400000_NS6detail17trampoline_kernelINS0_14default_configENS1_25partition_config_selectorILNS1_17partition_subalgoE2EjNS0_10empty_typeEbEEZZNS1_14partition_implILS5_2ELb0ES3_jN6thrust23THRUST_200600_302600_NS6detail15normal_iteratorINSA_7pointerIjNSA_11hip_rocprim3tagENSA_11use_defaultESG_EEEEPS6_NSA_18transform_iteratorI7is_evenIjENSC_INSA_10device_ptrIjEEEESG_SG_EENS0_5tupleIJPjSJ_EEENSR_IJSJ_SJ_EEES6_PlJS6_EEE10hipError_tPvRmT3_T4_T5_T6_T7_T9_mT8_P12ihipStream_tbDpT10_ENKUlT_T0_E_clISt17integral_constantIbLb0EES1F_EEDaS1A_S1B_EUlS1A_E_NS1_11comp_targetILNS1_3genE0ELNS1_11target_archE4294967295ELNS1_3gpuE0ELNS1_3repE0EEENS1_30default_config_static_selectorELNS0_4arch9wavefront6targetE1EEEvT1_
; %bb.0:
	.section	.rodata,"a",@progbits
	.p2align	6, 0x0
	.amdhsa_kernel _ZN7rocprim17ROCPRIM_400000_NS6detail17trampoline_kernelINS0_14default_configENS1_25partition_config_selectorILNS1_17partition_subalgoE2EjNS0_10empty_typeEbEEZZNS1_14partition_implILS5_2ELb0ES3_jN6thrust23THRUST_200600_302600_NS6detail15normal_iteratorINSA_7pointerIjNSA_11hip_rocprim3tagENSA_11use_defaultESG_EEEEPS6_NSA_18transform_iteratorI7is_evenIjENSC_INSA_10device_ptrIjEEEESG_SG_EENS0_5tupleIJPjSJ_EEENSR_IJSJ_SJ_EEES6_PlJS6_EEE10hipError_tPvRmT3_T4_T5_T6_T7_T9_mT8_P12ihipStream_tbDpT10_ENKUlT_T0_E_clISt17integral_constantIbLb0EES1F_EEDaS1A_S1B_EUlS1A_E_NS1_11comp_targetILNS1_3genE0ELNS1_11target_archE4294967295ELNS1_3gpuE0ELNS1_3repE0EEENS1_30default_config_static_selectorELNS0_4arch9wavefront6targetE1EEEvT1_
		.amdhsa_group_segment_fixed_size 0
		.amdhsa_private_segment_fixed_size 0
		.amdhsa_kernarg_size 128
		.amdhsa_user_sgpr_count 2
		.amdhsa_user_sgpr_dispatch_ptr 0
		.amdhsa_user_sgpr_queue_ptr 0
		.amdhsa_user_sgpr_kernarg_segment_ptr 1
		.amdhsa_user_sgpr_dispatch_id 0
		.amdhsa_user_sgpr_kernarg_preload_length 0
		.amdhsa_user_sgpr_kernarg_preload_offset 0
		.amdhsa_user_sgpr_private_segment_size 0
		.amdhsa_uses_dynamic_stack 0
		.amdhsa_enable_private_segment 0
		.amdhsa_system_sgpr_workgroup_id_x 1
		.amdhsa_system_sgpr_workgroup_id_y 0
		.amdhsa_system_sgpr_workgroup_id_z 0
		.amdhsa_system_sgpr_workgroup_info 0
		.amdhsa_system_vgpr_workitem_id 0
		.amdhsa_next_free_vgpr 1
		.amdhsa_next_free_sgpr 0
		.amdhsa_accum_offset 4
		.amdhsa_reserve_vcc 0
		.amdhsa_float_round_mode_32 0
		.amdhsa_float_round_mode_16_64 0
		.amdhsa_float_denorm_mode_32 3
		.amdhsa_float_denorm_mode_16_64 3
		.amdhsa_dx10_clamp 1
		.amdhsa_ieee_mode 1
		.amdhsa_fp16_overflow 0
		.amdhsa_tg_split 0
		.amdhsa_exception_fp_ieee_invalid_op 0
		.amdhsa_exception_fp_denorm_src 0
		.amdhsa_exception_fp_ieee_div_zero 0
		.amdhsa_exception_fp_ieee_overflow 0
		.amdhsa_exception_fp_ieee_underflow 0
		.amdhsa_exception_fp_ieee_inexact 0
		.amdhsa_exception_int_div_zero 0
	.end_amdhsa_kernel
	.section	.text._ZN7rocprim17ROCPRIM_400000_NS6detail17trampoline_kernelINS0_14default_configENS1_25partition_config_selectorILNS1_17partition_subalgoE2EjNS0_10empty_typeEbEEZZNS1_14partition_implILS5_2ELb0ES3_jN6thrust23THRUST_200600_302600_NS6detail15normal_iteratorINSA_7pointerIjNSA_11hip_rocprim3tagENSA_11use_defaultESG_EEEEPS6_NSA_18transform_iteratorI7is_evenIjENSC_INSA_10device_ptrIjEEEESG_SG_EENS0_5tupleIJPjSJ_EEENSR_IJSJ_SJ_EEES6_PlJS6_EEE10hipError_tPvRmT3_T4_T5_T6_T7_T9_mT8_P12ihipStream_tbDpT10_ENKUlT_T0_E_clISt17integral_constantIbLb0EES1F_EEDaS1A_S1B_EUlS1A_E_NS1_11comp_targetILNS1_3genE0ELNS1_11target_archE4294967295ELNS1_3gpuE0ELNS1_3repE0EEENS1_30default_config_static_selectorELNS0_4arch9wavefront6targetE1EEEvT1_,"axG",@progbits,_ZN7rocprim17ROCPRIM_400000_NS6detail17trampoline_kernelINS0_14default_configENS1_25partition_config_selectorILNS1_17partition_subalgoE2EjNS0_10empty_typeEbEEZZNS1_14partition_implILS5_2ELb0ES3_jN6thrust23THRUST_200600_302600_NS6detail15normal_iteratorINSA_7pointerIjNSA_11hip_rocprim3tagENSA_11use_defaultESG_EEEEPS6_NSA_18transform_iteratorI7is_evenIjENSC_INSA_10device_ptrIjEEEESG_SG_EENS0_5tupleIJPjSJ_EEENSR_IJSJ_SJ_EEES6_PlJS6_EEE10hipError_tPvRmT3_T4_T5_T6_T7_T9_mT8_P12ihipStream_tbDpT10_ENKUlT_T0_E_clISt17integral_constantIbLb0EES1F_EEDaS1A_S1B_EUlS1A_E_NS1_11comp_targetILNS1_3genE0ELNS1_11target_archE4294967295ELNS1_3gpuE0ELNS1_3repE0EEENS1_30default_config_static_selectorELNS0_4arch9wavefront6targetE1EEEvT1_,comdat
.Lfunc_end2037:
	.size	_ZN7rocprim17ROCPRIM_400000_NS6detail17trampoline_kernelINS0_14default_configENS1_25partition_config_selectorILNS1_17partition_subalgoE2EjNS0_10empty_typeEbEEZZNS1_14partition_implILS5_2ELb0ES3_jN6thrust23THRUST_200600_302600_NS6detail15normal_iteratorINSA_7pointerIjNSA_11hip_rocprim3tagENSA_11use_defaultESG_EEEEPS6_NSA_18transform_iteratorI7is_evenIjENSC_INSA_10device_ptrIjEEEESG_SG_EENS0_5tupleIJPjSJ_EEENSR_IJSJ_SJ_EEES6_PlJS6_EEE10hipError_tPvRmT3_T4_T5_T6_T7_T9_mT8_P12ihipStream_tbDpT10_ENKUlT_T0_E_clISt17integral_constantIbLb0EES1F_EEDaS1A_S1B_EUlS1A_E_NS1_11comp_targetILNS1_3genE0ELNS1_11target_archE4294967295ELNS1_3gpuE0ELNS1_3repE0EEENS1_30default_config_static_selectorELNS0_4arch9wavefront6targetE1EEEvT1_, .Lfunc_end2037-_ZN7rocprim17ROCPRIM_400000_NS6detail17trampoline_kernelINS0_14default_configENS1_25partition_config_selectorILNS1_17partition_subalgoE2EjNS0_10empty_typeEbEEZZNS1_14partition_implILS5_2ELb0ES3_jN6thrust23THRUST_200600_302600_NS6detail15normal_iteratorINSA_7pointerIjNSA_11hip_rocprim3tagENSA_11use_defaultESG_EEEEPS6_NSA_18transform_iteratorI7is_evenIjENSC_INSA_10device_ptrIjEEEESG_SG_EENS0_5tupleIJPjSJ_EEENSR_IJSJ_SJ_EEES6_PlJS6_EEE10hipError_tPvRmT3_T4_T5_T6_T7_T9_mT8_P12ihipStream_tbDpT10_ENKUlT_T0_E_clISt17integral_constantIbLb0EES1F_EEDaS1A_S1B_EUlS1A_E_NS1_11comp_targetILNS1_3genE0ELNS1_11target_archE4294967295ELNS1_3gpuE0ELNS1_3repE0EEENS1_30default_config_static_selectorELNS0_4arch9wavefront6targetE1EEEvT1_
                                        ; -- End function
	.section	.AMDGPU.csdata,"",@progbits
; Kernel info:
; codeLenInByte = 0
; NumSgprs: 6
; NumVgprs: 0
; NumAgprs: 0
; TotalNumVgprs: 0
; ScratchSize: 0
; MemoryBound: 0
; FloatMode: 240
; IeeeMode: 1
; LDSByteSize: 0 bytes/workgroup (compile time only)
; SGPRBlocks: 0
; VGPRBlocks: 0
; NumSGPRsForWavesPerEU: 6
; NumVGPRsForWavesPerEU: 1
; AccumOffset: 4
; Occupancy: 8
; WaveLimiterHint : 0
; COMPUTE_PGM_RSRC2:SCRATCH_EN: 0
; COMPUTE_PGM_RSRC2:USER_SGPR: 2
; COMPUTE_PGM_RSRC2:TRAP_HANDLER: 0
; COMPUTE_PGM_RSRC2:TGID_X_EN: 1
; COMPUTE_PGM_RSRC2:TGID_Y_EN: 0
; COMPUTE_PGM_RSRC2:TGID_Z_EN: 0
; COMPUTE_PGM_RSRC2:TIDIG_COMP_CNT: 0
; COMPUTE_PGM_RSRC3_GFX90A:ACCUM_OFFSET: 0
; COMPUTE_PGM_RSRC3_GFX90A:TG_SPLIT: 0
	.section	.text._ZN7rocprim17ROCPRIM_400000_NS6detail17trampoline_kernelINS0_14default_configENS1_25partition_config_selectorILNS1_17partition_subalgoE2EjNS0_10empty_typeEbEEZZNS1_14partition_implILS5_2ELb0ES3_jN6thrust23THRUST_200600_302600_NS6detail15normal_iteratorINSA_7pointerIjNSA_11hip_rocprim3tagENSA_11use_defaultESG_EEEEPS6_NSA_18transform_iteratorI7is_evenIjENSC_INSA_10device_ptrIjEEEESG_SG_EENS0_5tupleIJPjSJ_EEENSR_IJSJ_SJ_EEES6_PlJS6_EEE10hipError_tPvRmT3_T4_T5_T6_T7_T9_mT8_P12ihipStream_tbDpT10_ENKUlT_T0_E_clISt17integral_constantIbLb0EES1F_EEDaS1A_S1B_EUlS1A_E_NS1_11comp_targetILNS1_3genE5ELNS1_11target_archE942ELNS1_3gpuE9ELNS1_3repE0EEENS1_30default_config_static_selectorELNS0_4arch9wavefront6targetE1EEEvT1_,"axG",@progbits,_ZN7rocprim17ROCPRIM_400000_NS6detail17trampoline_kernelINS0_14default_configENS1_25partition_config_selectorILNS1_17partition_subalgoE2EjNS0_10empty_typeEbEEZZNS1_14partition_implILS5_2ELb0ES3_jN6thrust23THRUST_200600_302600_NS6detail15normal_iteratorINSA_7pointerIjNSA_11hip_rocprim3tagENSA_11use_defaultESG_EEEEPS6_NSA_18transform_iteratorI7is_evenIjENSC_INSA_10device_ptrIjEEEESG_SG_EENS0_5tupleIJPjSJ_EEENSR_IJSJ_SJ_EEES6_PlJS6_EEE10hipError_tPvRmT3_T4_T5_T6_T7_T9_mT8_P12ihipStream_tbDpT10_ENKUlT_T0_E_clISt17integral_constantIbLb0EES1F_EEDaS1A_S1B_EUlS1A_E_NS1_11comp_targetILNS1_3genE5ELNS1_11target_archE942ELNS1_3gpuE9ELNS1_3repE0EEENS1_30default_config_static_selectorELNS0_4arch9wavefront6targetE1EEEvT1_,comdat
	.protected	_ZN7rocprim17ROCPRIM_400000_NS6detail17trampoline_kernelINS0_14default_configENS1_25partition_config_selectorILNS1_17partition_subalgoE2EjNS0_10empty_typeEbEEZZNS1_14partition_implILS5_2ELb0ES3_jN6thrust23THRUST_200600_302600_NS6detail15normal_iteratorINSA_7pointerIjNSA_11hip_rocprim3tagENSA_11use_defaultESG_EEEEPS6_NSA_18transform_iteratorI7is_evenIjENSC_INSA_10device_ptrIjEEEESG_SG_EENS0_5tupleIJPjSJ_EEENSR_IJSJ_SJ_EEES6_PlJS6_EEE10hipError_tPvRmT3_T4_T5_T6_T7_T9_mT8_P12ihipStream_tbDpT10_ENKUlT_T0_E_clISt17integral_constantIbLb0EES1F_EEDaS1A_S1B_EUlS1A_E_NS1_11comp_targetILNS1_3genE5ELNS1_11target_archE942ELNS1_3gpuE9ELNS1_3repE0EEENS1_30default_config_static_selectorELNS0_4arch9wavefront6targetE1EEEvT1_ ; -- Begin function _ZN7rocprim17ROCPRIM_400000_NS6detail17trampoline_kernelINS0_14default_configENS1_25partition_config_selectorILNS1_17partition_subalgoE2EjNS0_10empty_typeEbEEZZNS1_14partition_implILS5_2ELb0ES3_jN6thrust23THRUST_200600_302600_NS6detail15normal_iteratorINSA_7pointerIjNSA_11hip_rocprim3tagENSA_11use_defaultESG_EEEEPS6_NSA_18transform_iteratorI7is_evenIjENSC_INSA_10device_ptrIjEEEESG_SG_EENS0_5tupleIJPjSJ_EEENSR_IJSJ_SJ_EEES6_PlJS6_EEE10hipError_tPvRmT3_T4_T5_T6_T7_T9_mT8_P12ihipStream_tbDpT10_ENKUlT_T0_E_clISt17integral_constantIbLb0EES1F_EEDaS1A_S1B_EUlS1A_E_NS1_11comp_targetILNS1_3genE5ELNS1_11target_archE942ELNS1_3gpuE9ELNS1_3repE0EEENS1_30default_config_static_selectorELNS0_4arch9wavefront6targetE1EEEvT1_
	.globl	_ZN7rocprim17ROCPRIM_400000_NS6detail17trampoline_kernelINS0_14default_configENS1_25partition_config_selectorILNS1_17partition_subalgoE2EjNS0_10empty_typeEbEEZZNS1_14partition_implILS5_2ELb0ES3_jN6thrust23THRUST_200600_302600_NS6detail15normal_iteratorINSA_7pointerIjNSA_11hip_rocprim3tagENSA_11use_defaultESG_EEEEPS6_NSA_18transform_iteratorI7is_evenIjENSC_INSA_10device_ptrIjEEEESG_SG_EENS0_5tupleIJPjSJ_EEENSR_IJSJ_SJ_EEES6_PlJS6_EEE10hipError_tPvRmT3_T4_T5_T6_T7_T9_mT8_P12ihipStream_tbDpT10_ENKUlT_T0_E_clISt17integral_constantIbLb0EES1F_EEDaS1A_S1B_EUlS1A_E_NS1_11comp_targetILNS1_3genE5ELNS1_11target_archE942ELNS1_3gpuE9ELNS1_3repE0EEENS1_30default_config_static_selectorELNS0_4arch9wavefront6targetE1EEEvT1_
	.p2align	8
	.type	_ZN7rocprim17ROCPRIM_400000_NS6detail17trampoline_kernelINS0_14default_configENS1_25partition_config_selectorILNS1_17partition_subalgoE2EjNS0_10empty_typeEbEEZZNS1_14partition_implILS5_2ELb0ES3_jN6thrust23THRUST_200600_302600_NS6detail15normal_iteratorINSA_7pointerIjNSA_11hip_rocprim3tagENSA_11use_defaultESG_EEEEPS6_NSA_18transform_iteratorI7is_evenIjENSC_INSA_10device_ptrIjEEEESG_SG_EENS0_5tupleIJPjSJ_EEENSR_IJSJ_SJ_EEES6_PlJS6_EEE10hipError_tPvRmT3_T4_T5_T6_T7_T9_mT8_P12ihipStream_tbDpT10_ENKUlT_T0_E_clISt17integral_constantIbLb0EES1F_EEDaS1A_S1B_EUlS1A_E_NS1_11comp_targetILNS1_3genE5ELNS1_11target_archE942ELNS1_3gpuE9ELNS1_3repE0EEENS1_30default_config_static_selectorELNS0_4arch9wavefront6targetE1EEEvT1_,@function
_ZN7rocprim17ROCPRIM_400000_NS6detail17trampoline_kernelINS0_14default_configENS1_25partition_config_selectorILNS1_17partition_subalgoE2EjNS0_10empty_typeEbEEZZNS1_14partition_implILS5_2ELb0ES3_jN6thrust23THRUST_200600_302600_NS6detail15normal_iteratorINSA_7pointerIjNSA_11hip_rocprim3tagENSA_11use_defaultESG_EEEEPS6_NSA_18transform_iteratorI7is_evenIjENSC_INSA_10device_ptrIjEEEESG_SG_EENS0_5tupleIJPjSJ_EEENSR_IJSJ_SJ_EEES6_PlJS6_EEE10hipError_tPvRmT3_T4_T5_T6_T7_T9_mT8_P12ihipStream_tbDpT10_ENKUlT_T0_E_clISt17integral_constantIbLb0EES1F_EEDaS1A_S1B_EUlS1A_E_NS1_11comp_targetILNS1_3genE5ELNS1_11target_archE942ELNS1_3gpuE9ELNS1_3repE0EEENS1_30default_config_static_selectorELNS0_4arch9wavefront6targetE1EEEvT1_: ; @_ZN7rocprim17ROCPRIM_400000_NS6detail17trampoline_kernelINS0_14default_configENS1_25partition_config_selectorILNS1_17partition_subalgoE2EjNS0_10empty_typeEbEEZZNS1_14partition_implILS5_2ELb0ES3_jN6thrust23THRUST_200600_302600_NS6detail15normal_iteratorINSA_7pointerIjNSA_11hip_rocprim3tagENSA_11use_defaultESG_EEEEPS6_NSA_18transform_iteratorI7is_evenIjENSC_INSA_10device_ptrIjEEEESG_SG_EENS0_5tupleIJPjSJ_EEENSR_IJSJ_SJ_EEES6_PlJS6_EEE10hipError_tPvRmT3_T4_T5_T6_T7_T9_mT8_P12ihipStream_tbDpT10_ENKUlT_T0_E_clISt17integral_constantIbLb0EES1F_EEDaS1A_S1B_EUlS1A_E_NS1_11comp_targetILNS1_3genE5ELNS1_11target_archE942ELNS1_3gpuE9ELNS1_3repE0EEENS1_30default_config_static_selectorELNS0_4arch9wavefront6targetE1EEEvT1_
; %bb.0:
	s_load_dwordx4 s[24:27], s[0:1], 0x8
	s_load_dwordx2 s[6:7], s[0:1], 0x20
	s_load_dwordx2 s[28:29], s[0:1], 0x60
	s_load_dwordx4 s[20:23], s[0:1], 0x50
	s_load_dword s3, s[0:1], 0x78
	s_waitcnt lgkmcnt(0)
	s_lshl_b64 s[8:9], s[26:27], 2
	s_add_u32 s12, s24, s8
	s_addc_u32 s13, s25, s9
	s_load_dwordx2 s[30:31], s[22:23], 0x0
	s_add_i32 s10, s3, -1
	s_mulk_i32 s3, 0x1e00
	s_add_i32 s4, s3, s26
	s_sub_i32 s33, s28, s4
	s_addk_i32 s33, 0x1e00
	s_add_u32 s4, s26, s3
	s_addc_u32 s5, s27, 0
	s_cmp_eq_u32 s2, s10
	v_mov_b64_e32 v[2:3], s[28:29]
	s_cselect_b64 s[22:23], -1, 0
	s_cmp_lg_u32 s2, s10
	s_mul_i32 s24, s2, 0x1e00
	s_mov_b32 s25, 0
	v_cmp_lt_u64_e32 vcc, s[4:5], v[2:3]
	s_cselect_b64 s[4:5], -1, 0
	s_or_b64 s[34:35], s[4:5], vcc
	s_lshl_b64 s[10:11], s[24:25], 2
	s_add_u32 s12, s12, s10
	s_addc_u32 s13, s13, s11
	s_mov_b64 s[4:5], -1
	s_and_b64 vcc, exec, s[34:35]
	v_lshlrev_b32_e32 v22, 2, v0
	s_cbranch_vccz .LBB2038_2
; %bb.1:
	v_mov_b32_e32 v23, 0
	v_lshl_add_u64 v[2:3], s[12:13], 0, v[22:23]
	v_add_co_u32_e32 v4, vcc, 0x1000, v2
	s_mov_b64 s[4:5], 0
	s_nop 0
	v_addc_co_u32_e32 v5, vcc, 0, v3, vcc
	v_add_co_u32_e32 v6, vcc, 0x2000, v2
	s_nop 1
	v_addc_co_u32_e32 v7, vcc, 0, v3, vcc
	v_add_co_u32_e32 v8, vcc, 0x3000, v2
	s_nop 1
	v_addc_co_u32_e32 v9, vcc, 0, v3, vcc
	flat_load_dword v1, v[2:3]
	flat_load_dword v10, v[2:3] offset:2048
	flat_load_dword v11, v[4:5]
	flat_load_dword v12, v[4:5] offset:2048
	;; [unrolled: 2-line block ×4, first 2 shown]
	v_add_co_u32_e32 v4, vcc, 0x4000, v2
	s_nop 1
	v_addc_co_u32_e32 v5, vcc, 0, v3, vcc
	v_add_co_u32_e32 v6, vcc, 0x5000, v2
	s_nop 1
	v_addc_co_u32_e32 v7, vcc, 0, v3, vcc
	;; [unrolled: 3-line block ×4, first 2 shown]
	flat_load_dword v17, v[4:5]
	flat_load_dword v18, v[4:5] offset:2048
	flat_load_dword v19, v[6:7]
	flat_load_dword v20, v[6:7] offset:2048
	;; [unrolled: 2-line block ×3, first 2 shown]
	flat_load_dword v24, v[2:3]
	s_waitcnt vmcnt(0) lgkmcnt(0)
	ds_write2st64_b32 v22, v1, v10 offset1:8
	ds_write2st64_b32 v22, v11, v12 offset0:16 offset1:24
	ds_write2st64_b32 v22, v13, v14 offset0:32 offset1:40
	;; [unrolled: 1-line block ×6, first 2 shown]
	ds_write_b32 v22, v24 offset:28672
	s_waitcnt lgkmcnt(0)
	s_barrier
.LBB2038_2:
	s_andn2_b64 vcc, exec, s[4:5]
	v_cmp_gt_u32_e64 s[4:5], s33, v0
	s_cbranch_vccnz .LBB2038_34
; %bb.3:
                                        ; implicit-def: $vgpr2_vgpr3_vgpr4_vgpr5_vgpr6_vgpr7_vgpr8_vgpr9_vgpr10_vgpr11_vgpr12_vgpr13_vgpr14_vgpr15_vgpr16_vgpr17
	s_and_saveexec_b64 s[14:15], s[4:5]
	s_cbranch_execz .LBB2038_5
; %bb.4:
	v_mov_b32_e32 v23, 0
	v_lshl_add_u64 v[2:3], s[12:13], 0, v[22:23]
	flat_load_dword v2, v[2:3]
.LBB2038_5:
	s_or_b64 exec, exec, s[14:15]
	v_or_b32_e32 v1, 0x200, v0
	v_cmp_gt_u32_e32 vcc, s33, v1
	s_and_saveexec_b64 s[4:5], vcc
	s_cbranch_execz .LBB2038_7
; %bb.6:
	v_mov_b32_e32 v23, 0
	v_lshl_add_u64 v[18:19], s[12:13], 0, v[22:23]
	flat_load_dword v3, v[18:19] offset:2048
.LBB2038_7:
	s_or_b64 exec, exec, s[4:5]
	v_or_b32_e32 v1, 0x400, v0
	v_cmp_gt_u32_e32 vcc, s33, v1
	s_and_saveexec_b64 s[4:5], vcc
	s_cbranch_execz .LBB2038_9
; %bb.8:
	v_lshlrev_b32_e32 v18, 2, v1
	v_mov_b32_e32 v19, 0
	v_lshl_add_u64 v[18:19], s[12:13], 0, v[18:19]
	flat_load_dword v4, v[18:19]
.LBB2038_9:
	s_or_b64 exec, exec, s[4:5]
	v_or_b32_e32 v1, 0x600, v0
	v_cmp_gt_u32_e32 vcc, s33, v1
	s_and_saveexec_b64 s[4:5], vcc
	s_cbranch_execz .LBB2038_11
; %bb.10:
	v_lshlrev_b32_e32 v18, 2, v1
	v_mov_b32_e32 v19, 0
	v_lshl_add_u64 v[18:19], s[12:13], 0, v[18:19]
	flat_load_dword v5, v[18:19]
.LBB2038_11:
	;; [unrolled: 11-line block ×13, first 2 shown]
	s_or_b64 exec, exec, s[4:5]
	s_waitcnt vmcnt(0) lgkmcnt(0)
	ds_write2st64_b32 v22, v2, v3 offset1:8
	ds_write2st64_b32 v22, v4, v5 offset0:16 offset1:24
	ds_write2st64_b32 v22, v6, v7 offset0:32 offset1:40
	;; [unrolled: 1-line block ×6, first 2 shown]
	ds_write_b32 v22, v16 offset:28672
	s_waitcnt lgkmcnt(0)
	s_barrier
.LBB2038_34:
	v_mul_u32_u24_e32 v21, 15, v0
	v_lshlrev_b32_e32 v1, 2, v21
	s_waitcnt lgkmcnt(0)
	ds_read2_b32 v[38:39], v1 offset1:1
	ds_read2_b32 v[36:37], v1 offset0:2 offset1:3
	ds_read2_b32 v[34:35], v1 offset0:4 offset1:5
	;; [unrolled: 1-line block ×6, first 2 shown]
	ds_read_b32 v1, v1 offset:56
	s_add_u32 s3, s6, s8
	s_addc_u32 s5, s7, s9
	s_add_u32 s4, s3, s10
	s_addc_u32 s5, s5, s11
	s_mov_b64 s[6:7], -1
	s_and_b64 vcc, exec, s[34:35]
	s_waitcnt lgkmcnt(0)
	s_barrier
	s_cbranch_vccz .LBB2038_36
; %bb.35:
	v_mov_b32_e32 v23, 0
	v_lshl_add_u64 v[2:3], s[4:5], 0, v[22:23]
	v_add_co_u32_e32 v4, vcc, 0x1000, v2
	global_load_dword v10, v22, s[4:5]
	global_load_dword v11, v22, s[4:5] offset:2048
	v_addc_co_u32_e32 v5, vcc, 0, v3, vcc
	v_add_co_u32_e32 v6, vcc, 0x2000, v2
	s_mov_b64 s[6:7], 0
	s_nop 0
	v_addc_co_u32_e32 v7, vcc, 0, v3, vcc
	v_add_co_u32_e32 v8, vcc, 0x3000, v2
	s_nop 1
	v_addc_co_u32_e32 v9, vcc, 0, v3, vcc
	global_load_dword v12, v[4:5], off
	global_load_dword v13, v[4:5], off offset:2048
	global_load_dword v14, v[6:7], off
	global_load_dword v15, v[6:7], off offset:2048
	global_load_dword v16, v[8:9], off
	global_load_dword v17, v[8:9], off offset:2048
	v_add_co_u32_e32 v4, vcc, 0x4000, v2
	s_nop 1
	v_addc_co_u32_e32 v5, vcc, 0, v3, vcc
	global_load_dword v6, v[4:5], off
	global_load_dword v7, v[4:5], off offset:2048
	v_add_co_u32_e32 v4, vcc, 0x5000, v2
	s_waitcnt vmcnt(1)
	v_xor_b32_e32 v6, -1, v6
	v_addc_co_u32_e32 v5, vcc, 0, v3, vcc
	global_load_dword v8, v[4:5], off
	global_load_dword v9, v[4:5], off offset:2048
	v_add_co_u32_e32 v4, vcc, 0x6000, v2
	s_waitcnt vmcnt(2)
	v_xor_b32_e32 v7, -1, v7
	v_addc_co_u32_e32 v5, vcc, 0, v3, vcc
	v_add_co_u32_e32 v2, vcc, 0x7000, v2
	global_load_dword v18, v[4:5], off
	global_load_dword v19, v[4:5], off offset:2048
	v_addc_co_u32_e32 v3, vcc, 0, v3, vcc
	global_load_dword v2, v[2:3], off
	v_xor_b32_e32 v3, -1, v10
	v_xor_b32_e32 v4, -1, v11
	v_and_b32_e32 v3, 1, v3
	v_and_b32_e32 v4, 1, v4
	ds_write_b8 v0, v3
	ds_write_b8 v0, v4 offset:512
	v_xor_b32_e32 v3, -1, v12
	v_xor_b32_e32 v4, -1, v13
	;; [unrolled: 1-line block ×3, first 2 shown]
	v_and_b32_e32 v3, 1, v3
	v_and_b32_e32 v4, 1, v4
	v_xor_b32_e32 v10, -1, v15
	v_and_b32_e32 v5, 1, v5
	v_xor_b32_e32 v11, -1, v16
	v_xor_b32_e32 v12, -1, v17
	v_and_b32_e32 v10, 1, v10
	ds_write_b8 v0, v3 offset:1024
	ds_write_b8 v0, v4 offset:1536
	v_and_b32_e32 v3, 1, v11
	v_and_b32_e32 v4, 1, v12
	ds_write_b8 v0, v5 offset:2048
	ds_write_b8 v0, v10 offset:2560
	v_and_b32_e32 v5, 1, v6
	v_and_b32_e32 v6, 1, v7
	ds_write_b8 v0, v3 offset:3072
	ds_write_b8 v0, v4 offset:3584
	;; [unrolled: 1-line block ×4, first 2 shown]
	s_waitcnt vmcnt(4)
	v_xor_b32_e32 v7, -1, v8
	s_waitcnt vmcnt(3)
	v_xor_b32_e32 v8, -1, v9
	v_and_b32_e32 v3, 1, v7
	v_and_b32_e32 v4, 1, v8
	s_waitcnt vmcnt(2)
	v_xor_b32_e32 v7, -1, v18
	s_waitcnt vmcnt(1)
	v_xor_b32_e32 v8, -1, v19
	v_and_b32_e32 v5, 1, v7
	v_and_b32_e32 v6, 1, v8
	s_waitcnt vmcnt(0)
	v_xor_b32_e32 v2, -1, v2
	v_and_b32_e32 v2, 1, v2
	ds_write_b8 v0, v3 offset:5120
	ds_write_b8 v0, v4 offset:5632
	;; [unrolled: 1-line block ×5, first 2 shown]
	s_waitcnt lgkmcnt(0)
	s_barrier
.LBB2038_36:
	s_load_dwordx2 s[36:37], s[0:1], 0x70
	s_andn2_b64 vcc, exec, s[6:7]
	s_cbranch_vccnz .LBB2038_68
; %bb.37:
	v_cmp_gt_u32_e32 vcc, s33, v0
	v_mov_b32_e32 v2, 0
	v_mov_b32_e32 v3, 0
	s_and_saveexec_b64 s[6:7], vcc
	s_cbranch_execz .LBB2038_39
; %bb.38:
	global_load_dword v3, v22, s[4:5]
	s_waitcnt vmcnt(0)
	v_xor_b32_e32 v3, -1, v3
	v_and_b32_e32 v3, 1, v3
.LBB2038_39:
	s_or_b64 exec, exec, s[6:7]
	v_or_b32_e32 v4, 0x200, v0
	v_cmp_gt_u32_e32 vcc, s33, v4
	s_and_saveexec_b64 s[6:7], vcc
	s_cbranch_execz .LBB2038_41
; %bb.40:
	global_load_dword v2, v22, s[4:5] offset:2048
	s_waitcnt vmcnt(0)
	v_xor_b32_e32 v2, -1, v2
	v_and_b32_e32 v2, 1, v2
.LBB2038_41:
	s_or_b64 exec, exec, s[6:7]
	v_or_b32_e32 v6, 0x400, v0
	v_cmp_gt_u32_e32 vcc, s33, v6
	v_mov_b32_e32 v4, 0
	v_mov_b32_e32 v5, 0
	s_and_saveexec_b64 s[6:7], vcc
	s_cbranch_execz .LBB2038_43
; %bb.42:
	v_lshlrev_b32_e32 v5, 2, v6
	global_load_dword v5, v5, s[4:5]
	s_waitcnt vmcnt(0)
	v_xor_b32_e32 v5, -1, v5
	v_and_b32_e32 v5, 1, v5
.LBB2038_43:
	s_or_b64 exec, exec, s[6:7]
	v_or_b32_e32 v6, 0x600, v0
	v_cmp_gt_u32_e32 vcc, s33, v6
	s_and_saveexec_b64 s[6:7], vcc
	s_cbranch_execz .LBB2038_45
; %bb.44:
	v_lshlrev_b32_e32 v4, 2, v6
	global_load_dword v4, v4, s[4:5]
	s_waitcnt vmcnt(0)
	v_xor_b32_e32 v4, -1, v4
	v_and_b32_e32 v4, 1, v4
.LBB2038_45:
	s_or_b64 exec, exec, s[6:7]
	v_or_b32_e32 v8, 0x800, v0
	v_cmp_gt_u32_e32 vcc, s33, v8
	v_mov_b32_e32 v6, 0
	v_mov_b32_e32 v7, 0
	s_and_saveexec_b64 s[6:7], vcc
	s_cbranch_execz .LBB2038_47
; %bb.46:
	v_lshlrev_b32_e32 v7, 2, v8
	global_load_dword v7, v7, s[4:5]
	s_waitcnt vmcnt(0)
	v_xor_b32_e32 v7, -1, v7
	v_and_b32_e32 v7, 1, v7
.LBB2038_47:
	s_or_b64 exec, exec, s[6:7]
	v_or_b32_e32 v8, 0xa00, v0
	v_cmp_gt_u32_e32 vcc, s33, v8
	s_and_saveexec_b64 s[6:7], vcc
	s_cbranch_execz .LBB2038_49
; %bb.48:
	v_lshlrev_b32_e32 v6, 2, v8
	global_load_dword v6, v6, s[4:5]
	s_waitcnt vmcnt(0)
	v_xor_b32_e32 v6, -1, v6
	v_and_b32_e32 v6, 1, v6
.LBB2038_49:
	;; [unrolled: 26-line block ×6, first 2 shown]
	s_or_b64 exec, exec, s[6:7]
	v_or_b32_e32 v17, 0x1c00, v0
	v_cmp_gt_u32_e32 vcc, s33, v17
	v_mov_b32_e32 v16, 0
	s_and_saveexec_b64 s[6:7], vcc
	s_cbranch_execz .LBB2038_67
; %bb.66:
	v_lshlrev_b32_e32 v16, 2, v17
	global_load_dword v16, v16, s[4:5]
	s_waitcnt vmcnt(0)
	v_xor_b32_e32 v16, -1, v16
	v_and_b32_e32 v16, 1, v16
.LBB2038_67:
	s_or_b64 exec, exec, s[6:7]
	ds_write_b8 v0, v3
	ds_write_b8 v0, v2 offset:512
	ds_write_b8 v0, v5 offset:1024
	;; [unrolled: 1-line block ×14, first 2 shown]
	s_waitcnt lgkmcnt(0)
	s_barrier
.LBB2038_68:
	s_waitcnt lgkmcnt(0)
	ds_read_b96 v[18:20], v21
	ds_read_u8 v2, v21 offset:12
	ds_read_u8 v3, v21 offset:13
	;; [unrolled: 1-line block ×3, first 2 shown]
	s_cmp_lg_u32 s2, 0
	v_lshrrev_b32_e32 v56, 6, v0
	s_waitcnt lgkmcnt(2)
	v_and_b32_e32 v42, 1, v2
	v_and_b32_e32 v51, 0xff, v18
	v_bfe_u32 v53, v18, 8, 8
	v_bfe_u32 v54, v18, 16, 8
	v_lshrrev_b32_e32 v44, 24, v18
	v_and_b32_e32 v48, 0xff, v19
	v_add3_u32 v2, v53, v51, v54
	v_bfe_u32 v49, v19, 8, 8
	v_bfe_u32 v50, v19, 16, 8
	v_add3_u32 v2, v2, v44, v48
	v_lshrrev_b32_e32 v43, 24, v19
	v_and_b32_e32 v45, 0xff, v20
	v_add3_u32 v2, v2, v49, v50
	v_bfe_u32 v46, v20, 8, 8
	v_bfe_u32 v47, v20, 16, 8
	v_add3_u32 v2, v2, v43, v45
	v_lshrrev_b32_e32 v41, 24, v20
	v_add3_u32 v2, v2, v46, v47
	s_waitcnt lgkmcnt(1)
	v_and_b32_e32 v40, 1, v3
	s_waitcnt lgkmcnt(0)
	v_and_b32_e32 v23, 1, v4
	v_add3_u32 v2, v2, v41, v42
	v_add3_u32 v57, v2, v40, v23
	v_mbcnt_lo_u32_b32 v2, -1, 0
	v_mbcnt_hi_u32_b32 v55, -1, v2
	v_and_b32_e32 v2, 15, v55
	v_cmp_eq_u32_e64 s[14:15], 0, v2
	v_cmp_lt_u32_e64 s[12:13], 1, v2
	v_cmp_lt_u32_e64 s[10:11], 3, v2
	;; [unrolled: 1-line block ×3, first 2 shown]
	v_and_b32_e32 v2, 16, v55
	v_cmp_eq_u32_e64 s[6:7], 0, v2
	v_or_b32_e32 v2, 63, v0
	v_cmp_lt_u32_e64 s[18:19], 31, v55
	v_cmp_eq_u32_e64 s[4:5], v2, v0
	s_barrier
	s_cbranch_scc0 .LBB2038_95
; %bb.69:
	v_mov_b32_dpp v2, v57 row_shr:1 row_mask:0xf bank_mask:0xf
	v_cndmask_b32_e64 v2, v2, 0, s[14:15]
	v_add_u32_e32 v2, v2, v57
	s_nop 1
	v_mov_b32_dpp v3, v2 row_shr:2 row_mask:0xf bank_mask:0xf
	v_cndmask_b32_e64 v3, 0, v3, s[12:13]
	v_add_u32_e32 v2, v2, v3
	s_nop 1
	;; [unrolled: 4-line block ×4, first 2 shown]
	v_mov_b32_dpp v3, v2 row_bcast:15 row_mask:0xf bank_mask:0xf
	v_cndmask_b32_e64 v3, v3, 0, s[6:7]
	v_add_u32_e32 v2, v2, v3
	s_nop 1
	v_mov_b32_dpp v3, v2 row_bcast:31 row_mask:0xf bank_mask:0xf
	v_cndmask_b32_e64 v3, 0, v3, s[18:19]
	v_add_u32_e32 v2, v2, v3
	s_and_saveexec_b64 s[16:17], s[4:5]
	s_cbranch_execz .LBB2038_71
; %bb.70:
	v_lshlrev_b32_e32 v3, 2, v56
	ds_write_b32 v3, v2
.LBB2038_71:
	s_or_b64 exec, exec, s[16:17]
	v_cmp_gt_u32_e32 vcc, 8, v0
	s_waitcnt lgkmcnt(0)
	s_barrier
	s_and_saveexec_b64 s[16:17], vcc
	s_cbranch_execz .LBB2038_73
; %bb.72:
	ds_read_b32 v3, v22
	v_and_b32_e32 v4, 7, v55
	v_cmp_ne_u32_e32 vcc, 0, v4
	s_waitcnt lgkmcnt(0)
	v_mov_b32_dpp v5, v3 row_shr:1 row_mask:0xf bank_mask:0xf
	v_cndmask_b32_e32 v5, 0, v5, vcc
	v_add_u32_e32 v3, v5, v3
	v_cmp_lt_u32_e32 vcc, 1, v4
	s_nop 0
	v_mov_b32_dpp v5, v3 row_shr:2 row_mask:0xf bank_mask:0xf
	v_cndmask_b32_e32 v5, 0, v5, vcc
	v_add_u32_e32 v3, v3, v5
	v_cmp_lt_u32_e32 vcc, 3, v4
	s_nop 0
	v_mov_b32_dpp v5, v3 row_shr:4 row_mask:0xf bank_mask:0xf
	v_cndmask_b32_e32 v4, 0, v5, vcc
	v_add_u32_e32 v3, v3, v4
	ds_write_b32 v22, v3
.LBB2038_73:
	s_or_b64 exec, exec, s[16:17]
	v_cmp_gt_u32_e32 vcc, 64, v0
	v_cmp_lt_u32_e64 s[16:17], 63, v0
	s_waitcnt lgkmcnt(0)
	s_barrier
	s_waitcnt lgkmcnt(0)
                                        ; implicit-def: $vgpr12
	s_and_saveexec_b64 s[38:39], s[16:17]
	s_cbranch_execz .LBB2038_75
; %bb.74:
	v_lshl_add_u32 v3, v56, 2, -4
	ds_read_b32 v12, v3
	s_waitcnt lgkmcnt(0)
	v_add_u32_e32 v2, v12, v2
.LBB2038_75:
	s_or_b64 exec, exec, s[38:39]
	v_add_u32_e32 v3, -1, v55
	v_and_b32_e32 v4, 64, v55
	v_cmp_lt_i32_e64 s[16:17], v3, v4
	s_nop 1
	v_cndmask_b32_e64 v3, v3, v55, s[16:17]
	v_lshlrev_b32_e32 v3, 2, v3
	ds_bpermute_b32 v13, v3, v2
	v_cmp_eq_u32_e64 s[16:17], 0, v55
	s_and_saveexec_b64 s[38:39], vcc
	s_cbranch_execz .LBB2038_94
; %bb.76:
	v_mov_b32_e32 v9, 0
	ds_read_b32 v2, v9 offset:28
	s_and_saveexec_b64 s[40:41], s[16:17]
	s_cbranch_execz .LBB2038_78
; %bb.77:
	s_add_i32 s42, s2, 64
	s_mov_b32 s43, 0
	s_lshl_b64 s[42:43], s[42:43], 3
	s_add_u32 s42, s36, s42
	v_mov_b32_e32 v3, 1
	s_addc_u32 s43, s37, s43
	s_waitcnt lgkmcnt(0)
	global_store_dwordx2 v9, v[2:3], s[42:43] sc1
.LBB2038_78:
	s_or_b64 exec, exec, s[40:41]
	v_xad_u32 v4, v55, -1, s2
	v_add_u32_e32 v8, 64, v4
	v_lshl_add_u64 v[10:11], v[8:9], 3, s[36:37]
	global_load_dwordx2 v[6:7], v[10:11], off sc1
	s_waitcnt vmcnt(0)
	v_cmp_eq_u16_sdwa s[42:43], v7, v9 src0_sel:BYTE_0 src1_sel:DWORD
	s_and_saveexec_b64 s[40:41], s[42:43]
	s_cbranch_execz .LBB2038_82
; %bb.79:
	s_mov_b64 s[42:43], 0
	v_mov_b32_e32 v3, 0
.LBB2038_80:                            ; =>This Inner Loop Header: Depth=1
	global_load_dwordx2 v[6:7], v[10:11], off sc1
	s_waitcnt vmcnt(0)
	v_cmp_ne_u16_sdwa s[44:45], v7, v3 src0_sel:BYTE_0 src1_sel:DWORD
	s_or_b64 s[42:43], s[44:45], s[42:43]
	s_andn2_b64 exec, exec, s[42:43]
	s_cbranch_execnz .LBB2038_80
; %bb.81:
	s_or_b64 exec, exec, s[42:43]
.LBB2038_82:
	s_or_b64 exec, exec, s[40:41]
	v_and_b32_e32 v15, 63, v55
	v_mov_b32_e32 v14, 2
	v_cmp_ne_u32_e32 vcc, 63, v15
	v_cmp_eq_u16_sdwa s[40:41], v7, v14 src0_sel:BYTE_0 src1_sel:DWORD
	v_lshlrev_b64 v[8:9], v55, -1
	v_addc_co_u32_e32 v10, vcc, 0, v55, vcc
	v_and_b32_e32 v3, s41, v9
	v_lshlrev_b32_e32 v16, 2, v10
	v_or_b32_e32 v3, 0x80000000, v3
	ds_bpermute_b32 v10, v16, v6
	v_and_b32_e32 v5, s40, v8
	v_ffbl_b32_e32 v3, v3
	v_add_u32_e32 v3, 32, v3
	v_ffbl_b32_e32 v5, v5
	v_min_u32_e32 v3, v5, v3
	v_cmp_lt_u32_e32 vcc, v15, v3
	v_add_u32_e32 v24, 2, v15
	v_add_u32_e32 v52, 4, v15
	s_waitcnt lgkmcnt(0)
	v_cndmask_b32_e32 v5, 0, v10, vcc
	v_cmp_gt_u32_e32 vcc, 62, v15
	v_add_u32_e32 v5, v5, v6
	v_add_u32_e32 v59, 8, v15
	v_cndmask_b32_e64 v6, 0, 1, vcc
	v_lshlrev_b32_e32 v6, 1, v6
	v_add_lshl_u32 v17, v6, v55, 2
	ds_bpermute_b32 v6, v17, v5
	v_cmp_le_u32_e32 vcc, v24, v3
	v_add_u32_e32 v61, 16, v15
	v_add_u32_e32 v63, 32, v15
	s_waitcnt lgkmcnt(0)
	v_cndmask_b32_e32 v6, 0, v6, vcc
	v_cmp_gt_u32_e32 vcc, 60, v15
	v_add_u32_e32 v5, v5, v6
	s_nop 0
	v_cndmask_b32_e64 v6, 0, 1, vcc
	v_lshlrev_b32_e32 v6, 2, v6
	v_add_lshl_u32 v25, v6, v55, 2
	ds_bpermute_b32 v6, v25, v5
	v_cmp_le_u32_e32 vcc, v52, v3
	s_waitcnt lgkmcnt(0)
	s_nop 0
	v_cndmask_b32_e32 v6, 0, v6, vcc
	v_cmp_gt_u32_e32 vcc, 56, v15
	v_add_u32_e32 v5, v5, v6
	s_nop 0
	v_cndmask_b32_e64 v6, 0, 1, vcc
	v_lshlrev_b32_e32 v6, 3, v6
	v_add_lshl_u32 v58, v6, v55, 2
	ds_bpermute_b32 v6, v58, v5
	v_cmp_le_u32_e32 vcc, v59, v3
	s_waitcnt lgkmcnt(0)
	s_nop 0
	;; [unrolled: 11-line block ×4, first 2 shown]
	v_cndmask_b32_e32 v3, 0, v6, vcc
	v_add_u32_e32 v6, v5, v3
	v_mov_b32_e32 v5, 0
	s_branch .LBB2038_84
.LBB2038_83:                            ;   in Loop: Header=BB2038_84 Depth=1
	s_or_b64 exec, exec, s[40:41]
	v_cmp_eq_u16_sdwa s[40:41], v7, v14 src0_sel:BYTE_0 src1_sel:DWORD
	ds_bpermute_b32 v64, v16, v6
	v_subrev_u32_e32 v4, 64, v4
	v_and_b32_e32 v10, s41, v9
	v_or_b32_e32 v10, 0x80000000, v10
	v_and_b32_e32 v11, s40, v8
	v_ffbl_b32_e32 v10, v10
	v_add_u32_e32 v10, 32, v10
	v_ffbl_b32_e32 v11, v11
	v_min_u32_e32 v10, v11, v10
	v_cmp_lt_u32_e32 vcc, v15, v10
	s_waitcnt lgkmcnt(0)
	s_nop 0
	v_cndmask_b32_e32 v11, 0, v64, vcc
	v_add_u32_e32 v6, v11, v6
	ds_bpermute_b32 v11, v17, v6
	v_cmp_le_u32_e32 vcc, v24, v10
	s_waitcnt lgkmcnt(0)
	s_nop 0
	v_cndmask_b32_e32 v11, 0, v11, vcc
	v_add_u32_e32 v6, v6, v11
	ds_bpermute_b32 v11, v25, v6
	v_cmp_le_u32_e32 vcc, v52, v10
	;; [unrolled: 6-line block ×5, first 2 shown]
	s_waitcnt lgkmcnt(0)
	s_nop 0
	v_cndmask_b32_e32 v10, 0, v11, vcc
	v_add3_u32 v6, v10, v3, v6
.LBB2038_84:                            ; =>This Loop Header: Depth=1
                                        ;     Child Loop BB2038_87 Depth 2
	v_cmp_ne_u16_sdwa s[40:41], v7, v14 src0_sel:BYTE_0 src1_sel:DWORD
	s_nop 1
	v_cndmask_b32_e64 v3, 0, 1, s[40:41]
	;;#ASMSTART
	;;#ASMEND
	s_nop 0
	v_cmp_ne_u32_e32 vcc, 0, v3
	s_cmp_lg_u64 vcc, exec
	v_mov_b32_e32 v3, v6
	s_cbranch_scc1 .LBB2038_89
; %bb.85:                               ;   in Loop: Header=BB2038_84 Depth=1
	v_lshl_add_u64 v[10:11], v[4:5], 3, s[36:37]
	global_load_dwordx2 v[6:7], v[10:11], off sc1
	s_waitcnt vmcnt(0)
	v_cmp_eq_u16_sdwa s[42:43], v7, v5 src0_sel:BYTE_0 src1_sel:DWORD
	s_and_saveexec_b64 s[40:41], s[42:43]
	s_cbranch_execz .LBB2038_83
; %bb.86:                               ;   in Loop: Header=BB2038_84 Depth=1
	s_mov_b64 s[42:43], 0
.LBB2038_87:                            ;   Parent Loop BB2038_84 Depth=1
                                        ; =>  This Inner Loop Header: Depth=2
	global_load_dwordx2 v[6:7], v[10:11], off sc1
	s_waitcnt vmcnt(0)
	v_cmp_ne_u16_sdwa s[44:45], v7, v5 src0_sel:BYTE_0 src1_sel:DWORD
	s_or_b64 s[42:43], s[44:45], s[42:43]
	s_andn2_b64 exec, exec, s[42:43]
	s_cbranch_execnz .LBB2038_87
; %bb.88:                               ;   in Loop: Header=BB2038_84 Depth=1
	s_or_b64 exec, exec, s[42:43]
	s_branch .LBB2038_83
.LBB2038_89:                            ;   in Loop: Header=BB2038_84 Depth=1
                                        ; implicit-def: $vgpr6
                                        ; implicit-def: $vgpr7
	s_cbranch_execz .LBB2038_84
; %bb.90:
	s_and_saveexec_b64 s[40:41], s[16:17]
	s_cbranch_execz .LBB2038_92
; %bb.91:
	s_add_i32 s2, s2, 64
	s_mov_b32 s3, 0
	s_lshl_b64 s[2:3], s[2:3], 3
	s_add_u32 s2, s36, s2
	v_add_u32_e32 v4, v3, v2
	v_mov_b32_e32 v5, 2
	s_addc_u32 s3, s37, s3
	v_mov_b32_e32 v6, 0
	global_store_dwordx2 v6, v[4:5], s[2:3] sc1
	ds_write_b64 v6, v[2:3] offset:30720
.LBB2038_92:
	s_or_b64 exec, exec, s[40:41]
	v_cmp_eq_u32_e32 vcc, 0, v0
	s_and_b64 exec, exec, vcc
	s_cbranch_execz .LBB2038_94
; %bb.93:
	v_mov_b32_e32 v2, 0
	ds_write_b32 v2, v3 offset:28
.LBB2038_94:
	s_or_b64 exec, exec, s[38:39]
	v_mov_b32_e32 v14, 0
	s_waitcnt lgkmcnt(0)
	s_barrier
	ds_read_b32 v2, v14 offset:28
	v_cndmask_b32_e64 v3, v13, v12, s[16:17]
	v_cmp_ne_u32_e32 vcc, 0, v0
	s_waitcnt lgkmcnt(0)
	s_barrier
	v_cndmask_b32_e32 v3, 0, v3, vcc
	v_add_u32_e32 v2, v2, v3
	v_add_u32_e32 v3, v2, v51
	;; [unrolled: 1-line block ×10, first 2 shown]
	ds_read_b64 v[24:25], v14 offset:30720
	v_add_u32_e32 v12, v11, v46
	v_add_u32_e32 v13, v12, v47
	;; [unrolled: 1-line block ×5, first 2 shown]
	s_waitcnt lgkmcnt(0)
	v_mov_b32_e32 v52, v25
	s_load_dwordx2 s[2:3], s[0:1], 0x30
	s_branch .LBB2038_105
.LBB2038_95:
                                        ; implicit-def: $vgpr52
                                        ; implicit-def: $vgpr24
                                        ; implicit-def: $vgpr2_vgpr3_vgpr4_vgpr5_vgpr6_vgpr7_vgpr8_vgpr9_vgpr10_vgpr11_vgpr12_vgpr13_vgpr14_vgpr15_vgpr16_vgpr17
	s_load_dwordx2 s[2:3], s[0:1], 0x30
	s_cbranch_execz .LBB2038_105
; %bb.96:
	v_mov_b32_dpp v2, v57 row_shr:1 row_mask:0xf bank_mask:0xf
	v_cndmask_b32_e64 v2, v2, 0, s[14:15]
	v_add_u32_e32 v2, v2, v57
	s_nop 1
	v_mov_b32_dpp v3, v2 row_shr:2 row_mask:0xf bank_mask:0xf
	v_cndmask_b32_e64 v3, 0, v3, s[12:13]
	v_add_u32_e32 v2, v2, v3
	s_nop 1
	;; [unrolled: 4-line block ×4, first 2 shown]
	v_mov_b32_dpp v3, v2 row_bcast:15 row_mask:0xf bank_mask:0xf
	v_cndmask_b32_e64 v3, v3, 0, s[6:7]
	v_add_u32_e32 v2, v2, v3
	s_nop 1
	v_mov_b32_dpp v3, v2 row_bcast:31 row_mask:0xf bank_mask:0xf
	v_cndmask_b32_e64 v3, 0, v3, s[18:19]
	v_add_u32_e32 v2, v2, v3
	s_and_saveexec_b64 s[0:1], s[4:5]
	s_cbranch_execz .LBB2038_98
; %bb.97:
	v_lshlrev_b32_e32 v3, 2, v56
	ds_write_b32 v3, v2
.LBB2038_98:
	s_or_b64 exec, exec, s[0:1]
	v_cmp_gt_u32_e32 vcc, 8, v0
	s_waitcnt lgkmcnt(0)
	s_barrier
	s_and_saveexec_b64 s[0:1], vcc
	s_cbranch_execz .LBB2038_100
; %bb.99:
	v_mad_i32_i24 v3, v0, -11, v21
	ds_read_b32 v4, v3
	v_and_b32_e32 v5, 7, v55
	v_cmp_ne_u32_e32 vcc, 0, v5
	s_waitcnt lgkmcnt(0)
	v_mov_b32_dpp v6, v4 row_shr:1 row_mask:0xf bank_mask:0xf
	v_cndmask_b32_e32 v6, 0, v6, vcc
	v_add_u32_e32 v4, v6, v4
	v_cmp_lt_u32_e32 vcc, 1, v5
	s_nop 0
	v_mov_b32_dpp v6, v4 row_shr:2 row_mask:0xf bank_mask:0xf
	v_cndmask_b32_e32 v6, 0, v6, vcc
	v_add_u32_e32 v4, v4, v6
	v_cmp_lt_u32_e32 vcc, 3, v5
	s_nop 0
	v_mov_b32_dpp v6, v4 row_shr:4 row_mask:0xf bank_mask:0xf
	v_cndmask_b32_e32 v5, 0, v6, vcc
	v_add_u32_e32 v4, v4, v5
	ds_write_b32 v3, v4
.LBB2038_100:
	s_or_b64 exec, exec, s[0:1]
	v_cmp_lt_u32_e32 vcc, 63, v0
	v_mov_b32_e32 v4, 0
	v_mov_b32_e32 v3, 0
	s_waitcnt lgkmcnt(0)
	s_barrier
	s_and_saveexec_b64 s[0:1], vcc
	s_cbranch_execz .LBB2038_102
; %bb.101:
	v_lshl_add_u32 v3, v56, 2, -4
	ds_read_b32 v3, v3
.LBB2038_102:
	s_or_b64 exec, exec, s[0:1]
	v_add_u32_e32 v5, -1, v55
	v_and_b32_e32 v6, 64, v55
	v_cmp_lt_i32_e32 vcc, v5, v6
	s_waitcnt lgkmcnt(0)
	v_add_u32_e32 v2, v3, v2
	ds_read_b32 v24, v4 offset:28
	v_cndmask_b32_e32 v5, v5, v55, vcc
	v_lshlrev_b32_e32 v5, 2, v5
	ds_bpermute_b32 v2, v5, v2
	v_cmp_eq_u32_e32 vcc, 0, v0
	s_and_saveexec_b64 s[0:1], vcc
	s_cbranch_execz .LBB2038_104
; %bb.103:
	v_mov_b32_e32 v4, 0
	v_mov_b32_e32 v25, 2
	s_waitcnt lgkmcnt(1)
	global_store_dwordx2 v4, v[24:25], s[36:37] offset:512 sc1
.LBB2038_104:
	s_or_b64 exec, exec, s[0:1]
	v_cmp_eq_u32_e64 s[0:1], 0, v55
	v_mov_b32_e32 v52, 0
	s_waitcnt lgkmcnt(0)
	v_cndmask_b32_e64 v2, v2, v3, s[0:1]
	v_cndmask_b32_e64 v2, v2, 0, vcc
	v_add_u32_e32 v3, v2, v51
	v_add_u32_e32 v4, v3, v53
	;; [unrolled: 1-line block ×14, first 2 shown]
	s_barrier
.LBB2038_105:
	v_add_u32_e32 v21, v24, v21
	v_sub_u32_e32 v2, v2, v52
	v_and_b32_e32 v47, 1, v18
	v_sub_u32_e32 v46, v21, v2
	v_cmp_eq_u32_e32 vcc, 1, v47
	v_lshrrev_b32_e32 v45, 8, v18
	v_lshrrev_b32_e32 v25, 8, v19
	v_cndmask_b32_e32 v2, v46, v2, vcc
	v_lshlrev_b32_e32 v2, 2, v2
	ds_write_b32 v2, v38
	v_sub_u32_e32 v2, v3, v52
	v_sub_u32_e32 v3, v21, v2
	v_and_b32_e32 v38, 1, v45
	v_add_u32_e32 v3, 1, v3
	v_cmp_eq_u32_e32 vcc, 1, v38
	v_lshrrev_b32_e32 v17, 8, v20
	s_add_u32 s0, s26, s24
	v_cndmask_b32_e32 v2, v3, v2, vcc
	v_lshlrev_b32_e32 v2, 2, v2
	ds_write_b32 v2, v39
	v_sub_u32_e32 v2, v4, v52
	v_mov_b32_e32 v4, 1
	v_sub_u32_e32 v3, v21, v2
	v_and_b32_sdwa v18, v4, v18 dst_sel:DWORD dst_unused:UNUSED_PAD src0_sel:DWORD src1_sel:WORD_1
	v_add_u32_e32 v3, 2, v3
	v_cmp_eq_u32_e32 vcc, 1, v18
	s_addc_u32 s1, s27, 0
	s_sub_u32 s0, s28, s0
	v_cndmask_b32_e32 v2, v3, v2, vcc
	v_lshlrev_b32_e32 v2, 2, v2
	ds_write_b32 v2, v36
	v_sub_u32_e32 v2, v5, v52
	v_sub_u32_e32 v3, v21, v2
	v_and_b32_e32 v5, 1, v44
	v_add_u32_e32 v3, 3, v3
	v_cmp_eq_u32_e32 vcc, 1, v5
	v_and_b32_e32 v5, 1, v19
	s_subb_u32 s1, s29, s1
	v_cndmask_b32_e32 v2, v3, v2, vcc
	v_lshlrev_b32_e32 v2, 2, v2
	ds_write_b32 v2, v37
	v_sub_u32_e32 v2, v6, v52
	v_sub_u32_e32 v3, v21, v2
	v_add_u32_e32 v3, 4, v3
	v_cmp_eq_u32_e32 vcc, 1, v5
	v_and_b32_e32 v5, 1, v25
	v_or_b32_e32 v50, 0x200, v0
	v_cndmask_b32_e32 v2, v3, v2, vcc
	v_lshlrev_b32_e32 v2, 2, v2
	ds_write_b32 v2, v34
	v_sub_u32_e32 v2, v7, v52
	v_sub_u32_e32 v3, v21, v2
	v_add_u32_e32 v3, 5, v3
	v_cmp_eq_u32_e32 vcc, 1, v5
	v_and_b32_sdwa v5, v4, v19 dst_sel:DWORD dst_unused:UNUSED_PAD src0_sel:DWORD src1_sel:WORD_1
	v_and_b32_sdwa v4, v4, v20 dst_sel:DWORD dst_unused:UNUSED_PAD src0_sel:DWORD src1_sel:WORD_1
	v_cndmask_b32_e32 v2, v3, v2, vcc
	v_lshlrev_b32_e32 v2, 2, v2
	ds_write_b32 v2, v35
	v_sub_u32_e32 v2, v8, v52
	v_sub_u32_e32 v3, v21, v2
	v_add_u32_e32 v3, 6, v3
	v_cmp_eq_u32_e32 vcc, 1, v5
	v_and_b32_e32 v5, 1, v43
	v_or_b32_e32 v46, 0x400, v0
	v_cndmask_b32_e32 v2, v3, v2, vcc
	v_lshlrev_b32_e32 v2, 2, v2
	ds_write_b32 v2, v32
	v_sub_u32_e32 v2, v9, v52
	v_sub_u32_e32 v3, v21, v2
	v_add_u32_e32 v3, 7, v3
	v_cmp_eq_u32_e32 vcc, 1, v5
	v_and_b32_e32 v5, 1, v20
	v_or_b32_e32 v44, 0x600, v0
	;; [unrolled: 9-line block ×3, first 2 shown]
	v_cndmask_b32_e32 v2, v3, v2, vcc
	v_lshlrev_b32_e32 v2, 2, v2
	ds_write_b32 v2, v30
	v_sub_u32_e32 v2, v11, v52
	v_sub_u32_e32 v3, v21, v2
	v_add_u32_e32 v3, 9, v3
	v_cmp_eq_u32_e32 vcc, 1, v5
	v_or_b32_e32 v34, 0xc00, v0
	v_or_b32_e32 v32, 0xe00, v0
	v_cndmask_b32_e32 v2, v3, v2, vcc
	v_lshlrev_b32_e32 v2, 2, v2
	ds_write_b32 v2, v31
	v_sub_u32_e32 v2, v12, v52
	v_sub_u32_e32 v3, v21, v2
	v_add_u32_e32 v3, 10, v3
	v_cmp_eq_u32_e32 vcc, 1, v4
	v_and_b32_e32 v4, 1, v41
	v_or_b32_e32 v18, 0x1400, v0
	v_cndmask_b32_e32 v2, v3, v2, vcc
	v_lshlrev_b32_e32 v2, 2, v2
	ds_write_b32 v2, v28
	v_sub_u32_e32 v2, v13, v52
	v_sub_u32_e32 v3, v21, v2
	v_add_u32_e32 v3, 11, v3
	v_cmp_eq_u32_e32 vcc, 1, v4
	v_or_b32_e32 v28, 0x1000, v0
	v_or_b32_e32 v12, 0x1800, v0
	v_cndmask_b32_e32 v2, v3, v2, vcc
	v_lshlrev_b32_e32 v2, 2, v2
	ds_write_b32 v2, v29
	v_sub_u32_e32 v2, v14, v52
	v_sub_u32_e32 v3, v21, v2
	v_add_u32_e32 v3, 12, v3
	v_cmp_eq_u32_e32 vcc, 1, v42
	v_or_b32_e32 v10, 0x1a00, v0
	;; [unrolled: 9-line block ×4, first 2 shown]
	s_nop 0
	v_cndmask_b32_e32 v2, v3, v2, vcc
	v_lshlrev_b32_e32 v2, 2, v2
	ds_write_b32 v2, v1
	s_waitcnt lgkmcnt(0)
	s_barrier
	ds_read2st64_b32 v[48:49], v22 offset1:8
	ds_read2st64_b32 v[42:43], v22 offset0:16 offset1:24
	ds_read2st64_b32 v[36:37], v22 offset0:32 offset1:40
	;; [unrolled: 1-line block ×6, first 2 shown]
	ds_read_b32 v54, v22 offset:28672
	v_mov_b32_e32 v1, 0
	v_mov_b32_e32 v53, v1
	;; [unrolled: 1-line block ×3, first 2 shown]
	v_lshl_add_u64 v[2:3], s[30:31], 0, v[52:53]
	v_lshl_add_u64 v[6:7], s[0:1], 0, v[24:25]
	v_mov_b32_e32 v51, v1
	v_mov_b32_e32 v47, v1
	;; [unrolled: 1-line block ×14, first 2 shown]
	s_andn2_b64 vcc, exec, s[34:35]
	v_lshl_add_u64 v[6:7], v[6:7], 0, v[2:3]
	s_cbranch_vccnz .LBB2038_167
; %bb.106:
	v_cmp_ge_u32_e32 vcc, v0, v24
                                        ; implicit-def: $vgpr22_vgpr23
	s_and_saveexec_b64 s[0:1], vcc
	s_xor_b64 s[0:1], exec, s[0:1]
; %bb.107:
	v_not_b32_e32 v22, v0
	v_ashrrev_i32_e32 v23, 31, v22
	v_lshl_add_u64 v[22:23], v[6:7], 0, v[22:23]
; %bb.108:
	s_andn2_saveexec_b64 s[0:1], s[0:1]
; %bb.109:
	v_lshl_add_u64 v[22:23], v[2:3], 0, v[0:1]
; %bb.110:
	s_or_b64 exec, exec, s[0:1]
	v_lshl_add_u64 v[22:23], v[22:23], 2, s[2:3]
	v_cmp_ge_u32_e32 vcc, v50, v24
	s_waitcnt lgkmcnt(7)
	global_store_dword v[22:23], v48, off
                                        ; implicit-def: $vgpr22_vgpr23
	s_and_saveexec_b64 s[0:1], vcc
	s_xor_b64 s[0:1], exec, s[0:1]
; %bb.111:
	v_xor_b32_e32 v22, 0xfffffdff, v0
	v_ashrrev_i32_e32 v23, 31, v22
	v_lshl_add_u64 v[22:23], v[6:7], 0, v[22:23]
; %bb.112:
	s_andn2_saveexec_b64 s[0:1], s[0:1]
; %bb.113:
	v_lshl_add_u64 v[22:23], v[2:3], 0, v[50:51]
; %bb.114:
	s_or_b64 exec, exec, s[0:1]
	v_lshl_add_u64 v[22:23], v[22:23], 2, s[2:3]
	v_cmp_ge_u32_e32 vcc, v46, v24
	global_store_dword v[22:23], v49, off
                                        ; implicit-def: $vgpr22_vgpr23
	s_and_saveexec_b64 s[0:1], vcc
	s_xor_b64 s[0:1], exec, s[0:1]
; %bb.115:
	v_xor_b32_e32 v22, 0xfffffbff, v0
	v_ashrrev_i32_e32 v23, 31, v22
	v_lshl_add_u64 v[22:23], v[6:7], 0, v[22:23]
; %bb.116:
	s_andn2_saveexec_b64 s[0:1], s[0:1]
; %bb.117:
	v_lshl_add_u64 v[22:23], v[2:3], 0, v[46:47]
; %bb.118:
	s_or_b64 exec, exec, s[0:1]
	v_lshl_add_u64 v[22:23], v[22:23], 2, s[2:3]
	v_cmp_ge_u32_e32 vcc, v44, v24
	s_waitcnt lgkmcnt(6)
	global_store_dword v[22:23], v42, off
                                        ; implicit-def: $vgpr22_vgpr23
	s_and_saveexec_b64 s[0:1], vcc
	s_xor_b64 s[0:1], exec, s[0:1]
; %bb.119:
	v_xor_b32_e32 v22, 0xfffff9ff, v0
	v_ashrrev_i32_e32 v23, 31, v22
	v_lshl_add_u64 v[22:23], v[6:7], 0, v[22:23]
; %bb.120:
	s_andn2_saveexec_b64 s[0:1], s[0:1]
; %bb.121:
	v_lshl_add_u64 v[22:23], v[2:3], 0, v[44:45]
; %bb.122:
	s_or_b64 exec, exec, s[0:1]
	v_lshl_add_u64 v[22:23], v[22:23], 2, s[2:3]
	v_cmp_ge_u32_e32 vcc, v40, v24
	global_store_dword v[22:23], v43, off
                                        ; implicit-def: $vgpr22_vgpr23
	s_and_saveexec_b64 s[0:1], vcc
	s_xor_b64 s[0:1], exec, s[0:1]
; %bb.123:
	v_xor_b32_e32 v22, 0xfffff7ff, v0
	;; [unrolled: 33-line block ×7, first 2 shown]
	v_ashrrev_i32_e32 v23, 31, v22
	v_lshl_add_u64 v[22:23], v[6:7], 0, v[22:23]
; %bb.164:
	s_andn2_saveexec_b64 s[0:1], s[0:1]
; %bb.165:
	v_lshl_add_u64 v[22:23], v[2:3], 0, v[4:5]
; %bb.166:
	s_or_b64 exec, exec, s[0:1]
	s_mov_b64 s[0:1], -1
	s_branch .LBB2038_259
.LBB2038_167:
	s_mov_b64 s[0:1], 0
                                        ; implicit-def: $vgpr22_vgpr23
	s_cbranch_execz .LBB2038_259
; %bb.168:
	v_cmp_gt_u32_e32 vcc, s33, v0
	s_and_saveexec_b64 s[4:5], vcc
	s_cbranch_execz .LBB2038_210
; %bb.169:
	v_cmp_ge_u32_e32 vcc, v0, v24
                                        ; implicit-def: $vgpr22_vgpr23
	s_and_saveexec_b64 s[6:7], vcc
	s_xor_b64 s[6:7], exec, s[6:7]
; %bb.170:
	v_not_b32_e32 v22, v0
	v_ashrrev_i32_e32 v23, 31, v22
	v_lshl_add_u64 v[22:23], v[6:7], 0, v[22:23]
; %bb.171:
	s_andn2_saveexec_b64 s[6:7], s[6:7]
; %bb.172:
	v_lshl_add_u64 v[22:23], v[2:3], 0, v[0:1]
; %bb.173:
	s_or_b64 exec, exec, s[6:7]
	v_lshl_add_u64 v[22:23], v[22:23], 2, s[2:3]
	s_waitcnt lgkmcnt(7)
	global_store_dword v[22:23], v48, off
	s_or_b64 exec, exec, s[4:5]
	v_cmp_gt_u32_e32 vcc, s33, v50
	s_and_saveexec_b64 s[4:5], vcc
	s_cbranch_execnz .LBB2038_211
.LBB2038_174:
	s_or_b64 exec, exec, s[4:5]
	v_cmp_gt_u32_e32 vcc, s33, v46
	s_and_saveexec_b64 s[4:5], vcc
	s_cbranch_execz .LBB2038_216
.LBB2038_175:
	v_cmp_ge_u32_e32 vcc, v46, v24
                                        ; implicit-def: $vgpr22_vgpr23
	s_and_saveexec_b64 s[6:7], vcc
	s_xor_b64 s[6:7], exec, s[6:7]
; %bb.176:
	v_xor_b32_e32 v22, 0xfffffbff, v0
	v_ashrrev_i32_e32 v23, 31, v22
	v_lshl_add_u64 v[22:23], v[6:7], 0, v[22:23]
                                        ; implicit-def: $vgpr46_vgpr47
; %bb.177:
	s_andn2_saveexec_b64 s[6:7], s[6:7]
; %bb.178:
	v_lshl_add_u64 v[22:23], v[2:3], 0, v[46:47]
; %bb.179:
	s_or_b64 exec, exec, s[6:7]
	v_lshl_add_u64 v[22:23], v[22:23], 2, s[2:3]
	s_waitcnt lgkmcnt(6)
	global_store_dword v[22:23], v42, off
	s_or_b64 exec, exec, s[4:5]
	v_cmp_gt_u32_e32 vcc, s33, v44
	s_and_saveexec_b64 s[4:5], vcc
	s_cbranch_execnz .LBB2038_217
.LBB2038_180:
	s_or_b64 exec, exec, s[4:5]
	v_cmp_gt_u32_e32 vcc, s33, v40
	s_and_saveexec_b64 s[4:5], vcc
	s_cbranch_execz .LBB2038_222
.LBB2038_181:
	v_cmp_ge_u32_e32 vcc, v40, v24
                                        ; implicit-def: $vgpr22_vgpr23
	s_and_saveexec_b64 s[6:7], vcc
	s_xor_b64 s[6:7], exec, s[6:7]
; %bb.182:
	v_xor_b32_e32 v22, 0xfffff7ff, v0
	v_ashrrev_i32_e32 v23, 31, v22
	v_lshl_add_u64 v[22:23], v[6:7], 0, v[22:23]
                                        ; implicit-def: $vgpr40_vgpr41
; %bb.183:
	s_andn2_saveexec_b64 s[6:7], s[6:7]
; %bb.184:
	v_lshl_add_u64 v[22:23], v[2:3], 0, v[40:41]
; %bb.185:
	s_or_b64 exec, exec, s[6:7]
	v_lshl_add_u64 v[22:23], v[22:23], 2, s[2:3]
	s_waitcnt lgkmcnt(5)
	global_store_dword v[22:23], v36, off
	s_or_b64 exec, exec, s[4:5]
	v_cmp_gt_u32_e32 vcc, s33, v38
	s_and_saveexec_b64 s[4:5], vcc
	s_cbranch_execnz .LBB2038_223
.LBB2038_186:
	s_or_b64 exec, exec, s[4:5]
	v_cmp_gt_u32_e32 vcc, s33, v34
	s_and_saveexec_b64 s[4:5], vcc
	s_cbranch_execz .LBB2038_228
.LBB2038_187:
	v_cmp_ge_u32_e32 vcc, v34, v24
                                        ; implicit-def: $vgpr22_vgpr23
	s_and_saveexec_b64 s[6:7], vcc
	s_xor_b64 s[6:7], exec, s[6:7]
; %bb.188:
	v_xor_b32_e32 v22, 0xfffff3ff, v0
	v_ashrrev_i32_e32 v23, 31, v22
	v_lshl_add_u64 v[22:23], v[6:7], 0, v[22:23]
                                        ; implicit-def: $vgpr34_vgpr35
; %bb.189:
	s_andn2_saveexec_b64 s[6:7], s[6:7]
; %bb.190:
	v_lshl_add_u64 v[22:23], v[2:3], 0, v[34:35]
; %bb.191:
	s_or_b64 exec, exec, s[6:7]
	v_lshl_add_u64 v[22:23], v[22:23], 2, s[2:3]
	s_waitcnt lgkmcnt(4)
	global_store_dword v[22:23], v30, off
	s_or_b64 exec, exec, s[4:5]
	v_cmp_gt_u32_e32 vcc, s33, v32
	s_and_saveexec_b64 s[4:5], vcc
	s_cbranch_execnz .LBB2038_229
.LBB2038_192:
	s_or_b64 exec, exec, s[4:5]
	v_cmp_gt_u32_e32 vcc, s33, v28
	s_and_saveexec_b64 s[4:5], vcc
	s_cbranch_execz .LBB2038_234
.LBB2038_193:
	v_cmp_ge_u32_e32 vcc, v28, v24
                                        ; implicit-def: $vgpr22_vgpr23
	s_and_saveexec_b64 s[6:7], vcc
	s_xor_b64 s[6:7], exec, s[6:7]
; %bb.194:
	v_xor_b32_e32 v22, 0xffffefff, v0
	v_ashrrev_i32_e32 v23, 31, v22
	v_lshl_add_u64 v[22:23], v[6:7], 0, v[22:23]
                                        ; implicit-def: $vgpr28_vgpr29
; %bb.195:
	s_andn2_saveexec_b64 s[6:7], s[6:7]
; %bb.196:
	v_lshl_add_u64 v[22:23], v[2:3], 0, v[28:29]
; %bb.197:
	s_or_b64 exec, exec, s[6:7]
	v_lshl_add_u64 v[22:23], v[22:23], 2, s[2:3]
	s_waitcnt lgkmcnt(3)
	global_store_dword v[22:23], v20, off
	s_or_b64 exec, exec, s[4:5]
	v_cmp_gt_u32_e32 vcc, s33, v26
	s_and_saveexec_b64 s[4:5], vcc
	s_cbranch_execnz .LBB2038_235
.LBB2038_198:
	s_or_b64 exec, exec, s[4:5]
	v_cmp_gt_u32_e32 vcc, s33, v18
	s_and_saveexec_b64 s[4:5], vcc
	s_cbranch_execz .LBB2038_240
.LBB2038_199:
	v_cmp_ge_u32_e32 vcc, v18, v24
                                        ; implicit-def: $vgpr20_vgpr21
	s_and_saveexec_b64 s[6:7], vcc
	s_xor_b64 s[6:7], exec, s[6:7]
	s_cbranch_execz .LBB2038_201
; %bb.200:
	v_xor_b32_e32 v18, 0xffffebff, v0
	v_ashrrev_i32_e32 v19, 31, v18
	s_waitcnt lgkmcnt(3)
	v_lshl_add_u64 v[20:21], v[6:7], 0, v[18:19]
                                        ; implicit-def: $vgpr18_vgpr19
.LBB2038_201:
	s_andn2_saveexec_b64 s[6:7], s[6:7]
	s_cbranch_execz .LBB2038_203
; %bb.202:
	s_waitcnt lgkmcnt(3)
	v_lshl_add_u64 v[20:21], v[2:3], 0, v[18:19]
.LBB2038_203:
	s_or_b64 exec, exec, s[6:7]
	s_waitcnt lgkmcnt(3)
	v_lshl_add_u64 v[18:19], v[20:21], 2, s[2:3]
	s_waitcnt lgkmcnt(2)
	global_store_dword v[18:19], v14, off
	s_or_b64 exec, exec, s[4:5]
	v_cmp_gt_u32_e32 vcc, s33, v16
	s_and_saveexec_b64 s[4:5], vcc
	s_cbranch_execnz .LBB2038_241
.LBB2038_204:
	s_or_b64 exec, exec, s[4:5]
	v_cmp_gt_u32_e32 vcc, s33, v12
	s_and_saveexec_b64 s[4:5], vcc
	s_cbranch_execz .LBB2038_246
.LBB2038_205:
	v_cmp_ge_u32_e32 vcc, v12, v24
                                        ; implicit-def: $vgpr14_vgpr15
	s_and_saveexec_b64 s[6:7], vcc
	s_xor_b64 s[6:7], exec, s[6:7]
	s_cbranch_execz .LBB2038_207
; %bb.206:
	v_xor_b32_e32 v12, 0xffffe7ff, v0
	v_ashrrev_i32_e32 v13, 31, v12
	s_waitcnt lgkmcnt(2)
	v_lshl_add_u64 v[14:15], v[6:7], 0, v[12:13]
                                        ; implicit-def: $vgpr12_vgpr13
.LBB2038_207:
	s_andn2_saveexec_b64 s[6:7], s[6:7]
	s_cbranch_execz .LBB2038_209
; %bb.208:
	s_waitcnt lgkmcnt(2)
	v_lshl_add_u64 v[14:15], v[2:3], 0, v[12:13]
.LBB2038_209:
	s_or_b64 exec, exec, s[6:7]
	s_waitcnt lgkmcnt(2)
	v_lshl_add_u64 v[12:13], v[14:15], 2, s[2:3]
	s_waitcnt lgkmcnt(1)
	global_store_dword v[12:13], v8, off
	s_or_b64 exec, exec, s[4:5]
	v_cmp_gt_u32_e32 vcc, s33, v10
	s_and_saveexec_b64 s[4:5], vcc
	s_cbranch_execz .LBB2038_252
	s_branch .LBB2038_247
.LBB2038_210:
	s_or_b64 exec, exec, s[4:5]
	v_cmp_gt_u32_e32 vcc, s33, v50
	s_and_saveexec_b64 s[4:5], vcc
	s_cbranch_execz .LBB2038_174
.LBB2038_211:
	v_cmp_ge_u32_e32 vcc, v50, v24
                                        ; implicit-def: $vgpr22_vgpr23
	s_and_saveexec_b64 s[6:7], vcc
	s_xor_b64 s[6:7], exec, s[6:7]
; %bb.212:
	v_xor_b32_e32 v22, 0xfffffdff, v0
	v_ashrrev_i32_e32 v23, 31, v22
	v_lshl_add_u64 v[22:23], v[6:7], 0, v[22:23]
                                        ; implicit-def: $vgpr50_vgpr51
; %bb.213:
	s_andn2_saveexec_b64 s[6:7], s[6:7]
; %bb.214:
	v_lshl_add_u64 v[22:23], v[2:3], 0, v[50:51]
; %bb.215:
	s_or_b64 exec, exec, s[6:7]
	v_lshl_add_u64 v[22:23], v[22:23], 2, s[2:3]
	s_waitcnt lgkmcnt(7)
	global_store_dword v[22:23], v49, off
	s_or_b64 exec, exec, s[4:5]
	v_cmp_gt_u32_e32 vcc, s33, v46
	s_and_saveexec_b64 s[4:5], vcc
	s_cbranch_execnz .LBB2038_175
.LBB2038_216:
	s_or_b64 exec, exec, s[4:5]
	v_cmp_gt_u32_e32 vcc, s33, v44
	s_and_saveexec_b64 s[4:5], vcc
	s_cbranch_execz .LBB2038_180
.LBB2038_217:
	v_cmp_ge_u32_e32 vcc, v44, v24
                                        ; implicit-def: $vgpr22_vgpr23
	s_and_saveexec_b64 s[6:7], vcc
	s_xor_b64 s[6:7], exec, s[6:7]
; %bb.218:
	v_xor_b32_e32 v22, 0xfffff9ff, v0
	v_ashrrev_i32_e32 v23, 31, v22
	v_lshl_add_u64 v[22:23], v[6:7], 0, v[22:23]
                                        ; implicit-def: $vgpr44_vgpr45
; %bb.219:
	s_andn2_saveexec_b64 s[6:7], s[6:7]
; %bb.220:
	v_lshl_add_u64 v[22:23], v[2:3], 0, v[44:45]
; %bb.221:
	s_or_b64 exec, exec, s[6:7]
	v_lshl_add_u64 v[22:23], v[22:23], 2, s[2:3]
	s_waitcnt lgkmcnt(6)
	global_store_dword v[22:23], v43, off
	s_or_b64 exec, exec, s[4:5]
	v_cmp_gt_u32_e32 vcc, s33, v40
	s_and_saveexec_b64 s[4:5], vcc
	s_cbranch_execnz .LBB2038_181
.LBB2038_222:
	s_or_b64 exec, exec, s[4:5]
	v_cmp_gt_u32_e32 vcc, s33, v38
	s_and_saveexec_b64 s[4:5], vcc
	s_cbranch_execz .LBB2038_186
.LBB2038_223:
	v_cmp_ge_u32_e32 vcc, v38, v24
                                        ; implicit-def: $vgpr22_vgpr23
	s_and_saveexec_b64 s[6:7], vcc
	s_xor_b64 s[6:7], exec, s[6:7]
; %bb.224:
	v_xor_b32_e32 v22, 0xfffff5ff, v0
	v_ashrrev_i32_e32 v23, 31, v22
	v_lshl_add_u64 v[22:23], v[6:7], 0, v[22:23]
                                        ; implicit-def: $vgpr38_vgpr39
; %bb.225:
	s_andn2_saveexec_b64 s[6:7], s[6:7]
; %bb.226:
	v_lshl_add_u64 v[22:23], v[2:3], 0, v[38:39]
; %bb.227:
	s_or_b64 exec, exec, s[6:7]
	v_lshl_add_u64 v[22:23], v[22:23], 2, s[2:3]
	s_waitcnt lgkmcnt(5)
	global_store_dword v[22:23], v37, off
	s_or_b64 exec, exec, s[4:5]
	v_cmp_gt_u32_e32 vcc, s33, v34
	s_and_saveexec_b64 s[4:5], vcc
	s_cbranch_execnz .LBB2038_187
.LBB2038_228:
	s_or_b64 exec, exec, s[4:5]
	v_cmp_gt_u32_e32 vcc, s33, v32
	s_and_saveexec_b64 s[4:5], vcc
	s_cbranch_execz .LBB2038_192
.LBB2038_229:
	v_cmp_ge_u32_e32 vcc, v32, v24
                                        ; implicit-def: $vgpr22_vgpr23
	s_and_saveexec_b64 s[6:7], vcc
	s_xor_b64 s[6:7], exec, s[6:7]
; %bb.230:
	v_xor_b32_e32 v22, 0xfffff1ff, v0
	v_ashrrev_i32_e32 v23, 31, v22
	v_lshl_add_u64 v[22:23], v[6:7], 0, v[22:23]
                                        ; implicit-def: $vgpr32_vgpr33
; %bb.231:
	s_andn2_saveexec_b64 s[6:7], s[6:7]
; %bb.232:
	v_lshl_add_u64 v[22:23], v[2:3], 0, v[32:33]
; %bb.233:
	s_or_b64 exec, exec, s[6:7]
	v_lshl_add_u64 v[22:23], v[22:23], 2, s[2:3]
	s_waitcnt lgkmcnt(4)
	global_store_dword v[22:23], v31, off
	s_or_b64 exec, exec, s[4:5]
	v_cmp_gt_u32_e32 vcc, s33, v28
	s_and_saveexec_b64 s[4:5], vcc
	s_cbranch_execnz .LBB2038_193
.LBB2038_234:
	s_or_b64 exec, exec, s[4:5]
	v_cmp_gt_u32_e32 vcc, s33, v26
	s_and_saveexec_b64 s[4:5], vcc
	s_cbranch_execz .LBB2038_198
.LBB2038_235:
	v_cmp_ge_u32_e32 vcc, v26, v24
                                        ; implicit-def: $vgpr22_vgpr23
	s_and_saveexec_b64 s[6:7], vcc
	s_xor_b64 s[6:7], exec, s[6:7]
; %bb.236:
	v_xor_b32_e32 v22, 0xffffedff, v0
	v_ashrrev_i32_e32 v23, 31, v22
	v_lshl_add_u64 v[22:23], v[6:7], 0, v[22:23]
                                        ; implicit-def: $vgpr26_vgpr27
; %bb.237:
	s_andn2_saveexec_b64 s[6:7], s[6:7]
; %bb.238:
	v_lshl_add_u64 v[22:23], v[2:3], 0, v[26:27]
; %bb.239:
	s_or_b64 exec, exec, s[6:7]
	v_lshl_add_u64 v[22:23], v[22:23], 2, s[2:3]
	s_waitcnt lgkmcnt(3)
	global_store_dword v[22:23], v21, off
	s_or_b64 exec, exec, s[4:5]
	v_cmp_gt_u32_e32 vcc, s33, v18
	s_and_saveexec_b64 s[4:5], vcc
	s_cbranch_execnz .LBB2038_199
.LBB2038_240:
	s_or_b64 exec, exec, s[4:5]
	v_cmp_gt_u32_e32 vcc, s33, v16
	s_and_saveexec_b64 s[4:5], vcc
	s_cbranch_execz .LBB2038_204
.LBB2038_241:
	v_cmp_ge_u32_e32 vcc, v16, v24
                                        ; implicit-def: $vgpr18_vgpr19
	s_and_saveexec_b64 s[6:7], vcc
	s_xor_b64 s[6:7], exec, s[6:7]
; %bb.242:
	v_xor_b32_e32 v16, 0xffffe9ff, v0
	v_ashrrev_i32_e32 v17, 31, v16
	v_lshl_add_u64 v[18:19], v[6:7], 0, v[16:17]
                                        ; implicit-def: $vgpr16_vgpr17
; %bb.243:
	s_andn2_saveexec_b64 s[6:7], s[6:7]
; %bb.244:
	v_lshl_add_u64 v[18:19], v[2:3], 0, v[16:17]
; %bb.245:
	s_or_b64 exec, exec, s[6:7]
	v_lshl_add_u64 v[16:17], v[18:19], 2, s[2:3]
	s_waitcnt lgkmcnt(2)
	global_store_dword v[16:17], v15, off
	s_or_b64 exec, exec, s[4:5]
	v_cmp_gt_u32_e32 vcc, s33, v12
	s_and_saveexec_b64 s[4:5], vcc
	s_cbranch_execnz .LBB2038_205
.LBB2038_246:
	s_or_b64 exec, exec, s[4:5]
	v_cmp_gt_u32_e32 vcc, s33, v10
	s_and_saveexec_b64 s[4:5], vcc
	s_cbranch_execz .LBB2038_252
.LBB2038_247:
	v_cmp_ge_u32_e32 vcc, v10, v24
                                        ; implicit-def: $vgpr12_vgpr13
	s_and_saveexec_b64 s[6:7], vcc
	s_xor_b64 s[6:7], exec, s[6:7]
; %bb.248:
	v_xor_b32_e32 v10, 0xffffe5ff, v0
	v_ashrrev_i32_e32 v11, 31, v10
	v_lshl_add_u64 v[12:13], v[6:7], 0, v[10:11]
                                        ; implicit-def: $vgpr10_vgpr11
; %bb.249:
	s_andn2_saveexec_b64 s[6:7], s[6:7]
; %bb.250:
	v_lshl_add_u64 v[12:13], v[2:3], 0, v[10:11]
; %bb.251:
	s_or_b64 exec, exec, s[6:7]
	v_lshl_add_u64 v[10:11], v[12:13], 2, s[2:3]
	s_waitcnt lgkmcnt(1)
	global_store_dword v[10:11], v9, off
.LBB2038_252:
	s_or_b64 exec, exec, s[4:5]
	v_cmp_gt_u32_e32 vcc, s33, v4
                                        ; implicit-def: $vgpr22_vgpr23
	s_and_saveexec_b64 s[4:5], vcc
	s_cbranch_execz .LBB2038_258
; %bb.253:
	v_cmp_ge_u32_e32 vcc, v4, v24
                                        ; implicit-def: $vgpr22_vgpr23
	s_and_saveexec_b64 s[6:7], vcc
	s_xor_b64 s[6:7], exec, s[6:7]
; %bb.254:
	v_xor_b32_e32 v4, 0xffffe3ff, v0
	v_ashrrev_i32_e32 v5, 31, v4
	v_lshl_add_u64 v[22:23], v[6:7], 0, v[4:5]
                                        ; implicit-def: $vgpr4_vgpr5
; %bb.255:
	s_andn2_saveexec_b64 s[6:7], s[6:7]
; %bb.256:
	v_lshl_add_u64 v[22:23], v[2:3], 0, v[4:5]
; %bb.257:
	s_or_b64 exec, exec, s[6:7]
	s_or_b64 s[0:1], s[0:1], exec
.LBB2038_258:
	s_or_b64 exec, exec, s[4:5]
.LBB2038_259:
	s_and_saveexec_b64 s[4:5], s[0:1]
	s_cbranch_execz .LBB2038_261
; %bb.260:
	v_lshl_add_u64 v[4:5], v[22:23], 2, s[2:3]
	s_waitcnt lgkmcnt(0)
	global_store_dword v[4:5], v54, off
.LBB2038_261:
	s_or_b64 exec, exec, s[4:5]
	v_cmp_eq_u32_e32 vcc, 0, v0
	s_and_b64 s[0:1], vcc, s[22:23]
	s_and_saveexec_b64 s[2:3], s[0:1]
	s_cbranch_execz .LBB2038_263
; %bb.262:
	v_mov_b32_e32 v4, 0
	v_lshl_add_u64 v[0:1], v[2:3], 0, v[24:25]
	global_store_dwordx2 v4, v[0:1], s[20:21]
.LBB2038_263:
	s_endpgm
	.section	.rodata,"a",@progbits
	.p2align	6, 0x0
	.amdhsa_kernel _ZN7rocprim17ROCPRIM_400000_NS6detail17trampoline_kernelINS0_14default_configENS1_25partition_config_selectorILNS1_17partition_subalgoE2EjNS0_10empty_typeEbEEZZNS1_14partition_implILS5_2ELb0ES3_jN6thrust23THRUST_200600_302600_NS6detail15normal_iteratorINSA_7pointerIjNSA_11hip_rocprim3tagENSA_11use_defaultESG_EEEEPS6_NSA_18transform_iteratorI7is_evenIjENSC_INSA_10device_ptrIjEEEESG_SG_EENS0_5tupleIJPjSJ_EEENSR_IJSJ_SJ_EEES6_PlJS6_EEE10hipError_tPvRmT3_T4_T5_T6_T7_T9_mT8_P12ihipStream_tbDpT10_ENKUlT_T0_E_clISt17integral_constantIbLb0EES1F_EEDaS1A_S1B_EUlS1A_E_NS1_11comp_targetILNS1_3genE5ELNS1_11target_archE942ELNS1_3gpuE9ELNS1_3repE0EEENS1_30default_config_static_selectorELNS0_4arch9wavefront6targetE1EEEvT1_
		.amdhsa_group_segment_fixed_size 30728
		.amdhsa_private_segment_fixed_size 0
		.amdhsa_kernarg_size 128
		.amdhsa_user_sgpr_count 2
		.amdhsa_user_sgpr_dispatch_ptr 0
		.amdhsa_user_sgpr_queue_ptr 0
		.amdhsa_user_sgpr_kernarg_segment_ptr 1
		.amdhsa_user_sgpr_dispatch_id 0
		.amdhsa_user_sgpr_kernarg_preload_length 0
		.amdhsa_user_sgpr_kernarg_preload_offset 0
		.amdhsa_user_sgpr_private_segment_size 0
		.amdhsa_uses_dynamic_stack 0
		.amdhsa_enable_private_segment 0
		.amdhsa_system_sgpr_workgroup_id_x 1
		.amdhsa_system_sgpr_workgroup_id_y 0
		.amdhsa_system_sgpr_workgroup_id_z 0
		.amdhsa_system_sgpr_workgroup_info 0
		.amdhsa_system_vgpr_workitem_id 0
		.amdhsa_next_free_vgpr 65
		.amdhsa_next_free_sgpr 46
		.amdhsa_accum_offset 68
		.amdhsa_reserve_vcc 1
		.amdhsa_float_round_mode_32 0
		.amdhsa_float_round_mode_16_64 0
		.amdhsa_float_denorm_mode_32 3
		.amdhsa_float_denorm_mode_16_64 3
		.amdhsa_dx10_clamp 1
		.amdhsa_ieee_mode 1
		.amdhsa_fp16_overflow 0
		.amdhsa_tg_split 0
		.amdhsa_exception_fp_ieee_invalid_op 0
		.amdhsa_exception_fp_denorm_src 0
		.amdhsa_exception_fp_ieee_div_zero 0
		.amdhsa_exception_fp_ieee_overflow 0
		.amdhsa_exception_fp_ieee_underflow 0
		.amdhsa_exception_fp_ieee_inexact 0
		.amdhsa_exception_int_div_zero 0
	.end_amdhsa_kernel
	.section	.text._ZN7rocprim17ROCPRIM_400000_NS6detail17trampoline_kernelINS0_14default_configENS1_25partition_config_selectorILNS1_17partition_subalgoE2EjNS0_10empty_typeEbEEZZNS1_14partition_implILS5_2ELb0ES3_jN6thrust23THRUST_200600_302600_NS6detail15normal_iteratorINSA_7pointerIjNSA_11hip_rocprim3tagENSA_11use_defaultESG_EEEEPS6_NSA_18transform_iteratorI7is_evenIjENSC_INSA_10device_ptrIjEEEESG_SG_EENS0_5tupleIJPjSJ_EEENSR_IJSJ_SJ_EEES6_PlJS6_EEE10hipError_tPvRmT3_T4_T5_T6_T7_T9_mT8_P12ihipStream_tbDpT10_ENKUlT_T0_E_clISt17integral_constantIbLb0EES1F_EEDaS1A_S1B_EUlS1A_E_NS1_11comp_targetILNS1_3genE5ELNS1_11target_archE942ELNS1_3gpuE9ELNS1_3repE0EEENS1_30default_config_static_selectorELNS0_4arch9wavefront6targetE1EEEvT1_,"axG",@progbits,_ZN7rocprim17ROCPRIM_400000_NS6detail17trampoline_kernelINS0_14default_configENS1_25partition_config_selectorILNS1_17partition_subalgoE2EjNS0_10empty_typeEbEEZZNS1_14partition_implILS5_2ELb0ES3_jN6thrust23THRUST_200600_302600_NS6detail15normal_iteratorINSA_7pointerIjNSA_11hip_rocprim3tagENSA_11use_defaultESG_EEEEPS6_NSA_18transform_iteratorI7is_evenIjENSC_INSA_10device_ptrIjEEEESG_SG_EENS0_5tupleIJPjSJ_EEENSR_IJSJ_SJ_EEES6_PlJS6_EEE10hipError_tPvRmT3_T4_T5_T6_T7_T9_mT8_P12ihipStream_tbDpT10_ENKUlT_T0_E_clISt17integral_constantIbLb0EES1F_EEDaS1A_S1B_EUlS1A_E_NS1_11comp_targetILNS1_3genE5ELNS1_11target_archE942ELNS1_3gpuE9ELNS1_3repE0EEENS1_30default_config_static_selectorELNS0_4arch9wavefront6targetE1EEEvT1_,comdat
.Lfunc_end2038:
	.size	_ZN7rocprim17ROCPRIM_400000_NS6detail17trampoline_kernelINS0_14default_configENS1_25partition_config_selectorILNS1_17partition_subalgoE2EjNS0_10empty_typeEbEEZZNS1_14partition_implILS5_2ELb0ES3_jN6thrust23THRUST_200600_302600_NS6detail15normal_iteratorINSA_7pointerIjNSA_11hip_rocprim3tagENSA_11use_defaultESG_EEEEPS6_NSA_18transform_iteratorI7is_evenIjENSC_INSA_10device_ptrIjEEEESG_SG_EENS0_5tupleIJPjSJ_EEENSR_IJSJ_SJ_EEES6_PlJS6_EEE10hipError_tPvRmT3_T4_T5_T6_T7_T9_mT8_P12ihipStream_tbDpT10_ENKUlT_T0_E_clISt17integral_constantIbLb0EES1F_EEDaS1A_S1B_EUlS1A_E_NS1_11comp_targetILNS1_3genE5ELNS1_11target_archE942ELNS1_3gpuE9ELNS1_3repE0EEENS1_30default_config_static_selectorELNS0_4arch9wavefront6targetE1EEEvT1_, .Lfunc_end2038-_ZN7rocprim17ROCPRIM_400000_NS6detail17trampoline_kernelINS0_14default_configENS1_25partition_config_selectorILNS1_17partition_subalgoE2EjNS0_10empty_typeEbEEZZNS1_14partition_implILS5_2ELb0ES3_jN6thrust23THRUST_200600_302600_NS6detail15normal_iteratorINSA_7pointerIjNSA_11hip_rocprim3tagENSA_11use_defaultESG_EEEEPS6_NSA_18transform_iteratorI7is_evenIjENSC_INSA_10device_ptrIjEEEESG_SG_EENS0_5tupleIJPjSJ_EEENSR_IJSJ_SJ_EEES6_PlJS6_EEE10hipError_tPvRmT3_T4_T5_T6_T7_T9_mT8_P12ihipStream_tbDpT10_ENKUlT_T0_E_clISt17integral_constantIbLb0EES1F_EEDaS1A_S1B_EUlS1A_E_NS1_11comp_targetILNS1_3genE5ELNS1_11target_archE942ELNS1_3gpuE9ELNS1_3repE0EEENS1_30default_config_static_selectorELNS0_4arch9wavefront6targetE1EEEvT1_
                                        ; -- End function
	.section	.AMDGPU.csdata,"",@progbits
; Kernel info:
; codeLenInByte = 8540
; NumSgprs: 52
; NumVgprs: 65
; NumAgprs: 0
; TotalNumVgprs: 65
; ScratchSize: 0
; MemoryBound: 0
; FloatMode: 240
; IeeeMode: 1
; LDSByteSize: 30728 bytes/workgroup (compile time only)
; SGPRBlocks: 6
; VGPRBlocks: 8
; NumSGPRsForWavesPerEU: 52
; NumVGPRsForWavesPerEU: 65
; AccumOffset: 68
; Occupancy: 4
; WaveLimiterHint : 1
; COMPUTE_PGM_RSRC2:SCRATCH_EN: 0
; COMPUTE_PGM_RSRC2:USER_SGPR: 2
; COMPUTE_PGM_RSRC2:TRAP_HANDLER: 0
; COMPUTE_PGM_RSRC2:TGID_X_EN: 1
; COMPUTE_PGM_RSRC2:TGID_Y_EN: 0
; COMPUTE_PGM_RSRC2:TGID_Z_EN: 0
; COMPUTE_PGM_RSRC2:TIDIG_COMP_CNT: 0
; COMPUTE_PGM_RSRC3_GFX90A:ACCUM_OFFSET: 16
; COMPUTE_PGM_RSRC3_GFX90A:TG_SPLIT: 0
	.section	.text._ZN7rocprim17ROCPRIM_400000_NS6detail17trampoline_kernelINS0_14default_configENS1_25partition_config_selectorILNS1_17partition_subalgoE2EjNS0_10empty_typeEbEEZZNS1_14partition_implILS5_2ELb0ES3_jN6thrust23THRUST_200600_302600_NS6detail15normal_iteratorINSA_7pointerIjNSA_11hip_rocprim3tagENSA_11use_defaultESG_EEEEPS6_NSA_18transform_iteratorI7is_evenIjENSC_INSA_10device_ptrIjEEEESG_SG_EENS0_5tupleIJPjSJ_EEENSR_IJSJ_SJ_EEES6_PlJS6_EEE10hipError_tPvRmT3_T4_T5_T6_T7_T9_mT8_P12ihipStream_tbDpT10_ENKUlT_T0_E_clISt17integral_constantIbLb0EES1F_EEDaS1A_S1B_EUlS1A_E_NS1_11comp_targetILNS1_3genE4ELNS1_11target_archE910ELNS1_3gpuE8ELNS1_3repE0EEENS1_30default_config_static_selectorELNS0_4arch9wavefront6targetE1EEEvT1_,"axG",@progbits,_ZN7rocprim17ROCPRIM_400000_NS6detail17trampoline_kernelINS0_14default_configENS1_25partition_config_selectorILNS1_17partition_subalgoE2EjNS0_10empty_typeEbEEZZNS1_14partition_implILS5_2ELb0ES3_jN6thrust23THRUST_200600_302600_NS6detail15normal_iteratorINSA_7pointerIjNSA_11hip_rocprim3tagENSA_11use_defaultESG_EEEEPS6_NSA_18transform_iteratorI7is_evenIjENSC_INSA_10device_ptrIjEEEESG_SG_EENS0_5tupleIJPjSJ_EEENSR_IJSJ_SJ_EEES6_PlJS6_EEE10hipError_tPvRmT3_T4_T5_T6_T7_T9_mT8_P12ihipStream_tbDpT10_ENKUlT_T0_E_clISt17integral_constantIbLb0EES1F_EEDaS1A_S1B_EUlS1A_E_NS1_11comp_targetILNS1_3genE4ELNS1_11target_archE910ELNS1_3gpuE8ELNS1_3repE0EEENS1_30default_config_static_selectorELNS0_4arch9wavefront6targetE1EEEvT1_,comdat
	.protected	_ZN7rocprim17ROCPRIM_400000_NS6detail17trampoline_kernelINS0_14default_configENS1_25partition_config_selectorILNS1_17partition_subalgoE2EjNS0_10empty_typeEbEEZZNS1_14partition_implILS5_2ELb0ES3_jN6thrust23THRUST_200600_302600_NS6detail15normal_iteratorINSA_7pointerIjNSA_11hip_rocprim3tagENSA_11use_defaultESG_EEEEPS6_NSA_18transform_iteratorI7is_evenIjENSC_INSA_10device_ptrIjEEEESG_SG_EENS0_5tupleIJPjSJ_EEENSR_IJSJ_SJ_EEES6_PlJS6_EEE10hipError_tPvRmT3_T4_T5_T6_T7_T9_mT8_P12ihipStream_tbDpT10_ENKUlT_T0_E_clISt17integral_constantIbLb0EES1F_EEDaS1A_S1B_EUlS1A_E_NS1_11comp_targetILNS1_3genE4ELNS1_11target_archE910ELNS1_3gpuE8ELNS1_3repE0EEENS1_30default_config_static_selectorELNS0_4arch9wavefront6targetE1EEEvT1_ ; -- Begin function _ZN7rocprim17ROCPRIM_400000_NS6detail17trampoline_kernelINS0_14default_configENS1_25partition_config_selectorILNS1_17partition_subalgoE2EjNS0_10empty_typeEbEEZZNS1_14partition_implILS5_2ELb0ES3_jN6thrust23THRUST_200600_302600_NS6detail15normal_iteratorINSA_7pointerIjNSA_11hip_rocprim3tagENSA_11use_defaultESG_EEEEPS6_NSA_18transform_iteratorI7is_evenIjENSC_INSA_10device_ptrIjEEEESG_SG_EENS0_5tupleIJPjSJ_EEENSR_IJSJ_SJ_EEES6_PlJS6_EEE10hipError_tPvRmT3_T4_T5_T6_T7_T9_mT8_P12ihipStream_tbDpT10_ENKUlT_T0_E_clISt17integral_constantIbLb0EES1F_EEDaS1A_S1B_EUlS1A_E_NS1_11comp_targetILNS1_3genE4ELNS1_11target_archE910ELNS1_3gpuE8ELNS1_3repE0EEENS1_30default_config_static_selectorELNS0_4arch9wavefront6targetE1EEEvT1_
	.globl	_ZN7rocprim17ROCPRIM_400000_NS6detail17trampoline_kernelINS0_14default_configENS1_25partition_config_selectorILNS1_17partition_subalgoE2EjNS0_10empty_typeEbEEZZNS1_14partition_implILS5_2ELb0ES3_jN6thrust23THRUST_200600_302600_NS6detail15normal_iteratorINSA_7pointerIjNSA_11hip_rocprim3tagENSA_11use_defaultESG_EEEEPS6_NSA_18transform_iteratorI7is_evenIjENSC_INSA_10device_ptrIjEEEESG_SG_EENS0_5tupleIJPjSJ_EEENSR_IJSJ_SJ_EEES6_PlJS6_EEE10hipError_tPvRmT3_T4_T5_T6_T7_T9_mT8_P12ihipStream_tbDpT10_ENKUlT_T0_E_clISt17integral_constantIbLb0EES1F_EEDaS1A_S1B_EUlS1A_E_NS1_11comp_targetILNS1_3genE4ELNS1_11target_archE910ELNS1_3gpuE8ELNS1_3repE0EEENS1_30default_config_static_selectorELNS0_4arch9wavefront6targetE1EEEvT1_
	.p2align	8
	.type	_ZN7rocprim17ROCPRIM_400000_NS6detail17trampoline_kernelINS0_14default_configENS1_25partition_config_selectorILNS1_17partition_subalgoE2EjNS0_10empty_typeEbEEZZNS1_14partition_implILS5_2ELb0ES3_jN6thrust23THRUST_200600_302600_NS6detail15normal_iteratorINSA_7pointerIjNSA_11hip_rocprim3tagENSA_11use_defaultESG_EEEEPS6_NSA_18transform_iteratorI7is_evenIjENSC_INSA_10device_ptrIjEEEESG_SG_EENS0_5tupleIJPjSJ_EEENSR_IJSJ_SJ_EEES6_PlJS6_EEE10hipError_tPvRmT3_T4_T5_T6_T7_T9_mT8_P12ihipStream_tbDpT10_ENKUlT_T0_E_clISt17integral_constantIbLb0EES1F_EEDaS1A_S1B_EUlS1A_E_NS1_11comp_targetILNS1_3genE4ELNS1_11target_archE910ELNS1_3gpuE8ELNS1_3repE0EEENS1_30default_config_static_selectorELNS0_4arch9wavefront6targetE1EEEvT1_,@function
_ZN7rocprim17ROCPRIM_400000_NS6detail17trampoline_kernelINS0_14default_configENS1_25partition_config_selectorILNS1_17partition_subalgoE2EjNS0_10empty_typeEbEEZZNS1_14partition_implILS5_2ELb0ES3_jN6thrust23THRUST_200600_302600_NS6detail15normal_iteratorINSA_7pointerIjNSA_11hip_rocprim3tagENSA_11use_defaultESG_EEEEPS6_NSA_18transform_iteratorI7is_evenIjENSC_INSA_10device_ptrIjEEEESG_SG_EENS0_5tupleIJPjSJ_EEENSR_IJSJ_SJ_EEES6_PlJS6_EEE10hipError_tPvRmT3_T4_T5_T6_T7_T9_mT8_P12ihipStream_tbDpT10_ENKUlT_T0_E_clISt17integral_constantIbLb0EES1F_EEDaS1A_S1B_EUlS1A_E_NS1_11comp_targetILNS1_3genE4ELNS1_11target_archE910ELNS1_3gpuE8ELNS1_3repE0EEENS1_30default_config_static_selectorELNS0_4arch9wavefront6targetE1EEEvT1_: ; @_ZN7rocprim17ROCPRIM_400000_NS6detail17trampoline_kernelINS0_14default_configENS1_25partition_config_selectorILNS1_17partition_subalgoE2EjNS0_10empty_typeEbEEZZNS1_14partition_implILS5_2ELb0ES3_jN6thrust23THRUST_200600_302600_NS6detail15normal_iteratorINSA_7pointerIjNSA_11hip_rocprim3tagENSA_11use_defaultESG_EEEEPS6_NSA_18transform_iteratorI7is_evenIjENSC_INSA_10device_ptrIjEEEESG_SG_EENS0_5tupleIJPjSJ_EEENSR_IJSJ_SJ_EEES6_PlJS6_EEE10hipError_tPvRmT3_T4_T5_T6_T7_T9_mT8_P12ihipStream_tbDpT10_ENKUlT_T0_E_clISt17integral_constantIbLb0EES1F_EEDaS1A_S1B_EUlS1A_E_NS1_11comp_targetILNS1_3genE4ELNS1_11target_archE910ELNS1_3gpuE8ELNS1_3repE0EEENS1_30default_config_static_selectorELNS0_4arch9wavefront6targetE1EEEvT1_
; %bb.0:
	.section	.rodata,"a",@progbits
	.p2align	6, 0x0
	.amdhsa_kernel _ZN7rocprim17ROCPRIM_400000_NS6detail17trampoline_kernelINS0_14default_configENS1_25partition_config_selectorILNS1_17partition_subalgoE2EjNS0_10empty_typeEbEEZZNS1_14partition_implILS5_2ELb0ES3_jN6thrust23THRUST_200600_302600_NS6detail15normal_iteratorINSA_7pointerIjNSA_11hip_rocprim3tagENSA_11use_defaultESG_EEEEPS6_NSA_18transform_iteratorI7is_evenIjENSC_INSA_10device_ptrIjEEEESG_SG_EENS0_5tupleIJPjSJ_EEENSR_IJSJ_SJ_EEES6_PlJS6_EEE10hipError_tPvRmT3_T4_T5_T6_T7_T9_mT8_P12ihipStream_tbDpT10_ENKUlT_T0_E_clISt17integral_constantIbLb0EES1F_EEDaS1A_S1B_EUlS1A_E_NS1_11comp_targetILNS1_3genE4ELNS1_11target_archE910ELNS1_3gpuE8ELNS1_3repE0EEENS1_30default_config_static_selectorELNS0_4arch9wavefront6targetE1EEEvT1_
		.amdhsa_group_segment_fixed_size 0
		.amdhsa_private_segment_fixed_size 0
		.amdhsa_kernarg_size 128
		.amdhsa_user_sgpr_count 2
		.amdhsa_user_sgpr_dispatch_ptr 0
		.amdhsa_user_sgpr_queue_ptr 0
		.amdhsa_user_sgpr_kernarg_segment_ptr 1
		.amdhsa_user_sgpr_dispatch_id 0
		.amdhsa_user_sgpr_kernarg_preload_length 0
		.amdhsa_user_sgpr_kernarg_preload_offset 0
		.amdhsa_user_sgpr_private_segment_size 0
		.amdhsa_uses_dynamic_stack 0
		.amdhsa_enable_private_segment 0
		.amdhsa_system_sgpr_workgroup_id_x 1
		.amdhsa_system_sgpr_workgroup_id_y 0
		.amdhsa_system_sgpr_workgroup_id_z 0
		.amdhsa_system_sgpr_workgroup_info 0
		.amdhsa_system_vgpr_workitem_id 0
		.amdhsa_next_free_vgpr 1
		.amdhsa_next_free_sgpr 0
		.amdhsa_accum_offset 4
		.amdhsa_reserve_vcc 0
		.amdhsa_float_round_mode_32 0
		.amdhsa_float_round_mode_16_64 0
		.amdhsa_float_denorm_mode_32 3
		.amdhsa_float_denorm_mode_16_64 3
		.amdhsa_dx10_clamp 1
		.amdhsa_ieee_mode 1
		.amdhsa_fp16_overflow 0
		.amdhsa_tg_split 0
		.amdhsa_exception_fp_ieee_invalid_op 0
		.amdhsa_exception_fp_denorm_src 0
		.amdhsa_exception_fp_ieee_div_zero 0
		.amdhsa_exception_fp_ieee_overflow 0
		.amdhsa_exception_fp_ieee_underflow 0
		.amdhsa_exception_fp_ieee_inexact 0
		.amdhsa_exception_int_div_zero 0
	.end_amdhsa_kernel
	.section	.text._ZN7rocprim17ROCPRIM_400000_NS6detail17trampoline_kernelINS0_14default_configENS1_25partition_config_selectorILNS1_17partition_subalgoE2EjNS0_10empty_typeEbEEZZNS1_14partition_implILS5_2ELb0ES3_jN6thrust23THRUST_200600_302600_NS6detail15normal_iteratorINSA_7pointerIjNSA_11hip_rocprim3tagENSA_11use_defaultESG_EEEEPS6_NSA_18transform_iteratorI7is_evenIjENSC_INSA_10device_ptrIjEEEESG_SG_EENS0_5tupleIJPjSJ_EEENSR_IJSJ_SJ_EEES6_PlJS6_EEE10hipError_tPvRmT3_T4_T5_T6_T7_T9_mT8_P12ihipStream_tbDpT10_ENKUlT_T0_E_clISt17integral_constantIbLb0EES1F_EEDaS1A_S1B_EUlS1A_E_NS1_11comp_targetILNS1_3genE4ELNS1_11target_archE910ELNS1_3gpuE8ELNS1_3repE0EEENS1_30default_config_static_selectorELNS0_4arch9wavefront6targetE1EEEvT1_,"axG",@progbits,_ZN7rocprim17ROCPRIM_400000_NS6detail17trampoline_kernelINS0_14default_configENS1_25partition_config_selectorILNS1_17partition_subalgoE2EjNS0_10empty_typeEbEEZZNS1_14partition_implILS5_2ELb0ES3_jN6thrust23THRUST_200600_302600_NS6detail15normal_iteratorINSA_7pointerIjNSA_11hip_rocprim3tagENSA_11use_defaultESG_EEEEPS6_NSA_18transform_iteratorI7is_evenIjENSC_INSA_10device_ptrIjEEEESG_SG_EENS0_5tupleIJPjSJ_EEENSR_IJSJ_SJ_EEES6_PlJS6_EEE10hipError_tPvRmT3_T4_T5_T6_T7_T9_mT8_P12ihipStream_tbDpT10_ENKUlT_T0_E_clISt17integral_constantIbLb0EES1F_EEDaS1A_S1B_EUlS1A_E_NS1_11comp_targetILNS1_3genE4ELNS1_11target_archE910ELNS1_3gpuE8ELNS1_3repE0EEENS1_30default_config_static_selectorELNS0_4arch9wavefront6targetE1EEEvT1_,comdat
.Lfunc_end2039:
	.size	_ZN7rocprim17ROCPRIM_400000_NS6detail17trampoline_kernelINS0_14default_configENS1_25partition_config_selectorILNS1_17partition_subalgoE2EjNS0_10empty_typeEbEEZZNS1_14partition_implILS5_2ELb0ES3_jN6thrust23THRUST_200600_302600_NS6detail15normal_iteratorINSA_7pointerIjNSA_11hip_rocprim3tagENSA_11use_defaultESG_EEEEPS6_NSA_18transform_iteratorI7is_evenIjENSC_INSA_10device_ptrIjEEEESG_SG_EENS0_5tupleIJPjSJ_EEENSR_IJSJ_SJ_EEES6_PlJS6_EEE10hipError_tPvRmT3_T4_T5_T6_T7_T9_mT8_P12ihipStream_tbDpT10_ENKUlT_T0_E_clISt17integral_constantIbLb0EES1F_EEDaS1A_S1B_EUlS1A_E_NS1_11comp_targetILNS1_3genE4ELNS1_11target_archE910ELNS1_3gpuE8ELNS1_3repE0EEENS1_30default_config_static_selectorELNS0_4arch9wavefront6targetE1EEEvT1_, .Lfunc_end2039-_ZN7rocprim17ROCPRIM_400000_NS6detail17trampoline_kernelINS0_14default_configENS1_25partition_config_selectorILNS1_17partition_subalgoE2EjNS0_10empty_typeEbEEZZNS1_14partition_implILS5_2ELb0ES3_jN6thrust23THRUST_200600_302600_NS6detail15normal_iteratorINSA_7pointerIjNSA_11hip_rocprim3tagENSA_11use_defaultESG_EEEEPS6_NSA_18transform_iteratorI7is_evenIjENSC_INSA_10device_ptrIjEEEESG_SG_EENS0_5tupleIJPjSJ_EEENSR_IJSJ_SJ_EEES6_PlJS6_EEE10hipError_tPvRmT3_T4_T5_T6_T7_T9_mT8_P12ihipStream_tbDpT10_ENKUlT_T0_E_clISt17integral_constantIbLb0EES1F_EEDaS1A_S1B_EUlS1A_E_NS1_11comp_targetILNS1_3genE4ELNS1_11target_archE910ELNS1_3gpuE8ELNS1_3repE0EEENS1_30default_config_static_selectorELNS0_4arch9wavefront6targetE1EEEvT1_
                                        ; -- End function
	.section	.AMDGPU.csdata,"",@progbits
; Kernel info:
; codeLenInByte = 0
; NumSgprs: 6
; NumVgprs: 0
; NumAgprs: 0
; TotalNumVgprs: 0
; ScratchSize: 0
; MemoryBound: 0
; FloatMode: 240
; IeeeMode: 1
; LDSByteSize: 0 bytes/workgroup (compile time only)
; SGPRBlocks: 0
; VGPRBlocks: 0
; NumSGPRsForWavesPerEU: 6
; NumVGPRsForWavesPerEU: 1
; AccumOffset: 4
; Occupancy: 8
; WaveLimiterHint : 0
; COMPUTE_PGM_RSRC2:SCRATCH_EN: 0
; COMPUTE_PGM_RSRC2:USER_SGPR: 2
; COMPUTE_PGM_RSRC2:TRAP_HANDLER: 0
; COMPUTE_PGM_RSRC2:TGID_X_EN: 1
; COMPUTE_PGM_RSRC2:TGID_Y_EN: 0
; COMPUTE_PGM_RSRC2:TGID_Z_EN: 0
; COMPUTE_PGM_RSRC2:TIDIG_COMP_CNT: 0
; COMPUTE_PGM_RSRC3_GFX90A:ACCUM_OFFSET: 0
; COMPUTE_PGM_RSRC3_GFX90A:TG_SPLIT: 0
	.section	.text._ZN7rocprim17ROCPRIM_400000_NS6detail17trampoline_kernelINS0_14default_configENS1_25partition_config_selectorILNS1_17partition_subalgoE2EjNS0_10empty_typeEbEEZZNS1_14partition_implILS5_2ELb0ES3_jN6thrust23THRUST_200600_302600_NS6detail15normal_iteratorINSA_7pointerIjNSA_11hip_rocprim3tagENSA_11use_defaultESG_EEEEPS6_NSA_18transform_iteratorI7is_evenIjENSC_INSA_10device_ptrIjEEEESG_SG_EENS0_5tupleIJPjSJ_EEENSR_IJSJ_SJ_EEES6_PlJS6_EEE10hipError_tPvRmT3_T4_T5_T6_T7_T9_mT8_P12ihipStream_tbDpT10_ENKUlT_T0_E_clISt17integral_constantIbLb0EES1F_EEDaS1A_S1B_EUlS1A_E_NS1_11comp_targetILNS1_3genE3ELNS1_11target_archE908ELNS1_3gpuE7ELNS1_3repE0EEENS1_30default_config_static_selectorELNS0_4arch9wavefront6targetE1EEEvT1_,"axG",@progbits,_ZN7rocprim17ROCPRIM_400000_NS6detail17trampoline_kernelINS0_14default_configENS1_25partition_config_selectorILNS1_17partition_subalgoE2EjNS0_10empty_typeEbEEZZNS1_14partition_implILS5_2ELb0ES3_jN6thrust23THRUST_200600_302600_NS6detail15normal_iteratorINSA_7pointerIjNSA_11hip_rocprim3tagENSA_11use_defaultESG_EEEEPS6_NSA_18transform_iteratorI7is_evenIjENSC_INSA_10device_ptrIjEEEESG_SG_EENS0_5tupleIJPjSJ_EEENSR_IJSJ_SJ_EEES6_PlJS6_EEE10hipError_tPvRmT3_T4_T5_T6_T7_T9_mT8_P12ihipStream_tbDpT10_ENKUlT_T0_E_clISt17integral_constantIbLb0EES1F_EEDaS1A_S1B_EUlS1A_E_NS1_11comp_targetILNS1_3genE3ELNS1_11target_archE908ELNS1_3gpuE7ELNS1_3repE0EEENS1_30default_config_static_selectorELNS0_4arch9wavefront6targetE1EEEvT1_,comdat
	.protected	_ZN7rocprim17ROCPRIM_400000_NS6detail17trampoline_kernelINS0_14default_configENS1_25partition_config_selectorILNS1_17partition_subalgoE2EjNS0_10empty_typeEbEEZZNS1_14partition_implILS5_2ELb0ES3_jN6thrust23THRUST_200600_302600_NS6detail15normal_iteratorINSA_7pointerIjNSA_11hip_rocprim3tagENSA_11use_defaultESG_EEEEPS6_NSA_18transform_iteratorI7is_evenIjENSC_INSA_10device_ptrIjEEEESG_SG_EENS0_5tupleIJPjSJ_EEENSR_IJSJ_SJ_EEES6_PlJS6_EEE10hipError_tPvRmT3_T4_T5_T6_T7_T9_mT8_P12ihipStream_tbDpT10_ENKUlT_T0_E_clISt17integral_constantIbLb0EES1F_EEDaS1A_S1B_EUlS1A_E_NS1_11comp_targetILNS1_3genE3ELNS1_11target_archE908ELNS1_3gpuE7ELNS1_3repE0EEENS1_30default_config_static_selectorELNS0_4arch9wavefront6targetE1EEEvT1_ ; -- Begin function _ZN7rocprim17ROCPRIM_400000_NS6detail17trampoline_kernelINS0_14default_configENS1_25partition_config_selectorILNS1_17partition_subalgoE2EjNS0_10empty_typeEbEEZZNS1_14partition_implILS5_2ELb0ES3_jN6thrust23THRUST_200600_302600_NS6detail15normal_iteratorINSA_7pointerIjNSA_11hip_rocprim3tagENSA_11use_defaultESG_EEEEPS6_NSA_18transform_iteratorI7is_evenIjENSC_INSA_10device_ptrIjEEEESG_SG_EENS0_5tupleIJPjSJ_EEENSR_IJSJ_SJ_EEES6_PlJS6_EEE10hipError_tPvRmT3_T4_T5_T6_T7_T9_mT8_P12ihipStream_tbDpT10_ENKUlT_T0_E_clISt17integral_constantIbLb0EES1F_EEDaS1A_S1B_EUlS1A_E_NS1_11comp_targetILNS1_3genE3ELNS1_11target_archE908ELNS1_3gpuE7ELNS1_3repE0EEENS1_30default_config_static_selectorELNS0_4arch9wavefront6targetE1EEEvT1_
	.globl	_ZN7rocprim17ROCPRIM_400000_NS6detail17trampoline_kernelINS0_14default_configENS1_25partition_config_selectorILNS1_17partition_subalgoE2EjNS0_10empty_typeEbEEZZNS1_14partition_implILS5_2ELb0ES3_jN6thrust23THRUST_200600_302600_NS6detail15normal_iteratorINSA_7pointerIjNSA_11hip_rocprim3tagENSA_11use_defaultESG_EEEEPS6_NSA_18transform_iteratorI7is_evenIjENSC_INSA_10device_ptrIjEEEESG_SG_EENS0_5tupleIJPjSJ_EEENSR_IJSJ_SJ_EEES6_PlJS6_EEE10hipError_tPvRmT3_T4_T5_T6_T7_T9_mT8_P12ihipStream_tbDpT10_ENKUlT_T0_E_clISt17integral_constantIbLb0EES1F_EEDaS1A_S1B_EUlS1A_E_NS1_11comp_targetILNS1_3genE3ELNS1_11target_archE908ELNS1_3gpuE7ELNS1_3repE0EEENS1_30default_config_static_selectorELNS0_4arch9wavefront6targetE1EEEvT1_
	.p2align	8
	.type	_ZN7rocprim17ROCPRIM_400000_NS6detail17trampoline_kernelINS0_14default_configENS1_25partition_config_selectorILNS1_17partition_subalgoE2EjNS0_10empty_typeEbEEZZNS1_14partition_implILS5_2ELb0ES3_jN6thrust23THRUST_200600_302600_NS6detail15normal_iteratorINSA_7pointerIjNSA_11hip_rocprim3tagENSA_11use_defaultESG_EEEEPS6_NSA_18transform_iteratorI7is_evenIjENSC_INSA_10device_ptrIjEEEESG_SG_EENS0_5tupleIJPjSJ_EEENSR_IJSJ_SJ_EEES6_PlJS6_EEE10hipError_tPvRmT3_T4_T5_T6_T7_T9_mT8_P12ihipStream_tbDpT10_ENKUlT_T0_E_clISt17integral_constantIbLb0EES1F_EEDaS1A_S1B_EUlS1A_E_NS1_11comp_targetILNS1_3genE3ELNS1_11target_archE908ELNS1_3gpuE7ELNS1_3repE0EEENS1_30default_config_static_selectorELNS0_4arch9wavefront6targetE1EEEvT1_,@function
_ZN7rocprim17ROCPRIM_400000_NS6detail17trampoline_kernelINS0_14default_configENS1_25partition_config_selectorILNS1_17partition_subalgoE2EjNS0_10empty_typeEbEEZZNS1_14partition_implILS5_2ELb0ES3_jN6thrust23THRUST_200600_302600_NS6detail15normal_iteratorINSA_7pointerIjNSA_11hip_rocprim3tagENSA_11use_defaultESG_EEEEPS6_NSA_18transform_iteratorI7is_evenIjENSC_INSA_10device_ptrIjEEEESG_SG_EENS0_5tupleIJPjSJ_EEENSR_IJSJ_SJ_EEES6_PlJS6_EEE10hipError_tPvRmT3_T4_T5_T6_T7_T9_mT8_P12ihipStream_tbDpT10_ENKUlT_T0_E_clISt17integral_constantIbLb0EES1F_EEDaS1A_S1B_EUlS1A_E_NS1_11comp_targetILNS1_3genE3ELNS1_11target_archE908ELNS1_3gpuE7ELNS1_3repE0EEENS1_30default_config_static_selectorELNS0_4arch9wavefront6targetE1EEEvT1_: ; @_ZN7rocprim17ROCPRIM_400000_NS6detail17trampoline_kernelINS0_14default_configENS1_25partition_config_selectorILNS1_17partition_subalgoE2EjNS0_10empty_typeEbEEZZNS1_14partition_implILS5_2ELb0ES3_jN6thrust23THRUST_200600_302600_NS6detail15normal_iteratorINSA_7pointerIjNSA_11hip_rocprim3tagENSA_11use_defaultESG_EEEEPS6_NSA_18transform_iteratorI7is_evenIjENSC_INSA_10device_ptrIjEEEESG_SG_EENS0_5tupleIJPjSJ_EEENSR_IJSJ_SJ_EEES6_PlJS6_EEE10hipError_tPvRmT3_T4_T5_T6_T7_T9_mT8_P12ihipStream_tbDpT10_ENKUlT_T0_E_clISt17integral_constantIbLb0EES1F_EEDaS1A_S1B_EUlS1A_E_NS1_11comp_targetILNS1_3genE3ELNS1_11target_archE908ELNS1_3gpuE7ELNS1_3repE0EEENS1_30default_config_static_selectorELNS0_4arch9wavefront6targetE1EEEvT1_
; %bb.0:
	.section	.rodata,"a",@progbits
	.p2align	6, 0x0
	.amdhsa_kernel _ZN7rocprim17ROCPRIM_400000_NS6detail17trampoline_kernelINS0_14default_configENS1_25partition_config_selectorILNS1_17partition_subalgoE2EjNS0_10empty_typeEbEEZZNS1_14partition_implILS5_2ELb0ES3_jN6thrust23THRUST_200600_302600_NS6detail15normal_iteratorINSA_7pointerIjNSA_11hip_rocprim3tagENSA_11use_defaultESG_EEEEPS6_NSA_18transform_iteratorI7is_evenIjENSC_INSA_10device_ptrIjEEEESG_SG_EENS0_5tupleIJPjSJ_EEENSR_IJSJ_SJ_EEES6_PlJS6_EEE10hipError_tPvRmT3_T4_T5_T6_T7_T9_mT8_P12ihipStream_tbDpT10_ENKUlT_T0_E_clISt17integral_constantIbLb0EES1F_EEDaS1A_S1B_EUlS1A_E_NS1_11comp_targetILNS1_3genE3ELNS1_11target_archE908ELNS1_3gpuE7ELNS1_3repE0EEENS1_30default_config_static_selectorELNS0_4arch9wavefront6targetE1EEEvT1_
		.amdhsa_group_segment_fixed_size 0
		.amdhsa_private_segment_fixed_size 0
		.amdhsa_kernarg_size 128
		.amdhsa_user_sgpr_count 2
		.amdhsa_user_sgpr_dispatch_ptr 0
		.amdhsa_user_sgpr_queue_ptr 0
		.amdhsa_user_sgpr_kernarg_segment_ptr 1
		.amdhsa_user_sgpr_dispatch_id 0
		.amdhsa_user_sgpr_kernarg_preload_length 0
		.amdhsa_user_sgpr_kernarg_preload_offset 0
		.amdhsa_user_sgpr_private_segment_size 0
		.amdhsa_uses_dynamic_stack 0
		.amdhsa_enable_private_segment 0
		.amdhsa_system_sgpr_workgroup_id_x 1
		.amdhsa_system_sgpr_workgroup_id_y 0
		.amdhsa_system_sgpr_workgroup_id_z 0
		.amdhsa_system_sgpr_workgroup_info 0
		.amdhsa_system_vgpr_workitem_id 0
		.amdhsa_next_free_vgpr 1
		.amdhsa_next_free_sgpr 0
		.amdhsa_accum_offset 4
		.amdhsa_reserve_vcc 0
		.amdhsa_float_round_mode_32 0
		.amdhsa_float_round_mode_16_64 0
		.amdhsa_float_denorm_mode_32 3
		.amdhsa_float_denorm_mode_16_64 3
		.amdhsa_dx10_clamp 1
		.amdhsa_ieee_mode 1
		.amdhsa_fp16_overflow 0
		.amdhsa_tg_split 0
		.amdhsa_exception_fp_ieee_invalid_op 0
		.amdhsa_exception_fp_denorm_src 0
		.amdhsa_exception_fp_ieee_div_zero 0
		.amdhsa_exception_fp_ieee_overflow 0
		.amdhsa_exception_fp_ieee_underflow 0
		.amdhsa_exception_fp_ieee_inexact 0
		.amdhsa_exception_int_div_zero 0
	.end_amdhsa_kernel
	.section	.text._ZN7rocprim17ROCPRIM_400000_NS6detail17trampoline_kernelINS0_14default_configENS1_25partition_config_selectorILNS1_17partition_subalgoE2EjNS0_10empty_typeEbEEZZNS1_14partition_implILS5_2ELb0ES3_jN6thrust23THRUST_200600_302600_NS6detail15normal_iteratorINSA_7pointerIjNSA_11hip_rocprim3tagENSA_11use_defaultESG_EEEEPS6_NSA_18transform_iteratorI7is_evenIjENSC_INSA_10device_ptrIjEEEESG_SG_EENS0_5tupleIJPjSJ_EEENSR_IJSJ_SJ_EEES6_PlJS6_EEE10hipError_tPvRmT3_T4_T5_T6_T7_T9_mT8_P12ihipStream_tbDpT10_ENKUlT_T0_E_clISt17integral_constantIbLb0EES1F_EEDaS1A_S1B_EUlS1A_E_NS1_11comp_targetILNS1_3genE3ELNS1_11target_archE908ELNS1_3gpuE7ELNS1_3repE0EEENS1_30default_config_static_selectorELNS0_4arch9wavefront6targetE1EEEvT1_,"axG",@progbits,_ZN7rocprim17ROCPRIM_400000_NS6detail17trampoline_kernelINS0_14default_configENS1_25partition_config_selectorILNS1_17partition_subalgoE2EjNS0_10empty_typeEbEEZZNS1_14partition_implILS5_2ELb0ES3_jN6thrust23THRUST_200600_302600_NS6detail15normal_iteratorINSA_7pointerIjNSA_11hip_rocprim3tagENSA_11use_defaultESG_EEEEPS6_NSA_18transform_iteratorI7is_evenIjENSC_INSA_10device_ptrIjEEEESG_SG_EENS0_5tupleIJPjSJ_EEENSR_IJSJ_SJ_EEES6_PlJS6_EEE10hipError_tPvRmT3_T4_T5_T6_T7_T9_mT8_P12ihipStream_tbDpT10_ENKUlT_T0_E_clISt17integral_constantIbLb0EES1F_EEDaS1A_S1B_EUlS1A_E_NS1_11comp_targetILNS1_3genE3ELNS1_11target_archE908ELNS1_3gpuE7ELNS1_3repE0EEENS1_30default_config_static_selectorELNS0_4arch9wavefront6targetE1EEEvT1_,comdat
.Lfunc_end2040:
	.size	_ZN7rocprim17ROCPRIM_400000_NS6detail17trampoline_kernelINS0_14default_configENS1_25partition_config_selectorILNS1_17partition_subalgoE2EjNS0_10empty_typeEbEEZZNS1_14partition_implILS5_2ELb0ES3_jN6thrust23THRUST_200600_302600_NS6detail15normal_iteratorINSA_7pointerIjNSA_11hip_rocprim3tagENSA_11use_defaultESG_EEEEPS6_NSA_18transform_iteratorI7is_evenIjENSC_INSA_10device_ptrIjEEEESG_SG_EENS0_5tupleIJPjSJ_EEENSR_IJSJ_SJ_EEES6_PlJS6_EEE10hipError_tPvRmT3_T4_T5_T6_T7_T9_mT8_P12ihipStream_tbDpT10_ENKUlT_T0_E_clISt17integral_constantIbLb0EES1F_EEDaS1A_S1B_EUlS1A_E_NS1_11comp_targetILNS1_3genE3ELNS1_11target_archE908ELNS1_3gpuE7ELNS1_3repE0EEENS1_30default_config_static_selectorELNS0_4arch9wavefront6targetE1EEEvT1_, .Lfunc_end2040-_ZN7rocprim17ROCPRIM_400000_NS6detail17trampoline_kernelINS0_14default_configENS1_25partition_config_selectorILNS1_17partition_subalgoE2EjNS0_10empty_typeEbEEZZNS1_14partition_implILS5_2ELb0ES3_jN6thrust23THRUST_200600_302600_NS6detail15normal_iteratorINSA_7pointerIjNSA_11hip_rocprim3tagENSA_11use_defaultESG_EEEEPS6_NSA_18transform_iteratorI7is_evenIjENSC_INSA_10device_ptrIjEEEESG_SG_EENS0_5tupleIJPjSJ_EEENSR_IJSJ_SJ_EEES6_PlJS6_EEE10hipError_tPvRmT3_T4_T5_T6_T7_T9_mT8_P12ihipStream_tbDpT10_ENKUlT_T0_E_clISt17integral_constantIbLb0EES1F_EEDaS1A_S1B_EUlS1A_E_NS1_11comp_targetILNS1_3genE3ELNS1_11target_archE908ELNS1_3gpuE7ELNS1_3repE0EEENS1_30default_config_static_selectorELNS0_4arch9wavefront6targetE1EEEvT1_
                                        ; -- End function
	.section	.AMDGPU.csdata,"",@progbits
; Kernel info:
; codeLenInByte = 0
; NumSgprs: 6
; NumVgprs: 0
; NumAgprs: 0
; TotalNumVgprs: 0
; ScratchSize: 0
; MemoryBound: 0
; FloatMode: 240
; IeeeMode: 1
; LDSByteSize: 0 bytes/workgroup (compile time only)
; SGPRBlocks: 0
; VGPRBlocks: 0
; NumSGPRsForWavesPerEU: 6
; NumVGPRsForWavesPerEU: 1
; AccumOffset: 4
; Occupancy: 8
; WaveLimiterHint : 0
; COMPUTE_PGM_RSRC2:SCRATCH_EN: 0
; COMPUTE_PGM_RSRC2:USER_SGPR: 2
; COMPUTE_PGM_RSRC2:TRAP_HANDLER: 0
; COMPUTE_PGM_RSRC2:TGID_X_EN: 1
; COMPUTE_PGM_RSRC2:TGID_Y_EN: 0
; COMPUTE_PGM_RSRC2:TGID_Z_EN: 0
; COMPUTE_PGM_RSRC2:TIDIG_COMP_CNT: 0
; COMPUTE_PGM_RSRC3_GFX90A:ACCUM_OFFSET: 0
; COMPUTE_PGM_RSRC3_GFX90A:TG_SPLIT: 0
	.section	.text._ZN7rocprim17ROCPRIM_400000_NS6detail17trampoline_kernelINS0_14default_configENS1_25partition_config_selectorILNS1_17partition_subalgoE2EjNS0_10empty_typeEbEEZZNS1_14partition_implILS5_2ELb0ES3_jN6thrust23THRUST_200600_302600_NS6detail15normal_iteratorINSA_7pointerIjNSA_11hip_rocprim3tagENSA_11use_defaultESG_EEEEPS6_NSA_18transform_iteratorI7is_evenIjENSC_INSA_10device_ptrIjEEEESG_SG_EENS0_5tupleIJPjSJ_EEENSR_IJSJ_SJ_EEES6_PlJS6_EEE10hipError_tPvRmT3_T4_T5_T6_T7_T9_mT8_P12ihipStream_tbDpT10_ENKUlT_T0_E_clISt17integral_constantIbLb0EES1F_EEDaS1A_S1B_EUlS1A_E_NS1_11comp_targetILNS1_3genE2ELNS1_11target_archE906ELNS1_3gpuE6ELNS1_3repE0EEENS1_30default_config_static_selectorELNS0_4arch9wavefront6targetE1EEEvT1_,"axG",@progbits,_ZN7rocprim17ROCPRIM_400000_NS6detail17trampoline_kernelINS0_14default_configENS1_25partition_config_selectorILNS1_17partition_subalgoE2EjNS0_10empty_typeEbEEZZNS1_14partition_implILS5_2ELb0ES3_jN6thrust23THRUST_200600_302600_NS6detail15normal_iteratorINSA_7pointerIjNSA_11hip_rocprim3tagENSA_11use_defaultESG_EEEEPS6_NSA_18transform_iteratorI7is_evenIjENSC_INSA_10device_ptrIjEEEESG_SG_EENS0_5tupleIJPjSJ_EEENSR_IJSJ_SJ_EEES6_PlJS6_EEE10hipError_tPvRmT3_T4_T5_T6_T7_T9_mT8_P12ihipStream_tbDpT10_ENKUlT_T0_E_clISt17integral_constantIbLb0EES1F_EEDaS1A_S1B_EUlS1A_E_NS1_11comp_targetILNS1_3genE2ELNS1_11target_archE906ELNS1_3gpuE6ELNS1_3repE0EEENS1_30default_config_static_selectorELNS0_4arch9wavefront6targetE1EEEvT1_,comdat
	.protected	_ZN7rocprim17ROCPRIM_400000_NS6detail17trampoline_kernelINS0_14default_configENS1_25partition_config_selectorILNS1_17partition_subalgoE2EjNS0_10empty_typeEbEEZZNS1_14partition_implILS5_2ELb0ES3_jN6thrust23THRUST_200600_302600_NS6detail15normal_iteratorINSA_7pointerIjNSA_11hip_rocprim3tagENSA_11use_defaultESG_EEEEPS6_NSA_18transform_iteratorI7is_evenIjENSC_INSA_10device_ptrIjEEEESG_SG_EENS0_5tupleIJPjSJ_EEENSR_IJSJ_SJ_EEES6_PlJS6_EEE10hipError_tPvRmT3_T4_T5_T6_T7_T9_mT8_P12ihipStream_tbDpT10_ENKUlT_T0_E_clISt17integral_constantIbLb0EES1F_EEDaS1A_S1B_EUlS1A_E_NS1_11comp_targetILNS1_3genE2ELNS1_11target_archE906ELNS1_3gpuE6ELNS1_3repE0EEENS1_30default_config_static_selectorELNS0_4arch9wavefront6targetE1EEEvT1_ ; -- Begin function _ZN7rocprim17ROCPRIM_400000_NS6detail17trampoline_kernelINS0_14default_configENS1_25partition_config_selectorILNS1_17partition_subalgoE2EjNS0_10empty_typeEbEEZZNS1_14partition_implILS5_2ELb0ES3_jN6thrust23THRUST_200600_302600_NS6detail15normal_iteratorINSA_7pointerIjNSA_11hip_rocprim3tagENSA_11use_defaultESG_EEEEPS6_NSA_18transform_iteratorI7is_evenIjENSC_INSA_10device_ptrIjEEEESG_SG_EENS0_5tupleIJPjSJ_EEENSR_IJSJ_SJ_EEES6_PlJS6_EEE10hipError_tPvRmT3_T4_T5_T6_T7_T9_mT8_P12ihipStream_tbDpT10_ENKUlT_T0_E_clISt17integral_constantIbLb0EES1F_EEDaS1A_S1B_EUlS1A_E_NS1_11comp_targetILNS1_3genE2ELNS1_11target_archE906ELNS1_3gpuE6ELNS1_3repE0EEENS1_30default_config_static_selectorELNS0_4arch9wavefront6targetE1EEEvT1_
	.globl	_ZN7rocprim17ROCPRIM_400000_NS6detail17trampoline_kernelINS0_14default_configENS1_25partition_config_selectorILNS1_17partition_subalgoE2EjNS0_10empty_typeEbEEZZNS1_14partition_implILS5_2ELb0ES3_jN6thrust23THRUST_200600_302600_NS6detail15normal_iteratorINSA_7pointerIjNSA_11hip_rocprim3tagENSA_11use_defaultESG_EEEEPS6_NSA_18transform_iteratorI7is_evenIjENSC_INSA_10device_ptrIjEEEESG_SG_EENS0_5tupleIJPjSJ_EEENSR_IJSJ_SJ_EEES6_PlJS6_EEE10hipError_tPvRmT3_T4_T5_T6_T7_T9_mT8_P12ihipStream_tbDpT10_ENKUlT_T0_E_clISt17integral_constantIbLb0EES1F_EEDaS1A_S1B_EUlS1A_E_NS1_11comp_targetILNS1_3genE2ELNS1_11target_archE906ELNS1_3gpuE6ELNS1_3repE0EEENS1_30default_config_static_selectorELNS0_4arch9wavefront6targetE1EEEvT1_
	.p2align	8
	.type	_ZN7rocprim17ROCPRIM_400000_NS6detail17trampoline_kernelINS0_14default_configENS1_25partition_config_selectorILNS1_17partition_subalgoE2EjNS0_10empty_typeEbEEZZNS1_14partition_implILS5_2ELb0ES3_jN6thrust23THRUST_200600_302600_NS6detail15normal_iteratorINSA_7pointerIjNSA_11hip_rocprim3tagENSA_11use_defaultESG_EEEEPS6_NSA_18transform_iteratorI7is_evenIjENSC_INSA_10device_ptrIjEEEESG_SG_EENS0_5tupleIJPjSJ_EEENSR_IJSJ_SJ_EEES6_PlJS6_EEE10hipError_tPvRmT3_T4_T5_T6_T7_T9_mT8_P12ihipStream_tbDpT10_ENKUlT_T0_E_clISt17integral_constantIbLb0EES1F_EEDaS1A_S1B_EUlS1A_E_NS1_11comp_targetILNS1_3genE2ELNS1_11target_archE906ELNS1_3gpuE6ELNS1_3repE0EEENS1_30default_config_static_selectorELNS0_4arch9wavefront6targetE1EEEvT1_,@function
_ZN7rocprim17ROCPRIM_400000_NS6detail17trampoline_kernelINS0_14default_configENS1_25partition_config_selectorILNS1_17partition_subalgoE2EjNS0_10empty_typeEbEEZZNS1_14partition_implILS5_2ELb0ES3_jN6thrust23THRUST_200600_302600_NS6detail15normal_iteratorINSA_7pointerIjNSA_11hip_rocprim3tagENSA_11use_defaultESG_EEEEPS6_NSA_18transform_iteratorI7is_evenIjENSC_INSA_10device_ptrIjEEEESG_SG_EENS0_5tupleIJPjSJ_EEENSR_IJSJ_SJ_EEES6_PlJS6_EEE10hipError_tPvRmT3_T4_T5_T6_T7_T9_mT8_P12ihipStream_tbDpT10_ENKUlT_T0_E_clISt17integral_constantIbLb0EES1F_EEDaS1A_S1B_EUlS1A_E_NS1_11comp_targetILNS1_3genE2ELNS1_11target_archE906ELNS1_3gpuE6ELNS1_3repE0EEENS1_30default_config_static_selectorELNS0_4arch9wavefront6targetE1EEEvT1_: ; @_ZN7rocprim17ROCPRIM_400000_NS6detail17trampoline_kernelINS0_14default_configENS1_25partition_config_selectorILNS1_17partition_subalgoE2EjNS0_10empty_typeEbEEZZNS1_14partition_implILS5_2ELb0ES3_jN6thrust23THRUST_200600_302600_NS6detail15normal_iteratorINSA_7pointerIjNSA_11hip_rocprim3tagENSA_11use_defaultESG_EEEEPS6_NSA_18transform_iteratorI7is_evenIjENSC_INSA_10device_ptrIjEEEESG_SG_EENS0_5tupleIJPjSJ_EEENSR_IJSJ_SJ_EEES6_PlJS6_EEE10hipError_tPvRmT3_T4_T5_T6_T7_T9_mT8_P12ihipStream_tbDpT10_ENKUlT_T0_E_clISt17integral_constantIbLb0EES1F_EEDaS1A_S1B_EUlS1A_E_NS1_11comp_targetILNS1_3genE2ELNS1_11target_archE906ELNS1_3gpuE6ELNS1_3repE0EEENS1_30default_config_static_selectorELNS0_4arch9wavefront6targetE1EEEvT1_
; %bb.0:
	.section	.rodata,"a",@progbits
	.p2align	6, 0x0
	.amdhsa_kernel _ZN7rocprim17ROCPRIM_400000_NS6detail17trampoline_kernelINS0_14default_configENS1_25partition_config_selectorILNS1_17partition_subalgoE2EjNS0_10empty_typeEbEEZZNS1_14partition_implILS5_2ELb0ES3_jN6thrust23THRUST_200600_302600_NS6detail15normal_iteratorINSA_7pointerIjNSA_11hip_rocprim3tagENSA_11use_defaultESG_EEEEPS6_NSA_18transform_iteratorI7is_evenIjENSC_INSA_10device_ptrIjEEEESG_SG_EENS0_5tupleIJPjSJ_EEENSR_IJSJ_SJ_EEES6_PlJS6_EEE10hipError_tPvRmT3_T4_T5_T6_T7_T9_mT8_P12ihipStream_tbDpT10_ENKUlT_T0_E_clISt17integral_constantIbLb0EES1F_EEDaS1A_S1B_EUlS1A_E_NS1_11comp_targetILNS1_3genE2ELNS1_11target_archE906ELNS1_3gpuE6ELNS1_3repE0EEENS1_30default_config_static_selectorELNS0_4arch9wavefront6targetE1EEEvT1_
		.amdhsa_group_segment_fixed_size 0
		.amdhsa_private_segment_fixed_size 0
		.amdhsa_kernarg_size 128
		.amdhsa_user_sgpr_count 2
		.amdhsa_user_sgpr_dispatch_ptr 0
		.amdhsa_user_sgpr_queue_ptr 0
		.amdhsa_user_sgpr_kernarg_segment_ptr 1
		.amdhsa_user_sgpr_dispatch_id 0
		.amdhsa_user_sgpr_kernarg_preload_length 0
		.amdhsa_user_sgpr_kernarg_preload_offset 0
		.amdhsa_user_sgpr_private_segment_size 0
		.amdhsa_uses_dynamic_stack 0
		.amdhsa_enable_private_segment 0
		.amdhsa_system_sgpr_workgroup_id_x 1
		.amdhsa_system_sgpr_workgroup_id_y 0
		.amdhsa_system_sgpr_workgroup_id_z 0
		.amdhsa_system_sgpr_workgroup_info 0
		.amdhsa_system_vgpr_workitem_id 0
		.amdhsa_next_free_vgpr 1
		.amdhsa_next_free_sgpr 0
		.amdhsa_accum_offset 4
		.amdhsa_reserve_vcc 0
		.amdhsa_float_round_mode_32 0
		.amdhsa_float_round_mode_16_64 0
		.amdhsa_float_denorm_mode_32 3
		.amdhsa_float_denorm_mode_16_64 3
		.amdhsa_dx10_clamp 1
		.amdhsa_ieee_mode 1
		.amdhsa_fp16_overflow 0
		.amdhsa_tg_split 0
		.amdhsa_exception_fp_ieee_invalid_op 0
		.amdhsa_exception_fp_denorm_src 0
		.amdhsa_exception_fp_ieee_div_zero 0
		.amdhsa_exception_fp_ieee_overflow 0
		.amdhsa_exception_fp_ieee_underflow 0
		.amdhsa_exception_fp_ieee_inexact 0
		.amdhsa_exception_int_div_zero 0
	.end_amdhsa_kernel
	.section	.text._ZN7rocprim17ROCPRIM_400000_NS6detail17trampoline_kernelINS0_14default_configENS1_25partition_config_selectorILNS1_17partition_subalgoE2EjNS0_10empty_typeEbEEZZNS1_14partition_implILS5_2ELb0ES3_jN6thrust23THRUST_200600_302600_NS6detail15normal_iteratorINSA_7pointerIjNSA_11hip_rocprim3tagENSA_11use_defaultESG_EEEEPS6_NSA_18transform_iteratorI7is_evenIjENSC_INSA_10device_ptrIjEEEESG_SG_EENS0_5tupleIJPjSJ_EEENSR_IJSJ_SJ_EEES6_PlJS6_EEE10hipError_tPvRmT3_T4_T5_T6_T7_T9_mT8_P12ihipStream_tbDpT10_ENKUlT_T0_E_clISt17integral_constantIbLb0EES1F_EEDaS1A_S1B_EUlS1A_E_NS1_11comp_targetILNS1_3genE2ELNS1_11target_archE906ELNS1_3gpuE6ELNS1_3repE0EEENS1_30default_config_static_selectorELNS0_4arch9wavefront6targetE1EEEvT1_,"axG",@progbits,_ZN7rocprim17ROCPRIM_400000_NS6detail17trampoline_kernelINS0_14default_configENS1_25partition_config_selectorILNS1_17partition_subalgoE2EjNS0_10empty_typeEbEEZZNS1_14partition_implILS5_2ELb0ES3_jN6thrust23THRUST_200600_302600_NS6detail15normal_iteratorINSA_7pointerIjNSA_11hip_rocprim3tagENSA_11use_defaultESG_EEEEPS6_NSA_18transform_iteratorI7is_evenIjENSC_INSA_10device_ptrIjEEEESG_SG_EENS0_5tupleIJPjSJ_EEENSR_IJSJ_SJ_EEES6_PlJS6_EEE10hipError_tPvRmT3_T4_T5_T6_T7_T9_mT8_P12ihipStream_tbDpT10_ENKUlT_T0_E_clISt17integral_constantIbLb0EES1F_EEDaS1A_S1B_EUlS1A_E_NS1_11comp_targetILNS1_3genE2ELNS1_11target_archE906ELNS1_3gpuE6ELNS1_3repE0EEENS1_30default_config_static_selectorELNS0_4arch9wavefront6targetE1EEEvT1_,comdat
.Lfunc_end2041:
	.size	_ZN7rocprim17ROCPRIM_400000_NS6detail17trampoline_kernelINS0_14default_configENS1_25partition_config_selectorILNS1_17partition_subalgoE2EjNS0_10empty_typeEbEEZZNS1_14partition_implILS5_2ELb0ES3_jN6thrust23THRUST_200600_302600_NS6detail15normal_iteratorINSA_7pointerIjNSA_11hip_rocprim3tagENSA_11use_defaultESG_EEEEPS6_NSA_18transform_iteratorI7is_evenIjENSC_INSA_10device_ptrIjEEEESG_SG_EENS0_5tupleIJPjSJ_EEENSR_IJSJ_SJ_EEES6_PlJS6_EEE10hipError_tPvRmT3_T4_T5_T6_T7_T9_mT8_P12ihipStream_tbDpT10_ENKUlT_T0_E_clISt17integral_constantIbLb0EES1F_EEDaS1A_S1B_EUlS1A_E_NS1_11comp_targetILNS1_3genE2ELNS1_11target_archE906ELNS1_3gpuE6ELNS1_3repE0EEENS1_30default_config_static_selectorELNS0_4arch9wavefront6targetE1EEEvT1_, .Lfunc_end2041-_ZN7rocprim17ROCPRIM_400000_NS6detail17trampoline_kernelINS0_14default_configENS1_25partition_config_selectorILNS1_17partition_subalgoE2EjNS0_10empty_typeEbEEZZNS1_14partition_implILS5_2ELb0ES3_jN6thrust23THRUST_200600_302600_NS6detail15normal_iteratorINSA_7pointerIjNSA_11hip_rocprim3tagENSA_11use_defaultESG_EEEEPS6_NSA_18transform_iteratorI7is_evenIjENSC_INSA_10device_ptrIjEEEESG_SG_EENS0_5tupleIJPjSJ_EEENSR_IJSJ_SJ_EEES6_PlJS6_EEE10hipError_tPvRmT3_T4_T5_T6_T7_T9_mT8_P12ihipStream_tbDpT10_ENKUlT_T0_E_clISt17integral_constantIbLb0EES1F_EEDaS1A_S1B_EUlS1A_E_NS1_11comp_targetILNS1_3genE2ELNS1_11target_archE906ELNS1_3gpuE6ELNS1_3repE0EEENS1_30default_config_static_selectorELNS0_4arch9wavefront6targetE1EEEvT1_
                                        ; -- End function
	.section	.AMDGPU.csdata,"",@progbits
; Kernel info:
; codeLenInByte = 0
; NumSgprs: 6
; NumVgprs: 0
; NumAgprs: 0
; TotalNumVgprs: 0
; ScratchSize: 0
; MemoryBound: 0
; FloatMode: 240
; IeeeMode: 1
; LDSByteSize: 0 bytes/workgroup (compile time only)
; SGPRBlocks: 0
; VGPRBlocks: 0
; NumSGPRsForWavesPerEU: 6
; NumVGPRsForWavesPerEU: 1
; AccumOffset: 4
; Occupancy: 8
; WaveLimiterHint : 0
; COMPUTE_PGM_RSRC2:SCRATCH_EN: 0
; COMPUTE_PGM_RSRC2:USER_SGPR: 2
; COMPUTE_PGM_RSRC2:TRAP_HANDLER: 0
; COMPUTE_PGM_RSRC2:TGID_X_EN: 1
; COMPUTE_PGM_RSRC2:TGID_Y_EN: 0
; COMPUTE_PGM_RSRC2:TGID_Z_EN: 0
; COMPUTE_PGM_RSRC2:TIDIG_COMP_CNT: 0
; COMPUTE_PGM_RSRC3_GFX90A:ACCUM_OFFSET: 0
; COMPUTE_PGM_RSRC3_GFX90A:TG_SPLIT: 0
	.section	.text._ZN7rocprim17ROCPRIM_400000_NS6detail17trampoline_kernelINS0_14default_configENS1_25partition_config_selectorILNS1_17partition_subalgoE2EjNS0_10empty_typeEbEEZZNS1_14partition_implILS5_2ELb0ES3_jN6thrust23THRUST_200600_302600_NS6detail15normal_iteratorINSA_7pointerIjNSA_11hip_rocprim3tagENSA_11use_defaultESG_EEEEPS6_NSA_18transform_iteratorI7is_evenIjENSC_INSA_10device_ptrIjEEEESG_SG_EENS0_5tupleIJPjSJ_EEENSR_IJSJ_SJ_EEES6_PlJS6_EEE10hipError_tPvRmT3_T4_T5_T6_T7_T9_mT8_P12ihipStream_tbDpT10_ENKUlT_T0_E_clISt17integral_constantIbLb0EES1F_EEDaS1A_S1B_EUlS1A_E_NS1_11comp_targetILNS1_3genE10ELNS1_11target_archE1200ELNS1_3gpuE4ELNS1_3repE0EEENS1_30default_config_static_selectorELNS0_4arch9wavefront6targetE1EEEvT1_,"axG",@progbits,_ZN7rocprim17ROCPRIM_400000_NS6detail17trampoline_kernelINS0_14default_configENS1_25partition_config_selectorILNS1_17partition_subalgoE2EjNS0_10empty_typeEbEEZZNS1_14partition_implILS5_2ELb0ES3_jN6thrust23THRUST_200600_302600_NS6detail15normal_iteratorINSA_7pointerIjNSA_11hip_rocprim3tagENSA_11use_defaultESG_EEEEPS6_NSA_18transform_iteratorI7is_evenIjENSC_INSA_10device_ptrIjEEEESG_SG_EENS0_5tupleIJPjSJ_EEENSR_IJSJ_SJ_EEES6_PlJS6_EEE10hipError_tPvRmT3_T4_T5_T6_T7_T9_mT8_P12ihipStream_tbDpT10_ENKUlT_T0_E_clISt17integral_constantIbLb0EES1F_EEDaS1A_S1B_EUlS1A_E_NS1_11comp_targetILNS1_3genE10ELNS1_11target_archE1200ELNS1_3gpuE4ELNS1_3repE0EEENS1_30default_config_static_selectorELNS0_4arch9wavefront6targetE1EEEvT1_,comdat
	.protected	_ZN7rocprim17ROCPRIM_400000_NS6detail17trampoline_kernelINS0_14default_configENS1_25partition_config_selectorILNS1_17partition_subalgoE2EjNS0_10empty_typeEbEEZZNS1_14partition_implILS5_2ELb0ES3_jN6thrust23THRUST_200600_302600_NS6detail15normal_iteratorINSA_7pointerIjNSA_11hip_rocprim3tagENSA_11use_defaultESG_EEEEPS6_NSA_18transform_iteratorI7is_evenIjENSC_INSA_10device_ptrIjEEEESG_SG_EENS0_5tupleIJPjSJ_EEENSR_IJSJ_SJ_EEES6_PlJS6_EEE10hipError_tPvRmT3_T4_T5_T6_T7_T9_mT8_P12ihipStream_tbDpT10_ENKUlT_T0_E_clISt17integral_constantIbLb0EES1F_EEDaS1A_S1B_EUlS1A_E_NS1_11comp_targetILNS1_3genE10ELNS1_11target_archE1200ELNS1_3gpuE4ELNS1_3repE0EEENS1_30default_config_static_selectorELNS0_4arch9wavefront6targetE1EEEvT1_ ; -- Begin function _ZN7rocprim17ROCPRIM_400000_NS6detail17trampoline_kernelINS0_14default_configENS1_25partition_config_selectorILNS1_17partition_subalgoE2EjNS0_10empty_typeEbEEZZNS1_14partition_implILS5_2ELb0ES3_jN6thrust23THRUST_200600_302600_NS6detail15normal_iteratorINSA_7pointerIjNSA_11hip_rocprim3tagENSA_11use_defaultESG_EEEEPS6_NSA_18transform_iteratorI7is_evenIjENSC_INSA_10device_ptrIjEEEESG_SG_EENS0_5tupleIJPjSJ_EEENSR_IJSJ_SJ_EEES6_PlJS6_EEE10hipError_tPvRmT3_T4_T5_T6_T7_T9_mT8_P12ihipStream_tbDpT10_ENKUlT_T0_E_clISt17integral_constantIbLb0EES1F_EEDaS1A_S1B_EUlS1A_E_NS1_11comp_targetILNS1_3genE10ELNS1_11target_archE1200ELNS1_3gpuE4ELNS1_3repE0EEENS1_30default_config_static_selectorELNS0_4arch9wavefront6targetE1EEEvT1_
	.globl	_ZN7rocprim17ROCPRIM_400000_NS6detail17trampoline_kernelINS0_14default_configENS1_25partition_config_selectorILNS1_17partition_subalgoE2EjNS0_10empty_typeEbEEZZNS1_14partition_implILS5_2ELb0ES3_jN6thrust23THRUST_200600_302600_NS6detail15normal_iteratorINSA_7pointerIjNSA_11hip_rocprim3tagENSA_11use_defaultESG_EEEEPS6_NSA_18transform_iteratorI7is_evenIjENSC_INSA_10device_ptrIjEEEESG_SG_EENS0_5tupleIJPjSJ_EEENSR_IJSJ_SJ_EEES6_PlJS6_EEE10hipError_tPvRmT3_T4_T5_T6_T7_T9_mT8_P12ihipStream_tbDpT10_ENKUlT_T0_E_clISt17integral_constantIbLb0EES1F_EEDaS1A_S1B_EUlS1A_E_NS1_11comp_targetILNS1_3genE10ELNS1_11target_archE1200ELNS1_3gpuE4ELNS1_3repE0EEENS1_30default_config_static_selectorELNS0_4arch9wavefront6targetE1EEEvT1_
	.p2align	8
	.type	_ZN7rocprim17ROCPRIM_400000_NS6detail17trampoline_kernelINS0_14default_configENS1_25partition_config_selectorILNS1_17partition_subalgoE2EjNS0_10empty_typeEbEEZZNS1_14partition_implILS5_2ELb0ES3_jN6thrust23THRUST_200600_302600_NS6detail15normal_iteratorINSA_7pointerIjNSA_11hip_rocprim3tagENSA_11use_defaultESG_EEEEPS6_NSA_18transform_iteratorI7is_evenIjENSC_INSA_10device_ptrIjEEEESG_SG_EENS0_5tupleIJPjSJ_EEENSR_IJSJ_SJ_EEES6_PlJS6_EEE10hipError_tPvRmT3_T4_T5_T6_T7_T9_mT8_P12ihipStream_tbDpT10_ENKUlT_T0_E_clISt17integral_constantIbLb0EES1F_EEDaS1A_S1B_EUlS1A_E_NS1_11comp_targetILNS1_3genE10ELNS1_11target_archE1200ELNS1_3gpuE4ELNS1_3repE0EEENS1_30default_config_static_selectorELNS0_4arch9wavefront6targetE1EEEvT1_,@function
_ZN7rocprim17ROCPRIM_400000_NS6detail17trampoline_kernelINS0_14default_configENS1_25partition_config_selectorILNS1_17partition_subalgoE2EjNS0_10empty_typeEbEEZZNS1_14partition_implILS5_2ELb0ES3_jN6thrust23THRUST_200600_302600_NS6detail15normal_iteratorINSA_7pointerIjNSA_11hip_rocprim3tagENSA_11use_defaultESG_EEEEPS6_NSA_18transform_iteratorI7is_evenIjENSC_INSA_10device_ptrIjEEEESG_SG_EENS0_5tupleIJPjSJ_EEENSR_IJSJ_SJ_EEES6_PlJS6_EEE10hipError_tPvRmT3_T4_T5_T6_T7_T9_mT8_P12ihipStream_tbDpT10_ENKUlT_T0_E_clISt17integral_constantIbLb0EES1F_EEDaS1A_S1B_EUlS1A_E_NS1_11comp_targetILNS1_3genE10ELNS1_11target_archE1200ELNS1_3gpuE4ELNS1_3repE0EEENS1_30default_config_static_selectorELNS0_4arch9wavefront6targetE1EEEvT1_: ; @_ZN7rocprim17ROCPRIM_400000_NS6detail17trampoline_kernelINS0_14default_configENS1_25partition_config_selectorILNS1_17partition_subalgoE2EjNS0_10empty_typeEbEEZZNS1_14partition_implILS5_2ELb0ES3_jN6thrust23THRUST_200600_302600_NS6detail15normal_iteratorINSA_7pointerIjNSA_11hip_rocprim3tagENSA_11use_defaultESG_EEEEPS6_NSA_18transform_iteratorI7is_evenIjENSC_INSA_10device_ptrIjEEEESG_SG_EENS0_5tupleIJPjSJ_EEENSR_IJSJ_SJ_EEES6_PlJS6_EEE10hipError_tPvRmT3_T4_T5_T6_T7_T9_mT8_P12ihipStream_tbDpT10_ENKUlT_T0_E_clISt17integral_constantIbLb0EES1F_EEDaS1A_S1B_EUlS1A_E_NS1_11comp_targetILNS1_3genE10ELNS1_11target_archE1200ELNS1_3gpuE4ELNS1_3repE0EEENS1_30default_config_static_selectorELNS0_4arch9wavefront6targetE1EEEvT1_
; %bb.0:
	.section	.rodata,"a",@progbits
	.p2align	6, 0x0
	.amdhsa_kernel _ZN7rocprim17ROCPRIM_400000_NS6detail17trampoline_kernelINS0_14default_configENS1_25partition_config_selectorILNS1_17partition_subalgoE2EjNS0_10empty_typeEbEEZZNS1_14partition_implILS5_2ELb0ES3_jN6thrust23THRUST_200600_302600_NS6detail15normal_iteratorINSA_7pointerIjNSA_11hip_rocprim3tagENSA_11use_defaultESG_EEEEPS6_NSA_18transform_iteratorI7is_evenIjENSC_INSA_10device_ptrIjEEEESG_SG_EENS0_5tupleIJPjSJ_EEENSR_IJSJ_SJ_EEES6_PlJS6_EEE10hipError_tPvRmT3_T4_T5_T6_T7_T9_mT8_P12ihipStream_tbDpT10_ENKUlT_T0_E_clISt17integral_constantIbLb0EES1F_EEDaS1A_S1B_EUlS1A_E_NS1_11comp_targetILNS1_3genE10ELNS1_11target_archE1200ELNS1_3gpuE4ELNS1_3repE0EEENS1_30default_config_static_selectorELNS0_4arch9wavefront6targetE1EEEvT1_
		.amdhsa_group_segment_fixed_size 0
		.amdhsa_private_segment_fixed_size 0
		.amdhsa_kernarg_size 128
		.amdhsa_user_sgpr_count 2
		.amdhsa_user_sgpr_dispatch_ptr 0
		.amdhsa_user_sgpr_queue_ptr 0
		.amdhsa_user_sgpr_kernarg_segment_ptr 1
		.amdhsa_user_sgpr_dispatch_id 0
		.amdhsa_user_sgpr_kernarg_preload_length 0
		.amdhsa_user_sgpr_kernarg_preload_offset 0
		.amdhsa_user_sgpr_private_segment_size 0
		.amdhsa_uses_dynamic_stack 0
		.amdhsa_enable_private_segment 0
		.amdhsa_system_sgpr_workgroup_id_x 1
		.amdhsa_system_sgpr_workgroup_id_y 0
		.amdhsa_system_sgpr_workgroup_id_z 0
		.amdhsa_system_sgpr_workgroup_info 0
		.amdhsa_system_vgpr_workitem_id 0
		.amdhsa_next_free_vgpr 1
		.amdhsa_next_free_sgpr 0
		.amdhsa_accum_offset 4
		.amdhsa_reserve_vcc 0
		.amdhsa_float_round_mode_32 0
		.amdhsa_float_round_mode_16_64 0
		.amdhsa_float_denorm_mode_32 3
		.amdhsa_float_denorm_mode_16_64 3
		.amdhsa_dx10_clamp 1
		.amdhsa_ieee_mode 1
		.amdhsa_fp16_overflow 0
		.amdhsa_tg_split 0
		.amdhsa_exception_fp_ieee_invalid_op 0
		.amdhsa_exception_fp_denorm_src 0
		.amdhsa_exception_fp_ieee_div_zero 0
		.amdhsa_exception_fp_ieee_overflow 0
		.amdhsa_exception_fp_ieee_underflow 0
		.amdhsa_exception_fp_ieee_inexact 0
		.amdhsa_exception_int_div_zero 0
	.end_amdhsa_kernel
	.section	.text._ZN7rocprim17ROCPRIM_400000_NS6detail17trampoline_kernelINS0_14default_configENS1_25partition_config_selectorILNS1_17partition_subalgoE2EjNS0_10empty_typeEbEEZZNS1_14partition_implILS5_2ELb0ES3_jN6thrust23THRUST_200600_302600_NS6detail15normal_iteratorINSA_7pointerIjNSA_11hip_rocprim3tagENSA_11use_defaultESG_EEEEPS6_NSA_18transform_iteratorI7is_evenIjENSC_INSA_10device_ptrIjEEEESG_SG_EENS0_5tupleIJPjSJ_EEENSR_IJSJ_SJ_EEES6_PlJS6_EEE10hipError_tPvRmT3_T4_T5_T6_T7_T9_mT8_P12ihipStream_tbDpT10_ENKUlT_T0_E_clISt17integral_constantIbLb0EES1F_EEDaS1A_S1B_EUlS1A_E_NS1_11comp_targetILNS1_3genE10ELNS1_11target_archE1200ELNS1_3gpuE4ELNS1_3repE0EEENS1_30default_config_static_selectorELNS0_4arch9wavefront6targetE1EEEvT1_,"axG",@progbits,_ZN7rocprim17ROCPRIM_400000_NS6detail17trampoline_kernelINS0_14default_configENS1_25partition_config_selectorILNS1_17partition_subalgoE2EjNS0_10empty_typeEbEEZZNS1_14partition_implILS5_2ELb0ES3_jN6thrust23THRUST_200600_302600_NS6detail15normal_iteratorINSA_7pointerIjNSA_11hip_rocprim3tagENSA_11use_defaultESG_EEEEPS6_NSA_18transform_iteratorI7is_evenIjENSC_INSA_10device_ptrIjEEEESG_SG_EENS0_5tupleIJPjSJ_EEENSR_IJSJ_SJ_EEES6_PlJS6_EEE10hipError_tPvRmT3_T4_T5_T6_T7_T9_mT8_P12ihipStream_tbDpT10_ENKUlT_T0_E_clISt17integral_constantIbLb0EES1F_EEDaS1A_S1B_EUlS1A_E_NS1_11comp_targetILNS1_3genE10ELNS1_11target_archE1200ELNS1_3gpuE4ELNS1_3repE0EEENS1_30default_config_static_selectorELNS0_4arch9wavefront6targetE1EEEvT1_,comdat
.Lfunc_end2042:
	.size	_ZN7rocprim17ROCPRIM_400000_NS6detail17trampoline_kernelINS0_14default_configENS1_25partition_config_selectorILNS1_17partition_subalgoE2EjNS0_10empty_typeEbEEZZNS1_14partition_implILS5_2ELb0ES3_jN6thrust23THRUST_200600_302600_NS6detail15normal_iteratorINSA_7pointerIjNSA_11hip_rocprim3tagENSA_11use_defaultESG_EEEEPS6_NSA_18transform_iteratorI7is_evenIjENSC_INSA_10device_ptrIjEEEESG_SG_EENS0_5tupleIJPjSJ_EEENSR_IJSJ_SJ_EEES6_PlJS6_EEE10hipError_tPvRmT3_T4_T5_T6_T7_T9_mT8_P12ihipStream_tbDpT10_ENKUlT_T0_E_clISt17integral_constantIbLb0EES1F_EEDaS1A_S1B_EUlS1A_E_NS1_11comp_targetILNS1_3genE10ELNS1_11target_archE1200ELNS1_3gpuE4ELNS1_3repE0EEENS1_30default_config_static_selectorELNS0_4arch9wavefront6targetE1EEEvT1_, .Lfunc_end2042-_ZN7rocprim17ROCPRIM_400000_NS6detail17trampoline_kernelINS0_14default_configENS1_25partition_config_selectorILNS1_17partition_subalgoE2EjNS0_10empty_typeEbEEZZNS1_14partition_implILS5_2ELb0ES3_jN6thrust23THRUST_200600_302600_NS6detail15normal_iteratorINSA_7pointerIjNSA_11hip_rocprim3tagENSA_11use_defaultESG_EEEEPS6_NSA_18transform_iteratorI7is_evenIjENSC_INSA_10device_ptrIjEEEESG_SG_EENS0_5tupleIJPjSJ_EEENSR_IJSJ_SJ_EEES6_PlJS6_EEE10hipError_tPvRmT3_T4_T5_T6_T7_T9_mT8_P12ihipStream_tbDpT10_ENKUlT_T0_E_clISt17integral_constantIbLb0EES1F_EEDaS1A_S1B_EUlS1A_E_NS1_11comp_targetILNS1_3genE10ELNS1_11target_archE1200ELNS1_3gpuE4ELNS1_3repE0EEENS1_30default_config_static_selectorELNS0_4arch9wavefront6targetE1EEEvT1_
                                        ; -- End function
	.section	.AMDGPU.csdata,"",@progbits
; Kernel info:
; codeLenInByte = 0
; NumSgprs: 6
; NumVgprs: 0
; NumAgprs: 0
; TotalNumVgprs: 0
; ScratchSize: 0
; MemoryBound: 0
; FloatMode: 240
; IeeeMode: 1
; LDSByteSize: 0 bytes/workgroup (compile time only)
; SGPRBlocks: 0
; VGPRBlocks: 0
; NumSGPRsForWavesPerEU: 6
; NumVGPRsForWavesPerEU: 1
; AccumOffset: 4
; Occupancy: 8
; WaveLimiterHint : 0
; COMPUTE_PGM_RSRC2:SCRATCH_EN: 0
; COMPUTE_PGM_RSRC2:USER_SGPR: 2
; COMPUTE_PGM_RSRC2:TRAP_HANDLER: 0
; COMPUTE_PGM_RSRC2:TGID_X_EN: 1
; COMPUTE_PGM_RSRC2:TGID_Y_EN: 0
; COMPUTE_PGM_RSRC2:TGID_Z_EN: 0
; COMPUTE_PGM_RSRC2:TIDIG_COMP_CNT: 0
; COMPUTE_PGM_RSRC3_GFX90A:ACCUM_OFFSET: 0
; COMPUTE_PGM_RSRC3_GFX90A:TG_SPLIT: 0
	.section	.text._ZN7rocprim17ROCPRIM_400000_NS6detail17trampoline_kernelINS0_14default_configENS1_25partition_config_selectorILNS1_17partition_subalgoE2EjNS0_10empty_typeEbEEZZNS1_14partition_implILS5_2ELb0ES3_jN6thrust23THRUST_200600_302600_NS6detail15normal_iteratorINSA_7pointerIjNSA_11hip_rocprim3tagENSA_11use_defaultESG_EEEEPS6_NSA_18transform_iteratorI7is_evenIjENSC_INSA_10device_ptrIjEEEESG_SG_EENS0_5tupleIJPjSJ_EEENSR_IJSJ_SJ_EEES6_PlJS6_EEE10hipError_tPvRmT3_T4_T5_T6_T7_T9_mT8_P12ihipStream_tbDpT10_ENKUlT_T0_E_clISt17integral_constantIbLb0EES1F_EEDaS1A_S1B_EUlS1A_E_NS1_11comp_targetILNS1_3genE9ELNS1_11target_archE1100ELNS1_3gpuE3ELNS1_3repE0EEENS1_30default_config_static_selectorELNS0_4arch9wavefront6targetE1EEEvT1_,"axG",@progbits,_ZN7rocprim17ROCPRIM_400000_NS6detail17trampoline_kernelINS0_14default_configENS1_25partition_config_selectorILNS1_17partition_subalgoE2EjNS0_10empty_typeEbEEZZNS1_14partition_implILS5_2ELb0ES3_jN6thrust23THRUST_200600_302600_NS6detail15normal_iteratorINSA_7pointerIjNSA_11hip_rocprim3tagENSA_11use_defaultESG_EEEEPS6_NSA_18transform_iteratorI7is_evenIjENSC_INSA_10device_ptrIjEEEESG_SG_EENS0_5tupleIJPjSJ_EEENSR_IJSJ_SJ_EEES6_PlJS6_EEE10hipError_tPvRmT3_T4_T5_T6_T7_T9_mT8_P12ihipStream_tbDpT10_ENKUlT_T0_E_clISt17integral_constantIbLb0EES1F_EEDaS1A_S1B_EUlS1A_E_NS1_11comp_targetILNS1_3genE9ELNS1_11target_archE1100ELNS1_3gpuE3ELNS1_3repE0EEENS1_30default_config_static_selectorELNS0_4arch9wavefront6targetE1EEEvT1_,comdat
	.protected	_ZN7rocprim17ROCPRIM_400000_NS6detail17trampoline_kernelINS0_14default_configENS1_25partition_config_selectorILNS1_17partition_subalgoE2EjNS0_10empty_typeEbEEZZNS1_14partition_implILS5_2ELb0ES3_jN6thrust23THRUST_200600_302600_NS6detail15normal_iteratorINSA_7pointerIjNSA_11hip_rocprim3tagENSA_11use_defaultESG_EEEEPS6_NSA_18transform_iteratorI7is_evenIjENSC_INSA_10device_ptrIjEEEESG_SG_EENS0_5tupleIJPjSJ_EEENSR_IJSJ_SJ_EEES6_PlJS6_EEE10hipError_tPvRmT3_T4_T5_T6_T7_T9_mT8_P12ihipStream_tbDpT10_ENKUlT_T0_E_clISt17integral_constantIbLb0EES1F_EEDaS1A_S1B_EUlS1A_E_NS1_11comp_targetILNS1_3genE9ELNS1_11target_archE1100ELNS1_3gpuE3ELNS1_3repE0EEENS1_30default_config_static_selectorELNS0_4arch9wavefront6targetE1EEEvT1_ ; -- Begin function _ZN7rocprim17ROCPRIM_400000_NS6detail17trampoline_kernelINS0_14default_configENS1_25partition_config_selectorILNS1_17partition_subalgoE2EjNS0_10empty_typeEbEEZZNS1_14partition_implILS5_2ELb0ES3_jN6thrust23THRUST_200600_302600_NS6detail15normal_iteratorINSA_7pointerIjNSA_11hip_rocprim3tagENSA_11use_defaultESG_EEEEPS6_NSA_18transform_iteratorI7is_evenIjENSC_INSA_10device_ptrIjEEEESG_SG_EENS0_5tupleIJPjSJ_EEENSR_IJSJ_SJ_EEES6_PlJS6_EEE10hipError_tPvRmT3_T4_T5_T6_T7_T9_mT8_P12ihipStream_tbDpT10_ENKUlT_T0_E_clISt17integral_constantIbLb0EES1F_EEDaS1A_S1B_EUlS1A_E_NS1_11comp_targetILNS1_3genE9ELNS1_11target_archE1100ELNS1_3gpuE3ELNS1_3repE0EEENS1_30default_config_static_selectorELNS0_4arch9wavefront6targetE1EEEvT1_
	.globl	_ZN7rocprim17ROCPRIM_400000_NS6detail17trampoline_kernelINS0_14default_configENS1_25partition_config_selectorILNS1_17partition_subalgoE2EjNS0_10empty_typeEbEEZZNS1_14partition_implILS5_2ELb0ES3_jN6thrust23THRUST_200600_302600_NS6detail15normal_iteratorINSA_7pointerIjNSA_11hip_rocprim3tagENSA_11use_defaultESG_EEEEPS6_NSA_18transform_iteratorI7is_evenIjENSC_INSA_10device_ptrIjEEEESG_SG_EENS0_5tupleIJPjSJ_EEENSR_IJSJ_SJ_EEES6_PlJS6_EEE10hipError_tPvRmT3_T4_T5_T6_T7_T9_mT8_P12ihipStream_tbDpT10_ENKUlT_T0_E_clISt17integral_constantIbLb0EES1F_EEDaS1A_S1B_EUlS1A_E_NS1_11comp_targetILNS1_3genE9ELNS1_11target_archE1100ELNS1_3gpuE3ELNS1_3repE0EEENS1_30default_config_static_selectorELNS0_4arch9wavefront6targetE1EEEvT1_
	.p2align	8
	.type	_ZN7rocprim17ROCPRIM_400000_NS6detail17trampoline_kernelINS0_14default_configENS1_25partition_config_selectorILNS1_17partition_subalgoE2EjNS0_10empty_typeEbEEZZNS1_14partition_implILS5_2ELb0ES3_jN6thrust23THRUST_200600_302600_NS6detail15normal_iteratorINSA_7pointerIjNSA_11hip_rocprim3tagENSA_11use_defaultESG_EEEEPS6_NSA_18transform_iteratorI7is_evenIjENSC_INSA_10device_ptrIjEEEESG_SG_EENS0_5tupleIJPjSJ_EEENSR_IJSJ_SJ_EEES6_PlJS6_EEE10hipError_tPvRmT3_T4_T5_T6_T7_T9_mT8_P12ihipStream_tbDpT10_ENKUlT_T0_E_clISt17integral_constantIbLb0EES1F_EEDaS1A_S1B_EUlS1A_E_NS1_11comp_targetILNS1_3genE9ELNS1_11target_archE1100ELNS1_3gpuE3ELNS1_3repE0EEENS1_30default_config_static_selectorELNS0_4arch9wavefront6targetE1EEEvT1_,@function
_ZN7rocprim17ROCPRIM_400000_NS6detail17trampoline_kernelINS0_14default_configENS1_25partition_config_selectorILNS1_17partition_subalgoE2EjNS0_10empty_typeEbEEZZNS1_14partition_implILS5_2ELb0ES3_jN6thrust23THRUST_200600_302600_NS6detail15normal_iteratorINSA_7pointerIjNSA_11hip_rocprim3tagENSA_11use_defaultESG_EEEEPS6_NSA_18transform_iteratorI7is_evenIjENSC_INSA_10device_ptrIjEEEESG_SG_EENS0_5tupleIJPjSJ_EEENSR_IJSJ_SJ_EEES6_PlJS6_EEE10hipError_tPvRmT3_T4_T5_T6_T7_T9_mT8_P12ihipStream_tbDpT10_ENKUlT_T0_E_clISt17integral_constantIbLb0EES1F_EEDaS1A_S1B_EUlS1A_E_NS1_11comp_targetILNS1_3genE9ELNS1_11target_archE1100ELNS1_3gpuE3ELNS1_3repE0EEENS1_30default_config_static_selectorELNS0_4arch9wavefront6targetE1EEEvT1_: ; @_ZN7rocprim17ROCPRIM_400000_NS6detail17trampoline_kernelINS0_14default_configENS1_25partition_config_selectorILNS1_17partition_subalgoE2EjNS0_10empty_typeEbEEZZNS1_14partition_implILS5_2ELb0ES3_jN6thrust23THRUST_200600_302600_NS6detail15normal_iteratorINSA_7pointerIjNSA_11hip_rocprim3tagENSA_11use_defaultESG_EEEEPS6_NSA_18transform_iteratorI7is_evenIjENSC_INSA_10device_ptrIjEEEESG_SG_EENS0_5tupleIJPjSJ_EEENSR_IJSJ_SJ_EEES6_PlJS6_EEE10hipError_tPvRmT3_T4_T5_T6_T7_T9_mT8_P12ihipStream_tbDpT10_ENKUlT_T0_E_clISt17integral_constantIbLb0EES1F_EEDaS1A_S1B_EUlS1A_E_NS1_11comp_targetILNS1_3genE9ELNS1_11target_archE1100ELNS1_3gpuE3ELNS1_3repE0EEENS1_30default_config_static_selectorELNS0_4arch9wavefront6targetE1EEEvT1_
; %bb.0:
	.section	.rodata,"a",@progbits
	.p2align	6, 0x0
	.amdhsa_kernel _ZN7rocprim17ROCPRIM_400000_NS6detail17trampoline_kernelINS0_14default_configENS1_25partition_config_selectorILNS1_17partition_subalgoE2EjNS0_10empty_typeEbEEZZNS1_14partition_implILS5_2ELb0ES3_jN6thrust23THRUST_200600_302600_NS6detail15normal_iteratorINSA_7pointerIjNSA_11hip_rocprim3tagENSA_11use_defaultESG_EEEEPS6_NSA_18transform_iteratorI7is_evenIjENSC_INSA_10device_ptrIjEEEESG_SG_EENS0_5tupleIJPjSJ_EEENSR_IJSJ_SJ_EEES6_PlJS6_EEE10hipError_tPvRmT3_T4_T5_T6_T7_T9_mT8_P12ihipStream_tbDpT10_ENKUlT_T0_E_clISt17integral_constantIbLb0EES1F_EEDaS1A_S1B_EUlS1A_E_NS1_11comp_targetILNS1_3genE9ELNS1_11target_archE1100ELNS1_3gpuE3ELNS1_3repE0EEENS1_30default_config_static_selectorELNS0_4arch9wavefront6targetE1EEEvT1_
		.amdhsa_group_segment_fixed_size 0
		.amdhsa_private_segment_fixed_size 0
		.amdhsa_kernarg_size 128
		.amdhsa_user_sgpr_count 2
		.amdhsa_user_sgpr_dispatch_ptr 0
		.amdhsa_user_sgpr_queue_ptr 0
		.amdhsa_user_sgpr_kernarg_segment_ptr 1
		.amdhsa_user_sgpr_dispatch_id 0
		.amdhsa_user_sgpr_kernarg_preload_length 0
		.amdhsa_user_sgpr_kernarg_preload_offset 0
		.amdhsa_user_sgpr_private_segment_size 0
		.amdhsa_uses_dynamic_stack 0
		.amdhsa_enable_private_segment 0
		.amdhsa_system_sgpr_workgroup_id_x 1
		.amdhsa_system_sgpr_workgroup_id_y 0
		.amdhsa_system_sgpr_workgroup_id_z 0
		.amdhsa_system_sgpr_workgroup_info 0
		.amdhsa_system_vgpr_workitem_id 0
		.amdhsa_next_free_vgpr 1
		.amdhsa_next_free_sgpr 0
		.amdhsa_accum_offset 4
		.amdhsa_reserve_vcc 0
		.amdhsa_float_round_mode_32 0
		.amdhsa_float_round_mode_16_64 0
		.amdhsa_float_denorm_mode_32 3
		.amdhsa_float_denorm_mode_16_64 3
		.amdhsa_dx10_clamp 1
		.amdhsa_ieee_mode 1
		.amdhsa_fp16_overflow 0
		.amdhsa_tg_split 0
		.amdhsa_exception_fp_ieee_invalid_op 0
		.amdhsa_exception_fp_denorm_src 0
		.amdhsa_exception_fp_ieee_div_zero 0
		.amdhsa_exception_fp_ieee_overflow 0
		.amdhsa_exception_fp_ieee_underflow 0
		.amdhsa_exception_fp_ieee_inexact 0
		.amdhsa_exception_int_div_zero 0
	.end_amdhsa_kernel
	.section	.text._ZN7rocprim17ROCPRIM_400000_NS6detail17trampoline_kernelINS0_14default_configENS1_25partition_config_selectorILNS1_17partition_subalgoE2EjNS0_10empty_typeEbEEZZNS1_14partition_implILS5_2ELb0ES3_jN6thrust23THRUST_200600_302600_NS6detail15normal_iteratorINSA_7pointerIjNSA_11hip_rocprim3tagENSA_11use_defaultESG_EEEEPS6_NSA_18transform_iteratorI7is_evenIjENSC_INSA_10device_ptrIjEEEESG_SG_EENS0_5tupleIJPjSJ_EEENSR_IJSJ_SJ_EEES6_PlJS6_EEE10hipError_tPvRmT3_T4_T5_T6_T7_T9_mT8_P12ihipStream_tbDpT10_ENKUlT_T0_E_clISt17integral_constantIbLb0EES1F_EEDaS1A_S1B_EUlS1A_E_NS1_11comp_targetILNS1_3genE9ELNS1_11target_archE1100ELNS1_3gpuE3ELNS1_3repE0EEENS1_30default_config_static_selectorELNS0_4arch9wavefront6targetE1EEEvT1_,"axG",@progbits,_ZN7rocprim17ROCPRIM_400000_NS6detail17trampoline_kernelINS0_14default_configENS1_25partition_config_selectorILNS1_17partition_subalgoE2EjNS0_10empty_typeEbEEZZNS1_14partition_implILS5_2ELb0ES3_jN6thrust23THRUST_200600_302600_NS6detail15normal_iteratorINSA_7pointerIjNSA_11hip_rocprim3tagENSA_11use_defaultESG_EEEEPS6_NSA_18transform_iteratorI7is_evenIjENSC_INSA_10device_ptrIjEEEESG_SG_EENS0_5tupleIJPjSJ_EEENSR_IJSJ_SJ_EEES6_PlJS6_EEE10hipError_tPvRmT3_T4_T5_T6_T7_T9_mT8_P12ihipStream_tbDpT10_ENKUlT_T0_E_clISt17integral_constantIbLb0EES1F_EEDaS1A_S1B_EUlS1A_E_NS1_11comp_targetILNS1_3genE9ELNS1_11target_archE1100ELNS1_3gpuE3ELNS1_3repE0EEENS1_30default_config_static_selectorELNS0_4arch9wavefront6targetE1EEEvT1_,comdat
.Lfunc_end2043:
	.size	_ZN7rocprim17ROCPRIM_400000_NS6detail17trampoline_kernelINS0_14default_configENS1_25partition_config_selectorILNS1_17partition_subalgoE2EjNS0_10empty_typeEbEEZZNS1_14partition_implILS5_2ELb0ES3_jN6thrust23THRUST_200600_302600_NS6detail15normal_iteratorINSA_7pointerIjNSA_11hip_rocprim3tagENSA_11use_defaultESG_EEEEPS6_NSA_18transform_iteratorI7is_evenIjENSC_INSA_10device_ptrIjEEEESG_SG_EENS0_5tupleIJPjSJ_EEENSR_IJSJ_SJ_EEES6_PlJS6_EEE10hipError_tPvRmT3_T4_T5_T6_T7_T9_mT8_P12ihipStream_tbDpT10_ENKUlT_T0_E_clISt17integral_constantIbLb0EES1F_EEDaS1A_S1B_EUlS1A_E_NS1_11comp_targetILNS1_3genE9ELNS1_11target_archE1100ELNS1_3gpuE3ELNS1_3repE0EEENS1_30default_config_static_selectorELNS0_4arch9wavefront6targetE1EEEvT1_, .Lfunc_end2043-_ZN7rocprim17ROCPRIM_400000_NS6detail17trampoline_kernelINS0_14default_configENS1_25partition_config_selectorILNS1_17partition_subalgoE2EjNS0_10empty_typeEbEEZZNS1_14partition_implILS5_2ELb0ES3_jN6thrust23THRUST_200600_302600_NS6detail15normal_iteratorINSA_7pointerIjNSA_11hip_rocprim3tagENSA_11use_defaultESG_EEEEPS6_NSA_18transform_iteratorI7is_evenIjENSC_INSA_10device_ptrIjEEEESG_SG_EENS0_5tupleIJPjSJ_EEENSR_IJSJ_SJ_EEES6_PlJS6_EEE10hipError_tPvRmT3_T4_T5_T6_T7_T9_mT8_P12ihipStream_tbDpT10_ENKUlT_T0_E_clISt17integral_constantIbLb0EES1F_EEDaS1A_S1B_EUlS1A_E_NS1_11comp_targetILNS1_3genE9ELNS1_11target_archE1100ELNS1_3gpuE3ELNS1_3repE0EEENS1_30default_config_static_selectorELNS0_4arch9wavefront6targetE1EEEvT1_
                                        ; -- End function
	.section	.AMDGPU.csdata,"",@progbits
; Kernel info:
; codeLenInByte = 0
; NumSgprs: 6
; NumVgprs: 0
; NumAgprs: 0
; TotalNumVgprs: 0
; ScratchSize: 0
; MemoryBound: 0
; FloatMode: 240
; IeeeMode: 1
; LDSByteSize: 0 bytes/workgroup (compile time only)
; SGPRBlocks: 0
; VGPRBlocks: 0
; NumSGPRsForWavesPerEU: 6
; NumVGPRsForWavesPerEU: 1
; AccumOffset: 4
; Occupancy: 8
; WaveLimiterHint : 0
; COMPUTE_PGM_RSRC2:SCRATCH_EN: 0
; COMPUTE_PGM_RSRC2:USER_SGPR: 2
; COMPUTE_PGM_RSRC2:TRAP_HANDLER: 0
; COMPUTE_PGM_RSRC2:TGID_X_EN: 1
; COMPUTE_PGM_RSRC2:TGID_Y_EN: 0
; COMPUTE_PGM_RSRC2:TGID_Z_EN: 0
; COMPUTE_PGM_RSRC2:TIDIG_COMP_CNT: 0
; COMPUTE_PGM_RSRC3_GFX90A:ACCUM_OFFSET: 0
; COMPUTE_PGM_RSRC3_GFX90A:TG_SPLIT: 0
	.section	.text._ZN7rocprim17ROCPRIM_400000_NS6detail17trampoline_kernelINS0_14default_configENS1_25partition_config_selectorILNS1_17partition_subalgoE2EjNS0_10empty_typeEbEEZZNS1_14partition_implILS5_2ELb0ES3_jN6thrust23THRUST_200600_302600_NS6detail15normal_iteratorINSA_7pointerIjNSA_11hip_rocprim3tagENSA_11use_defaultESG_EEEEPS6_NSA_18transform_iteratorI7is_evenIjENSC_INSA_10device_ptrIjEEEESG_SG_EENS0_5tupleIJPjSJ_EEENSR_IJSJ_SJ_EEES6_PlJS6_EEE10hipError_tPvRmT3_T4_T5_T6_T7_T9_mT8_P12ihipStream_tbDpT10_ENKUlT_T0_E_clISt17integral_constantIbLb0EES1F_EEDaS1A_S1B_EUlS1A_E_NS1_11comp_targetILNS1_3genE8ELNS1_11target_archE1030ELNS1_3gpuE2ELNS1_3repE0EEENS1_30default_config_static_selectorELNS0_4arch9wavefront6targetE1EEEvT1_,"axG",@progbits,_ZN7rocprim17ROCPRIM_400000_NS6detail17trampoline_kernelINS0_14default_configENS1_25partition_config_selectorILNS1_17partition_subalgoE2EjNS0_10empty_typeEbEEZZNS1_14partition_implILS5_2ELb0ES3_jN6thrust23THRUST_200600_302600_NS6detail15normal_iteratorINSA_7pointerIjNSA_11hip_rocprim3tagENSA_11use_defaultESG_EEEEPS6_NSA_18transform_iteratorI7is_evenIjENSC_INSA_10device_ptrIjEEEESG_SG_EENS0_5tupleIJPjSJ_EEENSR_IJSJ_SJ_EEES6_PlJS6_EEE10hipError_tPvRmT3_T4_T5_T6_T7_T9_mT8_P12ihipStream_tbDpT10_ENKUlT_T0_E_clISt17integral_constantIbLb0EES1F_EEDaS1A_S1B_EUlS1A_E_NS1_11comp_targetILNS1_3genE8ELNS1_11target_archE1030ELNS1_3gpuE2ELNS1_3repE0EEENS1_30default_config_static_selectorELNS0_4arch9wavefront6targetE1EEEvT1_,comdat
	.protected	_ZN7rocprim17ROCPRIM_400000_NS6detail17trampoline_kernelINS0_14default_configENS1_25partition_config_selectorILNS1_17partition_subalgoE2EjNS0_10empty_typeEbEEZZNS1_14partition_implILS5_2ELb0ES3_jN6thrust23THRUST_200600_302600_NS6detail15normal_iteratorINSA_7pointerIjNSA_11hip_rocprim3tagENSA_11use_defaultESG_EEEEPS6_NSA_18transform_iteratorI7is_evenIjENSC_INSA_10device_ptrIjEEEESG_SG_EENS0_5tupleIJPjSJ_EEENSR_IJSJ_SJ_EEES6_PlJS6_EEE10hipError_tPvRmT3_T4_T5_T6_T7_T9_mT8_P12ihipStream_tbDpT10_ENKUlT_T0_E_clISt17integral_constantIbLb0EES1F_EEDaS1A_S1B_EUlS1A_E_NS1_11comp_targetILNS1_3genE8ELNS1_11target_archE1030ELNS1_3gpuE2ELNS1_3repE0EEENS1_30default_config_static_selectorELNS0_4arch9wavefront6targetE1EEEvT1_ ; -- Begin function _ZN7rocprim17ROCPRIM_400000_NS6detail17trampoline_kernelINS0_14default_configENS1_25partition_config_selectorILNS1_17partition_subalgoE2EjNS0_10empty_typeEbEEZZNS1_14partition_implILS5_2ELb0ES3_jN6thrust23THRUST_200600_302600_NS6detail15normal_iteratorINSA_7pointerIjNSA_11hip_rocprim3tagENSA_11use_defaultESG_EEEEPS6_NSA_18transform_iteratorI7is_evenIjENSC_INSA_10device_ptrIjEEEESG_SG_EENS0_5tupleIJPjSJ_EEENSR_IJSJ_SJ_EEES6_PlJS6_EEE10hipError_tPvRmT3_T4_T5_T6_T7_T9_mT8_P12ihipStream_tbDpT10_ENKUlT_T0_E_clISt17integral_constantIbLb0EES1F_EEDaS1A_S1B_EUlS1A_E_NS1_11comp_targetILNS1_3genE8ELNS1_11target_archE1030ELNS1_3gpuE2ELNS1_3repE0EEENS1_30default_config_static_selectorELNS0_4arch9wavefront6targetE1EEEvT1_
	.globl	_ZN7rocprim17ROCPRIM_400000_NS6detail17trampoline_kernelINS0_14default_configENS1_25partition_config_selectorILNS1_17partition_subalgoE2EjNS0_10empty_typeEbEEZZNS1_14partition_implILS5_2ELb0ES3_jN6thrust23THRUST_200600_302600_NS6detail15normal_iteratorINSA_7pointerIjNSA_11hip_rocprim3tagENSA_11use_defaultESG_EEEEPS6_NSA_18transform_iteratorI7is_evenIjENSC_INSA_10device_ptrIjEEEESG_SG_EENS0_5tupleIJPjSJ_EEENSR_IJSJ_SJ_EEES6_PlJS6_EEE10hipError_tPvRmT3_T4_T5_T6_T7_T9_mT8_P12ihipStream_tbDpT10_ENKUlT_T0_E_clISt17integral_constantIbLb0EES1F_EEDaS1A_S1B_EUlS1A_E_NS1_11comp_targetILNS1_3genE8ELNS1_11target_archE1030ELNS1_3gpuE2ELNS1_3repE0EEENS1_30default_config_static_selectorELNS0_4arch9wavefront6targetE1EEEvT1_
	.p2align	8
	.type	_ZN7rocprim17ROCPRIM_400000_NS6detail17trampoline_kernelINS0_14default_configENS1_25partition_config_selectorILNS1_17partition_subalgoE2EjNS0_10empty_typeEbEEZZNS1_14partition_implILS5_2ELb0ES3_jN6thrust23THRUST_200600_302600_NS6detail15normal_iteratorINSA_7pointerIjNSA_11hip_rocprim3tagENSA_11use_defaultESG_EEEEPS6_NSA_18transform_iteratorI7is_evenIjENSC_INSA_10device_ptrIjEEEESG_SG_EENS0_5tupleIJPjSJ_EEENSR_IJSJ_SJ_EEES6_PlJS6_EEE10hipError_tPvRmT3_T4_T5_T6_T7_T9_mT8_P12ihipStream_tbDpT10_ENKUlT_T0_E_clISt17integral_constantIbLb0EES1F_EEDaS1A_S1B_EUlS1A_E_NS1_11comp_targetILNS1_3genE8ELNS1_11target_archE1030ELNS1_3gpuE2ELNS1_3repE0EEENS1_30default_config_static_selectorELNS0_4arch9wavefront6targetE1EEEvT1_,@function
_ZN7rocprim17ROCPRIM_400000_NS6detail17trampoline_kernelINS0_14default_configENS1_25partition_config_selectorILNS1_17partition_subalgoE2EjNS0_10empty_typeEbEEZZNS1_14partition_implILS5_2ELb0ES3_jN6thrust23THRUST_200600_302600_NS6detail15normal_iteratorINSA_7pointerIjNSA_11hip_rocprim3tagENSA_11use_defaultESG_EEEEPS6_NSA_18transform_iteratorI7is_evenIjENSC_INSA_10device_ptrIjEEEESG_SG_EENS0_5tupleIJPjSJ_EEENSR_IJSJ_SJ_EEES6_PlJS6_EEE10hipError_tPvRmT3_T4_T5_T6_T7_T9_mT8_P12ihipStream_tbDpT10_ENKUlT_T0_E_clISt17integral_constantIbLb0EES1F_EEDaS1A_S1B_EUlS1A_E_NS1_11comp_targetILNS1_3genE8ELNS1_11target_archE1030ELNS1_3gpuE2ELNS1_3repE0EEENS1_30default_config_static_selectorELNS0_4arch9wavefront6targetE1EEEvT1_: ; @_ZN7rocprim17ROCPRIM_400000_NS6detail17trampoline_kernelINS0_14default_configENS1_25partition_config_selectorILNS1_17partition_subalgoE2EjNS0_10empty_typeEbEEZZNS1_14partition_implILS5_2ELb0ES3_jN6thrust23THRUST_200600_302600_NS6detail15normal_iteratorINSA_7pointerIjNSA_11hip_rocprim3tagENSA_11use_defaultESG_EEEEPS6_NSA_18transform_iteratorI7is_evenIjENSC_INSA_10device_ptrIjEEEESG_SG_EENS0_5tupleIJPjSJ_EEENSR_IJSJ_SJ_EEES6_PlJS6_EEE10hipError_tPvRmT3_T4_T5_T6_T7_T9_mT8_P12ihipStream_tbDpT10_ENKUlT_T0_E_clISt17integral_constantIbLb0EES1F_EEDaS1A_S1B_EUlS1A_E_NS1_11comp_targetILNS1_3genE8ELNS1_11target_archE1030ELNS1_3gpuE2ELNS1_3repE0EEENS1_30default_config_static_selectorELNS0_4arch9wavefront6targetE1EEEvT1_
; %bb.0:
	.section	.rodata,"a",@progbits
	.p2align	6, 0x0
	.amdhsa_kernel _ZN7rocprim17ROCPRIM_400000_NS6detail17trampoline_kernelINS0_14default_configENS1_25partition_config_selectorILNS1_17partition_subalgoE2EjNS0_10empty_typeEbEEZZNS1_14partition_implILS5_2ELb0ES3_jN6thrust23THRUST_200600_302600_NS6detail15normal_iteratorINSA_7pointerIjNSA_11hip_rocprim3tagENSA_11use_defaultESG_EEEEPS6_NSA_18transform_iteratorI7is_evenIjENSC_INSA_10device_ptrIjEEEESG_SG_EENS0_5tupleIJPjSJ_EEENSR_IJSJ_SJ_EEES6_PlJS6_EEE10hipError_tPvRmT3_T4_T5_T6_T7_T9_mT8_P12ihipStream_tbDpT10_ENKUlT_T0_E_clISt17integral_constantIbLb0EES1F_EEDaS1A_S1B_EUlS1A_E_NS1_11comp_targetILNS1_3genE8ELNS1_11target_archE1030ELNS1_3gpuE2ELNS1_3repE0EEENS1_30default_config_static_selectorELNS0_4arch9wavefront6targetE1EEEvT1_
		.amdhsa_group_segment_fixed_size 0
		.amdhsa_private_segment_fixed_size 0
		.amdhsa_kernarg_size 128
		.amdhsa_user_sgpr_count 2
		.amdhsa_user_sgpr_dispatch_ptr 0
		.amdhsa_user_sgpr_queue_ptr 0
		.amdhsa_user_sgpr_kernarg_segment_ptr 1
		.amdhsa_user_sgpr_dispatch_id 0
		.amdhsa_user_sgpr_kernarg_preload_length 0
		.amdhsa_user_sgpr_kernarg_preload_offset 0
		.amdhsa_user_sgpr_private_segment_size 0
		.amdhsa_uses_dynamic_stack 0
		.amdhsa_enable_private_segment 0
		.amdhsa_system_sgpr_workgroup_id_x 1
		.amdhsa_system_sgpr_workgroup_id_y 0
		.amdhsa_system_sgpr_workgroup_id_z 0
		.amdhsa_system_sgpr_workgroup_info 0
		.amdhsa_system_vgpr_workitem_id 0
		.amdhsa_next_free_vgpr 1
		.amdhsa_next_free_sgpr 0
		.amdhsa_accum_offset 4
		.amdhsa_reserve_vcc 0
		.amdhsa_float_round_mode_32 0
		.amdhsa_float_round_mode_16_64 0
		.amdhsa_float_denorm_mode_32 3
		.amdhsa_float_denorm_mode_16_64 3
		.amdhsa_dx10_clamp 1
		.amdhsa_ieee_mode 1
		.amdhsa_fp16_overflow 0
		.amdhsa_tg_split 0
		.amdhsa_exception_fp_ieee_invalid_op 0
		.amdhsa_exception_fp_denorm_src 0
		.amdhsa_exception_fp_ieee_div_zero 0
		.amdhsa_exception_fp_ieee_overflow 0
		.amdhsa_exception_fp_ieee_underflow 0
		.amdhsa_exception_fp_ieee_inexact 0
		.amdhsa_exception_int_div_zero 0
	.end_amdhsa_kernel
	.section	.text._ZN7rocprim17ROCPRIM_400000_NS6detail17trampoline_kernelINS0_14default_configENS1_25partition_config_selectorILNS1_17partition_subalgoE2EjNS0_10empty_typeEbEEZZNS1_14partition_implILS5_2ELb0ES3_jN6thrust23THRUST_200600_302600_NS6detail15normal_iteratorINSA_7pointerIjNSA_11hip_rocprim3tagENSA_11use_defaultESG_EEEEPS6_NSA_18transform_iteratorI7is_evenIjENSC_INSA_10device_ptrIjEEEESG_SG_EENS0_5tupleIJPjSJ_EEENSR_IJSJ_SJ_EEES6_PlJS6_EEE10hipError_tPvRmT3_T4_T5_T6_T7_T9_mT8_P12ihipStream_tbDpT10_ENKUlT_T0_E_clISt17integral_constantIbLb0EES1F_EEDaS1A_S1B_EUlS1A_E_NS1_11comp_targetILNS1_3genE8ELNS1_11target_archE1030ELNS1_3gpuE2ELNS1_3repE0EEENS1_30default_config_static_selectorELNS0_4arch9wavefront6targetE1EEEvT1_,"axG",@progbits,_ZN7rocprim17ROCPRIM_400000_NS6detail17trampoline_kernelINS0_14default_configENS1_25partition_config_selectorILNS1_17partition_subalgoE2EjNS0_10empty_typeEbEEZZNS1_14partition_implILS5_2ELb0ES3_jN6thrust23THRUST_200600_302600_NS6detail15normal_iteratorINSA_7pointerIjNSA_11hip_rocprim3tagENSA_11use_defaultESG_EEEEPS6_NSA_18transform_iteratorI7is_evenIjENSC_INSA_10device_ptrIjEEEESG_SG_EENS0_5tupleIJPjSJ_EEENSR_IJSJ_SJ_EEES6_PlJS6_EEE10hipError_tPvRmT3_T4_T5_T6_T7_T9_mT8_P12ihipStream_tbDpT10_ENKUlT_T0_E_clISt17integral_constantIbLb0EES1F_EEDaS1A_S1B_EUlS1A_E_NS1_11comp_targetILNS1_3genE8ELNS1_11target_archE1030ELNS1_3gpuE2ELNS1_3repE0EEENS1_30default_config_static_selectorELNS0_4arch9wavefront6targetE1EEEvT1_,comdat
.Lfunc_end2044:
	.size	_ZN7rocprim17ROCPRIM_400000_NS6detail17trampoline_kernelINS0_14default_configENS1_25partition_config_selectorILNS1_17partition_subalgoE2EjNS0_10empty_typeEbEEZZNS1_14partition_implILS5_2ELb0ES3_jN6thrust23THRUST_200600_302600_NS6detail15normal_iteratorINSA_7pointerIjNSA_11hip_rocprim3tagENSA_11use_defaultESG_EEEEPS6_NSA_18transform_iteratorI7is_evenIjENSC_INSA_10device_ptrIjEEEESG_SG_EENS0_5tupleIJPjSJ_EEENSR_IJSJ_SJ_EEES6_PlJS6_EEE10hipError_tPvRmT3_T4_T5_T6_T7_T9_mT8_P12ihipStream_tbDpT10_ENKUlT_T0_E_clISt17integral_constantIbLb0EES1F_EEDaS1A_S1B_EUlS1A_E_NS1_11comp_targetILNS1_3genE8ELNS1_11target_archE1030ELNS1_3gpuE2ELNS1_3repE0EEENS1_30default_config_static_selectorELNS0_4arch9wavefront6targetE1EEEvT1_, .Lfunc_end2044-_ZN7rocprim17ROCPRIM_400000_NS6detail17trampoline_kernelINS0_14default_configENS1_25partition_config_selectorILNS1_17partition_subalgoE2EjNS0_10empty_typeEbEEZZNS1_14partition_implILS5_2ELb0ES3_jN6thrust23THRUST_200600_302600_NS6detail15normal_iteratorINSA_7pointerIjNSA_11hip_rocprim3tagENSA_11use_defaultESG_EEEEPS6_NSA_18transform_iteratorI7is_evenIjENSC_INSA_10device_ptrIjEEEESG_SG_EENS0_5tupleIJPjSJ_EEENSR_IJSJ_SJ_EEES6_PlJS6_EEE10hipError_tPvRmT3_T4_T5_T6_T7_T9_mT8_P12ihipStream_tbDpT10_ENKUlT_T0_E_clISt17integral_constantIbLb0EES1F_EEDaS1A_S1B_EUlS1A_E_NS1_11comp_targetILNS1_3genE8ELNS1_11target_archE1030ELNS1_3gpuE2ELNS1_3repE0EEENS1_30default_config_static_selectorELNS0_4arch9wavefront6targetE1EEEvT1_
                                        ; -- End function
	.section	.AMDGPU.csdata,"",@progbits
; Kernel info:
; codeLenInByte = 0
; NumSgprs: 6
; NumVgprs: 0
; NumAgprs: 0
; TotalNumVgprs: 0
; ScratchSize: 0
; MemoryBound: 0
; FloatMode: 240
; IeeeMode: 1
; LDSByteSize: 0 bytes/workgroup (compile time only)
; SGPRBlocks: 0
; VGPRBlocks: 0
; NumSGPRsForWavesPerEU: 6
; NumVGPRsForWavesPerEU: 1
; AccumOffset: 4
; Occupancy: 8
; WaveLimiterHint : 0
; COMPUTE_PGM_RSRC2:SCRATCH_EN: 0
; COMPUTE_PGM_RSRC2:USER_SGPR: 2
; COMPUTE_PGM_RSRC2:TRAP_HANDLER: 0
; COMPUTE_PGM_RSRC2:TGID_X_EN: 1
; COMPUTE_PGM_RSRC2:TGID_Y_EN: 0
; COMPUTE_PGM_RSRC2:TGID_Z_EN: 0
; COMPUTE_PGM_RSRC2:TIDIG_COMP_CNT: 0
; COMPUTE_PGM_RSRC3_GFX90A:ACCUM_OFFSET: 0
; COMPUTE_PGM_RSRC3_GFX90A:TG_SPLIT: 0
	.section	.text._ZN7rocprim17ROCPRIM_400000_NS6detail17trampoline_kernelINS0_14default_configENS1_25partition_config_selectorILNS1_17partition_subalgoE2EjNS0_10empty_typeEbEEZZNS1_14partition_implILS5_2ELb0ES3_jN6thrust23THRUST_200600_302600_NS6detail15normal_iteratorINSA_7pointerIjNSA_11hip_rocprim3tagENSA_11use_defaultESG_EEEEPS6_NSA_18transform_iteratorI7is_evenIjENSC_INSA_10device_ptrIjEEEESG_SG_EENS0_5tupleIJPjSJ_EEENSR_IJSJ_SJ_EEES6_PlJS6_EEE10hipError_tPvRmT3_T4_T5_T6_T7_T9_mT8_P12ihipStream_tbDpT10_ENKUlT_T0_E_clISt17integral_constantIbLb1EES1F_EEDaS1A_S1B_EUlS1A_E_NS1_11comp_targetILNS1_3genE0ELNS1_11target_archE4294967295ELNS1_3gpuE0ELNS1_3repE0EEENS1_30default_config_static_selectorELNS0_4arch9wavefront6targetE1EEEvT1_,"axG",@progbits,_ZN7rocprim17ROCPRIM_400000_NS6detail17trampoline_kernelINS0_14default_configENS1_25partition_config_selectorILNS1_17partition_subalgoE2EjNS0_10empty_typeEbEEZZNS1_14partition_implILS5_2ELb0ES3_jN6thrust23THRUST_200600_302600_NS6detail15normal_iteratorINSA_7pointerIjNSA_11hip_rocprim3tagENSA_11use_defaultESG_EEEEPS6_NSA_18transform_iteratorI7is_evenIjENSC_INSA_10device_ptrIjEEEESG_SG_EENS0_5tupleIJPjSJ_EEENSR_IJSJ_SJ_EEES6_PlJS6_EEE10hipError_tPvRmT3_T4_T5_T6_T7_T9_mT8_P12ihipStream_tbDpT10_ENKUlT_T0_E_clISt17integral_constantIbLb1EES1F_EEDaS1A_S1B_EUlS1A_E_NS1_11comp_targetILNS1_3genE0ELNS1_11target_archE4294967295ELNS1_3gpuE0ELNS1_3repE0EEENS1_30default_config_static_selectorELNS0_4arch9wavefront6targetE1EEEvT1_,comdat
	.protected	_ZN7rocprim17ROCPRIM_400000_NS6detail17trampoline_kernelINS0_14default_configENS1_25partition_config_selectorILNS1_17partition_subalgoE2EjNS0_10empty_typeEbEEZZNS1_14partition_implILS5_2ELb0ES3_jN6thrust23THRUST_200600_302600_NS6detail15normal_iteratorINSA_7pointerIjNSA_11hip_rocprim3tagENSA_11use_defaultESG_EEEEPS6_NSA_18transform_iteratorI7is_evenIjENSC_INSA_10device_ptrIjEEEESG_SG_EENS0_5tupleIJPjSJ_EEENSR_IJSJ_SJ_EEES6_PlJS6_EEE10hipError_tPvRmT3_T4_T5_T6_T7_T9_mT8_P12ihipStream_tbDpT10_ENKUlT_T0_E_clISt17integral_constantIbLb1EES1F_EEDaS1A_S1B_EUlS1A_E_NS1_11comp_targetILNS1_3genE0ELNS1_11target_archE4294967295ELNS1_3gpuE0ELNS1_3repE0EEENS1_30default_config_static_selectorELNS0_4arch9wavefront6targetE1EEEvT1_ ; -- Begin function _ZN7rocprim17ROCPRIM_400000_NS6detail17trampoline_kernelINS0_14default_configENS1_25partition_config_selectorILNS1_17partition_subalgoE2EjNS0_10empty_typeEbEEZZNS1_14partition_implILS5_2ELb0ES3_jN6thrust23THRUST_200600_302600_NS6detail15normal_iteratorINSA_7pointerIjNSA_11hip_rocprim3tagENSA_11use_defaultESG_EEEEPS6_NSA_18transform_iteratorI7is_evenIjENSC_INSA_10device_ptrIjEEEESG_SG_EENS0_5tupleIJPjSJ_EEENSR_IJSJ_SJ_EEES6_PlJS6_EEE10hipError_tPvRmT3_T4_T5_T6_T7_T9_mT8_P12ihipStream_tbDpT10_ENKUlT_T0_E_clISt17integral_constantIbLb1EES1F_EEDaS1A_S1B_EUlS1A_E_NS1_11comp_targetILNS1_3genE0ELNS1_11target_archE4294967295ELNS1_3gpuE0ELNS1_3repE0EEENS1_30default_config_static_selectorELNS0_4arch9wavefront6targetE1EEEvT1_
	.globl	_ZN7rocprim17ROCPRIM_400000_NS6detail17trampoline_kernelINS0_14default_configENS1_25partition_config_selectorILNS1_17partition_subalgoE2EjNS0_10empty_typeEbEEZZNS1_14partition_implILS5_2ELb0ES3_jN6thrust23THRUST_200600_302600_NS6detail15normal_iteratorINSA_7pointerIjNSA_11hip_rocprim3tagENSA_11use_defaultESG_EEEEPS6_NSA_18transform_iteratorI7is_evenIjENSC_INSA_10device_ptrIjEEEESG_SG_EENS0_5tupleIJPjSJ_EEENSR_IJSJ_SJ_EEES6_PlJS6_EEE10hipError_tPvRmT3_T4_T5_T6_T7_T9_mT8_P12ihipStream_tbDpT10_ENKUlT_T0_E_clISt17integral_constantIbLb1EES1F_EEDaS1A_S1B_EUlS1A_E_NS1_11comp_targetILNS1_3genE0ELNS1_11target_archE4294967295ELNS1_3gpuE0ELNS1_3repE0EEENS1_30default_config_static_selectorELNS0_4arch9wavefront6targetE1EEEvT1_
	.p2align	8
	.type	_ZN7rocprim17ROCPRIM_400000_NS6detail17trampoline_kernelINS0_14default_configENS1_25partition_config_selectorILNS1_17partition_subalgoE2EjNS0_10empty_typeEbEEZZNS1_14partition_implILS5_2ELb0ES3_jN6thrust23THRUST_200600_302600_NS6detail15normal_iteratorINSA_7pointerIjNSA_11hip_rocprim3tagENSA_11use_defaultESG_EEEEPS6_NSA_18transform_iteratorI7is_evenIjENSC_INSA_10device_ptrIjEEEESG_SG_EENS0_5tupleIJPjSJ_EEENSR_IJSJ_SJ_EEES6_PlJS6_EEE10hipError_tPvRmT3_T4_T5_T6_T7_T9_mT8_P12ihipStream_tbDpT10_ENKUlT_T0_E_clISt17integral_constantIbLb1EES1F_EEDaS1A_S1B_EUlS1A_E_NS1_11comp_targetILNS1_3genE0ELNS1_11target_archE4294967295ELNS1_3gpuE0ELNS1_3repE0EEENS1_30default_config_static_selectorELNS0_4arch9wavefront6targetE1EEEvT1_,@function
_ZN7rocprim17ROCPRIM_400000_NS6detail17trampoline_kernelINS0_14default_configENS1_25partition_config_selectorILNS1_17partition_subalgoE2EjNS0_10empty_typeEbEEZZNS1_14partition_implILS5_2ELb0ES3_jN6thrust23THRUST_200600_302600_NS6detail15normal_iteratorINSA_7pointerIjNSA_11hip_rocprim3tagENSA_11use_defaultESG_EEEEPS6_NSA_18transform_iteratorI7is_evenIjENSC_INSA_10device_ptrIjEEEESG_SG_EENS0_5tupleIJPjSJ_EEENSR_IJSJ_SJ_EEES6_PlJS6_EEE10hipError_tPvRmT3_T4_T5_T6_T7_T9_mT8_P12ihipStream_tbDpT10_ENKUlT_T0_E_clISt17integral_constantIbLb1EES1F_EEDaS1A_S1B_EUlS1A_E_NS1_11comp_targetILNS1_3genE0ELNS1_11target_archE4294967295ELNS1_3gpuE0ELNS1_3repE0EEENS1_30default_config_static_selectorELNS0_4arch9wavefront6targetE1EEEvT1_: ; @_ZN7rocprim17ROCPRIM_400000_NS6detail17trampoline_kernelINS0_14default_configENS1_25partition_config_selectorILNS1_17partition_subalgoE2EjNS0_10empty_typeEbEEZZNS1_14partition_implILS5_2ELb0ES3_jN6thrust23THRUST_200600_302600_NS6detail15normal_iteratorINSA_7pointerIjNSA_11hip_rocprim3tagENSA_11use_defaultESG_EEEEPS6_NSA_18transform_iteratorI7is_evenIjENSC_INSA_10device_ptrIjEEEESG_SG_EENS0_5tupleIJPjSJ_EEENSR_IJSJ_SJ_EEES6_PlJS6_EEE10hipError_tPvRmT3_T4_T5_T6_T7_T9_mT8_P12ihipStream_tbDpT10_ENKUlT_T0_E_clISt17integral_constantIbLb1EES1F_EEDaS1A_S1B_EUlS1A_E_NS1_11comp_targetILNS1_3genE0ELNS1_11target_archE4294967295ELNS1_3gpuE0ELNS1_3repE0EEENS1_30default_config_static_selectorELNS0_4arch9wavefront6targetE1EEEvT1_
; %bb.0:
	.section	.rodata,"a",@progbits
	.p2align	6, 0x0
	.amdhsa_kernel _ZN7rocprim17ROCPRIM_400000_NS6detail17trampoline_kernelINS0_14default_configENS1_25partition_config_selectorILNS1_17partition_subalgoE2EjNS0_10empty_typeEbEEZZNS1_14partition_implILS5_2ELb0ES3_jN6thrust23THRUST_200600_302600_NS6detail15normal_iteratorINSA_7pointerIjNSA_11hip_rocprim3tagENSA_11use_defaultESG_EEEEPS6_NSA_18transform_iteratorI7is_evenIjENSC_INSA_10device_ptrIjEEEESG_SG_EENS0_5tupleIJPjSJ_EEENSR_IJSJ_SJ_EEES6_PlJS6_EEE10hipError_tPvRmT3_T4_T5_T6_T7_T9_mT8_P12ihipStream_tbDpT10_ENKUlT_T0_E_clISt17integral_constantIbLb1EES1F_EEDaS1A_S1B_EUlS1A_E_NS1_11comp_targetILNS1_3genE0ELNS1_11target_archE4294967295ELNS1_3gpuE0ELNS1_3repE0EEENS1_30default_config_static_selectorELNS0_4arch9wavefront6targetE1EEEvT1_
		.amdhsa_group_segment_fixed_size 0
		.amdhsa_private_segment_fixed_size 0
		.amdhsa_kernarg_size 144
		.amdhsa_user_sgpr_count 2
		.amdhsa_user_sgpr_dispatch_ptr 0
		.amdhsa_user_sgpr_queue_ptr 0
		.amdhsa_user_sgpr_kernarg_segment_ptr 1
		.amdhsa_user_sgpr_dispatch_id 0
		.amdhsa_user_sgpr_kernarg_preload_length 0
		.amdhsa_user_sgpr_kernarg_preload_offset 0
		.amdhsa_user_sgpr_private_segment_size 0
		.amdhsa_uses_dynamic_stack 0
		.amdhsa_enable_private_segment 0
		.amdhsa_system_sgpr_workgroup_id_x 1
		.amdhsa_system_sgpr_workgroup_id_y 0
		.amdhsa_system_sgpr_workgroup_id_z 0
		.amdhsa_system_sgpr_workgroup_info 0
		.amdhsa_system_vgpr_workitem_id 0
		.amdhsa_next_free_vgpr 1
		.amdhsa_next_free_sgpr 0
		.amdhsa_accum_offset 4
		.amdhsa_reserve_vcc 0
		.amdhsa_float_round_mode_32 0
		.amdhsa_float_round_mode_16_64 0
		.amdhsa_float_denorm_mode_32 3
		.amdhsa_float_denorm_mode_16_64 3
		.amdhsa_dx10_clamp 1
		.amdhsa_ieee_mode 1
		.amdhsa_fp16_overflow 0
		.amdhsa_tg_split 0
		.amdhsa_exception_fp_ieee_invalid_op 0
		.amdhsa_exception_fp_denorm_src 0
		.amdhsa_exception_fp_ieee_div_zero 0
		.amdhsa_exception_fp_ieee_overflow 0
		.amdhsa_exception_fp_ieee_underflow 0
		.amdhsa_exception_fp_ieee_inexact 0
		.amdhsa_exception_int_div_zero 0
	.end_amdhsa_kernel
	.section	.text._ZN7rocprim17ROCPRIM_400000_NS6detail17trampoline_kernelINS0_14default_configENS1_25partition_config_selectorILNS1_17partition_subalgoE2EjNS0_10empty_typeEbEEZZNS1_14partition_implILS5_2ELb0ES3_jN6thrust23THRUST_200600_302600_NS6detail15normal_iteratorINSA_7pointerIjNSA_11hip_rocprim3tagENSA_11use_defaultESG_EEEEPS6_NSA_18transform_iteratorI7is_evenIjENSC_INSA_10device_ptrIjEEEESG_SG_EENS0_5tupleIJPjSJ_EEENSR_IJSJ_SJ_EEES6_PlJS6_EEE10hipError_tPvRmT3_T4_T5_T6_T7_T9_mT8_P12ihipStream_tbDpT10_ENKUlT_T0_E_clISt17integral_constantIbLb1EES1F_EEDaS1A_S1B_EUlS1A_E_NS1_11comp_targetILNS1_3genE0ELNS1_11target_archE4294967295ELNS1_3gpuE0ELNS1_3repE0EEENS1_30default_config_static_selectorELNS0_4arch9wavefront6targetE1EEEvT1_,"axG",@progbits,_ZN7rocprim17ROCPRIM_400000_NS6detail17trampoline_kernelINS0_14default_configENS1_25partition_config_selectorILNS1_17partition_subalgoE2EjNS0_10empty_typeEbEEZZNS1_14partition_implILS5_2ELb0ES3_jN6thrust23THRUST_200600_302600_NS6detail15normal_iteratorINSA_7pointerIjNSA_11hip_rocprim3tagENSA_11use_defaultESG_EEEEPS6_NSA_18transform_iteratorI7is_evenIjENSC_INSA_10device_ptrIjEEEESG_SG_EENS0_5tupleIJPjSJ_EEENSR_IJSJ_SJ_EEES6_PlJS6_EEE10hipError_tPvRmT3_T4_T5_T6_T7_T9_mT8_P12ihipStream_tbDpT10_ENKUlT_T0_E_clISt17integral_constantIbLb1EES1F_EEDaS1A_S1B_EUlS1A_E_NS1_11comp_targetILNS1_3genE0ELNS1_11target_archE4294967295ELNS1_3gpuE0ELNS1_3repE0EEENS1_30default_config_static_selectorELNS0_4arch9wavefront6targetE1EEEvT1_,comdat
.Lfunc_end2045:
	.size	_ZN7rocprim17ROCPRIM_400000_NS6detail17trampoline_kernelINS0_14default_configENS1_25partition_config_selectorILNS1_17partition_subalgoE2EjNS0_10empty_typeEbEEZZNS1_14partition_implILS5_2ELb0ES3_jN6thrust23THRUST_200600_302600_NS6detail15normal_iteratorINSA_7pointerIjNSA_11hip_rocprim3tagENSA_11use_defaultESG_EEEEPS6_NSA_18transform_iteratorI7is_evenIjENSC_INSA_10device_ptrIjEEEESG_SG_EENS0_5tupleIJPjSJ_EEENSR_IJSJ_SJ_EEES6_PlJS6_EEE10hipError_tPvRmT3_T4_T5_T6_T7_T9_mT8_P12ihipStream_tbDpT10_ENKUlT_T0_E_clISt17integral_constantIbLb1EES1F_EEDaS1A_S1B_EUlS1A_E_NS1_11comp_targetILNS1_3genE0ELNS1_11target_archE4294967295ELNS1_3gpuE0ELNS1_3repE0EEENS1_30default_config_static_selectorELNS0_4arch9wavefront6targetE1EEEvT1_, .Lfunc_end2045-_ZN7rocprim17ROCPRIM_400000_NS6detail17trampoline_kernelINS0_14default_configENS1_25partition_config_selectorILNS1_17partition_subalgoE2EjNS0_10empty_typeEbEEZZNS1_14partition_implILS5_2ELb0ES3_jN6thrust23THRUST_200600_302600_NS6detail15normal_iteratorINSA_7pointerIjNSA_11hip_rocprim3tagENSA_11use_defaultESG_EEEEPS6_NSA_18transform_iteratorI7is_evenIjENSC_INSA_10device_ptrIjEEEESG_SG_EENS0_5tupleIJPjSJ_EEENSR_IJSJ_SJ_EEES6_PlJS6_EEE10hipError_tPvRmT3_T4_T5_T6_T7_T9_mT8_P12ihipStream_tbDpT10_ENKUlT_T0_E_clISt17integral_constantIbLb1EES1F_EEDaS1A_S1B_EUlS1A_E_NS1_11comp_targetILNS1_3genE0ELNS1_11target_archE4294967295ELNS1_3gpuE0ELNS1_3repE0EEENS1_30default_config_static_selectorELNS0_4arch9wavefront6targetE1EEEvT1_
                                        ; -- End function
	.section	.AMDGPU.csdata,"",@progbits
; Kernel info:
; codeLenInByte = 0
; NumSgprs: 6
; NumVgprs: 0
; NumAgprs: 0
; TotalNumVgprs: 0
; ScratchSize: 0
; MemoryBound: 0
; FloatMode: 240
; IeeeMode: 1
; LDSByteSize: 0 bytes/workgroup (compile time only)
; SGPRBlocks: 0
; VGPRBlocks: 0
; NumSGPRsForWavesPerEU: 6
; NumVGPRsForWavesPerEU: 1
; AccumOffset: 4
; Occupancy: 8
; WaveLimiterHint : 0
; COMPUTE_PGM_RSRC2:SCRATCH_EN: 0
; COMPUTE_PGM_RSRC2:USER_SGPR: 2
; COMPUTE_PGM_RSRC2:TRAP_HANDLER: 0
; COMPUTE_PGM_RSRC2:TGID_X_EN: 1
; COMPUTE_PGM_RSRC2:TGID_Y_EN: 0
; COMPUTE_PGM_RSRC2:TGID_Z_EN: 0
; COMPUTE_PGM_RSRC2:TIDIG_COMP_CNT: 0
; COMPUTE_PGM_RSRC3_GFX90A:ACCUM_OFFSET: 0
; COMPUTE_PGM_RSRC3_GFX90A:TG_SPLIT: 0
	.section	.text._ZN7rocprim17ROCPRIM_400000_NS6detail17trampoline_kernelINS0_14default_configENS1_25partition_config_selectorILNS1_17partition_subalgoE2EjNS0_10empty_typeEbEEZZNS1_14partition_implILS5_2ELb0ES3_jN6thrust23THRUST_200600_302600_NS6detail15normal_iteratorINSA_7pointerIjNSA_11hip_rocprim3tagENSA_11use_defaultESG_EEEEPS6_NSA_18transform_iteratorI7is_evenIjENSC_INSA_10device_ptrIjEEEESG_SG_EENS0_5tupleIJPjSJ_EEENSR_IJSJ_SJ_EEES6_PlJS6_EEE10hipError_tPvRmT3_T4_T5_T6_T7_T9_mT8_P12ihipStream_tbDpT10_ENKUlT_T0_E_clISt17integral_constantIbLb1EES1F_EEDaS1A_S1B_EUlS1A_E_NS1_11comp_targetILNS1_3genE5ELNS1_11target_archE942ELNS1_3gpuE9ELNS1_3repE0EEENS1_30default_config_static_selectorELNS0_4arch9wavefront6targetE1EEEvT1_,"axG",@progbits,_ZN7rocprim17ROCPRIM_400000_NS6detail17trampoline_kernelINS0_14default_configENS1_25partition_config_selectorILNS1_17partition_subalgoE2EjNS0_10empty_typeEbEEZZNS1_14partition_implILS5_2ELb0ES3_jN6thrust23THRUST_200600_302600_NS6detail15normal_iteratorINSA_7pointerIjNSA_11hip_rocprim3tagENSA_11use_defaultESG_EEEEPS6_NSA_18transform_iteratorI7is_evenIjENSC_INSA_10device_ptrIjEEEESG_SG_EENS0_5tupleIJPjSJ_EEENSR_IJSJ_SJ_EEES6_PlJS6_EEE10hipError_tPvRmT3_T4_T5_T6_T7_T9_mT8_P12ihipStream_tbDpT10_ENKUlT_T0_E_clISt17integral_constantIbLb1EES1F_EEDaS1A_S1B_EUlS1A_E_NS1_11comp_targetILNS1_3genE5ELNS1_11target_archE942ELNS1_3gpuE9ELNS1_3repE0EEENS1_30default_config_static_selectorELNS0_4arch9wavefront6targetE1EEEvT1_,comdat
	.protected	_ZN7rocprim17ROCPRIM_400000_NS6detail17trampoline_kernelINS0_14default_configENS1_25partition_config_selectorILNS1_17partition_subalgoE2EjNS0_10empty_typeEbEEZZNS1_14partition_implILS5_2ELb0ES3_jN6thrust23THRUST_200600_302600_NS6detail15normal_iteratorINSA_7pointerIjNSA_11hip_rocprim3tagENSA_11use_defaultESG_EEEEPS6_NSA_18transform_iteratorI7is_evenIjENSC_INSA_10device_ptrIjEEEESG_SG_EENS0_5tupleIJPjSJ_EEENSR_IJSJ_SJ_EEES6_PlJS6_EEE10hipError_tPvRmT3_T4_T5_T6_T7_T9_mT8_P12ihipStream_tbDpT10_ENKUlT_T0_E_clISt17integral_constantIbLb1EES1F_EEDaS1A_S1B_EUlS1A_E_NS1_11comp_targetILNS1_3genE5ELNS1_11target_archE942ELNS1_3gpuE9ELNS1_3repE0EEENS1_30default_config_static_selectorELNS0_4arch9wavefront6targetE1EEEvT1_ ; -- Begin function _ZN7rocprim17ROCPRIM_400000_NS6detail17trampoline_kernelINS0_14default_configENS1_25partition_config_selectorILNS1_17partition_subalgoE2EjNS0_10empty_typeEbEEZZNS1_14partition_implILS5_2ELb0ES3_jN6thrust23THRUST_200600_302600_NS6detail15normal_iteratorINSA_7pointerIjNSA_11hip_rocprim3tagENSA_11use_defaultESG_EEEEPS6_NSA_18transform_iteratorI7is_evenIjENSC_INSA_10device_ptrIjEEEESG_SG_EENS0_5tupleIJPjSJ_EEENSR_IJSJ_SJ_EEES6_PlJS6_EEE10hipError_tPvRmT3_T4_T5_T6_T7_T9_mT8_P12ihipStream_tbDpT10_ENKUlT_T0_E_clISt17integral_constantIbLb1EES1F_EEDaS1A_S1B_EUlS1A_E_NS1_11comp_targetILNS1_3genE5ELNS1_11target_archE942ELNS1_3gpuE9ELNS1_3repE0EEENS1_30default_config_static_selectorELNS0_4arch9wavefront6targetE1EEEvT1_
	.globl	_ZN7rocprim17ROCPRIM_400000_NS6detail17trampoline_kernelINS0_14default_configENS1_25partition_config_selectorILNS1_17partition_subalgoE2EjNS0_10empty_typeEbEEZZNS1_14partition_implILS5_2ELb0ES3_jN6thrust23THRUST_200600_302600_NS6detail15normal_iteratorINSA_7pointerIjNSA_11hip_rocprim3tagENSA_11use_defaultESG_EEEEPS6_NSA_18transform_iteratorI7is_evenIjENSC_INSA_10device_ptrIjEEEESG_SG_EENS0_5tupleIJPjSJ_EEENSR_IJSJ_SJ_EEES6_PlJS6_EEE10hipError_tPvRmT3_T4_T5_T6_T7_T9_mT8_P12ihipStream_tbDpT10_ENKUlT_T0_E_clISt17integral_constantIbLb1EES1F_EEDaS1A_S1B_EUlS1A_E_NS1_11comp_targetILNS1_3genE5ELNS1_11target_archE942ELNS1_3gpuE9ELNS1_3repE0EEENS1_30default_config_static_selectorELNS0_4arch9wavefront6targetE1EEEvT1_
	.p2align	8
	.type	_ZN7rocprim17ROCPRIM_400000_NS6detail17trampoline_kernelINS0_14default_configENS1_25partition_config_selectorILNS1_17partition_subalgoE2EjNS0_10empty_typeEbEEZZNS1_14partition_implILS5_2ELb0ES3_jN6thrust23THRUST_200600_302600_NS6detail15normal_iteratorINSA_7pointerIjNSA_11hip_rocprim3tagENSA_11use_defaultESG_EEEEPS6_NSA_18transform_iteratorI7is_evenIjENSC_INSA_10device_ptrIjEEEESG_SG_EENS0_5tupleIJPjSJ_EEENSR_IJSJ_SJ_EEES6_PlJS6_EEE10hipError_tPvRmT3_T4_T5_T6_T7_T9_mT8_P12ihipStream_tbDpT10_ENKUlT_T0_E_clISt17integral_constantIbLb1EES1F_EEDaS1A_S1B_EUlS1A_E_NS1_11comp_targetILNS1_3genE5ELNS1_11target_archE942ELNS1_3gpuE9ELNS1_3repE0EEENS1_30default_config_static_selectorELNS0_4arch9wavefront6targetE1EEEvT1_,@function
_ZN7rocprim17ROCPRIM_400000_NS6detail17trampoline_kernelINS0_14default_configENS1_25partition_config_selectorILNS1_17partition_subalgoE2EjNS0_10empty_typeEbEEZZNS1_14partition_implILS5_2ELb0ES3_jN6thrust23THRUST_200600_302600_NS6detail15normal_iteratorINSA_7pointerIjNSA_11hip_rocprim3tagENSA_11use_defaultESG_EEEEPS6_NSA_18transform_iteratorI7is_evenIjENSC_INSA_10device_ptrIjEEEESG_SG_EENS0_5tupleIJPjSJ_EEENSR_IJSJ_SJ_EEES6_PlJS6_EEE10hipError_tPvRmT3_T4_T5_T6_T7_T9_mT8_P12ihipStream_tbDpT10_ENKUlT_T0_E_clISt17integral_constantIbLb1EES1F_EEDaS1A_S1B_EUlS1A_E_NS1_11comp_targetILNS1_3genE5ELNS1_11target_archE942ELNS1_3gpuE9ELNS1_3repE0EEENS1_30default_config_static_selectorELNS0_4arch9wavefront6targetE1EEEvT1_: ; @_ZN7rocprim17ROCPRIM_400000_NS6detail17trampoline_kernelINS0_14default_configENS1_25partition_config_selectorILNS1_17partition_subalgoE2EjNS0_10empty_typeEbEEZZNS1_14partition_implILS5_2ELb0ES3_jN6thrust23THRUST_200600_302600_NS6detail15normal_iteratorINSA_7pointerIjNSA_11hip_rocprim3tagENSA_11use_defaultESG_EEEEPS6_NSA_18transform_iteratorI7is_evenIjENSC_INSA_10device_ptrIjEEEESG_SG_EENS0_5tupleIJPjSJ_EEENSR_IJSJ_SJ_EEES6_PlJS6_EEE10hipError_tPvRmT3_T4_T5_T6_T7_T9_mT8_P12ihipStream_tbDpT10_ENKUlT_T0_E_clISt17integral_constantIbLb1EES1F_EEDaS1A_S1B_EUlS1A_E_NS1_11comp_targetILNS1_3genE5ELNS1_11target_archE942ELNS1_3gpuE9ELNS1_3repE0EEENS1_30default_config_static_selectorELNS0_4arch9wavefront6targetE1EEEvT1_
; %bb.0:
	s_load_dwordx2 s[2:3], s[0:1], 0x20
	s_load_dwordx2 s[28:29], s[0:1], 0x30
	;; [unrolled: 1-line block ×3, first 2 shown]
	s_load_dwordx4 s[20:23], s[0:1], 0x50
	s_load_dwordx2 s[36:37], s[0:1], 0x70
	v_cmp_eq_u32_e64 s[18:19], 0, v0
	s_and_saveexec_b64 s[4:5], s[18:19]
	s_cbranch_execz .LBB2046_4
; %bb.1:
	s_mov_b64 s[8:9], exec
	v_mbcnt_lo_u32_b32 v1, s8, 0
	v_mbcnt_hi_u32_b32 v1, s9, v1
	v_cmp_eq_u32_e32 vcc, 0, v1
                                        ; implicit-def: $vgpr2
	s_and_saveexec_b64 s[6:7], vcc
	s_cbranch_execz .LBB2046_3
; %bb.2:
	s_load_dwordx2 s[10:11], s[0:1], 0x80
	s_bcnt1_i32_b64 s8, s[8:9]
	v_mov_b32_e32 v2, 0
	v_mov_b32_e32 v3, s8
	s_waitcnt lgkmcnt(0)
	global_atomic_add v2, v2, v3, s[10:11] sc0
.LBB2046_3:
	s_or_b64 exec, exec, s[6:7]
	s_waitcnt vmcnt(0)
	v_readfirstlane_b32 s6, v2
	v_mov_b32_e32 v2, 0
	s_nop 0
	v_add_u32_e32 v1, s6, v1
	ds_write_b32 v2, v1
.LBB2046_4:
	s_or_b64 exec, exec, s[4:5]
	v_mov_b32_e32 v23, 0
	s_load_dwordx4 s[24:27], s[0:1], 0x8
	s_load_dword s6, s[0:1], 0x78
	s_waitcnt lgkmcnt(0)
	s_barrier
	ds_read_b32 v1, v23
	s_waitcnt lgkmcnt(0)
	s_barrier
	global_load_dwordx2 v[24:25], v23, s[22:23]
	s_lshl_b64 s[4:5], s[26:27], 2
	s_add_u32 s8, s24, s4
	s_mul_i32 s0, s6, 0x1e00
	s_addc_u32 s9, s25, s5
	s_add_i32 s1, s0, s26
	s_sub_i32 s33, s30, s1
	s_add_i32 s7, s6, -1
	s_addk_i32 s33, 0x1e00
	s_add_u32 s0, s26, s0
	v_readfirstlane_b32 s42, v1
	s_addc_u32 s1, s27, 0
	s_cmp_eq_u32 s42, s7
	v_mov_b64_e32 v[2:3], s[30:31]
	s_cselect_b64 s[22:23], -1, 0
	s_cmp_lg_u32 s42, s7
	s_mul_i32 s24, s42, 0x1e00
	s_mov_b32 s25, 0
	v_cmp_lt_u64_e32 vcc, s[0:1], v[2:3]
	s_cselect_b64 s[0:1], -1, 0
	s_or_b64 s[34:35], vcc, s[0:1]
	s_lshl_b64 s[6:7], s[24:25], 2
	s_add_u32 s8, s8, s6
	s_addc_u32 s9, s9, s7
	s_mov_b64 s[0:1], -1
	s_and_b64 vcc, exec, s[34:35]
	v_lshlrev_b32_e32 v22, 2, v0
	s_cbranch_vccz .LBB2046_6
; %bb.5:
	v_lshl_add_u64 v[2:3], s[8:9], 0, v[22:23]
	v_add_co_u32_e32 v4, vcc, 0x1000, v2
	s_mov_b64 s[0:1], 0
	s_nop 0
	v_addc_co_u32_e32 v5, vcc, 0, v3, vcc
	v_add_co_u32_e32 v6, vcc, 0x2000, v2
	s_nop 1
	v_addc_co_u32_e32 v7, vcc, 0, v3, vcc
	v_add_co_u32_e32 v8, vcc, 0x3000, v2
	s_nop 1
	v_addc_co_u32_e32 v9, vcc, 0, v3, vcc
	flat_load_dword v1, v[2:3]
	flat_load_dword v10, v[2:3] offset:2048
	flat_load_dword v11, v[4:5]
	flat_load_dword v12, v[4:5] offset:2048
	;; [unrolled: 2-line block ×4, first 2 shown]
	v_add_co_u32_e32 v4, vcc, 0x4000, v2
	s_nop 1
	v_addc_co_u32_e32 v5, vcc, 0, v3, vcc
	v_add_co_u32_e32 v6, vcc, 0x5000, v2
	s_nop 1
	v_addc_co_u32_e32 v7, vcc, 0, v3, vcc
	;; [unrolled: 3-line block ×4, first 2 shown]
	flat_load_dword v17, v[4:5]
	flat_load_dword v18, v[4:5] offset:2048
	flat_load_dword v19, v[6:7]
	flat_load_dword v20, v[6:7] offset:2048
	;; [unrolled: 2-line block ×3, first 2 shown]
	flat_load_dword v26, v[2:3]
	s_waitcnt vmcnt(0) lgkmcnt(0)
	ds_write2st64_b32 v22, v1, v10 offset1:8
	ds_write2st64_b32 v22, v11, v12 offset0:16 offset1:24
	ds_write2st64_b32 v22, v13, v14 offset0:32 offset1:40
	;; [unrolled: 1-line block ×6, first 2 shown]
	ds_write_b32 v22, v26 offset:28672
	s_waitcnt lgkmcnt(0)
	s_barrier
.LBB2046_6:
	s_andn2_b64 vcc, exec, s[0:1]
	v_cmp_gt_u32_e64 s[0:1], s33, v0
	s_cbranch_vccnz .LBB2046_38
; %bb.7:
                                        ; implicit-def: $vgpr2_vgpr3_vgpr4_vgpr5_vgpr6_vgpr7_vgpr8_vgpr9_vgpr10_vgpr11_vgpr12_vgpr13_vgpr14_vgpr15_vgpr16_vgpr17
	s_and_saveexec_b64 s[10:11], s[0:1]
	s_cbranch_execz .LBB2046_9
; %bb.8:
	v_mov_b32_e32 v23, 0
	v_lshl_add_u64 v[2:3], s[8:9], 0, v[22:23]
	flat_load_dword v2, v[2:3]
.LBB2046_9:
	s_or_b64 exec, exec, s[10:11]
	v_or_b32_e32 v1, 0x200, v0
	v_cmp_gt_u32_e32 vcc, s33, v1
	s_and_saveexec_b64 s[0:1], vcc
	s_cbranch_execz .LBB2046_11
; %bb.10:
	v_mov_b32_e32 v23, 0
	v_lshl_add_u64 v[18:19], s[8:9], 0, v[22:23]
	flat_load_dword v3, v[18:19] offset:2048
.LBB2046_11:
	s_or_b64 exec, exec, s[0:1]
	v_or_b32_e32 v1, 0x400, v0
	v_cmp_gt_u32_e32 vcc, s33, v1
	s_and_saveexec_b64 s[0:1], vcc
	s_cbranch_execz .LBB2046_13
; %bb.12:
	v_lshlrev_b32_e32 v18, 2, v1
	v_mov_b32_e32 v19, 0
	v_lshl_add_u64 v[18:19], s[8:9], 0, v[18:19]
	flat_load_dword v4, v[18:19]
.LBB2046_13:
	s_or_b64 exec, exec, s[0:1]
	v_or_b32_e32 v1, 0x600, v0
	v_cmp_gt_u32_e32 vcc, s33, v1
	s_and_saveexec_b64 s[0:1], vcc
	s_cbranch_execz .LBB2046_15
; %bb.14:
	v_lshlrev_b32_e32 v18, 2, v1
	v_mov_b32_e32 v19, 0
	v_lshl_add_u64 v[18:19], s[8:9], 0, v[18:19]
	flat_load_dword v5, v[18:19]
.LBB2046_15:
	;; [unrolled: 11-line block ×13, first 2 shown]
	s_or_b64 exec, exec, s[0:1]
	s_waitcnt vmcnt(0) lgkmcnt(0)
	ds_write2st64_b32 v22, v2, v3 offset1:8
	ds_write2st64_b32 v22, v4, v5 offset0:16 offset1:24
	ds_write2st64_b32 v22, v6, v7 offset0:32 offset1:40
	;; [unrolled: 1-line block ×6, first 2 shown]
	ds_write_b32 v22, v16 offset:28672
	s_waitcnt lgkmcnt(0)
	s_barrier
.LBB2046_38:
	v_mul_u32_u24_e32 v21, 15, v0
	v_lshlrev_b32_e32 v1, 2, v21
	ds_read2_b32 v[40:41], v1 offset1:1
	ds_read2_b32 v[38:39], v1 offset0:2 offset1:3
	ds_read2_b32 v[36:37], v1 offset0:4 offset1:5
	;; [unrolled: 1-line block ×6, first 2 shown]
	ds_read_b32 v1, v1 offset:56
	s_add_u32 s0, s2, s4
	s_addc_u32 s1, s3, s5
	s_add_u32 s0, s0, s6
	s_addc_u32 s1, s1, s7
	s_mov_b64 s[2:3], -1
	s_and_b64 vcc, exec, s[34:35]
	s_waitcnt lgkmcnt(0)
	s_barrier
	s_cbranch_vccz .LBB2046_40
; %bb.39:
	v_mov_b32_e32 v23, 0
	v_lshl_add_u64 v[2:3], s[0:1], 0, v[22:23]
	v_add_co_u32_e32 v4, vcc, 0x1000, v2
	global_load_dword v10, v22, s[0:1]
	global_load_dword v11, v22, s[0:1] offset:2048
	v_addc_co_u32_e32 v5, vcc, 0, v3, vcc
	v_add_co_u32_e32 v6, vcc, 0x2000, v2
	s_mov_b64 s[2:3], 0
	s_nop 0
	v_addc_co_u32_e32 v7, vcc, 0, v3, vcc
	v_add_co_u32_e32 v8, vcc, 0x3000, v2
	s_nop 1
	v_addc_co_u32_e32 v9, vcc, 0, v3, vcc
	global_load_dword v12, v[4:5], off
	global_load_dword v13, v[4:5], off offset:2048
	global_load_dword v14, v[6:7], off
	global_load_dword v15, v[6:7], off offset:2048
	;; [unrolled: 2-line block ×3, first 2 shown]
	v_add_co_u32_e32 v4, vcc, 0x4000, v2
	s_nop 1
	v_addc_co_u32_e32 v5, vcc, 0, v3, vcc
	global_load_dword v6, v[4:5], off
	global_load_dword v7, v[4:5], off offset:2048
	v_add_co_u32_e32 v4, vcc, 0x5000, v2
	s_waitcnt vmcnt(1)
	v_xor_b32_e32 v6, -1, v6
	v_addc_co_u32_e32 v5, vcc, 0, v3, vcc
	global_load_dword v8, v[4:5], off
	global_load_dword v9, v[4:5], off offset:2048
	v_add_co_u32_e32 v4, vcc, 0x6000, v2
	s_waitcnt vmcnt(2)
	v_xor_b32_e32 v7, -1, v7
	v_addc_co_u32_e32 v5, vcc, 0, v3, vcc
	v_add_co_u32_e32 v2, vcc, 0x7000, v2
	global_load_dword v18, v[4:5], off
	global_load_dword v19, v[4:5], off offset:2048
	v_addc_co_u32_e32 v3, vcc, 0, v3, vcc
	global_load_dword v2, v[2:3], off
	v_xor_b32_e32 v3, -1, v10
	v_xor_b32_e32 v4, -1, v11
	v_and_b32_e32 v3, 1, v3
	v_and_b32_e32 v4, 1, v4
	ds_write_b8 v0, v3
	ds_write_b8 v0, v4 offset:512
	v_xor_b32_e32 v3, -1, v12
	v_xor_b32_e32 v4, -1, v13
	;; [unrolled: 1-line block ×3, first 2 shown]
	v_and_b32_e32 v3, 1, v3
	v_and_b32_e32 v4, 1, v4
	v_xor_b32_e32 v10, -1, v15
	v_and_b32_e32 v5, 1, v5
	v_xor_b32_e32 v11, -1, v16
	v_xor_b32_e32 v12, -1, v17
	v_and_b32_e32 v10, 1, v10
	ds_write_b8 v0, v3 offset:1024
	ds_write_b8 v0, v4 offset:1536
	v_and_b32_e32 v3, 1, v11
	v_and_b32_e32 v4, 1, v12
	ds_write_b8 v0, v5 offset:2048
	ds_write_b8 v0, v10 offset:2560
	v_and_b32_e32 v5, 1, v6
	v_and_b32_e32 v6, 1, v7
	ds_write_b8 v0, v3 offset:3072
	ds_write_b8 v0, v4 offset:3584
	;; [unrolled: 1-line block ×4, first 2 shown]
	s_waitcnt vmcnt(4)
	v_xor_b32_e32 v7, -1, v8
	s_waitcnt vmcnt(3)
	v_xor_b32_e32 v8, -1, v9
	v_and_b32_e32 v3, 1, v7
	v_and_b32_e32 v4, 1, v8
	s_waitcnt vmcnt(2)
	v_xor_b32_e32 v7, -1, v18
	s_waitcnt vmcnt(1)
	v_xor_b32_e32 v8, -1, v19
	v_and_b32_e32 v5, 1, v7
	v_and_b32_e32 v6, 1, v8
	s_waitcnt vmcnt(0)
	v_xor_b32_e32 v2, -1, v2
	v_and_b32_e32 v2, 1, v2
	ds_write_b8 v0, v3 offset:5120
	ds_write_b8 v0, v4 offset:5632
	;; [unrolled: 1-line block ×5, first 2 shown]
	s_waitcnt lgkmcnt(0)
	s_barrier
.LBB2046_40:
	s_andn2_b64 vcc, exec, s[2:3]
	s_cbranch_vccnz .LBB2046_72
; %bb.41:
	v_cmp_gt_u32_e32 vcc, s33, v0
	v_mov_b32_e32 v2, 0
	v_mov_b32_e32 v3, 0
	s_and_saveexec_b64 s[2:3], vcc
	s_cbranch_execz .LBB2046_43
; %bb.42:
	global_load_dword v3, v22, s[0:1]
	s_waitcnt vmcnt(0)
	v_xor_b32_e32 v3, -1, v3
	v_and_b32_e32 v3, 1, v3
.LBB2046_43:
	s_or_b64 exec, exec, s[2:3]
	v_or_b32_e32 v4, 0x200, v0
	v_cmp_gt_u32_e32 vcc, s33, v4
	s_and_saveexec_b64 s[2:3], vcc
	s_cbranch_execz .LBB2046_45
; %bb.44:
	global_load_dword v2, v22, s[0:1] offset:2048
	s_waitcnt vmcnt(0)
	v_xor_b32_e32 v2, -1, v2
	v_and_b32_e32 v2, 1, v2
.LBB2046_45:
	s_or_b64 exec, exec, s[2:3]
	v_or_b32_e32 v6, 0x400, v0
	v_cmp_gt_u32_e32 vcc, s33, v6
	v_mov_b32_e32 v4, 0
	v_mov_b32_e32 v5, 0
	s_and_saveexec_b64 s[2:3], vcc
	s_cbranch_execz .LBB2046_47
; %bb.46:
	v_lshlrev_b32_e32 v5, 2, v6
	global_load_dword v5, v5, s[0:1]
	s_waitcnt vmcnt(0)
	v_xor_b32_e32 v5, -1, v5
	v_and_b32_e32 v5, 1, v5
.LBB2046_47:
	s_or_b64 exec, exec, s[2:3]
	v_or_b32_e32 v6, 0x600, v0
	v_cmp_gt_u32_e32 vcc, s33, v6
	s_and_saveexec_b64 s[2:3], vcc
	s_cbranch_execz .LBB2046_49
; %bb.48:
	v_lshlrev_b32_e32 v4, 2, v6
	global_load_dword v4, v4, s[0:1]
	s_waitcnt vmcnt(0)
	v_xor_b32_e32 v4, -1, v4
	v_and_b32_e32 v4, 1, v4
.LBB2046_49:
	s_or_b64 exec, exec, s[2:3]
	v_or_b32_e32 v8, 0x800, v0
	v_cmp_gt_u32_e32 vcc, s33, v8
	v_mov_b32_e32 v6, 0
	v_mov_b32_e32 v7, 0
	s_and_saveexec_b64 s[2:3], vcc
	s_cbranch_execz .LBB2046_51
; %bb.50:
	v_lshlrev_b32_e32 v7, 2, v8
	global_load_dword v7, v7, s[0:1]
	s_waitcnt vmcnt(0)
	v_xor_b32_e32 v7, -1, v7
	v_and_b32_e32 v7, 1, v7
.LBB2046_51:
	s_or_b64 exec, exec, s[2:3]
	v_or_b32_e32 v8, 0xa00, v0
	v_cmp_gt_u32_e32 vcc, s33, v8
	s_and_saveexec_b64 s[2:3], vcc
	s_cbranch_execz .LBB2046_53
; %bb.52:
	v_lshlrev_b32_e32 v6, 2, v8
	global_load_dword v6, v6, s[0:1]
	s_waitcnt vmcnt(0)
	v_xor_b32_e32 v6, -1, v6
	v_and_b32_e32 v6, 1, v6
.LBB2046_53:
	;; [unrolled: 26-line block ×6, first 2 shown]
	s_or_b64 exec, exec, s[2:3]
	v_or_b32_e32 v17, 0x1c00, v0
	v_cmp_gt_u32_e32 vcc, s33, v17
	v_mov_b32_e32 v16, 0
	s_and_saveexec_b64 s[2:3], vcc
	s_cbranch_execz .LBB2046_71
; %bb.70:
	v_lshlrev_b32_e32 v16, 2, v17
	global_load_dword v16, v16, s[0:1]
	s_waitcnt vmcnt(0)
	v_xor_b32_e32 v16, -1, v16
	v_and_b32_e32 v16, 1, v16
.LBB2046_71:
	s_or_b64 exec, exec, s[2:3]
	ds_write_b8 v0, v3
	ds_write_b8 v0, v2 offset:512
	ds_write_b8 v0, v5 offset:1024
	;; [unrolled: 1-line block ×14, first 2 shown]
	s_waitcnt lgkmcnt(0)
	s_barrier
.LBB2046_72:
	ds_read_b96 v[18:20], v21
	ds_read_u8 v2, v21 offset:12
	ds_read_u8 v3, v21 offset:13
	;; [unrolled: 1-line block ×3, first 2 shown]
	s_cmp_lg_u32 s42, 0
	v_lshrrev_b32_e32 v58, 6, v0
	s_waitcnt lgkmcnt(2)
	v_and_b32_e32 v44, 1, v2
	v_and_b32_e32 v53, 0xff, v18
	v_bfe_u32 v55, v18, 8, 8
	v_bfe_u32 v56, v18, 16, 8
	v_lshrrev_b32_e32 v46, 24, v18
	v_and_b32_e32 v50, 0xff, v19
	v_add3_u32 v2, v55, v53, v56
	v_bfe_u32 v51, v19, 8, 8
	v_bfe_u32 v52, v19, 16, 8
	v_add3_u32 v2, v2, v46, v50
	v_lshrrev_b32_e32 v45, 24, v19
	v_and_b32_e32 v47, 0xff, v20
	v_add3_u32 v2, v2, v51, v52
	v_bfe_u32 v48, v20, 8, 8
	v_bfe_u32 v49, v20, 16, 8
	v_add3_u32 v2, v2, v45, v47
	v_lshrrev_b32_e32 v43, 24, v20
	v_add3_u32 v2, v2, v48, v49
	s_waitcnt lgkmcnt(1)
	v_and_b32_e32 v42, 1, v3
	s_waitcnt lgkmcnt(0)
	v_and_b32_e32 v23, 1, v4
	v_add3_u32 v2, v2, v43, v44
	v_add3_u32 v59, v2, v42, v23
	v_mbcnt_lo_u32_b32 v2, -1, 0
	v_mbcnt_hi_u32_b32 v57, -1, v2
	v_and_b32_e32 v2, 15, v57
	v_cmp_eq_u32_e64 s[14:15], 0, v2
	v_cmp_lt_u32_e64 s[12:13], 1, v2
	v_cmp_lt_u32_e64 s[10:11], 3, v2
	;; [unrolled: 1-line block ×3, first 2 shown]
	v_and_b32_e32 v2, 16, v57
	v_cmp_eq_u32_e64 s[6:7], 0, v2
	v_or_b32_e32 v2, 63, v0
	v_cmp_lt_u32_e64 s[2:3], 31, v57
	v_cmp_eq_u32_e64 s[4:5], v2, v0
	s_barrier
	s_cbranch_scc0 .LBB2046_103
; %bb.73:
	v_mov_b32_dpp v2, v59 row_shr:1 row_mask:0xf bank_mask:0xf
	v_cndmask_b32_e64 v2, v2, 0, s[14:15]
	v_add_u32_e32 v2, v2, v59
	s_nop 1
	v_mov_b32_dpp v3, v2 row_shr:2 row_mask:0xf bank_mask:0xf
	v_cndmask_b32_e64 v3, 0, v3, s[12:13]
	v_add_u32_e32 v2, v2, v3
	s_nop 1
	;; [unrolled: 4-line block ×4, first 2 shown]
	v_mov_b32_dpp v3, v2 row_bcast:15 row_mask:0xf bank_mask:0xf
	v_cndmask_b32_e64 v3, v3, 0, s[6:7]
	v_add_u32_e32 v2, v2, v3
	s_nop 1
	v_mov_b32_dpp v3, v2 row_bcast:31 row_mask:0xf bank_mask:0xf
	v_cndmask_b32_e64 v3, 0, v3, s[2:3]
	v_add_u32_e32 v2, v2, v3
	s_and_saveexec_b64 s[0:1], s[4:5]
	s_cbranch_execz .LBB2046_75
; %bb.74:
	v_lshlrev_b32_e32 v3, 2, v58
	ds_write_b32 v3, v2
.LBB2046_75:
	s_or_b64 exec, exec, s[0:1]
	v_cmp_gt_u32_e32 vcc, 8, v0
	s_waitcnt lgkmcnt(0)
	s_barrier
	s_and_saveexec_b64 s[0:1], vcc
	s_cbranch_execz .LBB2046_77
; %bb.76:
	ds_read_b32 v3, v22
	v_and_b32_e32 v4, 7, v57
	v_cmp_ne_u32_e32 vcc, 0, v4
	s_waitcnt lgkmcnt(0)
	v_mov_b32_dpp v5, v3 row_shr:1 row_mask:0xf bank_mask:0xf
	v_cndmask_b32_e32 v5, 0, v5, vcc
	v_add_u32_e32 v3, v5, v3
	v_cmp_lt_u32_e32 vcc, 1, v4
	s_nop 0
	v_mov_b32_dpp v5, v3 row_shr:2 row_mask:0xf bank_mask:0xf
	v_cndmask_b32_e32 v5, 0, v5, vcc
	v_add_u32_e32 v3, v3, v5
	v_cmp_lt_u32_e32 vcc, 3, v4
	s_nop 0
	v_mov_b32_dpp v5, v3 row_shr:4 row_mask:0xf bank_mask:0xf
	v_cndmask_b32_e32 v4, 0, v5, vcc
	v_add_u32_e32 v3, v3, v4
	ds_write_b32 v22, v3
.LBB2046_77:
	s_or_b64 exec, exec, s[0:1]
	v_cmp_gt_u32_e32 vcc, 64, v0
	v_cmp_lt_u32_e64 s[0:1], 63, v0
	s_waitcnt lgkmcnt(0)
	s_barrier
	s_waitcnt lgkmcnt(0)
                                        ; implicit-def: $vgpr12
	s_and_saveexec_b64 s[16:17], s[0:1]
	s_cbranch_execz .LBB2046_79
; %bb.78:
	v_lshl_add_u32 v3, v58, 2, -4
	ds_read_b32 v12, v3
	s_waitcnt lgkmcnt(0)
	v_add_u32_e32 v2, v12, v2
.LBB2046_79:
	s_or_b64 exec, exec, s[16:17]
	v_add_u32_e32 v3, -1, v57
	v_and_b32_e32 v4, 64, v57
	v_cmp_lt_i32_e64 s[0:1], v3, v4
	v_cmp_eq_u32_e64 s[16:17], 0, v57
	s_nop 0
	v_cndmask_b32_e64 v3, v3, v57, s[0:1]
	v_lshlrev_b32_e32 v3, 2, v3
	ds_bpermute_b32 v13, v3, v2
	s_and_saveexec_b64 s[0:1], vcc
	s_cbranch_execz .LBB2046_102
; %bb.80:
	v_mov_b32_e32 v11, 0
	ds_read_b32 v2, v11 offset:28
	s_and_saveexec_b64 s[38:39], s[16:17]
	s_cbranch_execz .LBB2046_82
; %bb.81:
	s_add_i32 s40, s42, 64
	s_mov_b32 s41, 0
	s_lshl_b64 s[40:41], s[40:41], 3
	s_add_u32 s40, s36, s40
	v_mov_b32_e32 v3, 1
	s_addc_u32 s41, s37, s41
	s_waitcnt lgkmcnt(0)
	global_store_dwordx2 v11, v[2:3], s[40:41] sc1
.LBB2046_82:
	s_or_b64 exec, exec, s[38:39]
	v_xad_u32 v4, v57, -1, s42
	v_add_u32_e32 v10, 64, v4
	v_lshl_add_u64 v[6:7], v[10:11], 3, s[36:37]
	global_load_dwordx2 v[8:9], v[6:7], off sc1
	s_waitcnt vmcnt(0)
	v_cmp_eq_u16_sdwa s[40:41], v9, v11 src0_sel:BYTE_0 src1_sel:DWORD
	s_and_saveexec_b64 s[38:39], s[40:41]
	s_cbranch_execz .LBB2046_88
; %bb.83:
	s_mov_b32 s25, 1
	s_mov_b64 s[40:41], 0
	v_mov_b32_e32 v3, 0
.LBB2046_84:                            ; =>This Loop Header: Depth=1
                                        ;     Child Loop BB2046_85 Depth 2
	s_max_u32 s43, s25, 1
.LBB2046_85:                            ;   Parent Loop BB2046_84 Depth=1
                                        ; =>  This Inner Loop Header: Depth=2
	s_add_i32 s43, s43, -1
	s_cmp_eq_u32 s43, 0
	s_sleep 1
	s_cbranch_scc0 .LBB2046_85
; %bb.86:                               ;   in Loop: Header=BB2046_84 Depth=1
	global_load_dwordx2 v[8:9], v[6:7], off sc1
	s_cmp_lt_u32 s25, 32
	s_cselect_b64 s[44:45], -1, 0
	s_cmp_lg_u64 s[44:45], 0
	s_addc_u32 s25, s25, 0
	s_waitcnt vmcnt(0)
	v_cmp_ne_u16_sdwa s[44:45], v9, v3 src0_sel:BYTE_0 src1_sel:DWORD
	s_or_b64 s[40:41], s[44:45], s[40:41]
	s_andn2_b64 exec, exec, s[40:41]
	s_cbranch_execnz .LBB2046_84
; %bb.87:
	s_or_b64 exec, exec, s[40:41]
.LBB2046_88:
	s_or_b64 exec, exec, s[38:39]
	v_and_b32_e32 v15, 63, v57
	v_mov_b32_e32 v14, 2
	v_cmp_ne_u32_e32 vcc, 63, v15
	v_cmp_eq_u16_sdwa s[38:39], v9, v14 src0_sel:BYTE_0 src1_sel:DWORD
	v_lshlrev_b64 v[6:7], v57, -1
	v_addc_co_u32_e32 v10, vcc, 0, v57, vcc
	v_and_b32_e32 v3, s39, v7
	v_lshlrev_b32_e32 v16, 2, v10
	v_or_b32_e32 v3, 0x80000000, v3
	ds_bpermute_b32 v10, v16, v8
	v_and_b32_e32 v5, s38, v6
	v_ffbl_b32_e32 v3, v3
	v_add_u32_e32 v3, 32, v3
	v_ffbl_b32_e32 v5, v5
	v_min_u32_e32 v3, v5, v3
	v_cmp_lt_u32_e32 vcc, v15, v3
	v_add_u32_e32 v26, 2, v15
	v_add_u32_e32 v54, 4, v15
	s_waitcnt lgkmcnt(0)
	v_cndmask_b32_e32 v5, 0, v10, vcc
	v_cmp_gt_u32_e32 vcc, 62, v15
	v_add_u32_e32 v5, v5, v8
	v_add_u32_e32 v61, 8, v15
	v_cndmask_b32_e64 v8, 0, 1, vcc
	v_lshlrev_b32_e32 v8, 1, v8
	v_add_lshl_u32 v17, v8, v57, 2
	ds_bpermute_b32 v8, v17, v5
	v_cmp_le_u32_e32 vcc, v26, v3
	v_add_u32_e32 v63, 16, v15
	v_add_u32_e32 v65, 32, v15
	s_waitcnt lgkmcnt(0)
	v_cndmask_b32_e32 v8, 0, v8, vcc
	v_cmp_gt_u32_e32 vcc, 60, v15
	v_add_u32_e32 v5, v5, v8
	s_nop 0
	v_cndmask_b32_e64 v8, 0, 1, vcc
	v_lshlrev_b32_e32 v8, 2, v8
	v_add_lshl_u32 v27, v8, v57, 2
	ds_bpermute_b32 v8, v27, v5
	v_cmp_le_u32_e32 vcc, v54, v3
	s_waitcnt lgkmcnt(0)
	s_nop 0
	v_cndmask_b32_e32 v8, 0, v8, vcc
	v_cmp_gt_u32_e32 vcc, 56, v15
	v_add_u32_e32 v5, v5, v8
	s_nop 0
	v_cndmask_b32_e64 v8, 0, 1, vcc
	v_lshlrev_b32_e32 v8, 3, v8
	v_add_lshl_u32 v60, v8, v57, 2
	ds_bpermute_b32 v8, v60, v5
	v_cmp_le_u32_e32 vcc, v61, v3
	s_waitcnt lgkmcnt(0)
	s_nop 0
	;; [unrolled: 11-line block ×4, first 2 shown]
	v_cndmask_b32_e32 v3, 0, v8, vcc
	v_add_u32_e32 v8, v5, v3
	v_mov_b32_e32 v5, 0
	s_branch .LBB2046_90
.LBB2046_89:                            ;   in Loop: Header=BB2046_90 Depth=1
	s_or_b64 exec, exec, s[38:39]
	v_cmp_eq_u16_sdwa s[38:39], v9, v14 src0_sel:BYTE_0 src1_sel:DWORD
	ds_bpermute_b32 v66, v16, v8
	v_subrev_u32_e32 v4, 64, v4
	v_and_b32_e32 v10, s39, v7
	v_or_b32_e32 v10, 0x80000000, v10
	v_and_b32_e32 v11, s38, v6
	v_ffbl_b32_e32 v10, v10
	v_add_u32_e32 v10, 32, v10
	v_ffbl_b32_e32 v11, v11
	v_min_u32_e32 v10, v11, v10
	v_cmp_lt_u32_e32 vcc, v15, v10
	s_waitcnt lgkmcnt(0)
	s_nop 0
	v_cndmask_b32_e32 v11, 0, v66, vcc
	v_add_u32_e32 v8, v11, v8
	ds_bpermute_b32 v11, v17, v8
	v_cmp_le_u32_e32 vcc, v26, v10
	s_waitcnt lgkmcnt(0)
	s_nop 0
	v_cndmask_b32_e32 v11, 0, v11, vcc
	v_add_u32_e32 v8, v8, v11
	ds_bpermute_b32 v11, v27, v8
	v_cmp_le_u32_e32 vcc, v54, v10
	;; [unrolled: 6-line block ×5, first 2 shown]
	s_waitcnt lgkmcnt(0)
	s_nop 0
	v_cndmask_b32_e32 v10, 0, v11, vcc
	v_add3_u32 v8, v10, v3, v8
.LBB2046_90:                            ; =>This Loop Header: Depth=1
                                        ;     Child Loop BB2046_93 Depth 2
                                        ;       Child Loop BB2046_94 Depth 3
	v_cmp_ne_u16_sdwa s[38:39], v9, v14 src0_sel:BYTE_0 src1_sel:DWORD
	s_nop 1
	v_cndmask_b32_e64 v3, 0, 1, s[38:39]
	;;#ASMSTART
	;;#ASMEND
	s_nop 0
	v_cmp_ne_u32_e32 vcc, 0, v3
	s_cmp_lg_u64 vcc, exec
	v_mov_b32_e32 v3, v8
	s_cbranch_scc1 .LBB2046_97
; %bb.91:                               ;   in Loop: Header=BB2046_90 Depth=1
	v_lshl_add_u64 v[10:11], v[4:5], 3, s[36:37]
	global_load_dwordx2 v[8:9], v[10:11], off sc1
	s_waitcnt vmcnt(0)
	v_cmp_eq_u16_sdwa s[40:41], v9, v5 src0_sel:BYTE_0 src1_sel:DWORD
	s_and_saveexec_b64 s[38:39], s[40:41]
	s_cbranch_execz .LBB2046_89
; %bb.92:                               ;   in Loop: Header=BB2046_90 Depth=1
	s_mov_b32 s25, 1
	s_mov_b64 s[40:41], 0
.LBB2046_93:                            ;   Parent Loop BB2046_90 Depth=1
                                        ; =>  This Loop Header: Depth=2
                                        ;       Child Loop BB2046_94 Depth 3
	s_max_u32 s43, s25, 1
.LBB2046_94:                            ;   Parent Loop BB2046_90 Depth=1
                                        ;     Parent Loop BB2046_93 Depth=2
                                        ; =>    This Inner Loop Header: Depth=3
	s_add_i32 s43, s43, -1
	s_cmp_eq_u32 s43, 0
	s_sleep 1
	s_cbranch_scc0 .LBB2046_94
; %bb.95:                               ;   in Loop: Header=BB2046_93 Depth=2
	global_load_dwordx2 v[8:9], v[10:11], off sc1
	s_cmp_lt_u32 s25, 32
	s_cselect_b64 s[44:45], -1, 0
	s_cmp_lg_u64 s[44:45], 0
	s_addc_u32 s25, s25, 0
	s_waitcnt vmcnt(0)
	v_cmp_ne_u16_sdwa s[44:45], v9, v5 src0_sel:BYTE_0 src1_sel:DWORD
	s_or_b64 s[40:41], s[44:45], s[40:41]
	s_andn2_b64 exec, exec, s[40:41]
	s_cbranch_execnz .LBB2046_93
; %bb.96:                               ;   in Loop: Header=BB2046_90 Depth=1
	s_or_b64 exec, exec, s[40:41]
	s_branch .LBB2046_89
.LBB2046_97:                            ;   in Loop: Header=BB2046_90 Depth=1
                                        ; implicit-def: $vgpr8
                                        ; implicit-def: $vgpr9
	s_cbranch_execz .LBB2046_90
; %bb.98:
	s_and_saveexec_b64 s[38:39], s[16:17]
	s_cbranch_execz .LBB2046_100
; %bb.99:
	s_add_i32 s40, s42, 64
	s_mov_b32 s41, 0
	s_lshl_b64 s[40:41], s[40:41], 3
	s_add_u32 s40, s36, s40
	v_add_u32_e32 v4, v3, v2
	v_mov_b32_e32 v5, 2
	s_addc_u32 s41, s37, s41
	v_mov_b32_e32 v6, 0
	global_store_dwordx2 v6, v[4:5], s[40:41] sc1
	ds_write_b64 v6, v[2:3] offset:30720
.LBB2046_100:
	s_or_b64 exec, exec, s[38:39]
	s_and_b64 exec, exec, s[18:19]
	s_cbranch_execz .LBB2046_102
; %bb.101:
	v_mov_b32_e32 v2, 0
	ds_write_b32 v2, v3 offset:28
.LBB2046_102:
	s_or_b64 exec, exec, s[0:1]
	v_mov_b32_e32 v14, 0
	s_waitcnt lgkmcnt(0)
	s_barrier
	ds_read_b32 v2, v14 offset:28
	v_cndmask_b32_e64 v3, v13, v12, s[16:17]
	v_cndmask_b32_e64 v3, v3, 0, s[18:19]
	s_waitcnt lgkmcnt(0)
	s_barrier
	v_add_u32_e32 v2, v2, v3
	v_add_u32_e32 v3, v2, v53
	;; [unrolled: 1-line block ×10, first 2 shown]
	ds_read_b64 v[26:27], v14 offset:30720
	v_add_u32_e32 v12, v11, v48
	v_add_u32_e32 v13, v12, v49
	;; [unrolled: 1-line block ×5, first 2 shown]
	s_waitcnt lgkmcnt(0)
	v_mov_b32_e32 v54, v27
	s_branch .LBB2046_113
.LBB2046_103:
                                        ; implicit-def: $vgpr54
                                        ; implicit-def: $vgpr26
                                        ; implicit-def: $vgpr2_vgpr3_vgpr4_vgpr5_vgpr6_vgpr7_vgpr8_vgpr9_vgpr10_vgpr11_vgpr12_vgpr13_vgpr14_vgpr15_vgpr16_vgpr17
	s_cbranch_execz .LBB2046_113
; %bb.104:
	s_nop 0
	v_mov_b32_dpp v2, v59 row_shr:1 row_mask:0xf bank_mask:0xf
	v_cndmask_b32_e64 v2, v2, 0, s[14:15]
	v_add_u32_e32 v2, v2, v59
	s_nop 1
	v_mov_b32_dpp v3, v2 row_shr:2 row_mask:0xf bank_mask:0xf
	v_cndmask_b32_e64 v3, 0, v3, s[12:13]
	v_add_u32_e32 v2, v2, v3
	;; [unrolled: 4-line block ×4, first 2 shown]
	s_nop 1
	v_mov_b32_dpp v3, v2 row_bcast:15 row_mask:0xf bank_mask:0xf
	v_cndmask_b32_e64 v3, v3, 0, s[6:7]
	v_add_u32_e32 v2, v2, v3
	s_nop 1
	v_mov_b32_dpp v3, v2 row_bcast:31 row_mask:0xf bank_mask:0xf
	v_cndmask_b32_e64 v3, 0, v3, s[2:3]
	v_add_u32_e32 v2, v2, v3
	s_and_saveexec_b64 s[0:1], s[4:5]
	s_cbranch_execz .LBB2046_106
; %bb.105:
	v_lshlrev_b32_e32 v3, 2, v58
	ds_write_b32 v3, v2
.LBB2046_106:
	s_or_b64 exec, exec, s[0:1]
	v_cmp_gt_u32_e32 vcc, 8, v0
	s_waitcnt lgkmcnt(0)
	s_barrier
	s_and_saveexec_b64 s[0:1], vcc
	s_cbranch_execz .LBB2046_108
; %bb.107:
	v_mad_i32_i24 v3, v0, -11, v21
	ds_read_b32 v4, v3
	v_and_b32_e32 v5, 7, v57
	v_cmp_ne_u32_e32 vcc, 0, v5
	s_waitcnt lgkmcnt(0)
	v_mov_b32_dpp v6, v4 row_shr:1 row_mask:0xf bank_mask:0xf
	v_cndmask_b32_e32 v6, 0, v6, vcc
	v_add_u32_e32 v4, v6, v4
	v_cmp_lt_u32_e32 vcc, 1, v5
	s_nop 0
	v_mov_b32_dpp v6, v4 row_shr:2 row_mask:0xf bank_mask:0xf
	v_cndmask_b32_e32 v6, 0, v6, vcc
	v_add_u32_e32 v4, v4, v6
	v_cmp_lt_u32_e32 vcc, 3, v5
	s_nop 0
	v_mov_b32_dpp v6, v4 row_shr:4 row_mask:0xf bank_mask:0xf
	v_cndmask_b32_e32 v5, 0, v6, vcc
	v_add_u32_e32 v4, v4, v5
	ds_write_b32 v3, v4
.LBB2046_108:
	s_or_b64 exec, exec, s[0:1]
	v_cmp_lt_u32_e32 vcc, 63, v0
	v_mov_b32_e32 v4, 0
	v_mov_b32_e32 v3, 0
	s_waitcnt lgkmcnt(0)
	s_barrier
	s_and_saveexec_b64 s[0:1], vcc
	s_cbranch_execz .LBB2046_110
; %bb.109:
	v_lshl_add_u32 v3, v58, 2, -4
	ds_read_b32 v3, v3
.LBB2046_110:
	s_or_b64 exec, exec, s[0:1]
	v_add_u32_e32 v5, -1, v57
	v_and_b32_e32 v6, 64, v57
	v_cmp_lt_i32_e32 vcc, v5, v6
	s_waitcnt lgkmcnt(0)
	v_add_u32_e32 v2, v3, v2
	ds_read_b32 v26, v4 offset:28
	v_cndmask_b32_e32 v5, v5, v57, vcc
	v_lshlrev_b32_e32 v5, 2, v5
	ds_bpermute_b32 v2, v5, v2
	s_and_saveexec_b64 s[0:1], s[18:19]
	s_cbranch_execz .LBB2046_112
; %bb.111:
	v_mov_b32_e32 v4, 0
	v_mov_b32_e32 v27, 2
	s_waitcnt lgkmcnt(1)
	global_store_dwordx2 v4, v[26:27], s[36:37] offset:512 sc1
.LBB2046_112:
	s_or_b64 exec, exec, s[0:1]
	v_cmp_eq_u32_e32 vcc, 0, v57
	v_mov_b32_e32 v54, 0
	s_waitcnt lgkmcnt(0)
	v_cndmask_b32_e32 v2, v2, v3, vcc
	v_cndmask_b32_e64 v2, v2, 0, s[18:19]
	v_add_u32_e32 v3, v2, v53
	v_add_u32_e32 v4, v3, v55
	;; [unrolled: 1-line block ×14, first 2 shown]
	s_barrier
.LBB2046_113:
	v_add_u32_e32 v21, v26, v21
	v_sub_u32_e32 v2, v2, v54
	v_and_b32_e32 v49, 1, v18
	v_sub_u32_e32 v48, v21, v2
	v_cmp_eq_u32_e32 vcc, 1, v49
	v_lshrrev_b32_e32 v47, 8, v18
	v_lshrrev_b32_e32 v27, 8, v19
	v_cndmask_b32_e32 v2, v48, v2, vcc
	v_lshlrev_b32_e32 v2, 2, v2
	ds_write_b32 v2, v40
	v_sub_u32_e32 v2, v3, v54
	v_sub_u32_e32 v3, v21, v2
	v_and_b32_e32 v40, 1, v47
	v_add_u32_e32 v3, 1, v3
	v_cmp_eq_u32_e32 vcc, 1, v40
	v_lshrrev_b32_e32 v17, 8, v20
	s_add_u32 s0, s26, s24
	v_cndmask_b32_e32 v2, v3, v2, vcc
	v_lshlrev_b32_e32 v2, 2, v2
	ds_write_b32 v2, v41
	v_sub_u32_e32 v2, v4, v54
	v_mov_b32_e32 v4, 1
	v_sub_u32_e32 v3, v21, v2
	v_and_b32_sdwa v18, v4, v18 dst_sel:DWORD dst_unused:UNUSED_PAD src0_sel:DWORD src1_sel:WORD_1
	v_add_u32_e32 v3, 2, v3
	v_cmp_eq_u32_e32 vcc, 1, v18
	s_addc_u32 s1, s27, 0
	s_sub_u32 s0, s30, s0
	v_cndmask_b32_e32 v2, v3, v2, vcc
	v_lshlrev_b32_e32 v2, 2, v2
	ds_write_b32 v2, v38
	v_sub_u32_e32 v2, v5, v54
	v_sub_u32_e32 v3, v21, v2
	v_and_b32_e32 v5, 1, v46
	v_add_u32_e32 v3, 3, v3
	v_cmp_eq_u32_e32 vcc, 1, v5
	v_and_b32_e32 v5, 1, v19
	s_subb_u32 s1, s31, s1
	v_cndmask_b32_e32 v2, v3, v2, vcc
	v_lshlrev_b32_e32 v2, 2, v2
	ds_write_b32 v2, v39
	v_sub_u32_e32 v2, v6, v54
	v_sub_u32_e32 v3, v21, v2
	v_add_u32_e32 v3, 4, v3
	v_cmp_eq_u32_e32 vcc, 1, v5
	v_and_b32_e32 v5, 1, v27
	v_or_b32_e32 v52, 0x200, v0
	v_cndmask_b32_e32 v2, v3, v2, vcc
	v_lshlrev_b32_e32 v2, 2, v2
	ds_write_b32 v2, v36
	v_sub_u32_e32 v2, v7, v54
	v_sub_u32_e32 v3, v21, v2
	v_add_u32_e32 v3, 5, v3
	v_cmp_eq_u32_e32 vcc, 1, v5
	v_and_b32_sdwa v5, v4, v19 dst_sel:DWORD dst_unused:UNUSED_PAD src0_sel:DWORD src1_sel:WORD_1
	v_and_b32_sdwa v4, v4, v20 dst_sel:DWORD dst_unused:UNUSED_PAD src0_sel:DWORD src1_sel:WORD_1
	v_cndmask_b32_e32 v2, v3, v2, vcc
	v_lshlrev_b32_e32 v2, 2, v2
	ds_write_b32 v2, v37
	v_sub_u32_e32 v2, v8, v54
	v_sub_u32_e32 v3, v21, v2
	v_add_u32_e32 v3, 6, v3
	v_cmp_eq_u32_e32 vcc, 1, v5
	v_and_b32_e32 v5, 1, v45
	v_or_b32_e32 v48, 0x400, v0
	v_cndmask_b32_e32 v2, v3, v2, vcc
	v_lshlrev_b32_e32 v2, 2, v2
	ds_write_b32 v2, v34
	v_sub_u32_e32 v2, v9, v54
	v_sub_u32_e32 v3, v21, v2
	v_add_u32_e32 v3, 7, v3
	v_cmp_eq_u32_e32 vcc, 1, v5
	v_and_b32_e32 v5, 1, v20
	v_or_b32_e32 v46, 0x600, v0
	;; [unrolled: 9-line block ×3, first 2 shown]
	v_cndmask_b32_e32 v2, v3, v2, vcc
	v_lshlrev_b32_e32 v2, 2, v2
	ds_write_b32 v2, v32
	v_sub_u32_e32 v2, v11, v54
	v_sub_u32_e32 v3, v21, v2
	v_add_u32_e32 v3, 9, v3
	v_cmp_eq_u32_e32 vcc, 1, v5
	v_or_b32_e32 v36, 0xc00, v0
	v_or_b32_e32 v34, 0xe00, v0
	v_cndmask_b32_e32 v2, v3, v2, vcc
	v_lshlrev_b32_e32 v2, 2, v2
	ds_write_b32 v2, v33
	v_sub_u32_e32 v2, v12, v54
	v_sub_u32_e32 v3, v21, v2
	v_add_u32_e32 v3, 10, v3
	v_cmp_eq_u32_e32 vcc, 1, v4
	v_and_b32_e32 v4, 1, v43
	v_or_b32_e32 v18, 0x1400, v0
	v_cndmask_b32_e32 v2, v3, v2, vcc
	v_lshlrev_b32_e32 v2, 2, v2
	ds_write_b32 v2, v30
	v_sub_u32_e32 v2, v13, v54
	v_sub_u32_e32 v3, v21, v2
	v_add_u32_e32 v3, 11, v3
	v_cmp_eq_u32_e32 vcc, 1, v4
	v_or_b32_e32 v30, 0x1000, v0
	v_or_b32_e32 v12, 0x1800, v0
	v_cndmask_b32_e32 v2, v3, v2, vcc
	v_lshlrev_b32_e32 v2, 2, v2
	ds_write_b32 v2, v31
	v_sub_u32_e32 v2, v14, v54
	v_sub_u32_e32 v3, v21, v2
	v_add_u32_e32 v3, 12, v3
	v_cmp_eq_u32_e32 vcc, 1, v44
	v_or_b32_e32 v10, 0x1a00, v0
	;; [unrolled: 9-line block ×4, first 2 shown]
	s_nop 0
	v_cndmask_b32_e32 v2, v3, v2, vcc
	v_lshlrev_b32_e32 v2, 2, v2
	ds_write_b32 v2, v1
	s_waitcnt lgkmcnt(0)
	s_barrier
	ds_read2st64_b32 v[50:51], v22 offset1:8
	ds_read2st64_b32 v[44:45], v22 offset0:16 offset1:24
	ds_read2st64_b32 v[38:39], v22 offset0:32 offset1:40
	;; [unrolled: 1-line block ×6, first 2 shown]
	ds_read_b32 v56, v22 offset:28672
	v_mov_b32_e32 v1, 0
	v_mov_b32_e32 v55, v1
	;; [unrolled: 1-line block ×3, first 2 shown]
	s_waitcnt vmcnt(0)
	v_lshl_add_u64 v[2:3], v[24:25], 0, v[54:55]
	v_lshl_add_u64 v[6:7], s[0:1], 0, v[26:27]
	v_mov_b32_e32 v53, v1
	v_mov_b32_e32 v49, v1
	;; [unrolled: 1-line block ×14, first 2 shown]
	s_andn2_b64 vcc, exec, s[34:35]
	v_lshl_add_u64 v[6:7], v[6:7], 0, v[2:3]
	s_cbranch_vccnz .LBB2046_178
; %bb.114:
	v_cmp_ge_u32_e32 vcc, v0, v26
                                        ; implicit-def: $vgpr22_vgpr23
	s_and_saveexec_b64 s[0:1], vcc
	s_xor_b64 s[0:1], exec, s[0:1]
; %bb.115:
	v_not_b32_e32 v22, v0
	v_ashrrev_i32_e32 v23, 31, v22
	v_lshl_add_u64 v[22:23], v[6:7], 0, v[22:23]
; %bb.116:
	s_andn2_saveexec_b64 s[0:1], s[0:1]
; %bb.117:
	v_lshl_add_u64 v[22:23], v[2:3], 0, v[0:1]
; %bb.118:
	s_or_b64 exec, exec, s[0:1]
	v_lshl_add_u64 v[22:23], v[22:23], 2, s[28:29]
	v_cmp_ge_u32_e32 vcc, v52, v26
	s_waitcnt lgkmcnt(7)
	global_store_dword v[22:23], v50, off
                                        ; implicit-def: $vgpr22_vgpr23
	s_and_saveexec_b64 s[0:1], vcc
	s_xor_b64 s[0:1], exec, s[0:1]
; %bb.119:
	v_xor_b32_e32 v22, 0xfffffdff, v0
	v_ashrrev_i32_e32 v23, 31, v22
	v_lshl_add_u64 v[22:23], v[6:7], 0, v[22:23]
; %bb.120:
	s_andn2_saveexec_b64 s[0:1], s[0:1]
; %bb.121:
	v_lshl_add_u64 v[22:23], v[2:3], 0, v[52:53]
; %bb.122:
	s_or_b64 exec, exec, s[0:1]
	v_lshl_add_u64 v[22:23], v[22:23], 2, s[28:29]
	v_cmp_ge_u32_e32 vcc, v48, v26
	global_store_dword v[22:23], v51, off
                                        ; implicit-def: $vgpr22_vgpr23
	s_and_saveexec_b64 s[0:1], vcc
	s_xor_b64 s[0:1], exec, s[0:1]
; %bb.123:
	v_xor_b32_e32 v22, 0xfffffbff, v0
	v_ashrrev_i32_e32 v23, 31, v22
	v_lshl_add_u64 v[22:23], v[6:7], 0, v[22:23]
; %bb.124:
	s_andn2_saveexec_b64 s[0:1], s[0:1]
; %bb.125:
	v_lshl_add_u64 v[22:23], v[2:3], 0, v[48:49]
; %bb.126:
	s_or_b64 exec, exec, s[0:1]
	v_lshl_add_u64 v[22:23], v[22:23], 2, s[28:29]
	v_cmp_ge_u32_e32 vcc, v46, v26
	s_waitcnt lgkmcnt(6)
	global_store_dword v[22:23], v44, off
                                        ; implicit-def: $vgpr22_vgpr23
	s_and_saveexec_b64 s[0:1], vcc
	s_xor_b64 s[0:1], exec, s[0:1]
; %bb.127:
	v_xor_b32_e32 v22, 0xfffff9ff, v0
	v_ashrrev_i32_e32 v23, 31, v22
	v_lshl_add_u64 v[22:23], v[6:7], 0, v[22:23]
; %bb.128:
	s_andn2_saveexec_b64 s[0:1], s[0:1]
; %bb.129:
	v_lshl_add_u64 v[22:23], v[2:3], 0, v[46:47]
; %bb.130:
	s_or_b64 exec, exec, s[0:1]
	v_lshl_add_u64 v[22:23], v[22:23], 2, s[28:29]
	v_cmp_ge_u32_e32 vcc, v42, v26
	global_store_dword v[22:23], v45, off
                                        ; implicit-def: $vgpr22_vgpr23
	s_and_saveexec_b64 s[0:1], vcc
	s_xor_b64 s[0:1], exec, s[0:1]
; %bb.131:
	v_xor_b32_e32 v22, 0xfffff7ff, v0
	;; [unrolled: 33-line block ×7, first 2 shown]
	v_ashrrev_i32_e32 v23, 31, v22
	v_lshl_add_u64 v[22:23], v[6:7], 0, v[22:23]
; %bb.172:
	s_andn2_saveexec_b64 s[0:1], s[0:1]
; %bb.173:
	v_lshl_add_u64 v[22:23], v[2:3], 0, v[4:5]
; %bb.174:
	s_or_b64 exec, exec, s[0:1]
	s_mov_b64 s[0:1], -1
.LBB2046_175:
	s_and_saveexec_b64 s[2:3], s[0:1]
	s_cbranch_execz .LBB2046_270
.LBB2046_176:
	v_lshl_add_u64 v[0:1], v[22:23], 2, s[28:29]
	s_waitcnt lgkmcnt(0)
	global_store_dword v[0:1], v56, off
	s_or_b64 exec, exec, s[2:3]
	s_and_b64 s[0:1], s[18:19], s[22:23]
	s_and_saveexec_b64 s[2:3], s[0:1]
	s_cbranch_execnz .LBB2046_271
.LBB2046_177:
	s_endpgm
.LBB2046_178:
	s_mov_b64 s[0:1], 0
                                        ; implicit-def: $vgpr22_vgpr23
	s_cbranch_execz .LBB2046_175
; %bb.179:
	v_cmp_gt_u32_e32 vcc, s33, v0
	s_and_saveexec_b64 s[2:3], vcc
	s_cbranch_execz .LBB2046_221
; %bb.180:
	v_cmp_ge_u32_e32 vcc, v0, v26
                                        ; implicit-def: $vgpr22_vgpr23
	s_and_saveexec_b64 s[4:5], vcc
	s_xor_b64 s[4:5], exec, s[4:5]
; %bb.181:
	v_not_b32_e32 v22, v0
	v_ashrrev_i32_e32 v23, 31, v22
	v_lshl_add_u64 v[22:23], v[6:7], 0, v[22:23]
; %bb.182:
	s_andn2_saveexec_b64 s[4:5], s[4:5]
; %bb.183:
	v_lshl_add_u64 v[22:23], v[2:3], 0, v[0:1]
; %bb.184:
	s_or_b64 exec, exec, s[4:5]
	v_lshl_add_u64 v[22:23], v[22:23], 2, s[28:29]
	s_waitcnt lgkmcnt(7)
	global_store_dword v[22:23], v50, off
	s_or_b64 exec, exec, s[2:3]
	v_cmp_gt_u32_e32 vcc, s33, v52
	s_and_saveexec_b64 s[2:3], vcc
	s_cbranch_execnz .LBB2046_222
.LBB2046_185:
	s_or_b64 exec, exec, s[2:3]
	v_cmp_gt_u32_e32 vcc, s33, v48
	s_and_saveexec_b64 s[2:3], vcc
	s_cbranch_execz .LBB2046_227
.LBB2046_186:
	v_cmp_ge_u32_e32 vcc, v48, v26
                                        ; implicit-def: $vgpr22_vgpr23
	s_and_saveexec_b64 s[4:5], vcc
	s_xor_b64 s[4:5], exec, s[4:5]
; %bb.187:
	v_xor_b32_e32 v22, 0xfffffbff, v0
	v_ashrrev_i32_e32 v23, 31, v22
	v_lshl_add_u64 v[22:23], v[6:7], 0, v[22:23]
                                        ; implicit-def: $vgpr48_vgpr49
; %bb.188:
	s_andn2_saveexec_b64 s[4:5], s[4:5]
; %bb.189:
	v_lshl_add_u64 v[22:23], v[2:3], 0, v[48:49]
; %bb.190:
	s_or_b64 exec, exec, s[4:5]
	v_lshl_add_u64 v[22:23], v[22:23], 2, s[28:29]
	s_waitcnt lgkmcnt(6)
	global_store_dword v[22:23], v44, off
	s_or_b64 exec, exec, s[2:3]
	v_cmp_gt_u32_e32 vcc, s33, v46
	s_and_saveexec_b64 s[2:3], vcc
	s_cbranch_execnz .LBB2046_228
.LBB2046_191:
	s_or_b64 exec, exec, s[2:3]
	v_cmp_gt_u32_e32 vcc, s33, v42
	s_and_saveexec_b64 s[2:3], vcc
	s_cbranch_execz .LBB2046_233
.LBB2046_192:
	v_cmp_ge_u32_e32 vcc, v42, v26
                                        ; implicit-def: $vgpr22_vgpr23
	s_and_saveexec_b64 s[4:5], vcc
	s_xor_b64 s[4:5], exec, s[4:5]
; %bb.193:
	v_xor_b32_e32 v22, 0xfffff7ff, v0
	v_ashrrev_i32_e32 v23, 31, v22
	v_lshl_add_u64 v[22:23], v[6:7], 0, v[22:23]
                                        ; implicit-def: $vgpr42_vgpr43
; %bb.194:
	s_andn2_saveexec_b64 s[4:5], s[4:5]
; %bb.195:
	v_lshl_add_u64 v[22:23], v[2:3], 0, v[42:43]
; %bb.196:
	s_or_b64 exec, exec, s[4:5]
	v_lshl_add_u64 v[22:23], v[22:23], 2, s[28:29]
	s_waitcnt lgkmcnt(5)
	global_store_dword v[22:23], v38, off
	s_or_b64 exec, exec, s[2:3]
	v_cmp_gt_u32_e32 vcc, s33, v40
	s_and_saveexec_b64 s[2:3], vcc
	s_cbranch_execnz .LBB2046_234
.LBB2046_197:
	s_or_b64 exec, exec, s[2:3]
	v_cmp_gt_u32_e32 vcc, s33, v36
	s_and_saveexec_b64 s[2:3], vcc
	s_cbranch_execz .LBB2046_239
.LBB2046_198:
	v_cmp_ge_u32_e32 vcc, v36, v26
                                        ; implicit-def: $vgpr22_vgpr23
	s_and_saveexec_b64 s[4:5], vcc
	s_xor_b64 s[4:5], exec, s[4:5]
; %bb.199:
	v_xor_b32_e32 v22, 0xfffff3ff, v0
	v_ashrrev_i32_e32 v23, 31, v22
	v_lshl_add_u64 v[22:23], v[6:7], 0, v[22:23]
                                        ; implicit-def: $vgpr36_vgpr37
; %bb.200:
	s_andn2_saveexec_b64 s[4:5], s[4:5]
; %bb.201:
	v_lshl_add_u64 v[22:23], v[2:3], 0, v[36:37]
; %bb.202:
	s_or_b64 exec, exec, s[4:5]
	v_lshl_add_u64 v[22:23], v[22:23], 2, s[28:29]
	s_waitcnt lgkmcnt(4)
	global_store_dword v[22:23], v32, off
	s_or_b64 exec, exec, s[2:3]
	v_cmp_gt_u32_e32 vcc, s33, v34
	s_and_saveexec_b64 s[2:3], vcc
	s_cbranch_execnz .LBB2046_240
.LBB2046_203:
	s_or_b64 exec, exec, s[2:3]
	v_cmp_gt_u32_e32 vcc, s33, v30
	s_and_saveexec_b64 s[2:3], vcc
	s_cbranch_execz .LBB2046_245
.LBB2046_204:
	v_cmp_ge_u32_e32 vcc, v30, v26
                                        ; implicit-def: $vgpr22_vgpr23
	s_and_saveexec_b64 s[4:5], vcc
	s_xor_b64 s[4:5], exec, s[4:5]
; %bb.205:
	v_xor_b32_e32 v22, 0xffffefff, v0
	v_ashrrev_i32_e32 v23, 31, v22
	v_lshl_add_u64 v[22:23], v[6:7], 0, v[22:23]
                                        ; implicit-def: $vgpr30_vgpr31
; %bb.206:
	s_andn2_saveexec_b64 s[4:5], s[4:5]
; %bb.207:
	v_lshl_add_u64 v[22:23], v[2:3], 0, v[30:31]
; %bb.208:
	s_or_b64 exec, exec, s[4:5]
	v_lshl_add_u64 v[22:23], v[22:23], 2, s[28:29]
	s_waitcnt lgkmcnt(3)
	global_store_dword v[22:23], v20, off
	s_or_b64 exec, exec, s[2:3]
	v_cmp_gt_u32_e32 vcc, s33, v28
	s_and_saveexec_b64 s[2:3], vcc
	s_cbranch_execnz .LBB2046_246
.LBB2046_209:
	s_or_b64 exec, exec, s[2:3]
	v_cmp_gt_u32_e32 vcc, s33, v18
	s_and_saveexec_b64 s[2:3], vcc
	s_cbranch_execz .LBB2046_251
.LBB2046_210:
	v_cmp_ge_u32_e32 vcc, v18, v26
                                        ; implicit-def: $vgpr20_vgpr21
	s_and_saveexec_b64 s[4:5], vcc
	s_xor_b64 s[4:5], exec, s[4:5]
	s_cbranch_execz .LBB2046_212
; %bb.211:
	v_xor_b32_e32 v18, 0xffffebff, v0
	v_ashrrev_i32_e32 v19, 31, v18
	s_waitcnt lgkmcnt(3)
	v_lshl_add_u64 v[20:21], v[6:7], 0, v[18:19]
                                        ; implicit-def: $vgpr18_vgpr19
.LBB2046_212:
	s_andn2_saveexec_b64 s[4:5], s[4:5]
	s_cbranch_execz .LBB2046_214
; %bb.213:
	s_waitcnt lgkmcnt(3)
	v_lshl_add_u64 v[20:21], v[2:3], 0, v[18:19]
.LBB2046_214:
	s_or_b64 exec, exec, s[4:5]
	s_waitcnt lgkmcnt(3)
	v_lshl_add_u64 v[18:19], v[20:21], 2, s[28:29]
	s_waitcnt lgkmcnt(2)
	global_store_dword v[18:19], v14, off
	s_or_b64 exec, exec, s[2:3]
	v_cmp_gt_u32_e32 vcc, s33, v16
	s_and_saveexec_b64 s[2:3], vcc
	s_cbranch_execnz .LBB2046_252
.LBB2046_215:
	s_or_b64 exec, exec, s[2:3]
	v_cmp_gt_u32_e32 vcc, s33, v12
	s_and_saveexec_b64 s[2:3], vcc
	s_cbranch_execz .LBB2046_257
.LBB2046_216:
	v_cmp_ge_u32_e32 vcc, v12, v26
                                        ; implicit-def: $vgpr14_vgpr15
	s_and_saveexec_b64 s[4:5], vcc
	s_xor_b64 s[4:5], exec, s[4:5]
	s_cbranch_execz .LBB2046_218
; %bb.217:
	v_xor_b32_e32 v12, 0xffffe7ff, v0
	v_ashrrev_i32_e32 v13, 31, v12
	s_waitcnt lgkmcnt(2)
	v_lshl_add_u64 v[14:15], v[6:7], 0, v[12:13]
                                        ; implicit-def: $vgpr12_vgpr13
.LBB2046_218:
	s_andn2_saveexec_b64 s[4:5], s[4:5]
	s_cbranch_execz .LBB2046_220
; %bb.219:
	s_waitcnt lgkmcnt(2)
	v_lshl_add_u64 v[14:15], v[2:3], 0, v[12:13]
.LBB2046_220:
	s_or_b64 exec, exec, s[4:5]
	s_waitcnt lgkmcnt(2)
	v_lshl_add_u64 v[12:13], v[14:15], 2, s[28:29]
	s_waitcnt lgkmcnt(1)
	global_store_dword v[12:13], v8, off
	s_or_b64 exec, exec, s[2:3]
	v_cmp_gt_u32_e32 vcc, s33, v10
	s_and_saveexec_b64 s[2:3], vcc
	s_cbranch_execz .LBB2046_263
	s_branch .LBB2046_258
.LBB2046_221:
	s_or_b64 exec, exec, s[2:3]
	v_cmp_gt_u32_e32 vcc, s33, v52
	s_and_saveexec_b64 s[2:3], vcc
	s_cbranch_execz .LBB2046_185
.LBB2046_222:
	v_cmp_ge_u32_e32 vcc, v52, v26
                                        ; implicit-def: $vgpr22_vgpr23
	s_and_saveexec_b64 s[4:5], vcc
	s_xor_b64 s[4:5], exec, s[4:5]
; %bb.223:
	v_xor_b32_e32 v22, 0xfffffdff, v0
	v_ashrrev_i32_e32 v23, 31, v22
	v_lshl_add_u64 v[22:23], v[6:7], 0, v[22:23]
                                        ; implicit-def: $vgpr52_vgpr53
; %bb.224:
	s_andn2_saveexec_b64 s[4:5], s[4:5]
; %bb.225:
	v_lshl_add_u64 v[22:23], v[2:3], 0, v[52:53]
; %bb.226:
	s_or_b64 exec, exec, s[4:5]
	v_lshl_add_u64 v[22:23], v[22:23], 2, s[28:29]
	s_waitcnt lgkmcnt(7)
	global_store_dword v[22:23], v51, off
	s_or_b64 exec, exec, s[2:3]
	v_cmp_gt_u32_e32 vcc, s33, v48
	s_and_saveexec_b64 s[2:3], vcc
	s_cbranch_execnz .LBB2046_186
.LBB2046_227:
	s_or_b64 exec, exec, s[2:3]
	v_cmp_gt_u32_e32 vcc, s33, v46
	s_and_saveexec_b64 s[2:3], vcc
	s_cbranch_execz .LBB2046_191
.LBB2046_228:
	v_cmp_ge_u32_e32 vcc, v46, v26
                                        ; implicit-def: $vgpr22_vgpr23
	s_and_saveexec_b64 s[4:5], vcc
	s_xor_b64 s[4:5], exec, s[4:5]
; %bb.229:
	v_xor_b32_e32 v22, 0xfffff9ff, v0
	v_ashrrev_i32_e32 v23, 31, v22
	v_lshl_add_u64 v[22:23], v[6:7], 0, v[22:23]
                                        ; implicit-def: $vgpr46_vgpr47
; %bb.230:
	s_andn2_saveexec_b64 s[4:5], s[4:5]
; %bb.231:
	v_lshl_add_u64 v[22:23], v[2:3], 0, v[46:47]
; %bb.232:
	s_or_b64 exec, exec, s[4:5]
	v_lshl_add_u64 v[22:23], v[22:23], 2, s[28:29]
	s_waitcnt lgkmcnt(6)
	global_store_dword v[22:23], v45, off
	s_or_b64 exec, exec, s[2:3]
	v_cmp_gt_u32_e32 vcc, s33, v42
	s_and_saveexec_b64 s[2:3], vcc
	s_cbranch_execnz .LBB2046_192
.LBB2046_233:
	s_or_b64 exec, exec, s[2:3]
	v_cmp_gt_u32_e32 vcc, s33, v40
	s_and_saveexec_b64 s[2:3], vcc
	s_cbranch_execz .LBB2046_197
.LBB2046_234:
	v_cmp_ge_u32_e32 vcc, v40, v26
                                        ; implicit-def: $vgpr22_vgpr23
	s_and_saveexec_b64 s[4:5], vcc
	s_xor_b64 s[4:5], exec, s[4:5]
; %bb.235:
	v_xor_b32_e32 v22, 0xfffff5ff, v0
	v_ashrrev_i32_e32 v23, 31, v22
	v_lshl_add_u64 v[22:23], v[6:7], 0, v[22:23]
                                        ; implicit-def: $vgpr40_vgpr41
; %bb.236:
	s_andn2_saveexec_b64 s[4:5], s[4:5]
; %bb.237:
	v_lshl_add_u64 v[22:23], v[2:3], 0, v[40:41]
; %bb.238:
	s_or_b64 exec, exec, s[4:5]
	v_lshl_add_u64 v[22:23], v[22:23], 2, s[28:29]
	s_waitcnt lgkmcnt(5)
	global_store_dword v[22:23], v39, off
	s_or_b64 exec, exec, s[2:3]
	v_cmp_gt_u32_e32 vcc, s33, v36
	s_and_saveexec_b64 s[2:3], vcc
	s_cbranch_execnz .LBB2046_198
.LBB2046_239:
	s_or_b64 exec, exec, s[2:3]
	v_cmp_gt_u32_e32 vcc, s33, v34
	s_and_saveexec_b64 s[2:3], vcc
	s_cbranch_execz .LBB2046_203
.LBB2046_240:
	v_cmp_ge_u32_e32 vcc, v34, v26
                                        ; implicit-def: $vgpr22_vgpr23
	s_and_saveexec_b64 s[4:5], vcc
	s_xor_b64 s[4:5], exec, s[4:5]
; %bb.241:
	v_xor_b32_e32 v22, 0xfffff1ff, v0
	v_ashrrev_i32_e32 v23, 31, v22
	v_lshl_add_u64 v[22:23], v[6:7], 0, v[22:23]
                                        ; implicit-def: $vgpr34_vgpr35
; %bb.242:
	s_andn2_saveexec_b64 s[4:5], s[4:5]
; %bb.243:
	v_lshl_add_u64 v[22:23], v[2:3], 0, v[34:35]
; %bb.244:
	s_or_b64 exec, exec, s[4:5]
	v_lshl_add_u64 v[22:23], v[22:23], 2, s[28:29]
	s_waitcnt lgkmcnt(4)
	global_store_dword v[22:23], v33, off
	s_or_b64 exec, exec, s[2:3]
	v_cmp_gt_u32_e32 vcc, s33, v30
	s_and_saveexec_b64 s[2:3], vcc
	s_cbranch_execnz .LBB2046_204
.LBB2046_245:
	s_or_b64 exec, exec, s[2:3]
	v_cmp_gt_u32_e32 vcc, s33, v28
	s_and_saveexec_b64 s[2:3], vcc
	s_cbranch_execz .LBB2046_209
.LBB2046_246:
	v_cmp_ge_u32_e32 vcc, v28, v26
                                        ; implicit-def: $vgpr22_vgpr23
	s_and_saveexec_b64 s[4:5], vcc
	s_xor_b64 s[4:5], exec, s[4:5]
; %bb.247:
	v_xor_b32_e32 v22, 0xffffedff, v0
	v_ashrrev_i32_e32 v23, 31, v22
	v_lshl_add_u64 v[22:23], v[6:7], 0, v[22:23]
                                        ; implicit-def: $vgpr28_vgpr29
; %bb.248:
	s_andn2_saveexec_b64 s[4:5], s[4:5]
; %bb.249:
	v_lshl_add_u64 v[22:23], v[2:3], 0, v[28:29]
; %bb.250:
	s_or_b64 exec, exec, s[4:5]
	v_lshl_add_u64 v[22:23], v[22:23], 2, s[28:29]
	s_waitcnt lgkmcnt(3)
	global_store_dword v[22:23], v21, off
	s_or_b64 exec, exec, s[2:3]
	v_cmp_gt_u32_e32 vcc, s33, v18
	s_and_saveexec_b64 s[2:3], vcc
	s_cbranch_execnz .LBB2046_210
.LBB2046_251:
	s_or_b64 exec, exec, s[2:3]
	v_cmp_gt_u32_e32 vcc, s33, v16
	s_and_saveexec_b64 s[2:3], vcc
	s_cbranch_execz .LBB2046_215
.LBB2046_252:
	v_cmp_ge_u32_e32 vcc, v16, v26
                                        ; implicit-def: $vgpr18_vgpr19
	s_and_saveexec_b64 s[4:5], vcc
	s_xor_b64 s[4:5], exec, s[4:5]
; %bb.253:
	v_xor_b32_e32 v16, 0xffffe9ff, v0
	v_ashrrev_i32_e32 v17, 31, v16
	v_lshl_add_u64 v[18:19], v[6:7], 0, v[16:17]
                                        ; implicit-def: $vgpr16_vgpr17
; %bb.254:
	s_andn2_saveexec_b64 s[4:5], s[4:5]
; %bb.255:
	v_lshl_add_u64 v[18:19], v[2:3], 0, v[16:17]
; %bb.256:
	s_or_b64 exec, exec, s[4:5]
	v_lshl_add_u64 v[16:17], v[18:19], 2, s[28:29]
	s_waitcnt lgkmcnt(2)
	global_store_dword v[16:17], v15, off
	s_or_b64 exec, exec, s[2:3]
	v_cmp_gt_u32_e32 vcc, s33, v12
	s_and_saveexec_b64 s[2:3], vcc
	s_cbranch_execnz .LBB2046_216
.LBB2046_257:
	s_or_b64 exec, exec, s[2:3]
	v_cmp_gt_u32_e32 vcc, s33, v10
	s_and_saveexec_b64 s[2:3], vcc
	s_cbranch_execz .LBB2046_263
.LBB2046_258:
	v_cmp_ge_u32_e32 vcc, v10, v26
                                        ; implicit-def: $vgpr12_vgpr13
	s_and_saveexec_b64 s[4:5], vcc
	s_xor_b64 s[4:5], exec, s[4:5]
; %bb.259:
	v_xor_b32_e32 v10, 0xffffe5ff, v0
	v_ashrrev_i32_e32 v11, 31, v10
	v_lshl_add_u64 v[12:13], v[6:7], 0, v[10:11]
                                        ; implicit-def: $vgpr10_vgpr11
; %bb.260:
	s_andn2_saveexec_b64 s[4:5], s[4:5]
; %bb.261:
	v_lshl_add_u64 v[12:13], v[2:3], 0, v[10:11]
; %bb.262:
	s_or_b64 exec, exec, s[4:5]
	v_lshl_add_u64 v[10:11], v[12:13], 2, s[28:29]
	s_waitcnt lgkmcnt(1)
	global_store_dword v[10:11], v9, off
.LBB2046_263:
	s_or_b64 exec, exec, s[2:3]
	v_cmp_gt_u32_e32 vcc, s33, v4
                                        ; implicit-def: $vgpr22_vgpr23
	s_and_saveexec_b64 s[2:3], vcc
	s_cbranch_execz .LBB2046_269
; %bb.264:
	v_cmp_ge_u32_e32 vcc, v4, v26
                                        ; implicit-def: $vgpr22_vgpr23
	s_and_saveexec_b64 s[4:5], vcc
	s_xor_b64 s[4:5], exec, s[4:5]
; %bb.265:
	v_xor_b32_e32 v0, 0xffffe3ff, v0
	v_ashrrev_i32_e32 v1, 31, v0
	v_lshl_add_u64 v[22:23], v[6:7], 0, v[0:1]
                                        ; implicit-def: $vgpr4_vgpr5
; %bb.266:
	s_andn2_saveexec_b64 s[4:5], s[4:5]
; %bb.267:
	v_lshl_add_u64 v[22:23], v[2:3], 0, v[4:5]
; %bb.268:
	s_or_b64 exec, exec, s[4:5]
	s_or_b64 s[0:1], s[0:1], exec
.LBB2046_269:
	s_or_b64 exec, exec, s[2:3]
	s_and_saveexec_b64 s[2:3], s[0:1]
	s_cbranch_execnz .LBB2046_176
.LBB2046_270:
	s_or_b64 exec, exec, s[2:3]
	s_and_b64 s[0:1], s[18:19], s[22:23]
	s_and_saveexec_b64 s[2:3], s[0:1]
	s_cbranch_execz .LBB2046_177
.LBB2046_271:
	v_mov_b32_e32 v4, 0
	v_lshl_add_u64 v[0:1], v[2:3], 0, v[26:27]
	global_store_dwordx2 v4, v[0:1], s[20:21]
	s_endpgm
	.section	.rodata,"a",@progbits
	.p2align	6, 0x0
	.amdhsa_kernel _ZN7rocprim17ROCPRIM_400000_NS6detail17trampoline_kernelINS0_14default_configENS1_25partition_config_selectorILNS1_17partition_subalgoE2EjNS0_10empty_typeEbEEZZNS1_14partition_implILS5_2ELb0ES3_jN6thrust23THRUST_200600_302600_NS6detail15normal_iteratorINSA_7pointerIjNSA_11hip_rocprim3tagENSA_11use_defaultESG_EEEEPS6_NSA_18transform_iteratorI7is_evenIjENSC_INSA_10device_ptrIjEEEESG_SG_EENS0_5tupleIJPjSJ_EEENSR_IJSJ_SJ_EEES6_PlJS6_EEE10hipError_tPvRmT3_T4_T5_T6_T7_T9_mT8_P12ihipStream_tbDpT10_ENKUlT_T0_E_clISt17integral_constantIbLb1EES1F_EEDaS1A_S1B_EUlS1A_E_NS1_11comp_targetILNS1_3genE5ELNS1_11target_archE942ELNS1_3gpuE9ELNS1_3repE0EEENS1_30default_config_static_selectorELNS0_4arch9wavefront6targetE1EEEvT1_
		.amdhsa_group_segment_fixed_size 30728
		.amdhsa_private_segment_fixed_size 0
		.amdhsa_kernarg_size 144
		.amdhsa_user_sgpr_count 2
		.amdhsa_user_sgpr_dispatch_ptr 0
		.amdhsa_user_sgpr_queue_ptr 0
		.amdhsa_user_sgpr_kernarg_segment_ptr 1
		.amdhsa_user_sgpr_dispatch_id 0
		.amdhsa_user_sgpr_kernarg_preload_length 0
		.amdhsa_user_sgpr_kernarg_preload_offset 0
		.amdhsa_user_sgpr_private_segment_size 0
		.amdhsa_uses_dynamic_stack 0
		.amdhsa_enable_private_segment 0
		.amdhsa_system_sgpr_workgroup_id_x 1
		.amdhsa_system_sgpr_workgroup_id_y 0
		.amdhsa_system_sgpr_workgroup_id_z 0
		.amdhsa_system_sgpr_workgroup_info 0
		.amdhsa_system_vgpr_workitem_id 0
		.amdhsa_next_free_vgpr 67
		.amdhsa_next_free_sgpr 46
		.amdhsa_accum_offset 68
		.amdhsa_reserve_vcc 1
		.amdhsa_float_round_mode_32 0
		.amdhsa_float_round_mode_16_64 0
		.amdhsa_float_denorm_mode_32 3
		.amdhsa_float_denorm_mode_16_64 3
		.amdhsa_dx10_clamp 1
		.amdhsa_ieee_mode 1
		.amdhsa_fp16_overflow 0
		.amdhsa_tg_split 0
		.amdhsa_exception_fp_ieee_invalid_op 0
		.amdhsa_exception_fp_denorm_src 0
		.amdhsa_exception_fp_ieee_div_zero 0
		.amdhsa_exception_fp_ieee_overflow 0
		.amdhsa_exception_fp_ieee_underflow 0
		.amdhsa_exception_fp_ieee_inexact 0
		.amdhsa_exception_int_div_zero 0
	.end_amdhsa_kernel
	.section	.text._ZN7rocprim17ROCPRIM_400000_NS6detail17trampoline_kernelINS0_14default_configENS1_25partition_config_selectorILNS1_17partition_subalgoE2EjNS0_10empty_typeEbEEZZNS1_14partition_implILS5_2ELb0ES3_jN6thrust23THRUST_200600_302600_NS6detail15normal_iteratorINSA_7pointerIjNSA_11hip_rocprim3tagENSA_11use_defaultESG_EEEEPS6_NSA_18transform_iteratorI7is_evenIjENSC_INSA_10device_ptrIjEEEESG_SG_EENS0_5tupleIJPjSJ_EEENSR_IJSJ_SJ_EEES6_PlJS6_EEE10hipError_tPvRmT3_T4_T5_T6_T7_T9_mT8_P12ihipStream_tbDpT10_ENKUlT_T0_E_clISt17integral_constantIbLb1EES1F_EEDaS1A_S1B_EUlS1A_E_NS1_11comp_targetILNS1_3genE5ELNS1_11target_archE942ELNS1_3gpuE9ELNS1_3repE0EEENS1_30default_config_static_selectorELNS0_4arch9wavefront6targetE1EEEvT1_,"axG",@progbits,_ZN7rocprim17ROCPRIM_400000_NS6detail17trampoline_kernelINS0_14default_configENS1_25partition_config_selectorILNS1_17partition_subalgoE2EjNS0_10empty_typeEbEEZZNS1_14partition_implILS5_2ELb0ES3_jN6thrust23THRUST_200600_302600_NS6detail15normal_iteratorINSA_7pointerIjNSA_11hip_rocprim3tagENSA_11use_defaultESG_EEEEPS6_NSA_18transform_iteratorI7is_evenIjENSC_INSA_10device_ptrIjEEEESG_SG_EENS0_5tupleIJPjSJ_EEENSR_IJSJ_SJ_EEES6_PlJS6_EEE10hipError_tPvRmT3_T4_T5_T6_T7_T9_mT8_P12ihipStream_tbDpT10_ENKUlT_T0_E_clISt17integral_constantIbLb1EES1F_EEDaS1A_S1B_EUlS1A_E_NS1_11comp_targetILNS1_3genE5ELNS1_11target_archE942ELNS1_3gpuE9ELNS1_3repE0EEENS1_30default_config_static_selectorELNS0_4arch9wavefront6targetE1EEEvT1_,comdat
.Lfunc_end2046:
	.size	_ZN7rocprim17ROCPRIM_400000_NS6detail17trampoline_kernelINS0_14default_configENS1_25partition_config_selectorILNS1_17partition_subalgoE2EjNS0_10empty_typeEbEEZZNS1_14partition_implILS5_2ELb0ES3_jN6thrust23THRUST_200600_302600_NS6detail15normal_iteratorINSA_7pointerIjNSA_11hip_rocprim3tagENSA_11use_defaultESG_EEEEPS6_NSA_18transform_iteratorI7is_evenIjENSC_INSA_10device_ptrIjEEEESG_SG_EENS0_5tupleIJPjSJ_EEENSR_IJSJ_SJ_EEES6_PlJS6_EEE10hipError_tPvRmT3_T4_T5_T6_T7_T9_mT8_P12ihipStream_tbDpT10_ENKUlT_T0_E_clISt17integral_constantIbLb1EES1F_EEDaS1A_S1B_EUlS1A_E_NS1_11comp_targetILNS1_3genE5ELNS1_11target_archE942ELNS1_3gpuE9ELNS1_3repE0EEENS1_30default_config_static_selectorELNS0_4arch9wavefront6targetE1EEEvT1_, .Lfunc_end2046-_ZN7rocprim17ROCPRIM_400000_NS6detail17trampoline_kernelINS0_14default_configENS1_25partition_config_selectorILNS1_17partition_subalgoE2EjNS0_10empty_typeEbEEZZNS1_14partition_implILS5_2ELb0ES3_jN6thrust23THRUST_200600_302600_NS6detail15normal_iteratorINSA_7pointerIjNSA_11hip_rocprim3tagENSA_11use_defaultESG_EEEEPS6_NSA_18transform_iteratorI7is_evenIjENSC_INSA_10device_ptrIjEEEESG_SG_EENS0_5tupleIJPjSJ_EEENSR_IJSJ_SJ_EEES6_PlJS6_EEE10hipError_tPvRmT3_T4_T5_T6_T7_T9_mT8_P12ihipStream_tbDpT10_ENKUlT_T0_E_clISt17integral_constantIbLb1EES1F_EEDaS1A_S1B_EUlS1A_E_NS1_11comp_targetILNS1_3genE5ELNS1_11target_archE942ELNS1_3gpuE9ELNS1_3repE0EEENS1_30default_config_static_selectorELNS0_4arch9wavefront6targetE1EEEvT1_
                                        ; -- End function
	.section	.AMDGPU.csdata,"",@progbits
; Kernel info:
; codeLenInByte = 8760
; NumSgprs: 52
; NumVgprs: 67
; NumAgprs: 0
; TotalNumVgprs: 67
; ScratchSize: 0
; MemoryBound: 0
; FloatMode: 240
; IeeeMode: 1
; LDSByteSize: 30728 bytes/workgroup (compile time only)
; SGPRBlocks: 6
; VGPRBlocks: 8
; NumSGPRsForWavesPerEU: 52
; NumVGPRsForWavesPerEU: 67
; AccumOffset: 68
; Occupancy: 4
; WaveLimiterHint : 1
; COMPUTE_PGM_RSRC2:SCRATCH_EN: 0
; COMPUTE_PGM_RSRC2:USER_SGPR: 2
; COMPUTE_PGM_RSRC2:TRAP_HANDLER: 0
; COMPUTE_PGM_RSRC2:TGID_X_EN: 1
; COMPUTE_PGM_RSRC2:TGID_Y_EN: 0
; COMPUTE_PGM_RSRC2:TGID_Z_EN: 0
; COMPUTE_PGM_RSRC2:TIDIG_COMP_CNT: 0
; COMPUTE_PGM_RSRC3_GFX90A:ACCUM_OFFSET: 16
; COMPUTE_PGM_RSRC3_GFX90A:TG_SPLIT: 0
	.section	.text._ZN7rocprim17ROCPRIM_400000_NS6detail17trampoline_kernelINS0_14default_configENS1_25partition_config_selectorILNS1_17partition_subalgoE2EjNS0_10empty_typeEbEEZZNS1_14partition_implILS5_2ELb0ES3_jN6thrust23THRUST_200600_302600_NS6detail15normal_iteratorINSA_7pointerIjNSA_11hip_rocprim3tagENSA_11use_defaultESG_EEEEPS6_NSA_18transform_iteratorI7is_evenIjENSC_INSA_10device_ptrIjEEEESG_SG_EENS0_5tupleIJPjSJ_EEENSR_IJSJ_SJ_EEES6_PlJS6_EEE10hipError_tPvRmT3_T4_T5_T6_T7_T9_mT8_P12ihipStream_tbDpT10_ENKUlT_T0_E_clISt17integral_constantIbLb1EES1F_EEDaS1A_S1B_EUlS1A_E_NS1_11comp_targetILNS1_3genE4ELNS1_11target_archE910ELNS1_3gpuE8ELNS1_3repE0EEENS1_30default_config_static_selectorELNS0_4arch9wavefront6targetE1EEEvT1_,"axG",@progbits,_ZN7rocprim17ROCPRIM_400000_NS6detail17trampoline_kernelINS0_14default_configENS1_25partition_config_selectorILNS1_17partition_subalgoE2EjNS0_10empty_typeEbEEZZNS1_14partition_implILS5_2ELb0ES3_jN6thrust23THRUST_200600_302600_NS6detail15normal_iteratorINSA_7pointerIjNSA_11hip_rocprim3tagENSA_11use_defaultESG_EEEEPS6_NSA_18transform_iteratorI7is_evenIjENSC_INSA_10device_ptrIjEEEESG_SG_EENS0_5tupleIJPjSJ_EEENSR_IJSJ_SJ_EEES6_PlJS6_EEE10hipError_tPvRmT3_T4_T5_T6_T7_T9_mT8_P12ihipStream_tbDpT10_ENKUlT_T0_E_clISt17integral_constantIbLb1EES1F_EEDaS1A_S1B_EUlS1A_E_NS1_11comp_targetILNS1_3genE4ELNS1_11target_archE910ELNS1_3gpuE8ELNS1_3repE0EEENS1_30default_config_static_selectorELNS0_4arch9wavefront6targetE1EEEvT1_,comdat
	.protected	_ZN7rocprim17ROCPRIM_400000_NS6detail17trampoline_kernelINS0_14default_configENS1_25partition_config_selectorILNS1_17partition_subalgoE2EjNS0_10empty_typeEbEEZZNS1_14partition_implILS5_2ELb0ES3_jN6thrust23THRUST_200600_302600_NS6detail15normal_iteratorINSA_7pointerIjNSA_11hip_rocprim3tagENSA_11use_defaultESG_EEEEPS6_NSA_18transform_iteratorI7is_evenIjENSC_INSA_10device_ptrIjEEEESG_SG_EENS0_5tupleIJPjSJ_EEENSR_IJSJ_SJ_EEES6_PlJS6_EEE10hipError_tPvRmT3_T4_T5_T6_T7_T9_mT8_P12ihipStream_tbDpT10_ENKUlT_T0_E_clISt17integral_constantIbLb1EES1F_EEDaS1A_S1B_EUlS1A_E_NS1_11comp_targetILNS1_3genE4ELNS1_11target_archE910ELNS1_3gpuE8ELNS1_3repE0EEENS1_30default_config_static_selectorELNS0_4arch9wavefront6targetE1EEEvT1_ ; -- Begin function _ZN7rocprim17ROCPRIM_400000_NS6detail17trampoline_kernelINS0_14default_configENS1_25partition_config_selectorILNS1_17partition_subalgoE2EjNS0_10empty_typeEbEEZZNS1_14partition_implILS5_2ELb0ES3_jN6thrust23THRUST_200600_302600_NS6detail15normal_iteratorINSA_7pointerIjNSA_11hip_rocprim3tagENSA_11use_defaultESG_EEEEPS6_NSA_18transform_iteratorI7is_evenIjENSC_INSA_10device_ptrIjEEEESG_SG_EENS0_5tupleIJPjSJ_EEENSR_IJSJ_SJ_EEES6_PlJS6_EEE10hipError_tPvRmT3_T4_T5_T6_T7_T9_mT8_P12ihipStream_tbDpT10_ENKUlT_T0_E_clISt17integral_constantIbLb1EES1F_EEDaS1A_S1B_EUlS1A_E_NS1_11comp_targetILNS1_3genE4ELNS1_11target_archE910ELNS1_3gpuE8ELNS1_3repE0EEENS1_30default_config_static_selectorELNS0_4arch9wavefront6targetE1EEEvT1_
	.globl	_ZN7rocprim17ROCPRIM_400000_NS6detail17trampoline_kernelINS0_14default_configENS1_25partition_config_selectorILNS1_17partition_subalgoE2EjNS0_10empty_typeEbEEZZNS1_14partition_implILS5_2ELb0ES3_jN6thrust23THRUST_200600_302600_NS6detail15normal_iteratorINSA_7pointerIjNSA_11hip_rocprim3tagENSA_11use_defaultESG_EEEEPS6_NSA_18transform_iteratorI7is_evenIjENSC_INSA_10device_ptrIjEEEESG_SG_EENS0_5tupleIJPjSJ_EEENSR_IJSJ_SJ_EEES6_PlJS6_EEE10hipError_tPvRmT3_T4_T5_T6_T7_T9_mT8_P12ihipStream_tbDpT10_ENKUlT_T0_E_clISt17integral_constantIbLb1EES1F_EEDaS1A_S1B_EUlS1A_E_NS1_11comp_targetILNS1_3genE4ELNS1_11target_archE910ELNS1_3gpuE8ELNS1_3repE0EEENS1_30default_config_static_selectorELNS0_4arch9wavefront6targetE1EEEvT1_
	.p2align	8
	.type	_ZN7rocprim17ROCPRIM_400000_NS6detail17trampoline_kernelINS0_14default_configENS1_25partition_config_selectorILNS1_17partition_subalgoE2EjNS0_10empty_typeEbEEZZNS1_14partition_implILS5_2ELb0ES3_jN6thrust23THRUST_200600_302600_NS6detail15normal_iteratorINSA_7pointerIjNSA_11hip_rocprim3tagENSA_11use_defaultESG_EEEEPS6_NSA_18transform_iteratorI7is_evenIjENSC_INSA_10device_ptrIjEEEESG_SG_EENS0_5tupleIJPjSJ_EEENSR_IJSJ_SJ_EEES6_PlJS6_EEE10hipError_tPvRmT3_T4_T5_T6_T7_T9_mT8_P12ihipStream_tbDpT10_ENKUlT_T0_E_clISt17integral_constantIbLb1EES1F_EEDaS1A_S1B_EUlS1A_E_NS1_11comp_targetILNS1_3genE4ELNS1_11target_archE910ELNS1_3gpuE8ELNS1_3repE0EEENS1_30default_config_static_selectorELNS0_4arch9wavefront6targetE1EEEvT1_,@function
_ZN7rocprim17ROCPRIM_400000_NS6detail17trampoline_kernelINS0_14default_configENS1_25partition_config_selectorILNS1_17partition_subalgoE2EjNS0_10empty_typeEbEEZZNS1_14partition_implILS5_2ELb0ES3_jN6thrust23THRUST_200600_302600_NS6detail15normal_iteratorINSA_7pointerIjNSA_11hip_rocprim3tagENSA_11use_defaultESG_EEEEPS6_NSA_18transform_iteratorI7is_evenIjENSC_INSA_10device_ptrIjEEEESG_SG_EENS0_5tupleIJPjSJ_EEENSR_IJSJ_SJ_EEES6_PlJS6_EEE10hipError_tPvRmT3_T4_T5_T6_T7_T9_mT8_P12ihipStream_tbDpT10_ENKUlT_T0_E_clISt17integral_constantIbLb1EES1F_EEDaS1A_S1B_EUlS1A_E_NS1_11comp_targetILNS1_3genE4ELNS1_11target_archE910ELNS1_3gpuE8ELNS1_3repE0EEENS1_30default_config_static_selectorELNS0_4arch9wavefront6targetE1EEEvT1_: ; @_ZN7rocprim17ROCPRIM_400000_NS6detail17trampoline_kernelINS0_14default_configENS1_25partition_config_selectorILNS1_17partition_subalgoE2EjNS0_10empty_typeEbEEZZNS1_14partition_implILS5_2ELb0ES3_jN6thrust23THRUST_200600_302600_NS6detail15normal_iteratorINSA_7pointerIjNSA_11hip_rocprim3tagENSA_11use_defaultESG_EEEEPS6_NSA_18transform_iteratorI7is_evenIjENSC_INSA_10device_ptrIjEEEESG_SG_EENS0_5tupleIJPjSJ_EEENSR_IJSJ_SJ_EEES6_PlJS6_EEE10hipError_tPvRmT3_T4_T5_T6_T7_T9_mT8_P12ihipStream_tbDpT10_ENKUlT_T0_E_clISt17integral_constantIbLb1EES1F_EEDaS1A_S1B_EUlS1A_E_NS1_11comp_targetILNS1_3genE4ELNS1_11target_archE910ELNS1_3gpuE8ELNS1_3repE0EEENS1_30default_config_static_selectorELNS0_4arch9wavefront6targetE1EEEvT1_
; %bb.0:
	.section	.rodata,"a",@progbits
	.p2align	6, 0x0
	.amdhsa_kernel _ZN7rocprim17ROCPRIM_400000_NS6detail17trampoline_kernelINS0_14default_configENS1_25partition_config_selectorILNS1_17partition_subalgoE2EjNS0_10empty_typeEbEEZZNS1_14partition_implILS5_2ELb0ES3_jN6thrust23THRUST_200600_302600_NS6detail15normal_iteratorINSA_7pointerIjNSA_11hip_rocprim3tagENSA_11use_defaultESG_EEEEPS6_NSA_18transform_iteratorI7is_evenIjENSC_INSA_10device_ptrIjEEEESG_SG_EENS0_5tupleIJPjSJ_EEENSR_IJSJ_SJ_EEES6_PlJS6_EEE10hipError_tPvRmT3_T4_T5_T6_T7_T9_mT8_P12ihipStream_tbDpT10_ENKUlT_T0_E_clISt17integral_constantIbLb1EES1F_EEDaS1A_S1B_EUlS1A_E_NS1_11comp_targetILNS1_3genE4ELNS1_11target_archE910ELNS1_3gpuE8ELNS1_3repE0EEENS1_30default_config_static_selectorELNS0_4arch9wavefront6targetE1EEEvT1_
		.amdhsa_group_segment_fixed_size 0
		.amdhsa_private_segment_fixed_size 0
		.amdhsa_kernarg_size 144
		.amdhsa_user_sgpr_count 2
		.amdhsa_user_sgpr_dispatch_ptr 0
		.amdhsa_user_sgpr_queue_ptr 0
		.amdhsa_user_sgpr_kernarg_segment_ptr 1
		.amdhsa_user_sgpr_dispatch_id 0
		.amdhsa_user_sgpr_kernarg_preload_length 0
		.amdhsa_user_sgpr_kernarg_preload_offset 0
		.amdhsa_user_sgpr_private_segment_size 0
		.amdhsa_uses_dynamic_stack 0
		.amdhsa_enable_private_segment 0
		.amdhsa_system_sgpr_workgroup_id_x 1
		.amdhsa_system_sgpr_workgroup_id_y 0
		.amdhsa_system_sgpr_workgroup_id_z 0
		.amdhsa_system_sgpr_workgroup_info 0
		.amdhsa_system_vgpr_workitem_id 0
		.amdhsa_next_free_vgpr 1
		.amdhsa_next_free_sgpr 0
		.amdhsa_accum_offset 4
		.amdhsa_reserve_vcc 0
		.amdhsa_float_round_mode_32 0
		.amdhsa_float_round_mode_16_64 0
		.amdhsa_float_denorm_mode_32 3
		.amdhsa_float_denorm_mode_16_64 3
		.amdhsa_dx10_clamp 1
		.amdhsa_ieee_mode 1
		.amdhsa_fp16_overflow 0
		.amdhsa_tg_split 0
		.amdhsa_exception_fp_ieee_invalid_op 0
		.amdhsa_exception_fp_denorm_src 0
		.amdhsa_exception_fp_ieee_div_zero 0
		.amdhsa_exception_fp_ieee_overflow 0
		.amdhsa_exception_fp_ieee_underflow 0
		.amdhsa_exception_fp_ieee_inexact 0
		.amdhsa_exception_int_div_zero 0
	.end_amdhsa_kernel
	.section	.text._ZN7rocprim17ROCPRIM_400000_NS6detail17trampoline_kernelINS0_14default_configENS1_25partition_config_selectorILNS1_17partition_subalgoE2EjNS0_10empty_typeEbEEZZNS1_14partition_implILS5_2ELb0ES3_jN6thrust23THRUST_200600_302600_NS6detail15normal_iteratorINSA_7pointerIjNSA_11hip_rocprim3tagENSA_11use_defaultESG_EEEEPS6_NSA_18transform_iteratorI7is_evenIjENSC_INSA_10device_ptrIjEEEESG_SG_EENS0_5tupleIJPjSJ_EEENSR_IJSJ_SJ_EEES6_PlJS6_EEE10hipError_tPvRmT3_T4_T5_T6_T7_T9_mT8_P12ihipStream_tbDpT10_ENKUlT_T0_E_clISt17integral_constantIbLb1EES1F_EEDaS1A_S1B_EUlS1A_E_NS1_11comp_targetILNS1_3genE4ELNS1_11target_archE910ELNS1_3gpuE8ELNS1_3repE0EEENS1_30default_config_static_selectorELNS0_4arch9wavefront6targetE1EEEvT1_,"axG",@progbits,_ZN7rocprim17ROCPRIM_400000_NS6detail17trampoline_kernelINS0_14default_configENS1_25partition_config_selectorILNS1_17partition_subalgoE2EjNS0_10empty_typeEbEEZZNS1_14partition_implILS5_2ELb0ES3_jN6thrust23THRUST_200600_302600_NS6detail15normal_iteratorINSA_7pointerIjNSA_11hip_rocprim3tagENSA_11use_defaultESG_EEEEPS6_NSA_18transform_iteratorI7is_evenIjENSC_INSA_10device_ptrIjEEEESG_SG_EENS0_5tupleIJPjSJ_EEENSR_IJSJ_SJ_EEES6_PlJS6_EEE10hipError_tPvRmT3_T4_T5_T6_T7_T9_mT8_P12ihipStream_tbDpT10_ENKUlT_T0_E_clISt17integral_constantIbLb1EES1F_EEDaS1A_S1B_EUlS1A_E_NS1_11comp_targetILNS1_3genE4ELNS1_11target_archE910ELNS1_3gpuE8ELNS1_3repE0EEENS1_30default_config_static_selectorELNS0_4arch9wavefront6targetE1EEEvT1_,comdat
.Lfunc_end2047:
	.size	_ZN7rocprim17ROCPRIM_400000_NS6detail17trampoline_kernelINS0_14default_configENS1_25partition_config_selectorILNS1_17partition_subalgoE2EjNS0_10empty_typeEbEEZZNS1_14partition_implILS5_2ELb0ES3_jN6thrust23THRUST_200600_302600_NS6detail15normal_iteratorINSA_7pointerIjNSA_11hip_rocprim3tagENSA_11use_defaultESG_EEEEPS6_NSA_18transform_iteratorI7is_evenIjENSC_INSA_10device_ptrIjEEEESG_SG_EENS0_5tupleIJPjSJ_EEENSR_IJSJ_SJ_EEES6_PlJS6_EEE10hipError_tPvRmT3_T4_T5_T6_T7_T9_mT8_P12ihipStream_tbDpT10_ENKUlT_T0_E_clISt17integral_constantIbLb1EES1F_EEDaS1A_S1B_EUlS1A_E_NS1_11comp_targetILNS1_3genE4ELNS1_11target_archE910ELNS1_3gpuE8ELNS1_3repE0EEENS1_30default_config_static_selectorELNS0_4arch9wavefront6targetE1EEEvT1_, .Lfunc_end2047-_ZN7rocprim17ROCPRIM_400000_NS6detail17trampoline_kernelINS0_14default_configENS1_25partition_config_selectorILNS1_17partition_subalgoE2EjNS0_10empty_typeEbEEZZNS1_14partition_implILS5_2ELb0ES3_jN6thrust23THRUST_200600_302600_NS6detail15normal_iteratorINSA_7pointerIjNSA_11hip_rocprim3tagENSA_11use_defaultESG_EEEEPS6_NSA_18transform_iteratorI7is_evenIjENSC_INSA_10device_ptrIjEEEESG_SG_EENS0_5tupleIJPjSJ_EEENSR_IJSJ_SJ_EEES6_PlJS6_EEE10hipError_tPvRmT3_T4_T5_T6_T7_T9_mT8_P12ihipStream_tbDpT10_ENKUlT_T0_E_clISt17integral_constantIbLb1EES1F_EEDaS1A_S1B_EUlS1A_E_NS1_11comp_targetILNS1_3genE4ELNS1_11target_archE910ELNS1_3gpuE8ELNS1_3repE0EEENS1_30default_config_static_selectorELNS0_4arch9wavefront6targetE1EEEvT1_
                                        ; -- End function
	.section	.AMDGPU.csdata,"",@progbits
; Kernel info:
; codeLenInByte = 0
; NumSgprs: 6
; NumVgprs: 0
; NumAgprs: 0
; TotalNumVgprs: 0
; ScratchSize: 0
; MemoryBound: 0
; FloatMode: 240
; IeeeMode: 1
; LDSByteSize: 0 bytes/workgroup (compile time only)
; SGPRBlocks: 0
; VGPRBlocks: 0
; NumSGPRsForWavesPerEU: 6
; NumVGPRsForWavesPerEU: 1
; AccumOffset: 4
; Occupancy: 8
; WaveLimiterHint : 0
; COMPUTE_PGM_RSRC2:SCRATCH_EN: 0
; COMPUTE_PGM_RSRC2:USER_SGPR: 2
; COMPUTE_PGM_RSRC2:TRAP_HANDLER: 0
; COMPUTE_PGM_RSRC2:TGID_X_EN: 1
; COMPUTE_PGM_RSRC2:TGID_Y_EN: 0
; COMPUTE_PGM_RSRC2:TGID_Z_EN: 0
; COMPUTE_PGM_RSRC2:TIDIG_COMP_CNT: 0
; COMPUTE_PGM_RSRC3_GFX90A:ACCUM_OFFSET: 0
; COMPUTE_PGM_RSRC3_GFX90A:TG_SPLIT: 0
	.section	.text._ZN7rocprim17ROCPRIM_400000_NS6detail17trampoline_kernelINS0_14default_configENS1_25partition_config_selectorILNS1_17partition_subalgoE2EjNS0_10empty_typeEbEEZZNS1_14partition_implILS5_2ELb0ES3_jN6thrust23THRUST_200600_302600_NS6detail15normal_iteratorINSA_7pointerIjNSA_11hip_rocprim3tagENSA_11use_defaultESG_EEEEPS6_NSA_18transform_iteratorI7is_evenIjENSC_INSA_10device_ptrIjEEEESG_SG_EENS0_5tupleIJPjSJ_EEENSR_IJSJ_SJ_EEES6_PlJS6_EEE10hipError_tPvRmT3_T4_T5_T6_T7_T9_mT8_P12ihipStream_tbDpT10_ENKUlT_T0_E_clISt17integral_constantIbLb1EES1F_EEDaS1A_S1B_EUlS1A_E_NS1_11comp_targetILNS1_3genE3ELNS1_11target_archE908ELNS1_3gpuE7ELNS1_3repE0EEENS1_30default_config_static_selectorELNS0_4arch9wavefront6targetE1EEEvT1_,"axG",@progbits,_ZN7rocprim17ROCPRIM_400000_NS6detail17trampoline_kernelINS0_14default_configENS1_25partition_config_selectorILNS1_17partition_subalgoE2EjNS0_10empty_typeEbEEZZNS1_14partition_implILS5_2ELb0ES3_jN6thrust23THRUST_200600_302600_NS6detail15normal_iteratorINSA_7pointerIjNSA_11hip_rocprim3tagENSA_11use_defaultESG_EEEEPS6_NSA_18transform_iteratorI7is_evenIjENSC_INSA_10device_ptrIjEEEESG_SG_EENS0_5tupleIJPjSJ_EEENSR_IJSJ_SJ_EEES6_PlJS6_EEE10hipError_tPvRmT3_T4_T5_T6_T7_T9_mT8_P12ihipStream_tbDpT10_ENKUlT_T0_E_clISt17integral_constantIbLb1EES1F_EEDaS1A_S1B_EUlS1A_E_NS1_11comp_targetILNS1_3genE3ELNS1_11target_archE908ELNS1_3gpuE7ELNS1_3repE0EEENS1_30default_config_static_selectorELNS0_4arch9wavefront6targetE1EEEvT1_,comdat
	.protected	_ZN7rocprim17ROCPRIM_400000_NS6detail17trampoline_kernelINS0_14default_configENS1_25partition_config_selectorILNS1_17partition_subalgoE2EjNS0_10empty_typeEbEEZZNS1_14partition_implILS5_2ELb0ES3_jN6thrust23THRUST_200600_302600_NS6detail15normal_iteratorINSA_7pointerIjNSA_11hip_rocprim3tagENSA_11use_defaultESG_EEEEPS6_NSA_18transform_iteratorI7is_evenIjENSC_INSA_10device_ptrIjEEEESG_SG_EENS0_5tupleIJPjSJ_EEENSR_IJSJ_SJ_EEES6_PlJS6_EEE10hipError_tPvRmT3_T4_T5_T6_T7_T9_mT8_P12ihipStream_tbDpT10_ENKUlT_T0_E_clISt17integral_constantIbLb1EES1F_EEDaS1A_S1B_EUlS1A_E_NS1_11comp_targetILNS1_3genE3ELNS1_11target_archE908ELNS1_3gpuE7ELNS1_3repE0EEENS1_30default_config_static_selectorELNS0_4arch9wavefront6targetE1EEEvT1_ ; -- Begin function _ZN7rocprim17ROCPRIM_400000_NS6detail17trampoline_kernelINS0_14default_configENS1_25partition_config_selectorILNS1_17partition_subalgoE2EjNS0_10empty_typeEbEEZZNS1_14partition_implILS5_2ELb0ES3_jN6thrust23THRUST_200600_302600_NS6detail15normal_iteratorINSA_7pointerIjNSA_11hip_rocprim3tagENSA_11use_defaultESG_EEEEPS6_NSA_18transform_iteratorI7is_evenIjENSC_INSA_10device_ptrIjEEEESG_SG_EENS0_5tupleIJPjSJ_EEENSR_IJSJ_SJ_EEES6_PlJS6_EEE10hipError_tPvRmT3_T4_T5_T6_T7_T9_mT8_P12ihipStream_tbDpT10_ENKUlT_T0_E_clISt17integral_constantIbLb1EES1F_EEDaS1A_S1B_EUlS1A_E_NS1_11comp_targetILNS1_3genE3ELNS1_11target_archE908ELNS1_3gpuE7ELNS1_3repE0EEENS1_30default_config_static_selectorELNS0_4arch9wavefront6targetE1EEEvT1_
	.globl	_ZN7rocprim17ROCPRIM_400000_NS6detail17trampoline_kernelINS0_14default_configENS1_25partition_config_selectorILNS1_17partition_subalgoE2EjNS0_10empty_typeEbEEZZNS1_14partition_implILS5_2ELb0ES3_jN6thrust23THRUST_200600_302600_NS6detail15normal_iteratorINSA_7pointerIjNSA_11hip_rocprim3tagENSA_11use_defaultESG_EEEEPS6_NSA_18transform_iteratorI7is_evenIjENSC_INSA_10device_ptrIjEEEESG_SG_EENS0_5tupleIJPjSJ_EEENSR_IJSJ_SJ_EEES6_PlJS6_EEE10hipError_tPvRmT3_T4_T5_T6_T7_T9_mT8_P12ihipStream_tbDpT10_ENKUlT_T0_E_clISt17integral_constantIbLb1EES1F_EEDaS1A_S1B_EUlS1A_E_NS1_11comp_targetILNS1_3genE3ELNS1_11target_archE908ELNS1_3gpuE7ELNS1_3repE0EEENS1_30default_config_static_selectorELNS0_4arch9wavefront6targetE1EEEvT1_
	.p2align	8
	.type	_ZN7rocprim17ROCPRIM_400000_NS6detail17trampoline_kernelINS0_14default_configENS1_25partition_config_selectorILNS1_17partition_subalgoE2EjNS0_10empty_typeEbEEZZNS1_14partition_implILS5_2ELb0ES3_jN6thrust23THRUST_200600_302600_NS6detail15normal_iteratorINSA_7pointerIjNSA_11hip_rocprim3tagENSA_11use_defaultESG_EEEEPS6_NSA_18transform_iteratorI7is_evenIjENSC_INSA_10device_ptrIjEEEESG_SG_EENS0_5tupleIJPjSJ_EEENSR_IJSJ_SJ_EEES6_PlJS6_EEE10hipError_tPvRmT3_T4_T5_T6_T7_T9_mT8_P12ihipStream_tbDpT10_ENKUlT_T0_E_clISt17integral_constantIbLb1EES1F_EEDaS1A_S1B_EUlS1A_E_NS1_11comp_targetILNS1_3genE3ELNS1_11target_archE908ELNS1_3gpuE7ELNS1_3repE0EEENS1_30default_config_static_selectorELNS0_4arch9wavefront6targetE1EEEvT1_,@function
_ZN7rocprim17ROCPRIM_400000_NS6detail17trampoline_kernelINS0_14default_configENS1_25partition_config_selectorILNS1_17partition_subalgoE2EjNS0_10empty_typeEbEEZZNS1_14partition_implILS5_2ELb0ES3_jN6thrust23THRUST_200600_302600_NS6detail15normal_iteratorINSA_7pointerIjNSA_11hip_rocprim3tagENSA_11use_defaultESG_EEEEPS6_NSA_18transform_iteratorI7is_evenIjENSC_INSA_10device_ptrIjEEEESG_SG_EENS0_5tupleIJPjSJ_EEENSR_IJSJ_SJ_EEES6_PlJS6_EEE10hipError_tPvRmT3_T4_T5_T6_T7_T9_mT8_P12ihipStream_tbDpT10_ENKUlT_T0_E_clISt17integral_constantIbLb1EES1F_EEDaS1A_S1B_EUlS1A_E_NS1_11comp_targetILNS1_3genE3ELNS1_11target_archE908ELNS1_3gpuE7ELNS1_3repE0EEENS1_30default_config_static_selectorELNS0_4arch9wavefront6targetE1EEEvT1_: ; @_ZN7rocprim17ROCPRIM_400000_NS6detail17trampoline_kernelINS0_14default_configENS1_25partition_config_selectorILNS1_17partition_subalgoE2EjNS0_10empty_typeEbEEZZNS1_14partition_implILS5_2ELb0ES3_jN6thrust23THRUST_200600_302600_NS6detail15normal_iteratorINSA_7pointerIjNSA_11hip_rocprim3tagENSA_11use_defaultESG_EEEEPS6_NSA_18transform_iteratorI7is_evenIjENSC_INSA_10device_ptrIjEEEESG_SG_EENS0_5tupleIJPjSJ_EEENSR_IJSJ_SJ_EEES6_PlJS6_EEE10hipError_tPvRmT3_T4_T5_T6_T7_T9_mT8_P12ihipStream_tbDpT10_ENKUlT_T0_E_clISt17integral_constantIbLb1EES1F_EEDaS1A_S1B_EUlS1A_E_NS1_11comp_targetILNS1_3genE3ELNS1_11target_archE908ELNS1_3gpuE7ELNS1_3repE0EEENS1_30default_config_static_selectorELNS0_4arch9wavefront6targetE1EEEvT1_
; %bb.0:
	.section	.rodata,"a",@progbits
	.p2align	6, 0x0
	.amdhsa_kernel _ZN7rocprim17ROCPRIM_400000_NS6detail17trampoline_kernelINS0_14default_configENS1_25partition_config_selectorILNS1_17partition_subalgoE2EjNS0_10empty_typeEbEEZZNS1_14partition_implILS5_2ELb0ES3_jN6thrust23THRUST_200600_302600_NS6detail15normal_iteratorINSA_7pointerIjNSA_11hip_rocprim3tagENSA_11use_defaultESG_EEEEPS6_NSA_18transform_iteratorI7is_evenIjENSC_INSA_10device_ptrIjEEEESG_SG_EENS0_5tupleIJPjSJ_EEENSR_IJSJ_SJ_EEES6_PlJS6_EEE10hipError_tPvRmT3_T4_T5_T6_T7_T9_mT8_P12ihipStream_tbDpT10_ENKUlT_T0_E_clISt17integral_constantIbLb1EES1F_EEDaS1A_S1B_EUlS1A_E_NS1_11comp_targetILNS1_3genE3ELNS1_11target_archE908ELNS1_3gpuE7ELNS1_3repE0EEENS1_30default_config_static_selectorELNS0_4arch9wavefront6targetE1EEEvT1_
		.amdhsa_group_segment_fixed_size 0
		.amdhsa_private_segment_fixed_size 0
		.amdhsa_kernarg_size 144
		.amdhsa_user_sgpr_count 2
		.amdhsa_user_sgpr_dispatch_ptr 0
		.amdhsa_user_sgpr_queue_ptr 0
		.amdhsa_user_sgpr_kernarg_segment_ptr 1
		.amdhsa_user_sgpr_dispatch_id 0
		.amdhsa_user_sgpr_kernarg_preload_length 0
		.amdhsa_user_sgpr_kernarg_preload_offset 0
		.amdhsa_user_sgpr_private_segment_size 0
		.amdhsa_uses_dynamic_stack 0
		.amdhsa_enable_private_segment 0
		.amdhsa_system_sgpr_workgroup_id_x 1
		.amdhsa_system_sgpr_workgroup_id_y 0
		.amdhsa_system_sgpr_workgroup_id_z 0
		.amdhsa_system_sgpr_workgroup_info 0
		.amdhsa_system_vgpr_workitem_id 0
		.amdhsa_next_free_vgpr 1
		.amdhsa_next_free_sgpr 0
		.amdhsa_accum_offset 4
		.amdhsa_reserve_vcc 0
		.amdhsa_float_round_mode_32 0
		.amdhsa_float_round_mode_16_64 0
		.amdhsa_float_denorm_mode_32 3
		.amdhsa_float_denorm_mode_16_64 3
		.amdhsa_dx10_clamp 1
		.amdhsa_ieee_mode 1
		.amdhsa_fp16_overflow 0
		.amdhsa_tg_split 0
		.amdhsa_exception_fp_ieee_invalid_op 0
		.amdhsa_exception_fp_denorm_src 0
		.amdhsa_exception_fp_ieee_div_zero 0
		.amdhsa_exception_fp_ieee_overflow 0
		.amdhsa_exception_fp_ieee_underflow 0
		.amdhsa_exception_fp_ieee_inexact 0
		.amdhsa_exception_int_div_zero 0
	.end_amdhsa_kernel
	.section	.text._ZN7rocprim17ROCPRIM_400000_NS6detail17trampoline_kernelINS0_14default_configENS1_25partition_config_selectorILNS1_17partition_subalgoE2EjNS0_10empty_typeEbEEZZNS1_14partition_implILS5_2ELb0ES3_jN6thrust23THRUST_200600_302600_NS6detail15normal_iteratorINSA_7pointerIjNSA_11hip_rocprim3tagENSA_11use_defaultESG_EEEEPS6_NSA_18transform_iteratorI7is_evenIjENSC_INSA_10device_ptrIjEEEESG_SG_EENS0_5tupleIJPjSJ_EEENSR_IJSJ_SJ_EEES6_PlJS6_EEE10hipError_tPvRmT3_T4_T5_T6_T7_T9_mT8_P12ihipStream_tbDpT10_ENKUlT_T0_E_clISt17integral_constantIbLb1EES1F_EEDaS1A_S1B_EUlS1A_E_NS1_11comp_targetILNS1_3genE3ELNS1_11target_archE908ELNS1_3gpuE7ELNS1_3repE0EEENS1_30default_config_static_selectorELNS0_4arch9wavefront6targetE1EEEvT1_,"axG",@progbits,_ZN7rocprim17ROCPRIM_400000_NS6detail17trampoline_kernelINS0_14default_configENS1_25partition_config_selectorILNS1_17partition_subalgoE2EjNS0_10empty_typeEbEEZZNS1_14partition_implILS5_2ELb0ES3_jN6thrust23THRUST_200600_302600_NS6detail15normal_iteratorINSA_7pointerIjNSA_11hip_rocprim3tagENSA_11use_defaultESG_EEEEPS6_NSA_18transform_iteratorI7is_evenIjENSC_INSA_10device_ptrIjEEEESG_SG_EENS0_5tupleIJPjSJ_EEENSR_IJSJ_SJ_EEES6_PlJS6_EEE10hipError_tPvRmT3_T4_T5_T6_T7_T9_mT8_P12ihipStream_tbDpT10_ENKUlT_T0_E_clISt17integral_constantIbLb1EES1F_EEDaS1A_S1B_EUlS1A_E_NS1_11comp_targetILNS1_3genE3ELNS1_11target_archE908ELNS1_3gpuE7ELNS1_3repE0EEENS1_30default_config_static_selectorELNS0_4arch9wavefront6targetE1EEEvT1_,comdat
.Lfunc_end2048:
	.size	_ZN7rocprim17ROCPRIM_400000_NS6detail17trampoline_kernelINS0_14default_configENS1_25partition_config_selectorILNS1_17partition_subalgoE2EjNS0_10empty_typeEbEEZZNS1_14partition_implILS5_2ELb0ES3_jN6thrust23THRUST_200600_302600_NS6detail15normal_iteratorINSA_7pointerIjNSA_11hip_rocprim3tagENSA_11use_defaultESG_EEEEPS6_NSA_18transform_iteratorI7is_evenIjENSC_INSA_10device_ptrIjEEEESG_SG_EENS0_5tupleIJPjSJ_EEENSR_IJSJ_SJ_EEES6_PlJS6_EEE10hipError_tPvRmT3_T4_T5_T6_T7_T9_mT8_P12ihipStream_tbDpT10_ENKUlT_T0_E_clISt17integral_constantIbLb1EES1F_EEDaS1A_S1B_EUlS1A_E_NS1_11comp_targetILNS1_3genE3ELNS1_11target_archE908ELNS1_3gpuE7ELNS1_3repE0EEENS1_30default_config_static_selectorELNS0_4arch9wavefront6targetE1EEEvT1_, .Lfunc_end2048-_ZN7rocprim17ROCPRIM_400000_NS6detail17trampoline_kernelINS0_14default_configENS1_25partition_config_selectorILNS1_17partition_subalgoE2EjNS0_10empty_typeEbEEZZNS1_14partition_implILS5_2ELb0ES3_jN6thrust23THRUST_200600_302600_NS6detail15normal_iteratorINSA_7pointerIjNSA_11hip_rocprim3tagENSA_11use_defaultESG_EEEEPS6_NSA_18transform_iteratorI7is_evenIjENSC_INSA_10device_ptrIjEEEESG_SG_EENS0_5tupleIJPjSJ_EEENSR_IJSJ_SJ_EEES6_PlJS6_EEE10hipError_tPvRmT3_T4_T5_T6_T7_T9_mT8_P12ihipStream_tbDpT10_ENKUlT_T0_E_clISt17integral_constantIbLb1EES1F_EEDaS1A_S1B_EUlS1A_E_NS1_11comp_targetILNS1_3genE3ELNS1_11target_archE908ELNS1_3gpuE7ELNS1_3repE0EEENS1_30default_config_static_selectorELNS0_4arch9wavefront6targetE1EEEvT1_
                                        ; -- End function
	.section	.AMDGPU.csdata,"",@progbits
; Kernel info:
; codeLenInByte = 0
; NumSgprs: 6
; NumVgprs: 0
; NumAgprs: 0
; TotalNumVgprs: 0
; ScratchSize: 0
; MemoryBound: 0
; FloatMode: 240
; IeeeMode: 1
; LDSByteSize: 0 bytes/workgroup (compile time only)
; SGPRBlocks: 0
; VGPRBlocks: 0
; NumSGPRsForWavesPerEU: 6
; NumVGPRsForWavesPerEU: 1
; AccumOffset: 4
; Occupancy: 8
; WaveLimiterHint : 0
; COMPUTE_PGM_RSRC2:SCRATCH_EN: 0
; COMPUTE_PGM_RSRC2:USER_SGPR: 2
; COMPUTE_PGM_RSRC2:TRAP_HANDLER: 0
; COMPUTE_PGM_RSRC2:TGID_X_EN: 1
; COMPUTE_PGM_RSRC2:TGID_Y_EN: 0
; COMPUTE_PGM_RSRC2:TGID_Z_EN: 0
; COMPUTE_PGM_RSRC2:TIDIG_COMP_CNT: 0
; COMPUTE_PGM_RSRC3_GFX90A:ACCUM_OFFSET: 0
; COMPUTE_PGM_RSRC3_GFX90A:TG_SPLIT: 0
	.section	.text._ZN7rocprim17ROCPRIM_400000_NS6detail17trampoline_kernelINS0_14default_configENS1_25partition_config_selectorILNS1_17partition_subalgoE2EjNS0_10empty_typeEbEEZZNS1_14partition_implILS5_2ELb0ES3_jN6thrust23THRUST_200600_302600_NS6detail15normal_iteratorINSA_7pointerIjNSA_11hip_rocprim3tagENSA_11use_defaultESG_EEEEPS6_NSA_18transform_iteratorI7is_evenIjENSC_INSA_10device_ptrIjEEEESG_SG_EENS0_5tupleIJPjSJ_EEENSR_IJSJ_SJ_EEES6_PlJS6_EEE10hipError_tPvRmT3_T4_T5_T6_T7_T9_mT8_P12ihipStream_tbDpT10_ENKUlT_T0_E_clISt17integral_constantIbLb1EES1F_EEDaS1A_S1B_EUlS1A_E_NS1_11comp_targetILNS1_3genE2ELNS1_11target_archE906ELNS1_3gpuE6ELNS1_3repE0EEENS1_30default_config_static_selectorELNS0_4arch9wavefront6targetE1EEEvT1_,"axG",@progbits,_ZN7rocprim17ROCPRIM_400000_NS6detail17trampoline_kernelINS0_14default_configENS1_25partition_config_selectorILNS1_17partition_subalgoE2EjNS0_10empty_typeEbEEZZNS1_14partition_implILS5_2ELb0ES3_jN6thrust23THRUST_200600_302600_NS6detail15normal_iteratorINSA_7pointerIjNSA_11hip_rocprim3tagENSA_11use_defaultESG_EEEEPS6_NSA_18transform_iteratorI7is_evenIjENSC_INSA_10device_ptrIjEEEESG_SG_EENS0_5tupleIJPjSJ_EEENSR_IJSJ_SJ_EEES6_PlJS6_EEE10hipError_tPvRmT3_T4_T5_T6_T7_T9_mT8_P12ihipStream_tbDpT10_ENKUlT_T0_E_clISt17integral_constantIbLb1EES1F_EEDaS1A_S1B_EUlS1A_E_NS1_11comp_targetILNS1_3genE2ELNS1_11target_archE906ELNS1_3gpuE6ELNS1_3repE0EEENS1_30default_config_static_selectorELNS0_4arch9wavefront6targetE1EEEvT1_,comdat
	.protected	_ZN7rocprim17ROCPRIM_400000_NS6detail17trampoline_kernelINS0_14default_configENS1_25partition_config_selectorILNS1_17partition_subalgoE2EjNS0_10empty_typeEbEEZZNS1_14partition_implILS5_2ELb0ES3_jN6thrust23THRUST_200600_302600_NS6detail15normal_iteratorINSA_7pointerIjNSA_11hip_rocprim3tagENSA_11use_defaultESG_EEEEPS6_NSA_18transform_iteratorI7is_evenIjENSC_INSA_10device_ptrIjEEEESG_SG_EENS0_5tupleIJPjSJ_EEENSR_IJSJ_SJ_EEES6_PlJS6_EEE10hipError_tPvRmT3_T4_T5_T6_T7_T9_mT8_P12ihipStream_tbDpT10_ENKUlT_T0_E_clISt17integral_constantIbLb1EES1F_EEDaS1A_S1B_EUlS1A_E_NS1_11comp_targetILNS1_3genE2ELNS1_11target_archE906ELNS1_3gpuE6ELNS1_3repE0EEENS1_30default_config_static_selectorELNS0_4arch9wavefront6targetE1EEEvT1_ ; -- Begin function _ZN7rocprim17ROCPRIM_400000_NS6detail17trampoline_kernelINS0_14default_configENS1_25partition_config_selectorILNS1_17partition_subalgoE2EjNS0_10empty_typeEbEEZZNS1_14partition_implILS5_2ELb0ES3_jN6thrust23THRUST_200600_302600_NS6detail15normal_iteratorINSA_7pointerIjNSA_11hip_rocprim3tagENSA_11use_defaultESG_EEEEPS6_NSA_18transform_iteratorI7is_evenIjENSC_INSA_10device_ptrIjEEEESG_SG_EENS0_5tupleIJPjSJ_EEENSR_IJSJ_SJ_EEES6_PlJS6_EEE10hipError_tPvRmT3_T4_T5_T6_T7_T9_mT8_P12ihipStream_tbDpT10_ENKUlT_T0_E_clISt17integral_constantIbLb1EES1F_EEDaS1A_S1B_EUlS1A_E_NS1_11comp_targetILNS1_3genE2ELNS1_11target_archE906ELNS1_3gpuE6ELNS1_3repE0EEENS1_30default_config_static_selectorELNS0_4arch9wavefront6targetE1EEEvT1_
	.globl	_ZN7rocprim17ROCPRIM_400000_NS6detail17trampoline_kernelINS0_14default_configENS1_25partition_config_selectorILNS1_17partition_subalgoE2EjNS0_10empty_typeEbEEZZNS1_14partition_implILS5_2ELb0ES3_jN6thrust23THRUST_200600_302600_NS6detail15normal_iteratorINSA_7pointerIjNSA_11hip_rocprim3tagENSA_11use_defaultESG_EEEEPS6_NSA_18transform_iteratorI7is_evenIjENSC_INSA_10device_ptrIjEEEESG_SG_EENS0_5tupleIJPjSJ_EEENSR_IJSJ_SJ_EEES6_PlJS6_EEE10hipError_tPvRmT3_T4_T5_T6_T7_T9_mT8_P12ihipStream_tbDpT10_ENKUlT_T0_E_clISt17integral_constantIbLb1EES1F_EEDaS1A_S1B_EUlS1A_E_NS1_11comp_targetILNS1_3genE2ELNS1_11target_archE906ELNS1_3gpuE6ELNS1_3repE0EEENS1_30default_config_static_selectorELNS0_4arch9wavefront6targetE1EEEvT1_
	.p2align	8
	.type	_ZN7rocprim17ROCPRIM_400000_NS6detail17trampoline_kernelINS0_14default_configENS1_25partition_config_selectorILNS1_17partition_subalgoE2EjNS0_10empty_typeEbEEZZNS1_14partition_implILS5_2ELb0ES3_jN6thrust23THRUST_200600_302600_NS6detail15normal_iteratorINSA_7pointerIjNSA_11hip_rocprim3tagENSA_11use_defaultESG_EEEEPS6_NSA_18transform_iteratorI7is_evenIjENSC_INSA_10device_ptrIjEEEESG_SG_EENS0_5tupleIJPjSJ_EEENSR_IJSJ_SJ_EEES6_PlJS6_EEE10hipError_tPvRmT3_T4_T5_T6_T7_T9_mT8_P12ihipStream_tbDpT10_ENKUlT_T0_E_clISt17integral_constantIbLb1EES1F_EEDaS1A_S1B_EUlS1A_E_NS1_11comp_targetILNS1_3genE2ELNS1_11target_archE906ELNS1_3gpuE6ELNS1_3repE0EEENS1_30default_config_static_selectorELNS0_4arch9wavefront6targetE1EEEvT1_,@function
_ZN7rocprim17ROCPRIM_400000_NS6detail17trampoline_kernelINS0_14default_configENS1_25partition_config_selectorILNS1_17partition_subalgoE2EjNS0_10empty_typeEbEEZZNS1_14partition_implILS5_2ELb0ES3_jN6thrust23THRUST_200600_302600_NS6detail15normal_iteratorINSA_7pointerIjNSA_11hip_rocprim3tagENSA_11use_defaultESG_EEEEPS6_NSA_18transform_iteratorI7is_evenIjENSC_INSA_10device_ptrIjEEEESG_SG_EENS0_5tupleIJPjSJ_EEENSR_IJSJ_SJ_EEES6_PlJS6_EEE10hipError_tPvRmT3_T4_T5_T6_T7_T9_mT8_P12ihipStream_tbDpT10_ENKUlT_T0_E_clISt17integral_constantIbLb1EES1F_EEDaS1A_S1B_EUlS1A_E_NS1_11comp_targetILNS1_3genE2ELNS1_11target_archE906ELNS1_3gpuE6ELNS1_3repE0EEENS1_30default_config_static_selectorELNS0_4arch9wavefront6targetE1EEEvT1_: ; @_ZN7rocprim17ROCPRIM_400000_NS6detail17trampoline_kernelINS0_14default_configENS1_25partition_config_selectorILNS1_17partition_subalgoE2EjNS0_10empty_typeEbEEZZNS1_14partition_implILS5_2ELb0ES3_jN6thrust23THRUST_200600_302600_NS6detail15normal_iteratorINSA_7pointerIjNSA_11hip_rocprim3tagENSA_11use_defaultESG_EEEEPS6_NSA_18transform_iteratorI7is_evenIjENSC_INSA_10device_ptrIjEEEESG_SG_EENS0_5tupleIJPjSJ_EEENSR_IJSJ_SJ_EEES6_PlJS6_EEE10hipError_tPvRmT3_T4_T5_T6_T7_T9_mT8_P12ihipStream_tbDpT10_ENKUlT_T0_E_clISt17integral_constantIbLb1EES1F_EEDaS1A_S1B_EUlS1A_E_NS1_11comp_targetILNS1_3genE2ELNS1_11target_archE906ELNS1_3gpuE6ELNS1_3repE0EEENS1_30default_config_static_selectorELNS0_4arch9wavefront6targetE1EEEvT1_
; %bb.0:
	.section	.rodata,"a",@progbits
	.p2align	6, 0x0
	.amdhsa_kernel _ZN7rocprim17ROCPRIM_400000_NS6detail17trampoline_kernelINS0_14default_configENS1_25partition_config_selectorILNS1_17partition_subalgoE2EjNS0_10empty_typeEbEEZZNS1_14partition_implILS5_2ELb0ES3_jN6thrust23THRUST_200600_302600_NS6detail15normal_iteratorINSA_7pointerIjNSA_11hip_rocprim3tagENSA_11use_defaultESG_EEEEPS6_NSA_18transform_iteratorI7is_evenIjENSC_INSA_10device_ptrIjEEEESG_SG_EENS0_5tupleIJPjSJ_EEENSR_IJSJ_SJ_EEES6_PlJS6_EEE10hipError_tPvRmT3_T4_T5_T6_T7_T9_mT8_P12ihipStream_tbDpT10_ENKUlT_T0_E_clISt17integral_constantIbLb1EES1F_EEDaS1A_S1B_EUlS1A_E_NS1_11comp_targetILNS1_3genE2ELNS1_11target_archE906ELNS1_3gpuE6ELNS1_3repE0EEENS1_30default_config_static_selectorELNS0_4arch9wavefront6targetE1EEEvT1_
		.amdhsa_group_segment_fixed_size 0
		.amdhsa_private_segment_fixed_size 0
		.amdhsa_kernarg_size 144
		.amdhsa_user_sgpr_count 2
		.amdhsa_user_sgpr_dispatch_ptr 0
		.amdhsa_user_sgpr_queue_ptr 0
		.amdhsa_user_sgpr_kernarg_segment_ptr 1
		.amdhsa_user_sgpr_dispatch_id 0
		.amdhsa_user_sgpr_kernarg_preload_length 0
		.amdhsa_user_sgpr_kernarg_preload_offset 0
		.amdhsa_user_sgpr_private_segment_size 0
		.amdhsa_uses_dynamic_stack 0
		.amdhsa_enable_private_segment 0
		.amdhsa_system_sgpr_workgroup_id_x 1
		.amdhsa_system_sgpr_workgroup_id_y 0
		.amdhsa_system_sgpr_workgroup_id_z 0
		.amdhsa_system_sgpr_workgroup_info 0
		.amdhsa_system_vgpr_workitem_id 0
		.amdhsa_next_free_vgpr 1
		.amdhsa_next_free_sgpr 0
		.amdhsa_accum_offset 4
		.amdhsa_reserve_vcc 0
		.amdhsa_float_round_mode_32 0
		.amdhsa_float_round_mode_16_64 0
		.amdhsa_float_denorm_mode_32 3
		.amdhsa_float_denorm_mode_16_64 3
		.amdhsa_dx10_clamp 1
		.amdhsa_ieee_mode 1
		.amdhsa_fp16_overflow 0
		.amdhsa_tg_split 0
		.amdhsa_exception_fp_ieee_invalid_op 0
		.amdhsa_exception_fp_denorm_src 0
		.amdhsa_exception_fp_ieee_div_zero 0
		.amdhsa_exception_fp_ieee_overflow 0
		.amdhsa_exception_fp_ieee_underflow 0
		.amdhsa_exception_fp_ieee_inexact 0
		.amdhsa_exception_int_div_zero 0
	.end_amdhsa_kernel
	.section	.text._ZN7rocprim17ROCPRIM_400000_NS6detail17trampoline_kernelINS0_14default_configENS1_25partition_config_selectorILNS1_17partition_subalgoE2EjNS0_10empty_typeEbEEZZNS1_14partition_implILS5_2ELb0ES3_jN6thrust23THRUST_200600_302600_NS6detail15normal_iteratorINSA_7pointerIjNSA_11hip_rocprim3tagENSA_11use_defaultESG_EEEEPS6_NSA_18transform_iteratorI7is_evenIjENSC_INSA_10device_ptrIjEEEESG_SG_EENS0_5tupleIJPjSJ_EEENSR_IJSJ_SJ_EEES6_PlJS6_EEE10hipError_tPvRmT3_T4_T5_T6_T7_T9_mT8_P12ihipStream_tbDpT10_ENKUlT_T0_E_clISt17integral_constantIbLb1EES1F_EEDaS1A_S1B_EUlS1A_E_NS1_11comp_targetILNS1_3genE2ELNS1_11target_archE906ELNS1_3gpuE6ELNS1_3repE0EEENS1_30default_config_static_selectorELNS0_4arch9wavefront6targetE1EEEvT1_,"axG",@progbits,_ZN7rocprim17ROCPRIM_400000_NS6detail17trampoline_kernelINS0_14default_configENS1_25partition_config_selectorILNS1_17partition_subalgoE2EjNS0_10empty_typeEbEEZZNS1_14partition_implILS5_2ELb0ES3_jN6thrust23THRUST_200600_302600_NS6detail15normal_iteratorINSA_7pointerIjNSA_11hip_rocprim3tagENSA_11use_defaultESG_EEEEPS6_NSA_18transform_iteratorI7is_evenIjENSC_INSA_10device_ptrIjEEEESG_SG_EENS0_5tupleIJPjSJ_EEENSR_IJSJ_SJ_EEES6_PlJS6_EEE10hipError_tPvRmT3_T4_T5_T6_T7_T9_mT8_P12ihipStream_tbDpT10_ENKUlT_T0_E_clISt17integral_constantIbLb1EES1F_EEDaS1A_S1B_EUlS1A_E_NS1_11comp_targetILNS1_3genE2ELNS1_11target_archE906ELNS1_3gpuE6ELNS1_3repE0EEENS1_30default_config_static_selectorELNS0_4arch9wavefront6targetE1EEEvT1_,comdat
.Lfunc_end2049:
	.size	_ZN7rocprim17ROCPRIM_400000_NS6detail17trampoline_kernelINS0_14default_configENS1_25partition_config_selectorILNS1_17partition_subalgoE2EjNS0_10empty_typeEbEEZZNS1_14partition_implILS5_2ELb0ES3_jN6thrust23THRUST_200600_302600_NS6detail15normal_iteratorINSA_7pointerIjNSA_11hip_rocprim3tagENSA_11use_defaultESG_EEEEPS6_NSA_18transform_iteratorI7is_evenIjENSC_INSA_10device_ptrIjEEEESG_SG_EENS0_5tupleIJPjSJ_EEENSR_IJSJ_SJ_EEES6_PlJS6_EEE10hipError_tPvRmT3_T4_T5_T6_T7_T9_mT8_P12ihipStream_tbDpT10_ENKUlT_T0_E_clISt17integral_constantIbLb1EES1F_EEDaS1A_S1B_EUlS1A_E_NS1_11comp_targetILNS1_3genE2ELNS1_11target_archE906ELNS1_3gpuE6ELNS1_3repE0EEENS1_30default_config_static_selectorELNS0_4arch9wavefront6targetE1EEEvT1_, .Lfunc_end2049-_ZN7rocprim17ROCPRIM_400000_NS6detail17trampoline_kernelINS0_14default_configENS1_25partition_config_selectorILNS1_17partition_subalgoE2EjNS0_10empty_typeEbEEZZNS1_14partition_implILS5_2ELb0ES3_jN6thrust23THRUST_200600_302600_NS6detail15normal_iteratorINSA_7pointerIjNSA_11hip_rocprim3tagENSA_11use_defaultESG_EEEEPS6_NSA_18transform_iteratorI7is_evenIjENSC_INSA_10device_ptrIjEEEESG_SG_EENS0_5tupleIJPjSJ_EEENSR_IJSJ_SJ_EEES6_PlJS6_EEE10hipError_tPvRmT3_T4_T5_T6_T7_T9_mT8_P12ihipStream_tbDpT10_ENKUlT_T0_E_clISt17integral_constantIbLb1EES1F_EEDaS1A_S1B_EUlS1A_E_NS1_11comp_targetILNS1_3genE2ELNS1_11target_archE906ELNS1_3gpuE6ELNS1_3repE0EEENS1_30default_config_static_selectorELNS0_4arch9wavefront6targetE1EEEvT1_
                                        ; -- End function
	.section	.AMDGPU.csdata,"",@progbits
; Kernel info:
; codeLenInByte = 0
; NumSgprs: 6
; NumVgprs: 0
; NumAgprs: 0
; TotalNumVgprs: 0
; ScratchSize: 0
; MemoryBound: 0
; FloatMode: 240
; IeeeMode: 1
; LDSByteSize: 0 bytes/workgroup (compile time only)
; SGPRBlocks: 0
; VGPRBlocks: 0
; NumSGPRsForWavesPerEU: 6
; NumVGPRsForWavesPerEU: 1
; AccumOffset: 4
; Occupancy: 8
; WaveLimiterHint : 0
; COMPUTE_PGM_RSRC2:SCRATCH_EN: 0
; COMPUTE_PGM_RSRC2:USER_SGPR: 2
; COMPUTE_PGM_RSRC2:TRAP_HANDLER: 0
; COMPUTE_PGM_RSRC2:TGID_X_EN: 1
; COMPUTE_PGM_RSRC2:TGID_Y_EN: 0
; COMPUTE_PGM_RSRC2:TGID_Z_EN: 0
; COMPUTE_PGM_RSRC2:TIDIG_COMP_CNT: 0
; COMPUTE_PGM_RSRC3_GFX90A:ACCUM_OFFSET: 0
; COMPUTE_PGM_RSRC3_GFX90A:TG_SPLIT: 0
	.section	.text._ZN7rocprim17ROCPRIM_400000_NS6detail17trampoline_kernelINS0_14default_configENS1_25partition_config_selectorILNS1_17partition_subalgoE2EjNS0_10empty_typeEbEEZZNS1_14partition_implILS5_2ELb0ES3_jN6thrust23THRUST_200600_302600_NS6detail15normal_iteratorINSA_7pointerIjNSA_11hip_rocprim3tagENSA_11use_defaultESG_EEEEPS6_NSA_18transform_iteratorI7is_evenIjENSC_INSA_10device_ptrIjEEEESG_SG_EENS0_5tupleIJPjSJ_EEENSR_IJSJ_SJ_EEES6_PlJS6_EEE10hipError_tPvRmT3_T4_T5_T6_T7_T9_mT8_P12ihipStream_tbDpT10_ENKUlT_T0_E_clISt17integral_constantIbLb1EES1F_EEDaS1A_S1B_EUlS1A_E_NS1_11comp_targetILNS1_3genE10ELNS1_11target_archE1200ELNS1_3gpuE4ELNS1_3repE0EEENS1_30default_config_static_selectorELNS0_4arch9wavefront6targetE1EEEvT1_,"axG",@progbits,_ZN7rocprim17ROCPRIM_400000_NS6detail17trampoline_kernelINS0_14default_configENS1_25partition_config_selectorILNS1_17partition_subalgoE2EjNS0_10empty_typeEbEEZZNS1_14partition_implILS5_2ELb0ES3_jN6thrust23THRUST_200600_302600_NS6detail15normal_iteratorINSA_7pointerIjNSA_11hip_rocprim3tagENSA_11use_defaultESG_EEEEPS6_NSA_18transform_iteratorI7is_evenIjENSC_INSA_10device_ptrIjEEEESG_SG_EENS0_5tupleIJPjSJ_EEENSR_IJSJ_SJ_EEES6_PlJS6_EEE10hipError_tPvRmT3_T4_T5_T6_T7_T9_mT8_P12ihipStream_tbDpT10_ENKUlT_T0_E_clISt17integral_constantIbLb1EES1F_EEDaS1A_S1B_EUlS1A_E_NS1_11comp_targetILNS1_3genE10ELNS1_11target_archE1200ELNS1_3gpuE4ELNS1_3repE0EEENS1_30default_config_static_selectorELNS0_4arch9wavefront6targetE1EEEvT1_,comdat
	.protected	_ZN7rocprim17ROCPRIM_400000_NS6detail17trampoline_kernelINS0_14default_configENS1_25partition_config_selectorILNS1_17partition_subalgoE2EjNS0_10empty_typeEbEEZZNS1_14partition_implILS5_2ELb0ES3_jN6thrust23THRUST_200600_302600_NS6detail15normal_iteratorINSA_7pointerIjNSA_11hip_rocprim3tagENSA_11use_defaultESG_EEEEPS6_NSA_18transform_iteratorI7is_evenIjENSC_INSA_10device_ptrIjEEEESG_SG_EENS0_5tupleIJPjSJ_EEENSR_IJSJ_SJ_EEES6_PlJS6_EEE10hipError_tPvRmT3_T4_T5_T6_T7_T9_mT8_P12ihipStream_tbDpT10_ENKUlT_T0_E_clISt17integral_constantIbLb1EES1F_EEDaS1A_S1B_EUlS1A_E_NS1_11comp_targetILNS1_3genE10ELNS1_11target_archE1200ELNS1_3gpuE4ELNS1_3repE0EEENS1_30default_config_static_selectorELNS0_4arch9wavefront6targetE1EEEvT1_ ; -- Begin function _ZN7rocprim17ROCPRIM_400000_NS6detail17trampoline_kernelINS0_14default_configENS1_25partition_config_selectorILNS1_17partition_subalgoE2EjNS0_10empty_typeEbEEZZNS1_14partition_implILS5_2ELb0ES3_jN6thrust23THRUST_200600_302600_NS6detail15normal_iteratorINSA_7pointerIjNSA_11hip_rocprim3tagENSA_11use_defaultESG_EEEEPS6_NSA_18transform_iteratorI7is_evenIjENSC_INSA_10device_ptrIjEEEESG_SG_EENS0_5tupleIJPjSJ_EEENSR_IJSJ_SJ_EEES6_PlJS6_EEE10hipError_tPvRmT3_T4_T5_T6_T7_T9_mT8_P12ihipStream_tbDpT10_ENKUlT_T0_E_clISt17integral_constantIbLb1EES1F_EEDaS1A_S1B_EUlS1A_E_NS1_11comp_targetILNS1_3genE10ELNS1_11target_archE1200ELNS1_3gpuE4ELNS1_3repE0EEENS1_30default_config_static_selectorELNS0_4arch9wavefront6targetE1EEEvT1_
	.globl	_ZN7rocprim17ROCPRIM_400000_NS6detail17trampoline_kernelINS0_14default_configENS1_25partition_config_selectorILNS1_17partition_subalgoE2EjNS0_10empty_typeEbEEZZNS1_14partition_implILS5_2ELb0ES3_jN6thrust23THRUST_200600_302600_NS6detail15normal_iteratorINSA_7pointerIjNSA_11hip_rocprim3tagENSA_11use_defaultESG_EEEEPS6_NSA_18transform_iteratorI7is_evenIjENSC_INSA_10device_ptrIjEEEESG_SG_EENS0_5tupleIJPjSJ_EEENSR_IJSJ_SJ_EEES6_PlJS6_EEE10hipError_tPvRmT3_T4_T5_T6_T7_T9_mT8_P12ihipStream_tbDpT10_ENKUlT_T0_E_clISt17integral_constantIbLb1EES1F_EEDaS1A_S1B_EUlS1A_E_NS1_11comp_targetILNS1_3genE10ELNS1_11target_archE1200ELNS1_3gpuE4ELNS1_3repE0EEENS1_30default_config_static_selectorELNS0_4arch9wavefront6targetE1EEEvT1_
	.p2align	8
	.type	_ZN7rocprim17ROCPRIM_400000_NS6detail17trampoline_kernelINS0_14default_configENS1_25partition_config_selectorILNS1_17partition_subalgoE2EjNS0_10empty_typeEbEEZZNS1_14partition_implILS5_2ELb0ES3_jN6thrust23THRUST_200600_302600_NS6detail15normal_iteratorINSA_7pointerIjNSA_11hip_rocprim3tagENSA_11use_defaultESG_EEEEPS6_NSA_18transform_iteratorI7is_evenIjENSC_INSA_10device_ptrIjEEEESG_SG_EENS0_5tupleIJPjSJ_EEENSR_IJSJ_SJ_EEES6_PlJS6_EEE10hipError_tPvRmT3_T4_T5_T6_T7_T9_mT8_P12ihipStream_tbDpT10_ENKUlT_T0_E_clISt17integral_constantIbLb1EES1F_EEDaS1A_S1B_EUlS1A_E_NS1_11comp_targetILNS1_3genE10ELNS1_11target_archE1200ELNS1_3gpuE4ELNS1_3repE0EEENS1_30default_config_static_selectorELNS0_4arch9wavefront6targetE1EEEvT1_,@function
_ZN7rocprim17ROCPRIM_400000_NS6detail17trampoline_kernelINS0_14default_configENS1_25partition_config_selectorILNS1_17partition_subalgoE2EjNS0_10empty_typeEbEEZZNS1_14partition_implILS5_2ELb0ES3_jN6thrust23THRUST_200600_302600_NS6detail15normal_iteratorINSA_7pointerIjNSA_11hip_rocprim3tagENSA_11use_defaultESG_EEEEPS6_NSA_18transform_iteratorI7is_evenIjENSC_INSA_10device_ptrIjEEEESG_SG_EENS0_5tupleIJPjSJ_EEENSR_IJSJ_SJ_EEES6_PlJS6_EEE10hipError_tPvRmT3_T4_T5_T6_T7_T9_mT8_P12ihipStream_tbDpT10_ENKUlT_T0_E_clISt17integral_constantIbLb1EES1F_EEDaS1A_S1B_EUlS1A_E_NS1_11comp_targetILNS1_3genE10ELNS1_11target_archE1200ELNS1_3gpuE4ELNS1_3repE0EEENS1_30default_config_static_selectorELNS0_4arch9wavefront6targetE1EEEvT1_: ; @_ZN7rocprim17ROCPRIM_400000_NS6detail17trampoline_kernelINS0_14default_configENS1_25partition_config_selectorILNS1_17partition_subalgoE2EjNS0_10empty_typeEbEEZZNS1_14partition_implILS5_2ELb0ES3_jN6thrust23THRUST_200600_302600_NS6detail15normal_iteratorINSA_7pointerIjNSA_11hip_rocprim3tagENSA_11use_defaultESG_EEEEPS6_NSA_18transform_iteratorI7is_evenIjENSC_INSA_10device_ptrIjEEEESG_SG_EENS0_5tupleIJPjSJ_EEENSR_IJSJ_SJ_EEES6_PlJS6_EEE10hipError_tPvRmT3_T4_T5_T6_T7_T9_mT8_P12ihipStream_tbDpT10_ENKUlT_T0_E_clISt17integral_constantIbLb1EES1F_EEDaS1A_S1B_EUlS1A_E_NS1_11comp_targetILNS1_3genE10ELNS1_11target_archE1200ELNS1_3gpuE4ELNS1_3repE0EEENS1_30default_config_static_selectorELNS0_4arch9wavefront6targetE1EEEvT1_
; %bb.0:
	.section	.rodata,"a",@progbits
	.p2align	6, 0x0
	.amdhsa_kernel _ZN7rocprim17ROCPRIM_400000_NS6detail17trampoline_kernelINS0_14default_configENS1_25partition_config_selectorILNS1_17partition_subalgoE2EjNS0_10empty_typeEbEEZZNS1_14partition_implILS5_2ELb0ES3_jN6thrust23THRUST_200600_302600_NS6detail15normal_iteratorINSA_7pointerIjNSA_11hip_rocprim3tagENSA_11use_defaultESG_EEEEPS6_NSA_18transform_iteratorI7is_evenIjENSC_INSA_10device_ptrIjEEEESG_SG_EENS0_5tupleIJPjSJ_EEENSR_IJSJ_SJ_EEES6_PlJS6_EEE10hipError_tPvRmT3_T4_T5_T6_T7_T9_mT8_P12ihipStream_tbDpT10_ENKUlT_T0_E_clISt17integral_constantIbLb1EES1F_EEDaS1A_S1B_EUlS1A_E_NS1_11comp_targetILNS1_3genE10ELNS1_11target_archE1200ELNS1_3gpuE4ELNS1_3repE0EEENS1_30default_config_static_selectorELNS0_4arch9wavefront6targetE1EEEvT1_
		.amdhsa_group_segment_fixed_size 0
		.amdhsa_private_segment_fixed_size 0
		.amdhsa_kernarg_size 144
		.amdhsa_user_sgpr_count 2
		.amdhsa_user_sgpr_dispatch_ptr 0
		.amdhsa_user_sgpr_queue_ptr 0
		.amdhsa_user_sgpr_kernarg_segment_ptr 1
		.amdhsa_user_sgpr_dispatch_id 0
		.amdhsa_user_sgpr_kernarg_preload_length 0
		.amdhsa_user_sgpr_kernarg_preload_offset 0
		.amdhsa_user_sgpr_private_segment_size 0
		.amdhsa_uses_dynamic_stack 0
		.amdhsa_enable_private_segment 0
		.amdhsa_system_sgpr_workgroup_id_x 1
		.amdhsa_system_sgpr_workgroup_id_y 0
		.amdhsa_system_sgpr_workgroup_id_z 0
		.amdhsa_system_sgpr_workgroup_info 0
		.amdhsa_system_vgpr_workitem_id 0
		.amdhsa_next_free_vgpr 1
		.amdhsa_next_free_sgpr 0
		.amdhsa_accum_offset 4
		.amdhsa_reserve_vcc 0
		.amdhsa_float_round_mode_32 0
		.amdhsa_float_round_mode_16_64 0
		.amdhsa_float_denorm_mode_32 3
		.amdhsa_float_denorm_mode_16_64 3
		.amdhsa_dx10_clamp 1
		.amdhsa_ieee_mode 1
		.amdhsa_fp16_overflow 0
		.amdhsa_tg_split 0
		.amdhsa_exception_fp_ieee_invalid_op 0
		.amdhsa_exception_fp_denorm_src 0
		.amdhsa_exception_fp_ieee_div_zero 0
		.amdhsa_exception_fp_ieee_overflow 0
		.amdhsa_exception_fp_ieee_underflow 0
		.amdhsa_exception_fp_ieee_inexact 0
		.amdhsa_exception_int_div_zero 0
	.end_amdhsa_kernel
	.section	.text._ZN7rocprim17ROCPRIM_400000_NS6detail17trampoline_kernelINS0_14default_configENS1_25partition_config_selectorILNS1_17partition_subalgoE2EjNS0_10empty_typeEbEEZZNS1_14partition_implILS5_2ELb0ES3_jN6thrust23THRUST_200600_302600_NS6detail15normal_iteratorINSA_7pointerIjNSA_11hip_rocprim3tagENSA_11use_defaultESG_EEEEPS6_NSA_18transform_iteratorI7is_evenIjENSC_INSA_10device_ptrIjEEEESG_SG_EENS0_5tupleIJPjSJ_EEENSR_IJSJ_SJ_EEES6_PlJS6_EEE10hipError_tPvRmT3_T4_T5_T6_T7_T9_mT8_P12ihipStream_tbDpT10_ENKUlT_T0_E_clISt17integral_constantIbLb1EES1F_EEDaS1A_S1B_EUlS1A_E_NS1_11comp_targetILNS1_3genE10ELNS1_11target_archE1200ELNS1_3gpuE4ELNS1_3repE0EEENS1_30default_config_static_selectorELNS0_4arch9wavefront6targetE1EEEvT1_,"axG",@progbits,_ZN7rocprim17ROCPRIM_400000_NS6detail17trampoline_kernelINS0_14default_configENS1_25partition_config_selectorILNS1_17partition_subalgoE2EjNS0_10empty_typeEbEEZZNS1_14partition_implILS5_2ELb0ES3_jN6thrust23THRUST_200600_302600_NS6detail15normal_iteratorINSA_7pointerIjNSA_11hip_rocprim3tagENSA_11use_defaultESG_EEEEPS6_NSA_18transform_iteratorI7is_evenIjENSC_INSA_10device_ptrIjEEEESG_SG_EENS0_5tupleIJPjSJ_EEENSR_IJSJ_SJ_EEES6_PlJS6_EEE10hipError_tPvRmT3_T4_T5_T6_T7_T9_mT8_P12ihipStream_tbDpT10_ENKUlT_T0_E_clISt17integral_constantIbLb1EES1F_EEDaS1A_S1B_EUlS1A_E_NS1_11comp_targetILNS1_3genE10ELNS1_11target_archE1200ELNS1_3gpuE4ELNS1_3repE0EEENS1_30default_config_static_selectorELNS0_4arch9wavefront6targetE1EEEvT1_,comdat
.Lfunc_end2050:
	.size	_ZN7rocprim17ROCPRIM_400000_NS6detail17trampoline_kernelINS0_14default_configENS1_25partition_config_selectorILNS1_17partition_subalgoE2EjNS0_10empty_typeEbEEZZNS1_14partition_implILS5_2ELb0ES3_jN6thrust23THRUST_200600_302600_NS6detail15normal_iteratorINSA_7pointerIjNSA_11hip_rocprim3tagENSA_11use_defaultESG_EEEEPS6_NSA_18transform_iteratorI7is_evenIjENSC_INSA_10device_ptrIjEEEESG_SG_EENS0_5tupleIJPjSJ_EEENSR_IJSJ_SJ_EEES6_PlJS6_EEE10hipError_tPvRmT3_T4_T5_T6_T7_T9_mT8_P12ihipStream_tbDpT10_ENKUlT_T0_E_clISt17integral_constantIbLb1EES1F_EEDaS1A_S1B_EUlS1A_E_NS1_11comp_targetILNS1_3genE10ELNS1_11target_archE1200ELNS1_3gpuE4ELNS1_3repE0EEENS1_30default_config_static_selectorELNS0_4arch9wavefront6targetE1EEEvT1_, .Lfunc_end2050-_ZN7rocprim17ROCPRIM_400000_NS6detail17trampoline_kernelINS0_14default_configENS1_25partition_config_selectorILNS1_17partition_subalgoE2EjNS0_10empty_typeEbEEZZNS1_14partition_implILS5_2ELb0ES3_jN6thrust23THRUST_200600_302600_NS6detail15normal_iteratorINSA_7pointerIjNSA_11hip_rocprim3tagENSA_11use_defaultESG_EEEEPS6_NSA_18transform_iteratorI7is_evenIjENSC_INSA_10device_ptrIjEEEESG_SG_EENS0_5tupleIJPjSJ_EEENSR_IJSJ_SJ_EEES6_PlJS6_EEE10hipError_tPvRmT3_T4_T5_T6_T7_T9_mT8_P12ihipStream_tbDpT10_ENKUlT_T0_E_clISt17integral_constantIbLb1EES1F_EEDaS1A_S1B_EUlS1A_E_NS1_11comp_targetILNS1_3genE10ELNS1_11target_archE1200ELNS1_3gpuE4ELNS1_3repE0EEENS1_30default_config_static_selectorELNS0_4arch9wavefront6targetE1EEEvT1_
                                        ; -- End function
	.section	.AMDGPU.csdata,"",@progbits
; Kernel info:
; codeLenInByte = 0
; NumSgprs: 6
; NumVgprs: 0
; NumAgprs: 0
; TotalNumVgprs: 0
; ScratchSize: 0
; MemoryBound: 0
; FloatMode: 240
; IeeeMode: 1
; LDSByteSize: 0 bytes/workgroup (compile time only)
; SGPRBlocks: 0
; VGPRBlocks: 0
; NumSGPRsForWavesPerEU: 6
; NumVGPRsForWavesPerEU: 1
; AccumOffset: 4
; Occupancy: 8
; WaveLimiterHint : 0
; COMPUTE_PGM_RSRC2:SCRATCH_EN: 0
; COMPUTE_PGM_RSRC2:USER_SGPR: 2
; COMPUTE_PGM_RSRC2:TRAP_HANDLER: 0
; COMPUTE_PGM_RSRC2:TGID_X_EN: 1
; COMPUTE_PGM_RSRC2:TGID_Y_EN: 0
; COMPUTE_PGM_RSRC2:TGID_Z_EN: 0
; COMPUTE_PGM_RSRC2:TIDIG_COMP_CNT: 0
; COMPUTE_PGM_RSRC3_GFX90A:ACCUM_OFFSET: 0
; COMPUTE_PGM_RSRC3_GFX90A:TG_SPLIT: 0
	.section	.text._ZN7rocprim17ROCPRIM_400000_NS6detail17trampoline_kernelINS0_14default_configENS1_25partition_config_selectorILNS1_17partition_subalgoE2EjNS0_10empty_typeEbEEZZNS1_14partition_implILS5_2ELb0ES3_jN6thrust23THRUST_200600_302600_NS6detail15normal_iteratorINSA_7pointerIjNSA_11hip_rocprim3tagENSA_11use_defaultESG_EEEEPS6_NSA_18transform_iteratorI7is_evenIjENSC_INSA_10device_ptrIjEEEESG_SG_EENS0_5tupleIJPjSJ_EEENSR_IJSJ_SJ_EEES6_PlJS6_EEE10hipError_tPvRmT3_T4_T5_T6_T7_T9_mT8_P12ihipStream_tbDpT10_ENKUlT_T0_E_clISt17integral_constantIbLb1EES1F_EEDaS1A_S1B_EUlS1A_E_NS1_11comp_targetILNS1_3genE9ELNS1_11target_archE1100ELNS1_3gpuE3ELNS1_3repE0EEENS1_30default_config_static_selectorELNS0_4arch9wavefront6targetE1EEEvT1_,"axG",@progbits,_ZN7rocprim17ROCPRIM_400000_NS6detail17trampoline_kernelINS0_14default_configENS1_25partition_config_selectorILNS1_17partition_subalgoE2EjNS0_10empty_typeEbEEZZNS1_14partition_implILS5_2ELb0ES3_jN6thrust23THRUST_200600_302600_NS6detail15normal_iteratorINSA_7pointerIjNSA_11hip_rocprim3tagENSA_11use_defaultESG_EEEEPS6_NSA_18transform_iteratorI7is_evenIjENSC_INSA_10device_ptrIjEEEESG_SG_EENS0_5tupleIJPjSJ_EEENSR_IJSJ_SJ_EEES6_PlJS6_EEE10hipError_tPvRmT3_T4_T5_T6_T7_T9_mT8_P12ihipStream_tbDpT10_ENKUlT_T0_E_clISt17integral_constantIbLb1EES1F_EEDaS1A_S1B_EUlS1A_E_NS1_11comp_targetILNS1_3genE9ELNS1_11target_archE1100ELNS1_3gpuE3ELNS1_3repE0EEENS1_30default_config_static_selectorELNS0_4arch9wavefront6targetE1EEEvT1_,comdat
	.protected	_ZN7rocprim17ROCPRIM_400000_NS6detail17trampoline_kernelINS0_14default_configENS1_25partition_config_selectorILNS1_17partition_subalgoE2EjNS0_10empty_typeEbEEZZNS1_14partition_implILS5_2ELb0ES3_jN6thrust23THRUST_200600_302600_NS6detail15normal_iteratorINSA_7pointerIjNSA_11hip_rocprim3tagENSA_11use_defaultESG_EEEEPS6_NSA_18transform_iteratorI7is_evenIjENSC_INSA_10device_ptrIjEEEESG_SG_EENS0_5tupleIJPjSJ_EEENSR_IJSJ_SJ_EEES6_PlJS6_EEE10hipError_tPvRmT3_T4_T5_T6_T7_T9_mT8_P12ihipStream_tbDpT10_ENKUlT_T0_E_clISt17integral_constantIbLb1EES1F_EEDaS1A_S1B_EUlS1A_E_NS1_11comp_targetILNS1_3genE9ELNS1_11target_archE1100ELNS1_3gpuE3ELNS1_3repE0EEENS1_30default_config_static_selectorELNS0_4arch9wavefront6targetE1EEEvT1_ ; -- Begin function _ZN7rocprim17ROCPRIM_400000_NS6detail17trampoline_kernelINS0_14default_configENS1_25partition_config_selectorILNS1_17partition_subalgoE2EjNS0_10empty_typeEbEEZZNS1_14partition_implILS5_2ELb0ES3_jN6thrust23THRUST_200600_302600_NS6detail15normal_iteratorINSA_7pointerIjNSA_11hip_rocprim3tagENSA_11use_defaultESG_EEEEPS6_NSA_18transform_iteratorI7is_evenIjENSC_INSA_10device_ptrIjEEEESG_SG_EENS0_5tupleIJPjSJ_EEENSR_IJSJ_SJ_EEES6_PlJS6_EEE10hipError_tPvRmT3_T4_T5_T6_T7_T9_mT8_P12ihipStream_tbDpT10_ENKUlT_T0_E_clISt17integral_constantIbLb1EES1F_EEDaS1A_S1B_EUlS1A_E_NS1_11comp_targetILNS1_3genE9ELNS1_11target_archE1100ELNS1_3gpuE3ELNS1_3repE0EEENS1_30default_config_static_selectorELNS0_4arch9wavefront6targetE1EEEvT1_
	.globl	_ZN7rocprim17ROCPRIM_400000_NS6detail17trampoline_kernelINS0_14default_configENS1_25partition_config_selectorILNS1_17partition_subalgoE2EjNS0_10empty_typeEbEEZZNS1_14partition_implILS5_2ELb0ES3_jN6thrust23THRUST_200600_302600_NS6detail15normal_iteratorINSA_7pointerIjNSA_11hip_rocprim3tagENSA_11use_defaultESG_EEEEPS6_NSA_18transform_iteratorI7is_evenIjENSC_INSA_10device_ptrIjEEEESG_SG_EENS0_5tupleIJPjSJ_EEENSR_IJSJ_SJ_EEES6_PlJS6_EEE10hipError_tPvRmT3_T4_T5_T6_T7_T9_mT8_P12ihipStream_tbDpT10_ENKUlT_T0_E_clISt17integral_constantIbLb1EES1F_EEDaS1A_S1B_EUlS1A_E_NS1_11comp_targetILNS1_3genE9ELNS1_11target_archE1100ELNS1_3gpuE3ELNS1_3repE0EEENS1_30default_config_static_selectorELNS0_4arch9wavefront6targetE1EEEvT1_
	.p2align	8
	.type	_ZN7rocprim17ROCPRIM_400000_NS6detail17trampoline_kernelINS0_14default_configENS1_25partition_config_selectorILNS1_17partition_subalgoE2EjNS0_10empty_typeEbEEZZNS1_14partition_implILS5_2ELb0ES3_jN6thrust23THRUST_200600_302600_NS6detail15normal_iteratorINSA_7pointerIjNSA_11hip_rocprim3tagENSA_11use_defaultESG_EEEEPS6_NSA_18transform_iteratorI7is_evenIjENSC_INSA_10device_ptrIjEEEESG_SG_EENS0_5tupleIJPjSJ_EEENSR_IJSJ_SJ_EEES6_PlJS6_EEE10hipError_tPvRmT3_T4_T5_T6_T7_T9_mT8_P12ihipStream_tbDpT10_ENKUlT_T0_E_clISt17integral_constantIbLb1EES1F_EEDaS1A_S1B_EUlS1A_E_NS1_11comp_targetILNS1_3genE9ELNS1_11target_archE1100ELNS1_3gpuE3ELNS1_3repE0EEENS1_30default_config_static_selectorELNS0_4arch9wavefront6targetE1EEEvT1_,@function
_ZN7rocprim17ROCPRIM_400000_NS6detail17trampoline_kernelINS0_14default_configENS1_25partition_config_selectorILNS1_17partition_subalgoE2EjNS0_10empty_typeEbEEZZNS1_14partition_implILS5_2ELb0ES3_jN6thrust23THRUST_200600_302600_NS6detail15normal_iteratorINSA_7pointerIjNSA_11hip_rocprim3tagENSA_11use_defaultESG_EEEEPS6_NSA_18transform_iteratorI7is_evenIjENSC_INSA_10device_ptrIjEEEESG_SG_EENS0_5tupleIJPjSJ_EEENSR_IJSJ_SJ_EEES6_PlJS6_EEE10hipError_tPvRmT3_T4_T5_T6_T7_T9_mT8_P12ihipStream_tbDpT10_ENKUlT_T0_E_clISt17integral_constantIbLb1EES1F_EEDaS1A_S1B_EUlS1A_E_NS1_11comp_targetILNS1_3genE9ELNS1_11target_archE1100ELNS1_3gpuE3ELNS1_3repE0EEENS1_30default_config_static_selectorELNS0_4arch9wavefront6targetE1EEEvT1_: ; @_ZN7rocprim17ROCPRIM_400000_NS6detail17trampoline_kernelINS0_14default_configENS1_25partition_config_selectorILNS1_17partition_subalgoE2EjNS0_10empty_typeEbEEZZNS1_14partition_implILS5_2ELb0ES3_jN6thrust23THRUST_200600_302600_NS6detail15normal_iteratorINSA_7pointerIjNSA_11hip_rocprim3tagENSA_11use_defaultESG_EEEEPS6_NSA_18transform_iteratorI7is_evenIjENSC_INSA_10device_ptrIjEEEESG_SG_EENS0_5tupleIJPjSJ_EEENSR_IJSJ_SJ_EEES6_PlJS6_EEE10hipError_tPvRmT3_T4_T5_T6_T7_T9_mT8_P12ihipStream_tbDpT10_ENKUlT_T0_E_clISt17integral_constantIbLb1EES1F_EEDaS1A_S1B_EUlS1A_E_NS1_11comp_targetILNS1_3genE9ELNS1_11target_archE1100ELNS1_3gpuE3ELNS1_3repE0EEENS1_30default_config_static_selectorELNS0_4arch9wavefront6targetE1EEEvT1_
; %bb.0:
	.section	.rodata,"a",@progbits
	.p2align	6, 0x0
	.amdhsa_kernel _ZN7rocprim17ROCPRIM_400000_NS6detail17trampoline_kernelINS0_14default_configENS1_25partition_config_selectorILNS1_17partition_subalgoE2EjNS0_10empty_typeEbEEZZNS1_14partition_implILS5_2ELb0ES3_jN6thrust23THRUST_200600_302600_NS6detail15normal_iteratorINSA_7pointerIjNSA_11hip_rocprim3tagENSA_11use_defaultESG_EEEEPS6_NSA_18transform_iteratorI7is_evenIjENSC_INSA_10device_ptrIjEEEESG_SG_EENS0_5tupleIJPjSJ_EEENSR_IJSJ_SJ_EEES6_PlJS6_EEE10hipError_tPvRmT3_T4_T5_T6_T7_T9_mT8_P12ihipStream_tbDpT10_ENKUlT_T0_E_clISt17integral_constantIbLb1EES1F_EEDaS1A_S1B_EUlS1A_E_NS1_11comp_targetILNS1_3genE9ELNS1_11target_archE1100ELNS1_3gpuE3ELNS1_3repE0EEENS1_30default_config_static_selectorELNS0_4arch9wavefront6targetE1EEEvT1_
		.amdhsa_group_segment_fixed_size 0
		.amdhsa_private_segment_fixed_size 0
		.amdhsa_kernarg_size 144
		.amdhsa_user_sgpr_count 2
		.amdhsa_user_sgpr_dispatch_ptr 0
		.amdhsa_user_sgpr_queue_ptr 0
		.amdhsa_user_sgpr_kernarg_segment_ptr 1
		.amdhsa_user_sgpr_dispatch_id 0
		.amdhsa_user_sgpr_kernarg_preload_length 0
		.amdhsa_user_sgpr_kernarg_preload_offset 0
		.amdhsa_user_sgpr_private_segment_size 0
		.amdhsa_uses_dynamic_stack 0
		.amdhsa_enable_private_segment 0
		.amdhsa_system_sgpr_workgroup_id_x 1
		.amdhsa_system_sgpr_workgroup_id_y 0
		.amdhsa_system_sgpr_workgroup_id_z 0
		.amdhsa_system_sgpr_workgroup_info 0
		.amdhsa_system_vgpr_workitem_id 0
		.amdhsa_next_free_vgpr 1
		.amdhsa_next_free_sgpr 0
		.amdhsa_accum_offset 4
		.amdhsa_reserve_vcc 0
		.amdhsa_float_round_mode_32 0
		.amdhsa_float_round_mode_16_64 0
		.amdhsa_float_denorm_mode_32 3
		.amdhsa_float_denorm_mode_16_64 3
		.amdhsa_dx10_clamp 1
		.amdhsa_ieee_mode 1
		.amdhsa_fp16_overflow 0
		.amdhsa_tg_split 0
		.amdhsa_exception_fp_ieee_invalid_op 0
		.amdhsa_exception_fp_denorm_src 0
		.amdhsa_exception_fp_ieee_div_zero 0
		.amdhsa_exception_fp_ieee_overflow 0
		.amdhsa_exception_fp_ieee_underflow 0
		.amdhsa_exception_fp_ieee_inexact 0
		.amdhsa_exception_int_div_zero 0
	.end_amdhsa_kernel
	.section	.text._ZN7rocprim17ROCPRIM_400000_NS6detail17trampoline_kernelINS0_14default_configENS1_25partition_config_selectorILNS1_17partition_subalgoE2EjNS0_10empty_typeEbEEZZNS1_14partition_implILS5_2ELb0ES3_jN6thrust23THRUST_200600_302600_NS6detail15normal_iteratorINSA_7pointerIjNSA_11hip_rocprim3tagENSA_11use_defaultESG_EEEEPS6_NSA_18transform_iteratorI7is_evenIjENSC_INSA_10device_ptrIjEEEESG_SG_EENS0_5tupleIJPjSJ_EEENSR_IJSJ_SJ_EEES6_PlJS6_EEE10hipError_tPvRmT3_T4_T5_T6_T7_T9_mT8_P12ihipStream_tbDpT10_ENKUlT_T0_E_clISt17integral_constantIbLb1EES1F_EEDaS1A_S1B_EUlS1A_E_NS1_11comp_targetILNS1_3genE9ELNS1_11target_archE1100ELNS1_3gpuE3ELNS1_3repE0EEENS1_30default_config_static_selectorELNS0_4arch9wavefront6targetE1EEEvT1_,"axG",@progbits,_ZN7rocprim17ROCPRIM_400000_NS6detail17trampoline_kernelINS0_14default_configENS1_25partition_config_selectorILNS1_17partition_subalgoE2EjNS0_10empty_typeEbEEZZNS1_14partition_implILS5_2ELb0ES3_jN6thrust23THRUST_200600_302600_NS6detail15normal_iteratorINSA_7pointerIjNSA_11hip_rocprim3tagENSA_11use_defaultESG_EEEEPS6_NSA_18transform_iteratorI7is_evenIjENSC_INSA_10device_ptrIjEEEESG_SG_EENS0_5tupleIJPjSJ_EEENSR_IJSJ_SJ_EEES6_PlJS6_EEE10hipError_tPvRmT3_T4_T5_T6_T7_T9_mT8_P12ihipStream_tbDpT10_ENKUlT_T0_E_clISt17integral_constantIbLb1EES1F_EEDaS1A_S1B_EUlS1A_E_NS1_11comp_targetILNS1_3genE9ELNS1_11target_archE1100ELNS1_3gpuE3ELNS1_3repE0EEENS1_30default_config_static_selectorELNS0_4arch9wavefront6targetE1EEEvT1_,comdat
.Lfunc_end2051:
	.size	_ZN7rocprim17ROCPRIM_400000_NS6detail17trampoline_kernelINS0_14default_configENS1_25partition_config_selectorILNS1_17partition_subalgoE2EjNS0_10empty_typeEbEEZZNS1_14partition_implILS5_2ELb0ES3_jN6thrust23THRUST_200600_302600_NS6detail15normal_iteratorINSA_7pointerIjNSA_11hip_rocprim3tagENSA_11use_defaultESG_EEEEPS6_NSA_18transform_iteratorI7is_evenIjENSC_INSA_10device_ptrIjEEEESG_SG_EENS0_5tupleIJPjSJ_EEENSR_IJSJ_SJ_EEES6_PlJS6_EEE10hipError_tPvRmT3_T4_T5_T6_T7_T9_mT8_P12ihipStream_tbDpT10_ENKUlT_T0_E_clISt17integral_constantIbLb1EES1F_EEDaS1A_S1B_EUlS1A_E_NS1_11comp_targetILNS1_3genE9ELNS1_11target_archE1100ELNS1_3gpuE3ELNS1_3repE0EEENS1_30default_config_static_selectorELNS0_4arch9wavefront6targetE1EEEvT1_, .Lfunc_end2051-_ZN7rocprim17ROCPRIM_400000_NS6detail17trampoline_kernelINS0_14default_configENS1_25partition_config_selectorILNS1_17partition_subalgoE2EjNS0_10empty_typeEbEEZZNS1_14partition_implILS5_2ELb0ES3_jN6thrust23THRUST_200600_302600_NS6detail15normal_iteratorINSA_7pointerIjNSA_11hip_rocprim3tagENSA_11use_defaultESG_EEEEPS6_NSA_18transform_iteratorI7is_evenIjENSC_INSA_10device_ptrIjEEEESG_SG_EENS0_5tupleIJPjSJ_EEENSR_IJSJ_SJ_EEES6_PlJS6_EEE10hipError_tPvRmT3_T4_T5_T6_T7_T9_mT8_P12ihipStream_tbDpT10_ENKUlT_T0_E_clISt17integral_constantIbLb1EES1F_EEDaS1A_S1B_EUlS1A_E_NS1_11comp_targetILNS1_3genE9ELNS1_11target_archE1100ELNS1_3gpuE3ELNS1_3repE0EEENS1_30default_config_static_selectorELNS0_4arch9wavefront6targetE1EEEvT1_
                                        ; -- End function
	.section	.AMDGPU.csdata,"",@progbits
; Kernel info:
; codeLenInByte = 0
; NumSgprs: 6
; NumVgprs: 0
; NumAgprs: 0
; TotalNumVgprs: 0
; ScratchSize: 0
; MemoryBound: 0
; FloatMode: 240
; IeeeMode: 1
; LDSByteSize: 0 bytes/workgroup (compile time only)
; SGPRBlocks: 0
; VGPRBlocks: 0
; NumSGPRsForWavesPerEU: 6
; NumVGPRsForWavesPerEU: 1
; AccumOffset: 4
; Occupancy: 8
; WaveLimiterHint : 0
; COMPUTE_PGM_RSRC2:SCRATCH_EN: 0
; COMPUTE_PGM_RSRC2:USER_SGPR: 2
; COMPUTE_PGM_RSRC2:TRAP_HANDLER: 0
; COMPUTE_PGM_RSRC2:TGID_X_EN: 1
; COMPUTE_PGM_RSRC2:TGID_Y_EN: 0
; COMPUTE_PGM_RSRC2:TGID_Z_EN: 0
; COMPUTE_PGM_RSRC2:TIDIG_COMP_CNT: 0
; COMPUTE_PGM_RSRC3_GFX90A:ACCUM_OFFSET: 0
; COMPUTE_PGM_RSRC3_GFX90A:TG_SPLIT: 0
	.section	.text._ZN7rocprim17ROCPRIM_400000_NS6detail17trampoline_kernelINS0_14default_configENS1_25partition_config_selectorILNS1_17partition_subalgoE2EjNS0_10empty_typeEbEEZZNS1_14partition_implILS5_2ELb0ES3_jN6thrust23THRUST_200600_302600_NS6detail15normal_iteratorINSA_7pointerIjNSA_11hip_rocprim3tagENSA_11use_defaultESG_EEEEPS6_NSA_18transform_iteratorI7is_evenIjENSC_INSA_10device_ptrIjEEEESG_SG_EENS0_5tupleIJPjSJ_EEENSR_IJSJ_SJ_EEES6_PlJS6_EEE10hipError_tPvRmT3_T4_T5_T6_T7_T9_mT8_P12ihipStream_tbDpT10_ENKUlT_T0_E_clISt17integral_constantIbLb1EES1F_EEDaS1A_S1B_EUlS1A_E_NS1_11comp_targetILNS1_3genE8ELNS1_11target_archE1030ELNS1_3gpuE2ELNS1_3repE0EEENS1_30default_config_static_selectorELNS0_4arch9wavefront6targetE1EEEvT1_,"axG",@progbits,_ZN7rocprim17ROCPRIM_400000_NS6detail17trampoline_kernelINS0_14default_configENS1_25partition_config_selectorILNS1_17partition_subalgoE2EjNS0_10empty_typeEbEEZZNS1_14partition_implILS5_2ELb0ES3_jN6thrust23THRUST_200600_302600_NS6detail15normal_iteratorINSA_7pointerIjNSA_11hip_rocprim3tagENSA_11use_defaultESG_EEEEPS6_NSA_18transform_iteratorI7is_evenIjENSC_INSA_10device_ptrIjEEEESG_SG_EENS0_5tupleIJPjSJ_EEENSR_IJSJ_SJ_EEES6_PlJS6_EEE10hipError_tPvRmT3_T4_T5_T6_T7_T9_mT8_P12ihipStream_tbDpT10_ENKUlT_T0_E_clISt17integral_constantIbLb1EES1F_EEDaS1A_S1B_EUlS1A_E_NS1_11comp_targetILNS1_3genE8ELNS1_11target_archE1030ELNS1_3gpuE2ELNS1_3repE0EEENS1_30default_config_static_selectorELNS0_4arch9wavefront6targetE1EEEvT1_,comdat
	.protected	_ZN7rocprim17ROCPRIM_400000_NS6detail17trampoline_kernelINS0_14default_configENS1_25partition_config_selectorILNS1_17partition_subalgoE2EjNS0_10empty_typeEbEEZZNS1_14partition_implILS5_2ELb0ES3_jN6thrust23THRUST_200600_302600_NS6detail15normal_iteratorINSA_7pointerIjNSA_11hip_rocprim3tagENSA_11use_defaultESG_EEEEPS6_NSA_18transform_iteratorI7is_evenIjENSC_INSA_10device_ptrIjEEEESG_SG_EENS0_5tupleIJPjSJ_EEENSR_IJSJ_SJ_EEES6_PlJS6_EEE10hipError_tPvRmT3_T4_T5_T6_T7_T9_mT8_P12ihipStream_tbDpT10_ENKUlT_T0_E_clISt17integral_constantIbLb1EES1F_EEDaS1A_S1B_EUlS1A_E_NS1_11comp_targetILNS1_3genE8ELNS1_11target_archE1030ELNS1_3gpuE2ELNS1_3repE0EEENS1_30default_config_static_selectorELNS0_4arch9wavefront6targetE1EEEvT1_ ; -- Begin function _ZN7rocprim17ROCPRIM_400000_NS6detail17trampoline_kernelINS0_14default_configENS1_25partition_config_selectorILNS1_17partition_subalgoE2EjNS0_10empty_typeEbEEZZNS1_14partition_implILS5_2ELb0ES3_jN6thrust23THRUST_200600_302600_NS6detail15normal_iteratorINSA_7pointerIjNSA_11hip_rocprim3tagENSA_11use_defaultESG_EEEEPS6_NSA_18transform_iteratorI7is_evenIjENSC_INSA_10device_ptrIjEEEESG_SG_EENS0_5tupleIJPjSJ_EEENSR_IJSJ_SJ_EEES6_PlJS6_EEE10hipError_tPvRmT3_T4_T5_T6_T7_T9_mT8_P12ihipStream_tbDpT10_ENKUlT_T0_E_clISt17integral_constantIbLb1EES1F_EEDaS1A_S1B_EUlS1A_E_NS1_11comp_targetILNS1_3genE8ELNS1_11target_archE1030ELNS1_3gpuE2ELNS1_3repE0EEENS1_30default_config_static_selectorELNS0_4arch9wavefront6targetE1EEEvT1_
	.globl	_ZN7rocprim17ROCPRIM_400000_NS6detail17trampoline_kernelINS0_14default_configENS1_25partition_config_selectorILNS1_17partition_subalgoE2EjNS0_10empty_typeEbEEZZNS1_14partition_implILS5_2ELb0ES3_jN6thrust23THRUST_200600_302600_NS6detail15normal_iteratorINSA_7pointerIjNSA_11hip_rocprim3tagENSA_11use_defaultESG_EEEEPS6_NSA_18transform_iteratorI7is_evenIjENSC_INSA_10device_ptrIjEEEESG_SG_EENS0_5tupleIJPjSJ_EEENSR_IJSJ_SJ_EEES6_PlJS6_EEE10hipError_tPvRmT3_T4_T5_T6_T7_T9_mT8_P12ihipStream_tbDpT10_ENKUlT_T0_E_clISt17integral_constantIbLb1EES1F_EEDaS1A_S1B_EUlS1A_E_NS1_11comp_targetILNS1_3genE8ELNS1_11target_archE1030ELNS1_3gpuE2ELNS1_3repE0EEENS1_30default_config_static_selectorELNS0_4arch9wavefront6targetE1EEEvT1_
	.p2align	8
	.type	_ZN7rocprim17ROCPRIM_400000_NS6detail17trampoline_kernelINS0_14default_configENS1_25partition_config_selectorILNS1_17partition_subalgoE2EjNS0_10empty_typeEbEEZZNS1_14partition_implILS5_2ELb0ES3_jN6thrust23THRUST_200600_302600_NS6detail15normal_iteratorINSA_7pointerIjNSA_11hip_rocprim3tagENSA_11use_defaultESG_EEEEPS6_NSA_18transform_iteratorI7is_evenIjENSC_INSA_10device_ptrIjEEEESG_SG_EENS0_5tupleIJPjSJ_EEENSR_IJSJ_SJ_EEES6_PlJS6_EEE10hipError_tPvRmT3_T4_T5_T6_T7_T9_mT8_P12ihipStream_tbDpT10_ENKUlT_T0_E_clISt17integral_constantIbLb1EES1F_EEDaS1A_S1B_EUlS1A_E_NS1_11comp_targetILNS1_3genE8ELNS1_11target_archE1030ELNS1_3gpuE2ELNS1_3repE0EEENS1_30default_config_static_selectorELNS0_4arch9wavefront6targetE1EEEvT1_,@function
_ZN7rocprim17ROCPRIM_400000_NS6detail17trampoline_kernelINS0_14default_configENS1_25partition_config_selectorILNS1_17partition_subalgoE2EjNS0_10empty_typeEbEEZZNS1_14partition_implILS5_2ELb0ES3_jN6thrust23THRUST_200600_302600_NS6detail15normal_iteratorINSA_7pointerIjNSA_11hip_rocprim3tagENSA_11use_defaultESG_EEEEPS6_NSA_18transform_iteratorI7is_evenIjENSC_INSA_10device_ptrIjEEEESG_SG_EENS0_5tupleIJPjSJ_EEENSR_IJSJ_SJ_EEES6_PlJS6_EEE10hipError_tPvRmT3_T4_T5_T6_T7_T9_mT8_P12ihipStream_tbDpT10_ENKUlT_T0_E_clISt17integral_constantIbLb1EES1F_EEDaS1A_S1B_EUlS1A_E_NS1_11comp_targetILNS1_3genE8ELNS1_11target_archE1030ELNS1_3gpuE2ELNS1_3repE0EEENS1_30default_config_static_selectorELNS0_4arch9wavefront6targetE1EEEvT1_: ; @_ZN7rocprim17ROCPRIM_400000_NS6detail17trampoline_kernelINS0_14default_configENS1_25partition_config_selectorILNS1_17partition_subalgoE2EjNS0_10empty_typeEbEEZZNS1_14partition_implILS5_2ELb0ES3_jN6thrust23THRUST_200600_302600_NS6detail15normal_iteratorINSA_7pointerIjNSA_11hip_rocprim3tagENSA_11use_defaultESG_EEEEPS6_NSA_18transform_iteratorI7is_evenIjENSC_INSA_10device_ptrIjEEEESG_SG_EENS0_5tupleIJPjSJ_EEENSR_IJSJ_SJ_EEES6_PlJS6_EEE10hipError_tPvRmT3_T4_T5_T6_T7_T9_mT8_P12ihipStream_tbDpT10_ENKUlT_T0_E_clISt17integral_constantIbLb1EES1F_EEDaS1A_S1B_EUlS1A_E_NS1_11comp_targetILNS1_3genE8ELNS1_11target_archE1030ELNS1_3gpuE2ELNS1_3repE0EEENS1_30default_config_static_selectorELNS0_4arch9wavefront6targetE1EEEvT1_
; %bb.0:
	.section	.rodata,"a",@progbits
	.p2align	6, 0x0
	.amdhsa_kernel _ZN7rocprim17ROCPRIM_400000_NS6detail17trampoline_kernelINS0_14default_configENS1_25partition_config_selectorILNS1_17partition_subalgoE2EjNS0_10empty_typeEbEEZZNS1_14partition_implILS5_2ELb0ES3_jN6thrust23THRUST_200600_302600_NS6detail15normal_iteratorINSA_7pointerIjNSA_11hip_rocprim3tagENSA_11use_defaultESG_EEEEPS6_NSA_18transform_iteratorI7is_evenIjENSC_INSA_10device_ptrIjEEEESG_SG_EENS0_5tupleIJPjSJ_EEENSR_IJSJ_SJ_EEES6_PlJS6_EEE10hipError_tPvRmT3_T4_T5_T6_T7_T9_mT8_P12ihipStream_tbDpT10_ENKUlT_T0_E_clISt17integral_constantIbLb1EES1F_EEDaS1A_S1B_EUlS1A_E_NS1_11comp_targetILNS1_3genE8ELNS1_11target_archE1030ELNS1_3gpuE2ELNS1_3repE0EEENS1_30default_config_static_selectorELNS0_4arch9wavefront6targetE1EEEvT1_
		.amdhsa_group_segment_fixed_size 0
		.amdhsa_private_segment_fixed_size 0
		.amdhsa_kernarg_size 144
		.amdhsa_user_sgpr_count 2
		.amdhsa_user_sgpr_dispatch_ptr 0
		.amdhsa_user_sgpr_queue_ptr 0
		.amdhsa_user_sgpr_kernarg_segment_ptr 1
		.amdhsa_user_sgpr_dispatch_id 0
		.amdhsa_user_sgpr_kernarg_preload_length 0
		.amdhsa_user_sgpr_kernarg_preload_offset 0
		.amdhsa_user_sgpr_private_segment_size 0
		.amdhsa_uses_dynamic_stack 0
		.amdhsa_enable_private_segment 0
		.amdhsa_system_sgpr_workgroup_id_x 1
		.amdhsa_system_sgpr_workgroup_id_y 0
		.amdhsa_system_sgpr_workgroup_id_z 0
		.amdhsa_system_sgpr_workgroup_info 0
		.amdhsa_system_vgpr_workitem_id 0
		.amdhsa_next_free_vgpr 1
		.amdhsa_next_free_sgpr 0
		.amdhsa_accum_offset 4
		.amdhsa_reserve_vcc 0
		.amdhsa_float_round_mode_32 0
		.amdhsa_float_round_mode_16_64 0
		.amdhsa_float_denorm_mode_32 3
		.amdhsa_float_denorm_mode_16_64 3
		.amdhsa_dx10_clamp 1
		.amdhsa_ieee_mode 1
		.amdhsa_fp16_overflow 0
		.amdhsa_tg_split 0
		.amdhsa_exception_fp_ieee_invalid_op 0
		.amdhsa_exception_fp_denorm_src 0
		.amdhsa_exception_fp_ieee_div_zero 0
		.amdhsa_exception_fp_ieee_overflow 0
		.amdhsa_exception_fp_ieee_underflow 0
		.amdhsa_exception_fp_ieee_inexact 0
		.amdhsa_exception_int_div_zero 0
	.end_amdhsa_kernel
	.section	.text._ZN7rocprim17ROCPRIM_400000_NS6detail17trampoline_kernelINS0_14default_configENS1_25partition_config_selectorILNS1_17partition_subalgoE2EjNS0_10empty_typeEbEEZZNS1_14partition_implILS5_2ELb0ES3_jN6thrust23THRUST_200600_302600_NS6detail15normal_iteratorINSA_7pointerIjNSA_11hip_rocprim3tagENSA_11use_defaultESG_EEEEPS6_NSA_18transform_iteratorI7is_evenIjENSC_INSA_10device_ptrIjEEEESG_SG_EENS0_5tupleIJPjSJ_EEENSR_IJSJ_SJ_EEES6_PlJS6_EEE10hipError_tPvRmT3_T4_T5_T6_T7_T9_mT8_P12ihipStream_tbDpT10_ENKUlT_T0_E_clISt17integral_constantIbLb1EES1F_EEDaS1A_S1B_EUlS1A_E_NS1_11comp_targetILNS1_3genE8ELNS1_11target_archE1030ELNS1_3gpuE2ELNS1_3repE0EEENS1_30default_config_static_selectorELNS0_4arch9wavefront6targetE1EEEvT1_,"axG",@progbits,_ZN7rocprim17ROCPRIM_400000_NS6detail17trampoline_kernelINS0_14default_configENS1_25partition_config_selectorILNS1_17partition_subalgoE2EjNS0_10empty_typeEbEEZZNS1_14partition_implILS5_2ELb0ES3_jN6thrust23THRUST_200600_302600_NS6detail15normal_iteratorINSA_7pointerIjNSA_11hip_rocprim3tagENSA_11use_defaultESG_EEEEPS6_NSA_18transform_iteratorI7is_evenIjENSC_INSA_10device_ptrIjEEEESG_SG_EENS0_5tupleIJPjSJ_EEENSR_IJSJ_SJ_EEES6_PlJS6_EEE10hipError_tPvRmT3_T4_T5_T6_T7_T9_mT8_P12ihipStream_tbDpT10_ENKUlT_T0_E_clISt17integral_constantIbLb1EES1F_EEDaS1A_S1B_EUlS1A_E_NS1_11comp_targetILNS1_3genE8ELNS1_11target_archE1030ELNS1_3gpuE2ELNS1_3repE0EEENS1_30default_config_static_selectorELNS0_4arch9wavefront6targetE1EEEvT1_,comdat
.Lfunc_end2052:
	.size	_ZN7rocprim17ROCPRIM_400000_NS6detail17trampoline_kernelINS0_14default_configENS1_25partition_config_selectorILNS1_17partition_subalgoE2EjNS0_10empty_typeEbEEZZNS1_14partition_implILS5_2ELb0ES3_jN6thrust23THRUST_200600_302600_NS6detail15normal_iteratorINSA_7pointerIjNSA_11hip_rocprim3tagENSA_11use_defaultESG_EEEEPS6_NSA_18transform_iteratorI7is_evenIjENSC_INSA_10device_ptrIjEEEESG_SG_EENS0_5tupleIJPjSJ_EEENSR_IJSJ_SJ_EEES6_PlJS6_EEE10hipError_tPvRmT3_T4_T5_T6_T7_T9_mT8_P12ihipStream_tbDpT10_ENKUlT_T0_E_clISt17integral_constantIbLb1EES1F_EEDaS1A_S1B_EUlS1A_E_NS1_11comp_targetILNS1_3genE8ELNS1_11target_archE1030ELNS1_3gpuE2ELNS1_3repE0EEENS1_30default_config_static_selectorELNS0_4arch9wavefront6targetE1EEEvT1_, .Lfunc_end2052-_ZN7rocprim17ROCPRIM_400000_NS6detail17trampoline_kernelINS0_14default_configENS1_25partition_config_selectorILNS1_17partition_subalgoE2EjNS0_10empty_typeEbEEZZNS1_14partition_implILS5_2ELb0ES3_jN6thrust23THRUST_200600_302600_NS6detail15normal_iteratorINSA_7pointerIjNSA_11hip_rocprim3tagENSA_11use_defaultESG_EEEEPS6_NSA_18transform_iteratorI7is_evenIjENSC_INSA_10device_ptrIjEEEESG_SG_EENS0_5tupleIJPjSJ_EEENSR_IJSJ_SJ_EEES6_PlJS6_EEE10hipError_tPvRmT3_T4_T5_T6_T7_T9_mT8_P12ihipStream_tbDpT10_ENKUlT_T0_E_clISt17integral_constantIbLb1EES1F_EEDaS1A_S1B_EUlS1A_E_NS1_11comp_targetILNS1_3genE8ELNS1_11target_archE1030ELNS1_3gpuE2ELNS1_3repE0EEENS1_30default_config_static_selectorELNS0_4arch9wavefront6targetE1EEEvT1_
                                        ; -- End function
	.section	.AMDGPU.csdata,"",@progbits
; Kernel info:
; codeLenInByte = 0
; NumSgprs: 6
; NumVgprs: 0
; NumAgprs: 0
; TotalNumVgprs: 0
; ScratchSize: 0
; MemoryBound: 0
; FloatMode: 240
; IeeeMode: 1
; LDSByteSize: 0 bytes/workgroup (compile time only)
; SGPRBlocks: 0
; VGPRBlocks: 0
; NumSGPRsForWavesPerEU: 6
; NumVGPRsForWavesPerEU: 1
; AccumOffset: 4
; Occupancy: 8
; WaveLimiterHint : 0
; COMPUTE_PGM_RSRC2:SCRATCH_EN: 0
; COMPUTE_PGM_RSRC2:USER_SGPR: 2
; COMPUTE_PGM_RSRC2:TRAP_HANDLER: 0
; COMPUTE_PGM_RSRC2:TGID_X_EN: 1
; COMPUTE_PGM_RSRC2:TGID_Y_EN: 0
; COMPUTE_PGM_RSRC2:TGID_Z_EN: 0
; COMPUTE_PGM_RSRC2:TIDIG_COMP_CNT: 0
; COMPUTE_PGM_RSRC3_GFX90A:ACCUM_OFFSET: 0
; COMPUTE_PGM_RSRC3_GFX90A:TG_SPLIT: 0
	.section	.text._ZN7rocprim17ROCPRIM_400000_NS6detail17trampoline_kernelINS0_14default_configENS1_25partition_config_selectorILNS1_17partition_subalgoE2EjNS0_10empty_typeEbEEZZNS1_14partition_implILS5_2ELb0ES3_jN6thrust23THRUST_200600_302600_NS6detail15normal_iteratorINSA_7pointerIjNSA_11hip_rocprim3tagENSA_11use_defaultESG_EEEEPS6_NSA_18transform_iteratorI7is_evenIjENSC_INSA_10device_ptrIjEEEESG_SG_EENS0_5tupleIJPjSJ_EEENSR_IJSJ_SJ_EEES6_PlJS6_EEE10hipError_tPvRmT3_T4_T5_T6_T7_T9_mT8_P12ihipStream_tbDpT10_ENKUlT_T0_E_clISt17integral_constantIbLb1EES1E_IbLb0EEEEDaS1A_S1B_EUlS1A_E_NS1_11comp_targetILNS1_3genE0ELNS1_11target_archE4294967295ELNS1_3gpuE0ELNS1_3repE0EEENS1_30default_config_static_selectorELNS0_4arch9wavefront6targetE1EEEvT1_,"axG",@progbits,_ZN7rocprim17ROCPRIM_400000_NS6detail17trampoline_kernelINS0_14default_configENS1_25partition_config_selectorILNS1_17partition_subalgoE2EjNS0_10empty_typeEbEEZZNS1_14partition_implILS5_2ELb0ES3_jN6thrust23THRUST_200600_302600_NS6detail15normal_iteratorINSA_7pointerIjNSA_11hip_rocprim3tagENSA_11use_defaultESG_EEEEPS6_NSA_18transform_iteratorI7is_evenIjENSC_INSA_10device_ptrIjEEEESG_SG_EENS0_5tupleIJPjSJ_EEENSR_IJSJ_SJ_EEES6_PlJS6_EEE10hipError_tPvRmT3_T4_T5_T6_T7_T9_mT8_P12ihipStream_tbDpT10_ENKUlT_T0_E_clISt17integral_constantIbLb1EES1E_IbLb0EEEEDaS1A_S1B_EUlS1A_E_NS1_11comp_targetILNS1_3genE0ELNS1_11target_archE4294967295ELNS1_3gpuE0ELNS1_3repE0EEENS1_30default_config_static_selectorELNS0_4arch9wavefront6targetE1EEEvT1_,comdat
	.protected	_ZN7rocprim17ROCPRIM_400000_NS6detail17trampoline_kernelINS0_14default_configENS1_25partition_config_selectorILNS1_17partition_subalgoE2EjNS0_10empty_typeEbEEZZNS1_14partition_implILS5_2ELb0ES3_jN6thrust23THRUST_200600_302600_NS6detail15normal_iteratorINSA_7pointerIjNSA_11hip_rocprim3tagENSA_11use_defaultESG_EEEEPS6_NSA_18transform_iteratorI7is_evenIjENSC_INSA_10device_ptrIjEEEESG_SG_EENS0_5tupleIJPjSJ_EEENSR_IJSJ_SJ_EEES6_PlJS6_EEE10hipError_tPvRmT3_T4_T5_T6_T7_T9_mT8_P12ihipStream_tbDpT10_ENKUlT_T0_E_clISt17integral_constantIbLb1EES1E_IbLb0EEEEDaS1A_S1B_EUlS1A_E_NS1_11comp_targetILNS1_3genE0ELNS1_11target_archE4294967295ELNS1_3gpuE0ELNS1_3repE0EEENS1_30default_config_static_selectorELNS0_4arch9wavefront6targetE1EEEvT1_ ; -- Begin function _ZN7rocprim17ROCPRIM_400000_NS6detail17trampoline_kernelINS0_14default_configENS1_25partition_config_selectorILNS1_17partition_subalgoE2EjNS0_10empty_typeEbEEZZNS1_14partition_implILS5_2ELb0ES3_jN6thrust23THRUST_200600_302600_NS6detail15normal_iteratorINSA_7pointerIjNSA_11hip_rocprim3tagENSA_11use_defaultESG_EEEEPS6_NSA_18transform_iteratorI7is_evenIjENSC_INSA_10device_ptrIjEEEESG_SG_EENS0_5tupleIJPjSJ_EEENSR_IJSJ_SJ_EEES6_PlJS6_EEE10hipError_tPvRmT3_T4_T5_T6_T7_T9_mT8_P12ihipStream_tbDpT10_ENKUlT_T0_E_clISt17integral_constantIbLb1EES1E_IbLb0EEEEDaS1A_S1B_EUlS1A_E_NS1_11comp_targetILNS1_3genE0ELNS1_11target_archE4294967295ELNS1_3gpuE0ELNS1_3repE0EEENS1_30default_config_static_selectorELNS0_4arch9wavefront6targetE1EEEvT1_
	.globl	_ZN7rocprim17ROCPRIM_400000_NS6detail17trampoline_kernelINS0_14default_configENS1_25partition_config_selectorILNS1_17partition_subalgoE2EjNS0_10empty_typeEbEEZZNS1_14partition_implILS5_2ELb0ES3_jN6thrust23THRUST_200600_302600_NS6detail15normal_iteratorINSA_7pointerIjNSA_11hip_rocprim3tagENSA_11use_defaultESG_EEEEPS6_NSA_18transform_iteratorI7is_evenIjENSC_INSA_10device_ptrIjEEEESG_SG_EENS0_5tupleIJPjSJ_EEENSR_IJSJ_SJ_EEES6_PlJS6_EEE10hipError_tPvRmT3_T4_T5_T6_T7_T9_mT8_P12ihipStream_tbDpT10_ENKUlT_T0_E_clISt17integral_constantIbLb1EES1E_IbLb0EEEEDaS1A_S1B_EUlS1A_E_NS1_11comp_targetILNS1_3genE0ELNS1_11target_archE4294967295ELNS1_3gpuE0ELNS1_3repE0EEENS1_30default_config_static_selectorELNS0_4arch9wavefront6targetE1EEEvT1_
	.p2align	8
	.type	_ZN7rocprim17ROCPRIM_400000_NS6detail17trampoline_kernelINS0_14default_configENS1_25partition_config_selectorILNS1_17partition_subalgoE2EjNS0_10empty_typeEbEEZZNS1_14partition_implILS5_2ELb0ES3_jN6thrust23THRUST_200600_302600_NS6detail15normal_iteratorINSA_7pointerIjNSA_11hip_rocprim3tagENSA_11use_defaultESG_EEEEPS6_NSA_18transform_iteratorI7is_evenIjENSC_INSA_10device_ptrIjEEEESG_SG_EENS0_5tupleIJPjSJ_EEENSR_IJSJ_SJ_EEES6_PlJS6_EEE10hipError_tPvRmT3_T4_T5_T6_T7_T9_mT8_P12ihipStream_tbDpT10_ENKUlT_T0_E_clISt17integral_constantIbLb1EES1E_IbLb0EEEEDaS1A_S1B_EUlS1A_E_NS1_11comp_targetILNS1_3genE0ELNS1_11target_archE4294967295ELNS1_3gpuE0ELNS1_3repE0EEENS1_30default_config_static_selectorELNS0_4arch9wavefront6targetE1EEEvT1_,@function
_ZN7rocprim17ROCPRIM_400000_NS6detail17trampoline_kernelINS0_14default_configENS1_25partition_config_selectorILNS1_17partition_subalgoE2EjNS0_10empty_typeEbEEZZNS1_14partition_implILS5_2ELb0ES3_jN6thrust23THRUST_200600_302600_NS6detail15normal_iteratorINSA_7pointerIjNSA_11hip_rocprim3tagENSA_11use_defaultESG_EEEEPS6_NSA_18transform_iteratorI7is_evenIjENSC_INSA_10device_ptrIjEEEESG_SG_EENS0_5tupleIJPjSJ_EEENSR_IJSJ_SJ_EEES6_PlJS6_EEE10hipError_tPvRmT3_T4_T5_T6_T7_T9_mT8_P12ihipStream_tbDpT10_ENKUlT_T0_E_clISt17integral_constantIbLb1EES1E_IbLb0EEEEDaS1A_S1B_EUlS1A_E_NS1_11comp_targetILNS1_3genE0ELNS1_11target_archE4294967295ELNS1_3gpuE0ELNS1_3repE0EEENS1_30default_config_static_selectorELNS0_4arch9wavefront6targetE1EEEvT1_: ; @_ZN7rocprim17ROCPRIM_400000_NS6detail17trampoline_kernelINS0_14default_configENS1_25partition_config_selectorILNS1_17partition_subalgoE2EjNS0_10empty_typeEbEEZZNS1_14partition_implILS5_2ELb0ES3_jN6thrust23THRUST_200600_302600_NS6detail15normal_iteratorINSA_7pointerIjNSA_11hip_rocprim3tagENSA_11use_defaultESG_EEEEPS6_NSA_18transform_iteratorI7is_evenIjENSC_INSA_10device_ptrIjEEEESG_SG_EENS0_5tupleIJPjSJ_EEENSR_IJSJ_SJ_EEES6_PlJS6_EEE10hipError_tPvRmT3_T4_T5_T6_T7_T9_mT8_P12ihipStream_tbDpT10_ENKUlT_T0_E_clISt17integral_constantIbLb1EES1E_IbLb0EEEEDaS1A_S1B_EUlS1A_E_NS1_11comp_targetILNS1_3genE0ELNS1_11target_archE4294967295ELNS1_3gpuE0ELNS1_3repE0EEENS1_30default_config_static_selectorELNS0_4arch9wavefront6targetE1EEEvT1_
; %bb.0:
	.section	.rodata,"a",@progbits
	.p2align	6, 0x0
	.amdhsa_kernel _ZN7rocprim17ROCPRIM_400000_NS6detail17trampoline_kernelINS0_14default_configENS1_25partition_config_selectorILNS1_17partition_subalgoE2EjNS0_10empty_typeEbEEZZNS1_14partition_implILS5_2ELb0ES3_jN6thrust23THRUST_200600_302600_NS6detail15normal_iteratorINSA_7pointerIjNSA_11hip_rocprim3tagENSA_11use_defaultESG_EEEEPS6_NSA_18transform_iteratorI7is_evenIjENSC_INSA_10device_ptrIjEEEESG_SG_EENS0_5tupleIJPjSJ_EEENSR_IJSJ_SJ_EEES6_PlJS6_EEE10hipError_tPvRmT3_T4_T5_T6_T7_T9_mT8_P12ihipStream_tbDpT10_ENKUlT_T0_E_clISt17integral_constantIbLb1EES1E_IbLb0EEEEDaS1A_S1B_EUlS1A_E_NS1_11comp_targetILNS1_3genE0ELNS1_11target_archE4294967295ELNS1_3gpuE0ELNS1_3repE0EEENS1_30default_config_static_selectorELNS0_4arch9wavefront6targetE1EEEvT1_
		.amdhsa_group_segment_fixed_size 0
		.amdhsa_private_segment_fixed_size 0
		.amdhsa_kernarg_size 128
		.amdhsa_user_sgpr_count 2
		.amdhsa_user_sgpr_dispatch_ptr 0
		.amdhsa_user_sgpr_queue_ptr 0
		.amdhsa_user_sgpr_kernarg_segment_ptr 1
		.amdhsa_user_sgpr_dispatch_id 0
		.amdhsa_user_sgpr_kernarg_preload_length 0
		.amdhsa_user_sgpr_kernarg_preload_offset 0
		.amdhsa_user_sgpr_private_segment_size 0
		.amdhsa_uses_dynamic_stack 0
		.amdhsa_enable_private_segment 0
		.amdhsa_system_sgpr_workgroup_id_x 1
		.amdhsa_system_sgpr_workgroup_id_y 0
		.amdhsa_system_sgpr_workgroup_id_z 0
		.amdhsa_system_sgpr_workgroup_info 0
		.amdhsa_system_vgpr_workitem_id 0
		.amdhsa_next_free_vgpr 1
		.amdhsa_next_free_sgpr 0
		.amdhsa_accum_offset 4
		.amdhsa_reserve_vcc 0
		.amdhsa_float_round_mode_32 0
		.amdhsa_float_round_mode_16_64 0
		.amdhsa_float_denorm_mode_32 3
		.amdhsa_float_denorm_mode_16_64 3
		.amdhsa_dx10_clamp 1
		.amdhsa_ieee_mode 1
		.amdhsa_fp16_overflow 0
		.amdhsa_tg_split 0
		.amdhsa_exception_fp_ieee_invalid_op 0
		.amdhsa_exception_fp_denorm_src 0
		.amdhsa_exception_fp_ieee_div_zero 0
		.amdhsa_exception_fp_ieee_overflow 0
		.amdhsa_exception_fp_ieee_underflow 0
		.amdhsa_exception_fp_ieee_inexact 0
		.amdhsa_exception_int_div_zero 0
	.end_amdhsa_kernel
	.section	.text._ZN7rocprim17ROCPRIM_400000_NS6detail17trampoline_kernelINS0_14default_configENS1_25partition_config_selectorILNS1_17partition_subalgoE2EjNS0_10empty_typeEbEEZZNS1_14partition_implILS5_2ELb0ES3_jN6thrust23THRUST_200600_302600_NS6detail15normal_iteratorINSA_7pointerIjNSA_11hip_rocprim3tagENSA_11use_defaultESG_EEEEPS6_NSA_18transform_iteratorI7is_evenIjENSC_INSA_10device_ptrIjEEEESG_SG_EENS0_5tupleIJPjSJ_EEENSR_IJSJ_SJ_EEES6_PlJS6_EEE10hipError_tPvRmT3_T4_T5_T6_T7_T9_mT8_P12ihipStream_tbDpT10_ENKUlT_T0_E_clISt17integral_constantIbLb1EES1E_IbLb0EEEEDaS1A_S1B_EUlS1A_E_NS1_11comp_targetILNS1_3genE0ELNS1_11target_archE4294967295ELNS1_3gpuE0ELNS1_3repE0EEENS1_30default_config_static_selectorELNS0_4arch9wavefront6targetE1EEEvT1_,"axG",@progbits,_ZN7rocprim17ROCPRIM_400000_NS6detail17trampoline_kernelINS0_14default_configENS1_25partition_config_selectorILNS1_17partition_subalgoE2EjNS0_10empty_typeEbEEZZNS1_14partition_implILS5_2ELb0ES3_jN6thrust23THRUST_200600_302600_NS6detail15normal_iteratorINSA_7pointerIjNSA_11hip_rocprim3tagENSA_11use_defaultESG_EEEEPS6_NSA_18transform_iteratorI7is_evenIjENSC_INSA_10device_ptrIjEEEESG_SG_EENS0_5tupleIJPjSJ_EEENSR_IJSJ_SJ_EEES6_PlJS6_EEE10hipError_tPvRmT3_T4_T5_T6_T7_T9_mT8_P12ihipStream_tbDpT10_ENKUlT_T0_E_clISt17integral_constantIbLb1EES1E_IbLb0EEEEDaS1A_S1B_EUlS1A_E_NS1_11comp_targetILNS1_3genE0ELNS1_11target_archE4294967295ELNS1_3gpuE0ELNS1_3repE0EEENS1_30default_config_static_selectorELNS0_4arch9wavefront6targetE1EEEvT1_,comdat
.Lfunc_end2053:
	.size	_ZN7rocprim17ROCPRIM_400000_NS6detail17trampoline_kernelINS0_14default_configENS1_25partition_config_selectorILNS1_17partition_subalgoE2EjNS0_10empty_typeEbEEZZNS1_14partition_implILS5_2ELb0ES3_jN6thrust23THRUST_200600_302600_NS6detail15normal_iteratorINSA_7pointerIjNSA_11hip_rocprim3tagENSA_11use_defaultESG_EEEEPS6_NSA_18transform_iteratorI7is_evenIjENSC_INSA_10device_ptrIjEEEESG_SG_EENS0_5tupleIJPjSJ_EEENSR_IJSJ_SJ_EEES6_PlJS6_EEE10hipError_tPvRmT3_T4_T5_T6_T7_T9_mT8_P12ihipStream_tbDpT10_ENKUlT_T0_E_clISt17integral_constantIbLb1EES1E_IbLb0EEEEDaS1A_S1B_EUlS1A_E_NS1_11comp_targetILNS1_3genE0ELNS1_11target_archE4294967295ELNS1_3gpuE0ELNS1_3repE0EEENS1_30default_config_static_selectorELNS0_4arch9wavefront6targetE1EEEvT1_, .Lfunc_end2053-_ZN7rocprim17ROCPRIM_400000_NS6detail17trampoline_kernelINS0_14default_configENS1_25partition_config_selectorILNS1_17partition_subalgoE2EjNS0_10empty_typeEbEEZZNS1_14partition_implILS5_2ELb0ES3_jN6thrust23THRUST_200600_302600_NS6detail15normal_iteratorINSA_7pointerIjNSA_11hip_rocprim3tagENSA_11use_defaultESG_EEEEPS6_NSA_18transform_iteratorI7is_evenIjENSC_INSA_10device_ptrIjEEEESG_SG_EENS0_5tupleIJPjSJ_EEENSR_IJSJ_SJ_EEES6_PlJS6_EEE10hipError_tPvRmT3_T4_T5_T6_T7_T9_mT8_P12ihipStream_tbDpT10_ENKUlT_T0_E_clISt17integral_constantIbLb1EES1E_IbLb0EEEEDaS1A_S1B_EUlS1A_E_NS1_11comp_targetILNS1_3genE0ELNS1_11target_archE4294967295ELNS1_3gpuE0ELNS1_3repE0EEENS1_30default_config_static_selectorELNS0_4arch9wavefront6targetE1EEEvT1_
                                        ; -- End function
	.section	.AMDGPU.csdata,"",@progbits
; Kernel info:
; codeLenInByte = 0
; NumSgprs: 6
; NumVgprs: 0
; NumAgprs: 0
; TotalNumVgprs: 0
; ScratchSize: 0
; MemoryBound: 0
; FloatMode: 240
; IeeeMode: 1
; LDSByteSize: 0 bytes/workgroup (compile time only)
; SGPRBlocks: 0
; VGPRBlocks: 0
; NumSGPRsForWavesPerEU: 6
; NumVGPRsForWavesPerEU: 1
; AccumOffset: 4
; Occupancy: 8
; WaveLimiterHint : 0
; COMPUTE_PGM_RSRC2:SCRATCH_EN: 0
; COMPUTE_PGM_RSRC2:USER_SGPR: 2
; COMPUTE_PGM_RSRC2:TRAP_HANDLER: 0
; COMPUTE_PGM_RSRC2:TGID_X_EN: 1
; COMPUTE_PGM_RSRC2:TGID_Y_EN: 0
; COMPUTE_PGM_RSRC2:TGID_Z_EN: 0
; COMPUTE_PGM_RSRC2:TIDIG_COMP_CNT: 0
; COMPUTE_PGM_RSRC3_GFX90A:ACCUM_OFFSET: 0
; COMPUTE_PGM_RSRC3_GFX90A:TG_SPLIT: 0
	.section	.text._ZN7rocprim17ROCPRIM_400000_NS6detail17trampoline_kernelINS0_14default_configENS1_25partition_config_selectorILNS1_17partition_subalgoE2EjNS0_10empty_typeEbEEZZNS1_14partition_implILS5_2ELb0ES3_jN6thrust23THRUST_200600_302600_NS6detail15normal_iteratorINSA_7pointerIjNSA_11hip_rocprim3tagENSA_11use_defaultESG_EEEEPS6_NSA_18transform_iteratorI7is_evenIjENSC_INSA_10device_ptrIjEEEESG_SG_EENS0_5tupleIJPjSJ_EEENSR_IJSJ_SJ_EEES6_PlJS6_EEE10hipError_tPvRmT3_T4_T5_T6_T7_T9_mT8_P12ihipStream_tbDpT10_ENKUlT_T0_E_clISt17integral_constantIbLb1EES1E_IbLb0EEEEDaS1A_S1B_EUlS1A_E_NS1_11comp_targetILNS1_3genE5ELNS1_11target_archE942ELNS1_3gpuE9ELNS1_3repE0EEENS1_30default_config_static_selectorELNS0_4arch9wavefront6targetE1EEEvT1_,"axG",@progbits,_ZN7rocprim17ROCPRIM_400000_NS6detail17trampoline_kernelINS0_14default_configENS1_25partition_config_selectorILNS1_17partition_subalgoE2EjNS0_10empty_typeEbEEZZNS1_14partition_implILS5_2ELb0ES3_jN6thrust23THRUST_200600_302600_NS6detail15normal_iteratorINSA_7pointerIjNSA_11hip_rocprim3tagENSA_11use_defaultESG_EEEEPS6_NSA_18transform_iteratorI7is_evenIjENSC_INSA_10device_ptrIjEEEESG_SG_EENS0_5tupleIJPjSJ_EEENSR_IJSJ_SJ_EEES6_PlJS6_EEE10hipError_tPvRmT3_T4_T5_T6_T7_T9_mT8_P12ihipStream_tbDpT10_ENKUlT_T0_E_clISt17integral_constantIbLb1EES1E_IbLb0EEEEDaS1A_S1B_EUlS1A_E_NS1_11comp_targetILNS1_3genE5ELNS1_11target_archE942ELNS1_3gpuE9ELNS1_3repE0EEENS1_30default_config_static_selectorELNS0_4arch9wavefront6targetE1EEEvT1_,comdat
	.protected	_ZN7rocprim17ROCPRIM_400000_NS6detail17trampoline_kernelINS0_14default_configENS1_25partition_config_selectorILNS1_17partition_subalgoE2EjNS0_10empty_typeEbEEZZNS1_14partition_implILS5_2ELb0ES3_jN6thrust23THRUST_200600_302600_NS6detail15normal_iteratorINSA_7pointerIjNSA_11hip_rocprim3tagENSA_11use_defaultESG_EEEEPS6_NSA_18transform_iteratorI7is_evenIjENSC_INSA_10device_ptrIjEEEESG_SG_EENS0_5tupleIJPjSJ_EEENSR_IJSJ_SJ_EEES6_PlJS6_EEE10hipError_tPvRmT3_T4_T5_T6_T7_T9_mT8_P12ihipStream_tbDpT10_ENKUlT_T0_E_clISt17integral_constantIbLb1EES1E_IbLb0EEEEDaS1A_S1B_EUlS1A_E_NS1_11comp_targetILNS1_3genE5ELNS1_11target_archE942ELNS1_3gpuE9ELNS1_3repE0EEENS1_30default_config_static_selectorELNS0_4arch9wavefront6targetE1EEEvT1_ ; -- Begin function _ZN7rocprim17ROCPRIM_400000_NS6detail17trampoline_kernelINS0_14default_configENS1_25partition_config_selectorILNS1_17partition_subalgoE2EjNS0_10empty_typeEbEEZZNS1_14partition_implILS5_2ELb0ES3_jN6thrust23THRUST_200600_302600_NS6detail15normal_iteratorINSA_7pointerIjNSA_11hip_rocprim3tagENSA_11use_defaultESG_EEEEPS6_NSA_18transform_iteratorI7is_evenIjENSC_INSA_10device_ptrIjEEEESG_SG_EENS0_5tupleIJPjSJ_EEENSR_IJSJ_SJ_EEES6_PlJS6_EEE10hipError_tPvRmT3_T4_T5_T6_T7_T9_mT8_P12ihipStream_tbDpT10_ENKUlT_T0_E_clISt17integral_constantIbLb1EES1E_IbLb0EEEEDaS1A_S1B_EUlS1A_E_NS1_11comp_targetILNS1_3genE5ELNS1_11target_archE942ELNS1_3gpuE9ELNS1_3repE0EEENS1_30default_config_static_selectorELNS0_4arch9wavefront6targetE1EEEvT1_
	.globl	_ZN7rocprim17ROCPRIM_400000_NS6detail17trampoline_kernelINS0_14default_configENS1_25partition_config_selectorILNS1_17partition_subalgoE2EjNS0_10empty_typeEbEEZZNS1_14partition_implILS5_2ELb0ES3_jN6thrust23THRUST_200600_302600_NS6detail15normal_iteratorINSA_7pointerIjNSA_11hip_rocprim3tagENSA_11use_defaultESG_EEEEPS6_NSA_18transform_iteratorI7is_evenIjENSC_INSA_10device_ptrIjEEEESG_SG_EENS0_5tupleIJPjSJ_EEENSR_IJSJ_SJ_EEES6_PlJS6_EEE10hipError_tPvRmT3_T4_T5_T6_T7_T9_mT8_P12ihipStream_tbDpT10_ENKUlT_T0_E_clISt17integral_constantIbLb1EES1E_IbLb0EEEEDaS1A_S1B_EUlS1A_E_NS1_11comp_targetILNS1_3genE5ELNS1_11target_archE942ELNS1_3gpuE9ELNS1_3repE0EEENS1_30default_config_static_selectorELNS0_4arch9wavefront6targetE1EEEvT1_
	.p2align	8
	.type	_ZN7rocprim17ROCPRIM_400000_NS6detail17trampoline_kernelINS0_14default_configENS1_25partition_config_selectorILNS1_17partition_subalgoE2EjNS0_10empty_typeEbEEZZNS1_14partition_implILS5_2ELb0ES3_jN6thrust23THRUST_200600_302600_NS6detail15normal_iteratorINSA_7pointerIjNSA_11hip_rocprim3tagENSA_11use_defaultESG_EEEEPS6_NSA_18transform_iteratorI7is_evenIjENSC_INSA_10device_ptrIjEEEESG_SG_EENS0_5tupleIJPjSJ_EEENSR_IJSJ_SJ_EEES6_PlJS6_EEE10hipError_tPvRmT3_T4_T5_T6_T7_T9_mT8_P12ihipStream_tbDpT10_ENKUlT_T0_E_clISt17integral_constantIbLb1EES1E_IbLb0EEEEDaS1A_S1B_EUlS1A_E_NS1_11comp_targetILNS1_3genE5ELNS1_11target_archE942ELNS1_3gpuE9ELNS1_3repE0EEENS1_30default_config_static_selectorELNS0_4arch9wavefront6targetE1EEEvT1_,@function
_ZN7rocprim17ROCPRIM_400000_NS6detail17trampoline_kernelINS0_14default_configENS1_25partition_config_selectorILNS1_17partition_subalgoE2EjNS0_10empty_typeEbEEZZNS1_14partition_implILS5_2ELb0ES3_jN6thrust23THRUST_200600_302600_NS6detail15normal_iteratorINSA_7pointerIjNSA_11hip_rocprim3tagENSA_11use_defaultESG_EEEEPS6_NSA_18transform_iteratorI7is_evenIjENSC_INSA_10device_ptrIjEEEESG_SG_EENS0_5tupleIJPjSJ_EEENSR_IJSJ_SJ_EEES6_PlJS6_EEE10hipError_tPvRmT3_T4_T5_T6_T7_T9_mT8_P12ihipStream_tbDpT10_ENKUlT_T0_E_clISt17integral_constantIbLb1EES1E_IbLb0EEEEDaS1A_S1B_EUlS1A_E_NS1_11comp_targetILNS1_3genE5ELNS1_11target_archE942ELNS1_3gpuE9ELNS1_3repE0EEENS1_30default_config_static_selectorELNS0_4arch9wavefront6targetE1EEEvT1_: ; @_ZN7rocprim17ROCPRIM_400000_NS6detail17trampoline_kernelINS0_14default_configENS1_25partition_config_selectorILNS1_17partition_subalgoE2EjNS0_10empty_typeEbEEZZNS1_14partition_implILS5_2ELb0ES3_jN6thrust23THRUST_200600_302600_NS6detail15normal_iteratorINSA_7pointerIjNSA_11hip_rocprim3tagENSA_11use_defaultESG_EEEEPS6_NSA_18transform_iteratorI7is_evenIjENSC_INSA_10device_ptrIjEEEESG_SG_EENS0_5tupleIJPjSJ_EEENSR_IJSJ_SJ_EEES6_PlJS6_EEE10hipError_tPvRmT3_T4_T5_T6_T7_T9_mT8_P12ihipStream_tbDpT10_ENKUlT_T0_E_clISt17integral_constantIbLb1EES1E_IbLb0EEEEDaS1A_S1B_EUlS1A_E_NS1_11comp_targetILNS1_3genE5ELNS1_11target_archE942ELNS1_3gpuE9ELNS1_3repE0EEENS1_30default_config_static_selectorELNS0_4arch9wavefront6targetE1EEEvT1_
; %bb.0:
	s_load_dwordx4 s[24:27], s[0:1], 0x8
	s_load_dwordx2 s[6:7], s[0:1], 0x20
	s_load_dwordx2 s[28:29], s[0:1], 0x60
	s_load_dwordx4 s[20:23], s[0:1], 0x50
	s_load_dword s3, s[0:1], 0x78
	s_waitcnt lgkmcnt(0)
	s_lshl_b64 s[8:9], s[26:27], 2
	s_add_u32 s12, s24, s8
	s_addc_u32 s13, s25, s9
	s_load_dwordx2 s[30:31], s[22:23], 0x0
	s_add_i32 s10, s3, -1
	s_mulk_i32 s3, 0x1e00
	s_add_i32 s4, s3, s26
	s_sub_i32 s33, s28, s4
	s_addk_i32 s33, 0x1e00
	s_add_u32 s4, s26, s3
	s_addc_u32 s5, s27, 0
	s_cmp_eq_u32 s2, s10
	v_mov_b64_e32 v[2:3], s[28:29]
	s_cselect_b64 s[22:23], -1, 0
	s_cmp_lg_u32 s2, s10
	s_mul_i32 s24, s2, 0x1e00
	s_mov_b32 s25, 0
	v_cmp_lt_u64_e32 vcc, s[4:5], v[2:3]
	s_cselect_b64 s[4:5], -1, 0
	s_or_b64 s[34:35], s[4:5], vcc
	s_lshl_b64 s[10:11], s[24:25], 2
	s_add_u32 s12, s12, s10
	s_addc_u32 s13, s13, s11
	s_mov_b64 s[4:5], -1
	s_and_b64 vcc, exec, s[34:35]
	v_lshlrev_b32_e32 v22, 2, v0
	s_cbranch_vccz .LBB2054_2
; %bb.1:
	v_mov_b32_e32 v23, 0
	v_lshl_add_u64 v[2:3], s[12:13], 0, v[22:23]
	v_add_co_u32_e32 v4, vcc, 0x1000, v2
	s_mov_b64 s[4:5], 0
	s_nop 0
	v_addc_co_u32_e32 v5, vcc, 0, v3, vcc
	v_add_co_u32_e32 v6, vcc, 0x2000, v2
	s_nop 1
	v_addc_co_u32_e32 v7, vcc, 0, v3, vcc
	v_add_co_u32_e32 v8, vcc, 0x3000, v2
	s_nop 1
	v_addc_co_u32_e32 v9, vcc, 0, v3, vcc
	flat_load_dword v1, v[2:3]
	flat_load_dword v10, v[2:3] offset:2048
	flat_load_dword v11, v[4:5]
	flat_load_dword v12, v[4:5] offset:2048
	;; [unrolled: 2-line block ×4, first 2 shown]
	v_add_co_u32_e32 v4, vcc, 0x4000, v2
	s_nop 1
	v_addc_co_u32_e32 v5, vcc, 0, v3, vcc
	v_add_co_u32_e32 v6, vcc, 0x5000, v2
	s_nop 1
	v_addc_co_u32_e32 v7, vcc, 0, v3, vcc
	;; [unrolled: 3-line block ×4, first 2 shown]
	flat_load_dword v17, v[4:5]
	flat_load_dword v18, v[4:5] offset:2048
	flat_load_dword v19, v[6:7]
	flat_load_dword v20, v[6:7] offset:2048
	flat_load_dword v21, v[8:9]
	flat_load_dword v23, v[8:9] offset:2048
	flat_load_dword v24, v[2:3]
	s_waitcnt vmcnt(0) lgkmcnt(0)
	ds_write2st64_b32 v22, v1, v10 offset1:8
	ds_write2st64_b32 v22, v11, v12 offset0:16 offset1:24
	ds_write2st64_b32 v22, v13, v14 offset0:32 offset1:40
	;; [unrolled: 1-line block ×6, first 2 shown]
	ds_write_b32 v22, v24 offset:28672
	s_waitcnt lgkmcnt(0)
	s_barrier
.LBB2054_2:
	s_andn2_b64 vcc, exec, s[4:5]
	v_cmp_gt_u32_e64 s[4:5], s33, v0
	s_cbranch_vccnz .LBB2054_34
; %bb.3:
                                        ; implicit-def: $vgpr2_vgpr3_vgpr4_vgpr5_vgpr6_vgpr7_vgpr8_vgpr9_vgpr10_vgpr11_vgpr12_vgpr13_vgpr14_vgpr15_vgpr16_vgpr17
	s_and_saveexec_b64 s[14:15], s[4:5]
	s_cbranch_execz .LBB2054_5
; %bb.4:
	v_mov_b32_e32 v23, 0
	v_lshl_add_u64 v[2:3], s[12:13], 0, v[22:23]
	flat_load_dword v2, v[2:3]
.LBB2054_5:
	s_or_b64 exec, exec, s[14:15]
	v_or_b32_e32 v1, 0x200, v0
	v_cmp_gt_u32_e32 vcc, s33, v1
	s_and_saveexec_b64 s[4:5], vcc
	s_cbranch_execz .LBB2054_7
; %bb.6:
	v_mov_b32_e32 v23, 0
	v_lshl_add_u64 v[18:19], s[12:13], 0, v[22:23]
	flat_load_dword v3, v[18:19] offset:2048
.LBB2054_7:
	s_or_b64 exec, exec, s[4:5]
	v_or_b32_e32 v1, 0x400, v0
	v_cmp_gt_u32_e32 vcc, s33, v1
	s_and_saveexec_b64 s[4:5], vcc
	s_cbranch_execz .LBB2054_9
; %bb.8:
	v_lshlrev_b32_e32 v18, 2, v1
	v_mov_b32_e32 v19, 0
	v_lshl_add_u64 v[18:19], s[12:13], 0, v[18:19]
	flat_load_dword v4, v[18:19]
.LBB2054_9:
	s_or_b64 exec, exec, s[4:5]
	v_or_b32_e32 v1, 0x600, v0
	v_cmp_gt_u32_e32 vcc, s33, v1
	s_and_saveexec_b64 s[4:5], vcc
	s_cbranch_execz .LBB2054_11
; %bb.10:
	v_lshlrev_b32_e32 v18, 2, v1
	v_mov_b32_e32 v19, 0
	v_lshl_add_u64 v[18:19], s[12:13], 0, v[18:19]
	flat_load_dword v5, v[18:19]
.LBB2054_11:
	;; [unrolled: 11-line block ×13, first 2 shown]
	s_or_b64 exec, exec, s[4:5]
	s_waitcnt vmcnt(0) lgkmcnt(0)
	ds_write2st64_b32 v22, v2, v3 offset1:8
	ds_write2st64_b32 v22, v4, v5 offset0:16 offset1:24
	ds_write2st64_b32 v22, v6, v7 offset0:32 offset1:40
	;; [unrolled: 1-line block ×6, first 2 shown]
	ds_write_b32 v22, v16 offset:28672
	s_waitcnt lgkmcnt(0)
	s_barrier
.LBB2054_34:
	v_mul_u32_u24_e32 v21, 15, v0
	v_lshlrev_b32_e32 v1, 2, v21
	s_waitcnt lgkmcnt(0)
	ds_read2_b32 v[38:39], v1 offset1:1
	ds_read2_b32 v[36:37], v1 offset0:2 offset1:3
	ds_read2_b32 v[34:35], v1 offset0:4 offset1:5
	;; [unrolled: 1-line block ×6, first 2 shown]
	ds_read_b32 v1, v1 offset:56
	s_add_u32 s3, s6, s8
	s_addc_u32 s5, s7, s9
	s_add_u32 s4, s3, s10
	s_addc_u32 s5, s5, s11
	s_mov_b64 s[6:7], -1
	s_and_b64 vcc, exec, s[34:35]
	s_waitcnt lgkmcnt(0)
	s_barrier
	s_cbranch_vccz .LBB2054_36
; %bb.35:
	v_mov_b32_e32 v23, 0
	v_lshl_add_u64 v[2:3], s[4:5], 0, v[22:23]
	v_add_co_u32_e32 v4, vcc, 0x1000, v2
	global_load_dword v10, v22, s[4:5]
	global_load_dword v11, v22, s[4:5] offset:2048
	v_addc_co_u32_e32 v5, vcc, 0, v3, vcc
	v_add_co_u32_e32 v6, vcc, 0x2000, v2
	s_mov_b64 s[6:7], 0
	s_nop 0
	v_addc_co_u32_e32 v7, vcc, 0, v3, vcc
	v_add_co_u32_e32 v8, vcc, 0x3000, v2
	s_nop 1
	v_addc_co_u32_e32 v9, vcc, 0, v3, vcc
	global_load_dword v12, v[4:5], off
	global_load_dword v13, v[4:5], off offset:2048
	global_load_dword v14, v[6:7], off
	global_load_dword v15, v[6:7], off offset:2048
	;; [unrolled: 2-line block ×3, first 2 shown]
	v_add_co_u32_e32 v4, vcc, 0x4000, v2
	s_nop 1
	v_addc_co_u32_e32 v5, vcc, 0, v3, vcc
	global_load_dword v6, v[4:5], off
	global_load_dword v7, v[4:5], off offset:2048
	v_add_co_u32_e32 v4, vcc, 0x5000, v2
	s_waitcnt vmcnt(1)
	v_xor_b32_e32 v6, -1, v6
	v_addc_co_u32_e32 v5, vcc, 0, v3, vcc
	global_load_dword v8, v[4:5], off
	global_load_dword v9, v[4:5], off offset:2048
	v_add_co_u32_e32 v4, vcc, 0x6000, v2
	s_waitcnt vmcnt(2)
	v_xor_b32_e32 v7, -1, v7
	v_addc_co_u32_e32 v5, vcc, 0, v3, vcc
	v_add_co_u32_e32 v2, vcc, 0x7000, v2
	global_load_dword v18, v[4:5], off
	global_load_dword v19, v[4:5], off offset:2048
	v_addc_co_u32_e32 v3, vcc, 0, v3, vcc
	global_load_dword v2, v[2:3], off
	v_xor_b32_e32 v3, -1, v10
	v_xor_b32_e32 v4, -1, v11
	v_and_b32_e32 v3, 1, v3
	v_and_b32_e32 v4, 1, v4
	ds_write_b8 v0, v3
	ds_write_b8 v0, v4 offset:512
	v_xor_b32_e32 v3, -1, v12
	v_xor_b32_e32 v4, -1, v13
	;; [unrolled: 1-line block ×3, first 2 shown]
	v_and_b32_e32 v3, 1, v3
	v_and_b32_e32 v4, 1, v4
	v_xor_b32_e32 v10, -1, v15
	v_and_b32_e32 v5, 1, v5
	v_xor_b32_e32 v11, -1, v16
	v_xor_b32_e32 v12, -1, v17
	v_and_b32_e32 v10, 1, v10
	ds_write_b8 v0, v3 offset:1024
	ds_write_b8 v0, v4 offset:1536
	v_and_b32_e32 v3, 1, v11
	v_and_b32_e32 v4, 1, v12
	ds_write_b8 v0, v5 offset:2048
	ds_write_b8 v0, v10 offset:2560
	v_and_b32_e32 v5, 1, v6
	v_and_b32_e32 v6, 1, v7
	ds_write_b8 v0, v3 offset:3072
	ds_write_b8 v0, v4 offset:3584
	;; [unrolled: 1-line block ×4, first 2 shown]
	s_waitcnt vmcnt(4)
	v_xor_b32_e32 v7, -1, v8
	s_waitcnt vmcnt(3)
	v_xor_b32_e32 v8, -1, v9
	v_and_b32_e32 v3, 1, v7
	v_and_b32_e32 v4, 1, v8
	s_waitcnt vmcnt(2)
	v_xor_b32_e32 v7, -1, v18
	s_waitcnt vmcnt(1)
	v_xor_b32_e32 v8, -1, v19
	v_and_b32_e32 v5, 1, v7
	v_and_b32_e32 v6, 1, v8
	s_waitcnt vmcnt(0)
	v_xor_b32_e32 v2, -1, v2
	v_and_b32_e32 v2, 1, v2
	ds_write_b8 v0, v3 offset:5120
	ds_write_b8 v0, v4 offset:5632
	;; [unrolled: 1-line block ×5, first 2 shown]
	s_waitcnt lgkmcnt(0)
	s_barrier
.LBB2054_36:
	s_load_dwordx2 s[36:37], s[0:1], 0x70
	s_andn2_b64 vcc, exec, s[6:7]
	s_cbranch_vccnz .LBB2054_68
; %bb.37:
	v_cmp_gt_u32_e32 vcc, s33, v0
	v_mov_b32_e32 v2, 0
	v_mov_b32_e32 v3, 0
	s_and_saveexec_b64 s[6:7], vcc
	s_cbranch_execz .LBB2054_39
; %bb.38:
	global_load_dword v3, v22, s[4:5]
	s_waitcnt vmcnt(0)
	v_xor_b32_e32 v3, -1, v3
	v_and_b32_e32 v3, 1, v3
.LBB2054_39:
	s_or_b64 exec, exec, s[6:7]
	v_or_b32_e32 v4, 0x200, v0
	v_cmp_gt_u32_e32 vcc, s33, v4
	s_and_saveexec_b64 s[6:7], vcc
	s_cbranch_execz .LBB2054_41
; %bb.40:
	global_load_dword v2, v22, s[4:5] offset:2048
	s_waitcnt vmcnt(0)
	v_xor_b32_e32 v2, -1, v2
	v_and_b32_e32 v2, 1, v2
.LBB2054_41:
	s_or_b64 exec, exec, s[6:7]
	v_or_b32_e32 v6, 0x400, v0
	v_cmp_gt_u32_e32 vcc, s33, v6
	v_mov_b32_e32 v4, 0
	v_mov_b32_e32 v5, 0
	s_and_saveexec_b64 s[6:7], vcc
	s_cbranch_execz .LBB2054_43
; %bb.42:
	v_lshlrev_b32_e32 v5, 2, v6
	global_load_dword v5, v5, s[4:5]
	s_waitcnt vmcnt(0)
	v_xor_b32_e32 v5, -1, v5
	v_and_b32_e32 v5, 1, v5
.LBB2054_43:
	s_or_b64 exec, exec, s[6:7]
	v_or_b32_e32 v6, 0x600, v0
	v_cmp_gt_u32_e32 vcc, s33, v6
	s_and_saveexec_b64 s[6:7], vcc
	s_cbranch_execz .LBB2054_45
; %bb.44:
	v_lshlrev_b32_e32 v4, 2, v6
	global_load_dword v4, v4, s[4:5]
	s_waitcnt vmcnt(0)
	v_xor_b32_e32 v4, -1, v4
	v_and_b32_e32 v4, 1, v4
.LBB2054_45:
	s_or_b64 exec, exec, s[6:7]
	v_or_b32_e32 v8, 0x800, v0
	v_cmp_gt_u32_e32 vcc, s33, v8
	v_mov_b32_e32 v6, 0
	v_mov_b32_e32 v7, 0
	s_and_saveexec_b64 s[6:7], vcc
	s_cbranch_execz .LBB2054_47
; %bb.46:
	v_lshlrev_b32_e32 v7, 2, v8
	global_load_dword v7, v7, s[4:5]
	s_waitcnt vmcnt(0)
	v_xor_b32_e32 v7, -1, v7
	v_and_b32_e32 v7, 1, v7
.LBB2054_47:
	s_or_b64 exec, exec, s[6:7]
	v_or_b32_e32 v8, 0xa00, v0
	v_cmp_gt_u32_e32 vcc, s33, v8
	s_and_saveexec_b64 s[6:7], vcc
	s_cbranch_execz .LBB2054_49
; %bb.48:
	v_lshlrev_b32_e32 v6, 2, v8
	global_load_dword v6, v6, s[4:5]
	s_waitcnt vmcnt(0)
	v_xor_b32_e32 v6, -1, v6
	v_and_b32_e32 v6, 1, v6
.LBB2054_49:
	;; [unrolled: 26-line block ×6, first 2 shown]
	s_or_b64 exec, exec, s[6:7]
	v_or_b32_e32 v17, 0x1c00, v0
	v_cmp_gt_u32_e32 vcc, s33, v17
	v_mov_b32_e32 v16, 0
	s_and_saveexec_b64 s[6:7], vcc
	s_cbranch_execz .LBB2054_67
; %bb.66:
	v_lshlrev_b32_e32 v16, 2, v17
	global_load_dword v16, v16, s[4:5]
	s_waitcnt vmcnt(0)
	v_xor_b32_e32 v16, -1, v16
	v_and_b32_e32 v16, 1, v16
.LBB2054_67:
	s_or_b64 exec, exec, s[6:7]
	ds_write_b8 v0, v3
	ds_write_b8 v0, v2 offset:512
	ds_write_b8 v0, v5 offset:1024
	;; [unrolled: 1-line block ×14, first 2 shown]
	s_waitcnt lgkmcnt(0)
	s_barrier
.LBB2054_68:
	s_waitcnt lgkmcnt(0)
	ds_read_b96 v[18:20], v21
	ds_read_u8 v2, v21 offset:12
	ds_read_u8 v3, v21 offset:13
	;; [unrolled: 1-line block ×3, first 2 shown]
	s_cmp_lg_u32 s2, 0
	v_lshrrev_b32_e32 v56, 6, v0
	s_waitcnt lgkmcnt(2)
	v_and_b32_e32 v42, 1, v2
	v_and_b32_e32 v51, 0xff, v18
	v_bfe_u32 v53, v18, 8, 8
	v_bfe_u32 v54, v18, 16, 8
	v_lshrrev_b32_e32 v44, 24, v18
	v_and_b32_e32 v48, 0xff, v19
	v_add3_u32 v2, v53, v51, v54
	v_bfe_u32 v49, v19, 8, 8
	v_bfe_u32 v50, v19, 16, 8
	v_add3_u32 v2, v2, v44, v48
	v_lshrrev_b32_e32 v43, 24, v19
	v_and_b32_e32 v45, 0xff, v20
	v_add3_u32 v2, v2, v49, v50
	v_bfe_u32 v46, v20, 8, 8
	v_bfe_u32 v47, v20, 16, 8
	v_add3_u32 v2, v2, v43, v45
	v_lshrrev_b32_e32 v41, 24, v20
	v_add3_u32 v2, v2, v46, v47
	s_waitcnt lgkmcnt(1)
	v_and_b32_e32 v40, 1, v3
	s_waitcnt lgkmcnt(0)
	v_and_b32_e32 v23, 1, v4
	v_add3_u32 v2, v2, v41, v42
	v_add3_u32 v57, v2, v40, v23
	v_mbcnt_lo_u32_b32 v2, -1, 0
	v_mbcnt_hi_u32_b32 v55, -1, v2
	v_and_b32_e32 v2, 15, v55
	v_cmp_eq_u32_e64 s[14:15], 0, v2
	v_cmp_lt_u32_e64 s[12:13], 1, v2
	v_cmp_lt_u32_e64 s[10:11], 3, v2
	v_cmp_lt_u32_e64 s[8:9], 7, v2
	v_and_b32_e32 v2, 16, v55
	v_cmp_eq_u32_e64 s[6:7], 0, v2
	v_or_b32_e32 v2, 63, v0
	v_cmp_lt_u32_e64 s[18:19], 31, v55
	v_cmp_eq_u32_e64 s[4:5], v2, v0
	s_barrier
	s_cbranch_scc0 .LBB2054_99
; %bb.69:
	v_mov_b32_dpp v2, v57 row_shr:1 row_mask:0xf bank_mask:0xf
	v_cndmask_b32_e64 v2, v2, 0, s[14:15]
	v_add_u32_e32 v2, v2, v57
	s_nop 1
	v_mov_b32_dpp v3, v2 row_shr:2 row_mask:0xf bank_mask:0xf
	v_cndmask_b32_e64 v3, 0, v3, s[12:13]
	v_add_u32_e32 v2, v2, v3
	s_nop 1
	;; [unrolled: 4-line block ×4, first 2 shown]
	v_mov_b32_dpp v3, v2 row_bcast:15 row_mask:0xf bank_mask:0xf
	v_cndmask_b32_e64 v3, v3, 0, s[6:7]
	v_add_u32_e32 v2, v2, v3
	s_nop 1
	v_mov_b32_dpp v3, v2 row_bcast:31 row_mask:0xf bank_mask:0xf
	v_cndmask_b32_e64 v3, 0, v3, s[18:19]
	v_add_u32_e32 v2, v2, v3
	s_and_saveexec_b64 s[16:17], s[4:5]
	s_cbranch_execz .LBB2054_71
; %bb.70:
	v_lshlrev_b32_e32 v3, 2, v56
	ds_write_b32 v3, v2
.LBB2054_71:
	s_or_b64 exec, exec, s[16:17]
	v_cmp_gt_u32_e32 vcc, 8, v0
	s_waitcnt lgkmcnt(0)
	s_barrier
	s_and_saveexec_b64 s[16:17], vcc
	s_cbranch_execz .LBB2054_73
; %bb.72:
	ds_read_b32 v3, v22
	v_and_b32_e32 v4, 7, v55
	v_cmp_ne_u32_e32 vcc, 0, v4
	s_waitcnt lgkmcnt(0)
	v_mov_b32_dpp v5, v3 row_shr:1 row_mask:0xf bank_mask:0xf
	v_cndmask_b32_e32 v5, 0, v5, vcc
	v_add_u32_e32 v3, v5, v3
	v_cmp_lt_u32_e32 vcc, 1, v4
	s_nop 0
	v_mov_b32_dpp v5, v3 row_shr:2 row_mask:0xf bank_mask:0xf
	v_cndmask_b32_e32 v5, 0, v5, vcc
	v_add_u32_e32 v3, v3, v5
	v_cmp_lt_u32_e32 vcc, 3, v4
	s_nop 0
	v_mov_b32_dpp v5, v3 row_shr:4 row_mask:0xf bank_mask:0xf
	v_cndmask_b32_e32 v4, 0, v5, vcc
	v_add_u32_e32 v3, v3, v4
	ds_write_b32 v22, v3
.LBB2054_73:
	s_or_b64 exec, exec, s[16:17]
	v_cmp_gt_u32_e32 vcc, 64, v0
	v_cmp_lt_u32_e64 s[16:17], 63, v0
	s_waitcnt lgkmcnt(0)
	s_barrier
	s_waitcnt lgkmcnt(0)
                                        ; implicit-def: $vgpr12
	s_and_saveexec_b64 s[38:39], s[16:17]
	s_cbranch_execz .LBB2054_75
; %bb.74:
	v_lshl_add_u32 v3, v56, 2, -4
	ds_read_b32 v12, v3
	s_waitcnt lgkmcnt(0)
	v_add_u32_e32 v2, v12, v2
.LBB2054_75:
	s_or_b64 exec, exec, s[38:39]
	v_add_u32_e32 v3, -1, v55
	v_and_b32_e32 v4, 64, v55
	v_cmp_lt_i32_e64 s[16:17], v3, v4
	s_nop 1
	v_cndmask_b32_e64 v3, v3, v55, s[16:17]
	v_lshlrev_b32_e32 v3, 2, v3
	ds_bpermute_b32 v13, v3, v2
	v_cmp_eq_u32_e64 s[16:17], 0, v55
	s_and_saveexec_b64 s[38:39], vcc
	s_cbranch_execz .LBB2054_98
; %bb.76:
	v_mov_b32_e32 v11, 0
	ds_read_b32 v2, v11 offset:28
	s_and_saveexec_b64 s[40:41], s[16:17]
	s_cbranch_execz .LBB2054_78
; %bb.77:
	s_add_i32 s42, s2, 64
	s_mov_b32 s43, 0
	s_lshl_b64 s[42:43], s[42:43], 3
	s_add_u32 s42, s36, s42
	v_mov_b32_e32 v3, 1
	s_addc_u32 s43, s37, s43
	s_waitcnt lgkmcnt(0)
	global_store_dwordx2 v11, v[2:3], s[42:43] sc1
.LBB2054_78:
	s_or_b64 exec, exec, s[40:41]
	v_xad_u32 v4, v55, -1, s2
	v_add_u32_e32 v10, 64, v4
	v_lshl_add_u64 v[6:7], v[10:11], 3, s[36:37]
	global_load_dwordx2 v[8:9], v[6:7], off sc1
	s_waitcnt vmcnt(0)
	v_cmp_eq_u16_sdwa s[42:43], v9, v11 src0_sel:BYTE_0 src1_sel:DWORD
	s_and_saveexec_b64 s[40:41], s[42:43]
	s_cbranch_execz .LBB2054_84
; %bb.79:
	s_mov_b32 s3, 1
	s_mov_b64 s[42:43], 0
	v_mov_b32_e32 v3, 0
.LBB2054_80:                            ; =>This Loop Header: Depth=1
                                        ;     Child Loop BB2054_81 Depth 2
	s_max_u32 s25, s3, 1
.LBB2054_81:                            ;   Parent Loop BB2054_80 Depth=1
                                        ; =>  This Inner Loop Header: Depth=2
	s_add_i32 s25, s25, -1
	s_cmp_eq_u32 s25, 0
	s_sleep 1
	s_cbranch_scc0 .LBB2054_81
; %bb.82:                               ;   in Loop: Header=BB2054_80 Depth=1
	global_load_dwordx2 v[8:9], v[6:7], off sc1
	s_cmp_lt_u32 s3, 32
	s_cselect_b64 s[44:45], -1, 0
	s_cmp_lg_u64 s[44:45], 0
	s_addc_u32 s3, s3, 0
	s_waitcnt vmcnt(0)
	v_cmp_ne_u16_sdwa s[44:45], v9, v3 src0_sel:BYTE_0 src1_sel:DWORD
	s_or_b64 s[42:43], s[44:45], s[42:43]
	s_andn2_b64 exec, exec, s[42:43]
	s_cbranch_execnz .LBB2054_80
; %bb.83:
	s_or_b64 exec, exec, s[42:43]
.LBB2054_84:
	s_or_b64 exec, exec, s[40:41]
	v_and_b32_e32 v15, 63, v55
	v_mov_b32_e32 v14, 2
	v_cmp_ne_u32_e32 vcc, 63, v15
	v_cmp_eq_u16_sdwa s[40:41], v9, v14 src0_sel:BYTE_0 src1_sel:DWORD
	v_lshlrev_b64 v[6:7], v55, -1
	v_addc_co_u32_e32 v10, vcc, 0, v55, vcc
	v_and_b32_e32 v3, s41, v7
	v_lshlrev_b32_e32 v16, 2, v10
	v_or_b32_e32 v3, 0x80000000, v3
	ds_bpermute_b32 v10, v16, v8
	v_and_b32_e32 v5, s40, v6
	v_ffbl_b32_e32 v3, v3
	v_add_u32_e32 v3, 32, v3
	v_ffbl_b32_e32 v5, v5
	v_min_u32_e32 v3, v5, v3
	v_cmp_lt_u32_e32 vcc, v15, v3
	v_add_u32_e32 v24, 2, v15
	v_add_u32_e32 v52, 4, v15
	s_waitcnt lgkmcnt(0)
	v_cndmask_b32_e32 v5, 0, v10, vcc
	v_cmp_gt_u32_e32 vcc, 62, v15
	v_add_u32_e32 v5, v5, v8
	v_add_u32_e32 v59, 8, v15
	v_cndmask_b32_e64 v8, 0, 1, vcc
	v_lshlrev_b32_e32 v8, 1, v8
	v_add_lshl_u32 v17, v8, v55, 2
	ds_bpermute_b32 v8, v17, v5
	v_cmp_le_u32_e32 vcc, v24, v3
	v_add_u32_e32 v61, 16, v15
	v_add_u32_e32 v63, 32, v15
	s_waitcnt lgkmcnt(0)
	v_cndmask_b32_e32 v8, 0, v8, vcc
	v_cmp_gt_u32_e32 vcc, 60, v15
	v_add_u32_e32 v5, v5, v8
	s_nop 0
	v_cndmask_b32_e64 v8, 0, 1, vcc
	v_lshlrev_b32_e32 v8, 2, v8
	v_add_lshl_u32 v25, v8, v55, 2
	ds_bpermute_b32 v8, v25, v5
	v_cmp_le_u32_e32 vcc, v52, v3
	s_waitcnt lgkmcnt(0)
	s_nop 0
	v_cndmask_b32_e32 v8, 0, v8, vcc
	v_cmp_gt_u32_e32 vcc, 56, v15
	v_add_u32_e32 v5, v5, v8
	s_nop 0
	v_cndmask_b32_e64 v8, 0, 1, vcc
	v_lshlrev_b32_e32 v8, 3, v8
	v_add_lshl_u32 v58, v8, v55, 2
	ds_bpermute_b32 v8, v58, v5
	v_cmp_le_u32_e32 vcc, v59, v3
	s_waitcnt lgkmcnt(0)
	s_nop 0
	v_cndmask_b32_e32 v8, 0, v8, vcc
	v_cmp_gt_u32_e32 vcc, 48, v15
	v_add_u32_e32 v5, v5, v8
	s_nop 0
	v_cndmask_b32_e64 v8, 0, 1, vcc
	v_lshlrev_b32_e32 v8, 4, v8
	v_add_lshl_u32 v60, v8, v55, 2
	ds_bpermute_b32 v8, v60, v5
	v_cmp_le_u32_e32 vcc, v61, v3
	s_waitcnt lgkmcnt(0)
	s_nop 0
	v_cndmask_b32_e32 v8, 0, v8, vcc
	v_cmp_gt_u32_e32 vcc, 32, v15
	v_add_u32_e32 v5, v5, v8
	s_nop 0
	v_cndmask_b32_e64 v8, 0, 1, vcc
	v_lshlrev_b32_e32 v8, 5, v8
	v_add_lshl_u32 v62, v8, v55, 2
	ds_bpermute_b32 v8, v62, v5
	v_cmp_le_u32_e32 vcc, v63, v3
	s_waitcnt lgkmcnt(0)
	s_nop 0
	v_cndmask_b32_e32 v3, 0, v8, vcc
	v_add_u32_e32 v8, v5, v3
	v_mov_b32_e32 v5, 0
	s_branch .LBB2054_86
.LBB2054_85:                            ;   in Loop: Header=BB2054_86 Depth=1
	s_or_b64 exec, exec, s[40:41]
	v_cmp_eq_u16_sdwa s[40:41], v9, v14 src0_sel:BYTE_0 src1_sel:DWORD
	ds_bpermute_b32 v64, v16, v8
	v_subrev_u32_e32 v4, 64, v4
	v_and_b32_e32 v10, s41, v7
	v_or_b32_e32 v10, 0x80000000, v10
	v_and_b32_e32 v11, s40, v6
	v_ffbl_b32_e32 v10, v10
	v_add_u32_e32 v10, 32, v10
	v_ffbl_b32_e32 v11, v11
	v_min_u32_e32 v10, v11, v10
	v_cmp_lt_u32_e32 vcc, v15, v10
	s_waitcnt lgkmcnt(0)
	s_nop 0
	v_cndmask_b32_e32 v11, 0, v64, vcc
	v_add_u32_e32 v8, v11, v8
	ds_bpermute_b32 v11, v17, v8
	v_cmp_le_u32_e32 vcc, v24, v10
	s_waitcnt lgkmcnt(0)
	s_nop 0
	v_cndmask_b32_e32 v11, 0, v11, vcc
	v_add_u32_e32 v8, v8, v11
	ds_bpermute_b32 v11, v25, v8
	v_cmp_le_u32_e32 vcc, v52, v10
	;; [unrolled: 6-line block ×5, first 2 shown]
	s_waitcnt lgkmcnt(0)
	s_nop 0
	v_cndmask_b32_e32 v10, 0, v11, vcc
	v_add3_u32 v8, v10, v3, v8
.LBB2054_86:                            ; =>This Loop Header: Depth=1
                                        ;     Child Loop BB2054_89 Depth 2
                                        ;       Child Loop BB2054_90 Depth 3
	v_cmp_ne_u16_sdwa s[40:41], v9, v14 src0_sel:BYTE_0 src1_sel:DWORD
	s_nop 1
	v_cndmask_b32_e64 v3, 0, 1, s[40:41]
	;;#ASMSTART
	;;#ASMEND
	s_nop 0
	v_cmp_ne_u32_e32 vcc, 0, v3
	s_cmp_lg_u64 vcc, exec
	v_mov_b32_e32 v3, v8
	s_cbranch_scc1 .LBB2054_93
; %bb.87:                               ;   in Loop: Header=BB2054_86 Depth=1
	v_lshl_add_u64 v[10:11], v[4:5], 3, s[36:37]
	global_load_dwordx2 v[8:9], v[10:11], off sc1
	s_waitcnt vmcnt(0)
	v_cmp_eq_u16_sdwa s[42:43], v9, v5 src0_sel:BYTE_0 src1_sel:DWORD
	s_and_saveexec_b64 s[40:41], s[42:43]
	s_cbranch_execz .LBB2054_85
; %bb.88:                               ;   in Loop: Header=BB2054_86 Depth=1
	s_mov_b32 s3, 1
	s_mov_b64 s[42:43], 0
.LBB2054_89:                            ;   Parent Loop BB2054_86 Depth=1
                                        ; =>  This Loop Header: Depth=2
                                        ;       Child Loop BB2054_90 Depth 3
	s_max_u32 s25, s3, 1
.LBB2054_90:                            ;   Parent Loop BB2054_86 Depth=1
                                        ;     Parent Loop BB2054_89 Depth=2
                                        ; =>    This Inner Loop Header: Depth=3
	s_add_i32 s25, s25, -1
	s_cmp_eq_u32 s25, 0
	s_sleep 1
	s_cbranch_scc0 .LBB2054_90
; %bb.91:                               ;   in Loop: Header=BB2054_89 Depth=2
	global_load_dwordx2 v[8:9], v[10:11], off sc1
	s_cmp_lt_u32 s3, 32
	s_cselect_b64 s[44:45], -1, 0
	s_cmp_lg_u64 s[44:45], 0
	s_addc_u32 s3, s3, 0
	s_waitcnt vmcnt(0)
	v_cmp_ne_u16_sdwa s[44:45], v9, v5 src0_sel:BYTE_0 src1_sel:DWORD
	s_or_b64 s[42:43], s[44:45], s[42:43]
	s_andn2_b64 exec, exec, s[42:43]
	s_cbranch_execnz .LBB2054_89
; %bb.92:                               ;   in Loop: Header=BB2054_86 Depth=1
	s_or_b64 exec, exec, s[42:43]
	s_branch .LBB2054_85
.LBB2054_93:                            ;   in Loop: Header=BB2054_86 Depth=1
                                        ; implicit-def: $vgpr8
                                        ; implicit-def: $vgpr9
	s_cbranch_execz .LBB2054_86
; %bb.94:
	s_and_saveexec_b64 s[40:41], s[16:17]
	s_cbranch_execz .LBB2054_96
; %bb.95:
	s_add_i32 s2, s2, 64
	s_mov_b32 s3, 0
	s_lshl_b64 s[2:3], s[2:3], 3
	s_add_u32 s2, s36, s2
	v_add_u32_e32 v4, v3, v2
	v_mov_b32_e32 v5, 2
	s_addc_u32 s3, s37, s3
	v_mov_b32_e32 v6, 0
	global_store_dwordx2 v6, v[4:5], s[2:3] sc1
	ds_write_b64 v6, v[2:3] offset:30720
.LBB2054_96:
	s_or_b64 exec, exec, s[40:41]
	v_cmp_eq_u32_e32 vcc, 0, v0
	s_and_b64 exec, exec, vcc
	s_cbranch_execz .LBB2054_98
; %bb.97:
	v_mov_b32_e32 v2, 0
	ds_write_b32 v2, v3 offset:28
.LBB2054_98:
	s_or_b64 exec, exec, s[38:39]
	v_mov_b32_e32 v14, 0
	s_waitcnt lgkmcnt(0)
	s_barrier
	ds_read_b32 v2, v14 offset:28
	v_cndmask_b32_e64 v3, v13, v12, s[16:17]
	v_cmp_ne_u32_e32 vcc, 0, v0
	s_waitcnt lgkmcnt(0)
	s_barrier
	v_cndmask_b32_e32 v3, 0, v3, vcc
	v_add_u32_e32 v2, v2, v3
	v_add_u32_e32 v3, v2, v51
	v_add_u32_e32 v4, v3, v53
	v_add_u32_e32 v5, v4, v54
	v_add_u32_e32 v6, v5, v44
	v_add_u32_e32 v7, v6, v48
	v_add_u32_e32 v8, v7, v49
	v_add_u32_e32 v9, v8, v50
	v_add_u32_e32 v10, v9, v43
	v_add_u32_e32 v11, v10, v45
	ds_read_b64 v[24:25], v14 offset:30720
	v_add_u32_e32 v12, v11, v46
	v_add_u32_e32 v13, v12, v47
	;; [unrolled: 1-line block ×5, first 2 shown]
	s_waitcnt lgkmcnt(0)
	v_mov_b32_e32 v52, v25
	s_load_dwordx2 s[2:3], s[0:1], 0x30
	s_branch .LBB2054_109
.LBB2054_99:
                                        ; implicit-def: $vgpr52
                                        ; implicit-def: $vgpr24
                                        ; implicit-def: $vgpr2_vgpr3_vgpr4_vgpr5_vgpr6_vgpr7_vgpr8_vgpr9_vgpr10_vgpr11_vgpr12_vgpr13_vgpr14_vgpr15_vgpr16_vgpr17
	s_load_dwordx2 s[2:3], s[0:1], 0x30
	s_cbranch_execz .LBB2054_109
; %bb.100:
	v_mov_b32_dpp v2, v57 row_shr:1 row_mask:0xf bank_mask:0xf
	v_cndmask_b32_e64 v2, v2, 0, s[14:15]
	v_add_u32_e32 v2, v2, v57
	s_nop 1
	v_mov_b32_dpp v3, v2 row_shr:2 row_mask:0xf bank_mask:0xf
	v_cndmask_b32_e64 v3, 0, v3, s[12:13]
	v_add_u32_e32 v2, v2, v3
	s_nop 1
	;; [unrolled: 4-line block ×4, first 2 shown]
	v_mov_b32_dpp v3, v2 row_bcast:15 row_mask:0xf bank_mask:0xf
	v_cndmask_b32_e64 v3, v3, 0, s[6:7]
	v_add_u32_e32 v2, v2, v3
	s_nop 1
	v_mov_b32_dpp v3, v2 row_bcast:31 row_mask:0xf bank_mask:0xf
	v_cndmask_b32_e64 v3, 0, v3, s[18:19]
	v_add_u32_e32 v2, v2, v3
	s_and_saveexec_b64 s[0:1], s[4:5]
	s_cbranch_execz .LBB2054_102
; %bb.101:
	v_lshlrev_b32_e32 v3, 2, v56
	ds_write_b32 v3, v2
.LBB2054_102:
	s_or_b64 exec, exec, s[0:1]
	v_cmp_gt_u32_e32 vcc, 8, v0
	s_waitcnt lgkmcnt(0)
	s_barrier
	s_and_saveexec_b64 s[0:1], vcc
	s_cbranch_execz .LBB2054_104
; %bb.103:
	v_mad_i32_i24 v3, v0, -11, v21
	ds_read_b32 v4, v3
	v_and_b32_e32 v5, 7, v55
	v_cmp_ne_u32_e32 vcc, 0, v5
	s_waitcnt lgkmcnt(0)
	v_mov_b32_dpp v6, v4 row_shr:1 row_mask:0xf bank_mask:0xf
	v_cndmask_b32_e32 v6, 0, v6, vcc
	v_add_u32_e32 v4, v6, v4
	v_cmp_lt_u32_e32 vcc, 1, v5
	s_nop 0
	v_mov_b32_dpp v6, v4 row_shr:2 row_mask:0xf bank_mask:0xf
	v_cndmask_b32_e32 v6, 0, v6, vcc
	v_add_u32_e32 v4, v4, v6
	v_cmp_lt_u32_e32 vcc, 3, v5
	s_nop 0
	v_mov_b32_dpp v6, v4 row_shr:4 row_mask:0xf bank_mask:0xf
	v_cndmask_b32_e32 v5, 0, v6, vcc
	v_add_u32_e32 v4, v4, v5
	ds_write_b32 v3, v4
.LBB2054_104:
	s_or_b64 exec, exec, s[0:1]
	v_cmp_lt_u32_e32 vcc, 63, v0
	v_mov_b32_e32 v4, 0
	v_mov_b32_e32 v3, 0
	s_waitcnt lgkmcnt(0)
	s_barrier
	s_and_saveexec_b64 s[0:1], vcc
	s_cbranch_execz .LBB2054_106
; %bb.105:
	v_lshl_add_u32 v3, v56, 2, -4
	ds_read_b32 v3, v3
.LBB2054_106:
	s_or_b64 exec, exec, s[0:1]
	v_add_u32_e32 v5, -1, v55
	v_and_b32_e32 v6, 64, v55
	v_cmp_lt_i32_e32 vcc, v5, v6
	s_waitcnt lgkmcnt(0)
	v_add_u32_e32 v2, v3, v2
	ds_read_b32 v24, v4 offset:28
	v_cndmask_b32_e32 v5, v5, v55, vcc
	v_lshlrev_b32_e32 v5, 2, v5
	ds_bpermute_b32 v2, v5, v2
	v_cmp_eq_u32_e32 vcc, 0, v0
	s_and_saveexec_b64 s[0:1], vcc
	s_cbranch_execz .LBB2054_108
; %bb.107:
	v_mov_b32_e32 v4, 0
	v_mov_b32_e32 v25, 2
	s_waitcnt lgkmcnt(1)
	global_store_dwordx2 v4, v[24:25], s[36:37] offset:512 sc1
.LBB2054_108:
	s_or_b64 exec, exec, s[0:1]
	v_cmp_eq_u32_e64 s[0:1], 0, v55
	v_mov_b32_e32 v52, 0
	s_waitcnt lgkmcnt(0)
	v_cndmask_b32_e64 v2, v2, v3, s[0:1]
	v_cndmask_b32_e64 v2, v2, 0, vcc
	v_add_u32_e32 v3, v2, v51
	v_add_u32_e32 v4, v3, v53
	;; [unrolled: 1-line block ×14, first 2 shown]
	s_barrier
.LBB2054_109:
	v_add_u32_e32 v21, v24, v21
	v_sub_u32_e32 v2, v2, v52
	v_and_b32_e32 v47, 1, v18
	v_sub_u32_e32 v46, v21, v2
	v_cmp_eq_u32_e32 vcc, 1, v47
	v_lshrrev_b32_e32 v45, 8, v18
	v_lshrrev_b32_e32 v25, 8, v19
	v_cndmask_b32_e32 v2, v46, v2, vcc
	v_lshlrev_b32_e32 v2, 2, v2
	ds_write_b32 v2, v38
	v_sub_u32_e32 v2, v3, v52
	v_sub_u32_e32 v3, v21, v2
	v_and_b32_e32 v38, 1, v45
	v_add_u32_e32 v3, 1, v3
	v_cmp_eq_u32_e32 vcc, 1, v38
	v_lshrrev_b32_e32 v17, 8, v20
	s_add_u32 s0, s26, s24
	v_cndmask_b32_e32 v2, v3, v2, vcc
	v_lshlrev_b32_e32 v2, 2, v2
	ds_write_b32 v2, v39
	v_sub_u32_e32 v2, v4, v52
	v_mov_b32_e32 v4, 1
	v_sub_u32_e32 v3, v21, v2
	v_and_b32_sdwa v18, v4, v18 dst_sel:DWORD dst_unused:UNUSED_PAD src0_sel:DWORD src1_sel:WORD_1
	v_add_u32_e32 v3, 2, v3
	v_cmp_eq_u32_e32 vcc, 1, v18
	s_addc_u32 s1, s27, 0
	s_sub_u32 s0, s28, s0
	v_cndmask_b32_e32 v2, v3, v2, vcc
	v_lshlrev_b32_e32 v2, 2, v2
	ds_write_b32 v2, v36
	v_sub_u32_e32 v2, v5, v52
	v_sub_u32_e32 v3, v21, v2
	v_and_b32_e32 v5, 1, v44
	v_add_u32_e32 v3, 3, v3
	v_cmp_eq_u32_e32 vcc, 1, v5
	v_and_b32_e32 v5, 1, v19
	s_subb_u32 s1, s29, s1
	v_cndmask_b32_e32 v2, v3, v2, vcc
	v_lshlrev_b32_e32 v2, 2, v2
	ds_write_b32 v2, v37
	v_sub_u32_e32 v2, v6, v52
	v_sub_u32_e32 v3, v21, v2
	v_add_u32_e32 v3, 4, v3
	v_cmp_eq_u32_e32 vcc, 1, v5
	v_and_b32_e32 v5, 1, v25
	v_or_b32_e32 v50, 0x200, v0
	v_cndmask_b32_e32 v2, v3, v2, vcc
	v_lshlrev_b32_e32 v2, 2, v2
	ds_write_b32 v2, v34
	v_sub_u32_e32 v2, v7, v52
	v_sub_u32_e32 v3, v21, v2
	v_add_u32_e32 v3, 5, v3
	v_cmp_eq_u32_e32 vcc, 1, v5
	v_and_b32_sdwa v5, v4, v19 dst_sel:DWORD dst_unused:UNUSED_PAD src0_sel:DWORD src1_sel:WORD_1
	v_and_b32_sdwa v4, v4, v20 dst_sel:DWORD dst_unused:UNUSED_PAD src0_sel:DWORD src1_sel:WORD_1
	v_cndmask_b32_e32 v2, v3, v2, vcc
	v_lshlrev_b32_e32 v2, 2, v2
	ds_write_b32 v2, v35
	v_sub_u32_e32 v2, v8, v52
	v_sub_u32_e32 v3, v21, v2
	v_add_u32_e32 v3, 6, v3
	v_cmp_eq_u32_e32 vcc, 1, v5
	v_and_b32_e32 v5, 1, v43
	v_or_b32_e32 v46, 0x400, v0
	v_cndmask_b32_e32 v2, v3, v2, vcc
	v_lshlrev_b32_e32 v2, 2, v2
	ds_write_b32 v2, v32
	v_sub_u32_e32 v2, v9, v52
	v_sub_u32_e32 v3, v21, v2
	v_add_u32_e32 v3, 7, v3
	v_cmp_eq_u32_e32 vcc, 1, v5
	v_and_b32_e32 v5, 1, v20
	v_or_b32_e32 v44, 0x600, v0
	;; [unrolled: 9-line block ×3, first 2 shown]
	v_cndmask_b32_e32 v2, v3, v2, vcc
	v_lshlrev_b32_e32 v2, 2, v2
	ds_write_b32 v2, v30
	v_sub_u32_e32 v2, v11, v52
	v_sub_u32_e32 v3, v21, v2
	v_add_u32_e32 v3, 9, v3
	v_cmp_eq_u32_e32 vcc, 1, v5
	v_or_b32_e32 v34, 0xc00, v0
	v_or_b32_e32 v32, 0xe00, v0
	v_cndmask_b32_e32 v2, v3, v2, vcc
	v_lshlrev_b32_e32 v2, 2, v2
	ds_write_b32 v2, v31
	v_sub_u32_e32 v2, v12, v52
	v_sub_u32_e32 v3, v21, v2
	v_add_u32_e32 v3, 10, v3
	v_cmp_eq_u32_e32 vcc, 1, v4
	v_and_b32_e32 v4, 1, v41
	v_or_b32_e32 v18, 0x1400, v0
	v_cndmask_b32_e32 v2, v3, v2, vcc
	v_lshlrev_b32_e32 v2, 2, v2
	ds_write_b32 v2, v28
	v_sub_u32_e32 v2, v13, v52
	v_sub_u32_e32 v3, v21, v2
	v_add_u32_e32 v3, 11, v3
	v_cmp_eq_u32_e32 vcc, 1, v4
	v_or_b32_e32 v28, 0x1000, v0
	v_or_b32_e32 v12, 0x1800, v0
	v_cndmask_b32_e32 v2, v3, v2, vcc
	v_lshlrev_b32_e32 v2, 2, v2
	ds_write_b32 v2, v29
	v_sub_u32_e32 v2, v14, v52
	v_sub_u32_e32 v3, v21, v2
	v_add_u32_e32 v3, 12, v3
	v_cmp_eq_u32_e32 vcc, 1, v42
	v_or_b32_e32 v10, 0x1a00, v0
	;; [unrolled: 9-line block ×4, first 2 shown]
	s_nop 0
	v_cndmask_b32_e32 v2, v3, v2, vcc
	v_lshlrev_b32_e32 v2, 2, v2
	ds_write_b32 v2, v1
	s_waitcnt lgkmcnt(0)
	s_barrier
	ds_read2st64_b32 v[48:49], v22 offset1:8
	ds_read2st64_b32 v[42:43], v22 offset0:16 offset1:24
	ds_read2st64_b32 v[36:37], v22 offset0:32 offset1:40
	ds_read2st64_b32 v[30:31], v22 offset0:48 offset1:56
	ds_read2st64_b32 v[20:21], v22 offset0:64 offset1:72
	ds_read2st64_b32 v[14:15], v22 offset0:80 offset1:88
	ds_read2st64_b32 v[8:9], v22 offset0:96 offset1:104
	ds_read_b32 v54, v22 offset:28672
	v_mov_b32_e32 v1, 0
	v_mov_b32_e32 v53, v1
	;; [unrolled: 1-line block ×3, first 2 shown]
	v_lshl_add_u64 v[2:3], s[30:31], 0, v[52:53]
	v_lshl_add_u64 v[6:7], s[0:1], 0, v[24:25]
	v_mov_b32_e32 v51, v1
	v_mov_b32_e32 v47, v1
	;; [unrolled: 1-line block ×14, first 2 shown]
	s_andn2_b64 vcc, exec, s[34:35]
	v_lshl_add_u64 v[6:7], v[6:7], 0, v[2:3]
	s_cbranch_vccnz .LBB2054_171
; %bb.110:
	v_cmp_ge_u32_e32 vcc, v0, v24
                                        ; implicit-def: $vgpr22_vgpr23
	s_and_saveexec_b64 s[0:1], vcc
	s_xor_b64 s[0:1], exec, s[0:1]
; %bb.111:
	v_not_b32_e32 v22, v0
	v_ashrrev_i32_e32 v23, 31, v22
	v_lshl_add_u64 v[22:23], v[6:7], 0, v[22:23]
; %bb.112:
	s_andn2_saveexec_b64 s[0:1], s[0:1]
; %bb.113:
	v_lshl_add_u64 v[22:23], v[2:3], 0, v[0:1]
; %bb.114:
	s_or_b64 exec, exec, s[0:1]
	v_lshl_add_u64 v[22:23], v[22:23], 2, s[2:3]
	v_cmp_ge_u32_e32 vcc, v50, v24
	s_waitcnt lgkmcnt(7)
	global_store_dword v[22:23], v48, off
                                        ; implicit-def: $vgpr22_vgpr23
	s_and_saveexec_b64 s[0:1], vcc
	s_xor_b64 s[0:1], exec, s[0:1]
; %bb.115:
	v_xor_b32_e32 v22, 0xfffffdff, v0
	v_ashrrev_i32_e32 v23, 31, v22
	v_lshl_add_u64 v[22:23], v[6:7], 0, v[22:23]
; %bb.116:
	s_andn2_saveexec_b64 s[0:1], s[0:1]
; %bb.117:
	v_lshl_add_u64 v[22:23], v[2:3], 0, v[50:51]
; %bb.118:
	s_or_b64 exec, exec, s[0:1]
	v_lshl_add_u64 v[22:23], v[22:23], 2, s[2:3]
	v_cmp_ge_u32_e32 vcc, v46, v24
	global_store_dword v[22:23], v49, off
                                        ; implicit-def: $vgpr22_vgpr23
	s_and_saveexec_b64 s[0:1], vcc
	s_xor_b64 s[0:1], exec, s[0:1]
; %bb.119:
	v_xor_b32_e32 v22, 0xfffffbff, v0
	v_ashrrev_i32_e32 v23, 31, v22
	v_lshl_add_u64 v[22:23], v[6:7], 0, v[22:23]
; %bb.120:
	s_andn2_saveexec_b64 s[0:1], s[0:1]
; %bb.121:
	v_lshl_add_u64 v[22:23], v[2:3], 0, v[46:47]
; %bb.122:
	s_or_b64 exec, exec, s[0:1]
	v_lshl_add_u64 v[22:23], v[22:23], 2, s[2:3]
	v_cmp_ge_u32_e32 vcc, v44, v24
	s_waitcnt lgkmcnt(6)
	global_store_dword v[22:23], v42, off
                                        ; implicit-def: $vgpr22_vgpr23
	s_and_saveexec_b64 s[0:1], vcc
	s_xor_b64 s[0:1], exec, s[0:1]
; %bb.123:
	v_xor_b32_e32 v22, 0xfffff9ff, v0
	v_ashrrev_i32_e32 v23, 31, v22
	v_lshl_add_u64 v[22:23], v[6:7], 0, v[22:23]
; %bb.124:
	s_andn2_saveexec_b64 s[0:1], s[0:1]
; %bb.125:
	v_lshl_add_u64 v[22:23], v[2:3], 0, v[44:45]
; %bb.126:
	s_or_b64 exec, exec, s[0:1]
	v_lshl_add_u64 v[22:23], v[22:23], 2, s[2:3]
	v_cmp_ge_u32_e32 vcc, v40, v24
	global_store_dword v[22:23], v43, off
                                        ; implicit-def: $vgpr22_vgpr23
	s_and_saveexec_b64 s[0:1], vcc
	s_xor_b64 s[0:1], exec, s[0:1]
; %bb.127:
	v_xor_b32_e32 v22, 0xfffff7ff, v0
	;; [unrolled: 33-line block ×7, first 2 shown]
	v_ashrrev_i32_e32 v23, 31, v22
	v_lshl_add_u64 v[22:23], v[6:7], 0, v[22:23]
; %bb.168:
	s_andn2_saveexec_b64 s[0:1], s[0:1]
; %bb.169:
	v_lshl_add_u64 v[22:23], v[2:3], 0, v[4:5]
; %bb.170:
	s_or_b64 exec, exec, s[0:1]
	s_mov_b64 s[0:1], -1
	s_branch .LBB2054_263
.LBB2054_171:
	s_mov_b64 s[0:1], 0
                                        ; implicit-def: $vgpr22_vgpr23
	s_cbranch_execz .LBB2054_263
; %bb.172:
	v_cmp_gt_u32_e32 vcc, s33, v0
	s_and_saveexec_b64 s[4:5], vcc
	s_cbranch_execz .LBB2054_214
; %bb.173:
	v_cmp_ge_u32_e32 vcc, v0, v24
                                        ; implicit-def: $vgpr22_vgpr23
	s_and_saveexec_b64 s[6:7], vcc
	s_xor_b64 s[6:7], exec, s[6:7]
; %bb.174:
	v_not_b32_e32 v22, v0
	v_ashrrev_i32_e32 v23, 31, v22
	v_lshl_add_u64 v[22:23], v[6:7], 0, v[22:23]
; %bb.175:
	s_andn2_saveexec_b64 s[6:7], s[6:7]
; %bb.176:
	v_lshl_add_u64 v[22:23], v[2:3], 0, v[0:1]
; %bb.177:
	s_or_b64 exec, exec, s[6:7]
	v_lshl_add_u64 v[22:23], v[22:23], 2, s[2:3]
	s_waitcnt lgkmcnt(7)
	global_store_dword v[22:23], v48, off
	s_or_b64 exec, exec, s[4:5]
	v_cmp_gt_u32_e32 vcc, s33, v50
	s_and_saveexec_b64 s[4:5], vcc
	s_cbranch_execnz .LBB2054_215
.LBB2054_178:
	s_or_b64 exec, exec, s[4:5]
	v_cmp_gt_u32_e32 vcc, s33, v46
	s_and_saveexec_b64 s[4:5], vcc
	s_cbranch_execz .LBB2054_220
.LBB2054_179:
	v_cmp_ge_u32_e32 vcc, v46, v24
                                        ; implicit-def: $vgpr22_vgpr23
	s_and_saveexec_b64 s[6:7], vcc
	s_xor_b64 s[6:7], exec, s[6:7]
; %bb.180:
	v_xor_b32_e32 v22, 0xfffffbff, v0
	v_ashrrev_i32_e32 v23, 31, v22
	v_lshl_add_u64 v[22:23], v[6:7], 0, v[22:23]
                                        ; implicit-def: $vgpr46_vgpr47
; %bb.181:
	s_andn2_saveexec_b64 s[6:7], s[6:7]
; %bb.182:
	v_lshl_add_u64 v[22:23], v[2:3], 0, v[46:47]
; %bb.183:
	s_or_b64 exec, exec, s[6:7]
	v_lshl_add_u64 v[22:23], v[22:23], 2, s[2:3]
	s_waitcnt lgkmcnt(6)
	global_store_dword v[22:23], v42, off
	s_or_b64 exec, exec, s[4:5]
	v_cmp_gt_u32_e32 vcc, s33, v44
	s_and_saveexec_b64 s[4:5], vcc
	s_cbranch_execnz .LBB2054_221
.LBB2054_184:
	s_or_b64 exec, exec, s[4:5]
	v_cmp_gt_u32_e32 vcc, s33, v40
	s_and_saveexec_b64 s[4:5], vcc
	s_cbranch_execz .LBB2054_226
.LBB2054_185:
	v_cmp_ge_u32_e32 vcc, v40, v24
                                        ; implicit-def: $vgpr22_vgpr23
	s_and_saveexec_b64 s[6:7], vcc
	s_xor_b64 s[6:7], exec, s[6:7]
; %bb.186:
	v_xor_b32_e32 v22, 0xfffff7ff, v0
	v_ashrrev_i32_e32 v23, 31, v22
	v_lshl_add_u64 v[22:23], v[6:7], 0, v[22:23]
                                        ; implicit-def: $vgpr40_vgpr41
; %bb.187:
	s_andn2_saveexec_b64 s[6:7], s[6:7]
; %bb.188:
	v_lshl_add_u64 v[22:23], v[2:3], 0, v[40:41]
; %bb.189:
	s_or_b64 exec, exec, s[6:7]
	v_lshl_add_u64 v[22:23], v[22:23], 2, s[2:3]
	s_waitcnt lgkmcnt(5)
	global_store_dword v[22:23], v36, off
	s_or_b64 exec, exec, s[4:5]
	v_cmp_gt_u32_e32 vcc, s33, v38
	s_and_saveexec_b64 s[4:5], vcc
	s_cbranch_execnz .LBB2054_227
.LBB2054_190:
	s_or_b64 exec, exec, s[4:5]
	v_cmp_gt_u32_e32 vcc, s33, v34
	s_and_saveexec_b64 s[4:5], vcc
	s_cbranch_execz .LBB2054_232
.LBB2054_191:
	v_cmp_ge_u32_e32 vcc, v34, v24
                                        ; implicit-def: $vgpr22_vgpr23
	s_and_saveexec_b64 s[6:7], vcc
	s_xor_b64 s[6:7], exec, s[6:7]
; %bb.192:
	v_xor_b32_e32 v22, 0xfffff3ff, v0
	v_ashrrev_i32_e32 v23, 31, v22
	v_lshl_add_u64 v[22:23], v[6:7], 0, v[22:23]
                                        ; implicit-def: $vgpr34_vgpr35
; %bb.193:
	s_andn2_saveexec_b64 s[6:7], s[6:7]
; %bb.194:
	v_lshl_add_u64 v[22:23], v[2:3], 0, v[34:35]
; %bb.195:
	s_or_b64 exec, exec, s[6:7]
	v_lshl_add_u64 v[22:23], v[22:23], 2, s[2:3]
	s_waitcnt lgkmcnt(4)
	global_store_dword v[22:23], v30, off
	s_or_b64 exec, exec, s[4:5]
	v_cmp_gt_u32_e32 vcc, s33, v32
	s_and_saveexec_b64 s[4:5], vcc
	s_cbranch_execnz .LBB2054_233
.LBB2054_196:
	s_or_b64 exec, exec, s[4:5]
	v_cmp_gt_u32_e32 vcc, s33, v28
	s_and_saveexec_b64 s[4:5], vcc
	s_cbranch_execz .LBB2054_238
.LBB2054_197:
	v_cmp_ge_u32_e32 vcc, v28, v24
                                        ; implicit-def: $vgpr22_vgpr23
	s_and_saveexec_b64 s[6:7], vcc
	s_xor_b64 s[6:7], exec, s[6:7]
; %bb.198:
	v_xor_b32_e32 v22, 0xffffefff, v0
	v_ashrrev_i32_e32 v23, 31, v22
	v_lshl_add_u64 v[22:23], v[6:7], 0, v[22:23]
                                        ; implicit-def: $vgpr28_vgpr29
; %bb.199:
	s_andn2_saveexec_b64 s[6:7], s[6:7]
; %bb.200:
	v_lshl_add_u64 v[22:23], v[2:3], 0, v[28:29]
; %bb.201:
	s_or_b64 exec, exec, s[6:7]
	v_lshl_add_u64 v[22:23], v[22:23], 2, s[2:3]
	s_waitcnt lgkmcnt(3)
	global_store_dword v[22:23], v20, off
	s_or_b64 exec, exec, s[4:5]
	v_cmp_gt_u32_e32 vcc, s33, v26
	s_and_saveexec_b64 s[4:5], vcc
	s_cbranch_execnz .LBB2054_239
.LBB2054_202:
	s_or_b64 exec, exec, s[4:5]
	v_cmp_gt_u32_e32 vcc, s33, v18
	s_and_saveexec_b64 s[4:5], vcc
	s_cbranch_execz .LBB2054_244
.LBB2054_203:
	v_cmp_ge_u32_e32 vcc, v18, v24
                                        ; implicit-def: $vgpr20_vgpr21
	s_and_saveexec_b64 s[6:7], vcc
	s_xor_b64 s[6:7], exec, s[6:7]
	s_cbranch_execz .LBB2054_205
; %bb.204:
	v_xor_b32_e32 v18, 0xffffebff, v0
	v_ashrrev_i32_e32 v19, 31, v18
	s_waitcnt lgkmcnt(3)
	v_lshl_add_u64 v[20:21], v[6:7], 0, v[18:19]
                                        ; implicit-def: $vgpr18_vgpr19
.LBB2054_205:
	s_andn2_saveexec_b64 s[6:7], s[6:7]
	s_cbranch_execz .LBB2054_207
; %bb.206:
	s_waitcnt lgkmcnt(3)
	v_lshl_add_u64 v[20:21], v[2:3], 0, v[18:19]
.LBB2054_207:
	s_or_b64 exec, exec, s[6:7]
	s_waitcnt lgkmcnt(3)
	v_lshl_add_u64 v[18:19], v[20:21], 2, s[2:3]
	s_waitcnt lgkmcnt(2)
	global_store_dword v[18:19], v14, off
	s_or_b64 exec, exec, s[4:5]
	v_cmp_gt_u32_e32 vcc, s33, v16
	s_and_saveexec_b64 s[4:5], vcc
	s_cbranch_execnz .LBB2054_245
.LBB2054_208:
	s_or_b64 exec, exec, s[4:5]
	v_cmp_gt_u32_e32 vcc, s33, v12
	s_and_saveexec_b64 s[4:5], vcc
	s_cbranch_execz .LBB2054_250
.LBB2054_209:
	v_cmp_ge_u32_e32 vcc, v12, v24
                                        ; implicit-def: $vgpr14_vgpr15
	s_and_saveexec_b64 s[6:7], vcc
	s_xor_b64 s[6:7], exec, s[6:7]
	s_cbranch_execz .LBB2054_211
; %bb.210:
	v_xor_b32_e32 v12, 0xffffe7ff, v0
	v_ashrrev_i32_e32 v13, 31, v12
	s_waitcnt lgkmcnt(2)
	v_lshl_add_u64 v[14:15], v[6:7], 0, v[12:13]
                                        ; implicit-def: $vgpr12_vgpr13
.LBB2054_211:
	s_andn2_saveexec_b64 s[6:7], s[6:7]
	s_cbranch_execz .LBB2054_213
; %bb.212:
	s_waitcnt lgkmcnt(2)
	v_lshl_add_u64 v[14:15], v[2:3], 0, v[12:13]
.LBB2054_213:
	s_or_b64 exec, exec, s[6:7]
	s_waitcnt lgkmcnt(2)
	v_lshl_add_u64 v[12:13], v[14:15], 2, s[2:3]
	s_waitcnt lgkmcnt(1)
	global_store_dword v[12:13], v8, off
	s_or_b64 exec, exec, s[4:5]
	v_cmp_gt_u32_e32 vcc, s33, v10
	s_and_saveexec_b64 s[4:5], vcc
	s_cbranch_execz .LBB2054_256
	s_branch .LBB2054_251
.LBB2054_214:
	s_or_b64 exec, exec, s[4:5]
	v_cmp_gt_u32_e32 vcc, s33, v50
	s_and_saveexec_b64 s[4:5], vcc
	s_cbranch_execz .LBB2054_178
.LBB2054_215:
	v_cmp_ge_u32_e32 vcc, v50, v24
                                        ; implicit-def: $vgpr22_vgpr23
	s_and_saveexec_b64 s[6:7], vcc
	s_xor_b64 s[6:7], exec, s[6:7]
; %bb.216:
	v_xor_b32_e32 v22, 0xfffffdff, v0
	v_ashrrev_i32_e32 v23, 31, v22
	v_lshl_add_u64 v[22:23], v[6:7], 0, v[22:23]
                                        ; implicit-def: $vgpr50_vgpr51
; %bb.217:
	s_andn2_saveexec_b64 s[6:7], s[6:7]
; %bb.218:
	v_lshl_add_u64 v[22:23], v[2:3], 0, v[50:51]
; %bb.219:
	s_or_b64 exec, exec, s[6:7]
	v_lshl_add_u64 v[22:23], v[22:23], 2, s[2:3]
	s_waitcnt lgkmcnt(7)
	global_store_dword v[22:23], v49, off
	s_or_b64 exec, exec, s[4:5]
	v_cmp_gt_u32_e32 vcc, s33, v46
	s_and_saveexec_b64 s[4:5], vcc
	s_cbranch_execnz .LBB2054_179
.LBB2054_220:
	s_or_b64 exec, exec, s[4:5]
	v_cmp_gt_u32_e32 vcc, s33, v44
	s_and_saveexec_b64 s[4:5], vcc
	s_cbranch_execz .LBB2054_184
.LBB2054_221:
	v_cmp_ge_u32_e32 vcc, v44, v24
                                        ; implicit-def: $vgpr22_vgpr23
	s_and_saveexec_b64 s[6:7], vcc
	s_xor_b64 s[6:7], exec, s[6:7]
; %bb.222:
	v_xor_b32_e32 v22, 0xfffff9ff, v0
	v_ashrrev_i32_e32 v23, 31, v22
	v_lshl_add_u64 v[22:23], v[6:7], 0, v[22:23]
                                        ; implicit-def: $vgpr44_vgpr45
; %bb.223:
	s_andn2_saveexec_b64 s[6:7], s[6:7]
; %bb.224:
	v_lshl_add_u64 v[22:23], v[2:3], 0, v[44:45]
; %bb.225:
	s_or_b64 exec, exec, s[6:7]
	v_lshl_add_u64 v[22:23], v[22:23], 2, s[2:3]
	s_waitcnt lgkmcnt(6)
	global_store_dword v[22:23], v43, off
	s_or_b64 exec, exec, s[4:5]
	v_cmp_gt_u32_e32 vcc, s33, v40
	s_and_saveexec_b64 s[4:5], vcc
	s_cbranch_execnz .LBB2054_185
.LBB2054_226:
	s_or_b64 exec, exec, s[4:5]
	v_cmp_gt_u32_e32 vcc, s33, v38
	s_and_saveexec_b64 s[4:5], vcc
	s_cbranch_execz .LBB2054_190
.LBB2054_227:
	v_cmp_ge_u32_e32 vcc, v38, v24
                                        ; implicit-def: $vgpr22_vgpr23
	s_and_saveexec_b64 s[6:7], vcc
	s_xor_b64 s[6:7], exec, s[6:7]
; %bb.228:
	v_xor_b32_e32 v22, 0xfffff5ff, v0
	v_ashrrev_i32_e32 v23, 31, v22
	v_lshl_add_u64 v[22:23], v[6:7], 0, v[22:23]
                                        ; implicit-def: $vgpr38_vgpr39
; %bb.229:
	s_andn2_saveexec_b64 s[6:7], s[6:7]
; %bb.230:
	v_lshl_add_u64 v[22:23], v[2:3], 0, v[38:39]
; %bb.231:
	s_or_b64 exec, exec, s[6:7]
	v_lshl_add_u64 v[22:23], v[22:23], 2, s[2:3]
	s_waitcnt lgkmcnt(5)
	global_store_dword v[22:23], v37, off
	s_or_b64 exec, exec, s[4:5]
	v_cmp_gt_u32_e32 vcc, s33, v34
	s_and_saveexec_b64 s[4:5], vcc
	s_cbranch_execnz .LBB2054_191
.LBB2054_232:
	s_or_b64 exec, exec, s[4:5]
	v_cmp_gt_u32_e32 vcc, s33, v32
	s_and_saveexec_b64 s[4:5], vcc
	s_cbranch_execz .LBB2054_196
.LBB2054_233:
	v_cmp_ge_u32_e32 vcc, v32, v24
                                        ; implicit-def: $vgpr22_vgpr23
	s_and_saveexec_b64 s[6:7], vcc
	s_xor_b64 s[6:7], exec, s[6:7]
; %bb.234:
	v_xor_b32_e32 v22, 0xfffff1ff, v0
	v_ashrrev_i32_e32 v23, 31, v22
	v_lshl_add_u64 v[22:23], v[6:7], 0, v[22:23]
                                        ; implicit-def: $vgpr32_vgpr33
; %bb.235:
	s_andn2_saveexec_b64 s[6:7], s[6:7]
; %bb.236:
	v_lshl_add_u64 v[22:23], v[2:3], 0, v[32:33]
; %bb.237:
	s_or_b64 exec, exec, s[6:7]
	v_lshl_add_u64 v[22:23], v[22:23], 2, s[2:3]
	s_waitcnt lgkmcnt(4)
	global_store_dword v[22:23], v31, off
	s_or_b64 exec, exec, s[4:5]
	v_cmp_gt_u32_e32 vcc, s33, v28
	s_and_saveexec_b64 s[4:5], vcc
	s_cbranch_execnz .LBB2054_197
.LBB2054_238:
	s_or_b64 exec, exec, s[4:5]
	v_cmp_gt_u32_e32 vcc, s33, v26
	s_and_saveexec_b64 s[4:5], vcc
	s_cbranch_execz .LBB2054_202
.LBB2054_239:
	v_cmp_ge_u32_e32 vcc, v26, v24
                                        ; implicit-def: $vgpr22_vgpr23
	s_and_saveexec_b64 s[6:7], vcc
	s_xor_b64 s[6:7], exec, s[6:7]
; %bb.240:
	v_xor_b32_e32 v22, 0xffffedff, v0
	v_ashrrev_i32_e32 v23, 31, v22
	v_lshl_add_u64 v[22:23], v[6:7], 0, v[22:23]
                                        ; implicit-def: $vgpr26_vgpr27
; %bb.241:
	s_andn2_saveexec_b64 s[6:7], s[6:7]
; %bb.242:
	v_lshl_add_u64 v[22:23], v[2:3], 0, v[26:27]
; %bb.243:
	s_or_b64 exec, exec, s[6:7]
	v_lshl_add_u64 v[22:23], v[22:23], 2, s[2:3]
	s_waitcnt lgkmcnt(3)
	global_store_dword v[22:23], v21, off
	s_or_b64 exec, exec, s[4:5]
	v_cmp_gt_u32_e32 vcc, s33, v18
	s_and_saveexec_b64 s[4:5], vcc
	s_cbranch_execnz .LBB2054_203
.LBB2054_244:
	s_or_b64 exec, exec, s[4:5]
	v_cmp_gt_u32_e32 vcc, s33, v16
	s_and_saveexec_b64 s[4:5], vcc
	s_cbranch_execz .LBB2054_208
.LBB2054_245:
	v_cmp_ge_u32_e32 vcc, v16, v24
                                        ; implicit-def: $vgpr18_vgpr19
	s_and_saveexec_b64 s[6:7], vcc
	s_xor_b64 s[6:7], exec, s[6:7]
; %bb.246:
	v_xor_b32_e32 v16, 0xffffe9ff, v0
	v_ashrrev_i32_e32 v17, 31, v16
	v_lshl_add_u64 v[18:19], v[6:7], 0, v[16:17]
                                        ; implicit-def: $vgpr16_vgpr17
; %bb.247:
	s_andn2_saveexec_b64 s[6:7], s[6:7]
; %bb.248:
	v_lshl_add_u64 v[18:19], v[2:3], 0, v[16:17]
; %bb.249:
	s_or_b64 exec, exec, s[6:7]
	v_lshl_add_u64 v[16:17], v[18:19], 2, s[2:3]
	s_waitcnt lgkmcnt(2)
	global_store_dword v[16:17], v15, off
	s_or_b64 exec, exec, s[4:5]
	v_cmp_gt_u32_e32 vcc, s33, v12
	s_and_saveexec_b64 s[4:5], vcc
	s_cbranch_execnz .LBB2054_209
.LBB2054_250:
	s_or_b64 exec, exec, s[4:5]
	v_cmp_gt_u32_e32 vcc, s33, v10
	s_and_saveexec_b64 s[4:5], vcc
	s_cbranch_execz .LBB2054_256
.LBB2054_251:
	v_cmp_ge_u32_e32 vcc, v10, v24
                                        ; implicit-def: $vgpr12_vgpr13
	s_and_saveexec_b64 s[6:7], vcc
	s_xor_b64 s[6:7], exec, s[6:7]
; %bb.252:
	v_xor_b32_e32 v10, 0xffffe5ff, v0
	v_ashrrev_i32_e32 v11, 31, v10
	v_lshl_add_u64 v[12:13], v[6:7], 0, v[10:11]
                                        ; implicit-def: $vgpr10_vgpr11
; %bb.253:
	s_andn2_saveexec_b64 s[6:7], s[6:7]
; %bb.254:
	v_lshl_add_u64 v[12:13], v[2:3], 0, v[10:11]
; %bb.255:
	s_or_b64 exec, exec, s[6:7]
	v_lshl_add_u64 v[10:11], v[12:13], 2, s[2:3]
	s_waitcnt lgkmcnt(1)
	global_store_dword v[10:11], v9, off
.LBB2054_256:
	s_or_b64 exec, exec, s[4:5]
	v_cmp_gt_u32_e32 vcc, s33, v4
                                        ; implicit-def: $vgpr22_vgpr23
	s_and_saveexec_b64 s[4:5], vcc
	s_cbranch_execz .LBB2054_262
; %bb.257:
	v_cmp_ge_u32_e32 vcc, v4, v24
                                        ; implicit-def: $vgpr22_vgpr23
	s_and_saveexec_b64 s[6:7], vcc
	s_xor_b64 s[6:7], exec, s[6:7]
; %bb.258:
	v_xor_b32_e32 v4, 0xffffe3ff, v0
	v_ashrrev_i32_e32 v5, 31, v4
	v_lshl_add_u64 v[22:23], v[6:7], 0, v[4:5]
                                        ; implicit-def: $vgpr4_vgpr5
; %bb.259:
	s_andn2_saveexec_b64 s[6:7], s[6:7]
; %bb.260:
	v_lshl_add_u64 v[22:23], v[2:3], 0, v[4:5]
; %bb.261:
	s_or_b64 exec, exec, s[6:7]
	s_or_b64 s[0:1], s[0:1], exec
.LBB2054_262:
	s_or_b64 exec, exec, s[4:5]
.LBB2054_263:
	s_and_saveexec_b64 s[4:5], s[0:1]
	s_cbranch_execz .LBB2054_265
; %bb.264:
	v_lshl_add_u64 v[4:5], v[22:23], 2, s[2:3]
	s_waitcnt lgkmcnt(0)
	global_store_dword v[4:5], v54, off
.LBB2054_265:
	s_or_b64 exec, exec, s[4:5]
	v_cmp_eq_u32_e32 vcc, 0, v0
	s_and_b64 s[0:1], vcc, s[22:23]
	s_and_saveexec_b64 s[2:3], s[0:1]
	s_cbranch_execz .LBB2054_267
; %bb.266:
	v_mov_b32_e32 v4, 0
	v_lshl_add_u64 v[0:1], v[2:3], 0, v[24:25]
	global_store_dwordx2 v4, v[0:1], s[20:21]
.LBB2054_267:
	s_endpgm
	.section	.rodata,"a",@progbits
	.p2align	6, 0x0
	.amdhsa_kernel _ZN7rocprim17ROCPRIM_400000_NS6detail17trampoline_kernelINS0_14default_configENS1_25partition_config_selectorILNS1_17partition_subalgoE2EjNS0_10empty_typeEbEEZZNS1_14partition_implILS5_2ELb0ES3_jN6thrust23THRUST_200600_302600_NS6detail15normal_iteratorINSA_7pointerIjNSA_11hip_rocprim3tagENSA_11use_defaultESG_EEEEPS6_NSA_18transform_iteratorI7is_evenIjENSC_INSA_10device_ptrIjEEEESG_SG_EENS0_5tupleIJPjSJ_EEENSR_IJSJ_SJ_EEES6_PlJS6_EEE10hipError_tPvRmT3_T4_T5_T6_T7_T9_mT8_P12ihipStream_tbDpT10_ENKUlT_T0_E_clISt17integral_constantIbLb1EES1E_IbLb0EEEEDaS1A_S1B_EUlS1A_E_NS1_11comp_targetILNS1_3genE5ELNS1_11target_archE942ELNS1_3gpuE9ELNS1_3repE0EEENS1_30default_config_static_selectorELNS0_4arch9wavefront6targetE1EEEvT1_
		.amdhsa_group_segment_fixed_size 30728
		.amdhsa_private_segment_fixed_size 0
		.amdhsa_kernarg_size 128
		.amdhsa_user_sgpr_count 2
		.amdhsa_user_sgpr_dispatch_ptr 0
		.amdhsa_user_sgpr_queue_ptr 0
		.amdhsa_user_sgpr_kernarg_segment_ptr 1
		.amdhsa_user_sgpr_dispatch_id 0
		.amdhsa_user_sgpr_kernarg_preload_length 0
		.amdhsa_user_sgpr_kernarg_preload_offset 0
		.amdhsa_user_sgpr_private_segment_size 0
		.amdhsa_uses_dynamic_stack 0
		.amdhsa_enable_private_segment 0
		.amdhsa_system_sgpr_workgroup_id_x 1
		.amdhsa_system_sgpr_workgroup_id_y 0
		.amdhsa_system_sgpr_workgroup_id_z 0
		.amdhsa_system_sgpr_workgroup_info 0
		.amdhsa_system_vgpr_workitem_id 0
		.amdhsa_next_free_vgpr 65
		.amdhsa_next_free_sgpr 46
		.amdhsa_accum_offset 68
		.amdhsa_reserve_vcc 1
		.amdhsa_float_round_mode_32 0
		.amdhsa_float_round_mode_16_64 0
		.amdhsa_float_denorm_mode_32 3
		.amdhsa_float_denorm_mode_16_64 3
		.amdhsa_dx10_clamp 1
		.amdhsa_ieee_mode 1
		.amdhsa_fp16_overflow 0
		.amdhsa_tg_split 0
		.amdhsa_exception_fp_ieee_invalid_op 0
		.amdhsa_exception_fp_denorm_src 0
		.amdhsa_exception_fp_ieee_div_zero 0
		.amdhsa_exception_fp_ieee_overflow 0
		.amdhsa_exception_fp_ieee_underflow 0
		.amdhsa_exception_fp_ieee_inexact 0
		.amdhsa_exception_int_div_zero 0
	.end_amdhsa_kernel
	.section	.text._ZN7rocprim17ROCPRIM_400000_NS6detail17trampoline_kernelINS0_14default_configENS1_25partition_config_selectorILNS1_17partition_subalgoE2EjNS0_10empty_typeEbEEZZNS1_14partition_implILS5_2ELb0ES3_jN6thrust23THRUST_200600_302600_NS6detail15normal_iteratorINSA_7pointerIjNSA_11hip_rocprim3tagENSA_11use_defaultESG_EEEEPS6_NSA_18transform_iteratorI7is_evenIjENSC_INSA_10device_ptrIjEEEESG_SG_EENS0_5tupleIJPjSJ_EEENSR_IJSJ_SJ_EEES6_PlJS6_EEE10hipError_tPvRmT3_T4_T5_T6_T7_T9_mT8_P12ihipStream_tbDpT10_ENKUlT_T0_E_clISt17integral_constantIbLb1EES1E_IbLb0EEEEDaS1A_S1B_EUlS1A_E_NS1_11comp_targetILNS1_3genE5ELNS1_11target_archE942ELNS1_3gpuE9ELNS1_3repE0EEENS1_30default_config_static_selectorELNS0_4arch9wavefront6targetE1EEEvT1_,"axG",@progbits,_ZN7rocprim17ROCPRIM_400000_NS6detail17trampoline_kernelINS0_14default_configENS1_25partition_config_selectorILNS1_17partition_subalgoE2EjNS0_10empty_typeEbEEZZNS1_14partition_implILS5_2ELb0ES3_jN6thrust23THRUST_200600_302600_NS6detail15normal_iteratorINSA_7pointerIjNSA_11hip_rocprim3tagENSA_11use_defaultESG_EEEEPS6_NSA_18transform_iteratorI7is_evenIjENSC_INSA_10device_ptrIjEEEESG_SG_EENS0_5tupleIJPjSJ_EEENSR_IJSJ_SJ_EEES6_PlJS6_EEE10hipError_tPvRmT3_T4_T5_T6_T7_T9_mT8_P12ihipStream_tbDpT10_ENKUlT_T0_E_clISt17integral_constantIbLb1EES1E_IbLb0EEEEDaS1A_S1B_EUlS1A_E_NS1_11comp_targetILNS1_3genE5ELNS1_11target_archE942ELNS1_3gpuE9ELNS1_3repE0EEENS1_30default_config_static_selectorELNS0_4arch9wavefront6targetE1EEEvT1_,comdat
.Lfunc_end2054:
	.size	_ZN7rocprim17ROCPRIM_400000_NS6detail17trampoline_kernelINS0_14default_configENS1_25partition_config_selectorILNS1_17partition_subalgoE2EjNS0_10empty_typeEbEEZZNS1_14partition_implILS5_2ELb0ES3_jN6thrust23THRUST_200600_302600_NS6detail15normal_iteratorINSA_7pointerIjNSA_11hip_rocprim3tagENSA_11use_defaultESG_EEEEPS6_NSA_18transform_iteratorI7is_evenIjENSC_INSA_10device_ptrIjEEEESG_SG_EENS0_5tupleIJPjSJ_EEENSR_IJSJ_SJ_EEES6_PlJS6_EEE10hipError_tPvRmT3_T4_T5_T6_T7_T9_mT8_P12ihipStream_tbDpT10_ENKUlT_T0_E_clISt17integral_constantIbLb1EES1E_IbLb0EEEEDaS1A_S1B_EUlS1A_E_NS1_11comp_targetILNS1_3genE5ELNS1_11target_archE942ELNS1_3gpuE9ELNS1_3repE0EEENS1_30default_config_static_selectorELNS0_4arch9wavefront6targetE1EEEvT1_, .Lfunc_end2054-_ZN7rocprim17ROCPRIM_400000_NS6detail17trampoline_kernelINS0_14default_configENS1_25partition_config_selectorILNS1_17partition_subalgoE2EjNS0_10empty_typeEbEEZZNS1_14partition_implILS5_2ELb0ES3_jN6thrust23THRUST_200600_302600_NS6detail15normal_iteratorINSA_7pointerIjNSA_11hip_rocprim3tagENSA_11use_defaultESG_EEEEPS6_NSA_18transform_iteratorI7is_evenIjENSC_INSA_10device_ptrIjEEEESG_SG_EENS0_5tupleIJPjSJ_EEENSR_IJSJ_SJ_EEES6_PlJS6_EEE10hipError_tPvRmT3_T4_T5_T6_T7_T9_mT8_P12ihipStream_tbDpT10_ENKUlT_T0_E_clISt17integral_constantIbLb1EES1E_IbLb0EEEEDaS1A_S1B_EUlS1A_E_NS1_11comp_targetILNS1_3genE5ELNS1_11target_archE942ELNS1_3gpuE9ELNS1_3repE0EEENS1_30default_config_static_selectorELNS0_4arch9wavefront6targetE1EEEvT1_
                                        ; -- End function
	.section	.AMDGPU.csdata,"",@progbits
; Kernel info:
; codeLenInByte = 8620
; NumSgprs: 52
; NumVgprs: 65
; NumAgprs: 0
; TotalNumVgprs: 65
; ScratchSize: 0
; MemoryBound: 0
; FloatMode: 240
; IeeeMode: 1
; LDSByteSize: 30728 bytes/workgroup (compile time only)
; SGPRBlocks: 6
; VGPRBlocks: 8
; NumSGPRsForWavesPerEU: 52
; NumVGPRsForWavesPerEU: 65
; AccumOffset: 68
; Occupancy: 4
; WaveLimiterHint : 1
; COMPUTE_PGM_RSRC2:SCRATCH_EN: 0
; COMPUTE_PGM_RSRC2:USER_SGPR: 2
; COMPUTE_PGM_RSRC2:TRAP_HANDLER: 0
; COMPUTE_PGM_RSRC2:TGID_X_EN: 1
; COMPUTE_PGM_RSRC2:TGID_Y_EN: 0
; COMPUTE_PGM_RSRC2:TGID_Z_EN: 0
; COMPUTE_PGM_RSRC2:TIDIG_COMP_CNT: 0
; COMPUTE_PGM_RSRC3_GFX90A:ACCUM_OFFSET: 16
; COMPUTE_PGM_RSRC3_GFX90A:TG_SPLIT: 0
	.section	.text._ZN7rocprim17ROCPRIM_400000_NS6detail17trampoline_kernelINS0_14default_configENS1_25partition_config_selectorILNS1_17partition_subalgoE2EjNS0_10empty_typeEbEEZZNS1_14partition_implILS5_2ELb0ES3_jN6thrust23THRUST_200600_302600_NS6detail15normal_iteratorINSA_7pointerIjNSA_11hip_rocprim3tagENSA_11use_defaultESG_EEEEPS6_NSA_18transform_iteratorI7is_evenIjENSC_INSA_10device_ptrIjEEEESG_SG_EENS0_5tupleIJPjSJ_EEENSR_IJSJ_SJ_EEES6_PlJS6_EEE10hipError_tPvRmT3_T4_T5_T6_T7_T9_mT8_P12ihipStream_tbDpT10_ENKUlT_T0_E_clISt17integral_constantIbLb1EES1E_IbLb0EEEEDaS1A_S1B_EUlS1A_E_NS1_11comp_targetILNS1_3genE4ELNS1_11target_archE910ELNS1_3gpuE8ELNS1_3repE0EEENS1_30default_config_static_selectorELNS0_4arch9wavefront6targetE1EEEvT1_,"axG",@progbits,_ZN7rocprim17ROCPRIM_400000_NS6detail17trampoline_kernelINS0_14default_configENS1_25partition_config_selectorILNS1_17partition_subalgoE2EjNS0_10empty_typeEbEEZZNS1_14partition_implILS5_2ELb0ES3_jN6thrust23THRUST_200600_302600_NS6detail15normal_iteratorINSA_7pointerIjNSA_11hip_rocprim3tagENSA_11use_defaultESG_EEEEPS6_NSA_18transform_iteratorI7is_evenIjENSC_INSA_10device_ptrIjEEEESG_SG_EENS0_5tupleIJPjSJ_EEENSR_IJSJ_SJ_EEES6_PlJS6_EEE10hipError_tPvRmT3_T4_T5_T6_T7_T9_mT8_P12ihipStream_tbDpT10_ENKUlT_T0_E_clISt17integral_constantIbLb1EES1E_IbLb0EEEEDaS1A_S1B_EUlS1A_E_NS1_11comp_targetILNS1_3genE4ELNS1_11target_archE910ELNS1_3gpuE8ELNS1_3repE0EEENS1_30default_config_static_selectorELNS0_4arch9wavefront6targetE1EEEvT1_,comdat
	.protected	_ZN7rocprim17ROCPRIM_400000_NS6detail17trampoline_kernelINS0_14default_configENS1_25partition_config_selectorILNS1_17partition_subalgoE2EjNS0_10empty_typeEbEEZZNS1_14partition_implILS5_2ELb0ES3_jN6thrust23THRUST_200600_302600_NS6detail15normal_iteratorINSA_7pointerIjNSA_11hip_rocprim3tagENSA_11use_defaultESG_EEEEPS6_NSA_18transform_iteratorI7is_evenIjENSC_INSA_10device_ptrIjEEEESG_SG_EENS0_5tupleIJPjSJ_EEENSR_IJSJ_SJ_EEES6_PlJS6_EEE10hipError_tPvRmT3_T4_T5_T6_T7_T9_mT8_P12ihipStream_tbDpT10_ENKUlT_T0_E_clISt17integral_constantIbLb1EES1E_IbLb0EEEEDaS1A_S1B_EUlS1A_E_NS1_11comp_targetILNS1_3genE4ELNS1_11target_archE910ELNS1_3gpuE8ELNS1_3repE0EEENS1_30default_config_static_selectorELNS0_4arch9wavefront6targetE1EEEvT1_ ; -- Begin function _ZN7rocprim17ROCPRIM_400000_NS6detail17trampoline_kernelINS0_14default_configENS1_25partition_config_selectorILNS1_17partition_subalgoE2EjNS0_10empty_typeEbEEZZNS1_14partition_implILS5_2ELb0ES3_jN6thrust23THRUST_200600_302600_NS6detail15normal_iteratorINSA_7pointerIjNSA_11hip_rocprim3tagENSA_11use_defaultESG_EEEEPS6_NSA_18transform_iteratorI7is_evenIjENSC_INSA_10device_ptrIjEEEESG_SG_EENS0_5tupleIJPjSJ_EEENSR_IJSJ_SJ_EEES6_PlJS6_EEE10hipError_tPvRmT3_T4_T5_T6_T7_T9_mT8_P12ihipStream_tbDpT10_ENKUlT_T0_E_clISt17integral_constantIbLb1EES1E_IbLb0EEEEDaS1A_S1B_EUlS1A_E_NS1_11comp_targetILNS1_3genE4ELNS1_11target_archE910ELNS1_3gpuE8ELNS1_3repE0EEENS1_30default_config_static_selectorELNS0_4arch9wavefront6targetE1EEEvT1_
	.globl	_ZN7rocprim17ROCPRIM_400000_NS6detail17trampoline_kernelINS0_14default_configENS1_25partition_config_selectorILNS1_17partition_subalgoE2EjNS0_10empty_typeEbEEZZNS1_14partition_implILS5_2ELb0ES3_jN6thrust23THRUST_200600_302600_NS6detail15normal_iteratorINSA_7pointerIjNSA_11hip_rocprim3tagENSA_11use_defaultESG_EEEEPS6_NSA_18transform_iteratorI7is_evenIjENSC_INSA_10device_ptrIjEEEESG_SG_EENS0_5tupleIJPjSJ_EEENSR_IJSJ_SJ_EEES6_PlJS6_EEE10hipError_tPvRmT3_T4_T5_T6_T7_T9_mT8_P12ihipStream_tbDpT10_ENKUlT_T0_E_clISt17integral_constantIbLb1EES1E_IbLb0EEEEDaS1A_S1B_EUlS1A_E_NS1_11comp_targetILNS1_3genE4ELNS1_11target_archE910ELNS1_3gpuE8ELNS1_3repE0EEENS1_30default_config_static_selectorELNS0_4arch9wavefront6targetE1EEEvT1_
	.p2align	8
	.type	_ZN7rocprim17ROCPRIM_400000_NS6detail17trampoline_kernelINS0_14default_configENS1_25partition_config_selectorILNS1_17partition_subalgoE2EjNS0_10empty_typeEbEEZZNS1_14partition_implILS5_2ELb0ES3_jN6thrust23THRUST_200600_302600_NS6detail15normal_iteratorINSA_7pointerIjNSA_11hip_rocprim3tagENSA_11use_defaultESG_EEEEPS6_NSA_18transform_iteratorI7is_evenIjENSC_INSA_10device_ptrIjEEEESG_SG_EENS0_5tupleIJPjSJ_EEENSR_IJSJ_SJ_EEES6_PlJS6_EEE10hipError_tPvRmT3_T4_T5_T6_T7_T9_mT8_P12ihipStream_tbDpT10_ENKUlT_T0_E_clISt17integral_constantIbLb1EES1E_IbLb0EEEEDaS1A_S1B_EUlS1A_E_NS1_11comp_targetILNS1_3genE4ELNS1_11target_archE910ELNS1_3gpuE8ELNS1_3repE0EEENS1_30default_config_static_selectorELNS0_4arch9wavefront6targetE1EEEvT1_,@function
_ZN7rocprim17ROCPRIM_400000_NS6detail17trampoline_kernelINS0_14default_configENS1_25partition_config_selectorILNS1_17partition_subalgoE2EjNS0_10empty_typeEbEEZZNS1_14partition_implILS5_2ELb0ES3_jN6thrust23THRUST_200600_302600_NS6detail15normal_iteratorINSA_7pointerIjNSA_11hip_rocprim3tagENSA_11use_defaultESG_EEEEPS6_NSA_18transform_iteratorI7is_evenIjENSC_INSA_10device_ptrIjEEEESG_SG_EENS0_5tupleIJPjSJ_EEENSR_IJSJ_SJ_EEES6_PlJS6_EEE10hipError_tPvRmT3_T4_T5_T6_T7_T9_mT8_P12ihipStream_tbDpT10_ENKUlT_T0_E_clISt17integral_constantIbLb1EES1E_IbLb0EEEEDaS1A_S1B_EUlS1A_E_NS1_11comp_targetILNS1_3genE4ELNS1_11target_archE910ELNS1_3gpuE8ELNS1_3repE0EEENS1_30default_config_static_selectorELNS0_4arch9wavefront6targetE1EEEvT1_: ; @_ZN7rocprim17ROCPRIM_400000_NS6detail17trampoline_kernelINS0_14default_configENS1_25partition_config_selectorILNS1_17partition_subalgoE2EjNS0_10empty_typeEbEEZZNS1_14partition_implILS5_2ELb0ES3_jN6thrust23THRUST_200600_302600_NS6detail15normal_iteratorINSA_7pointerIjNSA_11hip_rocprim3tagENSA_11use_defaultESG_EEEEPS6_NSA_18transform_iteratorI7is_evenIjENSC_INSA_10device_ptrIjEEEESG_SG_EENS0_5tupleIJPjSJ_EEENSR_IJSJ_SJ_EEES6_PlJS6_EEE10hipError_tPvRmT3_T4_T5_T6_T7_T9_mT8_P12ihipStream_tbDpT10_ENKUlT_T0_E_clISt17integral_constantIbLb1EES1E_IbLb0EEEEDaS1A_S1B_EUlS1A_E_NS1_11comp_targetILNS1_3genE4ELNS1_11target_archE910ELNS1_3gpuE8ELNS1_3repE0EEENS1_30default_config_static_selectorELNS0_4arch9wavefront6targetE1EEEvT1_
; %bb.0:
	.section	.rodata,"a",@progbits
	.p2align	6, 0x0
	.amdhsa_kernel _ZN7rocprim17ROCPRIM_400000_NS6detail17trampoline_kernelINS0_14default_configENS1_25partition_config_selectorILNS1_17partition_subalgoE2EjNS0_10empty_typeEbEEZZNS1_14partition_implILS5_2ELb0ES3_jN6thrust23THRUST_200600_302600_NS6detail15normal_iteratorINSA_7pointerIjNSA_11hip_rocprim3tagENSA_11use_defaultESG_EEEEPS6_NSA_18transform_iteratorI7is_evenIjENSC_INSA_10device_ptrIjEEEESG_SG_EENS0_5tupleIJPjSJ_EEENSR_IJSJ_SJ_EEES6_PlJS6_EEE10hipError_tPvRmT3_T4_T5_T6_T7_T9_mT8_P12ihipStream_tbDpT10_ENKUlT_T0_E_clISt17integral_constantIbLb1EES1E_IbLb0EEEEDaS1A_S1B_EUlS1A_E_NS1_11comp_targetILNS1_3genE4ELNS1_11target_archE910ELNS1_3gpuE8ELNS1_3repE0EEENS1_30default_config_static_selectorELNS0_4arch9wavefront6targetE1EEEvT1_
		.amdhsa_group_segment_fixed_size 0
		.amdhsa_private_segment_fixed_size 0
		.amdhsa_kernarg_size 128
		.amdhsa_user_sgpr_count 2
		.amdhsa_user_sgpr_dispatch_ptr 0
		.amdhsa_user_sgpr_queue_ptr 0
		.amdhsa_user_sgpr_kernarg_segment_ptr 1
		.amdhsa_user_sgpr_dispatch_id 0
		.amdhsa_user_sgpr_kernarg_preload_length 0
		.amdhsa_user_sgpr_kernarg_preload_offset 0
		.amdhsa_user_sgpr_private_segment_size 0
		.amdhsa_uses_dynamic_stack 0
		.amdhsa_enable_private_segment 0
		.amdhsa_system_sgpr_workgroup_id_x 1
		.amdhsa_system_sgpr_workgroup_id_y 0
		.amdhsa_system_sgpr_workgroup_id_z 0
		.amdhsa_system_sgpr_workgroup_info 0
		.amdhsa_system_vgpr_workitem_id 0
		.amdhsa_next_free_vgpr 1
		.amdhsa_next_free_sgpr 0
		.amdhsa_accum_offset 4
		.amdhsa_reserve_vcc 0
		.amdhsa_float_round_mode_32 0
		.amdhsa_float_round_mode_16_64 0
		.amdhsa_float_denorm_mode_32 3
		.amdhsa_float_denorm_mode_16_64 3
		.amdhsa_dx10_clamp 1
		.amdhsa_ieee_mode 1
		.amdhsa_fp16_overflow 0
		.amdhsa_tg_split 0
		.amdhsa_exception_fp_ieee_invalid_op 0
		.amdhsa_exception_fp_denorm_src 0
		.amdhsa_exception_fp_ieee_div_zero 0
		.amdhsa_exception_fp_ieee_overflow 0
		.amdhsa_exception_fp_ieee_underflow 0
		.amdhsa_exception_fp_ieee_inexact 0
		.amdhsa_exception_int_div_zero 0
	.end_amdhsa_kernel
	.section	.text._ZN7rocprim17ROCPRIM_400000_NS6detail17trampoline_kernelINS0_14default_configENS1_25partition_config_selectorILNS1_17partition_subalgoE2EjNS0_10empty_typeEbEEZZNS1_14partition_implILS5_2ELb0ES3_jN6thrust23THRUST_200600_302600_NS6detail15normal_iteratorINSA_7pointerIjNSA_11hip_rocprim3tagENSA_11use_defaultESG_EEEEPS6_NSA_18transform_iteratorI7is_evenIjENSC_INSA_10device_ptrIjEEEESG_SG_EENS0_5tupleIJPjSJ_EEENSR_IJSJ_SJ_EEES6_PlJS6_EEE10hipError_tPvRmT3_T4_T5_T6_T7_T9_mT8_P12ihipStream_tbDpT10_ENKUlT_T0_E_clISt17integral_constantIbLb1EES1E_IbLb0EEEEDaS1A_S1B_EUlS1A_E_NS1_11comp_targetILNS1_3genE4ELNS1_11target_archE910ELNS1_3gpuE8ELNS1_3repE0EEENS1_30default_config_static_selectorELNS0_4arch9wavefront6targetE1EEEvT1_,"axG",@progbits,_ZN7rocprim17ROCPRIM_400000_NS6detail17trampoline_kernelINS0_14default_configENS1_25partition_config_selectorILNS1_17partition_subalgoE2EjNS0_10empty_typeEbEEZZNS1_14partition_implILS5_2ELb0ES3_jN6thrust23THRUST_200600_302600_NS6detail15normal_iteratorINSA_7pointerIjNSA_11hip_rocprim3tagENSA_11use_defaultESG_EEEEPS6_NSA_18transform_iteratorI7is_evenIjENSC_INSA_10device_ptrIjEEEESG_SG_EENS0_5tupleIJPjSJ_EEENSR_IJSJ_SJ_EEES6_PlJS6_EEE10hipError_tPvRmT3_T4_T5_T6_T7_T9_mT8_P12ihipStream_tbDpT10_ENKUlT_T0_E_clISt17integral_constantIbLb1EES1E_IbLb0EEEEDaS1A_S1B_EUlS1A_E_NS1_11comp_targetILNS1_3genE4ELNS1_11target_archE910ELNS1_3gpuE8ELNS1_3repE0EEENS1_30default_config_static_selectorELNS0_4arch9wavefront6targetE1EEEvT1_,comdat
.Lfunc_end2055:
	.size	_ZN7rocprim17ROCPRIM_400000_NS6detail17trampoline_kernelINS0_14default_configENS1_25partition_config_selectorILNS1_17partition_subalgoE2EjNS0_10empty_typeEbEEZZNS1_14partition_implILS5_2ELb0ES3_jN6thrust23THRUST_200600_302600_NS6detail15normal_iteratorINSA_7pointerIjNSA_11hip_rocprim3tagENSA_11use_defaultESG_EEEEPS6_NSA_18transform_iteratorI7is_evenIjENSC_INSA_10device_ptrIjEEEESG_SG_EENS0_5tupleIJPjSJ_EEENSR_IJSJ_SJ_EEES6_PlJS6_EEE10hipError_tPvRmT3_T4_T5_T6_T7_T9_mT8_P12ihipStream_tbDpT10_ENKUlT_T0_E_clISt17integral_constantIbLb1EES1E_IbLb0EEEEDaS1A_S1B_EUlS1A_E_NS1_11comp_targetILNS1_3genE4ELNS1_11target_archE910ELNS1_3gpuE8ELNS1_3repE0EEENS1_30default_config_static_selectorELNS0_4arch9wavefront6targetE1EEEvT1_, .Lfunc_end2055-_ZN7rocprim17ROCPRIM_400000_NS6detail17trampoline_kernelINS0_14default_configENS1_25partition_config_selectorILNS1_17partition_subalgoE2EjNS0_10empty_typeEbEEZZNS1_14partition_implILS5_2ELb0ES3_jN6thrust23THRUST_200600_302600_NS6detail15normal_iteratorINSA_7pointerIjNSA_11hip_rocprim3tagENSA_11use_defaultESG_EEEEPS6_NSA_18transform_iteratorI7is_evenIjENSC_INSA_10device_ptrIjEEEESG_SG_EENS0_5tupleIJPjSJ_EEENSR_IJSJ_SJ_EEES6_PlJS6_EEE10hipError_tPvRmT3_T4_T5_T6_T7_T9_mT8_P12ihipStream_tbDpT10_ENKUlT_T0_E_clISt17integral_constantIbLb1EES1E_IbLb0EEEEDaS1A_S1B_EUlS1A_E_NS1_11comp_targetILNS1_3genE4ELNS1_11target_archE910ELNS1_3gpuE8ELNS1_3repE0EEENS1_30default_config_static_selectorELNS0_4arch9wavefront6targetE1EEEvT1_
                                        ; -- End function
	.section	.AMDGPU.csdata,"",@progbits
; Kernel info:
; codeLenInByte = 0
; NumSgprs: 6
; NumVgprs: 0
; NumAgprs: 0
; TotalNumVgprs: 0
; ScratchSize: 0
; MemoryBound: 0
; FloatMode: 240
; IeeeMode: 1
; LDSByteSize: 0 bytes/workgroup (compile time only)
; SGPRBlocks: 0
; VGPRBlocks: 0
; NumSGPRsForWavesPerEU: 6
; NumVGPRsForWavesPerEU: 1
; AccumOffset: 4
; Occupancy: 8
; WaveLimiterHint : 0
; COMPUTE_PGM_RSRC2:SCRATCH_EN: 0
; COMPUTE_PGM_RSRC2:USER_SGPR: 2
; COMPUTE_PGM_RSRC2:TRAP_HANDLER: 0
; COMPUTE_PGM_RSRC2:TGID_X_EN: 1
; COMPUTE_PGM_RSRC2:TGID_Y_EN: 0
; COMPUTE_PGM_RSRC2:TGID_Z_EN: 0
; COMPUTE_PGM_RSRC2:TIDIG_COMP_CNT: 0
; COMPUTE_PGM_RSRC3_GFX90A:ACCUM_OFFSET: 0
; COMPUTE_PGM_RSRC3_GFX90A:TG_SPLIT: 0
	.section	.text._ZN7rocprim17ROCPRIM_400000_NS6detail17trampoline_kernelINS0_14default_configENS1_25partition_config_selectorILNS1_17partition_subalgoE2EjNS0_10empty_typeEbEEZZNS1_14partition_implILS5_2ELb0ES3_jN6thrust23THRUST_200600_302600_NS6detail15normal_iteratorINSA_7pointerIjNSA_11hip_rocprim3tagENSA_11use_defaultESG_EEEEPS6_NSA_18transform_iteratorI7is_evenIjENSC_INSA_10device_ptrIjEEEESG_SG_EENS0_5tupleIJPjSJ_EEENSR_IJSJ_SJ_EEES6_PlJS6_EEE10hipError_tPvRmT3_T4_T5_T6_T7_T9_mT8_P12ihipStream_tbDpT10_ENKUlT_T0_E_clISt17integral_constantIbLb1EES1E_IbLb0EEEEDaS1A_S1B_EUlS1A_E_NS1_11comp_targetILNS1_3genE3ELNS1_11target_archE908ELNS1_3gpuE7ELNS1_3repE0EEENS1_30default_config_static_selectorELNS0_4arch9wavefront6targetE1EEEvT1_,"axG",@progbits,_ZN7rocprim17ROCPRIM_400000_NS6detail17trampoline_kernelINS0_14default_configENS1_25partition_config_selectorILNS1_17partition_subalgoE2EjNS0_10empty_typeEbEEZZNS1_14partition_implILS5_2ELb0ES3_jN6thrust23THRUST_200600_302600_NS6detail15normal_iteratorINSA_7pointerIjNSA_11hip_rocprim3tagENSA_11use_defaultESG_EEEEPS6_NSA_18transform_iteratorI7is_evenIjENSC_INSA_10device_ptrIjEEEESG_SG_EENS0_5tupleIJPjSJ_EEENSR_IJSJ_SJ_EEES6_PlJS6_EEE10hipError_tPvRmT3_T4_T5_T6_T7_T9_mT8_P12ihipStream_tbDpT10_ENKUlT_T0_E_clISt17integral_constantIbLb1EES1E_IbLb0EEEEDaS1A_S1B_EUlS1A_E_NS1_11comp_targetILNS1_3genE3ELNS1_11target_archE908ELNS1_3gpuE7ELNS1_3repE0EEENS1_30default_config_static_selectorELNS0_4arch9wavefront6targetE1EEEvT1_,comdat
	.protected	_ZN7rocprim17ROCPRIM_400000_NS6detail17trampoline_kernelINS0_14default_configENS1_25partition_config_selectorILNS1_17partition_subalgoE2EjNS0_10empty_typeEbEEZZNS1_14partition_implILS5_2ELb0ES3_jN6thrust23THRUST_200600_302600_NS6detail15normal_iteratorINSA_7pointerIjNSA_11hip_rocprim3tagENSA_11use_defaultESG_EEEEPS6_NSA_18transform_iteratorI7is_evenIjENSC_INSA_10device_ptrIjEEEESG_SG_EENS0_5tupleIJPjSJ_EEENSR_IJSJ_SJ_EEES6_PlJS6_EEE10hipError_tPvRmT3_T4_T5_T6_T7_T9_mT8_P12ihipStream_tbDpT10_ENKUlT_T0_E_clISt17integral_constantIbLb1EES1E_IbLb0EEEEDaS1A_S1B_EUlS1A_E_NS1_11comp_targetILNS1_3genE3ELNS1_11target_archE908ELNS1_3gpuE7ELNS1_3repE0EEENS1_30default_config_static_selectorELNS0_4arch9wavefront6targetE1EEEvT1_ ; -- Begin function _ZN7rocprim17ROCPRIM_400000_NS6detail17trampoline_kernelINS0_14default_configENS1_25partition_config_selectorILNS1_17partition_subalgoE2EjNS0_10empty_typeEbEEZZNS1_14partition_implILS5_2ELb0ES3_jN6thrust23THRUST_200600_302600_NS6detail15normal_iteratorINSA_7pointerIjNSA_11hip_rocprim3tagENSA_11use_defaultESG_EEEEPS6_NSA_18transform_iteratorI7is_evenIjENSC_INSA_10device_ptrIjEEEESG_SG_EENS0_5tupleIJPjSJ_EEENSR_IJSJ_SJ_EEES6_PlJS6_EEE10hipError_tPvRmT3_T4_T5_T6_T7_T9_mT8_P12ihipStream_tbDpT10_ENKUlT_T0_E_clISt17integral_constantIbLb1EES1E_IbLb0EEEEDaS1A_S1B_EUlS1A_E_NS1_11comp_targetILNS1_3genE3ELNS1_11target_archE908ELNS1_3gpuE7ELNS1_3repE0EEENS1_30default_config_static_selectorELNS0_4arch9wavefront6targetE1EEEvT1_
	.globl	_ZN7rocprim17ROCPRIM_400000_NS6detail17trampoline_kernelINS0_14default_configENS1_25partition_config_selectorILNS1_17partition_subalgoE2EjNS0_10empty_typeEbEEZZNS1_14partition_implILS5_2ELb0ES3_jN6thrust23THRUST_200600_302600_NS6detail15normal_iteratorINSA_7pointerIjNSA_11hip_rocprim3tagENSA_11use_defaultESG_EEEEPS6_NSA_18transform_iteratorI7is_evenIjENSC_INSA_10device_ptrIjEEEESG_SG_EENS0_5tupleIJPjSJ_EEENSR_IJSJ_SJ_EEES6_PlJS6_EEE10hipError_tPvRmT3_T4_T5_T6_T7_T9_mT8_P12ihipStream_tbDpT10_ENKUlT_T0_E_clISt17integral_constantIbLb1EES1E_IbLb0EEEEDaS1A_S1B_EUlS1A_E_NS1_11comp_targetILNS1_3genE3ELNS1_11target_archE908ELNS1_3gpuE7ELNS1_3repE0EEENS1_30default_config_static_selectorELNS0_4arch9wavefront6targetE1EEEvT1_
	.p2align	8
	.type	_ZN7rocprim17ROCPRIM_400000_NS6detail17trampoline_kernelINS0_14default_configENS1_25partition_config_selectorILNS1_17partition_subalgoE2EjNS0_10empty_typeEbEEZZNS1_14partition_implILS5_2ELb0ES3_jN6thrust23THRUST_200600_302600_NS6detail15normal_iteratorINSA_7pointerIjNSA_11hip_rocprim3tagENSA_11use_defaultESG_EEEEPS6_NSA_18transform_iteratorI7is_evenIjENSC_INSA_10device_ptrIjEEEESG_SG_EENS0_5tupleIJPjSJ_EEENSR_IJSJ_SJ_EEES6_PlJS6_EEE10hipError_tPvRmT3_T4_T5_T6_T7_T9_mT8_P12ihipStream_tbDpT10_ENKUlT_T0_E_clISt17integral_constantIbLb1EES1E_IbLb0EEEEDaS1A_S1B_EUlS1A_E_NS1_11comp_targetILNS1_3genE3ELNS1_11target_archE908ELNS1_3gpuE7ELNS1_3repE0EEENS1_30default_config_static_selectorELNS0_4arch9wavefront6targetE1EEEvT1_,@function
_ZN7rocprim17ROCPRIM_400000_NS6detail17trampoline_kernelINS0_14default_configENS1_25partition_config_selectorILNS1_17partition_subalgoE2EjNS0_10empty_typeEbEEZZNS1_14partition_implILS5_2ELb0ES3_jN6thrust23THRUST_200600_302600_NS6detail15normal_iteratorINSA_7pointerIjNSA_11hip_rocprim3tagENSA_11use_defaultESG_EEEEPS6_NSA_18transform_iteratorI7is_evenIjENSC_INSA_10device_ptrIjEEEESG_SG_EENS0_5tupleIJPjSJ_EEENSR_IJSJ_SJ_EEES6_PlJS6_EEE10hipError_tPvRmT3_T4_T5_T6_T7_T9_mT8_P12ihipStream_tbDpT10_ENKUlT_T0_E_clISt17integral_constantIbLb1EES1E_IbLb0EEEEDaS1A_S1B_EUlS1A_E_NS1_11comp_targetILNS1_3genE3ELNS1_11target_archE908ELNS1_3gpuE7ELNS1_3repE0EEENS1_30default_config_static_selectorELNS0_4arch9wavefront6targetE1EEEvT1_: ; @_ZN7rocprim17ROCPRIM_400000_NS6detail17trampoline_kernelINS0_14default_configENS1_25partition_config_selectorILNS1_17partition_subalgoE2EjNS0_10empty_typeEbEEZZNS1_14partition_implILS5_2ELb0ES3_jN6thrust23THRUST_200600_302600_NS6detail15normal_iteratorINSA_7pointerIjNSA_11hip_rocprim3tagENSA_11use_defaultESG_EEEEPS6_NSA_18transform_iteratorI7is_evenIjENSC_INSA_10device_ptrIjEEEESG_SG_EENS0_5tupleIJPjSJ_EEENSR_IJSJ_SJ_EEES6_PlJS6_EEE10hipError_tPvRmT3_T4_T5_T6_T7_T9_mT8_P12ihipStream_tbDpT10_ENKUlT_T0_E_clISt17integral_constantIbLb1EES1E_IbLb0EEEEDaS1A_S1B_EUlS1A_E_NS1_11comp_targetILNS1_3genE3ELNS1_11target_archE908ELNS1_3gpuE7ELNS1_3repE0EEENS1_30default_config_static_selectorELNS0_4arch9wavefront6targetE1EEEvT1_
; %bb.0:
	.section	.rodata,"a",@progbits
	.p2align	6, 0x0
	.amdhsa_kernel _ZN7rocprim17ROCPRIM_400000_NS6detail17trampoline_kernelINS0_14default_configENS1_25partition_config_selectorILNS1_17partition_subalgoE2EjNS0_10empty_typeEbEEZZNS1_14partition_implILS5_2ELb0ES3_jN6thrust23THRUST_200600_302600_NS6detail15normal_iteratorINSA_7pointerIjNSA_11hip_rocprim3tagENSA_11use_defaultESG_EEEEPS6_NSA_18transform_iteratorI7is_evenIjENSC_INSA_10device_ptrIjEEEESG_SG_EENS0_5tupleIJPjSJ_EEENSR_IJSJ_SJ_EEES6_PlJS6_EEE10hipError_tPvRmT3_T4_T5_T6_T7_T9_mT8_P12ihipStream_tbDpT10_ENKUlT_T0_E_clISt17integral_constantIbLb1EES1E_IbLb0EEEEDaS1A_S1B_EUlS1A_E_NS1_11comp_targetILNS1_3genE3ELNS1_11target_archE908ELNS1_3gpuE7ELNS1_3repE0EEENS1_30default_config_static_selectorELNS0_4arch9wavefront6targetE1EEEvT1_
		.amdhsa_group_segment_fixed_size 0
		.amdhsa_private_segment_fixed_size 0
		.amdhsa_kernarg_size 128
		.amdhsa_user_sgpr_count 2
		.amdhsa_user_sgpr_dispatch_ptr 0
		.amdhsa_user_sgpr_queue_ptr 0
		.amdhsa_user_sgpr_kernarg_segment_ptr 1
		.amdhsa_user_sgpr_dispatch_id 0
		.amdhsa_user_sgpr_kernarg_preload_length 0
		.amdhsa_user_sgpr_kernarg_preload_offset 0
		.amdhsa_user_sgpr_private_segment_size 0
		.amdhsa_uses_dynamic_stack 0
		.amdhsa_enable_private_segment 0
		.amdhsa_system_sgpr_workgroup_id_x 1
		.amdhsa_system_sgpr_workgroup_id_y 0
		.amdhsa_system_sgpr_workgroup_id_z 0
		.amdhsa_system_sgpr_workgroup_info 0
		.amdhsa_system_vgpr_workitem_id 0
		.amdhsa_next_free_vgpr 1
		.amdhsa_next_free_sgpr 0
		.amdhsa_accum_offset 4
		.amdhsa_reserve_vcc 0
		.amdhsa_float_round_mode_32 0
		.amdhsa_float_round_mode_16_64 0
		.amdhsa_float_denorm_mode_32 3
		.amdhsa_float_denorm_mode_16_64 3
		.amdhsa_dx10_clamp 1
		.amdhsa_ieee_mode 1
		.amdhsa_fp16_overflow 0
		.amdhsa_tg_split 0
		.amdhsa_exception_fp_ieee_invalid_op 0
		.amdhsa_exception_fp_denorm_src 0
		.amdhsa_exception_fp_ieee_div_zero 0
		.amdhsa_exception_fp_ieee_overflow 0
		.amdhsa_exception_fp_ieee_underflow 0
		.amdhsa_exception_fp_ieee_inexact 0
		.amdhsa_exception_int_div_zero 0
	.end_amdhsa_kernel
	.section	.text._ZN7rocprim17ROCPRIM_400000_NS6detail17trampoline_kernelINS0_14default_configENS1_25partition_config_selectorILNS1_17partition_subalgoE2EjNS0_10empty_typeEbEEZZNS1_14partition_implILS5_2ELb0ES3_jN6thrust23THRUST_200600_302600_NS6detail15normal_iteratorINSA_7pointerIjNSA_11hip_rocprim3tagENSA_11use_defaultESG_EEEEPS6_NSA_18transform_iteratorI7is_evenIjENSC_INSA_10device_ptrIjEEEESG_SG_EENS0_5tupleIJPjSJ_EEENSR_IJSJ_SJ_EEES6_PlJS6_EEE10hipError_tPvRmT3_T4_T5_T6_T7_T9_mT8_P12ihipStream_tbDpT10_ENKUlT_T0_E_clISt17integral_constantIbLb1EES1E_IbLb0EEEEDaS1A_S1B_EUlS1A_E_NS1_11comp_targetILNS1_3genE3ELNS1_11target_archE908ELNS1_3gpuE7ELNS1_3repE0EEENS1_30default_config_static_selectorELNS0_4arch9wavefront6targetE1EEEvT1_,"axG",@progbits,_ZN7rocprim17ROCPRIM_400000_NS6detail17trampoline_kernelINS0_14default_configENS1_25partition_config_selectorILNS1_17partition_subalgoE2EjNS0_10empty_typeEbEEZZNS1_14partition_implILS5_2ELb0ES3_jN6thrust23THRUST_200600_302600_NS6detail15normal_iteratorINSA_7pointerIjNSA_11hip_rocprim3tagENSA_11use_defaultESG_EEEEPS6_NSA_18transform_iteratorI7is_evenIjENSC_INSA_10device_ptrIjEEEESG_SG_EENS0_5tupleIJPjSJ_EEENSR_IJSJ_SJ_EEES6_PlJS6_EEE10hipError_tPvRmT3_T4_T5_T6_T7_T9_mT8_P12ihipStream_tbDpT10_ENKUlT_T0_E_clISt17integral_constantIbLb1EES1E_IbLb0EEEEDaS1A_S1B_EUlS1A_E_NS1_11comp_targetILNS1_3genE3ELNS1_11target_archE908ELNS1_3gpuE7ELNS1_3repE0EEENS1_30default_config_static_selectorELNS0_4arch9wavefront6targetE1EEEvT1_,comdat
.Lfunc_end2056:
	.size	_ZN7rocprim17ROCPRIM_400000_NS6detail17trampoline_kernelINS0_14default_configENS1_25partition_config_selectorILNS1_17partition_subalgoE2EjNS0_10empty_typeEbEEZZNS1_14partition_implILS5_2ELb0ES3_jN6thrust23THRUST_200600_302600_NS6detail15normal_iteratorINSA_7pointerIjNSA_11hip_rocprim3tagENSA_11use_defaultESG_EEEEPS6_NSA_18transform_iteratorI7is_evenIjENSC_INSA_10device_ptrIjEEEESG_SG_EENS0_5tupleIJPjSJ_EEENSR_IJSJ_SJ_EEES6_PlJS6_EEE10hipError_tPvRmT3_T4_T5_T6_T7_T9_mT8_P12ihipStream_tbDpT10_ENKUlT_T0_E_clISt17integral_constantIbLb1EES1E_IbLb0EEEEDaS1A_S1B_EUlS1A_E_NS1_11comp_targetILNS1_3genE3ELNS1_11target_archE908ELNS1_3gpuE7ELNS1_3repE0EEENS1_30default_config_static_selectorELNS0_4arch9wavefront6targetE1EEEvT1_, .Lfunc_end2056-_ZN7rocprim17ROCPRIM_400000_NS6detail17trampoline_kernelINS0_14default_configENS1_25partition_config_selectorILNS1_17partition_subalgoE2EjNS0_10empty_typeEbEEZZNS1_14partition_implILS5_2ELb0ES3_jN6thrust23THRUST_200600_302600_NS6detail15normal_iteratorINSA_7pointerIjNSA_11hip_rocprim3tagENSA_11use_defaultESG_EEEEPS6_NSA_18transform_iteratorI7is_evenIjENSC_INSA_10device_ptrIjEEEESG_SG_EENS0_5tupleIJPjSJ_EEENSR_IJSJ_SJ_EEES6_PlJS6_EEE10hipError_tPvRmT3_T4_T5_T6_T7_T9_mT8_P12ihipStream_tbDpT10_ENKUlT_T0_E_clISt17integral_constantIbLb1EES1E_IbLb0EEEEDaS1A_S1B_EUlS1A_E_NS1_11comp_targetILNS1_3genE3ELNS1_11target_archE908ELNS1_3gpuE7ELNS1_3repE0EEENS1_30default_config_static_selectorELNS0_4arch9wavefront6targetE1EEEvT1_
                                        ; -- End function
	.section	.AMDGPU.csdata,"",@progbits
; Kernel info:
; codeLenInByte = 0
; NumSgprs: 6
; NumVgprs: 0
; NumAgprs: 0
; TotalNumVgprs: 0
; ScratchSize: 0
; MemoryBound: 0
; FloatMode: 240
; IeeeMode: 1
; LDSByteSize: 0 bytes/workgroup (compile time only)
; SGPRBlocks: 0
; VGPRBlocks: 0
; NumSGPRsForWavesPerEU: 6
; NumVGPRsForWavesPerEU: 1
; AccumOffset: 4
; Occupancy: 8
; WaveLimiterHint : 0
; COMPUTE_PGM_RSRC2:SCRATCH_EN: 0
; COMPUTE_PGM_RSRC2:USER_SGPR: 2
; COMPUTE_PGM_RSRC2:TRAP_HANDLER: 0
; COMPUTE_PGM_RSRC2:TGID_X_EN: 1
; COMPUTE_PGM_RSRC2:TGID_Y_EN: 0
; COMPUTE_PGM_RSRC2:TGID_Z_EN: 0
; COMPUTE_PGM_RSRC2:TIDIG_COMP_CNT: 0
; COMPUTE_PGM_RSRC3_GFX90A:ACCUM_OFFSET: 0
; COMPUTE_PGM_RSRC3_GFX90A:TG_SPLIT: 0
	.section	.text._ZN7rocprim17ROCPRIM_400000_NS6detail17trampoline_kernelINS0_14default_configENS1_25partition_config_selectorILNS1_17partition_subalgoE2EjNS0_10empty_typeEbEEZZNS1_14partition_implILS5_2ELb0ES3_jN6thrust23THRUST_200600_302600_NS6detail15normal_iteratorINSA_7pointerIjNSA_11hip_rocprim3tagENSA_11use_defaultESG_EEEEPS6_NSA_18transform_iteratorI7is_evenIjENSC_INSA_10device_ptrIjEEEESG_SG_EENS0_5tupleIJPjSJ_EEENSR_IJSJ_SJ_EEES6_PlJS6_EEE10hipError_tPvRmT3_T4_T5_T6_T7_T9_mT8_P12ihipStream_tbDpT10_ENKUlT_T0_E_clISt17integral_constantIbLb1EES1E_IbLb0EEEEDaS1A_S1B_EUlS1A_E_NS1_11comp_targetILNS1_3genE2ELNS1_11target_archE906ELNS1_3gpuE6ELNS1_3repE0EEENS1_30default_config_static_selectorELNS0_4arch9wavefront6targetE1EEEvT1_,"axG",@progbits,_ZN7rocprim17ROCPRIM_400000_NS6detail17trampoline_kernelINS0_14default_configENS1_25partition_config_selectorILNS1_17partition_subalgoE2EjNS0_10empty_typeEbEEZZNS1_14partition_implILS5_2ELb0ES3_jN6thrust23THRUST_200600_302600_NS6detail15normal_iteratorINSA_7pointerIjNSA_11hip_rocprim3tagENSA_11use_defaultESG_EEEEPS6_NSA_18transform_iteratorI7is_evenIjENSC_INSA_10device_ptrIjEEEESG_SG_EENS0_5tupleIJPjSJ_EEENSR_IJSJ_SJ_EEES6_PlJS6_EEE10hipError_tPvRmT3_T4_T5_T6_T7_T9_mT8_P12ihipStream_tbDpT10_ENKUlT_T0_E_clISt17integral_constantIbLb1EES1E_IbLb0EEEEDaS1A_S1B_EUlS1A_E_NS1_11comp_targetILNS1_3genE2ELNS1_11target_archE906ELNS1_3gpuE6ELNS1_3repE0EEENS1_30default_config_static_selectorELNS0_4arch9wavefront6targetE1EEEvT1_,comdat
	.protected	_ZN7rocprim17ROCPRIM_400000_NS6detail17trampoline_kernelINS0_14default_configENS1_25partition_config_selectorILNS1_17partition_subalgoE2EjNS0_10empty_typeEbEEZZNS1_14partition_implILS5_2ELb0ES3_jN6thrust23THRUST_200600_302600_NS6detail15normal_iteratorINSA_7pointerIjNSA_11hip_rocprim3tagENSA_11use_defaultESG_EEEEPS6_NSA_18transform_iteratorI7is_evenIjENSC_INSA_10device_ptrIjEEEESG_SG_EENS0_5tupleIJPjSJ_EEENSR_IJSJ_SJ_EEES6_PlJS6_EEE10hipError_tPvRmT3_T4_T5_T6_T7_T9_mT8_P12ihipStream_tbDpT10_ENKUlT_T0_E_clISt17integral_constantIbLb1EES1E_IbLb0EEEEDaS1A_S1B_EUlS1A_E_NS1_11comp_targetILNS1_3genE2ELNS1_11target_archE906ELNS1_3gpuE6ELNS1_3repE0EEENS1_30default_config_static_selectorELNS0_4arch9wavefront6targetE1EEEvT1_ ; -- Begin function _ZN7rocprim17ROCPRIM_400000_NS6detail17trampoline_kernelINS0_14default_configENS1_25partition_config_selectorILNS1_17partition_subalgoE2EjNS0_10empty_typeEbEEZZNS1_14partition_implILS5_2ELb0ES3_jN6thrust23THRUST_200600_302600_NS6detail15normal_iteratorINSA_7pointerIjNSA_11hip_rocprim3tagENSA_11use_defaultESG_EEEEPS6_NSA_18transform_iteratorI7is_evenIjENSC_INSA_10device_ptrIjEEEESG_SG_EENS0_5tupleIJPjSJ_EEENSR_IJSJ_SJ_EEES6_PlJS6_EEE10hipError_tPvRmT3_T4_T5_T6_T7_T9_mT8_P12ihipStream_tbDpT10_ENKUlT_T0_E_clISt17integral_constantIbLb1EES1E_IbLb0EEEEDaS1A_S1B_EUlS1A_E_NS1_11comp_targetILNS1_3genE2ELNS1_11target_archE906ELNS1_3gpuE6ELNS1_3repE0EEENS1_30default_config_static_selectorELNS0_4arch9wavefront6targetE1EEEvT1_
	.globl	_ZN7rocprim17ROCPRIM_400000_NS6detail17trampoline_kernelINS0_14default_configENS1_25partition_config_selectorILNS1_17partition_subalgoE2EjNS0_10empty_typeEbEEZZNS1_14partition_implILS5_2ELb0ES3_jN6thrust23THRUST_200600_302600_NS6detail15normal_iteratorINSA_7pointerIjNSA_11hip_rocprim3tagENSA_11use_defaultESG_EEEEPS6_NSA_18transform_iteratorI7is_evenIjENSC_INSA_10device_ptrIjEEEESG_SG_EENS0_5tupleIJPjSJ_EEENSR_IJSJ_SJ_EEES6_PlJS6_EEE10hipError_tPvRmT3_T4_T5_T6_T7_T9_mT8_P12ihipStream_tbDpT10_ENKUlT_T0_E_clISt17integral_constantIbLb1EES1E_IbLb0EEEEDaS1A_S1B_EUlS1A_E_NS1_11comp_targetILNS1_3genE2ELNS1_11target_archE906ELNS1_3gpuE6ELNS1_3repE0EEENS1_30default_config_static_selectorELNS0_4arch9wavefront6targetE1EEEvT1_
	.p2align	8
	.type	_ZN7rocprim17ROCPRIM_400000_NS6detail17trampoline_kernelINS0_14default_configENS1_25partition_config_selectorILNS1_17partition_subalgoE2EjNS0_10empty_typeEbEEZZNS1_14partition_implILS5_2ELb0ES3_jN6thrust23THRUST_200600_302600_NS6detail15normal_iteratorINSA_7pointerIjNSA_11hip_rocprim3tagENSA_11use_defaultESG_EEEEPS6_NSA_18transform_iteratorI7is_evenIjENSC_INSA_10device_ptrIjEEEESG_SG_EENS0_5tupleIJPjSJ_EEENSR_IJSJ_SJ_EEES6_PlJS6_EEE10hipError_tPvRmT3_T4_T5_T6_T7_T9_mT8_P12ihipStream_tbDpT10_ENKUlT_T0_E_clISt17integral_constantIbLb1EES1E_IbLb0EEEEDaS1A_S1B_EUlS1A_E_NS1_11comp_targetILNS1_3genE2ELNS1_11target_archE906ELNS1_3gpuE6ELNS1_3repE0EEENS1_30default_config_static_selectorELNS0_4arch9wavefront6targetE1EEEvT1_,@function
_ZN7rocprim17ROCPRIM_400000_NS6detail17trampoline_kernelINS0_14default_configENS1_25partition_config_selectorILNS1_17partition_subalgoE2EjNS0_10empty_typeEbEEZZNS1_14partition_implILS5_2ELb0ES3_jN6thrust23THRUST_200600_302600_NS6detail15normal_iteratorINSA_7pointerIjNSA_11hip_rocprim3tagENSA_11use_defaultESG_EEEEPS6_NSA_18transform_iteratorI7is_evenIjENSC_INSA_10device_ptrIjEEEESG_SG_EENS0_5tupleIJPjSJ_EEENSR_IJSJ_SJ_EEES6_PlJS6_EEE10hipError_tPvRmT3_T4_T5_T6_T7_T9_mT8_P12ihipStream_tbDpT10_ENKUlT_T0_E_clISt17integral_constantIbLb1EES1E_IbLb0EEEEDaS1A_S1B_EUlS1A_E_NS1_11comp_targetILNS1_3genE2ELNS1_11target_archE906ELNS1_3gpuE6ELNS1_3repE0EEENS1_30default_config_static_selectorELNS0_4arch9wavefront6targetE1EEEvT1_: ; @_ZN7rocprim17ROCPRIM_400000_NS6detail17trampoline_kernelINS0_14default_configENS1_25partition_config_selectorILNS1_17partition_subalgoE2EjNS0_10empty_typeEbEEZZNS1_14partition_implILS5_2ELb0ES3_jN6thrust23THRUST_200600_302600_NS6detail15normal_iteratorINSA_7pointerIjNSA_11hip_rocprim3tagENSA_11use_defaultESG_EEEEPS6_NSA_18transform_iteratorI7is_evenIjENSC_INSA_10device_ptrIjEEEESG_SG_EENS0_5tupleIJPjSJ_EEENSR_IJSJ_SJ_EEES6_PlJS6_EEE10hipError_tPvRmT3_T4_T5_T6_T7_T9_mT8_P12ihipStream_tbDpT10_ENKUlT_T0_E_clISt17integral_constantIbLb1EES1E_IbLb0EEEEDaS1A_S1B_EUlS1A_E_NS1_11comp_targetILNS1_3genE2ELNS1_11target_archE906ELNS1_3gpuE6ELNS1_3repE0EEENS1_30default_config_static_selectorELNS0_4arch9wavefront6targetE1EEEvT1_
; %bb.0:
	.section	.rodata,"a",@progbits
	.p2align	6, 0x0
	.amdhsa_kernel _ZN7rocprim17ROCPRIM_400000_NS6detail17trampoline_kernelINS0_14default_configENS1_25partition_config_selectorILNS1_17partition_subalgoE2EjNS0_10empty_typeEbEEZZNS1_14partition_implILS5_2ELb0ES3_jN6thrust23THRUST_200600_302600_NS6detail15normal_iteratorINSA_7pointerIjNSA_11hip_rocprim3tagENSA_11use_defaultESG_EEEEPS6_NSA_18transform_iteratorI7is_evenIjENSC_INSA_10device_ptrIjEEEESG_SG_EENS0_5tupleIJPjSJ_EEENSR_IJSJ_SJ_EEES6_PlJS6_EEE10hipError_tPvRmT3_T4_T5_T6_T7_T9_mT8_P12ihipStream_tbDpT10_ENKUlT_T0_E_clISt17integral_constantIbLb1EES1E_IbLb0EEEEDaS1A_S1B_EUlS1A_E_NS1_11comp_targetILNS1_3genE2ELNS1_11target_archE906ELNS1_3gpuE6ELNS1_3repE0EEENS1_30default_config_static_selectorELNS0_4arch9wavefront6targetE1EEEvT1_
		.amdhsa_group_segment_fixed_size 0
		.amdhsa_private_segment_fixed_size 0
		.amdhsa_kernarg_size 128
		.amdhsa_user_sgpr_count 2
		.amdhsa_user_sgpr_dispatch_ptr 0
		.amdhsa_user_sgpr_queue_ptr 0
		.amdhsa_user_sgpr_kernarg_segment_ptr 1
		.amdhsa_user_sgpr_dispatch_id 0
		.amdhsa_user_sgpr_kernarg_preload_length 0
		.amdhsa_user_sgpr_kernarg_preload_offset 0
		.amdhsa_user_sgpr_private_segment_size 0
		.amdhsa_uses_dynamic_stack 0
		.amdhsa_enable_private_segment 0
		.amdhsa_system_sgpr_workgroup_id_x 1
		.amdhsa_system_sgpr_workgroup_id_y 0
		.amdhsa_system_sgpr_workgroup_id_z 0
		.amdhsa_system_sgpr_workgroup_info 0
		.amdhsa_system_vgpr_workitem_id 0
		.amdhsa_next_free_vgpr 1
		.amdhsa_next_free_sgpr 0
		.amdhsa_accum_offset 4
		.amdhsa_reserve_vcc 0
		.amdhsa_float_round_mode_32 0
		.amdhsa_float_round_mode_16_64 0
		.amdhsa_float_denorm_mode_32 3
		.amdhsa_float_denorm_mode_16_64 3
		.amdhsa_dx10_clamp 1
		.amdhsa_ieee_mode 1
		.amdhsa_fp16_overflow 0
		.amdhsa_tg_split 0
		.amdhsa_exception_fp_ieee_invalid_op 0
		.amdhsa_exception_fp_denorm_src 0
		.amdhsa_exception_fp_ieee_div_zero 0
		.amdhsa_exception_fp_ieee_overflow 0
		.amdhsa_exception_fp_ieee_underflow 0
		.amdhsa_exception_fp_ieee_inexact 0
		.amdhsa_exception_int_div_zero 0
	.end_amdhsa_kernel
	.section	.text._ZN7rocprim17ROCPRIM_400000_NS6detail17trampoline_kernelINS0_14default_configENS1_25partition_config_selectorILNS1_17partition_subalgoE2EjNS0_10empty_typeEbEEZZNS1_14partition_implILS5_2ELb0ES3_jN6thrust23THRUST_200600_302600_NS6detail15normal_iteratorINSA_7pointerIjNSA_11hip_rocprim3tagENSA_11use_defaultESG_EEEEPS6_NSA_18transform_iteratorI7is_evenIjENSC_INSA_10device_ptrIjEEEESG_SG_EENS0_5tupleIJPjSJ_EEENSR_IJSJ_SJ_EEES6_PlJS6_EEE10hipError_tPvRmT3_T4_T5_T6_T7_T9_mT8_P12ihipStream_tbDpT10_ENKUlT_T0_E_clISt17integral_constantIbLb1EES1E_IbLb0EEEEDaS1A_S1B_EUlS1A_E_NS1_11comp_targetILNS1_3genE2ELNS1_11target_archE906ELNS1_3gpuE6ELNS1_3repE0EEENS1_30default_config_static_selectorELNS0_4arch9wavefront6targetE1EEEvT1_,"axG",@progbits,_ZN7rocprim17ROCPRIM_400000_NS6detail17trampoline_kernelINS0_14default_configENS1_25partition_config_selectorILNS1_17partition_subalgoE2EjNS0_10empty_typeEbEEZZNS1_14partition_implILS5_2ELb0ES3_jN6thrust23THRUST_200600_302600_NS6detail15normal_iteratorINSA_7pointerIjNSA_11hip_rocprim3tagENSA_11use_defaultESG_EEEEPS6_NSA_18transform_iteratorI7is_evenIjENSC_INSA_10device_ptrIjEEEESG_SG_EENS0_5tupleIJPjSJ_EEENSR_IJSJ_SJ_EEES6_PlJS6_EEE10hipError_tPvRmT3_T4_T5_T6_T7_T9_mT8_P12ihipStream_tbDpT10_ENKUlT_T0_E_clISt17integral_constantIbLb1EES1E_IbLb0EEEEDaS1A_S1B_EUlS1A_E_NS1_11comp_targetILNS1_3genE2ELNS1_11target_archE906ELNS1_3gpuE6ELNS1_3repE0EEENS1_30default_config_static_selectorELNS0_4arch9wavefront6targetE1EEEvT1_,comdat
.Lfunc_end2057:
	.size	_ZN7rocprim17ROCPRIM_400000_NS6detail17trampoline_kernelINS0_14default_configENS1_25partition_config_selectorILNS1_17partition_subalgoE2EjNS0_10empty_typeEbEEZZNS1_14partition_implILS5_2ELb0ES3_jN6thrust23THRUST_200600_302600_NS6detail15normal_iteratorINSA_7pointerIjNSA_11hip_rocprim3tagENSA_11use_defaultESG_EEEEPS6_NSA_18transform_iteratorI7is_evenIjENSC_INSA_10device_ptrIjEEEESG_SG_EENS0_5tupleIJPjSJ_EEENSR_IJSJ_SJ_EEES6_PlJS6_EEE10hipError_tPvRmT3_T4_T5_T6_T7_T9_mT8_P12ihipStream_tbDpT10_ENKUlT_T0_E_clISt17integral_constantIbLb1EES1E_IbLb0EEEEDaS1A_S1B_EUlS1A_E_NS1_11comp_targetILNS1_3genE2ELNS1_11target_archE906ELNS1_3gpuE6ELNS1_3repE0EEENS1_30default_config_static_selectorELNS0_4arch9wavefront6targetE1EEEvT1_, .Lfunc_end2057-_ZN7rocprim17ROCPRIM_400000_NS6detail17trampoline_kernelINS0_14default_configENS1_25partition_config_selectorILNS1_17partition_subalgoE2EjNS0_10empty_typeEbEEZZNS1_14partition_implILS5_2ELb0ES3_jN6thrust23THRUST_200600_302600_NS6detail15normal_iteratorINSA_7pointerIjNSA_11hip_rocprim3tagENSA_11use_defaultESG_EEEEPS6_NSA_18transform_iteratorI7is_evenIjENSC_INSA_10device_ptrIjEEEESG_SG_EENS0_5tupleIJPjSJ_EEENSR_IJSJ_SJ_EEES6_PlJS6_EEE10hipError_tPvRmT3_T4_T5_T6_T7_T9_mT8_P12ihipStream_tbDpT10_ENKUlT_T0_E_clISt17integral_constantIbLb1EES1E_IbLb0EEEEDaS1A_S1B_EUlS1A_E_NS1_11comp_targetILNS1_3genE2ELNS1_11target_archE906ELNS1_3gpuE6ELNS1_3repE0EEENS1_30default_config_static_selectorELNS0_4arch9wavefront6targetE1EEEvT1_
                                        ; -- End function
	.section	.AMDGPU.csdata,"",@progbits
; Kernel info:
; codeLenInByte = 0
; NumSgprs: 6
; NumVgprs: 0
; NumAgprs: 0
; TotalNumVgprs: 0
; ScratchSize: 0
; MemoryBound: 0
; FloatMode: 240
; IeeeMode: 1
; LDSByteSize: 0 bytes/workgroup (compile time only)
; SGPRBlocks: 0
; VGPRBlocks: 0
; NumSGPRsForWavesPerEU: 6
; NumVGPRsForWavesPerEU: 1
; AccumOffset: 4
; Occupancy: 8
; WaveLimiterHint : 0
; COMPUTE_PGM_RSRC2:SCRATCH_EN: 0
; COMPUTE_PGM_RSRC2:USER_SGPR: 2
; COMPUTE_PGM_RSRC2:TRAP_HANDLER: 0
; COMPUTE_PGM_RSRC2:TGID_X_EN: 1
; COMPUTE_PGM_RSRC2:TGID_Y_EN: 0
; COMPUTE_PGM_RSRC2:TGID_Z_EN: 0
; COMPUTE_PGM_RSRC2:TIDIG_COMP_CNT: 0
; COMPUTE_PGM_RSRC3_GFX90A:ACCUM_OFFSET: 0
; COMPUTE_PGM_RSRC3_GFX90A:TG_SPLIT: 0
	.section	.text._ZN7rocprim17ROCPRIM_400000_NS6detail17trampoline_kernelINS0_14default_configENS1_25partition_config_selectorILNS1_17partition_subalgoE2EjNS0_10empty_typeEbEEZZNS1_14partition_implILS5_2ELb0ES3_jN6thrust23THRUST_200600_302600_NS6detail15normal_iteratorINSA_7pointerIjNSA_11hip_rocprim3tagENSA_11use_defaultESG_EEEEPS6_NSA_18transform_iteratorI7is_evenIjENSC_INSA_10device_ptrIjEEEESG_SG_EENS0_5tupleIJPjSJ_EEENSR_IJSJ_SJ_EEES6_PlJS6_EEE10hipError_tPvRmT3_T4_T5_T6_T7_T9_mT8_P12ihipStream_tbDpT10_ENKUlT_T0_E_clISt17integral_constantIbLb1EES1E_IbLb0EEEEDaS1A_S1B_EUlS1A_E_NS1_11comp_targetILNS1_3genE10ELNS1_11target_archE1200ELNS1_3gpuE4ELNS1_3repE0EEENS1_30default_config_static_selectorELNS0_4arch9wavefront6targetE1EEEvT1_,"axG",@progbits,_ZN7rocprim17ROCPRIM_400000_NS6detail17trampoline_kernelINS0_14default_configENS1_25partition_config_selectorILNS1_17partition_subalgoE2EjNS0_10empty_typeEbEEZZNS1_14partition_implILS5_2ELb0ES3_jN6thrust23THRUST_200600_302600_NS6detail15normal_iteratorINSA_7pointerIjNSA_11hip_rocprim3tagENSA_11use_defaultESG_EEEEPS6_NSA_18transform_iteratorI7is_evenIjENSC_INSA_10device_ptrIjEEEESG_SG_EENS0_5tupleIJPjSJ_EEENSR_IJSJ_SJ_EEES6_PlJS6_EEE10hipError_tPvRmT3_T4_T5_T6_T7_T9_mT8_P12ihipStream_tbDpT10_ENKUlT_T0_E_clISt17integral_constantIbLb1EES1E_IbLb0EEEEDaS1A_S1B_EUlS1A_E_NS1_11comp_targetILNS1_3genE10ELNS1_11target_archE1200ELNS1_3gpuE4ELNS1_3repE0EEENS1_30default_config_static_selectorELNS0_4arch9wavefront6targetE1EEEvT1_,comdat
	.protected	_ZN7rocprim17ROCPRIM_400000_NS6detail17trampoline_kernelINS0_14default_configENS1_25partition_config_selectorILNS1_17partition_subalgoE2EjNS0_10empty_typeEbEEZZNS1_14partition_implILS5_2ELb0ES3_jN6thrust23THRUST_200600_302600_NS6detail15normal_iteratorINSA_7pointerIjNSA_11hip_rocprim3tagENSA_11use_defaultESG_EEEEPS6_NSA_18transform_iteratorI7is_evenIjENSC_INSA_10device_ptrIjEEEESG_SG_EENS0_5tupleIJPjSJ_EEENSR_IJSJ_SJ_EEES6_PlJS6_EEE10hipError_tPvRmT3_T4_T5_T6_T7_T9_mT8_P12ihipStream_tbDpT10_ENKUlT_T0_E_clISt17integral_constantIbLb1EES1E_IbLb0EEEEDaS1A_S1B_EUlS1A_E_NS1_11comp_targetILNS1_3genE10ELNS1_11target_archE1200ELNS1_3gpuE4ELNS1_3repE0EEENS1_30default_config_static_selectorELNS0_4arch9wavefront6targetE1EEEvT1_ ; -- Begin function _ZN7rocprim17ROCPRIM_400000_NS6detail17trampoline_kernelINS0_14default_configENS1_25partition_config_selectorILNS1_17partition_subalgoE2EjNS0_10empty_typeEbEEZZNS1_14partition_implILS5_2ELb0ES3_jN6thrust23THRUST_200600_302600_NS6detail15normal_iteratorINSA_7pointerIjNSA_11hip_rocprim3tagENSA_11use_defaultESG_EEEEPS6_NSA_18transform_iteratorI7is_evenIjENSC_INSA_10device_ptrIjEEEESG_SG_EENS0_5tupleIJPjSJ_EEENSR_IJSJ_SJ_EEES6_PlJS6_EEE10hipError_tPvRmT3_T4_T5_T6_T7_T9_mT8_P12ihipStream_tbDpT10_ENKUlT_T0_E_clISt17integral_constantIbLb1EES1E_IbLb0EEEEDaS1A_S1B_EUlS1A_E_NS1_11comp_targetILNS1_3genE10ELNS1_11target_archE1200ELNS1_3gpuE4ELNS1_3repE0EEENS1_30default_config_static_selectorELNS0_4arch9wavefront6targetE1EEEvT1_
	.globl	_ZN7rocprim17ROCPRIM_400000_NS6detail17trampoline_kernelINS0_14default_configENS1_25partition_config_selectorILNS1_17partition_subalgoE2EjNS0_10empty_typeEbEEZZNS1_14partition_implILS5_2ELb0ES3_jN6thrust23THRUST_200600_302600_NS6detail15normal_iteratorINSA_7pointerIjNSA_11hip_rocprim3tagENSA_11use_defaultESG_EEEEPS6_NSA_18transform_iteratorI7is_evenIjENSC_INSA_10device_ptrIjEEEESG_SG_EENS0_5tupleIJPjSJ_EEENSR_IJSJ_SJ_EEES6_PlJS6_EEE10hipError_tPvRmT3_T4_T5_T6_T7_T9_mT8_P12ihipStream_tbDpT10_ENKUlT_T0_E_clISt17integral_constantIbLb1EES1E_IbLb0EEEEDaS1A_S1B_EUlS1A_E_NS1_11comp_targetILNS1_3genE10ELNS1_11target_archE1200ELNS1_3gpuE4ELNS1_3repE0EEENS1_30default_config_static_selectorELNS0_4arch9wavefront6targetE1EEEvT1_
	.p2align	8
	.type	_ZN7rocprim17ROCPRIM_400000_NS6detail17trampoline_kernelINS0_14default_configENS1_25partition_config_selectorILNS1_17partition_subalgoE2EjNS0_10empty_typeEbEEZZNS1_14partition_implILS5_2ELb0ES3_jN6thrust23THRUST_200600_302600_NS6detail15normal_iteratorINSA_7pointerIjNSA_11hip_rocprim3tagENSA_11use_defaultESG_EEEEPS6_NSA_18transform_iteratorI7is_evenIjENSC_INSA_10device_ptrIjEEEESG_SG_EENS0_5tupleIJPjSJ_EEENSR_IJSJ_SJ_EEES6_PlJS6_EEE10hipError_tPvRmT3_T4_T5_T6_T7_T9_mT8_P12ihipStream_tbDpT10_ENKUlT_T0_E_clISt17integral_constantIbLb1EES1E_IbLb0EEEEDaS1A_S1B_EUlS1A_E_NS1_11comp_targetILNS1_3genE10ELNS1_11target_archE1200ELNS1_3gpuE4ELNS1_3repE0EEENS1_30default_config_static_selectorELNS0_4arch9wavefront6targetE1EEEvT1_,@function
_ZN7rocprim17ROCPRIM_400000_NS6detail17trampoline_kernelINS0_14default_configENS1_25partition_config_selectorILNS1_17partition_subalgoE2EjNS0_10empty_typeEbEEZZNS1_14partition_implILS5_2ELb0ES3_jN6thrust23THRUST_200600_302600_NS6detail15normal_iteratorINSA_7pointerIjNSA_11hip_rocprim3tagENSA_11use_defaultESG_EEEEPS6_NSA_18transform_iteratorI7is_evenIjENSC_INSA_10device_ptrIjEEEESG_SG_EENS0_5tupleIJPjSJ_EEENSR_IJSJ_SJ_EEES6_PlJS6_EEE10hipError_tPvRmT3_T4_T5_T6_T7_T9_mT8_P12ihipStream_tbDpT10_ENKUlT_T0_E_clISt17integral_constantIbLb1EES1E_IbLb0EEEEDaS1A_S1B_EUlS1A_E_NS1_11comp_targetILNS1_3genE10ELNS1_11target_archE1200ELNS1_3gpuE4ELNS1_3repE0EEENS1_30default_config_static_selectorELNS0_4arch9wavefront6targetE1EEEvT1_: ; @_ZN7rocprim17ROCPRIM_400000_NS6detail17trampoline_kernelINS0_14default_configENS1_25partition_config_selectorILNS1_17partition_subalgoE2EjNS0_10empty_typeEbEEZZNS1_14partition_implILS5_2ELb0ES3_jN6thrust23THRUST_200600_302600_NS6detail15normal_iteratorINSA_7pointerIjNSA_11hip_rocprim3tagENSA_11use_defaultESG_EEEEPS6_NSA_18transform_iteratorI7is_evenIjENSC_INSA_10device_ptrIjEEEESG_SG_EENS0_5tupleIJPjSJ_EEENSR_IJSJ_SJ_EEES6_PlJS6_EEE10hipError_tPvRmT3_T4_T5_T6_T7_T9_mT8_P12ihipStream_tbDpT10_ENKUlT_T0_E_clISt17integral_constantIbLb1EES1E_IbLb0EEEEDaS1A_S1B_EUlS1A_E_NS1_11comp_targetILNS1_3genE10ELNS1_11target_archE1200ELNS1_3gpuE4ELNS1_3repE0EEENS1_30default_config_static_selectorELNS0_4arch9wavefront6targetE1EEEvT1_
; %bb.0:
	.section	.rodata,"a",@progbits
	.p2align	6, 0x0
	.amdhsa_kernel _ZN7rocprim17ROCPRIM_400000_NS6detail17trampoline_kernelINS0_14default_configENS1_25partition_config_selectorILNS1_17partition_subalgoE2EjNS0_10empty_typeEbEEZZNS1_14partition_implILS5_2ELb0ES3_jN6thrust23THRUST_200600_302600_NS6detail15normal_iteratorINSA_7pointerIjNSA_11hip_rocprim3tagENSA_11use_defaultESG_EEEEPS6_NSA_18transform_iteratorI7is_evenIjENSC_INSA_10device_ptrIjEEEESG_SG_EENS0_5tupleIJPjSJ_EEENSR_IJSJ_SJ_EEES6_PlJS6_EEE10hipError_tPvRmT3_T4_T5_T6_T7_T9_mT8_P12ihipStream_tbDpT10_ENKUlT_T0_E_clISt17integral_constantIbLb1EES1E_IbLb0EEEEDaS1A_S1B_EUlS1A_E_NS1_11comp_targetILNS1_3genE10ELNS1_11target_archE1200ELNS1_3gpuE4ELNS1_3repE0EEENS1_30default_config_static_selectorELNS0_4arch9wavefront6targetE1EEEvT1_
		.amdhsa_group_segment_fixed_size 0
		.amdhsa_private_segment_fixed_size 0
		.amdhsa_kernarg_size 128
		.amdhsa_user_sgpr_count 2
		.amdhsa_user_sgpr_dispatch_ptr 0
		.amdhsa_user_sgpr_queue_ptr 0
		.amdhsa_user_sgpr_kernarg_segment_ptr 1
		.amdhsa_user_sgpr_dispatch_id 0
		.amdhsa_user_sgpr_kernarg_preload_length 0
		.amdhsa_user_sgpr_kernarg_preload_offset 0
		.amdhsa_user_sgpr_private_segment_size 0
		.amdhsa_uses_dynamic_stack 0
		.amdhsa_enable_private_segment 0
		.amdhsa_system_sgpr_workgroup_id_x 1
		.amdhsa_system_sgpr_workgroup_id_y 0
		.amdhsa_system_sgpr_workgroup_id_z 0
		.amdhsa_system_sgpr_workgroup_info 0
		.amdhsa_system_vgpr_workitem_id 0
		.amdhsa_next_free_vgpr 1
		.amdhsa_next_free_sgpr 0
		.amdhsa_accum_offset 4
		.amdhsa_reserve_vcc 0
		.amdhsa_float_round_mode_32 0
		.amdhsa_float_round_mode_16_64 0
		.amdhsa_float_denorm_mode_32 3
		.amdhsa_float_denorm_mode_16_64 3
		.amdhsa_dx10_clamp 1
		.amdhsa_ieee_mode 1
		.amdhsa_fp16_overflow 0
		.amdhsa_tg_split 0
		.amdhsa_exception_fp_ieee_invalid_op 0
		.amdhsa_exception_fp_denorm_src 0
		.amdhsa_exception_fp_ieee_div_zero 0
		.amdhsa_exception_fp_ieee_overflow 0
		.amdhsa_exception_fp_ieee_underflow 0
		.amdhsa_exception_fp_ieee_inexact 0
		.amdhsa_exception_int_div_zero 0
	.end_amdhsa_kernel
	.section	.text._ZN7rocprim17ROCPRIM_400000_NS6detail17trampoline_kernelINS0_14default_configENS1_25partition_config_selectorILNS1_17partition_subalgoE2EjNS0_10empty_typeEbEEZZNS1_14partition_implILS5_2ELb0ES3_jN6thrust23THRUST_200600_302600_NS6detail15normal_iteratorINSA_7pointerIjNSA_11hip_rocprim3tagENSA_11use_defaultESG_EEEEPS6_NSA_18transform_iteratorI7is_evenIjENSC_INSA_10device_ptrIjEEEESG_SG_EENS0_5tupleIJPjSJ_EEENSR_IJSJ_SJ_EEES6_PlJS6_EEE10hipError_tPvRmT3_T4_T5_T6_T7_T9_mT8_P12ihipStream_tbDpT10_ENKUlT_T0_E_clISt17integral_constantIbLb1EES1E_IbLb0EEEEDaS1A_S1B_EUlS1A_E_NS1_11comp_targetILNS1_3genE10ELNS1_11target_archE1200ELNS1_3gpuE4ELNS1_3repE0EEENS1_30default_config_static_selectorELNS0_4arch9wavefront6targetE1EEEvT1_,"axG",@progbits,_ZN7rocprim17ROCPRIM_400000_NS6detail17trampoline_kernelINS0_14default_configENS1_25partition_config_selectorILNS1_17partition_subalgoE2EjNS0_10empty_typeEbEEZZNS1_14partition_implILS5_2ELb0ES3_jN6thrust23THRUST_200600_302600_NS6detail15normal_iteratorINSA_7pointerIjNSA_11hip_rocprim3tagENSA_11use_defaultESG_EEEEPS6_NSA_18transform_iteratorI7is_evenIjENSC_INSA_10device_ptrIjEEEESG_SG_EENS0_5tupleIJPjSJ_EEENSR_IJSJ_SJ_EEES6_PlJS6_EEE10hipError_tPvRmT3_T4_T5_T6_T7_T9_mT8_P12ihipStream_tbDpT10_ENKUlT_T0_E_clISt17integral_constantIbLb1EES1E_IbLb0EEEEDaS1A_S1B_EUlS1A_E_NS1_11comp_targetILNS1_3genE10ELNS1_11target_archE1200ELNS1_3gpuE4ELNS1_3repE0EEENS1_30default_config_static_selectorELNS0_4arch9wavefront6targetE1EEEvT1_,comdat
.Lfunc_end2058:
	.size	_ZN7rocprim17ROCPRIM_400000_NS6detail17trampoline_kernelINS0_14default_configENS1_25partition_config_selectorILNS1_17partition_subalgoE2EjNS0_10empty_typeEbEEZZNS1_14partition_implILS5_2ELb0ES3_jN6thrust23THRUST_200600_302600_NS6detail15normal_iteratorINSA_7pointerIjNSA_11hip_rocprim3tagENSA_11use_defaultESG_EEEEPS6_NSA_18transform_iteratorI7is_evenIjENSC_INSA_10device_ptrIjEEEESG_SG_EENS0_5tupleIJPjSJ_EEENSR_IJSJ_SJ_EEES6_PlJS6_EEE10hipError_tPvRmT3_T4_T5_T6_T7_T9_mT8_P12ihipStream_tbDpT10_ENKUlT_T0_E_clISt17integral_constantIbLb1EES1E_IbLb0EEEEDaS1A_S1B_EUlS1A_E_NS1_11comp_targetILNS1_3genE10ELNS1_11target_archE1200ELNS1_3gpuE4ELNS1_3repE0EEENS1_30default_config_static_selectorELNS0_4arch9wavefront6targetE1EEEvT1_, .Lfunc_end2058-_ZN7rocprim17ROCPRIM_400000_NS6detail17trampoline_kernelINS0_14default_configENS1_25partition_config_selectorILNS1_17partition_subalgoE2EjNS0_10empty_typeEbEEZZNS1_14partition_implILS5_2ELb0ES3_jN6thrust23THRUST_200600_302600_NS6detail15normal_iteratorINSA_7pointerIjNSA_11hip_rocprim3tagENSA_11use_defaultESG_EEEEPS6_NSA_18transform_iteratorI7is_evenIjENSC_INSA_10device_ptrIjEEEESG_SG_EENS0_5tupleIJPjSJ_EEENSR_IJSJ_SJ_EEES6_PlJS6_EEE10hipError_tPvRmT3_T4_T5_T6_T7_T9_mT8_P12ihipStream_tbDpT10_ENKUlT_T0_E_clISt17integral_constantIbLb1EES1E_IbLb0EEEEDaS1A_S1B_EUlS1A_E_NS1_11comp_targetILNS1_3genE10ELNS1_11target_archE1200ELNS1_3gpuE4ELNS1_3repE0EEENS1_30default_config_static_selectorELNS0_4arch9wavefront6targetE1EEEvT1_
                                        ; -- End function
	.section	.AMDGPU.csdata,"",@progbits
; Kernel info:
; codeLenInByte = 0
; NumSgprs: 6
; NumVgprs: 0
; NumAgprs: 0
; TotalNumVgprs: 0
; ScratchSize: 0
; MemoryBound: 0
; FloatMode: 240
; IeeeMode: 1
; LDSByteSize: 0 bytes/workgroup (compile time only)
; SGPRBlocks: 0
; VGPRBlocks: 0
; NumSGPRsForWavesPerEU: 6
; NumVGPRsForWavesPerEU: 1
; AccumOffset: 4
; Occupancy: 8
; WaveLimiterHint : 0
; COMPUTE_PGM_RSRC2:SCRATCH_EN: 0
; COMPUTE_PGM_RSRC2:USER_SGPR: 2
; COMPUTE_PGM_RSRC2:TRAP_HANDLER: 0
; COMPUTE_PGM_RSRC2:TGID_X_EN: 1
; COMPUTE_PGM_RSRC2:TGID_Y_EN: 0
; COMPUTE_PGM_RSRC2:TGID_Z_EN: 0
; COMPUTE_PGM_RSRC2:TIDIG_COMP_CNT: 0
; COMPUTE_PGM_RSRC3_GFX90A:ACCUM_OFFSET: 0
; COMPUTE_PGM_RSRC3_GFX90A:TG_SPLIT: 0
	.section	.text._ZN7rocprim17ROCPRIM_400000_NS6detail17trampoline_kernelINS0_14default_configENS1_25partition_config_selectorILNS1_17partition_subalgoE2EjNS0_10empty_typeEbEEZZNS1_14partition_implILS5_2ELb0ES3_jN6thrust23THRUST_200600_302600_NS6detail15normal_iteratorINSA_7pointerIjNSA_11hip_rocprim3tagENSA_11use_defaultESG_EEEEPS6_NSA_18transform_iteratorI7is_evenIjENSC_INSA_10device_ptrIjEEEESG_SG_EENS0_5tupleIJPjSJ_EEENSR_IJSJ_SJ_EEES6_PlJS6_EEE10hipError_tPvRmT3_T4_T5_T6_T7_T9_mT8_P12ihipStream_tbDpT10_ENKUlT_T0_E_clISt17integral_constantIbLb1EES1E_IbLb0EEEEDaS1A_S1B_EUlS1A_E_NS1_11comp_targetILNS1_3genE9ELNS1_11target_archE1100ELNS1_3gpuE3ELNS1_3repE0EEENS1_30default_config_static_selectorELNS0_4arch9wavefront6targetE1EEEvT1_,"axG",@progbits,_ZN7rocprim17ROCPRIM_400000_NS6detail17trampoline_kernelINS0_14default_configENS1_25partition_config_selectorILNS1_17partition_subalgoE2EjNS0_10empty_typeEbEEZZNS1_14partition_implILS5_2ELb0ES3_jN6thrust23THRUST_200600_302600_NS6detail15normal_iteratorINSA_7pointerIjNSA_11hip_rocprim3tagENSA_11use_defaultESG_EEEEPS6_NSA_18transform_iteratorI7is_evenIjENSC_INSA_10device_ptrIjEEEESG_SG_EENS0_5tupleIJPjSJ_EEENSR_IJSJ_SJ_EEES6_PlJS6_EEE10hipError_tPvRmT3_T4_T5_T6_T7_T9_mT8_P12ihipStream_tbDpT10_ENKUlT_T0_E_clISt17integral_constantIbLb1EES1E_IbLb0EEEEDaS1A_S1B_EUlS1A_E_NS1_11comp_targetILNS1_3genE9ELNS1_11target_archE1100ELNS1_3gpuE3ELNS1_3repE0EEENS1_30default_config_static_selectorELNS0_4arch9wavefront6targetE1EEEvT1_,comdat
	.protected	_ZN7rocprim17ROCPRIM_400000_NS6detail17trampoline_kernelINS0_14default_configENS1_25partition_config_selectorILNS1_17partition_subalgoE2EjNS0_10empty_typeEbEEZZNS1_14partition_implILS5_2ELb0ES3_jN6thrust23THRUST_200600_302600_NS6detail15normal_iteratorINSA_7pointerIjNSA_11hip_rocprim3tagENSA_11use_defaultESG_EEEEPS6_NSA_18transform_iteratorI7is_evenIjENSC_INSA_10device_ptrIjEEEESG_SG_EENS0_5tupleIJPjSJ_EEENSR_IJSJ_SJ_EEES6_PlJS6_EEE10hipError_tPvRmT3_T4_T5_T6_T7_T9_mT8_P12ihipStream_tbDpT10_ENKUlT_T0_E_clISt17integral_constantIbLb1EES1E_IbLb0EEEEDaS1A_S1B_EUlS1A_E_NS1_11comp_targetILNS1_3genE9ELNS1_11target_archE1100ELNS1_3gpuE3ELNS1_3repE0EEENS1_30default_config_static_selectorELNS0_4arch9wavefront6targetE1EEEvT1_ ; -- Begin function _ZN7rocprim17ROCPRIM_400000_NS6detail17trampoline_kernelINS0_14default_configENS1_25partition_config_selectorILNS1_17partition_subalgoE2EjNS0_10empty_typeEbEEZZNS1_14partition_implILS5_2ELb0ES3_jN6thrust23THRUST_200600_302600_NS6detail15normal_iteratorINSA_7pointerIjNSA_11hip_rocprim3tagENSA_11use_defaultESG_EEEEPS6_NSA_18transform_iteratorI7is_evenIjENSC_INSA_10device_ptrIjEEEESG_SG_EENS0_5tupleIJPjSJ_EEENSR_IJSJ_SJ_EEES6_PlJS6_EEE10hipError_tPvRmT3_T4_T5_T6_T7_T9_mT8_P12ihipStream_tbDpT10_ENKUlT_T0_E_clISt17integral_constantIbLb1EES1E_IbLb0EEEEDaS1A_S1B_EUlS1A_E_NS1_11comp_targetILNS1_3genE9ELNS1_11target_archE1100ELNS1_3gpuE3ELNS1_3repE0EEENS1_30default_config_static_selectorELNS0_4arch9wavefront6targetE1EEEvT1_
	.globl	_ZN7rocprim17ROCPRIM_400000_NS6detail17trampoline_kernelINS0_14default_configENS1_25partition_config_selectorILNS1_17partition_subalgoE2EjNS0_10empty_typeEbEEZZNS1_14partition_implILS5_2ELb0ES3_jN6thrust23THRUST_200600_302600_NS6detail15normal_iteratorINSA_7pointerIjNSA_11hip_rocprim3tagENSA_11use_defaultESG_EEEEPS6_NSA_18transform_iteratorI7is_evenIjENSC_INSA_10device_ptrIjEEEESG_SG_EENS0_5tupleIJPjSJ_EEENSR_IJSJ_SJ_EEES6_PlJS6_EEE10hipError_tPvRmT3_T4_T5_T6_T7_T9_mT8_P12ihipStream_tbDpT10_ENKUlT_T0_E_clISt17integral_constantIbLb1EES1E_IbLb0EEEEDaS1A_S1B_EUlS1A_E_NS1_11comp_targetILNS1_3genE9ELNS1_11target_archE1100ELNS1_3gpuE3ELNS1_3repE0EEENS1_30default_config_static_selectorELNS0_4arch9wavefront6targetE1EEEvT1_
	.p2align	8
	.type	_ZN7rocprim17ROCPRIM_400000_NS6detail17trampoline_kernelINS0_14default_configENS1_25partition_config_selectorILNS1_17partition_subalgoE2EjNS0_10empty_typeEbEEZZNS1_14partition_implILS5_2ELb0ES3_jN6thrust23THRUST_200600_302600_NS6detail15normal_iteratorINSA_7pointerIjNSA_11hip_rocprim3tagENSA_11use_defaultESG_EEEEPS6_NSA_18transform_iteratorI7is_evenIjENSC_INSA_10device_ptrIjEEEESG_SG_EENS0_5tupleIJPjSJ_EEENSR_IJSJ_SJ_EEES6_PlJS6_EEE10hipError_tPvRmT3_T4_T5_T6_T7_T9_mT8_P12ihipStream_tbDpT10_ENKUlT_T0_E_clISt17integral_constantIbLb1EES1E_IbLb0EEEEDaS1A_S1B_EUlS1A_E_NS1_11comp_targetILNS1_3genE9ELNS1_11target_archE1100ELNS1_3gpuE3ELNS1_3repE0EEENS1_30default_config_static_selectorELNS0_4arch9wavefront6targetE1EEEvT1_,@function
_ZN7rocprim17ROCPRIM_400000_NS6detail17trampoline_kernelINS0_14default_configENS1_25partition_config_selectorILNS1_17partition_subalgoE2EjNS0_10empty_typeEbEEZZNS1_14partition_implILS5_2ELb0ES3_jN6thrust23THRUST_200600_302600_NS6detail15normal_iteratorINSA_7pointerIjNSA_11hip_rocprim3tagENSA_11use_defaultESG_EEEEPS6_NSA_18transform_iteratorI7is_evenIjENSC_INSA_10device_ptrIjEEEESG_SG_EENS0_5tupleIJPjSJ_EEENSR_IJSJ_SJ_EEES6_PlJS6_EEE10hipError_tPvRmT3_T4_T5_T6_T7_T9_mT8_P12ihipStream_tbDpT10_ENKUlT_T0_E_clISt17integral_constantIbLb1EES1E_IbLb0EEEEDaS1A_S1B_EUlS1A_E_NS1_11comp_targetILNS1_3genE9ELNS1_11target_archE1100ELNS1_3gpuE3ELNS1_3repE0EEENS1_30default_config_static_selectorELNS0_4arch9wavefront6targetE1EEEvT1_: ; @_ZN7rocprim17ROCPRIM_400000_NS6detail17trampoline_kernelINS0_14default_configENS1_25partition_config_selectorILNS1_17partition_subalgoE2EjNS0_10empty_typeEbEEZZNS1_14partition_implILS5_2ELb0ES3_jN6thrust23THRUST_200600_302600_NS6detail15normal_iteratorINSA_7pointerIjNSA_11hip_rocprim3tagENSA_11use_defaultESG_EEEEPS6_NSA_18transform_iteratorI7is_evenIjENSC_INSA_10device_ptrIjEEEESG_SG_EENS0_5tupleIJPjSJ_EEENSR_IJSJ_SJ_EEES6_PlJS6_EEE10hipError_tPvRmT3_T4_T5_T6_T7_T9_mT8_P12ihipStream_tbDpT10_ENKUlT_T0_E_clISt17integral_constantIbLb1EES1E_IbLb0EEEEDaS1A_S1B_EUlS1A_E_NS1_11comp_targetILNS1_3genE9ELNS1_11target_archE1100ELNS1_3gpuE3ELNS1_3repE0EEENS1_30default_config_static_selectorELNS0_4arch9wavefront6targetE1EEEvT1_
; %bb.0:
	.section	.rodata,"a",@progbits
	.p2align	6, 0x0
	.amdhsa_kernel _ZN7rocprim17ROCPRIM_400000_NS6detail17trampoline_kernelINS0_14default_configENS1_25partition_config_selectorILNS1_17partition_subalgoE2EjNS0_10empty_typeEbEEZZNS1_14partition_implILS5_2ELb0ES3_jN6thrust23THRUST_200600_302600_NS6detail15normal_iteratorINSA_7pointerIjNSA_11hip_rocprim3tagENSA_11use_defaultESG_EEEEPS6_NSA_18transform_iteratorI7is_evenIjENSC_INSA_10device_ptrIjEEEESG_SG_EENS0_5tupleIJPjSJ_EEENSR_IJSJ_SJ_EEES6_PlJS6_EEE10hipError_tPvRmT3_T4_T5_T6_T7_T9_mT8_P12ihipStream_tbDpT10_ENKUlT_T0_E_clISt17integral_constantIbLb1EES1E_IbLb0EEEEDaS1A_S1B_EUlS1A_E_NS1_11comp_targetILNS1_3genE9ELNS1_11target_archE1100ELNS1_3gpuE3ELNS1_3repE0EEENS1_30default_config_static_selectorELNS0_4arch9wavefront6targetE1EEEvT1_
		.amdhsa_group_segment_fixed_size 0
		.amdhsa_private_segment_fixed_size 0
		.amdhsa_kernarg_size 128
		.amdhsa_user_sgpr_count 2
		.amdhsa_user_sgpr_dispatch_ptr 0
		.amdhsa_user_sgpr_queue_ptr 0
		.amdhsa_user_sgpr_kernarg_segment_ptr 1
		.amdhsa_user_sgpr_dispatch_id 0
		.amdhsa_user_sgpr_kernarg_preload_length 0
		.amdhsa_user_sgpr_kernarg_preload_offset 0
		.amdhsa_user_sgpr_private_segment_size 0
		.amdhsa_uses_dynamic_stack 0
		.amdhsa_enable_private_segment 0
		.amdhsa_system_sgpr_workgroup_id_x 1
		.amdhsa_system_sgpr_workgroup_id_y 0
		.amdhsa_system_sgpr_workgroup_id_z 0
		.amdhsa_system_sgpr_workgroup_info 0
		.amdhsa_system_vgpr_workitem_id 0
		.amdhsa_next_free_vgpr 1
		.amdhsa_next_free_sgpr 0
		.amdhsa_accum_offset 4
		.amdhsa_reserve_vcc 0
		.amdhsa_float_round_mode_32 0
		.amdhsa_float_round_mode_16_64 0
		.amdhsa_float_denorm_mode_32 3
		.amdhsa_float_denorm_mode_16_64 3
		.amdhsa_dx10_clamp 1
		.amdhsa_ieee_mode 1
		.amdhsa_fp16_overflow 0
		.amdhsa_tg_split 0
		.amdhsa_exception_fp_ieee_invalid_op 0
		.amdhsa_exception_fp_denorm_src 0
		.amdhsa_exception_fp_ieee_div_zero 0
		.amdhsa_exception_fp_ieee_overflow 0
		.amdhsa_exception_fp_ieee_underflow 0
		.amdhsa_exception_fp_ieee_inexact 0
		.amdhsa_exception_int_div_zero 0
	.end_amdhsa_kernel
	.section	.text._ZN7rocprim17ROCPRIM_400000_NS6detail17trampoline_kernelINS0_14default_configENS1_25partition_config_selectorILNS1_17partition_subalgoE2EjNS0_10empty_typeEbEEZZNS1_14partition_implILS5_2ELb0ES3_jN6thrust23THRUST_200600_302600_NS6detail15normal_iteratorINSA_7pointerIjNSA_11hip_rocprim3tagENSA_11use_defaultESG_EEEEPS6_NSA_18transform_iteratorI7is_evenIjENSC_INSA_10device_ptrIjEEEESG_SG_EENS0_5tupleIJPjSJ_EEENSR_IJSJ_SJ_EEES6_PlJS6_EEE10hipError_tPvRmT3_T4_T5_T6_T7_T9_mT8_P12ihipStream_tbDpT10_ENKUlT_T0_E_clISt17integral_constantIbLb1EES1E_IbLb0EEEEDaS1A_S1B_EUlS1A_E_NS1_11comp_targetILNS1_3genE9ELNS1_11target_archE1100ELNS1_3gpuE3ELNS1_3repE0EEENS1_30default_config_static_selectorELNS0_4arch9wavefront6targetE1EEEvT1_,"axG",@progbits,_ZN7rocprim17ROCPRIM_400000_NS6detail17trampoline_kernelINS0_14default_configENS1_25partition_config_selectorILNS1_17partition_subalgoE2EjNS0_10empty_typeEbEEZZNS1_14partition_implILS5_2ELb0ES3_jN6thrust23THRUST_200600_302600_NS6detail15normal_iteratorINSA_7pointerIjNSA_11hip_rocprim3tagENSA_11use_defaultESG_EEEEPS6_NSA_18transform_iteratorI7is_evenIjENSC_INSA_10device_ptrIjEEEESG_SG_EENS0_5tupleIJPjSJ_EEENSR_IJSJ_SJ_EEES6_PlJS6_EEE10hipError_tPvRmT3_T4_T5_T6_T7_T9_mT8_P12ihipStream_tbDpT10_ENKUlT_T0_E_clISt17integral_constantIbLb1EES1E_IbLb0EEEEDaS1A_S1B_EUlS1A_E_NS1_11comp_targetILNS1_3genE9ELNS1_11target_archE1100ELNS1_3gpuE3ELNS1_3repE0EEENS1_30default_config_static_selectorELNS0_4arch9wavefront6targetE1EEEvT1_,comdat
.Lfunc_end2059:
	.size	_ZN7rocprim17ROCPRIM_400000_NS6detail17trampoline_kernelINS0_14default_configENS1_25partition_config_selectorILNS1_17partition_subalgoE2EjNS0_10empty_typeEbEEZZNS1_14partition_implILS5_2ELb0ES3_jN6thrust23THRUST_200600_302600_NS6detail15normal_iteratorINSA_7pointerIjNSA_11hip_rocprim3tagENSA_11use_defaultESG_EEEEPS6_NSA_18transform_iteratorI7is_evenIjENSC_INSA_10device_ptrIjEEEESG_SG_EENS0_5tupleIJPjSJ_EEENSR_IJSJ_SJ_EEES6_PlJS6_EEE10hipError_tPvRmT3_T4_T5_T6_T7_T9_mT8_P12ihipStream_tbDpT10_ENKUlT_T0_E_clISt17integral_constantIbLb1EES1E_IbLb0EEEEDaS1A_S1B_EUlS1A_E_NS1_11comp_targetILNS1_3genE9ELNS1_11target_archE1100ELNS1_3gpuE3ELNS1_3repE0EEENS1_30default_config_static_selectorELNS0_4arch9wavefront6targetE1EEEvT1_, .Lfunc_end2059-_ZN7rocprim17ROCPRIM_400000_NS6detail17trampoline_kernelINS0_14default_configENS1_25partition_config_selectorILNS1_17partition_subalgoE2EjNS0_10empty_typeEbEEZZNS1_14partition_implILS5_2ELb0ES3_jN6thrust23THRUST_200600_302600_NS6detail15normal_iteratorINSA_7pointerIjNSA_11hip_rocprim3tagENSA_11use_defaultESG_EEEEPS6_NSA_18transform_iteratorI7is_evenIjENSC_INSA_10device_ptrIjEEEESG_SG_EENS0_5tupleIJPjSJ_EEENSR_IJSJ_SJ_EEES6_PlJS6_EEE10hipError_tPvRmT3_T4_T5_T6_T7_T9_mT8_P12ihipStream_tbDpT10_ENKUlT_T0_E_clISt17integral_constantIbLb1EES1E_IbLb0EEEEDaS1A_S1B_EUlS1A_E_NS1_11comp_targetILNS1_3genE9ELNS1_11target_archE1100ELNS1_3gpuE3ELNS1_3repE0EEENS1_30default_config_static_selectorELNS0_4arch9wavefront6targetE1EEEvT1_
                                        ; -- End function
	.section	.AMDGPU.csdata,"",@progbits
; Kernel info:
; codeLenInByte = 0
; NumSgprs: 6
; NumVgprs: 0
; NumAgprs: 0
; TotalNumVgprs: 0
; ScratchSize: 0
; MemoryBound: 0
; FloatMode: 240
; IeeeMode: 1
; LDSByteSize: 0 bytes/workgroup (compile time only)
; SGPRBlocks: 0
; VGPRBlocks: 0
; NumSGPRsForWavesPerEU: 6
; NumVGPRsForWavesPerEU: 1
; AccumOffset: 4
; Occupancy: 8
; WaveLimiterHint : 0
; COMPUTE_PGM_RSRC2:SCRATCH_EN: 0
; COMPUTE_PGM_RSRC2:USER_SGPR: 2
; COMPUTE_PGM_RSRC2:TRAP_HANDLER: 0
; COMPUTE_PGM_RSRC2:TGID_X_EN: 1
; COMPUTE_PGM_RSRC2:TGID_Y_EN: 0
; COMPUTE_PGM_RSRC2:TGID_Z_EN: 0
; COMPUTE_PGM_RSRC2:TIDIG_COMP_CNT: 0
; COMPUTE_PGM_RSRC3_GFX90A:ACCUM_OFFSET: 0
; COMPUTE_PGM_RSRC3_GFX90A:TG_SPLIT: 0
	.section	.text._ZN7rocprim17ROCPRIM_400000_NS6detail17trampoline_kernelINS0_14default_configENS1_25partition_config_selectorILNS1_17partition_subalgoE2EjNS0_10empty_typeEbEEZZNS1_14partition_implILS5_2ELb0ES3_jN6thrust23THRUST_200600_302600_NS6detail15normal_iteratorINSA_7pointerIjNSA_11hip_rocprim3tagENSA_11use_defaultESG_EEEEPS6_NSA_18transform_iteratorI7is_evenIjENSC_INSA_10device_ptrIjEEEESG_SG_EENS0_5tupleIJPjSJ_EEENSR_IJSJ_SJ_EEES6_PlJS6_EEE10hipError_tPvRmT3_T4_T5_T6_T7_T9_mT8_P12ihipStream_tbDpT10_ENKUlT_T0_E_clISt17integral_constantIbLb1EES1E_IbLb0EEEEDaS1A_S1B_EUlS1A_E_NS1_11comp_targetILNS1_3genE8ELNS1_11target_archE1030ELNS1_3gpuE2ELNS1_3repE0EEENS1_30default_config_static_selectorELNS0_4arch9wavefront6targetE1EEEvT1_,"axG",@progbits,_ZN7rocprim17ROCPRIM_400000_NS6detail17trampoline_kernelINS0_14default_configENS1_25partition_config_selectorILNS1_17partition_subalgoE2EjNS0_10empty_typeEbEEZZNS1_14partition_implILS5_2ELb0ES3_jN6thrust23THRUST_200600_302600_NS6detail15normal_iteratorINSA_7pointerIjNSA_11hip_rocprim3tagENSA_11use_defaultESG_EEEEPS6_NSA_18transform_iteratorI7is_evenIjENSC_INSA_10device_ptrIjEEEESG_SG_EENS0_5tupleIJPjSJ_EEENSR_IJSJ_SJ_EEES6_PlJS6_EEE10hipError_tPvRmT3_T4_T5_T6_T7_T9_mT8_P12ihipStream_tbDpT10_ENKUlT_T0_E_clISt17integral_constantIbLb1EES1E_IbLb0EEEEDaS1A_S1B_EUlS1A_E_NS1_11comp_targetILNS1_3genE8ELNS1_11target_archE1030ELNS1_3gpuE2ELNS1_3repE0EEENS1_30default_config_static_selectorELNS0_4arch9wavefront6targetE1EEEvT1_,comdat
	.protected	_ZN7rocprim17ROCPRIM_400000_NS6detail17trampoline_kernelINS0_14default_configENS1_25partition_config_selectorILNS1_17partition_subalgoE2EjNS0_10empty_typeEbEEZZNS1_14partition_implILS5_2ELb0ES3_jN6thrust23THRUST_200600_302600_NS6detail15normal_iteratorINSA_7pointerIjNSA_11hip_rocprim3tagENSA_11use_defaultESG_EEEEPS6_NSA_18transform_iteratorI7is_evenIjENSC_INSA_10device_ptrIjEEEESG_SG_EENS0_5tupleIJPjSJ_EEENSR_IJSJ_SJ_EEES6_PlJS6_EEE10hipError_tPvRmT3_T4_T5_T6_T7_T9_mT8_P12ihipStream_tbDpT10_ENKUlT_T0_E_clISt17integral_constantIbLb1EES1E_IbLb0EEEEDaS1A_S1B_EUlS1A_E_NS1_11comp_targetILNS1_3genE8ELNS1_11target_archE1030ELNS1_3gpuE2ELNS1_3repE0EEENS1_30default_config_static_selectorELNS0_4arch9wavefront6targetE1EEEvT1_ ; -- Begin function _ZN7rocprim17ROCPRIM_400000_NS6detail17trampoline_kernelINS0_14default_configENS1_25partition_config_selectorILNS1_17partition_subalgoE2EjNS0_10empty_typeEbEEZZNS1_14partition_implILS5_2ELb0ES3_jN6thrust23THRUST_200600_302600_NS6detail15normal_iteratorINSA_7pointerIjNSA_11hip_rocprim3tagENSA_11use_defaultESG_EEEEPS6_NSA_18transform_iteratorI7is_evenIjENSC_INSA_10device_ptrIjEEEESG_SG_EENS0_5tupleIJPjSJ_EEENSR_IJSJ_SJ_EEES6_PlJS6_EEE10hipError_tPvRmT3_T4_T5_T6_T7_T9_mT8_P12ihipStream_tbDpT10_ENKUlT_T0_E_clISt17integral_constantIbLb1EES1E_IbLb0EEEEDaS1A_S1B_EUlS1A_E_NS1_11comp_targetILNS1_3genE8ELNS1_11target_archE1030ELNS1_3gpuE2ELNS1_3repE0EEENS1_30default_config_static_selectorELNS0_4arch9wavefront6targetE1EEEvT1_
	.globl	_ZN7rocprim17ROCPRIM_400000_NS6detail17trampoline_kernelINS0_14default_configENS1_25partition_config_selectorILNS1_17partition_subalgoE2EjNS0_10empty_typeEbEEZZNS1_14partition_implILS5_2ELb0ES3_jN6thrust23THRUST_200600_302600_NS6detail15normal_iteratorINSA_7pointerIjNSA_11hip_rocprim3tagENSA_11use_defaultESG_EEEEPS6_NSA_18transform_iteratorI7is_evenIjENSC_INSA_10device_ptrIjEEEESG_SG_EENS0_5tupleIJPjSJ_EEENSR_IJSJ_SJ_EEES6_PlJS6_EEE10hipError_tPvRmT3_T4_T5_T6_T7_T9_mT8_P12ihipStream_tbDpT10_ENKUlT_T0_E_clISt17integral_constantIbLb1EES1E_IbLb0EEEEDaS1A_S1B_EUlS1A_E_NS1_11comp_targetILNS1_3genE8ELNS1_11target_archE1030ELNS1_3gpuE2ELNS1_3repE0EEENS1_30default_config_static_selectorELNS0_4arch9wavefront6targetE1EEEvT1_
	.p2align	8
	.type	_ZN7rocprim17ROCPRIM_400000_NS6detail17trampoline_kernelINS0_14default_configENS1_25partition_config_selectorILNS1_17partition_subalgoE2EjNS0_10empty_typeEbEEZZNS1_14partition_implILS5_2ELb0ES3_jN6thrust23THRUST_200600_302600_NS6detail15normal_iteratorINSA_7pointerIjNSA_11hip_rocprim3tagENSA_11use_defaultESG_EEEEPS6_NSA_18transform_iteratorI7is_evenIjENSC_INSA_10device_ptrIjEEEESG_SG_EENS0_5tupleIJPjSJ_EEENSR_IJSJ_SJ_EEES6_PlJS6_EEE10hipError_tPvRmT3_T4_T5_T6_T7_T9_mT8_P12ihipStream_tbDpT10_ENKUlT_T0_E_clISt17integral_constantIbLb1EES1E_IbLb0EEEEDaS1A_S1B_EUlS1A_E_NS1_11comp_targetILNS1_3genE8ELNS1_11target_archE1030ELNS1_3gpuE2ELNS1_3repE0EEENS1_30default_config_static_selectorELNS0_4arch9wavefront6targetE1EEEvT1_,@function
_ZN7rocprim17ROCPRIM_400000_NS6detail17trampoline_kernelINS0_14default_configENS1_25partition_config_selectorILNS1_17partition_subalgoE2EjNS0_10empty_typeEbEEZZNS1_14partition_implILS5_2ELb0ES3_jN6thrust23THRUST_200600_302600_NS6detail15normal_iteratorINSA_7pointerIjNSA_11hip_rocprim3tagENSA_11use_defaultESG_EEEEPS6_NSA_18transform_iteratorI7is_evenIjENSC_INSA_10device_ptrIjEEEESG_SG_EENS0_5tupleIJPjSJ_EEENSR_IJSJ_SJ_EEES6_PlJS6_EEE10hipError_tPvRmT3_T4_T5_T6_T7_T9_mT8_P12ihipStream_tbDpT10_ENKUlT_T0_E_clISt17integral_constantIbLb1EES1E_IbLb0EEEEDaS1A_S1B_EUlS1A_E_NS1_11comp_targetILNS1_3genE8ELNS1_11target_archE1030ELNS1_3gpuE2ELNS1_3repE0EEENS1_30default_config_static_selectorELNS0_4arch9wavefront6targetE1EEEvT1_: ; @_ZN7rocprim17ROCPRIM_400000_NS6detail17trampoline_kernelINS0_14default_configENS1_25partition_config_selectorILNS1_17partition_subalgoE2EjNS0_10empty_typeEbEEZZNS1_14partition_implILS5_2ELb0ES3_jN6thrust23THRUST_200600_302600_NS6detail15normal_iteratorINSA_7pointerIjNSA_11hip_rocprim3tagENSA_11use_defaultESG_EEEEPS6_NSA_18transform_iteratorI7is_evenIjENSC_INSA_10device_ptrIjEEEESG_SG_EENS0_5tupleIJPjSJ_EEENSR_IJSJ_SJ_EEES6_PlJS6_EEE10hipError_tPvRmT3_T4_T5_T6_T7_T9_mT8_P12ihipStream_tbDpT10_ENKUlT_T0_E_clISt17integral_constantIbLb1EES1E_IbLb0EEEEDaS1A_S1B_EUlS1A_E_NS1_11comp_targetILNS1_3genE8ELNS1_11target_archE1030ELNS1_3gpuE2ELNS1_3repE0EEENS1_30default_config_static_selectorELNS0_4arch9wavefront6targetE1EEEvT1_
; %bb.0:
	.section	.rodata,"a",@progbits
	.p2align	6, 0x0
	.amdhsa_kernel _ZN7rocprim17ROCPRIM_400000_NS6detail17trampoline_kernelINS0_14default_configENS1_25partition_config_selectorILNS1_17partition_subalgoE2EjNS0_10empty_typeEbEEZZNS1_14partition_implILS5_2ELb0ES3_jN6thrust23THRUST_200600_302600_NS6detail15normal_iteratorINSA_7pointerIjNSA_11hip_rocprim3tagENSA_11use_defaultESG_EEEEPS6_NSA_18transform_iteratorI7is_evenIjENSC_INSA_10device_ptrIjEEEESG_SG_EENS0_5tupleIJPjSJ_EEENSR_IJSJ_SJ_EEES6_PlJS6_EEE10hipError_tPvRmT3_T4_T5_T6_T7_T9_mT8_P12ihipStream_tbDpT10_ENKUlT_T0_E_clISt17integral_constantIbLb1EES1E_IbLb0EEEEDaS1A_S1B_EUlS1A_E_NS1_11comp_targetILNS1_3genE8ELNS1_11target_archE1030ELNS1_3gpuE2ELNS1_3repE0EEENS1_30default_config_static_selectorELNS0_4arch9wavefront6targetE1EEEvT1_
		.amdhsa_group_segment_fixed_size 0
		.amdhsa_private_segment_fixed_size 0
		.amdhsa_kernarg_size 128
		.amdhsa_user_sgpr_count 2
		.amdhsa_user_sgpr_dispatch_ptr 0
		.amdhsa_user_sgpr_queue_ptr 0
		.amdhsa_user_sgpr_kernarg_segment_ptr 1
		.amdhsa_user_sgpr_dispatch_id 0
		.amdhsa_user_sgpr_kernarg_preload_length 0
		.amdhsa_user_sgpr_kernarg_preload_offset 0
		.amdhsa_user_sgpr_private_segment_size 0
		.amdhsa_uses_dynamic_stack 0
		.amdhsa_enable_private_segment 0
		.amdhsa_system_sgpr_workgroup_id_x 1
		.amdhsa_system_sgpr_workgroup_id_y 0
		.amdhsa_system_sgpr_workgroup_id_z 0
		.amdhsa_system_sgpr_workgroup_info 0
		.amdhsa_system_vgpr_workitem_id 0
		.amdhsa_next_free_vgpr 1
		.amdhsa_next_free_sgpr 0
		.amdhsa_accum_offset 4
		.amdhsa_reserve_vcc 0
		.amdhsa_float_round_mode_32 0
		.amdhsa_float_round_mode_16_64 0
		.amdhsa_float_denorm_mode_32 3
		.amdhsa_float_denorm_mode_16_64 3
		.amdhsa_dx10_clamp 1
		.amdhsa_ieee_mode 1
		.amdhsa_fp16_overflow 0
		.amdhsa_tg_split 0
		.amdhsa_exception_fp_ieee_invalid_op 0
		.amdhsa_exception_fp_denorm_src 0
		.amdhsa_exception_fp_ieee_div_zero 0
		.amdhsa_exception_fp_ieee_overflow 0
		.amdhsa_exception_fp_ieee_underflow 0
		.amdhsa_exception_fp_ieee_inexact 0
		.amdhsa_exception_int_div_zero 0
	.end_amdhsa_kernel
	.section	.text._ZN7rocprim17ROCPRIM_400000_NS6detail17trampoline_kernelINS0_14default_configENS1_25partition_config_selectorILNS1_17partition_subalgoE2EjNS0_10empty_typeEbEEZZNS1_14partition_implILS5_2ELb0ES3_jN6thrust23THRUST_200600_302600_NS6detail15normal_iteratorINSA_7pointerIjNSA_11hip_rocprim3tagENSA_11use_defaultESG_EEEEPS6_NSA_18transform_iteratorI7is_evenIjENSC_INSA_10device_ptrIjEEEESG_SG_EENS0_5tupleIJPjSJ_EEENSR_IJSJ_SJ_EEES6_PlJS6_EEE10hipError_tPvRmT3_T4_T5_T6_T7_T9_mT8_P12ihipStream_tbDpT10_ENKUlT_T0_E_clISt17integral_constantIbLb1EES1E_IbLb0EEEEDaS1A_S1B_EUlS1A_E_NS1_11comp_targetILNS1_3genE8ELNS1_11target_archE1030ELNS1_3gpuE2ELNS1_3repE0EEENS1_30default_config_static_selectorELNS0_4arch9wavefront6targetE1EEEvT1_,"axG",@progbits,_ZN7rocprim17ROCPRIM_400000_NS6detail17trampoline_kernelINS0_14default_configENS1_25partition_config_selectorILNS1_17partition_subalgoE2EjNS0_10empty_typeEbEEZZNS1_14partition_implILS5_2ELb0ES3_jN6thrust23THRUST_200600_302600_NS6detail15normal_iteratorINSA_7pointerIjNSA_11hip_rocprim3tagENSA_11use_defaultESG_EEEEPS6_NSA_18transform_iteratorI7is_evenIjENSC_INSA_10device_ptrIjEEEESG_SG_EENS0_5tupleIJPjSJ_EEENSR_IJSJ_SJ_EEES6_PlJS6_EEE10hipError_tPvRmT3_T4_T5_T6_T7_T9_mT8_P12ihipStream_tbDpT10_ENKUlT_T0_E_clISt17integral_constantIbLb1EES1E_IbLb0EEEEDaS1A_S1B_EUlS1A_E_NS1_11comp_targetILNS1_3genE8ELNS1_11target_archE1030ELNS1_3gpuE2ELNS1_3repE0EEENS1_30default_config_static_selectorELNS0_4arch9wavefront6targetE1EEEvT1_,comdat
.Lfunc_end2060:
	.size	_ZN7rocprim17ROCPRIM_400000_NS6detail17trampoline_kernelINS0_14default_configENS1_25partition_config_selectorILNS1_17partition_subalgoE2EjNS0_10empty_typeEbEEZZNS1_14partition_implILS5_2ELb0ES3_jN6thrust23THRUST_200600_302600_NS6detail15normal_iteratorINSA_7pointerIjNSA_11hip_rocprim3tagENSA_11use_defaultESG_EEEEPS6_NSA_18transform_iteratorI7is_evenIjENSC_INSA_10device_ptrIjEEEESG_SG_EENS0_5tupleIJPjSJ_EEENSR_IJSJ_SJ_EEES6_PlJS6_EEE10hipError_tPvRmT3_T4_T5_T6_T7_T9_mT8_P12ihipStream_tbDpT10_ENKUlT_T0_E_clISt17integral_constantIbLb1EES1E_IbLb0EEEEDaS1A_S1B_EUlS1A_E_NS1_11comp_targetILNS1_3genE8ELNS1_11target_archE1030ELNS1_3gpuE2ELNS1_3repE0EEENS1_30default_config_static_selectorELNS0_4arch9wavefront6targetE1EEEvT1_, .Lfunc_end2060-_ZN7rocprim17ROCPRIM_400000_NS6detail17trampoline_kernelINS0_14default_configENS1_25partition_config_selectorILNS1_17partition_subalgoE2EjNS0_10empty_typeEbEEZZNS1_14partition_implILS5_2ELb0ES3_jN6thrust23THRUST_200600_302600_NS6detail15normal_iteratorINSA_7pointerIjNSA_11hip_rocprim3tagENSA_11use_defaultESG_EEEEPS6_NSA_18transform_iteratorI7is_evenIjENSC_INSA_10device_ptrIjEEEESG_SG_EENS0_5tupleIJPjSJ_EEENSR_IJSJ_SJ_EEES6_PlJS6_EEE10hipError_tPvRmT3_T4_T5_T6_T7_T9_mT8_P12ihipStream_tbDpT10_ENKUlT_T0_E_clISt17integral_constantIbLb1EES1E_IbLb0EEEEDaS1A_S1B_EUlS1A_E_NS1_11comp_targetILNS1_3genE8ELNS1_11target_archE1030ELNS1_3gpuE2ELNS1_3repE0EEENS1_30default_config_static_selectorELNS0_4arch9wavefront6targetE1EEEvT1_
                                        ; -- End function
	.section	.AMDGPU.csdata,"",@progbits
; Kernel info:
; codeLenInByte = 0
; NumSgprs: 6
; NumVgprs: 0
; NumAgprs: 0
; TotalNumVgprs: 0
; ScratchSize: 0
; MemoryBound: 0
; FloatMode: 240
; IeeeMode: 1
; LDSByteSize: 0 bytes/workgroup (compile time only)
; SGPRBlocks: 0
; VGPRBlocks: 0
; NumSGPRsForWavesPerEU: 6
; NumVGPRsForWavesPerEU: 1
; AccumOffset: 4
; Occupancy: 8
; WaveLimiterHint : 0
; COMPUTE_PGM_RSRC2:SCRATCH_EN: 0
; COMPUTE_PGM_RSRC2:USER_SGPR: 2
; COMPUTE_PGM_RSRC2:TRAP_HANDLER: 0
; COMPUTE_PGM_RSRC2:TGID_X_EN: 1
; COMPUTE_PGM_RSRC2:TGID_Y_EN: 0
; COMPUTE_PGM_RSRC2:TGID_Z_EN: 0
; COMPUTE_PGM_RSRC2:TIDIG_COMP_CNT: 0
; COMPUTE_PGM_RSRC3_GFX90A:ACCUM_OFFSET: 0
; COMPUTE_PGM_RSRC3_GFX90A:TG_SPLIT: 0
	.section	.text._ZN7rocprim17ROCPRIM_400000_NS6detail17trampoline_kernelINS0_14default_configENS1_25partition_config_selectorILNS1_17partition_subalgoE2EjNS0_10empty_typeEbEEZZNS1_14partition_implILS5_2ELb0ES3_jN6thrust23THRUST_200600_302600_NS6detail15normal_iteratorINSA_7pointerIjNSA_11hip_rocprim3tagENSA_11use_defaultESG_EEEEPS6_NSA_18transform_iteratorI7is_evenIjENSC_INSA_10device_ptrIjEEEESG_SG_EENS0_5tupleIJPjSJ_EEENSR_IJSJ_SJ_EEES6_PlJS6_EEE10hipError_tPvRmT3_T4_T5_T6_T7_T9_mT8_P12ihipStream_tbDpT10_ENKUlT_T0_E_clISt17integral_constantIbLb0EES1E_IbLb1EEEEDaS1A_S1B_EUlS1A_E_NS1_11comp_targetILNS1_3genE0ELNS1_11target_archE4294967295ELNS1_3gpuE0ELNS1_3repE0EEENS1_30default_config_static_selectorELNS0_4arch9wavefront6targetE1EEEvT1_,"axG",@progbits,_ZN7rocprim17ROCPRIM_400000_NS6detail17trampoline_kernelINS0_14default_configENS1_25partition_config_selectorILNS1_17partition_subalgoE2EjNS0_10empty_typeEbEEZZNS1_14partition_implILS5_2ELb0ES3_jN6thrust23THRUST_200600_302600_NS6detail15normal_iteratorINSA_7pointerIjNSA_11hip_rocprim3tagENSA_11use_defaultESG_EEEEPS6_NSA_18transform_iteratorI7is_evenIjENSC_INSA_10device_ptrIjEEEESG_SG_EENS0_5tupleIJPjSJ_EEENSR_IJSJ_SJ_EEES6_PlJS6_EEE10hipError_tPvRmT3_T4_T5_T6_T7_T9_mT8_P12ihipStream_tbDpT10_ENKUlT_T0_E_clISt17integral_constantIbLb0EES1E_IbLb1EEEEDaS1A_S1B_EUlS1A_E_NS1_11comp_targetILNS1_3genE0ELNS1_11target_archE4294967295ELNS1_3gpuE0ELNS1_3repE0EEENS1_30default_config_static_selectorELNS0_4arch9wavefront6targetE1EEEvT1_,comdat
	.protected	_ZN7rocprim17ROCPRIM_400000_NS6detail17trampoline_kernelINS0_14default_configENS1_25partition_config_selectorILNS1_17partition_subalgoE2EjNS0_10empty_typeEbEEZZNS1_14partition_implILS5_2ELb0ES3_jN6thrust23THRUST_200600_302600_NS6detail15normal_iteratorINSA_7pointerIjNSA_11hip_rocprim3tagENSA_11use_defaultESG_EEEEPS6_NSA_18transform_iteratorI7is_evenIjENSC_INSA_10device_ptrIjEEEESG_SG_EENS0_5tupleIJPjSJ_EEENSR_IJSJ_SJ_EEES6_PlJS6_EEE10hipError_tPvRmT3_T4_T5_T6_T7_T9_mT8_P12ihipStream_tbDpT10_ENKUlT_T0_E_clISt17integral_constantIbLb0EES1E_IbLb1EEEEDaS1A_S1B_EUlS1A_E_NS1_11comp_targetILNS1_3genE0ELNS1_11target_archE4294967295ELNS1_3gpuE0ELNS1_3repE0EEENS1_30default_config_static_selectorELNS0_4arch9wavefront6targetE1EEEvT1_ ; -- Begin function _ZN7rocprim17ROCPRIM_400000_NS6detail17trampoline_kernelINS0_14default_configENS1_25partition_config_selectorILNS1_17partition_subalgoE2EjNS0_10empty_typeEbEEZZNS1_14partition_implILS5_2ELb0ES3_jN6thrust23THRUST_200600_302600_NS6detail15normal_iteratorINSA_7pointerIjNSA_11hip_rocprim3tagENSA_11use_defaultESG_EEEEPS6_NSA_18transform_iteratorI7is_evenIjENSC_INSA_10device_ptrIjEEEESG_SG_EENS0_5tupleIJPjSJ_EEENSR_IJSJ_SJ_EEES6_PlJS6_EEE10hipError_tPvRmT3_T4_T5_T6_T7_T9_mT8_P12ihipStream_tbDpT10_ENKUlT_T0_E_clISt17integral_constantIbLb0EES1E_IbLb1EEEEDaS1A_S1B_EUlS1A_E_NS1_11comp_targetILNS1_3genE0ELNS1_11target_archE4294967295ELNS1_3gpuE0ELNS1_3repE0EEENS1_30default_config_static_selectorELNS0_4arch9wavefront6targetE1EEEvT1_
	.globl	_ZN7rocprim17ROCPRIM_400000_NS6detail17trampoline_kernelINS0_14default_configENS1_25partition_config_selectorILNS1_17partition_subalgoE2EjNS0_10empty_typeEbEEZZNS1_14partition_implILS5_2ELb0ES3_jN6thrust23THRUST_200600_302600_NS6detail15normal_iteratorINSA_7pointerIjNSA_11hip_rocprim3tagENSA_11use_defaultESG_EEEEPS6_NSA_18transform_iteratorI7is_evenIjENSC_INSA_10device_ptrIjEEEESG_SG_EENS0_5tupleIJPjSJ_EEENSR_IJSJ_SJ_EEES6_PlJS6_EEE10hipError_tPvRmT3_T4_T5_T6_T7_T9_mT8_P12ihipStream_tbDpT10_ENKUlT_T0_E_clISt17integral_constantIbLb0EES1E_IbLb1EEEEDaS1A_S1B_EUlS1A_E_NS1_11comp_targetILNS1_3genE0ELNS1_11target_archE4294967295ELNS1_3gpuE0ELNS1_3repE0EEENS1_30default_config_static_selectorELNS0_4arch9wavefront6targetE1EEEvT1_
	.p2align	8
	.type	_ZN7rocprim17ROCPRIM_400000_NS6detail17trampoline_kernelINS0_14default_configENS1_25partition_config_selectorILNS1_17partition_subalgoE2EjNS0_10empty_typeEbEEZZNS1_14partition_implILS5_2ELb0ES3_jN6thrust23THRUST_200600_302600_NS6detail15normal_iteratorINSA_7pointerIjNSA_11hip_rocprim3tagENSA_11use_defaultESG_EEEEPS6_NSA_18transform_iteratorI7is_evenIjENSC_INSA_10device_ptrIjEEEESG_SG_EENS0_5tupleIJPjSJ_EEENSR_IJSJ_SJ_EEES6_PlJS6_EEE10hipError_tPvRmT3_T4_T5_T6_T7_T9_mT8_P12ihipStream_tbDpT10_ENKUlT_T0_E_clISt17integral_constantIbLb0EES1E_IbLb1EEEEDaS1A_S1B_EUlS1A_E_NS1_11comp_targetILNS1_3genE0ELNS1_11target_archE4294967295ELNS1_3gpuE0ELNS1_3repE0EEENS1_30default_config_static_selectorELNS0_4arch9wavefront6targetE1EEEvT1_,@function
_ZN7rocprim17ROCPRIM_400000_NS6detail17trampoline_kernelINS0_14default_configENS1_25partition_config_selectorILNS1_17partition_subalgoE2EjNS0_10empty_typeEbEEZZNS1_14partition_implILS5_2ELb0ES3_jN6thrust23THRUST_200600_302600_NS6detail15normal_iteratorINSA_7pointerIjNSA_11hip_rocprim3tagENSA_11use_defaultESG_EEEEPS6_NSA_18transform_iteratorI7is_evenIjENSC_INSA_10device_ptrIjEEEESG_SG_EENS0_5tupleIJPjSJ_EEENSR_IJSJ_SJ_EEES6_PlJS6_EEE10hipError_tPvRmT3_T4_T5_T6_T7_T9_mT8_P12ihipStream_tbDpT10_ENKUlT_T0_E_clISt17integral_constantIbLb0EES1E_IbLb1EEEEDaS1A_S1B_EUlS1A_E_NS1_11comp_targetILNS1_3genE0ELNS1_11target_archE4294967295ELNS1_3gpuE0ELNS1_3repE0EEENS1_30default_config_static_selectorELNS0_4arch9wavefront6targetE1EEEvT1_: ; @_ZN7rocprim17ROCPRIM_400000_NS6detail17trampoline_kernelINS0_14default_configENS1_25partition_config_selectorILNS1_17partition_subalgoE2EjNS0_10empty_typeEbEEZZNS1_14partition_implILS5_2ELb0ES3_jN6thrust23THRUST_200600_302600_NS6detail15normal_iteratorINSA_7pointerIjNSA_11hip_rocprim3tagENSA_11use_defaultESG_EEEEPS6_NSA_18transform_iteratorI7is_evenIjENSC_INSA_10device_ptrIjEEEESG_SG_EENS0_5tupleIJPjSJ_EEENSR_IJSJ_SJ_EEES6_PlJS6_EEE10hipError_tPvRmT3_T4_T5_T6_T7_T9_mT8_P12ihipStream_tbDpT10_ENKUlT_T0_E_clISt17integral_constantIbLb0EES1E_IbLb1EEEEDaS1A_S1B_EUlS1A_E_NS1_11comp_targetILNS1_3genE0ELNS1_11target_archE4294967295ELNS1_3gpuE0ELNS1_3repE0EEENS1_30default_config_static_selectorELNS0_4arch9wavefront6targetE1EEEvT1_
; %bb.0:
	.section	.rodata,"a",@progbits
	.p2align	6, 0x0
	.amdhsa_kernel _ZN7rocprim17ROCPRIM_400000_NS6detail17trampoline_kernelINS0_14default_configENS1_25partition_config_selectorILNS1_17partition_subalgoE2EjNS0_10empty_typeEbEEZZNS1_14partition_implILS5_2ELb0ES3_jN6thrust23THRUST_200600_302600_NS6detail15normal_iteratorINSA_7pointerIjNSA_11hip_rocprim3tagENSA_11use_defaultESG_EEEEPS6_NSA_18transform_iteratorI7is_evenIjENSC_INSA_10device_ptrIjEEEESG_SG_EENS0_5tupleIJPjSJ_EEENSR_IJSJ_SJ_EEES6_PlJS6_EEE10hipError_tPvRmT3_T4_T5_T6_T7_T9_mT8_P12ihipStream_tbDpT10_ENKUlT_T0_E_clISt17integral_constantIbLb0EES1E_IbLb1EEEEDaS1A_S1B_EUlS1A_E_NS1_11comp_targetILNS1_3genE0ELNS1_11target_archE4294967295ELNS1_3gpuE0ELNS1_3repE0EEENS1_30default_config_static_selectorELNS0_4arch9wavefront6targetE1EEEvT1_
		.amdhsa_group_segment_fixed_size 0
		.amdhsa_private_segment_fixed_size 0
		.amdhsa_kernarg_size 144
		.amdhsa_user_sgpr_count 2
		.amdhsa_user_sgpr_dispatch_ptr 0
		.amdhsa_user_sgpr_queue_ptr 0
		.amdhsa_user_sgpr_kernarg_segment_ptr 1
		.amdhsa_user_sgpr_dispatch_id 0
		.amdhsa_user_sgpr_kernarg_preload_length 0
		.amdhsa_user_sgpr_kernarg_preload_offset 0
		.amdhsa_user_sgpr_private_segment_size 0
		.amdhsa_uses_dynamic_stack 0
		.amdhsa_enable_private_segment 0
		.amdhsa_system_sgpr_workgroup_id_x 1
		.amdhsa_system_sgpr_workgroup_id_y 0
		.amdhsa_system_sgpr_workgroup_id_z 0
		.amdhsa_system_sgpr_workgroup_info 0
		.amdhsa_system_vgpr_workitem_id 0
		.amdhsa_next_free_vgpr 1
		.amdhsa_next_free_sgpr 0
		.amdhsa_accum_offset 4
		.amdhsa_reserve_vcc 0
		.amdhsa_float_round_mode_32 0
		.amdhsa_float_round_mode_16_64 0
		.amdhsa_float_denorm_mode_32 3
		.amdhsa_float_denorm_mode_16_64 3
		.amdhsa_dx10_clamp 1
		.amdhsa_ieee_mode 1
		.amdhsa_fp16_overflow 0
		.amdhsa_tg_split 0
		.amdhsa_exception_fp_ieee_invalid_op 0
		.amdhsa_exception_fp_denorm_src 0
		.amdhsa_exception_fp_ieee_div_zero 0
		.amdhsa_exception_fp_ieee_overflow 0
		.amdhsa_exception_fp_ieee_underflow 0
		.amdhsa_exception_fp_ieee_inexact 0
		.amdhsa_exception_int_div_zero 0
	.end_amdhsa_kernel
	.section	.text._ZN7rocprim17ROCPRIM_400000_NS6detail17trampoline_kernelINS0_14default_configENS1_25partition_config_selectorILNS1_17partition_subalgoE2EjNS0_10empty_typeEbEEZZNS1_14partition_implILS5_2ELb0ES3_jN6thrust23THRUST_200600_302600_NS6detail15normal_iteratorINSA_7pointerIjNSA_11hip_rocprim3tagENSA_11use_defaultESG_EEEEPS6_NSA_18transform_iteratorI7is_evenIjENSC_INSA_10device_ptrIjEEEESG_SG_EENS0_5tupleIJPjSJ_EEENSR_IJSJ_SJ_EEES6_PlJS6_EEE10hipError_tPvRmT3_T4_T5_T6_T7_T9_mT8_P12ihipStream_tbDpT10_ENKUlT_T0_E_clISt17integral_constantIbLb0EES1E_IbLb1EEEEDaS1A_S1B_EUlS1A_E_NS1_11comp_targetILNS1_3genE0ELNS1_11target_archE4294967295ELNS1_3gpuE0ELNS1_3repE0EEENS1_30default_config_static_selectorELNS0_4arch9wavefront6targetE1EEEvT1_,"axG",@progbits,_ZN7rocprim17ROCPRIM_400000_NS6detail17trampoline_kernelINS0_14default_configENS1_25partition_config_selectorILNS1_17partition_subalgoE2EjNS0_10empty_typeEbEEZZNS1_14partition_implILS5_2ELb0ES3_jN6thrust23THRUST_200600_302600_NS6detail15normal_iteratorINSA_7pointerIjNSA_11hip_rocprim3tagENSA_11use_defaultESG_EEEEPS6_NSA_18transform_iteratorI7is_evenIjENSC_INSA_10device_ptrIjEEEESG_SG_EENS0_5tupleIJPjSJ_EEENSR_IJSJ_SJ_EEES6_PlJS6_EEE10hipError_tPvRmT3_T4_T5_T6_T7_T9_mT8_P12ihipStream_tbDpT10_ENKUlT_T0_E_clISt17integral_constantIbLb0EES1E_IbLb1EEEEDaS1A_S1B_EUlS1A_E_NS1_11comp_targetILNS1_3genE0ELNS1_11target_archE4294967295ELNS1_3gpuE0ELNS1_3repE0EEENS1_30default_config_static_selectorELNS0_4arch9wavefront6targetE1EEEvT1_,comdat
.Lfunc_end2061:
	.size	_ZN7rocprim17ROCPRIM_400000_NS6detail17trampoline_kernelINS0_14default_configENS1_25partition_config_selectorILNS1_17partition_subalgoE2EjNS0_10empty_typeEbEEZZNS1_14partition_implILS5_2ELb0ES3_jN6thrust23THRUST_200600_302600_NS6detail15normal_iteratorINSA_7pointerIjNSA_11hip_rocprim3tagENSA_11use_defaultESG_EEEEPS6_NSA_18transform_iteratorI7is_evenIjENSC_INSA_10device_ptrIjEEEESG_SG_EENS0_5tupleIJPjSJ_EEENSR_IJSJ_SJ_EEES6_PlJS6_EEE10hipError_tPvRmT3_T4_T5_T6_T7_T9_mT8_P12ihipStream_tbDpT10_ENKUlT_T0_E_clISt17integral_constantIbLb0EES1E_IbLb1EEEEDaS1A_S1B_EUlS1A_E_NS1_11comp_targetILNS1_3genE0ELNS1_11target_archE4294967295ELNS1_3gpuE0ELNS1_3repE0EEENS1_30default_config_static_selectorELNS0_4arch9wavefront6targetE1EEEvT1_, .Lfunc_end2061-_ZN7rocprim17ROCPRIM_400000_NS6detail17trampoline_kernelINS0_14default_configENS1_25partition_config_selectorILNS1_17partition_subalgoE2EjNS0_10empty_typeEbEEZZNS1_14partition_implILS5_2ELb0ES3_jN6thrust23THRUST_200600_302600_NS6detail15normal_iteratorINSA_7pointerIjNSA_11hip_rocprim3tagENSA_11use_defaultESG_EEEEPS6_NSA_18transform_iteratorI7is_evenIjENSC_INSA_10device_ptrIjEEEESG_SG_EENS0_5tupleIJPjSJ_EEENSR_IJSJ_SJ_EEES6_PlJS6_EEE10hipError_tPvRmT3_T4_T5_T6_T7_T9_mT8_P12ihipStream_tbDpT10_ENKUlT_T0_E_clISt17integral_constantIbLb0EES1E_IbLb1EEEEDaS1A_S1B_EUlS1A_E_NS1_11comp_targetILNS1_3genE0ELNS1_11target_archE4294967295ELNS1_3gpuE0ELNS1_3repE0EEENS1_30default_config_static_selectorELNS0_4arch9wavefront6targetE1EEEvT1_
                                        ; -- End function
	.section	.AMDGPU.csdata,"",@progbits
; Kernel info:
; codeLenInByte = 0
; NumSgprs: 6
; NumVgprs: 0
; NumAgprs: 0
; TotalNumVgprs: 0
; ScratchSize: 0
; MemoryBound: 0
; FloatMode: 240
; IeeeMode: 1
; LDSByteSize: 0 bytes/workgroup (compile time only)
; SGPRBlocks: 0
; VGPRBlocks: 0
; NumSGPRsForWavesPerEU: 6
; NumVGPRsForWavesPerEU: 1
; AccumOffset: 4
; Occupancy: 8
; WaveLimiterHint : 0
; COMPUTE_PGM_RSRC2:SCRATCH_EN: 0
; COMPUTE_PGM_RSRC2:USER_SGPR: 2
; COMPUTE_PGM_RSRC2:TRAP_HANDLER: 0
; COMPUTE_PGM_RSRC2:TGID_X_EN: 1
; COMPUTE_PGM_RSRC2:TGID_Y_EN: 0
; COMPUTE_PGM_RSRC2:TGID_Z_EN: 0
; COMPUTE_PGM_RSRC2:TIDIG_COMP_CNT: 0
; COMPUTE_PGM_RSRC3_GFX90A:ACCUM_OFFSET: 0
; COMPUTE_PGM_RSRC3_GFX90A:TG_SPLIT: 0
	.section	.text._ZN7rocprim17ROCPRIM_400000_NS6detail17trampoline_kernelINS0_14default_configENS1_25partition_config_selectorILNS1_17partition_subalgoE2EjNS0_10empty_typeEbEEZZNS1_14partition_implILS5_2ELb0ES3_jN6thrust23THRUST_200600_302600_NS6detail15normal_iteratorINSA_7pointerIjNSA_11hip_rocprim3tagENSA_11use_defaultESG_EEEEPS6_NSA_18transform_iteratorI7is_evenIjENSC_INSA_10device_ptrIjEEEESG_SG_EENS0_5tupleIJPjSJ_EEENSR_IJSJ_SJ_EEES6_PlJS6_EEE10hipError_tPvRmT3_T4_T5_T6_T7_T9_mT8_P12ihipStream_tbDpT10_ENKUlT_T0_E_clISt17integral_constantIbLb0EES1E_IbLb1EEEEDaS1A_S1B_EUlS1A_E_NS1_11comp_targetILNS1_3genE5ELNS1_11target_archE942ELNS1_3gpuE9ELNS1_3repE0EEENS1_30default_config_static_selectorELNS0_4arch9wavefront6targetE1EEEvT1_,"axG",@progbits,_ZN7rocprim17ROCPRIM_400000_NS6detail17trampoline_kernelINS0_14default_configENS1_25partition_config_selectorILNS1_17partition_subalgoE2EjNS0_10empty_typeEbEEZZNS1_14partition_implILS5_2ELb0ES3_jN6thrust23THRUST_200600_302600_NS6detail15normal_iteratorINSA_7pointerIjNSA_11hip_rocprim3tagENSA_11use_defaultESG_EEEEPS6_NSA_18transform_iteratorI7is_evenIjENSC_INSA_10device_ptrIjEEEESG_SG_EENS0_5tupleIJPjSJ_EEENSR_IJSJ_SJ_EEES6_PlJS6_EEE10hipError_tPvRmT3_T4_T5_T6_T7_T9_mT8_P12ihipStream_tbDpT10_ENKUlT_T0_E_clISt17integral_constantIbLb0EES1E_IbLb1EEEEDaS1A_S1B_EUlS1A_E_NS1_11comp_targetILNS1_3genE5ELNS1_11target_archE942ELNS1_3gpuE9ELNS1_3repE0EEENS1_30default_config_static_selectorELNS0_4arch9wavefront6targetE1EEEvT1_,comdat
	.protected	_ZN7rocprim17ROCPRIM_400000_NS6detail17trampoline_kernelINS0_14default_configENS1_25partition_config_selectorILNS1_17partition_subalgoE2EjNS0_10empty_typeEbEEZZNS1_14partition_implILS5_2ELb0ES3_jN6thrust23THRUST_200600_302600_NS6detail15normal_iteratorINSA_7pointerIjNSA_11hip_rocprim3tagENSA_11use_defaultESG_EEEEPS6_NSA_18transform_iteratorI7is_evenIjENSC_INSA_10device_ptrIjEEEESG_SG_EENS0_5tupleIJPjSJ_EEENSR_IJSJ_SJ_EEES6_PlJS6_EEE10hipError_tPvRmT3_T4_T5_T6_T7_T9_mT8_P12ihipStream_tbDpT10_ENKUlT_T0_E_clISt17integral_constantIbLb0EES1E_IbLb1EEEEDaS1A_S1B_EUlS1A_E_NS1_11comp_targetILNS1_3genE5ELNS1_11target_archE942ELNS1_3gpuE9ELNS1_3repE0EEENS1_30default_config_static_selectorELNS0_4arch9wavefront6targetE1EEEvT1_ ; -- Begin function _ZN7rocprim17ROCPRIM_400000_NS6detail17trampoline_kernelINS0_14default_configENS1_25partition_config_selectorILNS1_17partition_subalgoE2EjNS0_10empty_typeEbEEZZNS1_14partition_implILS5_2ELb0ES3_jN6thrust23THRUST_200600_302600_NS6detail15normal_iteratorINSA_7pointerIjNSA_11hip_rocprim3tagENSA_11use_defaultESG_EEEEPS6_NSA_18transform_iteratorI7is_evenIjENSC_INSA_10device_ptrIjEEEESG_SG_EENS0_5tupleIJPjSJ_EEENSR_IJSJ_SJ_EEES6_PlJS6_EEE10hipError_tPvRmT3_T4_T5_T6_T7_T9_mT8_P12ihipStream_tbDpT10_ENKUlT_T0_E_clISt17integral_constantIbLb0EES1E_IbLb1EEEEDaS1A_S1B_EUlS1A_E_NS1_11comp_targetILNS1_3genE5ELNS1_11target_archE942ELNS1_3gpuE9ELNS1_3repE0EEENS1_30default_config_static_selectorELNS0_4arch9wavefront6targetE1EEEvT1_
	.globl	_ZN7rocprim17ROCPRIM_400000_NS6detail17trampoline_kernelINS0_14default_configENS1_25partition_config_selectorILNS1_17partition_subalgoE2EjNS0_10empty_typeEbEEZZNS1_14partition_implILS5_2ELb0ES3_jN6thrust23THRUST_200600_302600_NS6detail15normal_iteratorINSA_7pointerIjNSA_11hip_rocprim3tagENSA_11use_defaultESG_EEEEPS6_NSA_18transform_iteratorI7is_evenIjENSC_INSA_10device_ptrIjEEEESG_SG_EENS0_5tupleIJPjSJ_EEENSR_IJSJ_SJ_EEES6_PlJS6_EEE10hipError_tPvRmT3_T4_T5_T6_T7_T9_mT8_P12ihipStream_tbDpT10_ENKUlT_T0_E_clISt17integral_constantIbLb0EES1E_IbLb1EEEEDaS1A_S1B_EUlS1A_E_NS1_11comp_targetILNS1_3genE5ELNS1_11target_archE942ELNS1_3gpuE9ELNS1_3repE0EEENS1_30default_config_static_selectorELNS0_4arch9wavefront6targetE1EEEvT1_
	.p2align	8
	.type	_ZN7rocprim17ROCPRIM_400000_NS6detail17trampoline_kernelINS0_14default_configENS1_25partition_config_selectorILNS1_17partition_subalgoE2EjNS0_10empty_typeEbEEZZNS1_14partition_implILS5_2ELb0ES3_jN6thrust23THRUST_200600_302600_NS6detail15normal_iteratorINSA_7pointerIjNSA_11hip_rocprim3tagENSA_11use_defaultESG_EEEEPS6_NSA_18transform_iteratorI7is_evenIjENSC_INSA_10device_ptrIjEEEESG_SG_EENS0_5tupleIJPjSJ_EEENSR_IJSJ_SJ_EEES6_PlJS6_EEE10hipError_tPvRmT3_T4_T5_T6_T7_T9_mT8_P12ihipStream_tbDpT10_ENKUlT_T0_E_clISt17integral_constantIbLb0EES1E_IbLb1EEEEDaS1A_S1B_EUlS1A_E_NS1_11comp_targetILNS1_3genE5ELNS1_11target_archE942ELNS1_3gpuE9ELNS1_3repE0EEENS1_30default_config_static_selectorELNS0_4arch9wavefront6targetE1EEEvT1_,@function
_ZN7rocprim17ROCPRIM_400000_NS6detail17trampoline_kernelINS0_14default_configENS1_25partition_config_selectorILNS1_17partition_subalgoE2EjNS0_10empty_typeEbEEZZNS1_14partition_implILS5_2ELb0ES3_jN6thrust23THRUST_200600_302600_NS6detail15normal_iteratorINSA_7pointerIjNSA_11hip_rocprim3tagENSA_11use_defaultESG_EEEEPS6_NSA_18transform_iteratorI7is_evenIjENSC_INSA_10device_ptrIjEEEESG_SG_EENS0_5tupleIJPjSJ_EEENSR_IJSJ_SJ_EEES6_PlJS6_EEE10hipError_tPvRmT3_T4_T5_T6_T7_T9_mT8_P12ihipStream_tbDpT10_ENKUlT_T0_E_clISt17integral_constantIbLb0EES1E_IbLb1EEEEDaS1A_S1B_EUlS1A_E_NS1_11comp_targetILNS1_3genE5ELNS1_11target_archE942ELNS1_3gpuE9ELNS1_3repE0EEENS1_30default_config_static_selectorELNS0_4arch9wavefront6targetE1EEEvT1_: ; @_ZN7rocprim17ROCPRIM_400000_NS6detail17trampoline_kernelINS0_14default_configENS1_25partition_config_selectorILNS1_17partition_subalgoE2EjNS0_10empty_typeEbEEZZNS1_14partition_implILS5_2ELb0ES3_jN6thrust23THRUST_200600_302600_NS6detail15normal_iteratorINSA_7pointerIjNSA_11hip_rocprim3tagENSA_11use_defaultESG_EEEEPS6_NSA_18transform_iteratorI7is_evenIjENSC_INSA_10device_ptrIjEEEESG_SG_EENS0_5tupleIJPjSJ_EEENSR_IJSJ_SJ_EEES6_PlJS6_EEE10hipError_tPvRmT3_T4_T5_T6_T7_T9_mT8_P12ihipStream_tbDpT10_ENKUlT_T0_E_clISt17integral_constantIbLb0EES1E_IbLb1EEEEDaS1A_S1B_EUlS1A_E_NS1_11comp_targetILNS1_3genE5ELNS1_11target_archE942ELNS1_3gpuE9ELNS1_3repE0EEENS1_30default_config_static_selectorELNS0_4arch9wavefront6targetE1EEEvT1_
; %bb.0:
	s_load_dwordx2 s[2:3], s[0:1], 0x20
	s_load_dwordx2 s[28:29], s[0:1], 0x30
	;; [unrolled: 1-line block ×3, first 2 shown]
	s_load_dwordx4 s[20:23], s[0:1], 0x50
	s_load_dwordx2 s[36:37], s[0:1], 0x70
	v_cmp_eq_u32_e64 s[18:19], 0, v0
	s_and_saveexec_b64 s[4:5], s[18:19]
	s_cbranch_execz .LBB2062_4
; %bb.1:
	s_mov_b64 s[8:9], exec
	v_mbcnt_lo_u32_b32 v1, s8, 0
	v_mbcnt_hi_u32_b32 v1, s9, v1
	v_cmp_eq_u32_e32 vcc, 0, v1
                                        ; implicit-def: $vgpr2
	s_and_saveexec_b64 s[6:7], vcc
	s_cbranch_execz .LBB2062_3
; %bb.2:
	s_load_dwordx2 s[10:11], s[0:1], 0x80
	s_bcnt1_i32_b64 s8, s[8:9]
	v_mov_b32_e32 v2, 0
	v_mov_b32_e32 v3, s8
	s_waitcnt lgkmcnt(0)
	global_atomic_add v2, v2, v3, s[10:11] sc0
.LBB2062_3:
	s_or_b64 exec, exec, s[6:7]
	s_waitcnt vmcnt(0)
	v_readfirstlane_b32 s6, v2
	v_mov_b32_e32 v2, 0
	s_nop 0
	v_add_u32_e32 v1, s6, v1
	ds_write_b32 v2, v1
.LBB2062_4:
	s_or_b64 exec, exec, s[4:5]
	v_mov_b32_e32 v23, 0
	s_load_dwordx4 s[24:27], s[0:1], 0x8
	s_load_dword s6, s[0:1], 0x78
	s_waitcnt lgkmcnt(0)
	s_barrier
	ds_read_b32 v1, v23
	s_waitcnt lgkmcnt(0)
	s_barrier
	global_load_dwordx2 v[24:25], v23, s[22:23]
	s_lshl_b64 s[4:5], s[26:27], 2
	s_add_u32 s8, s24, s4
	s_mul_i32 s0, s6, 0x1e00
	s_addc_u32 s9, s25, s5
	s_add_i32 s1, s0, s26
	s_sub_i32 s33, s30, s1
	s_add_i32 s7, s6, -1
	s_addk_i32 s33, 0x1e00
	s_add_u32 s0, s26, s0
	v_readfirstlane_b32 s42, v1
	s_addc_u32 s1, s27, 0
	s_cmp_eq_u32 s42, s7
	v_mov_b64_e32 v[2:3], s[30:31]
	s_cselect_b64 s[22:23], -1, 0
	s_cmp_lg_u32 s42, s7
	s_mul_i32 s24, s42, 0x1e00
	s_mov_b32 s25, 0
	v_cmp_lt_u64_e32 vcc, s[0:1], v[2:3]
	s_cselect_b64 s[0:1], -1, 0
	s_or_b64 s[34:35], vcc, s[0:1]
	s_lshl_b64 s[6:7], s[24:25], 2
	s_add_u32 s8, s8, s6
	s_addc_u32 s9, s9, s7
	s_mov_b64 s[0:1], -1
	s_and_b64 vcc, exec, s[34:35]
	v_lshlrev_b32_e32 v22, 2, v0
	s_cbranch_vccz .LBB2062_6
; %bb.5:
	v_lshl_add_u64 v[2:3], s[8:9], 0, v[22:23]
	v_add_co_u32_e32 v4, vcc, 0x1000, v2
	s_mov_b64 s[0:1], 0
	s_nop 0
	v_addc_co_u32_e32 v5, vcc, 0, v3, vcc
	v_add_co_u32_e32 v6, vcc, 0x2000, v2
	s_nop 1
	v_addc_co_u32_e32 v7, vcc, 0, v3, vcc
	v_add_co_u32_e32 v8, vcc, 0x3000, v2
	s_nop 1
	v_addc_co_u32_e32 v9, vcc, 0, v3, vcc
	flat_load_dword v1, v[2:3]
	flat_load_dword v10, v[2:3] offset:2048
	flat_load_dword v11, v[4:5]
	flat_load_dword v12, v[4:5] offset:2048
	flat_load_dword v13, v[6:7]
	flat_load_dword v14, v[6:7] offset:2048
	flat_load_dword v15, v[8:9]
	flat_load_dword v16, v[8:9] offset:2048
	v_add_co_u32_e32 v4, vcc, 0x4000, v2
	s_nop 1
	v_addc_co_u32_e32 v5, vcc, 0, v3, vcc
	v_add_co_u32_e32 v6, vcc, 0x5000, v2
	s_nop 1
	v_addc_co_u32_e32 v7, vcc, 0, v3, vcc
	v_add_co_u32_e32 v8, vcc, 0x6000, v2
	s_nop 1
	v_addc_co_u32_e32 v9, vcc, 0, v3, vcc
	v_add_co_u32_e32 v2, vcc, 0x7000, v2
	s_nop 1
	v_addc_co_u32_e32 v3, vcc, 0, v3, vcc
	flat_load_dword v17, v[4:5]
	flat_load_dword v18, v[4:5] offset:2048
	flat_load_dword v19, v[6:7]
	flat_load_dword v20, v[6:7] offset:2048
	flat_load_dword v21, v[8:9]
	flat_load_dword v23, v[8:9] offset:2048
	flat_load_dword v26, v[2:3]
	s_waitcnt vmcnt(0) lgkmcnt(0)
	ds_write2st64_b32 v22, v1, v10 offset1:8
	ds_write2st64_b32 v22, v11, v12 offset0:16 offset1:24
	ds_write2st64_b32 v22, v13, v14 offset0:32 offset1:40
	;; [unrolled: 1-line block ×6, first 2 shown]
	ds_write_b32 v22, v26 offset:28672
	s_waitcnt lgkmcnt(0)
	s_barrier
.LBB2062_6:
	s_andn2_b64 vcc, exec, s[0:1]
	v_cmp_gt_u32_e64 s[0:1], s33, v0
	s_cbranch_vccnz .LBB2062_38
; %bb.7:
                                        ; implicit-def: $vgpr2_vgpr3_vgpr4_vgpr5_vgpr6_vgpr7_vgpr8_vgpr9_vgpr10_vgpr11_vgpr12_vgpr13_vgpr14_vgpr15_vgpr16_vgpr17
	s_and_saveexec_b64 s[10:11], s[0:1]
	s_cbranch_execz .LBB2062_9
; %bb.8:
	v_mov_b32_e32 v23, 0
	v_lshl_add_u64 v[2:3], s[8:9], 0, v[22:23]
	flat_load_dword v2, v[2:3]
.LBB2062_9:
	s_or_b64 exec, exec, s[10:11]
	v_or_b32_e32 v1, 0x200, v0
	v_cmp_gt_u32_e32 vcc, s33, v1
	s_and_saveexec_b64 s[0:1], vcc
	s_cbranch_execz .LBB2062_11
; %bb.10:
	v_mov_b32_e32 v23, 0
	v_lshl_add_u64 v[18:19], s[8:9], 0, v[22:23]
	flat_load_dword v3, v[18:19] offset:2048
.LBB2062_11:
	s_or_b64 exec, exec, s[0:1]
	v_or_b32_e32 v1, 0x400, v0
	v_cmp_gt_u32_e32 vcc, s33, v1
	s_and_saveexec_b64 s[0:1], vcc
	s_cbranch_execz .LBB2062_13
; %bb.12:
	v_lshlrev_b32_e32 v18, 2, v1
	v_mov_b32_e32 v19, 0
	v_lshl_add_u64 v[18:19], s[8:9], 0, v[18:19]
	flat_load_dword v4, v[18:19]
.LBB2062_13:
	s_or_b64 exec, exec, s[0:1]
	v_or_b32_e32 v1, 0x600, v0
	v_cmp_gt_u32_e32 vcc, s33, v1
	s_and_saveexec_b64 s[0:1], vcc
	s_cbranch_execz .LBB2062_15
; %bb.14:
	v_lshlrev_b32_e32 v18, 2, v1
	v_mov_b32_e32 v19, 0
	v_lshl_add_u64 v[18:19], s[8:9], 0, v[18:19]
	flat_load_dword v5, v[18:19]
.LBB2062_15:
	;; [unrolled: 11-line block ×13, first 2 shown]
	s_or_b64 exec, exec, s[0:1]
	s_waitcnt vmcnt(0) lgkmcnt(0)
	ds_write2st64_b32 v22, v2, v3 offset1:8
	ds_write2st64_b32 v22, v4, v5 offset0:16 offset1:24
	ds_write2st64_b32 v22, v6, v7 offset0:32 offset1:40
	;; [unrolled: 1-line block ×6, first 2 shown]
	ds_write_b32 v22, v16 offset:28672
	s_waitcnt lgkmcnt(0)
	s_barrier
.LBB2062_38:
	v_mul_u32_u24_e32 v21, 15, v0
	v_lshlrev_b32_e32 v1, 2, v21
	ds_read2_b32 v[40:41], v1 offset1:1
	ds_read2_b32 v[38:39], v1 offset0:2 offset1:3
	ds_read2_b32 v[36:37], v1 offset0:4 offset1:5
	;; [unrolled: 1-line block ×6, first 2 shown]
	ds_read_b32 v1, v1 offset:56
	s_add_u32 s0, s2, s4
	s_addc_u32 s1, s3, s5
	s_add_u32 s0, s0, s6
	s_addc_u32 s1, s1, s7
	s_mov_b64 s[2:3], -1
	s_and_b64 vcc, exec, s[34:35]
	s_waitcnt lgkmcnt(0)
	s_barrier
	s_cbranch_vccz .LBB2062_40
; %bb.39:
	v_mov_b32_e32 v23, 0
	v_lshl_add_u64 v[2:3], s[0:1], 0, v[22:23]
	v_add_co_u32_e32 v4, vcc, 0x1000, v2
	global_load_dword v10, v22, s[0:1]
	global_load_dword v11, v22, s[0:1] offset:2048
	v_addc_co_u32_e32 v5, vcc, 0, v3, vcc
	v_add_co_u32_e32 v6, vcc, 0x2000, v2
	s_mov_b64 s[2:3], 0
	s_nop 0
	v_addc_co_u32_e32 v7, vcc, 0, v3, vcc
	v_add_co_u32_e32 v8, vcc, 0x3000, v2
	s_nop 1
	v_addc_co_u32_e32 v9, vcc, 0, v3, vcc
	global_load_dword v12, v[4:5], off
	global_load_dword v13, v[4:5], off offset:2048
	global_load_dword v14, v[6:7], off
	global_load_dword v15, v[6:7], off offset:2048
	;; [unrolled: 2-line block ×3, first 2 shown]
	v_add_co_u32_e32 v4, vcc, 0x4000, v2
	s_nop 1
	v_addc_co_u32_e32 v5, vcc, 0, v3, vcc
	global_load_dword v6, v[4:5], off
	global_load_dword v7, v[4:5], off offset:2048
	v_add_co_u32_e32 v4, vcc, 0x5000, v2
	s_waitcnt vmcnt(1)
	v_xor_b32_e32 v6, -1, v6
	v_addc_co_u32_e32 v5, vcc, 0, v3, vcc
	global_load_dword v8, v[4:5], off
	global_load_dword v9, v[4:5], off offset:2048
	v_add_co_u32_e32 v4, vcc, 0x6000, v2
	s_waitcnt vmcnt(2)
	v_xor_b32_e32 v7, -1, v7
	v_addc_co_u32_e32 v5, vcc, 0, v3, vcc
	v_add_co_u32_e32 v2, vcc, 0x7000, v2
	global_load_dword v18, v[4:5], off
	global_load_dword v19, v[4:5], off offset:2048
	v_addc_co_u32_e32 v3, vcc, 0, v3, vcc
	global_load_dword v2, v[2:3], off
	v_xor_b32_e32 v3, -1, v10
	v_xor_b32_e32 v4, -1, v11
	v_and_b32_e32 v3, 1, v3
	v_and_b32_e32 v4, 1, v4
	ds_write_b8 v0, v3
	ds_write_b8 v0, v4 offset:512
	v_xor_b32_e32 v3, -1, v12
	v_xor_b32_e32 v4, -1, v13
	;; [unrolled: 1-line block ×3, first 2 shown]
	v_and_b32_e32 v3, 1, v3
	v_and_b32_e32 v4, 1, v4
	v_xor_b32_e32 v10, -1, v15
	v_and_b32_e32 v5, 1, v5
	v_xor_b32_e32 v11, -1, v16
	v_xor_b32_e32 v12, -1, v17
	v_and_b32_e32 v10, 1, v10
	ds_write_b8 v0, v3 offset:1024
	ds_write_b8 v0, v4 offset:1536
	v_and_b32_e32 v3, 1, v11
	v_and_b32_e32 v4, 1, v12
	ds_write_b8 v0, v5 offset:2048
	ds_write_b8 v0, v10 offset:2560
	v_and_b32_e32 v5, 1, v6
	v_and_b32_e32 v6, 1, v7
	ds_write_b8 v0, v3 offset:3072
	ds_write_b8 v0, v4 offset:3584
	ds_write_b8 v0, v5 offset:4096
	ds_write_b8 v0, v6 offset:4608
	s_waitcnt vmcnt(4)
	v_xor_b32_e32 v7, -1, v8
	s_waitcnt vmcnt(3)
	v_xor_b32_e32 v8, -1, v9
	v_and_b32_e32 v3, 1, v7
	v_and_b32_e32 v4, 1, v8
	s_waitcnt vmcnt(2)
	v_xor_b32_e32 v7, -1, v18
	s_waitcnt vmcnt(1)
	v_xor_b32_e32 v8, -1, v19
	v_and_b32_e32 v5, 1, v7
	v_and_b32_e32 v6, 1, v8
	s_waitcnt vmcnt(0)
	v_xor_b32_e32 v2, -1, v2
	v_and_b32_e32 v2, 1, v2
	ds_write_b8 v0, v3 offset:5120
	ds_write_b8 v0, v4 offset:5632
	;; [unrolled: 1-line block ×5, first 2 shown]
	s_waitcnt lgkmcnt(0)
	s_barrier
.LBB2062_40:
	s_andn2_b64 vcc, exec, s[2:3]
	s_cbranch_vccnz .LBB2062_72
; %bb.41:
	v_cmp_gt_u32_e32 vcc, s33, v0
	v_mov_b32_e32 v2, 0
	v_mov_b32_e32 v3, 0
	s_and_saveexec_b64 s[2:3], vcc
	s_cbranch_execz .LBB2062_43
; %bb.42:
	global_load_dword v3, v22, s[0:1]
	s_waitcnt vmcnt(0)
	v_xor_b32_e32 v3, -1, v3
	v_and_b32_e32 v3, 1, v3
.LBB2062_43:
	s_or_b64 exec, exec, s[2:3]
	v_or_b32_e32 v4, 0x200, v0
	v_cmp_gt_u32_e32 vcc, s33, v4
	s_and_saveexec_b64 s[2:3], vcc
	s_cbranch_execz .LBB2062_45
; %bb.44:
	global_load_dword v2, v22, s[0:1] offset:2048
	s_waitcnt vmcnt(0)
	v_xor_b32_e32 v2, -1, v2
	v_and_b32_e32 v2, 1, v2
.LBB2062_45:
	s_or_b64 exec, exec, s[2:3]
	v_or_b32_e32 v6, 0x400, v0
	v_cmp_gt_u32_e32 vcc, s33, v6
	v_mov_b32_e32 v4, 0
	v_mov_b32_e32 v5, 0
	s_and_saveexec_b64 s[2:3], vcc
	s_cbranch_execz .LBB2062_47
; %bb.46:
	v_lshlrev_b32_e32 v5, 2, v6
	global_load_dword v5, v5, s[0:1]
	s_waitcnt vmcnt(0)
	v_xor_b32_e32 v5, -1, v5
	v_and_b32_e32 v5, 1, v5
.LBB2062_47:
	s_or_b64 exec, exec, s[2:3]
	v_or_b32_e32 v6, 0x600, v0
	v_cmp_gt_u32_e32 vcc, s33, v6
	s_and_saveexec_b64 s[2:3], vcc
	s_cbranch_execz .LBB2062_49
; %bb.48:
	v_lshlrev_b32_e32 v4, 2, v6
	global_load_dword v4, v4, s[0:1]
	s_waitcnt vmcnt(0)
	v_xor_b32_e32 v4, -1, v4
	v_and_b32_e32 v4, 1, v4
.LBB2062_49:
	s_or_b64 exec, exec, s[2:3]
	v_or_b32_e32 v8, 0x800, v0
	v_cmp_gt_u32_e32 vcc, s33, v8
	v_mov_b32_e32 v6, 0
	v_mov_b32_e32 v7, 0
	s_and_saveexec_b64 s[2:3], vcc
	s_cbranch_execz .LBB2062_51
; %bb.50:
	v_lshlrev_b32_e32 v7, 2, v8
	global_load_dword v7, v7, s[0:1]
	s_waitcnt vmcnt(0)
	v_xor_b32_e32 v7, -1, v7
	v_and_b32_e32 v7, 1, v7
.LBB2062_51:
	s_or_b64 exec, exec, s[2:3]
	v_or_b32_e32 v8, 0xa00, v0
	v_cmp_gt_u32_e32 vcc, s33, v8
	s_and_saveexec_b64 s[2:3], vcc
	s_cbranch_execz .LBB2062_53
; %bb.52:
	v_lshlrev_b32_e32 v6, 2, v8
	global_load_dword v6, v6, s[0:1]
	s_waitcnt vmcnt(0)
	v_xor_b32_e32 v6, -1, v6
	v_and_b32_e32 v6, 1, v6
.LBB2062_53:
	;; [unrolled: 26-line block ×6, first 2 shown]
	s_or_b64 exec, exec, s[2:3]
	v_or_b32_e32 v17, 0x1c00, v0
	v_cmp_gt_u32_e32 vcc, s33, v17
	v_mov_b32_e32 v16, 0
	s_and_saveexec_b64 s[2:3], vcc
	s_cbranch_execz .LBB2062_71
; %bb.70:
	v_lshlrev_b32_e32 v16, 2, v17
	global_load_dword v16, v16, s[0:1]
	s_waitcnt vmcnt(0)
	v_xor_b32_e32 v16, -1, v16
	v_and_b32_e32 v16, 1, v16
.LBB2062_71:
	s_or_b64 exec, exec, s[2:3]
	ds_write_b8 v0, v3
	ds_write_b8 v0, v2 offset:512
	ds_write_b8 v0, v5 offset:1024
	;; [unrolled: 1-line block ×14, first 2 shown]
	s_waitcnt lgkmcnt(0)
	s_barrier
.LBB2062_72:
	ds_read_b96 v[18:20], v21
	ds_read_u8 v2, v21 offset:12
	ds_read_u8 v3, v21 offset:13
	ds_read_u8 v4, v21 offset:14
	s_cmp_lg_u32 s42, 0
	v_lshrrev_b32_e32 v58, 6, v0
	s_waitcnt lgkmcnt(2)
	v_and_b32_e32 v44, 1, v2
	v_and_b32_e32 v53, 0xff, v18
	v_bfe_u32 v55, v18, 8, 8
	v_bfe_u32 v56, v18, 16, 8
	v_lshrrev_b32_e32 v46, 24, v18
	v_and_b32_e32 v50, 0xff, v19
	v_add3_u32 v2, v55, v53, v56
	v_bfe_u32 v51, v19, 8, 8
	v_bfe_u32 v52, v19, 16, 8
	v_add3_u32 v2, v2, v46, v50
	v_lshrrev_b32_e32 v45, 24, v19
	v_and_b32_e32 v47, 0xff, v20
	v_add3_u32 v2, v2, v51, v52
	v_bfe_u32 v48, v20, 8, 8
	v_bfe_u32 v49, v20, 16, 8
	v_add3_u32 v2, v2, v45, v47
	v_lshrrev_b32_e32 v43, 24, v20
	v_add3_u32 v2, v2, v48, v49
	s_waitcnt lgkmcnt(1)
	v_and_b32_e32 v42, 1, v3
	s_waitcnt lgkmcnt(0)
	v_and_b32_e32 v23, 1, v4
	v_add3_u32 v2, v2, v43, v44
	v_add3_u32 v59, v2, v42, v23
	v_mbcnt_lo_u32_b32 v2, -1, 0
	v_mbcnt_hi_u32_b32 v57, -1, v2
	v_and_b32_e32 v2, 15, v57
	v_cmp_eq_u32_e64 s[14:15], 0, v2
	v_cmp_lt_u32_e64 s[12:13], 1, v2
	v_cmp_lt_u32_e64 s[10:11], 3, v2
	;; [unrolled: 1-line block ×3, first 2 shown]
	v_and_b32_e32 v2, 16, v57
	v_cmp_eq_u32_e64 s[6:7], 0, v2
	v_or_b32_e32 v2, 63, v0
	v_cmp_lt_u32_e64 s[2:3], 31, v57
	v_cmp_eq_u32_e64 s[4:5], v2, v0
	s_barrier
	s_cbranch_scc0 .LBB2062_99
; %bb.73:
	v_mov_b32_dpp v2, v59 row_shr:1 row_mask:0xf bank_mask:0xf
	v_cndmask_b32_e64 v2, v2, 0, s[14:15]
	v_add_u32_e32 v2, v2, v59
	s_nop 1
	v_mov_b32_dpp v3, v2 row_shr:2 row_mask:0xf bank_mask:0xf
	v_cndmask_b32_e64 v3, 0, v3, s[12:13]
	v_add_u32_e32 v2, v2, v3
	s_nop 1
	;; [unrolled: 4-line block ×4, first 2 shown]
	v_mov_b32_dpp v3, v2 row_bcast:15 row_mask:0xf bank_mask:0xf
	v_cndmask_b32_e64 v3, v3, 0, s[6:7]
	v_add_u32_e32 v2, v2, v3
	s_nop 1
	v_mov_b32_dpp v3, v2 row_bcast:31 row_mask:0xf bank_mask:0xf
	v_cndmask_b32_e64 v3, 0, v3, s[2:3]
	v_add_u32_e32 v2, v2, v3
	s_and_saveexec_b64 s[0:1], s[4:5]
	s_cbranch_execz .LBB2062_75
; %bb.74:
	v_lshlrev_b32_e32 v3, 2, v58
	ds_write_b32 v3, v2
.LBB2062_75:
	s_or_b64 exec, exec, s[0:1]
	v_cmp_gt_u32_e32 vcc, 8, v0
	s_waitcnt lgkmcnt(0)
	s_barrier
	s_and_saveexec_b64 s[0:1], vcc
	s_cbranch_execz .LBB2062_77
; %bb.76:
	ds_read_b32 v3, v22
	v_and_b32_e32 v4, 7, v57
	v_cmp_ne_u32_e32 vcc, 0, v4
	s_waitcnt lgkmcnt(0)
	v_mov_b32_dpp v5, v3 row_shr:1 row_mask:0xf bank_mask:0xf
	v_cndmask_b32_e32 v5, 0, v5, vcc
	v_add_u32_e32 v3, v5, v3
	v_cmp_lt_u32_e32 vcc, 1, v4
	s_nop 0
	v_mov_b32_dpp v5, v3 row_shr:2 row_mask:0xf bank_mask:0xf
	v_cndmask_b32_e32 v5, 0, v5, vcc
	v_add_u32_e32 v3, v3, v5
	v_cmp_lt_u32_e32 vcc, 3, v4
	s_nop 0
	v_mov_b32_dpp v5, v3 row_shr:4 row_mask:0xf bank_mask:0xf
	v_cndmask_b32_e32 v4, 0, v5, vcc
	v_add_u32_e32 v3, v3, v4
	ds_write_b32 v22, v3
.LBB2062_77:
	s_or_b64 exec, exec, s[0:1]
	v_cmp_gt_u32_e32 vcc, 64, v0
	v_cmp_lt_u32_e64 s[0:1], 63, v0
	s_waitcnt lgkmcnt(0)
	s_barrier
	s_waitcnt lgkmcnt(0)
                                        ; implicit-def: $vgpr12
	s_and_saveexec_b64 s[16:17], s[0:1]
	s_cbranch_execz .LBB2062_79
; %bb.78:
	v_lshl_add_u32 v3, v58, 2, -4
	ds_read_b32 v12, v3
	s_waitcnt lgkmcnt(0)
	v_add_u32_e32 v2, v12, v2
.LBB2062_79:
	s_or_b64 exec, exec, s[16:17]
	v_add_u32_e32 v3, -1, v57
	v_and_b32_e32 v4, 64, v57
	v_cmp_lt_i32_e64 s[0:1], v3, v4
	v_cmp_eq_u32_e64 s[16:17], 0, v57
	s_nop 0
	v_cndmask_b32_e64 v3, v3, v57, s[0:1]
	v_lshlrev_b32_e32 v3, 2, v3
	ds_bpermute_b32 v13, v3, v2
	s_and_saveexec_b64 s[0:1], vcc
	s_cbranch_execz .LBB2062_98
; %bb.80:
	v_mov_b32_e32 v9, 0
	ds_read_b32 v2, v9 offset:28
	s_and_saveexec_b64 s[38:39], s[16:17]
	s_cbranch_execz .LBB2062_82
; %bb.81:
	s_add_i32 s40, s42, 64
	s_mov_b32 s41, 0
	s_lshl_b64 s[40:41], s[40:41], 3
	s_add_u32 s40, s36, s40
	v_mov_b32_e32 v3, 1
	s_addc_u32 s41, s37, s41
	s_waitcnt lgkmcnt(0)
	global_store_dwordx2 v9, v[2:3], s[40:41] sc1
.LBB2062_82:
	s_or_b64 exec, exec, s[38:39]
	v_xad_u32 v4, v57, -1, s42
	v_add_u32_e32 v8, 64, v4
	v_lshl_add_u64 v[10:11], v[8:9], 3, s[36:37]
	global_load_dwordx2 v[6:7], v[10:11], off sc1
	s_waitcnt vmcnt(0)
	v_cmp_eq_u16_sdwa s[40:41], v7, v9 src0_sel:BYTE_0 src1_sel:DWORD
	s_and_saveexec_b64 s[38:39], s[40:41]
	s_cbranch_execz .LBB2062_86
; %bb.83:
	s_mov_b64 s[40:41], 0
	v_mov_b32_e32 v3, 0
.LBB2062_84:                            ; =>This Inner Loop Header: Depth=1
	global_load_dwordx2 v[6:7], v[10:11], off sc1
	s_waitcnt vmcnt(0)
	v_cmp_ne_u16_sdwa s[44:45], v7, v3 src0_sel:BYTE_0 src1_sel:DWORD
	s_or_b64 s[40:41], s[44:45], s[40:41]
	s_andn2_b64 exec, exec, s[40:41]
	s_cbranch_execnz .LBB2062_84
; %bb.85:
	s_or_b64 exec, exec, s[40:41]
.LBB2062_86:
	s_or_b64 exec, exec, s[38:39]
	v_and_b32_e32 v15, 63, v57
	v_mov_b32_e32 v14, 2
	v_cmp_ne_u32_e32 vcc, 63, v15
	v_cmp_eq_u16_sdwa s[38:39], v7, v14 src0_sel:BYTE_0 src1_sel:DWORD
	v_lshlrev_b64 v[8:9], v57, -1
	v_addc_co_u32_e32 v10, vcc, 0, v57, vcc
	v_and_b32_e32 v3, s39, v9
	v_lshlrev_b32_e32 v16, 2, v10
	v_or_b32_e32 v3, 0x80000000, v3
	ds_bpermute_b32 v10, v16, v6
	v_and_b32_e32 v5, s38, v8
	v_ffbl_b32_e32 v3, v3
	v_add_u32_e32 v3, 32, v3
	v_ffbl_b32_e32 v5, v5
	v_min_u32_e32 v3, v5, v3
	v_cmp_lt_u32_e32 vcc, v15, v3
	v_add_u32_e32 v26, 2, v15
	v_add_u32_e32 v54, 4, v15
	s_waitcnt lgkmcnt(0)
	v_cndmask_b32_e32 v5, 0, v10, vcc
	v_cmp_gt_u32_e32 vcc, 62, v15
	v_add_u32_e32 v5, v5, v6
	v_add_u32_e32 v61, 8, v15
	v_cndmask_b32_e64 v6, 0, 1, vcc
	v_lshlrev_b32_e32 v6, 1, v6
	v_add_lshl_u32 v17, v6, v57, 2
	ds_bpermute_b32 v6, v17, v5
	v_cmp_le_u32_e32 vcc, v26, v3
	v_add_u32_e32 v63, 16, v15
	v_add_u32_e32 v65, 32, v15
	s_waitcnt lgkmcnt(0)
	v_cndmask_b32_e32 v6, 0, v6, vcc
	v_cmp_gt_u32_e32 vcc, 60, v15
	v_add_u32_e32 v5, v5, v6
	s_nop 0
	v_cndmask_b32_e64 v6, 0, 1, vcc
	v_lshlrev_b32_e32 v6, 2, v6
	v_add_lshl_u32 v27, v6, v57, 2
	ds_bpermute_b32 v6, v27, v5
	v_cmp_le_u32_e32 vcc, v54, v3
	s_waitcnt lgkmcnt(0)
	s_nop 0
	v_cndmask_b32_e32 v6, 0, v6, vcc
	v_cmp_gt_u32_e32 vcc, 56, v15
	v_add_u32_e32 v5, v5, v6
	s_nop 0
	v_cndmask_b32_e64 v6, 0, 1, vcc
	v_lshlrev_b32_e32 v6, 3, v6
	v_add_lshl_u32 v60, v6, v57, 2
	ds_bpermute_b32 v6, v60, v5
	v_cmp_le_u32_e32 vcc, v61, v3
	s_waitcnt lgkmcnt(0)
	s_nop 0
	v_cndmask_b32_e32 v6, 0, v6, vcc
	v_cmp_gt_u32_e32 vcc, 48, v15
	v_add_u32_e32 v5, v5, v6
	s_nop 0
	v_cndmask_b32_e64 v6, 0, 1, vcc
	v_lshlrev_b32_e32 v6, 4, v6
	v_add_lshl_u32 v62, v6, v57, 2
	ds_bpermute_b32 v6, v62, v5
	v_cmp_le_u32_e32 vcc, v63, v3
	s_waitcnt lgkmcnt(0)
	s_nop 0
	v_cndmask_b32_e32 v6, 0, v6, vcc
	v_cmp_gt_u32_e32 vcc, 32, v15
	v_add_u32_e32 v5, v5, v6
	s_nop 0
	v_cndmask_b32_e64 v6, 0, 1, vcc
	v_lshlrev_b32_e32 v6, 5, v6
	v_add_lshl_u32 v64, v6, v57, 2
	ds_bpermute_b32 v6, v64, v5
	v_cmp_le_u32_e32 vcc, v65, v3
	s_waitcnt lgkmcnt(0)
	s_nop 0
	v_cndmask_b32_e32 v3, 0, v6, vcc
	v_add_u32_e32 v6, v5, v3
	v_mov_b32_e32 v5, 0
	s_branch .LBB2062_88
.LBB2062_87:                            ;   in Loop: Header=BB2062_88 Depth=1
	s_or_b64 exec, exec, s[38:39]
	v_cmp_eq_u16_sdwa s[38:39], v7, v14 src0_sel:BYTE_0 src1_sel:DWORD
	ds_bpermute_b32 v66, v16, v6
	v_subrev_u32_e32 v4, 64, v4
	v_and_b32_e32 v10, s39, v9
	v_or_b32_e32 v10, 0x80000000, v10
	v_and_b32_e32 v11, s38, v8
	v_ffbl_b32_e32 v10, v10
	v_add_u32_e32 v10, 32, v10
	v_ffbl_b32_e32 v11, v11
	v_min_u32_e32 v10, v11, v10
	v_cmp_lt_u32_e32 vcc, v15, v10
	s_waitcnt lgkmcnt(0)
	s_nop 0
	v_cndmask_b32_e32 v11, 0, v66, vcc
	v_add_u32_e32 v6, v11, v6
	ds_bpermute_b32 v11, v17, v6
	v_cmp_le_u32_e32 vcc, v26, v10
	s_waitcnt lgkmcnt(0)
	s_nop 0
	v_cndmask_b32_e32 v11, 0, v11, vcc
	v_add_u32_e32 v6, v6, v11
	ds_bpermute_b32 v11, v27, v6
	v_cmp_le_u32_e32 vcc, v54, v10
	;; [unrolled: 6-line block ×5, first 2 shown]
	s_waitcnt lgkmcnt(0)
	s_nop 0
	v_cndmask_b32_e32 v10, 0, v11, vcc
	v_add3_u32 v6, v10, v3, v6
.LBB2062_88:                            ; =>This Loop Header: Depth=1
                                        ;     Child Loop BB2062_91 Depth 2
	v_cmp_ne_u16_sdwa s[38:39], v7, v14 src0_sel:BYTE_0 src1_sel:DWORD
	s_nop 1
	v_cndmask_b32_e64 v3, 0, 1, s[38:39]
	;;#ASMSTART
	;;#ASMEND
	s_nop 0
	v_cmp_ne_u32_e32 vcc, 0, v3
	s_cmp_lg_u64 vcc, exec
	v_mov_b32_e32 v3, v6
	s_cbranch_scc1 .LBB2062_93
; %bb.89:                               ;   in Loop: Header=BB2062_88 Depth=1
	v_lshl_add_u64 v[10:11], v[4:5], 3, s[36:37]
	global_load_dwordx2 v[6:7], v[10:11], off sc1
	s_waitcnt vmcnt(0)
	v_cmp_eq_u16_sdwa s[40:41], v7, v5 src0_sel:BYTE_0 src1_sel:DWORD
	s_and_saveexec_b64 s[38:39], s[40:41]
	s_cbranch_execz .LBB2062_87
; %bb.90:                               ;   in Loop: Header=BB2062_88 Depth=1
	s_mov_b64 s[40:41], 0
.LBB2062_91:                            ;   Parent Loop BB2062_88 Depth=1
                                        ; =>  This Inner Loop Header: Depth=2
	global_load_dwordx2 v[6:7], v[10:11], off sc1
	s_waitcnt vmcnt(0)
	v_cmp_ne_u16_sdwa s[44:45], v7, v5 src0_sel:BYTE_0 src1_sel:DWORD
	s_or_b64 s[40:41], s[44:45], s[40:41]
	s_andn2_b64 exec, exec, s[40:41]
	s_cbranch_execnz .LBB2062_91
; %bb.92:                               ;   in Loop: Header=BB2062_88 Depth=1
	s_or_b64 exec, exec, s[40:41]
	s_branch .LBB2062_87
.LBB2062_93:                            ;   in Loop: Header=BB2062_88 Depth=1
                                        ; implicit-def: $vgpr6
                                        ; implicit-def: $vgpr7
	s_cbranch_execz .LBB2062_88
; %bb.94:
	s_and_saveexec_b64 s[38:39], s[16:17]
	s_cbranch_execz .LBB2062_96
; %bb.95:
	s_add_i32 s40, s42, 64
	s_mov_b32 s41, 0
	s_lshl_b64 s[40:41], s[40:41], 3
	s_add_u32 s40, s36, s40
	v_add_u32_e32 v4, v3, v2
	v_mov_b32_e32 v5, 2
	s_addc_u32 s41, s37, s41
	v_mov_b32_e32 v6, 0
	global_store_dwordx2 v6, v[4:5], s[40:41] sc1
	ds_write_b64 v6, v[2:3] offset:30720
.LBB2062_96:
	s_or_b64 exec, exec, s[38:39]
	s_and_b64 exec, exec, s[18:19]
	s_cbranch_execz .LBB2062_98
; %bb.97:
	v_mov_b32_e32 v2, 0
	ds_write_b32 v2, v3 offset:28
.LBB2062_98:
	s_or_b64 exec, exec, s[0:1]
	v_mov_b32_e32 v14, 0
	s_waitcnt lgkmcnt(0)
	s_barrier
	ds_read_b32 v2, v14 offset:28
	v_cndmask_b32_e64 v3, v13, v12, s[16:17]
	v_cndmask_b32_e64 v3, v3, 0, s[18:19]
	s_waitcnt lgkmcnt(0)
	s_barrier
	v_add_u32_e32 v2, v2, v3
	v_add_u32_e32 v3, v2, v53
	;; [unrolled: 1-line block ×10, first 2 shown]
	ds_read_b64 v[26:27], v14 offset:30720
	v_add_u32_e32 v12, v11, v48
	v_add_u32_e32 v13, v12, v49
	;; [unrolled: 1-line block ×5, first 2 shown]
	s_waitcnt lgkmcnt(0)
	v_mov_b32_e32 v54, v27
	s_branch .LBB2062_109
.LBB2062_99:
                                        ; implicit-def: $vgpr54
                                        ; implicit-def: $vgpr26
                                        ; implicit-def: $vgpr2_vgpr3_vgpr4_vgpr5_vgpr6_vgpr7_vgpr8_vgpr9_vgpr10_vgpr11_vgpr12_vgpr13_vgpr14_vgpr15_vgpr16_vgpr17
	s_cbranch_execz .LBB2062_109
; %bb.100:
	s_nop 0
	v_mov_b32_dpp v2, v59 row_shr:1 row_mask:0xf bank_mask:0xf
	v_cndmask_b32_e64 v2, v2, 0, s[14:15]
	v_add_u32_e32 v2, v2, v59
	s_nop 1
	v_mov_b32_dpp v3, v2 row_shr:2 row_mask:0xf bank_mask:0xf
	v_cndmask_b32_e64 v3, 0, v3, s[12:13]
	v_add_u32_e32 v2, v2, v3
	;; [unrolled: 4-line block ×4, first 2 shown]
	s_nop 1
	v_mov_b32_dpp v3, v2 row_bcast:15 row_mask:0xf bank_mask:0xf
	v_cndmask_b32_e64 v3, v3, 0, s[6:7]
	v_add_u32_e32 v2, v2, v3
	s_nop 1
	v_mov_b32_dpp v3, v2 row_bcast:31 row_mask:0xf bank_mask:0xf
	v_cndmask_b32_e64 v3, 0, v3, s[2:3]
	v_add_u32_e32 v2, v2, v3
	s_and_saveexec_b64 s[0:1], s[4:5]
	s_cbranch_execz .LBB2062_102
; %bb.101:
	v_lshlrev_b32_e32 v3, 2, v58
	ds_write_b32 v3, v2
.LBB2062_102:
	s_or_b64 exec, exec, s[0:1]
	v_cmp_gt_u32_e32 vcc, 8, v0
	s_waitcnt lgkmcnt(0)
	s_barrier
	s_and_saveexec_b64 s[0:1], vcc
	s_cbranch_execz .LBB2062_104
; %bb.103:
	v_mad_i32_i24 v3, v0, -11, v21
	ds_read_b32 v4, v3
	v_and_b32_e32 v5, 7, v57
	v_cmp_ne_u32_e32 vcc, 0, v5
	s_waitcnt lgkmcnt(0)
	v_mov_b32_dpp v6, v4 row_shr:1 row_mask:0xf bank_mask:0xf
	v_cndmask_b32_e32 v6, 0, v6, vcc
	v_add_u32_e32 v4, v6, v4
	v_cmp_lt_u32_e32 vcc, 1, v5
	s_nop 0
	v_mov_b32_dpp v6, v4 row_shr:2 row_mask:0xf bank_mask:0xf
	v_cndmask_b32_e32 v6, 0, v6, vcc
	v_add_u32_e32 v4, v4, v6
	v_cmp_lt_u32_e32 vcc, 3, v5
	s_nop 0
	v_mov_b32_dpp v6, v4 row_shr:4 row_mask:0xf bank_mask:0xf
	v_cndmask_b32_e32 v5, 0, v6, vcc
	v_add_u32_e32 v4, v4, v5
	ds_write_b32 v3, v4
.LBB2062_104:
	s_or_b64 exec, exec, s[0:1]
	v_cmp_lt_u32_e32 vcc, 63, v0
	v_mov_b32_e32 v4, 0
	v_mov_b32_e32 v3, 0
	s_waitcnt lgkmcnt(0)
	s_barrier
	s_and_saveexec_b64 s[0:1], vcc
	s_cbranch_execz .LBB2062_106
; %bb.105:
	v_lshl_add_u32 v3, v58, 2, -4
	ds_read_b32 v3, v3
.LBB2062_106:
	s_or_b64 exec, exec, s[0:1]
	v_add_u32_e32 v5, -1, v57
	v_and_b32_e32 v6, 64, v57
	v_cmp_lt_i32_e32 vcc, v5, v6
	s_waitcnt lgkmcnt(0)
	v_add_u32_e32 v2, v3, v2
	ds_read_b32 v26, v4 offset:28
	v_cndmask_b32_e32 v5, v5, v57, vcc
	v_lshlrev_b32_e32 v5, 2, v5
	ds_bpermute_b32 v2, v5, v2
	s_and_saveexec_b64 s[0:1], s[18:19]
	s_cbranch_execz .LBB2062_108
; %bb.107:
	v_mov_b32_e32 v4, 0
	v_mov_b32_e32 v27, 2
	s_waitcnt lgkmcnt(1)
	global_store_dwordx2 v4, v[26:27], s[36:37] offset:512 sc1
.LBB2062_108:
	s_or_b64 exec, exec, s[0:1]
	v_cmp_eq_u32_e32 vcc, 0, v57
	v_mov_b32_e32 v54, 0
	s_waitcnt lgkmcnt(0)
	v_cndmask_b32_e32 v2, v2, v3, vcc
	v_cndmask_b32_e64 v2, v2, 0, s[18:19]
	v_add_u32_e32 v3, v2, v53
	v_add_u32_e32 v4, v3, v55
	;; [unrolled: 1-line block ×14, first 2 shown]
	s_barrier
.LBB2062_109:
	v_add_u32_e32 v21, v26, v21
	v_sub_u32_e32 v2, v2, v54
	v_and_b32_e32 v49, 1, v18
	v_sub_u32_e32 v48, v21, v2
	v_cmp_eq_u32_e32 vcc, 1, v49
	v_lshrrev_b32_e32 v47, 8, v18
	v_lshrrev_b32_e32 v27, 8, v19
	v_cndmask_b32_e32 v2, v48, v2, vcc
	v_lshlrev_b32_e32 v2, 2, v2
	ds_write_b32 v2, v40
	v_sub_u32_e32 v2, v3, v54
	v_sub_u32_e32 v3, v21, v2
	v_and_b32_e32 v40, 1, v47
	v_add_u32_e32 v3, 1, v3
	v_cmp_eq_u32_e32 vcc, 1, v40
	v_lshrrev_b32_e32 v17, 8, v20
	s_add_u32 s0, s26, s24
	v_cndmask_b32_e32 v2, v3, v2, vcc
	v_lshlrev_b32_e32 v2, 2, v2
	ds_write_b32 v2, v41
	v_sub_u32_e32 v2, v4, v54
	v_mov_b32_e32 v4, 1
	v_sub_u32_e32 v3, v21, v2
	v_and_b32_sdwa v18, v4, v18 dst_sel:DWORD dst_unused:UNUSED_PAD src0_sel:DWORD src1_sel:WORD_1
	v_add_u32_e32 v3, 2, v3
	v_cmp_eq_u32_e32 vcc, 1, v18
	s_addc_u32 s1, s27, 0
	s_sub_u32 s0, s30, s0
	v_cndmask_b32_e32 v2, v3, v2, vcc
	v_lshlrev_b32_e32 v2, 2, v2
	ds_write_b32 v2, v38
	v_sub_u32_e32 v2, v5, v54
	v_sub_u32_e32 v3, v21, v2
	v_and_b32_e32 v5, 1, v46
	v_add_u32_e32 v3, 3, v3
	v_cmp_eq_u32_e32 vcc, 1, v5
	v_and_b32_e32 v5, 1, v19
	s_subb_u32 s1, s31, s1
	v_cndmask_b32_e32 v2, v3, v2, vcc
	v_lshlrev_b32_e32 v2, 2, v2
	ds_write_b32 v2, v39
	v_sub_u32_e32 v2, v6, v54
	v_sub_u32_e32 v3, v21, v2
	v_add_u32_e32 v3, 4, v3
	v_cmp_eq_u32_e32 vcc, 1, v5
	v_and_b32_e32 v5, 1, v27
	v_or_b32_e32 v52, 0x200, v0
	v_cndmask_b32_e32 v2, v3, v2, vcc
	v_lshlrev_b32_e32 v2, 2, v2
	ds_write_b32 v2, v36
	v_sub_u32_e32 v2, v7, v54
	v_sub_u32_e32 v3, v21, v2
	v_add_u32_e32 v3, 5, v3
	v_cmp_eq_u32_e32 vcc, 1, v5
	v_and_b32_sdwa v5, v4, v19 dst_sel:DWORD dst_unused:UNUSED_PAD src0_sel:DWORD src1_sel:WORD_1
	v_and_b32_sdwa v4, v4, v20 dst_sel:DWORD dst_unused:UNUSED_PAD src0_sel:DWORD src1_sel:WORD_1
	v_cndmask_b32_e32 v2, v3, v2, vcc
	v_lshlrev_b32_e32 v2, 2, v2
	ds_write_b32 v2, v37
	v_sub_u32_e32 v2, v8, v54
	v_sub_u32_e32 v3, v21, v2
	v_add_u32_e32 v3, 6, v3
	v_cmp_eq_u32_e32 vcc, 1, v5
	v_and_b32_e32 v5, 1, v45
	v_or_b32_e32 v48, 0x400, v0
	v_cndmask_b32_e32 v2, v3, v2, vcc
	v_lshlrev_b32_e32 v2, 2, v2
	ds_write_b32 v2, v34
	v_sub_u32_e32 v2, v9, v54
	v_sub_u32_e32 v3, v21, v2
	v_add_u32_e32 v3, 7, v3
	v_cmp_eq_u32_e32 vcc, 1, v5
	v_and_b32_e32 v5, 1, v20
	v_or_b32_e32 v46, 0x600, v0
	;; [unrolled: 9-line block ×3, first 2 shown]
	v_cndmask_b32_e32 v2, v3, v2, vcc
	v_lshlrev_b32_e32 v2, 2, v2
	ds_write_b32 v2, v32
	v_sub_u32_e32 v2, v11, v54
	v_sub_u32_e32 v3, v21, v2
	v_add_u32_e32 v3, 9, v3
	v_cmp_eq_u32_e32 vcc, 1, v5
	v_or_b32_e32 v36, 0xc00, v0
	v_or_b32_e32 v34, 0xe00, v0
	v_cndmask_b32_e32 v2, v3, v2, vcc
	v_lshlrev_b32_e32 v2, 2, v2
	ds_write_b32 v2, v33
	v_sub_u32_e32 v2, v12, v54
	v_sub_u32_e32 v3, v21, v2
	v_add_u32_e32 v3, 10, v3
	v_cmp_eq_u32_e32 vcc, 1, v4
	v_and_b32_e32 v4, 1, v43
	v_or_b32_e32 v18, 0x1400, v0
	v_cndmask_b32_e32 v2, v3, v2, vcc
	v_lshlrev_b32_e32 v2, 2, v2
	ds_write_b32 v2, v30
	v_sub_u32_e32 v2, v13, v54
	v_sub_u32_e32 v3, v21, v2
	v_add_u32_e32 v3, 11, v3
	v_cmp_eq_u32_e32 vcc, 1, v4
	v_or_b32_e32 v30, 0x1000, v0
	v_or_b32_e32 v12, 0x1800, v0
	v_cndmask_b32_e32 v2, v3, v2, vcc
	v_lshlrev_b32_e32 v2, 2, v2
	ds_write_b32 v2, v31
	v_sub_u32_e32 v2, v14, v54
	v_sub_u32_e32 v3, v21, v2
	v_add_u32_e32 v3, 12, v3
	v_cmp_eq_u32_e32 vcc, 1, v44
	v_or_b32_e32 v10, 0x1a00, v0
	;; [unrolled: 9-line block ×4, first 2 shown]
	s_nop 0
	v_cndmask_b32_e32 v2, v3, v2, vcc
	v_lshlrev_b32_e32 v2, 2, v2
	ds_write_b32 v2, v1
	s_waitcnt lgkmcnt(0)
	s_barrier
	ds_read2st64_b32 v[50:51], v22 offset1:8
	ds_read2st64_b32 v[44:45], v22 offset0:16 offset1:24
	ds_read2st64_b32 v[38:39], v22 offset0:32 offset1:40
	;; [unrolled: 1-line block ×6, first 2 shown]
	ds_read_b32 v56, v22 offset:28672
	v_mov_b32_e32 v1, 0
	v_mov_b32_e32 v55, v1
	;; [unrolled: 1-line block ×3, first 2 shown]
	s_waitcnt vmcnt(0)
	v_lshl_add_u64 v[2:3], v[24:25], 0, v[54:55]
	v_lshl_add_u64 v[6:7], s[0:1], 0, v[26:27]
	v_mov_b32_e32 v53, v1
	v_mov_b32_e32 v49, v1
	;; [unrolled: 1-line block ×14, first 2 shown]
	s_andn2_b64 vcc, exec, s[34:35]
	v_lshl_add_u64 v[6:7], v[6:7], 0, v[2:3]
	s_cbranch_vccnz .LBB2062_174
; %bb.110:
	v_cmp_ge_u32_e32 vcc, v0, v26
                                        ; implicit-def: $vgpr22_vgpr23
	s_and_saveexec_b64 s[0:1], vcc
	s_xor_b64 s[0:1], exec, s[0:1]
; %bb.111:
	v_not_b32_e32 v22, v0
	v_ashrrev_i32_e32 v23, 31, v22
	v_lshl_add_u64 v[22:23], v[6:7], 0, v[22:23]
; %bb.112:
	s_andn2_saveexec_b64 s[0:1], s[0:1]
; %bb.113:
	v_lshl_add_u64 v[22:23], v[2:3], 0, v[0:1]
; %bb.114:
	s_or_b64 exec, exec, s[0:1]
	v_lshl_add_u64 v[22:23], v[22:23], 2, s[28:29]
	v_cmp_ge_u32_e32 vcc, v52, v26
	s_waitcnt lgkmcnt(7)
	global_store_dword v[22:23], v50, off
                                        ; implicit-def: $vgpr22_vgpr23
	s_and_saveexec_b64 s[0:1], vcc
	s_xor_b64 s[0:1], exec, s[0:1]
; %bb.115:
	v_xor_b32_e32 v22, 0xfffffdff, v0
	v_ashrrev_i32_e32 v23, 31, v22
	v_lshl_add_u64 v[22:23], v[6:7], 0, v[22:23]
; %bb.116:
	s_andn2_saveexec_b64 s[0:1], s[0:1]
; %bb.117:
	v_lshl_add_u64 v[22:23], v[2:3], 0, v[52:53]
; %bb.118:
	s_or_b64 exec, exec, s[0:1]
	v_lshl_add_u64 v[22:23], v[22:23], 2, s[28:29]
	v_cmp_ge_u32_e32 vcc, v48, v26
	global_store_dword v[22:23], v51, off
                                        ; implicit-def: $vgpr22_vgpr23
	s_and_saveexec_b64 s[0:1], vcc
	s_xor_b64 s[0:1], exec, s[0:1]
; %bb.119:
	v_xor_b32_e32 v22, 0xfffffbff, v0
	v_ashrrev_i32_e32 v23, 31, v22
	v_lshl_add_u64 v[22:23], v[6:7], 0, v[22:23]
; %bb.120:
	s_andn2_saveexec_b64 s[0:1], s[0:1]
; %bb.121:
	v_lshl_add_u64 v[22:23], v[2:3], 0, v[48:49]
; %bb.122:
	s_or_b64 exec, exec, s[0:1]
	v_lshl_add_u64 v[22:23], v[22:23], 2, s[28:29]
	v_cmp_ge_u32_e32 vcc, v46, v26
	s_waitcnt lgkmcnt(6)
	global_store_dword v[22:23], v44, off
                                        ; implicit-def: $vgpr22_vgpr23
	s_and_saveexec_b64 s[0:1], vcc
	s_xor_b64 s[0:1], exec, s[0:1]
; %bb.123:
	v_xor_b32_e32 v22, 0xfffff9ff, v0
	v_ashrrev_i32_e32 v23, 31, v22
	v_lshl_add_u64 v[22:23], v[6:7], 0, v[22:23]
; %bb.124:
	s_andn2_saveexec_b64 s[0:1], s[0:1]
; %bb.125:
	v_lshl_add_u64 v[22:23], v[2:3], 0, v[46:47]
; %bb.126:
	s_or_b64 exec, exec, s[0:1]
	v_lshl_add_u64 v[22:23], v[22:23], 2, s[28:29]
	v_cmp_ge_u32_e32 vcc, v42, v26
	global_store_dword v[22:23], v45, off
                                        ; implicit-def: $vgpr22_vgpr23
	s_and_saveexec_b64 s[0:1], vcc
	s_xor_b64 s[0:1], exec, s[0:1]
; %bb.127:
	v_xor_b32_e32 v22, 0xfffff7ff, v0
	;; [unrolled: 33-line block ×7, first 2 shown]
	v_ashrrev_i32_e32 v23, 31, v22
	v_lshl_add_u64 v[22:23], v[6:7], 0, v[22:23]
; %bb.168:
	s_andn2_saveexec_b64 s[0:1], s[0:1]
; %bb.169:
	v_lshl_add_u64 v[22:23], v[2:3], 0, v[4:5]
; %bb.170:
	s_or_b64 exec, exec, s[0:1]
	s_mov_b64 s[0:1], -1
.LBB2062_171:
	s_and_saveexec_b64 s[2:3], s[0:1]
	s_cbranch_execz .LBB2062_266
.LBB2062_172:
	v_lshl_add_u64 v[0:1], v[22:23], 2, s[28:29]
	s_waitcnt lgkmcnt(0)
	global_store_dword v[0:1], v56, off
	s_or_b64 exec, exec, s[2:3]
	s_and_b64 s[0:1], s[18:19], s[22:23]
	s_and_saveexec_b64 s[2:3], s[0:1]
	s_cbranch_execnz .LBB2062_267
.LBB2062_173:
	s_endpgm
.LBB2062_174:
	s_mov_b64 s[0:1], 0
                                        ; implicit-def: $vgpr22_vgpr23
	s_cbranch_execz .LBB2062_171
; %bb.175:
	v_cmp_gt_u32_e32 vcc, s33, v0
	s_and_saveexec_b64 s[2:3], vcc
	s_cbranch_execz .LBB2062_217
; %bb.176:
	v_cmp_ge_u32_e32 vcc, v0, v26
                                        ; implicit-def: $vgpr22_vgpr23
	s_and_saveexec_b64 s[4:5], vcc
	s_xor_b64 s[4:5], exec, s[4:5]
; %bb.177:
	v_not_b32_e32 v22, v0
	v_ashrrev_i32_e32 v23, 31, v22
	v_lshl_add_u64 v[22:23], v[6:7], 0, v[22:23]
; %bb.178:
	s_andn2_saveexec_b64 s[4:5], s[4:5]
; %bb.179:
	v_lshl_add_u64 v[22:23], v[2:3], 0, v[0:1]
; %bb.180:
	s_or_b64 exec, exec, s[4:5]
	v_lshl_add_u64 v[22:23], v[22:23], 2, s[28:29]
	s_waitcnt lgkmcnt(7)
	global_store_dword v[22:23], v50, off
	s_or_b64 exec, exec, s[2:3]
	v_cmp_gt_u32_e32 vcc, s33, v52
	s_and_saveexec_b64 s[2:3], vcc
	s_cbranch_execnz .LBB2062_218
.LBB2062_181:
	s_or_b64 exec, exec, s[2:3]
	v_cmp_gt_u32_e32 vcc, s33, v48
	s_and_saveexec_b64 s[2:3], vcc
	s_cbranch_execz .LBB2062_223
.LBB2062_182:
	v_cmp_ge_u32_e32 vcc, v48, v26
                                        ; implicit-def: $vgpr22_vgpr23
	s_and_saveexec_b64 s[4:5], vcc
	s_xor_b64 s[4:5], exec, s[4:5]
; %bb.183:
	v_xor_b32_e32 v22, 0xfffffbff, v0
	v_ashrrev_i32_e32 v23, 31, v22
	v_lshl_add_u64 v[22:23], v[6:7], 0, v[22:23]
                                        ; implicit-def: $vgpr48_vgpr49
; %bb.184:
	s_andn2_saveexec_b64 s[4:5], s[4:5]
; %bb.185:
	v_lshl_add_u64 v[22:23], v[2:3], 0, v[48:49]
; %bb.186:
	s_or_b64 exec, exec, s[4:5]
	v_lshl_add_u64 v[22:23], v[22:23], 2, s[28:29]
	s_waitcnt lgkmcnt(6)
	global_store_dword v[22:23], v44, off
	s_or_b64 exec, exec, s[2:3]
	v_cmp_gt_u32_e32 vcc, s33, v46
	s_and_saveexec_b64 s[2:3], vcc
	s_cbranch_execnz .LBB2062_224
.LBB2062_187:
	s_or_b64 exec, exec, s[2:3]
	v_cmp_gt_u32_e32 vcc, s33, v42
	s_and_saveexec_b64 s[2:3], vcc
	s_cbranch_execz .LBB2062_229
.LBB2062_188:
	v_cmp_ge_u32_e32 vcc, v42, v26
                                        ; implicit-def: $vgpr22_vgpr23
	s_and_saveexec_b64 s[4:5], vcc
	s_xor_b64 s[4:5], exec, s[4:5]
; %bb.189:
	v_xor_b32_e32 v22, 0xfffff7ff, v0
	v_ashrrev_i32_e32 v23, 31, v22
	v_lshl_add_u64 v[22:23], v[6:7], 0, v[22:23]
                                        ; implicit-def: $vgpr42_vgpr43
; %bb.190:
	s_andn2_saveexec_b64 s[4:5], s[4:5]
; %bb.191:
	v_lshl_add_u64 v[22:23], v[2:3], 0, v[42:43]
; %bb.192:
	s_or_b64 exec, exec, s[4:5]
	v_lshl_add_u64 v[22:23], v[22:23], 2, s[28:29]
	s_waitcnt lgkmcnt(5)
	global_store_dword v[22:23], v38, off
	s_or_b64 exec, exec, s[2:3]
	v_cmp_gt_u32_e32 vcc, s33, v40
	s_and_saveexec_b64 s[2:3], vcc
	s_cbranch_execnz .LBB2062_230
.LBB2062_193:
	s_or_b64 exec, exec, s[2:3]
	v_cmp_gt_u32_e32 vcc, s33, v36
	s_and_saveexec_b64 s[2:3], vcc
	s_cbranch_execz .LBB2062_235
.LBB2062_194:
	v_cmp_ge_u32_e32 vcc, v36, v26
                                        ; implicit-def: $vgpr22_vgpr23
	s_and_saveexec_b64 s[4:5], vcc
	s_xor_b64 s[4:5], exec, s[4:5]
; %bb.195:
	v_xor_b32_e32 v22, 0xfffff3ff, v0
	v_ashrrev_i32_e32 v23, 31, v22
	v_lshl_add_u64 v[22:23], v[6:7], 0, v[22:23]
                                        ; implicit-def: $vgpr36_vgpr37
; %bb.196:
	s_andn2_saveexec_b64 s[4:5], s[4:5]
; %bb.197:
	v_lshl_add_u64 v[22:23], v[2:3], 0, v[36:37]
; %bb.198:
	s_or_b64 exec, exec, s[4:5]
	v_lshl_add_u64 v[22:23], v[22:23], 2, s[28:29]
	s_waitcnt lgkmcnt(4)
	global_store_dword v[22:23], v32, off
	s_or_b64 exec, exec, s[2:3]
	v_cmp_gt_u32_e32 vcc, s33, v34
	s_and_saveexec_b64 s[2:3], vcc
	s_cbranch_execnz .LBB2062_236
.LBB2062_199:
	s_or_b64 exec, exec, s[2:3]
	v_cmp_gt_u32_e32 vcc, s33, v30
	s_and_saveexec_b64 s[2:3], vcc
	s_cbranch_execz .LBB2062_241
.LBB2062_200:
	v_cmp_ge_u32_e32 vcc, v30, v26
                                        ; implicit-def: $vgpr22_vgpr23
	s_and_saveexec_b64 s[4:5], vcc
	s_xor_b64 s[4:5], exec, s[4:5]
; %bb.201:
	v_xor_b32_e32 v22, 0xffffefff, v0
	v_ashrrev_i32_e32 v23, 31, v22
	v_lshl_add_u64 v[22:23], v[6:7], 0, v[22:23]
                                        ; implicit-def: $vgpr30_vgpr31
; %bb.202:
	s_andn2_saveexec_b64 s[4:5], s[4:5]
; %bb.203:
	v_lshl_add_u64 v[22:23], v[2:3], 0, v[30:31]
; %bb.204:
	s_or_b64 exec, exec, s[4:5]
	v_lshl_add_u64 v[22:23], v[22:23], 2, s[28:29]
	s_waitcnt lgkmcnt(3)
	global_store_dword v[22:23], v20, off
	s_or_b64 exec, exec, s[2:3]
	v_cmp_gt_u32_e32 vcc, s33, v28
	s_and_saveexec_b64 s[2:3], vcc
	s_cbranch_execnz .LBB2062_242
.LBB2062_205:
	s_or_b64 exec, exec, s[2:3]
	v_cmp_gt_u32_e32 vcc, s33, v18
	s_and_saveexec_b64 s[2:3], vcc
	s_cbranch_execz .LBB2062_247
.LBB2062_206:
	v_cmp_ge_u32_e32 vcc, v18, v26
                                        ; implicit-def: $vgpr20_vgpr21
	s_and_saveexec_b64 s[4:5], vcc
	s_xor_b64 s[4:5], exec, s[4:5]
	s_cbranch_execz .LBB2062_208
; %bb.207:
	v_xor_b32_e32 v18, 0xffffebff, v0
	v_ashrrev_i32_e32 v19, 31, v18
	s_waitcnt lgkmcnt(3)
	v_lshl_add_u64 v[20:21], v[6:7], 0, v[18:19]
                                        ; implicit-def: $vgpr18_vgpr19
.LBB2062_208:
	s_andn2_saveexec_b64 s[4:5], s[4:5]
	s_cbranch_execz .LBB2062_210
; %bb.209:
	s_waitcnt lgkmcnt(3)
	v_lshl_add_u64 v[20:21], v[2:3], 0, v[18:19]
.LBB2062_210:
	s_or_b64 exec, exec, s[4:5]
	s_waitcnt lgkmcnt(3)
	v_lshl_add_u64 v[18:19], v[20:21], 2, s[28:29]
	s_waitcnt lgkmcnt(2)
	global_store_dword v[18:19], v14, off
	s_or_b64 exec, exec, s[2:3]
	v_cmp_gt_u32_e32 vcc, s33, v16
	s_and_saveexec_b64 s[2:3], vcc
	s_cbranch_execnz .LBB2062_248
.LBB2062_211:
	s_or_b64 exec, exec, s[2:3]
	v_cmp_gt_u32_e32 vcc, s33, v12
	s_and_saveexec_b64 s[2:3], vcc
	s_cbranch_execz .LBB2062_253
.LBB2062_212:
	v_cmp_ge_u32_e32 vcc, v12, v26
                                        ; implicit-def: $vgpr14_vgpr15
	s_and_saveexec_b64 s[4:5], vcc
	s_xor_b64 s[4:5], exec, s[4:5]
	s_cbranch_execz .LBB2062_214
; %bb.213:
	v_xor_b32_e32 v12, 0xffffe7ff, v0
	v_ashrrev_i32_e32 v13, 31, v12
	s_waitcnt lgkmcnt(2)
	v_lshl_add_u64 v[14:15], v[6:7], 0, v[12:13]
                                        ; implicit-def: $vgpr12_vgpr13
.LBB2062_214:
	s_andn2_saveexec_b64 s[4:5], s[4:5]
	s_cbranch_execz .LBB2062_216
; %bb.215:
	s_waitcnt lgkmcnt(2)
	v_lshl_add_u64 v[14:15], v[2:3], 0, v[12:13]
.LBB2062_216:
	s_or_b64 exec, exec, s[4:5]
	s_waitcnt lgkmcnt(2)
	v_lshl_add_u64 v[12:13], v[14:15], 2, s[28:29]
	s_waitcnt lgkmcnt(1)
	global_store_dword v[12:13], v8, off
	s_or_b64 exec, exec, s[2:3]
	v_cmp_gt_u32_e32 vcc, s33, v10
	s_and_saveexec_b64 s[2:3], vcc
	s_cbranch_execz .LBB2062_259
	s_branch .LBB2062_254
.LBB2062_217:
	s_or_b64 exec, exec, s[2:3]
	v_cmp_gt_u32_e32 vcc, s33, v52
	s_and_saveexec_b64 s[2:3], vcc
	s_cbranch_execz .LBB2062_181
.LBB2062_218:
	v_cmp_ge_u32_e32 vcc, v52, v26
                                        ; implicit-def: $vgpr22_vgpr23
	s_and_saveexec_b64 s[4:5], vcc
	s_xor_b64 s[4:5], exec, s[4:5]
; %bb.219:
	v_xor_b32_e32 v22, 0xfffffdff, v0
	v_ashrrev_i32_e32 v23, 31, v22
	v_lshl_add_u64 v[22:23], v[6:7], 0, v[22:23]
                                        ; implicit-def: $vgpr52_vgpr53
; %bb.220:
	s_andn2_saveexec_b64 s[4:5], s[4:5]
; %bb.221:
	v_lshl_add_u64 v[22:23], v[2:3], 0, v[52:53]
; %bb.222:
	s_or_b64 exec, exec, s[4:5]
	v_lshl_add_u64 v[22:23], v[22:23], 2, s[28:29]
	s_waitcnt lgkmcnt(7)
	global_store_dword v[22:23], v51, off
	s_or_b64 exec, exec, s[2:3]
	v_cmp_gt_u32_e32 vcc, s33, v48
	s_and_saveexec_b64 s[2:3], vcc
	s_cbranch_execnz .LBB2062_182
.LBB2062_223:
	s_or_b64 exec, exec, s[2:3]
	v_cmp_gt_u32_e32 vcc, s33, v46
	s_and_saveexec_b64 s[2:3], vcc
	s_cbranch_execz .LBB2062_187
.LBB2062_224:
	v_cmp_ge_u32_e32 vcc, v46, v26
                                        ; implicit-def: $vgpr22_vgpr23
	s_and_saveexec_b64 s[4:5], vcc
	s_xor_b64 s[4:5], exec, s[4:5]
; %bb.225:
	v_xor_b32_e32 v22, 0xfffff9ff, v0
	v_ashrrev_i32_e32 v23, 31, v22
	v_lshl_add_u64 v[22:23], v[6:7], 0, v[22:23]
                                        ; implicit-def: $vgpr46_vgpr47
; %bb.226:
	s_andn2_saveexec_b64 s[4:5], s[4:5]
; %bb.227:
	v_lshl_add_u64 v[22:23], v[2:3], 0, v[46:47]
; %bb.228:
	s_or_b64 exec, exec, s[4:5]
	v_lshl_add_u64 v[22:23], v[22:23], 2, s[28:29]
	s_waitcnt lgkmcnt(6)
	global_store_dword v[22:23], v45, off
	s_or_b64 exec, exec, s[2:3]
	v_cmp_gt_u32_e32 vcc, s33, v42
	s_and_saveexec_b64 s[2:3], vcc
	s_cbranch_execnz .LBB2062_188
.LBB2062_229:
	s_or_b64 exec, exec, s[2:3]
	v_cmp_gt_u32_e32 vcc, s33, v40
	s_and_saveexec_b64 s[2:3], vcc
	s_cbranch_execz .LBB2062_193
.LBB2062_230:
	v_cmp_ge_u32_e32 vcc, v40, v26
                                        ; implicit-def: $vgpr22_vgpr23
	s_and_saveexec_b64 s[4:5], vcc
	s_xor_b64 s[4:5], exec, s[4:5]
; %bb.231:
	v_xor_b32_e32 v22, 0xfffff5ff, v0
	v_ashrrev_i32_e32 v23, 31, v22
	v_lshl_add_u64 v[22:23], v[6:7], 0, v[22:23]
                                        ; implicit-def: $vgpr40_vgpr41
; %bb.232:
	s_andn2_saveexec_b64 s[4:5], s[4:5]
; %bb.233:
	v_lshl_add_u64 v[22:23], v[2:3], 0, v[40:41]
; %bb.234:
	s_or_b64 exec, exec, s[4:5]
	v_lshl_add_u64 v[22:23], v[22:23], 2, s[28:29]
	s_waitcnt lgkmcnt(5)
	global_store_dword v[22:23], v39, off
	s_or_b64 exec, exec, s[2:3]
	v_cmp_gt_u32_e32 vcc, s33, v36
	s_and_saveexec_b64 s[2:3], vcc
	s_cbranch_execnz .LBB2062_194
.LBB2062_235:
	s_or_b64 exec, exec, s[2:3]
	v_cmp_gt_u32_e32 vcc, s33, v34
	s_and_saveexec_b64 s[2:3], vcc
	s_cbranch_execz .LBB2062_199
.LBB2062_236:
	v_cmp_ge_u32_e32 vcc, v34, v26
                                        ; implicit-def: $vgpr22_vgpr23
	s_and_saveexec_b64 s[4:5], vcc
	s_xor_b64 s[4:5], exec, s[4:5]
; %bb.237:
	v_xor_b32_e32 v22, 0xfffff1ff, v0
	v_ashrrev_i32_e32 v23, 31, v22
	v_lshl_add_u64 v[22:23], v[6:7], 0, v[22:23]
                                        ; implicit-def: $vgpr34_vgpr35
; %bb.238:
	s_andn2_saveexec_b64 s[4:5], s[4:5]
; %bb.239:
	v_lshl_add_u64 v[22:23], v[2:3], 0, v[34:35]
; %bb.240:
	s_or_b64 exec, exec, s[4:5]
	v_lshl_add_u64 v[22:23], v[22:23], 2, s[28:29]
	s_waitcnt lgkmcnt(4)
	global_store_dword v[22:23], v33, off
	s_or_b64 exec, exec, s[2:3]
	v_cmp_gt_u32_e32 vcc, s33, v30
	s_and_saveexec_b64 s[2:3], vcc
	s_cbranch_execnz .LBB2062_200
.LBB2062_241:
	s_or_b64 exec, exec, s[2:3]
	v_cmp_gt_u32_e32 vcc, s33, v28
	s_and_saveexec_b64 s[2:3], vcc
	s_cbranch_execz .LBB2062_205
.LBB2062_242:
	v_cmp_ge_u32_e32 vcc, v28, v26
                                        ; implicit-def: $vgpr22_vgpr23
	s_and_saveexec_b64 s[4:5], vcc
	s_xor_b64 s[4:5], exec, s[4:5]
; %bb.243:
	v_xor_b32_e32 v22, 0xffffedff, v0
	v_ashrrev_i32_e32 v23, 31, v22
	v_lshl_add_u64 v[22:23], v[6:7], 0, v[22:23]
                                        ; implicit-def: $vgpr28_vgpr29
; %bb.244:
	s_andn2_saveexec_b64 s[4:5], s[4:5]
; %bb.245:
	v_lshl_add_u64 v[22:23], v[2:3], 0, v[28:29]
; %bb.246:
	s_or_b64 exec, exec, s[4:5]
	v_lshl_add_u64 v[22:23], v[22:23], 2, s[28:29]
	s_waitcnt lgkmcnt(3)
	global_store_dword v[22:23], v21, off
	s_or_b64 exec, exec, s[2:3]
	v_cmp_gt_u32_e32 vcc, s33, v18
	s_and_saveexec_b64 s[2:3], vcc
	s_cbranch_execnz .LBB2062_206
.LBB2062_247:
	s_or_b64 exec, exec, s[2:3]
	v_cmp_gt_u32_e32 vcc, s33, v16
	s_and_saveexec_b64 s[2:3], vcc
	s_cbranch_execz .LBB2062_211
.LBB2062_248:
	v_cmp_ge_u32_e32 vcc, v16, v26
                                        ; implicit-def: $vgpr18_vgpr19
	s_and_saveexec_b64 s[4:5], vcc
	s_xor_b64 s[4:5], exec, s[4:5]
; %bb.249:
	v_xor_b32_e32 v16, 0xffffe9ff, v0
	v_ashrrev_i32_e32 v17, 31, v16
	v_lshl_add_u64 v[18:19], v[6:7], 0, v[16:17]
                                        ; implicit-def: $vgpr16_vgpr17
; %bb.250:
	s_andn2_saveexec_b64 s[4:5], s[4:5]
; %bb.251:
	v_lshl_add_u64 v[18:19], v[2:3], 0, v[16:17]
; %bb.252:
	s_or_b64 exec, exec, s[4:5]
	v_lshl_add_u64 v[16:17], v[18:19], 2, s[28:29]
	s_waitcnt lgkmcnt(2)
	global_store_dword v[16:17], v15, off
	s_or_b64 exec, exec, s[2:3]
	v_cmp_gt_u32_e32 vcc, s33, v12
	s_and_saveexec_b64 s[2:3], vcc
	s_cbranch_execnz .LBB2062_212
.LBB2062_253:
	s_or_b64 exec, exec, s[2:3]
	v_cmp_gt_u32_e32 vcc, s33, v10
	s_and_saveexec_b64 s[2:3], vcc
	s_cbranch_execz .LBB2062_259
.LBB2062_254:
	v_cmp_ge_u32_e32 vcc, v10, v26
                                        ; implicit-def: $vgpr12_vgpr13
	s_and_saveexec_b64 s[4:5], vcc
	s_xor_b64 s[4:5], exec, s[4:5]
; %bb.255:
	v_xor_b32_e32 v10, 0xffffe5ff, v0
	v_ashrrev_i32_e32 v11, 31, v10
	v_lshl_add_u64 v[12:13], v[6:7], 0, v[10:11]
                                        ; implicit-def: $vgpr10_vgpr11
; %bb.256:
	s_andn2_saveexec_b64 s[4:5], s[4:5]
; %bb.257:
	v_lshl_add_u64 v[12:13], v[2:3], 0, v[10:11]
; %bb.258:
	s_or_b64 exec, exec, s[4:5]
	v_lshl_add_u64 v[10:11], v[12:13], 2, s[28:29]
	s_waitcnt lgkmcnt(1)
	global_store_dword v[10:11], v9, off
.LBB2062_259:
	s_or_b64 exec, exec, s[2:3]
	v_cmp_gt_u32_e32 vcc, s33, v4
                                        ; implicit-def: $vgpr22_vgpr23
	s_and_saveexec_b64 s[2:3], vcc
	s_cbranch_execz .LBB2062_265
; %bb.260:
	v_cmp_ge_u32_e32 vcc, v4, v26
                                        ; implicit-def: $vgpr22_vgpr23
	s_and_saveexec_b64 s[4:5], vcc
	s_xor_b64 s[4:5], exec, s[4:5]
; %bb.261:
	v_xor_b32_e32 v0, 0xffffe3ff, v0
	v_ashrrev_i32_e32 v1, 31, v0
	v_lshl_add_u64 v[22:23], v[6:7], 0, v[0:1]
                                        ; implicit-def: $vgpr4_vgpr5
; %bb.262:
	s_andn2_saveexec_b64 s[4:5], s[4:5]
; %bb.263:
	v_lshl_add_u64 v[22:23], v[2:3], 0, v[4:5]
; %bb.264:
	s_or_b64 exec, exec, s[4:5]
	s_or_b64 s[0:1], s[0:1], exec
.LBB2062_265:
	s_or_b64 exec, exec, s[2:3]
	s_and_saveexec_b64 s[2:3], s[0:1]
	s_cbranch_execnz .LBB2062_172
.LBB2062_266:
	s_or_b64 exec, exec, s[2:3]
	s_and_b64 s[0:1], s[18:19], s[22:23]
	s_and_saveexec_b64 s[2:3], s[0:1]
	s_cbranch_execz .LBB2062_173
.LBB2062_267:
	v_mov_b32_e32 v4, 0
	v_lshl_add_u64 v[0:1], v[2:3], 0, v[26:27]
	global_store_dwordx2 v4, v[0:1], s[20:21]
	s_endpgm
	.section	.rodata,"a",@progbits
	.p2align	6, 0x0
	.amdhsa_kernel _ZN7rocprim17ROCPRIM_400000_NS6detail17trampoline_kernelINS0_14default_configENS1_25partition_config_selectorILNS1_17partition_subalgoE2EjNS0_10empty_typeEbEEZZNS1_14partition_implILS5_2ELb0ES3_jN6thrust23THRUST_200600_302600_NS6detail15normal_iteratorINSA_7pointerIjNSA_11hip_rocprim3tagENSA_11use_defaultESG_EEEEPS6_NSA_18transform_iteratorI7is_evenIjENSC_INSA_10device_ptrIjEEEESG_SG_EENS0_5tupleIJPjSJ_EEENSR_IJSJ_SJ_EEES6_PlJS6_EEE10hipError_tPvRmT3_T4_T5_T6_T7_T9_mT8_P12ihipStream_tbDpT10_ENKUlT_T0_E_clISt17integral_constantIbLb0EES1E_IbLb1EEEEDaS1A_S1B_EUlS1A_E_NS1_11comp_targetILNS1_3genE5ELNS1_11target_archE942ELNS1_3gpuE9ELNS1_3repE0EEENS1_30default_config_static_selectorELNS0_4arch9wavefront6targetE1EEEvT1_
		.amdhsa_group_segment_fixed_size 30728
		.amdhsa_private_segment_fixed_size 0
		.amdhsa_kernarg_size 144
		.amdhsa_user_sgpr_count 2
		.amdhsa_user_sgpr_dispatch_ptr 0
		.amdhsa_user_sgpr_queue_ptr 0
		.amdhsa_user_sgpr_kernarg_segment_ptr 1
		.amdhsa_user_sgpr_dispatch_id 0
		.amdhsa_user_sgpr_kernarg_preload_length 0
		.amdhsa_user_sgpr_kernarg_preload_offset 0
		.amdhsa_user_sgpr_private_segment_size 0
		.amdhsa_uses_dynamic_stack 0
		.amdhsa_enable_private_segment 0
		.amdhsa_system_sgpr_workgroup_id_x 1
		.amdhsa_system_sgpr_workgroup_id_y 0
		.amdhsa_system_sgpr_workgroup_id_z 0
		.amdhsa_system_sgpr_workgroup_info 0
		.amdhsa_system_vgpr_workitem_id 0
		.amdhsa_next_free_vgpr 67
		.amdhsa_next_free_sgpr 46
		.amdhsa_accum_offset 68
		.amdhsa_reserve_vcc 1
		.amdhsa_float_round_mode_32 0
		.amdhsa_float_round_mode_16_64 0
		.amdhsa_float_denorm_mode_32 3
		.amdhsa_float_denorm_mode_16_64 3
		.amdhsa_dx10_clamp 1
		.amdhsa_ieee_mode 1
		.amdhsa_fp16_overflow 0
		.amdhsa_tg_split 0
		.amdhsa_exception_fp_ieee_invalid_op 0
		.amdhsa_exception_fp_denorm_src 0
		.amdhsa_exception_fp_ieee_div_zero 0
		.amdhsa_exception_fp_ieee_overflow 0
		.amdhsa_exception_fp_ieee_underflow 0
		.amdhsa_exception_fp_ieee_inexact 0
		.amdhsa_exception_int_div_zero 0
	.end_amdhsa_kernel
	.section	.text._ZN7rocprim17ROCPRIM_400000_NS6detail17trampoline_kernelINS0_14default_configENS1_25partition_config_selectorILNS1_17partition_subalgoE2EjNS0_10empty_typeEbEEZZNS1_14partition_implILS5_2ELb0ES3_jN6thrust23THRUST_200600_302600_NS6detail15normal_iteratorINSA_7pointerIjNSA_11hip_rocprim3tagENSA_11use_defaultESG_EEEEPS6_NSA_18transform_iteratorI7is_evenIjENSC_INSA_10device_ptrIjEEEESG_SG_EENS0_5tupleIJPjSJ_EEENSR_IJSJ_SJ_EEES6_PlJS6_EEE10hipError_tPvRmT3_T4_T5_T6_T7_T9_mT8_P12ihipStream_tbDpT10_ENKUlT_T0_E_clISt17integral_constantIbLb0EES1E_IbLb1EEEEDaS1A_S1B_EUlS1A_E_NS1_11comp_targetILNS1_3genE5ELNS1_11target_archE942ELNS1_3gpuE9ELNS1_3repE0EEENS1_30default_config_static_selectorELNS0_4arch9wavefront6targetE1EEEvT1_,"axG",@progbits,_ZN7rocprim17ROCPRIM_400000_NS6detail17trampoline_kernelINS0_14default_configENS1_25partition_config_selectorILNS1_17partition_subalgoE2EjNS0_10empty_typeEbEEZZNS1_14partition_implILS5_2ELb0ES3_jN6thrust23THRUST_200600_302600_NS6detail15normal_iteratorINSA_7pointerIjNSA_11hip_rocprim3tagENSA_11use_defaultESG_EEEEPS6_NSA_18transform_iteratorI7is_evenIjENSC_INSA_10device_ptrIjEEEESG_SG_EENS0_5tupleIJPjSJ_EEENSR_IJSJ_SJ_EEES6_PlJS6_EEE10hipError_tPvRmT3_T4_T5_T6_T7_T9_mT8_P12ihipStream_tbDpT10_ENKUlT_T0_E_clISt17integral_constantIbLb0EES1E_IbLb1EEEEDaS1A_S1B_EUlS1A_E_NS1_11comp_targetILNS1_3genE5ELNS1_11target_archE942ELNS1_3gpuE9ELNS1_3repE0EEENS1_30default_config_static_selectorELNS0_4arch9wavefront6targetE1EEEvT1_,comdat
.Lfunc_end2062:
	.size	_ZN7rocprim17ROCPRIM_400000_NS6detail17trampoline_kernelINS0_14default_configENS1_25partition_config_selectorILNS1_17partition_subalgoE2EjNS0_10empty_typeEbEEZZNS1_14partition_implILS5_2ELb0ES3_jN6thrust23THRUST_200600_302600_NS6detail15normal_iteratorINSA_7pointerIjNSA_11hip_rocprim3tagENSA_11use_defaultESG_EEEEPS6_NSA_18transform_iteratorI7is_evenIjENSC_INSA_10device_ptrIjEEEESG_SG_EENS0_5tupleIJPjSJ_EEENSR_IJSJ_SJ_EEES6_PlJS6_EEE10hipError_tPvRmT3_T4_T5_T6_T7_T9_mT8_P12ihipStream_tbDpT10_ENKUlT_T0_E_clISt17integral_constantIbLb0EES1E_IbLb1EEEEDaS1A_S1B_EUlS1A_E_NS1_11comp_targetILNS1_3genE5ELNS1_11target_archE942ELNS1_3gpuE9ELNS1_3repE0EEENS1_30default_config_static_selectorELNS0_4arch9wavefront6targetE1EEEvT1_, .Lfunc_end2062-_ZN7rocprim17ROCPRIM_400000_NS6detail17trampoline_kernelINS0_14default_configENS1_25partition_config_selectorILNS1_17partition_subalgoE2EjNS0_10empty_typeEbEEZZNS1_14partition_implILS5_2ELb0ES3_jN6thrust23THRUST_200600_302600_NS6detail15normal_iteratorINSA_7pointerIjNSA_11hip_rocprim3tagENSA_11use_defaultESG_EEEEPS6_NSA_18transform_iteratorI7is_evenIjENSC_INSA_10device_ptrIjEEEESG_SG_EENS0_5tupleIJPjSJ_EEENSR_IJSJ_SJ_EEES6_PlJS6_EEE10hipError_tPvRmT3_T4_T5_T6_T7_T9_mT8_P12ihipStream_tbDpT10_ENKUlT_T0_E_clISt17integral_constantIbLb0EES1E_IbLb1EEEEDaS1A_S1B_EUlS1A_E_NS1_11comp_targetILNS1_3genE5ELNS1_11target_archE942ELNS1_3gpuE9ELNS1_3repE0EEENS1_30default_config_static_selectorELNS0_4arch9wavefront6targetE1EEEvT1_
                                        ; -- End function
	.section	.AMDGPU.csdata,"",@progbits
; Kernel info:
; codeLenInByte = 8680
; NumSgprs: 52
; NumVgprs: 67
; NumAgprs: 0
; TotalNumVgprs: 67
; ScratchSize: 0
; MemoryBound: 0
; FloatMode: 240
; IeeeMode: 1
; LDSByteSize: 30728 bytes/workgroup (compile time only)
; SGPRBlocks: 6
; VGPRBlocks: 8
; NumSGPRsForWavesPerEU: 52
; NumVGPRsForWavesPerEU: 67
; AccumOffset: 68
; Occupancy: 4
; WaveLimiterHint : 1
; COMPUTE_PGM_RSRC2:SCRATCH_EN: 0
; COMPUTE_PGM_RSRC2:USER_SGPR: 2
; COMPUTE_PGM_RSRC2:TRAP_HANDLER: 0
; COMPUTE_PGM_RSRC2:TGID_X_EN: 1
; COMPUTE_PGM_RSRC2:TGID_Y_EN: 0
; COMPUTE_PGM_RSRC2:TGID_Z_EN: 0
; COMPUTE_PGM_RSRC2:TIDIG_COMP_CNT: 0
; COMPUTE_PGM_RSRC3_GFX90A:ACCUM_OFFSET: 16
; COMPUTE_PGM_RSRC3_GFX90A:TG_SPLIT: 0
	.section	.text._ZN7rocprim17ROCPRIM_400000_NS6detail17trampoline_kernelINS0_14default_configENS1_25partition_config_selectorILNS1_17partition_subalgoE2EjNS0_10empty_typeEbEEZZNS1_14partition_implILS5_2ELb0ES3_jN6thrust23THRUST_200600_302600_NS6detail15normal_iteratorINSA_7pointerIjNSA_11hip_rocprim3tagENSA_11use_defaultESG_EEEEPS6_NSA_18transform_iteratorI7is_evenIjENSC_INSA_10device_ptrIjEEEESG_SG_EENS0_5tupleIJPjSJ_EEENSR_IJSJ_SJ_EEES6_PlJS6_EEE10hipError_tPvRmT3_T4_T5_T6_T7_T9_mT8_P12ihipStream_tbDpT10_ENKUlT_T0_E_clISt17integral_constantIbLb0EES1E_IbLb1EEEEDaS1A_S1B_EUlS1A_E_NS1_11comp_targetILNS1_3genE4ELNS1_11target_archE910ELNS1_3gpuE8ELNS1_3repE0EEENS1_30default_config_static_selectorELNS0_4arch9wavefront6targetE1EEEvT1_,"axG",@progbits,_ZN7rocprim17ROCPRIM_400000_NS6detail17trampoline_kernelINS0_14default_configENS1_25partition_config_selectorILNS1_17partition_subalgoE2EjNS0_10empty_typeEbEEZZNS1_14partition_implILS5_2ELb0ES3_jN6thrust23THRUST_200600_302600_NS6detail15normal_iteratorINSA_7pointerIjNSA_11hip_rocprim3tagENSA_11use_defaultESG_EEEEPS6_NSA_18transform_iteratorI7is_evenIjENSC_INSA_10device_ptrIjEEEESG_SG_EENS0_5tupleIJPjSJ_EEENSR_IJSJ_SJ_EEES6_PlJS6_EEE10hipError_tPvRmT3_T4_T5_T6_T7_T9_mT8_P12ihipStream_tbDpT10_ENKUlT_T0_E_clISt17integral_constantIbLb0EES1E_IbLb1EEEEDaS1A_S1B_EUlS1A_E_NS1_11comp_targetILNS1_3genE4ELNS1_11target_archE910ELNS1_3gpuE8ELNS1_3repE0EEENS1_30default_config_static_selectorELNS0_4arch9wavefront6targetE1EEEvT1_,comdat
	.protected	_ZN7rocprim17ROCPRIM_400000_NS6detail17trampoline_kernelINS0_14default_configENS1_25partition_config_selectorILNS1_17partition_subalgoE2EjNS0_10empty_typeEbEEZZNS1_14partition_implILS5_2ELb0ES3_jN6thrust23THRUST_200600_302600_NS6detail15normal_iteratorINSA_7pointerIjNSA_11hip_rocprim3tagENSA_11use_defaultESG_EEEEPS6_NSA_18transform_iteratorI7is_evenIjENSC_INSA_10device_ptrIjEEEESG_SG_EENS0_5tupleIJPjSJ_EEENSR_IJSJ_SJ_EEES6_PlJS6_EEE10hipError_tPvRmT3_T4_T5_T6_T7_T9_mT8_P12ihipStream_tbDpT10_ENKUlT_T0_E_clISt17integral_constantIbLb0EES1E_IbLb1EEEEDaS1A_S1B_EUlS1A_E_NS1_11comp_targetILNS1_3genE4ELNS1_11target_archE910ELNS1_3gpuE8ELNS1_3repE0EEENS1_30default_config_static_selectorELNS0_4arch9wavefront6targetE1EEEvT1_ ; -- Begin function _ZN7rocprim17ROCPRIM_400000_NS6detail17trampoline_kernelINS0_14default_configENS1_25partition_config_selectorILNS1_17partition_subalgoE2EjNS0_10empty_typeEbEEZZNS1_14partition_implILS5_2ELb0ES3_jN6thrust23THRUST_200600_302600_NS6detail15normal_iteratorINSA_7pointerIjNSA_11hip_rocprim3tagENSA_11use_defaultESG_EEEEPS6_NSA_18transform_iteratorI7is_evenIjENSC_INSA_10device_ptrIjEEEESG_SG_EENS0_5tupleIJPjSJ_EEENSR_IJSJ_SJ_EEES6_PlJS6_EEE10hipError_tPvRmT3_T4_T5_T6_T7_T9_mT8_P12ihipStream_tbDpT10_ENKUlT_T0_E_clISt17integral_constantIbLb0EES1E_IbLb1EEEEDaS1A_S1B_EUlS1A_E_NS1_11comp_targetILNS1_3genE4ELNS1_11target_archE910ELNS1_3gpuE8ELNS1_3repE0EEENS1_30default_config_static_selectorELNS0_4arch9wavefront6targetE1EEEvT1_
	.globl	_ZN7rocprim17ROCPRIM_400000_NS6detail17trampoline_kernelINS0_14default_configENS1_25partition_config_selectorILNS1_17partition_subalgoE2EjNS0_10empty_typeEbEEZZNS1_14partition_implILS5_2ELb0ES3_jN6thrust23THRUST_200600_302600_NS6detail15normal_iteratorINSA_7pointerIjNSA_11hip_rocprim3tagENSA_11use_defaultESG_EEEEPS6_NSA_18transform_iteratorI7is_evenIjENSC_INSA_10device_ptrIjEEEESG_SG_EENS0_5tupleIJPjSJ_EEENSR_IJSJ_SJ_EEES6_PlJS6_EEE10hipError_tPvRmT3_T4_T5_T6_T7_T9_mT8_P12ihipStream_tbDpT10_ENKUlT_T0_E_clISt17integral_constantIbLb0EES1E_IbLb1EEEEDaS1A_S1B_EUlS1A_E_NS1_11comp_targetILNS1_3genE4ELNS1_11target_archE910ELNS1_3gpuE8ELNS1_3repE0EEENS1_30default_config_static_selectorELNS0_4arch9wavefront6targetE1EEEvT1_
	.p2align	8
	.type	_ZN7rocprim17ROCPRIM_400000_NS6detail17trampoline_kernelINS0_14default_configENS1_25partition_config_selectorILNS1_17partition_subalgoE2EjNS0_10empty_typeEbEEZZNS1_14partition_implILS5_2ELb0ES3_jN6thrust23THRUST_200600_302600_NS6detail15normal_iteratorINSA_7pointerIjNSA_11hip_rocprim3tagENSA_11use_defaultESG_EEEEPS6_NSA_18transform_iteratorI7is_evenIjENSC_INSA_10device_ptrIjEEEESG_SG_EENS0_5tupleIJPjSJ_EEENSR_IJSJ_SJ_EEES6_PlJS6_EEE10hipError_tPvRmT3_T4_T5_T6_T7_T9_mT8_P12ihipStream_tbDpT10_ENKUlT_T0_E_clISt17integral_constantIbLb0EES1E_IbLb1EEEEDaS1A_S1B_EUlS1A_E_NS1_11comp_targetILNS1_3genE4ELNS1_11target_archE910ELNS1_3gpuE8ELNS1_3repE0EEENS1_30default_config_static_selectorELNS0_4arch9wavefront6targetE1EEEvT1_,@function
_ZN7rocprim17ROCPRIM_400000_NS6detail17trampoline_kernelINS0_14default_configENS1_25partition_config_selectorILNS1_17partition_subalgoE2EjNS0_10empty_typeEbEEZZNS1_14partition_implILS5_2ELb0ES3_jN6thrust23THRUST_200600_302600_NS6detail15normal_iteratorINSA_7pointerIjNSA_11hip_rocprim3tagENSA_11use_defaultESG_EEEEPS6_NSA_18transform_iteratorI7is_evenIjENSC_INSA_10device_ptrIjEEEESG_SG_EENS0_5tupleIJPjSJ_EEENSR_IJSJ_SJ_EEES6_PlJS6_EEE10hipError_tPvRmT3_T4_T5_T6_T7_T9_mT8_P12ihipStream_tbDpT10_ENKUlT_T0_E_clISt17integral_constantIbLb0EES1E_IbLb1EEEEDaS1A_S1B_EUlS1A_E_NS1_11comp_targetILNS1_3genE4ELNS1_11target_archE910ELNS1_3gpuE8ELNS1_3repE0EEENS1_30default_config_static_selectorELNS0_4arch9wavefront6targetE1EEEvT1_: ; @_ZN7rocprim17ROCPRIM_400000_NS6detail17trampoline_kernelINS0_14default_configENS1_25partition_config_selectorILNS1_17partition_subalgoE2EjNS0_10empty_typeEbEEZZNS1_14partition_implILS5_2ELb0ES3_jN6thrust23THRUST_200600_302600_NS6detail15normal_iteratorINSA_7pointerIjNSA_11hip_rocprim3tagENSA_11use_defaultESG_EEEEPS6_NSA_18transform_iteratorI7is_evenIjENSC_INSA_10device_ptrIjEEEESG_SG_EENS0_5tupleIJPjSJ_EEENSR_IJSJ_SJ_EEES6_PlJS6_EEE10hipError_tPvRmT3_T4_T5_T6_T7_T9_mT8_P12ihipStream_tbDpT10_ENKUlT_T0_E_clISt17integral_constantIbLb0EES1E_IbLb1EEEEDaS1A_S1B_EUlS1A_E_NS1_11comp_targetILNS1_3genE4ELNS1_11target_archE910ELNS1_3gpuE8ELNS1_3repE0EEENS1_30default_config_static_selectorELNS0_4arch9wavefront6targetE1EEEvT1_
; %bb.0:
	.section	.rodata,"a",@progbits
	.p2align	6, 0x0
	.amdhsa_kernel _ZN7rocprim17ROCPRIM_400000_NS6detail17trampoline_kernelINS0_14default_configENS1_25partition_config_selectorILNS1_17partition_subalgoE2EjNS0_10empty_typeEbEEZZNS1_14partition_implILS5_2ELb0ES3_jN6thrust23THRUST_200600_302600_NS6detail15normal_iteratorINSA_7pointerIjNSA_11hip_rocprim3tagENSA_11use_defaultESG_EEEEPS6_NSA_18transform_iteratorI7is_evenIjENSC_INSA_10device_ptrIjEEEESG_SG_EENS0_5tupleIJPjSJ_EEENSR_IJSJ_SJ_EEES6_PlJS6_EEE10hipError_tPvRmT3_T4_T5_T6_T7_T9_mT8_P12ihipStream_tbDpT10_ENKUlT_T0_E_clISt17integral_constantIbLb0EES1E_IbLb1EEEEDaS1A_S1B_EUlS1A_E_NS1_11comp_targetILNS1_3genE4ELNS1_11target_archE910ELNS1_3gpuE8ELNS1_3repE0EEENS1_30default_config_static_selectorELNS0_4arch9wavefront6targetE1EEEvT1_
		.amdhsa_group_segment_fixed_size 0
		.amdhsa_private_segment_fixed_size 0
		.amdhsa_kernarg_size 144
		.amdhsa_user_sgpr_count 2
		.amdhsa_user_sgpr_dispatch_ptr 0
		.amdhsa_user_sgpr_queue_ptr 0
		.amdhsa_user_sgpr_kernarg_segment_ptr 1
		.amdhsa_user_sgpr_dispatch_id 0
		.amdhsa_user_sgpr_kernarg_preload_length 0
		.amdhsa_user_sgpr_kernarg_preload_offset 0
		.amdhsa_user_sgpr_private_segment_size 0
		.amdhsa_uses_dynamic_stack 0
		.amdhsa_enable_private_segment 0
		.amdhsa_system_sgpr_workgroup_id_x 1
		.amdhsa_system_sgpr_workgroup_id_y 0
		.amdhsa_system_sgpr_workgroup_id_z 0
		.amdhsa_system_sgpr_workgroup_info 0
		.amdhsa_system_vgpr_workitem_id 0
		.amdhsa_next_free_vgpr 1
		.amdhsa_next_free_sgpr 0
		.amdhsa_accum_offset 4
		.amdhsa_reserve_vcc 0
		.amdhsa_float_round_mode_32 0
		.amdhsa_float_round_mode_16_64 0
		.amdhsa_float_denorm_mode_32 3
		.amdhsa_float_denorm_mode_16_64 3
		.amdhsa_dx10_clamp 1
		.amdhsa_ieee_mode 1
		.amdhsa_fp16_overflow 0
		.amdhsa_tg_split 0
		.amdhsa_exception_fp_ieee_invalid_op 0
		.amdhsa_exception_fp_denorm_src 0
		.amdhsa_exception_fp_ieee_div_zero 0
		.amdhsa_exception_fp_ieee_overflow 0
		.amdhsa_exception_fp_ieee_underflow 0
		.amdhsa_exception_fp_ieee_inexact 0
		.amdhsa_exception_int_div_zero 0
	.end_amdhsa_kernel
	.section	.text._ZN7rocprim17ROCPRIM_400000_NS6detail17trampoline_kernelINS0_14default_configENS1_25partition_config_selectorILNS1_17partition_subalgoE2EjNS0_10empty_typeEbEEZZNS1_14partition_implILS5_2ELb0ES3_jN6thrust23THRUST_200600_302600_NS6detail15normal_iteratorINSA_7pointerIjNSA_11hip_rocprim3tagENSA_11use_defaultESG_EEEEPS6_NSA_18transform_iteratorI7is_evenIjENSC_INSA_10device_ptrIjEEEESG_SG_EENS0_5tupleIJPjSJ_EEENSR_IJSJ_SJ_EEES6_PlJS6_EEE10hipError_tPvRmT3_T4_T5_T6_T7_T9_mT8_P12ihipStream_tbDpT10_ENKUlT_T0_E_clISt17integral_constantIbLb0EES1E_IbLb1EEEEDaS1A_S1B_EUlS1A_E_NS1_11comp_targetILNS1_3genE4ELNS1_11target_archE910ELNS1_3gpuE8ELNS1_3repE0EEENS1_30default_config_static_selectorELNS0_4arch9wavefront6targetE1EEEvT1_,"axG",@progbits,_ZN7rocprim17ROCPRIM_400000_NS6detail17trampoline_kernelINS0_14default_configENS1_25partition_config_selectorILNS1_17partition_subalgoE2EjNS0_10empty_typeEbEEZZNS1_14partition_implILS5_2ELb0ES3_jN6thrust23THRUST_200600_302600_NS6detail15normal_iteratorINSA_7pointerIjNSA_11hip_rocprim3tagENSA_11use_defaultESG_EEEEPS6_NSA_18transform_iteratorI7is_evenIjENSC_INSA_10device_ptrIjEEEESG_SG_EENS0_5tupleIJPjSJ_EEENSR_IJSJ_SJ_EEES6_PlJS6_EEE10hipError_tPvRmT3_T4_T5_T6_T7_T9_mT8_P12ihipStream_tbDpT10_ENKUlT_T0_E_clISt17integral_constantIbLb0EES1E_IbLb1EEEEDaS1A_S1B_EUlS1A_E_NS1_11comp_targetILNS1_3genE4ELNS1_11target_archE910ELNS1_3gpuE8ELNS1_3repE0EEENS1_30default_config_static_selectorELNS0_4arch9wavefront6targetE1EEEvT1_,comdat
.Lfunc_end2063:
	.size	_ZN7rocprim17ROCPRIM_400000_NS6detail17trampoline_kernelINS0_14default_configENS1_25partition_config_selectorILNS1_17partition_subalgoE2EjNS0_10empty_typeEbEEZZNS1_14partition_implILS5_2ELb0ES3_jN6thrust23THRUST_200600_302600_NS6detail15normal_iteratorINSA_7pointerIjNSA_11hip_rocprim3tagENSA_11use_defaultESG_EEEEPS6_NSA_18transform_iteratorI7is_evenIjENSC_INSA_10device_ptrIjEEEESG_SG_EENS0_5tupleIJPjSJ_EEENSR_IJSJ_SJ_EEES6_PlJS6_EEE10hipError_tPvRmT3_T4_T5_T6_T7_T9_mT8_P12ihipStream_tbDpT10_ENKUlT_T0_E_clISt17integral_constantIbLb0EES1E_IbLb1EEEEDaS1A_S1B_EUlS1A_E_NS1_11comp_targetILNS1_3genE4ELNS1_11target_archE910ELNS1_3gpuE8ELNS1_3repE0EEENS1_30default_config_static_selectorELNS0_4arch9wavefront6targetE1EEEvT1_, .Lfunc_end2063-_ZN7rocprim17ROCPRIM_400000_NS6detail17trampoline_kernelINS0_14default_configENS1_25partition_config_selectorILNS1_17partition_subalgoE2EjNS0_10empty_typeEbEEZZNS1_14partition_implILS5_2ELb0ES3_jN6thrust23THRUST_200600_302600_NS6detail15normal_iteratorINSA_7pointerIjNSA_11hip_rocprim3tagENSA_11use_defaultESG_EEEEPS6_NSA_18transform_iteratorI7is_evenIjENSC_INSA_10device_ptrIjEEEESG_SG_EENS0_5tupleIJPjSJ_EEENSR_IJSJ_SJ_EEES6_PlJS6_EEE10hipError_tPvRmT3_T4_T5_T6_T7_T9_mT8_P12ihipStream_tbDpT10_ENKUlT_T0_E_clISt17integral_constantIbLb0EES1E_IbLb1EEEEDaS1A_S1B_EUlS1A_E_NS1_11comp_targetILNS1_3genE4ELNS1_11target_archE910ELNS1_3gpuE8ELNS1_3repE0EEENS1_30default_config_static_selectorELNS0_4arch9wavefront6targetE1EEEvT1_
                                        ; -- End function
	.section	.AMDGPU.csdata,"",@progbits
; Kernel info:
; codeLenInByte = 0
; NumSgprs: 6
; NumVgprs: 0
; NumAgprs: 0
; TotalNumVgprs: 0
; ScratchSize: 0
; MemoryBound: 0
; FloatMode: 240
; IeeeMode: 1
; LDSByteSize: 0 bytes/workgroup (compile time only)
; SGPRBlocks: 0
; VGPRBlocks: 0
; NumSGPRsForWavesPerEU: 6
; NumVGPRsForWavesPerEU: 1
; AccumOffset: 4
; Occupancy: 8
; WaveLimiterHint : 0
; COMPUTE_PGM_RSRC2:SCRATCH_EN: 0
; COMPUTE_PGM_RSRC2:USER_SGPR: 2
; COMPUTE_PGM_RSRC2:TRAP_HANDLER: 0
; COMPUTE_PGM_RSRC2:TGID_X_EN: 1
; COMPUTE_PGM_RSRC2:TGID_Y_EN: 0
; COMPUTE_PGM_RSRC2:TGID_Z_EN: 0
; COMPUTE_PGM_RSRC2:TIDIG_COMP_CNT: 0
; COMPUTE_PGM_RSRC3_GFX90A:ACCUM_OFFSET: 0
; COMPUTE_PGM_RSRC3_GFX90A:TG_SPLIT: 0
	.section	.text._ZN7rocprim17ROCPRIM_400000_NS6detail17trampoline_kernelINS0_14default_configENS1_25partition_config_selectorILNS1_17partition_subalgoE2EjNS0_10empty_typeEbEEZZNS1_14partition_implILS5_2ELb0ES3_jN6thrust23THRUST_200600_302600_NS6detail15normal_iteratorINSA_7pointerIjNSA_11hip_rocprim3tagENSA_11use_defaultESG_EEEEPS6_NSA_18transform_iteratorI7is_evenIjENSC_INSA_10device_ptrIjEEEESG_SG_EENS0_5tupleIJPjSJ_EEENSR_IJSJ_SJ_EEES6_PlJS6_EEE10hipError_tPvRmT3_T4_T5_T6_T7_T9_mT8_P12ihipStream_tbDpT10_ENKUlT_T0_E_clISt17integral_constantIbLb0EES1E_IbLb1EEEEDaS1A_S1B_EUlS1A_E_NS1_11comp_targetILNS1_3genE3ELNS1_11target_archE908ELNS1_3gpuE7ELNS1_3repE0EEENS1_30default_config_static_selectorELNS0_4arch9wavefront6targetE1EEEvT1_,"axG",@progbits,_ZN7rocprim17ROCPRIM_400000_NS6detail17trampoline_kernelINS0_14default_configENS1_25partition_config_selectorILNS1_17partition_subalgoE2EjNS0_10empty_typeEbEEZZNS1_14partition_implILS5_2ELb0ES3_jN6thrust23THRUST_200600_302600_NS6detail15normal_iteratorINSA_7pointerIjNSA_11hip_rocprim3tagENSA_11use_defaultESG_EEEEPS6_NSA_18transform_iteratorI7is_evenIjENSC_INSA_10device_ptrIjEEEESG_SG_EENS0_5tupleIJPjSJ_EEENSR_IJSJ_SJ_EEES6_PlJS6_EEE10hipError_tPvRmT3_T4_T5_T6_T7_T9_mT8_P12ihipStream_tbDpT10_ENKUlT_T0_E_clISt17integral_constantIbLb0EES1E_IbLb1EEEEDaS1A_S1B_EUlS1A_E_NS1_11comp_targetILNS1_3genE3ELNS1_11target_archE908ELNS1_3gpuE7ELNS1_3repE0EEENS1_30default_config_static_selectorELNS0_4arch9wavefront6targetE1EEEvT1_,comdat
	.protected	_ZN7rocprim17ROCPRIM_400000_NS6detail17trampoline_kernelINS0_14default_configENS1_25partition_config_selectorILNS1_17partition_subalgoE2EjNS0_10empty_typeEbEEZZNS1_14partition_implILS5_2ELb0ES3_jN6thrust23THRUST_200600_302600_NS6detail15normal_iteratorINSA_7pointerIjNSA_11hip_rocprim3tagENSA_11use_defaultESG_EEEEPS6_NSA_18transform_iteratorI7is_evenIjENSC_INSA_10device_ptrIjEEEESG_SG_EENS0_5tupleIJPjSJ_EEENSR_IJSJ_SJ_EEES6_PlJS6_EEE10hipError_tPvRmT3_T4_T5_T6_T7_T9_mT8_P12ihipStream_tbDpT10_ENKUlT_T0_E_clISt17integral_constantIbLb0EES1E_IbLb1EEEEDaS1A_S1B_EUlS1A_E_NS1_11comp_targetILNS1_3genE3ELNS1_11target_archE908ELNS1_3gpuE7ELNS1_3repE0EEENS1_30default_config_static_selectorELNS0_4arch9wavefront6targetE1EEEvT1_ ; -- Begin function _ZN7rocprim17ROCPRIM_400000_NS6detail17trampoline_kernelINS0_14default_configENS1_25partition_config_selectorILNS1_17partition_subalgoE2EjNS0_10empty_typeEbEEZZNS1_14partition_implILS5_2ELb0ES3_jN6thrust23THRUST_200600_302600_NS6detail15normal_iteratorINSA_7pointerIjNSA_11hip_rocprim3tagENSA_11use_defaultESG_EEEEPS6_NSA_18transform_iteratorI7is_evenIjENSC_INSA_10device_ptrIjEEEESG_SG_EENS0_5tupleIJPjSJ_EEENSR_IJSJ_SJ_EEES6_PlJS6_EEE10hipError_tPvRmT3_T4_T5_T6_T7_T9_mT8_P12ihipStream_tbDpT10_ENKUlT_T0_E_clISt17integral_constantIbLb0EES1E_IbLb1EEEEDaS1A_S1B_EUlS1A_E_NS1_11comp_targetILNS1_3genE3ELNS1_11target_archE908ELNS1_3gpuE7ELNS1_3repE0EEENS1_30default_config_static_selectorELNS0_4arch9wavefront6targetE1EEEvT1_
	.globl	_ZN7rocprim17ROCPRIM_400000_NS6detail17trampoline_kernelINS0_14default_configENS1_25partition_config_selectorILNS1_17partition_subalgoE2EjNS0_10empty_typeEbEEZZNS1_14partition_implILS5_2ELb0ES3_jN6thrust23THRUST_200600_302600_NS6detail15normal_iteratorINSA_7pointerIjNSA_11hip_rocprim3tagENSA_11use_defaultESG_EEEEPS6_NSA_18transform_iteratorI7is_evenIjENSC_INSA_10device_ptrIjEEEESG_SG_EENS0_5tupleIJPjSJ_EEENSR_IJSJ_SJ_EEES6_PlJS6_EEE10hipError_tPvRmT3_T4_T5_T6_T7_T9_mT8_P12ihipStream_tbDpT10_ENKUlT_T0_E_clISt17integral_constantIbLb0EES1E_IbLb1EEEEDaS1A_S1B_EUlS1A_E_NS1_11comp_targetILNS1_3genE3ELNS1_11target_archE908ELNS1_3gpuE7ELNS1_3repE0EEENS1_30default_config_static_selectorELNS0_4arch9wavefront6targetE1EEEvT1_
	.p2align	8
	.type	_ZN7rocprim17ROCPRIM_400000_NS6detail17trampoline_kernelINS0_14default_configENS1_25partition_config_selectorILNS1_17partition_subalgoE2EjNS0_10empty_typeEbEEZZNS1_14partition_implILS5_2ELb0ES3_jN6thrust23THRUST_200600_302600_NS6detail15normal_iteratorINSA_7pointerIjNSA_11hip_rocprim3tagENSA_11use_defaultESG_EEEEPS6_NSA_18transform_iteratorI7is_evenIjENSC_INSA_10device_ptrIjEEEESG_SG_EENS0_5tupleIJPjSJ_EEENSR_IJSJ_SJ_EEES6_PlJS6_EEE10hipError_tPvRmT3_T4_T5_T6_T7_T9_mT8_P12ihipStream_tbDpT10_ENKUlT_T0_E_clISt17integral_constantIbLb0EES1E_IbLb1EEEEDaS1A_S1B_EUlS1A_E_NS1_11comp_targetILNS1_3genE3ELNS1_11target_archE908ELNS1_3gpuE7ELNS1_3repE0EEENS1_30default_config_static_selectorELNS0_4arch9wavefront6targetE1EEEvT1_,@function
_ZN7rocprim17ROCPRIM_400000_NS6detail17trampoline_kernelINS0_14default_configENS1_25partition_config_selectorILNS1_17partition_subalgoE2EjNS0_10empty_typeEbEEZZNS1_14partition_implILS5_2ELb0ES3_jN6thrust23THRUST_200600_302600_NS6detail15normal_iteratorINSA_7pointerIjNSA_11hip_rocprim3tagENSA_11use_defaultESG_EEEEPS6_NSA_18transform_iteratorI7is_evenIjENSC_INSA_10device_ptrIjEEEESG_SG_EENS0_5tupleIJPjSJ_EEENSR_IJSJ_SJ_EEES6_PlJS6_EEE10hipError_tPvRmT3_T4_T5_T6_T7_T9_mT8_P12ihipStream_tbDpT10_ENKUlT_T0_E_clISt17integral_constantIbLb0EES1E_IbLb1EEEEDaS1A_S1B_EUlS1A_E_NS1_11comp_targetILNS1_3genE3ELNS1_11target_archE908ELNS1_3gpuE7ELNS1_3repE0EEENS1_30default_config_static_selectorELNS0_4arch9wavefront6targetE1EEEvT1_: ; @_ZN7rocprim17ROCPRIM_400000_NS6detail17trampoline_kernelINS0_14default_configENS1_25partition_config_selectorILNS1_17partition_subalgoE2EjNS0_10empty_typeEbEEZZNS1_14partition_implILS5_2ELb0ES3_jN6thrust23THRUST_200600_302600_NS6detail15normal_iteratorINSA_7pointerIjNSA_11hip_rocprim3tagENSA_11use_defaultESG_EEEEPS6_NSA_18transform_iteratorI7is_evenIjENSC_INSA_10device_ptrIjEEEESG_SG_EENS0_5tupleIJPjSJ_EEENSR_IJSJ_SJ_EEES6_PlJS6_EEE10hipError_tPvRmT3_T4_T5_T6_T7_T9_mT8_P12ihipStream_tbDpT10_ENKUlT_T0_E_clISt17integral_constantIbLb0EES1E_IbLb1EEEEDaS1A_S1B_EUlS1A_E_NS1_11comp_targetILNS1_3genE3ELNS1_11target_archE908ELNS1_3gpuE7ELNS1_3repE0EEENS1_30default_config_static_selectorELNS0_4arch9wavefront6targetE1EEEvT1_
; %bb.0:
	.section	.rodata,"a",@progbits
	.p2align	6, 0x0
	.amdhsa_kernel _ZN7rocprim17ROCPRIM_400000_NS6detail17trampoline_kernelINS0_14default_configENS1_25partition_config_selectorILNS1_17partition_subalgoE2EjNS0_10empty_typeEbEEZZNS1_14partition_implILS5_2ELb0ES3_jN6thrust23THRUST_200600_302600_NS6detail15normal_iteratorINSA_7pointerIjNSA_11hip_rocprim3tagENSA_11use_defaultESG_EEEEPS6_NSA_18transform_iteratorI7is_evenIjENSC_INSA_10device_ptrIjEEEESG_SG_EENS0_5tupleIJPjSJ_EEENSR_IJSJ_SJ_EEES6_PlJS6_EEE10hipError_tPvRmT3_T4_T5_T6_T7_T9_mT8_P12ihipStream_tbDpT10_ENKUlT_T0_E_clISt17integral_constantIbLb0EES1E_IbLb1EEEEDaS1A_S1B_EUlS1A_E_NS1_11comp_targetILNS1_3genE3ELNS1_11target_archE908ELNS1_3gpuE7ELNS1_3repE0EEENS1_30default_config_static_selectorELNS0_4arch9wavefront6targetE1EEEvT1_
		.amdhsa_group_segment_fixed_size 0
		.amdhsa_private_segment_fixed_size 0
		.amdhsa_kernarg_size 144
		.amdhsa_user_sgpr_count 2
		.amdhsa_user_sgpr_dispatch_ptr 0
		.amdhsa_user_sgpr_queue_ptr 0
		.amdhsa_user_sgpr_kernarg_segment_ptr 1
		.amdhsa_user_sgpr_dispatch_id 0
		.amdhsa_user_sgpr_kernarg_preload_length 0
		.amdhsa_user_sgpr_kernarg_preload_offset 0
		.amdhsa_user_sgpr_private_segment_size 0
		.amdhsa_uses_dynamic_stack 0
		.amdhsa_enable_private_segment 0
		.amdhsa_system_sgpr_workgroup_id_x 1
		.amdhsa_system_sgpr_workgroup_id_y 0
		.amdhsa_system_sgpr_workgroup_id_z 0
		.amdhsa_system_sgpr_workgroup_info 0
		.amdhsa_system_vgpr_workitem_id 0
		.amdhsa_next_free_vgpr 1
		.amdhsa_next_free_sgpr 0
		.amdhsa_accum_offset 4
		.amdhsa_reserve_vcc 0
		.amdhsa_float_round_mode_32 0
		.amdhsa_float_round_mode_16_64 0
		.amdhsa_float_denorm_mode_32 3
		.amdhsa_float_denorm_mode_16_64 3
		.amdhsa_dx10_clamp 1
		.amdhsa_ieee_mode 1
		.amdhsa_fp16_overflow 0
		.amdhsa_tg_split 0
		.amdhsa_exception_fp_ieee_invalid_op 0
		.amdhsa_exception_fp_denorm_src 0
		.amdhsa_exception_fp_ieee_div_zero 0
		.amdhsa_exception_fp_ieee_overflow 0
		.amdhsa_exception_fp_ieee_underflow 0
		.amdhsa_exception_fp_ieee_inexact 0
		.amdhsa_exception_int_div_zero 0
	.end_amdhsa_kernel
	.section	.text._ZN7rocprim17ROCPRIM_400000_NS6detail17trampoline_kernelINS0_14default_configENS1_25partition_config_selectorILNS1_17partition_subalgoE2EjNS0_10empty_typeEbEEZZNS1_14partition_implILS5_2ELb0ES3_jN6thrust23THRUST_200600_302600_NS6detail15normal_iteratorINSA_7pointerIjNSA_11hip_rocprim3tagENSA_11use_defaultESG_EEEEPS6_NSA_18transform_iteratorI7is_evenIjENSC_INSA_10device_ptrIjEEEESG_SG_EENS0_5tupleIJPjSJ_EEENSR_IJSJ_SJ_EEES6_PlJS6_EEE10hipError_tPvRmT3_T4_T5_T6_T7_T9_mT8_P12ihipStream_tbDpT10_ENKUlT_T0_E_clISt17integral_constantIbLb0EES1E_IbLb1EEEEDaS1A_S1B_EUlS1A_E_NS1_11comp_targetILNS1_3genE3ELNS1_11target_archE908ELNS1_3gpuE7ELNS1_3repE0EEENS1_30default_config_static_selectorELNS0_4arch9wavefront6targetE1EEEvT1_,"axG",@progbits,_ZN7rocprim17ROCPRIM_400000_NS6detail17trampoline_kernelINS0_14default_configENS1_25partition_config_selectorILNS1_17partition_subalgoE2EjNS0_10empty_typeEbEEZZNS1_14partition_implILS5_2ELb0ES3_jN6thrust23THRUST_200600_302600_NS6detail15normal_iteratorINSA_7pointerIjNSA_11hip_rocprim3tagENSA_11use_defaultESG_EEEEPS6_NSA_18transform_iteratorI7is_evenIjENSC_INSA_10device_ptrIjEEEESG_SG_EENS0_5tupleIJPjSJ_EEENSR_IJSJ_SJ_EEES6_PlJS6_EEE10hipError_tPvRmT3_T4_T5_T6_T7_T9_mT8_P12ihipStream_tbDpT10_ENKUlT_T0_E_clISt17integral_constantIbLb0EES1E_IbLb1EEEEDaS1A_S1B_EUlS1A_E_NS1_11comp_targetILNS1_3genE3ELNS1_11target_archE908ELNS1_3gpuE7ELNS1_3repE0EEENS1_30default_config_static_selectorELNS0_4arch9wavefront6targetE1EEEvT1_,comdat
.Lfunc_end2064:
	.size	_ZN7rocprim17ROCPRIM_400000_NS6detail17trampoline_kernelINS0_14default_configENS1_25partition_config_selectorILNS1_17partition_subalgoE2EjNS0_10empty_typeEbEEZZNS1_14partition_implILS5_2ELb0ES3_jN6thrust23THRUST_200600_302600_NS6detail15normal_iteratorINSA_7pointerIjNSA_11hip_rocprim3tagENSA_11use_defaultESG_EEEEPS6_NSA_18transform_iteratorI7is_evenIjENSC_INSA_10device_ptrIjEEEESG_SG_EENS0_5tupleIJPjSJ_EEENSR_IJSJ_SJ_EEES6_PlJS6_EEE10hipError_tPvRmT3_T4_T5_T6_T7_T9_mT8_P12ihipStream_tbDpT10_ENKUlT_T0_E_clISt17integral_constantIbLb0EES1E_IbLb1EEEEDaS1A_S1B_EUlS1A_E_NS1_11comp_targetILNS1_3genE3ELNS1_11target_archE908ELNS1_3gpuE7ELNS1_3repE0EEENS1_30default_config_static_selectorELNS0_4arch9wavefront6targetE1EEEvT1_, .Lfunc_end2064-_ZN7rocprim17ROCPRIM_400000_NS6detail17trampoline_kernelINS0_14default_configENS1_25partition_config_selectorILNS1_17partition_subalgoE2EjNS0_10empty_typeEbEEZZNS1_14partition_implILS5_2ELb0ES3_jN6thrust23THRUST_200600_302600_NS6detail15normal_iteratorINSA_7pointerIjNSA_11hip_rocprim3tagENSA_11use_defaultESG_EEEEPS6_NSA_18transform_iteratorI7is_evenIjENSC_INSA_10device_ptrIjEEEESG_SG_EENS0_5tupleIJPjSJ_EEENSR_IJSJ_SJ_EEES6_PlJS6_EEE10hipError_tPvRmT3_T4_T5_T6_T7_T9_mT8_P12ihipStream_tbDpT10_ENKUlT_T0_E_clISt17integral_constantIbLb0EES1E_IbLb1EEEEDaS1A_S1B_EUlS1A_E_NS1_11comp_targetILNS1_3genE3ELNS1_11target_archE908ELNS1_3gpuE7ELNS1_3repE0EEENS1_30default_config_static_selectorELNS0_4arch9wavefront6targetE1EEEvT1_
                                        ; -- End function
	.section	.AMDGPU.csdata,"",@progbits
; Kernel info:
; codeLenInByte = 0
; NumSgprs: 6
; NumVgprs: 0
; NumAgprs: 0
; TotalNumVgprs: 0
; ScratchSize: 0
; MemoryBound: 0
; FloatMode: 240
; IeeeMode: 1
; LDSByteSize: 0 bytes/workgroup (compile time only)
; SGPRBlocks: 0
; VGPRBlocks: 0
; NumSGPRsForWavesPerEU: 6
; NumVGPRsForWavesPerEU: 1
; AccumOffset: 4
; Occupancy: 8
; WaveLimiterHint : 0
; COMPUTE_PGM_RSRC2:SCRATCH_EN: 0
; COMPUTE_PGM_RSRC2:USER_SGPR: 2
; COMPUTE_PGM_RSRC2:TRAP_HANDLER: 0
; COMPUTE_PGM_RSRC2:TGID_X_EN: 1
; COMPUTE_PGM_RSRC2:TGID_Y_EN: 0
; COMPUTE_PGM_RSRC2:TGID_Z_EN: 0
; COMPUTE_PGM_RSRC2:TIDIG_COMP_CNT: 0
; COMPUTE_PGM_RSRC3_GFX90A:ACCUM_OFFSET: 0
; COMPUTE_PGM_RSRC3_GFX90A:TG_SPLIT: 0
	.section	.text._ZN7rocprim17ROCPRIM_400000_NS6detail17trampoline_kernelINS0_14default_configENS1_25partition_config_selectorILNS1_17partition_subalgoE2EjNS0_10empty_typeEbEEZZNS1_14partition_implILS5_2ELb0ES3_jN6thrust23THRUST_200600_302600_NS6detail15normal_iteratorINSA_7pointerIjNSA_11hip_rocprim3tagENSA_11use_defaultESG_EEEEPS6_NSA_18transform_iteratorI7is_evenIjENSC_INSA_10device_ptrIjEEEESG_SG_EENS0_5tupleIJPjSJ_EEENSR_IJSJ_SJ_EEES6_PlJS6_EEE10hipError_tPvRmT3_T4_T5_T6_T7_T9_mT8_P12ihipStream_tbDpT10_ENKUlT_T0_E_clISt17integral_constantIbLb0EES1E_IbLb1EEEEDaS1A_S1B_EUlS1A_E_NS1_11comp_targetILNS1_3genE2ELNS1_11target_archE906ELNS1_3gpuE6ELNS1_3repE0EEENS1_30default_config_static_selectorELNS0_4arch9wavefront6targetE1EEEvT1_,"axG",@progbits,_ZN7rocprim17ROCPRIM_400000_NS6detail17trampoline_kernelINS0_14default_configENS1_25partition_config_selectorILNS1_17partition_subalgoE2EjNS0_10empty_typeEbEEZZNS1_14partition_implILS5_2ELb0ES3_jN6thrust23THRUST_200600_302600_NS6detail15normal_iteratorINSA_7pointerIjNSA_11hip_rocprim3tagENSA_11use_defaultESG_EEEEPS6_NSA_18transform_iteratorI7is_evenIjENSC_INSA_10device_ptrIjEEEESG_SG_EENS0_5tupleIJPjSJ_EEENSR_IJSJ_SJ_EEES6_PlJS6_EEE10hipError_tPvRmT3_T4_T5_T6_T7_T9_mT8_P12ihipStream_tbDpT10_ENKUlT_T0_E_clISt17integral_constantIbLb0EES1E_IbLb1EEEEDaS1A_S1B_EUlS1A_E_NS1_11comp_targetILNS1_3genE2ELNS1_11target_archE906ELNS1_3gpuE6ELNS1_3repE0EEENS1_30default_config_static_selectorELNS0_4arch9wavefront6targetE1EEEvT1_,comdat
	.protected	_ZN7rocprim17ROCPRIM_400000_NS6detail17trampoline_kernelINS0_14default_configENS1_25partition_config_selectorILNS1_17partition_subalgoE2EjNS0_10empty_typeEbEEZZNS1_14partition_implILS5_2ELb0ES3_jN6thrust23THRUST_200600_302600_NS6detail15normal_iteratorINSA_7pointerIjNSA_11hip_rocprim3tagENSA_11use_defaultESG_EEEEPS6_NSA_18transform_iteratorI7is_evenIjENSC_INSA_10device_ptrIjEEEESG_SG_EENS0_5tupleIJPjSJ_EEENSR_IJSJ_SJ_EEES6_PlJS6_EEE10hipError_tPvRmT3_T4_T5_T6_T7_T9_mT8_P12ihipStream_tbDpT10_ENKUlT_T0_E_clISt17integral_constantIbLb0EES1E_IbLb1EEEEDaS1A_S1B_EUlS1A_E_NS1_11comp_targetILNS1_3genE2ELNS1_11target_archE906ELNS1_3gpuE6ELNS1_3repE0EEENS1_30default_config_static_selectorELNS0_4arch9wavefront6targetE1EEEvT1_ ; -- Begin function _ZN7rocprim17ROCPRIM_400000_NS6detail17trampoline_kernelINS0_14default_configENS1_25partition_config_selectorILNS1_17partition_subalgoE2EjNS0_10empty_typeEbEEZZNS1_14partition_implILS5_2ELb0ES3_jN6thrust23THRUST_200600_302600_NS6detail15normal_iteratorINSA_7pointerIjNSA_11hip_rocprim3tagENSA_11use_defaultESG_EEEEPS6_NSA_18transform_iteratorI7is_evenIjENSC_INSA_10device_ptrIjEEEESG_SG_EENS0_5tupleIJPjSJ_EEENSR_IJSJ_SJ_EEES6_PlJS6_EEE10hipError_tPvRmT3_T4_T5_T6_T7_T9_mT8_P12ihipStream_tbDpT10_ENKUlT_T0_E_clISt17integral_constantIbLb0EES1E_IbLb1EEEEDaS1A_S1B_EUlS1A_E_NS1_11comp_targetILNS1_3genE2ELNS1_11target_archE906ELNS1_3gpuE6ELNS1_3repE0EEENS1_30default_config_static_selectorELNS0_4arch9wavefront6targetE1EEEvT1_
	.globl	_ZN7rocprim17ROCPRIM_400000_NS6detail17trampoline_kernelINS0_14default_configENS1_25partition_config_selectorILNS1_17partition_subalgoE2EjNS0_10empty_typeEbEEZZNS1_14partition_implILS5_2ELb0ES3_jN6thrust23THRUST_200600_302600_NS6detail15normal_iteratorINSA_7pointerIjNSA_11hip_rocprim3tagENSA_11use_defaultESG_EEEEPS6_NSA_18transform_iteratorI7is_evenIjENSC_INSA_10device_ptrIjEEEESG_SG_EENS0_5tupleIJPjSJ_EEENSR_IJSJ_SJ_EEES6_PlJS6_EEE10hipError_tPvRmT3_T4_T5_T6_T7_T9_mT8_P12ihipStream_tbDpT10_ENKUlT_T0_E_clISt17integral_constantIbLb0EES1E_IbLb1EEEEDaS1A_S1B_EUlS1A_E_NS1_11comp_targetILNS1_3genE2ELNS1_11target_archE906ELNS1_3gpuE6ELNS1_3repE0EEENS1_30default_config_static_selectorELNS0_4arch9wavefront6targetE1EEEvT1_
	.p2align	8
	.type	_ZN7rocprim17ROCPRIM_400000_NS6detail17trampoline_kernelINS0_14default_configENS1_25partition_config_selectorILNS1_17partition_subalgoE2EjNS0_10empty_typeEbEEZZNS1_14partition_implILS5_2ELb0ES3_jN6thrust23THRUST_200600_302600_NS6detail15normal_iteratorINSA_7pointerIjNSA_11hip_rocprim3tagENSA_11use_defaultESG_EEEEPS6_NSA_18transform_iteratorI7is_evenIjENSC_INSA_10device_ptrIjEEEESG_SG_EENS0_5tupleIJPjSJ_EEENSR_IJSJ_SJ_EEES6_PlJS6_EEE10hipError_tPvRmT3_T4_T5_T6_T7_T9_mT8_P12ihipStream_tbDpT10_ENKUlT_T0_E_clISt17integral_constantIbLb0EES1E_IbLb1EEEEDaS1A_S1B_EUlS1A_E_NS1_11comp_targetILNS1_3genE2ELNS1_11target_archE906ELNS1_3gpuE6ELNS1_3repE0EEENS1_30default_config_static_selectorELNS0_4arch9wavefront6targetE1EEEvT1_,@function
_ZN7rocprim17ROCPRIM_400000_NS6detail17trampoline_kernelINS0_14default_configENS1_25partition_config_selectorILNS1_17partition_subalgoE2EjNS0_10empty_typeEbEEZZNS1_14partition_implILS5_2ELb0ES3_jN6thrust23THRUST_200600_302600_NS6detail15normal_iteratorINSA_7pointerIjNSA_11hip_rocprim3tagENSA_11use_defaultESG_EEEEPS6_NSA_18transform_iteratorI7is_evenIjENSC_INSA_10device_ptrIjEEEESG_SG_EENS0_5tupleIJPjSJ_EEENSR_IJSJ_SJ_EEES6_PlJS6_EEE10hipError_tPvRmT3_T4_T5_T6_T7_T9_mT8_P12ihipStream_tbDpT10_ENKUlT_T0_E_clISt17integral_constantIbLb0EES1E_IbLb1EEEEDaS1A_S1B_EUlS1A_E_NS1_11comp_targetILNS1_3genE2ELNS1_11target_archE906ELNS1_3gpuE6ELNS1_3repE0EEENS1_30default_config_static_selectorELNS0_4arch9wavefront6targetE1EEEvT1_: ; @_ZN7rocprim17ROCPRIM_400000_NS6detail17trampoline_kernelINS0_14default_configENS1_25partition_config_selectorILNS1_17partition_subalgoE2EjNS0_10empty_typeEbEEZZNS1_14partition_implILS5_2ELb0ES3_jN6thrust23THRUST_200600_302600_NS6detail15normal_iteratorINSA_7pointerIjNSA_11hip_rocprim3tagENSA_11use_defaultESG_EEEEPS6_NSA_18transform_iteratorI7is_evenIjENSC_INSA_10device_ptrIjEEEESG_SG_EENS0_5tupleIJPjSJ_EEENSR_IJSJ_SJ_EEES6_PlJS6_EEE10hipError_tPvRmT3_T4_T5_T6_T7_T9_mT8_P12ihipStream_tbDpT10_ENKUlT_T0_E_clISt17integral_constantIbLb0EES1E_IbLb1EEEEDaS1A_S1B_EUlS1A_E_NS1_11comp_targetILNS1_3genE2ELNS1_11target_archE906ELNS1_3gpuE6ELNS1_3repE0EEENS1_30default_config_static_selectorELNS0_4arch9wavefront6targetE1EEEvT1_
; %bb.0:
	.section	.rodata,"a",@progbits
	.p2align	6, 0x0
	.amdhsa_kernel _ZN7rocprim17ROCPRIM_400000_NS6detail17trampoline_kernelINS0_14default_configENS1_25partition_config_selectorILNS1_17partition_subalgoE2EjNS0_10empty_typeEbEEZZNS1_14partition_implILS5_2ELb0ES3_jN6thrust23THRUST_200600_302600_NS6detail15normal_iteratorINSA_7pointerIjNSA_11hip_rocprim3tagENSA_11use_defaultESG_EEEEPS6_NSA_18transform_iteratorI7is_evenIjENSC_INSA_10device_ptrIjEEEESG_SG_EENS0_5tupleIJPjSJ_EEENSR_IJSJ_SJ_EEES6_PlJS6_EEE10hipError_tPvRmT3_T4_T5_T6_T7_T9_mT8_P12ihipStream_tbDpT10_ENKUlT_T0_E_clISt17integral_constantIbLb0EES1E_IbLb1EEEEDaS1A_S1B_EUlS1A_E_NS1_11comp_targetILNS1_3genE2ELNS1_11target_archE906ELNS1_3gpuE6ELNS1_3repE0EEENS1_30default_config_static_selectorELNS0_4arch9wavefront6targetE1EEEvT1_
		.amdhsa_group_segment_fixed_size 0
		.amdhsa_private_segment_fixed_size 0
		.amdhsa_kernarg_size 144
		.amdhsa_user_sgpr_count 2
		.amdhsa_user_sgpr_dispatch_ptr 0
		.amdhsa_user_sgpr_queue_ptr 0
		.amdhsa_user_sgpr_kernarg_segment_ptr 1
		.amdhsa_user_sgpr_dispatch_id 0
		.amdhsa_user_sgpr_kernarg_preload_length 0
		.amdhsa_user_sgpr_kernarg_preload_offset 0
		.amdhsa_user_sgpr_private_segment_size 0
		.amdhsa_uses_dynamic_stack 0
		.amdhsa_enable_private_segment 0
		.amdhsa_system_sgpr_workgroup_id_x 1
		.amdhsa_system_sgpr_workgroup_id_y 0
		.amdhsa_system_sgpr_workgroup_id_z 0
		.amdhsa_system_sgpr_workgroup_info 0
		.amdhsa_system_vgpr_workitem_id 0
		.amdhsa_next_free_vgpr 1
		.amdhsa_next_free_sgpr 0
		.amdhsa_accum_offset 4
		.amdhsa_reserve_vcc 0
		.amdhsa_float_round_mode_32 0
		.amdhsa_float_round_mode_16_64 0
		.amdhsa_float_denorm_mode_32 3
		.amdhsa_float_denorm_mode_16_64 3
		.amdhsa_dx10_clamp 1
		.amdhsa_ieee_mode 1
		.amdhsa_fp16_overflow 0
		.amdhsa_tg_split 0
		.amdhsa_exception_fp_ieee_invalid_op 0
		.amdhsa_exception_fp_denorm_src 0
		.amdhsa_exception_fp_ieee_div_zero 0
		.amdhsa_exception_fp_ieee_overflow 0
		.amdhsa_exception_fp_ieee_underflow 0
		.amdhsa_exception_fp_ieee_inexact 0
		.amdhsa_exception_int_div_zero 0
	.end_amdhsa_kernel
	.section	.text._ZN7rocprim17ROCPRIM_400000_NS6detail17trampoline_kernelINS0_14default_configENS1_25partition_config_selectorILNS1_17partition_subalgoE2EjNS0_10empty_typeEbEEZZNS1_14partition_implILS5_2ELb0ES3_jN6thrust23THRUST_200600_302600_NS6detail15normal_iteratorINSA_7pointerIjNSA_11hip_rocprim3tagENSA_11use_defaultESG_EEEEPS6_NSA_18transform_iteratorI7is_evenIjENSC_INSA_10device_ptrIjEEEESG_SG_EENS0_5tupleIJPjSJ_EEENSR_IJSJ_SJ_EEES6_PlJS6_EEE10hipError_tPvRmT3_T4_T5_T6_T7_T9_mT8_P12ihipStream_tbDpT10_ENKUlT_T0_E_clISt17integral_constantIbLb0EES1E_IbLb1EEEEDaS1A_S1B_EUlS1A_E_NS1_11comp_targetILNS1_3genE2ELNS1_11target_archE906ELNS1_3gpuE6ELNS1_3repE0EEENS1_30default_config_static_selectorELNS0_4arch9wavefront6targetE1EEEvT1_,"axG",@progbits,_ZN7rocprim17ROCPRIM_400000_NS6detail17trampoline_kernelINS0_14default_configENS1_25partition_config_selectorILNS1_17partition_subalgoE2EjNS0_10empty_typeEbEEZZNS1_14partition_implILS5_2ELb0ES3_jN6thrust23THRUST_200600_302600_NS6detail15normal_iteratorINSA_7pointerIjNSA_11hip_rocprim3tagENSA_11use_defaultESG_EEEEPS6_NSA_18transform_iteratorI7is_evenIjENSC_INSA_10device_ptrIjEEEESG_SG_EENS0_5tupleIJPjSJ_EEENSR_IJSJ_SJ_EEES6_PlJS6_EEE10hipError_tPvRmT3_T4_T5_T6_T7_T9_mT8_P12ihipStream_tbDpT10_ENKUlT_T0_E_clISt17integral_constantIbLb0EES1E_IbLb1EEEEDaS1A_S1B_EUlS1A_E_NS1_11comp_targetILNS1_3genE2ELNS1_11target_archE906ELNS1_3gpuE6ELNS1_3repE0EEENS1_30default_config_static_selectorELNS0_4arch9wavefront6targetE1EEEvT1_,comdat
.Lfunc_end2065:
	.size	_ZN7rocprim17ROCPRIM_400000_NS6detail17trampoline_kernelINS0_14default_configENS1_25partition_config_selectorILNS1_17partition_subalgoE2EjNS0_10empty_typeEbEEZZNS1_14partition_implILS5_2ELb0ES3_jN6thrust23THRUST_200600_302600_NS6detail15normal_iteratorINSA_7pointerIjNSA_11hip_rocprim3tagENSA_11use_defaultESG_EEEEPS6_NSA_18transform_iteratorI7is_evenIjENSC_INSA_10device_ptrIjEEEESG_SG_EENS0_5tupleIJPjSJ_EEENSR_IJSJ_SJ_EEES6_PlJS6_EEE10hipError_tPvRmT3_T4_T5_T6_T7_T9_mT8_P12ihipStream_tbDpT10_ENKUlT_T0_E_clISt17integral_constantIbLb0EES1E_IbLb1EEEEDaS1A_S1B_EUlS1A_E_NS1_11comp_targetILNS1_3genE2ELNS1_11target_archE906ELNS1_3gpuE6ELNS1_3repE0EEENS1_30default_config_static_selectorELNS0_4arch9wavefront6targetE1EEEvT1_, .Lfunc_end2065-_ZN7rocprim17ROCPRIM_400000_NS6detail17trampoline_kernelINS0_14default_configENS1_25partition_config_selectorILNS1_17partition_subalgoE2EjNS0_10empty_typeEbEEZZNS1_14partition_implILS5_2ELb0ES3_jN6thrust23THRUST_200600_302600_NS6detail15normal_iteratorINSA_7pointerIjNSA_11hip_rocprim3tagENSA_11use_defaultESG_EEEEPS6_NSA_18transform_iteratorI7is_evenIjENSC_INSA_10device_ptrIjEEEESG_SG_EENS0_5tupleIJPjSJ_EEENSR_IJSJ_SJ_EEES6_PlJS6_EEE10hipError_tPvRmT3_T4_T5_T6_T7_T9_mT8_P12ihipStream_tbDpT10_ENKUlT_T0_E_clISt17integral_constantIbLb0EES1E_IbLb1EEEEDaS1A_S1B_EUlS1A_E_NS1_11comp_targetILNS1_3genE2ELNS1_11target_archE906ELNS1_3gpuE6ELNS1_3repE0EEENS1_30default_config_static_selectorELNS0_4arch9wavefront6targetE1EEEvT1_
                                        ; -- End function
	.section	.AMDGPU.csdata,"",@progbits
; Kernel info:
; codeLenInByte = 0
; NumSgprs: 6
; NumVgprs: 0
; NumAgprs: 0
; TotalNumVgprs: 0
; ScratchSize: 0
; MemoryBound: 0
; FloatMode: 240
; IeeeMode: 1
; LDSByteSize: 0 bytes/workgroup (compile time only)
; SGPRBlocks: 0
; VGPRBlocks: 0
; NumSGPRsForWavesPerEU: 6
; NumVGPRsForWavesPerEU: 1
; AccumOffset: 4
; Occupancy: 8
; WaveLimiterHint : 0
; COMPUTE_PGM_RSRC2:SCRATCH_EN: 0
; COMPUTE_PGM_RSRC2:USER_SGPR: 2
; COMPUTE_PGM_RSRC2:TRAP_HANDLER: 0
; COMPUTE_PGM_RSRC2:TGID_X_EN: 1
; COMPUTE_PGM_RSRC2:TGID_Y_EN: 0
; COMPUTE_PGM_RSRC2:TGID_Z_EN: 0
; COMPUTE_PGM_RSRC2:TIDIG_COMP_CNT: 0
; COMPUTE_PGM_RSRC3_GFX90A:ACCUM_OFFSET: 0
; COMPUTE_PGM_RSRC3_GFX90A:TG_SPLIT: 0
	.section	.text._ZN7rocprim17ROCPRIM_400000_NS6detail17trampoline_kernelINS0_14default_configENS1_25partition_config_selectorILNS1_17partition_subalgoE2EjNS0_10empty_typeEbEEZZNS1_14partition_implILS5_2ELb0ES3_jN6thrust23THRUST_200600_302600_NS6detail15normal_iteratorINSA_7pointerIjNSA_11hip_rocprim3tagENSA_11use_defaultESG_EEEEPS6_NSA_18transform_iteratorI7is_evenIjENSC_INSA_10device_ptrIjEEEESG_SG_EENS0_5tupleIJPjSJ_EEENSR_IJSJ_SJ_EEES6_PlJS6_EEE10hipError_tPvRmT3_T4_T5_T6_T7_T9_mT8_P12ihipStream_tbDpT10_ENKUlT_T0_E_clISt17integral_constantIbLb0EES1E_IbLb1EEEEDaS1A_S1B_EUlS1A_E_NS1_11comp_targetILNS1_3genE10ELNS1_11target_archE1200ELNS1_3gpuE4ELNS1_3repE0EEENS1_30default_config_static_selectorELNS0_4arch9wavefront6targetE1EEEvT1_,"axG",@progbits,_ZN7rocprim17ROCPRIM_400000_NS6detail17trampoline_kernelINS0_14default_configENS1_25partition_config_selectorILNS1_17partition_subalgoE2EjNS0_10empty_typeEbEEZZNS1_14partition_implILS5_2ELb0ES3_jN6thrust23THRUST_200600_302600_NS6detail15normal_iteratorINSA_7pointerIjNSA_11hip_rocprim3tagENSA_11use_defaultESG_EEEEPS6_NSA_18transform_iteratorI7is_evenIjENSC_INSA_10device_ptrIjEEEESG_SG_EENS0_5tupleIJPjSJ_EEENSR_IJSJ_SJ_EEES6_PlJS6_EEE10hipError_tPvRmT3_T4_T5_T6_T7_T9_mT8_P12ihipStream_tbDpT10_ENKUlT_T0_E_clISt17integral_constantIbLb0EES1E_IbLb1EEEEDaS1A_S1B_EUlS1A_E_NS1_11comp_targetILNS1_3genE10ELNS1_11target_archE1200ELNS1_3gpuE4ELNS1_3repE0EEENS1_30default_config_static_selectorELNS0_4arch9wavefront6targetE1EEEvT1_,comdat
	.protected	_ZN7rocprim17ROCPRIM_400000_NS6detail17trampoline_kernelINS0_14default_configENS1_25partition_config_selectorILNS1_17partition_subalgoE2EjNS0_10empty_typeEbEEZZNS1_14partition_implILS5_2ELb0ES3_jN6thrust23THRUST_200600_302600_NS6detail15normal_iteratorINSA_7pointerIjNSA_11hip_rocprim3tagENSA_11use_defaultESG_EEEEPS6_NSA_18transform_iteratorI7is_evenIjENSC_INSA_10device_ptrIjEEEESG_SG_EENS0_5tupleIJPjSJ_EEENSR_IJSJ_SJ_EEES6_PlJS6_EEE10hipError_tPvRmT3_T4_T5_T6_T7_T9_mT8_P12ihipStream_tbDpT10_ENKUlT_T0_E_clISt17integral_constantIbLb0EES1E_IbLb1EEEEDaS1A_S1B_EUlS1A_E_NS1_11comp_targetILNS1_3genE10ELNS1_11target_archE1200ELNS1_3gpuE4ELNS1_3repE0EEENS1_30default_config_static_selectorELNS0_4arch9wavefront6targetE1EEEvT1_ ; -- Begin function _ZN7rocprim17ROCPRIM_400000_NS6detail17trampoline_kernelINS0_14default_configENS1_25partition_config_selectorILNS1_17partition_subalgoE2EjNS0_10empty_typeEbEEZZNS1_14partition_implILS5_2ELb0ES3_jN6thrust23THRUST_200600_302600_NS6detail15normal_iteratorINSA_7pointerIjNSA_11hip_rocprim3tagENSA_11use_defaultESG_EEEEPS6_NSA_18transform_iteratorI7is_evenIjENSC_INSA_10device_ptrIjEEEESG_SG_EENS0_5tupleIJPjSJ_EEENSR_IJSJ_SJ_EEES6_PlJS6_EEE10hipError_tPvRmT3_T4_T5_T6_T7_T9_mT8_P12ihipStream_tbDpT10_ENKUlT_T0_E_clISt17integral_constantIbLb0EES1E_IbLb1EEEEDaS1A_S1B_EUlS1A_E_NS1_11comp_targetILNS1_3genE10ELNS1_11target_archE1200ELNS1_3gpuE4ELNS1_3repE0EEENS1_30default_config_static_selectorELNS0_4arch9wavefront6targetE1EEEvT1_
	.globl	_ZN7rocprim17ROCPRIM_400000_NS6detail17trampoline_kernelINS0_14default_configENS1_25partition_config_selectorILNS1_17partition_subalgoE2EjNS0_10empty_typeEbEEZZNS1_14partition_implILS5_2ELb0ES3_jN6thrust23THRUST_200600_302600_NS6detail15normal_iteratorINSA_7pointerIjNSA_11hip_rocprim3tagENSA_11use_defaultESG_EEEEPS6_NSA_18transform_iteratorI7is_evenIjENSC_INSA_10device_ptrIjEEEESG_SG_EENS0_5tupleIJPjSJ_EEENSR_IJSJ_SJ_EEES6_PlJS6_EEE10hipError_tPvRmT3_T4_T5_T6_T7_T9_mT8_P12ihipStream_tbDpT10_ENKUlT_T0_E_clISt17integral_constantIbLb0EES1E_IbLb1EEEEDaS1A_S1B_EUlS1A_E_NS1_11comp_targetILNS1_3genE10ELNS1_11target_archE1200ELNS1_3gpuE4ELNS1_3repE0EEENS1_30default_config_static_selectorELNS0_4arch9wavefront6targetE1EEEvT1_
	.p2align	8
	.type	_ZN7rocprim17ROCPRIM_400000_NS6detail17trampoline_kernelINS0_14default_configENS1_25partition_config_selectorILNS1_17partition_subalgoE2EjNS0_10empty_typeEbEEZZNS1_14partition_implILS5_2ELb0ES3_jN6thrust23THRUST_200600_302600_NS6detail15normal_iteratorINSA_7pointerIjNSA_11hip_rocprim3tagENSA_11use_defaultESG_EEEEPS6_NSA_18transform_iteratorI7is_evenIjENSC_INSA_10device_ptrIjEEEESG_SG_EENS0_5tupleIJPjSJ_EEENSR_IJSJ_SJ_EEES6_PlJS6_EEE10hipError_tPvRmT3_T4_T5_T6_T7_T9_mT8_P12ihipStream_tbDpT10_ENKUlT_T0_E_clISt17integral_constantIbLb0EES1E_IbLb1EEEEDaS1A_S1B_EUlS1A_E_NS1_11comp_targetILNS1_3genE10ELNS1_11target_archE1200ELNS1_3gpuE4ELNS1_3repE0EEENS1_30default_config_static_selectorELNS0_4arch9wavefront6targetE1EEEvT1_,@function
_ZN7rocprim17ROCPRIM_400000_NS6detail17trampoline_kernelINS0_14default_configENS1_25partition_config_selectorILNS1_17partition_subalgoE2EjNS0_10empty_typeEbEEZZNS1_14partition_implILS5_2ELb0ES3_jN6thrust23THRUST_200600_302600_NS6detail15normal_iteratorINSA_7pointerIjNSA_11hip_rocprim3tagENSA_11use_defaultESG_EEEEPS6_NSA_18transform_iteratorI7is_evenIjENSC_INSA_10device_ptrIjEEEESG_SG_EENS0_5tupleIJPjSJ_EEENSR_IJSJ_SJ_EEES6_PlJS6_EEE10hipError_tPvRmT3_T4_T5_T6_T7_T9_mT8_P12ihipStream_tbDpT10_ENKUlT_T0_E_clISt17integral_constantIbLb0EES1E_IbLb1EEEEDaS1A_S1B_EUlS1A_E_NS1_11comp_targetILNS1_3genE10ELNS1_11target_archE1200ELNS1_3gpuE4ELNS1_3repE0EEENS1_30default_config_static_selectorELNS0_4arch9wavefront6targetE1EEEvT1_: ; @_ZN7rocprim17ROCPRIM_400000_NS6detail17trampoline_kernelINS0_14default_configENS1_25partition_config_selectorILNS1_17partition_subalgoE2EjNS0_10empty_typeEbEEZZNS1_14partition_implILS5_2ELb0ES3_jN6thrust23THRUST_200600_302600_NS6detail15normal_iteratorINSA_7pointerIjNSA_11hip_rocprim3tagENSA_11use_defaultESG_EEEEPS6_NSA_18transform_iteratorI7is_evenIjENSC_INSA_10device_ptrIjEEEESG_SG_EENS0_5tupleIJPjSJ_EEENSR_IJSJ_SJ_EEES6_PlJS6_EEE10hipError_tPvRmT3_T4_T5_T6_T7_T9_mT8_P12ihipStream_tbDpT10_ENKUlT_T0_E_clISt17integral_constantIbLb0EES1E_IbLb1EEEEDaS1A_S1B_EUlS1A_E_NS1_11comp_targetILNS1_3genE10ELNS1_11target_archE1200ELNS1_3gpuE4ELNS1_3repE0EEENS1_30default_config_static_selectorELNS0_4arch9wavefront6targetE1EEEvT1_
; %bb.0:
	.section	.rodata,"a",@progbits
	.p2align	6, 0x0
	.amdhsa_kernel _ZN7rocprim17ROCPRIM_400000_NS6detail17trampoline_kernelINS0_14default_configENS1_25partition_config_selectorILNS1_17partition_subalgoE2EjNS0_10empty_typeEbEEZZNS1_14partition_implILS5_2ELb0ES3_jN6thrust23THRUST_200600_302600_NS6detail15normal_iteratorINSA_7pointerIjNSA_11hip_rocprim3tagENSA_11use_defaultESG_EEEEPS6_NSA_18transform_iteratorI7is_evenIjENSC_INSA_10device_ptrIjEEEESG_SG_EENS0_5tupleIJPjSJ_EEENSR_IJSJ_SJ_EEES6_PlJS6_EEE10hipError_tPvRmT3_T4_T5_T6_T7_T9_mT8_P12ihipStream_tbDpT10_ENKUlT_T0_E_clISt17integral_constantIbLb0EES1E_IbLb1EEEEDaS1A_S1B_EUlS1A_E_NS1_11comp_targetILNS1_3genE10ELNS1_11target_archE1200ELNS1_3gpuE4ELNS1_3repE0EEENS1_30default_config_static_selectorELNS0_4arch9wavefront6targetE1EEEvT1_
		.amdhsa_group_segment_fixed_size 0
		.amdhsa_private_segment_fixed_size 0
		.amdhsa_kernarg_size 144
		.amdhsa_user_sgpr_count 2
		.amdhsa_user_sgpr_dispatch_ptr 0
		.amdhsa_user_sgpr_queue_ptr 0
		.amdhsa_user_sgpr_kernarg_segment_ptr 1
		.amdhsa_user_sgpr_dispatch_id 0
		.amdhsa_user_sgpr_kernarg_preload_length 0
		.amdhsa_user_sgpr_kernarg_preload_offset 0
		.amdhsa_user_sgpr_private_segment_size 0
		.amdhsa_uses_dynamic_stack 0
		.amdhsa_enable_private_segment 0
		.amdhsa_system_sgpr_workgroup_id_x 1
		.amdhsa_system_sgpr_workgroup_id_y 0
		.amdhsa_system_sgpr_workgroup_id_z 0
		.amdhsa_system_sgpr_workgroup_info 0
		.amdhsa_system_vgpr_workitem_id 0
		.amdhsa_next_free_vgpr 1
		.amdhsa_next_free_sgpr 0
		.amdhsa_accum_offset 4
		.amdhsa_reserve_vcc 0
		.amdhsa_float_round_mode_32 0
		.amdhsa_float_round_mode_16_64 0
		.amdhsa_float_denorm_mode_32 3
		.amdhsa_float_denorm_mode_16_64 3
		.amdhsa_dx10_clamp 1
		.amdhsa_ieee_mode 1
		.amdhsa_fp16_overflow 0
		.amdhsa_tg_split 0
		.amdhsa_exception_fp_ieee_invalid_op 0
		.amdhsa_exception_fp_denorm_src 0
		.amdhsa_exception_fp_ieee_div_zero 0
		.amdhsa_exception_fp_ieee_overflow 0
		.amdhsa_exception_fp_ieee_underflow 0
		.amdhsa_exception_fp_ieee_inexact 0
		.amdhsa_exception_int_div_zero 0
	.end_amdhsa_kernel
	.section	.text._ZN7rocprim17ROCPRIM_400000_NS6detail17trampoline_kernelINS0_14default_configENS1_25partition_config_selectorILNS1_17partition_subalgoE2EjNS0_10empty_typeEbEEZZNS1_14partition_implILS5_2ELb0ES3_jN6thrust23THRUST_200600_302600_NS6detail15normal_iteratorINSA_7pointerIjNSA_11hip_rocprim3tagENSA_11use_defaultESG_EEEEPS6_NSA_18transform_iteratorI7is_evenIjENSC_INSA_10device_ptrIjEEEESG_SG_EENS0_5tupleIJPjSJ_EEENSR_IJSJ_SJ_EEES6_PlJS6_EEE10hipError_tPvRmT3_T4_T5_T6_T7_T9_mT8_P12ihipStream_tbDpT10_ENKUlT_T0_E_clISt17integral_constantIbLb0EES1E_IbLb1EEEEDaS1A_S1B_EUlS1A_E_NS1_11comp_targetILNS1_3genE10ELNS1_11target_archE1200ELNS1_3gpuE4ELNS1_3repE0EEENS1_30default_config_static_selectorELNS0_4arch9wavefront6targetE1EEEvT1_,"axG",@progbits,_ZN7rocprim17ROCPRIM_400000_NS6detail17trampoline_kernelINS0_14default_configENS1_25partition_config_selectorILNS1_17partition_subalgoE2EjNS0_10empty_typeEbEEZZNS1_14partition_implILS5_2ELb0ES3_jN6thrust23THRUST_200600_302600_NS6detail15normal_iteratorINSA_7pointerIjNSA_11hip_rocprim3tagENSA_11use_defaultESG_EEEEPS6_NSA_18transform_iteratorI7is_evenIjENSC_INSA_10device_ptrIjEEEESG_SG_EENS0_5tupleIJPjSJ_EEENSR_IJSJ_SJ_EEES6_PlJS6_EEE10hipError_tPvRmT3_T4_T5_T6_T7_T9_mT8_P12ihipStream_tbDpT10_ENKUlT_T0_E_clISt17integral_constantIbLb0EES1E_IbLb1EEEEDaS1A_S1B_EUlS1A_E_NS1_11comp_targetILNS1_3genE10ELNS1_11target_archE1200ELNS1_3gpuE4ELNS1_3repE0EEENS1_30default_config_static_selectorELNS0_4arch9wavefront6targetE1EEEvT1_,comdat
.Lfunc_end2066:
	.size	_ZN7rocprim17ROCPRIM_400000_NS6detail17trampoline_kernelINS0_14default_configENS1_25partition_config_selectorILNS1_17partition_subalgoE2EjNS0_10empty_typeEbEEZZNS1_14partition_implILS5_2ELb0ES3_jN6thrust23THRUST_200600_302600_NS6detail15normal_iteratorINSA_7pointerIjNSA_11hip_rocprim3tagENSA_11use_defaultESG_EEEEPS6_NSA_18transform_iteratorI7is_evenIjENSC_INSA_10device_ptrIjEEEESG_SG_EENS0_5tupleIJPjSJ_EEENSR_IJSJ_SJ_EEES6_PlJS6_EEE10hipError_tPvRmT3_T4_T5_T6_T7_T9_mT8_P12ihipStream_tbDpT10_ENKUlT_T0_E_clISt17integral_constantIbLb0EES1E_IbLb1EEEEDaS1A_S1B_EUlS1A_E_NS1_11comp_targetILNS1_3genE10ELNS1_11target_archE1200ELNS1_3gpuE4ELNS1_3repE0EEENS1_30default_config_static_selectorELNS0_4arch9wavefront6targetE1EEEvT1_, .Lfunc_end2066-_ZN7rocprim17ROCPRIM_400000_NS6detail17trampoline_kernelINS0_14default_configENS1_25partition_config_selectorILNS1_17partition_subalgoE2EjNS0_10empty_typeEbEEZZNS1_14partition_implILS5_2ELb0ES3_jN6thrust23THRUST_200600_302600_NS6detail15normal_iteratorINSA_7pointerIjNSA_11hip_rocprim3tagENSA_11use_defaultESG_EEEEPS6_NSA_18transform_iteratorI7is_evenIjENSC_INSA_10device_ptrIjEEEESG_SG_EENS0_5tupleIJPjSJ_EEENSR_IJSJ_SJ_EEES6_PlJS6_EEE10hipError_tPvRmT3_T4_T5_T6_T7_T9_mT8_P12ihipStream_tbDpT10_ENKUlT_T0_E_clISt17integral_constantIbLb0EES1E_IbLb1EEEEDaS1A_S1B_EUlS1A_E_NS1_11comp_targetILNS1_3genE10ELNS1_11target_archE1200ELNS1_3gpuE4ELNS1_3repE0EEENS1_30default_config_static_selectorELNS0_4arch9wavefront6targetE1EEEvT1_
                                        ; -- End function
	.section	.AMDGPU.csdata,"",@progbits
; Kernel info:
; codeLenInByte = 0
; NumSgprs: 6
; NumVgprs: 0
; NumAgprs: 0
; TotalNumVgprs: 0
; ScratchSize: 0
; MemoryBound: 0
; FloatMode: 240
; IeeeMode: 1
; LDSByteSize: 0 bytes/workgroup (compile time only)
; SGPRBlocks: 0
; VGPRBlocks: 0
; NumSGPRsForWavesPerEU: 6
; NumVGPRsForWavesPerEU: 1
; AccumOffset: 4
; Occupancy: 8
; WaveLimiterHint : 0
; COMPUTE_PGM_RSRC2:SCRATCH_EN: 0
; COMPUTE_PGM_RSRC2:USER_SGPR: 2
; COMPUTE_PGM_RSRC2:TRAP_HANDLER: 0
; COMPUTE_PGM_RSRC2:TGID_X_EN: 1
; COMPUTE_PGM_RSRC2:TGID_Y_EN: 0
; COMPUTE_PGM_RSRC2:TGID_Z_EN: 0
; COMPUTE_PGM_RSRC2:TIDIG_COMP_CNT: 0
; COMPUTE_PGM_RSRC3_GFX90A:ACCUM_OFFSET: 0
; COMPUTE_PGM_RSRC3_GFX90A:TG_SPLIT: 0
	.section	.text._ZN7rocprim17ROCPRIM_400000_NS6detail17trampoline_kernelINS0_14default_configENS1_25partition_config_selectorILNS1_17partition_subalgoE2EjNS0_10empty_typeEbEEZZNS1_14partition_implILS5_2ELb0ES3_jN6thrust23THRUST_200600_302600_NS6detail15normal_iteratorINSA_7pointerIjNSA_11hip_rocprim3tagENSA_11use_defaultESG_EEEEPS6_NSA_18transform_iteratorI7is_evenIjENSC_INSA_10device_ptrIjEEEESG_SG_EENS0_5tupleIJPjSJ_EEENSR_IJSJ_SJ_EEES6_PlJS6_EEE10hipError_tPvRmT3_T4_T5_T6_T7_T9_mT8_P12ihipStream_tbDpT10_ENKUlT_T0_E_clISt17integral_constantIbLb0EES1E_IbLb1EEEEDaS1A_S1B_EUlS1A_E_NS1_11comp_targetILNS1_3genE9ELNS1_11target_archE1100ELNS1_3gpuE3ELNS1_3repE0EEENS1_30default_config_static_selectorELNS0_4arch9wavefront6targetE1EEEvT1_,"axG",@progbits,_ZN7rocprim17ROCPRIM_400000_NS6detail17trampoline_kernelINS0_14default_configENS1_25partition_config_selectorILNS1_17partition_subalgoE2EjNS0_10empty_typeEbEEZZNS1_14partition_implILS5_2ELb0ES3_jN6thrust23THRUST_200600_302600_NS6detail15normal_iteratorINSA_7pointerIjNSA_11hip_rocprim3tagENSA_11use_defaultESG_EEEEPS6_NSA_18transform_iteratorI7is_evenIjENSC_INSA_10device_ptrIjEEEESG_SG_EENS0_5tupleIJPjSJ_EEENSR_IJSJ_SJ_EEES6_PlJS6_EEE10hipError_tPvRmT3_T4_T5_T6_T7_T9_mT8_P12ihipStream_tbDpT10_ENKUlT_T0_E_clISt17integral_constantIbLb0EES1E_IbLb1EEEEDaS1A_S1B_EUlS1A_E_NS1_11comp_targetILNS1_3genE9ELNS1_11target_archE1100ELNS1_3gpuE3ELNS1_3repE0EEENS1_30default_config_static_selectorELNS0_4arch9wavefront6targetE1EEEvT1_,comdat
	.protected	_ZN7rocprim17ROCPRIM_400000_NS6detail17trampoline_kernelINS0_14default_configENS1_25partition_config_selectorILNS1_17partition_subalgoE2EjNS0_10empty_typeEbEEZZNS1_14partition_implILS5_2ELb0ES3_jN6thrust23THRUST_200600_302600_NS6detail15normal_iteratorINSA_7pointerIjNSA_11hip_rocprim3tagENSA_11use_defaultESG_EEEEPS6_NSA_18transform_iteratorI7is_evenIjENSC_INSA_10device_ptrIjEEEESG_SG_EENS0_5tupleIJPjSJ_EEENSR_IJSJ_SJ_EEES6_PlJS6_EEE10hipError_tPvRmT3_T4_T5_T6_T7_T9_mT8_P12ihipStream_tbDpT10_ENKUlT_T0_E_clISt17integral_constantIbLb0EES1E_IbLb1EEEEDaS1A_S1B_EUlS1A_E_NS1_11comp_targetILNS1_3genE9ELNS1_11target_archE1100ELNS1_3gpuE3ELNS1_3repE0EEENS1_30default_config_static_selectorELNS0_4arch9wavefront6targetE1EEEvT1_ ; -- Begin function _ZN7rocprim17ROCPRIM_400000_NS6detail17trampoline_kernelINS0_14default_configENS1_25partition_config_selectorILNS1_17partition_subalgoE2EjNS0_10empty_typeEbEEZZNS1_14partition_implILS5_2ELb0ES3_jN6thrust23THRUST_200600_302600_NS6detail15normal_iteratorINSA_7pointerIjNSA_11hip_rocprim3tagENSA_11use_defaultESG_EEEEPS6_NSA_18transform_iteratorI7is_evenIjENSC_INSA_10device_ptrIjEEEESG_SG_EENS0_5tupleIJPjSJ_EEENSR_IJSJ_SJ_EEES6_PlJS6_EEE10hipError_tPvRmT3_T4_T5_T6_T7_T9_mT8_P12ihipStream_tbDpT10_ENKUlT_T0_E_clISt17integral_constantIbLb0EES1E_IbLb1EEEEDaS1A_S1B_EUlS1A_E_NS1_11comp_targetILNS1_3genE9ELNS1_11target_archE1100ELNS1_3gpuE3ELNS1_3repE0EEENS1_30default_config_static_selectorELNS0_4arch9wavefront6targetE1EEEvT1_
	.globl	_ZN7rocprim17ROCPRIM_400000_NS6detail17trampoline_kernelINS0_14default_configENS1_25partition_config_selectorILNS1_17partition_subalgoE2EjNS0_10empty_typeEbEEZZNS1_14partition_implILS5_2ELb0ES3_jN6thrust23THRUST_200600_302600_NS6detail15normal_iteratorINSA_7pointerIjNSA_11hip_rocprim3tagENSA_11use_defaultESG_EEEEPS6_NSA_18transform_iteratorI7is_evenIjENSC_INSA_10device_ptrIjEEEESG_SG_EENS0_5tupleIJPjSJ_EEENSR_IJSJ_SJ_EEES6_PlJS6_EEE10hipError_tPvRmT3_T4_T5_T6_T7_T9_mT8_P12ihipStream_tbDpT10_ENKUlT_T0_E_clISt17integral_constantIbLb0EES1E_IbLb1EEEEDaS1A_S1B_EUlS1A_E_NS1_11comp_targetILNS1_3genE9ELNS1_11target_archE1100ELNS1_3gpuE3ELNS1_3repE0EEENS1_30default_config_static_selectorELNS0_4arch9wavefront6targetE1EEEvT1_
	.p2align	8
	.type	_ZN7rocprim17ROCPRIM_400000_NS6detail17trampoline_kernelINS0_14default_configENS1_25partition_config_selectorILNS1_17partition_subalgoE2EjNS0_10empty_typeEbEEZZNS1_14partition_implILS5_2ELb0ES3_jN6thrust23THRUST_200600_302600_NS6detail15normal_iteratorINSA_7pointerIjNSA_11hip_rocprim3tagENSA_11use_defaultESG_EEEEPS6_NSA_18transform_iteratorI7is_evenIjENSC_INSA_10device_ptrIjEEEESG_SG_EENS0_5tupleIJPjSJ_EEENSR_IJSJ_SJ_EEES6_PlJS6_EEE10hipError_tPvRmT3_T4_T5_T6_T7_T9_mT8_P12ihipStream_tbDpT10_ENKUlT_T0_E_clISt17integral_constantIbLb0EES1E_IbLb1EEEEDaS1A_S1B_EUlS1A_E_NS1_11comp_targetILNS1_3genE9ELNS1_11target_archE1100ELNS1_3gpuE3ELNS1_3repE0EEENS1_30default_config_static_selectorELNS0_4arch9wavefront6targetE1EEEvT1_,@function
_ZN7rocprim17ROCPRIM_400000_NS6detail17trampoline_kernelINS0_14default_configENS1_25partition_config_selectorILNS1_17partition_subalgoE2EjNS0_10empty_typeEbEEZZNS1_14partition_implILS5_2ELb0ES3_jN6thrust23THRUST_200600_302600_NS6detail15normal_iteratorINSA_7pointerIjNSA_11hip_rocprim3tagENSA_11use_defaultESG_EEEEPS6_NSA_18transform_iteratorI7is_evenIjENSC_INSA_10device_ptrIjEEEESG_SG_EENS0_5tupleIJPjSJ_EEENSR_IJSJ_SJ_EEES6_PlJS6_EEE10hipError_tPvRmT3_T4_T5_T6_T7_T9_mT8_P12ihipStream_tbDpT10_ENKUlT_T0_E_clISt17integral_constantIbLb0EES1E_IbLb1EEEEDaS1A_S1B_EUlS1A_E_NS1_11comp_targetILNS1_3genE9ELNS1_11target_archE1100ELNS1_3gpuE3ELNS1_3repE0EEENS1_30default_config_static_selectorELNS0_4arch9wavefront6targetE1EEEvT1_: ; @_ZN7rocprim17ROCPRIM_400000_NS6detail17trampoline_kernelINS0_14default_configENS1_25partition_config_selectorILNS1_17partition_subalgoE2EjNS0_10empty_typeEbEEZZNS1_14partition_implILS5_2ELb0ES3_jN6thrust23THRUST_200600_302600_NS6detail15normal_iteratorINSA_7pointerIjNSA_11hip_rocprim3tagENSA_11use_defaultESG_EEEEPS6_NSA_18transform_iteratorI7is_evenIjENSC_INSA_10device_ptrIjEEEESG_SG_EENS0_5tupleIJPjSJ_EEENSR_IJSJ_SJ_EEES6_PlJS6_EEE10hipError_tPvRmT3_T4_T5_T6_T7_T9_mT8_P12ihipStream_tbDpT10_ENKUlT_T0_E_clISt17integral_constantIbLb0EES1E_IbLb1EEEEDaS1A_S1B_EUlS1A_E_NS1_11comp_targetILNS1_3genE9ELNS1_11target_archE1100ELNS1_3gpuE3ELNS1_3repE0EEENS1_30default_config_static_selectorELNS0_4arch9wavefront6targetE1EEEvT1_
; %bb.0:
	.section	.rodata,"a",@progbits
	.p2align	6, 0x0
	.amdhsa_kernel _ZN7rocprim17ROCPRIM_400000_NS6detail17trampoline_kernelINS0_14default_configENS1_25partition_config_selectorILNS1_17partition_subalgoE2EjNS0_10empty_typeEbEEZZNS1_14partition_implILS5_2ELb0ES3_jN6thrust23THRUST_200600_302600_NS6detail15normal_iteratorINSA_7pointerIjNSA_11hip_rocprim3tagENSA_11use_defaultESG_EEEEPS6_NSA_18transform_iteratorI7is_evenIjENSC_INSA_10device_ptrIjEEEESG_SG_EENS0_5tupleIJPjSJ_EEENSR_IJSJ_SJ_EEES6_PlJS6_EEE10hipError_tPvRmT3_T4_T5_T6_T7_T9_mT8_P12ihipStream_tbDpT10_ENKUlT_T0_E_clISt17integral_constantIbLb0EES1E_IbLb1EEEEDaS1A_S1B_EUlS1A_E_NS1_11comp_targetILNS1_3genE9ELNS1_11target_archE1100ELNS1_3gpuE3ELNS1_3repE0EEENS1_30default_config_static_selectorELNS0_4arch9wavefront6targetE1EEEvT1_
		.amdhsa_group_segment_fixed_size 0
		.amdhsa_private_segment_fixed_size 0
		.amdhsa_kernarg_size 144
		.amdhsa_user_sgpr_count 2
		.amdhsa_user_sgpr_dispatch_ptr 0
		.amdhsa_user_sgpr_queue_ptr 0
		.amdhsa_user_sgpr_kernarg_segment_ptr 1
		.amdhsa_user_sgpr_dispatch_id 0
		.amdhsa_user_sgpr_kernarg_preload_length 0
		.amdhsa_user_sgpr_kernarg_preload_offset 0
		.amdhsa_user_sgpr_private_segment_size 0
		.amdhsa_uses_dynamic_stack 0
		.amdhsa_enable_private_segment 0
		.amdhsa_system_sgpr_workgroup_id_x 1
		.amdhsa_system_sgpr_workgroup_id_y 0
		.amdhsa_system_sgpr_workgroup_id_z 0
		.amdhsa_system_sgpr_workgroup_info 0
		.amdhsa_system_vgpr_workitem_id 0
		.amdhsa_next_free_vgpr 1
		.amdhsa_next_free_sgpr 0
		.amdhsa_accum_offset 4
		.amdhsa_reserve_vcc 0
		.amdhsa_float_round_mode_32 0
		.amdhsa_float_round_mode_16_64 0
		.amdhsa_float_denorm_mode_32 3
		.amdhsa_float_denorm_mode_16_64 3
		.amdhsa_dx10_clamp 1
		.amdhsa_ieee_mode 1
		.amdhsa_fp16_overflow 0
		.amdhsa_tg_split 0
		.amdhsa_exception_fp_ieee_invalid_op 0
		.amdhsa_exception_fp_denorm_src 0
		.amdhsa_exception_fp_ieee_div_zero 0
		.amdhsa_exception_fp_ieee_overflow 0
		.amdhsa_exception_fp_ieee_underflow 0
		.amdhsa_exception_fp_ieee_inexact 0
		.amdhsa_exception_int_div_zero 0
	.end_amdhsa_kernel
	.section	.text._ZN7rocprim17ROCPRIM_400000_NS6detail17trampoline_kernelINS0_14default_configENS1_25partition_config_selectorILNS1_17partition_subalgoE2EjNS0_10empty_typeEbEEZZNS1_14partition_implILS5_2ELb0ES3_jN6thrust23THRUST_200600_302600_NS6detail15normal_iteratorINSA_7pointerIjNSA_11hip_rocprim3tagENSA_11use_defaultESG_EEEEPS6_NSA_18transform_iteratorI7is_evenIjENSC_INSA_10device_ptrIjEEEESG_SG_EENS0_5tupleIJPjSJ_EEENSR_IJSJ_SJ_EEES6_PlJS6_EEE10hipError_tPvRmT3_T4_T5_T6_T7_T9_mT8_P12ihipStream_tbDpT10_ENKUlT_T0_E_clISt17integral_constantIbLb0EES1E_IbLb1EEEEDaS1A_S1B_EUlS1A_E_NS1_11comp_targetILNS1_3genE9ELNS1_11target_archE1100ELNS1_3gpuE3ELNS1_3repE0EEENS1_30default_config_static_selectorELNS0_4arch9wavefront6targetE1EEEvT1_,"axG",@progbits,_ZN7rocprim17ROCPRIM_400000_NS6detail17trampoline_kernelINS0_14default_configENS1_25partition_config_selectorILNS1_17partition_subalgoE2EjNS0_10empty_typeEbEEZZNS1_14partition_implILS5_2ELb0ES3_jN6thrust23THRUST_200600_302600_NS6detail15normal_iteratorINSA_7pointerIjNSA_11hip_rocprim3tagENSA_11use_defaultESG_EEEEPS6_NSA_18transform_iteratorI7is_evenIjENSC_INSA_10device_ptrIjEEEESG_SG_EENS0_5tupleIJPjSJ_EEENSR_IJSJ_SJ_EEES6_PlJS6_EEE10hipError_tPvRmT3_T4_T5_T6_T7_T9_mT8_P12ihipStream_tbDpT10_ENKUlT_T0_E_clISt17integral_constantIbLb0EES1E_IbLb1EEEEDaS1A_S1B_EUlS1A_E_NS1_11comp_targetILNS1_3genE9ELNS1_11target_archE1100ELNS1_3gpuE3ELNS1_3repE0EEENS1_30default_config_static_selectorELNS0_4arch9wavefront6targetE1EEEvT1_,comdat
.Lfunc_end2067:
	.size	_ZN7rocprim17ROCPRIM_400000_NS6detail17trampoline_kernelINS0_14default_configENS1_25partition_config_selectorILNS1_17partition_subalgoE2EjNS0_10empty_typeEbEEZZNS1_14partition_implILS5_2ELb0ES3_jN6thrust23THRUST_200600_302600_NS6detail15normal_iteratorINSA_7pointerIjNSA_11hip_rocprim3tagENSA_11use_defaultESG_EEEEPS6_NSA_18transform_iteratorI7is_evenIjENSC_INSA_10device_ptrIjEEEESG_SG_EENS0_5tupleIJPjSJ_EEENSR_IJSJ_SJ_EEES6_PlJS6_EEE10hipError_tPvRmT3_T4_T5_T6_T7_T9_mT8_P12ihipStream_tbDpT10_ENKUlT_T0_E_clISt17integral_constantIbLb0EES1E_IbLb1EEEEDaS1A_S1B_EUlS1A_E_NS1_11comp_targetILNS1_3genE9ELNS1_11target_archE1100ELNS1_3gpuE3ELNS1_3repE0EEENS1_30default_config_static_selectorELNS0_4arch9wavefront6targetE1EEEvT1_, .Lfunc_end2067-_ZN7rocprim17ROCPRIM_400000_NS6detail17trampoline_kernelINS0_14default_configENS1_25partition_config_selectorILNS1_17partition_subalgoE2EjNS0_10empty_typeEbEEZZNS1_14partition_implILS5_2ELb0ES3_jN6thrust23THRUST_200600_302600_NS6detail15normal_iteratorINSA_7pointerIjNSA_11hip_rocprim3tagENSA_11use_defaultESG_EEEEPS6_NSA_18transform_iteratorI7is_evenIjENSC_INSA_10device_ptrIjEEEESG_SG_EENS0_5tupleIJPjSJ_EEENSR_IJSJ_SJ_EEES6_PlJS6_EEE10hipError_tPvRmT3_T4_T5_T6_T7_T9_mT8_P12ihipStream_tbDpT10_ENKUlT_T0_E_clISt17integral_constantIbLb0EES1E_IbLb1EEEEDaS1A_S1B_EUlS1A_E_NS1_11comp_targetILNS1_3genE9ELNS1_11target_archE1100ELNS1_3gpuE3ELNS1_3repE0EEENS1_30default_config_static_selectorELNS0_4arch9wavefront6targetE1EEEvT1_
                                        ; -- End function
	.section	.AMDGPU.csdata,"",@progbits
; Kernel info:
; codeLenInByte = 0
; NumSgprs: 6
; NumVgprs: 0
; NumAgprs: 0
; TotalNumVgprs: 0
; ScratchSize: 0
; MemoryBound: 0
; FloatMode: 240
; IeeeMode: 1
; LDSByteSize: 0 bytes/workgroup (compile time only)
; SGPRBlocks: 0
; VGPRBlocks: 0
; NumSGPRsForWavesPerEU: 6
; NumVGPRsForWavesPerEU: 1
; AccumOffset: 4
; Occupancy: 8
; WaveLimiterHint : 0
; COMPUTE_PGM_RSRC2:SCRATCH_EN: 0
; COMPUTE_PGM_RSRC2:USER_SGPR: 2
; COMPUTE_PGM_RSRC2:TRAP_HANDLER: 0
; COMPUTE_PGM_RSRC2:TGID_X_EN: 1
; COMPUTE_PGM_RSRC2:TGID_Y_EN: 0
; COMPUTE_PGM_RSRC2:TGID_Z_EN: 0
; COMPUTE_PGM_RSRC2:TIDIG_COMP_CNT: 0
; COMPUTE_PGM_RSRC3_GFX90A:ACCUM_OFFSET: 0
; COMPUTE_PGM_RSRC3_GFX90A:TG_SPLIT: 0
	.section	.text._ZN7rocprim17ROCPRIM_400000_NS6detail17trampoline_kernelINS0_14default_configENS1_25partition_config_selectorILNS1_17partition_subalgoE2EjNS0_10empty_typeEbEEZZNS1_14partition_implILS5_2ELb0ES3_jN6thrust23THRUST_200600_302600_NS6detail15normal_iteratorINSA_7pointerIjNSA_11hip_rocprim3tagENSA_11use_defaultESG_EEEEPS6_NSA_18transform_iteratorI7is_evenIjENSC_INSA_10device_ptrIjEEEESG_SG_EENS0_5tupleIJPjSJ_EEENSR_IJSJ_SJ_EEES6_PlJS6_EEE10hipError_tPvRmT3_T4_T5_T6_T7_T9_mT8_P12ihipStream_tbDpT10_ENKUlT_T0_E_clISt17integral_constantIbLb0EES1E_IbLb1EEEEDaS1A_S1B_EUlS1A_E_NS1_11comp_targetILNS1_3genE8ELNS1_11target_archE1030ELNS1_3gpuE2ELNS1_3repE0EEENS1_30default_config_static_selectorELNS0_4arch9wavefront6targetE1EEEvT1_,"axG",@progbits,_ZN7rocprim17ROCPRIM_400000_NS6detail17trampoline_kernelINS0_14default_configENS1_25partition_config_selectorILNS1_17partition_subalgoE2EjNS0_10empty_typeEbEEZZNS1_14partition_implILS5_2ELb0ES3_jN6thrust23THRUST_200600_302600_NS6detail15normal_iteratorINSA_7pointerIjNSA_11hip_rocprim3tagENSA_11use_defaultESG_EEEEPS6_NSA_18transform_iteratorI7is_evenIjENSC_INSA_10device_ptrIjEEEESG_SG_EENS0_5tupleIJPjSJ_EEENSR_IJSJ_SJ_EEES6_PlJS6_EEE10hipError_tPvRmT3_T4_T5_T6_T7_T9_mT8_P12ihipStream_tbDpT10_ENKUlT_T0_E_clISt17integral_constantIbLb0EES1E_IbLb1EEEEDaS1A_S1B_EUlS1A_E_NS1_11comp_targetILNS1_3genE8ELNS1_11target_archE1030ELNS1_3gpuE2ELNS1_3repE0EEENS1_30default_config_static_selectorELNS0_4arch9wavefront6targetE1EEEvT1_,comdat
	.protected	_ZN7rocprim17ROCPRIM_400000_NS6detail17trampoline_kernelINS0_14default_configENS1_25partition_config_selectorILNS1_17partition_subalgoE2EjNS0_10empty_typeEbEEZZNS1_14partition_implILS5_2ELb0ES3_jN6thrust23THRUST_200600_302600_NS6detail15normal_iteratorINSA_7pointerIjNSA_11hip_rocprim3tagENSA_11use_defaultESG_EEEEPS6_NSA_18transform_iteratorI7is_evenIjENSC_INSA_10device_ptrIjEEEESG_SG_EENS0_5tupleIJPjSJ_EEENSR_IJSJ_SJ_EEES6_PlJS6_EEE10hipError_tPvRmT3_T4_T5_T6_T7_T9_mT8_P12ihipStream_tbDpT10_ENKUlT_T0_E_clISt17integral_constantIbLb0EES1E_IbLb1EEEEDaS1A_S1B_EUlS1A_E_NS1_11comp_targetILNS1_3genE8ELNS1_11target_archE1030ELNS1_3gpuE2ELNS1_3repE0EEENS1_30default_config_static_selectorELNS0_4arch9wavefront6targetE1EEEvT1_ ; -- Begin function _ZN7rocprim17ROCPRIM_400000_NS6detail17trampoline_kernelINS0_14default_configENS1_25partition_config_selectorILNS1_17partition_subalgoE2EjNS0_10empty_typeEbEEZZNS1_14partition_implILS5_2ELb0ES3_jN6thrust23THRUST_200600_302600_NS6detail15normal_iteratorINSA_7pointerIjNSA_11hip_rocprim3tagENSA_11use_defaultESG_EEEEPS6_NSA_18transform_iteratorI7is_evenIjENSC_INSA_10device_ptrIjEEEESG_SG_EENS0_5tupleIJPjSJ_EEENSR_IJSJ_SJ_EEES6_PlJS6_EEE10hipError_tPvRmT3_T4_T5_T6_T7_T9_mT8_P12ihipStream_tbDpT10_ENKUlT_T0_E_clISt17integral_constantIbLb0EES1E_IbLb1EEEEDaS1A_S1B_EUlS1A_E_NS1_11comp_targetILNS1_3genE8ELNS1_11target_archE1030ELNS1_3gpuE2ELNS1_3repE0EEENS1_30default_config_static_selectorELNS0_4arch9wavefront6targetE1EEEvT1_
	.globl	_ZN7rocprim17ROCPRIM_400000_NS6detail17trampoline_kernelINS0_14default_configENS1_25partition_config_selectorILNS1_17partition_subalgoE2EjNS0_10empty_typeEbEEZZNS1_14partition_implILS5_2ELb0ES3_jN6thrust23THRUST_200600_302600_NS6detail15normal_iteratorINSA_7pointerIjNSA_11hip_rocprim3tagENSA_11use_defaultESG_EEEEPS6_NSA_18transform_iteratorI7is_evenIjENSC_INSA_10device_ptrIjEEEESG_SG_EENS0_5tupleIJPjSJ_EEENSR_IJSJ_SJ_EEES6_PlJS6_EEE10hipError_tPvRmT3_T4_T5_T6_T7_T9_mT8_P12ihipStream_tbDpT10_ENKUlT_T0_E_clISt17integral_constantIbLb0EES1E_IbLb1EEEEDaS1A_S1B_EUlS1A_E_NS1_11comp_targetILNS1_3genE8ELNS1_11target_archE1030ELNS1_3gpuE2ELNS1_3repE0EEENS1_30default_config_static_selectorELNS0_4arch9wavefront6targetE1EEEvT1_
	.p2align	8
	.type	_ZN7rocprim17ROCPRIM_400000_NS6detail17trampoline_kernelINS0_14default_configENS1_25partition_config_selectorILNS1_17partition_subalgoE2EjNS0_10empty_typeEbEEZZNS1_14partition_implILS5_2ELb0ES3_jN6thrust23THRUST_200600_302600_NS6detail15normal_iteratorINSA_7pointerIjNSA_11hip_rocprim3tagENSA_11use_defaultESG_EEEEPS6_NSA_18transform_iteratorI7is_evenIjENSC_INSA_10device_ptrIjEEEESG_SG_EENS0_5tupleIJPjSJ_EEENSR_IJSJ_SJ_EEES6_PlJS6_EEE10hipError_tPvRmT3_T4_T5_T6_T7_T9_mT8_P12ihipStream_tbDpT10_ENKUlT_T0_E_clISt17integral_constantIbLb0EES1E_IbLb1EEEEDaS1A_S1B_EUlS1A_E_NS1_11comp_targetILNS1_3genE8ELNS1_11target_archE1030ELNS1_3gpuE2ELNS1_3repE0EEENS1_30default_config_static_selectorELNS0_4arch9wavefront6targetE1EEEvT1_,@function
_ZN7rocprim17ROCPRIM_400000_NS6detail17trampoline_kernelINS0_14default_configENS1_25partition_config_selectorILNS1_17partition_subalgoE2EjNS0_10empty_typeEbEEZZNS1_14partition_implILS5_2ELb0ES3_jN6thrust23THRUST_200600_302600_NS6detail15normal_iteratorINSA_7pointerIjNSA_11hip_rocprim3tagENSA_11use_defaultESG_EEEEPS6_NSA_18transform_iteratorI7is_evenIjENSC_INSA_10device_ptrIjEEEESG_SG_EENS0_5tupleIJPjSJ_EEENSR_IJSJ_SJ_EEES6_PlJS6_EEE10hipError_tPvRmT3_T4_T5_T6_T7_T9_mT8_P12ihipStream_tbDpT10_ENKUlT_T0_E_clISt17integral_constantIbLb0EES1E_IbLb1EEEEDaS1A_S1B_EUlS1A_E_NS1_11comp_targetILNS1_3genE8ELNS1_11target_archE1030ELNS1_3gpuE2ELNS1_3repE0EEENS1_30default_config_static_selectorELNS0_4arch9wavefront6targetE1EEEvT1_: ; @_ZN7rocprim17ROCPRIM_400000_NS6detail17trampoline_kernelINS0_14default_configENS1_25partition_config_selectorILNS1_17partition_subalgoE2EjNS0_10empty_typeEbEEZZNS1_14partition_implILS5_2ELb0ES3_jN6thrust23THRUST_200600_302600_NS6detail15normal_iteratorINSA_7pointerIjNSA_11hip_rocprim3tagENSA_11use_defaultESG_EEEEPS6_NSA_18transform_iteratorI7is_evenIjENSC_INSA_10device_ptrIjEEEESG_SG_EENS0_5tupleIJPjSJ_EEENSR_IJSJ_SJ_EEES6_PlJS6_EEE10hipError_tPvRmT3_T4_T5_T6_T7_T9_mT8_P12ihipStream_tbDpT10_ENKUlT_T0_E_clISt17integral_constantIbLb0EES1E_IbLb1EEEEDaS1A_S1B_EUlS1A_E_NS1_11comp_targetILNS1_3genE8ELNS1_11target_archE1030ELNS1_3gpuE2ELNS1_3repE0EEENS1_30default_config_static_selectorELNS0_4arch9wavefront6targetE1EEEvT1_
; %bb.0:
	.section	.rodata,"a",@progbits
	.p2align	6, 0x0
	.amdhsa_kernel _ZN7rocprim17ROCPRIM_400000_NS6detail17trampoline_kernelINS0_14default_configENS1_25partition_config_selectorILNS1_17partition_subalgoE2EjNS0_10empty_typeEbEEZZNS1_14partition_implILS5_2ELb0ES3_jN6thrust23THRUST_200600_302600_NS6detail15normal_iteratorINSA_7pointerIjNSA_11hip_rocprim3tagENSA_11use_defaultESG_EEEEPS6_NSA_18transform_iteratorI7is_evenIjENSC_INSA_10device_ptrIjEEEESG_SG_EENS0_5tupleIJPjSJ_EEENSR_IJSJ_SJ_EEES6_PlJS6_EEE10hipError_tPvRmT3_T4_T5_T6_T7_T9_mT8_P12ihipStream_tbDpT10_ENKUlT_T0_E_clISt17integral_constantIbLb0EES1E_IbLb1EEEEDaS1A_S1B_EUlS1A_E_NS1_11comp_targetILNS1_3genE8ELNS1_11target_archE1030ELNS1_3gpuE2ELNS1_3repE0EEENS1_30default_config_static_selectorELNS0_4arch9wavefront6targetE1EEEvT1_
		.amdhsa_group_segment_fixed_size 0
		.amdhsa_private_segment_fixed_size 0
		.amdhsa_kernarg_size 144
		.amdhsa_user_sgpr_count 2
		.amdhsa_user_sgpr_dispatch_ptr 0
		.amdhsa_user_sgpr_queue_ptr 0
		.amdhsa_user_sgpr_kernarg_segment_ptr 1
		.amdhsa_user_sgpr_dispatch_id 0
		.amdhsa_user_sgpr_kernarg_preload_length 0
		.amdhsa_user_sgpr_kernarg_preload_offset 0
		.amdhsa_user_sgpr_private_segment_size 0
		.amdhsa_uses_dynamic_stack 0
		.amdhsa_enable_private_segment 0
		.amdhsa_system_sgpr_workgroup_id_x 1
		.amdhsa_system_sgpr_workgroup_id_y 0
		.amdhsa_system_sgpr_workgroup_id_z 0
		.amdhsa_system_sgpr_workgroup_info 0
		.amdhsa_system_vgpr_workitem_id 0
		.amdhsa_next_free_vgpr 1
		.amdhsa_next_free_sgpr 0
		.amdhsa_accum_offset 4
		.amdhsa_reserve_vcc 0
		.amdhsa_float_round_mode_32 0
		.amdhsa_float_round_mode_16_64 0
		.amdhsa_float_denorm_mode_32 3
		.amdhsa_float_denorm_mode_16_64 3
		.amdhsa_dx10_clamp 1
		.amdhsa_ieee_mode 1
		.amdhsa_fp16_overflow 0
		.amdhsa_tg_split 0
		.amdhsa_exception_fp_ieee_invalid_op 0
		.amdhsa_exception_fp_denorm_src 0
		.amdhsa_exception_fp_ieee_div_zero 0
		.amdhsa_exception_fp_ieee_overflow 0
		.amdhsa_exception_fp_ieee_underflow 0
		.amdhsa_exception_fp_ieee_inexact 0
		.amdhsa_exception_int_div_zero 0
	.end_amdhsa_kernel
	.section	.text._ZN7rocprim17ROCPRIM_400000_NS6detail17trampoline_kernelINS0_14default_configENS1_25partition_config_selectorILNS1_17partition_subalgoE2EjNS0_10empty_typeEbEEZZNS1_14partition_implILS5_2ELb0ES3_jN6thrust23THRUST_200600_302600_NS6detail15normal_iteratorINSA_7pointerIjNSA_11hip_rocprim3tagENSA_11use_defaultESG_EEEEPS6_NSA_18transform_iteratorI7is_evenIjENSC_INSA_10device_ptrIjEEEESG_SG_EENS0_5tupleIJPjSJ_EEENSR_IJSJ_SJ_EEES6_PlJS6_EEE10hipError_tPvRmT3_T4_T5_T6_T7_T9_mT8_P12ihipStream_tbDpT10_ENKUlT_T0_E_clISt17integral_constantIbLb0EES1E_IbLb1EEEEDaS1A_S1B_EUlS1A_E_NS1_11comp_targetILNS1_3genE8ELNS1_11target_archE1030ELNS1_3gpuE2ELNS1_3repE0EEENS1_30default_config_static_selectorELNS0_4arch9wavefront6targetE1EEEvT1_,"axG",@progbits,_ZN7rocprim17ROCPRIM_400000_NS6detail17trampoline_kernelINS0_14default_configENS1_25partition_config_selectorILNS1_17partition_subalgoE2EjNS0_10empty_typeEbEEZZNS1_14partition_implILS5_2ELb0ES3_jN6thrust23THRUST_200600_302600_NS6detail15normal_iteratorINSA_7pointerIjNSA_11hip_rocprim3tagENSA_11use_defaultESG_EEEEPS6_NSA_18transform_iteratorI7is_evenIjENSC_INSA_10device_ptrIjEEEESG_SG_EENS0_5tupleIJPjSJ_EEENSR_IJSJ_SJ_EEES6_PlJS6_EEE10hipError_tPvRmT3_T4_T5_T6_T7_T9_mT8_P12ihipStream_tbDpT10_ENKUlT_T0_E_clISt17integral_constantIbLb0EES1E_IbLb1EEEEDaS1A_S1B_EUlS1A_E_NS1_11comp_targetILNS1_3genE8ELNS1_11target_archE1030ELNS1_3gpuE2ELNS1_3repE0EEENS1_30default_config_static_selectorELNS0_4arch9wavefront6targetE1EEEvT1_,comdat
.Lfunc_end2068:
	.size	_ZN7rocprim17ROCPRIM_400000_NS6detail17trampoline_kernelINS0_14default_configENS1_25partition_config_selectorILNS1_17partition_subalgoE2EjNS0_10empty_typeEbEEZZNS1_14partition_implILS5_2ELb0ES3_jN6thrust23THRUST_200600_302600_NS6detail15normal_iteratorINSA_7pointerIjNSA_11hip_rocprim3tagENSA_11use_defaultESG_EEEEPS6_NSA_18transform_iteratorI7is_evenIjENSC_INSA_10device_ptrIjEEEESG_SG_EENS0_5tupleIJPjSJ_EEENSR_IJSJ_SJ_EEES6_PlJS6_EEE10hipError_tPvRmT3_T4_T5_T6_T7_T9_mT8_P12ihipStream_tbDpT10_ENKUlT_T0_E_clISt17integral_constantIbLb0EES1E_IbLb1EEEEDaS1A_S1B_EUlS1A_E_NS1_11comp_targetILNS1_3genE8ELNS1_11target_archE1030ELNS1_3gpuE2ELNS1_3repE0EEENS1_30default_config_static_selectorELNS0_4arch9wavefront6targetE1EEEvT1_, .Lfunc_end2068-_ZN7rocprim17ROCPRIM_400000_NS6detail17trampoline_kernelINS0_14default_configENS1_25partition_config_selectorILNS1_17partition_subalgoE2EjNS0_10empty_typeEbEEZZNS1_14partition_implILS5_2ELb0ES3_jN6thrust23THRUST_200600_302600_NS6detail15normal_iteratorINSA_7pointerIjNSA_11hip_rocprim3tagENSA_11use_defaultESG_EEEEPS6_NSA_18transform_iteratorI7is_evenIjENSC_INSA_10device_ptrIjEEEESG_SG_EENS0_5tupleIJPjSJ_EEENSR_IJSJ_SJ_EEES6_PlJS6_EEE10hipError_tPvRmT3_T4_T5_T6_T7_T9_mT8_P12ihipStream_tbDpT10_ENKUlT_T0_E_clISt17integral_constantIbLb0EES1E_IbLb1EEEEDaS1A_S1B_EUlS1A_E_NS1_11comp_targetILNS1_3genE8ELNS1_11target_archE1030ELNS1_3gpuE2ELNS1_3repE0EEENS1_30default_config_static_selectorELNS0_4arch9wavefront6targetE1EEEvT1_
                                        ; -- End function
	.section	.AMDGPU.csdata,"",@progbits
; Kernel info:
; codeLenInByte = 0
; NumSgprs: 6
; NumVgprs: 0
; NumAgprs: 0
; TotalNumVgprs: 0
; ScratchSize: 0
; MemoryBound: 0
; FloatMode: 240
; IeeeMode: 1
; LDSByteSize: 0 bytes/workgroup (compile time only)
; SGPRBlocks: 0
; VGPRBlocks: 0
; NumSGPRsForWavesPerEU: 6
; NumVGPRsForWavesPerEU: 1
; AccumOffset: 4
; Occupancy: 8
; WaveLimiterHint : 0
; COMPUTE_PGM_RSRC2:SCRATCH_EN: 0
; COMPUTE_PGM_RSRC2:USER_SGPR: 2
; COMPUTE_PGM_RSRC2:TRAP_HANDLER: 0
; COMPUTE_PGM_RSRC2:TGID_X_EN: 1
; COMPUTE_PGM_RSRC2:TGID_Y_EN: 0
; COMPUTE_PGM_RSRC2:TGID_Z_EN: 0
; COMPUTE_PGM_RSRC2:TIDIG_COMP_CNT: 0
; COMPUTE_PGM_RSRC3_GFX90A:ACCUM_OFFSET: 0
; COMPUTE_PGM_RSRC3_GFX90A:TG_SPLIT: 0
	.section	.text._ZN6thrust23THRUST_200600_302600_NS11hip_rocprim14__parallel_for6kernelILj256ENS1_13__swap_ranges6swap_fINS0_6detail15normal_iteratorINS0_10device_ptrIjEEEENS0_16reverse_iteratorISA_EEEElLj1EEEvT0_T1_SF_,"axG",@progbits,_ZN6thrust23THRUST_200600_302600_NS11hip_rocprim14__parallel_for6kernelILj256ENS1_13__swap_ranges6swap_fINS0_6detail15normal_iteratorINS0_10device_ptrIjEEEENS0_16reverse_iteratorISA_EEEElLj1EEEvT0_T1_SF_,comdat
	.protected	_ZN6thrust23THRUST_200600_302600_NS11hip_rocprim14__parallel_for6kernelILj256ENS1_13__swap_ranges6swap_fINS0_6detail15normal_iteratorINS0_10device_ptrIjEEEENS0_16reverse_iteratorISA_EEEElLj1EEEvT0_T1_SF_ ; -- Begin function _ZN6thrust23THRUST_200600_302600_NS11hip_rocprim14__parallel_for6kernelILj256ENS1_13__swap_ranges6swap_fINS0_6detail15normal_iteratorINS0_10device_ptrIjEEEENS0_16reverse_iteratorISA_EEEElLj1EEEvT0_T1_SF_
	.globl	_ZN6thrust23THRUST_200600_302600_NS11hip_rocprim14__parallel_for6kernelILj256ENS1_13__swap_ranges6swap_fINS0_6detail15normal_iteratorINS0_10device_ptrIjEEEENS0_16reverse_iteratorISA_EEEElLj1EEEvT0_T1_SF_
	.p2align	8
	.type	_ZN6thrust23THRUST_200600_302600_NS11hip_rocprim14__parallel_for6kernelILj256ENS1_13__swap_ranges6swap_fINS0_6detail15normal_iteratorINS0_10device_ptrIjEEEENS0_16reverse_iteratorISA_EEEElLj1EEEvT0_T1_SF_,@function
_ZN6thrust23THRUST_200600_302600_NS11hip_rocprim14__parallel_for6kernelILj256ENS1_13__swap_ranges6swap_fINS0_6detail15normal_iteratorINS0_10device_ptrIjEEEENS0_16reverse_iteratorISA_EEEElLj1EEEvT0_T1_SF_: ; @_ZN6thrust23THRUST_200600_302600_NS11hip_rocprim14__parallel_for6kernelILj256ENS1_13__swap_ranges6swap_fINS0_6detail15normal_iteratorINS0_10device_ptrIjEEEENS0_16reverse_iteratorISA_EEEElLj1EEEvT0_T1_SF_
; %bb.0:
	s_load_dwordx8 s[4:11], s[0:1], 0x0
	s_lshl_b32 s0, s2, 8
	v_mov_b64_e32 v[2:3], 0x100
	s_waitcnt lgkmcnt(0)
	s_add_u32 s0, s0, s10
	s_addc_u32 s1, 0, s11
	s_sub_u32 s2, s8, s0
	s_subb_u32 s3, s9, s1
	v_cmp_lt_i64_e32 vcc, s[2:3], v[2:3]
	s_and_b64 s[8:9], vcc, exec
	s_cselect_b32 s8, s2, 0x100
	s_cmpk_lg_i32 s8, 0x100
	s_mov_b64 s[2:3], -1
	s_cbranch_scc1 .LBB2069_3
; %bb.1:
	s_andn2_b64 vcc, exec, s[2:3]
	s_cbranch_vccz .LBB2069_6
.LBB2069_2:
	s_endpgm
.LBB2069_3:
	v_cmp_gt_u32_e32 vcc, s8, v0
	s_and_saveexec_b64 s[2:3], vcc
	s_cbranch_execz .LBB2069_5
; %bb.4:
	v_mov_b32_e32 v1, 0
	v_lshl_add_u64 v[2:3], s[0:1], 0, v[0:1]
	v_lshlrev_b64 v[2:3], 2, v[2:3]
	v_mov_b32_e32 v1, s7
	v_sub_co_u32_e32 v4, vcc, s6, v2
	s_nop 1
	v_subb_co_u32_e32 v1, vcc, v1, v3, vcc
	v_add_co_u32_e32 v4, vcc, -4, v4
	v_lshl_add_u64 v[2:3], s[4:5], 0, v[2:3]
	s_nop 0
	v_addc_co_u32_e32 v5, vcc, -1, v1, vcc
	flat_load_dword v1, v[4:5]
	flat_load_dword v6, v[2:3]
	s_waitcnt vmcnt(0) lgkmcnt(0)
	flat_store_dword v[2:3], v1
	flat_store_dword v[4:5], v6
.LBB2069_5:
	s_or_b64 exec, exec, s[2:3]
	s_cbranch_execnz .LBB2069_2
.LBB2069_6:
	v_mov_b32_e32 v1, 0
	v_lshl_add_u64 v[0:1], s[0:1], 0, v[0:1]
	v_lshlrev_b64 v[0:1], 2, v[0:1]
	v_lshl_add_u64 v[2:3], s[4:5], 0, v[0:1]
	v_mov_b32_e32 v4, s7
	v_sub_co_u32_e32 v0, vcc, s6, v0
	s_nop 1
	v_subb_co_u32_e32 v1, vcc, v4, v1, vcc
	v_add_co_u32_e32 v0, vcc, -4, v0
	s_nop 1
	v_addc_co_u32_e32 v1, vcc, -1, v1, vcc
	flat_load_dword v4, v[0:1]
	flat_load_dword v5, v[2:3]
	s_waitcnt vmcnt(0) lgkmcnt(0)
	flat_store_dword v[2:3], v4
	flat_store_dword v[0:1], v5
	s_endpgm
	.section	.rodata,"a",@progbits
	.p2align	6, 0x0
	.amdhsa_kernel _ZN6thrust23THRUST_200600_302600_NS11hip_rocprim14__parallel_for6kernelILj256ENS1_13__swap_ranges6swap_fINS0_6detail15normal_iteratorINS0_10device_ptrIjEEEENS0_16reverse_iteratorISA_EEEElLj1EEEvT0_T1_SF_
		.amdhsa_group_segment_fixed_size 0
		.amdhsa_private_segment_fixed_size 0
		.amdhsa_kernarg_size 32
		.amdhsa_user_sgpr_count 2
		.amdhsa_user_sgpr_dispatch_ptr 0
		.amdhsa_user_sgpr_queue_ptr 0
		.amdhsa_user_sgpr_kernarg_segment_ptr 1
		.amdhsa_user_sgpr_dispatch_id 0
		.amdhsa_user_sgpr_kernarg_preload_length 0
		.amdhsa_user_sgpr_kernarg_preload_offset 0
		.amdhsa_user_sgpr_private_segment_size 0
		.amdhsa_uses_dynamic_stack 0
		.amdhsa_enable_private_segment 0
		.amdhsa_system_sgpr_workgroup_id_x 1
		.amdhsa_system_sgpr_workgroup_id_y 0
		.amdhsa_system_sgpr_workgroup_id_z 0
		.amdhsa_system_sgpr_workgroup_info 0
		.amdhsa_system_vgpr_workitem_id 0
		.amdhsa_next_free_vgpr 7
		.amdhsa_next_free_sgpr 12
		.amdhsa_accum_offset 8
		.amdhsa_reserve_vcc 1
		.amdhsa_float_round_mode_32 0
		.amdhsa_float_round_mode_16_64 0
		.amdhsa_float_denorm_mode_32 3
		.amdhsa_float_denorm_mode_16_64 3
		.amdhsa_dx10_clamp 1
		.amdhsa_ieee_mode 1
		.amdhsa_fp16_overflow 0
		.amdhsa_tg_split 0
		.amdhsa_exception_fp_ieee_invalid_op 0
		.amdhsa_exception_fp_denorm_src 0
		.amdhsa_exception_fp_ieee_div_zero 0
		.amdhsa_exception_fp_ieee_overflow 0
		.amdhsa_exception_fp_ieee_underflow 0
		.amdhsa_exception_fp_ieee_inexact 0
		.amdhsa_exception_int_div_zero 0
	.end_amdhsa_kernel
	.section	.text._ZN6thrust23THRUST_200600_302600_NS11hip_rocprim14__parallel_for6kernelILj256ENS1_13__swap_ranges6swap_fINS0_6detail15normal_iteratorINS0_10device_ptrIjEEEENS0_16reverse_iteratorISA_EEEElLj1EEEvT0_T1_SF_,"axG",@progbits,_ZN6thrust23THRUST_200600_302600_NS11hip_rocprim14__parallel_for6kernelILj256ENS1_13__swap_ranges6swap_fINS0_6detail15normal_iteratorINS0_10device_ptrIjEEEENS0_16reverse_iteratorISA_EEEElLj1EEEvT0_T1_SF_,comdat
.Lfunc_end2069:
	.size	_ZN6thrust23THRUST_200600_302600_NS11hip_rocprim14__parallel_for6kernelILj256ENS1_13__swap_ranges6swap_fINS0_6detail15normal_iteratorINS0_10device_ptrIjEEEENS0_16reverse_iteratorISA_EEEElLj1EEEvT0_T1_SF_, .Lfunc_end2069-_ZN6thrust23THRUST_200600_302600_NS11hip_rocprim14__parallel_for6kernelILj256ENS1_13__swap_ranges6swap_fINS0_6detail15normal_iteratorINS0_10device_ptrIjEEEENS0_16reverse_iteratorISA_EEEElLj1EEEvT0_T1_SF_
                                        ; -- End function
	.section	.AMDGPU.csdata,"",@progbits
; Kernel info:
; codeLenInByte = 288
; NumSgprs: 18
; NumVgprs: 7
; NumAgprs: 0
; TotalNumVgprs: 7
; ScratchSize: 0
; MemoryBound: 0
; FloatMode: 240
; IeeeMode: 1
; LDSByteSize: 0 bytes/workgroup (compile time only)
; SGPRBlocks: 2
; VGPRBlocks: 0
; NumSGPRsForWavesPerEU: 18
; NumVGPRsForWavesPerEU: 7
; AccumOffset: 8
; Occupancy: 8
; WaveLimiterHint : 0
; COMPUTE_PGM_RSRC2:SCRATCH_EN: 0
; COMPUTE_PGM_RSRC2:USER_SGPR: 2
; COMPUTE_PGM_RSRC2:TRAP_HANDLER: 0
; COMPUTE_PGM_RSRC2:TGID_X_EN: 1
; COMPUTE_PGM_RSRC2:TGID_Y_EN: 0
; COMPUTE_PGM_RSRC2:TGID_Z_EN: 0
; COMPUTE_PGM_RSRC2:TIDIG_COMP_CNT: 0
; COMPUTE_PGM_RSRC3_GFX90A:ACCUM_OFFSET: 1
; COMPUTE_PGM_RSRC3_GFX90A:TG_SPLIT: 0
	.section	.text._ZN7rocprim17ROCPRIM_400000_NS6detail17trampoline_kernelINS0_14default_configENS1_25partition_config_selectorILNS1_17partition_subalgoE2EtNS0_10empty_typeEbEEZZNS1_14partition_implILS5_2ELb0ES3_jN6thrust23THRUST_200600_302600_NS6detail15normal_iteratorINSA_7pointerItNSA_11hip_rocprim3tagENSA_11use_defaultESG_EEEEPS6_NSA_18transform_iteratorI7is_evenItENSC_INSA_10device_ptrItEEEESG_SG_EENS0_5tupleIJPtSJ_EEENSR_IJSJ_SJ_EEES6_PlJS6_EEE10hipError_tPvRmT3_T4_T5_T6_T7_T9_mT8_P12ihipStream_tbDpT10_ENKUlT_T0_E_clISt17integral_constantIbLb0EES1F_EEDaS1A_S1B_EUlS1A_E_NS1_11comp_targetILNS1_3genE0ELNS1_11target_archE4294967295ELNS1_3gpuE0ELNS1_3repE0EEENS1_30default_config_static_selectorELNS0_4arch9wavefront6targetE1EEEvT1_,"axG",@progbits,_ZN7rocprim17ROCPRIM_400000_NS6detail17trampoline_kernelINS0_14default_configENS1_25partition_config_selectorILNS1_17partition_subalgoE2EtNS0_10empty_typeEbEEZZNS1_14partition_implILS5_2ELb0ES3_jN6thrust23THRUST_200600_302600_NS6detail15normal_iteratorINSA_7pointerItNSA_11hip_rocprim3tagENSA_11use_defaultESG_EEEEPS6_NSA_18transform_iteratorI7is_evenItENSC_INSA_10device_ptrItEEEESG_SG_EENS0_5tupleIJPtSJ_EEENSR_IJSJ_SJ_EEES6_PlJS6_EEE10hipError_tPvRmT3_T4_T5_T6_T7_T9_mT8_P12ihipStream_tbDpT10_ENKUlT_T0_E_clISt17integral_constantIbLb0EES1F_EEDaS1A_S1B_EUlS1A_E_NS1_11comp_targetILNS1_3genE0ELNS1_11target_archE4294967295ELNS1_3gpuE0ELNS1_3repE0EEENS1_30default_config_static_selectorELNS0_4arch9wavefront6targetE1EEEvT1_,comdat
	.protected	_ZN7rocprim17ROCPRIM_400000_NS6detail17trampoline_kernelINS0_14default_configENS1_25partition_config_selectorILNS1_17partition_subalgoE2EtNS0_10empty_typeEbEEZZNS1_14partition_implILS5_2ELb0ES3_jN6thrust23THRUST_200600_302600_NS6detail15normal_iteratorINSA_7pointerItNSA_11hip_rocprim3tagENSA_11use_defaultESG_EEEEPS6_NSA_18transform_iteratorI7is_evenItENSC_INSA_10device_ptrItEEEESG_SG_EENS0_5tupleIJPtSJ_EEENSR_IJSJ_SJ_EEES6_PlJS6_EEE10hipError_tPvRmT3_T4_T5_T6_T7_T9_mT8_P12ihipStream_tbDpT10_ENKUlT_T0_E_clISt17integral_constantIbLb0EES1F_EEDaS1A_S1B_EUlS1A_E_NS1_11comp_targetILNS1_3genE0ELNS1_11target_archE4294967295ELNS1_3gpuE0ELNS1_3repE0EEENS1_30default_config_static_selectorELNS0_4arch9wavefront6targetE1EEEvT1_ ; -- Begin function _ZN7rocprim17ROCPRIM_400000_NS6detail17trampoline_kernelINS0_14default_configENS1_25partition_config_selectorILNS1_17partition_subalgoE2EtNS0_10empty_typeEbEEZZNS1_14partition_implILS5_2ELb0ES3_jN6thrust23THRUST_200600_302600_NS6detail15normal_iteratorINSA_7pointerItNSA_11hip_rocprim3tagENSA_11use_defaultESG_EEEEPS6_NSA_18transform_iteratorI7is_evenItENSC_INSA_10device_ptrItEEEESG_SG_EENS0_5tupleIJPtSJ_EEENSR_IJSJ_SJ_EEES6_PlJS6_EEE10hipError_tPvRmT3_T4_T5_T6_T7_T9_mT8_P12ihipStream_tbDpT10_ENKUlT_T0_E_clISt17integral_constantIbLb0EES1F_EEDaS1A_S1B_EUlS1A_E_NS1_11comp_targetILNS1_3genE0ELNS1_11target_archE4294967295ELNS1_3gpuE0ELNS1_3repE0EEENS1_30default_config_static_selectorELNS0_4arch9wavefront6targetE1EEEvT1_
	.globl	_ZN7rocprim17ROCPRIM_400000_NS6detail17trampoline_kernelINS0_14default_configENS1_25partition_config_selectorILNS1_17partition_subalgoE2EtNS0_10empty_typeEbEEZZNS1_14partition_implILS5_2ELb0ES3_jN6thrust23THRUST_200600_302600_NS6detail15normal_iteratorINSA_7pointerItNSA_11hip_rocprim3tagENSA_11use_defaultESG_EEEEPS6_NSA_18transform_iteratorI7is_evenItENSC_INSA_10device_ptrItEEEESG_SG_EENS0_5tupleIJPtSJ_EEENSR_IJSJ_SJ_EEES6_PlJS6_EEE10hipError_tPvRmT3_T4_T5_T6_T7_T9_mT8_P12ihipStream_tbDpT10_ENKUlT_T0_E_clISt17integral_constantIbLb0EES1F_EEDaS1A_S1B_EUlS1A_E_NS1_11comp_targetILNS1_3genE0ELNS1_11target_archE4294967295ELNS1_3gpuE0ELNS1_3repE0EEENS1_30default_config_static_selectorELNS0_4arch9wavefront6targetE1EEEvT1_
	.p2align	8
	.type	_ZN7rocprim17ROCPRIM_400000_NS6detail17trampoline_kernelINS0_14default_configENS1_25partition_config_selectorILNS1_17partition_subalgoE2EtNS0_10empty_typeEbEEZZNS1_14partition_implILS5_2ELb0ES3_jN6thrust23THRUST_200600_302600_NS6detail15normal_iteratorINSA_7pointerItNSA_11hip_rocprim3tagENSA_11use_defaultESG_EEEEPS6_NSA_18transform_iteratorI7is_evenItENSC_INSA_10device_ptrItEEEESG_SG_EENS0_5tupleIJPtSJ_EEENSR_IJSJ_SJ_EEES6_PlJS6_EEE10hipError_tPvRmT3_T4_T5_T6_T7_T9_mT8_P12ihipStream_tbDpT10_ENKUlT_T0_E_clISt17integral_constantIbLb0EES1F_EEDaS1A_S1B_EUlS1A_E_NS1_11comp_targetILNS1_3genE0ELNS1_11target_archE4294967295ELNS1_3gpuE0ELNS1_3repE0EEENS1_30default_config_static_selectorELNS0_4arch9wavefront6targetE1EEEvT1_,@function
_ZN7rocprim17ROCPRIM_400000_NS6detail17trampoline_kernelINS0_14default_configENS1_25partition_config_selectorILNS1_17partition_subalgoE2EtNS0_10empty_typeEbEEZZNS1_14partition_implILS5_2ELb0ES3_jN6thrust23THRUST_200600_302600_NS6detail15normal_iteratorINSA_7pointerItNSA_11hip_rocprim3tagENSA_11use_defaultESG_EEEEPS6_NSA_18transform_iteratorI7is_evenItENSC_INSA_10device_ptrItEEEESG_SG_EENS0_5tupleIJPtSJ_EEENSR_IJSJ_SJ_EEES6_PlJS6_EEE10hipError_tPvRmT3_T4_T5_T6_T7_T9_mT8_P12ihipStream_tbDpT10_ENKUlT_T0_E_clISt17integral_constantIbLb0EES1F_EEDaS1A_S1B_EUlS1A_E_NS1_11comp_targetILNS1_3genE0ELNS1_11target_archE4294967295ELNS1_3gpuE0ELNS1_3repE0EEENS1_30default_config_static_selectorELNS0_4arch9wavefront6targetE1EEEvT1_: ; @_ZN7rocprim17ROCPRIM_400000_NS6detail17trampoline_kernelINS0_14default_configENS1_25partition_config_selectorILNS1_17partition_subalgoE2EtNS0_10empty_typeEbEEZZNS1_14partition_implILS5_2ELb0ES3_jN6thrust23THRUST_200600_302600_NS6detail15normal_iteratorINSA_7pointerItNSA_11hip_rocprim3tagENSA_11use_defaultESG_EEEEPS6_NSA_18transform_iteratorI7is_evenItENSC_INSA_10device_ptrItEEEESG_SG_EENS0_5tupleIJPtSJ_EEENSR_IJSJ_SJ_EEES6_PlJS6_EEE10hipError_tPvRmT3_T4_T5_T6_T7_T9_mT8_P12ihipStream_tbDpT10_ENKUlT_T0_E_clISt17integral_constantIbLb0EES1F_EEDaS1A_S1B_EUlS1A_E_NS1_11comp_targetILNS1_3genE0ELNS1_11target_archE4294967295ELNS1_3gpuE0ELNS1_3repE0EEENS1_30default_config_static_selectorELNS0_4arch9wavefront6targetE1EEEvT1_
; %bb.0:
	.section	.rodata,"a",@progbits
	.p2align	6, 0x0
	.amdhsa_kernel _ZN7rocprim17ROCPRIM_400000_NS6detail17trampoline_kernelINS0_14default_configENS1_25partition_config_selectorILNS1_17partition_subalgoE2EtNS0_10empty_typeEbEEZZNS1_14partition_implILS5_2ELb0ES3_jN6thrust23THRUST_200600_302600_NS6detail15normal_iteratorINSA_7pointerItNSA_11hip_rocprim3tagENSA_11use_defaultESG_EEEEPS6_NSA_18transform_iteratorI7is_evenItENSC_INSA_10device_ptrItEEEESG_SG_EENS0_5tupleIJPtSJ_EEENSR_IJSJ_SJ_EEES6_PlJS6_EEE10hipError_tPvRmT3_T4_T5_T6_T7_T9_mT8_P12ihipStream_tbDpT10_ENKUlT_T0_E_clISt17integral_constantIbLb0EES1F_EEDaS1A_S1B_EUlS1A_E_NS1_11comp_targetILNS1_3genE0ELNS1_11target_archE4294967295ELNS1_3gpuE0ELNS1_3repE0EEENS1_30default_config_static_selectorELNS0_4arch9wavefront6targetE1EEEvT1_
		.amdhsa_group_segment_fixed_size 0
		.amdhsa_private_segment_fixed_size 0
		.amdhsa_kernarg_size 128
		.amdhsa_user_sgpr_count 2
		.amdhsa_user_sgpr_dispatch_ptr 0
		.amdhsa_user_sgpr_queue_ptr 0
		.amdhsa_user_sgpr_kernarg_segment_ptr 1
		.amdhsa_user_sgpr_dispatch_id 0
		.amdhsa_user_sgpr_kernarg_preload_length 0
		.amdhsa_user_sgpr_kernarg_preload_offset 0
		.amdhsa_user_sgpr_private_segment_size 0
		.amdhsa_uses_dynamic_stack 0
		.amdhsa_enable_private_segment 0
		.amdhsa_system_sgpr_workgroup_id_x 1
		.amdhsa_system_sgpr_workgroup_id_y 0
		.amdhsa_system_sgpr_workgroup_id_z 0
		.amdhsa_system_sgpr_workgroup_info 0
		.amdhsa_system_vgpr_workitem_id 0
		.amdhsa_next_free_vgpr 1
		.amdhsa_next_free_sgpr 0
		.amdhsa_accum_offset 4
		.amdhsa_reserve_vcc 0
		.amdhsa_float_round_mode_32 0
		.amdhsa_float_round_mode_16_64 0
		.amdhsa_float_denorm_mode_32 3
		.amdhsa_float_denorm_mode_16_64 3
		.amdhsa_dx10_clamp 1
		.amdhsa_ieee_mode 1
		.amdhsa_fp16_overflow 0
		.amdhsa_tg_split 0
		.amdhsa_exception_fp_ieee_invalid_op 0
		.amdhsa_exception_fp_denorm_src 0
		.amdhsa_exception_fp_ieee_div_zero 0
		.amdhsa_exception_fp_ieee_overflow 0
		.amdhsa_exception_fp_ieee_underflow 0
		.amdhsa_exception_fp_ieee_inexact 0
		.amdhsa_exception_int_div_zero 0
	.end_amdhsa_kernel
	.section	.text._ZN7rocprim17ROCPRIM_400000_NS6detail17trampoline_kernelINS0_14default_configENS1_25partition_config_selectorILNS1_17partition_subalgoE2EtNS0_10empty_typeEbEEZZNS1_14partition_implILS5_2ELb0ES3_jN6thrust23THRUST_200600_302600_NS6detail15normal_iteratorINSA_7pointerItNSA_11hip_rocprim3tagENSA_11use_defaultESG_EEEEPS6_NSA_18transform_iteratorI7is_evenItENSC_INSA_10device_ptrItEEEESG_SG_EENS0_5tupleIJPtSJ_EEENSR_IJSJ_SJ_EEES6_PlJS6_EEE10hipError_tPvRmT3_T4_T5_T6_T7_T9_mT8_P12ihipStream_tbDpT10_ENKUlT_T0_E_clISt17integral_constantIbLb0EES1F_EEDaS1A_S1B_EUlS1A_E_NS1_11comp_targetILNS1_3genE0ELNS1_11target_archE4294967295ELNS1_3gpuE0ELNS1_3repE0EEENS1_30default_config_static_selectorELNS0_4arch9wavefront6targetE1EEEvT1_,"axG",@progbits,_ZN7rocprim17ROCPRIM_400000_NS6detail17trampoline_kernelINS0_14default_configENS1_25partition_config_selectorILNS1_17partition_subalgoE2EtNS0_10empty_typeEbEEZZNS1_14partition_implILS5_2ELb0ES3_jN6thrust23THRUST_200600_302600_NS6detail15normal_iteratorINSA_7pointerItNSA_11hip_rocprim3tagENSA_11use_defaultESG_EEEEPS6_NSA_18transform_iteratorI7is_evenItENSC_INSA_10device_ptrItEEEESG_SG_EENS0_5tupleIJPtSJ_EEENSR_IJSJ_SJ_EEES6_PlJS6_EEE10hipError_tPvRmT3_T4_T5_T6_T7_T9_mT8_P12ihipStream_tbDpT10_ENKUlT_T0_E_clISt17integral_constantIbLb0EES1F_EEDaS1A_S1B_EUlS1A_E_NS1_11comp_targetILNS1_3genE0ELNS1_11target_archE4294967295ELNS1_3gpuE0ELNS1_3repE0EEENS1_30default_config_static_selectorELNS0_4arch9wavefront6targetE1EEEvT1_,comdat
.Lfunc_end2070:
	.size	_ZN7rocprim17ROCPRIM_400000_NS6detail17trampoline_kernelINS0_14default_configENS1_25partition_config_selectorILNS1_17partition_subalgoE2EtNS0_10empty_typeEbEEZZNS1_14partition_implILS5_2ELb0ES3_jN6thrust23THRUST_200600_302600_NS6detail15normal_iteratorINSA_7pointerItNSA_11hip_rocprim3tagENSA_11use_defaultESG_EEEEPS6_NSA_18transform_iteratorI7is_evenItENSC_INSA_10device_ptrItEEEESG_SG_EENS0_5tupleIJPtSJ_EEENSR_IJSJ_SJ_EEES6_PlJS6_EEE10hipError_tPvRmT3_T4_T5_T6_T7_T9_mT8_P12ihipStream_tbDpT10_ENKUlT_T0_E_clISt17integral_constantIbLb0EES1F_EEDaS1A_S1B_EUlS1A_E_NS1_11comp_targetILNS1_3genE0ELNS1_11target_archE4294967295ELNS1_3gpuE0ELNS1_3repE0EEENS1_30default_config_static_selectorELNS0_4arch9wavefront6targetE1EEEvT1_, .Lfunc_end2070-_ZN7rocprim17ROCPRIM_400000_NS6detail17trampoline_kernelINS0_14default_configENS1_25partition_config_selectorILNS1_17partition_subalgoE2EtNS0_10empty_typeEbEEZZNS1_14partition_implILS5_2ELb0ES3_jN6thrust23THRUST_200600_302600_NS6detail15normal_iteratorINSA_7pointerItNSA_11hip_rocprim3tagENSA_11use_defaultESG_EEEEPS6_NSA_18transform_iteratorI7is_evenItENSC_INSA_10device_ptrItEEEESG_SG_EENS0_5tupleIJPtSJ_EEENSR_IJSJ_SJ_EEES6_PlJS6_EEE10hipError_tPvRmT3_T4_T5_T6_T7_T9_mT8_P12ihipStream_tbDpT10_ENKUlT_T0_E_clISt17integral_constantIbLb0EES1F_EEDaS1A_S1B_EUlS1A_E_NS1_11comp_targetILNS1_3genE0ELNS1_11target_archE4294967295ELNS1_3gpuE0ELNS1_3repE0EEENS1_30default_config_static_selectorELNS0_4arch9wavefront6targetE1EEEvT1_
                                        ; -- End function
	.section	.AMDGPU.csdata,"",@progbits
; Kernel info:
; codeLenInByte = 0
; NumSgprs: 6
; NumVgprs: 0
; NumAgprs: 0
; TotalNumVgprs: 0
; ScratchSize: 0
; MemoryBound: 0
; FloatMode: 240
; IeeeMode: 1
; LDSByteSize: 0 bytes/workgroup (compile time only)
; SGPRBlocks: 0
; VGPRBlocks: 0
; NumSGPRsForWavesPerEU: 6
; NumVGPRsForWavesPerEU: 1
; AccumOffset: 4
; Occupancy: 8
; WaveLimiterHint : 0
; COMPUTE_PGM_RSRC2:SCRATCH_EN: 0
; COMPUTE_PGM_RSRC2:USER_SGPR: 2
; COMPUTE_PGM_RSRC2:TRAP_HANDLER: 0
; COMPUTE_PGM_RSRC2:TGID_X_EN: 1
; COMPUTE_PGM_RSRC2:TGID_Y_EN: 0
; COMPUTE_PGM_RSRC2:TGID_Z_EN: 0
; COMPUTE_PGM_RSRC2:TIDIG_COMP_CNT: 0
; COMPUTE_PGM_RSRC3_GFX90A:ACCUM_OFFSET: 0
; COMPUTE_PGM_RSRC3_GFX90A:TG_SPLIT: 0
	.section	.text._ZN7rocprim17ROCPRIM_400000_NS6detail17trampoline_kernelINS0_14default_configENS1_25partition_config_selectorILNS1_17partition_subalgoE2EtNS0_10empty_typeEbEEZZNS1_14partition_implILS5_2ELb0ES3_jN6thrust23THRUST_200600_302600_NS6detail15normal_iteratorINSA_7pointerItNSA_11hip_rocprim3tagENSA_11use_defaultESG_EEEEPS6_NSA_18transform_iteratorI7is_evenItENSC_INSA_10device_ptrItEEEESG_SG_EENS0_5tupleIJPtSJ_EEENSR_IJSJ_SJ_EEES6_PlJS6_EEE10hipError_tPvRmT3_T4_T5_T6_T7_T9_mT8_P12ihipStream_tbDpT10_ENKUlT_T0_E_clISt17integral_constantIbLb0EES1F_EEDaS1A_S1B_EUlS1A_E_NS1_11comp_targetILNS1_3genE5ELNS1_11target_archE942ELNS1_3gpuE9ELNS1_3repE0EEENS1_30default_config_static_selectorELNS0_4arch9wavefront6targetE1EEEvT1_,"axG",@progbits,_ZN7rocprim17ROCPRIM_400000_NS6detail17trampoline_kernelINS0_14default_configENS1_25partition_config_selectorILNS1_17partition_subalgoE2EtNS0_10empty_typeEbEEZZNS1_14partition_implILS5_2ELb0ES3_jN6thrust23THRUST_200600_302600_NS6detail15normal_iteratorINSA_7pointerItNSA_11hip_rocprim3tagENSA_11use_defaultESG_EEEEPS6_NSA_18transform_iteratorI7is_evenItENSC_INSA_10device_ptrItEEEESG_SG_EENS0_5tupleIJPtSJ_EEENSR_IJSJ_SJ_EEES6_PlJS6_EEE10hipError_tPvRmT3_T4_T5_T6_T7_T9_mT8_P12ihipStream_tbDpT10_ENKUlT_T0_E_clISt17integral_constantIbLb0EES1F_EEDaS1A_S1B_EUlS1A_E_NS1_11comp_targetILNS1_3genE5ELNS1_11target_archE942ELNS1_3gpuE9ELNS1_3repE0EEENS1_30default_config_static_selectorELNS0_4arch9wavefront6targetE1EEEvT1_,comdat
	.protected	_ZN7rocprim17ROCPRIM_400000_NS6detail17trampoline_kernelINS0_14default_configENS1_25partition_config_selectorILNS1_17partition_subalgoE2EtNS0_10empty_typeEbEEZZNS1_14partition_implILS5_2ELb0ES3_jN6thrust23THRUST_200600_302600_NS6detail15normal_iteratorINSA_7pointerItNSA_11hip_rocprim3tagENSA_11use_defaultESG_EEEEPS6_NSA_18transform_iteratorI7is_evenItENSC_INSA_10device_ptrItEEEESG_SG_EENS0_5tupleIJPtSJ_EEENSR_IJSJ_SJ_EEES6_PlJS6_EEE10hipError_tPvRmT3_T4_T5_T6_T7_T9_mT8_P12ihipStream_tbDpT10_ENKUlT_T0_E_clISt17integral_constantIbLb0EES1F_EEDaS1A_S1B_EUlS1A_E_NS1_11comp_targetILNS1_3genE5ELNS1_11target_archE942ELNS1_3gpuE9ELNS1_3repE0EEENS1_30default_config_static_selectorELNS0_4arch9wavefront6targetE1EEEvT1_ ; -- Begin function _ZN7rocprim17ROCPRIM_400000_NS6detail17trampoline_kernelINS0_14default_configENS1_25partition_config_selectorILNS1_17partition_subalgoE2EtNS0_10empty_typeEbEEZZNS1_14partition_implILS5_2ELb0ES3_jN6thrust23THRUST_200600_302600_NS6detail15normal_iteratorINSA_7pointerItNSA_11hip_rocprim3tagENSA_11use_defaultESG_EEEEPS6_NSA_18transform_iteratorI7is_evenItENSC_INSA_10device_ptrItEEEESG_SG_EENS0_5tupleIJPtSJ_EEENSR_IJSJ_SJ_EEES6_PlJS6_EEE10hipError_tPvRmT3_T4_T5_T6_T7_T9_mT8_P12ihipStream_tbDpT10_ENKUlT_T0_E_clISt17integral_constantIbLb0EES1F_EEDaS1A_S1B_EUlS1A_E_NS1_11comp_targetILNS1_3genE5ELNS1_11target_archE942ELNS1_3gpuE9ELNS1_3repE0EEENS1_30default_config_static_selectorELNS0_4arch9wavefront6targetE1EEEvT1_
	.globl	_ZN7rocprim17ROCPRIM_400000_NS6detail17trampoline_kernelINS0_14default_configENS1_25partition_config_selectorILNS1_17partition_subalgoE2EtNS0_10empty_typeEbEEZZNS1_14partition_implILS5_2ELb0ES3_jN6thrust23THRUST_200600_302600_NS6detail15normal_iteratorINSA_7pointerItNSA_11hip_rocprim3tagENSA_11use_defaultESG_EEEEPS6_NSA_18transform_iteratorI7is_evenItENSC_INSA_10device_ptrItEEEESG_SG_EENS0_5tupleIJPtSJ_EEENSR_IJSJ_SJ_EEES6_PlJS6_EEE10hipError_tPvRmT3_T4_T5_T6_T7_T9_mT8_P12ihipStream_tbDpT10_ENKUlT_T0_E_clISt17integral_constantIbLb0EES1F_EEDaS1A_S1B_EUlS1A_E_NS1_11comp_targetILNS1_3genE5ELNS1_11target_archE942ELNS1_3gpuE9ELNS1_3repE0EEENS1_30default_config_static_selectorELNS0_4arch9wavefront6targetE1EEEvT1_
	.p2align	8
	.type	_ZN7rocprim17ROCPRIM_400000_NS6detail17trampoline_kernelINS0_14default_configENS1_25partition_config_selectorILNS1_17partition_subalgoE2EtNS0_10empty_typeEbEEZZNS1_14partition_implILS5_2ELb0ES3_jN6thrust23THRUST_200600_302600_NS6detail15normal_iteratorINSA_7pointerItNSA_11hip_rocprim3tagENSA_11use_defaultESG_EEEEPS6_NSA_18transform_iteratorI7is_evenItENSC_INSA_10device_ptrItEEEESG_SG_EENS0_5tupleIJPtSJ_EEENSR_IJSJ_SJ_EEES6_PlJS6_EEE10hipError_tPvRmT3_T4_T5_T6_T7_T9_mT8_P12ihipStream_tbDpT10_ENKUlT_T0_E_clISt17integral_constantIbLb0EES1F_EEDaS1A_S1B_EUlS1A_E_NS1_11comp_targetILNS1_3genE5ELNS1_11target_archE942ELNS1_3gpuE9ELNS1_3repE0EEENS1_30default_config_static_selectorELNS0_4arch9wavefront6targetE1EEEvT1_,@function
_ZN7rocprim17ROCPRIM_400000_NS6detail17trampoline_kernelINS0_14default_configENS1_25partition_config_selectorILNS1_17partition_subalgoE2EtNS0_10empty_typeEbEEZZNS1_14partition_implILS5_2ELb0ES3_jN6thrust23THRUST_200600_302600_NS6detail15normal_iteratorINSA_7pointerItNSA_11hip_rocprim3tagENSA_11use_defaultESG_EEEEPS6_NSA_18transform_iteratorI7is_evenItENSC_INSA_10device_ptrItEEEESG_SG_EENS0_5tupleIJPtSJ_EEENSR_IJSJ_SJ_EEES6_PlJS6_EEE10hipError_tPvRmT3_T4_T5_T6_T7_T9_mT8_P12ihipStream_tbDpT10_ENKUlT_T0_E_clISt17integral_constantIbLb0EES1F_EEDaS1A_S1B_EUlS1A_E_NS1_11comp_targetILNS1_3genE5ELNS1_11target_archE942ELNS1_3gpuE9ELNS1_3repE0EEENS1_30default_config_static_selectorELNS0_4arch9wavefront6targetE1EEEvT1_: ; @_ZN7rocprim17ROCPRIM_400000_NS6detail17trampoline_kernelINS0_14default_configENS1_25partition_config_selectorILNS1_17partition_subalgoE2EtNS0_10empty_typeEbEEZZNS1_14partition_implILS5_2ELb0ES3_jN6thrust23THRUST_200600_302600_NS6detail15normal_iteratorINSA_7pointerItNSA_11hip_rocprim3tagENSA_11use_defaultESG_EEEEPS6_NSA_18transform_iteratorI7is_evenItENSC_INSA_10device_ptrItEEEESG_SG_EENS0_5tupleIJPtSJ_EEENSR_IJSJ_SJ_EEES6_PlJS6_EEE10hipError_tPvRmT3_T4_T5_T6_T7_T9_mT8_P12ihipStream_tbDpT10_ENKUlT_T0_E_clISt17integral_constantIbLb0EES1F_EEDaS1A_S1B_EUlS1A_E_NS1_11comp_targetILNS1_3genE5ELNS1_11target_archE942ELNS1_3gpuE9ELNS1_3repE0EEENS1_30default_config_static_selectorELNS0_4arch9wavefront6targetE1EEEvT1_
; %bb.0:
	s_load_dwordx4 s[24:27], s[0:1], 0x8
	s_load_dwordx2 s[6:7], s[0:1], 0x20
	s_load_dwordx2 s[28:29], s[0:1], 0x60
	s_load_dwordx4 s[20:23], s[0:1], 0x50
	s_load_dword s3, s[0:1], 0x78
	s_waitcnt lgkmcnt(0)
	s_lshl_b64 s[8:9], s[26:27], 1
	s_add_u32 s12, s24, s8
	s_addc_u32 s13, s25, s9
	s_load_dwordx2 s[30:31], s[22:23], 0x0
	s_add_i32 s10, s3, -1
	s_mulk_i32 s3, 0x3c00
	s_add_i32 s4, s3, s26
	s_sub_i32 s33, s28, s4
	s_addk_i32 s33, 0x3c00
	s_add_u32 s4, s26, s3
	s_addc_u32 s5, s27, 0
	s_cmp_eq_u32 s2, s10
	v_mov_b64_e32 v[2:3], s[28:29]
	s_cselect_b64 s[22:23], -1, 0
	s_cmp_lg_u32 s2, s10
	s_mul_i32 s24, s2, 0x3c00
	s_mov_b32 s25, 0
	v_cmp_lt_u64_e32 vcc, s[4:5], v[2:3]
	s_cselect_b64 s[4:5], -1, 0
	s_or_b64 s[34:35], s[4:5], vcc
	s_lshl_b64 s[10:11], s[24:25], 1
	s_add_u32 s12, s12, s10
	s_addc_u32 s13, s13, s11
	s_mov_b64 s[4:5], -1
	s_and_b64 vcc, exec, s[34:35]
	v_lshlrev_b32_e32 v12, 1, v0
	s_cbranch_vccz .LBB2071_2
; %bb.1:
	v_mov_b32_e32 v13, 0
	v_lshl_add_u64 v[2:3], s[12:13], 0, v[12:13]
	v_add_co_u32_e32 v4, vcc, 0x1000, v2
	s_mov_b64 s[4:5], 0
	s_nop 0
	v_addc_co_u32_e32 v5, vcc, 0, v3, vcc
	flat_load_ushort v1, v[2:3]
	flat_load_ushort v8, v[2:3] offset:1024
	flat_load_ushort v9, v[2:3] offset:2048
	flat_load_ushort v10, v[2:3] offset:3072
	flat_load_ushort v11, v[4:5]
	flat_load_ushort v13, v[4:5] offset:1024
	flat_load_ushort v14, v[4:5] offset:2048
	flat_load_ushort v15, v[4:5] offset:3072
	v_add_co_u32_e32 v4, vcc, 0x2000, v2
	s_nop 1
	v_addc_co_u32_e32 v5, vcc, 0, v3, vcc
	v_add_co_u32_e32 v6, vcc, 0x3000, v2
	s_nop 1
	v_addc_co_u32_e32 v7, vcc, 0, v3, vcc
	flat_load_ushort v16, v[4:5]
	flat_load_ushort v17, v[4:5] offset:1024
	flat_load_ushort v18, v[4:5] offset:2048
	flat_load_ushort v19, v[4:5] offset:3072
	flat_load_ushort v20, v[6:7]
	flat_load_ushort v21, v[6:7] offset:1024
	flat_load_ushort v22, v[6:7] offset:2048
	flat_load_ushort v23, v[6:7] offset:3072
	v_add_co_u32_e32 v4, vcc, 0x4000, v2
	s_nop 1
	v_addc_co_u32_e32 v5, vcc, 0, v3, vcc
	v_add_co_u32_e32 v6, vcc, 0x5000, v2
	;; [unrolled: 14-line block ×3, first 2 shown]
	s_nop 1
	v_addc_co_u32_e32 v3, vcc, 0, v3, vcc
	flat_load_ushort v6, v[4:5]
	flat_load_ushort v7, v[4:5] offset:1024
	flat_load_ushort v32, v[4:5] offset:2048
	;; [unrolled: 1-line block ×3, first 2 shown]
	flat_load_ushort v34, v[2:3]
	flat_load_ushort v35, v[2:3] offset:1024
	s_waitcnt vmcnt(0) lgkmcnt(0)
	ds_write_b16 v12, v1
	ds_write_b16 v12, v8 offset:1024
	ds_write_b16 v12, v9 offset:2048
	;; [unrolled: 1-line block ×29, first 2 shown]
	s_waitcnt lgkmcnt(0)
	s_barrier
.LBB2071_2:
	s_andn2_b64 vcc, exec, s[4:5]
	v_cmp_gt_u32_e64 s[4:5], s33, v0
	s_cbranch_vccnz .LBB2071_64
; %bb.3:
                                        ; implicit-def: $vgpr1
	s_and_saveexec_b64 s[14:15], s[4:5]
	s_cbranch_execz .LBB2071_5
; %bb.4:
	v_mov_b32_e32 v13, 0
	v_lshl_add_u64 v[2:3], s[12:13], 0, v[12:13]
	flat_load_ushort v1, v[2:3]
.LBB2071_5:
	s_or_b64 exec, exec, s[14:15]
	v_or_b32_e32 v2, 0x200, v0
	v_cmp_gt_u32_e32 vcc, s33, v2
                                        ; implicit-def: $vgpr2
	s_and_saveexec_b64 s[4:5], vcc
	s_cbranch_execz .LBB2071_7
; %bb.6:
	v_mov_b32_e32 v13, 0
	v_lshl_add_u64 v[2:3], s[12:13], 0, v[12:13]
	flat_load_ushort v2, v[2:3] offset:1024
.LBB2071_7:
	s_or_b64 exec, exec, s[4:5]
	v_or_b32_e32 v3, 0x400, v0
	v_cmp_gt_u32_e32 vcc, s33, v3
                                        ; implicit-def: $vgpr3
	s_and_saveexec_b64 s[4:5], vcc
	s_cbranch_execz .LBB2071_9
; %bb.8:
	v_mov_b32_e32 v13, 0
	v_lshl_add_u64 v[4:5], s[12:13], 0, v[12:13]
	flat_load_ushort v3, v[4:5] offset:2048
.LBB2071_9:
	s_or_b64 exec, exec, s[4:5]
	v_or_b32_e32 v4, 0x600, v0
	v_cmp_gt_u32_e32 vcc, s33, v4
                                        ; implicit-def: $vgpr4
	s_and_saveexec_b64 s[4:5], vcc
	s_cbranch_execz .LBB2071_11
; %bb.10:
	v_mov_b32_e32 v13, 0
	v_lshl_add_u64 v[4:5], s[12:13], 0, v[12:13]
	flat_load_ushort v4, v[4:5] offset:3072
.LBB2071_11:
	s_or_b64 exec, exec, s[4:5]
	v_or_b32_e32 v6, 0x800, v0
	v_cmp_gt_u32_e32 vcc, s33, v6
                                        ; implicit-def: $vgpr5
	s_and_saveexec_b64 s[4:5], vcc
	s_cbranch_execz .LBB2071_13
; %bb.12:
	v_lshlrev_b32_e32 v6, 1, v6
	v_mov_b32_e32 v7, 0
	v_lshl_add_u64 v[6:7], s[12:13], 0, v[6:7]
	flat_load_ushort v5, v[6:7]
.LBB2071_13:
	s_or_b64 exec, exec, s[4:5]
	v_or_b32_e32 v7, 0xa00, v0
	v_cmp_gt_u32_e32 vcc, s33, v7
                                        ; implicit-def: $vgpr6
	s_and_saveexec_b64 s[4:5], vcc
	s_cbranch_execz .LBB2071_15
; %bb.14:
	v_lshlrev_b32_e32 v6, 1, v7
	v_mov_b32_e32 v7, 0
	v_lshl_add_u64 v[6:7], s[12:13], 0, v[6:7]
	flat_load_ushort v6, v[6:7]
.LBB2071_15:
	s_or_b64 exec, exec, s[4:5]
	v_or_b32_e32 v8, 0xc00, v0
	v_cmp_gt_u32_e32 vcc, s33, v8
                                        ; implicit-def: $vgpr7
	s_and_saveexec_b64 s[4:5], vcc
	s_cbranch_execz .LBB2071_17
; %bb.16:
	v_lshlrev_b32_e32 v8, 1, v8
	v_mov_b32_e32 v9, 0
	v_lshl_add_u64 v[8:9], s[12:13], 0, v[8:9]
	flat_load_ushort v7, v[8:9]
.LBB2071_17:
	s_or_b64 exec, exec, s[4:5]
	v_or_b32_e32 v9, 0xe00, v0
	v_cmp_gt_u32_e32 vcc, s33, v9
                                        ; implicit-def: $vgpr8
	s_and_saveexec_b64 s[4:5], vcc
	s_cbranch_execz .LBB2071_19
; %bb.18:
	v_lshlrev_b32_e32 v8, 1, v9
	v_mov_b32_e32 v9, 0
	v_lshl_add_u64 v[8:9], s[12:13], 0, v[8:9]
	flat_load_ushort v8, v[8:9]
.LBB2071_19:
	s_or_b64 exec, exec, s[4:5]
	v_or_b32_e32 v10, 0x1000, v0
	v_cmp_gt_u32_e32 vcc, s33, v10
                                        ; implicit-def: $vgpr9
	s_and_saveexec_b64 s[4:5], vcc
	s_cbranch_execz .LBB2071_21
; %bb.20:
	v_lshlrev_b32_e32 v10, 1, v10
	v_mov_b32_e32 v11, 0
	v_lshl_add_u64 v[10:11], s[12:13], 0, v[10:11]
	flat_load_ushort v9, v[10:11]
.LBB2071_21:
	s_or_b64 exec, exec, s[4:5]
	v_or_b32_e32 v11, 0x1200, v0
	v_cmp_gt_u32_e32 vcc, s33, v11
                                        ; implicit-def: $vgpr10
	s_and_saveexec_b64 s[4:5], vcc
	s_cbranch_execz .LBB2071_23
; %bb.22:
	v_lshlrev_b32_e32 v10, 1, v11
	v_mov_b32_e32 v11, 0
	v_lshl_add_u64 v[10:11], s[12:13], 0, v[10:11]
	flat_load_ushort v10, v[10:11]
.LBB2071_23:
	s_or_b64 exec, exec, s[4:5]
	v_or_b32_e32 v13, 0x1400, v0
	v_cmp_gt_u32_e32 vcc, s33, v13
                                        ; implicit-def: $vgpr11
	s_and_saveexec_b64 s[4:5], vcc
	s_cbranch_execz .LBB2071_25
; %bb.24:
	v_lshlrev_b32_e32 v14, 1, v13
	v_mov_b32_e32 v15, 0
	v_lshl_add_u64 v[14:15], s[12:13], 0, v[14:15]
	flat_load_ushort v11, v[14:15]
.LBB2071_25:
	s_or_b64 exec, exec, s[4:5]
	v_or_b32_e32 v14, 0x1600, v0
	v_cmp_gt_u32_e32 vcc, s33, v14
                                        ; implicit-def: $vgpr13
	s_and_saveexec_b64 s[4:5], vcc
	s_cbranch_execz .LBB2071_27
; %bb.26:
	v_lshlrev_b32_e32 v14, 1, v14
	v_mov_b32_e32 v15, 0
	v_lshl_add_u64 v[14:15], s[12:13], 0, v[14:15]
	flat_load_ushort v13, v[14:15]
.LBB2071_27:
	s_or_b64 exec, exec, s[4:5]
	v_or_b32_e32 v15, 0x1800, v0
	v_cmp_gt_u32_e32 vcc, s33, v15
                                        ; implicit-def: $vgpr14
	s_and_saveexec_b64 s[4:5], vcc
	s_cbranch_execz .LBB2071_29
; %bb.28:
	v_lshlrev_b32_e32 v14, 1, v15
	v_mov_b32_e32 v15, 0
	v_lshl_add_u64 v[14:15], s[12:13], 0, v[14:15]
	flat_load_ushort v14, v[14:15]
.LBB2071_29:
	s_or_b64 exec, exec, s[4:5]
	v_or_b32_e32 v16, 0x1a00, v0
	v_cmp_gt_u32_e32 vcc, s33, v16
                                        ; implicit-def: $vgpr15
	s_and_saveexec_b64 s[4:5], vcc
	s_cbranch_execz .LBB2071_31
; %bb.30:
	v_lshlrev_b32_e32 v16, 1, v16
	v_mov_b32_e32 v17, 0
	v_lshl_add_u64 v[16:17], s[12:13], 0, v[16:17]
	flat_load_ushort v15, v[16:17]
.LBB2071_31:
	s_or_b64 exec, exec, s[4:5]
	v_or_b32_e32 v17, 0x1c00, v0
	v_cmp_gt_u32_e32 vcc, s33, v17
                                        ; implicit-def: $vgpr16
	s_and_saveexec_b64 s[4:5], vcc
	s_cbranch_execz .LBB2071_33
; %bb.32:
	v_lshlrev_b32_e32 v16, 1, v17
	v_mov_b32_e32 v17, 0
	v_lshl_add_u64 v[16:17], s[12:13], 0, v[16:17]
	flat_load_ushort v16, v[16:17]
.LBB2071_33:
	s_or_b64 exec, exec, s[4:5]
	v_or_b32_e32 v18, 0x1e00, v0
	v_cmp_gt_u32_e32 vcc, s33, v18
                                        ; implicit-def: $vgpr17
	s_and_saveexec_b64 s[4:5], vcc
	s_cbranch_execz .LBB2071_35
; %bb.34:
	v_lshlrev_b32_e32 v18, 1, v18
	v_mov_b32_e32 v19, 0
	v_lshl_add_u64 v[18:19], s[12:13], 0, v[18:19]
	flat_load_ushort v17, v[18:19]
.LBB2071_35:
	s_or_b64 exec, exec, s[4:5]
	v_or_b32_e32 v19, 0x2000, v0
	v_cmp_gt_u32_e32 vcc, s33, v19
                                        ; implicit-def: $vgpr18
	s_and_saveexec_b64 s[4:5], vcc
	s_cbranch_execz .LBB2071_37
; %bb.36:
	v_lshlrev_b32_e32 v18, 1, v19
	v_mov_b32_e32 v19, 0
	v_lshl_add_u64 v[18:19], s[12:13], 0, v[18:19]
	flat_load_ushort v18, v[18:19]
.LBB2071_37:
	s_or_b64 exec, exec, s[4:5]
	v_or_b32_e32 v20, 0x2200, v0
	v_cmp_gt_u32_e32 vcc, s33, v20
                                        ; implicit-def: $vgpr19
	s_and_saveexec_b64 s[4:5], vcc
	s_cbranch_execz .LBB2071_39
; %bb.38:
	v_lshlrev_b32_e32 v20, 1, v20
	v_mov_b32_e32 v21, 0
	v_lshl_add_u64 v[20:21], s[12:13], 0, v[20:21]
	flat_load_ushort v19, v[20:21]
.LBB2071_39:
	s_or_b64 exec, exec, s[4:5]
	v_or_b32_e32 v21, 0x2400, v0
	v_cmp_gt_u32_e32 vcc, s33, v21
                                        ; implicit-def: $vgpr20
	s_and_saveexec_b64 s[4:5], vcc
	s_cbranch_execz .LBB2071_41
; %bb.40:
	v_lshlrev_b32_e32 v20, 1, v21
	v_mov_b32_e32 v21, 0
	v_lshl_add_u64 v[20:21], s[12:13], 0, v[20:21]
	flat_load_ushort v20, v[20:21]
.LBB2071_41:
	s_or_b64 exec, exec, s[4:5]
	v_or_b32_e32 v22, 0x2600, v0
	v_cmp_gt_u32_e32 vcc, s33, v22
                                        ; implicit-def: $vgpr21
	s_and_saveexec_b64 s[4:5], vcc
	s_cbranch_execz .LBB2071_43
; %bb.42:
	v_lshlrev_b32_e32 v22, 1, v22
	v_mov_b32_e32 v23, 0
	v_lshl_add_u64 v[22:23], s[12:13], 0, v[22:23]
	flat_load_ushort v21, v[22:23]
.LBB2071_43:
	s_or_b64 exec, exec, s[4:5]
	v_or_b32_e32 v23, 0x2800, v0
	v_cmp_gt_u32_e32 vcc, s33, v23
                                        ; implicit-def: $vgpr22
	s_and_saveexec_b64 s[4:5], vcc
	s_cbranch_execz .LBB2071_45
; %bb.44:
	v_lshlrev_b32_e32 v22, 1, v23
	v_mov_b32_e32 v23, 0
	v_lshl_add_u64 v[22:23], s[12:13], 0, v[22:23]
	flat_load_ushort v22, v[22:23]
.LBB2071_45:
	s_or_b64 exec, exec, s[4:5]
	v_or_b32_e32 v24, 0x2a00, v0
	v_cmp_gt_u32_e32 vcc, s33, v24
                                        ; implicit-def: $vgpr23
	s_and_saveexec_b64 s[4:5], vcc
	s_cbranch_execz .LBB2071_47
; %bb.46:
	v_lshlrev_b32_e32 v24, 1, v24
	v_mov_b32_e32 v25, 0
	v_lshl_add_u64 v[24:25], s[12:13], 0, v[24:25]
	flat_load_ushort v23, v[24:25]
.LBB2071_47:
	s_or_b64 exec, exec, s[4:5]
	v_or_b32_e32 v25, 0x2c00, v0
	v_cmp_gt_u32_e32 vcc, s33, v25
                                        ; implicit-def: $vgpr24
	s_and_saveexec_b64 s[4:5], vcc
	s_cbranch_execz .LBB2071_49
; %bb.48:
	v_lshlrev_b32_e32 v24, 1, v25
	v_mov_b32_e32 v25, 0
	v_lshl_add_u64 v[24:25], s[12:13], 0, v[24:25]
	flat_load_ushort v24, v[24:25]
.LBB2071_49:
	s_or_b64 exec, exec, s[4:5]
	v_or_b32_e32 v26, 0x2e00, v0
	v_cmp_gt_u32_e32 vcc, s33, v26
                                        ; implicit-def: $vgpr25
	s_and_saveexec_b64 s[4:5], vcc
	s_cbranch_execz .LBB2071_51
; %bb.50:
	v_lshlrev_b32_e32 v26, 1, v26
	v_mov_b32_e32 v27, 0
	v_lshl_add_u64 v[26:27], s[12:13], 0, v[26:27]
	flat_load_ushort v25, v[26:27]
.LBB2071_51:
	s_or_b64 exec, exec, s[4:5]
	v_or_b32_e32 v27, 0x3000, v0
	v_cmp_gt_u32_e32 vcc, s33, v27
                                        ; implicit-def: $vgpr26
	s_and_saveexec_b64 s[4:5], vcc
	s_cbranch_execz .LBB2071_53
; %bb.52:
	v_lshlrev_b32_e32 v26, 1, v27
	v_mov_b32_e32 v27, 0
	v_lshl_add_u64 v[26:27], s[12:13], 0, v[26:27]
	flat_load_ushort v26, v[26:27]
.LBB2071_53:
	s_or_b64 exec, exec, s[4:5]
	v_or_b32_e32 v28, 0x3200, v0
	v_cmp_gt_u32_e32 vcc, s33, v28
                                        ; implicit-def: $vgpr27
	s_and_saveexec_b64 s[4:5], vcc
	s_cbranch_execz .LBB2071_55
; %bb.54:
	v_lshlrev_b32_e32 v28, 1, v28
	v_mov_b32_e32 v29, 0
	v_lshl_add_u64 v[28:29], s[12:13], 0, v[28:29]
	flat_load_ushort v27, v[28:29]
.LBB2071_55:
	s_or_b64 exec, exec, s[4:5]
	v_or_b32_e32 v29, 0x3400, v0
	v_cmp_gt_u32_e32 vcc, s33, v29
                                        ; implicit-def: $vgpr28
	s_and_saveexec_b64 s[4:5], vcc
	s_cbranch_execz .LBB2071_57
; %bb.56:
	v_lshlrev_b32_e32 v28, 1, v29
	v_mov_b32_e32 v29, 0
	v_lshl_add_u64 v[28:29], s[12:13], 0, v[28:29]
	flat_load_ushort v28, v[28:29]
.LBB2071_57:
	s_or_b64 exec, exec, s[4:5]
	v_or_b32_e32 v30, 0x3600, v0
	v_cmp_gt_u32_e32 vcc, s33, v30
                                        ; implicit-def: $vgpr29
	s_and_saveexec_b64 s[4:5], vcc
	s_cbranch_execz .LBB2071_59
; %bb.58:
	v_lshlrev_b32_e32 v30, 1, v30
	v_mov_b32_e32 v31, 0
	v_lshl_add_u64 v[30:31], s[12:13], 0, v[30:31]
	flat_load_ushort v29, v[30:31]
.LBB2071_59:
	s_or_b64 exec, exec, s[4:5]
	v_or_b32_e32 v31, 0x3800, v0
	v_cmp_gt_u32_e32 vcc, s33, v31
                                        ; implicit-def: $vgpr30
	s_and_saveexec_b64 s[4:5], vcc
	s_cbranch_execz .LBB2071_61
; %bb.60:
	v_lshlrev_b32_e32 v30, 1, v31
	v_mov_b32_e32 v31, 0
	v_lshl_add_u64 v[30:31], s[12:13], 0, v[30:31]
	flat_load_ushort v30, v[30:31]
.LBB2071_61:
	s_or_b64 exec, exec, s[4:5]
	v_or_b32_e32 v32, 0x3a00, v0
	v_cmp_gt_u32_e32 vcc, s33, v32
                                        ; implicit-def: $vgpr31
	s_and_saveexec_b64 s[4:5], vcc
	s_cbranch_execz .LBB2071_63
; %bb.62:
	v_lshlrev_b32_e32 v32, 1, v32
	v_mov_b32_e32 v33, 0
	v_lshl_add_u64 v[32:33], s[12:13], 0, v[32:33]
	flat_load_ushort v31, v[32:33]
.LBB2071_63:
	s_or_b64 exec, exec, s[4:5]
	s_waitcnt vmcnt(0) lgkmcnt(0)
	ds_write_b16 v12, v1
	ds_write_b16 v12, v2 offset:1024
	ds_write_b16 v12, v3 offset:2048
	;; [unrolled: 1-line block ×29, first 2 shown]
	s_waitcnt lgkmcnt(0)
	s_barrier
.LBB2071_64:
	v_mul_u32_u24_e32 v9, 30, v0
	v_lshlrev_b32_e32 v2, 1, v9
	s_waitcnt lgkmcnt(0)
	ds_read2_b32 v[26:27], v2 offset1:1
	ds_read2_b32 v[24:25], v2 offset0:2 offset1:3
	ds_read2_b32 v[22:23], v2 offset0:4 offset1:5
	ds_read2_b32 v[20:21], v2 offset0:6 offset1:7
	ds_read_b32 v1, v2 offset:56
	ds_read2_b32 v[14:15], v2 offset0:12 offset1:13
	ds_read2_b32 v[16:17], v2 offset0:10 offset1:11
	;; [unrolled: 1-line block ×3, first 2 shown]
	s_add_u32 s3, s6, s8
	s_addc_u32 s5, s7, s9
	s_add_u32 s4, s3, s10
	s_addc_u32 s5, s5, s11
	s_mov_b64 s[6:7], -1
	s_and_b64 vcc, exec, s[34:35]
	s_waitcnt lgkmcnt(0)
	s_barrier
	s_cbranch_vccz .LBB2071_66
; %bb.65:
	v_mov_b32_e32 v13, 0
	v_lshl_add_u64 v[2:3], s[4:5], 0, v[12:13]
	s_movk_i32 s3, 0x1000
	v_add_co_u32_e32 v4, vcc, s3, v2
	s_movk_i32 s3, 0x2000
	s_nop 0
	v_addc_co_u32_e32 v5, vcc, 0, v3, vcc
	v_add_co_u32_e32 v6, vcc, s3, v2
	s_movk_i32 s3, 0x3000
	s_nop 0
	v_addc_co_u32_e32 v7, vcc, 0, v3, vcc
	global_load_ubyte v8, v12, s[4:5]
	global_load_ubyte v13, v12, s[4:5] offset:1024
	global_load_ubyte v28, v12, s[4:5] offset:2048
	;; [unrolled: 1-line block ×3, first 2 shown]
	global_load_ubyte v30, v[6:7], off offset:-4096
	global_load_ubyte v31, v[4:5], off offset:1024
	global_load_ubyte v32, v[4:5], off offset:2048
	;; [unrolled: 1-line block ×3, first 2 shown]
	global_load_ubyte v34, v[6:7], off
	global_load_ubyte v35, v[6:7], off offset:1024
	global_load_ubyte v36, v[6:7], off offset:2048
	v_add_co_u32_e32 v4, vcc, s3, v2
	s_movk_i32 s3, 0x4000
	s_nop 0
	v_addc_co_u32_e32 v5, vcc, 0, v3, vcc
	v_add_co_u32_e32 v10, vcc, s3, v2
	s_movk_i32 s6, 0x6000
	s_nop 0
	v_addc_co_u32_e32 v11, vcc, 0, v3, vcc
	global_load_ubyte v37, v[6:7], off offset:3072
	global_load_ubyte v38, v[10:11], off offset:-4096
	global_load_ubyte v39, v[4:5], off offset:1024
	global_load_ubyte v40, v[4:5], off offset:2048
	;; [unrolled: 1-line block ×3, first 2 shown]
	global_load_ubyte v42, v[10:11], off
	global_load_ubyte v43, v[10:11], off offset:1024
	global_load_ubyte v44, v[10:11], off offset:2048
	v_add_co_u32_e32 v4, vcc, s6, v2
	s_movk_i32 s3, 0x5000
	s_nop 0
	v_addc_co_u32_e32 v5, vcc, 0, v3, vcc
	v_add_co_u32_e32 v6, vcc, s3, v2
	s_movk_i32 s3, 0x7000
	s_nop 0
	v_addc_co_u32_e32 v7, vcc, 0, v3, vcc
	v_add_co_u32_e32 v2, vcc, s3, v2
	global_load_ubyte v45, v[10:11], off offset:3072
	global_load_ubyte v46, v[4:5], off offset:-4096
	v_addc_co_u32_e32 v3, vcc, 0, v3, vcc
	global_load_ubyte v10, v[6:7], off offset:1024
	global_load_ubyte v11, v[6:7], off offset:2048
	;; [unrolled: 1-line block ×3, first 2 shown]
	global_load_ubyte v48, v[4:5], off
	global_load_ubyte v49, v[4:5], off offset:1024
	global_load_ubyte v50, v[4:5], off offset:2048
	;; [unrolled: 1-line block ×3, first 2 shown]
	s_nop 0
	global_load_ubyte v4, v[2:3], off
	global_load_ubyte v5, v[2:3], off offset:1024
	s_mov_b64 s[6:7], 0
	s_waitcnt vmcnt(29)
	v_xor_b32_e32 v2, -1, v8
	s_waitcnt vmcnt(28)
	v_xor_b32_e32 v3, -1, v13
	;; [unrolled: 2-line block ×4, first 2 shown]
	v_and_b32_e32 v2, 1, v2
	s_waitcnt vmcnt(24)
	v_xor_b32_e32 v8, -1, v31
	s_waitcnt vmcnt(23)
	v_xor_b32_e32 v13, -1, v32
	;; [unrolled: 2-line block ×3, first 2 shown]
	v_xor_b32_e32 v29, -1, v30
	s_waitcnt vmcnt(21)
	v_xor_b32_e32 v30, -1, v34
	s_waitcnt vmcnt(20)
	;; [unrolled: 2-line block ×11, first 2 shown]
	v_xor_b32_e32 v40, -1, v44
	v_and_b32_e32 v3, 1, v3
	v_and_b32_e32 v6, 1, v6
	;; [unrolled: 1-line block ×5, first 2 shown]
	s_waitcnt vmcnt(8)
	v_xor_b32_e32 v10, -1, v10
	s_waitcnt vmcnt(7)
	v_xor_b32_e32 v11, -1, v11
	v_xor_b32_e32 v41, -1, v45
	;; [unrolled: 1-line block ×3, first 2 shown]
	s_waitcnt vmcnt(6)
	v_xor_b32_e32 v43, -1, v47
	s_waitcnt vmcnt(5)
	v_xor_b32_e32 v44, -1, v48
	;; [unrolled: 2-line block ×7, first 2 shown]
	v_and_b32_e32 v28, 1, v28
	v_and_b32_e32 v29, 1, v29
	;; [unrolled: 1-line block ×24, first 2 shown]
	ds_write_b8 v0, v2
	ds_write_b8 v0, v3 offset:512
	ds_write_b8 v0, v6 offset:1024
	;; [unrolled: 1-line block ×29, first 2 shown]
	s_waitcnt lgkmcnt(0)
	s_barrier
.LBB2071_66:
	s_load_dwordx2 s[36:37], s[0:1], 0x70
	s_andn2_b64 vcc, exec, s[6:7]
	s_cbranch_vccnz .LBB2071_128
; %bb.67:
	v_cmp_gt_u32_e32 vcc, s33, v0
	v_mov_b32_e32 v2, 0
	v_mov_b32_e32 v3, 0
	s_and_saveexec_b64 s[6:7], vcc
	s_cbranch_execz .LBB2071_69
; %bb.68:
	global_load_ubyte v3, v12, s[4:5]
	s_waitcnt vmcnt(0)
	v_xor_b32_e32 v3, -1, v3
	v_and_b32_e32 v3, 1, v3
.LBB2071_69:
	s_or_b64 exec, exec, s[6:7]
	v_or_b32_e32 v4, 0x200, v0
	v_cmp_gt_u32_e32 vcc, s33, v4
	s_and_saveexec_b64 s[6:7], vcc
	s_cbranch_execz .LBB2071_71
; %bb.70:
	global_load_ubyte v2, v12, s[4:5] offset:1024
	s_waitcnt vmcnt(0)
	v_xor_b32_e32 v2, -1, v2
	v_and_b32_e32 v2, 1, v2
.LBB2071_71:
	s_or_b64 exec, exec, s[6:7]
	v_or_b32_e32 v4, 0x400, v0
	v_cmp_gt_u32_e32 vcc, s33, v4
	v_mov_b32_e32 v4, 0
	v_mov_b32_e32 v5, 0
	s_and_saveexec_b64 s[6:7], vcc
	s_cbranch_execz .LBB2071_73
; %bb.72:
	global_load_ubyte v5, v12, s[4:5] offset:2048
	s_waitcnt vmcnt(0)
	v_xor_b32_e32 v5, -1, v5
	v_and_b32_e32 v5, 1, v5
.LBB2071_73:
	s_or_b64 exec, exec, s[6:7]
	v_or_b32_e32 v6, 0x600, v0
	v_cmp_gt_u32_e32 vcc, s33, v6
	s_and_saveexec_b64 s[6:7], vcc
	s_cbranch_execz .LBB2071_75
; %bb.74:
	global_load_ubyte v4, v12, s[4:5] offset:3072
	s_waitcnt vmcnt(0)
	v_xor_b32_e32 v4, -1, v4
	v_and_b32_e32 v4, 1, v4
.LBB2071_75:
	s_or_b64 exec, exec, s[6:7]
	v_or_b32_e32 v8, 0x800, v0
	v_cmp_gt_u32_e32 vcc, s33, v8
	v_mov_b32_e32 v6, 0
	v_mov_b32_e32 v7, 0
	s_and_saveexec_b64 s[6:7], vcc
	s_cbranch_execz .LBB2071_77
; %bb.76:
	v_lshlrev_b32_e32 v7, 1, v8
	global_load_ubyte v7, v7, s[4:5]
	s_waitcnt vmcnt(0)
	v_xor_b32_e32 v7, -1, v7
	v_and_b32_e32 v7, 1, v7
.LBB2071_77:
	s_or_b64 exec, exec, s[6:7]
	v_or_b32_e32 v8, 0xa00, v0
	v_cmp_gt_u32_e32 vcc, s33, v8
	s_and_saveexec_b64 s[6:7], vcc
	s_cbranch_execz .LBB2071_79
; %bb.78:
	v_lshlrev_b32_e32 v6, 1, v8
	global_load_ubyte v6, v6, s[4:5]
	s_waitcnt vmcnt(0)
	v_xor_b32_e32 v6, -1, v6
	v_and_b32_e32 v6, 1, v6
.LBB2071_79:
	s_or_b64 exec, exec, s[6:7]
	v_or_b32_e32 v11, 0xc00, v0
	v_cmp_gt_u32_e32 vcc, s33, v11
	v_mov_b32_e32 v8, 0
	v_mov_b32_e32 v10, 0
	s_and_saveexec_b64 s[6:7], vcc
	s_cbranch_execz .LBB2071_81
; %bb.80:
	v_lshlrev_b32_e32 v10, 1, v11
	global_load_ubyte v10, v10, s[4:5]
	s_waitcnt vmcnt(0)
	v_xor_b32_e32 v10, -1, v10
	v_and_b32_e32 v10, 1, v10
.LBB2071_81:
	s_or_b64 exec, exec, s[6:7]
	v_or_b32_e32 v11, 0xe00, v0
	v_cmp_gt_u32_e32 vcc, s33, v11
	s_and_saveexec_b64 s[6:7], vcc
	s_cbranch_execz .LBB2071_83
; %bb.82:
	v_lshlrev_b32_e32 v8, 1, v11
	global_load_ubyte v8, v8, s[4:5]
	s_waitcnt vmcnt(0)
	v_xor_b32_e32 v8, -1, v8
	v_and_b32_e32 v8, 1, v8
.LBB2071_83:
	;; [unrolled: 26-line block ×13, first 2 shown]
	s_or_b64 exec, exec, s[6:7]
	ds_write_b8 v0, v3
	ds_write_b8 v0, v2 offset:512
	ds_write_b8 v0, v5 offset:1024
	;; [unrolled: 1-line block ×29, first 2 shown]
	s_waitcnt lgkmcnt(0)
	s_barrier
.LBB2071_128:
	s_waitcnt lgkmcnt(0)
	ds_read_b128 v[2:5], v9
	ds_read_b96 v[6:8], v9 offset:16
	ds_read_u16 v36, v9 offset:28
	s_cmp_lg_u32 s2, 0
	v_lshrrev_b32_e32 v65, 6, v0
	s_waitcnt lgkmcnt(0)
	v_lshrrev_b32_e32 v44, 24, v2
	v_bfe_u32 v63, v2, 16, 8
	v_add_u32_sdwa v10, v2, v2 dst_sel:DWORD dst_unused:UNUSED_PAD src0_sel:BYTE_1 src1_sel:BYTE_0
	v_and_b32_e32 v60, 0xff, v3
	v_bfe_u32 v61, v3, 8, 8
	v_add3_u32 v10, v10, v63, v44
	v_lshrrev_b32_e32 v43, 24, v3
	v_bfe_u32 v62, v3, 16, 8
	v_add3_u32 v10, v10, v60, v61
	v_and_b32_e32 v57, 0xff, v4
	v_bfe_u32 v58, v4, 8, 8
	v_add3_u32 v10, v10, v62, v43
	v_lshrrev_b32_e32 v42, 24, v4
	v_bfe_u32 v59, v4, 16, 8
	v_add3_u32 v10, v10, v57, v58
	v_and_b32_e32 v54, 0xff, v5
	v_bfe_u32 v55, v5, 8, 8
	v_add3_u32 v10, v10, v59, v42
	v_lshrrev_b32_e32 v41, 24, v5
	v_bfe_u32 v56, v5, 16, 8
	v_add3_u32 v10, v10, v54, v55
	v_and_b32_e32 v51, 0xff, v6
	v_bfe_u32 v52, v6, 8, 8
	v_add3_u32 v10, v10, v56, v41
	v_lshrrev_b32_e32 v40, 24, v6
	v_bfe_u32 v53, v6, 16, 8
	v_add3_u32 v10, v10, v51, v52
	v_and_b32_e32 v48, 0xff, v7
	v_bfe_u32 v49, v7, 8, 8
	v_add3_u32 v10, v10, v53, v40
	v_lshrrev_b32_e32 v39, 24, v7
	v_bfe_u32 v50, v7, 16, 8
	v_add3_u32 v10, v10, v48, v49
	v_and_b32_e32 v45, 0xff, v8
	v_bfe_u32 v46, v8, 8, 8
	v_add3_u32 v10, v10, v50, v39
	v_lshrrev_b32_e32 v37, 24, v8
	v_bfe_u32 v47, v8, 16, 8
	v_add3_u32 v10, v10, v45, v46
	v_lshrrev_b16_e32 v13, 8, v36
	v_and_b32_e32 v38, 0xff, v36
	v_add3_u32 v10, v10, v47, v37
	v_add3_u32 v66, v10, v38, v13
	v_mbcnt_lo_u32_b32 v10, -1, 0
	v_mbcnt_hi_u32_b32 v64, -1, v10
	v_and_b32_e32 v10, 15, v64
	v_cmp_eq_u32_e64 s[14:15], 0, v10
	v_cmp_lt_u32_e64 s[12:13], 1, v10
	v_cmp_lt_u32_e64 s[10:11], 3, v10
	;; [unrolled: 1-line block ×3, first 2 shown]
	v_and_b32_e32 v10, 16, v64
	v_cmp_eq_u32_e64 s[6:7], 0, v10
	v_or_b32_e32 v10, 63, v0
	v_cmp_lt_u32_e64 s[18:19], 31, v64
	v_cmp_eq_u32_e64 s[4:5], v10, v0
	s_barrier
	s_cbranch_scc0 .LBB2071_155
; %bb.129:
	v_mov_b32_dpp v10, v66 row_shr:1 row_mask:0xf bank_mask:0xf
	v_cndmask_b32_e64 v10, v10, 0, s[14:15]
	v_add_u32_e32 v10, v10, v66
	s_nop 1
	v_mov_b32_dpp v11, v10 row_shr:2 row_mask:0xf bank_mask:0xf
	v_cndmask_b32_e64 v11, 0, v11, s[12:13]
	v_add_u32_e32 v10, v10, v11
	s_nop 1
	;; [unrolled: 4-line block ×4, first 2 shown]
	v_mov_b32_dpp v11, v10 row_bcast:15 row_mask:0xf bank_mask:0xf
	v_cndmask_b32_e64 v11, v11, 0, s[6:7]
	v_add_u32_e32 v10, v10, v11
	s_nop 1
	v_mov_b32_dpp v11, v10 row_bcast:31 row_mask:0xf bank_mask:0xf
	v_cndmask_b32_e64 v11, 0, v11, s[18:19]
	v_add_u32_e32 v10, v10, v11
	s_and_saveexec_b64 s[16:17], s[4:5]
	s_cbranch_execz .LBB2071_131
; %bb.130:
	v_lshlrev_b32_e32 v11, 2, v65
	ds_write_b32 v11, v10
.LBB2071_131:
	s_or_b64 exec, exec, s[16:17]
	v_cmp_gt_u32_e32 vcc, 8, v0
	s_waitcnt lgkmcnt(0)
	s_barrier
	s_and_saveexec_b64 s[16:17], vcc
	s_cbranch_execz .LBB2071_133
; %bb.132:
	v_lshlrev_b32_e32 v11, 2, v0
	ds_read_b32 v28, v11
	v_and_b32_e32 v29, 7, v64
	v_cmp_ne_u32_e32 vcc, 0, v29
	s_waitcnt lgkmcnt(0)
	v_mov_b32_dpp v30, v28 row_shr:1 row_mask:0xf bank_mask:0xf
	v_cndmask_b32_e32 v30, 0, v30, vcc
	v_add_u32_e32 v28, v30, v28
	v_cmp_lt_u32_e32 vcc, 1, v29
	s_nop 0
	v_mov_b32_dpp v30, v28 row_shr:2 row_mask:0xf bank_mask:0xf
	v_cndmask_b32_e32 v30, 0, v30, vcc
	v_add_u32_e32 v28, v28, v30
	v_cmp_lt_u32_e32 vcc, 3, v29
	s_nop 0
	v_mov_b32_dpp v30, v28 row_shr:4 row_mask:0xf bank_mask:0xf
	v_cndmask_b32_e32 v29, 0, v30, vcc
	v_add_u32_e32 v28, v28, v29
	ds_write_b32 v11, v28
.LBB2071_133:
	s_or_b64 exec, exec, s[16:17]
	v_cmp_gt_u32_e32 vcc, 64, v0
	v_cmp_lt_u32_e64 s[16:17], 63, v0
	s_waitcnt lgkmcnt(0)
	s_barrier
	s_waitcnt lgkmcnt(0)
                                        ; implicit-def: $vgpr67
	s_and_saveexec_b64 s[38:39], s[16:17]
	s_cbranch_execz .LBB2071_135
; %bb.134:
	v_lshl_add_u32 v11, v65, 2, -4
	ds_read_b32 v67, v11
	s_waitcnt lgkmcnt(0)
	v_add_u32_e32 v10, v67, v10
.LBB2071_135:
	s_or_b64 exec, exec, s[38:39]
	v_add_u32_e32 v11, -1, v64
	v_and_b32_e32 v28, 64, v64
	v_cmp_lt_i32_e64 s[16:17], v11, v28
	s_nop 1
	v_cndmask_b32_e64 v11, v11, v64, s[16:17]
	v_lshlrev_b32_e32 v11, 2, v11
	ds_bpermute_b32 v68, v11, v10
	v_cmp_eq_u32_e64 s[16:17], 0, v64
	s_and_saveexec_b64 s[38:39], vcc
	s_cbranch_execz .LBB2071_154
; %bb.136:
	v_mov_b32_e32 v33, 0
	ds_read_b32 v10, v33 offset:28
	s_and_saveexec_b64 s[40:41], s[16:17]
	s_cbranch_execz .LBB2071_138
; %bb.137:
	s_add_i32 s42, s2, 64
	s_mov_b32 s43, 0
	s_lshl_b64 s[42:43], s[42:43], 3
	s_add_u32 s42, s36, s42
	v_mov_b32_e32 v11, 1
	s_addc_u32 s43, s37, s43
	s_waitcnt lgkmcnt(0)
	global_store_dwordx2 v33, v[10:11], s[42:43] sc1
.LBB2071_138:
	s_or_b64 exec, exec, s[40:41]
	v_xad_u32 v28, v64, -1, s2
	v_add_u32_e32 v32, 64, v28
	v_lshl_add_u64 v[34:35], v[32:33], 3, s[36:37]
	global_load_dwordx2 v[30:31], v[34:35], off sc1
	s_waitcnt vmcnt(0)
	v_cmp_eq_u16_sdwa s[42:43], v31, v33 src0_sel:BYTE_0 src1_sel:DWORD
	s_and_saveexec_b64 s[40:41], s[42:43]
	s_cbranch_execz .LBB2071_142
; %bb.139:
	s_mov_b64 s[42:43], 0
	v_mov_b32_e32 v11, 0
.LBB2071_140:                           ; =>This Inner Loop Header: Depth=1
	global_load_dwordx2 v[30:31], v[34:35], off sc1
	s_waitcnt vmcnt(0)
	v_cmp_ne_u16_sdwa s[44:45], v31, v11 src0_sel:BYTE_0 src1_sel:DWORD
	s_or_b64 s[42:43], s[44:45], s[42:43]
	s_andn2_b64 exec, exec, s[42:43]
	s_cbranch_execnz .LBB2071_140
; %bb.141:
	s_or_b64 exec, exec, s[42:43]
.LBB2071_142:
	s_or_b64 exec, exec, s[40:41]
	v_and_b32_e32 v70, 63, v64
	v_mov_b32_e32 v69, 2
	v_cmp_ne_u32_e32 vcc, 63, v70
	v_cmp_eq_u16_sdwa s[40:41], v31, v69 src0_sel:BYTE_0 src1_sel:DWORD
	v_lshlrev_b64 v[32:33], v64, -1
	v_addc_co_u32_e32 v34, vcc, 0, v64, vcc
	v_and_b32_e32 v11, s41, v33
	v_lshlrev_b32_e32 v71, 2, v34
	v_or_b32_e32 v11, 0x80000000, v11
	ds_bpermute_b32 v34, v71, v30
	v_and_b32_e32 v29, s40, v32
	v_ffbl_b32_e32 v11, v11
	v_add_u32_e32 v11, 32, v11
	v_ffbl_b32_e32 v29, v29
	v_min_u32_e32 v11, v29, v11
	v_cmp_lt_u32_e32 vcc, v70, v11
	v_add_u32_e32 v73, 2, v70
	v_add_u32_e32 v75, 4, v70
	s_waitcnt lgkmcnt(0)
	v_cndmask_b32_e32 v29, 0, v34, vcc
	v_cmp_gt_u32_e32 vcc, 62, v70
	v_add_u32_e32 v29, v29, v30
	v_add_u32_e32 v77, 8, v70
	v_cndmask_b32_e64 v30, 0, 1, vcc
	v_lshlrev_b32_e32 v30, 1, v30
	v_add_lshl_u32 v72, v30, v64, 2
	ds_bpermute_b32 v30, v72, v29
	v_cmp_le_u32_e32 vcc, v73, v11
	v_add_u32_e32 v79, 16, v70
	v_add_u32_e32 v81, 32, v70
	s_waitcnt lgkmcnt(0)
	v_cndmask_b32_e32 v30, 0, v30, vcc
	v_cmp_gt_u32_e32 vcc, 60, v70
	v_add_u32_e32 v29, v29, v30
	s_nop 0
	v_cndmask_b32_e64 v30, 0, 1, vcc
	v_lshlrev_b32_e32 v30, 2, v30
	v_add_lshl_u32 v74, v30, v64, 2
	ds_bpermute_b32 v30, v74, v29
	v_cmp_le_u32_e32 vcc, v75, v11
	s_waitcnt lgkmcnt(0)
	s_nop 0
	v_cndmask_b32_e32 v30, 0, v30, vcc
	v_cmp_gt_u32_e32 vcc, 56, v70
	v_add_u32_e32 v29, v29, v30
	s_nop 0
	v_cndmask_b32_e64 v30, 0, 1, vcc
	v_lshlrev_b32_e32 v30, 3, v30
	v_add_lshl_u32 v76, v30, v64, 2
	ds_bpermute_b32 v30, v76, v29
	v_cmp_le_u32_e32 vcc, v77, v11
	s_waitcnt lgkmcnt(0)
	s_nop 0
	;; [unrolled: 11-line block ×4, first 2 shown]
	v_cndmask_b32_e32 v11, 0, v30, vcc
	v_add_u32_e32 v30, v29, v11
	v_mov_b32_e32 v29, 0
	s_branch .LBB2071_144
.LBB2071_143:                           ;   in Loop: Header=BB2071_144 Depth=1
	s_or_b64 exec, exec, s[40:41]
	v_cmp_eq_u16_sdwa s[40:41], v31, v69 src0_sel:BYTE_0 src1_sel:DWORD
	ds_bpermute_b32 v82, v71, v30
	v_subrev_u32_e32 v28, 64, v28
	v_and_b32_e32 v34, s41, v33
	v_or_b32_e32 v34, 0x80000000, v34
	v_and_b32_e32 v35, s40, v32
	v_ffbl_b32_e32 v34, v34
	v_add_u32_e32 v34, 32, v34
	v_ffbl_b32_e32 v35, v35
	v_min_u32_e32 v34, v35, v34
	v_cmp_lt_u32_e32 vcc, v70, v34
	s_waitcnt lgkmcnt(0)
	s_nop 0
	v_cndmask_b32_e32 v35, 0, v82, vcc
	v_add_u32_e32 v30, v35, v30
	ds_bpermute_b32 v35, v72, v30
	v_cmp_le_u32_e32 vcc, v73, v34
	s_waitcnt lgkmcnt(0)
	s_nop 0
	v_cndmask_b32_e32 v35, 0, v35, vcc
	v_add_u32_e32 v30, v30, v35
	ds_bpermute_b32 v35, v74, v30
	v_cmp_le_u32_e32 vcc, v75, v34
	;; [unrolled: 6-line block ×5, first 2 shown]
	s_waitcnt lgkmcnt(0)
	s_nop 0
	v_cndmask_b32_e32 v34, 0, v35, vcc
	v_add3_u32 v30, v34, v11, v30
.LBB2071_144:                           ; =>This Loop Header: Depth=1
                                        ;     Child Loop BB2071_147 Depth 2
	v_cmp_ne_u16_sdwa s[40:41], v31, v69 src0_sel:BYTE_0 src1_sel:DWORD
	s_nop 1
	v_cndmask_b32_e64 v11, 0, 1, s[40:41]
	;;#ASMSTART
	;;#ASMEND
	s_nop 0
	v_cmp_ne_u32_e32 vcc, 0, v11
	s_cmp_lg_u64 vcc, exec
	v_mov_b32_e32 v11, v30
	s_cbranch_scc1 .LBB2071_149
; %bb.145:                              ;   in Loop: Header=BB2071_144 Depth=1
	v_lshl_add_u64 v[34:35], v[28:29], 3, s[36:37]
	global_load_dwordx2 v[30:31], v[34:35], off sc1
	s_waitcnt vmcnt(0)
	v_cmp_eq_u16_sdwa s[42:43], v31, v29 src0_sel:BYTE_0 src1_sel:DWORD
	s_and_saveexec_b64 s[40:41], s[42:43]
	s_cbranch_execz .LBB2071_143
; %bb.146:                              ;   in Loop: Header=BB2071_144 Depth=1
	s_mov_b64 s[42:43], 0
.LBB2071_147:                           ;   Parent Loop BB2071_144 Depth=1
                                        ; =>  This Inner Loop Header: Depth=2
	global_load_dwordx2 v[30:31], v[34:35], off sc1
	s_waitcnt vmcnt(0)
	v_cmp_ne_u16_sdwa s[44:45], v31, v29 src0_sel:BYTE_0 src1_sel:DWORD
	s_or_b64 s[42:43], s[44:45], s[42:43]
	s_andn2_b64 exec, exec, s[42:43]
	s_cbranch_execnz .LBB2071_147
; %bb.148:                              ;   in Loop: Header=BB2071_144 Depth=1
	s_or_b64 exec, exec, s[42:43]
	s_branch .LBB2071_143
.LBB2071_149:                           ;   in Loop: Header=BB2071_144 Depth=1
                                        ; implicit-def: $vgpr30
                                        ; implicit-def: $vgpr31
	s_cbranch_execz .LBB2071_144
; %bb.150:
	s_and_saveexec_b64 s[40:41], s[16:17]
	s_cbranch_execz .LBB2071_152
; %bb.151:
	s_add_i32 s2, s2, 64
	s_mov_b32 s3, 0
	s_lshl_b64 s[2:3], s[2:3], 3
	s_add_u32 s2, s36, s2
	v_add_u32_e32 v28, v11, v10
	v_mov_b32_e32 v29, 2
	s_addc_u32 s3, s37, s3
	v_mov_b32_e32 v30, 0
	global_store_dwordx2 v30, v[28:29], s[2:3] sc1
	ds_write_b64 v30, v[10:11] offset:30720
.LBB2071_152:
	s_or_b64 exec, exec, s[40:41]
	v_cmp_eq_u32_e32 vcc, 0, v0
	s_and_b64 exec, exec, vcc
	s_cbranch_execz .LBB2071_154
; %bb.153:
	v_mov_b32_e32 v10, 0
	ds_write_b32 v10, v11 offset:28
.LBB2071_154:
	s_or_b64 exec, exec, s[38:39]
	v_mov_b32_e32 v10, 0
	s_waitcnt lgkmcnt(0)
	s_barrier
	ds_read_b32 v29, v10 offset:28
	s_waitcnt lgkmcnt(0)
	s_barrier
	ds_read_b64 v[10:11], v10 offset:30720
	v_cndmask_b32_e64 v28, v68, v67, s[16:17]
	v_cmp_ne_u32_e32 vcc, 0, v0
	s_waitcnt lgkmcnt(0)
	v_mov_b32_e32 v68, v11
	v_cndmask_b32_e32 v28, 0, v28, vcc
	v_add_u32_e32 v33, v29, v28
	s_load_dwordx2 s[2:3], s[0:1], 0x30
	s_branch .LBB2071_165
.LBB2071_155:
                                        ; implicit-def: $vgpr68
                                        ; implicit-def: $vgpr10
                                        ; implicit-def: $vgpr33
	s_load_dwordx2 s[2:3], s[0:1], 0x30
	s_cbranch_execz .LBB2071_165
; %bb.156:
	v_mov_b32_dpp v10, v66 row_shr:1 row_mask:0xf bank_mask:0xf
	v_cndmask_b32_e64 v10, v10, 0, s[14:15]
	v_add_u32_e32 v10, v10, v66
	s_nop 1
	v_mov_b32_dpp v11, v10 row_shr:2 row_mask:0xf bank_mask:0xf
	v_cndmask_b32_e64 v11, 0, v11, s[12:13]
	v_add_u32_e32 v10, v10, v11
	s_nop 1
	;; [unrolled: 4-line block ×4, first 2 shown]
	v_mov_b32_dpp v11, v10 row_bcast:15 row_mask:0xf bank_mask:0xf
	v_cndmask_b32_e64 v11, v11, 0, s[6:7]
	v_add_u32_e32 v10, v10, v11
	s_nop 1
	v_mov_b32_dpp v11, v10 row_bcast:31 row_mask:0xf bank_mask:0xf
	v_cndmask_b32_e64 v11, 0, v11, s[18:19]
	v_add_u32_e32 v10, v10, v11
	s_and_saveexec_b64 s[0:1], s[4:5]
	s_cbranch_execz .LBB2071_158
; %bb.157:
	v_lshlrev_b32_e32 v11, 2, v65
	ds_write_b32 v11, v10
.LBB2071_158:
	s_or_b64 exec, exec, s[0:1]
	v_cmp_gt_u32_e32 vcc, 8, v0
	s_waitcnt lgkmcnt(0)
	s_barrier
	s_and_saveexec_b64 s[0:1], vcc
	s_cbranch_execz .LBB2071_160
; %bb.159:
	v_lshlrev_b32_e32 v11, 2, v0
	ds_read_b32 v28, v11
	v_and_b32_e32 v29, 7, v64
	v_cmp_ne_u32_e32 vcc, 0, v29
	s_waitcnt lgkmcnt(0)
	v_mov_b32_dpp v30, v28 row_shr:1 row_mask:0xf bank_mask:0xf
	v_cndmask_b32_e32 v30, 0, v30, vcc
	v_add_u32_e32 v28, v30, v28
	v_cmp_lt_u32_e32 vcc, 1, v29
	s_nop 0
	v_mov_b32_dpp v30, v28 row_shr:2 row_mask:0xf bank_mask:0xf
	v_cndmask_b32_e32 v30, 0, v30, vcc
	v_add_u32_e32 v28, v28, v30
	v_cmp_lt_u32_e32 vcc, 3, v29
	s_nop 0
	v_mov_b32_dpp v30, v28 row_shr:4 row_mask:0xf bank_mask:0xf
	v_cndmask_b32_e32 v29, 0, v30, vcc
	v_add_u32_e32 v28, v28, v29
	ds_write_b32 v11, v28
.LBB2071_160:
	s_or_b64 exec, exec, s[0:1]
	v_cmp_lt_u32_e32 vcc, 63, v0
	v_mov_b32_e32 v11, 0
	v_mov_b32_e32 v28, 0
	s_waitcnt lgkmcnt(0)
	s_barrier
	s_and_saveexec_b64 s[0:1], vcc
	s_cbranch_execz .LBB2071_162
; %bb.161:
	v_lshl_add_u32 v28, v65, 2, -4
	ds_read_b32 v28, v28
.LBB2071_162:
	s_or_b64 exec, exec, s[0:1]
	v_add_u32_e32 v29, -1, v64
	v_and_b32_e32 v30, 64, v64
	v_cmp_lt_i32_e32 vcc, v29, v30
	s_waitcnt lgkmcnt(0)
	v_add_u32_e32 v10, v28, v10
	v_cndmask_b32_e32 v29, v29, v64, vcc
	v_lshlrev_b32_e32 v29, 2, v29
	ds_bpermute_b32 v29, v29, v10
	ds_read_b32 v10, v11 offset:28
	v_cmp_eq_u32_e32 vcc, 0, v0
	s_and_saveexec_b64 s[0:1], vcc
	s_cbranch_execz .LBB2071_164
; %bb.163:
	v_mov_b32_e32 v30, 0
	v_mov_b32_e32 v11, 2
	s_waitcnt lgkmcnt(0)
	global_store_dwordx2 v30, v[10:11], s[36:37] offset:512 sc1
.LBB2071_164:
	s_or_b64 exec, exec, s[0:1]
	v_cmp_eq_u32_e64 s[0:1], 0, v64
	v_mov_b32_e32 v68, 0
	s_waitcnt lgkmcnt(0)
	v_cndmask_b32_e64 v11, v29, v28, s[0:1]
	v_cndmask_b32_e64 v33, v11, 0, vcc
	s_barrier
.LBB2071_165:
	v_add_u32_sdwa v35, v33, v2 dst_sel:DWORD dst_unused:UNUSED_PAD src0_sel:DWORD src1_sel:BYTE_0
	v_add_u32_e32 v9, v10, v9
	v_sub_u32_e32 v33, v33, v68
	v_and_b32_e32 v74, 1, v2
	v_sub_u32_e32 v73, v9, v33
	v_cmp_eq_u32_e32 vcc, 1, v74
	v_lshrrev_b32_e32 v34, 8, v2
	v_add_u32_sdwa v64, v35, v2 dst_sel:DWORD dst_unused:UNUSED_PAD src0_sel:DWORD src1_sel:BYTE_1
	v_cndmask_b32_e32 v33, v73, v33, vcc
	v_lshlrev_b32_e32 v33, 1, v33
	ds_write_b16 v33, v26
	v_sub_u32_e32 v33, v35, v68
	v_sub_u32_e32 v35, v9, v33
	v_and_b32_e32 v34, 1, v34
	v_add_u32_e32 v35, 1, v35
	v_cmp_eq_u32_e32 vcc, 1, v34
	v_mov_b32_e32 v34, 1
	v_and_b32_sdwa v2, v34, v2 dst_sel:DWORD dst_unused:UNUSED_PAD src0_sel:DWORD src1_sel:WORD_1
	v_cndmask_b32_e32 v33, v35, v33, vcc
	v_lshlrev_b32_e32 v33, 1, v33
	ds_write_b16_d16_hi v33, v26
	v_sub_u32_e32 v26, v64, v68
	v_sub_u32_e32 v33, v9, v26
	v_add_u32_e32 v33, 2, v33
	v_cmp_eq_u32_e32 vcc, 1, v2
	v_add_u32_e32 v63, v64, v63
	v_add_u32_e32 v65, v63, v44
	v_cndmask_b32_e32 v2, v33, v26, vcc
	v_lshlrev_b32_e32 v2, 1, v2
	ds_write_b16 v2, v27
	v_sub_u32_e32 v2, v63, v68
	v_sub_u32_e32 v26, v9, v2
	v_and_b32_e32 v33, 1, v44
	v_add_u32_e32 v26, 3, v26
	v_cmp_eq_u32_e32 vcc, 1, v33
	v_add_u32_e32 v60, v65, v60
	v_lshrrev_b32_e32 v32, 8, v3
	v_cndmask_b32_e32 v2, v26, v2, vcc
	v_lshlrev_b32_e32 v2, 1, v2
	ds_write_b16_d16_hi v2, v27
	v_sub_u32_e32 v2, v65, v68
	v_sub_u32_e32 v26, v9, v2
	v_and_b32_e32 v27, 1, v3
	v_add_u32_e32 v26, 4, v26
	v_cmp_eq_u32_e32 vcc, 1, v27
	v_and_b32_e32 v27, 1, v32
	v_add_u32_e32 v61, v60, v61
	v_cndmask_b32_e32 v2, v26, v2, vcc
	v_lshlrev_b32_e32 v2, 1, v2
	ds_write_b16 v2, v24
	v_sub_u32_e32 v2, v60, v68
	v_sub_u32_e32 v26, v9, v2
	v_add_u32_e32 v26, 5, v26
	v_cmp_eq_u32_e32 vcc, 1, v27
	v_and_b32_sdwa v3, v34, v3 dst_sel:DWORD dst_unused:UNUSED_PAD src0_sel:DWORD src1_sel:WORD_1
	v_add_u32_e32 v62, v61, v62
	v_cndmask_b32_e32 v2, v26, v2, vcc
	v_lshlrev_b32_e32 v2, 1, v2
	ds_write_b16_d16_hi v2, v24
	v_sub_u32_e32 v2, v61, v68
	v_sub_u32_e32 v24, v9, v2
	v_add_u32_e32 v24, 6, v24
	v_cmp_eq_u32_e32 vcc, 1, v3
	v_add_u32_e32 v66, v62, v43
	v_add_u32_e32 v57, v66, v57
	v_cndmask_b32_e32 v2, v24, v2, vcc
	v_lshlrev_b32_e32 v2, 1, v2
	ds_write_b16 v2, v25
	v_sub_u32_e32 v2, v62, v68
	v_sub_u32_e32 v3, v9, v2
	v_and_b32_e32 v24, 1, v43
	v_add_u32_e32 v3, 7, v3
	v_cmp_eq_u32_e32 vcc, 1, v24
	v_and_b32_e32 v24, 1, v4
	v_lshrrev_b32_e32 v31, 8, v4
	v_cndmask_b32_e32 v2, v3, v2, vcc
	v_lshlrev_b32_e32 v2, 1, v2
	ds_write_b16_d16_hi v2, v25
	v_sub_u32_e32 v2, v66, v68
	v_sub_u32_e32 v3, v9, v2
	v_add_u32_e32 v3, 8, v3
	v_cmp_eq_u32_e32 vcc, 1, v24
	v_and_b32_e32 v24, 1, v31
	v_add_u32_e32 v58, v57, v58
	v_cndmask_b32_e32 v2, v3, v2, vcc
	v_lshlrev_b32_e32 v2, 1, v2
	ds_write_b16 v2, v22
	v_sub_u32_e32 v2, v57, v68
	v_sub_u32_e32 v3, v9, v2
	v_add_u32_e32 v3, 9, v3
	v_cmp_eq_u32_e32 vcc, 1, v24
	v_and_b32_sdwa v4, v34, v4 dst_sel:DWORD dst_unused:UNUSED_PAD src0_sel:DWORD src1_sel:WORD_1
	v_add_u32_e32 v59, v58, v59
	v_cndmask_b32_e32 v2, v3, v2, vcc
	v_lshlrev_b32_e32 v2, 1, v2
	ds_write_b16_d16_hi v2, v22
	v_sub_u32_e32 v2, v58, v68
	v_sub_u32_e32 v3, v9, v2
	v_add_u32_e32 v3, 10, v3
	v_cmp_eq_u32_e32 vcc, 1, v4
	v_and_b32_e32 v4, 1, v42
	v_add_u32_e32 v67, v59, v42
	v_cndmask_b32_e32 v2, v3, v2, vcc
	v_lshlrev_b32_e32 v2, 1, v2
	ds_write_b16 v2, v23
	v_sub_u32_e32 v2, v59, v68
	v_sub_u32_e32 v3, v9, v2
	v_add_u32_e32 v3, 11, v3
	v_cmp_eq_u32_e32 vcc, 1, v4
	v_and_b32_e32 v4, 1, v5
	v_add_u32_e32 v54, v67, v54
	v_cndmask_b32_e32 v2, v3, v2, vcc
	v_lshlrev_b32_e32 v2, 1, v2
	ds_write_b16_d16_hi v2, v23
	v_sub_u32_e32 v2, v67, v68
	v_sub_u32_e32 v3, v9, v2
	v_add_u32_e32 v3, 12, v3
	v_cmp_eq_u32_e32 vcc, 1, v4
	v_lshrrev_b32_e32 v30, 8, v5
	v_and_b32_e32 v4, 1, v30
	v_cndmask_b32_e32 v2, v3, v2, vcc
	v_lshlrev_b32_e32 v2, 1, v2
	ds_write_b16 v2, v20
	v_sub_u32_e32 v2, v54, v68
	v_sub_u32_e32 v3, v9, v2
	v_add_u32_e32 v3, 13, v3
	v_cmp_eq_u32_e32 vcc, 1, v4
	v_add_u32_e32 v55, v54, v55
	v_and_b32_sdwa v4, v34, v5 dst_sel:DWORD dst_unused:UNUSED_PAD src0_sel:DWORD src1_sel:WORD_1
	v_cndmask_b32_e32 v2, v3, v2, vcc
	v_lshlrev_b32_e32 v2, 1, v2
	ds_write_b16_d16_hi v2, v20
	v_sub_u32_e32 v2, v55, v68
	v_sub_u32_e32 v3, v9, v2
	v_add_u32_e32 v3, 14, v3
	v_cmp_eq_u32_e32 vcc, 1, v4
	v_add_u32_e32 v56, v55, v56
	v_and_b32_e32 v4, 1, v41
	v_cndmask_b32_e32 v2, v3, v2, vcc
	v_lshlrev_b32_e32 v2, 1, v2
	ds_write_b16 v2, v21
	v_sub_u32_e32 v2, v56, v68
	v_sub_u32_e32 v3, v9, v2
	v_add_u32_e32 v3, 15, v3
	v_cmp_eq_u32_e32 vcc, 1, v4
	v_add_u32_e32 v69, v56, v41
	v_and_b32_e32 v4, 1, v6
	v_cndmask_b32_e32 v2, v3, v2, vcc
	v_lshlrev_b32_e32 v2, 1, v2
	ds_write_b16_d16_hi v2, v21
	v_sub_u32_e32 v2, v69, v68
	v_sub_u32_e32 v3, v9, v2
	v_add_u32_e32 v3, 16, v3
	v_cmp_eq_u32_e32 vcc, 1, v4
	v_add_u32_e32 v51, v69, v51
	v_lshrrev_b32_e32 v29, 8, v6
	v_cndmask_b32_e32 v2, v3, v2, vcc
	v_lshlrev_b32_e32 v2, 1, v2
	ds_write_b16 v2, v18
	v_sub_u32_e32 v2, v51, v68
	v_sub_u32_e32 v3, v9, v2
	v_and_b32_e32 v4, 1, v29
	v_add_u32_e32 v3, 17, v3
	v_cmp_eq_u32_e32 vcc, 1, v4
	v_add_u32_e32 v52, v51, v52
	v_and_b32_sdwa v4, v34, v6 dst_sel:DWORD dst_unused:UNUSED_PAD src0_sel:DWORD src1_sel:WORD_1
	v_cndmask_b32_e32 v2, v3, v2, vcc
	v_lshlrev_b32_e32 v2, 1, v2
	ds_write_b16_d16_hi v2, v18
	v_sub_u32_e32 v2, v52, v68
	v_sub_u32_e32 v3, v9, v2
	v_add_u32_e32 v3, 18, v3
	v_cmp_eq_u32_e32 vcc, 1, v4
	v_add_u32_e32 v53, v52, v53
	v_and_b32_e32 v4, 1, v40
	v_cndmask_b32_e32 v2, v3, v2, vcc
	v_lshlrev_b32_e32 v2, 1, v2
	ds_write_b16 v2, v19
	v_sub_u32_e32 v2, v53, v68
	v_sub_u32_e32 v3, v9, v2
	v_add_u32_e32 v3, 19, v3
	v_cmp_eq_u32_e32 vcc, 1, v4
	v_add_u32_e32 v70, v53, v40
	v_and_b32_e32 v4, 1, v7
	v_cndmask_b32_e32 v2, v3, v2, vcc
	v_lshlrev_b32_e32 v2, 1, v2
	ds_write_b16_d16_hi v2, v19
	v_sub_u32_e32 v2, v70, v68
	v_sub_u32_e32 v3, v9, v2
	v_add_u32_e32 v3, 20, v3
	v_cmp_eq_u32_e32 vcc, 1, v4
	v_add_u32_e32 v48, v70, v48
	v_lshrrev_b32_e32 v28, 8, v7
	v_cndmask_b32_e32 v2, v3, v2, vcc
	v_lshlrev_b32_e32 v2, 1, v2
	ds_write_b16 v2, v16
	v_sub_u32_e32 v2, v48, v68
	v_sub_u32_e32 v3, v9, v2
	v_and_b32_e32 v4, 1, v28
	;; [unrolled: 37-line block ×3, first 2 shown]
	v_add_u32_e32 v3, 25, v3
	v_cmp_eq_u32_e32 vcc, 1, v4
	v_add_u32_e32 v46, v45, v46
	v_and_b32_sdwa v4, v34, v8 dst_sel:DWORD dst_unused:UNUSED_PAD src0_sel:DWORD src1_sel:WORD_1
	v_cndmask_b32_e32 v2, v3, v2, vcc
	v_lshlrev_b32_e32 v2, 1, v2
	ds_write_b16_d16_hi v2, v14
	v_sub_u32_e32 v2, v46, v68
	v_sub_u32_e32 v3, v9, v2
	v_add_u32_e32 v3, 26, v3
	v_cmp_eq_u32_e32 vcc, 1, v4
	v_add_u32_e32 v47, v46, v47
	v_and_b32_e32 v4, 1, v37
	v_cndmask_b32_e32 v2, v3, v2, vcc
	v_lshlrev_b32_e32 v2, 1, v2
	ds_write_b16 v2, v15
	v_sub_u32_e32 v2, v47, v68
	v_sub_u32_e32 v3, v9, v2
	v_add_u32_e32 v3, 27, v3
	v_cmp_eq_u32_e32 vcc, 1, v4
	v_add_u32_e32 v72, v47, v37
	v_and_b32_e32 v4, 1, v36
	v_cndmask_b32_e32 v2, v3, v2, vcc
	v_lshlrev_b32_e32 v2, 1, v2
	ds_write_b16_d16_hi v2, v15
	v_sub_u32_e32 v2, v72, v68
	v_sub_u32_e32 v3, v9, v2
	v_add_u32_e32 v3, 28, v3
	v_cmp_eq_u32_e32 vcc, 1, v4
	v_and_b32_e32 v4, 1, v13
	s_add_u32 s0, s26, s24
	v_cndmask_b32_e32 v2, v3, v2, vcc
	v_lshlrev_b32_e32 v2, 1, v2
	ds_write_b16 v2, v1
	v_sub_u32_e32 v2, v38, v68
	v_add_u32_e32 v2, v72, v2
	v_sub_u32_e32 v3, v9, v2
	v_add_u32_e32 v3, 29, v3
	v_cmp_eq_u32_e32 vcc, 1, v4
	s_addc_u32 s1, s27, 0
	s_sub_u32 s0, s28, s0
	v_cndmask_b32_e32 v2, v3, v2, vcc
	v_lshlrev_b32_e32 v2, 1, v2
	ds_write_b16_d16_hi v2, v1
	s_waitcnt lgkmcnt(0)
	s_barrier
	ds_read_u16 v99, v12
	ds_read_u16 v98, v12 offset:1024
	ds_read_u16 v97, v12 offset:2048
	;; [unrolled: 1-line block ×29, first 2 shown]
	v_mov_b32_e32 v1, 0
	v_mov_b32_e32 v69, v1
	;; [unrolled: 1-line block ×3, first 2 shown]
	s_subb_u32 s1, s29, s1
	v_lshl_add_u64 v[2:3], s[30:31], 0, v[68:69]
	v_lshl_add_u64 v[6:7], s[0:1], 0, v[10:11]
	v_or_b32_e32 v66, 0x200, v0
	v_mov_b32_e32 v67, v1
	v_or_b32_e32 v64, 0x400, v0
	v_mov_b32_e32 v65, v1
	;; [unrolled: 2-line block ×29, first 2 shown]
	s_andn2_b64 vcc, exec, s[34:35]
	v_lshl_add_u64 v[6:7], v[6:7], 0, v[2:3]
	s_cbranch_vccnz .LBB2071_287
; %bb.166:
	v_cmp_ge_u32_e32 vcc, v0, v10
                                        ; implicit-def: $vgpr12_vgpr13
	s_and_saveexec_b64 s[0:1], vcc
	s_xor_b64 s[0:1], exec, s[0:1]
; %bb.167:
	v_not_b32_e32 v12, v0
	v_ashrrev_i32_e32 v13, 31, v12
	v_lshl_add_u64 v[12:13], v[6:7], 0, v[12:13]
; %bb.168:
	s_andn2_saveexec_b64 s[0:1], s[0:1]
; %bb.169:
	v_lshl_add_u64 v[12:13], v[2:3], 0, v[0:1]
; %bb.170:
	s_or_b64 exec, exec, s[0:1]
	v_lshl_add_u64 v[12:13], v[12:13], 1, s[2:3]
	v_cmp_ge_u32_e32 vcc, v66, v10
	s_waitcnt lgkmcnt(14)
	global_store_short v[12:13], v99, off
                                        ; implicit-def: $vgpr12_vgpr13
	s_and_saveexec_b64 s[0:1], vcc
	s_xor_b64 s[0:1], exec, s[0:1]
; %bb.171:
	v_xor_b32_e32 v12, 0xfffffdff, v0
	v_ashrrev_i32_e32 v13, 31, v12
	v_lshl_add_u64 v[12:13], v[6:7], 0, v[12:13]
; %bb.172:
	s_andn2_saveexec_b64 s[0:1], s[0:1]
; %bb.173:
	v_lshl_add_u64 v[12:13], v[2:3], 0, v[66:67]
; %bb.174:
	s_or_b64 exec, exec, s[0:1]
	v_lshl_add_u64 v[12:13], v[12:13], 1, s[2:3]
	v_cmp_ge_u32_e32 vcc, v64, v10
	global_store_short v[12:13], v98, off
                                        ; implicit-def: $vgpr12_vgpr13
	s_and_saveexec_b64 s[0:1], vcc
	s_xor_b64 s[0:1], exec, s[0:1]
; %bb.175:
	v_xor_b32_e32 v12, 0xfffffbff, v0
	v_ashrrev_i32_e32 v13, 31, v12
	v_lshl_add_u64 v[12:13], v[6:7], 0, v[12:13]
; %bb.176:
	s_andn2_saveexec_b64 s[0:1], s[0:1]
; %bb.177:
	v_lshl_add_u64 v[12:13], v[2:3], 0, v[64:65]
; %bb.178:
	s_or_b64 exec, exec, s[0:1]
	v_lshl_add_u64 v[12:13], v[12:13], 1, s[2:3]
	v_cmp_ge_u32_e32 vcc, v62, v10
	;; [unrolled: 16-line block ×16, first 2 shown]
	s_waitcnt lgkmcnt(13)
	global_store_short v[12:13], v83, off
                                        ; implicit-def: $vgpr12_vgpr13
	s_and_saveexec_b64 s[0:1], vcc
	s_xor_b64 s[0:1], exec, s[0:1]
; %bb.235:
	v_xor_b32_e32 v12, 0xffffddff, v0
	v_ashrrev_i32_e32 v13, 31, v12
	v_lshl_add_u64 v[12:13], v[6:7], 0, v[12:13]
; %bb.236:
	s_andn2_saveexec_b64 s[0:1], s[0:1]
; %bb.237:
	v_lshl_add_u64 v[12:13], v[2:3], 0, v[34:35]
; %bb.238:
	s_or_b64 exec, exec, s[0:1]
	v_lshl_add_u64 v[12:13], v[12:13], 1, s[2:3]
	v_cmp_ge_u32_e32 vcc, v32, v10
	s_waitcnt lgkmcnt(12)
	global_store_short v[12:13], v82, off
                                        ; implicit-def: $vgpr12_vgpr13
	s_and_saveexec_b64 s[0:1], vcc
	s_xor_b64 s[0:1], exec, s[0:1]
; %bb.239:
	v_xor_b32_e32 v12, 0xffffdbff, v0
	v_ashrrev_i32_e32 v13, 31, v12
	v_lshl_add_u64 v[12:13], v[6:7], 0, v[12:13]
; %bb.240:
	s_andn2_saveexec_b64 s[0:1], s[0:1]
; %bb.241:
	v_lshl_add_u64 v[12:13], v[2:3], 0, v[32:33]
; %bb.242:
	s_or_b64 exec, exec, s[0:1]
	v_lshl_add_u64 v[12:13], v[12:13], 1, s[2:3]
	v_cmp_ge_u32_e32 vcc, v30, v10
	;; [unrolled: 17-line block ×12, first 2 shown]
	s_waitcnt lgkmcnt(1)
	global_store_short v[12:13], v71, off
                                        ; implicit-def: $vgpr12_vgpr13
	s_and_saveexec_b64 s[0:1], vcc
	s_xor_b64 s[0:1], exec, s[0:1]
; %bb.283:
	v_xor_b32_e32 v12, 0xffffc5ff, v0
	v_ashrrev_i32_e32 v13, 31, v12
	v_lshl_add_u64 v[12:13], v[6:7], 0, v[12:13]
; %bb.284:
	s_andn2_saveexec_b64 s[0:1], s[0:1]
; %bb.285:
	v_lshl_add_u64 v[12:13], v[2:3], 0, v[4:5]
; %bb.286:
	s_or_b64 exec, exec, s[0:1]
	s_mov_b64 s[0:1], -1
	s_branch .LBB2071_469
.LBB2071_287:
	s_mov_b64 s[0:1], 0
                                        ; implicit-def: $vgpr12_vgpr13
	s_cbranch_execz .LBB2071_469
; %bb.288:
	v_cmp_gt_u32_e32 vcc, s33, v0
	s_and_saveexec_b64 s[4:5], vcc
	s_cbranch_execz .LBB2071_374
; %bb.289:
	v_cmp_ge_u32_e32 vcc, v0, v10
                                        ; implicit-def: $vgpr12_vgpr13
	s_and_saveexec_b64 s[6:7], vcc
	s_xor_b64 s[6:7], exec, s[6:7]
; %bb.290:
	v_not_b32_e32 v12, v0
	v_ashrrev_i32_e32 v13, 31, v12
	v_lshl_add_u64 v[12:13], v[6:7], 0, v[12:13]
; %bb.291:
	s_andn2_saveexec_b64 s[6:7], s[6:7]
; %bb.292:
	v_lshl_add_u64 v[12:13], v[2:3], 0, v[0:1]
; %bb.293:
	s_or_b64 exec, exec, s[6:7]
	v_lshl_add_u64 v[12:13], v[12:13], 1, s[2:3]
	s_waitcnt lgkmcnt(14)
	global_store_short v[12:13], v99, off
	s_or_b64 exec, exec, s[4:5]
	v_cmp_gt_u32_e32 vcc, s33, v66
	s_and_saveexec_b64 s[4:5], vcc
	s_cbranch_execnz .LBB2071_375
.LBB2071_294:
	s_or_b64 exec, exec, s[4:5]
	v_cmp_gt_u32_e32 vcc, s33, v64
	s_and_saveexec_b64 s[4:5], vcc
	s_cbranch_execz .LBB2071_380
.LBB2071_295:
	v_cmp_ge_u32_e32 vcc, v64, v10
                                        ; implicit-def: $vgpr12_vgpr13
	s_and_saveexec_b64 s[6:7], vcc
	s_xor_b64 s[6:7], exec, s[6:7]
; %bb.296:
	v_xor_b32_e32 v12, 0xfffffbff, v0
	v_ashrrev_i32_e32 v13, 31, v12
	v_lshl_add_u64 v[12:13], v[6:7], 0, v[12:13]
                                        ; implicit-def: $vgpr64_vgpr65
; %bb.297:
	s_andn2_saveexec_b64 s[6:7], s[6:7]
; %bb.298:
	v_lshl_add_u64 v[12:13], v[2:3], 0, v[64:65]
; %bb.299:
	s_or_b64 exec, exec, s[6:7]
	v_lshl_add_u64 v[12:13], v[12:13], 1, s[2:3]
	s_waitcnt lgkmcnt(14)
	global_store_short v[12:13], v97, off
	s_or_b64 exec, exec, s[4:5]
	v_cmp_gt_u32_e32 vcc, s33, v62
	s_and_saveexec_b64 s[4:5], vcc
	s_cbranch_execnz .LBB2071_381
.LBB2071_300:
	s_or_b64 exec, exec, s[4:5]
	v_cmp_gt_u32_e32 vcc, s33, v60
	s_and_saveexec_b64 s[4:5], vcc
	s_cbranch_execz .LBB2071_386
.LBB2071_301:
	v_cmp_ge_u32_e32 vcc, v60, v10
                                        ; implicit-def: $vgpr12_vgpr13
	s_and_saveexec_b64 s[6:7], vcc
	s_xor_b64 s[6:7], exec, s[6:7]
; %bb.302:
	v_xor_b32_e32 v12, 0xfffff7ff, v0
	v_ashrrev_i32_e32 v13, 31, v12
	v_lshl_add_u64 v[12:13], v[6:7], 0, v[12:13]
                                        ; implicit-def: $vgpr60_vgpr61
; %bb.303:
	s_andn2_saveexec_b64 s[6:7], s[6:7]
; %bb.304:
	v_lshl_add_u64 v[12:13], v[2:3], 0, v[60:61]
; %bb.305:
	s_or_b64 exec, exec, s[6:7]
	v_lshl_add_u64 v[12:13], v[12:13], 1, s[2:3]
	s_waitcnt lgkmcnt(14)
	global_store_short v[12:13], v95, off
	s_or_b64 exec, exec, s[4:5]
	v_cmp_gt_u32_e32 vcc, s33, v58
	s_and_saveexec_b64 s[4:5], vcc
	s_cbranch_execnz .LBB2071_387
.LBB2071_306:
	s_or_b64 exec, exec, s[4:5]
	v_cmp_gt_u32_e32 vcc, s33, v56
	s_and_saveexec_b64 s[4:5], vcc
	s_cbranch_execz .LBB2071_392
.LBB2071_307:
	v_cmp_ge_u32_e32 vcc, v56, v10
                                        ; implicit-def: $vgpr12_vgpr13
	s_and_saveexec_b64 s[6:7], vcc
	s_xor_b64 s[6:7], exec, s[6:7]
; %bb.308:
	v_xor_b32_e32 v12, 0xfffff3ff, v0
	v_ashrrev_i32_e32 v13, 31, v12
	v_lshl_add_u64 v[12:13], v[6:7], 0, v[12:13]
                                        ; implicit-def: $vgpr56_vgpr57
; %bb.309:
	s_andn2_saveexec_b64 s[6:7], s[6:7]
; %bb.310:
	v_lshl_add_u64 v[12:13], v[2:3], 0, v[56:57]
; %bb.311:
	s_or_b64 exec, exec, s[6:7]
	v_lshl_add_u64 v[12:13], v[12:13], 1, s[2:3]
	s_waitcnt lgkmcnt(14)
	global_store_short v[12:13], v93, off
	s_or_b64 exec, exec, s[4:5]
	v_cmp_gt_u32_e32 vcc, s33, v54
	s_and_saveexec_b64 s[4:5], vcc
	s_cbranch_execnz .LBB2071_393
.LBB2071_312:
	s_or_b64 exec, exec, s[4:5]
	v_cmp_gt_u32_e32 vcc, s33, v52
	s_and_saveexec_b64 s[4:5], vcc
	s_cbranch_execz .LBB2071_398
.LBB2071_313:
	v_cmp_ge_u32_e32 vcc, v52, v10
                                        ; implicit-def: $vgpr12_vgpr13
	s_and_saveexec_b64 s[6:7], vcc
	s_xor_b64 s[6:7], exec, s[6:7]
; %bb.314:
	v_xor_b32_e32 v12, 0xffffefff, v0
	v_ashrrev_i32_e32 v13, 31, v12
	v_lshl_add_u64 v[12:13], v[6:7], 0, v[12:13]
                                        ; implicit-def: $vgpr52_vgpr53
; %bb.315:
	s_andn2_saveexec_b64 s[6:7], s[6:7]
; %bb.316:
	v_lshl_add_u64 v[12:13], v[2:3], 0, v[52:53]
; %bb.317:
	s_or_b64 exec, exec, s[6:7]
	v_lshl_add_u64 v[12:13], v[12:13], 1, s[2:3]
	s_waitcnt lgkmcnt(14)
	global_store_short v[12:13], v91, off
	s_or_b64 exec, exec, s[4:5]
	v_cmp_gt_u32_e32 vcc, s33, v50
	s_and_saveexec_b64 s[4:5], vcc
	s_cbranch_execnz .LBB2071_399
.LBB2071_318:
	s_or_b64 exec, exec, s[4:5]
	v_cmp_gt_u32_e32 vcc, s33, v48
	s_and_saveexec_b64 s[4:5], vcc
	s_cbranch_execz .LBB2071_404
.LBB2071_319:
	v_cmp_ge_u32_e32 vcc, v48, v10
                                        ; implicit-def: $vgpr12_vgpr13
	s_and_saveexec_b64 s[6:7], vcc
	s_xor_b64 s[6:7], exec, s[6:7]
; %bb.320:
	v_xor_b32_e32 v12, 0xffffebff, v0
	v_ashrrev_i32_e32 v13, 31, v12
	v_lshl_add_u64 v[12:13], v[6:7], 0, v[12:13]
                                        ; implicit-def: $vgpr48_vgpr49
; %bb.321:
	s_andn2_saveexec_b64 s[6:7], s[6:7]
; %bb.322:
	v_lshl_add_u64 v[12:13], v[2:3], 0, v[48:49]
; %bb.323:
	s_or_b64 exec, exec, s[6:7]
	v_lshl_add_u64 v[12:13], v[12:13], 1, s[2:3]
	s_waitcnt lgkmcnt(14)
	global_store_short v[12:13], v89, off
	s_or_b64 exec, exec, s[4:5]
	v_cmp_gt_u32_e32 vcc, s33, v46
	s_and_saveexec_b64 s[4:5], vcc
	s_cbranch_execnz .LBB2071_405
.LBB2071_324:
	s_or_b64 exec, exec, s[4:5]
	v_cmp_gt_u32_e32 vcc, s33, v44
	s_and_saveexec_b64 s[4:5], vcc
	s_cbranch_execz .LBB2071_410
.LBB2071_325:
	v_cmp_ge_u32_e32 vcc, v44, v10
                                        ; implicit-def: $vgpr12_vgpr13
	s_and_saveexec_b64 s[6:7], vcc
	s_xor_b64 s[6:7], exec, s[6:7]
; %bb.326:
	v_xor_b32_e32 v12, 0xffffe7ff, v0
	v_ashrrev_i32_e32 v13, 31, v12
	v_lshl_add_u64 v[12:13], v[6:7], 0, v[12:13]
                                        ; implicit-def: $vgpr44_vgpr45
; %bb.327:
	s_andn2_saveexec_b64 s[6:7], s[6:7]
; %bb.328:
	v_lshl_add_u64 v[12:13], v[2:3], 0, v[44:45]
; %bb.329:
	s_or_b64 exec, exec, s[6:7]
	v_lshl_add_u64 v[12:13], v[12:13], 1, s[2:3]
	s_waitcnt lgkmcnt(14)
	global_store_short v[12:13], v87, off
	s_or_b64 exec, exec, s[4:5]
	v_cmp_gt_u32_e32 vcc, s33, v42
	s_and_saveexec_b64 s[4:5], vcc
	s_cbranch_execnz .LBB2071_411
.LBB2071_330:
	s_or_b64 exec, exec, s[4:5]
	v_cmp_gt_u32_e32 vcc, s33, v40
	s_and_saveexec_b64 s[4:5], vcc
	s_cbranch_execz .LBB2071_416
.LBB2071_331:
	v_cmp_ge_u32_e32 vcc, v40, v10
                                        ; implicit-def: $vgpr12_vgpr13
	s_and_saveexec_b64 s[6:7], vcc
	s_xor_b64 s[6:7], exec, s[6:7]
; %bb.332:
	v_xor_b32_e32 v12, 0xffffe3ff, v0
	v_ashrrev_i32_e32 v13, 31, v12
	v_lshl_add_u64 v[12:13], v[6:7], 0, v[12:13]
                                        ; implicit-def: $vgpr40_vgpr41
; %bb.333:
	s_andn2_saveexec_b64 s[6:7], s[6:7]
; %bb.334:
	v_lshl_add_u64 v[12:13], v[2:3], 0, v[40:41]
; %bb.335:
	s_or_b64 exec, exec, s[6:7]
	v_lshl_add_u64 v[12:13], v[12:13], 1, s[2:3]
	s_waitcnt lgkmcnt(14)
	global_store_short v[12:13], v85, off
	s_or_b64 exec, exec, s[4:5]
	v_cmp_gt_u32_e32 vcc, s33, v38
	s_and_saveexec_b64 s[4:5], vcc
	s_cbranch_execnz .LBB2071_417
.LBB2071_336:
	s_or_b64 exec, exec, s[4:5]
	v_cmp_gt_u32_e32 vcc, s33, v36
	s_and_saveexec_b64 s[4:5], vcc
	s_cbranch_execz .LBB2071_422
.LBB2071_337:
	v_cmp_ge_u32_e32 vcc, v36, v10
                                        ; implicit-def: $vgpr12_vgpr13
	s_and_saveexec_b64 s[6:7], vcc
	s_xor_b64 s[6:7], exec, s[6:7]
; %bb.338:
	v_xor_b32_e32 v12, 0xffffdfff, v0
	v_ashrrev_i32_e32 v13, 31, v12
	v_lshl_add_u64 v[12:13], v[6:7], 0, v[12:13]
                                        ; implicit-def: $vgpr36_vgpr37
; %bb.339:
	s_andn2_saveexec_b64 s[6:7], s[6:7]
; %bb.340:
	v_lshl_add_u64 v[12:13], v[2:3], 0, v[36:37]
; %bb.341:
	s_or_b64 exec, exec, s[6:7]
	v_lshl_add_u64 v[12:13], v[12:13], 1, s[2:3]
	s_waitcnt lgkmcnt(13)
	global_store_short v[12:13], v83, off
	s_or_b64 exec, exec, s[4:5]
	v_cmp_gt_u32_e32 vcc, s33, v34
	s_and_saveexec_b64 s[4:5], vcc
	s_cbranch_execnz .LBB2071_423
.LBB2071_342:
	s_or_b64 exec, exec, s[4:5]
	v_cmp_gt_u32_e32 vcc, s33, v32
	s_and_saveexec_b64 s[4:5], vcc
	s_cbranch_execz .LBB2071_428
.LBB2071_343:
	v_cmp_ge_u32_e32 vcc, v32, v10
                                        ; implicit-def: $vgpr12_vgpr13
	s_and_saveexec_b64 s[6:7], vcc
	s_xor_b64 s[6:7], exec, s[6:7]
; %bb.344:
	v_xor_b32_e32 v12, 0xffffdbff, v0
	v_ashrrev_i32_e32 v13, 31, v12
	v_lshl_add_u64 v[12:13], v[6:7], 0, v[12:13]
                                        ; implicit-def: $vgpr32_vgpr33
; %bb.345:
	s_andn2_saveexec_b64 s[6:7], s[6:7]
; %bb.346:
	v_lshl_add_u64 v[12:13], v[2:3], 0, v[32:33]
; %bb.347:
	s_or_b64 exec, exec, s[6:7]
	v_lshl_add_u64 v[12:13], v[12:13], 1, s[2:3]
	s_waitcnt lgkmcnt(11)
	global_store_short v[12:13], v81, off
	s_or_b64 exec, exec, s[4:5]
	v_cmp_gt_u32_e32 vcc, s33, v30
	s_and_saveexec_b64 s[4:5], vcc
	s_cbranch_execnz .LBB2071_429
.LBB2071_348:
	s_or_b64 exec, exec, s[4:5]
	v_cmp_gt_u32_e32 vcc, s33, v28
	s_and_saveexec_b64 s[4:5], vcc
	s_cbranch_execz .LBB2071_434
.LBB2071_349:
	v_cmp_ge_u32_e32 vcc, v28, v10
                                        ; implicit-def: $vgpr12_vgpr13
	s_and_saveexec_b64 s[6:7], vcc
	s_xor_b64 s[6:7], exec, s[6:7]
; %bb.350:
	v_xor_b32_e32 v12, 0xffffd7ff, v0
	v_ashrrev_i32_e32 v13, 31, v12
	v_lshl_add_u64 v[12:13], v[6:7], 0, v[12:13]
                                        ; implicit-def: $vgpr28_vgpr29
; %bb.351:
	s_andn2_saveexec_b64 s[6:7], s[6:7]
; %bb.352:
	v_lshl_add_u64 v[12:13], v[2:3], 0, v[28:29]
; %bb.353:
	s_or_b64 exec, exec, s[6:7]
	v_lshl_add_u64 v[12:13], v[12:13], 1, s[2:3]
	s_waitcnt lgkmcnt(9)
	global_store_short v[12:13], v79, off
	s_or_b64 exec, exec, s[4:5]
	v_cmp_gt_u32_e32 vcc, s33, v26
	s_and_saveexec_b64 s[4:5], vcc
	s_cbranch_execnz .LBB2071_435
.LBB2071_354:
	s_or_b64 exec, exec, s[4:5]
	v_cmp_gt_u32_e32 vcc, s33, v24
	s_and_saveexec_b64 s[4:5], vcc
	s_cbranch_execz .LBB2071_440
.LBB2071_355:
	v_cmp_ge_u32_e32 vcc, v24, v10
                                        ; implicit-def: $vgpr12_vgpr13
	s_and_saveexec_b64 s[6:7], vcc
	s_xor_b64 s[6:7], exec, s[6:7]
; %bb.356:
	v_xor_b32_e32 v12, 0xffffd3ff, v0
	v_ashrrev_i32_e32 v13, 31, v12
	v_lshl_add_u64 v[12:13], v[6:7], 0, v[12:13]
                                        ; implicit-def: $vgpr24_vgpr25
; %bb.357:
	s_andn2_saveexec_b64 s[6:7], s[6:7]
; %bb.358:
	v_lshl_add_u64 v[12:13], v[2:3], 0, v[24:25]
; %bb.359:
	s_or_b64 exec, exec, s[6:7]
	v_lshl_add_u64 v[12:13], v[12:13], 1, s[2:3]
	s_waitcnt lgkmcnt(7)
	global_store_short v[12:13], v77, off
	s_or_b64 exec, exec, s[4:5]
	v_cmp_gt_u32_e32 vcc, s33, v22
	s_and_saveexec_b64 s[4:5], vcc
	s_cbranch_execnz .LBB2071_441
.LBB2071_360:
	s_or_b64 exec, exec, s[4:5]
	v_cmp_gt_u32_e32 vcc, s33, v20
	s_and_saveexec_b64 s[4:5], vcc
	s_cbranch_execz .LBB2071_446
.LBB2071_361:
	v_cmp_ge_u32_e32 vcc, v20, v10
                                        ; implicit-def: $vgpr12_vgpr13
	s_and_saveexec_b64 s[6:7], vcc
	s_xor_b64 s[6:7], exec, s[6:7]
; %bb.362:
	v_xor_b32_e32 v12, 0xffffcfff, v0
	v_ashrrev_i32_e32 v13, 31, v12
	v_lshl_add_u64 v[12:13], v[6:7], 0, v[12:13]
                                        ; implicit-def: $vgpr20_vgpr21
; %bb.363:
	s_andn2_saveexec_b64 s[6:7], s[6:7]
; %bb.364:
	v_lshl_add_u64 v[12:13], v[2:3], 0, v[20:21]
; %bb.365:
	s_or_b64 exec, exec, s[6:7]
	v_lshl_add_u64 v[12:13], v[12:13], 1, s[2:3]
	s_waitcnt lgkmcnt(5)
	global_store_short v[12:13], v75, off
	s_or_b64 exec, exec, s[4:5]
	v_cmp_gt_u32_e32 vcc, s33, v18
	s_and_saveexec_b64 s[4:5], vcc
	s_cbranch_execnz .LBB2071_447
.LBB2071_366:
	s_or_b64 exec, exec, s[4:5]
	v_cmp_gt_u32_e32 vcc, s33, v16
	s_and_saveexec_b64 s[4:5], vcc
	s_cbranch_execz .LBB2071_452
.LBB2071_367:
	v_cmp_ge_u32_e32 vcc, v16, v10
                                        ; implicit-def: $vgpr12_vgpr13
	s_and_saveexec_b64 s[6:7], vcc
	s_xor_b64 s[6:7], exec, s[6:7]
; %bb.368:
	v_xor_b32_e32 v12, 0xffffcbff, v0
	v_ashrrev_i32_e32 v13, 31, v12
	v_lshl_add_u64 v[12:13], v[6:7], 0, v[12:13]
                                        ; implicit-def: $vgpr16_vgpr17
; %bb.369:
	s_andn2_saveexec_b64 s[6:7], s[6:7]
; %bb.370:
	v_lshl_add_u64 v[12:13], v[2:3], 0, v[16:17]
; %bb.371:
	s_or_b64 exec, exec, s[6:7]
	v_lshl_add_u64 v[12:13], v[12:13], 1, s[2:3]
	s_waitcnt lgkmcnt(3)
	global_store_short v[12:13], v73, off
	s_or_b64 exec, exec, s[4:5]
	v_cmp_gt_u32_e32 vcc, s33, v14
	s_and_saveexec_b64 s[4:5], vcc
	s_cbranch_execnz .LBB2071_453
.LBB2071_372:
	s_or_b64 exec, exec, s[4:5]
	v_cmp_gt_u32_e32 vcc, s33, v8
	s_and_saveexec_b64 s[4:5], vcc
	s_cbranch_execnz .LBB2071_458
.LBB2071_373:
	s_or_b64 exec, exec, s[4:5]
	v_cmp_gt_u32_e32 vcc, s33, v4
                                        ; implicit-def: $vgpr12_vgpr13
	s_and_saveexec_b64 s[4:5], vcc
	s_cbranch_execz .LBB2071_468
	s_branch .LBB2071_463
.LBB2071_374:
	s_or_b64 exec, exec, s[4:5]
	v_cmp_gt_u32_e32 vcc, s33, v66
	s_and_saveexec_b64 s[4:5], vcc
	s_cbranch_execz .LBB2071_294
.LBB2071_375:
	v_cmp_ge_u32_e32 vcc, v66, v10
                                        ; implicit-def: $vgpr12_vgpr13
	s_and_saveexec_b64 s[6:7], vcc
	s_xor_b64 s[6:7], exec, s[6:7]
; %bb.376:
	v_xor_b32_e32 v12, 0xfffffdff, v0
	v_ashrrev_i32_e32 v13, 31, v12
	v_lshl_add_u64 v[12:13], v[6:7], 0, v[12:13]
                                        ; implicit-def: $vgpr66_vgpr67
; %bb.377:
	s_andn2_saveexec_b64 s[6:7], s[6:7]
; %bb.378:
	v_lshl_add_u64 v[12:13], v[2:3], 0, v[66:67]
; %bb.379:
	s_or_b64 exec, exec, s[6:7]
	v_lshl_add_u64 v[12:13], v[12:13], 1, s[2:3]
	s_waitcnt lgkmcnt(14)
	global_store_short v[12:13], v98, off
	s_or_b64 exec, exec, s[4:5]
	v_cmp_gt_u32_e32 vcc, s33, v64
	s_and_saveexec_b64 s[4:5], vcc
	s_cbranch_execnz .LBB2071_295
.LBB2071_380:
	s_or_b64 exec, exec, s[4:5]
	v_cmp_gt_u32_e32 vcc, s33, v62
	s_and_saveexec_b64 s[4:5], vcc
	s_cbranch_execz .LBB2071_300
.LBB2071_381:
	v_cmp_ge_u32_e32 vcc, v62, v10
                                        ; implicit-def: $vgpr12_vgpr13
	s_and_saveexec_b64 s[6:7], vcc
	s_xor_b64 s[6:7], exec, s[6:7]
; %bb.382:
	v_xor_b32_e32 v12, 0xfffff9ff, v0
	v_ashrrev_i32_e32 v13, 31, v12
	v_lshl_add_u64 v[12:13], v[6:7], 0, v[12:13]
                                        ; implicit-def: $vgpr62_vgpr63
; %bb.383:
	s_andn2_saveexec_b64 s[6:7], s[6:7]
; %bb.384:
	v_lshl_add_u64 v[12:13], v[2:3], 0, v[62:63]
; %bb.385:
	s_or_b64 exec, exec, s[6:7]
	v_lshl_add_u64 v[12:13], v[12:13], 1, s[2:3]
	s_waitcnt lgkmcnt(14)
	global_store_short v[12:13], v96, off
	s_or_b64 exec, exec, s[4:5]
	v_cmp_gt_u32_e32 vcc, s33, v60
	s_and_saveexec_b64 s[4:5], vcc
	s_cbranch_execnz .LBB2071_301
.LBB2071_386:
	s_or_b64 exec, exec, s[4:5]
	v_cmp_gt_u32_e32 vcc, s33, v58
	s_and_saveexec_b64 s[4:5], vcc
	s_cbranch_execz .LBB2071_306
.LBB2071_387:
	v_cmp_ge_u32_e32 vcc, v58, v10
                                        ; implicit-def: $vgpr12_vgpr13
	s_and_saveexec_b64 s[6:7], vcc
	s_xor_b64 s[6:7], exec, s[6:7]
; %bb.388:
	v_xor_b32_e32 v12, 0xfffff5ff, v0
	v_ashrrev_i32_e32 v13, 31, v12
	v_lshl_add_u64 v[12:13], v[6:7], 0, v[12:13]
                                        ; implicit-def: $vgpr58_vgpr59
; %bb.389:
	s_andn2_saveexec_b64 s[6:7], s[6:7]
; %bb.390:
	v_lshl_add_u64 v[12:13], v[2:3], 0, v[58:59]
; %bb.391:
	s_or_b64 exec, exec, s[6:7]
	v_lshl_add_u64 v[12:13], v[12:13], 1, s[2:3]
	s_waitcnt lgkmcnt(14)
	global_store_short v[12:13], v94, off
	s_or_b64 exec, exec, s[4:5]
	v_cmp_gt_u32_e32 vcc, s33, v56
	s_and_saveexec_b64 s[4:5], vcc
	s_cbranch_execnz .LBB2071_307
.LBB2071_392:
	s_or_b64 exec, exec, s[4:5]
	v_cmp_gt_u32_e32 vcc, s33, v54
	s_and_saveexec_b64 s[4:5], vcc
	s_cbranch_execz .LBB2071_312
.LBB2071_393:
	v_cmp_ge_u32_e32 vcc, v54, v10
                                        ; implicit-def: $vgpr12_vgpr13
	s_and_saveexec_b64 s[6:7], vcc
	s_xor_b64 s[6:7], exec, s[6:7]
; %bb.394:
	v_xor_b32_e32 v12, 0xfffff1ff, v0
	v_ashrrev_i32_e32 v13, 31, v12
	v_lshl_add_u64 v[12:13], v[6:7], 0, v[12:13]
                                        ; implicit-def: $vgpr54_vgpr55
; %bb.395:
	s_andn2_saveexec_b64 s[6:7], s[6:7]
; %bb.396:
	v_lshl_add_u64 v[12:13], v[2:3], 0, v[54:55]
; %bb.397:
	s_or_b64 exec, exec, s[6:7]
	v_lshl_add_u64 v[12:13], v[12:13], 1, s[2:3]
	s_waitcnt lgkmcnt(14)
	global_store_short v[12:13], v92, off
	s_or_b64 exec, exec, s[4:5]
	v_cmp_gt_u32_e32 vcc, s33, v52
	s_and_saveexec_b64 s[4:5], vcc
	s_cbranch_execnz .LBB2071_313
.LBB2071_398:
	s_or_b64 exec, exec, s[4:5]
	v_cmp_gt_u32_e32 vcc, s33, v50
	s_and_saveexec_b64 s[4:5], vcc
	s_cbranch_execz .LBB2071_318
.LBB2071_399:
	v_cmp_ge_u32_e32 vcc, v50, v10
                                        ; implicit-def: $vgpr12_vgpr13
	s_and_saveexec_b64 s[6:7], vcc
	s_xor_b64 s[6:7], exec, s[6:7]
; %bb.400:
	v_xor_b32_e32 v12, 0xffffedff, v0
	v_ashrrev_i32_e32 v13, 31, v12
	v_lshl_add_u64 v[12:13], v[6:7], 0, v[12:13]
                                        ; implicit-def: $vgpr50_vgpr51
; %bb.401:
	s_andn2_saveexec_b64 s[6:7], s[6:7]
; %bb.402:
	v_lshl_add_u64 v[12:13], v[2:3], 0, v[50:51]
; %bb.403:
	s_or_b64 exec, exec, s[6:7]
	v_lshl_add_u64 v[12:13], v[12:13], 1, s[2:3]
	s_waitcnt lgkmcnt(14)
	global_store_short v[12:13], v90, off
	s_or_b64 exec, exec, s[4:5]
	v_cmp_gt_u32_e32 vcc, s33, v48
	s_and_saveexec_b64 s[4:5], vcc
	s_cbranch_execnz .LBB2071_319
.LBB2071_404:
	s_or_b64 exec, exec, s[4:5]
	v_cmp_gt_u32_e32 vcc, s33, v46
	s_and_saveexec_b64 s[4:5], vcc
	s_cbranch_execz .LBB2071_324
.LBB2071_405:
	v_cmp_ge_u32_e32 vcc, v46, v10
                                        ; implicit-def: $vgpr12_vgpr13
	s_and_saveexec_b64 s[6:7], vcc
	s_xor_b64 s[6:7], exec, s[6:7]
; %bb.406:
	v_xor_b32_e32 v12, 0xffffe9ff, v0
	v_ashrrev_i32_e32 v13, 31, v12
	v_lshl_add_u64 v[12:13], v[6:7], 0, v[12:13]
                                        ; implicit-def: $vgpr46_vgpr47
; %bb.407:
	s_andn2_saveexec_b64 s[6:7], s[6:7]
; %bb.408:
	v_lshl_add_u64 v[12:13], v[2:3], 0, v[46:47]
; %bb.409:
	s_or_b64 exec, exec, s[6:7]
	v_lshl_add_u64 v[12:13], v[12:13], 1, s[2:3]
	s_waitcnt lgkmcnt(14)
	global_store_short v[12:13], v88, off
	s_or_b64 exec, exec, s[4:5]
	v_cmp_gt_u32_e32 vcc, s33, v44
	s_and_saveexec_b64 s[4:5], vcc
	s_cbranch_execnz .LBB2071_325
.LBB2071_410:
	s_or_b64 exec, exec, s[4:5]
	v_cmp_gt_u32_e32 vcc, s33, v42
	s_and_saveexec_b64 s[4:5], vcc
	s_cbranch_execz .LBB2071_330
.LBB2071_411:
	v_cmp_ge_u32_e32 vcc, v42, v10
                                        ; implicit-def: $vgpr12_vgpr13
	s_and_saveexec_b64 s[6:7], vcc
	s_xor_b64 s[6:7], exec, s[6:7]
; %bb.412:
	v_xor_b32_e32 v12, 0xffffe5ff, v0
	v_ashrrev_i32_e32 v13, 31, v12
	v_lshl_add_u64 v[12:13], v[6:7], 0, v[12:13]
                                        ; implicit-def: $vgpr42_vgpr43
; %bb.413:
	s_andn2_saveexec_b64 s[6:7], s[6:7]
; %bb.414:
	v_lshl_add_u64 v[12:13], v[2:3], 0, v[42:43]
; %bb.415:
	s_or_b64 exec, exec, s[6:7]
	v_lshl_add_u64 v[12:13], v[12:13], 1, s[2:3]
	s_waitcnt lgkmcnt(14)
	global_store_short v[12:13], v86, off
	s_or_b64 exec, exec, s[4:5]
	v_cmp_gt_u32_e32 vcc, s33, v40
	s_and_saveexec_b64 s[4:5], vcc
	s_cbranch_execnz .LBB2071_331
.LBB2071_416:
	s_or_b64 exec, exec, s[4:5]
	v_cmp_gt_u32_e32 vcc, s33, v38
	s_and_saveexec_b64 s[4:5], vcc
	s_cbranch_execz .LBB2071_336
.LBB2071_417:
	v_cmp_ge_u32_e32 vcc, v38, v10
                                        ; implicit-def: $vgpr12_vgpr13
	s_and_saveexec_b64 s[6:7], vcc
	s_xor_b64 s[6:7], exec, s[6:7]
; %bb.418:
	v_xor_b32_e32 v12, 0xffffe1ff, v0
	v_ashrrev_i32_e32 v13, 31, v12
	v_lshl_add_u64 v[12:13], v[6:7], 0, v[12:13]
                                        ; implicit-def: $vgpr38_vgpr39
; %bb.419:
	s_andn2_saveexec_b64 s[6:7], s[6:7]
; %bb.420:
	v_lshl_add_u64 v[12:13], v[2:3], 0, v[38:39]
; %bb.421:
	s_or_b64 exec, exec, s[6:7]
	v_lshl_add_u64 v[12:13], v[12:13], 1, s[2:3]
	s_waitcnt lgkmcnt(14)
	global_store_short v[12:13], v84, off
	s_or_b64 exec, exec, s[4:5]
	v_cmp_gt_u32_e32 vcc, s33, v36
	s_and_saveexec_b64 s[4:5], vcc
	s_cbranch_execnz .LBB2071_337
.LBB2071_422:
	s_or_b64 exec, exec, s[4:5]
	v_cmp_gt_u32_e32 vcc, s33, v34
	s_and_saveexec_b64 s[4:5], vcc
	s_cbranch_execz .LBB2071_342
.LBB2071_423:
	v_cmp_ge_u32_e32 vcc, v34, v10
                                        ; implicit-def: $vgpr12_vgpr13
	s_and_saveexec_b64 s[6:7], vcc
	s_xor_b64 s[6:7], exec, s[6:7]
; %bb.424:
	v_xor_b32_e32 v12, 0xffffddff, v0
	v_ashrrev_i32_e32 v13, 31, v12
	v_lshl_add_u64 v[12:13], v[6:7], 0, v[12:13]
                                        ; implicit-def: $vgpr34_vgpr35
; %bb.425:
	s_andn2_saveexec_b64 s[6:7], s[6:7]
; %bb.426:
	v_lshl_add_u64 v[12:13], v[2:3], 0, v[34:35]
; %bb.427:
	s_or_b64 exec, exec, s[6:7]
	v_lshl_add_u64 v[12:13], v[12:13], 1, s[2:3]
	s_waitcnt lgkmcnt(12)
	global_store_short v[12:13], v82, off
	s_or_b64 exec, exec, s[4:5]
	v_cmp_gt_u32_e32 vcc, s33, v32
	s_and_saveexec_b64 s[4:5], vcc
	s_cbranch_execnz .LBB2071_343
.LBB2071_428:
	s_or_b64 exec, exec, s[4:5]
	v_cmp_gt_u32_e32 vcc, s33, v30
	s_and_saveexec_b64 s[4:5], vcc
	s_cbranch_execz .LBB2071_348
.LBB2071_429:
	v_cmp_ge_u32_e32 vcc, v30, v10
                                        ; implicit-def: $vgpr12_vgpr13
	s_and_saveexec_b64 s[6:7], vcc
	s_xor_b64 s[6:7], exec, s[6:7]
; %bb.430:
	v_xor_b32_e32 v12, 0xffffd9ff, v0
	v_ashrrev_i32_e32 v13, 31, v12
	v_lshl_add_u64 v[12:13], v[6:7], 0, v[12:13]
                                        ; implicit-def: $vgpr30_vgpr31
; %bb.431:
	s_andn2_saveexec_b64 s[6:7], s[6:7]
; %bb.432:
	v_lshl_add_u64 v[12:13], v[2:3], 0, v[30:31]
; %bb.433:
	s_or_b64 exec, exec, s[6:7]
	v_lshl_add_u64 v[12:13], v[12:13], 1, s[2:3]
	s_waitcnt lgkmcnt(10)
	global_store_short v[12:13], v80, off
	s_or_b64 exec, exec, s[4:5]
	v_cmp_gt_u32_e32 vcc, s33, v28
	s_and_saveexec_b64 s[4:5], vcc
	s_cbranch_execnz .LBB2071_349
.LBB2071_434:
	s_or_b64 exec, exec, s[4:5]
	v_cmp_gt_u32_e32 vcc, s33, v26
	s_and_saveexec_b64 s[4:5], vcc
	s_cbranch_execz .LBB2071_354
.LBB2071_435:
	v_cmp_ge_u32_e32 vcc, v26, v10
                                        ; implicit-def: $vgpr12_vgpr13
	s_and_saveexec_b64 s[6:7], vcc
	s_xor_b64 s[6:7], exec, s[6:7]
; %bb.436:
	v_xor_b32_e32 v12, 0xffffd5ff, v0
	v_ashrrev_i32_e32 v13, 31, v12
	v_lshl_add_u64 v[12:13], v[6:7], 0, v[12:13]
                                        ; implicit-def: $vgpr26_vgpr27
; %bb.437:
	s_andn2_saveexec_b64 s[6:7], s[6:7]
; %bb.438:
	v_lshl_add_u64 v[12:13], v[2:3], 0, v[26:27]
; %bb.439:
	s_or_b64 exec, exec, s[6:7]
	v_lshl_add_u64 v[12:13], v[12:13], 1, s[2:3]
	s_waitcnt lgkmcnt(8)
	global_store_short v[12:13], v78, off
	s_or_b64 exec, exec, s[4:5]
	v_cmp_gt_u32_e32 vcc, s33, v24
	s_and_saveexec_b64 s[4:5], vcc
	s_cbranch_execnz .LBB2071_355
.LBB2071_440:
	s_or_b64 exec, exec, s[4:5]
	v_cmp_gt_u32_e32 vcc, s33, v22
	s_and_saveexec_b64 s[4:5], vcc
	s_cbranch_execz .LBB2071_360
.LBB2071_441:
	v_cmp_ge_u32_e32 vcc, v22, v10
                                        ; implicit-def: $vgpr12_vgpr13
	s_and_saveexec_b64 s[6:7], vcc
	s_xor_b64 s[6:7], exec, s[6:7]
; %bb.442:
	v_xor_b32_e32 v12, 0xffffd1ff, v0
	v_ashrrev_i32_e32 v13, 31, v12
	v_lshl_add_u64 v[12:13], v[6:7], 0, v[12:13]
                                        ; implicit-def: $vgpr22_vgpr23
; %bb.443:
	s_andn2_saveexec_b64 s[6:7], s[6:7]
; %bb.444:
	v_lshl_add_u64 v[12:13], v[2:3], 0, v[22:23]
; %bb.445:
	s_or_b64 exec, exec, s[6:7]
	v_lshl_add_u64 v[12:13], v[12:13], 1, s[2:3]
	s_waitcnt lgkmcnt(6)
	global_store_short v[12:13], v76, off
	s_or_b64 exec, exec, s[4:5]
	v_cmp_gt_u32_e32 vcc, s33, v20
	s_and_saveexec_b64 s[4:5], vcc
	s_cbranch_execnz .LBB2071_361
.LBB2071_446:
	s_or_b64 exec, exec, s[4:5]
	v_cmp_gt_u32_e32 vcc, s33, v18
	s_and_saveexec_b64 s[4:5], vcc
	s_cbranch_execz .LBB2071_366
.LBB2071_447:
	v_cmp_ge_u32_e32 vcc, v18, v10
                                        ; implicit-def: $vgpr12_vgpr13
	s_and_saveexec_b64 s[6:7], vcc
	s_xor_b64 s[6:7], exec, s[6:7]
; %bb.448:
	v_xor_b32_e32 v12, 0xffffcdff, v0
	v_ashrrev_i32_e32 v13, 31, v12
	v_lshl_add_u64 v[12:13], v[6:7], 0, v[12:13]
                                        ; implicit-def: $vgpr18_vgpr19
; %bb.449:
	s_andn2_saveexec_b64 s[6:7], s[6:7]
; %bb.450:
	v_lshl_add_u64 v[12:13], v[2:3], 0, v[18:19]
; %bb.451:
	s_or_b64 exec, exec, s[6:7]
	v_lshl_add_u64 v[12:13], v[12:13], 1, s[2:3]
	s_waitcnt lgkmcnt(4)
	global_store_short v[12:13], v74, off
	s_or_b64 exec, exec, s[4:5]
	v_cmp_gt_u32_e32 vcc, s33, v16
	s_and_saveexec_b64 s[4:5], vcc
	s_cbranch_execnz .LBB2071_367
.LBB2071_452:
	s_or_b64 exec, exec, s[4:5]
	v_cmp_gt_u32_e32 vcc, s33, v14
	s_and_saveexec_b64 s[4:5], vcc
	s_cbranch_execz .LBB2071_372
.LBB2071_453:
	v_cmp_ge_u32_e32 vcc, v14, v10
                                        ; implicit-def: $vgpr12_vgpr13
	s_and_saveexec_b64 s[6:7], vcc
	s_xor_b64 s[6:7], exec, s[6:7]
; %bb.454:
	v_xor_b32_e32 v12, 0xffffc9ff, v0
	v_ashrrev_i32_e32 v13, 31, v12
	v_lshl_add_u64 v[12:13], v[6:7], 0, v[12:13]
                                        ; implicit-def: $vgpr14_vgpr15
; %bb.455:
	s_andn2_saveexec_b64 s[6:7], s[6:7]
; %bb.456:
	v_lshl_add_u64 v[12:13], v[2:3], 0, v[14:15]
; %bb.457:
	s_or_b64 exec, exec, s[6:7]
	v_lshl_add_u64 v[12:13], v[12:13], 1, s[2:3]
	s_waitcnt lgkmcnt(2)
	global_store_short v[12:13], v72, off
	s_or_b64 exec, exec, s[4:5]
	v_cmp_gt_u32_e32 vcc, s33, v8
	s_and_saveexec_b64 s[4:5], vcc
	s_cbranch_execz .LBB2071_373
.LBB2071_458:
	v_cmp_ge_u32_e32 vcc, v8, v10
                                        ; implicit-def: $vgpr12_vgpr13
	s_and_saveexec_b64 s[6:7], vcc
	s_xor_b64 s[6:7], exec, s[6:7]
; %bb.459:
	v_xor_b32_e32 v8, 0xffffc7ff, v0
	v_ashrrev_i32_e32 v9, 31, v8
	v_lshl_add_u64 v[12:13], v[6:7], 0, v[8:9]
                                        ; implicit-def: $vgpr8_vgpr9
; %bb.460:
	s_andn2_saveexec_b64 s[6:7], s[6:7]
; %bb.461:
	v_lshl_add_u64 v[12:13], v[2:3], 0, v[8:9]
; %bb.462:
	s_or_b64 exec, exec, s[6:7]
	v_lshl_add_u64 v[8:9], v[12:13], 1, s[2:3]
	s_waitcnt lgkmcnt(1)
	global_store_short v[8:9], v71, off
	s_or_b64 exec, exec, s[4:5]
	v_cmp_gt_u32_e32 vcc, s33, v4
                                        ; implicit-def: $vgpr12_vgpr13
	s_and_saveexec_b64 s[4:5], vcc
	s_cbranch_execz .LBB2071_468
.LBB2071_463:
	v_cmp_ge_u32_e32 vcc, v4, v10
                                        ; implicit-def: $vgpr12_vgpr13
	s_and_saveexec_b64 s[6:7], vcc
	s_xor_b64 s[6:7], exec, s[6:7]
; %bb.464:
	v_xor_b32_e32 v4, 0xffffc5ff, v0
	v_ashrrev_i32_e32 v5, 31, v4
	v_lshl_add_u64 v[12:13], v[6:7], 0, v[4:5]
                                        ; implicit-def: $vgpr4_vgpr5
; %bb.465:
	s_andn2_saveexec_b64 s[6:7], s[6:7]
; %bb.466:
	v_lshl_add_u64 v[12:13], v[2:3], 0, v[4:5]
; %bb.467:
	s_or_b64 exec, exec, s[6:7]
	s_or_b64 s[0:1], s[0:1], exec
.LBB2071_468:
	s_or_b64 exec, exec, s[4:5]
.LBB2071_469:
	s_and_saveexec_b64 s[4:5], s[0:1]
	s_cbranch_execz .LBB2071_471
; %bb.470:
	v_lshl_add_u64 v[4:5], v[12:13], 1, s[2:3]
	s_waitcnt lgkmcnt(0)
	global_store_short v[4:5], v70, off
.LBB2071_471:
	s_or_b64 exec, exec, s[4:5]
	v_cmp_eq_u32_e32 vcc, 0, v0
	s_and_b64 s[0:1], vcc, s[22:23]
	s_and_saveexec_b64 s[2:3], s[0:1]
	s_cbranch_execz .LBB2071_473
; %bb.472:
	v_mov_b32_e32 v4, 0
	v_lshl_add_u64 v[0:1], v[2:3], 0, v[10:11]
	global_store_dwordx2 v4, v[0:1], s[20:21]
.LBB2071_473:
	s_endpgm
	.section	.rodata,"a",@progbits
	.p2align	6, 0x0
	.amdhsa_kernel _ZN7rocprim17ROCPRIM_400000_NS6detail17trampoline_kernelINS0_14default_configENS1_25partition_config_selectorILNS1_17partition_subalgoE2EtNS0_10empty_typeEbEEZZNS1_14partition_implILS5_2ELb0ES3_jN6thrust23THRUST_200600_302600_NS6detail15normal_iteratorINSA_7pointerItNSA_11hip_rocprim3tagENSA_11use_defaultESG_EEEEPS6_NSA_18transform_iteratorI7is_evenItENSC_INSA_10device_ptrItEEEESG_SG_EENS0_5tupleIJPtSJ_EEENSR_IJSJ_SJ_EEES6_PlJS6_EEE10hipError_tPvRmT3_T4_T5_T6_T7_T9_mT8_P12ihipStream_tbDpT10_ENKUlT_T0_E_clISt17integral_constantIbLb0EES1F_EEDaS1A_S1B_EUlS1A_E_NS1_11comp_targetILNS1_3genE5ELNS1_11target_archE942ELNS1_3gpuE9ELNS1_3repE0EEENS1_30default_config_static_selectorELNS0_4arch9wavefront6targetE1EEEvT1_
		.amdhsa_group_segment_fixed_size 30728
		.amdhsa_private_segment_fixed_size 0
		.amdhsa_kernarg_size 128
		.amdhsa_user_sgpr_count 2
		.amdhsa_user_sgpr_dispatch_ptr 0
		.amdhsa_user_sgpr_queue_ptr 0
		.amdhsa_user_sgpr_kernarg_segment_ptr 1
		.amdhsa_user_sgpr_dispatch_id 0
		.amdhsa_user_sgpr_kernarg_preload_length 0
		.amdhsa_user_sgpr_kernarg_preload_offset 0
		.amdhsa_user_sgpr_private_segment_size 0
		.amdhsa_uses_dynamic_stack 0
		.amdhsa_enable_private_segment 0
		.amdhsa_system_sgpr_workgroup_id_x 1
		.amdhsa_system_sgpr_workgroup_id_y 0
		.amdhsa_system_sgpr_workgroup_id_z 0
		.amdhsa_system_sgpr_workgroup_info 0
		.amdhsa_system_vgpr_workitem_id 0
		.amdhsa_next_free_vgpr 100
		.amdhsa_next_free_sgpr 46
		.amdhsa_accum_offset 100
		.amdhsa_reserve_vcc 1
		.amdhsa_float_round_mode_32 0
		.amdhsa_float_round_mode_16_64 0
		.amdhsa_float_denorm_mode_32 3
		.amdhsa_float_denorm_mode_16_64 3
		.amdhsa_dx10_clamp 1
		.amdhsa_ieee_mode 1
		.amdhsa_fp16_overflow 0
		.amdhsa_tg_split 0
		.amdhsa_exception_fp_ieee_invalid_op 0
		.amdhsa_exception_fp_denorm_src 0
		.amdhsa_exception_fp_ieee_div_zero 0
		.amdhsa_exception_fp_ieee_overflow 0
		.amdhsa_exception_fp_ieee_underflow 0
		.amdhsa_exception_fp_ieee_inexact 0
		.amdhsa_exception_int_div_zero 0
	.end_amdhsa_kernel
	.section	.text._ZN7rocprim17ROCPRIM_400000_NS6detail17trampoline_kernelINS0_14default_configENS1_25partition_config_selectorILNS1_17partition_subalgoE2EtNS0_10empty_typeEbEEZZNS1_14partition_implILS5_2ELb0ES3_jN6thrust23THRUST_200600_302600_NS6detail15normal_iteratorINSA_7pointerItNSA_11hip_rocprim3tagENSA_11use_defaultESG_EEEEPS6_NSA_18transform_iteratorI7is_evenItENSC_INSA_10device_ptrItEEEESG_SG_EENS0_5tupleIJPtSJ_EEENSR_IJSJ_SJ_EEES6_PlJS6_EEE10hipError_tPvRmT3_T4_T5_T6_T7_T9_mT8_P12ihipStream_tbDpT10_ENKUlT_T0_E_clISt17integral_constantIbLb0EES1F_EEDaS1A_S1B_EUlS1A_E_NS1_11comp_targetILNS1_3genE5ELNS1_11target_archE942ELNS1_3gpuE9ELNS1_3repE0EEENS1_30default_config_static_selectorELNS0_4arch9wavefront6targetE1EEEvT1_,"axG",@progbits,_ZN7rocprim17ROCPRIM_400000_NS6detail17trampoline_kernelINS0_14default_configENS1_25partition_config_selectorILNS1_17partition_subalgoE2EtNS0_10empty_typeEbEEZZNS1_14partition_implILS5_2ELb0ES3_jN6thrust23THRUST_200600_302600_NS6detail15normal_iteratorINSA_7pointerItNSA_11hip_rocprim3tagENSA_11use_defaultESG_EEEEPS6_NSA_18transform_iteratorI7is_evenItENSC_INSA_10device_ptrItEEEESG_SG_EENS0_5tupleIJPtSJ_EEENSR_IJSJ_SJ_EEES6_PlJS6_EEE10hipError_tPvRmT3_T4_T5_T6_T7_T9_mT8_P12ihipStream_tbDpT10_ENKUlT_T0_E_clISt17integral_constantIbLb0EES1F_EEDaS1A_S1B_EUlS1A_E_NS1_11comp_targetILNS1_3genE5ELNS1_11target_archE942ELNS1_3gpuE9ELNS1_3repE0EEENS1_30default_config_static_selectorELNS0_4arch9wavefront6targetE1EEEvT1_,comdat
.Lfunc_end2071:
	.size	_ZN7rocprim17ROCPRIM_400000_NS6detail17trampoline_kernelINS0_14default_configENS1_25partition_config_selectorILNS1_17partition_subalgoE2EtNS0_10empty_typeEbEEZZNS1_14partition_implILS5_2ELb0ES3_jN6thrust23THRUST_200600_302600_NS6detail15normal_iteratorINSA_7pointerItNSA_11hip_rocprim3tagENSA_11use_defaultESG_EEEEPS6_NSA_18transform_iteratorI7is_evenItENSC_INSA_10device_ptrItEEEESG_SG_EENS0_5tupleIJPtSJ_EEENSR_IJSJ_SJ_EEES6_PlJS6_EEE10hipError_tPvRmT3_T4_T5_T6_T7_T9_mT8_P12ihipStream_tbDpT10_ENKUlT_T0_E_clISt17integral_constantIbLb0EES1F_EEDaS1A_S1B_EUlS1A_E_NS1_11comp_targetILNS1_3genE5ELNS1_11target_archE942ELNS1_3gpuE9ELNS1_3repE0EEENS1_30default_config_static_selectorELNS0_4arch9wavefront6targetE1EEEvT1_, .Lfunc_end2071-_ZN7rocprim17ROCPRIM_400000_NS6detail17trampoline_kernelINS0_14default_configENS1_25partition_config_selectorILNS1_17partition_subalgoE2EtNS0_10empty_typeEbEEZZNS1_14partition_implILS5_2ELb0ES3_jN6thrust23THRUST_200600_302600_NS6detail15normal_iteratorINSA_7pointerItNSA_11hip_rocprim3tagENSA_11use_defaultESG_EEEEPS6_NSA_18transform_iteratorI7is_evenItENSC_INSA_10device_ptrItEEEESG_SG_EENS0_5tupleIJPtSJ_EEENSR_IJSJ_SJ_EEES6_PlJS6_EEE10hipError_tPvRmT3_T4_T5_T6_T7_T9_mT8_P12ihipStream_tbDpT10_ENKUlT_T0_E_clISt17integral_constantIbLb0EES1F_EEDaS1A_S1B_EUlS1A_E_NS1_11comp_targetILNS1_3genE5ELNS1_11target_archE942ELNS1_3gpuE9ELNS1_3repE0EEENS1_30default_config_static_selectorELNS0_4arch9wavefront6targetE1EEEvT1_
                                        ; -- End function
	.section	.AMDGPU.csdata,"",@progbits
; Kernel info:
; codeLenInByte = 14628
; NumSgprs: 52
; NumVgprs: 100
; NumAgprs: 0
; TotalNumVgprs: 100
; ScratchSize: 0
; MemoryBound: 0
; FloatMode: 240
; IeeeMode: 1
; LDSByteSize: 30728 bytes/workgroup (compile time only)
; SGPRBlocks: 6
; VGPRBlocks: 12
; NumSGPRsForWavesPerEU: 52
; NumVGPRsForWavesPerEU: 100
; AccumOffset: 100
; Occupancy: 4
; WaveLimiterHint : 1
; COMPUTE_PGM_RSRC2:SCRATCH_EN: 0
; COMPUTE_PGM_RSRC2:USER_SGPR: 2
; COMPUTE_PGM_RSRC2:TRAP_HANDLER: 0
; COMPUTE_PGM_RSRC2:TGID_X_EN: 1
; COMPUTE_PGM_RSRC2:TGID_Y_EN: 0
; COMPUTE_PGM_RSRC2:TGID_Z_EN: 0
; COMPUTE_PGM_RSRC2:TIDIG_COMP_CNT: 0
; COMPUTE_PGM_RSRC3_GFX90A:ACCUM_OFFSET: 24
; COMPUTE_PGM_RSRC3_GFX90A:TG_SPLIT: 0
	.section	.text._ZN7rocprim17ROCPRIM_400000_NS6detail17trampoline_kernelINS0_14default_configENS1_25partition_config_selectorILNS1_17partition_subalgoE2EtNS0_10empty_typeEbEEZZNS1_14partition_implILS5_2ELb0ES3_jN6thrust23THRUST_200600_302600_NS6detail15normal_iteratorINSA_7pointerItNSA_11hip_rocprim3tagENSA_11use_defaultESG_EEEEPS6_NSA_18transform_iteratorI7is_evenItENSC_INSA_10device_ptrItEEEESG_SG_EENS0_5tupleIJPtSJ_EEENSR_IJSJ_SJ_EEES6_PlJS6_EEE10hipError_tPvRmT3_T4_T5_T6_T7_T9_mT8_P12ihipStream_tbDpT10_ENKUlT_T0_E_clISt17integral_constantIbLb0EES1F_EEDaS1A_S1B_EUlS1A_E_NS1_11comp_targetILNS1_3genE4ELNS1_11target_archE910ELNS1_3gpuE8ELNS1_3repE0EEENS1_30default_config_static_selectorELNS0_4arch9wavefront6targetE1EEEvT1_,"axG",@progbits,_ZN7rocprim17ROCPRIM_400000_NS6detail17trampoline_kernelINS0_14default_configENS1_25partition_config_selectorILNS1_17partition_subalgoE2EtNS0_10empty_typeEbEEZZNS1_14partition_implILS5_2ELb0ES3_jN6thrust23THRUST_200600_302600_NS6detail15normal_iteratorINSA_7pointerItNSA_11hip_rocprim3tagENSA_11use_defaultESG_EEEEPS6_NSA_18transform_iteratorI7is_evenItENSC_INSA_10device_ptrItEEEESG_SG_EENS0_5tupleIJPtSJ_EEENSR_IJSJ_SJ_EEES6_PlJS6_EEE10hipError_tPvRmT3_T4_T5_T6_T7_T9_mT8_P12ihipStream_tbDpT10_ENKUlT_T0_E_clISt17integral_constantIbLb0EES1F_EEDaS1A_S1B_EUlS1A_E_NS1_11comp_targetILNS1_3genE4ELNS1_11target_archE910ELNS1_3gpuE8ELNS1_3repE0EEENS1_30default_config_static_selectorELNS0_4arch9wavefront6targetE1EEEvT1_,comdat
	.protected	_ZN7rocprim17ROCPRIM_400000_NS6detail17trampoline_kernelINS0_14default_configENS1_25partition_config_selectorILNS1_17partition_subalgoE2EtNS0_10empty_typeEbEEZZNS1_14partition_implILS5_2ELb0ES3_jN6thrust23THRUST_200600_302600_NS6detail15normal_iteratorINSA_7pointerItNSA_11hip_rocprim3tagENSA_11use_defaultESG_EEEEPS6_NSA_18transform_iteratorI7is_evenItENSC_INSA_10device_ptrItEEEESG_SG_EENS0_5tupleIJPtSJ_EEENSR_IJSJ_SJ_EEES6_PlJS6_EEE10hipError_tPvRmT3_T4_T5_T6_T7_T9_mT8_P12ihipStream_tbDpT10_ENKUlT_T0_E_clISt17integral_constantIbLb0EES1F_EEDaS1A_S1B_EUlS1A_E_NS1_11comp_targetILNS1_3genE4ELNS1_11target_archE910ELNS1_3gpuE8ELNS1_3repE0EEENS1_30default_config_static_selectorELNS0_4arch9wavefront6targetE1EEEvT1_ ; -- Begin function _ZN7rocprim17ROCPRIM_400000_NS6detail17trampoline_kernelINS0_14default_configENS1_25partition_config_selectorILNS1_17partition_subalgoE2EtNS0_10empty_typeEbEEZZNS1_14partition_implILS5_2ELb0ES3_jN6thrust23THRUST_200600_302600_NS6detail15normal_iteratorINSA_7pointerItNSA_11hip_rocprim3tagENSA_11use_defaultESG_EEEEPS6_NSA_18transform_iteratorI7is_evenItENSC_INSA_10device_ptrItEEEESG_SG_EENS0_5tupleIJPtSJ_EEENSR_IJSJ_SJ_EEES6_PlJS6_EEE10hipError_tPvRmT3_T4_T5_T6_T7_T9_mT8_P12ihipStream_tbDpT10_ENKUlT_T0_E_clISt17integral_constantIbLb0EES1F_EEDaS1A_S1B_EUlS1A_E_NS1_11comp_targetILNS1_3genE4ELNS1_11target_archE910ELNS1_3gpuE8ELNS1_3repE0EEENS1_30default_config_static_selectorELNS0_4arch9wavefront6targetE1EEEvT1_
	.globl	_ZN7rocprim17ROCPRIM_400000_NS6detail17trampoline_kernelINS0_14default_configENS1_25partition_config_selectorILNS1_17partition_subalgoE2EtNS0_10empty_typeEbEEZZNS1_14partition_implILS5_2ELb0ES3_jN6thrust23THRUST_200600_302600_NS6detail15normal_iteratorINSA_7pointerItNSA_11hip_rocprim3tagENSA_11use_defaultESG_EEEEPS6_NSA_18transform_iteratorI7is_evenItENSC_INSA_10device_ptrItEEEESG_SG_EENS0_5tupleIJPtSJ_EEENSR_IJSJ_SJ_EEES6_PlJS6_EEE10hipError_tPvRmT3_T4_T5_T6_T7_T9_mT8_P12ihipStream_tbDpT10_ENKUlT_T0_E_clISt17integral_constantIbLb0EES1F_EEDaS1A_S1B_EUlS1A_E_NS1_11comp_targetILNS1_3genE4ELNS1_11target_archE910ELNS1_3gpuE8ELNS1_3repE0EEENS1_30default_config_static_selectorELNS0_4arch9wavefront6targetE1EEEvT1_
	.p2align	8
	.type	_ZN7rocprim17ROCPRIM_400000_NS6detail17trampoline_kernelINS0_14default_configENS1_25partition_config_selectorILNS1_17partition_subalgoE2EtNS0_10empty_typeEbEEZZNS1_14partition_implILS5_2ELb0ES3_jN6thrust23THRUST_200600_302600_NS6detail15normal_iteratorINSA_7pointerItNSA_11hip_rocprim3tagENSA_11use_defaultESG_EEEEPS6_NSA_18transform_iteratorI7is_evenItENSC_INSA_10device_ptrItEEEESG_SG_EENS0_5tupleIJPtSJ_EEENSR_IJSJ_SJ_EEES6_PlJS6_EEE10hipError_tPvRmT3_T4_T5_T6_T7_T9_mT8_P12ihipStream_tbDpT10_ENKUlT_T0_E_clISt17integral_constantIbLb0EES1F_EEDaS1A_S1B_EUlS1A_E_NS1_11comp_targetILNS1_3genE4ELNS1_11target_archE910ELNS1_3gpuE8ELNS1_3repE0EEENS1_30default_config_static_selectorELNS0_4arch9wavefront6targetE1EEEvT1_,@function
_ZN7rocprim17ROCPRIM_400000_NS6detail17trampoline_kernelINS0_14default_configENS1_25partition_config_selectorILNS1_17partition_subalgoE2EtNS0_10empty_typeEbEEZZNS1_14partition_implILS5_2ELb0ES3_jN6thrust23THRUST_200600_302600_NS6detail15normal_iteratorINSA_7pointerItNSA_11hip_rocprim3tagENSA_11use_defaultESG_EEEEPS6_NSA_18transform_iteratorI7is_evenItENSC_INSA_10device_ptrItEEEESG_SG_EENS0_5tupleIJPtSJ_EEENSR_IJSJ_SJ_EEES6_PlJS6_EEE10hipError_tPvRmT3_T4_T5_T6_T7_T9_mT8_P12ihipStream_tbDpT10_ENKUlT_T0_E_clISt17integral_constantIbLb0EES1F_EEDaS1A_S1B_EUlS1A_E_NS1_11comp_targetILNS1_3genE4ELNS1_11target_archE910ELNS1_3gpuE8ELNS1_3repE0EEENS1_30default_config_static_selectorELNS0_4arch9wavefront6targetE1EEEvT1_: ; @_ZN7rocprim17ROCPRIM_400000_NS6detail17trampoline_kernelINS0_14default_configENS1_25partition_config_selectorILNS1_17partition_subalgoE2EtNS0_10empty_typeEbEEZZNS1_14partition_implILS5_2ELb0ES3_jN6thrust23THRUST_200600_302600_NS6detail15normal_iteratorINSA_7pointerItNSA_11hip_rocprim3tagENSA_11use_defaultESG_EEEEPS6_NSA_18transform_iteratorI7is_evenItENSC_INSA_10device_ptrItEEEESG_SG_EENS0_5tupleIJPtSJ_EEENSR_IJSJ_SJ_EEES6_PlJS6_EEE10hipError_tPvRmT3_T4_T5_T6_T7_T9_mT8_P12ihipStream_tbDpT10_ENKUlT_T0_E_clISt17integral_constantIbLb0EES1F_EEDaS1A_S1B_EUlS1A_E_NS1_11comp_targetILNS1_3genE4ELNS1_11target_archE910ELNS1_3gpuE8ELNS1_3repE0EEENS1_30default_config_static_selectorELNS0_4arch9wavefront6targetE1EEEvT1_
; %bb.0:
	.section	.rodata,"a",@progbits
	.p2align	6, 0x0
	.amdhsa_kernel _ZN7rocprim17ROCPRIM_400000_NS6detail17trampoline_kernelINS0_14default_configENS1_25partition_config_selectorILNS1_17partition_subalgoE2EtNS0_10empty_typeEbEEZZNS1_14partition_implILS5_2ELb0ES3_jN6thrust23THRUST_200600_302600_NS6detail15normal_iteratorINSA_7pointerItNSA_11hip_rocprim3tagENSA_11use_defaultESG_EEEEPS6_NSA_18transform_iteratorI7is_evenItENSC_INSA_10device_ptrItEEEESG_SG_EENS0_5tupleIJPtSJ_EEENSR_IJSJ_SJ_EEES6_PlJS6_EEE10hipError_tPvRmT3_T4_T5_T6_T7_T9_mT8_P12ihipStream_tbDpT10_ENKUlT_T0_E_clISt17integral_constantIbLb0EES1F_EEDaS1A_S1B_EUlS1A_E_NS1_11comp_targetILNS1_3genE4ELNS1_11target_archE910ELNS1_3gpuE8ELNS1_3repE0EEENS1_30default_config_static_selectorELNS0_4arch9wavefront6targetE1EEEvT1_
		.amdhsa_group_segment_fixed_size 0
		.amdhsa_private_segment_fixed_size 0
		.amdhsa_kernarg_size 128
		.amdhsa_user_sgpr_count 2
		.amdhsa_user_sgpr_dispatch_ptr 0
		.amdhsa_user_sgpr_queue_ptr 0
		.amdhsa_user_sgpr_kernarg_segment_ptr 1
		.amdhsa_user_sgpr_dispatch_id 0
		.amdhsa_user_sgpr_kernarg_preload_length 0
		.amdhsa_user_sgpr_kernarg_preload_offset 0
		.amdhsa_user_sgpr_private_segment_size 0
		.amdhsa_uses_dynamic_stack 0
		.amdhsa_enable_private_segment 0
		.amdhsa_system_sgpr_workgroup_id_x 1
		.amdhsa_system_sgpr_workgroup_id_y 0
		.amdhsa_system_sgpr_workgroup_id_z 0
		.amdhsa_system_sgpr_workgroup_info 0
		.amdhsa_system_vgpr_workitem_id 0
		.amdhsa_next_free_vgpr 1
		.amdhsa_next_free_sgpr 0
		.amdhsa_accum_offset 4
		.amdhsa_reserve_vcc 0
		.amdhsa_float_round_mode_32 0
		.amdhsa_float_round_mode_16_64 0
		.amdhsa_float_denorm_mode_32 3
		.amdhsa_float_denorm_mode_16_64 3
		.amdhsa_dx10_clamp 1
		.amdhsa_ieee_mode 1
		.amdhsa_fp16_overflow 0
		.amdhsa_tg_split 0
		.amdhsa_exception_fp_ieee_invalid_op 0
		.amdhsa_exception_fp_denorm_src 0
		.amdhsa_exception_fp_ieee_div_zero 0
		.amdhsa_exception_fp_ieee_overflow 0
		.amdhsa_exception_fp_ieee_underflow 0
		.amdhsa_exception_fp_ieee_inexact 0
		.amdhsa_exception_int_div_zero 0
	.end_amdhsa_kernel
	.section	.text._ZN7rocprim17ROCPRIM_400000_NS6detail17trampoline_kernelINS0_14default_configENS1_25partition_config_selectorILNS1_17partition_subalgoE2EtNS0_10empty_typeEbEEZZNS1_14partition_implILS5_2ELb0ES3_jN6thrust23THRUST_200600_302600_NS6detail15normal_iteratorINSA_7pointerItNSA_11hip_rocprim3tagENSA_11use_defaultESG_EEEEPS6_NSA_18transform_iteratorI7is_evenItENSC_INSA_10device_ptrItEEEESG_SG_EENS0_5tupleIJPtSJ_EEENSR_IJSJ_SJ_EEES6_PlJS6_EEE10hipError_tPvRmT3_T4_T5_T6_T7_T9_mT8_P12ihipStream_tbDpT10_ENKUlT_T0_E_clISt17integral_constantIbLb0EES1F_EEDaS1A_S1B_EUlS1A_E_NS1_11comp_targetILNS1_3genE4ELNS1_11target_archE910ELNS1_3gpuE8ELNS1_3repE0EEENS1_30default_config_static_selectorELNS0_4arch9wavefront6targetE1EEEvT1_,"axG",@progbits,_ZN7rocprim17ROCPRIM_400000_NS6detail17trampoline_kernelINS0_14default_configENS1_25partition_config_selectorILNS1_17partition_subalgoE2EtNS0_10empty_typeEbEEZZNS1_14partition_implILS5_2ELb0ES3_jN6thrust23THRUST_200600_302600_NS6detail15normal_iteratorINSA_7pointerItNSA_11hip_rocprim3tagENSA_11use_defaultESG_EEEEPS6_NSA_18transform_iteratorI7is_evenItENSC_INSA_10device_ptrItEEEESG_SG_EENS0_5tupleIJPtSJ_EEENSR_IJSJ_SJ_EEES6_PlJS6_EEE10hipError_tPvRmT3_T4_T5_T6_T7_T9_mT8_P12ihipStream_tbDpT10_ENKUlT_T0_E_clISt17integral_constantIbLb0EES1F_EEDaS1A_S1B_EUlS1A_E_NS1_11comp_targetILNS1_3genE4ELNS1_11target_archE910ELNS1_3gpuE8ELNS1_3repE0EEENS1_30default_config_static_selectorELNS0_4arch9wavefront6targetE1EEEvT1_,comdat
.Lfunc_end2072:
	.size	_ZN7rocprim17ROCPRIM_400000_NS6detail17trampoline_kernelINS0_14default_configENS1_25partition_config_selectorILNS1_17partition_subalgoE2EtNS0_10empty_typeEbEEZZNS1_14partition_implILS5_2ELb0ES3_jN6thrust23THRUST_200600_302600_NS6detail15normal_iteratorINSA_7pointerItNSA_11hip_rocprim3tagENSA_11use_defaultESG_EEEEPS6_NSA_18transform_iteratorI7is_evenItENSC_INSA_10device_ptrItEEEESG_SG_EENS0_5tupleIJPtSJ_EEENSR_IJSJ_SJ_EEES6_PlJS6_EEE10hipError_tPvRmT3_T4_T5_T6_T7_T9_mT8_P12ihipStream_tbDpT10_ENKUlT_T0_E_clISt17integral_constantIbLb0EES1F_EEDaS1A_S1B_EUlS1A_E_NS1_11comp_targetILNS1_3genE4ELNS1_11target_archE910ELNS1_3gpuE8ELNS1_3repE0EEENS1_30default_config_static_selectorELNS0_4arch9wavefront6targetE1EEEvT1_, .Lfunc_end2072-_ZN7rocprim17ROCPRIM_400000_NS6detail17trampoline_kernelINS0_14default_configENS1_25partition_config_selectorILNS1_17partition_subalgoE2EtNS0_10empty_typeEbEEZZNS1_14partition_implILS5_2ELb0ES3_jN6thrust23THRUST_200600_302600_NS6detail15normal_iteratorINSA_7pointerItNSA_11hip_rocprim3tagENSA_11use_defaultESG_EEEEPS6_NSA_18transform_iteratorI7is_evenItENSC_INSA_10device_ptrItEEEESG_SG_EENS0_5tupleIJPtSJ_EEENSR_IJSJ_SJ_EEES6_PlJS6_EEE10hipError_tPvRmT3_T4_T5_T6_T7_T9_mT8_P12ihipStream_tbDpT10_ENKUlT_T0_E_clISt17integral_constantIbLb0EES1F_EEDaS1A_S1B_EUlS1A_E_NS1_11comp_targetILNS1_3genE4ELNS1_11target_archE910ELNS1_3gpuE8ELNS1_3repE0EEENS1_30default_config_static_selectorELNS0_4arch9wavefront6targetE1EEEvT1_
                                        ; -- End function
	.section	.AMDGPU.csdata,"",@progbits
; Kernel info:
; codeLenInByte = 0
; NumSgprs: 6
; NumVgprs: 0
; NumAgprs: 0
; TotalNumVgprs: 0
; ScratchSize: 0
; MemoryBound: 0
; FloatMode: 240
; IeeeMode: 1
; LDSByteSize: 0 bytes/workgroup (compile time only)
; SGPRBlocks: 0
; VGPRBlocks: 0
; NumSGPRsForWavesPerEU: 6
; NumVGPRsForWavesPerEU: 1
; AccumOffset: 4
; Occupancy: 8
; WaveLimiterHint : 0
; COMPUTE_PGM_RSRC2:SCRATCH_EN: 0
; COMPUTE_PGM_RSRC2:USER_SGPR: 2
; COMPUTE_PGM_RSRC2:TRAP_HANDLER: 0
; COMPUTE_PGM_RSRC2:TGID_X_EN: 1
; COMPUTE_PGM_RSRC2:TGID_Y_EN: 0
; COMPUTE_PGM_RSRC2:TGID_Z_EN: 0
; COMPUTE_PGM_RSRC2:TIDIG_COMP_CNT: 0
; COMPUTE_PGM_RSRC3_GFX90A:ACCUM_OFFSET: 0
; COMPUTE_PGM_RSRC3_GFX90A:TG_SPLIT: 0
	.section	.text._ZN7rocprim17ROCPRIM_400000_NS6detail17trampoline_kernelINS0_14default_configENS1_25partition_config_selectorILNS1_17partition_subalgoE2EtNS0_10empty_typeEbEEZZNS1_14partition_implILS5_2ELb0ES3_jN6thrust23THRUST_200600_302600_NS6detail15normal_iteratorINSA_7pointerItNSA_11hip_rocprim3tagENSA_11use_defaultESG_EEEEPS6_NSA_18transform_iteratorI7is_evenItENSC_INSA_10device_ptrItEEEESG_SG_EENS0_5tupleIJPtSJ_EEENSR_IJSJ_SJ_EEES6_PlJS6_EEE10hipError_tPvRmT3_T4_T5_T6_T7_T9_mT8_P12ihipStream_tbDpT10_ENKUlT_T0_E_clISt17integral_constantIbLb0EES1F_EEDaS1A_S1B_EUlS1A_E_NS1_11comp_targetILNS1_3genE3ELNS1_11target_archE908ELNS1_3gpuE7ELNS1_3repE0EEENS1_30default_config_static_selectorELNS0_4arch9wavefront6targetE1EEEvT1_,"axG",@progbits,_ZN7rocprim17ROCPRIM_400000_NS6detail17trampoline_kernelINS0_14default_configENS1_25partition_config_selectorILNS1_17partition_subalgoE2EtNS0_10empty_typeEbEEZZNS1_14partition_implILS5_2ELb0ES3_jN6thrust23THRUST_200600_302600_NS6detail15normal_iteratorINSA_7pointerItNSA_11hip_rocprim3tagENSA_11use_defaultESG_EEEEPS6_NSA_18transform_iteratorI7is_evenItENSC_INSA_10device_ptrItEEEESG_SG_EENS0_5tupleIJPtSJ_EEENSR_IJSJ_SJ_EEES6_PlJS6_EEE10hipError_tPvRmT3_T4_T5_T6_T7_T9_mT8_P12ihipStream_tbDpT10_ENKUlT_T0_E_clISt17integral_constantIbLb0EES1F_EEDaS1A_S1B_EUlS1A_E_NS1_11comp_targetILNS1_3genE3ELNS1_11target_archE908ELNS1_3gpuE7ELNS1_3repE0EEENS1_30default_config_static_selectorELNS0_4arch9wavefront6targetE1EEEvT1_,comdat
	.protected	_ZN7rocprim17ROCPRIM_400000_NS6detail17trampoline_kernelINS0_14default_configENS1_25partition_config_selectorILNS1_17partition_subalgoE2EtNS0_10empty_typeEbEEZZNS1_14partition_implILS5_2ELb0ES3_jN6thrust23THRUST_200600_302600_NS6detail15normal_iteratorINSA_7pointerItNSA_11hip_rocprim3tagENSA_11use_defaultESG_EEEEPS6_NSA_18transform_iteratorI7is_evenItENSC_INSA_10device_ptrItEEEESG_SG_EENS0_5tupleIJPtSJ_EEENSR_IJSJ_SJ_EEES6_PlJS6_EEE10hipError_tPvRmT3_T4_T5_T6_T7_T9_mT8_P12ihipStream_tbDpT10_ENKUlT_T0_E_clISt17integral_constantIbLb0EES1F_EEDaS1A_S1B_EUlS1A_E_NS1_11comp_targetILNS1_3genE3ELNS1_11target_archE908ELNS1_3gpuE7ELNS1_3repE0EEENS1_30default_config_static_selectorELNS0_4arch9wavefront6targetE1EEEvT1_ ; -- Begin function _ZN7rocprim17ROCPRIM_400000_NS6detail17trampoline_kernelINS0_14default_configENS1_25partition_config_selectorILNS1_17partition_subalgoE2EtNS0_10empty_typeEbEEZZNS1_14partition_implILS5_2ELb0ES3_jN6thrust23THRUST_200600_302600_NS6detail15normal_iteratorINSA_7pointerItNSA_11hip_rocprim3tagENSA_11use_defaultESG_EEEEPS6_NSA_18transform_iteratorI7is_evenItENSC_INSA_10device_ptrItEEEESG_SG_EENS0_5tupleIJPtSJ_EEENSR_IJSJ_SJ_EEES6_PlJS6_EEE10hipError_tPvRmT3_T4_T5_T6_T7_T9_mT8_P12ihipStream_tbDpT10_ENKUlT_T0_E_clISt17integral_constantIbLb0EES1F_EEDaS1A_S1B_EUlS1A_E_NS1_11comp_targetILNS1_3genE3ELNS1_11target_archE908ELNS1_3gpuE7ELNS1_3repE0EEENS1_30default_config_static_selectorELNS0_4arch9wavefront6targetE1EEEvT1_
	.globl	_ZN7rocprim17ROCPRIM_400000_NS6detail17trampoline_kernelINS0_14default_configENS1_25partition_config_selectorILNS1_17partition_subalgoE2EtNS0_10empty_typeEbEEZZNS1_14partition_implILS5_2ELb0ES3_jN6thrust23THRUST_200600_302600_NS6detail15normal_iteratorINSA_7pointerItNSA_11hip_rocprim3tagENSA_11use_defaultESG_EEEEPS6_NSA_18transform_iteratorI7is_evenItENSC_INSA_10device_ptrItEEEESG_SG_EENS0_5tupleIJPtSJ_EEENSR_IJSJ_SJ_EEES6_PlJS6_EEE10hipError_tPvRmT3_T4_T5_T6_T7_T9_mT8_P12ihipStream_tbDpT10_ENKUlT_T0_E_clISt17integral_constantIbLb0EES1F_EEDaS1A_S1B_EUlS1A_E_NS1_11comp_targetILNS1_3genE3ELNS1_11target_archE908ELNS1_3gpuE7ELNS1_3repE0EEENS1_30default_config_static_selectorELNS0_4arch9wavefront6targetE1EEEvT1_
	.p2align	8
	.type	_ZN7rocprim17ROCPRIM_400000_NS6detail17trampoline_kernelINS0_14default_configENS1_25partition_config_selectorILNS1_17partition_subalgoE2EtNS0_10empty_typeEbEEZZNS1_14partition_implILS5_2ELb0ES3_jN6thrust23THRUST_200600_302600_NS6detail15normal_iteratorINSA_7pointerItNSA_11hip_rocprim3tagENSA_11use_defaultESG_EEEEPS6_NSA_18transform_iteratorI7is_evenItENSC_INSA_10device_ptrItEEEESG_SG_EENS0_5tupleIJPtSJ_EEENSR_IJSJ_SJ_EEES6_PlJS6_EEE10hipError_tPvRmT3_T4_T5_T6_T7_T9_mT8_P12ihipStream_tbDpT10_ENKUlT_T0_E_clISt17integral_constantIbLb0EES1F_EEDaS1A_S1B_EUlS1A_E_NS1_11comp_targetILNS1_3genE3ELNS1_11target_archE908ELNS1_3gpuE7ELNS1_3repE0EEENS1_30default_config_static_selectorELNS0_4arch9wavefront6targetE1EEEvT1_,@function
_ZN7rocprim17ROCPRIM_400000_NS6detail17trampoline_kernelINS0_14default_configENS1_25partition_config_selectorILNS1_17partition_subalgoE2EtNS0_10empty_typeEbEEZZNS1_14partition_implILS5_2ELb0ES3_jN6thrust23THRUST_200600_302600_NS6detail15normal_iteratorINSA_7pointerItNSA_11hip_rocprim3tagENSA_11use_defaultESG_EEEEPS6_NSA_18transform_iteratorI7is_evenItENSC_INSA_10device_ptrItEEEESG_SG_EENS0_5tupleIJPtSJ_EEENSR_IJSJ_SJ_EEES6_PlJS6_EEE10hipError_tPvRmT3_T4_T5_T6_T7_T9_mT8_P12ihipStream_tbDpT10_ENKUlT_T0_E_clISt17integral_constantIbLb0EES1F_EEDaS1A_S1B_EUlS1A_E_NS1_11comp_targetILNS1_3genE3ELNS1_11target_archE908ELNS1_3gpuE7ELNS1_3repE0EEENS1_30default_config_static_selectorELNS0_4arch9wavefront6targetE1EEEvT1_: ; @_ZN7rocprim17ROCPRIM_400000_NS6detail17trampoline_kernelINS0_14default_configENS1_25partition_config_selectorILNS1_17partition_subalgoE2EtNS0_10empty_typeEbEEZZNS1_14partition_implILS5_2ELb0ES3_jN6thrust23THRUST_200600_302600_NS6detail15normal_iteratorINSA_7pointerItNSA_11hip_rocprim3tagENSA_11use_defaultESG_EEEEPS6_NSA_18transform_iteratorI7is_evenItENSC_INSA_10device_ptrItEEEESG_SG_EENS0_5tupleIJPtSJ_EEENSR_IJSJ_SJ_EEES6_PlJS6_EEE10hipError_tPvRmT3_T4_T5_T6_T7_T9_mT8_P12ihipStream_tbDpT10_ENKUlT_T0_E_clISt17integral_constantIbLb0EES1F_EEDaS1A_S1B_EUlS1A_E_NS1_11comp_targetILNS1_3genE3ELNS1_11target_archE908ELNS1_3gpuE7ELNS1_3repE0EEENS1_30default_config_static_selectorELNS0_4arch9wavefront6targetE1EEEvT1_
; %bb.0:
	.section	.rodata,"a",@progbits
	.p2align	6, 0x0
	.amdhsa_kernel _ZN7rocprim17ROCPRIM_400000_NS6detail17trampoline_kernelINS0_14default_configENS1_25partition_config_selectorILNS1_17partition_subalgoE2EtNS0_10empty_typeEbEEZZNS1_14partition_implILS5_2ELb0ES3_jN6thrust23THRUST_200600_302600_NS6detail15normal_iteratorINSA_7pointerItNSA_11hip_rocprim3tagENSA_11use_defaultESG_EEEEPS6_NSA_18transform_iteratorI7is_evenItENSC_INSA_10device_ptrItEEEESG_SG_EENS0_5tupleIJPtSJ_EEENSR_IJSJ_SJ_EEES6_PlJS6_EEE10hipError_tPvRmT3_T4_T5_T6_T7_T9_mT8_P12ihipStream_tbDpT10_ENKUlT_T0_E_clISt17integral_constantIbLb0EES1F_EEDaS1A_S1B_EUlS1A_E_NS1_11comp_targetILNS1_3genE3ELNS1_11target_archE908ELNS1_3gpuE7ELNS1_3repE0EEENS1_30default_config_static_selectorELNS0_4arch9wavefront6targetE1EEEvT1_
		.amdhsa_group_segment_fixed_size 0
		.amdhsa_private_segment_fixed_size 0
		.amdhsa_kernarg_size 128
		.amdhsa_user_sgpr_count 2
		.amdhsa_user_sgpr_dispatch_ptr 0
		.amdhsa_user_sgpr_queue_ptr 0
		.amdhsa_user_sgpr_kernarg_segment_ptr 1
		.amdhsa_user_sgpr_dispatch_id 0
		.amdhsa_user_sgpr_kernarg_preload_length 0
		.amdhsa_user_sgpr_kernarg_preload_offset 0
		.amdhsa_user_sgpr_private_segment_size 0
		.amdhsa_uses_dynamic_stack 0
		.amdhsa_enable_private_segment 0
		.amdhsa_system_sgpr_workgroup_id_x 1
		.amdhsa_system_sgpr_workgroup_id_y 0
		.amdhsa_system_sgpr_workgroup_id_z 0
		.amdhsa_system_sgpr_workgroup_info 0
		.amdhsa_system_vgpr_workitem_id 0
		.amdhsa_next_free_vgpr 1
		.amdhsa_next_free_sgpr 0
		.amdhsa_accum_offset 4
		.amdhsa_reserve_vcc 0
		.amdhsa_float_round_mode_32 0
		.amdhsa_float_round_mode_16_64 0
		.amdhsa_float_denorm_mode_32 3
		.amdhsa_float_denorm_mode_16_64 3
		.amdhsa_dx10_clamp 1
		.amdhsa_ieee_mode 1
		.amdhsa_fp16_overflow 0
		.amdhsa_tg_split 0
		.amdhsa_exception_fp_ieee_invalid_op 0
		.amdhsa_exception_fp_denorm_src 0
		.amdhsa_exception_fp_ieee_div_zero 0
		.amdhsa_exception_fp_ieee_overflow 0
		.amdhsa_exception_fp_ieee_underflow 0
		.amdhsa_exception_fp_ieee_inexact 0
		.amdhsa_exception_int_div_zero 0
	.end_amdhsa_kernel
	.section	.text._ZN7rocprim17ROCPRIM_400000_NS6detail17trampoline_kernelINS0_14default_configENS1_25partition_config_selectorILNS1_17partition_subalgoE2EtNS0_10empty_typeEbEEZZNS1_14partition_implILS5_2ELb0ES3_jN6thrust23THRUST_200600_302600_NS6detail15normal_iteratorINSA_7pointerItNSA_11hip_rocprim3tagENSA_11use_defaultESG_EEEEPS6_NSA_18transform_iteratorI7is_evenItENSC_INSA_10device_ptrItEEEESG_SG_EENS0_5tupleIJPtSJ_EEENSR_IJSJ_SJ_EEES6_PlJS6_EEE10hipError_tPvRmT3_T4_T5_T6_T7_T9_mT8_P12ihipStream_tbDpT10_ENKUlT_T0_E_clISt17integral_constantIbLb0EES1F_EEDaS1A_S1B_EUlS1A_E_NS1_11comp_targetILNS1_3genE3ELNS1_11target_archE908ELNS1_3gpuE7ELNS1_3repE0EEENS1_30default_config_static_selectorELNS0_4arch9wavefront6targetE1EEEvT1_,"axG",@progbits,_ZN7rocprim17ROCPRIM_400000_NS6detail17trampoline_kernelINS0_14default_configENS1_25partition_config_selectorILNS1_17partition_subalgoE2EtNS0_10empty_typeEbEEZZNS1_14partition_implILS5_2ELb0ES3_jN6thrust23THRUST_200600_302600_NS6detail15normal_iteratorINSA_7pointerItNSA_11hip_rocprim3tagENSA_11use_defaultESG_EEEEPS6_NSA_18transform_iteratorI7is_evenItENSC_INSA_10device_ptrItEEEESG_SG_EENS0_5tupleIJPtSJ_EEENSR_IJSJ_SJ_EEES6_PlJS6_EEE10hipError_tPvRmT3_T4_T5_T6_T7_T9_mT8_P12ihipStream_tbDpT10_ENKUlT_T0_E_clISt17integral_constantIbLb0EES1F_EEDaS1A_S1B_EUlS1A_E_NS1_11comp_targetILNS1_3genE3ELNS1_11target_archE908ELNS1_3gpuE7ELNS1_3repE0EEENS1_30default_config_static_selectorELNS0_4arch9wavefront6targetE1EEEvT1_,comdat
.Lfunc_end2073:
	.size	_ZN7rocprim17ROCPRIM_400000_NS6detail17trampoline_kernelINS0_14default_configENS1_25partition_config_selectorILNS1_17partition_subalgoE2EtNS0_10empty_typeEbEEZZNS1_14partition_implILS5_2ELb0ES3_jN6thrust23THRUST_200600_302600_NS6detail15normal_iteratorINSA_7pointerItNSA_11hip_rocprim3tagENSA_11use_defaultESG_EEEEPS6_NSA_18transform_iteratorI7is_evenItENSC_INSA_10device_ptrItEEEESG_SG_EENS0_5tupleIJPtSJ_EEENSR_IJSJ_SJ_EEES6_PlJS6_EEE10hipError_tPvRmT3_T4_T5_T6_T7_T9_mT8_P12ihipStream_tbDpT10_ENKUlT_T0_E_clISt17integral_constantIbLb0EES1F_EEDaS1A_S1B_EUlS1A_E_NS1_11comp_targetILNS1_3genE3ELNS1_11target_archE908ELNS1_3gpuE7ELNS1_3repE0EEENS1_30default_config_static_selectorELNS0_4arch9wavefront6targetE1EEEvT1_, .Lfunc_end2073-_ZN7rocprim17ROCPRIM_400000_NS6detail17trampoline_kernelINS0_14default_configENS1_25partition_config_selectorILNS1_17partition_subalgoE2EtNS0_10empty_typeEbEEZZNS1_14partition_implILS5_2ELb0ES3_jN6thrust23THRUST_200600_302600_NS6detail15normal_iteratorINSA_7pointerItNSA_11hip_rocprim3tagENSA_11use_defaultESG_EEEEPS6_NSA_18transform_iteratorI7is_evenItENSC_INSA_10device_ptrItEEEESG_SG_EENS0_5tupleIJPtSJ_EEENSR_IJSJ_SJ_EEES6_PlJS6_EEE10hipError_tPvRmT3_T4_T5_T6_T7_T9_mT8_P12ihipStream_tbDpT10_ENKUlT_T0_E_clISt17integral_constantIbLb0EES1F_EEDaS1A_S1B_EUlS1A_E_NS1_11comp_targetILNS1_3genE3ELNS1_11target_archE908ELNS1_3gpuE7ELNS1_3repE0EEENS1_30default_config_static_selectorELNS0_4arch9wavefront6targetE1EEEvT1_
                                        ; -- End function
	.section	.AMDGPU.csdata,"",@progbits
; Kernel info:
; codeLenInByte = 0
; NumSgprs: 6
; NumVgprs: 0
; NumAgprs: 0
; TotalNumVgprs: 0
; ScratchSize: 0
; MemoryBound: 0
; FloatMode: 240
; IeeeMode: 1
; LDSByteSize: 0 bytes/workgroup (compile time only)
; SGPRBlocks: 0
; VGPRBlocks: 0
; NumSGPRsForWavesPerEU: 6
; NumVGPRsForWavesPerEU: 1
; AccumOffset: 4
; Occupancy: 8
; WaveLimiterHint : 0
; COMPUTE_PGM_RSRC2:SCRATCH_EN: 0
; COMPUTE_PGM_RSRC2:USER_SGPR: 2
; COMPUTE_PGM_RSRC2:TRAP_HANDLER: 0
; COMPUTE_PGM_RSRC2:TGID_X_EN: 1
; COMPUTE_PGM_RSRC2:TGID_Y_EN: 0
; COMPUTE_PGM_RSRC2:TGID_Z_EN: 0
; COMPUTE_PGM_RSRC2:TIDIG_COMP_CNT: 0
; COMPUTE_PGM_RSRC3_GFX90A:ACCUM_OFFSET: 0
; COMPUTE_PGM_RSRC3_GFX90A:TG_SPLIT: 0
	.section	.text._ZN7rocprim17ROCPRIM_400000_NS6detail17trampoline_kernelINS0_14default_configENS1_25partition_config_selectorILNS1_17partition_subalgoE2EtNS0_10empty_typeEbEEZZNS1_14partition_implILS5_2ELb0ES3_jN6thrust23THRUST_200600_302600_NS6detail15normal_iteratorINSA_7pointerItNSA_11hip_rocprim3tagENSA_11use_defaultESG_EEEEPS6_NSA_18transform_iteratorI7is_evenItENSC_INSA_10device_ptrItEEEESG_SG_EENS0_5tupleIJPtSJ_EEENSR_IJSJ_SJ_EEES6_PlJS6_EEE10hipError_tPvRmT3_T4_T5_T6_T7_T9_mT8_P12ihipStream_tbDpT10_ENKUlT_T0_E_clISt17integral_constantIbLb0EES1F_EEDaS1A_S1B_EUlS1A_E_NS1_11comp_targetILNS1_3genE2ELNS1_11target_archE906ELNS1_3gpuE6ELNS1_3repE0EEENS1_30default_config_static_selectorELNS0_4arch9wavefront6targetE1EEEvT1_,"axG",@progbits,_ZN7rocprim17ROCPRIM_400000_NS6detail17trampoline_kernelINS0_14default_configENS1_25partition_config_selectorILNS1_17partition_subalgoE2EtNS0_10empty_typeEbEEZZNS1_14partition_implILS5_2ELb0ES3_jN6thrust23THRUST_200600_302600_NS6detail15normal_iteratorINSA_7pointerItNSA_11hip_rocprim3tagENSA_11use_defaultESG_EEEEPS6_NSA_18transform_iteratorI7is_evenItENSC_INSA_10device_ptrItEEEESG_SG_EENS0_5tupleIJPtSJ_EEENSR_IJSJ_SJ_EEES6_PlJS6_EEE10hipError_tPvRmT3_T4_T5_T6_T7_T9_mT8_P12ihipStream_tbDpT10_ENKUlT_T0_E_clISt17integral_constantIbLb0EES1F_EEDaS1A_S1B_EUlS1A_E_NS1_11comp_targetILNS1_3genE2ELNS1_11target_archE906ELNS1_3gpuE6ELNS1_3repE0EEENS1_30default_config_static_selectorELNS0_4arch9wavefront6targetE1EEEvT1_,comdat
	.protected	_ZN7rocprim17ROCPRIM_400000_NS6detail17trampoline_kernelINS0_14default_configENS1_25partition_config_selectorILNS1_17partition_subalgoE2EtNS0_10empty_typeEbEEZZNS1_14partition_implILS5_2ELb0ES3_jN6thrust23THRUST_200600_302600_NS6detail15normal_iteratorINSA_7pointerItNSA_11hip_rocprim3tagENSA_11use_defaultESG_EEEEPS6_NSA_18transform_iteratorI7is_evenItENSC_INSA_10device_ptrItEEEESG_SG_EENS0_5tupleIJPtSJ_EEENSR_IJSJ_SJ_EEES6_PlJS6_EEE10hipError_tPvRmT3_T4_T5_T6_T7_T9_mT8_P12ihipStream_tbDpT10_ENKUlT_T0_E_clISt17integral_constantIbLb0EES1F_EEDaS1A_S1B_EUlS1A_E_NS1_11comp_targetILNS1_3genE2ELNS1_11target_archE906ELNS1_3gpuE6ELNS1_3repE0EEENS1_30default_config_static_selectorELNS0_4arch9wavefront6targetE1EEEvT1_ ; -- Begin function _ZN7rocprim17ROCPRIM_400000_NS6detail17trampoline_kernelINS0_14default_configENS1_25partition_config_selectorILNS1_17partition_subalgoE2EtNS0_10empty_typeEbEEZZNS1_14partition_implILS5_2ELb0ES3_jN6thrust23THRUST_200600_302600_NS6detail15normal_iteratorINSA_7pointerItNSA_11hip_rocprim3tagENSA_11use_defaultESG_EEEEPS6_NSA_18transform_iteratorI7is_evenItENSC_INSA_10device_ptrItEEEESG_SG_EENS0_5tupleIJPtSJ_EEENSR_IJSJ_SJ_EEES6_PlJS6_EEE10hipError_tPvRmT3_T4_T5_T6_T7_T9_mT8_P12ihipStream_tbDpT10_ENKUlT_T0_E_clISt17integral_constantIbLb0EES1F_EEDaS1A_S1B_EUlS1A_E_NS1_11comp_targetILNS1_3genE2ELNS1_11target_archE906ELNS1_3gpuE6ELNS1_3repE0EEENS1_30default_config_static_selectorELNS0_4arch9wavefront6targetE1EEEvT1_
	.globl	_ZN7rocprim17ROCPRIM_400000_NS6detail17trampoline_kernelINS0_14default_configENS1_25partition_config_selectorILNS1_17partition_subalgoE2EtNS0_10empty_typeEbEEZZNS1_14partition_implILS5_2ELb0ES3_jN6thrust23THRUST_200600_302600_NS6detail15normal_iteratorINSA_7pointerItNSA_11hip_rocprim3tagENSA_11use_defaultESG_EEEEPS6_NSA_18transform_iteratorI7is_evenItENSC_INSA_10device_ptrItEEEESG_SG_EENS0_5tupleIJPtSJ_EEENSR_IJSJ_SJ_EEES6_PlJS6_EEE10hipError_tPvRmT3_T4_T5_T6_T7_T9_mT8_P12ihipStream_tbDpT10_ENKUlT_T0_E_clISt17integral_constantIbLb0EES1F_EEDaS1A_S1B_EUlS1A_E_NS1_11comp_targetILNS1_3genE2ELNS1_11target_archE906ELNS1_3gpuE6ELNS1_3repE0EEENS1_30default_config_static_selectorELNS0_4arch9wavefront6targetE1EEEvT1_
	.p2align	8
	.type	_ZN7rocprim17ROCPRIM_400000_NS6detail17trampoline_kernelINS0_14default_configENS1_25partition_config_selectorILNS1_17partition_subalgoE2EtNS0_10empty_typeEbEEZZNS1_14partition_implILS5_2ELb0ES3_jN6thrust23THRUST_200600_302600_NS6detail15normal_iteratorINSA_7pointerItNSA_11hip_rocprim3tagENSA_11use_defaultESG_EEEEPS6_NSA_18transform_iteratorI7is_evenItENSC_INSA_10device_ptrItEEEESG_SG_EENS0_5tupleIJPtSJ_EEENSR_IJSJ_SJ_EEES6_PlJS6_EEE10hipError_tPvRmT3_T4_T5_T6_T7_T9_mT8_P12ihipStream_tbDpT10_ENKUlT_T0_E_clISt17integral_constantIbLb0EES1F_EEDaS1A_S1B_EUlS1A_E_NS1_11comp_targetILNS1_3genE2ELNS1_11target_archE906ELNS1_3gpuE6ELNS1_3repE0EEENS1_30default_config_static_selectorELNS0_4arch9wavefront6targetE1EEEvT1_,@function
_ZN7rocprim17ROCPRIM_400000_NS6detail17trampoline_kernelINS0_14default_configENS1_25partition_config_selectorILNS1_17partition_subalgoE2EtNS0_10empty_typeEbEEZZNS1_14partition_implILS5_2ELb0ES3_jN6thrust23THRUST_200600_302600_NS6detail15normal_iteratorINSA_7pointerItNSA_11hip_rocprim3tagENSA_11use_defaultESG_EEEEPS6_NSA_18transform_iteratorI7is_evenItENSC_INSA_10device_ptrItEEEESG_SG_EENS0_5tupleIJPtSJ_EEENSR_IJSJ_SJ_EEES6_PlJS6_EEE10hipError_tPvRmT3_T4_T5_T6_T7_T9_mT8_P12ihipStream_tbDpT10_ENKUlT_T0_E_clISt17integral_constantIbLb0EES1F_EEDaS1A_S1B_EUlS1A_E_NS1_11comp_targetILNS1_3genE2ELNS1_11target_archE906ELNS1_3gpuE6ELNS1_3repE0EEENS1_30default_config_static_selectorELNS0_4arch9wavefront6targetE1EEEvT1_: ; @_ZN7rocprim17ROCPRIM_400000_NS6detail17trampoline_kernelINS0_14default_configENS1_25partition_config_selectorILNS1_17partition_subalgoE2EtNS0_10empty_typeEbEEZZNS1_14partition_implILS5_2ELb0ES3_jN6thrust23THRUST_200600_302600_NS6detail15normal_iteratorINSA_7pointerItNSA_11hip_rocprim3tagENSA_11use_defaultESG_EEEEPS6_NSA_18transform_iteratorI7is_evenItENSC_INSA_10device_ptrItEEEESG_SG_EENS0_5tupleIJPtSJ_EEENSR_IJSJ_SJ_EEES6_PlJS6_EEE10hipError_tPvRmT3_T4_T5_T6_T7_T9_mT8_P12ihipStream_tbDpT10_ENKUlT_T0_E_clISt17integral_constantIbLb0EES1F_EEDaS1A_S1B_EUlS1A_E_NS1_11comp_targetILNS1_3genE2ELNS1_11target_archE906ELNS1_3gpuE6ELNS1_3repE0EEENS1_30default_config_static_selectorELNS0_4arch9wavefront6targetE1EEEvT1_
; %bb.0:
	.section	.rodata,"a",@progbits
	.p2align	6, 0x0
	.amdhsa_kernel _ZN7rocprim17ROCPRIM_400000_NS6detail17trampoline_kernelINS0_14default_configENS1_25partition_config_selectorILNS1_17partition_subalgoE2EtNS0_10empty_typeEbEEZZNS1_14partition_implILS5_2ELb0ES3_jN6thrust23THRUST_200600_302600_NS6detail15normal_iteratorINSA_7pointerItNSA_11hip_rocprim3tagENSA_11use_defaultESG_EEEEPS6_NSA_18transform_iteratorI7is_evenItENSC_INSA_10device_ptrItEEEESG_SG_EENS0_5tupleIJPtSJ_EEENSR_IJSJ_SJ_EEES6_PlJS6_EEE10hipError_tPvRmT3_T4_T5_T6_T7_T9_mT8_P12ihipStream_tbDpT10_ENKUlT_T0_E_clISt17integral_constantIbLb0EES1F_EEDaS1A_S1B_EUlS1A_E_NS1_11comp_targetILNS1_3genE2ELNS1_11target_archE906ELNS1_3gpuE6ELNS1_3repE0EEENS1_30default_config_static_selectorELNS0_4arch9wavefront6targetE1EEEvT1_
		.amdhsa_group_segment_fixed_size 0
		.amdhsa_private_segment_fixed_size 0
		.amdhsa_kernarg_size 128
		.amdhsa_user_sgpr_count 2
		.amdhsa_user_sgpr_dispatch_ptr 0
		.amdhsa_user_sgpr_queue_ptr 0
		.amdhsa_user_sgpr_kernarg_segment_ptr 1
		.amdhsa_user_sgpr_dispatch_id 0
		.amdhsa_user_sgpr_kernarg_preload_length 0
		.amdhsa_user_sgpr_kernarg_preload_offset 0
		.amdhsa_user_sgpr_private_segment_size 0
		.amdhsa_uses_dynamic_stack 0
		.amdhsa_enable_private_segment 0
		.amdhsa_system_sgpr_workgroup_id_x 1
		.amdhsa_system_sgpr_workgroup_id_y 0
		.amdhsa_system_sgpr_workgroup_id_z 0
		.amdhsa_system_sgpr_workgroup_info 0
		.amdhsa_system_vgpr_workitem_id 0
		.amdhsa_next_free_vgpr 1
		.amdhsa_next_free_sgpr 0
		.amdhsa_accum_offset 4
		.amdhsa_reserve_vcc 0
		.amdhsa_float_round_mode_32 0
		.amdhsa_float_round_mode_16_64 0
		.amdhsa_float_denorm_mode_32 3
		.amdhsa_float_denorm_mode_16_64 3
		.amdhsa_dx10_clamp 1
		.amdhsa_ieee_mode 1
		.amdhsa_fp16_overflow 0
		.amdhsa_tg_split 0
		.amdhsa_exception_fp_ieee_invalid_op 0
		.amdhsa_exception_fp_denorm_src 0
		.amdhsa_exception_fp_ieee_div_zero 0
		.amdhsa_exception_fp_ieee_overflow 0
		.amdhsa_exception_fp_ieee_underflow 0
		.amdhsa_exception_fp_ieee_inexact 0
		.amdhsa_exception_int_div_zero 0
	.end_amdhsa_kernel
	.section	.text._ZN7rocprim17ROCPRIM_400000_NS6detail17trampoline_kernelINS0_14default_configENS1_25partition_config_selectorILNS1_17partition_subalgoE2EtNS0_10empty_typeEbEEZZNS1_14partition_implILS5_2ELb0ES3_jN6thrust23THRUST_200600_302600_NS6detail15normal_iteratorINSA_7pointerItNSA_11hip_rocprim3tagENSA_11use_defaultESG_EEEEPS6_NSA_18transform_iteratorI7is_evenItENSC_INSA_10device_ptrItEEEESG_SG_EENS0_5tupleIJPtSJ_EEENSR_IJSJ_SJ_EEES6_PlJS6_EEE10hipError_tPvRmT3_T4_T5_T6_T7_T9_mT8_P12ihipStream_tbDpT10_ENKUlT_T0_E_clISt17integral_constantIbLb0EES1F_EEDaS1A_S1B_EUlS1A_E_NS1_11comp_targetILNS1_3genE2ELNS1_11target_archE906ELNS1_3gpuE6ELNS1_3repE0EEENS1_30default_config_static_selectorELNS0_4arch9wavefront6targetE1EEEvT1_,"axG",@progbits,_ZN7rocprim17ROCPRIM_400000_NS6detail17trampoline_kernelINS0_14default_configENS1_25partition_config_selectorILNS1_17partition_subalgoE2EtNS0_10empty_typeEbEEZZNS1_14partition_implILS5_2ELb0ES3_jN6thrust23THRUST_200600_302600_NS6detail15normal_iteratorINSA_7pointerItNSA_11hip_rocprim3tagENSA_11use_defaultESG_EEEEPS6_NSA_18transform_iteratorI7is_evenItENSC_INSA_10device_ptrItEEEESG_SG_EENS0_5tupleIJPtSJ_EEENSR_IJSJ_SJ_EEES6_PlJS6_EEE10hipError_tPvRmT3_T4_T5_T6_T7_T9_mT8_P12ihipStream_tbDpT10_ENKUlT_T0_E_clISt17integral_constantIbLb0EES1F_EEDaS1A_S1B_EUlS1A_E_NS1_11comp_targetILNS1_3genE2ELNS1_11target_archE906ELNS1_3gpuE6ELNS1_3repE0EEENS1_30default_config_static_selectorELNS0_4arch9wavefront6targetE1EEEvT1_,comdat
.Lfunc_end2074:
	.size	_ZN7rocprim17ROCPRIM_400000_NS6detail17trampoline_kernelINS0_14default_configENS1_25partition_config_selectorILNS1_17partition_subalgoE2EtNS0_10empty_typeEbEEZZNS1_14partition_implILS5_2ELb0ES3_jN6thrust23THRUST_200600_302600_NS6detail15normal_iteratorINSA_7pointerItNSA_11hip_rocprim3tagENSA_11use_defaultESG_EEEEPS6_NSA_18transform_iteratorI7is_evenItENSC_INSA_10device_ptrItEEEESG_SG_EENS0_5tupleIJPtSJ_EEENSR_IJSJ_SJ_EEES6_PlJS6_EEE10hipError_tPvRmT3_T4_T5_T6_T7_T9_mT8_P12ihipStream_tbDpT10_ENKUlT_T0_E_clISt17integral_constantIbLb0EES1F_EEDaS1A_S1B_EUlS1A_E_NS1_11comp_targetILNS1_3genE2ELNS1_11target_archE906ELNS1_3gpuE6ELNS1_3repE0EEENS1_30default_config_static_selectorELNS0_4arch9wavefront6targetE1EEEvT1_, .Lfunc_end2074-_ZN7rocprim17ROCPRIM_400000_NS6detail17trampoline_kernelINS0_14default_configENS1_25partition_config_selectorILNS1_17partition_subalgoE2EtNS0_10empty_typeEbEEZZNS1_14partition_implILS5_2ELb0ES3_jN6thrust23THRUST_200600_302600_NS6detail15normal_iteratorINSA_7pointerItNSA_11hip_rocprim3tagENSA_11use_defaultESG_EEEEPS6_NSA_18transform_iteratorI7is_evenItENSC_INSA_10device_ptrItEEEESG_SG_EENS0_5tupleIJPtSJ_EEENSR_IJSJ_SJ_EEES6_PlJS6_EEE10hipError_tPvRmT3_T4_T5_T6_T7_T9_mT8_P12ihipStream_tbDpT10_ENKUlT_T0_E_clISt17integral_constantIbLb0EES1F_EEDaS1A_S1B_EUlS1A_E_NS1_11comp_targetILNS1_3genE2ELNS1_11target_archE906ELNS1_3gpuE6ELNS1_3repE0EEENS1_30default_config_static_selectorELNS0_4arch9wavefront6targetE1EEEvT1_
                                        ; -- End function
	.section	.AMDGPU.csdata,"",@progbits
; Kernel info:
; codeLenInByte = 0
; NumSgprs: 6
; NumVgprs: 0
; NumAgprs: 0
; TotalNumVgprs: 0
; ScratchSize: 0
; MemoryBound: 0
; FloatMode: 240
; IeeeMode: 1
; LDSByteSize: 0 bytes/workgroup (compile time only)
; SGPRBlocks: 0
; VGPRBlocks: 0
; NumSGPRsForWavesPerEU: 6
; NumVGPRsForWavesPerEU: 1
; AccumOffset: 4
; Occupancy: 8
; WaveLimiterHint : 0
; COMPUTE_PGM_RSRC2:SCRATCH_EN: 0
; COMPUTE_PGM_RSRC2:USER_SGPR: 2
; COMPUTE_PGM_RSRC2:TRAP_HANDLER: 0
; COMPUTE_PGM_RSRC2:TGID_X_EN: 1
; COMPUTE_PGM_RSRC2:TGID_Y_EN: 0
; COMPUTE_PGM_RSRC2:TGID_Z_EN: 0
; COMPUTE_PGM_RSRC2:TIDIG_COMP_CNT: 0
; COMPUTE_PGM_RSRC3_GFX90A:ACCUM_OFFSET: 0
; COMPUTE_PGM_RSRC3_GFX90A:TG_SPLIT: 0
	.section	.text._ZN7rocprim17ROCPRIM_400000_NS6detail17trampoline_kernelINS0_14default_configENS1_25partition_config_selectorILNS1_17partition_subalgoE2EtNS0_10empty_typeEbEEZZNS1_14partition_implILS5_2ELb0ES3_jN6thrust23THRUST_200600_302600_NS6detail15normal_iteratorINSA_7pointerItNSA_11hip_rocprim3tagENSA_11use_defaultESG_EEEEPS6_NSA_18transform_iteratorI7is_evenItENSC_INSA_10device_ptrItEEEESG_SG_EENS0_5tupleIJPtSJ_EEENSR_IJSJ_SJ_EEES6_PlJS6_EEE10hipError_tPvRmT3_T4_T5_T6_T7_T9_mT8_P12ihipStream_tbDpT10_ENKUlT_T0_E_clISt17integral_constantIbLb0EES1F_EEDaS1A_S1B_EUlS1A_E_NS1_11comp_targetILNS1_3genE10ELNS1_11target_archE1200ELNS1_3gpuE4ELNS1_3repE0EEENS1_30default_config_static_selectorELNS0_4arch9wavefront6targetE1EEEvT1_,"axG",@progbits,_ZN7rocprim17ROCPRIM_400000_NS6detail17trampoline_kernelINS0_14default_configENS1_25partition_config_selectorILNS1_17partition_subalgoE2EtNS0_10empty_typeEbEEZZNS1_14partition_implILS5_2ELb0ES3_jN6thrust23THRUST_200600_302600_NS6detail15normal_iteratorINSA_7pointerItNSA_11hip_rocprim3tagENSA_11use_defaultESG_EEEEPS6_NSA_18transform_iteratorI7is_evenItENSC_INSA_10device_ptrItEEEESG_SG_EENS0_5tupleIJPtSJ_EEENSR_IJSJ_SJ_EEES6_PlJS6_EEE10hipError_tPvRmT3_T4_T5_T6_T7_T9_mT8_P12ihipStream_tbDpT10_ENKUlT_T0_E_clISt17integral_constantIbLb0EES1F_EEDaS1A_S1B_EUlS1A_E_NS1_11comp_targetILNS1_3genE10ELNS1_11target_archE1200ELNS1_3gpuE4ELNS1_3repE0EEENS1_30default_config_static_selectorELNS0_4arch9wavefront6targetE1EEEvT1_,comdat
	.protected	_ZN7rocprim17ROCPRIM_400000_NS6detail17trampoline_kernelINS0_14default_configENS1_25partition_config_selectorILNS1_17partition_subalgoE2EtNS0_10empty_typeEbEEZZNS1_14partition_implILS5_2ELb0ES3_jN6thrust23THRUST_200600_302600_NS6detail15normal_iteratorINSA_7pointerItNSA_11hip_rocprim3tagENSA_11use_defaultESG_EEEEPS6_NSA_18transform_iteratorI7is_evenItENSC_INSA_10device_ptrItEEEESG_SG_EENS0_5tupleIJPtSJ_EEENSR_IJSJ_SJ_EEES6_PlJS6_EEE10hipError_tPvRmT3_T4_T5_T6_T7_T9_mT8_P12ihipStream_tbDpT10_ENKUlT_T0_E_clISt17integral_constantIbLb0EES1F_EEDaS1A_S1B_EUlS1A_E_NS1_11comp_targetILNS1_3genE10ELNS1_11target_archE1200ELNS1_3gpuE4ELNS1_3repE0EEENS1_30default_config_static_selectorELNS0_4arch9wavefront6targetE1EEEvT1_ ; -- Begin function _ZN7rocprim17ROCPRIM_400000_NS6detail17trampoline_kernelINS0_14default_configENS1_25partition_config_selectorILNS1_17partition_subalgoE2EtNS0_10empty_typeEbEEZZNS1_14partition_implILS5_2ELb0ES3_jN6thrust23THRUST_200600_302600_NS6detail15normal_iteratorINSA_7pointerItNSA_11hip_rocprim3tagENSA_11use_defaultESG_EEEEPS6_NSA_18transform_iteratorI7is_evenItENSC_INSA_10device_ptrItEEEESG_SG_EENS0_5tupleIJPtSJ_EEENSR_IJSJ_SJ_EEES6_PlJS6_EEE10hipError_tPvRmT3_T4_T5_T6_T7_T9_mT8_P12ihipStream_tbDpT10_ENKUlT_T0_E_clISt17integral_constantIbLb0EES1F_EEDaS1A_S1B_EUlS1A_E_NS1_11comp_targetILNS1_3genE10ELNS1_11target_archE1200ELNS1_3gpuE4ELNS1_3repE0EEENS1_30default_config_static_selectorELNS0_4arch9wavefront6targetE1EEEvT1_
	.globl	_ZN7rocprim17ROCPRIM_400000_NS6detail17trampoline_kernelINS0_14default_configENS1_25partition_config_selectorILNS1_17partition_subalgoE2EtNS0_10empty_typeEbEEZZNS1_14partition_implILS5_2ELb0ES3_jN6thrust23THRUST_200600_302600_NS6detail15normal_iteratorINSA_7pointerItNSA_11hip_rocprim3tagENSA_11use_defaultESG_EEEEPS6_NSA_18transform_iteratorI7is_evenItENSC_INSA_10device_ptrItEEEESG_SG_EENS0_5tupleIJPtSJ_EEENSR_IJSJ_SJ_EEES6_PlJS6_EEE10hipError_tPvRmT3_T4_T5_T6_T7_T9_mT8_P12ihipStream_tbDpT10_ENKUlT_T0_E_clISt17integral_constantIbLb0EES1F_EEDaS1A_S1B_EUlS1A_E_NS1_11comp_targetILNS1_3genE10ELNS1_11target_archE1200ELNS1_3gpuE4ELNS1_3repE0EEENS1_30default_config_static_selectorELNS0_4arch9wavefront6targetE1EEEvT1_
	.p2align	8
	.type	_ZN7rocprim17ROCPRIM_400000_NS6detail17trampoline_kernelINS0_14default_configENS1_25partition_config_selectorILNS1_17partition_subalgoE2EtNS0_10empty_typeEbEEZZNS1_14partition_implILS5_2ELb0ES3_jN6thrust23THRUST_200600_302600_NS6detail15normal_iteratorINSA_7pointerItNSA_11hip_rocprim3tagENSA_11use_defaultESG_EEEEPS6_NSA_18transform_iteratorI7is_evenItENSC_INSA_10device_ptrItEEEESG_SG_EENS0_5tupleIJPtSJ_EEENSR_IJSJ_SJ_EEES6_PlJS6_EEE10hipError_tPvRmT3_T4_T5_T6_T7_T9_mT8_P12ihipStream_tbDpT10_ENKUlT_T0_E_clISt17integral_constantIbLb0EES1F_EEDaS1A_S1B_EUlS1A_E_NS1_11comp_targetILNS1_3genE10ELNS1_11target_archE1200ELNS1_3gpuE4ELNS1_3repE0EEENS1_30default_config_static_selectorELNS0_4arch9wavefront6targetE1EEEvT1_,@function
_ZN7rocprim17ROCPRIM_400000_NS6detail17trampoline_kernelINS0_14default_configENS1_25partition_config_selectorILNS1_17partition_subalgoE2EtNS0_10empty_typeEbEEZZNS1_14partition_implILS5_2ELb0ES3_jN6thrust23THRUST_200600_302600_NS6detail15normal_iteratorINSA_7pointerItNSA_11hip_rocprim3tagENSA_11use_defaultESG_EEEEPS6_NSA_18transform_iteratorI7is_evenItENSC_INSA_10device_ptrItEEEESG_SG_EENS0_5tupleIJPtSJ_EEENSR_IJSJ_SJ_EEES6_PlJS6_EEE10hipError_tPvRmT3_T4_T5_T6_T7_T9_mT8_P12ihipStream_tbDpT10_ENKUlT_T0_E_clISt17integral_constantIbLb0EES1F_EEDaS1A_S1B_EUlS1A_E_NS1_11comp_targetILNS1_3genE10ELNS1_11target_archE1200ELNS1_3gpuE4ELNS1_3repE0EEENS1_30default_config_static_selectorELNS0_4arch9wavefront6targetE1EEEvT1_: ; @_ZN7rocprim17ROCPRIM_400000_NS6detail17trampoline_kernelINS0_14default_configENS1_25partition_config_selectorILNS1_17partition_subalgoE2EtNS0_10empty_typeEbEEZZNS1_14partition_implILS5_2ELb0ES3_jN6thrust23THRUST_200600_302600_NS6detail15normal_iteratorINSA_7pointerItNSA_11hip_rocprim3tagENSA_11use_defaultESG_EEEEPS6_NSA_18transform_iteratorI7is_evenItENSC_INSA_10device_ptrItEEEESG_SG_EENS0_5tupleIJPtSJ_EEENSR_IJSJ_SJ_EEES6_PlJS6_EEE10hipError_tPvRmT3_T4_T5_T6_T7_T9_mT8_P12ihipStream_tbDpT10_ENKUlT_T0_E_clISt17integral_constantIbLb0EES1F_EEDaS1A_S1B_EUlS1A_E_NS1_11comp_targetILNS1_3genE10ELNS1_11target_archE1200ELNS1_3gpuE4ELNS1_3repE0EEENS1_30default_config_static_selectorELNS0_4arch9wavefront6targetE1EEEvT1_
; %bb.0:
	.section	.rodata,"a",@progbits
	.p2align	6, 0x0
	.amdhsa_kernel _ZN7rocprim17ROCPRIM_400000_NS6detail17trampoline_kernelINS0_14default_configENS1_25partition_config_selectorILNS1_17partition_subalgoE2EtNS0_10empty_typeEbEEZZNS1_14partition_implILS5_2ELb0ES3_jN6thrust23THRUST_200600_302600_NS6detail15normal_iteratorINSA_7pointerItNSA_11hip_rocprim3tagENSA_11use_defaultESG_EEEEPS6_NSA_18transform_iteratorI7is_evenItENSC_INSA_10device_ptrItEEEESG_SG_EENS0_5tupleIJPtSJ_EEENSR_IJSJ_SJ_EEES6_PlJS6_EEE10hipError_tPvRmT3_T4_T5_T6_T7_T9_mT8_P12ihipStream_tbDpT10_ENKUlT_T0_E_clISt17integral_constantIbLb0EES1F_EEDaS1A_S1B_EUlS1A_E_NS1_11comp_targetILNS1_3genE10ELNS1_11target_archE1200ELNS1_3gpuE4ELNS1_3repE0EEENS1_30default_config_static_selectorELNS0_4arch9wavefront6targetE1EEEvT1_
		.amdhsa_group_segment_fixed_size 0
		.amdhsa_private_segment_fixed_size 0
		.amdhsa_kernarg_size 128
		.amdhsa_user_sgpr_count 2
		.amdhsa_user_sgpr_dispatch_ptr 0
		.amdhsa_user_sgpr_queue_ptr 0
		.amdhsa_user_sgpr_kernarg_segment_ptr 1
		.amdhsa_user_sgpr_dispatch_id 0
		.amdhsa_user_sgpr_kernarg_preload_length 0
		.amdhsa_user_sgpr_kernarg_preload_offset 0
		.amdhsa_user_sgpr_private_segment_size 0
		.amdhsa_uses_dynamic_stack 0
		.amdhsa_enable_private_segment 0
		.amdhsa_system_sgpr_workgroup_id_x 1
		.amdhsa_system_sgpr_workgroup_id_y 0
		.amdhsa_system_sgpr_workgroup_id_z 0
		.amdhsa_system_sgpr_workgroup_info 0
		.amdhsa_system_vgpr_workitem_id 0
		.amdhsa_next_free_vgpr 1
		.amdhsa_next_free_sgpr 0
		.amdhsa_accum_offset 4
		.amdhsa_reserve_vcc 0
		.amdhsa_float_round_mode_32 0
		.amdhsa_float_round_mode_16_64 0
		.amdhsa_float_denorm_mode_32 3
		.amdhsa_float_denorm_mode_16_64 3
		.amdhsa_dx10_clamp 1
		.amdhsa_ieee_mode 1
		.amdhsa_fp16_overflow 0
		.amdhsa_tg_split 0
		.amdhsa_exception_fp_ieee_invalid_op 0
		.amdhsa_exception_fp_denorm_src 0
		.amdhsa_exception_fp_ieee_div_zero 0
		.amdhsa_exception_fp_ieee_overflow 0
		.amdhsa_exception_fp_ieee_underflow 0
		.amdhsa_exception_fp_ieee_inexact 0
		.amdhsa_exception_int_div_zero 0
	.end_amdhsa_kernel
	.section	.text._ZN7rocprim17ROCPRIM_400000_NS6detail17trampoline_kernelINS0_14default_configENS1_25partition_config_selectorILNS1_17partition_subalgoE2EtNS0_10empty_typeEbEEZZNS1_14partition_implILS5_2ELb0ES3_jN6thrust23THRUST_200600_302600_NS6detail15normal_iteratorINSA_7pointerItNSA_11hip_rocprim3tagENSA_11use_defaultESG_EEEEPS6_NSA_18transform_iteratorI7is_evenItENSC_INSA_10device_ptrItEEEESG_SG_EENS0_5tupleIJPtSJ_EEENSR_IJSJ_SJ_EEES6_PlJS6_EEE10hipError_tPvRmT3_T4_T5_T6_T7_T9_mT8_P12ihipStream_tbDpT10_ENKUlT_T0_E_clISt17integral_constantIbLb0EES1F_EEDaS1A_S1B_EUlS1A_E_NS1_11comp_targetILNS1_3genE10ELNS1_11target_archE1200ELNS1_3gpuE4ELNS1_3repE0EEENS1_30default_config_static_selectorELNS0_4arch9wavefront6targetE1EEEvT1_,"axG",@progbits,_ZN7rocprim17ROCPRIM_400000_NS6detail17trampoline_kernelINS0_14default_configENS1_25partition_config_selectorILNS1_17partition_subalgoE2EtNS0_10empty_typeEbEEZZNS1_14partition_implILS5_2ELb0ES3_jN6thrust23THRUST_200600_302600_NS6detail15normal_iteratorINSA_7pointerItNSA_11hip_rocprim3tagENSA_11use_defaultESG_EEEEPS6_NSA_18transform_iteratorI7is_evenItENSC_INSA_10device_ptrItEEEESG_SG_EENS0_5tupleIJPtSJ_EEENSR_IJSJ_SJ_EEES6_PlJS6_EEE10hipError_tPvRmT3_T4_T5_T6_T7_T9_mT8_P12ihipStream_tbDpT10_ENKUlT_T0_E_clISt17integral_constantIbLb0EES1F_EEDaS1A_S1B_EUlS1A_E_NS1_11comp_targetILNS1_3genE10ELNS1_11target_archE1200ELNS1_3gpuE4ELNS1_3repE0EEENS1_30default_config_static_selectorELNS0_4arch9wavefront6targetE1EEEvT1_,comdat
.Lfunc_end2075:
	.size	_ZN7rocprim17ROCPRIM_400000_NS6detail17trampoline_kernelINS0_14default_configENS1_25partition_config_selectorILNS1_17partition_subalgoE2EtNS0_10empty_typeEbEEZZNS1_14partition_implILS5_2ELb0ES3_jN6thrust23THRUST_200600_302600_NS6detail15normal_iteratorINSA_7pointerItNSA_11hip_rocprim3tagENSA_11use_defaultESG_EEEEPS6_NSA_18transform_iteratorI7is_evenItENSC_INSA_10device_ptrItEEEESG_SG_EENS0_5tupleIJPtSJ_EEENSR_IJSJ_SJ_EEES6_PlJS6_EEE10hipError_tPvRmT3_T4_T5_T6_T7_T9_mT8_P12ihipStream_tbDpT10_ENKUlT_T0_E_clISt17integral_constantIbLb0EES1F_EEDaS1A_S1B_EUlS1A_E_NS1_11comp_targetILNS1_3genE10ELNS1_11target_archE1200ELNS1_3gpuE4ELNS1_3repE0EEENS1_30default_config_static_selectorELNS0_4arch9wavefront6targetE1EEEvT1_, .Lfunc_end2075-_ZN7rocprim17ROCPRIM_400000_NS6detail17trampoline_kernelINS0_14default_configENS1_25partition_config_selectorILNS1_17partition_subalgoE2EtNS0_10empty_typeEbEEZZNS1_14partition_implILS5_2ELb0ES3_jN6thrust23THRUST_200600_302600_NS6detail15normal_iteratorINSA_7pointerItNSA_11hip_rocprim3tagENSA_11use_defaultESG_EEEEPS6_NSA_18transform_iteratorI7is_evenItENSC_INSA_10device_ptrItEEEESG_SG_EENS0_5tupleIJPtSJ_EEENSR_IJSJ_SJ_EEES6_PlJS6_EEE10hipError_tPvRmT3_T4_T5_T6_T7_T9_mT8_P12ihipStream_tbDpT10_ENKUlT_T0_E_clISt17integral_constantIbLb0EES1F_EEDaS1A_S1B_EUlS1A_E_NS1_11comp_targetILNS1_3genE10ELNS1_11target_archE1200ELNS1_3gpuE4ELNS1_3repE0EEENS1_30default_config_static_selectorELNS0_4arch9wavefront6targetE1EEEvT1_
                                        ; -- End function
	.section	.AMDGPU.csdata,"",@progbits
; Kernel info:
; codeLenInByte = 0
; NumSgprs: 6
; NumVgprs: 0
; NumAgprs: 0
; TotalNumVgprs: 0
; ScratchSize: 0
; MemoryBound: 0
; FloatMode: 240
; IeeeMode: 1
; LDSByteSize: 0 bytes/workgroup (compile time only)
; SGPRBlocks: 0
; VGPRBlocks: 0
; NumSGPRsForWavesPerEU: 6
; NumVGPRsForWavesPerEU: 1
; AccumOffset: 4
; Occupancy: 8
; WaveLimiterHint : 0
; COMPUTE_PGM_RSRC2:SCRATCH_EN: 0
; COMPUTE_PGM_RSRC2:USER_SGPR: 2
; COMPUTE_PGM_RSRC2:TRAP_HANDLER: 0
; COMPUTE_PGM_RSRC2:TGID_X_EN: 1
; COMPUTE_PGM_RSRC2:TGID_Y_EN: 0
; COMPUTE_PGM_RSRC2:TGID_Z_EN: 0
; COMPUTE_PGM_RSRC2:TIDIG_COMP_CNT: 0
; COMPUTE_PGM_RSRC3_GFX90A:ACCUM_OFFSET: 0
; COMPUTE_PGM_RSRC3_GFX90A:TG_SPLIT: 0
	.section	.text._ZN7rocprim17ROCPRIM_400000_NS6detail17trampoline_kernelINS0_14default_configENS1_25partition_config_selectorILNS1_17partition_subalgoE2EtNS0_10empty_typeEbEEZZNS1_14partition_implILS5_2ELb0ES3_jN6thrust23THRUST_200600_302600_NS6detail15normal_iteratorINSA_7pointerItNSA_11hip_rocprim3tagENSA_11use_defaultESG_EEEEPS6_NSA_18transform_iteratorI7is_evenItENSC_INSA_10device_ptrItEEEESG_SG_EENS0_5tupleIJPtSJ_EEENSR_IJSJ_SJ_EEES6_PlJS6_EEE10hipError_tPvRmT3_T4_T5_T6_T7_T9_mT8_P12ihipStream_tbDpT10_ENKUlT_T0_E_clISt17integral_constantIbLb0EES1F_EEDaS1A_S1B_EUlS1A_E_NS1_11comp_targetILNS1_3genE9ELNS1_11target_archE1100ELNS1_3gpuE3ELNS1_3repE0EEENS1_30default_config_static_selectorELNS0_4arch9wavefront6targetE1EEEvT1_,"axG",@progbits,_ZN7rocprim17ROCPRIM_400000_NS6detail17trampoline_kernelINS0_14default_configENS1_25partition_config_selectorILNS1_17partition_subalgoE2EtNS0_10empty_typeEbEEZZNS1_14partition_implILS5_2ELb0ES3_jN6thrust23THRUST_200600_302600_NS6detail15normal_iteratorINSA_7pointerItNSA_11hip_rocprim3tagENSA_11use_defaultESG_EEEEPS6_NSA_18transform_iteratorI7is_evenItENSC_INSA_10device_ptrItEEEESG_SG_EENS0_5tupleIJPtSJ_EEENSR_IJSJ_SJ_EEES6_PlJS6_EEE10hipError_tPvRmT3_T4_T5_T6_T7_T9_mT8_P12ihipStream_tbDpT10_ENKUlT_T0_E_clISt17integral_constantIbLb0EES1F_EEDaS1A_S1B_EUlS1A_E_NS1_11comp_targetILNS1_3genE9ELNS1_11target_archE1100ELNS1_3gpuE3ELNS1_3repE0EEENS1_30default_config_static_selectorELNS0_4arch9wavefront6targetE1EEEvT1_,comdat
	.protected	_ZN7rocprim17ROCPRIM_400000_NS6detail17trampoline_kernelINS0_14default_configENS1_25partition_config_selectorILNS1_17partition_subalgoE2EtNS0_10empty_typeEbEEZZNS1_14partition_implILS5_2ELb0ES3_jN6thrust23THRUST_200600_302600_NS6detail15normal_iteratorINSA_7pointerItNSA_11hip_rocprim3tagENSA_11use_defaultESG_EEEEPS6_NSA_18transform_iteratorI7is_evenItENSC_INSA_10device_ptrItEEEESG_SG_EENS0_5tupleIJPtSJ_EEENSR_IJSJ_SJ_EEES6_PlJS6_EEE10hipError_tPvRmT3_T4_T5_T6_T7_T9_mT8_P12ihipStream_tbDpT10_ENKUlT_T0_E_clISt17integral_constantIbLb0EES1F_EEDaS1A_S1B_EUlS1A_E_NS1_11comp_targetILNS1_3genE9ELNS1_11target_archE1100ELNS1_3gpuE3ELNS1_3repE0EEENS1_30default_config_static_selectorELNS0_4arch9wavefront6targetE1EEEvT1_ ; -- Begin function _ZN7rocprim17ROCPRIM_400000_NS6detail17trampoline_kernelINS0_14default_configENS1_25partition_config_selectorILNS1_17partition_subalgoE2EtNS0_10empty_typeEbEEZZNS1_14partition_implILS5_2ELb0ES3_jN6thrust23THRUST_200600_302600_NS6detail15normal_iteratorINSA_7pointerItNSA_11hip_rocprim3tagENSA_11use_defaultESG_EEEEPS6_NSA_18transform_iteratorI7is_evenItENSC_INSA_10device_ptrItEEEESG_SG_EENS0_5tupleIJPtSJ_EEENSR_IJSJ_SJ_EEES6_PlJS6_EEE10hipError_tPvRmT3_T4_T5_T6_T7_T9_mT8_P12ihipStream_tbDpT10_ENKUlT_T0_E_clISt17integral_constantIbLb0EES1F_EEDaS1A_S1B_EUlS1A_E_NS1_11comp_targetILNS1_3genE9ELNS1_11target_archE1100ELNS1_3gpuE3ELNS1_3repE0EEENS1_30default_config_static_selectorELNS0_4arch9wavefront6targetE1EEEvT1_
	.globl	_ZN7rocprim17ROCPRIM_400000_NS6detail17trampoline_kernelINS0_14default_configENS1_25partition_config_selectorILNS1_17partition_subalgoE2EtNS0_10empty_typeEbEEZZNS1_14partition_implILS5_2ELb0ES3_jN6thrust23THRUST_200600_302600_NS6detail15normal_iteratorINSA_7pointerItNSA_11hip_rocprim3tagENSA_11use_defaultESG_EEEEPS6_NSA_18transform_iteratorI7is_evenItENSC_INSA_10device_ptrItEEEESG_SG_EENS0_5tupleIJPtSJ_EEENSR_IJSJ_SJ_EEES6_PlJS6_EEE10hipError_tPvRmT3_T4_T5_T6_T7_T9_mT8_P12ihipStream_tbDpT10_ENKUlT_T0_E_clISt17integral_constantIbLb0EES1F_EEDaS1A_S1B_EUlS1A_E_NS1_11comp_targetILNS1_3genE9ELNS1_11target_archE1100ELNS1_3gpuE3ELNS1_3repE0EEENS1_30default_config_static_selectorELNS0_4arch9wavefront6targetE1EEEvT1_
	.p2align	8
	.type	_ZN7rocprim17ROCPRIM_400000_NS6detail17trampoline_kernelINS0_14default_configENS1_25partition_config_selectorILNS1_17partition_subalgoE2EtNS0_10empty_typeEbEEZZNS1_14partition_implILS5_2ELb0ES3_jN6thrust23THRUST_200600_302600_NS6detail15normal_iteratorINSA_7pointerItNSA_11hip_rocprim3tagENSA_11use_defaultESG_EEEEPS6_NSA_18transform_iteratorI7is_evenItENSC_INSA_10device_ptrItEEEESG_SG_EENS0_5tupleIJPtSJ_EEENSR_IJSJ_SJ_EEES6_PlJS6_EEE10hipError_tPvRmT3_T4_T5_T6_T7_T9_mT8_P12ihipStream_tbDpT10_ENKUlT_T0_E_clISt17integral_constantIbLb0EES1F_EEDaS1A_S1B_EUlS1A_E_NS1_11comp_targetILNS1_3genE9ELNS1_11target_archE1100ELNS1_3gpuE3ELNS1_3repE0EEENS1_30default_config_static_selectorELNS0_4arch9wavefront6targetE1EEEvT1_,@function
_ZN7rocprim17ROCPRIM_400000_NS6detail17trampoline_kernelINS0_14default_configENS1_25partition_config_selectorILNS1_17partition_subalgoE2EtNS0_10empty_typeEbEEZZNS1_14partition_implILS5_2ELb0ES3_jN6thrust23THRUST_200600_302600_NS6detail15normal_iteratorINSA_7pointerItNSA_11hip_rocprim3tagENSA_11use_defaultESG_EEEEPS6_NSA_18transform_iteratorI7is_evenItENSC_INSA_10device_ptrItEEEESG_SG_EENS0_5tupleIJPtSJ_EEENSR_IJSJ_SJ_EEES6_PlJS6_EEE10hipError_tPvRmT3_T4_T5_T6_T7_T9_mT8_P12ihipStream_tbDpT10_ENKUlT_T0_E_clISt17integral_constantIbLb0EES1F_EEDaS1A_S1B_EUlS1A_E_NS1_11comp_targetILNS1_3genE9ELNS1_11target_archE1100ELNS1_3gpuE3ELNS1_3repE0EEENS1_30default_config_static_selectorELNS0_4arch9wavefront6targetE1EEEvT1_: ; @_ZN7rocprim17ROCPRIM_400000_NS6detail17trampoline_kernelINS0_14default_configENS1_25partition_config_selectorILNS1_17partition_subalgoE2EtNS0_10empty_typeEbEEZZNS1_14partition_implILS5_2ELb0ES3_jN6thrust23THRUST_200600_302600_NS6detail15normal_iteratorINSA_7pointerItNSA_11hip_rocprim3tagENSA_11use_defaultESG_EEEEPS6_NSA_18transform_iteratorI7is_evenItENSC_INSA_10device_ptrItEEEESG_SG_EENS0_5tupleIJPtSJ_EEENSR_IJSJ_SJ_EEES6_PlJS6_EEE10hipError_tPvRmT3_T4_T5_T6_T7_T9_mT8_P12ihipStream_tbDpT10_ENKUlT_T0_E_clISt17integral_constantIbLb0EES1F_EEDaS1A_S1B_EUlS1A_E_NS1_11comp_targetILNS1_3genE9ELNS1_11target_archE1100ELNS1_3gpuE3ELNS1_3repE0EEENS1_30default_config_static_selectorELNS0_4arch9wavefront6targetE1EEEvT1_
; %bb.0:
	.section	.rodata,"a",@progbits
	.p2align	6, 0x0
	.amdhsa_kernel _ZN7rocprim17ROCPRIM_400000_NS6detail17trampoline_kernelINS0_14default_configENS1_25partition_config_selectorILNS1_17partition_subalgoE2EtNS0_10empty_typeEbEEZZNS1_14partition_implILS5_2ELb0ES3_jN6thrust23THRUST_200600_302600_NS6detail15normal_iteratorINSA_7pointerItNSA_11hip_rocprim3tagENSA_11use_defaultESG_EEEEPS6_NSA_18transform_iteratorI7is_evenItENSC_INSA_10device_ptrItEEEESG_SG_EENS0_5tupleIJPtSJ_EEENSR_IJSJ_SJ_EEES6_PlJS6_EEE10hipError_tPvRmT3_T4_T5_T6_T7_T9_mT8_P12ihipStream_tbDpT10_ENKUlT_T0_E_clISt17integral_constantIbLb0EES1F_EEDaS1A_S1B_EUlS1A_E_NS1_11comp_targetILNS1_3genE9ELNS1_11target_archE1100ELNS1_3gpuE3ELNS1_3repE0EEENS1_30default_config_static_selectorELNS0_4arch9wavefront6targetE1EEEvT1_
		.amdhsa_group_segment_fixed_size 0
		.amdhsa_private_segment_fixed_size 0
		.amdhsa_kernarg_size 128
		.amdhsa_user_sgpr_count 2
		.amdhsa_user_sgpr_dispatch_ptr 0
		.amdhsa_user_sgpr_queue_ptr 0
		.amdhsa_user_sgpr_kernarg_segment_ptr 1
		.amdhsa_user_sgpr_dispatch_id 0
		.amdhsa_user_sgpr_kernarg_preload_length 0
		.amdhsa_user_sgpr_kernarg_preload_offset 0
		.amdhsa_user_sgpr_private_segment_size 0
		.amdhsa_uses_dynamic_stack 0
		.amdhsa_enable_private_segment 0
		.amdhsa_system_sgpr_workgroup_id_x 1
		.amdhsa_system_sgpr_workgroup_id_y 0
		.amdhsa_system_sgpr_workgroup_id_z 0
		.amdhsa_system_sgpr_workgroup_info 0
		.amdhsa_system_vgpr_workitem_id 0
		.amdhsa_next_free_vgpr 1
		.amdhsa_next_free_sgpr 0
		.amdhsa_accum_offset 4
		.amdhsa_reserve_vcc 0
		.amdhsa_float_round_mode_32 0
		.amdhsa_float_round_mode_16_64 0
		.amdhsa_float_denorm_mode_32 3
		.amdhsa_float_denorm_mode_16_64 3
		.amdhsa_dx10_clamp 1
		.amdhsa_ieee_mode 1
		.amdhsa_fp16_overflow 0
		.amdhsa_tg_split 0
		.amdhsa_exception_fp_ieee_invalid_op 0
		.amdhsa_exception_fp_denorm_src 0
		.amdhsa_exception_fp_ieee_div_zero 0
		.amdhsa_exception_fp_ieee_overflow 0
		.amdhsa_exception_fp_ieee_underflow 0
		.amdhsa_exception_fp_ieee_inexact 0
		.amdhsa_exception_int_div_zero 0
	.end_amdhsa_kernel
	.section	.text._ZN7rocprim17ROCPRIM_400000_NS6detail17trampoline_kernelINS0_14default_configENS1_25partition_config_selectorILNS1_17partition_subalgoE2EtNS0_10empty_typeEbEEZZNS1_14partition_implILS5_2ELb0ES3_jN6thrust23THRUST_200600_302600_NS6detail15normal_iteratorINSA_7pointerItNSA_11hip_rocprim3tagENSA_11use_defaultESG_EEEEPS6_NSA_18transform_iteratorI7is_evenItENSC_INSA_10device_ptrItEEEESG_SG_EENS0_5tupleIJPtSJ_EEENSR_IJSJ_SJ_EEES6_PlJS6_EEE10hipError_tPvRmT3_T4_T5_T6_T7_T9_mT8_P12ihipStream_tbDpT10_ENKUlT_T0_E_clISt17integral_constantIbLb0EES1F_EEDaS1A_S1B_EUlS1A_E_NS1_11comp_targetILNS1_3genE9ELNS1_11target_archE1100ELNS1_3gpuE3ELNS1_3repE0EEENS1_30default_config_static_selectorELNS0_4arch9wavefront6targetE1EEEvT1_,"axG",@progbits,_ZN7rocprim17ROCPRIM_400000_NS6detail17trampoline_kernelINS0_14default_configENS1_25partition_config_selectorILNS1_17partition_subalgoE2EtNS0_10empty_typeEbEEZZNS1_14partition_implILS5_2ELb0ES3_jN6thrust23THRUST_200600_302600_NS6detail15normal_iteratorINSA_7pointerItNSA_11hip_rocprim3tagENSA_11use_defaultESG_EEEEPS6_NSA_18transform_iteratorI7is_evenItENSC_INSA_10device_ptrItEEEESG_SG_EENS0_5tupleIJPtSJ_EEENSR_IJSJ_SJ_EEES6_PlJS6_EEE10hipError_tPvRmT3_T4_T5_T6_T7_T9_mT8_P12ihipStream_tbDpT10_ENKUlT_T0_E_clISt17integral_constantIbLb0EES1F_EEDaS1A_S1B_EUlS1A_E_NS1_11comp_targetILNS1_3genE9ELNS1_11target_archE1100ELNS1_3gpuE3ELNS1_3repE0EEENS1_30default_config_static_selectorELNS0_4arch9wavefront6targetE1EEEvT1_,comdat
.Lfunc_end2076:
	.size	_ZN7rocprim17ROCPRIM_400000_NS6detail17trampoline_kernelINS0_14default_configENS1_25partition_config_selectorILNS1_17partition_subalgoE2EtNS0_10empty_typeEbEEZZNS1_14partition_implILS5_2ELb0ES3_jN6thrust23THRUST_200600_302600_NS6detail15normal_iteratorINSA_7pointerItNSA_11hip_rocprim3tagENSA_11use_defaultESG_EEEEPS6_NSA_18transform_iteratorI7is_evenItENSC_INSA_10device_ptrItEEEESG_SG_EENS0_5tupleIJPtSJ_EEENSR_IJSJ_SJ_EEES6_PlJS6_EEE10hipError_tPvRmT3_T4_T5_T6_T7_T9_mT8_P12ihipStream_tbDpT10_ENKUlT_T0_E_clISt17integral_constantIbLb0EES1F_EEDaS1A_S1B_EUlS1A_E_NS1_11comp_targetILNS1_3genE9ELNS1_11target_archE1100ELNS1_3gpuE3ELNS1_3repE0EEENS1_30default_config_static_selectorELNS0_4arch9wavefront6targetE1EEEvT1_, .Lfunc_end2076-_ZN7rocprim17ROCPRIM_400000_NS6detail17trampoline_kernelINS0_14default_configENS1_25partition_config_selectorILNS1_17partition_subalgoE2EtNS0_10empty_typeEbEEZZNS1_14partition_implILS5_2ELb0ES3_jN6thrust23THRUST_200600_302600_NS6detail15normal_iteratorINSA_7pointerItNSA_11hip_rocprim3tagENSA_11use_defaultESG_EEEEPS6_NSA_18transform_iteratorI7is_evenItENSC_INSA_10device_ptrItEEEESG_SG_EENS0_5tupleIJPtSJ_EEENSR_IJSJ_SJ_EEES6_PlJS6_EEE10hipError_tPvRmT3_T4_T5_T6_T7_T9_mT8_P12ihipStream_tbDpT10_ENKUlT_T0_E_clISt17integral_constantIbLb0EES1F_EEDaS1A_S1B_EUlS1A_E_NS1_11comp_targetILNS1_3genE9ELNS1_11target_archE1100ELNS1_3gpuE3ELNS1_3repE0EEENS1_30default_config_static_selectorELNS0_4arch9wavefront6targetE1EEEvT1_
                                        ; -- End function
	.section	.AMDGPU.csdata,"",@progbits
; Kernel info:
; codeLenInByte = 0
; NumSgprs: 6
; NumVgprs: 0
; NumAgprs: 0
; TotalNumVgprs: 0
; ScratchSize: 0
; MemoryBound: 0
; FloatMode: 240
; IeeeMode: 1
; LDSByteSize: 0 bytes/workgroup (compile time only)
; SGPRBlocks: 0
; VGPRBlocks: 0
; NumSGPRsForWavesPerEU: 6
; NumVGPRsForWavesPerEU: 1
; AccumOffset: 4
; Occupancy: 8
; WaveLimiterHint : 0
; COMPUTE_PGM_RSRC2:SCRATCH_EN: 0
; COMPUTE_PGM_RSRC2:USER_SGPR: 2
; COMPUTE_PGM_RSRC2:TRAP_HANDLER: 0
; COMPUTE_PGM_RSRC2:TGID_X_EN: 1
; COMPUTE_PGM_RSRC2:TGID_Y_EN: 0
; COMPUTE_PGM_RSRC2:TGID_Z_EN: 0
; COMPUTE_PGM_RSRC2:TIDIG_COMP_CNT: 0
; COMPUTE_PGM_RSRC3_GFX90A:ACCUM_OFFSET: 0
; COMPUTE_PGM_RSRC3_GFX90A:TG_SPLIT: 0
	.section	.text._ZN7rocprim17ROCPRIM_400000_NS6detail17trampoline_kernelINS0_14default_configENS1_25partition_config_selectorILNS1_17partition_subalgoE2EtNS0_10empty_typeEbEEZZNS1_14partition_implILS5_2ELb0ES3_jN6thrust23THRUST_200600_302600_NS6detail15normal_iteratorINSA_7pointerItNSA_11hip_rocprim3tagENSA_11use_defaultESG_EEEEPS6_NSA_18transform_iteratorI7is_evenItENSC_INSA_10device_ptrItEEEESG_SG_EENS0_5tupleIJPtSJ_EEENSR_IJSJ_SJ_EEES6_PlJS6_EEE10hipError_tPvRmT3_T4_T5_T6_T7_T9_mT8_P12ihipStream_tbDpT10_ENKUlT_T0_E_clISt17integral_constantIbLb0EES1F_EEDaS1A_S1B_EUlS1A_E_NS1_11comp_targetILNS1_3genE8ELNS1_11target_archE1030ELNS1_3gpuE2ELNS1_3repE0EEENS1_30default_config_static_selectorELNS0_4arch9wavefront6targetE1EEEvT1_,"axG",@progbits,_ZN7rocprim17ROCPRIM_400000_NS6detail17trampoline_kernelINS0_14default_configENS1_25partition_config_selectorILNS1_17partition_subalgoE2EtNS0_10empty_typeEbEEZZNS1_14partition_implILS5_2ELb0ES3_jN6thrust23THRUST_200600_302600_NS6detail15normal_iteratorINSA_7pointerItNSA_11hip_rocprim3tagENSA_11use_defaultESG_EEEEPS6_NSA_18transform_iteratorI7is_evenItENSC_INSA_10device_ptrItEEEESG_SG_EENS0_5tupleIJPtSJ_EEENSR_IJSJ_SJ_EEES6_PlJS6_EEE10hipError_tPvRmT3_T4_T5_T6_T7_T9_mT8_P12ihipStream_tbDpT10_ENKUlT_T0_E_clISt17integral_constantIbLb0EES1F_EEDaS1A_S1B_EUlS1A_E_NS1_11comp_targetILNS1_3genE8ELNS1_11target_archE1030ELNS1_3gpuE2ELNS1_3repE0EEENS1_30default_config_static_selectorELNS0_4arch9wavefront6targetE1EEEvT1_,comdat
	.protected	_ZN7rocprim17ROCPRIM_400000_NS6detail17trampoline_kernelINS0_14default_configENS1_25partition_config_selectorILNS1_17partition_subalgoE2EtNS0_10empty_typeEbEEZZNS1_14partition_implILS5_2ELb0ES3_jN6thrust23THRUST_200600_302600_NS6detail15normal_iteratorINSA_7pointerItNSA_11hip_rocprim3tagENSA_11use_defaultESG_EEEEPS6_NSA_18transform_iteratorI7is_evenItENSC_INSA_10device_ptrItEEEESG_SG_EENS0_5tupleIJPtSJ_EEENSR_IJSJ_SJ_EEES6_PlJS6_EEE10hipError_tPvRmT3_T4_T5_T6_T7_T9_mT8_P12ihipStream_tbDpT10_ENKUlT_T0_E_clISt17integral_constantIbLb0EES1F_EEDaS1A_S1B_EUlS1A_E_NS1_11comp_targetILNS1_3genE8ELNS1_11target_archE1030ELNS1_3gpuE2ELNS1_3repE0EEENS1_30default_config_static_selectorELNS0_4arch9wavefront6targetE1EEEvT1_ ; -- Begin function _ZN7rocprim17ROCPRIM_400000_NS6detail17trampoline_kernelINS0_14default_configENS1_25partition_config_selectorILNS1_17partition_subalgoE2EtNS0_10empty_typeEbEEZZNS1_14partition_implILS5_2ELb0ES3_jN6thrust23THRUST_200600_302600_NS6detail15normal_iteratorINSA_7pointerItNSA_11hip_rocprim3tagENSA_11use_defaultESG_EEEEPS6_NSA_18transform_iteratorI7is_evenItENSC_INSA_10device_ptrItEEEESG_SG_EENS0_5tupleIJPtSJ_EEENSR_IJSJ_SJ_EEES6_PlJS6_EEE10hipError_tPvRmT3_T4_T5_T6_T7_T9_mT8_P12ihipStream_tbDpT10_ENKUlT_T0_E_clISt17integral_constantIbLb0EES1F_EEDaS1A_S1B_EUlS1A_E_NS1_11comp_targetILNS1_3genE8ELNS1_11target_archE1030ELNS1_3gpuE2ELNS1_3repE0EEENS1_30default_config_static_selectorELNS0_4arch9wavefront6targetE1EEEvT1_
	.globl	_ZN7rocprim17ROCPRIM_400000_NS6detail17trampoline_kernelINS0_14default_configENS1_25partition_config_selectorILNS1_17partition_subalgoE2EtNS0_10empty_typeEbEEZZNS1_14partition_implILS5_2ELb0ES3_jN6thrust23THRUST_200600_302600_NS6detail15normal_iteratorINSA_7pointerItNSA_11hip_rocprim3tagENSA_11use_defaultESG_EEEEPS6_NSA_18transform_iteratorI7is_evenItENSC_INSA_10device_ptrItEEEESG_SG_EENS0_5tupleIJPtSJ_EEENSR_IJSJ_SJ_EEES6_PlJS6_EEE10hipError_tPvRmT3_T4_T5_T6_T7_T9_mT8_P12ihipStream_tbDpT10_ENKUlT_T0_E_clISt17integral_constantIbLb0EES1F_EEDaS1A_S1B_EUlS1A_E_NS1_11comp_targetILNS1_3genE8ELNS1_11target_archE1030ELNS1_3gpuE2ELNS1_3repE0EEENS1_30default_config_static_selectorELNS0_4arch9wavefront6targetE1EEEvT1_
	.p2align	8
	.type	_ZN7rocprim17ROCPRIM_400000_NS6detail17trampoline_kernelINS0_14default_configENS1_25partition_config_selectorILNS1_17partition_subalgoE2EtNS0_10empty_typeEbEEZZNS1_14partition_implILS5_2ELb0ES3_jN6thrust23THRUST_200600_302600_NS6detail15normal_iteratorINSA_7pointerItNSA_11hip_rocprim3tagENSA_11use_defaultESG_EEEEPS6_NSA_18transform_iteratorI7is_evenItENSC_INSA_10device_ptrItEEEESG_SG_EENS0_5tupleIJPtSJ_EEENSR_IJSJ_SJ_EEES6_PlJS6_EEE10hipError_tPvRmT3_T4_T5_T6_T7_T9_mT8_P12ihipStream_tbDpT10_ENKUlT_T0_E_clISt17integral_constantIbLb0EES1F_EEDaS1A_S1B_EUlS1A_E_NS1_11comp_targetILNS1_3genE8ELNS1_11target_archE1030ELNS1_3gpuE2ELNS1_3repE0EEENS1_30default_config_static_selectorELNS0_4arch9wavefront6targetE1EEEvT1_,@function
_ZN7rocprim17ROCPRIM_400000_NS6detail17trampoline_kernelINS0_14default_configENS1_25partition_config_selectorILNS1_17partition_subalgoE2EtNS0_10empty_typeEbEEZZNS1_14partition_implILS5_2ELb0ES3_jN6thrust23THRUST_200600_302600_NS6detail15normal_iteratorINSA_7pointerItNSA_11hip_rocprim3tagENSA_11use_defaultESG_EEEEPS6_NSA_18transform_iteratorI7is_evenItENSC_INSA_10device_ptrItEEEESG_SG_EENS0_5tupleIJPtSJ_EEENSR_IJSJ_SJ_EEES6_PlJS6_EEE10hipError_tPvRmT3_T4_T5_T6_T7_T9_mT8_P12ihipStream_tbDpT10_ENKUlT_T0_E_clISt17integral_constantIbLb0EES1F_EEDaS1A_S1B_EUlS1A_E_NS1_11comp_targetILNS1_3genE8ELNS1_11target_archE1030ELNS1_3gpuE2ELNS1_3repE0EEENS1_30default_config_static_selectorELNS0_4arch9wavefront6targetE1EEEvT1_: ; @_ZN7rocprim17ROCPRIM_400000_NS6detail17trampoline_kernelINS0_14default_configENS1_25partition_config_selectorILNS1_17partition_subalgoE2EtNS0_10empty_typeEbEEZZNS1_14partition_implILS5_2ELb0ES3_jN6thrust23THRUST_200600_302600_NS6detail15normal_iteratorINSA_7pointerItNSA_11hip_rocprim3tagENSA_11use_defaultESG_EEEEPS6_NSA_18transform_iteratorI7is_evenItENSC_INSA_10device_ptrItEEEESG_SG_EENS0_5tupleIJPtSJ_EEENSR_IJSJ_SJ_EEES6_PlJS6_EEE10hipError_tPvRmT3_T4_T5_T6_T7_T9_mT8_P12ihipStream_tbDpT10_ENKUlT_T0_E_clISt17integral_constantIbLb0EES1F_EEDaS1A_S1B_EUlS1A_E_NS1_11comp_targetILNS1_3genE8ELNS1_11target_archE1030ELNS1_3gpuE2ELNS1_3repE0EEENS1_30default_config_static_selectorELNS0_4arch9wavefront6targetE1EEEvT1_
; %bb.0:
	.section	.rodata,"a",@progbits
	.p2align	6, 0x0
	.amdhsa_kernel _ZN7rocprim17ROCPRIM_400000_NS6detail17trampoline_kernelINS0_14default_configENS1_25partition_config_selectorILNS1_17partition_subalgoE2EtNS0_10empty_typeEbEEZZNS1_14partition_implILS5_2ELb0ES3_jN6thrust23THRUST_200600_302600_NS6detail15normal_iteratorINSA_7pointerItNSA_11hip_rocprim3tagENSA_11use_defaultESG_EEEEPS6_NSA_18transform_iteratorI7is_evenItENSC_INSA_10device_ptrItEEEESG_SG_EENS0_5tupleIJPtSJ_EEENSR_IJSJ_SJ_EEES6_PlJS6_EEE10hipError_tPvRmT3_T4_T5_T6_T7_T9_mT8_P12ihipStream_tbDpT10_ENKUlT_T0_E_clISt17integral_constantIbLb0EES1F_EEDaS1A_S1B_EUlS1A_E_NS1_11comp_targetILNS1_3genE8ELNS1_11target_archE1030ELNS1_3gpuE2ELNS1_3repE0EEENS1_30default_config_static_selectorELNS0_4arch9wavefront6targetE1EEEvT1_
		.amdhsa_group_segment_fixed_size 0
		.amdhsa_private_segment_fixed_size 0
		.amdhsa_kernarg_size 128
		.amdhsa_user_sgpr_count 2
		.amdhsa_user_sgpr_dispatch_ptr 0
		.amdhsa_user_sgpr_queue_ptr 0
		.amdhsa_user_sgpr_kernarg_segment_ptr 1
		.amdhsa_user_sgpr_dispatch_id 0
		.amdhsa_user_sgpr_kernarg_preload_length 0
		.amdhsa_user_sgpr_kernarg_preload_offset 0
		.amdhsa_user_sgpr_private_segment_size 0
		.amdhsa_uses_dynamic_stack 0
		.amdhsa_enable_private_segment 0
		.amdhsa_system_sgpr_workgroup_id_x 1
		.amdhsa_system_sgpr_workgroup_id_y 0
		.amdhsa_system_sgpr_workgroup_id_z 0
		.amdhsa_system_sgpr_workgroup_info 0
		.amdhsa_system_vgpr_workitem_id 0
		.amdhsa_next_free_vgpr 1
		.amdhsa_next_free_sgpr 0
		.amdhsa_accum_offset 4
		.amdhsa_reserve_vcc 0
		.amdhsa_float_round_mode_32 0
		.amdhsa_float_round_mode_16_64 0
		.amdhsa_float_denorm_mode_32 3
		.amdhsa_float_denorm_mode_16_64 3
		.amdhsa_dx10_clamp 1
		.amdhsa_ieee_mode 1
		.amdhsa_fp16_overflow 0
		.amdhsa_tg_split 0
		.amdhsa_exception_fp_ieee_invalid_op 0
		.amdhsa_exception_fp_denorm_src 0
		.amdhsa_exception_fp_ieee_div_zero 0
		.amdhsa_exception_fp_ieee_overflow 0
		.amdhsa_exception_fp_ieee_underflow 0
		.amdhsa_exception_fp_ieee_inexact 0
		.amdhsa_exception_int_div_zero 0
	.end_amdhsa_kernel
	.section	.text._ZN7rocprim17ROCPRIM_400000_NS6detail17trampoline_kernelINS0_14default_configENS1_25partition_config_selectorILNS1_17partition_subalgoE2EtNS0_10empty_typeEbEEZZNS1_14partition_implILS5_2ELb0ES3_jN6thrust23THRUST_200600_302600_NS6detail15normal_iteratorINSA_7pointerItNSA_11hip_rocprim3tagENSA_11use_defaultESG_EEEEPS6_NSA_18transform_iteratorI7is_evenItENSC_INSA_10device_ptrItEEEESG_SG_EENS0_5tupleIJPtSJ_EEENSR_IJSJ_SJ_EEES6_PlJS6_EEE10hipError_tPvRmT3_T4_T5_T6_T7_T9_mT8_P12ihipStream_tbDpT10_ENKUlT_T0_E_clISt17integral_constantIbLb0EES1F_EEDaS1A_S1B_EUlS1A_E_NS1_11comp_targetILNS1_3genE8ELNS1_11target_archE1030ELNS1_3gpuE2ELNS1_3repE0EEENS1_30default_config_static_selectorELNS0_4arch9wavefront6targetE1EEEvT1_,"axG",@progbits,_ZN7rocprim17ROCPRIM_400000_NS6detail17trampoline_kernelINS0_14default_configENS1_25partition_config_selectorILNS1_17partition_subalgoE2EtNS0_10empty_typeEbEEZZNS1_14partition_implILS5_2ELb0ES3_jN6thrust23THRUST_200600_302600_NS6detail15normal_iteratorINSA_7pointerItNSA_11hip_rocprim3tagENSA_11use_defaultESG_EEEEPS6_NSA_18transform_iteratorI7is_evenItENSC_INSA_10device_ptrItEEEESG_SG_EENS0_5tupleIJPtSJ_EEENSR_IJSJ_SJ_EEES6_PlJS6_EEE10hipError_tPvRmT3_T4_T5_T6_T7_T9_mT8_P12ihipStream_tbDpT10_ENKUlT_T0_E_clISt17integral_constantIbLb0EES1F_EEDaS1A_S1B_EUlS1A_E_NS1_11comp_targetILNS1_3genE8ELNS1_11target_archE1030ELNS1_3gpuE2ELNS1_3repE0EEENS1_30default_config_static_selectorELNS0_4arch9wavefront6targetE1EEEvT1_,comdat
.Lfunc_end2077:
	.size	_ZN7rocprim17ROCPRIM_400000_NS6detail17trampoline_kernelINS0_14default_configENS1_25partition_config_selectorILNS1_17partition_subalgoE2EtNS0_10empty_typeEbEEZZNS1_14partition_implILS5_2ELb0ES3_jN6thrust23THRUST_200600_302600_NS6detail15normal_iteratorINSA_7pointerItNSA_11hip_rocprim3tagENSA_11use_defaultESG_EEEEPS6_NSA_18transform_iteratorI7is_evenItENSC_INSA_10device_ptrItEEEESG_SG_EENS0_5tupleIJPtSJ_EEENSR_IJSJ_SJ_EEES6_PlJS6_EEE10hipError_tPvRmT3_T4_T5_T6_T7_T9_mT8_P12ihipStream_tbDpT10_ENKUlT_T0_E_clISt17integral_constantIbLb0EES1F_EEDaS1A_S1B_EUlS1A_E_NS1_11comp_targetILNS1_3genE8ELNS1_11target_archE1030ELNS1_3gpuE2ELNS1_3repE0EEENS1_30default_config_static_selectorELNS0_4arch9wavefront6targetE1EEEvT1_, .Lfunc_end2077-_ZN7rocprim17ROCPRIM_400000_NS6detail17trampoline_kernelINS0_14default_configENS1_25partition_config_selectorILNS1_17partition_subalgoE2EtNS0_10empty_typeEbEEZZNS1_14partition_implILS5_2ELb0ES3_jN6thrust23THRUST_200600_302600_NS6detail15normal_iteratorINSA_7pointerItNSA_11hip_rocprim3tagENSA_11use_defaultESG_EEEEPS6_NSA_18transform_iteratorI7is_evenItENSC_INSA_10device_ptrItEEEESG_SG_EENS0_5tupleIJPtSJ_EEENSR_IJSJ_SJ_EEES6_PlJS6_EEE10hipError_tPvRmT3_T4_T5_T6_T7_T9_mT8_P12ihipStream_tbDpT10_ENKUlT_T0_E_clISt17integral_constantIbLb0EES1F_EEDaS1A_S1B_EUlS1A_E_NS1_11comp_targetILNS1_3genE8ELNS1_11target_archE1030ELNS1_3gpuE2ELNS1_3repE0EEENS1_30default_config_static_selectorELNS0_4arch9wavefront6targetE1EEEvT1_
                                        ; -- End function
	.section	.AMDGPU.csdata,"",@progbits
; Kernel info:
; codeLenInByte = 0
; NumSgprs: 6
; NumVgprs: 0
; NumAgprs: 0
; TotalNumVgprs: 0
; ScratchSize: 0
; MemoryBound: 0
; FloatMode: 240
; IeeeMode: 1
; LDSByteSize: 0 bytes/workgroup (compile time only)
; SGPRBlocks: 0
; VGPRBlocks: 0
; NumSGPRsForWavesPerEU: 6
; NumVGPRsForWavesPerEU: 1
; AccumOffset: 4
; Occupancy: 8
; WaveLimiterHint : 0
; COMPUTE_PGM_RSRC2:SCRATCH_EN: 0
; COMPUTE_PGM_RSRC2:USER_SGPR: 2
; COMPUTE_PGM_RSRC2:TRAP_HANDLER: 0
; COMPUTE_PGM_RSRC2:TGID_X_EN: 1
; COMPUTE_PGM_RSRC2:TGID_Y_EN: 0
; COMPUTE_PGM_RSRC2:TGID_Z_EN: 0
; COMPUTE_PGM_RSRC2:TIDIG_COMP_CNT: 0
; COMPUTE_PGM_RSRC3_GFX90A:ACCUM_OFFSET: 0
; COMPUTE_PGM_RSRC3_GFX90A:TG_SPLIT: 0
	.section	.text._ZN7rocprim17ROCPRIM_400000_NS6detail17trampoline_kernelINS0_14default_configENS1_25partition_config_selectorILNS1_17partition_subalgoE2EtNS0_10empty_typeEbEEZZNS1_14partition_implILS5_2ELb0ES3_jN6thrust23THRUST_200600_302600_NS6detail15normal_iteratorINSA_7pointerItNSA_11hip_rocprim3tagENSA_11use_defaultESG_EEEEPS6_NSA_18transform_iteratorI7is_evenItENSC_INSA_10device_ptrItEEEESG_SG_EENS0_5tupleIJPtSJ_EEENSR_IJSJ_SJ_EEES6_PlJS6_EEE10hipError_tPvRmT3_T4_T5_T6_T7_T9_mT8_P12ihipStream_tbDpT10_ENKUlT_T0_E_clISt17integral_constantIbLb1EES1F_EEDaS1A_S1B_EUlS1A_E_NS1_11comp_targetILNS1_3genE0ELNS1_11target_archE4294967295ELNS1_3gpuE0ELNS1_3repE0EEENS1_30default_config_static_selectorELNS0_4arch9wavefront6targetE1EEEvT1_,"axG",@progbits,_ZN7rocprim17ROCPRIM_400000_NS6detail17trampoline_kernelINS0_14default_configENS1_25partition_config_selectorILNS1_17partition_subalgoE2EtNS0_10empty_typeEbEEZZNS1_14partition_implILS5_2ELb0ES3_jN6thrust23THRUST_200600_302600_NS6detail15normal_iteratorINSA_7pointerItNSA_11hip_rocprim3tagENSA_11use_defaultESG_EEEEPS6_NSA_18transform_iteratorI7is_evenItENSC_INSA_10device_ptrItEEEESG_SG_EENS0_5tupleIJPtSJ_EEENSR_IJSJ_SJ_EEES6_PlJS6_EEE10hipError_tPvRmT3_T4_T5_T6_T7_T9_mT8_P12ihipStream_tbDpT10_ENKUlT_T0_E_clISt17integral_constantIbLb1EES1F_EEDaS1A_S1B_EUlS1A_E_NS1_11comp_targetILNS1_3genE0ELNS1_11target_archE4294967295ELNS1_3gpuE0ELNS1_3repE0EEENS1_30default_config_static_selectorELNS0_4arch9wavefront6targetE1EEEvT1_,comdat
	.protected	_ZN7rocprim17ROCPRIM_400000_NS6detail17trampoline_kernelINS0_14default_configENS1_25partition_config_selectorILNS1_17partition_subalgoE2EtNS0_10empty_typeEbEEZZNS1_14partition_implILS5_2ELb0ES3_jN6thrust23THRUST_200600_302600_NS6detail15normal_iteratorINSA_7pointerItNSA_11hip_rocprim3tagENSA_11use_defaultESG_EEEEPS6_NSA_18transform_iteratorI7is_evenItENSC_INSA_10device_ptrItEEEESG_SG_EENS0_5tupleIJPtSJ_EEENSR_IJSJ_SJ_EEES6_PlJS6_EEE10hipError_tPvRmT3_T4_T5_T6_T7_T9_mT8_P12ihipStream_tbDpT10_ENKUlT_T0_E_clISt17integral_constantIbLb1EES1F_EEDaS1A_S1B_EUlS1A_E_NS1_11comp_targetILNS1_3genE0ELNS1_11target_archE4294967295ELNS1_3gpuE0ELNS1_3repE0EEENS1_30default_config_static_selectorELNS0_4arch9wavefront6targetE1EEEvT1_ ; -- Begin function _ZN7rocprim17ROCPRIM_400000_NS6detail17trampoline_kernelINS0_14default_configENS1_25partition_config_selectorILNS1_17partition_subalgoE2EtNS0_10empty_typeEbEEZZNS1_14partition_implILS5_2ELb0ES3_jN6thrust23THRUST_200600_302600_NS6detail15normal_iteratorINSA_7pointerItNSA_11hip_rocprim3tagENSA_11use_defaultESG_EEEEPS6_NSA_18transform_iteratorI7is_evenItENSC_INSA_10device_ptrItEEEESG_SG_EENS0_5tupleIJPtSJ_EEENSR_IJSJ_SJ_EEES6_PlJS6_EEE10hipError_tPvRmT3_T4_T5_T6_T7_T9_mT8_P12ihipStream_tbDpT10_ENKUlT_T0_E_clISt17integral_constantIbLb1EES1F_EEDaS1A_S1B_EUlS1A_E_NS1_11comp_targetILNS1_3genE0ELNS1_11target_archE4294967295ELNS1_3gpuE0ELNS1_3repE0EEENS1_30default_config_static_selectorELNS0_4arch9wavefront6targetE1EEEvT1_
	.globl	_ZN7rocprim17ROCPRIM_400000_NS6detail17trampoline_kernelINS0_14default_configENS1_25partition_config_selectorILNS1_17partition_subalgoE2EtNS0_10empty_typeEbEEZZNS1_14partition_implILS5_2ELb0ES3_jN6thrust23THRUST_200600_302600_NS6detail15normal_iteratorINSA_7pointerItNSA_11hip_rocprim3tagENSA_11use_defaultESG_EEEEPS6_NSA_18transform_iteratorI7is_evenItENSC_INSA_10device_ptrItEEEESG_SG_EENS0_5tupleIJPtSJ_EEENSR_IJSJ_SJ_EEES6_PlJS6_EEE10hipError_tPvRmT3_T4_T5_T6_T7_T9_mT8_P12ihipStream_tbDpT10_ENKUlT_T0_E_clISt17integral_constantIbLb1EES1F_EEDaS1A_S1B_EUlS1A_E_NS1_11comp_targetILNS1_3genE0ELNS1_11target_archE4294967295ELNS1_3gpuE0ELNS1_3repE0EEENS1_30default_config_static_selectorELNS0_4arch9wavefront6targetE1EEEvT1_
	.p2align	8
	.type	_ZN7rocprim17ROCPRIM_400000_NS6detail17trampoline_kernelINS0_14default_configENS1_25partition_config_selectorILNS1_17partition_subalgoE2EtNS0_10empty_typeEbEEZZNS1_14partition_implILS5_2ELb0ES3_jN6thrust23THRUST_200600_302600_NS6detail15normal_iteratorINSA_7pointerItNSA_11hip_rocprim3tagENSA_11use_defaultESG_EEEEPS6_NSA_18transform_iteratorI7is_evenItENSC_INSA_10device_ptrItEEEESG_SG_EENS0_5tupleIJPtSJ_EEENSR_IJSJ_SJ_EEES6_PlJS6_EEE10hipError_tPvRmT3_T4_T5_T6_T7_T9_mT8_P12ihipStream_tbDpT10_ENKUlT_T0_E_clISt17integral_constantIbLb1EES1F_EEDaS1A_S1B_EUlS1A_E_NS1_11comp_targetILNS1_3genE0ELNS1_11target_archE4294967295ELNS1_3gpuE0ELNS1_3repE0EEENS1_30default_config_static_selectorELNS0_4arch9wavefront6targetE1EEEvT1_,@function
_ZN7rocprim17ROCPRIM_400000_NS6detail17trampoline_kernelINS0_14default_configENS1_25partition_config_selectorILNS1_17partition_subalgoE2EtNS0_10empty_typeEbEEZZNS1_14partition_implILS5_2ELb0ES3_jN6thrust23THRUST_200600_302600_NS6detail15normal_iteratorINSA_7pointerItNSA_11hip_rocprim3tagENSA_11use_defaultESG_EEEEPS6_NSA_18transform_iteratorI7is_evenItENSC_INSA_10device_ptrItEEEESG_SG_EENS0_5tupleIJPtSJ_EEENSR_IJSJ_SJ_EEES6_PlJS6_EEE10hipError_tPvRmT3_T4_T5_T6_T7_T9_mT8_P12ihipStream_tbDpT10_ENKUlT_T0_E_clISt17integral_constantIbLb1EES1F_EEDaS1A_S1B_EUlS1A_E_NS1_11comp_targetILNS1_3genE0ELNS1_11target_archE4294967295ELNS1_3gpuE0ELNS1_3repE0EEENS1_30default_config_static_selectorELNS0_4arch9wavefront6targetE1EEEvT1_: ; @_ZN7rocprim17ROCPRIM_400000_NS6detail17trampoline_kernelINS0_14default_configENS1_25partition_config_selectorILNS1_17partition_subalgoE2EtNS0_10empty_typeEbEEZZNS1_14partition_implILS5_2ELb0ES3_jN6thrust23THRUST_200600_302600_NS6detail15normal_iteratorINSA_7pointerItNSA_11hip_rocprim3tagENSA_11use_defaultESG_EEEEPS6_NSA_18transform_iteratorI7is_evenItENSC_INSA_10device_ptrItEEEESG_SG_EENS0_5tupleIJPtSJ_EEENSR_IJSJ_SJ_EEES6_PlJS6_EEE10hipError_tPvRmT3_T4_T5_T6_T7_T9_mT8_P12ihipStream_tbDpT10_ENKUlT_T0_E_clISt17integral_constantIbLb1EES1F_EEDaS1A_S1B_EUlS1A_E_NS1_11comp_targetILNS1_3genE0ELNS1_11target_archE4294967295ELNS1_3gpuE0ELNS1_3repE0EEENS1_30default_config_static_selectorELNS0_4arch9wavefront6targetE1EEEvT1_
; %bb.0:
	.section	.rodata,"a",@progbits
	.p2align	6, 0x0
	.amdhsa_kernel _ZN7rocprim17ROCPRIM_400000_NS6detail17trampoline_kernelINS0_14default_configENS1_25partition_config_selectorILNS1_17partition_subalgoE2EtNS0_10empty_typeEbEEZZNS1_14partition_implILS5_2ELb0ES3_jN6thrust23THRUST_200600_302600_NS6detail15normal_iteratorINSA_7pointerItNSA_11hip_rocprim3tagENSA_11use_defaultESG_EEEEPS6_NSA_18transform_iteratorI7is_evenItENSC_INSA_10device_ptrItEEEESG_SG_EENS0_5tupleIJPtSJ_EEENSR_IJSJ_SJ_EEES6_PlJS6_EEE10hipError_tPvRmT3_T4_T5_T6_T7_T9_mT8_P12ihipStream_tbDpT10_ENKUlT_T0_E_clISt17integral_constantIbLb1EES1F_EEDaS1A_S1B_EUlS1A_E_NS1_11comp_targetILNS1_3genE0ELNS1_11target_archE4294967295ELNS1_3gpuE0ELNS1_3repE0EEENS1_30default_config_static_selectorELNS0_4arch9wavefront6targetE1EEEvT1_
		.amdhsa_group_segment_fixed_size 0
		.amdhsa_private_segment_fixed_size 0
		.amdhsa_kernarg_size 144
		.amdhsa_user_sgpr_count 2
		.amdhsa_user_sgpr_dispatch_ptr 0
		.amdhsa_user_sgpr_queue_ptr 0
		.amdhsa_user_sgpr_kernarg_segment_ptr 1
		.amdhsa_user_sgpr_dispatch_id 0
		.amdhsa_user_sgpr_kernarg_preload_length 0
		.amdhsa_user_sgpr_kernarg_preload_offset 0
		.amdhsa_user_sgpr_private_segment_size 0
		.amdhsa_uses_dynamic_stack 0
		.amdhsa_enable_private_segment 0
		.amdhsa_system_sgpr_workgroup_id_x 1
		.amdhsa_system_sgpr_workgroup_id_y 0
		.amdhsa_system_sgpr_workgroup_id_z 0
		.amdhsa_system_sgpr_workgroup_info 0
		.amdhsa_system_vgpr_workitem_id 0
		.amdhsa_next_free_vgpr 1
		.amdhsa_next_free_sgpr 0
		.amdhsa_accum_offset 4
		.amdhsa_reserve_vcc 0
		.amdhsa_float_round_mode_32 0
		.amdhsa_float_round_mode_16_64 0
		.amdhsa_float_denorm_mode_32 3
		.amdhsa_float_denorm_mode_16_64 3
		.amdhsa_dx10_clamp 1
		.amdhsa_ieee_mode 1
		.amdhsa_fp16_overflow 0
		.amdhsa_tg_split 0
		.amdhsa_exception_fp_ieee_invalid_op 0
		.amdhsa_exception_fp_denorm_src 0
		.amdhsa_exception_fp_ieee_div_zero 0
		.amdhsa_exception_fp_ieee_overflow 0
		.amdhsa_exception_fp_ieee_underflow 0
		.amdhsa_exception_fp_ieee_inexact 0
		.amdhsa_exception_int_div_zero 0
	.end_amdhsa_kernel
	.section	.text._ZN7rocprim17ROCPRIM_400000_NS6detail17trampoline_kernelINS0_14default_configENS1_25partition_config_selectorILNS1_17partition_subalgoE2EtNS0_10empty_typeEbEEZZNS1_14partition_implILS5_2ELb0ES3_jN6thrust23THRUST_200600_302600_NS6detail15normal_iteratorINSA_7pointerItNSA_11hip_rocprim3tagENSA_11use_defaultESG_EEEEPS6_NSA_18transform_iteratorI7is_evenItENSC_INSA_10device_ptrItEEEESG_SG_EENS0_5tupleIJPtSJ_EEENSR_IJSJ_SJ_EEES6_PlJS6_EEE10hipError_tPvRmT3_T4_T5_T6_T7_T9_mT8_P12ihipStream_tbDpT10_ENKUlT_T0_E_clISt17integral_constantIbLb1EES1F_EEDaS1A_S1B_EUlS1A_E_NS1_11comp_targetILNS1_3genE0ELNS1_11target_archE4294967295ELNS1_3gpuE0ELNS1_3repE0EEENS1_30default_config_static_selectorELNS0_4arch9wavefront6targetE1EEEvT1_,"axG",@progbits,_ZN7rocprim17ROCPRIM_400000_NS6detail17trampoline_kernelINS0_14default_configENS1_25partition_config_selectorILNS1_17partition_subalgoE2EtNS0_10empty_typeEbEEZZNS1_14partition_implILS5_2ELb0ES3_jN6thrust23THRUST_200600_302600_NS6detail15normal_iteratorINSA_7pointerItNSA_11hip_rocprim3tagENSA_11use_defaultESG_EEEEPS6_NSA_18transform_iteratorI7is_evenItENSC_INSA_10device_ptrItEEEESG_SG_EENS0_5tupleIJPtSJ_EEENSR_IJSJ_SJ_EEES6_PlJS6_EEE10hipError_tPvRmT3_T4_T5_T6_T7_T9_mT8_P12ihipStream_tbDpT10_ENKUlT_T0_E_clISt17integral_constantIbLb1EES1F_EEDaS1A_S1B_EUlS1A_E_NS1_11comp_targetILNS1_3genE0ELNS1_11target_archE4294967295ELNS1_3gpuE0ELNS1_3repE0EEENS1_30default_config_static_selectorELNS0_4arch9wavefront6targetE1EEEvT1_,comdat
.Lfunc_end2078:
	.size	_ZN7rocprim17ROCPRIM_400000_NS6detail17trampoline_kernelINS0_14default_configENS1_25partition_config_selectorILNS1_17partition_subalgoE2EtNS0_10empty_typeEbEEZZNS1_14partition_implILS5_2ELb0ES3_jN6thrust23THRUST_200600_302600_NS6detail15normal_iteratorINSA_7pointerItNSA_11hip_rocprim3tagENSA_11use_defaultESG_EEEEPS6_NSA_18transform_iteratorI7is_evenItENSC_INSA_10device_ptrItEEEESG_SG_EENS0_5tupleIJPtSJ_EEENSR_IJSJ_SJ_EEES6_PlJS6_EEE10hipError_tPvRmT3_T4_T5_T6_T7_T9_mT8_P12ihipStream_tbDpT10_ENKUlT_T0_E_clISt17integral_constantIbLb1EES1F_EEDaS1A_S1B_EUlS1A_E_NS1_11comp_targetILNS1_3genE0ELNS1_11target_archE4294967295ELNS1_3gpuE0ELNS1_3repE0EEENS1_30default_config_static_selectorELNS0_4arch9wavefront6targetE1EEEvT1_, .Lfunc_end2078-_ZN7rocprim17ROCPRIM_400000_NS6detail17trampoline_kernelINS0_14default_configENS1_25partition_config_selectorILNS1_17partition_subalgoE2EtNS0_10empty_typeEbEEZZNS1_14partition_implILS5_2ELb0ES3_jN6thrust23THRUST_200600_302600_NS6detail15normal_iteratorINSA_7pointerItNSA_11hip_rocprim3tagENSA_11use_defaultESG_EEEEPS6_NSA_18transform_iteratorI7is_evenItENSC_INSA_10device_ptrItEEEESG_SG_EENS0_5tupleIJPtSJ_EEENSR_IJSJ_SJ_EEES6_PlJS6_EEE10hipError_tPvRmT3_T4_T5_T6_T7_T9_mT8_P12ihipStream_tbDpT10_ENKUlT_T0_E_clISt17integral_constantIbLb1EES1F_EEDaS1A_S1B_EUlS1A_E_NS1_11comp_targetILNS1_3genE0ELNS1_11target_archE4294967295ELNS1_3gpuE0ELNS1_3repE0EEENS1_30default_config_static_selectorELNS0_4arch9wavefront6targetE1EEEvT1_
                                        ; -- End function
	.section	.AMDGPU.csdata,"",@progbits
; Kernel info:
; codeLenInByte = 0
; NumSgprs: 6
; NumVgprs: 0
; NumAgprs: 0
; TotalNumVgprs: 0
; ScratchSize: 0
; MemoryBound: 0
; FloatMode: 240
; IeeeMode: 1
; LDSByteSize: 0 bytes/workgroup (compile time only)
; SGPRBlocks: 0
; VGPRBlocks: 0
; NumSGPRsForWavesPerEU: 6
; NumVGPRsForWavesPerEU: 1
; AccumOffset: 4
; Occupancy: 8
; WaveLimiterHint : 0
; COMPUTE_PGM_RSRC2:SCRATCH_EN: 0
; COMPUTE_PGM_RSRC2:USER_SGPR: 2
; COMPUTE_PGM_RSRC2:TRAP_HANDLER: 0
; COMPUTE_PGM_RSRC2:TGID_X_EN: 1
; COMPUTE_PGM_RSRC2:TGID_Y_EN: 0
; COMPUTE_PGM_RSRC2:TGID_Z_EN: 0
; COMPUTE_PGM_RSRC2:TIDIG_COMP_CNT: 0
; COMPUTE_PGM_RSRC3_GFX90A:ACCUM_OFFSET: 0
; COMPUTE_PGM_RSRC3_GFX90A:TG_SPLIT: 0
	.section	.text._ZN7rocprim17ROCPRIM_400000_NS6detail17trampoline_kernelINS0_14default_configENS1_25partition_config_selectorILNS1_17partition_subalgoE2EtNS0_10empty_typeEbEEZZNS1_14partition_implILS5_2ELb0ES3_jN6thrust23THRUST_200600_302600_NS6detail15normal_iteratorINSA_7pointerItNSA_11hip_rocprim3tagENSA_11use_defaultESG_EEEEPS6_NSA_18transform_iteratorI7is_evenItENSC_INSA_10device_ptrItEEEESG_SG_EENS0_5tupleIJPtSJ_EEENSR_IJSJ_SJ_EEES6_PlJS6_EEE10hipError_tPvRmT3_T4_T5_T6_T7_T9_mT8_P12ihipStream_tbDpT10_ENKUlT_T0_E_clISt17integral_constantIbLb1EES1F_EEDaS1A_S1B_EUlS1A_E_NS1_11comp_targetILNS1_3genE5ELNS1_11target_archE942ELNS1_3gpuE9ELNS1_3repE0EEENS1_30default_config_static_selectorELNS0_4arch9wavefront6targetE1EEEvT1_,"axG",@progbits,_ZN7rocprim17ROCPRIM_400000_NS6detail17trampoline_kernelINS0_14default_configENS1_25partition_config_selectorILNS1_17partition_subalgoE2EtNS0_10empty_typeEbEEZZNS1_14partition_implILS5_2ELb0ES3_jN6thrust23THRUST_200600_302600_NS6detail15normal_iteratorINSA_7pointerItNSA_11hip_rocprim3tagENSA_11use_defaultESG_EEEEPS6_NSA_18transform_iteratorI7is_evenItENSC_INSA_10device_ptrItEEEESG_SG_EENS0_5tupleIJPtSJ_EEENSR_IJSJ_SJ_EEES6_PlJS6_EEE10hipError_tPvRmT3_T4_T5_T6_T7_T9_mT8_P12ihipStream_tbDpT10_ENKUlT_T0_E_clISt17integral_constantIbLb1EES1F_EEDaS1A_S1B_EUlS1A_E_NS1_11comp_targetILNS1_3genE5ELNS1_11target_archE942ELNS1_3gpuE9ELNS1_3repE0EEENS1_30default_config_static_selectorELNS0_4arch9wavefront6targetE1EEEvT1_,comdat
	.protected	_ZN7rocprim17ROCPRIM_400000_NS6detail17trampoline_kernelINS0_14default_configENS1_25partition_config_selectorILNS1_17partition_subalgoE2EtNS0_10empty_typeEbEEZZNS1_14partition_implILS5_2ELb0ES3_jN6thrust23THRUST_200600_302600_NS6detail15normal_iteratorINSA_7pointerItNSA_11hip_rocprim3tagENSA_11use_defaultESG_EEEEPS6_NSA_18transform_iteratorI7is_evenItENSC_INSA_10device_ptrItEEEESG_SG_EENS0_5tupleIJPtSJ_EEENSR_IJSJ_SJ_EEES6_PlJS6_EEE10hipError_tPvRmT3_T4_T5_T6_T7_T9_mT8_P12ihipStream_tbDpT10_ENKUlT_T0_E_clISt17integral_constantIbLb1EES1F_EEDaS1A_S1B_EUlS1A_E_NS1_11comp_targetILNS1_3genE5ELNS1_11target_archE942ELNS1_3gpuE9ELNS1_3repE0EEENS1_30default_config_static_selectorELNS0_4arch9wavefront6targetE1EEEvT1_ ; -- Begin function _ZN7rocprim17ROCPRIM_400000_NS6detail17trampoline_kernelINS0_14default_configENS1_25partition_config_selectorILNS1_17partition_subalgoE2EtNS0_10empty_typeEbEEZZNS1_14partition_implILS5_2ELb0ES3_jN6thrust23THRUST_200600_302600_NS6detail15normal_iteratorINSA_7pointerItNSA_11hip_rocprim3tagENSA_11use_defaultESG_EEEEPS6_NSA_18transform_iteratorI7is_evenItENSC_INSA_10device_ptrItEEEESG_SG_EENS0_5tupleIJPtSJ_EEENSR_IJSJ_SJ_EEES6_PlJS6_EEE10hipError_tPvRmT3_T4_T5_T6_T7_T9_mT8_P12ihipStream_tbDpT10_ENKUlT_T0_E_clISt17integral_constantIbLb1EES1F_EEDaS1A_S1B_EUlS1A_E_NS1_11comp_targetILNS1_3genE5ELNS1_11target_archE942ELNS1_3gpuE9ELNS1_3repE0EEENS1_30default_config_static_selectorELNS0_4arch9wavefront6targetE1EEEvT1_
	.globl	_ZN7rocprim17ROCPRIM_400000_NS6detail17trampoline_kernelINS0_14default_configENS1_25partition_config_selectorILNS1_17partition_subalgoE2EtNS0_10empty_typeEbEEZZNS1_14partition_implILS5_2ELb0ES3_jN6thrust23THRUST_200600_302600_NS6detail15normal_iteratorINSA_7pointerItNSA_11hip_rocprim3tagENSA_11use_defaultESG_EEEEPS6_NSA_18transform_iteratorI7is_evenItENSC_INSA_10device_ptrItEEEESG_SG_EENS0_5tupleIJPtSJ_EEENSR_IJSJ_SJ_EEES6_PlJS6_EEE10hipError_tPvRmT3_T4_T5_T6_T7_T9_mT8_P12ihipStream_tbDpT10_ENKUlT_T0_E_clISt17integral_constantIbLb1EES1F_EEDaS1A_S1B_EUlS1A_E_NS1_11comp_targetILNS1_3genE5ELNS1_11target_archE942ELNS1_3gpuE9ELNS1_3repE0EEENS1_30default_config_static_selectorELNS0_4arch9wavefront6targetE1EEEvT1_
	.p2align	8
	.type	_ZN7rocprim17ROCPRIM_400000_NS6detail17trampoline_kernelINS0_14default_configENS1_25partition_config_selectorILNS1_17partition_subalgoE2EtNS0_10empty_typeEbEEZZNS1_14partition_implILS5_2ELb0ES3_jN6thrust23THRUST_200600_302600_NS6detail15normal_iteratorINSA_7pointerItNSA_11hip_rocprim3tagENSA_11use_defaultESG_EEEEPS6_NSA_18transform_iteratorI7is_evenItENSC_INSA_10device_ptrItEEEESG_SG_EENS0_5tupleIJPtSJ_EEENSR_IJSJ_SJ_EEES6_PlJS6_EEE10hipError_tPvRmT3_T4_T5_T6_T7_T9_mT8_P12ihipStream_tbDpT10_ENKUlT_T0_E_clISt17integral_constantIbLb1EES1F_EEDaS1A_S1B_EUlS1A_E_NS1_11comp_targetILNS1_3genE5ELNS1_11target_archE942ELNS1_3gpuE9ELNS1_3repE0EEENS1_30default_config_static_selectorELNS0_4arch9wavefront6targetE1EEEvT1_,@function
_ZN7rocprim17ROCPRIM_400000_NS6detail17trampoline_kernelINS0_14default_configENS1_25partition_config_selectorILNS1_17partition_subalgoE2EtNS0_10empty_typeEbEEZZNS1_14partition_implILS5_2ELb0ES3_jN6thrust23THRUST_200600_302600_NS6detail15normal_iteratorINSA_7pointerItNSA_11hip_rocprim3tagENSA_11use_defaultESG_EEEEPS6_NSA_18transform_iteratorI7is_evenItENSC_INSA_10device_ptrItEEEESG_SG_EENS0_5tupleIJPtSJ_EEENSR_IJSJ_SJ_EEES6_PlJS6_EEE10hipError_tPvRmT3_T4_T5_T6_T7_T9_mT8_P12ihipStream_tbDpT10_ENKUlT_T0_E_clISt17integral_constantIbLb1EES1F_EEDaS1A_S1B_EUlS1A_E_NS1_11comp_targetILNS1_3genE5ELNS1_11target_archE942ELNS1_3gpuE9ELNS1_3repE0EEENS1_30default_config_static_selectorELNS0_4arch9wavefront6targetE1EEEvT1_: ; @_ZN7rocprim17ROCPRIM_400000_NS6detail17trampoline_kernelINS0_14default_configENS1_25partition_config_selectorILNS1_17partition_subalgoE2EtNS0_10empty_typeEbEEZZNS1_14partition_implILS5_2ELb0ES3_jN6thrust23THRUST_200600_302600_NS6detail15normal_iteratorINSA_7pointerItNSA_11hip_rocprim3tagENSA_11use_defaultESG_EEEEPS6_NSA_18transform_iteratorI7is_evenItENSC_INSA_10device_ptrItEEEESG_SG_EENS0_5tupleIJPtSJ_EEENSR_IJSJ_SJ_EEES6_PlJS6_EEE10hipError_tPvRmT3_T4_T5_T6_T7_T9_mT8_P12ihipStream_tbDpT10_ENKUlT_T0_E_clISt17integral_constantIbLb1EES1F_EEDaS1A_S1B_EUlS1A_E_NS1_11comp_targetILNS1_3genE5ELNS1_11target_archE942ELNS1_3gpuE9ELNS1_3repE0EEENS1_30default_config_static_selectorELNS0_4arch9wavefront6targetE1EEEvT1_
; %bb.0:
	s_load_dwordx2 s[2:3], s[0:1], 0x20
	s_load_dwordx2 s[28:29], s[0:1], 0x30
	;; [unrolled: 1-line block ×3, first 2 shown]
	s_load_dwordx4 s[20:23], s[0:1], 0x50
	s_load_dwordx2 s[36:37], s[0:1], 0x70
	v_cmp_eq_u32_e64 s[18:19], 0, v0
	s_and_saveexec_b64 s[4:5], s[18:19]
	s_cbranch_execz .LBB2079_4
; %bb.1:
	s_mov_b64 s[8:9], exec
	v_mbcnt_lo_u32_b32 v1, s8, 0
	v_mbcnt_hi_u32_b32 v1, s9, v1
	v_cmp_eq_u32_e32 vcc, 0, v1
                                        ; implicit-def: $vgpr2
	s_and_saveexec_b64 s[6:7], vcc
	s_cbranch_execz .LBB2079_3
; %bb.2:
	s_load_dwordx2 s[10:11], s[0:1], 0x80
	s_bcnt1_i32_b64 s8, s[8:9]
	v_mov_b32_e32 v2, 0
	v_mov_b32_e32 v3, s8
	s_waitcnt lgkmcnt(0)
	global_atomic_add v2, v2, v3, s[10:11] sc0
.LBB2079_3:
	s_or_b64 exec, exec, s[6:7]
	s_waitcnt vmcnt(0)
	v_readfirstlane_b32 s6, v2
	v_mov_b32_e32 v2, 0
	s_nop 0
	v_add_u32_e32 v1, s6, v1
	ds_write_b32 v2, v1
.LBB2079_4:
	s_or_b64 exec, exec, s[4:5]
	v_mov_b32_e32 v13, 0
	s_load_dwordx4 s[24:27], s[0:1], 0x8
	s_load_dword s6, s[0:1], 0x78
	s_waitcnt lgkmcnt(0)
	s_barrier
	ds_read_b32 v1, v13
	s_waitcnt lgkmcnt(0)
	s_barrier
	global_load_dwordx2 v[14:15], v13, s[22:23]
	s_lshl_b64 s[4:5], s[26:27], 1
	s_add_u32 s8, s24, s4
	s_mul_i32 s0, s6, 0x3c00
	s_addc_u32 s9, s25, s5
	s_add_i32 s1, s0, s26
	s_sub_i32 s33, s30, s1
	s_add_i32 s7, s6, -1
	s_addk_i32 s33, 0x3c00
	s_add_u32 s0, s26, s0
	v_readfirstlane_b32 s42, v1
	s_addc_u32 s1, s27, 0
	s_cmp_eq_u32 s42, s7
	v_mov_b64_e32 v[2:3], s[30:31]
	s_cselect_b64 s[22:23], -1, 0
	s_cmp_lg_u32 s42, s7
	s_mul_i32 s24, s42, 0x3c00
	s_mov_b32 s25, 0
	v_cmp_lt_u64_e32 vcc, s[0:1], v[2:3]
	s_cselect_b64 s[0:1], -1, 0
	s_or_b64 s[34:35], vcc, s[0:1]
	s_lshl_b64 s[6:7], s[24:25], 1
	s_add_u32 s8, s8, s6
	s_addc_u32 s9, s9, s7
	s_mov_b64 s[0:1], -1
	s_and_b64 vcc, exec, s[34:35]
	v_lshlrev_b32_e32 v12, 1, v0
	s_cbranch_vccz .LBB2079_6
; %bb.5:
	v_lshl_add_u64 v[2:3], s[8:9], 0, v[12:13]
	v_add_co_u32_e32 v4, vcc, 0x1000, v2
	s_mov_b64 s[0:1], 0
	s_nop 0
	v_addc_co_u32_e32 v5, vcc, 0, v3, vcc
	flat_load_ushort v1, v[2:3]
	flat_load_ushort v8, v[2:3] offset:1024
	flat_load_ushort v9, v[2:3] offset:2048
	flat_load_ushort v10, v[2:3] offset:3072
	flat_load_ushort v11, v[4:5]
	flat_load_ushort v13, v[4:5] offset:1024
	flat_load_ushort v16, v[4:5] offset:2048
	flat_load_ushort v17, v[4:5] offset:3072
	v_add_co_u32_e32 v4, vcc, 0x2000, v2
	s_nop 1
	v_addc_co_u32_e32 v5, vcc, 0, v3, vcc
	v_add_co_u32_e32 v6, vcc, 0x3000, v2
	s_nop 1
	v_addc_co_u32_e32 v7, vcc, 0, v3, vcc
	flat_load_ushort v18, v[4:5]
	flat_load_ushort v19, v[4:5] offset:1024
	flat_load_ushort v20, v[4:5] offset:2048
	flat_load_ushort v21, v[4:5] offset:3072
	flat_load_ushort v22, v[6:7]
	flat_load_ushort v23, v[6:7] offset:1024
	flat_load_ushort v24, v[6:7] offset:2048
	flat_load_ushort v25, v[6:7] offset:3072
	v_add_co_u32_e32 v4, vcc, 0x4000, v2
	s_nop 1
	v_addc_co_u32_e32 v5, vcc, 0, v3, vcc
	v_add_co_u32_e32 v6, vcc, 0x5000, v2
	;; [unrolled: 14-line block ×3, first 2 shown]
	s_nop 1
	v_addc_co_u32_e32 v3, vcc, 0, v3, vcc
	flat_load_ushort v6, v[4:5]
	flat_load_ushort v7, v[4:5] offset:1024
	flat_load_ushort v34, v[4:5] offset:2048
	flat_load_ushort v35, v[4:5] offset:3072
	flat_load_ushort v36, v[2:3]
	flat_load_ushort v37, v[2:3] offset:1024
	s_waitcnt vmcnt(0) lgkmcnt(0)
	ds_write_b16 v12, v1
	ds_write_b16 v12, v8 offset:1024
	ds_write_b16 v12, v9 offset:2048
	;; [unrolled: 1-line block ×29, first 2 shown]
	s_waitcnt lgkmcnt(0)
	s_barrier
.LBB2079_6:
	s_andn2_b64 vcc, exec, s[0:1]
	v_cmp_gt_u32_e64 s[0:1], s33, v0
	s_cbranch_vccnz .LBB2079_68
; %bb.7:
                                        ; implicit-def: $vgpr1
	s_and_saveexec_b64 s[10:11], s[0:1]
	s_cbranch_execz .LBB2079_9
; %bb.8:
	v_mov_b32_e32 v13, 0
	v_lshl_add_u64 v[2:3], s[8:9], 0, v[12:13]
	flat_load_ushort v1, v[2:3]
.LBB2079_9:
	s_or_b64 exec, exec, s[10:11]
	v_or_b32_e32 v2, 0x200, v0
	v_cmp_gt_u32_e32 vcc, s33, v2
                                        ; implicit-def: $vgpr2
	s_and_saveexec_b64 s[0:1], vcc
	s_cbranch_execz .LBB2079_11
; %bb.10:
	v_mov_b32_e32 v13, 0
	v_lshl_add_u64 v[2:3], s[8:9], 0, v[12:13]
	flat_load_ushort v2, v[2:3] offset:1024
.LBB2079_11:
	s_or_b64 exec, exec, s[0:1]
	v_or_b32_e32 v3, 0x400, v0
	v_cmp_gt_u32_e32 vcc, s33, v3
                                        ; implicit-def: $vgpr3
	s_and_saveexec_b64 s[0:1], vcc
	s_cbranch_execz .LBB2079_13
; %bb.12:
	v_mov_b32_e32 v13, 0
	v_lshl_add_u64 v[4:5], s[8:9], 0, v[12:13]
	flat_load_ushort v3, v[4:5] offset:2048
.LBB2079_13:
	s_or_b64 exec, exec, s[0:1]
	v_or_b32_e32 v4, 0x600, v0
	v_cmp_gt_u32_e32 vcc, s33, v4
                                        ; implicit-def: $vgpr4
	s_and_saveexec_b64 s[0:1], vcc
	s_cbranch_execz .LBB2079_15
; %bb.14:
	v_mov_b32_e32 v13, 0
	v_lshl_add_u64 v[4:5], s[8:9], 0, v[12:13]
	flat_load_ushort v4, v[4:5] offset:3072
.LBB2079_15:
	s_or_b64 exec, exec, s[0:1]
	v_or_b32_e32 v6, 0x800, v0
	v_cmp_gt_u32_e32 vcc, s33, v6
                                        ; implicit-def: $vgpr5
	s_and_saveexec_b64 s[0:1], vcc
	s_cbranch_execz .LBB2079_17
; %bb.16:
	v_lshlrev_b32_e32 v6, 1, v6
	v_mov_b32_e32 v7, 0
	v_lshl_add_u64 v[6:7], s[8:9], 0, v[6:7]
	flat_load_ushort v5, v[6:7]
.LBB2079_17:
	s_or_b64 exec, exec, s[0:1]
	v_or_b32_e32 v7, 0xa00, v0
	v_cmp_gt_u32_e32 vcc, s33, v7
                                        ; implicit-def: $vgpr6
	s_and_saveexec_b64 s[0:1], vcc
	s_cbranch_execz .LBB2079_19
; %bb.18:
	v_lshlrev_b32_e32 v6, 1, v7
	v_mov_b32_e32 v7, 0
	v_lshl_add_u64 v[6:7], s[8:9], 0, v[6:7]
	flat_load_ushort v6, v[6:7]
.LBB2079_19:
	s_or_b64 exec, exec, s[0:1]
	v_or_b32_e32 v8, 0xc00, v0
	v_cmp_gt_u32_e32 vcc, s33, v8
                                        ; implicit-def: $vgpr7
	s_and_saveexec_b64 s[0:1], vcc
	s_cbranch_execz .LBB2079_21
; %bb.20:
	v_lshlrev_b32_e32 v8, 1, v8
	v_mov_b32_e32 v9, 0
	v_lshl_add_u64 v[8:9], s[8:9], 0, v[8:9]
	flat_load_ushort v7, v[8:9]
.LBB2079_21:
	s_or_b64 exec, exec, s[0:1]
	v_or_b32_e32 v9, 0xe00, v0
	v_cmp_gt_u32_e32 vcc, s33, v9
                                        ; implicit-def: $vgpr8
	s_and_saveexec_b64 s[0:1], vcc
	s_cbranch_execz .LBB2079_23
; %bb.22:
	v_lshlrev_b32_e32 v8, 1, v9
	v_mov_b32_e32 v9, 0
	v_lshl_add_u64 v[8:9], s[8:9], 0, v[8:9]
	flat_load_ushort v8, v[8:9]
.LBB2079_23:
	s_or_b64 exec, exec, s[0:1]
	v_or_b32_e32 v10, 0x1000, v0
	v_cmp_gt_u32_e32 vcc, s33, v10
                                        ; implicit-def: $vgpr9
	s_and_saveexec_b64 s[0:1], vcc
	s_cbranch_execz .LBB2079_25
; %bb.24:
	v_lshlrev_b32_e32 v10, 1, v10
	v_mov_b32_e32 v11, 0
	v_lshl_add_u64 v[10:11], s[8:9], 0, v[10:11]
	flat_load_ushort v9, v[10:11]
.LBB2079_25:
	s_or_b64 exec, exec, s[0:1]
	v_or_b32_e32 v11, 0x1200, v0
	v_cmp_gt_u32_e32 vcc, s33, v11
                                        ; implicit-def: $vgpr10
	s_and_saveexec_b64 s[0:1], vcc
	s_cbranch_execz .LBB2079_27
; %bb.26:
	v_lshlrev_b32_e32 v10, 1, v11
	v_mov_b32_e32 v11, 0
	v_lshl_add_u64 v[10:11], s[8:9], 0, v[10:11]
	flat_load_ushort v10, v[10:11]
.LBB2079_27:
	s_or_b64 exec, exec, s[0:1]
	v_or_b32_e32 v13, 0x1400, v0
	v_cmp_gt_u32_e32 vcc, s33, v13
                                        ; implicit-def: $vgpr11
	s_and_saveexec_b64 s[0:1], vcc
	s_cbranch_execz .LBB2079_29
; %bb.28:
	v_lshlrev_b32_e32 v16, 1, v13
	v_mov_b32_e32 v17, 0
	v_lshl_add_u64 v[16:17], s[8:9], 0, v[16:17]
	flat_load_ushort v11, v[16:17]
.LBB2079_29:
	s_or_b64 exec, exec, s[0:1]
	v_or_b32_e32 v16, 0x1600, v0
	v_cmp_gt_u32_e32 vcc, s33, v16
                                        ; implicit-def: $vgpr13
	s_and_saveexec_b64 s[0:1], vcc
	s_cbranch_execz .LBB2079_31
; %bb.30:
	v_lshlrev_b32_e32 v16, 1, v16
	v_mov_b32_e32 v17, 0
	v_lshl_add_u64 v[16:17], s[8:9], 0, v[16:17]
	flat_load_ushort v13, v[16:17]
.LBB2079_31:
	s_or_b64 exec, exec, s[0:1]
	v_or_b32_e32 v17, 0x1800, v0
	v_cmp_gt_u32_e32 vcc, s33, v17
                                        ; implicit-def: $vgpr16
	s_and_saveexec_b64 s[0:1], vcc
	s_cbranch_execz .LBB2079_33
; %bb.32:
	v_lshlrev_b32_e32 v16, 1, v17
	v_mov_b32_e32 v17, 0
	v_lshl_add_u64 v[16:17], s[8:9], 0, v[16:17]
	flat_load_ushort v16, v[16:17]
.LBB2079_33:
	s_or_b64 exec, exec, s[0:1]
	v_or_b32_e32 v18, 0x1a00, v0
	v_cmp_gt_u32_e32 vcc, s33, v18
                                        ; implicit-def: $vgpr17
	s_and_saveexec_b64 s[0:1], vcc
	s_cbranch_execz .LBB2079_35
; %bb.34:
	v_lshlrev_b32_e32 v18, 1, v18
	v_mov_b32_e32 v19, 0
	v_lshl_add_u64 v[18:19], s[8:9], 0, v[18:19]
	flat_load_ushort v17, v[18:19]
.LBB2079_35:
	s_or_b64 exec, exec, s[0:1]
	v_or_b32_e32 v19, 0x1c00, v0
	v_cmp_gt_u32_e32 vcc, s33, v19
                                        ; implicit-def: $vgpr18
	s_and_saveexec_b64 s[0:1], vcc
	s_cbranch_execz .LBB2079_37
; %bb.36:
	v_lshlrev_b32_e32 v18, 1, v19
	v_mov_b32_e32 v19, 0
	v_lshl_add_u64 v[18:19], s[8:9], 0, v[18:19]
	flat_load_ushort v18, v[18:19]
.LBB2079_37:
	s_or_b64 exec, exec, s[0:1]
	v_or_b32_e32 v20, 0x1e00, v0
	v_cmp_gt_u32_e32 vcc, s33, v20
                                        ; implicit-def: $vgpr19
	s_and_saveexec_b64 s[0:1], vcc
	s_cbranch_execz .LBB2079_39
; %bb.38:
	v_lshlrev_b32_e32 v20, 1, v20
	v_mov_b32_e32 v21, 0
	v_lshl_add_u64 v[20:21], s[8:9], 0, v[20:21]
	flat_load_ushort v19, v[20:21]
.LBB2079_39:
	s_or_b64 exec, exec, s[0:1]
	v_or_b32_e32 v21, 0x2000, v0
	v_cmp_gt_u32_e32 vcc, s33, v21
                                        ; implicit-def: $vgpr20
	s_and_saveexec_b64 s[0:1], vcc
	s_cbranch_execz .LBB2079_41
; %bb.40:
	v_lshlrev_b32_e32 v20, 1, v21
	v_mov_b32_e32 v21, 0
	v_lshl_add_u64 v[20:21], s[8:9], 0, v[20:21]
	flat_load_ushort v20, v[20:21]
.LBB2079_41:
	s_or_b64 exec, exec, s[0:1]
	v_or_b32_e32 v22, 0x2200, v0
	v_cmp_gt_u32_e32 vcc, s33, v22
                                        ; implicit-def: $vgpr21
	s_and_saveexec_b64 s[0:1], vcc
	s_cbranch_execz .LBB2079_43
; %bb.42:
	v_lshlrev_b32_e32 v22, 1, v22
	v_mov_b32_e32 v23, 0
	v_lshl_add_u64 v[22:23], s[8:9], 0, v[22:23]
	flat_load_ushort v21, v[22:23]
.LBB2079_43:
	s_or_b64 exec, exec, s[0:1]
	v_or_b32_e32 v23, 0x2400, v0
	v_cmp_gt_u32_e32 vcc, s33, v23
                                        ; implicit-def: $vgpr22
	s_and_saveexec_b64 s[0:1], vcc
	s_cbranch_execz .LBB2079_45
; %bb.44:
	v_lshlrev_b32_e32 v22, 1, v23
	v_mov_b32_e32 v23, 0
	v_lshl_add_u64 v[22:23], s[8:9], 0, v[22:23]
	flat_load_ushort v22, v[22:23]
.LBB2079_45:
	s_or_b64 exec, exec, s[0:1]
	v_or_b32_e32 v24, 0x2600, v0
	v_cmp_gt_u32_e32 vcc, s33, v24
                                        ; implicit-def: $vgpr23
	s_and_saveexec_b64 s[0:1], vcc
	s_cbranch_execz .LBB2079_47
; %bb.46:
	v_lshlrev_b32_e32 v24, 1, v24
	v_mov_b32_e32 v25, 0
	v_lshl_add_u64 v[24:25], s[8:9], 0, v[24:25]
	flat_load_ushort v23, v[24:25]
.LBB2079_47:
	s_or_b64 exec, exec, s[0:1]
	v_or_b32_e32 v25, 0x2800, v0
	v_cmp_gt_u32_e32 vcc, s33, v25
                                        ; implicit-def: $vgpr24
	s_and_saveexec_b64 s[0:1], vcc
	s_cbranch_execz .LBB2079_49
; %bb.48:
	v_lshlrev_b32_e32 v24, 1, v25
	v_mov_b32_e32 v25, 0
	v_lshl_add_u64 v[24:25], s[8:9], 0, v[24:25]
	flat_load_ushort v24, v[24:25]
.LBB2079_49:
	s_or_b64 exec, exec, s[0:1]
	v_or_b32_e32 v26, 0x2a00, v0
	v_cmp_gt_u32_e32 vcc, s33, v26
                                        ; implicit-def: $vgpr25
	s_and_saveexec_b64 s[0:1], vcc
	s_cbranch_execz .LBB2079_51
; %bb.50:
	v_lshlrev_b32_e32 v26, 1, v26
	v_mov_b32_e32 v27, 0
	v_lshl_add_u64 v[26:27], s[8:9], 0, v[26:27]
	flat_load_ushort v25, v[26:27]
.LBB2079_51:
	s_or_b64 exec, exec, s[0:1]
	v_or_b32_e32 v27, 0x2c00, v0
	v_cmp_gt_u32_e32 vcc, s33, v27
                                        ; implicit-def: $vgpr26
	s_and_saveexec_b64 s[0:1], vcc
	s_cbranch_execz .LBB2079_53
; %bb.52:
	v_lshlrev_b32_e32 v26, 1, v27
	v_mov_b32_e32 v27, 0
	v_lshl_add_u64 v[26:27], s[8:9], 0, v[26:27]
	flat_load_ushort v26, v[26:27]
.LBB2079_53:
	s_or_b64 exec, exec, s[0:1]
	v_or_b32_e32 v28, 0x2e00, v0
	v_cmp_gt_u32_e32 vcc, s33, v28
                                        ; implicit-def: $vgpr27
	s_and_saveexec_b64 s[0:1], vcc
	s_cbranch_execz .LBB2079_55
; %bb.54:
	v_lshlrev_b32_e32 v28, 1, v28
	v_mov_b32_e32 v29, 0
	v_lshl_add_u64 v[28:29], s[8:9], 0, v[28:29]
	flat_load_ushort v27, v[28:29]
.LBB2079_55:
	s_or_b64 exec, exec, s[0:1]
	v_or_b32_e32 v29, 0x3000, v0
	v_cmp_gt_u32_e32 vcc, s33, v29
                                        ; implicit-def: $vgpr28
	s_and_saveexec_b64 s[0:1], vcc
	s_cbranch_execz .LBB2079_57
; %bb.56:
	v_lshlrev_b32_e32 v28, 1, v29
	v_mov_b32_e32 v29, 0
	v_lshl_add_u64 v[28:29], s[8:9], 0, v[28:29]
	flat_load_ushort v28, v[28:29]
.LBB2079_57:
	s_or_b64 exec, exec, s[0:1]
	v_or_b32_e32 v30, 0x3200, v0
	v_cmp_gt_u32_e32 vcc, s33, v30
                                        ; implicit-def: $vgpr29
	s_and_saveexec_b64 s[0:1], vcc
	s_cbranch_execz .LBB2079_59
; %bb.58:
	v_lshlrev_b32_e32 v30, 1, v30
	v_mov_b32_e32 v31, 0
	v_lshl_add_u64 v[30:31], s[8:9], 0, v[30:31]
	flat_load_ushort v29, v[30:31]
.LBB2079_59:
	s_or_b64 exec, exec, s[0:1]
	v_or_b32_e32 v31, 0x3400, v0
	v_cmp_gt_u32_e32 vcc, s33, v31
                                        ; implicit-def: $vgpr30
	s_and_saveexec_b64 s[0:1], vcc
	s_cbranch_execz .LBB2079_61
; %bb.60:
	v_lshlrev_b32_e32 v30, 1, v31
	v_mov_b32_e32 v31, 0
	v_lshl_add_u64 v[30:31], s[8:9], 0, v[30:31]
	flat_load_ushort v30, v[30:31]
.LBB2079_61:
	s_or_b64 exec, exec, s[0:1]
	v_or_b32_e32 v32, 0x3600, v0
	v_cmp_gt_u32_e32 vcc, s33, v32
                                        ; implicit-def: $vgpr31
	s_and_saveexec_b64 s[0:1], vcc
	s_cbranch_execz .LBB2079_63
; %bb.62:
	v_lshlrev_b32_e32 v32, 1, v32
	v_mov_b32_e32 v33, 0
	v_lshl_add_u64 v[32:33], s[8:9], 0, v[32:33]
	flat_load_ushort v31, v[32:33]
.LBB2079_63:
	s_or_b64 exec, exec, s[0:1]
	v_or_b32_e32 v33, 0x3800, v0
	v_cmp_gt_u32_e32 vcc, s33, v33
                                        ; implicit-def: $vgpr32
	s_and_saveexec_b64 s[0:1], vcc
	s_cbranch_execz .LBB2079_65
; %bb.64:
	v_lshlrev_b32_e32 v32, 1, v33
	v_mov_b32_e32 v33, 0
	v_lshl_add_u64 v[32:33], s[8:9], 0, v[32:33]
	flat_load_ushort v32, v[32:33]
.LBB2079_65:
	s_or_b64 exec, exec, s[0:1]
	v_or_b32_e32 v34, 0x3a00, v0
	v_cmp_gt_u32_e32 vcc, s33, v34
                                        ; implicit-def: $vgpr33
	s_and_saveexec_b64 s[0:1], vcc
	s_cbranch_execz .LBB2079_67
; %bb.66:
	v_lshlrev_b32_e32 v34, 1, v34
	v_mov_b32_e32 v35, 0
	v_lshl_add_u64 v[34:35], s[8:9], 0, v[34:35]
	flat_load_ushort v33, v[34:35]
.LBB2079_67:
	s_or_b64 exec, exec, s[0:1]
	s_waitcnt vmcnt(0) lgkmcnt(0)
	ds_write_b16 v12, v1
	ds_write_b16 v12, v2 offset:1024
	ds_write_b16 v12, v3 offset:2048
	;; [unrolled: 1-line block ×29, first 2 shown]
	s_waitcnt lgkmcnt(0)
	s_barrier
.LBB2079_68:
	v_mul_u32_u24_e32 v9, 30, v0
	v_lshlrev_b32_e32 v2, 1, v9
	ds_read2_b32 v[28:29], v2 offset1:1
	ds_read2_b32 v[26:27], v2 offset0:2 offset1:3
	ds_read2_b32 v[24:25], v2 offset0:4 offset1:5
	;; [unrolled: 1-line block ×3, first 2 shown]
	ds_read_b32 v1, v2 offset:56
	ds_read2_b32 v[16:17], v2 offset0:12 offset1:13
	ds_read2_b32 v[18:19], v2 offset0:10 offset1:11
	;; [unrolled: 1-line block ×3, first 2 shown]
	s_add_u32 s0, s2, s4
	s_addc_u32 s1, s3, s5
	s_add_u32 s0, s0, s6
	s_addc_u32 s1, s1, s7
	s_mov_b64 s[2:3], -1
	s_and_b64 vcc, exec, s[34:35]
	s_waitcnt lgkmcnt(0)
	s_barrier
	s_cbranch_vccz .LBB2079_70
; %bb.69:
	v_mov_b32_e32 v13, 0
	v_lshl_add_u64 v[2:3], s[0:1], 0, v[12:13]
	s_movk_i32 s2, 0x1000
	v_add_co_u32_e32 v4, vcc, s2, v2
	s_movk_i32 s2, 0x2000
	s_nop 0
	v_addc_co_u32_e32 v5, vcc, 0, v3, vcc
	v_add_co_u32_e32 v6, vcc, s2, v2
	s_movk_i32 s2, 0x3000
	s_nop 0
	v_addc_co_u32_e32 v7, vcc, 0, v3, vcc
	global_load_ubyte v8, v12, s[0:1]
	global_load_ubyte v13, v12, s[0:1] offset:1024
	global_load_ubyte v30, v12, s[0:1] offset:2048
	;; [unrolled: 1-line block ×3, first 2 shown]
	global_load_ubyte v32, v[6:7], off offset:-4096
	global_load_ubyte v33, v[4:5], off offset:1024
	global_load_ubyte v34, v[4:5], off offset:2048
	global_load_ubyte v35, v[4:5], off offset:3072
	global_load_ubyte v36, v[6:7], off
	global_load_ubyte v37, v[6:7], off offset:1024
	global_load_ubyte v38, v[6:7], off offset:2048
	v_add_co_u32_e32 v4, vcc, s2, v2
	s_movk_i32 s2, 0x4000
	s_nop 0
	v_addc_co_u32_e32 v5, vcc, 0, v3, vcc
	v_add_co_u32_e32 v10, vcc, s2, v2
	s_movk_i32 s3, 0x6000
	s_nop 0
	v_addc_co_u32_e32 v11, vcc, 0, v3, vcc
	global_load_ubyte v39, v[6:7], off offset:3072
	global_load_ubyte v40, v[10:11], off offset:-4096
	global_load_ubyte v41, v[4:5], off offset:1024
	global_load_ubyte v42, v[4:5], off offset:2048
	;; [unrolled: 1-line block ×3, first 2 shown]
	global_load_ubyte v44, v[10:11], off
	global_load_ubyte v45, v[10:11], off offset:1024
	global_load_ubyte v46, v[10:11], off offset:2048
	v_add_co_u32_e32 v4, vcc, s3, v2
	s_movk_i32 s2, 0x5000
	s_nop 0
	v_addc_co_u32_e32 v5, vcc, 0, v3, vcc
	v_add_co_u32_e32 v6, vcc, s2, v2
	s_movk_i32 s2, 0x7000
	s_nop 0
	v_addc_co_u32_e32 v7, vcc, 0, v3, vcc
	v_add_co_u32_e32 v2, vcc, s2, v2
	global_load_ubyte v47, v[10:11], off offset:3072
	global_load_ubyte v48, v[4:5], off offset:-4096
	v_addc_co_u32_e32 v3, vcc, 0, v3, vcc
	global_load_ubyte v10, v[6:7], off offset:1024
	global_load_ubyte v11, v[6:7], off offset:2048
	;; [unrolled: 1-line block ×3, first 2 shown]
	global_load_ubyte v50, v[4:5], off
	global_load_ubyte v51, v[4:5], off offset:1024
	global_load_ubyte v52, v[4:5], off offset:2048
	;; [unrolled: 1-line block ×3, first 2 shown]
	s_nop 0
	global_load_ubyte v4, v[2:3], off
	global_load_ubyte v5, v[2:3], off offset:1024
	s_mov_b64 s[2:3], 0
	s_waitcnt vmcnt(29)
	v_xor_b32_e32 v2, -1, v8
	s_waitcnt vmcnt(28)
	v_xor_b32_e32 v3, -1, v13
	;; [unrolled: 2-line block ×4, first 2 shown]
	v_and_b32_e32 v2, 1, v2
	s_waitcnt vmcnt(24)
	v_xor_b32_e32 v8, -1, v33
	s_waitcnt vmcnt(23)
	v_xor_b32_e32 v13, -1, v34
	;; [unrolled: 2-line block ×3, first 2 shown]
	v_xor_b32_e32 v31, -1, v32
	s_waitcnt vmcnt(21)
	v_xor_b32_e32 v32, -1, v36
	s_waitcnt vmcnt(20)
	;; [unrolled: 2-line block ×11, first 2 shown]
	v_xor_b32_e32 v42, -1, v46
	v_and_b32_e32 v3, 1, v3
	v_and_b32_e32 v6, 1, v6
	;; [unrolled: 1-line block ×5, first 2 shown]
	s_waitcnt vmcnt(8)
	v_xor_b32_e32 v10, -1, v10
	s_waitcnt vmcnt(7)
	v_xor_b32_e32 v11, -1, v11
	v_xor_b32_e32 v43, -1, v47
	;; [unrolled: 1-line block ×3, first 2 shown]
	s_waitcnt vmcnt(6)
	v_xor_b32_e32 v45, -1, v49
	s_waitcnt vmcnt(5)
	v_xor_b32_e32 v46, -1, v50
	;; [unrolled: 2-line block ×7, first 2 shown]
	v_and_b32_e32 v30, 1, v30
	v_and_b32_e32 v31, 1, v31
	;; [unrolled: 1-line block ×24, first 2 shown]
	ds_write_b8 v0, v2
	ds_write_b8 v0, v3 offset:512
	ds_write_b8 v0, v6 offset:1024
	;; [unrolled: 1-line block ×29, first 2 shown]
	s_waitcnt lgkmcnt(0)
	s_barrier
.LBB2079_70:
	s_andn2_b64 vcc, exec, s[2:3]
	s_cbranch_vccnz .LBB2079_132
; %bb.71:
	v_cmp_gt_u32_e32 vcc, s33, v0
	v_mov_b32_e32 v2, 0
	v_mov_b32_e32 v3, 0
	s_and_saveexec_b64 s[2:3], vcc
	s_cbranch_execz .LBB2079_73
; %bb.72:
	global_load_ubyte v3, v12, s[0:1]
	s_waitcnt vmcnt(0)
	v_xor_b32_e32 v3, -1, v3
	v_and_b32_e32 v3, 1, v3
.LBB2079_73:
	s_or_b64 exec, exec, s[2:3]
	v_or_b32_e32 v4, 0x200, v0
	v_cmp_gt_u32_e32 vcc, s33, v4
	s_and_saveexec_b64 s[2:3], vcc
	s_cbranch_execz .LBB2079_75
; %bb.74:
	global_load_ubyte v2, v12, s[0:1] offset:1024
	s_waitcnt vmcnt(0)
	v_xor_b32_e32 v2, -1, v2
	v_and_b32_e32 v2, 1, v2
.LBB2079_75:
	s_or_b64 exec, exec, s[2:3]
	v_or_b32_e32 v4, 0x400, v0
	v_cmp_gt_u32_e32 vcc, s33, v4
	v_mov_b32_e32 v4, 0
	v_mov_b32_e32 v5, 0
	s_and_saveexec_b64 s[2:3], vcc
	s_cbranch_execz .LBB2079_77
; %bb.76:
	global_load_ubyte v5, v12, s[0:1] offset:2048
	s_waitcnt vmcnt(0)
	v_xor_b32_e32 v5, -1, v5
	v_and_b32_e32 v5, 1, v5
.LBB2079_77:
	s_or_b64 exec, exec, s[2:3]
	v_or_b32_e32 v6, 0x600, v0
	v_cmp_gt_u32_e32 vcc, s33, v6
	s_and_saveexec_b64 s[2:3], vcc
	s_cbranch_execz .LBB2079_79
; %bb.78:
	global_load_ubyte v4, v12, s[0:1] offset:3072
	s_waitcnt vmcnt(0)
	v_xor_b32_e32 v4, -1, v4
	v_and_b32_e32 v4, 1, v4
.LBB2079_79:
	s_or_b64 exec, exec, s[2:3]
	v_or_b32_e32 v8, 0x800, v0
	v_cmp_gt_u32_e32 vcc, s33, v8
	v_mov_b32_e32 v6, 0
	v_mov_b32_e32 v7, 0
	s_and_saveexec_b64 s[2:3], vcc
	s_cbranch_execz .LBB2079_81
; %bb.80:
	v_lshlrev_b32_e32 v7, 1, v8
	global_load_ubyte v7, v7, s[0:1]
	s_waitcnt vmcnt(0)
	v_xor_b32_e32 v7, -1, v7
	v_and_b32_e32 v7, 1, v7
.LBB2079_81:
	s_or_b64 exec, exec, s[2:3]
	v_or_b32_e32 v8, 0xa00, v0
	v_cmp_gt_u32_e32 vcc, s33, v8
	s_and_saveexec_b64 s[2:3], vcc
	s_cbranch_execz .LBB2079_83
; %bb.82:
	v_lshlrev_b32_e32 v6, 1, v8
	global_load_ubyte v6, v6, s[0:1]
	s_waitcnt vmcnt(0)
	v_xor_b32_e32 v6, -1, v6
	v_and_b32_e32 v6, 1, v6
.LBB2079_83:
	s_or_b64 exec, exec, s[2:3]
	v_or_b32_e32 v11, 0xc00, v0
	v_cmp_gt_u32_e32 vcc, s33, v11
	v_mov_b32_e32 v8, 0
	v_mov_b32_e32 v10, 0
	s_and_saveexec_b64 s[2:3], vcc
	s_cbranch_execz .LBB2079_85
; %bb.84:
	v_lshlrev_b32_e32 v10, 1, v11
	global_load_ubyte v10, v10, s[0:1]
	s_waitcnt vmcnt(0)
	v_xor_b32_e32 v10, -1, v10
	v_and_b32_e32 v10, 1, v10
.LBB2079_85:
	s_or_b64 exec, exec, s[2:3]
	v_or_b32_e32 v11, 0xe00, v0
	v_cmp_gt_u32_e32 vcc, s33, v11
	s_and_saveexec_b64 s[2:3], vcc
	s_cbranch_execz .LBB2079_87
; %bb.86:
	v_lshlrev_b32_e32 v8, 1, v11
	global_load_ubyte v8, v8, s[0:1]
	s_waitcnt vmcnt(0)
	v_xor_b32_e32 v8, -1, v8
	v_and_b32_e32 v8, 1, v8
.LBB2079_87:
	;; [unrolled: 26-line block ×13, first 2 shown]
	s_or_b64 exec, exec, s[2:3]
	ds_write_b8 v0, v3
	ds_write_b8 v0, v2 offset:512
	ds_write_b8 v0, v5 offset:1024
	;; [unrolled: 1-line block ×29, first 2 shown]
	s_waitcnt lgkmcnt(0)
	s_barrier
.LBB2079_132:
	ds_read_b128 v[2:5], v9
	ds_read_b96 v[6:8], v9 offset:16
	ds_read_u16 v38, v9 offset:28
	s_cmp_lg_u32 s42, 0
	v_lshrrev_b32_e32 v67, 6, v0
	s_waitcnt lgkmcnt(0)
	v_lshrrev_b32_e32 v46, 24, v2
	v_bfe_u32 v65, v2, 16, 8
	v_add_u32_sdwa v10, v2, v2 dst_sel:DWORD dst_unused:UNUSED_PAD src0_sel:BYTE_1 src1_sel:BYTE_0
	v_and_b32_e32 v62, 0xff, v3
	v_bfe_u32 v63, v3, 8, 8
	v_add3_u32 v10, v10, v65, v46
	v_lshrrev_b32_e32 v45, 24, v3
	v_bfe_u32 v64, v3, 16, 8
	v_add3_u32 v10, v10, v62, v63
	v_and_b32_e32 v59, 0xff, v4
	v_bfe_u32 v60, v4, 8, 8
	v_add3_u32 v10, v10, v64, v45
	v_lshrrev_b32_e32 v44, 24, v4
	v_bfe_u32 v61, v4, 16, 8
	v_add3_u32 v10, v10, v59, v60
	;; [unrolled: 6-line block ×6, first 2 shown]
	v_lshrrev_b16_e32 v13, 8, v38
	v_and_b32_e32 v40, 0xff, v38
	v_add3_u32 v10, v10, v49, v39
	v_add3_u32 v68, v10, v40, v13
	v_mbcnt_lo_u32_b32 v10, -1, 0
	v_mbcnt_hi_u32_b32 v66, -1, v10
	v_and_b32_e32 v10, 15, v66
	v_cmp_eq_u32_e64 s[14:15], 0, v10
	v_cmp_lt_u32_e64 s[12:13], 1, v10
	v_cmp_lt_u32_e64 s[10:11], 3, v10
	;; [unrolled: 1-line block ×3, first 2 shown]
	v_and_b32_e32 v10, 16, v66
	v_cmp_eq_u32_e64 s[6:7], 0, v10
	v_or_b32_e32 v10, 63, v0
	v_cmp_lt_u32_e64 s[2:3], 31, v66
	v_cmp_eq_u32_e64 s[4:5], v10, v0
	s_barrier
	s_cbranch_scc0 .LBB2079_163
; %bb.133:
	v_mov_b32_dpp v10, v68 row_shr:1 row_mask:0xf bank_mask:0xf
	v_cndmask_b32_e64 v10, v10, 0, s[14:15]
	v_add_u32_e32 v10, v10, v68
	s_nop 1
	v_mov_b32_dpp v11, v10 row_shr:2 row_mask:0xf bank_mask:0xf
	v_cndmask_b32_e64 v11, 0, v11, s[12:13]
	v_add_u32_e32 v10, v10, v11
	s_nop 1
	;; [unrolled: 4-line block ×4, first 2 shown]
	v_mov_b32_dpp v11, v10 row_bcast:15 row_mask:0xf bank_mask:0xf
	v_cndmask_b32_e64 v11, v11, 0, s[6:7]
	v_add_u32_e32 v10, v10, v11
	s_nop 1
	v_mov_b32_dpp v11, v10 row_bcast:31 row_mask:0xf bank_mask:0xf
	v_cndmask_b32_e64 v11, 0, v11, s[2:3]
	v_add_u32_e32 v10, v10, v11
	s_and_saveexec_b64 s[0:1], s[4:5]
	s_cbranch_execz .LBB2079_135
; %bb.134:
	v_lshlrev_b32_e32 v11, 2, v67
	ds_write_b32 v11, v10
.LBB2079_135:
	s_or_b64 exec, exec, s[0:1]
	v_cmp_gt_u32_e32 vcc, 8, v0
	s_waitcnt lgkmcnt(0)
	s_barrier
	s_and_saveexec_b64 s[0:1], vcc
	s_cbranch_execz .LBB2079_137
; %bb.136:
	v_lshlrev_b32_e32 v11, 2, v0
	ds_read_b32 v30, v11
	v_and_b32_e32 v31, 7, v66
	v_cmp_ne_u32_e32 vcc, 0, v31
	s_waitcnt lgkmcnt(0)
	v_mov_b32_dpp v32, v30 row_shr:1 row_mask:0xf bank_mask:0xf
	v_cndmask_b32_e32 v32, 0, v32, vcc
	v_add_u32_e32 v30, v32, v30
	v_cmp_lt_u32_e32 vcc, 1, v31
	s_nop 0
	v_mov_b32_dpp v32, v30 row_shr:2 row_mask:0xf bank_mask:0xf
	v_cndmask_b32_e32 v32, 0, v32, vcc
	v_add_u32_e32 v30, v30, v32
	v_cmp_lt_u32_e32 vcc, 3, v31
	s_nop 0
	v_mov_b32_dpp v32, v30 row_shr:4 row_mask:0xf bank_mask:0xf
	v_cndmask_b32_e32 v31, 0, v32, vcc
	v_add_u32_e32 v30, v30, v31
	ds_write_b32 v11, v30
.LBB2079_137:
	s_or_b64 exec, exec, s[0:1]
	v_cmp_gt_u32_e32 vcc, 64, v0
	v_cmp_lt_u32_e64 s[0:1], 63, v0
	s_waitcnt lgkmcnt(0)
	s_barrier
	s_waitcnt lgkmcnt(0)
                                        ; implicit-def: $vgpr69
	s_and_saveexec_b64 s[16:17], s[0:1]
	s_cbranch_execz .LBB2079_139
; %bb.138:
	v_lshl_add_u32 v11, v67, 2, -4
	ds_read_b32 v69, v11
	s_waitcnt lgkmcnt(0)
	v_add_u32_e32 v10, v69, v10
.LBB2079_139:
	s_or_b64 exec, exec, s[16:17]
	v_add_u32_e32 v11, -1, v66
	v_and_b32_e32 v30, 64, v66
	v_cmp_lt_i32_e64 s[0:1], v11, v30
	v_cmp_eq_u32_e64 s[16:17], 0, v66
	s_nop 0
	v_cndmask_b32_e64 v11, v11, v66, s[0:1]
	v_lshlrev_b32_e32 v11, 2, v11
	ds_bpermute_b32 v70, v11, v10
	s_and_saveexec_b64 s[0:1], vcc
	s_cbranch_execz .LBB2079_162
; %bb.140:
	v_mov_b32_e32 v37, 0
	ds_read_b32 v10, v37 offset:28
	s_and_saveexec_b64 s[38:39], s[16:17]
	s_cbranch_execz .LBB2079_142
; %bb.141:
	s_add_i32 s40, s42, 64
	s_mov_b32 s41, 0
	s_lshl_b64 s[40:41], s[40:41], 3
	s_add_u32 s40, s36, s40
	v_mov_b32_e32 v11, 1
	s_addc_u32 s41, s37, s41
	s_waitcnt lgkmcnt(0)
	global_store_dwordx2 v37, v[10:11], s[40:41] sc1
.LBB2079_142:
	s_or_b64 exec, exec, s[38:39]
	v_xad_u32 v30, v66, -1, s42
	v_add_u32_e32 v36, 64, v30
	v_lshl_add_u64 v[32:33], v[36:37], 3, s[36:37]
	global_load_dwordx2 v[34:35], v[32:33], off sc1
	s_waitcnt vmcnt(0)
	v_cmp_eq_u16_sdwa s[40:41], v35, v37 src0_sel:BYTE_0 src1_sel:DWORD
	s_and_saveexec_b64 s[38:39], s[40:41]
	s_cbranch_execz .LBB2079_148
; %bb.143:
	s_mov_b32 s25, 1
	s_mov_b64 s[40:41], 0
	v_mov_b32_e32 v11, 0
.LBB2079_144:                           ; =>This Loop Header: Depth=1
                                        ;     Child Loop BB2079_145 Depth 2
	s_max_u32 s43, s25, 1
.LBB2079_145:                           ;   Parent Loop BB2079_144 Depth=1
                                        ; =>  This Inner Loop Header: Depth=2
	s_add_i32 s43, s43, -1
	s_cmp_eq_u32 s43, 0
	s_sleep 1
	s_cbranch_scc0 .LBB2079_145
; %bb.146:                              ;   in Loop: Header=BB2079_144 Depth=1
	global_load_dwordx2 v[34:35], v[32:33], off sc1
	s_cmp_lt_u32 s25, 32
	s_cselect_b64 s[44:45], -1, 0
	s_cmp_lg_u64 s[44:45], 0
	s_addc_u32 s25, s25, 0
	s_waitcnt vmcnt(0)
	v_cmp_ne_u16_sdwa s[44:45], v35, v11 src0_sel:BYTE_0 src1_sel:DWORD
	s_or_b64 s[40:41], s[44:45], s[40:41]
	s_andn2_b64 exec, exec, s[40:41]
	s_cbranch_execnz .LBB2079_144
; %bb.147:
	s_or_b64 exec, exec, s[40:41]
.LBB2079_148:
	s_or_b64 exec, exec, s[38:39]
	v_and_b32_e32 v72, 63, v66
	v_mov_b32_e32 v71, 2
	v_cmp_ne_u32_e32 vcc, 63, v72
	v_cmp_eq_u16_sdwa s[38:39], v35, v71 src0_sel:BYTE_0 src1_sel:DWORD
	v_lshlrev_b64 v[32:33], v66, -1
	v_addc_co_u32_e32 v36, vcc, 0, v66, vcc
	v_and_b32_e32 v11, s39, v33
	v_lshlrev_b32_e32 v73, 2, v36
	v_or_b32_e32 v11, 0x80000000, v11
	ds_bpermute_b32 v36, v73, v34
	v_and_b32_e32 v31, s38, v32
	v_ffbl_b32_e32 v11, v11
	v_add_u32_e32 v11, 32, v11
	v_ffbl_b32_e32 v31, v31
	v_min_u32_e32 v11, v31, v11
	v_cmp_lt_u32_e32 vcc, v72, v11
	v_add_u32_e32 v75, 2, v72
	v_add_u32_e32 v77, 4, v72
	s_waitcnt lgkmcnt(0)
	v_cndmask_b32_e32 v31, 0, v36, vcc
	v_cmp_gt_u32_e32 vcc, 62, v72
	v_add_u32_e32 v31, v31, v34
	v_add_u32_e32 v79, 8, v72
	v_cndmask_b32_e64 v34, 0, 1, vcc
	v_lshlrev_b32_e32 v34, 1, v34
	v_add_lshl_u32 v74, v34, v66, 2
	ds_bpermute_b32 v34, v74, v31
	v_cmp_le_u32_e32 vcc, v75, v11
	v_add_u32_e32 v81, 16, v72
	v_add_u32_e32 v83, 32, v72
	s_waitcnt lgkmcnt(0)
	v_cndmask_b32_e32 v34, 0, v34, vcc
	v_cmp_gt_u32_e32 vcc, 60, v72
	v_add_u32_e32 v31, v31, v34
	s_nop 0
	v_cndmask_b32_e64 v34, 0, 1, vcc
	v_lshlrev_b32_e32 v34, 2, v34
	v_add_lshl_u32 v76, v34, v66, 2
	ds_bpermute_b32 v34, v76, v31
	v_cmp_le_u32_e32 vcc, v77, v11
	s_waitcnt lgkmcnt(0)
	s_nop 0
	v_cndmask_b32_e32 v34, 0, v34, vcc
	v_cmp_gt_u32_e32 vcc, 56, v72
	v_add_u32_e32 v31, v31, v34
	s_nop 0
	v_cndmask_b32_e64 v34, 0, 1, vcc
	v_lshlrev_b32_e32 v34, 3, v34
	v_add_lshl_u32 v78, v34, v66, 2
	ds_bpermute_b32 v34, v78, v31
	v_cmp_le_u32_e32 vcc, v79, v11
	s_waitcnt lgkmcnt(0)
	s_nop 0
	;; [unrolled: 11-line block ×4, first 2 shown]
	v_cndmask_b32_e32 v11, 0, v34, vcc
	v_add_u32_e32 v34, v31, v11
	v_mov_b32_e32 v31, 0
	s_branch .LBB2079_150
.LBB2079_149:                           ;   in Loop: Header=BB2079_150 Depth=1
	s_or_b64 exec, exec, s[38:39]
	v_cmp_eq_u16_sdwa s[38:39], v35, v71 src0_sel:BYTE_0 src1_sel:DWORD
	ds_bpermute_b32 v84, v73, v34
	v_subrev_u32_e32 v30, 64, v30
	v_and_b32_e32 v36, s39, v33
	v_or_b32_e32 v36, 0x80000000, v36
	v_and_b32_e32 v37, s38, v32
	v_ffbl_b32_e32 v36, v36
	v_add_u32_e32 v36, 32, v36
	v_ffbl_b32_e32 v37, v37
	v_min_u32_e32 v36, v37, v36
	v_cmp_lt_u32_e32 vcc, v72, v36
	s_waitcnt lgkmcnt(0)
	s_nop 0
	v_cndmask_b32_e32 v37, 0, v84, vcc
	v_add_u32_e32 v34, v37, v34
	ds_bpermute_b32 v37, v74, v34
	v_cmp_le_u32_e32 vcc, v75, v36
	s_waitcnt lgkmcnt(0)
	s_nop 0
	v_cndmask_b32_e32 v37, 0, v37, vcc
	v_add_u32_e32 v34, v34, v37
	ds_bpermute_b32 v37, v76, v34
	v_cmp_le_u32_e32 vcc, v77, v36
	;; [unrolled: 6-line block ×5, first 2 shown]
	s_waitcnt lgkmcnt(0)
	s_nop 0
	v_cndmask_b32_e32 v36, 0, v37, vcc
	v_add3_u32 v34, v36, v11, v34
.LBB2079_150:                           ; =>This Loop Header: Depth=1
                                        ;     Child Loop BB2079_153 Depth 2
                                        ;       Child Loop BB2079_154 Depth 3
	v_cmp_ne_u16_sdwa s[38:39], v35, v71 src0_sel:BYTE_0 src1_sel:DWORD
	s_nop 1
	v_cndmask_b32_e64 v11, 0, 1, s[38:39]
	;;#ASMSTART
	;;#ASMEND
	s_nop 0
	v_cmp_ne_u32_e32 vcc, 0, v11
	s_cmp_lg_u64 vcc, exec
	v_mov_b32_e32 v11, v34
	s_cbranch_scc1 .LBB2079_157
; %bb.151:                              ;   in Loop: Header=BB2079_150 Depth=1
	v_lshl_add_u64 v[36:37], v[30:31], 3, s[36:37]
	global_load_dwordx2 v[34:35], v[36:37], off sc1
	s_waitcnt vmcnt(0)
	v_cmp_eq_u16_sdwa s[40:41], v35, v31 src0_sel:BYTE_0 src1_sel:DWORD
	s_and_saveexec_b64 s[38:39], s[40:41]
	s_cbranch_execz .LBB2079_149
; %bb.152:                              ;   in Loop: Header=BB2079_150 Depth=1
	s_mov_b32 s25, 1
	s_mov_b64 s[40:41], 0
.LBB2079_153:                           ;   Parent Loop BB2079_150 Depth=1
                                        ; =>  This Loop Header: Depth=2
                                        ;       Child Loop BB2079_154 Depth 3
	s_max_u32 s43, s25, 1
.LBB2079_154:                           ;   Parent Loop BB2079_150 Depth=1
                                        ;     Parent Loop BB2079_153 Depth=2
                                        ; =>    This Inner Loop Header: Depth=3
	s_add_i32 s43, s43, -1
	s_cmp_eq_u32 s43, 0
	s_sleep 1
	s_cbranch_scc0 .LBB2079_154
; %bb.155:                              ;   in Loop: Header=BB2079_153 Depth=2
	global_load_dwordx2 v[34:35], v[36:37], off sc1
	s_cmp_lt_u32 s25, 32
	s_cselect_b64 s[44:45], -1, 0
	s_cmp_lg_u64 s[44:45], 0
	s_addc_u32 s25, s25, 0
	s_waitcnt vmcnt(0)
	v_cmp_ne_u16_sdwa s[44:45], v35, v31 src0_sel:BYTE_0 src1_sel:DWORD
	s_or_b64 s[40:41], s[44:45], s[40:41]
	s_andn2_b64 exec, exec, s[40:41]
	s_cbranch_execnz .LBB2079_153
; %bb.156:                              ;   in Loop: Header=BB2079_150 Depth=1
	s_or_b64 exec, exec, s[40:41]
	s_branch .LBB2079_149
.LBB2079_157:                           ;   in Loop: Header=BB2079_150 Depth=1
                                        ; implicit-def: $vgpr34
                                        ; implicit-def: $vgpr35
	s_cbranch_execz .LBB2079_150
; %bb.158:
	s_and_saveexec_b64 s[38:39], s[16:17]
	s_cbranch_execz .LBB2079_160
; %bb.159:
	s_add_i32 s40, s42, 64
	s_mov_b32 s41, 0
	s_lshl_b64 s[40:41], s[40:41], 3
	s_add_u32 s40, s36, s40
	v_add_u32_e32 v30, v11, v10
	v_mov_b32_e32 v31, 2
	s_addc_u32 s41, s37, s41
	v_mov_b32_e32 v32, 0
	global_store_dwordx2 v32, v[30:31], s[40:41] sc1
	ds_write_b64 v32, v[10:11] offset:30720
.LBB2079_160:
	s_or_b64 exec, exec, s[38:39]
	s_and_b64 exec, exec, s[18:19]
	s_cbranch_execz .LBB2079_162
; %bb.161:
	v_mov_b32_e32 v10, 0
	ds_write_b32 v10, v11 offset:28
.LBB2079_162:
	s_or_b64 exec, exec, s[0:1]
	v_mov_b32_e32 v10, 0
	s_waitcnt lgkmcnt(0)
	s_barrier
	ds_read_b32 v30, v10 offset:28
	s_waitcnt lgkmcnt(0)
	s_barrier
	ds_read_b64 v[10:11], v10 offset:30720
	v_cndmask_b32_e64 v31, v70, v69, s[16:17]
	v_cndmask_b32_e64 v31, v31, 0, s[18:19]
	v_add_u32_e32 v35, v30, v31
	s_waitcnt lgkmcnt(0)
	v_mov_b32_e32 v70, v11
	s_branch .LBB2079_173
.LBB2079_163:
                                        ; implicit-def: $vgpr70
                                        ; implicit-def: $vgpr10
                                        ; implicit-def: $vgpr35
	s_cbranch_execz .LBB2079_173
; %bb.164:
	s_nop 0
	v_mov_b32_dpp v10, v68 row_shr:1 row_mask:0xf bank_mask:0xf
	v_cndmask_b32_e64 v10, v10, 0, s[14:15]
	v_add_u32_e32 v10, v10, v68
	s_nop 1
	v_mov_b32_dpp v11, v10 row_shr:2 row_mask:0xf bank_mask:0xf
	v_cndmask_b32_e64 v11, 0, v11, s[12:13]
	v_add_u32_e32 v10, v10, v11
	;; [unrolled: 4-line block ×4, first 2 shown]
	s_nop 1
	v_mov_b32_dpp v11, v10 row_bcast:15 row_mask:0xf bank_mask:0xf
	v_cndmask_b32_e64 v11, v11, 0, s[6:7]
	v_add_u32_e32 v10, v10, v11
	s_nop 1
	v_mov_b32_dpp v11, v10 row_bcast:31 row_mask:0xf bank_mask:0xf
	v_cndmask_b32_e64 v11, 0, v11, s[2:3]
	v_add_u32_e32 v10, v10, v11
	s_and_saveexec_b64 s[0:1], s[4:5]
	s_cbranch_execz .LBB2079_166
; %bb.165:
	v_lshlrev_b32_e32 v11, 2, v67
	ds_write_b32 v11, v10
.LBB2079_166:
	s_or_b64 exec, exec, s[0:1]
	v_cmp_gt_u32_e32 vcc, 8, v0
	s_waitcnt lgkmcnt(0)
	s_barrier
	s_and_saveexec_b64 s[0:1], vcc
	s_cbranch_execz .LBB2079_168
; %bb.167:
	v_lshlrev_b32_e32 v11, 2, v0
	ds_read_b32 v30, v11
	v_and_b32_e32 v31, 7, v66
	v_cmp_ne_u32_e32 vcc, 0, v31
	s_waitcnt lgkmcnt(0)
	v_mov_b32_dpp v32, v30 row_shr:1 row_mask:0xf bank_mask:0xf
	v_cndmask_b32_e32 v32, 0, v32, vcc
	v_add_u32_e32 v30, v32, v30
	v_cmp_lt_u32_e32 vcc, 1, v31
	s_nop 0
	v_mov_b32_dpp v32, v30 row_shr:2 row_mask:0xf bank_mask:0xf
	v_cndmask_b32_e32 v32, 0, v32, vcc
	v_add_u32_e32 v30, v30, v32
	v_cmp_lt_u32_e32 vcc, 3, v31
	s_nop 0
	v_mov_b32_dpp v32, v30 row_shr:4 row_mask:0xf bank_mask:0xf
	v_cndmask_b32_e32 v31, 0, v32, vcc
	v_add_u32_e32 v30, v30, v31
	ds_write_b32 v11, v30
.LBB2079_168:
	s_or_b64 exec, exec, s[0:1]
	v_cmp_lt_u32_e32 vcc, 63, v0
	v_mov_b32_e32 v11, 0
	v_mov_b32_e32 v30, 0
	s_waitcnt lgkmcnt(0)
	s_barrier
	s_and_saveexec_b64 s[0:1], vcc
	s_cbranch_execz .LBB2079_170
; %bb.169:
	v_lshl_add_u32 v30, v67, 2, -4
	ds_read_b32 v30, v30
.LBB2079_170:
	s_or_b64 exec, exec, s[0:1]
	v_add_u32_e32 v31, -1, v66
	v_and_b32_e32 v32, 64, v66
	v_cmp_lt_i32_e32 vcc, v31, v32
	s_waitcnt lgkmcnt(0)
	v_add_u32_e32 v10, v30, v10
	v_cndmask_b32_e32 v31, v31, v66, vcc
	v_lshlrev_b32_e32 v31, 2, v31
	ds_bpermute_b32 v31, v31, v10
	ds_read_b32 v10, v11 offset:28
	s_and_saveexec_b64 s[0:1], s[18:19]
	s_cbranch_execz .LBB2079_172
; %bb.171:
	v_mov_b32_e32 v32, 0
	v_mov_b32_e32 v11, 2
	s_waitcnt lgkmcnt(0)
	global_store_dwordx2 v32, v[10:11], s[36:37] offset:512 sc1
.LBB2079_172:
	s_or_b64 exec, exec, s[0:1]
	v_cmp_eq_u32_e32 vcc, 0, v66
	v_mov_b32_e32 v70, 0
	s_waitcnt lgkmcnt(0)
	v_cndmask_b32_e32 v11, v31, v30, vcc
	v_cndmask_b32_e64 v35, v11, 0, s[18:19]
	s_barrier
.LBB2079_173:
	v_add_u32_sdwa v37, v35, v2 dst_sel:DWORD dst_unused:UNUSED_PAD src0_sel:DWORD src1_sel:BYTE_0
	v_add_u32_e32 v9, v10, v9
	v_sub_u32_e32 v35, v35, v70
	v_and_b32_e32 v76, 1, v2
	v_sub_u32_e32 v75, v9, v35
	v_cmp_eq_u32_e32 vcc, 1, v76
	v_lshrrev_b32_e32 v36, 8, v2
	v_add_u32_sdwa v66, v37, v2 dst_sel:DWORD dst_unused:UNUSED_PAD src0_sel:DWORD src1_sel:BYTE_1
	v_cndmask_b32_e32 v35, v75, v35, vcc
	v_lshlrev_b32_e32 v35, 1, v35
	ds_write_b16 v35, v28
	v_sub_u32_e32 v35, v37, v70
	v_sub_u32_e32 v37, v9, v35
	v_and_b32_e32 v36, 1, v36
	v_add_u32_e32 v37, 1, v37
	v_cmp_eq_u32_e32 vcc, 1, v36
	v_mov_b32_e32 v36, 1
	v_and_b32_sdwa v2, v36, v2 dst_sel:DWORD dst_unused:UNUSED_PAD src0_sel:DWORD src1_sel:WORD_1
	v_cndmask_b32_e32 v35, v37, v35, vcc
	v_lshlrev_b32_e32 v35, 1, v35
	ds_write_b16_d16_hi v35, v28
	v_sub_u32_e32 v28, v66, v70
	v_sub_u32_e32 v35, v9, v28
	v_add_u32_e32 v35, 2, v35
	v_cmp_eq_u32_e32 vcc, 1, v2
	v_add_u32_e32 v65, v66, v65
	v_add_u32_e32 v67, v65, v46
	v_cndmask_b32_e32 v2, v35, v28, vcc
	v_lshlrev_b32_e32 v2, 1, v2
	ds_write_b16 v2, v29
	v_sub_u32_e32 v2, v65, v70
	v_sub_u32_e32 v28, v9, v2
	v_and_b32_e32 v35, 1, v46
	v_add_u32_e32 v28, 3, v28
	v_cmp_eq_u32_e32 vcc, 1, v35
	v_add_u32_e32 v62, v67, v62
	v_lshrrev_b32_e32 v34, 8, v3
	v_cndmask_b32_e32 v2, v28, v2, vcc
	v_lshlrev_b32_e32 v2, 1, v2
	ds_write_b16_d16_hi v2, v29
	v_sub_u32_e32 v2, v67, v70
	v_sub_u32_e32 v28, v9, v2
	v_and_b32_e32 v29, 1, v3
	v_add_u32_e32 v28, 4, v28
	v_cmp_eq_u32_e32 vcc, 1, v29
	v_and_b32_e32 v29, 1, v34
	v_add_u32_e32 v63, v62, v63
	v_cndmask_b32_e32 v2, v28, v2, vcc
	v_lshlrev_b32_e32 v2, 1, v2
	ds_write_b16 v2, v26
	v_sub_u32_e32 v2, v62, v70
	v_sub_u32_e32 v28, v9, v2
	v_add_u32_e32 v28, 5, v28
	v_cmp_eq_u32_e32 vcc, 1, v29
	v_and_b32_sdwa v3, v36, v3 dst_sel:DWORD dst_unused:UNUSED_PAD src0_sel:DWORD src1_sel:WORD_1
	v_add_u32_e32 v64, v63, v64
	v_cndmask_b32_e32 v2, v28, v2, vcc
	v_lshlrev_b32_e32 v2, 1, v2
	ds_write_b16_d16_hi v2, v26
	v_sub_u32_e32 v2, v63, v70
	v_sub_u32_e32 v26, v9, v2
	v_add_u32_e32 v26, 6, v26
	v_cmp_eq_u32_e32 vcc, 1, v3
	v_add_u32_e32 v68, v64, v45
	v_add_u32_e32 v59, v68, v59
	v_cndmask_b32_e32 v2, v26, v2, vcc
	v_lshlrev_b32_e32 v2, 1, v2
	ds_write_b16 v2, v27
	v_sub_u32_e32 v2, v64, v70
	v_sub_u32_e32 v3, v9, v2
	v_and_b32_e32 v26, 1, v45
	v_add_u32_e32 v3, 7, v3
	v_cmp_eq_u32_e32 vcc, 1, v26
	v_and_b32_e32 v26, 1, v4
	v_lshrrev_b32_e32 v33, 8, v4
	v_cndmask_b32_e32 v2, v3, v2, vcc
	v_lshlrev_b32_e32 v2, 1, v2
	ds_write_b16_d16_hi v2, v27
	v_sub_u32_e32 v2, v68, v70
	v_sub_u32_e32 v3, v9, v2
	v_add_u32_e32 v3, 8, v3
	v_cmp_eq_u32_e32 vcc, 1, v26
	v_and_b32_e32 v26, 1, v33
	v_add_u32_e32 v60, v59, v60
	v_cndmask_b32_e32 v2, v3, v2, vcc
	v_lshlrev_b32_e32 v2, 1, v2
	ds_write_b16 v2, v24
	v_sub_u32_e32 v2, v59, v70
	v_sub_u32_e32 v3, v9, v2
	v_add_u32_e32 v3, 9, v3
	v_cmp_eq_u32_e32 vcc, 1, v26
	v_and_b32_sdwa v4, v36, v4 dst_sel:DWORD dst_unused:UNUSED_PAD src0_sel:DWORD src1_sel:WORD_1
	v_add_u32_e32 v61, v60, v61
	v_cndmask_b32_e32 v2, v3, v2, vcc
	v_lshlrev_b32_e32 v2, 1, v2
	ds_write_b16_d16_hi v2, v24
	v_sub_u32_e32 v2, v60, v70
	v_sub_u32_e32 v3, v9, v2
	v_add_u32_e32 v3, 10, v3
	v_cmp_eq_u32_e32 vcc, 1, v4
	v_and_b32_e32 v4, 1, v44
	v_add_u32_e32 v69, v61, v44
	v_cndmask_b32_e32 v2, v3, v2, vcc
	v_lshlrev_b32_e32 v2, 1, v2
	ds_write_b16 v2, v25
	v_sub_u32_e32 v2, v61, v70
	v_sub_u32_e32 v3, v9, v2
	v_add_u32_e32 v3, 11, v3
	v_cmp_eq_u32_e32 vcc, 1, v4
	v_and_b32_e32 v4, 1, v5
	v_add_u32_e32 v56, v69, v56
	v_cndmask_b32_e32 v2, v3, v2, vcc
	v_lshlrev_b32_e32 v2, 1, v2
	ds_write_b16_d16_hi v2, v25
	v_sub_u32_e32 v2, v69, v70
	v_sub_u32_e32 v3, v9, v2
	v_add_u32_e32 v3, 12, v3
	v_cmp_eq_u32_e32 vcc, 1, v4
	v_lshrrev_b32_e32 v32, 8, v5
	v_and_b32_e32 v4, 1, v32
	v_cndmask_b32_e32 v2, v3, v2, vcc
	v_lshlrev_b32_e32 v2, 1, v2
	ds_write_b16 v2, v22
	v_sub_u32_e32 v2, v56, v70
	v_sub_u32_e32 v3, v9, v2
	v_add_u32_e32 v3, 13, v3
	v_cmp_eq_u32_e32 vcc, 1, v4
	v_add_u32_e32 v57, v56, v57
	v_and_b32_sdwa v4, v36, v5 dst_sel:DWORD dst_unused:UNUSED_PAD src0_sel:DWORD src1_sel:WORD_1
	v_cndmask_b32_e32 v2, v3, v2, vcc
	v_lshlrev_b32_e32 v2, 1, v2
	ds_write_b16_d16_hi v2, v22
	v_sub_u32_e32 v2, v57, v70
	v_sub_u32_e32 v3, v9, v2
	v_add_u32_e32 v3, 14, v3
	v_cmp_eq_u32_e32 vcc, 1, v4
	v_add_u32_e32 v58, v57, v58
	v_and_b32_e32 v4, 1, v43
	v_cndmask_b32_e32 v2, v3, v2, vcc
	v_lshlrev_b32_e32 v2, 1, v2
	ds_write_b16 v2, v23
	v_sub_u32_e32 v2, v58, v70
	v_sub_u32_e32 v3, v9, v2
	v_add_u32_e32 v3, 15, v3
	v_cmp_eq_u32_e32 vcc, 1, v4
	v_add_u32_e32 v71, v58, v43
	v_and_b32_e32 v4, 1, v6
	v_cndmask_b32_e32 v2, v3, v2, vcc
	v_lshlrev_b32_e32 v2, 1, v2
	ds_write_b16_d16_hi v2, v23
	v_sub_u32_e32 v2, v71, v70
	v_sub_u32_e32 v3, v9, v2
	v_add_u32_e32 v3, 16, v3
	v_cmp_eq_u32_e32 vcc, 1, v4
	v_add_u32_e32 v53, v71, v53
	v_lshrrev_b32_e32 v31, 8, v6
	v_cndmask_b32_e32 v2, v3, v2, vcc
	v_lshlrev_b32_e32 v2, 1, v2
	ds_write_b16 v2, v20
	v_sub_u32_e32 v2, v53, v70
	v_sub_u32_e32 v3, v9, v2
	v_and_b32_e32 v4, 1, v31
	v_add_u32_e32 v3, 17, v3
	v_cmp_eq_u32_e32 vcc, 1, v4
	v_add_u32_e32 v54, v53, v54
	v_and_b32_sdwa v4, v36, v6 dst_sel:DWORD dst_unused:UNUSED_PAD src0_sel:DWORD src1_sel:WORD_1
	v_cndmask_b32_e32 v2, v3, v2, vcc
	v_lshlrev_b32_e32 v2, 1, v2
	ds_write_b16_d16_hi v2, v20
	v_sub_u32_e32 v2, v54, v70
	v_sub_u32_e32 v3, v9, v2
	v_add_u32_e32 v3, 18, v3
	v_cmp_eq_u32_e32 vcc, 1, v4
	v_add_u32_e32 v55, v54, v55
	v_and_b32_e32 v4, 1, v42
	v_cndmask_b32_e32 v2, v3, v2, vcc
	v_lshlrev_b32_e32 v2, 1, v2
	ds_write_b16 v2, v21
	v_sub_u32_e32 v2, v55, v70
	v_sub_u32_e32 v3, v9, v2
	v_add_u32_e32 v3, 19, v3
	v_cmp_eq_u32_e32 vcc, 1, v4
	v_add_u32_e32 v72, v55, v42
	v_and_b32_e32 v4, 1, v7
	v_cndmask_b32_e32 v2, v3, v2, vcc
	v_lshlrev_b32_e32 v2, 1, v2
	ds_write_b16_d16_hi v2, v21
	v_sub_u32_e32 v2, v72, v70
	v_sub_u32_e32 v3, v9, v2
	v_add_u32_e32 v3, 20, v3
	v_cmp_eq_u32_e32 vcc, 1, v4
	v_add_u32_e32 v50, v72, v50
	v_lshrrev_b32_e32 v30, 8, v7
	v_cndmask_b32_e32 v2, v3, v2, vcc
	v_lshlrev_b32_e32 v2, 1, v2
	ds_write_b16 v2, v18
	v_sub_u32_e32 v2, v50, v70
	v_sub_u32_e32 v3, v9, v2
	v_and_b32_e32 v4, 1, v30
	;; [unrolled: 37-line block ×3, first 2 shown]
	v_add_u32_e32 v3, 25, v3
	v_cmp_eq_u32_e32 vcc, 1, v4
	v_add_u32_e32 v48, v47, v48
	v_and_b32_sdwa v4, v36, v8 dst_sel:DWORD dst_unused:UNUSED_PAD src0_sel:DWORD src1_sel:WORD_1
	v_cndmask_b32_e32 v2, v3, v2, vcc
	v_lshlrev_b32_e32 v2, 1, v2
	ds_write_b16_d16_hi v2, v16
	v_sub_u32_e32 v2, v48, v70
	v_sub_u32_e32 v3, v9, v2
	v_add_u32_e32 v3, 26, v3
	v_cmp_eq_u32_e32 vcc, 1, v4
	v_add_u32_e32 v49, v48, v49
	v_and_b32_e32 v4, 1, v39
	v_cndmask_b32_e32 v2, v3, v2, vcc
	v_lshlrev_b32_e32 v2, 1, v2
	ds_write_b16 v2, v17
	v_sub_u32_e32 v2, v49, v70
	v_sub_u32_e32 v3, v9, v2
	v_add_u32_e32 v3, 27, v3
	v_cmp_eq_u32_e32 vcc, 1, v4
	v_add_u32_e32 v74, v49, v39
	v_and_b32_e32 v4, 1, v38
	v_cndmask_b32_e32 v2, v3, v2, vcc
	v_lshlrev_b32_e32 v2, 1, v2
	ds_write_b16_d16_hi v2, v17
	v_sub_u32_e32 v2, v74, v70
	v_sub_u32_e32 v3, v9, v2
	v_add_u32_e32 v3, 28, v3
	v_cmp_eq_u32_e32 vcc, 1, v4
	v_and_b32_e32 v4, 1, v13
	s_add_u32 s0, s26, s24
	v_cndmask_b32_e32 v2, v3, v2, vcc
	v_lshlrev_b32_e32 v2, 1, v2
	ds_write_b16 v2, v1
	v_sub_u32_e32 v2, v40, v70
	v_add_u32_e32 v2, v74, v2
	v_sub_u32_e32 v3, v9, v2
	v_add_u32_e32 v3, 29, v3
	v_cmp_eq_u32_e32 vcc, 1, v4
	s_addc_u32 s1, s27, 0
	s_sub_u32 s0, s30, s0
	v_cndmask_b32_e32 v2, v3, v2, vcc
	v_lshlrev_b32_e32 v2, 1, v2
	ds_write_b16_d16_hi v2, v1
	s_waitcnt lgkmcnt(0)
	s_barrier
	ds_read_u16 v101, v12
	ds_read_u16 v100, v12 offset:1024
	ds_read_u16 v99, v12 offset:2048
	;; [unrolled: 1-line block ×29, first 2 shown]
	v_mov_b32_e32 v1, 0
	v_mov_b32_e32 v71, v1
	;; [unrolled: 1-line block ×3, first 2 shown]
	s_subb_u32 s1, s31, s1
	s_waitcnt vmcnt(0)
	v_lshl_add_u64 v[2:3], v[14:15], 0, v[70:71]
	v_lshl_add_u64 v[6:7], s[0:1], 0, v[10:11]
	v_or_b32_e32 v68, 0x200, v0
	v_mov_b32_e32 v69, v1
	v_or_b32_e32 v66, 0x400, v0
	v_mov_b32_e32 v67, v1
	;; [unrolled: 2-line block ×29, first 2 shown]
	s_andn2_b64 vcc, exec, s[34:35]
	v_lshl_add_u64 v[6:7], v[6:7], 0, v[2:3]
	s_cbranch_vccnz .LBB2079_298
; %bb.174:
	v_cmp_ge_u32_e32 vcc, v0, v10
                                        ; implicit-def: $vgpr12_vgpr13
	s_and_saveexec_b64 s[0:1], vcc
	s_xor_b64 s[0:1], exec, s[0:1]
; %bb.175:
	v_not_b32_e32 v12, v0
	v_ashrrev_i32_e32 v13, 31, v12
	v_lshl_add_u64 v[12:13], v[6:7], 0, v[12:13]
; %bb.176:
	s_andn2_saveexec_b64 s[0:1], s[0:1]
; %bb.177:
	v_lshl_add_u64 v[12:13], v[2:3], 0, v[0:1]
; %bb.178:
	s_or_b64 exec, exec, s[0:1]
	v_lshl_add_u64 v[12:13], v[12:13], 1, s[28:29]
	v_cmp_ge_u32_e32 vcc, v68, v10
	s_waitcnt lgkmcnt(14)
	global_store_short v[12:13], v101, off
                                        ; implicit-def: $vgpr12_vgpr13
	s_and_saveexec_b64 s[0:1], vcc
	s_xor_b64 s[0:1], exec, s[0:1]
; %bb.179:
	v_xor_b32_e32 v12, 0xfffffdff, v0
	v_ashrrev_i32_e32 v13, 31, v12
	v_lshl_add_u64 v[12:13], v[6:7], 0, v[12:13]
; %bb.180:
	s_andn2_saveexec_b64 s[0:1], s[0:1]
; %bb.181:
	v_lshl_add_u64 v[12:13], v[2:3], 0, v[68:69]
; %bb.182:
	s_or_b64 exec, exec, s[0:1]
	v_lshl_add_u64 v[12:13], v[12:13], 1, s[28:29]
	v_cmp_ge_u32_e32 vcc, v66, v10
	global_store_short v[12:13], v100, off
                                        ; implicit-def: $vgpr12_vgpr13
	s_and_saveexec_b64 s[0:1], vcc
	s_xor_b64 s[0:1], exec, s[0:1]
; %bb.183:
	v_xor_b32_e32 v12, 0xfffffbff, v0
	v_ashrrev_i32_e32 v13, 31, v12
	v_lshl_add_u64 v[12:13], v[6:7], 0, v[12:13]
; %bb.184:
	s_andn2_saveexec_b64 s[0:1], s[0:1]
; %bb.185:
	v_lshl_add_u64 v[12:13], v[2:3], 0, v[66:67]
; %bb.186:
	s_or_b64 exec, exec, s[0:1]
	v_lshl_add_u64 v[12:13], v[12:13], 1, s[28:29]
	v_cmp_ge_u32_e32 vcc, v64, v10
	;; [unrolled: 16-line block ×16, first 2 shown]
	s_waitcnt lgkmcnt(13)
	global_store_short v[12:13], v85, off
                                        ; implicit-def: $vgpr12_vgpr13
	s_and_saveexec_b64 s[0:1], vcc
	s_xor_b64 s[0:1], exec, s[0:1]
; %bb.243:
	v_xor_b32_e32 v12, 0xffffddff, v0
	v_ashrrev_i32_e32 v13, 31, v12
	v_lshl_add_u64 v[12:13], v[6:7], 0, v[12:13]
; %bb.244:
	s_andn2_saveexec_b64 s[0:1], s[0:1]
; %bb.245:
	v_lshl_add_u64 v[12:13], v[2:3], 0, v[36:37]
; %bb.246:
	s_or_b64 exec, exec, s[0:1]
	v_lshl_add_u64 v[12:13], v[12:13], 1, s[28:29]
	v_cmp_ge_u32_e32 vcc, v34, v10
	s_waitcnt lgkmcnt(12)
	global_store_short v[12:13], v84, off
                                        ; implicit-def: $vgpr12_vgpr13
	s_and_saveexec_b64 s[0:1], vcc
	s_xor_b64 s[0:1], exec, s[0:1]
; %bb.247:
	v_xor_b32_e32 v12, 0xffffdbff, v0
	v_ashrrev_i32_e32 v13, 31, v12
	v_lshl_add_u64 v[12:13], v[6:7], 0, v[12:13]
; %bb.248:
	s_andn2_saveexec_b64 s[0:1], s[0:1]
; %bb.249:
	v_lshl_add_u64 v[12:13], v[2:3], 0, v[34:35]
; %bb.250:
	s_or_b64 exec, exec, s[0:1]
	v_lshl_add_u64 v[12:13], v[12:13], 1, s[28:29]
	v_cmp_ge_u32_e32 vcc, v32, v10
	;; [unrolled: 17-line block ×12, first 2 shown]
	s_waitcnt lgkmcnt(1)
	global_store_short v[12:13], v73, off
                                        ; implicit-def: $vgpr12_vgpr13
	s_and_saveexec_b64 s[0:1], vcc
	s_xor_b64 s[0:1], exec, s[0:1]
; %bb.291:
	v_xor_b32_e32 v12, 0xffffc5ff, v0
	v_ashrrev_i32_e32 v13, 31, v12
	v_lshl_add_u64 v[12:13], v[6:7], 0, v[12:13]
; %bb.292:
	s_andn2_saveexec_b64 s[0:1], s[0:1]
; %bb.293:
	v_lshl_add_u64 v[12:13], v[2:3], 0, v[4:5]
; %bb.294:
	s_or_b64 exec, exec, s[0:1]
	s_mov_b64 s[0:1], -1
.LBB2079_295:
	s_and_saveexec_b64 s[2:3], s[0:1]
	s_cbranch_execz .LBB2079_386
.LBB2079_296:
	v_lshl_add_u64 v[0:1], v[12:13], 1, s[28:29]
	s_waitcnt lgkmcnt(0)
	global_store_short v[0:1], v72, off
	s_or_b64 exec, exec, s[2:3]
	s_and_b64 s[0:1], s[18:19], s[22:23]
	s_and_saveexec_b64 s[2:3], s[0:1]
	s_cbranch_execnz .LBB2079_387
.LBB2079_297:
	s_endpgm
.LBB2079_298:
	s_mov_b64 s[0:1], 0
                                        ; implicit-def: $vgpr12_vgpr13
	s_cbranch_execz .LBB2079_295
; %bb.299:
	v_cmp_gt_u32_e32 vcc, s33, v0
	s_and_saveexec_b64 s[2:3], vcc
	s_cbranch_execz .LBB2079_388
; %bb.300:
	v_cmp_ge_u32_e32 vcc, v0, v10
                                        ; implicit-def: $vgpr12_vgpr13
	s_and_saveexec_b64 s[4:5], vcc
	s_xor_b64 s[4:5], exec, s[4:5]
; %bb.301:
	v_not_b32_e32 v12, v0
	v_ashrrev_i32_e32 v13, 31, v12
	v_lshl_add_u64 v[12:13], v[6:7], 0, v[12:13]
; %bb.302:
	s_andn2_saveexec_b64 s[4:5], s[4:5]
; %bb.303:
	v_lshl_add_u64 v[12:13], v[2:3], 0, v[0:1]
; %bb.304:
	s_or_b64 exec, exec, s[4:5]
	v_lshl_add_u64 v[12:13], v[12:13], 1, s[28:29]
	s_waitcnt lgkmcnt(14)
	global_store_short v[12:13], v101, off
	s_or_b64 exec, exec, s[2:3]
	v_cmp_gt_u32_e32 vcc, s33, v68
	s_and_saveexec_b64 s[2:3], vcc
	s_cbranch_execnz .LBB2079_389
.LBB2079_305:
	s_or_b64 exec, exec, s[2:3]
	v_cmp_gt_u32_e32 vcc, s33, v66
	s_and_saveexec_b64 s[2:3], vcc
	s_cbranch_execz .LBB2079_394
.LBB2079_306:
	v_cmp_ge_u32_e32 vcc, v66, v10
                                        ; implicit-def: $vgpr12_vgpr13
	s_and_saveexec_b64 s[4:5], vcc
	s_xor_b64 s[4:5], exec, s[4:5]
; %bb.307:
	v_xor_b32_e32 v12, 0xfffffbff, v0
	v_ashrrev_i32_e32 v13, 31, v12
	v_lshl_add_u64 v[12:13], v[6:7], 0, v[12:13]
                                        ; implicit-def: $vgpr66_vgpr67
; %bb.308:
	s_andn2_saveexec_b64 s[4:5], s[4:5]
; %bb.309:
	v_lshl_add_u64 v[12:13], v[2:3], 0, v[66:67]
; %bb.310:
	s_or_b64 exec, exec, s[4:5]
	v_lshl_add_u64 v[12:13], v[12:13], 1, s[28:29]
	s_waitcnt lgkmcnt(14)
	global_store_short v[12:13], v99, off
	s_or_b64 exec, exec, s[2:3]
	v_cmp_gt_u32_e32 vcc, s33, v64
	s_and_saveexec_b64 s[2:3], vcc
	s_cbranch_execnz .LBB2079_395
.LBB2079_311:
	s_or_b64 exec, exec, s[2:3]
	v_cmp_gt_u32_e32 vcc, s33, v62
	s_and_saveexec_b64 s[2:3], vcc
	s_cbranch_execz .LBB2079_400
.LBB2079_312:
	v_cmp_ge_u32_e32 vcc, v62, v10
                                        ; implicit-def: $vgpr12_vgpr13
	s_and_saveexec_b64 s[4:5], vcc
	s_xor_b64 s[4:5], exec, s[4:5]
; %bb.313:
	v_xor_b32_e32 v12, 0xfffff7ff, v0
	v_ashrrev_i32_e32 v13, 31, v12
	v_lshl_add_u64 v[12:13], v[6:7], 0, v[12:13]
                                        ; implicit-def: $vgpr62_vgpr63
; %bb.314:
	s_andn2_saveexec_b64 s[4:5], s[4:5]
; %bb.315:
	v_lshl_add_u64 v[12:13], v[2:3], 0, v[62:63]
; %bb.316:
	s_or_b64 exec, exec, s[4:5]
	v_lshl_add_u64 v[12:13], v[12:13], 1, s[28:29]
	s_waitcnt lgkmcnt(14)
	global_store_short v[12:13], v97, off
	s_or_b64 exec, exec, s[2:3]
	v_cmp_gt_u32_e32 vcc, s33, v60
	s_and_saveexec_b64 s[2:3], vcc
	s_cbranch_execnz .LBB2079_401
.LBB2079_317:
	s_or_b64 exec, exec, s[2:3]
	v_cmp_gt_u32_e32 vcc, s33, v58
	s_and_saveexec_b64 s[2:3], vcc
	s_cbranch_execz .LBB2079_406
.LBB2079_318:
	v_cmp_ge_u32_e32 vcc, v58, v10
                                        ; implicit-def: $vgpr12_vgpr13
	s_and_saveexec_b64 s[4:5], vcc
	s_xor_b64 s[4:5], exec, s[4:5]
; %bb.319:
	v_xor_b32_e32 v12, 0xfffff3ff, v0
	v_ashrrev_i32_e32 v13, 31, v12
	v_lshl_add_u64 v[12:13], v[6:7], 0, v[12:13]
                                        ; implicit-def: $vgpr58_vgpr59
; %bb.320:
	s_andn2_saveexec_b64 s[4:5], s[4:5]
; %bb.321:
	v_lshl_add_u64 v[12:13], v[2:3], 0, v[58:59]
; %bb.322:
	s_or_b64 exec, exec, s[4:5]
	v_lshl_add_u64 v[12:13], v[12:13], 1, s[28:29]
	s_waitcnt lgkmcnt(14)
	global_store_short v[12:13], v95, off
	s_or_b64 exec, exec, s[2:3]
	v_cmp_gt_u32_e32 vcc, s33, v56
	s_and_saveexec_b64 s[2:3], vcc
	s_cbranch_execnz .LBB2079_407
.LBB2079_323:
	s_or_b64 exec, exec, s[2:3]
	v_cmp_gt_u32_e32 vcc, s33, v54
	s_and_saveexec_b64 s[2:3], vcc
	s_cbranch_execz .LBB2079_412
.LBB2079_324:
	v_cmp_ge_u32_e32 vcc, v54, v10
                                        ; implicit-def: $vgpr12_vgpr13
	s_and_saveexec_b64 s[4:5], vcc
	s_xor_b64 s[4:5], exec, s[4:5]
; %bb.325:
	v_xor_b32_e32 v12, 0xffffefff, v0
	v_ashrrev_i32_e32 v13, 31, v12
	v_lshl_add_u64 v[12:13], v[6:7], 0, v[12:13]
                                        ; implicit-def: $vgpr54_vgpr55
; %bb.326:
	s_andn2_saveexec_b64 s[4:5], s[4:5]
; %bb.327:
	v_lshl_add_u64 v[12:13], v[2:3], 0, v[54:55]
; %bb.328:
	s_or_b64 exec, exec, s[4:5]
	v_lshl_add_u64 v[12:13], v[12:13], 1, s[28:29]
	s_waitcnt lgkmcnt(14)
	global_store_short v[12:13], v93, off
	s_or_b64 exec, exec, s[2:3]
	v_cmp_gt_u32_e32 vcc, s33, v52
	s_and_saveexec_b64 s[2:3], vcc
	s_cbranch_execnz .LBB2079_413
.LBB2079_329:
	s_or_b64 exec, exec, s[2:3]
	v_cmp_gt_u32_e32 vcc, s33, v50
	s_and_saveexec_b64 s[2:3], vcc
	s_cbranch_execz .LBB2079_418
.LBB2079_330:
	v_cmp_ge_u32_e32 vcc, v50, v10
                                        ; implicit-def: $vgpr12_vgpr13
	s_and_saveexec_b64 s[4:5], vcc
	s_xor_b64 s[4:5], exec, s[4:5]
; %bb.331:
	v_xor_b32_e32 v12, 0xffffebff, v0
	v_ashrrev_i32_e32 v13, 31, v12
	v_lshl_add_u64 v[12:13], v[6:7], 0, v[12:13]
                                        ; implicit-def: $vgpr50_vgpr51
; %bb.332:
	s_andn2_saveexec_b64 s[4:5], s[4:5]
; %bb.333:
	v_lshl_add_u64 v[12:13], v[2:3], 0, v[50:51]
; %bb.334:
	s_or_b64 exec, exec, s[4:5]
	v_lshl_add_u64 v[12:13], v[12:13], 1, s[28:29]
	s_waitcnt lgkmcnt(14)
	global_store_short v[12:13], v91, off
	s_or_b64 exec, exec, s[2:3]
	v_cmp_gt_u32_e32 vcc, s33, v48
	s_and_saveexec_b64 s[2:3], vcc
	s_cbranch_execnz .LBB2079_419
.LBB2079_335:
	s_or_b64 exec, exec, s[2:3]
	v_cmp_gt_u32_e32 vcc, s33, v46
	s_and_saveexec_b64 s[2:3], vcc
	s_cbranch_execz .LBB2079_424
.LBB2079_336:
	v_cmp_ge_u32_e32 vcc, v46, v10
                                        ; implicit-def: $vgpr12_vgpr13
	s_and_saveexec_b64 s[4:5], vcc
	s_xor_b64 s[4:5], exec, s[4:5]
; %bb.337:
	v_xor_b32_e32 v12, 0xffffe7ff, v0
	v_ashrrev_i32_e32 v13, 31, v12
	v_lshl_add_u64 v[12:13], v[6:7], 0, v[12:13]
                                        ; implicit-def: $vgpr46_vgpr47
; %bb.338:
	s_andn2_saveexec_b64 s[4:5], s[4:5]
; %bb.339:
	v_lshl_add_u64 v[12:13], v[2:3], 0, v[46:47]
; %bb.340:
	s_or_b64 exec, exec, s[4:5]
	v_lshl_add_u64 v[12:13], v[12:13], 1, s[28:29]
	s_waitcnt lgkmcnt(14)
	global_store_short v[12:13], v89, off
	s_or_b64 exec, exec, s[2:3]
	v_cmp_gt_u32_e32 vcc, s33, v44
	s_and_saveexec_b64 s[2:3], vcc
	s_cbranch_execnz .LBB2079_425
.LBB2079_341:
	s_or_b64 exec, exec, s[2:3]
	v_cmp_gt_u32_e32 vcc, s33, v42
	s_and_saveexec_b64 s[2:3], vcc
	s_cbranch_execz .LBB2079_430
.LBB2079_342:
	v_cmp_ge_u32_e32 vcc, v42, v10
                                        ; implicit-def: $vgpr12_vgpr13
	s_and_saveexec_b64 s[4:5], vcc
	s_xor_b64 s[4:5], exec, s[4:5]
; %bb.343:
	v_xor_b32_e32 v12, 0xffffe3ff, v0
	v_ashrrev_i32_e32 v13, 31, v12
	v_lshl_add_u64 v[12:13], v[6:7], 0, v[12:13]
                                        ; implicit-def: $vgpr42_vgpr43
; %bb.344:
	s_andn2_saveexec_b64 s[4:5], s[4:5]
; %bb.345:
	v_lshl_add_u64 v[12:13], v[2:3], 0, v[42:43]
; %bb.346:
	s_or_b64 exec, exec, s[4:5]
	v_lshl_add_u64 v[12:13], v[12:13], 1, s[28:29]
	s_waitcnt lgkmcnt(14)
	global_store_short v[12:13], v87, off
	s_or_b64 exec, exec, s[2:3]
	v_cmp_gt_u32_e32 vcc, s33, v40
	s_and_saveexec_b64 s[2:3], vcc
	s_cbranch_execnz .LBB2079_431
.LBB2079_347:
	s_or_b64 exec, exec, s[2:3]
	v_cmp_gt_u32_e32 vcc, s33, v38
	s_and_saveexec_b64 s[2:3], vcc
	s_cbranch_execz .LBB2079_436
.LBB2079_348:
	v_cmp_ge_u32_e32 vcc, v38, v10
                                        ; implicit-def: $vgpr12_vgpr13
	s_and_saveexec_b64 s[4:5], vcc
	s_xor_b64 s[4:5], exec, s[4:5]
; %bb.349:
	v_xor_b32_e32 v12, 0xffffdfff, v0
	v_ashrrev_i32_e32 v13, 31, v12
	v_lshl_add_u64 v[12:13], v[6:7], 0, v[12:13]
                                        ; implicit-def: $vgpr38_vgpr39
; %bb.350:
	s_andn2_saveexec_b64 s[4:5], s[4:5]
; %bb.351:
	v_lshl_add_u64 v[12:13], v[2:3], 0, v[38:39]
; %bb.352:
	s_or_b64 exec, exec, s[4:5]
	v_lshl_add_u64 v[12:13], v[12:13], 1, s[28:29]
	s_waitcnt lgkmcnt(13)
	global_store_short v[12:13], v85, off
	s_or_b64 exec, exec, s[2:3]
	v_cmp_gt_u32_e32 vcc, s33, v36
	s_and_saveexec_b64 s[2:3], vcc
	s_cbranch_execnz .LBB2079_437
.LBB2079_353:
	s_or_b64 exec, exec, s[2:3]
	v_cmp_gt_u32_e32 vcc, s33, v34
	s_and_saveexec_b64 s[2:3], vcc
	s_cbranch_execz .LBB2079_442
.LBB2079_354:
	v_cmp_ge_u32_e32 vcc, v34, v10
                                        ; implicit-def: $vgpr12_vgpr13
	s_and_saveexec_b64 s[4:5], vcc
	s_xor_b64 s[4:5], exec, s[4:5]
; %bb.355:
	v_xor_b32_e32 v12, 0xffffdbff, v0
	v_ashrrev_i32_e32 v13, 31, v12
	v_lshl_add_u64 v[12:13], v[6:7], 0, v[12:13]
                                        ; implicit-def: $vgpr34_vgpr35
; %bb.356:
	s_andn2_saveexec_b64 s[4:5], s[4:5]
; %bb.357:
	v_lshl_add_u64 v[12:13], v[2:3], 0, v[34:35]
; %bb.358:
	s_or_b64 exec, exec, s[4:5]
	v_lshl_add_u64 v[12:13], v[12:13], 1, s[28:29]
	s_waitcnt lgkmcnt(11)
	global_store_short v[12:13], v83, off
	s_or_b64 exec, exec, s[2:3]
	v_cmp_gt_u32_e32 vcc, s33, v32
	s_and_saveexec_b64 s[2:3], vcc
	s_cbranch_execnz .LBB2079_443
.LBB2079_359:
	s_or_b64 exec, exec, s[2:3]
	v_cmp_gt_u32_e32 vcc, s33, v30
	s_and_saveexec_b64 s[2:3], vcc
	s_cbranch_execz .LBB2079_448
.LBB2079_360:
	v_cmp_ge_u32_e32 vcc, v30, v10
                                        ; implicit-def: $vgpr12_vgpr13
	s_and_saveexec_b64 s[4:5], vcc
	s_xor_b64 s[4:5], exec, s[4:5]
; %bb.361:
	v_xor_b32_e32 v12, 0xffffd7ff, v0
	v_ashrrev_i32_e32 v13, 31, v12
	v_lshl_add_u64 v[12:13], v[6:7], 0, v[12:13]
                                        ; implicit-def: $vgpr30_vgpr31
; %bb.362:
	s_andn2_saveexec_b64 s[4:5], s[4:5]
; %bb.363:
	v_lshl_add_u64 v[12:13], v[2:3], 0, v[30:31]
; %bb.364:
	s_or_b64 exec, exec, s[4:5]
	v_lshl_add_u64 v[12:13], v[12:13], 1, s[28:29]
	s_waitcnt lgkmcnt(9)
	global_store_short v[12:13], v81, off
	s_or_b64 exec, exec, s[2:3]
	v_cmp_gt_u32_e32 vcc, s33, v28
	s_and_saveexec_b64 s[2:3], vcc
	s_cbranch_execnz .LBB2079_449
.LBB2079_365:
	s_or_b64 exec, exec, s[2:3]
	v_cmp_gt_u32_e32 vcc, s33, v26
	s_and_saveexec_b64 s[2:3], vcc
	s_cbranch_execz .LBB2079_454
.LBB2079_366:
	v_cmp_ge_u32_e32 vcc, v26, v10
                                        ; implicit-def: $vgpr12_vgpr13
	s_and_saveexec_b64 s[4:5], vcc
	s_xor_b64 s[4:5], exec, s[4:5]
; %bb.367:
	v_xor_b32_e32 v12, 0xffffd3ff, v0
	v_ashrrev_i32_e32 v13, 31, v12
	v_lshl_add_u64 v[12:13], v[6:7], 0, v[12:13]
                                        ; implicit-def: $vgpr26_vgpr27
; %bb.368:
	s_andn2_saveexec_b64 s[4:5], s[4:5]
; %bb.369:
	v_lshl_add_u64 v[12:13], v[2:3], 0, v[26:27]
; %bb.370:
	s_or_b64 exec, exec, s[4:5]
	v_lshl_add_u64 v[12:13], v[12:13], 1, s[28:29]
	s_waitcnt lgkmcnt(7)
	global_store_short v[12:13], v79, off
	s_or_b64 exec, exec, s[2:3]
	v_cmp_gt_u32_e32 vcc, s33, v24
	s_and_saveexec_b64 s[2:3], vcc
	s_cbranch_execnz .LBB2079_455
.LBB2079_371:
	s_or_b64 exec, exec, s[2:3]
	v_cmp_gt_u32_e32 vcc, s33, v22
	s_and_saveexec_b64 s[2:3], vcc
	s_cbranch_execz .LBB2079_460
.LBB2079_372:
	v_cmp_ge_u32_e32 vcc, v22, v10
                                        ; implicit-def: $vgpr12_vgpr13
	s_and_saveexec_b64 s[4:5], vcc
	s_xor_b64 s[4:5], exec, s[4:5]
; %bb.373:
	v_xor_b32_e32 v12, 0xffffcfff, v0
	v_ashrrev_i32_e32 v13, 31, v12
	v_lshl_add_u64 v[12:13], v[6:7], 0, v[12:13]
                                        ; implicit-def: $vgpr22_vgpr23
; %bb.374:
	s_andn2_saveexec_b64 s[4:5], s[4:5]
; %bb.375:
	v_lshl_add_u64 v[12:13], v[2:3], 0, v[22:23]
; %bb.376:
	s_or_b64 exec, exec, s[4:5]
	v_lshl_add_u64 v[12:13], v[12:13], 1, s[28:29]
	s_waitcnt lgkmcnt(5)
	global_store_short v[12:13], v77, off
	s_or_b64 exec, exec, s[2:3]
	v_cmp_gt_u32_e32 vcc, s33, v20
	s_and_saveexec_b64 s[2:3], vcc
	s_cbranch_execnz .LBB2079_461
.LBB2079_377:
	s_or_b64 exec, exec, s[2:3]
	v_cmp_gt_u32_e32 vcc, s33, v18
	s_and_saveexec_b64 s[2:3], vcc
	s_cbranch_execz .LBB2079_466
.LBB2079_378:
	v_cmp_ge_u32_e32 vcc, v18, v10
                                        ; implicit-def: $vgpr12_vgpr13
	s_and_saveexec_b64 s[4:5], vcc
	s_xor_b64 s[4:5], exec, s[4:5]
; %bb.379:
	v_xor_b32_e32 v12, 0xffffcbff, v0
	v_ashrrev_i32_e32 v13, 31, v12
	v_lshl_add_u64 v[12:13], v[6:7], 0, v[12:13]
                                        ; implicit-def: $vgpr18_vgpr19
; %bb.380:
	s_andn2_saveexec_b64 s[4:5], s[4:5]
; %bb.381:
	v_lshl_add_u64 v[12:13], v[2:3], 0, v[18:19]
; %bb.382:
	s_or_b64 exec, exec, s[4:5]
	v_lshl_add_u64 v[12:13], v[12:13], 1, s[28:29]
	s_waitcnt lgkmcnt(3)
	global_store_short v[12:13], v75, off
	s_or_b64 exec, exec, s[2:3]
	v_cmp_gt_u32_e32 vcc, s33, v16
	s_and_saveexec_b64 s[2:3], vcc
	s_cbranch_execnz .LBB2079_467
.LBB2079_383:
	s_or_b64 exec, exec, s[2:3]
	v_cmp_gt_u32_e32 vcc, s33, v8
	s_and_saveexec_b64 s[2:3], vcc
	s_cbranch_execnz .LBB2079_472
.LBB2079_384:
	s_or_b64 exec, exec, s[2:3]
	v_cmp_gt_u32_e32 vcc, s33, v4
                                        ; implicit-def: $vgpr12_vgpr13
	s_and_saveexec_b64 s[2:3], vcc
	s_cbranch_execnz .LBB2079_477
.LBB2079_385:
	s_or_b64 exec, exec, s[2:3]
	s_and_saveexec_b64 s[2:3], s[0:1]
	s_cbranch_execnz .LBB2079_296
.LBB2079_386:
	s_or_b64 exec, exec, s[2:3]
	s_and_b64 s[0:1], s[18:19], s[22:23]
	s_and_saveexec_b64 s[2:3], s[0:1]
	s_cbranch_execz .LBB2079_297
.LBB2079_387:
	v_mov_b32_e32 v4, 0
	v_lshl_add_u64 v[0:1], v[2:3], 0, v[10:11]
	global_store_dwordx2 v4, v[0:1], s[20:21]
	s_endpgm
.LBB2079_388:
	s_or_b64 exec, exec, s[2:3]
	v_cmp_gt_u32_e32 vcc, s33, v68
	s_and_saveexec_b64 s[2:3], vcc
	s_cbranch_execz .LBB2079_305
.LBB2079_389:
	v_cmp_ge_u32_e32 vcc, v68, v10
                                        ; implicit-def: $vgpr12_vgpr13
	s_and_saveexec_b64 s[4:5], vcc
	s_xor_b64 s[4:5], exec, s[4:5]
; %bb.390:
	v_xor_b32_e32 v12, 0xfffffdff, v0
	v_ashrrev_i32_e32 v13, 31, v12
	v_lshl_add_u64 v[12:13], v[6:7], 0, v[12:13]
                                        ; implicit-def: $vgpr68_vgpr69
; %bb.391:
	s_andn2_saveexec_b64 s[4:5], s[4:5]
; %bb.392:
	v_lshl_add_u64 v[12:13], v[2:3], 0, v[68:69]
; %bb.393:
	s_or_b64 exec, exec, s[4:5]
	v_lshl_add_u64 v[12:13], v[12:13], 1, s[28:29]
	s_waitcnt lgkmcnt(14)
	global_store_short v[12:13], v100, off
	s_or_b64 exec, exec, s[2:3]
	v_cmp_gt_u32_e32 vcc, s33, v66
	s_and_saveexec_b64 s[2:3], vcc
	s_cbranch_execnz .LBB2079_306
.LBB2079_394:
	s_or_b64 exec, exec, s[2:3]
	v_cmp_gt_u32_e32 vcc, s33, v64
	s_and_saveexec_b64 s[2:3], vcc
	s_cbranch_execz .LBB2079_311
.LBB2079_395:
	v_cmp_ge_u32_e32 vcc, v64, v10
                                        ; implicit-def: $vgpr12_vgpr13
	s_and_saveexec_b64 s[4:5], vcc
	s_xor_b64 s[4:5], exec, s[4:5]
; %bb.396:
	v_xor_b32_e32 v12, 0xfffff9ff, v0
	v_ashrrev_i32_e32 v13, 31, v12
	v_lshl_add_u64 v[12:13], v[6:7], 0, v[12:13]
                                        ; implicit-def: $vgpr64_vgpr65
; %bb.397:
	s_andn2_saveexec_b64 s[4:5], s[4:5]
; %bb.398:
	v_lshl_add_u64 v[12:13], v[2:3], 0, v[64:65]
; %bb.399:
	s_or_b64 exec, exec, s[4:5]
	v_lshl_add_u64 v[12:13], v[12:13], 1, s[28:29]
	s_waitcnt lgkmcnt(14)
	global_store_short v[12:13], v98, off
	s_or_b64 exec, exec, s[2:3]
	v_cmp_gt_u32_e32 vcc, s33, v62
	s_and_saveexec_b64 s[2:3], vcc
	s_cbranch_execnz .LBB2079_312
.LBB2079_400:
	s_or_b64 exec, exec, s[2:3]
	v_cmp_gt_u32_e32 vcc, s33, v60
	s_and_saveexec_b64 s[2:3], vcc
	s_cbranch_execz .LBB2079_317
.LBB2079_401:
	v_cmp_ge_u32_e32 vcc, v60, v10
                                        ; implicit-def: $vgpr12_vgpr13
	s_and_saveexec_b64 s[4:5], vcc
	s_xor_b64 s[4:5], exec, s[4:5]
; %bb.402:
	v_xor_b32_e32 v12, 0xfffff5ff, v0
	v_ashrrev_i32_e32 v13, 31, v12
	v_lshl_add_u64 v[12:13], v[6:7], 0, v[12:13]
                                        ; implicit-def: $vgpr60_vgpr61
; %bb.403:
	s_andn2_saveexec_b64 s[4:5], s[4:5]
; %bb.404:
	v_lshl_add_u64 v[12:13], v[2:3], 0, v[60:61]
; %bb.405:
	s_or_b64 exec, exec, s[4:5]
	v_lshl_add_u64 v[12:13], v[12:13], 1, s[28:29]
	s_waitcnt lgkmcnt(14)
	global_store_short v[12:13], v96, off
	s_or_b64 exec, exec, s[2:3]
	v_cmp_gt_u32_e32 vcc, s33, v58
	s_and_saveexec_b64 s[2:3], vcc
	s_cbranch_execnz .LBB2079_318
.LBB2079_406:
	s_or_b64 exec, exec, s[2:3]
	v_cmp_gt_u32_e32 vcc, s33, v56
	s_and_saveexec_b64 s[2:3], vcc
	s_cbranch_execz .LBB2079_323
.LBB2079_407:
	v_cmp_ge_u32_e32 vcc, v56, v10
                                        ; implicit-def: $vgpr12_vgpr13
	s_and_saveexec_b64 s[4:5], vcc
	s_xor_b64 s[4:5], exec, s[4:5]
; %bb.408:
	v_xor_b32_e32 v12, 0xfffff1ff, v0
	v_ashrrev_i32_e32 v13, 31, v12
	v_lshl_add_u64 v[12:13], v[6:7], 0, v[12:13]
                                        ; implicit-def: $vgpr56_vgpr57
; %bb.409:
	s_andn2_saveexec_b64 s[4:5], s[4:5]
; %bb.410:
	v_lshl_add_u64 v[12:13], v[2:3], 0, v[56:57]
; %bb.411:
	s_or_b64 exec, exec, s[4:5]
	v_lshl_add_u64 v[12:13], v[12:13], 1, s[28:29]
	s_waitcnt lgkmcnt(14)
	global_store_short v[12:13], v94, off
	s_or_b64 exec, exec, s[2:3]
	v_cmp_gt_u32_e32 vcc, s33, v54
	s_and_saveexec_b64 s[2:3], vcc
	s_cbranch_execnz .LBB2079_324
.LBB2079_412:
	s_or_b64 exec, exec, s[2:3]
	v_cmp_gt_u32_e32 vcc, s33, v52
	s_and_saveexec_b64 s[2:3], vcc
	s_cbranch_execz .LBB2079_329
.LBB2079_413:
	v_cmp_ge_u32_e32 vcc, v52, v10
                                        ; implicit-def: $vgpr12_vgpr13
	s_and_saveexec_b64 s[4:5], vcc
	s_xor_b64 s[4:5], exec, s[4:5]
; %bb.414:
	v_xor_b32_e32 v12, 0xffffedff, v0
	v_ashrrev_i32_e32 v13, 31, v12
	v_lshl_add_u64 v[12:13], v[6:7], 0, v[12:13]
                                        ; implicit-def: $vgpr52_vgpr53
; %bb.415:
	s_andn2_saveexec_b64 s[4:5], s[4:5]
; %bb.416:
	v_lshl_add_u64 v[12:13], v[2:3], 0, v[52:53]
; %bb.417:
	s_or_b64 exec, exec, s[4:5]
	v_lshl_add_u64 v[12:13], v[12:13], 1, s[28:29]
	s_waitcnt lgkmcnt(14)
	global_store_short v[12:13], v92, off
	s_or_b64 exec, exec, s[2:3]
	v_cmp_gt_u32_e32 vcc, s33, v50
	s_and_saveexec_b64 s[2:3], vcc
	s_cbranch_execnz .LBB2079_330
.LBB2079_418:
	s_or_b64 exec, exec, s[2:3]
	v_cmp_gt_u32_e32 vcc, s33, v48
	s_and_saveexec_b64 s[2:3], vcc
	s_cbranch_execz .LBB2079_335
.LBB2079_419:
	v_cmp_ge_u32_e32 vcc, v48, v10
                                        ; implicit-def: $vgpr12_vgpr13
	s_and_saveexec_b64 s[4:5], vcc
	s_xor_b64 s[4:5], exec, s[4:5]
; %bb.420:
	v_xor_b32_e32 v12, 0xffffe9ff, v0
	v_ashrrev_i32_e32 v13, 31, v12
	v_lshl_add_u64 v[12:13], v[6:7], 0, v[12:13]
                                        ; implicit-def: $vgpr48_vgpr49
; %bb.421:
	s_andn2_saveexec_b64 s[4:5], s[4:5]
; %bb.422:
	v_lshl_add_u64 v[12:13], v[2:3], 0, v[48:49]
; %bb.423:
	s_or_b64 exec, exec, s[4:5]
	v_lshl_add_u64 v[12:13], v[12:13], 1, s[28:29]
	s_waitcnt lgkmcnt(14)
	global_store_short v[12:13], v90, off
	s_or_b64 exec, exec, s[2:3]
	v_cmp_gt_u32_e32 vcc, s33, v46
	s_and_saveexec_b64 s[2:3], vcc
	s_cbranch_execnz .LBB2079_336
.LBB2079_424:
	s_or_b64 exec, exec, s[2:3]
	v_cmp_gt_u32_e32 vcc, s33, v44
	s_and_saveexec_b64 s[2:3], vcc
	s_cbranch_execz .LBB2079_341
.LBB2079_425:
	v_cmp_ge_u32_e32 vcc, v44, v10
                                        ; implicit-def: $vgpr12_vgpr13
	s_and_saveexec_b64 s[4:5], vcc
	s_xor_b64 s[4:5], exec, s[4:5]
; %bb.426:
	v_xor_b32_e32 v12, 0xffffe5ff, v0
	v_ashrrev_i32_e32 v13, 31, v12
	v_lshl_add_u64 v[12:13], v[6:7], 0, v[12:13]
                                        ; implicit-def: $vgpr44_vgpr45
; %bb.427:
	s_andn2_saveexec_b64 s[4:5], s[4:5]
; %bb.428:
	v_lshl_add_u64 v[12:13], v[2:3], 0, v[44:45]
; %bb.429:
	s_or_b64 exec, exec, s[4:5]
	v_lshl_add_u64 v[12:13], v[12:13], 1, s[28:29]
	s_waitcnt lgkmcnt(14)
	global_store_short v[12:13], v88, off
	s_or_b64 exec, exec, s[2:3]
	v_cmp_gt_u32_e32 vcc, s33, v42
	s_and_saveexec_b64 s[2:3], vcc
	s_cbranch_execnz .LBB2079_342
.LBB2079_430:
	s_or_b64 exec, exec, s[2:3]
	v_cmp_gt_u32_e32 vcc, s33, v40
	s_and_saveexec_b64 s[2:3], vcc
	s_cbranch_execz .LBB2079_347
.LBB2079_431:
	v_cmp_ge_u32_e32 vcc, v40, v10
                                        ; implicit-def: $vgpr12_vgpr13
	s_and_saveexec_b64 s[4:5], vcc
	s_xor_b64 s[4:5], exec, s[4:5]
; %bb.432:
	v_xor_b32_e32 v12, 0xffffe1ff, v0
	v_ashrrev_i32_e32 v13, 31, v12
	v_lshl_add_u64 v[12:13], v[6:7], 0, v[12:13]
                                        ; implicit-def: $vgpr40_vgpr41
; %bb.433:
	s_andn2_saveexec_b64 s[4:5], s[4:5]
; %bb.434:
	v_lshl_add_u64 v[12:13], v[2:3], 0, v[40:41]
; %bb.435:
	s_or_b64 exec, exec, s[4:5]
	v_lshl_add_u64 v[12:13], v[12:13], 1, s[28:29]
	s_waitcnt lgkmcnt(14)
	global_store_short v[12:13], v86, off
	s_or_b64 exec, exec, s[2:3]
	v_cmp_gt_u32_e32 vcc, s33, v38
	s_and_saveexec_b64 s[2:3], vcc
	s_cbranch_execnz .LBB2079_348
.LBB2079_436:
	s_or_b64 exec, exec, s[2:3]
	v_cmp_gt_u32_e32 vcc, s33, v36
	s_and_saveexec_b64 s[2:3], vcc
	s_cbranch_execz .LBB2079_353
.LBB2079_437:
	v_cmp_ge_u32_e32 vcc, v36, v10
                                        ; implicit-def: $vgpr12_vgpr13
	s_and_saveexec_b64 s[4:5], vcc
	s_xor_b64 s[4:5], exec, s[4:5]
; %bb.438:
	v_xor_b32_e32 v12, 0xffffddff, v0
	v_ashrrev_i32_e32 v13, 31, v12
	v_lshl_add_u64 v[12:13], v[6:7], 0, v[12:13]
                                        ; implicit-def: $vgpr36_vgpr37
; %bb.439:
	s_andn2_saveexec_b64 s[4:5], s[4:5]
; %bb.440:
	v_lshl_add_u64 v[12:13], v[2:3], 0, v[36:37]
; %bb.441:
	s_or_b64 exec, exec, s[4:5]
	v_lshl_add_u64 v[12:13], v[12:13], 1, s[28:29]
	s_waitcnt lgkmcnt(12)
	global_store_short v[12:13], v84, off
	s_or_b64 exec, exec, s[2:3]
	v_cmp_gt_u32_e32 vcc, s33, v34
	s_and_saveexec_b64 s[2:3], vcc
	s_cbranch_execnz .LBB2079_354
.LBB2079_442:
	s_or_b64 exec, exec, s[2:3]
	v_cmp_gt_u32_e32 vcc, s33, v32
	s_and_saveexec_b64 s[2:3], vcc
	s_cbranch_execz .LBB2079_359
.LBB2079_443:
	v_cmp_ge_u32_e32 vcc, v32, v10
                                        ; implicit-def: $vgpr12_vgpr13
	s_and_saveexec_b64 s[4:5], vcc
	s_xor_b64 s[4:5], exec, s[4:5]
; %bb.444:
	v_xor_b32_e32 v12, 0xffffd9ff, v0
	v_ashrrev_i32_e32 v13, 31, v12
	v_lshl_add_u64 v[12:13], v[6:7], 0, v[12:13]
                                        ; implicit-def: $vgpr32_vgpr33
; %bb.445:
	s_andn2_saveexec_b64 s[4:5], s[4:5]
; %bb.446:
	v_lshl_add_u64 v[12:13], v[2:3], 0, v[32:33]
; %bb.447:
	s_or_b64 exec, exec, s[4:5]
	v_lshl_add_u64 v[12:13], v[12:13], 1, s[28:29]
	s_waitcnt lgkmcnt(10)
	global_store_short v[12:13], v82, off
	s_or_b64 exec, exec, s[2:3]
	v_cmp_gt_u32_e32 vcc, s33, v30
	s_and_saveexec_b64 s[2:3], vcc
	s_cbranch_execnz .LBB2079_360
.LBB2079_448:
	s_or_b64 exec, exec, s[2:3]
	v_cmp_gt_u32_e32 vcc, s33, v28
	s_and_saveexec_b64 s[2:3], vcc
	s_cbranch_execz .LBB2079_365
.LBB2079_449:
	v_cmp_ge_u32_e32 vcc, v28, v10
                                        ; implicit-def: $vgpr12_vgpr13
	s_and_saveexec_b64 s[4:5], vcc
	s_xor_b64 s[4:5], exec, s[4:5]
; %bb.450:
	v_xor_b32_e32 v12, 0xffffd5ff, v0
	v_ashrrev_i32_e32 v13, 31, v12
	v_lshl_add_u64 v[12:13], v[6:7], 0, v[12:13]
                                        ; implicit-def: $vgpr28_vgpr29
; %bb.451:
	s_andn2_saveexec_b64 s[4:5], s[4:5]
; %bb.452:
	v_lshl_add_u64 v[12:13], v[2:3], 0, v[28:29]
; %bb.453:
	s_or_b64 exec, exec, s[4:5]
	v_lshl_add_u64 v[12:13], v[12:13], 1, s[28:29]
	s_waitcnt lgkmcnt(8)
	global_store_short v[12:13], v80, off
	s_or_b64 exec, exec, s[2:3]
	v_cmp_gt_u32_e32 vcc, s33, v26
	s_and_saveexec_b64 s[2:3], vcc
	s_cbranch_execnz .LBB2079_366
.LBB2079_454:
	s_or_b64 exec, exec, s[2:3]
	v_cmp_gt_u32_e32 vcc, s33, v24
	s_and_saveexec_b64 s[2:3], vcc
	s_cbranch_execz .LBB2079_371
.LBB2079_455:
	v_cmp_ge_u32_e32 vcc, v24, v10
                                        ; implicit-def: $vgpr12_vgpr13
	s_and_saveexec_b64 s[4:5], vcc
	s_xor_b64 s[4:5], exec, s[4:5]
; %bb.456:
	v_xor_b32_e32 v12, 0xffffd1ff, v0
	v_ashrrev_i32_e32 v13, 31, v12
	v_lshl_add_u64 v[12:13], v[6:7], 0, v[12:13]
                                        ; implicit-def: $vgpr24_vgpr25
; %bb.457:
	s_andn2_saveexec_b64 s[4:5], s[4:5]
; %bb.458:
	v_lshl_add_u64 v[12:13], v[2:3], 0, v[24:25]
; %bb.459:
	s_or_b64 exec, exec, s[4:5]
	v_lshl_add_u64 v[12:13], v[12:13], 1, s[28:29]
	s_waitcnt lgkmcnt(6)
	global_store_short v[12:13], v78, off
	s_or_b64 exec, exec, s[2:3]
	v_cmp_gt_u32_e32 vcc, s33, v22
	s_and_saveexec_b64 s[2:3], vcc
	s_cbranch_execnz .LBB2079_372
.LBB2079_460:
	s_or_b64 exec, exec, s[2:3]
	v_cmp_gt_u32_e32 vcc, s33, v20
	s_and_saveexec_b64 s[2:3], vcc
	s_cbranch_execz .LBB2079_377
.LBB2079_461:
	v_cmp_ge_u32_e32 vcc, v20, v10
                                        ; implicit-def: $vgpr12_vgpr13
	s_and_saveexec_b64 s[4:5], vcc
	s_xor_b64 s[4:5], exec, s[4:5]
; %bb.462:
	v_xor_b32_e32 v12, 0xffffcdff, v0
	v_ashrrev_i32_e32 v13, 31, v12
	v_lshl_add_u64 v[12:13], v[6:7], 0, v[12:13]
                                        ; implicit-def: $vgpr20_vgpr21
; %bb.463:
	s_andn2_saveexec_b64 s[4:5], s[4:5]
; %bb.464:
	v_lshl_add_u64 v[12:13], v[2:3], 0, v[20:21]
; %bb.465:
	s_or_b64 exec, exec, s[4:5]
	v_lshl_add_u64 v[12:13], v[12:13], 1, s[28:29]
	s_waitcnt lgkmcnt(4)
	global_store_short v[12:13], v76, off
	s_or_b64 exec, exec, s[2:3]
	v_cmp_gt_u32_e32 vcc, s33, v18
	s_and_saveexec_b64 s[2:3], vcc
	s_cbranch_execnz .LBB2079_378
.LBB2079_466:
	s_or_b64 exec, exec, s[2:3]
	v_cmp_gt_u32_e32 vcc, s33, v16
	s_and_saveexec_b64 s[2:3], vcc
	s_cbranch_execz .LBB2079_383
.LBB2079_467:
	v_cmp_ge_u32_e32 vcc, v16, v10
                                        ; implicit-def: $vgpr12_vgpr13
	s_and_saveexec_b64 s[4:5], vcc
	s_xor_b64 s[4:5], exec, s[4:5]
; %bb.468:
	v_xor_b32_e32 v12, 0xffffc9ff, v0
	v_ashrrev_i32_e32 v13, 31, v12
	v_lshl_add_u64 v[12:13], v[6:7], 0, v[12:13]
                                        ; implicit-def: $vgpr16_vgpr17
; %bb.469:
	s_andn2_saveexec_b64 s[4:5], s[4:5]
; %bb.470:
	v_lshl_add_u64 v[12:13], v[2:3], 0, v[16:17]
; %bb.471:
	s_or_b64 exec, exec, s[4:5]
	v_lshl_add_u64 v[12:13], v[12:13], 1, s[28:29]
	s_waitcnt lgkmcnt(2)
	global_store_short v[12:13], v74, off
	s_or_b64 exec, exec, s[2:3]
	v_cmp_gt_u32_e32 vcc, s33, v8
	s_and_saveexec_b64 s[2:3], vcc
	s_cbranch_execz .LBB2079_384
.LBB2079_472:
	v_cmp_ge_u32_e32 vcc, v8, v10
                                        ; implicit-def: $vgpr12_vgpr13
	s_and_saveexec_b64 s[4:5], vcc
	s_xor_b64 s[4:5], exec, s[4:5]
; %bb.473:
	v_xor_b32_e32 v8, 0xffffc7ff, v0
	v_ashrrev_i32_e32 v9, 31, v8
	v_lshl_add_u64 v[12:13], v[6:7], 0, v[8:9]
                                        ; implicit-def: $vgpr8_vgpr9
; %bb.474:
	s_andn2_saveexec_b64 s[4:5], s[4:5]
; %bb.475:
	v_lshl_add_u64 v[12:13], v[2:3], 0, v[8:9]
; %bb.476:
	s_or_b64 exec, exec, s[4:5]
	v_lshl_add_u64 v[8:9], v[12:13], 1, s[28:29]
	s_waitcnt lgkmcnt(1)
	global_store_short v[8:9], v73, off
	s_or_b64 exec, exec, s[2:3]
	v_cmp_gt_u32_e32 vcc, s33, v4
                                        ; implicit-def: $vgpr12_vgpr13
	s_and_saveexec_b64 s[2:3], vcc
	s_cbranch_execz .LBB2079_385
.LBB2079_477:
	v_cmp_ge_u32_e32 vcc, v4, v10
                                        ; implicit-def: $vgpr12_vgpr13
	s_and_saveexec_b64 s[4:5], vcc
	s_xor_b64 s[4:5], exec, s[4:5]
; %bb.478:
	v_xor_b32_e32 v0, 0xffffc5ff, v0
	v_ashrrev_i32_e32 v1, 31, v0
	v_lshl_add_u64 v[12:13], v[6:7], 0, v[0:1]
                                        ; implicit-def: $vgpr4_vgpr5
; %bb.479:
	s_andn2_saveexec_b64 s[4:5], s[4:5]
; %bb.480:
	v_lshl_add_u64 v[12:13], v[2:3], 0, v[4:5]
; %bb.481:
	s_or_b64 exec, exec, s[4:5]
	s_or_b64 s[0:1], s[0:1], exec
	s_or_b64 exec, exec, s[2:3]
	s_and_saveexec_b64 s[2:3], s[0:1]
	s_cbranch_execnz .LBB2079_296
	s_branch .LBB2079_386
	.section	.rodata,"a",@progbits
	.p2align	6, 0x0
	.amdhsa_kernel _ZN7rocprim17ROCPRIM_400000_NS6detail17trampoline_kernelINS0_14default_configENS1_25partition_config_selectorILNS1_17partition_subalgoE2EtNS0_10empty_typeEbEEZZNS1_14partition_implILS5_2ELb0ES3_jN6thrust23THRUST_200600_302600_NS6detail15normal_iteratorINSA_7pointerItNSA_11hip_rocprim3tagENSA_11use_defaultESG_EEEEPS6_NSA_18transform_iteratorI7is_evenItENSC_INSA_10device_ptrItEEEESG_SG_EENS0_5tupleIJPtSJ_EEENSR_IJSJ_SJ_EEES6_PlJS6_EEE10hipError_tPvRmT3_T4_T5_T6_T7_T9_mT8_P12ihipStream_tbDpT10_ENKUlT_T0_E_clISt17integral_constantIbLb1EES1F_EEDaS1A_S1B_EUlS1A_E_NS1_11comp_targetILNS1_3genE5ELNS1_11target_archE942ELNS1_3gpuE9ELNS1_3repE0EEENS1_30default_config_static_selectorELNS0_4arch9wavefront6targetE1EEEvT1_
		.amdhsa_group_segment_fixed_size 30728
		.amdhsa_private_segment_fixed_size 0
		.amdhsa_kernarg_size 144
		.amdhsa_user_sgpr_count 2
		.amdhsa_user_sgpr_dispatch_ptr 0
		.amdhsa_user_sgpr_queue_ptr 0
		.amdhsa_user_sgpr_kernarg_segment_ptr 1
		.amdhsa_user_sgpr_dispatch_id 0
		.amdhsa_user_sgpr_kernarg_preload_length 0
		.amdhsa_user_sgpr_kernarg_preload_offset 0
		.amdhsa_user_sgpr_private_segment_size 0
		.amdhsa_uses_dynamic_stack 0
		.amdhsa_enable_private_segment 0
		.amdhsa_system_sgpr_workgroup_id_x 1
		.amdhsa_system_sgpr_workgroup_id_y 0
		.amdhsa_system_sgpr_workgroup_id_z 0
		.amdhsa_system_sgpr_workgroup_info 0
		.amdhsa_system_vgpr_workitem_id 0
		.amdhsa_next_free_vgpr 102
		.amdhsa_next_free_sgpr 46
		.amdhsa_accum_offset 104
		.amdhsa_reserve_vcc 1
		.amdhsa_float_round_mode_32 0
		.amdhsa_float_round_mode_16_64 0
		.amdhsa_float_denorm_mode_32 3
		.amdhsa_float_denorm_mode_16_64 3
		.amdhsa_dx10_clamp 1
		.amdhsa_ieee_mode 1
		.amdhsa_fp16_overflow 0
		.amdhsa_tg_split 0
		.amdhsa_exception_fp_ieee_invalid_op 0
		.amdhsa_exception_fp_denorm_src 0
		.amdhsa_exception_fp_ieee_div_zero 0
		.amdhsa_exception_fp_ieee_overflow 0
		.amdhsa_exception_fp_ieee_underflow 0
		.amdhsa_exception_fp_ieee_inexact 0
		.amdhsa_exception_int_div_zero 0
	.end_amdhsa_kernel
	.section	.text._ZN7rocprim17ROCPRIM_400000_NS6detail17trampoline_kernelINS0_14default_configENS1_25partition_config_selectorILNS1_17partition_subalgoE2EtNS0_10empty_typeEbEEZZNS1_14partition_implILS5_2ELb0ES3_jN6thrust23THRUST_200600_302600_NS6detail15normal_iteratorINSA_7pointerItNSA_11hip_rocprim3tagENSA_11use_defaultESG_EEEEPS6_NSA_18transform_iteratorI7is_evenItENSC_INSA_10device_ptrItEEEESG_SG_EENS0_5tupleIJPtSJ_EEENSR_IJSJ_SJ_EEES6_PlJS6_EEE10hipError_tPvRmT3_T4_T5_T6_T7_T9_mT8_P12ihipStream_tbDpT10_ENKUlT_T0_E_clISt17integral_constantIbLb1EES1F_EEDaS1A_S1B_EUlS1A_E_NS1_11comp_targetILNS1_3genE5ELNS1_11target_archE942ELNS1_3gpuE9ELNS1_3repE0EEENS1_30default_config_static_selectorELNS0_4arch9wavefront6targetE1EEEvT1_,"axG",@progbits,_ZN7rocprim17ROCPRIM_400000_NS6detail17trampoline_kernelINS0_14default_configENS1_25partition_config_selectorILNS1_17partition_subalgoE2EtNS0_10empty_typeEbEEZZNS1_14partition_implILS5_2ELb0ES3_jN6thrust23THRUST_200600_302600_NS6detail15normal_iteratorINSA_7pointerItNSA_11hip_rocprim3tagENSA_11use_defaultESG_EEEEPS6_NSA_18transform_iteratorI7is_evenItENSC_INSA_10device_ptrItEEEESG_SG_EENS0_5tupleIJPtSJ_EEENSR_IJSJ_SJ_EEES6_PlJS6_EEE10hipError_tPvRmT3_T4_T5_T6_T7_T9_mT8_P12ihipStream_tbDpT10_ENKUlT_T0_E_clISt17integral_constantIbLb1EES1F_EEDaS1A_S1B_EUlS1A_E_NS1_11comp_targetILNS1_3genE5ELNS1_11target_archE942ELNS1_3gpuE9ELNS1_3repE0EEENS1_30default_config_static_selectorELNS0_4arch9wavefront6targetE1EEEvT1_,comdat
.Lfunc_end2079:
	.size	_ZN7rocprim17ROCPRIM_400000_NS6detail17trampoline_kernelINS0_14default_configENS1_25partition_config_selectorILNS1_17partition_subalgoE2EtNS0_10empty_typeEbEEZZNS1_14partition_implILS5_2ELb0ES3_jN6thrust23THRUST_200600_302600_NS6detail15normal_iteratorINSA_7pointerItNSA_11hip_rocprim3tagENSA_11use_defaultESG_EEEEPS6_NSA_18transform_iteratorI7is_evenItENSC_INSA_10device_ptrItEEEESG_SG_EENS0_5tupleIJPtSJ_EEENSR_IJSJ_SJ_EEES6_PlJS6_EEE10hipError_tPvRmT3_T4_T5_T6_T7_T9_mT8_P12ihipStream_tbDpT10_ENKUlT_T0_E_clISt17integral_constantIbLb1EES1F_EEDaS1A_S1B_EUlS1A_E_NS1_11comp_targetILNS1_3genE5ELNS1_11target_archE942ELNS1_3gpuE9ELNS1_3repE0EEENS1_30default_config_static_selectorELNS0_4arch9wavefront6targetE1EEEvT1_, .Lfunc_end2079-_ZN7rocprim17ROCPRIM_400000_NS6detail17trampoline_kernelINS0_14default_configENS1_25partition_config_selectorILNS1_17partition_subalgoE2EtNS0_10empty_typeEbEEZZNS1_14partition_implILS5_2ELb0ES3_jN6thrust23THRUST_200600_302600_NS6detail15normal_iteratorINSA_7pointerItNSA_11hip_rocprim3tagENSA_11use_defaultESG_EEEEPS6_NSA_18transform_iteratorI7is_evenItENSC_INSA_10device_ptrItEEEESG_SG_EENS0_5tupleIJPtSJ_EEENSR_IJSJ_SJ_EEES6_PlJS6_EEE10hipError_tPvRmT3_T4_T5_T6_T7_T9_mT8_P12ihipStream_tbDpT10_ENKUlT_T0_E_clISt17integral_constantIbLb1EES1F_EEDaS1A_S1B_EUlS1A_E_NS1_11comp_targetILNS1_3genE5ELNS1_11target_archE942ELNS1_3gpuE9ELNS1_3repE0EEENS1_30default_config_static_selectorELNS0_4arch9wavefront6targetE1EEEvT1_
                                        ; -- End function
	.section	.AMDGPU.csdata,"",@progbits
; Kernel info:
; codeLenInByte = 14860
; NumSgprs: 52
; NumVgprs: 102
; NumAgprs: 0
; TotalNumVgprs: 102
; ScratchSize: 0
; MemoryBound: 0
; FloatMode: 240
; IeeeMode: 1
; LDSByteSize: 30728 bytes/workgroup (compile time only)
; SGPRBlocks: 6
; VGPRBlocks: 12
; NumSGPRsForWavesPerEU: 52
; NumVGPRsForWavesPerEU: 102
; AccumOffset: 104
; Occupancy: 4
; WaveLimiterHint : 1
; COMPUTE_PGM_RSRC2:SCRATCH_EN: 0
; COMPUTE_PGM_RSRC2:USER_SGPR: 2
; COMPUTE_PGM_RSRC2:TRAP_HANDLER: 0
; COMPUTE_PGM_RSRC2:TGID_X_EN: 1
; COMPUTE_PGM_RSRC2:TGID_Y_EN: 0
; COMPUTE_PGM_RSRC2:TGID_Z_EN: 0
; COMPUTE_PGM_RSRC2:TIDIG_COMP_CNT: 0
; COMPUTE_PGM_RSRC3_GFX90A:ACCUM_OFFSET: 25
; COMPUTE_PGM_RSRC3_GFX90A:TG_SPLIT: 0
	.section	.text._ZN7rocprim17ROCPRIM_400000_NS6detail17trampoline_kernelINS0_14default_configENS1_25partition_config_selectorILNS1_17partition_subalgoE2EtNS0_10empty_typeEbEEZZNS1_14partition_implILS5_2ELb0ES3_jN6thrust23THRUST_200600_302600_NS6detail15normal_iteratorINSA_7pointerItNSA_11hip_rocprim3tagENSA_11use_defaultESG_EEEEPS6_NSA_18transform_iteratorI7is_evenItENSC_INSA_10device_ptrItEEEESG_SG_EENS0_5tupleIJPtSJ_EEENSR_IJSJ_SJ_EEES6_PlJS6_EEE10hipError_tPvRmT3_T4_T5_T6_T7_T9_mT8_P12ihipStream_tbDpT10_ENKUlT_T0_E_clISt17integral_constantIbLb1EES1F_EEDaS1A_S1B_EUlS1A_E_NS1_11comp_targetILNS1_3genE4ELNS1_11target_archE910ELNS1_3gpuE8ELNS1_3repE0EEENS1_30default_config_static_selectorELNS0_4arch9wavefront6targetE1EEEvT1_,"axG",@progbits,_ZN7rocprim17ROCPRIM_400000_NS6detail17trampoline_kernelINS0_14default_configENS1_25partition_config_selectorILNS1_17partition_subalgoE2EtNS0_10empty_typeEbEEZZNS1_14partition_implILS5_2ELb0ES3_jN6thrust23THRUST_200600_302600_NS6detail15normal_iteratorINSA_7pointerItNSA_11hip_rocprim3tagENSA_11use_defaultESG_EEEEPS6_NSA_18transform_iteratorI7is_evenItENSC_INSA_10device_ptrItEEEESG_SG_EENS0_5tupleIJPtSJ_EEENSR_IJSJ_SJ_EEES6_PlJS6_EEE10hipError_tPvRmT3_T4_T5_T6_T7_T9_mT8_P12ihipStream_tbDpT10_ENKUlT_T0_E_clISt17integral_constantIbLb1EES1F_EEDaS1A_S1B_EUlS1A_E_NS1_11comp_targetILNS1_3genE4ELNS1_11target_archE910ELNS1_3gpuE8ELNS1_3repE0EEENS1_30default_config_static_selectorELNS0_4arch9wavefront6targetE1EEEvT1_,comdat
	.protected	_ZN7rocprim17ROCPRIM_400000_NS6detail17trampoline_kernelINS0_14default_configENS1_25partition_config_selectorILNS1_17partition_subalgoE2EtNS0_10empty_typeEbEEZZNS1_14partition_implILS5_2ELb0ES3_jN6thrust23THRUST_200600_302600_NS6detail15normal_iteratorINSA_7pointerItNSA_11hip_rocprim3tagENSA_11use_defaultESG_EEEEPS6_NSA_18transform_iteratorI7is_evenItENSC_INSA_10device_ptrItEEEESG_SG_EENS0_5tupleIJPtSJ_EEENSR_IJSJ_SJ_EEES6_PlJS6_EEE10hipError_tPvRmT3_T4_T5_T6_T7_T9_mT8_P12ihipStream_tbDpT10_ENKUlT_T0_E_clISt17integral_constantIbLb1EES1F_EEDaS1A_S1B_EUlS1A_E_NS1_11comp_targetILNS1_3genE4ELNS1_11target_archE910ELNS1_3gpuE8ELNS1_3repE0EEENS1_30default_config_static_selectorELNS0_4arch9wavefront6targetE1EEEvT1_ ; -- Begin function _ZN7rocprim17ROCPRIM_400000_NS6detail17trampoline_kernelINS0_14default_configENS1_25partition_config_selectorILNS1_17partition_subalgoE2EtNS0_10empty_typeEbEEZZNS1_14partition_implILS5_2ELb0ES3_jN6thrust23THRUST_200600_302600_NS6detail15normal_iteratorINSA_7pointerItNSA_11hip_rocprim3tagENSA_11use_defaultESG_EEEEPS6_NSA_18transform_iteratorI7is_evenItENSC_INSA_10device_ptrItEEEESG_SG_EENS0_5tupleIJPtSJ_EEENSR_IJSJ_SJ_EEES6_PlJS6_EEE10hipError_tPvRmT3_T4_T5_T6_T7_T9_mT8_P12ihipStream_tbDpT10_ENKUlT_T0_E_clISt17integral_constantIbLb1EES1F_EEDaS1A_S1B_EUlS1A_E_NS1_11comp_targetILNS1_3genE4ELNS1_11target_archE910ELNS1_3gpuE8ELNS1_3repE0EEENS1_30default_config_static_selectorELNS0_4arch9wavefront6targetE1EEEvT1_
	.globl	_ZN7rocprim17ROCPRIM_400000_NS6detail17trampoline_kernelINS0_14default_configENS1_25partition_config_selectorILNS1_17partition_subalgoE2EtNS0_10empty_typeEbEEZZNS1_14partition_implILS5_2ELb0ES3_jN6thrust23THRUST_200600_302600_NS6detail15normal_iteratorINSA_7pointerItNSA_11hip_rocprim3tagENSA_11use_defaultESG_EEEEPS6_NSA_18transform_iteratorI7is_evenItENSC_INSA_10device_ptrItEEEESG_SG_EENS0_5tupleIJPtSJ_EEENSR_IJSJ_SJ_EEES6_PlJS6_EEE10hipError_tPvRmT3_T4_T5_T6_T7_T9_mT8_P12ihipStream_tbDpT10_ENKUlT_T0_E_clISt17integral_constantIbLb1EES1F_EEDaS1A_S1B_EUlS1A_E_NS1_11comp_targetILNS1_3genE4ELNS1_11target_archE910ELNS1_3gpuE8ELNS1_3repE0EEENS1_30default_config_static_selectorELNS0_4arch9wavefront6targetE1EEEvT1_
	.p2align	8
	.type	_ZN7rocprim17ROCPRIM_400000_NS6detail17trampoline_kernelINS0_14default_configENS1_25partition_config_selectorILNS1_17partition_subalgoE2EtNS0_10empty_typeEbEEZZNS1_14partition_implILS5_2ELb0ES3_jN6thrust23THRUST_200600_302600_NS6detail15normal_iteratorINSA_7pointerItNSA_11hip_rocprim3tagENSA_11use_defaultESG_EEEEPS6_NSA_18transform_iteratorI7is_evenItENSC_INSA_10device_ptrItEEEESG_SG_EENS0_5tupleIJPtSJ_EEENSR_IJSJ_SJ_EEES6_PlJS6_EEE10hipError_tPvRmT3_T4_T5_T6_T7_T9_mT8_P12ihipStream_tbDpT10_ENKUlT_T0_E_clISt17integral_constantIbLb1EES1F_EEDaS1A_S1B_EUlS1A_E_NS1_11comp_targetILNS1_3genE4ELNS1_11target_archE910ELNS1_3gpuE8ELNS1_3repE0EEENS1_30default_config_static_selectorELNS0_4arch9wavefront6targetE1EEEvT1_,@function
_ZN7rocprim17ROCPRIM_400000_NS6detail17trampoline_kernelINS0_14default_configENS1_25partition_config_selectorILNS1_17partition_subalgoE2EtNS0_10empty_typeEbEEZZNS1_14partition_implILS5_2ELb0ES3_jN6thrust23THRUST_200600_302600_NS6detail15normal_iteratorINSA_7pointerItNSA_11hip_rocprim3tagENSA_11use_defaultESG_EEEEPS6_NSA_18transform_iteratorI7is_evenItENSC_INSA_10device_ptrItEEEESG_SG_EENS0_5tupleIJPtSJ_EEENSR_IJSJ_SJ_EEES6_PlJS6_EEE10hipError_tPvRmT3_T4_T5_T6_T7_T9_mT8_P12ihipStream_tbDpT10_ENKUlT_T0_E_clISt17integral_constantIbLb1EES1F_EEDaS1A_S1B_EUlS1A_E_NS1_11comp_targetILNS1_3genE4ELNS1_11target_archE910ELNS1_3gpuE8ELNS1_3repE0EEENS1_30default_config_static_selectorELNS0_4arch9wavefront6targetE1EEEvT1_: ; @_ZN7rocprim17ROCPRIM_400000_NS6detail17trampoline_kernelINS0_14default_configENS1_25partition_config_selectorILNS1_17partition_subalgoE2EtNS0_10empty_typeEbEEZZNS1_14partition_implILS5_2ELb0ES3_jN6thrust23THRUST_200600_302600_NS6detail15normal_iteratorINSA_7pointerItNSA_11hip_rocprim3tagENSA_11use_defaultESG_EEEEPS6_NSA_18transform_iteratorI7is_evenItENSC_INSA_10device_ptrItEEEESG_SG_EENS0_5tupleIJPtSJ_EEENSR_IJSJ_SJ_EEES6_PlJS6_EEE10hipError_tPvRmT3_T4_T5_T6_T7_T9_mT8_P12ihipStream_tbDpT10_ENKUlT_T0_E_clISt17integral_constantIbLb1EES1F_EEDaS1A_S1B_EUlS1A_E_NS1_11comp_targetILNS1_3genE4ELNS1_11target_archE910ELNS1_3gpuE8ELNS1_3repE0EEENS1_30default_config_static_selectorELNS0_4arch9wavefront6targetE1EEEvT1_
; %bb.0:
	.section	.rodata,"a",@progbits
	.p2align	6, 0x0
	.amdhsa_kernel _ZN7rocprim17ROCPRIM_400000_NS6detail17trampoline_kernelINS0_14default_configENS1_25partition_config_selectorILNS1_17partition_subalgoE2EtNS0_10empty_typeEbEEZZNS1_14partition_implILS5_2ELb0ES3_jN6thrust23THRUST_200600_302600_NS6detail15normal_iteratorINSA_7pointerItNSA_11hip_rocprim3tagENSA_11use_defaultESG_EEEEPS6_NSA_18transform_iteratorI7is_evenItENSC_INSA_10device_ptrItEEEESG_SG_EENS0_5tupleIJPtSJ_EEENSR_IJSJ_SJ_EEES6_PlJS6_EEE10hipError_tPvRmT3_T4_T5_T6_T7_T9_mT8_P12ihipStream_tbDpT10_ENKUlT_T0_E_clISt17integral_constantIbLb1EES1F_EEDaS1A_S1B_EUlS1A_E_NS1_11comp_targetILNS1_3genE4ELNS1_11target_archE910ELNS1_3gpuE8ELNS1_3repE0EEENS1_30default_config_static_selectorELNS0_4arch9wavefront6targetE1EEEvT1_
		.amdhsa_group_segment_fixed_size 0
		.amdhsa_private_segment_fixed_size 0
		.amdhsa_kernarg_size 144
		.amdhsa_user_sgpr_count 2
		.amdhsa_user_sgpr_dispatch_ptr 0
		.amdhsa_user_sgpr_queue_ptr 0
		.amdhsa_user_sgpr_kernarg_segment_ptr 1
		.amdhsa_user_sgpr_dispatch_id 0
		.amdhsa_user_sgpr_kernarg_preload_length 0
		.amdhsa_user_sgpr_kernarg_preload_offset 0
		.amdhsa_user_sgpr_private_segment_size 0
		.amdhsa_uses_dynamic_stack 0
		.amdhsa_enable_private_segment 0
		.amdhsa_system_sgpr_workgroup_id_x 1
		.amdhsa_system_sgpr_workgroup_id_y 0
		.amdhsa_system_sgpr_workgroup_id_z 0
		.amdhsa_system_sgpr_workgroup_info 0
		.amdhsa_system_vgpr_workitem_id 0
		.amdhsa_next_free_vgpr 1
		.amdhsa_next_free_sgpr 0
		.amdhsa_accum_offset 4
		.amdhsa_reserve_vcc 0
		.amdhsa_float_round_mode_32 0
		.amdhsa_float_round_mode_16_64 0
		.amdhsa_float_denorm_mode_32 3
		.amdhsa_float_denorm_mode_16_64 3
		.amdhsa_dx10_clamp 1
		.amdhsa_ieee_mode 1
		.amdhsa_fp16_overflow 0
		.amdhsa_tg_split 0
		.amdhsa_exception_fp_ieee_invalid_op 0
		.amdhsa_exception_fp_denorm_src 0
		.amdhsa_exception_fp_ieee_div_zero 0
		.amdhsa_exception_fp_ieee_overflow 0
		.amdhsa_exception_fp_ieee_underflow 0
		.amdhsa_exception_fp_ieee_inexact 0
		.amdhsa_exception_int_div_zero 0
	.end_amdhsa_kernel
	.section	.text._ZN7rocprim17ROCPRIM_400000_NS6detail17trampoline_kernelINS0_14default_configENS1_25partition_config_selectorILNS1_17partition_subalgoE2EtNS0_10empty_typeEbEEZZNS1_14partition_implILS5_2ELb0ES3_jN6thrust23THRUST_200600_302600_NS6detail15normal_iteratorINSA_7pointerItNSA_11hip_rocprim3tagENSA_11use_defaultESG_EEEEPS6_NSA_18transform_iteratorI7is_evenItENSC_INSA_10device_ptrItEEEESG_SG_EENS0_5tupleIJPtSJ_EEENSR_IJSJ_SJ_EEES6_PlJS6_EEE10hipError_tPvRmT3_T4_T5_T6_T7_T9_mT8_P12ihipStream_tbDpT10_ENKUlT_T0_E_clISt17integral_constantIbLb1EES1F_EEDaS1A_S1B_EUlS1A_E_NS1_11comp_targetILNS1_3genE4ELNS1_11target_archE910ELNS1_3gpuE8ELNS1_3repE0EEENS1_30default_config_static_selectorELNS0_4arch9wavefront6targetE1EEEvT1_,"axG",@progbits,_ZN7rocprim17ROCPRIM_400000_NS6detail17trampoline_kernelINS0_14default_configENS1_25partition_config_selectorILNS1_17partition_subalgoE2EtNS0_10empty_typeEbEEZZNS1_14partition_implILS5_2ELb0ES3_jN6thrust23THRUST_200600_302600_NS6detail15normal_iteratorINSA_7pointerItNSA_11hip_rocprim3tagENSA_11use_defaultESG_EEEEPS6_NSA_18transform_iteratorI7is_evenItENSC_INSA_10device_ptrItEEEESG_SG_EENS0_5tupleIJPtSJ_EEENSR_IJSJ_SJ_EEES6_PlJS6_EEE10hipError_tPvRmT3_T4_T5_T6_T7_T9_mT8_P12ihipStream_tbDpT10_ENKUlT_T0_E_clISt17integral_constantIbLb1EES1F_EEDaS1A_S1B_EUlS1A_E_NS1_11comp_targetILNS1_3genE4ELNS1_11target_archE910ELNS1_3gpuE8ELNS1_3repE0EEENS1_30default_config_static_selectorELNS0_4arch9wavefront6targetE1EEEvT1_,comdat
.Lfunc_end2080:
	.size	_ZN7rocprim17ROCPRIM_400000_NS6detail17trampoline_kernelINS0_14default_configENS1_25partition_config_selectorILNS1_17partition_subalgoE2EtNS0_10empty_typeEbEEZZNS1_14partition_implILS5_2ELb0ES3_jN6thrust23THRUST_200600_302600_NS6detail15normal_iteratorINSA_7pointerItNSA_11hip_rocprim3tagENSA_11use_defaultESG_EEEEPS6_NSA_18transform_iteratorI7is_evenItENSC_INSA_10device_ptrItEEEESG_SG_EENS0_5tupleIJPtSJ_EEENSR_IJSJ_SJ_EEES6_PlJS6_EEE10hipError_tPvRmT3_T4_T5_T6_T7_T9_mT8_P12ihipStream_tbDpT10_ENKUlT_T0_E_clISt17integral_constantIbLb1EES1F_EEDaS1A_S1B_EUlS1A_E_NS1_11comp_targetILNS1_3genE4ELNS1_11target_archE910ELNS1_3gpuE8ELNS1_3repE0EEENS1_30default_config_static_selectorELNS0_4arch9wavefront6targetE1EEEvT1_, .Lfunc_end2080-_ZN7rocprim17ROCPRIM_400000_NS6detail17trampoline_kernelINS0_14default_configENS1_25partition_config_selectorILNS1_17partition_subalgoE2EtNS0_10empty_typeEbEEZZNS1_14partition_implILS5_2ELb0ES3_jN6thrust23THRUST_200600_302600_NS6detail15normal_iteratorINSA_7pointerItNSA_11hip_rocprim3tagENSA_11use_defaultESG_EEEEPS6_NSA_18transform_iteratorI7is_evenItENSC_INSA_10device_ptrItEEEESG_SG_EENS0_5tupleIJPtSJ_EEENSR_IJSJ_SJ_EEES6_PlJS6_EEE10hipError_tPvRmT3_T4_T5_T6_T7_T9_mT8_P12ihipStream_tbDpT10_ENKUlT_T0_E_clISt17integral_constantIbLb1EES1F_EEDaS1A_S1B_EUlS1A_E_NS1_11comp_targetILNS1_3genE4ELNS1_11target_archE910ELNS1_3gpuE8ELNS1_3repE0EEENS1_30default_config_static_selectorELNS0_4arch9wavefront6targetE1EEEvT1_
                                        ; -- End function
	.section	.AMDGPU.csdata,"",@progbits
; Kernel info:
; codeLenInByte = 0
; NumSgprs: 6
; NumVgprs: 0
; NumAgprs: 0
; TotalNumVgprs: 0
; ScratchSize: 0
; MemoryBound: 0
; FloatMode: 240
; IeeeMode: 1
; LDSByteSize: 0 bytes/workgroup (compile time only)
; SGPRBlocks: 0
; VGPRBlocks: 0
; NumSGPRsForWavesPerEU: 6
; NumVGPRsForWavesPerEU: 1
; AccumOffset: 4
; Occupancy: 8
; WaveLimiterHint : 0
; COMPUTE_PGM_RSRC2:SCRATCH_EN: 0
; COMPUTE_PGM_RSRC2:USER_SGPR: 2
; COMPUTE_PGM_RSRC2:TRAP_HANDLER: 0
; COMPUTE_PGM_RSRC2:TGID_X_EN: 1
; COMPUTE_PGM_RSRC2:TGID_Y_EN: 0
; COMPUTE_PGM_RSRC2:TGID_Z_EN: 0
; COMPUTE_PGM_RSRC2:TIDIG_COMP_CNT: 0
; COMPUTE_PGM_RSRC3_GFX90A:ACCUM_OFFSET: 0
; COMPUTE_PGM_RSRC3_GFX90A:TG_SPLIT: 0
	.section	.text._ZN7rocprim17ROCPRIM_400000_NS6detail17trampoline_kernelINS0_14default_configENS1_25partition_config_selectorILNS1_17partition_subalgoE2EtNS0_10empty_typeEbEEZZNS1_14partition_implILS5_2ELb0ES3_jN6thrust23THRUST_200600_302600_NS6detail15normal_iteratorINSA_7pointerItNSA_11hip_rocprim3tagENSA_11use_defaultESG_EEEEPS6_NSA_18transform_iteratorI7is_evenItENSC_INSA_10device_ptrItEEEESG_SG_EENS0_5tupleIJPtSJ_EEENSR_IJSJ_SJ_EEES6_PlJS6_EEE10hipError_tPvRmT3_T4_T5_T6_T7_T9_mT8_P12ihipStream_tbDpT10_ENKUlT_T0_E_clISt17integral_constantIbLb1EES1F_EEDaS1A_S1B_EUlS1A_E_NS1_11comp_targetILNS1_3genE3ELNS1_11target_archE908ELNS1_3gpuE7ELNS1_3repE0EEENS1_30default_config_static_selectorELNS0_4arch9wavefront6targetE1EEEvT1_,"axG",@progbits,_ZN7rocprim17ROCPRIM_400000_NS6detail17trampoline_kernelINS0_14default_configENS1_25partition_config_selectorILNS1_17partition_subalgoE2EtNS0_10empty_typeEbEEZZNS1_14partition_implILS5_2ELb0ES3_jN6thrust23THRUST_200600_302600_NS6detail15normal_iteratorINSA_7pointerItNSA_11hip_rocprim3tagENSA_11use_defaultESG_EEEEPS6_NSA_18transform_iteratorI7is_evenItENSC_INSA_10device_ptrItEEEESG_SG_EENS0_5tupleIJPtSJ_EEENSR_IJSJ_SJ_EEES6_PlJS6_EEE10hipError_tPvRmT3_T4_T5_T6_T7_T9_mT8_P12ihipStream_tbDpT10_ENKUlT_T0_E_clISt17integral_constantIbLb1EES1F_EEDaS1A_S1B_EUlS1A_E_NS1_11comp_targetILNS1_3genE3ELNS1_11target_archE908ELNS1_3gpuE7ELNS1_3repE0EEENS1_30default_config_static_selectorELNS0_4arch9wavefront6targetE1EEEvT1_,comdat
	.protected	_ZN7rocprim17ROCPRIM_400000_NS6detail17trampoline_kernelINS0_14default_configENS1_25partition_config_selectorILNS1_17partition_subalgoE2EtNS0_10empty_typeEbEEZZNS1_14partition_implILS5_2ELb0ES3_jN6thrust23THRUST_200600_302600_NS6detail15normal_iteratorINSA_7pointerItNSA_11hip_rocprim3tagENSA_11use_defaultESG_EEEEPS6_NSA_18transform_iteratorI7is_evenItENSC_INSA_10device_ptrItEEEESG_SG_EENS0_5tupleIJPtSJ_EEENSR_IJSJ_SJ_EEES6_PlJS6_EEE10hipError_tPvRmT3_T4_T5_T6_T7_T9_mT8_P12ihipStream_tbDpT10_ENKUlT_T0_E_clISt17integral_constantIbLb1EES1F_EEDaS1A_S1B_EUlS1A_E_NS1_11comp_targetILNS1_3genE3ELNS1_11target_archE908ELNS1_3gpuE7ELNS1_3repE0EEENS1_30default_config_static_selectorELNS0_4arch9wavefront6targetE1EEEvT1_ ; -- Begin function _ZN7rocprim17ROCPRIM_400000_NS6detail17trampoline_kernelINS0_14default_configENS1_25partition_config_selectorILNS1_17partition_subalgoE2EtNS0_10empty_typeEbEEZZNS1_14partition_implILS5_2ELb0ES3_jN6thrust23THRUST_200600_302600_NS6detail15normal_iteratorINSA_7pointerItNSA_11hip_rocprim3tagENSA_11use_defaultESG_EEEEPS6_NSA_18transform_iteratorI7is_evenItENSC_INSA_10device_ptrItEEEESG_SG_EENS0_5tupleIJPtSJ_EEENSR_IJSJ_SJ_EEES6_PlJS6_EEE10hipError_tPvRmT3_T4_T5_T6_T7_T9_mT8_P12ihipStream_tbDpT10_ENKUlT_T0_E_clISt17integral_constantIbLb1EES1F_EEDaS1A_S1B_EUlS1A_E_NS1_11comp_targetILNS1_3genE3ELNS1_11target_archE908ELNS1_3gpuE7ELNS1_3repE0EEENS1_30default_config_static_selectorELNS0_4arch9wavefront6targetE1EEEvT1_
	.globl	_ZN7rocprim17ROCPRIM_400000_NS6detail17trampoline_kernelINS0_14default_configENS1_25partition_config_selectorILNS1_17partition_subalgoE2EtNS0_10empty_typeEbEEZZNS1_14partition_implILS5_2ELb0ES3_jN6thrust23THRUST_200600_302600_NS6detail15normal_iteratorINSA_7pointerItNSA_11hip_rocprim3tagENSA_11use_defaultESG_EEEEPS6_NSA_18transform_iteratorI7is_evenItENSC_INSA_10device_ptrItEEEESG_SG_EENS0_5tupleIJPtSJ_EEENSR_IJSJ_SJ_EEES6_PlJS6_EEE10hipError_tPvRmT3_T4_T5_T6_T7_T9_mT8_P12ihipStream_tbDpT10_ENKUlT_T0_E_clISt17integral_constantIbLb1EES1F_EEDaS1A_S1B_EUlS1A_E_NS1_11comp_targetILNS1_3genE3ELNS1_11target_archE908ELNS1_3gpuE7ELNS1_3repE0EEENS1_30default_config_static_selectorELNS0_4arch9wavefront6targetE1EEEvT1_
	.p2align	8
	.type	_ZN7rocprim17ROCPRIM_400000_NS6detail17trampoline_kernelINS0_14default_configENS1_25partition_config_selectorILNS1_17partition_subalgoE2EtNS0_10empty_typeEbEEZZNS1_14partition_implILS5_2ELb0ES3_jN6thrust23THRUST_200600_302600_NS6detail15normal_iteratorINSA_7pointerItNSA_11hip_rocprim3tagENSA_11use_defaultESG_EEEEPS6_NSA_18transform_iteratorI7is_evenItENSC_INSA_10device_ptrItEEEESG_SG_EENS0_5tupleIJPtSJ_EEENSR_IJSJ_SJ_EEES6_PlJS6_EEE10hipError_tPvRmT3_T4_T5_T6_T7_T9_mT8_P12ihipStream_tbDpT10_ENKUlT_T0_E_clISt17integral_constantIbLb1EES1F_EEDaS1A_S1B_EUlS1A_E_NS1_11comp_targetILNS1_3genE3ELNS1_11target_archE908ELNS1_3gpuE7ELNS1_3repE0EEENS1_30default_config_static_selectorELNS0_4arch9wavefront6targetE1EEEvT1_,@function
_ZN7rocprim17ROCPRIM_400000_NS6detail17trampoline_kernelINS0_14default_configENS1_25partition_config_selectorILNS1_17partition_subalgoE2EtNS0_10empty_typeEbEEZZNS1_14partition_implILS5_2ELb0ES3_jN6thrust23THRUST_200600_302600_NS6detail15normal_iteratorINSA_7pointerItNSA_11hip_rocprim3tagENSA_11use_defaultESG_EEEEPS6_NSA_18transform_iteratorI7is_evenItENSC_INSA_10device_ptrItEEEESG_SG_EENS0_5tupleIJPtSJ_EEENSR_IJSJ_SJ_EEES6_PlJS6_EEE10hipError_tPvRmT3_T4_T5_T6_T7_T9_mT8_P12ihipStream_tbDpT10_ENKUlT_T0_E_clISt17integral_constantIbLb1EES1F_EEDaS1A_S1B_EUlS1A_E_NS1_11comp_targetILNS1_3genE3ELNS1_11target_archE908ELNS1_3gpuE7ELNS1_3repE0EEENS1_30default_config_static_selectorELNS0_4arch9wavefront6targetE1EEEvT1_: ; @_ZN7rocprim17ROCPRIM_400000_NS6detail17trampoline_kernelINS0_14default_configENS1_25partition_config_selectorILNS1_17partition_subalgoE2EtNS0_10empty_typeEbEEZZNS1_14partition_implILS5_2ELb0ES3_jN6thrust23THRUST_200600_302600_NS6detail15normal_iteratorINSA_7pointerItNSA_11hip_rocprim3tagENSA_11use_defaultESG_EEEEPS6_NSA_18transform_iteratorI7is_evenItENSC_INSA_10device_ptrItEEEESG_SG_EENS0_5tupleIJPtSJ_EEENSR_IJSJ_SJ_EEES6_PlJS6_EEE10hipError_tPvRmT3_T4_T5_T6_T7_T9_mT8_P12ihipStream_tbDpT10_ENKUlT_T0_E_clISt17integral_constantIbLb1EES1F_EEDaS1A_S1B_EUlS1A_E_NS1_11comp_targetILNS1_3genE3ELNS1_11target_archE908ELNS1_3gpuE7ELNS1_3repE0EEENS1_30default_config_static_selectorELNS0_4arch9wavefront6targetE1EEEvT1_
; %bb.0:
	.section	.rodata,"a",@progbits
	.p2align	6, 0x0
	.amdhsa_kernel _ZN7rocprim17ROCPRIM_400000_NS6detail17trampoline_kernelINS0_14default_configENS1_25partition_config_selectorILNS1_17partition_subalgoE2EtNS0_10empty_typeEbEEZZNS1_14partition_implILS5_2ELb0ES3_jN6thrust23THRUST_200600_302600_NS6detail15normal_iteratorINSA_7pointerItNSA_11hip_rocprim3tagENSA_11use_defaultESG_EEEEPS6_NSA_18transform_iteratorI7is_evenItENSC_INSA_10device_ptrItEEEESG_SG_EENS0_5tupleIJPtSJ_EEENSR_IJSJ_SJ_EEES6_PlJS6_EEE10hipError_tPvRmT3_T4_T5_T6_T7_T9_mT8_P12ihipStream_tbDpT10_ENKUlT_T0_E_clISt17integral_constantIbLb1EES1F_EEDaS1A_S1B_EUlS1A_E_NS1_11comp_targetILNS1_3genE3ELNS1_11target_archE908ELNS1_3gpuE7ELNS1_3repE0EEENS1_30default_config_static_selectorELNS0_4arch9wavefront6targetE1EEEvT1_
		.amdhsa_group_segment_fixed_size 0
		.amdhsa_private_segment_fixed_size 0
		.amdhsa_kernarg_size 144
		.amdhsa_user_sgpr_count 2
		.amdhsa_user_sgpr_dispatch_ptr 0
		.amdhsa_user_sgpr_queue_ptr 0
		.amdhsa_user_sgpr_kernarg_segment_ptr 1
		.amdhsa_user_sgpr_dispatch_id 0
		.amdhsa_user_sgpr_kernarg_preload_length 0
		.amdhsa_user_sgpr_kernarg_preload_offset 0
		.amdhsa_user_sgpr_private_segment_size 0
		.amdhsa_uses_dynamic_stack 0
		.amdhsa_enable_private_segment 0
		.amdhsa_system_sgpr_workgroup_id_x 1
		.amdhsa_system_sgpr_workgroup_id_y 0
		.amdhsa_system_sgpr_workgroup_id_z 0
		.amdhsa_system_sgpr_workgroup_info 0
		.amdhsa_system_vgpr_workitem_id 0
		.amdhsa_next_free_vgpr 1
		.amdhsa_next_free_sgpr 0
		.amdhsa_accum_offset 4
		.amdhsa_reserve_vcc 0
		.amdhsa_float_round_mode_32 0
		.amdhsa_float_round_mode_16_64 0
		.amdhsa_float_denorm_mode_32 3
		.amdhsa_float_denorm_mode_16_64 3
		.amdhsa_dx10_clamp 1
		.amdhsa_ieee_mode 1
		.amdhsa_fp16_overflow 0
		.amdhsa_tg_split 0
		.amdhsa_exception_fp_ieee_invalid_op 0
		.amdhsa_exception_fp_denorm_src 0
		.amdhsa_exception_fp_ieee_div_zero 0
		.amdhsa_exception_fp_ieee_overflow 0
		.amdhsa_exception_fp_ieee_underflow 0
		.amdhsa_exception_fp_ieee_inexact 0
		.amdhsa_exception_int_div_zero 0
	.end_amdhsa_kernel
	.section	.text._ZN7rocprim17ROCPRIM_400000_NS6detail17trampoline_kernelINS0_14default_configENS1_25partition_config_selectorILNS1_17partition_subalgoE2EtNS0_10empty_typeEbEEZZNS1_14partition_implILS5_2ELb0ES3_jN6thrust23THRUST_200600_302600_NS6detail15normal_iteratorINSA_7pointerItNSA_11hip_rocprim3tagENSA_11use_defaultESG_EEEEPS6_NSA_18transform_iteratorI7is_evenItENSC_INSA_10device_ptrItEEEESG_SG_EENS0_5tupleIJPtSJ_EEENSR_IJSJ_SJ_EEES6_PlJS6_EEE10hipError_tPvRmT3_T4_T5_T6_T7_T9_mT8_P12ihipStream_tbDpT10_ENKUlT_T0_E_clISt17integral_constantIbLb1EES1F_EEDaS1A_S1B_EUlS1A_E_NS1_11comp_targetILNS1_3genE3ELNS1_11target_archE908ELNS1_3gpuE7ELNS1_3repE0EEENS1_30default_config_static_selectorELNS0_4arch9wavefront6targetE1EEEvT1_,"axG",@progbits,_ZN7rocprim17ROCPRIM_400000_NS6detail17trampoline_kernelINS0_14default_configENS1_25partition_config_selectorILNS1_17partition_subalgoE2EtNS0_10empty_typeEbEEZZNS1_14partition_implILS5_2ELb0ES3_jN6thrust23THRUST_200600_302600_NS6detail15normal_iteratorINSA_7pointerItNSA_11hip_rocprim3tagENSA_11use_defaultESG_EEEEPS6_NSA_18transform_iteratorI7is_evenItENSC_INSA_10device_ptrItEEEESG_SG_EENS0_5tupleIJPtSJ_EEENSR_IJSJ_SJ_EEES6_PlJS6_EEE10hipError_tPvRmT3_T4_T5_T6_T7_T9_mT8_P12ihipStream_tbDpT10_ENKUlT_T0_E_clISt17integral_constantIbLb1EES1F_EEDaS1A_S1B_EUlS1A_E_NS1_11comp_targetILNS1_3genE3ELNS1_11target_archE908ELNS1_3gpuE7ELNS1_3repE0EEENS1_30default_config_static_selectorELNS0_4arch9wavefront6targetE1EEEvT1_,comdat
.Lfunc_end2081:
	.size	_ZN7rocprim17ROCPRIM_400000_NS6detail17trampoline_kernelINS0_14default_configENS1_25partition_config_selectorILNS1_17partition_subalgoE2EtNS0_10empty_typeEbEEZZNS1_14partition_implILS5_2ELb0ES3_jN6thrust23THRUST_200600_302600_NS6detail15normal_iteratorINSA_7pointerItNSA_11hip_rocprim3tagENSA_11use_defaultESG_EEEEPS6_NSA_18transform_iteratorI7is_evenItENSC_INSA_10device_ptrItEEEESG_SG_EENS0_5tupleIJPtSJ_EEENSR_IJSJ_SJ_EEES6_PlJS6_EEE10hipError_tPvRmT3_T4_T5_T6_T7_T9_mT8_P12ihipStream_tbDpT10_ENKUlT_T0_E_clISt17integral_constantIbLb1EES1F_EEDaS1A_S1B_EUlS1A_E_NS1_11comp_targetILNS1_3genE3ELNS1_11target_archE908ELNS1_3gpuE7ELNS1_3repE0EEENS1_30default_config_static_selectorELNS0_4arch9wavefront6targetE1EEEvT1_, .Lfunc_end2081-_ZN7rocprim17ROCPRIM_400000_NS6detail17trampoline_kernelINS0_14default_configENS1_25partition_config_selectorILNS1_17partition_subalgoE2EtNS0_10empty_typeEbEEZZNS1_14partition_implILS5_2ELb0ES3_jN6thrust23THRUST_200600_302600_NS6detail15normal_iteratorINSA_7pointerItNSA_11hip_rocprim3tagENSA_11use_defaultESG_EEEEPS6_NSA_18transform_iteratorI7is_evenItENSC_INSA_10device_ptrItEEEESG_SG_EENS0_5tupleIJPtSJ_EEENSR_IJSJ_SJ_EEES6_PlJS6_EEE10hipError_tPvRmT3_T4_T5_T6_T7_T9_mT8_P12ihipStream_tbDpT10_ENKUlT_T0_E_clISt17integral_constantIbLb1EES1F_EEDaS1A_S1B_EUlS1A_E_NS1_11comp_targetILNS1_3genE3ELNS1_11target_archE908ELNS1_3gpuE7ELNS1_3repE0EEENS1_30default_config_static_selectorELNS0_4arch9wavefront6targetE1EEEvT1_
                                        ; -- End function
	.section	.AMDGPU.csdata,"",@progbits
; Kernel info:
; codeLenInByte = 0
; NumSgprs: 6
; NumVgprs: 0
; NumAgprs: 0
; TotalNumVgprs: 0
; ScratchSize: 0
; MemoryBound: 0
; FloatMode: 240
; IeeeMode: 1
; LDSByteSize: 0 bytes/workgroup (compile time only)
; SGPRBlocks: 0
; VGPRBlocks: 0
; NumSGPRsForWavesPerEU: 6
; NumVGPRsForWavesPerEU: 1
; AccumOffset: 4
; Occupancy: 8
; WaveLimiterHint : 0
; COMPUTE_PGM_RSRC2:SCRATCH_EN: 0
; COMPUTE_PGM_RSRC2:USER_SGPR: 2
; COMPUTE_PGM_RSRC2:TRAP_HANDLER: 0
; COMPUTE_PGM_RSRC2:TGID_X_EN: 1
; COMPUTE_PGM_RSRC2:TGID_Y_EN: 0
; COMPUTE_PGM_RSRC2:TGID_Z_EN: 0
; COMPUTE_PGM_RSRC2:TIDIG_COMP_CNT: 0
; COMPUTE_PGM_RSRC3_GFX90A:ACCUM_OFFSET: 0
; COMPUTE_PGM_RSRC3_GFX90A:TG_SPLIT: 0
	.section	.text._ZN7rocprim17ROCPRIM_400000_NS6detail17trampoline_kernelINS0_14default_configENS1_25partition_config_selectorILNS1_17partition_subalgoE2EtNS0_10empty_typeEbEEZZNS1_14partition_implILS5_2ELb0ES3_jN6thrust23THRUST_200600_302600_NS6detail15normal_iteratorINSA_7pointerItNSA_11hip_rocprim3tagENSA_11use_defaultESG_EEEEPS6_NSA_18transform_iteratorI7is_evenItENSC_INSA_10device_ptrItEEEESG_SG_EENS0_5tupleIJPtSJ_EEENSR_IJSJ_SJ_EEES6_PlJS6_EEE10hipError_tPvRmT3_T4_T5_T6_T7_T9_mT8_P12ihipStream_tbDpT10_ENKUlT_T0_E_clISt17integral_constantIbLb1EES1F_EEDaS1A_S1B_EUlS1A_E_NS1_11comp_targetILNS1_3genE2ELNS1_11target_archE906ELNS1_3gpuE6ELNS1_3repE0EEENS1_30default_config_static_selectorELNS0_4arch9wavefront6targetE1EEEvT1_,"axG",@progbits,_ZN7rocprim17ROCPRIM_400000_NS6detail17trampoline_kernelINS0_14default_configENS1_25partition_config_selectorILNS1_17partition_subalgoE2EtNS0_10empty_typeEbEEZZNS1_14partition_implILS5_2ELb0ES3_jN6thrust23THRUST_200600_302600_NS6detail15normal_iteratorINSA_7pointerItNSA_11hip_rocprim3tagENSA_11use_defaultESG_EEEEPS6_NSA_18transform_iteratorI7is_evenItENSC_INSA_10device_ptrItEEEESG_SG_EENS0_5tupleIJPtSJ_EEENSR_IJSJ_SJ_EEES6_PlJS6_EEE10hipError_tPvRmT3_T4_T5_T6_T7_T9_mT8_P12ihipStream_tbDpT10_ENKUlT_T0_E_clISt17integral_constantIbLb1EES1F_EEDaS1A_S1B_EUlS1A_E_NS1_11comp_targetILNS1_3genE2ELNS1_11target_archE906ELNS1_3gpuE6ELNS1_3repE0EEENS1_30default_config_static_selectorELNS0_4arch9wavefront6targetE1EEEvT1_,comdat
	.protected	_ZN7rocprim17ROCPRIM_400000_NS6detail17trampoline_kernelINS0_14default_configENS1_25partition_config_selectorILNS1_17partition_subalgoE2EtNS0_10empty_typeEbEEZZNS1_14partition_implILS5_2ELb0ES3_jN6thrust23THRUST_200600_302600_NS6detail15normal_iteratorINSA_7pointerItNSA_11hip_rocprim3tagENSA_11use_defaultESG_EEEEPS6_NSA_18transform_iteratorI7is_evenItENSC_INSA_10device_ptrItEEEESG_SG_EENS0_5tupleIJPtSJ_EEENSR_IJSJ_SJ_EEES6_PlJS6_EEE10hipError_tPvRmT3_T4_T5_T6_T7_T9_mT8_P12ihipStream_tbDpT10_ENKUlT_T0_E_clISt17integral_constantIbLb1EES1F_EEDaS1A_S1B_EUlS1A_E_NS1_11comp_targetILNS1_3genE2ELNS1_11target_archE906ELNS1_3gpuE6ELNS1_3repE0EEENS1_30default_config_static_selectorELNS0_4arch9wavefront6targetE1EEEvT1_ ; -- Begin function _ZN7rocprim17ROCPRIM_400000_NS6detail17trampoline_kernelINS0_14default_configENS1_25partition_config_selectorILNS1_17partition_subalgoE2EtNS0_10empty_typeEbEEZZNS1_14partition_implILS5_2ELb0ES3_jN6thrust23THRUST_200600_302600_NS6detail15normal_iteratorINSA_7pointerItNSA_11hip_rocprim3tagENSA_11use_defaultESG_EEEEPS6_NSA_18transform_iteratorI7is_evenItENSC_INSA_10device_ptrItEEEESG_SG_EENS0_5tupleIJPtSJ_EEENSR_IJSJ_SJ_EEES6_PlJS6_EEE10hipError_tPvRmT3_T4_T5_T6_T7_T9_mT8_P12ihipStream_tbDpT10_ENKUlT_T0_E_clISt17integral_constantIbLb1EES1F_EEDaS1A_S1B_EUlS1A_E_NS1_11comp_targetILNS1_3genE2ELNS1_11target_archE906ELNS1_3gpuE6ELNS1_3repE0EEENS1_30default_config_static_selectorELNS0_4arch9wavefront6targetE1EEEvT1_
	.globl	_ZN7rocprim17ROCPRIM_400000_NS6detail17trampoline_kernelINS0_14default_configENS1_25partition_config_selectorILNS1_17partition_subalgoE2EtNS0_10empty_typeEbEEZZNS1_14partition_implILS5_2ELb0ES3_jN6thrust23THRUST_200600_302600_NS6detail15normal_iteratorINSA_7pointerItNSA_11hip_rocprim3tagENSA_11use_defaultESG_EEEEPS6_NSA_18transform_iteratorI7is_evenItENSC_INSA_10device_ptrItEEEESG_SG_EENS0_5tupleIJPtSJ_EEENSR_IJSJ_SJ_EEES6_PlJS6_EEE10hipError_tPvRmT3_T4_T5_T6_T7_T9_mT8_P12ihipStream_tbDpT10_ENKUlT_T0_E_clISt17integral_constantIbLb1EES1F_EEDaS1A_S1B_EUlS1A_E_NS1_11comp_targetILNS1_3genE2ELNS1_11target_archE906ELNS1_3gpuE6ELNS1_3repE0EEENS1_30default_config_static_selectorELNS0_4arch9wavefront6targetE1EEEvT1_
	.p2align	8
	.type	_ZN7rocprim17ROCPRIM_400000_NS6detail17trampoline_kernelINS0_14default_configENS1_25partition_config_selectorILNS1_17partition_subalgoE2EtNS0_10empty_typeEbEEZZNS1_14partition_implILS5_2ELb0ES3_jN6thrust23THRUST_200600_302600_NS6detail15normal_iteratorINSA_7pointerItNSA_11hip_rocprim3tagENSA_11use_defaultESG_EEEEPS6_NSA_18transform_iteratorI7is_evenItENSC_INSA_10device_ptrItEEEESG_SG_EENS0_5tupleIJPtSJ_EEENSR_IJSJ_SJ_EEES6_PlJS6_EEE10hipError_tPvRmT3_T4_T5_T6_T7_T9_mT8_P12ihipStream_tbDpT10_ENKUlT_T0_E_clISt17integral_constantIbLb1EES1F_EEDaS1A_S1B_EUlS1A_E_NS1_11comp_targetILNS1_3genE2ELNS1_11target_archE906ELNS1_3gpuE6ELNS1_3repE0EEENS1_30default_config_static_selectorELNS0_4arch9wavefront6targetE1EEEvT1_,@function
_ZN7rocprim17ROCPRIM_400000_NS6detail17trampoline_kernelINS0_14default_configENS1_25partition_config_selectorILNS1_17partition_subalgoE2EtNS0_10empty_typeEbEEZZNS1_14partition_implILS5_2ELb0ES3_jN6thrust23THRUST_200600_302600_NS6detail15normal_iteratorINSA_7pointerItNSA_11hip_rocprim3tagENSA_11use_defaultESG_EEEEPS6_NSA_18transform_iteratorI7is_evenItENSC_INSA_10device_ptrItEEEESG_SG_EENS0_5tupleIJPtSJ_EEENSR_IJSJ_SJ_EEES6_PlJS6_EEE10hipError_tPvRmT3_T4_T5_T6_T7_T9_mT8_P12ihipStream_tbDpT10_ENKUlT_T0_E_clISt17integral_constantIbLb1EES1F_EEDaS1A_S1B_EUlS1A_E_NS1_11comp_targetILNS1_3genE2ELNS1_11target_archE906ELNS1_3gpuE6ELNS1_3repE0EEENS1_30default_config_static_selectorELNS0_4arch9wavefront6targetE1EEEvT1_: ; @_ZN7rocprim17ROCPRIM_400000_NS6detail17trampoline_kernelINS0_14default_configENS1_25partition_config_selectorILNS1_17partition_subalgoE2EtNS0_10empty_typeEbEEZZNS1_14partition_implILS5_2ELb0ES3_jN6thrust23THRUST_200600_302600_NS6detail15normal_iteratorINSA_7pointerItNSA_11hip_rocprim3tagENSA_11use_defaultESG_EEEEPS6_NSA_18transform_iteratorI7is_evenItENSC_INSA_10device_ptrItEEEESG_SG_EENS0_5tupleIJPtSJ_EEENSR_IJSJ_SJ_EEES6_PlJS6_EEE10hipError_tPvRmT3_T4_T5_T6_T7_T9_mT8_P12ihipStream_tbDpT10_ENKUlT_T0_E_clISt17integral_constantIbLb1EES1F_EEDaS1A_S1B_EUlS1A_E_NS1_11comp_targetILNS1_3genE2ELNS1_11target_archE906ELNS1_3gpuE6ELNS1_3repE0EEENS1_30default_config_static_selectorELNS0_4arch9wavefront6targetE1EEEvT1_
; %bb.0:
	.section	.rodata,"a",@progbits
	.p2align	6, 0x0
	.amdhsa_kernel _ZN7rocprim17ROCPRIM_400000_NS6detail17trampoline_kernelINS0_14default_configENS1_25partition_config_selectorILNS1_17partition_subalgoE2EtNS0_10empty_typeEbEEZZNS1_14partition_implILS5_2ELb0ES3_jN6thrust23THRUST_200600_302600_NS6detail15normal_iteratorINSA_7pointerItNSA_11hip_rocprim3tagENSA_11use_defaultESG_EEEEPS6_NSA_18transform_iteratorI7is_evenItENSC_INSA_10device_ptrItEEEESG_SG_EENS0_5tupleIJPtSJ_EEENSR_IJSJ_SJ_EEES6_PlJS6_EEE10hipError_tPvRmT3_T4_T5_T6_T7_T9_mT8_P12ihipStream_tbDpT10_ENKUlT_T0_E_clISt17integral_constantIbLb1EES1F_EEDaS1A_S1B_EUlS1A_E_NS1_11comp_targetILNS1_3genE2ELNS1_11target_archE906ELNS1_3gpuE6ELNS1_3repE0EEENS1_30default_config_static_selectorELNS0_4arch9wavefront6targetE1EEEvT1_
		.amdhsa_group_segment_fixed_size 0
		.amdhsa_private_segment_fixed_size 0
		.amdhsa_kernarg_size 144
		.amdhsa_user_sgpr_count 2
		.amdhsa_user_sgpr_dispatch_ptr 0
		.amdhsa_user_sgpr_queue_ptr 0
		.amdhsa_user_sgpr_kernarg_segment_ptr 1
		.amdhsa_user_sgpr_dispatch_id 0
		.amdhsa_user_sgpr_kernarg_preload_length 0
		.amdhsa_user_sgpr_kernarg_preload_offset 0
		.amdhsa_user_sgpr_private_segment_size 0
		.amdhsa_uses_dynamic_stack 0
		.amdhsa_enable_private_segment 0
		.amdhsa_system_sgpr_workgroup_id_x 1
		.amdhsa_system_sgpr_workgroup_id_y 0
		.amdhsa_system_sgpr_workgroup_id_z 0
		.amdhsa_system_sgpr_workgroup_info 0
		.amdhsa_system_vgpr_workitem_id 0
		.amdhsa_next_free_vgpr 1
		.amdhsa_next_free_sgpr 0
		.amdhsa_accum_offset 4
		.amdhsa_reserve_vcc 0
		.amdhsa_float_round_mode_32 0
		.amdhsa_float_round_mode_16_64 0
		.amdhsa_float_denorm_mode_32 3
		.amdhsa_float_denorm_mode_16_64 3
		.amdhsa_dx10_clamp 1
		.amdhsa_ieee_mode 1
		.amdhsa_fp16_overflow 0
		.amdhsa_tg_split 0
		.amdhsa_exception_fp_ieee_invalid_op 0
		.amdhsa_exception_fp_denorm_src 0
		.amdhsa_exception_fp_ieee_div_zero 0
		.amdhsa_exception_fp_ieee_overflow 0
		.amdhsa_exception_fp_ieee_underflow 0
		.amdhsa_exception_fp_ieee_inexact 0
		.amdhsa_exception_int_div_zero 0
	.end_amdhsa_kernel
	.section	.text._ZN7rocprim17ROCPRIM_400000_NS6detail17trampoline_kernelINS0_14default_configENS1_25partition_config_selectorILNS1_17partition_subalgoE2EtNS0_10empty_typeEbEEZZNS1_14partition_implILS5_2ELb0ES3_jN6thrust23THRUST_200600_302600_NS6detail15normal_iteratorINSA_7pointerItNSA_11hip_rocprim3tagENSA_11use_defaultESG_EEEEPS6_NSA_18transform_iteratorI7is_evenItENSC_INSA_10device_ptrItEEEESG_SG_EENS0_5tupleIJPtSJ_EEENSR_IJSJ_SJ_EEES6_PlJS6_EEE10hipError_tPvRmT3_T4_T5_T6_T7_T9_mT8_P12ihipStream_tbDpT10_ENKUlT_T0_E_clISt17integral_constantIbLb1EES1F_EEDaS1A_S1B_EUlS1A_E_NS1_11comp_targetILNS1_3genE2ELNS1_11target_archE906ELNS1_3gpuE6ELNS1_3repE0EEENS1_30default_config_static_selectorELNS0_4arch9wavefront6targetE1EEEvT1_,"axG",@progbits,_ZN7rocprim17ROCPRIM_400000_NS6detail17trampoline_kernelINS0_14default_configENS1_25partition_config_selectorILNS1_17partition_subalgoE2EtNS0_10empty_typeEbEEZZNS1_14partition_implILS5_2ELb0ES3_jN6thrust23THRUST_200600_302600_NS6detail15normal_iteratorINSA_7pointerItNSA_11hip_rocprim3tagENSA_11use_defaultESG_EEEEPS6_NSA_18transform_iteratorI7is_evenItENSC_INSA_10device_ptrItEEEESG_SG_EENS0_5tupleIJPtSJ_EEENSR_IJSJ_SJ_EEES6_PlJS6_EEE10hipError_tPvRmT3_T4_T5_T6_T7_T9_mT8_P12ihipStream_tbDpT10_ENKUlT_T0_E_clISt17integral_constantIbLb1EES1F_EEDaS1A_S1B_EUlS1A_E_NS1_11comp_targetILNS1_3genE2ELNS1_11target_archE906ELNS1_3gpuE6ELNS1_3repE0EEENS1_30default_config_static_selectorELNS0_4arch9wavefront6targetE1EEEvT1_,comdat
.Lfunc_end2082:
	.size	_ZN7rocprim17ROCPRIM_400000_NS6detail17trampoline_kernelINS0_14default_configENS1_25partition_config_selectorILNS1_17partition_subalgoE2EtNS0_10empty_typeEbEEZZNS1_14partition_implILS5_2ELb0ES3_jN6thrust23THRUST_200600_302600_NS6detail15normal_iteratorINSA_7pointerItNSA_11hip_rocprim3tagENSA_11use_defaultESG_EEEEPS6_NSA_18transform_iteratorI7is_evenItENSC_INSA_10device_ptrItEEEESG_SG_EENS0_5tupleIJPtSJ_EEENSR_IJSJ_SJ_EEES6_PlJS6_EEE10hipError_tPvRmT3_T4_T5_T6_T7_T9_mT8_P12ihipStream_tbDpT10_ENKUlT_T0_E_clISt17integral_constantIbLb1EES1F_EEDaS1A_S1B_EUlS1A_E_NS1_11comp_targetILNS1_3genE2ELNS1_11target_archE906ELNS1_3gpuE6ELNS1_3repE0EEENS1_30default_config_static_selectorELNS0_4arch9wavefront6targetE1EEEvT1_, .Lfunc_end2082-_ZN7rocprim17ROCPRIM_400000_NS6detail17trampoline_kernelINS0_14default_configENS1_25partition_config_selectorILNS1_17partition_subalgoE2EtNS0_10empty_typeEbEEZZNS1_14partition_implILS5_2ELb0ES3_jN6thrust23THRUST_200600_302600_NS6detail15normal_iteratorINSA_7pointerItNSA_11hip_rocprim3tagENSA_11use_defaultESG_EEEEPS6_NSA_18transform_iteratorI7is_evenItENSC_INSA_10device_ptrItEEEESG_SG_EENS0_5tupleIJPtSJ_EEENSR_IJSJ_SJ_EEES6_PlJS6_EEE10hipError_tPvRmT3_T4_T5_T6_T7_T9_mT8_P12ihipStream_tbDpT10_ENKUlT_T0_E_clISt17integral_constantIbLb1EES1F_EEDaS1A_S1B_EUlS1A_E_NS1_11comp_targetILNS1_3genE2ELNS1_11target_archE906ELNS1_3gpuE6ELNS1_3repE0EEENS1_30default_config_static_selectorELNS0_4arch9wavefront6targetE1EEEvT1_
                                        ; -- End function
	.section	.AMDGPU.csdata,"",@progbits
; Kernel info:
; codeLenInByte = 0
; NumSgprs: 6
; NumVgprs: 0
; NumAgprs: 0
; TotalNumVgprs: 0
; ScratchSize: 0
; MemoryBound: 0
; FloatMode: 240
; IeeeMode: 1
; LDSByteSize: 0 bytes/workgroup (compile time only)
; SGPRBlocks: 0
; VGPRBlocks: 0
; NumSGPRsForWavesPerEU: 6
; NumVGPRsForWavesPerEU: 1
; AccumOffset: 4
; Occupancy: 8
; WaveLimiterHint : 0
; COMPUTE_PGM_RSRC2:SCRATCH_EN: 0
; COMPUTE_PGM_RSRC2:USER_SGPR: 2
; COMPUTE_PGM_RSRC2:TRAP_HANDLER: 0
; COMPUTE_PGM_RSRC2:TGID_X_EN: 1
; COMPUTE_PGM_RSRC2:TGID_Y_EN: 0
; COMPUTE_PGM_RSRC2:TGID_Z_EN: 0
; COMPUTE_PGM_RSRC2:TIDIG_COMP_CNT: 0
; COMPUTE_PGM_RSRC3_GFX90A:ACCUM_OFFSET: 0
; COMPUTE_PGM_RSRC3_GFX90A:TG_SPLIT: 0
	.section	.text._ZN7rocprim17ROCPRIM_400000_NS6detail17trampoline_kernelINS0_14default_configENS1_25partition_config_selectorILNS1_17partition_subalgoE2EtNS0_10empty_typeEbEEZZNS1_14partition_implILS5_2ELb0ES3_jN6thrust23THRUST_200600_302600_NS6detail15normal_iteratorINSA_7pointerItNSA_11hip_rocprim3tagENSA_11use_defaultESG_EEEEPS6_NSA_18transform_iteratorI7is_evenItENSC_INSA_10device_ptrItEEEESG_SG_EENS0_5tupleIJPtSJ_EEENSR_IJSJ_SJ_EEES6_PlJS6_EEE10hipError_tPvRmT3_T4_T5_T6_T7_T9_mT8_P12ihipStream_tbDpT10_ENKUlT_T0_E_clISt17integral_constantIbLb1EES1F_EEDaS1A_S1B_EUlS1A_E_NS1_11comp_targetILNS1_3genE10ELNS1_11target_archE1200ELNS1_3gpuE4ELNS1_3repE0EEENS1_30default_config_static_selectorELNS0_4arch9wavefront6targetE1EEEvT1_,"axG",@progbits,_ZN7rocprim17ROCPRIM_400000_NS6detail17trampoline_kernelINS0_14default_configENS1_25partition_config_selectorILNS1_17partition_subalgoE2EtNS0_10empty_typeEbEEZZNS1_14partition_implILS5_2ELb0ES3_jN6thrust23THRUST_200600_302600_NS6detail15normal_iteratorINSA_7pointerItNSA_11hip_rocprim3tagENSA_11use_defaultESG_EEEEPS6_NSA_18transform_iteratorI7is_evenItENSC_INSA_10device_ptrItEEEESG_SG_EENS0_5tupleIJPtSJ_EEENSR_IJSJ_SJ_EEES6_PlJS6_EEE10hipError_tPvRmT3_T4_T5_T6_T7_T9_mT8_P12ihipStream_tbDpT10_ENKUlT_T0_E_clISt17integral_constantIbLb1EES1F_EEDaS1A_S1B_EUlS1A_E_NS1_11comp_targetILNS1_3genE10ELNS1_11target_archE1200ELNS1_3gpuE4ELNS1_3repE0EEENS1_30default_config_static_selectorELNS0_4arch9wavefront6targetE1EEEvT1_,comdat
	.protected	_ZN7rocprim17ROCPRIM_400000_NS6detail17trampoline_kernelINS0_14default_configENS1_25partition_config_selectorILNS1_17partition_subalgoE2EtNS0_10empty_typeEbEEZZNS1_14partition_implILS5_2ELb0ES3_jN6thrust23THRUST_200600_302600_NS6detail15normal_iteratorINSA_7pointerItNSA_11hip_rocprim3tagENSA_11use_defaultESG_EEEEPS6_NSA_18transform_iteratorI7is_evenItENSC_INSA_10device_ptrItEEEESG_SG_EENS0_5tupleIJPtSJ_EEENSR_IJSJ_SJ_EEES6_PlJS6_EEE10hipError_tPvRmT3_T4_T5_T6_T7_T9_mT8_P12ihipStream_tbDpT10_ENKUlT_T0_E_clISt17integral_constantIbLb1EES1F_EEDaS1A_S1B_EUlS1A_E_NS1_11comp_targetILNS1_3genE10ELNS1_11target_archE1200ELNS1_3gpuE4ELNS1_3repE0EEENS1_30default_config_static_selectorELNS0_4arch9wavefront6targetE1EEEvT1_ ; -- Begin function _ZN7rocprim17ROCPRIM_400000_NS6detail17trampoline_kernelINS0_14default_configENS1_25partition_config_selectorILNS1_17partition_subalgoE2EtNS0_10empty_typeEbEEZZNS1_14partition_implILS5_2ELb0ES3_jN6thrust23THRUST_200600_302600_NS6detail15normal_iteratorINSA_7pointerItNSA_11hip_rocprim3tagENSA_11use_defaultESG_EEEEPS6_NSA_18transform_iteratorI7is_evenItENSC_INSA_10device_ptrItEEEESG_SG_EENS0_5tupleIJPtSJ_EEENSR_IJSJ_SJ_EEES6_PlJS6_EEE10hipError_tPvRmT3_T4_T5_T6_T7_T9_mT8_P12ihipStream_tbDpT10_ENKUlT_T0_E_clISt17integral_constantIbLb1EES1F_EEDaS1A_S1B_EUlS1A_E_NS1_11comp_targetILNS1_3genE10ELNS1_11target_archE1200ELNS1_3gpuE4ELNS1_3repE0EEENS1_30default_config_static_selectorELNS0_4arch9wavefront6targetE1EEEvT1_
	.globl	_ZN7rocprim17ROCPRIM_400000_NS6detail17trampoline_kernelINS0_14default_configENS1_25partition_config_selectorILNS1_17partition_subalgoE2EtNS0_10empty_typeEbEEZZNS1_14partition_implILS5_2ELb0ES3_jN6thrust23THRUST_200600_302600_NS6detail15normal_iteratorINSA_7pointerItNSA_11hip_rocprim3tagENSA_11use_defaultESG_EEEEPS6_NSA_18transform_iteratorI7is_evenItENSC_INSA_10device_ptrItEEEESG_SG_EENS0_5tupleIJPtSJ_EEENSR_IJSJ_SJ_EEES6_PlJS6_EEE10hipError_tPvRmT3_T4_T5_T6_T7_T9_mT8_P12ihipStream_tbDpT10_ENKUlT_T0_E_clISt17integral_constantIbLb1EES1F_EEDaS1A_S1B_EUlS1A_E_NS1_11comp_targetILNS1_3genE10ELNS1_11target_archE1200ELNS1_3gpuE4ELNS1_3repE0EEENS1_30default_config_static_selectorELNS0_4arch9wavefront6targetE1EEEvT1_
	.p2align	8
	.type	_ZN7rocprim17ROCPRIM_400000_NS6detail17trampoline_kernelINS0_14default_configENS1_25partition_config_selectorILNS1_17partition_subalgoE2EtNS0_10empty_typeEbEEZZNS1_14partition_implILS5_2ELb0ES3_jN6thrust23THRUST_200600_302600_NS6detail15normal_iteratorINSA_7pointerItNSA_11hip_rocprim3tagENSA_11use_defaultESG_EEEEPS6_NSA_18transform_iteratorI7is_evenItENSC_INSA_10device_ptrItEEEESG_SG_EENS0_5tupleIJPtSJ_EEENSR_IJSJ_SJ_EEES6_PlJS6_EEE10hipError_tPvRmT3_T4_T5_T6_T7_T9_mT8_P12ihipStream_tbDpT10_ENKUlT_T0_E_clISt17integral_constantIbLb1EES1F_EEDaS1A_S1B_EUlS1A_E_NS1_11comp_targetILNS1_3genE10ELNS1_11target_archE1200ELNS1_3gpuE4ELNS1_3repE0EEENS1_30default_config_static_selectorELNS0_4arch9wavefront6targetE1EEEvT1_,@function
_ZN7rocprim17ROCPRIM_400000_NS6detail17trampoline_kernelINS0_14default_configENS1_25partition_config_selectorILNS1_17partition_subalgoE2EtNS0_10empty_typeEbEEZZNS1_14partition_implILS5_2ELb0ES3_jN6thrust23THRUST_200600_302600_NS6detail15normal_iteratorINSA_7pointerItNSA_11hip_rocprim3tagENSA_11use_defaultESG_EEEEPS6_NSA_18transform_iteratorI7is_evenItENSC_INSA_10device_ptrItEEEESG_SG_EENS0_5tupleIJPtSJ_EEENSR_IJSJ_SJ_EEES6_PlJS6_EEE10hipError_tPvRmT3_T4_T5_T6_T7_T9_mT8_P12ihipStream_tbDpT10_ENKUlT_T0_E_clISt17integral_constantIbLb1EES1F_EEDaS1A_S1B_EUlS1A_E_NS1_11comp_targetILNS1_3genE10ELNS1_11target_archE1200ELNS1_3gpuE4ELNS1_3repE0EEENS1_30default_config_static_selectorELNS0_4arch9wavefront6targetE1EEEvT1_: ; @_ZN7rocprim17ROCPRIM_400000_NS6detail17trampoline_kernelINS0_14default_configENS1_25partition_config_selectorILNS1_17partition_subalgoE2EtNS0_10empty_typeEbEEZZNS1_14partition_implILS5_2ELb0ES3_jN6thrust23THRUST_200600_302600_NS6detail15normal_iteratorINSA_7pointerItNSA_11hip_rocprim3tagENSA_11use_defaultESG_EEEEPS6_NSA_18transform_iteratorI7is_evenItENSC_INSA_10device_ptrItEEEESG_SG_EENS0_5tupleIJPtSJ_EEENSR_IJSJ_SJ_EEES6_PlJS6_EEE10hipError_tPvRmT3_T4_T5_T6_T7_T9_mT8_P12ihipStream_tbDpT10_ENKUlT_T0_E_clISt17integral_constantIbLb1EES1F_EEDaS1A_S1B_EUlS1A_E_NS1_11comp_targetILNS1_3genE10ELNS1_11target_archE1200ELNS1_3gpuE4ELNS1_3repE0EEENS1_30default_config_static_selectorELNS0_4arch9wavefront6targetE1EEEvT1_
; %bb.0:
	.section	.rodata,"a",@progbits
	.p2align	6, 0x0
	.amdhsa_kernel _ZN7rocprim17ROCPRIM_400000_NS6detail17trampoline_kernelINS0_14default_configENS1_25partition_config_selectorILNS1_17partition_subalgoE2EtNS0_10empty_typeEbEEZZNS1_14partition_implILS5_2ELb0ES3_jN6thrust23THRUST_200600_302600_NS6detail15normal_iteratorINSA_7pointerItNSA_11hip_rocprim3tagENSA_11use_defaultESG_EEEEPS6_NSA_18transform_iteratorI7is_evenItENSC_INSA_10device_ptrItEEEESG_SG_EENS0_5tupleIJPtSJ_EEENSR_IJSJ_SJ_EEES6_PlJS6_EEE10hipError_tPvRmT3_T4_T5_T6_T7_T9_mT8_P12ihipStream_tbDpT10_ENKUlT_T0_E_clISt17integral_constantIbLb1EES1F_EEDaS1A_S1B_EUlS1A_E_NS1_11comp_targetILNS1_3genE10ELNS1_11target_archE1200ELNS1_3gpuE4ELNS1_3repE0EEENS1_30default_config_static_selectorELNS0_4arch9wavefront6targetE1EEEvT1_
		.amdhsa_group_segment_fixed_size 0
		.amdhsa_private_segment_fixed_size 0
		.amdhsa_kernarg_size 144
		.amdhsa_user_sgpr_count 2
		.amdhsa_user_sgpr_dispatch_ptr 0
		.amdhsa_user_sgpr_queue_ptr 0
		.amdhsa_user_sgpr_kernarg_segment_ptr 1
		.amdhsa_user_sgpr_dispatch_id 0
		.amdhsa_user_sgpr_kernarg_preload_length 0
		.amdhsa_user_sgpr_kernarg_preload_offset 0
		.amdhsa_user_sgpr_private_segment_size 0
		.amdhsa_uses_dynamic_stack 0
		.amdhsa_enable_private_segment 0
		.amdhsa_system_sgpr_workgroup_id_x 1
		.amdhsa_system_sgpr_workgroup_id_y 0
		.amdhsa_system_sgpr_workgroup_id_z 0
		.amdhsa_system_sgpr_workgroup_info 0
		.amdhsa_system_vgpr_workitem_id 0
		.amdhsa_next_free_vgpr 1
		.amdhsa_next_free_sgpr 0
		.amdhsa_accum_offset 4
		.amdhsa_reserve_vcc 0
		.amdhsa_float_round_mode_32 0
		.amdhsa_float_round_mode_16_64 0
		.amdhsa_float_denorm_mode_32 3
		.amdhsa_float_denorm_mode_16_64 3
		.amdhsa_dx10_clamp 1
		.amdhsa_ieee_mode 1
		.amdhsa_fp16_overflow 0
		.amdhsa_tg_split 0
		.amdhsa_exception_fp_ieee_invalid_op 0
		.amdhsa_exception_fp_denorm_src 0
		.amdhsa_exception_fp_ieee_div_zero 0
		.amdhsa_exception_fp_ieee_overflow 0
		.amdhsa_exception_fp_ieee_underflow 0
		.amdhsa_exception_fp_ieee_inexact 0
		.amdhsa_exception_int_div_zero 0
	.end_amdhsa_kernel
	.section	.text._ZN7rocprim17ROCPRIM_400000_NS6detail17trampoline_kernelINS0_14default_configENS1_25partition_config_selectorILNS1_17partition_subalgoE2EtNS0_10empty_typeEbEEZZNS1_14partition_implILS5_2ELb0ES3_jN6thrust23THRUST_200600_302600_NS6detail15normal_iteratorINSA_7pointerItNSA_11hip_rocprim3tagENSA_11use_defaultESG_EEEEPS6_NSA_18transform_iteratorI7is_evenItENSC_INSA_10device_ptrItEEEESG_SG_EENS0_5tupleIJPtSJ_EEENSR_IJSJ_SJ_EEES6_PlJS6_EEE10hipError_tPvRmT3_T4_T5_T6_T7_T9_mT8_P12ihipStream_tbDpT10_ENKUlT_T0_E_clISt17integral_constantIbLb1EES1F_EEDaS1A_S1B_EUlS1A_E_NS1_11comp_targetILNS1_3genE10ELNS1_11target_archE1200ELNS1_3gpuE4ELNS1_3repE0EEENS1_30default_config_static_selectorELNS0_4arch9wavefront6targetE1EEEvT1_,"axG",@progbits,_ZN7rocprim17ROCPRIM_400000_NS6detail17trampoline_kernelINS0_14default_configENS1_25partition_config_selectorILNS1_17partition_subalgoE2EtNS0_10empty_typeEbEEZZNS1_14partition_implILS5_2ELb0ES3_jN6thrust23THRUST_200600_302600_NS6detail15normal_iteratorINSA_7pointerItNSA_11hip_rocprim3tagENSA_11use_defaultESG_EEEEPS6_NSA_18transform_iteratorI7is_evenItENSC_INSA_10device_ptrItEEEESG_SG_EENS0_5tupleIJPtSJ_EEENSR_IJSJ_SJ_EEES6_PlJS6_EEE10hipError_tPvRmT3_T4_T5_T6_T7_T9_mT8_P12ihipStream_tbDpT10_ENKUlT_T0_E_clISt17integral_constantIbLb1EES1F_EEDaS1A_S1B_EUlS1A_E_NS1_11comp_targetILNS1_3genE10ELNS1_11target_archE1200ELNS1_3gpuE4ELNS1_3repE0EEENS1_30default_config_static_selectorELNS0_4arch9wavefront6targetE1EEEvT1_,comdat
.Lfunc_end2083:
	.size	_ZN7rocprim17ROCPRIM_400000_NS6detail17trampoline_kernelINS0_14default_configENS1_25partition_config_selectorILNS1_17partition_subalgoE2EtNS0_10empty_typeEbEEZZNS1_14partition_implILS5_2ELb0ES3_jN6thrust23THRUST_200600_302600_NS6detail15normal_iteratorINSA_7pointerItNSA_11hip_rocprim3tagENSA_11use_defaultESG_EEEEPS6_NSA_18transform_iteratorI7is_evenItENSC_INSA_10device_ptrItEEEESG_SG_EENS0_5tupleIJPtSJ_EEENSR_IJSJ_SJ_EEES6_PlJS6_EEE10hipError_tPvRmT3_T4_T5_T6_T7_T9_mT8_P12ihipStream_tbDpT10_ENKUlT_T0_E_clISt17integral_constantIbLb1EES1F_EEDaS1A_S1B_EUlS1A_E_NS1_11comp_targetILNS1_3genE10ELNS1_11target_archE1200ELNS1_3gpuE4ELNS1_3repE0EEENS1_30default_config_static_selectorELNS0_4arch9wavefront6targetE1EEEvT1_, .Lfunc_end2083-_ZN7rocprim17ROCPRIM_400000_NS6detail17trampoline_kernelINS0_14default_configENS1_25partition_config_selectorILNS1_17partition_subalgoE2EtNS0_10empty_typeEbEEZZNS1_14partition_implILS5_2ELb0ES3_jN6thrust23THRUST_200600_302600_NS6detail15normal_iteratorINSA_7pointerItNSA_11hip_rocprim3tagENSA_11use_defaultESG_EEEEPS6_NSA_18transform_iteratorI7is_evenItENSC_INSA_10device_ptrItEEEESG_SG_EENS0_5tupleIJPtSJ_EEENSR_IJSJ_SJ_EEES6_PlJS6_EEE10hipError_tPvRmT3_T4_T5_T6_T7_T9_mT8_P12ihipStream_tbDpT10_ENKUlT_T0_E_clISt17integral_constantIbLb1EES1F_EEDaS1A_S1B_EUlS1A_E_NS1_11comp_targetILNS1_3genE10ELNS1_11target_archE1200ELNS1_3gpuE4ELNS1_3repE0EEENS1_30default_config_static_selectorELNS0_4arch9wavefront6targetE1EEEvT1_
                                        ; -- End function
	.section	.AMDGPU.csdata,"",@progbits
; Kernel info:
; codeLenInByte = 0
; NumSgprs: 6
; NumVgprs: 0
; NumAgprs: 0
; TotalNumVgprs: 0
; ScratchSize: 0
; MemoryBound: 0
; FloatMode: 240
; IeeeMode: 1
; LDSByteSize: 0 bytes/workgroup (compile time only)
; SGPRBlocks: 0
; VGPRBlocks: 0
; NumSGPRsForWavesPerEU: 6
; NumVGPRsForWavesPerEU: 1
; AccumOffset: 4
; Occupancy: 8
; WaveLimiterHint : 0
; COMPUTE_PGM_RSRC2:SCRATCH_EN: 0
; COMPUTE_PGM_RSRC2:USER_SGPR: 2
; COMPUTE_PGM_RSRC2:TRAP_HANDLER: 0
; COMPUTE_PGM_RSRC2:TGID_X_EN: 1
; COMPUTE_PGM_RSRC2:TGID_Y_EN: 0
; COMPUTE_PGM_RSRC2:TGID_Z_EN: 0
; COMPUTE_PGM_RSRC2:TIDIG_COMP_CNT: 0
; COMPUTE_PGM_RSRC3_GFX90A:ACCUM_OFFSET: 0
; COMPUTE_PGM_RSRC3_GFX90A:TG_SPLIT: 0
	.section	.text._ZN7rocprim17ROCPRIM_400000_NS6detail17trampoline_kernelINS0_14default_configENS1_25partition_config_selectorILNS1_17partition_subalgoE2EtNS0_10empty_typeEbEEZZNS1_14partition_implILS5_2ELb0ES3_jN6thrust23THRUST_200600_302600_NS6detail15normal_iteratorINSA_7pointerItNSA_11hip_rocprim3tagENSA_11use_defaultESG_EEEEPS6_NSA_18transform_iteratorI7is_evenItENSC_INSA_10device_ptrItEEEESG_SG_EENS0_5tupleIJPtSJ_EEENSR_IJSJ_SJ_EEES6_PlJS6_EEE10hipError_tPvRmT3_T4_T5_T6_T7_T9_mT8_P12ihipStream_tbDpT10_ENKUlT_T0_E_clISt17integral_constantIbLb1EES1F_EEDaS1A_S1B_EUlS1A_E_NS1_11comp_targetILNS1_3genE9ELNS1_11target_archE1100ELNS1_3gpuE3ELNS1_3repE0EEENS1_30default_config_static_selectorELNS0_4arch9wavefront6targetE1EEEvT1_,"axG",@progbits,_ZN7rocprim17ROCPRIM_400000_NS6detail17trampoline_kernelINS0_14default_configENS1_25partition_config_selectorILNS1_17partition_subalgoE2EtNS0_10empty_typeEbEEZZNS1_14partition_implILS5_2ELb0ES3_jN6thrust23THRUST_200600_302600_NS6detail15normal_iteratorINSA_7pointerItNSA_11hip_rocprim3tagENSA_11use_defaultESG_EEEEPS6_NSA_18transform_iteratorI7is_evenItENSC_INSA_10device_ptrItEEEESG_SG_EENS0_5tupleIJPtSJ_EEENSR_IJSJ_SJ_EEES6_PlJS6_EEE10hipError_tPvRmT3_T4_T5_T6_T7_T9_mT8_P12ihipStream_tbDpT10_ENKUlT_T0_E_clISt17integral_constantIbLb1EES1F_EEDaS1A_S1B_EUlS1A_E_NS1_11comp_targetILNS1_3genE9ELNS1_11target_archE1100ELNS1_3gpuE3ELNS1_3repE0EEENS1_30default_config_static_selectorELNS0_4arch9wavefront6targetE1EEEvT1_,comdat
	.protected	_ZN7rocprim17ROCPRIM_400000_NS6detail17trampoline_kernelINS0_14default_configENS1_25partition_config_selectorILNS1_17partition_subalgoE2EtNS0_10empty_typeEbEEZZNS1_14partition_implILS5_2ELb0ES3_jN6thrust23THRUST_200600_302600_NS6detail15normal_iteratorINSA_7pointerItNSA_11hip_rocprim3tagENSA_11use_defaultESG_EEEEPS6_NSA_18transform_iteratorI7is_evenItENSC_INSA_10device_ptrItEEEESG_SG_EENS0_5tupleIJPtSJ_EEENSR_IJSJ_SJ_EEES6_PlJS6_EEE10hipError_tPvRmT3_T4_T5_T6_T7_T9_mT8_P12ihipStream_tbDpT10_ENKUlT_T0_E_clISt17integral_constantIbLb1EES1F_EEDaS1A_S1B_EUlS1A_E_NS1_11comp_targetILNS1_3genE9ELNS1_11target_archE1100ELNS1_3gpuE3ELNS1_3repE0EEENS1_30default_config_static_selectorELNS0_4arch9wavefront6targetE1EEEvT1_ ; -- Begin function _ZN7rocprim17ROCPRIM_400000_NS6detail17trampoline_kernelINS0_14default_configENS1_25partition_config_selectorILNS1_17partition_subalgoE2EtNS0_10empty_typeEbEEZZNS1_14partition_implILS5_2ELb0ES3_jN6thrust23THRUST_200600_302600_NS6detail15normal_iteratorINSA_7pointerItNSA_11hip_rocprim3tagENSA_11use_defaultESG_EEEEPS6_NSA_18transform_iteratorI7is_evenItENSC_INSA_10device_ptrItEEEESG_SG_EENS0_5tupleIJPtSJ_EEENSR_IJSJ_SJ_EEES6_PlJS6_EEE10hipError_tPvRmT3_T4_T5_T6_T7_T9_mT8_P12ihipStream_tbDpT10_ENKUlT_T0_E_clISt17integral_constantIbLb1EES1F_EEDaS1A_S1B_EUlS1A_E_NS1_11comp_targetILNS1_3genE9ELNS1_11target_archE1100ELNS1_3gpuE3ELNS1_3repE0EEENS1_30default_config_static_selectorELNS0_4arch9wavefront6targetE1EEEvT1_
	.globl	_ZN7rocprim17ROCPRIM_400000_NS6detail17trampoline_kernelINS0_14default_configENS1_25partition_config_selectorILNS1_17partition_subalgoE2EtNS0_10empty_typeEbEEZZNS1_14partition_implILS5_2ELb0ES3_jN6thrust23THRUST_200600_302600_NS6detail15normal_iteratorINSA_7pointerItNSA_11hip_rocprim3tagENSA_11use_defaultESG_EEEEPS6_NSA_18transform_iteratorI7is_evenItENSC_INSA_10device_ptrItEEEESG_SG_EENS0_5tupleIJPtSJ_EEENSR_IJSJ_SJ_EEES6_PlJS6_EEE10hipError_tPvRmT3_T4_T5_T6_T7_T9_mT8_P12ihipStream_tbDpT10_ENKUlT_T0_E_clISt17integral_constantIbLb1EES1F_EEDaS1A_S1B_EUlS1A_E_NS1_11comp_targetILNS1_3genE9ELNS1_11target_archE1100ELNS1_3gpuE3ELNS1_3repE0EEENS1_30default_config_static_selectorELNS0_4arch9wavefront6targetE1EEEvT1_
	.p2align	8
	.type	_ZN7rocprim17ROCPRIM_400000_NS6detail17trampoline_kernelINS0_14default_configENS1_25partition_config_selectorILNS1_17partition_subalgoE2EtNS0_10empty_typeEbEEZZNS1_14partition_implILS5_2ELb0ES3_jN6thrust23THRUST_200600_302600_NS6detail15normal_iteratorINSA_7pointerItNSA_11hip_rocprim3tagENSA_11use_defaultESG_EEEEPS6_NSA_18transform_iteratorI7is_evenItENSC_INSA_10device_ptrItEEEESG_SG_EENS0_5tupleIJPtSJ_EEENSR_IJSJ_SJ_EEES6_PlJS6_EEE10hipError_tPvRmT3_T4_T5_T6_T7_T9_mT8_P12ihipStream_tbDpT10_ENKUlT_T0_E_clISt17integral_constantIbLb1EES1F_EEDaS1A_S1B_EUlS1A_E_NS1_11comp_targetILNS1_3genE9ELNS1_11target_archE1100ELNS1_3gpuE3ELNS1_3repE0EEENS1_30default_config_static_selectorELNS0_4arch9wavefront6targetE1EEEvT1_,@function
_ZN7rocprim17ROCPRIM_400000_NS6detail17trampoline_kernelINS0_14default_configENS1_25partition_config_selectorILNS1_17partition_subalgoE2EtNS0_10empty_typeEbEEZZNS1_14partition_implILS5_2ELb0ES3_jN6thrust23THRUST_200600_302600_NS6detail15normal_iteratorINSA_7pointerItNSA_11hip_rocprim3tagENSA_11use_defaultESG_EEEEPS6_NSA_18transform_iteratorI7is_evenItENSC_INSA_10device_ptrItEEEESG_SG_EENS0_5tupleIJPtSJ_EEENSR_IJSJ_SJ_EEES6_PlJS6_EEE10hipError_tPvRmT3_T4_T5_T6_T7_T9_mT8_P12ihipStream_tbDpT10_ENKUlT_T0_E_clISt17integral_constantIbLb1EES1F_EEDaS1A_S1B_EUlS1A_E_NS1_11comp_targetILNS1_3genE9ELNS1_11target_archE1100ELNS1_3gpuE3ELNS1_3repE0EEENS1_30default_config_static_selectorELNS0_4arch9wavefront6targetE1EEEvT1_: ; @_ZN7rocprim17ROCPRIM_400000_NS6detail17trampoline_kernelINS0_14default_configENS1_25partition_config_selectorILNS1_17partition_subalgoE2EtNS0_10empty_typeEbEEZZNS1_14partition_implILS5_2ELb0ES3_jN6thrust23THRUST_200600_302600_NS6detail15normal_iteratorINSA_7pointerItNSA_11hip_rocprim3tagENSA_11use_defaultESG_EEEEPS6_NSA_18transform_iteratorI7is_evenItENSC_INSA_10device_ptrItEEEESG_SG_EENS0_5tupleIJPtSJ_EEENSR_IJSJ_SJ_EEES6_PlJS6_EEE10hipError_tPvRmT3_T4_T5_T6_T7_T9_mT8_P12ihipStream_tbDpT10_ENKUlT_T0_E_clISt17integral_constantIbLb1EES1F_EEDaS1A_S1B_EUlS1A_E_NS1_11comp_targetILNS1_3genE9ELNS1_11target_archE1100ELNS1_3gpuE3ELNS1_3repE0EEENS1_30default_config_static_selectorELNS0_4arch9wavefront6targetE1EEEvT1_
; %bb.0:
	.section	.rodata,"a",@progbits
	.p2align	6, 0x0
	.amdhsa_kernel _ZN7rocprim17ROCPRIM_400000_NS6detail17trampoline_kernelINS0_14default_configENS1_25partition_config_selectorILNS1_17partition_subalgoE2EtNS0_10empty_typeEbEEZZNS1_14partition_implILS5_2ELb0ES3_jN6thrust23THRUST_200600_302600_NS6detail15normal_iteratorINSA_7pointerItNSA_11hip_rocprim3tagENSA_11use_defaultESG_EEEEPS6_NSA_18transform_iteratorI7is_evenItENSC_INSA_10device_ptrItEEEESG_SG_EENS0_5tupleIJPtSJ_EEENSR_IJSJ_SJ_EEES6_PlJS6_EEE10hipError_tPvRmT3_T4_T5_T6_T7_T9_mT8_P12ihipStream_tbDpT10_ENKUlT_T0_E_clISt17integral_constantIbLb1EES1F_EEDaS1A_S1B_EUlS1A_E_NS1_11comp_targetILNS1_3genE9ELNS1_11target_archE1100ELNS1_3gpuE3ELNS1_3repE0EEENS1_30default_config_static_selectorELNS0_4arch9wavefront6targetE1EEEvT1_
		.amdhsa_group_segment_fixed_size 0
		.amdhsa_private_segment_fixed_size 0
		.amdhsa_kernarg_size 144
		.amdhsa_user_sgpr_count 2
		.amdhsa_user_sgpr_dispatch_ptr 0
		.amdhsa_user_sgpr_queue_ptr 0
		.amdhsa_user_sgpr_kernarg_segment_ptr 1
		.amdhsa_user_sgpr_dispatch_id 0
		.amdhsa_user_sgpr_kernarg_preload_length 0
		.amdhsa_user_sgpr_kernarg_preload_offset 0
		.amdhsa_user_sgpr_private_segment_size 0
		.amdhsa_uses_dynamic_stack 0
		.amdhsa_enable_private_segment 0
		.amdhsa_system_sgpr_workgroup_id_x 1
		.amdhsa_system_sgpr_workgroup_id_y 0
		.amdhsa_system_sgpr_workgroup_id_z 0
		.amdhsa_system_sgpr_workgroup_info 0
		.amdhsa_system_vgpr_workitem_id 0
		.amdhsa_next_free_vgpr 1
		.amdhsa_next_free_sgpr 0
		.amdhsa_accum_offset 4
		.amdhsa_reserve_vcc 0
		.amdhsa_float_round_mode_32 0
		.amdhsa_float_round_mode_16_64 0
		.amdhsa_float_denorm_mode_32 3
		.amdhsa_float_denorm_mode_16_64 3
		.amdhsa_dx10_clamp 1
		.amdhsa_ieee_mode 1
		.amdhsa_fp16_overflow 0
		.amdhsa_tg_split 0
		.amdhsa_exception_fp_ieee_invalid_op 0
		.amdhsa_exception_fp_denorm_src 0
		.amdhsa_exception_fp_ieee_div_zero 0
		.amdhsa_exception_fp_ieee_overflow 0
		.amdhsa_exception_fp_ieee_underflow 0
		.amdhsa_exception_fp_ieee_inexact 0
		.amdhsa_exception_int_div_zero 0
	.end_amdhsa_kernel
	.section	.text._ZN7rocprim17ROCPRIM_400000_NS6detail17trampoline_kernelINS0_14default_configENS1_25partition_config_selectorILNS1_17partition_subalgoE2EtNS0_10empty_typeEbEEZZNS1_14partition_implILS5_2ELb0ES3_jN6thrust23THRUST_200600_302600_NS6detail15normal_iteratorINSA_7pointerItNSA_11hip_rocprim3tagENSA_11use_defaultESG_EEEEPS6_NSA_18transform_iteratorI7is_evenItENSC_INSA_10device_ptrItEEEESG_SG_EENS0_5tupleIJPtSJ_EEENSR_IJSJ_SJ_EEES6_PlJS6_EEE10hipError_tPvRmT3_T4_T5_T6_T7_T9_mT8_P12ihipStream_tbDpT10_ENKUlT_T0_E_clISt17integral_constantIbLb1EES1F_EEDaS1A_S1B_EUlS1A_E_NS1_11comp_targetILNS1_3genE9ELNS1_11target_archE1100ELNS1_3gpuE3ELNS1_3repE0EEENS1_30default_config_static_selectorELNS0_4arch9wavefront6targetE1EEEvT1_,"axG",@progbits,_ZN7rocprim17ROCPRIM_400000_NS6detail17trampoline_kernelINS0_14default_configENS1_25partition_config_selectorILNS1_17partition_subalgoE2EtNS0_10empty_typeEbEEZZNS1_14partition_implILS5_2ELb0ES3_jN6thrust23THRUST_200600_302600_NS6detail15normal_iteratorINSA_7pointerItNSA_11hip_rocprim3tagENSA_11use_defaultESG_EEEEPS6_NSA_18transform_iteratorI7is_evenItENSC_INSA_10device_ptrItEEEESG_SG_EENS0_5tupleIJPtSJ_EEENSR_IJSJ_SJ_EEES6_PlJS6_EEE10hipError_tPvRmT3_T4_T5_T6_T7_T9_mT8_P12ihipStream_tbDpT10_ENKUlT_T0_E_clISt17integral_constantIbLb1EES1F_EEDaS1A_S1B_EUlS1A_E_NS1_11comp_targetILNS1_3genE9ELNS1_11target_archE1100ELNS1_3gpuE3ELNS1_3repE0EEENS1_30default_config_static_selectorELNS0_4arch9wavefront6targetE1EEEvT1_,comdat
.Lfunc_end2084:
	.size	_ZN7rocprim17ROCPRIM_400000_NS6detail17trampoline_kernelINS0_14default_configENS1_25partition_config_selectorILNS1_17partition_subalgoE2EtNS0_10empty_typeEbEEZZNS1_14partition_implILS5_2ELb0ES3_jN6thrust23THRUST_200600_302600_NS6detail15normal_iteratorINSA_7pointerItNSA_11hip_rocprim3tagENSA_11use_defaultESG_EEEEPS6_NSA_18transform_iteratorI7is_evenItENSC_INSA_10device_ptrItEEEESG_SG_EENS0_5tupleIJPtSJ_EEENSR_IJSJ_SJ_EEES6_PlJS6_EEE10hipError_tPvRmT3_T4_T5_T6_T7_T9_mT8_P12ihipStream_tbDpT10_ENKUlT_T0_E_clISt17integral_constantIbLb1EES1F_EEDaS1A_S1B_EUlS1A_E_NS1_11comp_targetILNS1_3genE9ELNS1_11target_archE1100ELNS1_3gpuE3ELNS1_3repE0EEENS1_30default_config_static_selectorELNS0_4arch9wavefront6targetE1EEEvT1_, .Lfunc_end2084-_ZN7rocprim17ROCPRIM_400000_NS6detail17trampoline_kernelINS0_14default_configENS1_25partition_config_selectorILNS1_17partition_subalgoE2EtNS0_10empty_typeEbEEZZNS1_14partition_implILS5_2ELb0ES3_jN6thrust23THRUST_200600_302600_NS6detail15normal_iteratorINSA_7pointerItNSA_11hip_rocprim3tagENSA_11use_defaultESG_EEEEPS6_NSA_18transform_iteratorI7is_evenItENSC_INSA_10device_ptrItEEEESG_SG_EENS0_5tupleIJPtSJ_EEENSR_IJSJ_SJ_EEES6_PlJS6_EEE10hipError_tPvRmT3_T4_T5_T6_T7_T9_mT8_P12ihipStream_tbDpT10_ENKUlT_T0_E_clISt17integral_constantIbLb1EES1F_EEDaS1A_S1B_EUlS1A_E_NS1_11comp_targetILNS1_3genE9ELNS1_11target_archE1100ELNS1_3gpuE3ELNS1_3repE0EEENS1_30default_config_static_selectorELNS0_4arch9wavefront6targetE1EEEvT1_
                                        ; -- End function
	.section	.AMDGPU.csdata,"",@progbits
; Kernel info:
; codeLenInByte = 0
; NumSgprs: 6
; NumVgprs: 0
; NumAgprs: 0
; TotalNumVgprs: 0
; ScratchSize: 0
; MemoryBound: 0
; FloatMode: 240
; IeeeMode: 1
; LDSByteSize: 0 bytes/workgroup (compile time only)
; SGPRBlocks: 0
; VGPRBlocks: 0
; NumSGPRsForWavesPerEU: 6
; NumVGPRsForWavesPerEU: 1
; AccumOffset: 4
; Occupancy: 8
; WaveLimiterHint : 0
; COMPUTE_PGM_RSRC2:SCRATCH_EN: 0
; COMPUTE_PGM_RSRC2:USER_SGPR: 2
; COMPUTE_PGM_RSRC2:TRAP_HANDLER: 0
; COMPUTE_PGM_RSRC2:TGID_X_EN: 1
; COMPUTE_PGM_RSRC2:TGID_Y_EN: 0
; COMPUTE_PGM_RSRC2:TGID_Z_EN: 0
; COMPUTE_PGM_RSRC2:TIDIG_COMP_CNT: 0
; COMPUTE_PGM_RSRC3_GFX90A:ACCUM_OFFSET: 0
; COMPUTE_PGM_RSRC3_GFX90A:TG_SPLIT: 0
	.section	.text._ZN7rocprim17ROCPRIM_400000_NS6detail17trampoline_kernelINS0_14default_configENS1_25partition_config_selectorILNS1_17partition_subalgoE2EtNS0_10empty_typeEbEEZZNS1_14partition_implILS5_2ELb0ES3_jN6thrust23THRUST_200600_302600_NS6detail15normal_iteratorINSA_7pointerItNSA_11hip_rocprim3tagENSA_11use_defaultESG_EEEEPS6_NSA_18transform_iteratorI7is_evenItENSC_INSA_10device_ptrItEEEESG_SG_EENS0_5tupleIJPtSJ_EEENSR_IJSJ_SJ_EEES6_PlJS6_EEE10hipError_tPvRmT3_T4_T5_T6_T7_T9_mT8_P12ihipStream_tbDpT10_ENKUlT_T0_E_clISt17integral_constantIbLb1EES1F_EEDaS1A_S1B_EUlS1A_E_NS1_11comp_targetILNS1_3genE8ELNS1_11target_archE1030ELNS1_3gpuE2ELNS1_3repE0EEENS1_30default_config_static_selectorELNS0_4arch9wavefront6targetE1EEEvT1_,"axG",@progbits,_ZN7rocprim17ROCPRIM_400000_NS6detail17trampoline_kernelINS0_14default_configENS1_25partition_config_selectorILNS1_17partition_subalgoE2EtNS0_10empty_typeEbEEZZNS1_14partition_implILS5_2ELb0ES3_jN6thrust23THRUST_200600_302600_NS6detail15normal_iteratorINSA_7pointerItNSA_11hip_rocprim3tagENSA_11use_defaultESG_EEEEPS6_NSA_18transform_iteratorI7is_evenItENSC_INSA_10device_ptrItEEEESG_SG_EENS0_5tupleIJPtSJ_EEENSR_IJSJ_SJ_EEES6_PlJS6_EEE10hipError_tPvRmT3_T4_T5_T6_T7_T9_mT8_P12ihipStream_tbDpT10_ENKUlT_T0_E_clISt17integral_constantIbLb1EES1F_EEDaS1A_S1B_EUlS1A_E_NS1_11comp_targetILNS1_3genE8ELNS1_11target_archE1030ELNS1_3gpuE2ELNS1_3repE0EEENS1_30default_config_static_selectorELNS0_4arch9wavefront6targetE1EEEvT1_,comdat
	.protected	_ZN7rocprim17ROCPRIM_400000_NS6detail17trampoline_kernelINS0_14default_configENS1_25partition_config_selectorILNS1_17partition_subalgoE2EtNS0_10empty_typeEbEEZZNS1_14partition_implILS5_2ELb0ES3_jN6thrust23THRUST_200600_302600_NS6detail15normal_iteratorINSA_7pointerItNSA_11hip_rocprim3tagENSA_11use_defaultESG_EEEEPS6_NSA_18transform_iteratorI7is_evenItENSC_INSA_10device_ptrItEEEESG_SG_EENS0_5tupleIJPtSJ_EEENSR_IJSJ_SJ_EEES6_PlJS6_EEE10hipError_tPvRmT3_T4_T5_T6_T7_T9_mT8_P12ihipStream_tbDpT10_ENKUlT_T0_E_clISt17integral_constantIbLb1EES1F_EEDaS1A_S1B_EUlS1A_E_NS1_11comp_targetILNS1_3genE8ELNS1_11target_archE1030ELNS1_3gpuE2ELNS1_3repE0EEENS1_30default_config_static_selectorELNS0_4arch9wavefront6targetE1EEEvT1_ ; -- Begin function _ZN7rocprim17ROCPRIM_400000_NS6detail17trampoline_kernelINS0_14default_configENS1_25partition_config_selectorILNS1_17partition_subalgoE2EtNS0_10empty_typeEbEEZZNS1_14partition_implILS5_2ELb0ES3_jN6thrust23THRUST_200600_302600_NS6detail15normal_iteratorINSA_7pointerItNSA_11hip_rocprim3tagENSA_11use_defaultESG_EEEEPS6_NSA_18transform_iteratorI7is_evenItENSC_INSA_10device_ptrItEEEESG_SG_EENS0_5tupleIJPtSJ_EEENSR_IJSJ_SJ_EEES6_PlJS6_EEE10hipError_tPvRmT3_T4_T5_T6_T7_T9_mT8_P12ihipStream_tbDpT10_ENKUlT_T0_E_clISt17integral_constantIbLb1EES1F_EEDaS1A_S1B_EUlS1A_E_NS1_11comp_targetILNS1_3genE8ELNS1_11target_archE1030ELNS1_3gpuE2ELNS1_3repE0EEENS1_30default_config_static_selectorELNS0_4arch9wavefront6targetE1EEEvT1_
	.globl	_ZN7rocprim17ROCPRIM_400000_NS6detail17trampoline_kernelINS0_14default_configENS1_25partition_config_selectorILNS1_17partition_subalgoE2EtNS0_10empty_typeEbEEZZNS1_14partition_implILS5_2ELb0ES3_jN6thrust23THRUST_200600_302600_NS6detail15normal_iteratorINSA_7pointerItNSA_11hip_rocprim3tagENSA_11use_defaultESG_EEEEPS6_NSA_18transform_iteratorI7is_evenItENSC_INSA_10device_ptrItEEEESG_SG_EENS0_5tupleIJPtSJ_EEENSR_IJSJ_SJ_EEES6_PlJS6_EEE10hipError_tPvRmT3_T4_T5_T6_T7_T9_mT8_P12ihipStream_tbDpT10_ENKUlT_T0_E_clISt17integral_constantIbLb1EES1F_EEDaS1A_S1B_EUlS1A_E_NS1_11comp_targetILNS1_3genE8ELNS1_11target_archE1030ELNS1_3gpuE2ELNS1_3repE0EEENS1_30default_config_static_selectorELNS0_4arch9wavefront6targetE1EEEvT1_
	.p2align	8
	.type	_ZN7rocprim17ROCPRIM_400000_NS6detail17trampoline_kernelINS0_14default_configENS1_25partition_config_selectorILNS1_17partition_subalgoE2EtNS0_10empty_typeEbEEZZNS1_14partition_implILS5_2ELb0ES3_jN6thrust23THRUST_200600_302600_NS6detail15normal_iteratorINSA_7pointerItNSA_11hip_rocprim3tagENSA_11use_defaultESG_EEEEPS6_NSA_18transform_iteratorI7is_evenItENSC_INSA_10device_ptrItEEEESG_SG_EENS0_5tupleIJPtSJ_EEENSR_IJSJ_SJ_EEES6_PlJS6_EEE10hipError_tPvRmT3_T4_T5_T6_T7_T9_mT8_P12ihipStream_tbDpT10_ENKUlT_T0_E_clISt17integral_constantIbLb1EES1F_EEDaS1A_S1B_EUlS1A_E_NS1_11comp_targetILNS1_3genE8ELNS1_11target_archE1030ELNS1_3gpuE2ELNS1_3repE0EEENS1_30default_config_static_selectorELNS0_4arch9wavefront6targetE1EEEvT1_,@function
_ZN7rocprim17ROCPRIM_400000_NS6detail17trampoline_kernelINS0_14default_configENS1_25partition_config_selectorILNS1_17partition_subalgoE2EtNS0_10empty_typeEbEEZZNS1_14partition_implILS5_2ELb0ES3_jN6thrust23THRUST_200600_302600_NS6detail15normal_iteratorINSA_7pointerItNSA_11hip_rocprim3tagENSA_11use_defaultESG_EEEEPS6_NSA_18transform_iteratorI7is_evenItENSC_INSA_10device_ptrItEEEESG_SG_EENS0_5tupleIJPtSJ_EEENSR_IJSJ_SJ_EEES6_PlJS6_EEE10hipError_tPvRmT3_T4_T5_T6_T7_T9_mT8_P12ihipStream_tbDpT10_ENKUlT_T0_E_clISt17integral_constantIbLb1EES1F_EEDaS1A_S1B_EUlS1A_E_NS1_11comp_targetILNS1_3genE8ELNS1_11target_archE1030ELNS1_3gpuE2ELNS1_3repE0EEENS1_30default_config_static_selectorELNS0_4arch9wavefront6targetE1EEEvT1_: ; @_ZN7rocprim17ROCPRIM_400000_NS6detail17trampoline_kernelINS0_14default_configENS1_25partition_config_selectorILNS1_17partition_subalgoE2EtNS0_10empty_typeEbEEZZNS1_14partition_implILS5_2ELb0ES3_jN6thrust23THRUST_200600_302600_NS6detail15normal_iteratorINSA_7pointerItNSA_11hip_rocprim3tagENSA_11use_defaultESG_EEEEPS6_NSA_18transform_iteratorI7is_evenItENSC_INSA_10device_ptrItEEEESG_SG_EENS0_5tupleIJPtSJ_EEENSR_IJSJ_SJ_EEES6_PlJS6_EEE10hipError_tPvRmT3_T4_T5_T6_T7_T9_mT8_P12ihipStream_tbDpT10_ENKUlT_T0_E_clISt17integral_constantIbLb1EES1F_EEDaS1A_S1B_EUlS1A_E_NS1_11comp_targetILNS1_3genE8ELNS1_11target_archE1030ELNS1_3gpuE2ELNS1_3repE0EEENS1_30default_config_static_selectorELNS0_4arch9wavefront6targetE1EEEvT1_
; %bb.0:
	.section	.rodata,"a",@progbits
	.p2align	6, 0x0
	.amdhsa_kernel _ZN7rocprim17ROCPRIM_400000_NS6detail17trampoline_kernelINS0_14default_configENS1_25partition_config_selectorILNS1_17partition_subalgoE2EtNS0_10empty_typeEbEEZZNS1_14partition_implILS5_2ELb0ES3_jN6thrust23THRUST_200600_302600_NS6detail15normal_iteratorINSA_7pointerItNSA_11hip_rocprim3tagENSA_11use_defaultESG_EEEEPS6_NSA_18transform_iteratorI7is_evenItENSC_INSA_10device_ptrItEEEESG_SG_EENS0_5tupleIJPtSJ_EEENSR_IJSJ_SJ_EEES6_PlJS6_EEE10hipError_tPvRmT3_T4_T5_T6_T7_T9_mT8_P12ihipStream_tbDpT10_ENKUlT_T0_E_clISt17integral_constantIbLb1EES1F_EEDaS1A_S1B_EUlS1A_E_NS1_11comp_targetILNS1_3genE8ELNS1_11target_archE1030ELNS1_3gpuE2ELNS1_3repE0EEENS1_30default_config_static_selectorELNS0_4arch9wavefront6targetE1EEEvT1_
		.amdhsa_group_segment_fixed_size 0
		.amdhsa_private_segment_fixed_size 0
		.amdhsa_kernarg_size 144
		.amdhsa_user_sgpr_count 2
		.amdhsa_user_sgpr_dispatch_ptr 0
		.amdhsa_user_sgpr_queue_ptr 0
		.amdhsa_user_sgpr_kernarg_segment_ptr 1
		.amdhsa_user_sgpr_dispatch_id 0
		.amdhsa_user_sgpr_kernarg_preload_length 0
		.amdhsa_user_sgpr_kernarg_preload_offset 0
		.amdhsa_user_sgpr_private_segment_size 0
		.amdhsa_uses_dynamic_stack 0
		.amdhsa_enable_private_segment 0
		.amdhsa_system_sgpr_workgroup_id_x 1
		.amdhsa_system_sgpr_workgroup_id_y 0
		.amdhsa_system_sgpr_workgroup_id_z 0
		.amdhsa_system_sgpr_workgroup_info 0
		.amdhsa_system_vgpr_workitem_id 0
		.amdhsa_next_free_vgpr 1
		.amdhsa_next_free_sgpr 0
		.amdhsa_accum_offset 4
		.amdhsa_reserve_vcc 0
		.amdhsa_float_round_mode_32 0
		.amdhsa_float_round_mode_16_64 0
		.amdhsa_float_denorm_mode_32 3
		.amdhsa_float_denorm_mode_16_64 3
		.amdhsa_dx10_clamp 1
		.amdhsa_ieee_mode 1
		.amdhsa_fp16_overflow 0
		.amdhsa_tg_split 0
		.amdhsa_exception_fp_ieee_invalid_op 0
		.amdhsa_exception_fp_denorm_src 0
		.amdhsa_exception_fp_ieee_div_zero 0
		.amdhsa_exception_fp_ieee_overflow 0
		.amdhsa_exception_fp_ieee_underflow 0
		.amdhsa_exception_fp_ieee_inexact 0
		.amdhsa_exception_int_div_zero 0
	.end_amdhsa_kernel
	.section	.text._ZN7rocprim17ROCPRIM_400000_NS6detail17trampoline_kernelINS0_14default_configENS1_25partition_config_selectorILNS1_17partition_subalgoE2EtNS0_10empty_typeEbEEZZNS1_14partition_implILS5_2ELb0ES3_jN6thrust23THRUST_200600_302600_NS6detail15normal_iteratorINSA_7pointerItNSA_11hip_rocprim3tagENSA_11use_defaultESG_EEEEPS6_NSA_18transform_iteratorI7is_evenItENSC_INSA_10device_ptrItEEEESG_SG_EENS0_5tupleIJPtSJ_EEENSR_IJSJ_SJ_EEES6_PlJS6_EEE10hipError_tPvRmT3_T4_T5_T6_T7_T9_mT8_P12ihipStream_tbDpT10_ENKUlT_T0_E_clISt17integral_constantIbLb1EES1F_EEDaS1A_S1B_EUlS1A_E_NS1_11comp_targetILNS1_3genE8ELNS1_11target_archE1030ELNS1_3gpuE2ELNS1_3repE0EEENS1_30default_config_static_selectorELNS0_4arch9wavefront6targetE1EEEvT1_,"axG",@progbits,_ZN7rocprim17ROCPRIM_400000_NS6detail17trampoline_kernelINS0_14default_configENS1_25partition_config_selectorILNS1_17partition_subalgoE2EtNS0_10empty_typeEbEEZZNS1_14partition_implILS5_2ELb0ES3_jN6thrust23THRUST_200600_302600_NS6detail15normal_iteratorINSA_7pointerItNSA_11hip_rocprim3tagENSA_11use_defaultESG_EEEEPS6_NSA_18transform_iteratorI7is_evenItENSC_INSA_10device_ptrItEEEESG_SG_EENS0_5tupleIJPtSJ_EEENSR_IJSJ_SJ_EEES6_PlJS6_EEE10hipError_tPvRmT3_T4_T5_T6_T7_T9_mT8_P12ihipStream_tbDpT10_ENKUlT_T0_E_clISt17integral_constantIbLb1EES1F_EEDaS1A_S1B_EUlS1A_E_NS1_11comp_targetILNS1_3genE8ELNS1_11target_archE1030ELNS1_3gpuE2ELNS1_3repE0EEENS1_30default_config_static_selectorELNS0_4arch9wavefront6targetE1EEEvT1_,comdat
.Lfunc_end2085:
	.size	_ZN7rocprim17ROCPRIM_400000_NS6detail17trampoline_kernelINS0_14default_configENS1_25partition_config_selectorILNS1_17partition_subalgoE2EtNS0_10empty_typeEbEEZZNS1_14partition_implILS5_2ELb0ES3_jN6thrust23THRUST_200600_302600_NS6detail15normal_iteratorINSA_7pointerItNSA_11hip_rocprim3tagENSA_11use_defaultESG_EEEEPS6_NSA_18transform_iteratorI7is_evenItENSC_INSA_10device_ptrItEEEESG_SG_EENS0_5tupleIJPtSJ_EEENSR_IJSJ_SJ_EEES6_PlJS6_EEE10hipError_tPvRmT3_T4_T5_T6_T7_T9_mT8_P12ihipStream_tbDpT10_ENKUlT_T0_E_clISt17integral_constantIbLb1EES1F_EEDaS1A_S1B_EUlS1A_E_NS1_11comp_targetILNS1_3genE8ELNS1_11target_archE1030ELNS1_3gpuE2ELNS1_3repE0EEENS1_30default_config_static_selectorELNS0_4arch9wavefront6targetE1EEEvT1_, .Lfunc_end2085-_ZN7rocprim17ROCPRIM_400000_NS6detail17trampoline_kernelINS0_14default_configENS1_25partition_config_selectorILNS1_17partition_subalgoE2EtNS0_10empty_typeEbEEZZNS1_14partition_implILS5_2ELb0ES3_jN6thrust23THRUST_200600_302600_NS6detail15normal_iteratorINSA_7pointerItNSA_11hip_rocprim3tagENSA_11use_defaultESG_EEEEPS6_NSA_18transform_iteratorI7is_evenItENSC_INSA_10device_ptrItEEEESG_SG_EENS0_5tupleIJPtSJ_EEENSR_IJSJ_SJ_EEES6_PlJS6_EEE10hipError_tPvRmT3_T4_T5_T6_T7_T9_mT8_P12ihipStream_tbDpT10_ENKUlT_T0_E_clISt17integral_constantIbLb1EES1F_EEDaS1A_S1B_EUlS1A_E_NS1_11comp_targetILNS1_3genE8ELNS1_11target_archE1030ELNS1_3gpuE2ELNS1_3repE0EEENS1_30default_config_static_selectorELNS0_4arch9wavefront6targetE1EEEvT1_
                                        ; -- End function
	.section	.AMDGPU.csdata,"",@progbits
; Kernel info:
; codeLenInByte = 0
; NumSgprs: 6
; NumVgprs: 0
; NumAgprs: 0
; TotalNumVgprs: 0
; ScratchSize: 0
; MemoryBound: 0
; FloatMode: 240
; IeeeMode: 1
; LDSByteSize: 0 bytes/workgroup (compile time only)
; SGPRBlocks: 0
; VGPRBlocks: 0
; NumSGPRsForWavesPerEU: 6
; NumVGPRsForWavesPerEU: 1
; AccumOffset: 4
; Occupancy: 8
; WaveLimiterHint : 0
; COMPUTE_PGM_RSRC2:SCRATCH_EN: 0
; COMPUTE_PGM_RSRC2:USER_SGPR: 2
; COMPUTE_PGM_RSRC2:TRAP_HANDLER: 0
; COMPUTE_PGM_RSRC2:TGID_X_EN: 1
; COMPUTE_PGM_RSRC2:TGID_Y_EN: 0
; COMPUTE_PGM_RSRC2:TGID_Z_EN: 0
; COMPUTE_PGM_RSRC2:TIDIG_COMP_CNT: 0
; COMPUTE_PGM_RSRC3_GFX90A:ACCUM_OFFSET: 0
; COMPUTE_PGM_RSRC3_GFX90A:TG_SPLIT: 0
	.section	.text._ZN7rocprim17ROCPRIM_400000_NS6detail17trampoline_kernelINS0_14default_configENS1_25partition_config_selectorILNS1_17partition_subalgoE2EtNS0_10empty_typeEbEEZZNS1_14partition_implILS5_2ELb0ES3_jN6thrust23THRUST_200600_302600_NS6detail15normal_iteratorINSA_7pointerItNSA_11hip_rocprim3tagENSA_11use_defaultESG_EEEEPS6_NSA_18transform_iteratorI7is_evenItENSC_INSA_10device_ptrItEEEESG_SG_EENS0_5tupleIJPtSJ_EEENSR_IJSJ_SJ_EEES6_PlJS6_EEE10hipError_tPvRmT3_T4_T5_T6_T7_T9_mT8_P12ihipStream_tbDpT10_ENKUlT_T0_E_clISt17integral_constantIbLb1EES1E_IbLb0EEEEDaS1A_S1B_EUlS1A_E_NS1_11comp_targetILNS1_3genE0ELNS1_11target_archE4294967295ELNS1_3gpuE0ELNS1_3repE0EEENS1_30default_config_static_selectorELNS0_4arch9wavefront6targetE1EEEvT1_,"axG",@progbits,_ZN7rocprim17ROCPRIM_400000_NS6detail17trampoline_kernelINS0_14default_configENS1_25partition_config_selectorILNS1_17partition_subalgoE2EtNS0_10empty_typeEbEEZZNS1_14partition_implILS5_2ELb0ES3_jN6thrust23THRUST_200600_302600_NS6detail15normal_iteratorINSA_7pointerItNSA_11hip_rocprim3tagENSA_11use_defaultESG_EEEEPS6_NSA_18transform_iteratorI7is_evenItENSC_INSA_10device_ptrItEEEESG_SG_EENS0_5tupleIJPtSJ_EEENSR_IJSJ_SJ_EEES6_PlJS6_EEE10hipError_tPvRmT3_T4_T5_T6_T7_T9_mT8_P12ihipStream_tbDpT10_ENKUlT_T0_E_clISt17integral_constantIbLb1EES1E_IbLb0EEEEDaS1A_S1B_EUlS1A_E_NS1_11comp_targetILNS1_3genE0ELNS1_11target_archE4294967295ELNS1_3gpuE0ELNS1_3repE0EEENS1_30default_config_static_selectorELNS0_4arch9wavefront6targetE1EEEvT1_,comdat
	.protected	_ZN7rocprim17ROCPRIM_400000_NS6detail17trampoline_kernelINS0_14default_configENS1_25partition_config_selectorILNS1_17partition_subalgoE2EtNS0_10empty_typeEbEEZZNS1_14partition_implILS5_2ELb0ES3_jN6thrust23THRUST_200600_302600_NS6detail15normal_iteratorINSA_7pointerItNSA_11hip_rocprim3tagENSA_11use_defaultESG_EEEEPS6_NSA_18transform_iteratorI7is_evenItENSC_INSA_10device_ptrItEEEESG_SG_EENS0_5tupleIJPtSJ_EEENSR_IJSJ_SJ_EEES6_PlJS6_EEE10hipError_tPvRmT3_T4_T5_T6_T7_T9_mT8_P12ihipStream_tbDpT10_ENKUlT_T0_E_clISt17integral_constantIbLb1EES1E_IbLb0EEEEDaS1A_S1B_EUlS1A_E_NS1_11comp_targetILNS1_3genE0ELNS1_11target_archE4294967295ELNS1_3gpuE0ELNS1_3repE0EEENS1_30default_config_static_selectorELNS0_4arch9wavefront6targetE1EEEvT1_ ; -- Begin function _ZN7rocprim17ROCPRIM_400000_NS6detail17trampoline_kernelINS0_14default_configENS1_25partition_config_selectorILNS1_17partition_subalgoE2EtNS0_10empty_typeEbEEZZNS1_14partition_implILS5_2ELb0ES3_jN6thrust23THRUST_200600_302600_NS6detail15normal_iteratorINSA_7pointerItNSA_11hip_rocprim3tagENSA_11use_defaultESG_EEEEPS6_NSA_18transform_iteratorI7is_evenItENSC_INSA_10device_ptrItEEEESG_SG_EENS0_5tupleIJPtSJ_EEENSR_IJSJ_SJ_EEES6_PlJS6_EEE10hipError_tPvRmT3_T4_T5_T6_T7_T9_mT8_P12ihipStream_tbDpT10_ENKUlT_T0_E_clISt17integral_constantIbLb1EES1E_IbLb0EEEEDaS1A_S1B_EUlS1A_E_NS1_11comp_targetILNS1_3genE0ELNS1_11target_archE4294967295ELNS1_3gpuE0ELNS1_3repE0EEENS1_30default_config_static_selectorELNS0_4arch9wavefront6targetE1EEEvT1_
	.globl	_ZN7rocprim17ROCPRIM_400000_NS6detail17trampoline_kernelINS0_14default_configENS1_25partition_config_selectorILNS1_17partition_subalgoE2EtNS0_10empty_typeEbEEZZNS1_14partition_implILS5_2ELb0ES3_jN6thrust23THRUST_200600_302600_NS6detail15normal_iteratorINSA_7pointerItNSA_11hip_rocprim3tagENSA_11use_defaultESG_EEEEPS6_NSA_18transform_iteratorI7is_evenItENSC_INSA_10device_ptrItEEEESG_SG_EENS0_5tupleIJPtSJ_EEENSR_IJSJ_SJ_EEES6_PlJS6_EEE10hipError_tPvRmT3_T4_T5_T6_T7_T9_mT8_P12ihipStream_tbDpT10_ENKUlT_T0_E_clISt17integral_constantIbLb1EES1E_IbLb0EEEEDaS1A_S1B_EUlS1A_E_NS1_11comp_targetILNS1_3genE0ELNS1_11target_archE4294967295ELNS1_3gpuE0ELNS1_3repE0EEENS1_30default_config_static_selectorELNS0_4arch9wavefront6targetE1EEEvT1_
	.p2align	8
	.type	_ZN7rocprim17ROCPRIM_400000_NS6detail17trampoline_kernelINS0_14default_configENS1_25partition_config_selectorILNS1_17partition_subalgoE2EtNS0_10empty_typeEbEEZZNS1_14partition_implILS5_2ELb0ES3_jN6thrust23THRUST_200600_302600_NS6detail15normal_iteratorINSA_7pointerItNSA_11hip_rocprim3tagENSA_11use_defaultESG_EEEEPS6_NSA_18transform_iteratorI7is_evenItENSC_INSA_10device_ptrItEEEESG_SG_EENS0_5tupleIJPtSJ_EEENSR_IJSJ_SJ_EEES6_PlJS6_EEE10hipError_tPvRmT3_T4_T5_T6_T7_T9_mT8_P12ihipStream_tbDpT10_ENKUlT_T0_E_clISt17integral_constantIbLb1EES1E_IbLb0EEEEDaS1A_S1B_EUlS1A_E_NS1_11comp_targetILNS1_3genE0ELNS1_11target_archE4294967295ELNS1_3gpuE0ELNS1_3repE0EEENS1_30default_config_static_selectorELNS0_4arch9wavefront6targetE1EEEvT1_,@function
_ZN7rocprim17ROCPRIM_400000_NS6detail17trampoline_kernelINS0_14default_configENS1_25partition_config_selectorILNS1_17partition_subalgoE2EtNS0_10empty_typeEbEEZZNS1_14partition_implILS5_2ELb0ES3_jN6thrust23THRUST_200600_302600_NS6detail15normal_iteratorINSA_7pointerItNSA_11hip_rocprim3tagENSA_11use_defaultESG_EEEEPS6_NSA_18transform_iteratorI7is_evenItENSC_INSA_10device_ptrItEEEESG_SG_EENS0_5tupleIJPtSJ_EEENSR_IJSJ_SJ_EEES6_PlJS6_EEE10hipError_tPvRmT3_T4_T5_T6_T7_T9_mT8_P12ihipStream_tbDpT10_ENKUlT_T0_E_clISt17integral_constantIbLb1EES1E_IbLb0EEEEDaS1A_S1B_EUlS1A_E_NS1_11comp_targetILNS1_3genE0ELNS1_11target_archE4294967295ELNS1_3gpuE0ELNS1_3repE0EEENS1_30default_config_static_selectorELNS0_4arch9wavefront6targetE1EEEvT1_: ; @_ZN7rocprim17ROCPRIM_400000_NS6detail17trampoline_kernelINS0_14default_configENS1_25partition_config_selectorILNS1_17partition_subalgoE2EtNS0_10empty_typeEbEEZZNS1_14partition_implILS5_2ELb0ES3_jN6thrust23THRUST_200600_302600_NS6detail15normal_iteratorINSA_7pointerItNSA_11hip_rocprim3tagENSA_11use_defaultESG_EEEEPS6_NSA_18transform_iteratorI7is_evenItENSC_INSA_10device_ptrItEEEESG_SG_EENS0_5tupleIJPtSJ_EEENSR_IJSJ_SJ_EEES6_PlJS6_EEE10hipError_tPvRmT3_T4_T5_T6_T7_T9_mT8_P12ihipStream_tbDpT10_ENKUlT_T0_E_clISt17integral_constantIbLb1EES1E_IbLb0EEEEDaS1A_S1B_EUlS1A_E_NS1_11comp_targetILNS1_3genE0ELNS1_11target_archE4294967295ELNS1_3gpuE0ELNS1_3repE0EEENS1_30default_config_static_selectorELNS0_4arch9wavefront6targetE1EEEvT1_
; %bb.0:
	.section	.rodata,"a",@progbits
	.p2align	6, 0x0
	.amdhsa_kernel _ZN7rocprim17ROCPRIM_400000_NS6detail17trampoline_kernelINS0_14default_configENS1_25partition_config_selectorILNS1_17partition_subalgoE2EtNS0_10empty_typeEbEEZZNS1_14partition_implILS5_2ELb0ES3_jN6thrust23THRUST_200600_302600_NS6detail15normal_iteratorINSA_7pointerItNSA_11hip_rocprim3tagENSA_11use_defaultESG_EEEEPS6_NSA_18transform_iteratorI7is_evenItENSC_INSA_10device_ptrItEEEESG_SG_EENS0_5tupleIJPtSJ_EEENSR_IJSJ_SJ_EEES6_PlJS6_EEE10hipError_tPvRmT3_T4_T5_T6_T7_T9_mT8_P12ihipStream_tbDpT10_ENKUlT_T0_E_clISt17integral_constantIbLb1EES1E_IbLb0EEEEDaS1A_S1B_EUlS1A_E_NS1_11comp_targetILNS1_3genE0ELNS1_11target_archE4294967295ELNS1_3gpuE0ELNS1_3repE0EEENS1_30default_config_static_selectorELNS0_4arch9wavefront6targetE1EEEvT1_
		.amdhsa_group_segment_fixed_size 0
		.amdhsa_private_segment_fixed_size 0
		.amdhsa_kernarg_size 128
		.amdhsa_user_sgpr_count 2
		.amdhsa_user_sgpr_dispatch_ptr 0
		.amdhsa_user_sgpr_queue_ptr 0
		.amdhsa_user_sgpr_kernarg_segment_ptr 1
		.amdhsa_user_sgpr_dispatch_id 0
		.amdhsa_user_sgpr_kernarg_preload_length 0
		.amdhsa_user_sgpr_kernarg_preload_offset 0
		.amdhsa_user_sgpr_private_segment_size 0
		.amdhsa_uses_dynamic_stack 0
		.amdhsa_enable_private_segment 0
		.amdhsa_system_sgpr_workgroup_id_x 1
		.amdhsa_system_sgpr_workgroup_id_y 0
		.amdhsa_system_sgpr_workgroup_id_z 0
		.amdhsa_system_sgpr_workgroup_info 0
		.amdhsa_system_vgpr_workitem_id 0
		.amdhsa_next_free_vgpr 1
		.amdhsa_next_free_sgpr 0
		.amdhsa_accum_offset 4
		.amdhsa_reserve_vcc 0
		.amdhsa_float_round_mode_32 0
		.amdhsa_float_round_mode_16_64 0
		.amdhsa_float_denorm_mode_32 3
		.amdhsa_float_denorm_mode_16_64 3
		.amdhsa_dx10_clamp 1
		.amdhsa_ieee_mode 1
		.amdhsa_fp16_overflow 0
		.amdhsa_tg_split 0
		.amdhsa_exception_fp_ieee_invalid_op 0
		.amdhsa_exception_fp_denorm_src 0
		.amdhsa_exception_fp_ieee_div_zero 0
		.amdhsa_exception_fp_ieee_overflow 0
		.amdhsa_exception_fp_ieee_underflow 0
		.amdhsa_exception_fp_ieee_inexact 0
		.amdhsa_exception_int_div_zero 0
	.end_amdhsa_kernel
	.section	.text._ZN7rocprim17ROCPRIM_400000_NS6detail17trampoline_kernelINS0_14default_configENS1_25partition_config_selectorILNS1_17partition_subalgoE2EtNS0_10empty_typeEbEEZZNS1_14partition_implILS5_2ELb0ES3_jN6thrust23THRUST_200600_302600_NS6detail15normal_iteratorINSA_7pointerItNSA_11hip_rocprim3tagENSA_11use_defaultESG_EEEEPS6_NSA_18transform_iteratorI7is_evenItENSC_INSA_10device_ptrItEEEESG_SG_EENS0_5tupleIJPtSJ_EEENSR_IJSJ_SJ_EEES6_PlJS6_EEE10hipError_tPvRmT3_T4_T5_T6_T7_T9_mT8_P12ihipStream_tbDpT10_ENKUlT_T0_E_clISt17integral_constantIbLb1EES1E_IbLb0EEEEDaS1A_S1B_EUlS1A_E_NS1_11comp_targetILNS1_3genE0ELNS1_11target_archE4294967295ELNS1_3gpuE0ELNS1_3repE0EEENS1_30default_config_static_selectorELNS0_4arch9wavefront6targetE1EEEvT1_,"axG",@progbits,_ZN7rocprim17ROCPRIM_400000_NS6detail17trampoline_kernelINS0_14default_configENS1_25partition_config_selectorILNS1_17partition_subalgoE2EtNS0_10empty_typeEbEEZZNS1_14partition_implILS5_2ELb0ES3_jN6thrust23THRUST_200600_302600_NS6detail15normal_iteratorINSA_7pointerItNSA_11hip_rocprim3tagENSA_11use_defaultESG_EEEEPS6_NSA_18transform_iteratorI7is_evenItENSC_INSA_10device_ptrItEEEESG_SG_EENS0_5tupleIJPtSJ_EEENSR_IJSJ_SJ_EEES6_PlJS6_EEE10hipError_tPvRmT3_T4_T5_T6_T7_T9_mT8_P12ihipStream_tbDpT10_ENKUlT_T0_E_clISt17integral_constantIbLb1EES1E_IbLb0EEEEDaS1A_S1B_EUlS1A_E_NS1_11comp_targetILNS1_3genE0ELNS1_11target_archE4294967295ELNS1_3gpuE0ELNS1_3repE0EEENS1_30default_config_static_selectorELNS0_4arch9wavefront6targetE1EEEvT1_,comdat
.Lfunc_end2086:
	.size	_ZN7rocprim17ROCPRIM_400000_NS6detail17trampoline_kernelINS0_14default_configENS1_25partition_config_selectorILNS1_17partition_subalgoE2EtNS0_10empty_typeEbEEZZNS1_14partition_implILS5_2ELb0ES3_jN6thrust23THRUST_200600_302600_NS6detail15normal_iteratorINSA_7pointerItNSA_11hip_rocprim3tagENSA_11use_defaultESG_EEEEPS6_NSA_18transform_iteratorI7is_evenItENSC_INSA_10device_ptrItEEEESG_SG_EENS0_5tupleIJPtSJ_EEENSR_IJSJ_SJ_EEES6_PlJS6_EEE10hipError_tPvRmT3_T4_T5_T6_T7_T9_mT8_P12ihipStream_tbDpT10_ENKUlT_T0_E_clISt17integral_constantIbLb1EES1E_IbLb0EEEEDaS1A_S1B_EUlS1A_E_NS1_11comp_targetILNS1_3genE0ELNS1_11target_archE4294967295ELNS1_3gpuE0ELNS1_3repE0EEENS1_30default_config_static_selectorELNS0_4arch9wavefront6targetE1EEEvT1_, .Lfunc_end2086-_ZN7rocprim17ROCPRIM_400000_NS6detail17trampoline_kernelINS0_14default_configENS1_25partition_config_selectorILNS1_17partition_subalgoE2EtNS0_10empty_typeEbEEZZNS1_14partition_implILS5_2ELb0ES3_jN6thrust23THRUST_200600_302600_NS6detail15normal_iteratorINSA_7pointerItNSA_11hip_rocprim3tagENSA_11use_defaultESG_EEEEPS6_NSA_18transform_iteratorI7is_evenItENSC_INSA_10device_ptrItEEEESG_SG_EENS0_5tupleIJPtSJ_EEENSR_IJSJ_SJ_EEES6_PlJS6_EEE10hipError_tPvRmT3_T4_T5_T6_T7_T9_mT8_P12ihipStream_tbDpT10_ENKUlT_T0_E_clISt17integral_constantIbLb1EES1E_IbLb0EEEEDaS1A_S1B_EUlS1A_E_NS1_11comp_targetILNS1_3genE0ELNS1_11target_archE4294967295ELNS1_3gpuE0ELNS1_3repE0EEENS1_30default_config_static_selectorELNS0_4arch9wavefront6targetE1EEEvT1_
                                        ; -- End function
	.section	.AMDGPU.csdata,"",@progbits
; Kernel info:
; codeLenInByte = 0
; NumSgprs: 6
; NumVgprs: 0
; NumAgprs: 0
; TotalNumVgprs: 0
; ScratchSize: 0
; MemoryBound: 0
; FloatMode: 240
; IeeeMode: 1
; LDSByteSize: 0 bytes/workgroup (compile time only)
; SGPRBlocks: 0
; VGPRBlocks: 0
; NumSGPRsForWavesPerEU: 6
; NumVGPRsForWavesPerEU: 1
; AccumOffset: 4
; Occupancy: 8
; WaveLimiterHint : 0
; COMPUTE_PGM_RSRC2:SCRATCH_EN: 0
; COMPUTE_PGM_RSRC2:USER_SGPR: 2
; COMPUTE_PGM_RSRC2:TRAP_HANDLER: 0
; COMPUTE_PGM_RSRC2:TGID_X_EN: 1
; COMPUTE_PGM_RSRC2:TGID_Y_EN: 0
; COMPUTE_PGM_RSRC2:TGID_Z_EN: 0
; COMPUTE_PGM_RSRC2:TIDIG_COMP_CNT: 0
; COMPUTE_PGM_RSRC3_GFX90A:ACCUM_OFFSET: 0
; COMPUTE_PGM_RSRC3_GFX90A:TG_SPLIT: 0
	.section	.text._ZN7rocprim17ROCPRIM_400000_NS6detail17trampoline_kernelINS0_14default_configENS1_25partition_config_selectorILNS1_17partition_subalgoE2EtNS0_10empty_typeEbEEZZNS1_14partition_implILS5_2ELb0ES3_jN6thrust23THRUST_200600_302600_NS6detail15normal_iteratorINSA_7pointerItNSA_11hip_rocprim3tagENSA_11use_defaultESG_EEEEPS6_NSA_18transform_iteratorI7is_evenItENSC_INSA_10device_ptrItEEEESG_SG_EENS0_5tupleIJPtSJ_EEENSR_IJSJ_SJ_EEES6_PlJS6_EEE10hipError_tPvRmT3_T4_T5_T6_T7_T9_mT8_P12ihipStream_tbDpT10_ENKUlT_T0_E_clISt17integral_constantIbLb1EES1E_IbLb0EEEEDaS1A_S1B_EUlS1A_E_NS1_11comp_targetILNS1_3genE5ELNS1_11target_archE942ELNS1_3gpuE9ELNS1_3repE0EEENS1_30default_config_static_selectorELNS0_4arch9wavefront6targetE1EEEvT1_,"axG",@progbits,_ZN7rocprim17ROCPRIM_400000_NS6detail17trampoline_kernelINS0_14default_configENS1_25partition_config_selectorILNS1_17partition_subalgoE2EtNS0_10empty_typeEbEEZZNS1_14partition_implILS5_2ELb0ES3_jN6thrust23THRUST_200600_302600_NS6detail15normal_iteratorINSA_7pointerItNSA_11hip_rocprim3tagENSA_11use_defaultESG_EEEEPS6_NSA_18transform_iteratorI7is_evenItENSC_INSA_10device_ptrItEEEESG_SG_EENS0_5tupleIJPtSJ_EEENSR_IJSJ_SJ_EEES6_PlJS6_EEE10hipError_tPvRmT3_T4_T5_T6_T7_T9_mT8_P12ihipStream_tbDpT10_ENKUlT_T0_E_clISt17integral_constantIbLb1EES1E_IbLb0EEEEDaS1A_S1B_EUlS1A_E_NS1_11comp_targetILNS1_3genE5ELNS1_11target_archE942ELNS1_3gpuE9ELNS1_3repE0EEENS1_30default_config_static_selectorELNS0_4arch9wavefront6targetE1EEEvT1_,comdat
	.protected	_ZN7rocprim17ROCPRIM_400000_NS6detail17trampoline_kernelINS0_14default_configENS1_25partition_config_selectorILNS1_17partition_subalgoE2EtNS0_10empty_typeEbEEZZNS1_14partition_implILS5_2ELb0ES3_jN6thrust23THRUST_200600_302600_NS6detail15normal_iteratorINSA_7pointerItNSA_11hip_rocprim3tagENSA_11use_defaultESG_EEEEPS6_NSA_18transform_iteratorI7is_evenItENSC_INSA_10device_ptrItEEEESG_SG_EENS0_5tupleIJPtSJ_EEENSR_IJSJ_SJ_EEES6_PlJS6_EEE10hipError_tPvRmT3_T4_T5_T6_T7_T9_mT8_P12ihipStream_tbDpT10_ENKUlT_T0_E_clISt17integral_constantIbLb1EES1E_IbLb0EEEEDaS1A_S1B_EUlS1A_E_NS1_11comp_targetILNS1_3genE5ELNS1_11target_archE942ELNS1_3gpuE9ELNS1_3repE0EEENS1_30default_config_static_selectorELNS0_4arch9wavefront6targetE1EEEvT1_ ; -- Begin function _ZN7rocprim17ROCPRIM_400000_NS6detail17trampoline_kernelINS0_14default_configENS1_25partition_config_selectorILNS1_17partition_subalgoE2EtNS0_10empty_typeEbEEZZNS1_14partition_implILS5_2ELb0ES3_jN6thrust23THRUST_200600_302600_NS6detail15normal_iteratorINSA_7pointerItNSA_11hip_rocprim3tagENSA_11use_defaultESG_EEEEPS6_NSA_18transform_iteratorI7is_evenItENSC_INSA_10device_ptrItEEEESG_SG_EENS0_5tupleIJPtSJ_EEENSR_IJSJ_SJ_EEES6_PlJS6_EEE10hipError_tPvRmT3_T4_T5_T6_T7_T9_mT8_P12ihipStream_tbDpT10_ENKUlT_T0_E_clISt17integral_constantIbLb1EES1E_IbLb0EEEEDaS1A_S1B_EUlS1A_E_NS1_11comp_targetILNS1_3genE5ELNS1_11target_archE942ELNS1_3gpuE9ELNS1_3repE0EEENS1_30default_config_static_selectorELNS0_4arch9wavefront6targetE1EEEvT1_
	.globl	_ZN7rocprim17ROCPRIM_400000_NS6detail17trampoline_kernelINS0_14default_configENS1_25partition_config_selectorILNS1_17partition_subalgoE2EtNS0_10empty_typeEbEEZZNS1_14partition_implILS5_2ELb0ES3_jN6thrust23THRUST_200600_302600_NS6detail15normal_iteratorINSA_7pointerItNSA_11hip_rocprim3tagENSA_11use_defaultESG_EEEEPS6_NSA_18transform_iteratorI7is_evenItENSC_INSA_10device_ptrItEEEESG_SG_EENS0_5tupleIJPtSJ_EEENSR_IJSJ_SJ_EEES6_PlJS6_EEE10hipError_tPvRmT3_T4_T5_T6_T7_T9_mT8_P12ihipStream_tbDpT10_ENKUlT_T0_E_clISt17integral_constantIbLb1EES1E_IbLb0EEEEDaS1A_S1B_EUlS1A_E_NS1_11comp_targetILNS1_3genE5ELNS1_11target_archE942ELNS1_3gpuE9ELNS1_3repE0EEENS1_30default_config_static_selectorELNS0_4arch9wavefront6targetE1EEEvT1_
	.p2align	8
	.type	_ZN7rocprim17ROCPRIM_400000_NS6detail17trampoline_kernelINS0_14default_configENS1_25partition_config_selectorILNS1_17partition_subalgoE2EtNS0_10empty_typeEbEEZZNS1_14partition_implILS5_2ELb0ES3_jN6thrust23THRUST_200600_302600_NS6detail15normal_iteratorINSA_7pointerItNSA_11hip_rocprim3tagENSA_11use_defaultESG_EEEEPS6_NSA_18transform_iteratorI7is_evenItENSC_INSA_10device_ptrItEEEESG_SG_EENS0_5tupleIJPtSJ_EEENSR_IJSJ_SJ_EEES6_PlJS6_EEE10hipError_tPvRmT3_T4_T5_T6_T7_T9_mT8_P12ihipStream_tbDpT10_ENKUlT_T0_E_clISt17integral_constantIbLb1EES1E_IbLb0EEEEDaS1A_S1B_EUlS1A_E_NS1_11comp_targetILNS1_3genE5ELNS1_11target_archE942ELNS1_3gpuE9ELNS1_3repE0EEENS1_30default_config_static_selectorELNS0_4arch9wavefront6targetE1EEEvT1_,@function
_ZN7rocprim17ROCPRIM_400000_NS6detail17trampoline_kernelINS0_14default_configENS1_25partition_config_selectorILNS1_17partition_subalgoE2EtNS0_10empty_typeEbEEZZNS1_14partition_implILS5_2ELb0ES3_jN6thrust23THRUST_200600_302600_NS6detail15normal_iteratorINSA_7pointerItNSA_11hip_rocprim3tagENSA_11use_defaultESG_EEEEPS6_NSA_18transform_iteratorI7is_evenItENSC_INSA_10device_ptrItEEEESG_SG_EENS0_5tupleIJPtSJ_EEENSR_IJSJ_SJ_EEES6_PlJS6_EEE10hipError_tPvRmT3_T4_T5_T6_T7_T9_mT8_P12ihipStream_tbDpT10_ENKUlT_T0_E_clISt17integral_constantIbLb1EES1E_IbLb0EEEEDaS1A_S1B_EUlS1A_E_NS1_11comp_targetILNS1_3genE5ELNS1_11target_archE942ELNS1_3gpuE9ELNS1_3repE0EEENS1_30default_config_static_selectorELNS0_4arch9wavefront6targetE1EEEvT1_: ; @_ZN7rocprim17ROCPRIM_400000_NS6detail17trampoline_kernelINS0_14default_configENS1_25partition_config_selectorILNS1_17partition_subalgoE2EtNS0_10empty_typeEbEEZZNS1_14partition_implILS5_2ELb0ES3_jN6thrust23THRUST_200600_302600_NS6detail15normal_iteratorINSA_7pointerItNSA_11hip_rocprim3tagENSA_11use_defaultESG_EEEEPS6_NSA_18transform_iteratorI7is_evenItENSC_INSA_10device_ptrItEEEESG_SG_EENS0_5tupleIJPtSJ_EEENSR_IJSJ_SJ_EEES6_PlJS6_EEE10hipError_tPvRmT3_T4_T5_T6_T7_T9_mT8_P12ihipStream_tbDpT10_ENKUlT_T0_E_clISt17integral_constantIbLb1EES1E_IbLb0EEEEDaS1A_S1B_EUlS1A_E_NS1_11comp_targetILNS1_3genE5ELNS1_11target_archE942ELNS1_3gpuE9ELNS1_3repE0EEENS1_30default_config_static_selectorELNS0_4arch9wavefront6targetE1EEEvT1_
; %bb.0:
	s_load_dwordx4 s[24:27], s[0:1], 0x8
	s_load_dwordx2 s[6:7], s[0:1], 0x20
	s_load_dwordx2 s[28:29], s[0:1], 0x60
	s_load_dwordx4 s[20:23], s[0:1], 0x50
	s_load_dword s3, s[0:1], 0x78
	s_waitcnt lgkmcnt(0)
	s_lshl_b64 s[8:9], s[26:27], 1
	s_add_u32 s12, s24, s8
	s_addc_u32 s13, s25, s9
	s_load_dwordx2 s[30:31], s[22:23], 0x0
	s_add_i32 s10, s3, -1
	s_mulk_i32 s3, 0x3c00
	s_add_i32 s4, s3, s26
	s_sub_i32 s33, s28, s4
	s_addk_i32 s33, 0x3c00
	s_add_u32 s4, s26, s3
	s_addc_u32 s5, s27, 0
	s_cmp_eq_u32 s2, s10
	v_mov_b64_e32 v[2:3], s[28:29]
	s_cselect_b64 s[22:23], -1, 0
	s_cmp_lg_u32 s2, s10
	s_mul_i32 s24, s2, 0x3c00
	s_mov_b32 s25, 0
	v_cmp_lt_u64_e32 vcc, s[4:5], v[2:3]
	s_cselect_b64 s[4:5], -1, 0
	s_or_b64 s[34:35], s[4:5], vcc
	s_lshl_b64 s[10:11], s[24:25], 1
	s_add_u32 s12, s12, s10
	s_addc_u32 s13, s13, s11
	s_mov_b64 s[4:5], -1
	s_and_b64 vcc, exec, s[34:35]
	v_lshlrev_b32_e32 v12, 1, v0
	s_cbranch_vccz .LBB2087_2
; %bb.1:
	v_mov_b32_e32 v13, 0
	v_lshl_add_u64 v[2:3], s[12:13], 0, v[12:13]
	v_add_co_u32_e32 v4, vcc, 0x1000, v2
	s_mov_b64 s[4:5], 0
	s_nop 0
	v_addc_co_u32_e32 v5, vcc, 0, v3, vcc
	flat_load_ushort v1, v[2:3]
	flat_load_ushort v8, v[2:3] offset:1024
	flat_load_ushort v9, v[2:3] offset:2048
	flat_load_ushort v10, v[2:3] offset:3072
	flat_load_ushort v11, v[4:5]
	flat_load_ushort v13, v[4:5] offset:1024
	flat_load_ushort v14, v[4:5] offset:2048
	flat_load_ushort v15, v[4:5] offset:3072
	v_add_co_u32_e32 v4, vcc, 0x2000, v2
	s_nop 1
	v_addc_co_u32_e32 v5, vcc, 0, v3, vcc
	v_add_co_u32_e32 v6, vcc, 0x3000, v2
	s_nop 1
	v_addc_co_u32_e32 v7, vcc, 0, v3, vcc
	flat_load_ushort v16, v[4:5]
	flat_load_ushort v17, v[4:5] offset:1024
	flat_load_ushort v18, v[4:5] offset:2048
	flat_load_ushort v19, v[4:5] offset:3072
	flat_load_ushort v20, v[6:7]
	flat_load_ushort v21, v[6:7] offset:1024
	flat_load_ushort v22, v[6:7] offset:2048
	flat_load_ushort v23, v[6:7] offset:3072
	v_add_co_u32_e32 v4, vcc, 0x4000, v2
	s_nop 1
	v_addc_co_u32_e32 v5, vcc, 0, v3, vcc
	v_add_co_u32_e32 v6, vcc, 0x5000, v2
	;; [unrolled: 14-line block ×3, first 2 shown]
	s_nop 1
	v_addc_co_u32_e32 v3, vcc, 0, v3, vcc
	flat_load_ushort v6, v[4:5]
	flat_load_ushort v7, v[4:5] offset:1024
	flat_load_ushort v32, v[4:5] offset:2048
	;; [unrolled: 1-line block ×3, first 2 shown]
	flat_load_ushort v34, v[2:3]
	flat_load_ushort v35, v[2:3] offset:1024
	s_waitcnt vmcnt(0) lgkmcnt(0)
	ds_write_b16 v12, v1
	ds_write_b16 v12, v8 offset:1024
	ds_write_b16 v12, v9 offset:2048
	;; [unrolled: 1-line block ×29, first 2 shown]
	s_waitcnt lgkmcnt(0)
	s_barrier
.LBB2087_2:
	s_andn2_b64 vcc, exec, s[4:5]
	v_cmp_gt_u32_e64 s[4:5], s33, v0
	s_cbranch_vccnz .LBB2087_64
; %bb.3:
                                        ; implicit-def: $vgpr1
	s_and_saveexec_b64 s[14:15], s[4:5]
	s_cbranch_execz .LBB2087_5
; %bb.4:
	v_mov_b32_e32 v13, 0
	v_lshl_add_u64 v[2:3], s[12:13], 0, v[12:13]
	flat_load_ushort v1, v[2:3]
.LBB2087_5:
	s_or_b64 exec, exec, s[14:15]
	v_or_b32_e32 v2, 0x200, v0
	v_cmp_gt_u32_e32 vcc, s33, v2
                                        ; implicit-def: $vgpr2
	s_and_saveexec_b64 s[4:5], vcc
	s_cbranch_execz .LBB2087_7
; %bb.6:
	v_mov_b32_e32 v13, 0
	v_lshl_add_u64 v[2:3], s[12:13], 0, v[12:13]
	flat_load_ushort v2, v[2:3] offset:1024
.LBB2087_7:
	s_or_b64 exec, exec, s[4:5]
	v_or_b32_e32 v3, 0x400, v0
	v_cmp_gt_u32_e32 vcc, s33, v3
                                        ; implicit-def: $vgpr3
	s_and_saveexec_b64 s[4:5], vcc
	s_cbranch_execz .LBB2087_9
; %bb.8:
	v_mov_b32_e32 v13, 0
	v_lshl_add_u64 v[4:5], s[12:13], 0, v[12:13]
	flat_load_ushort v3, v[4:5] offset:2048
.LBB2087_9:
	s_or_b64 exec, exec, s[4:5]
	v_or_b32_e32 v4, 0x600, v0
	v_cmp_gt_u32_e32 vcc, s33, v4
                                        ; implicit-def: $vgpr4
	s_and_saveexec_b64 s[4:5], vcc
	s_cbranch_execz .LBB2087_11
; %bb.10:
	v_mov_b32_e32 v13, 0
	v_lshl_add_u64 v[4:5], s[12:13], 0, v[12:13]
	flat_load_ushort v4, v[4:5] offset:3072
.LBB2087_11:
	s_or_b64 exec, exec, s[4:5]
	v_or_b32_e32 v6, 0x800, v0
	v_cmp_gt_u32_e32 vcc, s33, v6
                                        ; implicit-def: $vgpr5
	s_and_saveexec_b64 s[4:5], vcc
	s_cbranch_execz .LBB2087_13
; %bb.12:
	v_lshlrev_b32_e32 v6, 1, v6
	v_mov_b32_e32 v7, 0
	v_lshl_add_u64 v[6:7], s[12:13], 0, v[6:7]
	flat_load_ushort v5, v[6:7]
.LBB2087_13:
	s_or_b64 exec, exec, s[4:5]
	v_or_b32_e32 v7, 0xa00, v0
	v_cmp_gt_u32_e32 vcc, s33, v7
                                        ; implicit-def: $vgpr6
	s_and_saveexec_b64 s[4:5], vcc
	s_cbranch_execz .LBB2087_15
; %bb.14:
	v_lshlrev_b32_e32 v6, 1, v7
	v_mov_b32_e32 v7, 0
	v_lshl_add_u64 v[6:7], s[12:13], 0, v[6:7]
	flat_load_ushort v6, v[6:7]
.LBB2087_15:
	s_or_b64 exec, exec, s[4:5]
	v_or_b32_e32 v8, 0xc00, v0
	v_cmp_gt_u32_e32 vcc, s33, v8
                                        ; implicit-def: $vgpr7
	s_and_saveexec_b64 s[4:5], vcc
	s_cbranch_execz .LBB2087_17
; %bb.16:
	v_lshlrev_b32_e32 v8, 1, v8
	v_mov_b32_e32 v9, 0
	v_lshl_add_u64 v[8:9], s[12:13], 0, v[8:9]
	flat_load_ushort v7, v[8:9]
.LBB2087_17:
	s_or_b64 exec, exec, s[4:5]
	v_or_b32_e32 v9, 0xe00, v0
	v_cmp_gt_u32_e32 vcc, s33, v9
                                        ; implicit-def: $vgpr8
	s_and_saveexec_b64 s[4:5], vcc
	s_cbranch_execz .LBB2087_19
; %bb.18:
	v_lshlrev_b32_e32 v8, 1, v9
	v_mov_b32_e32 v9, 0
	v_lshl_add_u64 v[8:9], s[12:13], 0, v[8:9]
	flat_load_ushort v8, v[8:9]
.LBB2087_19:
	s_or_b64 exec, exec, s[4:5]
	v_or_b32_e32 v10, 0x1000, v0
	v_cmp_gt_u32_e32 vcc, s33, v10
                                        ; implicit-def: $vgpr9
	s_and_saveexec_b64 s[4:5], vcc
	s_cbranch_execz .LBB2087_21
; %bb.20:
	v_lshlrev_b32_e32 v10, 1, v10
	v_mov_b32_e32 v11, 0
	v_lshl_add_u64 v[10:11], s[12:13], 0, v[10:11]
	flat_load_ushort v9, v[10:11]
.LBB2087_21:
	s_or_b64 exec, exec, s[4:5]
	v_or_b32_e32 v11, 0x1200, v0
	v_cmp_gt_u32_e32 vcc, s33, v11
                                        ; implicit-def: $vgpr10
	s_and_saveexec_b64 s[4:5], vcc
	s_cbranch_execz .LBB2087_23
; %bb.22:
	v_lshlrev_b32_e32 v10, 1, v11
	v_mov_b32_e32 v11, 0
	v_lshl_add_u64 v[10:11], s[12:13], 0, v[10:11]
	flat_load_ushort v10, v[10:11]
.LBB2087_23:
	s_or_b64 exec, exec, s[4:5]
	v_or_b32_e32 v13, 0x1400, v0
	v_cmp_gt_u32_e32 vcc, s33, v13
                                        ; implicit-def: $vgpr11
	s_and_saveexec_b64 s[4:5], vcc
	s_cbranch_execz .LBB2087_25
; %bb.24:
	v_lshlrev_b32_e32 v14, 1, v13
	v_mov_b32_e32 v15, 0
	v_lshl_add_u64 v[14:15], s[12:13], 0, v[14:15]
	flat_load_ushort v11, v[14:15]
.LBB2087_25:
	s_or_b64 exec, exec, s[4:5]
	v_or_b32_e32 v14, 0x1600, v0
	v_cmp_gt_u32_e32 vcc, s33, v14
                                        ; implicit-def: $vgpr13
	s_and_saveexec_b64 s[4:5], vcc
	s_cbranch_execz .LBB2087_27
; %bb.26:
	v_lshlrev_b32_e32 v14, 1, v14
	v_mov_b32_e32 v15, 0
	v_lshl_add_u64 v[14:15], s[12:13], 0, v[14:15]
	flat_load_ushort v13, v[14:15]
.LBB2087_27:
	s_or_b64 exec, exec, s[4:5]
	v_or_b32_e32 v15, 0x1800, v0
	v_cmp_gt_u32_e32 vcc, s33, v15
                                        ; implicit-def: $vgpr14
	s_and_saveexec_b64 s[4:5], vcc
	s_cbranch_execz .LBB2087_29
; %bb.28:
	v_lshlrev_b32_e32 v14, 1, v15
	v_mov_b32_e32 v15, 0
	v_lshl_add_u64 v[14:15], s[12:13], 0, v[14:15]
	flat_load_ushort v14, v[14:15]
.LBB2087_29:
	s_or_b64 exec, exec, s[4:5]
	v_or_b32_e32 v16, 0x1a00, v0
	v_cmp_gt_u32_e32 vcc, s33, v16
                                        ; implicit-def: $vgpr15
	s_and_saveexec_b64 s[4:5], vcc
	s_cbranch_execz .LBB2087_31
; %bb.30:
	v_lshlrev_b32_e32 v16, 1, v16
	v_mov_b32_e32 v17, 0
	v_lshl_add_u64 v[16:17], s[12:13], 0, v[16:17]
	flat_load_ushort v15, v[16:17]
.LBB2087_31:
	s_or_b64 exec, exec, s[4:5]
	v_or_b32_e32 v17, 0x1c00, v0
	v_cmp_gt_u32_e32 vcc, s33, v17
                                        ; implicit-def: $vgpr16
	s_and_saveexec_b64 s[4:5], vcc
	s_cbranch_execz .LBB2087_33
; %bb.32:
	v_lshlrev_b32_e32 v16, 1, v17
	v_mov_b32_e32 v17, 0
	v_lshl_add_u64 v[16:17], s[12:13], 0, v[16:17]
	flat_load_ushort v16, v[16:17]
.LBB2087_33:
	s_or_b64 exec, exec, s[4:5]
	v_or_b32_e32 v18, 0x1e00, v0
	v_cmp_gt_u32_e32 vcc, s33, v18
                                        ; implicit-def: $vgpr17
	s_and_saveexec_b64 s[4:5], vcc
	s_cbranch_execz .LBB2087_35
; %bb.34:
	v_lshlrev_b32_e32 v18, 1, v18
	v_mov_b32_e32 v19, 0
	v_lshl_add_u64 v[18:19], s[12:13], 0, v[18:19]
	flat_load_ushort v17, v[18:19]
.LBB2087_35:
	s_or_b64 exec, exec, s[4:5]
	v_or_b32_e32 v19, 0x2000, v0
	v_cmp_gt_u32_e32 vcc, s33, v19
                                        ; implicit-def: $vgpr18
	s_and_saveexec_b64 s[4:5], vcc
	s_cbranch_execz .LBB2087_37
; %bb.36:
	v_lshlrev_b32_e32 v18, 1, v19
	v_mov_b32_e32 v19, 0
	v_lshl_add_u64 v[18:19], s[12:13], 0, v[18:19]
	flat_load_ushort v18, v[18:19]
.LBB2087_37:
	s_or_b64 exec, exec, s[4:5]
	v_or_b32_e32 v20, 0x2200, v0
	v_cmp_gt_u32_e32 vcc, s33, v20
                                        ; implicit-def: $vgpr19
	s_and_saveexec_b64 s[4:5], vcc
	s_cbranch_execz .LBB2087_39
; %bb.38:
	v_lshlrev_b32_e32 v20, 1, v20
	v_mov_b32_e32 v21, 0
	v_lshl_add_u64 v[20:21], s[12:13], 0, v[20:21]
	flat_load_ushort v19, v[20:21]
.LBB2087_39:
	s_or_b64 exec, exec, s[4:5]
	v_or_b32_e32 v21, 0x2400, v0
	v_cmp_gt_u32_e32 vcc, s33, v21
                                        ; implicit-def: $vgpr20
	s_and_saveexec_b64 s[4:5], vcc
	s_cbranch_execz .LBB2087_41
; %bb.40:
	v_lshlrev_b32_e32 v20, 1, v21
	v_mov_b32_e32 v21, 0
	v_lshl_add_u64 v[20:21], s[12:13], 0, v[20:21]
	flat_load_ushort v20, v[20:21]
.LBB2087_41:
	s_or_b64 exec, exec, s[4:5]
	v_or_b32_e32 v22, 0x2600, v0
	v_cmp_gt_u32_e32 vcc, s33, v22
                                        ; implicit-def: $vgpr21
	s_and_saveexec_b64 s[4:5], vcc
	s_cbranch_execz .LBB2087_43
; %bb.42:
	v_lshlrev_b32_e32 v22, 1, v22
	v_mov_b32_e32 v23, 0
	v_lshl_add_u64 v[22:23], s[12:13], 0, v[22:23]
	flat_load_ushort v21, v[22:23]
.LBB2087_43:
	s_or_b64 exec, exec, s[4:5]
	v_or_b32_e32 v23, 0x2800, v0
	v_cmp_gt_u32_e32 vcc, s33, v23
                                        ; implicit-def: $vgpr22
	s_and_saveexec_b64 s[4:5], vcc
	s_cbranch_execz .LBB2087_45
; %bb.44:
	v_lshlrev_b32_e32 v22, 1, v23
	v_mov_b32_e32 v23, 0
	v_lshl_add_u64 v[22:23], s[12:13], 0, v[22:23]
	flat_load_ushort v22, v[22:23]
.LBB2087_45:
	s_or_b64 exec, exec, s[4:5]
	v_or_b32_e32 v24, 0x2a00, v0
	v_cmp_gt_u32_e32 vcc, s33, v24
                                        ; implicit-def: $vgpr23
	s_and_saveexec_b64 s[4:5], vcc
	s_cbranch_execz .LBB2087_47
; %bb.46:
	v_lshlrev_b32_e32 v24, 1, v24
	v_mov_b32_e32 v25, 0
	v_lshl_add_u64 v[24:25], s[12:13], 0, v[24:25]
	flat_load_ushort v23, v[24:25]
.LBB2087_47:
	s_or_b64 exec, exec, s[4:5]
	v_or_b32_e32 v25, 0x2c00, v0
	v_cmp_gt_u32_e32 vcc, s33, v25
                                        ; implicit-def: $vgpr24
	s_and_saveexec_b64 s[4:5], vcc
	s_cbranch_execz .LBB2087_49
; %bb.48:
	v_lshlrev_b32_e32 v24, 1, v25
	v_mov_b32_e32 v25, 0
	v_lshl_add_u64 v[24:25], s[12:13], 0, v[24:25]
	flat_load_ushort v24, v[24:25]
.LBB2087_49:
	s_or_b64 exec, exec, s[4:5]
	v_or_b32_e32 v26, 0x2e00, v0
	v_cmp_gt_u32_e32 vcc, s33, v26
                                        ; implicit-def: $vgpr25
	s_and_saveexec_b64 s[4:5], vcc
	s_cbranch_execz .LBB2087_51
; %bb.50:
	v_lshlrev_b32_e32 v26, 1, v26
	v_mov_b32_e32 v27, 0
	v_lshl_add_u64 v[26:27], s[12:13], 0, v[26:27]
	flat_load_ushort v25, v[26:27]
.LBB2087_51:
	s_or_b64 exec, exec, s[4:5]
	v_or_b32_e32 v27, 0x3000, v0
	v_cmp_gt_u32_e32 vcc, s33, v27
                                        ; implicit-def: $vgpr26
	s_and_saveexec_b64 s[4:5], vcc
	s_cbranch_execz .LBB2087_53
; %bb.52:
	v_lshlrev_b32_e32 v26, 1, v27
	v_mov_b32_e32 v27, 0
	v_lshl_add_u64 v[26:27], s[12:13], 0, v[26:27]
	flat_load_ushort v26, v[26:27]
.LBB2087_53:
	s_or_b64 exec, exec, s[4:5]
	v_or_b32_e32 v28, 0x3200, v0
	v_cmp_gt_u32_e32 vcc, s33, v28
                                        ; implicit-def: $vgpr27
	s_and_saveexec_b64 s[4:5], vcc
	s_cbranch_execz .LBB2087_55
; %bb.54:
	v_lshlrev_b32_e32 v28, 1, v28
	v_mov_b32_e32 v29, 0
	v_lshl_add_u64 v[28:29], s[12:13], 0, v[28:29]
	flat_load_ushort v27, v[28:29]
.LBB2087_55:
	s_or_b64 exec, exec, s[4:5]
	v_or_b32_e32 v29, 0x3400, v0
	v_cmp_gt_u32_e32 vcc, s33, v29
                                        ; implicit-def: $vgpr28
	s_and_saveexec_b64 s[4:5], vcc
	s_cbranch_execz .LBB2087_57
; %bb.56:
	v_lshlrev_b32_e32 v28, 1, v29
	v_mov_b32_e32 v29, 0
	v_lshl_add_u64 v[28:29], s[12:13], 0, v[28:29]
	flat_load_ushort v28, v[28:29]
.LBB2087_57:
	s_or_b64 exec, exec, s[4:5]
	v_or_b32_e32 v30, 0x3600, v0
	v_cmp_gt_u32_e32 vcc, s33, v30
                                        ; implicit-def: $vgpr29
	s_and_saveexec_b64 s[4:5], vcc
	s_cbranch_execz .LBB2087_59
; %bb.58:
	v_lshlrev_b32_e32 v30, 1, v30
	v_mov_b32_e32 v31, 0
	v_lshl_add_u64 v[30:31], s[12:13], 0, v[30:31]
	flat_load_ushort v29, v[30:31]
.LBB2087_59:
	s_or_b64 exec, exec, s[4:5]
	v_or_b32_e32 v31, 0x3800, v0
	v_cmp_gt_u32_e32 vcc, s33, v31
                                        ; implicit-def: $vgpr30
	s_and_saveexec_b64 s[4:5], vcc
	s_cbranch_execz .LBB2087_61
; %bb.60:
	v_lshlrev_b32_e32 v30, 1, v31
	v_mov_b32_e32 v31, 0
	v_lshl_add_u64 v[30:31], s[12:13], 0, v[30:31]
	flat_load_ushort v30, v[30:31]
.LBB2087_61:
	s_or_b64 exec, exec, s[4:5]
	v_or_b32_e32 v32, 0x3a00, v0
	v_cmp_gt_u32_e32 vcc, s33, v32
                                        ; implicit-def: $vgpr31
	s_and_saveexec_b64 s[4:5], vcc
	s_cbranch_execz .LBB2087_63
; %bb.62:
	v_lshlrev_b32_e32 v32, 1, v32
	v_mov_b32_e32 v33, 0
	v_lshl_add_u64 v[32:33], s[12:13], 0, v[32:33]
	flat_load_ushort v31, v[32:33]
.LBB2087_63:
	s_or_b64 exec, exec, s[4:5]
	s_waitcnt vmcnt(0) lgkmcnt(0)
	ds_write_b16 v12, v1
	ds_write_b16 v12, v2 offset:1024
	ds_write_b16 v12, v3 offset:2048
	;; [unrolled: 1-line block ×29, first 2 shown]
	s_waitcnt lgkmcnt(0)
	s_barrier
.LBB2087_64:
	v_mul_u32_u24_e32 v9, 30, v0
	v_lshlrev_b32_e32 v2, 1, v9
	s_waitcnt lgkmcnt(0)
	ds_read2_b32 v[26:27], v2 offset1:1
	ds_read2_b32 v[24:25], v2 offset0:2 offset1:3
	ds_read2_b32 v[22:23], v2 offset0:4 offset1:5
	;; [unrolled: 1-line block ×3, first 2 shown]
	ds_read_b32 v1, v2 offset:56
	ds_read2_b32 v[14:15], v2 offset0:12 offset1:13
	ds_read2_b32 v[16:17], v2 offset0:10 offset1:11
	;; [unrolled: 1-line block ×3, first 2 shown]
	s_add_u32 s3, s6, s8
	s_addc_u32 s5, s7, s9
	s_add_u32 s4, s3, s10
	s_addc_u32 s5, s5, s11
	s_mov_b64 s[6:7], -1
	s_and_b64 vcc, exec, s[34:35]
	s_waitcnt lgkmcnt(0)
	s_barrier
	s_cbranch_vccz .LBB2087_66
; %bb.65:
	v_mov_b32_e32 v13, 0
	v_lshl_add_u64 v[2:3], s[4:5], 0, v[12:13]
	s_movk_i32 s3, 0x1000
	v_add_co_u32_e32 v4, vcc, s3, v2
	s_movk_i32 s3, 0x2000
	s_nop 0
	v_addc_co_u32_e32 v5, vcc, 0, v3, vcc
	v_add_co_u32_e32 v6, vcc, s3, v2
	s_movk_i32 s3, 0x3000
	s_nop 0
	v_addc_co_u32_e32 v7, vcc, 0, v3, vcc
	global_load_ubyte v8, v12, s[4:5]
	global_load_ubyte v13, v12, s[4:5] offset:1024
	global_load_ubyte v28, v12, s[4:5] offset:2048
	;; [unrolled: 1-line block ×3, first 2 shown]
	global_load_ubyte v30, v[6:7], off offset:-4096
	global_load_ubyte v31, v[4:5], off offset:1024
	global_load_ubyte v32, v[4:5], off offset:2048
	;; [unrolled: 1-line block ×3, first 2 shown]
	global_load_ubyte v34, v[6:7], off
	global_load_ubyte v35, v[6:7], off offset:1024
	global_load_ubyte v36, v[6:7], off offset:2048
	v_add_co_u32_e32 v4, vcc, s3, v2
	s_movk_i32 s3, 0x4000
	s_nop 0
	v_addc_co_u32_e32 v5, vcc, 0, v3, vcc
	v_add_co_u32_e32 v10, vcc, s3, v2
	s_movk_i32 s6, 0x6000
	s_nop 0
	v_addc_co_u32_e32 v11, vcc, 0, v3, vcc
	global_load_ubyte v37, v[6:7], off offset:3072
	global_load_ubyte v38, v[10:11], off offset:-4096
	global_load_ubyte v39, v[4:5], off offset:1024
	global_load_ubyte v40, v[4:5], off offset:2048
	;; [unrolled: 1-line block ×3, first 2 shown]
	global_load_ubyte v42, v[10:11], off
	global_load_ubyte v43, v[10:11], off offset:1024
	global_load_ubyte v44, v[10:11], off offset:2048
	v_add_co_u32_e32 v4, vcc, s6, v2
	s_movk_i32 s3, 0x5000
	s_nop 0
	v_addc_co_u32_e32 v5, vcc, 0, v3, vcc
	v_add_co_u32_e32 v6, vcc, s3, v2
	s_movk_i32 s3, 0x7000
	s_nop 0
	v_addc_co_u32_e32 v7, vcc, 0, v3, vcc
	v_add_co_u32_e32 v2, vcc, s3, v2
	global_load_ubyte v45, v[10:11], off offset:3072
	global_load_ubyte v46, v[4:5], off offset:-4096
	v_addc_co_u32_e32 v3, vcc, 0, v3, vcc
	global_load_ubyte v10, v[6:7], off offset:1024
	global_load_ubyte v11, v[6:7], off offset:2048
	;; [unrolled: 1-line block ×3, first 2 shown]
	global_load_ubyte v48, v[4:5], off
	global_load_ubyte v49, v[4:5], off offset:1024
	global_load_ubyte v50, v[4:5], off offset:2048
	;; [unrolled: 1-line block ×3, first 2 shown]
	s_nop 0
	global_load_ubyte v4, v[2:3], off
	global_load_ubyte v5, v[2:3], off offset:1024
	s_mov_b64 s[6:7], 0
	s_waitcnt vmcnt(29)
	v_xor_b32_e32 v2, -1, v8
	s_waitcnt vmcnt(28)
	v_xor_b32_e32 v3, -1, v13
	;; [unrolled: 2-line block ×4, first 2 shown]
	v_and_b32_e32 v2, 1, v2
	s_waitcnt vmcnt(24)
	v_xor_b32_e32 v8, -1, v31
	s_waitcnt vmcnt(23)
	v_xor_b32_e32 v13, -1, v32
	;; [unrolled: 2-line block ×3, first 2 shown]
	v_xor_b32_e32 v29, -1, v30
	s_waitcnt vmcnt(21)
	v_xor_b32_e32 v30, -1, v34
	s_waitcnt vmcnt(20)
	;; [unrolled: 2-line block ×11, first 2 shown]
	v_xor_b32_e32 v40, -1, v44
	v_and_b32_e32 v3, 1, v3
	v_and_b32_e32 v6, 1, v6
	;; [unrolled: 1-line block ×5, first 2 shown]
	s_waitcnt vmcnt(8)
	v_xor_b32_e32 v10, -1, v10
	s_waitcnt vmcnt(7)
	v_xor_b32_e32 v11, -1, v11
	v_xor_b32_e32 v41, -1, v45
	;; [unrolled: 1-line block ×3, first 2 shown]
	s_waitcnt vmcnt(6)
	v_xor_b32_e32 v43, -1, v47
	s_waitcnt vmcnt(5)
	v_xor_b32_e32 v44, -1, v48
	;; [unrolled: 2-line block ×7, first 2 shown]
	v_and_b32_e32 v28, 1, v28
	v_and_b32_e32 v29, 1, v29
	;; [unrolled: 1-line block ×24, first 2 shown]
	ds_write_b8 v0, v2
	ds_write_b8 v0, v3 offset:512
	ds_write_b8 v0, v6 offset:1024
	;; [unrolled: 1-line block ×29, first 2 shown]
	s_waitcnt lgkmcnt(0)
	s_barrier
.LBB2087_66:
	s_load_dwordx2 s[36:37], s[0:1], 0x70
	s_andn2_b64 vcc, exec, s[6:7]
	s_cbranch_vccnz .LBB2087_128
; %bb.67:
	v_cmp_gt_u32_e32 vcc, s33, v0
	v_mov_b32_e32 v2, 0
	v_mov_b32_e32 v3, 0
	s_and_saveexec_b64 s[6:7], vcc
	s_cbranch_execz .LBB2087_69
; %bb.68:
	global_load_ubyte v3, v12, s[4:5]
	s_waitcnt vmcnt(0)
	v_xor_b32_e32 v3, -1, v3
	v_and_b32_e32 v3, 1, v3
.LBB2087_69:
	s_or_b64 exec, exec, s[6:7]
	v_or_b32_e32 v4, 0x200, v0
	v_cmp_gt_u32_e32 vcc, s33, v4
	s_and_saveexec_b64 s[6:7], vcc
	s_cbranch_execz .LBB2087_71
; %bb.70:
	global_load_ubyte v2, v12, s[4:5] offset:1024
	s_waitcnt vmcnt(0)
	v_xor_b32_e32 v2, -1, v2
	v_and_b32_e32 v2, 1, v2
.LBB2087_71:
	s_or_b64 exec, exec, s[6:7]
	v_or_b32_e32 v4, 0x400, v0
	v_cmp_gt_u32_e32 vcc, s33, v4
	v_mov_b32_e32 v4, 0
	v_mov_b32_e32 v5, 0
	s_and_saveexec_b64 s[6:7], vcc
	s_cbranch_execz .LBB2087_73
; %bb.72:
	global_load_ubyte v5, v12, s[4:5] offset:2048
	s_waitcnt vmcnt(0)
	v_xor_b32_e32 v5, -1, v5
	v_and_b32_e32 v5, 1, v5
.LBB2087_73:
	s_or_b64 exec, exec, s[6:7]
	v_or_b32_e32 v6, 0x600, v0
	v_cmp_gt_u32_e32 vcc, s33, v6
	s_and_saveexec_b64 s[6:7], vcc
	s_cbranch_execz .LBB2087_75
; %bb.74:
	global_load_ubyte v4, v12, s[4:5] offset:3072
	s_waitcnt vmcnt(0)
	v_xor_b32_e32 v4, -1, v4
	v_and_b32_e32 v4, 1, v4
.LBB2087_75:
	s_or_b64 exec, exec, s[6:7]
	v_or_b32_e32 v8, 0x800, v0
	v_cmp_gt_u32_e32 vcc, s33, v8
	v_mov_b32_e32 v6, 0
	v_mov_b32_e32 v7, 0
	s_and_saveexec_b64 s[6:7], vcc
	s_cbranch_execz .LBB2087_77
; %bb.76:
	v_lshlrev_b32_e32 v7, 1, v8
	global_load_ubyte v7, v7, s[4:5]
	s_waitcnt vmcnt(0)
	v_xor_b32_e32 v7, -1, v7
	v_and_b32_e32 v7, 1, v7
.LBB2087_77:
	s_or_b64 exec, exec, s[6:7]
	v_or_b32_e32 v8, 0xa00, v0
	v_cmp_gt_u32_e32 vcc, s33, v8
	s_and_saveexec_b64 s[6:7], vcc
	s_cbranch_execz .LBB2087_79
; %bb.78:
	v_lshlrev_b32_e32 v6, 1, v8
	global_load_ubyte v6, v6, s[4:5]
	s_waitcnt vmcnt(0)
	v_xor_b32_e32 v6, -1, v6
	v_and_b32_e32 v6, 1, v6
.LBB2087_79:
	s_or_b64 exec, exec, s[6:7]
	v_or_b32_e32 v11, 0xc00, v0
	v_cmp_gt_u32_e32 vcc, s33, v11
	v_mov_b32_e32 v8, 0
	v_mov_b32_e32 v10, 0
	s_and_saveexec_b64 s[6:7], vcc
	s_cbranch_execz .LBB2087_81
; %bb.80:
	v_lshlrev_b32_e32 v10, 1, v11
	global_load_ubyte v10, v10, s[4:5]
	s_waitcnt vmcnt(0)
	v_xor_b32_e32 v10, -1, v10
	v_and_b32_e32 v10, 1, v10
.LBB2087_81:
	s_or_b64 exec, exec, s[6:7]
	v_or_b32_e32 v11, 0xe00, v0
	v_cmp_gt_u32_e32 vcc, s33, v11
	s_and_saveexec_b64 s[6:7], vcc
	s_cbranch_execz .LBB2087_83
; %bb.82:
	v_lshlrev_b32_e32 v8, 1, v11
	global_load_ubyte v8, v8, s[4:5]
	s_waitcnt vmcnt(0)
	v_xor_b32_e32 v8, -1, v8
	v_and_b32_e32 v8, 1, v8
.LBB2087_83:
	;; [unrolled: 26-line block ×13, first 2 shown]
	s_or_b64 exec, exec, s[6:7]
	ds_write_b8 v0, v3
	ds_write_b8 v0, v2 offset:512
	ds_write_b8 v0, v5 offset:1024
	;; [unrolled: 1-line block ×29, first 2 shown]
	s_waitcnt lgkmcnt(0)
	s_barrier
.LBB2087_128:
	s_waitcnt lgkmcnt(0)
	ds_read_b128 v[2:5], v9
	ds_read_b96 v[6:8], v9 offset:16
	ds_read_u16 v36, v9 offset:28
	s_cmp_lg_u32 s2, 0
	v_lshrrev_b32_e32 v65, 6, v0
	s_waitcnt lgkmcnt(0)
	v_lshrrev_b32_e32 v44, 24, v2
	v_bfe_u32 v63, v2, 16, 8
	v_add_u32_sdwa v10, v2, v2 dst_sel:DWORD dst_unused:UNUSED_PAD src0_sel:BYTE_1 src1_sel:BYTE_0
	v_and_b32_e32 v60, 0xff, v3
	v_bfe_u32 v61, v3, 8, 8
	v_add3_u32 v10, v10, v63, v44
	v_lshrrev_b32_e32 v43, 24, v3
	v_bfe_u32 v62, v3, 16, 8
	v_add3_u32 v10, v10, v60, v61
	v_and_b32_e32 v57, 0xff, v4
	v_bfe_u32 v58, v4, 8, 8
	v_add3_u32 v10, v10, v62, v43
	v_lshrrev_b32_e32 v42, 24, v4
	v_bfe_u32 v59, v4, 16, 8
	v_add3_u32 v10, v10, v57, v58
	;; [unrolled: 6-line block ×6, first 2 shown]
	v_lshrrev_b16_e32 v13, 8, v36
	v_and_b32_e32 v38, 0xff, v36
	v_add3_u32 v10, v10, v47, v37
	v_add3_u32 v66, v10, v38, v13
	v_mbcnt_lo_u32_b32 v10, -1, 0
	v_mbcnt_hi_u32_b32 v64, -1, v10
	v_and_b32_e32 v10, 15, v64
	v_cmp_eq_u32_e64 s[14:15], 0, v10
	v_cmp_lt_u32_e64 s[12:13], 1, v10
	v_cmp_lt_u32_e64 s[10:11], 3, v10
	;; [unrolled: 1-line block ×3, first 2 shown]
	v_and_b32_e32 v10, 16, v64
	v_cmp_eq_u32_e64 s[6:7], 0, v10
	v_or_b32_e32 v10, 63, v0
	v_cmp_lt_u32_e64 s[18:19], 31, v64
	v_cmp_eq_u32_e64 s[4:5], v10, v0
	s_barrier
	s_cbranch_scc0 .LBB2087_159
; %bb.129:
	v_mov_b32_dpp v10, v66 row_shr:1 row_mask:0xf bank_mask:0xf
	v_cndmask_b32_e64 v10, v10, 0, s[14:15]
	v_add_u32_e32 v10, v10, v66
	s_nop 1
	v_mov_b32_dpp v11, v10 row_shr:2 row_mask:0xf bank_mask:0xf
	v_cndmask_b32_e64 v11, 0, v11, s[12:13]
	v_add_u32_e32 v10, v10, v11
	s_nop 1
	;; [unrolled: 4-line block ×4, first 2 shown]
	v_mov_b32_dpp v11, v10 row_bcast:15 row_mask:0xf bank_mask:0xf
	v_cndmask_b32_e64 v11, v11, 0, s[6:7]
	v_add_u32_e32 v10, v10, v11
	s_nop 1
	v_mov_b32_dpp v11, v10 row_bcast:31 row_mask:0xf bank_mask:0xf
	v_cndmask_b32_e64 v11, 0, v11, s[18:19]
	v_add_u32_e32 v10, v10, v11
	s_and_saveexec_b64 s[16:17], s[4:5]
	s_cbranch_execz .LBB2087_131
; %bb.130:
	v_lshlrev_b32_e32 v11, 2, v65
	ds_write_b32 v11, v10
.LBB2087_131:
	s_or_b64 exec, exec, s[16:17]
	v_cmp_gt_u32_e32 vcc, 8, v0
	s_waitcnt lgkmcnt(0)
	s_barrier
	s_and_saveexec_b64 s[16:17], vcc
	s_cbranch_execz .LBB2087_133
; %bb.132:
	v_lshlrev_b32_e32 v11, 2, v0
	ds_read_b32 v28, v11
	v_and_b32_e32 v29, 7, v64
	v_cmp_ne_u32_e32 vcc, 0, v29
	s_waitcnt lgkmcnt(0)
	v_mov_b32_dpp v30, v28 row_shr:1 row_mask:0xf bank_mask:0xf
	v_cndmask_b32_e32 v30, 0, v30, vcc
	v_add_u32_e32 v28, v30, v28
	v_cmp_lt_u32_e32 vcc, 1, v29
	s_nop 0
	v_mov_b32_dpp v30, v28 row_shr:2 row_mask:0xf bank_mask:0xf
	v_cndmask_b32_e32 v30, 0, v30, vcc
	v_add_u32_e32 v28, v28, v30
	v_cmp_lt_u32_e32 vcc, 3, v29
	s_nop 0
	v_mov_b32_dpp v30, v28 row_shr:4 row_mask:0xf bank_mask:0xf
	v_cndmask_b32_e32 v29, 0, v30, vcc
	v_add_u32_e32 v28, v28, v29
	ds_write_b32 v11, v28
.LBB2087_133:
	s_or_b64 exec, exec, s[16:17]
	v_cmp_gt_u32_e32 vcc, 64, v0
	v_cmp_lt_u32_e64 s[16:17], 63, v0
	s_waitcnt lgkmcnt(0)
	s_barrier
	s_waitcnt lgkmcnt(0)
                                        ; implicit-def: $vgpr67
	s_and_saveexec_b64 s[38:39], s[16:17]
	s_cbranch_execz .LBB2087_135
; %bb.134:
	v_lshl_add_u32 v11, v65, 2, -4
	ds_read_b32 v67, v11
	s_waitcnt lgkmcnt(0)
	v_add_u32_e32 v10, v67, v10
.LBB2087_135:
	s_or_b64 exec, exec, s[38:39]
	v_add_u32_e32 v11, -1, v64
	v_and_b32_e32 v28, 64, v64
	v_cmp_lt_i32_e64 s[16:17], v11, v28
	s_nop 1
	v_cndmask_b32_e64 v11, v11, v64, s[16:17]
	v_lshlrev_b32_e32 v11, 2, v11
	ds_bpermute_b32 v68, v11, v10
	v_cmp_eq_u32_e64 s[16:17], 0, v64
	s_and_saveexec_b64 s[38:39], vcc
	s_cbranch_execz .LBB2087_158
; %bb.136:
	v_mov_b32_e32 v35, 0
	ds_read_b32 v10, v35 offset:28
	s_and_saveexec_b64 s[40:41], s[16:17]
	s_cbranch_execz .LBB2087_138
; %bb.137:
	s_add_i32 s42, s2, 64
	s_mov_b32 s43, 0
	s_lshl_b64 s[42:43], s[42:43], 3
	s_add_u32 s42, s36, s42
	v_mov_b32_e32 v11, 1
	s_addc_u32 s43, s37, s43
	s_waitcnt lgkmcnt(0)
	global_store_dwordx2 v35, v[10:11], s[42:43] sc1
.LBB2087_138:
	s_or_b64 exec, exec, s[40:41]
	v_xad_u32 v28, v64, -1, s2
	v_add_u32_e32 v34, 64, v28
	v_lshl_add_u64 v[30:31], v[34:35], 3, s[36:37]
	global_load_dwordx2 v[32:33], v[30:31], off sc1
	s_waitcnt vmcnt(0)
	v_cmp_eq_u16_sdwa s[42:43], v33, v35 src0_sel:BYTE_0 src1_sel:DWORD
	s_and_saveexec_b64 s[40:41], s[42:43]
	s_cbranch_execz .LBB2087_144
; %bb.139:
	s_mov_b32 s3, 1
	s_mov_b64 s[42:43], 0
	v_mov_b32_e32 v11, 0
.LBB2087_140:                           ; =>This Loop Header: Depth=1
                                        ;     Child Loop BB2087_141 Depth 2
	s_max_u32 s25, s3, 1
.LBB2087_141:                           ;   Parent Loop BB2087_140 Depth=1
                                        ; =>  This Inner Loop Header: Depth=2
	s_add_i32 s25, s25, -1
	s_cmp_eq_u32 s25, 0
	s_sleep 1
	s_cbranch_scc0 .LBB2087_141
; %bb.142:                              ;   in Loop: Header=BB2087_140 Depth=1
	global_load_dwordx2 v[32:33], v[30:31], off sc1
	s_cmp_lt_u32 s3, 32
	s_cselect_b64 s[44:45], -1, 0
	s_cmp_lg_u64 s[44:45], 0
	s_addc_u32 s3, s3, 0
	s_waitcnt vmcnt(0)
	v_cmp_ne_u16_sdwa s[44:45], v33, v11 src0_sel:BYTE_0 src1_sel:DWORD
	s_or_b64 s[42:43], s[44:45], s[42:43]
	s_andn2_b64 exec, exec, s[42:43]
	s_cbranch_execnz .LBB2087_140
; %bb.143:
	s_or_b64 exec, exec, s[42:43]
.LBB2087_144:
	s_or_b64 exec, exec, s[40:41]
	v_and_b32_e32 v70, 63, v64
	v_mov_b32_e32 v69, 2
	v_cmp_ne_u32_e32 vcc, 63, v70
	v_cmp_eq_u16_sdwa s[40:41], v33, v69 src0_sel:BYTE_0 src1_sel:DWORD
	v_lshlrev_b64 v[30:31], v64, -1
	v_addc_co_u32_e32 v34, vcc, 0, v64, vcc
	v_and_b32_e32 v11, s41, v31
	v_lshlrev_b32_e32 v71, 2, v34
	v_or_b32_e32 v11, 0x80000000, v11
	ds_bpermute_b32 v34, v71, v32
	v_and_b32_e32 v29, s40, v30
	v_ffbl_b32_e32 v11, v11
	v_add_u32_e32 v11, 32, v11
	v_ffbl_b32_e32 v29, v29
	v_min_u32_e32 v11, v29, v11
	v_cmp_lt_u32_e32 vcc, v70, v11
	v_add_u32_e32 v73, 2, v70
	v_add_u32_e32 v75, 4, v70
	s_waitcnt lgkmcnt(0)
	v_cndmask_b32_e32 v29, 0, v34, vcc
	v_cmp_gt_u32_e32 vcc, 62, v70
	v_add_u32_e32 v29, v29, v32
	v_add_u32_e32 v77, 8, v70
	v_cndmask_b32_e64 v32, 0, 1, vcc
	v_lshlrev_b32_e32 v32, 1, v32
	v_add_lshl_u32 v72, v32, v64, 2
	ds_bpermute_b32 v32, v72, v29
	v_cmp_le_u32_e32 vcc, v73, v11
	v_add_u32_e32 v79, 16, v70
	v_add_u32_e32 v81, 32, v70
	s_waitcnt lgkmcnt(0)
	v_cndmask_b32_e32 v32, 0, v32, vcc
	v_cmp_gt_u32_e32 vcc, 60, v70
	v_add_u32_e32 v29, v29, v32
	s_nop 0
	v_cndmask_b32_e64 v32, 0, 1, vcc
	v_lshlrev_b32_e32 v32, 2, v32
	v_add_lshl_u32 v74, v32, v64, 2
	ds_bpermute_b32 v32, v74, v29
	v_cmp_le_u32_e32 vcc, v75, v11
	s_waitcnt lgkmcnt(0)
	s_nop 0
	v_cndmask_b32_e32 v32, 0, v32, vcc
	v_cmp_gt_u32_e32 vcc, 56, v70
	v_add_u32_e32 v29, v29, v32
	s_nop 0
	v_cndmask_b32_e64 v32, 0, 1, vcc
	v_lshlrev_b32_e32 v32, 3, v32
	v_add_lshl_u32 v76, v32, v64, 2
	ds_bpermute_b32 v32, v76, v29
	v_cmp_le_u32_e32 vcc, v77, v11
	s_waitcnt lgkmcnt(0)
	s_nop 0
	;; [unrolled: 11-line block ×4, first 2 shown]
	v_cndmask_b32_e32 v11, 0, v32, vcc
	v_add_u32_e32 v32, v29, v11
	v_mov_b32_e32 v29, 0
	s_branch .LBB2087_146
.LBB2087_145:                           ;   in Loop: Header=BB2087_146 Depth=1
	s_or_b64 exec, exec, s[40:41]
	v_cmp_eq_u16_sdwa s[40:41], v33, v69 src0_sel:BYTE_0 src1_sel:DWORD
	ds_bpermute_b32 v82, v71, v32
	v_subrev_u32_e32 v28, 64, v28
	v_and_b32_e32 v34, s41, v31
	v_or_b32_e32 v34, 0x80000000, v34
	v_and_b32_e32 v35, s40, v30
	v_ffbl_b32_e32 v34, v34
	v_add_u32_e32 v34, 32, v34
	v_ffbl_b32_e32 v35, v35
	v_min_u32_e32 v34, v35, v34
	v_cmp_lt_u32_e32 vcc, v70, v34
	s_waitcnt lgkmcnt(0)
	s_nop 0
	v_cndmask_b32_e32 v35, 0, v82, vcc
	v_add_u32_e32 v32, v35, v32
	ds_bpermute_b32 v35, v72, v32
	v_cmp_le_u32_e32 vcc, v73, v34
	s_waitcnt lgkmcnt(0)
	s_nop 0
	v_cndmask_b32_e32 v35, 0, v35, vcc
	v_add_u32_e32 v32, v32, v35
	ds_bpermute_b32 v35, v74, v32
	v_cmp_le_u32_e32 vcc, v75, v34
	;; [unrolled: 6-line block ×5, first 2 shown]
	s_waitcnt lgkmcnt(0)
	s_nop 0
	v_cndmask_b32_e32 v34, 0, v35, vcc
	v_add3_u32 v32, v34, v11, v32
.LBB2087_146:                           ; =>This Loop Header: Depth=1
                                        ;     Child Loop BB2087_149 Depth 2
                                        ;       Child Loop BB2087_150 Depth 3
	v_cmp_ne_u16_sdwa s[40:41], v33, v69 src0_sel:BYTE_0 src1_sel:DWORD
	s_nop 1
	v_cndmask_b32_e64 v11, 0, 1, s[40:41]
	;;#ASMSTART
	;;#ASMEND
	s_nop 0
	v_cmp_ne_u32_e32 vcc, 0, v11
	s_cmp_lg_u64 vcc, exec
	v_mov_b32_e32 v11, v32
	s_cbranch_scc1 .LBB2087_153
; %bb.147:                              ;   in Loop: Header=BB2087_146 Depth=1
	v_lshl_add_u64 v[34:35], v[28:29], 3, s[36:37]
	global_load_dwordx2 v[32:33], v[34:35], off sc1
	s_waitcnt vmcnt(0)
	v_cmp_eq_u16_sdwa s[42:43], v33, v29 src0_sel:BYTE_0 src1_sel:DWORD
	s_and_saveexec_b64 s[40:41], s[42:43]
	s_cbranch_execz .LBB2087_145
; %bb.148:                              ;   in Loop: Header=BB2087_146 Depth=1
	s_mov_b32 s3, 1
	s_mov_b64 s[42:43], 0
.LBB2087_149:                           ;   Parent Loop BB2087_146 Depth=1
                                        ; =>  This Loop Header: Depth=2
                                        ;       Child Loop BB2087_150 Depth 3
	s_max_u32 s25, s3, 1
.LBB2087_150:                           ;   Parent Loop BB2087_146 Depth=1
                                        ;     Parent Loop BB2087_149 Depth=2
                                        ; =>    This Inner Loop Header: Depth=3
	s_add_i32 s25, s25, -1
	s_cmp_eq_u32 s25, 0
	s_sleep 1
	s_cbranch_scc0 .LBB2087_150
; %bb.151:                              ;   in Loop: Header=BB2087_149 Depth=2
	global_load_dwordx2 v[32:33], v[34:35], off sc1
	s_cmp_lt_u32 s3, 32
	s_cselect_b64 s[44:45], -1, 0
	s_cmp_lg_u64 s[44:45], 0
	s_addc_u32 s3, s3, 0
	s_waitcnt vmcnt(0)
	v_cmp_ne_u16_sdwa s[44:45], v33, v29 src0_sel:BYTE_0 src1_sel:DWORD
	s_or_b64 s[42:43], s[44:45], s[42:43]
	s_andn2_b64 exec, exec, s[42:43]
	s_cbranch_execnz .LBB2087_149
; %bb.152:                              ;   in Loop: Header=BB2087_146 Depth=1
	s_or_b64 exec, exec, s[42:43]
	s_branch .LBB2087_145
.LBB2087_153:                           ;   in Loop: Header=BB2087_146 Depth=1
                                        ; implicit-def: $vgpr32
                                        ; implicit-def: $vgpr33
	s_cbranch_execz .LBB2087_146
; %bb.154:
	s_and_saveexec_b64 s[40:41], s[16:17]
	s_cbranch_execz .LBB2087_156
; %bb.155:
	s_add_i32 s2, s2, 64
	s_mov_b32 s3, 0
	s_lshl_b64 s[2:3], s[2:3], 3
	s_add_u32 s2, s36, s2
	v_add_u32_e32 v28, v11, v10
	v_mov_b32_e32 v29, 2
	s_addc_u32 s3, s37, s3
	v_mov_b32_e32 v30, 0
	global_store_dwordx2 v30, v[28:29], s[2:3] sc1
	ds_write_b64 v30, v[10:11] offset:30720
.LBB2087_156:
	s_or_b64 exec, exec, s[40:41]
	v_cmp_eq_u32_e32 vcc, 0, v0
	s_and_b64 exec, exec, vcc
	s_cbranch_execz .LBB2087_158
; %bb.157:
	v_mov_b32_e32 v10, 0
	ds_write_b32 v10, v11 offset:28
.LBB2087_158:
	s_or_b64 exec, exec, s[38:39]
	v_mov_b32_e32 v10, 0
	s_waitcnt lgkmcnt(0)
	s_barrier
	ds_read_b32 v29, v10 offset:28
	s_waitcnt lgkmcnt(0)
	s_barrier
	ds_read_b64 v[10:11], v10 offset:30720
	v_cndmask_b32_e64 v28, v68, v67, s[16:17]
	v_cmp_ne_u32_e32 vcc, 0, v0
	s_waitcnt lgkmcnt(0)
	v_mov_b32_e32 v68, v11
	v_cndmask_b32_e32 v28, 0, v28, vcc
	v_add_u32_e32 v33, v29, v28
	s_load_dwordx2 s[2:3], s[0:1], 0x30
	s_branch .LBB2087_169
.LBB2087_159:
                                        ; implicit-def: $vgpr68
                                        ; implicit-def: $vgpr10
                                        ; implicit-def: $vgpr33
	s_load_dwordx2 s[2:3], s[0:1], 0x30
	s_cbranch_execz .LBB2087_169
; %bb.160:
	v_mov_b32_dpp v10, v66 row_shr:1 row_mask:0xf bank_mask:0xf
	v_cndmask_b32_e64 v10, v10, 0, s[14:15]
	v_add_u32_e32 v10, v10, v66
	s_nop 1
	v_mov_b32_dpp v11, v10 row_shr:2 row_mask:0xf bank_mask:0xf
	v_cndmask_b32_e64 v11, 0, v11, s[12:13]
	v_add_u32_e32 v10, v10, v11
	s_nop 1
	;; [unrolled: 4-line block ×4, first 2 shown]
	v_mov_b32_dpp v11, v10 row_bcast:15 row_mask:0xf bank_mask:0xf
	v_cndmask_b32_e64 v11, v11, 0, s[6:7]
	v_add_u32_e32 v10, v10, v11
	s_nop 1
	v_mov_b32_dpp v11, v10 row_bcast:31 row_mask:0xf bank_mask:0xf
	v_cndmask_b32_e64 v11, 0, v11, s[18:19]
	v_add_u32_e32 v10, v10, v11
	s_and_saveexec_b64 s[0:1], s[4:5]
	s_cbranch_execz .LBB2087_162
; %bb.161:
	v_lshlrev_b32_e32 v11, 2, v65
	ds_write_b32 v11, v10
.LBB2087_162:
	s_or_b64 exec, exec, s[0:1]
	v_cmp_gt_u32_e32 vcc, 8, v0
	s_waitcnt lgkmcnt(0)
	s_barrier
	s_and_saveexec_b64 s[0:1], vcc
	s_cbranch_execz .LBB2087_164
; %bb.163:
	v_lshlrev_b32_e32 v11, 2, v0
	ds_read_b32 v28, v11
	v_and_b32_e32 v29, 7, v64
	v_cmp_ne_u32_e32 vcc, 0, v29
	s_waitcnt lgkmcnt(0)
	v_mov_b32_dpp v30, v28 row_shr:1 row_mask:0xf bank_mask:0xf
	v_cndmask_b32_e32 v30, 0, v30, vcc
	v_add_u32_e32 v28, v30, v28
	v_cmp_lt_u32_e32 vcc, 1, v29
	s_nop 0
	v_mov_b32_dpp v30, v28 row_shr:2 row_mask:0xf bank_mask:0xf
	v_cndmask_b32_e32 v30, 0, v30, vcc
	v_add_u32_e32 v28, v28, v30
	v_cmp_lt_u32_e32 vcc, 3, v29
	s_nop 0
	v_mov_b32_dpp v30, v28 row_shr:4 row_mask:0xf bank_mask:0xf
	v_cndmask_b32_e32 v29, 0, v30, vcc
	v_add_u32_e32 v28, v28, v29
	ds_write_b32 v11, v28
.LBB2087_164:
	s_or_b64 exec, exec, s[0:1]
	v_cmp_lt_u32_e32 vcc, 63, v0
	v_mov_b32_e32 v11, 0
	v_mov_b32_e32 v28, 0
	s_waitcnt lgkmcnt(0)
	s_barrier
	s_and_saveexec_b64 s[0:1], vcc
	s_cbranch_execz .LBB2087_166
; %bb.165:
	v_lshl_add_u32 v28, v65, 2, -4
	ds_read_b32 v28, v28
.LBB2087_166:
	s_or_b64 exec, exec, s[0:1]
	v_add_u32_e32 v29, -1, v64
	v_and_b32_e32 v30, 64, v64
	v_cmp_lt_i32_e32 vcc, v29, v30
	s_waitcnt lgkmcnt(0)
	v_add_u32_e32 v10, v28, v10
	v_cndmask_b32_e32 v29, v29, v64, vcc
	v_lshlrev_b32_e32 v29, 2, v29
	ds_bpermute_b32 v29, v29, v10
	ds_read_b32 v10, v11 offset:28
	v_cmp_eq_u32_e32 vcc, 0, v0
	s_and_saveexec_b64 s[0:1], vcc
	s_cbranch_execz .LBB2087_168
; %bb.167:
	v_mov_b32_e32 v30, 0
	v_mov_b32_e32 v11, 2
	s_waitcnt lgkmcnt(0)
	global_store_dwordx2 v30, v[10:11], s[36:37] offset:512 sc1
.LBB2087_168:
	s_or_b64 exec, exec, s[0:1]
	v_cmp_eq_u32_e64 s[0:1], 0, v64
	v_mov_b32_e32 v68, 0
	s_waitcnt lgkmcnt(0)
	v_cndmask_b32_e64 v11, v29, v28, s[0:1]
	v_cndmask_b32_e64 v33, v11, 0, vcc
	s_barrier
.LBB2087_169:
	v_add_u32_sdwa v35, v33, v2 dst_sel:DWORD dst_unused:UNUSED_PAD src0_sel:DWORD src1_sel:BYTE_0
	v_add_u32_e32 v9, v10, v9
	v_sub_u32_e32 v33, v33, v68
	v_and_b32_e32 v74, 1, v2
	v_sub_u32_e32 v73, v9, v33
	v_cmp_eq_u32_e32 vcc, 1, v74
	v_lshrrev_b32_e32 v34, 8, v2
	v_add_u32_sdwa v64, v35, v2 dst_sel:DWORD dst_unused:UNUSED_PAD src0_sel:DWORD src1_sel:BYTE_1
	v_cndmask_b32_e32 v33, v73, v33, vcc
	v_lshlrev_b32_e32 v33, 1, v33
	ds_write_b16 v33, v26
	v_sub_u32_e32 v33, v35, v68
	v_sub_u32_e32 v35, v9, v33
	v_and_b32_e32 v34, 1, v34
	v_add_u32_e32 v35, 1, v35
	v_cmp_eq_u32_e32 vcc, 1, v34
	v_mov_b32_e32 v34, 1
	v_and_b32_sdwa v2, v34, v2 dst_sel:DWORD dst_unused:UNUSED_PAD src0_sel:DWORD src1_sel:WORD_1
	v_cndmask_b32_e32 v33, v35, v33, vcc
	v_lshlrev_b32_e32 v33, 1, v33
	ds_write_b16_d16_hi v33, v26
	v_sub_u32_e32 v26, v64, v68
	v_sub_u32_e32 v33, v9, v26
	v_add_u32_e32 v33, 2, v33
	v_cmp_eq_u32_e32 vcc, 1, v2
	v_add_u32_e32 v63, v64, v63
	v_add_u32_e32 v65, v63, v44
	v_cndmask_b32_e32 v2, v33, v26, vcc
	v_lshlrev_b32_e32 v2, 1, v2
	ds_write_b16 v2, v27
	v_sub_u32_e32 v2, v63, v68
	v_sub_u32_e32 v26, v9, v2
	v_and_b32_e32 v33, 1, v44
	v_add_u32_e32 v26, 3, v26
	v_cmp_eq_u32_e32 vcc, 1, v33
	v_add_u32_e32 v60, v65, v60
	v_lshrrev_b32_e32 v32, 8, v3
	v_cndmask_b32_e32 v2, v26, v2, vcc
	v_lshlrev_b32_e32 v2, 1, v2
	ds_write_b16_d16_hi v2, v27
	v_sub_u32_e32 v2, v65, v68
	v_sub_u32_e32 v26, v9, v2
	v_and_b32_e32 v27, 1, v3
	v_add_u32_e32 v26, 4, v26
	v_cmp_eq_u32_e32 vcc, 1, v27
	v_and_b32_e32 v27, 1, v32
	v_add_u32_e32 v61, v60, v61
	v_cndmask_b32_e32 v2, v26, v2, vcc
	v_lshlrev_b32_e32 v2, 1, v2
	ds_write_b16 v2, v24
	v_sub_u32_e32 v2, v60, v68
	v_sub_u32_e32 v26, v9, v2
	v_add_u32_e32 v26, 5, v26
	v_cmp_eq_u32_e32 vcc, 1, v27
	v_and_b32_sdwa v3, v34, v3 dst_sel:DWORD dst_unused:UNUSED_PAD src0_sel:DWORD src1_sel:WORD_1
	v_add_u32_e32 v62, v61, v62
	v_cndmask_b32_e32 v2, v26, v2, vcc
	v_lshlrev_b32_e32 v2, 1, v2
	ds_write_b16_d16_hi v2, v24
	v_sub_u32_e32 v2, v61, v68
	v_sub_u32_e32 v24, v9, v2
	v_add_u32_e32 v24, 6, v24
	v_cmp_eq_u32_e32 vcc, 1, v3
	v_add_u32_e32 v66, v62, v43
	v_add_u32_e32 v57, v66, v57
	v_cndmask_b32_e32 v2, v24, v2, vcc
	v_lshlrev_b32_e32 v2, 1, v2
	ds_write_b16 v2, v25
	v_sub_u32_e32 v2, v62, v68
	v_sub_u32_e32 v3, v9, v2
	v_and_b32_e32 v24, 1, v43
	v_add_u32_e32 v3, 7, v3
	v_cmp_eq_u32_e32 vcc, 1, v24
	v_and_b32_e32 v24, 1, v4
	v_lshrrev_b32_e32 v31, 8, v4
	v_cndmask_b32_e32 v2, v3, v2, vcc
	v_lshlrev_b32_e32 v2, 1, v2
	ds_write_b16_d16_hi v2, v25
	v_sub_u32_e32 v2, v66, v68
	v_sub_u32_e32 v3, v9, v2
	v_add_u32_e32 v3, 8, v3
	v_cmp_eq_u32_e32 vcc, 1, v24
	v_and_b32_e32 v24, 1, v31
	v_add_u32_e32 v58, v57, v58
	v_cndmask_b32_e32 v2, v3, v2, vcc
	v_lshlrev_b32_e32 v2, 1, v2
	ds_write_b16 v2, v22
	v_sub_u32_e32 v2, v57, v68
	v_sub_u32_e32 v3, v9, v2
	v_add_u32_e32 v3, 9, v3
	v_cmp_eq_u32_e32 vcc, 1, v24
	v_and_b32_sdwa v4, v34, v4 dst_sel:DWORD dst_unused:UNUSED_PAD src0_sel:DWORD src1_sel:WORD_1
	v_add_u32_e32 v59, v58, v59
	v_cndmask_b32_e32 v2, v3, v2, vcc
	v_lshlrev_b32_e32 v2, 1, v2
	ds_write_b16_d16_hi v2, v22
	v_sub_u32_e32 v2, v58, v68
	v_sub_u32_e32 v3, v9, v2
	v_add_u32_e32 v3, 10, v3
	v_cmp_eq_u32_e32 vcc, 1, v4
	v_and_b32_e32 v4, 1, v42
	v_add_u32_e32 v67, v59, v42
	v_cndmask_b32_e32 v2, v3, v2, vcc
	v_lshlrev_b32_e32 v2, 1, v2
	ds_write_b16 v2, v23
	v_sub_u32_e32 v2, v59, v68
	v_sub_u32_e32 v3, v9, v2
	v_add_u32_e32 v3, 11, v3
	v_cmp_eq_u32_e32 vcc, 1, v4
	v_and_b32_e32 v4, 1, v5
	v_add_u32_e32 v54, v67, v54
	v_cndmask_b32_e32 v2, v3, v2, vcc
	v_lshlrev_b32_e32 v2, 1, v2
	ds_write_b16_d16_hi v2, v23
	v_sub_u32_e32 v2, v67, v68
	v_sub_u32_e32 v3, v9, v2
	v_add_u32_e32 v3, 12, v3
	v_cmp_eq_u32_e32 vcc, 1, v4
	v_lshrrev_b32_e32 v30, 8, v5
	v_and_b32_e32 v4, 1, v30
	v_cndmask_b32_e32 v2, v3, v2, vcc
	v_lshlrev_b32_e32 v2, 1, v2
	ds_write_b16 v2, v20
	v_sub_u32_e32 v2, v54, v68
	v_sub_u32_e32 v3, v9, v2
	v_add_u32_e32 v3, 13, v3
	v_cmp_eq_u32_e32 vcc, 1, v4
	v_add_u32_e32 v55, v54, v55
	v_and_b32_sdwa v4, v34, v5 dst_sel:DWORD dst_unused:UNUSED_PAD src0_sel:DWORD src1_sel:WORD_1
	v_cndmask_b32_e32 v2, v3, v2, vcc
	v_lshlrev_b32_e32 v2, 1, v2
	ds_write_b16_d16_hi v2, v20
	v_sub_u32_e32 v2, v55, v68
	v_sub_u32_e32 v3, v9, v2
	v_add_u32_e32 v3, 14, v3
	v_cmp_eq_u32_e32 vcc, 1, v4
	v_add_u32_e32 v56, v55, v56
	v_and_b32_e32 v4, 1, v41
	v_cndmask_b32_e32 v2, v3, v2, vcc
	v_lshlrev_b32_e32 v2, 1, v2
	ds_write_b16 v2, v21
	v_sub_u32_e32 v2, v56, v68
	v_sub_u32_e32 v3, v9, v2
	v_add_u32_e32 v3, 15, v3
	v_cmp_eq_u32_e32 vcc, 1, v4
	v_add_u32_e32 v69, v56, v41
	v_and_b32_e32 v4, 1, v6
	v_cndmask_b32_e32 v2, v3, v2, vcc
	v_lshlrev_b32_e32 v2, 1, v2
	ds_write_b16_d16_hi v2, v21
	v_sub_u32_e32 v2, v69, v68
	v_sub_u32_e32 v3, v9, v2
	v_add_u32_e32 v3, 16, v3
	v_cmp_eq_u32_e32 vcc, 1, v4
	v_add_u32_e32 v51, v69, v51
	v_lshrrev_b32_e32 v29, 8, v6
	v_cndmask_b32_e32 v2, v3, v2, vcc
	v_lshlrev_b32_e32 v2, 1, v2
	ds_write_b16 v2, v18
	v_sub_u32_e32 v2, v51, v68
	v_sub_u32_e32 v3, v9, v2
	v_and_b32_e32 v4, 1, v29
	v_add_u32_e32 v3, 17, v3
	v_cmp_eq_u32_e32 vcc, 1, v4
	v_add_u32_e32 v52, v51, v52
	v_and_b32_sdwa v4, v34, v6 dst_sel:DWORD dst_unused:UNUSED_PAD src0_sel:DWORD src1_sel:WORD_1
	v_cndmask_b32_e32 v2, v3, v2, vcc
	v_lshlrev_b32_e32 v2, 1, v2
	ds_write_b16_d16_hi v2, v18
	v_sub_u32_e32 v2, v52, v68
	v_sub_u32_e32 v3, v9, v2
	v_add_u32_e32 v3, 18, v3
	v_cmp_eq_u32_e32 vcc, 1, v4
	v_add_u32_e32 v53, v52, v53
	v_and_b32_e32 v4, 1, v40
	v_cndmask_b32_e32 v2, v3, v2, vcc
	v_lshlrev_b32_e32 v2, 1, v2
	ds_write_b16 v2, v19
	v_sub_u32_e32 v2, v53, v68
	v_sub_u32_e32 v3, v9, v2
	v_add_u32_e32 v3, 19, v3
	v_cmp_eq_u32_e32 vcc, 1, v4
	v_add_u32_e32 v70, v53, v40
	v_and_b32_e32 v4, 1, v7
	v_cndmask_b32_e32 v2, v3, v2, vcc
	v_lshlrev_b32_e32 v2, 1, v2
	ds_write_b16_d16_hi v2, v19
	v_sub_u32_e32 v2, v70, v68
	v_sub_u32_e32 v3, v9, v2
	v_add_u32_e32 v3, 20, v3
	v_cmp_eq_u32_e32 vcc, 1, v4
	v_add_u32_e32 v48, v70, v48
	v_lshrrev_b32_e32 v28, 8, v7
	v_cndmask_b32_e32 v2, v3, v2, vcc
	v_lshlrev_b32_e32 v2, 1, v2
	ds_write_b16 v2, v16
	v_sub_u32_e32 v2, v48, v68
	v_sub_u32_e32 v3, v9, v2
	v_and_b32_e32 v4, 1, v28
	;; [unrolled: 37-line block ×3, first 2 shown]
	v_add_u32_e32 v3, 25, v3
	v_cmp_eq_u32_e32 vcc, 1, v4
	v_add_u32_e32 v46, v45, v46
	v_and_b32_sdwa v4, v34, v8 dst_sel:DWORD dst_unused:UNUSED_PAD src0_sel:DWORD src1_sel:WORD_1
	v_cndmask_b32_e32 v2, v3, v2, vcc
	v_lshlrev_b32_e32 v2, 1, v2
	ds_write_b16_d16_hi v2, v14
	v_sub_u32_e32 v2, v46, v68
	v_sub_u32_e32 v3, v9, v2
	v_add_u32_e32 v3, 26, v3
	v_cmp_eq_u32_e32 vcc, 1, v4
	v_add_u32_e32 v47, v46, v47
	v_and_b32_e32 v4, 1, v37
	v_cndmask_b32_e32 v2, v3, v2, vcc
	v_lshlrev_b32_e32 v2, 1, v2
	ds_write_b16 v2, v15
	v_sub_u32_e32 v2, v47, v68
	v_sub_u32_e32 v3, v9, v2
	v_add_u32_e32 v3, 27, v3
	v_cmp_eq_u32_e32 vcc, 1, v4
	v_add_u32_e32 v72, v47, v37
	v_and_b32_e32 v4, 1, v36
	v_cndmask_b32_e32 v2, v3, v2, vcc
	v_lshlrev_b32_e32 v2, 1, v2
	ds_write_b16_d16_hi v2, v15
	v_sub_u32_e32 v2, v72, v68
	v_sub_u32_e32 v3, v9, v2
	v_add_u32_e32 v3, 28, v3
	v_cmp_eq_u32_e32 vcc, 1, v4
	v_and_b32_e32 v4, 1, v13
	s_add_u32 s0, s26, s24
	v_cndmask_b32_e32 v2, v3, v2, vcc
	v_lshlrev_b32_e32 v2, 1, v2
	ds_write_b16 v2, v1
	v_sub_u32_e32 v2, v38, v68
	v_add_u32_e32 v2, v72, v2
	v_sub_u32_e32 v3, v9, v2
	v_add_u32_e32 v3, 29, v3
	v_cmp_eq_u32_e32 vcc, 1, v4
	s_addc_u32 s1, s27, 0
	s_sub_u32 s0, s28, s0
	v_cndmask_b32_e32 v2, v3, v2, vcc
	v_lshlrev_b32_e32 v2, 1, v2
	ds_write_b16_d16_hi v2, v1
	s_waitcnt lgkmcnt(0)
	s_barrier
	ds_read_u16 v99, v12
	ds_read_u16 v98, v12 offset:1024
	ds_read_u16 v97, v12 offset:2048
	;; [unrolled: 1-line block ×29, first 2 shown]
	v_mov_b32_e32 v1, 0
	v_mov_b32_e32 v69, v1
	;; [unrolled: 1-line block ×3, first 2 shown]
	s_subb_u32 s1, s29, s1
	v_lshl_add_u64 v[2:3], s[30:31], 0, v[68:69]
	v_lshl_add_u64 v[6:7], s[0:1], 0, v[10:11]
	v_or_b32_e32 v66, 0x200, v0
	v_mov_b32_e32 v67, v1
	v_or_b32_e32 v64, 0x400, v0
	v_mov_b32_e32 v65, v1
	;; [unrolled: 2-line block ×29, first 2 shown]
	s_andn2_b64 vcc, exec, s[34:35]
	v_lshl_add_u64 v[6:7], v[6:7], 0, v[2:3]
	s_cbranch_vccnz .LBB2087_291
; %bb.170:
	v_cmp_ge_u32_e32 vcc, v0, v10
                                        ; implicit-def: $vgpr12_vgpr13
	s_and_saveexec_b64 s[0:1], vcc
	s_xor_b64 s[0:1], exec, s[0:1]
; %bb.171:
	v_not_b32_e32 v12, v0
	v_ashrrev_i32_e32 v13, 31, v12
	v_lshl_add_u64 v[12:13], v[6:7], 0, v[12:13]
; %bb.172:
	s_andn2_saveexec_b64 s[0:1], s[0:1]
; %bb.173:
	v_lshl_add_u64 v[12:13], v[2:3], 0, v[0:1]
; %bb.174:
	s_or_b64 exec, exec, s[0:1]
	v_lshl_add_u64 v[12:13], v[12:13], 1, s[2:3]
	v_cmp_ge_u32_e32 vcc, v66, v10
	s_waitcnt lgkmcnt(14)
	global_store_short v[12:13], v99, off
                                        ; implicit-def: $vgpr12_vgpr13
	s_and_saveexec_b64 s[0:1], vcc
	s_xor_b64 s[0:1], exec, s[0:1]
; %bb.175:
	v_xor_b32_e32 v12, 0xfffffdff, v0
	v_ashrrev_i32_e32 v13, 31, v12
	v_lshl_add_u64 v[12:13], v[6:7], 0, v[12:13]
; %bb.176:
	s_andn2_saveexec_b64 s[0:1], s[0:1]
; %bb.177:
	v_lshl_add_u64 v[12:13], v[2:3], 0, v[66:67]
; %bb.178:
	s_or_b64 exec, exec, s[0:1]
	v_lshl_add_u64 v[12:13], v[12:13], 1, s[2:3]
	v_cmp_ge_u32_e32 vcc, v64, v10
	global_store_short v[12:13], v98, off
                                        ; implicit-def: $vgpr12_vgpr13
	s_and_saveexec_b64 s[0:1], vcc
	s_xor_b64 s[0:1], exec, s[0:1]
; %bb.179:
	v_xor_b32_e32 v12, 0xfffffbff, v0
	v_ashrrev_i32_e32 v13, 31, v12
	v_lshl_add_u64 v[12:13], v[6:7], 0, v[12:13]
; %bb.180:
	s_andn2_saveexec_b64 s[0:1], s[0:1]
; %bb.181:
	v_lshl_add_u64 v[12:13], v[2:3], 0, v[64:65]
; %bb.182:
	s_or_b64 exec, exec, s[0:1]
	v_lshl_add_u64 v[12:13], v[12:13], 1, s[2:3]
	v_cmp_ge_u32_e32 vcc, v62, v10
	;; [unrolled: 16-line block ×16, first 2 shown]
	s_waitcnt lgkmcnt(13)
	global_store_short v[12:13], v83, off
                                        ; implicit-def: $vgpr12_vgpr13
	s_and_saveexec_b64 s[0:1], vcc
	s_xor_b64 s[0:1], exec, s[0:1]
; %bb.239:
	v_xor_b32_e32 v12, 0xffffddff, v0
	v_ashrrev_i32_e32 v13, 31, v12
	v_lshl_add_u64 v[12:13], v[6:7], 0, v[12:13]
; %bb.240:
	s_andn2_saveexec_b64 s[0:1], s[0:1]
; %bb.241:
	v_lshl_add_u64 v[12:13], v[2:3], 0, v[34:35]
; %bb.242:
	s_or_b64 exec, exec, s[0:1]
	v_lshl_add_u64 v[12:13], v[12:13], 1, s[2:3]
	v_cmp_ge_u32_e32 vcc, v32, v10
	s_waitcnt lgkmcnt(12)
	global_store_short v[12:13], v82, off
                                        ; implicit-def: $vgpr12_vgpr13
	s_and_saveexec_b64 s[0:1], vcc
	s_xor_b64 s[0:1], exec, s[0:1]
; %bb.243:
	v_xor_b32_e32 v12, 0xffffdbff, v0
	v_ashrrev_i32_e32 v13, 31, v12
	v_lshl_add_u64 v[12:13], v[6:7], 0, v[12:13]
; %bb.244:
	s_andn2_saveexec_b64 s[0:1], s[0:1]
; %bb.245:
	v_lshl_add_u64 v[12:13], v[2:3], 0, v[32:33]
; %bb.246:
	s_or_b64 exec, exec, s[0:1]
	v_lshl_add_u64 v[12:13], v[12:13], 1, s[2:3]
	v_cmp_ge_u32_e32 vcc, v30, v10
	;; [unrolled: 17-line block ×12, first 2 shown]
	s_waitcnt lgkmcnt(1)
	global_store_short v[12:13], v71, off
                                        ; implicit-def: $vgpr12_vgpr13
	s_and_saveexec_b64 s[0:1], vcc
	s_xor_b64 s[0:1], exec, s[0:1]
; %bb.287:
	v_xor_b32_e32 v12, 0xffffc5ff, v0
	v_ashrrev_i32_e32 v13, 31, v12
	v_lshl_add_u64 v[12:13], v[6:7], 0, v[12:13]
; %bb.288:
	s_andn2_saveexec_b64 s[0:1], s[0:1]
; %bb.289:
	v_lshl_add_u64 v[12:13], v[2:3], 0, v[4:5]
; %bb.290:
	s_or_b64 exec, exec, s[0:1]
	s_mov_b64 s[0:1], -1
	s_branch .LBB2087_473
.LBB2087_291:
	s_mov_b64 s[0:1], 0
                                        ; implicit-def: $vgpr12_vgpr13
	s_cbranch_execz .LBB2087_473
; %bb.292:
	v_cmp_gt_u32_e32 vcc, s33, v0
	s_and_saveexec_b64 s[4:5], vcc
	s_cbranch_execz .LBB2087_378
; %bb.293:
	v_cmp_ge_u32_e32 vcc, v0, v10
                                        ; implicit-def: $vgpr12_vgpr13
	s_and_saveexec_b64 s[6:7], vcc
	s_xor_b64 s[6:7], exec, s[6:7]
; %bb.294:
	v_not_b32_e32 v12, v0
	v_ashrrev_i32_e32 v13, 31, v12
	v_lshl_add_u64 v[12:13], v[6:7], 0, v[12:13]
; %bb.295:
	s_andn2_saveexec_b64 s[6:7], s[6:7]
; %bb.296:
	v_lshl_add_u64 v[12:13], v[2:3], 0, v[0:1]
; %bb.297:
	s_or_b64 exec, exec, s[6:7]
	v_lshl_add_u64 v[12:13], v[12:13], 1, s[2:3]
	s_waitcnt lgkmcnt(14)
	global_store_short v[12:13], v99, off
	s_or_b64 exec, exec, s[4:5]
	v_cmp_gt_u32_e32 vcc, s33, v66
	s_and_saveexec_b64 s[4:5], vcc
	s_cbranch_execnz .LBB2087_379
.LBB2087_298:
	s_or_b64 exec, exec, s[4:5]
	v_cmp_gt_u32_e32 vcc, s33, v64
	s_and_saveexec_b64 s[4:5], vcc
	s_cbranch_execz .LBB2087_384
.LBB2087_299:
	v_cmp_ge_u32_e32 vcc, v64, v10
                                        ; implicit-def: $vgpr12_vgpr13
	s_and_saveexec_b64 s[6:7], vcc
	s_xor_b64 s[6:7], exec, s[6:7]
; %bb.300:
	v_xor_b32_e32 v12, 0xfffffbff, v0
	v_ashrrev_i32_e32 v13, 31, v12
	v_lshl_add_u64 v[12:13], v[6:7], 0, v[12:13]
                                        ; implicit-def: $vgpr64_vgpr65
; %bb.301:
	s_andn2_saveexec_b64 s[6:7], s[6:7]
; %bb.302:
	v_lshl_add_u64 v[12:13], v[2:3], 0, v[64:65]
; %bb.303:
	s_or_b64 exec, exec, s[6:7]
	v_lshl_add_u64 v[12:13], v[12:13], 1, s[2:3]
	s_waitcnt lgkmcnt(14)
	global_store_short v[12:13], v97, off
	s_or_b64 exec, exec, s[4:5]
	v_cmp_gt_u32_e32 vcc, s33, v62
	s_and_saveexec_b64 s[4:5], vcc
	s_cbranch_execnz .LBB2087_385
.LBB2087_304:
	s_or_b64 exec, exec, s[4:5]
	v_cmp_gt_u32_e32 vcc, s33, v60
	s_and_saveexec_b64 s[4:5], vcc
	s_cbranch_execz .LBB2087_390
.LBB2087_305:
	v_cmp_ge_u32_e32 vcc, v60, v10
                                        ; implicit-def: $vgpr12_vgpr13
	s_and_saveexec_b64 s[6:7], vcc
	s_xor_b64 s[6:7], exec, s[6:7]
; %bb.306:
	v_xor_b32_e32 v12, 0xfffff7ff, v0
	v_ashrrev_i32_e32 v13, 31, v12
	v_lshl_add_u64 v[12:13], v[6:7], 0, v[12:13]
                                        ; implicit-def: $vgpr60_vgpr61
; %bb.307:
	s_andn2_saveexec_b64 s[6:7], s[6:7]
; %bb.308:
	v_lshl_add_u64 v[12:13], v[2:3], 0, v[60:61]
; %bb.309:
	s_or_b64 exec, exec, s[6:7]
	v_lshl_add_u64 v[12:13], v[12:13], 1, s[2:3]
	s_waitcnt lgkmcnt(14)
	global_store_short v[12:13], v95, off
	s_or_b64 exec, exec, s[4:5]
	v_cmp_gt_u32_e32 vcc, s33, v58
	s_and_saveexec_b64 s[4:5], vcc
	s_cbranch_execnz .LBB2087_391
.LBB2087_310:
	s_or_b64 exec, exec, s[4:5]
	v_cmp_gt_u32_e32 vcc, s33, v56
	s_and_saveexec_b64 s[4:5], vcc
	s_cbranch_execz .LBB2087_396
.LBB2087_311:
	v_cmp_ge_u32_e32 vcc, v56, v10
                                        ; implicit-def: $vgpr12_vgpr13
	s_and_saveexec_b64 s[6:7], vcc
	s_xor_b64 s[6:7], exec, s[6:7]
; %bb.312:
	v_xor_b32_e32 v12, 0xfffff3ff, v0
	v_ashrrev_i32_e32 v13, 31, v12
	v_lshl_add_u64 v[12:13], v[6:7], 0, v[12:13]
                                        ; implicit-def: $vgpr56_vgpr57
; %bb.313:
	s_andn2_saveexec_b64 s[6:7], s[6:7]
; %bb.314:
	v_lshl_add_u64 v[12:13], v[2:3], 0, v[56:57]
; %bb.315:
	s_or_b64 exec, exec, s[6:7]
	v_lshl_add_u64 v[12:13], v[12:13], 1, s[2:3]
	s_waitcnt lgkmcnt(14)
	global_store_short v[12:13], v93, off
	s_or_b64 exec, exec, s[4:5]
	v_cmp_gt_u32_e32 vcc, s33, v54
	s_and_saveexec_b64 s[4:5], vcc
	s_cbranch_execnz .LBB2087_397
.LBB2087_316:
	s_or_b64 exec, exec, s[4:5]
	v_cmp_gt_u32_e32 vcc, s33, v52
	s_and_saveexec_b64 s[4:5], vcc
	s_cbranch_execz .LBB2087_402
.LBB2087_317:
	v_cmp_ge_u32_e32 vcc, v52, v10
                                        ; implicit-def: $vgpr12_vgpr13
	s_and_saveexec_b64 s[6:7], vcc
	s_xor_b64 s[6:7], exec, s[6:7]
; %bb.318:
	v_xor_b32_e32 v12, 0xffffefff, v0
	v_ashrrev_i32_e32 v13, 31, v12
	v_lshl_add_u64 v[12:13], v[6:7], 0, v[12:13]
                                        ; implicit-def: $vgpr52_vgpr53
; %bb.319:
	s_andn2_saveexec_b64 s[6:7], s[6:7]
; %bb.320:
	v_lshl_add_u64 v[12:13], v[2:3], 0, v[52:53]
; %bb.321:
	s_or_b64 exec, exec, s[6:7]
	v_lshl_add_u64 v[12:13], v[12:13], 1, s[2:3]
	s_waitcnt lgkmcnt(14)
	global_store_short v[12:13], v91, off
	s_or_b64 exec, exec, s[4:5]
	v_cmp_gt_u32_e32 vcc, s33, v50
	s_and_saveexec_b64 s[4:5], vcc
	s_cbranch_execnz .LBB2087_403
.LBB2087_322:
	s_or_b64 exec, exec, s[4:5]
	v_cmp_gt_u32_e32 vcc, s33, v48
	s_and_saveexec_b64 s[4:5], vcc
	s_cbranch_execz .LBB2087_408
.LBB2087_323:
	v_cmp_ge_u32_e32 vcc, v48, v10
                                        ; implicit-def: $vgpr12_vgpr13
	s_and_saveexec_b64 s[6:7], vcc
	s_xor_b64 s[6:7], exec, s[6:7]
; %bb.324:
	v_xor_b32_e32 v12, 0xffffebff, v0
	v_ashrrev_i32_e32 v13, 31, v12
	v_lshl_add_u64 v[12:13], v[6:7], 0, v[12:13]
                                        ; implicit-def: $vgpr48_vgpr49
; %bb.325:
	s_andn2_saveexec_b64 s[6:7], s[6:7]
; %bb.326:
	v_lshl_add_u64 v[12:13], v[2:3], 0, v[48:49]
; %bb.327:
	s_or_b64 exec, exec, s[6:7]
	v_lshl_add_u64 v[12:13], v[12:13], 1, s[2:3]
	s_waitcnt lgkmcnt(14)
	global_store_short v[12:13], v89, off
	s_or_b64 exec, exec, s[4:5]
	v_cmp_gt_u32_e32 vcc, s33, v46
	s_and_saveexec_b64 s[4:5], vcc
	s_cbranch_execnz .LBB2087_409
.LBB2087_328:
	s_or_b64 exec, exec, s[4:5]
	v_cmp_gt_u32_e32 vcc, s33, v44
	s_and_saveexec_b64 s[4:5], vcc
	s_cbranch_execz .LBB2087_414
.LBB2087_329:
	v_cmp_ge_u32_e32 vcc, v44, v10
                                        ; implicit-def: $vgpr12_vgpr13
	s_and_saveexec_b64 s[6:7], vcc
	s_xor_b64 s[6:7], exec, s[6:7]
; %bb.330:
	v_xor_b32_e32 v12, 0xffffe7ff, v0
	v_ashrrev_i32_e32 v13, 31, v12
	v_lshl_add_u64 v[12:13], v[6:7], 0, v[12:13]
                                        ; implicit-def: $vgpr44_vgpr45
; %bb.331:
	s_andn2_saveexec_b64 s[6:7], s[6:7]
; %bb.332:
	v_lshl_add_u64 v[12:13], v[2:3], 0, v[44:45]
; %bb.333:
	s_or_b64 exec, exec, s[6:7]
	v_lshl_add_u64 v[12:13], v[12:13], 1, s[2:3]
	s_waitcnt lgkmcnt(14)
	global_store_short v[12:13], v87, off
	s_or_b64 exec, exec, s[4:5]
	v_cmp_gt_u32_e32 vcc, s33, v42
	s_and_saveexec_b64 s[4:5], vcc
	s_cbranch_execnz .LBB2087_415
.LBB2087_334:
	s_or_b64 exec, exec, s[4:5]
	v_cmp_gt_u32_e32 vcc, s33, v40
	s_and_saveexec_b64 s[4:5], vcc
	s_cbranch_execz .LBB2087_420
.LBB2087_335:
	v_cmp_ge_u32_e32 vcc, v40, v10
                                        ; implicit-def: $vgpr12_vgpr13
	s_and_saveexec_b64 s[6:7], vcc
	s_xor_b64 s[6:7], exec, s[6:7]
; %bb.336:
	v_xor_b32_e32 v12, 0xffffe3ff, v0
	v_ashrrev_i32_e32 v13, 31, v12
	v_lshl_add_u64 v[12:13], v[6:7], 0, v[12:13]
                                        ; implicit-def: $vgpr40_vgpr41
; %bb.337:
	s_andn2_saveexec_b64 s[6:7], s[6:7]
; %bb.338:
	v_lshl_add_u64 v[12:13], v[2:3], 0, v[40:41]
; %bb.339:
	s_or_b64 exec, exec, s[6:7]
	v_lshl_add_u64 v[12:13], v[12:13], 1, s[2:3]
	s_waitcnt lgkmcnt(14)
	global_store_short v[12:13], v85, off
	s_or_b64 exec, exec, s[4:5]
	v_cmp_gt_u32_e32 vcc, s33, v38
	s_and_saveexec_b64 s[4:5], vcc
	s_cbranch_execnz .LBB2087_421
.LBB2087_340:
	s_or_b64 exec, exec, s[4:5]
	v_cmp_gt_u32_e32 vcc, s33, v36
	s_and_saveexec_b64 s[4:5], vcc
	s_cbranch_execz .LBB2087_426
.LBB2087_341:
	v_cmp_ge_u32_e32 vcc, v36, v10
                                        ; implicit-def: $vgpr12_vgpr13
	s_and_saveexec_b64 s[6:7], vcc
	s_xor_b64 s[6:7], exec, s[6:7]
; %bb.342:
	v_xor_b32_e32 v12, 0xffffdfff, v0
	v_ashrrev_i32_e32 v13, 31, v12
	v_lshl_add_u64 v[12:13], v[6:7], 0, v[12:13]
                                        ; implicit-def: $vgpr36_vgpr37
; %bb.343:
	s_andn2_saveexec_b64 s[6:7], s[6:7]
; %bb.344:
	v_lshl_add_u64 v[12:13], v[2:3], 0, v[36:37]
; %bb.345:
	s_or_b64 exec, exec, s[6:7]
	v_lshl_add_u64 v[12:13], v[12:13], 1, s[2:3]
	s_waitcnt lgkmcnt(13)
	global_store_short v[12:13], v83, off
	s_or_b64 exec, exec, s[4:5]
	v_cmp_gt_u32_e32 vcc, s33, v34
	s_and_saveexec_b64 s[4:5], vcc
	s_cbranch_execnz .LBB2087_427
.LBB2087_346:
	s_or_b64 exec, exec, s[4:5]
	v_cmp_gt_u32_e32 vcc, s33, v32
	s_and_saveexec_b64 s[4:5], vcc
	s_cbranch_execz .LBB2087_432
.LBB2087_347:
	v_cmp_ge_u32_e32 vcc, v32, v10
                                        ; implicit-def: $vgpr12_vgpr13
	s_and_saveexec_b64 s[6:7], vcc
	s_xor_b64 s[6:7], exec, s[6:7]
; %bb.348:
	v_xor_b32_e32 v12, 0xffffdbff, v0
	v_ashrrev_i32_e32 v13, 31, v12
	v_lshl_add_u64 v[12:13], v[6:7], 0, v[12:13]
                                        ; implicit-def: $vgpr32_vgpr33
; %bb.349:
	s_andn2_saveexec_b64 s[6:7], s[6:7]
; %bb.350:
	v_lshl_add_u64 v[12:13], v[2:3], 0, v[32:33]
; %bb.351:
	s_or_b64 exec, exec, s[6:7]
	v_lshl_add_u64 v[12:13], v[12:13], 1, s[2:3]
	s_waitcnt lgkmcnt(11)
	global_store_short v[12:13], v81, off
	s_or_b64 exec, exec, s[4:5]
	v_cmp_gt_u32_e32 vcc, s33, v30
	s_and_saveexec_b64 s[4:5], vcc
	s_cbranch_execnz .LBB2087_433
.LBB2087_352:
	s_or_b64 exec, exec, s[4:5]
	v_cmp_gt_u32_e32 vcc, s33, v28
	s_and_saveexec_b64 s[4:5], vcc
	s_cbranch_execz .LBB2087_438
.LBB2087_353:
	v_cmp_ge_u32_e32 vcc, v28, v10
                                        ; implicit-def: $vgpr12_vgpr13
	s_and_saveexec_b64 s[6:7], vcc
	s_xor_b64 s[6:7], exec, s[6:7]
; %bb.354:
	v_xor_b32_e32 v12, 0xffffd7ff, v0
	v_ashrrev_i32_e32 v13, 31, v12
	v_lshl_add_u64 v[12:13], v[6:7], 0, v[12:13]
                                        ; implicit-def: $vgpr28_vgpr29
; %bb.355:
	s_andn2_saveexec_b64 s[6:7], s[6:7]
; %bb.356:
	v_lshl_add_u64 v[12:13], v[2:3], 0, v[28:29]
; %bb.357:
	s_or_b64 exec, exec, s[6:7]
	v_lshl_add_u64 v[12:13], v[12:13], 1, s[2:3]
	s_waitcnt lgkmcnt(9)
	global_store_short v[12:13], v79, off
	s_or_b64 exec, exec, s[4:5]
	v_cmp_gt_u32_e32 vcc, s33, v26
	s_and_saveexec_b64 s[4:5], vcc
	s_cbranch_execnz .LBB2087_439
.LBB2087_358:
	s_or_b64 exec, exec, s[4:5]
	v_cmp_gt_u32_e32 vcc, s33, v24
	s_and_saveexec_b64 s[4:5], vcc
	s_cbranch_execz .LBB2087_444
.LBB2087_359:
	v_cmp_ge_u32_e32 vcc, v24, v10
                                        ; implicit-def: $vgpr12_vgpr13
	s_and_saveexec_b64 s[6:7], vcc
	s_xor_b64 s[6:7], exec, s[6:7]
; %bb.360:
	v_xor_b32_e32 v12, 0xffffd3ff, v0
	v_ashrrev_i32_e32 v13, 31, v12
	v_lshl_add_u64 v[12:13], v[6:7], 0, v[12:13]
                                        ; implicit-def: $vgpr24_vgpr25
; %bb.361:
	s_andn2_saveexec_b64 s[6:7], s[6:7]
; %bb.362:
	v_lshl_add_u64 v[12:13], v[2:3], 0, v[24:25]
; %bb.363:
	s_or_b64 exec, exec, s[6:7]
	v_lshl_add_u64 v[12:13], v[12:13], 1, s[2:3]
	s_waitcnt lgkmcnt(7)
	global_store_short v[12:13], v77, off
	s_or_b64 exec, exec, s[4:5]
	v_cmp_gt_u32_e32 vcc, s33, v22
	s_and_saveexec_b64 s[4:5], vcc
	s_cbranch_execnz .LBB2087_445
.LBB2087_364:
	s_or_b64 exec, exec, s[4:5]
	v_cmp_gt_u32_e32 vcc, s33, v20
	s_and_saveexec_b64 s[4:5], vcc
	s_cbranch_execz .LBB2087_450
.LBB2087_365:
	v_cmp_ge_u32_e32 vcc, v20, v10
                                        ; implicit-def: $vgpr12_vgpr13
	s_and_saveexec_b64 s[6:7], vcc
	s_xor_b64 s[6:7], exec, s[6:7]
; %bb.366:
	v_xor_b32_e32 v12, 0xffffcfff, v0
	v_ashrrev_i32_e32 v13, 31, v12
	v_lshl_add_u64 v[12:13], v[6:7], 0, v[12:13]
                                        ; implicit-def: $vgpr20_vgpr21
; %bb.367:
	s_andn2_saveexec_b64 s[6:7], s[6:7]
; %bb.368:
	v_lshl_add_u64 v[12:13], v[2:3], 0, v[20:21]
; %bb.369:
	s_or_b64 exec, exec, s[6:7]
	v_lshl_add_u64 v[12:13], v[12:13], 1, s[2:3]
	s_waitcnt lgkmcnt(5)
	global_store_short v[12:13], v75, off
	s_or_b64 exec, exec, s[4:5]
	v_cmp_gt_u32_e32 vcc, s33, v18
	s_and_saveexec_b64 s[4:5], vcc
	s_cbranch_execnz .LBB2087_451
.LBB2087_370:
	s_or_b64 exec, exec, s[4:5]
	v_cmp_gt_u32_e32 vcc, s33, v16
	s_and_saveexec_b64 s[4:5], vcc
	s_cbranch_execz .LBB2087_456
.LBB2087_371:
	v_cmp_ge_u32_e32 vcc, v16, v10
                                        ; implicit-def: $vgpr12_vgpr13
	s_and_saveexec_b64 s[6:7], vcc
	s_xor_b64 s[6:7], exec, s[6:7]
; %bb.372:
	v_xor_b32_e32 v12, 0xffffcbff, v0
	v_ashrrev_i32_e32 v13, 31, v12
	v_lshl_add_u64 v[12:13], v[6:7], 0, v[12:13]
                                        ; implicit-def: $vgpr16_vgpr17
; %bb.373:
	s_andn2_saveexec_b64 s[6:7], s[6:7]
; %bb.374:
	v_lshl_add_u64 v[12:13], v[2:3], 0, v[16:17]
; %bb.375:
	s_or_b64 exec, exec, s[6:7]
	v_lshl_add_u64 v[12:13], v[12:13], 1, s[2:3]
	s_waitcnt lgkmcnt(3)
	global_store_short v[12:13], v73, off
	s_or_b64 exec, exec, s[4:5]
	v_cmp_gt_u32_e32 vcc, s33, v14
	s_and_saveexec_b64 s[4:5], vcc
	s_cbranch_execnz .LBB2087_457
.LBB2087_376:
	s_or_b64 exec, exec, s[4:5]
	v_cmp_gt_u32_e32 vcc, s33, v8
	s_and_saveexec_b64 s[4:5], vcc
	s_cbranch_execnz .LBB2087_462
.LBB2087_377:
	s_or_b64 exec, exec, s[4:5]
	v_cmp_gt_u32_e32 vcc, s33, v4
                                        ; implicit-def: $vgpr12_vgpr13
	s_and_saveexec_b64 s[4:5], vcc
	s_cbranch_execz .LBB2087_472
	s_branch .LBB2087_467
.LBB2087_378:
	s_or_b64 exec, exec, s[4:5]
	v_cmp_gt_u32_e32 vcc, s33, v66
	s_and_saveexec_b64 s[4:5], vcc
	s_cbranch_execz .LBB2087_298
.LBB2087_379:
	v_cmp_ge_u32_e32 vcc, v66, v10
                                        ; implicit-def: $vgpr12_vgpr13
	s_and_saveexec_b64 s[6:7], vcc
	s_xor_b64 s[6:7], exec, s[6:7]
; %bb.380:
	v_xor_b32_e32 v12, 0xfffffdff, v0
	v_ashrrev_i32_e32 v13, 31, v12
	v_lshl_add_u64 v[12:13], v[6:7], 0, v[12:13]
                                        ; implicit-def: $vgpr66_vgpr67
; %bb.381:
	s_andn2_saveexec_b64 s[6:7], s[6:7]
; %bb.382:
	v_lshl_add_u64 v[12:13], v[2:3], 0, v[66:67]
; %bb.383:
	s_or_b64 exec, exec, s[6:7]
	v_lshl_add_u64 v[12:13], v[12:13], 1, s[2:3]
	s_waitcnt lgkmcnt(14)
	global_store_short v[12:13], v98, off
	s_or_b64 exec, exec, s[4:5]
	v_cmp_gt_u32_e32 vcc, s33, v64
	s_and_saveexec_b64 s[4:5], vcc
	s_cbranch_execnz .LBB2087_299
.LBB2087_384:
	s_or_b64 exec, exec, s[4:5]
	v_cmp_gt_u32_e32 vcc, s33, v62
	s_and_saveexec_b64 s[4:5], vcc
	s_cbranch_execz .LBB2087_304
.LBB2087_385:
	v_cmp_ge_u32_e32 vcc, v62, v10
                                        ; implicit-def: $vgpr12_vgpr13
	s_and_saveexec_b64 s[6:7], vcc
	s_xor_b64 s[6:7], exec, s[6:7]
; %bb.386:
	v_xor_b32_e32 v12, 0xfffff9ff, v0
	v_ashrrev_i32_e32 v13, 31, v12
	v_lshl_add_u64 v[12:13], v[6:7], 0, v[12:13]
                                        ; implicit-def: $vgpr62_vgpr63
; %bb.387:
	s_andn2_saveexec_b64 s[6:7], s[6:7]
; %bb.388:
	v_lshl_add_u64 v[12:13], v[2:3], 0, v[62:63]
; %bb.389:
	s_or_b64 exec, exec, s[6:7]
	v_lshl_add_u64 v[12:13], v[12:13], 1, s[2:3]
	s_waitcnt lgkmcnt(14)
	global_store_short v[12:13], v96, off
	s_or_b64 exec, exec, s[4:5]
	v_cmp_gt_u32_e32 vcc, s33, v60
	s_and_saveexec_b64 s[4:5], vcc
	s_cbranch_execnz .LBB2087_305
.LBB2087_390:
	s_or_b64 exec, exec, s[4:5]
	v_cmp_gt_u32_e32 vcc, s33, v58
	s_and_saveexec_b64 s[4:5], vcc
	s_cbranch_execz .LBB2087_310
.LBB2087_391:
	v_cmp_ge_u32_e32 vcc, v58, v10
                                        ; implicit-def: $vgpr12_vgpr13
	s_and_saveexec_b64 s[6:7], vcc
	s_xor_b64 s[6:7], exec, s[6:7]
; %bb.392:
	v_xor_b32_e32 v12, 0xfffff5ff, v0
	v_ashrrev_i32_e32 v13, 31, v12
	v_lshl_add_u64 v[12:13], v[6:7], 0, v[12:13]
                                        ; implicit-def: $vgpr58_vgpr59
; %bb.393:
	s_andn2_saveexec_b64 s[6:7], s[6:7]
; %bb.394:
	v_lshl_add_u64 v[12:13], v[2:3], 0, v[58:59]
; %bb.395:
	s_or_b64 exec, exec, s[6:7]
	v_lshl_add_u64 v[12:13], v[12:13], 1, s[2:3]
	s_waitcnt lgkmcnt(14)
	global_store_short v[12:13], v94, off
	s_or_b64 exec, exec, s[4:5]
	v_cmp_gt_u32_e32 vcc, s33, v56
	s_and_saveexec_b64 s[4:5], vcc
	s_cbranch_execnz .LBB2087_311
.LBB2087_396:
	s_or_b64 exec, exec, s[4:5]
	v_cmp_gt_u32_e32 vcc, s33, v54
	s_and_saveexec_b64 s[4:5], vcc
	s_cbranch_execz .LBB2087_316
.LBB2087_397:
	v_cmp_ge_u32_e32 vcc, v54, v10
                                        ; implicit-def: $vgpr12_vgpr13
	s_and_saveexec_b64 s[6:7], vcc
	s_xor_b64 s[6:7], exec, s[6:7]
; %bb.398:
	v_xor_b32_e32 v12, 0xfffff1ff, v0
	v_ashrrev_i32_e32 v13, 31, v12
	v_lshl_add_u64 v[12:13], v[6:7], 0, v[12:13]
                                        ; implicit-def: $vgpr54_vgpr55
; %bb.399:
	s_andn2_saveexec_b64 s[6:7], s[6:7]
; %bb.400:
	v_lshl_add_u64 v[12:13], v[2:3], 0, v[54:55]
; %bb.401:
	s_or_b64 exec, exec, s[6:7]
	v_lshl_add_u64 v[12:13], v[12:13], 1, s[2:3]
	s_waitcnt lgkmcnt(14)
	global_store_short v[12:13], v92, off
	s_or_b64 exec, exec, s[4:5]
	v_cmp_gt_u32_e32 vcc, s33, v52
	s_and_saveexec_b64 s[4:5], vcc
	s_cbranch_execnz .LBB2087_317
.LBB2087_402:
	s_or_b64 exec, exec, s[4:5]
	v_cmp_gt_u32_e32 vcc, s33, v50
	s_and_saveexec_b64 s[4:5], vcc
	s_cbranch_execz .LBB2087_322
.LBB2087_403:
	v_cmp_ge_u32_e32 vcc, v50, v10
                                        ; implicit-def: $vgpr12_vgpr13
	s_and_saveexec_b64 s[6:7], vcc
	s_xor_b64 s[6:7], exec, s[6:7]
; %bb.404:
	v_xor_b32_e32 v12, 0xffffedff, v0
	v_ashrrev_i32_e32 v13, 31, v12
	v_lshl_add_u64 v[12:13], v[6:7], 0, v[12:13]
                                        ; implicit-def: $vgpr50_vgpr51
; %bb.405:
	s_andn2_saveexec_b64 s[6:7], s[6:7]
; %bb.406:
	v_lshl_add_u64 v[12:13], v[2:3], 0, v[50:51]
; %bb.407:
	s_or_b64 exec, exec, s[6:7]
	v_lshl_add_u64 v[12:13], v[12:13], 1, s[2:3]
	s_waitcnt lgkmcnt(14)
	global_store_short v[12:13], v90, off
	s_or_b64 exec, exec, s[4:5]
	v_cmp_gt_u32_e32 vcc, s33, v48
	s_and_saveexec_b64 s[4:5], vcc
	s_cbranch_execnz .LBB2087_323
.LBB2087_408:
	s_or_b64 exec, exec, s[4:5]
	v_cmp_gt_u32_e32 vcc, s33, v46
	s_and_saveexec_b64 s[4:5], vcc
	s_cbranch_execz .LBB2087_328
.LBB2087_409:
	v_cmp_ge_u32_e32 vcc, v46, v10
                                        ; implicit-def: $vgpr12_vgpr13
	s_and_saveexec_b64 s[6:7], vcc
	s_xor_b64 s[6:7], exec, s[6:7]
; %bb.410:
	v_xor_b32_e32 v12, 0xffffe9ff, v0
	v_ashrrev_i32_e32 v13, 31, v12
	v_lshl_add_u64 v[12:13], v[6:7], 0, v[12:13]
                                        ; implicit-def: $vgpr46_vgpr47
; %bb.411:
	s_andn2_saveexec_b64 s[6:7], s[6:7]
; %bb.412:
	v_lshl_add_u64 v[12:13], v[2:3], 0, v[46:47]
; %bb.413:
	s_or_b64 exec, exec, s[6:7]
	v_lshl_add_u64 v[12:13], v[12:13], 1, s[2:3]
	s_waitcnt lgkmcnt(14)
	global_store_short v[12:13], v88, off
	s_or_b64 exec, exec, s[4:5]
	v_cmp_gt_u32_e32 vcc, s33, v44
	s_and_saveexec_b64 s[4:5], vcc
	s_cbranch_execnz .LBB2087_329
.LBB2087_414:
	s_or_b64 exec, exec, s[4:5]
	v_cmp_gt_u32_e32 vcc, s33, v42
	s_and_saveexec_b64 s[4:5], vcc
	s_cbranch_execz .LBB2087_334
.LBB2087_415:
	v_cmp_ge_u32_e32 vcc, v42, v10
                                        ; implicit-def: $vgpr12_vgpr13
	s_and_saveexec_b64 s[6:7], vcc
	s_xor_b64 s[6:7], exec, s[6:7]
; %bb.416:
	v_xor_b32_e32 v12, 0xffffe5ff, v0
	v_ashrrev_i32_e32 v13, 31, v12
	v_lshl_add_u64 v[12:13], v[6:7], 0, v[12:13]
                                        ; implicit-def: $vgpr42_vgpr43
; %bb.417:
	s_andn2_saveexec_b64 s[6:7], s[6:7]
; %bb.418:
	v_lshl_add_u64 v[12:13], v[2:3], 0, v[42:43]
; %bb.419:
	s_or_b64 exec, exec, s[6:7]
	v_lshl_add_u64 v[12:13], v[12:13], 1, s[2:3]
	s_waitcnt lgkmcnt(14)
	global_store_short v[12:13], v86, off
	s_or_b64 exec, exec, s[4:5]
	v_cmp_gt_u32_e32 vcc, s33, v40
	s_and_saveexec_b64 s[4:5], vcc
	s_cbranch_execnz .LBB2087_335
.LBB2087_420:
	s_or_b64 exec, exec, s[4:5]
	v_cmp_gt_u32_e32 vcc, s33, v38
	s_and_saveexec_b64 s[4:5], vcc
	s_cbranch_execz .LBB2087_340
.LBB2087_421:
	v_cmp_ge_u32_e32 vcc, v38, v10
                                        ; implicit-def: $vgpr12_vgpr13
	s_and_saveexec_b64 s[6:7], vcc
	s_xor_b64 s[6:7], exec, s[6:7]
; %bb.422:
	v_xor_b32_e32 v12, 0xffffe1ff, v0
	v_ashrrev_i32_e32 v13, 31, v12
	v_lshl_add_u64 v[12:13], v[6:7], 0, v[12:13]
                                        ; implicit-def: $vgpr38_vgpr39
; %bb.423:
	s_andn2_saveexec_b64 s[6:7], s[6:7]
; %bb.424:
	v_lshl_add_u64 v[12:13], v[2:3], 0, v[38:39]
; %bb.425:
	s_or_b64 exec, exec, s[6:7]
	v_lshl_add_u64 v[12:13], v[12:13], 1, s[2:3]
	s_waitcnt lgkmcnt(14)
	global_store_short v[12:13], v84, off
	s_or_b64 exec, exec, s[4:5]
	v_cmp_gt_u32_e32 vcc, s33, v36
	s_and_saveexec_b64 s[4:5], vcc
	s_cbranch_execnz .LBB2087_341
.LBB2087_426:
	s_or_b64 exec, exec, s[4:5]
	v_cmp_gt_u32_e32 vcc, s33, v34
	s_and_saveexec_b64 s[4:5], vcc
	s_cbranch_execz .LBB2087_346
.LBB2087_427:
	v_cmp_ge_u32_e32 vcc, v34, v10
                                        ; implicit-def: $vgpr12_vgpr13
	s_and_saveexec_b64 s[6:7], vcc
	s_xor_b64 s[6:7], exec, s[6:7]
; %bb.428:
	v_xor_b32_e32 v12, 0xffffddff, v0
	v_ashrrev_i32_e32 v13, 31, v12
	v_lshl_add_u64 v[12:13], v[6:7], 0, v[12:13]
                                        ; implicit-def: $vgpr34_vgpr35
; %bb.429:
	s_andn2_saveexec_b64 s[6:7], s[6:7]
; %bb.430:
	v_lshl_add_u64 v[12:13], v[2:3], 0, v[34:35]
; %bb.431:
	s_or_b64 exec, exec, s[6:7]
	v_lshl_add_u64 v[12:13], v[12:13], 1, s[2:3]
	s_waitcnt lgkmcnt(12)
	global_store_short v[12:13], v82, off
	s_or_b64 exec, exec, s[4:5]
	v_cmp_gt_u32_e32 vcc, s33, v32
	s_and_saveexec_b64 s[4:5], vcc
	s_cbranch_execnz .LBB2087_347
.LBB2087_432:
	s_or_b64 exec, exec, s[4:5]
	v_cmp_gt_u32_e32 vcc, s33, v30
	s_and_saveexec_b64 s[4:5], vcc
	s_cbranch_execz .LBB2087_352
.LBB2087_433:
	v_cmp_ge_u32_e32 vcc, v30, v10
                                        ; implicit-def: $vgpr12_vgpr13
	s_and_saveexec_b64 s[6:7], vcc
	s_xor_b64 s[6:7], exec, s[6:7]
; %bb.434:
	v_xor_b32_e32 v12, 0xffffd9ff, v0
	v_ashrrev_i32_e32 v13, 31, v12
	v_lshl_add_u64 v[12:13], v[6:7], 0, v[12:13]
                                        ; implicit-def: $vgpr30_vgpr31
; %bb.435:
	s_andn2_saveexec_b64 s[6:7], s[6:7]
; %bb.436:
	v_lshl_add_u64 v[12:13], v[2:3], 0, v[30:31]
; %bb.437:
	s_or_b64 exec, exec, s[6:7]
	v_lshl_add_u64 v[12:13], v[12:13], 1, s[2:3]
	s_waitcnt lgkmcnt(10)
	global_store_short v[12:13], v80, off
	s_or_b64 exec, exec, s[4:5]
	v_cmp_gt_u32_e32 vcc, s33, v28
	s_and_saveexec_b64 s[4:5], vcc
	s_cbranch_execnz .LBB2087_353
.LBB2087_438:
	s_or_b64 exec, exec, s[4:5]
	v_cmp_gt_u32_e32 vcc, s33, v26
	s_and_saveexec_b64 s[4:5], vcc
	s_cbranch_execz .LBB2087_358
.LBB2087_439:
	v_cmp_ge_u32_e32 vcc, v26, v10
                                        ; implicit-def: $vgpr12_vgpr13
	s_and_saveexec_b64 s[6:7], vcc
	s_xor_b64 s[6:7], exec, s[6:7]
; %bb.440:
	v_xor_b32_e32 v12, 0xffffd5ff, v0
	v_ashrrev_i32_e32 v13, 31, v12
	v_lshl_add_u64 v[12:13], v[6:7], 0, v[12:13]
                                        ; implicit-def: $vgpr26_vgpr27
; %bb.441:
	s_andn2_saveexec_b64 s[6:7], s[6:7]
; %bb.442:
	v_lshl_add_u64 v[12:13], v[2:3], 0, v[26:27]
; %bb.443:
	s_or_b64 exec, exec, s[6:7]
	v_lshl_add_u64 v[12:13], v[12:13], 1, s[2:3]
	s_waitcnt lgkmcnt(8)
	global_store_short v[12:13], v78, off
	s_or_b64 exec, exec, s[4:5]
	v_cmp_gt_u32_e32 vcc, s33, v24
	s_and_saveexec_b64 s[4:5], vcc
	s_cbranch_execnz .LBB2087_359
.LBB2087_444:
	s_or_b64 exec, exec, s[4:5]
	v_cmp_gt_u32_e32 vcc, s33, v22
	s_and_saveexec_b64 s[4:5], vcc
	s_cbranch_execz .LBB2087_364
.LBB2087_445:
	v_cmp_ge_u32_e32 vcc, v22, v10
                                        ; implicit-def: $vgpr12_vgpr13
	s_and_saveexec_b64 s[6:7], vcc
	s_xor_b64 s[6:7], exec, s[6:7]
; %bb.446:
	v_xor_b32_e32 v12, 0xffffd1ff, v0
	v_ashrrev_i32_e32 v13, 31, v12
	v_lshl_add_u64 v[12:13], v[6:7], 0, v[12:13]
                                        ; implicit-def: $vgpr22_vgpr23
; %bb.447:
	s_andn2_saveexec_b64 s[6:7], s[6:7]
; %bb.448:
	v_lshl_add_u64 v[12:13], v[2:3], 0, v[22:23]
; %bb.449:
	s_or_b64 exec, exec, s[6:7]
	v_lshl_add_u64 v[12:13], v[12:13], 1, s[2:3]
	s_waitcnt lgkmcnt(6)
	global_store_short v[12:13], v76, off
	s_or_b64 exec, exec, s[4:5]
	v_cmp_gt_u32_e32 vcc, s33, v20
	s_and_saveexec_b64 s[4:5], vcc
	s_cbranch_execnz .LBB2087_365
.LBB2087_450:
	s_or_b64 exec, exec, s[4:5]
	v_cmp_gt_u32_e32 vcc, s33, v18
	s_and_saveexec_b64 s[4:5], vcc
	s_cbranch_execz .LBB2087_370
.LBB2087_451:
	v_cmp_ge_u32_e32 vcc, v18, v10
                                        ; implicit-def: $vgpr12_vgpr13
	s_and_saveexec_b64 s[6:7], vcc
	s_xor_b64 s[6:7], exec, s[6:7]
; %bb.452:
	v_xor_b32_e32 v12, 0xffffcdff, v0
	v_ashrrev_i32_e32 v13, 31, v12
	v_lshl_add_u64 v[12:13], v[6:7], 0, v[12:13]
                                        ; implicit-def: $vgpr18_vgpr19
; %bb.453:
	s_andn2_saveexec_b64 s[6:7], s[6:7]
; %bb.454:
	v_lshl_add_u64 v[12:13], v[2:3], 0, v[18:19]
; %bb.455:
	s_or_b64 exec, exec, s[6:7]
	v_lshl_add_u64 v[12:13], v[12:13], 1, s[2:3]
	s_waitcnt lgkmcnt(4)
	global_store_short v[12:13], v74, off
	s_or_b64 exec, exec, s[4:5]
	v_cmp_gt_u32_e32 vcc, s33, v16
	s_and_saveexec_b64 s[4:5], vcc
	s_cbranch_execnz .LBB2087_371
.LBB2087_456:
	s_or_b64 exec, exec, s[4:5]
	v_cmp_gt_u32_e32 vcc, s33, v14
	s_and_saveexec_b64 s[4:5], vcc
	s_cbranch_execz .LBB2087_376
.LBB2087_457:
	v_cmp_ge_u32_e32 vcc, v14, v10
                                        ; implicit-def: $vgpr12_vgpr13
	s_and_saveexec_b64 s[6:7], vcc
	s_xor_b64 s[6:7], exec, s[6:7]
; %bb.458:
	v_xor_b32_e32 v12, 0xffffc9ff, v0
	v_ashrrev_i32_e32 v13, 31, v12
	v_lshl_add_u64 v[12:13], v[6:7], 0, v[12:13]
                                        ; implicit-def: $vgpr14_vgpr15
; %bb.459:
	s_andn2_saveexec_b64 s[6:7], s[6:7]
; %bb.460:
	v_lshl_add_u64 v[12:13], v[2:3], 0, v[14:15]
; %bb.461:
	s_or_b64 exec, exec, s[6:7]
	v_lshl_add_u64 v[12:13], v[12:13], 1, s[2:3]
	s_waitcnt lgkmcnt(2)
	global_store_short v[12:13], v72, off
	s_or_b64 exec, exec, s[4:5]
	v_cmp_gt_u32_e32 vcc, s33, v8
	s_and_saveexec_b64 s[4:5], vcc
	s_cbranch_execz .LBB2087_377
.LBB2087_462:
	v_cmp_ge_u32_e32 vcc, v8, v10
                                        ; implicit-def: $vgpr12_vgpr13
	s_and_saveexec_b64 s[6:7], vcc
	s_xor_b64 s[6:7], exec, s[6:7]
; %bb.463:
	v_xor_b32_e32 v8, 0xffffc7ff, v0
	v_ashrrev_i32_e32 v9, 31, v8
	v_lshl_add_u64 v[12:13], v[6:7], 0, v[8:9]
                                        ; implicit-def: $vgpr8_vgpr9
; %bb.464:
	s_andn2_saveexec_b64 s[6:7], s[6:7]
; %bb.465:
	v_lshl_add_u64 v[12:13], v[2:3], 0, v[8:9]
; %bb.466:
	s_or_b64 exec, exec, s[6:7]
	v_lshl_add_u64 v[8:9], v[12:13], 1, s[2:3]
	s_waitcnt lgkmcnt(1)
	global_store_short v[8:9], v71, off
	s_or_b64 exec, exec, s[4:5]
	v_cmp_gt_u32_e32 vcc, s33, v4
                                        ; implicit-def: $vgpr12_vgpr13
	s_and_saveexec_b64 s[4:5], vcc
	s_cbranch_execz .LBB2087_472
.LBB2087_467:
	v_cmp_ge_u32_e32 vcc, v4, v10
                                        ; implicit-def: $vgpr12_vgpr13
	s_and_saveexec_b64 s[6:7], vcc
	s_xor_b64 s[6:7], exec, s[6:7]
; %bb.468:
	v_xor_b32_e32 v4, 0xffffc5ff, v0
	v_ashrrev_i32_e32 v5, 31, v4
	v_lshl_add_u64 v[12:13], v[6:7], 0, v[4:5]
                                        ; implicit-def: $vgpr4_vgpr5
; %bb.469:
	s_andn2_saveexec_b64 s[6:7], s[6:7]
; %bb.470:
	v_lshl_add_u64 v[12:13], v[2:3], 0, v[4:5]
; %bb.471:
	s_or_b64 exec, exec, s[6:7]
	s_or_b64 s[0:1], s[0:1], exec
.LBB2087_472:
	s_or_b64 exec, exec, s[4:5]
.LBB2087_473:
	s_and_saveexec_b64 s[4:5], s[0:1]
	s_cbranch_execz .LBB2087_475
; %bb.474:
	v_lshl_add_u64 v[4:5], v[12:13], 1, s[2:3]
	s_waitcnt lgkmcnt(0)
	global_store_short v[4:5], v70, off
.LBB2087_475:
	s_or_b64 exec, exec, s[4:5]
	v_cmp_eq_u32_e32 vcc, 0, v0
	s_and_b64 s[0:1], vcc, s[22:23]
	s_and_saveexec_b64 s[2:3], s[0:1]
	s_cbranch_execz .LBB2087_477
; %bb.476:
	v_mov_b32_e32 v4, 0
	v_lshl_add_u64 v[0:1], v[2:3], 0, v[10:11]
	global_store_dwordx2 v4, v[0:1], s[20:21]
.LBB2087_477:
	s_endpgm
	.section	.rodata,"a",@progbits
	.p2align	6, 0x0
	.amdhsa_kernel _ZN7rocprim17ROCPRIM_400000_NS6detail17trampoline_kernelINS0_14default_configENS1_25partition_config_selectorILNS1_17partition_subalgoE2EtNS0_10empty_typeEbEEZZNS1_14partition_implILS5_2ELb0ES3_jN6thrust23THRUST_200600_302600_NS6detail15normal_iteratorINSA_7pointerItNSA_11hip_rocprim3tagENSA_11use_defaultESG_EEEEPS6_NSA_18transform_iteratorI7is_evenItENSC_INSA_10device_ptrItEEEESG_SG_EENS0_5tupleIJPtSJ_EEENSR_IJSJ_SJ_EEES6_PlJS6_EEE10hipError_tPvRmT3_T4_T5_T6_T7_T9_mT8_P12ihipStream_tbDpT10_ENKUlT_T0_E_clISt17integral_constantIbLb1EES1E_IbLb0EEEEDaS1A_S1B_EUlS1A_E_NS1_11comp_targetILNS1_3genE5ELNS1_11target_archE942ELNS1_3gpuE9ELNS1_3repE0EEENS1_30default_config_static_selectorELNS0_4arch9wavefront6targetE1EEEvT1_
		.amdhsa_group_segment_fixed_size 30728
		.amdhsa_private_segment_fixed_size 0
		.amdhsa_kernarg_size 128
		.amdhsa_user_sgpr_count 2
		.amdhsa_user_sgpr_dispatch_ptr 0
		.amdhsa_user_sgpr_queue_ptr 0
		.amdhsa_user_sgpr_kernarg_segment_ptr 1
		.amdhsa_user_sgpr_dispatch_id 0
		.amdhsa_user_sgpr_kernarg_preload_length 0
		.amdhsa_user_sgpr_kernarg_preload_offset 0
		.amdhsa_user_sgpr_private_segment_size 0
		.amdhsa_uses_dynamic_stack 0
		.amdhsa_enable_private_segment 0
		.amdhsa_system_sgpr_workgroup_id_x 1
		.amdhsa_system_sgpr_workgroup_id_y 0
		.amdhsa_system_sgpr_workgroup_id_z 0
		.amdhsa_system_sgpr_workgroup_info 0
		.amdhsa_system_vgpr_workitem_id 0
		.amdhsa_next_free_vgpr 100
		.amdhsa_next_free_sgpr 46
		.amdhsa_accum_offset 100
		.amdhsa_reserve_vcc 1
		.amdhsa_float_round_mode_32 0
		.amdhsa_float_round_mode_16_64 0
		.amdhsa_float_denorm_mode_32 3
		.amdhsa_float_denorm_mode_16_64 3
		.amdhsa_dx10_clamp 1
		.amdhsa_ieee_mode 1
		.amdhsa_fp16_overflow 0
		.amdhsa_tg_split 0
		.amdhsa_exception_fp_ieee_invalid_op 0
		.amdhsa_exception_fp_denorm_src 0
		.amdhsa_exception_fp_ieee_div_zero 0
		.amdhsa_exception_fp_ieee_overflow 0
		.amdhsa_exception_fp_ieee_underflow 0
		.amdhsa_exception_fp_ieee_inexact 0
		.amdhsa_exception_int_div_zero 0
	.end_amdhsa_kernel
	.section	.text._ZN7rocprim17ROCPRIM_400000_NS6detail17trampoline_kernelINS0_14default_configENS1_25partition_config_selectorILNS1_17partition_subalgoE2EtNS0_10empty_typeEbEEZZNS1_14partition_implILS5_2ELb0ES3_jN6thrust23THRUST_200600_302600_NS6detail15normal_iteratorINSA_7pointerItNSA_11hip_rocprim3tagENSA_11use_defaultESG_EEEEPS6_NSA_18transform_iteratorI7is_evenItENSC_INSA_10device_ptrItEEEESG_SG_EENS0_5tupleIJPtSJ_EEENSR_IJSJ_SJ_EEES6_PlJS6_EEE10hipError_tPvRmT3_T4_T5_T6_T7_T9_mT8_P12ihipStream_tbDpT10_ENKUlT_T0_E_clISt17integral_constantIbLb1EES1E_IbLb0EEEEDaS1A_S1B_EUlS1A_E_NS1_11comp_targetILNS1_3genE5ELNS1_11target_archE942ELNS1_3gpuE9ELNS1_3repE0EEENS1_30default_config_static_selectorELNS0_4arch9wavefront6targetE1EEEvT1_,"axG",@progbits,_ZN7rocprim17ROCPRIM_400000_NS6detail17trampoline_kernelINS0_14default_configENS1_25partition_config_selectorILNS1_17partition_subalgoE2EtNS0_10empty_typeEbEEZZNS1_14partition_implILS5_2ELb0ES3_jN6thrust23THRUST_200600_302600_NS6detail15normal_iteratorINSA_7pointerItNSA_11hip_rocprim3tagENSA_11use_defaultESG_EEEEPS6_NSA_18transform_iteratorI7is_evenItENSC_INSA_10device_ptrItEEEESG_SG_EENS0_5tupleIJPtSJ_EEENSR_IJSJ_SJ_EEES6_PlJS6_EEE10hipError_tPvRmT3_T4_T5_T6_T7_T9_mT8_P12ihipStream_tbDpT10_ENKUlT_T0_E_clISt17integral_constantIbLb1EES1E_IbLb0EEEEDaS1A_S1B_EUlS1A_E_NS1_11comp_targetILNS1_3genE5ELNS1_11target_archE942ELNS1_3gpuE9ELNS1_3repE0EEENS1_30default_config_static_selectorELNS0_4arch9wavefront6targetE1EEEvT1_,comdat
.Lfunc_end2087:
	.size	_ZN7rocprim17ROCPRIM_400000_NS6detail17trampoline_kernelINS0_14default_configENS1_25partition_config_selectorILNS1_17partition_subalgoE2EtNS0_10empty_typeEbEEZZNS1_14partition_implILS5_2ELb0ES3_jN6thrust23THRUST_200600_302600_NS6detail15normal_iteratorINSA_7pointerItNSA_11hip_rocprim3tagENSA_11use_defaultESG_EEEEPS6_NSA_18transform_iteratorI7is_evenItENSC_INSA_10device_ptrItEEEESG_SG_EENS0_5tupleIJPtSJ_EEENSR_IJSJ_SJ_EEES6_PlJS6_EEE10hipError_tPvRmT3_T4_T5_T6_T7_T9_mT8_P12ihipStream_tbDpT10_ENKUlT_T0_E_clISt17integral_constantIbLb1EES1E_IbLb0EEEEDaS1A_S1B_EUlS1A_E_NS1_11comp_targetILNS1_3genE5ELNS1_11target_archE942ELNS1_3gpuE9ELNS1_3repE0EEENS1_30default_config_static_selectorELNS0_4arch9wavefront6targetE1EEEvT1_, .Lfunc_end2087-_ZN7rocprim17ROCPRIM_400000_NS6detail17trampoline_kernelINS0_14default_configENS1_25partition_config_selectorILNS1_17partition_subalgoE2EtNS0_10empty_typeEbEEZZNS1_14partition_implILS5_2ELb0ES3_jN6thrust23THRUST_200600_302600_NS6detail15normal_iteratorINSA_7pointerItNSA_11hip_rocprim3tagENSA_11use_defaultESG_EEEEPS6_NSA_18transform_iteratorI7is_evenItENSC_INSA_10device_ptrItEEEESG_SG_EENS0_5tupleIJPtSJ_EEENSR_IJSJ_SJ_EEES6_PlJS6_EEE10hipError_tPvRmT3_T4_T5_T6_T7_T9_mT8_P12ihipStream_tbDpT10_ENKUlT_T0_E_clISt17integral_constantIbLb1EES1E_IbLb0EEEEDaS1A_S1B_EUlS1A_E_NS1_11comp_targetILNS1_3genE5ELNS1_11target_archE942ELNS1_3gpuE9ELNS1_3repE0EEENS1_30default_config_static_selectorELNS0_4arch9wavefront6targetE1EEEvT1_
                                        ; -- End function
	.section	.AMDGPU.csdata,"",@progbits
; Kernel info:
; codeLenInByte = 14708
; NumSgprs: 52
; NumVgprs: 100
; NumAgprs: 0
; TotalNumVgprs: 100
; ScratchSize: 0
; MemoryBound: 0
; FloatMode: 240
; IeeeMode: 1
; LDSByteSize: 30728 bytes/workgroup (compile time only)
; SGPRBlocks: 6
; VGPRBlocks: 12
; NumSGPRsForWavesPerEU: 52
; NumVGPRsForWavesPerEU: 100
; AccumOffset: 100
; Occupancy: 4
; WaveLimiterHint : 1
; COMPUTE_PGM_RSRC2:SCRATCH_EN: 0
; COMPUTE_PGM_RSRC2:USER_SGPR: 2
; COMPUTE_PGM_RSRC2:TRAP_HANDLER: 0
; COMPUTE_PGM_RSRC2:TGID_X_EN: 1
; COMPUTE_PGM_RSRC2:TGID_Y_EN: 0
; COMPUTE_PGM_RSRC2:TGID_Z_EN: 0
; COMPUTE_PGM_RSRC2:TIDIG_COMP_CNT: 0
; COMPUTE_PGM_RSRC3_GFX90A:ACCUM_OFFSET: 24
; COMPUTE_PGM_RSRC3_GFX90A:TG_SPLIT: 0
	.section	.text._ZN7rocprim17ROCPRIM_400000_NS6detail17trampoline_kernelINS0_14default_configENS1_25partition_config_selectorILNS1_17partition_subalgoE2EtNS0_10empty_typeEbEEZZNS1_14partition_implILS5_2ELb0ES3_jN6thrust23THRUST_200600_302600_NS6detail15normal_iteratorINSA_7pointerItNSA_11hip_rocprim3tagENSA_11use_defaultESG_EEEEPS6_NSA_18transform_iteratorI7is_evenItENSC_INSA_10device_ptrItEEEESG_SG_EENS0_5tupleIJPtSJ_EEENSR_IJSJ_SJ_EEES6_PlJS6_EEE10hipError_tPvRmT3_T4_T5_T6_T7_T9_mT8_P12ihipStream_tbDpT10_ENKUlT_T0_E_clISt17integral_constantIbLb1EES1E_IbLb0EEEEDaS1A_S1B_EUlS1A_E_NS1_11comp_targetILNS1_3genE4ELNS1_11target_archE910ELNS1_3gpuE8ELNS1_3repE0EEENS1_30default_config_static_selectorELNS0_4arch9wavefront6targetE1EEEvT1_,"axG",@progbits,_ZN7rocprim17ROCPRIM_400000_NS6detail17trampoline_kernelINS0_14default_configENS1_25partition_config_selectorILNS1_17partition_subalgoE2EtNS0_10empty_typeEbEEZZNS1_14partition_implILS5_2ELb0ES3_jN6thrust23THRUST_200600_302600_NS6detail15normal_iteratorINSA_7pointerItNSA_11hip_rocprim3tagENSA_11use_defaultESG_EEEEPS6_NSA_18transform_iteratorI7is_evenItENSC_INSA_10device_ptrItEEEESG_SG_EENS0_5tupleIJPtSJ_EEENSR_IJSJ_SJ_EEES6_PlJS6_EEE10hipError_tPvRmT3_T4_T5_T6_T7_T9_mT8_P12ihipStream_tbDpT10_ENKUlT_T0_E_clISt17integral_constantIbLb1EES1E_IbLb0EEEEDaS1A_S1B_EUlS1A_E_NS1_11comp_targetILNS1_3genE4ELNS1_11target_archE910ELNS1_3gpuE8ELNS1_3repE0EEENS1_30default_config_static_selectorELNS0_4arch9wavefront6targetE1EEEvT1_,comdat
	.protected	_ZN7rocprim17ROCPRIM_400000_NS6detail17trampoline_kernelINS0_14default_configENS1_25partition_config_selectorILNS1_17partition_subalgoE2EtNS0_10empty_typeEbEEZZNS1_14partition_implILS5_2ELb0ES3_jN6thrust23THRUST_200600_302600_NS6detail15normal_iteratorINSA_7pointerItNSA_11hip_rocprim3tagENSA_11use_defaultESG_EEEEPS6_NSA_18transform_iteratorI7is_evenItENSC_INSA_10device_ptrItEEEESG_SG_EENS0_5tupleIJPtSJ_EEENSR_IJSJ_SJ_EEES6_PlJS6_EEE10hipError_tPvRmT3_T4_T5_T6_T7_T9_mT8_P12ihipStream_tbDpT10_ENKUlT_T0_E_clISt17integral_constantIbLb1EES1E_IbLb0EEEEDaS1A_S1B_EUlS1A_E_NS1_11comp_targetILNS1_3genE4ELNS1_11target_archE910ELNS1_3gpuE8ELNS1_3repE0EEENS1_30default_config_static_selectorELNS0_4arch9wavefront6targetE1EEEvT1_ ; -- Begin function _ZN7rocprim17ROCPRIM_400000_NS6detail17trampoline_kernelINS0_14default_configENS1_25partition_config_selectorILNS1_17partition_subalgoE2EtNS0_10empty_typeEbEEZZNS1_14partition_implILS5_2ELb0ES3_jN6thrust23THRUST_200600_302600_NS6detail15normal_iteratorINSA_7pointerItNSA_11hip_rocprim3tagENSA_11use_defaultESG_EEEEPS6_NSA_18transform_iteratorI7is_evenItENSC_INSA_10device_ptrItEEEESG_SG_EENS0_5tupleIJPtSJ_EEENSR_IJSJ_SJ_EEES6_PlJS6_EEE10hipError_tPvRmT3_T4_T5_T6_T7_T9_mT8_P12ihipStream_tbDpT10_ENKUlT_T0_E_clISt17integral_constantIbLb1EES1E_IbLb0EEEEDaS1A_S1B_EUlS1A_E_NS1_11comp_targetILNS1_3genE4ELNS1_11target_archE910ELNS1_3gpuE8ELNS1_3repE0EEENS1_30default_config_static_selectorELNS0_4arch9wavefront6targetE1EEEvT1_
	.globl	_ZN7rocprim17ROCPRIM_400000_NS6detail17trampoline_kernelINS0_14default_configENS1_25partition_config_selectorILNS1_17partition_subalgoE2EtNS0_10empty_typeEbEEZZNS1_14partition_implILS5_2ELb0ES3_jN6thrust23THRUST_200600_302600_NS6detail15normal_iteratorINSA_7pointerItNSA_11hip_rocprim3tagENSA_11use_defaultESG_EEEEPS6_NSA_18transform_iteratorI7is_evenItENSC_INSA_10device_ptrItEEEESG_SG_EENS0_5tupleIJPtSJ_EEENSR_IJSJ_SJ_EEES6_PlJS6_EEE10hipError_tPvRmT3_T4_T5_T6_T7_T9_mT8_P12ihipStream_tbDpT10_ENKUlT_T0_E_clISt17integral_constantIbLb1EES1E_IbLb0EEEEDaS1A_S1B_EUlS1A_E_NS1_11comp_targetILNS1_3genE4ELNS1_11target_archE910ELNS1_3gpuE8ELNS1_3repE0EEENS1_30default_config_static_selectorELNS0_4arch9wavefront6targetE1EEEvT1_
	.p2align	8
	.type	_ZN7rocprim17ROCPRIM_400000_NS6detail17trampoline_kernelINS0_14default_configENS1_25partition_config_selectorILNS1_17partition_subalgoE2EtNS0_10empty_typeEbEEZZNS1_14partition_implILS5_2ELb0ES3_jN6thrust23THRUST_200600_302600_NS6detail15normal_iteratorINSA_7pointerItNSA_11hip_rocprim3tagENSA_11use_defaultESG_EEEEPS6_NSA_18transform_iteratorI7is_evenItENSC_INSA_10device_ptrItEEEESG_SG_EENS0_5tupleIJPtSJ_EEENSR_IJSJ_SJ_EEES6_PlJS6_EEE10hipError_tPvRmT3_T4_T5_T6_T7_T9_mT8_P12ihipStream_tbDpT10_ENKUlT_T0_E_clISt17integral_constantIbLb1EES1E_IbLb0EEEEDaS1A_S1B_EUlS1A_E_NS1_11comp_targetILNS1_3genE4ELNS1_11target_archE910ELNS1_3gpuE8ELNS1_3repE0EEENS1_30default_config_static_selectorELNS0_4arch9wavefront6targetE1EEEvT1_,@function
_ZN7rocprim17ROCPRIM_400000_NS6detail17trampoline_kernelINS0_14default_configENS1_25partition_config_selectorILNS1_17partition_subalgoE2EtNS0_10empty_typeEbEEZZNS1_14partition_implILS5_2ELb0ES3_jN6thrust23THRUST_200600_302600_NS6detail15normal_iteratorINSA_7pointerItNSA_11hip_rocprim3tagENSA_11use_defaultESG_EEEEPS6_NSA_18transform_iteratorI7is_evenItENSC_INSA_10device_ptrItEEEESG_SG_EENS0_5tupleIJPtSJ_EEENSR_IJSJ_SJ_EEES6_PlJS6_EEE10hipError_tPvRmT3_T4_T5_T6_T7_T9_mT8_P12ihipStream_tbDpT10_ENKUlT_T0_E_clISt17integral_constantIbLb1EES1E_IbLb0EEEEDaS1A_S1B_EUlS1A_E_NS1_11comp_targetILNS1_3genE4ELNS1_11target_archE910ELNS1_3gpuE8ELNS1_3repE0EEENS1_30default_config_static_selectorELNS0_4arch9wavefront6targetE1EEEvT1_: ; @_ZN7rocprim17ROCPRIM_400000_NS6detail17trampoline_kernelINS0_14default_configENS1_25partition_config_selectorILNS1_17partition_subalgoE2EtNS0_10empty_typeEbEEZZNS1_14partition_implILS5_2ELb0ES3_jN6thrust23THRUST_200600_302600_NS6detail15normal_iteratorINSA_7pointerItNSA_11hip_rocprim3tagENSA_11use_defaultESG_EEEEPS6_NSA_18transform_iteratorI7is_evenItENSC_INSA_10device_ptrItEEEESG_SG_EENS0_5tupleIJPtSJ_EEENSR_IJSJ_SJ_EEES6_PlJS6_EEE10hipError_tPvRmT3_T4_T5_T6_T7_T9_mT8_P12ihipStream_tbDpT10_ENKUlT_T0_E_clISt17integral_constantIbLb1EES1E_IbLb0EEEEDaS1A_S1B_EUlS1A_E_NS1_11comp_targetILNS1_3genE4ELNS1_11target_archE910ELNS1_3gpuE8ELNS1_3repE0EEENS1_30default_config_static_selectorELNS0_4arch9wavefront6targetE1EEEvT1_
; %bb.0:
	.section	.rodata,"a",@progbits
	.p2align	6, 0x0
	.amdhsa_kernel _ZN7rocprim17ROCPRIM_400000_NS6detail17trampoline_kernelINS0_14default_configENS1_25partition_config_selectorILNS1_17partition_subalgoE2EtNS0_10empty_typeEbEEZZNS1_14partition_implILS5_2ELb0ES3_jN6thrust23THRUST_200600_302600_NS6detail15normal_iteratorINSA_7pointerItNSA_11hip_rocprim3tagENSA_11use_defaultESG_EEEEPS6_NSA_18transform_iteratorI7is_evenItENSC_INSA_10device_ptrItEEEESG_SG_EENS0_5tupleIJPtSJ_EEENSR_IJSJ_SJ_EEES6_PlJS6_EEE10hipError_tPvRmT3_T4_T5_T6_T7_T9_mT8_P12ihipStream_tbDpT10_ENKUlT_T0_E_clISt17integral_constantIbLb1EES1E_IbLb0EEEEDaS1A_S1B_EUlS1A_E_NS1_11comp_targetILNS1_3genE4ELNS1_11target_archE910ELNS1_3gpuE8ELNS1_3repE0EEENS1_30default_config_static_selectorELNS0_4arch9wavefront6targetE1EEEvT1_
		.amdhsa_group_segment_fixed_size 0
		.amdhsa_private_segment_fixed_size 0
		.amdhsa_kernarg_size 128
		.amdhsa_user_sgpr_count 2
		.amdhsa_user_sgpr_dispatch_ptr 0
		.amdhsa_user_sgpr_queue_ptr 0
		.amdhsa_user_sgpr_kernarg_segment_ptr 1
		.amdhsa_user_sgpr_dispatch_id 0
		.amdhsa_user_sgpr_kernarg_preload_length 0
		.amdhsa_user_sgpr_kernarg_preload_offset 0
		.amdhsa_user_sgpr_private_segment_size 0
		.amdhsa_uses_dynamic_stack 0
		.amdhsa_enable_private_segment 0
		.amdhsa_system_sgpr_workgroup_id_x 1
		.amdhsa_system_sgpr_workgroup_id_y 0
		.amdhsa_system_sgpr_workgroup_id_z 0
		.amdhsa_system_sgpr_workgroup_info 0
		.amdhsa_system_vgpr_workitem_id 0
		.amdhsa_next_free_vgpr 1
		.amdhsa_next_free_sgpr 0
		.amdhsa_accum_offset 4
		.amdhsa_reserve_vcc 0
		.amdhsa_float_round_mode_32 0
		.amdhsa_float_round_mode_16_64 0
		.amdhsa_float_denorm_mode_32 3
		.amdhsa_float_denorm_mode_16_64 3
		.amdhsa_dx10_clamp 1
		.amdhsa_ieee_mode 1
		.amdhsa_fp16_overflow 0
		.amdhsa_tg_split 0
		.amdhsa_exception_fp_ieee_invalid_op 0
		.amdhsa_exception_fp_denorm_src 0
		.amdhsa_exception_fp_ieee_div_zero 0
		.amdhsa_exception_fp_ieee_overflow 0
		.amdhsa_exception_fp_ieee_underflow 0
		.amdhsa_exception_fp_ieee_inexact 0
		.amdhsa_exception_int_div_zero 0
	.end_amdhsa_kernel
	.section	.text._ZN7rocprim17ROCPRIM_400000_NS6detail17trampoline_kernelINS0_14default_configENS1_25partition_config_selectorILNS1_17partition_subalgoE2EtNS0_10empty_typeEbEEZZNS1_14partition_implILS5_2ELb0ES3_jN6thrust23THRUST_200600_302600_NS6detail15normal_iteratorINSA_7pointerItNSA_11hip_rocprim3tagENSA_11use_defaultESG_EEEEPS6_NSA_18transform_iteratorI7is_evenItENSC_INSA_10device_ptrItEEEESG_SG_EENS0_5tupleIJPtSJ_EEENSR_IJSJ_SJ_EEES6_PlJS6_EEE10hipError_tPvRmT3_T4_T5_T6_T7_T9_mT8_P12ihipStream_tbDpT10_ENKUlT_T0_E_clISt17integral_constantIbLb1EES1E_IbLb0EEEEDaS1A_S1B_EUlS1A_E_NS1_11comp_targetILNS1_3genE4ELNS1_11target_archE910ELNS1_3gpuE8ELNS1_3repE0EEENS1_30default_config_static_selectorELNS0_4arch9wavefront6targetE1EEEvT1_,"axG",@progbits,_ZN7rocprim17ROCPRIM_400000_NS6detail17trampoline_kernelINS0_14default_configENS1_25partition_config_selectorILNS1_17partition_subalgoE2EtNS0_10empty_typeEbEEZZNS1_14partition_implILS5_2ELb0ES3_jN6thrust23THRUST_200600_302600_NS6detail15normal_iteratorINSA_7pointerItNSA_11hip_rocprim3tagENSA_11use_defaultESG_EEEEPS6_NSA_18transform_iteratorI7is_evenItENSC_INSA_10device_ptrItEEEESG_SG_EENS0_5tupleIJPtSJ_EEENSR_IJSJ_SJ_EEES6_PlJS6_EEE10hipError_tPvRmT3_T4_T5_T6_T7_T9_mT8_P12ihipStream_tbDpT10_ENKUlT_T0_E_clISt17integral_constantIbLb1EES1E_IbLb0EEEEDaS1A_S1B_EUlS1A_E_NS1_11comp_targetILNS1_3genE4ELNS1_11target_archE910ELNS1_3gpuE8ELNS1_3repE0EEENS1_30default_config_static_selectorELNS0_4arch9wavefront6targetE1EEEvT1_,comdat
.Lfunc_end2088:
	.size	_ZN7rocprim17ROCPRIM_400000_NS6detail17trampoline_kernelINS0_14default_configENS1_25partition_config_selectorILNS1_17partition_subalgoE2EtNS0_10empty_typeEbEEZZNS1_14partition_implILS5_2ELb0ES3_jN6thrust23THRUST_200600_302600_NS6detail15normal_iteratorINSA_7pointerItNSA_11hip_rocprim3tagENSA_11use_defaultESG_EEEEPS6_NSA_18transform_iteratorI7is_evenItENSC_INSA_10device_ptrItEEEESG_SG_EENS0_5tupleIJPtSJ_EEENSR_IJSJ_SJ_EEES6_PlJS6_EEE10hipError_tPvRmT3_T4_T5_T6_T7_T9_mT8_P12ihipStream_tbDpT10_ENKUlT_T0_E_clISt17integral_constantIbLb1EES1E_IbLb0EEEEDaS1A_S1B_EUlS1A_E_NS1_11comp_targetILNS1_3genE4ELNS1_11target_archE910ELNS1_3gpuE8ELNS1_3repE0EEENS1_30default_config_static_selectorELNS0_4arch9wavefront6targetE1EEEvT1_, .Lfunc_end2088-_ZN7rocprim17ROCPRIM_400000_NS6detail17trampoline_kernelINS0_14default_configENS1_25partition_config_selectorILNS1_17partition_subalgoE2EtNS0_10empty_typeEbEEZZNS1_14partition_implILS5_2ELb0ES3_jN6thrust23THRUST_200600_302600_NS6detail15normal_iteratorINSA_7pointerItNSA_11hip_rocprim3tagENSA_11use_defaultESG_EEEEPS6_NSA_18transform_iteratorI7is_evenItENSC_INSA_10device_ptrItEEEESG_SG_EENS0_5tupleIJPtSJ_EEENSR_IJSJ_SJ_EEES6_PlJS6_EEE10hipError_tPvRmT3_T4_T5_T6_T7_T9_mT8_P12ihipStream_tbDpT10_ENKUlT_T0_E_clISt17integral_constantIbLb1EES1E_IbLb0EEEEDaS1A_S1B_EUlS1A_E_NS1_11comp_targetILNS1_3genE4ELNS1_11target_archE910ELNS1_3gpuE8ELNS1_3repE0EEENS1_30default_config_static_selectorELNS0_4arch9wavefront6targetE1EEEvT1_
                                        ; -- End function
	.section	.AMDGPU.csdata,"",@progbits
; Kernel info:
; codeLenInByte = 0
; NumSgprs: 6
; NumVgprs: 0
; NumAgprs: 0
; TotalNumVgprs: 0
; ScratchSize: 0
; MemoryBound: 0
; FloatMode: 240
; IeeeMode: 1
; LDSByteSize: 0 bytes/workgroup (compile time only)
; SGPRBlocks: 0
; VGPRBlocks: 0
; NumSGPRsForWavesPerEU: 6
; NumVGPRsForWavesPerEU: 1
; AccumOffset: 4
; Occupancy: 8
; WaveLimiterHint : 0
; COMPUTE_PGM_RSRC2:SCRATCH_EN: 0
; COMPUTE_PGM_RSRC2:USER_SGPR: 2
; COMPUTE_PGM_RSRC2:TRAP_HANDLER: 0
; COMPUTE_PGM_RSRC2:TGID_X_EN: 1
; COMPUTE_PGM_RSRC2:TGID_Y_EN: 0
; COMPUTE_PGM_RSRC2:TGID_Z_EN: 0
; COMPUTE_PGM_RSRC2:TIDIG_COMP_CNT: 0
; COMPUTE_PGM_RSRC3_GFX90A:ACCUM_OFFSET: 0
; COMPUTE_PGM_RSRC3_GFX90A:TG_SPLIT: 0
	.section	.text._ZN7rocprim17ROCPRIM_400000_NS6detail17trampoline_kernelINS0_14default_configENS1_25partition_config_selectorILNS1_17partition_subalgoE2EtNS0_10empty_typeEbEEZZNS1_14partition_implILS5_2ELb0ES3_jN6thrust23THRUST_200600_302600_NS6detail15normal_iteratorINSA_7pointerItNSA_11hip_rocprim3tagENSA_11use_defaultESG_EEEEPS6_NSA_18transform_iteratorI7is_evenItENSC_INSA_10device_ptrItEEEESG_SG_EENS0_5tupleIJPtSJ_EEENSR_IJSJ_SJ_EEES6_PlJS6_EEE10hipError_tPvRmT3_T4_T5_T6_T7_T9_mT8_P12ihipStream_tbDpT10_ENKUlT_T0_E_clISt17integral_constantIbLb1EES1E_IbLb0EEEEDaS1A_S1B_EUlS1A_E_NS1_11comp_targetILNS1_3genE3ELNS1_11target_archE908ELNS1_3gpuE7ELNS1_3repE0EEENS1_30default_config_static_selectorELNS0_4arch9wavefront6targetE1EEEvT1_,"axG",@progbits,_ZN7rocprim17ROCPRIM_400000_NS6detail17trampoline_kernelINS0_14default_configENS1_25partition_config_selectorILNS1_17partition_subalgoE2EtNS0_10empty_typeEbEEZZNS1_14partition_implILS5_2ELb0ES3_jN6thrust23THRUST_200600_302600_NS6detail15normal_iteratorINSA_7pointerItNSA_11hip_rocprim3tagENSA_11use_defaultESG_EEEEPS6_NSA_18transform_iteratorI7is_evenItENSC_INSA_10device_ptrItEEEESG_SG_EENS0_5tupleIJPtSJ_EEENSR_IJSJ_SJ_EEES6_PlJS6_EEE10hipError_tPvRmT3_T4_T5_T6_T7_T9_mT8_P12ihipStream_tbDpT10_ENKUlT_T0_E_clISt17integral_constantIbLb1EES1E_IbLb0EEEEDaS1A_S1B_EUlS1A_E_NS1_11comp_targetILNS1_3genE3ELNS1_11target_archE908ELNS1_3gpuE7ELNS1_3repE0EEENS1_30default_config_static_selectorELNS0_4arch9wavefront6targetE1EEEvT1_,comdat
	.protected	_ZN7rocprim17ROCPRIM_400000_NS6detail17trampoline_kernelINS0_14default_configENS1_25partition_config_selectorILNS1_17partition_subalgoE2EtNS0_10empty_typeEbEEZZNS1_14partition_implILS5_2ELb0ES3_jN6thrust23THRUST_200600_302600_NS6detail15normal_iteratorINSA_7pointerItNSA_11hip_rocprim3tagENSA_11use_defaultESG_EEEEPS6_NSA_18transform_iteratorI7is_evenItENSC_INSA_10device_ptrItEEEESG_SG_EENS0_5tupleIJPtSJ_EEENSR_IJSJ_SJ_EEES6_PlJS6_EEE10hipError_tPvRmT3_T4_T5_T6_T7_T9_mT8_P12ihipStream_tbDpT10_ENKUlT_T0_E_clISt17integral_constantIbLb1EES1E_IbLb0EEEEDaS1A_S1B_EUlS1A_E_NS1_11comp_targetILNS1_3genE3ELNS1_11target_archE908ELNS1_3gpuE7ELNS1_3repE0EEENS1_30default_config_static_selectorELNS0_4arch9wavefront6targetE1EEEvT1_ ; -- Begin function _ZN7rocprim17ROCPRIM_400000_NS6detail17trampoline_kernelINS0_14default_configENS1_25partition_config_selectorILNS1_17partition_subalgoE2EtNS0_10empty_typeEbEEZZNS1_14partition_implILS5_2ELb0ES3_jN6thrust23THRUST_200600_302600_NS6detail15normal_iteratorINSA_7pointerItNSA_11hip_rocprim3tagENSA_11use_defaultESG_EEEEPS6_NSA_18transform_iteratorI7is_evenItENSC_INSA_10device_ptrItEEEESG_SG_EENS0_5tupleIJPtSJ_EEENSR_IJSJ_SJ_EEES6_PlJS6_EEE10hipError_tPvRmT3_T4_T5_T6_T7_T9_mT8_P12ihipStream_tbDpT10_ENKUlT_T0_E_clISt17integral_constantIbLb1EES1E_IbLb0EEEEDaS1A_S1B_EUlS1A_E_NS1_11comp_targetILNS1_3genE3ELNS1_11target_archE908ELNS1_3gpuE7ELNS1_3repE0EEENS1_30default_config_static_selectorELNS0_4arch9wavefront6targetE1EEEvT1_
	.globl	_ZN7rocprim17ROCPRIM_400000_NS6detail17trampoline_kernelINS0_14default_configENS1_25partition_config_selectorILNS1_17partition_subalgoE2EtNS0_10empty_typeEbEEZZNS1_14partition_implILS5_2ELb0ES3_jN6thrust23THRUST_200600_302600_NS6detail15normal_iteratorINSA_7pointerItNSA_11hip_rocprim3tagENSA_11use_defaultESG_EEEEPS6_NSA_18transform_iteratorI7is_evenItENSC_INSA_10device_ptrItEEEESG_SG_EENS0_5tupleIJPtSJ_EEENSR_IJSJ_SJ_EEES6_PlJS6_EEE10hipError_tPvRmT3_T4_T5_T6_T7_T9_mT8_P12ihipStream_tbDpT10_ENKUlT_T0_E_clISt17integral_constantIbLb1EES1E_IbLb0EEEEDaS1A_S1B_EUlS1A_E_NS1_11comp_targetILNS1_3genE3ELNS1_11target_archE908ELNS1_3gpuE7ELNS1_3repE0EEENS1_30default_config_static_selectorELNS0_4arch9wavefront6targetE1EEEvT1_
	.p2align	8
	.type	_ZN7rocprim17ROCPRIM_400000_NS6detail17trampoline_kernelINS0_14default_configENS1_25partition_config_selectorILNS1_17partition_subalgoE2EtNS0_10empty_typeEbEEZZNS1_14partition_implILS5_2ELb0ES3_jN6thrust23THRUST_200600_302600_NS6detail15normal_iteratorINSA_7pointerItNSA_11hip_rocprim3tagENSA_11use_defaultESG_EEEEPS6_NSA_18transform_iteratorI7is_evenItENSC_INSA_10device_ptrItEEEESG_SG_EENS0_5tupleIJPtSJ_EEENSR_IJSJ_SJ_EEES6_PlJS6_EEE10hipError_tPvRmT3_T4_T5_T6_T7_T9_mT8_P12ihipStream_tbDpT10_ENKUlT_T0_E_clISt17integral_constantIbLb1EES1E_IbLb0EEEEDaS1A_S1B_EUlS1A_E_NS1_11comp_targetILNS1_3genE3ELNS1_11target_archE908ELNS1_3gpuE7ELNS1_3repE0EEENS1_30default_config_static_selectorELNS0_4arch9wavefront6targetE1EEEvT1_,@function
_ZN7rocprim17ROCPRIM_400000_NS6detail17trampoline_kernelINS0_14default_configENS1_25partition_config_selectorILNS1_17partition_subalgoE2EtNS0_10empty_typeEbEEZZNS1_14partition_implILS5_2ELb0ES3_jN6thrust23THRUST_200600_302600_NS6detail15normal_iteratorINSA_7pointerItNSA_11hip_rocprim3tagENSA_11use_defaultESG_EEEEPS6_NSA_18transform_iteratorI7is_evenItENSC_INSA_10device_ptrItEEEESG_SG_EENS0_5tupleIJPtSJ_EEENSR_IJSJ_SJ_EEES6_PlJS6_EEE10hipError_tPvRmT3_T4_T5_T6_T7_T9_mT8_P12ihipStream_tbDpT10_ENKUlT_T0_E_clISt17integral_constantIbLb1EES1E_IbLb0EEEEDaS1A_S1B_EUlS1A_E_NS1_11comp_targetILNS1_3genE3ELNS1_11target_archE908ELNS1_3gpuE7ELNS1_3repE0EEENS1_30default_config_static_selectorELNS0_4arch9wavefront6targetE1EEEvT1_: ; @_ZN7rocprim17ROCPRIM_400000_NS6detail17trampoline_kernelINS0_14default_configENS1_25partition_config_selectorILNS1_17partition_subalgoE2EtNS0_10empty_typeEbEEZZNS1_14partition_implILS5_2ELb0ES3_jN6thrust23THRUST_200600_302600_NS6detail15normal_iteratorINSA_7pointerItNSA_11hip_rocprim3tagENSA_11use_defaultESG_EEEEPS6_NSA_18transform_iteratorI7is_evenItENSC_INSA_10device_ptrItEEEESG_SG_EENS0_5tupleIJPtSJ_EEENSR_IJSJ_SJ_EEES6_PlJS6_EEE10hipError_tPvRmT3_T4_T5_T6_T7_T9_mT8_P12ihipStream_tbDpT10_ENKUlT_T0_E_clISt17integral_constantIbLb1EES1E_IbLb0EEEEDaS1A_S1B_EUlS1A_E_NS1_11comp_targetILNS1_3genE3ELNS1_11target_archE908ELNS1_3gpuE7ELNS1_3repE0EEENS1_30default_config_static_selectorELNS0_4arch9wavefront6targetE1EEEvT1_
; %bb.0:
	.section	.rodata,"a",@progbits
	.p2align	6, 0x0
	.amdhsa_kernel _ZN7rocprim17ROCPRIM_400000_NS6detail17trampoline_kernelINS0_14default_configENS1_25partition_config_selectorILNS1_17partition_subalgoE2EtNS0_10empty_typeEbEEZZNS1_14partition_implILS5_2ELb0ES3_jN6thrust23THRUST_200600_302600_NS6detail15normal_iteratorINSA_7pointerItNSA_11hip_rocprim3tagENSA_11use_defaultESG_EEEEPS6_NSA_18transform_iteratorI7is_evenItENSC_INSA_10device_ptrItEEEESG_SG_EENS0_5tupleIJPtSJ_EEENSR_IJSJ_SJ_EEES6_PlJS6_EEE10hipError_tPvRmT3_T4_T5_T6_T7_T9_mT8_P12ihipStream_tbDpT10_ENKUlT_T0_E_clISt17integral_constantIbLb1EES1E_IbLb0EEEEDaS1A_S1B_EUlS1A_E_NS1_11comp_targetILNS1_3genE3ELNS1_11target_archE908ELNS1_3gpuE7ELNS1_3repE0EEENS1_30default_config_static_selectorELNS0_4arch9wavefront6targetE1EEEvT1_
		.amdhsa_group_segment_fixed_size 0
		.amdhsa_private_segment_fixed_size 0
		.amdhsa_kernarg_size 128
		.amdhsa_user_sgpr_count 2
		.amdhsa_user_sgpr_dispatch_ptr 0
		.amdhsa_user_sgpr_queue_ptr 0
		.amdhsa_user_sgpr_kernarg_segment_ptr 1
		.amdhsa_user_sgpr_dispatch_id 0
		.amdhsa_user_sgpr_kernarg_preload_length 0
		.amdhsa_user_sgpr_kernarg_preload_offset 0
		.amdhsa_user_sgpr_private_segment_size 0
		.amdhsa_uses_dynamic_stack 0
		.amdhsa_enable_private_segment 0
		.amdhsa_system_sgpr_workgroup_id_x 1
		.amdhsa_system_sgpr_workgroup_id_y 0
		.amdhsa_system_sgpr_workgroup_id_z 0
		.amdhsa_system_sgpr_workgroup_info 0
		.amdhsa_system_vgpr_workitem_id 0
		.amdhsa_next_free_vgpr 1
		.amdhsa_next_free_sgpr 0
		.amdhsa_accum_offset 4
		.amdhsa_reserve_vcc 0
		.amdhsa_float_round_mode_32 0
		.amdhsa_float_round_mode_16_64 0
		.amdhsa_float_denorm_mode_32 3
		.amdhsa_float_denorm_mode_16_64 3
		.amdhsa_dx10_clamp 1
		.amdhsa_ieee_mode 1
		.amdhsa_fp16_overflow 0
		.amdhsa_tg_split 0
		.amdhsa_exception_fp_ieee_invalid_op 0
		.amdhsa_exception_fp_denorm_src 0
		.amdhsa_exception_fp_ieee_div_zero 0
		.amdhsa_exception_fp_ieee_overflow 0
		.amdhsa_exception_fp_ieee_underflow 0
		.amdhsa_exception_fp_ieee_inexact 0
		.amdhsa_exception_int_div_zero 0
	.end_amdhsa_kernel
	.section	.text._ZN7rocprim17ROCPRIM_400000_NS6detail17trampoline_kernelINS0_14default_configENS1_25partition_config_selectorILNS1_17partition_subalgoE2EtNS0_10empty_typeEbEEZZNS1_14partition_implILS5_2ELb0ES3_jN6thrust23THRUST_200600_302600_NS6detail15normal_iteratorINSA_7pointerItNSA_11hip_rocprim3tagENSA_11use_defaultESG_EEEEPS6_NSA_18transform_iteratorI7is_evenItENSC_INSA_10device_ptrItEEEESG_SG_EENS0_5tupleIJPtSJ_EEENSR_IJSJ_SJ_EEES6_PlJS6_EEE10hipError_tPvRmT3_T4_T5_T6_T7_T9_mT8_P12ihipStream_tbDpT10_ENKUlT_T0_E_clISt17integral_constantIbLb1EES1E_IbLb0EEEEDaS1A_S1B_EUlS1A_E_NS1_11comp_targetILNS1_3genE3ELNS1_11target_archE908ELNS1_3gpuE7ELNS1_3repE0EEENS1_30default_config_static_selectorELNS0_4arch9wavefront6targetE1EEEvT1_,"axG",@progbits,_ZN7rocprim17ROCPRIM_400000_NS6detail17trampoline_kernelINS0_14default_configENS1_25partition_config_selectorILNS1_17partition_subalgoE2EtNS0_10empty_typeEbEEZZNS1_14partition_implILS5_2ELb0ES3_jN6thrust23THRUST_200600_302600_NS6detail15normal_iteratorINSA_7pointerItNSA_11hip_rocprim3tagENSA_11use_defaultESG_EEEEPS6_NSA_18transform_iteratorI7is_evenItENSC_INSA_10device_ptrItEEEESG_SG_EENS0_5tupleIJPtSJ_EEENSR_IJSJ_SJ_EEES6_PlJS6_EEE10hipError_tPvRmT3_T4_T5_T6_T7_T9_mT8_P12ihipStream_tbDpT10_ENKUlT_T0_E_clISt17integral_constantIbLb1EES1E_IbLb0EEEEDaS1A_S1B_EUlS1A_E_NS1_11comp_targetILNS1_3genE3ELNS1_11target_archE908ELNS1_3gpuE7ELNS1_3repE0EEENS1_30default_config_static_selectorELNS0_4arch9wavefront6targetE1EEEvT1_,comdat
.Lfunc_end2089:
	.size	_ZN7rocprim17ROCPRIM_400000_NS6detail17trampoline_kernelINS0_14default_configENS1_25partition_config_selectorILNS1_17partition_subalgoE2EtNS0_10empty_typeEbEEZZNS1_14partition_implILS5_2ELb0ES3_jN6thrust23THRUST_200600_302600_NS6detail15normal_iteratorINSA_7pointerItNSA_11hip_rocprim3tagENSA_11use_defaultESG_EEEEPS6_NSA_18transform_iteratorI7is_evenItENSC_INSA_10device_ptrItEEEESG_SG_EENS0_5tupleIJPtSJ_EEENSR_IJSJ_SJ_EEES6_PlJS6_EEE10hipError_tPvRmT3_T4_T5_T6_T7_T9_mT8_P12ihipStream_tbDpT10_ENKUlT_T0_E_clISt17integral_constantIbLb1EES1E_IbLb0EEEEDaS1A_S1B_EUlS1A_E_NS1_11comp_targetILNS1_3genE3ELNS1_11target_archE908ELNS1_3gpuE7ELNS1_3repE0EEENS1_30default_config_static_selectorELNS0_4arch9wavefront6targetE1EEEvT1_, .Lfunc_end2089-_ZN7rocprim17ROCPRIM_400000_NS6detail17trampoline_kernelINS0_14default_configENS1_25partition_config_selectorILNS1_17partition_subalgoE2EtNS0_10empty_typeEbEEZZNS1_14partition_implILS5_2ELb0ES3_jN6thrust23THRUST_200600_302600_NS6detail15normal_iteratorINSA_7pointerItNSA_11hip_rocprim3tagENSA_11use_defaultESG_EEEEPS6_NSA_18transform_iteratorI7is_evenItENSC_INSA_10device_ptrItEEEESG_SG_EENS0_5tupleIJPtSJ_EEENSR_IJSJ_SJ_EEES6_PlJS6_EEE10hipError_tPvRmT3_T4_T5_T6_T7_T9_mT8_P12ihipStream_tbDpT10_ENKUlT_T0_E_clISt17integral_constantIbLb1EES1E_IbLb0EEEEDaS1A_S1B_EUlS1A_E_NS1_11comp_targetILNS1_3genE3ELNS1_11target_archE908ELNS1_3gpuE7ELNS1_3repE0EEENS1_30default_config_static_selectorELNS0_4arch9wavefront6targetE1EEEvT1_
                                        ; -- End function
	.section	.AMDGPU.csdata,"",@progbits
; Kernel info:
; codeLenInByte = 0
; NumSgprs: 6
; NumVgprs: 0
; NumAgprs: 0
; TotalNumVgprs: 0
; ScratchSize: 0
; MemoryBound: 0
; FloatMode: 240
; IeeeMode: 1
; LDSByteSize: 0 bytes/workgroup (compile time only)
; SGPRBlocks: 0
; VGPRBlocks: 0
; NumSGPRsForWavesPerEU: 6
; NumVGPRsForWavesPerEU: 1
; AccumOffset: 4
; Occupancy: 8
; WaveLimiterHint : 0
; COMPUTE_PGM_RSRC2:SCRATCH_EN: 0
; COMPUTE_PGM_RSRC2:USER_SGPR: 2
; COMPUTE_PGM_RSRC2:TRAP_HANDLER: 0
; COMPUTE_PGM_RSRC2:TGID_X_EN: 1
; COMPUTE_PGM_RSRC2:TGID_Y_EN: 0
; COMPUTE_PGM_RSRC2:TGID_Z_EN: 0
; COMPUTE_PGM_RSRC2:TIDIG_COMP_CNT: 0
; COMPUTE_PGM_RSRC3_GFX90A:ACCUM_OFFSET: 0
; COMPUTE_PGM_RSRC3_GFX90A:TG_SPLIT: 0
	.section	.text._ZN7rocprim17ROCPRIM_400000_NS6detail17trampoline_kernelINS0_14default_configENS1_25partition_config_selectorILNS1_17partition_subalgoE2EtNS0_10empty_typeEbEEZZNS1_14partition_implILS5_2ELb0ES3_jN6thrust23THRUST_200600_302600_NS6detail15normal_iteratorINSA_7pointerItNSA_11hip_rocprim3tagENSA_11use_defaultESG_EEEEPS6_NSA_18transform_iteratorI7is_evenItENSC_INSA_10device_ptrItEEEESG_SG_EENS0_5tupleIJPtSJ_EEENSR_IJSJ_SJ_EEES6_PlJS6_EEE10hipError_tPvRmT3_T4_T5_T6_T7_T9_mT8_P12ihipStream_tbDpT10_ENKUlT_T0_E_clISt17integral_constantIbLb1EES1E_IbLb0EEEEDaS1A_S1B_EUlS1A_E_NS1_11comp_targetILNS1_3genE2ELNS1_11target_archE906ELNS1_3gpuE6ELNS1_3repE0EEENS1_30default_config_static_selectorELNS0_4arch9wavefront6targetE1EEEvT1_,"axG",@progbits,_ZN7rocprim17ROCPRIM_400000_NS6detail17trampoline_kernelINS0_14default_configENS1_25partition_config_selectorILNS1_17partition_subalgoE2EtNS0_10empty_typeEbEEZZNS1_14partition_implILS5_2ELb0ES3_jN6thrust23THRUST_200600_302600_NS6detail15normal_iteratorINSA_7pointerItNSA_11hip_rocprim3tagENSA_11use_defaultESG_EEEEPS6_NSA_18transform_iteratorI7is_evenItENSC_INSA_10device_ptrItEEEESG_SG_EENS0_5tupleIJPtSJ_EEENSR_IJSJ_SJ_EEES6_PlJS6_EEE10hipError_tPvRmT3_T4_T5_T6_T7_T9_mT8_P12ihipStream_tbDpT10_ENKUlT_T0_E_clISt17integral_constantIbLb1EES1E_IbLb0EEEEDaS1A_S1B_EUlS1A_E_NS1_11comp_targetILNS1_3genE2ELNS1_11target_archE906ELNS1_3gpuE6ELNS1_3repE0EEENS1_30default_config_static_selectorELNS0_4arch9wavefront6targetE1EEEvT1_,comdat
	.protected	_ZN7rocprim17ROCPRIM_400000_NS6detail17trampoline_kernelINS0_14default_configENS1_25partition_config_selectorILNS1_17partition_subalgoE2EtNS0_10empty_typeEbEEZZNS1_14partition_implILS5_2ELb0ES3_jN6thrust23THRUST_200600_302600_NS6detail15normal_iteratorINSA_7pointerItNSA_11hip_rocprim3tagENSA_11use_defaultESG_EEEEPS6_NSA_18transform_iteratorI7is_evenItENSC_INSA_10device_ptrItEEEESG_SG_EENS0_5tupleIJPtSJ_EEENSR_IJSJ_SJ_EEES6_PlJS6_EEE10hipError_tPvRmT3_T4_T5_T6_T7_T9_mT8_P12ihipStream_tbDpT10_ENKUlT_T0_E_clISt17integral_constantIbLb1EES1E_IbLb0EEEEDaS1A_S1B_EUlS1A_E_NS1_11comp_targetILNS1_3genE2ELNS1_11target_archE906ELNS1_3gpuE6ELNS1_3repE0EEENS1_30default_config_static_selectorELNS0_4arch9wavefront6targetE1EEEvT1_ ; -- Begin function _ZN7rocprim17ROCPRIM_400000_NS6detail17trampoline_kernelINS0_14default_configENS1_25partition_config_selectorILNS1_17partition_subalgoE2EtNS0_10empty_typeEbEEZZNS1_14partition_implILS5_2ELb0ES3_jN6thrust23THRUST_200600_302600_NS6detail15normal_iteratorINSA_7pointerItNSA_11hip_rocprim3tagENSA_11use_defaultESG_EEEEPS6_NSA_18transform_iteratorI7is_evenItENSC_INSA_10device_ptrItEEEESG_SG_EENS0_5tupleIJPtSJ_EEENSR_IJSJ_SJ_EEES6_PlJS6_EEE10hipError_tPvRmT3_T4_T5_T6_T7_T9_mT8_P12ihipStream_tbDpT10_ENKUlT_T0_E_clISt17integral_constantIbLb1EES1E_IbLb0EEEEDaS1A_S1B_EUlS1A_E_NS1_11comp_targetILNS1_3genE2ELNS1_11target_archE906ELNS1_3gpuE6ELNS1_3repE0EEENS1_30default_config_static_selectorELNS0_4arch9wavefront6targetE1EEEvT1_
	.globl	_ZN7rocprim17ROCPRIM_400000_NS6detail17trampoline_kernelINS0_14default_configENS1_25partition_config_selectorILNS1_17partition_subalgoE2EtNS0_10empty_typeEbEEZZNS1_14partition_implILS5_2ELb0ES3_jN6thrust23THRUST_200600_302600_NS6detail15normal_iteratorINSA_7pointerItNSA_11hip_rocprim3tagENSA_11use_defaultESG_EEEEPS6_NSA_18transform_iteratorI7is_evenItENSC_INSA_10device_ptrItEEEESG_SG_EENS0_5tupleIJPtSJ_EEENSR_IJSJ_SJ_EEES6_PlJS6_EEE10hipError_tPvRmT3_T4_T5_T6_T7_T9_mT8_P12ihipStream_tbDpT10_ENKUlT_T0_E_clISt17integral_constantIbLb1EES1E_IbLb0EEEEDaS1A_S1B_EUlS1A_E_NS1_11comp_targetILNS1_3genE2ELNS1_11target_archE906ELNS1_3gpuE6ELNS1_3repE0EEENS1_30default_config_static_selectorELNS0_4arch9wavefront6targetE1EEEvT1_
	.p2align	8
	.type	_ZN7rocprim17ROCPRIM_400000_NS6detail17trampoline_kernelINS0_14default_configENS1_25partition_config_selectorILNS1_17partition_subalgoE2EtNS0_10empty_typeEbEEZZNS1_14partition_implILS5_2ELb0ES3_jN6thrust23THRUST_200600_302600_NS6detail15normal_iteratorINSA_7pointerItNSA_11hip_rocprim3tagENSA_11use_defaultESG_EEEEPS6_NSA_18transform_iteratorI7is_evenItENSC_INSA_10device_ptrItEEEESG_SG_EENS0_5tupleIJPtSJ_EEENSR_IJSJ_SJ_EEES6_PlJS6_EEE10hipError_tPvRmT3_T4_T5_T6_T7_T9_mT8_P12ihipStream_tbDpT10_ENKUlT_T0_E_clISt17integral_constantIbLb1EES1E_IbLb0EEEEDaS1A_S1B_EUlS1A_E_NS1_11comp_targetILNS1_3genE2ELNS1_11target_archE906ELNS1_3gpuE6ELNS1_3repE0EEENS1_30default_config_static_selectorELNS0_4arch9wavefront6targetE1EEEvT1_,@function
_ZN7rocprim17ROCPRIM_400000_NS6detail17trampoline_kernelINS0_14default_configENS1_25partition_config_selectorILNS1_17partition_subalgoE2EtNS0_10empty_typeEbEEZZNS1_14partition_implILS5_2ELb0ES3_jN6thrust23THRUST_200600_302600_NS6detail15normal_iteratorINSA_7pointerItNSA_11hip_rocprim3tagENSA_11use_defaultESG_EEEEPS6_NSA_18transform_iteratorI7is_evenItENSC_INSA_10device_ptrItEEEESG_SG_EENS0_5tupleIJPtSJ_EEENSR_IJSJ_SJ_EEES6_PlJS6_EEE10hipError_tPvRmT3_T4_T5_T6_T7_T9_mT8_P12ihipStream_tbDpT10_ENKUlT_T0_E_clISt17integral_constantIbLb1EES1E_IbLb0EEEEDaS1A_S1B_EUlS1A_E_NS1_11comp_targetILNS1_3genE2ELNS1_11target_archE906ELNS1_3gpuE6ELNS1_3repE0EEENS1_30default_config_static_selectorELNS0_4arch9wavefront6targetE1EEEvT1_: ; @_ZN7rocprim17ROCPRIM_400000_NS6detail17trampoline_kernelINS0_14default_configENS1_25partition_config_selectorILNS1_17partition_subalgoE2EtNS0_10empty_typeEbEEZZNS1_14partition_implILS5_2ELb0ES3_jN6thrust23THRUST_200600_302600_NS6detail15normal_iteratorINSA_7pointerItNSA_11hip_rocprim3tagENSA_11use_defaultESG_EEEEPS6_NSA_18transform_iteratorI7is_evenItENSC_INSA_10device_ptrItEEEESG_SG_EENS0_5tupleIJPtSJ_EEENSR_IJSJ_SJ_EEES6_PlJS6_EEE10hipError_tPvRmT3_T4_T5_T6_T7_T9_mT8_P12ihipStream_tbDpT10_ENKUlT_T0_E_clISt17integral_constantIbLb1EES1E_IbLb0EEEEDaS1A_S1B_EUlS1A_E_NS1_11comp_targetILNS1_3genE2ELNS1_11target_archE906ELNS1_3gpuE6ELNS1_3repE0EEENS1_30default_config_static_selectorELNS0_4arch9wavefront6targetE1EEEvT1_
; %bb.0:
	.section	.rodata,"a",@progbits
	.p2align	6, 0x0
	.amdhsa_kernel _ZN7rocprim17ROCPRIM_400000_NS6detail17trampoline_kernelINS0_14default_configENS1_25partition_config_selectorILNS1_17partition_subalgoE2EtNS0_10empty_typeEbEEZZNS1_14partition_implILS5_2ELb0ES3_jN6thrust23THRUST_200600_302600_NS6detail15normal_iteratorINSA_7pointerItNSA_11hip_rocprim3tagENSA_11use_defaultESG_EEEEPS6_NSA_18transform_iteratorI7is_evenItENSC_INSA_10device_ptrItEEEESG_SG_EENS0_5tupleIJPtSJ_EEENSR_IJSJ_SJ_EEES6_PlJS6_EEE10hipError_tPvRmT3_T4_T5_T6_T7_T9_mT8_P12ihipStream_tbDpT10_ENKUlT_T0_E_clISt17integral_constantIbLb1EES1E_IbLb0EEEEDaS1A_S1B_EUlS1A_E_NS1_11comp_targetILNS1_3genE2ELNS1_11target_archE906ELNS1_3gpuE6ELNS1_3repE0EEENS1_30default_config_static_selectorELNS0_4arch9wavefront6targetE1EEEvT1_
		.amdhsa_group_segment_fixed_size 0
		.amdhsa_private_segment_fixed_size 0
		.amdhsa_kernarg_size 128
		.amdhsa_user_sgpr_count 2
		.amdhsa_user_sgpr_dispatch_ptr 0
		.amdhsa_user_sgpr_queue_ptr 0
		.amdhsa_user_sgpr_kernarg_segment_ptr 1
		.amdhsa_user_sgpr_dispatch_id 0
		.amdhsa_user_sgpr_kernarg_preload_length 0
		.amdhsa_user_sgpr_kernarg_preload_offset 0
		.amdhsa_user_sgpr_private_segment_size 0
		.amdhsa_uses_dynamic_stack 0
		.amdhsa_enable_private_segment 0
		.amdhsa_system_sgpr_workgroup_id_x 1
		.amdhsa_system_sgpr_workgroup_id_y 0
		.amdhsa_system_sgpr_workgroup_id_z 0
		.amdhsa_system_sgpr_workgroup_info 0
		.amdhsa_system_vgpr_workitem_id 0
		.amdhsa_next_free_vgpr 1
		.amdhsa_next_free_sgpr 0
		.amdhsa_accum_offset 4
		.amdhsa_reserve_vcc 0
		.amdhsa_float_round_mode_32 0
		.amdhsa_float_round_mode_16_64 0
		.amdhsa_float_denorm_mode_32 3
		.amdhsa_float_denorm_mode_16_64 3
		.amdhsa_dx10_clamp 1
		.amdhsa_ieee_mode 1
		.amdhsa_fp16_overflow 0
		.amdhsa_tg_split 0
		.amdhsa_exception_fp_ieee_invalid_op 0
		.amdhsa_exception_fp_denorm_src 0
		.amdhsa_exception_fp_ieee_div_zero 0
		.amdhsa_exception_fp_ieee_overflow 0
		.amdhsa_exception_fp_ieee_underflow 0
		.amdhsa_exception_fp_ieee_inexact 0
		.amdhsa_exception_int_div_zero 0
	.end_amdhsa_kernel
	.section	.text._ZN7rocprim17ROCPRIM_400000_NS6detail17trampoline_kernelINS0_14default_configENS1_25partition_config_selectorILNS1_17partition_subalgoE2EtNS0_10empty_typeEbEEZZNS1_14partition_implILS5_2ELb0ES3_jN6thrust23THRUST_200600_302600_NS6detail15normal_iteratorINSA_7pointerItNSA_11hip_rocprim3tagENSA_11use_defaultESG_EEEEPS6_NSA_18transform_iteratorI7is_evenItENSC_INSA_10device_ptrItEEEESG_SG_EENS0_5tupleIJPtSJ_EEENSR_IJSJ_SJ_EEES6_PlJS6_EEE10hipError_tPvRmT3_T4_T5_T6_T7_T9_mT8_P12ihipStream_tbDpT10_ENKUlT_T0_E_clISt17integral_constantIbLb1EES1E_IbLb0EEEEDaS1A_S1B_EUlS1A_E_NS1_11comp_targetILNS1_3genE2ELNS1_11target_archE906ELNS1_3gpuE6ELNS1_3repE0EEENS1_30default_config_static_selectorELNS0_4arch9wavefront6targetE1EEEvT1_,"axG",@progbits,_ZN7rocprim17ROCPRIM_400000_NS6detail17trampoline_kernelINS0_14default_configENS1_25partition_config_selectorILNS1_17partition_subalgoE2EtNS0_10empty_typeEbEEZZNS1_14partition_implILS5_2ELb0ES3_jN6thrust23THRUST_200600_302600_NS6detail15normal_iteratorINSA_7pointerItNSA_11hip_rocprim3tagENSA_11use_defaultESG_EEEEPS6_NSA_18transform_iteratorI7is_evenItENSC_INSA_10device_ptrItEEEESG_SG_EENS0_5tupleIJPtSJ_EEENSR_IJSJ_SJ_EEES6_PlJS6_EEE10hipError_tPvRmT3_T4_T5_T6_T7_T9_mT8_P12ihipStream_tbDpT10_ENKUlT_T0_E_clISt17integral_constantIbLb1EES1E_IbLb0EEEEDaS1A_S1B_EUlS1A_E_NS1_11comp_targetILNS1_3genE2ELNS1_11target_archE906ELNS1_3gpuE6ELNS1_3repE0EEENS1_30default_config_static_selectorELNS0_4arch9wavefront6targetE1EEEvT1_,comdat
.Lfunc_end2090:
	.size	_ZN7rocprim17ROCPRIM_400000_NS6detail17trampoline_kernelINS0_14default_configENS1_25partition_config_selectorILNS1_17partition_subalgoE2EtNS0_10empty_typeEbEEZZNS1_14partition_implILS5_2ELb0ES3_jN6thrust23THRUST_200600_302600_NS6detail15normal_iteratorINSA_7pointerItNSA_11hip_rocprim3tagENSA_11use_defaultESG_EEEEPS6_NSA_18transform_iteratorI7is_evenItENSC_INSA_10device_ptrItEEEESG_SG_EENS0_5tupleIJPtSJ_EEENSR_IJSJ_SJ_EEES6_PlJS6_EEE10hipError_tPvRmT3_T4_T5_T6_T7_T9_mT8_P12ihipStream_tbDpT10_ENKUlT_T0_E_clISt17integral_constantIbLb1EES1E_IbLb0EEEEDaS1A_S1B_EUlS1A_E_NS1_11comp_targetILNS1_3genE2ELNS1_11target_archE906ELNS1_3gpuE6ELNS1_3repE0EEENS1_30default_config_static_selectorELNS0_4arch9wavefront6targetE1EEEvT1_, .Lfunc_end2090-_ZN7rocprim17ROCPRIM_400000_NS6detail17trampoline_kernelINS0_14default_configENS1_25partition_config_selectorILNS1_17partition_subalgoE2EtNS0_10empty_typeEbEEZZNS1_14partition_implILS5_2ELb0ES3_jN6thrust23THRUST_200600_302600_NS6detail15normal_iteratorINSA_7pointerItNSA_11hip_rocprim3tagENSA_11use_defaultESG_EEEEPS6_NSA_18transform_iteratorI7is_evenItENSC_INSA_10device_ptrItEEEESG_SG_EENS0_5tupleIJPtSJ_EEENSR_IJSJ_SJ_EEES6_PlJS6_EEE10hipError_tPvRmT3_T4_T5_T6_T7_T9_mT8_P12ihipStream_tbDpT10_ENKUlT_T0_E_clISt17integral_constantIbLb1EES1E_IbLb0EEEEDaS1A_S1B_EUlS1A_E_NS1_11comp_targetILNS1_3genE2ELNS1_11target_archE906ELNS1_3gpuE6ELNS1_3repE0EEENS1_30default_config_static_selectorELNS0_4arch9wavefront6targetE1EEEvT1_
                                        ; -- End function
	.section	.AMDGPU.csdata,"",@progbits
; Kernel info:
; codeLenInByte = 0
; NumSgprs: 6
; NumVgprs: 0
; NumAgprs: 0
; TotalNumVgprs: 0
; ScratchSize: 0
; MemoryBound: 0
; FloatMode: 240
; IeeeMode: 1
; LDSByteSize: 0 bytes/workgroup (compile time only)
; SGPRBlocks: 0
; VGPRBlocks: 0
; NumSGPRsForWavesPerEU: 6
; NumVGPRsForWavesPerEU: 1
; AccumOffset: 4
; Occupancy: 8
; WaveLimiterHint : 0
; COMPUTE_PGM_RSRC2:SCRATCH_EN: 0
; COMPUTE_PGM_RSRC2:USER_SGPR: 2
; COMPUTE_PGM_RSRC2:TRAP_HANDLER: 0
; COMPUTE_PGM_RSRC2:TGID_X_EN: 1
; COMPUTE_PGM_RSRC2:TGID_Y_EN: 0
; COMPUTE_PGM_RSRC2:TGID_Z_EN: 0
; COMPUTE_PGM_RSRC2:TIDIG_COMP_CNT: 0
; COMPUTE_PGM_RSRC3_GFX90A:ACCUM_OFFSET: 0
; COMPUTE_PGM_RSRC3_GFX90A:TG_SPLIT: 0
	.section	.text._ZN7rocprim17ROCPRIM_400000_NS6detail17trampoline_kernelINS0_14default_configENS1_25partition_config_selectorILNS1_17partition_subalgoE2EtNS0_10empty_typeEbEEZZNS1_14partition_implILS5_2ELb0ES3_jN6thrust23THRUST_200600_302600_NS6detail15normal_iteratorINSA_7pointerItNSA_11hip_rocprim3tagENSA_11use_defaultESG_EEEEPS6_NSA_18transform_iteratorI7is_evenItENSC_INSA_10device_ptrItEEEESG_SG_EENS0_5tupleIJPtSJ_EEENSR_IJSJ_SJ_EEES6_PlJS6_EEE10hipError_tPvRmT3_T4_T5_T6_T7_T9_mT8_P12ihipStream_tbDpT10_ENKUlT_T0_E_clISt17integral_constantIbLb1EES1E_IbLb0EEEEDaS1A_S1B_EUlS1A_E_NS1_11comp_targetILNS1_3genE10ELNS1_11target_archE1200ELNS1_3gpuE4ELNS1_3repE0EEENS1_30default_config_static_selectorELNS0_4arch9wavefront6targetE1EEEvT1_,"axG",@progbits,_ZN7rocprim17ROCPRIM_400000_NS6detail17trampoline_kernelINS0_14default_configENS1_25partition_config_selectorILNS1_17partition_subalgoE2EtNS0_10empty_typeEbEEZZNS1_14partition_implILS5_2ELb0ES3_jN6thrust23THRUST_200600_302600_NS6detail15normal_iteratorINSA_7pointerItNSA_11hip_rocprim3tagENSA_11use_defaultESG_EEEEPS6_NSA_18transform_iteratorI7is_evenItENSC_INSA_10device_ptrItEEEESG_SG_EENS0_5tupleIJPtSJ_EEENSR_IJSJ_SJ_EEES6_PlJS6_EEE10hipError_tPvRmT3_T4_T5_T6_T7_T9_mT8_P12ihipStream_tbDpT10_ENKUlT_T0_E_clISt17integral_constantIbLb1EES1E_IbLb0EEEEDaS1A_S1B_EUlS1A_E_NS1_11comp_targetILNS1_3genE10ELNS1_11target_archE1200ELNS1_3gpuE4ELNS1_3repE0EEENS1_30default_config_static_selectorELNS0_4arch9wavefront6targetE1EEEvT1_,comdat
	.protected	_ZN7rocprim17ROCPRIM_400000_NS6detail17trampoline_kernelINS0_14default_configENS1_25partition_config_selectorILNS1_17partition_subalgoE2EtNS0_10empty_typeEbEEZZNS1_14partition_implILS5_2ELb0ES3_jN6thrust23THRUST_200600_302600_NS6detail15normal_iteratorINSA_7pointerItNSA_11hip_rocprim3tagENSA_11use_defaultESG_EEEEPS6_NSA_18transform_iteratorI7is_evenItENSC_INSA_10device_ptrItEEEESG_SG_EENS0_5tupleIJPtSJ_EEENSR_IJSJ_SJ_EEES6_PlJS6_EEE10hipError_tPvRmT3_T4_T5_T6_T7_T9_mT8_P12ihipStream_tbDpT10_ENKUlT_T0_E_clISt17integral_constantIbLb1EES1E_IbLb0EEEEDaS1A_S1B_EUlS1A_E_NS1_11comp_targetILNS1_3genE10ELNS1_11target_archE1200ELNS1_3gpuE4ELNS1_3repE0EEENS1_30default_config_static_selectorELNS0_4arch9wavefront6targetE1EEEvT1_ ; -- Begin function _ZN7rocprim17ROCPRIM_400000_NS6detail17trampoline_kernelINS0_14default_configENS1_25partition_config_selectorILNS1_17partition_subalgoE2EtNS0_10empty_typeEbEEZZNS1_14partition_implILS5_2ELb0ES3_jN6thrust23THRUST_200600_302600_NS6detail15normal_iteratorINSA_7pointerItNSA_11hip_rocprim3tagENSA_11use_defaultESG_EEEEPS6_NSA_18transform_iteratorI7is_evenItENSC_INSA_10device_ptrItEEEESG_SG_EENS0_5tupleIJPtSJ_EEENSR_IJSJ_SJ_EEES6_PlJS6_EEE10hipError_tPvRmT3_T4_T5_T6_T7_T9_mT8_P12ihipStream_tbDpT10_ENKUlT_T0_E_clISt17integral_constantIbLb1EES1E_IbLb0EEEEDaS1A_S1B_EUlS1A_E_NS1_11comp_targetILNS1_3genE10ELNS1_11target_archE1200ELNS1_3gpuE4ELNS1_3repE0EEENS1_30default_config_static_selectorELNS0_4arch9wavefront6targetE1EEEvT1_
	.globl	_ZN7rocprim17ROCPRIM_400000_NS6detail17trampoline_kernelINS0_14default_configENS1_25partition_config_selectorILNS1_17partition_subalgoE2EtNS0_10empty_typeEbEEZZNS1_14partition_implILS5_2ELb0ES3_jN6thrust23THRUST_200600_302600_NS6detail15normal_iteratorINSA_7pointerItNSA_11hip_rocprim3tagENSA_11use_defaultESG_EEEEPS6_NSA_18transform_iteratorI7is_evenItENSC_INSA_10device_ptrItEEEESG_SG_EENS0_5tupleIJPtSJ_EEENSR_IJSJ_SJ_EEES6_PlJS6_EEE10hipError_tPvRmT3_T4_T5_T6_T7_T9_mT8_P12ihipStream_tbDpT10_ENKUlT_T0_E_clISt17integral_constantIbLb1EES1E_IbLb0EEEEDaS1A_S1B_EUlS1A_E_NS1_11comp_targetILNS1_3genE10ELNS1_11target_archE1200ELNS1_3gpuE4ELNS1_3repE0EEENS1_30default_config_static_selectorELNS0_4arch9wavefront6targetE1EEEvT1_
	.p2align	8
	.type	_ZN7rocprim17ROCPRIM_400000_NS6detail17trampoline_kernelINS0_14default_configENS1_25partition_config_selectorILNS1_17partition_subalgoE2EtNS0_10empty_typeEbEEZZNS1_14partition_implILS5_2ELb0ES3_jN6thrust23THRUST_200600_302600_NS6detail15normal_iteratorINSA_7pointerItNSA_11hip_rocprim3tagENSA_11use_defaultESG_EEEEPS6_NSA_18transform_iteratorI7is_evenItENSC_INSA_10device_ptrItEEEESG_SG_EENS0_5tupleIJPtSJ_EEENSR_IJSJ_SJ_EEES6_PlJS6_EEE10hipError_tPvRmT3_T4_T5_T6_T7_T9_mT8_P12ihipStream_tbDpT10_ENKUlT_T0_E_clISt17integral_constantIbLb1EES1E_IbLb0EEEEDaS1A_S1B_EUlS1A_E_NS1_11comp_targetILNS1_3genE10ELNS1_11target_archE1200ELNS1_3gpuE4ELNS1_3repE0EEENS1_30default_config_static_selectorELNS0_4arch9wavefront6targetE1EEEvT1_,@function
_ZN7rocprim17ROCPRIM_400000_NS6detail17trampoline_kernelINS0_14default_configENS1_25partition_config_selectorILNS1_17partition_subalgoE2EtNS0_10empty_typeEbEEZZNS1_14partition_implILS5_2ELb0ES3_jN6thrust23THRUST_200600_302600_NS6detail15normal_iteratorINSA_7pointerItNSA_11hip_rocprim3tagENSA_11use_defaultESG_EEEEPS6_NSA_18transform_iteratorI7is_evenItENSC_INSA_10device_ptrItEEEESG_SG_EENS0_5tupleIJPtSJ_EEENSR_IJSJ_SJ_EEES6_PlJS6_EEE10hipError_tPvRmT3_T4_T5_T6_T7_T9_mT8_P12ihipStream_tbDpT10_ENKUlT_T0_E_clISt17integral_constantIbLb1EES1E_IbLb0EEEEDaS1A_S1B_EUlS1A_E_NS1_11comp_targetILNS1_3genE10ELNS1_11target_archE1200ELNS1_3gpuE4ELNS1_3repE0EEENS1_30default_config_static_selectorELNS0_4arch9wavefront6targetE1EEEvT1_: ; @_ZN7rocprim17ROCPRIM_400000_NS6detail17trampoline_kernelINS0_14default_configENS1_25partition_config_selectorILNS1_17partition_subalgoE2EtNS0_10empty_typeEbEEZZNS1_14partition_implILS5_2ELb0ES3_jN6thrust23THRUST_200600_302600_NS6detail15normal_iteratorINSA_7pointerItNSA_11hip_rocprim3tagENSA_11use_defaultESG_EEEEPS6_NSA_18transform_iteratorI7is_evenItENSC_INSA_10device_ptrItEEEESG_SG_EENS0_5tupleIJPtSJ_EEENSR_IJSJ_SJ_EEES6_PlJS6_EEE10hipError_tPvRmT3_T4_T5_T6_T7_T9_mT8_P12ihipStream_tbDpT10_ENKUlT_T0_E_clISt17integral_constantIbLb1EES1E_IbLb0EEEEDaS1A_S1B_EUlS1A_E_NS1_11comp_targetILNS1_3genE10ELNS1_11target_archE1200ELNS1_3gpuE4ELNS1_3repE0EEENS1_30default_config_static_selectorELNS0_4arch9wavefront6targetE1EEEvT1_
; %bb.0:
	.section	.rodata,"a",@progbits
	.p2align	6, 0x0
	.amdhsa_kernel _ZN7rocprim17ROCPRIM_400000_NS6detail17trampoline_kernelINS0_14default_configENS1_25partition_config_selectorILNS1_17partition_subalgoE2EtNS0_10empty_typeEbEEZZNS1_14partition_implILS5_2ELb0ES3_jN6thrust23THRUST_200600_302600_NS6detail15normal_iteratorINSA_7pointerItNSA_11hip_rocprim3tagENSA_11use_defaultESG_EEEEPS6_NSA_18transform_iteratorI7is_evenItENSC_INSA_10device_ptrItEEEESG_SG_EENS0_5tupleIJPtSJ_EEENSR_IJSJ_SJ_EEES6_PlJS6_EEE10hipError_tPvRmT3_T4_T5_T6_T7_T9_mT8_P12ihipStream_tbDpT10_ENKUlT_T0_E_clISt17integral_constantIbLb1EES1E_IbLb0EEEEDaS1A_S1B_EUlS1A_E_NS1_11comp_targetILNS1_3genE10ELNS1_11target_archE1200ELNS1_3gpuE4ELNS1_3repE0EEENS1_30default_config_static_selectorELNS0_4arch9wavefront6targetE1EEEvT1_
		.amdhsa_group_segment_fixed_size 0
		.amdhsa_private_segment_fixed_size 0
		.amdhsa_kernarg_size 128
		.amdhsa_user_sgpr_count 2
		.amdhsa_user_sgpr_dispatch_ptr 0
		.amdhsa_user_sgpr_queue_ptr 0
		.amdhsa_user_sgpr_kernarg_segment_ptr 1
		.amdhsa_user_sgpr_dispatch_id 0
		.amdhsa_user_sgpr_kernarg_preload_length 0
		.amdhsa_user_sgpr_kernarg_preload_offset 0
		.amdhsa_user_sgpr_private_segment_size 0
		.amdhsa_uses_dynamic_stack 0
		.amdhsa_enable_private_segment 0
		.amdhsa_system_sgpr_workgroup_id_x 1
		.amdhsa_system_sgpr_workgroup_id_y 0
		.amdhsa_system_sgpr_workgroup_id_z 0
		.amdhsa_system_sgpr_workgroup_info 0
		.amdhsa_system_vgpr_workitem_id 0
		.amdhsa_next_free_vgpr 1
		.amdhsa_next_free_sgpr 0
		.amdhsa_accum_offset 4
		.amdhsa_reserve_vcc 0
		.amdhsa_float_round_mode_32 0
		.amdhsa_float_round_mode_16_64 0
		.amdhsa_float_denorm_mode_32 3
		.amdhsa_float_denorm_mode_16_64 3
		.amdhsa_dx10_clamp 1
		.amdhsa_ieee_mode 1
		.amdhsa_fp16_overflow 0
		.amdhsa_tg_split 0
		.amdhsa_exception_fp_ieee_invalid_op 0
		.amdhsa_exception_fp_denorm_src 0
		.amdhsa_exception_fp_ieee_div_zero 0
		.amdhsa_exception_fp_ieee_overflow 0
		.amdhsa_exception_fp_ieee_underflow 0
		.amdhsa_exception_fp_ieee_inexact 0
		.amdhsa_exception_int_div_zero 0
	.end_amdhsa_kernel
	.section	.text._ZN7rocprim17ROCPRIM_400000_NS6detail17trampoline_kernelINS0_14default_configENS1_25partition_config_selectorILNS1_17partition_subalgoE2EtNS0_10empty_typeEbEEZZNS1_14partition_implILS5_2ELb0ES3_jN6thrust23THRUST_200600_302600_NS6detail15normal_iteratorINSA_7pointerItNSA_11hip_rocprim3tagENSA_11use_defaultESG_EEEEPS6_NSA_18transform_iteratorI7is_evenItENSC_INSA_10device_ptrItEEEESG_SG_EENS0_5tupleIJPtSJ_EEENSR_IJSJ_SJ_EEES6_PlJS6_EEE10hipError_tPvRmT3_T4_T5_T6_T7_T9_mT8_P12ihipStream_tbDpT10_ENKUlT_T0_E_clISt17integral_constantIbLb1EES1E_IbLb0EEEEDaS1A_S1B_EUlS1A_E_NS1_11comp_targetILNS1_3genE10ELNS1_11target_archE1200ELNS1_3gpuE4ELNS1_3repE0EEENS1_30default_config_static_selectorELNS0_4arch9wavefront6targetE1EEEvT1_,"axG",@progbits,_ZN7rocprim17ROCPRIM_400000_NS6detail17trampoline_kernelINS0_14default_configENS1_25partition_config_selectorILNS1_17partition_subalgoE2EtNS0_10empty_typeEbEEZZNS1_14partition_implILS5_2ELb0ES3_jN6thrust23THRUST_200600_302600_NS6detail15normal_iteratorINSA_7pointerItNSA_11hip_rocprim3tagENSA_11use_defaultESG_EEEEPS6_NSA_18transform_iteratorI7is_evenItENSC_INSA_10device_ptrItEEEESG_SG_EENS0_5tupleIJPtSJ_EEENSR_IJSJ_SJ_EEES6_PlJS6_EEE10hipError_tPvRmT3_T4_T5_T6_T7_T9_mT8_P12ihipStream_tbDpT10_ENKUlT_T0_E_clISt17integral_constantIbLb1EES1E_IbLb0EEEEDaS1A_S1B_EUlS1A_E_NS1_11comp_targetILNS1_3genE10ELNS1_11target_archE1200ELNS1_3gpuE4ELNS1_3repE0EEENS1_30default_config_static_selectorELNS0_4arch9wavefront6targetE1EEEvT1_,comdat
.Lfunc_end2091:
	.size	_ZN7rocprim17ROCPRIM_400000_NS6detail17trampoline_kernelINS0_14default_configENS1_25partition_config_selectorILNS1_17partition_subalgoE2EtNS0_10empty_typeEbEEZZNS1_14partition_implILS5_2ELb0ES3_jN6thrust23THRUST_200600_302600_NS6detail15normal_iteratorINSA_7pointerItNSA_11hip_rocprim3tagENSA_11use_defaultESG_EEEEPS6_NSA_18transform_iteratorI7is_evenItENSC_INSA_10device_ptrItEEEESG_SG_EENS0_5tupleIJPtSJ_EEENSR_IJSJ_SJ_EEES6_PlJS6_EEE10hipError_tPvRmT3_T4_T5_T6_T7_T9_mT8_P12ihipStream_tbDpT10_ENKUlT_T0_E_clISt17integral_constantIbLb1EES1E_IbLb0EEEEDaS1A_S1B_EUlS1A_E_NS1_11comp_targetILNS1_3genE10ELNS1_11target_archE1200ELNS1_3gpuE4ELNS1_3repE0EEENS1_30default_config_static_selectorELNS0_4arch9wavefront6targetE1EEEvT1_, .Lfunc_end2091-_ZN7rocprim17ROCPRIM_400000_NS6detail17trampoline_kernelINS0_14default_configENS1_25partition_config_selectorILNS1_17partition_subalgoE2EtNS0_10empty_typeEbEEZZNS1_14partition_implILS5_2ELb0ES3_jN6thrust23THRUST_200600_302600_NS6detail15normal_iteratorINSA_7pointerItNSA_11hip_rocprim3tagENSA_11use_defaultESG_EEEEPS6_NSA_18transform_iteratorI7is_evenItENSC_INSA_10device_ptrItEEEESG_SG_EENS0_5tupleIJPtSJ_EEENSR_IJSJ_SJ_EEES6_PlJS6_EEE10hipError_tPvRmT3_T4_T5_T6_T7_T9_mT8_P12ihipStream_tbDpT10_ENKUlT_T0_E_clISt17integral_constantIbLb1EES1E_IbLb0EEEEDaS1A_S1B_EUlS1A_E_NS1_11comp_targetILNS1_3genE10ELNS1_11target_archE1200ELNS1_3gpuE4ELNS1_3repE0EEENS1_30default_config_static_selectorELNS0_4arch9wavefront6targetE1EEEvT1_
                                        ; -- End function
	.section	.AMDGPU.csdata,"",@progbits
; Kernel info:
; codeLenInByte = 0
; NumSgprs: 6
; NumVgprs: 0
; NumAgprs: 0
; TotalNumVgprs: 0
; ScratchSize: 0
; MemoryBound: 0
; FloatMode: 240
; IeeeMode: 1
; LDSByteSize: 0 bytes/workgroup (compile time only)
; SGPRBlocks: 0
; VGPRBlocks: 0
; NumSGPRsForWavesPerEU: 6
; NumVGPRsForWavesPerEU: 1
; AccumOffset: 4
; Occupancy: 8
; WaveLimiterHint : 0
; COMPUTE_PGM_RSRC2:SCRATCH_EN: 0
; COMPUTE_PGM_RSRC2:USER_SGPR: 2
; COMPUTE_PGM_RSRC2:TRAP_HANDLER: 0
; COMPUTE_PGM_RSRC2:TGID_X_EN: 1
; COMPUTE_PGM_RSRC2:TGID_Y_EN: 0
; COMPUTE_PGM_RSRC2:TGID_Z_EN: 0
; COMPUTE_PGM_RSRC2:TIDIG_COMP_CNT: 0
; COMPUTE_PGM_RSRC3_GFX90A:ACCUM_OFFSET: 0
; COMPUTE_PGM_RSRC3_GFX90A:TG_SPLIT: 0
	.section	.text._ZN7rocprim17ROCPRIM_400000_NS6detail17trampoline_kernelINS0_14default_configENS1_25partition_config_selectorILNS1_17partition_subalgoE2EtNS0_10empty_typeEbEEZZNS1_14partition_implILS5_2ELb0ES3_jN6thrust23THRUST_200600_302600_NS6detail15normal_iteratorINSA_7pointerItNSA_11hip_rocprim3tagENSA_11use_defaultESG_EEEEPS6_NSA_18transform_iteratorI7is_evenItENSC_INSA_10device_ptrItEEEESG_SG_EENS0_5tupleIJPtSJ_EEENSR_IJSJ_SJ_EEES6_PlJS6_EEE10hipError_tPvRmT3_T4_T5_T6_T7_T9_mT8_P12ihipStream_tbDpT10_ENKUlT_T0_E_clISt17integral_constantIbLb1EES1E_IbLb0EEEEDaS1A_S1B_EUlS1A_E_NS1_11comp_targetILNS1_3genE9ELNS1_11target_archE1100ELNS1_3gpuE3ELNS1_3repE0EEENS1_30default_config_static_selectorELNS0_4arch9wavefront6targetE1EEEvT1_,"axG",@progbits,_ZN7rocprim17ROCPRIM_400000_NS6detail17trampoline_kernelINS0_14default_configENS1_25partition_config_selectorILNS1_17partition_subalgoE2EtNS0_10empty_typeEbEEZZNS1_14partition_implILS5_2ELb0ES3_jN6thrust23THRUST_200600_302600_NS6detail15normal_iteratorINSA_7pointerItNSA_11hip_rocprim3tagENSA_11use_defaultESG_EEEEPS6_NSA_18transform_iteratorI7is_evenItENSC_INSA_10device_ptrItEEEESG_SG_EENS0_5tupleIJPtSJ_EEENSR_IJSJ_SJ_EEES6_PlJS6_EEE10hipError_tPvRmT3_T4_T5_T6_T7_T9_mT8_P12ihipStream_tbDpT10_ENKUlT_T0_E_clISt17integral_constantIbLb1EES1E_IbLb0EEEEDaS1A_S1B_EUlS1A_E_NS1_11comp_targetILNS1_3genE9ELNS1_11target_archE1100ELNS1_3gpuE3ELNS1_3repE0EEENS1_30default_config_static_selectorELNS0_4arch9wavefront6targetE1EEEvT1_,comdat
	.protected	_ZN7rocprim17ROCPRIM_400000_NS6detail17trampoline_kernelINS0_14default_configENS1_25partition_config_selectorILNS1_17partition_subalgoE2EtNS0_10empty_typeEbEEZZNS1_14partition_implILS5_2ELb0ES3_jN6thrust23THRUST_200600_302600_NS6detail15normal_iteratorINSA_7pointerItNSA_11hip_rocprim3tagENSA_11use_defaultESG_EEEEPS6_NSA_18transform_iteratorI7is_evenItENSC_INSA_10device_ptrItEEEESG_SG_EENS0_5tupleIJPtSJ_EEENSR_IJSJ_SJ_EEES6_PlJS6_EEE10hipError_tPvRmT3_T4_T5_T6_T7_T9_mT8_P12ihipStream_tbDpT10_ENKUlT_T0_E_clISt17integral_constantIbLb1EES1E_IbLb0EEEEDaS1A_S1B_EUlS1A_E_NS1_11comp_targetILNS1_3genE9ELNS1_11target_archE1100ELNS1_3gpuE3ELNS1_3repE0EEENS1_30default_config_static_selectorELNS0_4arch9wavefront6targetE1EEEvT1_ ; -- Begin function _ZN7rocprim17ROCPRIM_400000_NS6detail17trampoline_kernelINS0_14default_configENS1_25partition_config_selectorILNS1_17partition_subalgoE2EtNS0_10empty_typeEbEEZZNS1_14partition_implILS5_2ELb0ES3_jN6thrust23THRUST_200600_302600_NS6detail15normal_iteratorINSA_7pointerItNSA_11hip_rocprim3tagENSA_11use_defaultESG_EEEEPS6_NSA_18transform_iteratorI7is_evenItENSC_INSA_10device_ptrItEEEESG_SG_EENS0_5tupleIJPtSJ_EEENSR_IJSJ_SJ_EEES6_PlJS6_EEE10hipError_tPvRmT3_T4_T5_T6_T7_T9_mT8_P12ihipStream_tbDpT10_ENKUlT_T0_E_clISt17integral_constantIbLb1EES1E_IbLb0EEEEDaS1A_S1B_EUlS1A_E_NS1_11comp_targetILNS1_3genE9ELNS1_11target_archE1100ELNS1_3gpuE3ELNS1_3repE0EEENS1_30default_config_static_selectorELNS0_4arch9wavefront6targetE1EEEvT1_
	.globl	_ZN7rocprim17ROCPRIM_400000_NS6detail17trampoline_kernelINS0_14default_configENS1_25partition_config_selectorILNS1_17partition_subalgoE2EtNS0_10empty_typeEbEEZZNS1_14partition_implILS5_2ELb0ES3_jN6thrust23THRUST_200600_302600_NS6detail15normal_iteratorINSA_7pointerItNSA_11hip_rocprim3tagENSA_11use_defaultESG_EEEEPS6_NSA_18transform_iteratorI7is_evenItENSC_INSA_10device_ptrItEEEESG_SG_EENS0_5tupleIJPtSJ_EEENSR_IJSJ_SJ_EEES6_PlJS6_EEE10hipError_tPvRmT3_T4_T5_T6_T7_T9_mT8_P12ihipStream_tbDpT10_ENKUlT_T0_E_clISt17integral_constantIbLb1EES1E_IbLb0EEEEDaS1A_S1B_EUlS1A_E_NS1_11comp_targetILNS1_3genE9ELNS1_11target_archE1100ELNS1_3gpuE3ELNS1_3repE0EEENS1_30default_config_static_selectorELNS0_4arch9wavefront6targetE1EEEvT1_
	.p2align	8
	.type	_ZN7rocprim17ROCPRIM_400000_NS6detail17trampoline_kernelINS0_14default_configENS1_25partition_config_selectorILNS1_17partition_subalgoE2EtNS0_10empty_typeEbEEZZNS1_14partition_implILS5_2ELb0ES3_jN6thrust23THRUST_200600_302600_NS6detail15normal_iteratorINSA_7pointerItNSA_11hip_rocprim3tagENSA_11use_defaultESG_EEEEPS6_NSA_18transform_iteratorI7is_evenItENSC_INSA_10device_ptrItEEEESG_SG_EENS0_5tupleIJPtSJ_EEENSR_IJSJ_SJ_EEES6_PlJS6_EEE10hipError_tPvRmT3_T4_T5_T6_T7_T9_mT8_P12ihipStream_tbDpT10_ENKUlT_T0_E_clISt17integral_constantIbLb1EES1E_IbLb0EEEEDaS1A_S1B_EUlS1A_E_NS1_11comp_targetILNS1_3genE9ELNS1_11target_archE1100ELNS1_3gpuE3ELNS1_3repE0EEENS1_30default_config_static_selectorELNS0_4arch9wavefront6targetE1EEEvT1_,@function
_ZN7rocprim17ROCPRIM_400000_NS6detail17trampoline_kernelINS0_14default_configENS1_25partition_config_selectorILNS1_17partition_subalgoE2EtNS0_10empty_typeEbEEZZNS1_14partition_implILS5_2ELb0ES3_jN6thrust23THRUST_200600_302600_NS6detail15normal_iteratorINSA_7pointerItNSA_11hip_rocprim3tagENSA_11use_defaultESG_EEEEPS6_NSA_18transform_iteratorI7is_evenItENSC_INSA_10device_ptrItEEEESG_SG_EENS0_5tupleIJPtSJ_EEENSR_IJSJ_SJ_EEES6_PlJS6_EEE10hipError_tPvRmT3_T4_T5_T6_T7_T9_mT8_P12ihipStream_tbDpT10_ENKUlT_T0_E_clISt17integral_constantIbLb1EES1E_IbLb0EEEEDaS1A_S1B_EUlS1A_E_NS1_11comp_targetILNS1_3genE9ELNS1_11target_archE1100ELNS1_3gpuE3ELNS1_3repE0EEENS1_30default_config_static_selectorELNS0_4arch9wavefront6targetE1EEEvT1_: ; @_ZN7rocprim17ROCPRIM_400000_NS6detail17trampoline_kernelINS0_14default_configENS1_25partition_config_selectorILNS1_17partition_subalgoE2EtNS0_10empty_typeEbEEZZNS1_14partition_implILS5_2ELb0ES3_jN6thrust23THRUST_200600_302600_NS6detail15normal_iteratorINSA_7pointerItNSA_11hip_rocprim3tagENSA_11use_defaultESG_EEEEPS6_NSA_18transform_iteratorI7is_evenItENSC_INSA_10device_ptrItEEEESG_SG_EENS0_5tupleIJPtSJ_EEENSR_IJSJ_SJ_EEES6_PlJS6_EEE10hipError_tPvRmT3_T4_T5_T6_T7_T9_mT8_P12ihipStream_tbDpT10_ENKUlT_T0_E_clISt17integral_constantIbLb1EES1E_IbLb0EEEEDaS1A_S1B_EUlS1A_E_NS1_11comp_targetILNS1_3genE9ELNS1_11target_archE1100ELNS1_3gpuE3ELNS1_3repE0EEENS1_30default_config_static_selectorELNS0_4arch9wavefront6targetE1EEEvT1_
; %bb.0:
	.section	.rodata,"a",@progbits
	.p2align	6, 0x0
	.amdhsa_kernel _ZN7rocprim17ROCPRIM_400000_NS6detail17trampoline_kernelINS0_14default_configENS1_25partition_config_selectorILNS1_17partition_subalgoE2EtNS0_10empty_typeEbEEZZNS1_14partition_implILS5_2ELb0ES3_jN6thrust23THRUST_200600_302600_NS6detail15normal_iteratorINSA_7pointerItNSA_11hip_rocprim3tagENSA_11use_defaultESG_EEEEPS6_NSA_18transform_iteratorI7is_evenItENSC_INSA_10device_ptrItEEEESG_SG_EENS0_5tupleIJPtSJ_EEENSR_IJSJ_SJ_EEES6_PlJS6_EEE10hipError_tPvRmT3_T4_T5_T6_T7_T9_mT8_P12ihipStream_tbDpT10_ENKUlT_T0_E_clISt17integral_constantIbLb1EES1E_IbLb0EEEEDaS1A_S1B_EUlS1A_E_NS1_11comp_targetILNS1_3genE9ELNS1_11target_archE1100ELNS1_3gpuE3ELNS1_3repE0EEENS1_30default_config_static_selectorELNS0_4arch9wavefront6targetE1EEEvT1_
		.amdhsa_group_segment_fixed_size 0
		.amdhsa_private_segment_fixed_size 0
		.amdhsa_kernarg_size 128
		.amdhsa_user_sgpr_count 2
		.amdhsa_user_sgpr_dispatch_ptr 0
		.amdhsa_user_sgpr_queue_ptr 0
		.amdhsa_user_sgpr_kernarg_segment_ptr 1
		.amdhsa_user_sgpr_dispatch_id 0
		.amdhsa_user_sgpr_kernarg_preload_length 0
		.amdhsa_user_sgpr_kernarg_preload_offset 0
		.amdhsa_user_sgpr_private_segment_size 0
		.amdhsa_uses_dynamic_stack 0
		.amdhsa_enable_private_segment 0
		.amdhsa_system_sgpr_workgroup_id_x 1
		.amdhsa_system_sgpr_workgroup_id_y 0
		.amdhsa_system_sgpr_workgroup_id_z 0
		.amdhsa_system_sgpr_workgroup_info 0
		.amdhsa_system_vgpr_workitem_id 0
		.amdhsa_next_free_vgpr 1
		.amdhsa_next_free_sgpr 0
		.amdhsa_accum_offset 4
		.amdhsa_reserve_vcc 0
		.amdhsa_float_round_mode_32 0
		.amdhsa_float_round_mode_16_64 0
		.amdhsa_float_denorm_mode_32 3
		.amdhsa_float_denorm_mode_16_64 3
		.amdhsa_dx10_clamp 1
		.amdhsa_ieee_mode 1
		.amdhsa_fp16_overflow 0
		.amdhsa_tg_split 0
		.amdhsa_exception_fp_ieee_invalid_op 0
		.amdhsa_exception_fp_denorm_src 0
		.amdhsa_exception_fp_ieee_div_zero 0
		.amdhsa_exception_fp_ieee_overflow 0
		.amdhsa_exception_fp_ieee_underflow 0
		.amdhsa_exception_fp_ieee_inexact 0
		.amdhsa_exception_int_div_zero 0
	.end_amdhsa_kernel
	.section	.text._ZN7rocprim17ROCPRIM_400000_NS6detail17trampoline_kernelINS0_14default_configENS1_25partition_config_selectorILNS1_17partition_subalgoE2EtNS0_10empty_typeEbEEZZNS1_14partition_implILS5_2ELb0ES3_jN6thrust23THRUST_200600_302600_NS6detail15normal_iteratorINSA_7pointerItNSA_11hip_rocprim3tagENSA_11use_defaultESG_EEEEPS6_NSA_18transform_iteratorI7is_evenItENSC_INSA_10device_ptrItEEEESG_SG_EENS0_5tupleIJPtSJ_EEENSR_IJSJ_SJ_EEES6_PlJS6_EEE10hipError_tPvRmT3_T4_T5_T6_T7_T9_mT8_P12ihipStream_tbDpT10_ENKUlT_T0_E_clISt17integral_constantIbLb1EES1E_IbLb0EEEEDaS1A_S1B_EUlS1A_E_NS1_11comp_targetILNS1_3genE9ELNS1_11target_archE1100ELNS1_3gpuE3ELNS1_3repE0EEENS1_30default_config_static_selectorELNS0_4arch9wavefront6targetE1EEEvT1_,"axG",@progbits,_ZN7rocprim17ROCPRIM_400000_NS6detail17trampoline_kernelINS0_14default_configENS1_25partition_config_selectorILNS1_17partition_subalgoE2EtNS0_10empty_typeEbEEZZNS1_14partition_implILS5_2ELb0ES3_jN6thrust23THRUST_200600_302600_NS6detail15normal_iteratorINSA_7pointerItNSA_11hip_rocprim3tagENSA_11use_defaultESG_EEEEPS6_NSA_18transform_iteratorI7is_evenItENSC_INSA_10device_ptrItEEEESG_SG_EENS0_5tupleIJPtSJ_EEENSR_IJSJ_SJ_EEES6_PlJS6_EEE10hipError_tPvRmT3_T4_T5_T6_T7_T9_mT8_P12ihipStream_tbDpT10_ENKUlT_T0_E_clISt17integral_constantIbLb1EES1E_IbLb0EEEEDaS1A_S1B_EUlS1A_E_NS1_11comp_targetILNS1_3genE9ELNS1_11target_archE1100ELNS1_3gpuE3ELNS1_3repE0EEENS1_30default_config_static_selectorELNS0_4arch9wavefront6targetE1EEEvT1_,comdat
.Lfunc_end2092:
	.size	_ZN7rocprim17ROCPRIM_400000_NS6detail17trampoline_kernelINS0_14default_configENS1_25partition_config_selectorILNS1_17partition_subalgoE2EtNS0_10empty_typeEbEEZZNS1_14partition_implILS5_2ELb0ES3_jN6thrust23THRUST_200600_302600_NS6detail15normal_iteratorINSA_7pointerItNSA_11hip_rocprim3tagENSA_11use_defaultESG_EEEEPS6_NSA_18transform_iteratorI7is_evenItENSC_INSA_10device_ptrItEEEESG_SG_EENS0_5tupleIJPtSJ_EEENSR_IJSJ_SJ_EEES6_PlJS6_EEE10hipError_tPvRmT3_T4_T5_T6_T7_T9_mT8_P12ihipStream_tbDpT10_ENKUlT_T0_E_clISt17integral_constantIbLb1EES1E_IbLb0EEEEDaS1A_S1B_EUlS1A_E_NS1_11comp_targetILNS1_3genE9ELNS1_11target_archE1100ELNS1_3gpuE3ELNS1_3repE0EEENS1_30default_config_static_selectorELNS0_4arch9wavefront6targetE1EEEvT1_, .Lfunc_end2092-_ZN7rocprim17ROCPRIM_400000_NS6detail17trampoline_kernelINS0_14default_configENS1_25partition_config_selectorILNS1_17partition_subalgoE2EtNS0_10empty_typeEbEEZZNS1_14partition_implILS5_2ELb0ES3_jN6thrust23THRUST_200600_302600_NS6detail15normal_iteratorINSA_7pointerItNSA_11hip_rocprim3tagENSA_11use_defaultESG_EEEEPS6_NSA_18transform_iteratorI7is_evenItENSC_INSA_10device_ptrItEEEESG_SG_EENS0_5tupleIJPtSJ_EEENSR_IJSJ_SJ_EEES6_PlJS6_EEE10hipError_tPvRmT3_T4_T5_T6_T7_T9_mT8_P12ihipStream_tbDpT10_ENKUlT_T0_E_clISt17integral_constantIbLb1EES1E_IbLb0EEEEDaS1A_S1B_EUlS1A_E_NS1_11comp_targetILNS1_3genE9ELNS1_11target_archE1100ELNS1_3gpuE3ELNS1_3repE0EEENS1_30default_config_static_selectorELNS0_4arch9wavefront6targetE1EEEvT1_
                                        ; -- End function
	.section	.AMDGPU.csdata,"",@progbits
; Kernel info:
; codeLenInByte = 0
; NumSgprs: 6
; NumVgprs: 0
; NumAgprs: 0
; TotalNumVgprs: 0
; ScratchSize: 0
; MemoryBound: 0
; FloatMode: 240
; IeeeMode: 1
; LDSByteSize: 0 bytes/workgroup (compile time only)
; SGPRBlocks: 0
; VGPRBlocks: 0
; NumSGPRsForWavesPerEU: 6
; NumVGPRsForWavesPerEU: 1
; AccumOffset: 4
; Occupancy: 8
; WaveLimiterHint : 0
; COMPUTE_PGM_RSRC2:SCRATCH_EN: 0
; COMPUTE_PGM_RSRC2:USER_SGPR: 2
; COMPUTE_PGM_RSRC2:TRAP_HANDLER: 0
; COMPUTE_PGM_RSRC2:TGID_X_EN: 1
; COMPUTE_PGM_RSRC2:TGID_Y_EN: 0
; COMPUTE_PGM_RSRC2:TGID_Z_EN: 0
; COMPUTE_PGM_RSRC2:TIDIG_COMP_CNT: 0
; COMPUTE_PGM_RSRC3_GFX90A:ACCUM_OFFSET: 0
; COMPUTE_PGM_RSRC3_GFX90A:TG_SPLIT: 0
	.section	.text._ZN7rocprim17ROCPRIM_400000_NS6detail17trampoline_kernelINS0_14default_configENS1_25partition_config_selectorILNS1_17partition_subalgoE2EtNS0_10empty_typeEbEEZZNS1_14partition_implILS5_2ELb0ES3_jN6thrust23THRUST_200600_302600_NS6detail15normal_iteratorINSA_7pointerItNSA_11hip_rocprim3tagENSA_11use_defaultESG_EEEEPS6_NSA_18transform_iteratorI7is_evenItENSC_INSA_10device_ptrItEEEESG_SG_EENS0_5tupleIJPtSJ_EEENSR_IJSJ_SJ_EEES6_PlJS6_EEE10hipError_tPvRmT3_T4_T5_T6_T7_T9_mT8_P12ihipStream_tbDpT10_ENKUlT_T0_E_clISt17integral_constantIbLb1EES1E_IbLb0EEEEDaS1A_S1B_EUlS1A_E_NS1_11comp_targetILNS1_3genE8ELNS1_11target_archE1030ELNS1_3gpuE2ELNS1_3repE0EEENS1_30default_config_static_selectorELNS0_4arch9wavefront6targetE1EEEvT1_,"axG",@progbits,_ZN7rocprim17ROCPRIM_400000_NS6detail17trampoline_kernelINS0_14default_configENS1_25partition_config_selectorILNS1_17partition_subalgoE2EtNS0_10empty_typeEbEEZZNS1_14partition_implILS5_2ELb0ES3_jN6thrust23THRUST_200600_302600_NS6detail15normal_iteratorINSA_7pointerItNSA_11hip_rocprim3tagENSA_11use_defaultESG_EEEEPS6_NSA_18transform_iteratorI7is_evenItENSC_INSA_10device_ptrItEEEESG_SG_EENS0_5tupleIJPtSJ_EEENSR_IJSJ_SJ_EEES6_PlJS6_EEE10hipError_tPvRmT3_T4_T5_T6_T7_T9_mT8_P12ihipStream_tbDpT10_ENKUlT_T0_E_clISt17integral_constantIbLb1EES1E_IbLb0EEEEDaS1A_S1B_EUlS1A_E_NS1_11comp_targetILNS1_3genE8ELNS1_11target_archE1030ELNS1_3gpuE2ELNS1_3repE0EEENS1_30default_config_static_selectorELNS0_4arch9wavefront6targetE1EEEvT1_,comdat
	.protected	_ZN7rocprim17ROCPRIM_400000_NS6detail17trampoline_kernelINS0_14default_configENS1_25partition_config_selectorILNS1_17partition_subalgoE2EtNS0_10empty_typeEbEEZZNS1_14partition_implILS5_2ELb0ES3_jN6thrust23THRUST_200600_302600_NS6detail15normal_iteratorINSA_7pointerItNSA_11hip_rocprim3tagENSA_11use_defaultESG_EEEEPS6_NSA_18transform_iteratorI7is_evenItENSC_INSA_10device_ptrItEEEESG_SG_EENS0_5tupleIJPtSJ_EEENSR_IJSJ_SJ_EEES6_PlJS6_EEE10hipError_tPvRmT3_T4_T5_T6_T7_T9_mT8_P12ihipStream_tbDpT10_ENKUlT_T0_E_clISt17integral_constantIbLb1EES1E_IbLb0EEEEDaS1A_S1B_EUlS1A_E_NS1_11comp_targetILNS1_3genE8ELNS1_11target_archE1030ELNS1_3gpuE2ELNS1_3repE0EEENS1_30default_config_static_selectorELNS0_4arch9wavefront6targetE1EEEvT1_ ; -- Begin function _ZN7rocprim17ROCPRIM_400000_NS6detail17trampoline_kernelINS0_14default_configENS1_25partition_config_selectorILNS1_17partition_subalgoE2EtNS0_10empty_typeEbEEZZNS1_14partition_implILS5_2ELb0ES3_jN6thrust23THRUST_200600_302600_NS6detail15normal_iteratorINSA_7pointerItNSA_11hip_rocprim3tagENSA_11use_defaultESG_EEEEPS6_NSA_18transform_iteratorI7is_evenItENSC_INSA_10device_ptrItEEEESG_SG_EENS0_5tupleIJPtSJ_EEENSR_IJSJ_SJ_EEES6_PlJS6_EEE10hipError_tPvRmT3_T4_T5_T6_T7_T9_mT8_P12ihipStream_tbDpT10_ENKUlT_T0_E_clISt17integral_constantIbLb1EES1E_IbLb0EEEEDaS1A_S1B_EUlS1A_E_NS1_11comp_targetILNS1_3genE8ELNS1_11target_archE1030ELNS1_3gpuE2ELNS1_3repE0EEENS1_30default_config_static_selectorELNS0_4arch9wavefront6targetE1EEEvT1_
	.globl	_ZN7rocprim17ROCPRIM_400000_NS6detail17trampoline_kernelINS0_14default_configENS1_25partition_config_selectorILNS1_17partition_subalgoE2EtNS0_10empty_typeEbEEZZNS1_14partition_implILS5_2ELb0ES3_jN6thrust23THRUST_200600_302600_NS6detail15normal_iteratorINSA_7pointerItNSA_11hip_rocprim3tagENSA_11use_defaultESG_EEEEPS6_NSA_18transform_iteratorI7is_evenItENSC_INSA_10device_ptrItEEEESG_SG_EENS0_5tupleIJPtSJ_EEENSR_IJSJ_SJ_EEES6_PlJS6_EEE10hipError_tPvRmT3_T4_T5_T6_T7_T9_mT8_P12ihipStream_tbDpT10_ENKUlT_T0_E_clISt17integral_constantIbLb1EES1E_IbLb0EEEEDaS1A_S1B_EUlS1A_E_NS1_11comp_targetILNS1_3genE8ELNS1_11target_archE1030ELNS1_3gpuE2ELNS1_3repE0EEENS1_30default_config_static_selectorELNS0_4arch9wavefront6targetE1EEEvT1_
	.p2align	8
	.type	_ZN7rocprim17ROCPRIM_400000_NS6detail17trampoline_kernelINS0_14default_configENS1_25partition_config_selectorILNS1_17partition_subalgoE2EtNS0_10empty_typeEbEEZZNS1_14partition_implILS5_2ELb0ES3_jN6thrust23THRUST_200600_302600_NS6detail15normal_iteratorINSA_7pointerItNSA_11hip_rocprim3tagENSA_11use_defaultESG_EEEEPS6_NSA_18transform_iteratorI7is_evenItENSC_INSA_10device_ptrItEEEESG_SG_EENS0_5tupleIJPtSJ_EEENSR_IJSJ_SJ_EEES6_PlJS6_EEE10hipError_tPvRmT3_T4_T5_T6_T7_T9_mT8_P12ihipStream_tbDpT10_ENKUlT_T0_E_clISt17integral_constantIbLb1EES1E_IbLb0EEEEDaS1A_S1B_EUlS1A_E_NS1_11comp_targetILNS1_3genE8ELNS1_11target_archE1030ELNS1_3gpuE2ELNS1_3repE0EEENS1_30default_config_static_selectorELNS0_4arch9wavefront6targetE1EEEvT1_,@function
_ZN7rocprim17ROCPRIM_400000_NS6detail17trampoline_kernelINS0_14default_configENS1_25partition_config_selectorILNS1_17partition_subalgoE2EtNS0_10empty_typeEbEEZZNS1_14partition_implILS5_2ELb0ES3_jN6thrust23THRUST_200600_302600_NS6detail15normal_iteratorINSA_7pointerItNSA_11hip_rocprim3tagENSA_11use_defaultESG_EEEEPS6_NSA_18transform_iteratorI7is_evenItENSC_INSA_10device_ptrItEEEESG_SG_EENS0_5tupleIJPtSJ_EEENSR_IJSJ_SJ_EEES6_PlJS6_EEE10hipError_tPvRmT3_T4_T5_T6_T7_T9_mT8_P12ihipStream_tbDpT10_ENKUlT_T0_E_clISt17integral_constantIbLb1EES1E_IbLb0EEEEDaS1A_S1B_EUlS1A_E_NS1_11comp_targetILNS1_3genE8ELNS1_11target_archE1030ELNS1_3gpuE2ELNS1_3repE0EEENS1_30default_config_static_selectorELNS0_4arch9wavefront6targetE1EEEvT1_: ; @_ZN7rocprim17ROCPRIM_400000_NS6detail17trampoline_kernelINS0_14default_configENS1_25partition_config_selectorILNS1_17partition_subalgoE2EtNS0_10empty_typeEbEEZZNS1_14partition_implILS5_2ELb0ES3_jN6thrust23THRUST_200600_302600_NS6detail15normal_iteratorINSA_7pointerItNSA_11hip_rocprim3tagENSA_11use_defaultESG_EEEEPS6_NSA_18transform_iteratorI7is_evenItENSC_INSA_10device_ptrItEEEESG_SG_EENS0_5tupleIJPtSJ_EEENSR_IJSJ_SJ_EEES6_PlJS6_EEE10hipError_tPvRmT3_T4_T5_T6_T7_T9_mT8_P12ihipStream_tbDpT10_ENKUlT_T0_E_clISt17integral_constantIbLb1EES1E_IbLb0EEEEDaS1A_S1B_EUlS1A_E_NS1_11comp_targetILNS1_3genE8ELNS1_11target_archE1030ELNS1_3gpuE2ELNS1_3repE0EEENS1_30default_config_static_selectorELNS0_4arch9wavefront6targetE1EEEvT1_
; %bb.0:
	.section	.rodata,"a",@progbits
	.p2align	6, 0x0
	.amdhsa_kernel _ZN7rocprim17ROCPRIM_400000_NS6detail17trampoline_kernelINS0_14default_configENS1_25partition_config_selectorILNS1_17partition_subalgoE2EtNS0_10empty_typeEbEEZZNS1_14partition_implILS5_2ELb0ES3_jN6thrust23THRUST_200600_302600_NS6detail15normal_iteratorINSA_7pointerItNSA_11hip_rocprim3tagENSA_11use_defaultESG_EEEEPS6_NSA_18transform_iteratorI7is_evenItENSC_INSA_10device_ptrItEEEESG_SG_EENS0_5tupleIJPtSJ_EEENSR_IJSJ_SJ_EEES6_PlJS6_EEE10hipError_tPvRmT3_T4_T5_T6_T7_T9_mT8_P12ihipStream_tbDpT10_ENKUlT_T0_E_clISt17integral_constantIbLb1EES1E_IbLb0EEEEDaS1A_S1B_EUlS1A_E_NS1_11comp_targetILNS1_3genE8ELNS1_11target_archE1030ELNS1_3gpuE2ELNS1_3repE0EEENS1_30default_config_static_selectorELNS0_4arch9wavefront6targetE1EEEvT1_
		.amdhsa_group_segment_fixed_size 0
		.amdhsa_private_segment_fixed_size 0
		.amdhsa_kernarg_size 128
		.amdhsa_user_sgpr_count 2
		.amdhsa_user_sgpr_dispatch_ptr 0
		.amdhsa_user_sgpr_queue_ptr 0
		.amdhsa_user_sgpr_kernarg_segment_ptr 1
		.amdhsa_user_sgpr_dispatch_id 0
		.amdhsa_user_sgpr_kernarg_preload_length 0
		.amdhsa_user_sgpr_kernarg_preload_offset 0
		.amdhsa_user_sgpr_private_segment_size 0
		.amdhsa_uses_dynamic_stack 0
		.amdhsa_enable_private_segment 0
		.amdhsa_system_sgpr_workgroup_id_x 1
		.amdhsa_system_sgpr_workgroup_id_y 0
		.amdhsa_system_sgpr_workgroup_id_z 0
		.amdhsa_system_sgpr_workgroup_info 0
		.amdhsa_system_vgpr_workitem_id 0
		.amdhsa_next_free_vgpr 1
		.amdhsa_next_free_sgpr 0
		.amdhsa_accum_offset 4
		.amdhsa_reserve_vcc 0
		.amdhsa_float_round_mode_32 0
		.amdhsa_float_round_mode_16_64 0
		.amdhsa_float_denorm_mode_32 3
		.amdhsa_float_denorm_mode_16_64 3
		.amdhsa_dx10_clamp 1
		.amdhsa_ieee_mode 1
		.amdhsa_fp16_overflow 0
		.amdhsa_tg_split 0
		.amdhsa_exception_fp_ieee_invalid_op 0
		.amdhsa_exception_fp_denorm_src 0
		.amdhsa_exception_fp_ieee_div_zero 0
		.amdhsa_exception_fp_ieee_overflow 0
		.amdhsa_exception_fp_ieee_underflow 0
		.amdhsa_exception_fp_ieee_inexact 0
		.amdhsa_exception_int_div_zero 0
	.end_amdhsa_kernel
	.section	.text._ZN7rocprim17ROCPRIM_400000_NS6detail17trampoline_kernelINS0_14default_configENS1_25partition_config_selectorILNS1_17partition_subalgoE2EtNS0_10empty_typeEbEEZZNS1_14partition_implILS5_2ELb0ES3_jN6thrust23THRUST_200600_302600_NS6detail15normal_iteratorINSA_7pointerItNSA_11hip_rocprim3tagENSA_11use_defaultESG_EEEEPS6_NSA_18transform_iteratorI7is_evenItENSC_INSA_10device_ptrItEEEESG_SG_EENS0_5tupleIJPtSJ_EEENSR_IJSJ_SJ_EEES6_PlJS6_EEE10hipError_tPvRmT3_T4_T5_T6_T7_T9_mT8_P12ihipStream_tbDpT10_ENKUlT_T0_E_clISt17integral_constantIbLb1EES1E_IbLb0EEEEDaS1A_S1B_EUlS1A_E_NS1_11comp_targetILNS1_3genE8ELNS1_11target_archE1030ELNS1_3gpuE2ELNS1_3repE0EEENS1_30default_config_static_selectorELNS0_4arch9wavefront6targetE1EEEvT1_,"axG",@progbits,_ZN7rocprim17ROCPRIM_400000_NS6detail17trampoline_kernelINS0_14default_configENS1_25partition_config_selectorILNS1_17partition_subalgoE2EtNS0_10empty_typeEbEEZZNS1_14partition_implILS5_2ELb0ES3_jN6thrust23THRUST_200600_302600_NS6detail15normal_iteratorINSA_7pointerItNSA_11hip_rocprim3tagENSA_11use_defaultESG_EEEEPS6_NSA_18transform_iteratorI7is_evenItENSC_INSA_10device_ptrItEEEESG_SG_EENS0_5tupleIJPtSJ_EEENSR_IJSJ_SJ_EEES6_PlJS6_EEE10hipError_tPvRmT3_T4_T5_T6_T7_T9_mT8_P12ihipStream_tbDpT10_ENKUlT_T0_E_clISt17integral_constantIbLb1EES1E_IbLb0EEEEDaS1A_S1B_EUlS1A_E_NS1_11comp_targetILNS1_3genE8ELNS1_11target_archE1030ELNS1_3gpuE2ELNS1_3repE0EEENS1_30default_config_static_selectorELNS0_4arch9wavefront6targetE1EEEvT1_,comdat
.Lfunc_end2093:
	.size	_ZN7rocprim17ROCPRIM_400000_NS6detail17trampoline_kernelINS0_14default_configENS1_25partition_config_selectorILNS1_17partition_subalgoE2EtNS0_10empty_typeEbEEZZNS1_14partition_implILS5_2ELb0ES3_jN6thrust23THRUST_200600_302600_NS6detail15normal_iteratorINSA_7pointerItNSA_11hip_rocprim3tagENSA_11use_defaultESG_EEEEPS6_NSA_18transform_iteratorI7is_evenItENSC_INSA_10device_ptrItEEEESG_SG_EENS0_5tupleIJPtSJ_EEENSR_IJSJ_SJ_EEES6_PlJS6_EEE10hipError_tPvRmT3_T4_T5_T6_T7_T9_mT8_P12ihipStream_tbDpT10_ENKUlT_T0_E_clISt17integral_constantIbLb1EES1E_IbLb0EEEEDaS1A_S1B_EUlS1A_E_NS1_11comp_targetILNS1_3genE8ELNS1_11target_archE1030ELNS1_3gpuE2ELNS1_3repE0EEENS1_30default_config_static_selectorELNS0_4arch9wavefront6targetE1EEEvT1_, .Lfunc_end2093-_ZN7rocprim17ROCPRIM_400000_NS6detail17trampoline_kernelINS0_14default_configENS1_25partition_config_selectorILNS1_17partition_subalgoE2EtNS0_10empty_typeEbEEZZNS1_14partition_implILS5_2ELb0ES3_jN6thrust23THRUST_200600_302600_NS6detail15normal_iteratorINSA_7pointerItNSA_11hip_rocprim3tagENSA_11use_defaultESG_EEEEPS6_NSA_18transform_iteratorI7is_evenItENSC_INSA_10device_ptrItEEEESG_SG_EENS0_5tupleIJPtSJ_EEENSR_IJSJ_SJ_EEES6_PlJS6_EEE10hipError_tPvRmT3_T4_T5_T6_T7_T9_mT8_P12ihipStream_tbDpT10_ENKUlT_T0_E_clISt17integral_constantIbLb1EES1E_IbLb0EEEEDaS1A_S1B_EUlS1A_E_NS1_11comp_targetILNS1_3genE8ELNS1_11target_archE1030ELNS1_3gpuE2ELNS1_3repE0EEENS1_30default_config_static_selectorELNS0_4arch9wavefront6targetE1EEEvT1_
                                        ; -- End function
	.section	.AMDGPU.csdata,"",@progbits
; Kernel info:
; codeLenInByte = 0
; NumSgprs: 6
; NumVgprs: 0
; NumAgprs: 0
; TotalNumVgprs: 0
; ScratchSize: 0
; MemoryBound: 0
; FloatMode: 240
; IeeeMode: 1
; LDSByteSize: 0 bytes/workgroup (compile time only)
; SGPRBlocks: 0
; VGPRBlocks: 0
; NumSGPRsForWavesPerEU: 6
; NumVGPRsForWavesPerEU: 1
; AccumOffset: 4
; Occupancy: 8
; WaveLimiterHint : 0
; COMPUTE_PGM_RSRC2:SCRATCH_EN: 0
; COMPUTE_PGM_RSRC2:USER_SGPR: 2
; COMPUTE_PGM_RSRC2:TRAP_HANDLER: 0
; COMPUTE_PGM_RSRC2:TGID_X_EN: 1
; COMPUTE_PGM_RSRC2:TGID_Y_EN: 0
; COMPUTE_PGM_RSRC2:TGID_Z_EN: 0
; COMPUTE_PGM_RSRC2:TIDIG_COMP_CNT: 0
; COMPUTE_PGM_RSRC3_GFX90A:ACCUM_OFFSET: 0
; COMPUTE_PGM_RSRC3_GFX90A:TG_SPLIT: 0
	.section	.text._ZN7rocprim17ROCPRIM_400000_NS6detail17trampoline_kernelINS0_14default_configENS1_25partition_config_selectorILNS1_17partition_subalgoE2EtNS0_10empty_typeEbEEZZNS1_14partition_implILS5_2ELb0ES3_jN6thrust23THRUST_200600_302600_NS6detail15normal_iteratorINSA_7pointerItNSA_11hip_rocprim3tagENSA_11use_defaultESG_EEEEPS6_NSA_18transform_iteratorI7is_evenItENSC_INSA_10device_ptrItEEEESG_SG_EENS0_5tupleIJPtSJ_EEENSR_IJSJ_SJ_EEES6_PlJS6_EEE10hipError_tPvRmT3_T4_T5_T6_T7_T9_mT8_P12ihipStream_tbDpT10_ENKUlT_T0_E_clISt17integral_constantIbLb0EES1E_IbLb1EEEEDaS1A_S1B_EUlS1A_E_NS1_11comp_targetILNS1_3genE0ELNS1_11target_archE4294967295ELNS1_3gpuE0ELNS1_3repE0EEENS1_30default_config_static_selectorELNS0_4arch9wavefront6targetE1EEEvT1_,"axG",@progbits,_ZN7rocprim17ROCPRIM_400000_NS6detail17trampoline_kernelINS0_14default_configENS1_25partition_config_selectorILNS1_17partition_subalgoE2EtNS0_10empty_typeEbEEZZNS1_14partition_implILS5_2ELb0ES3_jN6thrust23THRUST_200600_302600_NS6detail15normal_iteratorINSA_7pointerItNSA_11hip_rocprim3tagENSA_11use_defaultESG_EEEEPS6_NSA_18transform_iteratorI7is_evenItENSC_INSA_10device_ptrItEEEESG_SG_EENS0_5tupleIJPtSJ_EEENSR_IJSJ_SJ_EEES6_PlJS6_EEE10hipError_tPvRmT3_T4_T5_T6_T7_T9_mT8_P12ihipStream_tbDpT10_ENKUlT_T0_E_clISt17integral_constantIbLb0EES1E_IbLb1EEEEDaS1A_S1B_EUlS1A_E_NS1_11comp_targetILNS1_3genE0ELNS1_11target_archE4294967295ELNS1_3gpuE0ELNS1_3repE0EEENS1_30default_config_static_selectorELNS0_4arch9wavefront6targetE1EEEvT1_,comdat
	.protected	_ZN7rocprim17ROCPRIM_400000_NS6detail17trampoline_kernelINS0_14default_configENS1_25partition_config_selectorILNS1_17partition_subalgoE2EtNS0_10empty_typeEbEEZZNS1_14partition_implILS5_2ELb0ES3_jN6thrust23THRUST_200600_302600_NS6detail15normal_iteratorINSA_7pointerItNSA_11hip_rocprim3tagENSA_11use_defaultESG_EEEEPS6_NSA_18transform_iteratorI7is_evenItENSC_INSA_10device_ptrItEEEESG_SG_EENS0_5tupleIJPtSJ_EEENSR_IJSJ_SJ_EEES6_PlJS6_EEE10hipError_tPvRmT3_T4_T5_T6_T7_T9_mT8_P12ihipStream_tbDpT10_ENKUlT_T0_E_clISt17integral_constantIbLb0EES1E_IbLb1EEEEDaS1A_S1B_EUlS1A_E_NS1_11comp_targetILNS1_3genE0ELNS1_11target_archE4294967295ELNS1_3gpuE0ELNS1_3repE0EEENS1_30default_config_static_selectorELNS0_4arch9wavefront6targetE1EEEvT1_ ; -- Begin function _ZN7rocprim17ROCPRIM_400000_NS6detail17trampoline_kernelINS0_14default_configENS1_25partition_config_selectorILNS1_17partition_subalgoE2EtNS0_10empty_typeEbEEZZNS1_14partition_implILS5_2ELb0ES3_jN6thrust23THRUST_200600_302600_NS6detail15normal_iteratorINSA_7pointerItNSA_11hip_rocprim3tagENSA_11use_defaultESG_EEEEPS6_NSA_18transform_iteratorI7is_evenItENSC_INSA_10device_ptrItEEEESG_SG_EENS0_5tupleIJPtSJ_EEENSR_IJSJ_SJ_EEES6_PlJS6_EEE10hipError_tPvRmT3_T4_T5_T6_T7_T9_mT8_P12ihipStream_tbDpT10_ENKUlT_T0_E_clISt17integral_constantIbLb0EES1E_IbLb1EEEEDaS1A_S1B_EUlS1A_E_NS1_11comp_targetILNS1_3genE0ELNS1_11target_archE4294967295ELNS1_3gpuE0ELNS1_3repE0EEENS1_30default_config_static_selectorELNS0_4arch9wavefront6targetE1EEEvT1_
	.globl	_ZN7rocprim17ROCPRIM_400000_NS6detail17trampoline_kernelINS0_14default_configENS1_25partition_config_selectorILNS1_17partition_subalgoE2EtNS0_10empty_typeEbEEZZNS1_14partition_implILS5_2ELb0ES3_jN6thrust23THRUST_200600_302600_NS6detail15normal_iteratorINSA_7pointerItNSA_11hip_rocprim3tagENSA_11use_defaultESG_EEEEPS6_NSA_18transform_iteratorI7is_evenItENSC_INSA_10device_ptrItEEEESG_SG_EENS0_5tupleIJPtSJ_EEENSR_IJSJ_SJ_EEES6_PlJS6_EEE10hipError_tPvRmT3_T4_T5_T6_T7_T9_mT8_P12ihipStream_tbDpT10_ENKUlT_T0_E_clISt17integral_constantIbLb0EES1E_IbLb1EEEEDaS1A_S1B_EUlS1A_E_NS1_11comp_targetILNS1_3genE0ELNS1_11target_archE4294967295ELNS1_3gpuE0ELNS1_3repE0EEENS1_30default_config_static_selectorELNS0_4arch9wavefront6targetE1EEEvT1_
	.p2align	8
	.type	_ZN7rocprim17ROCPRIM_400000_NS6detail17trampoline_kernelINS0_14default_configENS1_25partition_config_selectorILNS1_17partition_subalgoE2EtNS0_10empty_typeEbEEZZNS1_14partition_implILS5_2ELb0ES3_jN6thrust23THRUST_200600_302600_NS6detail15normal_iteratorINSA_7pointerItNSA_11hip_rocprim3tagENSA_11use_defaultESG_EEEEPS6_NSA_18transform_iteratorI7is_evenItENSC_INSA_10device_ptrItEEEESG_SG_EENS0_5tupleIJPtSJ_EEENSR_IJSJ_SJ_EEES6_PlJS6_EEE10hipError_tPvRmT3_T4_T5_T6_T7_T9_mT8_P12ihipStream_tbDpT10_ENKUlT_T0_E_clISt17integral_constantIbLb0EES1E_IbLb1EEEEDaS1A_S1B_EUlS1A_E_NS1_11comp_targetILNS1_3genE0ELNS1_11target_archE4294967295ELNS1_3gpuE0ELNS1_3repE0EEENS1_30default_config_static_selectorELNS0_4arch9wavefront6targetE1EEEvT1_,@function
_ZN7rocprim17ROCPRIM_400000_NS6detail17trampoline_kernelINS0_14default_configENS1_25partition_config_selectorILNS1_17partition_subalgoE2EtNS0_10empty_typeEbEEZZNS1_14partition_implILS5_2ELb0ES3_jN6thrust23THRUST_200600_302600_NS6detail15normal_iteratorINSA_7pointerItNSA_11hip_rocprim3tagENSA_11use_defaultESG_EEEEPS6_NSA_18transform_iteratorI7is_evenItENSC_INSA_10device_ptrItEEEESG_SG_EENS0_5tupleIJPtSJ_EEENSR_IJSJ_SJ_EEES6_PlJS6_EEE10hipError_tPvRmT3_T4_T5_T6_T7_T9_mT8_P12ihipStream_tbDpT10_ENKUlT_T0_E_clISt17integral_constantIbLb0EES1E_IbLb1EEEEDaS1A_S1B_EUlS1A_E_NS1_11comp_targetILNS1_3genE0ELNS1_11target_archE4294967295ELNS1_3gpuE0ELNS1_3repE0EEENS1_30default_config_static_selectorELNS0_4arch9wavefront6targetE1EEEvT1_: ; @_ZN7rocprim17ROCPRIM_400000_NS6detail17trampoline_kernelINS0_14default_configENS1_25partition_config_selectorILNS1_17partition_subalgoE2EtNS0_10empty_typeEbEEZZNS1_14partition_implILS5_2ELb0ES3_jN6thrust23THRUST_200600_302600_NS6detail15normal_iteratorINSA_7pointerItNSA_11hip_rocprim3tagENSA_11use_defaultESG_EEEEPS6_NSA_18transform_iteratorI7is_evenItENSC_INSA_10device_ptrItEEEESG_SG_EENS0_5tupleIJPtSJ_EEENSR_IJSJ_SJ_EEES6_PlJS6_EEE10hipError_tPvRmT3_T4_T5_T6_T7_T9_mT8_P12ihipStream_tbDpT10_ENKUlT_T0_E_clISt17integral_constantIbLb0EES1E_IbLb1EEEEDaS1A_S1B_EUlS1A_E_NS1_11comp_targetILNS1_3genE0ELNS1_11target_archE4294967295ELNS1_3gpuE0ELNS1_3repE0EEENS1_30default_config_static_selectorELNS0_4arch9wavefront6targetE1EEEvT1_
; %bb.0:
	.section	.rodata,"a",@progbits
	.p2align	6, 0x0
	.amdhsa_kernel _ZN7rocprim17ROCPRIM_400000_NS6detail17trampoline_kernelINS0_14default_configENS1_25partition_config_selectorILNS1_17partition_subalgoE2EtNS0_10empty_typeEbEEZZNS1_14partition_implILS5_2ELb0ES3_jN6thrust23THRUST_200600_302600_NS6detail15normal_iteratorINSA_7pointerItNSA_11hip_rocprim3tagENSA_11use_defaultESG_EEEEPS6_NSA_18transform_iteratorI7is_evenItENSC_INSA_10device_ptrItEEEESG_SG_EENS0_5tupleIJPtSJ_EEENSR_IJSJ_SJ_EEES6_PlJS6_EEE10hipError_tPvRmT3_T4_T5_T6_T7_T9_mT8_P12ihipStream_tbDpT10_ENKUlT_T0_E_clISt17integral_constantIbLb0EES1E_IbLb1EEEEDaS1A_S1B_EUlS1A_E_NS1_11comp_targetILNS1_3genE0ELNS1_11target_archE4294967295ELNS1_3gpuE0ELNS1_3repE0EEENS1_30default_config_static_selectorELNS0_4arch9wavefront6targetE1EEEvT1_
		.amdhsa_group_segment_fixed_size 0
		.amdhsa_private_segment_fixed_size 0
		.amdhsa_kernarg_size 144
		.amdhsa_user_sgpr_count 2
		.amdhsa_user_sgpr_dispatch_ptr 0
		.amdhsa_user_sgpr_queue_ptr 0
		.amdhsa_user_sgpr_kernarg_segment_ptr 1
		.amdhsa_user_sgpr_dispatch_id 0
		.amdhsa_user_sgpr_kernarg_preload_length 0
		.amdhsa_user_sgpr_kernarg_preload_offset 0
		.amdhsa_user_sgpr_private_segment_size 0
		.amdhsa_uses_dynamic_stack 0
		.amdhsa_enable_private_segment 0
		.amdhsa_system_sgpr_workgroup_id_x 1
		.amdhsa_system_sgpr_workgroup_id_y 0
		.amdhsa_system_sgpr_workgroup_id_z 0
		.amdhsa_system_sgpr_workgroup_info 0
		.amdhsa_system_vgpr_workitem_id 0
		.amdhsa_next_free_vgpr 1
		.amdhsa_next_free_sgpr 0
		.amdhsa_accum_offset 4
		.amdhsa_reserve_vcc 0
		.amdhsa_float_round_mode_32 0
		.amdhsa_float_round_mode_16_64 0
		.amdhsa_float_denorm_mode_32 3
		.amdhsa_float_denorm_mode_16_64 3
		.amdhsa_dx10_clamp 1
		.amdhsa_ieee_mode 1
		.amdhsa_fp16_overflow 0
		.amdhsa_tg_split 0
		.amdhsa_exception_fp_ieee_invalid_op 0
		.amdhsa_exception_fp_denorm_src 0
		.amdhsa_exception_fp_ieee_div_zero 0
		.amdhsa_exception_fp_ieee_overflow 0
		.amdhsa_exception_fp_ieee_underflow 0
		.amdhsa_exception_fp_ieee_inexact 0
		.amdhsa_exception_int_div_zero 0
	.end_amdhsa_kernel
	.section	.text._ZN7rocprim17ROCPRIM_400000_NS6detail17trampoline_kernelINS0_14default_configENS1_25partition_config_selectorILNS1_17partition_subalgoE2EtNS0_10empty_typeEbEEZZNS1_14partition_implILS5_2ELb0ES3_jN6thrust23THRUST_200600_302600_NS6detail15normal_iteratorINSA_7pointerItNSA_11hip_rocprim3tagENSA_11use_defaultESG_EEEEPS6_NSA_18transform_iteratorI7is_evenItENSC_INSA_10device_ptrItEEEESG_SG_EENS0_5tupleIJPtSJ_EEENSR_IJSJ_SJ_EEES6_PlJS6_EEE10hipError_tPvRmT3_T4_T5_T6_T7_T9_mT8_P12ihipStream_tbDpT10_ENKUlT_T0_E_clISt17integral_constantIbLb0EES1E_IbLb1EEEEDaS1A_S1B_EUlS1A_E_NS1_11comp_targetILNS1_3genE0ELNS1_11target_archE4294967295ELNS1_3gpuE0ELNS1_3repE0EEENS1_30default_config_static_selectorELNS0_4arch9wavefront6targetE1EEEvT1_,"axG",@progbits,_ZN7rocprim17ROCPRIM_400000_NS6detail17trampoline_kernelINS0_14default_configENS1_25partition_config_selectorILNS1_17partition_subalgoE2EtNS0_10empty_typeEbEEZZNS1_14partition_implILS5_2ELb0ES3_jN6thrust23THRUST_200600_302600_NS6detail15normal_iteratorINSA_7pointerItNSA_11hip_rocprim3tagENSA_11use_defaultESG_EEEEPS6_NSA_18transform_iteratorI7is_evenItENSC_INSA_10device_ptrItEEEESG_SG_EENS0_5tupleIJPtSJ_EEENSR_IJSJ_SJ_EEES6_PlJS6_EEE10hipError_tPvRmT3_T4_T5_T6_T7_T9_mT8_P12ihipStream_tbDpT10_ENKUlT_T0_E_clISt17integral_constantIbLb0EES1E_IbLb1EEEEDaS1A_S1B_EUlS1A_E_NS1_11comp_targetILNS1_3genE0ELNS1_11target_archE4294967295ELNS1_3gpuE0ELNS1_3repE0EEENS1_30default_config_static_selectorELNS0_4arch9wavefront6targetE1EEEvT1_,comdat
.Lfunc_end2094:
	.size	_ZN7rocprim17ROCPRIM_400000_NS6detail17trampoline_kernelINS0_14default_configENS1_25partition_config_selectorILNS1_17partition_subalgoE2EtNS0_10empty_typeEbEEZZNS1_14partition_implILS5_2ELb0ES3_jN6thrust23THRUST_200600_302600_NS6detail15normal_iteratorINSA_7pointerItNSA_11hip_rocprim3tagENSA_11use_defaultESG_EEEEPS6_NSA_18transform_iteratorI7is_evenItENSC_INSA_10device_ptrItEEEESG_SG_EENS0_5tupleIJPtSJ_EEENSR_IJSJ_SJ_EEES6_PlJS6_EEE10hipError_tPvRmT3_T4_T5_T6_T7_T9_mT8_P12ihipStream_tbDpT10_ENKUlT_T0_E_clISt17integral_constantIbLb0EES1E_IbLb1EEEEDaS1A_S1B_EUlS1A_E_NS1_11comp_targetILNS1_3genE0ELNS1_11target_archE4294967295ELNS1_3gpuE0ELNS1_3repE0EEENS1_30default_config_static_selectorELNS0_4arch9wavefront6targetE1EEEvT1_, .Lfunc_end2094-_ZN7rocprim17ROCPRIM_400000_NS6detail17trampoline_kernelINS0_14default_configENS1_25partition_config_selectorILNS1_17partition_subalgoE2EtNS0_10empty_typeEbEEZZNS1_14partition_implILS5_2ELb0ES3_jN6thrust23THRUST_200600_302600_NS6detail15normal_iteratorINSA_7pointerItNSA_11hip_rocprim3tagENSA_11use_defaultESG_EEEEPS6_NSA_18transform_iteratorI7is_evenItENSC_INSA_10device_ptrItEEEESG_SG_EENS0_5tupleIJPtSJ_EEENSR_IJSJ_SJ_EEES6_PlJS6_EEE10hipError_tPvRmT3_T4_T5_T6_T7_T9_mT8_P12ihipStream_tbDpT10_ENKUlT_T0_E_clISt17integral_constantIbLb0EES1E_IbLb1EEEEDaS1A_S1B_EUlS1A_E_NS1_11comp_targetILNS1_3genE0ELNS1_11target_archE4294967295ELNS1_3gpuE0ELNS1_3repE0EEENS1_30default_config_static_selectorELNS0_4arch9wavefront6targetE1EEEvT1_
                                        ; -- End function
	.section	.AMDGPU.csdata,"",@progbits
; Kernel info:
; codeLenInByte = 0
; NumSgprs: 6
; NumVgprs: 0
; NumAgprs: 0
; TotalNumVgprs: 0
; ScratchSize: 0
; MemoryBound: 0
; FloatMode: 240
; IeeeMode: 1
; LDSByteSize: 0 bytes/workgroup (compile time only)
; SGPRBlocks: 0
; VGPRBlocks: 0
; NumSGPRsForWavesPerEU: 6
; NumVGPRsForWavesPerEU: 1
; AccumOffset: 4
; Occupancy: 8
; WaveLimiterHint : 0
; COMPUTE_PGM_RSRC2:SCRATCH_EN: 0
; COMPUTE_PGM_RSRC2:USER_SGPR: 2
; COMPUTE_PGM_RSRC2:TRAP_HANDLER: 0
; COMPUTE_PGM_RSRC2:TGID_X_EN: 1
; COMPUTE_PGM_RSRC2:TGID_Y_EN: 0
; COMPUTE_PGM_RSRC2:TGID_Z_EN: 0
; COMPUTE_PGM_RSRC2:TIDIG_COMP_CNT: 0
; COMPUTE_PGM_RSRC3_GFX90A:ACCUM_OFFSET: 0
; COMPUTE_PGM_RSRC3_GFX90A:TG_SPLIT: 0
	.section	.text._ZN7rocprim17ROCPRIM_400000_NS6detail17trampoline_kernelINS0_14default_configENS1_25partition_config_selectorILNS1_17partition_subalgoE2EtNS0_10empty_typeEbEEZZNS1_14partition_implILS5_2ELb0ES3_jN6thrust23THRUST_200600_302600_NS6detail15normal_iteratorINSA_7pointerItNSA_11hip_rocprim3tagENSA_11use_defaultESG_EEEEPS6_NSA_18transform_iteratorI7is_evenItENSC_INSA_10device_ptrItEEEESG_SG_EENS0_5tupleIJPtSJ_EEENSR_IJSJ_SJ_EEES6_PlJS6_EEE10hipError_tPvRmT3_T4_T5_T6_T7_T9_mT8_P12ihipStream_tbDpT10_ENKUlT_T0_E_clISt17integral_constantIbLb0EES1E_IbLb1EEEEDaS1A_S1B_EUlS1A_E_NS1_11comp_targetILNS1_3genE5ELNS1_11target_archE942ELNS1_3gpuE9ELNS1_3repE0EEENS1_30default_config_static_selectorELNS0_4arch9wavefront6targetE1EEEvT1_,"axG",@progbits,_ZN7rocprim17ROCPRIM_400000_NS6detail17trampoline_kernelINS0_14default_configENS1_25partition_config_selectorILNS1_17partition_subalgoE2EtNS0_10empty_typeEbEEZZNS1_14partition_implILS5_2ELb0ES3_jN6thrust23THRUST_200600_302600_NS6detail15normal_iteratorINSA_7pointerItNSA_11hip_rocprim3tagENSA_11use_defaultESG_EEEEPS6_NSA_18transform_iteratorI7is_evenItENSC_INSA_10device_ptrItEEEESG_SG_EENS0_5tupleIJPtSJ_EEENSR_IJSJ_SJ_EEES6_PlJS6_EEE10hipError_tPvRmT3_T4_T5_T6_T7_T9_mT8_P12ihipStream_tbDpT10_ENKUlT_T0_E_clISt17integral_constantIbLb0EES1E_IbLb1EEEEDaS1A_S1B_EUlS1A_E_NS1_11comp_targetILNS1_3genE5ELNS1_11target_archE942ELNS1_3gpuE9ELNS1_3repE0EEENS1_30default_config_static_selectorELNS0_4arch9wavefront6targetE1EEEvT1_,comdat
	.protected	_ZN7rocprim17ROCPRIM_400000_NS6detail17trampoline_kernelINS0_14default_configENS1_25partition_config_selectorILNS1_17partition_subalgoE2EtNS0_10empty_typeEbEEZZNS1_14partition_implILS5_2ELb0ES3_jN6thrust23THRUST_200600_302600_NS6detail15normal_iteratorINSA_7pointerItNSA_11hip_rocprim3tagENSA_11use_defaultESG_EEEEPS6_NSA_18transform_iteratorI7is_evenItENSC_INSA_10device_ptrItEEEESG_SG_EENS0_5tupleIJPtSJ_EEENSR_IJSJ_SJ_EEES6_PlJS6_EEE10hipError_tPvRmT3_T4_T5_T6_T7_T9_mT8_P12ihipStream_tbDpT10_ENKUlT_T0_E_clISt17integral_constantIbLb0EES1E_IbLb1EEEEDaS1A_S1B_EUlS1A_E_NS1_11comp_targetILNS1_3genE5ELNS1_11target_archE942ELNS1_3gpuE9ELNS1_3repE0EEENS1_30default_config_static_selectorELNS0_4arch9wavefront6targetE1EEEvT1_ ; -- Begin function _ZN7rocprim17ROCPRIM_400000_NS6detail17trampoline_kernelINS0_14default_configENS1_25partition_config_selectorILNS1_17partition_subalgoE2EtNS0_10empty_typeEbEEZZNS1_14partition_implILS5_2ELb0ES3_jN6thrust23THRUST_200600_302600_NS6detail15normal_iteratorINSA_7pointerItNSA_11hip_rocprim3tagENSA_11use_defaultESG_EEEEPS6_NSA_18transform_iteratorI7is_evenItENSC_INSA_10device_ptrItEEEESG_SG_EENS0_5tupleIJPtSJ_EEENSR_IJSJ_SJ_EEES6_PlJS6_EEE10hipError_tPvRmT3_T4_T5_T6_T7_T9_mT8_P12ihipStream_tbDpT10_ENKUlT_T0_E_clISt17integral_constantIbLb0EES1E_IbLb1EEEEDaS1A_S1B_EUlS1A_E_NS1_11comp_targetILNS1_3genE5ELNS1_11target_archE942ELNS1_3gpuE9ELNS1_3repE0EEENS1_30default_config_static_selectorELNS0_4arch9wavefront6targetE1EEEvT1_
	.globl	_ZN7rocprim17ROCPRIM_400000_NS6detail17trampoline_kernelINS0_14default_configENS1_25partition_config_selectorILNS1_17partition_subalgoE2EtNS0_10empty_typeEbEEZZNS1_14partition_implILS5_2ELb0ES3_jN6thrust23THRUST_200600_302600_NS6detail15normal_iteratorINSA_7pointerItNSA_11hip_rocprim3tagENSA_11use_defaultESG_EEEEPS6_NSA_18transform_iteratorI7is_evenItENSC_INSA_10device_ptrItEEEESG_SG_EENS0_5tupleIJPtSJ_EEENSR_IJSJ_SJ_EEES6_PlJS6_EEE10hipError_tPvRmT3_T4_T5_T6_T7_T9_mT8_P12ihipStream_tbDpT10_ENKUlT_T0_E_clISt17integral_constantIbLb0EES1E_IbLb1EEEEDaS1A_S1B_EUlS1A_E_NS1_11comp_targetILNS1_3genE5ELNS1_11target_archE942ELNS1_3gpuE9ELNS1_3repE0EEENS1_30default_config_static_selectorELNS0_4arch9wavefront6targetE1EEEvT1_
	.p2align	8
	.type	_ZN7rocprim17ROCPRIM_400000_NS6detail17trampoline_kernelINS0_14default_configENS1_25partition_config_selectorILNS1_17partition_subalgoE2EtNS0_10empty_typeEbEEZZNS1_14partition_implILS5_2ELb0ES3_jN6thrust23THRUST_200600_302600_NS6detail15normal_iteratorINSA_7pointerItNSA_11hip_rocprim3tagENSA_11use_defaultESG_EEEEPS6_NSA_18transform_iteratorI7is_evenItENSC_INSA_10device_ptrItEEEESG_SG_EENS0_5tupleIJPtSJ_EEENSR_IJSJ_SJ_EEES6_PlJS6_EEE10hipError_tPvRmT3_T4_T5_T6_T7_T9_mT8_P12ihipStream_tbDpT10_ENKUlT_T0_E_clISt17integral_constantIbLb0EES1E_IbLb1EEEEDaS1A_S1B_EUlS1A_E_NS1_11comp_targetILNS1_3genE5ELNS1_11target_archE942ELNS1_3gpuE9ELNS1_3repE0EEENS1_30default_config_static_selectorELNS0_4arch9wavefront6targetE1EEEvT1_,@function
_ZN7rocprim17ROCPRIM_400000_NS6detail17trampoline_kernelINS0_14default_configENS1_25partition_config_selectorILNS1_17partition_subalgoE2EtNS0_10empty_typeEbEEZZNS1_14partition_implILS5_2ELb0ES3_jN6thrust23THRUST_200600_302600_NS6detail15normal_iteratorINSA_7pointerItNSA_11hip_rocprim3tagENSA_11use_defaultESG_EEEEPS6_NSA_18transform_iteratorI7is_evenItENSC_INSA_10device_ptrItEEEESG_SG_EENS0_5tupleIJPtSJ_EEENSR_IJSJ_SJ_EEES6_PlJS6_EEE10hipError_tPvRmT3_T4_T5_T6_T7_T9_mT8_P12ihipStream_tbDpT10_ENKUlT_T0_E_clISt17integral_constantIbLb0EES1E_IbLb1EEEEDaS1A_S1B_EUlS1A_E_NS1_11comp_targetILNS1_3genE5ELNS1_11target_archE942ELNS1_3gpuE9ELNS1_3repE0EEENS1_30default_config_static_selectorELNS0_4arch9wavefront6targetE1EEEvT1_: ; @_ZN7rocprim17ROCPRIM_400000_NS6detail17trampoline_kernelINS0_14default_configENS1_25partition_config_selectorILNS1_17partition_subalgoE2EtNS0_10empty_typeEbEEZZNS1_14partition_implILS5_2ELb0ES3_jN6thrust23THRUST_200600_302600_NS6detail15normal_iteratorINSA_7pointerItNSA_11hip_rocprim3tagENSA_11use_defaultESG_EEEEPS6_NSA_18transform_iteratorI7is_evenItENSC_INSA_10device_ptrItEEEESG_SG_EENS0_5tupleIJPtSJ_EEENSR_IJSJ_SJ_EEES6_PlJS6_EEE10hipError_tPvRmT3_T4_T5_T6_T7_T9_mT8_P12ihipStream_tbDpT10_ENKUlT_T0_E_clISt17integral_constantIbLb0EES1E_IbLb1EEEEDaS1A_S1B_EUlS1A_E_NS1_11comp_targetILNS1_3genE5ELNS1_11target_archE942ELNS1_3gpuE9ELNS1_3repE0EEENS1_30default_config_static_selectorELNS0_4arch9wavefront6targetE1EEEvT1_
; %bb.0:
	s_load_dwordx2 s[2:3], s[0:1], 0x20
	s_load_dwordx2 s[28:29], s[0:1], 0x30
	;; [unrolled: 1-line block ×3, first 2 shown]
	s_load_dwordx4 s[20:23], s[0:1], 0x50
	s_load_dwordx2 s[36:37], s[0:1], 0x70
	v_cmp_eq_u32_e64 s[18:19], 0, v0
	s_and_saveexec_b64 s[4:5], s[18:19]
	s_cbranch_execz .LBB2095_4
; %bb.1:
	s_mov_b64 s[8:9], exec
	v_mbcnt_lo_u32_b32 v1, s8, 0
	v_mbcnt_hi_u32_b32 v1, s9, v1
	v_cmp_eq_u32_e32 vcc, 0, v1
                                        ; implicit-def: $vgpr2
	s_and_saveexec_b64 s[6:7], vcc
	s_cbranch_execz .LBB2095_3
; %bb.2:
	s_load_dwordx2 s[10:11], s[0:1], 0x80
	s_bcnt1_i32_b64 s8, s[8:9]
	v_mov_b32_e32 v2, 0
	v_mov_b32_e32 v3, s8
	s_waitcnt lgkmcnt(0)
	global_atomic_add v2, v2, v3, s[10:11] sc0
.LBB2095_3:
	s_or_b64 exec, exec, s[6:7]
	s_waitcnt vmcnt(0)
	v_readfirstlane_b32 s6, v2
	v_mov_b32_e32 v2, 0
	s_nop 0
	v_add_u32_e32 v1, s6, v1
	ds_write_b32 v2, v1
.LBB2095_4:
	s_or_b64 exec, exec, s[4:5]
	v_mov_b32_e32 v13, 0
	s_load_dwordx4 s[24:27], s[0:1], 0x8
	s_load_dword s6, s[0:1], 0x78
	s_waitcnt lgkmcnt(0)
	s_barrier
	ds_read_b32 v1, v13
	s_waitcnt lgkmcnt(0)
	s_barrier
	global_load_dwordx2 v[14:15], v13, s[22:23]
	s_lshl_b64 s[4:5], s[26:27], 1
	s_add_u32 s8, s24, s4
	s_mul_i32 s0, s6, 0x3c00
	s_addc_u32 s9, s25, s5
	s_add_i32 s1, s0, s26
	s_sub_i32 s33, s30, s1
	s_add_i32 s7, s6, -1
	s_addk_i32 s33, 0x3c00
	s_add_u32 s0, s26, s0
	v_readfirstlane_b32 s42, v1
	s_addc_u32 s1, s27, 0
	s_cmp_eq_u32 s42, s7
	v_mov_b64_e32 v[2:3], s[30:31]
	s_cselect_b64 s[22:23], -1, 0
	s_cmp_lg_u32 s42, s7
	s_mul_i32 s24, s42, 0x3c00
	s_mov_b32 s25, 0
	v_cmp_lt_u64_e32 vcc, s[0:1], v[2:3]
	s_cselect_b64 s[0:1], -1, 0
	s_or_b64 s[34:35], vcc, s[0:1]
	s_lshl_b64 s[6:7], s[24:25], 1
	s_add_u32 s8, s8, s6
	s_addc_u32 s9, s9, s7
	s_mov_b64 s[0:1], -1
	s_and_b64 vcc, exec, s[34:35]
	v_lshlrev_b32_e32 v12, 1, v0
	s_cbranch_vccz .LBB2095_6
; %bb.5:
	v_lshl_add_u64 v[2:3], s[8:9], 0, v[12:13]
	v_add_co_u32_e32 v4, vcc, 0x1000, v2
	s_mov_b64 s[0:1], 0
	s_nop 0
	v_addc_co_u32_e32 v5, vcc, 0, v3, vcc
	flat_load_ushort v1, v[2:3]
	flat_load_ushort v8, v[2:3] offset:1024
	flat_load_ushort v9, v[2:3] offset:2048
	flat_load_ushort v10, v[2:3] offset:3072
	flat_load_ushort v11, v[4:5]
	flat_load_ushort v13, v[4:5] offset:1024
	flat_load_ushort v16, v[4:5] offset:2048
	flat_load_ushort v17, v[4:5] offset:3072
	v_add_co_u32_e32 v4, vcc, 0x2000, v2
	s_nop 1
	v_addc_co_u32_e32 v5, vcc, 0, v3, vcc
	v_add_co_u32_e32 v6, vcc, 0x3000, v2
	s_nop 1
	v_addc_co_u32_e32 v7, vcc, 0, v3, vcc
	flat_load_ushort v18, v[4:5]
	flat_load_ushort v19, v[4:5] offset:1024
	flat_load_ushort v20, v[4:5] offset:2048
	flat_load_ushort v21, v[4:5] offset:3072
	flat_load_ushort v22, v[6:7]
	flat_load_ushort v23, v[6:7] offset:1024
	flat_load_ushort v24, v[6:7] offset:2048
	flat_load_ushort v25, v[6:7] offset:3072
	v_add_co_u32_e32 v4, vcc, 0x4000, v2
	s_nop 1
	v_addc_co_u32_e32 v5, vcc, 0, v3, vcc
	v_add_co_u32_e32 v6, vcc, 0x5000, v2
	;; [unrolled: 14-line block ×3, first 2 shown]
	s_nop 1
	v_addc_co_u32_e32 v3, vcc, 0, v3, vcc
	flat_load_ushort v6, v[4:5]
	flat_load_ushort v7, v[4:5] offset:1024
	flat_load_ushort v34, v[4:5] offset:2048
	;; [unrolled: 1-line block ×3, first 2 shown]
	flat_load_ushort v36, v[2:3]
	flat_load_ushort v37, v[2:3] offset:1024
	s_waitcnt vmcnt(0) lgkmcnt(0)
	ds_write_b16 v12, v1
	ds_write_b16 v12, v8 offset:1024
	ds_write_b16 v12, v9 offset:2048
	;; [unrolled: 1-line block ×29, first 2 shown]
	s_waitcnt lgkmcnt(0)
	s_barrier
.LBB2095_6:
	s_andn2_b64 vcc, exec, s[0:1]
	v_cmp_gt_u32_e64 s[0:1], s33, v0
	s_cbranch_vccnz .LBB2095_68
; %bb.7:
                                        ; implicit-def: $vgpr1
	s_and_saveexec_b64 s[10:11], s[0:1]
	s_cbranch_execz .LBB2095_9
; %bb.8:
	v_mov_b32_e32 v13, 0
	v_lshl_add_u64 v[2:3], s[8:9], 0, v[12:13]
	flat_load_ushort v1, v[2:3]
.LBB2095_9:
	s_or_b64 exec, exec, s[10:11]
	v_or_b32_e32 v2, 0x200, v0
	v_cmp_gt_u32_e32 vcc, s33, v2
                                        ; implicit-def: $vgpr2
	s_and_saveexec_b64 s[0:1], vcc
	s_cbranch_execz .LBB2095_11
; %bb.10:
	v_mov_b32_e32 v13, 0
	v_lshl_add_u64 v[2:3], s[8:9], 0, v[12:13]
	flat_load_ushort v2, v[2:3] offset:1024
.LBB2095_11:
	s_or_b64 exec, exec, s[0:1]
	v_or_b32_e32 v3, 0x400, v0
	v_cmp_gt_u32_e32 vcc, s33, v3
                                        ; implicit-def: $vgpr3
	s_and_saveexec_b64 s[0:1], vcc
	s_cbranch_execz .LBB2095_13
; %bb.12:
	v_mov_b32_e32 v13, 0
	v_lshl_add_u64 v[4:5], s[8:9], 0, v[12:13]
	flat_load_ushort v3, v[4:5] offset:2048
.LBB2095_13:
	s_or_b64 exec, exec, s[0:1]
	v_or_b32_e32 v4, 0x600, v0
	v_cmp_gt_u32_e32 vcc, s33, v4
                                        ; implicit-def: $vgpr4
	s_and_saveexec_b64 s[0:1], vcc
	s_cbranch_execz .LBB2095_15
; %bb.14:
	v_mov_b32_e32 v13, 0
	v_lshl_add_u64 v[4:5], s[8:9], 0, v[12:13]
	flat_load_ushort v4, v[4:5] offset:3072
.LBB2095_15:
	s_or_b64 exec, exec, s[0:1]
	v_or_b32_e32 v6, 0x800, v0
	v_cmp_gt_u32_e32 vcc, s33, v6
                                        ; implicit-def: $vgpr5
	s_and_saveexec_b64 s[0:1], vcc
	s_cbranch_execz .LBB2095_17
; %bb.16:
	v_lshlrev_b32_e32 v6, 1, v6
	v_mov_b32_e32 v7, 0
	v_lshl_add_u64 v[6:7], s[8:9], 0, v[6:7]
	flat_load_ushort v5, v[6:7]
.LBB2095_17:
	s_or_b64 exec, exec, s[0:1]
	v_or_b32_e32 v7, 0xa00, v0
	v_cmp_gt_u32_e32 vcc, s33, v7
                                        ; implicit-def: $vgpr6
	s_and_saveexec_b64 s[0:1], vcc
	s_cbranch_execz .LBB2095_19
; %bb.18:
	v_lshlrev_b32_e32 v6, 1, v7
	v_mov_b32_e32 v7, 0
	v_lshl_add_u64 v[6:7], s[8:9], 0, v[6:7]
	flat_load_ushort v6, v[6:7]
.LBB2095_19:
	s_or_b64 exec, exec, s[0:1]
	v_or_b32_e32 v8, 0xc00, v0
	v_cmp_gt_u32_e32 vcc, s33, v8
                                        ; implicit-def: $vgpr7
	s_and_saveexec_b64 s[0:1], vcc
	s_cbranch_execz .LBB2095_21
; %bb.20:
	v_lshlrev_b32_e32 v8, 1, v8
	v_mov_b32_e32 v9, 0
	v_lshl_add_u64 v[8:9], s[8:9], 0, v[8:9]
	flat_load_ushort v7, v[8:9]
.LBB2095_21:
	s_or_b64 exec, exec, s[0:1]
	v_or_b32_e32 v9, 0xe00, v0
	v_cmp_gt_u32_e32 vcc, s33, v9
                                        ; implicit-def: $vgpr8
	s_and_saveexec_b64 s[0:1], vcc
	s_cbranch_execz .LBB2095_23
; %bb.22:
	v_lshlrev_b32_e32 v8, 1, v9
	v_mov_b32_e32 v9, 0
	v_lshl_add_u64 v[8:9], s[8:9], 0, v[8:9]
	flat_load_ushort v8, v[8:9]
.LBB2095_23:
	s_or_b64 exec, exec, s[0:1]
	v_or_b32_e32 v10, 0x1000, v0
	v_cmp_gt_u32_e32 vcc, s33, v10
                                        ; implicit-def: $vgpr9
	s_and_saveexec_b64 s[0:1], vcc
	s_cbranch_execz .LBB2095_25
; %bb.24:
	v_lshlrev_b32_e32 v10, 1, v10
	v_mov_b32_e32 v11, 0
	v_lshl_add_u64 v[10:11], s[8:9], 0, v[10:11]
	flat_load_ushort v9, v[10:11]
.LBB2095_25:
	s_or_b64 exec, exec, s[0:1]
	v_or_b32_e32 v11, 0x1200, v0
	v_cmp_gt_u32_e32 vcc, s33, v11
                                        ; implicit-def: $vgpr10
	s_and_saveexec_b64 s[0:1], vcc
	s_cbranch_execz .LBB2095_27
; %bb.26:
	v_lshlrev_b32_e32 v10, 1, v11
	v_mov_b32_e32 v11, 0
	v_lshl_add_u64 v[10:11], s[8:9], 0, v[10:11]
	flat_load_ushort v10, v[10:11]
.LBB2095_27:
	s_or_b64 exec, exec, s[0:1]
	v_or_b32_e32 v13, 0x1400, v0
	v_cmp_gt_u32_e32 vcc, s33, v13
                                        ; implicit-def: $vgpr11
	s_and_saveexec_b64 s[0:1], vcc
	s_cbranch_execz .LBB2095_29
; %bb.28:
	v_lshlrev_b32_e32 v16, 1, v13
	v_mov_b32_e32 v17, 0
	v_lshl_add_u64 v[16:17], s[8:9], 0, v[16:17]
	flat_load_ushort v11, v[16:17]
.LBB2095_29:
	s_or_b64 exec, exec, s[0:1]
	v_or_b32_e32 v16, 0x1600, v0
	v_cmp_gt_u32_e32 vcc, s33, v16
                                        ; implicit-def: $vgpr13
	s_and_saveexec_b64 s[0:1], vcc
	s_cbranch_execz .LBB2095_31
; %bb.30:
	v_lshlrev_b32_e32 v16, 1, v16
	v_mov_b32_e32 v17, 0
	v_lshl_add_u64 v[16:17], s[8:9], 0, v[16:17]
	flat_load_ushort v13, v[16:17]
.LBB2095_31:
	s_or_b64 exec, exec, s[0:1]
	v_or_b32_e32 v17, 0x1800, v0
	v_cmp_gt_u32_e32 vcc, s33, v17
                                        ; implicit-def: $vgpr16
	s_and_saveexec_b64 s[0:1], vcc
	s_cbranch_execz .LBB2095_33
; %bb.32:
	v_lshlrev_b32_e32 v16, 1, v17
	v_mov_b32_e32 v17, 0
	v_lshl_add_u64 v[16:17], s[8:9], 0, v[16:17]
	flat_load_ushort v16, v[16:17]
.LBB2095_33:
	s_or_b64 exec, exec, s[0:1]
	v_or_b32_e32 v18, 0x1a00, v0
	v_cmp_gt_u32_e32 vcc, s33, v18
                                        ; implicit-def: $vgpr17
	s_and_saveexec_b64 s[0:1], vcc
	s_cbranch_execz .LBB2095_35
; %bb.34:
	v_lshlrev_b32_e32 v18, 1, v18
	v_mov_b32_e32 v19, 0
	v_lshl_add_u64 v[18:19], s[8:9], 0, v[18:19]
	flat_load_ushort v17, v[18:19]
.LBB2095_35:
	s_or_b64 exec, exec, s[0:1]
	v_or_b32_e32 v19, 0x1c00, v0
	v_cmp_gt_u32_e32 vcc, s33, v19
                                        ; implicit-def: $vgpr18
	s_and_saveexec_b64 s[0:1], vcc
	s_cbranch_execz .LBB2095_37
; %bb.36:
	v_lshlrev_b32_e32 v18, 1, v19
	v_mov_b32_e32 v19, 0
	v_lshl_add_u64 v[18:19], s[8:9], 0, v[18:19]
	flat_load_ushort v18, v[18:19]
.LBB2095_37:
	s_or_b64 exec, exec, s[0:1]
	v_or_b32_e32 v20, 0x1e00, v0
	v_cmp_gt_u32_e32 vcc, s33, v20
                                        ; implicit-def: $vgpr19
	s_and_saveexec_b64 s[0:1], vcc
	s_cbranch_execz .LBB2095_39
; %bb.38:
	v_lshlrev_b32_e32 v20, 1, v20
	v_mov_b32_e32 v21, 0
	v_lshl_add_u64 v[20:21], s[8:9], 0, v[20:21]
	flat_load_ushort v19, v[20:21]
.LBB2095_39:
	s_or_b64 exec, exec, s[0:1]
	v_or_b32_e32 v21, 0x2000, v0
	v_cmp_gt_u32_e32 vcc, s33, v21
                                        ; implicit-def: $vgpr20
	s_and_saveexec_b64 s[0:1], vcc
	s_cbranch_execz .LBB2095_41
; %bb.40:
	v_lshlrev_b32_e32 v20, 1, v21
	v_mov_b32_e32 v21, 0
	v_lshl_add_u64 v[20:21], s[8:9], 0, v[20:21]
	flat_load_ushort v20, v[20:21]
.LBB2095_41:
	s_or_b64 exec, exec, s[0:1]
	v_or_b32_e32 v22, 0x2200, v0
	v_cmp_gt_u32_e32 vcc, s33, v22
                                        ; implicit-def: $vgpr21
	s_and_saveexec_b64 s[0:1], vcc
	s_cbranch_execz .LBB2095_43
; %bb.42:
	v_lshlrev_b32_e32 v22, 1, v22
	v_mov_b32_e32 v23, 0
	v_lshl_add_u64 v[22:23], s[8:9], 0, v[22:23]
	flat_load_ushort v21, v[22:23]
.LBB2095_43:
	s_or_b64 exec, exec, s[0:1]
	v_or_b32_e32 v23, 0x2400, v0
	v_cmp_gt_u32_e32 vcc, s33, v23
                                        ; implicit-def: $vgpr22
	s_and_saveexec_b64 s[0:1], vcc
	s_cbranch_execz .LBB2095_45
; %bb.44:
	v_lshlrev_b32_e32 v22, 1, v23
	v_mov_b32_e32 v23, 0
	v_lshl_add_u64 v[22:23], s[8:9], 0, v[22:23]
	flat_load_ushort v22, v[22:23]
.LBB2095_45:
	s_or_b64 exec, exec, s[0:1]
	v_or_b32_e32 v24, 0x2600, v0
	v_cmp_gt_u32_e32 vcc, s33, v24
                                        ; implicit-def: $vgpr23
	s_and_saveexec_b64 s[0:1], vcc
	s_cbranch_execz .LBB2095_47
; %bb.46:
	v_lshlrev_b32_e32 v24, 1, v24
	v_mov_b32_e32 v25, 0
	v_lshl_add_u64 v[24:25], s[8:9], 0, v[24:25]
	flat_load_ushort v23, v[24:25]
.LBB2095_47:
	s_or_b64 exec, exec, s[0:1]
	v_or_b32_e32 v25, 0x2800, v0
	v_cmp_gt_u32_e32 vcc, s33, v25
                                        ; implicit-def: $vgpr24
	s_and_saveexec_b64 s[0:1], vcc
	s_cbranch_execz .LBB2095_49
; %bb.48:
	v_lshlrev_b32_e32 v24, 1, v25
	v_mov_b32_e32 v25, 0
	v_lshl_add_u64 v[24:25], s[8:9], 0, v[24:25]
	flat_load_ushort v24, v[24:25]
.LBB2095_49:
	s_or_b64 exec, exec, s[0:1]
	v_or_b32_e32 v26, 0x2a00, v0
	v_cmp_gt_u32_e32 vcc, s33, v26
                                        ; implicit-def: $vgpr25
	s_and_saveexec_b64 s[0:1], vcc
	s_cbranch_execz .LBB2095_51
; %bb.50:
	v_lshlrev_b32_e32 v26, 1, v26
	v_mov_b32_e32 v27, 0
	v_lshl_add_u64 v[26:27], s[8:9], 0, v[26:27]
	flat_load_ushort v25, v[26:27]
.LBB2095_51:
	s_or_b64 exec, exec, s[0:1]
	v_or_b32_e32 v27, 0x2c00, v0
	v_cmp_gt_u32_e32 vcc, s33, v27
                                        ; implicit-def: $vgpr26
	s_and_saveexec_b64 s[0:1], vcc
	s_cbranch_execz .LBB2095_53
; %bb.52:
	v_lshlrev_b32_e32 v26, 1, v27
	v_mov_b32_e32 v27, 0
	v_lshl_add_u64 v[26:27], s[8:9], 0, v[26:27]
	flat_load_ushort v26, v[26:27]
.LBB2095_53:
	s_or_b64 exec, exec, s[0:1]
	v_or_b32_e32 v28, 0x2e00, v0
	v_cmp_gt_u32_e32 vcc, s33, v28
                                        ; implicit-def: $vgpr27
	s_and_saveexec_b64 s[0:1], vcc
	s_cbranch_execz .LBB2095_55
; %bb.54:
	v_lshlrev_b32_e32 v28, 1, v28
	v_mov_b32_e32 v29, 0
	v_lshl_add_u64 v[28:29], s[8:9], 0, v[28:29]
	flat_load_ushort v27, v[28:29]
.LBB2095_55:
	s_or_b64 exec, exec, s[0:1]
	v_or_b32_e32 v29, 0x3000, v0
	v_cmp_gt_u32_e32 vcc, s33, v29
                                        ; implicit-def: $vgpr28
	s_and_saveexec_b64 s[0:1], vcc
	s_cbranch_execz .LBB2095_57
; %bb.56:
	v_lshlrev_b32_e32 v28, 1, v29
	v_mov_b32_e32 v29, 0
	v_lshl_add_u64 v[28:29], s[8:9], 0, v[28:29]
	flat_load_ushort v28, v[28:29]
.LBB2095_57:
	s_or_b64 exec, exec, s[0:1]
	v_or_b32_e32 v30, 0x3200, v0
	v_cmp_gt_u32_e32 vcc, s33, v30
                                        ; implicit-def: $vgpr29
	s_and_saveexec_b64 s[0:1], vcc
	s_cbranch_execz .LBB2095_59
; %bb.58:
	v_lshlrev_b32_e32 v30, 1, v30
	v_mov_b32_e32 v31, 0
	v_lshl_add_u64 v[30:31], s[8:9], 0, v[30:31]
	flat_load_ushort v29, v[30:31]
.LBB2095_59:
	s_or_b64 exec, exec, s[0:1]
	v_or_b32_e32 v31, 0x3400, v0
	v_cmp_gt_u32_e32 vcc, s33, v31
                                        ; implicit-def: $vgpr30
	s_and_saveexec_b64 s[0:1], vcc
	s_cbranch_execz .LBB2095_61
; %bb.60:
	v_lshlrev_b32_e32 v30, 1, v31
	v_mov_b32_e32 v31, 0
	v_lshl_add_u64 v[30:31], s[8:9], 0, v[30:31]
	flat_load_ushort v30, v[30:31]
.LBB2095_61:
	s_or_b64 exec, exec, s[0:1]
	v_or_b32_e32 v32, 0x3600, v0
	v_cmp_gt_u32_e32 vcc, s33, v32
                                        ; implicit-def: $vgpr31
	s_and_saveexec_b64 s[0:1], vcc
	s_cbranch_execz .LBB2095_63
; %bb.62:
	v_lshlrev_b32_e32 v32, 1, v32
	v_mov_b32_e32 v33, 0
	v_lshl_add_u64 v[32:33], s[8:9], 0, v[32:33]
	flat_load_ushort v31, v[32:33]
.LBB2095_63:
	s_or_b64 exec, exec, s[0:1]
	v_or_b32_e32 v33, 0x3800, v0
	v_cmp_gt_u32_e32 vcc, s33, v33
                                        ; implicit-def: $vgpr32
	s_and_saveexec_b64 s[0:1], vcc
	s_cbranch_execz .LBB2095_65
; %bb.64:
	v_lshlrev_b32_e32 v32, 1, v33
	v_mov_b32_e32 v33, 0
	v_lshl_add_u64 v[32:33], s[8:9], 0, v[32:33]
	flat_load_ushort v32, v[32:33]
.LBB2095_65:
	s_or_b64 exec, exec, s[0:1]
	v_or_b32_e32 v34, 0x3a00, v0
	v_cmp_gt_u32_e32 vcc, s33, v34
                                        ; implicit-def: $vgpr33
	s_and_saveexec_b64 s[0:1], vcc
	s_cbranch_execz .LBB2095_67
; %bb.66:
	v_lshlrev_b32_e32 v34, 1, v34
	v_mov_b32_e32 v35, 0
	v_lshl_add_u64 v[34:35], s[8:9], 0, v[34:35]
	flat_load_ushort v33, v[34:35]
.LBB2095_67:
	s_or_b64 exec, exec, s[0:1]
	s_waitcnt vmcnt(0) lgkmcnt(0)
	ds_write_b16 v12, v1
	ds_write_b16 v12, v2 offset:1024
	ds_write_b16 v12, v3 offset:2048
	;; [unrolled: 1-line block ×29, first 2 shown]
	s_waitcnt lgkmcnt(0)
	s_barrier
.LBB2095_68:
	v_mul_u32_u24_e32 v9, 30, v0
	v_lshlrev_b32_e32 v2, 1, v9
	ds_read2_b32 v[28:29], v2 offset1:1
	ds_read2_b32 v[26:27], v2 offset0:2 offset1:3
	ds_read2_b32 v[24:25], v2 offset0:4 offset1:5
	;; [unrolled: 1-line block ×3, first 2 shown]
	ds_read_b32 v1, v2 offset:56
	ds_read2_b32 v[16:17], v2 offset0:12 offset1:13
	ds_read2_b32 v[18:19], v2 offset0:10 offset1:11
	ds_read2_b32 v[20:21], v2 offset0:8 offset1:9
	s_add_u32 s0, s2, s4
	s_addc_u32 s1, s3, s5
	s_add_u32 s0, s0, s6
	s_addc_u32 s1, s1, s7
	s_mov_b64 s[2:3], -1
	s_and_b64 vcc, exec, s[34:35]
	s_waitcnt lgkmcnt(0)
	s_barrier
	s_cbranch_vccz .LBB2095_70
; %bb.69:
	v_mov_b32_e32 v13, 0
	v_lshl_add_u64 v[2:3], s[0:1], 0, v[12:13]
	s_movk_i32 s2, 0x1000
	v_add_co_u32_e32 v4, vcc, s2, v2
	s_movk_i32 s2, 0x2000
	s_nop 0
	v_addc_co_u32_e32 v5, vcc, 0, v3, vcc
	v_add_co_u32_e32 v6, vcc, s2, v2
	s_movk_i32 s2, 0x3000
	s_nop 0
	v_addc_co_u32_e32 v7, vcc, 0, v3, vcc
	global_load_ubyte v8, v12, s[0:1]
	global_load_ubyte v13, v12, s[0:1] offset:1024
	global_load_ubyte v30, v12, s[0:1] offset:2048
	;; [unrolled: 1-line block ×3, first 2 shown]
	global_load_ubyte v32, v[6:7], off offset:-4096
	global_load_ubyte v33, v[4:5], off offset:1024
	global_load_ubyte v34, v[4:5], off offset:2048
	;; [unrolled: 1-line block ×3, first 2 shown]
	global_load_ubyte v36, v[6:7], off
	global_load_ubyte v37, v[6:7], off offset:1024
	global_load_ubyte v38, v[6:7], off offset:2048
	v_add_co_u32_e32 v4, vcc, s2, v2
	s_movk_i32 s2, 0x4000
	s_nop 0
	v_addc_co_u32_e32 v5, vcc, 0, v3, vcc
	v_add_co_u32_e32 v10, vcc, s2, v2
	s_movk_i32 s3, 0x6000
	s_nop 0
	v_addc_co_u32_e32 v11, vcc, 0, v3, vcc
	global_load_ubyte v39, v[6:7], off offset:3072
	global_load_ubyte v40, v[10:11], off offset:-4096
	global_load_ubyte v41, v[4:5], off offset:1024
	global_load_ubyte v42, v[4:5], off offset:2048
	;; [unrolled: 1-line block ×3, first 2 shown]
	global_load_ubyte v44, v[10:11], off
	global_load_ubyte v45, v[10:11], off offset:1024
	global_load_ubyte v46, v[10:11], off offset:2048
	v_add_co_u32_e32 v4, vcc, s3, v2
	s_movk_i32 s2, 0x5000
	s_nop 0
	v_addc_co_u32_e32 v5, vcc, 0, v3, vcc
	v_add_co_u32_e32 v6, vcc, s2, v2
	s_movk_i32 s2, 0x7000
	s_nop 0
	v_addc_co_u32_e32 v7, vcc, 0, v3, vcc
	v_add_co_u32_e32 v2, vcc, s2, v2
	global_load_ubyte v47, v[10:11], off offset:3072
	global_load_ubyte v48, v[4:5], off offset:-4096
	v_addc_co_u32_e32 v3, vcc, 0, v3, vcc
	global_load_ubyte v10, v[6:7], off offset:1024
	global_load_ubyte v11, v[6:7], off offset:2048
	;; [unrolled: 1-line block ×3, first 2 shown]
	global_load_ubyte v50, v[4:5], off
	global_load_ubyte v51, v[4:5], off offset:1024
	global_load_ubyte v52, v[4:5], off offset:2048
	;; [unrolled: 1-line block ×3, first 2 shown]
	s_nop 0
	global_load_ubyte v4, v[2:3], off
	global_load_ubyte v5, v[2:3], off offset:1024
	s_mov_b64 s[2:3], 0
	s_waitcnt vmcnt(29)
	v_xor_b32_e32 v2, -1, v8
	s_waitcnt vmcnt(28)
	v_xor_b32_e32 v3, -1, v13
	;; [unrolled: 2-line block ×4, first 2 shown]
	v_and_b32_e32 v2, 1, v2
	s_waitcnt vmcnt(24)
	v_xor_b32_e32 v8, -1, v33
	s_waitcnt vmcnt(23)
	v_xor_b32_e32 v13, -1, v34
	;; [unrolled: 2-line block ×3, first 2 shown]
	v_xor_b32_e32 v31, -1, v32
	s_waitcnt vmcnt(21)
	v_xor_b32_e32 v32, -1, v36
	s_waitcnt vmcnt(20)
	;; [unrolled: 2-line block ×11, first 2 shown]
	v_xor_b32_e32 v42, -1, v46
	v_and_b32_e32 v3, 1, v3
	v_and_b32_e32 v6, 1, v6
	;; [unrolled: 1-line block ×5, first 2 shown]
	s_waitcnt vmcnt(8)
	v_xor_b32_e32 v10, -1, v10
	s_waitcnt vmcnt(7)
	v_xor_b32_e32 v11, -1, v11
	v_xor_b32_e32 v43, -1, v47
	;; [unrolled: 1-line block ×3, first 2 shown]
	s_waitcnt vmcnt(6)
	v_xor_b32_e32 v45, -1, v49
	s_waitcnt vmcnt(5)
	v_xor_b32_e32 v46, -1, v50
	;; [unrolled: 2-line block ×7, first 2 shown]
	v_and_b32_e32 v30, 1, v30
	v_and_b32_e32 v31, 1, v31
	;; [unrolled: 1-line block ×24, first 2 shown]
	ds_write_b8 v0, v2
	ds_write_b8 v0, v3 offset:512
	ds_write_b8 v0, v6 offset:1024
	;; [unrolled: 1-line block ×29, first 2 shown]
	s_waitcnt lgkmcnt(0)
	s_barrier
.LBB2095_70:
	s_andn2_b64 vcc, exec, s[2:3]
	s_cbranch_vccnz .LBB2095_132
; %bb.71:
	v_cmp_gt_u32_e32 vcc, s33, v0
	v_mov_b32_e32 v2, 0
	v_mov_b32_e32 v3, 0
	s_and_saveexec_b64 s[2:3], vcc
	s_cbranch_execz .LBB2095_73
; %bb.72:
	global_load_ubyte v3, v12, s[0:1]
	s_waitcnt vmcnt(0)
	v_xor_b32_e32 v3, -1, v3
	v_and_b32_e32 v3, 1, v3
.LBB2095_73:
	s_or_b64 exec, exec, s[2:3]
	v_or_b32_e32 v4, 0x200, v0
	v_cmp_gt_u32_e32 vcc, s33, v4
	s_and_saveexec_b64 s[2:3], vcc
	s_cbranch_execz .LBB2095_75
; %bb.74:
	global_load_ubyte v2, v12, s[0:1] offset:1024
	s_waitcnt vmcnt(0)
	v_xor_b32_e32 v2, -1, v2
	v_and_b32_e32 v2, 1, v2
.LBB2095_75:
	s_or_b64 exec, exec, s[2:3]
	v_or_b32_e32 v4, 0x400, v0
	v_cmp_gt_u32_e32 vcc, s33, v4
	v_mov_b32_e32 v4, 0
	v_mov_b32_e32 v5, 0
	s_and_saveexec_b64 s[2:3], vcc
	s_cbranch_execz .LBB2095_77
; %bb.76:
	global_load_ubyte v5, v12, s[0:1] offset:2048
	s_waitcnt vmcnt(0)
	v_xor_b32_e32 v5, -1, v5
	v_and_b32_e32 v5, 1, v5
.LBB2095_77:
	s_or_b64 exec, exec, s[2:3]
	v_or_b32_e32 v6, 0x600, v0
	v_cmp_gt_u32_e32 vcc, s33, v6
	s_and_saveexec_b64 s[2:3], vcc
	s_cbranch_execz .LBB2095_79
; %bb.78:
	global_load_ubyte v4, v12, s[0:1] offset:3072
	s_waitcnt vmcnt(0)
	v_xor_b32_e32 v4, -1, v4
	v_and_b32_e32 v4, 1, v4
.LBB2095_79:
	s_or_b64 exec, exec, s[2:3]
	v_or_b32_e32 v8, 0x800, v0
	v_cmp_gt_u32_e32 vcc, s33, v8
	v_mov_b32_e32 v6, 0
	v_mov_b32_e32 v7, 0
	s_and_saveexec_b64 s[2:3], vcc
	s_cbranch_execz .LBB2095_81
; %bb.80:
	v_lshlrev_b32_e32 v7, 1, v8
	global_load_ubyte v7, v7, s[0:1]
	s_waitcnt vmcnt(0)
	v_xor_b32_e32 v7, -1, v7
	v_and_b32_e32 v7, 1, v7
.LBB2095_81:
	s_or_b64 exec, exec, s[2:3]
	v_or_b32_e32 v8, 0xa00, v0
	v_cmp_gt_u32_e32 vcc, s33, v8
	s_and_saveexec_b64 s[2:3], vcc
	s_cbranch_execz .LBB2095_83
; %bb.82:
	v_lshlrev_b32_e32 v6, 1, v8
	global_load_ubyte v6, v6, s[0:1]
	s_waitcnt vmcnt(0)
	v_xor_b32_e32 v6, -1, v6
	v_and_b32_e32 v6, 1, v6
.LBB2095_83:
	s_or_b64 exec, exec, s[2:3]
	v_or_b32_e32 v11, 0xc00, v0
	v_cmp_gt_u32_e32 vcc, s33, v11
	v_mov_b32_e32 v8, 0
	v_mov_b32_e32 v10, 0
	s_and_saveexec_b64 s[2:3], vcc
	s_cbranch_execz .LBB2095_85
; %bb.84:
	v_lshlrev_b32_e32 v10, 1, v11
	global_load_ubyte v10, v10, s[0:1]
	s_waitcnt vmcnt(0)
	v_xor_b32_e32 v10, -1, v10
	v_and_b32_e32 v10, 1, v10
.LBB2095_85:
	s_or_b64 exec, exec, s[2:3]
	v_or_b32_e32 v11, 0xe00, v0
	v_cmp_gt_u32_e32 vcc, s33, v11
	s_and_saveexec_b64 s[2:3], vcc
	s_cbranch_execz .LBB2095_87
; %bb.86:
	v_lshlrev_b32_e32 v8, 1, v11
	global_load_ubyte v8, v8, s[0:1]
	s_waitcnt vmcnt(0)
	v_xor_b32_e32 v8, -1, v8
	v_and_b32_e32 v8, 1, v8
.LBB2095_87:
	;; [unrolled: 26-line block ×13, first 2 shown]
	s_or_b64 exec, exec, s[2:3]
	ds_write_b8 v0, v3
	ds_write_b8 v0, v2 offset:512
	ds_write_b8 v0, v5 offset:1024
	;; [unrolled: 1-line block ×29, first 2 shown]
	s_waitcnt lgkmcnt(0)
	s_barrier
.LBB2095_132:
	ds_read_b128 v[2:5], v9
	ds_read_b96 v[6:8], v9 offset:16
	ds_read_u16 v38, v9 offset:28
	s_cmp_lg_u32 s42, 0
	v_lshrrev_b32_e32 v67, 6, v0
	s_waitcnt lgkmcnt(0)
	v_lshrrev_b32_e32 v46, 24, v2
	v_bfe_u32 v65, v2, 16, 8
	v_add_u32_sdwa v10, v2, v2 dst_sel:DWORD dst_unused:UNUSED_PAD src0_sel:BYTE_1 src1_sel:BYTE_0
	v_and_b32_e32 v62, 0xff, v3
	v_bfe_u32 v63, v3, 8, 8
	v_add3_u32 v10, v10, v65, v46
	v_lshrrev_b32_e32 v45, 24, v3
	v_bfe_u32 v64, v3, 16, 8
	v_add3_u32 v10, v10, v62, v63
	v_and_b32_e32 v59, 0xff, v4
	v_bfe_u32 v60, v4, 8, 8
	v_add3_u32 v10, v10, v64, v45
	v_lshrrev_b32_e32 v44, 24, v4
	v_bfe_u32 v61, v4, 16, 8
	v_add3_u32 v10, v10, v59, v60
	;; [unrolled: 6-line block ×6, first 2 shown]
	v_lshrrev_b16_e32 v13, 8, v38
	v_and_b32_e32 v40, 0xff, v38
	v_add3_u32 v10, v10, v49, v39
	v_add3_u32 v68, v10, v40, v13
	v_mbcnt_lo_u32_b32 v10, -1, 0
	v_mbcnt_hi_u32_b32 v66, -1, v10
	v_and_b32_e32 v10, 15, v66
	v_cmp_eq_u32_e64 s[14:15], 0, v10
	v_cmp_lt_u32_e64 s[12:13], 1, v10
	v_cmp_lt_u32_e64 s[10:11], 3, v10
	;; [unrolled: 1-line block ×3, first 2 shown]
	v_and_b32_e32 v10, 16, v66
	v_cmp_eq_u32_e64 s[6:7], 0, v10
	v_or_b32_e32 v10, 63, v0
	v_cmp_lt_u32_e64 s[2:3], 31, v66
	v_cmp_eq_u32_e64 s[4:5], v10, v0
	s_barrier
	s_cbranch_scc0 .LBB2095_159
; %bb.133:
	v_mov_b32_dpp v10, v68 row_shr:1 row_mask:0xf bank_mask:0xf
	v_cndmask_b32_e64 v10, v10, 0, s[14:15]
	v_add_u32_e32 v10, v10, v68
	s_nop 1
	v_mov_b32_dpp v11, v10 row_shr:2 row_mask:0xf bank_mask:0xf
	v_cndmask_b32_e64 v11, 0, v11, s[12:13]
	v_add_u32_e32 v10, v10, v11
	s_nop 1
	;; [unrolled: 4-line block ×4, first 2 shown]
	v_mov_b32_dpp v11, v10 row_bcast:15 row_mask:0xf bank_mask:0xf
	v_cndmask_b32_e64 v11, v11, 0, s[6:7]
	v_add_u32_e32 v10, v10, v11
	s_nop 1
	v_mov_b32_dpp v11, v10 row_bcast:31 row_mask:0xf bank_mask:0xf
	v_cndmask_b32_e64 v11, 0, v11, s[2:3]
	v_add_u32_e32 v10, v10, v11
	s_and_saveexec_b64 s[0:1], s[4:5]
	s_cbranch_execz .LBB2095_135
; %bb.134:
	v_lshlrev_b32_e32 v11, 2, v67
	ds_write_b32 v11, v10
.LBB2095_135:
	s_or_b64 exec, exec, s[0:1]
	v_cmp_gt_u32_e32 vcc, 8, v0
	s_waitcnt lgkmcnt(0)
	s_barrier
	s_and_saveexec_b64 s[0:1], vcc
	s_cbranch_execz .LBB2095_137
; %bb.136:
	v_lshlrev_b32_e32 v11, 2, v0
	ds_read_b32 v30, v11
	v_and_b32_e32 v31, 7, v66
	v_cmp_ne_u32_e32 vcc, 0, v31
	s_waitcnt lgkmcnt(0)
	v_mov_b32_dpp v32, v30 row_shr:1 row_mask:0xf bank_mask:0xf
	v_cndmask_b32_e32 v32, 0, v32, vcc
	v_add_u32_e32 v30, v32, v30
	v_cmp_lt_u32_e32 vcc, 1, v31
	s_nop 0
	v_mov_b32_dpp v32, v30 row_shr:2 row_mask:0xf bank_mask:0xf
	v_cndmask_b32_e32 v32, 0, v32, vcc
	v_add_u32_e32 v30, v30, v32
	v_cmp_lt_u32_e32 vcc, 3, v31
	s_nop 0
	v_mov_b32_dpp v32, v30 row_shr:4 row_mask:0xf bank_mask:0xf
	v_cndmask_b32_e32 v31, 0, v32, vcc
	v_add_u32_e32 v30, v30, v31
	ds_write_b32 v11, v30
.LBB2095_137:
	s_or_b64 exec, exec, s[0:1]
	v_cmp_gt_u32_e32 vcc, 64, v0
	v_cmp_lt_u32_e64 s[0:1], 63, v0
	s_waitcnt lgkmcnt(0)
	s_barrier
	s_waitcnt lgkmcnt(0)
                                        ; implicit-def: $vgpr69
	s_and_saveexec_b64 s[16:17], s[0:1]
	s_cbranch_execz .LBB2095_139
; %bb.138:
	v_lshl_add_u32 v11, v67, 2, -4
	ds_read_b32 v69, v11
	s_waitcnt lgkmcnt(0)
	v_add_u32_e32 v10, v69, v10
.LBB2095_139:
	s_or_b64 exec, exec, s[16:17]
	v_add_u32_e32 v11, -1, v66
	v_and_b32_e32 v30, 64, v66
	v_cmp_lt_i32_e64 s[0:1], v11, v30
	v_cmp_eq_u32_e64 s[16:17], 0, v66
	s_nop 0
	v_cndmask_b32_e64 v11, v11, v66, s[0:1]
	v_lshlrev_b32_e32 v11, 2, v11
	ds_bpermute_b32 v70, v11, v10
	s_and_saveexec_b64 s[0:1], vcc
	s_cbranch_execz .LBB2095_158
; %bb.140:
	v_mov_b32_e32 v35, 0
	ds_read_b32 v10, v35 offset:28
	s_and_saveexec_b64 s[38:39], s[16:17]
	s_cbranch_execz .LBB2095_142
; %bb.141:
	s_add_i32 s40, s42, 64
	s_mov_b32 s41, 0
	s_lshl_b64 s[40:41], s[40:41], 3
	s_add_u32 s40, s36, s40
	v_mov_b32_e32 v11, 1
	s_addc_u32 s41, s37, s41
	s_waitcnt lgkmcnt(0)
	global_store_dwordx2 v35, v[10:11], s[40:41] sc1
.LBB2095_142:
	s_or_b64 exec, exec, s[38:39]
	v_xad_u32 v30, v66, -1, s42
	v_add_u32_e32 v34, 64, v30
	v_lshl_add_u64 v[36:37], v[34:35], 3, s[36:37]
	global_load_dwordx2 v[32:33], v[36:37], off sc1
	s_waitcnt vmcnt(0)
	v_cmp_eq_u16_sdwa s[40:41], v33, v35 src0_sel:BYTE_0 src1_sel:DWORD
	s_and_saveexec_b64 s[38:39], s[40:41]
	s_cbranch_execz .LBB2095_146
; %bb.143:
	s_mov_b64 s[40:41], 0
	v_mov_b32_e32 v11, 0
.LBB2095_144:                           ; =>This Inner Loop Header: Depth=1
	global_load_dwordx2 v[32:33], v[36:37], off sc1
	s_waitcnt vmcnt(0)
	v_cmp_ne_u16_sdwa s[44:45], v33, v11 src0_sel:BYTE_0 src1_sel:DWORD
	s_or_b64 s[40:41], s[44:45], s[40:41]
	s_andn2_b64 exec, exec, s[40:41]
	s_cbranch_execnz .LBB2095_144
; %bb.145:
	s_or_b64 exec, exec, s[40:41]
.LBB2095_146:
	s_or_b64 exec, exec, s[38:39]
	v_and_b32_e32 v72, 63, v66
	v_mov_b32_e32 v71, 2
	v_cmp_ne_u32_e32 vcc, 63, v72
	v_cmp_eq_u16_sdwa s[38:39], v33, v71 src0_sel:BYTE_0 src1_sel:DWORD
	v_lshlrev_b64 v[34:35], v66, -1
	v_addc_co_u32_e32 v36, vcc, 0, v66, vcc
	v_and_b32_e32 v11, s39, v35
	v_lshlrev_b32_e32 v73, 2, v36
	v_or_b32_e32 v11, 0x80000000, v11
	ds_bpermute_b32 v36, v73, v32
	v_and_b32_e32 v31, s38, v34
	v_ffbl_b32_e32 v11, v11
	v_add_u32_e32 v11, 32, v11
	v_ffbl_b32_e32 v31, v31
	v_min_u32_e32 v11, v31, v11
	v_cmp_lt_u32_e32 vcc, v72, v11
	v_add_u32_e32 v75, 2, v72
	v_add_u32_e32 v77, 4, v72
	s_waitcnt lgkmcnt(0)
	v_cndmask_b32_e32 v31, 0, v36, vcc
	v_cmp_gt_u32_e32 vcc, 62, v72
	v_add_u32_e32 v31, v31, v32
	v_add_u32_e32 v79, 8, v72
	v_cndmask_b32_e64 v32, 0, 1, vcc
	v_lshlrev_b32_e32 v32, 1, v32
	v_add_lshl_u32 v74, v32, v66, 2
	ds_bpermute_b32 v32, v74, v31
	v_cmp_le_u32_e32 vcc, v75, v11
	v_add_u32_e32 v81, 16, v72
	v_add_u32_e32 v83, 32, v72
	s_waitcnt lgkmcnt(0)
	v_cndmask_b32_e32 v32, 0, v32, vcc
	v_cmp_gt_u32_e32 vcc, 60, v72
	v_add_u32_e32 v31, v31, v32
	s_nop 0
	v_cndmask_b32_e64 v32, 0, 1, vcc
	v_lshlrev_b32_e32 v32, 2, v32
	v_add_lshl_u32 v76, v32, v66, 2
	ds_bpermute_b32 v32, v76, v31
	v_cmp_le_u32_e32 vcc, v77, v11
	s_waitcnt lgkmcnt(0)
	s_nop 0
	v_cndmask_b32_e32 v32, 0, v32, vcc
	v_cmp_gt_u32_e32 vcc, 56, v72
	v_add_u32_e32 v31, v31, v32
	s_nop 0
	v_cndmask_b32_e64 v32, 0, 1, vcc
	v_lshlrev_b32_e32 v32, 3, v32
	v_add_lshl_u32 v78, v32, v66, 2
	ds_bpermute_b32 v32, v78, v31
	v_cmp_le_u32_e32 vcc, v79, v11
	s_waitcnt lgkmcnt(0)
	s_nop 0
	;; [unrolled: 11-line block ×4, first 2 shown]
	v_cndmask_b32_e32 v11, 0, v32, vcc
	v_add_u32_e32 v32, v31, v11
	v_mov_b32_e32 v31, 0
	s_branch .LBB2095_148
.LBB2095_147:                           ;   in Loop: Header=BB2095_148 Depth=1
	s_or_b64 exec, exec, s[38:39]
	v_cmp_eq_u16_sdwa s[38:39], v33, v71 src0_sel:BYTE_0 src1_sel:DWORD
	ds_bpermute_b32 v84, v73, v32
	v_subrev_u32_e32 v30, 64, v30
	v_and_b32_e32 v36, s39, v35
	v_or_b32_e32 v36, 0x80000000, v36
	v_and_b32_e32 v37, s38, v34
	v_ffbl_b32_e32 v36, v36
	v_add_u32_e32 v36, 32, v36
	v_ffbl_b32_e32 v37, v37
	v_min_u32_e32 v36, v37, v36
	v_cmp_lt_u32_e32 vcc, v72, v36
	s_waitcnt lgkmcnt(0)
	s_nop 0
	v_cndmask_b32_e32 v37, 0, v84, vcc
	v_add_u32_e32 v32, v37, v32
	ds_bpermute_b32 v37, v74, v32
	v_cmp_le_u32_e32 vcc, v75, v36
	s_waitcnt lgkmcnt(0)
	s_nop 0
	v_cndmask_b32_e32 v37, 0, v37, vcc
	v_add_u32_e32 v32, v32, v37
	ds_bpermute_b32 v37, v76, v32
	v_cmp_le_u32_e32 vcc, v77, v36
	;; [unrolled: 6-line block ×5, first 2 shown]
	s_waitcnt lgkmcnt(0)
	s_nop 0
	v_cndmask_b32_e32 v36, 0, v37, vcc
	v_add3_u32 v32, v36, v11, v32
.LBB2095_148:                           ; =>This Loop Header: Depth=1
                                        ;     Child Loop BB2095_151 Depth 2
	v_cmp_ne_u16_sdwa s[38:39], v33, v71 src0_sel:BYTE_0 src1_sel:DWORD
	s_nop 1
	v_cndmask_b32_e64 v11, 0, 1, s[38:39]
	;;#ASMSTART
	;;#ASMEND
	s_nop 0
	v_cmp_ne_u32_e32 vcc, 0, v11
	s_cmp_lg_u64 vcc, exec
	v_mov_b32_e32 v11, v32
	s_cbranch_scc1 .LBB2095_153
; %bb.149:                              ;   in Loop: Header=BB2095_148 Depth=1
	v_lshl_add_u64 v[36:37], v[30:31], 3, s[36:37]
	global_load_dwordx2 v[32:33], v[36:37], off sc1
	s_waitcnt vmcnt(0)
	v_cmp_eq_u16_sdwa s[40:41], v33, v31 src0_sel:BYTE_0 src1_sel:DWORD
	s_and_saveexec_b64 s[38:39], s[40:41]
	s_cbranch_execz .LBB2095_147
; %bb.150:                              ;   in Loop: Header=BB2095_148 Depth=1
	s_mov_b64 s[40:41], 0
.LBB2095_151:                           ;   Parent Loop BB2095_148 Depth=1
                                        ; =>  This Inner Loop Header: Depth=2
	global_load_dwordx2 v[32:33], v[36:37], off sc1
	s_waitcnt vmcnt(0)
	v_cmp_ne_u16_sdwa s[44:45], v33, v31 src0_sel:BYTE_0 src1_sel:DWORD
	s_or_b64 s[40:41], s[44:45], s[40:41]
	s_andn2_b64 exec, exec, s[40:41]
	s_cbranch_execnz .LBB2095_151
; %bb.152:                              ;   in Loop: Header=BB2095_148 Depth=1
	s_or_b64 exec, exec, s[40:41]
	s_branch .LBB2095_147
.LBB2095_153:                           ;   in Loop: Header=BB2095_148 Depth=1
                                        ; implicit-def: $vgpr32
                                        ; implicit-def: $vgpr33
	s_cbranch_execz .LBB2095_148
; %bb.154:
	s_and_saveexec_b64 s[38:39], s[16:17]
	s_cbranch_execz .LBB2095_156
; %bb.155:
	s_add_i32 s40, s42, 64
	s_mov_b32 s41, 0
	s_lshl_b64 s[40:41], s[40:41], 3
	s_add_u32 s40, s36, s40
	v_add_u32_e32 v30, v11, v10
	v_mov_b32_e32 v31, 2
	s_addc_u32 s41, s37, s41
	v_mov_b32_e32 v32, 0
	global_store_dwordx2 v32, v[30:31], s[40:41] sc1
	ds_write_b64 v32, v[10:11] offset:30720
.LBB2095_156:
	s_or_b64 exec, exec, s[38:39]
	s_and_b64 exec, exec, s[18:19]
	s_cbranch_execz .LBB2095_158
; %bb.157:
	v_mov_b32_e32 v10, 0
	ds_write_b32 v10, v11 offset:28
.LBB2095_158:
	s_or_b64 exec, exec, s[0:1]
	v_mov_b32_e32 v10, 0
	s_waitcnt lgkmcnt(0)
	s_barrier
	ds_read_b32 v30, v10 offset:28
	s_waitcnt lgkmcnt(0)
	s_barrier
	ds_read_b64 v[10:11], v10 offset:30720
	v_cndmask_b32_e64 v31, v70, v69, s[16:17]
	v_cndmask_b32_e64 v31, v31, 0, s[18:19]
	v_add_u32_e32 v35, v30, v31
	s_waitcnt lgkmcnt(0)
	v_mov_b32_e32 v70, v11
	s_branch .LBB2095_169
.LBB2095_159:
                                        ; implicit-def: $vgpr70
                                        ; implicit-def: $vgpr10
                                        ; implicit-def: $vgpr35
	s_cbranch_execz .LBB2095_169
; %bb.160:
	s_nop 0
	v_mov_b32_dpp v10, v68 row_shr:1 row_mask:0xf bank_mask:0xf
	v_cndmask_b32_e64 v10, v10, 0, s[14:15]
	v_add_u32_e32 v10, v10, v68
	s_nop 1
	v_mov_b32_dpp v11, v10 row_shr:2 row_mask:0xf bank_mask:0xf
	v_cndmask_b32_e64 v11, 0, v11, s[12:13]
	v_add_u32_e32 v10, v10, v11
	;; [unrolled: 4-line block ×4, first 2 shown]
	s_nop 1
	v_mov_b32_dpp v11, v10 row_bcast:15 row_mask:0xf bank_mask:0xf
	v_cndmask_b32_e64 v11, v11, 0, s[6:7]
	v_add_u32_e32 v10, v10, v11
	s_nop 1
	v_mov_b32_dpp v11, v10 row_bcast:31 row_mask:0xf bank_mask:0xf
	v_cndmask_b32_e64 v11, 0, v11, s[2:3]
	v_add_u32_e32 v10, v10, v11
	s_and_saveexec_b64 s[0:1], s[4:5]
	s_cbranch_execz .LBB2095_162
; %bb.161:
	v_lshlrev_b32_e32 v11, 2, v67
	ds_write_b32 v11, v10
.LBB2095_162:
	s_or_b64 exec, exec, s[0:1]
	v_cmp_gt_u32_e32 vcc, 8, v0
	s_waitcnt lgkmcnt(0)
	s_barrier
	s_and_saveexec_b64 s[0:1], vcc
	s_cbranch_execz .LBB2095_164
; %bb.163:
	v_lshlrev_b32_e32 v11, 2, v0
	ds_read_b32 v30, v11
	v_and_b32_e32 v31, 7, v66
	v_cmp_ne_u32_e32 vcc, 0, v31
	s_waitcnt lgkmcnt(0)
	v_mov_b32_dpp v32, v30 row_shr:1 row_mask:0xf bank_mask:0xf
	v_cndmask_b32_e32 v32, 0, v32, vcc
	v_add_u32_e32 v30, v32, v30
	v_cmp_lt_u32_e32 vcc, 1, v31
	s_nop 0
	v_mov_b32_dpp v32, v30 row_shr:2 row_mask:0xf bank_mask:0xf
	v_cndmask_b32_e32 v32, 0, v32, vcc
	v_add_u32_e32 v30, v30, v32
	v_cmp_lt_u32_e32 vcc, 3, v31
	s_nop 0
	v_mov_b32_dpp v32, v30 row_shr:4 row_mask:0xf bank_mask:0xf
	v_cndmask_b32_e32 v31, 0, v32, vcc
	v_add_u32_e32 v30, v30, v31
	ds_write_b32 v11, v30
.LBB2095_164:
	s_or_b64 exec, exec, s[0:1]
	v_cmp_lt_u32_e32 vcc, 63, v0
	v_mov_b32_e32 v11, 0
	v_mov_b32_e32 v30, 0
	s_waitcnt lgkmcnt(0)
	s_barrier
	s_and_saveexec_b64 s[0:1], vcc
	s_cbranch_execz .LBB2095_166
; %bb.165:
	v_lshl_add_u32 v30, v67, 2, -4
	ds_read_b32 v30, v30
.LBB2095_166:
	s_or_b64 exec, exec, s[0:1]
	v_add_u32_e32 v31, -1, v66
	v_and_b32_e32 v32, 64, v66
	v_cmp_lt_i32_e32 vcc, v31, v32
	s_waitcnt lgkmcnt(0)
	v_add_u32_e32 v10, v30, v10
	v_cndmask_b32_e32 v31, v31, v66, vcc
	v_lshlrev_b32_e32 v31, 2, v31
	ds_bpermute_b32 v31, v31, v10
	ds_read_b32 v10, v11 offset:28
	s_and_saveexec_b64 s[0:1], s[18:19]
	s_cbranch_execz .LBB2095_168
; %bb.167:
	v_mov_b32_e32 v32, 0
	v_mov_b32_e32 v11, 2
	s_waitcnt lgkmcnt(0)
	global_store_dwordx2 v32, v[10:11], s[36:37] offset:512 sc1
.LBB2095_168:
	s_or_b64 exec, exec, s[0:1]
	v_cmp_eq_u32_e32 vcc, 0, v66
	v_mov_b32_e32 v70, 0
	s_waitcnt lgkmcnt(0)
	v_cndmask_b32_e32 v11, v31, v30, vcc
	v_cndmask_b32_e64 v35, v11, 0, s[18:19]
	s_barrier
.LBB2095_169:
	v_add_u32_sdwa v37, v35, v2 dst_sel:DWORD dst_unused:UNUSED_PAD src0_sel:DWORD src1_sel:BYTE_0
	v_add_u32_e32 v9, v10, v9
	v_sub_u32_e32 v35, v35, v70
	v_and_b32_e32 v76, 1, v2
	v_sub_u32_e32 v75, v9, v35
	v_cmp_eq_u32_e32 vcc, 1, v76
	v_lshrrev_b32_e32 v36, 8, v2
	v_add_u32_sdwa v66, v37, v2 dst_sel:DWORD dst_unused:UNUSED_PAD src0_sel:DWORD src1_sel:BYTE_1
	v_cndmask_b32_e32 v35, v75, v35, vcc
	v_lshlrev_b32_e32 v35, 1, v35
	ds_write_b16 v35, v28
	v_sub_u32_e32 v35, v37, v70
	v_sub_u32_e32 v37, v9, v35
	v_and_b32_e32 v36, 1, v36
	v_add_u32_e32 v37, 1, v37
	v_cmp_eq_u32_e32 vcc, 1, v36
	v_mov_b32_e32 v36, 1
	v_and_b32_sdwa v2, v36, v2 dst_sel:DWORD dst_unused:UNUSED_PAD src0_sel:DWORD src1_sel:WORD_1
	v_cndmask_b32_e32 v35, v37, v35, vcc
	v_lshlrev_b32_e32 v35, 1, v35
	ds_write_b16_d16_hi v35, v28
	v_sub_u32_e32 v28, v66, v70
	v_sub_u32_e32 v35, v9, v28
	v_add_u32_e32 v35, 2, v35
	v_cmp_eq_u32_e32 vcc, 1, v2
	v_add_u32_e32 v65, v66, v65
	v_add_u32_e32 v67, v65, v46
	v_cndmask_b32_e32 v2, v35, v28, vcc
	v_lshlrev_b32_e32 v2, 1, v2
	ds_write_b16 v2, v29
	v_sub_u32_e32 v2, v65, v70
	v_sub_u32_e32 v28, v9, v2
	v_and_b32_e32 v35, 1, v46
	v_add_u32_e32 v28, 3, v28
	v_cmp_eq_u32_e32 vcc, 1, v35
	v_add_u32_e32 v62, v67, v62
	v_lshrrev_b32_e32 v34, 8, v3
	v_cndmask_b32_e32 v2, v28, v2, vcc
	v_lshlrev_b32_e32 v2, 1, v2
	ds_write_b16_d16_hi v2, v29
	v_sub_u32_e32 v2, v67, v70
	v_sub_u32_e32 v28, v9, v2
	v_and_b32_e32 v29, 1, v3
	v_add_u32_e32 v28, 4, v28
	v_cmp_eq_u32_e32 vcc, 1, v29
	v_and_b32_e32 v29, 1, v34
	v_add_u32_e32 v63, v62, v63
	v_cndmask_b32_e32 v2, v28, v2, vcc
	v_lshlrev_b32_e32 v2, 1, v2
	ds_write_b16 v2, v26
	v_sub_u32_e32 v2, v62, v70
	v_sub_u32_e32 v28, v9, v2
	v_add_u32_e32 v28, 5, v28
	v_cmp_eq_u32_e32 vcc, 1, v29
	v_and_b32_sdwa v3, v36, v3 dst_sel:DWORD dst_unused:UNUSED_PAD src0_sel:DWORD src1_sel:WORD_1
	v_add_u32_e32 v64, v63, v64
	v_cndmask_b32_e32 v2, v28, v2, vcc
	v_lshlrev_b32_e32 v2, 1, v2
	ds_write_b16_d16_hi v2, v26
	v_sub_u32_e32 v2, v63, v70
	v_sub_u32_e32 v26, v9, v2
	v_add_u32_e32 v26, 6, v26
	v_cmp_eq_u32_e32 vcc, 1, v3
	v_add_u32_e32 v68, v64, v45
	v_add_u32_e32 v59, v68, v59
	v_cndmask_b32_e32 v2, v26, v2, vcc
	v_lshlrev_b32_e32 v2, 1, v2
	ds_write_b16 v2, v27
	v_sub_u32_e32 v2, v64, v70
	v_sub_u32_e32 v3, v9, v2
	v_and_b32_e32 v26, 1, v45
	v_add_u32_e32 v3, 7, v3
	v_cmp_eq_u32_e32 vcc, 1, v26
	v_and_b32_e32 v26, 1, v4
	v_lshrrev_b32_e32 v33, 8, v4
	v_cndmask_b32_e32 v2, v3, v2, vcc
	v_lshlrev_b32_e32 v2, 1, v2
	ds_write_b16_d16_hi v2, v27
	v_sub_u32_e32 v2, v68, v70
	v_sub_u32_e32 v3, v9, v2
	v_add_u32_e32 v3, 8, v3
	v_cmp_eq_u32_e32 vcc, 1, v26
	v_and_b32_e32 v26, 1, v33
	v_add_u32_e32 v60, v59, v60
	v_cndmask_b32_e32 v2, v3, v2, vcc
	v_lshlrev_b32_e32 v2, 1, v2
	ds_write_b16 v2, v24
	v_sub_u32_e32 v2, v59, v70
	v_sub_u32_e32 v3, v9, v2
	v_add_u32_e32 v3, 9, v3
	v_cmp_eq_u32_e32 vcc, 1, v26
	v_and_b32_sdwa v4, v36, v4 dst_sel:DWORD dst_unused:UNUSED_PAD src0_sel:DWORD src1_sel:WORD_1
	v_add_u32_e32 v61, v60, v61
	v_cndmask_b32_e32 v2, v3, v2, vcc
	v_lshlrev_b32_e32 v2, 1, v2
	ds_write_b16_d16_hi v2, v24
	v_sub_u32_e32 v2, v60, v70
	v_sub_u32_e32 v3, v9, v2
	v_add_u32_e32 v3, 10, v3
	v_cmp_eq_u32_e32 vcc, 1, v4
	v_and_b32_e32 v4, 1, v44
	v_add_u32_e32 v69, v61, v44
	v_cndmask_b32_e32 v2, v3, v2, vcc
	v_lshlrev_b32_e32 v2, 1, v2
	ds_write_b16 v2, v25
	v_sub_u32_e32 v2, v61, v70
	v_sub_u32_e32 v3, v9, v2
	v_add_u32_e32 v3, 11, v3
	v_cmp_eq_u32_e32 vcc, 1, v4
	v_and_b32_e32 v4, 1, v5
	v_add_u32_e32 v56, v69, v56
	v_cndmask_b32_e32 v2, v3, v2, vcc
	v_lshlrev_b32_e32 v2, 1, v2
	ds_write_b16_d16_hi v2, v25
	v_sub_u32_e32 v2, v69, v70
	v_sub_u32_e32 v3, v9, v2
	v_add_u32_e32 v3, 12, v3
	v_cmp_eq_u32_e32 vcc, 1, v4
	v_lshrrev_b32_e32 v32, 8, v5
	v_and_b32_e32 v4, 1, v32
	v_cndmask_b32_e32 v2, v3, v2, vcc
	v_lshlrev_b32_e32 v2, 1, v2
	ds_write_b16 v2, v22
	v_sub_u32_e32 v2, v56, v70
	v_sub_u32_e32 v3, v9, v2
	v_add_u32_e32 v3, 13, v3
	v_cmp_eq_u32_e32 vcc, 1, v4
	v_add_u32_e32 v57, v56, v57
	v_and_b32_sdwa v4, v36, v5 dst_sel:DWORD dst_unused:UNUSED_PAD src0_sel:DWORD src1_sel:WORD_1
	v_cndmask_b32_e32 v2, v3, v2, vcc
	v_lshlrev_b32_e32 v2, 1, v2
	ds_write_b16_d16_hi v2, v22
	v_sub_u32_e32 v2, v57, v70
	v_sub_u32_e32 v3, v9, v2
	v_add_u32_e32 v3, 14, v3
	v_cmp_eq_u32_e32 vcc, 1, v4
	v_add_u32_e32 v58, v57, v58
	v_and_b32_e32 v4, 1, v43
	v_cndmask_b32_e32 v2, v3, v2, vcc
	v_lshlrev_b32_e32 v2, 1, v2
	ds_write_b16 v2, v23
	v_sub_u32_e32 v2, v58, v70
	v_sub_u32_e32 v3, v9, v2
	v_add_u32_e32 v3, 15, v3
	v_cmp_eq_u32_e32 vcc, 1, v4
	v_add_u32_e32 v71, v58, v43
	v_and_b32_e32 v4, 1, v6
	v_cndmask_b32_e32 v2, v3, v2, vcc
	v_lshlrev_b32_e32 v2, 1, v2
	ds_write_b16_d16_hi v2, v23
	v_sub_u32_e32 v2, v71, v70
	v_sub_u32_e32 v3, v9, v2
	v_add_u32_e32 v3, 16, v3
	v_cmp_eq_u32_e32 vcc, 1, v4
	v_add_u32_e32 v53, v71, v53
	v_lshrrev_b32_e32 v31, 8, v6
	v_cndmask_b32_e32 v2, v3, v2, vcc
	v_lshlrev_b32_e32 v2, 1, v2
	ds_write_b16 v2, v20
	v_sub_u32_e32 v2, v53, v70
	v_sub_u32_e32 v3, v9, v2
	v_and_b32_e32 v4, 1, v31
	v_add_u32_e32 v3, 17, v3
	v_cmp_eq_u32_e32 vcc, 1, v4
	v_add_u32_e32 v54, v53, v54
	v_and_b32_sdwa v4, v36, v6 dst_sel:DWORD dst_unused:UNUSED_PAD src0_sel:DWORD src1_sel:WORD_1
	v_cndmask_b32_e32 v2, v3, v2, vcc
	v_lshlrev_b32_e32 v2, 1, v2
	ds_write_b16_d16_hi v2, v20
	v_sub_u32_e32 v2, v54, v70
	v_sub_u32_e32 v3, v9, v2
	v_add_u32_e32 v3, 18, v3
	v_cmp_eq_u32_e32 vcc, 1, v4
	v_add_u32_e32 v55, v54, v55
	v_and_b32_e32 v4, 1, v42
	v_cndmask_b32_e32 v2, v3, v2, vcc
	v_lshlrev_b32_e32 v2, 1, v2
	ds_write_b16 v2, v21
	v_sub_u32_e32 v2, v55, v70
	v_sub_u32_e32 v3, v9, v2
	v_add_u32_e32 v3, 19, v3
	v_cmp_eq_u32_e32 vcc, 1, v4
	v_add_u32_e32 v72, v55, v42
	v_and_b32_e32 v4, 1, v7
	v_cndmask_b32_e32 v2, v3, v2, vcc
	v_lshlrev_b32_e32 v2, 1, v2
	ds_write_b16_d16_hi v2, v21
	v_sub_u32_e32 v2, v72, v70
	v_sub_u32_e32 v3, v9, v2
	v_add_u32_e32 v3, 20, v3
	v_cmp_eq_u32_e32 vcc, 1, v4
	v_add_u32_e32 v50, v72, v50
	v_lshrrev_b32_e32 v30, 8, v7
	v_cndmask_b32_e32 v2, v3, v2, vcc
	v_lshlrev_b32_e32 v2, 1, v2
	ds_write_b16 v2, v18
	v_sub_u32_e32 v2, v50, v70
	v_sub_u32_e32 v3, v9, v2
	v_and_b32_e32 v4, 1, v30
	v_add_u32_e32 v3, 21, v3
	v_cmp_eq_u32_e32 vcc, 1, v4
	v_add_u32_e32 v51, v50, v51
	v_and_b32_sdwa v4, v36, v7 dst_sel:DWORD dst_unused:UNUSED_PAD src0_sel:DWORD src1_sel:WORD_1
	v_cndmask_b32_e32 v2, v3, v2, vcc
	v_lshlrev_b32_e32 v2, 1, v2
	ds_write_b16_d16_hi v2, v18
	v_sub_u32_e32 v2, v51, v70
	v_sub_u32_e32 v3, v9, v2
	v_add_u32_e32 v3, 22, v3
	v_cmp_eq_u32_e32 vcc, 1, v4
	v_add_u32_e32 v52, v51, v52
	v_and_b32_e32 v4, 1, v41
	v_cndmask_b32_e32 v2, v3, v2, vcc
	v_lshlrev_b32_e32 v2, 1, v2
	ds_write_b16 v2, v19
	v_sub_u32_e32 v2, v52, v70
	v_sub_u32_e32 v3, v9, v2
	v_add_u32_e32 v3, 23, v3
	v_cmp_eq_u32_e32 vcc, 1, v4
	v_add_u32_e32 v73, v52, v41
	v_and_b32_e32 v4, 1, v8
	v_cndmask_b32_e32 v2, v3, v2, vcc
	v_lshlrev_b32_e32 v2, 1, v2
	ds_write_b16_d16_hi v2, v19
	v_sub_u32_e32 v2, v73, v70
	v_sub_u32_e32 v3, v9, v2
	v_add_u32_e32 v3, 24, v3
	v_cmp_eq_u32_e32 vcc, 1, v4
	v_add_u32_e32 v47, v73, v47
	v_lshrrev_b32_e32 v11, 8, v8
	v_cndmask_b32_e32 v2, v3, v2, vcc
	v_lshlrev_b32_e32 v2, 1, v2
	ds_write_b16 v2, v16
	v_sub_u32_e32 v2, v47, v70
	v_sub_u32_e32 v3, v9, v2
	v_and_b32_e32 v4, 1, v11
	v_add_u32_e32 v3, 25, v3
	v_cmp_eq_u32_e32 vcc, 1, v4
	v_add_u32_e32 v48, v47, v48
	v_and_b32_sdwa v4, v36, v8 dst_sel:DWORD dst_unused:UNUSED_PAD src0_sel:DWORD src1_sel:WORD_1
	v_cndmask_b32_e32 v2, v3, v2, vcc
	v_lshlrev_b32_e32 v2, 1, v2
	ds_write_b16_d16_hi v2, v16
	v_sub_u32_e32 v2, v48, v70
	v_sub_u32_e32 v3, v9, v2
	v_add_u32_e32 v3, 26, v3
	v_cmp_eq_u32_e32 vcc, 1, v4
	v_add_u32_e32 v49, v48, v49
	v_and_b32_e32 v4, 1, v39
	v_cndmask_b32_e32 v2, v3, v2, vcc
	v_lshlrev_b32_e32 v2, 1, v2
	ds_write_b16 v2, v17
	v_sub_u32_e32 v2, v49, v70
	v_sub_u32_e32 v3, v9, v2
	v_add_u32_e32 v3, 27, v3
	v_cmp_eq_u32_e32 vcc, 1, v4
	v_add_u32_e32 v74, v49, v39
	v_and_b32_e32 v4, 1, v38
	v_cndmask_b32_e32 v2, v3, v2, vcc
	v_lshlrev_b32_e32 v2, 1, v2
	ds_write_b16_d16_hi v2, v17
	v_sub_u32_e32 v2, v74, v70
	v_sub_u32_e32 v3, v9, v2
	v_add_u32_e32 v3, 28, v3
	v_cmp_eq_u32_e32 vcc, 1, v4
	v_and_b32_e32 v4, 1, v13
	s_add_u32 s0, s26, s24
	v_cndmask_b32_e32 v2, v3, v2, vcc
	v_lshlrev_b32_e32 v2, 1, v2
	ds_write_b16 v2, v1
	v_sub_u32_e32 v2, v40, v70
	v_add_u32_e32 v2, v74, v2
	v_sub_u32_e32 v3, v9, v2
	v_add_u32_e32 v3, 29, v3
	v_cmp_eq_u32_e32 vcc, 1, v4
	s_addc_u32 s1, s27, 0
	s_sub_u32 s0, s30, s0
	v_cndmask_b32_e32 v2, v3, v2, vcc
	v_lshlrev_b32_e32 v2, 1, v2
	ds_write_b16_d16_hi v2, v1
	s_waitcnt lgkmcnt(0)
	s_barrier
	ds_read_u16 v101, v12
	ds_read_u16 v100, v12 offset:1024
	ds_read_u16 v99, v12 offset:2048
	;; [unrolled: 1-line block ×29, first 2 shown]
	v_mov_b32_e32 v1, 0
	v_mov_b32_e32 v71, v1
	;; [unrolled: 1-line block ×3, first 2 shown]
	s_subb_u32 s1, s31, s1
	s_waitcnt vmcnt(0)
	v_lshl_add_u64 v[2:3], v[14:15], 0, v[70:71]
	v_lshl_add_u64 v[6:7], s[0:1], 0, v[10:11]
	v_or_b32_e32 v68, 0x200, v0
	v_mov_b32_e32 v69, v1
	v_or_b32_e32 v66, 0x400, v0
	v_mov_b32_e32 v67, v1
	;; [unrolled: 2-line block ×29, first 2 shown]
	s_andn2_b64 vcc, exec, s[34:35]
	v_lshl_add_u64 v[6:7], v[6:7], 0, v[2:3]
	s_cbranch_vccnz .LBB2095_294
; %bb.170:
	v_cmp_ge_u32_e32 vcc, v0, v10
                                        ; implicit-def: $vgpr12_vgpr13
	s_and_saveexec_b64 s[0:1], vcc
	s_xor_b64 s[0:1], exec, s[0:1]
; %bb.171:
	v_not_b32_e32 v12, v0
	v_ashrrev_i32_e32 v13, 31, v12
	v_lshl_add_u64 v[12:13], v[6:7], 0, v[12:13]
; %bb.172:
	s_andn2_saveexec_b64 s[0:1], s[0:1]
; %bb.173:
	v_lshl_add_u64 v[12:13], v[2:3], 0, v[0:1]
; %bb.174:
	s_or_b64 exec, exec, s[0:1]
	v_lshl_add_u64 v[12:13], v[12:13], 1, s[28:29]
	v_cmp_ge_u32_e32 vcc, v68, v10
	s_waitcnt lgkmcnt(14)
	global_store_short v[12:13], v101, off
                                        ; implicit-def: $vgpr12_vgpr13
	s_and_saveexec_b64 s[0:1], vcc
	s_xor_b64 s[0:1], exec, s[0:1]
; %bb.175:
	v_xor_b32_e32 v12, 0xfffffdff, v0
	v_ashrrev_i32_e32 v13, 31, v12
	v_lshl_add_u64 v[12:13], v[6:7], 0, v[12:13]
; %bb.176:
	s_andn2_saveexec_b64 s[0:1], s[0:1]
; %bb.177:
	v_lshl_add_u64 v[12:13], v[2:3], 0, v[68:69]
; %bb.178:
	s_or_b64 exec, exec, s[0:1]
	v_lshl_add_u64 v[12:13], v[12:13], 1, s[28:29]
	v_cmp_ge_u32_e32 vcc, v66, v10
	global_store_short v[12:13], v100, off
                                        ; implicit-def: $vgpr12_vgpr13
	s_and_saveexec_b64 s[0:1], vcc
	s_xor_b64 s[0:1], exec, s[0:1]
; %bb.179:
	v_xor_b32_e32 v12, 0xfffffbff, v0
	v_ashrrev_i32_e32 v13, 31, v12
	v_lshl_add_u64 v[12:13], v[6:7], 0, v[12:13]
; %bb.180:
	s_andn2_saveexec_b64 s[0:1], s[0:1]
; %bb.181:
	v_lshl_add_u64 v[12:13], v[2:3], 0, v[66:67]
; %bb.182:
	s_or_b64 exec, exec, s[0:1]
	v_lshl_add_u64 v[12:13], v[12:13], 1, s[28:29]
	v_cmp_ge_u32_e32 vcc, v64, v10
	;; [unrolled: 16-line block ×16, first 2 shown]
	s_waitcnt lgkmcnt(13)
	global_store_short v[12:13], v85, off
                                        ; implicit-def: $vgpr12_vgpr13
	s_and_saveexec_b64 s[0:1], vcc
	s_xor_b64 s[0:1], exec, s[0:1]
; %bb.239:
	v_xor_b32_e32 v12, 0xffffddff, v0
	v_ashrrev_i32_e32 v13, 31, v12
	v_lshl_add_u64 v[12:13], v[6:7], 0, v[12:13]
; %bb.240:
	s_andn2_saveexec_b64 s[0:1], s[0:1]
; %bb.241:
	v_lshl_add_u64 v[12:13], v[2:3], 0, v[36:37]
; %bb.242:
	s_or_b64 exec, exec, s[0:1]
	v_lshl_add_u64 v[12:13], v[12:13], 1, s[28:29]
	v_cmp_ge_u32_e32 vcc, v34, v10
	s_waitcnt lgkmcnt(12)
	global_store_short v[12:13], v84, off
                                        ; implicit-def: $vgpr12_vgpr13
	s_and_saveexec_b64 s[0:1], vcc
	s_xor_b64 s[0:1], exec, s[0:1]
; %bb.243:
	v_xor_b32_e32 v12, 0xffffdbff, v0
	v_ashrrev_i32_e32 v13, 31, v12
	v_lshl_add_u64 v[12:13], v[6:7], 0, v[12:13]
; %bb.244:
	s_andn2_saveexec_b64 s[0:1], s[0:1]
; %bb.245:
	v_lshl_add_u64 v[12:13], v[2:3], 0, v[34:35]
; %bb.246:
	s_or_b64 exec, exec, s[0:1]
	v_lshl_add_u64 v[12:13], v[12:13], 1, s[28:29]
	v_cmp_ge_u32_e32 vcc, v32, v10
	;; [unrolled: 17-line block ×12, first 2 shown]
	s_waitcnt lgkmcnt(1)
	global_store_short v[12:13], v73, off
                                        ; implicit-def: $vgpr12_vgpr13
	s_and_saveexec_b64 s[0:1], vcc
	s_xor_b64 s[0:1], exec, s[0:1]
; %bb.287:
	v_xor_b32_e32 v12, 0xffffc5ff, v0
	v_ashrrev_i32_e32 v13, 31, v12
	v_lshl_add_u64 v[12:13], v[6:7], 0, v[12:13]
; %bb.288:
	s_andn2_saveexec_b64 s[0:1], s[0:1]
; %bb.289:
	v_lshl_add_u64 v[12:13], v[2:3], 0, v[4:5]
; %bb.290:
	s_or_b64 exec, exec, s[0:1]
	s_mov_b64 s[0:1], -1
.LBB2095_291:
	s_and_saveexec_b64 s[2:3], s[0:1]
	s_cbranch_execz .LBB2095_382
.LBB2095_292:
	v_lshl_add_u64 v[0:1], v[12:13], 1, s[28:29]
	s_waitcnt lgkmcnt(0)
	global_store_short v[0:1], v72, off
	s_or_b64 exec, exec, s[2:3]
	s_and_b64 s[0:1], s[18:19], s[22:23]
	s_and_saveexec_b64 s[2:3], s[0:1]
	s_cbranch_execnz .LBB2095_383
.LBB2095_293:
	s_endpgm
.LBB2095_294:
	s_mov_b64 s[0:1], 0
                                        ; implicit-def: $vgpr12_vgpr13
	s_cbranch_execz .LBB2095_291
; %bb.295:
	v_cmp_gt_u32_e32 vcc, s33, v0
	s_and_saveexec_b64 s[2:3], vcc
	s_cbranch_execz .LBB2095_384
; %bb.296:
	v_cmp_ge_u32_e32 vcc, v0, v10
                                        ; implicit-def: $vgpr12_vgpr13
	s_and_saveexec_b64 s[4:5], vcc
	s_xor_b64 s[4:5], exec, s[4:5]
; %bb.297:
	v_not_b32_e32 v12, v0
	v_ashrrev_i32_e32 v13, 31, v12
	v_lshl_add_u64 v[12:13], v[6:7], 0, v[12:13]
; %bb.298:
	s_andn2_saveexec_b64 s[4:5], s[4:5]
; %bb.299:
	v_lshl_add_u64 v[12:13], v[2:3], 0, v[0:1]
; %bb.300:
	s_or_b64 exec, exec, s[4:5]
	v_lshl_add_u64 v[12:13], v[12:13], 1, s[28:29]
	s_waitcnt lgkmcnt(14)
	global_store_short v[12:13], v101, off
	s_or_b64 exec, exec, s[2:3]
	v_cmp_gt_u32_e32 vcc, s33, v68
	s_and_saveexec_b64 s[2:3], vcc
	s_cbranch_execnz .LBB2095_385
.LBB2095_301:
	s_or_b64 exec, exec, s[2:3]
	v_cmp_gt_u32_e32 vcc, s33, v66
	s_and_saveexec_b64 s[2:3], vcc
	s_cbranch_execz .LBB2095_390
.LBB2095_302:
	v_cmp_ge_u32_e32 vcc, v66, v10
                                        ; implicit-def: $vgpr12_vgpr13
	s_and_saveexec_b64 s[4:5], vcc
	s_xor_b64 s[4:5], exec, s[4:5]
; %bb.303:
	v_xor_b32_e32 v12, 0xfffffbff, v0
	v_ashrrev_i32_e32 v13, 31, v12
	v_lshl_add_u64 v[12:13], v[6:7], 0, v[12:13]
                                        ; implicit-def: $vgpr66_vgpr67
; %bb.304:
	s_andn2_saveexec_b64 s[4:5], s[4:5]
; %bb.305:
	v_lshl_add_u64 v[12:13], v[2:3], 0, v[66:67]
; %bb.306:
	s_or_b64 exec, exec, s[4:5]
	v_lshl_add_u64 v[12:13], v[12:13], 1, s[28:29]
	s_waitcnt lgkmcnt(14)
	global_store_short v[12:13], v99, off
	s_or_b64 exec, exec, s[2:3]
	v_cmp_gt_u32_e32 vcc, s33, v64
	s_and_saveexec_b64 s[2:3], vcc
	s_cbranch_execnz .LBB2095_391
.LBB2095_307:
	s_or_b64 exec, exec, s[2:3]
	v_cmp_gt_u32_e32 vcc, s33, v62
	s_and_saveexec_b64 s[2:3], vcc
	s_cbranch_execz .LBB2095_396
.LBB2095_308:
	v_cmp_ge_u32_e32 vcc, v62, v10
                                        ; implicit-def: $vgpr12_vgpr13
	s_and_saveexec_b64 s[4:5], vcc
	s_xor_b64 s[4:5], exec, s[4:5]
; %bb.309:
	v_xor_b32_e32 v12, 0xfffff7ff, v0
	v_ashrrev_i32_e32 v13, 31, v12
	v_lshl_add_u64 v[12:13], v[6:7], 0, v[12:13]
                                        ; implicit-def: $vgpr62_vgpr63
; %bb.310:
	s_andn2_saveexec_b64 s[4:5], s[4:5]
; %bb.311:
	v_lshl_add_u64 v[12:13], v[2:3], 0, v[62:63]
; %bb.312:
	s_or_b64 exec, exec, s[4:5]
	v_lshl_add_u64 v[12:13], v[12:13], 1, s[28:29]
	s_waitcnt lgkmcnt(14)
	global_store_short v[12:13], v97, off
	s_or_b64 exec, exec, s[2:3]
	v_cmp_gt_u32_e32 vcc, s33, v60
	s_and_saveexec_b64 s[2:3], vcc
	s_cbranch_execnz .LBB2095_397
.LBB2095_313:
	s_or_b64 exec, exec, s[2:3]
	v_cmp_gt_u32_e32 vcc, s33, v58
	s_and_saveexec_b64 s[2:3], vcc
	s_cbranch_execz .LBB2095_402
.LBB2095_314:
	v_cmp_ge_u32_e32 vcc, v58, v10
                                        ; implicit-def: $vgpr12_vgpr13
	s_and_saveexec_b64 s[4:5], vcc
	s_xor_b64 s[4:5], exec, s[4:5]
; %bb.315:
	v_xor_b32_e32 v12, 0xfffff3ff, v0
	v_ashrrev_i32_e32 v13, 31, v12
	v_lshl_add_u64 v[12:13], v[6:7], 0, v[12:13]
                                        ; implicit-def: $vgpr58_vgpr59
; %bb.316:
	s_andn2_saveexec_b64 s[4:5], s[4:5]
; %bb.317:
	v_lshl_add_u64 v[12:13], v[2:3], 0, v[58:59]
; %bb.318:
	s_or_b64 exec, exec, s[4:5]
	v_lshl_add_u64 v[12:13], v[12:13], 1, s[28:29]
	s_waitcnt lgkmcnt(14)
	global_store_short v[12:13], v95, off
	s_or_b64 exec, exec, s[2:3]
	v_cmp_gt_u32_e32 vcc, s33, v56
	s_and_saveexec_b64 s[2:3], vcc
	s_cbranch_execnz .LBB2095_403
.LBB2095_319:
	s_or_b64 exec, exec, s[2:3]
	v_cmp_gt_u32_e32 vcc, s33, v54
	s_and_saveexec_b64 s[2:3], vcc
	s_cbranch_execz .LBB2095_408
.LBB2095_320:
	v_cmp_ge_u32_e32 vcc, v54, v10
                                        ; implicit-def: $vgpr12_vgpr13
	s_and_saveexec_b64 s[4:5], vcc
	s_xor_b64 s[4:5], exec, s[4:5]
; %bb.321:
	v_xor_b32_e32 v12, 0xffffefff, v0
	v_ashrrev_i32_e32 v13, 31, v12
	v_lshl_add_u64 v[12:13], v[6:7], 0, v[12:13]
                                        ; implicit-def: $vgpr54_vgpr55
; %bb.322:
	s_andn2_saveexec_b64 s[4:5], s[4:5]
; %bb.323:
	v_lshl_add_u64 v[12:13], v[2:3], 0, v[54:55]
; %bb.324:
	s_or_b64 exec, exec, s[4:5]
	v_lshl_add_u64 v[12:13], v[12:13], 1, s[28:29]
	s_waitcnt lgkmcnt(14)
	global_store_short v[12:13], v93, off
	s_or_b64 exec, exec, s[2:3]
	v_cmp_gt_u32_e32 vcc, s33, v52
	s_and_saveexec_b64 s[2:3], vcc
	s_cbranch_execnz .LBB2095_409
.LBB2095_325:
	s_or_b64 exec, exec, s[2:3]
	v_cmp_gt_u32_e32 vcc, s33, v50
	s_and_saveexec_b64 s[2:3], vcc
	s_cbranch_execz .LBB2095_414
.LBB2095_326:
	v_cmp_ge_u32_e32 vcc, v50, v10
                                        ; implicit-def: $vgpr12_vgpr13
	s_and_saveexec_b64 s[4:5], vcc
	s_xor_b64 s[4:5], exec, s[4:5]
; %bb.327:
	v_xor_b32_e32 v12, 0xffffebff, v0
	v_ashrrev_i32_e32 v13, 31, v12
	v_lshl_add_u64 v[12:13], v[6:7], 0, v[12:13]
                                        ; implicit-def: $vgpr50_vgpr51
; %bb.328:
	s_andn2_saveexec_b64 s[4:5], s[4:5]
; %bb.329:
	v_lshl_add_u64 v[12:13], v[2:3], 0, v[50:51]
; %bb.330:
	s_or_b64 exec, exec, s[4:5]
	v_lshl_add_u64 v[12:13], v[12:13], 1, s[28:29]
	s_waitcnt lgkmcnt(14)
	global_store_short v[12:13], v91, off
	s_or_b64 exec, exec, s[2:3]
	v_cmp_gt_u32_e32 vcc, s33, v48
	s_and_saveexec_b64 s[2:3], vcc
	s_cbranch_execnz .LBB2095_415
.LBB2095_331:
	s_or_b64 exec, exec, s[2:3]
	v_cmp_gt_u32_e32 vcc, s33, v46
	s_and_saveexec_b64 s[2:3], vcc
	s_cbranch_execz .LBB2095_420
.LBB2095_332:
	v_cmp_ge_u32_e32 vcc, v46, v10
                                        ; implicit-def: $vgpr12_vgpr13
	s_and_saveexec_b64 s[4:5], vcc
	s_xor_b64 s[4:5], exec, s[4:5]
; %bb.333:
	v_xor_b32_e32 v12, 0xffffe7ff, v0
	v_ashrrev_i32_e32 v13, 31, v12
	v_lshl_add_u64 v[12:13], v[6:7], 0, v[12:13]
                                        ; implicit-def: $vgpr46_vgpr47
; %bb.334:
	s_andn2_saveexec_b64 s[4:5], s[4:5]
; %bb.335:
	v_lshl_add_u64 v[12:13], v[2:3], 0, v[46:47]
; %bb.336:
	s_or_b64 exec, exec, s[4:5]
	v_lshl_add_u64 v[12:13], v[12:13], 1, s[28:29]
	s_waitcnt lgkmcnt(14)
	global_store_short v[12:13], v89, off
	s_or_b64 exec, exec, s[2:3]
	v_cmp_gt_u32_e32 vcc, s33, v44
	s_and_saveexec_b64 s[2:3], vcc
	s_cbranch_execnz .LBB2095_421
.LBB2095_337:
	s_or_b64 exec, exec, s[2:3]
	v_cmp_gt_u32_e32 vcc, s33, v42
	s_and_saveexec_b64 s[2:3], vcc
	s_cbranch_execz .LBB2095_426
.LBB2095_338:
	v_cmp_ge_u32_e32 vcc, v42, v10
                                        ; implicit-def: $vgpr12_vgpr13
	s_and_saveexec_b64 s[4:5], vcc
	s_xor_b64 s[4:5], exec, s[4:5]
; %bb.339:
	v_xor_b32_e32 v12, 0xffffe3ff, v0
	v_ashrrev_i32_e32 v13, 31, v12
	v_lshl_add_u64 v[12:13], v[6:7], 0, v[12:13]
                                        ; implicit-def: $vgpr42_vgpr43
; %bb.340:
	s_andn2_saveexec_b64 s[4:5], s[4:5]
; %bb.341:
	v_lshl_add_u64 v[12:13], v[2:3], 0, v[42:43]
; %bb.342:
	s_or_b64 exec, exec, s[4:5]
	v_lshl_add_u64 v[12:13], v[12:13], 1, s[28:29]
	s_waitcnt lgkmcnt(14)
	global_store_short v[12:13], v87, off
	s_or_b64 exec, exec, s[2:3]
	v_cmp_gt_u32_e32 vcc, s33, v40
	s_and_saveexec_b64 s[2:3], vcc
	s_cbranch_execnz .LBB2095_427
.LBB2095_343:
	s_or_b64 exec, exec, s[2:3]
	v_cmp_gt_u32_e32 vcc, s33, v38
	s_and_saveexec_b64 s[2:3], vcc
	s_cbranch_execz .LBB2095_432
.LBB2095_344:
	v_cmp_ge_u32_e32 vcc, v38, v10
                                        ; implicit-def: $vgpr12_vgpr13
	s_and_saveexec_b64 s[4:5], vcc
	s_xor_b64 s[4:5], exec, s[4:5]
; %bb.345:
	v_xor_b32_e32 v12, 0xffffdfff, v0
	v_ashrrev_i32_e32 v13, 31, v12
	v_lshl_add_u64 v[12:13], v[6:7], 0, v[12:13]
                                        ; implicit-def: $vgpr38_vgpr39
; %bb.346:
	s_andn2_saveexec_b64 s[4:5], s[4:5]
; %bb.347:
	v_lshl_add_u64 v[12:13], v[2:3], 0, v[38:39]
; %bb.348:
	s_or_b64 exec, exec, s[4:5]
	v_lshl_add_u64 v[12:13], v[12:13], 1, s[28:29]
	s_waitcnt lgkmcnt(13)
	global_store_short v[12:13], v85, off
	s_or_b64 exec, exec, s[2:3]
	v_cmp_gt_u32_e32 vcc, s33, v36
	s_and_saveexec_b64 s[2:3], vcc
	s_cbranch_execnz .LBB2095_433
.LBB2095_349:
	s_or_b64 exec, exec, s[2:3]
	v_cmp_gt_u32_e32 vcc, s33, v34
	s_and_saveexec_b64 s[2:3], vcc
	s_cbranch_execz .LBB2095_438
.LBB2095_350:
	v_cmp_ge_u32_e32 vcc, v34, v10
                                        ; implicit-def: $vgpr12_vgpr13
	s_and_saveexec_b64 s[4:5], vcc
	s_xor_b64 s[4:5], exec, s[4:5]
; %bb.351:
	v_xor_b32_e32 v12, 0xffffdbff, v0
	v_ashrrev_i32_e32 v13, 31, v12
	v_lshl_add_u64 v[12:13], v[6:7], 0, v[12:13]
                                        ; implicit-def: $vgpr34_vgpr35
; %bb.352:
	s_andn2_saveexec_b64 s[4:5], s[4:5]
; %bb.353:
	v_lshl_add_u64 v[12:13], v[2:3], 0, v[34:35]
; %bb.354:
	s_or_b64 exec, exec, s[4:5]
	v_lshl_add_u64 v[12:13], v[12:13], 1, s[28:29]
	s_waitcnt lgkmcnt(11)
	global_store_short v[12:13], v83, off
	s_or_b64 exec, exec, s[2:3]
	v_cmp_gt_u32_e32 vcc, s33, v32
	s_and_saveexec_b64 s[2:3], vcc
	s_cbranch_execnz .LBB2095_439
.LBB2095_355:
	s_or_b64 exec, exec, s[2:3]
	v_cmp_gt_u32_e32 vcc, s33, v30
	s_and_saveexec_b64 s[2:3], vcc
	s_cbranch_execz .LBB2095_444
.LBB2095_356:
	v_cmp_ge_u32_e32 vcc, v30, v10
                                        ; implicit-def: $vgpr12_vgpr13
	s_and_saveexec_b64 s[4:5], vcc
	s_xor_b64 s[4:5], exec, s[4:5]
; %bb.357:
	v_xor_b32_e32 v12, 0xffffd7ff, v0
	v_ashrrev_i32_e32 v13, 31, v12
	v_lshl_add_u64 v[12:13], v[6:7], 0, v[12:13]
                                        ; implicit-def: $vgpr30_vgpr31
; %bb.358:
	s_andn2_saveexec_b64 s[4:5], s[4:5]
; %bb.359:
	v_lshl_add_u64 v[12:13], v[2:3], 0, v[30:31]
; %bb.360:
	s_or_b64 exec, exec, s[4:5]
	v_lshl_add_u64 v[12:13], v[12:13], 1, s[28:29]
	s_waitcnt lgkmcnt(9)
	global_store_short v[12:13], v81, off
	s_or_b64 exec, exec, s[2:3]
	v_cmp_gt_u32_e32 vcc, s33, v28
	s_and_saveexec_b64 s[2:3], vcc
	s_cbranch_execnz .LBB2095_445
.LBB2095_361:
	s_or_b64 exec, exec, s[2:3]
	v_cmp_gt_u32_e32 vcc, s33, v26
	s_and_saveexec_b64 s[2:3], vcc
	s_cbranch_execz .LBB2095_450
.LBB2095_362:
	v_cmp_ge_u32_e32 vcc, v26, v10
                                        ; implicit-def: $vgpr12_vgpr13
	s_and_saveexec_b64 s[4:5], vcc
	s_xor_b64 s[4:5], exec, s[4:5]
; %bb.363:
	v_xor_b32_e32 v12, 0xffffd3ff, v0
	v_ashrrev_i32_e32 v13, 31, v12
	v_lshl_add_u64 v[12:13], v[6:7], 0, v[12:13]
                                        ; implicit-def: $vgpr26_vgpr27
; %bb.364:
	s_andn2_saveexec_b64 s[4:5], s[4:5]
; %bb.365:
	v_lshl_add_u64 v[12:13], v[2:3], 0, v[26:27]
; %bb.366:
	s_or_b64 exec, exec, s[4:5]
	v_lshl_add_u64 v[12:13], v[12:13], 1, s[28:29]
	s_waitcnt lgkmcnt(7)
	global_store_short v[12:13], v79, off
	s_or_b64 exec, exec, s[2:3]
	v_cmp_gt_u32_e32 vcc, s33, v24
	s_and_saveexec_b64 s[2:3], vcc
	s_cbranch_execnz .LBB2095_451
.LBB2095_367:
	s_or_b64 exec, exec, s[2:3]
	v_cmp_gt_u32_e32 vcc, s33, v22
	s_and_saveexec_b64 s[2:3], vcc
	s_cbranch_execz .LBB2095_456
.LBB2095_368:
	v_cmp_ge_u32_e32 vcc, v22, v10
                                        ; implicit-def: $vgpr12_vgpr13
	s_and_saveexec_b64 s[4:5], vcc
	s_xor_b64 s[4:5], exec, s[4:5]
; %bb.369:
	v_xor_b32_e32 v12, 0xffffcfff, v0
	v_ashrrev_i32_e32 v13, 31, v12
	v_lshl_add_u64 v[12:13], v[6:7], 0, v[12:13]
                                        ; implicit-def: $vgpr22_vgpr23
; %bb.370:
	s_andn2_saveexec_b64 s[4:5], s[4:5]
; %bb.371:
	v_lshl_add_u64 v[12:13], v[2:3], 0, v[22:23]
; %bb.372:
	s_or_b64 exec, exec, s[4:5]
	v_lshl_add_u64 v[12:13], v[12:13], 1, s[28:29]
	s_waitcnt lgkmcnt(5)
	global_store_short v[12:13], v77, off
	s_or_b64 exec, exec, s[2:3]
	v_cmp_gt_u32_e32 vcc, s33, v20
	s_and_saveexec_b64 s[2:3], vcc
	s_cbranch_execnz .LBB2095_457
.LBB2095_373:
	s_or_b64 exec, exec, s[2:3]
	v_cmp_gt_u32_e32 vcc, s33, v18
	s_and_saveexec_b64 s[2:3], vcc
	s_cbranch_execz .LBB2095_462
.LBB2095_374:
	v_cmp_ge_u32_e32 vcc, v18, v10
                                        ; implicit-def: $vgpr12_vgpr13
	s_and_saveexec_b64 s[4:5], vcc
	s_xor_b64 s[4:5], exec, s[4:5]
; %bb.375:
	v_xor_b32_e32 v12, 0xffffcbff, v0
	v_ashrrev_i32_e32 v13, 31, v12
	v_lshl_add_u64 v[12:13], v[6:7], 0, v[12:13]
                                        ; implicit-def: $vgpr18_vgpr19
; %bb.376:
	s_andn2_saveexec_b64 s[4:5], s[4:5]
; %bb.377:
	v_lshl_add_u64 v[12:13], v[2:3], 0, v[18:19]
; %bb.378:
	s_or_b64 exec, exec, s[4:5]
	v_lshl_add_u64 v[12:13], v[12:13], 1, s[28:29]
	s_waitcnt lgkmcnt(3)
	global_store_short v[12:13], v75, off
	s_or_b64 exec, exec, s[2:3]
	v_cmp_gt_u32_e32 vcc, s33, v16
	s_and_saveexec_b64 s[2:3], vcc
	s_cbranch_execnz .LBB2095_463
.LBB2095_379:
	s_or_b64 exec, exec, s[2:3]
	v_cmp_gt_u32_e32 vcc, s33, v8
	s_and_saveexec_b64 s[2:3], vcc
	s_cbranch_execnz .LBB2095_468
.LBB2095_380:
	s_or_b64 exec, exec, s[2:3]
	v_cmp_gt_u32_e32 vcc, s33, v4
                                        ; implicit-def: $vgpr12_vgpr13
	s_and_saveexec_b64 s[2:3], vcc
	s_cbranch_execnz .LBB2095_473
.LBB2095_381:
	s_or_b64 exec, exec, s[2:3]
	s_and_saveexec_b64 s[2:3], s[0:1]
	s_cbranch_execnz .LBB2095_292
.LBB2095_382:
	s_or_b64 exec, exec, s[2:3]
	s_and_b64 s[0:1], s[18:19], s[22:23]
	s_and_saveexec_b64 s[2:3], s[0:1]
	s_cbranch_execz .LBB2095_293
.LBB2095_383:
	v_mov_b32_e32 v4, 0
	v_lshl_add_u64 v[0:1], v[2:3], 0, v[10:11]
	global_store_dwordx2 v4, v[0:1], s[20:21]
	s_endpgm
.LBB2095_384:
	s_or_b64 exec, exec, s[2:3]
	v_cmp_gt_u32_e32 vcc, s33, v68
	s_and_saveexec_b64 s[2:3], vcc
	s_cbranch_execz .LBB2095_301
.LBB2095_385:
	v_cmp_ge_u32_e32 vcc, v68, v10
                                        ; implicit-def: $vgpr12_vgpr13
	s_and_saveexec_b64 s[4:5], vcc
	s_xor_b64 s[4:5], exec, s[4:5]
; %bb.386:
	v_xor_b32_e32 v12, 0xfffffdff, v0
	v_ashrrev_i32_e32 v13, 31, v12
	v_lshl_add_u64 v[12:13], v[6:7], 0, v[12:13]
                                        ; implicit-def: $vgpr68_vgpr69
; %bb.387:
	s_andn2_saveexec_b64 s[4:5], s[4:5]
; %bb.388:
	v_lshl_add_u64 v[12:13], v[2:3], 0, v[68:69]
; %bb.389:
	s_or_b64 exec, exec, s[4:5]
	v_lshl_add_u64 v[12:13], v[12:13], 1, s[28:29]
	s_waitcnt lgkmcnt(14)
	global_store_short v[12:13], v100, off
	s_or_b64 exec, exec, s[2:3]
	v_cmp_gt_u32_e32 vcc, s33, v66
	s_and_saveexec_b64 s[2:3], vcc
	s_cbranch_execnz .LBB2095_302
.LBB2095_390:
	s_or_b64 exec, exec, s[2:3]
	v_cmp_gt_u32_e32 vcc, s33, v64
	s_and_saveexec_b64 s[2:3], vcc
	s_cbranch_execz .LBB2095_307
.LBB2095_391:
	v_cmp_ge_u32_e32 vcc, v64, v10
                                        ; implicit-def: $vgpr12_vgpr13
	s_and_saveexec_b64 s[4:5], vcc
	s_xor_b64 s[4:5], exec, s[4:5]
; %bb.392:
	v_xor_b32_e32 v12, 0xfffff9ff, v0
	v_ashrrev_i32_e32 v13, 31, v12
	v_lshl_add_u64 v[12:13], v[6:7], 0, v[12:13]
                                        ; implicit-def: $vgpr64_vgpr65
; %bb.393:
	s_andn2_saveexec_b64 s[4:5], s[4:5]
; %bb.394:
	v_lshl_add_u64 v[12:13], v[2:3], 0, v[64:65]
; %bb.395:
	s_or_b64 exec, exec, s[4:5]
	v_lshl_add_u64 v[12:13], v[12:13], 1, s[28:29]
	s_waitcnt lgkmcnt(14)
	global_store_short v[12:13], v98, off
	s_or_b64 exec, exec, s[2:3]
	v_cmp_gt_u32_e32 vcc, s33, v62
	s_and_saveexec_b64 s[2:3], vcc
	s_cbranch_execnz .LBB2095_308
.LBB2095_396:
	s_or_b64 exec, exec, s[2:3]
	v_cmp_gt_u32_e32 vcc, s33, v60
	s_and_saveexec_b64 s[2:3], vcc
	s_cbranch_execz .LBB2095_313
.LBB2095_397:
	v_cmp_ge_u32_e32 vcc, v60, v10
                                        ; implicit-def: $vgpr12_vgpr13
	s_and_saveexec_b64 s[4:5], vcc
	s_xor_b64 s[4:5], exec, s[4:5]
; %bb.398:
	v_xor_b32_e32 v12, 0xfffff5ff, v0
	v_ashrrev_i32_e32 v13, 31, v12
	v_lshl_add_u64 v[12:13], v[6:7], 0, v[12:13]
                                        ; implicit-def: $vgpr60_vgpr61
; %bb.399:
	s_andn2_saveexec_b64 s[4:5], s[4:5]
; %bb.400:
	v_lshl_add_u64 v[12:13], v[2:3], 0, v[60:61]
; %bb.401:
	s_or_b64 exec, exec, s[4:5]
	v_lshl_add_u64 v[12:13], v[12:13], 1, s[28:29]
	s_waitcnt lgkmcnt(14)
	global_store_short v[12:13], v96, off
	s_or_b64 exec, exec, s[2:3]
	v_cmp_gt_u32_e32 vcc, s33, v58
	s_and_saveexec_b64 s[2:3], vcc
	s_cbranch_execnz .LBB2095_314
.LBB2095_402:
	s_or_b64 exec, exec, s[2:3]
	v_cmp_gt_u32_e32 vcc, s33, v56
	s_and_saveexec_b64 s[2:3], vcc
	s_cbranch_execz .LBB2095_319
.LBB2095_403:
	v_cmp_ge_u32_e32 vcc, v56, v10
                                        ; implicit-def: $vgpr12_vgpr13
	s_and_saveexec_b64 s[4:5], vcc
	s_xor_b64 s[4:5], exec, s[4:5]
; %bb.404:
	v_xor_b32_e32 v12, 0xfffff1ff, v0
	v_ashrrev_i32_e32 v13, 31, v12
	v_lshl_add_u64 v[12:13], v[6:7], 0, v[12:13]
                                        ; implicit-def: $vgpr56_vgpr57
; %bb.405:
	s_andn2_saveexec_b64 s[4:5], s[4:5]
; %bb.406:
	v_lshl_add_u64 v[12:13], v[2:3], 0, v[56:57]
; %bb.407:
	s_or_b64 exec, exec, s[4:5]
	v_lshl_add_u64 v[12:13], v[12:13], 1, s[28:29]
	s_waitcnt lgkmcnt(14)
	global_store_short v[12:13], v94, off
	s_or_b64 exec, exec, s[2:3]
	v_cmp_gt_u32_e32 vcc, s33, v54
	s_and_saveexec_b64 s[2:3], vcc
	s_cbranch_execnz .LBB2095_320
.LBB2095_408:
	s_or_b64 exec, exec, s[2:3]
	v_cmp_gt_u32_e32 vcc, s33, v52
	s_and_saveexec_b64 s[2:3], vcc
	s_cbranch_execz .LBB2095_325
.LBB2095_409:
	v_cmp_ge_u32_e32 vcc, v52, v10
                                        ; implicit-def: $vgpr12_vgpr13
	s_and_saveexec_b64 s[4:5], vcc
	s_xor_b64 s[4:5], exec, s[4:5]
; %bb.410:
	v_xor_b32_e32 v12, 0xffffedff, v0
	v_ashrrev_i32_e32 v13, 31, v12
	v_lshl_add_u64 v[12:13], v[6:7], 0, v[12:13]
                                        ; implicit-def: $vgpr52_vgpr53
; %bb.411:
	s_andn2_saveexec_b64 s[4:5], s[4:5]
; %bb.412:
	v_lshl_add_u64 v[12:13], v[2:3], 0, v[52:53]
; %bb.413:
	s_or_b64 exec, exec, s[4:5]
	v_lshl_add_u64 v[12:13], v[12:13], 1, s[28:29]
	s_waitcnt lgkmcnt(14)
	global_store_short v[12:13], v92, off
	s_or_b64 exec, exec, s[2:3]
	v_cmp_gt_u32_e32 vcc, s33, v50
	s_and_saveexec_b64 s[2:3], vcc
	s_cbranch_execnz .LBB2095_326
.LBB2095_414:
	s_or_b64 exec, exec, s[2:3]
	v_cmp_gt_u32_e32 vcc, s33, v48
	s_and_saveexec_b64 s[2:3], vcc
	s_cbranch_execz .LBB2095_331
.LBB2095_415:
	v_cmp_ge_u32_e32 vcc, v48, v10
                                        ; implicit-def: $vgpr12_vgpr13
	s_and_saveexec_b64 s[4:5], vcc
	s_xor_b64 s[4:5], exec, s[4:5]
; %bb.416:
	v_xor_b32_e32 v12, 0xffffe9ff, v0
	v_ashrrev_i32_e32 v13, 31, v12
	v_lshl_add_u64 v[12:13], v[6:7], 0, v[12:13]
                                        ; implicit-def: $vgpr48_vgpr49
; %bb.417:
	s_andn2_saveexec_b64 s[4:5], s[4:5]
; %bb.418:
	v_lshl_add_u64 v[12:13], v[2:3], 0, v[48:49]
; %bb.419:
	s_or_b64 exec, exec, s[4:5]
	v_lshl_add_u64 v[12:13], v[12:13], 1, s[28:29]
	s_waitcnt lgkmcnt(14)
	global_store_short v[12:13], v90, off
	s_or_b64 exec, exec, s[2:3]
	v_cmp_gt_u32_e32 vcc, s33, v46
	s_and_saveexec_b64 s[2:3], vcc
	s_cbranch_execnz .LBB2095_332
.LBB2095_420:
	s_or_b64 exec, exec, s[2:3]
	v_cmp_gt_u32_e32 vcc, s33, v44
	s_and_saveexec_b64 s[2:3], vcc
	s_cbranch_execz .LBB2095_337
.LBB2095_421:
	v_cmp_ge_u32_e32 vcc, v44, v10
                                        ; implicit-def: $vgpr12_vgpr13
	s_and_saveexec_b64 s[4:5], vcc
	s_xor_b64 s[4:5], exec, s[4:5]
; %bb.422:
	v_xor_b32_e32 v12, 0xffffe5ff, v0
	v_ashrrev_i32_e32 v13, 31, v12
	v_lshl_add_u64 v[12:13], v[6:7], 0, v[12:13]
                                        ; implicit-def: $vgpr44_vgpr45
; %bb.423:
	s_andn2_saveexec_b64 s[4:5], s[4:5]
; %bb.424:
	v_lshl_add_u64 v[12:13], v[2:3], 0, v[44:45]
; %bb.425:
	s_or_b64 exec, exec, s[4:5]
	v_lshl_add_u64 v[12:13], v[12:13], 1, s[28:29]
	s_waitcnt lgkmcnt(14)
	global_store_short v[12:13], v88, off
	s_or_b64 exec, exec, s[2:3]
	v_cmp_gt_u32_e32 vcc, s33, v42
	s_and_saveexec_b64 s[2:3], vcc
	s_cbranch_execnz .LBB2095_338
.LBB2095_426:
	s_or_b64 exec, exec, s[2:3]
	v_cmp_gt_u32_e32 vcc, s33, v40
	s_and_saveexec_b64 s[2:3], vcc
	s_cbranch_execz .LBB2095_343
.LBB2095_427:
	v_cmp_ge_u32_e32 vcc, v40, v10
                                        ; implicit-def: $vgpr12_vgpr13
	s_and_saveexec_b64 s[4:5], vcc
	s_xor_b64 s[4:5], exec, s[4:5]
; %bb.428:
	v_xor_b32_e32 v12, 0xffffe1ff, v0
	v_ashrrev_i32_e32 v13, 31, v12
	v_lshl_add_u64 v[12:13], v[6:7], 0, v[12:13]
                                        ; implicit-def: $vgpr40_vgpr41
; %bb.429:
	s_andn2_saveexec_b64 s[4:5], s[4:5]
; %bb.430:
	v_lshl_add_u64 v[12:13], v[2:3], 0, v[40:41]
; %bb.431:
	s_or_b64 exec, exec, s[4:5]
	v_lshl_add_u64 v[12:13], v[12:13], 1, s[28:29]
	s_waitcnt lgkmcnt(14)
	global_store_short v[12:13], v86, off
	s_or_b64 exec, exec, s[2:3]
	v_cmp_gt_u32_e32 vcc, s33, v38
	s_and_saveexec_b64 s[2:3], vcc
	s_cbranch_execnz .LBB2095_344
.LBB2095_432:
	s_or_b64 exec, exec, s[2:3]
	v_cmp_gt_u32_e32 vcc, s33, v36
	s_and_saveexec_b64 s[2:3], vcc
	s_cbranch_execz .LBB2095_349
.LBB2095_433:
	v_cmp_ge_u32_e32 vcc, v36, v10
                                        ; implicit-def: $vgpr12_vgpr13
	s_and_saveexec_b64 s[4:5], vcc
	s_xor_b64 s[4:5], exec, s[4:5]
; %bb.434:
	v_xor_b32_e32 v12, 0xffffddff, v0
	v_ashrrev_i32_e32 v13, 31, v12
	v_lshl_add_u64 v[12:13], v[6:7], 0, v[12:13]
                                        ; implicit-def: $vgpr36_vgpr37
; %bb.435:
	s_andn2_saveexec_b64 s[4:5], s[4:5]
; %bb.436:
	v_lshl_add_u64 v[12:13], v[2:3], 0, v[36:37]
; %bb.437:
	s_or_b64 exec, exec, s[4:5]
	v_lshl_add_u64 v[12:13], v[12:13], 1, s[28:29]
	s_waitcnt lgkmcnt(12)
	global_store_short v[12:13], v84, off
	s_or_b64 exec, exec, s[2:3]
	v_cmp_gt_u32_e32 vcc, s33, v34
	s_and_saveexec_b64 s[2:3], vcc
	s_cbranch_execnz .LBB2095_350
.LBB2095_438:
	s_or_b64 exec, exec, s[2:3]
	v_cmp_gt_u32_e32 vcc, s33, v32
	s_and_saveexec_b64 s[2:3], vcc
	s_cbranch_execz .LBB2095_355
.LBB2095_439:
	v_cmp_ge_u32_e32 vcc, v32, v10
                                        ; implicit-def: $vgpr12_vgpr13
	s_and_saveexec_b64 s[4:5], vcc
	s_xor_b64 s[4:5], exec, s[4:5]
; %bb.440:
	v_xor_b32_e32 v12, 0xffffd9ff, v0
	v_ashrrev_i32_e32 v13, 31, v12
	v_lshl_add_u64 v[12:13], v[6:7], 0, v[12:13]
                                        ; implicit-def: $vgpr32_vgpr33
; %bb.441:
	s_andn2_saveexec_b64 s[4:5], s[4:5]
; %bb.442:
	v_lshl_add_u64 v[12:13], v[2:3], 0, v[32:33]
; %bb.443:
	s_or_b64 exec, exec, s[4:5]
	v_lshl_add_u64 v[12:13], v[12:13], 1, s[28:29]
	s_waitcnt lgkmcnt(10)
	global_store_short v[12:13], v82, off
	s_or_b64 exec, exec, s[2:3]
	v_cmp_gt_u32_e32 vcc, s33, v30
	s_and_saveexec_b64 s[2:3], vcc
	s_cbranch_execnz .LBB2095_356
.LBB2095_444:
	s_or_b64 exec, exec, s[2:3]
	v_cmp_gt_u32_e32 vcc, s33, v28
	s_and_saveexec_b64 s[2:3], vcc
	s_cbranch_execz .LBB2095_361
.LBB2095_445:
	v_cmp_ge_u32_e32 vcc, v28, v10
                                        ; implicit-def: $vgpr12_vgpr13
	s_and_saveexec_b64 s[4:5], vcc
	s_xor_b64 s[4:5], exec, s[4:5]
; %bb.446:
	v_xor_b32_e32 v12, 0xffffd5ff, v0
	v_ashrrev_i32_e32 v13, 31, v12
	v_lshl_add_u64 v[12:13], v[6:7], 0, v[12:13]
                                        ; implicit-def: $vgpr28_vgpr29
; %bb.447:
	s_andn2_saveexec_b64 s[4:5], s[4:5]
; %bb.448:
	v_lshl_add_u64 v[12:13], v[2:3], 0, v[28:29]
; %bb.449:
	s_or_b64 exec, exec, s[4:5]
	v_lshl_add_u64 v[12:13], v[12:13], 1, s[28:29]
	s_waitcnt lgkmcnt(8)
	global_store_short v[12:13], v80, off
	s_or_b64 exec, exec, s[2:3]
	v_cmp_gt_u32_e32 vcc, s33, v26
	s_and_saveexec_b64 s[2:3], vcc
	s_cbranch_execnz .LBB2095_362
.LBB2095_450:
	s_or_b64 exec, exec, s[2:3]
	v_cmp_gt_u32_e32 vcc, s33, v24
	s_and_saveexec_b64 s[2:3], vcc
	s_cbranch_execz .LBB2095_367
.LBB2095_451:
	v_cmp_ge_u32_e32 vcc, v24, v10
                                        ; implicit-def: $vgpr12_vgpr13
	s_and_saveexec_b64 s[4:5], vcc
	s_xor_b64 s[4:5], exec, s[4:5]
; %bb.452:
	v_xor_b32_e32 v12, 0xffffd1ff, v0
	v_ashrrev_i32_e32 v13, 31, v12
	v_lshl_add_u64 v[12:13], v[6:7], 0, v[12:13]
                                        ; implicit-def: $vgpr24_vgpr25
; %bb.453:
	s_andn2_saveexec_b64 s[4:5], s[4:5]
; %bb.454:
	v_lshl_add_u64 v[12:13], v[2:3], 0, v[24:25]
; %bb.455:
	s_or_b64 exec, exec, s[4:5]
	v_lshl_add_u64 v[12:13], v[12:13], 1, s[28:29]
	s_waitcnt lgkmcnt(6)
	global_store_short v[12:13], v78, off
	s_or_b64 exec, exec, s[2:3]
	v_cmp_gt_u32_e32 vcc, s33, v22
	s_and_saveexec_b64 s[2:3], vcc
	s_cbranch_execnz .LBB2095_368
.LBB2095_456:
	s_or_b64 exec, exec, s[2:3]
	v_cmp_gt_u32_e32 vcc, s33, v20
	s_and_saveexec_b64 s[2:3], vcc
	s_cbranch_execz .LBB2095_373
.LBB2095_457:
	v_cmp_ge_u32_e32 vcc, v20, v10
                                        ; implicit-def: $vgpr12_vgpr13
	s_and_saveexec_b64 s[4:5], vcc
	s_xor_b64 s[4:5], exec, s[4:5]
; %bb.458:
	v_xor_b32_e32 v12, 0xffffcdff, v0
	v_ashrrev_i32_e32 v13, 31, v12
	v_lshl_add_u64 v[12:13], v[6:7], 0, v[12:13]
                                        ; implicit-def: $vgpr20_vgpr21
; %bb.459:
	s_andn2_saveexec_b64 s[4:5], s[4:5]
; %bb.460:
	v_lshl_add_u64 v[12:13], v[2:3], 0, v[20:21]
; %bb.461:
	s_or_b64 exec, exec, s[4:5]
	v_lshl_add_u64 v[12:13], v[12:13], 1, s[28:29]
	s_waitcnt lgkmcnt(4)
	global_store_short v[12:13], v76, off
	s_or_b64 exec, exec, s[2:3]
	v_cmp_gt_u32_e32 vcc, s33, v18
	s_and_saveexec_b64 s[2:3], vcc
	s_cbranch_execnz .LBB2095_374
.LBB2095_462:
	s_or_b64 exec, exec, s[2:3]
	v_cmp_gt_u32_e32 vcc, s33, v16
	s_and_saveexec_b64 s[2:3], vcc
	s_cbranch_execz .LBB2095_379
.LBB2095_463:
	v_cmp_ge_u32_e32 vcc, v16, v10
                                        ; implicit-def: $vgpr12_vgpr13
	s_and_saveexec_b64 s[4:5], vcc
	s_xor_b64 s[4:5], exec, s[4:5]
; %bb.464:
	v_xor_b32_e32 v12, 0xffffc9ff, v0
	v_ashrrev_i32_e32 v13, 31, v12
	v_lshl_add_u64 v[12:13], v[6:7], 0, v[12:13]
                                        ; implicit-def: $vgpr16_vgpr17
; %bb.465:
	s_andn2_saveexec_b64 s[4:5], s[4:5]
; %bb.466:
	v_lshl_add_u64 v[12:13], v[2:3], 0, v[16:17]
; %bb.467:
	s_or_b64 exec, exec, s[4:5]
	v_lshl_add_u64 v[12:13], v[12:13], 1, s[28:29]
	s_waitcnt lgkmcnt(2)
	global_store_short v[12:13], v74, off
	s_or_b64 exec, exec, s[2:3]
	v_cmp_gt_u32_e32 vcc, s33, v8
	s_and_saveexec_b64 s[2:3], vcc
	s_cbranch_execz .LBB2095_380
.LBB2095_468:
	v_cmp_ge_u32_e32 vcc, v8, v10
                                        ; implicit-def: $vgpr12_vgpr13
	s_and_saveexec_b64 s[4:5], vcc
	s_xor_b64 s[4:5], exec, s[4:5]
; %bb.469:
	v_xor_b32_e32 v8, 0xffffc7ff, v0
	v_ashrrev_i32_e32 v9, 31, v8
	v_lshl_add_u64 v[12:13], v[6:7], 0, v[8:9]
                                        ; implicit-def: $vgpr8_vgpr9
; %bb.470:
	s_andn2_saveexec_b64 s[4:5], s[4:5]
; %bb.471:
	v_lshl_add_u64 v[12:13], v[2:3], 0, v[8:9]
; %bb.472:
	s_or_b64 exec, exec, s[4:5]
	v_lshl_add_u64 v[8:9], v[12:13], 1, s[28:29]
	s_waitcnt lgkmcnt(1)
	global_store_short v[8:9], v73, off
	s_or_b64 exec, exec, s[2:3]
	v_cmp_gt_u32_e32 vcc, s33, v4
                                        ; implicit-def: $vgpr12_vgpr13
	s_and_saveexec_b64 s[2:3], vcc
	s_cbranch_execz .LBB2095_381
.LBB2095_473:
	v_cmp_ge_u32_e32 vcc, v4, v10
                                        ; implicit-def: $vgpr12_vgpr13
	s_and_saveexec_b64 s[4:5], vcc
	s_xor_b64 s[4:5], exec, s[4:5]
; %bb.474:
	v_xor_b32_e32 v0, 0xffffc5ff, v0
	v_ashrrev_i32_e32 v1, 31, v0
	v_lshl_add_u64 v[12:13], v[6:7], 0, v[0:1]
                                        ; implicit-def: $vgpr4_vgpr5
; %bb.475:
	s_andn2_saveexec_b64 s[4:5], s[4:5]
; %bb.476:
	v_lshl_add_u64 v[12:13], v[2:3], 0, v[4:5]
; %bb.477:
	s_or_b64 exec, exec, s[4:5]
	s_or_b64 s[0:1], s[0:1], exec
	s_or_b64 exec, exec, s[2:3]
	s_and_saveexec_b64 s[2:3], s[0:1]
	s_cbranch_execnz .LBB2095_292
	s_branch .LBB2095_382
	.section	.rodata,"a",@progbits
	.p2align	6, 0x0
	.amdhsa_kernel _ZN7rocprim17ROCPRIM_400000_NS6detail17trampoline_kernelINS0_14default_configENS1_25partition_config_selectorILNS1_17partition_subalgoE2EtNS0_10empty_typeEbEEZZNS1_14partition_implILS5_2ELb0ES3_jN6thrust23THRUST_200600_302600_NS6detail15normal_iteratorINSA_7pointerItNSA_11hip_rocprim3tagENSA_11use_defaultESG_EEEEPS6_NSA_18transform_iteratorI7is_evenItENSC_INSA_10device_ptrItEEEESG_SG_EENS0_5tupleIJPtSJ_EEENSR_IJSJ_SJ_EEES6_PlJS6_EEE10hipError_tPvRmT3_T4_T5_T6_T7_T9_mT8_P12ihipStream_tbDpT10_ENKUlT_T0_E_clISt17integral_constantIbLb0EES1E_IbLb1EEEEDaS1A_S1B_EUlS1A_E_NS1_11comp_targetILNS1_3genE5ELNS1_11target_archE942ELNS1_3gpuE9ELNS1_3repE0EEENS1_30default_config_static_selectorELNS0_4arch9wavefront6targetE1EEEvT1_
		.amdhsa_group_segment_fixed_size 30728
		.amdhsa_private_segment_fixed_size 0
		.amdhsa_kernarg_size 144
		.amdhsa_user_sgpr_count 2
		.amdhsa_user_sgpr_dispatch_ptr 0
		.amdhsa_user_sgpr_queue_ptr 0
		.amdhsa_user_sgpr_kernarg_segment_ptr 1
		.amdhsa_user_sgpr_dispatch_id 0
		.amdhsa_user_sgpr_kernarg_preload_length 0
		.amdhsa_user_sgpr_kernarg_preload_offset 0
		.amdhsa_user_sgpr_private_segment_size 0
		.amdhsa_uses_dynamic_stack 0
		.amdhsa_enable_private_segment 0
		.amdhsa_system_sgpr_workgroup_id_x 1
		.amdhsa_system_sgpr_workgroup_id_y 0
		.amdhsa_system_sgpr_workgroup_id_z 0
		.amdhsa_system_sgpr_workgroup_info 0
		.amdhsa_system_vgpr_workitem_id 0
		.amdhsa_next_free_vgpr 102
		.amdhsa_next_free_sgpr 46
		.amdhsa_accum_offset 104
		.amdhsa_reserve_vcc 1
		.amdhsa_float_round_mode_32 0
		.amdhsa_float_round_mode_16_64 0
		.amdhsa_float_denorm_mode_32 3
		.amdhsa_float_denorm_mode_16_64 3
		.amdhsa_dx10_clamp 1
		.amdhsa_ieee_mode 1
		.amdhsa_fp16_overflow 0
		.amdhsa_tg_split 0
		.amdhsa_exception_fp_ieee_invalid_op 0
		.amdhsa_exception_fp_denorm_src 0
		.amdhsa_exception_fp_ieee_div_zero 0
		.amdhsa_exception_fp_ieee_overflow 0
		.amdhsa_exception_fp_ieee_underflow 0
		.amdhsa_exception_fp_ieee_inexact 0
		.amdhsa_exception_int_div_zero 0
	.end_amdhsa_kernel
	.section	.text._ZN7rocprim17ROCPRIM_400000_NS6detail17trampoline_kernelINS0_14default_configENS1_25partition_config_selectorILNS1_17partition_subalgoE2EtNS0_10empty_typeEbEEZZNS1_14partition_implILS5_2ELb0ES3_jN6thrust23THRUST_200600_302600_NS6detail15normal_iteratorINSA_7pointerItNSA_11hip_rocprim3tagENSA_11use_defaultESG_EEEEPS6_NSA_18transform_iteratorI7is_evenItENSC_INSA_10device_ptrItEEEESG_SG_EENS0_5tupleIJPtSJ_EEENSR_IJSJ_SJ_EEES6_PlJS6_EEE10hipError_tPvRmT3_T4_T5_T6_T7_T9_mT8_P12ihipStream_tbDpT10_ENKUlT_T0_E_clISt17integral_constantIbLb0EES1E_IbLb1EEEEDaS1A_S1B_EUlS1A_E_NS1_11comp_targetILNS1_3genE5ELNS1_11target_archE942ELNS1_3gpuE9ELNS1_3repE0EEENS1_30default_config_static_selectorELNS0_4arch9wavefront6targetE1EEEvT1_,"axG",@progbits,_ZN7rocprim17ROCPRIM_400000_NS6detail17trampoline_kernelINS0_14default_configENS1_25partition_config_selectorILNS1_17partition_subalgoE2EtNS0_10empty_typeEbEEZZNS1_14partition_implILS5_2ELb0ES3_jN6thrust23THRUST_200600_302600_NS6detail15normal_iteratorINSA_7pointerItNSA_11hip_rocprim3tagENSA_11use_defaultESG_EEEEPS6_NSA_18transform_iteratorI7is_evenItENSC_INSA_10device_ptrItEEEESG_SG_EENS0_5tupleIJPtSJ_EEENSR_IJSJ_SJ_EEES6_PlJS6_EEE10hipError_tPvRmT3_T4_T5_T6_T7_T9_mT8_P12ihipStream_tbDpT10_ENKUlT_T0_E_clISt17integral_constantIbLb0EES1E_IbLb1EEEEDaS1A_S1B_EUlS1A_E_NS1_11comp_targetILNS1_3genE5ELNS1_11target_archE942ELNS1_3gpuE9ELNS1_3repE0EEENS1_30default_config_static_selectorELNS0_4arch9wavefront6targetE1EEEvT1_,comdat
.Lfunc_end2095:
	.size	_ZN7rocprim17ROCPRIM_400000_NS6detail17trampoline_kernelINS0_14default_configENS1_25partition_config_selectorILNS1_17partition_subalgoE2EtNS0_10empty_typeEbEEZZNS1_14partition_implILS5_2ELb0ES3_jN6thrust23THRUST_200600_302600_NS6detail15normal_iteratorINSA_7pointerItNSA_11hip_rocprim3tagENSA_11use_defaultESG_EEEEPS6_NSA_18transform_iteratorI7is_evenItENSC_INSA_10device_ptrItEEEESG_SG_EENS0_5tupleIJPtSJ_EEENSR_IJSJ_SJ_EEES6_PlJS6_EEE10hipError_tPvRmT3_T4_T5_T6_T7_T9_mT8_P12ihipStream_tbDpT10_ENKUlT_T0_E_clISt17integral_constantIbLb0EES1E_IbLb1EEEEDaS1A_S1B_EUlS1A_E_NS1_11comp_targetILNS1_3genE5ELNS1_11target_archE942ELNS1_3gpuE9ELNS1_3repE0EEENS1_30default_config_static_selectorELNS0_4arch9wavefront6targetE1EEEvT1_, .Lfunc_end2095-_ZN7rocprim17ROCPRIM_400000_NS6detail17trampoline_kernelINS0_14default_configENS1_25partition_config_selectorILNS1_17partition_subalgoE2EtNS0_10empty_typeEbEEZZNS1_14partition_implILS5_2ELb0ES3_jN6thrust23THRUST_200600_302600_NS6detail15normal_iteratorINSA_7pointerItNSA_11hip_rocprim3tagENSA_11use_defaultESG_EEEEPS6_NSA_18transform_iteratorI7is_evenItENSC_INSA_10device_ptrItEEEESG_SG_EENS0_5tupleIJPtSJ_EEENSR_IJSJ_SJ_EEES6_PlJS6_EEE10hipError_tPvRmT3_T4_T5_T6_T7_T9_mT8_P12ihipStream_tbDpT10_ENKUlT_T0_E_clISt17integral_constantIbLb0EES1E_IbLb1EEEEDaS1A_S1B_EUlS1A_E_NS1_11comp_targetILNS1_3genE5ELNS1_11target_archE942ELNS1_3gpuE9ELNS1_3repE0EEENS1_30default_config_static_selectorELNS0_4arch9wavefront6targetE1EEEvT1_
                                        ; -- End function
	.section	.AMDGPU.csdata,"",@progbits
; Kernel info:
; codeLenInByte = 14780
; NumSgprs: 52
; NumVgprs: 102
; NumAgprs: 0
; TotalNumVgprs: 102
; ScratchSize: 0
; MemoryBound: 0
; FloatMode: 240
; IeeeMode: 1
; LDSByteSize: 30728 bytes/workgroup (compile time only)
; SGPRBlocks: 6
; VGPRBlocks: 12
; NumSGPRsForWavesPerEU: 52
; NumVGPRsForWavesPerEU: 102
; AccumOffset: 104
; Occupancy: 4
; WaveLimiterHint : 1
; COMPUTE_PGM_RSRC2:SCRATCH_EN: 0
; COMPUTE_PGM_RSRC2:USER_SGPR: 2
; COMPUTE_PGM_RSRC2:TRAP_HANDLER: 0
; COMPUTE_PGM_RSRC2:TGID_X_EN: 1
; COMPUTE_PGM_RSRC2:TGID_Y_EN: 0
; COMPUTE_PGM_RSRC2:TGID_Z_EN: 0
; COMPUTE_PGM_RSRC2:TIDIG_COMP_CNT: 0
; COMPUTE_PGM_RSRC3_GFX90A:ACCUM_OFFSET: 25
; COMPUTE_PGM_RSRC3_GFX90A:TG_SPLIT: 0
	.section	.text._ZN7rocprim17ROCPRIM_400000_NS6detail17trampoline_kernelINS0_14default_configENS1_25partition_config_selectorILNS1_17partition_subalgoE2EtNS0_10empty_typeEbEEZZNS1_14partition_implILS5_2ELb0ES3_jN6thrust23THRUST_200600_302600_NS6detail15normal_iteratorINSA_7pointerItNSA_11hip_rocprim3tagENSA_11use_defaultESG_EEEEPS6_NSA_18transform_iteratorI7is_evenItENSC_INSA_10device_ptrItEEEESG_SG_EENS0_5tupleIJPtSJ_EEENSR_IJSJ_SJ_EEES6_PlJS6_EEE10hipError_tPvRmT3_T4_T5_T6_T7_T9_mT8_P12ihipStream_tbDpT10_ENKUlT_T0_E_clISt17integral_constantIbLb0EES1E_IbLb1EEEEDaS1A_S1B_EUlS1A_E_NS1_11comp_targetILNS1_3genE4ELNS1_11target_archE910ELNS1_3gpuE8ELNS1_3repE0EEENS1_30default_config_static_selectorELNS0_4arch9wavefront6targetE1EEEvT1_,"axG",@progbits,_ZN7rocprim17ROCPRIM_400000_NS6detail17trampoline_kernelINS0_14default_configENS1_25partition_config_selectorILNS1_17partition_subalgoE2EtNS0_10empty_typeEbEEZZNS1_14partition_implILS5_2ELb0ES3_jN6thrust23THRUST_200600_302600_NS6detail15normal_iteratorINSA_7pointerItNSA_11hip_rocprim3tagENSA_11use_defaultESG_EEEEPS6_NSA_18transform_iteratorI7is_evenItENSC_INSA_10device_ptrItEEEESG_SG_EENS0_5tupleIJPtSJ_EEENSR_IJSJ_SJ_EEES6_PlJS6_EEE10hipError_tPvRmT3_T4_T5_T6_T7_T9_mT8_P12ihipStream_tbDpT10_ENKUlT_T0_E_clISt17integral_constantIbLb0EES1E_IbLb1EEEEDaS1A_S1B_EUlS1A_E_NS1_11comp_targetILNS1_3genE4ELNS1_11target_archE910ELNS1_3gpuE8ELNS1_3repE0EEENS1_30default_config_static_selectorELNS0_4arch9wavefront6targetE1EEEvT1_,comdat
	.protected	_ZN7rocprim17ROCPRIM_400000_NS6detail17trampoline_kernelINS0_14default_configENS1_25partition_config_selectorILNS1_17partition_subalgoE2EtNS0_10empty_typeEbEEZZNS1_14partition_implILS5_2ELb0ES3_jN6thrust23THRUST_200600_302600_NS6detail15normal_iteratorINSA_7pointerItNSA_11hip_rocprim3tagENSA_11use_defaultESG_EEEEPS6_NSA_18transform_iteratorI7is_evenItENSC_INSA_10device_ptrItEEEESG_SG_EENS0_5tupleIJPtSJ_EEENSR_IJSJ_SJ_EEES6_PlJS6_EEE10hipError_tPvRmT3_T4_T5_T6_T7_T9_mT8_P12ihipStream_tbDpT10_ENKUlT_T0_E_clISt17integral_constantIbLb0EES1E_IbLb1EEEEDaS1A_S1B_EUlS1A_E_NS1_11comp_targetILNS1_3genE4ELNS1_11target_archE910ELNS1_3gpuE8ELNS1_3repE0EEENS1_30default_config_static_selectorELNS0_4arch9wavefront6targetE1EEEvT1_ ; -- Begin function _ZN7rocprim17ROCPRIM_400000_NS6detail17trampoline_kernelINS0_14default_configENS1_25partition_config_selectorILNS1_17partition_subalgoE2EtNS0_10empty_typeEbEEZZNS1_14partition_implILS5_2ELb0ES3_jN6thrust23THRUST_200600_302600_NS6detail15normal_iteratorINSA_7pointerItNSA_11hip_rocprim3tagENSA_11use_defaultESG_EEEEPS6_NSA_18transform_iteratorI7is_evenItENSC_INSA_10device_ptrItEEEESG_SG_EENS0_5tupleIJPtSJ_EEENSR_IJSJ_SJ_EEES6_PlJS6_EEE10hipError_tPvRmT3_T4_T5_T6_T7_T9_mT8_P12ihipStream_tbDpT10_ENKUlT_T0_E_clISt17integral_constantIbLb0EES1E_IbLb1EEEEDaS1A_S1B_EUlS1A_E_NS1_11comp_targetILNS1_3genE4ELNS1_11target_archE910ELNS1_3gpuE8ELNS1_3repE0EEENS1_30default_config_static_selectorELNS0_4arch9wavefront6targetE1EEEvT1_
	.globl	_ZN7rocprim17ROCPRIM_400000_NS6detail17trampoline_kernelINS0_14default_configENS1_25partition_config_selectorILNS1_17partition_subalgoE2EtNS0_10empty_typeEbEEZZNS1_14partition_implILS5_2ELb0ES3_jN6thrust23THRUST_200600_302600_NS6detail15normal_iteratorINSA_7pointerItNSA_11hip_rocprim3tagENSA_11use_defaultESG_EEEEPS6_NSA_18transform_iteratorI7is_evenItENSC_INSA_10device_ptrItEEEESG_SG_EENS0_5tupleIJPtSJ_EEENSR_IJSJ_SJ_EEES6_PlJS6_EEE10hipError_tPvRmT3_T4_T5_T6_T7_T9_mT8_P12ihipStream_tbDpT10_ENKUlT_T0_E_clISt17integral_constantIbLb0EES1E_IbLb1EEEEDaS1A_S1B_EUlS1A_E_NS1_11comp_targetILNS1_3genE4ELNS1_11target_archE910ELNS1_3gpuE8ELNS1_3repE0EEENS1_30default_config_static_selectorELNS0_4arch9wavefront6targetE1EEEvT1_
	.p2align	8
	.type	_ZN7rocprim17ROCPRIM_400000_NS6detail17trampoline_kernelINS0_14default_configENS1_25partition_config_selectorILNS1_17partition_subalgoE2EtNS0_10empty_typeEbEEZZNS1_14partition_implILS5_2ELb0ES3_jN6thrust23THRUST_200600_302600_NS6detail15normal_iteratorINSA_7pointerItNSA_11hip_rocprim3tagENSA_11use_defaultESG_EEEEPS6_NSA_18transform_iteratorI7is_evenItENSC_INSA_10device_ptrItEEEESG_SG_EENS0_5tupleIJPtSJ_EEENSR_IJSJ_SJ_EEES6_PlJS6_EEE10hipError_tPvRmT3_T4_T5_T6_T7_T9_mT8_P12ihipStream_tbDpT10_ENKUlT_T0_E_clISt17integral_constantIbLb0EES1E_IbLb1EEEEDaS1A_S1B_EUlS1A_E_NS1_11comp_targetILNS1_3genE4ELNS1_11target_archE910ELNS1_3gpuE8ELNS1_3repE0EEENS1_30default_config_static_selectorELNS0_4arch9wavefront6targetE1EEEvT1_,@function
_ZN7rocprim17ROCPRIM_400000_NS6detail17trampoline_kernelINS0_14default_configENS1_25partition_config_selectorILNS1_17partition_subalgoE2EtNS0_10empty_typeEbEEZZNS1_14partition_implILS5_2ELb0ES3_jN6thrust23THRUST_200600_302600_NS6detail15normal_iteratorINSA_7pointerItNSA_11hip_rocprim3tagENSA_11use_defaultESG_EEEEPS6_NSA_18transform_iteratorI7is_evenItENSC_INSA_10device_ptrItEEEESG_SG_EENS0_5tupleIJPtSJ_EEENSR_IJSJ_SJ_EEES6_PlJS6_EEE10hipError_tPvRmT3_T4_T5_T6_T7_T9_mT8_P12ihipStream_tbDpT10_ENKUlT_T0_E_clISt17integral_constantIbLb0EES1E_IbLb1EEEEDaS1A_S1B_EUlS1A_E_NS1_11comp_targetILNS1_3genE4ELNS1_11target_archE910ELNS1_3gpuE8ELNS1_3repE0EEENS1_30default_config_static_selectorELNS0_4arch9wavefront6targetE1EEEvT1_: ; @_ZN7rocprim17ROCPRIM_400000_NS6detail17trampoline_kernelINS0_14default_configENS1_25partition_config_selectorILNS1_17partition_subalgoE2EtNS0_10empty_typeEbEEZZNS1_14partition_implILS5_2ELb0ES3_jN6thrust23THRUST_200600_302600_NS6detail15normal_iteratorINSA_7pointerItNSA_11hip_rocprim3tagENSA_11use_defaultESG_EEEEPS6_NSA_18transform_iteratorI7is_evenItENSC_INSA_10device_ptrItEEEESG_SG_EENS0_5tupleIJPtSJ_EEENSR_IJSJ_SJ_EEES6_PlJS6_EEE10hipError_tPvRmT3_T4_T5_T6_T7_T9_mT8_P12ihipStream_tbDpT10_ENKUlT_T0_E_clISt17integral_constantIbLb0EES1E_IbLb1EEEEDaS1A_S1B_EUlS1A_E_NS1_11comp_targetILNS1_3genE4ELNS1_11target_archE910ELNS1_3gpuE8ELNS1_3repE0EEENS1_30default_config_static_selectorELNS0_4arch9wavefront6targetE1EEEvT1_
; %bb.0:
	.section	.rodata,"a",@progbits
	.p2align	6, 0x0
	.amdhsa_kernel _ZN7rocprim17ROCPRIM_400000_NS6detail17trampoline_kernelINS0_14default_configENS1_25partition_config_selectorILNS1_17partition_subalgoE2EtNS0_10empty_typeEbEEZZNS1_14partition_implILS5_2ELb0ES3_jN6thrust23THRUST_200600_302600_NS6detail15normal_iteratorINSA_7pointerItNSA_11hip_rocprim3tagENSA_11use_defaultESG_EEEEPS6_NSA_18transform_iteratorI7is_evenItENSC_INSA_10device_ptrItEEEESG_SG_EENS0_5tupleIJPtSJ_EEENSR_IJSJ_SJ_EEES6_PlJS6_EEE10hipError_tPvRmT3_T4_T5_T6_T7_T9_mT8_P12ihipStream_tbDpT10_ENKUlT_T0_E_clISt17integral_constantIbLb0EES1E_IbLb1EEEEDaS1A_S1B_EUlS1A_E_NS1_11comp_targetILNS1_3genE4ELNS1_11target_archE910ELNS1_3gpuE8ELNS1_3repE0EEENS1_30default_config_static_selectorELNS0_4arch9wavefront6targetE1EEEvT1_
		.amdhsa_group_segment_fixed_size 0
		.amdhsa_private_segment_fixed_size 0
		.amdhsa_kernarg_size 144
		.amdhsa_user_sgpr_count 2
		.amdhsa_user_sgpr_dispatch_ptr 0
		.amdhsa_user_sgpr_queue_ptr 0
		.amdhsa_user_sgpr_kernarg_segment_ptr 1
		.amdhsa_user_sgpr_dispatch_id 0
		.amdhsa_user_sgpr_kernarg_preload_length 0
		.amdhsa_user_sgpr_kernarg_preload_offset 0
		.amdhsa_user_sgpr_private_segment_size 0
		.amdhsa_uses_dynamic_stack 0
		.amdhsa_enable_private_segment 0
		.amdhsa_system_sgpr_workgroup_id_x 1
		.amdhsa_system_sgpr_workgroup_id_y 0
		.amdhsa_system_sgpr_workgroup_id_z 0
		.amdhsa_system_sgpr_workgroup_info 0
		.amdhsa_system_vgpr_workitem_id 0
		.amdhsa_next_free_vgpr 1
		.amdhsa_next_free_sgpr 0
		.amdhsa_accum_offset 4
		.amdhsa_reserve_vcc 0
		.amdhsa_float_round_mode_32 0
		.amdhsa_float_round_mode_16_64 0
		.amdhsa_float_denorm_mode_32 3
		.amdhsa_float_denorm_mode_16_64 3
		.amdhsa_dx10_clamp 1
		.amdhsa_ieee_mode 1
		.amdhsa_fp16_overflow 0
		.amdhsa_tg_split 0
		.amdhsa_exception_fp_ieee_invalid_op 0
		.amdhsa_exception_fp_denorm_src 0
		.amdhsa_exception_fp_ieee_div_zero 0
		.amdhsa_exception_fp_ieee_overflow 0
		.amdhsa_exception_fp_ieee_underflow 0
		.amdhsa_exception_fp_ieee_inexact 0
		.amdhsa_exception_int_div_zero 0
	.end_amdhsa_kernel
	.section	.text._ZN7rocprim17ROCPRIM_400000_NS6detail17trampoline_kernelINS0_14default_configENS1_25partition_config_selectorILNS1_17partition_subalgoE2EtNS0_10empty_typeEbEEZZNS1_14partition_implILS5_2ELb0ES3_jN6thrust23THRUST_200600_302600_NS6detail15normal_iteratorINSA_7pointerItNSA_11hip_rocprim3tagENSA_11use_defaultESG_EEEEPS6_NSA_18transform_iteratorI7is_evenItENSC_INSA_10device_ptrItEEEESG_SG_EENS0_5tupleIJPtSJ_EEENSR_IJSJ_SJ_EEES6_PlJS6_EEE10hipError_tPvRmT3_T4_T5_T6_T7_T9_mT8_P12ihipStream_tbDpT10_ENKUlT_T0_E_clISt17integral_constantIbLb0EES1E_IbLb1EEEEDaS1A_S1B_EUlS1A_E_NS1_11comp_targetILNS1_3genE4ELNS1_11target_archE910ELNS1_3gpuE8ELNS1_3repE0EEENS1_30default_config_static_selectorELNS0_4arch9wavefront6targetE1EEEvT1_,"axG",@progbits,_ZN7rocprim17ROCPRIM_400000_NS6detail17trampoline_kernelINS0_14default_configENS1_25partition_config_selectorILNS1_17partition_subalgoE2EtNS0_10empty_typeEbEEZZNS1_14partition_implILS5_2ELb0ES3_jN6thrust23THRUST_200600_302600_NS6detail15normal_iteratorINSA_7pointerItNSA_11hip_rocprim3tagENSA_11use_defaultESG_EEEEPS6_NSA_18transform_iteratorI7is_evenItENSC_INSA_10device_ptrItEEEESG_SG_EENS0_5tupleIJPtSJ_EEENSR_IJSJ_SJ_EEES6_PlJS6_EEE10hipError_tPvRmT3_T4_T5_T6_T7_T9_mT8_P12ihipStream_tbDpT10_ENKUlT_T0_E_clISt17integral_constantIbLb0EES1E_IbLb1EEEEDaS1A_S1B_EUlS1A_E_NS1_11comp_targetILNS1_3genE4ELNS1_11target_archE910ELNS1_3gpuE8ELNS1_3repE0EEENS1_30default_config_static_selectorELNS0_4arch9wavefront6targetE1EEEvT1_,comdat
.Lfunc_end2096:
	.size	_ZN7rocprim17ROCPRIM_400000_NS6detail17trampoline_kernelINS0_14default_configENS1_25partition_config_selectorILNS1_17partition_subalgoE2EtNS0_10empty_typeEbEEZZNS1_14partition_implILS5_2ELb0ES3_jN6thrust23THRUST_200600_302600_NS6detail15normal_iteratorINSA_7pointerItNSA_11hip_rocprim3tagENSA_11use_defaultESG_EEEEPS6_NSA_18transform_iteratorI7is_evenItENSC_INSA_10device_ptrItEEEESG_SG_EENS0_5tupleIJPtSJ_EEENSR_IJSJ_SJ_EEES6_PlJS6_EEE10hipError_tPvRmT3_T4_T5_T6_T7_T9_mT8_P12ihipStream_tbDpT10_ENKUlT_T0_E_clISt17integral_constantIbLb0EES1E_IbLb1EEEEDaS1A_S1B_EUlS1A_E_NS1_11comp_targetILNS1_3genE4ELNS1_11target_archE910ELNS1_3gpuE8ELNS1_3repE0EEENS1_30default_config_static_selectorELNS0_4arch9wavefront6targetE1EEEvT1_, .Lfunc_end2096-_ZN7rocprim17ROCPRIM_400000_NS6detail17trampoline_kernelINS0_14default_configENS1_25partition_config_selectorILNS1_17partition_subalgoE2EtNS0_10empty_typeEbEEZZNS1_14partition_implILS5_2ELb0ES3_jN6thrust23THRUST_200600_302600_NS6detail15normal_iteratorINSA_7pointerItNSA_11hip_rocprim3tagENSA_11use_defaultESG_EEEEPS6_NSA_18transform_iteratorI7is_evenItENSC_INSA_10device_ptrItEEEESG_SG_EENS0_5tupleIJPtSJ_EEENSR_IJSJ_SJ_EEES6_PlJS6_EEE10hipError_tPvRmT3_T4_T5_T6_T7_T9_mT8_P12ihipStream_tbDpT10_ENKUlT_T0_E_clISt17integral_constantIbLb0EES1E_IbLb1EEEEDaS1A_S1B_EUlS1A_E_NS1_11comp_targetILNS1_3genE4ELNS1_11target_archE910ELNS1_3gpuE8ELNS1_3repE0EEENS1_30default_config_static_selectorELNS0_4arch9wavefront6targetE1EEEvT1_
                                        ; -- End function
	.section	.AMDGPU.csdata,"",@progbits
; Kernel info:
; codeLenInByte = 0
; NumSgprs: 6
; NumVgprs: 0
; NumAgprs: 0
; TotalNumVgprs: 0
; ScratchSize: 0
; MemoryBound: 0
; FloatMode: 240
; IeeeMode: 1
; LDSByteSize: 0 bytes/workgroup (compile time only)
; SGPRBlocks: 0
; VGPRBlocks: 0
; NumSGPRsForWavesPerEU: 6
; NumVGPRsForWavesPerEU: 1
; AccumOffset: 4
; Occupancy: 8
; WaveLimiterHint : 0
; COMPUTE_PGM_RSRC2:SCRATCH_EN: 0
; COMPUTE_PGM_RSRC2:USER_SGPR: 2
; COMPUTE_PGM_RSRC2:TRAP_HANDLER: 0
; COMPUTE_PGM_RSRC2:TGID_X_EN: 1
; COMPUTE_PGM_RSRC2:TGID_Y_EN: 0
; COMPUTE_PGM_RSRC2:TGID_Z_EN: 0
; COMPUTE_PGM_RSRC2:TIDIG_COMP_CNT: 0
; COMPUTE_PGM_RSRC3_GFX90A:ACCUM_OFFSET: 0
; COMPUTE_PGM_RSRC3_GFX90A:TG_SPLIT: 0
	.section	.text._ZN7rocprim17ROCPRIM_400000_NS6detail17trampoline_kernelINS0_14default_configENS1_25partition_config_selectorILNS1_17partition_subalgoE2EtNS0_10empty_typeEbEEZZNS1_14partition_implILS5_2ELb0ES3_jN6thrust23THRUST_200600_302600_NS6detail15normal_iteratorINSA_7pointerItNSA_11hip_rocprim3tagENSA_11use_defaultESG_EEEEPS6_NSA_18transform_iteratorI7is_evenItENSC_INSA_10device_ptrItEEEESG_SG_EENS0_5tupleIJPtSJ_EEENSR_IJSJ_SJ_EEES6_PlJS6_EEE10hipError_tPvRmT3_T4_T5_T6_T7_T9_mT8_P12ihipStream_tbDpT10_ENKUlT_T0_E_clISt17integral_constantIbLb0EES1E_IbLb1EEEEDaS1A_S1B_EUlS1A_E_NS1_11comp_targetILNS1_3genE3ELNS1_11target_archE908ELNS1_3gpuE7ELNS1_3repE0EEENS1_30default_config_static_selectorELNS0_4arch9wavefront6targetE1EEEvT1_,"axG",@progbits,_ZN7rocprim17ROCPRIM_400000_NS6detail17trampoline_kernelINS0_14default_configENS1_25partition_config_selectorILNS1_17partition_subalgoE2EtNS0_10empty_typeEbEEZZNS1_14partition_implILS5_2ELb0ES3_jN6thrust23THRUST_200600_302600_NS6detail15normal_iteratorINSA_7pointerItNSA_11hip_rocprim3tagENSA_11use_defaultESG_EEEEPS6_NSA_18transform_iteratorI7is_evenItENSC_INSA_10device_ptrItEEEESG_SG_EENS0_5tupleIJPtSJ_EEENSR_IJSJ_SJ_EEES6_PlJS6_EEE10hipError_tPvRmT3_T4_T5_T6_T7_T9_mT8_P12ihipStream_tbDpT10_ENKUlT_T0_E_clISt17integral_constantIbLb0EES1E_IbLb1EEEEDaS1A_S1B_EUlS1A_E_NS1_11comp_targetILNS1_3genE3ELNS1_11target_archE908ELNS1_3gpuE7ELNS1_3repE0EEENS1_30default_config_static_selectorELNS0_4arch9wavefront6targetE1EEEvT1_,comdat
	.protected	_ZN7rocprim17ROCPRIM_400000_NS6detail17trampoline_kernelINS0_14default_configENS1_25partition_config_selectorILNS1_17partition_subalgoE2EtNS0_10empty_typeEbEEZZNS1_14partition_implILS5_2ELb0ES3_jN6thrust23THRUST_200600_302600_NS6detail15normal_iteratorINSA_7pointerItNSA_11hip_rocprim3tagENSA_11use_defaultESG_EEEEPS6_NSA_18transform_iteratorI7is_evenItENSC_INSA_10device_ptrItEEEESG_SG_EENS0_5tupleIJPtSJ_EEENSR_IJSJ_SJ_EEES6_PlJS6_EEE10hipError_tPvRmT3_T4_T5_T6_T7_T9_mT8_P12ihipStream_tbDpT10_ENKUlT_T0_E_clISt17integral_constantIbLb0EES1E_IbLb1EEEEDaS1A_S1B_EUlS1A_E_NS1_11comp_targetILNS1_3genE3ELNS1_11target_archE908ELNS1_3gpuE7ELNS1_3repE0EEENS1_30default_config_static_selectorELNS0_4arch9wavefront6targetE1EEEvT1_ ; -- Begin function _ZN7rocprim17ROCPRIM_400000_NS6detail17trampoline_kernelINS0_14default_configENS1_25partition_config_selectorILNS1_17partition_subalgoE2EtNS0_10empty_typeEbEEZZNS1_14partition_implILS5_2ELb0ES3_jN6thrust23THRUST_200600_302600_NS6detail15normal_iteratorINSA_7pointerItNSA_11hip_rocprim3tagENSA_11use_defaultESG_EEEEPS6_NSA_18transform_iteratorI7is_evenItENSC_INSA_10device_ptrItEEEESG_SG_EENS0_5tupleIJPtSJ_EEENSR_IJSJ_SJ_EEES6_PlJS6_EEE10hipError_tPvRmT3_T4_T5_T6_T7_T9_mT8_P12ihipStream_tbDpT10_ENKUlT_T0_E_clISt17integral_constantIbLb0EES1E_IbLb1EEEEDaS1A_S1B_EUlS1A_E_NS1_11comp_targetILNS1_3genE3ELNS1_11target_archE908ELNS1_3gpuE7ELNS1_3repE0EEENS1_30default_config_static_selectorELNS0_4arch9wavefront6targetE1EEEvT1_
	.globl	_ZN7rocprim17ROCPRIM_400000_NS6detail17trampoline_kernelINS0_14default_configENS1_25partition_config_selectorILNS1_17partition_subalgoE2EtNS0_10empty_typeEbEEZZNS1_14partition_implILS5_2ELb0ES3_jN6thrust23THRUST_200600_302600_NS6detail15normal_iteratorINSA_7pointerItNSA_11hip_rocprim3tagENSA_11use_defaultESG_EEEEPS6_NSA_18transform_iteratorI7is_evenItENSC_INSA_10device_ptrItEEEESG_SG_EENS0_5tupleIJPtSJ_EEENSR_IJSJ_SJ_EEES6_PlJS6_EEE10hipError_tPvRmT3_T4_T5_T6_T7_T9_mT8_P12ihipStream_tbDpT10_ENKUlT_T0_E_clISt17integral_constantIbLb0EES1E_IbLb1EEEEDaS1A_S1B_EUlS1A_E_NS1_11comp_targetILNS1_3genE3ELNS1_11target_archE908ELNS1_3gpuE7ELNS1_3repE0EEENS1_30default_config_static_selectorELNS0_4arch9wavefront6targetE1EEEvT1_
	.p2align	8
	.type	_ZN7rocprim17ROCPRIM_400000_NS6detail17trampoline_kernelINS0_14default_configENS1_25partition_config_selectorILNS1_17partition_subalgoE2EtNS0_10empty_typeEbEEZZNS1_14partition_implILS5_2ELb0ES3_jN6thrust23THRUST_200600_302600_NS6detail15normal_iteratorINSA_7pointerItNSA_11hip_rocprim3tagENSA_11use_defaultESG_EEEEPS6_NSA_18transform_iteratorI7is_evenItENSC_INSA_10device_ptrItEEEESG_SG_EENS0_5tupleIJPtSJ_EEENSR_IJSJ_SJ_EEES6_PlJS6_EEE10hipError_tPvRmT3_T4_T5_T6_T7_T9_mT8_P12ihipStream_tbDpT10_ENKUlT_T0_E_clISt17integral_constantIbLb0EES1E_IbLb1EEEEDaS1A_S1B_EUlS1A_E_NS1_11comp_targetILNS1_3genE3ELNS1_11target_archE908ELNS1_3gpuE7ELNS1_3repE0EEENS1_30default_config_static_selectorELNS0_4arch9wavefront6targetE1EEEvT1_,@function
_ZN7rocprim17ROCPRIM_400000_NS6detail17trampoline_kernelINS0_14default_configENS1_25partition_config_selectorILNS1_17partition_subalgoE2EtNS0_10empty_typeEbEEZZNS1_14partition_implILS5_2ELb0ES3_jN6thrust23THRUST_200600_302600_NS6detail15normal_iteratorINSA_7pointerItNSA_11hip_rocprim3tagENSA_11use_defaultESG_EEEEPS6_NSA_18transform_iteratorI7is_evenItENSC_INSA_10device_ptrItEEEESG_SG_EENS0_5tupleIJPtSJ_EEENSR_IJSJ_SJ_EEES6_PlJS6_EEE10hipError_tPvRmT3_T4_T5_T6_T7_T9_mT8_P12ihipStream_tbDpT10_ENKUlT_T0_E_clISt17integral_constantIbLb0EES1E_IbLb1EEEEDaS1A_S1B_EUlS1A_E_NS1_11comp_targetILNS1_3genE3ELNS1_11target_archE908ELNS1_3gpuE7ELNS1_3repE0EEENS1_30default_config_static_selectorELNS0_4arch9wavefront6targetE1EEEvT1_: ; @_ZN7rocprim17ROCPRIM_400000_NS6detail17trampoline_kernelINS0_14default_configENS1_25partition_config_selectorILNS1_17partition_subalgoE2EtNS0_10empty_typeEbEEZZNS1_14partition_implILS5_2ELb0ES3_jN6thrust23THRUST_200600_302600_NS6detail15normal_iteratorINSA_7pointerItNSA_11hip_rocprim3tagENSA_11use_defaultESG_EEEEPS6_NSA_18transform_iteratorI7is_evenItENSC_INSA_10device_ptrItEEEESG_SG_EENS0_5tupleIJPtSJ_EEENSR_IJSJ_SJ_EEES6_PlJS6_EEE10hipError_tPvRmT3_T4_T5_T6_T7_T9_mT8_P12ihipStream_tbDpT10_ENKUlT_T0_E_clISt17integral_constantIbLb0EES1E_IbLb1EEEEDaS1A_S1B_EUlS1A_E_NS1_11comp_targetILNS1_3genE3ELNS1_11target_archE908ELNS1_3gpuE7ELNS1_3repE0EEENS1_30default_config_static_selectorELNS0_4arch9wavefront6targetE1EEEvT1_
; %bb.0:
	.section	.rodata,"a",@progbits
	.p2align	6, 0x0
	.amdhsa_kernel _ZN7rocprim17ROCPRIM_400000_NS6detail17trampoline_kernelINS0_14default_configENS1_25partition_config_selectorILNS1_17partition_subalgoE2EtNS0_10empty_typeEbEEZZNS1_14partition_implILS5_2ELb0ES3_jN6thrust23THRUST_200600_302600_NS6detail15normal_iteratorINSA_7pointerItNSA_11hip_rocprim3tagENSA_11use_defaultESG_EEEEPS6_NSA_18transform_iteratorI7is_evenItENSC_INSA_10device_ptrItEEEESG_SG_EENS0_5tupleIJPtSJ_EEENSR_IJSJ_SJ_EEES6_PlJS6_EEE10hipError_tPvRmT3_T4_T5_T6_T7_T9_mT8_P12ihipStream_tbDpT10_ENKUlT_T0_E_clISt17integral_constantIbLb0EES1E_IbLb1EEEEDaS1A_S1B_EUlS1A_E_NS1_11comp_targetILNS1_3genE3ELNS1_11target_archE908ELNS1_3gpuE7ELNS1_3repE0EEENS1_30default_config_static_selectorELNS0_4arch9wavefront6targetE1EEEvT1_
		.amdhsa_group_segment_fixed_size 0
		.amdhsa_private_segment_fixed_size 0
		.amdhsa_kernarg_size 144
		.amdhsa_user_sgpr_count 2
		.amdhsa_user_sgpr_dispatch_ptr 0
		.amdhsa_user_sgpr_queue_ptr 0
		.amdhsa_user_sgpr_kernarg_segment_ptr 1
		.amdhsa_user_sgpr_dispatch_id 0
		.amdhsa_user_sgpr_kernarg_preload_length 0
		.amdhsa_user_sgpr_kernarg_preload_offset 0
		.amdhsa_user_sgpr_private_segment_size 0
		.amdhsa_uses_dynamic_stack 0
		.amdhsa_enable_private_segment 0
		.amdhsa_system_sgpr_workgroup_id_x 1
		.amdhsa_system_sgpr_workgroup_id_y 0
		.amdhsa_system_sgpr_workgroup_id_z 0
		.amdhsa_system_sgpr_workgroup_info 0
		.amdhsa_system_vgpr_workitem_id 0
		.amdhsa_next_free_vgpr 1
		.amdhsa_next_free_sgpr 0
		.amdhsa_accum_offset 4
		.amdhsa_reserve_vcc 0
		.amdhsa_float_round_mode_32 0
		.amdhsa_float_round_mode_16_64 0
		.amdhsa_float_denorm_mode_32 3
		.amdhsa_float_denorm_mode_16_64 3
		.amdhsa_dx10_clamp 1
		.amdhsa_ieee_mode 1
		.amdhsa_fp16_overflow 0
		.amdhsa_tg_split 0
		.amdhsa_exception_fp_ieee_invalid_op 0
		.amdhsa_exception_fp_denorm_src 0
		.amdhsa_exception_fp_ieee_div_zero 0
		.amdhsa_exception_fp_ieee_overflow 0
		.amdhsa_exception_fp_ieee_underflow 0
		.amdhsa_exception_fp_ieee_inexact 0
		.amdhsa_exception_int_div_zero 0
	.end_amdhsa_kernel
	.section	.text._ZN7rocprim17ROCPRIM_400000_NS6detail17trampoline_kernelINS0_14default_configENS1_25partition_config_selectorILNS1_17partition_subalgoE2EtNS0_10empty_typeEbEEZZNS1_14partition_implILS5_2ELb0ES3_jN6thrust23THRUST_200600_302600_NS6detail15normal_iteratorINSA_7pointerItNSA_11hip_rocprim3tagENSA_11use_defaultESG_EEEEPS6_NSA_18transform_iteratorI7is_evenItENSC_INSA_10device_ptrItEEEESG_SG_EENS0_5tupleIJPtSJ_EEENSR_IJSJ_SJ_EEES6_PlJS6_EEE10hipError_tPvRmT3_T4_T5_T6_T7_T9_mT8_P12ihipStream_tbDpT10_ENKUlT_T0_E_clISt17integral_constantIbLb0EES1E_IbLb1EEEEDaS1A_S1B_EUlS1A_E_NS1_11comp_targetILNS1_3genE3ELNS1_11target_archE908ELNS1_3gpuE7ELNS1_3repE0EEENS1_30default_config_static_selectorELNS0_4arch9wavefront6targetE1EEEvT1_,"axG",@progbits,_ZN7rocprim17ROCPRIM_400000_NS6detail17trampoline_kernelINS0_14default_configENS1_25partition_config_selectorILNS1_17partition_subalgoE2EtNS0_10empty_typeEbEEZZNS1_14partition_implILS5_2ELb0ES3_jN6thrust23THRUST_200600_302600_NS6detail15normal_iteratorINSA_7pointerItNSA_11hip_rocprim3tagENSA_11use_defaultESG_EEEEPS6_NSA_18transform_iteratorI7is_evenItENSC_INSA_10device_ptrItEEEESG_SG_EENS0_5tupleIJPtSJ_EEENSR_IJSJ_SJ_EEES6_PlJS6_EEE10hipError_tPvRmT3_T4_T5_T6_T7_T9_mT8_P12ihipStream_tbDpT10_ENKUlT_T0_E_clISt17integral_constantIbLb0EES1E_IbLb1EEEEDaS1A_S1B_EUlS1A_E_NS1_11comp_targetILNS1_3genE3ELNS1_11target_archE908ELNS1_3gpuE7ELNS1_3repE0EEENS1_30default_config_static_selectorELNS0_4arch9wavefront6targetE1EEEvT1_,comdat
.Lfunc_end2097:
	.size	_ZN7rocprim17ROCPRIM_400000_NS6detail17trampoline_kernelINS0_14default_configENS1_25partition_config_selectorILNS1_17partition_subalgoE2EtNS0_10empty_typeEbEEZZNS1_14partition_implILS5_2ELb0ES3_jN6thrust23THRUST_200600_302600_NS6detail15normal_iteratorINSA_7pointerItNSA_11hip_rocprim3tagENSA_11use_defaultESG_EEEEPS6_NSA_18transform_iteratorI7is_evenItENSC_INSA_10device_ptrItEEEESG_SG_EENS0_5tupleIJPtSJ_EEENSR_IJSJ_SJ_EEES6_PlJS6_EEE10hipError_tPvRmT3_T4_T5_T6_T7_T9_mT8_P12ihipStream_tbDpT10_ENKUlT_T0_E_clISt17integral_constantIbLb0EES1E_IbLb1EEEEDaS1A_S1B_EUlS1A_E_NS1_11comp_targetILNS1_3genE3ELNS1_11target_archE908ELNS1_3gpuE7ELNS1_3repE0EEENS1_30default_config_static_selectorELNS0_4arch9wavefront6targetE1EEEvT1_, .Lfunc_end2097-_ZN7rocprim17ROCPRIM_400000_NS6detail17trampoline_kernelINS0_14default_configENS1_25partition_config_selectorILNS1_17partition_subalgoE2EtNS0_10empty_typeEbEEZZNS1_14partition_implILS5_2ELb0ES3_jN6thrust23THRUST_200600_302600_NS6detail15normal_iteratorINSA_7pointerItNSA_11hip_rocprim3tagENSA_11use_defaultESG_EEEEPS6_NSA_18transform_iteratorI7is_evenItENSC_INSA_10device_ptrItEEEESG_SG_EENS0_5tupleIJPtSJ_EEENSR_IJSJ_SJ_EEES6_PlJS6_EEE10hipError_tPvRmT3_T4_T5_T6_T7_T9_mT8_P12ihipStream_tbDpT10_ENKUlT_T0_E_clISt17integral_constantIbLb0EES1E_IbLb1EEEEDaS1A_S1B_EUlS1A_E_NS1_11comp_targetILNS1_3genE3ELNS1_11target_archE908ELNS1_3gpuE7ELNS1_3repE0EEENS1_30default_config_static_selectorELNS0_4arch9wavefront6targetE1EEEvT1_
                                        ; -- End function
	.section	.AMDGPU.csdata,"",@progbits
; Kernel info:
; codeLenInByte = 0
; NumSgprs: 6
; NumVgprs: 0
; NumAgprs: 0
; TotalNumVgprs: 0
; ScratchSize: 0
; MemoryBound: 0
; FloatMode: 240
; IeeeMode: 1
; LDSByteSize: 0 bytes/workgroup (compile time only)
; SGPRBlocks: 0
; VGPRBlocks: 0
; NumSGPRsForWavesPerEU: 6
; NumVGPRsForWavesPerEU: 1
; AccumOffset: 4
; Occupancy: 8
; WaveLimiterHint : 0
; COMPUTE_PGM_RSRC2:SCRATCH_EN: 0
; COMPUTE_PGM_RSRC2:USER_SGPR: 2
; COMPUTE_PGM_RSRC2:TRAP_HANDLER: 0
; COMPUTE_PGM_RSRC2:TGID_X_EN: 1
; COMPUTE_PGM_RSRC2:TGID_Y_EN: 0
; COMPUTE_PGM_RSRC2:TGID_Z_EN: 0
; COMPUTE_PGM_RSRC2:TIDIG_COMP_CNT: 0
; COMPUTE_PGM_RSRC3_GFX90A:ACCUM_OFFSET: 0
; COMPUTE_PGM_RSRC3_GFX90A:TG_SPLIT: 0
	.section	.text._ZN7rocprim17ROCPRIM_400000_NS6detail17trampoline_kernelINS0_14default_configENS1_25partition_config_selectorILNS1_17partition_subalgoE2EtNS0_10empty_typeEbEEZZNS1_14partition_implILS5_2ELb0ES3_jN6thrust23THRUST_200600_302600_NS6detail15normal_iteratorINSA_7pointerItNSA_11hip_rocprim3tagENSA_11use_defaultESG_EEEEPS6_NSA_18transform_iteratorI7is_evenItENSC_INSA_10device_ptrItEEEESG_SG_EENS0_5tupleIJPtSJ_EEENSR_IJSJ_SJ_EEES6_PlJS6_EEE10hipError_tPvRmT3_T4_T5_T6_T7_T9_mT8_P12ihipStream_tbDpT10_ENKUlT_T0_E_clISt17integral_constantIbLb0EES1E_IbLb1EEEEDaS1A_S1B_EUlS1A_E_NS1_11comp_targetILNS1_3genE2ELNS1_11target_archE906ELNS1_3gpuE6ELNS1_3repE0EEENS1_30default_config_static_selectorELNS0_4arch9wavefront6targetE1EEEvT1_,"axG",@progbits,_ZN7rocprim17ROCPRIM_400000_NS6detail17trampoline_kernelINS0_14default_configENS1_25partition_config_selectorILNS1_17partition_subalgoE2EtNS0_10empty_typeEbEEZZNS1_14partition_implILS5_2ELb0ES3_jN6thrust23THRUST_200600_302600_NS6detail15normal_iteratorINSA_7pointerItNSA_11hip_rocprim3tagENSA_11use_defaultESG_EEEEPS6_NSA_18transform_iteratorI7is_evenItENSC_INSA_10device_ptrItEEEESG_SG_EENS0_5tupleIJPtSJ_EEENSR_IJSJ_SJ_EEES6_PlJS6_EEE10hipError_tPvRmT3_T4_T5_T6_T7_T9_mT8_P12ihipStream_tbDpT10_ENKUlT_T0_E_clISt17integral_constantIbLb0EES1E_IbLb1EEEEDaS1A_S1B_EUlS1A_E_NS1_11comp_targetILNS1_3genE2ELNS1_11target_archE906ELNS1_3gpuE6ELNS1_3repE0EEENS1_30default_config_static_selectorELNS0_4arch9wavefront6targetE1EEEvT1_,comdat
	.protected	_ZN7rocprim17ROCPRIM_400000_NS6detail17trampoline_kernelINS0_14default_configENS1_25partition_config_selectorILNS1_17partition_subalgoE2EtNS0_10empty_typeEbEEZZNS1_14partition_implILS5_2ELb0ES3_jN6thrust23THRUST_200600_302600_NS6detail15normal_iteratorINSA_7pointerItNSA_11hip_rocprim3tagENSA_11use_defaultESG_EEEEPS6_NSA_18transform_iteratorI7is_evenItENSC_INSA_10device_ptrItEEEESG_SG_EENS0_5tupleIJPtSJ_EEENSR_IJSJ_SJ_EEES6_PlJS6_EEE10hipError_tPvRmT3_T4_T5_T6_T7_T9_mT8_P12ihipStream_tbDpT10_ENKUlT_T0_E_clISt17integral_constantIbLb0EES1E_IbLb1EEEEDaS1A_S1B_EUlS1A_E_NS1_11comp_targetILNS1_3genE2ELNS1_11target_archE906ELNS1_3gpuE6ELNS1_3repE0EEENS1_30default_config_static_selectorELNS0_4arch9wavefront6targetE1EEEvT1_ ; -- Begin function _ZN7rocprim17ROCPRIM_400000_NS6detail17trampoline_kernelINS0_14default_configENS1_25partition_config_selectorILNS1_17partition_subalgoE2EtNS0_10empty_typeEbEEZZNS1_14partition_implILS5_2ELb0ES3_jN6thrust23THRUST_200600_302600_NS6detail15normal_iteratorINSA_7pointerItNSA_11hip_rocprim3tagENSA_11use_defaultESG_EEEEPS6_NSA_18transform_iteratorI7is_evenItENSC_INSA_10device_ptrItEEEESG_SG_EENS0_5tupleIJPtSJ_EEENSR_IJSJ_SJ_EEES6_PlJS6_EEE10hipError_tPvRmT3_T4_T5_T6_T7_T9_mT8_P12ihipStream_tbDpT10_ENKUlT_T0_E_clISt17integral_constantIbLb0EES1E_IbLb1EEEEDaS1A_S1B_EUlS1A_E_NS1_11comp_targetILNS1_3genE2ELNS1_11target_archE906ELNS1_3gpuE6ELNS1_3repE0EEENS1_30default_config_static_selectorELNS0_4arch9wavefront6targetE1EEEvT1_
	.globl	_ZN7rocprim17ROCPRIM_400000_NS6detail17trampoline_kernelINS0_14default_configENS1_25partition_config_selectorILNS1_17partition_subalgoE2EtNS0_10empty_typeEbEEZZNS1_14partition_implILS5_2ELb0ES3_jN6thrust23THRUST_200600_302600_NS6detail15normal_iteratorINSA_7pointerItNSA_11hip_rocprim3tagENSA_11use_defaultESG_EEEEPS6_NSA_18transform_iteratorI7is_evenItENSC_INSA_10device_ptrItEEEESG_SG_EENS0_5tupleIJPtSJ_EEENSR_IJSJ_SJ_EEES6_PlJS6_EEE10hipError_tPvRmT3_T4_T5_T6_T7_T9_mT8_P12ihipStream_tbDpT10_ENKUlT_T0_E_clISt17integral_constantIbLb0EES1E_IbLb1EEEEDaS1A_S1B_EUlS1A_E_NS1_11comp_targetILNS1_3genE2ELNS1_11target_archE906ELNS1_3gpuE6ELNS1_3repE0EEENS1_30default_config_static_selectorELNS0_4arch9wavefront6targetE1EEEvT1_
	.p2align	8
	.type	_ZN7rocprim17ROCPRIM_400000_NS6detail17trampoline_kernelINS0_14default_configENS1_25partition_config_selectorILNS1_17partition_subalgoE2EtNS0_10empty_typeEbEEZZNS1_14partition_implILS5_2ELb0ES3_jN6thrust23THRUST_200600_302600_NS6detail15normal_iteratorINSA_7pointerItNSA_11hip_rocprim3tagENSA_11use_defaultESG_EEEEPS6_NSA_18transform_iteratorI7is_evenItENSC_INSA_10device_ptrItEEEESG_SG_EENS0_5tupleIJPtSJ_EEENSR_IJSJ_SJ_EEES6_PlJS6_EEE10hipError_tPvRmT3_T4_T5_T6_T7_T9_mT8_P12ihipStream_tbDpT10_ENKUlT_T0_E_clISt17integral_constantIbLb0EES1E_IbLb1EEEEDaS1A_S1B_EUlS1A_E_NS1_11comp_targetILNS1_3genE2ELNS1_11target_archE906ELNS1_3gpuE6ELNS1_3repE0EEENS1_30default_config_static_selectorELNS0_4arch9wavefront6targetE1EEEvT1_,@function
_ZN7rocprim17ROCPRIM_400000_NS6detail17trampoline_kernelINS0_14default_configENS1_25partition_config_selectorILNS1_17partition_subalgoE2EtNS0_10empty_typeEbEEZZNS1_14partition_implILS5_2ELb0ES3_jN6thrust23THRUST_200600_302600_NS6detail15normal_iteratorINSA_7pointerItNSA_11hip_rocprim3tagENSA_11use_defaultESG_EEEEPS6_NSA_18transform_iteratorI7is_evenItENSC_INSA_10device_ptrItEEEESG_SG_EENS0_5tupleIJPtSJ_EEENSR_IJSJ_SJ_EEES6_PlJS6_EEE10hipError_tPvRmT3_T4_T5_T6_T7_T9_mT8_P12ihipStream_tbDpT10_ENKUlT_T0_E_clISt17integral_constantIbLb0EES1E_IbLb1EEEEDaS1A_S1B_EUlS1A_E_NS1_11comp_targetILNS1_3genE2ELNS1_11target_archE906ELNS1_3gpuE6ELNS1_3repE0EEENS1_30default_config_static_selectorELNS0_4arch9wavefront6targetE1EEEvT1_: ; @_ZN7rocprim17ROCPRIM_400000_NS6detail17trampoline_kernelINS0_14default_configENS1_25partition_config_selectorILNS1_17partition_subalgoE2EtNS0_10empty_typeEbEEZZNS1_14partition_implILS5_2ELb0ES3_jN6thrust23THRUST_200600_302600_NS6detail15normal_iteratorINSA_7pointerItNSA_11hip_rocprim3tagENSA_11use_defaultESG_EEEEPS6_NSA_18transform_iteratorI7is_evenItENSC_INSA_10device_ptrItEEEESG_SG_EENS0_5tupleIJPtSJ_EEENSR_IJSJ_SJ_EEES6_PlJS6_EEE10hipError_tPvRmT3_T4_T5_T6_T7_T9_mT8_P12ihipStream_tbDpT10_ENKUlT_T0_E_clISt17integral_constantIbLb0EES1E_IbLb1EEEEDaS1A_S1B_EUlS1A_E_NS1_11comp_targetILNS1_3genE2ELNS1_11target_archE906ELNS1_3gpuE6ELNS1_3repE0EEENS1_30default_config_static_selectorELNS0_4arch9wavefront6targetE1EEEvT1_
; %bb.0:
	.section	.rodata,"a",@progbits
	.p2align	6, 0x0
	.amdhsa_kernel _ZN7rocprim17ROCPRIM_400000_NS6detail17trampoline_kernelINS0_14default_configENS1_25partition_config_selectorILNS1_17partition_subalgoE2EtNS0_10empty_typeEbEEZZNS1_14partition_implILS5_2ELb0ES3_jN6thrust23THRUST_200600_302600_NS6detail15normal_iteratorINSA_7pointerItNSA_11hip_rocprim3tagENSA_11use_defaultESG_EEEEPS6_NSA_18transform_iteratorI7is_evenItENSC_INSA_10device_ptrItEEEESG_SG_EENS0_5tupleIJPtSJ_EEENSR_IJSJ_SJ_EEES6_PlJS6_EEE10hipError_tPvRmT3_T4_T5_T6_T7_T9_mT8_P12ihipStream_tbDpT10_ENKUlT_T0_E_clISt17integral_constantIbLb0EES1E_IbLb1EEEEDaS1A_S1B_EUlS1A_E_NS1_11comp_targetILNS1_3genE2ELNS1_11target_archE906ELNS1_3gpuE6ELNS1_3repE0EEENS1_30default_config_static_selectorELNS0_4arch9wavefront6targetE1EEEvT1_
		.amdhsa_group_segment_fixed_size 0
		.amdhsa_private_segment_fixed_size 0
		.amdhsa_kernarg_size 144
		.amdhsa_user_sgpr_count 2
		.amdhsa_user_sgpr_dispatch_ptr 0
		.amdhsa_user_sgpr_queue_ptr 0
		.amdhsa_user_sgpr_kernarg_segment_ptr 1
		.amdhsa_user_sgpr_dispatch_id 0
		.amdhsa_user_sgpr_kernarg_preload_length 0
		.amdhsa_user_sgpr_kernarg_preload_offset 0
		.amdhsa_user_sgpr_private_segment_size 0
		.amdhsa_uses_dynamic_stack 0
		.amdhsa_enable_private_segment 0
		.amdhsa_system_sgpr_workgroup_id_x 1
		.amdhsa_system_sgpr_workgroup_id_y 0
		.amdhsa_system_sgpr_workgroup_id_z 0
		.amdhsa_system_sgpr_workgroup_info 0
		.amdhsa_system_vgpr_workitem_id 0
		.amdhsa_next_free_vgpr 1
		.amdhsa_next_free_sgpr 0
		.amdhsa_accum_offset 4
		.amdhsa_reserve_vcc 0
		.amdhsa_float_round_mode_32 0
		.amdhsa_float_round_mode_16_64 0
		.amdhsa_float_denorm_mode_32 3
		.amdhsa_float_denorm_mode_16_64 3
		.amdhsa_dx10_clamp 1
		.amdhsa_ieee_mode 1
		.amdhsa_fp16_overflow 0
		.amdhsa_tg_split 0
		.amdhsa_exception_fp_ieee_invalid_op 0
		.amdhsa_exception_fp_denorm_src 0
		.amdhsa_exception_fp_ieee_div_zero 0
		.amdhsa_exception_fp_ieee_overflow 0
		.amdhsa_exception_fp_ieee_underflow 0
		.amdhsa_exception_fp_ieee_inexact 0
		.amdhsa_exception_int_div_zero 0
	.end_amdhsa_kernel
	.section	.text._ZN7rocprim17ROCPRIM_400000_NS6detail17trampoline_kernelINS0_14default_configENS1_25partition_config_selectorILNS1_17partition_subalgoE2EtNS0_10empty_typeEbEEZZNS1_14partition_implILS5_2ELb0ES3_jN6thrust23THRUST_200600_302600_NS6detail15normal_iteratorINSA_7pointerItNSA_11hip_rocprim3tagENSA_11use_defaultESG_EEEEPS6_NSA_18transform_iteratorI7is_evenItENSC_INSA_10device_ptrItEEEESG_SG_EENS0_5tupleIJPtSJ_EEENSR_IJSJ_SJ_EEES6_PlJS6_EEE10hipError_tPvRmT3_T4_T5_T6_T7_T9_mT8_P12ihipStream_tbDpT10_ENKUlT_T0_E_clISt17integral_constantIbLb0EES1E_IbLb1EEEEDaS1A_S1B_EUlS1A_E_NS1_11comp_targetILNS1_3genE2ELNS1_11target_archE906ELNS1_3gpuE6ELNS1_3repE0EEENS1_30default_config_static_selectorELNS0_4arch9wavefront6targetE1EEEvT1_,"axG",@progbits,_ZN7rocprim17ROCPRIM_400000_NS6detail17trampoline_kernelINS0_14default_configENS1_25partition_config_selectorILNS1_17partition_subalgoE2EtNS0_10empty_typeEbEEZZNS1_14partition_implILS5_2ELb0ES3_jN6thrust23THRUST_200600_302600_NS6detail15normal_iteratorINSA_7pointerItNSA_11hip_rocprim3tagENSA_11use_defaultESG_EEEEPS6_NSA_18transform_iteratorI7is_evenItENSC_INSA_10device_ptrItEEEESG_SG_EENS0_5tupleIJPtSJ_EEENSR_IJSJ_SJ_EEES6_PlJS6_EEE10hipError_tPvRmT3_T4_T5_T6_T7_T9_mT8_P12ihipStream_tbDpT10_ENKUlT_T0_E_clISt17integral_constantIbLb0EES1E_IbLb1EEEEDaS1A_S1B_EUlS1A_E_NS1_11comp_targetILNS1_3genE2ELNS1_11target_archE906ELNS1_3gpuE6ELNS1_3repE0EEENS1_30default_config_static_selectorELNS0_4arch9wavefront6targetE1EEEvT1_,comdat
.Lfunc_end2098:
	.size	_ZN7rocprim17ROCPRIM_400000_NS6detail17trampoline_kernelINS0_14default_configENS1_25partition_config_selectorILNS1_17partition_subalgoE2EtNS0_10empty_typeEbEEZZNS1_14partition_implILS5_2ELb0ES3_jN6thrust23THRUST_200600_302600_NS6detail15normal_iteratorINSA_7pointerItNSA_11hip_rocprim3tagENSA_11use_defaultESG_EEEEPS6_NSA_18transform_iteratorI7is_evenItENSC_INSA_10device_ptrItEEEESG_SG_EENS0_5tupleIJPtSJ_EEENSR_IJSJ_SJ_EEES6_PlJS6_EEE10hipError_tPvRmT3_T4_T5_T6_T7_T9_mT8_P12ihipStream_tbDpT10_ENKUlT_T0_E_clISt17integral_constantIbLb0EES1E_IbLb1EEEEDaS1A_S1B_EUlS1A_E_NS1_11comp_targetILNS1_3genE2ELNS1_11target_archE906ELNS1_3gpuE6ELNS1_3repE0EEENS1_30default_config_static_selectorELNS0_4arch9wavefront6targetE1EEEvT1_, .Lfunc_end2098-_ZN7rocprim17ROCPRIM_400000_NS6detail17trampoline_kernelINS0_14default_configENS1_25partition_config_selectorILNS1_17partition_subalgoE2EtNS0_10empty_typeEbEEZZNS1_14partition_implILS5_2ELb0ES3_jN6thrust23THRUST_200600_302600_NS6detail15normal_iteratorINSA_7pointerItNSA_11hip_rocprim3tagENSA_11use_defaultESG_EEEEPS6_NSA_18transform_iteratorI7is_evenItENSC_INSA_10device_ptrItEEEESG_SG_EENS0_5tupleIJPtSJ_EEENSR_IJSJ_SJ_EEES6_PlJS6_EEE10hipError_tPvRmT3_T4_T5_T6_T7_T9_mT8_P12ihipStream_tbDpT10_ENKUlT_T0_E_clISt17integral_constantIbLb0EES1E_IbLb1EEEEDaS1A_S1B_EUlS1A_E_NS1_11comp_targetILNS1_3genE2ELNS1_11target_archE906ELNS1_3gpuE6ELNS1_3repE0EEENS1_30default_config_static_selectorELNS0_4arch9wavefront6targetE1EEEvT1_
                                        ; -- End function
	.section	.AMDGPU.csdata,"",@progbits
; Kernel info:
; codeLenInByte = 0
; NumSgprs: 6
; NumVgprs: 0
; NumAgprs: 0
; TotalNumVgprs: 0
; ScratchSize: 0
; MemoryBound: 0
; FloatMode: 240
; IeeeMode: 1
; LDSByteSize: 0 bytes/workgroup (compile time only)
; SGPRBlocks: 0
; VGPRBlocks: 0
; NumSGPRsForWavesPerEU: 6
; NumVGPRsForWavesPerEU: 1
; AccumOffset: 4
; Occupancy: 8
; WaveLimiterHint : 0
; COMPUTE_PGM_RSRC2:SCRATCH_EN: 0
; COMPUTE_PGM_RSRC2:USER_SGPR: 2
; COMPUTE_PGM_RSRC2:TRAP_HANDLER: 0
; COMPUTE_PGM_RSRC2:TGID_X_EN: 1
; COMPUTE_PGM_RSRC2:TGID_Y_EN: 0
; COMPUTE_PGM_RSRC2:TGID_Z_EN: 0
; COMPUTE_PGM_RSRC2:TIDIG_COMP_CNT: 0
; COMPUTE_PGM_RSRC3_GFX90A:ACCUM_OFFSET: 0
; COMPUTE_PGM_RSRC3_GFX90A:TG_SPLIT: 0
	.section	.text._ZN7rocprim17ROCPRIM_400000_NS6detail17trampoline_kernelINS0_14default_configENS1_25partition_config_selectorILNS1_17partition_subalgoE2EtNS0_10empty_typeEbEEZZNS1_14partition_implILS5_2ELb0ES3_jN6thrust23THRUST_200600_302600_NS6detail15normal_iteratorINSA_7pointerItNSA_11hip_rocprim3tagENSA_11use_defaultESG_EEEEPS6_NSA_18transform_iteratorI7is_evenItENSC_INSA_10device_ptrItEEEESG_SG_EENS0_5tupleIJPtSJ_EEENSR_IJSJ_SJ_EEES6_PlJS6_EEE10hipError_tPvRmT3_T4_T5_T6_T7_T9_mT8_P12ihipStream_tbDpT10_ENKUlT_T0_E_clISt17integral_constantIbLb0EES1E_IbLb1EEEEDaS1A_S1B_EUlS1A_E_NS1_11comp_targetILNS1_3genE10ELNS1_11target_archE1200ELNS1_3gpuE4ELNS1_3repE0EEENS1_30default_config_static_selectorELNS0_4arch9wavefront6targetE1EEEvT1_,"axG",@progbits,_ZN7rocprim17ROCPRIM_400000_NS6detail17trampoline_kernelINS0_14default_configENS1_25partition_config_selectorILNS1_17partition_subalgoE2EtNS0_10empty_typeEbEEZZNS1_14partition_implILS5_2ELb0ES3_jN6thrust23THRUST_200600_302600_NS6detail15normal_iteratorINSA_7pointerItNSA_11hip_rocprim3tagENSA_11use_defaultESG_EEEEPS6_NSA_18transform_iteratorI7is_evenItENSC_INSA_10device_ptrItEEEESG_SG_EENS0_5tupleIJPtSJ_EEENSR_IJSJ_SJ_EEES6_PlJS6_EEE10hipError_tPvRmT3_T4_T5_T6_T7_T9_mT8_P12ihipStream_tbDpT10_ENKUlT_T0_E_clISt17integral_constantIbLb0EES1E_IbLb1EEEEDaS1A_S1B_EUlS1A_E_NS1_11comp_targetILNS1_3genE10ELNS1_11target_archE1200ELNS1_3gpuE4ELNS1_3repE0EEENS1_30default_config_static_selectorELNS0_4arch9wavefront6targetE1EEEvT1_,comdat
	.protected	_ZN7rocprim17ROCPRIM_400000_NS6detail17trampoline_kernelINS0_14default_configENS1_25partition_config_selectorILNS1_17partition_subalgoE2EtNS0_10empty_typeEbEEZZNS1_14partition_implILS5_2ELb0ES3_jN6thrust23THRUST_200600_302600_NS6detail15normal_iteratorINSA_7pointerItNSA_11hip_rocprim3tagENSA_11use_defaultESG_EEEEPS6_NSA_18transform_iteratorI7is_evenItENSC_INSA_10device_ptrItEEEESG_SG_EENS0_5tupleIJPtSJ_EEENSR_IJSJ_SJ_EEES6_PlJS6_EEE10hipError_tPvRmT3_T4_T5_T6_T7_T9_mT8_P12ihipStream_tbDpT10_ENKUlT_T0_E_clISt17integral_constantIbLb0EES1E_IbLb1EEEEDaS1A_S1B_EUlS1A_E_NS1_11comp_targetILNS1_3genE10ELNS1_11target_archE1200ELNS1_3gpuE4ELNS1_3repE0EEENS1_30default_config_static_selectorELNS0_4arch9wavefront6targetE1EEEvT1_ ; -- Begin function _ZN7rocprim17ROCPRIM_400000_NS6detail17trampoline_kernelINS0_14default_configENS1_25partition_config_selectorILNS1_17partition_subalgoE2EtNS0_10empty_typeEbEEZZNS1_14partition_implILS5_2ELb0ES3_jN6thrust23THRUST_200600_302600_NS6detail15normal_iteratorINSA_7pointerItNSA_11hip_rocprim3tagENSA_11use_defaultESG_EEEEPS6_NSA_18transform_iteratorI7is_evenItENSC_INSA_10device_ptrItEEEESG_SG_EENS0_5tupleIJPtSJ_EEENSR_IJSJ_SJ_EEES6_PlJS6_EEE10hipError_tPvRmT3_T4_T5_T6_T7_T9_mT8_P12ihipStream_tbDpT10_ENKUlT_T0_E_clISt17integral_constantIbLb0EES1E_IbLb1EEEEDaS1A_S1B_EUlS1A_E_NS1_11comp_targetILNS1_3genE10ELNS1_11target_archE1200ELNS1_3gpuE4ELNS1_3repE0EEENS1_30default_config_static_selectorELNS0_4arch9wavefront6targetE1EEEvT1_
	.globl	_ZN7rocprim17ROCPRIM_400000_NS6detail17trampoline_kernelINS0_14default_configENS1_25partition_config_selectorILNS1_17partition_subalgoE2EtNS0_10empty_typeEbEEZZNS1_14partition_implILS5_2ELb0ES3_jN6thrust23THRUST_200600_302600_NS6detail15normal_iteratorINSA_7pointerItNSA_11hip_rocprim3tagENSA_11use_defaultESG_EEEEPS6_NSA_18transform_iteratorI7is_evenItENSC_INSA_10device_ptrItEEEESG_SG_EENS0_5tupleIJPtSJ_EEENSR_IJSJ_SJ_EEES6_PlJS6_EEE10hipError_tPvRmT3_T4_T5_T6_T7_T9_mT8_P12ihipStream_tbDpT10_ENKUlT_T0_E_clISt17integral_constantIbLb0EES1E_IbLb1EEEEDaS1A_S1B_EUlS1A_E_NS1_11comp_targetILNS1_3genE10ELNS1_11target_archE1200ELNS1_3gpuE4ELNS1_3repE0EEENS1_30default_config_static_selectorELNS0_4arch9wavefront6targetE1EEEvT1_
	.p2align	8
	.type	_ZN7rocprim17ROCPRIM_400000_NS6detail17trampoline_kernelINS0_14default_configENS1_25partition_config_selectorILNS1_17partition_subalgoE2EtNS0_10empty_typeEbEEZZNS1_14partition_implILS5_2ELb0ES3_jN6thrust23THRUST_200600_302600_NS6detail15normal_iteratorINSA_7pointerItNSA_11hip_rocprim3tagENSA_11use_defaultESG_EEEEPS6_NSA_18transform_iteratorI7is_evenItENSC_INSA_10device_ptrItEEEESG_SG_EENS0_5tupleIJPtSJ_EEENSR_IJSJ_SJ_EEES6_PlJS6_EEE10hipError_tPvRmT3_T4_T5_T6_T7_T9_mT8_P12ihipStream_tbDpT10_ENKUlT_T0_E_clISt17integral_constantIbLb0EES1E_IbLb1EEEEDaS1A_S1B_EUlS1A_E_NS1_11comp_targetILNS1_3genE10ELNS1_11target_archE1200ELNS1_3gpuE4ELNS1_3repE0EEENS1_30default_config_static_selectorELNS0_4arch9wavefront6targetE1EEEvT1_,@function
_ZN7rocprim17ROCPRIM_400000_NS6detail17trampoline_kernelINS0_14default_configENS1_25partition_config_selectorILNS1_17partition_subalgoE2EtNS0_10empty_typeEbEEZZNS1_14partition_implILS5_2ELb0ES3_jN6thrust23THRUST_200600_302600_NS6detail15normal_iteratorINSA_7pointerItNSA_11hip_rocprim3tagENSA_11use_defaultESG_EEEEPS6_NSA_18transform_iteratorI7is_evenItENSC_INSA_10device_ptrItEEEESG_SG_EENS0_5tupleIJPtSJ_EEENSR_IJSJ_SJ_EEES6_PlJS6_EEE10hipError_tPvRmT3_T4_T5_T6_T7_T9_mT8_P12ihipStream_tbDpT10_ENKUlT_T0_E_clISt17integral_constantIbLb0EES1E_IbLb1EEEEDaS1A_S1B_EUlS1A_E_NS1_11comp_targetILNS1_3genE10ELNS1_11target_archE1200ELNS1_3gpuE4ELNS1_3repE0EEENS1_30default_config_static_selectorELNS0_4arch9wavefront6targetE1EEEvT1_: ; @_ZN7rocprim17ROCPRIM_400000_NS6detail17trampoline_kernelINS0_14default_configENS1_25partition_config_selectorILNS1_17partition_subalgoE2EtNS0_10empty_typeEbEEZZNS1_14partition_implILS5_2ELb0ES3_jN6thrust23THRUST_200600_302600_NS6detail15normal_iteratorINSA_7pointerItNSA_11hip_rocprim3tagENSA_11use_defaultESG_EEEEPS6_NSA_18transform_iteratorI7is_evenItENSC_INSA_10device_ptrItEEEESG_SG_EENS0_5tupleIJPtSJ_EEENSR_IJSJ_SJ_EEES6_PlJS6_EEE10hipError_tPvRmT3_T4_T5_T6_T7_T9_mT8_P12ihipStream_tbDpT10_ENKUlT_T0_E_clISt17integral_constantIbLb0EES1E_IbLb1EEEEDaS1A_S1B_EUlS1A_E_NS1_11comp_targetILNS1_3genE10ELNS1_11target_archE1200ELNS1_3gpuE4ELNS1_3repE0EEENS1_30default_config_static_selectorELNS0_4arch9wavefront6targetE1EEEvT1_
; %bb.0:
	.section	.rodata,"a",@progbits
	.p2align	6, 0x0
	.amdhsa_kernel _ZN7rocprim17ROCPRIM_400000_NS6detail17trampoline_kernelINS0_14default_configENS1_25partition_config_selectorILNS1_17partition_subalgoE2EtNS0_10empty_typeEbEEZZNS1_14partition_implILS5_2ELb0ES3_jN6thrust23THRUST_200600_302600_NS6detail15normal_iteratorINSA_7pointerItNSA_11hip_rocprim3tagENSA_11use_defaultESG_EEEEPS6_NSA_18transform_iteratorI7is_evenItENSC_INSA_10device_ptrItEEEESG_SG_EENS0_5tupleIJPtSJ_EEENSR_IJSJ_SJ_EEES6_PlJS6_EEE10hipError_tPvRmT3_T4_T5_T6_T7_T9_mT8_P12ihipStream_tbDpT10_ENKUlT_T0_E_clISt17integral_constantIbLb0EES1E_IbLb1EEEEDaS1A_S1B_EUlS1A_E_NS1_11comp_targetILNS1_3genE10ELNS1_11target_archE1200ELNS1_3gpuE4ELNS1_3repE0EEENS1_30default_config_static_selectorELNS0_4arch9wavefront6targetE1EEEvT1_
		.amdhsa_group_segment_fixed_size 0
		.amdhsa_private_segment_fixed_size 0
		.amdhsa_kernarg_size 144
		.amdhsa_user_sgpr_count 2
		.amdhsa_user_sgpr_dispatch_ptr 0
		.amdhsa_user_sgpr_queue_ptr 0
		.amdhsa_user_sgpr_kernarg_segment_ptr 1
		.amdhsa_user_sgpr_dispatch_id 0
		.amdhsa_user_sgpr_kernarg_preload_length 0
		.amdhsa_user_sgpr_kernarg_preload_offset 0
		.amdhsa_user_sgpr_private_segment_size 0
		.amdhsa_uses_dynamic_stack 0
		.amdhsa_enable_private_segment 0
		.amdhsa_system_sgpr_workgroup_id_x 1
		.amdhsa_system_sgpr_workgroup_id_y 0
		.amdhsa_system_sgpr_workgroup_id_z 0
		.amdhsa_system_sgpr_workgroup_info 0
		.amdhsa_system_vgpr_workitem_id 0
		.amdhsa_next_free_vgpr 1
		.amdhsa_next_free_sgpr 0
		.amdhsa_accum_offset 4
		.amdhsa_reserve_vcc 0
		.amdhsa_float_round_mode_32 0
		.amdhsa_float_round_mode_16_64 0
		.amdhsa_float_denorm_mode_32 3
		.amdhsa_float_denorm_mode_16_64 3
		.amdhsa_dx10_clamp 1
		.amdhsa_ieee_mode 1
		.amdhsa_fp16_overflow 0
		.amdhsa_tg_split 0
		.amdhsa_exception_fp_ieee_invalid_op 0
		.amdhsa_exception_fp_denorm_src 0
		.amdhsa_exception_fp_ieee_div_zero 0
		.amdhsa_exception_fp_ieee_overflow 0
		.amdhsa_exception_fp_ieee_underflow 0
		.amdhsa_exception_fp_ieee_inexact 0
		.amdhsa_exception_int_div_zero 0
	.end_amdhsa_kernel
	.section	.text._ZN7rocprim17ROCPRIM_400000_NS6detail17trampoline_kernelINS0_14default_configENS1_25partition_config_selectorILNS1_17partition_subalgoE2EtNS0_10empty_typeEbEEZZNS1_14partition_implILS5_2ELb0ES3_jN6thrust23THRUST_200600_302600_NS6detail15normal_iteratorINSA_7pointerItNSA_11hip_rocprim3tagENSA_11use_defaultESG_EEEEPS6_NSA_18transform_iteratorI7is_evenItENSC_INSA_10device_ptrItEEEESG_SG_EENS0_5tupleIJPtSJ_EEENSR_IJSJ_SJ_EEES6_PlJS6_EEE10hipError_tPvRmT3_T4_T5_T6_T7_T9_mT8_P12ihipStream_tbDpT10_ENKUlT_T0_E_clISt17integral_constantIbLb0EES1E_IbLb1EEEEDaS1A_S1B_EUlS1A_E_NS1_11comp_targetILNS1_3genE10ELNS1_11target_archE1200ELNS1_3gpuE4ELNS1_3repE0EEENS1_30default_config_static_selectorELNS0_4arch9wavefront6targetE1EEEvT1_,"axG",@progbits,_ZN7rocprim17ROCPRIM_400000_NS6detail17trampoline_kernelINS0_14default_configENS1_25partition_config_selectorILNS1_17partition_subalgoE2EtNS0_10empty_typeEbEEZZNS1_14partition_implILS5_2ELb0ES3_jN6thrust23THRUST_200600_302600_NS6detail15normal_iteratorINSA_7pointerItNSA_11hip_rocprim3tagENSA_11use_defaultESG_EEEEPS6_NSA_18transform_iteratorI7is_evenItENSC_INSA_10device_ptrItEEEESG_SG_EENS0_5tupleIJPtSJ_EEENSR_IJSJ_SJ_EEES6_PlJS6_EEE10hipError_tPvRmT3_T4_T5_T6_T7_T9_mT8_P12ihipStream_tbDpT10_ENKUlT_T0_E_clISt17integral_constantIbLb0EES1E_IbLb1EEEEDaS1A_S1B_EUlS1A_E_NS1_11comp_targetILNS1_3genE10ELNS1_11target_archE1200ELNS1_3gpuE4ELNS1_3repE0EEENS1_30default_config_static_selectorELNS0_4arch9wavefront6targetE1EEEvT1_,comdat
.Lfunc_end2099:
	.size	_ZN7rocprim17ROCPRIM_400000_NS6detail17trampoline_kernelINS0_14default_configENS1_25partition_config_selectorILNS1_17partition_subalgoE2EtNS0_10empty_typeEbEEZZNS1_14partition_implILS5_2ELb0ES3_jN6thrust23THRUST_200600_302600_NS6detail15normal_iteratorINSA_7pointerItNSA_11hip_rocprim3tagENSA_11use_defaultESG_EEEEPS6_NSA_18transform_iteratorI7is_evenItENSC_INSA_10device_ptrItEEEESG_SG_EENS0_5tupleIJPtSJ_EEENSR_IJSJ_SJ_EEES6_PlJS6_EEE10hipError_tPvRmT3_T4_T5_T6_T7_T9_mT8_P12ihipStream_tbDpT10_ENKUlT_T0_E_clISt17integral_constantIbLb0EES1E_IbLb1EEEEDaS1A_S1B_EUlS1A_E_NS1_11comp_targetILNS1_3genE10ELNS1_11target_archE1200ELNS1_3gpuE4ELNS1_3repE0EEENS1_30default_config_static_selectorELNS0_4arch9wavefront6targetE1EEEvT1_, .Lfunc_end2099-_ZN7rocprim17ROCPRIM_400000_NS6detail17trampoline_kernelINS0_14default_configENS1_25partition_config_selectorILNS1_17partition_subalgoE2EtNS0_10empty_typeEbEEZZNS1_14partition_implILS5_2ELb0ES3_jN6thrust23THRUST_200600_302600_NS6detail15normal_iteratorINSA_7pointerItNSA_11hip_rocprim3tagENSA_11use_defaultESG_EEEEPS6_NSA_18transform_iteratorI7is_evenItENSC_INSA_10device_ptrItEEEESG_SG_EENS0_5tupleIJPtSJ_EEENSR_IJSJ_SJ_EEES6_PlJS6_EEE10hipError_tPvRmT3_T4_T5_T6_T7_T9_mT8_P12ihipStream_tbDpT10_ENKUlT_T0_E_clISt17integral_constantIbLb0EES1E_IbLb1EEEEDaS1A_S1B_EUlS1A_E_NS1_11comp_targetILNS1_3genE10ELNS1_11target_archE1200ELNS1_3gpuE4ELNS1_3repE0EEENS1_30default_config_static_selectorELNS0_4arch9wavefront6targetE1EEEvT1_
                                        ; -- End function
	.section	.AMDGPU.csdata,"",@progbits
; Kernel info:
; codeLenInByte = 0
; NumSgprs: 6
; NumVgprs: 0
; NumAgprs: 0
; TotalNumVgprs: 0
; ScratchSize: 0
; MemoryBound: 0
; FloatMode: 240
; IeeeMode: 1
; LDSByteSize: 0 bytes/workgroup (compile time only)
; SGPRBlocks: 0
; VGPRBlocks: 0
; NumSGPRsForWavesPerEU: 6
; NumVGPRsForWavesPerEU: 1
; AccumOffset: 4
; Occupancy: 8
; WaveLimiterHint : 0
; COMPUTE_PGM_RSRC2:SCRATCH_EN: 0
; COMPUTE_PGM_RSRC2:USER_SGPR: 2
; COMPUTE_PGM_RSRC2:TRAP_HANDLER: 0
; COMPUTE_PGM_RSRC2:TGID_X_EN: 1
; COMPUTE_PGM_RSRC2:TGID_Y_EN: 0
; COMPUTE_PGM_RSRC2:TGID_Z_EN: 0
; COMPUTE_PGM_RSRC2:TIDIG_COMP_CNT: 0
; COMPUTE_PGM_RSRC3_GFX90A:ACCUM_OFFSET: 0
; COMPUTE_PGM_RSRC3_GFX90A:TG_SPLIT: 0
	.section	.text._ZN7rocprim17ROCPRIM_400000_NS6detail17trampoline_kernelINS0_14default_configENS1_25partition_config_selectorILNS1_17partition_subalgoE2EtNS0_10empty_typeEbEEZZNS1_14partition_implILS5_2ELb0ES3_jN6thrust23THRUST_200600_302600_NS6detail15normal_iteratorINSA_7pointerItNSA_11hip_rocprim3tagENSA_11use_defaultESG_EEEEPS6_NSA_18transform_iteratorI7is_evenItENSC_INSA_10device_ptrItEEEESG_SG_EENS0_5tupleIJPtSJ_EEENSR_IJSJ_SJ_EEES6_PlJS6_EEE10hipError_tPvRmT3_T4_T5_T6_T7_T9_mT8_P12ihipStream_tbDpT10_ENKUlT_T0_E_clISt17integral_constantIbLb0EES1E_IbLb1EEEEDaS1A_S1B_EUlS1A_E_NS1_11comp_targetILNS1_3genE9ELNS1_11target_archE1100ELNS1_3gpuE3ELNS1_3repE0EEENS1_30default_config_static_selectorELNS0_4arch9wavefront6targetE1EEEvT1_,"axG",@progbits,_ZN7rocprim17ROCPRIM_400000_NS6detail17trampoline_kernelINS0_14default_configENS1_25partition_config_selectorILNS1_17partition_subalgoE2EtNS0_10empty_typeEbEEZZNS1_14partition_implILS5_2ELb0ES3_jN6thrust23THRUST_200600_302600_NS6detail15normal_iteratorINSA_7pointerItNSA_11hip_rocprim3tagENSA_11use_defaultESG_EEEEPS6_NSA_18transform_iteratorI7is_evenItENSC_INSA_10device_ptrItEEEESG_SG_EENS0_5tupleIJPtSJ_EEENSR_IJSJ_SJ_EEES6_PlJS6_EEE10hipError_tPvRmT3_T4_T5_T6_T7_T9_mT8_P12ihipStream_tbDpT10_ENKUlT_T0_E_clISt17integral_constantIbLb0EES1E_IbLb1EEEEDaS1A_S1B_EUlS1A_E_NS1_11comp_targetILNS1_3genE9ELNS1_11target_archE1100ELNS1_3gpuE3ELNS1_3repE0EEENS1_30default_config_static_selectorELNS0_4arch9wavefront6targetE1EEEvT1_,comdat
	.protected	_ZN7rocprim17ROCPRIM_400000_NS6detail17trampoline_kernelINS0_14default_configENS1_25partition_config_selectorILNS1_17partition_subalgoE2EtNS0_10empty_typeEbEEZZNS1_14partition_implILS5_2ELb0ES3_jN6thrust23THRUST_200600_302600_NS6detail15normal_iteratorINSA_7pointerItNSA_11hip_rocprim3tagENSA_11use_defaultESG_EEEEPS6_NSA_18transform_iteratorI7is_evenItENSC_INSA_10device_ptrItEEEESG_SG_EENS0_5tupleIJPtSJ_EEENSR_IJSJ_SJ_EEES6_PlJS6_EEE10hipError_tPvRmT3_T4_T5_T6_T7_T9_mT8_P12ihipStream_tbDpT10_ENKUlT_T0_E_clISt17integral_constantIbLb0EES1E_IbLb1EEEEDaS1A_S1B_EUlS1A_E_NS1_11comp_targetILNS1_3genE9ELNS1_11target_archE1100ELNS1_3gpuE3ELNS1_3repE0EEENS1_30default_config_static_selectorELNS0_4arch9wavefront6targetE1EEEvT1_ ; -- Begin function _ZN7rocprim17ROCPRIM_400000_NS6detail17trampoline_kernelINS0_14default_configENS1_25partition_config_selectorILNS1_17partition_subalgoE2EtNS0_10empty_typeEbEEZZNS1_14partition_implILS5_2ELb0ES3_jN6thrust23THRUST_200600_302600_NS6detail15normal_iteratorINSA_7pointerItNSA_11hip_rocprim3tagENSA_11use_defaultESG_EEEEPS6_NSA_18transform_iteratorI7is_evenItENSC_INSA_10device_ptrItEEEESG_SG_EENS0_5tupleIJPtSJ_EEENSR_IJSJ_SJ_EEES6_PlJS6_EEE10hipError_tPvRmT3_T4_T5_T6_T7_T9_mT8_P12ihipStream_tbDpT10_ENKUlT_T0_E_clISt17integral_constantIbLb0EES1E_IbLb1EEEEDaS1A_S1B_EUlS1A_E_NS1_11comp_targetILNS1_3genE9ELNS1_11target_archE1100ELNS1_3gpuE3ELNS1_3repE0EEENS1_30default_config_static_selectorELNS0_4arch9wavefront6targetE1EEEvT1_
	.globl	_ZN7rocprim17ROCPRIM_400000_NS6detail17trampoline_kernelINS0_14default_configENS1_25partition_config_selectorILNS1_17partition_subalgoE2EtNS0_10empty_typeEbEEZZNS1_14partition_implILS5_2ELb0ES3_jN6thrust23THRUST_200600_302600_NS6detail15normal_iteratorINSA_7pointerItNSA_11hip_rocprim3tagENSA_11use_defaultESG_EEEEPS6_NSA_18transform_iteratorI7is_evenItENSC_INSA_10device_ptrItEEEESG_SG_EENS0_5tupleIJPtSJ_EEENSR_IJSJ_SJ_EEES6_PlJS6_EEE10hipError_tPvRmT3_T4_T5_T6_T7_T9_mT8_P12ihipStream_tbDpT10_ENKUlT_T0_E_clISt17integral_constantIbLb0EES1E_IbLb1EEEEDaS1A_S1B_EUlS1A_E_NS1_11comp_targetILNS1_3genE9ELNS1_11target_archE1100ELNS1_3gpuE3ELNS1_3repE0EEENS1_30default_config_static_selectorELNS0_4arch9wavefront6targetE1EEEvT1_
	.p2align	8
	.type	_ZN7rocprim17ROCPRIM_400000_NS6detail17trampoline_kernelINS0_14default_configENS1_25partition_config_selectorILNS1_17partition_subalgoE2EtNS0_10empty_typeEbEEZZNS1_14partition_implILS5_2ELb0ES3_jN6thrust23THRUST_200600_302600_NS6detail15normal_iteratorINSA_7pointerItNSA_11hip_rocprim3tagENSA_11use_defaultESG_EEEEPS6_NSA_18transform_iteratorI7is_evenItENSC_INSA_10device_ptrItEEEESG_SG_EENS0_5tupleIJPtSJ_EEENSR_IJSJ_SJ_EEES6_PlJS6_EEE10hipError_tPvRmT3_T4_T5_T6_T7_T9_mT8_P12ihipStream_tbDpT10_ENKUlT_T0_E_clISt17integral_constantIbLb0EES1E_IbLb1EEEEDaS1A_S1B_EUlS1A_E_NS1_11comp_targetILNS1_3genE9ELNS1_11target_archE1100ELNS1_3gpuE3ELNS1_3repE0EEENS1_30default_config_static_selectorELNS0_4arch9wavefront6targetE1EEEvT1_,@function
_ZN7rocprim17ROCPRIM_400000_NS6detail17trampoline_kernelINS0_14default_configENS1_25partition_config_selectorILNS1_17partition_subalgoE2EtNS0_10empty_typeEbEEZZNS1_14partition_implILS5_2ELb0ES3_jN6thrust23THRUST_200600_302600_NS6detail15normal_iteratorINSA_7pointerItNSA_11hip_rocprim3tagENSA_11use_defaultESG_EEEEPS6_NSA_18transform_iteratorI7is_evenItENSC_INSA_10device_ptrItEEEESG_SG_EENS0_5tupleIJPtSJ_EEENSR_IJSJ_SJ_EEES6_PlJS6_EEE10hipError_tPvRmT3_T4_T5_T6_T7_T9_mT8_P12ihipStream_tbDpT10_ENKUlT_T0_E_clISt17integral_constantIbLb0EES1E_IbLb1EEEEDaS1A_S1B_EUlS1A_E_NS1_11comp_targetILNS1_3genE9ELNS1_11target_archE1100ELNS1_3gpuE3ELNS1_3repE0EEENS1_30default_config_static_selectorELNS0_4arch9wavefront6targetE1EEEvT1_: ; @_ZN7rocprim17ROCPRIM_400000_NS6detail17trampoline_kernelINS0_14default_configENS1_25partition_config_selectorILNS1_17partition_subalgoE2EtNS0_10empty_typeEbEEZZNS1_14partition_implILS5_2ELb0ES3_jN6thrust23THRUST_200600_302600_NS6detail15normal_iteratorINSA_7pointerItNSA_11hip_rocprim3tagENSA_11use_defaultESG_EEEEPS6_NSA_18transform_iteratorI7is_evenItENSC_INSA_10device_ptrItEEEESG_SG_EENS0_5tupleIJPtSJ_EEENSR_IJSJ_SJ_EEES6_PlJS6_EEE10hipError_tPvRmT3_T4_T5_T6_T7_T9_mT8_P12ihipStream_tbDpT10_ENKUlT_T0_E_clISt17integral_constantIbLb0EES1E_IbLb1EEEEDaS1A_S1B_EUlS1A_E_NS1_11comp_targetILNS1_3genE9ELNS1_11target_archE1100ELNS1_3gpuE3ELNS1_3repE0EEENS1_30default_config_static_selectorELNS0_4arch9wavefront6targetE1EEEvT1_
; %bb.0:
	.section	.rodata,"a",@progbits
	.p2align	6, 0x0
	.amdhsa_kernel _ZN7rocprim17ROCPRIM_400000_NS6detail17trampoline_kernelINS0_14default_configENS1_25partition_config_selectorILNS1_17partition_subalgoE2EtNS0_10empty_typeEbEEZZNS1_14partition_implILS5_2ELb0ES3_jN6thrust23THRUST_200600_302600_NS6detail15normal_iteratorINSA_7pointerItNSA_11hip_rocprim3tagENSA_11use_defaultESG_EEEEPS6_NSA_18transform_iteratorI7is_evenItENSC_INSA_10device_ptrItEEEESG_SG_EENS0_5tupleIJPtSJ_EEENSR_IJSJ_SJ_EEES6_PlJS6_EEE10hipError_tPvRmT3_T4_T5_T6_T7_T9_mT8_P12ihipStream_tbDpT10_ENKUlT_T0_E_clISt17integral_constantIbLb0EES1E_IbLb1EEEEDaS1A_S1B_EUlS1A_E_NS1_11comp_targetILNS1_3genE9ELNS1_11target_archE1100ELNS1_3gpuE3ELNS1_3repE0EEENS1_30default_config_static_selectorELNS0_4arch9wavefront6targetE1EEEvT1_
		.amdhsa_group_segment_fixed_size 0
		.amdhsa_private_segment_fixed_size 0
		.amdhsa_kernarg_size 144
		.amdhsa_user_sgpr_count 2
		.amdhsa_user_sgpr_dispatch_ptr 0
		.amdhsa_user_sgpr_queue_ptr 0
		.amdhsa_user_sgpr_kernarg_segment_ptr 1
		.amdhsa_user_sgpr_dispatch_id 0
		.amdhsa_user_sgpr_kernarg_preload_length 0
		.amdhsa_user_sgpr_kernarg_preload_offset 0
		.amdhsa_user_sgpr_private_segment_size 0
		.amdhsa_uses_dynamic_stack 0
		.amdhsa_enable_private_segment 0
		.amdhsa_system_sgpr_workgroup_id_x 1
		.amdhsa_system_sgpr_workgroup_id_y 0
		.amdhsa_system_sgpr_workgroup_id_z 0
		.amdhsa_system_sgpr_workgroup_info 0
		.amdhsa_system_vgpr_workitem_id 0
		.amdhsa_next_free_vgpr 1
		.amdhsa_next_free_sgpr 0
		.amdhsa_accum_offset 4
		.amdhsa_reserve_vcc 0
		.amdhsa_float_round_mode_32 0
		.amdhsa_float_round_mode_16_64 0
		.amdhsa_float_denorm_mode_32 3
		.amdhsa_float_denorm_mode_16_64 3
		.amdhsa_dx10_clamp 1
		.amdhsa_ieee_mode 1
		.amdhsa_fp16_overflow 0
		.amdhsa_tg_split 0
		.amdhsa_exception_fp_ieee_invalid_op 0
		.amdhsa_exception_fp_denorm_src 0
		.amdhsa_exception_fp_ieee_div_zero 0
		.amdhsa_exception_fp_ieee_overflow 0
		.amdhsa_exception_fp_ieee_underflow 0
		.amdhsa_exception_fp_ieee_inexact 0
		.amdhsa_exception_int_div_zero 0
	.end_amdhsa_kernel
	.section	.text._ZN7rocprim17ROCPRIM_400000_NS6detail17trampoline_kernelINS0_14default_configENS1_25partition_config_selectorILNS1_17partition_subalgoE2EtNS0_10empty_typeEbEEZZNS1_14partition_implILS5_2ELb0ES3_jN6thrust23THRUST_200600_302600_NS6detail15normal_iteratorINSA_7pointerItNSA_11hip_rocprim3tagENSA_11use_defaultESG_EEEEPS6_NSA_18transform_iteratorI7is_evenItENSC_INSA_10device_ptrItEEEESG_SG_EENS0_5tupleIJPtSJ_EEENSR_IJSJ_SJ_EEES6_PlJS6_EEE10hipError_tPvRmT3_T4_T5_T6_T7_T9_mT8_P12ihipStream_tbDpT10_ENKUlT_T0_E_clISt17integral_constantIbLb0EES1E_IbLb1EEEEDaS1A_S1B_EUlS1A_E_NS1_11comp_targetILNS1_3genE9ELNS1_11target_archE1100ELNS1_3gpuE3ELNS1_3repE0EEENS1_30default_config_static_selectorELNS0_4arch9wavefront6targetE1EEEvT1_,"axG",@progbits,_ZN7rocprim17ROCPRIM_400000_NS6detail17trampoline_kernelINS0_14default_configENS1_25partition_config_selectorILNS1_17partition_subalgoE2EtNS0_10empty_typeEbEEZZNS1_14partition_implILS5_2ELb0ES3_jN6thrust23THRUST_200600_302600_NS6detail15normal_iteratorINSA_7pointerItNSA_11hip_rocprim3tagENSA_11use_defaultESG_EEEEPS6_NSA_18transform_iteratorI7is_evenItENSC_INSA_10device_ptrItEEEESG_SG_EENS0_5tupleIJPtSJ_EEENSR_IJSJ_SJ_EEES6_PlJS6_EEE10hipError_tPvRmT3_T4_T5_T6_T7_T9_mT8_P12ihipStream_tbDpT10_ENKUlT_T0_E_clISt17integral_constantIbLb0EES1E_IbLb1EEEEDaS1A_S1B_EUlS1A_E_NS1_11comp_targetILNS1_3genE9ELNS1_11target_archE1100ELNS1_3gpuE3ELNS1_3repE0EEENS1_30default_config_static_selectorELNS0_4arch9wavefront6targetE1EEEvT1_,comdat
.Lfunc_end2100:
	.size	_ZN7rocprim17ROCPRIM_400000_NS6detail17trampoline_kernelINS0_14default_configENS1_25partition_config_selectorILNS1_17partition_subalgoE2EtNS0_10empty_typeEbEEZZNS1_14partition_implILS5_2ELb0ES3_jN6thrust23THRUST_200600_302600_NS6detail15normal_iteratorINSA_7pointerItNSA_11hip_rocprim3tagENSA_11use_defaultESG_EEEEPS6_NSA_18transform_iteratorI7is_evenItENSC_INSA_10device_ptrItEEEESG_SG_EENS0_5tupleIJPtSJ_EEENSR_IJSJ_SJ_EEES6_PlJS6_EEE10hipError_tPvRmT3_T4_T5_T6_T7_T9_mT8_P12ihipStream_tbDpT10_ENKUlT_T0_E_clISt17integral_constantIbLb0EES1E_IbLb1EEEEDaS1A_S1B_EUlS1A_E_NS1_11comp_targetILNS1_3genE9ELNS1_11target_archE1100ELNS1_3gpuE3ELNS1_3repE0EEENS1_30default_config_static_selectorELNS0_4arch9wavefront6targetE1EEEvT1_, .Lfunc_end2100-_ZN7rocprim17ROCPRIM_400000_NS6detail17trampoline_kernelINS0_14default_configENS1_25partition_config_selectorILNS1_17partition_subalgoE2EtNS0_10empty_typeEbEEZZNS1_14partition_implILS5_2ELb0ES3_jN6thrust23THRUST_200600_302600_NS6detail15normal_iteratorINSA_7pointerItNSA_11hip_rocprim3tagENSA_11use_defaultESG_EEEEPS6_NSA_18transform_iteratorI7is_evenItENSC_INSA_10device_ptrItEEEESG_SG_EENS0_5tupleIJPtSJ_EEENSR_IJSJ_SJ_EEES6_PlJS6_EEE10hipError_tPvRmT3_T4_T5_T6_T7_T9_mT8_P12ihipStream_tbDpT10_ENKUlT_T0_E_clISt17integral_constantIbLb0EES1E_IbLb1EEEEDaS1A_S1B_EUlS1A_E_NS1_11comp_targetILNS1_3genE9ELNS1_11target_archE1100ELNS1_3gpuE3ELNS1_3repE0EEENS1_30default_config_static_selectorELNS0_4arch9wavefront6targetE1EEEvT1_
                                        ; -- End function
	.section	.AMDGPU.csdata,"",@progbits
; Kernel info:
; codeLenInByte = 0
; NumSgprs: 6
; NumVgprs: 0
; NumAgprs: 0
; TotalNumVgprs: 0
; ScratchSize: 0
; MemoryBound: 0
; FloatMode: 240
; IeeeMode: 1
; LDSByteSize: 0 bytes/workgroup (compile time only)
; SGPRBlocks: 0
; VGPRBlocks: 0
; NumSGPRsForWavesPerEU: 6
; NumVGPRsForWavesPerEU: 1
; AccumOffset: 4
; Occupancy: 8
; WaveLimiterHint : 0
; COMPUTE_PGM_RSRC2:SCRATCH_EN: 0
; COMPUTE_PGM_RSRC2:USER_SGPR: 2
; COMPUTE_PGM_RSRC2:TRAP_HANDLER: 0
; COMPUTE_PGM_RSRC2:TGID_X_EN: 1
; COMPUTE_PGM_RSRC2:TGID_Y_EN: 0
; COMPUTE_PGM_RSRC2:TGID_Z_EN: 0
; COMPUTE_PGM_RSRC2:TIDIG_COMP_CNT: 0
; COMPUTE_PGM_RSRC3_GFX90A:ACCUM_OFFSET: 0
; COMPUTE_PGM_RSRC3_GFX90A:TG_SPLIT: 0
	.section	.text._ZN7rocprim17ROCPRIM_400000_NS6detail17trampoline_kernelINS0_14default_configENS1_25partition_config_selectorILNS1_17partition_subalgoE2EtNS0_10empty_typeEbEEZZNS1_14partition_implILS5_2ELb0ES3_jN6thrust23THRUST_200600_302600_NS6detail15normal_iteratorINSA_7pointerItNSA_11hip_rocprim3tagENSA_11use_defaultESG_EEEEPS6_NSA_18transform_iteratorI7is_evenItENSC_INSA_10device_ptrItEEEESG_SG_EENS0_5tupleIJPtSJ_EEENSR_IJSJ_SJ_EEES6_PlJS6_EEE10hipError_tPvRmT3_T4_T5_T6_T7_T9_mT8_P12ihipStream_tbDpT10_ENKUlT_T0_E_clISt17integral_constantIbLb0EES1E_IbLb1EEEEDaS1A_S1B_EUlS1A_E_NS1_11comp_targetILNS1_3genE8ELNS1_11target_archE1030ELNS1_3gpuE2ELNS1_3repE0EEENS1_30default_config_static_selectorELNS0_4arch9wavefront6targetE1EEEvT1_,"axG",@progbits,_ZN7rocprim17ROCPRIM_400000_NS6detail17trampoline_kernelINS0_14default_configENS1_25partition_config_selectorILNS1_17partition_subalgoE2EtNS0_10empty_typeEbEEZZNS1_14partition_implILS5_2ELb0ES3_jN6thrust23THRUST_200600_302600_NS6detail15normal_iteratorINSA_7pointerItNSA_11hip_rocprim3tagENSA_11use_defaultESG_EEEEPS6_NSA_18transform_iteratorI7is_evenItENSC_INSA_10device_ptrItEEEESG_SG_EENS0_5tupleIJPtSJ_EEENSR_IJSJ_SJ_EEES6_PlJS6_EEE10hipError_tPvRmT3_T4_T5_T6_T7_T9_mT8_P12ihipStream_tbDpT10_ENKUlT_T0_E_clISt17integral_constantIbLb0EES1E_IbLb1EEEEDaS1A_S1B_EUlS1A_E_NS1_11comp_targetILNS1_3genE8ELNS1_11target_archE1030ELNS1_3gpuE2ELNS1_3repE0EEENS1_30default_config_static_selectorELNS0_4arch9wavefront6targetE1EEEvT1_,comdat
	.protected	_ZN7rocprim17ROCPRIM_400000_NS6detail17trampoline_kernelINS0_14default_configENS1_25partition_config_selectorILNS1_17partition_subalgoE2EtNS0_10empty_typeEbEEZZNS1_14partition_implILS5_2ELb0ES3_jN6thrust23THRUST_200600_302600_NS6detail15normal_iteratorINSA_7pointerItNSA_11hip_rocprim3tagENSA_11use_defaultESG_EEEEPS6_NSA_18transform_iteratorI7is_evenItENSC_INSA_10device_ptrItEEEESG_SG_EENS0_5tupleIJPtSJ_EEENSR_IJSJ_SJ_EEES6_PlJS6_EEE10hipError_tPvRmT3_T4_T5_T6_T7_T9_mT8_P12ihipStream_tbDpT10_ENKUlT_T0_E_clISt17integral_constantIbLb0EES1E_IbLb1EEEEDaS1A_S1B_EUlS1A_E_NS1_11comp_targetILNS1_3genE8ELNS1_11target_archE1030ELNS1_3gpuE2ELNS1_3repE0EEENS1_30default_config_static_selectorELNS0_4arch9wavefront6targetE1EEEvT1_ ; -- Begin function _ZN7rocprim17ROCPRIM_400000_NS6detail17trampoline_kernelINS0_14default_configENS1_25partition_config_selectorILNS1_17partition_subalgoE2EtNS0_10empty_typeEbEEZZNS1_14partition_implILS5_2ELb0ES3_jN6thrust23THRUST_200600_302600_NS6detail15normal_iteratorINSA_7pointerItNSA_11hip_rocprim3tagENSA_11use_defaultESG_EEEEPS6_NSA_18transform_iteratorI7is_evenItENSC_INSA_10device_ptrItEEEESG_SG_EENS0_5tupleIJPtSJ_EEENSR_IJSJ_SJ_EEES6_PlJS6_EEE10hipError_tPvRmT3_T4_T5_T6_T7_T9_mT8_P12ihipStream_tbDpT10_ENKUlT_T0_E_clISt17integral_constantIbLb0EES1E_IbLb1EEEEDaS1A_S1B_EUlS1A_E_NS1_11comp_targetILNS1_3genE8ELNS1_11target_archE1030ELNS1_3gpuE2ELNS1_3repE0EEENS1_30default_config_static_selectorELNS0_4arch9wavefront6targetE1EEEvT1_
	.globl	_ZN7rocprim17ROCPRIM_400000_NS6detail17trampoline_kernelINS0_14default_configENS1_25partition_config_selectorILNS1_17partition_subalgoE2EtNS0_10empty_typeEbEEZZNS1_14partition_implILS5_2ELb0ES3_jN6thrust23THRUST_200600_302600_NS6detail15normal_iteratorINSA_7pointerItNSA_11hip_rocprim3tagENSA_11use_defaultESG_EEEEPS6_NSA_18transform_iteratorI7is_evenItENSC_INSA_10device_ptrItEEEESG_SG_EENS0_5tupleIJPtSJ_EEENSR_IJSJ_SJ_EEES6_PlJS6_EEE10hipError_tPvRmT3_T4_T5_T6_T7_T9_mT8_P12ihipStream_tbDpT10_ENKUlT_T0_E_clISt17integral_constantIbLb0EES1E_IbLb1EEEEDaS1A_S1B_EUlS1A_E_NS1_11comp_targetILNS1_3genE8ELNS1_11target_archE1030ELNS1_3gpuE2ELNS1_3repE0EEENS1_30default_config_static_selectorELNS0_4arch9wavefront6targetE1EEEvT1_
	.p2align	8
	.type	_ZN7rocprim17ROCPRIM_400000_NS6detail17trampoline_kernelINS0_14default_configENS1_25partition_config_selectorILNS1_17partition_subalgoE2EtNS0_10empty_typeEbEEZZNS1_14partition_implILS5_2ELb0ES3_jN6thrust23THRUST_200600_302600_NS6detail15normal_iteratorINSA_7pointerItNSA_11hip_rocprim3tagENSA_11use_defaultESG_EEEEPS6_NSA_18transform_iteratorI7is_evenItENSC_INSA_10device_ptrItEEEESG_SG_EENS0_5tupleIJPtSJ_EEENSR_IJSJ_SJ_EEES6_PlJS6_EEE10hipError_tPvRmT3_T4_T5_T6_T7_T9_mT8_P12ihipStream_tbDpT10_ENKUlT_T0_E_clISt17integral_constantIbLb0EES1E_IbLb1EEEEDaS1A_S1B_EUlS1A_E_NS1_11comp_targetILNS1_3genE8ELNS1_11target_archE1030ELNS1_3gpuE2ELNS1_3repE0EEENS1_30default_config_static_selectorELNS0_4arch9wavefront6targetE1EEEvT1_,@function
_ZN7rocprim17ROCPRIM_400000_NS6detail17trampoline_kernelINS0_14default_configENS1_25partition_config_selectorILNS1_17partition_subalgoE2EtNS0_10empty_typeEbEEZZNS1_14partition_implILS5_2ELb0ES3_jN6thrust23THRUST_200600_302600_NS6detail15normal_iteratorINSA_7pointerItNSA_11hip_rocprim3tagENSA_11use_defaultESG_EEEEPS6_NSA_18transform_iteratorI7is_evenItENSC_INSA_10device_ptrItEEEESG_SG_EENS0_5tupleIJPtSJ_EEENSR_IJSJ_SJ_EEES6_PlJS6_EEE10hipError_tPvRmT3_T4_T5_T6_T7_T9_mT8_P12ihipStream_tbDpT10_ENKUlT_T0_E_clISt17integral_constantIbLb0EES1E_IbLb1EEEEDaS1A_S1B_EUlS1A_E_NS1_11comp_targetILNS1_3genE8ELNS1_11target_archE1030ELNS1_3gpuE2ELNS1_3repE0EEENS1_30default_config_static_selectorELNS0_4arch9wavefront6targetE1EEEvT1_: ; @_ZN7rocprim17ROCPRIM_400000_NS6detail17trampoline_kernelINS0_14default_configENS1_25partition_config_selectorILNS1_17partition_subalgoE2EtNS0_10empty_typeEbEEZZNS1_14partition_implILS5_2ELb0ES3_jN6thrust23THRUST_200600_302600_NS6detail15normal_iteratorINSA_7pointerItNSA_11hip_rocprim3tagENSA_11use_defaultESG_EEEEPS6_NSA_18transform_iteratorI7is_evenItENSC_INSA_10device_ptrItEEEESG_SG_EENS0_5tupleIJPtSJ_EEENSR_IJSJ_SJ_EEES6_PlJS6_EEE10hipError_tPvRmT3_T4_T5_T6_T7_T9_mT8_P12ihipStream_tbDpT10_ENKUlT_T0_E_clISt17integral_constantIbLb0EES1E_IbLb1EEEEDaS1A_S1B_EUlS1A_E_NS1_11comp_targetILNS1_3genE8ELNS1_11target_archE1030ELNS1_3gpuE2ELNS1_3repE0EEENS1_30default_config_static_selectorELNS0_4arch9wavefront6targetE1EEEvT1_
; %bb.0:
	.section	.rodata,"a",@progbits
	.p2align	6, 0x0
	.amdhsa_kernel _ZN7rocprim17ROCPRIM_400000_NS6detail17trampoline_kernelINS0_14default_configENS1_25partition_config_selectorILNS1_17partition_subalgoE2EtNS0_10empty_typeEbEEZZNS1_14partition_implILS5_2ELb0ES3_jN6thrust23THRUST_200600_302600_NS6detail15normal_iteratorINSA_7pointerItNSA_11hip_rocprim3tagENSA_11use_defaultESG_EEEEPS6_NSA_18transform_iteratorI7is_evenItENSC_INSA_10device_ptrItEEEESG_SG_EENS0_5tupleIJPtSJ_EEENSR_IJSJ_SJ_EEES6_PlJS6_EEE10hipError_tPvRmT3_T4_T5_T6_T7_T9_mT8_P12ihipStream_tbDpT10_ENKUlT_T0_E_clISt17integral_constantIbLb0EES1E_IbLb1EEEEDaS1A_S1B_EUlS1A_E_NS1_11comp_targetILNS1_3genE8ELNS1_11target_archE1030ELNS1_3gpuE2ELNS1_3repE0EEENS1_30default_config_static_selectorELNS0_4arch9wavefront6targetE1EEEvT1_
		.amdhsa_group_segment_fixed_size 0
		.amdhsa_private_segment_fixed_size 0
		.amdhsa_kernarg_size 144
		.amdhsa_user_sgpr_count 2
		.amdhsa_user_sgpr_dispatch_ptr 0
		.amdhsa_user_sgpr_queue_ptr 0
		.amdhsa_user_sgpr_kernarg_segment_ptr 1
		.amdhsa_user_sgpr_dispatch_id 0
		.amdhsa_user_sgpr_kernarg_preload_length 0
		.amdhsa_user_sgpr_kernarg_preload_offset 0
		.amdhsa_user_sgpr_private_segment_size 0
		.amdhsa_uses_dynamic_stack 0
		.amdhsa_enable_private_segment 0
		.amdhsa_system_sgpr_workgroup_id_x 1
		.amdhsa_system_sgpr_workgroup_id_y 0
		.amdhsa_system_sgpr_workgroup_id_z 0
		.amdhsa_system_sgpr_workgroup_info 0
		.amdhsa_system_vgpr_workitem_id 0
		.amdhsa_next_free_vgpr 1
		.amdhsa_next_free_sgpr 0
		.amdhsa_accum_offset 4
		.amdhsa_reserve_vcc 0
		.amdhsa_float_round_mode_32 0
		.amdhsa_float_round_mode_16_64 0
		.amdhsa_float_denorm_mode_32 3
		.amdhsa_float_denorm_mode_16_64 3
		.amdhsa_dx10_clamp 1
		.amdhsa_ieee_mode 1
		.amdhsa_fp16_overflow 0
		.amdhsa_tg_split 0
		.amdhsa_exception_fp_ieee_invalid_op 0
		.amdhsa_exception_fp_denorm_src 0
		.amdhsa_exception_fp_ieee_div_zero 0
		.amdhsa_exception_fp_ieee_overflow 0
		.amdhsa_exception_fp_ieee_underflow 0
		.amdhsa_exception_fp_ieee_inexact 0
		.amdhsa_exception_int_div_zero 0
	.end_amdhsa_kernel
	.section	.text._ZN7rocprim17ROCPRIM_400000_NS6detail17trampoline_kernelINS0_14default_configENS1_25partition_config_selectorILNS1_17partition_subalgoE2EtNS0_10empty_typeEbEEZZNS1_14partition_implILS5_2ELb0ES3_jN6thrust23THRUST_200600_302600_NS6detail15normal_iteratorINSA_7pointerItNSA_11hip_rocprim3tagENSA_11use_defaultESG_EEEEPS6_NSA_18transform_iteratorI7is_evenItENSC_INSA_10device_ptrItEEEESG_SG_EENS0_5tupleIJPtSJ_EEENSR_IJSJ_SJ_EEES6_PlJS6_EEE10hipError_tPvRmT3_T4_T5_T6_T7_T9_mT8_P12ihipStream_tbDpT10_ENKUlT_T0_E_clISt17integral_constantIbLb0EES1E_IbLb1EEEEDaS1A_S1B_EUlS1A_E_NS1_11comp_targetILNS1_3genE8ELNS1_11target_archE1030ELNS1_3gpuE2ELNS1_3repE0EEENS1_30default_config_static_selectorELNS0_4arch9wavefront6targetE1EEEvT1_,"axG",@progbits,_ZN7rocprim17ROCPRIM_400000_NS6detail17trampoline_kernelINS0_14default_configENS1_25partition_config_selectorILNS1_17partition_subalgoE2EtNS0_10empty_typeEbEEZZNS1_14partition_implILS5_2ELb0ES3_jN6thrust23THRUST_200600_302600_NS6detail15normal_iteratorINSA_7pointerItNSA_11hip_rocprim3tagENSA_11use_defaultESG_EEEEPS6_NSA_18transform_iteratorI7is_evenItENSC_INSA_10device_ptrItEEEESG_SG_EENS0_5tupleIJPtSJ_EEENSR_IJSJ_SJ_EEES6_PlJS6_EEE10hipError_tPvRmT3_T4_T5_T6_T7_T9_mT8_P12ihipStream_tbDpT10_ENKUlT_T0_E_clISt17integral_constantIbLb0EES1E_IbLb1EEEEDaS1A_S1B_EUlS1A_E_NS1_11comp_targetILNS1_3genE8ELNS1_11target_archE1030ELNS1_3gpuE2ELNS1_3repE0EEENS1_30default_config_static_selectorELNS0_4arch9wavefront6targetE1EEEvT1_,comdat
.Lfunc_end2101:
	.size	_ZN7rocprim17ROCPRIM_400000_NS6detail17trampoline_kernelINS0_14default_configENS1_25partition_config_selectorILNS1_17partition_subalgoE2EtNS0_10empty_typeEbEEZZNS1_14partition_implILS5_2ELb0ES3_jN6thrust23THRUST_200600_302600_NS6detail15normal_iteratorINSA_7pointerItNSA_11hip_rocprim3tagENSA_11use_defaultESG_EEEEPS6_NSA_18transform_iteratorI7is_evenItENSC_INSA_10device_ptrItEEEESG_SG_EENS0_5tupleIJPtSJ_EEENSR_IJSJ_SJ_EEES6_PlJS6_EEE10hipError_tPvRmT3_T4_T5_T6_T7_T9_mT8_P12ihipStream_tbDpT10_ENKUlT_T0_E_clISt17integral_constantIbLb0EES1E_IbLb1EEEEDaS1A_S1B_EUlS1A_E_NS1_11comp_targetILNS1_3genE8ELNS1_11target_archE1030ELNS1_3gpuE2ELNS1_3repE0EEENS1_30default_config_static_selectorELNS0_4arch9wavefront6targetE1EEEvT1_, .Lfunc_end2101-_ZN7rocprim17ROCPRIM_400000_NS6detail17trampoline_kernelINS0_14default_configENS1_25partition_config_selectorILNS1_17partition_subalgoE2EtNS0_10empty_typeEbEEZZNS1_14partition_implILS5_2ELb0ES3_jN6thrust23THRUST_200600_302600_NS6detail15normal_iteratorINSA_7pointerItNSA_11hip_rocprim3tagENSA_11use_defaultESG_EEEEPS6_NSA_18transform_iteratorI7is_evenItENSC_INSA_10device_ptrItEEEESG_SG_EENS0_5tupleIJPtSJ_EEENSR_IJSJ_SJ_EEES6_PlJS6_EEE10hipError_tPvRmT3_T4_T5_T6_T7_T9_mT8_P12ihipStream_tbDpT10_ENKUlT_T0_E_clISt17integral_constantIbLb0EES1E_IbLb1EEEEDaS1A_S1B_EUlS1A_E_NS1_11comp_targetILNS1_3genE8ELNS1_11target_archE1030ELNS1_3gpuE2ELNS1_3repE0EEENS1_30default_config_static_selectorELNS0_4arch9wavefront6targetE1EEEvT1_
                                        ; -- End function
	.section	.AMDGPU.csdata,"",@progbits
; Kernel info:
; codeLenInByte = 0
; NumSgprs: 6
; NumVgprs: 0
; NumAgprs: 0
; TotalNumVgprs: 0
; ScratchSize: 0
; MemoryBound: 0
; FloatMode: 240
; IeeeMode: 1
; LDSByteSize: 0 bytes/workgroup (compile time only)
; SGPRBlocks: 0
; VGPRBlocks: 0
; NumSGPRsForWavesPerEU: 6
; NumVGPRsForWavesPerEU: 1
; AccumOffset: 4
; Occupancy: 8
; WaveLimiterHint : 0
; COMPUTE_PGM_RSRC2:SCRATCH_EN: 0
; COMPUTE_PGM_RSRC2:USER_SGPR: 2
; COMPUTE_PGM_RSRC2:TRAP_HANDLER: 0
; COMPUTE_PGM_RSRC2:TGID_X_EN: 1
; COMPUTE_PGM_RSRC2:TGID_Y_EN: 0
; COMPUTE_PGM_RSRC2:TGID_Z_EN: 0
; COMPUTE_PGM_RSRC2:TIDIG_COMP_CNT: 0
; COMPUTE_PGM_RSRC3_GFX90A:ACCUM_OFFSET: 0
; COMPUTE_PGM_RSRC3_GFX90A:TG_SPLIT: 0
	.section	.text._ZN6thrust23THRUST_200600_302600_NS11hip_rocprim14__parallel_for6kernelILj256ENS1_13__swap_ranges6swap_fINS0_6detail15normal_iteratorINS0_10device_ptrItEEEENS0_16reverse_iteratorISA_EEEElLj1EEEvT0_T1_SF_,"axG",@progbits,_ZN6thrust23THRUST_200600_302600_NS11hip_rocprim14__parallel_for6kernelILj256ENS1_13__swap_ranges6swap_fINS0_6detail15normal_iteratorINS0_10device_ptrItEEEENS0_16reverse_iteratorISA_EEEElLj1EEEvT0_T1_SF_,comdat
	.protected	_ZN6thrust23THRUST_200600_302600_NS11hip_rocprim14__parallel_for6kernelILj256ENS1_13__swap_ranges6swap_fINS0_6detail15normal_iteratorINS0_10device_ptrItEEEENS0_16reverse_iteratorISA_EEEElLj1EEEvT0_T1_SF_ ; -- Begin function _ZN6thrust23THRUST_200600_302600_NS11hip_rocprim14__parallel_for6kernelILj256ENS1_13__swap_ranges6swap_fINS0_6detail15normal_iteratorINS0_10device_ptrItEEEENS0_16reverse_iteratorISA_EEEElLj1EEEvT0_T1_SF_
	.globl	_ZN6thrust23THRUST_200600_302600_NS11hip_rocprim14__parallel_for6kernelILj256ENS1_13__swap_ranges6swap_fINS0_6detail15normal_iteratorINS0_10device_ptrItEEEENS0_16reverse_iteratorISA_EEEElLj1EEEvT0_T1_SF_
	.p2align	8
	.type	_ZN6thrust23THRUST_200600_302600_NS11hip_rocprim14__parallel_for6kernelILj256ENS1_13__swap_ranges6swap_fINS0_6detail15normal_iteratorINS0_10device_ptrItEEEENS0_16reverse_iteratorISA_EEEElLj1EEEvT0_T1_SF_,@function
_ZN6thrust23THRUST_200600_302600_NS11hip_rocprim14__parallel_for6kernelILj256ENS1_13__swap_ranges6swap_fINS0_6detail15normal_iteratorINS0_10device_ptrItEEEENS0_16reverse_iteratorISA_EEEElLj1EEEvT0_T1_SF_: ; @_ZN6thrust23THRUST_200600_302600_NS11hip_rocprim14__parallel_for6kernelILj256ENS1_13__swap_ranges6swap_fINS0_6detail15normal_iteratorINS0_10device_ptrItEEEENS0_16reverse_iteratorISA_EEEElLj1EEEvT0_T1_SF_
; %bb.0:
	s_load_dwordx8 s[4:11], s[0:1], 0x0
	s_lshl_b32 s0, s2, 8
	v_mov_b64_e32 v[2:3], 0x100
	s_waitcnt lgkmcnt(0)
	s_add_u32 s0, s0, s10
	s_addc_u32 s1, 0, s11
	s_sub_u32 s2, s8, s0
	s_subb_u32 s3, s9, s1
	v_cmp_lt_i64_e32 vcc, s[2:3], v[2:3]
	s_and_b64 s[8:9], vcc, exec
	s_cselect_b32 s8, s2, 0x100
	s_cmpk_lg_i32 s8, 0x100
	s_mov_b64 s[2:3], -1
	s_cbranch_scc1 .LBB2102_3
; %bb.1:
	s_andn2_b64 vcc, exec, s[2:3]
	s_cbranch_vccz .LBB2102_6
.LBB2102_2:
	s_endpgm
.LBB2102_3:
	v_cmp_gt_u32_e32 vcc, s8, v0
	s_and_saveexec_b64 s[2:3], vcc
	s_cbranch_execz .LBB2102_5
; %bb.4:
	v_mov_b32_e32 v1, 0
	v_lshl_add_u64 v[2:3], s[0:1], 0, v[0:1]
	v_lshlrev_b64 v[2:3], 1, v[2:3]
	v_mov_b32_e32 v1, s7
	v_sub_co_u32_e32 v4, vcc, s6, v2
	s_nop 1
	v_subb_co_u32_e32 v1, vcc, v1, v3, vcc
	v_add_co_u32_e32 v4, vcc, -2, v4
	v_lshl_add_u64 v[2:3], s[4:5], 0, v[2:3]
	s_nop 0
	v_addc_co_u32_e32 v5, vcc, -1, v1, vcc
	flat_load_ushort v1, v[4:5]
	flat_load_ushort v6, v[2:3]
	s_waitcnt vmcnt(0) lgkmcnt(0)
	flat_store_short v[2:3], v1
	flat_store_short v[4:5], v6
.LBB2102_5:
	s_or_b64 exec, exec, s[2:3]
	s_cbranch_execnz .LBB2102_2
.LBB2102_6:
	v_mov_b32_e32 v1, 0
	v_lshl_add_u64 v[0:1], s[0:1], 0, v[0:1]
	v_lshlrev_b64 v[0:1], 1, v[0:1]
	v_lshl_add_u64 v[2:3], s[4:5], 0, v[0:1]
	v_mov_b32_e32 v4, s7
	v_sub_co_u32_e32 v0, vcc, s6, v0
	s_nop 1
	v_subb_co_u32_e32 v1, vcc, v4, v1, vcc
	v_add_co_u32_e32 v0, vcc, -2, v0
	s_nop 1
	v_addc_co_u32_e32 v1, vcc, -1, v1, vcc
	flat_load_ushort v4, v[0:1]
	flat_load_ushort v5, v[2:3]
	s_waitcnt vmcnt(0) lgkmcnt(0)
	flat_store_short v[2:3], v4
	flat_store_short v[0:1], v5
	s_endpgm
	.section	.rodata,"a",@progbits
	.p2align	6, 0x0
	.amdhsa_kernel _ZN6thrust23THRUST_200600_302600_NS11hip_rocprim14__parallel_for6kernelILj256ENS1_13__swap_ranges6swap_fINS0_6detail15normal_iteratorINS0_10device_ptrItEEEENS0_16reverse_iteratorISA_EEEElLj1EEEvT0_T1_SF_
		.amdhsa_group_segment_fixed_size 0
		.amdhsa_private_segment_fixed_size 0
		.amdhsa_kernarg_size 32
		.amdhsa_user_sgpr_count 2
		.amdhsa_user_sgpr_dispatch_ptr 0
		.amdhsa_user_sgpr_queue_ptr 0
		.amdhsa_user_sgpr_kernarg_segment_ptr 1
		.amdhsa_user_sgpr_dispatch_id 0
		.amdhsa_user_sgpr_kernarg_preload_length 0
		.amdhsa_user_sgpr_kernarg_preload_offset 0
		.amdhsa_user_sgpr_private_segment_size 0
		.amdhsa_uses_dynamic_stack 0
		.amdhsa_enable_private_segment 0
		.amdhsa_system_sgpr_workgroup_id_x 1
		.amdhsa_system_sgpr_workgroup_id_y 0
		.amdhsa_system_sgpr_workgroup_id_z 0
		.amdhsa_system_sgpr_workgroup_info 0
		.amdhsa_system_vgpr_workitem_id 0
		.amdhsa_next_free_vgpr 7
		.amdhsa_next_free_sgpr 12
		.amdhsa_accum_offset 8
		.amdhsa_reserve_vcc 1
		.amdhsa_float_round_mode_32 0
		.amdhsa_float_round_mode_16_64 0
		.amdhsa_float_denorm_mode_32 3
		.amdhsa_float_denorm_mode_16_64 3
		.amdhsa_dx10_clamp 1
		.amdhsa_ieee_mode 1
		.amdhsa_fp16_overflow 0
		.amdhsa_tg_split 0
		.amdhsa_exception_fp_ieee_invalid_op 0
		.amdhsa_exception_fp_denorm_src 0
		.amdhsa_exception_fp_ieee_div_zero 0
		.amdhsa_exception_fp_ieee_overflow 0
		.amdhsa_exception_fp_ieee_underflow 0
		.amdhsa_exception_fp_ieee_inexact 0
		.amdhsa_exception_int_div_zero 0
	.end_amdhsa_kernel
	.section	.text._ZN6thrust23THRUST_200600_302600_NS11hip_rocprim14__parallel_for6kernelILj256ENS1_13__swap_ranges6swap_fINS0_6detail15normal_iteratorINS0_10device_ptrItEEEENS0_16reverse_iteratorISA_EEEElLj1EEEvT0_T1_SF_,"axG",@progbits,_ZN6thrust23THRUST_200600_302600_NS11hip_rocprim14__parallel_for6kernelILj256ENS1_13__swap_ranges6swap_fINS0_6detail15normal_iteratorINS0_10device_ptrItEEEENS0_16reverse_iteratorISA_EEEElLj1EEEvT0_T1_SF_,comdat
.Lfunc_end2102:
	.size	_ZN6thrust23THRUST_200600_302600_NS11hip_rocprim14__parallel_for6kernelILj256ENS1_13__swap_ranges6swap_fINS0_6detail15normal_iteratorINS0_10device_ptrItEEEENS0_16reverse_iteratorISA_EEEElLj1EEEvT0_T1_SF_, .Lfunc_end2102-_ZN6thrust23THRUST_200600_302600_NS11hip_rocprim14__parallel_for6kernelILj256ENS1_13__swap_ranges6swap_fINS0_6detail15normal_iteratorINS0_10device_ptrItEEEENS0_16reverse_iteratorISA_EEEElLj1EEEvT0_T1_SF_
                                        ; -- End function
	.section	.AMDGPU.csdata,"",@progbits
; Kernel info:
; codeLenInByte = 288
; NumSgprs: 18
; NumVgprs: 7
; NumAgprs: 0
; TotalNumVgprs: 7
; ScratchSize: 0
; MemoryBound: 0
; FloatMode: 240
; IeeeMode: 1
; LDSByteSize: 0 bytes/workgroup (compile time only)
; SGPRBlocks: 2
; VGPRBlocks: 0
; NumSGPRsForWavesPerEU: 18
; NumVGPRsForWavesPerEU: 7
; AccumOffset: 8
; Occupancy: 8
; WaveLimiterHint : 0
; COMPUTE_PGM_RSRC2:SCRATCH_EN: 0
; COMPUTE_PGM_RSRC2:USER_SGPR: 2
; COMPUTE_PGM_RSRC2:TRAP_HANDLER: 0
; COMPUTE_PGM_RSRC2:TGID_X_EN: 1
; COMPUTE_PGM_RSRC2:TGID_Y_EN: 0
; COMPUTE_PGM_RSRC2:TGID_Z_EN: 0
; COMPUTE_PGM_RSRC2:TIDIG_COMP_CNT: 0
; COMPUTE_PGM_RSRC3_GFX90A:ACCUM_OFFSET: 1
; COMPUTE_PGM_RSRC3_GFX90A:TG_SPLIT: 0
	.section	.text._ZN6thrust23THRUST_200600_302600_NS11hip_rocprim14__parallel_for6kernelILj256ENS1_20__uninitialized_fill7functorINS0_10device_ptrIyEEyEEmLj1EEEvT0_T1_SA_,"axG",@progbits,_ZN6thrust23THRUST_200600_302600_NS11hip_rocprim14__parallel_for6kernelILj256ENS1_20__uninitialized_fill7functorINS0_10device_ptrIyEEyEEmLj1EEEvT0_T1_SA_,comdat
	.protected	_ZN6thrust23THRUST_200600_302600_NS11hip_rocprim14__parallel_for6kernelILj256ENS1_20__uninitialized_fill7functorINS0_10device_ptrIyEEyEEmLj1EEEvT0_T1_SA_ ; -- Begin function _ZN6thrust23THRUST_200600_302600_NS11hip_rocprim14__parallel_for6kernelILj256ENS1_20__uninitialized_fill7functorINS0_10device_ptrIyEEyEEmLj1EEEvT0_T1_SA_
	.globl	_ZN6thrust23THRUST_200600_302600_NS11hip_rocprim14__parallel_for6kernelILj256ENS1_20__uninitialized_fill7functorINS0_10device_ptrIyEEyEEmLj1EEEvT0_T1_SA_
	.p2align	8
	.type	_ZN6thrust23THRUST_200600_302600_NS11hip_rocprim14__parallel_for6kernelILj256ENS1_20__uninitialized_fill7functorINS0_10device_ptrIyEEyEEmLj1EEEvT0_T1_SA_,@function
_ZN6thrust23THRUST_200600_302600_NS11hip_rocprim14__parallel_for6kernelILj256ENS1_20__uninitialized_fill7functorINS0_10device_ptrIyEEyEEmLj1EEEvT0_T1_SA_: ; @_ZN6thrust23THRUST_200600_302600_NS11hip_rocprim14__parallel_for6kernelILj256ENS1_20__uninitialized_fill7functorINS0_10device_ptrIyEEyEEmLj1EEEvT0_T1_SA_
; %bb.0:
	s_load_dwordx8 s[4:11], s[0:1], 0x0
	s_lshl_b32 s0, s2, 8
	v_mov_b64_e32 v[2:3], 0x100
	s_waitcnt lgkmcnt(0)
	s_add_u32 s0, s0, s10
	s_addc_u32 s1, 0, s11
	s_sub_u32 s2, s8, s0
	s_subb_u32 s3, s9, s1
	v_cmp_lt_u64_e32 vcc, s[2:3], v[2:3]
	s_cbranch_vccz .LBB2103_2
; %bb.1:
	v_cmp_gt_u32_e32 vcc, s2, v0
	s_and_b64 s[2:3], vcc, exec
	s_cbranch_execz .LBB2103_3
	s_branch .LBB2103_4
.LBB2103_2:
	s_mov_b64 s[2:3], 0
.LBB2103_3:
	s_or_b64 s[2:3], s[2:3], exec
.LBB2103_4:
	s_and_saveexec_b64 s[8:9], s[2:3]
	s_cbranch_execnz .LBB2103_6
; %bb.5:
	s_endpgm
.LBB2103_6:
	s_lshl_b64 s[0:1], s[0:1], 3
	s_add_u32 s0, s4, s0
	v_mov_b32_e32 v1, 0
	s_addc_u32 s1, s5, s1
	v_mov_b32_e32 v2, s6
	v_mov_b32_e32 v3, s7
	v_lshl_add_u64 v[0:1], v[0:1], 3, s[0:1]
	flat_store_dwordx2 v[0:1], v[2:3]
	s_endpgm
	.section	.rodata,"a",@progbits
	.p2align	6, 0x0
	.amdhsa_kernel _ZN6thrust23THRUST_200600_302600_NS11hip_rocprim14__parallel_for6kernelILj256ENS1_20__uninitialized_fill7functorINS0_10device_ptrIyEEyEEmLj1EEEvT0_T1_SA_
		.amdhsa_group_segment_fixed_size 0
		.amdhsa_private_segment_fixed_size 0
		.amdhsa_kernarg_size 32
		.amdhsa_user_sgpr_count 2
		.amdhsa_user_sgpr_dispatch_ptr 0
		.amdhsa_user_sgpr_queue_ptr 0
		.amdhsa_user_sgpr_kernarg_segment_ptr 1
		.amdhsa_user_sgpr_dispatch_id 0
		.amdhsa_user_sgpr_kernarg_preload_length 0
		.amdhsa_user_sgpr_kernarg_preload_offset 0
		.amdhsa_user_sgpr_private_segment_size 0
		.amdhsa_uses_dynamic_stack 0
		.amdhsa_enable_private_segment 0
		.amdhsa_system_sgpr_workgroup_id_x 1
		.amdhsa_system_sgpr_workgroup_id_y 0
		.amdhsa_system_sgpr_workgroup_id_z 0
		.amdhsa_system_sgpr_workgroup_info 0
		.amdhsa_system_vgpr_workitem_id 0
		.amdhsa_next_free_vgpr 4
		.amdhsa_next_free_sgpr 12
		.amdhsa_accum_offset 4
		.amdhsa_reserve_vcc 1
		.amdhsa_float_round_mode_32 0
		.amdhsa_float_round_mode_16_64 0
		.amdhsa_float_denorm_mode_32 3
		.amdhsa_float_denorm_mode_16_64 3
		.amdhsa_dx10_clamp 1
		.amdhsa_ieee_mode 1
		.amdhsa_fp16_overflow 0
		.amdhsa_tg_split 0
		.amdhsa_exception_fp_ieee_invalid_op 0
		.amdhsa_exception_fp_denorm_src 0
		.amdhsa_exception_fp_ieee_div_zero 0
		.amdhsa_exception_fp_ieee_overflow 0
		.amdhsa_exception_fp_ieee_underflow 0
		.amdhsa_exception_fp_ieee_inexact 0
		.amdhsa_exception_int_div_zero 0
	.end_amdhsa_kernel
	.section	.text._ZN6thrust23THRUST_200600_302600_NS11hip_rocprim14__parallel_for6kernelILj256ENS1_20__uninitialized_fill7functorINS0_10device_ptrIyEEyEEmLj1EEEvT0_T1_SA_,"axG",@progbits,_ZN6thrust23THRUST_200600_302600_NS11hip_rocprim14__parallel_for6kernelILj256ENS1_20__uninitialized_fill7functorINS0_10device_ptrIyEEyEEmLj1EEEvT0_T1_SA_,comdat
.Lfunc_end2103:
	.size	_ZN6thrust23THRUST_200600_302600_NS11hip_rocprim14__parallel_for6kernelILj256ENS1_20__uninitialized_fill7functorINS0_10device_ptrIyEEyEEmLj1EEEvT0_T1_SA_, .Lfunc_end2103-_ZN6thrust23THRUST_200600_302600_NS11hip_rocprim14__parallel_for6kernelILj256ENS1_20__uninitialized_fill7functorINS0_10device_ptrIyEEyEEmLj1EEEvT0_T1_SA_
                                        ; -- End function
	.section	.AMDGPU.csdata,"",@progbits
; Kernel info:
; codeLenInByte = 128
; NumSgprs: 18
; NumVgprs: 4
; NumAgprs: 0
; TotalNumVgprs: 4
; ScratchSize: 0
; MemoryBound: 0
; FloatMode: 240
; IeeeMode: 1
; LDSByteSize: 0 bytes/workgroup (compile time only)
; SGPRBlocks: 2
; VGPRBlocks: 0
; NumSGPRsForWavesPerEU: 18
; NumVGPRsForWavesPerEU: 4
; AccumOffset: 4
; Occupancy: 8
; WaveLimiterHint : 0
; COMPUTE_PGM_RSRC2:SCRATCH_EN: 0
; COMPUTE_PGM_RSRC2:USER_SGPR: 2
; COMPUTE_PGM_RSRC2:TRAP_HANDLER: 0
; COMPUTE_PGM_RSRC2:TGID_X_EN: 1
; COMPUTE_PGM_RSRC2:TGID_Y_EN: 0
; COMPUTE_PGM_RSRC2:TGID_Z_EN: 0
; COMPUTE_PGM_RSRC2:TIDIG_COMP_CNT: 0
; COMPUTE_PGM_RSRC3_GFX90A:ACCUM_OFFSET: 0
; COMPUTE_PGM_RSRC3_GFX90A:TG_SPLIT: 0
	.section	.text._ZN7rocprim17ROCPRIM_400000_NS6detail17trampoline_kernelINS0_14default_configENS1_25partition_config_selectorILNS1_17partition_subalgoE0EyNS0_10empty_typeEbEEZZNS1_14partition_implILS5_0ELb0ES3_jN6thrust23THRUST_200600_302600_NS6detail15normal_iteratorINSA_10device_ptrIyEEEEPS6_SG_NS0_5tupleIJSF_SF_EEENSH_IJSG_SG_EEES6_PlJ7is_evenIyEEEE10hipError_tPvRmT3_T4_T5_T6_T7_T9_mT8_P12ihipStream_tbDpT10_ENKUlT_T0_E_clISt17integral_constantIbLb0EES16_EEDaS11_S12_EUlS11_E_NS1_11comp_targetILNS1_3genE0ELNS1_11target_archE4294967295ELNS1_3gpuE0ELNS1_3repE0EEENS1_30default_config_static_selectorELNS0_4arch9wavefront6targetE1EEEvT1_,"axG",@progbits,_ZN7rocprim17ROCPRIM_400000_NS6detail17trampoline_kernelINS0_14default_configENS1_25partition_config_selectorILNS1_17partition_subalgoE0EyNS0_10empty_typeEbEEZZNS1_14partition_implILS5_0ELb0ES3_jN6thrust23THRUST_200600_302600_NS6detail15normal_iteratorINSA_10device_ptrIyEEEEPS6_SG_NS0_5tupleIJSF_SF_EEENSH_IJSG_SG_EEES6_PlJ7is_evenIyEEEE10hipError_tPvRmT3_T4_T5_T6_T7_T9_mT8_P12ihipStream_tbDpT10_ENKUlT_T0_E_clISt17integral_constantIbLb0EES16_EEDaS11_S12_EUlS11_E_NS1_11comp_targetILNS1_3genE0ELNS1_11target_archE4294967295ELNS1_3gpuE0ELNS1_3repE0EEENS1_30default_config_static_selectorELNS0_4arch9wavefront6targetE1EEEvT1_,comdat
	.protected	_ZN7rocprim17ROCPRIM_400000_NS6detail17trampoline_kernelINS0_14default_configENS1_25partition_config_selectorILNS1_17partition_subalgoE0EyNS0_10empty_typeEbEEZZNS1_14partition_implILS5_0ELb0ES3_jN6thrust23THRUST_200600_302600_NS6detail15normal_iteratorINSA_10device_ptrIyEEEEPS6_SG_NS0_5tupleIJSF_SF_EEENSH_IJSG_SG_EEES6_PlJ7is_evenIyEEEE10hipError_tPvRmT3_T4_T5_T6_T7_T9_mT8_P12ihipStream_tbDpT10_ENKUlT_T0_E_clISt17integral_constantIbLb0EES16_EEDaS11_S12_EUlS11_E_NS1_11comp_targetILNS1_3genE0ELNS1_11target_archE4294967295ELNS1_3gpuE0ELNS1_3repE0EEENS1_30default_config_static_selectorELNS0_4arch9wavefront6targetE1EEEvT1_ ; -- Begin function _ZN7rocprim17ROCPRIM_400000_NS6detail17trampoline_kernelINS0_14default_configENS1_25partition_config_selectorILNS1_17partition_subalgoE0EyNS0_10empty_typeEbEEZZNS1_14partition_implILS5_0ELb0ES3_jN6thrust23THRUST_200600_302600_NS6detail15normal_iteratorINSA_10device_ptrIyEEEEPS6_SG_NS0_5tupleIJSF_SF_EEENSH_IJSG_SG_EEES6_PlJ7is_evenIyEEEE10hipError_tPvRmT3_T4_T5_T6_T7_T9_mT8_P12ihipStream_tbDpT10_ENKUlT_T0_E_clISt17integral_constantIbLb0EES16_EEDaS11_S12_EUlS11_E_NS1_11comp_targetILNS1_3genE0ELNS1_11target_archE4294967295ELNS1_3gpuE0ELNS1_3repE0EEENS1_30default_config_static_selectorELNS0_4arch9wavefront6targetE1EEEvT1_
	.globl	_ZN7rocprim17ROCPRIM_400000_NS6detail17trampoline_kernelINS0_14default_configENS1_25partition_config_selectorILNS1_17partition_subalgoE0EyNS0_10empty_typeEbEEZZNS1_14partition_implILS5_0ELb0ES3_jN6thrust23THRUST_200600_302600_NS6detail15normal_iteratorINSA_10device_ptrIyEEEEPS6_SG_NS0_5tupleIJSF_SF_EEENSH_IJSG_SG_EEES6_PlJ7is_evenIyEEEE10hipError_tPvRmT3_T4_T5_T6_T7_T9_mT8_P12ihipStream_tbDpT10_ENKUlT_T0_E_clISt17integral_constantIbLb0EES16_EEDaS11_S12_EUlS11_E_NS1_11comp_targetILNS1_3genE0ELNS1_11target_archE4294967295ELNS1_3gpuE0ELNS1_3repE0EEENS1_30default_config_static_selectorELNS0_4arch9wavefront6targetE1EEEvT1_
	.p2align	8
	.type	_ZN7rocprim17ROCPRIM_400000_NS6detail17trampoline_kernelINS0_14default_configENS1_25partition_config_selectorILNS1_17partition_subalgoE0EyNS0_10empty_typeEbEEZZNS1_14partition_implILS5_0ELb0ES3_jN6thrust23THRUST_200600_302600_NS6detail15normal_iteratorINSA_10device_ptrIyEEEEPS6_SG_NS0_5tupleIJSF_SF_EEENSH_IJSG_SG_EEES6_PlJ7is_evenIyEEEE10hipError_tPvRmT3_T4_T5_T6_T7_T9_mT8_P12ihipStream_tbDpT10_ENKUlT_T0_E_clISt17integral_constantIbLb0EES16_EEDaS11_S12_EUlS11_E_NS1_11comp_targetILNS1_3genE0ELNS1_11target_archE4294967295ELNS1_3gpuE0ELNS1_3repE0EEENS1_30default_config_static_selectorELNS0_4arch9wavefront6targetE1EEEvT1_,@function
_ZN7rocprim17ROCPRIM_400000_NS6detail17trampoline_kernelINS0_14default_configENS1_25partition_config_selectorILNS1_17partition_subalgoE0EyNS0_10empty_typeEbEEZZNS1_14partition_implILS5_0ELb0ES3_jN6thrust23THRUST_200600_302600_NS6detail15normal_iteratorINSA_10device_ptrIyEEEEPS6_SG_NS0_5tupleIJSF_SF_EEENSH_IJSG_SG_EEES6_PlJ7is_evenIyEEEE10hipError_tPvRmT3_T4_T5_T6_T7_T9_mT8_P12ihipStream_tbDpT10_ENKUlT_T0_E_clISt17integral_constantIbLb0EES16_EEDaS11_S12_EUlS11_E_NS1_11comp_targetILNS1_3genE0ELNS1_11target_archE4294967295ELNS1_3gpuE0ELNS1_3repE0EEENS1_30default_config_static_selectorELNS0_4arch9wavefront6targetE1EEEvT1_: ; @_ZN7rocprim17ROCPRIM_400000_NS6detail17trampoline_kernelINS0_14default_configENS1_25partition_config_selectorILNS1_17partition_subalgoE0EyNS0_10empty_typeEbEEZZNS1_14partition_implILS5_0ELb0ES3_jN6thrust23THRUST_200600_302600_NS6detail15normal_iteratorINSA_10device_ptrIyEEEEPS6_SG_NS0_5tupleIJSF_SF_EEENSH_IJSG_SG_EEES6_PlJ7is_evenIyEEEE10hipError_tPvRmT3_T4_T5_T6_T7_T9_mT8_P12ihipStream_tbDpT10_ENKUlT_T0_E_clISt17integral_constantIbLb0EES16_EEDaS11_S12_EUlS11_E_NS1_11comp_targetILNS1_3genE0ELNS1_11target_archE4294967295ELNS1_3gpuE0ELNS1_3repE0EEENS1_30default_config_static_selectorELNS0_4arch9wavefront6targetE1EEEvT1_
; %bb.0:
	.section	.rodata,"a",@progbits
	.p2align	6, 0x0
	.amdhsa_kernel _ZN7rocprim17ROCPRIM_400000_NS6detail17trampoline_kernelINS0_14default_configENS1_25partition_config_selectorILNS1_17partition_subalgoE0EyNS0_10empty_typeEbEEZZNS1_14partition_implILS5_0ELb0ES3_jN6thrust23THRUST_200600_302600_NS6detail15normal_iteratorINSA_10device_ptrIyEEEEPS6_SG_NS0_5tupleIJSF_SF_EEENSH_IJSG_SG_EEES6_PlJ7is_evenIyEEEE10hipError_tPvRmT3_T4_T5_T6_T7_T9_mT8_P12ihipStream_tbDpT10_ENKUlT_T0_E_clISt17integral_constantIbLb0EES16_EEDaS11_S12_EUlS11_E_NS1_11comp_targetILNS1_3genE0ELNS1_11target_archE4294967295ELNS1_3gpuE0ELNS1_3repE0EEENS1_30default_config_static_selectorELNS0_4arch9wavefront6targetE1EEEvT1_
		.amdhsa_group_segment_fixed_size 0
		.amdhsa_private_segment_fixed_size 0
		.amdhsa_kernarg_size 120
		.amdhsa_user_sgpr_count 2
		.amdhsa_user_sgpr_dispatch_ptr 0
		.amdhsa_user_sgpr_queue_ptr 0
		.amdhsa_user_sgpr_kernarg_segment_ptr 1
		.amdhsa_user_sgpr_dispatch_id 0
		.amdhsa_user_sgpr_kernarg_preload_length 0
		.amdhsa_user_sgpr_kernarg_preload_offset 0
		.amdhsa_user_sgpr_private_segment_size 0
		.amdhsa_uses_dynamic_stack 0
		.amdhsa_enable_private_segment 0
		.amdhsa_system_sgpr_workgroup_id_x 1
		.amdhsa_system_sgpr_workgroup_id_y 0
		.amdhsa_system_sgpr_workgroup_id_z 0
		.amdhsa_system_sgpr_workgroup_info 0
		.amdhsa_system_vgpr_workitem_id 0
		.amdhsa_next_free_vgpr 1
		.amdhsa_next_free_sgpr 0
		.amdhsa_accum_offset 4
		.amdhsa_reserve_vcc 0
		.amdhsa_float_round_mode_32 0
		.amdhsa_float_round_mode_16_64 0
		.amdhsa_float_denorm_mode_32 3
		.amdhsa_float_denorm_mode_16_64 3
		.amdhsa_dx10_clamp 1
		.amdhsa_ieee_mode 1
		.amdhsa_fp16_overflow 0
		.amdhsa_tg_split 0
		.amdhsa_exception_fp_ieee_invalid_op 0
		.amdhsa_exception_fp_denorm_src 0
		.amdhsa_exception_fp_ieee_div_zero 0
		.amdhsa_exception_fp_ieee_overflow 0
		.amdhsa_exception_fp_ieee_underflow 0
		.amdhsa_exception_fp_ieee_inexact 0
		.amdhsa_exception_int_div_zero 0
	.end_amdhsa_kernel
	.section	.text._ZN7rocprim17ROCPRIM_400000_NS6detail17trampoline_kernelINS0_14default_configENS1_25partition_config_selectorILNS1_17partition_subalgoE0EyNS0_10empty_typeEbEEZZNS1_14partition_implILS5_0ELb0ES3_jN6thrust23THRUST_200600_302600_NS6detail15normal_iteratorINSA_10device_ptrIyEEEEPS6_SG_NS0_5tupleIJSF_SF_EEENSH_IJSG_SG_EEES6_PlJ7is_evenIyEEEE10hipError_tPvRmT3_T4_T5_T6_T7_T9_mT8_P12ihipStream_tbDpT10_ENKUlT_T0_E_clISt17integral_constantIbLb0EES16_EEDaS11_S12_EUlS11_E_NS1_11comp_targetILNS1_3genE0ELNS1_11target_archE4294967295ELNS1_3gpuE0ELNS1_3repE0EEENS1_30default_config_static_selectorELNS0_4arch9wavefront6targetE1EEEvT1_,"axG",@progbits,_ZN7rocprim17ROCPRIM_400000_NS6detail17trampoline_kernelINS0_14default_configENS1_25partition_config_selectorILNS1_17partition_subalgoE0EyNS0_10empty_typeEbEEZZNS1_14partition_implILS5_0ELb0ES3_jN6thrust23THRUST_200600_302600_NS6detail15normal_iteratorINSA_10device_ptrIyEEEEPS6_SG_NS0_5tupleIJSF_SF_EEENSH_IJSG_SG_EEES6_PlJ7is_evenIyEEEE10hipError_tPvRmT3_T4_T5_T6_T7_T9_mT8_P12ihipStream_tbDpT10_ENKUlT_T0_E_clISt17integral_constantIbLb0EES16_EEDaS11_S12_EUlS11_E_NS1_11comp_targetILNS1_3genE0ELNS1_11target_archE4294967295ELNS1_3gpuE0ELNS1_3repE0EEENS1_30default_config_static_selectorELNS0_4arch9wavefront6targetE1EEEvT1_,comdat
.Lfunc_end2104:
	.size	_ZN7rocprim17ROCPRIM_400000_NS6detail17trampoline_kernelINS0_14default_configENS1_25partition_config_selectorILNS1_17partition_subalgoE0EyNS0_10empty_typeEbEEZZNS1_14partition_implILS5_0ELb0ES3_jN6thrust23THRUST_200600_302600_NS6detail15normal_iteratorINSA_10device_ptrIyEEEEPS6_SG_NS0_5tupleIJSF_SF_EEENSH_IJSG_SG_EEES6_PlJ7is_evenIyEEEE10hipError_tPvRmT3_T4_T5_T6_T7_T9_mT8_P12ihipStream_tbDpT10_ENKUlT_T0_E_clISt17integral_constantIbLb0EES16_EEDaS11_S12_EUlS11_E_NS1_11comp_targetILNS1_3genE0ELNS1_11target_archE4294967295ELNS1_3gpuE0ELNS1_3repE0EEENS1_30default_config_static_selectorELNS0_4arch9wavefront6targetE1EEEvT1_, .Lfunc_end2104-_ZN7rocprim17ROCPRIM_400000_NS6detail17trampoline_kernelINS0_14default_configENS1_25partition_config_selectorILNS1_17partition_subalgoE0EyNS0_10empty_typeEbEEZZNS1_14partition_implILS5_0ELb0ES3_jN6thrust23THRUST_200600_302600_NS6detail15normal_iteratorINSA_10device_ptrIyEEEEPS6_SG_NS0_5tupleIJSF_SF_EEENSH_IJSG_SG_EEES6_PlJ7is_evenIyEEEE10hipError_tPvRmT3_T4_T5_T6_T7_T9_mT8_P12ihipStream_tbDpT10_ENKUlT_T0_E_clISt17integral_constantIbLb0EES16_EEDaS11_S12_EUlS11_E_NS1_11comp_targetILNS1_3genE0ELNS1_11target_archE4294967295ELNS1_3gpuE0ELNS1_3repE0EEENS1_30default_config_static_selectorELNS0_4arch9wavefront6targetE1EEEvT1_
                                        ; -- End function
	.section	.AMDGPU.csdata,"",@progbits
; Kernel info:
; codeLenInByte = 0
; NumSgprs: 6
; NumVgprs: 0
; NumAgprs: 0
; TotalNumVgprs: 0
; ScratchSize: 0
; MemoryBound: 0
; FloatMode: 240
; IeeeMode: 1
; LDSByteSize: 0 bytes/workgroup (compile time only)
; SGPRBlocks: 0
; VGPRBlocks: 0
; NumSGPRsForWavesPerEU: 6
; NumVGPRsForWavesPerEU: 1
; AccumOffset: 4
; Occupancy: 8
; WaveLimiterHint : 0
; COMPUTE_PGM_RSRC2:SCRATCH_EN: 0
; COMPUTE_PGM_RSRC2:USER_SGPR: 2
; COMPUTE_PGM_RSRC2:TRAP_HANDLER: 0
; COMPUTE_PGM_RSRC2:TGID_X_EN: 1
; COMPUTE_PGM_RSRC2:TGID_Y_EN: 0
; COMPUTE_PGM_RSRC2:TGID_Z_EN: 0
; COMPUTE_PGM_RSRC2:TIDIG_COMP_CNT: 0
; COMPUTE_PGM_RSRC3_GFX90A:ACCUM_OFFSET: 0
; COMPUTE_PGM_RSRC3_GFX90A:TG_SPLIT: 0
	.section	.text._ZN7rocprim17ROCPRIM_400000_NS6detail17trampoline_kernelINS0_14default_configENS1_25partition_config_selectorILNS1_17partition_subalgoE0EyNS0_10empty_typeEbEEZZNS1_14partition_implILS5_0ELb0ES3_jN6thrust23THRUST_200600_302600_NS6detail15normal_iteratorINSA_10device_ptrIyEEEEPS6_SG_NS0_5tupleIJSF_SF_EEENSH_IJSG_SG_EEES6_PlJ7is_evenIyEEEE10hipError_tPvRmT3_T4_T5_T6_T7_T9_mT8_P12ihipStream_tbDpT10_ENKUlT_T0_E_clISt17integral_constantIbLb0EES16_EEDaS11_S12_EUlS11_E_NS1_11comp_targetILNS1_3genE5ELNS1_11target_archE942ELNS1_3gpuE9ELNS1_3repE0EEENS1_30default_config_static_selectorELNS0_4arch9wavefront6targetE1EEEvT1_,"axG",@progbits,_ZN7rocprim17ROCPRIM_400000_NS6detail17trampoline_kernelINS0_14default_configENS1_25partition_config_selectorILNS1_17partition_subalgoE0EyNS0_10empty_typeEbEEZZNS1_14partition_implILS5_0ELb0ES3_jN6thrust23THRUST_200600_302600_NS6detail15normal_iteratorINSA_10device_ptrIyEEEEPS6_SG_NS0_5tupleIJSF_SF_EEENSH_IJSG_SG_EEES6_PlJ7is_evenIyEEEE10hipError_tPvRmT3_T4_T5_T6_T7_T9_mT8_P12ihipStream_tbDpT10_ENKUlT_T0_E_clISt17integral_constantIbLb0EES16_EEDaS11_S12_EUlS11_E_NS1_11comp_targetILNS1_3genE5ELNS1_11target_archE942ELNS1_3gpuE9ELNS1_3repE0EEENS1_30default_config_static_selectorELNS0_4arch9wavefront6targetE1EEEvT1_,comdat
	.protected	_ZN7rocprim17ROCPRIM_400000_NS6detail17trampoline_kernelINS0_14default_configENS1_25partition_config_selectorILNS1_17partition_subalgoE0EyNS0_10empty_typeEbEEZZNS1_14partition_implILS5_0ELb0ES3_jN6thrust23THRUST_200600_302600_NS6detail15normal_iteratorINSA_10device_ptrIyEEEEPS6_SG_NS0_5tupleIJSF_SF_EEENSH_IJSG_SG_EEES6_PlJ7is_evenIyEEEE10hipError_tPvRmT3_T4_T5_T6_T7_T9_mT8_P12ihipStream_tbDpT10_ENKUlT_T0_E_clISt17integral_constantIbLb0EES16_EEDaS11_S12_EUlS11_E_NS1_11comp_targetILNS1_3genE5ELNS1_11target_archE942ELNS1_3gpuE9ELNS1_3repE0EEENS1_30default_config_static_selectorELNS0_4arch9wavefront6targetE1EEEvT1_ ; -- Begin function _ZN7rocprim17ROCPRIM_400000_NS6detail17trampoline_kernelINS0_14default_configENS1_25partition_config_selectorILNS1_17partition_subalgoE0EyNS0_10empty_typeEbEEZZNS1_14partition_implILS5_0ELb0ES3_jN6thrust23THRUST_200600_302600_NS6detail15normal_iteratorINSA_10device_ptrIyEEEEPS6_SG_NS0_5tupleIJSF_SF_EEENSH_IJSG_SG_EEES6_PlJ7is_evenIyEEEE10hipError_tPvRmT3_T4_T5_T6_T7_T9_mT8_P12ihipStream_tbDpT10_ENKUlT_T0_E_clISt17integral_constantIbLb0EES16_EEDaS11_S12_EUlS11_E_NS1_11comp_targetILNS1_3genE5ELNS1_11target_archE942ELNS1_3gpuE9ELNS1_3repE0EEENS1_30default_config_static_selectorELNS0_4arch9wavefront6targetE1EEEvT1_
	.globl	_ZN7rocprim17ROCPRIM_400000_NS6detail17trampoline_kernelINS0_14default_configENS1_25partition_config_selectorILNS1_17partition_subalgoE0EyNS0_10empty_typeEbEEZZNS1_14partition_implILS5_0ELb0ES3_jN6thrust23THRUST_200600_302600_NS6detail15normal_iteratorINSA_10device_ptrIyEEEEPS6_SG_NS0_5tupleIJSF_SF_EEENSH_IJSG_SG_EEES6_PlJ7is_evenIyEEEE10hipError_tPvRmT3_T4_T5_T6_T7_T9_mT8_P12ihipStream_tbDpT10_ENKUlT_T0_E_clISt17integral_constantIbLb0EES16_EEDaS11_S12_EUlS11_E_NS1_11comp_targetILNS1_3genE5ELNS1_11target_archE942ELNS1_3gpuE9ELNS1_3repE0EEENS1_30default_config_static_selectorELNS0_4arch9wavefront6targetE1EEEvT1_
	.p2align	8
	.type	_ZN7rocprim17ROCPRIM_400000_NS6detail17trampoline_kernelINS0_14default_configENS1_25partition_config_selectorILNS1_17partition_subalgoE0EyNS0_10empty_typeEbEEZZNS1_14partition_implILS5_0ELb0ES3_jN6thrust23THRUST_200600_302600_NS6detail15normal_iteratorINSA_10device_ptrIyEEEEPS6_SG_NS0_5tupleIJSF_SF_EEENSH_IJSG_SG_EEES6_PlJ7is_evenIyEEEE10hipError_tPvRmT3_T4_T5_T6_T7_T9_mT8_P12ihipStream_tbDpT10_ENKUlT_T0_E_clISt17integral_constantIbLb0EES16_EEDaS11_S12_EUlS11_E_NS1_11comp_targetILNS1_3genE5ELNS1_11target_archE942ELNS1_3gpuE9ELNS1_3repE0EEENS1_30default_config_static_selectorELNS0_4arch9wavefront6targetE1EEEvT1_,@function
_ZN7rocprim17ROCPRIM_400000_NS6detail17trampoline_kernelINS0_14default_configENS1_25partition_config_selectorILNS1_17partition_subalgoE0EyNS0_10empty_typeEbEEZZNS1_14partition_implILS5_0ELb0ES3_jN6thrust23THRUST_200600_302600_NS6detail15normal_iteratorINSA_10device_ptrIyEEEEPS6_SG_NS0_5tupleIJSF_SF_EEENSH_IJSG_SG_EEES6_PlJ7is_evenIyEEEE10hipError_tPvRmT3_T4_T5_T6_T7_T9_mT8_P12ihipStream_tbDpT10_ENKUlT_T0_E_clISt17integral_constantIbLb0EES16_EEDaS11_S12_EUlS11_E_NS1_11comp_targetILNS1_3genE5ELNS1_11target_archE942ELNS1_3gpuE9ELNS1_3repE0EEENS1_30default_config_static_selectorELNS0_4arch9wavefront6targetE1EEEvT1_: ; @_ZN7rocprim17ROCPRIM_400000_NS6detail17trampoline_kernelINS0_14default_configENS1_25partition_config_selectorILNS1_17partition_subalgoE0EyNS0_10empty_typeEbEEZZNS1_14partition_implILS5_0ELb0ES3_jN6thrust23THRUST_200600_302600_NS6detail15normal_iteratorINSA_10device_ptrIyEEEEPS6_SG_NS0_5tupleIJSF_SF_EEENSH_IJSG_SG_EEES6_PlJ7is_evenIyEEEE10hipError_tPvRmT3_T4_T5_T6_T7_T9_mT8_P12ihipStream_tbDpT10_ENKUlT_T0_E_clISt17integral_constantIbLb0EES16_EEDaS11_S12_EUlS11_E_NS1_11comp_targetILNS1_3genE5ELNS1_11target_archE942ELNS1_3gpuE9ELNS1_3repE0EEENS1_30default_config_static_selectorELNS0_4arch9wavefront6targetE1EEEvT1_
; %bb.0:
	s_load_dwordx2 s[4:5], s[0:1], 0x58
	s_load_dwordx4 s[20:23], s[0:1], 0x8
	s_load_dwordx4 s[24:27], s[0:1], 0x48
	s_load_dword s3, s[0:1], 0x70
	s_mul_i32 s8, s2, 0xe00
	s_waitcnt lgkmcnt(0)
	v_mov_b32_e32 v3, s5
	s_lshl_b64 s[6:7], s[22:23], 3
	s_add_u32 s10, s20, s6
	s_addc_u32 s11, s21, s7
	s_add_i32 s6, s3, -1
	s_mulk_i32 s3, 0xe00
	s_add_i32 s5, s3, s22
	s_sub_i32 s33, s4, s5
	s_addk_i32 s33, 0xe00
	v_mov_b32_e32 v2, s4
	s_add_u32 s4, s22, s3
	s_addc_u32 s5, s23, 0
	s_cmp_eq_u32 s2, s6
	s_load_dwordx2 s[28:29], s[26:27], 0x0
	s_cselect_b64 s[26:27], -1, 0
	s_cmp_lg_u32 s2, s6
	s_mov_b32 s9, 0
	v_cmp_lt_u64_e32 vcc, s[4:5], v[2:3]
	s_cselect_b64 s[4:5], -1, 0
	s_or_b64 s[6:7], s[4:5], vcc
	s_lshl_b64 s[30:31], s[8:9], 3
	s_add_u32 s8, s10, s30
	s_addc_u32 s9, s11, s31
	s_mov_b64 s[4:5], -1
	s_and_b64 vcc, exec, s[6:7]
	v_lshlrev_b32_e32 v18, 3, v0
	s_cbranch_vccz .LBB2105_2
; %bb.1:
	v_mov_b32_e32 v19, 0
	v_lshl_add_u64 v[2:3], s[8:9], 0, v[18:19]
	v_add_co_u32_e32 v4, vcc, 0x1000, v2
	s_mov_b64 s[4:5], 0
	s_nop 0
	v_addc_co_u32_e32 v5, vcc, 0, v3, vcc
	v_add_co_u32_e32 v6, vcc, 0x2000, v2
	s_nop 1
	v_addc_co_u32_e32 v7, vcc, 0, v3, vcc
	v_add_co_u32_e32 v8, vcc, 0x3000, v2
	s_nop 1
	v_addc_co_u32_e32 v9, vcc, 0, v3, vcc
	flat_load_dwordx2 v[10:11], v[2:3]
	flat_load_dwordx2 v[12:13], v[4:5]
	;; [unrolled: 1-line block ×4, first 2 shown]
	v_add_co_u32_e32 v4, vcc, 0x4000, v2
	s_nop 1
	v_addc_co_u32_e32 v5, vcc, 0, v3, vcc
	v_add_co_u32_e32 v6, vcc, 0x5000, v2
	s_nop 1
	v_addc_co_u32_e32 v7, vcc, 0, v3, vcc
	;; [unrolled: 3-line block ×3, first 2 shown]
	flat_load_dwordx2 v[8:9], v[4:5]
	flat_load_dwordx2 v[20:21], v[6:7]
	;; [unrolled: 1-line block ×3, first 2 shown]
	s_waitcnt vmcnt(0) lgkmcnt(0)
	ds_write2st64_b64 v18, v[10:11], v[12:13] offset1:8
	ds_write2st64_b64 v18, v[14:15], v[16:17] offset0:16 offset1:24
	ds_write2st64_b64 v18, v[8:9], v[20:21] offset0:32 offset1:40
	ds_write_b64 v18, v[22:23] offset:24576
	s_waitcnt lgkmcnt(0)
	s_barrier
.LBB2105_2:
	s_andn2_b64 vcc, exec, s[4:5]
	v_cmp_gt_u32_e64 s[4:5], s33, v0
	s_cbranch_vccnz .LBB2105_18
; %bb.3:
                                        ; implicit-def: $vgpr2_vgpr3_vgpr4_vgpr5_vgpr6_vgpr7_vgpr8_vgpr9_vgpr10_vgpr11_vgpr12_vgpr13_vgpr14_vgpr15_vgpr16_vgpr17
	s_and_saveexec_b64 s[10:11], s[4:5]
	s_cbranch_execz .LBB2105_5
; %bb.4:
	v_mov_b32_e32 v19, 0
	v_lshl_add_u64 v[2:3], s[8:9], 0, v[18:19]
	flat_load_dwordx2 v[2:3], v[2:3]
.LBB2105_5:
	s_or_b64 exec, exec, s[10:11]
	v_or_b32_e32 v1, 0x200, v0
	v_cmp_gt_u32_e32 vcc, s33, v1
	s_and_saveexec_b64 s[4:5], vcc
	s_cbranch_execz .LBB2105_7
; %bb.6:
	v_lshlrev_b32_e32 v4, 3, v1
	v_mov_b32_e32 v5, 0
	v_lshl_add_u64 v[4:5], s[8:9], 0, v[4:5]
	flat_load_dwordx2 v[4:5], v[4:5]
.LBB2105_7:
	s_or_b64 exec, exec, s[4:5]
	v_or_b32_e32 v1, 0x400, v0
	v_cmp_gt_u32_e32 vcc, s33, v1
	s_and_saveexec_b64 s[4:5], vcc
	s_cbranch_execz .LBB2105_9
; %bb.8:
	v_lshlrev_b32_e32 v6, 3, v1
	v_mov_b32_e32 v7, 0
	v_lshl_add_u64 v[6:7], s[8:9], 0, v[6:7]
	flat_load_dwordx2 v[6:7], v[6:7]
.LBB2105_9:
	;; [unrolled: 11-line block ×6, first 2 shown]
	s_or_b64 exec, exec, s[4:5]
	s_waitcnt vmcnt(0) lgkmcnt(0)
	ds_write2st64_b64 v18, v[2:3], v[4:5] offset1:8
	ds_write2st64_b64 v18, v[6:7], v[8:9] offset0:16 offset1:24
	ds_write2st64_b64 v18, v[10:11], v[12:13] offset0:32 offset1:40
	ds_write_b64 v18, v[14:15] offset:24576
	s_waitcnt lgkmcnt(0)
	s_barrier
.LBB2105_18:
	v_mul_u32_u24_e32 v1, 7, v0
	v_lshlrev_b32_e32 v32, 3, v1
	s_waitcnt lgkmcnt(0)
	ds_read2_b64 v[10:13], v32 offset1:1
	ds_read2_b64 v[6:9], v32 offset0:2 offset1:3
	ds_read2_b64 v[2:5], v32 offset0:4 offset1:5
	ds_read_b64 v[14:15], v32 offset:48
	v_cndmask_b32_e64 v16, 0, 1, s[6:7]
	v_cmp_ne_u32_e64 s[20:21], 1, v16
	s_andn2_b64 vcc, exec, s[6:7]
	s_waitcnt lgkmcnt(3)
	v_xor_b32_e32 v24, -1, v10
	v_xor_b32_e32 v23, -1, v12
	s_waitcnt lgkmcnt(2)
	v_xor_b32_e32 v22, -1, v6
	v_xor_b32_e32 v21, -1, v8
	;; [unrolled: 3-line block ×3, first 2 shown]
	s_waitcnt lgkmcnt(0)
	v_xor_b32_e32 v16, -1, v14
	s_barrier
	s_cbranch_vccnz .LBB2105_20
; %bb.19:
	v_mov_b32_e32 v19, 1
	v_and_b32_e32 v25, 1, v24
	v_and_b32_sdwa v26, v23, v19 dst_sel:BYTE_1 dst_unused:UNUSED_PAD src0_sel:DWORD src1_sel:DWORD
	v_and_b32_e32 v27, 1, v22
	v_and_b32_sdwa v30, v21, v19 dst_sel:BYTE_1 dst_unused:UNUSED_PAD src0_sel:DWORD src1_sel:DWORD
	v_or_b32_e32 v25, v25, v26
	v_or_b32_sdwa v26, v27, v30 dst_sel:WORD_1 dst_unused:UNUSED_PAD src0_sel:DWORD src1_sel:DWORD
	v_and_b32_e32 v29, 1, v20
	v_and_b32_e32 v28, 1, v17
	;; [unrolled: 1-line block ×3, first 2 shown]
	v_or_b32_sdwa v30, v25, v26 dst_sel:DWORD dst_unused:UNUSED_PAD src0_sel:WORD_0 src1_sel:DWORD
	s_load_dwordx2 s[34:35], s[0:1], 0x68
	s_cbranch_execz .LBB2105_21
	s_branch .LBB2105_22
.LBB2105_20:
                                        ; implicit-def: $vgpr19
                                        ; implicit-def: $vgpr28
                                        ; implicit-def: $vgpr29
                                        ; implicit-def: $vgpr30
	s_load_dwordx2 s[34:35], s[0:1], 0x68
.LBB2105_21:
	v_add_u32_e32 v19, 1, v1
	v_cmp_gt_u32_e32 vcc, s33, v1
	v_add_u32_e32 v25, 2, v1
	v_add_u32_e32 v26, 3, v1
	v_cndmask_b32_e64 v29, 0, 1, vcc
	v_cmp_gt_u32_e32 vcc, s33, v19
	v_add_u32_e32 v27, 4, v1
	v_add_u32_e32 v28, 5, v1
	v_cndmask_b32_e64 v19, 0, 1, vcc
	v_cmp_gt_u32_e32 vcc, s33, v25
	v_and_b32_sdwa v23, v19, v23 dst_sel:BYTE_1 dst_unused:UNUSED_PAD src0_sel:DWORD src1_sel:DWORD
	v_add_u32_e32 v30, 6, v1
	v_cndmask_b32_e64 v19, 0, 1, vcc
	v_cmp_gt_u32_e32 vcc, s33, v26
	v_and_b32_e32 v22, v19, v22
	v_and_b32_e32 v24, v29, v24
	v_cndmask_b32_e64 v19, 0, 1, vcc
	v_cmp_gt_u32_e32 vcc, s33, v27
	v_and_b32_sdwa v21, v19, v21 dst_sel:BYTE_1 dst_unused:UNUSED_PAD src0_sel:DWORD src1_sel:DWORD
	s_nop 0
	v_cndmask_b32_e64 v19, 0, 1, vcc
	v_cmp_gt_u32_e32 vcc, s33, v28
	v_and_b32_e32 v29, v19, v20
	s_nop 0
	v_cndmask_b32_e64 v19, 0, 1, vcc
	v_cmp_gt_u32_e32 vcc, s33, v30
	v_and_b32_e32 v28, v19, v17
	s_nop 0
	v_cndmask_b32_e64 v17, 0, 1, vcc
	v_and_b32_e32 v19, v17, v16
	v_or_b32_e32 v16, v24, v23
	v_or_b32_sdwa v17, v22, v21 dst_sel:WORD_1 dst_unused:UNUSED_PAD src0_sel:DWORD src1_sel:DWORD
	s_nop 0
	v_or_b32_sdwa v30, v16, v17 dst_sel:DWORD dst_unused:UNUSED_PAD src0_sel:WORD_0 src1_sel:DWORD
.LBB2105_22:
	v_and_b32_e32 v33, 0xff, v30
	v_bfe_u32 v34, v30, 8, 8
	v_bfe_u32 v35, v30, 16, 8
	v_lshrrev_b32_e32 v31, 24, v30
	v_and_b32_e32 v36, 0xff, v29
	v_add3_u32 v17, v34, v33, v35
	v_and_b32_e32 v37, 0xff, v28
	v_and_b32_e32 v16, 0xff, v19
	v_add3_u32 v17, v17, v31, v36
	v_add3_u32 v40, v17, v37, v16
	v_mbcnt_lo_u32_b32 v16, -1, 0
	v_mbcnt_hi_u32_b32 v38, -1, v16
	v_and_b32_e32 v16, 15, v38
	v_cmp_eq_u32_e64 s[16:17], 0, v16
	v_cmp_lt_u32_e64 s[14:15], 1, v16
	v_cmp_lt_u32_e64 s[12:13], 3, v16
	;; [unrolled: 1-line block ×3, first 2 shown]
	v_and_b32_e32 v16, 16, v38
	v_cmp_eq_u32_e64 s[8:9], 0, v16
	v_or_b32_e32 v16, 63, v0
	s_cmp_lg_u32 s2, 0
	v_cmp_lt_u32_e64 s[4:5], 31, v38
	v_lshrrev_b32_e32 v39, 6, v0
	v_cmp_eq_u32_e64 s[6:7], v16, v0
	s_cbranch_scc0 .LBB2105_49
; %bb.23:
	v_mov_b32_dpp v16, v40 row_shr:1 row_mask:0xf bank_mask:0xf
	v_cndmask_b32_e64 v16, v16, 0, s[16:17]
	v_add_u32_e32 v16, v16, v40
	s_nop 1
	v_mov_b32_dpp v17, v16 row_shr:2 row_mask:0xf bank_mask:0xf
	v_cndmask_b32_e64 v17, 0, v17, s[14:15]
	v_add_u32_e32 v16, v16, v17
	s_nop 1
	;; [unrolled: 4-line block ×4, first 2 shown]
	v_mov_b32_dpp v17, v16 row_bcast:15 row_mask:0xf bank_mask:0xf
	v_cndmask_b32_e64 v17, v17, 0, s[8:9]
	v_add_u32_e32 v16, v16, v17
	s_nop 1
	v_mov_b32_dpp v17, v16 row_bcast:31 row_mask:0xf bank_mask:0xf
	v_cndmask_b32_e64 v17, 0, v17, s[4:5]
	v_add_u32_e32 v16, v16, v17
	s_and_saveexec_b64 s[18:19], s[6:7]
	s_cbranch_execz .LBB2105_25
; %bb.24:
	v_lshlrev_b32_e32 v17, 2, v39
	ds_write_b32 v17, v16
.LBB2105_25:
	s_or_b64 exec, exec, s[18:19]
	v_cmp_gt_u32_e32 vcc, 8, v0
	s_waitcnt lgkmcnt(0)
	s_barrier
	s_and_saveexec_b64 s[18:19], vcc
	s_cbranch_execz .LBB2105_27
; %bb.26:
	v_lshlrev_b32_e32 v17, 2, v0
	ds_read_b32 v20, v17
	v_and_b32_e32 v21, 7, v38
	v_cmp_ne_u32_e32 vcc, 0, v21
	s_waitcnt lgkmcnt(0)
	v_mov_b32_dpp v22, v20 row_shr:1 row_mask:0xf bank_mask:0xf
	v_cndmask_b32_e32 v22, 0, v22, vcc
	v_add_u32_e32 v20, v22, v20
	v_cmp_lt_u32_e32 vcc, 1, v21
	s_nop 0
	v_mov_b32_dpp v22, v20 row_shr:2 row_mask:0xf bank_mask:0xf
	v_cndmask_b32_e32 v22, 0, v22, vcc
	v_add_u32_e32 v20, v20, v22
	v_cmp_lt_u32_e32 vcc, 3, v21
	s_nop 0
	v_mov_b32_dpp v22, v20 row_shr:4 row_mask:0xf bank_mask:0xf
	v_cndmask_b32_e32 v21, 0, v22, vcc
	v_add_u32_e32 v20, v20, v21
	ds_write_b32 v17, v20
.LBB2105_27:
	s_or_b64 exec, exec, s[18:19]
	v_cmp_gt_u32_e32 vcc, 64, v0
	v_cmp_lt_u32_e64 s[18:19], 63, v0
	s_waitcnt lgkmcnt(0)
	s_barrier
	s_waitcnt lgkmcnt(0)
                                        ; implicit-def: $vgpr41
	s_and_saveexec_b64 s[36:37], s[18:19]
	s_cbranch_execz .LBB2105_29
; %bb.28:
	v_lshl_add_u32 v17, v39, 2, -4
	ds_read_b32 v41, v17
	s_waitcnt lgkmcnt(0)
	v_add_u32_e32 v16, v41, v16
.LBB2105_29:
	s_or_b64 exec, exec, s[36:37]
	v_add_u32_e32 v17, -1, v38
	v_and_b32_e32 v20, 64, v38
	v_cmp_lt_i32_e64 s[18:19], v17, v20
	s_nop 1
	v_cndmask_b32_e64 v17, v17, v38, s[18:19]
	v_lshlrev_b32_e32 v17, 2, v17
	ds_bpermute_b32 v42, v17, v16
	v_cmp_eq_u32_e64 s[18:19], 0, v38
	s_and_saveexec_b64 s[36:37], vcc
	s_cbranch_execz .LBB2105_48
; %bb.30:
	v_mov_b32_e32 v25, 0
	ds_read_b32 v16, v25 offset:28
	s_and_saveexec_b64 s[38:39], s[18:19]
	s_cbranch_execz .LBB2105_32
; %bb.31:
	s_add_i32 s40, s2, 64
	s_mov_b32 s41, 0
	s_lshl_b64 s[40:41], s[40:41], 3
	s_add_u32 s40, s34, s40
	v_mov_b32_e32 v17, 1
	s_addc_u32 s41, s35, s41
	s_waitcnt lgkmcnt(0)
	global_store_dwordx2 v25, v[16:17], s[40:41] sc1
.LBB2105_32:
	s_or_b64 exec, exec, s[38:39]
	v_xad_u32 v20, v38, -1, s2
	v_add_u32_e32 v24, 64, v20
	v_lshl_add_u64 v[26:27], v[24:25], 3, s[34:35]
	global_load_dwordx2 v[22:23], v[26:27], off sc1
	s_waitcnt vmcnt(0)
	v_cmp_eq_u16_sdwa s[40:41], v23, v25 src0_sel:BYTE_0 src1_sel:DWORD
	s_and_saveexec_b64 s[38:39], s[40:41]
	s_cbranch_execz .LBB2105_36
; %bb.33:
	s_mov_b64 s[40:41], 0
	v_mov_b32_e32 v17, 0
.LBB2105_34:                            ; =>This Inner Loop Header: Depth=1
	global_load_dwordx2 v[22:23], v[26:27], off sc1
	s_waitcnt vmcnt(0)
	v_cmp_ne_u16_sdwa s[42:43], v23, v17 src0_sel:BYTE_0 src1_sel:DWORD
	s_or_b64 s[40:41], s[42:43], s[40:41]
	s_andn2_b64 exec, exec, s[40:41]
	s_cbranch_execnz .LBB2105_34
; %bb.35:
	s_or_b64 exec, exec, s[40:41]
.LBB2105_36:
	s_or_b64 exec, exec, s[38:39]
	v_and_b32_e32 v44, 63, v38
	v_mov_b32_e32 v43, 2
	v_cmp_ne_u32_e32 vcc, 63, v44
	v_cmp_eq_u16_sdwa s[38:39], v23, v43 src0_sel:BYTE_0 src1_sel:DWORD
	v_lshlrev_b64 v[24:25], v38, -1
	v_addc_co_u32_e32 v26, vcc, 0, v38, vcc
	v_and_b32_e32 v17, s39, v25
	v_lshlrev_b32_e32 v45, 2, v26
	v_or_b32_e32 v17, 0x80000000, v17
	ds_bpermute_b32 v26, v45, v22
	v_and_b32_e32 v21, s38, v24
	v_ffbl_b32_e32 v17, v17
	v_add_u32_e32 v17, 32, v17
	v_ffbl_b32_e32 v21, v21
	v_min_u32_e32 v17, v21, v17
	v_cmp_lt_u32_e32 vcc, v44, v17
	v_add_u32_e32 v47, 2, v44
	v_add_u32_e32 v49, 4, v44
	s_waitcnt lgkmcnt(0)
	v_cndmask_b32_e32 v21, 0, v26, vcc
	v_cmp_gt_u32_e32 vcc, 62, v44
	v_add_u32_e32 v21, v21, v22
	v_add_u32_e32 v51, 8, v44
	v_cndmask_b32_e64 v22, 0, 1, vcc
	v_lshlrev_b32_e32 v22, 1, v22
	v_add_lshl_u32 v46, v22, v38, 2
	ds_bpermute_b32 v22, v46, v21
	v_cmp_le_u32_e32 vcc, v47, v17
	v_add_u32_e32 v53, 16, v44
	v_add_u32_e32 v55, 32, v44
	s_waitcnt lgkmcnt(0)
	v_cndmask_b32_e32 v22, 0, v22, vcc
	v_cmp_gt_u32_e32 vcc, 60, v44
	v_add_u32_e32 v21, v21, v22
	s_nop 0
	v_cndmask_b32_e64 v22, 0, 1, vcc
	v_lshlrev_b32_e32 v22, 2, v22
	v_add_lshl_u32 v48, v22, v38, 2
	ds_bpermute_b32 v22, v48, v21
	v_cmp_le_u32_e32 vcc, v49, v17
	s_waitcnt lgkmcnt(0)
	s_nop 0
	v_cndmask_b32_e32 v22, 0, v22, vcc
	v_cmp_gt_u32_e32 vcc, 56, v44
	v_add_u32_e32 v21, v21, v22
	s_nop 0
	v_cndmask_b32_e64 v22, 0, 1, vcc
	v_lshlrev_b32_e32 v22, 3, v22
	v_add_lshl_u32 v50, v22, v38, 2
	ds_bpermute_b32 v22, v50, v21
	v_cmp_le_u32_e32 vcc, v51, v17
	s_waitcnt lgkmcnt(0)
	s_nop 0
	;; [unrolled: 11-line block ×4, first 2 shown]
	v_cndmask_b32_e32 v17, 0, v22, vcc
	v_add_u32_e32 v22, v21, v17
	v_mov_b32_e32 v21, 0
	s_branch .LBB2105_38
.LBB2105_37:                            ;   in Loop: Header=BB2105_38 Depth=1
	s_or_b64 exec, exec, s[38:39]
	v_cmp_eq_u16_sdwa s[38:39], v23, v43 src0_sel:BYTE_0 src1_sel:DWORD
	ds_bpermute_b32 v56, v45, v22
	v_subrev_u32_e32 v20, 64, v20
	v_and_b32_e32 v26, s39, v25
	v_or_b32_e32 v26, 0x80000000, v26
	v_and_b32_e32 v27, s38, v24
	v_ffbl_b32_e32 v26, v26
	v_add_u32_e32 v26, 32, v26
	v_ffbl_b32_e32 v27, v27
	v_min_u32_e32 v26, v27, v26
	v_cmp_lt_u32_e32 vcc, v44, v26
	s_waitcnt lgkmcnt(0)
	s_nop 0
	v_cndmask_b32_e32 v27, 0, v56, vcc
	v_add_u32_e32 v22, v27, v22
	ds_bpermute_b32 v27, v46, v22
	v_cmp_le_u32_e32 vcc, v47, v26
	s_waitcnt lgkmcnt(0)
	s_nop 0
	v_cndmask_b32_e32 v27, 0, v27, vcc
	v_add_u32_e32 v22, v22, v27
	ds_bpermute_b32 v27, v48, v22
	v_cmp_le_u32_e32 vcc, v49, v26
	;; [unrolled: 6-line block ×5, first 2 shown]
	s_waitcnt lgkmcnt(0)
	s_nop 0
	v_cndmask_b32_e32 v26, 0, v27, vcc
	v_add3_u32 v22, v26, v17, v22
.LBB2105_38:                            ; =>This Loop Header: Depth=1
                                        ;     Child Loop BB2105_41 Depth 2
	v_cmp_ne_u16_sdwa s[38:39], v23, v43 src0_sel:BYTE_0 src1_sel:DWORD
	s_nop 1
	v_cndmask_b32_e64 v17, 0, 1, s[38:39]
	;;#ASMSTART
	;;#ASMEND
	s_nop 0
	v_cmp_ne_u32_e32 vcc, 0, v17
	s_cmp_lg_u64 vcc, exec
	v_mov_b32_e32 v17, v22
	s_cbranch_scc1 .LBB2105_43
; %bb.39:                               ;   in Loop: Header=BB2105_38 Depth=1
	v_lshl_add_u64 v[26:27], v[20:21], 3, s[34:35]
	global_load_dwordx2 v[22:23], v[26:27], off sc1
	s_waitcnt vmcnt(0)
	v_cmp_eq_u16_sdwa s[40:41], v23, v21 src0_sel:BYTE_0 src1_sel:DWORD
	s_and_saveexec_b64 s[38:39], s[40:41]
	s_cbranch_execz .LBB2105_37
; %bb.40:                               ;   in Loop: Header=BB2105_38 Depth=1
	s_mov_b64 s[40:41], 0
.LBB2105_41:                            ;   Parent Loop BB2105_38 Depth=1
                                        ; =>  This Inner Loop Header: Depth=2
	global_load_dwordx2 v[22:23], v[26:27], off sc1
	s_waitcnt vmcnt(0)
	v_cmp_ne_u16_sdwa s[42:43], v23, v21 src0_sel:BYTE_0 src1_sel:DWORD
	s_or_b64 s[40:41], s[42:43], s[40:41]
	s_andn2_b64 exec, exec, s[40:41]
	s_cbranch_execnz .LBB2105_41
; %bb.42:                               ;   in Loop: Header=BB2105_38 Depth=1
	s_or_b64 exec, exec, s[40:41]
	s_branch .LBB2105_37
.LBB2105_43:                            ;   in Loop: Header=BB2105_38 Depth=1
                                        ; implicit-def: $vgpr22
                                        ; implicit-def: $vgpr23
	s_cbranch_execz .LBB2105_38
; %bb.44:
	s_and_saveexec_b64 s[38:39], s[18:19]
	s_cbranch_execz .LBB2105_46
; %bb.45:
	s_add_i32 s2, s2, 64
	s_mov_b32 s3, 0
	s_lshl_b64 s[2:3], s[2:3], 3
	s_add_u32 s2, s34, s2
	v_add_u32_e32 v20, v17, v16
	v_mov_b32_e32 v21, 2
	s_addc_u32 s3, s35, s3
	v_mov_b32_e32 v22, 0
	global_store_dwordx2 v22, v[20:21], s[2:3] sc1
	ds_write_b64 v22, v[16:17] offset:28672
.LBB2105_46:
	s_or_b64 exec, exec, s[38:39]
	v_cmp_eq_u32_e32 vcc, 0, v0
	s_and_b64 exec, exec, vcc
	s_cbranch_execz .LBB2105_48
; %bb.47:
	v_mov_b32_e32 v16, 0
	ds_write_b32 v16, v17 offset:28
.LBB2105_48:
	s_or_b64 exec, exec, s[36:37]
	v_mov_b32_e32 v16, 0
	s_waitcnt lgkmcnt(0)
	s_barrier
	ds_read_b32 v17, v16 offset:28
	v_cndmask_b32_e64 v20, v42, v41, s[18:19]
	v_cmp_ne_u32_e32 vcc, 0, v0
	s_waitcnt lgkmcnt(0)
	s_barrier
	v_cndmask_b32_e32 v20, 0, v20, vcc
	v_add_u32_e32 v27, v17, v20
	v_add_u32_e32 v26, v27, v33
	ds_read_b64 v[16:17], v16 offset:28672
	v_add_u32_e32 v25, v26, v34
	v_add_u32_e32 v24, v25, v35
	;; [unrolled: 1-line block ×5, first 2 shown]
	s_waitcnt lgkmcnt(0)
	v_mov_b32_e32 v20, v17
	s_branch .LBB2105_59
.LBB2105_49:
                                        ; implicit-def: $vgpr20
                                        ; implicit-def: $vgpr16
                                        ; implicit-def: $vgpr21
                                        ; implicit-def: $vgpr22
                                        ; implicit-def: $vgpr23
                                        ; implicit-def: $vgpr24
                                        ; implicit-def: $vgpr25
                                        ; implicit-def: $vgpr26
                                        ; implicit-def: $vgpr27
	s_cbranch_execz .LBB2105_59
; %bb.50:
	s_nop 0
	v_mov_b32_dpp v16, v40 row_shr:1 row_mask:0xf bank_mask:0xf
	v_cndmask_b32_e64 v16, v16, 0, s[16:17]
	v_add_u32_e32 v16, v16, v40
	s_nop 1
	v_mov_b32_dpp v17, v16 row_shr:2 row_mask:0xf bank_mask:0xf
	v_cndmask_b32_e64 v17, 0, v17, s[14:15]
	v_add_u32_e32 v16, v16, v17
	;; [unrolled: 4-line block ×4, first 2 shown]
	s_nop 1
	v_mov_b32_dpp v17, v16 row_bcast:15 row_mask:0xf bank_mask:0xf
	v_cndmask_b32_e64 v17, v17, 0, s[8:9]
	v_add_u32_e32 v16, v16, v17
	s_nop 1
	v_mov_b32_dpp v17, v16 row_bcast:31 row_mask:0xf bank_mask:0xf
	v_cndmask_b32_e64 v17, 0, v17, s[4:5]
	v_add_u32_e32 v16, v16, v17
	s_and_saveexec_b64 s[2:3], s[6:7]
	s_cbranch_execz .LBB2105_52
; %bb.51:
	v_lshlrev_b32_e32 v17, 2, v39
	ds_write_b32 v17, v16
.LBB2105_52:
	s_or_b64 exec, exec, s[2:3]
	v_cmp_gt_u32_e32 vcc, 8, v0
	s_waitcnt lgkmcnt(0)
	s_barrier
	s_and_saveexec_b64 s[2:3], vcc
	s_cbranch_execz .LBB2105_54
; %bb.53:
	s_movk_i32 s4, 0xffcc
	v_mad_i32_i24 v17, v0, s4, v32
	ds_read_b32 v20, v17
	v_and_b32_e32 v21, 7, v38
	v_cmp_ne_u32_e32 vcc, 0, v21
	s_waitcnt lgkmcnt(0)
	v_mov_b32_dpp v22, v20 row_shr:1 row_mask:0xf bank_mask:0xf
	v_cndmask_b32_e32 v22, 0, v22, vcc
	v_add_u32_e32 v20, v22, v20
	v_cmp_lt_u32_e32 vcc, 1, v21
	s_nop 0
	v_mov_b32_dpp v22, v20 row_shr:2 row_mask:0xf bank_mask:0xf
	v_cndmask_b32_e32 v22, 0, v22, vcc
	v_add_u32_e32 v20, v20, v22
	v_cmp_lt_u32_e32 vcc, 3, v21
	s_nop 0
	v_mov_b32_dpp v22, v20 row_shr:4 row_mask:0xf bank_mask:0xf
	v_cndmask_b32_e32 v21, 0, v22, vcc
	v_add_u32_e32 v20, v20, v21
	ds_write_b32 v17, v20
.LBB2105_54:
	s_or_b64 exec, exec, s[2:3]
	v_cmp_lt_u32_e32 vcc, 63, v0
	v_mov_b32_e32 v17, 0
	v_mov_b32_e32 v20, 0
	s_waitcnt lgkmcnt(0)
	s_barrier
	s_and_saveexec_b64 s[2:3], vcc
	s_cbranch_execz .LBB2105_56
; %bb.55:
	v_lshl_add_u32 v20, v39, 2, -4
	ds_read_b32 v20, v20
.LBB2105_56:
	s_or_b64 exec, exec, s[2:3]
	v_add_u32_e32 v21, -1, v38
	v_and_b32_e32 v22, 64, v38
	v_cmp_lt_i32_e32 vcc, v21, v22
	s_waitcnt lgkmcnt(0)
	v_add_u32_e32 v16, v20, v16
	v_cndmask_b32_e32 v21, v21, v38, vcc
	v_lshlrev_b32_e32 v21, 2, v21
	ds_bpermute_b32 v21, v21, v16
	ds_read_b32 v16, v17 offset:28
	v_cmp_eq_u32_e32 vcc, 0, v0
	s_and_saveexec_b64 s[2:3], vcc
	s_cbranch_execz .LBB2105_58
; %bb.57:
	v_mov_b32_e32 v22, 0
	v_mov_b32_e32 v17, 2
	s_waitcnt lgkmcnt(0)
	global_store_dwordx2 v22, v[16:17], s[34:35] offset:512 sc1
.LBB2105_58:
	s_or_b64 exec, exec, s[2:3]
	v_cmp_eq_u32_e64 s[2:3], 0, v38
	s_waitcnt lgkmcnt(0)
	s_barrier
	v_cndmask_b32_e64 v17, v21, v20, s[2:3]
	v_cndmask_b32_e64 v27, v17, 0, vcc
	v_add_u32_e32 v26, v27, v33
	v_add_u32_e32 v25, v26, v34
	;; [unrolled: 1-line block ×5, first 2 shown]
	v_mov_b32_e32 v20, 0
	v_add_u32_e32 v21, v22, v37
.LBB2105_59:
	v_add_u32_e32 v1, v16, v1
	v_sub_u32_e32 v27, v27, v20
	v_and_b32_e32 v33, 1, v30
	v_sub_u32_e32 v32, v1, v27
	v_cmp_eq_u32_e32 vcc, 1, v33
	v_lshrrev_b32_e32 v17, 8, v30
	v_and_b32_e32 v17, 1, v17
	v_cndmask_b32_e32 v27, v32, v27, vcc
	v_lshlrev_b32_e32 v27, 3, v27
	ds_write_b64 v27, v[10:11]
	v_sub_u32_e32 v10, v26, v20
	v_sub_u32_e32 v11, v1, v10
	v_add_u32_e32 v11, 1, v11
	v_cmp_eq_u32_e32 vcc, 1, v17
	s_load_dwordx4 s[0:3], s[0:1], 0x28
	v_or_b32_e32 v32, 0x200, v0
	v_cndmask_b32_e32 v10, v11, v10, vcc
	v_lshlrev_b32_e32 v10, 3, v10
	ds_write_b64 v10, v[12:13]
	v_sub_u32_e32 v10, v25, v20
	v_mov_b32_e32 v12, 1
	v_sub_u32_e32 v11, v1, v10
	v_and_b32_sdwa v12, v12, v30 dst_sel:DWORD dst_unused:UNUSED_PAD src0_sel:DWORD src1_sel:WORD_1
	v_add_u32_e32 v11, 2, v11
	v_cmp_eq_u32_e32 vcc, 1, v12
	v_or_b32_e32 v30, 0x600, v0
	s_nop 0
	v_cndmask_b32_e32 v10, v11, v10, vcc
	v_lshlrev_b32_e32 v10, 3, v10
	ds_write_b64 v10, v[6:7]
	v_sub_u32_e32 v6, v24, v20
	v_sub_u32_e32 v7, v1, v6
	v_and_b32_e32 v10, 1, v31
	v_add_u32_e32 v7, 3, v7
	v_cmp_eq_u32_e32 vcc, 1, v10
	v_or_b32_e32 v31, 0x400, v0
	s_nop 0
	v_cndmask_b32_e32 v6, v7, v6, vcc
	v_lshlrev_b32_e32 v6, 3, v6
	ds_write_b64 v6, v[8:9]
	v_sub_u32_e32 v6, v23, v20
	v_sub_u32_e32 v7, v1, v6
	v_and_b32_e32 v8, 1, v29
	;; [unrolled: 10-line block ×4, first 2 shown]
	v_add_u32_e32 v1, 6, v1
	v_cmp_eq_u32_e32 vcc, 1, v3
	v_mov_b32_e32 v21, 0
	v_lshl_add_u64 v[26:27], s[28:29], 0, v[20:21]
	v_cndmask_b32_e32 v1, v1, v2, vcc
	v_lshlrev_b32_e32 v1, 3, v1
	v_mov_b32_e32 v17, v21
	ds_write_b64 v1, v[14:15]
	v_lshl_add_u64 v[14:15], v[26:27], 0, v[16:17]
	s_waitcnt lgkmcnt(0)
	s_barrier
	ds_read2st64_b64 v[10:13], v18 offset1:8
	ds_read2st64_b64 v[6:9], v18 offset0:16 offset1:24
	ds_read2st64_b64 v[2:5], v18 offset0:32 offset1:40
	ds_read_b64 v[22:23], v18 offset:24576
	v_mov_b32_e32 v17, s23
	v_sub_co_u32_e32 v24, vcc, s22, v14
	v_lshlrev_b64 v[26:27], 3, v[26:27]
	s_nop 0
	v_subb_co_u32_e32 v25, vcc, v17, v15, vcc
	v_lshlrev_b64 v[24:25], 3, v[24:25]
	v_lshl_add_u64 v[24:25], s[2:3], 0, v[24:25]
	v_or_b32_e32 v1, 0xc00, v0
	v_lshl_add_u64 v[24:25], v[24:25], 0, s[30:31]
	s_and_b64 vcc, exec, s[20:21]
	v_lshl_add_u64 v[26:27], s[0:1], 0, v[26:27]
	s_cbranch_vccnz .LBB2105_61
; %bb.60:
	v_cmp_lt_u32_e32 vcc, v0, v16
	v_mov_b32_e32 v19, v21
	v_lshlrev_b32_e32 v20, 3, v32
	v_cndmask_b32_e32 v35, v25, v27, vcc
	v_cndmask_b32_e32 v34, v24, v26, vcc
	v_lshl_add_u64 v[34:35], v[34:35], 0, v[18:19]
	v_cmp_lt_u32_e32 vcc, v32, v16
	s_waitcnt lgkmcnt(3)
	global_store_dwordx2 v[34:35], v[10:11], off
	v_cndmask_b32_e32 v35, v25, v27, vcc
	v_cndmask_b32_e32 v34, v24, v26, vcc
	v_lshl_add_u64 v[34:35], v[34:35], 0, v[20:21]
	v_cmp_lt_u32_e32 vcc, v31, v16
	global_store_dwordx2 v[34:35], v[12:13], off
	v_lshlrev_b32_e32 v20, 3, v31
	v_cndmask_b32_e32 v35, v25, v27, vcc
	v_cndmask_b32_e32 v34, v24, v26, vcc
	v_lshl_add_u64 v[34:35], v[34:35], 0, v[20:21]
	v_cmp_lt_u32_e32 vcc, v30, v16
	s_waitcnt lgkmcnt(2)
	global_store_dwordx2 v[34:35], v[6:7], off
	v_lshlrev_b32_e32 v20, 3, v30
	v_cndmask_b32_e32 v35, v25, v27, vcc
	v_cndmask_b32_e32 v34, v24, v26, vcc
	v_lshl_add_u64 v[34:35], v[34:35], 0, v[20:21]
	v_cmp_lt_u32_e32 vcc, v29, v16
	global_store_dwordx2 v[34:35], v[8:9], off
	v_lshlrev_b32_e32 v20, 3, v29
	v_cndmask_b32_e32 v35, v25, v27, vcc
	v_cndmask_b32_e32 v34, v24, v26, vcc
	v_lshl_add_u64 v[34:35], v[34:35], 0, v[20:21]
	v_cmp_lt_u32_e32 vcc, v28, v16
	s_waitcnt lgkmcnt(1)
	global_store_dwordx2 v[34:35], v[2:3], off
	v_lshlrev_b32_e32 v20, 3, v28
	v_cndmask_b32_e32 v35, v25, v27, vcc
	v_cndmask_b32_e32 v34, v24, v26, vcc
	v_lshl_add_u64 v[20:21], v[34:35], 0, v[20:21]
	s_mov_b64 s[0:1], -1
	global_store_dwordx2 v[20:21], v[4:5], off
	s_cbranch_execz .LBB2105_62
	s_branch .LBB2105_70
.LBB2105_61:
	s_mov_b64 s[0:1], 0
.LBB2105_62:
	v_cmp_gt_u32_e32 vcc, s33, v0
	s_and_saveexec_b64 s[0:1], vcc
	s_cbranch_execnz .LBB2105_75
; %bb.63:
	s_or_b64 exec, exec, s[0:1]
	v_cmp_gt_u32_e32 vcc, s33, v32
	s_and_saveexec_b64 s[0:1], vcc
	s_cbranch_execnz .LBB2105_76
.LBB2105_64:
	s_or_b64 exec, exec, s[0:1]
	v_cmp_gt_u32_e32 vcc, s33, v31
	s_and_saveexec_b64 s[0:1], vcc
	s_cbranch_execnz .LBB2105_77
.LBB2105_65:
	s_or_b64 exec, exec, s[0:1]
	v_cmp_gt_u32_e32 vcc, s33, v30
	s_and_saveexec_b64 s[0:1], vcc
	s_cbranch_execnz .LBB2105_78
.LBB2105_66:
	s_or_b64 exec, exec, s[0:1]
	v_cmp_gt_u32_e32 vcc, s33, v29
	s_and_saveexec_b64 s[0:1], vcc
	s_cbranch_execnz .LBB2105_79
.LBB2105_67:
	s_or_b64 exec, exec, s[0:1]
	v_cmp_gt_u32_e32 vcc, s33, v28
	s_and_saveexec_b64 s[0:1], vcc
	s_cbranch_execz .LBB2105_69
.LBB2105_68:
	v_cmp_lt_u32_e32 vcc, v28, v16
	s_waitcnt lgkmcnt(2)
	v_lshlrev_b32_e32 v6, 3, v28
	v_mov_b32_e32 v7, 0
	s_waitcnt lgkmcnt(1)
	v_cndmask_b32_e32 v3, v25, v27, vcc
	v_cndmask_b32_e32 v2, v24, v26, vcc
	v_lshl_add_u64 v[2:3], v[2:3], 0, v[6:7]
	global_store_dwordx2 v[2:3], v[4:5], off
.LBB2105_69:
	s_or_b64 exec, exec, s[0:1]
	v_cmp_gt_u32_e64 s[0:1], s33, v1
.LBB2105_70:
	s_and_saveexec_b64 s[2:3], s[0:1]
	s_cbranch_execz .LBB2105_72
; %bb.71:
	v_cmp_lt_u32_e32 vcc, v1, v16
	s_waitcnt lgkmcnt(1)
	v_lshlrev_b32_e32 v4, 3, v1
	v_mov_b32_e32 v5, 0
	v_cndmask_b32_e32 v3, v25, v27, vcc
	v_cndmask_b32_e32 v2, v24, v26, vcc
	v_lshl_add_u64 v[2:3], v[2:3], 0, v[4:5]
	s_waitcnt lgkmcnt(0)
	global_store_dwordx2 v[2:3], v[22:23], off
.LBB2105_72:
	s_or_b64 exec, exec, s[2:3]
	v_cmp_eq_u32_e32 vcc, 0, v0
	s_and_b64 s[0:1], vcc, s[26:27]
	s_and_saveexec_b64 s[2:3], s[0:1]
	s_cbranch_execz .LBB2105_74
; %bb.73:
	v_mov_b32_e32 v0, 0
	global_store_dwordx2 v0, v[14:15], s[24:25]
.LBB2105_74:
	s_endpgm
.LBB2105_75:
	v_cmp_lt_u32_e32 vcc, v0, v16
	v_mov_b32_e32 v19, 0
	s_nop 0
	v_cndmask_b32_e32 v21, v25, v27, vcc
	v_cndmask_b32_e32 v20, v24, v26, vcc
	v_lshl_add_u64 v[18:19], v[20:21], 0, v[18:19]
	s_waitcnt lgkmcnt(3)
	global_store_dwordx2 v[18:19], v[10:11], off
	s_or_b64 exec, exec, s[0:1]
	v_cmp_gt_u32_e32 vcc, s33, v32
	s_and_saveexec_b64 s[0:1], vcc
	s_cbranch_execz .LBB2105_64
.LBB2105_76:
	v_cmp_lt_u32_e32 vcc, v32, v16
	v_lshlrev_b32_e32 v18, 3, v32
	v_mov_b32_e32 v19, 0
	s_waitcnt lgkmcnt(3)
	v_cndmask_b32_e32 v11, v25, v27, vcc
	v_cndmask_b32_e32 v10, v24, v26, vcc
	v_lshl_add_u64 v[10:11], v[10:11], 0, v[18:19]
	global_store_dwordx2 v[10:11], v[12:13], off
	s_or_b64 exec, exec, s[0:1]
	v_cmp_gt_u32_e32 vcc, s33, v31
	s_and_saveexec_b64 s[0:1], vcc
	s_cbranch_execz .LBB2105_65
.LBB2105_77:
	v_cmp_lt_u32_e32 vcc, v31, v16
	s_waitcnt lgkmcnt(3)
	v_lshlrev_b32_e32 v12, 3, v31
	v_mov_b32_e32 v13, 0
	v_cndmask_b32_e32 v11, v25, v27, vcc
	v_cndmask_b32_e32 v10, v24, v26, vcc
	v_lshl_add_u64 v[10:11], v[10:11], 0, v[12:13]
	s_waitcnt lgkmcnt(2)
	global_store_dwordx2 v[10:11], v[6:7], off
	s_or_b64 exec, exec, s[0:1]
	v_cmp_gt_u32_e32 vcc, s33, v30
	s_and_saveexec_b64 s[0:1], vcc
	s_cbranch_execz .LBB2105_66
.LBB2105_78:
	v_cmp_lt_u32_e32 vcc, v30, v16
	s_waitcnt lgkmcnt(3)
	v_lshlrev_b32_e32 v10, 3, v30
	v_mov_b32_e32 v11, 0
	s_waitcnt lgkmcnt(2)
	v_cndmask_b32_e32 v7, v25, v27, vcc
	v_cndmask_b32_e32 v6, v24, v26, vcc
	v_lshl_add_u64 v[6:7], v[6:7], 0, v[10:11]
	global_store_dwordx2 v[6:7], v[8:9], off
	s_or_b64 exec, exec, s[0:1]
	v_cmp_gt_u32_e32 vcc, s33, v29
	s_and_saveexec_b64 s[0:1], vcc
	s_cbranch_execz .LBB2105_67
.LBB2105_79:
	v_cmp_lt_u32_e32 vcc, v29, v16
	s_waitcnt lgkmcnt(2)
	v_lshlrev_b32_e32 v8, 3, v29
	v_mov_b32_e32 v9, 0
	v_cndmask_b32_e32 v7, v25, v27, vcc
	v_cndmask_b32_e32 v6, v24, v26, vcc
	v_lshl_add_u64 v[6:7], v[6:7], 0, v[8:9]
	s_waitcnt lgkmcnt(1)
	global_store_dwordx2 v[6:7], v[2:3], off
	s_or_b64 exec, exec, s[0:1]
	v_cmp_gt_u32_e32 vcc, s33, v28
	s_and_saveexec_b64 s[0:1], vcc
	s_cbranch_execnz .LBB2105_68
	s_branch .LBB2105_69
	.section	.rodata,"a",@progbits
	.p2align	6, 0x0
	.amdhsa_kernel _ZN7rocprim17ROCPRIM_400000_NS6detail17trampoline_kernelINS0_14default_configENS1_25partition_config_selectorILNS1_17partition_subalgoE0EyNS0_10empty_typeEbEEZZNS1_14partition_implILS5_0ELb0ES3_jN6thrust23THRUST_200600_302600_NS6detail15normal_iteratorINSA_10device_ptrIyEEEEPS6_SG_NS0_5tupleIJSF_SF_EEENSH_IJSG_SG_EEES6_PlJ7is_evenIyEEEE10hipError_tPvRmT3_T4_T5_T6_T7_T9_mT8_P12ihipStream_tbDpT10_ENKUlT_T0_E_clISt17integral_constantIbLb0EES16_EEDaS11_S12_EUlS11_E_NS1_11comp_targetILNS1_3genE5ELNS1_11target_archE942ELNS1_3gpuE9ELNS1_3repE0EEENS1_30default_config_static_selectorELNS0_4arch9wavefront6targetE1EEEvT1_
		.amdhsa_group_segment_fixed_size 28680
		.amdhsa_private_segment_fixed_size 0
		.amdhsa_kernarg_size 120
		.amdhsa_user_sgpr_count 2
		.amdhsa_user_sgpr_dispatch_ptr 0
		.amdhsa_user_sgpr_queue_ptr 0
		.amdhsa_user_sgpr_kernarg_segment_ptr 1
		.amdhsa_user_sgpr_dispatch_id 0
		.amdhsa_user_sgpr_kernarg_preload_length 0
		.amdhsa_user_sgpr_kernarg_preload_offset 0
		.amdhsa_user_sgpr_private_segment_size 0
		.amdhsa_uses_dynamic_stack 0
		.amdhsa_enable_private_segment 0
		.amdhsa_system_sgpr_workgroup_id_x 1
		.amdhsa_system_sgpr_workgroup_id_y 0
		.amdhsa_system_sgpr_workgroup_id_z 0
		.amdhsa_system_sgpr_workgroup_info 0
		.amdhsa_system_vgpr_workitem_id 0
		.amdhsa_next_free_vgpr 57
		.amdhsa_next_free_sgpr 44
		.amdhsa_accum_offset 60
		.amdhsa_reserve_vcc 1
		.amdhsa_float_round_mode_32 0
		.amdhsa_float_round_mode_16_64 0
		.amdhsa_float_denorm_mode_32 3
		.amdhsa_float_denorm_mode_16_64 3
		.amdhsa_dx10_clamp 1
		.amdhsa_ieee_mode 1
		.amdhsa_fp16_overflow 0
		.amdhsa_tg_split 0
		.amdhsa_exception_fp_ieee_invalid_op 0
		.amdhsa_exception_fp_denorm_src 0
		.amdhsa_exception_fp_ieee_div_zero 0
		.amdhsa_exception_fp_ieee_overflow 0
		.amdhsa_exception_fp_ieee_underflow 0
		.amdhsa_exception_fp_ieee_inexact 0
		.amdhsa_exception_int_div_zero 0
	.end_amdhsa_kernel
	.section	.text._ZN7rocprim17ROCPRIM_400000_NS6detail17trampoline_kernelINS0_14default_configENS1_25partition_config_selectorILNS1_17partition_subalgoE0EyNS0_10empty_typeEbEEZZNS1_14partition_implILS5_0ELb0ES3_jN6thrust23THRUST_200600_302600_NS6detail15normal_iteratorINSA_10device_ptrIyEEEEPS6_SG_NS0_5tupleIJSF_SF_EEENSH_IJSG_SG_EEES6_PlJ7is_evenIyEEEE10hipError_tPvRmT3_T4_T5_T6_T7_T9_mT8_P12ihipStream_tbDpT10_ENKUlT_T0_E_clISt17integral_constantIbLb0EES16_EEDaS11_S12_EUlS11_E_NS1_11comp_targetILNS1_3genE5ELNS1_11target_archE942ELNS1_3gpuE9ELNS1_3repE0EEENS1_30default_config_static_selectorELNS0_4arch9wavefront6targetE1EEEvT1_,"axG",@progbits,_ZN7rocprim17ROCPRIM_400000_NS6detail17trampoline_kernelINS0_14default_configENS1_25partition_config_selectorILNS1_17partition_subalgoE0EyNS0_10empty_typeEbEEZZNS1_14partition_implILS5_0ELb0ES3_jN6thrust23THRUST_200600_302600_NS6detail15normal_iteratorINSA_10device_ptrIyEEEEPS6_SG_NS0_5tupleIJSF_SF_EEENSH_IJSG_SG_EEES6_PlJ7is_evenIyEEEE10hipError_tPvRmT3_T4_T5_T6_T7_T9_mT8_P12ihipStream_tbDpT10_ENKUlT_T0_E_clISt17integral_constantIbLb0EES16_EEDaS11_S12_EUlS11_E_NS1_11comp_targetILNS1_3genE5ELNS1_11target_archE942ELNS1_3gpuE9ELNS1_3repE0EEENS1_30default_config_static_selectorELNS0_4arch9wavefront6targetE1EEEvT1_,comdat
.Lfunc_end2105:
	.size	_ZN7rocprim17ROCPRIM_400000_NS6detail17trampoline_kernelINS0_14default_configENS1_25partition_config_selectorILNS1_17partition_subalgoE0EyNS0_10empty_typeEbEEZZNS1_14partition_implILS5_0ELb0ES3_jN6thrust23THRUST_200600_302600_NS6detail15normal_iteratorINSA_10device_ptrIyEEEEPS6_SG_NS0_5tupleIJSF_SF_EEENSH_IJSG_SG_EEES6_PlJ7is_evenIyEEEE10hipError_tPvRmT3_T4_T5_T6_T7_T9_mT8_P12ihipStream_tbDpT10_ENKUlT_T0_E_clISt17integral_constantIbLb0EES16_EEDaS11_S12_EUlS11_E_NS1_11comp_targetILNS1_3genE5ELNS1_11target_archE942ELNS1_3gpuE9ELNS1_3repE0EEENS1_30default_config_static_selectorELNS0_4arch9wavefront6targetE1EEEvT1_, .Lfunc_end2105-_ZN7rocprim17ROCPRIM_400000_NS6detail17trampoline_kernelINS0_14default_configENS1_25partition_config_selectorILNS1_17partition_subalgoE0EyNS0_10empty_typeEbEEZZNS1_14partition_implILS5_0ELb0ES3_jN6thrust23THRUST_200600_302600_NS6detail15normal_iteratorINSA_10device_ptrIyEEEEPS6_SG_NS0_5tupleIJSF_SF_EEENSH_IJSG_SG_EEES6_PlJ7is_evenIyEEEE10hipError_tPvRmT3_T4_T5_T6_T7_T9_mT8_P12ihipStream_tbDpT10_ENKUlT_T0_E_clISt17integral_constantIbLb0EES16_EEDaS11_S12_EUlS11_E_NS1_11comp_targetILNS1_3genE5ELNS1_11target_archE942ELNS1_3gpuE9ELNS1_3repE0EEENS1_30default_config_static_selectorELNS0_4arch9wavefront6targetE1EEEvT1_
                                        ; -- End function
	.section	.AMDGPU.csdata,"",@progbits
; Kernel info:
; codeLenInByte = 4476
; NumSgprs: 50
; NumVgprs: 57
; NumAgprs: 0
; TotalNumVgprs: 57
; ScratchSize: 0
; MemoryBound: 0
; FloatMode: 240
; IeeeMode: 1
; LDSByteSize: 28680 bytes/workgroup (compile time only)
; SGPRBlocks: 6
; VGPRBlocks: 7
; NumSGPRsForWavesPerEU: 50
; NumVGPRsForWavesPerEU: 57
; AccumOffset: 60
; Occupancy: 4
; WaveLimiterHint : 1
; COMPUTE_PGM_RSRC2:SCRATCH_EN: 0
; COMPUTE_PGM_RSRC2:USER_SGPR: 2
; COMPUTE_PGM_RSRC2:TRAP_HANDLER: 0
; COMPUTE_PGM_RSRC2:TGID_X_EN: 1
; COMPUTE_PGM_RSRC2:TGID_Y_EN: 0
; COMPUTE_PGM_RSRC2:TGID_Z_EN: 0
; COMPUTE_PGM_RSRC2:TIDIG_COMP_CNT: 0
; COMPUTE_PGM_RSRC3_GFX90A:ACCUM_OFFSET: 14
; COMPUTE_PGM_RSRC3_GFX90A:TG_SPLIT: 0
	.section	.text._ZN7rocprim17ROCPRIM_400000_NS6detail17trampoline_kernelINS0_14default_configENS1_25partition_config_selectorILNS1_17partition_subalgoE0EyNS0_10empty_typeEbEEZZNS1_14partition_implILS5_0ELb0ES3_jN6thrust23THRUST_200600_302600_NS6detail15normal_iteratorINSA_10device_ptrIyEEEEPS6_SG_NS0_5tupleIJSF_SF_EEENSH_IJSG_SG_EEES6_PlJ7is_evenIyEEEE10hipError_tPvRmT3_T4_T5_T6_T7_T9_mT8_P12ihipStream_tbDpT10_ENKUlT_T0_E_clISt17integral_constantIbLb0EES16_EEDaS11_S12_EUlS11_E_NS1_11comp_targetILNS1_3genE4ELNS1_11target_archE910ELNS1_3gpuE8ELNS1_3repE0EEENS1_30default_config_static_selectorELNS0_4arch9wavefront6targetE1EEEvT1_,"axG",@progbits,_ZN7rocprim17ROCPRIM_400000_NS6detail17trampoline_kernelINS0_14default_configENS1_25partition_config_selectorILNS1_17partition_subalgoE0EyNS0_10empty_typeEbEEZZNS1_14partition_implILS5_0ELb0ES3_jN6thrust23THRUST_200600_302600_NS6detail15normal_iteratorINSA_10device_ptrIyEEEEPS6_SG_NS0_5tupleIJSF_SF_EEENSH_IJSG_SG_EEES6_PlJ7is_evenIyEEEE10hipError_tPvRmT3_T4_T5_T6_T7_T9_mT8_P12ihipStream_tbDpT10_ENKUlT_T0_E_clISt17integral_constantIbLb0EES16_EEDaS11_S12_EUlS11_E_NS1_11comp_targetILNS1_3genE4ELNS1_11target_archE910ELNS1_3gpuE8ELNS1_3repE0EEENS1_30default_config_static_selectorELNS0_4arch9wavefront6targetE1EEEvT1_,comdat
	.protected	_ZN7rocprim17ROCPRIM_400000_NS6detail17trampoline_kernelINS0_14default_configENS1_25partition_config_selectorILNS1_17partition_subalgoE0EyNS0_10empty_typeEbEEZZNS1_14partition_implILS5_0ELb0ES3_jN6thrust23THRUST_200600_302600_NS6detail15normal_iteratorINSA_10device_ptrIyEEEEPS6_SG_NS0_5tupleIJSF_SF_EEENSH_IJSG_SG_EEES6_PlJ7is_evenIyEEEE10hipError_tPvRmT3_T4_T5_T6_T7_T9_mT8_P12ihipStream_tbDpT10_ENKUlT_T0_E_clISt17integral_constantIbLb0EES16_EEDaS11_S12_EUlS11_E_NS1_11comp_targetILNS1_3genE4ELNS1_11target_archE910ELNS1_3gpuE8ELNS1_3repE0EEENS1_30default_config_static_selectorELNS0_4arch9wavefront6targetE1EEEvT1_ ; -- Begin function _ZN7rocprim17ROCPRIM_400000_NS6detail17trampoline_kernelINS0_14default_configENS1_25partition_config_selectorILNS1_17partition_subalgoE0EyNS0_10empty_typeEbEEZZNS1_14partition_implILS5_0ELb0ES3_jN6thrust23THRUST_200600_302600_NS6detail15normal_iteratorINSA_10device_ptrIyEEEEPS6_SG_NS0_5tupleIJSF_SF_EEENSH_IJSG_SG_EEES6_PlJ7is_evenIyEEEE10hipError_tPvRmT3_T4_T5_T6_T7_T9_mT8_P12ihipStream_tbDpT10_ENKUlT_T0_E_clISt17integral_constantIbLb0EES16_EEDaS11_S12_EUlS11_E_NS1_11comp_targetILNS1_3genE4ELNS1_11target_archE910ELNS1_3gpuE8ELNS1_3repE0EEENS1_30default_config_static_selectorELNS0_4arch9wavefront6targetE1EEEvT1_
	.globl	_ZN7rocprim17ROCPRIM_400000_NS6detail17trampoline_kernelINS0_14default_configENS1_25partition_config_selectorILNS1_17partition_subalgoE0EyNS0_10empty_typeEbEEZZNS1_14partition_implILS5_0ELb0ES3_jN6thrust23THRUST_200600_302600_NS6detail15normal_iteratorINSA_10device_ptrIyEEEEPS6_SG_NS0_5tupleIJSF_SF_EEENSH_IJSG_SG_EEES6_PlJ7is_evenIyEEEE10hipError_tPvRmT3_T4_T5_T6_T7_T9_mT8_P12ihipStream_tbDpT10_ENKUlT_T0_E_clISt17integral_constantIbLb0EES16_EEDaS11_S12_EUlS11_E_NS1_11comp_targetILNS1_3genE4ELNS1_11target_archE910ELNS1_3gpuE8ELNS1_3repE0EEENS1_30default_config_static_selectorELNS0_4arch9wavefront6targetE1EEEvT1_
	.p2align	8
	.type	_ZN7rocprim17ROCPRIM_400000_NS6detail17trampoline_kernelINS0_14default_configENS1_25partition_config_selectorILNS1_17partition_subalgoE0EyNS0_10empty_typeEbEEZZNS1_14partition_implILS5_0ELb0ES3_jN6thrust23THRUST_200600_302600_NS6detail15normal_iteratorINSA_10device_ptrIyEEEEPS6_SG_NS0_5tupleIJSF_SF_EEENSH_IJSG_SG_EEES6_PlJ7is_evenIyEEEE10hipError_tPvRmT3_T4_T5_T6_T7_T9_mT8_P12ihipStream_tbDpT10_ENKUlT_T0_E_clISt17integral_constantIbLb0EES16_EEDaS11_S12_EUlS11_E_NS1_11comp_targetILNS1_3genE4ELNS1_11target_archE910ELNS1_3gpuE8ELNS1_3repE0EEENS1_30default_config_static_selectorELNS0_4arch9wavefront6targetE1EEEvT1_,@function
_ZN7rocprim17ROCPRIM_400000_NS6detail17trampoline_kernelINS0_14default_configENS1_25partition_config_selectorILNS1_17partition_subalgoE0EyNS0_10empty_typeEbEEZZNS1_14partition_implILS5_0ELb0ES3_jN6thrust23THRUST_200600_302600_NS6detail15normal_iteratorINSA_10device_ptrIyEEEEPS6_SG_NS0_5tupleIJSF_SF_EEENSH_IJSG_SG_EEES6_PlJ7is_evenIyEEEE10hipError_tPvRmT3_T4_T5_T6_T7_T9_mT8_P12ihipStream_tbDpT10_ENKUlT_T0_E_clISt17integral_constantIbLb0EES16_EEDaS11_S12_EUlS11_E_NS1_11comp_targetILNS1_3genE4ELNS1_11target_archE910ELNS1_3gpuE8ELNS1_3repE0EEENS1_30default_config_static_selectorELNS0_4arch9wavefront6targetE1EEEvT1_: ; @_ZN7rocprim17ROCPRIM_400000_NS6detail17trampoline_kernelINS0_14default_configENS1_25partition_config_selectorILNS1_17partition_subalgoE0EyNS0_10empty_typeEbEEZZNS1_14partition_implILS5_0ELb0ES3_jN6thrust23THRUST_200600_302600_NS6detail15normal_iteratorINSA_10device_ptrIyEEEEPS6_SG_NS0_5tupleIJSF_SF_EEENSH_IJSG_SG_EEES6_PlJ7is_evenIyEEEE10hipError_tPvRmT3_T4_T5_T6_T7_T9_mT8_P12ihipStream_tbDpT10_ENKUlT_T0_E_clISt17integral_constantIbLb0EES16_EEDaS11_S12_EUlS11_E_NS1_11comp_targetILNS1_3genE4ELNS1_11target_archE910ELNS1_3gpuE8ELNS1_3repE0EEENS1_30default_config_static_selectorELNS0_4arch9wavefront6targetE1EEEvT1_
; %bb.0:
	.section	.rodata,"a",@progbits
	.p2align	6, 0x0
	.amdhsa_kernel _ZN7rocprim17ROCPRIM_400000_NS6detail17trampoline_kernelINS0_14default_configENS1_25partition_config_selectorILNS1_17partition_subalgoE0EyNS0_10empty_typeEbEEZZNS1_14partition_implILS5_0ELb0ES3_jN6thrust23THRUST_200600_302600_NS6detail15normal_iteratorINSA_10device_ptrIyEEEEPS6_SG_NS0_5tupleIJSF_SF_EEENSH_IJSG_SG_EEES6_PlJ7is_evenIyEEEE10hipError_tPvRmT3_T4_T5_T6_T7_T9_mT8_P12ihipStream_tbDpT10_ENKUlT_T0_E_clISt17integral_constantIbLb0EES16_EEDaS11_S12_EUlS11_E_NS1_11comp_targetILNS1_3genE4ELNS1_11target_archE910ELNS1_3gpuE8ELNS1_3repE0EEENS1_30default_config_static_selectorELNS0_4arch9wavefront6targetE1EEEvT1_
		.amdhsa_group_segment_fixed_size 0
		.amdhsa_private_segment_fixed_size 0
		.amdhsa_kernarg_size 120
		.amdhsa_user_sgpr_count 2
		.amdhsa_user_sgpr_dispatch_ptr 0
		.amdhsa_user_sgpr_queue_ptr 0
		.amdhsa_user_sgpr_kernarg_segment_ptr 1
		.amdhsa_user_sgpr_dispatch_id 0
		.amdhsa_user_sgpr_kernarg_preload_length 0
		.amdhsa_user_sgpr_kernarg_preload_offset 0
		.amdhsa_user_sgpr_private_segment_size 0
		.amdhsa_uses_dynamic_stack 0
		.amdhsa_enable_private_segment 0
		.amdhsa_system_sgpr_workgroup_id_x 1
		.amdhsa_system_sgpr_workgroup_id_y 0
		.amdhsa_system_sgpr_workgroup_id_z 0
		.amdhsa_system_sgpr_workgroup_info 0
		.amdhsa_system_vgpr_workitem_id 0
		.amdhsa_next_free_vgpr 1
		.amdhsa_next_free_sgpr 0
		.amdhsa_accum_offset 4
		.amdhsa_reserve_vcc 0
		.amdhsa_float_round_mode_32 0
		.amdhsa_float_round_mode_16_64 0
		.amdhsa_float_denorm_mode_32 3
		.amdhsa_float_denorm_mode_16_64 3
		.amdhsa_dx10_clamp 1
		.amdhsa_ieee_mode 1
		.amdhsa_fp16_overflow 0
		.amdhsa_tg_split 0
		.amdhsa_exception_fp_ieee_invalid_op 0
		.amdhsa_exception_fp_denorm_src 0
		.amdhsa_exception_fp_ieee_div_zero 0
		.amdhsa_exception_fp_ieee_overflow 0
		.amdhsa_exception_fp_ieee_underflow 0
		.amdhsa_exception_fp_ieee_inexact 0
		.amdhsa_exception_int_div_zero 0
	.end_amdhsa_kernel
	.section	.text._ZN7rocprim17ROCPRIM_400000_NS6detail17trampoline_kernelINS0_14default_configENS1_25partition_config_selectorILNS1_17partition_subalgoE0EyNS0_10empty_typeEbEEZZNS1_14partition_implILS5_0ELb0ES3_jN6thrust23THRUST_200600_302600_NS6detail15normal_iteratorINSA_10device_ptrIyEEEEPS6_SG_NS0_5tupleIJSF_SF_EEENSH_IJSG_SG_EEES6_PlJ7is_evenIyEEEE10hipError_tPvRmT3_T4_T5_T6_T7_T9_mT8_P12ihipStream_tbDpT10_ENKUlT_T0_E_clISt17integral_constantIbLb0EES16_EEDaS11_S12_EUlS11_E_NS1_11comp_targetILNS1_3genE4ELNS1_11target_archE910ELNS1_3gpuE8ELNS1_3repE0EEENS1_30default_config_static_selectorELNS0_4arch9wavefront6targetE1EEEvT1_,"axG",@progbits,_ZN7rocprim17ROCPRIM_400000_NS6detail17trampoline_kernelINS0_14default_configENS1_25partition_config_selectorILNS1_17partition_subalgoE0EyNS0_10empty_typeEbEEZZNS1_14partition_implILS5_0ELb0ES3_jN6thrust23THRUST_200600_302600_NS6detail15normal_iteratorINSA_10device_ptrIyEEEEPS6_SG_NS0_5tupleIJSF_SF_EEENSH_IJSG_SG_EEES6_PlJ7is_evenIyEEEE10hipError_tPvRmT3_T4_T5_T6_T7_T9_mT8_P12ihipStream_tbDpT10_ENKUlT_T0_E_clISt17integral_constantIbLb0EES16_EEDaS11_S12_EUlS11_E_NS1_11comp_targetILNS1_3genE4ELNS1_11target_archE910ELNS1_3gpuE8ELNS1_3repE0EEENS1_30default_config_static_selectorELNS0_4arch9wavefront6targetE1EEEvT1_,comdat
.Lfunc_end2106:
	.size	_ZN7rocprim17ROCPRIM_400000_NS6detail17trampoline_kernelINS0_14default_configENS1_25partition_config_selectorILNS1_17partition_subalgoE0EyNS0_10empty_typeEbEEZZNS1_14partition_implILS5_0ELb0ES3_jN6thrust23THRUST_200600_302600_NS6detail15normal_iteratorINSA_10device_ptrIyEEEEPS6_SG_NS0_5tupleIJSF_SF_EEENSH_IJSG_SG_EEES6_PlJ7is_evenIyEEEE10hipError_tPvRmT3_T4_T5_T6_T7_T9_mT8_P12ihipStream_tbDpT10_ENKUlT_T0_E_clISt17integral_constantIbLb0EES16_EEDaS11_S12_EUlS11_E_NS1_11comp_targetILNS1_3genE4ELNS1_11target_archE910ELNS1_3gpuE8ELNS1_3repE0EEENS1_30default_config_static_selectorELNS0_4arch9wavefront6targetE1EEEvT1_, .Lfunc_end2106-_ZN7rocprim17ROCPRIM_400000_NS6detail17trampoline_kernelINS0_14default_configENS1_25partition_config_selectorILNS1_17partition_subalgoE0EyNS0_10empty_typeEbEEZZNS1_14partition_implILS5_0ELb0ES3_jN6thrust23THRUST_200600_302600_NS6detail15normal_iteratorINSA_10device_ptrIyEEEEPS6_SG_NS0_5tupleIJSF_SF_EEENSH_IJSG_SG_EEES6_PlJ7is_evenIyEEEE10hipError_tPvRmT3_T4_T5_T6_T7_T9_mT8_P12ihipStream_tbDpT10_ENKUlT_T0_E_clISt17integral_constantIbLb0EES16_EEDaS11_S12_EUlS11_E_NS1_11comp_targetILNS1_3genE4ELNS1_11target_archE910ELNS1_3gpuE8ELNS1_3repE0EEENS1_30default_config_static_selectorELNS0_4arch9wavefront6targetE1EEEvT1_
                                        ; -- End function
	.section	.AMDGPU.csdata,"",@progbits
; Kernel info:
; codeLenInByte = 0
; NumSgprs: 6
; NumVgprs: 0
; NumAgprs: 0
; TotalNumVgprs: 0
; ScratchSize: 0
; MemoryBound: 0
; FloatMode: 240
; IeeeMode: 1
; LDSByteSize: 0 bytes/workgroup (compile time only)
; SGPRBlocks: 0
; VGPRBlocks: 0
; NumSGPRsForWavesPerEU: 6
; NumVGPRsForWavesPerEU: 1
; AccumOffset: 4
; Occupancy: 8
; WaveLimiterHint : 0
; COMPUTE_PGM_RSRC2:SCRATCH_EN: 0
; COMPUTE_PGM_RSRC2:USER_SGPR: 2
; COMPUTE_PGM_RSRC2:TRAP_HANDLER: 0
; COMPUTE_PGM_RSRC2:TGID_X_EN: 1
; COMPUTE_PGM_RSRC2:TGID_Y_EN: 0
; COMPUTE_PGM_RSRC2:TGID_Z_EN: 0
; COMPUTE_PGM_RSRC2:TIDIG_COMP_CNT: 0
; COMPUTE_PGM_RSRC3_GFX90A:ACCUM_OFFSET: 0
; COMPUTE_PGM_RSRC3_GFX90A:TG_SPLIT: 0
	.section	.text._ZN7rocprim17ROCPRIM_400000_NS6detail17trampoline_kernelINS0_14default_configENS1_25partition_config_selectorILNS1_17partition_subalgoE0EyNS0_10empty_typeEbEEZZNS1_14partition_implILS5_0ELb0ES3_jN6thrust23THRUST_200600_302600_NS6detail15normal_iteratorINSA_10device_ptrIyEEEEPS6_SG_NS0_5tupleIJSF_SF_EEENSH_IJSG_SG_EEES6_PlJ7is_evenIyEEEE10hipError_tPvRmT3_T4_T5_T6_T7_T9_mT8_P12ihipStream_tbDpT10_ENKUlT_T0_E_clISt17integral_constantIbLb0EES16_EEDaS11_S12_EUlS11_E_NS1_11comp_targetILNS1_3genE3ELNS1_11target_archE908ELNS1_3gpuE7ELNS1_3repE0EEENS1_30default_config_static_selectorELNS0_4arch9wavefront6targetE1EEEvT1_,"axG",@progbits,_ZN7rocprim17ROCPRIM_400000_NS6detail17trampoline_kernelINS0_14default_configENS1_25partition_config_selectorILNS1_17partition_subalgoE0EyNS0_10empty_typeEbEEZZNS1_14partition_implILS5_0ELb0ES3_jN6thrust23THRUST_200600_302600_NS6detail15normal_iteratorINSA_10device_ptrIyEEEEPS6_SG_NS0_5tupleIJSF_SF_EEENSH_IJSG_SG_EEES6_PlJ7is_evenIyEEEE10hipError_tPvRmT3_T4_T5_T6_T7_T9_mT8_P12ihipStream_tbDpT10_ENKUlT_T0_E_clISt17integral_constantIbLb0EES16_EEDaS11_S12_EUlS11_E_NS1_11comp_targetILNS1_3genE3ELNS1_11target_archE908ELNS1_3gpuE7ELNS1_3repE0EEENS1_30default_config_static_selectorELNS0_4arch9wavefront6targetE1EEEvT1_,comdat
	.protected	_ZN7rocprim17ROCPRIM_400000_NS6detail17trampoline_kernelINS0_14default_configENS1_25partition_config_selectorILNS1_17partition_subalgoE0EyNS0_10empty_typeEbEEZZNS1_14partition_implILS5_0ELb0ES3_jN6thrust23THRUST_200600_302600_NS6detail15normal_iteratorINSA_10device_ptrIyEEEEPS6_SG_NS0_5tupleIJSF_SF_EEENSH_IJSG_SG_EEES6_PlJ7is_evenIyEEEE10hipError_tPvRmT3_T4_T5_T6_T7_T9_mT8_P12ihipStream_tbDpT10_ENKUlT_T0_E_clISt17integral_constantIbLb0EES16_EEDaS11_S12_EUlS11_E_NS1_11comp_targetILNS1_3genE3ELNS1_11target_archE908ELNS1_3gpuE7ELNS1_3repE0EEENS1_30default_config_static_selectorELNS0_4arch9wavefront6targetE1EEEvT1_ ; -- Begin function _ZN7rocprim17ROCPRIM_400000_NS6detail17trampoline_kernelINS0_14default_configENS1_25partition_config_selectorILNS1_17partition_subalgoE0EyNS0_10empty_typeEbEEZZNS1_14partition_implILS5_0ELb0ES3_jN6thrust23THRUST_200600_302600_NS6detail15normal_iteratorINSA_10device_ptrIyEEEEPS6_SG_NS0_5tupleIJSF_SF_EEENSH_IJSG_SG_EEES6_PlJ7is_evenIyEEEE10hipError_tPvRmT3_T4_T5_T6_T7_T9_mT8_P12ihipStream_tbDpT10_ENKUlT_T0_E_clISt17integral_constantIbLb0EES16_EEDaS11_S12_EUlS11_E_NS1_11comp_targetILNS1_3genE3ELNS1_11target_archE908ELNS1_3gpuE7ELNS1_3repE0EEENS1_30default_config_static_selectorELNS0_4arch9wavefront6targetE1EEEvT1_
	.globl	_ZN7rocprim17ROCPRIM_400000_NS6detail17trampoline_kernelINS0_14default_configENS1_25partition_config_selectorILNS1_17partition_subalgoE0EyNS0_10empty_typeEbEEZZNS1_14partition_implILS5_0ELb0ES3_jN6thrust23THRUST_200600_302600_NS6detail15normal_iteratorINSA_10device_ptrIyEEEEPS6_SG_NS0_5tupleIJSF_SF_EEENSH_IJSG_SG_EEES6_PlJ7is_evenIyEEEE10hipError_tPvRmT3_T4_T5_T6_T7_T9_mT8_P12ihipStream_tbDpT10_ENKUlT_T0_E_clISt17integral_constantIbLb0EES16_EEDaS11_S12_EUlS11_E_NS1_11comp_targetILNS1_3genE3ELNS1_11target_archE908ELNS1_3gpuE7ELNS1_3repE0EEENS1_30default_config_static_selectorELNS0_4arch9wavefront6targetE1EEEvT1_
	.p2align	8
	.type	_ZN7rocprim17ROCPRIM_400000_NS6detail17trampoline_kernelINS0_14default_configENS1_25partition_config_selectorILNS1_17partition_subalgoE0EyNS0_10empty_typeEbEEZZNS1_14partition_implILS5_0ELb0ES3_jN6thrust23THRUST_200600_302600_NS6detail15normal_iteratorINSA_10device_ptrIyEEEEPS6_SG_NS0_5tupleIJSF_SF_EEENSH_IJSG_SG_EEES6_PlJ7is_evenIyEEEE10hipError_tPvRmT3_T4_T5_T6_T7_T9_mT8_P12ihipStream_tbDpT10_ENKUlT_T0_E_clISt17integral_constantIbLb0EES16_EEDaS11_S12_EUlS11_E_NS1_11comp_targetILNS1_3genE3ELNS1_11target_archE908ELNS1_3gpuE7ELNS1_3repE0EEENS1_30default_config_static_selectorELNS0_4arch9wavefront6targetE1EEEvT1_,@function
_ZN7rocprim17ROCPRIM_400000_NS6detail17trampoline_kernelINS0_14default_configENS1_25partition_config_selectorILNS1_17partition_subalgoE0EyNS0_10empty_typeEbEEZZNS1_14partition_implILS5_0ELb0ES3_jN6thrust23THRUST_200600_302600_NS6detail15normal_iteratorINSA_10device_ptrIyEEEEPS6_SG_NS0_5tupleIJSF_SF_EEENSH_IJSG_SG_EEES6_PlJ7is_evenIyEEEE10hipError_tPvRmT3_T4_T5_T6_T7_T9_mT8_P12ihipStream_tbDpT10_ENKUlT_T0_E_clISt17integral_constantIbLb0EES16_EEDaS11_S12_EUlS11_E_NS1_11comp_targetILNS1_3genE3ELNS1_11target_archE908ELNS1_3gpuE7ELNS1_3repE0EEENS1_30default_config_static_selectorELNS0_4arch9wavefront6targetE1EEEvT1_: ; @_ZN7rocprim17ROCPRIM_400000_NS6detail17trampoline_kernelINS0_14default_configENS1_25partition_config_selectorILNS1_17partition_subalgoE0EyNS0_10empty_typeEbEEZZNS1_14partition_implILS5_0ELb0ES3_jN6thrust23THRUST_200600_302600_NS6detail15normal_iteratorINSA_10device_ptrIyEEEEPS6_SG_NS0_5tupleIJSF_SF_EEENSH_IJSG_SG_EEES6_PlJ7is_evenIyEEEE10hipError_tPvRmT3_T4_T5_T6_T7_T9_mT8_P12ihipStream_tbDpT10_ENKUlT_T0_E_clISt17integral_constantIbLb0EES16_EEDaS11_S12_EUlS11_E_NS1_11comp_targetILNS1_3genE3ELNS1_11target_archE908ELNS1_3gpuE7ELNS1_3repE0EEENS1_30default_config_static_selectorELNS0_4arch9wavefront6targetE1EEEvT1_
; %bb.0:
	.section	.rodata,"a",@progbits
	.p2align	6, 0x0
	.amdhsa_kernel _ZN7rocprim17ROCPRIM_400000_NS6detail17trampoline_kernelINS0_14default_configENS1_25partition_config_selectorILNS1_17partition_subalgoE0EyNS0_10empty_typeEbEEZZNS1_14partition_implILS5_0ELb0ES3_jN6thrust23THRUST_200600_302600_NS6detail15normal_iteratorINSA_10device_ptrIyEEEEPS6_SG_NS0_5tupleIJSF_SF_EEENSH_IJSG_SG_EEES6_PlJ7is_evenIyEEEE10hipError_tPvRmT3_T4_T5_T6_T7_T9_mT8_P12ihipStream_tbDpT10_ENKUlT_T0_E_clISt17integral_constantIbLb0EES16_EEDaS11_S12_EUlS11_E_NS1_11comp_targetILNS1_3genE3ELNS1_11target_archE908ELNS1_3gpuE7ELNS1_3repE0EEENS1_30default_config_static_selectorELNS0_4arch9wavefront6targetE1EEEvT1_
		.amdhsa_group_segment_fixed_size 0
		.amdhsa_private_segment_fixed_size 0
		.amdhsa_kernarg_size 120
		.amdhsa_user_sgpr_count 2
		.amdhsa_user_sgpr_dispatch_ptr 0
		.amdhsa_user_sgpr_queue_ptr 0
		.amdhsa_user_sgpr_kernarg_segment_ptr 1
		.amdhsa_user_sgpr_dispatch_id 0
		.amdhsa_user_sgpr_kernarg_preload_length 0
		.amdhsa_user_sgpr_kernarg_preload_offset 0
		.amdhsa_user_sgpr_private_segment_size 0
		.amdhsa_uses_dynamic_stack 0
		.amdhsa_enable_private_segment 0
		.amdhsa_system_sgpr_workgroup_id_x 1
		.amdhsa_system_sgpr_workgroup_id_y 0
		.amdhsa_system_sgpr_workgroup_id_z 0
		.amdhsa_system_sgpr_workgroup_info 0
		.amdhsa_system_vgpr_workitem_id 0
		.amdhsa_next_free_vgpr 1
		.amdhsa_next_free_sgpr 0
		.amdhsa_accum_offset 4
		.amdhsa_reserve_vcc 0
		.amdhsa_float_round_mode_32 0
		.amdhsa_float_round_mode_16_64 0
		.amdhsa_float_denorm_mode_32 3
		.amdhsa_float_denorm_mode_16_64 3
		.amdhsa_dx10_clamp 1
		.amdhsa_ieee_mode 1
		.amdhsa_fp16_overflow 0
		.amdhsa_tg_split 0
		.amdhsa_exception_fp_ieee_invalid_op 0
		.amdhsa_exception_fp_denorm_src 0
		.amdhsa_exception_fp_ieee_div_zero 0
		.amdhsa_exception_fp_ieee_overflow 0
		.amdhsa_exception_fp_ieee_underflow 0
		.amdhsa_exception_fp_ieee_inexact 0
		.amdhsa_exception_int_div_zero 0
	.end_amdhsa_kernel
	.section	.text._ZN7rocprim17ROCPRIM_400000_NS6detail17trampoline_kernelINS0_14default_configENS1_25partition_config_selectorILNS1_17partition_subalgoE0EyNS0_10empty_typeEbEEZZNS1_14partition_implILS5_0ELb0ES3_jN6thrust23THRUST_200600_302600_NS6detail15normal_iteratorINSA_10device_ptrIyEEEEPS6_SG_NS0_5tupleIJSF_SF_EEENSH_IJSG_SG_EEES6_PlJ7is_evenIyEEEE10hipError_tPvRmT3_T4_T5_T6_T7_T9_mT8_P12ihipStream_tbDpT10_ENKUlT_T0_E_clISt17integral_constantIbLb0EES16_EEDaS11_S12_EUlS11_E_NS1_11comp_targetILNS1_3genE3ELNS1_11target_archE908ELNS1_3gpuE7ELNS1_3repE0EEENS1_30default_config_static_selectorELNS0_4arch9wavefront6targetE1EEEvT1_,"axG",@progbits,_ZN7rocprim17ROCPRIM_400000_NS6detail17trampoline_kernelINS0_14default_configENS1_25partition_config_selectorILNS1_17partition_subalgoE0EyNS0_10empty_typeEbEEZZNS1_14partition_implILS5_0ELb0ES3_jN6thrust23THRUST_200600_302600_NS6detail15normal_iteratorINSA_10device_ptrIyEEEEPS6_SG_NS0_5tupleIJSF_SF_EEENSH_IJSG_SG_EEES6_PlJ7is_evenIyEEEE10hipError_tPvRmT3_T4_T5_T6_T7_T9_mT8_P12ihipStream_tbDpT10_ENKUlT_T0_E_clISt17integral_constantIbLb0EES16_EEDaS11_S12_EUlS11_E_NS1_11comp_targetILNS1_3genE3ELNS1_11target_archE908ELNS1_3gpuE7ELNS1_3repE0EEENS1_30default_config_static_selectorELNS0_4arch9wavefront6targetE1EEEvT1_,comdat
.Lfunc_end2107:
	.size	_ZN7rocprim17ROCPRIM_400000_NS6detail17trampoline_kernelINS0_14default_configENS1_25partition_config_selectorILNS1_17partition_subalgoE0EyNS0_10empty_typeEbEEZZNS1_14partition_implILS5_0ELb0ES3_jN6thrust23THRUST_200600_302600_NS6detail15normal_iteratorINSA_10device_ptrIyEEEEPS6_SG_NS0_5tupleIJSF_SF_EEENSH_IJSG_SG_EEES6_PlJ7is_evenIyEEEE10hipError_tPvRmT3_T4_T5_T6_T7_T9_mT8_P12ihipStream_tbDpT10_ENKUlT_T0_E_clISt17integral_constantIbLb0EES16_EEDaS11_S12_EUlS11_E_NS1_11comp_targetILNS1_3genE3ELNS1_11target_archE908ELNS1_3gpuE7ELNS1_3repE0EEENS1_30default_config_static_selectorELNS0_4arch9wavefront6targetE1EEEvT1_, .Lfunc_end2107-_ZN7rocprim17ROCPRIM_400000_NS6detail17trampoline_kernelINS0_14default_configENS1_25partition_config_selectorILNS1_17partition_subalgoE0EyNS0_10empty_typeEbEEZZNS1_14partition_implILS5_0ELb0ES3_jN6thrust23THRUST_200600_302600_NS6detail15normal_iteratorINSA_10device_ptrIyEEEEPS6_SG_NS0_5tupleIJSF_SF_EEENSH_IJSG_SG_EEES6_PlJ7is_evenIyEEEE10hipError_tPvRmT3_T4_T5_T6_T7_T9_mT8_P12ihipStream_tbDpT10_ENKUlT_T0_E_clISt17integral_constantIbLb0EES16_EEDaS11_S12_EUlS11_E_NS1_11comp_targetILNS1_3genE3ELNS1_11target_archE908ELNS1_3gpuE7ELNS1_3repE0EEENS1_30default_config_static_selectorELNS0_4arch9wavefront6targetE1EEEvT1_
                                        ; -- End function
	.section	.AMDGPU.csdata,"",@progbits
; Kernel info:
; codeLenInByte = 0
; NumSgprs: 6
; NumVgprs: 0
; NumAgprs: 0
; TotalNumVgprs: 0
; ScratchSize: 0
; MemoryBound: 0
; FloatMode: 240
; IeeeMode: 1
; LDSByteSize: 0 bytes/workgroup (compile time only)
; SGPRBlocks: 0
; VGPRBlocks: 0
; NumSGPRsForWavesPerEU: 6
; NumVGPRsForWavesPerEU: 1
; AccumOffset: 4
; Occupancy: 8
; WaveLimiterHint : 0
; COMPUTE_PGM_RSRC2:SCRATCH_EN: 0
; COMPUTE_PGM_RSRC2:USER_SGPR: 2
; COMPUTE_PGM_RSRC2:TRAP_HANDLER: 0
; COMPUTE_PGM_RSRC2:TGID_X_EN: 1
; COMPUTE_PGM_RSRC2:TGID_Y_EN: 0
; COMPUTE_PGM_RSRC2:TGID_Z_EN: 0
; COMPUTE_PGM_RSRC2:TIDIG_COMP_CNT: 0
; COMPUTE_PGM_RSRC3_GFX90A:ACCUM_OFFSET: 0
; COMPUTE_PGM_RSRC3_GFX90A:TG_SPLIT: 0
	.section	.text._ZN7rocprim17ROCPRIM_400000_NS6detail17trampoline_kernelINS0_14default_configENS1_25partition_config_selectorILNS1_17partition_subalgoE0EyNS0_10empty_typeEbEEZZNS1_14partition_implILS5_0ELb0ES3_jN6thrust23THRUST_200600_302600_NS6detail15normal_iteratorINSA_10device_ptrIyEEEEPS6_SG_NS0_5tupleIJSF_SF_EEENSH_IJSG_SG_EEES6_PlJ7is_evenIyEEEE10hipError_tPvRmT3_T4_T5_T6_T7_T9_mT8_P12ihipStream_tbDpT10_ENKUlT_T0_E_clISt17integral_constantIbLb0EES16_EEDaS11_S12_EUlS11_E_NS1_11comp_targetILNS1_3genE2ELNS1_11target_archE906ELNS1_3gpuE6ELNS1_3repE0EEENS1_30default_config_static_selectorELNS0_4arch9wavefront6targetE1EEEvT1_,"axG",@progbits,_ZN7rocprim17ROCPRIM_400000_NS6detail17trampoline_kernelINS0_14default_configENS1_25partition_config_selectorILNS1_17partition_subalgoE0EyNS0_10empty_typeEbEEZZNS1_14partition_implILS5_0ELb0ES3_jN6thrust23THRUST_200600_302600_NS6detail15normal_iteratorINSA_10device_ptrIyEEEEPS6_SG_NS0_5tupleIJSF_SF_EEENSH_IJSG_SG_EEES6_PlJ7is_evenIyEEEE10hipError_tPvRmT3_T4_T5_T6_T7_T9_mT8_P12ihipStream_tbDpT10_ENKUlT_T0_E_clISt17integral_constantIbLb0EES16_EEDaS11_S12_EUlS11_E_NS1_11comp_targetILNS1_3genE2ELNS1_11target_archE906ELNS1_3gpuE6ELNS1_3repE0EEENS1_30default_config_static_selectorELNS0_4arch9wavefront6targetE1EEEvT1_,comdat
	.protected	_ZN7rocprim17ROCPRIM_400000_NS6detail17trampoline_kernelINS0_14default_configENS1_25partition_config_selectorILNS1_17partition_subalgoE0EyNS0_10empty_typeEbEEZZNS1_14partition_implILS5_0ELb0ES3_jN6thrust23THRUST_200600_302600_NS6detail15normal_iteratorINSA_10device_ptrIyEEEEPS6_SG_NS0_5tupleIJSF_SF_EEENSH_IJSG_SG_EEES6_PlJ7is_evenIyEEEE10hipError_tPvRmT3_T4_T5_T6_T7_T9_mT8_P12ihipStream_tbDpT10_ENKUlT_T0_E_clISt17integral_constantIbLb0EES16_EEDaS11_S12_EUlS11_E_NS1_11comp_targetILNS1_3genE2ELNS1_11target_archE906ELNS1_3gpuE6ELNS1_3repE0EEENS1_30default_config_static_selectorELNS0_4arch9wavefront6targetE1EEEvT1_ ; -- Begin function _ZN7rocprim17ROCPRIM_400000_NS6detail17trampoline_kernelINS0_14default_configENS1_25partition_config_selectorILNS1_17partition_subalgoE0EyNS0_10empty_typeEbEEZZNS1_14partition_implILS5_0ELb0ES3_jN6thrust23THRUST_200600_302600_NS6detail15normal_iteratorINSA_10device_ptrIyEEEEPS6_SG_NS0_5tupleIJSF_SF_EEENSH_IJSG_SG_EEES6_PlJ7is_evenIyEEEE10hipError_tPvRmT3_T4_T5_T6_T7_T9_mT8_P12ihipStream_tbDpT10_ENKUlT_T0_E_clISt17integral_constantIbLb0EES16_EEDaS11_S12_EUlS11_E_NS1_11comp_targetILNS1_3genE2ELNS1_11target_archE906ELNS1_3gpuE6ELNS1_3repE0EEENS1_30default_config_static_selectorELNS0_4arch9wavefront6targetE1EEEvT1_
	.globl	_ZN7rocprim17ROCPRIM_400000_NS6detail17trampoline_kernelINS0_14default_configENS1_25partition_config_selectorILNS1_17partition_subalgoE0EyNS0_10empty_typeEbEEZZNS1_14partition_implILS5_0ELb0ES3_jN6thrust23THRUST_200600_302600_NS6detail15normal_iteratorINSA_10device_ptrIyEEEEPS6_SG_NS0_5tupleIJSF_SF_EEENSH_IJSG_SG_EEES6_PlJ7is_evenIyEEEE10hipError_tPvRmT3_T4_T5_T6_T7_T9_mT8_P12ihipStream_tbDpT10_ENKUlT_T0_E_clISt17integral_constantIbLb0EES16_EEDaS11_S12_EUlS11_E_NS1_11comp_targetILNS1_3genE2ELNS1_11target_archE906ELNS1_3gpuE6ELNS1_3repE0EEENS1_30default_config_static_selectorELNS0_4arch9wavefront6targetE1EEEvT1_
	.p2align	8
	.type	_ZN7rocprim17ROCPRIM_400000_NS6detail17trampoline_kernelINS0_14default_configENS1_25partition_config_selectorILNS1_17partition_subalgoE0EyNS0_10empty_typeEbEEZZNS1_14partition_implILS5_0ELb0ES3_jN6thrust23THRUST_200600_302600_NS6detail15normal_iteratorINSA_10device_ptrIyEEEEPS6_SG_NS0_5tupleIJSF_SF_EEENSH_IJSG_SG_EEES6_PlJ7is_evenIyEEEE10hipError_tPvRmT3_T4_T5_T6_T7_T9_mT8_P12ihipStream_tbDpT10_ENKUlT_T0_E_clISt17integral_constantIbLb0EES16_EEDaS11_S12_EUlS11_E_NS1_11comp_targetILNS1_3genE2ELNS1_11target_archE906ELNS1_3gpuE6ELNS1_3repE0EEENS1_30default_config_static_selectorELNS0_4arch9wavefront6targetE1EEEvT1_,@function
_ZN7rocprim17ROCPRIM_400000_NS6detail17trampoline_kernelINS0_14default_configENS1_25partition_config_selectorILNS1_17partition_subalgoE0EyNS0_10empty_typeEbEEZZNS1_14partition_implILS5_0ELb0ES3_jN6thrust23THRUST_200600_302600_NS6detail15normal_iteratorINSA_10device_ptrIyEEEEPS6_SG_NS0_5tupleIJSF_SF_EEENSH_IJSG_SG_EEES6_PlJ7is_evenIyEEEE10hipError_tPvRmT3_T4_T5_T6_T7_T9_mT8_P12ihipStream_tbDpT10_ENKUlT_T0_E_clISt17integral_constantIbLb0EES16_EEDaS11_S12_EUlS11_E_NS1_11comp_targetILNS1_3genE2ELNS1_11target_archE906ELNS1_3gpuE6ELNS1_3repE0EEENS1_30default_config_static_selectorELNS0_4arch9wavefront6targetE1EEEvT1_: ; @_ZN7rocprim17ROCPRIM_400000_NS6detail17trampoline_kernelINS0_14default_configENS1_25partition_config_selectorILNS1_17partition_subalgoE0EyNS0_10empty_typeEbEEZZNS1_14partition_implILS5_0ELb0ES3_jN6thrust23THRUST_200600_302600_NS6detail15normal_iteratorINSA_10device_ptrIyEEEEPS6_SG_NS0_5tupleIJSF_SF_EEENSH_IJSG_SG_EEES6_PlJ7is_evenIyEEEE10hipError_tPvRmT3_T4_T5_T6_T7_T9_mT8_P12ihipStream_tbDpT10_ENKUlT_T0_E_clISt17integral_constantIbLb0EES16_EEDaS11_S12_EUlS11_E_NS1_11comp_targetILNS1_3genE2ELNS1_11target_archE906ELNS1_3gpuE6ELNS1_3repE0EEENS1_30default_config_static_selectorELNS0_4arch9wavefront6targetE1EEEvT1_
; %bb.0:
	.section	.rodata,"a",@progbits
	.p2align	6, 0x0
	.amdhsa_kernel _ZN7rocprim17ROCPRIM_400000_NS6detail17trampoline_kernelINS0_14default_configENS1_25partition_config_selectorILNS1_17partition_subalgoE0EyNS0_10empty_typeEbEEZZNS1_14partition_implILS5_0ELb0ES3_jN6thrust23THRUST_200600_302600_NS6detail15normal_iteratorINSA_10device_ptrIyEEEEPS6_SG_NS0_5tupleIJSF_SF_EEENSH_IJSG_SG_EEES6_PlJ7is_evenIyEEEE10hipError_tPvRmT3_T4_T5_T6_T7_T9_mT8_P12ihipStream_tbDpT10_ENKUlT_T0_E_clISt17integral_constantIbLb0EES16_EEDaS11_S12_EUlS11_E_NS1_11comp_targetILNS1_3genE2ELNS1_11target_archE906ELNS1_3gpuE6ELNS1_3repE0EEENS1_30default_config_static_selectorELNS0_4arch9wavefront6targetE1EEEvT1_
		.amdhsa_group_segment_fixed_size 0
		.amdhsa_private_segment_fixed_size 0
		.amdhsa_kernarg_size 120
		.amdhsa_user_sgpr_count 2
		.amdhsa_user_sgpr_dispatch_ptr 0
		.amdhsa_user_sgpr_queue_ptr 0
		.amdhsa_user_sgpr_kernarg_segment_ptr 1
		.amdhsa_user_sgpr_dispatch_id 0
		.amdhsa_user_sgpr_kernarg_preload_length 0
		.amdhsa_user_sgpr_kernarg_preload_offset 0
		.amdhsa_user_sgpr_private_segment_size 0
		.amdhsa_uses_dynamic_stack 0
		.amdhsa_enable_private_segment 0
		.amdhsa_system_sgpr_workgroup_id_x 1
		.amdhsa_system_sgpr_workgroup_id_y 0
		.amdhsa_system_sgpr_workgroup_id_z 0
		.amdhsa_system_sgpr_workgroup_info 0
		.amdhsa_system_vgpr_workitem_id 0
		.amdhsa_next_free_vgpr 1
		.amdhsa_next_free_sgpr 0
		.amdhsa_accum_offset 4
		.amdhsa_reserve_vcc 0
		.amdhsa_float_round_mode_32 0
		.amdhsa_float_round_mode_16_64 0
		.amdhsa_float_denorm_mode_32 3
		.amdhsa_float_denorm_mode_16_64 3
		.amdhsa_dx10_clamp 1
		.amdhsa_ieee_mode 1
		.amdhsa_fp16_overflow 0
		.amdhsa_tg_split 0
		.amdhsa_exception_fp_ieee_invalid_op 0
		.amdhsa_exception_fp_denorm_src 0
		.amdhsa_exception_fp_ieee_div_zero 0
		.amdhsa_exception_fp_ieee_overflow 0
		.amdhsa_exception_fp_ieee_underflow 0
		.amdhsa_exception_fp_ieee_inexact 0
		.amdhsa_exception_int_div_zero 0
	.end_amdhsa_kernel
	.section	.text._ZN7rocprim17ROCPRIM_400000_NS6detail17trampoline_kernelINS0_14default_configENS1_25partition_config_selectorILNS1_17partition_subalgoE0EyNS0_10empty_typeEbEEZZNS1_14partition_implILS5_0ELb0ES3_jN6thrust23THRUST_200600_302600_NS6detail15normal_iteratorINSA_10device_ptrIyEEEEPS6_SG_NS0_5tupleIJSF_SF_EEENSH_IJSG_SG_EEES6_PlJ7is_evenIyEEEE10hipError_tPvRmT3_T4_T5_T6_T7_T9_mT8_P12ihipStream_tbDpT10_ENKUlT_T0_E_clISt17integral_constantIbLb0EES16_EEDaS11_S12_EUlS11_E_NS1_11comp_targetILNS1_3genE2ELNS1_11target_archE906ELNS1_3gpuE6ELNS1_3repE0EEENS1_30default_config_static_selectorELNS0_4arch9wavefront6targetE1EEEvT1_,"axG",@progbits,_ZN7rocprim17ROCPRIM_400000_NS6detail17trampoline_kernelINS0_14default_configENS1_25partition_config_selectorILNS1_17partition_subalgoE0EyNS0_10empty_typeEbEEZZNS1_14partition_implILS5_0ELb0ES3_jN6thrust23THRUST_200600_302600_NS6detail15normal_iteratorINSA_10device_ptrIyEEEEPS6_SG_NS0_5tupleIJSF_SF_EEENSH_IJSG_SG_EEES6_PlJ7is_evenIyEEEE10hipError_tPvRmT3_T4_T5_T6_T7_T9_mT8_P12ihipStream_tbDpT10_ENKUlT_T0_E_clISt17integral_constantIbLb0EES16_EEDaS11_S12_EUlS11_E_NS1_11comp_targetILNS1_3genE2ELNS1_11target_archE906ELNS1_3gpuE6ELNS1_3repE0EEENS1_30default_config_static_selectorELNS0_4arch9wavefront6targetE1EEEvT1_,comdat
.Lfunc_end2108:
	.size	_ZN7rocprim17ROCPRIM_400000_NS6detail17trampoline_kernelINS0_14default_configENS1_25partition_config_selectorILNS1_17partition_subalgoE0EyNS0_10empty_typeEbEEZZNS1_14partition_implILS5_0ELb0ES3_jN6thrust23THRUST_200600_302600_NS6detail15normal_iteratorINSA_10device_ptrIyEEEEPS6_SG_NS0_5tupleIJSF_SF_EEENSH_IJSG_SG_EEES6_PlJ7is_evenIyEEEE10hipError_tPvRmT3_T4_T5_T6_T7_T9_mT8_P12ihipStream_tbDpT10_ENKUlT_T0_E_clISt17integral_constantIbLb0EES16_EEDaS11_S12_EUlS11_E_NS1_11comp_targetILNS1_3genE2ELNS1_11target_archE906ELNS1_3gpuE6ELNS1_3repE0EEENS1_30default_config_static_selectorELNS0_4arch9wavefront6targetE1EEEvT1_, .Lfunc_end2108-_ZN7rocprim17ROCPRIM_400000_NS6detail17trampoline_kernelINS0_14default_configENS1_25partition_config_selectorILNS1_17partition_subalgoE0EyNS0_10empty_typeEbEEZZNS1_14partition_implILS5_0ELb0ES3_jN6thrust23THRUST_200600_302600_NS6detail15normal_iteratorINSA_10device_ptrIyEEEEPS6_SG_NS0_5tupleIJSF_SF_EEENSH_IJSG_SG_EEES6_PlJ7is_evenIyEEEE10hipError_tPvRmT3_T4_T5_T6_T7_T9_mT8_P12ihipStream_tbDpT10_ENKUlT_T0_E_clISt17integral_constantIbLb0EES16_EEDaS11_S12_EUlS11_E_NS1_11comp_targetILNS1_3genE2ELNS1_11target_archE906ELNS1_3gpuE6ELNS1_3repE0EEENS1_30default_config_static_selectorELNS0_4arch9wavefront6targetE1EEEvT1_
                                        ; -- End function
	.section	.AMDGPU.csdata,"",@progbits
; Kernel info:
; codeLenInByte = 0
; NumSgprs: 6
; NumVgprs: 0
; NumAgprs: 0
; TotalNumVgprs: 0
; ScratchSize: 0
; MemoryBound: 0
; FloatMode: 240
; IeeeMode: 1
; LDSByteSize: 0 bytes/workgroup (compile time only)
; SGPRBlocks: 0
; VGPRBlocks: 0
; NumSGPRsForWavesPerEU: 6
; NumVGPRsForWavesPerEU: 1
; AccumOffset: 4
; Occupancy: 8
; WaveLimiterHint : 0
; COMPUTE_PGM_RSRC2:SCRATCH_EN: 0
; COMPUTE_PGM_RSRC2:USER_SGPR: 2
; COMPUTE_PGM_RSRC2:TRAP_HANDLER: 0
; COMPUTE_PGM_RSRC2:TGID_X_EN: 1
; COMPUTE_PGM_RSRC2:TGID_Y_EN: 0
; COMPUTE_PGM_RSRC2:TGID_Z_EN: 0
; COMPUTE_PGM_RSRC2:TIDIG_COMP_CNT: 0
; COMPUTE_PGM_RSRC3_GFX90A:ACCUM_OFFSET: 0
; COMPUTE_PGM_RSRC3_GFX90A:TG_SPLIT: 0
	.section	.text._ZN7rocprim17ROCPRIM_400000_NS6detail17trampoline_kernelINS0_14default_configENS1_25partition_config_selectorILNS1_17partition_subalgoE0EyNS0_10empty_typeEbEEZZNS1_14partition_implILS5_0ELb0ES3_jN6thrust23THRUST_200600_302600_NS6detail15normal_iteratorINSA_10device_ptrIyEEEEPS6_SG_NS0_5tupleIJSF_SF_EEENSH_IJSG_SG_EEES6_PlJ7is_evenIyEEEE10hipError_tPvRmT3_T4_T5_T6_T7_T9_mT8_P12ihipStream_tbDpT10_ENKUlT_T0_E_clISt17integral_constantIbLb0EES16_EEDaS11_S12_EUlS11_E_NS1_11comp_targetILNS1_3genE10ELNS1_11target_archE1200ELNS1_3gpuE4ELNS1_3repE0EEENS1_30default_config_static_selectorELNS0_4arch9wavefront6targetE1EEEvT1_,"axG",@progbits,_ZN7rocprim17ROCPRIM_400000_NS6detail17trampoline_kernelINS0_14default_configENS1_25partition_config_selectorILNS1_17partition_subalgoE0EyNS0_10empty_typeEbEEZZNS1_14partition_implILS5_0ELb0ES3_jN6thrust23THRUST_200600_302600_NS6detail15normal_iteratorINSA_10device_ptrIyEEEEPS6_SG_NS0_5tupleIJSF_SF_EEENSH_IJSG_SG_EEES6_PlJ7is_evenIyEEEE10hipError_tPvRmT3_T4_T5_T6_T7_T9_mT8_P12ihipStream_tbDpT10_ENKUlT_T0_E_clISt17integral_constantIbLb0EES16_EEDaS11_S12_EUlS11_E_NS1_11comp_targetILNS1_3genE10ELNS1_11target_archE1200ELNS1_3gpuE4ELNS1_3repE0EEENS1_30default_config_static_selectorELNS0_4arch9wavefront6targetE1EEEvT1_,comdat
	.protected	_ZN7rocprim17ROCPRIM_400000_NS6detail17trampoline_kernelINS0_14default_configENS1_25partition_config_selectorILNS1_17partition_subalgoE0EyNS0_10empty_typeEbEEZZNS1_14partition_implILS5_0ELb0ES3_jN6thrust23THRUST_200600_302600_NS6detail15normal_iteratorINSA_10device_ptrIyEEEEPS6_SG_NS0_5tupleIJSF_SF_EEENSH_IJSG_SG_EEES6_PlJ7is_evenIyEEEE10hipError_tPvRmT3_T4_T5_T6_T7_T9_mT8_P12ihipStream_tbDpT10_ENKUlT_T0_E_clISt17integral_constantIbLb0EES16_EEDaS11_S12_EUlS11_E_NS1_11comp_targetILNS1_3genE10ELNS1_11target_archE1200ELNS1_3gpuE4ELNS1_3repE0EEENS1_30default_config_static_selectorELNS0_4arch9wavefront6targetE1EEEvT1_ ; -- Begin function _ZN7rocprim17ROCPRIM_400000_NS6detail17trampoline_kernelINS0_14default_configENS1_25partition_config_selectorILNS1_17partition_subalgoE0EyNS0_10empty_typeEbEEZZNS1_14partition_implILS5_0ELb0ES3_jN6thrust23THRUST_200600_302600_NS6detail15normal_iteratorINSA_10device_ptrIyEEEEPS6_SG_NS0_5tupleIJSF_SF_EEENSH_IJSG_SG_EEES6_PlJ7is_evenIyEEEE10hipError_tPvRmT3_T4_T5_T6_T7_T9_mT8_P12ihipStream_tbDpT10_ENKUlT_T0_E_clISt17integral_constantIbLb0EES16_EEDaS11_S12_EUlS11_E_NS1_11comp_targetILNS1_3genE10ELNS1_11target_archE1200ELNS1_3gpuE4ELNS1_3repE0EEENS1_30default_config_static_selectorELNS0_4arch9wavefront6targetE1EEEvT1_
	.globl	_ZN7rocprim17ROCPRIM_400000_NS6detail17trampoline_kernelINS0_14default_configENS1_25partition_config_selectorILNS1_17partition_subalgoE0EyNS0_10empty_typeEbEEZZNS1_14partition_implILS5_0ELb0ES3_jN6thrust23THRUST_200600_302600_NS6detail15normal_iteratorINSA_10device_ptrIyEEEEPS6_SG_NS0_5tupleIJSF_SF_EEENSH_IJSG_SG_EEES6_PlJ7is_evenIyEEEE10hipError_tPvRmT3_T4_T5_T6_T7_T9_mT8_P12ihipStream_tbDpT10_ENKUlT_T0_E_clISt17integral_constantIbLb0EES16_EEDaS11_S12_EUlS11_E_NS1_11comp_targetILNS1_3genE10ELNS1_11target_archE1200ELNS1_3gpuE4ELNS1_3repE0EEENS1_30default_config_static_selectorELNS0_4arch9wavefront6targetE1EEEvT1_
	.p2align	8
	.type	_ZN7rocprim17ROCPRIM_400000_NS6detail17trampoline_kernelINS0_14default_configENS1_25partition_config_selectorILNS1_17partition_subalgoE0EyNS0_10empty_typeEbEEZZNS1_14partition_implILS5_0ELb0ES3_jN6thrust23THRUST_200600_302600_NS6detail15normal_iteratorINSA_10device_ptrIyEEEEPS6_SG_NS0_5tupleIJSF_SF_EEENSH_IJSG_SG_EEES6_PlJ7is_evenIyEEEE10hipError_tPvRmT3_T4_T5_T6_T7_T9_mT8_P12ihipStream_tbDpT10_ENKUlT_T0_E_clISt17integral_constantIbLb0EES16_EEDaS11_S12_EUlS11_E_NS1_11comp_targetILNS1_3genE10ELNS1_11target_archE1200ELNS1_3gpuE4ELNS1_3repE0EEENS1_30default_config_static_selectorELNS0_4arch9wavefront6targetE1EEEvT1_,@function
_ZN7rocprim17ROCPRIM_400000_NS6detail17trampoline_kernelINS0_14default_configENS1_25partition_config_selectorILNS1_17partition_subalgoE0EyNS0_10empty_typeEbEEZZNS1_14partition_implILS5_0ELb0ES3_jN6thrust23THRUST_200600_302600_NS6detail15normal_iteratorINSA_10device_ptrIyEEEEPS6_SG_NS0_5tupleIJSF_SF_EEENSH_IJSG_SG_EEES6_PlJ7is_evenIyEEEE10hipError_tPvRmT3_T4_T5_T6_T7_T9_mT8_P12ihipStream_tbDpT10_ENKUlT_T0_E_clISt17integral_constantIbLb0EES16_EEDaS11_S12_EUlS11_E_NS1_11comp_targetILNS1_3genE10ELNS1_11target_archE1200ELNS1_3gpuE4ELNS1_3repE0EEENS1_30default_config_static_selectorELNS0_4arch9wavefront6targetE1EEEvT1_: ; @_ZN7rocprim17ROCPRIM_400000_NS6detail17trampoline_kernelINS0_14default_configENS1_25partition_config_selectorILNS1_17partition_subalgoE0EyNS0_10empty_typeEbEEZZNS1_14partition_implILS5_0ELb0ES3_jN6thrust23THRUST_200600_302600_NS6detail15normal_iteratorINSA_10device_ptrIyEEEEPS6_SG_NS0_5tupleIJSF_SF_EEENSH_IJSG_SG_EEES6_PlJ7is_evenIyEEEE10hipError_tPvRmT3_T4_T5_T6_T7_T9_mT8_P12ihipStream_tbDpT10_ENKUlT_T0_E_clISt17integral_constantIbLb0EES16_EEDaS11_S12_EUlS11_E_NS1_11comp_targetILNS1_3genE10ELNS1_11target_archE1200ELNS1_3gpuE4ELNS1_3repE0EEENS1_30default_config_static_selectorELNS0_4arch9wavefront6targetE1EEEvT1_
; %bb.0:
	.section	.rodata,"a",@progbits
	.p2align	6, 0x0
	.amdhsa_kernel _ZN7rocprim17ROCPRIM_400000_NS6detail17trampoline_kernelINS0_14default_configENS1_25partition_config_selectorILNS1_17partition_subalgoE0EyNS0_10empty_typeEbEEZZNS1_14partition_implILS5_0ELb0ES3_jN6thrust23THRUST_200600_302600_NS6detail15normal_iteratorINSA_10device_ptrIyEEEEPS6_SG_NS0_5tupleIJSF_SF_EEENSH_IJSG_SG_EEES6_PlJ7is_evenIyEEEE10hipError_tPvRmT3_T4_T5_T6_T7_T9_mT8_P12ihipStream_tbDpT10_ENKUlT_T0_E_clISt17integral_constantIbLb0EES16_EEDaS11_S12_EUlS11_E_NS1_11comp_targetILNS1_3genE10ELNS1_11target_archE1200ELNS1_3gpuE4ELNS1_3repE0EEENS1_30default_config_static_selectorELNS0_4arch9wavefront6targetE1EEEvT1_
		.amdhsa_group_segment_fixed_size 0
		.amdhsa_private_segment_fixed_size 0
		.amdhsa_kernarg_size 120
		.amdhsa_user_sgpr_count 2
		.amdhsa_user_sgpr_dispatch_ptr 0
		.amdhsa_user_sgpr_queue_ptr 0
		.amdhsa_user_sgpr_kernarg_segment_ptr 1
		.amdhsa_user_sgpr_dispatch_id 0
		.amdhsa_user_sgpr_kernarg_preload_length 0
		.amdhsa_user_sgpr_kernarg_preload_offset 0
		.amdhsa_user_sgpr_private_segment_size 0
		.amdhsa_uses_dynamic_stack 0
		.amdhsa_enable_private_segment 0
		.amdhsa_system_sgpr_workgroup_id_x 1
		.amdhsa_system_sgpr_workgroup_id_y 0
		.amdhsa_system_sgpr_workgroup_id_z 0
		.amdhsa_system_sgpr_workgroup_info 0
		.amdhsa_system_vgpr_workitem_id 0
		.amdhsa_next_free_vgpr 1
		.amdhsa_next_free_sgpr 0
		.amdhsa_accum_offset 4
		.amdhsa_reserve_vcc 0
		.amdhsa_float_round_mode_32 0
		.amdhsa_float_round_mode_16_64 0
		.amdhsa_float_denorm_mode_32 3
		.amdhsa_float_denorm_mode_16_64 3
		.amdhsa_dx10_clamp 1
		.amdhsa_ieee_mode 1
		.amdhsa_fp16_overflow 0
		.amdhsa_tg_split 0
		.amdhsa_exception_fp_ieee_invalid_op 0
		.amdhsa_exception_fp_denorm_src 0
		.amdhsa_exception_fp_ieee_div_zero 0
		.amdhsa_exception_fp_ieee_overflow 0
		.amdhsa_exception_fp_ieee_underflow 0
		.amdhsa_exception_fp_ieee_inexact 0
		.amdhsa_exception_int_div_zero 0
	.end_amdhsa_kernel
	.section	.text._ZN7rocprim17ROCPRIM_400000_NS6detail17trampoline_kernelINS0_14default_configENS1_25partition_config_selectorILNS1_17partition_subalgoE0EyNS0_10empty_typeEbEEZZNS1_14partition_implILS5_0ELb0ES3_jN6thrust23THRUST_200600_302600_NS6detail15normal_iteratorINSA_10device_ptrIyEEEEPS6_SG_NS0_5tupleIJSF_SF_EEENSH_IJSG_SG_EEES6_PlJ7is_evenIyEEEE10hipError_tPvRmT3_T4_T5_T6_T7_T9_mT8_P12ihipStream_tbDpT10_ENKUlT_T0_E_clISt17integral_constantIbLb0EES16_EEDaS11_S12_EUlS11_E_NS1_11comp_targetILNS1_3genE10ELNS1_11target_archE1200ELNS1_3gpuE4ELNS1_3repE0EEENS1_30default_config_static_selectorELNS0_4arch9wavefront6targetE1EEEvT1_,"axG",@progbits,_ZN7rocprim17ROCPRIM_400000_NS6detail17trampoline_kernelINS0_14default_configENS1_25partition_config_selectorILNS1_17partition_subalgoE0EyNS0_10empty_typeEbEEZZNS1_14partition_implILS5_0ELb0ES3_jN6thrust23THRUST_200600_302600_NS6detail15normal_iteratorINSA_10device_ptrIyEEEEPS6_SG_NS0_5tupleIJSF_SF_EEENSH_IJSG_SG_EEES6_PlJ7is_evenIyEEEE10hipError_tPvRmT3_T4_T5_T6_T7_T9_mT8_P12ihipStream_tbDpT10_ENKUlT_T0_E_clISt17integral_constantIbLb0EES16_EEDaS11_S12_EUlS11_E_NS1_11comp_targetILNS1_3genE10ELNS1_11target_archE1200ELNS1_3gpuE4ELNS1_3repE0EEENS1_30default_config_static_selectorELNS0_4arch9wavefront6targetE1EEEvT1_,comdat
.Lfunc_end2109:
	.size	_ZN7rocprim17ROCPRIM_400000_NS6detail17trampoline_kernelINS0_14default_configENS1_25partition_config_selectorILNS1_17partition_subalgoE0EyNS0_10empty_typeEbEEZZNS1_14partition_implILS5_0ELb0ES3_jN6thrust23THRUST_200600_302600_NS6detail15normal_iteratorINSA_10device_ptrIyEEEEPS6_SG_NS0_5tupleIJSF_SF_EEENSH_IJSG_SG_EEES6_PlJ7is_evenIyEEEE10hipError_tPvRmT3_T4_T5_T6_T7_T9_mT8_P12ihipStream_tbDpT10_ENKUlT_T0_E_clISt17integral_constantIbLb0EES16_EEDaS11_S12_EUlS11_E_NS1_11comp_targetILNS1_3genE10ELNS1_11target_archE1200ELNS1_3gpuE4ELNS1_3repE0EEENS1_30default_config_static_selectorELNS0_4arch9wavefront6targetE1EEEvT1_, .Lfunc_end2109-_ZN7rocprim17ROCPRIM_400000_NS6detail17trampoline_kernelINS0_14default_configENS1_25partition_config_selectorILNS1_17partition_subalgoE0EyNS0_10empty_typeEbEEZZNS1_14partition_implILS5_0ELb0ES3_jN6thrust23THRUST_200600_302600_NS6detail15normal_iteratorINSA_10device_ptrIyEEEEPS6_SG_NS0_5tupleIJSF_SF_EEENSH_IJSG_SG_EEES6_PlJ7is_evenIyEEEE10hipError_tPvRmT3_T4_T5_T6_T7_T9_mT8_P12ihipStream_tbDpT10_ENKUlT_T0_E_clISt17integral_constantIbLb0EES16_EEDaS11_S12_EUlS11_E_NS1_11comp_targetILNS1_3genE10ELNS1_11target_archE1200ELNS1_3gpuE4ELNS1_3repE0EEENS1_30default_config_static_selectorELNS0_4arch9wavefront6targetE1EEEvT1_
                                        ; -- End function
	.section	.AMDGPU.csdata,"",@progbits
; Kernel info:
; codeLenInByte = 0
; NumSgprs: 6
; NumVgprs: 0
; NumAgprs: 0
; TotalNumVgprs: 0
; ScratchSize: 0
; MemoryBound: 0
; FloatMode: 240
; IeeeMode: 1
; LDSByteSize: 0 bytes/workgroup (compile time only)
; SGPRBlocks: 0
; VGPRBlocks: 0
; NumSGPRsForWavesPerEU: 6
; NumVGPRsForWavesPerEU: 1
; AccumOffset: 4
; Occupancy: 8
; WaveLimiterHint : 0
; COMPUTE_PGM_RSRC2:SCRATCH_EN: 0
; COMPUTE_PGM_RSRC2:USER_SGPR: 2
; COMPUTE_PGM_RSRC2:TRAP_HANDLER: 0
; COMPUTE_PGM_RSRC2:TGID_X_EN: 1
; COMPUTE_PGM_RSRC2:TGID_Y_EN: 0
; COMPUTE_PGM_RSRC2:TGID_Z_EN: 0
; COMPUTE_PGM_RSRC2:TIDIG_COMP_CNT: 0
; COMPUTE_PGM_RSRC3_GFX90A:ACCUM_OFFSET: 0
; COMPUTE_PGM_RSRC3_GFX90A:TG_SPLIT: 0
	.section	.text._ZN7rocprim17ROCPRIM_400000_NS6detail17trampoline_kernelINS0_14default_configENS1_25partition_config_selectorILNS1_17partition_subalgoE0EyNS0_10empty_typeEbEEZZNS1_14partition_implILS5_0ELb0ES3_jN6thrust23THRUST_200600_302600_NS6detail15normal_iteratorINSA_10device_ptrIyEEEEPS6_SG_NS0_5tupleIJSF_SF_EEENSH_IJSG_SG_EEES6_PlJ7is_evenIyEEEE10hipError_tPvRmT3_T4_T5_T6_T7_T9_mT8_P12ihipStream_tbDpT10_ENKUlT_T0_E_clISt17integral_constantIbLb0EES16_EEDaS11_S12_EUlS11_E_NS1_11comp_targetILNS1_3genE9ELNS1_11target_archE1100ELNS1_3gpuE3ELNS1_3repE0EEENS1_30default_config_static_selectorELNS0_4arch9wavefront6targetE1EEEvT1_,"axG",@progbits,_ZN7rocprim17ROCPRIM_400000_NS6detail17trampoline_kernelINS0_14default_configENS1_25partition_config_selectorILNS1_17partition_subalgoE0EyNS0_10empty_typeEbEEZZNS1_14partition_implILS5_0ELb0ES3_jN6thrust23THRUST_200600_302600_NS6detail15normal_iteratorINSA_10device_ptrIyEEEEPS6_SG_NS0_5tupleIJSF_SF_EEENSH_IJSG_SG_EEES6_PlJ7is_evenIyEEEE10hipError_tPvRmT3_T4_T5_T6_T7_T9_mT8_P12ihipStream_tbDpT10_ENKUlT_T0_E_clISt17integral_constantIbLb0EES16_EEDaS11_S12_EUlS11_E_NS1_11comp_targetILNS1_3genE9ELNS1_11target_archE1100ELNS1_3gpuE3ELNS1_3repE0EEENS1_30default_config_static_selectorELNS0_4arch9wavefront6targetE1EEEvT1_,comdat
	.protected	_ZN7rocprim17ROCPRIM_400000_NS6detail17trampoline_kernelINS0_14default_configENS1_25partition_config_selectorILNS1_17partition_subalgoE0EyNS0_10empty_typeEbEEZZNS1_14partition_implILS5_0ELb0ES3_jN6thrust23THRUST_200600_302600_NS6detail15normal_iteratorINSA_10device_ptrIyEEEEPS6_SG_NS0_5tupleIJSF_SF_EEENSH_IJSG_SG_EEES6_PlJ7is_evenIyEEEE10hipError_tPvRmT3_T4_T5_T6_T7_T9_mT8_P12ihipStream_tbDpT10_ENKUlT_T0_E_clISt17integral_constantIbLb0EES16_EEDaS11_S12_EUlS11_E_NS1_11comp_targetILNS1_3genE9ELNS1_11target_archE1100ELNS1_3gpuE3ELNS1_3repE0EEENS1_30default_config_static_selectorELNS0_4arch9wavefront6targetE1EEEvT1_ ; -- Begin function _ZN7rocprim17ROCPRIM_400000_NS6detail17trampoline_kernelINS0_14default_configENS1_25partition_config_selectorILNS1_17partition_subalgoE0EyNS0_10empty_typeEbEEZZNS1_14partition_implILS5_0ELb0ES3_jN6thrust23THRUST_200600_302600_NS6detail15normal_iteratorINSA_10device_ptrIyEEEEPS6_SG_NS0_5tupleIJSF_SF_EEENSH_IJSG_SG_EEES6_PlJ7is_evenIyEEEE10hipError_tPvRmT3_T4_T5_T6_T7_T9_mT8_P12ihipStream_tbDpT10_ENKUlT_T0_E_clISt17integral_constantIbLb0EES16_EEDaS11_S12_EUlS11_E_NS1_11comp_targetILNS1_3genE9ELNS1_11target_archE1100ELNS1_3gpuE3ELNS1_3repE0EEENS1_30default_config_static_selectorELNS0_4arch9wavefront6targetE1EEEvT1_
	.globl	_ZN7rocprim17ROCPRIM_400000_NS6detail17trampoline_kernelINS0_14default_configENS1_25partition_config_selectorILNS1_17partition_subalgoE0EyNS0_10empty_typeEbEEZZNS1_14partition_implILS5_0ELb0ES3_jN6thrust23THRUST_200600_302600_NS6detail15normal_iteratorINSA_10device_ptrIyEEEEPS6_SG_NS0_5tupleIJSF_SF_EEENSH_IJSG_SG_EEES6_PlJ7is_evenIyEEEE10hipError_tPvRmT3_T4_T5_T6_T7_T9_mT8_P12ihipStream_tbDpT10_ENKUlT_T0_E_clISt17integral_constantIbLb0EES16_EEDaS11_S12_EUlS11_E_NS1_11comp_targetILNS1_3genE9ELNS1_11target_archE1100ELNS1_3gpuE3ELNS1_3repE0EEENS1_30default_config_static_selectorELNS0_4arch9wavefront6targetE1EEEvT1_
	.p2align	8
	.type	_ZN7rocprim17ROCPRIM_400000_NS6detail17trampoline_kernelINS0_14default_configENS1_25partition_config_selectorILNS1_17partition_subalgoE0EyNS0_10empty_typeEbEEZZNS1_14partition_implILS5_0ELb0ES3_jN6thrust23THRUST_200600_302600_NS6detail15normal_iteratorINSA_10device_ptrIyEEEEPS6_SG_NS0_5tupleIJSF_SF_EEENSH_IJSG_SG_EEES6_PlJ7is_evenIyEEEE10hipError_tPvRmT3_T4_T5_T6_T7_T9_mT8_P12ihipStream_tbDpT10_ENKUlT_T0_E_clISt17integral_constantIbLb0EES16_EEDaS11_S12_EUlS11_E_NS1_11comp_targetILNS1_3genE9ELNS1_11target_archE1100ELNS1_3gpuE3ELNS1_3repE0EEENS1_30default_config_static_selectorELNS0_4arch9wavefront6targetE1EEEvT1_,@function
_ZN7rocprim17ROCPRIM_400000_NS6detail17trampoline_kernelINS0_14default_configENS1_25partition_config_selectorILNS1_17partition_subalgoE0EyNS0_10empty_typeEbEEZZNS1_14partition_implILS5_0ELb0ES3_jN6thrust23THRUST_200600_302600_NS6detail15normal_iteratorINSA_10device_ptrIyEEEEPS6_SG_NS0_5tupleIJSF_SF_EEENSH_IJSG_SG_EEES6_PlJ7is_evenIyEEEE10hipError_tPvRmT3_T4_T5_T6_T7_T9_mT8_P12ihipStream_tbDpT10_ENKUlT_T0_E_clISt17integral_constantIbLb0EES16_EEDaS11_S12_EUlS11_E_NS1_11comp_targetILNS1_3genE9ELNS1_11target_archE1100ELNS1_3gpuE3ELNS1_3repE0EEENS1_30default_config_static_selectorELNS0_4arch9wavefront6targetE1EEEvT1_: ; @_ZN7rocprim17ROCPRIM_400000_NS6detail17trampoline_kernelINS0_14default_configENS1_25partition_config_selectorILNS1_17partition_subalgoE0EyNS0_10empty_typeEbEEZZNS1_14partition_implILS5_0ELb0ES3_jN6thrust23THRUST_200600_302600_NS6detail15normal_iteratorINSA_10device_ptrIyEEEEPS6_SG_NS0_5tupleIJSF_SF_EEENSH_IJSG_SG_EEES6_PlJ7is_evenIyEEEE10hipError_tPvRmT3_T4_T5_T6_T7_T9_mT8_P12ihipStream_tbDpT10_ENKUlT_T0_E_clISt17integral_constantIbLb0EES16_EEDaS11_S12_EUlS11_E_NS1_11comp_targetILNS1_3genE9ELNS1_11target_archE1100ELNS1_3gpuE3ELNS1_3repE0EEENS1_30default_config_static_selectorELNS0_4arch9wavefront6targetE1EEEvT1_
; %bb.0:
	.section	.rodata,"a",@progbits
	.p2align	6, 0x0
	.amdhsa_kernel _ZN7rocprim17ROCPRIM_400000_NS6detail17trampoline_kernelINS0_14default_configENS1_25partition_config_selectorILNS1_17partition_subalgoE0EyNS0_10empty_typeEbEEZZNS1_14partition_implILS5_0ELb0ES3_jN6thrust23THRUST_200600_302600_NS6detail15normal_iteratorINSA_10device_ptrIyEEEEPS6_SG_NS0_5tupleIJSF_SF_EEENSH_IJSG_SG_EEES6_PlJ7is_evenIyEEEE10hipError_tPvRmT3_T4_T5_T6_T7_T9_mT8_P12ihipStream_tbDpT10_ENKUlT_T0_E_clISt17integral_constantIbLb0EES16_EEDaS11_S12_EUlS11_E_NS1_11comp_targetILNS1_3genE9ELNS1_11target_archE1100ELNS1_3gpuE3ELNS1_3repE0EEENS1_30default_config_static_selectorELNS0_4arch9wavefront6targetE1EEEvT1_
		.amdhsa_group_segment_fixed_size 0
		.amdhsa_private_segment_fixed_size 0
		.amdhsa_kernarg_size 120
		.amdhsa_user_sgpr_count 2
		.amdhsa_user_sgpr_dispatch_ptr 0
		.amdhsa_user_sgpr_queue_ptr 0
		.amdhsa_user_sgpr_kernarg_segment_ptr 1
		.amdhsa_user_sgpr_dispatch_id 0
		.amdhsa_user_sgpr_kernarg_preload_length 0
		.amdhsa_user_sgpr_kernarg_preload_offset 0
		.amdhsa_user_sgpr_private_segment_size 0
		.amdhsa_uses_dynamic_stack 0
		.amdhsa_enable_private_segment 0
		.amdhsa_system_sgpr_workgroup_id_x 1
		.amdhsa_system_sgpr_workgroup_id_y 0
		.amdhsa_system_sgpr_workgroup_id_z 0
		.amdhsa_system_sgpr_workgroup_info 0
		.amdhsa_system_vgpr_workitem_id 0
		.amdhsa_next_free_vgpr 1
		.amdhsa_next_free_sgpr 0
		.amdhsa_accum_offset 4
		.amdhsa_reserve_vcc 0
		.amdhsa_float_round_mode_32 0
		.amdhsa_float_round_mode_16_64 0
		.amdhsa_float_denorm_mode_32 3
		.amdhsa_float_denorm_mode_16_64 3
		.amdhsa_dx10_clamp 1
		.amdhsa_ieee_mode 1
		.amdhsa_fp16_overflow 0
		.amdhsa_tg_split 0
		.amdhsa_exception_fp_ieee_invalid_op 0
		.amdhsa_exception_fp_denorm_src 0
		.amdhsa_exception_fp_ieee_div_zero 0
		.amdhsa_exception_fp_ieee_overflow 0
		.amdhsa_exception_fp_ieee_underflow 0
		.amdhsa_exception_fp_ieee_inexact 0
		.amdhsa_exception_int_div_zero 0
	.end_amdhsa_kernel
	.section	.text._ZN7rocprim17ROCPRIM_400000_NS6detail17trampoline_kernelINS0_14default_configENS1_25partition_config_selectorILNS1_17partition_subalgoE0EyNS0_10empty_typeEbEEZZNS1_14partition_implILS5_0ELb0ES3_jN6thrust23THRUST_200600_302600_NS6detail15normal_iteratorINSA_10device_ptrIyEEEEPS6_SG_NS0_5tupleIJSF_SF_EEENSH_IJSG_SG_EEES6_PlJ7is_evenIyEEEE10hipError_tPvRmT3_T4_T5_T6_T7_T9_mT8_P12ihipStream_tbDpT10_ENKUlT_T0_E_clISt17integral_constantIbLb0EES16_EEDaS11_S12_EUlS11_E_NS1_11comp_targetILNS1_3genE9ELNS1_11target_archE1100ELNS1_3gpuE3ELNS1_3repE0EEENS1_30default_config_static_selectorELNS0_4arch9wavefront6targetE1EEEvT1_,"axG",@progbits,_ZN7rocprim17ROCPRIM_400000_NS6detail17trampoline_kernelINS0_14default_configENS1_25partition_config_selectorILNS1_17partition_subalgoE0EyNS0_10empty_typeEbEEZZNS1_14partition_implILS5_0ELb0ES3_jN6thrust23THRUST_200600_302600_NS6detail15normal_iteratorINSA_10device_ptrIyEEEEPS6_SG_NS0_5tupleIJSF_SF_EEENSH_IJSG_SG_EEES6_PlJ7is_evenIyEEEE10hipError_tPvRmT3_T4_T5_T6_T7_T9_mT8_P12ihipStream_tbDpT10_ENKUlT_T0_E_clISt17integral_constantIbLb0EES16_EEDaS11_S12_EUlS11_E_NS1_11comp_targetILNS1_3genE9ELNS1_11target_archE1100ELNS1_3gpuE3ELNS1_3repE0EEENS1_30default_config_static_selectorELNS0_4arch9wavefront6targetE1EEEvT1_,comdat
.Lfunc_end2110:
	.size	_ZN7rocprim17ROCPRIM_400000_NS6detail17trampoline_kernelINS0_14default_configENS1_25partition_config_selectorILNS1_17partition_subalgoE0EyNS0_10empty_typeEbEEZZNS1_14partition_implILS5_0ELb0ES3_jN6thrust23THRUST_200600_302600_NS6detail15normal_iteratorINSA_10device_ptrIyEEEEPS6_SG_NS0_5tupleIJSF_SF_EEENSH_IJSG_SG_EEES6_PlJ7is_evenIyEEEE10hipError_tPvRmT3_T4_T5_T6_T7_T9_mT8_P12ihipStream_tbDpT10_ENKUlT_T0_E_clISt17integral_constantIbLb0EES16_EEDaS11_S12_EUlS11_E_NS1_11comp_targetILNS1_3genE9ELNS1_11target_archE1100ELNS1_3gpuE3ELNS1_3repE0EEENS1_30default_config_static_selectorELNS0_4arch9wavefront6targetE1EEEvT1_, .Lfunc_end2110-_ZN7rocprim17ROCPRIM_400000_NS6detail17trampoline_kernelINS0_14default_configENS1_25partition_config_selectorILNS1_17partition_subalgoE0EyNS0_10empty_typeEbEEZZNS1_14partition_implILS5_0ELb0ES3_jN6thrust23THRUST_200600_302600_NS6detail15normal_iteratorINSA_10device_ptrIyEEEEPS6_SG_NS0_5tupleIJSF_SF_EEENSH_IJSG_SG_EEES6_PlJ7is_evenIyEEEE10hipError_tPvRmT3_T4_T5_T6_T7_T9_mT8_P12ihipStream_tbDpT10_ENKUlT_T0_E_clISt17integral_constantIbLb0EES16_EEDaS11_S12_EUlS11_E_NS1_11comp_targetILNS1_3genE9ELNS1_11target_archE1100ELNS1_3gpuE3ELNS1_3repE0EEENS1_30default_config_static_selectorELNS0_4arch9wavefront6targetE1EEEvT1_
                                        ; -- End function
	.section	.AMDGPU.csdata,"",@progbits
; Kernel info:
; codeLenInByte = 0
; NumSgprs: 6
; NumVgprs: 0
; NumAgprs: 0
; TotalNumVgprs: 0
; ScratchSize: 0
; MemoryBound: 0
; FloatMode: 240
; IeeeMode: 1
; LDSByteSize: 0 bytes/workgroup (compile time only)
; SGPRBlocks: 0
; VGPRBlocks: 0
; NumSGPRsForWavesPerEU: 6
; NumVGPRsForWavesPerEU: 1
; AccumOffset: 4
; Occupancy: 8
; WaveLimiterHint : 0
; COMPUTE_PGM_RSRC2:SCRATCH_EN: 0
; COMPUTE_PGM_RSRC2:USER_SGPR: 2
; COMPUTE_PGM_RSRC2:TRAP_HANDLER: 0
; COMPUTE_PGM_RSRC2:TGID_X_EN: 1
; COMPUTE_PGM_RSRC2:TGID_Y_EN: 0
; COMPUTE_PGM_RSRC2:TGID_Z_EN: 0
; COMPUTE_PGM_RSRC2:TIDIG_COMP_CNT: 0
; COMPUTE_PGM_RSRC3_GFX90A:ACCUM_OFFSET: 0
; COMPUTE_PGM_RSRC3_GFX90A:TG_SPLIT: 0
	.section	.text._ZN7rocprim17ROCPRIM_400000_NS6detail17trampoline_kernelINS0_14default_configENS1_25partition_config_selectorILNS1_17partition_subalgoE0EyNS0_10empty_typeEbEEZZNS1_14partition_implILS5_0ELb0ES3_jN6thrust23THRUST_200600_302600_NS6detail15normal_iteratorINSA_10device_ptrIyEEEEPS6_SG_NS0_5tupleIJSF_SF_EEENSH_IJSG_SG_EEES6_PlJ7is_evenIyEEEE10hipError_tPvRmT3_T4_T5_T6_T7_T9_mT8_P12ihipStream_tbDpT10_ENKUlT_T0_E_clISt17integral_constantIbLb0EES16_EEDaS11_S12_EUlS11_E_NS1_11comp_targetILNS1_3genE8ELNS1_11target_archE1030ELNS1_3gpuE2ELNS1_3repE0EEENS1_30default_config_static_selectorELNS0_4arch9wavefront6targetE1EEEvT1_,"axG",@progbits,_ZN7rocprim17ROCPRIM_400000_NS6detail17trampoline_kernelINS0_14default_configENS1_25partition_config_selectorILNS1_17partition_subalgoE0EyNS0_10empty_typeEbEEZZNS1_14partition_implILS5_0ELb0ES3_jN6thrust23THRUST_200600_302600_NS6detail15normal_iteratorINSA_10device_ptrIyEEEEPS6_SG_NS0_5tupleIJSF_SF_EEENSH_IJSG_SG_EEES6_PlJ7is_evenIyEEEE10hipError_tPvRmT3_T4_T5_T6_T7_T9_mT8_P12ihipStream_tbDpT10_ENKUlT_T0_E_clISt17integral_constantIbLb0EES16_EEDaS11_S12_EUlS11_E_NS1_11comp_targetILNS1_3genE8ELNS1_11target_archE1030ELNS1_3gpuE2ELNS1_3repE0EEENS1_30default_config_static_selectorELNS0_4arch9wavefront6targetE1EEEvT1_,comdat
	.protected	_ZN7rocprim17ROCPRIM_400000_NS6detail17trampoline_kernelINS0_14default_configENS1_25partition_config_selectorILNS1_17partition_subalgoE0EyNS0_10empty_typeEbEEZZNS1_14partition_implILS5_0ELb0ES3_jN6thrust23THRUST_200600_302600_NS6detail15normal_iteratorINSA_10device_ptrIyEEEEPS6_SG_NS0_5tupleIJSF_SF_EEENSH_IJSG_SG_EEES6_PlJ7is_evenIyEEEE10hipError_tPvRmT3_T4_T5_T6_T7_T9_mT8_P12ihipStream_tbDpT10_ENKUlT_T0_E_clISt17integral_constantIbLb0EES16_EEDaS11_S12_EUlS11_E_NS1_11comp_targetILNS1_3genE8ELNS1_11target_archE1030ELNS1_3gpuE2ELNS1_3repE0EEENS1_30default_config_static_selectorELNS0_4arch9wavefront6targetE1EEEvT1_ ; -- Begin function _ZN7rocprim17ROCPRIM_400000_NS6detail17trampoline_kernelINS0_14default_configENS1_25partition_config_selectorILNS1_17partition_subalgoE0EyNS0_10empty_typeEbEEZZNS1_14partition_implILS5_0ELb0ES3_jN6thrust23THRUST_200600_302600_NS6detail15normal_iteratorINSA_10device_ptrIyEEEEPS6_SG_NS0_5tupleIJSF_SF_EEENSH_IJSG_SG_EEES6_PlJ7is_evenIyEEEE10hipError_tPvRmT3_T4_T5_T6_T7_T9_mT8_P12ihipStream_tbDpT10_ENKUlT_T0_E_clISt17integral_constantIbLb0EES16_EEDaS11_S12_EUlS11_E_NS1_11comp_targetILNS1_3genE8ELNS1_11target_archE1030ELNS1_3gpuE2ELNS1_3repE0EEENS1_30default_config_static_selectorELNS0_4arch9wavefront6targetE1EEEvT1_
	.globl	_ZN7rocprim17ROCPRIM_400000_NS6detail17trampoline_kernelINS0_14default_configENS1_25partition_config_selectorILNS1_17partition_subalgoE0EyNS0_10empty_typeEbEEZZNS1_14partition_implILS5_0ELb0ES3_jN6thrust23THRUST_200600_302600_NS6detail15normal_iteratorINSA_10device_ptrIyEEEEPS6_SG_NS0_5tupleIJSF_SF_EEENSH_IJSG_SG_EEES6_PlJ7is_evenIyEEEE10hipError_tPvRmT3_T4_T5_T6_T7_T9_mT8_P12ihipStream_tbDpT10_ENKUlT_T0_E_clISt17integral_constantIbLb0EES16_EEDaS11_S12_EUlS11_E_NS1_11comp_targetILNS1_3genE8ELNS1_11target_archE1030ELNS1_3gpuE2ELNS1_3repE0EEENS1_30default_config_static_selectorELNS0_4arch9wavefront6targetE1EEEvT1_
	.p2align	8
	.type	_ZN7rocprim17ROCPRIM_400000_NS6detail17trampoline_kernelINS0_14default_configENS1_25partition_config_selectorILNS1_17partition_subalgoE0EyNS0_10empty_typeEbEEZZNS1_14partition_implILS5_0ELb0ES3_jN6thrust23THRUST_200600_302600_NS6detail15normal_iteratorINSA_10device_ptrIyEEEEPS6_SG_NS0_5tupleIJSF_SF_EEENSH_IJSG_SG_EEES6_PlJ7is_evenIyEEEE10hipError_tPvRmT3_T4_T5_T6_T7_T9_mT8_P12ihipStream_tbDpT10_ENKUlT_T0_E_clISt17integral_constantIbLb0EES16_EEDaS11_S12_EUlS11_E_NS1_11comp_targetILNS1_3genE8ELNS1_11target_archE1030ELNS1_3gpuE2ELNS1_3repE0EEENS1_30default_config_static_selectorELNS0_4arch9wavefront6targetE1EEEvT1_,@function
_ZN7rocprim17ROCPRIM_400000_NS6detail17trampoline_kernelINS0_14default_configENS1_25partition_config_selectorILNS1_17partition_subalgoE0EyNS0_10empty_typeEbEEZZNS1_14partition_implILS5_0ELb0ES3_jN6thrust23THRUST_200600_302600_NS6detail15normal_iteratorINSA_10device_ptrIyEEEEPS6_SG_NS0_5tupleIJSF_SF_EEENSH_IJSG_SG_EEES6_PlJ7is_evenIyEEEE10hipError_tPvRmT3_T4_T5_T6_T7_T9_mT8_P12ihipStream_tbDpT10_ENKUlT_T0_E_clISt17integral_constantIbLb0EES16_EEDaS11_S12_EUlS11_E_NS1_11comp_targetILNS1_3genE8ELNS1_11target_archE1030ELNS1_3gpuE2ELNS1_3repE0EEENS1_30default_config_static_selectorELNS0_4arch9wavefront6targetE1EEEvT1_: ; @_ZN7rocprim17ROCPRIM_400000_NS6detail17trampoline_kernelINS0_14default_configENS1_25partition_config_selectorILNS1_17partition_subalgoE0EyNS0_10empty_typeEbEEZZNS1_14partition_implILS5_0ELb0ES3_jN6thrust23THRUST_200600_302600_NS6detail15normal_iteratorINSA_10device_ptrIyEEEEPS6_SG_NS0_5tupleIJSF_SF_EEENSH_IJSG_SG_EEES6_PlJ7is_evenIyEEEE10hipError_tPvRmT3_T4_T5_T6_T7_T9_mT8_P12ihipStream_tbDpT10_ENKUlT_T0_E_clISt17integral_constantIbLb0EES16_EEDaS11_S12_EUlS11_E_NS1_11comp_targetILNS1_3genE8ELNS1_11target_archE1030ELNS1_3gpuE2ELNS1_3repE0EEENS1_30default_config_static_selectorELNS0_4arch9wavefront6targetE1EEEvT1_
; %bb.0:
	.section	.rodata,"a",@progbits
	.p2align	6, 0x0
	.amdhsa_kernel _ZN7rocprim17ROCPRIM_400000_NS6detail17trampoline_kernelINS0_14default_configENS1_25partition_config_selectorILNS1_17partition_subalgoE0EyNS0_10empty_typeEbEEZZNS1_14partition_implILS5_0ELb0ES3_jN6thrust23THRUST_200600_302600_NS6detail15normal_iteratorINSA_10device_ptrIyEEEEPS6_SG_NS0_5tupleIJSF_SF_EEENSH_IJSG_SG_EEES6_PlJ7is_evenIyEEEE10hipError_tPvRmT3_T4_T5_T6_T7_T9_mT8_P12ihipStream_tbDpT10_ENKUlT_T0_E_clISt17integral_constantIbLb0EES16_EEDaS11_S12_EUlS11_E_NS1_11comp_targetILNS1_3genE8ELNS1_11target_archE1030ELNS1_3gpuE2ELNS1_3repE0EEENS1_30default_config_static_selectorELNS0_4arch9wavefront6targetE1EEEvT1_
		.amdhsa_group_segment_fixed_size 0
		.amdhsa_private_segment_fixed_size 0
		.amdhsa_kernarg_size 120
		.amdhsa_user_sgpr_count 2
		.amdhsa_user_sgpr_dispatch_ptr 0
		.amdhsa_user_sgpr_queue_ptr 0
		.amdhsa_user_sgpr_kernarg_segment_ptr 1
		.amdhsa_user_sgpr_dispatch_id 0
		.amdhsa_user_sgpr_kernarg_preload_length 0
		.amdhsa_user_sgpr_kernarg_preload_offset 0
		.amdhsa_user_sgpr_private_segment_size 0
		.amdhsa_uses_dynamic_stack 0
		.amdhsa_enable_private_segment 0
		.amdhsa_system_sgpr_workgroup_id_x 1
		.amdhsa_system_sgpr_workgroup_id_y 0
		.amdhsa_system_sgpr_workgroup_id_z 0
		.amdhsa_system_sgpr_workgroup_info 0
		.amdhsa_system_vgpr_workitem_id 0
		.amdhsa_next_free_vgpr 1
		.amdhsa_next_free_sgpr 0
		.amdhsa_accum_offset 4
		.amdhsa_reserve_vcc 0
		.amdhsa_float_round_mode_32 0
		.amdhsa_float_round_mode_16_64 0
		.amdhsa_float_denorm_mode_32 3
		.amdhsa_float_denorm_mode_16_64 3
		.amdhsa_dx10_clamp 1
		.amdhsa_ieee_mode 1
		.amdhsa_fp16_overflow 0
		.amdhsa_tg_split 0
		.amdhsa_exception_fp_ieee_invalid_op 0
		.amdhsa_exception_fp_denorm_src 0
		.amdhsa_exception_fp_ieee_div_zero 0
		.amdhsa_exception_fp_ieee_overflow 0
		.amdhsa_exception_fp_ieee_underflow 0
		.amdhsa_exception_fp_ieee_inexact 0
		.amdhsa_exception_int_div_zero 0
	.end_amdhsa_kernel
	.section	.text._ZN7rocprim17ROCPRIM_400000_NS6detail17trampoline_kernelINS0_14default_configENS1_25partition_config_selectorILNS1_17partition_subalgoE0EyNS0_10empty_typeEbEEZZNS1_14partition_implILS5_0ELb0ES3_jN6thrust23THRUST_200600_302600_NS6detail15normal_iteratorINSA_10device_ptrIyEEEEPS6_SG_NS0_5tupleIJSF_SF_EEENSH_IJSG_SG_EEES6_PlJ7is_evenIyEEEE10hipError_tPvRmT3_T4_T5_T6_T7_T9_mT8_P12ihipStream_tbDpT10_ENKUlT_T0_E_clISt17integral_constantIbLb0EES16_EEDaS11_S12_EUlS11_E_NS1_11comp_targetILNS1_3genE8ELNS1_11target_archE1030ELNS1_3gpuE2ELNS1_3repE0EEENS1_30default_config_static_selectorELNS0_4arch9wavefront6targetE1EEEvT1_,"axG",@progbits,_ZN7rocprim17ROCPRIM_400000_NS6detail17trampoline_kernelINS0_14default_configENS1_25partition_config_selectorILNS1_17partition_subalgoE0EyNS0_10empty_typeEbEEZZNS1_14partition_implILS5_0ELb0ES3_jN6thrust23THRUST_200600_302600_NS6detail15normal_iteratorINSA_10device_ptrIyEEEEPS6_SG_NS0_5tupleIJSF_SF_EEENSH_IJSG_SG_EEES6_PlJ7is_evenIyEEEE10hipError_tPvRmT3_T4_T5_T6_T7_T9_mT8_P12ihipStream_tbDpT10_ENKUlT_T0_E_clISt17integral_constantIbLb0EES16_EEDaS11_S12_EUlS11_E_NS1_11comp_targetILNS1_3genE8ELNS1_11target_archE1030ELNS1_3gpuE2ELNS1_3repE0EEENS1_30default_config_static_selectorELNS0_4arch9wavefront6targetE1EEEvT1_,comdat
.Lfunc_end2111:
	.size	_ZN7rocprim17ROCPRIM_400000_NS6detail17trampoline_kernelINS0_14default_configENS1_25partition_config_selectorILNS1_17partition_subalgoE0EyNS0_10empty_typeEbEEZZNS1_14partition_implILS5_0ELb0ES3_jN6thrust23THRUST_200600_302600_NS6detail15normal_iteratorINSA_10device_ptrIyEEEEPS6_SG_NS0_5tupleIJSF_SF_EEENSH_IJSG_SG_EEES6_PlJ7is_evenIyEEEE10hipError_tPvRmT3_T4_T5_T6_T7_T9_mT8_P12ihipStream_tbDpT10_ENKUlT_T0_E_clISt17integral_constantIbLb0EES16_EEDaS11_S12_EUlS11_E_NS1_11comp_targetILNS1_3genE8ELNS1_11target_archE1030ELNS1_3gpuE2ELNS1_3repE0EEENS1_30default_config_static_selectorELNS0_4arch9wavefront6targetE1EEEvT1_, .Lfunc_end2111-_ZN7rocprim17ROCPRIM_400000_NS6detail17trampoline_kernelINS0_14default_configENS1_25partition_config_selectorILNS1_17partition_subalgoE0EyNS0_10empty_typeEbEEZZNS1_14partition_implILS5_0ELb0ES3_jN6thrust23THRUST_200600_302600_NS6detail15normal_iteratorINSA_10device_ptrIyEEEEPS6_SG_NS0_5tupleIJSF_SF_EEENSH_IJSG_SG_EEES6_PlJ7is_evenIyEEEE10hipError_tPvRmT3_T4_T5_T6_T7_T9_mT8_P12ihipStream_tbDpT10_ENKUlT_T0_E_clISt17integral_constantIbLb0EES16_EEDaS11_S12_EUlS11_E_NS1_11comp_targetILNS1_3genE8ELNS1_11target_archE1030ELNS1_3gpuE2ELNS1_3repE0EEENS1_30default_config_static_selectorELNS0_4arch9wavefront6targetE1EEEvT1_
                                        ; -- End function
	.section	.AMDGPU.csdata,"",@progbits
; Kernel info:
; codeLenInByte = 0
; NumSgprs: 6
; NumVgprs: 0
; NumAgprs: 0
; TotalNumVgprs: 0
; ScratchSize: 0
; MemoryBound: 0
; FloatMode: 240
; IeeeMode: 1
; LDSByteSize: 0 bytes/workgroup (compile time only)
; SGPRBlocks: 0
; VGPRBlocks: 0
; NumSGPRsForWavesPerEU: 6
; NumVGPRsForWavesPerEU: 1
; AccumOffset: 4
; Occupancy: 8
; WaveLimiterHint : 0
; COMPUTE_PGM_RSRC2:SCRATCH_EN: 0
; COMPUTE_PGM_RSRC2:USER_SGPR: 2
; COMPUTE_PGM_RSRC2:TRAP_HANDLER: 0
; COMPUTE_PGM_RSRC2:TGID_X_EN: 1
; COMPUTE_PGM_RSRC2:TGID_Y_EN: 0
; COMPUTE_PGM_RSRC2:TGID_Z_EN: 0
; COMPUTE_PGM_RSRC2:TIDIG_COMP_CNT: 0
; COMPUTE_PGM_RSRC3_GFX90A:ACCUM_OFFSET: 0
; COMPUTE_PGM_RSRC3_GFX90A:TG_SPLIT: 0
	.section	.text._ZN7rocprim17ROCPRIM_400000_NS6detail17trampoline_kernelINS0_14default_configENS1_25partition_config_selectorILNS1_17partition_subalgoE0EyNS0_10empty_typeEbEEZZNS1_14partition_implILS5_0ELb0ES3_jN6thrust23THRUST_200600_302600_NS6detail15normal_iteratorINSA_10device_ptrIyEEEEPS6_SG_NS0_5tupleIJSF_SF_EEENSH_IJSG_SG_EEES6_PlJ7is_evenIyEEEE10hipError_tPvRmT3_T4_T5_T6_T7_T9_mT8_P12ihipStream_tbDpT10_ENKUlT_T0_E_clISt17integral_constantIbLb1EES16_EEDaS11_S12_EUlS11_E_NS1_11comp_targetILNS1_3genE0ELNS1_11target_archE4294967295ELNS1_3gpuE0ELNS1_3repE0EEENS1_30default_config_static_selectorELNS0_4arch9wavefront6targetE1EEEvT1_,"axG",@progbits,_ZN7rocprim17ROCPRIM_400000_NS6detail17trampoline_kernelINS0_14default_configENS1_25partition_config_selectorILNS1_17partition_subalgoE0EyNS0_10empty_typeEbEEZZNS1_14partition_implILS5_0ELb0ES3_jN6thrust23THRUST_200600_302600_NS6detail15normal_iteratorINSA_10device_ptrIyEEEEPS6_SG_NS0_5tupleIJSF_SF_EEENSH_IJSG_SG_EEES6_PlJ7is_evenIyEEEE10hipError_tPvRmT3_T4_T5_T6_T7_T9_mT8_P12ihipStream_tbDpT10_ENKUlT_T0_E_clISt17integral_constantIbLb1EES16_EEDaS11_S12_EUlS11_E_NS1_11comp_targetILNS1_3genE0ELNS1_11target_archE4294967295ELNS1_3gpuE0ELNS1_3repE0EEENS1_30default_config_static_selectorELNS0_4arch9wavefront6targetE1EEEvT1_,comdat
	.protected	_ZN7rocprim17ROCPRIM_400000_NS6detail17trampoline_kernelINS0_14default_configENS1_25partition_config_selectorILNS1_17partition_subalgoE0EyNS0_10empty_typeEbEEZZNS1_14partition_implILS5_0ELb0ES3_jN6thrust23THRUST_200600_302600_NS6detail15normal_iteratorINSA_10device_ptrIyEEEEPS6_SG_NS0_5tupleIJSF_SF_EEENSH_IJSG_SG_EEES6_PlJ7is_evenIyEEEE10hipError_tPvRmT3_T4_T5_T6_T7_T9_mT8_P12ihipStream_tbDpT10_ENKUlT_T0_E_clISt17integral_constantIbLb1EES16_EEDaS11_S12_EUlS11_E_NS1_11comp_targetILNS1_3genE0ELNS1_11target_archE4294967295ELNS1_3gpuE0ELNS1_3repE0EEENS1_30default_config_static_selectorELNS0_4arch9wavefront6targetE1EEEvT1_ ; -- Begin function _ZN7rocprim17ROCPRIM_400000_NS6detail17trampoline_kernelINS0_14default_configENS1_25partition_config_selectorILNS1_17partition_subalgoE0EyNS0_10empty_typeEbEEZZNS1_14partition_implILS5_0ELb0ES3_jN6thrust23THRUST_200600_302600_NS6detail15normal_iteratorINSA_10device_ptrIyEEEEPS6_SG_NS0_5tupleIJSF_SF_EEENSH_IJSG_SG_EEES6_PlJ7is_evenIyEEEE10hipError_tPvRmT3_T4_T5_T6_T7_T9_mT8_P12ihipStream_tbDpT10_ENKUlT_T0_E_clISt17integral_constantIbLb1EES16_EEDaS11_S12_EUlS11_E_NS1_11comp_targetILNS1_3genE0ELNS1_11target_archE4294967295ELNS1_3gpuE0ELNS1_3repE0EEENS1_30default_config_static_selectorELNS0_4arch9wavefront6targetE1EEEvT1_
	.globl	_ZN7rocprim17ROCPRIM_400000_NS6detail17trampoline_kernelINS0_14default_configENS1_25partition_config_selectorILNS1_17partition_subalgoE0EyNS0_10empty_typeEbEEZZNS1_14partition_implILS5_0ELb0ES3_jN6thrust23THRUST_200600_302600_NS6detail15normal_iteratorINSA_10device_ptrIyEEEEPS6_SG_NS0_5tupleIJSF_SF_EEENSH_IJSG_SG_EEES6_PlJ7is_evenIyEEEE10hipError_tPvRmT3_T4_T5_T6_T7_T9_mT8_P12ihipStream_tbDpT10_ENKUlT_T0_E_clISt17integral_constantIbLb1EES16_EEDaS11_S12_EUlS11_E_NS1_11comp_targetILNS1_3genE0ELNS1_11target_archE4294967295ELNS1_3gpuE0ELNS1_3repE0EEENS1_30default_config_static_selectorELNS0_4arch9wavefront6targetE1EEEvT1_
	.p2align	8
	.type	_ZN7rocprim17ROCPRIM_400000_NS6detail17trampoline_kernelINS0_14default_configENS1_25partition_config_selectorILNS1_17partition_subalgoE0EyNS0_10empty_typeEbEEZZNS1_14partition_implILS5_0ELb0ES3_jN6thrust23THRUST_200600_302600_NS6detail15normal_iteratorINSA_10device_ptrIyEEEEPS6_SG_NS0_5tupleIJSF_SF_EEENSH_IJSG_SG_EEES6_PlJ7is_evenIyEEEE10hipError_tPvRmT3_T4_T5_T6_T7_T9_mT8_P12ihipStream_tbDpT10_ENKUlT_T0_E_clISt17integral_constantIbLb1EES16_EEDaS11_S12_EUlS11_E_NS1_11comp_targetILNS1_3genE0ELNS1_11target_archE4294967295ELNS1_3gpuE0ELNS1_3repE0EEENS1_30default_config_static_selectorELNS0_4arch9wavefront6targetE1EEEvT1_,@function
_ZN7rocprim17ROCPRIM_400000_NS6detail17trampoline_kernelINS0_14default_configENS1_25partition_config_selectorILNS1_17partition_subalgoE0EyNS0_10empty_typeEbEEZZNS1_14partition_implILS5_0ELb0ES3_jN6thrust23THRUST_200600_302600_NS6detail15normal_iteratorINSA_10device_ptrIyEEEEPS6_SG_NS0_5tupleIJSF_SF_EEENSH_IJSG_SG_EEES6_PlJ7is_evenIyEEEE10hipError_tPvRmT3_T4_T5_T6_T7_T9_mT8_P12ihipStream_tbDpT10_ENKUlT_T0_E_clISt17integral_constantIbLb1EES16_EEDaS11_S12_EUlS11_E_NS1_11comp_targetILNS1_3genE0ELNS1_11target_archE4294967295ELNS1_3gpuE0ELNS1_3repE0EEENS1_30default_config_static_selectorELNS0_4arch9wavefront6targetE1EEEvT1_: ; @_ZN7rocprim17ROCPRIM_400000_NS6detail17trampoline_kernelINS0_14default_configENS1_25partition_config_selectorILNS1_17partition_subalgoE0EyNS0_10empty_typeEbEEZZNS1_14partition_implILS5_0ELb0ES3_jN6thrust23THRUST_200600_302600_NS6detail15normal_iteratorINSA_10device_ptrIyEEEEPS6_SG_NS0_5tupleIJSF_SF_EEENSH_IJSG_SG_EEES6_PlJ7is_evenIyEEEE10hipError_tPvRmT3_T4_T5_T6_T7_T9_mT8_P12ihipStream_tbDpT10_ENKUlT_T0_E_clISt17integral_constantIbLb1EES16_EEDaS11_S12_EUlS11_E_NS1_11comp_targetILNS1_3genE0ELNS1_11target_archE4294967295ELNS1_3gpuE0ELNS1_3repE0EEENS1_30default_config_static_selectorELNS0_4arch9wavefront6targetE1EEEvT1_
; %bb.0:
	.section	.rodata,"a",@progbits
	.p2align	6, 0x0
	.amdhsa_kernel _ZN7rocprim17ROCPRIM_400000_NS6detail17trampoline_kernelINS0_14default_configENS1_25partition_config_selectorILNS1_17partition_subalgoE0EyNS0_10empty_typeEbEEZZNS1_14partition_implILS5_0ELb0ES3_jN6thrust23THRUST_200600_302600_NS6detail15normal_iteratorINSA_10device_ptrIyEEEEPS6_SG_NS0_5tupleIJSF_SF_EEENSH_IJSG_SG_EEES6_PlJ7is_evenIyEEEE10hipError_tPvRmT3_T4_T5_T6_T7_T9_mT8_P12ihipStream_tbDpT10_ENKUlT_T0_E_clISt17integral_constantIbLb1EES16_EEDaS11_S12_EUlS11_E_NS1_11comp_targetILNS1_3genE0ELNS1_11target_archE4294967295ELNS1_3gpuE0ELNS1_3repE0EEENS1_30default_config_static_selectorELNS0_4arch9wavefront6targetE1EEEvT1_
		.amdhsa_group_segment_fixed_size 0
		.amdhsa_private_segment_fixed_size 0
		.amdhsa_kernarg_size 136
		.amdhsa_user_sgpr_count 2
		.amdhsa_user_sgpr_dispatch_ptr 0
		.amdhsa_user_sgpr_queue_ptr 0
		.amdhsa_user_sgpr_kernarg_segment_ptr 1
		.amdhsa_user_sgpr_dispatch_id 0
		.amdhsa_user_sgpr_kernarg_preload_length 0
		.amdhsa_user_sgpr_kernarg_preload_offset 0
		.amdhsa_user_sgpr_private_segment_size 0
		.amdhsa_uses_dynamic_stack 0
		.amdhsa_enable_private_segment 0
		.amdhsa_system_sgpr_workgroup_id_x 1
		.amdhsa_system_sgpr_workgroup_id_y 0
		.amdhsa_system_sgpr_workgroup_id_z 0
		.amdhsa_system_sgpr_workgroup_info 0
		.amdhsa_system_vgpr_workitem_id 0
		.amdhsa_next_free_vgpr 1
		.amdhsa_next_free_sgpr 0
		.amdhsa_accum_offset 4
		.amdhsa_reserve_vcc 0
		.amdhsa_float_round_mode_32 0
		.amdhsa_float_round_mode_16_64 0
		.amdhsa_float_denorm_mode_32 3
		.amdhsa_float_denorm_mode_16_64 3
		.amdhsa_dx10_clamp 1
		.amdhsa_ieee_mode 1
		.amdhsa_fp16_overflow 0
		.amdhsa_tg_split 0
		.amdhsa_exception_fp_ieee_invalid_op 0
		.amdhsa_exception_fp_denorm_src 0
		.amdhsa_exception_fp_ieee_div_zero 0
		.amdhsa_exception_fp_ieee_overflow 0
		.amdhsa_exception_fp_ieee_underflow 0
		.amdhsa_exception_fp_ieee_inexact 0
		.amdhsa_exception_int_div_zero 0
	.end_amdhsa_kernel
	.section	.text._ZN7rocprim17ROCPRIM_400000_NS6detail17trampoline_kernelINS0_14default_configENS1_25partition_config_selectorILNS1_17partition_subalgoE0EyNS0_10empty_typeEbEEZZNS1_14partition_implILS5_0ELb0ES3_jN6thrust23THRUST_200600_302600_NS6detail15normal_iteratorINSA_10device_ptrIyEEEEPS6_SG_NS0_5tupleIJSF_SF_EEENSH_IJSG_SG_EEES6_PlJ7is_evenIyEEEE10hipError_tPvRmT3_T4_T5_T6_T7_T9_mT8_P12ihipStream_tbDpT10_ENKUlT_T0_E_clISt17integral_constantIbLb1EES16_EEDaS11_S12_EUlS11_E_NS1_11comp_targetILNS1_3genE0ELNS1_11target_archE4294967295ELNS1_3gpuE0ELNS1_3repE0EEENS1_30default_config_static_selectorELNS0_4arch9wavefront6targetE1EEEvT1_,"axG",@progbits,_ZN7rocprim17ROCPRIM_400000_NS6detail17trampoline_kernelINS0_14default_configENS1_25partition_config_selectorILNS1_17partition_subalgoE0EyNS0_10empty_typeEbEEZZNS1_14partition_implILS5_0ELb0ES3_jN6thrust23THRUST_200600_302600_NS6detail15normal_iteratorINSA_10device_ptrIyEEEEPS6_SG_NS0_5tupleIJSF_SF_EEENSH_IJSG_SG_EEES6_PlJ7is_evenIyEEEE10hipError_tPvRmT3_T4_T5_T6_T7_T9_mT8_P12ihipStream_tbDpT10_ENKUlT_T0_E_clISt17integral_constantIbLb1EES16_EEDaS11_S12_EUlS11_E_NS1_11comp_targetILNS1_3genE0ELNS1_11target_archE4294967295ELNS1_3gpuE0ELNS1_3repE0EEENS1_30default_config_static_selectorELNS0_4arch9wavefront6targetE1EEEvT1_,comdat
.Lfunc_end2112:
	.size	_ZN7rocprim17ROCPRIM_400000_NS6detail17trampoline_kernelINS0_14default_configENS1_25partition_config_selectorILNS1_17partition_subalgoE0EyNS0_10empty_typeEbEEZZNS1_14partition_implILS5_0ELb0ES3_jN6thrust23THRUST_200600_302600_NS6detail15normal_iteratorINSA_10device_ptrIyEEEEPS6_SG_NS0_5tupleIJSF_SF_EEENSH_IJSG_SG_EEES6_PlJ7is_evenIyEEEE10hipError_tPvRmT3_T4_T5_T6_T7_T9_mT8_P12ihipStream_tbDpT10_ENKUlT_T0_E_clISt17integral_constantIbLb1EES16_EEDaS11_S12_EUlS11_E_NS1_11comp_targetILNS1_3genE0ELNS1_11target_archE4294967295ELNS1_3gpuE0ELNS1_3repE0EEENS1_30default_config_static_selectorELNS0_4arch9wavefront6targetE1EEEvT1_, .Lfunc_end2112-_ZN7rocprim17ROCPRIM_400000_NS6detail17trampoline_kernelINS0_14default_configENS1_25partition_config_selectorILNS1_17partition_subalgoE0EyNS0_10empty_typeEbEEZZNS1_14partition_implILS5_0ELb0ES3_jN6thrust23THRUST_200600_302600_NS6detail15normal_iteratorINSA_10device_ptrIyEEEEPS6_SG_NS0_5tupleIJSF_SF_EEENSH_IJSG_SG_EEES6_PlJ7is_evenIyEEEE10hipError_tPvRmT3_T4_T5_T6_T7_T9_mT8_P12ihipStream_tbDpT10_ENKUlT_T0_E_clISt17integral_constantIbLb1EES16_EEDaS11_S12_EUlS11_E_NS1_11comp_targetILNS1_3genE0ELNS1_11target_archE4294967295ELNS1_3gpuE0ELNS1_3repE0EEENS1_30default_config_static_selectorELNS0_4arch9wavefront6targetE1EEEvT1_
                                        ; -- End function
	.section	.AMDGPU.csdata,"",@progbits
; Kernel info:
; codeLenInByte = 0
; NumSgprs: 6
; NumVgprs: 0
; NumAgprs: 0
; TotalNumVgprs: 0
; ScratchSize: 0
; MemoryBound: 0
; FloatMode: 240
; IeeeMode: 1
; LDSByteSize: 0 bytes/workgroup (compile time only)
; SGPRBlocks: 0
; VGPRBlocks: 0
; NumSGPRsForWavesPerEU: 6
; NumVGPRsForWavesPerEU: 1
; AccumOffset: 4
; Occupancy: 8
; WaveLimiterHint : 0
; COMPUTE_PGM_RSRC2:SCRATCH_EN: 0
; COMPUTE_PGM_RSRC2:USER_SGPR: 2
; COMPUTE_PGM_RSRC2:TRAP_HANDLER: 0
; COMPUTE_PGM_RSRC2:TGID_X_EN: 1
; COMPUTE_PGM_RSRC2:TGID_Y_EN: 0
; COMPUTE_PGM_RSRC2:TGID_Z_EN: 0
; COMPUTE_PGM_RSRC2:TIDIG_COMP_CNT: 0
; COMPUTE_PGM_RSRC3_GFX90A:ACCUM_OFFSET: 0
; COMPUTE_PGM_RSRC3_GFX90A:TG_SPLIT: 0
	.section	.text._ZN7rocprim17ROCPRIM_400000_NS6detail17trampoline_kernelINS0_14default_configENS1_25partition_config_selectorILNS1_17partition_subalgoE0EyNS0_10empty_typeEbEEZZNS1_14partition_implILS5_0ELb0ES3_jN6thrust23THRUST_200600_302600_NS6detail15normal_iteratorINSA_10device_ptrIyEEEEPS6_SG_NS0_5tupleIJSF_SF_EEENSH_IJSG_SG_EEES6_PlJ7is_evenIyEEEE10hipError_tPvRmT3_T4_T5_T6_T7_T9_mT8_P12ihipStream_tbDpT10_ENKUlT_T0_E_clISt17integral_constantIbLb1EES16_EEDaS11_S12_EUlS11_E_NS1_11comp_targetILNS1_3genE5ELNS1_11target_archE942ELNS1_3gpuE9ELNS1_3repE0EEENS1_30default_config_static_selectorELNS0_4arch9wavefront6targetE1EEEvT1_,"axG",@progbits,_ZN7rocprim17ROCPRIM_400000_NS6detail17trampoline_kernelINS0_14default_configENS1_25partition_config_selectorILNS1_17partition_subalgoE0EyNS0_10empty_typeEbEEZZNS1_14partition_implILS5_0ELb0ES3_jN6thrust23THRUST_200600_302600_NS6detail15normal_iteratorINSA_10device_ptrIyEEEEPS6_SG_NS0_5tupleIJSF_SF_EEENSH_IJSG_SG_EEES6_PlJ7is_evenIyEEEE10hipError_tPvRmT3_T4_T5_T6_T7_T9_mT8_P12ihipStream_tbDpT10_ENKUlT_T0_E_clISt17integral_constantIbLb1EES16_EEDaS11_S12_EUlS11_E_NS1_11comp_targetILNS1_3genE5ELNS1_11target_archE942ELNS1_3gpuE9ELNS1_3repE0EEENS1_30default_config_static_selectorELNS0_4arch9wavefront6targetE1EEEvT1_,comdat
	.protected	_ZN7rocprim17ROCPRIM_400000_NS6detail17trampoline_kernelINS0_14default_configENS1_25partition_config_selectorILNS1_17partition_subalgoE0EyNS0_10empty_typeEbEEZZNS1_14partition_implILS5_0ELb0ES3_jN6thrust23THRUST_200600_302600_NS6detail15normal_iteratorINSA_10device_ptrIyEEEEPS6_SG_NS0_5tupleIJSF_SF_EEENSH_IJSG_SG_EEES6_PlJ7is_evenIyEEEE10hipError_tPvRmT3_T4_T5_T6_T7_T9_mT8_P12ihipStream_tbDpT10_ENKUlT_T0_E_clISt17integral_constantIbLb1EES16_EEDaS11_S12_EUlS11_E_NS1_11comp_targetILNS1_3genE5ELNS1_11target_archE942ELNS1_3gpuE9ELNS1_3repE0EEENS1_30default_config_static_selectorELNS0_4arch9wavefront6targetE1EEEvT1_ ; -- Begin function _ZN7rocprim17ROCPRIM_400000_NS6detail17trampoline_kernelINS0_14default_configENS1_25partition_config_selectorILNS1_17partition_subalgoE0EyNS0_10empty_typeEbEEZZNS1_14partition_implILS5_0ELb0ES3_jN6thrust23THRUST_200600_302600_NS6detail15normal_iteratorINSA_10device_ptrIyEEEEPS6_SG_NS0_5tupleIJSF_SF_EEENSH_IJSG_SG_EEES6_PlJ7is_evenIyEEEE10hipError_tPvRmT3_T4_T5_T6_T7_T9_mT8_P12ihipStream_tbDpT10_ENKUlT_T0_E_clISt17integral_constantIbLb1EES16_EEDaS11_S12_EUlS11_E_NS1_11comp_targetILNS1_3genE5ELNS1_11target_archE942ELNS1_3gpuE9ELNS1_3repE0EEENS1_30default_config_static_selectorELNS0_4arch9wavefront6targetE1EEEvT1_
	.globl	_ZN7rocprim17ROCPRIM_400000_NS6detail17trampoline_kernelINS0_14default_configENS1_25partition_config_selectorILNS1_17partition_subalgoE0EyNS0_10empty_typeEbEEZZNS1_14partition_implILS5_0ELb0ES3_jN6thrust23THRUST_200600_302600_NS6detail15normal_iteratorINSA_10device_ptrIyEEEEPS6_SG_NS0_5tupleIJSF_SF_EEENSH_IJSG_SG_EEES6_PlJ7is_evenIyEEEE10hipError_tPvRmT3_T4_T5_T6_T7_T9_mT8_P12ihipStream_tbDpT10_ENKUlT_T0_E_clISt17integral_constantIbLb1EES16_EEDaS11_S12_EUlS11_E_NS1_11comp_targetILNS1_3genE5ELNS1_11target_archE942ELNS1_3gpuE9ELNS1_3repE0EEENS1_30default_config_static_selectorELNS0_4arch9wavefront6targetE1EEEvT1_
	.p2align	8
	.type	_ZN7rocprim17ROCPRIM_400000_NS6detail17trampoline_kernelINS0_14default_configENS1_25partition_config_selectorILNS1_17partition_subalgoE0EyNS0_10empty_typeEbEEZZNS1_14partition_implILS5_0ELb0ES3_jN6thrust23THRUST_200600_302600_NS6detail15normal_iteratorINSA_10device_ptrIyEEEEPS6_SG_NS0_5tupleIJSF_SF_EEENSH_IJSG_SG_EEES6_PlJ7is_evenIyEEEE10hipError_tPvRmT3_T4_T5_T6_T7_T9_mT8_P12ihipStream_tbDpT10_ENKUlT_T0_E_clISt17integral_constantIbLb1EES16_EEDaS11_S12_EUlS11_E_NS1_11comp_targetILNS1_3genE5ELNS1_11target_archE942ELNS1_3gpuE9ELNS1_3repE0EEENS1_30default_config_static_selectorELNS0_4arch9wavefront6targetE1EEEvT1_,@function
_ZN7rocprim17ROCPRIM_400000_NS6detail17trampoline_kernelINS0_14default_configENS1_25partition_config_selectorILNS1_17partition_subalgoE0EyNS0_10empty_typeEbEEZZNS1_14partition_implILS5_0ELb0ES3_jN6thrust23THRUST_200600_302600_NS6detail15normal_iteratorINSA_10device_ptrIyEEEEPS6_SG_NS0_5tupleIJSF_SF_EEENSH_IJSG_SG_EEES6_PlJ7is_evenIyEEEE10hipError_tPvRmT3_T4_T5_T6_T7_T9_mT8_P12ihipStream_tbDpT10_ENKUlT_T0_E_clISt17integral_constantIbLb1EES16_EEDaS11_S12_EUlS11_E_NS1_11comp_targetILNS1_3genE5ELNS1_11target_archE942ELNS1_3gpuE9ELNS1_3repE0EEENS1_30default_config_static_selectorELNS0_4arch9wavefront6targetE1EEEvT1_: ; @_ZN7rocprim17ROCPRIM_400000_NS6detail17trampoline_kernelINS0_14default_configENS1_25partition_config_selectorILNS1_17partition_subalgoE0EyNS0_10empty_typeEbEEZZNS1_14partition_implILS5_0ELb0ES3_jN6thrust23THRUST_200600_302600_NS6detail15normal_iteratorINSA_10device_ptrIyEEEEPS6_SG_NS0_5tupleIJSF_SF_EEENSH_IJSG_SG_EEES6_PlJ7is_evenIyEEEE10hipError_tPvRmT3_T4_T5_T6_T7_T9_mT8_P12ihipStream_tbDpT10_ENKUlT_T0_E_clISt17integral_constantIbLb1EES16_EEDaS11_S12_EUlS11_E_NS1_11comp_targetILNS1_3genE5ELNS1_11target_archE942ELNS1_3gpuE9ELNS1_3repE0EEENS1_30default_config_static_selectorELNS0_4arch9wavefront6targetE1EEEvT1_
; %bb.0:
	s_load_dwordx2 s[2:3], s[0:1], 0x58
	s_load_dwordx4 s[24:27], s[0:1], 0x48
	s_load_dwordx2 s[34:35], s[0:1], 0x68
	v_cmp_eq_u32_e64 s[20:21], 0, v0
	s_and_saveexec_b64 s[4:5], s[20:21]
	s_cbranch_execz .LBB2113_4
; %bb.1:
	s_mov_b64 s[8:9], exec
	v_mbcnt_lo_u32_b32 v1, s8, 0
	v_mbcnt_hi_u32_b32 v1, s9, v1
	v_cmp_eq_u32_e32 vcc, 0, v1
                                        ; implicit-def: $vgpr2
	s_and_saveexec_b64 s[6:7], vcc
	s_cbranch_execz .LBB2113_3
; %bb.2:
	s_load_dwordx2 s[10:11], s[0:1], 0x78
	s_bcnt1_i32_b64 s8, s[8:9]
	v_mov_b32_e32 v2, 0
	v_mov_b32_e32 v3, s8
	s_waitcnt lgkmcnt(0)
	global_atomic_add v2, v2, v3, s[10:11] sc0
.LBB2113_3:
	s_or_b64 exec, exec, s[6:7]
	s_waitcnt vmcnt(0)
	v_readfirstlane_b32 s6, v2
	v_mov_b32_e32 v2, 0
	s_nop 0
	v_add_u32_e32 v1, s6, v1
	ds_write_b32 v2, v1
.LBB2113_4:
	s_or_b64 exec, exec, s[4:5]
	v_mov_b32_e32 v19, 0
	s_load_dwordx4 s[36:39], s[0:1], 0x8
	s_load_dwordx4 s[28:31], s[0:1], 0x28
	s_load_dword s4, s[0:1], 0x70
	s_waitcnt lgkmcnt(0)
	s_barrier
	ds_read_b32 v1, v19
	s_waitcnt lgkmcnt(0)
	s_barrier
	global_load_dwordx2 v[20:21], v19, s[26:27]
	v_mov_b32_e32 v3, s3
	s_lshl_b64 s[0:1], s[38:39], 3
	s_movk_i32 s3, 0xe00
	s_add_u32 s0, s36, s0
	v_mul_lo_u32 v18, v1, s3
	s_mul_i32 s3, s4, 0xe00
	s_addc_u32 s1, s37, s1
	s_add_i32 s5, s4, -1
	s_add_i32 s4, s3, s38
	s_sub_i32 s33, s2, s4
	s_addk_i32 s33, 0xe00
	v_mov_b32_e32 v2, s2
	s_add_u32 s2, s38, s3
	v_readfirstlane_b32 s40, v1
	s_addc_u32 s3, s39, 0
	s_cmp_eq_u32 s40, s5
	s_cselect_b64 s[22:23], -1, 0
	s_cmp_lg_u32 s40, s5
	v_cmp_lt_u64_e32 vcc, s[2:3], v[2:3]
	s_cselect_b64 s[2:3], -1, 0
	s_or_b64 s[4:5], vcc, s[2:3]
	v_lshlrev_b64 v[22:23], 3, v[18:19]
	v_lshl_add_u64 v[24:25], s[0:1], 0, v[22:23]
	s_mov_b64 s[0:1], -1
	s_and_b64 vcc, exec, s[4:5]
	v_lshlrev_b32_e32 v18, 3, v0
	s_cbranch_vccz .LBB2113_6
; %bb.5:
	v_lshl_add_u64 v[2:3], v[24:25], 0, v[18:19]
	v_add_co_u32_e32 v4, vcc, 0x1000, v2
	s_mov_b64 s[0:1], 0
	s_nop 0
	v_addc_co_u32_e32 v5, vcc, 0, v3, vcc
	v_add_co_u32_e32 v6, vcc, 0x2000, v2
	s_nop 1
	v_addc_co_u32_e32 v7, vcc, 0, v3, vcc
	v_add_co_u32_e32 v8, vcc, 0x3000, v2
	s_nop 1
	v_addc_co_u32_e32 v9, vcc, 0, v3, vcc
	flat_load_dwordx2 v[10:11], v[2:3]
	flat_load_dwordx2 v[12:13], v[4:5]
	;; [unrolled: 1-line block ×4, first 2 shown]
	v_add_co_u32_e32 v4, vcc, 0x4000, v2
	s_nop 1
	v_addc_co_u32_e32 v5, vcc, 0, v3, vcc
	v_add_co_u32_e32 v6, vcc, 0x5000, v2
	s_nop 1
	v_addc_co_u32_e32 v7, vcc, 0, v3, vcc
	;; [unrolled: 3-line block ×3, first 2 shown]
	flat_load_dwordx2 v[8:9], v[4:5]
	flat_load_dwordx2 v[26:27], v[6:7]
	;; [unrolled: 1-line block ×3, first 2 shown]
	s_waitcnt vmcnt(0) lgkmcnt(0)
	ds_write2st64_b64 v18, v[10:11], v[12:13] offset1:8
	ds_write2st64_b64 v18, v[14:15], v[16:17] offset0:16 offset1:24
	ds_write2st64_b64 v18, v[8:9], v[26:27] offset0:32 offset1:40
	ds_write_b64 v18, v[28:29] offset:24576
	s_waitcnt lgkmcnt(0)
	s_barrier
.LBB2113_6:
	s_andn2_b64 vcc, exec, s[0:1]
	v_cmp_gt_u32_e64 s[0:1], s33, v0
	s_cbranch_vccnz .LBB2113_22
; %bb.7:
                                        ; implicit-def: $vgpr2_vgpr3_vgpr4_vgpr5_vgpr6_vgpr7_vgpr8_vgpr9_vgpr10_vgpr11_vgpr12_vgpr13_vgpr14_vgpr15_vgpr16_vgpr17
	s_and_saveexec_b64 s[2:3], s[0:1]
	s_cbranch_execz .LBB2113_9
; %bb.8:
	v_mov_b32_e32 v19, 0
	v_lshl_add_u64 v[2:3], v[24:25], 0, v[18:19]
	flat_load_dwordx2 v[2:3], v[2:3]
.LBB2113_9:
	s_or_b64 exec, exec, s[2:3]
	v_or_b32_e32 v1, 0x200, v0
	v_cmp_gt_u32_e32 vcc, s33, v1
	s_and_saveexec_b64 s[0:1], vcc
	s_cbranch_execz .LBB2113_11
; %bb.10:
	v_lshlrev_b32_e32 v4, 3, v1
	v_mov_b32_e32 v5, 0
	v_lshl_add_u64 v[4:5], v[24:25], 0, v[4:5]
	flat_load_dwordx2 v[4:5], v[4:5]
.LBB2113_11:
	s_or_b64 exec, exec, s[0:1]
	v_or_b32_e32 v1, 0x400, v0
	v_cmp_gt_u32_e32 vcc, s33, v1
	s_and_saveexec_b64 s[0:1], vcc
	s_cbranch_execz .LBB2113_13
; %bb.12:
	v_lshlrev_b32_e32 v6, 3, v1
	v_mov_b32_e32 v7, 0
	v_lshl_add_u64 v[6:7], v[24:25], 0, v[6:7]
	flat_load_dwordx2 v[6:7], v[6:7]
.LBB2113_13:
	;; [unrolled: 11-line block ×6, first 2 shown]
	s_or_b64 exec, exec, s[0:1]
	s_waitcnt vmcnt(0) lgkmcnt(0)
	ds_write2st64_b64 v18, v[2:3], v[4:5] offset1:8
	ds_write2st64_b64 v18, v[6:7], v[8:9] offset0:16 offset1:24
	ds_write2st64_b64 v18, v[10:11], v[12:13] offset0:32 offset1:40
	ds_write_b64 v18, v[14:15] offset:24576
	s_waitcnt lgkmcnt(0)
	s_barrier
.LBB2113_22:
	v_mul_u32_u24_e32 v1, 7, v0
	v_lshlrev_b32_e32 v36, 3, v1
	ds_read2_b64 v[10:13], v36 offset1:1
	ds_read2_b64 v[6:9], v36 offset0:2 offset1:3
	ds_read2_b64 v[2:5], v36 offset0:4 offset1:5
	ds_read_b64 v[14:15], v36 offset:48
	v_cndmask_b32_e64 v16, 0, 1, s[4:5]
	v_cmp_ne_u32_e64 s[2:3], 1, v16
	s_andn2_b64 vcc, exec, s[4:5]
	s_waitcnt lgkmcnt(3)
	v_xor_b32_e32 v28, -1, v10
	v_xor_b32_e32 v27, -1, v12
	s_waitcnt lgkmcnt(2)
	v_xor_b32_e32 v26, -1, v6
	v_xor_b32_e32 v25, -1, v8
	;; [unrolled: 3-line block ×3, first 2 shown]
	s_waitcnt lgkmcnt(0)
	v_xor_b32_e32 v16, -1, v14
	s_barrier
	s_cbranch_vccnz .LBB2113_24
; %bb.23:
	v_mov_b32_e32 v19, 1
	v_and_b32_e32 v29, 1, v28
	v_and_b32_sdwa v30, v27, v19 dst_sel:BYTE_1 dst_unused:UNUSED_PAD src0_sel:DWORD src1_sel:DWORD
	v_and_b32_e32 v31, 1, v26
	v_and_b32_sdwa v34, v25, v19 dst_sel:BYTE_1 dst_unused:UNUSED_PAD src0_sel:DWORD src1_sel:DWORD
	v_or_b32_e32 v29, v29, v30
	v_or_b32_sdwa v30, v31, v34 dst_sel:WORD_1 dst_unused:UNUSED_PAD src0_sel:DWORD src1_sel:DWORD
	v_and_b32_e32 v33, 1, v24
	v_and_b32_e32 v32, 1, v17
	;; [unrolled: 1-line block ×3, first 2 shown]
	v_or_b32_sdwa v34, v29, v30 dst_sel:DWORD dst_unused:UNUSED_PAD src0_sel:WORD_0 src1_sel:DWORD
	s_cbranch_execz .LBB2113_25
	s_branch .LBB2113_26
.LBB2113_24:
                                        ; implicit-def: $vgpr19
                                        ; implicit-def: $vgpr32
                                        ; implicit-def: $vgpr33
                                        ; implicit-def: $vgpr34
.LBB2113_25:
	v_add_u32_e32 v19, 1, v1
	v_cmp_gt_u32_e32 vcc, s33, v1
	v_add_u32_e32 v29, 2, v1
	v_add_u32_e32 v30, 3, v1
	v_cndmask_b32_e64 v33, 0, 1, vcc
	v_cmp_gt_u32_e32 vcc, s33, v19
	v_add_u32_e32 v31, 4, v1
	v_add_u32_e32 v32, 5, v1
	v_cndmask_b32_e64 v19, 0, 1, vcc
	v_cmp_gt_u32_e32 vcc, s33, v29
	v_and_b32_sdwa v27, v19, v27 dst_sel:BYTE_1 dst_unused:UNUSED_PAD src0_sel:DWORD src1_sel:DWORD
	v_add_u32_e32 v34, 6, v1
	v_cndmask_b32_e64 v19, 0, 1, vcc
	v_cmp_gt_u32_e32 vcc, s33, v30
	v_and_b32_e32 v26, v19, v26
	v_and_b32_e32 v28, v33, v28
	v_cndmask_b32_e64 v19, 0, 1, vcc
	v_cmp_gt_u32_e32 vcc, s33, v31
	v_and_b32_sdwa v25, v19, v25 dst_sel:BYTE_1 dst_unused:UNUSED_PAD src0_sel:DWORD src1_sel:DWORD
	s_nop 0
	v_cndmask_b32_e64 v19, 0, 1, vcc
	v_cmp_gt_u32_e32 vcc, s33, v32
	v_and_b32_e32 v33, v19, v24
	s_nop 0
	v_cndmask_b32_e64 v19, 0, 1, vcc
	v_cmp_gt_u32_e32 vcc, s33, v34
	v_and_b32_e32 v32, v19, v17
	s_nop 0
	v_cndmask_b32_e64 v17, 0, 1, vcc
	v_and_b32_e32 v19, v17, v16
	v_or_b32_e32 v16, v28, v27
	v_or_b32_sdwa v17, v26, v25 dst_sel:WORD_1 dst_unused:UNUSED_PAD src0_sel:DWORD src1_sel:DWORD
	s_nop 0
	v_or_b32_sdwa v34, v16, v17 dst_sel:DWORD dst_unused:UNUSED_PAD src0_sel:WORD_0 src1_sel:DWORD
.LBB2113_26:
	v_and_b32_e32 v37, 0xff, v34
	v_bfe_u32 v38, v34, 8, 8
	v_bfe_u32 v39, v34, 16, 8
	v_lshrrev_b32_e32 v35, 24, v34
	v_and_b32_e32 v40, 0xff, v33
	v_add3_u32 v17, v38, v37, v39
	v_and_b32_e32 v41, 0xff, v32
	v_and_b32_e32 v16, 0xff, v19
	v_add3_u32 v17, v17, v35, v40
	v_add3_u32 v44, v17, v41, v16
	v_mbcnt_lo_u32_b32 v16, -1, 0
	v_mbcnt_hi_u32_b32 v42, -1, v16
	v_and_b32_e32 v16, 15, v42
	v_cmp_eq_u32_e64 s[16:17], 0, v16
	v_cmp_lt_u32_e64 s[14:15], 1, v16
	v_cmp_lt_u32_e64 s[12:13], 3, v16
	;; [unrolled: 1-line block ×3, first 2 shown]
	v_and_b32_e32 v16, 16, v42
	v_cmp_eq_u32_e64 s[8:9], 0, v16
	v_or_b32_e32 v16, 63, v0
	s_cmp_lg_u32 s40, 0
	v_cmp_lt_u32_e64 s[4:5], 31, v42
	v_lshrrev_b32_e32 v43, 6, v0
	v_cmp_eq_u32_e64 s[6:7], v16, v0
	s_cbranch_scc0 .LBB2113_57
; %bb.27:
	v_mov_b32_dpp v16, v44 row_shr:1 row_mask:0xf bank_mask:0xf
	v_cndmask_b32_e64 v16, v16, 0, s[16:17]
	v_add_u32_e32 v16, v16, v44
	s_nop 1
	v_mov_b32_dpp v17, v16 row_shr:2 row_mask:0xf bank_mask:0xf
	v_cndmask_b32_e64 v17, 0, v17, s[14:15]
	v_add_u32_e32 v16, v16, v17
	s_nop 1
	v_mov_b32_dpp v17, v16 row_shr:4 row_mask:0xf bank_mask:0xf
	v_cndmask_b32_e64 v17, 0, v17, s[12:13]
	v_add_u32_e32 v16, v16, v17
	s_nop 1
	v_mov_b32_dpp v17, v16 row_shr:8 row_mask:0xf bank_mask:0xf
	v_cndmask_b32_e64 v17, 0, v17, s[10:11]
	v_add_u32_e32 v16, v16, v17
	s_nop 1
	v_mov_b32_dpp v17, v16 row_bcast:15 row_mask:0xf bank_mask:0xf
	v_cndmask_b32_e64 v17, v17, 0, s[8:9]
	v_add_u32_e32 v16, v16, v17
	s_nop 1
	v_mov_b32_dpp v17, v16 row_bcast:31 row_mask:0xf bank_mask:0xf
	v_cndmask_b32_e64 v17, 0, v17, s[4:5]
	v_add_u32_e32 v16, v16, v17
	s_and_saveexec_b64 s[0:1], s[6:7]
	s_cbranch_execz .LBB2113_29
; %bb.28:
	v_lshlrev_b32_e32 v17, 2, v43
	ds_write_b32 v17, v16
.LBB2113_29:
	s_or_b64 exec, exec, s[0:1]
	v_cmp_gt_u32_e32 vcc, 8, v0
	s_waitcnt lgkmcnt(0)
	s_barrier
	s_and_saveexec_b64 s[0:1], vcc
	s_cbranch_execz .LBB2113_31
; %bb.30:
	v_lshlrev_b32_e32 v17, 2, v0
	ds_read_b32 v24, v17
	v_and_b32_e32 v25, 7, v42
	v_cmp_ne_u32_e32 vcc, 0, v25
	s_waitcnt lgkmcnt(0)
	v_mov_b32_dpp v26, v24 row_shr:1 row_mask:0xf bank_mask:0xf
	v_cndmask_b32_e32 v26, 0, v26, vcc
	v_add_u32_e32 v24, v26, v24
	v_cmp_lt_u32_e32 vcc, 1, v25
	s_nop 0
	v_mov_b32_dpp v26, v24 row_shr:2 row_mask:0xf bank_mask:0xf
	v_cndmask_b32_e32 v26, 0, v26, vcc
	v_add_u32_e32 v24, v24, v26
	v_cmp_lt_u32_e32 vcc, 3, v25
	s_nop 0
	v_mov_b32_dpp v26, v24 row_shr:4 row_mask:0xf bank_mask:0xf
	v_cndmask_b32_e32 v25, 0, v26, vcc
	v_add_u32_e32 v24, v24, v25
	ds_write_b32 v17, v24
.LBB2113_31:
	s_or_b64 exec, exec, s[0:1]
	v_cmp_gt_u32_e32 vcc, 64, v0
	v_cmp_lt_u32_e64 s[0:1], 63, v0
	s_waitcnt lgkmcnt(0)
	s_barrier
	s_waitcnt lgkmcnt(0)
                                        ; implicit-def: $vgpr45
	s_and_saveexec_b64 s[18:19], s[0:1]
	s_cbranch_execz .LBB2113_33
; %bb.32:
	v_lshl_add_u32 v17, v43, 2, -4
	ds_read_b32 v45, v17
	s_waitcnt lgkmcnt(0)
	v_add_u32_e32 v16, v45, v16
.LBB2113_33:
	s_or_b64 exec, exec, s[18:19]
	v_add_u32_e32 v17, -1, v42
	v_and_b32_e32 v24, 64, v42
	v_cmp_lt_i32_e64 s[0:1], v17, v24
	v_cmp_eq_u32_e64 s[18:19], 0, v42
	s_nop 0
	v_cndmask_b32_e64 v17, v17, v42, s[0:1]
	v_lshlrev_b32_e32 v17, 2, v17
	ds_bpermute_b32 v46, v17, v16
	s_and_saveexec_b64 s[0:1], vcc
	s_cbranch_execz .LBB2113_56
; %bb.34:
	v_mov_b32_e32 v31, 0
	ds_read_b32 v16, v31 offset:28
	s_and_saveexec_b64 s[26:27], s[18:19]
	s_cbranch_execz .LBB2113_36
; %bb.35:
	s_add_i32 s36, s40, 64
	s_mov_b32 s37, 0
	s_lshl_b64 s[36:37], s[36:37], 3
	s_add_u32 s36, s34, s36
	v_mov_b32_e32 v17, 1
	s_addc_u32 s37, s35, s37
	s_waitcnt lgkmcnt(0)
	global_store_dwordx2 v31, v[16:17], s[36:37] sc1
.LBB2113_36:
	s_or_b64 exec, exec, s[26:27]
	v_xad_u32 v24, v42, -1, s40
	v_add_u32_e32 v30, 64, v24
	v_lshl_add_u64 v[26:27], v[30:31], 3, s[34:35]
	global_load_dwordx2 v[28:29], v[26:27], off sc1
	s_waitcnt vmcnt(0)
	v_cmp_eq_u16_sdwa s[36:37], v29, v31 src0_sel:BYTE_0 src1_sel:DWORD
	s_and_saveexec_b64 s[26:27], s[36:37]
	s_cbranch_execz .LBB2113_42
; %bb.37:
	s_mov_b32 s41, 1
	s_mov_b64 s[36:37], 0
	v_mov_b32_e32 v17, 0
.LBB2113_38:                            ; =>This Loop Header: Depth=1
                                        ;     Child Loop BB2113_39 Depth 2
	s_max_u32 s42, s41, 1
.LBB2113_39:                            ;   Parent Loop BB2113_38 Depth=1
                                        ; =>  This Inner Loop Header: Depth=2
	s_add_i32 s42, s42, -1
	s_cmp_eq_u32 s42, 0
	s_sleep 1
	s_cbranch_scc0 .LBB2113_39
; %bb.40:                               ;   in Loop: Header=BB2113_38 Depth=1
	global_load_dwordx2 v[28:29], v[26:27], off sc1
	s_cmp_lt_u32 s41, 32
	s_cselect_b64 s[42:43], -1, 0
	s_cmp_lg_u64 s[42:43], 0
	s_addc_u32 s41, s41, 0
	s_waitcnt vmcnt(0)
	v_cmp_ne_u16_sdwa s[42:43], v29, v17 src0_sel:BYTE_0 src1_sel:DWORD
	s_or_b64 s[36:37], s[42:43], s[36:37]
	s_andn2_b64 exec, exec, s[36:37]
	s_cbranch_execnz .LBB2113_38
; %bb.41:
	s_or_b64 exec, exec, s[36:37]
.LBB2113_42:
	s_or_b64 exec, exec, s[26:27]
	v_and_b32_e32 v48, 63, v42
	v_mov_b32_e32 v47, 2
	v_cmp_ne_u32_e32 vcc, 63, v48
	v_cmp_eq_u16_sdwa s[26:27], v29, v47 src0_sel:BYTE_0 src1_sel:DWORD
	v_lshlrev_b64 v[26:27], v42, -1
	v_addc_co_u32_e32 v30, vcc, 0, v42, vcc
	v_and_b32_e32 v17, s27, v27
	v_lshlrev_b32_e32 v49, 2, v30
	v_or_b32_e32 v17, 0x80000000, v17
	ds_bpermute_b32 v30, v49, v28
	v_and_b32_e32 v25, s26, v26
	v_ffbl_b32_e32 v17, v17
	v_add_u32_e32 v17, 32, v17
	v_ffbl_b32_e32 v25, v25
	v_min_u32_e32 v17, v25, v17
	v_cmp_lt_u32_e32 vcc, v48, v17
	v_add_u32_e32 v51, 2, v48
	v_add_u32_e32 v53, 4, v48
	s_waitcnt lgkmcnt(0)
	v_cndmask_b32_e32 v25, 0, v30, vcc
	v_cmp_gt_u32_e32 vcc, 62, v48
	v_add_u32_e32 v25, v25, v28
	v_add_u32_e32 v55, 8, v48
	v_cndmask_b32_e64 v28, 0, 1, vcc
	v_lshlrev_b32_e32 v28, 1, v28
	v_add_lshl_u32 v50, v28, v42, 2
	ds_bpermute_b32 v28, v50, v25
	v_cmp_le_u32_e32 vcc, v51, v17
	v_add_u32_e32 v57, 16, v48
	v_add_u32_e32 v59, 32, v48
	s_waitcnt lgkmcnt(0)
	v_cndmask_b32_e32 v28, 0, v28, vcc
	v_cmp_gt_u32_e32 vcc, 60, v48
	v_add_u32_e32 v25, v25, v28
	s_nop 0
	v_cndmask_b32_e64 v28, 0, 1, vcc
	v_lshlrev_b32_e32 v28, 2, v28
	v_add_lshl_u32 v52, v28, v42, 2
	ds_bpermute_b32 v28, v52, v25
	v_cmp_le_u32_e32 vcc, v53, v17
	s_waitcnt lgkmcnt(0)
	s_nop 0
	v_cndmask_b32_e32 v28, 0, v28, vcc
	v_cmp_gt_u32_e32 vcc, 56, v48
	v_add_u32_e32 v25, v25, v28
	s_nop 0
	v_cndmask_b32_e64 v28, 0, 1, vcc
	v_lshlrev_b32_e32 v28, 3, v28
	v_add_lshl_u32 v54, v28, v42, 2
	ds_bpermute_b32 v28, v54, v25
	v_cmp_le_u32_e32 vcc, v55, v17
	s_waitcnt lgkmcnt(0)
	s_nop 0
	;; [unrolled: 11-line block ×4, first 2 shown]
	v_cndmask_b32_e32 v17, 0, v28, vcc
	v_add_u32_e32 v28, v25, v17
	v_mov_b32_e32 v25, 0
	s_branch .LBB2113_44
.LBB2113_43:                            ;   in Loop: Header=BB2113_44 Depth=1
	s_or_b64 exec, exec, s[26:27]
	v_cmp_eq_u16_sdwa s[26:27], v29, v47 src0_sel:BYTE_0 src1_sel:DWORD
	ds_bpermute_b32 v60, v49, v28
	v_subrev_u32_e32 v24, 64, v24
	v_and_b32_e32 v30, s27, v27
	v_or_b32_e32 v30, 0x80000000, v30
	v_and_b32_e32 v31, s26, v26
	v_ffbl_b32_e32 v30, v30
	v_add_u32_e32 v30, 32, v30
	v_ffbl_b32_e32 v31, v31
	v_min_u32_e32 v30, v31, v30
	v_cmp_lt_u32_e32 vcc, v48, v30
	s_waitcnt lgkmcnt(0)
	s_nop 0
	v_cndmask_b32_e32 v31, 0, v60, vcc
	v_add_u32_e32 v28, v31, v28
	ds_bpermute_b32 v31, v50, v28
	v_cmp_le_u32_e32 vcc, v51, v30
	s_waitcnt lgkmcnt(0)
	s_nop 0
	v_cndmask_b32_e32 v31, 0, v31, vcc
	v_add_u32_e32 v28, v28, v31
	ds_bpermute_b32 v31, v52, v28
	v_cmp_le_u32_e32 vcc, v53, v30
	s_waitcnt lgkmcnt(0)
	s_nop 0
	v_cndmask_b32_e32 v31, 0, v31, vcc
	v_add_u32_e32 v28, v28, v31
	ds_bpermute_b32 v31, v54, v28
	v_cmp_le_u32_e32 vcc, v55, v30
	s_waitcnt lgkmcnt(0)
	s_nop 0
	v_cndmask_b32_e32 v31, 0, v31, vcc
	v_add_u32_e32 v28, v28, v31
	ds_bpermute_b32 v31, v56, v28
	v_cmp_le_u32_e32 vcc, v57, v30
	s_waitcnt lgkmcnt(0)
	s_nop 0
	v_cndmask_b32_e32 v31, 0, v31, vcc
	v_add_u32_e32 v28, v28, v31
	ds_bpermute_b32 v31, v58, v28
	v_cmp_le_u32_e32 vcc, v59, v30
	s_waitcnt lgkmcnt(0)
	s_nop 0
	v_cndmask_b32_e32 v30, 0, v31, vcc
	v_add3_u32 v28, v30, v17, v28
.LBB2113_44:                            ; =>This Loop Header: Depth=1
                                        ;     Child Loop BB2113_47 Depth 2
                                        ;       Child Loop BB2113_48 Depth 3
	v_cmp_ne_u16_sdwa s[26:27], v29, v47 src0_sel:BYTE_0 src1_sel:DWORD
	s_nop 1
	v_cndmask_b32_e64 v17, 0, 1, s[26:27]
	;;#ASMSTART
	;;#ASMEND
	s_nop 0
	v_cmp_ne_u32_e32 vcc, 0, v17
	s_cmp_lg_u64 vcc, exec
	v_mov_b32_e32 v17, v28
	s_cbranch_scc1 .LBB2113_51
; %bb.45:                               ;   in Loop: Header=BB2113_44 Depth=1
	v_lshl_add_u64 v[30:31], v[24:25], 3, s[34:35]
	global_load_dwordx2 v[28:29], v[30:31], off sc1
	s_waitcnt vmcnt(0)
	v_cmp_eq_u16_sdwa s[36:37], v29, v25 src0_sel:BYTE_0 src1_sel:DWORD
	s_and_saveexec_b64 s[26:27], s[36:37]
	s_cbranch_execz .LBB2113_43
; %bb.46:                               ;   in Loop: Header=BB2113_44 Depth=1
	s_mov_b32 s41, 1
	s_mov_b64 s[36:37], 0
.LBB2113_47:                            ;   Parent Loop BB2113_44 Depth=1
                                        ; =>  This Loop Header: Depth=2
                                        ;       Child Loop BB2113_48 Depth 3
	s_max_u32 s42, s41, 1
.LBB2113_48:                            ;   Parent Loop BB2113_44 Depth=1
                                        ;     Parent Loop BB2113_47 Depth=2
                                        ; =>    This Inner Loop Header: Depth=3
	s_add_i32 s42, s42, -1
	s_cmp_eq_u32 s42, 0
	s_sleep 1
	s_cbranch_scc0 .LBB2113_48
; %bb.49:                               ;   in Loop: Header=BB2113_47 Depth=2
	global_load_dwordx2 v[28:29], v[30:31], off sc1
	s_cmp_lt_u32 s41, 32
	s_cselect_b64 s[42:43], -1, 0
	s_cmp_lg_u64 s[42:43], 0
	s_addc_u32 s41, s41, 0
	s_waitcnt vmcnt(0)
	v_cmp_ne_u16_sdwa s[42:43], v29, v25 src0_sel:BYTE_0 src1_sel:DWORD
	s_or_b64 s[36:37], s[42:43], s[36:37]
	s_andn2_b64 exec, exec, s[36:37]
	s_cbranch_execnz .LBB2113_47
; %bb.50:                               ;   in Loop: Header=BB2113_44 Depth=1
	s_or_b64 exec, exec, s[36:37]
	s_branch .LBB2113_43
.LBB2113_51:                            ;   in Loop: Header=BB2113_44 Depth=1
                                        ; implicit-def: $vgpr28
                                        ; implicit-def: $vgpr29
	s_cbranch_execz .LBB2113_44
; %bb.52:
	s_and_saveexec_b64 s[26:27], s[18:19]
	s_cbranch_execz .LBB2113_54
; %bb.53:
	s_add_i32 s36, s40, 64
	s_mov_b32 s37, 0
	s_lshl_b64 s[36:37], s[36:37], 3
	s_add_u32 s36, s34, s36
	v_add_u32_e32 v24, v17, v16
	v_mov_b32_e32 v25, 2
	s_addc_u32 s37, s35, s37
	v_mov_b32_e32 v26, 0
	global_store_dwordx2 v26, v[24:25], s[36:37] sc1
	ds_write_b64 v26, v[16:17] offset:28672
.LBB2113_54:
	s_or_b64 exec, exec, s[26:27]
	s_and_b64 exec, exec, s[20:21]
	s_cbranch_execz .LBB2113_56
; %bb.55:
	v_mov_b32_e32 v16, 0
	ds_write_b32 v16, v17 offset:28
.LBB2113_56:
	s_or_b64 exec, exec, s[0:1]
	v_mov_b32_e32 v16, 0
	s_waitcnt lgkmcnt(0)
	s_barrier
	ds_read_b32 v17, v16 offset:28
	v_cndmask_b32_e64 v24, v46, v45, s[18:19]
	v_cndmask_b32_e64 v24, v24, 0, s[20:21]
	s_waitcnt lgkmcnt(0)
	s_barrier
	v_add_u32_e32 v31, v17, v24
	v_add_u32_e32 v30, v31, v37
	ds_read_b64 v[16:17], v16 offset:28672
	v_add_u32_e32 v29, v30, v38
	v_add_u32_e32 v28, v29, v39
	;; [unrolled: 1-line block ×5, first 2 shown]
	s_waitcnt lgkmcnt(0)
	v_mov_b32_e32 v24, v17
	s_branch .LBB2113_67
.LBB2113_57:
                                        ; implicit-def: $vgpr24
                                        ; implicit-def: $vgpr16
                                        ; implicit-def: $vgpr25
                                        ; implicit-def: $vgpr26
                                        ; implicit-def: $vgpr27
                                        ; implicit-def: $vgpr28
                                        ; implicit-def: $vgpr29
                                        ; implicit-def: $vgpr30
                                        ; implicit-def: $vgpr31
	s_cbranch_execz .LBB2113_67
; %bb.58:
	s_nop 0
	v_mov_b32_dpp v16, v44 row_shr:1 row_mask:0xf bank_mask:0xf
	v_cndmask_b32_e64 v16, v16, 0, s[16:17]
	v_add_u32_e32 v16, v16, v44
	s_nop 1
	v_mov_b32_dpp v17, v16 row_shr:2 row_mask:0xf bank_mask:0xf
	v_cndmask_b32_e64 v17, 0, v17, s[14:15]
	v_add_u32_e32 v16, v16, v17
	;; [unrolled: 4-line block ×4, first 2 shown]
	s_nop 1
	v_mov_b32_dpp v17, v16 row_bcast:15 row_mask:0xf bank_mask:0xf
	v_cndmask_b32_e64 v17, v17, 0, s[8:9]
	v_add_u32_e32 v16, v16, v17
	s_nop 1
	v_mov_b32_dpp v17, v16 row_bcast:31 row_mask:0xf bank_mask:0xf
	v_cndmask_b32_e64 v17, 0, v17, s[4:5]
	v_add_u32_e32 v16, v16, v17
	s_and_saveexec_b64 s[0:1], s[6:7]
	s_cbranch_execz .LBB2113_60
; %bb.59:
	v_lshlrev_b32_e32 v17, 2, v43
	ds_write_b32 v17, v16
.LBB2113_60:
	s_or_b64 exec, exec, s[0:1]
	v_cmp_gt_u32_e32 vcc, 8, v0
	s_waitcnt lgkmcnt(0)
	s_barrier
	s_and_saveexec_b64 s[0:1], vcc
	s_cbranch_execz .LBB2113_62
; %bb.61:
	s_movk_i32 s4, 0xffcc
	v_mad_i32_i24 v17, v0, s4, v36
	ds_read_b32 v24, v17
	v_and_b32_e32 v25, 7, v42
	v_cmp_ne_u32_e32 vcc, 0, v25
	s_waitcnt lgkmcnt(0)
	v_mov_b32_dpp v26, v24 row_shr:1 row_mask:0xf bank_mask:0xf
	v_cndmask_b32_e32 v26, 0, v26, vcc
	v_add_u32_e32 v24, v26, v24
	v_cmp_lt_u32_e32 vcc, 1, v25
	s_nop 0
	v_mov_b32_dpp v26, v24 row_shr:2 row_mask:0xf bank_mask:0xf
	v_cndmask_b32_e32 v26, 0, v26, vcc
	v_add_u32_e32 v24, v24, v26
	v_cmp_lt_u32_e32 vcc, 3, v25
	s_nop 0
	v_mov_b32_dpp v26, v24 row_shr:4 row_mask:0xf bank_mask:0xf
	v_cndmask_b32_e32 v25, 0, v26, vcc
	v_add_u32_e32 v24, v24, v25
	ds_write_b32 v17, v24
.LBB2113_62:
	s_or_b64 exec, exec, s[0:1]
	v_cmp_lt_u32_e32 vcc, 63, v0
	v_mov_b32_e32 v17, 0
	v_mov_b32_e32 v24, 0
	s_waitcnt lgkmcnt(0)
	s_barrier
	s_and_saveexec_b64 s[0:1], vcc
	s_cbranch_execz .LBB2113_64
; %bb.63:
	v_lshl_add_u32 v24, v43, 2, -4
	ds_read_b32 v24, v24
.LBB2113_64:
	s_or_b64 exec, exec, s[0:1]
	v_add_u32_e32 v25, -1, v42
	v_and_b32_e32 v26, 64, v42
	v_cmp_lt_i32_e32 vcc, v25, v26
	s_waitcnt lgkmcnt(0)
	v_add_u32_e32 v16, v24, v16
	v_cndmask_b32_e32 v25, v25, v42, vcc
	v_lshlrev_b32_e32 v25, 2, v25
	ds_bpermute_b32 v25, v25, v16
	ds_read_b32 v16, v17 offset:28
	s_and_saveexec_b64 s[0:1], s[20:21]
	s_cbranch_execz .LBB2113_66
; %bb.65:
	v_mov_b32_e32 v26, 0
	v_mov_b32_e32 v17, 2
	s_waitcnt lgkmcnt(0)
	global_store_dwordx2 v26, v[16:17], s[34:35] offset:512 sc1
.LBB2113_66:
	s_or_b64 exec, exec, s[0:1]
	v_cmp_eq_u32_e32 vcc, 0, v42
	s_waitcnt lgkmcnt(0)
	s_barrier
	v_cndmask_b32_e32 v17, v25, v24, vcc
	v_cndmask_b32_e64 v31, v17, 0, s[20:21]
	v_add_u32_e32 v30, v31, v37
	v_add_u32_e32 v29, v30, v38
	;; [unrolled: 1-line block ×5, first 2 shown]
	v_mov_b32_e32 v24, 0
	v_add_u32_e32 v25, v26, v41
.LBB2113_67:
	v_add_u32_e32 v1, v16, v1
	v_sub_u32_e32 v31, v31, v24
	v_and_b32_e32 v37, 1, v34
	v_sub_u32_e32 v36, v1, v31
	v_cmp_eq_u32_e32 vcc, 1, v37
	v_lshrrev_b32_e32 v17, 8, v34
	v_and_b32_e32 v17, 1, v17
	v_cndmask_b32_e32 v31, v36, v31, vcc
	v_lshlrev_b32_e32 v31, 3, v31
	ds_write_b64 v31, v[10:11]
	v_sub_u32_e32 v10, v30, v24
	v_sub_u32_e32 v11, v1, v10
	v_add_u32_e32 v11, 1, v11
	v_cmp_eq_u32_e32 vcc, 1, v17
	v_or_b32_e32 v31, 0x400, v0
	v_or_b32_e32 v30, 0x600, v0
	v_cndmask_b32_e32 v10, v11, v10, vcc
	v_lshlrev_b32_e32 v10, 3, v10
	ds_write_b64 v10, v[12:13]
	v_sub_u32_e32 v10, v29, v24
	v_mov_b32_e32 v12, 1
	v_sub_u32_e32 v11, v1, v10
	v_and_b32_sdwa v12, v12, v34 dst_sel:DWORD dst_unused:UNUSED_PAD src0_sel:DWORD src1_sel:WORD_1
	v_add_u32_e32 v11, 2, v11
	v_cmp_eq_u32_e32 vcc, 1, v12
	v_or_b32_e32 v29, 0x800, v0
	s_nop 0
	v_cndmask_b32_e32 v10, v11, v10, vcc
	v_lshlrev_b32_e32 v10, 3, v10
	ds_write_b64 v10, v[6:7]
	v_sub_u32_e32 v6, v28, v24
	v_sub_u32_e32 v7, v1, v6
	v_and_b32_e32 v10, 1, v35
	v_add_u32_e32 v7, 3, v7
	v_cmp_eq_u32_e32 vcc, 1, v10
	v_or_b32_e32 v28, 0xa00, v0
	s_nop 0
	v_cndmask_b32_e32 v6, v7, v6, vcc
	v_lshlrev_b32_e32 v6, 3, v6
	ds_write_b64 v6, v[8:9]
	v_sub_u32_e32 v6, v27, v24
	v_sub_u32_e32 v7, v1, v6
	v_and_b32_e32 v8, 1, v33
	v_add_u32_e32 v7, 4, v7
	v_cmp_eq_u32_e32 vcc, 1, v8
	s_nop 1
	v_cndmask_b32_e32 v6, v7, v6, vcc
	v_lshlrev_b32_e32 v6, 3, v6
	ds_write_b64 v6, v[2:3]
	v_sub_u32_e32 v2, v26, v24
	v_sub_u32_e32 v3, v1, v2
	v_and_b32_e32 v6, 1, v32
	v_add_u32_e32 v3, 5, v3
	v_cmp_eq_u32_e32 vcc, 1, v6
	v_or_b32_e32 v32, 0x200, v0
	s_nop 0
	v_cndmask_b32_e32 v2, v3, v2, vcc
	v_lshlrev_b32_e32 v2, 3, v2
	ds_write_b64 v2, v[4:5]
	v_sub_u32_e32 v2, v25, v24
	v_sub_u32_e32 v1, v1, v2
	v_and_b32_e32 v3, 1, v19
	v_add_u32_e32 v1, 6, v1
	v_cmp_eq_u32_e32 vcc, 1, v3
	v_mov_b32_e32 v25, 0
	s_waitcnt vmcnt(0)
	v_lshl_add_u64 v[34:35], v[20:21], 0, v[24:25]
	v_cndmask_b32_e32 v1, v1, v2, vcc
	v_lshlrev_b32_e32 v1, 3, v1
	v_mov_b32_e32 v17, v25
	ds_write_b64 v1, v[14:15]
	v_lshl_add_u64 v[14:15], v[34:35], 0, v[16:17]
	v_mov_b32_e32 v17, s39
	v_sub_co_u32_e32 v20, vcc, s38, v14
	s_waitcnt lgkmcnt(0)
	s_barrier
	ds_read2st64_b64 v[10:13], v18 offset1:8
	ds_read2st64_b64 v[6:9], v18 offset0:16 offset1:24
	ds_read2st64_b64 v[2:5], v18 offset0:32 offset1:40
	ds_read_b64 v[26:27], v18 offset:24576
	v_subb_co_u32_e32 v21, vcc, v17, v15, vcc
	v_lshlrev_b64 v[20:21], 3, v[20:21]
	v_lshl_add_u64 v[20:21], s[30:31], 0, v[20:21]
	v_lshl_add_u64 v[20:21], v[20:21], 0, v[22:23]
	v_lshlrev_b64 v[22:23], 3, v[34:35]
	v_or_b32_e32 v1, 0xc00, v0
	s_and_b64 vcc, exec, s[2:3]
	v_lshl_add_u64 v[22:23], s[28:29], 0, v[22:23]
	s_cbranch_vccnz .LBB2113_69
; %bb.68:
	v_cmp_lt_u32_e32 vcc, v0, v16
	v_mov_b32_e32 v19, v25
	v_lshlrev_b32_e32 v24, 3, v32
	v_cndmask_b32_e32 v35, v21, v23, vcc
	v_cndmask_b32_e32 v34, v20, v22, vcc
	v_lshl_add_u64 v[34:35], v[34:35], 0, v[18:19]
	v_cmp_lt_u32_e32 vcc, v32, v16
	s_waitcnt lgkmcnt(3)
	global_store_dwordx2 v[34:35], v[10:11], off
	v_cndmask_b32_e32 v35, v21, v23, vcc
	v_cndmask_b32_e32 v34, v20, v22, vcc
	v_lshl_add_u64 v[34:35], v[34:35], 0, v[24:25]
	v_cmp_lt_u32_e32 vcc, v31, v16
	global_store_dwordx2 v[34:35], v[12:13], off
	v_lshlrev_b32_e32 v24, 3, v31
	v_cndmask_b32_e32 v35, v21, v23, vcc
	v_cndmask_b32_e32 v34, v20, v22, vcc
	v_lshl_add_u64 v[34:35], v[34:35], 0, v[24:25]
	v_cmp_lt_u32_e32 vcc, v30, v16
	s_waitcnt lgkmcnt(2)
	global_store_dwordx2 v[34:35], v[6:7], off
	v_lshlrev_b32_e32 v24, 3, v30
	v_cndmask_b32_e32 v35, v21, v23, vcc
	v_cndmask_b32_e32 v34, v20, v22, vcc
	v_lshl_add_u64 v[34:35], v[34:35], 0, v[24:25]
	v_cmp_lt_u32_e32 vcc, v29, v16
	global_store_dwordx2 v[34:35], v[8:9], off
	v_lshlrev_b32_e32 v24, 3, v29
	v_cndmask_b32_e32 v35, v21, v23, vcc
	v_cndmask_b32_e32 v34, v20, v22, vcc
	v_lshl_add_u64 v[34:35], v[34:35], 0, v[24:25]
	v_cmp_lt_u32_e32 vcc, v28, v16
	s_waitcnt lgkmcnt(1)
	global_store_dwordx2 v[34:35], v[2:3], off
	v_lshlrev_b32_e32 v24, 3, v28
	v_cndmask_b32_e32 v35, v21, v23, vcc
	v_cndmask_b32_e32 v34, v20, v22, vcc
	v_lshl_add_u64 v[24:25], v[34:35], 0, v[24:25]
	s_mov_b64 s[0:1], -1
	global_store_dwordx2 v[24:25], v[4:5], off
	s_cbranch_execz .LBB2113_70
	s_branch .LBB2113_78
.LBB2113_69:
	s_mov_b64 s[0:1], 0
.LBB2113_70:
	v_cmp_gt_u32_e32 vcc, s33, v0
	s_and_saveexec_b64 s[0:1], vcc
	s_cbranch_execnz .LBB2113_83
; %bb.71:
	s_or_b64 exec, exec, s[0:1]
	v_cmp_gt_u32_e32 vcc, s33, v32
	s_and_saveexec_b64 s[0:1], vcc
	s_cbranch_execnz .LBB2113_84
.LBB2113_72:
	s_or_b64 exec, exec, s[0:1]
	v_cmp_gt_u32_e32 vcc, s33, v31
	s_and_saveexec_b64 s[0:1], vcc
	s_cbranch_execnz .LBB2113_85
.LBB2113_73:
	s_or_b64 exec, exec, s[0:1]
	v_cmp_gt_u32_e32 vcc, s33, v30
	s_and_saveexec_b64 s[0:1], vcc
	s_cbranch_execnz .LBB2113_86
.LBB2113_74:
	s_or_b64 exec, exec, s[0:1]
	v_cmp_gt_u32_e32 vcc, s33, v29
	s_and_saveexec_b64 s[0:1], vcc
	s_cbranch_execnz .LBB2113_87
.LBB2113_75:
	s_or_b64 exec, exec, s[0:1]
	v_cmp_gt_u32_e32 vcc, s33, v28
	s_and_saveexec_b64 s[0:1], vcc
	s_cbranch_execz .LBB2113_77
.LBB2113_76:
	v_cmp_lt_u32_e32 vcc, v28, v16
	s_waitcnt lgkmcnt(2)
	v_lshlrev_b32_e32 v6, 3, v28
	v_mov_b32_e32 v7, 0
	s_waitcnt lgkmcnt(1)
	v_cndmask_b32_e32 v3, v21, v23, vcc
	v_cndmask_b32_e32 v2, v20, v22, vcc
	v_lshl_add_u64 v[2:3], v[2:3], 0, v[6:7]
	global_store_dwordx2 v[2:3], v[4:5], off
.LBB2113_77:
	s_or_b64 exec, exec, s[0:1]
	v_cmp_gt_u32_e64 s[0:1], s33, v1
.LBB2113_78:
	s_and_saveexec_b64 s[2:3], s[0:1]
	s_cbranch_execnz .LBB2113_81
; %bb.79:
	s_or_b64 exec, exec, s[2:3]
	s_and_b64 s[0:1], s[20:21], s[22:23]
	s_and_saveexec_b64 s[2:3], s[0:1]
	s_cbranch_execnz .LBB2113_82
.LBB2113_80:
	s_endpgm
.LBB2113_81:
	v_cmp_lt_u32_e32 vcc, v1, v16
	v_lshlrev_b32_e32 v0, 3, v1
	v_mov_b32_e32 v1, 0
	s_waitcnt lgkmcnt(1)
	v_cndmask_b32_e32 v3, v21, v23, vcc
	v_cndmask_b32_e32 v2, v20, v22, vcc
	v_lshl_add_u64 v[0:1], v[2:3], 0, v[0:1]
	s_waitcnt lgkmcnt(0)
	global_store_dwordx2 v[0:1], v[26:27], off
	s_or_b64 exec, exec, s[2:3]
	s_and_b64 s[0:1], s[20:21], s[22:23]
	s_and_saveexec_b64 s[2:3], s[0:1]
	s_cbranch_execz .LBB2113_80
.LBB2113_82:
	v_mov_b32_e32 v0, 0
	global_store_dwordx2 v0, v[14:15], s[24:25]
	s_endpgm
.LBB2113_83:
	v_cmp_lt_u32_e32 vcc, v0, v16
	v_mov_b32_e32 v19, 0
	s_nop 0
	v_cndmask_b32_e32 v25, v21, v23, vcc
	v_cndmask_b32_e32 v24, v20, v22, vcc
	v_lshl_add_u64 v[18:19], v[24:25], 0, v[18:19]
	s_waitcnt lgkmcnt(3)
	global_store_dwordx2 v[18:19], v[10:11], off
	s_or_b64 exec, exec, s[0:1]
	v_cmp_gt_u32_e32 vcc, s33, v32
	s_and_saveexec_b64 s[0:1], vcc
	s_cbranch_execz .LBB2113_72
.LBB2113_84:
	v_cmp_lt_u32_e32 vcc, v32, v16
	v_lshlrev_b32_e32 v18, 3, v32
	v_mov_b32_e32 v19, 0
	s_waitcnt lgkmcnt(3)
	v_cndmask_b32_e32 v11, v21, v23, vcc
	v_cndmask_b32_e32 v10, v20, v22, vcc
	v_lshl_add_u64 v[10:11], v[10:11], 0, v[18:19]
	global_store_dwordx2 v[10:11], v[12:13], off
	s_or_b64 exec, exec, s[0:1]
	v_cmp_gt_u32_e32 vcc, s33, v31
	s_and_saveexec_b64 s[0:1], vcc
	s_cbranch_execz .LBB2113_73
.LBB2113_85:
	v_cmp_lt_u32_e32 vcc, v31, v16
	s_waitcnt lgkmcnt(3)
	v_lshlrev_b32_e32 v12, 3, v31
	v_mov_b32_e32 v13, 0
	v_cndmask_b32_e32 v11, v21, v23, vcc
	v_cndmask_b32_e32 v10, v20, v22, vcc
	v_lshl_add_u64 v[10:11], v[10:11], 0, v[12:13]
	s_waitcnt lgkmcnt(2)
	global_store_dwordx2 v[10:11], v[6:7], off
	s_or_b64 exec, exec, s[0:1]
	v_cmp_gt_u32_e32 vcc, s33, v30
	s_and_saveexec_b64 s[0:1], vcc
	s_cbranch_execz .LBB2113_74
.LBB2113_86:
	v_cmp_lt_u32_e32 vcc, v30, v16
	s_waitcnt lgkmcnt(3)
	v_lshlrev_b32_e32 v10, 3, v30
	v_mov_b32_e32 v11, 0
	s_waitcnt lgkmcnt(2)
	v_cndmask_b32_e32 v7, v21, v23, vcc
	v_cndmask_b32_e32 v6, v20, v22, vcc
	v_lshl_add_u64 v[6:7], v[6:7], 0, v[10:11]
	global_store_dwordx2 v[6:7], v[8:9], off
	s_or_b64 exec, exec, s[0:1]
	v_cmp_gt_u32_e32 vcc, s33, v29
	s_and_saveexec_b64 s[0:1], vcc
	s_cbranch_execz .LBB2113_75
.LBB2113_87:
	v_cmp_lt_u32_e32 vcc, v29, v16
	s_waitcnt lgkmcnt(2)
	v_lshlrev_b32_e32 v8, 3, v29
	v_mov_b32_e32 v9, 0
	v_cndmask_b32_e32 v7, v21, v23, vcc
	v_cndmask_b32_e32 v6, v20, v22, vcc
	v_lshl_add_u64 v[6:7], v[6:7], 0, v[8:9]
	s_waitcnt lgkmcnt(1)
	global_store_dwordx2 v[6:7], v[2:3], off
	s_or_b64 exec, exec, s[0:1]
	v_cmp_gt_u32_e32 vcc, s33, v28
	s_and_saveexec_b64 s[0:1], vcc
	s_cbranch_execnz .LBB2113_76
	s_branch .LBB2113_77
	.section	.rodata,"a",@progbits
	.p2align	6, 0x0
	.amdhsa_kernel _ZN7rocprim17ROCPRIM_400000_NS6detail17trampoline_kernelINS0_14default_configENS1_25partition_config_selectorILNS1_17partition_subalgoE0EyNS0_10empty_typeEbEEZZNS1_14partition_implILS5_0ELb0ES3_jN6thrust23THRUST_200600_302600_NS6detail15normal_iteratorINSA_10device_ptrIyEEEEPS6_SG_NS0_5tupleIJSF_SF_EEENSH_IJSG_SG_EEES6_PlJ7is_evenIyEEEE10hipError_tPvRmT3_T4_T5_T6_T7_T9_mT8_P12ihipStream_tbDpT10_ENKUlT_T0_E_clISt17integral_constantIbLb1EES16_EEDaS11_S12_EUlS11_E_NS1_11comp_targetILNS1_3genE5ELNS1_11target_archE942ELNS1_3gpuE9ELNS1_3repE0EEENS1_30default_config_static_selectorELNS0_4arch9wavefront6targetE1EEEvT1_
		.amdhsa_group_segment_fixed_size 28680
		.amdhsa_private_segment_fixed_size 0
		.amdhsa_kernarg_size 136
		.amdhsa_user_sgpr_count 2
		.amdhsa_user_sgpr_dispatch_ptr 0
		.amdhsa_user_sgpr_queue_ptr 0
		.amdhsa_user_sgpr_kernarg_segment_ptr 1
		.amdhsa_user_sgpr_dispatch_id 0
		.amdhsa_user_sgpr_kernarg_preload_length 0
		.amdhsa_user_sgpr_kernarg_preload_offset 0
		.amdhsa_user_sgpr_private_segment_size 0
		.amdhsa_uses_dynamic_stack 0
		.amdhsa_enable_private_segment 0
		.amdhsa_system_sgpr_workgroup_id_x 1
		.amdhsa_system_sgpr_workgroup_id_y 0
		.amdhsa_system_sgpr_workgroup_id_z 0
		.amdhsa_system_sgpr_workgroup_info 0
		.amdhsa_system_vgpr_workitem_id 0
		.amdhsa_next_free_vgpr 61
		.amdhsa_next_free_sgpr 44
		.amdhsa_accum_offset 64
		.amdhsa_reserve_vcc 1
		.amdhsa_float_round_mode_32 0
		.amdhsa_float_round_mode_16_64 0
		.amdhsa_float_denorm_mode_32 3
		.amdhsa_float_denorm_mode_16_64 3
		.amdhsa_dx10_clamp 1
		.amdhsa_ieee_mode 1
		.amdhsa_fp16_overflow 0
		.amdhsa_tg_split 0
		.amdhsa_exception_fp_ieee_invalid_op 0
		.amdhsa_exception_fp_denorm_src 0
		.amdhsa_exception_fp_ieee_div_zero 0
		.amdhsa_exception_fp_ieee_overflow 0
		.amdhsa_exception_fp_ieee_underflow 0
		.amdhsa_exception_fp_ieee_inexact 0
		.amdhsa_exception_int_div_zero 0
	.end_amdhsa_kernel
	.section	.text._ZN7rocprim17ROCPRIM_400000_NS6detail17trampoline_kernelINS0_14default_configENS1_25partition_config_selectorILNS1_17partition_subalgoE0EyNS0_10empty_typeEbEEZZNS1_14partition_implILS5_0ELb0ES3_jN6thrust23THRUST_200600_302600_NS6detail15normal_iteratorINSA_10device_ptrIyEEEEPS6_SG_NS0_5tupleIJSF_SF_EEENSH_IJSG_SG_EEES6_PlJ7is_evenIyEEEE10hipError_tPvRmT3_T4_T5_T6_T7_T9_mT8_P12ihipStream_tbDpT10_ENKUlT_T0_E_clISt17integral_constantIbLb1EES16_EEDaS11_S12_EUlS11_E_NS1_11comp_targetILNS1_3genE5ELNS1_11target_archE942ELNS1_3gpuE9ELNS1_3repE0EEENS1_30default_config_static_selectorELNS0_4arch9wavefront6targetE1EEEvT1_,"axG",@progbits,_ZN7rocprim17ROCPRIM_400000_NS6detail17trampoline_kernelINS0_14default_configENS1_25partition_config_selectorILNS1_17partition_subalgoE0EyNS0_10empty_typeEbEEZZNS1_14partition_implILS5_0ELb0ES3_jN6thrust23THRUST_200600_302600_NS6detail15normal_iteratorINSA_10device_ptrIyEEEEPS6_SG_NS0_5tupleIJSF_SF_EEENSH_IJSG_SG_EEES6_PlJ7is_evenIyEEEE10hipError_tPvRmT3_T4_T5_T6_T7_T9_mT8_P12ihipStream_tbDpT10_ENKUlT_T0_E_clISt17integral_constantIbLb1EES16_EEDaS11_S12_EUlS11_E_NS1_11comp_targetILNS1_3genE5ELNS1_11target_archE942ELNS1_3gpuE9ELNS1_3repE0EEENS1_30default_config_static_selectorELNS0_4arch9wavefront6targetE1EEEvT1_,comdat
.Lfunc_end2113:
	.size	_ZN7rocprim17ROCPRIM_400000_NS6detail17trampoline_kernelINS0_14default_configENS1_25partition_config_selectorILNS1_17partition_subalgoE0EyNS0_10empty_typeEbEEZZNS1_14partition_implILS5_0ELb0ES3_jN6thrust23THRUST_200600_302600_NS6detail15normal_iteratorINSA_10device_ptrIyEEEEPS6_SG_NS0_5tupleIJSF_SF_EEENSH_IJSG_SG_EEES6_PlJ7is_evenIyEEEE10hipError_tPvRmT3_T4_T5_T6_T7_T9_mT8_P12ihipStream_tbDpT10_ENKUlT_T0_E_clISt17integral_constantIbLb1EES16_EEDaS11_S12_EUlS11_E_NS1_11comp_targetILNS1_3genE5ELNS1_11target_archE942ELNS1_3gpuE9ELNS1_3repE0EEENS1_30default_config_static_selectorELNS0_4arch9wavefront6targetE1EEEvT1_, .Lfunc_end2113-_ZN7rocprim17ROCPRIM_400000_NS6detail17trampoline_kernelINS0_14default_configENS1_25partition_config_selectorILNS1_17partition_subalgoE0EyNS0_10empty_typeEbEEZZNS1_14partition_implILS5_0ELb0ES3_jN6thrust23THRUST_200600_302600_NS6detail15normal_iteratorINSA_10device_ptrIyEEEEPS6_SG_NS0_5tupleIJSF_SF_EEENSH_IJSG_SG_EEES6_PlJ7is_evenIyEEEE10hipError_tPvRmT3_T4_T5_T6_T7_T9_mT8_P12ihipStream_tbDpT10_ENKUlT_T0_E_clISt17integral_constantIbLb1EES16_EEDaS11_S12_EUlS11_E_NS1_11comp_targetILNS1_3genE5ELNS1_11target_archE942ELNS1_3gpuE9ELNS1_3repE0EEENS1_30default_config_static_selectorELNS0_4arch9wavefront6targetE1EEEvT1_
                                        ; -- End function
	.section	.AMDGPU.csdata,"",@progbits
; Kernel info:
; codeLenInByte = 4692
; NumSgprs: 50
; NumVgprs: 61
; NumAgprs: 0
; TotalNumVgprs: 61
; ScratchSize: 0
; MemoryBound: 0
; FloatMode: 240
; IeeeMode: 1
; LDSByteSize: 28680 bytes/workgroup (compile time only)
; SGPRBlocks: 6
; VGPRBlocks: 7
; NumSGPRsForWavesPerEU: 50
; NumVGPRsForWavesPerEU: 61
; AccumOffset: 64
; Occupancy: 4
; WaveLimiterHint : 1
; COMPUTE_PGM_RSRC2:SCRATCH_EN: 0
; COMPUTE_PGM_RSRC2:USER_SGPR: 2
; COMPUTE_PGM_RSRC2:TRAP_HANDLER: 0
; COMPUTE_PGM_RSRC2:TGID_X_EN: 1
; COMPUTE_PGM_RSRC2:TGID_Y_EN: 0
; COMPUTE_PGM_RSRC2:TGID_Z_EN: 0
; COMPUTE_PGM_RSRC2:TIDIG_COMP_CNT: 0
; COMPUTE_PGM_RSRC3_GFX90A:ACCUM_OFFSET: 15
; COMPUTE_PGM_RSRC3_GFX90A:TG_SPLIT: 0
	.section	.text._ZN7rocprim17ROCPRIM_400000_NS6detail17trampoline_kernelINS0_14default_configENS1_25partition_config_selectorILNS1_17partition_subalgoE0EyNS0_10empty_typeEbEEZZNS1_14partition_implILS5_0ELb0ES3_jN6thrust23THRUST_200600_302600_NS6detail15normal_iteratorINSA_10device_ptrIyEEEEPS6_SG_NS0_5tupleIJSF_SF_EEENSH_IJSG_SG_EEES6_PlJ7is_evenIyEEEE10hipError_tPvRmT3_T4_T5_T6_T7_T9_mT8_P12ihipStream_tbDpT10_ENKUlT_T0_E_clISt17integral_constantIbLb1EES16_EEDaS11_S12_EUlS11_E_NS1_11comp_targetILNS1_3genE4ELNS1_11target_archE910ELNS1_3gpuE8ELNS1_3repE0EEENS1_30default_config_static_selectorELNS0_4arch9wavefront6targetE1EEEvT1_,"axG",@progbits,_ZN7rocprim17ROCPRIM_400000_NS6detail17trampoline_kernelINS0_14default_configENS1_25partition_config_selectorILNS1_17partition_subalgoE0EyNS0_10empty_typeEbEEZZNS1_14partition_implILS5_0ELb0ES3_jN6thrust23THRUST_200600_302600_NS6detail15normal_iteratorINSA_10device_ptrIyEEEEPS6_SG_NS0_5tupleIJSF_SF_EEENSH_IJSG_SG_EEES6_PlJ7is_evenIyEEEE10hipError_tPvRmT3_T4_T5_T6_T7_T9_mT8_P12ihipStream_tbDpT10_ENKUlT_T0_E_clISt17integral_constantIbLb1EES16_EEDaS11_S12_EUlS11_E_NS1_11comp_targetILNS1_3genE4ELNS1_11target_archE910ELNS1_3gpuE8ELNS1_3repE0EEENS1_30default_config_static_selectorELNS0_4arch9wavefront6targetE1EEEvT1_,comdat
	.protected	_ZN7rocprim17ROCPRIM_400000_NS6detail17trampoline_kernelINS0_14default_configENS1_25partition_config_selectorILNS1_17partition_subalgoE0EyNS0_10empty_typeEbEEZZNS1_14partition_implILS5_0ELb0ES3_jN6thrust23THRUST_200600_302600_NS6detail15normal_iteratorINSA_10device_ptrIyEEEEPS6_SG_NS0_5tupleIJSF_SF_EEENSH_IJSG_SG_EEES6_PlJ7is_evenIyEEEE10hipError_tPvRmT3_T4_T5_T6_T7_T9_mT8_P12ihipStream_tbDpT10_ENKUlT_T0_E_clISt17integral_constantIbLb1EES16_EEDaS11_S12_EUlS11_E_NS1_11comp_targetILNS1_3genE4ELNS1_11target_archE910ELNS1_3gpuE8ELNS1_3repE0EEENS1_30default_config_static_selectorELNS0_4arch9wavefront6targetE1EEEvT1_ ; -- Begin function _ZN7rocprim17ROCPRIM_400000_NS6detail17trampoline_kernelINS0_14default_configENS1_25partition_config_selectorILNS1_17partition_subalgoE0EyNS0_10empty_typeEbEEZZNS1_14partition_implILS5_0ELb0ES3_jN6thrust23THRUST_200600_302600_NS6detail15normal_iteratorINSA_10device_ptrIyEEEEPS6_SG_NS0_5tupleIJSF_SF_EEENSH_IJSG_SG_EEES6_PlJ7is_evenIyEEEE10hipError_tPvRmT3_T4_T5_T6_T7_T9_mT8_P12ihipStream_tbDpT10_ENKUlT_T0_E_clISt17integral_constantIbLb1EES16_EEDaS11_S12_EUlS11_E_NS1_11comp_targetILNS1_3genE4ELNS1_11target_archE910ELNS1_3gpuE8ELNS1_3repE0EEENS1_30default_config_static_selectorELNS0_4arch9wavefront6targetE1EEEvT1_
	.globl	_ZN7rocprim17ROCPRIM_400000_NS6detail17trampoline_kernelINS0_14default_configENS1_25partition_config_selectorILNS1_17partition_subalgoE0EyNS0_10empty_typeEbEEZZNS1_14partition_implILS5_0ELb0ES3_jN6thrust23THRUST_200600_302600_NS6detail15normal_iteratorINSA_10device_ptrIyEEEEPS6_SG_NS0_5tupleIJSF_SF_EEENSH_IJSG_SG_EEES6_PlJ7is_evenIyEEEE10hipError_tPvRmT3_T4_T5_T6_T7_T9_mT8_P12ihipStream_tbDpT10_ENKUlT_T0_E_clISt17integral_constantIbLb1EES16_EEDaS11_S12_EUlS11_E_NS1_11comp_targetILNS1_3genE4ELNS1_11target_archE910ELNS1_3gpuE8ELNS1_3repE0EEENS1_30default_config_static_selectorELNS0_4arch9wavefront6targetE1EEEvT1_
	.p2align	8
	.type	_ZN7rocprim17ROCPRIM_400000_NS6detail17trampoline_kernelINS0_14default_configENS1_25partition_config_selectorILNS1_17partition_subalgoE0EyNS0_10empty_typeEbEEZZNS1_14partition_implILS5_0ELb0ES3_jN6thrust23THRUST_200600_302600_NS6detail15normal_iteratorINSA_10device_ptrIyEEEEPS6_SG_NS0_5tupleIJSF_SF_EEENSH_IJSG_SG_EEES6_PlJ7is_evenIyEEEE10hipError_tPvRmT3_T4_T5_T6_T7_T9_mT8_P12ihipStream_tbDpT10_ENKUlT_T0_E_clISt17integral_constantIbLb1EES16_EEDaS11_S12_EUlS11_E_NS1_11comp_targetILNS1_3genE4ELNS1_11target_archE910ELNS1_3gpuE8ELNS1_3repE0EEENS1_30default_config_static_selectorELNS0_4arch9wavefront6targetE1EEEvT1_,@function
_ZN7rocprim17ROCPRIM_400000_NS6detail17trampoline_kernelINS0_14default_configENS1_25partition_config_selectorILNS1_17partition_subalgoE0EyNS0_10empty_typeEbEEZZNS1_14partition_implILS5_0ELb0ES3_jN6thrust23THRUST_200600_302600_NS6detail15normal_iteratorINSA_10device_ptrIyEEEEPS6_SG_NS0_5tupleIJSF_SF_EEENSH_IJSG_SG_EEES6_PlJ7is_evenIyEEEE10hipError_tPvRmT3_T4_T5_T6_T7_T9_mT8_P12ihipStream_tbDpT10_ENKUlT_T0_E_clISt17integral_constantIbLb1EES16_EEDaS11_S12_EUlS11_E_NS1_11comp_targetILNS1_3genE4ELNS1_11target_archE910ELNS1_3gpuE8ELNS1_3repE0EEENS1_30default_config_static_selectorELNS0_4arch9wavefront6targetE1EEEvT1_: ; @_ZN7rocprim17ROCPRIM_400000_NS6detail17trampoline_kernelINS0_14default_configENS1_25partition_config_selectorILNS1_17partition_subalgoE0EyNS0_10empty_typeEbEEZZNS1_14partition_implILS5_0ELb0ES3_jN6thrust23THRUST_200600_302600_NS6detail15normal_iteratorINSA_10device_ptrIyEEEEPS6_SG_NS0_5tupleIJSF_SF_EEENSH_IJSG_SG_EEES6_PlJ7is_evenIyEEEE10hipError_tPvRmT3_T4_T5_T6_T7_T9_mT8_P12ihipStream_tbDpT10_ENKUlT_T0_E_clISt17integral_constantIbLb1EES16_EEDaS11_S12_EUlS11_E_NS1_11comp_targetILNS1_3genE4ELNS1_11target_archE910ELNS1_3gpuE8ELNS1_3repE0EEENS1_30default_config_static_selectorELNS0_4arch9wavefront6targetE1EEEvT1_
; %bb.0:
	.section	.rodata,"a",@progbits
	.p2align	6, 0x0
	.amdhsa_kernel _ZN7rocprim17ROCPRIM_400000_NS6detail17trampoline_kernelINS0_14default_configENS1_25partition_config_selectorILNS1_17partition_subalgoE0EyNS0_10empty_typeEbEEZZNS1_14partition_implILS5_0ELb0ES3_jN6thrust23THRUST_200600_302600_NS6detail15normal_iteratorINSA_10device_ptrIyEEEEPS6_SG_NS0_5tupleIJSF_SF_EEENSH_IJSG_SG_EEES6_PlJ7is_evenIyEEEE10hipError_tPvRmT3_T4_T5_T6_T7_T9_mT8_P12ihipStream_tbDpT10_ENKUlT_T0_E_clISt17integral_constantIbLb1EES16_EEDaS11_S12_EUlS11_E_NS1_11comp_targetILNS1_3genE4ELNS1_11target_archE910ELNS1_3gpuE8ELNS1_3repE0EEENS1_30default_config_static_selectorELNS0_4arch9wavefront6targetE1EEEvT1_
		.amdhsa_group_segment_fixed_size 0
		.amdhsa_private_segment_fixed_size 0
		.amdhsa_kernarg_size 136
		.amdhsa_user_sgpr_count 2
		.amdhsa_user_sgpr_dispatch_ptr 0
		.amdhsa_user_sgpr_queue_ptr 0
		.amdhsa_user_sgpr_kernarg_segment_ptr 1
		.amdhsa_user_sgpr_dispatch_id 0
		.amdhsa_user_sgpr_kernarg_preload_length 0
		.amdhsa_user_sgpr_kernarg_preload_offset 0
		.amdhsa_user_sgpr_private_segment_size 0
		.amdhsa_uses_dynamic_stack 0
		.amdhsa_enable_private_segment 0
		.amdhsa_system_sgpr_workgroup_id_x 1
		.amdhsa_system_sgpr_workgroup_id_y 0
		.amdhsa_system_sgpr_workgroup_id_z 0
		.amdhsa_system_sgpr_workgroup_info 0
		.amdhsa_system_vgpr_workitem_id 0
		.amdhsa_next_free_vgpr 1
		.amdhsa_next_free_sgpr 0
		.amdhsa_accum_offset 4
		.amdhsa_reserve_vcc 0
		.amdhsa_float_round_mode_32 0
		.amdhsa_float_round_mode_16_64 0
		.amdhsa_float_denorm_mode_32 3
		.amdhsa_float_denorm_mode_16_64 3
		.amdhsa_dx10_clamp 1
		.amdhsa_ieee_mode 1
		.amdhsa_fp16_overflow 0
		.amdhsa_tg_split 0
		.amdhsa_exception_fp_ieee_invalid_op 0
		.amdhsa_exception_fp_denorm_src 0
		.amdhsa_exception_fp_ieee_div_zero 0
		.amdhsa_exception_fp_ieee_overflow 0
		.amdhsa_exception_fp_ieee_underflow 0
		.amdhsa_exception_fp_ieee_inexact 0
		.amdhsa_exception_int_div_zero 0
	.end_amdhsa_kernel
	.section	.text._ZN7rocprim17ROCPRIM_400000_NS6detail17trampoline_kernelINS0_14default_configENS1_25partition_config_selectorILNS1_17partition_subalgoE0EyNS0_10empty_typeEbEEZZNS1_14partition_implILS5_0ELb0ES3_jN6thrust23THRUST_200600_302600_NS6detail15normal_iteratorINSA_10device_ptrIyEEEEPS6_SG_NS0_5tupleIJSF_SF_EEENSH_IJSG_SG_EEES6_PlJ7is_evenIyEEEE10hipError_tPvRmT3_T4_T5_T6_T7_T9_mT8_P12ihipStream_tbDpT10_ENKUlT_T0_E_clISt17integral_constantIbLb1EES16_EEDaS11_S12_EUlS11_E_NS1_11comp_targetILNS1_3genE4ELNS1_11target_archE910ELNS1_3gpuE8ELNS1_3repE0EEENS1_30default_config_static_selectorELNS0_4arch9wavefront6targetE1EEEvT1_,"axG",@progbits,_ZN7rocprim17ROCPRIM_400000_NS6detail17trampoline_kernelINS0_14default_configENS1_25partition_config_selectorILNS1_17partition_subalgoE0EyNS0_10empty_typeEbEEZZNS1_14partition_implILS5_0ELb0ES3_jN6thrust23THRUST_200600_302600_NS6detail15normal_iteratorINSA_10device_ptrIyEEEEPS6_SG_NS0_5tupleIJSF_SF_EEENSH_IJSG_SG_EEES6_PlJ7is_evenIyEEEE10hipError_tPvRmT3_T4_T5_T6_T7_T9_mT8_P12ihipStream_tbDpT10_ENKUlT_T0_E_clISt17integral_constantIbLb1EES16_EEDaS11_S12_EUlS11_E_NS1_11comp_targetILNS1_3genE4ELNS1_11target_archE910ELNS1_3gpuE8ELNS1_3repE0EEENS1_30default_config_static_selectorELNS0_4arch9wavefront6targetE1EEEvT1_,comdat
.Lfunc_end2114:
	.size	_ZN7rocprim17ROCPRIM_400000_NS6detail17trampoline_kernelINS0_14default_configENS1_25partition_config_selectorILNS1_17partition_subalgoE0EyNS0_10empty_typeEbEEZZNS1_14partition_implILS5_0ELb0ES3_jN6thrust23THRUST_200600_302600_NS6detail15normal_iteratorINSA_10device_ptrIyEEEEPS6_SG_NS0_5tupleIJSF_SF_EEENSH_IJSG_SG_EEES6_PlJ7is_evenIyEEEE10hipError_tPvRmT3_T4_T5_T6_T7_T9_mT8_P12ihipStream_tbDpT10_ENKUlT_T0_E_clISt17integral_constantIbLb1EES16_EEDaS11_S12_EUlS11_E_NS1_11comp_targetILNS1_3genE4ELNS1_11target_archE910ELNS1_3gpuE8ELNS1_3repE0EEENS1_30default_config_static_selectorELNS0_4arch9wavefront6targetE1EEEvT1_, .Lfunc_end2114-_ZN7rocprim17ROCPRIM_400000_NS6detail17trampoline_kernelINS0_14default_configENS1_25partition_config_selectorILNS1_17partition_subalgoE0EyNS0_10empty_typeEbEEZZNS1_14partition_implILS5_0ELb0ES3_jN6thrust23THRUST_200600_302600_NS6detail15normal_iteratorINSA_10device_ptrIyEEEEPS6_SG_NS0_5tupleIJSF_SF_EEENSH_IJSG_SG_EEES6_PlJ7is_evenIyEEEE10hipError_tPvRmT3_T4_T5_T6_T7_T9_mT8_P12ihipStream_tbDpT10_ENKUlT_T0_E_clISt17integral_constantIbLb1EES16_EEDaS11_S12_EUlS11_E_NS1_11comp_targetILNS1_3genE4ELNS1_11target_archE910ELNS1_3gpuE8ELNS1_3repE0EEENS1_30default_config_static_selectorELNS0_4arch9wavefront6targetE1EEEvT1_
                                        ; -- End function
	.section	.AMDGPU.csdata,"",@progbits
; Kernel info:
; codeLenInByte = 0
; NumSgprs: 6
; NumVgprs: 0
; NumAgprs: 0
; TotalNumVgprs: 0
; ScratchSize: 0
; MemoryBound: 0
; FloatMode: 240
; IeeeMode: 1
; LDSByteSize: 0 bytes/workgroup (compile time only)
; SGPRBlocks: 0
; VGPRBlocks: 0
; NumSGPRsForWavesPerEU: 6
; NumVGPRsForWavesPerEU: 1
; AccumOffset: 4
; Occupancy: 8
; WaveLimiterHint : 0
; COMPUTE_PGM_RSRC2:SCRATCH_EN: 0
; COMPUTE_PGM_RSRC2:USER_SGPR: 2
; COMPUTE_PGM_RSRC2:TRAP_HANDLER: 0
; COMPUTE_PGM_RSRC2:TGID_X_EN: 1
; COMPUTE_PGM_RSRC2:TGID_Y_EN: 0
; COMPUTE_PGM_RSRC2:TGID_Z_EN: 0
; COMPUTE_PGM_RSRC2:TIDIG_COMP_CNT: 0
; COMPUTE_PGM_RSRC3_GFX90A:ACCUM_OFFSET: 0
; COMPUTE_PGM_RSRC3_GFX90A:TG_SPLIT: 0
	.section	.text._ZN7rocprim17ROCPRIM_400000_NS6detail17trampoline_kernelINS0_14default_configENS1_25partition_config_selectorILNS1_17partition_subalgoE0EyNS0_10empty_typeEbEEZZNS1_14partition_implILS5_0ELb0ES3_jN6thrust23THRUST_200600_302600_NS6detail15normal_iteratorINSA_10device_ptrIyEEEEPS6_SG_NS0_5tupleIJSF_SF_EEENSH_IJSG_SG_EEES6_PlJ7is_evenIyEEEE10hipError_tPvRmT3_T4_T5_T6_T7_T9_mT8_P12ihipStream_tbDpT10_ENKUlT_T0_E_clISt17integral_constantIbLb1EES16_EEDaS11_S12_EUlS11_E_NS1_11comp_targetILNS1_3genE3ELNS1_11target_archE908ELNS1_3gpuE7ELNS1_3repE0EEENS1_30default_config_static_selectorELNS0_4arch9wavefront6targetE1EEEvT1_,"axG",@progbits,_ZN7rocprim17ROCPRIM_400000_NS6detail17trampoline_kernelINS0_14default_configENS1_25partition_config_selectorILNS1_17partition_subalgoE0EyNS0_10empty_typeEbEEZZNS1_14partition_implILS5_0ELb0ES3_jN6thrust23THRUST_200600_302600_NS6detail15normal_iteratorINSA_10device_ptrIyEEEEPS6_SG_NS0_5tupleIJSF_SF_EEENSH_IJSG_SG_EEES6_PlJ7is_evenIyEEEE10hipError_tPvRmT3_T4_T5_T6_T7_T9_mT8_P12ihipStream_tbDpT10_ENKUlT_T0_E_clISt17integral_constantIbLb1EES16_EEDaS11_S12_EUlS11_E_NS1_11comp_targetILNS1_3genE3ELNS1_11target_archE908ELNS1_3gpuE7ELNS1_3repE0EEENS1_30default_config_static_selectorELNS0_4arch9wavefront6targetE1EEEvT1_,comdat
	.protected	_ZN7rocprim17ROCPRIM_400000_NS6detail17trampoline_kernelINS0_14default_configENS1_25partition_config_selectorILNS1_17partition_subalgoE0EyNS0_10empty_typeEbEEZZNS1_14partition_implILS5_0ELb0ES3_jN6thrust23THRUST_200600_302600_NS6detail15normal_iteratorINSA_10device_ptrIyEEEEPS6_SG_NS0_5tupleIJSF_SF_EEENSH_IJSG_SG_EEES6_PlJ7is_evenIyEEEE10hipError_tPvRmT3_T4_T5_T6_T7_T9_mT8_P12ihipStream_tbDpT10_ENKUlT_T0_E_clISt17integral_constantIbLb1EES16_EEDaS11_S12_EUlS11_E_NS1_11comp_targetILNS1_3genE3ELNS1_11target_archE908ELNS1_3gpuE7ELNS1_3repE0EEENS1_30default_config_static_selectorELNS0_4arch9wavefront6targetE1EEEvT1_ ; -- Begin function _ZN7rocprim17ROCPRIM_400000_NS6detail17trampoline_kernelINS0_14default_configENS1_25partition_config_selectorILNS1_17partition_subalgoE0EyNS0_10empty_typeEbEEZZNS1_14partition_implILS5_0ELb0ES3_jN6thrust23THRUST_200600_302600_NS6detail15normal_iteratorINSA_10device_ptrIyEEEEPS6_SG_NS0_5tupleIJSF_SF_EEENSH_IJSG_SG_EEES6_PlJ7is_evenIyEEEE10hipError_tPvRmT3_T4_T5_T6_T7_T9_mT8_P12ihipStream_tbDpT10_ENKUlT_T0_E_clISt17integral_constantIbLb1EES16_EEDaS11_S12_EUlS11_E_NS1_11comp_targetILNS1_3genE3ELNS1_11target_archE908ELNS1_3gpuE7ELNS1_3repE0EEENS1_30default_config_static_selectorELNS0_4arch9wavefront6targetE1EEEvT1_
	.globl	_ZN7rocprim17ROCPRIM_400000_NS6detail17trampoline_kernelINS0_14default_configENS1_25partition_config_selectorILNS1_17partition_subalgoE0EyNS0_10empty_typeEbEEZZNS1_14partition_implILS5_0ELb0ES3_jN6thrust23THRUST_200600_302600_NS6detail15normal_iteratorINSA_10device_ptrIyEEEEPS6_SG_NS0_5tupleIJSF_SF_EEENSH_IJSG_SG_EEES6_PlJ7is_evenIyEEEE10hipError_tPvRmT3_T4_T5_T6_T7_T9_mT8_P12ihipStream_tbDpT10_ENKUlT_T0_E_clISt17integral_constantIbLb1EES16_EEDaS11_S12_EUlS11_E_NS1_11comp_targetILNS1_3genE3ELNS1_11target_archE908ELNS1_3gpuE7ELNS1_3repE0EEENS1_30default_config_static_selectorELNS0_4arch9wavefront6targetE1EEEvT1_
	.p2align	8
	.type	_ZN7rocprim17ROCPRIM_400000_NS6detail17trampoline_kernelINS0_14default_configENS1_25partition_config_selectorILNS1_17partition_subalgoE0EyNS0_10empty_typeEbEEZZNS1_14partition_implILS5_0ELb0ES3_jN6thrust23THRUST_200600_302600_NS6detail15normal_iteratorINSA_10device_ptrIyEEEEPS6_SG_NS0_5tupleIJSF_SF_EEENSH_IJSG_SG_EEES6_PlJ7is_evenIyEEEE10hipError_tPvRmT3_T4_T5_T6_T7_T9_mT8_P12ihipStream_tbDpT10_ENKUlT_T0_E_clISt17integral_constantIbLb1EES16_EEDaS11_S12_EUlS11_E_NS1_11comp_targetILNS1_3genE3ELNS1_11target_archE908ELNS1_3gpuE7ELNS1_3repE0EEENS1_30default_config_static_selectorELNS0_4arch9wavefront6targetE1EEEvT1_,@function
_ZN7rocprim17ROCPRIM_400000_NS6detail17trampoline_kernelINS0_14default_configENS1_25partition_config_selectorILNS1_17partition_subalgoE0EyNS0_10empty_typeEbEEZZNS1_14partition_implILS5_0ELb0ES3_jN6thrust23THRUST_200600_302600_NS6detail15normal_iteratorINSA_10device_ptrIyEEEEPS6_SG_NS0_5tupleIJSF_SF_EEENSH_IJSG_SG_EEES6_PlJ7is_evenIyEEEE10hipError_tPvRmT3_T4_T5_T6_T7_T9_mT8_P12ihipStream_tbDpT10_ENKUlT_T0_E_clISt17integral_constantIbLb1EES16_EEDaS11_S12_EUlS11_E_NS1_11comp_targetILNS1_3genE3ELNS1_11target_archE908ELNS1_3gpuE7ELNS1_3repE0EEENS1_30default_config_static_selectorELNS0_4arch9wavefront6targetE1EEEvT1_: ; @_ZN7rocprim17ROCPRIM_400000_NS6detail17trampoline_kernelINS0_14default_configENS1_25partition_config_selectorILNS1_17partition_subalgoE0EyNS0_10empty_typeEbEEZZNS1_14partition_implILS5_0ELb0ES3_jN6thrust23THRUST_200600_302600_NS6detail15normal_iteratorINSA_10device_ptrIyEEEEPS6_SG_NS0_5tupleIJSF_SF_EEENSH_IJSG_SG_EEES6_PlJ7is_evenIyEEEE10hipError_tPvRmT3_T4_T5_T6_T7_T9_mT8_P12ihipStream_tbDpT10_ENKUlT_T0_E_clISt17integral_constantIbLb1EES16_EEDaS11_S12_EUlS11_E_NS1_11comp_targetILNS1_3genE3ELNS1_11target_archE908ELNS1_3gpuE7ELNS1_3repE0EEENS1_30default_config_static_selectorELNS0_4arch9wavefront6targetE1EEEvT1_
; %bb.0:
	.section	.rodata,"a",@progbits
	.p2align	6, 0x0
	.amdhsa_kernel _ZN7rocprim17ROCPRIM_400000_NS6detail17trampoline_kernelINS0_14default_configENS1_25partition_config_selectorILNS1_17partition_subalgoE0EyNS0_10empty_typeEbEEZZNS1_14partition_implILS5_0ELb0ES3_jN6thrust23THRUST_200600_302600_NS6detail15normal_iteratorINSA_10device_ptrIyEEEEPS6_SG_NS0_5tupleIJSF_SF_EEENSH_IJSG_SG_EEES6_PlJ7is_evenIyEEEE10hipError_tPvRmT3_T4_T5_T6_T7_T9_mT8_P12ihipStream_tbDpT10_ENKUlT_T0_E_clISt17integral_constantIbLb1EES16_EEDaS11_S12_EUlS11_E_NS1_11comp_targetILNS1_3genE3ELNS1_11target_archE908ELNS1_3gpuE7ELNS1_3repE0EEENS1_30default_config_static_selectorELNS0_4arch9wavefront6targetE1EEEvT1_
		.amdhsa_group_segment_fixed_size 0
		.amdhsa_private_segment_fixed_size 0
		.amdhsa_kernarg_size 136
		.amdhsa_user_sgpr_count 2
		.amdhsa_user_sgpr_dispatch_ptr 0
		.amdhsa_user_sgpr_queue_ptr 0
		.amdhsa_user_sgpr_kernarg_segment_ptr 1
		.amdhsa_user_sgpr_dispatch_id 0
		.amdhsa_user_sgpr_kernarg_preload_length 0
		.amdhsa_user_sgpr_kernarg_preload_offset 0
		.amdhsa_user_sgpr_private_segment_size 0
		.amdhsa_uses_dynamic_stack 0
		.amdhsa_enable_private_segment 0
		.amdhsa_system_sgpr_workgroup_id_x 1
		.amdhsa_system_sgpr_workgroup_id_y 0
		.amdhsa_system_sgpr_workgroup_id_z 0
		.amdhsa_system_sgpr_workgroup_info 0
		.amdhsa_system_vgpr_workitem_id 0
		.amdhsa_next_free_vgpr 1
		.amdhsa_next_free_sgpr 0
		.amdhsa_accum_offset 4
		.amdhsa_reserve_vcc 0
		.amdhsa_float_round_mode_32 0
		.amdhsa_float_round_mode_16_64 0
		.amdhsa_float_denorm_mode_32 3
		.amdhsa_float_denorm_mode_16_64 3
		.amdhsa_dx10_clamp 1
		.amdhsa_ieee_mode 1
		.amdhsa_fp16_overflow 0
		.amdhsa_tg_split 0
		.amdhsa_exception_fp_ieee_invalid_op 0
		.amdhsa_exception_fp_denorm_src 0
		.amdhsa_exception_fp_ieee_div_zero 0
		.amdhsa_exception_fp_ieee_overflow 0
		.amdhsa_exception_fp_ieee_underflow 0
		.amdhsa_exception_fp_ieee_inexact 0
		.amdhsa_exception_int_div_zero 0
	.end_amdhsa_kernel
	.section	.text._ZN7rocprim17ROCPRIM_400000_NS6detail17trampoline_kernelINS0_14default_configENS1_25partition_config_selectorILNS1_17partition_subalgoE0EyNS0_10empty_typeEbEEZZNS1_14partition_implILS5_0ELb0ES3_jN6thrust23THRUST_200600_302600_NS6detail15normal_iteratorINSA_10device_ptrIyEEEEPS6_SG_NS0_5tupleIJSF_SF_EEENSH_IJSG_SG_EEES6_PlJ7is_evenIyEEEE10hipError_tPvRmT3_T4_T5_T6_T7_T9_mT8_P12ihipStream_tbDpT10_ENKUlT_T0_E_clISt17integral_constantIbLb1EES16_EEDaS11_S12_EUlS11_E_NS1_11comp_targetILNS1_3genE3ELNS1_11target_archE908ELNS1_3gpuE7ELNS1_3repE0EEENS1_30default_config_static_selectorELNS0_4arch9wavefront6targetE1EEEvT1_,"axG",@progbits,_ZN7rocprim17ROCPRIM_400000_NS6detail17trampoline_kernelINS0_14default_configENS1_25partition_config_selectorILNS1_17partition_subalgoE0EyNS0_10empty_typeEbEEZZNS1_14partition_implILS5_0ELb0ES3_jN6thrust23THRUST_200600_302600_NS6detail15normal_iteratorINSA_10device_ptrIyEEEEPS6_SG_NS0_5tupleIJSF_SF_EEENSH_IJSG_SG_EEES6_PlJ7is_evenIyEEEE10hipError_tPvRmT3_T4_T5_T6_T7_T9_mT8_P12ihipStream_tbDpT10_ENKUlT_T0_E_clISt17integral_constantIbLb1EES16_EEDaS11_S12_EUlS11_E_NS1_11comp_targetILNS1_3genE3ELNS1_11target_archE908ELNS1_3gpuE7ELNS1_3repE0EEENS1_30default_config_static_selectorELNS0_4arch9wavefront6targetE1EEEvT1_,comdat
.Lfunc_end2115:
	.size	_ZN7rocprim17ROCPRIM_400000_NS6detail17trampoline_kernelINS0_14default_configENS1_25partition_config_selectorILNS1_17partition_subalgoE0EyNS0_10empty_typeEbEEZZNS1_14partition_implILS5_0ELb0ES3_jN6thrust23THRUST_200600_302600_NS6detail15normal_iteratorINSA_10device_ptrIyEEEEPS6_SG_NS0_5tupleIJSF_SF_EEENSH_IJSG_SG_EEES6_PlJ7is_evenIyEEEE10hipError_tPvRmT3_T4_T5_T6_T7_T9_mT8_P12ihipStream_tbDpT10_ENKUlT_T0_E_clISt17integral_constantIbLb1EES16_EEDaS11_S12_EUlS11_E_NS1_11comp_targetILNS1_3genE3ELNS1_11target_archE908ELNS1_3gpuE7ELNS1_3repE0EEENS1_30default_config_static_selectorELNS0_4arch9wavefront6targetE1EEEvT1_, .Lfunc_end2115-_ZN7rocprim17ROCPRIM_400000_NS6detail17trampoline_kernelINS0_14default_configENS1_25partition_config_selectorILNS1_17partition_subalgoE0EyNS0_10empty_typeEbEEZZNS1_14partition_implILS5_0ELb0ES3_jN6thrust23THRUST_200600_302600_NS6detail15normal_iteratorINSA_10device_ptrIyEEEEPS6_SG_NS0_5tupleIJSF_SF_EEENSH_IJSG_SG_EEES6_PlJ7is_evenIyEEEE10hipError_tPvRmT3_T4_T5_T6_T7_T9_mT8_P12ihipStream_tbDpT10_ENKUlT_T0_E_clISt17integral_constantIbLb1EES16_EEDaS11_S12_EUlS11_E_NS1_11comp_targetILNS1_3genE3ELNS1_11target_archE908ELNS1_3gpuE7ELNS1_3repE0EEENS1_30default_config_static_selectorELNS0_4arch9wavefront6targetE1EEEvT1_
                                        ; -- End function
	.section	.AMDGPU.csdata,"",@progbits
; Kernel info:
; codeLenInByte = 0
; NumSgprs: 6
; NumVgprs: 0
; NumAgprs: 0
; TotalNumVgprs: 0
; ScratchSize: 0
; MemoryBound: 0
; FloatMode: 240
; IeeeMode: 1
; LDSByteSize: 0 bytes/workgroup (compile time only)
; SGPRBlocks: 0
; VGPRBlocks: 0
; NumSGPRsForWavesPerEU: 6
; NumVGPRsForWavesPerEU: 1
; AccumOffset: 4
; Occupancy: 8
; WaveLimiterHint : 0
; COMPUTE_PGM_RSRC2:SCRATCH_EN: 0
; COMPUTE_PGM_RSRC2:USER_SGPR: 2
; COMPUTE_PGM_RSRC2:TRAP_HANDLER: 0
; COMPUTE_PGM_RSRC2:TGID_X_EN: 1
; COMPUTE_PGM_RSRC2:TGID_Y_EN: 0
; COMPUTE_PGM_RSRC2:TGID_Z_EN: 0
; COMPUTE_PGM_RSRC2:TIDIG_COMP_CNT: 0
; COMPUTE_PGM_RSRC3_GFX90A:ACCUM_OFFSET: 0
; COMPUTE_PGM_RSRC3_GFX90A:TG_SPLIT: 0
	.section	.text._ZN7rocprim17ROCPRIM_400000_NS6detail17trampoline_kernelINS0_14default_configENS1_25partition_config_selectorILNS1_17partition_subalgoE0EyNS0_10empty_typeEbEEZZNS1_14partition_implILS5_0ELb0ES3_jN6thrust23THRUST_200600_302600_NS6detail15normal_iteratorINSA_10device_ptrIyEEEEPS6_SG_NS0_5tupleIJSF_SF_EEENSH_IJSG_SG_EEES6_PlJ7is_evenIyEEEE10hipError_tPvRmT3_T4_T5_T6_T7_T9_mT8_P12ihipStream_tbDpT10_ENKUlT_T0_E_clISt17integral_constantIbLb1EES16_EEDaS11_S12_EUlS11_E_NS1_11comp_targetILNS1_3genE2ELNS1_11target_archE906ELNS1_3gpuE6ELNS1_3repE0EEENS1_30default_config_static_selectorELNS0_4arch9wavefront6targetE1EEEvT1_,"axG",@progbits,_ZN7rocprim17ROCPRIM_400000_NS6detail17trampoline_kernelINS0_14default_configENS1_25partition_config_selectorILNS1_17partition_subalgoE0EyNS0_10empty_typeEbEEZZNS1_14partition_implILS5_0ELb0ES3_jN6thrust23THRUST_200600_302600_NS6detail15normal_iteratorINSA_10device_ptrIyEEEEPS6_SG_NS0_5tupleIJSF_SF_EEENSH_IJSG_SG_EEES6_PlJ7is_evenIyEEEE10hipError_tPvRmT3_T4_T5_T6_T7_T9_mT8_P12ihipStream_tbDpT10_ENKUlT_T0_E_clISt17integral_constantIbLb1EES16_EEDaS11_S12_EUlS11_E_NS1_11comp_targetILNS1_3genE2ELNS1_11target_archE906ELNS1_3gpuE6ELNS1_3repE0EEENS1_30default_config_static_selectorELNS0_4arch9wavefront6targetE1EEEvT1_,comdat
	.protected	_ZN7rocprim17ROCPRIM_400000_NS6detail17trampoline_kernelINS0_14default_configENS1_25partition_config_selectorILNS1_17partition_subalgoE0EyNS0_10empty_typeEbEEZZNS1_14partition_implILS5_0ELb0ES3_jN6thrust23THRUST_200600_302600_NS6detail15normal_iteratorINSA_10device_ptrIyEEEEPS6_SG_NS0_5tupleIJSF_SF_EEENSH_IJSG_SG_EEES6_PlJ7is_evenIyEEEE10hipError_tPvRmT3_T4_T5_T6_T7_T9_mT8_P12ihipStream_tbDpT10_ENKUlT_T0_E_clISt17integral_constantIbLb1EES16_EEDaS11_S12_EUlS11_E_NS1_11comp_targetILNS1_3genE2ELNS1_11target_archE906ELNS1_3gpuE6ELNS1_3repE0EEENS1_30default_config_static_selectorELNS0_4arch9wavefront6targetE1EEEvT1_ ; -- Begin function _ZN7rocprim17ROCPRIM_400000_NS6detail17trampoline_kernelINS0_14default_configENS1_25partition_config_selectorILNS1_17partition_subalgoE0EyNS0_10empty_typeEbEEZZNS1_14partition_implILS5_0ELb0ES3_jN6thrust23THRUST_200600_302600_NS6detail15normal_iteratorINSA_10device_ptrIyEEEEPS6_SG_NS0_5tupleIJSF_SF_EEENSH_IJSG_SG_EEES6_PlJ7is_evenIyEEEE10hipError_tPvRmT3_T4_T5_T6_T7_T9_mT8_P12ihipStream_tbDpT10_ENKUlT_T0_E_clISt17integral_constantIbLb1EES16_EEDaS11_S12_EUlS11_E_NS1_11comp_targetILNS1_3genE2ELNS1_11target_archE906ELNS1_3gpuE6ELNS1_3repE0EEENS1_30default_config_static_selectorELNS0_4arch9wavefront6targetE1EEEvT1_
	.globl	_ZN7rocprim17ROCPRIM_400000_NS6detail17trampoline_kernelINS0_14default_configENS1_25partition_config_selectorILNS1_17partition_subalgoE0EyNS0_10empty_typeEbEEZZNS1_14partition_implILS5_0ELb0ES3_jN6thrust23THRUST_200600_302600_NS6detail15normal_iteratorINSA_10device_ptrIyEEEEPS6_SG_NS0_5tupleIJSF_SF_EEENSH_IJSG_SG_EEES6_PlJ7is_evenIyEEEE10hipError_tPvRmT3_T4_T5_T6_T7_T9_mT8_P12ihipStream_tbDpT10_ENKUlT_T0_E_clISt17integral_constantIbLb1EES16_EEDaS11_S12_EUlS11_E_NS1_11comp_targetILNS1_3genE2ELNS1_11target_archE906ELNS1_3gpuE6ELNS1_3repE0EEENS1_30default_config_static_selectorELNS0_4arch9wavefront6targetE1EEEvT1_
	.p2align	8
	.type	_ZN7rocprim17ROCPRIM_400000_NS6detail17trampoline_kernelINS0_14default_configENS1_25partition_config_selectorILNS1_17partition_subalgoE0EyNS0_10empty_typeEbEEZZNS1_14partition_implILS5_0ELb0ES3_jN6thrust23THRUST_200600_302600_NS6detail15normal_iteratorINSA_10device_ptrIyEEEEPS6_SG_NS0_5tupleIJSF_SF_EEENSH_IJSG_SG_EEES6_PlJ7is_evenIyEEEE10hipError_tPvRmT3_T4_T5_T6_T7_T9_mT8_P12ihipStream_tbDpT10_ENKUlT_T0_E_clISt17integral_constantIbLb1EES16_EEDaS11_S12_EUlS11_E_NS1_11comp_targetILNS1_3genE2ELNS1_11target_archE906ELNS1_3gpuE6ELNS1_3repE0EEENS1_30default_config_static_selectorELNS0_4arch9wavefront6targetE1EEEvT1_,@function
_ZN7rocprim17ROCPRIM_400000_NS6detail17trampoline_kernelINS0_14default_configENS1_25partition_config_selectorILNS1_17partition_subalgoE0EyNS0_10empty_typeEbEEZZNS1_14partition_implILS5_0ELb0ES3_jN6thrust23THRUST_200600_302600_NS6detail15normal_iteratorINSA_10device_ptrIyEEEEPS6_SG_NS0_5tupleIJSF_SF_EEENSH_IJSG_SG_EEES6_PlJ7is_evenIyEEEE10hipError_tPvRmT3_T4_T5_T6_T7_T9_mT8_P12ihipStream_tbDpT10_ENKUlT_T0_E_clISt17integral_constantIbLb1EES16_EEDaS11_S12_EUlS11_E_NS1_11comp_targetILNS1_3genE2ELNS1_11target_archE906ELNS1_3gpuE6ELNS1_3repE0EEENS1_30default_config_static_selectorELNS0_4arch9wavefront6targetE1EEEvT1_: ; @_ZN7rocprim17ROCPRIM_400000_NS6detail17trampoline_kernelINS0_14default_configENS1_25partition_config_selectorILNS1_17partition_subalgoE0EyNS0_10empty_typeEbEEZZNS1_14partition_implILS5_0ELb0ES3_jN6thrust23THRUST_200600_302600_NS6detail15normal_iteratorINSA_10device_ptrIyEEEEPS6_SG_NS0_5tupleIJSF_SF_EEENSH_IJSG_SG_EEES6_PlJ7is_evenIyEEEE10hipError_tPvRmT3_T4_T5_T6_T7_T9_mT8_P12ihipStream_tbDpT10_ENKUlT_T0_E_clISt17integral_constantIbLb1EES16_EEDaS11_S12_EUlS11_E_NS1_11comp_targetILNS1_3genE2ELNS1_11target_archE906ELNS1_3gpuE6ELNS1_3repE0EEENS1_30default_config_static_selectorELNS0_4arch9wavefront6targetE1EEEvT1_
; %bb.0:
	.section	.rodata,"a",@progbits
	.p2align	6, 0x0
	.amdhsa_kernel _ZN7rocprim17ROCPRIM_400000_NS6detail17trampoline_kernelINS0_14default_configENS1_25partition_config_selectorILNS1_17partition_subalgoE0EyNS0_10empty_typeEbEEZZNS1_14partition_implILS5_0ELb0ES3_jN6thrust23THRUST_200600_302600_NS6detail15normal_iteratorINSA_10device_ptrIyEEEEPS6_SG_NS0_5tupleIJSF_SF_EEENSH_IJSG_SG_EEES6_PlJ7is_evenIyEEEE10hipError_tPvRmT3_T4_T5_T6_T7_T9_mT8_P12ihipStream_tbDpT10_ENKUlT_T0_E_clISt17integral_constantIbLb1EES16_EEDaS11_S12_EUlS11_E_NS1_11comp_targetILNS1_3genE2ELNS1_11target_archE906ELNS1_3gpuE6ELNS1_3repE0EEENS1_30default_config_static_selectorELNS0_4arch9wavefront6targetE1EEEvT1_
		.amdhsa_group_segment_fixed_size 0
		.amdhsa_private_segment_fixed_size 0
		.amdhsa_kernarg_size 136
		.amdhsa_user_sgpr_count 2
		.amdhsa_user_sgpr_dispatch_ptr 0
		.amdhsa_user_sgpr_queue_ptr 0
		.amdhsa_user_sgpr_kernarg_segment_ptr 1
		.amdhsa_user_sgpr_dispatch_id 0
		.amdhsa_user_sgpr_kernarg_preload_length 0
		.amdhsa_user_sgpr_kernarg_preload_offset 0
		.amdhsa_user_sgpr_private_segment_size 0
		.amdhsa_uses_dynamic_stack 0
		.amdhsa_enable_private_segment 0
		.amdhsa_system_sgpr_workgroup_id_x 1
		.amdhsa_system_sgpr_workgroup_id_y 0
		.amdhsa_system_sgpr_workgroup_id_z 0
		.amdhsa_system_sgpr_workgroup_info 0
		.amdhsa_system_vgpr_workitem_id 0
		.amdhsa_next_free_vgpr 1
		.amdhsa_next_free_sgpr 0
		.amdhsa_accum_offset 4
		.amdhsa_reserve_vcc 0
		.amdhsa_float_round_mode_32 0
		.amdhsa_float_round_mode_16_64 0
		.amdhsa_float_denorm_mode_32 3
		.amdhsa_float_denorm_mode_16_64 3
		.amdhsa_dx10_clamp 1
		.amdhsa_ieee_mode 1
		.amdhsa_fp16_overflow 0
		.amdhsa_tg_split 0
		.amdhsa_exception_fp_ieee_invalid_op 0
		.amdhsa_exception_fp_denorm_src 0
		.amdhsa_exception_fp_ieee_div_zero 0
		.amdhsa_exception_fp_ieee_overflow 0
		.amdhsa_exception_fp_ieee_underflow 0
		.amdhsa_exception_fp_ieee_inexact 0
		.amdhsa_exception_int_div_zero 0
	.end_amdhsa_kernel
	.section	.text._ZN7rocprim17ROCPRIM_400000_NS6detail17trampoline_kernelINS0_14default_configENS1_25partition_config_selectorILNS1_17partition_subalgoE0EyNS0_10empty_typeEbEEZZNS1_14partition_implILS5_0ELb0ES3_jN6thrust23THRUST_200600_302600_NS6detail15normal_iteratorINSA_10device_ptrIyEEEEPS6_SG_NS0_5tupleIJSF_SF_EEENSH_IJSG_SG_EEES6_PlJ7is_evenIyEEEE10hipError_tPvRmT3_T4_T5_T6_T7_T9_mT8_P12ihipStream_tbDpT10_ENKUlT_T0_E_clISt17integral_constantIbLb1EES16_EEDaS11_S12_EUlS11_E_NS1_11comp_targetILNS1_3genE2ELNS1_11target_archE906ELNS1_3gpuE6ELNS1_3repE0EEENS1_30default_config_static_selectorELNS0_4arch9wavefront6targetE1EEEvT1_,"axG",@progbits,_ZN7rocprim17ROCPRIM_400000_NS6detail17trampoline_kernelINS0_14default_configENS1_25partition_config_selectorILNS1_17partition_subalgoE0EyNS0_10empty_typeEbEEZZNS1_14partition_implILS5_0ELb0ES3_jN6thrust23THRUST_200600_302600_NS6detail15normal_iteratorINSA_10device_ptrIyEEEEPS6_SG_NS0_5tupleIJSF_SF_EEENSH_IJSG_SG_EEES6_PlJ7is_evenIyEEEE10hipError_tPvRmT3_T4_T5_T6_T7_T9_mT8_P12ihipStream_tbDpT10_ENKUlT_T0_E_clISt17integral_constantIbLb1EES16_EEDaS11_S12_EUlS11_E_NS1_11comp_targetILNS1_3genE2ELNS1_11target_archE906ELNS1_3gpuE6ELNS1_3repE0EEENS1_30default_config_static_selectorELNS0_4arch9wavefront6targetE1EEEvT1_,comdat
.Lfunc_end2116:
	.size	_ZN7rocprim17ROCPRIM_400000_NS6detail17trampoline_kernelINS0_14default_configENS1_25partition_config_selectorILNS1_17partition_subalgoE0EyNS0_10empty_typeEbEEZZNS1_14partition_implILS5_0ELb0ES3_jN6thrust23THRUST_200600_302600_NS6detail15normal_iteratorINSA_10device_ptrIyEEEEPS6_SG_NS0_5tupleIJSF_SF_EEENSH_IJSG_SG_EEES6_PlJ7is_evenIyEEEE10hipError_tPvRmT3_T4_T5_T6_T7_T9_mT8_P12ihipStream_tbDpT10_ENKUlT_T0_E_clISt17integral_constantIbLb1EES16_EEDaS11_S12_EUlS11_E_NS1_11comp_targetILNS1_3genE2ELNS1_11target_archE906ELNS1_3gpuE6ELNS1_3repE0EEENS1_30default_config_static_selectorELNS0_4arch9wavefront6targetE1EEEvT1_, .Lfunc_end2116-_ZN7rocprim17ROCPRIM_400000_NS6detail17trampoline_kernelINS0_14default_configENS1_25partition_config_selectorILNS1_17partition_subalgoE0EyNS0_10empty_typeEbEEZZNS1_14partition_implILS5_0ELb0ES3_jN6thrust23THRUST_200600_302600_NS6detail15normal_iteratorINSA_10device_ptrIyEEEEPS6_SG_NS0_5tupleIJSF_SF_EEENSH_IJSG_SG_EEES6_PlJ7is_evenIyEEEE10hipError_tPvRmT3_T4_T5_T6_T7_T9_mT8_P12ihipStream_tbDpT10_ENKUlT_T0_E_clISt17integral_constantIbLb1EES16_EEDaS11_S12_EUlS11_E_NS1_11comp_targetILNS1_3genE2ELNS1_11target_archE906ELNS1_3gpuE6ELNS1_3repE0EEENS1_30default_config_static_selectorELNS0_4arch9wavefront6targetE1EEEvT1_
                                        ; -- End function
	.section	.AMDGPU.csdata,"",@progbits
; Kernel info:
; codeLenInByte = 0
; NumSgprs: 6
; NumVgprs: 0
; NumAgprs: 0
; TotalNumVgprs: 0
; ScratchSize: 0
; MemoryBound: 0
; FloatMode: 240
; IeeeMode: 1
; LDSByteSize: 0 bytes/workgroup (compile time only)
; SGPRBlocks: 0
; VGPRBlocks: 0
; NumSGPRsForWavesPerEU: 6
; NumVGPRsForWavesPerEU: 1
; AccumOffset: 4
; Occupancy: 8
; WaveLimiterHint : 0
; COMPUTE_PGM_RSRC2:SCRATCH_EN: 0
; COMPUTE_PGM_RSRC2:USER_SGPR: 2
; COMPUTE_PGM_RSRC2:TRAP_HANDLER: 0
; COMPUTE_PGM_RSRC2:TGID_X_EN: 1
; COMPUTE_PGM_RSRC2:TGID_Y_EN: 0
; COMPUTE_PGM_RSRC2:TGID_Z_EN: 0
; COMPUTE_PGM_RSRC2:TIDIG_COMP_CNT: 0
; COMPUTE_PGM_RSRC3_GFX90A:ACCUM_OFFSET: 0
; COMPUTE_PGM_RSRC3_GFX90A:TG_SPLIT: 0
	.section	.text._ZN7rocprim17ROCPRIM_400000_NS6detail17trampoline_kernelINS0_14default_configENS1_25partition_config_selectorILNS1_17partition_subalgoE0EyNS0_10empty_typeEbEEZZNS1_14partition_implILS5_0ELb0ES3_jN6thrust23THRUST_200600_302600_NS6detail15normal_iteratorINSA_10device_ptrIyEEEEPS6_SG_NS0_5tupleIJSF_SF_EEENSH_IJSG_SG_EEES6_PlJ7is_evenIyEEEE10hipError_tPvRmT3_T4_T5_T6_T7_T9_mT8_P12ihipStream_tbDpT10_ENKUlT_T0_E_clISt17integral_constantIbLb1EES16_EEDaS11_S12_EUlS11_E_NS1_11comp_targetILNS1_3genE10ELNS1_11target_archE1200ELNS1_3gpuE4ELNS1_3repE0EEENS1_30default_config_static_selectorELNS0_4arch9wavefront6targetE1EEEvT1_,"axG",@progbits,_ZN7rocprim17ROCPRIM_400000_NS6detail17trampoline_kernelINS0_14default_configENS1_25partition_config_selectorILNS1_17partition_subalgoE0EyNS0_10empty_typeEbEEZZNS1_14partition_implILS5_0ELb0ES3_jN6thrust23THRUST_200600_302600_NS6detail15normal_iteratorINSA_10device_ptrIyEEEEPS6_SG_NS0_5tupleIJSF_SF_EEENSH_IJSG_SG_EEES6_PlJ7is_evenIyEEEE10hipError_tPvRmT3_T4_T5_T6_T7_T9_mT8_P12ihipStream_tbDpT10_ENKUlT_T0_E_clISt17integral_constantIbLb1EES16_EEDaS11_S12_EUlS11_E_NS1_11comp_targetILNS1_3genE10ELNS1_11target_archE1200ELNS1_3gpuE4ELNS1_3repE0EEENS1_30default_config_static_selectorELNS0_4arch9wavefront6targetE1EEEvT1_,comdat
	.protected	_ZN7rocprim17ROCPRIM_400000_NS6detail17trampoline_kernelINS0_14default_configENS1_25partition_config_selectorILNS1_17partition_subalgoE0EyNS0_10empty_typeEbEEZZNS1_14partition_implILS5_0ELb0ES3_jN6thrust23THRUST_200600_302600_NS6detail15normal_iteratorINSA_10device_ptrIyEEEEPS6_SG_NS0_5tupleIJSF_SF_EEENSH_IJSG_SG_EEES6_PlJ7is_evenIyEEEE10hipError_tPvRmT3_T4_T5_T6_T7_T9_mT8_P12ihipStream_tbDpT10_ENKUlT_T0_E_clISt17integral_constantIbLb1EES16_EEDaS11_S12_EUlS11_E_NS1_11comp_targetILNS1_3genE10ELNS1_11target_archE1200ELNS1_3gpuE4ELNS1_3repE0EEENS1_30default_config_static_selectorELNS0_4arch9wavefront6targetE1EEEvT1_ ; -- Begin function _ZN7rocprim17ROCPRIM_400000_NS6detail17trampoline_kernelINS0_14default_configENS1_25partition_config_selectorILNS1_17partition_subalgoE0EyNS0_10empty_typeEbEEZZNS1_14partition_implILS5_0ELb0ES3_jN6thrust23THRUST_200600_302600_NS6detail15normal_iteratorINSA_10device_ptrIyEEEEPS6_SG_NS0_5tupleIJSF_SF_EEENSH_IJSG_SG_EEES6_PlJ7is_evenIyEEEE10hipError_tPvRmT3_T4_T5_T6_T7_T9_mT8_P12ihipStream_tbDpT10_ENKUlT_T0_E_clISt17integral_constantIbLb1EES16_EEDaS11_S12_EUlS11_E_NS1_11comp_targetILNS1_3genE10ELNS1_11target_archE1200ELNS1_3gpuE4ELNS1_3repE0EEENS1_30default_config_static_selectorELNS0_4arch9wavefront6targetE1EEEvT1_
	.globl	_ZN7rocprim17ROCPRIM_400000_NS6detail17trampoline_kernelINS0_14default_configENS1_25partition_config_selectorILNS1_17partition_subalgoE0EyNS0_10empty_typeEbEEZZNS1_14partition_implILS5_0ELb0ES3_jN6thrust23THRUST_200600_302600_NS6detail15normal_iteratorINSA_10device_ptrIyEEEEPS6_SG_NS0_5tupleIJSF_SF_EEENSH_IJSG_SG_EEES6_PlJ7is_evenIyEEEE10hipError_tPvRmT3_T4_T5_T6_T7_T9_mT8_P12ihipStream_tbDpT10_ENKUlT_T0_E_clISt17integral_constantIbLb1EES16_EEDaS11_S12_EUlS11_E_NS1_11comp_targetILNS1_3genE10ELNS1_11target_archE1200ELNS1_3gpuE4ELNS1_3repE0EEENS1_30default_config_static_selectorELNS0_4arch9wavefront6targetE1EEEvT1_
	.p2align	8
	.type	_ZN7rocprim17ROCPRIM_400000_NS6detail17trampoline_kernelINS0_14default_configENS1_25partition_config_selectorILNS1_17partition_subalgoE0EyNS0_10empty_typeEbEEZZNS1_14partition_implILS5_0ELb0ES3_jN6thrust23THRUST_200600_302600_NS6detail15normal_iteratorINSA_10device_ptrIyEEEEPS6_SG_NS0_5tupleIJSF_SF_EEENSH_IJSG_SG_EEES6_PlJ7is_evenIyEEEE10hipError_tPvRmT3_T4_T5_T6_T7_T9_mT8_P12ihipStream_tbDpT10_ENKUlT_T0_E_clISt17integral_constantIbLb1EES16_EEDaS11_S12_EUlS11_E_NS1_11comp_targetILNS1_3genE10ELNS1_11target_archE1200ELNS1_3gpuE4ELNS1_3repE0EEENS1_30default_config_static_selectorELNS0_4arch9wavefront6targetE1EEEvT1_,@function
_ZN7rocprim17ROCPRIM_400000_NS6detail17trampoline_kernelINS0_14default_configENS1_25partition_config_selectorILNS1_17partition_subalgoE0EyNS0_10empty_typeEbEEZZNS1_14partition_implILS5_0ELb0ES3_jN6thrust23THRUST_200600_302600_NS6detail15normal_iteratorINSA_10device_ptrIyEEEEPS6_SG_NS0_5tupleIJSF_SF_EEENSH_IJSG_SG_EEES6_PlJ7is_evenIyEEEE10hipError_tPvRmT3_T4_T5_T6_T7_T9_mT8_P12ihipStream_tbDpT10_ENKUlT_T0_E_clISt17integral_constantIbLb1EES16_EEDaS11_S12_EUlS11_E_NS1_11comp_targetILNS1_3genE10ELNS1_11target_archE1200ELNS1_3gpuE4ELNS1_3repE0EEENS1_30default_config_static_selectorELNS0_4arch9wavefront6targetE1EEEvT1_: ; @_ZN7rocprim17ROCPRIM_400000_NS6detail17trampoline_kernelINS0_14default_configENS1_25partition_config_selectorILNS1_17partition_subalgoE0EyNS0_10empty_typeEbEEZZNS1_14partition_implILS5_0ELb0ES3_jN6thrust23THRUST_200600_302600_NS6detail15normal_iteratorINSA_10device_ptrIyEEEEPS6_SG_NS0_5tupleIJSF_SF_EEENSH_IJSG_SG_EEES6_PlJ7is_evenIyEEEE10hipError_tPvRmT3_T4_T5_T6_T7_T9_mT8_P12ihipStream_tbDpT10_ENKUlT_T0_E_clISt17integral_constantIbLb1EES16_EEDaS11_S12_EUlS11_E_NS1_11comp_targetILNS1_3genE10ELNS1_11target_archE1200ELNS1_3gpuE4ELNS1_3repE0EEENS1_30default_config_static_selectorELNS0_4arch9wavefront6targetE1EEEvT1_
; %bb.0:
	.section	.rodata,"a",@progbits
	.p2align	6, 0x0
	.amdhsa_kernel _ZN7rocprim17ROCPRIM_400000_NS6detail17trampoline_kernelINS0_14default_configENS1_25partition_config_selectorILNS1_17partition_subalgoE0EyNS0_10empty_typeEbEEZZNS1_14partition_implILS5_0ELb0ES3_jN6thrust23THRUST_200600_302600_NS6detail15normal_iteratorINSA_10device_ptrIyEEEEPS6_SG_NS0_5tupleIJSF_SF_EEENSH_IJSG_SG_EEES6_PlJ7is_evenIyEEEE10hipError_tPvRmT3_T4_T5_T6_T7_T9_mT8_P12ihipStream_tbDpT10_ENKUlT_T0_E_clISt17integral_constantIbLb1EES16_EEDaS11_S12_EUlS11_E_NS1_11comp_targetILNS1_3genE10ELNS1_11target_archE1200ELNS1_3gpuE4ELNS1_3repE0EEENS1_30default_config_static_selectorELNS0_4arch9wavefront6targetE1EEEvT1_
		.amdhsa_group_segment_fixed_size 0
		.amdhsa_private_segment_fixed_size 0
		.amdhsa_kernarg_size 136
		.amdhsa_user_sgpr_count 2
		.amdhsa_user_sgpr_dispatch_ptr 0
		.amdhsa_user_sgpr_queue_ptr 0
		.amdhsa_user_sgpr_kernarg_segment_ptr 1
		.amdhsa_user_sgpr_dispatch_id 0
		.amdhsa_user_sgpr_kernarg_preload_length 0
		.amdhsa_user_sgpr_kernarg_preload_offset 0
		.amdhsa_user_sgpr_private_segment_size 0
		.amdhsa_uses_dynamic_stack 0
		.amdhsa_enable_private_segment 0
		.amdhsa_system_sgpr_workgroup_id_x 1
		.amdhsa_system_sgpr_workgroup_id_y 0
		.amdhsa_system_sgpr_workgroup_id_z 0
		.amdhsa_system_sgpr_workgroup_info 0
		.amdhsa_system_vgpr_workitem_id 0
		.amdhsa_next_free_vgpr 1
		.amdhsa_next_free_sgpr 0
		.amdhsa_accum_offset 4
		.amdhsa_reserve_vcc 0
		.amdhsa_float_round_mode_32 0
		.amdhsa_float_round_mode_16_64 0
		.amdhsa_float_denorm_mode_32 3
		.amdhsa_float_denorm_mode_16_64 3
		.amdhsa_dx10_clamp 1
		.amdhsa_ieee_mode 1
		.amdhsa_fp16_overflow 0
		.amdhsa_tg_split 0
		.amdhsa_exception_fp_ieee_invalid_op 0
		.amdhsa_exception_fp_denorm_src 0
		.amdhsa_exception_fp_ieee_div_zero 0
		.amdhsa_exception_fp_ieee_overflow 0
		.amdhsa_exception_fp_ieee_underflow 0
		.amdhsa_exception_fp_ieee_inexact 0
		.amdhsa_exception_int_div_zero 0
	.end_amdhsa_kernel
	.section	.text._ZN7rocprim17ROCPRIM_400000_NS6detail17trampoline_kernelINS0_14default_configENS1_25partition_config_selectorILNS1_17partition_subalgoE0EyNS0_10empty_typeEbEEZZNS1_14partition_implILS5_0ELb0ES3_jN6thrust23THRUST_200600_302600_NS6detail15normal_iteratorINSA_10device_ptrIyEEEEPS6_SG_NS0_5tupleIJSF_SF_EEENSH_IJSG_SG_EEES6_PlJ7is_evenIyEEEE10hipError_tPvRmT3_T4_T5_T6_T7_T9_mT8_P12ihipStream_tbDpT10_ENKUlT_T0_E_clISt17integral_constantIbLb1EES16_EEDaS11_S12_EUlS11_E_NS1_11comp_targetILNS1_3genE10ELNS1_11target_archE1200ELNS1_3gpuE4ELNS1_3repE0EEENS1_30default_config_static_selectorELNS0_4arch9wavefront6targetE1EEEvT1_,"axG",@progbits,_ZN7rocprim17ROCPRIM_400000_NS6detail17trampoline_kernelINS0_14default_configENS1_25partition_config_selectorILNS1_17partition_subalgoE0EyNS0_10empty_typeEbEEZZNS1_14partition_implILS5_0ELb0ES3_jN6thrust23THRUST_200600_302600_NS6detail15normal_iteratorINSA_10device_ptrIyEEEEPS6_SG_NS0_5tupleIJSF_SF_EEENSH_IJSG_SG_EEES6_PlJ7is_evenIyEEEE10hipError_tPvRmT3_T4_T5_T6_T7_T9_mT8_P12ihipStream_tbDpT10_ENKUlT_T0_E_clISt17integral_constantIbLb1EES16_EEDaS11_S12_EUlS11_E_NS1_11comp_targetILNS1_3genE10ELNS1_11target_archE1200ELNS1_3gpuE4ELNS1_3repE0EEENS1_30default_config_static_selectorELNS0_4arch9wavefront6targetE1EEEvT1_,comdat
.Lfunc_end2117:
	.size	_ZN7rocprim17ROCPRIM_400000_NS6detail17trampoline_kernelINS0_14default_configENS1_25partition_config_selectorILNS1_17partition_subalgoE0EyNS0_10empty_typeEbEEZZNS1_14partition_implILS5_0ELb0ES3_jN6thrust23THRUST_200600_302600_NS6detail15normal_iteratorINSA_10device_ptrIyEEEEPS6_SG_NS0_5tupleIJSF_SF_EEENSH_IJSG_SG_EEES6_PlJ7is_evenIyEEEE10hipError_tPvRmT3_T4_T5_T6_T7_T9_mT8_P12ihipStream_tbDpT10_ENKUlT_T0_E_clISt17integral_constantIbLb1EES16_EEDaS11_S12_EUlS11_E_NS1_11comp_targetILNS1_3genE10ELNS1_11target_archE1200ELNS1_3gpuE4ELNS1_3repE0EEENS1_30default_config_static_selectorELNS0_4arch9wavefront6targetE1EEEvT1_, .Lfunc_end2117-_ZN7rocprim17ROCPRIM_400000_NS6detail17trampoline_kernelINS0_14default_configENS1_25partition_config_selectorILNS1_17partition_subalgoE0EyNS0_10empty_typeEbEEZZNS1_14partition_implILS5_0ELb0ES3_jN6thrust23THRUST_200600_302600_NS6detail15normal_iteratorINSA_10device_ptrIyEEEEPS6_SG_NS0_5tupleIJSF_SF_EEENSH_IJSG_SG_EEES6_PlJ7is_evenIyEEEE10hipError_tPvRmT3_T4_T5_T6_T7_T9_mT8_P12ihipStream_tbDpT10_ENKUlT_T0_E_clISt17integral_constantIbLb1EES16_EEDaS11_S12_EUlS11_E_NS1_11comp_targetILNS1_3genE10ELNS1_11target_archE1200ELNS1_3gpuE4ELNS1_3repE0EEENS1_30default_config_static_selectorELNS0_4arch9wavefront6targetE1EEEvT1_
                                        ; -- End function
	.section	.AMDGPU.csdata,"",@progbits
; Kernel info:
; codeLenInByte = 0
; NumSgprs: 6
; NumVgprs: 0
; NumAgprs: 0
; TotalNumVgprs: 0
; ScratchSize: 0
; MemoryBound: 0
; FloatMode: 240
; IeeeMode: 1
; LDSByteSize: 0 bytes/workgroup (compile time only)
; SGPRBlocks: 0
; VGPRBlocks: 0
; NumSGPRsForWavesPerEU: 6
; NumVGPRsForWavesPerEU: 1
; AccumOffset: 4
; Occupancy: 8
; WaveLimiterHint : 0
; COMPUTE_PGM_RSRC2:SCRATCH_EN: 0
; COMPUTE_PGM_RSRC2:USER_SGPR: 2
; COMPUTE_PGM_RSRC2:TRAP_HANDLER: 0
; COMPUTE_PGM_RSRC2:TGID_X_EN: 1
; COMPUTE_PGM_RSRC2:TGID_Y_EN: 0
; COMPUTE_PGM_RSRC2:TGID_Z_EN: 0
; COMPUTE_PGM_RSRC2:TIDIG_COMP_CNT: 0
; COMPUTE_PGM_RSRC3_GFX90A:ACCUM_OFFSET: 0
; COMPUTE_PGM_RSRC3_GFX90A:TG_SPLIT: 0
	.section	.text._ZN7rocprim17ROCPRIM_400000_NS6detail17trampoline_kernelINS0_14default_configENS1_25partition_config_selectorILNS1_17partition_subalgoE0EyNS0_10empty_typeEbEEZZNS1_14partition_implILS5_0ELb0ES3_jN6thrust23THRUST_200600_302600_NS6detail15normal_iteratorINSA_10device_ptrIyEEEEPS6_SG_NS0_5tupleIJSF_SF_EEENSH_IJSG_SG_EEES6_PlJ7is_evenIyEEEE10hipError_tPvRmT3_T4_T5_T6_T7_T9_mT8_P12ihipStream_tbDpT10_ENKUlT_T0_E_clISt17integral_constantIbLb1EES16_EEDaS11_S12_EUlS11_E_NS1_11comp_targetILNS1_3genE9ELNS1_11target_archE1100ELNS1_3gpuE3ELNS1_3repE0EEENS1_30default_config_static_selectorELNS0_4arch9wavefront6targetE1EEEvT1_,"axG",@progbits,_ZN7rocprim17ROCPRIM_400000_NS6detail17trampoline_kernelINS0_14default_configENS1_25partition_config_selectorILNS1_17partition_subalgoE0EyNS0_10empty_typeEbEEZZNS1_14partition_implILS5_0ELb0ES3_jN6thrust23THRUST_200600_302600_NS6detail15normal_iteratorINSA_10device_ptrIyEEEEPS6_SG_NS0_5tupleIJSF_SF_EEENSH_IJSG_SG_EEES6_PlJ7is_evenIyEEEE10hipError_tPvRmT3_T4_T5_T6_T7_T9_mT8_P12ihipStream_tbDpT10_ENKUlT_T0_E_clISt17integral_constantIbLb1EES16_EEDaS11_S12_EUlS11_E_NS1_11comp_targetILNS1_3genE9ELNS1_11target_archE1100ELNS1_3gpuE3ELNS1_3repE0EEENS1_30default_config_static_selectorELNS0_4arch9wavefront6targetE1EEEvT1_,comdat
	.protected	_ZN7rocprim17ROCPRIM_400000_NS6detail17trampoline_kernelINS0_14default_configENS1_25partition_config_selectorILNS1_17partition_subalgoE0EyNS0_10empty_typeEbEEZZNS1_14partition_implILS5_0ELb0ES3_jN6thrust23THRUST_200600_302600_NS6detail15normal_iteratorINSA_10device_ptrIyEEEEPS6_SG_NS0_5tupleIJSF_SF_EEENSH_IJSG_SG_EEES6_PlJ7is_evenIyEEEE10hipError_tPvRmT3_T4_T5_T6_T7_T9_mT8_P12ihipStream_tbDpT10_ENKUlT_T0_E_clISt17integral_constantIbLb1EES16_EEDaS11_S12_EUlS11_E_NS1_11comp_targetILNS1_3genE9ELNS1_11target_archE1100ELNS1_3gpuE3ELNS1_3repE0EEENS1_30default_config_static_selectorELNS0_4arch9wavefront6targetE1EEEvT1_ ; -- Begin function _ZN7rocprim17ROCPRIM_400000_NS6detail17trampoline_kernelINS0_14default_configENS1_25partition_config_selectorILNS1_17partition_subalgoE0EyNS0_10empty_typeEbEEZZNS1_14partition_implILS5_0ELb0ES3_jN6thrust23THRUST_200600_302600_NS6detail15normal_iteratorINSA_10device_ptrIyEEEEPS6_SG_NS0_5tupleIJSF_SF_EEENSH_IJSG_SG_EEES6_PlJ7is_evenIyEEEE10hipError_tPvRmT3_T4_T5_T6_T7_T9_mT8_P12ihipStream_tbDpT10_ENKUlT_T0_E_clISt17integral_constantIbLb1EES16_EEDaS11_S12_EUlS11_E_NS1_11comp_targetILNS1_3genE9ELNS1_11target_archE1100ELNS1_3gpuE3ELNS1_3repE0EEENS1_30default_config_static_selectorELNS0_4arch9wavefront6targetE1EEEvT1_
	.globl	_ZN7rocprim17ROCPRIM_400000_NS6detail17trampoline_kernelINS0_14default_configENS1_25partition_config_selectorILNS1_17partition_subalgoE0EyNS0_10empty_typeEbEEZZNS1_14partition_implILS5_0ELb0ES3_jN6thrust23THRUST_200600_302600_NS6detail15normal_iteratorINSA_10device_ptrIyEEEEPS6_SG_NS0_5tupleIJSF_SF_EEENSH_IJSG_SG_EEES6_PlJ7is_evenIyEEEE10hipError_tPvRmT3_T4_T5_T6_T7_T9_mT8_P12ihipStream_tbDpT10_ENKUlT_T0_E_clISt17integral_constantIbLb1EES16_EEDaS11_S12_EUlS11_E_NS1_11comp_targetILNS1_3genE9ELNS1_11target_archE1100ELNS1_3gpuE3ELNS1_3repE0EEENS1_30default_config_static_selectorELNS0_4arch9wavefront6targetE1EEEvT1_
	.p2align	8
	.type	_ZN7rocprim17ROCPRIM_400000_NS6detail17trampoline_kernelINS0_14default_configENS1_25partition_config_selectorILNS1_17partition_subalgoE0EyNS0_10empty_typeEbEEZZNS1_14partition_implILS5_0ELb0ES3_jN6thrust23THRUST_200600_302600_NS6detail15normal_iteratorINSA_10device_ptrIyEEEEPS6_SG_NS0_5tupleIJSF_SF_EEENSH_IJSG_SG_EEES6_PlJ7is_evenIyEEEE10hipError_tPvRmT3_T4_T5_T6_T7_T9_mT8_P12ihipStream_tbDpT10_ENKUlT_T0_E_clISt17integral_constantIbLb1EES16_EEDaS11_S12_EUlS11_E_NS1_11comp_targetILNS1_3genE9ELNS1_11target_archE1100ELNS1_3gpuE3ELNS1_3repE0EEENS1_30default_config_static_selectorELNS0_4arch9wavefront6targetE1EEEvT1_,@function
_ZN7rocprim17ROCPRIM_400000_NS6detail17trampoline_kernelINS0_14default_configENS1_25partition_config_selectorILNS1_17partition_subalgoE0EyNS0_10empty_typeEbEEZZNS1_14partition_implILS5_0ELb0ES3_jN6thrust23THRUST_200600_302600_NS6detail15normal_iteratorINSA_10device_ptrIyEEEEPS6_SG_NS0_5tupleIJSF_SF_EEENSH_IJSG_SG_EEES6_PlJ7is_evenIyEEEE10hipError_tPvRmT3_T4_T5_T6_T7_T9_mT8_P12ihipStream_tbDpT10_ENKUlT_T0_E_clISt17integral_constantIbLb1EES16_EEDaS11_S12_EUlS11_E_NS1_11comp_targetILNS1_3genE9ELNS1_11target_archE1100ELNS1_3gpuE3ELNS1_3repE0EEENS1_30default_config_static_selectorELNS0_4arch9wavefront6targetE1EEEvT1_: ; @_ZN7rocprim17ROCPRIM_400000_NS6detail17trampoline_kernelINS0_14default_configENS1_25partition_config_selectorILNS1_17partition_subalgoE0EyNS0_10empty_typeEbEEZZNS1_14partition_implILS5_0ELb0ES3_jN6thrust23THRUST_200600_302600_NS6detail15normal_iteratorINSA_10device_ptrIyEEEEPS6_SG_NS0_5tupleIJSF_SF_EEENSH_IJSG_SG_EEES6_PlJ7is_evenIyEEEE10hipError_tPvRmT3_T4_T5_T6_T7_T9_mT8_P12ihipStream_tbDpT10_ENKUlT_T0_E_clISt17integral_constantIbLb1EES16_EEDaS11_S12_EUlS11_E_NS1_11comp_targetILNS1_3genE9ELNS1_11target_archE1100ELNS1_3gpuE3ELNS1_3repE0EEENS1_30default_config_static_selectorELNS0_4arch9wavefront6targetE1EEEvT1_
; %bb.0:
	.section	.rodata,"a",@progbits
	.p2align	6, 0x0
	.amdhsa_kernel _ZN7rocprim17ROCPRIM_400000_NS6detail17trampoline_kernelINS0_14default_configENS1_25partition_config_selectorILNS1_17partition_subalgoE0EyNS0_10empty_typeEbEEZZNS1_14partition_implILS5_0ELb0ES3_jN6thrust23THRUST_200600_302600_NS6detail15normal_iteratorINSA_10device_ptrIyEEEEPS6_SG_NS0_5tupleIJSF_SF_EEENSH_IJSG_SG_EEES6_PlJ7is_evenIyEEEE10hipError_tPvRmT3_T4_T5_T6_T7_T9_mT8_P12ihipStream_tbDpT10_ENKUlT_T0_E_clISt17integral_constantIbLb1EES16_EEDaS11_S12_EUlS11_E_NS1_11comp_targetILNS1_3genE9ELNS1_11target_archE1100ELNS1_3gpuE3ELNS1_3repE0EEENS1_30default_config_static_selectorELNS0_4arch9wavefront6targetE1EEEvT1_
		.amdhsa_group_segment_fixed_size 0
		.amdhsa_private_segment_fixed_size 0
		.amdhsa_kernarg_size 136
		.amdhsa_user_sgpr_count 2
		.amdhsa_user_sgpr_dispatch_ptr 0
		.amdhsa_user_sgpr_queue_ptr 0
		.amdhsa_user_sgpr_kernarg_segment_ptr 1
		.amdhsa_user_sgpr_dispatch_id 0
		.amdhsa_user_sgpr_kernarg_preload_length 0
		.amdhsa_user_sgpr_kernarg_preload_offset 0
		.amdhsa_user_sgpr_private_segment_size 0
		.amdhsa_uses_dynamic_stack 0
		.amdhsa_enable_private_segment 0
		.amdhsa_system_sgpr_workgroup_id_x 1
		.amdhsa_system_sgpr_workgroup_id_y 0
		.amdhsa_system_sgpr_workgroup_id_z 0
		.amdhsa_system_sgpr_workgroup_info 0
		.amdhsa_system_vgpr_workitem_id 0
		.amdhsa_next_free_vgpr 1
		.amdhsa_next_free_sgpr 0
		.amdhsa_accum_offset 4
		.amdhsa_reserve_vcc 0
		.amdhsa_float_round_mode_32 0
		.amdhsa_float_round_mode_16_64 0
		.amdhsa_float_denorm_mode_32 3
		.amdhsa_float_denorm_mode_16_64 3
		.amdhsa_dx10_clamp 1
		.amdhsa_ieee_mode 1
		.amdhsa_fp16_overflow 0
		.amdhsa_tg_split 0
		.amdhsa_exception_fp_ieee_invalid_op 0
		.amdhsa_exception_fp_denorm_src 0
		.amdhsa_exception_fp_ieee_div_zero 0
		.amdhsa_exception_fp_ieee_overflow 0
		.amdhsa_exception_fp_ieee_underflow 0
		.amdhsa_exception_fp_ieee_inexact 0
		.amdhsa_exception_int_div_zero 0
	.end_amdhsa_kernel
	.section	.text._ZN7rocprim17ROCPRIM_400000_NS6detail17trampoline_kernelINS0_14default_configENS1_25partition_config_selectorILNS1_17partition_subalgoE0EyNS0_10empty_typeEbEEZZNS1_14partition_implILS5_0ELb0ES3_jN6thrust23THRUST_200600_302600_NS6detail15normal_iteratorINSA_10device_ptrIyEEEEPS6_SG_NS0_5tupleIJSF_SF_EEENSH_IJSG_SG_EEES6_PlJ7is_evenIyEEEE10hipError_tPvRmT3_T4_T5_T6_T7_T9_mT8_P12ihipStream_tbDpT10_ENKUlT_T0_E_clISt17integral_constantIbLb1EES16_EEDaS11_S12_EUlS11_E_NS1_11comp_targetILNS1_3genE9ELNS1_11target_archE1100ELNS1_3gpuE3ELNS1_3repE0EEENS1_30default_config_static_selectorELNS0_4arch9wavefront6targetE1EEEvT1_,"axG",@progbits,_ZN7rocprim17ROCPRIM_400000_NS6detail17trampoline_kernelINS0_14default_configENS1_25partition_config_selectorILNS1_17partition_subalgoE0EyNS0_10empty_typeEbEEZZNS1_14partition_implILS5_0ELb0ES3_jN6thrust23THRUST_200600_302600_NS6detail15normal_iteratorINSA_10device_ptrIyEEEEPS6_SG_NS0_5tupleIJSF_SF_EEENSH_IJSG_SG_EEES6_PlJ7is_evenIyEEEE10hipError_tPvRmT3_T4_T5_T6_T7_T9_mT8_P12ihipStream_tbDpT10_ENKUlT_T0_E_clISt17integral_constantIbLb1EES16_EEDaS11_S12_EUlS11_E_NS1_11comp_targetILNS1_3genE9ELNS1_11target_archE1100ELNS1_3gpuE3ELNS1_3repE0EEENS1_30default_config_static_selectorELNS0_4arch9wavefront6targetE1EEEvT1_,comdat
.Lfunc_end2118:
	.size	_ZN7rocprim17ROCPRIM_400000_NS6detail17trampoline_kernelINS0_14default_configENS1_25partition_config_selectorILNS1_17partition_subalgoE0EyNS0_10empty_typeEbEEZZNS1_14partition_implILS5_0ELb0ES3_jN6thrust23THRUST_200600_302600_NS6detail15normal_iteratorINSA_10device_ptrIyEEEEPS6_SG_NS0_5tupleIJSF_SF_EEENSH_IJSG_SG_EEES6_PlJ7is_evenIyEEEE10hipError_tPvRmT3_T4_T5_T6_T7_T9_mT8_P12ihipStream_tbDpT10_ENKUlT_T0_E_clISt17integral_constantIbLb1EES16_EEDaS11_S12_EUlS11_E_NS1_11comp_targetILNS1_3genE9ELNS1_11target_archE1100ELNS1_3gpuE3ELNS1_3repE0EEENS1_30default_config_static_selectorELNS0_4arch9wavefront6targetE1EEEvT1_, .Lfunc_end2118-_ZN7rocprim17ROCPRIM_400000_NS6detail17trampoline_kernelINS0_14default_configENS1_25partition_config_selectorILNS1_17partition_subalgoE0EyNS0_10empty_typeEbEEZZNS1_14partition_implILS5_0ELb0ES3_jN6thrust23THRUST_200600_302600_NS6detail15normal_iteratorINSA_10device_ptrIyEEEEPS6_SG_NS0_5tupleIJSF_SF_EEENSH_IJSG_SG_EEES6_PlJ7is_evenIyEEEE10hipError_tPvRmT3_T4_T5_T6_T7_T9_mT8_P12ihipStream_tbDpT10_ENKUlT_T0_E_clISt17integral_constantIbLb1EES16_EEDaS11_S12_EUlS11_E_NS1_11comp_targetILNS1_3genE9ELNS1_11target_archE1100ELNS1_3gpuE3ELNS1_3repE0EEENS1_30default_config_static_selectorELNS0_4arch9wavefront6targetE1EEEvT1_
                                        ; -- End function
	.section	.AMDGPU.csdata,"",@progbits
; Kernel info:
; codeLenInByte = 0
; NumSgprs: 6
; NumVgprs: 0
; NumAgprs: 0
; TotalNumVgprs: 0
; ScratchSize: 0
; MemoryBound: 0
; FloatMode: 240
; IeeeMode: 1
; LDSByteSize: 0 bytes/workgroup (compile time only)
; SGPRBlocks: 0
; VGPRBlocks: 0
; NumSGPRsForWavesPerEU: 6
; NumVGPRsForWavesPerEU: 1
; AccumOffset: 4
; Occupancy: 8
; WaveLimiterHint : 0
; COMPUTE_PGM_RSRC2:SCRATCH_EN: 0
; COMPUTE_PGM_RSRC2:USER_SGPR: 2
; COMPUTE_PGM_RSRC2:TRAP_HANDLER: 0
; COMPUTE_PGM_RSRC2:TGID_X_EN: 1
; COMPUTE_PGM_RSRC2:TGID_Y_EN: 0
; COMPUTE_PGM_RSRC2:TGID_Z_EN: 0
; COMPUTE_PGM_RSRC2:TIDIG_COMP_CNT: 0
; COMPUTE_PGM_RSRC3_GFX90A:ACCUM_OFFSET: 0
; COMPUTE_PGM_RSRC3_GFX90A:TG_SPLIT: 0
	.section	.text._ZN7rocprim17ROCPRIM_400000_NS6detail17trampoline_kernelINS0_14default_configENS1_25partition_config_selectorILNS1_17partition_subalgoE0EyNS0_10empty_typeEbEEZZNS1_14partition_implILS5_0ELb0ES3_jN6thrust23THRUST_200600_302600_NS6detail15normal_iteratorINSA_10device_ptrIyEEEEPS6_SG_NS0_5tupleIJSF_SF_EEENSH_IJSG_SG_EEES6_PlJ7is_evenIyEEEE10hipError_tPvRmT3_T4_T5_T6_T7_T9_mT8_P12ihipStream_tbDpT10_ENKUlT_T0_E_clISt17integral_constantIbLb1EES16_EEDaS11_S12_EUlS11_E_NS1_11comp_targetILNS1_3genE8ELNS1_11target_archE1030ELNS1_3gpuE2ELNS1_3repE0EEENS1_30default_config_static_selectorELNS0_4arch9wavefront6targetE1EEEvT1_,"axG",@progbits,_ZN7rocprim17ROCPRIM_400000_NS6detail17trampoline_kernelINS0_14default_configENS1_25partition_config_selectorILNS1_17partition_subalgoE0EyNS0_10empty_typeEbEEZZNS1_14partition_implILS5_0ELb0ES3_jN6thrust23THRUST_200600_302600_NS6detail15normal_iteratorINSA_10device_ptrIyEEEEPS6_SG_NS0_5tupleIJSF_SF_EEENSH_IJSG_SG_EEES6_PlJ7is_evenIyEEEE10hipError_tPvRmT3_T4_T5_T6_T7_T9_mT8_P12ihipStream_tbDpT10_ENKUlT_T0_E_clISt17integral_constantIbLb1EES16_EEDaS11_S12_EUlS11_E_NS1_11comp_targetILNS1_3genE8ELNS1_11target_archE1030ELNS1_3gpuE2ELNS1_3repE0EEENS1_30default_config_static_selectorELNS0_4arch9wavefront6targetE1EEEvT1_,comdat
	.protected	_ZN7rocprim17ROCPRIM_400000_NS6detail17trampoline_kernelINS0_14default_configENS1_25partition_config_selectorILNS1_17partition_subalgoE0EyNS0_10empty_typeEbEEZZNS1_14partition_implILS5_0ELb0ES3_jN6thrust23THRUST_200600_302600_NS6detail15normal_iteratorINSA_10device_ptrIyEEEEPS6_SG_NS0_5tupleIJSF_SF_EEENSH_IJSG_SG_EEES6_PlJ7is_evenIyEEEE10hipError_tPvRmT3_T4_T5_T6_T7_T9_mT8_P12ihipStream_tbDpT10_ENKUlT_T0_E_clISt17integral_constantIbLb1EES16_EEDaS11_S12_EUlS11_E_NS1_11comp_targetILNS1_3genE8ELNS1_11target_archE1030ELNS1_3gpuE2ELNS1_3repE0EEENS1_30default_config_static_selectorELNS0_4arch9wavefront6targetE1EEEvT1_ ; -- Begin function _ZN7rocprim17ROCPRIM_400000_NS6detail17trampoline_kernelINS0_14default_configENS1_25partition_config_selectorILNS1_17partition_subalgoE0EyNS0_10empty_typeEbEEZZNS1_14partition_implILS5_0ELb0ES3_jN6thrust23THRUST_200600_302600_NS6detail15normal_iteratorINSA_10device_ptrIyEEEEPS6_SG_NS0_5tupleIJSF_SF_EEENSH_IJSG_SG_EEES6_PlJ7is_evenIyEEEE10hipError_tPvRmT3_T4_T5_T6_T7_T9_mT8_P12ihipStream_tbDpT10_ENKUlT_T0_E_clISt17integral_constantIbLb1EES16_EEDaS11_S12_EUlS11_E_NS1_11comp_targetILNS1_3genE8ELNS1_11target_archE1030ELNS1_3gpuE2ELNS1_3repE0EEENS1_30default_config_static_selectorELNS0_4arch9wavefront6targetE1EEEvT1_
	.globl	_ZN7rocprim17ROCPRIM_400000_NS6detail17trampoline_kernelINS0_14default_configENS1_25partition_config_selectorILNS1_17partition_subalgoE0EyNS0_10empty_typeEbEEZZNS1_14partition_implILS5_0ELb0ES3_jN6thrust23THRUST_200600_302600_NS6detail15normal_iteratorINSA_10device_ptrIyEEEEPS6_SG_NS0_5tupleIJSF_SF_EEENSH_IJSG_SG_EEES6_PlJ7is_evenIyEEEE10hipError_tPvRmT3_T4_T5_T6_T7_T9_mT8_P12ihipStream_tbDpT10_ENKUlT_T0_E_clISt17integral_constantIbLb1EES16_EEDaS11_S12_EUlS11_E_NS1_11comp_targetILNS1_3genE8ELNS1_11target_archE1030ELNS1_3gpuE2ELNS1_3repE0EEENS1_30default_config_static_selectorELNS0_4arch9wavefront6targetE1EEEvT1_
	.p2align	8
	.type	_ZN7rocprim17ROCPRIM_400000_NS6detail17trampoline_kernelINS0_14default_configENS1_25partition_config_selectorILNS1_17partition_subalgoE0EyNS0_10empty_typeEbEEZZNS1_14partition_implILS5_0ELb0ES3_jN6thrust23THRUST_200600_302600_NS6detail15normal_iteratorINSA_10device_ptrIyEEEEPS6_SG_NS0_5tupleIJSF_SF_EEENSH_IJSG_SG_EEES6_PlJ7is_evenIyEEEE10hipError_tPvRmT3_T4_T5_T6_T7_T9_mT8_P12ihipStream_tbDpT10_ENKUlT_T0_E_clISt17integral_constantIbLb1EES16_EEDaS11_S12_EUlS11_E_NS1_11comp_targetILNS1_3genE8ELNS1_11target_archE1030ELNS1_3gpuE2ELNS1_3repE0EEENS1_30default_config_static_selectorELNS0_4arch9wavefront6targetE1EEEvT1_,@function
_ZN7rocprim17ROCPRIM_400000_NS6detail17trampoline_kernelINS0_14default_configENS1_25partition_config_selectorILNS1_17partition_subalgoE0EyNS0_10empty_typeEbEEZZNS1_14partition_implILS5_0ELb0ES3_jN6thrust23THRUST_200600_302600_NS6detail15normal_iteratorINSA_10device_ptrIyEEEEPS6_SG_NS0_5tupleIJSF_SF_EEENSH_IJSG_SG_EEES6_PlJ7is_evenIyEEEE10hipError_tPvRmT3_T4_T5_T6_T7_T9_mT8_P12ihipStream_tbDpT10_ENKUlT_T0_E_clISt17integral_constantIbLb1EES16_EEDaS11_S12_EUlS11_E_NS1_11comp_targetILNS1_3genE8ELNS1_11target_archE1030ELNS1_3gpuE2ELNS1_3repE0EEENS1_30default_config_static_selectorELNS0_4arch9wavefront6targetE1EEEvT1_: ; @_ZN7rocprim17ROCPRIM_400000_NS6detail17trampoline_kernelINS0_14default_configENS1_25partition_config_selectorILNS1_17partition_subalgoE0EyNS0_10empty_typeEbEEZZNS1_14partition_implILS5_0ELb0ES3_jN6thrust23THRUST_200600_302600_NS6detail15normal_iteratorINSA_10device_ptrIyEEEEPS6_SG_NS0_5tupleIJSF_SF_EEENSH_IJSG_SG_EEES6_PlJ7is_evenIyEEEE10hipError_tPvRmT3_T4_T5_T6_T7_T9_mT8_P12ihipStream_tbDpT10_ENKUlT_T0_E_clISt17integral_constantIbLb1EES16_EEDaS11_S12_EUlS11_E_NS1_11comp_targetILNS1_3genE8ELNS1_11target_archE1030ELNS1_3gpuE2ELNS1_3repE0EEENS1_30default_config_static_selectorELNS0_4arch9wavefront6targetE1EEEvT1_
; %bb.0:
	.section	.rodata,"a",@progbits
	.p2align	6, 0x0
	.amdhsa_kernel _ZN7rocprim17ROCPRIM_400000_NS6detail17trampoline_kernelINS0_14default_configENS1_25partition_config_selectorILNS1_17partition_subalgoE0EyNS0_10empty_typeEbEEZZNS1_14partition_implILS5_0ELb0ES3_jN6thrust23THRUST_200600_302600_NS6detail15normal_iteratorINSA_10device_ptrIyEEEEPS6_SG_NS0_5tupleIJSF_SF_EEENSH_IJSG_SG_EEES6_PlJ7is_evenIyEEEE10hipError_tPvRmT3_T4_T5_T6_T7_T9_mT8_P12ihipStream_tbDpT10_ENKUlT_T0_E_clISt17integral_constantIbLb1EES16_EEDaS11_S12_EUlS11_E_NS1_11comp_targetILNS1_3genE8ELNS1_11target_archE1030ELNS1_3gpuE2ELNS1_3repE0EEENS1_30default_config_static_selectorELNS0_4arch9wavefront6targetE1EEEvT1_
		.amdhsa_group_segment_fixed_size 0
		.amdhsa_private_segment_fixed_size 0
		.amdhsa_kernarg_size 136
		.amdhsa_user_sgpr_count 2
		.amdhsa_user_sgpr_dispatch_ptr 0
		.amdhsa_user_sgpr_queue_ptr 0
		.amdhsa_user_sgpr_kernarg_segment_ptr 1
		.amdhsa_user_sgpr_dispatch_id 0
		.amdhsa_user_sgpr_kernarg_preload_length 0
		.amdhsa_user_sgpr_kernarg_preload_offset 0
		.amdhsa_user_sgpr_private_segment_size 0
		.amdhsa_uses_dynamic_stack 0
		.amdhsa_enable_private_segment 0
		.amdhsa_system_sgpr_workgroup_id_x 1
		.amdhsa_system_sgpr_workgroup_id_y 0
		.amdhsa_system_sgpr_workgroup_id_z 0
		.amdhsa_system_sgpr_workgroup_info 0
		.amdhsa_system_vgpr_workitem_id 0
		.amdhsa_next_free_vgpr 1
		.amdhsa_next_free_sgpr 0
		.amdhsa_accum_offset 4
		.amdhsa_reserve_vcc 0
		.amdhsa_float_round_mode_32 0
		.amdhsa_float_round_mode_16_64 0
		.amdhsa_float_denorm_mode_32 3
		.amdhsa_float_denorm_mode_16_64 3
		.amdhsa_dx10_clamp 1
		.amdhsa_ieee_mode 1
		.amdhsa_fp16_overflow 0
		.amdhsa_tg_split 0
		.amdhsa_exception_fp_ieee_invalid_op 0
		.amdhsa_exception_fp_denorm_src 0
		.amdhsa_exception_fp_ieee_div_zero 0
		.amdhsa_exception_fp_ieee_overflow 0
		.amdhsa_exception_fp_ieee_underflow 0
		.amdhsa_exception_fp_ieee_inexact 0
		.amdhsa_exception_int_div_zero 0
	.end_amdhsa_kernel
	.section	.text._ZN7rocprim17ROCPRIM_400000_NS6detail17trampoline_kernelINS0_14default_configENS1_25partition_config_selectorILNS1_17partition_subalgoE0EyNS0_10empty_typeEbEEZZNS1_14partition_implILS5_0ELb0ES3_jN6thrust23THRUST_200600_302600_NS6detail15normal_iteratorINSA_10device_ptrIyEEEEPS6_SG_NS0_5tupleIJSF_SF_EEENSH_IJSG_SG_EEES6_PlJ7is_evenIyEEEE10hipError_tPvRmT3_T4_T5_T6_T7_T9_mT8_P12ihipStream_tbDpT10_ENKUlT_T0_E_clISt17integral_constantIbLb1EES16_EEDaS11_S12_EUlS11_E_NS1_11comp_targetILNS1_3genE8ELNS1_11target_archE1030ELNS1_3gpuE2ELNS1_3repE0EEENS1_30default_config_static_selectorELNS0_4arch9wavefront6targetE1EEEvT1_,"axG",@progbits,_ZN7rocprim17ROCPRIM_400000_NS6detail17trampoline_kernelINS0_14default_configENS1_25partition_config_selectorILNS1_17partition_subalgoE0EyNS0_10empty_typeEbEEZZNS1_14partition_implILS5_0ELb0ES3_jN6thrust23THRUST_200600_302600_NS6detail15normal_iteratorINSA_10device_ptrIyEEEEPS6_SG_NS0_5tupleIJSF_SF_EEENSH_IJSG_SG_EEES6_PlJ7is_evenIyEEEE10hipError_tPvRmT3_T4_T5_T6_T7_T9_mT8_P12ihipStream_tbDpT10_ENKUlT_T0_E_clISt17integral_constantIbLb1EES16_EEDaS11_S12_EUlS11_E_NS1_11comp_targetILNS1_3genE8ELNS1_11target_archE1030ELNS1_3gpuE2ELNS1_3repE0EEENS1_30default_config_static_selectorELNS0_4arch9wavefront6targetE1EEEvT1_,comdat
.Lfunc_end2119:
	.size	_ZN7rocprim17ROCPRIM_400000_NS6detail17trampoline_kernelINS0_14default_configENS1_25partition_config_selectorILNS1_17partition_subalgoE0EyNS0_10empty_typeEbEEZZNS1_14partition_implILS5_0ELb0ES3_jN6thrust23THRUST_200600_302600_NS6detail15normal_iteratorINSA_10device_ptrIyEEEEPS6_SG_NS0_5tupleIJSF_SF_EEENSH_IJSG_SG_EEES6_PlJ7is_evenIyEEEE10hipError_tPvRmT3_T4_T5_T6_T7_T9_mT8_P12ihipStream_tbDpT10_ENKUlT_T0_E_clISt17integral_constantIbLb1EES16_EEDaS11_S12_EUlS11_E_NS1_11comp_targetILNS1_3genE8ELNS1_11target_archE1030ELNS1_3gpuE2ELNS1_3repE0EEENS1_30default_config_static_selectorELNS0_4arch9wavefront6targetE1EEEvT1_, .Lfunc_end2119-_ZN7rocprim17ROCPRIM_400000_NS6detail17trampoline_kernelINS0_14default_configENS1_25partition_config_selectorILNS1_17partition_subalgoE0EyNS0_10empty_typeEbEEZZNS1_14partition_implILS5_0ELb0ES3_jN6thrust23THRUST_200600_302600_NS6detail15normal_iteratorINSA_10device_ptrIyEEEEPS6_SG_NS0_5tupleIJSF_SF_EEENSH_IJSG_SG_EEES6_PlJ7is_evenIyEEEE10hipError_tPvRmT3_T4_T5_T6_T7_T9_mT8_P12ihipStream_tbDpT10_ENKUlT_T0_E_clISt17integral_constantIbLb1EES16_EEDaS11_S12_EUlS11_E_NS1_11comp_targetILNS1_3genE8ELNS1_11target_archE1030ELNS1_3gpuE2ELNS1_3repE0EEENS1_30default_config_static_selectorELNS0_4arch9wavefront6targetE1EEEvT1_
                                        ; -- End function
	.section	.AMDGPU.csdata,"",@progbits
; Kernel info:
; codeLenInByte = 0
; NumSgprs: 6
; NumVgprs: 0
; NumAgprs: 0
; TotalNumVgprs: 0
; ScratchSize: 0
; MemoryBound: 0
; FloatMode: 240
; IeeeMode: 1
; LDSByteSize: 0 bytes/workgroup (compile time only)
; SGPRBlocks: 0
; VGPRBlocks: 0
; NumSGPRsForWavesPerEU: 6
; NumVGPRsForWavesPerEU: 1
; AccumOffset: 4
; Occupancy: 8
; WaveLimiterHint : 0
; COMPUTE_PGM_RSRC2:SCRATCH_EN: 0
; COMPUTE_PGM_RSRC2:USER_SGPR: 2
; COMPUTE_PGM_RSRC2:TRAP_HANDLER: 0
; COMPUTE_PGM_RSRC2:TGID_X_EN: 1
; COMPUTE_PGM_RSRC2:TGID_Y_EN: 0
; COMPUTE_PGM_RSRC2:TGID_Z_EN: 0
; COMPUTE_PGM_RSRC2:TIDIG_COMP_CNT: 0
; COMPUTE_PGM_RSRC3_GFX90A:ACCUM_OFFSET: 0
; COMPUTE_PGM_RSRC3_GFX90A:TG_SPLIT: 0
	.section	.text._ZN7rocprim17ROCPRIM_400000_NS6detail17trampoline_kernelINS0_14default_configENS1_25partition_config_selectorILNS1_17partition_subalgoE0EyNS0_10empty_typeEbEEZZNS1_14partition_implILS5_0ELb0ES3_jN6thrust23THRUST_200600_302600_NS6detail15normal_iteratorINSA_10device_ptrIyEEEEPS6_SG_NS0_5tupleIJSF_SF_EEENSH_IJSG_SG_EEES6_PlJ7is_evenIyEEEE10hipError_tPvRmT3_T4_T5_T6_T7_T9_mT8_P12ihipStream_tbDpT10_ENKUlT_T0_E_clISt17integral_constantIbLb1EES15_IbLb0EEEEDaS11_S12_EUlS11_E_NS1_11comp_targetILNS1_3genE0ELNS1_11target_archE4294967295ELNS1_3gpuE0ELNS1_3repE0EEENS1_30default_config_static_selectorELNS0_4arch9wavefront6targetE1EEEvT1_,"axG",@progbits,_ZN7rocprim17ROCPRIM_400000_NS6detail17trampoline_kernelINS0_14default_configENS1_25partition_config_selectorILNS1_17partition_subalgoE0EyNS0_10empty_typeEbEEZZNS1_14partition_implILS5_0ELb0ES3_jN6thrust23THRUST_200600_302600_NS6detail15normal_iteratorINSA_10device_ptrIyEEEEPS6_SG_NS0_5tupleIJSF_SF_EEENSH_IJSG_SG_EEES6_PlJ7is_evenIyEEEE10hipError_tPvRmT3_T4_T5_T6_T7_T9_mT8_P12ihipStream_tbDpT10_ENKUlT_T0_E_clISt17integral_constantIbLb1EES15_IbLb0EEEEDaS11_S12_EUlS11_E_NS1_11comp_targetILNS1_3genE0ELNS1_11target_archE4294967295ELNS1_3gpuE0ELNS1_3repE0EEENS1_30default_config_static_selectorELNS0_4arch9wavefront6targetE1EEEvT1_,comdat
	.protected	_ZN7rocprim17ROCPRIM_400000_NS6detail17trampoline_kernelINS0_14default_configENS1_25partition_config_selectorILNS1_17partition_subalgoE0EyNS0_10empty_typeEbEEZZNS1_14partition_implILS5_0ELb0ES3_jN6thrust23THRUST_200600_302600_NS6detail15normal_iteratorINSA_10device_ptrIyEEEEPS6_SG_NS0_5tupleIJSF_SF_EEENSH_IJSG_SG_EEES6_PlJ7is_evenIyEEEE10hipError_tPvRmT3_T4_T5_T6_T7_T9_mT8_P12ihipStream_tbDpT10_ENKUlT_T0_E_clISt17integral_constantIbLb1EES15_IbLb0EEEEDaS11_S12_EUlS11_E_NS1_11comp_targetILNS1_3genE0ELNS1_11target_archE4294967295ELNS1_3gpuE0ELNS1_3repE0EEENS1_30default_config_static_selectorELNS0_4arch9wavefront6targetE1EEEvT1_ ; -- Begin function _ZN7rocprim17ROCPRIM_400000_NS6detail17trampoline_kernelINS0_14default_configENS1_25partition_config_selectorILNS1_17partition_subalgoE0EyNS0_10empty_typeEbEEZZNS1_14partition_implILS5_0ELb0ES3_jN6thrust23THRUST_200600_302600_NS6detail15normal_iteratorINSA_10device_ptrIyEEEEPS6_SG_NS0_5tupleIJSF_SF_EEENSH_IJSG_SG_EEES6_PlJ7is_evenIyEEEE10hipError_tPvRmT3_T4_T5_T6_T7_T9_mT8_P12ihipStream_tbDpT10_ENKUlT_T0_E_clISt17integral_constantIbLb1EES15_IbLb0EEEEDaS11_S12_EUlS11_E_NS1_11comp_targetILNS1_3genE0ELNS1_11target_archE4294967295ELNS1_3gpuE0ELNS1_3repE0EEENS1_30default_config_static_selectorELNS0_4arch9wavefront6targetE1EEEvT1_
	.globl	_ZN7rocprim17ROCPRIM_400000_NS6detail17trampoline_kernelINS0_14default_configENS1_25partition_config_selectorILNS1_17partition_subalgoE0EyNS0_10empty_typeEbEEZZNS1_14partition_implILS5_0ELb0ES3_jN6thrust23THRUST_200600_302600_NS6detail15normal_iteratorINSA_10device_ptrIyEEEEPS6_SG_NS0_5tupleIJSF_SF_EEENSH_IJSG_SG_EEES6_PlJ7is_evenIyEEEE10hipError_tPvRmT3_T4_T5_T6_T7_T9_mT8_P12ihipStream_tbDpT10_ENKUlT_T0_E_clISt17integral_constantIbLb1EES15_IbLb0EEEEDaS11_S12_EUlS11_E_NS1_11comp_targetILNS1_3genE0ELNS1_11target_archE4294967295ELNS1_3gpuE0ELNS1_3repE0EEENS1_30default_config_static_selectorELNS0_4arch9wavefront6targetE1EEEvT1_
	.p2align	8
	.type	_ZN7rocprim17ROCPRIM_400000_NS6detail17trampoline_kernelINS0_14default_configENS1_25partition_config_selectorILNS1_17partition_subalgoE0EyNS0_10empty_typeEbEEZZNS1_14partition_implILS5_0ELb0ES3_jN6thrust23THRUST_200600_302600_NS6detail15normal_iteratorINSA_10device_ptrIyEEEEPS6_SG_NS0_5tupleIJSF_SF_EEENSH_IJSG_SG_EEES6_PlJ7is_evenIyEEEE10hipError_tPvRmT3_T4_T5_T6_T7_T9_mT8_P12ihipStream_tbDpT10_ENKUlT_T0_E_clISt17integral_constantIbLb1EES15_IbLb0EEEEDaS11_S12_EUlS11_E_NS1_11comp_targetILNS1_3genE0ELNS1_11target_archE4294967295ELNS1_3gpuE0ELNS1_3repE0EEENS1_30default_config_static_selectorELNS0_4arch9wavefront6targetE1EEEvT1_,@function
_ZN7rocprim17ROCPRIM_400000_NS6detail17trampoline_kernelINS0_14default_configENS1_25partition_config_selectorILNS1_17partition_subalgoE0EyNS0_10empty_typeEbEEZZNS1_14partition_implILS5_0ELb0ES3_jN6thrust23THRUST_200600_302600_NS6detail15normal_iteratorINSA_10device_ptrIyEEEEPS6_SG_NS0_5tupleIJSF_SF_EEENSH_IJSG_SG_EEES6_PlJ7is_evenIyEEEE10hipError_tPvRmT3_T4_T5_T6_T7_T9_mT8_P12ihipStream_tbDpT10_ENKUlT_T0_E_clISt17integral_constantIbLb1EES15_IbLb0EEEEDaS11_S12_EUlS11_E_NS1_11comp_targetILNS1_3genE0ELNS1_11target_archE4294967295ELNS1_3gpuE0ELNS1_3repE0EEENS1_30default_config_static_selectorELNS0_4arch9wavefront6targetE1EEEvT1_: ; @_ZN7rocprim17ROCPRIM_400000_NS6detail17trampoline_kernelINS0_14default_configENS1_25partition_config_selectorILNS1_17partition_subalgoE0EyNS0_10empty_typeEbEEZZNS1_14partition_implILS5_0ELb0ES3_jN6thrust23THRUST_200600_302600_NS6detail15normal_iteratorINSA_10device_ptrIyEEEEPS6_SG_NS0_5tupleIJSF_SF_EEENSH_IJSG_SG_EEES6_PlJ7is_evenIyEEEE10hipError_tPvRmT3_T4_T5_T6_T7_T9_mT8_P12ihipStream_tbDpT10_ENKUlT_T0_E_clISt17integral_constantIbLb1EES15_IbLb0EEEEDaS11_S12_EUlS11_E_NS1_11comp_targetILNS1_3genE0ELNS1_11target_archE4294967295ELNS1_3gpuE0ELNS1_3repE0EEENS1_30default_config_static_selectorELNS0_4arch9wavefront6targetE1EEEvT1_
; %bb.0:
	.section	.rodata,"a",@progbits
	.p2align	6, 0x0
	.amdhsa_kernel _ZN7rocprim17ROCPRIM_400000_NS6detail17trampoline_kernelINS0_14default_configENS1_25partition_config_selectorILNS1_17partition_subalgoE0EyNS0_10empty_typeEbEEZZNS1_14partition_implILS5_0ELb0ES3_jN6thrust23THRUST_200600_302600_NS6detail15normal_iteratorINSA_10device_ptrIyEEEEPS6_SG_NS0_5tupleIJSF_SF_EEENSH_IJSG_SG_EEES6_PlJ7is_evenIyEEEE10hipError_tPvRmT3_T4_T5_T6_T7_T9_mT8_P12ihipStream_tbDpT10_ENKUlT_T0_E_clISt17integral_constantIbLb1EES15_IbLb0EEEEDaS11_S12_EUlS11_E_NS1_11comp_targetILNS1_3genE0ELNS1_11target_archE4294967295ELNS1_3gpuE0ELNS1_3repE0EEENS1_30default_config_static_selectorELNS0_4arch9wavefront6targetE1EEEvT1_
		.amdhsa_group_segment_fixed_size 0
		.amdhsa_private_segment_fixed_size 0
		.amdhsa_kernarg_size 120
		.amdhsa_user_sgpr_count 2
		.amdhsa_user_sgpr_dispatch_ptr 0
		.amdhsa_user_sgpr_queue_ptr 0
		.amdhsa_user_sgpr_kernarg_segment_ptr 1
		.amdhsa_user_sgpr_dispatch_id 0
		.amdhsa_user_sgpr_kernarg_preload_length 0
		.amdhsa_user_sgpr_kernarg_preload_offset 0
		.amdhsa_user_sgpr_private_segment_size 0
		.amdhsa_uses_dynamic_stack 0
		.amdhsa_enable_private_segment 0
		.amdhsa_system_sgpr_workgroup_id_x 1
		.amdhsa_system_sgpr_workgroup_id_y 0
		.amdhsa_system_sgpr_workgroup_id_z 0
		.amdhsa_system_sgpr_workgroup_info 0
		.amdhsa_system_vgpr_workitem_id 0
		.amdhsa_next_free_vgpr 1
		.amdhsa_next_free_sgpr 0
		.amdhsa_accum_offset 4
		.amdhsa_reserve_vcc 0
		.amdhsa_float_round_mode_32 0
		.amdhsa_float_round_mode_16_64 0
		.amdhsa_float_denorm_mode_32 3
		.amdhsa_float_denorm_mode_16_64 3
		.amdhsa_dx10_clamp 1
		.amdhsa_ieee_mode 1
		.amdhsa_fp16_overflow 0
		.amdhsa_tg_split 0
		.amdhsa_exception_fp_ieee_invalid_op 0
		.amdhsa_exception_fp_denorm_src 0
		.amdhsa_exception_fp_ieee_div_zero 0
		.amdhsa_exception_fp_ieee_overflow 0
		.amdhsa_exception_fp_ieee_underflow 0
		.amdhsa_exception_fp_ieee_inexact 0
		.amdhsa_exception_int_div_zero 0
	.end_amdhsa_kernel
	.section	.text._ZN7rocprim17ROCPRIM_400000_NS6detail17trampoline_kernelINS0_14default_configENS1_25partition_config_selectorILNS1_17partition_subalgoE0EyNS0_10empty_typeEbEEZZNS1_14partition_implILS5_0ELb0ES3_jN6thrust23THRUST_200600_302600_NS6detail15normal_iteratorINSA_10device_ptrIyEEEEPS6_SG_NS0_5tupleIJSF_SF_EEENSH_IJSG_SG_EEES6_PlJ7is_evenIyEEEE10hipError_tPvRmT3_T4_T5_T6_T7_T9_mT8_P12ihipStream_tbDpT10_ENKUlT_T0_E_clISt17integral_constantIbLb1EES15_IbLb0EEEEDaS11_S12_EUlS11_E_NS1_11comp_targetILNS1_3genE0ELNS1_11target_archE4294967295ELNS1_3gpuE0ELNS1_3repE0EEENS1_30default_config_static_selectorELNS0_4arch9wavefront6targetE1EEEvT1_,"axG",@progbits,_ZN7rocprim17ROCPRIM_400000_NS6detail17trampoline_kernelINS0_14default_configENS1_25partition_config_selectorILNS1_17partition_subalgoE0EyNS0_10empty_typeEbEEZZNS1_14partition_implILS5_0ELb0ES3_jN6thrust23THRUST_200600_302600_NS6detail15normal_iteratorINSA_10device_ptrIyEEEEPS6_SG_NS0_5tupleIJSF_SF_EEENSH_IJSG_SG_EEES6_PlJ7is_evenIyEEEE10hipError_tPvRmT3_T4_T5_T6_T7_T9_mT8_P12ihipStream_tbDpT10_ENKUlT_T0_E_clISt17integral_constantIbLb1EES15_IbLb0EEEEDaS11_S12_EUlS11_E_NS1_11comp_targetILNS1_3genE0ELNS1_11target_archE4294967295ELNS1_3gpuE0ELNS1_3repE0EEENS1_30default_config_static_selectorELNS0_4arch9wavefront6targetE1EEEvT1_,comdat
.Lfunc_end2120:
	.size	_ZN7rocprim17ROCPRIM_400000_NS6detail17trampoline_kernelINS0_14default_configENS1_25partition_config_selectorILNS1_17partition_subalgoE0EyNS0_10empty_typeEbEEZZNS1_14partition_implILS5_0ELb0ES3_jN6thrust23THRUST_200600_302600_NS6detail15normal_iteratorINSA_10device_ptrIyEEEEPS6_SG_NS0_5tupleIJSF_SF_EEENSH_IJSG_SG_EEES6_PlJ7is_evenIyEEEE10hipError_tPvRmT3_T4_T5_T6_T7_T9_mT8_P12ihipStream_tbDpT10_ENKUlT_T0_E_clISt17integral_constantIbLb1EES15_IbLb0EEEEDaS11_S12_EUlS11_E_NS1_11comp_targetILNS1_3genE0ELNS1_11target_archE4294967295ELNS1_3gpuE0ELNS1_3repE0EEENS1_30default_config_static_selectorELNS0_4arch9wavefront6targetE1EEEvT1_, .Lfunc_end2120-_ZN7rocprim17ROCPRIM_400000_NS6detail17trampoline_kernelINS0_14default_configENS1_25partition_config_selectorILNS1_17partition_subalgoE0EyNS0_10empty_typeEbEEZZNS1_14partition_implILS5_0ELb0ES3_jN6thrust23THRUST_200600_302600_NS6detail15normal_iteratorINSA_10device_ptrIyEEEEPS6_SG_NS0_5tupleIJSF_SF_EEENSH_IJSG_SG_EEES6_PlJ7is_evenIyEEEE10hipError_tPvRmT3_T4_T5_T6_T7_T9_mT8_P12ihipStream_tbDpT10_ENKUlT_T0_E_clISt17integral_constantIbLb1EES15_IbLb0EEEEDaS11_S12_EUlS11_E_NS1_11comp_targetILNS1_3genE0ELNS1_11target_archE4294967295ELNS1_3gpuE0ELNS1_3repE0EEENS1_30default_config_static_selectorELNS0_4arch9wavefront6targetE1EEEvT1_
                                        ; -- End function
	.section	.AMDGPU.csdata,"",@progbits
; Kernel info:
; codeLenInByte = 0
; NumSgprs: 6
; NumVgprs: 0
; NumAgprs: 0
; TotalNumVgprs: 0
; ScratchSize: 0
; MemoryBound: 0
; FloatMode: 240
; IeeeMode: 1
; LDSByteSize: 0 bytes/workgroup (compile time only)
; SGPRBlocks: 0
; VGPRBlocks: 0
; NumSGPRsForWavesPerEU: 6
; NumVGPRsForWavesPerEU: 1
; AccumOffset: 4
; Occupancy: 8
; WaveLimiterHint : 0
; COMPUTE_PGM_RSRC2:SCRATCH_EN: 0
; COMPUTE_PGM_RSRC2:USER_SGPR: 2
; COMPUTE_PGM_RSRC2:TRAP_HANDLER: 0
; COMPUTE_PGM_RSRC2:TGID_X_EN: 1
; COMPUTE_PGM_RSRC2:TGID_Y_EN: 0
; COMPUTE_PGM_RSRC2:TGID_Z_EN: 0
; COMPUTE_PGM_RSRC2:TIDIG_COMP_CNT: 0
; COMPUTE_PGM_RSRC3_GFX90A:ACCUM_OFFSET: 0
; COMPUTE_PGM_RSRC3_GFX90A:TG_SPLIT: 0
	.section	.text._ZN7rocprim17ROCPRIM_400000_NS6detail17trampoline_kernelINS0_14default_configENS1_25partition_config_selectorILNS1_17partition_subalgoE0EyNS0_10empty_typeEbEEZZNS1_14partition_implILS5_0ELb0ES3_jN6thrust23THRUST_200600_302600_NS6detail15normal_iteratorINSA_10device_ptrIyEEEEPS6_SG_NS0_5tupleIJSF_SF_EEENSH_IJSG_SG_EEES6_PlJ7is_evenIyEEEE10hipError_tPvRmT3_T4_T5_T6_T7_T9_mT8_P12ihipStream_tbDpT10_ENKUlT_T0_E_clISt17integral_constantIbLb1EES15_IbLb0EEEEDaS11_S12_EUlS11_E_NS1_11comp_targetILNS1_3genE5ELNS1_11target_archE942ELNS1_3gpuE9ELNS1_3repE0EEENS1_30default_config_static_selectorELNS0_4arch9wavefront6targetE1EEEvT1_,"axG",@progbits,_ZN7rocprim17ROCPRIM_400000_NS6detail17trampoline_kernelINS0_14default_configENS1_25partition_config_selectorILNS1_17partition_subalgoE0EyNS0_10empty_typeEbEEZZNS1_14partition_implILS5_0ELb0ES3_jN6thrust23THRUST_200600_302600_NS6detail15normal_iteratorINSA_10device_ptrIyEEEEPS6_SG_NS0_5tupleIJSF_SF_EEENSH_IJSG_SG_EEES6_PlJ7is_evenIyEEEE10hipError_tPvRmT3_T4_T5_T6_T7_T9_mT8_P12ihipStream_tbDpT10_ENKUlT_T0_E_clISt17integral_constantIbLb1EES15_IbLb0EEEEDaS11_S12_EUlS11_E_NS1_11comp_targetILNS1_3genE5ELNS1_11target_archE942ELNS1_3gpuE9ELNS1_3repE0EEENS1_30default_config_static_selectorELNS0_4arch9wavefront6targetE1EEEvT1_,comdat
	.protected	_ZN7rocprim17ROCPRIM_400000_NS6detail17trampoline_kernelINS0_14default_configENS1_25partition_config_selectorILNS1_17partition_subalgoE0EyNS0_10empty_typeEbEEZZNS1_14partition_implILS5_0ELb0ES3_jN6thrust23THRUST_200600_302600_NS6detail15normal_iteratorINSA_10device_ptrIyEEEEPS6_SG_NS0_5tupleIJSF_SF_EEENSH_IJSG_SG_EEES6_PlJ7is_evenIyEEEE10hipError_tPvRmT3_T4_T5_T6_T7_T9_mT8_P12ihipStream_tbDpT10_ENKUlT_T0_E_clISt17integral_constantIbLb1EES15_IbLb0EEEEDaS11_S12_EUlS11_E_NS1_11comp_targetILNS1_3genE5ELNS1_11target_archE942ELNS1_3gpuE9ELNS1_3repE0EEENS1_30default_config_static_selectorELNS0_4arch9wavefront6targetE1EEEvT1_ ; -- Begin function _ZN7rocprim17ROCPRIM_400000_NS6detail17trampoline_kernelINS0_14default_configENS1_25partition_config_selectorILNS1_17partition_subalgoE0EyNS0_10empty_typeEbEEZZNS1_14partition_implILS5_0ELb0ES3_jN6thrust23THRUST_200600_302600_NS6detail15normal_iteratorINSA_10device_ptrIyEEEEPS6_SG_NS0_5tupleIJSF_SF_EEENSH_IJSG_SG_EEES6_PlJ7is_evenIyEEEE10hipError_tPvRmT3_T4_T5_T6_T7_T9_mT8_P12ihipStream_tbDpT10_ENKUlT_T0_E_clISt17integral_constantIbLb1EES15_IbLb0EEEEDaS11_S12_EUlS11_E_NS1_11comp_targetILNS1_3genE5ELNS1_11target_archE942ELNS1_3gpuE9ELNS1_3repE0EEENS1_30default_config_static_selectorELNS0_4arch9wavefront6targetE1EEEvT1_
	.globl	_ZN7rocprim17ROCPRIM_400000_NS6detail17trampoline_kernelINS0_14default_configENS1_25partition_config_selectorILNS1_17partition_subalgoE0EyNS0_10empty_typeEbEEZZNS1_14partition_implILS5_0ELb0ES3_jN6thrust23THRUST_200600_302600_NS6detail15normal_iteratorINSA_10device_ptrIyEEEEPS6_SG_NS0_5tupleIJSF_SF_EEENSH_IJSG_SG_EEES6_PlJ7is_evenIyEEEE10hipError_tPvRmT3_T4_T5_T6_T7_T9_mT8_P12ihipStream_tbDpT10_ENKUlT_T0_E_clISt17integral_constantIbLb1EES15_IbLb0EEEEDaS11_S12_EUlS11_E_NS1_11comp_targetILNS1_3genE5ELNS1_11target_archE942ELNS1_3gpuE9ELNS1_3repE0EEENS1_30default_config_static_selectorELNS0_4arch9wavefront6targetE1EEEvT1_
	.p2align	8
	.type	_ZN7rocprim17ROCPRIM_400000_NS6detail17trampoline_kernelINS0_14default_configENS1_25partition_config_selectorILNS1_17partition_subalgoE0EyNS0_10empty_typeEbEEZZNS1_14partition_implILS5_0ELb0ES3_jN6thrust23THRUST_200600_302600_NS6detail15normal_iteratorINSA_10device_ptrIyEEEEPS6_SG_NS0_5tupleIJSF_SF_EEENSH_IJSG_SG_EEES6_PlJ7is_evenIyEEEE10hipError_tPvRmT3_T4_T5_T6_T7_T9_mT8_P12ihipStream_tbDpT10_ENKUlT_T0_E_clISt17integral_constantIbLb1EES15_IbLb0EEEEDaS11_S12_EUlS11_E_NS1_11comp_targetILNS1_3genE5ELNS1_11target_archE942ELNS1_3gpuE9ELNS1_3repE0EEENS1_30default_config_static_selectorELNS0_4arch9wavefront6targetE1EEEvT1_,@function
_ZN7rocprim17ROCPRIM_400000_NS6detail17trampoline_kernelINS0_14default_configENS1_25partition_config_selectorILNS1_17partition_subalgoE0EyNS0_10empty_typeEbEEZZNS1_14partition_implILS5_0ELb0ES3_jN6thrust23THRUST_200600_302600_NS6detail15normal_iteratorINSA_10device_ptrIyEEEEPS6_SG_NS0_5tupleIJSF_SF_EEENSH_IJSG_SG_EEES6_PlJ7is_evenIyEEEE10hipError_tPvRmT3_T4_T5_T6_T7_T9_mT8_P12ihipStream_tbDpT10_ENKUlT_T0_E_clISt17integral_constantIbLb1EES15_IbLb0EEEEDaS11_S12_EUlS11_E_NS1_11comp_targetILNS1_3genE5ELNS1_11target_archE942ELNS1_3gpuE9ELNS1_3repE0EEENS1_30default_config_static_selectorELNS0_4arch9wavefront6targetE1EEEvT1_: ; @_ZN7rocprim17ROCPRIM_400000_NS6detail17trampoline_kernelINS0_14default_configENS1_25partition_config_selectorILNS1_17partition_subalgoE0EyNS0_10empty_typeEbEEZZNS1_14partition_implILS5_0ELb0ES3_jN6thrust23THRUST_200600_302600_NS6detail15normal_iteratorINSA_10device_ptrIyEEEEPS6_SG_NS0_5tupleIJSF_SF_EEENSH_IJSG_SG_EEES6_PlJ7is_evenIyEEEE10hipError_tPvRmT3_T4_T5_T6_T7_T9_mT8_P12ihipStream_tbDpT10_ENKUlT_T0_E_clISt17integral_constantIbLb1EES15_IbLb0EEEEDaS11_S12_EUlS11_E_NS1_11comp_targetILNS1_3genE5ELNS1_11target_archE942ELNS1_3gpuE9ELNS1_3repE0EEENS1_30default_config_static_selectorELNS0_4arch9wavefront6targetE1EEEvT1_
; %bb.0:
	s_load_dwordx2 s[4:5], s[0:1], 0x58
	s_load_dwordx4 s[20:23], s[0:1], 0x8
	s_load_dwordx4 s[24:27], s[0:1], 0x48
	s_load_dword s3, s[0:1], 0x70
	s_mul_i32 s8, s2, 0xe00
	s_waitcnt lgkmcnt(0)
	v_mov_b32_e32 v3, s5
	s_lshl_b64 s[6:7], s[22:23], 3
	s_add_u32 s10, s20, s6
	s_addc_u32 s11, s21, s7
	s_add_i32 s6, s3, -1
	s_mulk_i32 s3, 0xe00
	s_add_i32 s5, s3, s22
	s_sub_i32 s33, s4, s5
	s_addk_i32 s33, 0xe00
	v_mov_b32_e32 v2, s4
	s_add_u32 s4, s22, s3
	s_addc_u32 s5, s23, 0
	s_cmp_eq_u32 s2, s6
	s_load_dwordx2 s[28:29], s[26:27], 0x0
	s_cselect_b64 s[26:27], -1, 0
	s_cmp_lg_u32 s2, s6
	s_mov_b32 s9, 0
	v_cmp_lt_u64_e32 vcc, s[4:5], v[2:3]
	s_cselect_b64 s[4:5], -1, 0
	s_or_b64 s[6:7], s[4:5], vcc
	s_lshl_b64 s[30:31], s[8:9], 3
	s_add_u32 s8, s10, s30
	s_addc_u32 s9, s11, s31
	s_mov_b64 s[4:5], -1
	s_and_b64 vcc, exec, s[6:7]
	v_lshlrev_b32_e32 v18, 3, v0
	s_cbranch_vccz .LBB2121_2
; %bb.1:
	v_mov_b32_e32 v19, 0
	v_lshl_add_u64 v[2:3], s[8:9], 0, v[18:19]
	v_add_co_u32_e32 v4, vcc, 0x1000, v2
	s_mov_b64 s[4:5], 0
	s_nop 0
	v_addc_co_u32_e32 v5, vcc, 0, v3, vcc
	v_add_co_u32_e32 v6, vcc, 0x2000, v2
	s_nop 1
	v_addc_co_u32_e32 v7, vcc, 0, v3, vcc
	v_add_co_u32_e32 v8, vcc, 0x3000, v2
	s_nop 1
	v_addc_co_u32_e32 v9, vcc, 0, v3, vcc
	flat_load_dwordx2 v[10:11], v[2:3]
	flat_load_dwordx2 v[12:13], v[4:5]
	;; [unrolled: 1-line block ×4, first 2 shown]
	v_add_co_u32_e32 v4, vcc, 0x4000, v2
	s_nop 1
	v_addc_co_u32_e32 v5, vcc, 0, v3, vcc
	v_add_co_u32_e32 v6, vcc, 0x5000, v2
	s_nop 1
	v_addc_co_u32_e32 v7, vcc, 0, v3, vcc
	;; [unrolled: 3-line block ×3, first 2 shown]
	flat_load_dwordx2 v[8:9], v[4:5]
	flat_load_dwordx2 v[20:21], v[6:7]
	;; [unrolled: 1-line block ×3, first 2 shown]
	s_waitcnt vmcnt(0) lgkmcnt(0)
	ds_write2st64_b64 v18, v[10:11], v[12:13] offset1:8
	ds_write2st64_b64 v18, v[14:15], v[16:17] offset0:16 offset1:24
	ds_write2st64_b64 v18, v[8:9], v[20:21] offset0:32 offset1:40
	ds_write_b64 v18, v[22:23] offset:24576
	s_waitcnt lgkmcnt(0)
	s_barrier
.LBB2121_2:
	s_andn2_b64 vcc, exec, s[4:5]
	v_cmp_gt_u32_e64 s[4:5], s33, v0
	s_cbranch_vccnz .LBB2121_18
; %bb.3:
                                        ; implicit-def: $vgpr2_vgpr3_vgpr4_vgpr5_vgpr6_vgpr7_vgpr8_vgpr9_vgpr10_vgpr11_vgpr12_vgpr13_vgpr14_vgpr15_vgpr16_vgpr17
	s_and_saveexec_b64 s[10:11], s[4:5]
	s_cbranch_execz .LBB2121_5
; %bb.4:
	v_mov_b32_e32 v19, 0
	v_lshl_add_u64 v[2:3], s[8:9], 0, v[18:19]
	flat_load_dwordx2 v[2:3], v[2:3]
.LBB2121_5:
	s_or_b64 exec, exec, s[10:11]
	v_or_b32_e32 v1, 0x200, v0
	v_cmp_gt_u32_e32 vcc, s33, v1
	s_and_saveexec_b64 s[4:5], vcc
	s_cbranch_execz .LBB2121_7
; %bb.6:
	v_lshlrev_b32_e32 v4, 3, v1
	v_mov_b32_e32 v5, 0
	v_lshl_add_u64 v[4:5], s[8:9], 0, v[4:5]
	flat_load_dwordx2 v[4:5], v[4:5]
.LBB2121_7:
	s_or_b64 exec, exec, s[4:5]
	v_or_b32_e32 v1, 0x400, v0
	v_cmp_gt_u32_e32 vcc, s33, v1
	s_and_saveexec_b64 s[4:5], vcc
	s_cbranch_execz .LBB2121_9
; %bb.8:
	v_lshlrev_b32_e32 v6, 3, v1
	v_mov_b32_e32 v7, 0
	v_lshl_add_u64 v[6:7], s[8:9], 0, v[6:7]
	flat_load_dwordx2 v[6:7], v[6:7]
.LBB2121_9:
	;; [unrolled: 11-line block ×6, first 2 shown]
	s_or_b64 exec, exec, s[4:5]
	s_waitcnt vmcnt(0) lgkmcnt(0)
	ds_write2st64_b64 v18, v[2:3], v[4:5] offset1:8
	ds_write2st64_b64 v18, v[6:7], v[8:9] offset0:16 offset1:24
	ds_write2st64_b64 v18, v[10:11], v[12:13] offset0:32 offset1:40
	ds_write_b64 v18, v[14:15] offset:24576
	s_waitcnt lgkmcnt(0)
	s_barrier
.LBB2121_18:
	v_mul_u32_u24_e32 v1, 7, v0
	v_lshlrev_b32_e32 v32, 3, v1
	s_waitcnt lgkmcnt(0)
	ds_read2_b64 v[10:13], v32 offset1:1
	ds_read2_b64 v[6:9], v32 offset0:2 offset1:3
	ds_read2_b64 v[2:5], v32 offset0:4 offset1:5
	ds_read_b64 v[14:15], v32 offset:48
	v_cndmask_b32_e64 v16, 0, 1, s[6:7]
	v_cmp_ne_u32_e64 s[20:21], 1, v16
	s_andn2_b64 vcc, exec, s[6:7]
	s_waitcnt lgkmcnt(3)
	v_xor_b32_e32 v24, -1, v10
	v_xor_b32_e32 v23, -1, v12
	s_waitcnt lgkmcnt(2)
	v_xor_b32_e32 v22, -1, v6
	v_xor_b32_e32 v21, -1, v8
	;; [unrolled: 3-line block ×3, first 2 shown]
	s_waitcnt lgkmcnt(0)
	v_xor_b32_e32 v16, -1, v14
	s_barrier
	s_cbranch_vccnz .LBB2121_20
; %bb.19:
	v_mov_b32_e32 v19, 1
	v_and_b32_e32 v25, 1, v24
	v_and_b32_sdwa v26, v23, v19 dst_sel:BYTE_1 dst_unused:UNUSED_PAD src0_sel:DWORD src1_sel:DWORD
	v_and_b32_e32 v27, 1, v22
	v_and_b32_sdwa v30, v21, v19 dst_sel:BYTE_1 dst_unused:UNUSED_PAD src0_sel:DWORD src1_sel:DWORD
	v_or_b32_e32 v25, v25, v26
	v_or_b32_sdwa v26, v27, v30 dst_sel:WORD_1 dst_unused:UNUSED_PAD src0_sel:DWORD src1_sel:DWORD
	v_and_b32_e32 v29, 1, v20
	v_and_b32_e32 v28, 1, v17
	v_and_b32_e32 v19, 1, v16
	v_or_b32_sdwa v30, v25, v26 dst_sel:DWORD dst_unused:UNUSED_PAD src0_sel:WORD_0 src1_sel:DWORD
	s_load_dwordx2 s[34:35], s[0:1], 0x68
	s_cbranch_execz .LBB2121_21
	s_branch .LBB2121_22
.LBB2121_20:
                                        ; implicit-def: $vgpr19
                                        ; implicit-def: $vgpr28
                                        ; implicit-def: $vgpr29
                                        ; implicit-def: $vgpr30
	s_load_dwordx2 s[34:35], s[0:1], 0x68
.LBB2121_21:
	v_add_u32_e32 v19, 1, v1
	v_cmp_gt_u32_e32 vcc, s33, v1
	v_add_u32_e32 v25, 2, v1
	v_add_u32_e32 v26, 3, v1
	v_cndmask_b32_e64 v29, 0, 1, vcc
	v_cmp_gt_u32_e32 vcc, s33, v19
	v_add_u32_e32 v27, 4, v1
	v_add_u32_e32 v28, 5, v1
	v_cndmask_b32_e64 v19, 0, 1, vcc
	v_cmp_gt_u32_e32 vcc, s33, v25
	v_and_b32_sdwa v23, v19, v23 dst_sel:BYTE_1 dst_unused:UNUSED_PAD src0_sel:DWORD src1_sel:DWORD
	v_add_u32_e32 v30, 6, v1
	v_cndmask_b32_e64 v19, 0, 1, vcc
	v_cmp_gt_u32_e32 vcc, s33, v26
	v_and_b32_e32 v22, v19, v22
	v_and_b32_e32 v24, v29, v24
	v_cndmask_b32_e64 v19, 0, 1, vcc
	v_cmp_gt_u32_e32 vcc, s33, v27
	v_and_b32_sdwa v21, v19, v21 dst_sel:BYTE_1 dst_unused:UNUSED_PAD src0_sel:DWORD src1_sel:DWORD
	s_nop 0
	v_cndmask_b32_e64 v19, 0, 1, vcc
	v_cmp_gt_u32_e32 vcc, s33, v28
	v_and_b32_e32 v29, v19, v20
	s_nop 0
	v_cndmask_b32_e64 v19, 0, 1, vcc
	v_cmp_gt_u32_e32 vcc, s33, v30
	v_and_b32_e32 v28, v19, v17
	s_nop 0
	v_cndmask_b32_e64 v17, 0, 1, vcc
	v_and_b32_e32 v19, v17, v16
	v_or_b32_e32 v16, v24, v23
	v_or_b32_sdwa v17, v22, v21 dst_sel:WORD_1 dst_unused:UNUSED_PAD src0_sel:DWORD src1_sel:DWORD
	s_nop 0
	v_or_b32_sdwa v30, v16, v17 dst_sel:DWORD dst_unused:UNUSED_PAD src0_sel:WORD_0 src1_sel:DWORD
.LBB2121_22:
	v_and_b32_e32 v33, 0xff, v30
	v_bfe_u32 v34, v30, 8, 8
	v_bfe_u32 v35, v30, 16, 8
	v_lshrrev_b32_e32 v31, 24, v30
	v_and_b32_e32 v36, 0xff, v29
	v_add3_u32 v17, v34, v33, v35
	v_and_b32_e32 v37, 0xff, v28
	v_and_b32_e32 v16, 0xff, v19
	v_add3_u32 v17, v17, v31, v36
	v_add3_u32 v40, v17, v37, v16
	v_mbcnt_lo_u32_b32 v16, -1, 0
	v_mbcnt_hi_u32_b32 v38, -1, v16
	v_and_b32_e32 v16, 15, v38
	v_cmp_eq_u32_e64 s[16:17], 0, v16
	v_cmp_lt_u32_e64 s[14:15], 1, v16
	v_cmp_lt_u32_e64 s[12:13], 3, v16
	;; [unrolled: 1-line block ×3, first 2 shown]
	v_and_b32_e32 v16, 16, v38
	v_cmp_eq_u32_e64 s[8:9], 0, v16
	v_or_b32_e32 v16, 63, v0
	s_cmp_lg_u32 s2, 0
	v_cmp_lt_u32_e64 s[4:5], 31, v38
	v_lshrrev_b32_e32 v39, 6, v0
	v_cmp_eq_u32_e64 s[6:7], v16, v0
	s_cbranch_scc0 .LBB2121_53
; %bb.23:
	v_mov_b32_dpp v16, v40 row_shr:1 row_mask:0xf bank_mask:0xf
	v_cndmask_b32_e64 v16, v16, 0, s[16:17]
	v_add_u32_e32 v16, v16, v40
	s_nop 1
	v_mov_b32_dpp v17, v16 row_shr:2 row_mask:0xf bank_mask:0xf
	v_cndmask_b32_e64 v17, 0, v17, s[14:15]
	v_add_u32_e32 v16, v16, v17
	s_nop 1
	;; [unrolled: 4-line block ×4, first 2 shown]
	v_mov_b32_dpp v17, v16 row_bcast:15 row_mask:0xf bank_mask:0xf
	v_cndmask_b32_e64 v17, v17, 0, s[8:9]
	v_add_u32_e32 v16, v16, v17
	s_nop 1
	v_mov_b32_dpp v17, v16 row_bcast:31 row_mask:0xf bank_mask:0xf
	v_cndmask_b32_e64 v17, 0, v17, s[4:5]
	v_add_u32_e32 v16, v16, v17
	s_and_saveexec_b64 s[18:19], s[6:7]
	s_cbranch_execz .LBB2121_25
; %bb.24:
	v_lshlrev_b32_e32 v17, 2, v39
	ds_write_b32 v17, v16
.LBB2121_25:
	s_or_b64 exec, exec, s[18:19]
	v_cmp_gt_u32_e32 vcc, 8, v0
	s_waitcnt lgkmcnt(0)
	s_barrier
	s_and_saveexec_b64 s[18:19], vcc
	s_cbranch_execz .LBB2121_27
; %bb.26:
	v_lshlrev_b32_e32 v17, 2, v0
	ds_read_b32 v20, v17
	v_and_b32_e32 v21, 7, v38
	v_cmp_ne_u32_e32 vcc, 0, v21
	s_waitcnt lgkmcnt(0)
	v_mov_b32_dpp v22, v20 row_shr:1 row_mask:0xf bank_mask:0xf
	v_cndmask_b32_e32 v22, 0, v22, vcc
	v_add_u32_e32 v20, v22, v20
	v_cmp_lt_u32_e32 vcc, 1, v21
	s_nop 0
	v_mov_b32_dpp v22, v20 row_shr:2 row_mask:0xf bank_mask:0xf
	v_cndmask_b32_e32 v22, 0, v22, vcc
	v_add_u32_e32 v20, v20, v22
	v_cmp_lt_u32_e32 vcc, 3, v21
	s_nop 0
	v_mov_b32_dpp v22, v20 row_shr:4 row_mask:0xf bank_mask:0xf
	v_cndmask_b32_e32 v21, 0, v22, vcc
	v_add_u32_e32 v20, v20, v21
	ds_write_b32 v17, v20
.LBB2121_27:
	s_or_b64 exec, exec, s[18:19]
	v_cmp_gt_u32_e32 vcc, 64, v0
	v_cmp_lt_u32_e64 s[18:19], 63, v0
	s_waitcnt lgkmcnt(0)
	s_barrier
	s_waitcnt lgkmcnt(0)
                                        ; implicit-def: $vgpr41
	s_and_saveexec_b64 s[36:37], s[18:19]
	s_cbranch_execz .LBB2121_29
; %bb.28:
	v_lshl_add_u32 v17, v39, 2, -4
	ds_read_b32 v41, v17
	s_waitcnt lgkmcnt(0)
	v_add_u32_e32 v16, v41, v16
.LBB2121_29:
	s_or_b64 exec, exec, s[36:37]
	v_add_u32_e32 v17, -1, v38
	v_and_b32_e32 v20, 64, v38
	v_cmp_lt_i32_e64 s[18:19], v17, v20
	s_nop 1
	v_cndmask_b32_e64 v17, v17, v38, s[18:19]
	v_lshlrev_b32_e32 v17, 2, v17
	ds_bpermute_b32 v42, v17, v16
	v_cmp_eq_u32_e64 s[18:19], 0, v38
	s_and_saveexec_b64 s[36:37], vcc
	s_cbranch_execz .LBB2121_52
; %bb.30:
	v_mov_b32_e32 v27, 0
	ds_read_b32 v16, v27 offset:28
	s_and_saveexec_b64 s[38:39], s[18:19]
	s_cbranch_execz .LBB2121_32
; %bb.31:
	s_add_i32 s40, s2, 64
	s_mov_b32 s41, 0
	s_lshl_b64 s[40:41], s[40:41], 3
	s_add_u32 s40, s34, s40
	v_mov_b32_e32 v17, 1
	s_addc_u32 s41, s35, s41
	s_waitcnt lgkmcnt(0)
	global_store_dwordx2 v27, v[16:17], s[40:41] sc1
.LBB2121_32:
	s_or_b64 exec, exec, s[38:39]
	v_xad_u32 v20, v38, -1, s2
	v_add_u32_e32 v26, 64, v20
	v_lshl_add_u64 v[22:23], v[26:27], 3, s[34:35]
	global_load_dwordx2 v[24:25], v[22:23], off sc1
	s_waitcnt vmcnt(0)
	v_cmp_eq_u16_sdwa s[40:41], v25, v27 src0_sel:BYTE_0 src1_sel:DWORD
	s_and_saveexec_b64 s[38:39], s[40:41]
	s_cbranch_execz .LBB2121_38
; %bb.33:
	s_mov_b32 s3, 1
	s_mov_b64 s[40:41], 0
	v_mov_b32_e32 v17, 0
.LBB2121_34:                            ; =>This Loop Header: Depth=1
                                        ;     Child Loop BB2121_35 Depth 2
	s_max_u32 s42, s3, 1
.LBB2121_35:                            ;   Parent Loop BB2121_34 Depth=1
                                        ; =>  This Inner Loop Header: Depth=2
	s_add_i32 s42, s42, -1
	s_cmp_eq_u32 s42, 0
	s_sleep 1
	s_cbranch_scc0 .LBB2121_35
; %bb.36:                               ;   in Loop: Header=BB2121_34 Depth=1
	global_load_dwordx2 v[24:25], v[22:23], off sc1
	s_cmp_lt_u32 s3, 32
	s_cselect_b64 s[42:43], -1, 0
	s_cmp_lg_u64 s[42:43], 0
	s_addc_u32 s3, s3, 0
	s_waitcnt vmcnt(0)
	v_cmp_ne_u16_sdwa s[42:43], v25, v17 src0_sel:BYTE_0 src1_sel:DWORD
	s_or_b64 s[40:41], s[42:43], s[40:41]
	s_andn2_b64 exec, exec, s[40:41]
	s_cbranch_execnz .LBB2121_34
; %bb.37:
	s_or_b64 exec, exec, s[40:41]
.LBB2121_38:
	s_or_b64 exec, exec, s[38:39]
	v_and_b32_e32 v44, 63, v38
	v_mov_b32_e32 v43, 2
	v_cmp_ne_u32_e32 vcc, 63, v44
	v_cmp_eq_u16_sdwa s[38:39], v25, v43 src0_sel:BYTE_0 src1_sel:DWORD
	v_lshlrev_b64 v[22:23], v38, -1
	v_addc_co_u32_e32 v26, vcc, 0, v38, vcc
	v_and_b32_e32 v17, s39, v23
	v_lshlrev_b32_e32 v45, 2, v26
	v_or_b32_e32 v17, 0x80000000, v17
	ds_bpermute_b32 v26, v45, v24
	v_and_b32_e32 v21, s38, v22
	v_ffbl_b32_e32 v17, v17
	v_add_u32_e32 v17, 32, v17
	v_ffbl_b32_e32 v21, v21
	v_min_u32_e32 v17, v21, v17
	v_cmp_lt_u32_e32 vcc, v44, v17
	v_add_u32_e32 v47, 2, v44
	v_add_u32_e32 v49, 4, v44
	s_waitcnt lgkmcnt(0)
	v_cndmask_b32_e32 v21, 0, v26, vcc
	v_cmp_gt_u32_e32 vcc, 62, v44
	v_add_u32_e32 v21, v21, v24
	v_add_u32_e32 v51, 8, v44
	v_cndmask_b32_e64 v24, 0, 1, vcc
	v_lshlrev_b32_e32 v24, 1, v24
	v_add_lshl_u32 v46, v24, v38, 2
	ds_bpermute_b32 v24, v46, v21
	v_cmp_le_u32_e32 vcc, v47, v17
	v_add_u32_e32 v53, 16, v44
	v_add_u32_e32 v55, 32, v44
	s_waitcnt lgkmcnt(0)
	v_cndmask_b32_e32 v24, 0, v24, vcc
	v_cmp_gt_u32_e32 vcc, 60, v44
	v_add_u32_e32 v21, v21, v24
	s_nop 0
	v_cndmask_b32_e64 v24, 0, 1, vcc
	v_lshlrev_b32_e32 v24, 2, v24
	v_add_lshl_u32 v48, v24, v38, 2
	ds_bpermute_b32 v24, v48, v21
	v_cmp_le_u32_e32 vcc, v49, v17
	s_waitcnt lgkmcnt(0)
	s_nop 0
	v_cndmask_b32_e32 v24, 0, v24, vcc
	v_cmp_gt_u32_e32 vcc, 56, v44
	v_add_u32_e32 v21, v21, v24
	s_nop 0
	v_cndmask_b32_e64 v24, 0, 1, vcc
	v_lshlrev_b32_e32 v24, 3, v24
	v_add_lshl_u32 v50, v24, v38, 2
	ds_bpermute_b32 v24, v50, v21
	v_cmp_le_u32_e32 vcc, v51, v17
	s_waitcnt lgkmcnt(0)
	s_nop 0
	;; [unrolled: 11-line block ×4, first 2 shown]
	v_cndmask_b32_e32 v17, 0, v24, vcc
	v_add_u32_e32 v24, v21, v17
	v_mov_b32_e32 v21, 0
	s_branch .LBB2121_40
.LBB2121_39:                            ;   in Loop: Header=BB2121_40 Depth=1
	s_or_b64 exec, exec, s[38:39]
	v_cmp_eq_u16_sdwa s[38:39], v25, v43 src0_sel:BYTE_0 src1_sel:DWORD
	ds_bpermute_b32 v56, v45, v24
	v_subrev_u32_e32 v20, 64, v20
	v_and_b32_e32 v26, s39, v23
	v_or_b32_e32 v26, 0x80000000, v26
	v_and_b32_e32 v27, s38, v22
	v_ffbl_b32_e32 v26, v26
	v_add_u32_e32 v26, 32, v26
	v_ffbl_b32_e32 v27, v27
	v_min_u32_e32 v26, v27, v26
	v_cmp_lt_u32_e32 vcc, v44, v26
	s_waitcnt lgkmcnt(0)
	s_nop 0
	v_cndmask_b32_e32 v27, 0, v56, vcc
	v_add_u32_e32 v24, v27, v24
	ds_bpermute_b32 v27, v46, v24
	v_cmp_le_u32_e32 vcc, v47, v26
	s_waitcnt lgkmcnt(0)
	s_nop 0
	v_cndmask_b32_e32 v27, 0, v27, vcc
	v_add_u32_e32 v24, v24, v27
	ds_bpermute_b32 v27, v48, v24
	v_cmp_le_u32_e32 vcc, v49, v26
	;; [unrolled: 6-line block ×5, first 2 shown]
	s_waitcnt lgkmcnt(0)
	s_nop 0
	v_cndmask_b32_e32 v26, 0, v27, vcc
	v_add3_u32 v24, v26, v17, v24
.LBB2121_40:                            ; =>This Loop Header: Depth=1
                                        ;     Child Loop BB2121_43 Depth 2
                                        ;       Child Loop BB2121_44 Depth 3
	v_cmp_ne_u16_sdwa s[38:39], v25, v43 src0_sel:BYTE_0 src1_sel:DWORD
	s_nop 1
	v_cndmask_b32_e64 v17, 0, 1, s[38:39]
	;;#ASMSTART
	;;#ASMEND
	s_nop 0
	v_cmp_ne_u32_e32 vcc, 0, v17
	s_cmp_lg_u64 vcc, exec
	v_mov_b32_e32 v17, v24
	s_cbranch_scc1 .LBB2121_47
; %bb.41:                               ;   in Loop: Header=BB2121_40 Depth=1
	v_lshl_add_u64 v[26:27], v[20:21], 3, s[34:35]
	global_load_dwordx2 v[24:25], v[26:27], off sc1
	s_waitcnt vmcnt(0)
	v_cmp_eq_u16_sdwa s[40:41], v25, v21 src0_sel:BYTE_0 src1_sel:DWORD
	s_and_saveexec_b64 s[38:39], s[40:41]
	s_cbranch_execz .LBB2121_39
; %bb.42:                               ;   in Loop: Header=BB2121_40 Depth=1
	s_mov_b32 s3, 1
	s_mov_b64 s[40:41], 0
.LBB2121_43:                            ;   Parent Loop BB2121_40 Depth=1
                                        ; =>  This Loop Header: Depth=2
                                        ;       Child Loop BB2121_44 Depth 3
	s_max_u32 s42, s3, 1
.LBB2121_44:                            ;   Parent Loop BB2121_40 Depth=1
                                        ;     Parent Loop BB2121_43 Depth=2
                                        ; =>    This Inner Loop Header: Depth=3
	s_add_i32 s42, s42, -1
	s_cmp_eq_u32 s42, 0
	s_sleep 1
	s_cbranch_scc0 .LBB2121_44
; %bb.45:                               ;   in Loop: Header=BB2121_43 Depth=2
	global_load_dwordx2 v[24:25], v[26:27], off sc1
	s_cmp_lt_u32 s3, 32
	s_cselect_b64 s[42:43], -1, 0
	s_cmp_lg_u64 s[42:43], 0
	s_addc_u32 s3, s3, 0
	s_waitcnt vmcnt(0)
	v_cmp_ne_u16_sdwa s[42:43], v25, v21 src0_sel:BYTE_0 src1_sel:DWORD
	s_or_b64 s[40:41], s[42:43], s[40:41]
	s_andn2_b64 exec, exec, s[40:41]
	s_cbranch_execnz .LBB2121_43
; %bb.46:                               ;   in Loop: Header=BB2121_40 Depth=1
	s_or_b64 exec, exec, s[40:41]
	s_branch .LBB2121_39
.LBB2121_47:                            ;   in Loop: Header=BB2121_40 Depth=1
                                        ; implicit-def: $vgpr24
                                        ; implicit-def: $vgpr25
	s_cbranch_execz .LBB2121_40
; %bb.48:
	s_and_saveexec_b64 s[38:39], s[18:19]
	s_cbranch_execz .LBB2121_50
; %bb.49:
	s_add_i32 s2, s2, 64
	s_mov_b32 s3, 0
	s_lshl_b64 s[2:3], s[2:3], 3
	s_add_u32 s2, s34, s2
	v_add_u32_e32 v20, v17, v16
	v_mov_b32_e32 v21, 2
	s_addc_u32 s3, s35, s3
	v_mov_b32_e32 v22, 0
	global_store_dwordx2 v22, v[20:21], s[2:3] sc1
	ds_write_b64 v22, v[16:17] offset:28672
.LBB2121_50:
	s_or_b64 exec, exec, s[38:39]
	v_cmp_eq_u32_e32 vcc, 0, v0
	s_and_b64 exec, exec, vcc
	s_cbranch_execz .LBB2121_52
; %bb.51:
	v_mov_b32_e32 v16, 0
	ds_write_b32 v16, v17 offset:28
.LBB2121_52:
	s_or_b64 exec, exec, s[36:37]
	v_mov_b32_e32 v16, 0
	s_waitcnt lgkmcnt(0)
	s_barrier
	ds_read_b32 v17, v16 offset:28
	v_cndmask_b32_e64 v20, v42, v41, s[18:19]
	v_cmp_ne_u32_e32 vcc, 0, v0
	s_waitcnt lgkmcnt(0)
	s_barrier
	v_cndmask_b32_e32 v20, 0, v20, vcc
	v_add_u32_e32 v27, v17, v20
	v_add_u32_e32 v26, v27, v33
	ds_read_b64 v[16:17], v16 offset:28672
	v_add_u32_e32 v25, v26, v34
	v_add_u32_e32 v24, v25, v35
	;; [unrolled: 1-line block ×5, first 2 shown]
	s_waitcnt lgkmcnt(0)
	v_mov_b32_e32 v20, v17
	s_branch .LBB2121_63
.LBB2121_53:
                                        ; implicit-def: $vgpr20
                                        ; implicit-def: $vgpr16
                                        ; implicit-def: $vgpr21
                                        ; implicit-def: $vgpr22
                                        ; implicit-def: $vgpr23
                                        ; implicit-def: $vgpr24
                                        ; implicit-def: $vgpr25
                                        ; implicit-def: $vgpr26
                                        ; implicit-def: $vgpr27
	s_cbranch_execz .LBB2121_63
; %bb.54:
	s_nop 0
	v_mov_b32_dpp v16, v40 row_shr:1 row_mask:0xf bank_mask:0xf
	v_cndmask_b32_e64 v16, v16, 0, s[16:17]
	v_add_u32_e32 v16, v16, v40
	s_nop 1
	v_mov_b32_dpp v17, v16 row_shr:2 row_mask:0xf bank_mask:0xf
	v_cndmask_b32_e64 v17, 0, v17, s[14:15]
	v_add_u32_e32 v16, v16, v17
	;; [unrolled: 4-line block ×4, first 2 shown]
	s_nop 1
	v_mov_b32_dpp v17, v16 row_bcast:15 row_mask:0xf bank_mask:0xf
	v_cndmask_b32_e64 v17, v17, 0, s[8:9]
	v_add_u32_e32 v16, v16, v17
	s_nop 1
	v_mov_b32_dpp v17, v16 row_bcast:31 row_mask:0xf bank_mask:0xf
	v_cndmask_b32_e64 v17, 0, v17, s[4:5]
	v_add_u32_e32 v16, v16, v17
	s_and_saveexec_b64 s[2:3], s[6:7]
	s_cbranch_execz .LBB2121_56
; %bb.55:
	v_lshlrev_b32_e32 v17, 2, v39
	ds_write_b32 v17, v16
.LBB2121_56:
	s_or_b64 exec, exec, s[2:3]
	v_cmp_gt_u32_e32 vcc, 8, v0
	s_waitcnt lgkmcnt(0)
	s_barrier
	s_and_saveexec_b64 s[2:3], vcc
	s_cbranch_execz .LBB2121_58
; %bb.57:
	s_movk_i32 s4, 0xffcc
	v_mad_i32_i24 v17, v0, s4, v32
	ds_read_b32 v20, v17
	v_and_b32_e32 v21, 7, v38
	v_cmp_ne_u32_e32 vcc, 0, v21
	s_waitcnt lgkmcnt(0)
	v_mov_b32_dpp v22, v20 row_shr:1 row_mask:0xf bank_mask:0xf
	v_cndmask_b32_e32 v22, 0, v22, vcc
	v_add_u32_e32 v20, v22, v20
	v_cmp_lt_u32_e32 vcc, 1, v21
	s_nop 0
	v_mov_b32_dpp v22, v20 row_shr:2 row_mask:0xf bank_mask:0xf
	v_cndmask_b32_e32 v22, 0, v22, vcc
	v_add_u32_e32 v20, v20, v22
	v_cmp_lt_u32_e32 vcc, 3, v21
	s_nop 0
	v_mov_b32_dpp v22, v20 row_shr:4 row_mask:0xf bank_mask:0xf
	v_cndmask_b32_e32 v21, 0, v22, vcc
	v_add_u32_e32 v20, v20, v21
	ds_write_b32 v17, v20
.LBB2121_58:
	s_or_b64 exec, exec, s[2:3]
	v_cmp_lt_u32_e32 vcc, 63, v0
	v_mov_b32_e32 v17, 0
	v_mov_b32_e32 v20, 0
	s_waitcnt lgkmcnt(0)
	s_barrier
	s_and_saveexec_b64 s[2:3], vcc
	s_cbranch_execz .LBB2121_60
; %bb.59:
	v_lshl_add_u32 v20, v39, 2, -4
	ds_read_b32 v20, v20
.LBB2121_60:
	s_or_b64 exec, exec, s[2:3]
	v_add_u32_e32 v21, -1, v38
	v_and_b32_e32 v22, 64, v38
	v_cmp_lt_i32_e32 vcc, v21, v22
	s_waitcnt lgkmcnt(0)
	v_add_u32_e32 v16, v20, v16
	v_cndmask_b32_e32 v21, v21, v38, vcc
	v_lshlrev_b32_e32 v21, 2, v21
	ds_bpermute_b32 v21, v21, v16
	ds_read_b32 v16, v17 offset:28
	v_cmp_eq_u32_e32 vcc, 0, v0
	s_and_saveexec_b64 s[2:3], vcc
	s_cbranch_execz .LBB2121_62
; %bb.61:
	v_mov_b32_e32 v22, 0
	v_mov_b32_e32 v17, 2
	s_waitcnt lgkmcnt(0)
	global_store_dwordx2 v22, v[16:17], s[34:35] offset:512 sc1
.LBB2121_62:
	s_or_b64 exec, exec, s[2:3]
	v_cmp_eq_u32_e64 s[2:3], 0, v38
	s_waitcnt lgkmcnt(0)
	s_barrier
	v_cndmask_b32_e64 v17, v21, v20, s[2:3]
	v_cndmask_b32_e64 v27, v17, 0, vcc
	v_add_u32_e32 v26, v27, v33
	v_add_u32_e32 v25, v26, v34
	;; [unrolled: 1-line block ×5, first 2 shown]
	v_mov_b32_e32 v20, 0
	v_add_u32_e32 v21, v22, v37
.LBB2121_63:
	v_add_u32_e32 v1, v16, v1
	v_sub_u32_e32 v27, v27, v20
	v_and_b32_e32 v33, 1, v30
	v_sub_u32_e32 v32, v1, v27
	v_cmp_eq_u32_e32 vcc, 1, v33
	v_lshrrev_b32_e32 v17, 8, v30
	v_and_b32_e32 v17, 1, v17
	v_cndmask_b32_e32 v27, v32, v27, vcc
	v_lshlrev_b32_e32 v27, 3, v27
	ds_write_b64 v27, v[10:11]
	v_sub_u32_e32 v10, v26, v20
	v_sub_u32_e32 v11, v1, v10
	v_add_u32_e32 v11, 1, v11
	v_cmp_eq_u32_e32 vcc, 1, v17
	s_load_dwordx4 s[0:3], s[0:1], 0x28
	v_or_b32_e32 v32, 0x200, v0
	v_cndmask_b32_e32 v10, v11, v10, vcc
	v_lshlrev_b32_e32 v10, 3, v10
	ds_write_b64 v10, v[12:13]
	v_sub_u32_e32 v10, v25, v20
	v_mov_b32_e32 v12, 1
	v_sub_u32_e32 v11, v1, v10
	v_and_b32_sdwa v12, v12, v30 dst_sel:DWORD dst_unused:UNUSED_PAD src0_sel:DWORD src1_sel:WORD_1
	v_add_u32_e32 v11, 2, v11
	v_cmp_eq_u32_e32 vcc, 1, v12
	v_or_b32_e32 v30, 0x600, v0
	s_nop 0
	v_cndmask_b32_e32 v10, v11, v10, vcc
	v_lshlrev_b32_e32 v10, 3, v10
	ds_write_b64 v10, v[6:7]
	v_sub_u32_e32 v6, v24, v20
	v_sub_u32_e32 v7, v1, v6
	v_and_b32_e32 v10, 1, v31
	v_add_u32_e32 v7, 3, v7
	v_cmp_eq_u32_e32 vcc, 1, v10
	v_or_b32_e32 v31, 0x400, v0
	s_nop 0
	v_cndmask_b32_e32 v6, v7, v6, vcc
	v_lshlrev_b32_e32 v6, 3, v6
	ds_write_b64 v6, v[8:9]
	v_sub_u32_e32 v6, v23, v20
	v_sub_u32_e32 v7, v1, v6
	v_and_b32_e32 v8, 1, v29
	v_add_u32_e32 v7, 4, v7
	v_cmp_eq_u32_e32 vcc, 1, v8
	v_or_b32_e32 v29, 0x800, v0
	s_nop 0
	v_cndmask_b32_e32 v6, v7, v6, vcc
	v_lshlrev_b32_e32 v6, 3, v6
	ds_write_b64 v6, v[2:3]
	v_sub_u32_e32 v2, v22, v20
	v_sub_u32_e32 v3, v1, v2
	v_and_b32_e32 v6, 1, v28
	v_add_u32_e32 v3, 5, v3
	v_cmp_eq_u32_e32 vcc, 1, v6
	v_or_b32_e32 v28, 0xa00, v0
	s_nop 0
	v_cndmask_b32_e32 v2, v3, v2, vcc
	v_lshlrev_b32_e32 v2, 3, v2
	ds_write_b64 v2, v[4:5]
	v_sub_u32_e32 v2, v21, v20
	v_sub_u32_e32 v1, v1, v2
	v_and_b32_e32 v3, 1, v19
	v_add_u32_e32 v1, 6, v1
	v_cmp_eq_u32_e32 vcc, 1, v3
	v_mov_b32_e32 v21, 0
	v_lshl_add_u64 v[26:27], s[28:29], 0, v[20:21]
	v_cndmask_b32_e32 v1, v1, v2, vcc
	v_lshlrev_b32_e32 v1, 3, v1
	v_mov_b32_e32 v17, v21
	ds_write_b64 v1, v[14:15]
	v_lshl_add_u64 v[14:15], v[26:27], 0, v[16:17]
	s_waitcnt lgkmcnt(0)
	s_barrier
	ds_read2st64_b64 v[10:13], v18 offset1:8
	ds_read2st64_b64 v[6:9], v18 offset0:16 offset1:24
	ds_read2st64_b64 v[2:5], v18 offset0:32 offset1:40
	ds_read_b64 v[22:23], v18 offset:24576
	v_mov_b32_e32 v17, s23
	v_sub_co_u32_e32 v24, vcc, s22, v14
	v_lshlrev_b64 v[26:27], 3, v[26:27]
	s_nop 0
	v_subb_co_u32_e32 v25, vcc, v17, v15, vcc
	v_lshlrev_b64 v[24:25], 3, v[24:25]
	v_lshl_add_u64 v[24:25], s[2:3], 0, v[24:25]
	v_or_b32_e32 v1, 0xc00, v0
	v_lshl_add_u64 v[24:25], v[24:25], 0, s[30:31]
	s_and_b64 vcc, exec, s[20:21]
	v_lshl_add_u64 v[26:27], s[0:1], 0, v[26:27]
	s_cbranch_vccnz .LBB2121_65
; %bb.64:
	v_cmp_lt_u32_e32 vcc, v0, v16
	v_mov_b32_e32 v19, v21
	v_lshlrev_b32_e32 v20, 3, v32
	v_cndmask_b32_e32 v35, v25, v27, vcc
	v_cndmask_b32_e32 v34, v24, v26, vcc
	v_lshl_add_u64 v[34:35], v[34:35], 0, v[18:19]
	v_cmp_lt_u32_e32 vcc, v32, v16
	s_waitcnt lgkmcnt(3)
	global_store_dwordx2 v[34:35], v[10:11], off
	v_cndmask_b32_e32 v35, v25, v27, vcc
	v_cndmask_b32_e32 v34, v24, v26, vcc
	v_lshl_add_u64 v[34:35], v[34:35], 0, v[20:21]
	v_cmp_lt_u32_e32 vcc, v31, v16
	global_store_dwordx2 v[34:35], v[12:13], off
	v_lshlrev_b32_e32 v20, 3, v31
	v_cndmask_b32_e32 v35, v25, v27, vcc
	v_cndmask_b32_e32 v34, v24, v26, vcc
	v_lshl_add_u64 v[34:35], v[34:35], 0, v[20:21]
	v_cmp_lt_u32_e32 vcc, v30, v16
	s_waitcnt lgkmcnt(2)
	global_store_dwordx2 v[34:35], v[6:7], off
	v_lshlrev_b32_e32 v20, 3, v30
	v_cndmask_b32_e32 v35, v25, v27, vcc
	v_cndmask_b32_e32 v34, v24, v26, vcc
	v_lshl_add_u64 v[34:35], v[34:35], 0, v[20:21]
	v_cmp_lt_u32_e32 vcc, v29, v16
	global_store_dwordx2 v[34:35], v[8:9], off
	v_lshlrev_b32_e32 v20, 3, v29
	v_cndmask_b32_e32 v35, v25, v27, vcc
	v_cndmask_b32_e32 v34, v24, v26, vcc
	v_lshl_add_u64 v[34:35], v[34:35], 0, v[20:21]
	v_cmp_lt_u32_e32 vcc, v28, v16
	s_waitcnt lgkmcnt(1)
	global_store_dwordx2 v[34:35], v[2:3], off
	v_lshlrev_b32_e32 v20, 3, v28
	v_cndmask_b32_e32 v35, v25, v27, vcc
	v_cndmask_b32_e32 v34, v24, v26, vcc
	v_lshl_add_u64 v[20:21], v[34:35], 0, v[20:21]
	s_mov_b64 s[0:1], -1
	global_store_dwordx2 v[20:21], v[4:5], off
	s_cbranch_execz .LBB2121_66
	s_branch .LBB2121_74
.LBB2121_65:
	s_mov_b64 s[0:1], 0
.LBB2121_66:
	v_cmp_gt_u32_e32 vcc, s33, v0
	s_and_saveexec_b64 s[0:1], vcc
	s_cbranch_execnz .LBB2121_79
; %bb.67:
	s_or_b64 exec, exec, s[0:1]
	v_cmp_gt_u32_e32 vcc, s33, v32
	s_and_saveexec_b64 s[0:1], vcc
	s_cbranch_execnz .LBB2121_80
.LBB2121_68:
	s_or_b64 exec, exec, s[0:1]
	v_cmp_gt_u32_e32 vcc, s33, v31
	s_and_saveexec_b64 s[0:1], vcc
	s_cbranch_execnz .LBB2121_81
.LBB2121_69:
	s_or_b64 exec, exec, s[0:1]
	v_cmp_gt_u32_e32 vcc, s33, v30
	s_and_saveexec_b64 s[0:1], vcc
	s_cbranch_execnz .LBB2121_82
.LBB2121_70:
	s_or_b64 exec, exec, s[0:1]
	v_cmp_gt_u32_e32 vcc, s33, v29
	s_and_saveexec_b64 s[0:1], vcc
	s_cbranch_execnz .LBB2121_83
.LBB2121_71:
	s_or_b64 exec, exec, s[0:1]
	v_cmp_gt_u32_e32 vcc, s33, v28
	s_and_saveexec_b64 s[0:1], vcc
	s_cbranch_execz .LBB2121_73
.LBB2121_72:
	v_cmp_lt_u32_e32 vcc, v28, v16
	s_waitcnt lgkmcnt(2)
	v_lshlrev_b32_e32 v6, 3, v28
	v_mov_b32_e32 v7, 0
	s_waitcnt lgkmcnt(1)
	v_cndmask_b32_e32 v3, v25, v27, vcc
	v_cndmask_b32_e32 v2, v24, v26, vcc
	v_lshl_add_u64 v[2:3], v[2:3], 0, v[6:7]
	global_store_dwordx2 v[2:3], v[4:5], off
.LBB2121_73:
	s_or_b64 exec, exec, s[0:1]
	v_cmp_gt_u32_e64 s[0:1], s33, v1
.LBB2121_74:
	s_and_saveexec_b64 s[2:3], s[0:1]
	s_cbranch_execz .LBB2121_76
; %bb.75:
	v_cmp_lt_u32_e32 vcc, v1, v16
	s_waitcnt lgkmcnt(1)
	v_lshlrev_b32_e32 v4, 3, v1
	v_mov_b32_e32 v5, 0
	v_cndmask_b32_e32 v3, v25, v27, vcc
	v_cndmask_b32_e32 v2, v24, v26, vcc
	v_lshl_add_u64 v[2:3], v[2:3], 0, v[4:5]
	s_waitcnt lgkmcnt(0)
	global_store_dwordx2 v[2:3], v[22:23], off
.LBB2121_76:
	s_or_b64 exec, exec, s[2:3]
	v_cmp_eq_u32_e32 vcc, 0, v0
	s_and_b64 s[0:1], vcc, s[26:27]
	s_and_saveexec_b64 s[2:3], s[0:1]
	s_cbranch_execz .LBB2121_78
; %bb.77:
	v_mov_b32_e32 v0, 0
	global_store_dwordx2 v0, v[14:15], s[24:25]
.LBB2121_78:
	s_endpgm
.LBB2121_79:
	v_cmp_lt_u32_e32 vcc, v0, v16
	v_mov_b32_e32 v19, 0
	s_nop 0
	v_cndmask_b32_e32 v21, v25, v27, vcc
	v_cndmask_b32_e32 v20, v24, v26, vcc
	v_lshl_add_u64 v[18:19], v[20:21], 0, v[18:19]
	s_waitcnt lgkmcnt(3)
	global_store_dwordx2 v[18:19], v[10:11], off
	s_or_b64 exec, exec, s[0:1]
	v_cmp_gt_u32_e32 vcc, s33, v32
	s_and_saveexec_b64 s[0:1], vcc
	s_cbranch_execz .LBB2121_68
.LBB2121_80:
	v_cmp_lt_u32_e32 vcc, v32, v16
	v_lshlrev_b32_e32 v18, 3, v32
	v_mov_b32_e32 v19, 0
	s_waitcnt lgkmcnt(3)
	v_cndmask_b32_e32 v11, v25, v27, vcc
	v_cndmask_b32_e32 v10, v24, v26, vcc
	v_lshl_add_u64 v[10:11], v[10:11], 0, v[18:19]
	global_store_dwordx2 v[10:11], v[12:13], off
	s_or_b64 exec, exec, s[0:1]
	v_cmp_gt_u32_e32 vcc, s33, v31
	s_and_saveexec_b64 s[0:1], vcc
	s_cbranch_execz .LBB2121_69
.LBB2121_81:
	v_cmp_lt_u32_e32 vcc, v31, v16
	s_waitcnt lgkmcnt(3)
	v_lshlrev_b32_e32 v12, 3, v31
	v_mov_b32_e32 v13, 0
	v_cndmask_b32_e32 v11, v25, v27, vcc
	v_cndmask_b32_e32 v10, v24, v26, vcc
	v_lshl_add_u64 v[10:11], v[10:11], 0, v[12:13]
	s_waitcnt lgkmcnt(2)
	global_store_dwordx2 v[10:11], v[6:7], off
	s_or_b64 exec, exec, s[0:1]
	v_cmp_gt_u32_e32 vcc, s33, v30
	s_and_saveexec_b64 s[0:1], vcc
	s_cbranch_execz .LBB2121_70
.LBB2121_82:
	v_cmp_lt_u32_e32 vcc, v30, v16
	s_waitcnt lgkmcnt(3)
	v_lshlrev_b32_e32 v10, 3, v30
	v_mov_b32_e32 v11, 0
	s_waitcnt lgkmcnt(2)
	v_cndmask_b32_e32 v7, v25, v27, vcc
	v_cndmask_b32_e32 v6, v24, v26, vcc
	v_lshl_add_u64 v[6:7], v[6:7], 0, v[10:11]
	global_store_dwordx2 v[6:7], v[8:9], off
	s_or_b64 exec, exec, s[0:1]
	v_cmp_gt_u32_e32 vcc, s33, v29
	s_and_saveexec_b64 s[0:1], vcc
	s_cbranch_execz .LBB2121_71
.LBB2121_83:
	v_cmp_lt_u32_e32 vcc, v29, v16
	s_waitcnt lgkmcnt(2)
	v_lshlrev_b32_e32 v8, 3, v29
	v_mov_b32_e32 v9, 0
	v_cndmask_b32_e32 v7, v25, v27, vcc
	v_cndmask_b32_e32 v6, v24, v26, vcc
	v_lshl_add_u64 v[6:7], v[6:7], 0, v[8:9]
	s_waitcnt lgkmcnt(1)
	global_store_dwordx2 v[6:7], v[2:3], off
	s_or_b64 exec, exec, s[0:1]
	v_cmp_gt_u32_e32 vcc, s33, v28
	s_and_saveexec_b64 s[0:1], vcc
	s_cbranch_execnz .LBB2121_72
	s_branch .LBB2121_73
	.section	.rodata,"a",@progbits
	.p2align	6, 0x0
	.amdhsa_kernel _ZN7rocprim17ROCPRIM_400000_NS6detail17trampoline_kernelINS0_14default_configENS1_25partition_config_selectorILNS1_17partition_subalgoE0EyNS0_10empty_typeEbEEZZNS1_14partition_implILS5_0ELb0ES3_jN6thrust23THRUST_200600_302600_NS6detail15normal_iteratorINSA_10device_ptrIyEEEEPS6_SG_NS0_5tupleIJSF_SF_EEENSH_IJSG_SG_EEES6_PlJ7is_evenIyEEEE10hipError_tPvRmT3_T4_T5_T6_T7_T9_mT8_P12ihipStream_tbDpT10_ENKUlT_T0_E_clISt17integral_constantIbLb1EES15_IbLb0EEEEDaS11_S12_EUlS11_E_NS1_11comp_targetILNS1_3genE5ELNS1_11target_archE942ELNS1_3gpuE9ELNS1_3repE0EEENS1_30default_config_static_selectorELNS0_4arch9wavefront6targetE1EEEvT1_
		.amdhsa_group_segment_fixed_size 28680
		.amdhsa_private_segment_fixed_size 0
		.amdhsa_kernarg_size 120
		.amdhsa_user_sgpr_count 2
		.amdhsa_user_sgpr_dispatch_ptr 0
		.amdhsa_user_sgpr_queue_ptr 0
		.amdhsa_user_sgpr_kernarg_segment_ptr 1
		.amdhsa_user_sgpr_dispatch_id 0
		.amdhsa_user_sgpr_kernarg_preload_length 0
		.amdhsa_user_sgpr_kernarg_preload_offset 0
		.amdhsa_user_sgpr_private_segment_size 0
		.amdhsa_uses_dynamic_stack 0
		.amdhsa_enable_private_segment 0
		.amdhsa_system_sgpr_workgroup_id_x 1
		.amdhsa_system_sgpr_workgroup_id_y 0
		.amdhsa_system_sgpr_workgroup_id_z 0
		.amdhsa_system_sgpr_workgroup_info 0
		.amdhsa_system_vgpr_workitem_id 0
		.amdhsa_next_free_vgpr 57
		.amdhsa_next_free_sgpr 44
		.amdhsa_accum_offset 60
		.amdhsa_reserve_vcc 1
		.amdhsa_float_round_mode_32 0
		.amdhsa_float_round_mode_16_64 0
		.amdhsa_float_denorm_mode_32 3
		.amdhsa_float_denorm_mode_16_64 3
		.amdhsa_dx10_clamp 1
		.amdhsa_ieee_mode 1
		.amdhsa_fp16_overflow 0
		.amdhsa_tg_split 0
		.amdhsa_exception_fp_ieee_invalid_op 0
		.amdhsa_exception_fp_denorm_src 0
		.amdhsa_exception_fp_ieee_div_zero 0
		.amdhsa_exception_fp_ieee_overflow 0
		.amdhsa_exception_fp_ieee_underflow 0
		.amdhsa_exception_fp_ieee_inexact 0
		.amdhsa_exception_int_div_zero 0
	.end_amdhsa_kernel
	.section	.text._ZN7rocprim17ROCPRIM_400000_NS6detail17trampoline_kernelINS0_14default_configENS1_25partition_config_selectorILNS1_17partition_subalgoE0EyNS0_10empty_typeEbEEZZNS1_14partition_implILS5_0ELb0ES3_jN6thrust23THRUST_200600_302600_NS6detail15normal_iteratorINSA_10device_ptrIyEEEEPS6_SG_NS0_5tupleIJSF_SF_EEENSH_IJSG_SG_EEES6_PlJ7is_evenIyEEEE10hipError_tPvRmT3_T4_T5_T6_T7_T9_mT8_P12ihipStream_tbDpT10_ENKUlT_T0_E_clISt17integral_constantIbLb1EES15_IbLb0EEEEDaS11_S12_EUlS11_E_NS1_11comp_targetILNS1_3genE5ELNS1_11target_archE942ELNS1_3gpuE9ELNS1_3repE0EEENS1_30default_config_static_selectorELNS0_4arch9wavefront6targetE1EEEvT1_,"axG",@progbits,_ZN7rocprim17ROCPRIM_400000_NS6detail17trampoline_kernelINS0_14default_configENS1_25partition_config_selectorILNS1_17partition_subalgoE0EyNS0_10empty_typeEbEEZZNS1_14partition_implILS5_0ELb0ES3_jN6thrust23THRUST_200600_302600_NS6detail15normal_iteratorINSA_10device_ptrIyEEEEPS6_SG_NS0_5tupleIJSF_SF_EEENSH_IJSG_SG_EEES6_PlJ7is_evenIyEEEE10hipError_tPvRmT3_T4_T5_T6_T7_T9_mT8_P12ihipStream_tbDpT10_ENKUlT_T0_E_clISt17integral_constantIbLb1EES15_IbLb0EEEEDaS11_S12_EUlS11_E_NS1_11comp_targetILNS1_3genE5ELNS1_11target_archE942ELNS1_3gpuE9ELNS1_3repE0EEENS1_30default_config_static_selectorELNS0_4arch9wavefront6targetE1EEEvT1_,comdat
.Lfunc_end2121:
	.size	_ZN7rocprim17ROCPRIM_400000_NS6detail17trampoline_kernelINS0_14default_configENS1_25partition_config_selectorILNS1_17partition_subalgoE0EyNS0_10empty_typeEbEEZZNS1_14partition_implILS5_0ELb0ES3_jN6thrust23THRUST_200600_302600_NS6detail15normal_iteratorINSA_10device_ptrIyEEEEPS6_SG_NS0_5tupleIJSF_SF_EEENSH_IJSG_SG_EEES6_PlJ7is_evenIyEEEE10hipError_tPvRmT3_T4_T5_T6_T7_T9_mT8_P12ihipStream_tbDpT10_ENKUlT_T0_E_clISt17integral_constantIbLb1EES15_IbLb0EEEEDaS11_S12_EUlS11_E_NS1_11comp_targetILNS1_3genE5ELNS1_11target_archE942ELNS1_3gpuE9ELNS1_3repE0EEENS1_30default_config_static_selectorELNS0_4arch9wavefront6targetE1EEEvT1_, .Lfunc_end2121-_ZN7rocprim17ROCPRIM_400000_NS6detail17trampoline_kernelINS0_14default_configENS1_25partition_config_selectorILNS1_17partition_subalgoE0EyNS0_10empty_typeEbEEZZNS1_14partition_implILS5_0ELb0ES3_jN6thrust23THRUST_200600_302600_NS6detail15normal_iteratorINSA_10device_ptrIyEEEEPS6_SG_NS0_5tupleIJSF_SF_EEENSH_IJSG_SG_EEES6_PlJ7is_evenIyEEEE10hipError_tPvRmT3_T4_T5_T6_T7_T9_mT8_P12ihipStream_tbDpT10_ENKUlT_T0_E_clISt17integral_constantIbLb1EES15_IbLb0EEEEDaS11_S12_EUlS11_E_NS1_11comp_targetILNS1_3genE5ELNS1_11target_archE942ELNS1_3gpuE9ELNS1_3repE0EEENS1_30default_config_static_selectorELNS0_4arch9wavefront6targetE1EEEvT1_
                                        ; -- End function
	.section	.AMDGPU.csdata,"",@progbits
; Kernel info:
; codeLenInByte = 4556
; NumSgprs: 50
; NumVgprs: 57
; NumAgprs: 0
; TotalNumVgprs: 57
; ScratchSize: 0
; MemoryBound: 0
; FloatMode: 240
; IeeeMode: 1
; LDSByteSize: 28680 bytes/workgroup (compile time only)
; SGPRBlocks: 6
; VGPRBlocks: 7
; NumSGPRsForWavesPerEU: 50
; NumVGPRsForWavesPerEU: 57
; AccumOffset: 60
; Occupancy: 4
; WaveLimiterHint : 1
; COMPUTE_PGM_RSRC2:SCRATCH_EN: 0
; COMPUTE_PGM_RSRC2:USER_SGPR: 2
; COMPUTE_PGM_RSRC2:TRAP_HANDLER: 0
; COMPUTE_PGM_RSRC2:TGID_X_EN: 1
; COMPUTE_PGM_RSRC2:TGID_Y_EN: 0
; COMPUTE_PGM_RSRC2:TGID_Z_EN: 0
; COMPUTE_PGM_RSRC2:TIDIG_COMP_CNT: 0
; COMPUTE_PGM_RSRC3_GFX90A:ACCUM_OFFSET: 14
; COMPUTE_PGM_RSRC3_GFX90A:TG_SPLIT: 0
	.section	.text._ZN7rocprim17ROCPRIM_400000_NS6detail17trampoline_kernelINS0_14default_configENS1_25partition_config_selectorILNS1_17partition_subalgoE0EyNS0_10empty_typeEbEEZZNS1_14partition_implILS5_0ELb0ES3_jN6thrust23THRUST_200600_302600_NS6detail15normal_iteratorINSA_10device_ptrIyEEEEPS6_SG_NS0_5tupleIJSF_SF_EEENSH_IJSG_SG_EEES6_PlJ7is_evenIyEEEE10hipError_tPvRmT3_T4_T5_T6_T7_T9_mT8_P12ihipStream_tbDpT10_ENKUlT_T0_E_clISt17integral_constantIbLb1EES15_IbLb0EEEEDaS11_S12_EUlS11_E_NS1_11comp_targetILNS1_3genE4ELNS1_11target_archE910ELNS1_3gpuE8ELNS1_3repE0EEENS1_30default_config_static_selectorELNS0_4arch9wavefront6targetE1EEEvT1_,"axG",@progbits,_ZN7rocprim17ROCPRIM_400000_NS6detail17trampoline_kernelINS0_14default_configENS1_25partition_config_selectorILNS1_17partition_subalgoE0EyNS0_10empty_typeEbEEZZNS1_14partition_implILS5_0ELb0ES3_jN6thrust23THRUST_200600_302600_NS6detail15normal_iteratorINSA_10device_ptrIyEEEEPS6_SG_NS0_5tupleIJSF_SF_EEENSH_IJSG_SG_EEES6_PlJ7is_evenIyEEEE10hipError_tPvRmT3_T4_T5_T6_T7_T9_mT8_P12ihipStream_tbDpT10_ENKUlT_T0_E_clISt17integral_constantIbLb1EES15_IbLb0EEEEDaS11_S12_EUlS11_E_NS1_11comp_targetILNS1_3genE4ELNS1_11target_archE910ELNS1_3gpuE8ELNS1_3repE0EEENS1_30default_config_static_selectorELNS0_4arch9wavefront6targetE1EEEvT1_,comdat
	.protected	_ZN7rocprim17ROCPRIM_400000_NS6detail17trampoline_kernelINS0_14default_configENS1_25partition_config_selectorILNS1_17partition_subalgoE0EyNS0_10empty_typeEbEEZZNS1_14partition_implILS5_0ELb0ES3_jN6thrust23THRUST_200600_302600_NS6detail15normal_iteratorINSA_10device_ptrIyEEEEPS6_SG_NS0_5tupleIJSF_SF_EEENSH_IJSG_SG_EEES6_PlJ7is_evenIyEEEE10hipError_tPvRmT3_T4_T5_T6_T7_T9_mT8_P12ihipStream_tbDpT10_ENKUlT_T0_E_clISt17integral_constantIbLb1EES15_IbLb0EEEEDaS11_S12_EUlS11_E_NS1_11comp_targetILNS1_3genE4ELNS1_11target_archE910ELNS1_3gpuE8ELNS1_3repE0EEENS1_30default_config_static_selectorELNS0_4arch9wavefront6targetE1EEEvT1_ ; -- Begin function _ZN7rocprim17ROCPRIM_400000_NS6detail17trampoline_kernelINS0_14default_configENS1_25partition_config_selectorILNS1_17partition_subalgoE0EyNS0_10empty_typeEbEEZZNS1_14partition_implILS5_0ELb0ES3_jN6thrust23THRUST_200600_302600_NS6detail15normal_iteratorINSA_10device_ptrIyEEEEPS6_SG_NS0_5tupleIJSF_SF_EEENSH_IJSG_SG_EEES6_PlJ7is_evenIyEEEE10hipError_tPvRmT3_T4_T5_T6_T7_T9_mT8_P12ihipStream_tbDpT10_ENKUlT_T0_E_clISt17integral_constantIbLb1EES15_IbLb0EEEEDaS11_S12_EUlS11_E_NS1_11comp_targetILNS1_3genE4ELNS1_11target_archE910ELNS1_3gpuE8ELNS1_3repE0EEENS1_30default_config_static_selectorELNS0_4arch9wavefront6targetE1EEEvT1_
	.globl	_ZN7rocprim17ROCPRIM_400000_NS6detail17trampoline_kernelINS0_14default_configENS1_25partition_config_selectorILNS1_17partition_subalgoE0EyNS0_10empty_typeEbEEZZNS1_14partition_implILS5_0ELb0ES3_jN6thrust23THRUST_200600_302600_NS6detail15normal_iteratorINSA_10device_ptrIyEEEEPS6_SG_NS0_5tupleIJSF_SF_EEENSH_IJSG_SG_EEES6_PlJ7is_evenIyEEEE10hipError_tPvRmT3_T4_T5_T6_T7_T9_mT8_P12ihipStream_tbDpT10_ENKUlT_T0_E_clISt17integral_constantIbLb1EES15_IbLb0EEEEDaS11_S12_EUlS11_E_NS1_11comp_targetILNS1_3genE4ELNS1_11target_archE910ELNS1_3gpuE8ELNS1_3repE0EEENS1_30default_config_static_selectorELNS0_4arch9wavefront6targetE1EEEvT1_
	.p2align	8
	.type	_ZN7rocprim17ROCPRIM_400000_NS6detail17trampoline_kernelINS0_14default_configENS1_25partition_config_selectorILNS1_17partition_subalgoE0EyNS0_10empty_typeEbEEZZNS1_14partition_implILS5_0ELb0ES3_jN6thrust23THRUST_200600_302600_NS6detail15normal_iteratorINSA_10device_ptrIyEEEEPS6_SG_NS0_5tupleIJSF_SF_EEENSH_IJSG_SG_EEES6_PlJ7is_evenIyEEEE10hipError_tPvRmT3_T4_T5_T6_T7_T9_mT8_P12ihipStream_tbDpT10_ENKUlT_T0_E_clISt17integral_constantIbLb1EES15_IbLb0EEEEDaS11_S12_EUlS11_E_NS1_11comp_targetILNS1_3genE4ELNS1_11target_archE910ELNS1_3gpuE8ELNS1_3repE0EEENS1_30default_config_static_selectorELNS0_4arch9wavefront6targetE1EEEvT1_,@function
_ZN7rocprim17ROCPRIM_400000_NS6detail17trampoline_kernelINS0_14default_configENS1_25partition_config_selectorILNS1_17partition_subalgoE0EyNS0_10empty_typeEbEEZZNS1_14partition_implILS5_0ELb0ES3_jN6thrust23THRUST_200600_302600_NS6detail15normal_iteratorINSA_10device_ptrIyEEEEPS6_SG_NS0_5tupleIJSF_SF_EEENSH_IJSG_SG_EEES6_PlJ7is_evenIyEEEE10hipError_tPvRmT3_T4_T5_T6_T7_T9_mT8_P12ihipStream_tbDpT10_ENKUlT_T0_E_clISt17integral_constantIbLb1EES15_IbLb0EEEEDaS11_S12_EUlS11_E_NS1_11comp_targetILNS1_3genE4ELNS1_11target_archE910ELNS1_3gpuE8ELNS1_3repE0EEENS1_30default_config_static_selectorELNS0_4arch9wavefront6targetE1EEEvT1_: ; @_ZN7rocprim17ROCPRIM_400000_NS6detail17trampoline_kernelINS0_14default_configENS1_25partition_config_selectorILNS1_17partition_subalgoE0EyNS0_10empty_typeEbEEZZNS1_14partition_implILS5_0ELb0ES3_jN6thrust23THRUST_200600_302600_NS6detail15normal_iteratorINSA_10device_ptrIyEEEEPS6_SG_NS0_5tupleIJSF_SF_EEENSH_IJSG_SG_EEES6_PlJ7is_evenIyEEEE10hipError_tPvRmT3_T4_T5_T6_T7_T9_mT8_P12ihipStream_tbDpT10_ENKUlT_T0_E_clISt17integral_constantIbLb1EES15_IbLb0EEEEDaS11_S12_EUlS11_E_NS1_11comp_targetILNS1_3genE4ELNS1_11target_archE910ELNS1_3gpuE8ELNS1_3repE0EEENS1_30default_config_static_selectorELNS0_4arch9wavefront6targetE1EEEvT1_
; %bb.0:
	.section	.rodata,"a",@progbits
	.p2align	6, 0x0
	.amdhsa_kernel _ZN7rocprim17ROCPRIM_400000_NS6detail17trampoline_kernelINS0_14default_configENS1_25partition_config_selectorILNS1_17partition_subalgoE0EyNS0_10empty_typeEbEEZZNS1_14partition_implILS5_0ELb0ES3_jN6thrust23THRUST_200600_302600_NS6detail15normal_iteratorINSA_10device_ptrIyEEEEPS6_SG_NS0_5tupleIJSF_SF_EEENSH_IJSG_SG_EEES6_PlJ7is_evenIyEEEE10hipError_tPvRmT3_T4_T5_T6_T7_T9_mT8_P12ihipStream_tbDpT10_ENKUlT_T0_E_clISt17integral_constantIbLb1EES15_IbLb0EEEEDaS11_S12_EUlS11_E_NS1_11comp_targetILNS1_3genE4ELNS1_11target_archE910ELNS1_3gpuE8ELNS1_3repE0EEENS1_30default_config_static_selectorELNS0_4arch9wavefront6targetE1EEEvT1_
		.amdhsa_group_segment_fixed_size 0
		.amdhsa_private_segment_fixed_size 0
		.amdhsa_kernarg_size 120
		.amdhsa_user_sgpr_count 2
		.amdhsa_user_sgpr_dispatch_ptr 0
		.amdhsa_user_sgpr_queue_ptr 0
		.amdhsa_user_sgpr_kernarg_segment_ptr 1
		.amdhsa_user_sgpr_dispatch_id 0
		.amdhsa_user_sgpr_kernarg_preload_length 0
		.amdhsa_user_sgpr_kernarg_preload_offset 0
		.amdhsa_user_sgpr_private_segment_size 0
		.amdhsa_uses_dynamic_stack 0
		.amdhsa_enable_private_segment 0
		.amdhsa_system_sgpr_workgroup_id_x 1
		.amdhsa_system_sgpr_workgroup_id_y 0
		.amdhsa_system_sgpr_workgroup_id_z 0
		.amdhsa_system_sgpr_workgroup_info 0
		.amdhsa_system_vgpr_workitem_id 0
		.amdhsa_next_free_vgpr 1
		.amdhsa_next_free_sgpr 0
		.amdhsa_accum_offset 4
		.amdhsa_reserve_vcc 0
		.amdhsa_float_round_mode_32 0
		.amdhsa_float_round_mode_16_64 0
		.amdhsa_float_denorm_mode_32 3
		.amdhsa_float_denorm_mode_16_64 3
		.amdhsa_dx10_clamp 1
		.amdhsa_ieee_mode 1
		.amdhsa_fp16_overflow 0
		.amdhsa_tg_split 0
		.amdhsa_exception_fp_ieee_invalid_op 0
		.amdhsa_exception_fp_denorm_src 0
		.amdhsa_exception_fp_ieee_div_zero 0
		.amdhsa_exception_fp_ieee_overflow 0
		.amdhsa_exception_fp_ieee_underflow 0
		.amdhsa_exception_fp_ieee_inexact 0
		.amdhsa_exception_int_div_zero 0
	.end_amdhsa_kernel
	.section	.text._ZN7rocprim17ROCPRIM_400000_NS6detail17trampoline_kernelINS0_14default_configENS1_25partition_config_selectorILNS1_17partition_subalgoE0EyNS0_10empty_typeEbEEZZNS1_14partition_implILS5_0ELb0ES3_jN6thrust23THRUST_200600_302600_NS6detail15normal_iteratorINSA_10device_ptrIyEEEEPS6_SG_NS0_5tupleIJSF_SF_EEENSH_IJSG_SG_EEES6_PlJ7is_evenIyEEEE10hipError_tPvRmT3_T4_T5_T6_T7_T9_mT8_P12ihipStream_tbDpT10_ENKUlT_T0_E_clISt17integral_constantIbLb1EES15_IbLb0EEEEDaS11_S12_EUlS11_E_NS1_11comp_targetILNS1_3genE4ELNS1_11target_archE910ELNS1_3gpuE8ELNS1_3repE0EEENS1_30default_config_static_selectorELNS0_4arch9wavefront6targetE1EEEvT1_,"axG",@progbits,_ZN7rocprim17ROCPRIM_400000_NS6detail17trampoline_kernelINS0_14default_configENS1_25partition_config_selectorILNS1_17partition_subalgoE0EyNS0_10empty_typeEbEEZZNS1_14partition_implILS5_0ELb0ES3_jN6thrust23THRUST_200600_302600_NS6detail15normal_iteratorINSA_10device_ptrIyEEEEPS6_SG_NS0_5tupleIJSF_SF_EEENSH_IJSG_SG_EEES6_PlJ7is_evenIyEEEE10hipError_tPvRmT3_T4_T5_T6_T7_T9_mT8_P12ihipStream_tbDpT10_ENKUlT_T0_E_clISt17integral_constantIbLb1EES15_IbLb0EEEEDaS11_S12_EUlS11_E_NS1_11comp_targetILNS1_3genE4ELNS1_11target_archE910ELNS1_3gpuE8ELNS1_3repE0EEENS1_30default_config_static_selectorELNS0_4arch9wavefront6targetE1EEEvT1_,comdat
.Lfunc_end2122:
	.size	_ZN7rocprim17ROCPRIM_400000_NS6detail17trampoline_kernelINS0_14default_configENS1_25partition_config_selectorILNS1_17partition_subalgoE0EyNS0_10empty_typeEbEEZZNS1_14partition_implILS5_0ELb0ES3_jN6thrust23THRUST_200600_302600_NS6detail15normal_iteratorINSA_10device_ptrIyEEEEPS6_SG_NS0_5tupleIJSF_SF_EEENSH_IJSG_SG_EEES6_PlJ7is_evenIyEEEE10hipError_tPvRmT3_T4_T5_T6_T7_T9_mT8_P12ihipStream_tbDpT10_ENKUlT_T0_E_clISt17integral_constantIbLb1EES15_IbLb0EEEEDaS11_S12_EUlS11_E_NS1_11comp_targetILNS1_3genE4ELNS1_11target_archE910ELNS1_3gpuE8ELNS1_3repE0EEENS1_30default_config_static_selectorELNS0_4arch9wavefront6targetE1EEEvT1_, .Lfunc_end2122-_ZN7rocprim17ROCPRIM_400000_NS6detail17trampoline_kernelINS0_14default_configENS1_25partition_config_selectorILNS1_17partition_subalgoE0EyNS0_10empty_typeEbEEZZNS1_14partition_implILS5_0ELb0ES3_jN6thrust23THRUST_200600_302600_NS6detail15normal_iteratorINSA_10device_ptrIyEEEEPS6_SG_NS0_5tupleIJSF_SF_EEENSH_IJSG_SG_EEES6_PlJ7is_evenIyEEEE10hipError_tPvRmT3_T4_T5_T6_T7_T9_mT8_P12ihipStream_tbDpT10_ENKUlT_T0_E_clISt17integral_constantIbLb1EES15_IbLb0EEEEDaS11_S12_EUlS11_E_NS1_11comp_targetILNS1_3genE4ELNS1_11target_archE910ELNS1_3gpuE8ELNS1_3repE0EEENS1_30default_config_static_selectorELNS0_4arch9wavefront6targetE1EEEvT1_
                                        ; -- End function
	.section	.AMDGPU.csdata,"",@progbits
; Kernel info:
; codeLenInByte = 0
; NumSgprs: 6
; NumVgprs: 0
; NumAgprs: 0
; TotalNumVgprs: 0
; ScratchSize: 0
; MemoryBound: 0
; FloatMode: 240
; IeeeMode: 1
; LDSByteSize: 0 bytes/workgroup (compile time only)
; SGPRBlocks: 0
; VGPRBlocks: 0
; NumSGPRsForWavesPerEU: 6
; NumVGPRsForWavesPerEU: 1
; AccumOffset: 4
; Occupancy: 8
; WaveLimiterHint : 0
; COMPUTE_PGM_RSRC2:SCRATCH_EN: 0
; COMPUTE_PGM_RSRC2:USER_SGPR: 2
; COMPUTE_PGM_RSRC2:TRAP_HANDLER: 0
; COMPUTE_PGM_RSRC2:TGID_X_EN: 1
; COMPUTE_PGM_RSRC2:TGID_Y_EN: 0
; COMPUTE_PGM_RSRC2:TGID_Z_EN: 0
; COMPUTE_PGM_RSRC2:TIDIG_COMP_CNT: 0
; COMPUTE_PGM_RSRC3_GFX90A:ACCUM_OFFSET: 0
; COMPUTE_PGM_RSRC3_GFX90A:TG_SPLIT: 0
	.section	.text._ZN7rocprim17ROCPRIM_400000_NS6detail17trampoline_kernelINS0_14default_configENS1_25partition_config_selectorILNS1_17partition_subalgoE0EyNS0_10empty_typeEbEEZZNS1_14partition_implILS5_0ELb0ES3_jN6thrust23THRUST_200600_302600_NS6detail15normal_iteratorINSA_10device_ptrIyEEEEPS6_SG_NS0_5tupleIJSF_SF_EEENSH_IJSG_SG_EEES6_PlJ7is_evenIyEEEE10hipError_tPvRmT3_T4_T5_T6_T7_T9_mT8_P12ihipStream_tbDpT10_ENKUlT_T0_E_clISt17integral_constantIbLb1EES15_IbLb0EEEEDaS11_S12_EUlS11_E_NS1_11comp_targetILNS1_3genE3ELNS1_11target_archE908ELNS1_3gpuE7ELNS1_3repE0EEENS1_30default_config_static_selectorELNS0_4arch9wavefront6targetE1EEEvT1_,"axG",@progbits,_ZN7rocprim17ROCPRIM_400000_NS6detail17trampoline_kernelINS0_14default_configENS1_25partition_config_selectorILNS1_17partition_subalgoE0EyNS0_10empty_typeEbEEZZNS1_14partition_implILS5_0ELb0ES3_jN6thrust23THRUST_200600_302600_NS6detail15normal_iteratorINSA_10device_ptrIyEEEEPS6_SG_NS0_5tupleIJSF_SF_EEENSH_IJSG_SG_EEES6_PlJ7is_evenIyEEEE10hipError_tPvRmT3_T4_T5_T6_T7_T9_mT8_P12ihipStream_tbDpT10_ENKUlT_T0_E_clISt17integral_constantIbLb1EES15_IbLb0EEEEDaS11_S12_EUlS11_E_NS1_11comp_targetILNS1_3genE3ELNS1_11target_archE908ELNS1_3gpuE7ELNS1_3repE0EEENS1_30default_config_static_selectorELNS0_4arch9wavefront6targetE1EEEvT1_,comdat
	.protected	_ZN7rocprim17ROCPRIM_400000_NS6detail17trampoline_kernelINS0_14default_configENS1_25partition_config_selectorILNS1_17partition_subalgoE0EyNS0_10empty_typeEbEEZZNS1_14partition_implILS5_0ELb0ES3_jN6thrust23THRUST_200600_302600_NS6detail15normal_iteratorINSA_10device_ptrIyEEEEPS6_SG_NS0_5tupleIJSF_SF_EEENSH_IJSG_SG_EEES6_PlJ7is_evenIyEEEE10hipError_tPvRmT3_T4_T5_T6_T7_T9_mT8_P12ihipStream_tbDpT10_ENKUlT_T0_E_clISt17integral_constantIbLb1EES15_IbLb0EEEEDaS11_S12_EUlS11_E_NS1_11comp_targetILNS1_3genE3ELNS1_11target_archE908ELNS1_3gpuE7ELNS1_3repE0EEENS1_30default_config_static_selectorELNS0_4arch9wavefront6targetE1EEEvT1_ ; -- Begin function _ZN7rocprim17ROCPRIM_400000_NS6detail17trampoline_kernelINS0_14default_configENS1_25partition_config_selectorILNS1_17partition_subalgoE0EyNS0_10empty_typeEbEEZZNS1_14partition_implILS5_0ELb0ES3_jN6thrust23THRUST_200600_302600_NS6detail15normal_iteratorINSA_10device_ptrIyEEEEPS6_SG_NS0_5tupleIJSF_SF_EEENSH_IJSG_SG_EEES6_PlJ7is_evenIyEEEE10hipError_tPvRmT3_T4_T5_T6_T7_T9_mT8_P12ihipStream_tbDpT10_ENKUlT_T0_E_clISt17integral_constantIbLb1EES15_IbLb0EEEEDaS11_S12_EUlS11_E_NS1_11comp_targetILNS1_3genE3ELNS1_11target_archE908ELNS1_3gpuE7ELNS1_3repE0EEENS1_30default_config_static_selectorELNS0_4arch9wavefront6targetE1EEEvT1_
	.globl	_ZN7rocprim17ROCPRIM_400000_NS6detail17trampoline_kernelINS0_14default_configENS1_25partition_config_selectorILNS1_17partition_subalgoE0EyNS0_10empty_typeEbEEZZNS1_14partition_implILS5_0ELb0ES3_jN6thrust23THRUST_200600_302600_NS6detail15normal_iteratorINSA_10device_ptrIyEEEEPS6_SG_NS0_5tupleIJSF_SF_EEENSH_IJSG_SG_EEES6_PlJ7is_evenIyEEEE10hipError_tPvRmT3_T4_T5_T6_T7_T9_mT8_P12ihipStream_tbDpT10_ENKUlT_T0_E_clISt17integral_constantIbLb1EES15_IbLb0EEEEDaS11_S12_EUlS11_E_NS1_11comp_targetILNS1_3genE3ELNS1_11target_archE908ELNS1_3gpuE7ELNS1_3repE0EEENS1_30default_config_static_selectorELNS0_4arch9wavefront6targetE1EEEvT1_
	.p2align	8
	.type	_ZN7rocprim17ROCPRIM_400000_NS6detail17trampoline_kernelINS0_14default_configENS1_25partition_config_selectorILNS1_17partition_subalgoE0EyNS0_10empty_typeEbEEZZNS1_14partition_implILS5_0ELb0ES3_jN6thrust23THRUST_200600_302600_NS6detail15normal_iteratorINSA_10device_ptrIyEEEEPS6_SG_NS0_5tupleIJSF_SF_EEENSH_IJSG_SG_EEES6_PlJ7is_evenIyEEEE10hipError_tPvRmT3_T4_T5_T6_T7_T9_mT8_P12ihipStream_tbDpT10_ENKUlT_T0_E_clISt17integral_constantIbLb1EES15_IbLb0EEEEDaS11_S12_EUlS11_E_NS1_11comp_targetILNS1_3genE3ELNS1_11target_archE908ELNS1_3gpuE7ELNS1_3repE0EEENS1_30default_config_static_selectorELNS0_4arch9wavefront6targetE1EEEvT1_,@function
_ZN7rocprim17ROCPRIM_400000_NS6detail17trampoline_kernelINS0_14default_configENS1_25partition_config_selectorILNS1_17partition_subalgoE0EyNS0_10empty_typeEbEEZZNS1_14partition_implILS5_0ELb0ES3_jN6thrust23THRUST_200600_302600_NS6detail15normal_iteratorINSA_10device_ptrIyEEEEPS6_SG_NS0_5tupleIJSF_SF_EEENSH_IJSG_SG_EEES6_PlJ7is_evenIyEEEE10hipError_tPvRmT3_T4_T5_T6_T7_T9_mT8_P12ihipStream_tbDpT10_ENKUlT_T0_E_clISt17integral_constantIbLb1EES15_IbLb0EEEEDaS11_S12_EUlS11_E_NS1_11comp_targetILNS1_3genE3ELNS1_11target_archE908ELNS1_3gpuE7ELNS1_3repE0EEENS1_30default_config_static_selectorELNS0_4arch9wavefront6targetE1EEEvT1_: ; @_ZN7rocprim17ROCPRIM_400000_NS6detail17trampoline_kernelINS0_14default_configENS1_25partition_config_selectorILNS1_17partition_subalgoE0EyNS0_10empty_typeEbEEZZNS1_14partition_implILS5_0ELb0ES3_jN6thrust23THRUST_200600_302600_NS6detail15normal_iteratorINSA_10device_ptrIyEEEEPS6_SG_NS0_5tupleIJSF_SF_EEENSH_IJSG_SG_EEES6_PlJ7is_evenIyEEEE10hipError_tPvRmT3_T4_T5_T6_T7_T9_mT8_P12ihipStream_tbDpT10_ENKUlT_T0_E_clISt17integral_constantIbLb1EES15_IbLb0EEEEDaS11_S12_EUlS11_E_NS1_11comp_targetILNS1_3genE3ELNS1_11target_archE908ELNS1_3gpuE7ELNS1_3repE0EEENS1_30default_config_static_selectorELNS0_4arch9wavefront6targetE1EEEvT1_
; %bb.0:
	.section	.rodata,"a",@progbits
	.p2align	6, 0x0
	.amdhsa_kernel _ZN7rocprim17ROCPRIM_400000_NS6detail17trampoline_kernelINS0_14default_configENS1_25partition_config_selectorILNS1_17partition_subalgoE0EyNS0_10empty_typeEbEEZZNS1_14partition_implILS5_0ELb0ES3_jN6thrust23THRUST_200600_302600_NS6detail15normal_iteratorINSA_10device_ptrIyEEEEPS6_SG_NS0_5tupleIJSF_SF_EEENSH_IJSG_SG_EEES6_PlJ7is_evenIyEEEE10hipError_tPvRmT3_T4_T5_T6_T7_T9_mT8_P12ihipStream_tbDpT10_ENKUlT_T0_E_clISt17integral_constantIbLb1EES15_IbLb0EEEEDaS11_S12_EUlS11_E_NS1_11comp_targetILNS1_3genE3ELNS1_11target_archE908ELNS1_3gpuE7ELNS1_3repE0EEENS1_30default_config_static_selectorELNS0_4arch9wavefront6targetE1EEEvT1_
		.amdhsa_group_segment_fixed_size 0
		.amdhsa_private_segment_fixed_size 0
		.amdhsa_kernarg_size 120
		.amdhsa_user_sgpr_count 2
		.amdhsa_user_sgpr_dispatch_ptr 0
		.amdhsa_user_sgpr_queue_ptr 0
		.amdhsa_user_sgpr_kernarg_segment_ptr 1
		.amdhsa_user_sgpr_dispatch_id 0
		.amdhsa_user_sgpr_kernarg_preload_length 0
		.amdhsa_user_sgpr_kernarg_preload_offset 0
		.amdhsa_user_sgpr_private_segment_size 0
		.amdhsa_uses_dynamic_stack 0
		.amdhsa_enable_private_segment 0
		.amdhsa_system_sgpr_workgroup_id_x 1
		.amdhsa_system_sgpr_workgroup_id_y 0
		.amdhsa_system_sgpr_workgroup_id_z 0
		.amdhsa_system_sgpr_workgroup_info 0
		.amdhsa_system_vgpr_workitem_id 0
		.amdhsa_next_free_vgpr 1
		.amdhsa_next_free_sgpr 0
		.amdhsa_accum_offset 4
		.amdhsa_reserve_vcc 0
		.amdhsa_float_round_mode_32 0
		.amdhsa_float_round_mode_16_64 0
		.amdhsa_float_denorm_mode_32 3
		.amdhsa_float_denorm_mode_16_64 3
		.amdhsa_dx10_clamp 1
		.amdhsa_ieee_mode 1
		.amdhsa_fp16_overflow 0
		.amdhsa_tg_split 0
		.amdhsa_exception_fp_ieee_invalid_op 0
		.amdhsa_exception_fp_denorm_src 0
		.amdhsa_exception_fp_ieee_div_zero 0
		.amdhsa_exception_fp_ieee_overflow 0
		.amdhsa_exception_fp_ieee_underflow 0
		.amdhsa_exception_fp_ieee_inexact 0
		.amdhsa_exception_int_div_zero 0
	.end_amdhsa_kernel
	.section	.text._ZN7rocprim17ROCPRIM_400000_NS6detail17trampoline_kernelINS0_14default_configENS1_25partition_config_selectorILNS1_17partition_subalgoE0EyNS0_10empty_typeEbEEZZNS1_14partition_implILS5_0ELb0ES3_jN6thrust23THRUST_200600_302600_NS6detail15normal_iteratorINSA_10device_ptrIyEEEEPS6_SG_NS0_5tupleIJSF_SF_EEENSH_IJSG_SG_EEES6_PlJ7is_evenIyEEEE10hipError_tPvRmT3_T4_T5_T6_T7_T9_mT8_P12ihipStream_tbDpT10_ENKUlT_T0_E_clISt17integral_constantIbLb1EES15_IbLb0EEEEDaS11_S12_EUlS11_E_NS1_11comp_targetILNS1_3genE3ELNS1_11target_archE908ELNS1_3gpuE7ELNS1_3repE0EEENS1_30default_config_static_selectorELNS0_4arch9wavefront6targetE1EEEvT1_,"axG",@progbits,_ZN7rocprim17ROCPRIM_400000_NS6detail17trampoline_kernelINS0_14default_configENS1_25partition_config_selectorILNS1_17partition_subalgoE0EyNS0_10empty_typeEbEEZZNS1_14partition_implILS5_0ELb0ES3_jN6thrust23THRUST_200600_302600_NS6detail15normal_iteratorINSA_10device_ptrIyEEEEPS6_SG_NS0_5tupleIJSF_SF_EEENSH_IJSG_SG_EEES6_PlJ7is_evenIyEEEE10hipError_tPvRmT3_T4_T5_T6_T7_T9_mT8_P12ihipStream_tbDpT10_ENKUlT_T0_E_clISt17integral_constantIbLb1EES15_IbLb0EEEEDaS11_S12_EUlS11_E_NS1_11comp_targetILNS1_3genE3ELNS1_11target_archE908ELNS1_3gpuE7ELNS1_3repE0EEENS1_30default_config_static_selectorELNS0_4arch9wavefront6targetE1EEEvT1_,comdat
.Lfunc_end2123:
	.size	_ZN7rocprim17ROCPRIM_400000_NS6detail17trampoline_kernelINS0_14default_configENS1_25partition_config_selectorILNS1_17partition_subalgoE0EyNS0_10empty_typeEbEEZZNS1_14partition_implILS5_0ELb0ES3_jN6thrust23THRUST_200600_302600_NS6detail15normal_iteratorINSA_10device_ptrIyEEEEPS6_SG_NS0_5tupleIJSF_SF_EEENSH_IJSG_SG_EEES6_PlJ7is_evenIyEEEE10hipError_tPvRmT3_T4_T5_T6_T7_T9_mT8_P12ihipStream_tbDpT10_ENKUlT_T0_E_clISt17integral_constantIbLb1EES15_IbLb0EEEEDaS11_S12_EUlS11_E_NS1_11comp_targetILNS1_3genE3ELNS1_11target_archE908ELNS1_3gpuE7ELNS1_3repE0EEENS1_30default_config_static_selectorELNS0_4arch9wavefront6targetE1EEEvT1_, .Lfunc_end2123-_ZN7rocprim17ROCPRIM_400000_NS6detail17trampoline_kernelINS0_14default_configENS1_25partition_config_selectorILNS1_17partition_subalgoE0EyNS0_10empty_typeEbEEZZNS1_14partition_implILS5_0ELb0ES3_jN6thrust23THRUST_200600_302600_NS6detail15normal_iteratorINSA_10device_ptrIyEEEEPS6_SG_NS0_5tupleIJSF_SF_EEENSH_IJSG_SG_EEES6_PlJ7is_evenIyEEEE10hipError_tPvRmT3_T4_T5_T6_T7_T9_mT8_P12ihipStream_tbDpT10_ENKUlT_T0_E_clISt17integral_constantIbLb1EES15_IbLb0EEEEDaS11_S12_EUlS11_E_NS1_11comp_targetILNS1_3genE3ELNS1_11target_archE908ELNS1_3gpuE7ELNS1_3repE0EEENS1_30default_config_static_selectorELNS0_4arch9wavefront6targetE1EEEvT1_
                                        ; -- End function
	.section	.AMDGPU.csdata,"",@progbits
; Kernel info:
; codeLenInByte = 0
; NumSgprs: 6
; NumVgprs: 0
; NumAgprs: 0
; TotalNumVgprs: 0
; ScratchSize: 0
; MemoryBound: 0
; FloatMode: 240
; IeeeMode: 1
; LDSByteSize: 0 bytes/workgroup (compile time only)
; SGPRBlocks: 0
; VGPRBlocks: 0
; NumSGPRsForWavesPerEU: 6
; NumVGPRsForWavesPerEU: 1
; AccumOffset: 4
; Occupancy: 8
; WaveLimiterHint : 0
; COMPUTE_PGM_RSRC2:SCRATCH_EN: 0
; COMPUTE_PGM_RSRC2:USER_SGPR: 2
; COMPUTE_PGM_RSRC2:TRAP_HANDLER: 0
; COMPUTE_PGM_RSRC2:TGID_X_EN: 1
; COMPUTE_PGM_RSRC2:TGID_Y_EN: 0
; COMPUTE_PGM_RSRC2:TGID_Z_EN: 0
; COMPUTE_PGM_RSRC2:TIDIG_COMP_CNT: 0
; COMPUTE_PGM_RSRC3_GFX90A:ACCUM_OFFSET: 0
; COMPUTE_PGM_RSRC3_GFX90A:TG_SPLIT: 0
	.section	.text._ZN7rocprim17ROCPRIM_400000_NS6detail17trampoline_kernelINS0_14default_configENS1_25partition_config_selectorILNS1_17partition_subalgoE0EyNS0_10empty_typeEbEEZZNS1_14partition_implILS5_0ELb0ES3_jN6thrust23THRUST_200600_302600_NS6detail15normal_iteratorINSA_10device_ptrIyEEEEPS6_SG_NS0_5tupleIJSF_SF_EEENSH_IJSG_SG_EEES6_PlJ7is_evenIyEEEE10hipError_tPvRmT3_T4_T5_T6_T7_T9_mT8_P12ihipStream_tbDpT10_ENKUlT_T0_E_clISt17integral_constantIbLb1EES15_IbLb0EEEEDaS11_S12_EUlS11_E_NS1_11comp_targetILNS1_3genE2ELNS1_11target_archE906ELNS1_3gpuE6ELNS1_3repE0EEENS1_30default_config_static_selectorELNS0_4arch9wavefront6targetE1EEEvT1_,"axG",@progbits,_ZN7rocprim17ROCPRIM_400000_NS6detail17trampoline_kernelINS0_14default_configENS1_25partition_config_selectorILNS1_17partition_subalgoE0EyNS0_10empty_typeEbEEZZNS1_14partition_implILS5_0ELb0ES3_jN6thrust23THRUST_200600_302600_NS6detail15normal_iteratorINSA_10device_ptrIyEEEEPS6_SG_NS0_5tupleIJSF_SF_EEENSH_IJSG_SG_EEES6_PlJ7is_evenIyEEEE10hipError_tPvRmT3_T4_T5_T6_T7_T9_mT8_P12ihipStream_tbDpT10_ENKUlT_T0_E_clISt17integral_constantIbLb1EES15_IbLb0EEEEDaS11_S12_EUlS11_E_NS1_11comp_targetILNS1_3genE2ELNS1_11target_archE906ELNS1_3gpuE6ELNS1_3repE0EEENS1_30default_config_static_selectorELNS0_4arch9wavefront6targetE1EEEvT1_,comdat
	.protected	_ZN7rocprim17ROCPRIM_400000_NS6detail17trampoline_kernelINS0_14default_configENS1_25partition_config_selectorILNS1_17partition_subalgoE0EyNS0_10empty_typeEbEEZZNS1_14partition_implILS5_0ELb0ES3_jN6thrust23THRUST_200600_302600_NS6detail15normal_iteratorINSA_10device_ptrIyEEEEPS6_SG_NS0_5tupleIJSF_SF_EEENSH_IJSG_SG_EEES6_PlJ7is_evenIyEEEE10hipError_tPvRmT3_T4_T5_T6_T7_T9_mT8_P12ihipStream_tbDpT10_ENKUlT_T0_E_clISt17integral_constantIbLb1EES15_IbLb0EEEEDaS11_S12_EUlS11_E_NS1_11comp_targetILNS1_3genE2ELNS1_11target_archE906ELNS1_3gpuE6ELNS1_3repE0EEENS1_30default_config_static_selectorELNS0_4arch9wavefront6targetE1EEEvT1_ ; -- Begin function _ZN7rocprim17ROCPRIM_400000_NS6detail17trampoline_kernelINS0_14default_configENS1_25partition_config_selectorILNS1_17partition_subalgoE0EyNS0_10empty_typeEbEEZZNS1_14partition_implILS5_0ELb0ES3_jN6thrust23THRUST_200600_302600_NS6detail15normal_iteratorINSA_10device_ptrIyEEEEPS6_SG_NS0_5tupleIJSF_SF_EEENSH_IJSG_SG_EEES6_PlJ7is_evenIyEEEE10hipError_tPvRmT3_T4_T5_T6_T7_T9_mT8_P12ihipStream_tbDpT10_ENKUlT_T0_E_clISt17integral_constantIbLb1EES15_IbLb0EEEEDaS11_S12_EUlS11_E_NS1_11comp_targetILNS1_3genE2ELNS1_11target_archE906ELNS1_3gpuE6ELNS1_3repE0EEENS1_30default_config_static_selectorELNS0_4arch9wavefront6targetE1EEEvT1_
	.globl	_ZN7rocprim17ROCPRIM_400000_NS6detail17trampoline_kernelINS0_14default_configENS1_25partition_config_selectorILNS1_17partition_subalgoE0EyNS0_10empty_typeEbEEZZNS1_14partition_implILS5_0ELb0ES3_jN6thrust23THRUST_200600_302600_NS6detail15normal_iteratorINSA_10device_ptrIyEEEEPS6_SG_NS0_5tupleIJSF_SF_EEENSH_IJSG_SG_EEES6_PlJ7is_evenIyEEEE10hipError_tPvRmT3_T4_T5_T6_T7_T9_mT8_P12ihipStream_tbDpT10_ENKUlT_T0_E_clISt17integral_constantIbLb1EES15_IbLb0EEEEDaS11_S12_EUlS11_E_NS1_11comp_targetILNS1_3genE2ELNS1_11target_archE906ELNS1_3gpuE6ELNS1_3repE0EEENS1_30default_config_static_selectorELNS0_4arch9wavefront6targetE1EEEvT1_
	.p2align	8
	.type	_ZN7rocprim17ROCPRIM_400000_NS6detail17trampoline_kernelINS0_14default_configENS1_25partition_config_selectorILNS1_17partition_subalgoE0EyNS0_10empty_typeEbEEZZNS1_14partition_implILS5_0ELb0ES3_jN6thrust23THRUST_200600_302600_NS6detail15normal_iteratorINSA_10device_ptrIyEEEEPS6_SG_NS0_5tupleIJSF_SF_EEENSH_IJSG_SG_EEES6_PlJ7is_evenIyEEEE10hipError_tPvRmT3_T4_T5_T6_T7_T9_mT8_P12ihipStream_tbDpT10_ENKUlT_T0_E_clISt17integral_constantIbLb1EES15_IbLb0EEEEDaS11_S12_EUlS11_E_NS1_11comp_targetILNS1_3genE2ELNS1_11target_archE906ELNS1_3gpuE6ELNS1_3repE0EEENS1_30default_config_static_selectorELNS0_4arch9wavefront6targetE1EEEvT1_,@function
_ZN7rocprim17ROCPRIM_400000_NS6detail17trampoline_kernelINS0_14default_configENS1_25partition_config_selectorILNS1_17partition_subalgoE0EyNS0_10empty_typeEbEEZZNS1_14partition_implILS5_0ELb0ES3_jN6thrust23THRUST_200600_302600_NS6detail15normal_iteratorINSA_10device_ptrIyEEEEPS6_SG_NS0_5tupleIJSF_SF_EEENSH_IJSG_SG_EEES6_PlJ7is_evenIyEEEE10hipError_tPvRmT3_T4_T5_T6_T7_T9_mT8_P12ihipStream_tbDpT10_ENKUlT_T0_E_clISt17integral_constantIbLb1EES15_IbLb0EEEEDaS11_S12_EUlS11_E_NS1_11comp_targetILNS1_3genE2ELNS1_11target_archE906ELNS1_3gpuE6ELNS1_3repE0EEENS1_30default_config_static_selectorELNS0_4arch9wavefront6targetE1EEEvT1_: ; @_ZN7rocprim17ROCPRIM_400000_NS6detail17trampoline_kernelINS0_14default_configENS1_25partition_config_selectorILNS1_17partition_subalgoE0EyNS0_10empty_typeEbEEZZNS1_14partition_implILS5_0ELb0ES3_jN6thrust23THRUST_200600_302600_NS6detail15normal_iteratorINSA_10device_ptrIyEEEEPS6_SG_NS0_5tupleIJSF_SF_EEENSH_IJSG_SG_EEES6_PlJ7is_evenIyEEEE10hipError_tPvRmT3_T4_T5_T6_T7_T9_mT8_P12ihipStream_tbDpT10_ENKUlT_T0_E_clISt17integral_constantIbLb1EES15_IbLb0EEEEDaS11_S12_EUlS11_E_NS1_11comp_targetILNS1_3genE2ELNS1_11target_archE906ELNS1_3gpuE6ELNS1_3repE0EEENS1_30default_config_static_selectorELNS0_4arch9wavefront6targetE1EEEvT1_
; %bb.0:
	.section	.rodata,"a",@progbits
	.p2align	6, 0x0
	.amdhsa_kernel _ZN7rocprim17ROCPRIM_400000_NS6detail17trampoline_kernelINS0_14default_configENS1_25partition_config_selectorILNS1_17partition_subalgoE0EyNS0_10empty_typeEbEEZZNS1_14partition_implILS5_0ELb0ES3_jN6thrust23THRUST_200600_302600_NS6detail15normal_iteratorINSA_10device_ptrIyEEEEPS6_SG_NS0_5tupleIJSF_SF_EEENSH_IJSG_SG_EEES6_PlJ7is_evenIyEEEE10hipError_tPvRmT3_T4_T5_T6_T7_T9_mT8_P12ihipStream_tbDpT10_ENKUlT_T0_E_clISt17integral_constantIbLb1EES15_IbLb0EEEEDaS11_S12_EUlS11_E_NS1_11comp_targetILNS1_3genE2ELNS1_11target_archE906ELNS1_3gpuE6ELNS1_3repE0EEENS1_30default_config_static_selectorELNS0_4arch9wavefront6targetE1EEEvT1_
		.amdhsa_group_segment_fixed_size 0
		.amdhsa_private_segment_fixed_size 0
		.amdhsa_kernarg_size 120
		.amdhsa_user_sgpr_count 2
		.amdhsa_user_sgpr_dispatch_ptr 0
		.amdhsa_user_sgpr_queue_ptr 0
		.amdhsa_user_sgpr_kernarg_segment_ptr 1
		.amdhsa_user_sgpr_dispatch_id 0
		.amdhsa_user_sgpr_kernarg_preload_length 0
		.amdhsa_user_sgpr_kernarg_preload_offset 0
		.amdhsa_user_sgpr_private_segment_size 0
		.amdhsa_uses_dynamic_stack 0
		.amdhsa_enable_private_segment 0
		.amdhsa_system_sgpr_workgroup_id_x 1
		.amdhsa_system_sgpr_workgroup_id_y 0
		.amdhsa_system_sgpr_workgroup_id_z 0
		.amdhsa_system_sgpr_workgroup_info 0
		.amdhsa_system_vgpr_workitem_id 0
		.amdhsa_next_free_vgpr 1
		.amdhsa_next_free_sgpr 0
		.amdhsa_accum_offset 4
		.amdhsa_reserve_vcc 0
		.amdhsa_float_round_mode_32 0
		.amdhsa_float_round_mode_16_64 0
		.amdhsa_float_denorm_mode_32 3
		.amdhsa_float_denorm_mode_16_64 3
		.amdhsa_dx10_clamp 1
		.amdhsa_ieee_mode 1
		.amdhsa_fp16_overflow 0
		.amdhsa_tg_split 0
		.amdhsa_exception_fp_ieee_invalid_op 0
		.amdhsa_exception_fp_denorm_src 0
		.amdhsa_exception_fp_ieee_div_zero 0
		.amdhsa_exception_fp_ieee_overflow 0
		.amdhsa_exception_fp_ieee_underflow 0
		.amdhsa_exception_fp_ieee_inexact 0
		.amdhsa_exception_int_div_zero 0
	.end_amdhsa_kernel
	.section	.text._ZN7rocprim17ROCPRIM_400000_NS6detail17trampoline_kernelINS0_14default_configENS1_25partition_config_selectorILNS1_17partition_subalgoE0EyNS0_10empty_typeEbEEZZNS1_14partition_implILS5_0ELb0ES3_jN6thrust23THRUST_200600_302600_NS6detail15normal_iteratorINSA_10device_ptrIyEEEEPS6_SG_NS0_5tupleIJSF_SF_EEENSH_IJSG_SG_EEES6_PlJ7is_evenIyEEEE10hipError_tPvRmT3_T4_T5_T6_T7_T9_mT8_P12ihipStream_tbDpT10_ENKUlT_T0_E_clISt17integral_constantIbLb1EES15_IbLb0EEEEDaS11_S12_EUlS11_E_NS1_11comp_targetILNS1_3genE2ELNS1_11target_archE906ELNS1_3gpuE6ELNS1_3repE0EEENS1_30default_config_static_selectorELNS0_4arch9wavefront6targetE1EEEvT1_,"axG",@progbits,_ZN7rocprim17ROCPRIM_400000_NS6detail17trampoline_kernelINS0_14default_configENS1_25partition_config_selectorILNS1_17partition_subalgoE0EyNS0_10empty_typeEbEEZZNS1_14partition_implILS5_0ELb0ES3_jN6thrust23THRUST_200600_302600_NS6detail15normal_iteratorINSA_10device_ptrIyEEEEPS6_SG_NS0_5tupleIJSF_SF_EEENSH_IJSG_SG_EEES6_PlJ7is_evenIyEEEE10hipError_tPvRmT3_T4_T5_T6_T7_T9_mT8_P12ihipStream_tbDpT10_ENKUlT_T0_E_clISt17integral_constantIbLb1EES15_IbLb0EEEEDaS11_S12_EUlS11_E_NS1_11comp_targetILNS1_3genE2ELNS1_11target_archE906ELNS1_3gpuE6ELNS1_3repE0EEENS1_30default_config_static_selectorELNS0_4arch9wavefront6targetE1EEEvT1_,comdat
.Lfunc_end2124:
	.size	_ZN7rocprim17ROCPRIM_400000_NS6detail17trampoline_kernelINS0_14default_configENS1_25partition_config_selectorILNS1_17partition_subalgoE0EyNS0_10empty_typeEbEEZZNS1_14partition_implILS5_0ELb0ES3_jN6thrust23THRUST_200600_302600_NS6detail15normal_iteratorINSA_10device_ptrIyEEEEPS6_SG_NS0_5tupleIJSF_SF_EEENSH_IJSG_SG_EEES6_PlJ7is_evenIyEEEE10hipError_tPvRmT3_T4_T5_T6_T7_T9_mT8_P12ihipStream_tbDpT10_ENKUlT_T0_E_clISt17integral_constantIbLb1EES15_IbLb0EEEEDaS11_S12_EUlS11_E_NS1_11comp_targetILNS1_3genE2ELNS1_11target_archE906ELNS1_3gpuE6ELNS1_3repE0EEENS1_30default_config_static_selectorELNS0_4arch9wavefront6targetE1EEEvT1_, .Lfunc_end2124-_ZN7rocprim17ROCPRIM_400000_NS6detail17trampoline_kernelINS0_14default_configENS1_25partition_config_selectorILNS1_17partition_subalgoE0EyNS0_10empty_typeEbEEZZNS1_14partition_implILS5_0ELb0ES3_jN6thrust23THRUST_200600_302600_NS6detail15normal_iteratorINSA_10device_ptrIyEEEEPS6_SG_NS0_5tupleIJSF_SF_EEENSH_IJSG_SG_EEES6_PlJ7is_evenIyEEEE10hipError_tPvRmT3_T4_T5_T6_T7_T9_mT8_P12ihipStream_tbDpT10_ENKUlT_T0_E_clISt17integral_constantIbLb1EES15_IbLb0EEEEDaS11_S12_EUlS11_E_NS1_11comp_targetILNS1_3genE2ELNS1_11target_archE906ELNS1_3gpuE6ELNS1_3repE0EEENS1_30default_config_static_selectorELNS0_4arch9wavefront6targetE1EEEvT1_
                                        ; -- End function
	.section	.AMDGPU.csdata,"",@progbits
; Kernel info:
; codeLenInByte = 0
; NumSgprs: 6
; NumVgprs: 0
; NumAgprs: 0
; TotalNumVgprs: 0
; ScratchSize: 0
; MemoryBound: 0
; FloatMode: 240
; IeeeMode: 1
; LDSByteSize: 0 bytes/workgroup (compile time only)
; SGPRBlocks: 0
; VGPRBlocks: 0
; NumSGPRsForWavesPerEU: 6
; NumVGPRsForWavesPerEU: 1
; AccumOffset: 4
; Occupancy: 8
; WaveLimiterHint : 0
; COMPUTE_PGM_RSRC2:SCRATCH_EN: 0
; COMPUTE_PGM_RSRC2:USER_SGPR: 2
; COMPUTE_PGM_RSRC2:TRAP_HANDLER: 0
; COMPUTE_PGM_RSRC2:TGID_X_EN: 1
; COMPUTE_PGM_RSRC2:TGID_Y_EN: 0
; COMPUTE_PGM_RSRC2:TGID_Z_EN: 0
; COMPUTE_PGM_RSRC2:TIDIG_COMP_CNT: 0
; COMPUTE_PGM_RSRC3_GFX90A:ACCUM_OFFSET: 0
; COMPUTE_PGM_RSRC3_GFX90A:TG_SPLIT: 0
	.section	.text._ZN7rocprim17ROCPRIM_400000_NS6detail17trampoline_kernelINS0_14default_configENS1_25partition_config_selectorILNS1_17partition_subalgoE0EyNS0_10empty_typeEbEEZZNS1_14partition_implILS5_0ELb0ES3_jN6thrust23THRUST_200600_302600_NS6detail15normal_iteratorINSA_10device_ptrIyEEEEPS6_SG_NS0_5tupleIJSF_SF_EEENSH_IJSG_SG_EEES6_PlJ7is_evenIyEEEE10hipError_tPvRmT3_T4_T5_T6_T7_T9_mT8_P12ihipStream_tbDpT10_ENKUlT_T0_E_clISt17integral_constantIbLb1EES15_IbLb0EEEEDaS11_S12_EUlS11_E_NS1_11comp_targetILNS1_3genE10ELNS1_11target_archE1200ELNS1_3gpuE4ELNS1_3repE0EEENS1_30default_config_static_selectorELNS0_4arch9wavefront6targetE1EEEvT1_,"axG",@progbits,_ZN7rocprim17ROCPRIM_400000_NS6detail17trampoline_kernelINS0_14default_configENS1_25partition_config_selectorILNS1_17partition_subalgoE0EyNS0_10empty_typeEbEEZZNS1_14partition_implILS5_0ELb0ES3_jN6thrust23THRUST_200600_302600_NS6detail15normal_iteratorINSA_10device_ptrIyEEEEPS6_SG_NS0_5tupleIJSF_SF_EEENSH_IJSG_SG_EEES6_PlJ7is_evenIyEEEE10hipError_tPvRmT3_T4_T5_T6_T7_T9_mT8_P12ihipStream_tbDpT10_ENKUlT_T0_E_clISt17integral_constantIbLb1EES15_IbLb0EEEEDaS11_S12_EUlS11_E_NS1_11comp_targetILNS1_3genE10ELNS1_11target_archE1200ELNS1_3gpuE4ELNS1_3repE0EEENS1_30default_config_static_selectorELNS0_4arch9wavefront6targetE1EEEvT1_,comdat
	.protected	_ZN7rocprim17ROCPRIM_400000_NS6detail17trampoline_kernelINS0_14default_configENS1_25partition_config_selectorILNS1_17partition_subalgoE0EyNS0_10empty_typeEbEEZZNS1_14partition_implILS5_0ELb0ES3_jN6thrust23THRUST_200600_302600_NS6detail15normal_iteratorINSA_10device_ptrIyEEEEPS6_SG_NS0_5tupleIJSF_SF_EEENSH_IJSG_SG_EEES6_PlJ7is_evenIyEEEE10hipError_tPvRmT3_T4_T5_T6_T7_T9_mT8_P12ihipStream_tbDpT10_ENKUlT_T0_E_clISt17integral_constantIbLb1EES15_IbLb0EEEEDaS11_S12_EUlS11_E_NS1_11comp_targetILNS1_3genE10ELNS1_11target_archE1200ELNS1_3gpuE4ELNS1_3repE0EEENS1_30default_config_static_selectorELNS0_4arch9wavefront6targetE1EEEvT1_ ; -- Begin function _ZN7rocprim17ROCPRIM_400000_NS6detail17trampoline_kernelINS0_14default_configENS1_25partition_config_selectorILNS1_17partition_subalgoE0EyNS0_10empty_typeEbEEZZNS1_14partition_implILS5_0ELb0ES3_jN6thrust23THRUST_200600_302600_NS6detail15normal_iteratorINSA_10device_ptrIyEEEEPS6_SG_NS0_5tupleIJSF_SF_EEENSH_IJSG_SG_EEES6_PlJ7is_evenIyEEEE10hipError_tPvRmT3_T4_T5_T6_T7_T9_mT8_P12ihipStream_tbDpT10_ENKUlT_T0_E_clISt17integral_constantIbLb1EES15_IbLb0EEEEDaS11_S12_EUlS11_E_NS1_11comp_targetILNS1_3genE10ELNS1_11target_archE1200ELNS1_3gpuE4ELNS1_3repE0EEENS1_30default_config_static_selectorELNS0_4arch9wavefront6targetE1EEEvT1_
	.globl	_ZN7rocprim17ROCPRIM_400000_NS6detail17trampoline_kernelINS0_14default_configENS1_25partition_config_selectorILNS1_17partition_subalgoE0EyNS0_10empty_typeEbEEZZNS1_14partition_implILS5_0ELb0ES3_jN6thrust23THRUST_200600_302600_NS6detail15normal_iteratorINSA_10device_ptrIyEEEEPS6_SG_NS0_5tupleIJSF_SF_EEENSH_IJSG_SG_EEES6_PlJ7is_evenIyEEEE10hipError_tPvRmT3_T4_T5_T6_T7_T9_mT8_P12ihipStream_tbDpT10_ENKUlT_T0_E_clISt17integral_constantIbLb1EES15_IbLb0EEEEDaS11_S12_EUlS11_E_NS1_11comp_targetILNS1_3genE10ELNS1_11target_archE1200ELNS1_3gpuE4ELNS1_3repE0EEENS1_30default_config_static_selectorELNS0_4arch9wavefront6targetE1EEEvT1_
	.p2align	8
	.type	_ZN7rocprim17ROCPRIM_400000_NS6detail17trampoline_kernelINS0_14default_configENS1_25partition_config_selectorILNS1_17partition_subalgoE0EyNS0_10empty_typeEbEEZZNS1_14partition_implILS5_0ELb0ES3_jN6thrust23THRUST_200600_302600_NS6detail15normal_iteratorINSA_10device_ptrIyEEEEPS6_SG_NS0_5tupleIJSF_SF_EEENSH_IJSG_SG_EEES6_PlJ7is_evenIyEEEE10hipError_tPvRmT3_T4_T5_T6_T7_T9_mT8_P12ihipStream_tbDpT10_ENKUlT_T0_E_clISt17integral_constantIbLb1EES15_IbLb0EEEEDaS11_S12_EUlS11_E_NS1_11comp_targetILNS1_3genE10ELNS1_11target_archE1200ELNS1_3gpuE4ELNS1_3repE0EEENS1_30default_config_static_selectorELNS0_4arch9wavefront6targetE1EEEvT1_,@function
_ZN7rocprim17ROCPRIM_400000_NS6detail17trampoline_kernelINS0_14default_configENS1_25partition_config_selectorILNS1_17partition_subalgoE0EyNS0_10empty_typeEbEEZZNS1_14partition_implILS5_0ELb0ES3_jN6thrust23THRUST_200600_302600_NS6detail15normal_iteratorINSA_10device_ptrIyEEEEPS6_SG_NS0_5tupleIJSF_SF_EEENSH_IJSG_SG_EEES6_PlJ7is_evenIyEEEE10hipError_tPvRmT3_T4_T5_T6_T7_T9_mT8_P12ihipStream_tbDpT10_ENKUlT_T0_E_clISt17integral_constantIbLb1EES15_IbLb0EEEEDaS11_S12_EUlS11_E_NS1_11comp_targetILNS1_3genE10ELNS1_11target_archE1200ELNS1_3gpuE4ELNS1_3repE0EEENS1_30default_config_static_selectorELNS0_4arch9wavefront6targetE1EEEvT1_: ; @_ZN7rocprim17ROCPRIM_400000_NS6detail17trampoline_kernelINS0_14default_configENS1_25partition_config_selectorILNS1_17partition_subalgoE0EyNS0_10empty_typeEbEEZZNS1_14partition_implILS5_0ELb0ES3_jN6thrust23THRUST_200600_302600_NS6detail15normal_iteratorINSA_10device_ptrIyEEEEPS6_SG_NS0_5tupleIJSF_SF_EEENSH_IJSG_SG_EEES6_PlJ7is_evenIyEEEE10hipError_tPvRmT3_T4_T5_T6_T7_T9_mT8_P12ihipStream_tbDpT10_ENKUlT_T0_E_clISt17integral_constantIbLb1EES15_IbLb0EEEEDaS11_S12_EUlS11_E_NS1_11comp_targetILNS1_3genE10ELNS1_11target_archE1200ELNS1_3gpuE4ELNS1_3repE0EEENS1_30default_config_static_selectorELNS0_4arch9wavefront6targetE1EEEvT1_
; %bb.0:
	.section	.rodata,"a",@progbits
	.p2align	6, 0x0
	.amdhsa_kernel _ZN7rocprim17ROCPRIM_400000_NS6detail17trampoline_kernelINS0_14default_configENS1_25partition_config_selectorILNS1_17partition_subalgoE0EyNS0_10empty_typeEbEEZZNS1_14partition_implILS5_0ELb0ES3_jN6thrust23THRUST_200600_302600_NS6detail15normal_iteratorINSA_10device_ptrIyEEEEPS6_SG_NS0_5tupleIJSF_SF_EEENSH_IJSG_SG_EEES6_PlJ7is_evenIyEEEE10hipError_tPvRmT3_T4_T5_T6_T7_T9_mT8_P12ihipStream_tbDpT10_ENKUlT_T0_E_clISt17integral_constantIbLb1EES15_IbLb0EEEEDaS11_S12_EUlS11_E_NS1_11comp_targetILNS1_3genE10ELNS1_11target_archE1200ELNS1_3gpuE4ELNS1_3repE0EEENS1_30default_config_static_selectorELNS0_4arch9wavefront6targetE1EEEvT1_
		.amdhsa_group_segment_fixed_size 0
		.amdhsa_private_segment_fixed_size 0
		.amdhsa_kernarg_size 120
		.amdhsa_user_sgpr_count 2
		.amdhsa_user_sgpr_dispatch_ptr 0
		.amdhsa_user_sgpr_queue_ptr 0
		.amdhsa_user_sgpr_kernarg_segment_ptr 1
		.amdhsa_user_sgpr_dispatch_id 0
		.amdhsa_user_sgpr_kernarg_preload_length 0
		.amdhsa_user_sgpr_kernarg_preload_offset 0
		.amdhsa_user_sgpr_private_segment_size 0
		.amdhsa_uses_dynamic_stack 0
		.amdhsa_enable_private_segment 0
		.amdhsa_system_sgpr_workgroup_id_x 1
		.amdhsa_system_sgpr_workgroup_id_y 0
		.amdhsa_system_sgpr_workgroup_id_z 0
		.amdhsa_system_sgpr_workgroup_info 0
		.amdhsa_system_vgpr_workitem_id 0
		.amdhsa_next_free_vgpr 1
		.amdhsa_next_free_sgpr 0
		.amdhsa_accum_offset 4
		.amdhsa_reserve_vcc 0
		.amdhsa_float_round_mode_32 0
		.amdhsa_float_round_mode_16_64 0
		.amdhsa_float_denorm_mode_32 3
		.amdhsa_float_denorm_mode_16_64 3
		.amdhsa_dx10_clamp 1
		.amdhsa_ieee_mode 1
		.amdhsa_fp16_overflow 0
		.amdhsa_tg_split 0
		.amdhsa_exception_fp_ieee_invalid_op 0
		.amdhsa_exception_fp_denorm_src 0
		.amdhsa_exception_fp_ieee_div_zero 0
		.amdhsa_exception_fp_ieee_overflow 0
		.amdhsa_exception_fp_ieee_underflow 0
		.amdhsa_exception_fp_ieee_inexact 0
		.amdhsa_exception_int_div_zero 0
	.end_amdhsa_kernel
	.section	.text._ZN7rocprim17ROCPRIM_400000_NS6detail17trampoline_kernelINS0_14default_configENS1_25partition_config_selectorILNS1_17partition_subalgoE0EyNS0_10empty_typeEbEEZZNS1_14partition_implILS5_0ELb0ES3_jN6thrust23THRUST_200600_302600_NS6detail15normal_iteratorINSA_10device_ptrIyEEEEPS6_SG_NS0_5tupleIJSF_SF_EEENSH_IJSG_SG_EEES6_PlJ7is_evenIyEEEE10hipError_tPvRmT3_T4_T5_T6_T7_T9_mT8_P12ihipStream_tbDpT10_ENKUlT_T0_E_clISt17integral_constantIbLb1EES15_IbLb0EEEEDaS11_S12_EUlS11_E_NS1_11comp_targetILNS1_3genE10ELNS1_11target_archE1200ELNS1_3gpuE4ELNS1_3repE0EEENS1_30default_config_static_selectorELNS0_4arch9wavefront6targetE1EEEvT1_,"axG",@progbits,_ZN7rocprim17ROCPRIM_400000_NS6detail17trampoline_kernelINS0_14default_configENS1_25partition_config_selectorILNS1_17partition_subalgoE0EyNS0_10empty_typeEbEEZZNS1_14partition_implILS5_0ELb0ES3_jN6thrust23THRUST_200600_302600_NS6detail15normal_iteratorINSA_10device_ptrIyEEEEPS6_SG_NS0_5tupleIJSF_SF_EEENSH_IJSG_SG_EEES6_PlJ7is_evenIyEEEE10hipError_tPvRmT3_T4_T5_T6_T7_T9_mT8_P12ihipStream_tbDpT10_ENKUlT_T0_E_clISt17integral_constantIbLb1EES15_IbLb0EEEEDaS11_S12_EUlS11_E_NS1_11comp_targetILNS1_3genE10ELNS1_11target_archE1200ELNS1_3gpuE4ELNS1_3repE0EEENS1_30default_config_static_selectorELNS0_4arch9wavefront6targetE1EEEvT1_,comdat
.Lfunc_end2125:
	.size	_ZN7rocprim17ROCPRIM_400000_NS6detail17trampoline_kernelINS0_14default_configENS1_25partition_config_selectorILNS1_17partition_subalgoE0EyNS0_10empty_typeEbEEZZNS1_14partition_implILS5_0ELb0ES3_jN6thrust23THRUST_200600_302600_NS6detail15normal_iteratorINSA_10device_ptrIyEEEEPS6_SG_NS0_5tupleIJSF_SF_EEENSH_IJSG_SG_EEES6_PlJ7is_evenIyEEEE10hipError_tPvRmT3_T4_T5_T6_T7_T9_mT8_P12ihipStream_tbDpT10_ENKUlT_T0_E_clISt17integral_constantIbLb1EES15_IbLb0EEEEDaS11_S12_EUlS11_E_NS1_11comp_targetILNS1_3genE10ELNS1_11target_archE1200ELNS1_3gpuE4ELNS1_3repE0EEENS1_30default_config_static_selectorELNS0_4arch9wavefront6targetE1EEEvT1_, .Lfunc_end2125-_ZN7rocprim17ROCPRIM_400000_NS6detail17trampoline_kernelINS0_14default_configENS1_25partition_config_selectorILNS1_17partition_subalgoE0EyNS0_10empty_typeEbEEZZNS1_14partition_implILS5_0ELb0ES3_jN6thrust23THRUST_200600_302600_NS6detail15normal_iteratorINSA_10device_ptrIyEEEEPS6_SG_NS0_5tupleIJSF_SF_EEENSH_IJSG_SG_EEES6_PlJ7is_evenIyEEEE10hipError_tPvRmT3_T4_T5_T6_T7_T9_mT8_P12ihipStream_tbDpT10_ENKUlT_T0_E_clISt17integral_constantIbLb1EES15_IbLb0EEEEDaS11_S12_EUlS11_E_NS1_11comp_targetILNS1_3genE10ELNS1_11target_archE1200ELNS1_3gpuE4ELNS1_3repE0EEENS1_30default_config_static_selectorELNS0_4arch9wavefront6targetE1EEEvT1_
                                        ; -- End function
	.section	.AMDGPU.csdata,"",@progbits
; Kernel info:
; codeLenInByte = 0
; NumSgprs: 6
; NumVgprs: 0
; NumAgprs: 0
; TotalNumVgprs: 0
; ScratchSize: 0
; MemoryBound: 0
; FloatMode: 240
; IeeeMode: 1
; LDSByteSize: 0 bytes/workgroup (compile time only)
; SGPRBlocks: 0
; VGPRBlocks: 0
; NumSGPRsForWavesPerEU: 6
; NumVGPRsForWavesPerEU: 1
; AccumOffset: 4
; Occupancy: 8
; WaveLimiterHint : 0
; COMPUTE_PGM_RSRC2:SCRATCH_EN: 0
; COMPUTE_PGM_RSRC2:USER_SGPR: 2
; COMPUTE_PGM_RSRC2:TRAP_HANDLER: 0
; COMPUTE_PGM_RSRC2:TGID_X_EN: 1
; COMPUTE_PGM_RSRC2:TGID_Y_EN: 0
; COMPUTE_PGM_RSRC2:TGID_Z_EN: 0
; COMPUTE_PGM_RSRC2:TIDIG_COMP_CNT: 0
; COMPUTE_PGM_RSRC3_GFX90A:ACCUM_OFFSET: 0
; COMPUTE_PGM_RSRC3_GFX90A:TG_SPLIT: 0
	.section	.text._ZN7rocprim17ROCPRIM_400000_NS6detail17trampoline_kernelINS0_14default_configENS1_25partition_config_selectorILNS1_17partition_subalgoE0EyNS0_10empty_typeEbEEZZNS1_14partition_implILS5_0ELb0ES3_jN6thrust23THRUST_200600_302600_NS6detail15normal_iteratorINSA_10device_ptrIyEEEEPS6_SG_NS0_5tupleIJSF_SF_EEENSH_IJSG_SG_EEES6_PlJ7is_evenIyEEEE10hipError_tPvRmT3_T4_T5_T6_T7_T9_mT8_P12ihipStream_tbDpT10_ENKUlT_T0_E_clISt17integral_constantIbLb1EES15_IbLb0EEEEDaS11_S12_EUlS11_E_NS1_11comp_targetILNS1_3genE9ELNS1_11target_archE1100ELNS1_3gpuE3ELNS1_3repE0EEENS1_30default_config_static_selectorELNS0_4arch9wavefront6targetE1EEEvT1_,"axG",@progbits,_ZN7rocprim17ROCPRIM_400000_NS6detail17trampoline_kernelINS0_14default_configENS1_25partition_config_selectorILNS1_17partition_subalgoE0EyNS0_10empty_typeEbEEZZNS1_14partition_implILS5_0ELb0ES3_jN6thrust23THRUST_200600_302600_NS6detail15normal_iteratorINSA_10device_ptrIyEEEEPS6_SG_NS0_5tupleIJSF_SF_EEENSH_IJSG_SG_EEES6_PlJ7is_evenIyEEEE10hipError_tPvRmT3_T4_T5_T6_T7_T9_mT8_P12ihipStream_tbDpT10_ENKUlT_T0_E_clISt17integral_constantIbLb1EES15_IbLb0EEEEDaS11_S12_EUlS11_E_NS1_11comp_targetILNS1_3genE9ELNS1_11target_archE1100ELNS1_3gpuE3ELNS1_3repE0EEENS1_30default_config_static_selectorELNS0_4arch9wavefront6targetE1EEEvT1_,comdat
	.protected	_ZN7rocprim17ROCPRIM_400000_NS6detail17trampoline_kernelINS0_14default_configENS1_25partition_config_selectorILNS1_17partition_subalgoE0EyNS0_10empty_typeEbEEZZNS1_14partition_implILS5_0ELb0ES3_jN6thrust23THRUST_200600_302600_NS6detail15normal_iteratorINSA_10device_ptrIyEEEEPS6_SG_NS0_5tupleIJSF_SF_EEENSH_IJSG_SG_EEES6_PlJ7is_evenIyEEEE10hipError_tPvRmT3_T4_T5_T6_T7_T9_mT8_P12ihipStream_tbDpT10_ENKUlT_T0_E_clISt17integral_constantIbLb1EES15_IbLb0EEEEDaS11_S12_EUlS11_E_NS1_11comp_targetILNS1_3genE9ELNS1_11target_archE1100ELNS1_3gpuE3ELNS1_3repE0EEENS1_30default_config_static_selectorELNS0_4arch9wavefront6targetE1EEEvT1_ ; -- Begin function _ZN7rocprim17ROCPRIM_400000_NS6detail17trampoline_kernelINS0_14default_configENS1_25partition_config_selectorILNS1_17partition_subalgoE0EyNS0_10empty_typeEbEEZZNS1_14partition_implILS5_0ELb0ES3_jN6thrust23THRUST_200600_302600_NS6detail15normal_iteratorINSA_10device_ptrIyEEEEPS6_SG_NS0_5tupleIJSF_SF_EEENSH_IJSG_SG_EEES6_PlJ7is_evenIyEEEE10hipError_tPvRmT3_T4_T5_T6_T7_T9_mT8_P12ihipStream_tbDpT10_ENKUlT_T0_E_clISt17integral_constantIbLb1EES15_IbLb0EEEEDaS11_S12_EUlS11_E_NS1_11comp_targetILNS1_3genE9ELNS1_11target_archE1100ELNS1_3gpuE3ELNS1_3repE0EEENS1_30default_config_static_selectorELNS0_4arch9wavefront6targetE1EEEvT1_
	.globl	_ZN7rocprim17ROCPRIM_400000_NS6detail17trampoline_kernelINS0_14default_configENS1_25partition_config_selectorILNS1_17partition_subalgoE0EyNS0_10empty_typeEbEEZZNS1_14partition_implILS5_0ELb0ES3_jN6thrust23THRUST_200600_302600_NS6detail15normal_iteratorINSA_10device_ptrIyEEEEPS6_SG_NS0_5tupleIJSF_SF_EEENSH_IJSG_SG_EEES6_PlJ7is_evenIyEEEE10hipError_tPvRmT3_T4_T5_T6_T7_T9_mT8_P12ihipStream_tbDpT10_ENKUlT_T0_E_clISt17integral_constantIbLb1EES15_IbLb0EEEEDaS11_S12_EUlS11_E_NS1_11comp_targetILNS1_3genE9ELNS1_11target_archE1100ELNS1_3gpuE3ELNS1_3repE0EEENS1_30default_config_static_selectorELNS0_4arch9wavefront6targetE1EEEvT1_
	.p2align	8
	.type	_ZN7rocprim17ROCPRIM_400000_NS6detail17trampoline_kernelINS0_14default_configENS1_25partition_config_selectorILNS1_17partition_subalgoE0EyNS0_10empty_typeEbEEZZNS1_14partition_implILS5_0ELb0ES3_jN6thrust23THRUST_200600_302600_NS6detail15normal_iteratorINSA_10device_ptrIyEEEEPS6_SG_NS0_5tupleIJSF_SF_EEENSH_IJSG_SG_EEES6_PlJ7is_evenIyEEEE10hipError_tPvRmT3_T4_T5_T6_T7_T9_mT8_P12ihipStream_tbDpT10_ENKUlT_T0_E_clISt17integral_constantIbLb1EES15_IbLb0EEEEDaS11_S12_EUlS11_E_NS1_11comp_targetILNS1_3genE9ELNS1_11target_archE1100ELNS1_3gpuE3ELNS1_3repE0EEENS1_30default_config_static_selectorELNS0_4arch9wavefront6targetE1EEEvT1_,@function
_ZN7rocprim17ROCPRIM_400000_NS6detail17trampoline_kernelINS0_14default_configENS1_25partition_config_selectorILNS1_17partition_subalgoE0EyNS0_10empty_typeEbEEZZNS1_14partition_implILS5_0ELb0ES3_jN6thrust23THRUST_200600_302600_NS6detail15normal_iteratorINSA_10device_ptrIyEEEEPS6_SG_NS0_5tupleIJSF_SF_EEENSH_IJSG_SG_EEES6_PlJ7is_evenIyEEEE10hipError_tPvRmT3_T4_T5_T6_T7_T9_mT8_P12ihipStream_tbDpT10_ENKUlT_T0_E_clISt17integral_constantIbLb1EES15_IbLb0EEEEDaS11_S12_EUlS11_E_NS1_11comp_targetILNS1_3genE9ELNS1_11target_archE1100ELNS1_3gpuE3ELNS1_3repE0EEENS1_30default_config_static_selectorELNS0_4arch9wavefront6targetE1EEEvT1_: ; @_ZN7rocprim17ROCPRIM_400000_NS6detail17trampoline_kernelINS0_14default_configENS1_25partition_config_selectorILNS1_17partition_subalgoE0EyNS0_10empty_typeEbEEZZNS1_14partition_implILS5_0ELb0ES3_jN6thrust23THRUST_200600_302600_NS6detail15normal_iteratorINSA_10device_ptrIyEEEEPS6_SG_NS0_5tupleIJSF_SF_EEENSH_IJSG_SG_EEES6_PlJ7is_evenIyEEEE10hipError_tPvRmT3_T4_T5_T6_T7_T9_mT8_P12ihipStream_tbDpT10_ENKUlT_T0_E_clISt17integral_constantIbLb1EES15_IbLb0EEEEDaS11_S12_EUlS11_E_NS1_11comp_targetILNS1_3genE9ELNS1_11target_archE1100ELNS1_3gpuE3ELNS1_3repE0EEENS1_30default_config_static_selectorELNS0_4arch9wavefront6targetE1EEEvT1_
; %bb.0:
	.section	.rodata,"a",@progbits
	.p2align	6, 0x0
	.amdhsa_kernel _ZN7rocprim17ROCPRIM_400000_NS6detail17trampoline_kernelINS0_14default_configENS1_25partition_config_selectorILNS1_17partition_subalgoE0EyNS0_10empty_typeEbEEZZNS1_14partition_implILS5_0ELb0ES3_jN6thrust23THRUST_200600_302600_NS6detail15normal_iteratorINSA_10device_ptrIyEEEEPS6_SG_NS0_5tupleIJSF_SF_EEENSH_IJSG_SG_EEES6_PlJ7is_evenIyEEEE10hipError_tPvRmT3_T4_T5_T6_T7_T9_mT8_P12ihipStream_tbDpT10_ENKUlT_T0_E_clISt17integral_constantIbLb1EES15_IbLb0EEEEDaS11_S12_EUlS11_E_NS1_11comp_targetILNS1_3genE9ELNS1_11target_archE1100ELNS1_3gpuE3ELNS1_3repE0EEENS1_30default_config_static_selectorELNS0_4arch9wavefront6targetE1EEEvT1_
		.amdhsa_group_segment_fixed_size 0
		.amdhsa_private_segment_fixed_size 0
		.amdhsa_kernarg_size 120
		.amdhsa_user_sgpr_count 2
		.amdhsa_user_sgpr_dispatch_ptr 0
		.amdhsa_user_sgpr_queue_ptr 0
		.amdhsa_user_sgpr_kernarg_segment_ptr 1
		.amdhsa_user_sgpr_dispatch_id 0
		.amdhsa_user_sgpr_kernarg_preload_length 0
		.amdhsa_user_sgpr_kernarg_preload_offset 0
		.amdhsa_user_sgpr_private_segment_size 0
		.amdhsa_uses_dynamic_stack 0
		.amdhsa_enable_private_segment 0
		.amdhsa_system_sgpr_workgroup_id_x 1
		.amdhsa_system_sgpr_workgroup_id_y 0
		.amdhsa_system_sgpr_workgroup_id_z 0
		.amdhsa_system_sgpr_workgroup_info 0
		.amdhsa_system_vgpr_workitem_id 0
		.amdhsa_next_free_vgpr 1
		.amdhsa_next_free_sgpr 0
		.amdhsa_accum_offset 4
		.amdhsa_reserve_vcc 0
		.amdhsa_float_round_mode_32 0
		.amdhsa_float_round_mode_16_64 0
		.amdhsa_float_denorm_mode_32 3
		.amdhsa_float_denorm_mode_16_64 3
		.amdhsa_dx10_clamp 1
		.amdhsa_ieee_mode 1
		.amdhsa_fp16_overflow 0
		.amdhsa_tg_split 0
		.amdhsa_exception_fp_ieee_invalid_op 0
		.amdhsa_exception_fp_denorm_src 0
		.amdhsa_exception_fp_ieee_div_zero 0
		.amdhsa_exception_fp_ieee_overflow 0
		.amdhsa_exception_fp_ieee_underflow 0
		.amdhsa_exception_fp_ieee_inexact 0
		.amdhsa_exception_int_div_zero 0
	.end_amdhsa_kernel
	.section	.text._ZN7rocprim17ROCPRIM_400000_NS6detail17trampoline_kernelINS0_14default_configENS1_25partition_config_selectorILNS1_17partition_subalgoE0EyNS0_10empty_typeEbEEZZNS1_14partition_implILS5_0ELb0ES3_jN6thrust23THRUST_200600_302600_NS6detail15normal_iteratorINSA_10device_ptrIyEEEEPS6_SG_NS0_5tupleIJSF_SF_EEENSH_IJSG_SG_EEES6_PlJ7is_evenIyEEEE10hipError_tPvRmT3_T4_T5_T6_T7_T9_mT8_P12ihipStream_tbDpT10_ENKUlT_T0_E_clISt17integral_constantIbLb1EES15_IbLb0EEEEDaS11_S12_EUlS11_E_NS1_11comp_targetILNS1_3genE9ELNS1_11target_archE1100ELNS1_3gpuE3ELNS1_3repE0EEENS1_30default_config_static_selectorELNS0_4arch9wavefront6targetE1EEEvT1_,"axG",@progbits,_ZN7rocprim17ROCPRIM_400000_NS6detail17trampoline_kernelINS0_14default_configENS1_25partition_config_selectorILNS1_17partition_subalgoE0EyNS0_10empty_typeEbEEZZNS1_14partition_implILS5_0ELb0ES3_jN6thrust23THRUST_200600_302600_NS6detail15normal_iteratorINSA_10device_ptrIyEEEEPS6_SG_NS0_5tupleIJSF_SF_EEENSH_IJSG_SG_EEES6_PlJ7is_evenIyEEEE10hipError_tPvRmT3_T4_T5_T6_T7_T9_mT8_P12ihipStream_tbDpT10_ENKUlT_T0_E_clISt17integral_constantIbLb1EES15_IbLb0EEEEDaS11_S12_EUlS11_E_NS1_11comp_targetILNS1_3genE9ELNS1_11target_archE1100ELNS1_3gpuE3ELNS1_3repE0EEENS1_30default_config_static_selectorELNS0_4arch9wavefront6targetE1EEEvT1_,comdat
.Lfunc_end2126:
	.size	_ZN7rocprim17ROCPRIM_400000_NS6detail17trampoline_kernelINS0_14default_configENS1_25partition_config_selectorILNS1_17partition_subalgoE0EyNS0_10empty_typeEbEEZZNS1_14partition_implILS5_0ELb0ES3_jN6thrust23THRUST_200600_302600_NS6detail15normal_iteratorINSA_10device_ptrIyEEEEPS6_SG_NS0_5tupleIJSF_SF_EEENSH_IJSG_SG_EEES6_PlJ7is_evenIyEEEE10hipError_tPvRmT3_T4_T5_T6_T7_T9_mT8_P12ihipStream_tbDpT10_ENKUlT_T0_E_clISt17integral_constantIbLb1EES15_IbLb0EEEEDaS11_S12_EUlS11_E_NS1_11comp_targetILNS1_3genE9ELNS1_11target_archE1100ELNS1_3gpuE3ELNS1_3repE0EEENS1_30default_config_static_selectorELNS0_4arch9wavefront6targetE1EEEvT1_, .Lfunc_end2126-_ZN7rocprim17ROCPRIM_400000_NS6detail17trampoline_kernelINS0_14default_configENS1_25partition_config_selectorILNS1_17partition_subalgoE0EyNS0_10empty_typeEbEEZZNS1_14partition_implILS5_0ELb0ES3_jN6thrust23THRUST_200600_302600_NS6detail15normal_iteratorINSA_10device_ptrIyEEEEPS6_SG_NS0_5tupleIJSF_SF_EEENSH_IJSG_SG_EEES6_PlJ7is_evenIyEEEE10hipError_tPvRmT3_T4_T5_T6_T7_T9_mT8_P12ihipStream_tbDpT10_ENKUlT_T0_E_clISt17integral_constantIbLb1EES15_IbLb0EEEEDaS11_S12_EUlS11_E_NS1_11comp_targetILNS1_3genE9ELNS1_11target_archE1100ELNS1_3gpuE3ELNS1_3repE0EEENS1_30default_config_static_selectorELNS0_4arch9wavefront6targetE1EEEvT1_
                                        ; -- End function
	.section	.AMDGPU.csdata,"",@progbits
; Kernel info:
; codeLenInByte = 0
; NumSgprs: 6
; NumVgprs: 0
; NumAgprs: 0
; TotalNumVgprs: 0
; ScratchSize: 0
; MemoryBound: 0
; FloatMode: 240
; IeeeMode: 1
; LDSByteSize: 0 bytes/workgroup (compile time only)
; SGPRBlocks: 0
; VGPRBlocks: 0
; NumSGPRsForWavesPerEU: 6
; NumVGPRsForWavesPerEU: 1
; AccumOffset: 4
; Occupancy: 8
; WaveLimiterHint : 0
; COMPUTE_PGM_RSRC2:SCRATCH_EN: 0
; COMPUTE_PGM_RSRC2:USER_SGPR: 2
; COMPUTE_PGM_RSRC2:TRAP_HANDLER: 0
; COMPUTE_PGM_RSRC2:TGID_X_EN: 1
; COMPUTE_PGM_RSRC2:TGID_Y_EN: 0
; COMPUTE_PGM_RSRC2:TGID_Z_EN: 0
; COMPUTE_PGM_RSRC2:TIDIG_COMP_CNT: 0
; COMPUTE_PGM_RSRC3_GFX90A:ACCUM_OFFSET: 0
; COMPUTE_PGM_RSRC3_GFX90A:TG_SPLIT: 0
	.section	.text._ZN7rocprim17ROCPRIM_400000_NS6detail17trampoline_kernelINS0_14default_configENS1_25partition_config_selectorILNS1_17partition_subalgoE0EyNS0_10empty_typeEbEEZZNS1_14partition_implILS5_0ELb0ES3_jN6thrust23THRUST_200600_302600_NS6detail15normal_iteratorINSA_10device_ptrIyEEEEPS6_SG_NS0_5tupleIJSF_SF_EEENSH_IJSG_SG_EEES6_PlJ7is_evenIyEEEE10hipError_tPvRmT3_T4_T5_T6_T7_T9_mT8_P12ihipStream_tbDpT10_ENKUlT_T0_E_clISt17integral_constantIbLb1EES15_IbLb0EEEEDaS11_S12_EUlS11_E_NS1_11comp_targetILNS1_3genE8ELNS1_11target_archE1030ELNS1_3gpuE2ELNS1_3repE0EEENS1_30default_config_static_selectorELNS0_4arch9wavefront6targetE1EEEvT1_,"axG",@progbits,_ZN7rocprim17ROCPRIM_400000_NS6detail17trampoline_kernelINS0_14default_configENS1_25partition_config_selectorILNS1_17partition_subalgoE0EyNS0_10empty_typeEbEEZZNS1_14partition_implILS5_0ELb0ES3_jN6thrust23THRUST_200600_302600_NS6detail15normal_iteratorINSA_10device_ptrIyEEEEPS6_SG_NS0_5tupleIJSF_SF_EEENSH_IJSG_SG_EEES6_PlJ7is_evenIyEEEE10hipError_tPvRmT3_T4_T5_T6_T7_T9_mT8_P12ihipStream_tbDpT10_ENKUlT_T0_E_clISt17integral_constantIbLb1EES15_IbLb0EEEEDaS11_S12_EUlS11_E_NS1_11comp_targetILNS1_3genE8ELNS1_11target_archE1030ELNS1_3gpuE2ELNS1_3repE0EEENS1_30default_config_static_selectorELNS0_4arch9wavefront6targetE1EEEvT1_,comdat
	.protected	_ZN7rocprim17ROCPRIM_400000_NS6detail17trampoline_kernelINS0_14default_configENS1_25partition_config_selectorILNS1_17partition_subalgoE0EyNS0_10empty_typeEbEEZZNS1_14partition_implILS5_0ELb0ES3_jN6thrust23THRUST_200600_302600_NS6detail15normal_iteratorINSA_10device_ptrIyEEEEPS6_SG_NS0_5tupleIJSF_SF_EEENSH_IJSG_SG_EEES6_PlJ7is_evenIyEEEE10hipError_tPvRmT3_T4_T5_T6_T7_T9_mT8_P12ihipStream_tbDpT10_ENKUlT_T0_E_clISt17integral_constantIbLb1EES15_IbLb0EEEEDaS11_S12_EUlS11_E_NS1_11comp_targetILNS1_3genE8ELNS1_11target_archE1030ELNS1_3gpuE2ELNS1_3repE0EEENS1_30default_config_static_selectorELNS0_4arch9wavefront6targetE1EEEvT1_ ; -- Begin function _ZN7rocprim17ROCPRIM_400000_NS6detail17trampoline_kernelINS0_14default_configENS1_25partition_config_selectorILNS1_17partition_subalgoE0EyNS0_10empty_typeEbEEZZNS1_14partition_implILS5_0ELb0ES3_jN6thrust23THRUST_200600_302600_NS6detail15normal_iteratorINSA_10device_ptrIyEEEEPS6_SG_NS0_5tupleIJSF_SF_EEENSH_IJSG_SG_EEES6_PlJ7is_evenIyEEEE10hipError_tPvRmT3_T4_T5_T6_T7_T9_mT8_P12ihipStream_tbDpT10_ENKUlT_T0_E_clISt17integral_constantIbLb1EES15_IbLb0EEEEDaS11_S12_EUlS11_E_NS1_11comp_targetILNS1_3genE8ELNS1_11target_archE1030ELNS1_3gpuE2ELNS1_3repE0EEENS1_30default_config_static_selectorELNS0_4arch9wavefront6targetE1EEEvT1_
	.globl	_ZN7rocprim17ROCPRIM_400000_NS6detail17trampoline_kernelINS0_14default_configENS1_25partition_config_selectorILNS1_17partition_subalgoE0EyNS0_10empty_typeEbEEZZNS1_14partition_implILS5_0ELb0ES3_jN6thrust23THRUST_200600_302600_NS6detail15normal_iteratorINSA_10device_ptrIyEEEEPS6_SG_NS0_5tupleIJSF_SF_EEENSH_IJSG_SG_EEES6_PlJ7is_evenIyEEEE10hipError_tPvRmT3_T4_T5_T6_T7_T9_mT8_P12ihipStream_tbDpT10_ENKUlT_T0_E_clISt17integral_constantIbLb1EES15_IbLb0EEEEDaS11_S12_EUlS11_E_NS1_11comp_targetILNS1_3genE8ELNS1_11target_archE1030ELNS1_3gpuE2ELNS1_3repE0EEENS1_30default_config_static_selectorELNS0_4arch9wavefront6targetE1EEEvT1_
	.p2align	8
	.type	_ZN7rocprim17ROCPRIM_400000_NS6detail17trampoline_kernelINS0_14default_configENS1_25partition_config_selectorILNS1_17partition_subalgoE0EyNS0_10empty_typeEbEEZZNS1_14partition_implILS5_0ELb0ES3_jN6thrust23THRUST_200600_302600_NS6detail15normal_iteratorINSA_10device_ptrIyEEEEPS6_SG_NS0_5tupleIJSF_SF_EEENSH_IJSG_SG_EEES6_PlJ7is_evenIyEEEE10hipError_tPvRmT3_T4_T5_T6_T7_T9_mT8_P12ihipStream_tbDpT10_ENKUlT_T0_E_clISt17integral_constantIbLb1EES15_IbLb0EEEEDaS11_S12_EUlS11_E_NS1_11comp_targetILNS1_3genE8ELNS1_11target_archE1030ELNS1_3gpuE2ELNS1_3repE0EEENS1_30default_config_static_selectorELNS0_4arch9wavefront6targetE1EEEvT1_,@function
_ZN7rocprim17ROCPRIM_400000_NS6detail17trampoline_kernelINS0_14default_configENS1_25partition_config_selectorILNS1_17partition_subalgoE0EyNS0_10empty_typeEbEEZZNS1_14partition_implILS5_0ELb0ES3_jN6thrust23THRUST_200600_302600_NS6detail15normal_iteratorINSA_10device_ptrIyEEEEPS6_SG_NS0_5tupleIJSF_SF_EEENSH_IJSG_SG_EEES6_PlJ7is_evenIyEEEE10hipError_tPvRmT3_T4_T5_T6_T7_T9_mT8_P12ihipStream_tbDpT10_ENKUlT_T0_E_clISt17integral_constantIbLb1EES15_IbLb0EEEEDaS11_S12_EUlS11_E_NS1_11comp_targetILNS1_3genE8ELNS1_11target_archE1030ELNS1_3gpuE2ELNS1_3repE0EEENS1_30default_config_static_selectorELNS0_4arch9wavefront6targetE1EEEvT1_: ; @_ZN7rocprim17ROCPRIM_400000_NS6detail17trampoline_kernelINS0_14default_configENS1_25partition_config_selectorILNS1_17partition_subalgoE0EyNS0_10empty_typeEbEEZZNS1_14partition_implILS5_0ELb0ES3_jN6thrust23THRUST_200600_302600_NS6detail15normal_iteratorINSA_10device_ptrIyEEEEPS6_SG_NS0_5tupleIJSF_SF_EEENSH_IJSG_SG_EEES6_PlJ7is_evenIyEEEE10hipError_tPvRmT3_T4_T5_T6_T7_T9_mT8_P12ihipStream_tbDpT10_ENKUlT_T0_E_clISt17integral_constantIbLb1EES15_IbLb0EEEEDaS11_S12_EUlS11_E_NS1_11comp_targetILNS1_3genE8ELNS1_11target_archE1030ELNS1_3gpuE2ELNS1_3repE0EEENS1_30default_config_static_selectorELNS0_4arch9wavefront6targetE1EEEvT1_
; %bb.0:
	.section	.rodata,"a",@progbits
	.p2align	6, 0x0
	.amdhsa_kernel _ZN7rocprim17ROCPRIM_400000_NS6detail17trampoline_kernelINS0_14default_configENS1_25partition_config_selectorILNS1_17partition_subalgoE0EyNS0_10empty_typeEbEEZZNS1_14partition_implILS5_0ELb0ES3_jN6thrust23THRUST_200600_302600_NS6detail15normal_iteratorINSA_10device_ptrIyEEEEPS6_SG_NS0_5tupleIJSF_SF_EEENSH_IJSG_SG_EEES6_PlJ7is_evenIyEEEE10hipError_tPvRmT3_T4_T5_T6_T7_T9_mT8_P12ihipStream_tbDpT10_ENKUlT_T0_E_clISt17integral_constantIbLb1EES15_IbLb0EEEEDaS11_S12_EUlS11_E_NS1_11comp_targetILNS1_3genE8ELNS1_11target_archE1030ELNS1_3gpuE2ELNS1_3repE0EEENS1_30default_config_static_selectorELNS0_4arch9wavefront6targetE1EEEvT1_
		.amdhsa_group_segment_fixed_size 0
		.amdhsa_private_segment_fixed_size 0
		.amdhsa_kernarg_size 120
		.amdhsa_user_sgpr_count 2
		.amdhsa_user_sgpr_dispatch_ptr 0
		.amdhsa_user_sgpr_queue_ptr 0
		.amdhsa_user_sgpr_kernarg_segment_ptr 1
		.amdhsa_user_sgpr_dispatch_id 0
		.amdhsa_user_sgpr_kernarg_preload_length 0
		.amdhsa_user_sgpr_kernarg_preload_offset 0
		.amdhsa_user_sgpr_private_segment_size 0
		.amdhsa_uses_dynamic_stack 0
		.amdhsa_enable_private_segment 0
		.amdhsa_system_sgpr_workgroup_id_x 1
		.amdhsa_system_sgpr_workgroup_id_y 0
		.amdhsa_system_sgpr_workgroup_id_z 0
		.amdhsa_system_sgpr_workgroup_info 0
		.amdhsa_system_vgpr_workitem_id 0
		.amdhsa_next_free_vgpr 1
		.amdhsa_next_free_sgpr 0
		.amdhsa_accum_offset 4
		.amdhsa_reserve_vcc 0
		.amdhsa_float_round_mode_32 0
		.amdhsa_float_round_mode_16_64 0
		.amdhsa_float_denorm_mode_32 3
		.amdhsa_float_denorm_mode_16_64 3
		.amdhsa_dx10_clamp 1
		.amdhsa_ieee_mode 1
		.amdhsa_fp16_overflow 0
		.amdhsa_tg_split 0
		.amdhsa_exception_fp_ieee_invalid_op 0
		.amdhsa_exception_fp_denorm_src 0
		.amdhsa_exception_fp_ieee_div_zero 0
		.amdhsa_exception_fp_ieee_overflow 0
		.amdhsa_exception_fp_ieee_underflow 0
		.amdhsa_exception_fp_ieee_inexact 0
		.amdhsa_exception_int_div_zero 0
	.end_amdhsa_kernel
	.section	.text._ZN7rocprim17ROCPRIM_400000_NS6detail17trampoline_kernelINS0_14default_configENS1_25partition_config_selectorILNS1_17partition_subalgoE0EyNS0_10empty_typeEbEEZZNS1_14partition_implILS5_0ELb0ES3_jN6thrust23THRUST_200600_302600_NS6detail15normal_iteratorINSA_10device_ptrIyEEEEPS6_SG_NS0_5tupleIJSF_SF_EEENSH_IJSG_SG_EEES6_PlJ7is_evenIyEEEE10hipError_tPvRmT3_T4_T5_T6_T7_T9_mT8_P12ihipStream_tbDpT10_ENKUlT_T0_E_clISt17integral_constantIbLb1EES15_IbLb0EEEEDaS11_S12_EUlS11_E_NS1_11comp_targetILNS1_3genE8ELNS1_11target_archE1030ELNS1_3gpuE2ELNS1_3repE0EEENS1_30default_config_static_selectorELNS0_4arch9wavefront6targetE1EEEvT1_,"axG",@progbits,_ZN7rocprim17ROCPRIM_400000_NS6detail17trampoline_kernelINS0_14default_configENS1_25partition_config_selectorILNS1_17partition_subalgoE0EyNS0_10empty_typeEbEEZZNS1_14partition_implILS5_0ELb0ES3_jN6thrust23THRUST_200600_302600_NS6detail15normal_iteratorINSA_10device_ptrIyEEEEPS6_SG_NS0_5tupleIJSF_SF_EEENSH_IJSG_SG_EEES6_PlJ7is_evenIyEEEE10hipError_tPvRmT3_T4_T5_T6_T7_T9_mT8_P12ihipStream_tbDpT10_ENKUlT_T0_E_clISt17integral_constantIbLb1EES15_IbLb0EEEEDaS11_S12_EUlS11_E_NS1_11comp_targetILNS1_3genE8ELNS1_11target_archE1030ELNS1_3gpuE2ELNS1_3repE0EEENS1_30default_config_static_selectorELNS0_4arch9wavefront6targetE1EEEvT1_,comdat
.Lfunc_end2127:
	.size	_ZN7rocprim17ROCPRIM_400000_NS6detail17trampoline_kernelINS0_14default_configENS1_25partition_config_selectorILNS1_17partition_subalgoE0EyNS0_10empty_typeEbEEZZNS1_14partition_implILS5_0ELb0ES3_jN6thrust23THRUST_200600_302600_NS6detail15normal_iteratorINSA_10device_ptrIyEEEEPS6_SG_NS0_5tupleIJSF_SF_EEENSH_IJSG_SG_EEES6_PlJ7is_evenIyEEEE10hipError_tPvRmT3_T4_T5_T6_T7_T9_mT8_P12ihipStream_tbDpT10_ENKUlT_T0_E_clISt17integral_constantIbLb1EES15_IbLb0EEEEDaS11_S12_EUlS11_E_NS1_11comp_targetILNS1_3genE8ELNS1_11target_archE1030ELNS1_3gpuE2ELNS1_3repE0EEENS1_30default_config_static_selectorELNS0_4arch9wavefront6targetE1EEEvT1_, .Lfunc_end2127-_ZN7rocprim17ROCPRIM_400000_NS6detail17trampoline_kernelINS0_14default_configENS1_25partition_config_selectorILNS1_17partition_subalgoE0EyNS0_10empty_typeEbEEZZNS1_14partition_implILS5_0ELb0ES3_jN6thrust23THRUST_200600_302600_NS6detail15normal_iteratorINSA_10device_ptrIyEEEEPS6_SG_NS0_5tupleIJSF_SF_EEENSH_IJSG_SG_EEES6_PlJ7is_evenIyEEEE10hipError_tPvRmT3_T4_T5_T6_T7_T9_mT8_P12ihipStream_tbDpT10_ENKUlT_T0_E_clISt17integral_constantIbLb1EES15_IbLb0EEEEDaS11_S12_EUlS11_E_NS1_11comp_targetILNS1_3genE8ELNS1_11target_archE1030ELNS1_3gpuE2ELNS1_3repE0EEENS1_30default_config_static_selectorELNS0_4arch9wavefront6targetE1EEEvT1_
                                        ; -- End function
	.section	.AMDGPU.csdata,"",@progbits
; Kernel info:
; codeLenInByte = 0
; NumSgprs: 6
; NumVgprs: 0
; NumAgprs: 0
; TotalNumVgprs: 0
; ScratchSize: 0
; MemoryBound: 0
; FloatMode: 240
; IeeeMode: 1
; LDSByteSize: 0 bytes/workgroup (compile time only)
; SGPRBlocks: 0
; VGPRBlocks: 0
; NumSGPRsForWavesPerEU: 6
; NumVGPRsForWavesPerEU: 1
; AccumOffset: 4
; Occupancy: 8
; WaveLimiterHint : 0
; COMPUTE_PGM_RSRC2:SCRATCH_EN: 0
; COMPUTE_PGM_RSRC2:USER_SGPR: 2
; COMPUTE_PGM_RSRC2:TRAP_HANDLER: 0
; COMPUTE_PGM_RSRC2:TGID_X_EN: 1
; COMPUTE_PGM_RSRC2:TGID_Y_EN: 0
; COMPUTE_PGM_RSRC2:TGID_Z_EN: 0
; COMPUTE_PGM_RSRC2:TIDIG_COMP_CNT: 0
; COMPUTE_PGM_RSRC3_GFX90A:ACCUM_OFFSET: 0
; COMPUTE_PGM_RSRC3_GFX90A:TG_SPLIT: 0
	.section	.text._ZN7rocprim17ROCPRIM_400000_NS6detail17trampoline_kernelINS0_14default_configENS1_25partition_config_selectorILNS1_17partition_subalgoE0EyNS0_10empty_typeEbEEZZNS1_14partition_implILS5_0ELb0ES3_jN6thrust23THRUST_200600_302600_NS6detail15normal_iteratorINSA_10device_ptrIyEEEEPS6_SG_NS0_5tupleIJSF_SF_EEENSH_IJSG_SG_EEES6_PlJ7is_evenIyEEEE10hipError_tPvRmT3_T4_T5_T6_T7_T9_mT8_P12ihipStream_tbDpT10_ENKUlT_T0_E_clISt17integral_constantIbLb0EES15_IbLb1EEEEDaS11_S12_EUlS11_E_NS1_11comp_targetILNS1_3genE0ELNS1_11target_archE4294967295ELNS1_3gpuE0ELNS1_3repE0EEENS1_30default_config_static_selectorELNS0_4arch9wavefront6targetE1EEEvT1_,"axG",@progbits,_ZN7rocprim17ROCPRIM_400000_NS6detail17trampoline_kernelINS0_14default_configENS1_25partition_config_selectorILNS1_17partition_subalgoE0EyNS0_10empty_typeEbEEZZNS1_14partition_implILS5_0ELb0ES3_jN6thrust23THRUST_200600_302600_NS6detail15normal_iteratorINSA_10device_ptrIyEEEEPS6_SG_NS0_5tupleIJSF_SF_EEENSH_IJSG_SG_EEES6_PlJ7is_evenIyEEEE10hipError_tPvRmT3_T4_T5_T6_T7_T9_mT8_P12ihipStream_tbDpT10_ENKUlT_T0_E_clISt17integral_constantIbLb0EES15_IbLb1EEEEDaS11_S12_EUlS11_E_NS1_11comp_targetILNS1_3genE0ELNS1_11target_archE4294967295ELNS1_3gpuE0ELNS1_3repE0EEENS1_30default_config_static_selectorELNS0_4arch9wavefront6targetE1EEEvT1_,comdat
	.protected	_ZN7rocprim17ROCPRIM_400000_NS6detail17trampoline_kernelINS0_14default_configENS1_25partition_config_selectorILNS1_17partition_subalgoE0EyNS0_10empty_typeEbEEZZNS1_14partition_implILS5_0ELb0ES3_jN6thrust23THRUST_200600_302600_NS6detail15normal_iteratorINSA_10device_ptrIyEEEEPS6_SG_NS0_5tupleIJSF_SF_EEENSH_IJSG_SG_EEES6_PlJ7is_evenIyEEEE10hipError_tPvRmT3_T4_T5_T6_T7_T9_mT8_P12ihipStream_tbDpT10_ENKUlT_T0_E_clISt17integral_constantIbLb0EES15_IbLb1EEEEDaS11_S12_EUlS11_E_NS1_11comp_targetILNS1_3genE0ELNS1_11target_archE4294967295ELNS1_3gpuE0ELNS1_3repE0EEENS1_30default_config_static_selectorELNS0_4arch9wavefront6targetE1EEEvT1_ ; -- Begin function _ZN7rocprim17ROCPRIM_400000_NS6detail17trampoline_kernelINS0_14default_configENS1_25partition_config_selectorILNS1_17partition_subalgoE0EyNS0_10empty_typeEbEEZZNS1_14partition_implILS5_0ELb0ES3_jN6thrust23THRUST_200600_302600_NS6detail15normal_iteratorINSA_10device_ptrIyEEEEPS6_SG_NS0_5tupleIJSF_SF_EEENSH_IJSG_SG_EEES6_PlJ7is_evenIyEEEE10hipError_tPvRmT3_T4_T5_T6_T7_T9_mT8_P12ihipStream_tbDpT10_ENKUlT_T0_E_clISt17integral_constantIbLb0EES15_IbLb1EEEEDaS11_S12_EUlS11_E_NS1_11comp_targetILNS1_3genE0ELNS1_11target_archE4294967295ELNS1_3gpuE0ELNS1_3repE0EEENS1_30default_config_static_selectorELNS0_4arch9wavefront6targetE1EEEvT1_
	.globl	_ZN7rocprim17ROCPRIM_400000_NS6detail17trampoline_kernelINS0_14default_configENS1_25partition_config_selectorILNS1_17partition_subalgoE0EyNS0_10empty_typeEbEEZZNS1_14partition_implILS5_0ELb0ES3_jN6thrust23THRUST_200600_302600_NS6detail15normal_iteratorINSA_10device_ptrIyEEEEPS6_SG_NS0_5tupleIJSF_SF_EEENSH_IJSG_SG_EEES6_PlJ7is_evenIyEEEE10hipError_tPvRmT3_T4_T5_T6_T7_T9_mT8_P12ihipStream_tbDpT10_ENKUlT_T0_E_clISt17integral_constantIbLb0EES15_IbLb1EEEEDaS11_S12_EUlS11_E_NS1_11comp_targetILNS1_3genE0ELNS1_11target_archE4294967295ELNS1_3gpuE0ELNS1_3repE0EEENS1_30default_config_static_selectorELNS0_4arch9wavefront6targetE1EEEvT1_
	.p2align	8
	.type	_ZN7rocprim17ROCPRIM_400000_NS6detail17trampoline_kernelINS0_14default_configENS1_25partition_config_selectorILNS1_17partition_subalgoE0EyNS0_10empty_typeEbEEZZNS1_14partition_implILS5_0ELb0ES3_jN6thrust23THRUST_200600_302600_NS6detail15normal_iteratorINSA_10device_ptrIyEEEEPS6_SG_NS0_5tupleIJSF_SF_EEENSH_IJSG_SG_EEES6_PlJ7is_evenIyEEEE10hipError_tPvRmT3_T4_T5_T6_T7_T9_mT8_P12ihipStream_tbDpT10_ENKUlT_T0_E_clISt17integral_constantIbLb0EES15_IbLb1EEEEDaS11_S12_EUlS11_E_NS1_11comp_targetILNS1_3genE0ELNS1_11target_archE4294967295ELNS1_3gpuE0ELNS1_3repE0EEENS1_30default_config_static_selectorELNS0_4arch9wavefront6targetE1EEEvT1_,@function
_ZN7rocprim17ROCPRIM_400000_NS6detail17trampoline_kernelINS0_14default_configENS1_25partition_config_selectorILNS1_17partition_subalgoE0EyNS0_10empty_typeEbEEZZNS1_14partition_implILS5_0ELb0ES3_jN6thrust23THRUST_200600_302600_NS6detail15normal_iteratorINSA_10device_ptrIyEEEEPS6_SG_NS0_5tupleIJSF_SF_EEENSH_IJSG_SG_EEES6_PlJ7is_evenIyEEEE10hipError_tPvRmT3_T4_T5_T6_T7_T9_mT8_P12ihipStream_tbDpT10_ENKUlT_T0_E_clISt17integral_constantIbLb0EES15_IbLb1EEEEDaS11_S12_EUlS11_E_NS1_11comp_targetILNS1_3genE0ELNS1_11target_archE4294967295ELNS1_3gpuE0ELNS1_3repE0EEENS1_30default_config_static_selectorELNS0_4arch9wavefront6targetE1EEEvT1_: ; @_ZN7rocprim17ROCPRIM_400000_NS6detail17trampoline_kernelINS0_14default_configENS1_25partition_config_selectorILNS1_17partition_subalgoE0EyNS0_10empty_typeEbEEZZNS1_14partition_implILS5_0ELb0ES3_jN6thrust23THRUST_200600_302600_NS6detail15normal_iteratorINSA_10device_ptrIyEEEEPS6_SG_NS0_5tupleIJSF_SF_EEENSH_IJSG_SG_EEES6_PlJ7is_evenIyEEEE10hipError_tPvRmT3_T4_T5_T6_T7_T9_mT8_P12ihipStream_tbDpT10_ENKUlT_T0_E_clISt17integral_constantIbLb0EES15_IbLb1EEEEDaS11_S12_EUlS11_E_NS1_11comp_targetILNS1_3genE0ELNS1_11target_archE4294967295ELNS1_3gpuE0ELNS1_3repE0EEENS1_30default_config_static_selectorELNS0_4arch9wavefront6targetE1EEEvT1_
; %bb.0:
	.section	.rodata,"a",@progbits
	.p2align	6, 0x0
	.amdhsa_kernel _ZN7rocprim17ROCPRIM_400000_NS6detail17trampoline_kernelINS0_14default_configENS1_25partition_config_selectorILNS1_17partition_subalgoE0EyNS0_10empty_typeEbEEZZNS1_14partition_implILS5_0ELb0ES3_jN6thrust23THRUST_200600_302600_NS6detail15normal_iteratorINSA_10device_ptrIyEEEEPS6_SG_NS0_5tupleIJSF_SF_EEENSH_IJSG_SG_EEES6_PlJ7is_evenIyEEEE10hipError_tPvRmT3_T4_T5_T6_T7_T9_mT8_P12ihipStream_tbDpT10_ENKUlT_T0_E_clISt17integral_constantIbLb0EES15_IbLb1EEEEDaS11_S12_EUlS11_E_NS1_11comp_targetILNS1_3genE0ELNS1_11target_archE4294967295ELNS1_3gpuE0ELNS1_3repE0EEENS1_30default_config_static_selectorELNS0_4arch9wavefront6targetE1EEEvT1_
		.amdhsa_group_segment_fixed_size 0
		.amdhsa_private_segment_fixed_size 0
		.amdhsa_kernarg_size 136
		.amdhsa_user_sgpr_count 2
		.amdhsa_user_sgpr_dispatch_ptr 0
		.amdhsa_user_sgpr_queue_ptr 0
		.amdhsa_user_sgpr_kernarg_segment_ptr 1
		.amdhsa_user_sgpr_dispatch_id 0
		.amdhsa_user_sgpr_kernarg_preload_length 0
		.amdhsa_user_sgpr_kernarg_preload_offset 0
		.amdhsa_user_sgpr_private_segment_size 0
		.amdhsa_uses_dynamic_stack 0
		.amdhsa_enable_private_segment 0
		.amdhsa_system_sgpr_workgroup_id_x 1
		.amdhsa_system_sgpr_workgroup_id_y 0
		.amdhsa_system_sgpr_workgroup_id_z 0
		.amdhsa_system_sgpr_workgroup_info 0
		.amdhsa_system_vgpr_workitem_id 0
		.amdhsa_next_free_vgpr 1
		.amdhsa_next_free_sgpr 0
		.amdhsa_accum_offset 4
		.amdhsa_reserve_vcc 0
		.amdhsa_float_round_mode_32 0
		.amdhsa_float_round_mode_16_64 0
		.amdhsa_float_denorm_mode_32 3
		.amdhsa_float_denorm_mode_16_64 3
		.amdhsa_dx10_clamp 1
		.amdhsa_ieee_mode 1
		.amdhsa_fp16_overflow 0
		.amdhsa_tg_split 0
		.amdhsa_exception_fp_ieee_invalid_op 0
		.amdhsa_exception_fp_denorm_src 0
		.amdhsa_exception_fp_ieee_div_zero 0
		.amdhsa_exception_fp_ieee_overflow 0
		.amdhsa_exception_fp_ieee_underflow 0
		.amdhsa_exception_fp_ieee_inexact 0
		.amdhsa_exception_int_div_zero 0
	.end_amdhsa_kernel
	.section	.text._ZN7rocprim17ROCPRIM_400000_NS6detail17trampoline_kernelINS0_14default_configENS1_25partition_config_selectorILNS1_17partition_subalgoE0EyNS0_10empty_typeEbEEZZNS1_14partition_implILS5_0ELb0ES3_jN6thrust23THRUST_200600_302600_NS6detail15normal_iteratorINSA_10device_ptrIyEEEEPS6_SG_NS0_5tupleIJSF_SF_EEENSH_IJSG_SG_EEES6_PlJ7is_evenIyEEEE10hipError_tPvRmT3_T4_T5_T6_T7_T9_mT8_P12ihipStream_tbDpT10_ENKUlT_T0_E_clISt17integral_constantIbLb0EES15_IbLb1EEEEDaS11_S12_EUlS11_E_NS1_11comp_targetILNS1_3genE0ELNS1_11target_archE4294967295ELNS1_3gpuE0ELNS1_3repE0EEENS1_30default_config_static_selectorELNS0_4arch9wavefront6targetE1EEEvT1_,"axG",@progbits,_ZN7rocprim17ROCPRIM_400000_NS6detail17trampoline_kernelINS0_14default_configENS1_25partition_config_selectorILNS1_17partition_subalgoE0EyNS0_10empty_typeEbEEZZNS1_14partition_implILS5_0ELb0ES3_jN6thrust23THRUST_200600_302600_NS6detail15normal_iteratorINSA_10device_ptrIyEEEEPS6_SG_NS0_5tupleIJSF_SF_EEENSH_IJSG_SG_EEES6_PlJ7is_evenIyEEEE10hipError_tPvRmT3_T4_T5_T6_T7_T9_mT8_P12ihipStream_tbDpT10_ENKUlT_T0_E_clISt17integral_constantIbLb0EES15_IbLb1EEEEDaS11_S12_EUlS11_E_NS1_11comp_targetILNS1_3genE0ELNS1_11target_archE4294967295ELNS1_3gpuE0ELNS1_3repE0EEENS1_30default_config_static_selectorELNS0_4arch9wavefront6targetE1EEEvT1_,comdat
.Lfunc_end2128:
	.size	_ZN7rocprim17ROCPRIM_400000_NS6detail17trampoline_kernelINS0_14default_configENS1_25partition_config_selectorILNS1_17partition_subalgoE0EyNS0_10empty_typeEbEEZZNS1_14partition_implILS5_0ELb0ES3_jN6thrust23THRUST_200600_302600_NS6detail15normal_iteratorINSA_10device_ptrIyEEEEPS6_SG_NS0_5tupleIJSF_SF_EEENSH_IJSG_SG_EEES6_PlJ7is_evenIyEEEE10hipError_tPvRmT3_T4_T5_T6_T7_T9_mT8_P12ihipStream_tbDpT10_ENKUlT_T0_E_clISt17integral_constantIbLb0EES15_IbLb1EEEEDaS11_S12_EUlS11_E_NS1_11comp_targetILNS1_3genE0ELNS1_11target_archE4294967295ELNS1_3gpuE0ELNS1_3repE0EEENS1_30default_config_static_selectorELNS0_4arch9wavefront6targetE1EEEvT1_, .Lfunc_end2128-_ZN7rocprim17ROCPRIM_400000_NS6detail17trampoline_kernelINS0_14default_configENS1_25partition_config_selectorILNS1_17partition_subalgoE0EyNS0_10empty_typeEbEEZZNS1_14partition_implILS5_0ELb0ES3_jN6thrust23THRUST_200600_302600_NS6detail15normal_iteratorINSA_10device_ptrIyEEEEPS6_SG_NS0_5tupleIJSF_SF_EEENSH_IJSG_SG_EEES6_PlJ7is_evenIyEEEE10hipError_tPvRmT3_T4_T5_T6_T7_T9_mT8_P12ihipStream_tbDpT10_ENKUlT_T0_E_clISt17integral_constantIbLb0EES15_IbLb1EEEEDaS11_S12_EUlS11_E_NS1_11comp_targetILNS1_3genE0ELNS1_11target_archE4294967295ELNS1_3gpuE0ELNS1_3repE0EEENS1_30default_config_static_selectorELNS0_4arch9wavefront6targetE1EEEvT1_
                                        ; -- End function
	.section	.AMDGPU.csdata,"",@progbits
; Kernel info:
; codeLenInByte = 0
; NumSgprs: 6
; NumVgprs: 0
; NumAgprs: 0
; TotalNumVgprs: 0
; ScratchSize: 0
; MemoryBound: 0
; FloatMode: 240
; IeeeMode: 1
; LDSByteSize: 0 bytes/workgroup (compile time only)
; SGPRBlocks: 0
; VGPRBlocks: 0
; NumSGPRsForWavesPerEU: 6
; NumVGPRsForWavesPerEU: 1
; AccumOffset: 4
; Occupancy: 8
; WaveLimiterHint : 0
; COMPUTE_PGM_RSRC2:SCRATCH_EN: 0
; COMPUTE_PGM_RSRC2:USER_SGPR: 2
; COMPUTE_PGM_RSRC2:TRAP_HANDLER: 0
; COMPUTE_PGM_RSRC2:TGID_X_EN: 1
; COMPUTE_PGM_RSRC2:TGID_Y_EN: 0
; COMPUTE_PGM_RSRC2:TGID_Z_EN: 0
; COMPUTE_PGM_RSRC2:TIDIG_COMP_CNT: 0
; COMPUTE_PGM_RSRC3_GFX90A:ACCUM_OFFSET: 0
; COMPUTE_PGM_RSRC3_GFX90A:TG_SPLIT: 0
	.section	.text._ZN7rocprim17ROCPRIM_400000_NS6detail17trampoline_kernelINS0_14default_configENS1_25partition_config_selectorILNS1_17partition_subalgoE0EyNS0_10empty_typeEbEEZZNS1_14partition_implILS5_0ELb0ES3_jN6thrust23THRUST_200600_302600_NS6detail15normal_iteratorINSA_10device_ptrIyEEEEPS6_SG_NS0_5tupleIJSF_SF_EEENSH_IJSG_SG_EEES6_PlJ7is_evenIyEEEE10hipError_tPvRmT3_T4_T5_T6_T7_T9_mT8_P12ihipStream_tbDpT10_ENKUlT_T0_E_clISt17integral_constantIbLb0EES15_IbLb1EEEEDaS11_S12_EUlS11_E_NS1_11comp_targetILNS1_3genE5ELNS1_11target_archE942ELNS1_3gpuE9ELNS1_3repE0EEENS1_30default_config_static_selectorELNS0_4arch9wavefront6targetE1EEEvT1_,"axG",@progbits,_ZN7rocprim17ROCPRIM_400000_NS6detail17trampoline_kernelINS0_14default_configENS1_25partition_config_selectorILNS1_17partition_subalgoE0EyNS0_10empty_typeEbEEZZNS1_14partition_implILS5_0ELb0ES3_jN6thrust23THRUST_200600_302600_NS6detail15normal_iteratorINSA_10device_ptrIyEEEEPS6_SG_NS0_5tupleIJSF_SF_EEENSH_IJSG_SG_EEES6_PlJ7is_evenIyEEEE10hipError_tPvRmT3_T4_T5_T6_T7_T9_mT8_P12ihipStream_tbDpT10_ENKUlT_T0_E_clISt17integral_constantIbLb0EES15_IbLb1EEEEDaS11_S12_EUlS11_E_NS1_11comp_targetILNS1_3genE5ELNS1_11target_archE942ELNS1_3gpuE9ELNS1_3repE0EEENS1_30default_config_static_selectorELNS0_4arch9wavefront6targetE1EEEvT1_,comdat
	.protected	_ZN7rocprim17ROCPRIM_400000_NS6detail17trampoline_kernelINS0_14default_configENS1_25partition_config_selectorILNS1_17partition_subalgoE0EyNS0_10empty_typeEbEEZZNS1_14partition_implILS5_0ELb0ES3_jN6thrust23THRUST_200600_302600_NS6detail15normal_iteratorINSA_10device_ptrIyEEEEPS6_SG_NS0_5tupleIJSF_SF_EEENSH_IJSG_SG_EEES6_PlJ7is_evenIyEEEE10hipError_tPvRmT3_T4_T5_T6_T7_T9_mT8_P12ihipStream_tbDpT10_ENKUlT_T0_E_clISt17integral_constantIbLb0EES15_IbLb1EEEEDaS11_S12_EUlS11_E_NS1_11comp_targetILNS1_3genE5ELNS1_11target_archE942ELNS1_3gpuE9ELNS1_3repE0EEENS1_30default_config_static_selectorELNS0_4arch9wavefront6targetE1EEEvT1_ ; -- Begin function _ZN7rocprim17ROCPRIM_400000_NS6detail17trampoline_kernelINS0_14default_configENS1_25partition_config_selectorILNS1_17partition_subalgoE0EyNS0_10empty_typeEbEEZZNS1_14partition_implILS5_0ELb0ES3_jN6thrust23THRUST_200600_302600_NS6detail15normal_iteratorINSA_10device_ptrIyEEEEPS6_SG_NS0_5tupleIJSF_SF_EEENSH_IJSG_SG_EEES6_PlJ7is_evenIyEEEE10hipError_tPvRmT3_T4_T5_T6_T7_T9_mT8_P12ihipStream_tbDpT10_ENKUlT_T0_E_clISt17integral_constantIbLb0EES15_IbLb1EEEEDaS11_S12_EUlS11_E_NS1_11comp_targetILNS1_3genE5ELNS1_11target_archE942ELNS1_3gpuE9ELNS1_3repE0EEENS1_30default_config_static_selectorELNS0_4arch9wavefront6targetE1EEEvT1_
	.globl	_ZN7rocprim17ROCPRIM_400000_NS6detail17trampoline_kernelINS0_14default_configENS1_25partition_config_selectorILNS1_17partition_subalgoE0EyNS0_10empty_typeEbEEZZNS1_14partition_implILS5_0ELb0ES3_jN6thrust23THRUST_200600_302600_NS6detail15normal_iteratorINSA_10device_ptrIyEEEEPS6_SG_NS0_5tupleIJSF_SF_EEENSH_IJSG_SG_EEES6_PlJ7is_evenIyEEEE10hipError_tPvRmT3_T4_T5_T6_T7_T9_mT8_P12ihipStream_tbDpT10_ENKUlT_T0_E_clISt17integral_constantIbLb0EES15_IbLb1EEEEDaS11_S12_EUlS11_E_NS1_11comp_targetILNS1_3genE5ELNS1_11target_archE942ELNS1_3gpuE9ELNS1_3repE0EEENS1_30default_config_static_selectorELNS0_4arch9wavefront6targetE1EEEvT1_
	.p2align	8
	.type	_ZN7rocprim17ROCPRIM_400000_NS6detail17trampoline_kernelINS0_14default_configENS1_25partition_config_selectorILNS1_17partition_subalgoE0EyNS0_10empty_typeEbEEZZNS1_14partition_implILS5_0ELb0ES3_jN6thrust23THRUST_200600_302600_NS6detail15normal_iteratorINSA_10device_ptrIyEEEEPS6_SG_NS0_5tupleIJSF_SF_EEENSH_IJSG_SG_EEES6_PlJ7is_evenIyEEEE10hipError_tPvRmT3_T4_T5_T6_T7_T9_mT8_P12ihipStream_tbDpT10_ENKUlT_T0_E_clISt17integral_constantIbLb0EES15_IbLb1EEEEDaS11_S12_EUlS11_E_NS1_11comp_targetILNS1_3genE5ELNS1_11target_archE942ELNS1_3gpuE9ELNS1_3repE0EEENS1_30default_config_static_selectorELNS0_4arch9wavefront6targetE1EEEvT1_,@function
_ZN7rocprim17ROCPRIM_400000_NS6detail17trampoline_kernelINS0_14default_configENS1_25partition_config_selectorILNS1_17partition_subalgoE0EyNS0_10empty_typeEbEEZZNS1_14partition_implILS5_0ELb0ES3_jN6thrust23THRUST_200600_302600_NS6detail15normal_iteratorINSA_10device_ptrIyEEEEPS6_SG_NS0_5tupleIJSF_SF_EEENSH_IJSG_SG_EEES6_PlJ7is_evenIyEEEE10hipError_tPvRmT3_T4_T5_T6_T7_T9_mT8_P12ihipStream_tbDpT10_ENKUlT_T0_E_clISt17integral_constantIbLb0EES15_IbLb1EEEEDaS11_S12_EUlS11_E_NS1_11comp_targetILNS1_3genE5ELNS1_11target_archE942ELNS1_3gpuE9ELNS1_3repE0EEENS1_30default_config_static_selectorELNS0_4arch9wavefront6targetE1EEEvT1_: ; @_ZN7rocprim17ROCPRIM_400000_NS6detail17trampoline_kernelINS0_14default_configENS1_25partition_config_selectorILNS1_17partition_subalgoE0EyNS0_10empty_typeEbEEZZNS1_14partition_implILS5_0ELb0ES3_jN6thrust23THRUST_200600_302600_NS6detail15normal_iteratorINSA_10device_ptrIyEEEEPS6_SG_NS0_5tupleIJSF_SF_EEENSH_IJSG_SG_EEES6_PlJ7is_evenIyEEEE10hipError_tPvRmT3_T4_T5_T6_T7_T9_mT8_P12ihipStream_tbDpT10_ENKUlT_T0_E_clISt17integral_constantIbLb0EES15_IbLb1EEEEDaS11_S12_EUlS11_E_NS1_11comp_targetILNS1_3genE5ELNS1_11target_archE942ELNS1_3gpuE9ELNS1_3repE0EEENS1_30default_config_static_selectorELNS0_4arch9wavefront6targetE1EEEvT1_
; %bb.0:
	s_load_dwordx2 s[2:3], s[0:1], 0x58
	s_load_dwordx4 s[24:27], s[0:1], 0x48
	s_load_dwordx2 s[34:35], s[0:1], 0x68
	v_cmp_eq_u32_e64 s[20:21], 0, v0
	s_and_saveexec_b64 s[4:5], s[20:21]
	s_cbranch_execz .LBB2129_4
; %bb.1:
	s_mov_b64 s[8:9], exec
	v_mbcnt_lo_u32_b32 v1, s8, 0
	v_mbcnt_hi_u32_b32 v1, s9, v1
	v_cmp_eq_u32_e32 vcc, 0, v1
                                        ; implicit-def: $vgpr2
	s_and_saveexec_b64 s[6:7], vcc
	s_cbranch_execz .LBB2129_3
; %bb.2:
	s_load_dwordx2 s[10:11], s[0:1], 0x78
	s_bcnt1_i32_b64 s8, s[8:9]
	v_mov_b32_e32 v2, 0
	v_mov_b32_e32 v3, s8
	s_waitcnt lgkmcnt(0)
	global_atomic_add v2, v2, v3, s[10:11] sc0
.LBB2129_3:
	s_or_b64 exec, exec, s[6:7]
	s_waitcnt vmcnt(0)
	v_readfirstlane_b32 s6, v2
	v_mov_b32_e32 v2, 0
	s_nop 0
	v_add_u32_e32 v1, s6, v1
	ds_write_b32 v2, v1
.LBB2129_4:
	s_or_b64 exec, exec, s[4:5]
	v_mov_b32_e32 v19, 0
	s_load_dwordx4 s[36:39], s[0:1], 0x8
	s_load_dwordx4 s[28:31], s[0:1], 0x28
	s_load_dword s4, s[0:1], 0x70
	s_waitcnt lgkmcnt(0)
	s_barrier
	ds_read_b32 v1, v19
	s_waitcnt lgkmcnt(0)
	s_barrier
	global_load_dwordx2 v[20:21], v19, s[26:27]
	v_mov_b32_e32 v3, s3
	s_lshl_b64 s[0:1], s[38:39], 3
	s_movk_i32 s3, 0xe00
	s_add_u32 s0, s36, s0
	v_mul_lo_u32 v18, v1, s3
	s_mul_i32 s3, s4, 0xe00
	s_addc_u32 s1, s37, s1
	s_add_i32 s5, s4, -1
	s_add_i32 s4, s3, s38
	s_sub_i32 s33, s2, s4
	s_addk_i32 s33, 0xe00
	v_mov_b32_e32 v2, s2
	s_add_u32 s2, s38, s3
	v_readfirstlane_b32 s40, v1
	s_addc_u32 s3, s39, 0
	s_cmp_eq_u32 s40, s5
	s_cselect_b64 s[22:23], -1, 0
	s_cmp_lg_u32 s40, s5
	v_cmp_lt_u64_e32 vcc, s[2:3], v[2:3]
	s_cselect_b64 s[2:3], -1, 0
	s_or_b64 s[4:5], vcc, s[2:3]
	v_lshlrev_b64 v[22:23], 3, v[18:19]
	v_lshl_add_u64 v[24:25], s[0:1], 0, v[22:23]
	s_mov_b64 s[0:1], -1
	s_and_b64 vcc, exec, s[4:5]
	v_lshlrev_b32_e32 v18, 3, v0
	s_cbranch_vccz .LBB2129_6
; %bb.5:
	v_lshl_add_u64 v[2:3], v[24:25], 0, v[18:19]
	v_add_co_u32_e32 v4, vcc, 0x1000, v2
	s_mov_b64 s[0:1], 0
	s_nop 0
	v_addc_co_u32_e32 v5, vcc, 0, v3, vcc
	v_add_co_u32_e32 v6, vcc, 0x2000, v2
	s_nop 1
	v_addc_co_u32_e32 v7, vcc, 0, v3, vcc
	v_add_co_u32_e32 v8, vcc, 0x3000, v2
	s_nop 1
	v_addc_co_u32_e32 v9, vcc, 0, v3, vcc
	flat_load_dwordx2 v[10:11], v[2:3]
	flat_load_dwordx2 v[12:13], v[4:5]
	;; [unrolled: 1-line block ×4, first 2 shown]
	v_add_co_u32_e32 v4, vcc, 0x4000, v2
	s_nop 1
	v_addc_co_u32_e32 v5, vcc, 0, v3, vcc
	v_add_co_u32_e32 v6, vcc, 0x5000, v2
	s_nop 1
	v_addc_co_u32_e32 v7, vcc, 0, v3, vcc
	;; [unrolled: 3-line block ×3, first 2 shown]
	flat_load_dwordx2 v[8:9], v[4:5]
	flat_load_dwordx2 v[26:27], v[6:7]
	flat_load_dwordx2 v[28:29], v[2:3]
	s_waitcnt vmcnt(0) lgkmcnt(0)
	ds_write2st64_b64 v18, v[10:11], v[12:13] offset1:8
	ds_write2st64_b64 v18, v[14:15], v[16:17] offset0:16 offset1:24
	ds_write2st64_b64 v18, v[8:9], v[26:27] offset0:32 offset1:40
	ds_write_b64 v18, v[28:29] offset:24576
	s_waitcnt lgkmcnt(0)
	s_barrier
.LBB2129_6:
	s_andn2_b64 vcc, exec, s[0:1]
	v_cmp_gt_u32_e64 s[0:1], s33, v0
	s_cbranch_vccnz .LBB2129_22
; %bb.7:
                                        ; implicit-def: $vgpr2_vgpr3_vgpr4_vgpr5_vgpr6_vgpr7_vgpr8_vgpr9_vgpr10_vgpr11_vgpr12_vgpr13_vgpr14_vgpr15_vgpr16_vgpr17
	s_and_saveexec_b64 s[2:3], s[0:1]
	s_cbranch_execz .LBB2129_9
; %bb.8:
	v_mov_b32_e32 v19, 0
	v_lshl_add_u64 v[2:3], v[24:25], 0, v[18:19]
	flat_load_dwordx2 v[2:3], v[2:3]
.LBB2129_9:
	s_or_b64 exec, exec, s[2:3]
	v_or_b32_e32 v1, 0x200, v0
	v_cmp_gt_u32_e32 vcc, s33, v1
	s_and_saveexec_b64 s[0:1], vcc
	s_cbranch_execz .LBB2129_11
; %bb.10:
	v_lshlrev_b32_e32 v4, 3, v1
	v_mov_b32_e32 v5, 0
	v_lshl_add_u64 v[4:5], v[24:25], 0, v[4:5]
	flat_load_dwordx2 v[4:5], v[4:5]
.LBB2129_11:
	s_or_b64 exec, exec, s[0:1]
	v_or_b32_e32 v1, 0x400, v0
	v_cmp_gt_u32_e32 vcc, s33, v1
	s_and_saveexec_b64 s[0:1], vcc
	s_cbranch_execz .LBB2129_13
; %bb.12:
	v_lshlrev_b32_e32 v6, 3, v1
	v_mov_b32_e32 v7, 0
	v_lshl_add_u64 v[6:7], v[24:25], 0, v[6:7]
	flat_load_dwordx2 v[6:7], v[6:7]
.LBB2129_13:
	;; [unrolled: 11-line block ×6, first 2 shown]
	s_or_b64 exec, exec, s[0:1]
	s_waitcnt vmcnt(0) lgkmcnt(0)
	ds_write2st64_b64 v18, v[2:3], v[4:5] offset1:8
	ds_write2st64_b64 v18, v[6:7], v[8:9] offset0:16 offset1:24
	ds_write2st64_b64 v18, v[10:11], v[12:13] offset0:32 offset1:40
	ds_write_b64 v18, v[14:15] offset:24576
	s_waitcnt lgkmcnt(0)
	s_barrier
.LBB2129_22:
	v_mul_u32_u24_e32 v1, 7, v0
	v_lshlrev_b32_e32 v36, 3, v1
	ds_read2_b64 v[10:13], v36 offset1:1
	ds_read2_b64 v[6:9], v36 offset0:2 offset1:3
	ds_read2_b64 v[2:5], v36 offset0:4 offset1:5
	ds_read_b64 v[14:15], v36 offset:48
	v_cndmask_b32_e64 v16, 0, 1, s[4:5]
	v_cmp_ne_u32_e64 s[2:3], 1, v16
	s_andn2_b64 vcc, exec, s[4:5]
	s_waitcnt lgkmcnt(3)
	v_xor_b32_e32 v28, -1, v10
	v_xor_b32_e32 v27, -1, v12
	s_waitcnt lgkmcnt(2)
	v_xor_b32_e32 v26, -1, v6
	v_xor_b32_e32 v25, -1, v8
	;; [unrolled: 3-line block ×3, first 2 shown]
	s_waitcnt lgkmcnt(0)
	v_xor_b32_e32 v16, -1, v14
	s_barrier
	s_cbranch_vccnz .LBB2129_24
; %bb.23:
	v_mov_b32_e32 v19, 1
	v_and_b32_e32 v29, 1, v28
	v_and_b32_sdwa v30, v27, v19 dst_sel:BYTE_1 dst_unused:UNUSED_PAD src0_sel:DWORD src1_sel:DWORD
	v_and_b32_e32 v31, 1, v26
	v_and_b32_sdwa v34, v25, v19 dst_sel:BYTE_1 dst_unused:UNUSED_PAD src0_sel:DWORD src1_sel:DWORD
	v_or_b32_e32 v29, v29, v30
	v_or_b32_sdwa v30, v31, v34 dst_sel:WORD_1 dst_unused:UNUSED_PAD src0_sel:DWORD src1_sel:DWORD
	v_and_b32_e32 v33, 1, v24
	v_and_b32_e32 v32, 1, v17
	v_and_b32_e32 v19, 1, v16
	v_or_b32_sdwa v34, v29, v30 dst_sel:DWORD dst_unused:UNUSED_PAD src0_sel:WORD_0 src1_sel:DWORD
	s_cbranch_execz .LBB2129_25
	s_branch .LBB2129_26
.LBB2129_24:
                                        ; implicit-def: $vgpr19
                                        ; implicit-def: $vgpr32
                                        ; implicit-def: $vgpr33
                                        ; implicit-def: $vgpr34
.LBB2129_25:
	v_add_u32_e32 v19, 1, v1
	v_cmp_gt_u32_e32 vcc, s33, v1
	v_add_u32_e32 v29, 2, v1
	v_add_u32_e32 v30, 3, v1
	v_cndmask_b32_e64 v33, 0, 1, vcc
	v_cmp_gt_u32_e32 vcc, s33, v19
	v_add_u32_e32 v31, 4, v1
	v_add_u32_e32 v32, 5, v1
	v_cndmask_b32_e64 v19, 0, 1, vcc
	v_cmp_gt_u32_e32 vcc, s33, v29
	v_and_b32_sdwa v27, v19, v27 dst_sel:BYTE_1 dst_unused:UNUSED_PAD src0_sel:DWORD src1_sel:DWORD
	v_add_u32_e32 v34, 6, v1
	v_cndmask_b32_e64 v19, 0, 1, vcc
	v_cmp_gt_u32_e32 vcc, s33, v30
	v_and_b32_e32 v26, v19, v26
	v_and_b32_e32 v28, v33, v28
	v_cndmask_b32_e64 v19, 0, 1, vcc
	v_cmp_gt_u32_e32 vcc, s33, v31
	v_and_b32_sdwa v25, v19, v25 dst_sel:BYTE_1 dst_unused:UNUSED_PAD src0_sel:DWORD src1_sel:DWORD
	s_nop 0
	v_cndmask_b32_e64 v19, 0, 1, vcc
	v_cmp_gt_u32_e32 vcc, s33, v32
	v_and_b32_e32 v33, v19, v24
	s_nop 0
	v_cndmask_b32_e64 v19, 0, 1, vcc
	v_cmp_gt_u32_e32 vcc, s33, v34
	v_and_b32_e32 v32, v19, v17
	s_nop 0
	v_cndmask_b32_e64 v17, 0, 1, vcc
	v_and_b32_e32 v19, v17, v16
	v_or_b32_e32 v16, v28, v27
	v_or_b32_sdwa v17, v26, v25 dst_sel:WORD_1 dst_unused:UNUSED_PAD src0_sel:DWORD src1_sel:DWORD
	s_nop 0
	v_or_b32_sdwa v34, v16, v17 dst_sel:DWORD dst_unused:UNUSED_PAD src0_sel:WORD_0 src1_sel:DWORD
.LBB2129_26:
	v_and_b32_e32 v37, 0xff, v34
	v_bfe_u32 v38, v34, 8, 8
	v_bfe_u32 v39, v34, 16, 8
	v_lshrrev_b32_e32 v35, 24, v34
	v_and_b32_e32 v40, 0xff, v33
	v_add3_u32 v17, v38, v37, v39
	v_and_b32_e32 v41, 0xff, v32
	v_and_b32_e32 v16, 0xff, v19
	v_add3_u32 v17, v17, v35, v40
	v_add3_u32 v44, v17, v41, v16
	v_mbcnt_lo_u32_b32 v16, -1, 0
	v_mbcnt_hi_u32_b32 v42, -1, v16
	v_and_b32_e32 v16, 15, v42
	v_cmp_eq_u32_e64 s[16:17], 0, v16
	v_cmp_lt_u32_e64 s[14:15], 1, v16
	v_cmp_lt_u32_e64 s[12:13], 3, v16
	;; [unrolled: 1-line block ×3, first 2 shown]
	v_and_b32_e32 v16, 16, v42
	v_cmp_eq_u32_e64 s[8:9], 0, v16
	v_or_b32_e32 v16, 63, v0
	s_cmp_lg_u32 s40, 0
	v_cmp_lt_u32_e64 s[4:5], 31, v42
	v_lshrrev_b32_e32 v43, 6, v0
	v_cmp_eq_u32_e64 s[6:7], v16, v0
	s_cbranch_scc0 .LBB2129_53
; %bb.27:
	v_mov_b32_dpp v16, v44 row_shr:1 row_mask:0xf bank_mask:0xf
	v_cndmask_b32_e64 v16, v16, 0, s[16:17]
	v_add_u32_e32 v16, v16, v44
	s_nop 1
	v_mov_b32_dpp v17, v16 row_shr:2 row_mask:0xf bank_mask:0xf
	v_cndmask_b32_e64 v17, 0, v17, s[14:15]
	v_add_u32_e32 v16, v16, v17
	s_nop 1
	;; [unrolled: 4-line block ×4, first 2 shown]
	v_mov_b32_dpp v17, v16 row_bcast:15 row_mask:0xf bank_mask:0xf
	v_cndmask_b32_e64 v17, v17, 0, s[8:9]
	v_add_u32_e32 v16, v16, v17
	s_nop 1
	v_mov_b32_dpp v17, v16 row_bcast:31 row_mask:0xf bank_mask:0xf
	v_cndmask_b32_e64 v17, 0, v17, s[4:5]
	v_add_u32_e32 v16, v16, v17
	s_and_saveexec_b64 s[0:1], s[6:7]
	s_cbranch_execz .LBB2129_29
; %bb.28:
	v_lshlrev_b32_e32 v17, 2, v43
	ds_write_b32 v17, v16
.LBB2129_29:
	s_or_b64 exec, exec, s[0:1]
	v_cmp_gt_u32_e32 vcc, 8, v0
	s_waitcnt lgkmcnt(0)
	s_barrier
	s_and_saveexec_b64 s[0:1], vcc
	s_cbranch_execz .LBB2129_31
; %bb.30:
	v_lshlrev_b32_e32 v17, 2, v0
	ds_read_b32 v24, v17
	v_and_b32_e32 v25, 7, v42
	v_cmp_ne_u32_e32 vcc, 0, v25
	s_waitcnt lgkmcnt(0)
	v_mov_b32_dpp v26, v24 row_shr:1 row_mask:0xf bank_mask:0xf
	v_cndmask_b32_e32 v26, 0, v26, vcc
	v_add_u32_e32 v24, v26, v24
	v_cmp_lt_u32_e32 vcc, 1, v25
	s_nop 0
	v_mov_b32_dpp v26, v24 row_shr:2 row_mask:0xf bank_mask:0xf
	v_cndmask_b32_e32 v26, 0, v26, vcc
	v_add_u32_e32 v24, v24, v26
	v_cmp_lt_u32_e32 vcc, 3, v25
	s_nop 0
	v_mov_b32_dpp v26, v24 row_shr:4 row_mask:0xf bank_mask:0xf
	v_cndmask_b32_e32 v25, 0, v26, vcc
	v_add_u32_e32 v24, v24, v25
	ds_write_b32 v17, v24
.LBB2129_31:
	s_or_b64 exec, exec, s[0:1]
	v_cmp_gt_u32_e32 vcc, 64, v0
	v_cmp_lt_u32_e64 s[0:1], 63, v0
	s_waitcnt lgkmcnt(0)
	s_barrier
	s_waitcnt lgkmcnt(0)
                                        ; implicit-def: $vgpr45
	s_and_saveexec_b64 s[18:19], s[0:1]
	s_cbranch_execz .LBB2129_33
; %bb.32:
	v_lshl_add_u32 v17, v43, 2, -4
	ds_read_b32 v45, v17
	s_waitcnt lgkmcnt(0)
	v_add_u32_e32 v16, v45, v16
.LBB2129_33:
	s_or_b64 exec, exec, s[18:19]
	v_add_u32_e32 v17, -1, v42
	v_and_b32_e32 v24, 64, v42
	v_cmp_lt_i32_e64 s[0:1], v17, v24
	v_cmp_eq_u32_e64 s[18:19], 0, v42
	s_nop 0
	v_cndmask_b32_e64 v17, v17, v42, s[0:1]
	v_lshlrev_b32_e32 v17, 2, v17
	ds_bpermute_b32 v46, v17, v16
	s_and_saveexec_b64 s[0:1], vcc
	s_cbranch_execz .LBB2129_52
; %bb.34:
	v_mov_b32_e32 v29, 0
	ds_read_b32 v16, v29 offset:28
	s_and_saveexec_b64 s[26:27], s[18:19]
	s_cbranch_execz .LBB2129_36
; %bb.35:
	s_add_i32 s36, s40, 64
	s_mov_b32 s37, 0
	s_lshl_b64 s[36:37], s[36:37], 3
	s_add_u32 s36, s34, s36
	v_mov_b32_e32 v17, 1
	s_addc_u32 s37, s35, s37
	s_waitcnt lgkmcnt(0)
	global_store_dwordx2 v29, v[16:17], s[36:37] sc1
.LBB2129_36:
	s_or_b64 exec, exec, s[26:27]
	v_xad_u32 v24, v42, -1, s40
	v_add_u32_e32 v28, 64, v24
	v_lshl_add_u64 v[30:31], v[28:29], 3, s[34:35]
	global_load_dwordx2 v[26:27], v[30:31], off sc1
	s_waitcnt vmcnt(0)
	v_cmp_eq_u16_sdwa s[36:37], v27, v29 src0_sel:BYTE_0 src1_sel:DWORD
	s_and_saveexec_b64 s[26:27], s[36:37]
	s_cbranch_execz .LBB2129_40
; %bb.37:
	s_mov_b64 s[36:37], 0
	v_mov_b32_e32 v17, 0
.LBB2129_38:                            ; =>This Inner Loop Header: Depth=1
	global_load_dwordx2 v[26:27], v[30:31], off sc1
	s_waitcnt vmcnt(0)
	v_cmp_ne_u16_sdwa s[42:43], v27, v17 src0_sel:BYTE_0 src1_sel:DWORD
	s_or_b64 s[36:37], s[42:43], s[36:37]
	s_andn2_b64 exec, exec, s[36:37]
	s_cbranch_execnz .LBB2129_38
; %bb.39:
	s_or_b64 exec, exec, s[36:37]
.LBB2129_40:
	s_or_b64 exec, exec, s[26:27]
	v_and_b32_e32 v48, 63, v42
	v_mov_b32_e32 v47, 2
	v_cmp_ne_u32_e32 vcc, 63, v48
	v_cmp_eq_u16_sdwa s[26:27], v27, v47 src0_sel:BYTE_0 src1_sel:DWORD
	v_lshlrev_b64 v[28:29], v42, -1
	v_addc_co_u32_e32 v30, vcc, 0, v42, vcc
	v_and_b32_e32 v17, s27, v29
	v_lshlrev_b32_e32 v49, 2, v30
	v_or_b32_e32 v17, 0x80000000, v17
	ds_bpermute_b32 v30, v49, v26
	v_and_b32_e32 v25, s26, v28
	v_ffbl_b32_e32 v17, v17
	v_add_u32_e32 v17, 32, v17
	v_ffbl_b32_e32 v25, v25
	v_min_u32_e32 v17, v25, v17
	v_cmp_lt_u32_e32 vcc, v48, v17
	v_add_u32_e32 v51, 2, v48
	v_add_u32_e32 v53, 4, v48
	s_waitcnt lgkmcnt(0)
	v_cndmask_b32_e32 v25, 0, v30, vcc
	v_cmp_gt_u32_e32 vcc, 62, v48
	v_add_u32_e32 v25, v25, v26
	v_add_u32_e32 v55, 8, v48
	v_cndmask_b32_e64 v26, 0, 1, vcc
	v_lshlrev_b32_e32 v26, 1, v26
	v_add_lshl_u32 v50, v26, v42, 2
	ds_bpermute_b32 v26, v50, v25
	v_cmp_le_u32_e32 vcc, v51, v17
	v_add_u32_e32 v57, 16, v48
	v_add_u32_e32 v59, 32, v48
	s_waitcnt lgkmcnt(0)
	v_cndmask_b32_e32 v26, 0, v26, vcc
	v_cmp_gt_u32_e32 vcc, 60, v48
	v_add_u32_e32 v25, v25, v26
	s_nop 0
	v_cndmask_b32_e64 v26, 0, 1, vcc
	v_lshlrev_b32_e32 v26, 2, v26
	v_add_lshl_u32 v52, v26, v42, 2
	ds_bpermute_b32 v26, v52, v25
	v_cmp_le_u32_e32 vcc, v53, v17
	s_waitcnt lgkmcnt(0)
	s_nop 0
	v_cndmask_b32_e32 v26, 0, v26, vcc
	v_cmp_gt_u32_e32 vcc, 56, v48
	v_add_u32_e32 v25, v25, v26
	s_nop 0
	v_cndmask_b32_e64 v26, 0, 1, vcc
	v_lshlrev_b32_e32 v26, 3, v26
	v_add_lshl_u32 v54, v26, v42, 2
	ds_bpermute_b32 v26, v54, v25
	v_cmp_le_u32_e32 vcc, v55, v17
	s_waitcnt lgkmcnt(0)
	s_nop 0
	;; [unrolled: 11-line block ×4, first 2 shown]
	v_cndmask_b32_e32 v17, 0, v26, vcc
	v_add_u32_e32 v26, v25, v17
	v_mov_b32_e32 v25, 0
	s_branch .LBB2129_42
.LBB2129_41:                            ;   in Loop: Header=BB2129_42 Depth=1
	s_or_b64 exec, exec, s[26:27]
	v_cmp_eq_u16_sdwa s[26:27], v27, v47 src0_sel:BYTE_0 src1_sel:DWORD
	ds_bpermute_b32 v60, v49, v26
	v_subrev_u32_e32 v24, 64, v24
	v_and_b32_e32 v30, s27, v29
	v_or_b32_e32 v30, 0x80000000, v30
	v_and_b32_e32 v31, s26, v28
	v_ffbl_b32_e32 v30, v30
	v_add_u32_e32 v30, 32, v30
	v_ffbl_b32_e32 v31, v31
	v_min_u32_e32 v30, v31, v30
	v_cmp_lt_u32_e32 vcc, v48, v30
	s_waitcnt lgkmcnt(0)
	s_nop 0
	v_cndmask_b32_e32 v31, 0, v60, vcc
	v_add_u32_e32 v26, v31, v26
	ds_bpermute_b32 v31, v50, v26
	v_cmp_le_u32_e32 vcc, v51, v30
	s_waitcnt lgkmcnt(0)
	s_nop 0
	v_cndmask_b32_e32 v31, 0, v31, vcc
	v_add_u32_e32 v26, v26, v31
	ds_bpermute_b32 v31, v52, v26
	v_cmp_le_u32_e32 vcc, v53, v30
	;; [unrolled: 6-line block ×5, first 2 shown]
	s_waitcnt lgkmcnt(0)
	s_nop 0
	v_cndmask_b32_e32 v30, 0, v31, vcc
	v_add3_u32 v26, v30, v17, v26
.LBB2129_42:                            ; =>This Loop Header: Depth=1
                                        ;     Child Loop BB2129_45 Depth 2
	v_cmp_ne_u16_sdwa s[26:27], v27, v47 src0_sel:BYTE_0 src1_sel:DWORD
	s_nop 1
	v_cndmask_b32_e64 v17, 0, 1, s[26:27]
	;;#ASMSTART
	;;#ASMEND
	s_nop 0
	v_cmp_ne_u32_e32 vcc, 0, v17
	s_cmp_lg_u64 vcc, exec
	v_mov_b32_e32 v17, v26
	s_cbranch_scc1 .LBB2129_47
; %bb.43:                               ;   in Loop: Header=BB2129_42 Depth=1
	v_lshl_add_u64 v[30:31], v[24:25], 3, s[34:35]
	global_load_dwordx2 v[26:27], v[30:31], off sc1
	s_waitcnt vmcnt(0)
	v_cmp_eq_u16_sdwa s[36:37], v27, v25 src0_sel:BYTE_0 src1_sel:DWORD
	s_and_saveexec_b64 s[26:27], s[36:37]
	s_cbranch_execz .LBB2129_41
; %bb.44:                               ;   in Loop: Header=BB2129_42 Depth=1
	s_mov_b64 s[36:37], 0
.LBB2129_45:                            ;   Parent Loop BB2129_42 Depth=1
                                        ; =>  This Inner Loop Header: Depth=2
	global_load_dwordx2 v[26:27], v[30:31], off sc1
	s_waitcnt vmcnt(0)
	v_cmp_ne_u16_sdwa s[42:43], v27, v25 src0_sel:BYTE_0 src1_sel:DWORD
	s_or_b64 s[36:37], s[42:43], s[36:37]
	s_andn2_b64 exec, exec, s[36:37]
	s_cbranch_execnz .LBB2129_45
; %bb.46:                               ;   in Loop: Header=BB2129_42 Depth=1
	s_or_b64 exec, exec, s[36:37]
	s_branch .LBB2129_41
.LBB2129_47:                            ;   in Loop: Header=BB2129_42 Depth=1
                                        ; implicit-def: $vgpr26
                                        ; implicit-def: $vgpr27
	s_cbranch_execz .LBB2129_42
; %bb.48:
	s_and_saveexec_b64 s[26:27], s[18:19]
	s_cbranch_execz .LBB2129_50
; %bb.49:
	s_add_i32 s36, s40, 64
	s_mov_b32 s37, 0
	s_lshl_b64 s[36:37], s[36:37], 3
	s_add_u32 s36, s34, s36
	v_add_u32_e32 v24, v17, v16
	v_mov_b32_e32 v25, 2
	s_addc_u32 s37, s35, s37
	v_mov_b32_e32 v26, 0
	global_store_dwordx2 v26, v[24:25], s[36:37] sc1
	ds_write_b64 v26, v[16:17] offset:28672
.LBB2129_50:
	s_or_b64 exec, exec, s[26:27]
	s_and_b64 exec, exec, s[20:21]
	s_cbranch_execz .LBB2129_52
; %bb.51:
	v_mov_b32_e32 v16, 0
	ds_write_b32 v16, v17 offset:28
.LBB2129_52:
	s_or_b64 exec, exec, s[0:1]
	v_mov_b32_e32 v16, 0
	s_waitcnt lgkmcnt(0)
	s_barrier
	ds_read_b32 v17, v16 offset:28
	v_cndmask_b32_e64 v24, v46, v45, s[18:19]
	v_cndmask_b32_e64 v24, v24, 0, s[20:21]
	s_waitcnt lgkmcnt(0)
	s_barrier
	v_add_u32_e32 v31, v17, v24
	v_add_u32_e32 v30, v31, v37
	ds_read_b64 v[16:17], v16 offset:28672
	v_add_u32_e32 v29, v30, v38
	v_add_u32_e32 v28, v29, v39
	;; [unrolled: 1-line block ×5, first 2 shown]
	s_waitcnt lgkmcnt(0)
	v_mov_b32_e32 v24, v17
	s_branch .LBB2129_63
.LBB2129_53:
                                        ; implicit-def: $vgpr24
                                        ; implicit-def: $vgpr16
                                        ; implicit-def: $vgpr25
                                        ; implicit-def: $vgpr26
                                        ; implicit-def: $vgpr27
                                        ; implicit-def: $vgpr28
                                        ; implicit-def: $vgpr29
                                        ; implicit-def: $vgpr30
                                        ; implicit-def: $vgpr31
	s_cbranch_execz .LBB2129_63
; %bb.54:
	s_nop 0
	v_mov_b32_dpp v16, v44 row_shr:1 row_mask:0xf bank_mask:0xf
	v_cndmask_b32_e64 v16, v16, 0, s[16:17]
	v_add_u32_e32 v16, v16, v44
	s_nop 1
	v_mov_b32_dpp v17, v16 row_shr:2 row_mask:0xf bank_mask:0xf
	v_cndmask_b32_e64 v17, 0, v17, s[14:15]
	v_add_u32_e32 v16, v16, v17
	;; [unrolled: 4-line block ×4, first 2 shown]
	s_nop 1
	v_mov_b32_dpp v17, v16 row_bcast:15 row_mask:0xf bank_mask:0xf
	v_cndmask_b32_e64 v17, v17, 0, s[8:9]
	v_add_u32_e32 v16, v16, v17
	s_nop 1
	v_mov_b32_dpp v17, v16 row_bcast:31 row_mask:0xf bank_mask:0xf
	v_cndmask_b32_e64 v17, 0, v17, s[4:5]
	v_add_u32_e32 v16, v16, v17
	s_and_saveexec_b64 s[0:1], s[6:7]
	s_cbranch_execz .LBB2129_56
; %bb.55:
	v_lshlrev_b32_e32 v17, 2, v43
	ds_write_b32 v17, v16
.LBB2129_56:
	s_or_b64 exec, exec, s[0:1]
	v_cmp_gt_u32_e32 vcc, 8, v0
	s_waitcnt lgkmcnt(0)
	s_barrier
	s_and_saveexec_b64 s[0:1], vcc
	s_cbranch_execz .LBB2129_58
; %bb.57:
	s_movk_i32 s4, 0xffcc
	v_mad_i32_i24 v17, v0, s4, v36
	ds_read_b32 v24, v17
	v_and_b32_e32 v25, 7, v42
	v_cmp_ne_u32_e32 vcc, 0, v25
	s_waitcnt lgkmcnt(0)
	v_mov_b32_dpp v26, v24 row_shr:1 row_mask:0xf bank_mask:0xf
	v_cndmask_b32_e32 v26, 0, v26, vcc
	v_add_u32_e32 v24, v26, v24
	v_cmp_lt_u32_e32 vcc, 1, v25
	s_nop 0
	v_mov_b32_dpp v26, v24 row_shr:2 row_mask:0xf bank_mask:0xf
	v_cndmask_b32_e32 v26, 0, v26, vcc
	v_add_u32_e32 v24, v24, v26
	v_cmp_lt_u32_e32 vcc, 3, v25
	s_nop 0
	v_mov_b32_dpp v26, v24 row_shr:4 row_mask:0xf bank_mask:0xf
	v_cndmask_b32_e32 v25, 0, v26, vcc
	v_add_u32_e32 v24, v24, v25
	ds_write_b32 v17, v24
.LBB2129_58:
	s_or_b64 exec, exec, s[0:1]
	v_cmp_lt_u32_e32 vcc, 63, v0
	v_mov_b32_e32 v17, 0
	v_mov_b32_e32 v24, 0
	s_waitcnt lgkmcnt(0)
	s_barrier
	s_and_saveexec_b64 s[0:1], vcc
	s_cbranch_execz .LBB2129_60
; %bb.59:
	v_lshl_add_u32 v24, v43, 2, -4
	ds_read_b32 v24, v24
.LBB2129_60:
	s_or_b64 exec, exec, s[0:1]
	v_add_u32_e32 v25, -1, v42
	v_and_b32_e32 v26, 64, v42
	v_cmp_lt_i32_e32 vcc, v25, v26
	s_waitcnt lgkmcnt(0)
	v_add_u32_e32 v16, v24, v16
	v_cndmask_b32_e32 v25, v25, v42, vcc
	v_lshlrev_b32_e32 v25, 2, v25
	ds_bpermute_b32 v25, v25, v16
	ds_read_b32 v16, v17 offset:28
	s_and_saveexec_b64 s[0:1], s[20:21]
	s_cbranch_execz .LBB2129_62
; %bb.61:
	v_mov_b32_e32 v26, 0
	v_mov_b32_e32 v17, 2
	s_waitcnt lgkmcnt(0)
	global_store_dwordx2 v26, v[16:17], s[34:35] offset:512 sc1
.LBB2129_62:
	s_or_b64 exec, exec, s[0:1]
	v_cmp_eq_u32_e32 vcc, 0, v42
	s_waitcnt lgkmcnt(0)
	s_barrier
	v_cndmask_b32_e32 v17, v25, v24, vcc
	v_cndmask_b32_e64 v31, v17, 0, s[20:21]
	v_add_u32_e32 v30, v31, v37
	v_add_u32_e32 v29, v30, v38
	;; [unrolled: 1-line block ×5, first 2 shown]
	v_mov_b32_e32 v24, 0
	v_add_u32_e32 v25, v26, v41
.LBB2129_63:
	v_add_u32_e32 v1, v16, v1
	v_sub_u32_e32 v31, v31, v24
	v_and_b32_e32 v37, 1, v34
	v_sub_u32_e32 v36, v1, v31
	v_cmp_eq_u32_e32 vcc, 1, v37
	v_lshrrev_b32_e32 v17, 8, v34
	v_and_b32_e32 v17, 1, v17
	v_cndmask_b32_e32 v31, v36, v31, vcc
	v_lshlrev_b32_e32 v31, 3, v31
	ds_write_b64 v31, v[10:11]
	v_sub_u32_e32 v10, v30, v24
	v_sub_u32_e32 v11, v1, v10
	v_add_u32_e32 v11, 1, v11
	v_cmp_eq_u32_e32 vcc, 1, v17
	v_or_b32_e32 v31, 0x400, v0
	v_or_b32_e32 v30, 0x600, v0
	v_cndmask_b32_e32 v10, v11, v10, vcc
	v_lshlrev_b32_e32 v10, 3, v10
	ds_write_b64 v10, v[12:13]
	v_sub_u32_e32 v10, v29, v24
	v_mov_b32_e32 v12, 1
	v_sub_u32_e32 v11, v1, v10
	v_and_b32_sdwa v12, v12, v34 dst_sel:DWORD dst_unused:UNUSED_PAD src0_sel:DWORD src1_sel:WORD_1
	v_add_u32_e32 v11, 2, v11
	v_cmp_eq_u32_e32 vcc, 1, v12
	v_or_b32_e32 v29, 0x800, v0
	s_nop 0
	v_cndmask_b32_e32 v10, v11, v10, vcc
	v_lshlrev_b32_e32 v10, 3, v10
	ds_write_b64 v10, v[6:7]
	v_sub_u32_e32 v6, v28, v24
	v_sub_u32_e32 v7, v1, v6
	v_and_b32_e32 v10, 1, v35
	v_add_u32_e32 v7, 3, v7
	v_cmp_eq_u32_e32 vcc, 1, v10
	v_or_b32_e32 v28, 0xa00, v0
	s_nop 0
	v_cndmask_b32_e32 v6, v7, v6, vcc
	v_lshlrev_b32_e32 v6, 3, v6
	ds_write_b64 v6, v[8:9]
	v_sub_u32_e32 v6, v27, v24
	v_sub_u32_e32 v7, v1, v6
	v_and_b32_e32 v8, 1, v33
	v_add_u32_e32 v7, 4, v7
	v_cmp_eq_u32_e32 vcc, 1, v8
	s_nop 1
	v_cndmask_b32_e32 v6, v7, v6, vcc
	v_lshlrev_b32_e32 v6, 3, v6
	ds_write_b64 v6, v[2:3]
	v_sub_u32_e32 v2, v26, v24
	v_sub_u32_e32 v3, v1, v2
	v_and_b32_e32 v6, 1, v32
	v_add_u32_e32 v3, 5, v3
	v_cmp_eq_u32_e32 vcc, 1, v6
	v_or_b32_e32 v32, 0x200, v0
	s_nop 0
	v_cndmask_b32_e32 v2, v3, v2, vcc
	v_lshlrev_b32_e32 v2, 3, v2
	ds_write_b64 v2, v[4:5]
	v_sub_u32_e32 v2, v25, v24
	v_sub_u32_e32 v1, v1, v2
	v_and_b32_e32 v3, 1, v19
	v_add_u32_e32 v1, 6, v1
	v_cmp_eq_u32_e32 vcc, 1, v3
	v_mov_b32_e32 v25, 0
	s_waitcnt vmcnt(0)
	v_lshl_add_u64 v[34:35], v[20:21], 0, v[24:25]
	v_cndmask_b32_e32 v1, v1, v2, vcc
	v_lshlrev_b32_e32 v1, 3, v1
	v_mov_b32_e32 v17, v25
	ds_write_b64 v1, v[14:15]
	v_lshl_add_u64 v[14:15], v[34:35], 0, v[16:17]
	v_mov_b32_e32 v17, s39
	v_sub_co_u32_e32 v20, vcc, s38, v14
	s_waitcnt lgkmcnt(0)
	s_barrier
	ds_read2st64_b64 v[10:13], v18 offset1:8
	ds_read2st64_b64 v[6:9], v18 offset0:16 offset1:24
	ds_read2st64_b64 v[2:5], v18 offset0:32 offset1:40
	ds_read_b64 v[26:27], v18 offset:24576
	v_subb_co_u32_e32 v21, vcc, v17, v15, vcc
	v_lshlrev_b64 v[20:21], 3, v[20:21]
	v_lshl_add_u64 v[20:21], s[30:31], 0, v[20:21]
	v_lshl_add_u64 v[20:21], v[20:21], 0, v[22:23]
	v_lshlrev_b64 v[22:23], 3, v[34:35]
	v_or_b32_e32 v1, 0xc00, v0
	s_and_b64 vcc, exec, s[2:3]
	v_lshl_add_u64 v[22:23], s[28:29], 0, v[22:23]
	s_cbranch_vccnz .LBB2129_65
; %bb.64:
	v_cmp_lt_u32_e32 vcc, v0, v16
	v_mov_b32_e32 v19, v25
	v_lshlrev_b32_e32 v24, 3, v32
	v_cndmask_b32_e32 v35, v21, v23, vcc
	v_cndmask_b32_e32 v34, v20, v22, vcc
	v_lshl_add_u64 v[34:35], v[34:35], 0, v[18:19]
	v_cmp_lt_u32_e32 vcc, v32, v16
	s_waitcnt lgkmcnt(3)
	global_store_dwordx2 v[34:35], v[10:11], off
	v_cndmask_b32_e32 v35, v21, v23, vcc
	v_cndmask_b32_e32 v34, v20, v22, vcc
	v_lshl_add_u64 v[34:35], v[34:35], 0, v[24:25]
	v_cmp_lt_u32_e32 vcc, v31, v16
	global_store_dwordx2 v[34:35], v[12:13], off
	v_lshlrev_b32_e32 v24, 3, v31
	v_cndmask_b32_e32 v35, v21, v23, vcc
	v_cndmask_b32_e32 v34, v20, v22, vcc
	v_lshl_add_u64 v[34:35], v[34:35], 0, v[24:25]
	v_cmp_lt_u32_e32 vcc, v30, v16
	s_waitcnt lgkmcnt(2)
	global_store_dwordx2 v[34:35], v[6:7], off
	v_lshlrev_b32_e32 v24, 3, v30
	v_cndmask_b32_e32 v35, v21, v23, vcc
	v_cndmask_b32_e32 v34, v20, v22, vcc
	v_lshl_add_u64 v[34:35], v[34:35], 0, v[24:25]
	v_cmp_lt_u32_e32 vcc, v29, v16
	global_store_dwordx2 v[34:35], v[8:9], off
	v_lshlrev_b32_e32 v24, 3, v29
	v_cndmask_b32_e32 v35, v21, v23, vcc
	v_cndmask_b32_e32 v34, v20, v22, vcc
	v_lshl_add_u64 v[34:35], v[34:35], 0, v[24:25]
	v_cmp_lt_u32_e32 vcc, v28, v16
	s_waitcnt lgkmcnt(1)
	global_store_dwordx2 v[34:35], v[2:3], off
	v_lshlrev_b32_e32 v24, 3, v28
	v_cndmask_b32_e32 v35, v21, v23, vcc
	v_cndmask_b32_e32 v34, v20, v22, vcc
	v_lshl_add_u64 v[24:25], v[34:35], 0, v[24:25]
	s_mov_b64 s[0:1], -1
	global_store_dwordx2 v[24:25], v[4:5], off
	s_cbranch_execz .LBB2129_66
	s_branch .LBB2129_74
.LBB2129_65:
	s_mov_b64 s[0:1], 0
.LBB2129_66:
	v_cmp_gt_u32_e32 vcc, s33, v0
	s_and_saveexec_b64 s[0:1], vcc
	s_cbranch_execnz .LBB2129_79
; %bb.67:
	s_or_b64 exec, exec, s[0:1]
	v_cmp_gt_u32_e32 vcc, s33, v32
	s_and_saveexec_b64 s[0:1], vcc
	s_cbranch_execnz .LBB2129_80
.LBB2129_68:
	s_or_b64 exec, exec, s[0:1]
	v_cmp_gt_u32_e32 vcc, s33, v31
	s_and_saveexec_b64 s[0:1], vcc
	s_cbranch_execnz .LBB2129_81
.LBB2129_69:
	s_or_b64 exec, exec, s[0:1]
	v_cmp_gt_u32_e32 vcc, s33, v30
	s_and_saveexec_b64 s[0:1], vcc
	s_cbranch_execnz .LBB2129_82
.LBB2129_70:
	s_or_b64 exec, exec, s[0:1]
	v_cmp_gt_u32_e32 vcc, s33, v29
	s_and_saveexec_b64 s[0:1], vcc
	s_cbranch_execnz .LBB2129_83
.LBB2129_71:
	s_or_b64 exec, exec, s[0:1]
	v_cmp_gt_u32_e32 vcc, s33, v28
	s_and_saveexec_b64 s[0:1], vcc
	s_cbranch_execz .LBB2129_73
.LBB2129_72:
	v_cmp_lt_u32_e32 vcc, v28, v16
	s_waitcnt lgkmcnt(2)
	v_lshlrev_b32_e32 v6, 3, v28
	v_mov_b32_e32 v7, 0
	s_waitcnt lgkmcnt(1)
	v_cndmask_b32_e32 v3, v21, v23, vcc
	v_cndmask_b32_e32 v2, v20, v22, vcc
	v_lshl_add_u64 v[2:3], v[2:3], 0, v[6:7]
	global_store_dwordx2 v[2:3], v[4:5], off
.LBB2129_73:
	s_or_b64 exec, exec, s[0:1]
	v_cmp_gt_u32_e64 s[0:1], s33, v1
.LBB2129_74:
	s_and_saveexec_b64 s[2:3], s[0:1]
	s_cbranch_execnz .LBB2129_77
; %bb.75:
	s_or_b64 exec, exec, s[2:3]
	s_and_b64 s[0:1], s[20:21], s[22:23]
	s_and_saveexec_b64 s[2:3], s[0:1]
	s_cbranch_execnz .LBB2129_78
.LBB2129_76:
	s_endpgm
.LBB2129_77:
	v_cmp_lt_u32_e32 vcc, v1, v16
	v_lshlrev_b32_e32 v0, 3, v1
	v_mov_b32_e32 v1, 0
	s_waitcnt lgkmcnt(1)
	v_cndmask_b32_e32 v3, v21, v23, vcc
	v_cndmask_b32_e32 v2, v20, v22, vcc
	v_lshl_add_u64 v[0:1], v[2:3], 0, v[0:1]
	s_waitcnt lgkmcnt(0)
	global_store_dwordx2 v[0:1], v[26:27], off
	s_or_b64 exec, exec, s[2:3]
	s_and_b64 s[0:1], s[20:21], s[22:23]
	s_and_saveexec_b64 s[2:3], s[0:1]
	s_cbranch_execz .LBB2129_76
.LBB2129_78:
	v_mov_b32_e32 v0, 0
	global_store_dwordx2 v0, v[14:15], s[24:25]
	s_endpgm
.LBB2129_79:
	v_cmp_lt_u32_e32 vcc, v0, v16
	v_mov_b32_e32 v19, 0
	s_nop 0
	v_cndmask_b32_e32 v25, v21, v23, vcc
	v_cndmask_b32_e32 v24, v20, v22, vcc
	v_lshl_add_u64 v[18:19], v[24:25], 0, v[18:19]
	s_waitcnt lgkmcnt(3)
	global_store_dwordx2 v[18:19], v[10:11], off
	s_or_b64 exec, exec, s[0:1]
	v_cmp_gt_u32_e32 vcc, s33, v32
	s_and_saveexec_b64 s[0:1], vcc
	s_cbranch_execz .LBB2129_68
.LBB2129_80:
	v_cmp_lt_u32_e32 vcc, v32, v16
	v_lshlrev_b32_e32 v18, 3, v32
	v_mov_b32_e32 v19, 0
	s_waitcnt lgkmcnt(3)
	v_cndmask_b32_e32 v11, v21, v23, vcc
	v_cndmask_b32_e32 v10, v20, v22, vcc
	v_lshl_add_u64 v[10:11], v[10:11], 0, v[18:19]
	global_store_dwordx2 v[10:11], v[12:13], off
	s_or_b64 exec, exec, s[0:1]
	v_cmp_gt_u32_e32 vcc, s33, v31
	s_and_saveexec_b64 s[0:1], vcc
	s_cbranch_execz .LBB2129_69
.LBB2129_81:
	v_cmp_lt_u32_e32 vcc, v31, v16
	s_waitcnt lgkmcnt(3)
	v_lshlrev_b32_e32 v12, 3, v31
	v_mov_b32_e32 v13, 0
	v_cndmask_b32_e32 v11, v21, v23, vcc
	v_cndmask_b32_e32 v10, v20, v22, vcc
	v_lshl_add_u64 v[10:11], v[10:11], 0, v[12:13]
	s_waitcnt lgkmcnt(2)
	global_store_dwordx2 v[10:11], v[6:7], off
	s_or_b64 exec, exec, s[0:1]
	v_cmp_gt_u32_e32 vcc, s33, v30
	s_and_saveexec_b64 s[0:1], vcc
	s_cbranch_execz .LBB2129_70
.LBB2129_82:
	v_cmp_lt_u32_e32 vcc, v30, v16
	s_waitcnt lgkmcnt(3)
	v_lshlrev_b32_e32 v10, 3, v30
	v_mov_b32_e32 v11, 0
	s_waitcnt lgkmcnt(2)
	v_cndmask_b32_e32 v7, v21, v23, vcc
	v_cndmask_b32_e32 v6, v20, v22, vcc
	v_lshl_add_u64 v[6:7], v[6:7], 0, v[10:11]
	global_store_dwordx2 v[6:7], v[8:9], off
	s_or_b64 exec, exec, s[0:1]
	v_cmp_gt_u32_e32 vcc, s33, v29
	s_and_saveexec_b64 s[0:1], vcc
	s_cbranch_execz .LBB2129_71
.LBB2129_83:
	v_cmp_lt_u32_e32 vcc, v29, v16
	s_waitcnt lgkmcnt(2)
	v_lshlrev_b32_e32 v8, 3, v29
	v_mov_b32_e32 v9, 0
	v_cndmask_b32_e32 v7, v21, v23, vcc
	v_cndmask_b32_e32 v6, v20, v22, vcc
	v_lshl_add_u64 v[6:7], v[6:7], 0, v[8:9]
	s_waitcnt lgkmcnt(1)
	global_store_dwordx2 v[6:7], v[2:3], off
	s_or_b64 exec, exec, s[0:1]
	v_cmp_gt_u32_e32 vcc, s33, v28
	s_and_saveexec_b64 s[0:1], vcc
	s_cbranch_execnz .LBB2129_72
	s_branch .LBB2129_73
	.section	.rodata,"a",@progbits
	.p2align	6, 0x0
	.amdhsa_kernel _ZN7rocprim17ROCPRIM_400000_NS6detail17trampoline_kernelINS0_14default_configENS1_25partition_config_selectorILNS1_17partition_subalgoE0EyNS0_10empty_typeEbEEZZNS1_14partition_implILS5_0ELb0ES3_jN6thrust23THRUST_200600_302600_NS6detail15normal_iteratorINSA_10device_ptrIyEEEEPS6_SG_NS0_5tupleIJSF_SF_EEENSH_IJSG_SG_EEES6_PlJ7is_evenIyEEEE10hipError_tPvRmT3_T4_T5_T6_T7_T9_mT8_P12ihipStream_tbDpT10_ENKUlT_T0_E_clISt17integral_constantIbLb0EES15_IbLb1EEEEDaS11_S12_EUlS11_E_NS1_11comp_targetILNS1_3genE5ELNS1_11target_archE942ELNS1_3gpuE9ELNS1_3repE0EEENS1_30default_config_static_selectorELNS0_4arch9wavefront6targetE1EEEvT1_
		.amdhsa_group_segment_fixed_size 28680
		.amdhsa_private_segment_fixed_size 0
		.amdhsa_kernarg_size 136
		.amdhsa_user_sgpr_count 2
		.amdhsa_user_sgpr_dispatch_ptr 0
		.amdhsa_user_sgpr_queue_ptr 0
		.amdhsa_user_sgpr_kernarg_segment_ptr 1
		.amdhsa_user_sgpr_dispatch_id 0
		.amdhsa_user_sgpr_kernarg_preload_length 0
		.amdhsa_user_sgpr_kernarg_preload_offset 0
		.amdhsa_user_sgpr_private_segment_size 0
		.amdhsa_uses_dynamic_stack 0
		.amdhsa_enable_private_segment 0
		.amdhsa_system_sgpr_workgroup_id_x 1
		.amdhsa_system_sgpr_workgroup_id_y 0
		.amdhsa_system_sgpr_workgroup_id_z 0
		.amdhsa_system_sgpr_workgroup_info 0
		.amdhsa_system_vgpr_workitem_id 0
		.amdhsa_next_free_vgpr 61
		.amdhsa_next_free_sgpr 44
		.amdhsa_accum_offset 64
		.amdhsa_reserve_vcc 1
		.amdhsa_float_round_mode_32 0
		.amdhsa_float_round_mode_16_64 0
		.amdhsa_float_denorm_mode_32 3
		.amdhsa_float_denorm_mode_16_64 3
		.amdhsa_dx10_clamp 1
		.amdhsa_ieee_mode 1
		.amdhsa_fp16_overflow 0
		.amdhsa_tg_split 0
		.amdhsa_exception_fp_ieee_invalid_op 0
		.amdhsa_exception_fp_denorm_src 0
		.amdhsa_exception_fp_ieee_div_zero 0
		.amdhsa_exception_fp_ieee_overflow 0
		.amdhsa_exception_fp_ieee_underflow 0
		.amdhsa_exception_fp_ieee_inexact 0
		.amdhsa_exception_int_div_zero 0
	.end_amdhsa_kernel
	.section	.text._ZN7rocprim17ROCPRIM_400000_NS6detail17trampoline_kernelINS0_14default_configENS1_25partition_config_selectorILNS1_17partition_subalgoE0EyNS0_10empty_typeEbEEZZNS1_14partition_implILS5_0ELb0ES3_jN6thrust23THRUST_200600_302600_NS6detail15normal_iteratorINSA_10device_ptrIyEEEEPS6_SG_NS0_5tupleIJSF_SF_EEENSH_IJSG_SG_EEES6_PlJ7is_evenIyEEEE10hipError_tPvRmT3_T4_T5_T6_T7_T9_mT8_P12ihipStream_tbDpT10_ENKUlT_T0_E_clISt17integral_constantIbLb0EES15_IbLb1EEEEDaS11_S12_EUlS11_E_NS1_11comp_targetILNS1_3genE5ELNS1_11target_archE942ELNS1_3gpuE9ELNS1_3repE0EEENS1_30default_config_static_selectorELNS0_4arch9wavefront6targetE1EEEvT1_,"axG",@progbits,_ZN7rocprim17ROCPRIM_400000_NS6detail17trampoline_kernelINS0_14default_configENS1_25partition_config_selectorILNS1_17partition_subalgoE0EyNS0_10empty_typeEbEEZZNS1_14partition_implILS5_0ELb0ES3_jN6thrust23THRUST_200600_302600_NS6detail15normal_iteratorINSA_10device_ptrIyEEEEPS6_SG_NS0_5tupleIJSF_SF_EEENSH_IJSG_SG_EEES6_PlJ7is_evenIyEEEE10hipError_tPvRmT3_T4_T5_T6_T7_T9_mT8_P12ihipStream_tbDpT10_ENKUlT_T0_E_clISt17integral_constantIbLb0EES15_IbLb1EEEEDaS11_S12_EUlS11_E_NS1_11comp_targetILNS1_3genE5ELNS1_11target_archE942ELNS1_3gpuE9ELNS1_3repE0EEENS1_30default_config_static_selectorELNS0_4arch9wavefront6targetE1EEEvT1_,comdat
.Lfunc_end2129:
	.size	_ZN7rocprim17ROCPRIM_400000_NS6detail17trampoline_kernelINS0_14default_configENS1_25partition_config_selectorILNS1_17partition_subalgoE0EyNS0_10empty_typeEbEEZZNS1_14partition_implILS5_0ELb0ES3_jN6thrust23THRUST_200600_302600_NS6detail15normal_iteratorINSA_10device_ptrIyEEEEPS6_SG_NS0_5tupleIJSF_SF_EEENSH_IJSG_SG_EEES6_PlJ7is_evenIyEEEE10hipError_tPvRmT3_T4_T5_T6_T7_T9_mT8_P12ihipStream_tbDpT10_ENKUlT_T0_E_clISt17integral_constantIbLb0EES15_IbLb1EEEEDaS11_S12_EUlS11_E_NS1_11comp_targetILNS1_3genE5ELNS1_11target_archE942ELNS1_3gpuE9ELNS1_3repE0EEENS1_30default_config_static_selectorELNS0_4arch9wavefront6targetE1EEEvT1_, .Lfunc_end2129-_ZN7rocprim17ROCPRIM_400000_NS6detail17trampoline_kernelINS0_14default_configENS1_25partition_config_selectorILNS1_17partition_subalgoE0EyNS0_10empty_typeEbEEZZNS1_14partition_implILS5_0ELb0ES3_jN6thrust23THRUST_200600_302600_NS6detail15normal_iteratorINSA_10device_ptrIyEEEEPS6_SG_NS0_5tupleIJSF_SF_EEENSH_IJSG_SG_EEES6_PlJ7is_evenIyEEEE10hipError_tPvRmT3_T4_T5_T6_T7_T9_mT8_P12ihipStream_tbDpT10_ENKUlT_T0_E_clISt17integral_constantIbLb0EES15_IbLb1EEEEDaS11_S12_EUlS11_E_NS1_11comp_targetILNS1_3genE5ELNS1_11target_archE942ELNS1_3gpuE9ELNS1_3repE0EEENS1_30default_config_static_selectorELNS0_4arch9wavefront6targetE1EEEvT1_
                                        ; -- End function
	.section	.AMDGPU.csdata,"",@progbits
; Kernel info:
; codeLenInByte = 4612
; NumSgprs: 50
; NumVgprs: 61
; NumAgprs: 0
; TotalNumVgprs: 61
; ScratchSize: 0
; MemoryBound: 0
; FloatMode: 240
; IeeeMode: 1
; LDSByteSize: 28680 bytes/workgroup (compile time only)
; SGPRBlocks: 6
; VGPRBlocks: 7
; NumSGPRsForWavesPerEU: 50
; NumVGPRsForWavesPerEU: 61
; AccumOffset: 64
; Occupancy: 4
; WaveLimiterHint : 1
; COMPUTE_PGM_RSRC2:SCRATCH_EN: 0
; COMPUTE_PGM_RSRC2:USER_SGPR: 2
; COMPUTE_PGM_RSRC2:TRAP_HANDLER: 0
; COMPUTE_PGM_RSRC2:TGID_X_EN: 1
; COMPUTE_PGM_RSRC2:TGID_Y_EN: 0
; COMPUTE_PGM_RSRC2:TGID_Z_EN: 0
; COMPUTE_PGM_RSRC2:TIDIG_COMP_CNT: 0
; COMPUTE_PGM_RSRC3_GFX90A:ACCUM_OFFSET: 15
; COMPUTE_PGM_RSRC3_GFX90A:TG_SPLIT: 0
	.section	.text._ZN7rocprim17ROCPRIM_400000_NS6detail17trampoline_kernelINS0_14default_configENS1_25partition_config_selectorILNS1_17partition_subalgoE0EyNS0_10empty_typeEbEEZZNS1_14partition_implILS5_0ELb0ES3_jN6thrust23THRUST_200600_302600_NS6detail15normal_iteratorINSA_10device_ptrIyEEEEPS6_SG_NS0_5tupleIJSF_SF_EEENSH_IJSG_SG_EEES6_PlJ7is_evenIyEEEE10hipError_tPvRmT3_T4_T5_T6_T7_T9_mT8_P12ihipStream_tbDpT10_ENKUlT_T0_E_clISt17integral_constantIbLb0EES15_IbLb1EEEEDaS11_S12_EUlS11_E_NS1_11comp_targetILNS1_3genE4ELNS1_11target_archE910ELNS1_3gpuE8ELNS1_3repE0EEENS1_30default_config_static_selectorELNS0_4arch9wavefront6targetE1EEEvT1_,"axG",@progbits,_ZN7rocprim17ROCPRIM_400000_NS6detail17trampoline_kernelINS0_14default_configENS1_25partition_config_selectorILNS1_17partition_subalgoE0EyNS0_10empty_typeEbEEZZNS1_14partition_implILS5_0ELb0ES3_jN6thrust23THRUST_200600_302600_NS6detail15normal_iteratorINSA_10device_ptrIyEEEEPS6_SG_NS0_5tupleIJSF_SF_EEENSH_IJSG_SG_EEES6_PlJ7is_evenIyEEEE10hipError_tPvRmT3_T4_T5_T6_T7_T9_mT8_P12ihipStream_tbDpT10_ENKUlT_T0_E_clISt17integral_constantIbLb0EES15_IbLb1EEEEDaS11_S12_EUlS11_E_NS1_11comp_targetILNS1_3genE4ELNS1_11target_archE910ELNS1_3gpuE8ELNS1_3repE0EEENS1_30default_config_static_selectorELNS0_4arch9wavefront6targetE1EEEvT1_,comdat
	.protected	_ZN7rocprim17ROCPRIM_400000_NS6detail17trampoline_kernelINS0_14default_configENS1_25partition_config_selectorILNS1_17partition_subalgoE0EyNS0_10empty_typeEbEEZZNS1_14partition_implILS5_0ELb0ES3_jN6thrust23THRUST_200600_302600_NS6detail15normal_iteratorINSA_10device_ptrIyEEEEPS6_SG_NS0_5tupleIJSF_SF_EEENSH_IJSG_SG_EEES6_PlJ7is_evenIyEEEE10hipError_tPvRmT3_T4_T5_T6_T7_T9_mT8_P12ihipStream_tbDpT10_ENKUlT_T0_E_clISt17integral_constantIbLb0EES15_IbLb1EEEEDaS11_S12_EUlS11_E_NS1_11comp_targetILNS1_3genE4ELNS1_11target_archE910ELNS1_3gpuE8ELNS1_3repE0EEENS1_30default_config_static_selectorELNS0_4arch9wavefront6targetE1EEEvT1_ ; -- Begin function _ZN7rocprim17ROCPRIM_400000_NS6detail17trampoline_kernelINS0_14default_configENS1_25partition_config_selectorILNS1_17partition_subalgoE0EyNS0_10empty_typeEbEEZZNS1_14partition_implILS5_0ELb0ES3_jN6thrust23THRUST_200600_302600_NS6detail15normal_iteratorINSA_10device_ptrIyEEEEPS6_SG_NS0_5tupleIJSF_SF_EEENSH_IJSG_SG_EEES6_PlJ7is_evenIyEEEE10hipError_tPvRmT3_T4_T5_T6_T7_T9_mT8_P12ihipStream_tbDpT10_ENKUlT_T0_E_clISt17integral_constantIbLb0EES15_IbLb1EEEEDaS11_S12_EUlS11_E_NS1_11comp_targetILNS1_3genE4ELNS1_11target_archE910ELNS1_3gpuE8ELNS1_3repE0EEENS1_30default_config_static_selectorELNS0_4arch9wavefront6targetE1EEEvT1_
	.globl	_ZN7rocprim17ROCPRIM_400000_NS6detail17trampoline_kernelINS0_14default_configENS1_25partition_config_selectorILNS1_17partition_subalgoE0EyNS0_10empty_typeEbEEZZNS1_14partition_implILS5_0ELb0ES3_jN6thrust23THRUST_200600_302600_NS6detail15normal_iteratorINSA_10device_ptrIyEEEEPS6_SG_NS0_5tupleIJSF_SF_EEENSH_IJSG_SG_EEES6_PlJ7is_evenIyEEEE10hipError_tPvRmT3_T4_T5_T6_T7_T9_mT8_P12ihipStream_tbDpT10_ENKUlT_T0_E_clISt17integral_constantIbLb0EES15_IbLb1EEEEDaS11_S12_EUlS11_E_NS1_11comp_targetILNS1_3genE4ELNS1_11target_archE910ELNS1_3gpuE8ELNS1_3repE0EEENS1_30default_config_static_selectorELNS0_4arch9wavefront6targetE1EEEvT1_
	.p2align	8
	.type	_ZN7rocprim17ROCPRIM_400000_NS6detail17trampoline_kernelINS0_14default_configENS1_25partition_config_selectorILNS1_17partition_subalgoE0EyNS0_10empty_typeEbEEZZNS1_14partition_implILS5_0ELb0ES3_jN6thrust23THRUST_200600_302600_NS6detail15normal_iteratorINSA_10device_ptrIyEEEEPS6_SG_NS0_5tupleIJSF_SF_EEENSH_IJSG_SG_EEES6_PlJ7is_evenIyEEEE10hipError_tPvRmT3_T4_T5_T6_T7_T9_mT8_P12ihipStream_tbDpT10_ENKUlT_T0_E_clISt17integral_constantIbLb0EES15_IbLb1EEEEDaS11_S12_EUlS11_E_NS1_11comp_targetILNS1_3genE4ELNS1_11target_archE910ELNS1_3gpuE8ELNS1_3repE0EEENS1_30default_config_static_selectorELNS0_4arch9wavefront6targetE1EEEvT1_,@function
_ZN7rocprim17ROCPRIM_400000_NS6detail17trampoline_kernelINS0_14default_configENS1_25partition_config_selectorILNS1_17partition_subalgoE0EyNS0_10empty_typeEbEEZZNS1_14partition_implILS5_0ELb0ES3_jN6thrust23THRUST_200600_302600_NS6detail15normal_iteratorINSA_10device_ptrIyEEEEPS6_SG_NS0_5tupleIJSF_SF_EEENSH_IJSG_SG_EEES6_PlJ7is_evenIyEEEE10hipError_tPvRmT3_T4_T5_T6_T7_T9_mT8_P12ihipStream_tbDpT10_ENKUlT_T0_E_clISt17integral_constantIbLb0EES15_IbLb1EEEEDaS11_S12_EUlS11_E_NS1_11comp_targetILNS1_3genE4ELNS1_11target_archE910ELNS1_3gpuE8ELNS1_3repE0EEENS1_30default_config_static_selectorELNS0_4arch9wavefront6targetE1EEEvT1_: ; @_ZN7rocprim17ROCPRIM_400000_NS6detail17trampoline_kernelINS0_14default_configENS1_25partition_config_selectorILNS1_17partition_subalgoE0EyNS0_10empty_typeEbEEZZNS1_14partition_implILS5_0ELb0ES3_jN6thrust23THRUST_200600_302600_NS6detail15normal_iteratorINSA_10device_ptrIyEEEEPS6_SG_NS0_5tupleIJSF_SF_EEENSH_IJSG_SG_EEES6_PlJ7is_evenIyEEEE10hipError_tPvRmT3_T4_T5_T6_T7_T9_mT8_P12ihipStream_tbDpT10_ENKUlT_T0_E_clISt17integral_constantIbLb0EES15_IbLb1EEEEDaS11_S12_EUlS11_E_NS1_11comp_targetILNS1_3genE4ELNS1_11target_archE910ELNS1_3gpuE8ELNS1_3repE0EEENS1_30default_config_static_selectorELNS0_4arch9wavefront6targetE1EEEvT1_
; %bb.0:
	.section	.rodata,"a",@progbits
	.p2align	6, 0x0
	.amdhsa_kernel _ZN7rocprim17ROCPRIM_400000_NS6detail17trampoline_kernelINS0_14default_configENS1_25partition_config_selectorILNS1_17partition_subalgoE0EyNS0_10empty_typeEbEEZZNS1_14partition_implILS5_0ELb0ES3_jN6thrust23THRUST_200600_302600_NS6detail15normal_iteratorINSA_10device_ptrIyEEEEPS6_SG_NS0_5tupleIJSF_SF_EEENSH_IJSG_SG_EEES6_PlJ7is_evenIyEEEE10hipError_tPvRmT3_T4_T5_T6_T7_T9_mT8_P12ihipStream_tbDpT10_ENKUlT_T0_E_clISt17integral_constantIbLb0EES15_IbLb1EEEEDaS11_S12_EUlS11_E_NS1_11comp_targetILNS1_3genE4ELNS1_11target_archE910ELNS1_3gpuE8ELNS1_3repE0EEENS1_30default_config_static_selectorELNS0_4arch9wavefront6targetE1EEEvT1_
		.amdhsa_group_segment_fixed_size 0
		.amdhsa_private_segment_fixed_size 0
		.amdhsa_kernarg_size 136
		.amdhsa_user_sgpr_count 2
		.amdhsa_user_sgpr_dispatch_ptr 0
		.amdhsa_user_sgpr_queue_ptr 0
		.amdhsa_user_sgpr_kernarg_segment_ptr 1
		.amdhsa_user_sgpr_dispatch_id 0
		.amdhsa_user_sgpr_kernarg_preload_length 0
		.amdhsa_user_sgpr_kernarg_preload_offset 0
		.amdhsa_user_sgpr_private_segment_size 0
		.amdhsa_uses_dynamic_stack 0
		.amdhsa_enable_private_segment 0
		.amdhsa_system_sgpr_workgroup_id_x 1
		.amdhsa_system_sgpr_workgroup_id_y 0
		.amdhsa_system_sgpr_workgroup_id_z 0
		.amdhsa_system_sgpr_workgroup_info 0
		.amdhsa_system_vgpr_workitem_id 0
		.amdhsa_next_free_vgpr 1
		.amdhsa_next_free_sgpr 0
		.amdhsa_accum_offset 4
		.amdhsa_reserve_vcc 0
		.amdhsa_float_round_mode_32 0
		.amdhsa_float_round_mode_16_64 0
		.amdhsa_float_denorm_mode_32 3
		.amdhsa_float_denorm_mode_16_64 3
		.amdhsa_dx10_clamp 1
		.amdhsa_ieee_mode 1
		.amdhsa_fp16_overflow 0
		.amdhsa_tg_split 0
		.amdhsa_exception_fp_ieee_invalid_op 0
		.amdhsa_exception_fp_denorm_src 0
		.amdhsa_exception_fp_ieee_div_zero 0
		.amdhsa_exception_fp_ieee_overflow 0
		.amdhsa_exception_fp_ieee_underflow 0
		.amdhsa_exception_fp_ieee_inexact 0
		.amdhsa_exception_int_div_zero 0
	.end_amdhsa_kernel
	.section	.text._ZN7rocprim17ROCPRIM_400000_NS6detail17trampoline_kernelINS0_14default_configENS1_25partition_config_selectorILNS1_17partition_subalgoE0EyNS0_10empty_typeEbEEZZNS1_14partition_implILS5_0ELb0ES3_jN6thrust23THRUST_200600_302600_NS6detail15normal_iteratorINSA_10device_ptrIyEEEEPS6_SG_NS0_5tupleIJSF_SF_EEENSH_IJSG_SG_EEES6_PlJ7is_evenIyEEEE10hipError_tPvRmT3_T4_T5_T6_T7_T9_mT8_P12ihipStream_tbDpT10_ENKUlT_T0_E_clISt17integral_constantIbLb0EES15_IbLb1EEEEDaS11_S12_EUlS11_E_NS1_11comp_targetILNS1_3genE4ELNS1_11target_archE910ELNS1_3gpuE8ELNS1_3repE0EEENS1_30default_config_static_selectorELNS0_4arch9wavefront6targetE1EEEvT1_,"axG",@progbits,_ZN7rocprim17ROCPRIM_400000_NS6detail17trampoline_kernelINS0_14default_configENS1_25partition_config_selectorILNS1_17partition_subalgoE0EyNS0_10empty_typeEbEEZZNS1_14partition_implILS5_0ELb0ES3_jN6thrust23THRUST_200600_302600_NS6detail15normal_iteratorINSA_10device_ptrIyEEEEPS6_SG_NS0_5tupleIJSF_SF_EEENSH_IJSG_SG_EEES6_PlJ7is_evenIyEEEE10hipError_tPvRmT3_T4_T5_T6_T7_T9_mT8_P12ihipStream_tbDpT10_ENKUlT_T0_E_clISt17integral_constantIbLb0EES15_IbLb1EEEEDaS11_S12_EUlS11_E_NS1_11comp_targetILNS1_3genE4ELNS1_11target_archE910ELNS1_3gpuE8ELNS1_3repE0EEENS1_30default_config_static_selectorELNS0_4arch9wavefront6targetE1EEEvT1_,comdat
.Lfunc_end2130:
	.size	_ZN7rocprim17ROCPRIM_400000_NS6detail17trampoline_kernelINS0_14default_configENS1_25partition_config_selectorILNS1_17partition_subalgoE0EyNS0_10empty_typeEbEEZZNS1_14partition_implILS5_0ELb0ES3_jN6thrust23THRUST_200600_302600_NS6detail15normal_iteratorINSA_10device_ptrIyEEEEPS6_SG_NS0_5tupleIJSF_SF_EEENSH_IJSG_SG_EEES6_PlJ7is_evenIyEEEE10hipError_tPvRmT3_T4_T5_T6_T7_T9_mT8_P12ihipStream_tbDpT10_ENKUlT_T0_E_clISt17integral_constantIbLb0EES15_IbLb1EEEEDaS11_S12_EUlS11_E_NS1_11comp_targetILNS1_3genE4ELNS1_11target_archE910ELNS1_3gpuE8ELNS1_3repE0EEENS1_30default_config_static_selectorELNS0_4arch9wavefront6targetE1EEEvT1_, .Lfunc_end2130-_ZN7rocprim17ROCPRIM_400000_NS6detail17trampoline_kernelINS0_14default_configENS1_25partition_config_selectorILNS1_17partition_subalgoE0EyNS0_10empty_typeEbEEZZNS1_14partition_implILS5_0ELb0ES3_jN6thrust23THRUST_200600_302600_NS6detail15normal_iteratorINSA_10device_ptrIyEEEEPS6_SG_NS0_5tupleIJSF_SF_EEENSH_IJSG_SG_EEES6_PlJ7is_evenIyEEEE10hipError_tPvRmT3_T4_T5_T6_T7_T9_mT8_P12ihipStream_tbDpT10_ENKUlT_T0_E_clISt17integral_constantIbLb0EES15_IbLb1EEEEDaS11_S12_EUlS11_E_NS1_11comp_targetILNS1_3genE4ELNS1_11target_archE910ELNS1_3gpuE8ELNS1_3repE0EEENS1_30default_config_static_selectorELNS0_4arch9wavefront6targetE1EEEvT1_
                                        ; -- End function
	.section	.AMDGPU.csdata,"",@progbits
; Kernel info:
; codeLenInByte = 0
; NumSgprs: 6
; NumVgprs: 0
; NumAgprs: 0
; TotalNumVgprs: 0
; ScratchSize: 0
; MemoryBound: 0
; FloatMode: 240
; IeeeMode: 1
; LDSByteSize: 0 bytes/workgroup (compile time only)
; SGPRBlocks: 0
; VGPRBlocks: 0
; NumSGPRsForWavesPerEU: 6
; NumVGPRsForWavesPerEU: 1
; AccumOffset: 4
; Occupancy: 8
; WaveLimiterHint : 0
; COMPUTE_PGM_RSRC2:SCRATCH_EN: 0
; COMPUTE_PGM_RSRC2:USER_SGPR: 2
; COMPUTE_PGM_RSRC2:TRAP_HANDLER: 0
; COMPUTE_PGM_RSRC2:TGID_X_EN: 1
; COMPUTE_PGM_RSRC2:TGID_Y_EN: 0
; COMPUTE_PGM_RSRC2:TGID_Z_EN: 0
; COMPUTE_PGM_RSRC2:TIDIG_COMP_CNT: 0
; COMPUTE_PGM_RSRC3_GFX90A:ACCUM_OFFSET: 0
; COMPUTE_PGM_RSRC3_GFX90A:TG_SPLIT: 0
	.section	.text._ZN7rocprim17ROCPRIM_400000_NS6detail17trampoline_kernelINS0_14default_configENS1_25partition_config_selectorILNS1_17partition_subalgoE0EyNS0_10empty_typeEbEEZZNS1_14partition_implILS5_0ELb0ES3_jN6thrust23THRUST_200600_302600_NS6detail15normal_iteratorINSA_10device_ptrIyEEEEPS6_SG_NS0_5tupleIJSF_SF_EEENSH_IJSG_SG_EEES6_PlJ7is_evenIyEEEE10hipError_tPvRmT3_T4_T5_T6_T7_T9_mT8_P12ihipStream_tbDpT10_ENKUlT_T0_E_clISt17integral_constantIbLb0EES15_IbLb1EEEEDaS11_S12_EUlS11_E_NS1_11comp_targetILNS1_3genE3ELNS1_11target_archE908ELNS1_3gpuE7ELNS1_3repE0EEENS1_30default_config_static_selectorELNS0_4arch9wavefront6targetE1EEEvT1_,"axG",@progbits,_ZN7rocprim17ROCPRIM_400000_NS6detail17trampoline_kernelINS0_14default_configENS1_25partition_config_selectorILNS1_17partition_subalgoE0EyNS0_10empty_typeEbEEZZNS1_14partition_implILS5_0ELb0ES3_jN6thrust23THRUST_200600_302600_NS6detail15normal_iteratorINSA_10device_ptrIyEEEEPS6_SG_NS0_5tupleIJSF_SF_EEENSH_IJSG_SG_EEES6_PlJ7is_evenIyEEEE10hipError_tPvRmT3_T4_T5_T6_T7_T9_mT8_P12ihipStream_tbDpT10_ENKUlT_T0_E_clISt17integral_constantIbLb0EES15_IbLb1EEEEDaS11_S12_EUlS11_E_NS1_11comp_targetILNS1_3genE3ELNS1_11target_archE908ELNS1_3gpuE7ELNS1_3repE0EEENS1_30default_config_static_selectorELNS0_4arch9wavefront6targetE1EEEvT1_,comdat
	.protected	_ZN7rocprim17ROCPRIM_400000_NS6detail17trampoline_kernelINS0_14default_configENS1_25partition_config_selectorILNS1_17partition_subalgoE0EyNS0_10empty_typeEbEEZZNS1_14partition_implILS5_0ELb0ES3_jN6thrust23THRUST_200600_302600_NS6detail15normal_iteratorINSA_10device_ptrIyEEEEPS6_SG_NS0_5tupleIJSF_SF_EEENSH_IJSG_SG_EEES6_PlJ7is_evenIyEEEE10hipError_tPvRmT3_T4_T5_T6_T7_T9_mT8_P12ihipStream_tbDpT10_ENKUlT_T0_E_clISt17integral_constantIbLb0EES15_IbLb1EEEEDaS11_S12_EUlS11_E_NS1_11comp_targetILNS1_3genE3ELNS1_11target_archE908ELNS1_3gpuE7ELNS1_3repE0EEENS1_30default_config_static_selectorELNS0_4arch9wavefront6targetE1EEEvT1_ ; -- Begin function _ZN7rocprim17ROCPRIM_400000_NS6detail17trampoline_kernelINS0_14default_configENS1_25partition_config_selectorILNS1_17partition_subalgoE0EyNS0_10empty_typeEbEEZZNS1_14partition_implILS5_0ELb0ES3_jN6thrust23THRUST_200600_302600_NS6detail15normal_iteratorINSA_10device_ptrIyEEEEPS6_SG_NS0_5tupleIJSF_SF_EEENSH_IJSG_SG_EEES6_PlJ7is_evenIyEEEE10hipError_tPvRmT3_T4_T5_T6_T7_T9_mT8_P12ihipStream_tbDpT10_ENKUlT_T0_E_clISt17integral_constantIbLb0EES15_IbLb1EEEEDaS11_S12_EUlS11_E_NS1_11comp_targetILNS1_3genE3ELNS1_11target_archE908ELNS1_3gpuE7ELNS1_3repE0EEENS1_30default_config_static_selectorELNS0_4arch9wavefront6targetE1EEEvT1_
	.globl	_ZN7rocprim17ROCPRIM_400000_NS6detail17trampoline_kernelINS0_14default_configENS1_25partition_config_selectorILNS1_17partition_subalgoE0EyNS0_10empty_typeEbEEZZNS1_14partition_implILS5_0ELb0ES3_jN6thrust23THRUST_200600_302600_NS6detail15normal_iteratorINSA_10device_ptrIyEEEEPS6_SG_NS0_5tupleIJSF_SF_EEENSH_IJSG_SG_EEES6_PlJ7is_evenIyEEEE10hipError_tPvRmT3_T4_T5_T6_T7_T9_mT8_P12ihipStream_tbDpT10_ENKUlT_T0_E_clISt17integral_constantIbLb0EES15_IbLb1EEEEDaS11_S12_EUlS11_E_NS1_11comp_targetILNS1_3genE3ELNS1_11target_archE908ELNS1_3gpuE7ELNS1_3repE0EEENS1_30default_config_static_selectorELNS0_4arch9wavefront6targetE1EEEvT1_
	.p2align	8
	.type	_ZN7rocprim17ROCPRIM_400000_NS6detail17trampoline_kernelINS0_14default_configENS1_25partition_config_selectorILNS1_17partition_subalgoE0EyNS0_10empty_typeEbEEZZNS1_14partition_implILS5_0ELb0ES3_jN6thrust23THRUST_200600_302600_NS6detail15normal_iteratorINSA_10device_ptrIyEEEEPS6_SG_NS0_5tupleIJSF_SF_EEENSH_IJSG_SG_EEES6_PlJ7is_evenIyEEEE10hipError_tPvRmT3_T4_T5_T6_T7_T9_mT8_P12ihipStream_tbDpT10_ENKUlT_T0_E_clISt17integral_constantIbLb0EES15_IbLb1EEEEDaS11_S12_EUlS11_E_NS1_11comp_targetILNS1_3genE3ELNS1_11target_archE908ELNS1_3gpuE7ELNS1_3repE0EEENS1_30default_config_static_selectorELNS0_4arch9wavefront6targetE1EEEvT1_,@function
_ZN7rocprim17ROCPRIM_400000_NS6detail17trampoline_kernelINS0_14default_configENS1_25partition_config_selectorILNS1_17partition_subalgoE0EyNS0_10empty_typeEbEEZZNS1_14partition_implILS5_0ELb0ES3_jN6thrust23THRUST_200600_302600_NS6detail15normal_iteratorINSA_10device_ptrIyEEEEPS6_SG_NS0_5tupleIJSF_SF_EEENSH_IJSG_SG_EEES6_PlJ7is_evenIyEEEE10hipError_tPvRmT3_T4_T5_T6_T7_T9_mT8_P12ihipStream_tbDpT10_ENKUlT_T0_E_clISt17integral_constantIbLb0EES15_IbLb1EEEEDaS11_S12_EUlS11_E_NS1_11comp_targetILNS1_3genE3ELNS1_11target_archE908ELNS1_3gpuE7ELNS1_3repE0EEENS1_30default_config_static_selectorELNS0_4arch9wavefront6targetE1EEEvT1_: ; @_ZN7rocprim17ROCPRIM_400000_NS6detail17trampoline_kernelINS0_14default_configENS1_25partition_config_selectorILNS1_17partition_subalgoE0EyNS0_10empty_typeEbEEZZNS1_14partition_implILS5_0ELb0ES3_jN6thrust23THRUST_200600_302600_NS6detail15normal_iteratorINSA_10device_ptrIyEEEEPS6_SG_NS0_5tupleIJSF_SF_EEENSH_IJSG_SG_EEES6_PlJ7is_evenIyEEEE10hipError_tPvRmT3_T4_T5_T6_T7_T9_mT8_P12ihipStream_tbDpT10_ENKUlT_T0_E_clISt17integral_constantIbLb0EES15_IbLb1EEEEDaS11_S12_EUlS11_E_NS1_11comp_targetILNS1_3genE3ELNS1_11target_archE908ELNS1_3gpuE7ELNS1_3repE0EEENS1_30default_config_static_selectorELNS0_4arch9wavefront6targetE1EEEvT1_
; %bb.0:
	.section	.rodata,"a",@progbits
	.p2align	6, 0x0
	.amdhsa_kernel _ZN7rocprim17ROCPRIM_400000_NS6detail17trampoline_kernelINS0_14default_configENS1_25partition_config_selectorILNS1_17partition_subalgoE0EyNS0_10empty_typeEbEEZZNS1_14partition_implILS5_0ELb0ES3_jN6thrust23THRUST_200600_302600_NS6detail15normal_iteratorINSA_10device_ptrIyEEEEPS6_SG_NS0_5tupleIJSF_SF_EEENSH_IJSG_SG_EEES6_PlJ7is_evenIyEEEE10hipError_tPvRmT3_T4_T5_T6_T7_T9_mT8_P12ihipStream_tbDpT10_ENKUlT_T0_E_clISt17integral_constantIbLb0EES15_IbLb1EEEEDaS11_S12_EUlS11_E_NS1_11comp_targetILNS1_3genE3ELNS1_11target_archE908ELNS1_3gpuE7ELNS1_3repE0EEENS1_30default_config_static_selectorELNS0_4arch9wavefront6targetE1EEEvT1_
		.amdhsa_group_segment_fixed_size 0
		.amdhsa_private_segment_fixed_size 0
		.amdhsa_kernarg_size 136
		.amdhsa_user_sgpr_count 2
		.amdhsa_user_sgpr_dispatch_ptr 0
		.amdhsa_user_sgpr_queue_ptr 0
		.amdhsa_user_sgpr_kernarg_segment_ptr 1
		.amdhsa_user_sgpr_dispatch_id 0
		.amdhsa_user_sgpr_kernarg_preload_length 0
		.amdhsa_user_sgpr_kernarg_preload_offset 0
		.amdhsa_user_sgpr_private_segment_size 0
		.amdhsa_uses_dynamic_stack 0
		.amdhsa_enable_private_segment 0
		.amdhsa_system_sgpr_workgroup_id_x 1
		.amdhsa_system_sgpr_workgroup_id_y 0
		.amdhsa_system_sgpr_workgroup_id_z 0
		.amdhsa_system_sgpr_workgroup_info 0
		.amdhsa_system_vgpr_workitem_id 0
		.amdhsa_next_free_vgpr 1
		.amdhsa_next_free_sgpr 0
		.amdhsa_accum_offset 4
		.amdhsa_reserve_vcc 0
		.amdhsa_float_round_mode_32 0
		.amdhsa_float_round_mode_16_64 0
		.amdhsa_float_denorm_mode_32 3
		.amdhsa_float_denorm_mode_16_64 3
		.amdhsa_dx10_clamp 1
		.amdhsa_ieee_mode 1
		.amdhsa_fp16_overflow 0
		.amdhsa_tg_split 0
		.amdhsa_exception_fp_ieee_invalid_op 0
		.amdhsa_exception_fp_denorm_src 0
		.amdhsa_exception_fp_ieee_div_zero 0
		.amdhsa_exception_fp_ieee_overflow 0
		.amdhsa_exception_fp_ieee_underflow 0
		.amdhsa_exception_fp_ieee_inexact 0
		.amdhsa_exception_int_div_zero 0
	.end_amdhsa_kernel
	.section	.text._ZN7rocprim17ROCPRIM_400000_NS6detail17trampoline_kernelINS0_14default_configENS1_25partition_config_selectorILNS1_17partition_subalgoE0EyNS0_10empty_typeEbEEZZNS1_14partition_implILS5_0ELb0ES3_jN6thrust23THRUST_200600_302600_NS6detail15normal_iteratorINSA_10device_ptrIyEEEEPS6_SG_NS0_5tupleIJSF_SF_EEENSH_IJSG_SG_EEES6_PlJ7is_evenIyEEEE10hipError_tPvRmT3_T4_T5_T6_T7_T9_mT8_P12ihipStream_tbDpT10_ENKUlT_T0_E_clISt17integral_constantIbLb0EES15_IbLb1EEEEDaS11_S12_EUlS11_E_NS1_11comp_targetILNS1_3genE3ELNS1_11target_archE908ELNS1_3gpuE7ELNS1_3repE0EEENS1_30default_config_static_selectorELNS0_4arch9wavefront6targetE1EEEvT1_,"axG",@progbits,_ZN7rocprim17ROCPRIM_400000_NS6detail17trampoline_kernelINS0_14default_configENS1_25partition_config_selectorILNS1_17partition_subalgoE0EyNS0_10empty_typeEbEEZZNS1_14partition_implILS5_0ELb0ES3_jN6thrust23THRUST_200600_302600_NS6detail15normal_iteratorINSA_10device_ptrIyEEEEPS6_SG_NS0_5tupleIJSF_SF_EEENSH_IJSG_SG_EEES6_PlJ7is_evenIyEEEE10hipError_tPvRmT3_T4_T5_T6_T7_T9_mT8_P12ihipStream_tbDpT10_ENKUlT_T0_E_clISt17integral_constantIbLb0EES15_IbLb1EEEEDaS11_S12_EUlS11_E_NS1_11comp_targetILNS1_3genE3ELNS1_11target_archE908ELNS1_3gpuE7ELNS1_3repE0EEENS1_30default_config_static_selectorELNS0_4arch9wavefront6targetE1EEEvT1_,comdat
.Lfunc_end2131:
	.size	_ZN7rocprim17ROCPRIM_400000_NS6detail17trampoline_kernelINS0_14default_configENS1_25partition_config_selectorILNS1_17partition_subalgoE0EyNS0_10empty_typeEbEEZZNS1_14partition_implILS5_0ELb0ES3_jN6thrust23THRUST_200600_302600_NS6detail15normal_iteratorINSA_10device_ptrIyEEEEPS6_SG_NS0_5tupleIJSF_SF_EEENSH_IJSG_SG_EEES6_PlJ7is_evenIyEEEE10hipError_tPvRmT3_T4_T5_T6_T7_T9_mT8_P12ihipStream_tbDpT10_ENKUlT_T0_E_clISt17integral_constantIbLb0EES15_IbLb1EEEEDaS11_S12_EUlS11_E_NS1_11comp_targetILNS1_3genE3ELNS1_11target_archE908ELNS1_3gpuE7ELNS1_3repE0EEENS1_30default_config_static_selectorELNS0_4arch9wavefront6targetE1EEEvT1_, .Lfunc_end2131-_ZN7rocprim17ROCPRIM_400000_NS6detail17trampoline_kernelINS0_14default_configENS1_25partition_config_selectorILNS1_17partition_subalgoE0EyNS0_10empty_typeEbEEZZNS1_14partition_implILS5_0ELb0ES3_jN6thrust23THRUST_200600_302600_NS6detail15normal_iteratorINSA_10device_ptrIyEEEEPS6_SG_NS0_5tupleIJSF_SF_EEENSH_IJSG_SG_EEES6_PlJ7is_evenIyEEEE10hipError_tPvRmT3_T4_T5_T6_T7_T9_mT8_P12ihipStream_tbDpT10_ENKUlT_T0_E_clISt17integral_constantIbLb0EES15_IbLb1EEEEDaS11_S12_EUlS11_E_NS1_11comp_targetILNS1_3genE3ELNS1_11target_archE908ELNS1_3gpuE7ELNS1_3repE0EEENS1_30default_config_static_selectorELNS0_4arch9wavefront6targetE1EEEvT1_
                                        ; -- End function
	.section	.AMDGPU.csdata,"",@progbits
; Kernel info:
; codeLenInByte = 0
; NumSgprs: 6
; NumVgprs: 0
; NumAgprs: 0
; TotalNumVgprs: 0
; ScratchSize: 0
; MemoryBound: 0
; FloatMode: 240
; IeeeMode: 1
; LDSByteSize: 0 bytes/workgroup (compile time only)
; SGPRBlocks: 0
; VGPRBlocks: 0
; NumSGPRsForWavesPerEU: 6
; NumVGPRsForWavesPerEU: 1
; AccumOffset: 4
; Occupancy: 8
; WaveLimiterHint : 0
; COMPUTE_PGM_RSRC2:SCRATCH_EN: 0
; COMPUTE_PGM_RSRC2:USER_SGPR: 2
; COMPUTE_PGM_RSRC2:TRAP_HANDLER: 0
; COMPUTE_PGM_RSRC2:TGID_X_EN: 1
; COMPUTE_PGM_RSRC2:TGID_Y_EN: 0
; COMPUTE_PGM_RSRC2:TGID_Z_EN: 0
; COMPUTE_PGM_RSRC2:TIDIG_COMP_CNT: 0
; COMPUTE_PGM_RSRC3_GFX90A:ACCUM_OFFSET: 0
; COMPUTE_PGM_RSRC3_GFX90A:TG_SPLIT: 0
	.section	.text._ZN7rocprim17ROCPRIM_400000_NS6detail17trampoline_kernelINS0_14default_configENS1_25partition_config_selectorILNS1_17partition_subalgoE0EyNS0_10empty_typeEbEEZZNS1_14partition_implILS5_0ELb0ES3_jN6thrust23THRUST_200600_302600_NS6detail15normal_iteratorINSA_10device_ptrIyEEEEPS6_SG_NS0_5tupleIJSF_SF_EEENSH_IJSG_SG_EEES6_PlJ7is_evenIyEEEE10hipError_tPvRmT3_T4_T5_T6_T7_T9_mT8_P12ihipStream_tbDpT10_ENKUlT_T0_E_clISt17integral_constantIbLb0EES15_IbLb1EEEEDaS11_S12_EUlS11_E_NS1_11comp_targetILNS1_3genE2ELNS1_11target_archE906ELNS1_3gpuE6ELNS1_3repE0EEENS1_30default_config_static_selectorELNS0_4arch9wavefront6targetE1EEEvT1_,"axG",@progbits,_ZN7rocprim17ROCPRIM_400000_NS6detail17trampoline_kernelINS0_14default_configENS1_25partition_config_selectorILNS1_17partition_subalgoE0EyNS0_10empty_typeEbEEZZNS1_14partition_implILS5_0ELb0ES3_jN6thrust23THRUST_200600_302600_NS6detail15normal_iteratorINSA_10device_ptrIyEEEEPS6_SG_NS0_5tupleIJSF_SF_EEENSH_IJSG_SG_EEES6_PlJ7is_evenIyEEEE10hipError_tPvRmT3_T4_T5_T6_T7_T9_mT8_P12ihipStream_tbDpT10_ENKUlT_T0_E_clISt17integral_constantIbLb0EES15_IbLb1EEEEDaS11_S12_EUlS11_E_NS1_11comp_targetILNS1_3genE2ELNS1_11target_archE906ELNS1_3gpuE6ELNS1_3repE0EEENS1_30default_config_static_selectorELNS0_4arch9wavefront6targetE1EEEvT1_,comdat
	.protected	_ZN7rocprim17ROCPRIM_400000_NS6detail17trampoline_kernelINS0_14default_configENS1_25partition_config_selectorILNS1_17partition_subalgoE0EyNS0_10empty_typeEbEEZZNS1_14partition_implILS5_0ELb0ES3_jN6thrust23THRUST_200600_302600_NS6detail15normal_iteratorINSA_10device_ptrIyEEEEPS6_SG_NS0_5tupleIJSF_SF_EEENSH_IJSG_SG_EEES6_PlJ7is_evenIyEEEE10hipError_tPvRmT3_T4_T5_T6_T7_T9_mT8_P12ihipStream_tbDpT10_ENKUlT_T0_E_clISt17integral_constantIbLb0EES15_IbLb1EEEEDaS11_S12_EUlS11_E_NS1_11comp_targetILNS1_3genE2ELNS1_11target_archE906ELNS1_3gpuE6ELNS1_3repE0EEENS1_30default_config_static_selectorELNS0_4arch9wavefront6targetE1EEEvT1_ ; -- Begin function _ZN7rocprim17ROCPRIM_400000_NS6detail17trampoline_kernelINS0_14default_configENS1_25partition_config_selectorILNS1_17partition_subalgoE0EyNS0_10empty_typeEbEEZZNS1_14partition_implILS5_0ELb0ES3_jN6thrust23THRUST_200600_302600_NS6detail15normal_iteratorINSA_10device_ptrIyEEEEPS6_SG_NS0_5tupleIJSF_SF_EEENSH_IJSG_SG_EEES6_PlJ7is_evenIyEEEE10hipError_tPvRmT3_T4_T5_T6_T7_T9_mT8_P12ihipStream_tbDpT10_ENKUlT_T0_E_clISt17integral_constantIbLb0EES15_IbLb1EEEEDaS11_S12_EUlS11_E_NS1_11comp_targetILNS1_3genE2ELNS1_11target_archE906ELNS1_3gpuE6ELNS1_3repE0EEENS1_30default_config_static_selectorELNS0_4arch9wavefront6targetE1EEEvT1_
	.globl	_ZN7rocprim17ROCPRIM_400000_NS6detail17trampoline_kernelINS0_14default_configENS1_25partition_config_selectorILNS1_17partition_subalgoE0EyNS0_10empty_typeEbEEZZNS1_14partition_implILS5_0ELb0ES3_jN6thrust23THRUST_200600_302600_NS6detail15normal_iteratorINSA_10device_ptrIyEEEEPS6_SG_NS0_5tupleIJSF_SF_EEENSH_IJSG_SG_EEES6_PlJ7is_evenIyEEEE10hipError_tPvRmT3_T4_T5_T6_T7_T9_mT8_P12ihipStream_tbDpT10_ENKUlT_T0_E_clISt17integral_constantIbLb0EES15_IbLb1EEEEDaS11_S12_EUlS11_E_NS1_11comp_targetILNS1_3genE2ELNS1_11target_archE906ELNS1_3gpuE6ELNS1_3repE0EEENS1_30default_config_static_selectorELNS0_4arch9wavefront6targetE1EEEvT1_
	.p2align	8
	.type	_ZN7rocprim17ROCPRIM_400000_NS6detail17trampoline_kernelINS0_14default_configENS1_25partition_config_selectorILNS1_17partition_subalgoE0EyNS0_10empty_typeEbEEZZNS1_14partition_implILS5_0ELb0ES3_jN6thrust23THRUST_200600_302600_NS6detail15normal_iteratorINSA_10device_ptrIyEEEEPS6_SG_NS0_5tupleIJSF_SF_EEENSH_IJSG_SG_EEES6_PlJ7is_evenIyEEEE10hipError_tPvRmT3_T4_T5_T6_T7_T9_mT8_P12ihipStream_tbDpT10_ENKUlT_T0_E_clISt17integral_constantIbLb0EES15_IbLb1EEEEDaS11_S12_EUlS11_E_NS1_11comp_targetILNS1_3genE2ELNS1_11target_archE906ELNS1_3gpuE6ELNS1_3repE0EEENS1_30default_config_static_selectorELNS0_4arch9wavefront6targetE1EEEvT1_,@function
_ZN7rocprim17ROCPRIM_400000_NS6detail17trampoline_kernelINS0_14default_configENS1_25partition_config_selectorILNS1_17partition_subalgoE0EyNS0_10empty_typeEbEEZZNS1_14partition_implILS5_0ELb0ES3_jN6thrust23THRUST_200600_302600_NS6detail15normal_iteratorINSA_10device_ptrIyEEEEPS6_SG_NS0_5tupleIJSF_SF_EEENSH_IJSG_SG_EEES6_PlJ7is_evenIyEEEE10hipError_tPvRmT3_T4_T5_T6_T7_T9_mT8_P12ihipStream_tbDpT10_ENKUlT_T0_E_clISt17integral_constantIbLb0EES15_IbLb1EEEEDaS11_S12_EUlS11_E_NS1_11comp_targetILNS1_3genE2ELNS1_11target_archE906ELNS1_3gpuE6ELNS1_3repE0EEENS1_30default_config_static_selectorELNS0_4arch9wavefront6targetE1EEEvT1_: ; @_ZN7rocprim17ROCPRIM_400000_NS6detail17trampoline_kernelINS0_14default_configENS1_25partition_config_selectorILNS1_17partition_subalgoE0EyNS0_10empty_typeEbEEZZNS1_14partition_implILS5_0ELb0ES3_jN6thrust23THRUST_200600_302600_NS6detail15normal_iteratorINSA_10device_ptrIyEEEEPS6_SG_NS0_5tupleIJSF_SF_EEENSH_IJSG_SG_EEES6_PlJ7is_evenIyEEEE10hipError_tPvRmT3_T4_T5_T6_T7_T9_mT8_P12ihipStream_tbDpT10_ENKUlT_T0_E_clISt17integral_constantIbLb0EES15_IbLb1EEEEDaS11_S12_EUlS11_E_NS1_11comp_targetILNS1_3genE2ELNS1_11target_archE906ELNS1_3gpuE6ELNS1_3repE0EEENS1_30default_config_static_selectorELNS0_4arch9wavefront6targetE1EEEvT1_
; %bb.0:
	.section	.rodata,"a",@progbits
	.p2align	6, 0x0
	.amdhsa_kernel _ZN7rocprim17ROCPRIM_400000_NS6detail17trampoline_kernelINS0_14default_configENS1_25partition_config_selectorILNS1_17partition_subalgoE0EyNS0_10empty_typeEbEEZZNS1_14partition_implILS5_0ELb0ES3_jN6thrust23THRUST_200600_302600_NS6detail15normal_iteratorINSA_10device_ptrIyEEEEPS6_SG_NS0_5tupleIJSF_SF_EEENSH_IJSG_SG_EEES6_PlJ7is_evenIyEEEE10hipError_tPvRmT3_T4_T5_T6_T7_T9_mT8_P12ihipStream_tbDpT10_ENKUlT_T0_E_clISt17integral_constantIbLb0EES15_IbLb1EEEEDaS11_S12_EUlS11_E_NS1_11comp_targetILNS1_3genE2ELNS1_11target_archE906ELNS1_3gpuE6ELNS1_3repE0EEENS1_30default_config_static_selectorELNS0_4arch9wavefront6targetE1EEEvT1_
		.amdhsa_group_segment_fixed_size 0
		.amdhsa_private_segment_fixed_size 0
		.amdhsa_kernarg_size 136
		.amdhsa_user_sgpr_count 2
		.amdhsa_user_sgpr_dispatch_ptr 0
		.amdhsa_user_sgpr_queue_ptr 0
		.amdhsa_user_sgpr_kernarg_segment_ptr 1
		.amdhsa_user_sgpr_dispatch_id 0
		.amdhsa_user_sgpr_kernarg_preload_length 0
		.amdhsa_user_sgpr_kernarg_preload_offset 0
		.amdhsa_user_sgpr_private_segment_size 0
		.amdhsa_uses_dynamic_stack 0
		.amdhsa_enable_private_segment 0
		.amdhsa_system_sgpr_workgroup_id_x 1
		.amdhsa_system_sgpr_workgroup_id_y 0
		.amdhsa_system_sgpr_workgroup_id_z 0
		.amdhsa_system_sgpr_workgroup_info 0
		.amdhsa_system_vgpr_workitem_id 0
		.amdhsa_next_free_vgpr 1
		.amdhsa_next_free_sgpr 0
		.amdhsa_accum_offset 4
		.amdhsa_reserve_vcc 0
		.amdhsa_float_round_mode_32 0
		.amdhsa_float_round_mode_16_64 0
		.amdhsa_float_denorm_mode_32 3
		.amdhsa_float_denorm_mode_16_64 3
		.amdhsa_dx10_clamp 1
		.amdhsa_ieee_mode 1
		.amdhsa_fp16_overflow 0
		.amdhsa_tg_split 0
		.amdhsa_exception_fp_ieee_invalid_op 0
		.amdhsa_exception_fp_denorm_src 0
		.amdhsa_exception_fp_ieee_div_zero 0
		.amdhsa_exception_fp_ieee_overflow 0
		.amdhsa_exception_fp_ieee_underflow 0
		.amdhsa_exception_fp_ieee_inexact 0
		.amdhsa_exception_int_div_zero 0
	.end_amdhsa_kernel
	.section	.text._ZN7rocprim17ROCPRIM_400000_NS6detail17trampoline_kernelINS0_14default_configENS1_25partition_config_selectorILNS1_17partition_subalgoE0EyNS0_10empty_typeEbEEZZNS1_14partition_implILS5_0ELb0ES3_jN6thrust23THRUST_200600_302600_NS6detail15normal_iteratorINSA_10device_ptrIyEEEEPS6_SG_NS0_5tupleIJSF_SF_EEENSH_IJSG_SG_EEES6_PlJ7is_evenIyEEEE10hipError_tPvRmT3_T4_T5_T6_T7_T9_mT8_P12ihipStream_tbDpT10_ENKUlT_T0_E_clISt17integral_constantIbLb0EES15_IbLb1EEEEDaS11_S12_EUlS11_E_NS1_11comp_targetILNS1_3genE2ELNS1_11target_archE906ELNS1_3gpuE6ELNS1_3repE0EEENS1_30default_config_static_selectorELNS0_4arch9wavefront6targetE1EEEvT1_,"axG",@progbits,_ZN7rocprim17ROCPRIM_400000_NS6detail17trampoline_kernelINS0_14default_configENS1_25partition_config_selectorILNS1_17partition_subalgoE0EyNS0_10empty_typeEbEEZZNS1_14partition_implILS5_0ELb0ES3_jN6thrust23THRUST_200600_302600_NS6detail15normal_iteratorINSA_10device_ptrIyEEEEPS6_SG_NS0_5tupleIJSF_SF_EEENSH_IJSG_SG_EEES6_PlJ7is_evenIyEEEE10hipError_tPvRmT3_T4_T5_T6_T7_T9_mT8_P12ihipStream_tbDpT10_ENKUlT_T0_E_clISt17integral_constantIbLb0EES15_IbLb1EEEEDaS11_S12_EUlS11_E_NS1_11comp_targetILNS1_3genE2ELNS1_11target_archE906ELNS1_3gpuE6ELNS1_3repE0EEENS1_30default_config_static_selectorELNS0_4arch9wavefront6targetE1EEEvT1_,comdat
.Lfunc_end2132:
	.size	_ZN7rocprim17ROCPRIM_400000_NS6detail17trampoline_kernelINS0_14default_configENS1_25partition_config_selectorILNS1_17partition_subalgoE0EyNS0_10empty_typeEbEEZZNS1_14partition_implILS5_0ELb0ES3_jN6thrust23THRUST_200600_302600_NS6detail15normal_iteratorINSA_10device_ptrIyEEEEPS6_SG_NS0_5tupleIJSF_SF_EEENSH_IJSG_SG_EEES6_PlJ7is_evenIyEEEE10hipError_tPvRmT3_T4_T5_T6_T7_T9_mT8_P12ihipStream_tbDpT10_ENKUlT_T0_E_clISt17integral_constantIbLb0EES15_IbLb1EEEEDaS11_S12_EUlS11_E_NS1_11comp_targetILNS1_3genE2ELNS1_11target_archE906ELNS1_3gpuE6ELNS1_3repE0EEENS1_30default_config_static_selectorELNS0_4arch9wavefront6targetE1EEEvT1_, .Lfunc_end2132-_ZN7rocprim17ROCPRIM_400000_NS6detail17trampoline_kernelINS0_14default_configENS1_25partition_config_selectorILNS1_17partition_subalgoE0EyNS0_10empty_typeEbEEZZNS1_14partition_implILS5_0ELb0ES3_jN6thrust23THRUST_200600_302600_NS6detail15normal_iteratorINSA_10device_ptrIyEEEEPS6_SG_NS0_5tupleIJSF_SF_EEENSH_IJSG_SG_EEES6_PlJ7is_evenIyEEEE10hipError_tPvRmT3_T4_T5_T6_T7_T9_mT8_P12ihipStream_tbDpT10_ENKUlT_T0_E_clISt17integral_constantIbLb0EES15_IbLb1EEEEDaS11_S12_EUlS11_E_NS1_11comp_targetILNS1_3genE2ELNS1_11target_archE906ELNS1_3gpuE6ELNS1_3repE0EEENS1_30default_config_static_selectorELNS0_4arch9wavefront6targetE1EEEvT1_
                                        ; -- End function
	.section	.AMDGPU.csdata,"",@progbits
; Kernel info:
; codeLenInByte = 0
; NumSgprs: 6
; NumVgprs: 0
; NumAgprs: 0
; TotalNumVgprs: 0
; ScratchSize: 0
; MemoryBound: 0
; FloatMode: 240
; IeeeMode: 1
; LDSByteSize: 0 bytes/workgroup (compile time only)
; SGPRBlocks: 0
; VGPRBlocks: 0
; NumSGPRsForWavesPerEU: 6
; NumVGPRsForWavesPerEU: 1
; AccumOffset: 4
; Occupancy: 8
; WaveLimiterHint : 0
; COMPUTE_PGM_RSRC2:SCRATCH_EN: 0
; COMPUTE_PGM_RSRC2:USER_SGPR: 2
; COMPUTE_PGM_RSRC2:TRAP_HANDLER: 0
; COMPUTE_PGM_RSRC2:TGID_X_EN: 1
; COMPUTE_PGM_RSRC2:TGID_Y_EN: 0
; COMPUTE_PGM_RSRC2:TGID_Z_EN: 0
; COMPUTE_PGM_RSRC2:TIDIG_COMP_CNT: 0
; COMPUTE_PGM_RSRC3_GFX90A:ACCUM_OFFSET: 0
; COMPUTE_PGM_RSRC3_GFX90A:TG_SPLIT: 0
	.section	.text._ZN7rocprim17ROCPRIM_400000_NS6detail17trampoline_kernelINS0_14default_configENS1_25partition_config_selectorILNS1_17partition_subalgoE0EyNS0_10empty_typeEbEEZZNS1_14partition_implILS5_0ELb0ES3_jN6thrust23THRUST_200600_302600_NS6detail15normal_iteratorINSA_10device_ptrIyEEEEPS6_SG_NS0_5tupleIJSF_SF_EEENSH_IJSG_SG_EEES6_PlJ7is_evenIyEEEE10hipError_tPvRmT3_T4_T5_T6_T7_T9_mT8_P12ihipStream_tbDpT10_ENKUlT_T0_E_clISt17integral_constantIbLb0EES15_IbLb1EEEEDaS11_S12_EUlS11_E_NS1_11comp_targetILNS1_3genE10ELNS1_11target_archE1200ELNS1_3gpuE4ELNS1_3repE0EEENS1_30default_config_static_selectorELNS0_4arch9wavefront6targetE1EEEvT1_,"axG",@progbits,_ZN7rocprim17ROCPRIM_400000_NS6detail17trampoline_kernelINS0_14default_configENS1_25partition_config_selectorILNS1_17partition_subalgoE0EyNS0_10empty_typeEbEEZZNS1_14partition_implILS5_0ELb0ES3_jN6thrust23THRUST_200600_302600_NS6detail15normal_iteratorINSA_10device_ptrIyEEEEPS6_SG_NS0_5tupleIJSF_SF_EEENSH_IJSG_SG_EEES6_PlJ7is_evenIyEEEE10hipError_tPvRmT3_T4_T5_T6_T7_T9_mT8_P12ihipStream_tbDpT10_ENKUlT_T0_E_clISt17integral_constantIbLb0EES15_IbLb1EEEEDaS11_S12_EUlS11_E_NS1_11comp_targetILNS1_3genE10ELNS1_11target_archE1200ELNS1_3gpuE4ELNS1_3repE0EEENS1_30default_config_static_selectorELNS0_4arch9wavefront6targetE1EEEvT1_,comdat
	.protected	_ZN7rocprim17ROCPRIM_400000_NS6detail17trampoline_kernelINS0_14default_configENS1_25partition_config_selectorILNS1_17partition_subalgoE0EyNS0_10empty_typeEbEEZZNS1_14partition_implILS5_0ELb0ES3_jN6thrust23THRUST_200600_302600_NS6detail15normal_iteratorINSA_10device_ptrIyEEEEPS6_SG_NS0_5tupleIJSF_SF_EEENSH_IJSG_SG_EEES6_PlJ7is_evenIyEEEE10hipError_tPvRmT3_T4_T5_T6_T7_T9_mT8_P12ihipStream_tbDpT10_ENKUlT_T0_E_clISt17integral_constantIbLb0EES15_IbLb1EEEEDaS11_S12_EUlS11_E_NS1_11comp_targetILNS1_3genE10ELNS1_11target_archE1200ELNS1_3gpuE4ELNS1_3repE0EEENS1_30default_config_static_selectorELNS0_4arch9wavefront6targetE1EEEvT1_ ; -- Begin function _ZN7rocprim17ROCPRIM_400000_NS6detail17trampoline_kernelINS0_14default_configENS1_25partition_config_selectorILNS1_17partition_subalgoE0EyNS0_10empty_typeEbEEZZNS1_14partition_implILS5_0ELb0ES3_jN6thrust23THRUST_200600_302600_NS6detail15normal_iteratorINSA_10device_ptrIyEEEEPS6_SG_NS0_5tupleIJSF_SF_EEENSH_IJSG_SG_EEES6_PlJ7is_evenIyEEEE10hipError_tPvRmT3_T4_T5_T6_T7_T9_mT8_P12ihipStream_tbDpT10_ENKUlT_T0_E_clISt17integral_constantIbLb0EES15_IbLb1EEEEDaS11_S12_EUlS11_E_NS1_11comp_targetILNS1_3genE10ELNS1_11target_archE1200ELNS1_3gpuE4ELNS1_3repE0EEENS1_30default_config_static_selectorELNS0_4arch9wavefront6targetE1EEEvT1_
	.globl	_ZN7rocprim17ROCPRIM_400000_NS6detail17trampoline_kernelINS0_14default_configENS1_25partition_config_selectorILNS1_17partition_subalgoE0EyNS0_10empty_typeEbEEZZNS1_14partition_implILS5_0ELb0ES3_jN6thrust23THRUST_200600_302600_NS6detail15normal_iteratorINSA_10device_ptrIyEEEEPS6_SG_NS0_5tupleIJSF_SF_EEENSH_IJSG_SG_EEES6_PlJ7is_evenIyEEEE10hipError_tPvRmT3_T4_T5_T6_T7_T9_mT8_P12ihipStream_tbDpT10_ENKUlT_T0_E_clISt17integral_constantIbLb0EES15_IbLb1EEEEDaS11_S12_EUlS11_E_NS1_11comp_targetILNS1_3genE10ELNS1_11target_archE1200ELNS1_3gpuE4ELNS1_3repE0EEENS1_30default_config_static_selectorELNS0_4arch9wavefront6targetE1EEEvT1_
	.p2align	8
	.type	_ZN7rocprim17ROCPRIM_400000_NS6detail17trampoline_kernelINS0_14default_configENS1_25partition_config_selectorILNS1_17partition_subalgoE0EyNS0_10empty_typeEbEEZZNS1_14partition_implILS5_0ELb0ES3_jN6thrust23THRUST_200600_302600_NS6detail15normal_iteratorINSA_10device_ptrIyEEEEPS6_SG_NS0_5tupleIJSF_SF_EEENSH_IJSG_SG_EEES6_PlJ7is_evenIyEEEE10hipError_tPvRmT3_T4_T5_T6_T7_T9_mT8_P12ihipStream_tbDpT10_ENKUlT_T0_E_clISt17integral_constantIbLb0EES15_IbLb1EEEEDaS11_S12_EUlS11_E_NS1_11comp_targetILNS1_3genE10ELNS1_11target_archE1200ELNS1_3gpuE4ELNS1_3repE0EEENS1_30default_config_static_selectorELNS0_4arch9wavefront6targetE1EEEvT1_,@function
_ZN7rocprim17ROCPRIM_400000_NS6detail17trampoline_kernelINS0_14default_configENS1_25partition_config_selectorILNS1_17partition_subalgoE0EyNS0_10empty_typeEbEEZZNS1_14partition_implILS5_0ELb0ES3_jN6thrust23THRUST_200600_302600_NS6detail15normal_iteratorINSA_10device_ptrIyEEEEPS6_SG_NS0_5tupleIJSF_SF_EEENSH_IJSG_SG_EEES6_PlJ7is_evenIyEEEE10hipError_tPvRmT3_T4_T5_T6_T7_T9_mT8_P12ihipStream_tbDpT10_ENKUlT_T0_E_clISt17integral_constantIbLb0EES15_IbLb1EEEEDaS11_S12_EUlS11_E_NS1_11comp_targetILNS1_3genE10ELNS1_11target_archE1200ELNS1_3gpuE4ELNS1_3repE0EEENS1_30default_config_static_selectorELNS0_4arch9wavefront6targetE1EEEvT1_: ; @_ZN7rocprim17ROCPRIM_400000_NS6detail17trampoline_kernelINS0_14default_configENS1_25partition_config_selectorILNS1_17partition_subalgoE0EyNS0_10empty_typeEbEEZZNS1_14partition_implILS5_0ELb0ES3_jN6thrust23THRUST_200600_302600_NS6detail15normal_iteratorINSA_10device_ptrIyEEEEPS6_SG_NS0_5tupleIJSF_SF_EEENSH_IJSG_SG_EEES6_PlJ7is_evenIyEEEE10hipError_tPvRmT3_T4_T5_T6_T7_T9_mT8_P12ihipStream_tbDpT10_ENKUlT_T0_E_clISt17integral_constantIbLb0EES15_IbLb1EEEEDaS11_S12_EUlS11_E_NS1_11comp_targetILNS1_3genE10ELNS1_11target_archE1200ELNS1_3gpuE4ELNS1_3repE0EEENS1_30default_config_static_selectorELNS0_4arch9wavefront6targetE1EEEvT1_
; %bb.0:
	.section	.rodata,"a",@progbits
	.p2align	6, 0x0
	.amdhsa_kernel _ZN7rocprim17ROCPRIM_400000_NS6detail17trampoline_kernelINS0_14default_configENS1_25partition_config_selectorILNS1_17partition_subalgoE0EyNS0_10empty_typeEbEEZZNS1_14partition_implILS5_0ELb0ES3_jN6thrust23THRUST_200600_302600_NS6detail15normal_iteratorINSA_10device_ptrIyEEEEPS6_SG_NS0_5tupleIJSF_SF_EEENSH_IJSG_SG_EEES6_PlJ7is_evenIyEEEE10hipError_tPvRmT3_T4_T5_T6_T7_T9_mT8_P12ihipStream_tbDpT10_ENKUlT_T0_E_clISt17integral_constantIbLb0EES15_IbLb1EEEEDaS11_S12_EUlS11_E_NS1_11comp_targetILNS1_3genE10ELNS1_11target_archE1200ELNS1_3gpuE4ELNS1_3repE0EEENS1_30default_config_static_selectorELNS0_4arch9wavefront6targetE1EEEvT1_
		.amdhsa_group_segment_fixed_size 0
		.amdhsa_private_segment_fixed_size 0
		.amdhsa_kernarg_size 136
		.amdhsa_user_sgpr_count 2
		.amdhsa_user_sgpr_dispatch_ptr 0
		.amdhsa_user_sgpr_queue_ptr 0
		.amdhsa_user_sgpr_kernarg_segment_ptr 1
		.amdhsa_user_sgpr_dispatch_id 0
		.amdhsa_user_sgpr_kernarg_preload_length 0
		.amdhsa_user_sgpr_kernarg_preload_offset 0
		.amdhsa_user_sgpr_private_segment_size 0
		.amdhsa_uses_dynamic_stack 0
		.amdhsa_enable_private_segment 0
		.amdhsa_system_sgpr_workgroup_id_x 1
		.amdhsa_system_sgpr_workgroup_id_y 0
		.amdhsa_system_sgpr_workgroup_id_z 0
		.amdhsa_system_sgpr_workgroup_info 0
		.amdhsa_system_vgpr_workitem_id 0
		.amdhsa_next_free_vgpr 1
		.amdhsa_next_free_sgpr 0
		.amdhsa_accum_offset 4
		.amdhsa_reserve_vcc 0
		.amdhsa_float_round_mode_32 0
		.amdhsa_float_round_mode_16_64 0
		.amdhsa_float_denorm_mode_32 3
		.amdhsa_float_denorm_mode_16_64 3
		.amdhsa_dx10_clamp 1
		.amdhsa_ieee_mode 1
		.amdhsa_fp16_overflow 0
		.amdhsa_tg_split 0
		.amdhsa_exception_fp_ieee_invalid_op 0
		.amdhsa_exception_fp_denorm_src 0
		.amdhsa_exception_fp_ieee_div_zero 0
		.amdhsa_exception_fp_ieee_overflow 0
		.amdhsa_exception_fp_ieee_underflow 0
		.amdhsa_exception_fp_ieee_inexact 0
		.amdhsa_exception_int_div_zero 0
	.end_amdhsa_kernel
	.section	.text._ZN7rocprim17ROCPRIM_400000_NS6detail17trampoline_kernelINS0_14default_configENS1_25partition_config_selectorILNS1_17partition_subalgoE0EyNS0_10empty_typeEbEEZZNS1_14partition_implILS5_0ELb0ES3_jN6thrust23THRUST_200600_302600_NS6detail15normal_iteratorINSA_10device_ptrIyEEEEPS6_SG_NS0_5tupleIJSF_SF_EEENSH_IJSG_SG_EEES6_PlJ7is_evenIyEEEE10hipError_tPvRmT3_T4_T5_T6_T7_T9_mT8_P12ihipStream_tbDpT10_ENKUlT_T0_E_clISt17integral_constantIbLb0EES15_IbLb1EEEEDaS11_S12_EUlS11_E_NS1_11comp_targetILNS1_3genE10ELNS1_11target_archE1200ELNS1_3gpuE4ELNS1_3repE0EEENS1_30default_config_static_selectorELNS0_4arch9wavefront6targetE1EEEvT1_,"axG",@progbits,_ZN7rocprim17ROCPRIM_400000_NS6detail17trampoline_kernelINS0_14default_configENS1_25partition_config_selectorILNS1_17partition_subalgoE0EyNS0_10empty_typeEbEEZZNS1_14partition_implILS5_0ELb0ES3_jN6thrust23THRUST_200600_302600_NS6detail15normal_iteratorINSA_10device_ptrIyEEEEPS6_SG_NS0_5tupleIJSF_SF_EEENSH_IJSG_SG_EEES6_PlJ7is_evenIyEEEE10hipError_tPvRmT3_T4_T5_T6_T7_T9_mT8_P12ihipStream_tbDpT10_ENKUlT_T0_E_clISt17integral_constantIbLb0EES15_IbLb1EEEEDaS11_S12_EUlS11_E_NS1_11comp_targetILNS1_3genE10ELNS1_11target_archE1200ELNS1_3gpuE4ELNS1_3repE0EEENS1_30default_config_static_selectorELNS0_4arch9wavefront6targetE1EEEvT1_,comdat
.Lfunc_end2133:
	.size	_ZN7rocprim17ROCPRIM_400000_NS6detail17trampoline_kernelINS0_14default_configENS1_25partition_config_selectorILNS1_17partition_subalgoE0EyNS0_10empty_typeEbEEZZNS1_14partition_implILS5_0ELb0ES3_jN6thrust23THRUST_200600_302600_NS6detail15normal_iteratorINSA_10device_ptrIyEEEEPS6_SG_NS0_5tupleIJSF_SF_EEENSH_IJSG_SG_EEES6_PlJ7is_evenIyEEEE10hipError_tPvRmT3_T4_T5_T6_T7_T9_mT8_P12ihipStream_tbDpT10_ENKUlT_T0_E_clISt17integral_constantIbLb0EES15_IbLb1EEEEDaS11_S12_EUlS11_E_NS1_11comp_targetILNS1_3genE10ELNS1_11target_archE1200ELNS1_3gpuE4ELNS1_3repE0EEENS1_30default_config_static_selectorELNS0_4arch9wavefront6targetE1EEEvT1_, .Lfunc_end2133-_ZN7rocprim17ROCPRIM_400000_NS6detail17trampoline_kernelINS0_14default_configENS1_25partition_config_selectorILNS1_17partition_subalgoE0EyNS0_10empty_typeEbEEZZNS1_14partition_implILS5_0ELb0ES3_jN6thrust23THRUST_200600_302600_NS6detail15normal_iteratorINSA_10device_ptrIyEEEEPS6_SG_NS0_5tupleIJSF_SF_EEENSH_IJSG_SG_EEES6_PlJ7is_evenIyEEEE10hipError_tPvRmT3_T4_T5_T6_T7_T9_mT8_P12ihipStream_tbDpT10_ENKUlT_T0_E_clISt17integral_constantIbLb0EES15_IbLb1EEEEDaS11_S12_EUlS11_E_NS1_11comp_targetILNS1_3genE10ELNS1_11target_archE1200ELNS1_3gpuE4ELNS1_3repE0EEENS1_30default_config_static_selectorELNS0_4arch9wavefront6targetE1EEEvT1_
                                        ; -- End function
	.section	.AMDGPU.csdata,"",@progbits
; Kernel info:
; codeLenInByte = 0
; NumSgprs: 6
; NumVgprs: 0
; NumAgprs: 0
; TotalNumVgprs: 0
; ScratchSize: 0
; MemoryBound: 0
; FloatMode: 240
; IeeeMode: 1
; LDSByteSize: 0 bytes/workgroup (compile time only)
; SGPRBlocks: 0
; VGPRBlocks: 0
; NumSGPRsForWavesPerEU: 6
; NumVGPRsForWavesPerEU: 1
; AccumOffset: 4
; Occupancy: 8
; WaveLimiterHint : 0
; COMPUTE_PGM_RSRC2:SCRATCH_EN: 0
; COMPUTE_PGM_RSRC2:USER_SGPR: 2
; COMPUTE_PGM_RSRC2:TRAP_HANDLER: 0
; COMPUTE_PGM_RSRC2:TGID_X_EN: 1
; COMPUTE_PGM_RSRC2:TGID_Y_EN: 0
; COMPUTE_PGM_RSRC2:TGID_Z_EN: 0
; COMPUTE_PGM_RSRC2:TIDIG_COMP_CNT: 0
; COMPUTE_PGM_RSRC3_GFX90A:ACCUM_OFFSET: 0
; COMPUTE_PGM_RSRC3_GFX90A:TG_SPLIT: 0
	.section	.text._ZN7rocprim17ROCPRIM_400000_NS6detail17trampoline_kernelINS0_14default_configENS1_25partition_config_selectorILNS1_17partition_subalgoE0EyNS0_10empty_typeEbEEZZNS1_14partition_implILS5_0ELb0ES3_jN6thrust23THRUST_200600_302600_NS6detail15normal_iteratorINSA_10device_ptrIyEEEEPS6_SG_NS0_5tupleIJSF_SF_EEENSH_IJSG_SG_EEES6_PlJ7is_evenIyEEEE10hipError_tPvRmT3_T4_T5_T6_T7_T9_mT8_P12ihipStream_tbDpT10_ENKUlT_T0_E_clISt17integral_constantIbLb0EES15_IbLb1EEEEDaS11_S12_EUlS11_E_NS1_11comp_targetILNS1_3genE9ELNS1_11target_archE1100ELNS1_3gpuE3ELNS1_3repE0EEENS1_30default_config_static_selectorELNS0_4arch9wavefront6targetE1EEEvT1_,"axG",@progbits,_ZN7rocprim17ROCPRIM_400000_NS6detail17trampoline_kernelINS0_14default_configENS1_25partition_config_selectorILNS1_17partition_subalgoE0EyNS0_10empty_typeEbEEZZNS1_14partition_implILS5_0ELb0ES3_jN6thrust23THRUST_200600_302600_NS6detail15normal_iteratorINSA_10device_ptrIyEEEEPS6_SG_NS0_5tupleIJSF_SF_EEENSH_IJSG_SG_EEES6_PlJ7is_evenIyEEEE10hipError_tPvRmT3_T4_T5_T6_T7_T9_mT8_P12ihipStream_tbDpT10_ENKUlT_T0_E_clISt17integral_constantIbLb0EES15_IbLb1EEEEDaS11_S12_EUlS11_E_NS1_11comp_targetILNS1_3genE9ELNS1_11target_archE1100ELNS1_3gpuE3ELNS1_3repE0EEENS1_30default_config_static_selectorELNS0_4arch9wavefront6targetE1EEEvT1_,comdat
	.protected	_ZN7rocprim17ROCPRIM_400000_NS6detail17trampoline_kernelINS0_14default_configENS1_25partition_config_selectorILNS1_17partition_subalgoE0EyNS0_10empty_typeEbEEZZNS1_14partition_implILS5_0ELb0ES3_jN6thrust23THRUST_200600_302600_NS6detail15normal_iteratorINSA_10device_ptrIyEEEEPS6_SG_NS0_5tupleIJSF_SF_EEENSH_IJSG_SG_EEES6_PlJ7is_evenIyEEEE10hipError_tPvRmT3_T4_T5_T6_T7_T9_mT8_P12ihipStream_tbDpT10_ENKUlT_T0_E_clISt17integral_constantIbLb0EES15_IbLb1EEEEDaS11_S12_EUlS11_E_NS1_11comp_targetILNS1_3genE9ELNS1_11target_archE1100ELNS1_3gpuE3ELNS1_3repE0EEENS1_30default_config_static_selectorELNS0_4arch9wavefront6targetE1EEEvT1_ ; -- Begin function _ZN7rocprim17ROCPRIM_400000_NS6detail17trampoline_kernelINS0_14default_configENS1_25partition_config_selectorILNS1_17partition_subalgoE0EyNS0_10empty_typeEbEEZZNS1_14partition_implILS5_0ELb0ES3_jN6thrust23THRUST_200600_302600_NS6detail15normal_iteratorINSA_10device_ptrIyEEEEPS6_SG_NS0_5tupleIJSF_SF_EEENSH_IJSG_SG_EEES6_PlJ7is_evenIyEEEE10hipError_tPvRmT3_T4_T5_T6_T7_T9_mT8_P12ihipStream_tbDpT10_ENKUlT_T0_E_clISt17integral_constantIbLb0EES15_IbLb1EEEEDaS11_S12_EUlS11_E_NS1_11comp_targetILNS1_3genE9ELNS1_11target_archE1100ELNS1_3gpuE3ELNS1_3repE0EEENS1_30default_config_static_selectorELNS0_4arch9wavefront6targetE1EEEvT1_
	.globl	_ZN7rocprim17ROCPRIM_400000_NS6detail17trampoline_kernelINS0_14default_configENS1_25partition_config_selectorILNS1_17partition_subalgoE0EyNS0_10empty_typeEbEEZZNS1_14partition_implILS5_0ELb0ES3_jN6thrust23THRUST_200600_302600_NS6detail15normal_iteratorINSA_10device_ptrIyEEEEPS6_SG_NS0_5tupleIJSF_SF_EEENSH_IJSG_SG_EEES6_PlJ7is_evenIyEEEE10hipError_tPvRmT3_T4_T5_T6_T7_T9_mT8_P12ihipStream_tbDpT10_ENKUlT_T0_E_clISt17integral_constantIbLb0EES15_IbLb1EEEEDaS11_S12_EUlS11_E_NS1_11comp_targetILNS1_3genE9ELNS1_11target_archE1100ELNS1_3gpuE3ELNS1_3repE0EEENS1_30default_config_static_selectorELNS0_4arch9wavefront6targetE1EEEvT1_
	.p2align	8
	.type	_ZN7rocprim17ROCPRIM_400000_NS6detail17trampoline_kernelINS0_14default_configENS1_25partition_config_selectorILNS1_17partition_subalgoE0EyNS0_10empty_typeEbEEZZNS1_14partition_implILS5_0ELb0ES3_jN6thrust23THRUST_200600_302600_NS6detail15normal_iteratorINSA_10device_ptrIyEEEEPS6_SG_NS0_5tupleIJSF_SF_EEENSH_IJSG_SG_EEES6_PlJ7is_evenIyEEEE10hipError_tPvRmT3_T4_T5_T6_T7_T9_mT8_P12ihipStream_tbDpT10_ENKUlT_T0_E_clISt17integral_constantIbLb0EES15_IbLb1EEEEDaS11_S12_EUlS11_E_NS1_11comp_targetILNS1_3genE9ELNS1_11target_archE1100ELNS1_3gpuE3ELNS1_3repE0EEENS1_30default_config_static_selectorELNS0_4arch9wavefront6targetE1EEEvT1_,@function
_ZN7rocprim17ROCPRIM_400000_NS6detail17trampoline_kernelINS0_14default_configENS1_25partition_config_selectorILNS1_17partition_subalgoE0EyNS0_10empty_typeEbEEZZNS1_14partition_implILS5_0ELb0ES3_jN6thrust23THRUST_200600_302600_NS6detail15normal_iteratorINSA_10device_ptrIyEEEEPS6_SG_NS0_5tupleIJSF_SF_EEENSH_IJSG_SG_EEES6_PlJ7is_evenIyEEEE10hipError_tPvRmT3_T4_T5_T6_T7_T9_mT8_P12ihipStream_tbDpT10_ENKUlT_T0_E_clISt17integral_constantIbLb0EES15_IbLb1EEEEDaS11_S12_EUlS11_E_NS1_11comp_targetILNS1_3genE9ELNS1_11target_archE1100ELNS1_3gpuE3ELNS1_3repE0EEENS1_30default_config_static_selectorELNS0_4arch9wavefront6targetE1EEEvT1_: ; @_ZN7rocprim17ROCPRIM_400000_NS6detail17trampoline_kernelINS0_14default_configENS1_25partition_config_selectorILNS1_17partition_subalgoE0EyNS0_10empty_typeEbEEZZNS1_14partition_implILS5_0ELb0ES3_jN6thrust23THRUST_200600_302600_NS6detail15normal_iteratorINSA_10device_ptrIyEEEEPS6_SG_NS0_5tupleIJSF_SF_EEENSH_IJSG_SG_EEES6_PlJ7is_evenIyEEEE10hipError_tPvRmT3_T4_T5_T6_T7_T9_mT8_P12ihipStream_tbDpT10_ENKUlT_T0_E_clISt17integral_constantIbLb0EES15_IbLb1EEEEDaS11_S12_EUlS11_E_NS1_11comp_targetILNS1_3genE9ELNS1_11target_archE1100ELNS1_3gpuE3ELNS1_3repE0EEENS1_30default_config_static_selectorELNS0_4arch9wavefront6targetE1EEEvT1_
; %bb.0:
	.section	.rodata,"a",@progbits
	.p2align	6, 0x0
	.amdhsa_kernel _ZN7rocprim17ROCPRIM_400000_NS6detail17trampoline_kernelINS0_14default_configENS1_25partition_config_selectorILNS1_17partition_subalgoE0EyNS0_10empty_typeEbEEZZNS1_14partition_implILS5_0ELb0ES3_jN6thrust23THRUST_200600_302600_NS6detail15normal_iteratorINSA_10device_ptrIyEEEEPS6_SG_NS0_5tupleIJSF_SF_EEENSH_IJSG_SG_EEES6_PlJ7is_evenIyEEEE10hipError_tPvRmT3_T4_T5_T6_T7_T9_mT8_P12ihipStream_tbDpT10_ENKUlT_T0_E_clISt17integral_constantIbLb0EES15_IbLb1EEEEDaS11_S12_EUlS11_E_NS1_11comp_targetILNS1_3genE9ELNS1_11target_archE1100ELNS1_3gpuE3ELNS1_3repE0EEENS1_30default_config_static_selectorELNS0_4arch9wavefront6targetE1EEEvT1_
		.amdhsa_group_segment_fixed_size 0
		.amdhsa_private_segment_fixed_size 0
		.amdhsa_kernarg_size 136
		.amdhsa_user_sgpr_count 2
		.amdhsa_user_sgpr_dispatch_ptr 0
		.amdhsa_user_sgpr_queue_ptr 0
		.amdhsa_user_sgpr_kernarg_segment_ptr 1
		.amdhsa_user_sgpr_dispatch_id 0
		.amdhsa_user_sgpr_kernarg_preload_length 0
		.amdhsa_user_sgpr_kernarg_preload_offset 0
		.amdhsa_user_sgpr_private_segment_size 0
		.amdhsa_uses_dynamic_stack 0
		.amdhsa_enable_private_segment 0
		.amdhsa_system_sgpr_workgroup_id_x 1
		.amdhsa_system_sgpr_workgroup_id_y 0
		.amdhsa_system_sgpr_workgroup_id_z 0
		.amdhsa_system_sgpr_workgroup_info 0
		.amdhsa_system_vgpr_workitem_id 0
		.amdhsa_next_free_vgpr 1
		.amdhsa_next_free_sgpr 0
		.amdhsa_accum_offset 4
		.amdhsa_reserve_vcc 0
		.amdhsa_float_round_mode_32 0
		.amdhsa_float_round_mode_16_64 0
		.amdhsa_float_denorm_mode_32 3
		.amdhsa_float_denorm_mode_16_64 3
		.amdhsa_dx10_clamp 1
		.amdhsa_ieee_mode 1
		.amdhsa_fp16_overflow 0
		.amdhsa_tg_split 0
		.amdhsa_exception_fp_ieee_invalid_op 0
		.amdhsa_exception_fp_denorm_src 0
		.amdhsa_exception_fp_ieee_div_zero 0
		.amdhsa_exception_fp_ieee_overflow 0
		.amdhsa_exception_fp_ieee_underflow 0
		.amdhsa_exception_fp_ieee_inexact 0
		.amdhsa_exception_int_div_zero 0
	.end_amdhsa_kernel
	.section	.text._ZN7rocprim17ROCPRIM_400000_NS6detail17trampoline_kernelINS0_14default_configENS1_25partition_config_selectorILNS1_17partition_subalgoE0EyNS0_10empty_typeEbEEZZNS1_14partition_implILS5_0ELb0ES3_jN6thrust23THRUST_200600_302600_NS6detail15normal_iteratorINSA_10device_ptrIyEEEEPS6_SG_NS0_5tupleIJSF_SF_EEENSH_IJSG_SG_EEES6_PlJ7is_evenIyEEEE10hipError_tPvRmT3_T4_T5_T6_T7_T9_mT8_P12ihipStream_tbDpT10_ENKUlT_T0_E_clISt17integral_constantIbLb0EES15_IbLb1EEEEDaS11_S12_EUlS11_E_NS1_11comp_targetILNS1_3genE9ELNS1_11target_archE1100ELNS1_3gpuE3ELNS1_3repE0EEENS1_30default_config_static_selectorELNS0_4arch9wavefront6targetE1EEEvT1_,"axG",@progbits,_ZN7rocprim17ROCPRIM_400000_NS6detail17trampoline_kernelINS0_14default_configENS1_25partition_config_selectorILNS1_17partition_subalgoE0EyNS0_10empty_typeEbEEZZNS1_14partition_implILS5_0ELb0ES3_jN6thrust23THRUST_200600_302600_NS6detail15normal_iteratorINSA_10device_ptrIyEEEEPS6_SG_NS0_5tupleIJSF_SF_EEENSH_IJSG_SG_EEES6_PlJ7is_evenIyEEEE10hipError_tPvRmT3_T4_T5_T6_T7_T9_mT8_P12ihipStream_tbDpT10_ENKUlT_T0_E_clISt17integral_constantIbLb0EES15_IbLb1EEEEDaS11_S12_EUlS11_E_NS1_11comp_targetILNS1_3genE9ELNS1_11target_archE1100ELNS1_3gpuE3ELNS1_3repE0EEENS1_30default_config_static_selectorELNS0_4arch9wavefront6targetE1EEEvT1_,comdat
.Lfunc_end2134:
	.size	_ZN7rocprim17ROCPRIM_400000_NS6detail17trampoline_kernelINS0_14default_configENS1_25partition_config_selectorILNS1_17partition_subalgoE0EyNS0_10empty_typeEbEEZZNS1_14partition_implILS5_0ELb0ES3_jN6thrust23THRUST_200600_302600_NS6detail15normal_iteratorINSA_10device_ptrIyEEEEPS6_SG_NS0_5tupleIJSF_SF_EEENSH_IJSG_SG_EEES6_PlJ7is_evenIyEEEE10hipError_tPvRmT3_T4_T5_T6_T7_T9_mT8_P12ihipStream_tbDpT10_ENKUlT_T0_E_clISt17integral_constantIbLb0EES15_IbLb1EEEEDaS11_S12_EUlS11_E_NS1_11comp_targetILNS1_3genE9ELNS1_11target_archE1100ELNS1_3gpuE3ELNS1_3repE0EEENS1_30default_config_static_selectorELNS0_4arch9wavefront6targetE1EEEvT1_, .Lfunc_end2134-_ZN7rocprim17ROCPRIM_400000_NS6detail17trampoline_kernelINS0_14default_configENS1_25partition_config_selectorILNS1_17partition_subalgoE0EyNS0_10empty_typeEbEEZZNS1_14partition_implILS5_0ELb0ES3_jN6thrust23THRUST_200600_302600_NS6detail15normal_iteratorINSA_10device_ptrIyEEEEPS6_SG_NS0_5tupleIJSF_SF_EEENSH_IJSG_SG_EEES6_PlJ7is_evenIyEEEE10hipError_tPvRmT3_T4_T5_T6_T7_T9_mT8_P12ihipStream_tbDpT10_ENKUlT_T0_E_clISt17integral_constantIbLb0EES15_IbLb1EEEEDaS11_S12_EUlS11_E_NS1_11comp_targetILNS1_3genE9ELNS1_11target_archE1100ELNS1_3gpuE3ELNS1_3repE0EEENS1_30default_config_static_selectorELNS0_4arch9wavefront6targetE1EEEvT1_
                                        ; -- End function
	.section	.AMDGPU.csdata,"",@progbits
; Kernel info:
; codeLenInByte = 0
; NumSgprs: 6
; NumVgprs: 0
; NumAgprs: 0
; TotalNumVgprs: 0
; ScratchSize: 0
; MemoryBound: 0
; FloatMode: 240
; IeeeMode: 1
; LDSByteSize: 0 bytes/workgroup (compile time only)
; SGPRBlocks: 0
; VGPRBlocks: 0
; NumSGPRsForWavesPerEU: 6
; NumVGPRsForWavesPerEU: 1
; AccumOffset: 4
; Occupancy: 8
; WaveLimiterHint : 0
; COMPUTE_PGM_RSRC2:SCRATCH_EN: 0
; COMPUTE_PGM_RSRC2:USER_SGPR: 2
; COMPUTE_PGM_RSRC2:TRAP_HANDLER: 0
; COMPUTE_PGM_RSRC2:TGID_X_EN: 1
; COMPUTE_PGM_RSRC2:TGID_Y_EN: 0
; COMPUTE_PGM_RSRC2:TGID_Z_EN: 0
; COMPUTE_PGM_RSRC2:TIDIG_COMP_CNT: 0
; COMPUTE_PGM_RSRC3_GFX90A:ACCUM_OFFSET: 0
; COMPUTE_PGM_RSRC3_GFX90A:TG_SPLIT: 0
	.section	.text._ZN7rocprim17ROCPRIM_400000_NS6detail17trampoline_kernelINS0_14default_configENS1_25partition_config_selectorILNS1_17partition_subalgoE0EyNS0_10empty_typeEbEEZZNS1_14partition_implILS5_0ELb0ES3_jN6thrust23THRUST_200600_302600_NS6detail15normal_iteratorINSA_10device_ptrIyEEEEPS6_SG_NS0_5tupleIJSF_SF_EEENSH_IJSG_SG_EEES6_PlJ7is_evenIyEEEE10hipError_tPvRmT3_T4_T5_T6_T7_T9_mT8_P12ihipStream_tbDpT10_ENKUlT_T0_E_clISt17integral_constantIbLb0EES15_IbLb1EEEEDaS11_S12_EUlS11_E_NS1_11comp_targetILNS1_3genE8ELNS1_11target_archE1030ELNS1_3gpuE2ELNS1_3repE0EEENS1_30default_config_static_selectorELNS0_4arch9wavefront6targetE1EEEvT1_,"axG",@progbits,_ZN7rocprim17ROCPRIM_400000_NS6detail17trampoline_kernelINS0_14default_configENS1_25partition_config_selectorILNS1_17partition_subalgoE0EyNS0_10empty_typeEbEEZZNS1_14partition_implILS5_0ELb0ES3_jN6thrust23THRUST_200600_302600_NS6detail15normal_iteratorINSA_10device_ptrIyEEEEPS6_SG_NS0_5tupleIJSF_SF_EEENSH_IJSG_SG_EEES6_PlJ7is_evenIyEEEE10hipError_tPvRmT3_T4_T5_T6_T7_T9_mT8_P12ihipStream_tbDpT10_ENKUlT_T0_E_clISt17integral_constantIbLb0EES15_IbLb1EEEEDaS11_S12_EUlS11_E_NS1_11comp_targetILNS1_3genE8ELNS1_11target_archE1030ELNS1_3gpuE2ELNS1_3repE0EEENS1_30default_config_static_selectorELNS0_4arch9wavefront6targetE1EEEvT1_,comdat
	.protected	_ZN7rocprim17ROCPRIM_400000_NS6detail17trampoline_kernelINS0_14default_configENS1_25partition_config_selectorILNS1_17partition_subalgoE0EyNS0_10empty_typeEbEEZZNS1_14partition_implILS5_0ELb0ES3_jN6thrust23THRUST_200600_302600_NS6detail15normal_iteratorINSA_10device_ptrIyEEEEPS6_SG_NS0_5tupleIJSF_SF_EEENSH_IJSG_SG_EEES6_PlJ7is_evenIyEEEE10hipError_tPvRmT3_T4_T5_T6_T7_T9_mT8_P12ihipStream_tbDpT10_ENKUlT_T0_E_clISt17integral_constantIbLb0EES15_IbLb1EEEEDaS11_S12_EUlS11_E_NS1_11comp_targetILNS1_3genE8ELNS1_11target_archE1030ELNS1_3gpuE2ELNS1_3repE0EEENS1_30default_config_static_selectorELNS0_4arch9wavefront6targetE1EEEvT1_ ; -- Begin function _ZN7rocprim17ROCPRIM_400000_NS6detail17trampoline_kernelINS0_14default_configENS1_25partition_config_selectorILNS1_17partition_subalgoE0EyNS0_10empty_typeEbEEZZNS1_14partition_implILS5_0ELb0ES3_jN6thrust23THRUST_200600_302600_NS6detail15normal_iteratorINSA_10device_ptrIyEEEEPS6_SG_NS0_5tupleIJSF_SF_EEENSH_IJSG_SG_EEES6_PlJ7is_evenIyEEEE10hipError_tPvRmT3_T4_T5_T6_T7_T9_mT8_P12ihipStream_tbDpT10_ENKUlT_T0_E_clISt17integral_constantIbLb0EES15_IbLb1EEEEDaS11_S12_EUlS11_E_NS1_11comp_targetILNS1_3genE8ELNS1_11target_archE1030ELNS1_3gpuE2ELNS1_3repE0EEENS1_30default_config_static_selectorELNS0_4arch9wavefront6targetE1EEEvT1_
	.globl	_ZN7rocprim17ROCPRIM_400000_NS6detail17trampoline_kernelINS0_14default_configENS1_25partition_config_selectorILNS1_17partition_subalgoE0EyNS0_10empty_typeEbEEZZNS1_14partition_implILS5_0ELb0ES3_jN6thrust23THRUST_200600_302600_NS6detail15normal_iteratorINSA_10device_ptrIyEEEEPS6_SG_NS0_5tupleIJSF_SF_EEENSH_IJSG_SG_EEES6_PlJ7is_evenIyEEEE10hipError_tPvRmT3_T4_T5_T6_T7_T9_mT8_P12ihipStream_tbDpT10_ENKUlT_T0_E_clISt17integral_constantIbLb0EES15_IbLb1EEEEDaS11_S12_EUlS11_E_NS1_11comp_targetILNS1_3genE8ELNS1_11target_archE1030ELNS1_3gpuE2ELNS1_3repE0EEENS1_30default_config_static_selectorELNS0_4arch9wavefront6targetE1EEEvT1_
	.p2align	8
	.type	_ZN7rocprim17ROCPRIM_400000_NS6detail17trampoline_kernelINS0_14default_configENS1_25partition_config_selectorILNS1_17partition_subalgoE0EyNS0_10empty_typeEbEEZZNS1_14partition_implILS5_0ELb0ES3_jN6thrust23THRUST_200600_302600_NS6detail15normal_iteratorINSA_10device_ptrIyEEEEPS6_SG_NS0_5tupleIJSF_SF_EEENSH_IJSG_SG_EEES6_PlJ7is_evenIyEEEE10hipError_tPvRmT3_T4_T5_T6_T7_T9_mT8_P12ihipStream_tbDpT10_ENKUlT_T0_E_clISt17integral_constantIbLb0EES15_IbLb1EEEEDaS11_S12_EUlS11_E_NS1_11comp_targetILNS1_3genE8ELNS1_11target_archE1030ELNS1_3gpuE2ELNS1_3repE0EEENS1_30default_config_static_selectorELNS0_4arch9wavefront6targetE1EEEvT1_,@function
_ZN7rocprim17ROCPRIM_400000_NS6detail17trampoline_kernelINS0_14default_configENS1_25partition_config_selectorILNS1_17partition_subalgoE0EyNS0_10empty_typeEbEEZZNS1_14partition_implILS5_0ELb0ES3_jN6thrust23THRUST_200600_302600_NS6detail15normal_iteratorINSA_10device_ptrIyEEEEPS6_SG_NS0_5tupleIJSF_SF_EEENSH_IJSG_SG_EEES6_PlJ7is_evenIyEEEE10hipError_tPvRmT3_T4_T5_T6_T7_T9_mT8_P12ihipStream_tbDpT10_ENKUlT_T0_E_clISt17integral_constantIbLb0EES15_IbLb1EEEEDaS11_S12_EUlS11_E_NS1_11comp_targetILNS1_3genE8ELNS1_11target_archE1030ELNS1_3gpuE2ELNS1_3repE0EEENS1_30default_config_static_selectorELNS0_4arch9wavefront6targetE1EEEvT1_: ; @_ZN7rocprim17ROCPRIM_400000_NS6detail17trampoline_kernelINS0_14default_configENS1_25partition_config_selectorILNS1_17partition_subalgoE0EyNS0_10empty_typeEbEEZZNS1_14partition_implILS5_0ELb0ES3_jN6thrust23THRUST_200600_302600_NS6detail15normal_iteratorINSA_10device_ptrIyEEEEPS6_SG_NS0_5tupleIJSF_SF_EEENSH_IJSG_SG_EEES6_PlJ7is_evenIyEEEE10hipError_tPvRmT3_T4_T5_T6_T7_T9_mT8_P12ihipStream_tbDpT10_ENKUlT_T0_E_clISt17integral_constantIbLb0EES15_IbLb1EEEEDaS11_S12_EUlS11_E_NS1_11comp_targetILNS1_3genE8ELNS1_11target_archE1030ELNS1_3gpuE2ELNS1_3repE0EEENS1_30default_config_static_selectorELNS0_4arch9wavefront6targetE1EEEvT1_
; %bb.0:
	.section	.rodata,"a",@progbits
	.p2align	6, 0x0
	.amdhsa_kernel _ZN7rocprim17ROCPRIM_400000_NS6detail17trampoline_kernelINS0_14default_configENS1_25partition_config_selectorILNS1_17partition_subalgoE0EyNS0_10empty_typeEbEEZZNS1_14partition_implILS5_0ELb0ES3_jN6thrust23THRUST_200600_302600_NS6detail15normal_iteratorINSA_10device_ptrIyEEEEPS6_SG_NS0_5tupleIJSF_SF_EEENSH_IJSG_SG_EEES6_PlJ7is_evenIyEEEE10hipError_tPvRmT3_T4_T5_T6_T7_T9_mT8_P12ihipStream_tbDpT10_ENKUlT_T0_E_clISt17integral_constantIbLb0EES15_IbLb1EEEEDaS11_S12_EUlS11_E_NS1_11comp_targetILNS1_3genE8ELNS1_11target_archE1030ELNS1_3gpuE2ELNS1_3repE0EEENS1_30default_config_static_selectorELNS0_4arch9wavefront6targetE1EEEvT1_
		.amdhsa_group_segment_fixed_size 0
		.amdhsa_private_segment_fixed_size 0
		.amdhsa_kernarg_size 136
		.amdhsa_user_sgpr_count 2
		.amdhsa_user_sgpr_dispatch_ptr 0
		.amdhsa_user_sgpr_queue_ptr 0
		.amdhsa_user_sgpr_kernarg_segment_ptr 1
		.amdhsa_user_sgpr_dispatch_id 0
		.amdhsa_user_sgpr_kernarg_preload_length 0
		.amdhsa_user_sgpr_kernarg_preload_offset 0
		.amdhsa_user_sgpr_private_segment_size 0
		.amdhsa_uses_dynamic_stack 0
		.amdhsa_enable_private_segment 0
		.amdhsa_system_sgpr_workgroup_id_x 1
		.amdhsa_system_sgpr_workgroup_id_y 0
		.amdhsa_system_sgpr_workgroup_id_z 0
		.amdhsa_system_sgpr_workgroup_info 0
		.amdhsa_system_vgpr_workitem_id 0
		.amdhsa_next_free_vgpr 1
		.amdhsa_next_free_sgpr 0
		.amdhsa_accum_offset 4
		.amdhsa_reserve_vcc 0
		.amdhsa_float_round_mode_32 0
		.amdhsa_float_round_mode_16_64 0
		.amdhsa_float_denorm_mode_32 3
		.amdhsa_float_denorm_mode_16_64 3
		.amdhsa_dx10_clamp 1
		.amdhsa_ieee_mode 1
		.amdhsa_fp16_overflow 0
		.amdhsa_tg_split 0
		.amdhsa_exception_fp_ieee_invalid_op 0
		.amdhsa_exception_fp_denorm_src 0
		.amdhsa_exception_fp_ieee_div_zero 0
		.amdhsa_exception_fp_ieee_overflow 0
		.amdhsa_exception_fp_ieee_underflow 0
		.amdhsa_exception_fp_ieee_inexact 0
		.amdhsa_exception_int_div_zero 0
	.end_amdhsa_kernel
	.section	.text._ZN7rocprim17ROCPRIM_400000_NS6detail17trampoline_kernelINS0_14default_configENS1_25partition_config_selectorILNS1_17partition_subalgoE0EyNS0_10empty_typeEbEEZZNS1_14partition_implILS5_0ELb0ES3_jN6thrust23THRUST_200600_302600_NS6detail15normal_iteratorINSA_10device_ptrIyEEEEPS6_SG_NS0_5tupleIJSF_SF_EEENSH_IJSG_SG_EEES6_PlJ7is_evenIyEEEE10hipError_tPvRmT3_T4_T5_T6_T7_T9_mT8_P12ihipStream_tbDpT10_ENKUlT_T0_E_clISt17integral_constantIbLb0EES15_IbLb1EEEEDaS11_S12_EUlS11_E_NS1_11comp_targetILNS1_3genE8ELNS1_11target_archE1030ELNS1_3gpuE2ELNS1_3repE0EEENS1_30default_config_static_selectorELNS0_4arch9wavefront6targetE1EEEvT1_,"axG",@progbits,_ZN7rocprim17ROCPRIM_400000_NS6detail17trampoline_kernelINS0_14default_configENS1_25partition_config_selectorILNS1_17partition_subalgoE0EyNS0_10empty_typeEbEEZZNS1_14partition_implILS5_0ELb0ES3_jN6thrust23THRUST_200600_302600_NS6detail15normal_iteratorINSA_10device_ptrIyEEEEPS6_SG_NS0_5tupleIJSF_SF_EEENSH_IJSG_SG_EEES6_PlJ7is_evenIyEEEE10hipError_tPvRmT3_T4_T5_T6_T7_T9_mT8_P12ihipStream_tbDpT10_ENKUlT_T0_E_clISt17integral_constantIbLb0EES15_IbLb1EEEEDaS11_S12_EUlS11_E_NS1_11comp_targetILNS1_3genE8ELNS1_11target_archE1030ELNS1_3gpuE2ELNS1_3repE0EEENS1_30default_config_static_selectorELNS0_4arch9wavefront6targetE1EEEvT1_,comdat
.Lfunc_end2135:
	.size	_ZN7rocprim17ROCPRIM_400000_NS6detail17trampoline_kernelINS0_14default_configENS1_25partition_config_selectorILNS1_17partition_subalgoE0EyNS0_10empty_typeEbEEZZNS1_14partition_implILS5_0ELb0ES3_jN6thrust23THRUST_200600_302600_NS6detail15normal_iteratorINSA_10device_ptrIyEEEEPS6_SG_NS0_5tupleIJSF_SF_EEENSH_IJSG_SG_EEES6_PlJ7is_evenIyEEEE10hipError_tPvRmT3_T4_T5_T6_T7_T9_mT8_P12ihipStream_tbDpT10_ENKUlT_T0_E_clISt17integral_constantIbLb0EES15_IbLb1EEEEDaS11_S12_EUlS11_E_NS1_11comp_targetILNS1_3genE8ELNS1_11target_archE1030ELNS1_3gpuE2ELNS1_3repE0EEENS1_30default_config_static_selectorELNS0_4arch9wavefront6targetE1EEEvT1_, .Lfunc_end2135-_ZN7rocprim17ROCPRIM_400000_NS6detail17trampoline_kernelINS0_14default_configENS1_25partition_config_selectorILNS1_17partition_subalgoE0EyNS0_10empty_typeEbEEZZNS1_14partition_implILS5_0ELb0ES3_jN6thrust23THRUST_200600_302600_NS6detail15normal_iteratorINSA_10device_ptrIyEEEEPS6_SG_NS0_5tupleIJSF_SF_EEENSH_IJSG_SG_EEES6_PlJ7is_evenIyEEEE10hipError_tPvRmT3_T4_T5_T6_T7_T9_mT8_P12ihipStream_tbDpT10_ENKUlT_T0_E_clISt17integral_constantIbLb0EES15_IbLb1EEEEDaS11_S12_EUlS11_E_NS1_11comp_targetILNS1_3genE8ELNS1_11target_archE1030ELNS1_3gpuE2ELNS1_3repE0EEENS1_30default_config_static_selectorELNS0_4arch9wavefront6targetE1EEEvT1_
                                        ; -- End function
	.section	.AMDGPU.csdata,"",@progbits
; Kernel info:
; codeLenInByte = 0
; NumSgprs: 6
; NumVgprs: 0
; NumAgprs: 0
; TotalNumVgprs: 0
; ScratchSize: 0
; MemoryBound: 0
; FloatMode: 240
; IeeeMode: 1
; LDSByteSize: 0 bytes/workgroup (compile time only)
; SGPRBlocks: 0
; VGPRBlocks: 0
; NumSGPRsForWavesPerEU: 6
; NumVGPRsForWavesPerEU: 1
; AccumOffset: 4
; Occupancy: 8
; WaveLimiterHint : 0
; COMPUTE_PGM_RSRC2:SCRATCH_EN: 0
; COMPUTE_PGM_RSRC2:USER_SGPR: 2
; COMPUTE_PGM_RSRC2:TRAP_HANDLER: 0
; COMPUTE_PGM_RSRC2:TGID_X_EN: 1
; COMPUTE_PGM_RSRC2:TGID_Y_EN: 0
; COMPUTE_PGM_RSRC2:TGID_Z_EN: 0
; COMPUTE_PGM_RSRC2:TIDIG_COMP_CNT: 0
; COMPUTE_PGM_RSRC3_GFX90A:ACCUM_OFFSET: 0
; COMPUTE_PGM_RSRC3_GFX90A:TG_SPLIT: 0
	.section	.text._ZN6thrust23THRUST_200600_302600_NS11hip_rocprim14__parallel_for6kernelILj256ENS1_20__uninitialized_fill7functorINS0_10device_ptrIjEEjEEmLj1EEEvT0_T1_SA_,"axG",@progbits,_ZN6thrust23THRUST_200600_302600_NS11hip_rocprim14__parallel_for6kernelILj256ENS1_20__uninitialized_fill7functorINS0_10device_ptrIjEEjEEmLj1EEEvT0_T1_SA_,comdat
	.protected	_ZN6thrust23THRUST_200600_302600_NS11hip_rocprim14__parallel_for6kernelILj256ENS1_20__uninitialized_fill7functorINS0_10device_ptrIjEEjEEmLj1EEEvT0_T1_SA_ ; -- Begin function _ZN6thrust23THRUST_200600_302600_NS11hip_rocprim14__parallel_for6kernelILj256ENS1_20__uninitialized_fill7functorINS0_10device_ptrIjEEjEEmLj1EEEvT0_T1_SA_
	.globl	_ZN6thrust23THRUST_200600_302600_NS11hip_rocprim14__parallel_for6kernelILj256ENS1_20__uninitialized_fill7functorINS0_10device_ptrIjEEjEEmLj1EEEvT0_T1_SA_
	.p2align	8
	.type	_ZN6thrust23THRUST_200600_302600_NS11hip_rocprim14__parallel_for6kernelILj256ENS1_20__uninitialized_fill7functorINS0_10device_ptrIjEEjEEmLj1EEEvT0_T1_SA_,@function
_ZN6thrust23THRUST_200600_302600_NS11hip_rocprim14__parallel_for6kernelILj256ENS1_20__uninitialized_fill7functorINS0_10device_ptrIjEEjEEmLj1EEEvT0_T1_SA_: ; @_ZN6thrust23THRUST_200600_302600_NS11hip_rocprim14__parallel_for6kernelILj256ENS1_20__uninitialized_fill7functorINS0_10device_ptrIjEEjEEmLj1EEEvT0_T1_SA_
; %bb.0:
	s_load_dwordx4 s[4:7], s[0:1], 0x10
	s_lshl_b32 s2, s2, 8
	v_mov_b64_e32 v[2:3], 0x100
	s_waitcnt lgkmcnt(0)
	s_add_u32 s2, s2, s6
	s_addc_u32 s3, 0, s7
	s_sub_u32 s4, s4, s2
	s_subb_u32 s5, s5, s3
	v_cmp_lt_u64_e32 vcc, s[4:5], v[2:3]
	s_cbranch_vccz .LBB2136_2
; %bb.1:
	v_cmp_gt_u32_e32 vcc, s4, v0
	s_and_b64 s[4:5], vcc, exec
	s_cbranch_execz .LBB2136_3
	s_branch .LBB2136_4
.LBB2136_2:
	s_mov_b64 s[4:5], 0
.LBB2136_3:
	s_or_b64 s[4:5], s[4:5], exec
.LBB2136_4:
	s_and_saveexec_b64 s[6:7], s[4:5]
	s_cbranch_execnz .LBB2136_6
; %bb.5:
	s_endpgm
.LBB2136_6:
	s_load_dwordx2 s[4:5], s[0:1], 0x0
	s_load_dword s6, s[0:1], 0x8
	s_lshl_b64 s[0:1], s[2:3], 2
	v_mov_b32_e32 v1, 0
	s_waitcnt lgkmcnt(0)
	s_add_u32 s0, s4, s0
	s_addc_u32 s1, s5, s1
	v_lshl_add_u64 v[0:1], v[0:1], 2, s[0:1]
	v_mov_b32_e32 v2, s6
	flat_store_dword v[0:1], v2
	s_endpgm
	.section	.rodata,"a",@progbits
	.p2align	6, 0x0
	.amdhsa_kernel _ZN6thrust23THRUST_200600_302600_NS11hip_rocprim14__parallel_for6kernelILj256ENS1_20__uninitialized_fill7functorINS0_10device_ptrIjEEjEEmLj1EEEvT0_T1_SA_
		.amdhsa_group_segment_fixed_size 0
		.amdhsa_private_segment_fixed_size 0
		.amdhsa_kernarg_size 32
		.amdhsa_user_sgpr_count 2
		.amdhsa_user_sgpr_dispatch_ptr 0
		.amdhsa_user_sgpr_queue_ptr 0
		.amdhsa_user_sgpr_kernarg_segment_ptr 1
		.amdhsa_user_sgpr_dispatch_id 0
		.amdhsa_user_sgpr_kernarg_preload_length 0
		.amdhsa_user_sgpr_kernarg_preload_offset 0
		.amdhsa_user_sgpr_private_segment_size 0
		.amdhsa_uses_dynamic_stack 0
		.amdhsa_enable_private_segment 0
		.amdhsa_system_sgpr_workgroup_id_x 1
		.amdhsa_system_sgpr_workgroup_id_y 0
		.amdhsa_system_sgpr_workgroup_id_z 0
		.amdhsa_system_sgpr_workgroup_info 0
		.amdhsa_system_vgpr_workitem_id 0
		.amdhsa_next_free_vgpr 4
		.amdhsa_next_free_sgpr 8
		.amdhsa_accum_offset 4
		.amdhsa_reserve_vcc 1
		.amdhsa_float_round_mode_32 0
		.amdhsa_float_round_mode_16_64 0
		.amdhsa_float_denorm_mode_32 3
		.amdhsa_float_denorm_mode_16_64 3
		.amdhsa_dx10_clamp 1
		.amdhsa_ieee_mode 1
		.amdhsa_fp16_overflow 0
		.amdhsa_tg_split 0
		.amdhsa_exception_fp_ieee_invalid_op 0
		.amdhsa_exception_fp_denorm_src 0
		.amdhsa_exception_fp_ieee_div_zero 0
		.amdhsa_exception_fp_ieee_overflow 0
		.amdhsa_exception_fp_ieee_underflow 0
		.amdhsa_exception_fp_ieee_inexact 0
		.amdhsa_exception_int_div_zero 0
	.end_amdhsa_kernel
	.section	.text._ZN6thrust23THRUST_200600_302600_NS11hip_rocprim14__parallel_for6kernelILj256ENS1_20__uninitialized_fill7functorINS0_10device_ptrIjEEjEEmLj1EEEvT0_T1_SA_,"axG",@progbits,_ZN6thrust23THRUST_200600_302600_NS11hip_rocprim14__parallel_for6kernelILj256ENS1_20__uninitialized_fill7functorINS0_10device_ptrIjEEjEEmLj1EEEvT0_T1_SA_,comdat
.Lfunc_end2136:
	.size	_ZN6thrust23THRUST_200600_302600_NS11hip_rocprim14__parallel_for6kernelILj256ENS1_20__uninitialized_fill7functorINS0_10device_ptrIjEEjEEmLj1EEEvT0_T1_SA_, .Lfunc_end2136-_ZN6thrust23THRUST_200600_302600_NS11hip_rocprim14__parallel_for6kernelILj256ENS1_20__uninitialized_fill7functorINS0_10device_ptrIjEEjEEmLj1EEEvT0_T1_SA_
                                        ; -- End function
	.section	.AMDGPU.csdata,"",@progbits
; Kernel info:
; codeLenInByte = 144
; NumSgprs: 14
; NumVgprs: 4
; NumAgprs: 0
; TotalNumVgprs: 4
; ScratchSize: 0
; MemoryBound: 0
; FloatMode: 240
; IeeeMode: 1
; LDSByteSize: 0 bytes/workgroup (compile time only)
; SGPRBlocks: 1
; VGPRBlocks: 0
; NumSGPRsForWavesPerEU: 14
; NumVGPRsForWavesPerEU: 4
; AccumOffset: 4
; Occupancy: 8
; WaveLimiterHint : 0
; COMPUTE_PGM_RSRC2:SCRATCH_EN: 0
; COMPUTE_PGM_RSRC2:USER_SGPR: 2
; COMPUTE_PGM_RSRC2:TRAP_HANDLER: 0
; COMPUTE_PGM_RSRC2:TGID_X_EN: 1
; COMPUTE_PGM_RSRC2:TGID_Y_EN: 0
; COMPUTE_PGM_RSRC2:TGID_Z_EN: 0
; COMPUTE_PGM_RSRC2:TIDIG_COMP_CNT: 0
; COMPUTE_PGM_RSRC3_GFX90A:ACCUM_OFFSET: 0
; COMPUTE_PGM_RSRC3_GFX90A:TG_SPLIT: 0
	.section	.text._ZN7rocprim17ROCPRIM_400000_NS6detail17trampoline_kernelINS0_14default_configENS1_25partition_config_selectorILNS1_17partition_subalgoE0EjNS0_10empty_typeEbEEZZNS1_14partition_implILS5_0ELb0ES3_jN6thrust23THRUST_200600_302600_NS6detail15normal_iteratorINSA_10device_ptrIjEEEEPS6_SG_NS0_5tupleIJSF_SF_EEENSH_IJSG_SG_EEES6_PlJ7is_evenIjEEEE10hipError_tPvRmT3_T4_T5_T6_T7_T9_mT8_P12ihipStream_tbDpT10_ENKUlT_T0_E_clISt17integral_constantIbLb0EES16_EEDaS11_S12_EUlS11_E_NS1_11comp_targetILNS1_3genE0ELNS1_11target_archE4294967295ELNS1_3gpuE0ELNS1_3repE0EEENS1_30default_config_static_selectorELNS0_4arch9wavefront6targetE1EEEvT1_,"axG",@progbits,_ZN7rocprim17ROCPRIM_400000_NS6detail17trampoline_kernelINS0_14default_configENS1_25partition_config_selectorILNS1_17partition_subalgoE0EjNS0_10empty_typeEbEEZZNS1_14partition_implILS5_0ELb0ES3_jN6thrust23THRUST_200600_302600_NS6detail15normal_iteratorINSA_10device_ptrIjEEEEPS6_SG_NS0_5tupleIJSF_SF_EEENSH_IJSG_SG_EEES6_PlJ7is_evenIjEEEE10hipError_tPvRmT3_T4_T5_T6_T7_T9_mT8_P12ihipStream_tbDpT10_ENKUlT_T0_E_clISt17integral_constantIbLb0EES16_EEDaS11_S12_EUlS11_E_NS1_11comp_targetILNS1_3genE0ELNS1_11target_archE4294967295ELNS1_3gpuE0ELNS1_3repE0EEENS1_30default_config_static_selectorELNS0_4arch9wavefront6targetE1EEEvT1_,comdat
	.protected	_ZN7rocprim17ROCPRIM_400000_NS6detail17trampoline_kernelINS0_14default_configENS1_25partition_config_selectorILNS1_17partition_subalgoE0EjNS0_10empty_typeEbEEZZNS1_14partition_implILS5_0ELb0ES3_jN6thrust23THRUST_200600_302600_NS6detail15normal_iteratorINSA_10device_ptrIjEEEEPS6_SG_NS0_5tupleIJSF_SF_EEENSH_IJSG_SG_EEES6_PlJ7is_evenIjEEEE10hipError_tPvRmT3_T4_T5_T6_T7_T9_mT8_P12ihipStream_tbDpT10_ENKUlT_T0_E_clISt17integral_constantIbLb0EES16_EEDaS11_S12_EUlS11_E_NS1_11comp_targetILNS1_3genE0ELNS1_11target_archE4294967295ELNS1_3gpuE0ELNS1_3repE0EEENS1_30default_config_static_selectorELNS0_4arch9wavefront6targetE1EEEvT1_ ; -- Begin function _ZN7rocprim17ROCPRIM_400000_NS6detail17trampoline_kernelINS0_14default_configENS1_25partition_config_selectorILNS1_17partition_subalgoE0EjNS0_10empty_typeEbEEZZNS1_14partition_implILS5_0ELb0ES3_jN6thrust23THRUST_200600_302600_NS6detail15normal_iteratorINSA_10device_ptrIjEEEEPS6_SG_NS0_5tupleIJSF_SF_EEENSH_IJSG_SG_EEES6_PlJ7is_evenIjEEEE10hipError_tPvRmT3_T4_T5_T6_T7_T9_mT8_P12ihipStream_tbDpT10_ENKUlT_T0_E_clISt17integral_constantIbLb0EES16_EEDaS11_S12_EUlS11_E_NS1_11comp_targetILNS1_3genE0ELNS1_11target_archE4294967295ELNS1_3gpuE0ELNS1_3repE0EEENS1_30default_config_static_selectorELNS0_4arch9wavefront6targetE1EEEvT1_
	.globl	_ZN7rocprim17ROCPRIM_400000_NS6detail17trampoline_kernelINS0_14default_configENS1_25partition_config_selectorILNS1_17partition_subalgoE0EjNS0_10empty_typeEbEEZZNS1_14partition_implILS5_0ELb0ES3_jN6thrust23THRUST_200600_302600_NS6detail15normal_iteratorINSA_10device_ptrIjEEEEPS6_SG_NS0_5tupleIJSF_SF_EEENSH_IJSG_SG_EEES6_PlJ7is_evenIjEEEE10hipError_tPvRmT3_T4_T5_T6_T7_T9_mT8_P12ihipStream_tbDpT10_ENKUlT_T0_E_clISt17integral_constantIbLb0EES16_EEDaS11_S12_EUlS11_E_NS1_11comp_targetILNS1_3genE0ELNS1_11target_archE4294967295ELNS1_3gpuE0ELNS1_3repE0EEENS1_30default_config_static_selectorELNS0_4arch9wavefront6targetE1EEEvT1_
	.p2align	8
	.type	_ZN7rocprim17ROCPRIM_400000_NS6detail17trampoline_kernelINS0_14default_configENS1_25partition_config_selectorILNS1_17partition_subalgoE0EjNS0_10empty_typeEbEEZZNS1_14partition_implILS5_0ELb0ES3_jN6thrust23THRUST_200600_302600_NS6detail15normal_iteratorINSA_10device_ptrIjEEEEPS6_SG_NS0_5tupleIJSF_SF_EEENSH_IJSG_SG_EEES6_PlJ7is_evenIjEEEE10hipError_tPvRmT3_T4_T5_T6_T7_T9_mT8_P12ihipStream_tbDpT10_ENKUlT_T0_E_clISt17integral_constantIbLb0EES16_EEDaS11_S12_EUlS11_E_NS1_11comp_targetILNS1_3genE0ELNS1_11target_archE4294967295ELNS1_3gpuE0ELNS1_3repE0EEENS1_30default_config_static_selectorELNS0_4arch9wavefront6targetE1EEEvT1_,@function
_ZN7rocprim17ROCPRIM_400000_NS6detail17trampoline_kernelINS0_14default_configENS1_25partition_config_selectorILNS1_17partition_subalgoE0EjNS0_10empty_typeEbEEZZNS1_14partition_implILS5_0ELb0ES3_jN6thrust23THRUST_200600_302600_NS6detail15normal_iteratorINSA_10device_ptrIjEEEEPS6_SG_NS0_5tupleIJSF_SF_EEENSH_IJSG_SG_EEES6_PlJ7is_evenIjEEEE10hipError_tPvRmT3_T4_T5_T6_T7_T9_mT8_P12ihipStream_tbDpT10_ENKUlT_T0_E_clISt17integral_constantIbLb0EES16_EEDaS11_S12_EUlS11_E_NS1_11comp_targetILNS1_3genE0ELNS1_11target_archE4294967295ELNS1_3gpuE0ELNS1_3repE0EEENS1_30default_config_static_selectorELNS0_4arch9wavefront6targetE1EEEvT1_: ; @_ZN7rocprim17ROCPRIM_400000_NS6detail17trampoline_kernelINS0_14default_configENS1_25partition_config_selectorILNS1_17partition_subalgoE0EjNS0_10empty_typeEbEEZZNS1_14partition_implILS5_0ELb0ES3_jN6thrust23THRUST_200600_302600_NS6detail15normal_iteratorINSA_10device_ptrIjEEEEPS6_SG_NS0_5tupleIJSF_SF_EEENSH_IJSG_SG_EEES6_PlJ7is_evenIjEEEE10hipError_tPvRmT3_T4_T5_T6_T7_T9_mT8_P12ihipStream_tbDpT10_ENKUlT_T0_E_clISt17integral_constantIbLb0EES16_EEDaS11_S12_EUlS11_E_NS1_11comp_targetILNS1_3genE0ELNS1_11target_archE4294967295ELNS1_3gpuE0ELNS1_3repE0EEENS1_30default_config_static_selectorELNS0_4arch9wavefront6targetE1EEEvT1_
; %bb.0:
	.section	.rodata,"a",@progbits
	.p2align	6, 0x0
	.amdhsa_kernel _ZN7rocprim17ROCPRIM_400000_NS6detail17trampoline_kernelINS0_14default_configENS1_25partition_config_selectorILNS1_17partition_subalgoE0EjNS0_10empty_typeEbEEZZNS1_14partition_implILS5_0ELb0ES3_jN6thrust23THRUST_200600_302600_NS6detail15normal_iteratorINSA_10device_ptrIjEEEEPS6_SG_NS0_5tupleIJSF_SF_EEENSH_IJSG_SG_EEES6_PlJ7is_evenIjEEEE10hipError_tPvRmT3_T4_T5_T6_T7_T9_mT8_P12ihipStream_tbDpT10_ENKUlT_T0_E_clISt17integral_constantIbLb0EES16_EEDaS11_S12_EUlS11_E_NS1_11comp_targetILNS1_3genE0ELNS1_11target_archE4294967295ELNS1_3gpuE0ELNS1_3repE0EEENS1_30default_config_static_selectorELNS0_4arch9wavefront6targetE1EEEvT1_
		.amdhsa_group_segment_fixed_size 0
		.amdhsa_private_segment_fixed_size 0
		.amdhsa_kernarg_size 120
		.amdhsa_user_sgpr_count 2
		.amdhsa_user_sgpr_dispatch_ptr 0
		.amdhsa_user_sgpr_queue_ptr 0
		.amdhsa_user_sgpr_kernarg_segment_ptr 1
		.amdhsa_user_sgpr_dispatch_id 0
		.amdhsa_user_sgpr_kernarg_preload_length 0
		.amdhsa_user_sgpr_kernarg_preload_offset 0
		.amdhsa_user_sgpr_private_segment_size 0
		.amdhsa_uses_dynamic_stack 0
		.amdhsa_enable_private_segment 0
		.amdhsa_system_sgpr_workgroup_id_x 1
		.amdhsa_system_sgpr_workgroup_id_y 0
		.amdhsa_system_sgpr_workgroup_id_z 0
		.amdhsa_system_sgpr_workgroup_info 0
		.amdhsa_system_vgpr_workitem_id 0
		.amdhsa_next_free_vgpr 1
		.amdhsa_next_free_sgpr 0
		.amdhsa_accum_offset 4
		.amdhsa_reserve_vcc 0
		.amdhsa_float_round_mode_32 0
		.amdhsa_float_round_mode_16_64 0
		.amdhsa_float_denorm_mode_32 3
		.amdhsa_float_denorm_mode_16_64 3
		.amdhsa_dx10_clamp 1
		.amdhsa_ieee_mode 1
		.amdhsa_fp16_overflow 0
		.amdhsa_tg_split 0
		.amdhsa_exception_fp_ieee_invalid_op 0
		.amdhsa_exception_fp_denorm_src 0
		.amdhsa_exception_fp_ieee_div_zero 0
		.amdhsa_exception_fp_ieee_overflow 0
		.amdhsa_exception_fp_ieee_underflow 0
		.amdhsa_exception_fp_ieee_inexact 0
		.amdhsa_exception_int_div_zero 0
	.end_amdhsa_kernel
	.section	.text._ZN7rocprim17ROCPRIM_400000_NS6detail17trampoline_kernelINS0_14default_configENS1_25partition_config_selectorILNS1_17partition_subalgoE0EjNS0_10empty_typeEbEEZZNS1_14partition_implILS5_0ELb0ES3_jN6thrust23THRUST_200600_302600_NS6detail15normal_iteratorINSA_10device_ptrIjEEEEPS6_SG_NS0_5tupleIJSF_SF_EEENSH_IJSG_SG_EEES6_PlJ7is_evenIjEEEE10hipError_tPvRmT3_T4_T5_T6_T7_T9_mT8_P12ihipStream_tbDpT10_ENKUlT_T0_E_clISt17integral_constantIbLb0EES16_EEDaS11_S12_EUlS11_E_NS1_11comp_targetILNS1_3genE0ELNS1_11target_archE4294967295ELNS1_3gpuE0ELNS1_3repE0EEENS1_30default_config_static_selectorELNS0_4arch9wavefront6targetE1EEEvT1_,"axG",@progbits,_ZN7rocprim17ROCPRIM_400000_NS6detail17trampoline_kernelINS0_14default_configENS1_25partition_config_selectorILNS1_17partition_subalgoE0EjNS0_10empty_typeEbEEZZNS1_14partition_implILS5_0ELb0ES3_jN6thrust23THRUST_200600_302600_NS6detail15normal_iteratorINSA_10device_ptrIjEEEEPS6_SG_NS0_5tupleIJSF_SF_EEENSH_IJSG_SG_EEES6_PlJ7is_evenIjEEEE10hipError_tPvRmT3_T4_T5_T6_T7_T9_mT8_P12ihipStream_tbDpT10_ENKUlT_T0_E_clISt17integral_constantIbLb0EES16_EEDaS11_S12_EUlS11_E_NS1_11comp_targetILNS1_3genE0ELNS1_11target_archE4294967295ELNS1_3gpuE0ELNS1_3repE0EEENS1_30default_config_static_selectorELNS0_4arch9wavefront6targetE1EEEvT1_,comdat
.Lfunc_end2137:
	.size	_ZN7rocprim17ROCPRIM_400000_NS6detail17trampoline_kernelINS0_14default_configENS1_25partition_config_selectorILNS1_17partition_subalgoE0EjNS0_10empty_typeEbEEZZNS1_14partition_implILS5_0ELb0ES3_jN6thrust23THRUST_200600_302600_NS6detail15normal_iteratorINSA_10device_ptrIjEEEEPS6_SG_NS0_5tupleIJSF_SF_EEENSH_IJSG_SG_EEES6_PlJ7is_evenIjEEEE10hipError_tPvRmT3_T4_T5_T6_T7_T9_mT8_P12ihipStream_tbDpT10_ENKUlT_T0_E_clISt17integral_constantIbLb0EES16_EEDaS11_S12_EUlS11_E_NS1_11comp_targetILNS1_3genE0ELNS1_11target_archE4294967295ELNS1_3gpuE0ELNS1_3repE0EEENS1_30default_config_static_selectorELNS0_4arch9wavefront6targetE1EEEvT1_, .Lfunc_end2137-_ZN7rocprim17ROCPRIM_400000_NS6detail17trampoline_kernelINS0_14default_configENS1_25partition_config_selectorILNS1_17partition_subalgoE0EjNS0_10empty_typeEbEEZZNS1_14partition_implILS5_0ELb0ES3_jN6thrust23THRUST_200600_302600_NS6detail15normal_iteratorINSA_10device_ptrIjEEEEPS6_SG_NS0_5tupleIJSF_SF_EEENSH_IJSG_SG_EEES6_PlJ7is_evenIjEEEE10hipError_tPvRmT3_T4_T5_T6_T7_T9_mT8_P12ihipStream_tbDpT10_ENKUlT_T0_E_clISt17integral_constantIbLb0EES16_EEDaS11_S12_EUlS11_E_NS1_11comp_targetILNS1_3genE0ELNS1_11target_archE4294967295ELNS1_3gpuE0ELNS1_3repE0EEENS1_30default_config_static_selectorELNS0_4arch9wavefront6targetE1EEEvT1_
                                        ; -- End function
	.section	.AMDGPU.csdata,"",@progbits
; Kernel info:
; codeLenInByte = 0
; NumSgprs: 6
; NumVgprs: 0
; NumAgprs: 0
; TotalNumVgprs: 0
; ScratchSize: 0
; MemoryBound: 0
; FloatMode: 240
; IeeeMode: 1
; LDSByteSize: 0 bytes/workgroup (compile time only)
; SGPRBlocks: 0
; VGPRBlocks: 0
; NumSGPRsForWavesPerEU: 6
; NumVGPRsForWavesPerEU: 1
; AccumOffset: 4
; Occupancy: 8
; WaveLimiterHint : 0
; COMPUTE_PGM_RSRC2:SCRATCH_EN: 0
; COMPUTE_PGM_RSRC2:USER_SGPR: 2
; COMPUTE_PGM_RSRC2:TRAP_HANDLER: 0
; COMPUTE_PGM_RSRC2:TGID_X_EN: 1
; COMPUTE_PGM_RSRC2:TGID_Y_EN: 0
; COMPUTE_PGM_RSRC2:TGID_Z_EN: 0
; COMPUTE_PGM_RSRC2:TIDIG_COMP_CNT: 0
; COMPUTE_PGM_RSRC3_GFX90A:ACCUM_OFFSET: 0
; COMPUTE_PGM_RSRC3_GFX90A:TG_SPLIT: 0
	.section	.text._ZN7rocprim17ROCPRIM_400000_NS6detail17trampoline_kernelINS0_14default_configENS1_25partition_config_selectorILNS1_17partition_subalgoE0EjNS0_10empty_typeEbEEZZNS1_14partition_implILS5_0ELb0ES3_jN6thrust23THRUST_200600_302600_NS6detail15normal_iteratorINSA_10device_ptrIjEEEEPS6_SG_NS0_5tupleIJSF_SF_EEENSH_IJSG_SG_EEES6_PlJ7is_evenIjEEEE10hipError_tPvRmT3_T4_T5_T6_T7_T9_mT8_P12ihipStream_tbDpT10_ENKUlT_T0_E_clISt17integral_constantIbLb0EES16_EEDaS11_S12_EUlS11_E_NS1_11comp_targetILNS1_3genE5ELNS1_11target_archE942ELNS1_3gpuE9ELNS1_3repE0EEENS1_30default_config_static_selectorELNS0_4arch9wavefront6targetE1EEEvT1_,"axG",@progbits,_ZN7rocprim17ROCPRIM_400000_NS6detail17trampoline_kernelINS0_14default_configENS1_25partition_config_selectorILNS1_17partition_subalgoE0EjNS0_10empty_typeEbEEZZNS1_14partition_implILS5_0ELb0ES3_jN6thrust23THRUST_200600_302600_NS6detail15normal_iteratorINSA_10device_ptrIjEEEEPS6_SG_NS0_5tupleIJSF_SF_EEENSH_IJSG_SG_EEES6_PlJ7is_evenIjEEEE10hipError_tPvRmT3_T4_T5_T6_T7_T9_mT8_P12ihipStream_tbDpT10_ENKUlT_T0_E_clISt17integral_constantIbLb0EES16_EEDaS11_S12_EUlS11_E_NS1_11comp_targetILNS1_3genE5ELNS1_11target_archE942ELNS1_3gpuE9ELNS1_3repE0EEENS1_30default_config_static_selectorELNS0_4arch9wavefront6targetE1EEEvT1_,comdat
	.protected	_ZN7rocprim17ROCPRIM_400000_NS6detail17trampoline_kernelINS0_14default_configENS1_25partition_config_selectorILNS1_17partition_subalgoE0EjNS0_10empty_typeEbEEZZNS1_14partition_implILS5_0ELb0ES3_jN6thrust23THRUST_200600_302600_NS6detail15normal_iteratorINSA_10device_ptrIjEEEEPS6_SG_NS0_5tupleIJSF_SF_EEENSH_IJSG_SG_EEES6_PlJ7is_evenIjEEEE10hipError_tPvRmT3_T4_T5_T6_T7_T9_mT8_P12ihipStream_tbDpT10_ENKUlT_T0_E_clISt17integral_constantIbLb0EES16_EEDaS11_S12_EUlS11_E_NS1_11comp_targetILNS1_3genE5ELNS1_11target_archE942ELNS1_3gpuE9ELNS1_3repE0EEENS1_30default_config_static_selectorELNS0_4arch9wavefront6targetE1EEEvT1_ ; -- Begin function _ZN7rocprim17ROCPRIM_400000_NS6detail17trampoline_kernelINS0_14default_configENS1_25partition_config_selectorILNS1_17partition_subalgoE0EjNS0_10empty_typeEbEEZZNS1_14partition_implILS5_0ELb0ES3_jN6thrust23THRUST_200600_302600_NS6detail15normal_iteratorINSA_10device_ptrIjEEEEPS6_SG_NS0_5tupleIJSF_SF_EEENSH_IJSG_SG_EEES6_PlJ7is_evenIjEEEE10hipError_tPvRmT3_T4_T5_T6_T7_T9_mT8_P12ihipStream_tbDpT10_ENKUlT_T0_E_clISt17integral_constantIbLb0EES16_EEDaS11_S12_EUlS11_E_NS1_11comp_targetILNS1_3genE5ELNS1_11target_archE942ELNS1_3gpuE9ELNS1_3repE0EEENS1_30default_config_static_selectorELNS0_4arch9wavefront6targetE1EEEvT1_
	.globl	_ZN7rocprim17ROCPRIM_400000_NS6detail17trampoline_kernelINS0_14default_configENS1_25partition_config_selectorILNS1_17partition_subalgoE0EjNS0_10empty_typeEbEEZZNS1_14partition_implILS5_0ELb0ES3_jN6thrust23THRUST_200600_302600_NS6detail15normal_iteratorINSA_10device_ptrIjEEEEPS6_SG_NS0_5tupleIJSF_SF_EEENSH_IJSG_SG_EEES6_PlJ7is_evenIjEEEE10hipError_tPvRmT3_T4_T5_T6_T7_T9_mT8_P12ihipStream_tbDpT10_ENKUlT_T0_E_clISt17integral_constantIbLb0EES16_EEDaS11_S12_EUlS11_E_NS1_11comp_targetILNS1_3genE5ELNS1_11target_archE942ELNS1_3gpuE9ELNS1_3repE0EEENS1_30default_config_static_selectorELNS0_4arch9wavefront6targetE1EEEvT1_
	.p2align	8
	.type	_ZN7rocprim17ROCPRIM_400000_NS6detail17trampoline_kernelINS0_14default_configENS1_25partition_config_selectorILNS1_17partition_subalgoE0EjNS0_10empty_typeEbEEZZNS1_14partition_implILS5_0ELb0ES3_jN6thrust23THRUST_200600_302600_NS6detail15normal_iteratorINSA_10device_ptrIjEEEEPS6_SG_NS0_5tupleIJSF_SF_EEENSH_IJSG_SG_EEES6_PlJ7is_evenIjEEEE10hipError_tPvRmT3_T4_T5_T6_T7_T9_mT8_P12ihipStream_tbDpT10_ENKUlT_T0_E_clISt17integral_constantIbLb0EES16_EEDaS11_S12_EUlS11_E_NS1_11comp_targetILNS1_3genE5ELNS1_11target_archE942ELNS1_3gpuE9ELNS1_3repE0EEENS1_30default_config_static_selectorELNS0_4arch9wavefront6targetE1EEEvT1_,@function
_ZN7rocprim17ROCPRIM_400000_NS6detail17trampoline_kernelINS0_14default_configENS1_25partition_config_selectorILNS1_17partition_subalgoE0EjNS0_10empty_typeEbEEZZNS1_14partition_implILS5_0ELb0ES3_jN6thrust23THRUST_200600_302600_NS6detail15normal_iteratorINSA_10device_ptrIjEEEEPS6_SG_NS0_5tupleIJSF_SF_EEENSH_IJSG_SG_EEES6_PlJ7is_evenIjEEEE10hipError_tPvRmT3_T4_T5_T6_T7_T9_mT8_P12ihipStream_tbDpT10_ENKUlT_T0_E_clISt17integral_constantIbLb0EES16_EEDaS11_S12_EUlS11_E_NS1_11comp_targetILNS1_3genE5ELNS1_11target_archE942ELNS1_3gpuE9ELNS1_3repE0EEENS1_30default_config_static_selectorELNS0_4arch9wavefront6targetE1EEEvT1_: ; @_ZN7rocprim17ROCPRIM_400000_NS6detail17trampoline_kernelINS0_14default_configENS1_25partition_config_selectorILNS1_17partition_subalgoE0EjNS0_10empty_typeEbEEZZNS1_14partition_implILS5_0ELb0ES3_jN6thrust23THRUST_200600_302600_NS6detail15normal_iteratorINSA_10device_ptrIjEEEEPS6_SG_NS0_5tupleIJSF_SF_EEENSH_IJSG_SG_EEES6_PlJ7is_evenIjEEEE10hipError_tPvRmT3_T4_T5_T6_T7_T9_mT8_P12ihipStream_tbDpT10_ENKUlT_T0_E_clISt17integral_constantIbLb0EES16_EEDaS11_S12_EUlS11_E_NS1_11comp_targetILNS1_3genE5ELNS1_11target_archE942ELNS1_3gpuE9ELNS1_3repE0EEENS1_30default_config_static_selectorELNS0_4arch9wavefront6targetE1EEEvT1_
; %bb.0:
	s_load_dwordx2 s[4:5], s[0:1], 0x58
	s_load_dwordx4 s[20:23], s[0:1], 0x8
	s_load_dwordx4 s[24:27], s[0:1], 0x48
	s_load_dword s3, s[0:1], 0x70
	s_mul_i32 s8, s2, 0x1e00
	s_waitcnt lgkmcnt(0)
	v_mov_b32_e32 v3, s5
	s_lshl_b64 s[6:7], s[22:23], 2
	s_add_u32 s10, s20, s6
	s_addc_u32 s11, s21, s7
	s_add_i32 s6, s3, -1
	s_mulk_i32 s3, 0x1e00
	s_add_i32 s5, s3, s22
	s_sub_i32 s33, s4, s5
	s_addk_i32 s33, 0x1e00
	v_mov_b32_e32 v2, s4
	s_add_u32 s4, s22, s3
	s_addc_u32 s5, s23, 0
	s_cmp_eq_u32 s2, s6
	s_load_dwordx2 s[28:29], s[26:27], 0x0
	s_cselect_b64 s[26:27], -1, 0
	s_cmp_lg_u32 s2, s6
	s_mov_b32 s9, 0
	v_cmp_lt_u64_e32 vcc, s[4:5], v[2:3]
	s_cselect_b64 s[4:5], -1, 0
	s_or_b64 s[6:7], s[4:5], vcc
	s_lshl_b64 s[30:31], s[8:9], 2
	s_add_u32 s8, s10, s30
	s_addc_u32 s9, s11, s31
	s_mov_b64 s[4:5], -1
	s_and_b64 vcc, exec, s[6:7]
	v_lshlrev_b32_e32 v18, 2, v0
	s_cbranch_vccz .LBB2138_2
; %bb.1:
	v_mov_b32_e32 v19, 0
	v_lshl_add_u64 v[2:3], s[8:9], 0, v[18:19]
	v_add_co_u32_e32 v4, vcc, 0x1000, v2
	s_mov_b64 s[4:5], 0
	s_nop 0
	v_addc_co_u32_e32 v5, vcc, 0, v3, vcc
	v_add_co_u32_e32 v6, vcc, 0x2000, v2
	s_nop 1
	v_addc_co_u32_e32 v7, vcc, 0, v3, vcc
	v_add_co_u32_e32 v8, vcc, 0x3000, v2
	s_nop 1
	v_addc_co_u32_e32 v9, vcc, 0, v3, vcc
	flat_load_dword v1, v[2:3]
	flat_load_dword v10, v[2:3] offset:2048
	flat_load_dword v11, v[4:5]
	flat_load_dword v12, v[4:5] offset:2048
	;; [unrolled: 2-line block ×4, first 2 shown]
	v_add_co_u32_e32 v4, vcc, 0x4000, v2
	s_nop 1
	v_addc_co_u32_e32 v5, vcc, 0, v3, vcc
	v_add_co_u32_e32 v6, vcc, 0x5000, v2
	s_nop 1
	v_addc_co_u32_e32 v7, vcc, 0, v3, vcc
	;; [unrolled: 3-line block ×4, first 2 shown]
	flat_load_dword v17, v[4:5]
	flat_load_dword v19, v[4:5] offset:2048
	flat_load_dword v20, v[6:7]
	flat_load_dword v21, v[6:7] offset:2048
	;; [unrolled: 2-line block ×3, first 2 shown]
	flat_load_dword v24, v[2:3]
	s_waitcnt vmcnt(0) lgkmcnt(0)
	ds_write2st64_b32 v18, v1, v10 offset1:8
	ds_write2st64_b32 v18, v11, v12 offset0:16 offset1:24
	ds_write2st64_b32 v18, v13, v14 offset0:32 offset1:40
	;; [unrolled: 1-line block ×6, first 2 shown]
	ds_write_b32 v18, v24 offset:28672
	s_waitcnt lgkmcnt(0)
	s_barrier
.LBB2138_2:
	s_andn2_b64 vcc, exec, s[4:5]
	v_cmp_gt_u32_e64 s[4:5], s33, v0
	s_cbranch_vccnz .LBB2138_34
; %bb.3:
                                        ; implicit-def: $vgpr2_vgpr3_vgpr4_vgpr5_vgpr6_vgpr7_vgpr8_vgpr9_vgpr10_vgpr11_vgpr12_vgpr13_vgpr14_vgpr15_vgpr16_vgpr17
	s_and_saveexec_b64 s[10:11], s[4:5]
	s_cbranch_execz .LBB2138_5
; %bb.4:
	v_mov_b32_e32 v19, 0
	v_lshl_add_u64 v[2:3], s[8:9], 0, v[18:19]
	flat_load_dword v2, v[2:3]
.LBB2138_5:
	s_or_b64 exec, exec, s[10:11]
	v_or_b32_e32 v1, 0x200, v0
	v_cmp_gt_u32_e32 vcc, s33, v1
	s_and_saveexec_b64 s[4:5], vcc
	s_cbranch_execz .LBB2138_7
; %bb.6:
	v_mov_b32_e32 v19, 0
	v_lshl_add_u64 v[20:21], s[8:9], 0, v[18:19]
	flat_load_dword v3, v[20:21] offset:2048
.LBB2138_7:
	s_or_b64 exec, exec, s[4:5]
	v_or_b32_e32 v1, 0x400, v0
	v_cmp_gt_u32_e32 vcc, s33, v1
	s_and_saveexec_b64 s[4:5], vcc
	s_cbranch_execz .LBB2138_9
; %bb.8:
	v_lshlrev_b32_e32 v20, 2, v1
	v_mov_b32_e32 v21, 0
	v_lshl_add_u64 v[20:21], s[8:9], 0, v[20:21]
	flat_load_dword v4, v[20:21]
.LBB2138_9:
	s_or_b64 exec, exec, s[4:5]
	v_or_b32_e32 v1, 0x600, v0
	v_cmp_gt_u32_e32 vcc, s33, v1
	s_and_saveexec_b64 s[4:5], vcc
	s_cbranch_execz .LBB2138_11
; %bb.10:
	v_lshlrev_b32_e32 v20, 2, v1
	v_mov_b32_e32 v21, 0
	v_lshl_add_u64 v[20:21], s[8:9], 0, v[20:21]
	flat_load_dword v5, v[20:21]
.LBB2138_11:
	;; [unrolled: 11-line block ×13, first 2 shown]
	s_or_b64 exec, exec, s[4:5]
	s_waitcnt vmcnt(0) lgkmcnt(0)
	ds_write2st64_b32 v18, v2, v3 offset1:8
	ds_write2st64_b32 v18, v4, v5 offset0:16 offset1:24
	ds_write2st64_b32 v18, v6, v7 offset0:32 offset1:40
	;; [unrolled: 1-line block ×6, first 2 shown]
	ds_write_b32 v18, v16 offset:28672
	s_waitcnt lgkmcnt(0)
	s_barrier
.LBB2138_34:
	v_mul_u32_u24_e32 v38, 15, v0
	v_lshlrev_b32_e32 v1, 2, v38
	s_waitcnt lgkmcnt(0)
	ds_read2_b32 v[32:33], v1 offset1:1
	ds_read2_b32 v[30:31], v1 offset0:2 offset1:3
	ds_read2_b32 v[28:29], v1 offset0:4 offset1:5
	;; [unrolled: 1-line block ×6, first 2 shown]
	ds_read_b32 v1, v1 offset:56
	v_cndmask_b32_e64 v2, 0, 1, s[6:7]
	v_cmp_ne_u32_e64 s[20:21], 1, v2
	s_andn2_b64 vcc, exec, s[6:7]
	s_waitcnt lgkmcnt(7)
	v_xor_b32_e32 v16, -1, v32
	v_xor_b32_e32 v15, -1, v33
	s_waitcnt lgkmcnt(6)
	v_xor_b32_e32 v14, -1, v30
	v_xor_b32_e32 v13, -1, v31
	;; [unrolled: 3-line block ×7, first 2 shown]
	s_waitcnt lgkmcnt(0)
	v_xor_b32_e32 v2, -1, v1
	s_barrier
	s_cbranch_vccnz .LBB2138_36
; %bb.35:
	v_and_b32_e32 v51, 1, v16
	v_and_b32_e32 v50, 1, v15
	;; [unrolled: 1-line block ×15, first 2 shown]
	s_load_dwordx2 s[34:35], s[0:1], 0x68
	s_cbranch_execz .LBB2138_37
	s_branch .LBB2138_38
.LBB2138_36:
                                        ; implicit-def: $vgpr19
                                        ; implicit-def: $vgpr37
                                        ; implicit-def: $vgpr39
                                        ; implicit-def: $vgpr40
                                        ; implicit-def: $vgpr41
                                        ; implicit-def: $vgpr42
                                        ; implicit-def: $vgpr43
                                        ; implicit-def: $vgpr44
                                        ; implicit-def: $vgpr45
                                        ; implicit-def: $vgpr51
                                        ; implicit-def: $vgpr50
                                        ; implicit-def: $vgpr49
                                        ; implicit-def: $vgpr48
                                        ; implicit-def: $vgpr47
                                        ; implicit-def: $vgpr46
	s_load_dwordx2 s[34:35], s[0:1], 0x68
.LBB2138_37:
	v_add_u32_e32 v44, 1, v38
	v_cmp_gt_u32_e32 vcc, s33, v38
	v_add_u32_e32 v17, 2, v38
	v_add_u32_e32 v43, 3, v38
	v_cndmask_b32_e64 v45, 0, 1, vcc
	v_cmp_gt_u32_e32 vcc, s33, v44
	v_and_b32_e32 v51, v45, v16
	v_add_u32_e32 v19, 4, v38
	v_cndmask_b32_e64 v16, 0, 1, vcc
	v_cmp_gt_u32_e32 vcc, s33, v17
	v_and_b32_e32 v50, v16, v15
	;; [unrolled: 4-line block ×12, first 2 shown]
	s_nop 0
	v_cndmask_b32_e64 v5, 0, 1, vcc
	v_cmp_gt_u32_e32 vcc, s33, v53
	v_and_b32_e32 v39, v5, v4
	s_nop 0
	v_cndmask_b32_e64 v4, 0, 1, vcc
	v_cmp_gt_u32_e32 vcc, s33, v52
	v_and_b32_e32 v37, v4, v3
	s_nop 0
	v_cndmask_b32_e64 v3, 0, 1, vcc
	v_and_b32_e32 v19, v3, v2
.LBB2138_38:
	v_and_b32_e32 v55, 0xff, v48
	v_and_b32_e32 v56, 0xff, v47
	;; [unrolled: 1-line block ×5, first 2 shown]
	v_add3_u32 v3, v56, v57, v55
	v_and_b32_e32 v52, 0xff, v51
	v_and_b32_e32 v58, 0xff, v45
	v_add3_u32 v3, v3, v54, v53
	v_and_b32_e32 v59, 0xff, v44
	v_and_b32_e32 v60, 0xff, v43
	;; [unrolled: 3-line block ×5, first 2 shown]
	v_add3_u32 v3, v3, v63, v64
	v_add3_u32 v68, v3, v65, v2
	v_mbcnt_lo_u32_b32 v2, -1, 0
	v_mbcnt_hi_u32_b32 v66, -1, v2
	v_and_b32_e32 v2, 15, v66
	v_cmp_eq_u32_e64 s[16:17], 0, v2
	v_cmp_lt_u32_e64 s[14:15], 1, v2
	v_cmp_lt_u32_e64 s[12:13], 3, v2
	;; [unrolled: 1-line block ×3, first 2 shown]
	v_and_b32_e32 v2, 16, v66
	v_cmp_eq_u32_e64 s[8:9], 0, v2
	v_or_b32_e32 v2, 63, v0
	s_cmp_lg_u32 s2, 0
	v_cmp_lt_u32_e64 s[4:5], 31, v66
	v_lshrrev_b32_e32 v67, 6, v0
	v_cmp_eq_u32_e64 s[6:7], v2, v0
	s_cbranch_scc0 .LBB2138_65
; %bb.39:
	v_mov_b32_dpp v2, v68 row_shr:1 row_mask:0xf bank_mask:0xf
	v_cndmask_b32_e64 v2, v2, 0, s[16:17]
	v_add_u32_e32 v2, v2, v68
	s_nop 1
	v_mov_b32_dpp v3, v2 row_shr:2 row_mask:0xf bank_mask:0xf
	v_cndmask_b32_e64 v3, 0, v3, s[14:15]
	v_add_u32_e32 v2, v2, v3
	s_nop 1
	;; [unrolled: 4-line block ×4, first 2 shown]
	v_mov_b32_dpp v3, v2 row_bcast:15 row_mask:0xf bank_mask:0xf
	v_cndmask_b32_e64 v3, v3, 0, s[8:9]
	v_add_u32_e32 v2, v2, v3
	s_nop 1
	v_mov_b32_dpp v3, v2 row_bcast:31 row_mask:0xf bank_mask:0xf
	v_cndmask_b32_e64 v3, 0, v3, s[4:5]
	v_add_u32_e32 v2, v2, v3
	s_and_saveexec_b64 s[18:19], s[6:7]
	s_cbranch_execz .LBB2138_41
; %bb.40:
	v_lshlrev_b32_e32 v3, 2, v67
	ds_write_b32 v3, v2
.LBB2138_41:
	s_or_b64 exec, exec, s[18:19]
	v_cmp_gt_u32_e32 vcc, 8, v0
	s_waitcnt lgkmcnt(0)
	s_barrier
	s_and_saveexec_b64 s[18:19], vcc
	s_cbranch_execz .LBB2138_43
; %bb.42:
	ds_read_b32 v3, v18
	v_and_b32_e32 v4, 7, v66
	v_cmp_ne_u32_e32 vcc, 0, v4
	s_waitcnt lgkmcnt(0)
	v_mov_b32_dpp v5, v3 row_shr:1 row_mask:0xf bank_mask:0xf
	v_cndmask_b32_e32 v5, 0, v5, vcc
	v_add_u32_e32 v3, v5, v3
	v_cmp_lt_u32_e32 vcc, 1, v4
	s_nop 0
	v_mov_b32_dpp v5, v3 row_shr:2 row_mask:0xf bank_mask:0xf
	v_cndmask_b32_e32 v5, 0, v5, vcc
	v_add_u32_e32 v3, v3, v5
	v_cmp_lt_u32_e32 vcc, 3, v4
	s_nop 0
	v_mov_b32_dpp v5, v3 row_shr:4 row_mask:0xf bank_mask:0xf
	v_cndmask_b32_e32 v4, 0, v5, vcc
	v_add_u32_e32 v3, v3, v4
	ds_write_b32 v18, v3
.LBB2138_43:
	s_or_b64 exec, exec, s[18:19]
	v_cmp_gt_u32_e32 vcc, 64, v0
	v_cmp_lt_u32_e64 s[18:19], 63, v0
	s_waitcnt lgkmcnt(0)
	s_barrier
	s_waitcnt lgkmcnt(0)
                                        ; implicit-def: $vgpr12
	s_and_saveexec_b64 s[36:37], s[18:19]
	s_cbranch_execz .LBB2138_45
; %bb.44:
	v_lshl_add_u32 v3, v67, 2, -4
	ds_read_b32 v12, v3
	s_waitcnt lgkmcnt(0)
	v_add_u32_e32 v2, v12, v2
.LBB2138_45:
	s_or_b64 exec, exec, s[36:37]
	v_add_u32_e32 v3, -1, v66
	v_and_b32_e32 v4, 64, v66
	v_cmp_lt_i32_e64 s[18:19], v3, v4
	s_nop 1
	v_cndmask_b32_e64 v3, v3, v66, s[18:19]
	v_lshlrev_b32_e32 v3, 2, v3
	ds_bpermute_b32 v13, v3, v2
	v_cmp_eq_u32_e64 s[18:19], 0, v66
	s_and_saveexec_b64 s[36:37], vcc
	s_cbranch_execz .LBB2138_64
; %bb.46:
	v_mov_b32_e32 v9, 0
	ds_read_b32 v2, v9 offset:28
	s_and_saveexec_b64 s[38:39], s[18:19]
	s_cbranch_execz .LBB2138_48
; %bb.47:
	s_add_i32 s40, s2, 64
	s_mov_b32 s41, 0
	s_lshl_b64 s[40:41], s[40:41], 3
	s_add_u32 s40, s34, s40
	v_mov_b32_e32 v3, 1
	s_addc_u32 s41, s35, s41
	s_waitcnt lgkmcnt(0)
	global_store_dwordx2 v9, v[2:3], s[40:41] sc1
.LBB2138_48:
	s_or_b64 exec, exec, s[38:39]
	v_xad_u32 v4, v66, -1, s2
	v_add_u32_e32 v8, 64, v4
	v_lshl_add_u64 v[10:11], v[8:9], 3, s[34:35]
	global_load_dwordx2 v[6:7], v[10:11], off sc1
	s_waitcnt vmcnt(0)
	v_cmp_eq_u16_sdwa s[40:41], v7, v9 src0_sel:BYTE_0 src1_sel:DWORD
	s_and_saveexec_b64 s[38:39], s[40:41]
	s_cbranch_execz .LBB2138_52
; %bb.49:
	s_mov_b64 s[40:41], 0
	v_mov_b32_e32 v3, 0
.LBB2138_50:                            ; =>This Inner Loop Header: Depth=1
	global_load_dwordx2 v[6:7], v[10:11], off sc1
	s_waitcnt vmcnt(0)
	v_cmp_ne_u16_sdwa s[42:43], v7, v3 src0_sel:BYTE_0 src1_sel:DWORD
	s_or_b64 s[40:41], s[42:43], s[40:41]
	s_andn2_b64 exec, exec, s[40:41]
	s_cbranch_execnz .LBB2138_50
; %bb.51:
	s_or_b64 exec, exec, s[40:41]
.LBB2138_52:
	s_or_b64 exec, exec, s[38:39]
	v_and_b32_e32 v15, 63, v66
	v_mov_b32_e32 v14, 2
	v_cmp_ne_u32_e32 vcc, 63, v15
	v_cmp_eq_u16_sdwa s[38:39], v7, v14 src0_sel:BYTE_0 src1_sel:DWORD
	v_lshlrev_b64 v[8:9], v66, -1
	v_addc_co_u32_e32 v10, vcc, 0, v66, vcc
	v_and_b32_e32 v3, s39, v9
	v_lshlrev_b32_e32 v16, 2, v10
	v_or_b32_e32 v3, 0x80000000, v3
	ds_bpermute_b32 v10, v16, v6
	v_and_b32_e32 v5, s38, v8
	v_ffbl_b32_e32 v3, v3
	v_add_u32_e32 v3, 32, v3
	v_ffbl_b32_e32 v5, v5
	v_min_u32_e32 v3, v5, v3
	v_cmp_lt_u32_e32 vcc, v15, v3
	v_add_u32_e32 v34, 2, v15
	v_add_u32_e32 v36, 4, v15
	s_waitcnt lgkmcnt(0)
	v_cndmask_b32_e32 v5, 0, v10, vcc
	v_cmp_gt_u32_e32 vcc, 62, v15
	v_add_u32_e32 v5, v5, v6
	v_add_u32_e32 v70, 8, v15
	v_cndmask_b32_e64 v6, 0, 1, vcc
	v_lshlrev_b32_e32 v6, 1, v6
	v_add_lshl_u32 v17, v6, v66, 2
	ds_bpermute_b32 v6, v17, v5
	v_cmp_le_u32_e32 vcc, v34, v3
	v_add_u32_e32 v72, 16, v15
	v_add_u32_e32 v74, 32, v15
	s_waitcnt lgkmcnt(0)
	v_cndmask_b32_e32 v6, 0, v6, vcc
	v_cmp_gt_u32_e32 vcc, 60, v15
	v_add_u32_e32 v5, v5, v6
	s_nop 0
	v_cndmask_b32_e64 v6, 0, 1, vcc
	v_lshlrev_b32_e32 v6, 2, v6
	v_add_lshl_u32 v35, v6, v66, 2
	ds_bpermute_b32 v6, v35, v5
	v_cmp_le_u32_e32 vcc, v36, v3
	s_waitcnt lgkmcnt(0)
	s_nop 0
	v_cndmask_b32_e32 v6, 0, v6, vcc
	v_cmp_gt_u32_e32 vcc, 56, v15
	v_add_u32_e32 v5, v5, v6
	s_nop 0
	v_cndmask_b32_e64 v6, 0, 1, vcc
	v_lshlrev_b32_e32 v6, 3, v6
	v_add_lshl_u32 v69, v6, v66, 2
	ds_bpermute_b32 v6, v69, v5
	v_cmp_le_u32_e32 vcc, v70, v3
	s_waitcnt lgkmcnt(0)
	s_nop 0
	;; [unrolled: 11-line block ×4, first 2 shown]
	v_cndmask_b32_e32 v3, 0, v6, vcc
	v_add_u32_e32 v6, v5, v3
	v_mov_b32_e32 v5, 0
	s_branch .LBB2138_54
.LBB2138_53:                            ;   in Loop: Header=BB2138_54 Depth=1
	s_or_b64 exec, exec, s[38:39]
	v_cmp_eq_u16_sdwa s[38:39], v7, v14 src0_sel:BYTE_0 src1_sel:DWORD
	ds_bpermute_b32 v75, v16, v6
	v_subrev_u32_e32 v4, 64, v4
	v_and_b32_e32 v10, s39, v9
	v_or_b32_e32 v10, 0x80000000, v10
	v_and_b32_e32 v11, s38, v8
	v_ffbl_b32_e32 v10, v10
	v_add_u32_e32 v10, 32, v10
	v_ffbl_b32_e32 v11, v11
	v_min_u32_e32 v10, v11, v10
	v_cmp_lt_u32_e32 vcc, v15, v10
	s_waitcnt lgkmcnt(0)
	s_nop 0
	v_cndmask_b32_e32 v11, 0, v75, vcc
	v_add_u32_e32 v6, v11, v6
	ds_bpermute_b32 v11, v17, v6
	v_cmp_le_u32_e32 vcc, v34, v10
	s_waitcnt lgkmcnt(0)
	s_nop 0
	v_cndmask_b32_e32 v11, 0, v11, vcc
	v_add_u32_e32 v6, v6, v11
	ds_bpermute_b32 v11, v35, v6
	v_cmp_le_u32_e32 vcc, v36, v10
	;; [unrolled: 6-line block ×5, first 2 shown]
	s_waitcnt lgkmcnt(0)
	s_nop 0
	v_cndmask_b32_e32 v10, 0, v11, vcc
	v_add3_u32 v6, v10, v3, v6
.LBB2138_54:                            ; =>This Loop Header: Depth=1
                                        ;     Child Loop BB2138_57 Depth 2
	v_cmp_ne_u16_sdwa s[38:39], v7, v14 src0_sel:BYTE_0 src1_sel:DWORD
	s_nop 1
	v_cndmask_b32_e64 v3, 0, 1, s[38:39]
	;;#ASMSTART
	;;#ASMEND
	s_nop 0
	v_cmp_ne_u32_e32 vcc, 0, v3
	s_cmp_lg_u64 vcc, exec
	v_mov_b32_e32 v3, v6
	s_cbranch_scc1 .LBB2138_59
; %bb.55:                               ;   in Loop: Header=BB2138_54 Depth=1
	v_lshl_add_u64 v[10:11], v[4:5], 3, s[34:35]
	global_load_dwordx2 v[6:7], v[10:11], off sc1
	s_waitcnt vmcnt(0)
	v_cmp_eq_u16_sdwa s[40:41], v7, v5 src0_sel:BYTE_0 src1_sel:DWORD
	s_and_saveexec_b64 s[38:39], s[40:41]
	s_cbranch_execz .LBB2138_53
; %bb.56:                               ;   in Loop: Header=BB2138_54 Depth=1
	s_mov_b64 s[40:41], 0
.LBB2138_57:                            ;   Parent Loop BB2138_54 Depth=1
                                        ; =>  This Inner Loop Header: Depth=2
	global_load_dwordx2 v[6:7], v[10:11], off sc1
	s_waitcnt vmcnt(0)
	v_cmp_ne_u16_sdwa s[42:43], v7, v5 src0_sel:BYTE_0 src1_sel:DWORD
	s_or_b64 s[40:41], s[42:43], s[40:41]
	s_andn2_b64 exec, exec, s[40:41]
	s_cbranch_execnz .LBB2138_57
; %bb.58:                               ;   in Loop: Header=BB2138_54 Depth=1
	s_or_b64 exec, exec, s[40:41]
	s_branch .LBB2138_53
.LBB2138_59:                            ;   in Loop: Header=BB2138_54 Depth=1
                                        ; implicit-def: $vgpr6
                                        ; implicit-def: $vgpr7
	s_cbranch_execz .LBB2138_54
; %bb.60:
	s_and_saveexec_b64 s[38:39], s[18:19]
	s_cbranch_execz .LBB2138_62
; %bb.61:
	s_add_i32 s2, s2, 64
	s_mov_b32 s3, 0
	s_lshl_b64 s[2:3], s[2:3], 3
	s_add_u32 s2, s34, s2
	v_add_u32_e32 v4, v3, v2
	v_mov_b32_e32 v5, 2
	s_addc_u32 s3, s35, s3
	v_mov_b32_e32 v6, 0
	global_store_dwordx2 v6, v[4:5], s[2:3] sc1
	ds_write_b64 v6, v[2:3] offset:30720
.LBB2138_62:
	s_or_b64 exec, exec, s[38:39]
	v_cmp_eq_u32_e32 vcc, 0, v0
	s_and_b64 exec, exec, vcc
	s_cbranch_execz .LBB2138_64
; %bb.63:
	v_mov_b32_e32 v2, 0
	ds_write_b32 v2, v3 offset:28
.LBB2138_64:
	s_or_b64 exec, exec, s[36:37]
	v_mov_b32_e32 v14, 0
	s_waitcnt lgkmcnt(0)
	s_barrier
	ds_read_b32 v2, v14 offset:28
	v_cndmask_b32_e64 v3, v13, v12, s[18:19]
	v_cmp_ne_u32_e32 vcc, 0, v0
	s_waitcnt lgkmcnt(0)
	s_barrier
	v_cndmask_b32_e32 v3, 0, v3, vcc
	v_add_u32_e32 v2, v2, v3
	v_add_u32_e32 v3, v2, v52
	;; [unrolled: 1-line block ×10, first 2 shown]
	ds_read_b64 v[34:35], v14 offset:30720
	v_add_u32_e32 v12, v11, v61
	v_add_u32_e32 v13, v12, v62
	;; [unrolled: 1-line block ×5, first 2 shown]
	s_waitcnt lgkmcnt(0)
	v_mov_b32_e32 v36, v35
	s_branch .LBB2138_75
.LBB2138_65:
                                        ; implicit-def: $vgpr36
                                        ; implicit-def: $vgpr34
                                        ; implicit-def: $vgpr2_vgpr3_vgpr4_vgpr5_vgpr6_vgpr7_vgpr8_vgpr9_vgpr10_vgpr11_vgpr12_vgpr13_vgpr14_vgpr15_vgpr16_vgpr17
	s_cbranch_execz .LBB2138_75
; %bb.66:
	s_nop 0
	v_mov_b32_dpp v2, v68 row_shr:1 row_mask:0xf bank_mask:0xf
	v_cndmask_b32_e64 v2, v2, 0, s[16:17]
	v_add_u32_e32 v2, v2, v68
	s_nop 1
	v_mov_b32_dpp v3, v2 row_shr:2 row_mask:0xf bank_mask:0xf
	v_cndmask_b32_e64 v3, 0, v3, s[14:15]
	v_add_u32_e32 v2, v2, v3
	;; [unrolled: 4-line block ×4, first 2 shown]
	s_nop 1
	v_mov_b32_dpp v3, v2 row_bcast:15 row_mask:0xf bank_mask:0xf
	v_cndmask_b32_e64 v3, v3, 0, s[8:9]
	v_add_u32_e32 v2, v2, v3
	s_nop 1
	v_mov_b32_dpp v3, v2 row_bcast:31 row_mask:0xf bank_mask:0xf
	v_cndmask_b32_e64 v3, 0, v3, s[4:5]
	v_add_u32_e32 v2, v2, v3
	s_and_saveexec_b64 s[2:3], s[6:7]
	s_cbranch_execz .LBB2138_68
; %bb.67:
	v_lshlrev_b32_e32 v3, 2, v67
	ds_write_b32 v3, v2
.LBB2138_68:
	s_or_b64 exec, exec, s[2:3]
	v_cmp_gt_u32_e32 vcc, 8, v0
	s_waitcnt lgkmcnt(0)
	s_barrier
	s_and_saveexec_b64 s[2:3], vcc
	s_cbranch_execz .LBB2138_70
; %bb.69:
	ds_read_b32 v3, v18
	v_and_b32_e32 v4, 7, v66
	v_cmp_ne_u32_e32 vcc, 0, v4
	s_waitcnt lgkmcnt(0)
	v_mov_b32_dpp v5, v3 row_shr:1 row_mask:0xf bank_mask:0xf
	v_cndmask_b32_e32 v5, 0, v5, vcc
	v_add_u32_e32 v3, v5, v3
	v_cmp_lt_u32_e32 vcc, 1, v4
	s_nop 0
	v_mov_b32_dpp v5, v3 row_shr:2 row_mask:0xf bank_mask:0xf
	v_cndmask_b32_e32 v5, 0, v5, vcc
	v_add_u32_e32 v3, v3, v5
	v_cmp_lt_u32_e32 vcc, 3, v4
	s_nop 0
	v_mov_b32_dpp v5, v3 row_shr:4 row_mask:0xf bank_mask:0xf
	v_cndmask_b32_e32 v4, 0, v5, vcc
	v_add_u32_e32 v3, v3, v4
	ds_write_b32 v18, v3
.LBB2138_70:
	s_or_b64 exec, exec, s[2:3]
	v_cmp_lt_u32_e32 vcc, 63, v0
	v_mov_b32_e32 v4, 0
	v_mov_b32_e32 v3, 0
	s_waitcnt lgkmcnt(0)
	s_barrier
	s_and_saveexec_b64 s[2:3], vcc
	s_cbranch_execz .LBB2138_72
; %bb.71:
	v_lshl_add_u32 v3, v67, 2, -4
	ds_read_b32 v3, v3
.LBB2138_72:
	s_or_b64 exec, exec, s[2:3]
	v_add_u32_e32 v5, -1, v66
	v_and_b32_e32 v6, 64, v66
	v_cmp_lt_i32_e32 vcc, v5, v6
	s_waitcnt lgkmcnt(0)
	v_add_u32_e32 v2, v3, v2
	ds_read_b32 v34, v4 offset:28
	v_cndmask_b32_e32 v5, v5, v66, vcc
	v_lshlrev_b32_e32 v5, 2, v5
	ds_bpermute_b32 v2, v5, v2
	v_cmp_eq_u32_e32 vcc, 0, v0
	s_and_saveexec_b64 s[2:3], vcc
	s_cbranch_execz .LBB2138_74
; %bb.73:
	v_mov_b32_e32 v4, 0
	v_mov_b32_e32 v35, 2
	s_waitcnt lgkmcnt(1)
	global_store_dwordx2 v4, v[34:35], s[34:35] offset:512 sc1
.LBB2138_74:
	s_or_b64 exec, exec, s[2:3]
	v_cmp_eq_u32_e64 s[2:3], 0, v66
	v_mov_b32_e32 v36, 0
	s_waitcnt lgkmcnt(0)
	v_cndmask_b32_e64 v2, v2, v3, s[2:3]
	v_cndmask_b32_e64 v2, v2, 0, vcc
	v_add_u32_e32 v3, v2, v52
	v_add_u32_e32 v4, v3, v53
	;; [unrolled: 1-line block ×14, first 2 shown]
	s_barrier
.LBB2138_75:
	v_add_u32_e32 v17, v34, v38
	v_sub_u32_e32 v2, v2, v36
	v_and_b32_e32 v38, 1, v51
	v_sub_u32_e32 v35, v17, v2
	v_cmp_eq_u32_e32 vcc, 1, v38
	s_load_dwordx4 s[0:3], s[0:1], 0x28
	v_or_b32_e32 v38, 0x800, v0
	v_cndmask_b32_e32 v2, v35, v2, vcc
	v_lshlrev_b32_e32 v2, 2, v2
	ds_write_b32 v2, v32
	v_sub_u32_e32 v2, v3, v36
	v_sub_u32_e32 v3, v17, v2
	v_and_b32_e32 v32, 1, v50
	v_add_u32_e32 v3, 1, v3
	v_cmp_eq_u32_e32 vcc, 1, v32
	v_or_b32_e32 v32, 0xc00, v0
	s_nop 0
	v_cndmask_b32_e32 v2, v3, v2, vcc
	v_lshlrev_b32_e32 v2, 2, v2
	ds_write_b32 v2, v33
	v_sub_u32_e32 v2, v4, v36
	v_sub_u32_e32 v3, v17, v2
	v_and_b32_e32 v4, 1, v49
	v_add_u32_e32 v3, 2, v3
	v_cmp_eq_u32_e32 vcc, 1, v4
	v_and_b32_e32 v4, 1, v48
	v_or_b32_e32 v33, 0xa00, v0
	v_cndmask_b32_e32 v2, v3, v2, vcc
	v_lshlrev_b32_e32 v2, 2, v2
	ds_write_b32 v2, v30
	v_sub_u32_e32 v2, v5, v36
	v_sub_u32_e32 v3, v17, v2
	v_add_u32_e32 v3, 3, v3
	v_cmp_eq_u32_e32 vcc, 1, v4
	v_and_b32_e32 v4, 1, v47
	v_or_b32_e32 v30, 0x1000, v0
	v_cndmask_b32_e32 v2, v3, v2, vcc
	v_lshlrev_b32_e32 v2, 2, v2
	ds_write_b32 v2, v31
	v_sub_u32_e32 v2, v6, v36
	v_sub_u32_e32 v3, v17, v2
	;; [unrolled: 9-line block ×3, first 2 shown]
	v_add_u32_e32 v3, 5, v3
	v_cmp_eq_u32_e32 vcc, 1, v4
	v_and_b32_e32 v4, 1, v45
	v_mov_b32_e32 v7, s23
	v_cndmask_b32_e32 v2, v3, v2, vcc
	v_lshlrev_b32_e32 v2, 2, v2
	ds_write_b32 v2, v29
	v_sub_u32_e32 v2, v8, v36
	v_sub_u32_e32 v3, v17, v2
	v_add_u32_e32 v3, 6, v3
	v_cmp_eq_u32_e32 vcc, 1, v4
	v_and_b32_e32 v4, 1, v44
	v_or_b32_e32 v29, 0x1200, v0
	v_cndmask_b32_e32 v2, v3, v2, vcc
	v_lshlrev_b32_e32 v2, 2, v2
	ds_write_b32 v2, v26
	v_sub_u32_e32 v2, v9, v36
	v_sub_u32_e32 v3, v17, v2
	v_add_u32_e32 v3, 7, v3
	v_cmp_eq_u32_e32 vcc, 1, v4
	v_and_b32_e32 v4, 1, v43
	v_or_b32_e32 v28, 0x1400, v0
	;; [unrolled: 9-line block ×6, first 2 shown]
	v_cndmask_b32_e32 v2, v3, v2, vcc
	v_lshlrev_b32_e32 v2, 2, v2
	ds_write_b32 v2, v23
	v_sub_u32_e32 v2, v14, v36
	v_sub_u32_e32 v3, v17, v2
	v_add_u32_e32 v3, 12, v3
	v_cmp_eq_u32_e32 vcc, 1, v4
	v_and_b32_e32 v4, 1, v37
	v_mov_b32_e32 v37, 0
	v_cndmask_b32_e32 v2, v3, v2, vcc
	v_lshlrev_b32_e32 v2, 2, v2
	ds_write_b32 v2, v20
	v_sub_u32_e32 v2, v15, v36
	v_sub_u32_e32 v3, v17, v2
	v_add_u32_e32 v3, 13, v3
	v_cmp_eq_u32_e32 vcc, 1, v4
	v_and_b32_e32 v4, 1, v19
	v_lshl_add_u64 v[8:9], s[28:29], 0, v[36:37]
	v_cndmask_b32_e32 v2, v3, v2, vcc
	v_lshlrev_b32_e32 v2, 2, v2
	ds_write_b32 v2, v21
	v_sub_u32_e32 v2, v16, v36
	v_sub_u32_e32 v3, v17, v2
	v_add_u32_e32 v3, 14, v3
	v_cmp_eq_u32_e32 vcc, 1, v4
	v_mov_b32_e32 v35, v37
	v_or_b32_e32 v26, 0x1800, v0
	v_cndmask_b32_e32 v2, v3, v2, vcc
	v_lshlrev_b32_e32 v2, 2, v2
	ds_write_b32 v2, v1
	v_lshl_add_u64 v[2:3], v[8:9], 0, v[34:35]
	s_waitcnt lgkmcnt(0)
	s_barrier
	ds_read2st64_b32 v[22:23], v18 offset1:8
	ds_read2st64_b32 v[20:21], v18 offset0:16 offset1:24
	ds_read2st64_b32 v[16:17], v18 offset0:32 offset1:40
	;; [unrolled: 1-line block ×6, first 2 shown]
	ds_read_b32 v1, v18 offset:28672
	v_sub_co_u32_e32 v6, vcc, s22, v2
	v_lshlrev_b64 v[8:9], 2, v[8:9]
	s_nop 0
	v_subb_co_u32_e32 v7, vcc, v7, v3, vcc
	v_lshlrev_b64 v[6:7], 2, v[6:7]
	v_lshl_add_u64 v[6:7], s[2:3], 0, v[6:7]
	v_or_b32_e32 v25, 0x1a00, v0
	v_or_b32_e32 v24, 0x1c00, v0
	v_lshl_add_u64 v[6:7], v[6:7], 0, s[30:31]
	s_and_b64 vcc, exec, s[20:21]
	v_lshl_add_u64 v[8:9], s[0:1], 0, v[8:9]
	s_cbranch_vccnz .LBB2138_77
; %bb.76:
	v_cmp_gt_u32_e32 vcc, v34, v0
	v_mov_b32_e32 v19, v37
	v_lshlrev_b32_e32 v36, 2, v40
	v_cndmask_b32_e32 v43, v7, v9, vcc
	v_cndmask_b32_e32 v42, v6, v8, vcc
	v_lshl_add_u64 v[42:43], v[42:43], 0, v[18:19]
	v_cmp_lt_u32_e32 vcc, v41, v34
	s_waitcnt lgkmcnt(7)
	global_store_dword v[42:43], v22, off
	v_cndmask_b32_e32 v43, v7, v9, vcc
	v_cndmask_b32_e32 v42, v6, v8, vcc
	v_lshl_add_u64 v[42:43], v[42:43], 0, v[18:19]
	v_cmp_lt_u32_e32 vcc, v40, v34
	global_store_dword v[42:43], v23, off offset:2048
	s_mov_b64 s[0:1], -1
	v_cndmask_b32_e32 v43, v7, v9, vcc
	v_cndmask_b32_e32 v42, v6, v8, vcc
	v_lshl_add_u64 v[42:43], v[42:43], 0, v[36:37]
	v_cmp_lt_u32_e32 vcc, v39, v34
	s_waitcnt lgkmcnt(6)
	global_store_dword v[42:43], v20, off
	v_lshlrev_b32_e32 v36, 2, v39
	v_cndmask_b32_e32 v43, v7, v9, vcc
	v_cndmask_b32_e32 v42, v6, v8, vcc
	v_lshl_add_u64 v[42:43], v[42:43], 0, v[36:37]
	v_cmp_lt_u32_e32 vcc, v38, v34
	global_store_dword v[42:43], v21, off
	v_lshlrev_b32_e32 v36, 2, v38
	v_cndmask_b32_e32 v43, v7, v9, vcc
	v_cndmask_b32_e32 v42, v6, v8, vcc
	v_lshl_add_u64 v[42:43], v[42:43], 0, v[36:37]
	v_cmp_lt_u32_e32 vcc, v33, v34
	s_waitcnt lgkmcnt(5)
	global_store_dword v[42:43], v16, off
	v_lshlrev_b32_e32 v36, 2, v33
	v_cndmask_b32_e32 v43, v7, v9, vcc
	v_cndmask_b32_e32 v42, v6, v8, vcc
	v_lshl_add_u64 v[42:43], v[42:43], 0, v[36:37]
	v_cmp_lt_u32_e32 vcc, v32, v34
	global_store_dword v[42:43], v17, off
	v_lshlrev_b32_e32 v36, 2, v32
	;; [unrolled: 13-line block ×5, first 2 shown]
	v_cndmask_b32_e32 v43, v7, v9, vcc
	v_cndmask_b32_e32 v42, v6, v8, vcc
	v_lshl_add_u64 v[42:43], v[42:43], 0, v[36:37]
	v_cmp_lt_u32_e32 vcc, v25, v34
	s_waitcnt lgkmcnt(1)
	global_store_dword v[42:43], v4, off
	v_lshlrev_b32_e32 v36, 2, v25
	v_cndmask_b32_e32 v43, v7, v9, vcc
	v_cndmask_b32_e32 v42, v6, v8, vcc
	v_lshl_add_u64 v[36:37], v[42:43], 0, v[36:37]
	global_store_dword v[36:37], v5, off
	s_cbranch_execz .LBB2138_78
	s_branch .LBB2138_94
.LBB2138_77:
	s_mov_b64 s[0:1], 0
.LBB2138_78:
	v_cmp_gt_u32_e32 vcc, s33, v0
	s_and_saveexec_b64 s[0:1], vcc
	s_cbranch_execnz .LBB2138_99
; %bb.79:
	s_or_b64 exec, exec, s[0:1]
	v_cmp_gt_u32_e32 vcc, s33, v41
	s_and_saveexec_b64 s[0:1], vcc
	s_cbranch_execnz .LBB2138_100
.LBB2138_80:
	s_or_b64 exec, exec, s[0:1]
	v_cmp_gt_u32_e32 vcc, s33, v40
	s_and_saveexec_b64 s[0:1], vcc
	s_cbranch_execnz .LBB2138_101
.LBB2138_81:
	s_or_b64 exec, exec, s[0:1]
	v_cmp_gt_u32_e32 vcc, s33, v39
	s_and_saveexec_b64 s[0:1], vcc
	s_cbranch_execnz .LBB2138_102
.LBB2138_82:
	s_or_b64 exec, exec, s[0:1]
	v_cmp_gt_u32_e32 vcc, s33, v38
	s_and_saveexec_b64 s[0:1], vcc
	s_cbranch_execnz .LBB2138_103
.LBB2138_83:
	s_or_b64 exec, exec, s[0:1]
	v_cmp_gt_u32_e32 vcc, s33, v33
	s_and_saveexec_b64 s[0:1], vcc
	s_cbranch_execnz .LBB2138_104
.LBB2138_84:
	s_or_b64 exec, exec, s[0:1]
	v_cmp_gt_u32_e32 vcc, s33, v32
	s_and_saveexec_b64 s[0:1], vcc
	s_cbranch_execnz .LBB2138_105
.LBB2138_85:
	s_or_b64 exec, exec, s[0:1]
	v_cmp_gt_u32_e32 vcc, s33, v31
	s_and_saveexec_b64 s[0:1], vcc
	s_cbranch_execnz .LBB2138_106
.LBB2138_86:
	s_or_b64 exec, exec, s[0:1]
	v_cmp_gt_u32_e32 vcc, s33, v30
	s_and_saveexec_b64 s[0:1], vcc
	s_cbranch_execnz .LBB2138_107
.LBB2138_87:
	s_or_b64 exec, exec, s[0:1]
	v_cmp_gt_u32_e32 vcc, s33, v29
	s_and_saveexec_b64 s[0:1], vcc
	s_cbranch_execnz .LBB2138_108
.LBB2138_88:
	s_or_b64 exec, exec, s[0:1]
	v_cmp_gt_u32_e32 vcc, s33, v28
	s_and_saveexec_b64 s[0:1], vcc
	s_cbranch_execnz .LBB2138_109
.LBB2138_89:
	s_or_b64 exec, exec, s[0:1]
	v_cmp_gt_u32_e32 vcc, s33, v27
	s_and_saveexec_b64 s[0:1], vcc
	s_cbranch_execnz .LBB2138_110
.LBB2138_90:
	s_or_b64 exec, exec, s[0:1]
	v_cmp_gt_u32_e32 vcc, s33, v26
	s_and_saveexec_b64 s[0:1], vcc
	s_cbranch_execnz .LBB2138_111
.LBB2138_91:
	s_or_b64 exec, exec, s[0:1]
	v_cmp_gt_u32_e32 vcc, s33, v25
	s_and_saveexec_b64 s[0:1], vcc
	s_cbranch_execz .LBB2138_93
.LBB2138_92:
	v_cmp_lt_u32_e32 vcc, v25, v34
	s_waitcnt lgkmcnt(3)
	v_lshlrev_b32_e32 v12, 2, v25
	v_mov_b32_e32 v13, 0
	s_waitcnt lgkmcnt(2)
	v_cndmask_b32_e32 v11, v7, v9, vcc
	v_cndmask_b32_e32 v10, v6, v8, vcc
	v_lshl_add_u64 v[10:11], v[10:11], 0, v[12:13]
	s_waitcnt lgkmcnt(1)
	global_store_dword v[10:11], v5, off
.LBB2138_93:
	s_or_b64 exec, exec, s[0:1]
	v_cmp_gt_u32_e64 s[0:1], s33, v24
.LBB2138_94:
	s_and_saveexec_b64 s[2:3], s[0:1]
	s_cbranch_execz .LBB2138_96
; %bb.95:
	v_cmp_lt_u32_e32 vcc, v24, v34
	s_waitcnt lgkmcnt(1)
	s_nop 0
	v_cndmask_b32_e32 v5, v7, v9, vcc
	v_cndmask_b32_e32 v4, v6, v8, vcc
	v_lshlrev_b32_e32 v6, 2, v24
	v_mov_b32_e32 v7, 0
	v_lshl_add_u64 v[4:5], v[4:5], 0, v[6:7]
	s_waitcnt lgkmcnt(0)
	global_store_dword v[4:5], v1, off
.LBB2138_96:
	s_or_b64 exec, exec, s[2:3]
	v_cmp_eq_u32_e32 vcc, 0, v0
	s_and_b64 s[0:1], vcc, s[26:27]
	s_and_saveexec_b64 s[2:3], s[0:1]
	s_cbranch_execz .LBB2138_98
; %bb.97:
	v_mov_b32_e32 v0, 0
	global_store_dwordx2 v0, v[2:3], s[24:25]
.LBB2138_98:
	s_endpgm
.LBB2138_99:
	v_cmp_gt_u32_e32 vcc, v34, v0
	v_mov_b32_e32 v19, 0
	s_nop 0
	v_cndmask_b32_e32 v37, v7, v9, vcc
	v_cndmask_b32_e32 v36, v6, v8, vcc
	v_lshl_add_u64 v[36:37], v[36:37], 0, v[18:19]
	s_waitcnt lgkmcnt(7)
	global_store_dword v[36:37], v22, off
	s_or_b64 exec, exec, s[0:1]
	v_cmp_gt_u32_e32 vcc, s33, v41
	s_and_saveexec_b64 s[0:1], vcc
	s_cbranch_execz .LBB2138_80
.LBB2138_100:
	v_cmp_lt_u32_e32 vcc, v41, v34
	v_mov_b32_e32 v19, 0
	s_nop 0
	v_cndmask_b32_e32 v37, v7, v9, vcc
	v_cndmask_b32_e32 v36, v6, v8, vcc
	v_lshl_add_u64 v[18:19], v[36:37], 0, v[18:19]
	s_waitcnt lgkmcnt(7)
	global_store_dword v[18:19], v23, off offset:2048
	s_or_b64 exec, exec, s[0:1]
	v_cmp_gt_u32_e32 vcc, s33, v40
	s_and_saveexec_b64 s[0:1], vcc
	s_cbranch_execz .LBB2138_81
.LBB2138_101:
	v_cmp_lt_u32_e32 vcc, v40, v34
	s_waitcnt lgkmcnt(7)
	v_lshlrev_b32_e32 v22, 2, v40
	v_mov_b32_e32 v23, 0
	v_cndmask_b32_e32 v19, v7, v9, vcc
	v_cndmask_b32_e32 v18, v6, v8, vcc
	v_lshl_add_u64 v[18:19], v[18:19], 0, v[22:23]
	s_waitcnt lgkmcnt(6)
	global_store_dword v[18:19], v20, off
	s_or_b64 exec, exec, s[0:1]
	v_cmp_gt_u32_e32 vcc, s33, v39
	s_and_saveexec_b64 s[0:1], vcc
	s_cbranch_execz .LBB2138_82
.LBB2138_102:
	v_cmp_lt_u32_e32 vcc, v39, v34
	s_waitcnt lgkmcnt(7)
	v_lshlrev_b32_e32 v22, 2, v39
	v_mov_b32_e32 v23, 0
	v_cndmask_b32_e32 v19, v7, v9, vcc
	v_cndmask_b32_e32 v18, v6, v8, vcc
	v_lshl_add_u64 v[18:19], v[18:19], 0, v[22:23]
	s_waitcnt lgkmcnt(6)
	global_store_dword v[18:19], v21, off
	s_or_b64 exec, exec, s[0:1]
	v_cmp_gt_u32_e32 vcc, s33, v38
	s_and_saveexec_b64 s[0:1], vcc
	s_cbranch_execz .LBB2138_83
.LBB2138_103:
	v_cmp_lt_u32_e32 vcc, v38, v34
	s_waitcnt lgkmcnt(6)
	v_lshlrev_b32_e32 v20, 2, v38
	v_mov_b32_e32 v21, 0
	v_cndmask_b32_e32 v19, v7, v9, vcc
	v_cndmask_b32_e32 v18, v6, v8, vcc
	v_lshl_add_u64 v[18:19], v[18:19], 0, v[20:21]
	s_waitcnt lgkmcnt(5)
	global_store_dword v[18:19], v16, off
	s_or_b64 exec, exec, s[0:1]
	v_cmp_gt_u32_e32 vcc, s33, v33
	s_and_saveexec_b64 s[0:1], vcc
	s_cbranch_execz .LBB2138_84
.LBB2138_104:
	v_cmp_lt_u32_e32 vcc, v33, v34
	s_waitcnt lgkmcnt(6)
	v_lshlrev_b32_e32 v20, 2, v33
	v_mov_b32_e32 v21, 0
	v_cndmask_b32_e32 v19, v7, v9, vcc
	v_cndmask_b32_e32 v18, v6, v8, vcc
	v_lshl_add_u64 v[18:19], v[18:19], 0, v[20:21]
	s_waitcnt lgkmcnt(5)
	global_store_dword v[18:19], v17, off
	s_or_b64 exec, exec, s[0:1]
	v_cmp_gt_u32_e32 vcc, s33, v32
	s_and_saveexec_b64 s[0:1], vcc
	s_cbranch_execz .LBB2138_85
.LBB2138_105:
	v_cmp_lt_u32_e32 vcc, v32, v34
	v_lshlrev_b32_e32 v18, 2, v32
	v_mov_b32_e32 v19, 0
	s_waitcnt lgkmcnt(5)
	v_cndmask_b32_e32 v17, v7, v9, vcc
	v_cndmask_b32_e32 v16, v6, v8, vcc
	v_lshl_add_u64 v[16:17], v[16:17], 0, v[18:19]
	s_waitcnt lgkmcnt(4)
	global_store_dword v[16:17], v14, off
	s_or_b64 exec, exec, s[0:1]
	v_cmp_gt_u32_e32 vcc, s33, v31
	s_and_saveexec_b64 s[0:1], vcc
	s_cbranch_execz .LBB2138_86
.LBB2138_106:
	v_cmp_lt_u32_e32 vcc, v31, v34
	v_lshlrev_b32_e32 v18, 2, v31
	v_mov_b32_e32 v19, 0
	s_waitcnt lgkmcnt(5)
	v_cndmask_b32_e32 v17, v7, v9, vcc
	v_cndmask_b32_e32 v16, v6, v8, vcc
	v_lshl_add_u64 v[16:17], v[16:17], 0, v[18:19]
	s_waitcnt lgkmcnt(4)
	global_store_dword v[16:17], v15, off
	s_or_b64 exec, exec, s[0:1]
	v_cmp_gt_u32_e32 vcc, s33, v30
	s_and_saveexec_b64 s[0:1], vcc
	s_cbranch_execz .LBB2138_87
.LBB2138_107:
	v_cmp_lt_u32_e32 vcc, v30, v34
	s_waitcnt lgkmcnt(5)
	v_lshlrev_b32_e32 v16, 2, v30
	v_mov_b32_e32 v17, 0
	s_waitcnt lgkmcnt(4)
	v_cndmask_b32_e32 v15, v7, v9, vcc
	v_cndmask_b32_e32 v14, v6, v8, vcc
	v_lshl_add_u64 v[14:15], v[14:15], 0, v[16:17]
	s_waitcnt lgkmcnt(3)
	global_store_dword v[14:15], v12, off
	s_or_b64 exec, exec, s[0:1]
	v_cmp_gt_u32_e32 vcc, s33, v29
	s_and_saveexec_b64 s[0:1], vcc
	s_cbranch_execz .LBB2138_88
.LBB2138_108:
	v_cmp_lt_u32_e32 vcc, v29, v34
	s_waitcnt lgkmcnt(5)
	v_lshlrev_b32_e32 v16, 2, v29
	v_mov_b32_e32 v17, 0
	s_waitcnt lgkmcnt(4)
	v_cndmask_b32_e32 v15, v7, v9, vcc
	v_cndmask_b32_e32 v14, v6, v8, vcc
	v_lshl_add_u64 v[14:15], v[14:15], 0, v[16:17]
	s_waitcnt lgkmcnt(3)
	global_store_dword v[14:15], v13, off
	s_or_b64 exec, exec, s[0:1]
	v_cmp_gt_u32_e32 vcc, s33, v28
	s_and_saveexec_b64 s[0:1], vcc
	s_cbranch_execz .LBB2138_89
.LBB2138_109:
	v_cmp_lt_u32_e32 vcc, v28, v34
	s_waitcnt lgkmcnt(4)
	v_lshlrev_b32_e32 v14, 2, v28
	v_mov_b32_e32 v15, 0
	s_waitcnt lgkmcnt(3)
	v_cndmask_b32_e32 v13, v7, v9, vcc
	v_cndmask_b32_e32 v12, v6, v8, vcc
	v_lshl_add_u64 v[12:13], v[12:13], 0, v[14:15]
	s_waitcnt lgkmcnt(2)
	global_store_dword v[12:13], v10, off
	s_or_b64 exec, exec, s[0:1]
	v_cmp_gt_u32_e32 vcc, s33, v27
	s_and_saveexec_b64 s[0:1], vcc
	s_cbranch_execz .LBB2138_90
.LBB2138_110:
	v_cmp_lt_u32_e32 vcc, v27, v34
	s_waitcnt lgkmcnt(4)
	v_lshlrev_b32_e32 v14, 2, v27
	v_mov_b32_e32 v15, 0
	s_waitcnt lgkmcnt(3)
	v_cndmask_b32_e32 v13, v7, v9, vcc
	v_cndmask_b32_e32 v12, v6, v8, vcc
	v_lshl_add_u64 v[12:13], v[12:13], 0, v[14:15]
	s_waitcnt lgkmcnt(2)
	global_store_dword v[12:13], v11, off
	s_or_b64 exec, exec, s[0:1]
	v_cmp_gt_u32_e32 vcc, s33, v26
	s_and_saveexec_b64 s[0:1], vcc
	s_cbranch_execz .LBB2138_91
.LBB2138_111:
	v_cmp_lt_u32_e32 vcc, v26, v34
	s_waitcnt lgkmcnt(3)
	v_lshlrev_b32_e32 v12, 2, v26
	v_mov_b32_e32 v13, 0
	s_waitcnt lgkmcnt(2)
	v_cndmask_b32_e32 v11, v7, v9, vcc
	v_cndmask_b32_e32 v10, v6, v8, vcc
	v_lshl_add_u64 v[10:11], v[10:11], 0, v[12:13]
	s_waitcnt lgkmcnt(1)
	global_store_dword v[10:11], v4, off
	s_or_b64 exec, exec, s[0:1]
	v_cmp_gt_u32_e32 vcc, s33, v25
	s_and_saveexec_b64 s[0:1], vcc
	s_cbranch_execnz .LBB2138_92
	s_branch .LBB2138_93
	.section	.rodata,"a",@progbits
	.p2align	6, 0x0
	.amdhsa_kernel _ZN7rocprim17ROCPRIM_400000_NS6detail17trampoline_kernelINS0_14default_configENS1_25partition_config_selectorILNS1_17partition_subalgoE0EjNS0_10empty_typeEbEEZZNS1_14partition_implILS5_0ELb0ES3_jN6thrust23THRUST_200600_302600_NS6detail15normal_iteratorINSA_10device_ptrIjEEEEPS6_SG_NS0_5tupleIJSF_SF_EEENSH_IJSG_SG_EEES6_PlJ7is_evenIjEEEE10hipError_tPvRmT3_T4_T5_T6_T7_T9_mT8_P12ihipStream_tbDpT10_ENKUlT_T0_E_clISt17integral_constantIbLb0EES16_EEDaS11_S12_EUlS11_E_NS1_11comp_targetILNS1_3genE5ELNS1_11target_archE942ELNS1_3gpuE9ELNS1_3repE0EEENS1_30default_config_static_selectorELNS0_4arch9wavefront6targetE1EEEvT1_
		.amdhsa_group_segment_fixed_size 30728
		.amdhsa_private_segment_fixed_size 0
		.amdhsa_kernarg_size 120
		.amdhsa_user_sgpr_count 2
		.amdhsa_user_sgpr_dispatch_ptr 0
		.amdhsa_user_sgpr_queue_ptr 0
		.amdhsa_user_sgpr_kernarg_segment_ptr 1
		.amdhsa_user_sgpr_dispatch_id 0
		.amdhsa_user_sgpr_kernarg_preload_length 0
		.amdhsa_user_sgpr_kernarg_preload_offset 0
		.amdhsa_user_sgpr_private_segment_size 0
		.amdhsa_uses_dynamic_stack 0
		.amdhsa_enable_private_segment 0
		.amdhsa_system_sgpr_workgroup_id_x 1
		.amdhsa_system_sgpr_workgroup_id_y 0
		.amdhsa_system_sgpr_workgroup_id_z 0
		.amdhsa_system_sgpr_workgroup_info 0
		.amdhsa_system_vgpr_workitem_id 0
		.amdhsa_next_free_vgpr 76
		.amdhsa_next_free_sgpr 44
		.amdhsa_accum_offset 76
		.amdhsa_reserve_vcc 1
		.amdhsa_float_round_mode_32 0
		.amdhsa_float_round_mode_16_64 0
		.amdhsa_float_denorm_mode_32 3
		.amdhsa_float_denorm_mode_16_64 3
		.amdhsa_dx10_clamp 1
		.amdhsa_ieee_mode 1
		.amdhsa_fp16_overflow 0
		.amdhsa_tg_split 0
		.amdhsa_exception_fp_ieee_invalid_op 0
		.amdhsa_exception_fp_denorm_src 0
		.amdhsa_exception_fp_ieee_div_zero 0
		.amdhsa_exception_fp_ieee_overflow 0
		.amdhsa_exception_fp_ieee_underflow 0
		.amdhsa_exception_fp_ieee_inexact 0
		.amdhsa_exception_int_div_zero 0
	.end_amdhsa_kernel
	.section	.text._ZN7rocprim17ROCPRIM_400000_NS6detail17trampoline_kernelINS0_14default_configENS1_25partition_config_selectorILNS1_17partition_subalgoE0EjNS0_10empty_typeEbEEZZNS1_14partition_implILS5_0ELb0ES3_jN6thrust23THRUST_200600_302600_NS6detail15normal_iteratorINSA_10device_ptrIjEEEEPS6_SG_NS0_5tupleIJSF_SF_EEENSH_IJSG_SG_EEES6_PlJ7is_evenIjEEEE10hipError_tPvRmT3_T4_T5_T6_T7_T9_mT8_P12ihipStream_tbDpT10_ENKUlT_T0_E_clISt17integral_constantIbLb0EES16_EEDaS11_S12_EUlS11_E_NS1_11comp_targetILNS1_3genE5ELNS1_11target_archE942ELNS1_3gpuE9ELNS1_3repE0EEENS1_30default_config_static_selectorELNS0_4arch9wavefront6targetE1EEEvT1_,"axG",@progbits,_ZN7rocprim17ROCPRIM_400000_NS6detail17trampoline_kernelINS0_14default_configENS1_25partition_config_selectorILNS1_17partition_subalgoE0EjNS0_10empty_typeEbEEZZNS1_14partition_implILS5_0ELb0ES3_jN6thrust23THRUST_200600_302600_NS6detail15normal_iteratorINSA_10device_ptrIjEEEEPS6_SG_NS0_5tupleIJSF_SF_EEENSH_IJSG_SG_EEES6_PlJ7is_evenIjEEEE10hipError_tPvRmT3_T4_T5_T6_T7_T9_mT8_P12ihipStream_tbDpT10_ENKUlT_T0_E_clISt17integral_constantIbLb0EES16_EEDaS11_S12_EUlS11_E_NS1_11comp_targetILNS1_3genE5ELNS1_11target_archE942ELNS1_3gpuE9ELNS1_3repE0EEENS1_30default_config_static_selectorELNS0_4arch9wavefront6targetE1EEEvT1_,comdat
.Lfunc_end2138:
	.size	_ZN7rocprim17ROCPRIM_400000_NS6detail17trampoline_kernelINS0_14default_configENS1_25partition_config_selectorILNS1_17partition_subalgoE0EjNS0_10empty_typeEbEEZZNS1_14partition_implILS5_0ELb0ES3_jN6thrust23THRUST_200600_302600_NS6detail15normal_iteratorINSA_10device_ptrIjEEEEPS6_SG_NS0_5tupleIJSF_SF_EEENSH_IJSG_SG_EEES6_PlJ7is_evenIjEEEE10hipError_tPvRmT3_T4_T5_T6_T7_T9_mT8_P12ihipStream_tbDpT10_ENKUlT_T0_E_clISt17integral_constantIbLb0EES16_EEDaS11_S12_EUlS11_E_NS1_11comp_targetILNS1_3genE5ELNS1_11target_archE942ELNS1_3gpuE9ELNS1_3repE0EEENS1_30default_config_static_selectorELNS0_4arch9wavefront6targetE1EEEvT1_, .Lfunc_end2138-_ZN7rocprim17ROCPRIM_400000_NS6detail17trampoline_kernelINS0_14default_configENS1_25partition_config_selectorILNS1_17partition_subalgoE0EjNS0_10empty_typeEbEEZZNS1_14partition_implILS5_0ELb0ES3_jN6thrust23THRUST_200600_302600_NS6detail15normal_iteratorINSA_10device_ptrIjEEEEPS6_SG_NS0_5tupleIJSF_SF_EEENSH_IJSG_SG_EEES6_PlJ7is_evenIjEEEE10hipError_tPvRmT3_T4_T5_T6_T7_T9_mT8_P12ihipStream_tbDpT10_ENKUlT_T0_E_clISt17integral_constantIbLb0EES16_EEDaS11_S12_EUlS11_E_NS1_11comp_targetILNS1_3genE5ELNS1_11target_archE942ELNS1_3gpuE9ELNS1_3repE0EEENS1_30default_config_static_selectorELNS0_4arch9wavefront6targetE1EEEvT1_
                                        ; -- End function
	.section	.AMDGPU.csdata,"",@progbits
; Kernel info:
; codeLenInByte = 6620
; NumSgprs: 50
; NumVgprs: 76
; NumAgprs: 0
; TotalNumVgprs: 76
; ScratchSize: 0
; MemoryBound: 0
; FloatMode: 240
; IeeeMode: 1
; LDSByteSize: 30728 bytes/workgroup (compile time only)
; SGPRBlocks: 6
; VGPRBlocks: 9
; NumSGPRsForWavesPerEU: 50
; NumVGPRsForWavesPerEU: 76
; AccumOffset: 76
; Occupancy: 4
; WaveLimiterHint : 1
; COMPUTE_PGM_RSRC2:SCRATCH_EN: 0
; COMPUTE_PGM_RSRC2:USER_SGPR: 2
; COMPUTE_PGM_RSRC2:TRAP_HANDLER: 0
; COMPUTE_PGM_RSRC2:TGID_X_EN: 1
; COMPUTE_PGM_RSRC2:TGID_Y_EN: 0
; COMPUTE_PGM_RSRC2:TGID_Z_EN: 0
; COMPUTE_PGM_RSRC2:TIDIG_COMP_CNT: 0
; COMPUTE_PGM_RSRC3_GFX90A:ACCUM_OFFSET: 18
; COMPUTE_PGM_RSRC3_GFX90A:TG_SPLIT: 0
	.section	.text._ZN7rocprim17ROCPRIM_400000_NS6detail17trampoline_kernelINS0_14default_configENS1_25partition_config_selectorILNS1_17partition_subalgoE0EjNS0_10empty_typeEbEEZZNS1_14partition_implILS5_0ELb0ES3_jN6thrust23THRUST_200600_302600_NS6detail15normal_iteratorINSA_10device_ptrIjEEEEPS6_SG_NS0_5tupleIJSF_SF_EEENSH_IJSG_SG_EEES6_PlJ7is_evenIjEEEE10hipError_tPvRmT3_T4_T5_T6_T7_T9_mT8_P12ihipStream_tbDpT10_ENKUlT_T0_E_clISt17integral_constantIbLb0EES16_EEDaS11_S12_EUlS11_E_NS1_11comp_targetILNS1_3genE4ELNS1_11target_archE910ELNS1_3gpuE8ELNS1_3repE0EEENS1_30default_config_static_selectorELNS0_4arch9wavefront6targetE1EEEvT1_,"axG",@progbits,_ZN7rocprim17ROCPRIM_400000_NS6detail17trampoline_kernelINS0_14default_configENS1_25partition_config_selectorILNS1_17partition_subalgoE0EjNS0_10empty_typeEbEEZZNS1_14partition_implILS5_0ELb0ES3_jN6thrust23THRUST_200600_302600_NS6detail15normal_iteratorINSA_10device_ptrIjEEEEPS6_SG_NS0_5tupleIJSF_SF_EEENSH_IJSG_SG_EEES6_PlJ7is_evenIjEEEE10hipError_tPvRmT3_T4_T5_T6_T7_T9_mT8_P12ihipStream_tbDpT10_ENKUlT_T0_E_clISt17integral_constantIbLb0EES16_EEDaS11_S12_EUlS11_E_NS1_11comp_targetILNS1_3genE4ELNS1_11target_archE910ELNS1_3gpuE8ELNS1_3repE0EEENS1_30default_config_static_selectorELNS0_4arch9wavefront6targetE1EEEvT1_,comdat
	.protected	_ZN7rocprim17ROCPRIM_400000_NS6detail17trampoline_kernelINS0_14default_configENS1_25partition_config_selectorILNS1_17partition_subalgoE0EjNS0_10empty_typeEbEEZZNS1_14partition_implILS5_0ELb0ES3_jN6thrust23THRUST_200600_302600_NS6detail15normal_iteratorINSA_10device_ptrIjEEEEPS6_SG_NS0_5tupleIJSF_SF_EEENSH_IJSG_SG_EEES6_PlJ7is_evenIjEEEE10hipError_tPvRmT3_T4_T5_T6_T7_T9_mT8_P12ihipStream_tbDpT10_ENKUlT_T0_E_clISt17integral_constantIbLb0EES16_EEDaS11_S12_EUlS11_E_NS1_11comp_targetILNS1_3genE4ELNS1_11target_archE910ELNS1_3gpuE8ELNS1_3repE0EEENS1_30default_config_static_selectorELNS0_4arch9wavefront6targetE1EEEvT1_ ; -- Begin function _ZN7rocprim17ROCPRIM_400000_NS6detail17trampoline_kernelINS0_14default_configENS1_25partition_config_selectorILNS1_17partition_subalgoE0EjNS0_10empty_typeEbEEZZNS1_14partition_implILS5_0ELb0ES3_jN6thrust23THRUST_200600_302600_NS6detail15normal_iteratorINSA_10device_ptrIjEEEEPS6_SG_NS0_5tupleIJSF_SF_EEENSH_IJSG_SG_EEES6_PlJ7is_evenIjEEEE10hipError_tPvRmT3_T4_T5_T6_T7_T9_mT8_P12ihipStream_tbDpT10_ENKUlT_T0_E_clISt17integral_constantIbLb0EES16_EEDaS11_S12_EUlS11_E_NS1_11comp_targetILNS1_3genE4ELNS1_11target_archE910ELNS1_3gpuE8ELNS1_3repE0EEENS1_30default_config_static_selectorELNS0_4arch9wavefront6targetE1EEEvT1_
	.globl	_ZN7rocprim17ROCPRIM_400000_NS6detail17trampoline_kernelINS0_14default_configENS1_25partition_config_selectorILNS1_17partition_subalgoE0EjNS0_10empty_typeEbEEZZNS1_14partition_implILS5_0ELb0ES3_jN6thrust23THRUST_200600_302600_NS6detail15normal_iteratorINSA_10device_ptrIjEEEEPS6_SG_NS0_5tupleIJSF_SF_EEENSH_IJSG_SG_EEES6_PlJ7is_evenIjEEEE10hipError_tPvRmT3_T4_T5_T6_T7_T9_mT8_P12ihipStream_tbDpT10_ENKUlT_T0_E_clISt17integral_constantIbLb0EES16_EEDaS11_S12_EUlS11_E_NS1_11comp_targetILNS1_3genE4ELNS1_11target_archE910ELNS1_3gpuE8ELNS1_3repE0EEENS1_30default_config_static_selectorELNS0_4arch9wavefront6targetE1EEEvT1_
	.p2align	8
	.type	_ZN7rocprim17ROCPRIM_400000_NS6detail17trampoline_kernelINS0_14default_configENS1_25partition_config_selectorILNS1_17partition_subalgoE0EjNS0_10empty_typeEbEEZZNS1_14partition_implILS5_0ELb0ES3_jN6thrust23THRUST_200600_302600_NS6detail15normal_iteratorINSA_10device_ptrIjEEEEPS6_SG_NS0_5tupleIJSF_SF_EEENSH_IJSG_SG_EEES6_PlJ7is_evenIjEEEE10hipError_tPvRmT3_T4_T5_T6_T7_T9_mT8_P12ihipStream_tbDpT10_ENKUlT_T0_E_clISt17integral_constantIbLb0EES16_EEDaS11_S12_EUlS11_E_NS1_11comp_targetILNS1_3genE4ELNS1_11target_archE910ELNS1_3gpuE8ELNS1_3repE0EEENS1_30default_config_static_selectorELNS0_4arch9wavefront6targetE1EEEvT1_,@function
_ZN7rocprim17ROCPRIM_400000_NS6detail17trampoline_kernelINS0_14default_configENS1_25partition_config_selectorILNS1_17partition_subalgoE0EjNS0_10empty_typeEbEEZZNS1_14partition_implILS5_0ELb0ES3_jN6thrust23THRUST_200600_302600_NS6detail15normal_iteratorINSA_10device_ptrIjEEEEPS6_SG_NS0_5tupleIJSF_SF_EEENSH_IJSG_SG_EEES6_PlJ7is_evenIjEEEE10hipError_tPvRmT3_T4_T5_T6_T7_T9_mT8_P12ihipStream_tbDpT10_ENKUlT_T0_E_clISt17integral_constantIbLb0EES16_EEDaS11_S12_EUlS11_E_NS1_11comp_targetILNS1_3genE4ELNS1_11target_archE910ELNS1_3gpuE8ELNS1_3repE0EEENS1_30default_config_static_selectorELNS0_4arch9wavefront6targetE1EEEvT1_: ; @_ZN7rocprim17ROCPRIM_400000_NS6detail17trampoline_kernelINS0_14default_configENS1_25partition_config_selectorILNS1_17partition_subalgoE0EjNS0_10empty_typeEbEEZZNS1_14partition_implILS5_0ELb0ES3_jN6thrust23THRUST_200600_302600_NS6detail15normal_iteratorINSA_10device_ptrIjEEEEPS6_SG_NS0_5tupleIJSF_SF_EEENSH_IJSG_SG_EEES6_PlJ7is_evenIjEEEE10hipError_tPvRmT3_T4_T5_T6_T7_T9_mT8_P12ihipStream_tbDpT10_ENKUlT_T0_E_clISt17integral_constantIbLb0EES16_EEDaS11_S12_EUlS11_E_NS1_11comp_targetILNS1_3genE4ELNS1_11target_archE910ELNS1_3gpuE8ELNS1_3repE0EEENS1_30default_config_static_selectorELNS0_4arch9wavefront6targetE1EEEvT1_
; %bb.0:
	.section	.rodata,"a",@progbits
	.p2align	6, 0x0
	.amdhsa_kernel _ZN7rocprim17ROCPRIM_400000_NS6detail17trampoline_kernelINS0_14default_configENS1_25partition_config_selectorILNS1_17partition_subalgoE0EjNS0_10empty_typeEbEEZZNS1_14partition_implILS5_0ELb0ES3_jN6thrust23THRUST_200600_302600_NS6detail15normal_iteratorINSA_10device_ptrIjEEEEPS6_SG_NS0_5tupleIJSF_SF_EEENSH_IJSG_SG_EEES6_PlJ7is_evenIjEEEE10hipError_tPvRmT3_T4_T5_T6_T7_T9_mT8_P12ihipStream_tbDpT10_ENKUlT_T0_E_clISt17integral_constantIbLb0EES16_EEDaS11_S12_EUlS11_E_NS1_11comp_targetILNS1_3genE4ELNS1_11target_archE910ELNS1_3gpuE8ELNS1_3repE0EEENS1_30default_config_static_selectorELNS0_4arch9wavefront6targetE1EEEvT1_
		.amdhsa_group_segment_fixed_size 0
		.amdhsa_private_segment_fixed_size 0
		.amdhsa_kernarg_size 120
		.amdhsa_user_sgpr_count 2
		.amdhsa_user_sgpr_dispatch_ptr 0
		.amdhsa_user_sgpr_queue_ptr 0
		.amdhsa_user_sgpr_kernarg_segment_ptr 1
		.amdhsa_user_sgpr_dispatch_id 0
		.amdhsa_user_sgpr_kernarg_preload_length 0
		.amdhsa_user_sgpr_kernarg_preload_offset 0
		.amdhsa_user_sgpr_private_segment_size 0
		.amdhsa_uses_dynamic_stack 0
		.amdhsa_enable_private_segment 0
		.amdhsa_system_sgpr_workgroup_id_x 1
		.amdhsa_system_sgpr_workgroup_id_y 0
		.amdhsa_system_sgpr_workgroup_id_z 0
		.amdhsa_system_sgpr_workgroup_info 0
		.amdhsa_system_vgpr_workitem_id 0
		.amdhsa_next_free_vgpr 1
		.amdhsa_next_free_sgpr 0
		.amdhsa_accum_offset 4
		.amdhsa_reserve_vcc 0
		.amdhsa_float_round_mode_32 0
		.amdhsa_float_round_mode_16_64 0
		.amdhsa_float_denorm_mode_32 3
		.amdhsa_float_denorm_mode_16_64 3
		.amdhsa_dx10_clamp 1
		.amdhsa_ieee_mode 1
		.amdhsa_fp16_overflow 0
		.amdhsa_tg_split 0
		.amdhsa_exception_fp_ieee_invalid_op 0
		.amdhsa_exception_fp_denorm_src 0
		.amdhsa_exception_fp_ieee_div_zero 0
		.amdhsa_exception_fp_ieee_overflow 0
		.amdhsa_exception_fp_ieee_underflow 0
		.amdhsa_exception_fp_ieee_inexact 0
		.amdhsa_exception_int_div_zero 0
	.end_amdhsa_kernel
	.section	.text._ZN7rocprim17ROCPRIM_400000_NS6detail17trampoline_kernelINS0_14default_configENS1_25partition_config_selectorILNS1_17partition_subalgoE0EjNS0_10empty_typeEbEEZZNS1_14partition_implILS5_0ELb0ES3_jN6thrust23THRUST_200600_302600_NS6detail15normal_iteratorINSA_10device_ptrIjEEEEPS6_SG_NS0_5tupleIJSF_SF_EEENSH_IJSG_SG_EEES6_PlJ7is_evenIjEEEE10hipError_tPvRmT3_T4_T5_T6_T7_T9_mT8_P12ihipStream_tbDpT10_ENKUlT_T0_E_clISt17integral_constantIbLb0EES16_EEDaS11_S12_EUlS11_E_NS1_11comp_targetILNS1_3genE4ELNS1_11target_archE910ELNS1_3gpuE8ELNS1_3repE0EEENS1_30default_config_static_selectorELNS0_4arch9wavefront6targetE1EEEvT1_,"axG",@progbits,_ZN7rocprim17ROCPRIM_400000_NS6detail17trampoline_kernelINS0_14default_configENS1_25partition_config_selectorILNS1_17partition_subalgoE0EjNS0_10empty_typeEbEEZZNS1_14partition_implILS5_0ELb0ES3_jN6thrust23THRUST_200600_302600_NS6detail15normal_iteratorINSA_10device_ptrIjEEEEPS6_SG_NS0_5tupleIJSF_SF_EEENSH_IJSG_SG_EEES6_PlJ7is_evenIjEEEE10hipError_tPvRmT3_T4_T5_T6_T7_T9_mT8_P12ihipStream_tbDpT10_ENKUlT_T0_E_clISt17integral_constantIbLb0EES16_EEDaS11_S12_EUlS11_E_NS1_11comp_targetILNS1_3genE4ELNS1_11target_archE910ELNS1_3gpuE8ELNS1_3repE0EEENS1_30default_config_static_selectorELNS0_4arch9wavefront6targetE1EEEvT1_,comdat
.Lfunc_end2139:
	.size	_ZN7rocprim17ROCPRIM_400000_NS6detail17trampoline_kernelINS0_14default_configENS1_25partition_config_selectorILNS1_17partition_subalgoE0EjNS0_10empty_typeEbEEZZNS1_14partition_implILS5_0ELb0ES3_jN6thrust23THRUST_200600_302600_NS6detail15normal_iteratorINSA_10device_ptrIjEEEEPS6_SG_NS0_5tupleIJSF_SF_EEENSH_IJSG_SG_EEES6_PlJ7is_evenIjEEEE10hipError_tPvRmT3_T4_T5_T6_T7_T9_mT8_P12ihipStream_tbDpT10_ENKUlT_T0_E_clISt17integral_constantIbLb0EES16_EEDaS11_S12_EUlS11_E_NS1_11comp_targetILNS1_3genE4ELNS1_11target_archE910ELNS1_3gpuE8ELNS1_3repE0EEENS1_30default_config_static_selectorELNS0_4arch9wavefront6targetE1EEEvT1_, .Lfunc_end2139-_ZN7rocprim17ROCPRIM_400000_NS6detail17trampoline_kernelINS0_14default_configENS1_25partition_config_selectorILNS1_17partition_subalgoE0EjNS0_10empty_typeEbEEZZNS1_14partition_implILS5_0ELb0ES3_jN6thrust23THRUST_200600_302600_NS6detail15normal_iteratorINSA_10device_ptrIjEEEEPS6_SG_NS0_5tupleIJSF_SF_EEENSH_IJSG_SG_EEES6_PlJ7is_evenIjEEEE10hipError_tPvRmT3_T4_T5_T6_T7_T9_mT8_P12ihipStream_tbDpT10_ENKUlT_T0_E_clISt17integral_constantIbLb0EES16_EEDaS11_S12_EUlS11_E_NS1_11comp_targetILNS1_3genE4ELNS1_11target_archE910ELNS1_3gpuE8ELNS1_3repE0EEENS1_30default_config_static_selectorELNS0_4arch9wavefront6targetE1EEEvT1_
                                        ; -- End function
	.section	.AMDGPU.csdata,"",@progbits
; Kernel info:
; codeLenInByte = 0
; NumSgprs: 6
; NumVgprs: 0
; NumAgprs: 0
; TotalNumVgprs: 0
; ScratchSize: 0
; MemoryBound: 0
; FloatMode: 240
; IeeeMode: 1
; LDSByteSize: 0 bytes/workgroup (compile time only)
; SGPRBlocks: 0
; VGPRBlocks: 0
; NumSGPRsForWavesPerEU: 6
; NumVGPRsForWavesPerEU: 1
; AccumOffset: 4
; Occupancy: 8
; WaveLimiterHint : 0
; COMPUTE_PGM_RSRC2:SCRATCH_EN: 0
; COMPUTE_PGM_RSRC2:USER_SGPR: 2
; COMPUTE_PGM_RSRC2:TRAP_HANDLER: 0
; COMPUTE_PGM_RSRC2:TGID_X_EN: 1
; COMPUTE_PGM_RSRC2:TGID_Y_EN: 0
; COMPUTE_PGM_RSRC2:TGID_Z_EN: 0
; COMPUTE_PGM_RSRC2:TIDIG_COMP_CNT: 0
; COMPUTE_PGM_RSRC3_GFX90A:ACCUM_OFFSET: 0
; COMPUTE_PGM_RSRC3_GFX90A:TG_SPLIT: 0
	.section	.text._ZN7rocprim17ROCPRIM_400000_NS6detail17trampoline_kernelINS0_14default_configENS1_25partition_config_selectorILNS1_17partition_subalgoE0EjNS0_10empty_typeEbEEZZNS1_14partition_implILS5_0ELb0ES3_jN6thrust23THRUST_200600_302600_NS6detail15normal_iteratorINSA_10device_ptrIjEEEEPS6_SG_NS0_5tupleIJSF_SF_EEENSH_IJSG_SG_EEES6_PlJ7is_evenIjEEEE10hipError_tPvRmT3_T4_T5_T6_T7_T9_mT8_P12ihipStream_tbDpT10_ENKUlT_T0_E_clISt17integral_constantIbLb0EES16_EEDaS11_S12_EUlS11_E_NS1_11comp_targetILNS1_3genE3ELNS1_11target_archE908ELNS1_3gpuE7ELNS1_3repE0EEENS1_30default_config_static_selectorELNS0_4arch9wavefront6targetE1EEEvT1_,"axG",@progbits,_ZN7rocprim17ROCPRIM_400000_NS6detail17trampoline_kernelINS0_14default_configENS1_25partition_config_selectorILNS1_17partition_subalgoE0EjNS0_10empty_typeEbEEZZNS1_14partition_implILS5_0ELb0ES3_jN6thrust23THRUST_200600_302600_NS6detail15normal_iteratorINSA_10device_ptrIjEEEEPS6_SG_NS0_5tupleIJSF_SF_EEENSH_IJSG_SG_EEES6_PlJ7is_evenIjEEEE10hipError_tPvRmT3_T4_T5_T6_T7_T9_mT8_P12ihipStream_tbDpT10_ENKUlT_T0_E_clISt17integral_constantIbLb0EES16_EEDaS11_S12_EUlS11_E_NS1_11comp_targetILNS1_3genE3ELNS1_11target_archE908ELNS1_3gpuE7ELNS1_3repE0EEENS1_30default_config_static_selectorELNS0_4arch9wavefront6targetE1EEEvT1_,comdat
	.protected	_ZN7rocprim17ROCPRIM_400000_NS6detail17trampoline_kernelINS0_14default_configENS1_25partition_config_selectorILNS1_17partition_subalgoE0EjNS0_10empty_typeEbEEZZNS1_14partition_implILS5_0ELb0ES3_jN6thrust23THRUST_200600_302600_NS6detail15normal_iteratorINSA_10device_ptrIjEEEEPS6_SG_NS0_5tupleIJSF_SF_EEENSH_IJSG_SG_EEES6_PlJ7is_evenIjEEEE10hipError_tPvRmT3_T4_T5_T6_T7_T9_mT8_P12ihipStream_tbDpT10_ENKUlT_T0_E_clISt17integral_constantIbLb0EES16_EEDaS11_S12_EUlS11_E_NS1_11comp_targetILNS1_3genE3ELNS1_11target_archE908ELNS1_3gpuE7ELNS1_3repE0EEENS1_30default_config_static_selectorELNS0_4arch9wavefront6targetE1EEEvT1_ ; -- Begin function _ZN7rocprim17ROCPRIM_400000_NS6detail17trampoline_kernelINS0_14default_configENS1_25partition_config_selectorILNS1_17partition_subalgoE0EjNS0_10empty_typeEbEEZZNS1_14partition_implILS5_0ELb0ES3_jN6thrust23THRUST_200600_302600_NS6detail15normal_iteratorINSA_10device_ptrIjEEEEPS6_SG_NS0_5tupleIJSF_SF_EEENSH_IJSG_SG_EEES6_PlJ7is_evenIjEEEE10hipError_tPvRmT3_T4_T5_T6_T7_T9_mT8_P12ihipStream_tbDpT10_ENKUlT_T0_E_clISt17integral_constantIbLb0EES16_EEDaS11_S12_EUlS11_E_NS1_11comp_targetILNS1_3genE3ELNS1_11target_archE908ELNS1_3gpuE7ELNS1_3repE0EEENS1_30default_config_static_selectorELNS0_4arch9wavefront6targetE1EEEvT1_
	.globl	_ZN7rocprim17ROCPRIM_400000_NS6detail17trampoline_kernelINS0_14default_configENS1_25partition_config_selectorILNS1_17partition_subalgoE0EjNS0_10empty_typeEbEEZZNS1_14partition_implILS5_0ELb0ES3_jN6thrust23THRUST_200600_302600_NS6detail15normal_iteratorINSA_10device_ptrIjEEEEPS6_SG_NS0_5tupleIJSF_SF_EEENSH_IJSG_SG_EEES6_PlJ7is_evenIjEEEE10hipError_tPvRmT3_T4_T5_T6_T7_T9_mT8_P12ihipStream_tbDpT10_ENKUlT_T0_E_clISt17integral_constantIbLb0EES16_EEDaS11_S12_EUlS11_E_NS1_11comp_targetILNS1_3genE3ELNS1_11target_archE908ELNS1_3gpuE7ELNS1_3repE0EEENS1_30default_config_static_selectorELNS0_4arch9wavefront6targetE1EEEvT1_
	.p2align	8
	.type	_ZN7rocprim17ROCPRIM_400000_NS6detail17trampoline_kernelINS0_14default_configENS1_25partition_config_selectorILNS1_17partition_subalgoE0EjNS0_10empty_typeEbEEZZNS1_14partition_implILS5_0ELb0ES3_jN6thrust23THRUST_200600_302600_NS6detail15normal_iteratorINSA_10device_ptrIjEEEEPS6_SG_NS0_5tupleIJSF_SF_EEENSH_IJSG_SG_EEES6_PlJ7is_evenIjEEEE10hipError_tPvRmT3_T4_T5_T6_T7_T9_mT8_P12ihipStream_tbDpT10_ENKUlT_T0_E_clISt17integral_constantIbLb0EES16_EEDaS11_S12_EUlS11_E_NS1_11comp_targetILNS1_3genE3ELNS1_11target_archE908ELNS1_3gpuE7ELNS1_3repE0EEENS1_30default_config_static_selectorELNS0_4arch9wavefront6targetE1EEEvT1_,@function
_ZN7rocprim17ROCPRIM_400000_NS6detail17trampoline_kernelINS0_14default_configENS1_25partition_config_selectorILNS1_17partition_subalgoE0EjNS0_10empty_typeEbEEZZNS1_14partition_implILS5_0ELb0ES3_jN6thrust23THRUST_200600_302600_NS6detail15normal_iteratorINSA_10device_ptrIjEEEEPS6_SG_NS0_5tupleIJSF_SF_EEENSH_IJSG_SG_EEES6_PlJ7is_evenIjEEEE10hipError_tPvRmT3_T4_T5_T6_T7_T9_mT8_P12ihipStream_tbDpT10_ENKUlT_T0_E_clISt17integral_constantIbLb0EES16_EEDaS11_S12_EUlS11_E_NS1_11comp_targetILNS1_3genE3ELNS1_11target_archE908ELNS1_3gpuE7ELNS1_3repE0EEENS1_30default_config_static_selectorELNS0_4arch9wavefront6targetE1EEEvT1_: ; @_ZN7rocprim17ROCPRIM_400000_NS6detail17trampoline_kernelINS0_14default_configENS1_25partition_config_selectorILNS1_17partition_subalgoE0EjNS0_10empty_typeEbEEZZNS1_14partition_implILS5_0ELb0ES3_jN6thrust23THRUST_200600_302600_NS6detail15normal_iteratorINSA_10device_ptrIjEEEEPS6_SG_NS0_5tupleIJSF_SF_EEENSH_IJSG_SG_EEES6_PlJ7is_evenIjEEEE10hipError_tPvRmT3_T4_T5_T6_T7_T9_mT8_P12ihipStream_tbDpT10_ENKUlT_T0_E_clISt17integral_constantIbLb0EES16_EEDaS11_S12_EUlS11_E_NS1_11comp_targetILNS1_3genE3ELNS1_11target_archE908ELNS1_3gpuE7ELNS1_3repE0EEENS1_30default_config_static_selectorELNS0_4arch9wavefront6targetE1EEEvT1_
; %bb.0:
	.section	.rodata,"a",@progbits
	.p2align	6, 0x0
	.amdhsa_kernel _ZN7rocprim17ROCPRIM_400000_NS6detail17trampoline_kernelINS0_14default_configENS1_25partition_config_selectorILNS1_17partition_subalgoE0EjNS0_10empty_typeEbEEZZNS1_14partition_implILS5_0ELb0ES3_jN6thrust23THRUST_200600_302600_NS6detail15normal_iteratorINSA_10device_ptrIjEEEEPS6_SG_NS0_5tupleIJSF_SF_EEENSH_IJSG_SG_EEES6_PlJ7is_evenIjEEEE10hipError_tPvRmT3_T4_T5_T6_T7_T9_mT8_P12ihipStream_tbDpT10_ENKUlT_T0_E_clISt17integral_constantIbLb0EES16_EEDaS11_S12_EUlS11_E_NS1_11comp_targetILNS1_3genE3ELNS1_11target_archE908ELNS1_3gpuE7ELNS1_3repE0EEENS1_30default_config_static_selectorELNS0_4arch9wavefront6targetE1EEEvT1_
		.amdhsa_group_segment_fixed_size 0
		.amdhsa_private_segment_fixed_size 0
		.amdhsa_kernarg_size 120
		.amdhsa_user_sgpr_count 2
		.amdhsa_user_sgpr_dispatch_ptr 0
		.amdhsa_user_sgpr_queue_ptr 0
		.amdhsa_user_sgpr_kernarg_segment_ptr 1
		.amdhsa_user_sgpr_dispatch_id 0
		.amdhsa_user_sgpr_kernarg_preload_length 0
		.amdhsa_user_sgpr_kernarg_preload_offset 0
		.amdhsa_user_sgpr_private_segment_size 0
		.amdhsa_uses_dynamic_stack 0
		.amdhsa_enable_private_segment 0
		.amdhsa_system_sgpr_workgroup_id_x 1
		.amdhsa_system_sgpr_workgroup_id_y 0
		.amdhsa_system_sgpr_workgroup_id_z 0
		.amdhsa_system_sgpr_workgroup_info 0
		.amdhsa_system_vgpr_workitem_id 0
		.amdhsa_next_free_vgpr 1
		.amdhsa_next_free_sgpr 0
		.amdhsa_accum_offset 4
		.amdhsa_reserve_vcc 0
		.amdhsa_float_round_mode_32 0
		.amdhsa_float_round_mode_16_64 0
		.amdhsa_float_denorm_mode_32 3
		.amdhsa_float_denorm_mode_16_64 3
		.amdhsa_dx10_clamp 1
		.amdhsa_ieee_mode 1
		.amdhsa_fp16_overflow 0
		.amdhsa_tg_split 0
		.amdhsa_exception_fp_ieee_invalid_op 0
		.amdhsa_exception_fp_denorm_src 0
		.amdhsa_exception_fp_ieee_div_zero 0
		.amdhsa_exception_fp_ieee_overflow 0
		.amdhsa_exception_fp_ieee_underflow 0
		.amdhsa_exception_fp_ieee_inexact 0
		.amdhsa_exception_int_div_zero 0
	.end_amdhsa_kernel
	.section	.text._ZN7rocprim17ROCPRIM_400000_NS6detail17trampoline_kernelINS0_14default_configENS1_25partition_config_selectorILNS1_17partition_subalgoE0EjNS0_10empty_typeEbEEZZNS1_14partition_implILS5_0ELb0ES3_jN6thrust23THRUST_200600_302600_NS6detail15normal_iteratorINSA_10device_ptrIjEEEEPS6_SG_NS0_5tupleIJSF_SF_EEENSH_IJSG_SG_EEES6_PlJ7is_evenIjEEEE10hipError_tPvRmT3_T4_T5_T6_T7_T9_mT8_P12ihipStream_tbDpT10_ENKUlT_T0_E_clISt17integral_constantIbLb0EES16_EEDaS11_S12_EUlS11_E_NS1_11comp_targetILNS1_3genE3ELNS1_11target_archE908ELNS1_3gpuE7ELNS1_3repE0EEENS1_30default_config_static_selectorELNS0_4arch9wavefront6targetE1EEEvT1_,"axG",@progbits,_ZN7rocprim17ROCPRIM_400000_NS6detail17trampoline_kernelINS0_14default_configENS1_25partition_config_selectorILNS1_17partition_subalgoE0EjNS0_10empty_typeEbEEZZNS1_14partition_implILS5_0ELb0ES3_jN6thrust23THRUST_200600_302600_NS6detail15normal_iteratorINSA_10device_ptrIjEEEEPS6_SG_NS0_5tupleIJSF_SF_EEENSH_IJSG_SG_EEES6_PlJ7is_evenIjEEEE10hipError_tPvRmT3_T4_T5_T6_T7_T9_mT8_P12ihipStream_tbDpT10_ENKUlT_T0_E_clISt17integral_constantIbLb0EES16_EEDaS11_S12_EUlS11_E_NS1_11comp_targetILNS1_3genE3ELNS1_11target_archE908ELNS1_3gpuE7ELNS1_3repE0EEENS1_30default_config_static_selectorELNS0_4arch9wavefront6targetE1EEEvT1_,comdat
.Lfunc_end2140:
	.size	_ZN7rocprim17ROCPRIM_400000_NS6detail17trampoline_kernelINS0_14default_configENS1_25partition_config_selectorILNS1_17partition_subalgoE0EjNS0_10empty_typeEbEEZZNS1_14partition_implILS5_0ELb0ES3_jN6thrust23THRUST_200600_302600_NS6detail15normal_iteratorINSA_10device_ptrIjEEEEPS6_SG_NS0_5tupleIJSF_SF_EEENSH_IJSG_SG_EEES6_PlJ7is_evenIjEEEE10hipError_tPvRmT3_T4_T5_T6_T7_T9_mT8_P12ihipStream_tbDpT10_ENKUlT_T0_E_clISt17integral_constantIbLb0EES16_EEDaS11_S12_EUlS11_E_NS1_11comp_targetILNS1_3genE3ELNS1_11target_archE908ELNS1_3gpuE7ELNS1_3repE0EEENS1_30default_config_static_selectorELNS0_4arch9wavefront6targetE1EEEvT1_, .Lfunc_end2140-_ZN7rocprim17ROCPRIM_400000_NS6detail17trampoline_kernelINS0_14default_configENS1_25partition_config_selectorILNS1_17partition_subalgoE0EjNS0_10empty_typeEbEEZZNS1_14partition_implILS5_0ELb0ES3_jN6thrust23THRUST_200600_302600_NS6detail15normal_iteratorINSA_10device_ptrIjEEEEPS6_SG_NS0_5tupleIJSF_SF_EEENSH_IJSG_SG_EEES6_PlJ7is_evenIjEEEE10hipError_tPvRmT3_T4_T5_T6_T7_T9_mT8_P12ihipStream_tbDpT10_ENKUlT_T0_E_clISt17integral_constantIbLb0EES16_EEDaS11_S12_EUlS11_E_NS1_11comp_targetILNS1_3genE3ELNS1_11target_archE908ELNS1_3gpuE7ELNS1_3repE0EEENS1_30default_config_static_selectorELNS0_4arch9wavefront6targetE1EEEvT1_
                                        ; -- End function
	.section	.AMDGPU.csdata,"",@progbits
; Kernel info:
; codeLenInByte = 0
; NumSgprs: 6
; NumVgprs: 0
; NumAgprs: 0
; TotalNumVgprs: 0
; ScratchSize: 0
; MemoryBound: 0
; FloatMode: 240
; IeeeMode: 1
; LDSByteSize: 0 bytes/workgroup (compile time only)
; SGPRBlocks: 0
; VGPRBlocks: 0
; NumSGPRsForWavesPerEU: 6
; NumVGPRsForWavesPerEU: 1
; AccumOffset: 4
; Occupancy: 8
; WaveLimiterHint : 0
; COMPUTE_PGM_RSRC2:SCRATCH_EN: 0
; COMPUTE_PGM_RSRC2:USER_SGPR: 2
; COMPUTE_PGM_RSRC2:TRAP_HANDLER: 0
; COMPUTE_PGM_RSRC2:TGID_X_EN: 1
; COMPUTE_PGM_RSRC2:TGID_Y_EN: 0
; COMPUTE_PGM_RSRC2:TGID_Z_EN: 0
; COMPUTE_PGM_RSRC2:TIDIG_COMP_CNT: 0
; COMPUTE_PGM_RSRC3_GFX90A:ACCUM_OFFSET: 0
; COMPUTE_PGM_RSRC3_GFX90A:TG_SPLIT: 0
	.section	.text._ZN7rocprim17ROCPRIM_400000_NS6detail17trampoline_kernelINS0_14default_configENS1_25partition_config_selectorILNS1_17partition_subalgoE0EjNS0_10empty_typeEbEEZZNS1_14partition_implILS5_0ELb0ES3_jN6thrust23THRUST_200600_302600_NS6detail15normal_iteratorINSA_10device_ptrIjEEEEPS6_SG_NS0_5tupleIJSF_SF_EEENSH_IJSG_SG_EEES6_PlJ7is_evenIjEEEE10hipError_tPvRmT3_T4_T5_T6_T7_T9_mT8_P12ihipStream_tbDpT10_ENKUlT_T0_E_clISt17integral_constantIbLb0EES16_EEDaS11_S12_EUlS11_E_NS1_11comp_targetILNS1_3genE2ELNS1_11target_archE906ELNS1_3gpuE6ELNS1_3repE0EEENS1_30default_config_static_selectorELNS0_4arch9wavefront6targetE1EEEvT1_,"axG",@progbits,_ZN7rocprim17ROCPRIM_400000_NS6detail17trampoline_kernelINS0_14default_configENS1_25partition_config_selectorILNS1_17partition_subalgoE0EjNS0_10empty_typeEbEEZZNS1_14partition_implILS5_0ELb0ES3_jN6thrust23THRUST_200600_302600_NS6detail15normal_iteratorINSA_10device_ptrIjEEEEPS6_SG_NS0_5tupleIJSF_SF_EEENSH_IJSG_SG_EEES6_PlJ7is_evenIjEEEE10hipError_tPvRmT3_T4_T5_T6_T7_T9_mT8_P12ihipStream_tbDpT10_ENKUlT_T0_E_clISt17integral_constantIbLb0EES16_EEDaS11_S12_EUlS11_E_NS1_11comp_targetILNS1_3genE2ELNS1_11target_archE906ELNS1_3gpuE6ELNS1_3repE0EEENS1_30default_config_static_selectorELNS0_4arch9wavefront6targetE1EEEvT1_,comdat
	.protected	_ZN7rocprim17ROCPRIM_400000_NS6detail17trampoline_kernelINS0_14default_configENS1_25partition_config_selectorILNS1_17partition_subalgoE0EjNS0_10empty_typeEbEEZZNS1_14partition_implILS5_0ELb0ES3_jN6thrust23THRUST_200600_302600_NS6detail15normal_iteratorINSA_10device_ptrIjEEEEPS6_SG_NS0_5tupleIJSF_SF_EEENSH_IJSG_SG_EEES6_PlJ7is_evenIjEEEE10hipError_tPvRmT3_T4_T5_T6_T7_T9_mT8_P12ihipStream_tbDpT10_ENKUlT_T0_E_clISt17integral_constantIbLb0EES16_EEDaS11_S12_EUlS11_E_NS1_11comp_targetILNS1_3genE2ELNS1_11target_archE906ELNS1_3gpuE6ELNS1_3repE0EEENS1_30default_config_static_selectorELNS0_4arch9wavefront6targetE1EEEvT1_ ; -- Begin function _ZN7rocprim17ROCPRIM_400000_NS6detail17trampoline_kernelINS0_14default_configENS1_25partition_config_selectorILNS1_17partition_subalgoE0EjNS0_10empty_typeEbEEZZNS1_14partition_implILS5_0ELb0ES3_jN6thrust23THRUST_200600_302600_NS6detail15normal_iteratorINSA_10device_ptrIjEEEEPS6_SG_NS0_5tupleIJSF_SF_EEENSH_IJSG_SG_EEES6_PlJ7is_evenIjEEEE10hipError_tPvRmT3_T4_T5_T6_T7_T9_mT8_P12ihipStream_tbDpT10_ENKUlT_T0_E_clISt17integral_constantIbLb0EES16_EEDaS11_S12_EUlS11_E_NS1_11comp_targetILNS1_3genE2ELNS1_11target_archE906ELNS1_3gpuE6ELNS1_3repE0EEENS1_30default_config_static_selectorELNS0_4arch9wavefront6targetE1EEEvT1_
	.globl	_ZN7rocprim17ROCPRIM_400000_NS6detail17trampoline_kernelINS0_14default_configENS1_25partition_config_selectorILNS1_17partition_subalgoE0EjNS0_10empty_typeEbEEZZNS1_14partition_implILS5_0ELb0ES3_jN6thrust23THRUST_200600_302600_NS6detail15normal_iteratorINSA_10device_ptrIjEEEEPS6_SG_NS0_5tupleIJSF_SF_EEENSH_IJSG_SG_EEES6_PlJ7is_evenIjEEEE10hipError_tPvRmT3_T4_T5_T6_T7_T9_mT8_P12ihipStream_tbDpT10_ENKUlT_T0_E_clISt17integral_constantIbLb0EES16_EEDaS11_S12_EUlS11_E_NS1_11comp_targetILNS1_3genE2ELNS1_11target_archE906ELNS1_3gpuE6ELNS1_3repE0EEENS1_30default_config_static_selectorELNS0_4arch9wavefront6targetE1EEEvT1_
	.p2align	8
	.type	_ZN7rocprim17ROCPRIM_400000_NS6detail17trampoline_kernelINS0_14default_configENS1_25partition_config_selectorILNS1_17partition_subalgoE0EjNS0_10empty_typeEbEEZZNS1_14partition_implILS5_0ELb0ES3_jN6thrust23THRUST_200600_302600_NS6detail15normal_iteratorINSA_10device_ptrIjEEEEPS6_SG_NS0_5tupleIJSF_SF_EEENSH_IJSG_SG_EEES6_PlJ7is_evenIjEEEE10hipError_tPvRmT3_T4_T5_T6_T7_T9_mT8_P12ihipStream_tbDpT10_ENKUlT_T0_E_clISt17integral_constantIbLb0EES16_EEDaS11_S12_EUlS11_E_NS1_11comp_targetILNS1_3genE2ELNS1_11target_archE906ELNS1_3gpuE6ELNS1_3repE0EEENS1_30default_config_static_selectorELNS0_4arch9wavefront6targetE1EEEvT1_,@function
_ZN7rocprim17ROCPRIM_400000_NS6detail17trampoline_kernelINS0_14default_configENS1_25partition_config_selectorILNS1_17partition_subalgoE0EjNS0_10empty_typeEbEEZZNS1_14partition_implILS5_0ELb0ES3_jN6thrust23THRUST_200600_302600_NS6detail15normal_iteratorINSA_10device_ptrIjEEEEPS6_SG_NS0_5tupleIJSF_SF_EEENSH_IJSG_SG_EEES6_PlJ7is_evenIjEEEE10hipError_tPvRmT3_T4_T5_T6_T7_T9_mT8_P12ihipStream_tbDpT10_ENKUlT_T0_E_clISt17integral_constantIbLb0EES16_EEDaS11_S12_EUlS11_E_NS1_11comp_targetILNS1_3genE2ELNS1_11target_archE906ELNS1_3gpuE6ELNS1_3repE0EEENS1_30default_config_static_selectorELNS0_4arch9wavefront6targetE1EEEvT1_: ; @_ZN7rocprim17ROCPRIM_400000_NS6detail17trampoline_kernelINS0_14default_configENS1_25partition_config_selectorILNS1_17partition_subalgoE0EjNS0_10empty_typeEbEEZZNS1_14partition_implILS5_0ELb0ES3_jN6thrust23THRUST_200600_302600_NS6detail15normal_iteratorINSA_10device_ptrIjEEEEPS6_SG_NS0_5tupleIJSF_SF_EEENSH_IJSG_SG_EEES6_PlJ7is_evenIjEEEE10hipError_tPvRmT3_T4_T5_T6_T7_T9_mT8_P12ihipStream_tbDpT10_ENKUlT_T0_E_clISt17integral_constantIbLb0EES16_EEDaS11_S12_EUlS11_E_NS1_11comp_targetILNS1_3genE2ELNS1_11target_archE906ELNS1_3gpuE6ELNS1_3repE0EEENS1_30default_config_static_selectorELNS0_4arch9wavefront6targetE1EEEvT1_
; %bb.0:
	.section	.rodata,"a",@progbits
	.p2align	6, 0x0
	.amdhsa_kernel _ZN7rocprim17ROCPRIM_400000_NS6detail17trampoline_kernelINS0_14default_configENS1_25partition_config_selectorILNS1_17partition_subalgoE0EjNS0_10empty_typeEbEEZZNS1_14partition_implILS5_0ELb0ES3_jN6thrust23THRUST_200600_302600_NS6detail15normal_iteratorINSA_10device_ptrIjEEEEPS6_SG_NS0_5tupleIJSF_SF_EEENSH_IJSG_SG_EEES6_PlJ7is_evenIjEEEE10hipError_tPvRmT3_T4_T5_T6_T7_T9_mT8_P12ihipStream_tbDpT10_ENKUlT_T0_E_clISt17integral_constantIbLb0EES16_EEDaS11_S12_EUlS11_E_NS1_11comp_targetILNS1_3genE2ELNS1_11target_archE906ELNS1_3gpuE6ELNS1_3repE0EEENS1_30default_config_static_selectorELNS0_4arch9wavefront6targetE1EEEvT1_
		.amdhsa_group_segment_fixed_size 0
		.amdhsa_private_segment_fixed_size 0
		.amdhsa_kernarg_size 120
		.amdhsa_user_sgpr_count 2
		.amdhsa_user_sgpr_dispatch_ptr 0
		.amdhsa_user_sgpr_queue_ptr 0
		.amdhsa_user_sgpr_kernarg_segment_ptr 1
		.amdhsa_user_sgpr_dispatch_id 0
		.amdhsa_user_sgpr_kernarg_preload_length 0
		.amdhsa_user_sgpr_kernarg_preload_offset 0
		.amdhsa_user_sgpr_private_segment_size 0
		.amdhsa_uses_dynamic_stack 0
		.amdhsa_enable_private_segment 0
		.amdhsa_system_sgpr_workgroup_id_x 1
		.amdhsa_system_sgpr_workgroup_id_y 0
		.amdhsa_system_sgpr_workgroup_id_z 0
		.amdhsa_system_sgpr_workgroup_info 0
		.amdhsa_system_vgpr_workitem_id 0
		.amdhsa_next_free_vgpr 1
		.amdhsa_next_free_sgpr 0
		.amdhsa_accum_offset 4
		.amdhsa_reserve_vcc 0
		.amdhsa_float_round_mode_32 0
		.amdhsa_float_round_mode_16_64 0
		.amdhsa_float_denorm_mode_32 3
		.amdhsa_float_denorm_mode_16_64 3
		.amdhsa_dx10_clamp 1
		.amdhsa_ieee_mode 1
		.amdhsa_fp16_overflow 0
		.amdhsa_tg_split 0
		.amdhsa_exception_fp_ieee_invalid_op 0
		.amdhsa_exception_fp_denorm_src 0
		.amdhsa_exception_fp_ieee_div_zero 0
		.amdhsa_exception_fp_ieee_overflow 0
		.amdhsa_exception_fp_ieee_underflow 0
		.amdhsa_exception_fp_ieee_inexact 0
		.amdhsa_exception_int_div_zero 0
	.end_amdhsa_kernel
	.section	.text._ZN7rocprim17ROCPRIM_400000_NS6detail17trampoline_kernelINS0_14default_configENS1_25partition_config_selectorILNS1_17partition_subalgoE0EjNS0_10empty_typeEbEEZZNS1_14partition_implILS5_0ELb0ES3_jN6thrust23THRUST_200600_302600_NS6detail15normal_iteratorINSA_10device_ptrIjEEEEPS6_SG_NS0_5tupleIJSF_SF_EEENSH_IJSG_SG_EEES6_PlJ7is_evenIjEEEE10hipError_tPvRmT3_T4_T5_T6_T7_T9_mT8_P12ihipStream_tbDpT10_ENKUlT_T0_E_clISt17integral_constantIbLb0EES16_EEDaS11_S12_EUlS11_E_NS1_11comp_targetILNS1_3genE2ELNS1_11target_archE906ELNS1_3gpuE6ELNS1_3repE0EEENS1_30default_config_static_selectorELNS0_4arch9wavefront6targetE1EEEvT1_,"axG",@progbits,_ZN7rocprim17ROCPRIM_400000_NS6detail17trampoline_kernelINS0_14default_configENS1_25partition_config_selectorILNS1_17partition_subalgoE0EjNS0_10empty_typeEbEEZZNS1_14partition_implILS5_0ELb0ES3_jN6thrust23THRUST_200600_302600_NS6detail15normal_iteratorINSA_10device_ptrIjEEEEPS6_SG_NS0_5tupleIJSF_SF_EEENSH_IJSG_SG_EEES6_PlJ7is_evenIjEEEE10hipError_tPvRmT3_T4_T5_T6_T7_T9_mT8_P12ihipStream_tbDpT10_ENKUlT_T0_E_clISt17integral_constantIbLb0EES16_EEDaS11_S12_EUlS11_E_NS1_11comp_targetILNS1_3genE2ELNS1_11target_archE906ELNS1_3gpuE6ELNS1_3repE0EEENS1_30default_config_static_selectorELNS0_4arch9wavefront6targetE1EEEvT1_,comdat
.Lfunc_end2141:
	.size	_ZN7rocprim17ROCPRIM_400000_NS6detail17trampoline_kernelINS0_14default_configENS1_25partition_config_selectorILNS1_17partition_subalgoE0EjNS0_10empty_typeEbEEZZNS1_14partition_implILS5_0ELb0ES3_jN6thrust23THRUST_200600_302600_NS6detail15normal_iteratorINSA_10device_ptrIjEEEEPS6_SG_NS0_5tupleIJSF_SF_EEENSH_IJSG_SG_EEES6_PlJ7is_evenIjEEEE10hipError_tPvRmT3_T4_T5_T6_T7_T9_mT8_P12ihipStream_tbDpT10_ENKUlT_T0_E_clISt17integral_constantIbLb0EES16_EEDaS11_S12_EUlS11_E_NS1_11comp_targetILNS1_3genE2ELNS1_11target_archE906ELNS1_3gpuE6ELNS1_3repE0EEENS1_30default_config_static_selectorELNS0_4arch9wavefront6targetE1EEEvT1_, .Lfunc_end2141-_ZN7rocprim17ROCPRIM_400000_NS6detail17trampoline_kernelINS0_14default_configENS1_25partition_config_selectorILNS1_17partition_subalgoE0EjNS0_10empty_typeEbEEZZNS1_14partition_implILS5_0ELb0ES3_jN6thrust23THRUST_200600_302600_NS6detail15normal_iteratorINSA_10device_ptrIjEEEEPS6_SG_NS0_5tupleIJSF_SF_EEENSH_IJSG_SG_EEES6_PlJ7is_evenIjEEEE10hipError_tPvRmT3_T4_T5_T6_T7_T9_mT8_P12ihipStream_tbDpT10_ENKUlT_T0_E_clISt17integral_constantIbLb0EES16_EEDaS11_S12_EUlS11_E_NS1_11comp_targetILNS1_3genE2ELNS1_11target_archE906ELNS1_3gpuE6ELNS1_3repE0EEENS1_30default_config_static_selectorELNS0_4arch9wavefront6targetE1EEEvT1_
                                        ; -- End function
	.section	.AMDGPU.csdata,"",@progbits
; Kernel info:
; codeLenInByte = 0
; NumSgprs: 6
; NumVgprs: 0
; NumAgprs: 0
; TotalNumVgprs: 0
; ScratchSize: 0
; MemoryBound: 0
; FloatMode: 240
; IeeeMode: 1
; LDSByteSize: 0 bytes/workgroup (compile time only)
; SGPRBlocks: 0
; VGPRBlocks: 0
; NumSGPRsForWavesPerEU: 6
; NumVGPRsForWavesPerEU: 1
; AccumOffset: 4
; Occupancy: 8
; WaveLimiterHint : 0
; COMPUTE_PGM_RSRC2:SCRATCH_EN: 0
; COMPUTE_PGM_RSRC2:USER_SGPR: 2
; COMPUTE_PGM_RSRC2:TRAP_HANDLER: 0
; COMPUTE_PGM_RSRC2:TGID_X_EN: 1
; COMPUTE_PGM_RSRC2:TGID_Y_EN: 0
; COMPUTE_PGM_RSRC2:TGID_Z_EN: 0
; COMPUTE_PGM_RSRC2:TIDIG_COMP_CNT: 0
; COMPUTE_PGM_RSRC3_GFX90A:ACCUM_OFFSET: 0
; COMPUTE_PGM_RSRC3_GFX90A:TG_SPLIT: 0
	.section	.text._ZN7rocprim17ROCPRIM_400000_NS6detail17trampoline_kernelINS0_14default_configENS1_25partition_config_selectorILNS1_17partition_subalgoE0EjNS0_10empty_typeEbEEZZNS1_14partition_implILS5_0ELb0ES3_jN6thrust23THRUST_200600_302600_NS6detail15normal_iteratorINSA_10device_ptrIjEEEEPS6_SG_NS0_5tupleIJSF_SF_EEENSH_IJSG_SG_EEES6_PlJ7is_evenIjEEEE10hipError_tPvRmT3_T4_T5_T6_T7_T9_mT8_P12ihipStream_tbDpT10_ENKUlT_T0_E_clISt17integral_constantIbLb0EES16_EEDaS11_S12_EUlS11_E_NS1_11comp_targetILNS1_3genE10ELNS1_11target_archE1200ELNS1_3gpuE4ELNS1_3repE0EEENS1_30default_config_static_selectorELNS0_4arch9wavefront6targetE1EEEvT1_,"axG",@progbits,_ZN7rocprim17ROCPRIM_400000_NS6detail17trampoline_kernelINS0_14default_configENS1_25partition_config_selectorILNS1_17partition_subalgoE0EjNS0_10empty_typeEbEEZZNS1_14partition_implILS5_0ELb0ES3_jN6thrust23THRUST_200600_302600_NS6detail15normal_iteratorINSA_10device_ptrIjEEEEPS6_SG_NS0_5tupleIJSF_SF_EEENSH_IJSG_SG_EEES6_PlJ7is_evenIjEEEE10hipError_tPvRmT3_T4_T5_T6_T7_T9_mT8_P12ihipStream_tbDpT10_ENKUlT_T0_E_clISt17integral_constantIbLb0EES16_EEDaS11_S12_EUlS11_E_NS1_11comp_targetILNS1_3genE10ELNS1_11target_archE1200ELNS1_3gpuE4ELNS1_3repE0EEENS1_30default_config_static_selectorELNS0_4arch9wavefront6targetE1EEEvT1_,comdat
	.protected	_ZN7rocprim17ROCPRIM_400000_NS6detail17trampoline_kernelINS0_14default_configENS1_25partition_config_selectorILNS1_17partition_subalgoE0EjNS0_10empty_typeEbEEZZNS1_14partition_implILS5_0ELb0ES3_jN6thrust23THRUST_200600_302600_NS6detail15normal_iteratorINSA_10device_ptrIjEEEEPS6_SG_NS0_5tupleIJSF_SF_EEENSH_IJSG_SG_EEES6_PlJ7is_evenIjEEEE10hipError_tPvRmT3_T4_T5_T6_T7_T9_mT8_P12ihipStream_tbDpT10_ENKUlT_T0_E_clISt17integral_constantIbLb0EES16_EEDaS11_S12_EUlS11_E_NS1_11comp_targetILNS1_3genE10ELNS1_11target_archE1200ELNS1_3gpuE4ELNS1_3repE0EEENS1_30default_config_static_selectorELNS0_4arch9wavefront6targetE1EEEvT1_ ; -- Begin function _ZN7rocprim17ROCPRIM_400000_NS6detail17trampoline_kernelINS0_14default_configENS1_25partition_config_selectorILNS1_17partition_subalgoE0EjNS0_10empty_typeEbEEZZNS1_14partition_implILS5_0ELb0ES3_jN6thrust23THRUST_200600_302600_NS6detail15normal_iteratorINSA_10device_ptrIjEEEEPS6_SG_NS0_5tupleIJSF_SF_EEENSH_IJSG_SG_EEES6_PlJ7is_evenIjEEEE10hipError_tPvRmT3_T4_T5_T6_T7_T9_mT8_P12ihipStream_tbDpT10_ENKUlT_T0_E_clISt17integral_constantIbLb0EES16_EEDaS11_S12_EUlS11_E_NS1_11comp_targetILNS1_3genE10ELNS1_11target_archE1200ELNS1_3gpuE4ELNS1_3repE0EEENS1_30default_config_static_selectorELNS0_4arch9wavefront6targetE1EEEvT1_
	.globl	_ZN7rocprim17ROCPRIM_400000_NS6detail17trampoline_kernelINS0_14default_configENS1_25partition_config_selectorILNS1_17partition_subalgoE0EjNS0_10empty_typeEbEEZZNS1_14partition_implILS5_0ELb0ES3_jN6thrust23THRUST_200600_302600_NS6detail15normal_iteratorINSA_10device_ptrIjEEEEPS6_SG_NS0_5tupleIJSF_SF_EEENSH_IJSG_SG_EEES6_PlJ7is_evenIjEEEE10hipError_tPvRmT3_T4_T5_T6_T7_T9_mT8_P12ihipStream_tbDpT10_ENKUlT_T0_E_clISt17integral_constantIbLb0EES16_EEDaS11_S12_EUlS11_E_NS1_11comp_targetILNS1_3genE10ELNS1_11target_archE1200ELNS1_3gpuE4ELNS1_3repE0EEENS1_30default_config_static_selectorELNS0_4arch9wavefront6targetE1EEEvT1_
	.p2align	8
	.type	_ZN7rocprim17ROCPRIM_400000_NS6detail17trampoline_kernelINS0_14default_configENS1_25partition_config_selectorILNS1_17partition_subalgoE0EjNS0_10empty_typeEbEEZZNS1_14partition_implILS5_0ELb0ES3_jN6thrust23THRUST_200600_302600_NS6detail15normal_iteratorINSA_10device_ptrIjEEEEPS6_SG_NS0_5tupleIJSF_SF_EEENSH_IJSG_SG_EEES6_PlJ7is_evenIjEEEE10hipError_tPvRmT3_T4_T5_T6_T7_T9_mT8_P12ihipStream_tbDpT10_ENKUlT_T0_E_clISt17integral_constantIbLb0EES16_EEDaS11_S12_EUlS11_E_NS1_11comp_targetILNS1_3genE10ELNS1_11target_archE1200ELNS1_3gpuE4ELNS1_3repE0EEENS1_30default_config_static_selectorELNS0_4arch9wavefront6targetE1EEEvT1_,@function
_ZN7rocprim17ROCPRIM_400000_NS6detail17trampoline_kernelINS0_14default_configENS1_25partition_config_selectorILNS1_17partition_subalgoE0EjNS0_10empty_typeEbEEZZNS1_14partition_implILS5_0ELb0ES3_jN6thrust23THRUST_200600_302600_NS6detail15normal_iteratorINSA_10device_ptrIjEEEEPS6_SG_NS0_5tupleIJSF_SF_EEENSH_IJSG_SG_EEES6_PlJ7is_evenIjEEEE10hipError_tPvRmT3_T4_T5_T6_T7_T9_mT8_P12ihipStream_tbDpT10_ENKUlT_T0_E_clISt17integral_constantIbLb0EES16_EEDaS11_S12_EUlS11_E_NS1_11comp_targetILNS1_3genE10ELNS1_11target_archE1200ELNS1_3gpuE4ELNS1_3repE0EEENS1_30default_config_static_selectorELNS0_4arch9wavefront6targetE1EEEvT1_: ; @_ZN7rocprim17ROCPRIM_400000_NS6detail17trampoline_kernelINS0_14default_configENS1_25partition_config_selectorILNS1_17partition_subalgoE0EjNS0_10empty_typeEbEEZZNS1_14partition_implILS5_0ELb0ES3_jN6thrust23THRUST_200600_302600_NS6detail15normal_iteratorINSA_10device_ptrIjEEEEPS6_SG_NS0_5tupleIJSF_SF_EEENSH_IJSG_SG_EEES6_PlJ7is_evenIjEEEE10hipError_tPvRmT3_T4_T5_T6_T7_T9_mT8_P12ihipStream_tbDpT10_ENKUlT_T0_E_clISt17integral_constantIbLb0EES16_EEDaS11_S12_EUlS11_E_NS1_11comp_targetILNS1_3genE10ELNS1_11target_archE1200ELNS1_3gpuE4ELNS1_3repE0EEENS1_30default_config_static_selectorELNS0_4arch9wavefront6targetE1EEEvT1_
; %bb.0:
	.section	.rodata,"a",@progbits
	.p2align	6, 0x0
	.amdhsa_kernel _ZN7rocprim17ROCPRIM_400000_NS6detail17trampoline_kernelINS0_14default_configENS1_25partition_config_selectorILNS1_17partition_subalgoE0EjNS0_10empty_typeEbEEZZNS1_14partition_implILS5_0ELb0ES3_jN6thrust23THRUST_200600_302600_NS6detail15normal_iteratorINSA_10device_ptrIjEEEEPS6_SG_NS0_5tupleIJSF_SF_EEENSH_IJSG_SG_EEES6_PlJ7is_evenIjEEEE10hipError_tPvRmT3_T4_T5_T6_T7_T9_mT8_P12ihipStream_tbDpT10_ENKUlT_T0_E_clISt17integral_constantIbLb0EES16_EEDaS11_S12_EUlS11_E_NS1_11comp_targetILNS1_3genE10ELNS1_11target_archE1200ELNS1_3gpuE4ELNS1_3repE0EEENS1_30default_config_static_selectorELNS0_4arch9wavefront6targetE1EEEvT1_
		.amdhsa_group_segment_fixed_size 0
		.amdhsa_private_segment_fixed_size 0
		.amdhsa_kernarg_size 120
		.amdhsa_user_sgpr_count 2
		.amdhsa_user_sgpr_dispatch_ptr 0
		.amdhsa_user_sgpr_queue_ptr 0
		.amdhsa_user_sgpr_kernarg_segment_ptr 1
		.amdhsa_user_sgpr_dispatch_id 0
		.amdhsa_user_sgpr_kernarg_preload_length 0
		.amdhsa_user_sgpr_kernarg_preload_offset 0
		.amdhsa_user_sgpr_private_segment_size 0
		.amdhsa_uses_dynamic_stack 0
		.amdhsa_enable_private_segment 0
		.amdhsa_system_sgpr_workgroup_id_x 1
		.amdhsa_system_sgpr_workgroup_id_y 0
		.amdhsa_system_sgpr_workgroup_id_z 0
		.amdhsa_system_sgpr_workgroup_info 0
		.amdhsa_system_vgpr_workitem_id 0
		.amdhsa_next_free_vgpr 1
		.amdhsa_next_free_sgpr 0
		.amdhsa_accum_offset 4
		.amdhsa_reserve_vcc 0
		.amdhsa_float_round_mode_32 0
		.amdhsa_float_round_mode_16_64 0
		.amdhsa_float_denorm_mode_32 3
		.amdhsa_float_denorm_mode_16_64 3
		.amdhsa_dx10_clamp 1
		.amdhsa_ieee_mode 1
		.amdhsa_fp16_overflow 0
		.amdhsa_tg_split 0
		.amdhsa_exception_fp_ieee_invalid_op 0
		.amdhsa_exception_fp_denorm_src 0
		.amdhsa_exception_fp_ieee_div_zero 0
		.amdhsa_exception_fp_ieee_overflow 0
		.amdhsa_exception_fp_ieee_underflow 0
		.amdhsa_exception_fp_ieee_inexact 0
		.amdhsa_exception_int_div_zero 0
	.end_amdhsa_kernel
	.section	.text._ZN7rocprim17ROCPRIM_400000_NS6detail17trampoline_kernelINS0_14default_configENS1_25partition_config_selectorILNS1_17partition_subalgoE0EjNS0_10empty_typeEbEEZZNS1_14partition_implILS5_0ELb0ES3_jN6thrust23THRUST_200600_302600_NS6detail15normal_iteratorINSA_10device_ptrIjEEEEPS6_SG_NS0_5tupleIJSF_SF_EEENSH_IJSG_SG_EEES6_PlJ7is_evenIjEEEE10hipError_tPvRmT3_T4_T5_T6_T7_T9_mT8_P12ihipStream_tbDpT10_ENKUlT_T0_E_clISt17integral_constantIbLb0EES16_EEDaS11_S12_EUlS11_E_NS1_11comp_targetILNS1_3genE10ELNS1_11target_archE1200ELNS1_3gpuE4ELNS1_3repE0EEENS1_30default_config_static_selectorELNS0_4arch9wavefront6targetE1EEEvT1_,"axG",@progbits,_ZN7rocprim17ROCPRIM_400000_NS6detail17trampoline_kernelINS0_14default_configENS1_25partition_config_selectorILNS1_17partition_subalgoE0EjNS0_10empty_typeEbEEZZNS1_14partition_implILS5_0ELb0ES3_jN6thrust23THRUST_200600_302600_NS6detail15normal_iteratorINSA_10device_ptrIjEEEEPS6_SG_NS0_5tupleIJSF_SF_EEENSH_IJSG_SG_EEES6_PlJ7is_evenIjEEEE10hipError_tPvRmT3_T4_T5_T6_T7_T9_mT8_P12ihipStream_tbDpT10_ENKUlT_T0_E_clISt17integral_constantIbLb0EES16_EEDaS11_S12_EUlS11_E_NS1_11comp_targetILNS1_3genE10ELNS1_11target_archE1200ELNS1_3gpuE4ELNS1_3repE0EEENS1_30default_config_static_selectorELNS0_4arch9wavefront6targetE1EEEvT1_,comdat
.Lfunc_end2142:
	.size	_ZN7rocprim17ROCPRIM_400000_NS6detail17trampoline_kernelINS0_14default_configENS1_25partition_config_selectorILNS1_17partition_subalgoE0EjNS0_10empty_typeEbEEZZNS1_14partition_implILS5_0ELb0ES3_jN6thrust23THRUST_200600_302600_NS6detail15normal_iteratorINSA_10device_ptrIjEEEEPS6_SG_NS0_5tupleIJSF_SF_EEENSH_IJSG_SG_EEES6_PlJ7is_evenIjEEEE10hipError_tPvRmT3_T4_T5_T6_T7_T9_mT8_P12ihipStream_tbDpT10_ENKUlT_T0_E_clISt17integral_constantIbLb0EES16_EEDaS11_S12_EUlS11_E_NS1_11comp_targetILNS1_3genE10ELNS1_11target_archE1200ELNS1_3gpuE4ELNS1_3repE0EEENS1_30default_config_static_selectorELNS0_4arch9wavefront6targetE1EEEvT1_, .Lfunc_end2142-_ZN7rocprim17ROCPRIM_400000_NS6detail17trampoline_kernelINS0_14default_configENS1_25partition_config_selectorILNS1_17partition_subalgoE0EjNS0_10empty_typeEbEEZZNS1_14partition_implILS5_0ELb0ES3_jN6thrust23THRUST_200600_302600_NS6detail15normal_iteratorINSA_10device_ptrIjEEEEPS6_SG_NS0_5tupleIJSF_SF_EEENSH_IJSG_SG_EEES6_PlJ7is_evenIjEEEE10hipError_tPvRmT3_T4_T5_T6_T7_T9_mT8_P12ihipStream_tbDpT10_ENKUlT_T0_E_clISt17integral_constantIbLb0EES16_EEDaS11_S12_EUlS11_E_NS1_11comp_targetILNS1_3genE10ELNS1_11target_archE1200ELNS1_3gpuE4ELNS1_3repE0EEENS1_30default_config_static_selectorELNS0_4arch9wavefront6targetE1EEEvT1_
                                        ; -- End function
	.section	.AMDGPU.csdata,"",@progbits
; Kernel info:
; codeLenInByte = 0
; NumSgprs: 6
; NumVgprs: 0
; NumAgprs: 0
; TotalNumVgprs: 0
; ScratchSize: 0
; MemoryBound: 0
; FloatMode: 240
; IeeeMode: 1
; LDSByteSize: 0 bytes/workgroup (compile time only)
; SGPRBlocks: 0
; VGPRBlocks: 0
; NumSGPRsForWavesPerEU: 6
; NumVGPRsForWavesPerEU: 1
; AccumOffset: 4
; Occupancy: 8
; WaveLimiterHint : 0
; COMPUTE_PGM_RSRC2:SCRATCH_EN: 0
; COMPUTE_PGM_RSRC2:USER_SGPR: 2
; COMPUTE_PGM_RSRC2:TRAP_HANDLER: 0
; COMPUTE_PGM_RSRC2:TGID_X_EN: 1
; COMPUTE_PGM_RSRC2:TGID_Y_EN: 0
; COMPUTE_PGM_RSRC2:TGID_Z_EN: 0
; COMPUTE_PGM_RSRC2:TIDIG_COMP_CNT: 0
; COMPUTE_PGM_RSRC3_GFX90A:ACCUM_OFFSET: 0
; COMPUTE_PGM_RSRC3_GFX90A:TG_SPLIT: 0
	.section	.text._ZN7rocprim17ROCPRIM_400000_NS6detail17trampoline_kernelINS0_14default_configENS1_25partition_config_selectorILNS1_17partition_subalgoE0EjNS0_10empty_typeEbEEZZNS1_14partition_implILS5_0ELb0ES3_jN6thrust23THRUST_200600_302600_NS6detail15normal_iteratorINSA_10device_ptrIjEEEEPS6_SG_NS0_5tupleIJSF_SF_EEENSH_IJSG_SG_EEES6_PlJ7is_evenIjEEEE10hipError_tPvRmT3_T4_T5_T6_T7_T9_mT8_P12ihipStream_tbDpT10_ENKUlT_T0_E_clISt17integral_constantIbLb0EES16_EEDaS11_S12_EUlS11_E_NS1_11comp_targetILNS1_3genE9ELNS1_11target_archE1100ELNS1_3gpuE3ELNS1_3repE0EEENS1_30default_config_static_selectorELNS0_4arch9wavefront6targetE1EEEvT1_,"axG",@progbits,_ZN7rocprim17ROCPRIM_400000_NS6detail17trampoline_kernelINS0_14default_configENS1_25partition_config_selectorILNS1_17partition_subalgoE0EjNS0_10empty_typeEbEEZZNS1_14partition_implILS5_0ELb0ES3_jN6thrust23THRUST_200600_302600_NS6detail15normal_iteratorINSA_10device_ptrIjEEEEPS6_SG_NS0_5tupleIJSF_SF_EEENSH_IJSG_SG_EEES6_PlJ7is_evenIjEEEE10hipError_tPvRmT3_T4_T5_T6_T7_T9_mT8_P12ihipStream_tbDpT10_ENKUlT_T0_E_clISt17integral_constantIbLb0EES16_EEDaS11_S12_EUlS11_E_NS1_11comp_targetILNS1_3genE9ELNS1_11target_archE1100ELNS1_3gpuE3ELNS1_3repE0EEENS1_30default_config_static_selectorELNS0_4arch9wavefront6targetE1EEEvT1_,comdat
	.protected	_ZN7rocprim17ROCPRIM_400000_NS6detail17trampoline_kernelINS0_14default_configENS1_25partition_config_selectorILNS1_17partition_subalgoE0EjNS0_10empty_typeEbEEZZNS1_14partition_implILS5_0ELb0ES3_jN6thrust23THRUST_200600_302600_NS6detail15normal_iteratorINSA_10device_ptrIjEEEEPS6_SG_NS0_5tupleIJSF_SF_EEENSH_IJSG_SG_EEES6_PlJ7is_evenIjEEEE10hipError_tPvRmT3_T4_T5_T6_T7_T9_mT8_P12ihipStream_tbDpT10_ENKUlT_T0_E_clISt17integral_constantIbLb0EES16_EEDaS11_S12_EUlS11_E_NS1_11comp_targetILNS1_3genE9ELNS1_11target_archE1100ELNS1_3gpuE3ELNS1_3repE0EEENS1_30default_config_static_selectorELNS0_4arch9wavefront6targetE1EEEvT1_ ; -- Begin function _ZN7rocprim17ROCPRIM_400000_NS6detail17trampoline_kernelINS0_14default_configENS1_25partition_config_selectorILNS1_17partition_subalgoE0EjNS0_10empty_typeEbEEZZNS1_14partition_implILS5_0ELb0ES3_jN6thrust23THRUST_200600_302600_NS6detail15normal_iteratorINSA_10device_ptrIjEEEEPS6_SG_NS0_5tupleIJSF_SF_EEENSH_IJSG_SG_EEES6_PlJ7is_evenIjEEEE10hipError_tPvRmT3_T4_T5_T6_T7_T9_mT8_P12ihipStream_tbDpT10_ENKUlT_T0_E_clISt17integral_constantIbLb0EES16_EEDaS11_S12_EUlS11_E_NS1_11comp_targetILNS1_3genE9ELNS1_11target_archE1100ELNS1_3gpuE3ELNS1_3repE0EEENS1_30default_config_static_selectorELNS0_4arch9wavefront6targetE1EEEvT1_
	.globl	_ZN7rocprim17ROCPRIM_400000_NS6detail17trampoline_kernelINS0_14default_configENS1_25partition_config_selectorILNS1_17partition_subalgoE0EjNS0_10empty_typeEbEEZZNS1_14partition_implILS5_0ELb0ES3_jN6thrust23THRUST_200600_302600_NS6detail15normal_iteratorINSA_10device_ptrIjEEEEPS6_SG_NS0_5tupleIJSF_SF_EEENSH_IJSG_SG_EEES6_PlJ7is_evenIjEEEE10hipError_tPvRmT3_T4_T5_T6_T7_T9_mT8_P12ihipStream_tbDpT10_ENKUlT_T0_E_clISt17integral_constantIbLb0EES16_EEDaS11_S12_EUlS11_E_NS1_11comp_targetILNS1_3genE9ELNS1_11target_archE1100ELNS1_3gpuE3ELNS1_3repE0EEENS1_30default_config_static_selectorELNS0_4arch9wavefront6targetE1EEEvT1_
	.p2align	8
	.type	_ZN7rocprim17ROCPRIM_400000_NS6detail17trampoline_kernelINS0_14default_configENS1_25partition_config_selectorILNS1_17partition_subalgoE0EjNS0_10empty_typeEbEEZZNS1_14partition_implILS5_0ELb0ES3_jN6thrust23THRUST_200600_302600_NS6detail15normal_iteratorINSA_10device_ptrIjEEEEPS6_SG_NS0_5tupleIJSF_SF_EEENSH_IJSG_SG_EEES6_PlJ7is_evenIjEEEE10hipError_tPvRmT3_T4_T5_T6_T7_T9_mT8_P12ihipStream_tbDpT10_ENKUlT_T0_E_clISt17integral_constantIbLb0EES16_EEDaS11_S12_EUlS11_E_NS1_11comp_targetILNS1_3genE9ELNS1_11target_archE1100ELNS1_3gpuE3ELNS1_3repE0EEENS1_30default_config_static_selectorELNS0_4arch9wavefront6targetE1EEEvT1_,@function
_ZN7rocprim17ROCPRIM_400000_NS6detail17trampoline_kernelINS0_14default_configENS1_25partition_config_selectorILNS1_17partition_subalgoE0EjNS0_10empty_typeEbEEZZNS1_14partition_implILS5_0ELb0ES3_jN6thrust23THRUST_200600_302600_NS6detail15normal_iteratorINSA_10device_ptrIjEEEEPS6_SG_NS0_5tupleIJSF_SF_EEENSH_IJSG_SG_EEES6_PlJ7is_evenIjEEEE10hipError_tPvRmT3_T4_T5_T6_T7_T9_mT8_P12ihipStream_tbDpT10_ENKUlT_T0_E_clISt17integral_constantIbLb0EES16_EEDaS11_S12_EUlS11_E_NS1_11comp_targetILNS1_3genE9ELNS1_11target_archE1100ELNS1_3gpuE3ELNS1_3repE0EEENS1_30default_config_static_selectorELNS0_4arch9wavefront6targetE1EEEvT1_: ; @_ZN7rocprim17ROCPRIM_400000_NS6detail17trampoline_kernelINS0_14default_configENS1_25partition_config_selectorILNS1_17partition_subalgoE0EjNS0_10empty_typeEbEEZZNS1_14partition_implILS5_0ELb0ES3_jN6thrust23THRUST_200600_302600_NS6detail15normal_iteratorINSA_10device_ptrIjEEEEPS6_SG_NS0_5tupleIJSF_SF_EEENSH_IJSG_SG_EEES6_PlJ7is_evenIjEEEE10hipError_tPvRmT3_T4_T5_T6_T7_T9_mT8_P12ihipStream_tbDpT10_ENKUlT_T0_E_clISt17integral_constantIbLb0EES16_EEDaS11_S12_EUlS11_E_NS1_11comp_targetILNS1_3genE9ELNS1_11target_archE1100ELNS1_3gpuE3ELNS1_3repE0EEENS1_30default_config_static_selectorELNS0_4arch9wavefront6targetE1EEEvT1_
; %bb.0:
	.section	.rodata,"a",@progbits
	.p2align	6, 0x0
	.amdhsa_kernel _ZN7rocprim17ROCPRIM_400000_NS6detail17trampoline_kernelINS0_14default_configENS1_25partition_config_selectorILNS1_17partition_subalgoE0EjNS0_10empty_typeEbEEZZNS1_14partition_implILS5_0ELb0ES3_jN6thrust23THRUST_200600_302600_NS6detail15normal_iteratorINSA_10device_ptrIjEEEEPS6_SG_NS0_5tupleIJSF_SF_EEENSH_IJSG_SG_EEES6_PlJ7is_evenIjEEEE10hipError_tPvRmT3_T4_T5_T6_T7_T9_mT8_P12ihipStream_tbDpT10_ENKUlT_T0_E_clISt17integral_constantIbLb0EES16_EEDaS11_S12_EUlS11_E_NS1_11comp_targetILNS1_3genE9ELNS1_11target_archE1100ELNS1_3gpuE3ELNS1_3repE0EEENS1_30default_config_static_selectorELNS0_4arch9wavefront6targetE1EEEvT1_
		.amdhsa_group_segment_fixed_size 0
		.amdhsa_private_segment_fixed_size 0
		.amdhsa_kernarg_size 120
		.amdhsa_user_sgpr_count 2
		.amdhsa_user_sgpr_dispatch_ptr 0
		.amdhsa_user_sgpr_queue_ptr 0
		.amdhsa_user_sgpr_kernarg_segment_ptr 1
		.amdhsa_user_sgpr_dispatch_id 0
		.amdhsa_user_sgpr_kernarg_preload_length 0
		.amdhsa_user_sgpr_kernarg_preload_offset 0
		.amdhsa_user_sgpr_private_segment_size 0
		.amdhsa_uses_dynamic_stack 0
		.amdhsa_enable_private_segment 0
		.amdhsa_system_sgpr_workgroup_id_x 1
		.amdhsa_system_sgpr_workgroup_id_y 0
		.amdhsa_system_sgpr_workgroup_id_z 0
		.amdhsa_system_sgpr_workgroup_info 0
		.amdhsa_system_vgpr_workitem_id 0
		.amdhsa_next_free_vgpr 1
		.amdhsa_next_free_sgpr 0
		.amdhsa_accum_offset 4
		.amdhsa_reserve_vcc 0
		.amdhsa_float_round_mode_32 0
		.amdhsa_float_round_mode_16_64 0
		.amdhsa_float_denorm_mode_32 3
		.amdhsa_float_denorm_mode_16_64 3
		.amdhsa_dx10_clamp 1
		.amdhsa_ieee_mode 1
		.amdhsa_fp16_overflow 0
		.amdhsa_tg_split 0
		.amdhsa_exception_fp_ieee_invalid_op 0
		.amdhsa_exception_fp_denorm_src 0
		.amdhsa_exception_fp_ieee_div_zero 0
		.amdhsa_exception_fp_ieee_overflow 0
		.amdhsa_exception_fp_ieee_underflow 0
		.amdhsa_exception_fp_ieee_inexact 0
		.amdhsa_exception_int_div_zero 0
	.end_amdhsa_kernel
	.section	.text._ZN7rocprim17ROCPRIM_400000_NS6detail17trampoline_kernelINS0_14default_configENS1_25partition_config_selectorILNS1_17partition_subalgoE0EjNS0_10empty_typeEbEEZZNS1_14partition_implILS5_0ELb0ES3_jN6thrust23THRUST_200600_302600_NS6detail15normal_iteratorINSA_10device_ptrIjEEEEPS6_SG_NS0_5tupleIJSF_SF_EEENSH_IJSG_SG_EEES6_PlJ7is_evenIjEEEE10hipError_tPvRmT3_T4_T5_T6_T7_T9_mT8_P12ihipStream_tbDpT10_ENKUlT_T0_E_clISt17integral_constantIbLb0EES16_EEDaS11_S12_EUlS11_E_NS1_11comp_targetILNS1_3genE9ELNS1_11target_archE1100ELNS1_3gpuE3ELNS1_3repE0EEENS1_30default_config_static_selectorELNS0_4arch9wavefront6targetE1EEEvT1_,"axG",@progbits,_ZN7rocprim17ROCPRIM_400000_NS6detail17trampoline_kernelINS0_14default_configENS1_25partition_config_selectorILNS1_17partition_subalgoE0EjNS0_10empty_typeEbEEZZNS1_14partition_implILS5_0ELb0ES3_jN6thrust23THRUST_200600_302600_NS6detail15normal_iteratorINSA_10device_ptrIjEEEEPS6_SG_NS0_5tupleIJSF_SF_EEENSH_IJSG_SG_EEES6_PlJ7is_evenIjEEEE10hipError_tPvRmT3_T4_T5_T6_T7_T9_mT8_P12ihipStream_tbDpT10_ENKUlT_T0_E_clISt17integral_constantIbLb0EES16_EEDaS11_S12_EUlS11_E_NS1_11comp_targetILNS1_3genE9ELNS1_11target_archE1100ELNS1_3gpuE3ELNS1_3repE0EEENS1_30default_config_static_selectorELNS0_4arch9wavefront6targetE1EEEvT1_,comdat
.Lfunc_end2143:
	.size	_ZN7rocprim17ROCPRIM_400000_NS6detail17trampoline_kernelINS0_14default_configENS1_25partition_config_selectorILNS1_17partition_subalgoE0EjNS0_10empty_typeEbEEZZNS1_14partition_implILS5_0ELb0ES3_jN6thrust23THRUST_200600_302600_NS6detail15normal_iteratorINSA_10device_ptrIjEEEEPS6_SG_NS0_5tupleIJSF_SF_EEENSH_IJSG_SG_EEES6_PlJ7is_evenIjEEEE10hipError_tPvRmT3_T4_T5_T6_T7_T9_mT8_P12ihipStream_tbDpT10_ENKUlT_T0_E_clISt17integral_constantIbLb0EES16_EEDaS11_S12_EUlS11_E_NS1_11comp_targetILNS1_3genE9ELNS1_11target_archE1100ELNS1_3gpuE3ELNS1_3repE0EEENS1_30default_config_static_selectorELNS0_4arch9wavefront6targetE1EEEvT1_, .Lfunc_end2143-_ZN7rocprim17ROCPRIM_400000_NS6detail17trampoline_kernelINS0_14default_configENS1_25partition_config_selectorILNS1_17partition_subalgoE0EjNS0_10empty_typeEbEEZZNS1_14partition_implILS5_0ELb0ES3_jN6thrust23THRUST_200600_302600_NS6detail15normal_iteratorINSA_10device_ptrIjEEEEPS6_SG_NS0_5tupleIJSF_SF_EEENSH_IJSG_SG_EEES6_PlJ7is_evenIjEEEE10hipError_tPvRmT3_T4_T5_T6_T7_T9_mT8_P12ihipStream_tbDpT10_ENKUlT_T0_E_clISt17integral_constantIbLb0EES16_EEDaS11_S12_EUlS11_E_NS1_11comp_targetILNS1_3genE9ELNS1_11target_archE1100ELNS1_3gpuE3ELNS1_3repE0EEENS1_30default_config_static_selectorELNS0_4arch9wavefront6targetE1EEEvT1_
                                        ; -- End function
	.section	.AMDGPU.csdata,"",@progbits
; Kernel info:
; codeLenInByte = 0
; NumSgprs: 6
; NumVgprs: 0
; NumAgprs: 0
; TotalNumVgprs: 0
; ScratchSize: 0
; MemoryBound: 0
; FloatMode: 240
; IeeeMode: 1
; LDSByteSize: 0 bytes/workgroup (compile time only)
; SGPRBlocks: 0
; VGPRBlocks: 0
; NumSGPRsForWavesPerEU: 6
; NumVGPRsForWavesPerEU: 1
; AccumOffset: 4
; Occupancy: 8
; WaveLimiterHint : 0
; COMPUTE_PGM_RSRC2:SCRATCH_EN: 0
; COMPUTE_PGM_RSRC2:USER_SGPR: 2
; COMPUTE_PGM_RSRC2:TRAP_HANDLER: 0
; COMPUTE_PGM_RSRC2:TGID_X_EN: 1
; COMPUTE_PGM_RSRC2:TGID_Y_EN: 0
; COMPUTE_PGM_RSRC2:TGID_Z_EN: 0
; COMPUTE_PGM_RSRC2:TIDIG_COMP_CNT: 0
; COMPUTE_PGM_RSRC3_GFX90A:ACCUM_OFFSET: 0
; COMPUTE_PGM_RSRC3_GFX90A:TG_SPLIT: 0
	.section	.text._ZN7rocprim17ROCPRIM_400000_NS6detail17trampoline_kernelINS0_14default_configENS1_25partition_config_selectorILNS1_17partition_subalgoE0EjNS0_10empty_typeEbEEZZNS1_14partition_implILS5_0ELb0ES3_jN6thrust23THRUST_200600_302600_NS6detail15normal_iteratorINSA_10device_ptrIjEEEEPS6_SG_NS0_5tupleIJSF_SF_EEENSH_IJSG_SG_EEES6_PlJ7is_evenIjEEEE10hipError_tPvRmT3_T4_T5_T6_T7_T9_mT8_P12ihipStream_tbDpT10_ENKUlT_T0_E_clISt17integral_constantIbLb0EES16_EEDaS11_S12_EUlS11_E_NS1_11comp_targetILNS1_3genE8ELNS1_11target_archE1030ELNS1_3gpuE2ELNS1_3repE0EEENS1_30default_config_static_selectorELNS0_4arch9wavefront6targetE1EEEvT1_,"axG",@progbits,_ZN7rocprim17ROCPRIM_400000_NS6detail17trampoline_kernelINS0_14default_configENS1_25partition_config_selectorILNS1_17partition_subalgoE0EjNS0_10empty_typeEbEEZZNS1_14partition_implILS5_0ELb0ES3_jN6thrust23THRUST_200600_302600_NS6detail15normal_iteratorINSA_10device_ptrIjEEEEPS6_SG_NS0_5tupleIJSF_SF_EEENSH_IJSG_SG_EEES6_PlJ7is_evenIjEEEE10hipError_tPvRmT3_T4_T5_T6_T7_T9_mT8_P12ihipStream_tbDpT10_ENKUlT_T0_E_clISt17integral_constantIbLb0EES16_EEDaS11_S12_EUlS11_E_NS1_11comp_targetILNS1_3genE8ELNS1_11target_archE1030ELNS1_3gpuE2ELNS1_3repE0EEENS1_30default_config_static_selectorELNS0_4arch9wavefront6targetE1EEEvT1_,comdat
	.protected	_ZN7rocprim17ROCPRIM_400000_NS6detail17trampoline_kernelINS0_14default_configENS1_25partition_config_selectorILNS1_17partition_subalgoE0EjNS0_10empty_typeEbEEZZNS1_14partition_implILS5_0ELb0ES3_jN6thrust23THRUST_200600_302600_NS6detail15normal_iteratorINSA_10device_ptrIjEEEEPS6_SG_NS0_5tupleIJSF_SF_EEENSH_IJSG_SG_EEES6_PlJ7is_evenIjEEEE10hipError_tPvRmT3_T4_T5_T6_T7_T9_mT8_P12ihipStream_tbDpT10_ENKUlT_T0_E_clISt17integral_constantIbLb0EES16_EEDaS11_S12_EUlS11_E_NS1_11comp_targetILNS1_3genE8ELNS1_11target_archE1030ELNS1_3gpuE2ELNS1_3repE0EEENS1_30default_config_static_selectorELNS0_4arch9wavefront6targetE1EEEvT1_ ; -- Begin function _ZN7rocprim17ROCPRIM_400000_NS6detail17trampoline_kernelINS0_14default_configENS1_25partition_config_selectorILNS1_17partition_subalgoE0EjNS0_10empty_typeEbEEZZNS1_14partition_implILS5_0ELb0ES3_jN6thrust23THRUST_200600_302600_NS6detail15normal_iteratorINSA_10device_ptrIjEEEEPS6_SG_NS0_5tupleIJSF_SF_EEENSH_IJSG_SG_EEES6_PlJ7is_evenIjEEEE10hipError_tPvRmT3_T4_T5_T6_T7_T9_mT8_P12ihipStream_tbDpT10_ENKUlT_T0_E_clISt17integral_constantIbLb0EES16_EEDaS11_S12_EUlS11_E_NS1_11comp_targetILNS1_3genE8ELNS1_11target_archE1030ELNS1_3gpuE2ELNS1_3repE0EEENS1_30default_config_static_selectorELNS0_4arch9wavefront6targetE1EEEvT1_
	.globl	_ZN7rocprim17ROCPRIM_400000_NS6detail17trampoline_kernelINS0_14default_configENS1_25partition_config_selectorILNS1_17partition_subalgoE0EjNS0_10empty_typeEbEEZZNS1_14partition_implILS5_0ELb0ES3_jN6thrust23THRUST_200600_302600_NS6detail15normal_iteratorINSA_10device_ptrIjEEEEPS6_SG_NS0_5tupleIJSF_SF_EEENSH_IJSG_SG_EEES6_PlJ7is_evenIjEEEE10hipError_tPvRmT3_T4_T5_T6_T7_T9_mT8_P12ihipStream_tbDpT10_ENKUlT_T0_E_clISt17integral_constantIbLb0EES16_EEDaS11_S12_EUlS11_E_NS1_11comp_targetILNS1_3genE8ELNS1_11target_archE1030ELNS1_3gpuE2ELNS1_3repE0EEENS1_30default_config_static_selectorELNS0_4arch9wavefront6targetE1EEEvT1_
	.p2align	8
	.type	_ZN7rocprim17ROCPRIM_400000_NS6detail17trampoline_kernelINS0_14default_configENS1_25partition_config_selectorILNS1_17partition_subalgoE0EjNS0_10empty_typeEbEEZZNS1_14partition_implILS5_0ELb0ES3_jN6thrust23THRUST_200600_302600_NS6detail15normal_iteratorINSA_10device_ptrIjEEEEPS6_SG_NS0_5tupleIJSF_SF_EEENSH_IJSG_SG_EEES6_PlJ7is_evenIjEEEE10hipError_tPvRmT3_T4_T5_T6_T7_T9_mT8_P12ihipStream_tbDpT10_ENKUlT_T0_E_clISt17integral_constantIbLb0EES16_EEDaS11_S12_EUlS11_E_NS1_11comp_targetILNS1_3genE8ELNS1_11target_archE1030ELNS1_3gpuE2ELNS1_3repE0EEENS1_30default_config_static_selectorELNS0_4arch9wavefront6targetE1EEEvT1_,@function
_ZN7rocprim17ROCPRIM_400000_NS6detail17trampoline_kernelINS0_14default_configENS1_25partition_config_selectorILNS1_17partition_subalgoE0EjNS0_10empty_typeEbEEZZNS1_14partition_implILS5_0ELb0ES3_jN6thrust23THRUST_200600_302600_NS6detail15normal_iteratorINSA_10device_ptrIjEEEEPS6_SG_NS0_5tupleIJSF_SF_EEENSH_IJSG_SG_EEES6_PlJ7is_evenIjEEEE10hipError_tPvRmT3_T4_T5_T6_T7_T9_mT8_P12ihipStream_tbDpT10_ENKUlT_T0_E_clISt17integral_constantIbLb0EES16_EEDaS11_S12_EUlS11_E_NS1_11comp_targetILNS1_3genE8ELNS1_11target_archE1030ELNS1_3gpuE2ELNS1_3repE0EEENS1_30default_config_static_selectorELNS0_4arch9wavefront6targetE1EEEvT1_: ; @_ZN7rocprim17ROCPRIM_400000_NS6detail17trampoline_kernelINS0_14default_configENS1_25partition_config_selectorILNS1_17partition_subalgoE0EjNS0_10empty_typeEbEEZZNS1_14partition_implILS5_0ELb0ES3_jN6thrust23THRUST_200600_302600_NS6detail15normal_iteratorINSA_10device_ptrIjEEEEPS6_SG_NS0_5tupleIJSF_SF_EEENSH_IJSG_SG_EEES6_PlJ7is_evenIjEEEE10hipError_tPvRmT3_T4_T5_T6_T7_T9_mT8_P12ihipStream_tbDpT10_ENKUlT_T0_E_clISt17integral_constantIbLb0EES16_EEDaS11_S12_EUlS11_E_NS1_11comp_targetILNS1_3genE8ELNS1_11target_archE1030ELNS1_3gpuE2ELNS1_3repE0EEENS1_30default_config_static_selectorELNS0_4arch9wavefront6targetE1EEEvT1_
; %bb.0:
	.section	.rodata,"a",@progbits
	.p2align	6, 0x0
	.amdhsa_kernel _ZN7rocprim17ROCPRIM_400000_NS6detail17trampoline_kernelINS0_14default_configENS1_25partition_config_selectorILNS1_17partition_subalgoE0EjNS0_10empty_typeEbEEZZNS1_14partition_implILS5_0ELb0ES3_jN6thrust23THRUST_200600_302600_NS6detail15normal_iteratorINSA_10device_ptrIjEEEEPS6_SG_NS0_5tupleIJSF_SF_EEENSH_IJSG_SG_EEES6_PlJ7is_evenIjEEEE10hipError_tPvRmT3_T4_T5_T6_T7_T9_mT8_P12ihipStream_tbDpT10_ENKUlT_T0_E_clISt17integral_constantIbLb0EES16_EEDaS11_S12_EUlS11_E_NS1_11comp_targetILNS1_3genE8ELNS1_11target_archE1030ELNS1_3gpuE2ELNS1_3repE0EEENS1_30default_config_static_selectorELNS0_4arch9wavefront6targetE1EEEvT1_
		.amdhsa_group_segment_fixed_size 0
		.amdhsa_private_segment_fixed_size 0
		.amdhsa_kernarg_size 120
		.amdhsa_user_sgpr_count 2
		.amdhsa_user_sgpr_dispatch_ptr 0
		.amdhsa_user_sgpr_queue_ptr 0
		.amdhsa_user_sgpr_kernarg_segment_ptr 1
		.amdhsa_user_sgpr_dispatch_id 0
		.amdhsa_user_sgpr_kernarg_preload_length 0
		.amdhsa_user_sgpr_kernarg_preload_offset 0
		.amdhsa_user_sgpr_private_segment_size 0
		.amdhsa_uses_dynamic_stack 0
		.amdhsa_enable_private_segment 0
		.amdhsa_system_sgpr_workgroup_id_x 1
		.amdhsa_system_sgpr_workgroup_id_y 0
		.amdhsa_system_sgpr_workgroup_id_z 0
		.amdhsa_system_sgpr_workgroup_info 0
		.amdhsa_system_vgpr_workitem_id 0
		.amdhsa_next_free_vgpr 1
		.amdhsa_next_free_sgpr 0
		.amdhsa_accum_offset 4
		.amdhsa_reserve_vcc 0
		.amdhsa_float_round_mode_32 0
		.amdhsa_float_round_mode_16_64 0
		.amdhsa_float_denorm_mode_32 3
		.amdhsa_float_denorm_mode_16_64 3
		.amdhsa_dx10_clamp 1
		.amdhsa_ieee_mode 1
		.amdhsa_fp16_overflow 0
		.amdhsa_tg_split 0
		.amdhsa_exception_fp_ieee_invalid_op 0
		.amdhsa_exception_fp_denorm_src 0
		.amdhsa_exception_fp_ieee_div_zero 0
		.amdhsa_exception_fp_ieee_overflow 0
		.amdhsa_exception_fp_ieee_underflow 0
		.amdhsa_exception_fp_ieee_inexact 0
		.amdhsa_exception_int_div_zero 0
	.end_amdhsa_kernel
	.section	.text._ZN7rocprim17ROCPRIM_400000_NS6detail17trampoline_kernelINS0_14default_configENS1_25partition_config_selectorILNS1_17partition_subalgoE0EjNS0_10empty_typeEbEEZZNS1_14partition_implILS5_0ELb0ES3_jN6thrust23THRUST_200600_302600_NS6detail15normal_iteratorINSA_10device_ptrIjEEEEPS6_SG_NS0_5tupleIJSF_SF_EEENSH_IJSG_SG_EEES6_PlJ7is_evenIjEEEE10hipError_tPvRmT3_T4_T5_T6_T7_T9_mT8_P12ihipStream_tbDpT10_ENKUlT_T0_E_clISt17integral_constantIbLb0EES16_EEDaS11_S12_EUlS11_E_NS1_11comp_targetILNS1_3genE8ELNS1_11target_archE1030ELNS1_3gpuE2ELNS1_3repE0EEENS1_30default_config_static_selectorELNS0_4arch9wavefront6targetE1EEEvT1_,"axG",@progbits,_ZN7rocprim17ROCPRIM_400000_NS6detail17trampoline_kernelINS0_14default_configENS1_25partition_config_selectorILNS1_17partition_subalgoE0EjNS0_10empty_typeEbEEZZNS1_14partition_implILS5_0ELb0ES3_jN6thrust23THRUST_200600_302600_NS6detail15normal_iteratorINSA_10device_ptrIjEEEEPS6_SG_NS0_5tupleIJSF_SF_EEENSH_IJSG_SG_EEES6_PlJ7is_evenIjEEEE10hipError_tPvRmT3_T4_T5_T6_T7_T9_mT8_P12ihipStream_tbDpT10_ENKUlT_T0_E_clISt17integral_constantIbLb0EES16_EEDaS11_S12_EUlS11_E_NS1_11comp_targetILNS1_3genE8ELNS1_11target_archE1030ELNS1_3gpuE2ELNS1_3repE0EEENS1_30default_config_static_selectorELNS0_4arch9wavefront6targetE1EEEvT1_,comdat
.Lfunc_end2144:
	.size	_ZN7rocprim17ROCPRIM_400000_NS6detail17trampoline_kernelINS0_14default_configENS1_25partition_config_selectorILNS1_17partition_subalgoE0EjNS0_10empty_typeEbEEZZNS1_14partition_implILS5_0ELb0ES3_jN6thrust23THRUST_200600_302600_NS6detail15normal_iteratorINSA_10device_ptrIjEEEEPS6_SG_NS0_5tupleIJSF_SF_EEENSH_IJSG_SG_EEES6_PlJ7is_evenIjEEEE10hipError_tPvRmT3_T4_T5_T6_T7_T9_mT8_P12ihipStream_tbDpT10_ENKUlT_T0_E_clISt17integral_constantIbLb0EES16_EEDaS11_S12_EUlS11_E_NS1_11comp_targetILNS1_3genE8ELNS1_11target_archE1030ELNS1_3gpuE2ELNS1_3repE0EEENS1_30default_config_static_selectorELNS0_4arch9wavefront6targetE1EEEvT1_, .Lfunc_end2144-_ZN7rocprim17ROCPRIM_400000_NS6detail17trampoline_kernelINS0_14default_configENS1_25partition_config_selectorILNS1_17partition_subalgoE0EjNS0_10empty_typeEbEEZZNS1_14partition_implILS5_0ELb0ES3_jN6thrust23THRUST_200600_302600_NS6detail15normal_iteratorINSA_10device_ptrIjEEEEPS6_SG_NS0_5tupleIJSF_SF_EEENSH_IJSG_SG_EEES6_PlJ7is_evenIjEEEE10hipError_tPvRmT3_T4_T5_T6_T7_T9_mT8_P12ihipStream_tbDpT10_ENKUlT_T0_E_clISt17integral_constantIbLb0EES16_EEDaS11_S12_EUlS11_E_NS1_11comp_targetILNS1_3genE8ELNS1_11target_archE1030ELNS1_3gpuE2ELNS1_3repE0EEENS1_30default_config_static_selectorELNS0_4arch9wavefront6targetE1EEEvT1_
                                        ; -- End function
	.section	.AMDGPU.csdata,"",@progbits
; Kernel info:
; codeLenInByte = 0
; NumSgprs: 6
; NumVgprs: 0
; NumAgprs: 0
; TotalNumVgprs: 0
; ScratchSize: 0
; MemoryBound: 0
; FloatMode: 240
; IeeeMode: 1
; LDSByteSize: 0 bytes/workgroup (compile time only)
; SGPRBlocks: 0
; VGPRBlocks: 0
; NumSGPRsForWavesPerEU: 6
; NumVGPRsForWavesPerEU: 1
; AccumOffset: 4
; Occupancy: 8
; WaveLimiterHint : 0
; COMPUTE_PGM_RSRC2:SCRATCH_EN: 0
; COMPUTE_PGM_RSRC2:USER_SGPR: 2
; COMPUTE_PGM_RSRC2:TRAP_HANDLER: 0
; COMPUTE_PGM_RSRC2:TGID_X_EN: 1
; COMPUTE_PGM_RSRC2:TGID_Y_EN: 0
; COMPUTE_PGM_RSRC2:TGID_Z_EN: 0
; COMPUTE_PGM_RSRC2:TIDIG_COMP_CNT: 0
; COMPUTE_PGM_RSRC3_GFX90A:ACCUM_OFFSET: 0
; COMPUTE_PGM_RSRC3_GFX90A:TG_SPLIT: 0
	.section	.text._ZN7rocprim17ROCPRIM_400000_NS6detail17trampoline_kernelINS0_14default_configENS1_25partition_config_selectorILNS1_17partition_subalgoE0EjNS0_10empty_typeEbEEZZNS1_14partition_implILS5_0ELb0ES3_jN6thrust23THRUST_200600_302600_NS6detail15normal_iteratorINSA_10device_ptrIjEEEEPS6_SG_NS0_5tupleIJSF_SF_EEENSH_IJSG_SG_EEES6_PlJ7is_evenIjEEEE10hipError_tPvRmT3_T4_T5_T6_T7_T9_mT8_P12ihipStream_tbDpT10_ENKUlT_T0_E_clISt17integral_constantIbLb1EES16_EEDaS11_S12_EUlS11_E_NS1_11comp_targetILNS1_3genE0ELNS1_11target_archE4294967295ELNS1_3gpuE0ELNS1_3repE0EEENS1_30default_config_static_selectorELNS0_4arch9wavefront6targetE1EEEvT1_,"axG",@progbits,_ZN7rocprim17ROCPRIM_400000_NS6detail17trampoline_kernelINS0_14default_configENS1_25partition_config_selectorILNS1_17partition_subalgoE0EjNS0_10empty_typeEbEEZZNS1_14partition_implILS5_0ELb0ES3_jN6thrust23THRUST_200600_302600_NS6detail15normal_iteratorINSA_10device_ptrIjEEEEPS6_SG_NS0_5tupleIJSF_SF_EEENSH_IJSG_SG_EEES6_PlJ7is_evenIjEEEE10hipError_tPvRmT3_T4_T5_T6_T7_T9_mT8_P12ihipStream_tbDpT10_ENKUlT_T0_E_clISt17integral_constantIbLb1EES16_EEDaS11_S12_EUlS11_E_NS1_11comp_targetILNS1_3genE0ELNS1_11target_archE4294967295ELNS1_3gpuE0ELNS1_3repE0EEENS1_30default_config_static_selectorELNS0_4arch9wavefront6targetE1EEEvT1_,comdat
	.protected	_ZN7rocprim17ROCPRIM_400000_NS6detail17trampoline_kernelINS0_14default_configENS1_25partition_config_selectorILNS1_17partition_subalgoE0EjNS0_10empty_typeEbEEZZNS1_14partition_implILS5_0ELb0ES3_jN6thrust23THRUST_200600_302600_NS6detail15normal_iteratorINSA_10device_ptrIjEEEEPS6_SG_NS0_5tupleIJSF_SF_EEENSH_IJSG_SG_EEES6_PlJ7is_evenIjEEEE10hipError_tPvRmT3_T4_T5_T6_T7_T9_mT8_P12ihipStream_tbDpT10_ENKUlT_T0_E_clISt17integral_constantIbLb1EES16_EEDaS11_S12_EUlS11_E_NS1_11comp_targetILNS1_3genE0ELNS1_11target_archE4294967295ELNS1_3gpuE0ELNS1_3repE0EEENS1_30default_config_static_selectorELNS0_4arch9wavefront6targetE1EEEvT1_ ; -- Begin function _ZN7rocprim17ROCPRIM_400000_NS6detail17trampoline_kernelINS0_14default_configENS1_25partition_config_selectorILNS1_17partition_subalgoE0EjNS0_10empty_typeEbEEZZNS1_14partition_implILS5_0ELb0ES3_jN6thrust23THRUST_200600_302600_NS6detail15normal_iteratorINSA_10device_ptrIjEEEEPS6_SG_NS0_5tupleIJSF_SF_EEENSH_IJSG_SG_EEES6_PlJ7is_evenIjEEEE10hipError_tPvRmT3_T4_T5_T6_T7_T9_mT8_P12ihipStream_tbDpT10_ENKUlT_T0_E_clISt17integral_constantIbLb1EES16_EEDaS11_S12_EUlS11_E_NS1_11comp_targetILNS1_3genE0ELNS1_11target_archE4294967295ELNS1_3gpuE0ELNS1_3repE0EEENS1_30default_config_static_selectorELNS0_4arch9wavefront6targetE1EEEvT1_
	.globl	_ZN7rocprim17ROCPRIM_400000_NS6detail17trampoline_kernelINS0_14default_configENS1_25partition_config_selectorILNS1_17partition_subalgoE0EjNS0_10empty_typeEbEEZZNS1_14partition_implILS5_0ELb0ES3_jN6thrust23THRUST_200600_302600_NS6detail15normal_iteratorINSA_10device_ptrIjEEEEPS6_SG_NS0_5tupleIJSF_SF_EEENSH_IJSG_SG_EEES6_PlJ7is_evenIjEEEE10hipError_tPvRmT3_T4_T5_T6_T7_T9_mT8_P12ihipStream_tbDpT10_ENKUlT_T0_E_clISt17integral_constantIbLb1EES16_EEDaS11_S12_EUlS11_E_NS1_11comp_targetILNS1_3genE0ELNS1_11target_archE4294967295ELNS1_3gpuE0ELNS1_3repE0EEENS1_30default_config_static_selectorELNS0_4arch9wavefront6targetE1EEEvT1_
	.p2align	8
	.type	_ZN7rocprim17ROCPRIM_400000_NS6detail17trampoline_kernelINS0_14default_configENS1_25partition_config_selectorILNS1_17partition_subalgoE0EjNS0_10empty_typeEbEEZZNS1_14partition_implILS5_0ELb0ES3_jN6thrust23THRUST_200600_302600_NS6detail15normal_iteratorINSA_10device_ptrIjEEEEPS6_SG_NS0_5tupleIJSF_SF_EEENSH_IJSG_SG_EEES6_PlJ7is_evenIjEEEE10hipError_tPvRmT3_T4_T5_T6_T7_T9_mT8_P12ihipStream_tbDpT10_ENKUlT_T0_E_clISt17integral_constantIbLb1EES16_EEDaS11_S12_EUlS11_E_NS1_11comp_targetILNS1_3genE0ELNS1_11target_archE4294967295ELNS1_3gpuE0ELNS1_3repE0EEENS1_30default_config_static_selectorELNS0_4arch9wavefront6targetE1EEEvT1_,@function
_ZN7rocprim17ROCPRIM_400000_NS6detail17trampoline_kernelINS0_14default_configENS1_25partition_config_selectorILNS1_17partition_subalgoE0EjNS0_10empty_typeEbEEZZNS1_14partition_implILS5_0ELb0ES3_jN6thrust23THRUST_200600_302600_NS6detail15normal_iteratorINSA_10device_ptrIjEEEEPS6_SG_NS0_5tupleIJSF_SF_EEENSH_IJSG_SG_EEES6_PlJ7is_evenIjEEEE10hipError_tPvRmT3_T4_T5_T6_T7_T9_mT8_P12ihipStream_tbDpT10_ENKUlT_T0_E_clISt17integral_constantIbLb1EES16_EEDaS11_S12_EUlS11_E_NS1_11comp_targetILNS1_3genE0ELNS1_11target_archE4294967295ELNS1_3gpuE0ELNS1_3repE0EEENS1_30default_config_static_selectorELNS0_4arch9wavefront6targetE1EEEvT1_: ; @_ZN7rocprim17ROCPRIM_400000_NS6detail17trampoline_kernelINS0_14default_configENS1_25partition_config_selectorILNS1_17partition_subalgoE0EjNS0_10empty_typeEbEEZZNS1_14partition_implILS5_0ELb0ES3_jN6thrust23THRUST_200600_302600_NS6detail15normal_iteratorINSA_10device_ptrIjEEEEPS6_SG_NS0_5tupleIJSF_SF_EEENSH_IJSG_SG_EEES6_PlJ7is_evenIjEEEE10hipError_tPvRmT3_T4_T5_T6_T7_T9_mT8_P12ihipStream_tbDpT10_ENKUlT_T0_E_clISt17integral_constantIbLb1EES16_EEDaS11_S12_EUlS11_E_NS1_11comp_targetILNS1_3genE0ELNS1_11target_archE4294967295ELNS1_3gpuE0ELNS1_3repE0EEENS1_30default_config_static_selectorELNS0_4arch9wavefront6targetE1EEEvT1_
; %bb.0:
	.section	.rodata,"a",@progbits
	.p2align	6, 0x0
	.amdhsa_kernel _ZN7rocprim17ROCPRIM_400000_NS6detail17trampoline_kernelINS0_14default_configENS1_25partition_config_selectorILNS1_17partition_subalgoE0EjNS0_10empty_typeEbEEZZNS1_14partition_implILS5_0ELb0ES3_jN6thrust23THRUST_200600_302600_NS6detail15normal_iteratorINSA_10device_ptrIjEEEEPS6_SG_NS0_5tupleIJSF_SF_EEENSH_IJSG_SG_EEES6_PlJ7is_evenIjEEEE10hipError_tPvRmT3_T4_T5_T6_T7_T9_mT8_P12ihipStream_tbDpT10_ENKUlT_T0_E_clISt17integral_constantIbLb1EES16_EEDaS11_S12_EUlS11_E_NS1_11comp_targetILNS1_3genE0ELNS1_11target_archE4294967295ELNS1_3gpuE0ELNS1_3repE0EEENS1_30default_config_static_selectorELNS0_4arch9wavefront6targetE1EEEvT1_
		.amdhsa_group_segment_fixed_size 0
		.amdhsa_private_segment_fixed_size 0
		.amdhsa_kernarg_size 136
		.amdhsa_user_sgpr_count 2
		.amdhsa_user_sgpr_dispatch_ptr 0
		.amdhsa_user_sgpr_queue_ptr 0
		.amdhsa_user_sgpr_kernarg_segment_ptr 1
		.amdhsa_user_sgpr_dispatch_id 0
		.amdhsa_user_sgpr_kernarg_preload_length 0
		.amdhsa_user_sgpr_kernarg_preload_offset 0
		.amdhsa_user_sgpr_private_segment_size 0
		.amdhsa_uses_dynamic_stack 0
		.amdhsa_enable_private_segment 0
		.amdhsa_system_sgpr_workgroup_id_x 1
		.amdhsa_system_sgpr_workgroup_id_y 0
		.amdhsa_system_sgpr_workgroup_id_z 0
		.amdhsa_system_sgpr_workgroup_info 0
		.amdhsa_system_vgpr_workitem_id 0
		.amdhsa_next_free_vgpr 1
		.amdhsa_next_free_sgpr 0
		.amdhsa_accum_offset 4
		.amdhsa_reserve_vcc 0
		.amdhsa_float_round_mode_32 0
		.amdhsa_float_round_mode_16_64 0
		.amdhsa_float_denorm_mode_32 3
		.amdhsa_float_denorm_mode_16_64 3
		.amdhsa_dx10_clamp 1
		.amdhsa_ieee_mode 1
		.amdhsa_fp16_overflow 0
		.amdhsa_tg_split 0
		.amdhsa_exception_fp_ieee_invalid_op 0
		.amdhsa_exception_fp_denorm_src 0
		.amdhsa_exception_fp_ieee_div_zero 0
		.amdhsa_exception_fp_ieee_overflow 0
		.amdhsa_exception_fp_ieee_underflow 0
		.amdhsa_exception_fp_ieee_inexact 0
		.amdhsa_exception_int_div_zero 0
	.end_amdhsa_kernel
	.section	.text._ZN7rocprim17ROCPRIM_400000_NS6detail17trampoline_kernelINS0_14default_configENS1_25partition_config_selectorILNS1_17partition_subalgoE0EjNS0_10empty_typeEbEEZZNS1_14partition_implILS5_0ELb0ES3_jN6thrust23THRUST_200600_302600_NS6detail15normal_iteratorINSA_10device_ptrIjEEEEPS6_SG_NS0_5tupleIJSF_SF_EEENSH_IJSG_SG_EEES6_PlJ7is_evenIjEEEE10hipError_tPvRmT3_T4_T5_T6_T7_T9_mT8_P12ihipStream_tbDpT10_ENKUlT_T0_E_clISt17integral_constantIbLb1EES16_EEDaS11_S12_EUlS11_E_NS1_11comp_targetILNS1_3genE0ELNS1_11target_archE4294967295ELNS1_3gpuE0ELNS1_3repE0EEENS1_30default_config_static_selectorELNS0_4arch9wavefront6targetE1EEEvT1_,"axG",@progbits,_ZN7rocprim17ROCPRIM_400000_NS6detail17trampoline_kernelINS0_14default_configENS1_25partition_config_selectorILNS1_17partition_subalgoE0EjNS0_10empty_typeEbEEZZNS1_14partition_implILS5_0ELb0ES3_jN6thrust23THRUST_200600_302600_NS6detail15normal_iteratorINSA_10device_ptrIjEEEEPS6_SG_NS0_5tupleIJSF_SF_EEENSH_IJSG_SG_EEES6_PlJ7is_evenIjEEEE10hipError_tPvRmT3_T4_T5_T6_T7_T9_mT8_P12ihipStream_tbDpT10_ENKUlT_T0_E_clISt17integral_constantIbLb1EES16_EEDaS11_S12_EUlS11_E_NS1_11comp_targetILNS1_3genE0ELNS1_11target_archE4294967295ELNS1_3gpuE0ELNS1_3repE0EEENS1_30default_config_static_selectorELNS0_4arch9wavefront6targetE1EEEvT1_,comdat
.Lfunc_end2145:
	.size	_ZN7rocprim17ROCPRIM_400000_NS6detail17trampoline_kernelINS0_14default_configENS1_25partition_config_selectorILNS1_17partition_subalgoE0EjNS0_10empty_typeEbEEZZNS1_14partition_implILS5_0ELb0ES3_jN6thrust23THRUST_200600_302600_NS6detail15normal_iteratorINSA_10device_ptrIjEEEEPS6_SG_NS0_5tupleIJSF_SF_EEENSH_IJSG_SG_EEES6_PlJ7is_evenIjEEEE10hipError_tPvRmT3_T4_T5_T6_T7_T9_mT8_P12ihipStream_tbDpT10_ENKUlT_T0_E_clISt17integral_constantIbLb1EES16_EEDaS11_S12_EUlS11_E_NS1_11comp_targetILNS1_3genE0ELNS1_11target_archE4294967295ELNS1_3gpuE0ELNS1_3repE0EEENS1_30default_config_static_selectorELNS0_4arch9wavefront6targetE1EEEvT1_, .Lfunc_end2145-_ZN7rocprim17ROCPRIM_400000_NS6detail17trampoline_kernelINS0_14default_configENS1_25partition_config_selectorILNS1_17partition_subalgoE0EjNS0_10empty_typeEbEEZZNS1_14partition_implILS5_0ELb0ES3_jN6thrust23THRUST_200600_302600_NS6detail15normal_iteratorINSA_10device_ptrIjEEEEPS6_SG_NS0_5tupleIJSF_SF_EEENSH_IJSG_SG_EEES6_PlJ7is_evenIjEEEE10hipError_tPvRmT3_T4_T5_T6_T7_T9_mT8_P12ihipStream_tbDpT10_ENKUlT_T0_E_clISt17integral_constantIbLb1EES16_EEDaS11_S12_EUlS11_E_NS1_11comp_targetILNS1_3genE0ELNS1_11target_archE4294967295ELNS1_3gpuE0ELNS1_3repE0EEENS1_30default_config_static_selectorELNS0_4arch9wavefront6targetE1EEEvT1_
                                        ; -- End function
	.section	.AMDGPU.csdata,"",@progbits
; Kernel info:
; codeLenInByte = 0
; NumSgprs: 6
; NumVgprs: 0
; NumAgprs: 0
; TotalNumVgprs: 0
; ScratchSize: 0
; MemoryBound: 0
; FloatMode: 240
; IeeeMode: 1
; LDSByteSize: 0 bytes/workgroup (compile time only)
; SGPRBlocks: 0
; VGPRBlocks: 0
; NumSGPRsForWavesPerEU: 6
; NumVGPRsForWavesPerEU: 1
; AccumOffset: 4
; Occupancy: 8
; WaveLimiterHint : 0
; COMPUTE_PGM_RSRC2:SCRATCH_EN: 0
; COMPUTE_PGM_RSRC2:USER_SGPR: 2
; COMPUTE_PGM_RSRC2:TRAP_HANDLER: 0
; COMPUTE_PGM_RSRC2:TGID_X_EN: 1
; COMPUTE_PGM_RSRC2:TGID_Y_EN: 0
; COMPUTE_PGM_RSRC2:TGID_Z_EN: 0
; COMPUTE_PGM_RSRC2:TIDIG_COMP_CNT: 0
; COMPUTE_PGM_RSRC3_GFX90A:ACCUM_OFFSET: 0
; COMPUTE_PGM_RSRC3_GFX90A:TG_SPLIT: 0
	.section	.text._ZN7rocprim17ROCPRIM_400000_NS6detail17trampoline_kernelINS0_14default_configENS1_25partition_config_selectorILNS1_17partition_subalgoE0EjNS0_10empty_typeEbEEZZNS1_14partition_implILS5_0ELb0ES3_jN6thrust23THRUST_200600_302600_NS6detail15normal_iteratorINSA_10device_ptrIjEEEEPS6_SG_NS0_5tupleIJSF_SF_EEENSH_IJSG_SG_EEES6_PlJ7is_evenIjEEEE10hipError_tPvRmT3_T4_T5_T6_T7_T9_mT8_P12ihipStream_tbDpT10_ENKUlT_T0_E_clISt17integral_constantIbLb1EES16_EEDaS11_S12_EUlS11_E_NS1_11comp_targetILNS1_3genE5ELNS1_11target_archE942ELNS1_3gpuE9ELNS1_3repE0EEENS1_30default_config_static_selectorELNS0_4arch9wavefront6targetE1EEEvT1_,"axG",@progbits,_ZN7rocprim17ROCPRIM_400000_NS6detail17trampoline_kernelINS0_14default_configENS1_25partition_config_selectorILNS1_17partition_subalgoE0EjNS0_10empty_typeEbEEZZNS1_14partition_implILS5_0ELb0ES3_jN6thrust23THRUST_200600_302600_NS6detail15normal_iteratorINSA_10device_ptrIjEEEEPS6_SG_NS0_5tupleIJSF_SF_EEENSH_IJSG_SG_EEES6_PlJ7is_evenIjEEEE10hipError_tPvRmT3_T4_T5_T6_T7_T9_mT8_P12ihipStream_tbDpT10_ENKUlT_T0_E_clISt17integral_constantIbLb1EES16_EEDaS11_S12_EUlS11_E_NS1_11comp_targetILNS1_3genE5ELNS1_11target_archE942ELNS1_3gpuE9ELNS1_3repE0EEENS1_30default_config_static_selectorELNS0_4arch9wavefront6targetE1EEEvT1_,comdat
	.protected	_ZN7rocprim17ROCPRIM_400000_NS6detail17trampoline_kernelINS0_14default_configENS1_25partition_config_selectorILNS1_17partition_subalgoE0EjNS0_10empty_typeEbEEZZNS1_14partition_implILS5_0ELb0ES3_jN6thrust23THRUST_200600_302600_NS6detail15normal_iteratorINSA_10device_ptrIjEEEEPS6_SG_NS0_5tupleIJSF_SF_EEENSH_IJSG_SG_EEES6_PlJ7is_evenIjEEEE10hipError_tPvRmT3_T4_T5_T6_T7_T9_mT8_P12ihipStream_tbDpT10_ENKUlT_T0_E_clISt17integral_constantIbLb1EES16_EEDaS11_S12_EUlS11_E_NS1_11comp_targetILNS1_3genE5ELNS1_11target_archE942ELNS1_3gpuE9ELNS1_3repE0EEENS1_30default_config_static_selectorELNS0_4arch9wavefront6targetE1EEEvT1_ ; -- Begin function _ZN7rocprim17ROCPRIM_400000_NS6detail17trampoline_kernelINS0_14default_configENS1_25partition_config_selectorILNS1_17partition_subalgoE0EjNS0_10empty_typeEbEEZZNS1_14partition_implILS5_0ELb0ES3_jN6thrust23THRUST_200600_302600_NS6detail15normal_iteratorINSA_10device_ptrIjEEEEPS6_SG_NS0_5tupleIJSF_SF_EEENSH_IJSG_SG_EEES6_PlJ7is_evenIjEEEE10hipError_tPvRmT3_T4_T5_T6_T7_T9_mT8_P12ihipStream_tbDpT10_ENKUlT_T0_E_clISt17integral_constantIbLb1EES16_EEDaS11_S12_EUlS11_E_NS1_11comp_targetILNS1_3genE5ELNS1_11target_archE942ELNS1_3gpuE9ELNS1_3repE0EEENS1_30default_config_static_selectorELNS0_4arch9wavefront6targetE1EEEvT1_
	.globl	_ZN7rocprim17ROCPRIM_400000_NS6detail17trampoline_kernelINS0_14default_configENS1_25partition_config_selectorILNS1_17partition_subalgoE0EjNS0_10empty_typeEbEEZZNS1_14partition_implILS5_0ELb0ES3_jN6thrust23THRUST_200600_302600_NS6detail15normal_iteratorINSA_10device_ptrIjEEEEPS6_SG_NS0_5tupleIJSF_SF_EEENSH_IJSG_SG_EEES6_PlJ7is_evenIjEEEE10hipError_tPvRmT3_T4_T5_T6_T7_T9_mT8_P12ihipStream_tbDpT10_ENKUlT_T0_E_clISt17integral_constantIbLb1EES16_EEDaS11_S12_EUlS11_E_NS1_11comp_targetILNS1_3genE5ELNS1_11target_archE942ELNS1_3gpuE9ELNS1_3repE0EEENS1_30default_config_static_selectorELNS0_4arch9wavefront6targetE1EEEvT1_
	.p2align	8
	.type	_ZN7rocprim17ROCPRIM_400000_NS6detail17trampoline_kernelINS0_14default_configENS1_25partition_config_selectorILNS1_17partition_subalgoE0EjNS0_10empty_typeEbEEZZNS1_14partition_implILS5_0ELb0ES3_jN6thrust23THRUST_200600_302600_NS6detail15normal_iteratorINSA_10device_ptrIjEEEEPS6_SG_NS0_5tupleIJSF_SF_EEENSH_IJSG_SG_EEES6_PlJ7is_evenIjEEEE10hipError_tPvRmT3_T4_T5_T6_T7_T9_mT8_P12ihipStream_tbDpT10_ENKUlT_T0_E_clISt17integral_constantIbLb1EES16_EEDaS11_S12_EUlS11_E_NS1_11comp_targetILNS1_3genE5ELNS1_11target_archE942ELNS1_3gpuE9ELNS1_3repE0EEENS1_30default_config_static_selectorELNS0_4arch9wavefront6targetE1EEEvT1_,@function
_ZN7rocprim17ROCPRIM_400000_NS6detail17trampoline_kernelINS0_14default_configENS1_25partition_config_selectorILNS1_17partition_subalgoE0EjNS0_10empty_typeEbEEZZNS1_14partition_implILS5_0ELb0ES3_jN6thrust23THRUST_200600_302600_NS6detail15normal_iteratorINSA_10device_ptrIjEEEEPS6_SG_NS0_5tupleIJSF_SF_EEENSH_IJSG_SG_EEES6_PlJ7is_evenIjEEEE10hipError_tPvRmT3_T4_T5_T6_T7_T9_mT8_P12ihipStream_tbDpT10_ENKUlT_T0_E_clISt17integral_constantIbLb1EES16_EEDaS11_S12_EUlS11_E_NS1_11comp_targetILNS1_3genE5ELNS1_11target_archE942ELNS1_3gpuE9ELNS1_3repE0EEENS1_30default_config_static_selectorELNS0_4arch9wavefront6targetE1EEEvT1_: ; @_ZN7rocprim17ROCPRIM_400000_NS6detail17trampoline_kernelINS0_14default_configENS1_25partition_config_selectorILNS1_17partition_subalgoE0EjNS0_10empty_typeEbEEZZNS1_14partition_implILS5_0ELb0ES3_jN6thrust23THRUST_200600_302600_NS6detail15normal_iteratorINSA_10device_ptrIjEEEEPS6_SG_NS0_5tupleIJSF_SF_EEENSH_IJSG_SG_EEES6_PlJ7is_evenIjEEEE10hipError_tPvRmT3_T4_T5_T6_T7_T9_mT8_P12ihipStream_tbDpT10_ENKUlT_T0_E_clISt17integral_constantIbLb1EES16_EEDaS11_S12_EUlS11_E_NS1_11comp_targetILNS1_3genE5ELNS1_11target_archE942ELNS1_3gpuE9ELNS1_3repE0EEENS1_30default_config_static_selectorELNS0_4arch9wavefront6targetE1EEEvT1_
; %bb.0:
	s_load_dwordx2 s[2:3], s[0:1], 0x58
	s_load_dwordx4 s[24:27], s[0:1], 0x48
	s_load_dwordx2 s[34:35], s[0:1], 0x68
	v_cmp_eq_u32_e64 s[20:21], 0, v0
	s_and_saveexec_b64 s[4:5], s[20:21]
	s_cbranch_execz .LBB2146_4
; %bb.1:
	s_mov_b64 s[8:9], exec
	v_mbcnt_lo_u32_b32 v1, s8, 0
	v_mbcnt_hi_u32_b32 v1, s9, v1
	v_cmp_eq_u32_e32 vcc, 0, v1
                                        ; implicit-def: $vgpr2
	s_and_saveexec_b64 s[6:7], vcc
	s_cbranch_execz .LBB2146_3
; %bb.2:
	s_load_dwordx2 s[10:11], s[0:1], 0x78
	s_bcnt1_i32_b64 s8, s[8:9]
	v_mov_b32_e32 v2, 0
	v_mov_b32_e32 v3, s8
	s_waitcnt lgkmcnt(0)
	global_atomic_add v2, v2, v3, s[10:11] sc0
.LBB2146_3:
	s_or_b64 exec, exec, s[6:7]
	s_waitcnt vmcnt(0)
	v_readfirstlane_b32 s6, v2
	v_mov_b32_e32 v2, 0
	s_nop 0
	v_add_u32_e32 v1, s6, v1
	ds_write_b32 v2, v1
.LBB2146_4:
	s_or_b64 exec, exec, s[4:5]
	v_mov_b32_e32 v19, 0
	s_load_dwordx4 s[36:39], s[0:1], 0x8
	s_load_dwordx4 s[28:31], s[0:1], 0x28
	s_load_dword s4, s[0:1], 0x70
	s_waitcnt lgkmcnt(0)
	s_barrier
	ds_read_b32 v1, v19
	s_waitcnt lgkmcnt(0)
	s_barrier
	global_load_dwordx2 v[20:21], v19, s[26:27]
	v_mov_b32_e32 v3, s3
	s_lshl_b64 s[0:1], s[38:39], 2
	s_movk_i32 s3, 0x1e00
	s_add_u32 s0, s36, s0
	v_mul_lo_u32 v18, v1, s3
	s_mul_i32 s3, s4, 0x1e00
	s_addc_u32 s1, s37, s1
	s_add_i32 s5, s4, -1
	s_add_i32 s4, s3, s38
	s_sub_i32 s33, s2, s4
	s_addk_i32 s33, 0x1e00
	v_mov_b32_e32 v2, s2
	s_add_u32 s2, s38, s3
	v_readfirstlane_b32 s40, v1
	s_addc_u32 s3, s39, 0
	s_cmp_eq_u32 s40, s5
	s_cselect_b64 s[22:23], -1, 0
	s_cmp_lg_u32 s40, s5
	v_cmp_lt_u64_e32 vcc, s[2:3], v[2:3]
	s_cselect_b64 s[2:3], -1, 0
	s_or_b64 s[4:5], vcc, s[2:3]
	v_lshlrev_b64 v[22:23], 2, v[18:19]
	v_lshl_add_u64 v[24:25], s[0:1], 0, v[22:23]
	s_mov_b64 s[0:1], -1
	s_and_b64 vcc, exec, s[4:5]
	v_lshlrev_b32_e32 v18, 2, v0
	s_cbranch_vccz .LBB2146_6
; %bb.5:
	v_lshl_add_u64 v[2:3], v[24:25], 0, v[18:19]
	v_add_co_u32_e32 v4, vcc, 0x1000, v2
	s_mov_b64 s[0:1], 0
	s_nop 0
	v_addc_co_u32_e32 v5, vcc, 0, v3, vcc
	v_add_co_u32_e32 v6, vcc, 0x2000, v2
	s_nop 1
	v_addc_co_u32_e32 v7, vcc, 0, v3, vcc
	v_add_co_u32_e32 v8, vcc, 0x3000, v2
	s_nop 1
	v_addc_co_u32_e32 v9, vcc, 0, v3, vcc
	flat_load_dword v1, v[2:3]
	flat_load_dword v10, v[2:3] offset:2048
	flat_load_dword v11, v[4:5]
	flat_load_dword v12, v[4:5] offset:2048
	;; [unrolled: 2-line block ×4, first 2 shown]
	v_add_co_u32_e32 v4, vcc, 0x4000, v2
	s_nop 1
	v_addc_co_u32_e32 v5, vcc, 0, v3, vcc
	v_add_co_u32_e32 v6, vcc, 0x5000, v2
	s_nop 1
	v_addc_co_u32_e32 v7, vcc, 0, v3, vcc
	;; [unrolled: 3-line block ×4, first 2 shown]
	flat_load_dword v17, v[4:5]
	flat_load_dword v19, v[4:5] offset:2048
	flat_load_dword v26, v[6:7]
	flat_load_dword v27, v[6:7] offset:2048
	flat_load_dword v28, v[8:9]
	flat_load_dword v29, v[8:9] offset:2048
	flat_load_dword v30, v[2:3]
	s_waitcnt vmcnt(0) lgkmcnt(0)
	ds_write2st64_b32 v18, v1, v10 offset1:8
	ds_write2st64_b32 v18, v11, v12 offset0:16 offset1:24
	ds_write2st64_b32 v18, v13, v14 offset0:32 offset1:40
	;; [unrolled: 1-line block ×6, first 2 shown]
	ds_write_b32 v18, v30 offset:28672
	s_waitcnt lgkmcnt(0)
	s_barrier
.LBB2146_6:
	s_andn2_b64 vcc, exec, s[0:1]
	v_cmp_gt_u32_e64 s[0:1], s33, v0
	s_cbranch_vccnz .LBB2146_38
; %bb.7:
                                        ; implicit-def: $vgpr2_vgpr3_vgpr4_vgpr5_vgpr6_vgpr7_vgpr8_vgpr9_vgpr10_vgpr11_vgpr12_vgpr13_vgpr14_vgpr15_vgpr16_vgpr17
	s_and_saveexec_b64 s[2:3], s[0:1]
	s_cbranch_execz .LBB2146_9
; %bb.8:
	v_mov_b32_e32 v19, 0
	v_lshl_add_u64 v[2:3], v[24:25], 0, v[18:19]
	flat_load_dword v2, v[2:3]
.LBB2146_9:
	s_or_b64 exec, exec, s[2:3]
	v_or_b32_e32 v1, 0x200, v0
	v_cmp_gt_u32_e32 vcc, s33, v1
	s_and_saveexec_b64 s[0:1], vcc
	s_cbranch_execz .LBB2146_11
; %bb.10:
	v_mov_b32_e32 v19, 0
	v_lshl_add_u64 v[26:27], v[24:25], 0, v[18:19]
	flat_load_dword v3, v[26:27] offset:2048
.LBB2146_11:
	s_or_b64 exec, exec, s[0:1]
	v_or_b32_e32 v1, 0x400, v0
	v_cmp_gt_u32_e32 vcc, s33, v1
	s_and_saveexec_b64 s[0:1], vcc
	s_cbranch_execz .LBB2146_13
; %bb.12:
	v_lshlrev_b32_e32 v26, 2, v1
	v_mov_b32_e32 v27, 0
	v_lshl_add_u64 v[26:27], v[24:25], 0, v[26:27]
	flat_load_dword v4, v[26:27]
.LBB2146_13:
	s_or_b64 exec, exec, s[0:1]
	v_or_b32_e32 v1, 0x600, v0
	v_cmp_gt_u32_e32 vcc, s33, v1
	s_and_saveexec_b64 s[0:1], vcc
	s_cbranch_execz .LBB2146_15
; %bb.14:
	v_lshlrev_b32_e32 v26, 2, v1
	v_mov_b32_e32 v27, 0
	v_lshl_add_u64 v[26:27], v[24:25], 0, v[26:27]
	flat_load_dword v5, v[26:27]
.LBB2146_15:
	;; [unrolled: 11-line block ×13, first 2 shown]
	s_or_b64 exec, exec, s[0:1]
	s_waitcnt vmcnt(0) lgkmcnt(0)
	ds_write2st64_b32 v18, v2, v3 offset1:8
	ds_write2st64_b32 v18, v4, v5 offset0:16 offset1:24
	ds_write2st64_b32 v18, v6, v7 offset0:32 offset1:40
	;; [unrolled: 1-line block ×6, first 2 shown]
	ds_write_b32 v18, v16 offset:28672
	s_waitcnt lgkmcnt(0)
	s_barrier
.LBB2146_38:
	v_mul_u32_u24_e32 v42, 15, v0
	v_lshlrev_b32_e32 v1, 2, v42
	ds_read2_b32 v[36:37], v1 offset1:1
	ds_read2_b32 v[34:35], v1 offset0:2 offset1:3
	ds_read2_b32 v[32:33], v1 offset0:4 offset1:5
	;; [unrolled: 1-line block ×6, first 2 shown]
	ds_read_b32 v1, v1 offset:56
	v_cndmask_b32_e64 v2, 0, 1, s[4:5]
	v_cmp_ne_u32_e64 s[2:3], 1, v2
	s_andn2_b64 vcc, exec, s[4:5]
	s_waitcnt lgkmcnt(7)
	v_xor_b32_e32 v16, -1, v36
	v_xor_b32_e32 v15, -1, v37
	s_waitcnt lgkmcnt(6)
	v_xor_b32_e32 v14, -1, v34
	v_xor_b32_e32 v13, -1, v35
	;; [unrolled: 3-line block ×7, first 2 shown]
	s_waitcnt lgkmcnt(0)
	v_xor_b32_e32 v2, -1, v1
	s_barrier
	s_cbranch_vccnz .LBB2146_40
; %bb.39:
	v_and_b32_e32 v55, 1, v16
	v_and_b32_e32 v54, 1, v15
	;; [unrolled: 1-line block ×15, first 2 shown]
	s_cbranch_execz .LBB2146_41
	s_branch .LBB2146_42
.LBB2146_40:
                                        ; implicit-def: $vgpr19
                                        ; implicit-def: $vgpr41
                                        ; implicit-def: $vgpr43
                                        ; implicit-def: $vgpr44
                                        ; implicit-def: $vgpr45
                                        ; implicit-def: $vgpr46
                                        ; implicit-def: $vgpr47
                                        ; implicit-def: $vgpr48
                                        ; implicit-def: $vgpr49
                                        ; implicit-def: $vgpr55
                                        ; implicit-def: $vgpr54
                                        ; implicit-def: $vgpr53
                                        ; implicit-def: $vgpr52
                                        ; implicit-def: $vgpr51
                                        ; implicit-def: $vgpr50
.LBB2146_41:
	v_add_u32_e32 v48, 1, v42
	v_cmp_gt_u32_e32 vcc, s33, v42
	v_add_u32_e32 v17, 2, v42
	v_add_u32_e32 v47, 3, v42
	v_cndmask_b32_e64 v49, 0, 1, vcc
	v_cmp_gt_u32_e32 vcc, s33, v48
	v_and_b32_e32 v55, v49, v16
	v_add_u32_e32 v19, 4, v42
	v_cndmask_b32_e64 v16, 0, 1, vcc
	v_cmp_gt_u32_e32 vcc, s33, v17
	v_and_b32_e32 v54, v16, v15
	;; [unrolled: 4-line block ×12, first 2 shown]
	s_nop 0
	v_cndmask_b32_e64 v5, 0, 1, vcc
	v_cmp_gt_u32_e32 vcc, s33, v57
	v_and_b32_e32 v43, v5, v4
	s_nop 0
	v_cndmask_b32_e64 v4, 0, 1, vcc
	v_cmp_gt_u32_e32 vcc, s33, v56
	v_and_b32_e32 v41, v4, v3
	s_nop 0
	v_cndmask_b32_e64 v3, 0, 1, vcc
	v_and_b32_e32 v19, v3, v2
.LBB2146_42:
	v_and_b32_e32 v59, 0xff, v52
	v_and_b32_e32 v60, 0xff, v51
	;; [unrolled: 1-line block ×5, first 2 shown]
	v_add3_u32 v3, v60, v61, v59
	v_and_b32_e32 v56, 0xff, v55
	v_and_b32_e32 v62, 0xff, v49
	v_add3_u32 v3, v3, v58, v57
	v_and_b32_e32 v63, 0xff, v48
	v_and_b32_e32 v64, 0xff, v47
	v_add3_u32 v3, v3, v56, v62
	v_and_b32_e32 v65, 0xff, v46
	v_and_b32_e32 v66, 0xff, v45
	v_add3_u32 v3, v3, v63, v64
	v_and_b32_e32 v67, 0xff, v44
	v_and_b32_e32 v68, 0xff, v43
	v_add3_u32 v3, v3, v65, v66
	v_and_b32_e32 v69, 0xff, v41
	v_and_b32_e32 v2, 0xff, v19
	v_add3_u32 v3, v3, v67, v68
	v_add3_u32 v72, v3, v69, v2
	v_mbcnt_lo_u32_b32 v2, -1, 0
	v_mbcnt_hi_u32_b32 v70, -1, v2
	v_and_b32_e32 v2, 15, v70
	v_cmp_eq_u32_e64 s[16:17], 0, v2
	v_cmp_lt_u32_e64 s[14:15], 1, v2
	v_cmp_lt_u32_e64 s[12:13], 3, v2
	;; [unrolled: 1-line block ×3, first 2 shown]
	v_and_b32_e32 v2, 16, v70
	v_cmp_eq_u32_e64 s[8:9], 0, v2
	v_or_b32_e32 v2, 63, v0
	s_cmp_lg_u32 s40, 0
	v_cmp_lt_u32_e64 s[4:5], 31, v70
	v_lshrrev_b32_e32 v71, 6, v0
	v_cmp_eq_u32_e64 s[6:7], v2, v0
	s_cbranch_scc0 .LBB2146_73
; %bb.43:
	v_mov_b32_dpp v2, v72 row_shr:1 row_mask:0xf bank_mask:0xf
	v_cndmask_b32_e64 v2, v2, 0, s[16:17]
	v_add_u32_e32 v2, v2, v72
	s_nop 1
	v_mov_b32_dpp v3, v2 row_shr:2 row_mask:0xf bank_mask:0xf
	v_cndmask_b32_e64 v3, 0, v3, s[14:15]
	v_add_u32_e32 v2, v2, v3
	s_nop 1
	;; [unrolled: 4-line block ×4, first 2 shown]
	v_mov_b32_dpp v3, v2 row_bcast:15 row_mask:0xf bank_mask:0xf
	v_cndmask_b32_e64 v3, v3, 0, s[8:9]
	v_add_u32_e32 v2, v2, v3
	s_nop 1
	v_mov_b32_dpp v3, v2 row_bcast:31 row_mask:0xf bank_mask:0xf
	v_cndmask_b32_e64 v3, 0, v3, s[4:5]
	v_add_u32_e32 v2, v2, v3
	s_and_saveexec_b64 s[0:1], s[6:7]
	s_cbranch_execz .LBB2146_45
; %bb.44:
	v_lshlrev_b32_e32 v3, 2, v71
	ds_write_b32 v3, v2
.LBB2146_45:
	s_or_b64 exec, exec, s[0:1]
	v_cmp_gt_u32_e32 vcc, 8, v0
	s_waitcnt lgkmcnt(0)
	s_barrier
	s_and_saveexec_b64 s[0:1], vcc
	s_cbranch_execz .LBB2146_47
; %bb.46:
	ds_read_b32 v3, v18
	v_and_b32_e32 v4, 7, v70
	v_cmp_ne_u32_e32 vcc, 0, v4
	s_waitcnt lgkmcnt(0)
	v_mov_b32_dpp v5, v3 row_shr:1 row_mask:0xf bank_mask:0xf
	v_cndmask_b32_e32 v5, 0, v5, vcc
	v_add_u32_e32 v3, v5, v3
	v_cmp_lt_u32_e32 vcc, 1, v4
	s_nop 0
	v_mov_b32_dpp v5, v3 row_shr:2 row_mask:0xf bank_mask:0xf
	v_cndmask_b32_e32 v5, 0, v5, vcc
	v_add_u32_e32 v3, v3, v5
	v_cmp_lt_u32_e32 vcc, 3, v4
	s_nop 0
	v_mov_b32_dpp v5, v3 row_shr:4 row_mask:0xf bank_mask:0xf
	v_cndmask_b32_e32 v4, 0, v5, vcc
	v_add_u32_e32 v3, v3, v4
	ds_write_b32 v18, v3
.LBB2146_47:
	s_or_b64 exec, exec, s[0:1]
	v_cmp_gt_u32_e32 vcc, 64, v0
	v_cmp_lt_u32_e64 s[0:1], 63, v0
	s_waitcnt lgkmcnt(0)
	s_barrier
	s_waitcnt lgkmcnt(0)
                                        ; implicit-def: $vgpr12
	s_and_saveexec_b64 s[18:19], s[0:1]
	s_cbranch_execz .LBB2146_49
; %bb.48:
	v_lshl_add_u32 v3, v71, 2, -4
	ds_read_b32 v12, v3
	s_waitcnt lgkmcnt(0)
	v_add_u32_e32 v2, v12, v2
.LBB2146_49:
	s_or_b64 exec, exec, s[18:19]
	v_add_u32_e32 v3, -1, v70
	v_and_b32_e32 v4, 64, v70
	v_cmp_lt_i32_e64 s[0:1], v3, v4
	v_cmp_eq_u32_e64 s[18:19], 0, v70
	s_nop 0
	v_cndmask_b32_e64 v3, v3, v70, s[0:1]
	v_lshlrev_b32_e32 v3, 2, v3
	ds_bpermute_b32 v13, v3, v2
	s_and_saveexec_b64 s[0:1], vcc
	s_cbranch_execz .LBB2146_72
; %bb.50:
	v_mov_b32_e32 v11, 0
	ds_read_b32 v2, v11 offset:28
	s_and_saveexec_b64 s[26:27], s[18:19]
	s_cbranch_execz .LBB2146_52
; %bb.51:
	s_add_i32 s36, s40, 64
	s_mov_b32 s37, 0
	s_lshl_b64 s[36:37], s[36:37], 3
	s_add_u32 s36, s34, s36
	v_mov_b32_e32 v3, 1
	s_addc_u32 s37, s35, s37
	s_waitcnt lgkmcnt(0)
	global_store_dwordx2 v11, v[2:3], s[36:37] sc1
.LBB2146_52:
	s_or_b64 exec, exec, s[26:27]
	v_xad_u32 v4, v70, -1, s40
	v_add_u32_e32 v10, 64, v4
	v_lshl_add_u64 v[6:7], v[10:11], 3, s[34:35]
	global_load_dwordx2 v[8:9], v[6:7], off sc1
	s_waitcnt vmcnt(0)
	v_cmp_eq_u16_sdwa s[36:37], v9, v11 src0_sel:BYTE_0 src1_sel:DWORD
	s_and_saveexec_b64 s[26:27], s[36:37]
	s_cbranch_execz .LBB2146_58
; %bb.53:
	s_mov_b32 s41, 1
	s_mov_b64 s[36:37], 0
	v_mov_b32_e32 v3, 0
.LBB2146_54:                            ; =>This Loop Header: Depth=1
                                        ;     Child Loop BB2146_55 Depth 2
	s_max_u32 s42, s41, 1
.LBB2146_55:                            ;   Parent Loop BB2146_54 Depth=1
                                        ; =>  This Inner Loop Header: Depth=2
	s_add_i32 s42, s42, -1
	s_cmp_eq_u32 s42, 0
	s_sleep 1
	s_cbranch_scc0 .LBB2146_55
; %bb.56:                               ;   in Loop: Header=BB2146_54 Depth=1
	global_load_dwordx2 v[8:9], v[6:7], off sc1
	s_cmp_lt_u32 s41, 32
	s_cselect_b64 s[42:43], -1, 0
	s_cmp_lg_u64 s[42:43], 0
	s_addc_u32 s41, s41, 0
	s_waitcnt vmcnt(0)
	v_cmp_ne_u16_sdwa s[42:43], v9, v3 src0_sel:BYTE_0 src1_sel:DWORD
	s_or_b64 s[36:37], s[42:43], s[36:37]
	s_andn2_b64 exec, exec, s[36:37]
	s_cbranch_execnz .LBB2146_54
; %bb.57:
	s_or_b64 exec, exec, s[36:37]
.LBB2146_58:
	s_or_b64 exec, exec, s[26:27]
	v_and_b32_e32 v15, 63, v70
	v_mov_b32_e32 v14, 2
	v_cmp_ne_u32_e32 vcc, 63, v15
	v_cmp_eq_u16_sdwa s[26:27], v9, v14 src0_sel:BYTE_0 src1_sel:DWORD
	v_lshlrev_b64 v[6:7], v70, -1
	v_addc_co_u32_e32 v10, vcc, 0, v70, vcc
	v_and_b32_e32 v3, s27, v7
	v_lshlrev_b32_e32 v16, 2, v10
	v_or_b32_e32 v3, 0x80000000, v3
	ds_bpermute_b32 v10, v16, v8
	v_and_b32_e32 v5, s26, v6
	v_ffbl_b32_e32 v3, v3
	v_add_u32_e32 v3, 32, v3
	v_ffbl_b32_e32 v5, v5
	v_min_u32_e32 v3, v5, v3
	v_cmp_lt_u32_e32 vcc, v15, v3
	v_add_u32_e32 v38, 2, v15
	v_add_u32_e32 v40, 4, v15
	s_waitcnt lgkmcnt(0)
	v_cndmask_b32_e32 v5, 0, v10, vcc
	v_cmp_gt_u32_e32 vcc, 62, v15
	v_add_u32_e32 v5, v5, v8
	v_add_u32_e32 v74, 8, v15
	v_cndmask_b32_e64 v8, 0, 1, vcc
	v_lshlrev_b32_e32 v8, 1, v8
	v_add_lshl_u32 v17, v8, v70, 2
	ds_bpermute_b32 v8, v17, v5
	v_cmp_le_u32_e32 vcc, v38, v3
	v_add_u32_e32 v76, 16, v15
	v_add_u32_e32 v78, 32, v15
	s_waitcnt lgkmcnt(0)
	v_cndmask_b32_e32 v8, 0, v8, vcc
	v_cmp_gt_u32_e32 vcc, 60, v15
	v_add_u32_e32 v5, v5, v8
	s_nop 0
	v_cndmask_b32_e64 v8, 0, 1, vcc
	v_lshlrev_b32_e32 v8, 2, v8
	v_add_lshl_u32 v39, v8, v70, 2
	ds_bpermute_b32 v8, v39, v5
	v_cmp_le_u32_e32 vcc, v40, v3
	s_waitcnt lgkmcnt(0)
	s_nop 0
	v_cndmask_b32_e32 v8, 0, v8, vcc
	v_cmp_gt_u32_e32 vcc, 56, v15
	v_add_u32_e32 v5, v5, v8
	s_nop 0
	v_cndmask_b32_e64 v8, 0, 1, vcc
	v_lshlrev_b32_e32 v8, 3, v8
	v_add_lshl_u32 v73, v8, v70, 2
	ds_bpermute_b32 v8, v73, v5
	v_cmp_le_u32_e32 vcc, v74, v3
	s_waitcnt lgkmcnt(0)
	s_nop 0
	;; [unrolled: 11-line block ×4, first 2 shown]
	v_cndmask_b32_e32 v3, 0, v8, vcc
	v_add_u32_e32 v8, v5, v3
	v_mov_b32_e32 v5, 0
	s_branch .LBB2146_60
.LBB2146_59:                            ;   in Loop: Header=BB2146_60 Depth=1
	s_or_b64 exec, exec, s[26:27]
	v_cmp_eq_u16_sdwa s[26:27], v9, v14 src0_sel:BYTE_0 src1_sel:DWORD
	ds_bpermute_b32 v79, v16, v8
	v_subrev_u32_e32 v4, 64, v4
	v_and_b32_e32 v10, s27, v7
	v_or_b32_e32 v10, 0x80000000, v10
	v_and_b32_e32 v11, s26, v6
	v_ffbl_b32_e32 v10, v10
	v_add_u32_e32 v10, 32, v10
	v_ffbl_b32_e32 v11, v11
	v_min_u32_e32 v10, v11, v10
	v_cmp_lt_u32_e32 vcc, v15, v10
	s_waitcnt lgkmcnt(0)
	s_nop 0
	v_cndmask_b32_e32 v11, 0, v79, vcc
	v_add_u32_e32 v8, v11, v8
	ds_bpermute_b32 v11, v17, v8
	v_cmp_le_u32_e32 vcc, v38, v10
	s_waitcnt lgkmcnt(0)
	s_nop 0
	v_cndmask_b32_e32 v11, 0, v11, vcc
	v_add_u32_e32 v8, v8, v11
	ds_bpermute_b32 v11, v39, v8
	v_cmp_le_u32_e32 vcc, v40, v10
	;; [unrolled: 6-line block ×5, first 2 shown]
	s_waitcnt lgkmcnt(0)
	s_nop 0
	v_cndmask_b32_e32 v10, 0, v11, vcc
	v_add3_u32 v8, v10, v3, v8
.LBB2146_60:                            ; =>This Loop Header: Depth=1
                                        ;     Child Loop BB2146_63 Depth 2
                                        ;       Child Loop BB2146_64 Depth 3
	v_cmp_ne_u16_sdwa s[26:27], v9, v14 src0_sel:BYTE_0 src1_sel:DWORD
	s_nop 1
	v_cndmask_b32_e64 v3, 0, 1, s[26:27]
	;;#ASMSTART
	;;#ASMEND
	s_nop 0
	v_cmp_ne_u32_e32 vcc, 0, v3
	s_cmp_lg_u64 vcc, exec
	v_mov_b32_e32 v3, v8
	s_cbranch_scc1 .LBB2146_67
; %bb.61:                               ;   in Loop: Header=BB2146_60 Depth=1
	v_lshl_add_u64 v[10:11], v[4:5], 3, s[34:35]
	global_load_dwordx2 v[8:9], v[10:11], off sc1
	s_waitcnt vmcnt(0)
	v_cmp_eq_u16_sdwa s[36:37], v9, v5 src0_sel:BYTE_0 src1_sel:DWORD
	s_and_saveexec_b64 s[26:27], s[36:37]
	s_cbranch_execz .LBB2146_59
; %bb.62:                               ;   in Loop: Header=BB2146_60 Depth=1
	s_mov_b32 s41, 1
	s_mov_b64 s[36:37], 0
.LBB2146_63:                            ;   Parent Loop BB2146_60 Depth=1
                                        ; =>  This Loop Header: Depth=2
                                        ;       Child Loop BB2146_64 Depth 3
	s_max_u32 s42, s41, 1
.LBB2146_64:                            ;   Parent Loop BB2146_60 Depth=1
                                        ;     Parent Loop BB2146_63 Depth=2
                                        ; =>    This Inner Loop Header: Depth=3
	s_add_i32 s42, s42, -1
	s_cmp_eq_u32 s42, 0
	s_sleep 1
	s_cbranch_scc0 .LBB2146_64
; %bb.65:                               ;   in Loop: Header=BB2146_63 Depth=2
	global_load_dwordx2 v[8:9], v[10:11], off sc1
	s_cmp_lt_u32 s41, 32
	s_cselect_b64 s[42:43], -1, 0
	s_cmp_lg_u64 s[42:43], 0
	s_addc_u32 s41, s41, 0
	s_waitcnt vmcnt(0)
	v_cmp_ne_u16_sdwa s[42:43], v9, v5 src0_sel:BYTE_0 src1_sel:DWORD
	s_or_b64 s[36:37], s[42:43], s[36:37]
	s_andn2_b64 exec, exec, s[36:37]
	s_cbranch_execnz .LBB2146_63
; %bb.66:                               ;   in Loop: Header=BB2146_60 Depth=1
	s_or_b64 exec, exec, s[36:37]
	s_branch .LBB2146_59
.LBB2146_67:                            ;   in Loop: Header=BB2146_60 Depth=1
                                        ; implicit-def: $vgpr8
                                        ; implicit-def: $vgpr9
	s_cbranch_execz .LBB2146_60
; %bb.68:
	s_and_saveexec_b64 s[26:27], s[18:19]
	s_cbranch_execz .LBB2146_70
; %bb.69:
	s_add_i32 s36, s40, 64
	s_mov_b32 s37, 0
	s_lshl_b64 s[36:37], s[36:37], 3
	s_add_u32 s36, s34, s36
	v_add_u32_e32 v4, v3, v2
	v_mov_b32_e32 v5, 2
	s_addc_u32 s37, s35, s37
	v_mov_b32_e32 v6, 0
	global_store_dwordx2 v6, v[4:5], s[36:37] sc1
	ds_write_b64 v6, v[2:3] offset:30720
.LBB2146_70:
	s_or_b64 exec, exec, s[26:27]
	s_and_b64 exec, exec, s[20:21]
	s_cbranch_execz .LBB2146_72
; %bb.71:
	v_mov_b32_e32 v2, 0
	ds_write_b32 v2, v3 offset:28
.LBB2146_72:
	s_or_b64 exec, exec, s[0:1]
	v_mov_b32_e32 v14, 0
	s_waitcnt lgkmcnt(0)
	s_barrier
	ds_read_b32 v2, v14 offset:28
	v_cndmask_b32_e64 v3, v13, v12, s[18:19]
	v_cndmask_b32_e64 v3, v3, 0, s[20:21]
	s_waitcnt lgkmcnt(0)
	s_barrier
	v_add_u32_e32 v2, v2, v3
	v_add_u32_e32 v3, v2, v56
	;; [unrolled: 1-line block ×10, first 2 shown]
	ds_read_b64 v[38:39], v14 offset:30720
	v_add_u32_e32 v12, v11, v65
	v_add_u32_e32 v13, v12, v66
	;; [unrolled: 1-line block ×5, first 2 shown]
	s_waitcnt lgkmcnt(0)
	v_mov_b32_e32 v40, v39
	s_branch .LBB2146_83
.LBB2146_73:
                                        ; implicit-def: $vgpr40
                                        ; implicit-def: $vgpr38
                                        ; implicit-def: $vgpr2_vgpr3_vgpr4_vgpr5_vgpr6_vgpr7_vgpr8_vgpr9_vgpr10_vgpr11_vgpr12_vgpr13_vgpr14_vgpr15_vgpr16_vgpr17
	s_cbranch_execz .LBB2146_83
; %bb.74:
	s_nop 0
	v_mov_b32_dpp v2, v72 row_shr:1 row_mask:0xf bank_mask:0xf
	v_cndmask_b32_e64 v2, v2, 0, s[16:17]
	v_add_u32_e32 v2, v2, v72
	s_nop 1
	v_mov_b32_dpp v3, v2 row_shr:2 row_mask:0xf bank_mask:0xf
	v_cndmask_b32_e64 v3, 0, v3, s[14:15]
	v_add_u32_e32 v2, v2, v3
	s_nop 1
	v_mov_b32_dpp v3, v2 row_shr:4 row_mask:0xf bank_mask:0xf
	v_cndmask_b32_e64 v3, 0, v3, s[12:13]
	v_add_u32_e32 v2, v2, v3
	s_nop 1
	v_mov_b32_dpp v3, v2 row_shr:8 row_mask:0xf bank_mask:0xf
	v_cndmask_b32_e64 v3, 0, v3, s[10:11]
	v_add_u32_e32 v2, v2, v3
	s_nop 1
	v_mov_b32_dpp v3, v2 row_bcast:15 row_mask:0xf bank_mask:0xf
	v_cndmask_b32_e64 v3, v3, 0, s[8:9]
	v_add_u32_e32 v2, v2, v3
	s_nop 1
	v_mov_b32_dpp v3, v2 row_bcast:31 row_mask:0xf bank_mask:0xf
	v_cndmask_b32_e64 v3, 0, v3, s[4:5]
	v_add_u32_e32 v2, v2, v3
	s_and_saveexec_b64 s[0:1], s[6:7]
	s_cbranch_execz .LBB2146_76
; %bb.75:
	v_lshlrev_b32_e32 v3, 2, v71
	ds_write_b32 v3, v2
.LBB2146_76:
	s_or_b64 exec, exec, s[0:1]
	v_cmp_gt_u32_e32 vcc, 8, v0
	s_waitcnt lgkmcnt(0)
	s_barrier
	s_and_saveexec_b64 s[0:1], vcc
	s_cbranch_execz .LBB2146_78
; %bb.77:
	ds_read_b32 v3, v18
	v_and_b32_e32 v4, 7, v70
	v_cmp_ne_u32_e32 vcc, 0, v4
	s_waitcnt lgkmcnt(0)
	v_mov_b32_dpp v5, v3 row_shr:1 row_mask:0xf bank_mask:0xf
	v_cndmask_b32_e32 v5, 0, v5, vcc
	v_add_u32_e32 v3, v5, v3
	v_cmp_lt_u32_e32 vcc, 1, v4
	s_nop 0
	v_mov_b32_dpp v5, v3 row_shr:2 row_mask:0xf bank_mask:0xf
	v_cndmask_b32_e32 v5, 0, v5, vcc
	v_add_u32_e32 v3, v3, v5
	v_cmp_lt_u32_e32 vcc, 3, v4
	s_nop 0
	v_mov_b32_dpp v5, v3 row_shr:4 row_mask:0xf bank_mask:0xf
	v_cndmask_b32_e32 v4, 0, v5, vcc
	v_add_u32_e32 v3, v3, v4
	ds_write_b32 v18, v3
.LBB2146_78:
	s_or_b64 exec, exec, s[0:1]
	v_cmp_lt_u32_e32 vcc, 63, v0
	v_mov_b32_e32 v4, 0
	v_mov_b32_e32 v3, 0
	s_waitcnt lgkmcnt(0)
	s_barrier
	s_and_saveexec_b64 s[0:1], vcc
	s_cbranch_execz .LBB2146_80
; %bb.79:
	v_lshl_add_u32 v3, v71, 2, -4
	ds_read_b32 v3, v3
.LBB2146_80:
	s_or_b64 exec, exec, s[0:1]
	v_add_u32_e32 v5, -1, v70
	v_and_b32_e32 v6, 64, v70
	v_cmp_lt_i32_e32 vcc, v5, v6
	s_waitcnt lgkmcnt(0)
	v_add_u32_e32 v2, v3, v2
	ds_read_b32 v38, v4 offset:28
	v_cndmask_b32_e32 v5, v5, v70, vcc
	v_lshlrev_b32_e32 v5, 2, v5
	ds_bpermute_b32 v2, v5, v2
	s_and_saveexec_b64 s[0:1], s[20:21]
	s_cbranch_execz .LBB2146_82
; %bb.81:
	v_mov_b32_e32 v4, 0
	v_mov_b32_e32 v39, 2
	s_waitcnt lgkmcnt(1)
	global_store_dwordx2 v4, v[38:39], s[34:35] offset:512 sc1
.LBB2146_82:
	s_or_b64 exec, exec, s[0:1]
	v_cmp_eq_u32_e32 vcc, 0, v70
	v_mov_b32_e32 v40, 0
	s_waitcnt lgkmcnt(0)
	v_cndmask_b32_e32 v2, v2, v3, vcc
	v_cndmask_b32_e64 v2, v2, 0, s[20:21]
	v_add_u32_e32 v3, v2, v56
	v_add_u32_e32 v4, v3, v57
	;; [unrolled: 1-line block ×14, first 2 shown]
	s_barrier
.LBB2146_83:
	v_add_u32_e32 v17, v38, v42
	v_sub_u32_e32 v2, v2, v40
	v_and_b32_e32 v42, 1, v55
	v_sub_u32_e32 v39, v17, v2
	v_cmp_eq_u32_e32 vcc, 1, v42
	v_or_b32_e32 v42, 0x800, v0
	s_nop 0
	v_cndmask_b32_e32 v2, v39, v2, vcc
	v_lshlrev_b32_e32 v2, 2, v2
	ds_write_b32 v2, v36
	v_sub_u32_e32 v2, v3, v40
	v_sub_u32_e32 v3, v17, v2
	v_and_b32_e32 v36, 1, v54
	v_add_u32_e32 v3, 1, v3
	v_cmp_eq_u32_e32 vcc, 1, v36
	v_or_b32_e32 v36, 0xc00, v0
	s_nop 0
	v_cndmask_b32_e32 v2, v3, v2, vcc
	v_lshlrev_b32_e32 v2, 2, v2
	ds_write_b32 v2, v37
	v_sub_u32_e32 v2, v4, v40
	v_sub_u32_e32 v3, v17, v2
	v_and_b32_e32 v4, 1, v53
	v_add_u32_e32 v3, 2, v3
	v_cmp_eq_u32_e32 vcc, 1, v4
	v_and_b32_e32 v4, 1, v52
	v_or_b32_e32 v37, 0xa00, v0
	v_cndmask_b32_e32 v2, v3, v2, vcc
	v_lshlrev_b32_e32 v2, 2, v2
	ds_write_b32 v2, v34
	v_sub_u32_e32 v2, v5, v40
	v_sub_u32_e32 v3, v17, v2
	v_add_u32_e32 v3, 3, v3
	v_cmp_eq_u32_e32 vcc, 1, v4
	v_and_b32_e32 v4, 1, v51
	v_or_b32_e32 v34, 0x1000, v0
	v_cndmask_b32_e32 v2, v3, v2, vcc
	v_lshlrev_b32_e32 v2, 2, v2
	ds_write_b32 v2, v35
	v_sub_u32_e32 v2, v6, v40
	v_sub_u32_e32 v3, v17, v2
	;; [unrolled: 9-line block ×3, first 2 shown]
	v_add_u32_e32 v3, 5, v3
	v_cmp_eq_u32_e32 vcc, 1, v4
	v_and_b32_e32 v4, 1, v49
	v_mov_b32_e32 v7, s39
	v_cndmask_b32_e32 v2, v3, v2, vcc
	v_lshlrev_b32_e32 v2, 2, v2
	ds_write_b32 v2, v33
	v_sub_u32_e32 v2, v8, v40
	v_sub_u32_e32 v3, v17, v2
	v_add_u32_e32 v3, 6, v3
	v_cmp_eq_u32_e32 vcc, 1, v4
	v_and_b32_e32 v4, 1, v48
	v_or_b32_e32 v33, 0x1200, v0
	v_cndmask_b32_e32 v2, v3, v2, vcc
	v_lshlrev_b32_e32 v2, 2, v2
	ds_write_b32 v2, v30
	v_sub_u32_e32 v2, v9, v40
	v_sub_u32_e32 v3, v17, v2
	v_add_u32_e32 v3, 7, v3
	v_cmp_eq_u32_e32 vcc, 1, v4
	v_and_b32_e32 v4, 1, v47
	v_or_b32_e32 v32, 0x1400, v0
	;; [unrolled: 9-line block ×6, first 2 shown]
	v_cndmask_b32_e32 v2, v3, v2, vcc
	v_lshlrev_b32_e32 v2, 2, v2
	ds_write_b32 v2, v27
	v_sub_u32_e32 v2, v14, v40
	v_sub_u32_e32 v3, v17, v2
	v_add_u32_e32 v3, 12, v3
	v_cmp_eq_u32_e32 vcc, 1, v4
	v_and_b32_e32 v4, 1, v41
	v_mov_b32_e32 v41, 0
	v_cndmask_b32_e32 v2, v3, v2, vcc
	v_lshlrev_b32_e32 v2, 2, v2
	ds_write_b32 v2, v24
	v_sub_u32_e32 v2, v15, v40
	v_sub_u32_e32 v3, v17, v2
	v_add_u32_e32 v3, 13, v3
	v_cmp_eq_u32_e32 vcc, 1, v4
	v_and_b32_e32 v4, 1, v19
	s_waitcnt vmcnt(0)
	v_lshl_add_u64 v[8:9], v[20:21], 0, v[40:41]
	v_cndmask_b32_e32 v2, v3, v2, vcc
	v_lshlrev_b32_e32 v2, 2, v2
	ds_write_b32 v2, v25
	v_sub_u32_e32 v2, v16, v40
	v_sub_u32_e32 v3, v17, v2
	v_add_u32_e32 v3, 14, v3
	v_cmp_eq_u32_e32 vcc, 1, v4
	v_mov_b32_e32 v39, v41
	v_or_b32_e32 v30, 0x1800, v0
	v_cndmask_b32_e32 v2, v3, v2, vcc
	v_lshlrev_b32_e32 v2, 2, v2
	ds_write_b32 v2, v1
	v_lshl_add_u64 v[2:3], v[8:9], 0, v[38:39]
	s_waitcnt lgkmcnt(0)
	s_barrier
	ds_read2st64_b32 v[26:27], v18 offset1:8
	ds_read2st64_b32 v[24:25], v18 offset0:16 offset1:24
	ds_read2st64_b32 v[16:17], v18 offset0:32 offset1:40
	;; [unrolled: 1-line block ×6, first 2 shown]
	ds_read_b32 v1, v18 offset:28672
	v_sub_co_u32_e32 v6, vcc, s38, v2
	v_lshlrev_b64 v[8:9], 2, v[8:9]
	s_nop 0
	v_subb_co_u32_e32 v7, vcc, v7, v3, vcc
	v_lshlrev_b64 v[6:7], 2, v[6:7]
	v_lshl_add_u64 v[6:7], s[30:31], 0, v[6:7]
	v_or_b32_e32 v29, 0x1a00, v0
	v_or_b32_e32 v28, 0x1c00, v0
	v_lshl_add_u64 v[6:7], v[6:7], 0, v[22:23]
	s_and_b64 vcc, exec, s[2:3]
	v_lshl_add_u64 v[8:9], s[28:29], 0, v[8:9]
	s_cbranch_vccnz .LBB2146_85
; %bb.84:
	v_cmp_gt_u32_e32 vcc, v38, v0
	v_mov_b32_e32 v19, v41
	v_lshlrev_b32_e32 v40, 2, v44
	v_cndmask_b32_e32 v21, v7, v9, vcc
	v_cndmask_b32_e32 v20, v6, v8, vcc
	v_lshl_add_u64 v[20:21], v[20:21], 0, v[18:19]
	v_cmp_lt_u32_e32 vcc, v45, v38
	s_waitcnt lgkmcnt(7)
	global_store_dword v[20:21], v26, off
	v_cndmask_b32_e32 v21, v7, v9, vcc
	v_cndmask_b32_e32 v20, v6, v8, vcc
	v_lshl_add_u64 v[20:21], v[20:21], 0, v[18:19]
	v_cmp_lt_u32_e32 vcc, v44, v38
	global_store_dword v[20:21], v27, off offset:2048
	s_mov_b64 s[0:1], -1
	v_cndmask_b32_e32 v21, v7, v9, vcc
	v_cndmask_b32_e32 v20, v6, v8, vcc
	v_lshl_add_u64 v[20:21], v[20:21], 0, v[40:41]
	v_cmp_lt_u32_e32 vcc, v43, v38
	s_waitcnt lgkmcnt(6)
	global_store_dword v[20:21], v24, off
	v_lshlrev_b32_e32 v40, 2, v43
	v_cndmask_b32_e32 v21, v7, v9, vcc
	v_cndmask_b32_e32 v20, v6, v8, vcc
	v_lshl_add_u64 v[20:21], v[20:21], 0, v[40:41]
	v_cmp_lt_u32_e32 vcc, v42, v38
	global_store_dword v[20:21], v25, off
	v_lshlrev_b32_e32 v40, 2, v42
	v_cndmask_b32_e32 v21, v7, v9, vcc
	v_cndmask_b32_e32 v20, v6, v8, vcc
	v_lshl_add_u64 v[20:21], v[20:21], 0, v[40:41]
	v_cmp_lt_u32_e32 vcc, v37, v38
	s_waitcnt lgkmcnt(5)
	global_store_dword v[20:21], v16, off
	v_lshlrev_b32_e32 v40, 2, v37
	v_cndmask_b32_e32 v21, v7, v9, vcc
	v_cndmask_b32_e32 v20, v6, v8, vcc
	v_lshl_add_u64 v[20:21], v[20:21], 0, v[40:41]
	v_cmp_lt_u32_e32 vcc, v36, v38
	global_store_dword v[20:21], v17, off
	v_lshlrev_b32_e32 v40, 2, v36
	;; [unrolled: 13-line block ×5, first 2 shown]
	v_cndmask_b32_e32 v21, v7, v9, vcc
	v_cndmask_b32_e32 v20, v6, v8, vcc
	v_lshl_add_u64 v[20:21], v[20:21], 0, v[40:41]
	v_cmp_lt_u32_e32 vcc, v29, v38
	s_waitcnt lgkmcnt(1)
	global_store_dword v[20:21], v4, off
	v_lshlrev_b32_e32 v40, 2, v29
	v_cndmask_b32_e32 v21, v7, v9, vcc
	v_cndmask_b32_e32 v20, v6, v8, vcc
	v_lshl_add_u64 v[20:21], v[20:21], 0, v[40:41]
	global_store_dword v[20:21], v5, off
	s_cbranch_execz .LBB2146_86
	s_branch .LBB2146_102
.LBB2146_85:
	s_mov_b64 s[0:1], 0
.LBB2146_86:
	v_cmp_gt_u32_e32 vcc, s33, v0
	s_and_saveexec_b64 s[0:1], vcc
	s_cbranch_execnz .LBB2146_107
; %bb.87:
	s_or_b64 exec, exec, s[0:1]
	v_cmp_gt_u32_e32 vcc, s33, v45
	s_and_saveexec_b64 s[0:1], vcc
	s_cbranch_execnz .LBB2146_108
.LBB2146_88:
	s_or_b64 exec, exec, s[0:1]
	v_cmp_gt_u32_e32 vcc, s33, v44
	s_and_saveexec_b64 s[0:1], vcc
	s_cbranch_execnz .LBB2146_109
.LBB2146_89:
	s_or_b64 exec, exec, s[0:1]
	v_cmp_gt_u32_e32 vcc, s33, v43
	s_and_saveexec_b64 s[0:1], vcc
	s_cbranch_execnz .LBB2146_110
.LBB2146_90:
	s_or_b64 exec, exec, s[0:1]
	v_cmp_gt_u32_e32 vcc, s33, v42
	s_and_saveexec_b64 s[0:1], vcc
	s_cbranch_execnz .LBB2146_111
.LBB2146_91:
	s_or_b64 exec, exec, s[0:1]
	v_cmp_gt_u32_e32 vcc, s33, v37
	s_and_saveexec_b64 s[0:1], vcc
	s_cbranch_execnz .LBB2146_112
.LBB2146_92:
	s_or_b64 exec, exec, s[0:1]
	v_cmp_gt_u32_e32 vcc, s33, v36
	s_and_saveexec_b64 s[0:1], vcc
	s_cbranch_execnz .LBB2146_113
.LBB2146_93:
	s_or_b64 exec, exec, s[0:1]
	v_cmp_gt_u32_e32 vcc, s33, v35
	s_and_saveexec_b64 s[0:1], vcc
	s_cbranch_execnz .LBB2146_114
.LBB2146_94:
	s_or_b64 exec, exec, s[0:1]
	v_cmp_gt_u32_e32 vcc, s33, v34
	s_and_saveexec_b64 s[0:1], vcc
	s_cbranch_execnz .LBB2146_115
.LBB2146_95:
	s_or_b64 exec, exec, s[0:1]
	v_cmp_gt_u32_e32 vcc, s33, v33
	s_and_saveexec_b64 s[0:1], vcc
	s_cbranch_execnz .LBB2146_116
.LBB2146_96:
	s_or_b64 exec, exec, s[0:1]
	v_cmp_gt_u32_e32 vcc, s33, v32
	s_and_saveexec_b64 s[0:1], vcc
	s_cbranch_execnz .LBB2146_117
.LBB2146_97:
	s_or_b64 exec, exec, s[0:1]
	v_cmp_gt_u32_e32 vcc, s33, v31
	s_and_saveexec_b64 s[0:1], vcc
	s_cbranch_execnz .LBB2146_118
.LBB2146_98:
	s_or_b64 exec, exec, s[0:1]
	v_cmp_gt_u32_e32 vcc, s33, v30
	s_and_saveexec_b64 s[0:1], vcc
	s_cbranch_execnz .LBB2146_119
.LBB2146_99:
	s_or_b64 exec, exec, s[0:1]
	v_cmp_gt_u32_e32 vcc, s33, v29
	s_and_saveexec_b64 s[0:1], vcc
	s_cbranch_execz .LBB2146_101
.LBB2146_100:
	v_cmp_lt_u32_e32 vcc, v29, v38
	s_waitcnt lgkmcnt(3)
	v_lshlrev_b32_e32 v12, 2, v29
	v_mov_b32_e32 v13, 0
	s_waitcnt lgkmcnt(2)
	v_cndmask_b32_e32 v11, v7, v9, vcc
	v_cndmask_b32_e32 v10, v6, v8, vcc
	v_lshl_add_u64 v[10:11], v[10:11], 0, v[12:13]
	s_waitcnt lgkmcnt(1)
	global_store_dword v[10:11], v5, off
.LBB2146_101:
	s_or_b64 exec, exec, s[0:1]
	v_cmp_gt_u32_e64 s[0:1], s33, v28
.LBB2146_102:
	s_and_saveexec_b64 s[2:3], s[0:1]
	s_cbranch_execnz .LBB2146_105
; %bb.103:
	s_or_b64 exec, exec, s[2:3]
	s_and_b64 s[0:1], s[20:21], s[22:23]
	s_and_saveexec_b64 s[2:3], s[0:1]
	s_cbranch_execnz .LBB2146_106
.LBB2146_104:
	s_endpgm
.LBB2146_105:
	v_cmp_lt_u32_e32 vcc, v28, v38
	s_waitcnt lgkmcnt(1)
	s_nop 0
	v_cndmask_b32_e32 v5, v7, v9, vcc
	v_cndmask_b32_e32 v4, v6, v8, vcc
	v_lshlrev_b32_e32 v6, 2, v28
	v_mov_b32_e32 v7, 0
	v_lshl_add_u64 v[4:5], v[4:5], 0, v[6:7]
	s_waitcnt lgkmcnt(0)
	global_store_dword v[4:5], v1, off
	s_or_b64 exec, exec, s[2:3]
	s_and_b64 s[0:1], s[20:21], s[22:23]
	s_and_saveexec_b64 s[2:3], s[0:1]
	s_cbranch_execz .LBB2146_104
.LBB2146_106:
	v_mov_b32_e32 v0, 0
	global_store_dwordx2 v0, v[2:3], s[24:25]
	s_endpgm
.LBB2146_107:
	v_cmp_gt_u32_e32 vcc, v38, v0
	v_mov_b32_e32 v19, 0
	s_nop 0
	v_cndmask_b32_e32 v21, v7, v9, vcc
	v_cndmask_b32_e32 v20, v6, v8, vcc
	v_lshl_add_u64 v[20:21], v[20:21], 0, v[18:19]
	s_waitcnt lgkmcnt(7)
	global_store_dword v[20:21], v26, off
	s_or_b64 exec, exec, s[0:1]
	v_cmp_gt_u32_e32 vcc, s33, v45
	s_and_saveexec_b64 s[0:1], vcc
	s_cbranch_execz .LBB2146_88
.LBB2146_108:
	v_cmp_lt_u32_e32 vcc, v45, v38
	v_mov_b32_e32 v19, 0
	s_nop 0
	v_cndmask_b32_e32 v21, v7, v9, vcc
	v_cndmask_b32_e32 v20, v6, v8, vcc
	v_lshl_add_u64 v[18:19], v[20:21], 0, v[18:19]
	s_waitcnt lgkmcnt(7)
	global_store_dword v[18:19], v27, off offset:2048
	s_or_b64 exec, exec, s[0:1]
	v_cmp_gt_u32_e32 vcc, s33, v44
	s_and_saveexec_b64 s[0:1], vcc
	s_cbranch_execz .LBB2146_89
.LBB2146_109:
	v_cmp_lt_u32_e32 vcc, v44, v38
	v_lshlrev_b32_e32 v20, 2, v44
	v_mov_b32_e32 v21, 0
	v_cndmask_b32_e32 v19, v7, v9, vcc
	v_cndmask_b32_e32 v18, v6, v8, vcc
	v_lshl_add_u64 v[18:19], v[18:19], 0, v[20:21]
	s_waitcnt lgkmcnt(6)
	global_store_dword v[18:19], v24, off
	s_or_b64 exec, exec, s[0:1]
	v_cmp_gt_u32_e32 vcc, s33, v43
	s_and_saveexec_b64 s[0:1], vcc
	s_cbranch_execz .LBB2146_90
.LBB2146_110:
	v_cmp_lt_u32_e32 vcc, v43, v38
	v_lshlrev_b32_e32 v20, 2, v43
	v_mov_b32_e32 v21, 0
	v_cndmask_b32_e32 v19, v7, v9, vcc
	v_cndmask_b32_e32 v18, v6, v8, vcc
	v_lshl_add_u64 v[18:19], v[18:19], 0, v[20:21]
	s_waitcnt lgkmcnt(6)
	global_store_dword v[18:19], v25, off
	s_or_b64 exec, exec, s[0:1]
	v_cmp_gt_u32_e32 vcc, s33, v42
	s_and_saveexec_b64 s[0:1], vcc
	s_cbranch_execz .LBB2146_91
.LBB2146_111:
	v_cmp_lt_u32_e32 vcc, v42, v38
	v_lshlrev_b32_e32 v20, 2, v42
	v_mov_b32_e32 v21, 0
	v_cndmask_b32_e32 v19, v7, v9, vcc
	v_cndmask_b32_e32 v18, v6, v8, vcc
	v_lshl_add_u64 v[18:19], v[18:19], 0, v[20:21]
	s_waitcnt lgkmcnt(5)
	global_store_dword v[18:19], v16, off
	s_or_b64 exec, exec, s[0:1]
	v_cmp_gt_u32_e32 vcc, s33, v37
	s_and_saveexec_b64 s[0:1], vcc
	s_cbranch_execz .LBB2146_92
.LBB2146_112:
	v_cmp_lt_u32_e32 vcc, v37, v38
	v_lshlrev_b32_e32 v20, 2, v37
	v_mov_b32_e32 v21, 0
	v_cndmask_b32_e32 v19, v7, v9, vcc
	v_cndmask_b32_e32 v18, v6, v8, vcc
	v_lshl_add_u64 v[18:19], v[18:19], 0, v[20:21]
	s_waitcnt lgkmcnt(5)
	global_store_dword v[18:19], v17, off
	s_or_b64 exec, exec, s[0:1]
	v_cmp_gt_u32_e32 vcc, s33, v36
	s_and_saveexec_b64 s[0:1], vcc
	s_cbranch_execz .LBB2146_93
.LBB2146_113:
	v_cmp_lt_u32_e32 vcc, v36, v38
	v_lshlrev_b32_e32 v18, 2, v36
	v_mov_b32_e32 v19, 0
	s_waitcnt lgkmcnt(5)
	v_cndmask_b32_e32 v17, v7, v9, vcc
	v_cndmask_b32_e32 v16, v6, v8, vcc
	v_lshl_add_u64 v[16:17], v[16:17], 0, v[18:19]
	s_waitcnt lgkmcnt(4)
	global_store_dword v[16:17], v14, off
	s_or_b64 exec, exec, s[0:1]
	v_cmp_gt_u32_e32 vcc, s33, v35
	s_and_saveexec_b64 s[0:1], vcc
	s_cbranch_execz .LBB2146_94
.LBB2146_114:
	v_cmp_lt_u32_e32 vcc, v35, v38
	v_lshlrev_b32_e32 v18, 2, v35
	v_mov_b32_e32 v19, 0
	s_waitcnt lgkmcnt(5)
	v_cndmask_b32_e32 v17, v7, v9, vcc
	v_cndmask_b32_e32 v16, v6, v8, vcc
	v_lshl_add_u64 v[16:17], v[16:17], 0, v[18:19]
	s_waitcnt lgkmcnt(4)
	global_store_dword v[16:17], v15, off
	s_or_b64 exec, exec, s[0:1]
	v_cmp_gt_u32_e32 vcc, s33, v34
	s_and_saveexec_b64 s[0:1], vcc
	s_cbranch_execz .LBB2146_95
.LBB2146_115:
	v_cmp_lt_u32_e32 vcc, v34, v38
	s_waitcnt lgkmcnt(5)
	v_lshlrev_b32_e32 v16, 2, v34
	v_mov_b32_e32 v17, 0
	s_waitcnt lgkmcnt(4)
	v_cndmask_b32_e32 v15, v7, v9, vcc
	v_cndmask_b32_e32 v14, v6, v8, vcc
	v_lshl_add_u64 v[14:15], v[14:15], 0, v[16:17]
	s_waitcnt lgkmcnt(3)
	global_store_dword v[14:15], v12, off
	s_or_b64 exec, exec, s[0:1]
	v_cmp_gt_u32_e32 vcc, s33, v33
	s_and_saveexec_b64 s[0:1], vcc
	s_cbranch_execz .LBB2146_96
.LBB2146_116:
	v_cmp_lt_u32_e32 vcc, v33, v38
	s_waitcnt lgkmcnt(5)
	v_lshlrev_b32_e32 v16, 2, v33
	v_mov_b32_e32 v17, 0
	s_waitcnt lgkmcnt(4)
	v_cndmask_b32_e32 v15, v7, v9, vcc
	v_cndmask_b32_e32 v14, v6, v8, vcc
	v_lshl_add_u64 v[14:15], v[14:15], 0, v[16:17]
	s_waitcnt lgkmcnt(3)
	global_store_dword v[14:15], v13, off
	s_or_b64 exec, exec, s[0:1]
	v_cmp_gt_u32_e32 vcc, s33, v32
	s_and_saveexec_b64 s[0:1], vcc
	s_cbranch_execz .LBB2146_97
.LBB2146_117:
	v_cmp_lt_u32_e32 vcc, v32, v38
	s_waitcnt lgkmcnt(4)
	v_lshlrev_b32_e32 v14, 2, v32
	v_mov_b32_e32 v15, 0
	s_waitcnt lgkmcnt(3)
	v_cndmask_b32_e32 v13, v7, v9, vcc
	v_cndmask_b32_e32 v12, v6, v8, vcc
	v_lshl_add_u64 v[12:13], v[12:13], 0, v[14:15]
	s_waitcnt lgkmcnt(2)
	global_store_dword v[12:13], v10, off
	s_or_b64 exec, exec, s[0:1]
	v_cmp_gt_u32_e32 vcc, s33, v31
	s_and_saveexec_b64 s[0:1], vcc
	s_cbranch_execz .LBB2146_98
.LBB2146_118:
	v_cmp_lt_u32_e32 vcc, v31, v38
	s_waitcnt lgkmcnt(4)
	v_lshlrev_b32_e32 v14, 2, v31
	v_mov_b32_e32 v15, 0
	s_waitcnt lgkmcnt(3)
	v_cndmask_b32_e32 v13, v7, v9, vcc
	v_cndmask_b32_e32 v12, v6, v8, vcc
	v_lshl_add_u64 v[12:13], v[12:13], 0, v[14:15]
	s_waitcnt lgkmcnt(2)
	global_store_dword v[12:13], v11, off
	s_or_b64 exec, exec, s[0:1]
	v_cmp_gt_u32_e32 vcc, s33, v30
	s_and_saveexec_b64 s[0:1], vcc
	s_cbranch_execz .LBB2146_99
.LBB2146_119:
	v_cmp_lt_u32_e32 vcc, v30, v38
	s_waitcnt lgkmcnt(3)
	v_lshlrev_b32_e32 v12, 2, v30
	v_mov_b32_e32 v13, 0
	s_waitcnt lgkmcnt(2)
	v_cndmask_b32_e32 v11, v7, v9, vcc
	v_cndmask_b32_e32 v10, v6, v8, vcc
	v_lshl_add_u64 v[10:11], v[10:11], 0, v[12:13]
	s_waitcnt lgkmcnt(1)
	global_store_dword v[10:11], v4, off
	s_or_b64 exec, exec, s[0:1]
	v_cmp_gt_u32_e32 vcc, s33, v29
	s_and_saveexec_b64 s[0:1], vcc
	s_cbranch_execnz .LBB2146_100
	s_branch .LBB2146_101
	.section	.rodata,"a",@progbits
	.p2align	6, 0x0
	.amdhsa_kernel _ZN7rocprim17ROCPRIM_400000_NS6detail17trampoline_kernelINS0_14default_configENS1_25partition_config_selectorILNS1_17partition_subalgoE0EjNS0_10empty_typeEbEEZZNS1_14partition_implILS5_0ELb0ES3_jN6thrust23THRUST_200600_302600_NS6detail15normal_iteratorINSA_10device_ptrIjEEEEPS6_SG_NS0_5tupleIJSF_SF_EEENSH_IJSG_SG_EEES6_PlJ7is_evenIjEEEE10hipError_tPvRmT3_T4_T5_T6_T7_T9_mT8_P12ihipStream_tbDpT10_ENKUlT_T0_E_clISt17integral_constantIbLb1EES16_EEDaS11_S12_EUlS11_E_NS1_11comp_targetILNS1_3genE5ELNS1_11target_archE942ELNS1_3gpuE9ELNS1_3repE0EEENS1_30default_config_static_selectorELNS0_4arch9wavefront6targetE1EEEvT1_
		.amdhsa_group_segment_fixed_size 30728
		.amdhsa_private_segment_fixed_size 0
		.amdhsa_kernarg_size 136
		.amdhsa_user_sgpr_count 2
		.amdhsa_user_sgpr_dispatch_ptr 0
		.amdhsa_user_sgpr_queue_ptr 0
		.amdhsa_user_sgpr_kernarg_segment_ptr 1
		.amdhsa_user_sgpr_dispatch_id 0
		.amdhsa_user_sgpr_kernarg_preload_length 0
		.amdhsa_user_sgpr_kernarg_preload_offset 0
		.amdhsa_user_sgpr_private_segment_size 0
		.amdhsa_uses_dynamic_stack 0
		.amdhsa_enable_private_segment 0
		.amdhsa_system_sgpr_workgroup_id_x 1
		.amdhsa_system_sgpr_workgroup_id_y 0
		.amdhsa_system_sgpr_workgroup_id_z 0
		.amdhsa_system_sgpr_workgroup_info 0
		.amdhsa_system_vgpr_workitem_id 0
		.amdhsa_next_free_vgpr 80
		.amdhsa_next_free_sgpr 44
		.amdhsa_accum_offset 80
		.amdhsa_reserve_vcc 1
		.amdhsa_float_round_mode_32 0
		.amdhsa_float_round_mode_16_64 0
		.amdhsa_float_denorm_mode_32 3
		.amdhsa_float_denorm_mode_16_64 3
		.amdhsa_dx10_clamp 1
		.amdhsa_ieee_mode 1
		.amdhsa_fp16_overflow 0
		.amdhsa_tg_split 0
		.amdhsa_exception_fp_ieee_invalid_op 0
		.amdhsa_exception_fp_denorm_src 0
		.amdhsa_exception_fp_ieee_div_zero 0
		.amdhsa_exception_fp_ieee_overflow 0
		.amdhsa_exception_fp_ieee_underflow 0
		.amdhsa_exception_fp_ieee_inexact 0
		.amdhsa_exception_int_div_zero 0
	.end_amdhsa_kernel
	.section	.text._ZN7rocprim17ROCPRIM_400000_NS6detail17trampoline_kernelINS0_14default_configENS1_25partition_config_selectorILNS1_17partition_subalgoE0EjNS0_10empty_typeEbEEZZNS1_14partition_implILS5_0ELb0ES3_jN6thrust23THRUST_200600_302600_NS6detail15normal_iteratorINSA_10device_ptrIjEEEEPS6_SG_NS0_5tupleIJSF_SF_EEENSH_IJSG_SG_EEES6_PlJ7is_evenIjEEEE10hipError_tPvRmT3_T4_T5_T6_T7_T9_mT8_P12ihipStream_tbDpT10_ENKUlT_T0_E_clISt17integral_constantIbLb1EES16_EEDaS11_S12_EUlS11_E_NS1_11comp_targetILNS1_3genE5ELNS1_11target_archE942ELNS1_3gpuE9ELNS1_3repE0EEENS1_30default_config_static_selectorELNS0_4arch9wavefront6targetE1EEEvT1_,"axG",@progbits,_ZN7rocprim17ROCPRIM_400000_NS6detail17trampoline_kernelINS0_14default_configENS1_25partition_config_selectorILNS1_17partition_subalgoE0EjNS0_10empty_typeEbEEZZNS1_14partition_implILS5_0ELb0ES3_jN6thrust23THRUST_200600_302600_NS6detail15normal_iteratorINSA_10device_ptrIjEEEEPS6_SG_NS0_5tupleIJSF_SF_EEENSH_IJSG_SG_EEES6_PlJ7is_evenIjEEEE10hipError_tPvRmT3_T4_T5_T6_T7_T9_mT8_P12ihipStream_tbDpT10_ENKUlT_T0_E_clISt17integral_constantIbLb1EES16_EEDaS11_S12_EUlS11_E_NS1_11comp_targetILNS1_3genE5ELNS1_11target_archE942ELNS1_3gpuE9ELNS1_3repE0EEENS1_30default_config_static_selectorELNS0_4arch9wavefront6targetE1EEEvT1_,comdat
.Lfunc_end2146:
	.size	_ZN7rocprim17ROCPRIM_400000_NS6detail17trampoline_kernelINS0_14default_configENS1_25partition_config_selectorILNS1_17partition_subalgoE0EjNS0_10empty_typeEbEEZZNS1_14partition_implILS5_0ELb0ES3_jN6thrust23THRUST_200600_302600_NS6detail15normal_iteratorINSA_10device_ptrIjEEEEPS6_SG_NS0_5tupleIJSF_SF_EEENSH_IJSG_SG_EEES6_PlJ7is_evenIjEEEE10hipError_tPvRmT3_T4_T5_T6_T7_T9_mT8_P12ihipStream_tbDpT10_ENKUlT_T0_E_clISt17integral_constantIbLb1EES16_EEDaS11_S12_EUlS11_E_NS1_11comp_targetILNS1_3genE5ELNS1_11target_archE942ELNS1_3gpuE9ELNS1_3repE0EEENS1_30default_config_static_selectorELNS0_4arch9wavefront6targetE1EEEvT1_, .Lfunc_end2146-_ZN7rocprim17ROCPRIM_400000_NS6detail17trampoline_kernelINS0_14default_configENS1_25partition_config_selectorILNS1_17partition_subalgoE0EjNS0_10empty_typeEbEEZZNS1_14partition_implILS5_0ELb0ES3_jN6thrust23THRUST_200600_302600_NS6detail15normal_iteratorINSA_10device_ptrIjEEEEPS6_SG_NS0_5tupleIJSF_SF_EEENSH_IJSG_SG_EEES6_PlJ7is_evenIjEEEE10hipError_tPvRmT3_T4_T5_T6_T7_T9_mT8_P12ihipStream_tbDpT10_ENKUlT_T0_E_clISt17integral_constantIbLb1EES16_EEDaS11_S12_EUlS11_E_NS1_11comp_targetILNS1_3genE5ELNS1_11target_archE942ELNS1_3gpuE9ELNS1_3repE0EEENS1_30default_config_static_selectorELNS0_4arch9wavefront6targetE1EEEvT1_
                                        ; -- End function
	.section	.AMDGPU.csdata,"",@progbits
; Kernel info:
; codeLenInByte = 6828
; NumSgprs: 50
; NumVgprs: 80
; NumAgprs: 0
; TotalNumVgprs: 80
; ScratchSize: 0
; MemoryBound: 0
; FloatMode: 240
; IeeeMode: 1
; LDSByteSize: 30728 bytes/workgroup (compile time only)
; SGPRBlocks: 6
; VGPRBlocks: 9
; NumSGPRsForWavesPerEU: 50
; NumVGPRsForWavesPerEU: 80
; AccumOffset: 80
; Occupancy: 4
; WaveLimiterHint : 1
; COMPUTE_PGM_RSRC2:SCRATCH_EN: 0
; COMPUTE_PGM_RSRC2:USER_SGPR: 2
; COMPUTE_PGM_RSRC2:TRAP_HANDLER: 0
; COMPUTE_PGM_RSRC2:TGID_X_EN: 1
; COMPUTE_PGM_RSRC2:TGID_Y_EN: 0
; COMPUTE_PGM_RSRC2:TGID_Z_EN: 0
; COMPUTE_PGM_RSRC2:TIDIG_COMP_CNT: 0
; COMPUTE_PGM_RSRC3_GFX90A:ACCUM_OFFSET: 19
; COMPUTE_PGM_RSRC3_GFX90A:TG_SPLIT: 0
	.section	.text._ZN7rocprim17ROCPRIM_400000_NS6detail17trampoline_kernelINS0_14default_configENS1_25partition_config_selectorILNS1_17partition_subalgoE0EjNS0_10empty_typeEbEEZZNS1_14partition_implILS5_0ELb0ES3_jN6thrust23THRUST_200600_302600_NS6detail15normal_iteratorINSA_10device_ptrIjEEEEPS6_SG_NS0_5tupleIJSF_SF_EEENSH_IJSG_SG_EEES6_PlJ7is_evenIjEEEE10hipError_tPvRmT3_T4_T5_T6_T7_T9_mT8_P12ihipStream_tbDpT10_ENKUlT_T0_E_clISt17integral_constantIbLb1EES16_EEDaS11_S12_EUlS11_E_NS1_11comp_targetILNS1_3genE4ELNS1_11target_archE910ELNS1_3gpuE8ELNS1_3repE0EEENS1_30default_config_static_selectorELNS0_4arch9wavefront6targetE1EEEvT1_,"axG",@progbits,_ZN7rocprim17ROCPRIM_400000_NS6detail17trampoline_kernelINS0_14default_configENS1_25partition_config_selectorILNS1_17partition_subalgoE0EjNS0_10empty_typeEbEEZZNS1_14partition_implILS5_0ELb0ES3_jN6thrust23THRUST_200600_302600_NS6detail15normal_iteratorINSA_10device_ptrIjEEEEPS6_SG_NS0_5tupleIJSF_SF_EEENSH_IJSG_SG_EEES6_PlJ7is_evenIjEEEE10hipError_tPvRmT3_T4_T5_T6_T7_T9_mT8_P12ihipStream_tbDpT10_ENKUlT_T0_E_clISt17integral_constantIbLb1EES16_EEDaS11_S12_EUlS11_E_NS1_11comp_targetILNS1_3genE4ELNS1_11target_archE910ELNS1_3gpuE8ELNS1_3repE0EEENS1_30default_config_static_selectorELNS0_4arch9wavefront6targetE1EEEvT1_,comdat
	.protected	_ZN7rocprim17ROCPRIM_400000_NS6detail17trampoline_kernelINS0_14default_configENS1_25partition_config_selectorILNS1_17partition_subalgoE0EjNS0_10empty_typeEbEEZZNS1_14partition_implILS5_0ELb0ES3_jN6thrust23THRUST_200600_302600_NS6detail15normal_iteratorINSA_10device_ptrIjEEEEPS6_SG_NS0_5tupleIJSF_SF_EEENSH_IJSG_SG_EEES6_PlJ7is_evenIjEEEE10hipError_tPvRmT3_T4_T5_T6_T7_T9_mT8_P12ihipStream_tbDpT10_ENKUlT_T0_E_clISt17integral_constantIbLb1EES16_EEDaS11_S12_EUlS11_E_NS1_11comp_targetILNS1_3genE4ELNS1_11target_archE910ELNS1_3gpuE8ELNS1_3repE0EEENS1_30default_config_static_selectorELNS0_4arch9wavefront6targetE1EEEvT1_ ; -- Begin function _ZN7rocprim17ROCPRIM_400000_NS6detail17trampoline_kernelINS0_14default_configENS1_25partition_config_selectorILNS1_17partition_subalgoE0EjNS0_10empty_typeEbEEZZNS1_14partition_implILS5_0ELb0ES3_jN6thrust23THRUST_200600_302600_NS6detail15normal_iteratorINSA_10device_ptrIjEEEEPS6_SG_NS0_5tupleIJSF_SF_EEENSH_IJSG_SG_EEES6_PlJ7is_evenIjEEEE10hipError_tPvRmT3_T4_T5_T6_T7_T9_mT8_P12ihipStream_tbDpT10_ENKUlT_T0_E_clISt17integral_constantIbLb1EES16_EEDaS11_S12_EUlS11_E_NS1_11comp_targetILNS1_3genE4ELNS1_11target_archE910ELNS1_3gpuE8ELNS1_3repE0EEENS1_30default_config_static_selectorELNS0_4arch9wavefront6targetE1EEEvT1_
	.globl	_ZN7rocprim17ROCPRIM_400000_NS6detail17trampoline_kernelINS0_14default_configENS1_25partition_config_selectorILNS1_17partition_subalgoE0EjNS0_10empty_typeEbEEZZNS1_14partition_implILS5_0ELb0ES3_jN6thrust23THRUST_200600_302600_NS6detail15normal_iteratorINSA_10device_ptrIjEEEEPS6_SG_NS0_5tupleIJSF_SF_EEENSH_IJSG_SG_EEES6_PlJ7is_evenIjEEEE10hipError_tPvRmT3_T4_T5_T6_T7_T9_mT8_P12ihipStream_tbDpT10_ENKUlT_T0_E_clISt17integral_constantIbLb1EES16_EEDaS11_S12_EUlS11_E_NS1_11comp_targetILNS1_3genE4ELNS1_11target_archE910ELNS1_3gpuE8ELNS1_3repE0EEENS1_30default_config_static_selectorELNS0_4arch9wavefront6targetE1EEEvT1_
	.p2align	8
	.type	_ZN7rocprim17ROCPRIM_400000_NS6detail17trampoline_kernelINS0_14default_configENS1_25partition_config_selectorILNS1_17partition_subalgoE0EjNS0_10empty_typeEbEEZZNS1_14partition_implILS5_0ELb0ES3_jN6thrust23THRUST_200600_302600_NS6detail15normal_iteratorINSA_10device_ptrIjEEEEPS6_SG_NS0_5tupleIJSF_SF_EEENSH_IJSG_SG_EEES6_PlJ7is_evenIjEEEE10hipError_tPvRmT3_T4_T5_T6_T7_T9_mT8_P12ihipStream_tbDpT10_ENKUlT_T0_E_clISt17integral_constantIbLb1EES16_EEDaS11_S12_EUlS11_E_NS1_11comp_targetILNS1_3genE4ELNS1_11target_archE910ELNS1_3gpuE8ELNS1_3repE0EEENS1_30default_config_static_selectorELNS0_4arch9wavefront6targetE1EEEvT1_,@function
_ZN7rocprim17ROCPRIM_400000_NS6detail17trampoline_kernelINS0_14default_configENS1_25partition_config_selectorILNS1_17partition_subalgoE0EjNS0_10empty_typeEbEEZZNS1_14partition_implILS5_0ELb0ES3_jN6thrust23THRUST_200600_302600_NS6detail15normal_iteratorINSA_10device_ptrIjEEEEPS6_SG_NS0_5tupleIJSF_SF_EEENSH_IJSG_SG_EEES6_PlJ7is_evenIjEEEE10hipError_tPvRmT3_T4_T5_T6_T7_T9_mT8_P12ihipStream_tbDpT10_ENKUlT_T0_E_clISt17integral_constantIbLb1EES16_EEDaS11_S12_EUlS11_E_NS1_11comp_targetILNS1_3genE4ELNS1_11target_archE910ELNS1_3gpuE8ELNS1_3repE0EEENS1_30default_config_static_selectorELNS0_4arch9wavefront6targetE1EEEvT1_: ; @_ZN7rocprim17ROCPRIM_400000_NS6detail17trampoline_kernelINS0_14default_configENS1_25partition_config_selectorILNS1_17partition_subalgoE0EjNS0_10empty_typeEbEEZZNS1_14partition_implILS5_0ELb0ES3_jN6thrust23THRUST_200600_302600_NS6detail15normal_iteratorINSA_10device_ptrIjEEEEPS6_SG_NS0_5tupleIJSF_SF_EEENSH_IJSG_SG_EEES6_PlJ7is_evenIjEEEE10hipError_tPvRmT3_T4_T5_T6_T7_T9_mT8_P12ihipStream_tbDpT10_ENKUlT_T0_E_clISt17integral_constantIbLb1EES16_EEDaS11_S12_EUlS11_E_NS1_11comp_targetILNS1_3genE4ELNS1_11target_archE910ELNS1_3gpuE8ELNS1_3repE0EEENS1_30default_config_static_selectorELNS0_4arch9wavefront6targetE1EEEvT1_
; %bb.0:
	.section	.rodata,"a",@progbits
	.p2align	6, 0x0
	.amdhsa_kernel _ZN7rocprim17ROCPRIM_400000_NS6detail17trampoline_kernelINS0_14default_configENS1_25partition_config_selectorILNS1_17partition_subalgoE0EjNS0_10empty_typeEbEEZZNS1_14partition_implILS5_0ELb0ES3_jN6thrust23THRUST_200600_302600_NS6detail15normal_iteratorINSA_10device_ptrIjEEEEPS6_SG_NS0_5tupleIJSF_SF_EEENSH_IJSG_SG_EEES6_PlJ7is_evenIjEEEE10hipError_tPvRmT3_T4_T5_T6_T7_T9_mT8_P12ihipStream_tbDpT10_ENKUlT_T0_E_clISt17integral_constantIbLb1EES16_EEDaS11_S12_EUlS11_E_NS1_11comp_targetILNS1_3genE4ELNS1_11target_archE910ELNS1_3gpuE8ELNS1_3repE0EEENS1_30default_config_static_selectorELNS0_4arch9wavefront6targetE1EEEvT1_
		.amdhsa_group_segment_fixed_size 0
		.amdhsa_private_segment_fixed_size 0
		.amdhsa_kernarg_size 136
		.amdhsa_user_sgpr_count 2
		.amdhsa_user_sgpr_dispatch_ptr 0
		.amdhsa_user_sgpr_queue_ptr 0
		.amdhsa_user_sgpr_kernarg_segment_ptr 1
		.amdhsa_user_sgpr_dispatch_id 0
		.amdhsa_user_sgpr_kernarg_preload_length 0
		.amdhsa_user_sgpr_kernarg_preload_offset 0
		.amdhsa_user_sgpr_private_segment_size 0
		.amdhsa_uses_dynamic_stack 0
		.amdhsa_enable_private_segment 0
		.amdhsa_system_sgpr_workgroup_id_x 1
		.amdhsa_system_sgpr_workgroup_id_y 0
		.amdhsa_system_sgpr_workgroup_id_z 0
		.amdhsa_system_sgpr_workgroup_info 0
		.amdhsa_system_vgpr_workitem_id 0
		.amdhsa_next_free_vgpr 1
		.amdhsa_next_free_sgpr 0
		.amdhsa_accum_offset 4
		.amdhsa_reserve_vcc 0
		.amdhsa_float_round_mode_32 0
		.amdhsa_float_round_mode_16_64 0
		.amdhsa_float_denorm_mode_32 3
		.amdhsa_float_denorm_mode_16_64 3
		.amdhsa_dx10_clamp 1
		.amdhsa_ieee_mode 1
		.amdhsa_fp16_overflow 0
		.amdhsa_tg_split 0
		.amdhsa_exception_fp_ieee_invalid_op 0
		.amdhsa_exception_fp_denorm_src 0
		.amdhsa_exception_fp_ieee_div_zero 0
		.amdhsa_exception_fp_ieee_overflow 0
		.amdhsa_exception_fp_ieee_underflow 0
		.amdhsa_exception_fp_ieee_inexact 0
		.amdhsa_exception_int_div_zero 0
	.end_amdhsa_kernel
	.section	.text._ZN7rocprim17ROCPRIM_400000_NS6detail17trampoline_kernelINS0_14default_configENS1_25partition_config_selectorILNS1_17partition_subalgoE0EjNS0_10empty_typeEbEEZZNS1_14partition_implILS5_0ELb0ES3_jN6thrust23THRUST_200600_302600_NS6detail15normal_iteratorINSA_10device_ptrIjEEEEPS6_SG_NS0_5tupleIJSF_SF_EEENSH_IJSG_SG_EEES6_PlJ7is_evenIjEEEE10hipError_tPvRmT3_T4_T5_T6_T7_T9_mT8_P12ihipStream_tbDpT10_ENKUlT_T0_E_clISt17integral_constantIbLb1EES16_EEDaS11_S12_EUlS11_E_NS1_11comp_targetILNS1_3genE4ELNS1_11target_archE910ELNS1_3gpuE8ELNS1_3repE0EEENS1_30default_config_static_selectorELNS0_4arch9wavefront6targetE1EEEvT1_,"axG",@progbits,_ZN7rocprim17ROCPRIM_400000_NS6detail17trampoline_kernelINS0_14default_configENS1_25partition_config_selectorILNS1_17partition_subalgoE0EjNS0_10empty_typeEbEEZZNS1_14partition_implILS5_0ELb0ES3_jN6thrust23THRUST_200600_302600_NS6detail15normal_iteratorINSA_10device_ptrIjEEEEPS6_SG_NS0_5tupleIJSF_SF_EEENSH_IJSG_SG_EEES6_PlJ7is_evenIjEEEE10hipError_tPvRmT3_T4_T5_T6_T7_T9_mT8_P12ihipStream_tbDpT10_ENKUlT_T0_E_clISt17integral_constantIbLb1EES16_EEDaS11_S12_EUlS11_E_NS1_11comp_targetILNS1_3genE4ELNS1_11target_archE910ELNS1_3gpuE8ELNS1_3repE0EEENS1_30default_config_static_selectorELNS0_4arch9wavefront6targetE1EEEvT1_,comdat
.Lfunc_end2147:
	.size	_ZN7rocprim17ROCPRIM_400000_NS6detail17trampoline_kernelINS0_14default_configENS1_25partition_config_selectorILNS1_17partition_subalgoE0EjNS0_10empty_typeEbEEZZNS1_14partition_implILS5_0ELb0ES3_jN6thrust23THRUST_200600_302600_NS6detail15normal_iteratorINSA_10device_ptrIjEEEEPS6_SG_NS0_5tupleIJSF_SF_EEENSH_IJSG_SG_EEES6_PlJ7is_evenIjEEEE10hipError_tPvRmT3_T4_T5_T6_T7_T9_mT8_P12ihipStream_tbDpT10_ENKUlT_T0_E_clISt17integral_constantIbLb1EES16_EEDaS11_S12_EUlS11_E_NS1_11comp_targetILNS1_3genE4ELNS1_11target_archE910ELNS1_3gpuE8ELNS1_3repE0EEENS1_30default_config_static_selectorELNS0_4arch9wavefront6targetE1EEEvT1_, .Lfunc_end2147-_ZN7rocprim17ROCPRIM_400000_NS6detail17trampoline_kernelINS0_14default_configENS1_25partition_config_selectorILNS1_17partition_subalgoE0EjNS0_10empty_typeEbEEZZNS1_14partition_implILS5_0ELb0ES3_jN6thrust23THRUST_200600_302600_NS6detail15normal_iteratorINSA_10device_ptrIjEEEEPS6_SG_NS0_5tupleIJSF_SF_EEENSH_IJSG_SG_EEES6_PlJ7is_evenIjEEEE10hipError_tPvRmT3_T4_T5_T6_T7_T9_mT8_P12ihipStream_tbDpT10_ENKUlT_T0_E_clISt17integral_constantIbLb1EES16_EEDaS11_S12_EUlS11_E_NS1_11comp_targetILNS1_3genE4ELNS1_11target_archE910ELNS1_3gpuE8ELNS1_3repE0EEENS1_30default_config_static_selectorELNS0_4arch9wavefront6targetE1EEEvT1_
                                        ; -- End function
	.section	.AMDGPU.csdata,"",@progbits
; Kernel info:
; codeLenInByte = 0
; NumSgprs: 6
; NumVgprs: 0
; NumAgprs: 0
; TotalNumVgprs: 0
; ScratchSize: 0
; MemoryBound: 0
; FloatMode: 240
; IeeeMode: 1
; LDSByteSize: 0 bytes/workgroup (compile time only)
; SGPRBlocks: 0
; VGPRBlocks: 0
; NumSGPRsForWavesPerEU: 6
; NumVGPRsForWavesPerEU: 1
; AccumOffset: 4
; Occupancy: 8
; WaveLimiterHint : 0
; COMPUTE_PGM_RSRC2:SCRATCH_EN: 0
; COMPUTE_PGM_RSRC2:USER_SGPR: 2
; COMPUTE_PGM_RSRC2:TRAP_HANDLER: 0
; COMPUTE_PGM_RSRC2:TGID_X_EN: 1
; COMPUTE_PGM_RSRC2:TGID_Y_EN: 0
; COMPUTE_PGM_RSRC2:TGID_Z_EN: 0
; COMPUTE_PGM_RSRC2:TIDIG_COMP_CNT: 0
; COMPUTE_PGM_RSRC3_GFX90A:ACCUM_OFFSET: 0
; COMPUTE_PGM_RSRC3_GFX90A:TG_SPLIT: 0
	.section	.text._ZN7rocprim17ROCPRIM_400000_NS6detail17trampoline_kernelINS0_14default_configENS1_25partition_config_selectorILNS1_17partition_subalgoE0EjNS0_10empty_typeEbEEZZNS1_14partition_implILS5_0ELb0ES3_jN6thrust23THRUST_200600_302600_NS6detail15normal_iteratorINSA_10device_ptrIjEEEEPS6_SG_NS0_5tupleIJSF_SF_EEENSH_IJSG_SG_EEES6_PlJ7is_evenIjEEEE10hipError_tPvRmT3_T4_T5_T6_T7_T9_mT8_P12ihipStream_tbDpT10_ENKUlT_T0_E_clISt17integral_constantIbLb1EES16_EEDaS11_S12_EUlS11_E_NS1_11comp_targetILNS1_3genE3ELNS1_11target_archE908ELNS1_3gpuE7ELNS1_3repE0EEENS1_30default_config_static_selectorELNS0_4arch9wavefront6targetE1EEEvT1_,"axG",@progbits,_ZN7rocprim17ROCPRIM_400000_NS6detail17trampoline_kernelINS0_14default_configENS1_25partition_config_selectorILNS1_17partition_subalgoE0EjNS0_10empty_typeEbEEZZNS1_14partition_implILS5_0ELb0ES3_jN6thrust23THRUST_200600_302600_NS6detail15normal_iteratorINSA_10device_ptrIjEEEEPS6_SG_NS0_5tupleIJSF_SF_EEENSH_IJSG_SG_EEES6_PlJ7is_evenIjEEEE10hipError_tPvRmT3_T4_T5_T6_T7_T9_mT8_P12ihipStream_tbDpT10_ENKUlT_T0_E_clISt17integral_constantIbLb1EES16_EEDaS11_S12_EUlS11_E_NS1_11comp_targetILNS1_3genE3ELNS1_11target_archE908ELNS1_3gpuE7ELNS1_3repE0EEENS1_30default_config_static_selectorELNS0_4arch9wavefront6targetE1EEEvT1_,comdat
	.protected	_ZN7rocprim17ROCPRIM_400000_NS6detail17trampoline_kernelINS0_14default_configENS1_25partition_config_selectorILNS1_17partition_subalgoE0EjNS0_10empty_typeEbEEZZNS1_14partition_implILS5_0ELb0ES3_jN6thrust23THRUST_200600_302600_NS6detail15normal_iteratorINSA_10device_ptrIjEEEEPS6_SG_NS0_5tupleIJSF_SF_EEENSH_IJSG_SG_EEES6_PlJ7is_evenIjEEEE10hipError_tPvRmT3_T4_T5_T6_T7_T9_mT8_P12ihipStream_tbDpT10_ENKUlT_T0_E_clISt17integral_constantIbLb1EES16_EEDaS11_S12_EUlS11_E_NS1_11comp_targetILNS1_3genE3ELNS1_11target_archE908ELNS1_3gpuE7ELNS1_3repE0EEENS1_30default_config_static_selectorELNS0_4arch9wavefront6targetE1EEEvT1_ ; -- Begin function _ZN7rocprim17ROCPRIM_400000_NS6detail17trampoline_kernelINS0_14default_configENS1_25partition_config_selectorILNS1_17partition_subalgoE0EjNS0_10empty_typeEbEEZZNS1_14partition_implILS5_0ELb0ES3_jN6thrust23THRUST_200600_302600_NS6detail15normal_iteratorINSA_10device_ptrIjEEEEPS6_SG_NS0_5tupleIJSF_SF_EEENSH_IJSG_SG_EEES6_PlJ7is_evenIjEEEE10hipError_tPvRmT3_T4_T5_T6_T7_T9_mT8_P12ihipStream_tbDpT10_ENKUlT_T0_E_clISt17integral_constantIbLb1EES16_EEDaS11_S12_EUlS11_E_NS1_11comp_targetILNS1_3genE3ELNS1_11target_archE908ELNS1_3gpuE7ELNS1_3repE0EEENS1_30default_config_static_selectorELNS0_4arch9wavefront6targetE1EEEvT1_
	.globl	_ZN7rocprim17ROCPRIM_400000_NS6detail17trampoline_kernelINS0_14default_configENS1_25partition_config_selectorILNS1_17partition_subalgoE0EjNS0_10empty_typeEbEEZZNS1_14partition_implILS5_0ELb0ES3_jN6thrust23THRUST_200600_302600_NS6detail15normal_iteratorINSA_10device_ptrIjEEEEPS6_SG_NS0_5tupleIJSF_SF_EEENSH_IJSG_SG_EEES6_PlJ7is_evenIjEEEE10hipError_tPvRmT3_T4_T5_T6_T7_T9_mT8_P12ihipStream_tbDpT10_ENKUlT_T0_E_clISt17integral_constantIbLb1EES16_EEDaS11_S12_EUlS11_E_NS1_11comp_targetILNS1_3genE3ELNS1_11target_archE908ELNS1_3gpuE7ELNS1_3repE0EEENS1_30default_config_static_selectorELNS0_4arch9wavefront6targetE1EEEvT1_
	.p2align	8
	.type	_ZN7rocprim17ROCPRIM_400000_NS6detail17trampoline_kernelINS0_14default_configENS1_25partition_config_selectorILNS1_17partition_subalgoE0EjNS0_10empty_typeEbEEZZNS1_14partition_implILS5_0ELb0ES3_jN6thrust23THRUST_200600_302600_NS6detail15normal_iteratorINSA_10device_ptrIjEEEEPS6_SG_NS0_5tupleIJSF_SF_EEENSH_IJSG_SG_EEES6_PlJ7is_evenIjEEEE10hipError_tPvRmT3_T4_T5_T6_T7_T9_mT8_P12ihipStream_tbDpT10_ENKUlT_T0_E_clISt17integral_constantIbLb1EES16_EEDaS11_S12_EUlS11_E_NS1_11comp_targetILNS1_3genE3ELNS1_11target_archE908ELNS1_3gpuE7ELNS1_3repE0EEENS1_30default_config_static_selectorELNS0_4arch9wavefront6targetE1EEEvT1_,@function
_ZN7rocprim17ROCPRIM_400000_NS6detail17trampoline_kernelINS0_14default_configENS1_25partition_config_selectorILNS1_17partition_subalgoE0EjNS0_10empty_typeEbEEZZNS1_14partition_implILS5_0ELb0ES3_jN6thrust23THRUST_200600_302600_NS6detail15normal_iteratorINSA_10device_ptrIjEEEEPS6_SG_NS0_5tupleIJSF_SF_EEENSH_IJSG_SG_EEES6_PlJ7is_evenIjEEEE10hipError_tPvRmT3_T4_T5_T6_T7_T9_mT8_P12ihipStream_tbDpT10_ENKUlT_T0_E_clISt17integral_constantIbLb1EES16_EEDaS11_S12_EUlS11_E_NS1_11comp_targetILNS1_3genE3ELNS1_11target_archE908ELNS1_3gpuE7ELNS1_3repE0EEENS1_30default_config_static_selectorELNS0_4arch9wavefront6targetE1EEEvT1_: ; @_ZN7rocprim17ROCPRIM_400000_NS6detail17trampoline_kernelINS0_14default_configENS1_25partition_config_selectorILNS1_17partition_subalgoE0EjNS0_10empty_typeEbEEZZNS1_14partition_implILS5_0ELb0ES3_jN6thrust23THRUST_200600_302600_NS6detail15normal_iteratorINSA_10device_ptrIjEEEEPS6_SG_NS0_5tupleIJSF_SF_EEENSH_IJSG_SG_EEES6_PlJ7is_evenIjEEEE10hipError_tPvRmT3_T4_T5_T6_T7_T9_mT8_P12ihipStream_tbDpT10_ENKUlT_T0_E_clISt17integral_constantIbLb1EES16_EEDaS11_S12_EUlS11_E_NS1_11comp_targetILNS1_3genE3ELNS1_11target_archE908ELNS1_3gpuE7ELNS1_3repE0EEENS1_30default_config_static_selectorELNS0_4arch9wavefront6targetE1EEEvT1_
; %bb.0:
	.section	.rodata,"a",@progbits
	.p2align	6, 0x0
	.amdhsa_kernel _ZN7rocprim17ROCPRIM_400000_NS6detail17trampoline_kernelINS0_14default_configENS1_25partition_config_selectorILNS1_17partition_subalgoE0EjNS0_10empty_typeEbEEZZNS1_14partition_implILS5_0ELb0ES3_jN6thrust23THRUST_200600_302600_NS6detail15normal_iteratorINSA_10device_ptrIjEEEEPS6_SG_NS0_5tupleIJSF_SF_EEENSH_IJSG_SG_EEES6_PlJ7is_evenIjEEEE10hipError_tPvRmT3_T4_T5_T6_T7_T9_mT8_P12ihipStream_tbDpT10_ENKUlT_T0_E_clISt17integral_constantIbLb1EES16_EEDaS11_S12_EUlS11_E_NS1_11comp_targetILNS1_3genE3ELNS1_11target_archE908ELNS1_3gpuE7ELNS1_3repE0EEENS1_30default_config_static_selectorELNS0_4arch9wavefront6targetE1EEEvT1_
		.amdhsa_group_segment_fixed_size 0
		.amdhsa_private_segment_fixed_size 0
		.amdhsa_kernarg_size 136
		.amdhsa_user_sgpr_count 2
		.amdhsa_user_sgpr_dispatch_ptr 0
		.amdhsa_user_sgpr_queue_ptr 0
		.amdhsa_user_sgpr_kernarg_segment_ptr 1
		.amdhsa_user_sgpr_dispatch_id 0
		.amdhsa_user_sgpr_kernarg_preload_length 0
		.amdhsa_user_sgpr_kernarg_preload_offset 0
		.amdhsa_user_sgpr_private_segment_size 0
		.amdhsa_uses_dynamic_stack 0
		.amdhsa_enable_private_segment 0
		.amdhsa_system_sgpr_workgroup_id_x 1
		.amdhsa_system_sgpr_workgroup_id_y 0
		.amdhsa_system_sgpr_workgroup_id_z 0
		.amdhsa_system_sgpr_workgroup_info 0
		.amdhsa_system_vgpr_workitem_id 0
		.amdhsa_next_free_vgpr 1
		.amdhsa_next_free_sgpr 0
		.amdhsa_accum_offset 4
		.amdhsa_reserve_vcc 0
		.amdhsa_float_round_mode_32 0
		.amdhsa_float_round_mode_16_64 0
		.amdhsa_float_denorm_mode_32 3
		.amdhsa_float_denorm_mode_16_64 3
		.amdhsa_dx10_clamp 1
		.amdhsa_ieee_mode 1
		.amdhsa_fp16_overflow 0
		.amdhsa_tg_split 0
		.amdhsa_exception_fp_ieee_invalid_op 0
		.amdhsa_exception_fp_denorm_src 0
		.amdhsa_exception_fp_ieee_div_zero 0
		.amdhsa_exception_fp_ieee_overflow 0
		.amdhsa_exception_fp_ieee_underflow 0
		.amdhsa_exception_fp_ieee_inexact 0
		.amdhsa_exception_int_div_zero 0
	.end_amdhsa_kernel
	.section	.text._ZN7rocprim17ROCPRIM_400000_NS6detail17trampoline_kernelINS0_14default_configENS1_25partition_config_selectorILNS1_17partition_subalgoE0EjNS0_10empty_typeEbEEZZNS1_14partition_implILS5_0ELb0ES3_jN6thrust23THRUST_200600_302600_NS6detail15normal_iteratorINSA_10device_ptrIjEEEEPS6_SG_NS0_5tupleIJSF_SF_EEENSH_IJSG_SG_EEES6_PlJ7is_evenIjEEEE10hipError_tPvRmT3_T4_T5_T6_T7_T9_mT8_P12ihipStream_tbDpT10_ENKUlT_T0_E_clISt17integral_constantIbLb1EES16_EEDaS11_S12_EUlS11_E_NS1_11comp_targetILNS1_3genE3ELNS1_11target_archE908ELNS1_3gpuE7ELNS1_3repE0EEENS1_30default_config_static_selectorELNS0_4arch9wavefront6targetE1EEEvT1_,"axG",@progbits,_ZN7rocprim17ROCPRIM_400000_NS6detail17trampoline_kernelINS0_14default_configENS1_25partition_config_selectorILNS1_17partition_subalgoE0EjNS0_10empty_typeEbEEZZNS1_14partition_implILS5_0ELb0ES3_jN6thrust23THRUST_200600_302600_NS6detail15normal_iteratorINSA_10device_ptrIjEEEEPS6_SG_NS0_5tupleIJSF_SF_EEENSH_IJSG_SG_EEES6_PlJ7is_evenIjEEEE10hipError_tPvRmT3_T4_T5_T6_T7_T9_mT8_P12ihipStream_tbDpT10_ENKUlT_T0_E_clISt17integral_constantIbLb1EES16_EEDaS11_S12_EUlS11_E_NS1_11comp_targetILNS1_3genE3ELNS1_11target_archE908ELNS1_3gpuE7ELNS1_3repE0EEENS1_30default_config_static_selectorELNS0_4arch9wavefront6targetE1EEEvT1_,comdat
.Lfunc_end2148:
	.size	_ZN7rocprim17ROCPRIM_400000_NS6detail17trampoline_kernelINS0_14default_configENS1_25partition_config_selectorILNS1_17partition_subalgoE0EjNS0_10empty_typeEbEEZZNS1_14partition_implILS5_0ELb0ES3_jN6thrust23THRUST_200600_302600_NS6detail15normal_iteratorINSA_10device_ptrIjEEEEPS6_SG_NS0_5tupleIJSF_SF_EEENSH_IJSG_SG_EEES6_PlJ7is_evenIjEEEE10hipError_tPvRmT3_T4_T5_T6_T7_T9_mT8_P12ihipStream_tbDpT10_ENKUlT_T0_E_clISt17integral_constantIbLb1EES16_EEDaS11_S12_EUlS11_E_NS1_11comp_targetILNS1_3genE3ELNS1_11target_archE908ELNS1_3gpuE7ELNS1_3repE0EEENS1_30default_config_static_selectorELNS0_4arch9wavefront6targetE1EEEvT1_, .Lfunc_end2148-_ZN7rocprim17ROCPRIM_400000_NS6detail17trampoline_kernelINS0_14default_configENS1_25partition_config_selectorILNS1_17partition_subalgoE0EjNS0_10empty_typeEbEEZZNS1_14partition_implILS5_0ELb0ES3_jN6thrust23THRUST_200600_302600_NS6detail15normal_iteratorINSA_10device_ptrIjEEEEPS6_SG_NS0_5tupleIJSF_SF_EEENSH_IJSG_SG_EEES6_PlJ7is_evenIjEEEE10hipError_tPvRmT3_T4_T5_T6_T7_T9_mT8_P12ihipStream_tbDpT10_ENKUlT_T0_E_clISt17integral_constantIbLb1EES16_EEDaS11_S12_EUlS11_E_NS1_11comp_targetILNS1_3genE3ELNS1_11target_archE908ELNS1_3gpuE7ELNS1_3repE0EEENS1_30default_config_static_selectorELNS0_4arch9wavefront6targetE1EEEvT1_
                                        ; -- End function
	.section	.AMDGPU.csdata,"",@progbits
; Kernel info:
; codeLenInByte = 0
; NumSgprs: 6
; NumVgprs: 0
; NumAgprs: 0
; TotalNumVgprs: 0
; ScratchSize: 0
; MemoryBound: 0
; FloatMode: 240
; IeeeMode: 1
; LDSByteSize: 0 bytes/workgroup (compile time only)
; SGPRBlocks: 0
; VGPRBlocks: 0
; NumSGPRsForWavesPerEU: 6
; NumVGPRsForWavesPerEU: 1
; AccumOffset: 4
; Occupancy: 8
; WaveLimiterHint : 0
; COMPUTE_PGM_RSRC2:SCRATCH_EN: 0
; COMPUTE_PGM_RSRC2:USER_SGPR: 2
; COMPUTE_PGM_RSRC2:TRAP_HANDLER: 0
; COMPUTE_PGM_RSRC2:TGID_X_EN: 1
; COMPUTE_PGM_RSRC2:TGID_Y_EN: 0
; COMPUTE_PGM_RSRC2:TGID_Z_EN: 0
; COMPUTE_PGM_RSRC2:TIDIG_COMP_CNT: 0
; COMPUTE_PGM_RSRC3_GFX90A:ACCUM_OFFSET: 0
; COMPUTE_PGM_RSRC3_GFX90A:TG_SPLIT: 0
	.section	.text._ZN7rocprim17ROCPRIM_400000_NS6detail17trampoline_kernelINS0_14default_configENS1_25partition_config_selectorILNS1_17partition_subalgoE0EjNS0_10empty_typeEbEEZZNS1_14partition_implILS5_0ELb0ES3_jN6thrust23THRUST_200600_302600_NS6detail15normal_iteratorINSA_10device_ptrIjEEEEPS6_SG_NS0_5tupleIJSF_SF_EEENSH_IJSG_SG_EEES6_PlJ7is_evenIjEEEE10hipError_tPvRmT3_T4_T5_T6_T7_T9_mT8_P12ihipStream_tbDpT10_ENKUlT_T0_E_clISt17integral_constantIbLb1EES16_EEDaS11_S12_EUlS11_E_NS1_11comp_targetILNS1_3genE2ELNS1_11target_archE906ELNS1_3gpuE6ELNS1_3repE0EEENS1_30default_config_static_selectorELNS0_4arch9wavefront6targetE1EEEvT1_,"axG",@progbits,_ZN7rocprim17ROCPRIM_400000_NS6detail17trampoline_kernelINS0_14default_configENS1_25partition_config_selectorILNS1_17partition_subalgoE0EjNS0_10empty_typeEbEEZZNS1_14partition_implILS5_0ELb0ES3_jN6thrust23THRUST_200600_302600_NS6detail15normal_iteratorINSA_10device_ptrIjEEEEPS6_SG_NS0_5tupleIJSF_SF_EEENSH_IJSG_SG_EEES6_PlJ7is_evenIjEEEE10hipError_tPvRmT3_T4_T5_T6_T7_T9_mT8_P12ihipStream_tbDpT10_ENKUlT_T0_E_clISt17integral_constantIbLb1EES16_EEDaS11_S12_EUlS11_E_NS1_11comp_targetILNS1_3genE2ELNS1_11target_archE906ELNS1_3gpuE6ELNS1_3repE0EEENS1_30default_config_static_selectorELNS0_4arch9wavefront6targetE1EEEvT1_,comdat
	.protected	_ZN7rocprim17ROCPRIM_400000_NS6detail17trampoline_kernelINS0_14default_configENS1_25partition_config_selectorILNS1_17partition_subalgoE0EjNS0_10empty_typeEbEEZZNS1_14partition_implILS5_0ELb0ES3_jN6thrust23THRUST_200600_302600_NS6detail15normal_iteratorINSA_10device_ptrIjEEEEPS6_SG_NS0_5tupleIJSF_SF_EEENSH_IJSG_SG_EEES6_PlJ7is_evenIjEEEE10hipError_tPvRmT3_T4_T5_T6_T7_T9_mT8_P12ihipStream_tbDpT10_ENKUlT_T0_E_clISt17integral_constantIbLb1EES16_EEDaS11_S12_EUlS11_E_NS1_11comp_targetILNS1_3genE2ELNS1_11target_archE906ELNS1_3gpuE6ELNS1_3repE0EEENS1_30default_config_static_selectorELNS0_4arch9wavefront6targetE1EEEvT1_ ; -- Begin function _ZN7rocprim17ROCPRIM_400000_NS6detail17trampoline_kernelINS0_14default_configENS1_25partition_config_selectorILNS1_17partition_subalgoE0EjNS0_10empty_typeEbEEZZNS1_14partition_implILS5_0ELb0ES3_jN6thrust23THRUST_200600_302600_NS6detail15normal_iteratorINSA_10device_ptrIjEEEEPS6_SG_NS0_5tupleIJSF_SF_EEENSH_IJSG_SG_EEES6_PlJ7is_evenIjEEEE10hipError_tPvRmT3_T4_T5_T6_T7_T9_mT8_P12ihipStream_tbDpT10_ENKUlT_T0_E_clISt17integral_constantIbLb1EES16_EEDaS11_S12_EUlS11_E_NS1_11comp_targetILNS1_3genE2ELNS1_11target_archE906ELNS1_3gpuE6ELNS1_3repE0EEENS1_30default_config_static_selectorELNS0_4arch9wavefront6targetE1EEEvT1_
	.globl	_ZN7rocprim17ROCPRIM_400000_NS6detail17trampoline_kernelINS0_14default_configENS1_25partition_config_selectorILNS1_17partition_subalgoE0EjNS0_10empty_typeEbEEZZNS1_14partition_implILS5_0ELb0ES3_jN6thrust23THRUST_200600_302600_NS6detail15normal_iteratorINSA_10device_ptrIjEEEEPS6_SG_NS0_5tupleIJSF_SF_EEENSH_IJSG_SG_EEES6_PlJ7is_evenIjEEEE10hipError_tPvRmT3_T4_T5_T6_T7_T9_mT8_P12ihipStream_tbDpT10_ENKUlT_T0_E_clISt17integral_constantIbLb1EES16_EEDaS11_S12_EUlS11_E_NS1_11comp_targetILNS1_3genE2ELNS1_11target_archE906ELNS1_3gpuE6ELNS1_3repE0EEENS1_30default_config_static_selectorELNS0_4arch9wavefront6targetE1EEEvT1_
	.p2align	8
	.type	_ZN7rocprim17ROCPRIM_400000_NS6detail17trampoline_kernelINS0_14default_configENS1_25partition_config_selectorILNS1_17partition_subalgoE0EjNS0_10empty_typeEbEEZZNS1_14partition_implILS5_0ELb0ES3_jN6thrust23THRUST_200600_302600_NS6detail15normal_iteratorINSA_10device_ptrIjEEEEPS6_SG_NS0_5tupleIJSF_SF_EEENSH_IJSG_SG_EEES6_PlJ7is_evenIjEEEE10hipError_tPvRmT3_T4_T5_T6_T7_T9_mT8_P12ihipStream_tbDpT10_ENKUlT_T0_E_clISt17integral_constantIbLb1EES16_EEDaS11_S12_EUlS11_E_NS1_11comp_targetILNS1_3genE2ELNS1_11target_archE906ELNS1_3gpuE6ELNS1_3repE0EEENS1_30default_config_static_selectorELNS0_4arch9wavefront6targetE1EEEvT1_,@function
_ZN7rocprim17ROCPRIM_400000_NS6detail17trampoline_kernelINS0_14default_configENS1_25partition_config_selectorILNS1_17partition_subalgoE0EjNS0_10empty_typeEbEEZZNS1_14partition_implILS5_0ELb0ES3_jN6thrust23THRUST_200600_302600_NS6detail15normal_iteratorINSA_10device_ptrIjEEEEPS6_SG_NS0_5tupleIJSF_SF_EEENSH_IJSG_SG_EEES6_PlJ7is_evenIjEEEE10hipError_tPvRmT3_T4_T5_T6_T7_T9_mT8_P12ihipStream_tbDpT10_ENKUlT_T0_E_clISt17integral_constantIbLb1EES16_EEDaS11_S12_EUlS11_E_NS1_11comp_targetILNS1_3genE2ELNS1_11target_archE906ELNS1_3gpuE6ELNS1_3repE0EEENS1_30default_config_static_selectorELNS0_4arch9wavefront6targetE1EEEvT1_: ; @_ZN7rocprim17ROCPRIM_400000_NS6detail17trampoline_kernelINS0_14default_configENS1_25partition_config_selectorILNS1_17partition_subalgoE0EjNS0_10empty_typeEbEEZZNS1_14partition_implILS5_0ELb0ES3_jN6thrust23THRUST_200600_302600_NS6detail15normal_iteratorINSA_10device_ptrIjEEEEPS6_SG_NS0_5tupleIJSF_SF_EEENSH_IJSG_SG_EEES6_PlJ7is_evenIjEEEE10hipError_tPvRmT3_T4_T5_T6_T7_T9_mT8_P12ihipStream_tbDpT10_ENKUlT_T0_E_clISt17integral_constantIbLb1EES16_EEDaS11_S12_EUlS11_E_NS1_11comp_targetILNS1_3genE2ELNS1_11target_archE906ELNS1_3gpuE6ELNS1_3repE0EEENS1_30default_config_static_selectorELNS0_4arch9wavefront6targetE1EEEvT1_
; %bb.0:
	.section	.rodata,"a",@progbits
	.p2align	6, 0x0
	.amdhsa_kernel _ZN7rocprim17ROCPRIM_400000_NS6detail17trampoline_kernelINS0_14default_configENS1_25partition_config_selectorILNS1_17partition_subalgoE0EjNS0_10empty_typeEbEEZZNS1_14partition_implILS5_0ELb0ES3_jN6thrust23THRUST_200600_302600_NS6detail15normal_iteratorINSA_10device_ptrIjEEEEPS6_SG_NS0_5tupleIJSF_SF_EEENSH_IJSG_SG_EEES6_PlJ7is_evenIjEEEE10hipError_tPvRmT3_T4_T5_T6_T7_T9_mT8_P12ihipStream_tbDpT10_ENKUlT_T0_E_clISt17integral_constantIbLb1EES16_EEDaS11_S12_EUlS11_E_NS1_11comp_targetILNS1_3genE2ELNS1_11target_archE906ELNS1_3gpuE6ELNS1_3repE0EEENS1_30default_config_static_selectorELNS0_4arch9wavefront6targetE1EEEvT1_
		.amdhsa_group_segment_fixed_size 0
		.amdhsa_private_segment_fixed_size 0
		.amdhsa_kernarg_size 136
		.amdhsa_user_sgpr_count 2
		.amdhsa_user_sgpr_dispatch_ptr 0
		.amdhsa_user_sgpr_queue_ptr 0
		.amdhsa_user_sgpr_kernarg_segment_ptr 1
		.amdhsa_user_sgpr_dispatch_id 0
		.amdhsa_user_sgpr_kernarg_preload_length 0
		.amdhsa_user_sgpr_kernarg_preload_offset 0
		.amdhsa_user_sgpr_private_segment_size 0
		.amdhsa_uses_dynamic_stack 0
		.amdhsa_enable_private_segment 0
		.amdhsa_system_sgpr_workgroup_id_x 1
		.amdhsa_system_sgpr_workgroup_id_y 0
		.amdhsa_system_sgpr_workgroup_id_z 0
		.amdhsa_system_sgpr_workgroup_info 0
		.amdhsa_system_vgpr_workitem_id 0
		.amdhsa_next_free_vgpr 1
		.amdhsa_next_free_sgpr 0
		.amdhsa_accum_offset 4
		.amdhsa_reserve_vcc 0
		.amdhsa_float_round_mode_32 0
		.amdhsa_float_round_mode_16_64 0
		.amdhsa_float_denorm_mode_32 3
		.amdhsa_float_denorm_mode_16_64 3
		.amdhsa_dx10_clamp 1
		.amdhsa_ieee_mode 1
		.amdhsa_fp16_overflow 0
		.amdhsa_tg_split 0
		.amdhsa_exception_fp_ieee_invalid_op 0
		.amdhsa_exception_fp_denorm_src 0
		.amdhsa_exception_fp_ieee_div_zero 0
		.amdhsa_exception_fp_ieee_overflow 0
		.amdhsa_exception_fp_ieee_underflow 0
		.amdhsa_exception_fp_ieee_inexact 0
		.amdhsa_exception_int_div_zero 0
	.end_amdhsa_kernel
	.section	.text._ZN7rocprim17ROCPRIM_400000_NS6detail17trampoline_kernelINS0_14default_configENS1_25partition_config_selectorILNS1_17partition_subalgoE0EjNS0_10empty_typeEbEEZZNS1_14partition_implILS5_0ELb0ES3_jN6thrust23THRUST_200600_302600_NS6detail15normal_iteratorINSA_10device_ptrIjEEEEPS6_SG_NS0_5tupleIJSF_SF_EEENSH_IJSG_SG_EEES6_PlJ7is_evenIjEEEE10hipError_tPvRmT3_T4_T5_T6_T7_T9_mT8_P12ihipStream_tbDpT10_ENKUlT_T0_E_clISt17integral_constantIbLb1EES16_EEDaS11_S12_EUlS11_E_NS1_11comp_targetILNS1_3genE2ELNS1_11target_archE906ELNS1_3gpuE6ELNS1_3repE0EEENS1_30default_config_static_selectorELNS0_4arch9wavefront6targetE1EEEvT1_,"axG",@progbits,_ZN7rocprim17ROCPRIM_400000_NS6detail17trampoline_kernelINS0_14default_configENS1_25partition_config_selectorILNS1_17partition_subalgoE0EjNS0_10empty_typeEbEEZZNS1_14partition_implILS5_0ELb0ES3_jN6thrust23THRUST_200600_302600_NS6detail15normal_iteratorINSA_10device_ptrIjEEEEPS6_SG_NS0_5tupleIJSF_SF_EEENSH_IJSG_SG_EEES6_PlJ7is_evenIjEEEE10hipError_tPvRmT3_T4_T5_T6_T7_T9_mT8_P12ihipStream_tbDpT10_ENKUlT_T0_E_clISt17integral_constantIbLb1EES16_EEDaS11_S12_EUlS11_E_NS1_11comp_targetILNS1_3genE2ELNS1_11target_archE906ELNS1_3gpuE6ELNS1_3repE0EEENS1_30default_config_static_selectorELNS0_4arch9wavefront6targetE1EEEvT1_,comdat
.Lfunc_end2149:
	.size	_ZN7rocprim17ROCPRIM_400000_NS6detail17trampoline_kernelINS0_14default_configENS1_25partition_config_selectorILNS1_17partition_subalgoE0EjNS0_10empty_typeEbEEZZNS1_14partition_implILS5_0ELb0ES3_jN6thrust23THRUST_200600_302600_NS6detail15normal_iteratorINSA_10device_ptrIjEEEEPS6_SG_NS0_5tupleIJSF_SF_EEENSH_IJSG_SG_EEES6_PlJ7is_evenIjEEEE10hipError_tPvRmT3_T4_T5_T6_T7_T9_mT8_P12ihipStream_tbDpT10_ENKUlT_T0_E_clISt17integral_constantIbLb1EES16_EEDaS11_S12_EUlS11_E_NS1_11comp_targetILNS1_3genE2ELNS1_11target_archE906ELNS1_3gpuE6ELNS1_3repE0EEENS1_30default_config_static_selectorELNS0_4arch9wavefront6targetE1EEEvT1_, .Lfunc_end2149-_ZN7rocprim17ROCPRIM_400000_NS6detail17trampoline_kernelINS0_14default_configENS1_25partition_config_selectorILNS1_17partition_subalgoE0EjNS0_10empty_typeEbEEZZNS1_14partition_implILS5_0ELb0ES3_jN6thrust23THRUST_200600_302600_NS6detail15normal_iteratorINSA_10device_ptrIjEEEEPS6_SG_NS0_5tupleIJSF_SF_EEENSH_IJSG_SG_EEES6_PlJ7is_evenIjEEEE10hipError_tPvRmT3_T4_T5_T6_T7_T9_mT8_P12ihipStream_tbDpT10_ENKUlT_T0_E_clISt17integral_constantIbLb1EES16_EEDaS11_S12_EUlS11_E_NS1_11comp_targetILNS1_3genE2ELNS1_11target_archE906ELNS1_3gpuE6ELNS1_3repE0EEENS1_30default_config_static_selectorELNS0_4arch9wavefront6targetE1EEEvT1_
                                        ; -- End function
	.section	.AMDGPU.csdata,"",@progbits
; Kernel info:
; codeLenInByte = 0
; NumSgprs: 6
; NumVgprs: 0
; NumAgprs: 0
; TotalNumVgprs: 0
; ScratchSize: 0
; MemoryBound: 0
; FloatMode: 240
; IeeeMode: 1
; LDSByteSize: 0 bytes/workgroup (compile time only)
; SGPRBlocks: 0
; VGPRBlocks: 0
; NumSGPRsForWavesPerEU: 6
; NumVGPRsForWavesPerEU: 1
; AccumOffset: 4
; Occupancy: 8
; WaveLimiterHint : 0
; COMPUTE_PGM_RSRC2:SCRATCH_EN: 0
; COMPUTE_PGM_RSRC2:USER_SGPR: 2
; COMPUTE_PGM_RSRC2:TRAP_HANDLER: 0
; COMPUTE_PGM_RSRC2:TGID_X_EN: 1
; COMPUTE_PGM_RSRC2:TGID_Y_EN: 0
; COMPUTE_PGM_RSRC2:TGID_Z_EN: 0
; COMPUTE_PGM_RSRC2:TIDIG_COMP_CNT: 0
; COMPUTE_PGM_RSRC3_GFX90A:ACCUM_OFFSET: 0
; COMPUTE_PGM_RSRC3_GFX90A:TG_SPLIT: 0
	.section	.text._ZN7rocprim17ROCPRIM_400000_NS6detail17trampoline_kernelINS0_14default_configENS1_25partition_config_selectorILNS1_17partition_subalgoE0EjNS0_10empty_typeEbEEZZNS1_14partition_implILS5_0ELb0ES3_jN6thrust23THRUST_200600_302600_NS6detail15normal_iteratorINSA_10device_ptrIjEEEEPS6_SG_NS0_5tupleIJSF_SF_EEENSH_IJSG_SG_EEES6_PlJ7is_evenIjEEEE10hipError_tPvRmT3_T4_T5_T6_T7_T9_mT8_P12ihipStream_tbDpT10_ENKUlT_T0_E_clISt17integral_constantIbLb1EES16_EEDaS11_S12_EUlS11_E_NS1_11comp_targetILNS1_3genE10ELNS1_11target_archE1200ELNS1_3gpuE4ELNS1_3repE0EEENS1_30default_config_static_selectorELNS0_4arch9wavefront6targetE1EEEvT1_,"axG",@progbits,_ZN7rocprim17ROCPRIM_400000_NS6detail17trampoline_kernelINS0_14default_configENS1_25partition_config_selectorILNS1_17partition_subalgoE0EjNS0_10empty_typeEbEEZZNS1_14partition_implILS5_0ELb0ES3_jN6thrust23THRUST_200600_302600_NS6detail15normal_iteratorINSA_10device_ptrIjEEEEPS6_SG_NS0_5tupleIJSF_SF_EEENSH_IJSG_SG_EEES6_PlJ7is_evenIjEEEE10hipError_tPvRmT3_T4_T5_T6_T7_T9_mT8_P12ihipStream_tbDpT10_ENKUlT_T0_E_clISt17integral_constantIbLb1EES16_EEDaS11_S12_EUlS11_E_NS1_11comp_targetILNS1_3genE10ELNS1_11target_archE1200ELNS1_3gpuE4ELNS1_3repE0EEENS1_30default_config_static_selectorELNS0_4arch9wavefront6targetE1EEEvT1_,comdat
	.protected	_ZN7rocprim17ROCPRIM_400000_NS6detail17trampoline_kernelINS0_14default_configENS1_25partition_config_selectorILNS1_17partition_subalgoE0EjNS0_10empty_typeEbEEZZNS1_14partition_implILS5_0ELb0ES3_jN6thrust23THRUST_200600_302600_NS6detail15normal_iteratorINSA_10device_ptrIjEEEEPS6_SG_NS0_5tupleIJSF_SF_EEENSH_IJSG_SG_EEES6_PlJ7is_evenIjEEEE10hipError_tPvRmT3_T4_T5_T6_T7_T9_mT8_P12ihipStream_tbDpT10_ENKUlT_T0_E_clISt17integral_constantIbLb1EES16_EEDaS11_S12_EUlS11_E_NS1_11comp_targetILNS1_3genE10ELNS1_11target_archE1200ELNS1_3gpuE4ELNS1_3repE0EEENS1_30default_config_static_selectorELNS0_4arch9wavefront6targetE1EEEvT1_ ; -- Begin function _ZN7rocprim17ROCPRIM_400000_NS6detail17trampoline_kernelINS0_14default_configENS1_25partition_config_selectorILNS1_17partition_subalgoE0EjNS0_10empty_typeEbEEZZNS1_14partition_implILS5_0ELb0ES3_jN6thrust23THRUST_200600_302600_NS6detail15normal_iteratorINSA_10device_ptrIjEEEEPS6_SG_NS0_5tupleIJSF_SF_EEENSH_IJSG_SG_EEES6_PlJ7is_evenIjEEEE10hipError_tPvRmT3_T4_T5_T6_T7_T9_mT8_P12ihipStream_tbDpT10_ENKUlT_T0_E_clISt17integral_constantIbLb1EES16_EEDaS11_S12_EUlS11_E_NS1_11comp_targetILNS1_3genE10ELNS1_11target_archE1200ELNS1_3gpuE4ELNS1_3repE0EEENS1_30default_config_static_selectorELNS0_4arch9wavefront6targetE1EEEvT1_
	.globl	_ZN7rocprim17ROCPRIM_400000_NS6detail17trampoline_kernelINS0_14default_configENS1_25partition_config_selectorILNS1_17partition_subalgoE0EjNS0_10empty_typeEbEEZZNS1_14partition_implILS5_0ELb0ES3_jN6thrust23THRUST_200600_302600_NS6detail15normal_iteratorINSA_10device_ptrIjEEEEPS6_SG_NS0_5tupleIJSF_SF_EEENSH_IJSG_SG_EEES6_PlJ7is_evenIjEEEE10hipError_tPvRmT3_T4_T5_T6_T7_T9_mT8_P12ihipStream_tbDpT10_ENKUlT_T0_E_clISt17integral_constantIbLb1EES16_EEDaS11_S12_EUlS11_E_NS1_11comp_targetILNS1_3genE10ELNS1_11target_archE1200ELNS1_3gpuE4ELNS1_3repE0EEENS1_30default_config_static_selectorELNS0_4arch9wavefront6targetE1EEEvT1_
	.p2align	8
	.type	_ZN7rocprim17ROCPRIM_400000_NS6detail17trampoline_kernelINS0_14default_configENS1_25partition_config_selectorILNS1_17partition_subalgoE0EjNS0_10empty_typeEbEEZZNS1_14partition_implILS5_0ELb0ES3_jN6thrust23THRUST_200600_302600_NS6detail15normal_iteratorINSA_10device_ptrIjEEEEPS6_SG_NS0_5tupleIJSF_SF_EEENSH_IJSG_SG_EEES6_PlJ7is_evenIjEEEE10hipError_tPvRmT3_T4_T5_T6_T7_T9_mT8_P12ihipStream_tbDpT10_ENKUlT_T0_E_clISt17integral_constantIbLb1EES16_EEDaS11_S12_EUlS11_E_NS1_11comp_targetILNS1_3genE10ELNS1_11target_archE1200ELNS1_3gpuE4ELNS1_3repE0EEENS1_30default_config_static_selectorELNS0_4arch9wavefront6targetE1EEEvT1_,@function
_ZN7rocprim17ROCPRIM_400000_NS6detail17trampoline_kernelINS0_14default_configENS1_25partition_config_selectorILNS1_17partition_subalgoE0EjNS0_10empty_typeEbEEZZNS1_14partition_implILS5_0ELb0ES3_jN6thrust23THRUST_200600_302600_NS6detail15normal_iteratorINSA_10device_ptrIjEEEEPS6_SG_NS0_5tupleIJSF_SF_EEENSH_IJSG_SG_EEES6_PlJ7is_evenIjEEEE10hipError_tPvRmT3_T4_T5_T6_T7_T9_mT8_P12ihipStream_tbDpT10_ENKUlT_T0_E_clISt17integral_constantIbLb1EES16_EEDaS11_S12_EUlS11_E_NS1_11comp_targetILNS1_3genE10ELNS1_11target_archE1200ELNS1_3gpuE4ELNS1_3repE0EEENS1_30default_config_static_selectorELNS0_4arch9wavefront6targetE1EEEvT1_: ; @_ZN7rocprim17ROCPRIM_400000_NS6detail17trampoline_kernelINS0_14default_configENS1_25partition_config_selectorILNS1_17partition_subalgoE0EjNS0_10empty_typeEbEEZZNS1_14partition_implILS5_0ELb0ES3_jN6thrust23THRUST_200600_302600_NS6detail15normal_iteratorINSA_10device_ptrIjEEEEPS6_SG_NS0_5tupleIJSF_SF_EEENSH_IJSG_SG_EEES6_PlJ7is_evenIjEEEE10hipError_tPvRmT3_T4_T5_T6_T7_T9_mT8_P12ihipStream_tbDpT10_ENKUlT_T0_E_clISt17integral_constantIbLb1EES16_EEDaS11_S12_EUlS11_E_NS1_11comp_targetILNS1_3genE10ELNS1_11target_archE1200ELNS1_3gpuE4ELNS1_3repE0EEENS1_30default_config_static_selectorELNS0_4arch9wavefront6targetE1EEEvT1_
; %bb.0:
	.section	.rodata,"a",@progbits
	.p2align	6, 0x0
	.amdhsa_kernel _ZN7rocprim17ROCPRIM_400000_NS6detail17trampoline_kernelINS0_14default_configENS1_25partition_config_selectorILNS1_17partition_subalgoE0EjNS0_10empty_typeEbEEZZNS1_14partition_implILS5_0ELb0ES3_jN6thrust23THRUST_200600_302600_NS6detail15normal_iteratorINSA_10device_ptrIjEEEEPS6_SG_NS0_5tupleIJSF_SF_EEENSH_IJSG_SG_EEES6_PlJ7is_evenIjEEEE10hipError_tPvRmT3_T4_T5_T6_T7_T9_mT8_P12ihipStream_tbDpT10_ENKUlT_T0_E_clISt17integral_constantIbLb1EES16_EEDaS11_S12_EUlS11_E_NS1_11comp_targetILNS1_3genE10ELNS1_11target_archE1200ELNS1_3gpuE4ELNS1_3repE0EEENS1_30default_config_static_selectorELNS0_4arch9wavefront6targetE1EEEvT1_
		.amdhsa_group_segment_fixed_size 0
		.amdhsa_private_segment_fixed_size 0
		.amdhsa_kernarg_size 136
		.amdhsa_user_sgpr_count 2
		.amdhsa_user_sgpr_dispatch_ptr 0
		.amdhsa_user_sgpr_queue_ptr 0
		.amdhsa_user_sgpr_kernarg_segment_ptr 1
		.amdhsa_user_sgpr_dispatch_id 0
		.amdhsa_user_sgpr_kernarg_preload_length 0
		.amdhsa_user_sgpr_kernarg_preload_offset 0
		.amdhsa_user_sgpr_private_segment_size 0
		.amdhsa_uses_dynamic_stack 0
		.amdhsa_enable_private_segment 0
		.amdhsa_system_sgpr_workgroup_id_x 1
		.amdhsa_system_sgpr_workgroup_id_y 0
		.amdhsa_system_sgpr_workgroup_id_z 0
		.amdhsa_system_sgpr_workgroup_info 0
		.amdhsa_system_vgpr_workitem_id 0
		.amdhsa_next_free_vgpr 1
		.amdhsa_next_free_sgpr 0
		.amdhsa_accum_offset 4
		.amdhsa_reserve_vcc 0
		.amdhsa_float_round_mode_32 0
		.amdhsa_float_round_mode_16_64 0
		.amdhsa_float_denorm_mode_32 3
		.amdhsa_float_denorm_mode_16_64 3
		.amdhsa_dx10_clamp 1
		.amdhsa_ieee_mode 1
		.amdhsa_fp16_overflow 0
		.amdhsa_tg_split 0
		.amdhsa_exception_fp_ieee_invalid_op 0
		.amdhsa_exception_fp_denorm_src 0
		.amdhsa_exception_fp_ieee_div_zero 0
		.amdhsa_exception_fp_ieee_overflow 0
		.amdhsa_exception_fp_ieee_underflow 0
		.amdhsa_exception_fp_ieee_inexact 0
		.amdhsa_exception_int_div_zero 0
	.end_amdhsa_kernel
	.section	.text._ZN7rocprim17ROCPRIM_400000_NS6detail17trampoline_kernelINS0_14default_configENS1_25partition_config_selectorILNS1_17partition_subalgoE0EjNS0_10empty_typeEbEEZZNS1_14partition_implILS5_0ELb0ES3_jN6thrust23THRUST_200600_302600_NS6detail15normal_iteratorINSA_10device_ptrIjEEEEPS6_SG_NS0_5tupleIJSF_SF_EEENSH_IJSG_SG_EEES6_PlJ7is_evenIjEEEE10hipError_tPvRmT3_T4_T5_T6_T7_T9_mT8_P12ihipStream_tbDpT10_ENKUlT_T0_E_clISt17integral_constantIbLb1EES16_EEDaS11_S12_EUlS11_E_NS1_11comp_targetILNS1_3genE10ELNS1_11target_archE1200ELNS1_3gpuE4ELNS1_3repE0EEENS1_30default_config_static_selectorELNS0_4arch9wavefront6targetE1EEEvT1_,"axG",@progbits,_ZN7rocprim17ROCPRIM_400000_NS6detail17trampoline_kernelINS0_14default_configENS1_25partition_config_selectorILNS1_17partition_subalgoE0EjNS0_10empty_typeEbEEZZNS1_14partition_implILS5_0ELb0ES3_jN6thrust23THRUST_200600_302600_NS6detail15normal_iteratorINSA_10device_ptrIjEEEEPS6_SG_NS0_5tupleIJSF_SF_EEENSH_IJSG_SG_EEES6_PlJ7is_evenIjEEEE10hipError_tPvRmT3_T4_T5_T6_T7_T9_mT8_P12ihipStream_tbDpT10_ENKUlT_T0_E_clISt17integral_constantIbLb1EES16_EEDaS11_S12_EUlS11_E_NS1_11comp_targetILNS1_3genE10ELNS1_11target_archE1200ELNS1_3gpuE4ELNS1_3repE0EEENS1_30default_config_static_selectorELNS0_4arch9wavefront6targetE1EEEvT1_,comdat
.Lfunc_end2150:
	.size	_ZN7rocprim17ROCPRIM_400000_NS6detail17trampoline_kernelINS0_14default_configENS1_25partition_config_selectorILNS1_17partition_subalgoE0EjNS0_10empty_typeEbEEZZNS1_14partition_implILS5_0ELb0ES3_jN6thrust23THRUST_200600_302600_NS6detail15normal_iteratorINSA_10device_ptrIjEEEEPS6_SG_NS0_5tupleIJSF_SF_EEENSH_IJSG_SG_EEES6_PlJ7is_evenIjEEEE10hipError_tPvRmT3_T4_T5_T6_T7_T9_mT8_P12ihipStream_tbDpT10_ENKUlT_T0_E_clISt17integral_constantIbLb1EES16_EEDaS11_S12_EUlS11_E_NS1_11comp_targetILNS1_3genE10ELNS1_11target_archE1200ELNS1_3gpuE4ELNS1_3repE0EEENS1_30default_config_static_selectorELNS0_4arch9wavefront6targetE1EEEvT1_, .Lfunc_end2150-_ZN7rocprim17ROCPRIM_400000_NS6detail17trampoline_kernelINS0_14default_configENS1_25partition_config_selectorILNS1_17partition_subalgoE0EjNS0_10empty_typeEbEEZZNS1_14partition_implILS5_0ELb0ES3_jN6thrust23THRUST_200600_302600_NS6detail15normal_iteratorINSA_10device_ptrIjEEEEPS6_SG_NS0_5tupleIJSF_SF_EEENSH_IJSG_SG_EEES6_PlJ7is_evenIjEEEE10hipError_tPvRmT3_T4_T5_T6_T7_T9_mT8_P12ihipStream_tbDpT10_ENKUlT_T0_E_clISt17integral_constantIbLb1EES16_EEDaS11_S12_EUlS11_E_NS1_11comp_targetILNS1_3genE10ELNS1_11target_archE1200ELNS1_3gpuE4ELNS1_3repE0EEENS1_30default_config_static_selectorELNS0_4arch9wavefront6targetE1EEEvT1_
                                        ; -- End function
	.section	.AMDGPU.csdata,"",@progbits
; Kernel info:
; codeLenInByte = 0
; NumSgprs: 6
; NumVgprs: 0
; NumAgprs: 0
; TotalNumVgprs: 0
; ScratchSize: 0
; MemoryBound: 0
; FloatMode: 240
; IeeeMode: 1
; LDSByteSize: 0 bytes/workgroup (compile time only)
; SGPRBlocks: 0
; VGPRBlocks: 0
; NumSGPRsForWavesPerEU: 6
; NumVGPRsForWavesPerEU: 1
; AccumOffset: 4
; Occupancy: 8
; WaveLimiterHint : 0
; COMPUTE_PGM_RSRC2:SCRATCH_EN: 0
; COMPUTE_PGM_RSRC2:USER_SGPR: 2
; COMPUTE_PGM_RSRC2:TRAP_HANDLER: 0
; COMPUTE_PGM_RSRC2:TGID_X_EN: 1
; COMPUTE_PGM_RSRC2:TGID_Y_EN: 0
; COMPUTE_PGM_RSRC2:TGID_Z_EN: 0
; COMPUTE_PGM_RSRC2:TIDIG_COMP_CNT: 0
; COMPUTE_PGM_RSRC3_GFX90A:ACCUM_OFFSET: 0
; COMPUTE_PGM_RSRC3_GFX90A:TG_SPLIT: 0
	.section	.text._ZN7rocprim17ROCPRIM_400000_NS6detail17trampoline_kernelINS0_14default_configENS1_25partition_config_selectorILNS1_17partition_subalgoE0EjNS0_10empty_typeEbEEZZNS1_14partition_implILS5_0ELb0ES3_jN6thrust23THRUST_200600_302600_NS6detail15normal_iteratorINSA_10device_ptrIjEEEEPS6_SG_NS0_5tupleIJSF_SF_EEENSH_IJSG_SG_EEES6_PlJ7is_evenIjEEEE10hipError_tPvRmT3_T4_T5_T6_T7_T9_mT8_P12ihipStream_tbDpT10_ENKUlT_T0_E_clISt17integral_constantIbLb1EES16_EEDaS11_S12_EUlS11_E_NS1_11comp_targetILNS1_3genE9ELNS1_11target_archE1100ELNS1_3gpuE3ELNS1_3repE0EEENS1_30default_config_static_selectorELNS0_4arch9wavefront6targetE1EEEvT1_,"axG",@progbits,_ZN7rocprim17ROCPRIM_400000_NS6detail17trampoline_kernelINS0_14default_configENS1_25partition_config_selectorILNS1_17partition_subalgoE0EjNS0_10empty_typeEbEEZZNS1_14partition_implILS5_0ELb0ES3_jN6thrust23THRUST_200600_302600_NS6detail15normal_iteratorINSA_10device_ptrIjEEEEPS6_SG_NS0_5tupleIJSF_SF_EEENSH_IJSG_SG_EEES6_PlJ7is_evenIjEEEE10hipError_tPvRmT3_T4_T5_T6_T7_T9_mT8_P12ihipStream_tbDpT10_ENKUlT_T0_E_clISt17integral_constantIbLb1EES16_EEDaS11_S12_EUlS11_E_NS1_11comp_targetILNS1_3genE9ELNS1_11target_archE1100ELNS1_3gpuE3ELNS1_3repE0EEENS1_30default_config_static_selectorELNS0_4arch9wavefront6targetE1EEEvT1_,comdat
	.protected	_ZN7rocprim17ROCPRIM_400000_NS6detail17trampoline_kernelINS0_14default_configENS1_25partition_config_selectorILNS1_17partition_subalgoE0EjNS0_10empty_typeEbEEZZNS1_14partition_implILS5_0ELb0ES3_jN6thrust23THRUST_200600_302600_NS6detail15normal_iteratorINSA_10device_ptrIjEEEEPS6_SG_NS0_5tupleIJSF_SF_EEENSH_IJSG_SG_EEES6_PlJ7is_evenIjEEEE10hipError_tPvRmT3_T4_T5_T6_T7_T9_mT8_P12ihipStream_tbDpT10_ENKUlT_T0_E_clISt17integral_constantIbLb1EES16_EEDaS11_S12_EUlS11_E_NS1_11comp_targetILNS1_3genE9ELNS1_11target_archE1100ELNS1_3gpuE3ELNS1_3repE0EEENS1_30default_config_static_selectorELNS0_4arch9wavefront6targetE1EEEvT1_ ; -- Begin function _ZN7rocprim17ROCPRIM_400000_NS6detail17trampoline_kernelINS0_14default_configENS1_25partition_config_selectorILNS1_17partition_subalgoE0EjNS0_10empty_typeEbEEZZNS1_14partition_implILS5_0ELb0ES3_jN6thrust23THRUST_200600_302600_NS6detail15normal_iteratorINSA_10device_ptrIjEEEEPS6_SG_NS0_5tupleIJSF_SF_EEENSH_IJSG_SG_EEES6_PlJ7is_evenIjEEEE10hipError_tPvRmT3_T4_T5_T6_T7_T9_mT8_P12ihipStream_tbDpT10_ENKUlT_T0_E_clISt17integral_constantIbLb1EES16_EEDaS11_S12_EUlS11_E_NS1_11comp_targetILNS1_3genE9ELNS1_11target_archE1100ELNS1_3gpuE3ELNS1_3repE0EEENS1_30default_config_static_selectorELNS0_4arch9wavefront6targetE1EEEvT1_
	.globl	_ZN7rocprim17ROCPRIM_400000_NS6detail17trampoline_kernelINS0_14default_configENS1_25partition_config_selectorILNS1_17partition_subalgoE0EjNS0_10empty_typeEbEEZZNS1_14partition_implILS5_0ELb0ES3_jN6thrust23THRUST_200600_302600_NS6detail15normal_iteratorINSA_10device_ptrIjEEEEPS6_SG_NS0_5tupleIJSF_SF_EEENSH_IJSG_SG_EEES6_PlJ7is_evenIjEEEE10hipError_tPvRmT3_T4_T5_T6_T7_T9_mT8_P12ihipStream_tbDpT10_ENKUlT_T0_E_clISt17integral_constantIbLb1EES16_EEDaS11_S12_EUlS11_E_NS1_11comp_targetILNS1_3genE9ELNS1_11target_archE1100ELNS1_3gpuE3ELNS1_3repE0EEENS1_30default_config_static_selectorELNS0_4arch9wavefront6targetE1EEEvT1_
	.p2align	8
	.type	_ZN7rocprim17ROCPRIM_400000_NS6detail17trampoline_kernelINS0_14default_configENS1_25partition_config_selectorILNS1_17partition_subalgoE0EjNS0_10empty_typeEbEEZZNS1_14partition_implILS5_0ELb0ES3_jN6thrust23THRUST_200600_302600_NS6detail15normal_iteratorINSA_10device_ptrIjEEEEPS6_SG_NS0_5tupleIJSF_SF_EEENSH_IJSG_SG_EEES6_PlJ7is_evenIjEEEE10hipError_tPvRmT3_T4_T5_T6_T7_T9_mT8_P12ihipStream_tbDpT10_ENKUlT_T0_E_clISt17integral_constantIbLb1EES16_EEDaS11_S12_EUlS11_E_NS1_11comp_targetILNS1_3genE9ELNS1_11target_archE1100ELNS1_3gpuE3ELNS1_3repE0EEENS1_30default_config_static_selectorELNS0_4arch9wavefront6targetE1EEEvT1_,@function
_ZN7rocprim17ROCPRIM_400000_NS6detail17trampoline_kernelINS0_14default_configENS1_25partition_config_selectorILNS1_17partition_subalgoE0EjNS0_10empty_typeEbEEZZNS1_14partition_implILS5_0ELb0ES3_jN6thrust23THRUST_200600_302600_NS6detail15normal_iteratorINSA_10device_ptrIjEEEEPS6_SG_NS0_5tupleIJSF_SF_EEENSH_IJSG_SG_EEES6_PlJ7is_evenIjEEEE10hipError_tPvRmT3_T4_T5_T6_T7_T9_mT8_P12ihipStream_tbDpT10_ENKUlT_T0_E_clISt17integral_constantIbLb1EES16_EEDaS11_S12_EUlS11_E_NS1_11comp_targetILNS1_3genE9ELNS1_11target_archE1100ELNS1_3gpuE3ELNS1_3repE0EEENS1_30default_config_static_selectorELNS0_4arch9wavefront6targetE1EEEvT1_: ; @_ZN7rocprim17ROCPRIM_400000_NS6detail17trampoline_kernelINS0_14default_configENS1_25partition_config_selectorILNS1_17partition_subalgoE0EjNS0_10empty_typeEbEEZZNS1_14partition_implILS5_0ELb0ES3_jN6thrust23THRUST_200600_302600_NS6detail15normal_iteratorINSA_10device_ptrIjEEEEPS6_SG_NS0_5tupleIJSF_SF_EEENSH_IJSG_SG_EEES6_PlJ7is_evenIjEEEE10hipError_tPvRmT3_T4_T5_T6_T7_T9_mT8_P12ihipStream_tbDpT10_ENKUlT_T0_E_clISt17integral_constantIbLb1EES16_EEDaS11_S12_EUlS11_E_NS1_11comp_targetILNS1_3genE9ELNS1_11target_archE1100ELNS1_3gpuE3ELNS1_3repE0EEENS1_30default_config_static_selectorELNS0_4arch9wavefront6targetE1EEEvT1_
; %bb.0:
	.section	.rodata,"a",@progbits
	.p2align	6, 0x0
	.amdhsa_kernel _ZN7rocprim17ROCPRIM_400000_NS6detail17trampoline_kernelINS0_14default_configENS1_25partition_config_selectorILNS1_17partition_subalgoE0EjNS0_10empty_typeEbEEZZNS1_14partition_implILS5_0ELb0ES3_jN6thrust23THRUST_200600_302600_NS6detail15normal_iteratorINSA_10device_ptrIjEEEEPS6_SG_NS0_5tupleIJSF_SF_EEENSH_IJSG_SG_EEES6_PlJ7is_evenIjEEEE10hipError_tPvRmT3_T4_T5_T6_T7_T9_mT8_P12ihipStream_tbDpT10_ENKUlT_T0_E_clISt17integral_constantIbLb1EES16_EEDaS11_S12_EUlS11_E_NS1_11comp_targetILNS1_3genE9ELNS1_11target_archE1100ELNS1_3gpuE3ELNS1_3repE0EEENS1_30default_config_static_selectorELNS0_4arch9wavefront6targetE1EEEvT1_
		.amdhsa_group_segment_fixed_size 0
		.amdhsa_private_segment_fixed_size 0
		.amdhsa_kernarg_size 136
		.amdhsa_user_sgpr_count 2
		.amdhsa_user_sgpr_dispatch_ptr 0
		.amdhsa_user_sgpr_queue_ptr 0
		.amdhsa_user_sgpr_kernarg_segment_ptr 1
		.amdhsa_user_sgpr_dispatch_id 0
		.amdhsa_user_sgpr_kernarg_preload_length 0
		.amdhsa_user_sgpr_kernarg_preload_offset 0
		.amdhsa_user_sgpr_private_segment_size 0
		.amdhsa_uses_dynamic_stack 0
		.amdhsa_enable_private_segment 0
		.amdhsa_system_sgpr_workgroup_id_x 1
		.amdhsa_system_sgpr_workgroup_id_y 0
		.amdhsa_system_sgpr_workgroup_id_z 0
		.amdhsa_system_sgpr_workgroup_info 0
		.amdhsa_system_vgpr_workitem_id 0
		.amdhsa_next_free_vgpr 1
		.amdhsa_next_free_sgpr 0
		.amdhsa_accum_offset 4
		.amdhsa_reserve_vcc 0
		.amdhsa_float_round_mode_32 0
		.amdhsa_float_round_mode_16_64 0
		.amdhsa_float_denorm_mode_32 3
		.amdhsa_float_denorm_mode_16_64 3
		.amdhsa_dx10_clamp 1
		.amdhsa_ieee_mode 1
		.amdhsa_fp16_overflow 0
		.amdhsa_tg_split 0
		.amdhsa_exception_fp_ieee_invalid_op 0
		.amdhsa_exception_fp_denorm_src 0
		.amdhsa_exception_fp_ieee_div_zero 0
		.amdhsa_exception_fp_ieee_overflow 0
		.amdhsa_exception_fp_ieee_underflow 0
		.amdhsa_exception_fp_ieee_inexact 0
		.amdhsa_exception_int_div_zero 0
	.end_amdhsa_kernel
	.section	.text._ZN7rocprim17ROCPRIM_400000_NS6detail17trampoline_kernelINS0_14default_configENS1_25partition_config_selectorILNS1_17partition_subalgoE0EjNS0_10empty_typeEbEEZZNS1_14partition_implILS5_0ELb0ES3_jN6thrust23THRUST_200600_302600_NS6detail15normal_iteratorINSA_10device_ptrIjEEEEPS6_SG_NS0_5tupleIJSF_SF_EEENSH_IJSG_SG_EEES6_PlJ7is_evenIjEEEE10hipError_tPvRmT3_T4_T5_T6_T7_T9_mT8_P12ihipStream_tbDpT10_ENKUlT_T0_E_clISt17integral_constantIbLb1EES16_EEDaS11_S12_EUlS11_E_NS1_11comp_targetILNS1_3genE9ELNS1_11target_archE1100ELNS1_3gpuE3ELNS1_3repE0EEENS1_30default_config_static_selectorELNS0_4arch9wavefront6targetE1EEEvT1_,"axG",@progbits,_ZN7rocprim17ROCPRIM_400000_NS6detail17trampoline_kernelINS0_14default_configENS1_25partition_config_selectorILNS1_17partition_subalgoE0EjNS0_10empty_typeEbEEZZNS1_14partition_implILS5_0ELb0ES3_jN6thrust23THRUST_200600_302600_NS6detail15normal_iteratorINSA_10device_ptrIjEEEEPS6_SG_NS0_5tupleIJSF_SF_EEENSH_IJSG_SG_EEES6_PlJ7is_evenIjEEEE10hipError_tPvRmT3_T4_T5_T6_T7_T9_mT8_P12ihipStream_tbDpT10_ENKUlT_T0_E_clISt17integral_constantIbLb1EES16_EEDaS11_S12_EUlS11_E_NS1_11comp_targetILNS1_3genE9ELNS1_11target_archE1100ELNS1_3gpuE3ELNS1_3repE0EEENS1_30default_config_static_selectorELNS0_4arch9wavefront6targetE1EEEvT1_,comdat
.Lfunc_end2151:
	.size	_ZN7rocprim17ROCPRIM_400000_NS6detail17trampoline_kernelINS0_14default_configENS1_25partition_config_selectorILNS1_17partition_subalgoE0EjNS0_10empty_typeEbEEZZNS1_14partition_implILS5_0ELb0ES3_jN6thrust23THRUST_200600_302600_NS6detail15normal_iteratorINSA_10device_ptrIjEEEEPS6_SG_NS0_5tupleIJSF_SF_EEENSH_IJSG_SG_EEES6_PlJ7is_evenIjEEEE10hipError_tPvRmT3_T4_T5_T6_T7_T9_mT8_P12ihipStream_tbDpT10_ENKUlT_T0_E_clISt17integral_constantIbLb1EES16_EEDaS11_S12_EUlS11_E_NS1_11comp_targetILNS1_3genE9ELNS1_11target_archE1100ELNS1_3gpuE3ELNS1_3repE0EEENS1_30default_config_static_selectorELNS0_4arch9wavefront6targetE1EEEvT1_, .Lfunc_end2151-_ZN7rocprim17ROCPRIM_400000_NS6detail17trampoline_kernelINS0_14default_configENS1_25partition_config_selectorILNS1_17partition_subalgoE0EjNS0_10empty_typeEbEEZZNS1_14partition_implILS5_0ELb0ES3_jN6thrust23THRUST_200600_302600_NS6detail15normal_iteratorINSA_10device_ptrIjEEEEPS6_SG_NS0_5tupleIJSF_SF_EEENSH_IJSG_SG_EEES6_PlJ7is_evenIjEEEE10hipError_tPvRmT3_T4_T5_T6_T7_T9_mT8_P12ihipStream_tbDpT10_ENKUlT_T0_E_clISt17integral_constantIbLb1EES16_EEDaS11_S12_EUlS11_E_NS1_11comp_targetILNS1_3genE9ELNS1_11target_archE1100ELNS1_3gpuE3ELNS1_3repE0EEENS1_30default_config_static_selectorELNS0_4arch9wavefront6targetE1EEEvT1_
                                        ; -- End function
	.section	.AMDGPU.csdata,"",@progbits
; Kernel info:
; codeLenInByte = 0
; NumSgprs: 6
; NumVgprs: 0
; NumAgprs: 0
; TotalNumVgprs: 0
; ScratchSize: 0
; MemoryBound: 0
; FloatMode: 240
; IeeeMode: 1
; LDSByteSize: 0 bytes/workgroup (compile time only)
; SGPRBlocks: 0
; VGPRBlocks: 0
; NumSGPRsForWavesPerEU: 6
; NumVGPRsForWavesPerEU: 1
; AccumOffset: 4
; Occupancy: 8
; WaveLimiterHint : 0
; COMPUTE_PGM_RSRC2:SCRATCH_EN: 0
; COMPUTE_PGM_RSRC2:USER_SGPR: 2
; COMPUTE_PGM_RSRC2:TRAP_HANDLER: 0
; COMPUTE_PGM_RSRC2:TGID_X_EN: 1
; COMPUTE_PGM_RSRC2:TGID_Y_EN: 0
; COMPUTE_PGM_RSRC2:TGID_Z_EN: 0
; COMPUTE_PGM_RSRC2:TIDIG_COMP_CNT: 0
; COMPUTE_PGM_RSRC3_GFX90A:ACCUM_OFFSET: 0
; COMPUTE_PGM_RSRC3_GFX90A:TG_SPLIT: 0
	.section	.text._ZN7rocprim17ROCPRIM_400000_NS6detail17trampoline_kernelINS0_14default_configENS1_25partition_config_selectorILNS1_17partition_subalgoE0EjNS0_10empty_typeEbEEZZNS1_14partition_implILS5_0ELb0ES3_jN6thrust23THRUST_200600_302600_NS6detail15normal_iteratorINSA_10device_ptrIjEEEEPS6_SG_NS0_5tupleIJSF_SF_EEENSH_IJSG_SG_EEES6_PlJ7is_evenIjEEEE10hipError_tPvRmT3_T4_T5_T6_T7_T9_mT8_P12ihipStream_tbDpT10_ENKUlT_T0_E_clISt17integral_constantIbLb1EES16_EEDaS11_S12_EUlS11_E_NS1_11comp_targetILNS1_3genE8ELNS1_11target_archE1030ELNS1_3gpuE2ELNS1_3repE0EEENS1_30default_config_static_selectorELNS0_4arch9wavefront6targetE1EEEvT1_,"axG",@progbits,_ZN7rocprim17ROCPRIM_400000_NS6detail17trampoline_kernelINS0_14default_configENS1_25partition_config_selectorILNS1_17partition_subalgoE0EjNS0_10empty_typeEbEEZZNS1_14partition_implILS5_0ELb0ES3_jN6thrust23THRUST_200600_302600_NS6detail15normal_iteratorINSA_10device_ptrIjEEEEPS6_SG_NS0_5tupleIJSF_SF_EEENSH_IJSG_SG_EEES6_PlJ7is_evenIjEEEE10hipError_tPvRmT3_T4_T5_T6_T7_T9_mT8_P12ihipStream_tbDpT10_ENKUlT_T0_E_clISt17integral_constantIbLb1EES16_EEDaS11_S12_EUlS11_E_NS1_11comp_targetILNS1_3genE8ELNS1_11target_archE1030ELNS1_3gpuE2ELNS1_3repE0EEENS1_30default_config_static_selectorELNS0_4arch9wavefront6targetE1EEEvT1_,comdat
	.protected	_ZN7rocprim17ROCPRIM_400000_NS6detail17trampoline_kernelINS0_14default_configENS1_25partition_config_selectorILNS1_17partition_subalgoE0EjNS0_10empty_typeEbEEZZNS1_14partition_implILS5_0ELb0ES3_jN6thrust23THRUST_200600_302600_NS6detail15normal_iteratorINSA_10device_ptrIjEEEEPS6_SG_NS0_5tupleIJSF_SF_EEENSH_IJSG_SG_EEES6_PlJ7is_evenIjEEEE10hipError_tPvRmT3_T4_T5_T6_T7_T9_mT8_P12ihipStream_tbDpT10_ENKUlT_T0_E_clISt17integral_constantIbLb1EES16_EEDaS11_S12_EUlS11_E_NS1_11comp_targetILNS1_3genE8ELNS1_11target_archE1030ELNS1_3gpuE2ELNS1_3repE0EEENS1_30default_config_static_selectorELNS0_4arch9wavefront6targetE1EEEvT1_ ; -- Begin function _ZN7rocprim17ROCPRIM_400000_NS6detail17trampoline_kernelINS0_14default_configENS1_25partition_config_selectorILNS1_17partition_subalgoE0EjNS0_10empty_typeEbEEZZNS1_14partition_implILS5_0ELb0ES3_jN6thrust23THRUST_200600_302600_NS6detail15normal_iteratorINSA_10device_ptrIjEEEEPS6_SG_NS0_5tupleIJSF_SF_EEENSH_IJSG_SG_EEES6_PlJ7is_evenIjEEEE10hipError_tPvRmT3_T4_T5_T6_T7_T9_mT8_P12ihipStream_tbDpT10_ENKUlT_T0_E_clISt17integral_constantIbLb1EES16_EEDaS11_S12_EUlS11_E_NS1_11comp_targetILNS1_3genE8ELNS1_11target_archE1030ELNS1_3gpuE2ELNS1_3repE0EEENS1_30default_config_static_selectorELNS0_4arch9wavefront6targetE1EEEvT1_
	.globl	_ZN7rocprim17ROCPRIM_400000_NS6detail17trampoline_kernelINS0_14default_configENS1_25partition_config_selectorILNS1_17partition_subalgoE0EjNS0_10empty_typeEbEEZZNS1_14partition_implILS5_0ELb0ES3_jN6thrust23THRUST_200600_302600_NS6detail15normal_iteratorINSA_10device_ptrIjEEEEPS6_SG_NS0_5tupleIJSF_SF_EEENSH_IJSG_SG_EEES6_PlJ7is_evenIjEEEE10hipError_tPvRmT3_T4_T5_T6_T7_T9_mT8_P12ihipStream_tbDpT10_ENKUlT_T0_E_clISt17integral_constantIbLb1EES16_EEDaS11_S12_EUlS11_E_NS1_11comp_targetILNS1_3genE8ELNS1_11target_archE1030ELNS1_3gpuE2ELNS1_3repE0EEENS1_30default_config_static_selectorELNS0_4arch9wavefront6targetE1EEEvT1_
	.p2align	8
	.type	_ZN7rocprim17ROCPRIM_400000_NS6detail17trampoline_kernelINS0_14default_configENS1_25partition_config_selectorILNS1_17partition_subalgoE0EjNS0_10empty_typeEbEEZZNS1_14partition_implILS5_0ELb0ES3_jN6thrust23THRUST_200600_302600_NS6detail15normal_iteratorINSA_10device_ptrIjEEEEPS6_SG_NS0_5tupleIJSF_SF_EEENSH_IJSG_SG_EEES6_PlJ7is_evenIjEEEE10hipError_tPvRmT3_T4_T5_T6_T7_T9_mT8_P12ihipStream_tbDpT10_ENKUlT_T0_E_clISt17integral_constantIbLb1EES16_EEDaS11_S12_EUlS11_E_NS1_11comp_targetILNS1_3genE8ELNS1_11target_archE1030ELNS1_3gpuE2ELNS1_3repE0EEENS1_30default_config_static_selectorELNS0_4arch9wavefront6targetE1EEEvT1_,@function
_ZN7rocprim17ROCPRIM_400000_NS6detail17trampoline_kernelINS0_14default_configENS1_25partition_config_selectorILNS1_17partition_subalgoE0EjNS0_10empty_typeEbEEZZNS1_14partition_implILS5_0ELb0ES3_jN6thrust23THRUST_200600_302600_NS6detail15normal_iteratorINSA_10device_ptrIjEEEEPS6_SG_NS0_5tupleIJSF_SF_EEENSH_IJSG_SG_EEES6_PlJ7is_evenIjEEEE10hipError_tPvRmT3_T4_T5_T6_T7_T9_mT8_P12ihipStream_tbDpT10_ENKUlT_T0_E_clISt17integral_constantIbLb1EES16_EEDaS11_S12_EUlS11_E_NS1_11comp_targetILNS1_3genE8ELNS1_11target_archE1030ELNS1_3gpuE2ELNS1_3repE0EEENS1_30default_config_static_selectorELNS0_4arch9wavefront6targetE1EEEvT1_: ; @_ZN7rocprim17ROCPRIM_400000_NS6detail17trampoline_kernelINS0_14default_configENS1_25partition_config_selectorILNS1_17partition_subalgoE0EjNS0_10empty_typeEbEEZZNS1_14partition_implILS5_0ELb0ES3_jN6thrust23THRUST_200600_302600_NS6detail15normal_iteratorINSA_10device_ptrIjEEEEPS6_SG_NS0_5tupleIJSF_SF_EEENSH_IJSG_SG_EEES6_PlJ7is_evenIjEEEE10hipError_tPvRmT3_T4_T5_T6_T7_T9_mT8_P12ihipStream_tbDpT10_ENKUlT_T0_E_clISt17integral_constantIbLb1EES16_EEDaS11_S12_EUlS11_E_NS1_11comp_targetILNS1_3genE8ELNS1_11target_archE1030ELNS1_3gpuE2ELNS1_3repE0EEENS1_30default_config_static_selectorELNS0_4arch9wavefront6targetE1EEEvT1_
; %bb.0:
	.section	.rodata,"a",@progbits
	.p2align	6, 0x0
	.amdhsa_kernel _ZN7rocprim17ROCPRIM_400000_NS6detail17trampoline_kernelINS0_14default_configENS1_25partition_config_selectorILNS1_17partition_subalgoE0EjNS0_10empty_typeEbEEZZNS1_14partition_implILS5_0ELb0ES3_jN6thrust23THRUST_200600_302600_NS6detail15normal_iteratorINSA_10device_ptrIjEEEEPS6_SG_NS0_5tupleIJSF_SF_EEENSH_IJSG_SG_EEES6_PlJ7is_evenIjEEEE10hipError_tPvRmT3_T4_T5_T6_T7_T9_mT8_P12ihipStream_tbDpT10_ENKUlT_T0_E_clISt17integral_constantIbLb1EES16_EEDaS11_S12_EUlS11_E_NS1_11comp_targetILNS1_3genE8ELNS1_11target_archE1030ELNS1_3gpuE2ELNS1_3repE0EEENS1_30default_config_static_selectorELNS0_4arch9wavefront6targetE1EEEvT1_
		.amdhsa_group_segment_fixed_size 0
		.amdhsa_private_segment_fixed_size 0
		.amdhsa_kernarg_size 136
		.amdhsa_user_sgpr_count 2
		.amdhsa_user_sgpr_dispatch_ptr 0
		.amdhsa_user_sgpr_queue_ptr 0
		.amdhsa_user_sgpr_kernarg_segment_ptr 1
		.amdhsa_user_sgpr_dispatch_id 0
		.amdhsa_user_sgpr_kernarg_preload_length 0
		.amdhsa_user_sgpr_kernarg_preload_offset 0
		.amdhsa_user_sgpr_private_segment_size 0
		.amdhsa_uses_dynamic_stack 0
		.amdhsa_enable_private_segment 0
		.amdhsa_system_sgpr_workgroup_id_x 1
		.amdhsa_system_sgpr_workgroup_id_y 0
		.amdhsa_system_sgpr_workgroup_id_z 0
		.amdhsa_system_sgpr_workgroup_info 0
		.amdhsa_system_vgpr_workitem_id 0
		.amdhsa_next_free_vgpr 1
		.amdhsa_next_free_sgpr 0
		.amdhsa_accum_offset 4
		.amdhsa_reserve_vcc 0
		.amdhsa_float_round_mode_32 0
		.amdhsa_float_round_mode_16_64 0
		.amdhsa_float_denorm_mode_32 3
		.amdhsa_float_denorm_mode_16_64 3
		.amdhsa_dx10_clamp 1
		.amdhsa_ieee_mode 1
		.amdhsa_fp16_overflow 0
		.amdhsa_tg_split 0
		.amdhsa_exception_fp_ieee_invalid_op 0
		.amdhsa_exception_fp_denorm_src 0
		.amdhsa_exception_fp_ieee_div_zero 0
		.amdhsa_exception_fp_ieee_overflow 0
		.amdhsa_exception_fp_ieee_underflow 0
		.amdhsa_exception_fp_ieee_inexact 0
		.amdhsa_exception_int_div_zero 0
	.end_amdhsa_kernel
	.section	.text._ZN7rocprim17ROCPRIM_400000_NS6detail17trampoline_kernelINS0_14default_configENS1_25partition_config_selectorILNS1_17partition_subalgoE0EjNS0_10empty_typeEbEEZZNS1_14partition_implILS5_0ELb0ES3_jN6thrust23THRUST_200600_302600_NS6detail15normal_iteratorINSA_10device_ptrIjEEEEPS6_SG_NS0_5tupleIJSF_SF_EEENSH_IJSG_SG_EEES6_PlJ7is_evenIjEEEE10hipError_tPvRmT3_T4_T5_T6_T7_T9_mT8_P12ihipStream_tbDpT10_ENKUlT_T0_E_clISt17integral_constantIbLb1EES16_EEDaS11_S12_EUlS11_E_NS1_11comp_targetILNS1_3genE8ELNS1_11target_archE1030ELNS1_3gpuE2ELNS1_3repE0EEENS1_30default_config_static_selectorELNS0_4arch9wavefront6targetE1EEEvT1_,"axG",@progbits,_ZN7rocprim17ROCPRIM_400000_NS6detail17trampoline_kernelINS0_14default_configENS1_25partition_config_selectorILNS1_17partition_subalgoE0EjNS0_10empty_typeEbEEZZNS1_14partition_implILS5_0ELb0ES3_jN6thrust23THRUST_200600_302600_NS6detail15normal_iteratorINSA_10device_ptrIjEEEEPS6_SG_NS0_5tupleIJSF_SF_EEENSH_IJSG_SG_EEES6_PlJ7is_evenIjEEEE10hipError_tPvRmT3_T4_T5_T6_T7_T9_mT8_P12ihipStream_tbDpT10_ENKUlT_T0_E_clISt17integral_constantIbLb1EES16_EEDaS11_S12_EUlS11_E_NS1_11comp_targetILNS1_3genE8ELNS1_11target_archE1030ELNS1_3gpuE2ELNS1_3repE0EEENS1_30default_config_static_selectorELNS0_4arch9wavefront6targetE1EEEvT1_,comdat
.Lfunc_end2152:
	.size	_ZN7rocprim17ROCPRIM_400000_NS6detail17trampoline_kernelINS0_14default_configENS1_25partition_config_selectorILNS1_17partition_subalgoE0EjNS0_10empty_typeEbEEZZNS1_14partition_implILS5_0ELb0ES3_jN6thrust23THRUST_200600_302600_NS6detail15normal_iteratorINSA_10device_ptrIjEEEEPS6_SG_NS0_5tupleIJSF_SF_EEENSH_IJSG_SG_EEES6_PlJ7is_evenIjEEEE10hipError_tPvRmT3_T4_T5_T6_T7_T9_mT8_P12ihipStream_tbDpT10_ENKUlT_T0_E_clISt17integral_constantIbLb1EES16_EEDaS11_S12_EUlS11_E_NS1_11comp_targetILNS1_3genE8ELNS1_11target_archE1030ELNS1_3gpuE2ELNS1_3repE0EEENS1_30default_config_static_selectorELNS0_4arch9wavefront6targetE1EEEvT1_, .Lfunc_end2152-_ZN7rocprim17ROCPRIM_400000_NS6detail17trampoline_kernelINS0_14default_configENS1_25partition_config_selectorILNS1_17partition_subalgoE0EjNS0_10empty_typeEbEEZZNS1_14partition_implILS5_0ELb0ES3_jN6thrust23THRUST_200600_302600_NS6detail15normal_iteratorINSA_10device_ptrIjEEEEPS6_SG_NS0_5tupleIJSF_SF_EEENSH_IJSG_SG_EEES6_PlJ7is_evenIjEEEE10hipError_tPvRmT3_T4_T5_T6_T7_T9_mT8_P12ihipStream_tbDpT10_ENKUlT_T0_E_clISt17integral_constantIbLb1EES16_EEDaS11_S12_EUlS11_E_NS1_11comp_targetILNS1_3genE8ELNS1_11target_archE1030ELNS1_3gpuE2ELNS1_3repE0EEENS1_30default_config_static_selectorELNS0_4arch9wavefront6targetE1EEEvT1_
                                        ; -- End function
	.section	.AMDGPU.csdata,"",@progbits
; Kernel info:
; codeLenInByte = 0
; NumSgprs: 6
; NumVgprs: 0
; NumAgprs: 0
; TotalNumVgprs: 0
; ScratchSize: 0
; MemoryBound: 0
; FloatMode: 240
; IeeeMode: 1
; LDSByteSize: 0 bytes/workgroup (compile time only)
; SGPRBlocks: 0
; VGPRBlocks: 0
; NumSGPRsForWavesPerEU: 6
; NumVGPRsForWavesPerEU: 1
; AccumOffset: 4
; Occupancy: 8
; WaveLimiterHint : 0
; COMPUTE_PGM_RSRC2:SCRATCH_EN: 0
; COMPUTE_PGM_RSRC2:USER_SGPR: 2
; COMPUTE_PGM_RSRC2:TRAP_HANDLER: 0
; COMPUTE_PGM_RSRC2:TGID_X_EN: 1
; COMPUTE_PGM_RSRC2:TGID_Y_EN: 0
; COMPUTE_PGM_RSRC2:TGID_Z_EN: 0
; COMPUTE_PGM_RSRC2:TIDIG_COMP_CNT: 0
; COMPUTE_PGM_RSRC3_GFX90A:ACCUM_OFFSET: 0
; COMPUTE_PGM_RSRC3_GFX90A:TG_SPLIT: 0
	.section	.text._ZN7rocprim17ROCPRIM_400000_NS6detail17trampoline_kernelINS0_14default_configENS1_25partition_config_selectorILNS1_17partition_subalgoE0EjNS0_10empty_typeEbEEZZNS1_14partition_implILS5_0ELb0ES3_jN6thrust23THRUST_200600_302600_NS6detail15normal_iteratorINSA_10device_ptrIjEEEEPS6_SG_NS0_5tupleIJSF_SF_EEENSH_IJSG_SG_EEES6_PlJ7is_evenIjEEEE10hipError_tPvRmT3_T4_T5_T6_T7_T9_mT8_P12ihipStream_tbDpT10_ENKUlT_T0_E_clISt17integral_constantIbLb1EES15_IbLb0EEEEDaS11_S12_EUlS11_E_NS1_11comp_targetILNS1_3genE0ELNS1_11target_archE4294967295ELNS1_3gpuE0ELNS1_3repE0EEENS1_30default_config_static_selectorELNS0_4arch9wavefront6targetE1EEEvT1_,"axG",@progbits,_ZN7rocprim17ROCPRIM_400000_NS6detail17trampoline_kernelINS0_14default_configENS1_25partition_config_selectorILNS1_17partition_subalgoE0EjNS0_10empty_typeEbEEZZNS1_14partition_implILS5_0ELb0ES3_jN6thrust23THRUST_200600_302600_NS6detail15normal_iteratorINSA_10device_ptrIjEEEEPS6_SG_NS0_5tupleIJSF_SF_EEENSH_IJSG_SG_EEES6_PlJ7is_evenIjEEEE10hipError_tPvRmT3_T4_T5_T6_T7_T9_mT8_P12ihipStream_tbDpT10_ENKUlT_T0_E_clISt17integral_constantIbLb1EES15_IbLb0EEEEDaS11_S12_EUlS11_E_NS1_11comp_targetILNS1_3genE0ELNS1_11target_archE4294967295ELNS1_3gpuE0ELNS1_3repE0EEENS1_30default_config_static_selectorELNS0_4arch9wavefront6targetE1EEEvT1_,comdat
	.protected	_ZN7rocprim17ROCPRIM_400000_NS6detail17trampoline_kernelINS0_14default_configENS1_25partition_config_selectorILNS1_17partition_subalgoE0EjNS0_10empty_typeEbEEZZNS1_14partition_implILS5_0ELb0ES3_jN6thrust23THRUST_200600_302600_NS6detail15normal_iteratorINSA_10device_ptrIjEEEEPS6_SG_NS0_5tupleIJSF_SF_EEENSH_IJSG_SG_EEES6_PlJ7is_evenIjEEEE10hipError_tPvRmT3_T4_T5_T6_T7_T9_mT8_P12ihipStream_tbDpT10_ENKUlT_T0_E_clISt17integral_constantIbLb1EES15_IbLb0EEEEDaS11_S12_EUlS11_E_NS1_11comp_targetILNS1_3genE0ELNS1_11target_archE4294967295ELNS1_3gpuE0ELNS1_3repE0EEENS1_30default_config_static_selectorELNS0_4arch9wavefront6targetE1EEEvT1_ ; -- Begin function _ZN7rocprim17ROCPRIM_400000_NS6detail17trampoline_kernelINS0_14default_configENS1_25partition_config_selectorILNS1_17partition_subalgoE0EjNS0_10empty_typeEbEEZZNS1_14partition_implILS5_0ELb0ES3_jN6thrust23THRUST_200600_302600_NS6detail15normal_iteratorINSA_10device_ptrIjEEEEPS6_SG_NS0_5tupleIJSF_SF_EEENSH_IJSG_SG_EEES6_PlJ7is_evenIjEEEE10hipError_tPvRmT3_T4_T5_T6_T7_T9_mT8_P12ihipStream_tbDpT10_ENKUlT_T0_E_clISt17integral_constantIbLb1EES15_IbLb0EEEEDaS11_S12_EUlS11_E_NS1_11comp_targetILNS1_3genE0ELNS1_11target_archE4294967295ELNS1_3gpuE0ELNS1_3repE0EEENS1_30default_config_static_selectorELNS0_4arch9wavefront6targetE1EEEvT1_
	.globl	_ZN7rocprim17ROCPRIM_400000_NS6detail17trampoline_kernelINS0_14default_configENS1_25partition_config_selectorILNS1_17partition_subalgoE0EjNS0_10empty_typeEbEEZZNS1_14partition_implILS5_0ELb0ES3_jN6thrust23THRUST_200600_302600_NS6detail15normal_iteratorINSA_10device_ptrIjEEEEPS6_SG_NS0_5tupleIJSF_SF_EEENSH_IJSG_SG_EEES6_PlJ7is_evenIjEEEE10hipError_tPvRmT3_T4_T5_T6_T7_T9_mT8_P12ihipStream_tbDpT10_ENKUlT_T0_E_clISt17integral_constantIbLb1EES15_IbLb0EEEEDaS11_S12_EUlS11_E_NS1_11comp_targetILNS1_3genE0ELNS1_11target_archE4294967295ELNS1_3gpuE0ELNS1_3repE0EEENS1_30default_config_static_selectorELNS0_4arch9wavefront6targetE1EEEvT1_
	.p2align	8
	.type	_ZN7rocprim17ROCPRIM_400000_NS6detail17trampoline_kernelINS0_14default_configENS1_25partition_config_selectorILNS1_17partition_subalgoE0EjNS0_10empty_typeEbEEZZNS1_14partition_implILS5_0ELb0ES3_jN6thrust23THRUST_200600_302600_NS6detail15normal_iteratorINSA_10device_ptrIjEEEEPS6_SG_NS0_5tupleIJSF_SF_EEENSH_IJSG_SG_EEES6_PlJ7is_evenIjEEEE10hipError_tPvRmT3_T4_T5_T6_T7_T9_mT8_P12ihipStream_tbDpT10_ENKUlT_T0_E_clISt17integral_constantIbLb1EES15_IbLb0EEEEDaS11_S12_EUlS11_E_NS1_11comp_targetILNS1_3genE0ELNS1_11target_archE4294967295ELNS1_3gpuE0ELNS1_3repE0EEENS1_30default_config_static_selectorELNS0_4arch9wavefront6targetE1EEEvT1_,@function
_ZN7rocprim17ROCPRIM_400000_NS6detail17trampoline_kernelINS0_14default_configENS1_25partition_config_selectorILNS1_17partition_subalgoE0EjNS0_10empty_typeEbEEZZNS1_14partition_implILS5_0ELb0ES3_jN6thrust23THRUST_200600_302600_NS6detail15normal_iteratorINSA_10device_ptrIjEEEEPS6_SG_NS0_5tupleIJSF_SF_EEENSH_IJSG_SG_EEES6_PlJ7is_evenIjEEEE10hipError_tPvRmT3_T4_T5_T6_T7_T9_mT8_P12ihipStream_tbDpT10_ENKUlT_T0_E_clISt17integral_constantIbLb1EES15_IbLb0EEEEDaS11_S12_EUlS11_E_NS1_11comp_targetILNS1_3genE0ELNS1_11target_archE4294967295ELNS1_3gpuE0ELNS1_3repE0EEENS1_30default_config_static_selectorELNS0_4arch9wavefront6targetE1EEEvT1_: ; @_ZN7rocprim17ROCPRIM_400000_NS6detail17trampoline_kernelINS0_14default_configENS1_25partition_config_selectorILNS1_17partition_subalgoE0EjNS0_10empty_typeEbEEZZNS1_14partition_implILS5_0ELb0ES3_jN6thrust23THRUST_200600_302600_NS6detail15normal_iteratorINSA_10device_ptrIjEEEEPS6_SG_NS0_5tupleIJSF_SF_EEENSH_IJSG_SG_EEES6_PlJ7is_evenIjEEEE10hipError_tPvRmT3_T4_T5_T6_T7_T9_mT8_P12ihipStream_tbDpT10_ENKUlT_T0_E_clISt17integral_constantIbLb1EES15_IbLb0EEEEDaS11_S12_EUlS11_E_NS1_11comp_targetILNS1_3genE0ELNS1_11target_archE4294967295ELNS1_3gpuE0ELNS1_3repE0EEENS1_30default_config_static_selectorELNS0_4arch9wavefront6targetE1EEEvT1_
; %bb.0:
	.section	.rodata,"a",@progbits
	.p2align	6, 0x0
	.amdhsa_kernel _ZN7rocprim17ROCPRIM_400000_NS6detail17trampoline_kernelINS0_14default_configENS1_25partition_config_selectorILNS1_17partition_subalgoE0EjNS0_10empty_typeEbEEZZNS1_14partition_implILS5_0ELb0ES3_jN6thrust23THRUST_200600_302600_NS6detail15normal_iteratorINSA_10device_ptrIjEEEEPS6_SG_NS0_5tupleIJSF_SF_EEENSH_IJSG_SG_EEES6_PlJ7is_evenIjEEEE10hipError_tPvRmT3_T4_T5_T6_T7_T9_mT8_P12ihipStream_tbDpT10_ENKUlT_T0_E_clISt17integral_constantIbLb1EES15_IbLb0EEEEDaS11_S12_EUlS11_E_NS1_11comp_targetILNS1_3genE0ELNS1_11target_archE4294967295ELNS1_3gpuE0ELNS1_3repE0EEENS1_30default_config_static_selectorELNS0_4arch9wavefront6targetE1EEEvT1_
		.amdhsa_group_segment_fixed_size 0
		.amdhsa_private_segment_fixed_size 0
		.amdhsa_kernarg_size 120
		.amdhsa_user_sgpr_count 2
		.amdhsa_user_sgpr_dispatch_ptr 0
		.amdhsa_user_sgpr_queue_ptr 0
		.amdhsa_user_sgpr_kernarg_segment_ptr 1
		.amdhsa_user_sgpr_dispatch_id 0
		.amdhsa_user_sgpr_kernarg_preload_length 0
		.amdhsa_user_sgpr_kernarg_preload_offset 0
		.amdhsa_user_sgpr_private_segment_size 0
		.amdhsa_uses_dynamic_stack 0
		.amdhsa_enable_private_segment 0
		.amdhsa_system_sgpr_workgroup_id_x 1
		.amdhsa_system_sgpr_workgroup_id_y 0
		.amdhsa_system_sgpr_workgroup_id_z 0
		.amdhsa_system_sgpr_workgroup_info 0
		.amdhsa_system_vgpr_workitem_id 0
		.amdhsa_next_free_vgpr 1
		.amdhsa_next_free_sgpr 0
		.amdhsa_accum_offset 4
		.amdhsa_reserve_vcc 0
		.amdhsa_float_round_mode_32 0
		.amdhsa_float_round_mode_16_64 0
		.amdhsa_float_denorm_mode_32 3
		.amdhsa_float_denorm_mode_16_64 3
		.amdhsa_dx10_clamp 1
		.amdhsa_ieee_mode 1
		.amdhsa_fp16_overflow 0
		.amdhsa_tg_split 0
		.amdhsa_exception_fp_ieee_invalid_op 0
		.amdhsa_exception_fp_denorm_src 0
		.amdhsa_exception_fp_ieee_div_zero 0
		.amdhsa_exception_fp_ieee_overflow 0
		.amdhsa_exception_fp_ieee_underflow 0
		.amdhsa_exception_fp_ieee_inexact 0
		.amdhsa_exception_int_div_zero 0
	.end_amdhsa_kernel
	.section	.text._ZN7rocprim17ROCPRIM_400000_NS6detail17trampoline_kernelINS0_14default_configENS1_25partition_config_selectorILNS1_17partition_subalgoE0EjNS0_10empty_typeEbEEZZNS1_14partition_implILS5_0ELb0ES3_jN6thrust23THRUST_200600_302600_NS6detail15normal_iteratorINSA_10device_ptrIjEEEEPS6_SG_NS0_5tupleIJSF_SF_EEENSH_IJSG_SG_EEES6_PlJ7is_evenIjEEEE10hipError_tPvRmT3_T4_T5_T6_T7_T9_mT8_P12ihipStream_tbDpT10_ENKUlT_T0_E_clISt17integral_constantIbLb1EES15_IbLb0EEEEDaS11_S12_EUlS11_E_NS1_11comp_targetILNS1_3genE0ELNS1_11target_archE4294967295ELNS1_3gpuE0ELNS1_3repE0EEENS1_30default_config_static_selectorELNS0_4arch9wavefront6targetE1EEEvT1_,"axG",@progbits,_ZN7rocprim17ROCPRIM_400000_NS6detail17trampoline_kernelINS0_14default_configENS1_25partition_config_selectorILNS1_17partition_subalgoE0EjNS0_10empty_typeEbEEZZNS1_14partition_implILS5_0ELb0ES3_jN6thrust23THRUST_200600_302600_NS6detail15normal_iteratorINSA_10device_ptrIjEEEEPS6_SG_NS0_5tupleIJSF_SF_EEENSH_IJSG_SG_EEES6_PlJ7is_evenIjEEEE10hipError_tPvRmT3_T4_T5_T6_T7_T9_mT8_P12ihipStream_tbDpT10_ENKUlT_T0_E_clISt17integral_constantIbLb1EES15_IbLb0EEEEDaS11_S12_EUlS11_E_NS1_11comp_targetILNS1_3genE0ELNS1_11target_archE4294967295ELNS1_3gpuE0ELNS1_3repE0EEENS1_30default_config_static_selectorELNS0_4arch9wavefront6targetE1EEEvT1_,comdat
.Lfunc_end2153:
	.size	_ZN7rocprim17ROCPRIM_400000_NS6detail17trampoline_kernelINS0_14default_configENS1_25partition_config_selectorILNS1_17partition_subalgoE0EjNS0_10empty_typeEbEEZZNS1_14partition_implILS5_0ELb0ES3_jN6thrust23THRUST_200600_302600_NS6detail15normal_iteratorINSA_10device_ptrIjEEEEPS6_SG_NS0_5tupleIJSF_SF_EEENSH_IJSG_SG_EEES6_PlJ7is_evenIjEEEE10hipError_tPvRmT3_T4_T5_T6_T7_T9_mT8_P12ihipStream_tbDpT10_ENKUlT_T0_E_clISt17integral_constantIbLb1EES15_IbLb0EEEEDaS11_S12_EUlS11_E_NS1_11comp_targetILNS1_3genE0ELNS1_11target_archE4294967295ELNS1_3gpuE0ELNS1_3repE0EEENS1_30default_config_static_selectorELNS0_4arch9wavefront6targetE1EEEvT1_, .Lfunc_end2153-_ZN7rocprim17ROCPRIM_400000_NS6detail17trampoline_kernelINS0_14default_configENS1_25partition_config_selectorILNS1_17partition_subalgoE0EjNS0_10empty_typeEbEEZZNS1_14partition_implILS5_0ELb0ES3_jN6thrust23THRUST_200600_302600_NS6detail15normal_iteratorINSA_10device_ptrIjEEEEPS6_SG_NS0_5tupleIJSF_SF_EEENSH_IJSG_SG_EEES6_PlJ7is_evenIjEEEE10hipError_tPvRmT3_T4_T5_T6_T7_T9_mT8_P12ihipStream_tbDpT10_ENKUlT_T0_E_clISt17integral_constantIbLb1EES15_IbLb0EEEEDaS11_S12_EUlS11_E_NS1_11comp_targetILNS1_3genE0ELNS1_11target_archE4294967295ELNS1_3gpuE0ELNS1_3repE0EEENS1_30default_config_static_selectorELNS0_4arch9wavefront6targetE1EEEvT1_
                                        ; -- End function
	.section	.AMDGPU.csdata,"",@progbits
; Kernel info:
; codeLenInByte = 0
; NumSgprs: 6
; NumVgprs: 0
; NumAgprs: 0
; TotalNumVgprs: 0
; ScratchSize: 0
; MemoryBound: 0
; FloatMode: 240
; IeeeMode: 1
; LDSByteSize: 0 bytes/workgroup (compile time only)
; SGPRBlocks: 0
; VGPRBlocks: 0
; NumSGPRsForWavesPerEU: 6
; NumVGPRsForWavesPerEU: 1
; AccumOffset: 4
; Occupancy: 8
; WaveLimiterHint : 0
; COMPUTE_PGM_RSRC2:SCRATCH_EN: 0
; COMPUTE_PGM_RSRC2:USER_SGPR: 2
; COMPUTE_PGM_RSRC2:TRAP_HANDLER: 0
; COMPUTE_PGM_RSRC2:TGID_X_EN: 1
; COMPUTE_PGM_RSRC2:TGID_Y_EN: 0
; COMPUTE_PGM_RSRC2:TGID_Z_EN: 0
; COMPUTE_PGM_RSRC2:TIDIG_COMP_CNT: 0
; COMPUTE_PGM_RSRC3_GFX90A:ACCUM_OFFSET: 0
; COMPUTE_PGM_RSRC3_GFX90A:TG_SPLIT: 0
	.section	.text._ZN7rocprim17ROCPRIM_400000_NS6detail17trampoline_kernelINS0_14default_configENS1_25partition_config_selectorILNS1_17partition_subalgoE0EjNS0_10empty_typeEbEEZZNS1_14partition_implILS5_0ELb0ES3_jN6thrust23THRUST_200600_302600_NS6detail15normal_iteratorINSA_10device_ptrIjEEEEPS6_SG_NS0_5tupleIJSF_SF_EEENSH_IJSG_SG_EEES6_PlJ7is_evenIjEEEE10hipError_tPvRmT3_T4_T5_T6_T7_T9_mT8_P12ihipStream_tbDpT10_ENKUlT_T0_E_clISt17integral_constantIbLb1EES15_IbLb0EEEEDaS11_S12_EUlS11_E_NS1_11comp_targetILNS1_3genE5ELNS1_11target_archE942ELNS1_3gpuE9ELNS1_3repE0EEENS1_30default_config_static_selectorELNS0_4arch9wavefront6targetE1EEEvT1_,"axG",@progbits,_ZN7rocprim17ROCPRIM_400000_NS6detail17trampoline_kernelINS0_14default_configENS1_25partition_config_selectorILNS1_17partition_subalgoE0EjNS0_10empty_typeEbEEZZNS1_14partition_implILS5_0ELb0ES3_jN6thrust23THRUST_200600_302600_NS6detail15normal_iteratorINSA_10device_ptrIjEEEEPS6_SG_NS0_5tupleIJSF_SF_EEENSH_IJSG_SG_EEES6_PlJ7is_evenIjEEEE10hipError_tPvRmT3_T4_T5_T6_T7_T9_mT8_P12ihipStream_tbDpT10_ENKUlT_T0_E_clISt17integral_constantIbLb1EES15_IbLb0EEEEDaS11_S12_EUlS11_E_NS1_11comp_targetILNS1_3genE5ELNS1_11target_archE942ELNS1_3gpuE9ELNS1_3repE0EEENS1_30default_config_static_selectorELNS0_4arch9wavefront6targetE1EEEvT1_,comdat
	.protected	_ZN7rocprim17ROCPRIM_400000_NS6detail17trampoline_kernelINS0_14default_configENS1_25partition_config_selectorILNS1_17partition_subalgoE0EjNS0_10empty_typeEbEEZZNS1_14partition_implILS5_0ELb0ES3_jN6thrust23THRUST_200600_302600_NS6detail15normal_iteratorINSA_10device_ptrIjEEEEPS6_SG_NS0_5tupleIJSF_SF_EEENSH_IJSG_SG_EEES6_PlJ7is_evenIjEEEE10hipError_tPvRmT3_T4_T5_T6_T7_T9_mT8_P12ihipStream_tbDpT10_ENKUlT_T0_E_clISt17integral_constantIbLb1EES15_IbLb0EEEEDaS11_S12_EUlS11_E_NS1_11comp_targetILNS1_3genE5ELNS1_11target_archE942ELNS1_3gpuE9ELNS1_3repE0EEENS1_30default_config_static_selectorELNS0_4arch9wavefront6targetE1EEEvT1_ ; -- Begin function _ZN7rocprim17ROCPRIM_400000_NS6detail17trampoline_kernelINS0_14default_configENS1_25partition_config_selectorILNS1_17partition_subalgoE0EjNS0_10empty_typeEbEEZZNS1_14partition_implILS5_0ELb0ES3_jN6thrust23THRUST_200600_302600_NS6detail15normal_iteratorINSA_10device_ptrIjEEEEPS6_SG_NS0_5tupleIJSF_SF_EEENSH_IJSG_SG_EEES6_PlJ7is_evenIjEEEE10hipError_tPvRmT3_T4_T5_T6_T7_T9_mT8_P12ihipStream_tbDpT10_ENKUlT_T0_E_clISt17integral_constantIbLb1EES15_IbLb0EEEEDaS11_S12_EUlS11_E_NS1_11comp_targetILNS1_3genE5ELNS1_11target_archE942ELNS1_3gpuE9ELNS1_3repE0EEENS1_30default_config_static_selectorELNS0_4arch9wavefront6targetE1EEEvT1_
	.globl	_ZN7rocprim17ROCPRIM_400000_NS6detail17trampoline_kernelINS0_14default_configENS1_25partition_config_selectorILNS1_17partition_subalgoE0EjNS0_10empty_typeEbEEZZNS1_14partition_implILS5_0ELb0ES3_jN6thrust23THRUST_200600_302600_NS6detail15normal_iteratorINSA_10device_ptrIjEEEEPS6_SG_NS0_5tupleIJSF_SF_EEENSH_IJSG_SG_EEES6_PlJ7is_evenIjEEEE10hipError_tPvRmT3_T4_T5_T6_T7_T9_mT8_P12ihipStream_tbDpT10_ENKUlT_T0_E_clISt17integral_constantIbLb1EES15_IbLb0EEEEDaS11_S12_EUlS11_E_NS1_11comp_targetILNS1_3genE5ELNS1_11target_archE942ELNS1_3gpuE9ELNS1_3repE0EEENS1_30default_config_static_selectorELNS0_4arch9wavefront6targetE1EEEvT1_
	.p2align	8
	.type	_ZN7rocprim17ROCPRIM_400000_NS6detail17trampoline_kernelINS0_14default_configENS1_25partition_config_selectorILNS1_17partition_subalgoE0EjNS0_10empty_typeEbEEZZNS1_14partition_implILS5_0ELb0ES3_jN6thrust23THRUST_200600_302600_NS6detail15normal_iteratorINSA_10device_ptrIjEEEEPS6_SG_NS0_5tupleIJSF_SF_EEENSH_IJSG_SG_EEES6_PlJ7is_evenIjEEEE10hipError_tPvRmT3_T4_T5_T6_T7_T9_mT8_P12ihipStream_tbDpT10_ENKUlT_T0_E_clISt17integral_constantIbLb1EES15_IbLb0EEEEDaS11_S12_EUlS11_E_NS1_11comp_targetILNS1_3genE5ELNS1_11target_archE942ELNS1_3gpuE9ELNS1_3repE0EEENS1_30default_config_static_selectorELNS0_4arch9wavefront6targetE1EEEvT1_,@function
_ZN7rocprim17ROCPRIM_400000_NS6detail17trampoline_kernelINS0_14default_configENS1_25partition_config_selectorILNS1_17partition_subalgoE0EjNS0_10empty_typeEbEEZZNS1_14partition_implILS5_0ELb0ES3_jN6thrust23THRUST_200600_302600_NS6detail15normal_iteratorINSA_10device_ptrIjEEEEPS6_SG_NS0_5tupleIJSF_SF_EEENSH_IJSG_SG_EEES6_PlJ7is_evenIjEEEE10hipError_tPvRmT3_T4_T5_T6_T7_T9_mT8_P12ihipStream_tbDpT10_ENKUlT_T0_E_clISt17integral_constantIbLb1EES15_IbLb0EEEEDaS11_S12_EUlS11_E_NS1_11comp_targetILNS1_3genE5ELNS1_11target_archE942ELNS1_3gpuE9ELNS1_3repE0EEENS1_30default_config_static_selectorELNS0_4arch9wavefront6targetE1EEEvT1_: ; @_ZN7rocprim17ROCPRIM_400000_NS6detail17trampoline_kernelINS0_14default_configENS1_25partition_config_selectorILNS1_17partition_subalgoE0EjNS0_10empty_typeEbEEZZNS1_14partition_implILS5_0ELb0ES3_jN6thrust23THRUST_200600_302600_NS6detail15normal_iteratorINSA_10device_ptrIjEEEEPS6_SG_NS0_5tupleIJSF_SF_EEENSH_IJSG_SG_EEES6_PlJ7is_evenIjEEEE10hipError_tPvRmT3_T4_T5_T6_T7_T9_mT8_P12ihipStream_tbDpT10_ENKUlT_T0_E_clISt17integral_constantIbLb1EES15_IbLb0EEEEDaS11_S12_EUlS11_E_NS1_11comp_targetILNS1_3genE5ELNS1_11target_archE942ELNS1_3gpuE9ELNS1_3repE0EEENS1_30default_config_static_selectorELNS0_4arch9wavefront6targetE1EEEvT1_
; %bb.0:
	s_load_dwordx2 s[4:5], s[0:1], 0x58
	s_load_dwordx4 s[20:23], s[0:1], 0x8
	s_load_dwordx4 s[24:27], s[0:1], 0x48
	s_load_dword s3, s[0:1], 0x70
	s_mul_i32 s8, s2, 0x1e00
	s_waitcnt lgkmcnt(0)
	v_mov_b32_e32 v3, s5
	s_lshl_b64 s[6:7], s[22:23], 2
	s_add_u32 s10, s20, s6
	s_addc_u32 s11, s21, s7
	s_add_i32 s6, s3, -1
	s_mulk_i32 s3, 0x1e00
	s_add_i32 s5, s3, s22
	s_sub_i32 s33, s4, s5
	s_addk_i32 s33, 0x1e00
	v_mov_b32_e32 v2, s4
	s_add_u32 s4, s22, s3
	s_addc_u32 s5, s23, 0
	s_cmp_eq_u32 s2, s6
	s_load_dwordx2 s[28:29], s[26:27], 0x0
	s_cselect_b64 s[26:27], -1, 0
	s_cmp_lg_u32 s2, s6
	s_mov_b32 s9, 0
	v_cmp_lt_u64_e32 vcc, s[4:5], v[2:3]
	s_cselect_b64 s[4:5], -1, 0
	s_or_b64 s[6:7], s[4:5], vcc
	s_lshl_b64 s[30:31], s[8:9], 2
	s_add_u32 s8, s10, s30
	s_addc_u32 s9, s11, s31
	s_mov_b64 s[4:5], -1
	s_and_b64 vcc, exec, s[6:7]
	v_lshlrev_b32_e32 v18, 2, v0
	s_cbranch_vccz .LBB2154_2
; %bb.1:
	v_mov_b32_e32 v19, 0
	v_lshl_add_u64 v[2:3], s[8:9], 0, v[18:19]
	v_add_co_u32_e32 v4, vcc, 0x1000, v2
	s_mov_b64 s[4:5], 0
	s_nop 0
	v_addc_co_u32_e32 v5, vcc, 0, v3, vcc
	v_add_co_u32_e32 v6, vcc, 0x2000, v2
	s_nop 1
	v_addc_co_u32_e32 v7, vcc, 0, v3, vcc
	v_add_co_u32_e32 v8, vcc, 0x3000, v2
	s_nop 1
	v_addc_co_u32_e32 v9, vcc, 0, v3, vcc
	flat_load_dword v1, v[2:3]
	flat_load_dword v10, v[2:3] offset:2048
	flat_load_dword v11, v[4:5]
	flat_load_dword v12, v[4:5] offset:2048
	;; [unrolled: 2-line block ×4, first 2 shown]
	v_add_co_u32_e32 v4, vcc, 0x4000, v2
	s_nop 1
	v_addc_co_u32_e32 v5, vcc, 0, v3, vcc
	v_add_co_u32_e32 v6, vcc, 0x5000, v2
	s_nop 1
	v_addc_co_u32_e32 v7, vcc, 0, v3, vcc
	v_add_co_u32_e32 v8, vcc, 0x6000, v2
	s_nop 1
	v_addc_co_u32_e32 v9, vcc, 0, v3, vcc
	v_add_co_u32_e32 v2, vcc, 0x7000, v2
	s_nop 1
	v_addc_co_u32_e32 v3, vcc, 0, v3, vcc
	flat_load_dword v17, v[4:5]
	flat_load_dword v19, v[4:5] offset:2048
	flat_load_dword v20, v[6:7]
	flat_load_dword v21, v[6:7] offset:2048
	;; [unrolled: 2-line block ×3, first 2 shown]
	flat_load_dword v24, v[2:3]
	s_waitcnt vmcnt(0) lgkmcnt(0)
	ds_write2st64_b32 v18, v1, v10 offset1:8
	ds_write2st64_b32 v18, v11, v12 offset0:16 offset1:24
	ds_write2st64_b32 v18, v13, v14 offset0:32 offset1:40
	;; [unrolled: 1-line block ×6, first 2 shown]
	ds_write_b32 v18, v24 offset:28672
	s_waitcnt lgkmcnt(0)
	s_barrier
.LBB2154_2:
	s_andn2_b64 vcc, exec, s[4:5]
	v_cmp_gt_u32_e64 s[4:5], s33, v0
	s_cbranch_vccnz .LBB2154_34
; %bb.3:
                                        ; implicit-def: $vgpr2_vgpr3_vgpr4_vgpr5_vgpr6_vgpr7_vgpr8_vgpr9_vgpr10_vgpr11_vgpr12_vgpr13_vgpr14_vgpr15_vgpr16_vgpr17
	s_and_saveexec_b64 s[10:11], s[4:5]
	s_cbranch_execz .LBB2154_5
; %bb.4:
	v_mov_b32_e32 v19, 0
	v_lshl_add_u64 v[2:3], s[8:9], 0, v[18:19]
	flat_load_dword v2, v[2:3]
.LBB2154_5:
	s_or_b64 exec, exec, s[10:11]
	v_or_b32_e32 v1, 0x200, v0
	v_cmp_gt_u32_e32 vcc, s33, v1
	s_and_saveexec_b64 s[4:5], vcc
	s_cbranch_execz .LBB2154_7
; %bb.6:
	v_mov_b32_e32 v19, 0
	v_lshl_add_u64 v[20:21], s[8:9], 0, v[18:19]
	flat_load_dword v3, v[20:21] offset:2048
.LBB2154_7:
	s_or_b64 exec, exec, s[4:5]
	v_or_b32_e32 v1, 0x400, v0
	v_cmp_gt_u32_e32 vcc, s33, v1
	s_and_saveexec_b64 s[4:5], vcc
	s_cbranch_execz .LBB2154_9
; %bb.8:
	v_lshlrev_b32_e32 v20, 2, v1
	v_mov_b32_e32 v21, 0
	v_lshl_add_u64 v[20:21], s[8:9], 0, v[20:21]
	flat_load_dword v4, v[20:21]
.LBB2154_9:
	s_or_b64 exec, exec, s[4:5]
	v_or_b32_e32 v1, 0x600, v0
	v_cmp_gt_u32_e32 vcc, s33, v1
	s_and_saveexec_b64 s[4:5], vcc
	s_cbranch_execz .LBB2154_11
; %bb.10:
	v_lshlrev_b32_e32 v20, 2, v1
	v_mov_b32_e32 v21, 0
	v_lshl_add_u64 v[20:21], s[8:9], 0, v[20:21]
	flat_load_dword v5, v[20:21]
.LBB2154_11:
	;; [unrolled: 11-line block ×13, first 2 shown]
	s_or_b64 exec, exec, s[4:5]
	s_waitcnt vmcnt(0) lgkmcnt(0)
	ds_write2st64_b32 v18, v2, v3 offset1:8
	ds_write2st64_b32 v18, v4, v5 offset0:16 offset1:24
	ds_write2st64_b32 v18, v6, v7 offset0:32 offset1:40
	;; [unrolled: 1-line block ×6, first 2 shown]
	ds_write_b32 v18, v16 offset:28672
	s_waitcnt lgkmcnt(0)
	s_barrier
.LBB2154_34:
	v_mul_u32_u24_e32 v38, 15, v0
	v_lshlrev_b32_e32 v1, 2, v38
	s_waitcnt lgkmcnt(0)
	ds_read2_b32 v[32:33], v1 offset1:1
	ds_read2_b32 v[30:31], v1 offset0:2 offset1:3
	ds_read2_b32 v[28:29], v1 offset0:4 offset1:5
	;; [unrolled: 1-line block ×6, first 2 shown]
	ds_read_b32 v1, v1 offset:56
	v_cndmask_b32_e64 v2, 0, 1, s[6:7]
	v_cmp_ne_u32_e64 s[20:21], 1, v2
	s_andn2_b64 vcc, exec, s[6:7]
	s_waitcnt lgkmcnt(7)
	v_xor_b32_e32 v16, -1, v32
	v_xor_b32_e32 v15, -1, v33
	s_waitcnt lgkmcnt(6)
	v_xor_b32_e32 v14, -1, v30
	v_xor_b32_e32 v13, -1, v31
	;; [unrolled: 3-line block ×7, first 2 shown]
	s_waitcnt lgkmcnt(0)
	v_xor_b32_e32 v2, -1, v1
	s_barrier
	s_cbranch_vccnz .LBB2154_36
; %bb.35:
	v_and_b32_e32 v51, 1, v16
	v_and_b32_e32 v50, 1, v15
	;; [unrolled: 1-line block ×15, first 2 shown]
	s_load_dwordx2 s[34:35], s[0:1], 0x68
	s_cbranch_execz .LBB2154_37
	s_branch .LBB2154_38
.LBB2154_36:
                                        ; implicit-def: $vgpr19
                                        ; implicit-def: $vgpr37
                                        ; implicit-def: $vgpr39
                                        ; implicit-def: $vgpr40
                                        ; implicit-def: $vgpr41
                                        ; implicit-def: $vgpr42
                                        ; implicit-def: $vgpr43
                                        ; implicit-def: $vgpr44
                                        ; implicit-def: $vgpr45
                                        ; implicit-def: $vgpr51
                                        ; implicit-def: $vgpr50
                                        ; implicit-def: $vgpr49
                                        ; implicit-def: $vgpr48
                                        ; implicit-def: $vgpr47
                                        ; implicit-def: $vgpr46
	s_load_dwordx2 s[34:35], s[0:1], 0x68
.LBB2154_37:
	v_add_u32_e32 v44, 1, v38
	v_cmp_gt_u32_e32 vcc, s33, v38
	v_add_u32_e32 v17, 2, v38
	v_add_u32_e32 v43, 3, v38
	v_cndmask_b32_e64 v45, 0, 1, vcc
	v_cmp_gt_u32_e32 vcc, s33, v44
	v_and_b32_e32 v51, v45, v16
	v_add_u32_e32 v19, 4, v38
	v_cndmask_b32_e64 v16, 0, 1, vcc
	v_cmp_gt_u32_e32 vcc, s33, v17
	v_and_b32_e32 v50, v16, v15
	;; [unrolled: 4-line block ×12, first 2 shown]
	s_nop 0
	v_cndmask_b32_e64 v5, 0, 1, vcc
	v_cmp_gt_u32_e32 vcc, s33, v53
	v_and_b32_e32 v39, v5, v4
	s_nop 0
	v_cndmask_b32_e64 v4, 0, 1, vcc
	v_cmp_gt_u32_e32 vcc, s33, v52
	v_and_b32_e32 v37, v4, v3
	s_nop 0
	v_cndmask_b32_e64 v3, 0, 1, vcc
	v_and_b32_e32 v19, v3, v2
.LBB2154_38:
	v_and_b32_e32 v55, 0xff, v48
	v_and_b32_e32 v56, 0xff, v47
	v_and_b32_e32 v57, 0xff, v46
	v_and_b32_e32 v53, 0xff, v50
	v_and_b32_e32 v54, 0xff, v49
	v_add3_u32 v3, v56, v57, v55
	v_and_b32_e32 v52, 0xff, v51
	v_and_b32_e32 v58, 0xff, v45
	v_add3_u32 v3, v3, v54, v53
	v_and_b32_e32 v59, 0xff, v44
	v_and_b32_e32 v60, 0xff, v43
	;; [unrolled: 3-line block ×5, first 2 shown]
	v_add3_u32 v3, v3, v63, v64
	v_add3_u32 v68, v3, v65, v2
	v_mbcnt_lo_u32_b32 v2, -1, 0
	v_mbcnt_hi_u32_b32 v66, -1, v2
	v_and_b32_e32 v2, 15, v66
	v_cmp_eq_u32_e64 s[16:17], 0, v2
	v_cmp_lt_u32_e64 s[14:15], 1, v2
	v_cmp_lt_u32_e64 s[12:13], 3, v2
	;; [unrolled: 1-line block ×3, first 2 shown]
	v_and_b32_e32 v2, 16, v66
	v_cmp_eq_u32_e64 s[8:9], 0, v2
	v_or_b32_e32 v2, 63, v0
	s_cmp_lg_u32 s2, 0
	v_cmp_lt_u32_e64 s[4:5], 31, v66
	v_lshrrev_b32_e32 v67, 6, v0
	v_cmp_eq_u32_e64 s[6:7], v2, v0
	s_cbranch_scc0 .LBB2154_69
; %bb.39:
	v_mov_b32_dpp v2, v68 row_shr:1 row_mask:0xf bank_mask:0xf
	v_cndmask_b32_e64 v2, v2, 0, s[16:17]
	v_add_u32_e32 v2, v2, v68
	s_nop 1
	v_mov_b32_dpp v3, v2 row_shr:2 row_mask:0xf bank_mask:0xf
	v_cndmask_b32_e64 v3, 0, v3, s[14:15]
	v_add_u32_e32 v2, v2, v3
	s_nop 1
	;; [unrolled: 4-line block ×4, first 2 shown]
	v_mov_b32_dpp v3, v2 row_bcast:15 row_mask:0xf bank_mask:0xf
	v_cndmask_b32_e64 v3, v3, 0, s[8:9]
	v_add_u32_e32 v2, v2, v3
	s_nop 1
	v_mov_b32_dpp v3, v2 row_bcast:31 row_mask:0xf bank_mask:0xf
	v_cndmask_b32_e64 v3, 0, v3, s[4:5]
	v_add_u32_e32 v2, v2, v3
	s_and_saveexec_b64 s[18:19], s[6:7]
	s_cbranch_execz .LBB2154_41
; %bb.40:
	v_lshlrev_b32_e32 v3, 2, v67
	ds_write_b32 v3, v2
.LBB2154_41:
	s_or_b64 exec, exec, s[18:19]
	v_cmp_gt_u32_e32 vcc, 8, v0
	s_waitcnt lgkmcnt(0)
	s_barrier
	s_and_saveexec_b64 s[18:19], vcc
	s_cbranch_execz .LBB2154_43
; %bb.42:
	ds_read_b32 v3, v18
	v_and_b32_e32 v4, 7, v66
	v_cmp_ne_u32_e32 vcc, 0, v4
	s_waitcnt lgkmcnt(0)
	v_mov_b32_dpp v5, v3 row_shr:1 row_mask:0xf bank_mask:0xf
	v_cndmask_b32_e32 v5, 0, v5, vcc
	v_add_u32_e32 v3, v5, v3
	v_cmp_lt_u32_e32 vcc, 1, v4
	s_nop 0
	v_mov_b32_dpp v5, v3 row_shr:2 row_mask:0xf bank_mask:0xf
	v_cndmask_b32_e32 v5, 0, v5, vcc
	v_add_u32_e32 v3, v3, v5
	v_cmp_lt_u32_e32 vcc, 3, v4
	s_nop 0
	v_mov_b32_dpp v5, v3 row_shr:4 row_mask:0xf bank_mask:0xf
	v_cndmask_b32_e32 v4, 0, v5, vcc
	v_add_u32_e32 v3, v3, v4
	ds_write_b32 v18, v3
.LBB2154_43:
	s_or_b64 exec, exec, s[18:19]
	v_cmp_gt_u32_e32 vcc, 64, v0
	v_cmp_lt_u32_e64 s[18:19], 63, v0
	s_waitcnt lgkmcnt(0)
	s_barrier
	s_waitcnt lgkmcnt(0)
                                        ; implicit-def: $vgpr12
	s_and_saveexec_b64 s[36:37], s[18:19]
	s_cbranch_execz .LBB2154_45
; %bb.44:
	v_lshl_add_u32 v3, v67, 2, -4
	ds_read_b32 v12, v3
	s_waitcnt lgkmcnt(0)
	v_add_u32_e32 v2, v12, v2
.LBB2154_45:
	s_or_b64 exec, exec, s[36:37]
	v_add_u32_e32 v3, -1, v66
	v_and_b32_e32 v4, 64, v66
	v_cmp_lt_i32_e64 s[18:19], v3, v4
	s_nop 1
	v_cndmask_b32_e64 v3, v3, v66, s[18:19]
	v_lshlrev_b32_e32 v3, 2, v3
	ds_bpermute_b32 v13, v3, v2
	v_cmp_eq_u32_e64 s[18:19], 0, v66
	s_and_saveexec_b64 s[36:37], vcc
	s_cbranch_execz .LBB2154_68
; %bb.46:
	v_mov_b32_e32 v11, 0
	ds_read_b32 v2, v11 offset:28
	s_and_saveexec_b64 s[38:39], s[18:19]
	s_cbranch_execz .LBB2154_48
; %bb.47:
	s_add_i32 s40, s2, 64
	s_mov_b32 s41, 0
	s_lshl_b64 s[40:41], s[40:41], 3
	s_add_u32 s40, s34, s40
	v_mov_b32_e32 v3, 1
	s_addc_u32 s41, s35, s41
	s_waitcnt lgkmcnt(0)
	global_store_dwordx2 v11, v[2:3], s[40:41] sc1
.LBB2154_48:
	s_or_b64 exec, exec, s[38:39]
	v_xad_u32 v4, v66, -1, s2
	v_add_u32_e32 v10, 64, v4
	v_lshl_add_u64 v[6:7], v[10:11], 3, s[34:35]
	global_load_dwordx2 v[8:9], v[6:7], off sc1
	s_waitcnt vmcnt(0)
	v_cmp_eq_u16_sdwa s[40:41], v9, v11 src0_sel:BYTE_0 src1_sel:DWORD
	s_and_saveexec_b64 s[38:39], s[40:41]
	s_cbranch_execz .LBB2154_54
; %bb.49:
	s_mov_b32 s3, 1
	s_mov_b64 s[40:41], 0
	v_mov_b32_e32 v3, 0
.LBB2154_50:                            ; =>This Loop Header: Depth=1
                                        ;     Child Loop BB2154_51 Depth 2
	s_max_u32 s42, s3, 1
.LBB2154_51:                            ;   Parent Loop BB2154_50 Depth=1
                                        ; =>  This Inner Loop Header: Depth=2
	s_add_i32 s42, s42, -1
	s_cmp_eq_u32 s42, 0
	s_sleep 1
	s_cbranch_scc0 .LBB2154_51
; %bb.52:                               ;   in Loop: Header=BB2154_50 Depth=1
	global_load_dwordx2 v[8:9], v[6:7], off sc1
	s_cmp_lt_u32 s3, 32
	s_cselect_b64 s[42:43], -1, 0
	s_cmp_lg_u64 s[42:43], 0
	s_addc_u32 s3, s3, 0
	s_waitcnt vmcnt(0)
	v_cmp_ne_u16_sdwa s[42:43], v9, v3 src0_sel:BYTE_0 src1_sel:DWORD
	s_or_b64 s[40:41], s[42:43], s[40:41]
	s_andn2_b64 exec, exec, s[40:41]
	s_cbranch_execnz .LBB2154_50
; %bb.53:
	s_or_b64 exec, exec, s[40:41]
.LBB2154_54:
	s_or_b64 exec, exec, s[38:39]
	v_and_b32_e32 v15, 63, v66
	v_mov_b32_e32 v14, 2
	v_cmp_ne_u32_e32 vcc, 63, v15
	v_cmp_eq_u16_sdwa s[38:39], v9, v14 src0_sel:BYTE_0 src1_sel:DWORD
	v_lshlrev_b64 v[6:7], v66, -1
	v_addc_co_u32_e32 v10, vcc, 0, v66, vcc
	v_and_b32_e32 v3, s39, v7
	v_lshlrev_b32_e32 v16, 2, v10
	v_or_b32_e32 v3, 0x80000000, v3
	ds_bpermute_b32 v10, v16, v8
	v_and_b32_e32 v5, s38, v6
	v_ffbl_b32_e32 v3, v3
	v_add_u32_e32 v3, 32, v3
	v_ffbl_b32_e32 v5, v5
	v_min_u32_e32 v3, v5, v3
	v_cmp_lt_u32_e32 vcc, v15, v3
	v_add_u32_e32 v34, 2, v15
	v_add_u32_e32 v36, 4, v15
	s_waitcnt lgkmcnt(0)
	v_cndmask_b32_e32 v5, 0, v10, vcc
	v_cmp_gt_u32_e32 vcc, 62, v15
	v_add_u32_e32 v5, v5, v8
	v_add_u32_e32 v70, 8, v15
	v_cndmask_b32_e64 v8, 0, 1, vcc
	v_lshlrev_b32_e32 v8, 1, v8
	v_add_lshl_u32 v17, v8, v66, 2
	ds_bpermute_b32 v8, v17, v5
	v_cmp_le_u32_e32 vcc, v34, v3
	v_add_u32_e32 v72, 16, v15
	v_add_u32_e32 v74, 32, v15
	s_waitcnt lgkmcnt(0)
	v_cndmask_b32_e32 v8, 0, v8, vcc
	v_cmp_gt_u32_e32 vcc, 60, v15
	v_add_u32_e32 v5, v5, v8
	s_nop 0
	v_cndmask_b32_e64 v8, 0, 1, vcc
	v_lshlrev_b32_e32 v8, 2, v8
	v_add_lshl_u32 v35, v8, v66, 2
	ds_bpermute_b32 v8, v35, v5
	v_cmp_le_u32_e32 vcc, v36, v3
	s_waitcnt lgkmcnt(0)
	s_nop 0
	v_cndmask_b32_e32 v8, 0, v8, vcc
	v_cmp_gt_u32_e32 vcc, 56, v15
	v_add_u32_e32 v5, v5, v8
	s_nop 0
	v_cndmask_b32_e64 v8, 0, 1, vcc
	v_lshlrev_b32_e32 v8, 3, v8
	v_add_lshl_u32 v69, v8, v66, 2
	ds_bpermute_b32 v8, v69, v5
	v_cmp_le_u32_e32 vcc, v70, v3
	s_waitcnt lgkmcnt(0)
	s_nop 0
	;; [unrolled: 11-line block ×4, first 2 shown]
	v_cndmask_b32_e32 v3, 0, v8, vcc
	v_add_u32_e32 v8, v5, v3
	v_mov_b32_e32 v5, 0
	s_branch .LBB2154_56
.LBB2154_55:                            ;   in Loop: Header=BB2154_56 Depth=1
	s_or_b64 exec, exec, s[38:39]
	v_cmp_eq_u16_sdwa s[38:39], v9, v14 src0_sel:BYTE_0 src1_sel:DWORD
	ds_bpermute_b32 v75, v16, v8
	v_subrev_u32_e32 v4, 64, v4
	v_and_b32_e32 v10, s39, v7
	v_or_b32_e32 v10, 0x80000000, v10
	v_and_b32_e32 v11, s38, v6
	v_ffbl_b32_e32 v10, v10
	v_add_u32_e32 v10, 32, v10
	v_ffbl_b32_e32 v11, v11
	v_min_u32_e32 v10, v11, v10
	v_cmp_lt_u32_e32 vcc, v15, v10
	s_waitcnt lgkmcnt(0)
	s_nop 0
	v_cndmask_b32_e32 v11, 0, v75, vcc
	v_add_u32_e32 v8, v11, v8
	ds_bpermute_b32 v11, v17, v8
	v_cmp_le_u32_e32 vcc, v34, v10
	s_waitcnt lgkmcnt(0)
	s_nop 0
	v_cndmask_b32_e32 v11, 0, v11, vcc
	v_add_u32_e32 v8, v8, v11
	ds_bpermute_b32 v11, v35, v8
	v_cmp_le_u32_e32 vcc, v36, v10
	;; [unrolled: 6-line block ×5, first 2 shown]
	s_waitcnt lgkmcnt(0)
	s_nop 0
	v_cndmask_b32_e32 v10, 0, v11, vcc
	v_add3_u32 v8, v10, v3, v8
.LBB2154_56:                            ; =>This Loop Header: Depth=1
                                        ;     Child Loop BB2154_59 Depth 2
                                        ;       Child Loop BB2154_60 Depth 3
	v_cmp_ne_u16_sdwa s[38:39], v9, v14 src0_sel:BYTE_0 src1_sel:DWORD
	s_nop 1
	v_cndmask_b32_e64 v3, 0, 1, s[38:39]
	;;#ASMSTART
	;;#ASMEND
	s_nop 0
	v_cmp_ne_u32_e32 vcc, 0, v3
	s_cmp_lg_u64 vcc, exec
	v_mov_b32_e32 v3, v8
	s_cbranch_scc1 .LBB2154_63
; %bb.57:                               ;   in Loop: Header=BB2154_56 Depth=1
	v_lshl_add_u64 v[10:11], v[4:5], 3, s[34:35]
	global_load_dwordx2 v[8:9], v[10:11], off sc1
	s_waitcnt vmcnt(0)
	v_cmp_eq_u16_sdwa s[40:41], v9, v5 src0_sel:BYTE_0 src1_sel:DWORD
	s_and_saveexec_b64 s[38:39], s[40:41]
	s_cbranch_execz .LBB2154_55
; %bb.58:                               ;   in Loop: Header=BB2154_56 Depth=1
	s_mov_b32 s3, 1
	s_mov_b64 s[40:41], 0
.LBB2154_59:                            ;   Parent Loop BB2154_56 Depth=1
                                        ; =>  This Loop Header: Depth=2
                                        ;       Child Loop BB2154_60 Depth 3
	s_max_u32 s42, s3, 1
.LBB2154_60:                            ;   Parent Loop BB2154_56 Depth=1
                                        ;     Parent Loop BB2154_59 Depth=2
                                        ; =>    This Inner Loop Header: Depth=3
	s_add_i32 s42, s42, -1
	s_cmp_eq_u32 s42, 0
	s_sleep 1
	s_cbranch_scc0 .LBB2154_60
; %bb.61:                               ;   in Loop: Header=BB2154_59 Depth=2
	global_load_dwordx2 v[8:9], v[10:11], off sc1
	s_cmp_lt_u32 s3, 32
	s_cselect_b64 s[42:43], -1, 0
	s_cmp_lg_u64 s[42:43], 0
	s_addc_u32 s3, s3, 0
	s_waitcnt vmcnt(0)
	v_cmp_ne_u16_sdwa s[42:43], v9, v5 src0_sel:BYTE_0 src1_sel:DWORD
	s_or_b64 s[40:41], s[42:43], s[40:41]
	s_andn2_b64 exec, exec, s[40:41]
	s_cbranch_execnz .LBB2154_59
; %bb.62:                               ;   in Loop: Header=BB2154_56 Depth=1
	s_or_b64 exec, exec, s[40:41]
	s_branch .LBB2154_55
.LBB2154_63:                            ;   in Loop: Header=BB2154_56 Depth=1
                                        ; implicit-def: $vgpr8
                                        ; implicit-def: $vgpr9
	s_cbranch_execz .LBB2154_56
; %bb.64:
	s_and_saveexec_b64 s[38:39], s[18:19]
	s_cbranch_execz .LBB2154_66
; %bb.65:
	s_add_i32 s2, s2, 64
	s_mov_b32 s3, 0
	s_lshl_b64 s[2:3], s[2:3], 3
	s_add_u32 s2, s34, s2
	v_add_u32_e32 v4, v3, v2
	v_mov_b32_e32 v5, 2
	s_addc_u32 s3, s35, s3
	v_mov_b32_e32 v6, 0
	global_store_dwordx2 v6, v[4:5], s[2:3] sc1
	ds_write_b64 v6, v[2:3] offset:30720
.LBB2154_66:
	s_or_b64 exec, exec, s[38:39]
	v_cmp_eq_u32_e32 vcc, 0, v0
	s_and_b64 exec, exec, vcc
	s_cbranch_execz .LBB2154_68
; %bb.67:
	v_mov_b32_e32 v2, 0
	ds_write_b32 v2, v3 offset:28
.LBB2154_68:
	s_or_b64 exec, exec, s[36:37]
	v_mov_b32_e32 v14, 0
	s_waitcnt lgkmcnt(0)
	s_barrier
	ds_read_b32 v2, v14 offset:28
	v_cndmask_b32_e64 v3, v13, v12, s[18:19]
	v_cmp_ne_u32_e32 vcc, 0, v0
	s_waitcnt lgkmcnt(0)
	s_barrier
	v_cndmask_b32_e32 v3, 0, v3, vcc
	v_add_u32_e32 v2, v2, v3
	v_add_u32_e32 v3, v2, v52
	;; [unrolled: 1-line block ×10, first 2 shown]
	ds_read_b64 v[34:35], v14 offset:30720
	v_add_u32_e32 v12, v11, v61
	v_add_u32_e32 v13, v12, v62
	;; [unrolled: 1-line block ×5, first 2 shown]
	s_waitcnt lgkmcnt(0)
	v_mov_b32_e32 v36, v35
	s_branch .LBB2154_79
.LBB2154_69:
                                        ; implicit-def: $vgpr36
                                        ; implicit-def: $vgpr34
                                        ; implicit-def: $vgpr2_vgpr3_vgpr4_vgpr5_vgpr6_vgpr7_vgpr8_vgpr9_vgpr10_vgpr11_vgpr12_vgpr13_vgpr14_vgpr15_vgpr16_vgpr17
	s_cbranch_execz .LBB2154_79
; %bb.70:
	s_nop 0
	v_mov_b32_dpp v2, v68 row_shr:1 row_mask:0xf bank_mask:0xf
	v_cndmask_b32_e64 v2, v2, 0, s[16:17]
	v_add_u32_e32 v2, v2, v68
	s_nop 1
	v_mov_b32_dpp v3, v2 row_shr:2 row_mask:0xf bank_mask:0xf
	v_cndmask_b32_e64 v3, 0, v3, s[14:15]
	v_add_u32_e32 v2, v2, v3
	;; [unrolled: 4-line block ×4, first 2 shown]
	s_nop 1
	v_mov_b32_dpp v3, v2 row_bcast:15 row_mask:0xf bank_mask:0xf
	v_cndmask_b32_e64 v3, v3, 0, s[8:9]
	v_add_u32_e32 v2, v2, v3
	s_nop 1
	v_mov_b32_dpp v3, v2 row_bcast:31 row_mask:0xf bank_mask:0xf
	v_cndmask_b32_e64 v3, 0, v3, s[4:5]
	v_add_u32_e32 v2, v2, v3
	s_and_saveexec_b64 s[2:3], s[6:7]
	s_cbranch_execz .LBB2154_72
; %bb.71:
	v_lshlrev_b32_e32 v3, 2, v67
	ds_write_b32 v3, v2
.LBB2154_72:
	s_or_b64 exec, exec, s[2:3]
	v_cmp_gt_u32_e32 vcc, 8, v0
	s_waitcnt lgkmcnt(0)
	s_barrier
	s_and_saveexec_b64 s[2:3], vcc
	s_cbranch_execz .LBB2154_74
; %bb.73:
	ds_read_b32 v3, v18
	v_and_b32_e32 v4, 7, v66
	v_cmp_ne_u32_e32 vcc, 0, v4
	s_waitcnt lgkmcnt(0)
	v_mov_b32_dpp v5, v3 row_shr:1 row_mask:0xf bank_mask:0xf
	v_cndmask_b32_e32 v5, 0, v5, vcc
	v_add_u32_e32 v3, v5, v3
	v_cmp_lt_u32_e32 vcc, 1, v4
	s_nop 0
	v_mov_b32_dpp v5, v3 row_shr:2 row_mask:0xf bank_mask:0xf
	v_cndmask_b32_e32 v5, 0, v5, vcc
	v_add_u32_e32 v3, v3, v5
	v_cmp_lt_u32_e32 vcc, 3, v4
	s_nop 0
	v_mov_b32_dpp v5, v3 row_shr:4 row_mask:0xf bank_mask:0xf
	v_cndmask_b32_e32 v4, 0, v5, vcc
	v_add_u32_e32 v3, v3, v4
	ds_write_b32 v18, v3
.LBB2154_74:
	s_or_b64 exec, exec, s[2:3]
	v_cmp_lt_u32_e32 vcc, 63, v0
	v_mov_b32_e32 v4, 0
	v_mov_b32_e32 v3, 0
	s_waitcnt lgkmcnt(0)
	s_barrier
	s_and_saveexec_b64 s[2:3], vcc
	s_cbranch_execz .LBB2154_76
; %bb.75:
	v_lshl_add_u32 v3, v67, 2, -4
	ds_read_b32 v3, v3
.LBB2154_76:
	s_or_b64 exec, exec, s[2:3]
	v_add_u32_e32 v5, -1, v66
	v_and_b32_e32 v6, 64, v66
	v_cmp_lt_i32_e32 vcc, v5, v6
	s_waitcnt lgkmcnt(0)
	v_add_u32_e32 v2, v3, v2
	ds_read_b32 v34, v4 offset:28
	v_cndmask_b32_e32 v5, v5, v66, vcc
	v_lshlrev_b32_e32 v5, 2, v5
	ds_bpermute_b32 v2, v5, v2
	v_cmp_eq_u32_e32 vcc, 0, v0
	s_and_saveexec_b64 s[2:3], vcc
	s_cbranch_execz .LBB2154_78
; %bb.77:
	v_mov_b32_e32 v4, 0
	v_mov_b32_e32 v35, 2
	s_waitcnt lgkmcnt(1)
	global_store_dwordx2 v4, v[34:35], s[34:35] offset:512 sc1
.LBB2154_78:
	s_or_b64 exec, exec, s[2:3]
	v_cmp_eq_u32_e64 s[2:3], 0, v66
	v_mov_b32_e32 v36, 0
	s_waitcnt lgkmcnt(0)
	v_cndmask_b32_e64 v2, v2, v3, s[2:3]
	v_cndmask_b32_e64 v2, v2, 0, vcc
	v_add_u32_e32 v3, v2, v52
	v_add_u32_e32 v4, v3, v53
	;; [unrolled: 1-line block ×14, first 2 shown]
	s_barrier
.LBB2154_79:
	v_add_u32_e32 v17, v34, v38
	v_sub_u32_e32 v2, v2, v36
	v_and_b32_e32 v38, 1, v51
	v_sub_u32_e32 v35, v17, v2
	v_cmp_eq_u32_e32 vcc, 1, v38
	s_load_dwordx4 s[0:3], s[0:1], 0x28
	v_or_b32_e32 v38, 0x800, v0
	v_cndmask_b32_e32 v2, v35, v2, vcc
	v_lshlrev_b32_e32 v2, 2, v2
	ds_write_b32 v2, v32
	v_sub_u32_e32 v2, v3, v36
	v_sub_u32_e32 v3, v17, v2
	v_and_b32_e32 v32, 1, v50
	v_add_u32_e32 v3, 1, v3
	v_cmp_eq_u32_e32 vcc, 1, v32
	v_or_b32_e32 v32, 0xc00, v0
	s_nop 0
	v_cndmask_b32_e32 v2, v3, v2, vcc
	v_lshlrev_b32_e32 v2, 2, v2
	ds_write_b32 v2, v33
	v_sub_u32_e32 v2, v4, v36
	v_sub_u32_e32 v3, v17, v2
	v_and_b32_e32 v4, 1, v49
	v_add_u32_e32 v3, 2, v3
	v_cmp_eq_u32_e32 vcc, 1, v4
	v_and_b32_e32 v4, 1, v48
	v_or_b32_e32 v33, 0xa00, v0
	v_cndmask_b32_e32 v2, v3, v2, vcc
	v_lshlrev_b32_e32 v2, 2, v2
	ds_write_b32 v2, v30
	v_sub_u32_e32 v2, v5, v36
	v_sub_u32_e32 v3, v17, v2
	v_add_u32_e32 v3, 3, v3
	v_cmp_eq_u32_e32 vcc, 1, v4
	v_and_b32_e32 v4, 1, v47
	v_or_b32_e32 v30, 0x1000, v0
	v_cndmask_b32_e32 v2, v3, v2, vcc
	v_lshlrev_b32_e32 v2, 2, v2
	ds_write_b32 v2, v31
	v_sub_u32_e32 v2, v6, v36
	v_sub_u32_e32 v3, v17, v2
	;; [unrolled: 9-line block ×3, first 2 shown]
	v_add_u32_e32 v3, 5, v3
	v_cmp_eq_u32_e32 vcc, 1, v4
	v_and_b32_e32 v4, 1, v45
	v_mov_b32_e32 v7, s23
	v_cndmask_b32_e32 v2, v3, v2, vcc
	v_lshlrev_b32_e32 v2, 2, v2
	ds_write_b32 v2, v29
	v_sub_u32_e32 v2, v8, v36
	v_sub_u32_e32 v3, v17, v2
	v_add_u32_e32 v3, 6, v3
	v_cmp_eq_u32_e32 vcc, 1, v4
	v_and_b32_e32 v4, 1, v44
	v_or_b32_e32 v29, 0x1200, v0
	v_cndmask_b32_e32 v2, v3, v2, vcc
	v_lshlrev_b32_e32 v2, 2, v2
	ds_write_b32 v2, v26
	v_sub_u32_e32 v2, v9, v36
	v_sub_u32_e32 v3, v17, v2
	v_add_u32_e32 v3, 7, v3
	v_cmp_eq_u32_e32 vcc, 1, v4
	v_and_b32_e32 v4, 1, v43
	v_or_b32_e32 v28, 0x1400, v0
	;; [unrolled: 9-line block ×6, first 2 shown]
	v_cndmask_b32_e32 v2, v3, v2, vcc
	v_lshlrev_b32_e32 v2, 2, v2
	ds_write_b32 v2, v23
	v_sub_u32_e32 v2, v14, v36
	v_sub_u32_e32 v3, v17, v2
	v_add_u32_e32 v3, 12, v3
	v_cmp_eq_u32_e32 vcc, 1, v4
	v_and_b32_e32 v4, 1, v37
	v_mov_b32_e32 v37, 0
	v_cndmask_b32_e32 v2, v3, v2, vcc
	v_lshlrev_b32_e32 v2, 2, v2
	ds_write_b32 v2, v20
	v_sub_u32_e32 v2, v15, v36
	v_sub_u32_e32 v3, v17, v2
	v_add_u32_e32 v3, 13, v3
	v_cmp_eq_u32_e32 vcc, 1, v4
	v_and_b32_e32 v4, 1, v19
	v_lshl_add_u64 v[8:9], s[28:29], 0, v[36:37]
	v_cndmask_b32_e32 v2, v3, v2, vcc
	v_lshlrev_b32_e32 v2, 2, v2
	ds_write_b32 v2, v21
	v_sub_u32_e32 v2, v16, v36
	v_sub_u32_e32 v3, v17, v2
	v_add_u32_e32 v3, 14, v3
	v_cmp_eq_u32_e32 vcc, 1, v4
	v_mov_b32_e32 v35, v37
	v_or_b32_e32 v26, 0x1800, v0
	v_cndmask_b32_e32 v2, v3, v2, vcc
	v_lshlrev_b32_e32 v2, 2, v2
	ds_write_b32 v2, v1
	v_lshl_add_u64 v[2:3], v[8:9], 0, v[34:35]
	s_waitcnt lgkmcnt(0)
	s_barrier
	ds_read2st64_b32 v[22:23], v18 offset1:8
	ds_read2st64_b32 v[20:21], v18 offset0:16 offset1:24
	ds_read2st64_b32 v[16:17], v18 offset0:32 offset1:40
	;; [unrolled: 1-line block ×6, first 2 shown]
	ds_read_b32 v1, v18 offset:28672
	v_sub_co_u32_e32 v6, vcc, s22, v2
	v_lshlrev_b64 v[8:9], 2, v[8:9]
	s_nop 0
	v_subb_co_u32_e32 v7, vcc, v7, v3, vcc
	v_lshlrev_b64 v[6:7], 2, v[6:7]
	v_lshl_add_u64 v[6:7], s[2:3], 0, v[6:7]
	v_or_b32_e32 v25, 0x1a00, v0
	v_or_b32_e32 v24, 0x1c00, v0
	v_lshl_add_u64 v[6:7], v[6:7], 0, s[30:31]
	s_and_b64 vcc, exec, s[20:21]
	v_lshl_add_u64 v[8:9], s[0:1], 0, v[8:9]
	s_cbranch_vccnz .LBB2154_81
; %bb.80:
	v_cmp_gt_u32_e32 vcc, v34, v0
	v_mov_b32_e32 v19, v37
	v_lshlrev_b32_e32 v36, 2, v40
	v_cndmask_b32_e32 v43, v7, v9, vcc
	v_cndmask_b32_e32 v42, v6, v8, vcc
	v_lshl_add_u64 v[42:43], v[42:43], 0, v[18:19]
	v_cmp_lt_u32_e32 vcc, v41, v34
	s_waitcnt lgkmcnt(7)
	global_store_dword v[42:43], v22, off
	v_cndmask_b32_e32 v43, v7, v9, vcc
	v_cndmask_b32_e32 v42, v6, v8, vcc
	v_lshl_add_u64 v[42:43], v[42:43], 0, v[18:19]
	v_cmp_lt_u32_e32 vcc, v40, v34
	global_store_dword v[42:43], v23, off offset:2048
	s_mov_b64 s[0:1], -1
	v_cndmask_b32_e32 v43, v7, v9, vcc
	v_cndmask_b32_e32 v42, v6, v8, vcc
	v_lshl_add_u64 v[42:43], v[42:43], 0, v[36:37]
	v_cmp_lt_u32_e32 vcc, v39, v34
	s_waitcnt lgkmcnt(6)
	global_store_dword v[42:43], v20, off
	v_lshlrev_b32_e32 v36, 2, v39
	v_cndmask_b32_e32 v43, v7, v9, vcc
	v_cndmask_b32_e32 v42, v6, v8, vcc
	v_lshl_add_u64 v[42:43], v[42:43], 0, v[36:37]
	v_cmp_lt_u32_e32 vcc, v38, v34
	global_store_dword v[42:43], v21, off
	v_lshlrev_b32_e32 v36, 2, v38
	v_cndmask_b32_e32 v43, v7, v9, vcc
	v_cndmask_b32_e32 v42, v6, v8, vcc
	v_lshl_add_u64 v[42:43], v[42:43], 0, v[36:37]
	v_cmp_lt_u32_e32 vcc, v33, v34
	s_waitcnt lgkmcnt(5)
	global_store_dword v[42:43], v16, off
	v_lshlrev_b32_e32 v36, 2, v33
	v_cndmask_b32_e32 v43, v7, v9, vcc
	v_cndmask_b32_e32 v42, v6, v8, vcc
	v_lshl_add_u64 v[42:43], v[42:43], 0, v[36:37]
	v_cmp_lt_u32_e32 vcc, v32, v34
	global_store_dword v[42:43], v17, off
	v_lshlrev_b32_e32 v36, 2, v32
	;; [unrolled: 13-line block ×5, first 2 shown]
	v_cndmask_b32_e32 v43, v7, v9, vcc
	v_cndmask_b32_e32 v42, v6, v8, vcc
	v_lshl_add_u64 v[42:43], v[42:43], 0, v[36:37]
	v_cmp_lt_u32_e32 vcc, v25, v34
	s_waitcnt lgkmcnt(1)
	global_store_dword v[42:43], v4, off
	v_lshlrev_b32_e32 v36, 2, v25
	v_cndmask_b32_e32 v43, v7, v9, vcc
	v_cndmask_b32_e32 v42, v6, v8, vcc
	v_lshl_add_u64 v[36:37], v[42:43], 0, v[36:37]
	global_store_dword v[36:37], v5, off
	s_cbranch_execz .LBB2154_82
	s_branch .LBB2154_98
.LBB2154_81:
	s_mov_b64 s[0:1], 0
.LBB2154_82:
	v_cmp_gt_u32_e32 vcc, s33, v0
	s_and_saveexec_b64 s[0:1], vcc
	s_cbranch_execnz .LBB2154_103
; %bb.83:
	s_or_b64 exec, exec, s[0:1]
	v_cmp_gt_u32_e32 vcc, s33, v41
	s_and_saveexec_b64 s[0:1], vcc
	s_cbranch_execnz .LBB2154_104
.LBB2154_84:
	s_or_b64 exec, exec, s[0:1]
	v_cmp_gt_u32_e32 vcc, s33, v40
	s_and_saveexec_b64 s[0:1], vcc
	s_cbranch_execnz .LBB2154_105
.LBB2154_85:
	s_or_b64 exec, exec, s[0:1]
	v_cmp_gt_u32_e32 vcc, s33, v39
	s_and_saveexec_b64 s[0:1], vcc
	s_cbranch_execnz .LBB2154_106
.LBB2154_86:
	s_or_b64 exec, exec, s[0:1]
	v_cmp_gt_u32_e32 vcc, s33, v38
	s_and_saveexec_b64 s[0:1], vcc
	s_cbranch_execnz .LBB2154_107
.LBB2154_87:
	s_or_b64 exec, exec, s[0:1]
	v_cmp_gt_u32_e32 vcc, s33, v33
	s_and_saveexec_b64 s[0:1], vcc
	s_cbranch_execnz .LBB2154_108
.LBB2154_88:
	s_or_b64 exec, exec, s[0:1]
	v_cmp_gt_u32_e32 vcc, s33, v32
	s_and_saveexec_b64 s[0:1], vcc
	s_cbranch_execnz .LBB2154_109
.LBB2154_89:
	s_or_b64 exec, exec, s[0:1]
	v_cmp_gt_u32_e32 vcc, s33, v31
	s_and_saveexec_b64 s[0:1], vcc
	s_cbranch_execnz .LBB2154_110
.LBB2154_90:
	s_or_b64 exec, exec, s[0:1]
	v_cmp_gt_u32_e32 vcc, s33, v30
	s_and_saveexec_b64 s[0:1], vcc
	s_cbranch_execnz .LBB2154_111
.LBB2154_91:
	s_or_b64 exec, exec, s[0:1]
	v_cmp_gt_u32_e32 vcc, s33, v29
	s_and_saveexec_b64 s[0:1], vcc
	s_cbranch_execnz .LBB2154_112
.LBB2154_92:
	s_or_b64 exec, exec, s[0:1]
	v_cmp_gt_u32_e32 vcc, s33, v28
	s_and_saveexec_b64 s[0:1], vcc
	s_cbranch_execnz .LBB2154_113
.LBB2154_93:
	s_or_b64 exec, exec, s[0:1]
	v_cmp_gt_u32_e32 vcc, s33, v27
	s_and_saveexec_b64 s[0:1], vcc
	s_cbranch_execnz .LBB2154_114
.LBB2154_94:
	s_or_b64 exec, exec, s[0:1]
	v_cmp_gt_u32_e32 vcc, s33, v26
	s_and_saveexec_b64 s[0:1], vcc
	s_cbranch_execnz .LBB2154_115
.LBB2154_95:
	s_or_b64 exec, exec, s[0:1]
	v_cmp_gt_u32_e32 vcc, s33, v25
	s_and_saveexec_b64 s[0:1], vcc
	s_cbranch_execz .LBB2154_97
.LBB2154_96:
	v_cmp_lt_u32_e32 vcc, v25, v34
	s_waitcnt lgkmcnt(3)
	v_lshlrev_b32_e32 v12, 2, v25
	v_mov_b32_e32 v13, 0
	s_waitcnt lgkmcnt(2)
	v_cndmask_b32_e32 v11, v7, v9, vcc
	v_cndmask_b32_e32 v10, v6, v8, vcc
	v_lshl_add_u64 v[10:11], v[10:11], 0, v[12:13]
	s_waitcnt lgkmcnt(1)
	global_store_dword v[10:11], v5, off
.LBB2154_97:
	s_or_b64 exec, exec, s[0:1]
	v_cmp_gt_u32_e64 s[0:1], s33, v24
.LBB2154_98:
	s_and_saveexec_b64 s[2:3], s[0:1]
	s_cbranch_execz .LBB2154_100
; %bb.99:
	v_cmp_lt_u32_e32 vcc, v24, v34
	s_waitcnt lgkmcnt(1)
	s_nop 0
	v_cndmask_b32_e32 v5, v7, v9, vcc
	v_cndmask_b32_e32 v4, v6, v8, vcc
	v_lshlrev_b32_e32 v6, 2, v24
	v_mov_b32_e32 v7, 0
	v_lshl_add_u64 v[4:5], v[4:5], 0, v[6:7]
	s_waitcnt lgkmcnt(0)
	global_store_dword v[4:5], v1, off
.LBB2154_100:
	s_or_b64 exec, exec, s[2:3]
	v_cmp_eq_u32_e32 vcc, 0, v0
	s_and_b64 s[0:1], vcc, s[26:27]
	s_and_saveexec_b64 s[2:3], s[0:1]
	s_cbranch_execz .LBB2154_102
; %bb.101:
	v_mov_b32_e32 v0, 0
	global_store_dwordx2 v0, v[2:3], s[24:25]
.LBB2154_102:
	s_endpgm
.LBB2154_103:
	v_cmp_gt_u32_e32 vcc, v34, v0
	v_mov_b32_e32 v19, 0
	s_nop 0
	v_cndmask_b32_e32 v37, v7, v9, vcc
	v_cndmask_b32_e32 v36, v6, v8, vcc
	v_lshl_add_u64 v[36:37], v[36:37], 0, v[18:19]
	s_waitcnt lgkmcnt(7)
	global_store_dword v[36:37], v22, off
	s_or_b64 exec, exec, s[0:1]
	v_cmp_gt_u32_e32 vcc, s33, v41
	s_and_saveexec_b64 s[0:1], vcc
	s_cbranch_execz .LBB2154_84
.LBB2154_104:
	v_cmp_lt_u32_e32 vcc, v41, v34
	v_mov_b32_e32 v19, 0
	s_nop 0
	v_cndmask_b32_e32 v37, v7, v9, vcc
	v_cndmask_b32_e32 v36, v6, v8, vcc
	v_lshl_add_u64 v[18:19], v[36:37], 0, v[18:19]
	s_waitcnt lgkmcnt(7)
	global_store_dword v[18:19], v23, off offset:2048
	s_or_b64 exec, exec, s[0:1]
	v_cmp_gt_u32_e32 vcc, s33, v40
	s_and_saveexec_b64 s[0:1], vcc
	s_cbranch_execz .LBB2154_85
.LBB2154_105:
	v_cmp_lt_u32_e32 vcc, v40, v34
	s_waitcnt lgkmcnt(7)
	v_lshlrev_b32_e32 v22, 2, v40
	v_mov_b32_e32 v23, 0
	v_cndmask_b32_e32 v19, v7, v9, vcc
	v_cndmask_b32_e32 v18, v6, v8, vcc
	v_lshl_add_u64 v[18:19], v[18:19], 0, v[22:23]
	s_waitcnt lgkmcnt(6)
	global_store_dword v[18:19], v20, off
	s_or_b64 exec, exec, s[0:1]
	v_cmp_gt_u32_e32 vcc, s33, v39
	s_and_saveexec_b64 s[0:1], vcc
	s_cbranch_execz .LBB2154_86
.LBB2154_106:
	v_cmp_lt_u32_e32 vcc, v39, v34
	s_waitcnt lgkmcnt(7)
	v_lshlrev_b32_e32 v22, 2, v39
	v_mov_b32_e32 v23, 0
	v_cndmask_b32_e32 v19, v7, v9, vcc
	v_cndmask_b32_e32 v18, v6, v8, vcc
	v_lshl_add_u64 v[18:19], v[18:19], 0, v[22:23]
	s_waitcnt lgkmcnt(6)
	global_store_dword v[18:19], v21, off
	s_or_b64 exec, exec, s[0:1]
	v_cmp_gt_u32_e32 vcc, s33, v38
	s_and_saveexec_b64 s[0:1], vcc
	s_cbranch_execz .LBB2154_87
.LBB2154_107:
	v_cmp_lt_u32_e32 vcc, v38, v34
	s_waitcnt lgkmcnt(6)
	v_lshlrev_b32_e32 v20, 2, v38
	v_mov_b32_e32 v21, 0
	v_cndmask_b32_e32 v19, v7, v9, vcc
	v_cndmask_b32_e32 v18, v6, v8, vcc
	v_lshl_add_u64 v[18:19], v[18:19], 0, v[20:21]
	s_waitcnt lgkmcnt(5)
	global_store_dword v[18:19], v16, off
	s_or_b64 exec, exec, s[0:1]
	v_cmp_gt_u32_e32 vcc, s33, v33
	s_and_saveexec_b64 s[0:1], vcc
	s_cbranch_execz .LBB2154_88
.LBB2154_108:
	v_cmp_lt_u32_e32 vcc, v33, v34
	s_waitcnt lgkmcnt(6)
	v_lshlrev_b32_e32 v20, 2, v33
	v_mov_b32_e32 v21, 0
	v_cndmask_b32_e32 v19, v7, v9, vcc
	v_cndmask_b32_e32 v18, v6, v8, vcc
	v_lshl_add_u64 v[18:19], v[18:19], 0, v[20:21]
	s_waitcnt lgkmcnt(5)
	global_store_dword v[18:19], v17, off
	s_or_b64 exec, exec, s[0:1]
	v_cmp_gt_u32_e32 vcc, s33, v32
	s_and_saveexec_b64 s[0:1], vcc
	s_cbranch_execz .LBB2154_89
.LBB2154_109:
	v_cmp_lt_u32_e32 vcc, v32, v34
	v_lshlrev_b32_e32 v18, 2, v32
	v_mov_b32_e32 v19, 0
	s_waitcnt lgkmcnt(5)
	v_cndmask_b32_e32 v17, v7, v9, vcc
	v_cndmask_b32_e32 v16, v6, v8, vcc
	v_lshl_add_u64 v[16:17], v[16:17], 0, v[18:19]
	s_waitcnt lgkmcnt(4)
	global_store_dword v[16:17], v14, off
	s_or_b64 exec, exec, s[0:1]
	v_cmp_gt_u32_e32 vcc, s33, v31
	s_and_saveexec_b64 s[0:1], vcc
	s_cbranch_execz .LBB2154_90
.LBB2154_110:
	v_cmp_lt_u32_e32 vcc, v31, v34
	v_lshlrev_b32_e32 v18, 2, v31
	v_mov_b32_e32 v19, 0
	s_waitcnt lgkmcnt(5)
	v_cndmask_b32_e32 v17, v7, v9, vcc
	v_cndmask_b32_e32 v16, v6, v8, vcc
	v_lshl_add_u64 v[16:17], v[16:17], 0, v[18:19]
	s_waitcnt lgkmcnt(4)
	global_store_dword v[16:17], v15, off
	s_or_b64 exec, exec, s[0:1]
	v_cmp_gt_u32_e32 vcc, s33, v30
	s_and_saveexec_b64 s[0:1], vcc
	s_cbranch_execz .LBB2154_91
.LBB2154_111:
	v_cmp_lt_u32_e32 vcc, v30, v34
	s_waitcnt lgkmcnt(5)
	v_lshlrev_b32_e32 v16, 2, v30
	v_mov_b32_e32 v17, 0
	s_waitcnt lgkmcnt(4)
	v_cndmask_b32_e32 v15, v7, v9, vcc
	v_cndmask_b32_e32 v14, v6, v8, vcc
	v_lshl_add_u64 v[14:15], v[14:15], 0, v[16:17]
	s_waitcnt lgkmcnt(3)
	global_store_dword v[14:15], v12, off
	s_or_b64 exec, exec, s[0:1]
	v_cmp_gt_u32_e32 vcc, s33, v29
	s_and_saveexec_b64 s[0:1], vcc
	s_cbranch_execz .LBB2154_92
.LBB2154_112:
	v_cmp_lt_u32_e32 vcc, v29, v34
	s_waitcnt lgkmcnt(5)
	v_lshlrev_b32_e32 v16, 2, v29
	v_mov_b32_e32 v17, 0
	s_waitcnt lgkmcnt(4)
	v_cndmask_b32_e32 v15, v7, v9, vcc
	v_cndmask_b32_e32 v14, v6, v8, vcc
	v_lshl_add_u64 v[14:15], v[14:15], 0, v[16:17]
	s_waitcnt lgkmcnt(3)
	global_store_dword v[14:15], v13, off
	s_or_b64 exec, exec, s[0:1]
	v_cmp_gt_u32_e32 vcc, s33, v28
	s_and_saveexec_b64 s[0:1], vcc
	s_cbranch_execz .LBB2154_93
.LBB2154_113:
	v_cmp_lt_u32_e32 vcc, v28, v34
	s_waitcnt lgkmcnt(4)
	v_lshlrev_b32_e32 v14, 2, v28
	v_mov_b32_e32 v15, 0
	s_waitcnt lgkmcnt(3)
	v_cndmask_b32_e32 v13, v7, v9, vcc
	v_cndmask_b32_e32 v12, v6, v8, vcc
	v_lshl_add_u64 v[12:13], v[12:13], 0, v[14:15]
	s_waitcnt lgkmcnt(2)
	global_store_dword v[12:13], v10, off
	s_or_b64 exec, exec, s[0:1]
	v_cmp_gt_u32_e32 vcc, s33, v27
	s_and_saveexec_b64 s[0:1], vcc
	s_cbranch_execz .LBB2154_94
.LBB2154_114:
	v_cmp_lt_u32_e32 vcc, v27, v34
	s_waitcnt lgkmcnt(4)
	v_lshlrev_b32_e32 v14, 2, v27
	v_mov_b32_e32 v15, 0
	s_waitcnt lgkmcnt(3)
	v_cndmask_b32_e32 v13, v7, v9, vcc
	v_cndmask_b32_e32 v12, v6, v8, vcc
	v_lshl_add_u64 v[12:13], v[12:13], 0, v[14:15]
	s_waitcnt lgkmcnt(2)
	global_store_dword v[12:13], v11, off
	s_or_b64 exec, exec, s[0:1]
	v_cmp_gt_u32_e32 vcc, s33, v26
	s_and_saveexec_b64 s[0:1], vcc
	s_cbranch_execz .LBB2154_95
.LBB2154_115:
	v_cmp_lt_u32_e32 vcc, v26, v34
	s_waitcnt lgkmcnt(3)
	v_lshlrev_b32_e32 v12, 2, v26
	v_mov_b32_e32 v13, 0
	s_waitcnt lgkmcnt(2)
	v_cndmask_b32_e32 v11, v7, v9, vcc
	v_cndmask_b32_e32 v10, v6, v8, vcc
	v_lshl_add_u64 v[10:11], v[10:11], 0, v[12:13]
	s_waitcnt lgkmcnt(1)
	global_store_dword v[10:11], v4, off
	s_or_b64 exec, exec, s[0:1]
	v_cmp_gt_u32_e32 vcc, s33, v25
	s_and_saveexec_b64 s[0:1], vcc
	s_cbranch_execnz .LBB2154_96
	s_branch .LBB2154_97
	.section	.rodata,"a",@progbits
	.p2align	6, 0x0
	.amdhsa_kernel _ZN7rocprim17ROCPRIM_400000_NS6detail17trampoline_kernelINS0_14default_configENS1_25partition_config_selectorILNS1_17partition_subalgoE0EjNS0_10empty_typeEbEEZZNS1_14partition_implILS5_0ELb0ES3_jN6thrust23THRUST_200600_302600_NS6detail15normal_iteratorINSA_10device_ptrIjEEEEPS6_SG_NS0_5tupleIJSF_SF_EEENSH_IJSG_SG_EEES6_PlJ7is_evenIjEEEE10hipError_tPvRmT3_T4_T5_T6_T7_T9_mT8_P12ihipStream_tbDpT10_ENKUlT_T0_E_clISt17integral_constantIbLb1EES15_IbLb0EEEEDaS11_S12_EUlS11_E_NS1_11comp_targetILNS1_3genE5ELNS1_11target_archE942ELNS1_3gpuE9ELNS1_3repE0EEENS1_30default_config_static_selectorELNS0_4arch9wavefront6targetE1EEEvT1_
		.amdhsa_group_segment_fixed_size 30728
		.amdhsa_private_segment_fixed_size 0
		.amdhsa_kernarg_size 120
		.amdhsa_user_sgpr_count 2
		.amdhsa_user_sgpr_dispatch_ptr 0
		.amdhsa_user_sgpr_queue_ptr 0
		.amdhsa_user_sgpr_kernarg_segment_ptr 1
		.amdhsa_user_sgpr_dispatch_id 0
		.amdhsa_user_sgpr_kernarg_preload_length 0
		.amdhsa_user_sgpr_kernarg_preload_offset 0
		.amdhsa_user_sgpr_private_segment_size 0
		.amdhsa_uses_dynamic_stack 0
		.amdhsa_enable_private_segment 0
		.amdhsa_system_sgpr_workgroup_id_x 1
		.amdhsa_system_sgpr_workgroup_id_y 0
		.amdhsa_system_sgpr_workgroup_id_z 0
		.amdhsa_system_sgpr_workgroup_info 0
		.amdhsa_system_vgpr_workitem_id 0
		.amdhsa_next_free_vgpr 76
		.amdhsa_next_free_sgpr 44
		.amdhsa_accum_offset 76
		.amdhsa_reserve_vcc 1
		.amdhsa_float_round_mode_32 0
		.amdhsa_float_round_mode_16_64 0
		.amdhsa_float_denorm_mode_32 3
		.amdhsa_float_denorm_mode_16_64 3
		.amdhsa_dx10_clamp 1
		.amdhsa_ieee_mode 1
		.amdhsa_fp16_overflow 0
		.amdhsa_tg_split 0
		.amdhsa_exception_fp_ieee_invalid_op 0
		.amdhsa_exception_fp_denorm_src 0
		.amdhsa_exception_fp_ieee_div_zero 0
		.amdhsa_exception_fp_ieee_overflow 0
		.amdhsa_exception_fp_ieee_underflow 0
		.amdhsa_exception_fp_ieee_inexact 0
		.amdhsa_exception_int_div_zero 0
	.end_amdhsa_kernel
	.section	.text._ZN7rocprim17ROCPRIM_400000_NS6detail17trampoline_kernelINS0_14default_configENS1_25partition_config_selectorILNS1_17partition_subalgoE0EjNS0_10empty_typeEbEEZZNS1_14partition_implILS5_0ELb0ES3_jN6thrust23THRUST_200600_302600_NS6detail15normal_iteratorINSA_10device_ptrIjEEEEPS6_SG_NS0_5tupleIJSF_SF_EEENSH_IJSG_SG_EEES6_PlJ7is_evenIjEEEE10hipError_tPvRmT3_T4_T5_T6_T7_T9_mT8_P12ihipStream_tbDpT10_ENKUlT_T0_E_clISt17integral_constantIbLb1EES15_IbLb0EEEEDaS11_S12_EUlS11_E_NS1_11comp_targetILNS1_3genE5ELNS1_11target_archE942ELNS1_3gpuE9ELNS1_3repE0EEENS1_30default_config_static_selectorELNS0_4arch9wavefront6targetE1EEEvT1_,"axG",@progbits,_ZN7rocprim17ROCPRIM_400000_NS6detail17trampoline_kernelINS0_14default_configENS1_25partition_config_selectorILNS1_17partition_subalgoE0EjNS0_10empty_typeEbEEZZNS1_14partition_implILS5_0ELb0ES3_jN6thrust23THRUST_200600_302600_NS6detail15normal_iteratorINSA_10device_ptrIjEEEEPS6_SG_NS0_5tupleIJSF_SF_EEENSH_IJSG_SG_EEES6_PlJ7is_evenIjEEEE10hipError_tPvRmT3_T4_T5_T6_T7_T9_mT8_P12ihipStream_tbDpT10_ENKUlT_T0_E_clISt17integral_constantIbLb1EES15_IbLb0EEEEDaS11_S12_EUlS11_E_NS1_11comp_targetILNS1_3genE5ELNS1_11target_archE942ELNS1_3gpuE9ELNS1_3repE0EEENS1_30default_config_static_selectorELNS0_4arch9wavefront6targetE1EEEvT1_,comdat
.Lfunc_end2154:
	.size	_ZN7rocprim17ROCPRIM_400000_NS6detail17trampoline_kernelINS0_14default_configENS1_25partition_config_selectorILNS1_17partition_subalgoE0EjNS0_10empty_typeEbEEZZNS1_14partition_implILS5_0ELb0ES3_jN6thrust23THRUST_200600_302600_NS6detail15normal_iteratorINSA_10device_ptrIjEEEEPS6_SG_NS0_5tupleIJSF_SF_EEENSH_IJSG_SG_EEES6_PlJ7is_evenIjEEEE10hipError_tPvRmT3_T4_T5_T6_T7_T9_mT8_P12ihipStream_tbDpT10_ENKUlT_T0_E_clISt17integral_constantIbLb1EES15_IbLb0EEEEDaS11_S12_EUlS11_E_NS1_11comp_targetILNS1_3genE5ELNS1_11target_archE942ELNS1_3gpuE9ELNS1_3repE0EEENS1_30default_config_static_selectorELNS0_4arch9wavefront6targetE1EEEvT1_, .Lfunc_end2154-_ZN7rocprim17ROCPRIM_400000_NS6detail17trampoline_kernelINS0_14default_configENS1_25partition_config_selectorILNS1_17partition_subalgoE0EjNS0_10empty_typeEbEEZZNS1_14partition_implILS5_0ELb0ES3_jN6thrust23THRUST_200600_302600_NS6detail15normal_iteratorINSA_10device_ptrIjEEEEPS6_SG_NS0_5tupleIJSF_SF_EEENSH_IJSG_SG_EEES6_PlJ7is_evenIjEEEE10hipError_tPvRmT3_T4_T5_T6_T7_T9_mT8_P12ihipStream_tbDpT10_ENKUlT_T0_E_clISt17integral_constantIbLb1EES15_IbLb0EEEEDaS11_S12_EUlS11_E_NS1_11comp_targetILNS1_3genE5ELNS1_11target_archE942ELNS1_3gpuE9ELNS1_3repE0EEENS1_30default_config_static_selectorELNS0_4arch9wavefront6targetE1EEEvT1_
                                        ; -- End function
	.section	.AMDGPU.csdata,"",@progbits
; Kernel info:
; codeLenInByte = 6700
; NumSgprs: 50
; NumVgprs: 76
; NumAgprs: 0
; TotalNumVgprs: 76
; ScratchSize: 0
; MemoryBound: 0
; FloatMode: 240
; IeeeMode: 1
; LDSByteSize: 30728 bytes/workgroup (compile time only)
; SGPRBlocks: 6
; VGPRBlocks: 9
; NumSGPRsForWavesPerEU: 50
; NumVGPRsForWavesPerEU: 76
; AccumOffset: 76
; Occupancy: 4
; WaveLimiterHint : 1
; COMPUTE_PGM_RSRC2:SCRATCH_EN: 0
; COMPUTE_PGM_RSRC2:USER_SGPR: 2
; COMPUTE_PGM_RSRC2:TRAP_HANDLER: 0
; COMPUTE_PGM_RSRC2:TGID_X_EN: 1
; COMPUTE_PGM_RSRC2:TGID_Y_EN: 0
; COMPUTE_PGM_RSRC2:TGID_Z_EN: 0
; COMPUTE_PGM_RSRC2:TIDIG_COMP_CNT: 0
; COMPUTE_PGM_RSRC3_GFX90A:ACCUM_OFFSET: 18
; COMPUTE_PGM_RSRC3_GFX90A:TG_SPLIT: 0
	.section	.text._ZN7rocprim17ROCPRIM_400000_NS6detail17trampoline_kernelINS0_14default_configENS1_25partition_config_selectorILNS1_17partition_subalgoE0EjNS0_10empty_typeEbEEZZNS1_14partition_implILS5_0ELb0ES3_jN6thrust23THRUST_200600_302600_NS6detail15normal_iteratorINSA_10device_ptrIjEEEEPS6_SG_NS0_5tupleIJSF_SF_EEENSH_IJSG_SG_EEES6_PlJ7is_evenIjEEEE10hipError_tPvRmT3_T4_T5_T6_T7_T9_mT8_P12ihipStream_tbDpT10_ENKUlT_T0_E_clISt17integral_constantIbLb1EES15_IbLb0EEEEDaS11_S12_EUlS11_E_NS1_11comp_targetILNS1_3genE4ELNS1_11target_archE910ELNS1_3gpuE8ELNS1_3repE0EEENS1_30default_config_static_selectorELNS0_4arch9wavefront6targetE1EEEvT1_,"axG",@progbits,_ZN7rocprim17ROCPRIM_400000_NS6detail17trampoline_kernelINS0_14default_configENS1_25partition_config_selectorILNS1_17partition_subalgoE0EjNS0_10empty_typeEbEEZZNS1_14partition_implILS5_0ELb0ES3_jN6thrust23THRUST_200600_302600_NS6detail15normal_iteratorINSA_10device_ptrIjEEEEPS6_SG_NS0_5tupleIJSF_SF_EEENSH_IJSG_SG_EEES6_PlJ7is_evenIjEEEE10hipError_tPvRmT3_T4_T5_T6_T7_T9_mT8_P12ihipStream_tbDpT10_ENKUlT_T0_E_clISt17integral_constantIbLb1EES15_IbLb0EEEEDaS11_S12_EUlS11_E_NS1_11comp_targetILNS1_3genE4ELNS1_11target_archE910ELNS1_3gpuE8ELNS1_3repE0EEENS1_30default_config_static_selectorELNS0_4arch9wavefront6targetE1EEEvT1_,comdat
	.protected	_ZN7rocprim17ROCPRIM_400000_NS6detail17trampoline_kernelINS0_14default_configENS1_25partition_config_selectorILNS1_17partition_subalgoE0EjNS0_10empty_typeEbEEZZNS1_14partition_implILS5_0ELb0ES3_jN6thrust23THRUST_200600_302600_NS6detail15normal_iteratorINSA_10device_ptrIjEEEEPS6_SG_NS0_5tupleIJSF_SF_EEENSH_IJSG_SG_EEES6_PlJ7is_evenIjEEEE10hipError_tPvRmT3_T4_T5_T6_T7_T9_mT8_P12ihipStream_tbDpT10_ENKUlT_T0_E_clISt17integral_constantIbLb1EES15_IbLb0EEEEDaS11_S12_EUlS11_E_NS1_11comp_targetILNS1_3genE4ELNS1_11target_archE910ELNS1_3gpuE8ELNS1_3repE0EEENS1_30default_config_static_selectorELNS0_4arch9wavefront6targetE1EEEvT1_ ; -- Begin function _ZN7rocprim17ROCPRIM_400000_NS6detail17trampoline_kernelINS0_14default_configENS1_25partition_config_selectorILNS1_17partition_subalgoE0EjNS0_10empty_typeEbEEZZNS1_14partition_implILS5_0ELb0ES3_jN6thrust23THRUST_200600_302600_NS6detail15normal_iteratorINSA_10device_ptrIjEEEEPS6_SG_NS0_5tupleIJSF_SF_EEENSH_IJSG_SG_EEES6_PlJ7is_evenIjEEEE10hipError_tPvRmT3_T4_T5_T6_T7_T9_mT8_P12ihipStream_tbDpT10_ENKUlT_T0_E_clISt17integral_constantIbLb1EES15_IbLb0EEEEDaS11_S12_EUlS11_E_NS1_11comp_targetILNS1_3genE4ELNS1_11target_archE910ELNS1_3gpuE8ELNS1_3repE0EEENS1_30default_config_static_selectorELNS0_4arch9wavefront6targetE1EEEvT1_
	.globl	_ZN7rocprim17ROCPRIM_400000_NS6detail17trampoline_kernelINS0_14default_configENS1_25partition_config_selectorILNS1_17partition_subalgoE0EjNS0_10empty_typeEbEEZZNS1_14partition_implILS5_0ELb0ES3_jN6thrust23THRUST_200600_302600_NS6detail15normal_iteratorINSA_10device_ptrIjEEEEPS6_SG_NS0_5tupleIJSF_SF_EEENSH_IJSG_SG_EEES6_PlJ7is_evenIjEEEE10hipError_tPvRmT3_T4_T5_T6_T7_T9_mT8_P12ihipStream_tbDpT10_ENKUlT_T0_E_clISt17integral_constantIbLb1EES15_IbLb0EEEEDaS11_S12_EUlS11_E_NS1_11comp_targetILNS1_3genE4ELNS1_11target_archE910ELNS1_3gpuE8ELNS1_3repE0EEENS1_30default_config_static_selectorELNS0_4arch9wavefront6targetE1EEEvT1_
	.p2align	8
	.type	_ZN7rocprim17ROCPRIM_400000_NS6detail17trampoline_kernelINS0_14default_configENS1_25partition_config_selectorILNS1_17partition_subalgoE0EjNS0_10empty_typeEbEEZZNS1_14partition_implILS5_0ELb0ES3_jN6thrust23THRUST_200600_302600_NS6detail15normal_iteratorINSA_10device_ptrIjEEEEPS6_SG_NS0_5tupleIJSF_SF_EEENSH_IJSG_SG_EEES6_PlJ7is_evenIjEEEE10hipError_tPvRmT3_T4_T5_T6_T7_T9_mT8_P12ihipStream_tbDpT10_ENKUlT_T0_E_clISt17integral_constantIbLb1EES15_IbLb0EEEEDaS11_S12_EUlS11_E_NS1_11comp_targetILNS1_3genE4ELNS1_11target_archE910ELNS1_3gpuE8ELNS1_3repE0EEENS1_30default_config_static_selectorELNS0_4arch9wavefront6targetE1EEEvT1_,@function
_ZN7rocprim17ROCPRIM_400000_NS6detail17trampoline_kernelINS0_14default_configENS1_25partition_config_selectorILNS1_17partition_subalgoE0EjNS0_10empty_typeEbEEZZNS1_14partition_implILS5_0ELb0ES3_jN6thrust23THRUST_200600_302600_NS6detail15normal_iteratorINSA_10device_ptrIjEEEEPS6_SG_NS0_5tupleIJSF_SF_EEENSH_IJSG_SG_EEES6_PlJ7is_evenIjEEEE10hipError_tPvRmT3_T4_T5_T6_T7_T9_mT8_P12ihipStream_tbDpT10_ENKUlT_T0_E_clISt17integral_constantIbLb1EES15_IbLb0EEEEDaS11_S12_EUlS11_E_NS1_11comp_targetILNS1_3genE4ELNS1_11target_archE910ELNS1_3gpuE8ELNS1_3repE0EEENS1_30default_config_static_selectorELNS0_4arch9wavefront6targetE1EEEvT1_: ; @_ZN7rocprim17ROCPRIM_400000_NS6detail17trampoline_kernelINS0_14default_configENS1_25partition_config_selectorILNS1_17partition_subalgoE0EjNS0_10empty_typeEbEEZZNS1_14partition_implILS5_0ELb0ES3_jN6thrust23THRUST_200600_302600_NS6detail15normal_iteratorINSA_10device_ptrIjEEEEPS6_SG_NS0_5tupleIJSF_SF_EEENSH_IJSG_SG_EEES6_PlJ7is_evenIjEEEE10hipError_tPvRmT3_T4_T5_T6_T7_T9_mT8_P12ihipStream_tbDpT10_ENKUlT_T0_E_clISt17integral_constantIbLb1EES15_IbLb0EEEEDaS11_S12_EUlS11_E_NS1_11comp_targetILNS1_3genE4ELNS1_11target_archE910ELNS1_3gpuE8ELNS1_3repE0EEENS1_30default_config_static_selectorELNS0_4arch9wavefront6targetE1EEEvT1_
; %bb.0:
	.section	.rodata,"a",@progbits
	.p2align	6, 0x0
	.amdhsa_kernel _ZN7rocprim17ROCPRIM_400000_NS6detail17trampoline_kernelINS0_14default_configENS1_25partition_config_selectorILNS1_17partition_subalgoE0EjNS0_10empty_typeEbEEZZNS1_14partition_implILS5_0ELb0ES3_jN6thrust23THRUST_200600_302600_NS6detail15normal_iteratorINSA_10device_ptrIjEEEEPS6_SG_NS0_5tupleIJSF_SF_EEENSH_IJSG_SG_EEES6_PlJ7is_evenIjEEEE10hipError_tPvRmT3_T4_T5_T6_T7_T9_mT8_P12ihipStream_tbDpT10_ENKUlT_T0_E_clISt17integral_constantIbLb1EES15_IbLb0EEEEDaS11_S12_EUlS11_E_NS1_11comp_targetILNS1_3genE4ELNS1_11target_archE910ELNS1_3gpuE8ELNS1_3repE0EEENS1_30default_config_static_selectorELNS0_4arch9wavefront6targetE1EEEvT1_
		.amdhsa_group_segment_fixed_size 0
		.amdhsa_private_segment_fixed_size 0
		.amdhsa_kernarg_size 120
		.amdhsa_user_sgpr_count 2
		.amdhsa_user_sgpr_dispatch_ptr 0
		.amdhsa_user_sgpr_queue_ptr 0
		.amdhsa_user_sgpr_kernarg_segment_ptr 1
		.amdhsa_user_sgpr_dispatch_id 0
		.amdhsa_user_sgpr_kernarg_preload_length 0
		.amdhsa_user_sgpr_kernarg_preload_offset 0
		.amdhsa_user_sgpr_private_segment_size 0
		.amdhsa_uses_dynamic_stack 0
		.amdhsa_enable_private_segment 0
		.amdhsa_system_sgpr_workgroup_id_x 1
		.amdhsa_system_sgpr_workgroup_id_y 0
		.amdhsa_system_sgpr_workgroup_id_z 0
		.amdhsa_system_sgpr_workgroup_info 0
		.amdhsa_system_vgpr_workitem_id 0
		.amdhsa_next_free_vgpr 1
		.amdhsa_next_free_sgpr 0
		.amdhsa_accum_offset 4
		.amdhsa_reserve_vcc 0
		.amdhsa_float_round_mode_32 0
		.amdhsa_float_round_mode_16_64 0
		.amdhsa_float_denorm_mode_32 3
		.amdhsa_float_denorm_mode_16_64 3
		.amdhsa_dx10_clamp 1
		.amdhsa_ieee_mode 1
		.amdhsa_fp16_overflow 0
		.amdhsa_tg_split 0
		.amdhsa_exception_fp_ieee_invalid_op 0
		.amdhsa_exception_fp_denorm_src 0
		.amdhsa_exception_fp_ieee_div_zero 0
		.amdhsa_exception_fp_ieee_overflow 0
		.amdhsa_exception_fp_ieee_underflow 0
		.amdhsa_exception_fp_ieee_inexact 0
		.amdhsa_exception_int_div_zero 0
	.end_amdhsa_kernel
	.section	.text._ZN7rocprim17ROCPRIM_400000_NS6detail17trampoline_kernelINS0_14default_configENS1_25partition_config_selectorILNS1_17partition_subalgoE0EjNS0_10empty_typeEbEEZZNS1_14partition_implILS5_0ELb0ES3_jN6thrust23THRUST_200600_302600_NS6detail15normal_iteratorINSA_10device_ptrIjEEEEPS6_SG_NS0_5tupleIJSF_SF_EEENSH_IJSG_SG_EEES6_PlJ7is_evenIjEEEE10hipError_tPvRmT3_T4_T5_T6_T7_T9_mT8_P12ihipStream_tbDpT10_ENKUlT_T0_E_clISt17integral_constantIbLb1EES15_IbLb0EEEEDaS11_S12_EUlS11_E_NS1_11comp_targetILNS1_3genE4ELNS1_11target_archE910ELNS1_3gpuE8ELNS1_3repE0EEENS1_30default_config_static_selectorELNS0_4arch9wavefront6targetE1EEEvT1_,"axG",@progbits,_ZN7rocprim17ROCPRIM_400000_NS6detail17trampoline_kernelINS0_14default_configENS1_25partition_config_selectorILNS1_17partition_subalgoE0EjNS0_10empty_typeEbEEZZNS1_14partition_implILS5_0ELb0ES3_jN6thrust23THRUST_200600_302600_NS6detail15normal_iteratorINSA_10device_ptrIjEEEEPS6_SG_NS0_5tupleIJSF_SF_EEENSH_IJSG_SG_EEES6_PlJ7is_evenIjEEEE10hipError_tPvRmT3_T4_T5_T6_T7_T9_mT8_P12ihipStream_tbDpT10_ENKUlT_T0_E_clISt17integral_constantIbLb1EES15_IbLb0EEEEDaS11_S12_EUlS11_E_NS1_11comp_targetILNS1_3genE4ELNS1_11target_archE910ELNS1_3gpuE8ELNS1_3repE0EEENS1_30default_config_static_selectorELNS0_4arch9wavefront6targetE1EEEvT1_,comdat
.Lfunc_end2155:
	.size	_ZN7rocprim17ROCPRIM_400000_NS6detail17trampoline_kernelINS0_14default_configENS1_25partition_config_selectorILNS1_17partition_subalgoE0EjNS0_10empty_typeEbEEZZNS1_14partition_implILS5_0ELb0ES3_jN6thrust23THRUST_200600_302600_NS6detail15normal_iteratorINSA_10device_ptrIjEEEEPS6_SG_NS0_5tupleIJSF_SF_EEENSH_IJSG_SG_EEES6_PlJ7is_evenIjEEEE10hipError_tPvRmT3_T4_T5_T6_T7_T9_mT8_P12ihipStream_tbDpT10_ENKUlT_T0_E_clISt17integral_constantIbLb1EES15_IbLb0EEEEDaS11_S12_EUlS11_E_NS1_11comp_targetILNS1_3genE4ELNS1_11target_archE910ELNS1_3gpuE8ELNS1_3repE0EEENS1_30default_config_static_selectorELNS0_4arch9wavefront6targetE1EEEvT1_, .Lfunc_end2155-_ZN7rocprim17ROCPRIM_400000_NS6detail17trampoline_kernelINS0_14default_configENS1_25partition_config_selectorILNS1_17partition_subalgoE0EjNS0_10empty_typeEbEEZZNS1_14partition_implILS5_0ELb0ES3_jN6thrust23THRUST_200600_302600_NS6detail15normal_iteratorINSA_10device_ptrIjEEEEPS6_SG_NS0_5tupleIJSF_SF_EEENSH_IJSG_SG_EEES6_PlJ7is_evenIjEEEE10hipError_tPvRmT3_T4_T5_T6_T7_T9_mT8_P12ihipStream_tbDpT10_ENKUlT_T0_E_clISt17integral_constantIbLb1EES15_IbLb0EEEEDaS11_S12_EUlS11_E_NS1_11comp_targetILNS1_3genE4ELNS1_11target_archE910ELNS1_3gpuE8ELNS1_3repE0EEENS1_30default_config_static_selectorELNS0_4arch9wavefront6targetE1EEEvT1_
                                        ; -- End function
	.section	.AMDGPU.csdata,"",@progbits
; Kernel info:
; codeLenInByte = 0
; NumSgprs: 6
; NumVgprs: 0
; NumAgprs: 0
; TotalNumVgprs: 0
; ScratchSize: 0
; MemoryBound: 0
; FloatMode: 240
; IeeeMode: 1
; LDSByteSize: 0 bytes/workgroup (compile time only)
; SGPRBlocks: 0
; VGPRBlocks: 0
; NumSGPRsForWavesPerEU: 6
; NumVGPRsForWavesPerEU: 1
; AccumOffset: 4
; Occupancy: 8
; WaveLimiterHint : 0
; COMPUTE_PGM_RSRC2:SCRATCH_EN: 0
; COMPUTE_PGM_RSRC2:USER_SGPR: 2
; COMPUTE_PGM_RSRC2:TRAP_HANDLER: 0
; COMPUTE_PGM_RSRC2:TGID_X_EN: 1
; COMPUTE_PGM_RSRC2:TGID_Y_EN: 0
; COMPUTE_PGM_RSRC2:TGID_Z_EN: 0
; COMPUTE_PGM_RSRC2:TIDIG_COMP_CNT: 0
; COMPUTE_PGM_RSRC3_GFX90A:ACCUM_OFFSET: 0
; COMPUTE_PGM_RSRC3_GFX90A:TG_SPLIT: 0
	.section	.text._ZN7rocprim17ROCPRIM_400000_NS6detail17trampoline_kernelINS0_14default_configENS1_25partition_config_selectorILNS1_17partition_subalgoE0EjNS0_10empty_typeEbEEZZNS1_14partition_implILS5_0ELb0ES3_jN6thrust23THRUST_200600_302600_NS6detail15normal_iteratorINSA_10device_ptrIjEEEEPS6_SG_NS0_5tupleIJSF_SF_EEENSH_IJSG_SG_EEES6_PlJ7is_evenIjEEEE10hipError_tPvRmT3_T4_T5_T6_T7_T9_mT8_P12ihipStream_tbDpT10_ENKUlT_T0_E_clISt17integral_constantIbLb1EES15_IbLb0EEEEDaS11_S12_EUlS11_E_NS1_11comp_targetILNS1_3genE3ELNS1_11target_archE908ELNS1_3gpuE7ELNS1_3repE0EEENS1_30default_config_static_selectorELNS0_4arch9wavefront6targetE1EEEvT1_,"axG",@progbits,_ZN7rocprim17ROCPRIM_400000_NS6detail17trampoline_kernelINS0_14default_configENS1_25partition_config_selectorILNS1_17partition_subalgoE0EjNS0_10empty_typeEbEEZZNS1_14partition_implILS5_0ELb0ES3_jN6thrust23THRUST_200600_302600_NS6detail15normal_iteratorINSA_10device_ptrIjEEEEPS6_SG_NS0_5tupleIJSF_SF_EEENSH_IJSG_SG_EEES6_PlJ7is_evenIjEEEE10hipError_tPvRmT3_T4_T5_T6_T7_T9_mT8_P12ihipStream_tbDpT10_ENKUlT_T0_E_clISt17integral_constantIbLb1EES15_IbLb0EEEEDaS11_S12_EUlS11_E_NS1_11comp_targetILNS1_3genE3ELNS1_11target_archE908ELNS1_3gpuE7ELNS1_3repE0EEENS1_30default_config_static_selectorELNS0_4arch9wavefront6targetE1EEEvT1_,comdat
	.protected	_ZN7rocprim17ROCPRIM_400000_NS6detail17trampoline_kernelINS0_14default_configENS1_25partition_config_selectorILNS1_17partition_subalgoE0EjNS0_10empty_typeEbEEZZNS1_14partition_implILS5_0ELb0ES3_jN6thrust23THRUST_200600_302600_NS6detail15normal_iteratorINSA_10device_ptrIjEEEEPS6_SG_NS0_5tupleIJSF_SF_EEENSH_IJSG_SG_EEES6_PlJ7is_evenIjEEEE10hipError_tPvRmT3_T4_T5_T6_T7_T9_mT8_P12ihipStream_tbDpT10_ENKUlT_T0_E_clISt17integral_constantIbLb1EES15_IbLb0EEEEDaS11_S12_EUlS11_E_NS1_11comp_targetILNS1_3genE3ELNS1_11target_archE908ELNS1_3gpuE7ELNS1_3repE0EEENS1_30default_config_static_selectorELNS0_4arch9wavefront6targetE1EEEvT1_ ; -- Begin function _ZN7rocprim17ROCPRIM_400000_NS6detail17trampoline_kernelINS0_14default_configENS1_25partition_config_selectorILNS1_17partition_subalgoE0EjNS0_10empty_typeEbEEZZNS1_14partition_implILS5_0ELb0ES3_jN6thrust23THRUST_200600_302600_NS6detail15normal_iteratorINSA_10device_ptrIjEEEEPS6_SG_NS0_5tupleIJSF_SF_EEENSH_IJSG_SG_EEES6_PlJ7is_evenIjEEEE10hipError_tPvRmT3_T4_T5_T6_T7_T9_mT8_P12ihipStream_tbDpT10_ENKUlT_T0_E_clISt17integral_constantIbLb1EES15_IbLb0EEEEDaS11_S12_EUlS11_E_NS1_11comp_targetILNS1_3genE3ELNS1_11target_archE908ELNS1_3gpuE7ELNS1_3repE0EEENS1_30default_config_static_selectorELNS0_4arch9wavefront6targetE1EEEvT1_
	.globl	_ZN7rocprim17ROCPRIM_400000_NS6detail17trampoline_kernelINS0_14default_configENS1_25partition_config_selectorILNS1_17partition_subalgoE0EjNS0_10empty_typeEbEEZZNS1_14partition_implILS5_0ELb0ES3_jN6thrust23THRUST_200600_302600_NS6detail15normal_iteratorINSA_10device_ptrIjEEEEPS6_SG_NS0_5tupleIJSF_SF_EEENSH_IJSG_SG_EEES6_PlJ7is_evenIjEEEE10hipError_tPvRmT3_T4_T5_T6_T7_T9_mT8_P12ihipStream_tbDpT10_ENKUlT_T0_E_clISt17integral_constantIbLb1EES15_IbLb0EEEEDaS11_S12_EUlS11_E_NS1_11comp_targetILNS1_3genE3ELNS1_11target_archE908ELNS1_3gpuE7ELNS1_3repE0EEENS1_30default_config_static_selectorELNS0_4arch9wavefront6targetE1EEEvT1_
	.p2align	8
	.type	_ZN7rocprim17ROCPRIM_400000_NS6detail17trampoline_kernelINS0_14default_configENS1_25partition_config_selectorILNS1_17partition_subalgoE0EjNS0_10empty_typeEbEEZZNS1_14partition_implILS5_0ELb0ES3_jN6thrust23THRUST_200600_302600_NS6detail15normal_iteratorINSA_10device_ptrIjEEEEPS6_SG_NS0_5tupleIJSF_SF_EEENSH_IJSG_SG_EEES6_PlJ7is_evenIjEEEE10hipError_tPvRmT3_T4_T5_T6_T7_T9_mT8_P12ihipStream_tbDpT10_ENKUlT_T0_E_clISt17integral_constantIbLb1EES15_IbLb0EEEEDaS11_S12_EUlS11_E_NS1_11comp_targetILNS1_3genE3ELNS1_11target_archE908ELNS1_3gpuE7ELNS1_3repE0EEENS1_30default_config_static_selectorELNS0_4arch9wavefront6targetE1EEEvT1_,@function
_ZN7rocprim17ROCPRIM_400000_NS6detail17trampoline_kernelINS0_14default_configENS1_25partition_config_selectorILNS1_17partition_subalgoE0EjNS0_10empty_typeEbEEZZNS1_14partition_implILS5_0ELb0ES3_jN6thrust23THRUST_200600_302600_NS6detail15normal_iteratorINSA_10device_ptrIjEEEEPS6_SG_NS0_5tupleIJSF_SF_EEENSH_IJSG_SG_EEES6_PlJ7is_evenIjEEEE10hipError_tPvRmT3_T4_T5_T6_T7_T9_mT8_P12ihipStream_tbDpT10_ENKUlT_T0_E_clISt17integral_constantIbLb1EES15_IbLb0EEEEDaS11_S12_EUlS11_E_NS1_11comp_targetILNS1_3genE3ELNS1_11target_archE908ELNS1_3gpuE7ELNS1_3repE0EEENS1_30default_config_static_selectorELNS0_4arch9wavefront6targetE1EEEvT1_: ; @_ZN7rocprim17ROCPRIM_400000_NS6detail17trampoline_kernelINS0_14default_configENS1_25partition_config_selectorILNS1_17partition_subalgoE0EjNS0_10empty_typeEbEEZZNS1_14partition_implILS5_0ELb0ES3_jN6thrust23THRUST_200600_302600_NS6detail15normal_iteratorINSA_10device_ptrIjEEEEPS6_SG_NS0_5tupleIJSF_SF_EEENSH_IJSG_SG_EEES6_PlJ7is_evenIjEEEE10hipError_tPvRmT3_T4_T5_T6_T7_T9_mT8_P12ihipStream_tbDpT10_ENKUlT_T0_E_clISt17integral_constantIbLb1EES15_IbLb0EEEEDaS11_S12_EUlS11_E_NS1_11comp_targetILNS1_3genE3ELNS1_11target_archE908ELNS1_3gpuE7ELNS1_3repE0EEENS1_30default_config_static_selectorELNS0_4arch9wavefront6targetE1EEEvT1_
; %bb.0:
	.section	.rodata,"a",@progbits
	.p2align	6, 0x0
	.amdhsa_kernel _ZN7rocprim17ROCPRIM_400000_NS6detail17trampoline_kernelINS0_14default_configENS1_25partition_config_selectorILNS1_17partition_subalgoE0EjNS0_10empty_typeEbEEZZNS1_14partition_implILS5_0ELb0ES3_jN6thrust23THRUST_200600_302600_NS6detail15normal_iteratorINSA_10device_ptrIjEEEEPS6_SG_NS0_5tupleIJSF_SF_EEENSH_IJSG_SG_EEES6_PlJ7is_evenIjEEEE10hipError_tPvRmT3_T4_T5_T6_T7_T9_mT8_P12ihipStream_tbDpT10_ENKUlT_T0_E_clISt17integral_constantIbLb1EES15_IbLb0EEEEDaS11_S12_EUlS11_E_NS1_11comp_targetILNS1_3genE3ELNS1_11target_archE908ELNS1_3gpuE7ELNS1_3repE0EEENS1_30default_config_static_selectorELNS0_4arch9wavefront6targetE1EEEvT1_
		.amdhsa_group_segment_fixed_size 0
		.amdhsa_private_segment_fixed_size 0
		.amdhsa_kernarg_size 120
		.amdhsa_user_sgpr_count 2
		.amdhsa_user_sgpr_dispatch_ptr 0
		.amdhsa_user_sgpr_queue_ptr 0
		.amdhsa_user_sgpr_kernarg_segment_ptr 1
		.amdhsa_user_sgpr_dispatch_id 0
		.amdhsa_user_sgpr_kernarg_preload_length 0
		.amdhsa_user_sgpr_kernarg_preload_offset 0
		.amdhsa_user_sgpr_private_segment_size 0
		.amdhsa_uses_dynamic_stack 0
		.amdhsa_enable_private_segment 0
		.amdhsa_system_sgpr_workgroup_id_x 1
		.amdhsa_system_sgpr_workgroup_id_y 0
		.amdhsa_system_sgpr_workgroup_id_z 0
		.amdhsa_system_sgpr_workgroup_info 0
		.amdhsa_system_vgpr_workitem_id 0
		.amdhsa_next_free_vgpr 1
		.amdhsa_next_free_sgpr 0
		.amdhsa_accum_offset 4
		.amdhsa_reserve_vcc 0
		.amdhsa_float_round_mode_32 0
		.amdhsa_float_round_mode_16_64 0
		.amdhsa_float_denorm_mode_32 3
		.amdhsa_float_denorm_mode_16_64 3
		.amdhsa_dx10_clamp 1
		.amdhsa_ieee_mode 1
		.amdhsa_fp16_overflow 0
		.amdhsa_tg_split 0
		.amdhsa_exception_fp_ieee_invalid_op 0
		.amdhsa_exception_fp_denorm_src 0
		.amdhsa_exception_fp_ieee_div_zero 0
		.amdhsa_exception_fp_ieee_overflow 0
		.amdhsa_exception_fp_ieee_underflow 0
		.amdhsa_exception_fp_ieee_inexact 0
		.amdhsa_exception_int_div_zero 0
	.end_amdhsa_kernel
	.section	.text._ZN7rocprim17ROCPRIM_400000_NS6detail17trampoline_kernelINS0_14default_configENS1_25partition_config_selectorILNS1_17partition_subalgoE0EjNS0_10empty_typeEbEEZZNS1_14partition_implILS5_0ELb0ES3_jN6thrust23THRUST_200600_302600_NS6detail15normal_iteratorINSA_10device_ptrIjEEEEPS6_SG_NS0_5tupleIJSF_SF_EEENSH_IJSG_SG_EEES6_PlJ7is_evenIjEEEE10hipError_tPvRmT3_T4_T5_T6_T7_T9_mT8_P12ihipStream_tbDpT10_ENKUlT_T0_E_clISt17integral_constantIbLb1EES15_IbLb0EEEEDaS11_S12_EUlS11_E_NS1_11comp_targetILNS1_3genE3ELNS1_11target_archE908ELNS1_3gpuE7ELNS1_3repE0EEENS1_30default_config_static_selectorELNS0_4arch9wavefront6targetE1EEEvT1_,"axG",@progbits,_ZN7rocprim17ROCPRIM_400000_NS6detail17trampoline_kernelINS0_14default_configENS1_25partition_config_selectorILNS1_17partition_subalgoE0EjNS0_10empty_typeEbEEZZNS1_14partition_implILS5_0ELb0ES3_jN6thrust23THRUST_200600_302600_NS6detail15normal_iteratorINSA_10device_ptrIjEEEEPS6_SG_NS0_5tupleIJSF_SF_EEENSH_IJSG_SG_EEES6_PlJ7is_evenIjEEEE10hipError_tPvRmT3_T4_T5_T6_T7_T9_mT8_P12ihipStream_tbDpT10_ENKUlT_T0_E_clISt17integral_constantIbLb1EES15_IbLb0EEEEDaS11_S12_EUlS11_E_NS1_11comp_targetILNS1_3genE3ELNS1_11target_archE908ELNS1_3gpuE7ELNS1_3repE0EEENS1_30default_config_static_selectorELNS0_4arch9wavefront6targetE1EEEvT1_,comdat
.Lfunc_end2156:
	.size	_ZN7rocprim17ROCPRIM_400000_NS6detail17trampoline_kernelINS0_14default_configENS1_25partition_config_selectorILNS1_17partition_subalgoE0EjNS0_10empty_typeEbEEZZNS1_14partition_implILS5_0ELb0ES3_jN6thrust23THRUST_200600_302600_NS6detail15normal_iteratorINSA_10device_ptrIjEEEEPS6_SG_NS0_5tupleIJSF_SF_EEENSH_IJSG_SG_EEES6_PlJ7is_evenIjEEEE10hipError_tPvRmT3_T4_T5_T6_T7_T9_mT8_P12ihipStream_tbDpT10_ENKUlT_T0_E_clISt17integral_constantIbLb1EES15_IbLb0EEEEDaS11_S12_EUlS11_E_NS1_11comp_targetILNS1_3genE3ELNS1_11target_archE908ELNS1_3gpuE7ELNS1_3repE0EEENS1_30default_config_static_selectorELNS0_4arch9wavefront6targetE1EEEvT1_, .Lfunc_end2156-_ZN7rocprim17ROCPRIM_400000_NS6detail17trampoline_kernelINS0_14default_configENS1_25partition_config_selectorILNS1_17partition_subalgoE0EjNS0_10empty_typeEbEEZZNS1_14partition_implILS5_0ELb0ES3_jN6thrust23THRUST_200600_302600_NS6detail15normal_iteratorINSA_10device_ptrIjEEEEPS6_SG_NS0_5tupleIJSF_SF_EEENSH_IJSG_SG_EEES6_PlJ7is_evenIjEEEE10hipError_tPvRmT3_T4_T5_T6_T7_T9_mT8_P12ihipStream_tbDpT10_ENKUlT_T0_E_clISt17integral_constantIbLb1EES15_IbLb0EEEEDaS11_S12_EUlS11_E_NS1_11comp_targetILNS1_3genE3ELNS1_11target_archE908ELNS1_3gpuE7ELNS1_3repE0EEENS1_30default_config_static_selectorELNS0_4arch9wavefront6targetE1EEEvT1_
                                        ; -- End function
	.section	.AMDGPU.csdata,"",@progbits
; Kernel info:
; codeLenInByte = 0
; NumSgprs: 6
; NumVgprs: 0
; NumAgprs: 0
; TotalNumVgprs: 0
; ScratchSize: 0
; MemoryBound: 0
; FloatMode: 240
; IeeeMode: 1
; LDSByteSize: 0 bytes/workgroup (compile time only)
; SGPRBlocks: 0
; VGPRBlocks: 0
; NumSGPRsForWavesPerEU: 6
; NumVGPRsForWavesPerEU: 1
; AccumOffset: 4
; Occupancy: 8
; WaveLimiterHint : 0
; COMPUTE_PGM_RSRC2:SCRATCH_EN: 0
; COMPUTE_PGM_RSRC2:USER_SGPR: 2
; COMPUTE_PGM_RSRC2:TRAP_HANDLER: 0
; COMPUTE_PGM_RSRC2:TGID_X_EN: 1
; COMPUTE_PGM_RSRC2:TGID_Y_EN: 0
; COMPUTE_PGM_RSRC2:TGID_Z_EN: 0
; COMPUTE_PGM_RSRC2:TIDIG_COMP_CNT: 0
; COMPUTE_PGM_RSRC3_GFX90A:ACCUM_OFFSET: 0
; COMPUTE_PGM_RSRC3_GFX90A:TG_SPLIT: 0
	.section	.text._ZN7rocprim17ROCPRIM_400000_NS6detail17trampoline_kernelINS0_14default_configENS1_25partition_config_selectorILNS1_17partition_subalgoE0EjNS0_10empty_typeEbEEZZNS1_14partition_implILS5_0ELb0ES3_jN6thrust23THRUST_200600_302600_NS6detail15normal_iteratorINSA_10device_ptrIjEEEEPS6_SG_NS0_5tupleIJSF_SF_EEENSH_IJSG_SG_EEES6_PlJ7is_evenIjEEEE10hipError_tPvRmT3_T4_T5_T6_T7_T9_mT8_P12ihipStream_tbDpT10_ENKUlT_T0_E_clISt17integral_constantIbLb1EES15_IbLb0EEEEDaS11_S12_EUlS11_E_NS1_11comp_targetILNS1_3genE2ELNS1_11target_archE906ELNS1_3gpuE6ELNS1_3repE0EEENS1_30default_config_static_selectorELNS0_4arch9wavefront6targetE1EEEvT1_,"axG",@progbits,_ZN7rocprim17ROCPRIM_400000_NS6detail17trampoline_kernelINS0_14default_configENS1_25partition_config_selectorILNS1_17partition_subalgoE0EjNS0_10empty_typeEbEEZZNS1_14partition_implILS5_0ELb0ES3_jN6thrust23THRUST_200600_302600_NS6detail15normal_iteratorINSA_10device_ptrIjEEEEPS6_SG_NS0_5tupleIJSF_SF_EEENSH_IJSG_SG_EEES6_PlJ7is_evenIjEEEE10hipError_tPvRmT3_T4_T5_T6_T7_T9_mT8_P12ihipStream_tbDpT10_ENKUlT_T0_E_clISt17integral_constantIbLb1EES15_IbLb0EEEEDaS11_S12_EUlS11_E_NS1_11comp_targetILNS1_3genE2ELNS1_11target_archE906ELNS1_3gpuE6ELNS1_3repE0EEENS1_30default_config_static_selectorELNS0_4arch9wavefront6targetE1EEEvT1_,comdat
	.protected	_ZN7rocprim17ROCPRIM_400000_NS6detail17trampoline_kernelINS0_14default_configENS1_25partition_config_selectorILNS1_17partition_subalgoE0EjNS0_10empty_typeEbEEZZNS1_14partition_implILS5_0ELb0ES3_jN6thrust23THRUST_200600_302600_NS6detail15normal_iteratorINSA_10device_ptrIjEEEEPS6_SG_NS0_5tupleIJSF_SF_EEENSH_IJSG_SG_EEES6_PlJ7is_evenIjEEEE10hipError_tPvRmT3_T4_T5_T6_T7_T9_mT8_P12ihipStream_tbDpT10_ENKUlT_T0_E_clISt17integral_constantIbLb1EES15_IbLb0EEEEDaS11_S12_EUlS11_E_NS1_11comp_targetILNS1_3genE2ELNS1_11target_archE906ELNS1_3gpuE6ELNS1_3repE0EEENS1_30default_config_static_selectorELNS0_4arch9wavefront6targetE1EEEvT1_ ; -- Begin function _ZN7rocprim17ROCPRIM_400000_NS6detail17trampoline_kernelINS0_14default_configENS1_25partition_config_selectorILNS1_17partition_subalgoE0EjNS0_10empty_typeEbEEZZNS1_14partition_implILS5_0ELb0ES3_jN6thrust23THRUST_200600_302600_NS6detail15normal_iteratorINSA_10device_ptrIjEEEEPS6_SG_NS0_5tupleIJSF_SF_EEENSH_IJSG_SG_EEES6_PlJ7is_evenIjEEEE10hipError_tPvRmT3_T4_T5_T6_T7_T9_mT8_P12ihipStream_tbDpT10_ENKUlT_T0_E_clISt17integral_constantIbLb1EES15_IbLb0EEEEDaS11_S12_EUlS11_E_NS1_11comp_targetILNS1_3genE2ELNS1_11target_archE906ELNS1_3gpuE6ELNS1_3repE0EEENS1_30default_config_static_selectorELNS0_4arch9wavefront6targetE1EEEvT1_
	.globl	_ZN7rocprim17ROCPRIM_400000_NS6detail17trampoline_kernelINS0_14default_configENS1_25partition_config_selectorILNS1_17partition_subalgoE0EjNS0_10empty_typeEbEEZZNS1_14partition_implILS5_0ELb0ES3_jN6thrust23THRUST_200600_302600_NS6detail15normal_iteratorINSA_10device_ptrIjEEEEPS6_SG_NS0_5tupleIJSF_SF_EEENSH_IJSG_SG_EEES6_PlJ7is_evenIjEEEE10hipError_tPvRmT3_T4_T5_T6_T7_T9_mT8_P12ihipStream_tbDpT10_ENKUlT_T0_E_clISt17integral_constantIbLb1EES15_IbLb0EEEEDaS11_S12_EUlS11_E_NS1_11comp_targetILNS1_3genE2ELNS1_11target_archE906ELNS1_3gpuE6ELNS1_3repE0EEENS1_30default_config_static_selectorELNS0_4arch9wavefront6targetE1EEEvT1_
	.p2align	8
	.type	_ZN7rocprim17ROCPRIM_400000_NS6detail17trampoline_kernelINS0_14default_configENS1_25partition_config_selectorILNS1_17partition_subalgoE0EjNS0_10empty_typeEbEEZZNS1_14partition_implILS5_0ELb0ES3_jN6thrust23THRUST_200600_302600_NS6detail15normal_iteratorINSA_10device_ptrIjEEEEPS6_SG_NS0_5tupleIJSF_SF_EEENSH_IJSG_SG_EEES6_PlJ7is_evenIjEEEE10hipError_tPvRmT3_T4_T5_T6_T7_T9_mT8_P12ihipStream_tbDpT10_ENKUlT_T0_E_clISt17integral_constantIbLb1EES15_IbLb0EEEEDaS11_S12_EUlS11_E_NS1_11comp_targetILNS1_3genE2ELNS1_11target_archE906ELNS1_3gpuE6ELNS1_3repE0EEENS1_30default_config_static_selectorELNS0_4arch9wavefront6targetE1EEEvT1_,@function
_ZN7rocprim17ROCPRIM_400000_NS6detail17trampoline_kernelINS0_14default_configENS1_25partition_config_selectorILNS1_17partition_subalgoE0EjNS0_10empty_typeEbEEZZNS1_14partition_implILS5_0ELb0ES3_jN6thrust23THRUST_200600_302600_NS6detail15normal_iteratorINSA_10device_ptrIjEEEEPS6_SG_NS0_5tupleIJSF_SF_EEENSH_IJSG_SG_EEES6_PlJ7is_evenIjEEEE10hipError_tPvRmT3_T4_T5_T6_T7_T9_mT8_P12ihipStream_tbDpT10_ENKUlT_T0_E_clISt17integral_constantIbLb1EES15_IbLb0EEEEDaS11_S12_EUlS11_E_NS1_11comp_targetILNS1_3genE2ELNS1_11target_archE906ELNS1_3gpuE6ELNS1_3repE0EEENS1_30default_config_static_selectorELNS0_4arch9wavefront6targetE1EEEvT1_: ; @_ZN7rocprim17ROCPRIM_400000_NS6detail17trampoline_kernelINS0_14default_configENS1_25partition_config_selectorILNS1_17partition_subalgoE0EjNS0_10empty_typeEbEEZZNS1_14partition_implILS5_0ELb0ES3_jN6thrust23THRUST_200600_302600_NS6detail15normal_iteratorINSA_10device_ptrIjEEEEPS6_SG_NS0_5tupleIJSF_SF_EEENSH_IJSG_SG_EEES6_PlJ7is_evenIjEEEE10hipError_tPvRmT3_T4_T5_T6_T7_T9_mT8_P12ihipStream_tbDpT10_ENKUlT_T0_E_clISt17integral_constantIbLb1EES15_IbLb0EEEEDaS11_S12_EUlS11_E_NS1_11comp_targetILNS1_3genE2ELNS1_11target_archE906ELNS1_3gpuE6ELNS1_3repE0EEENS1_30default_config_static_selectorELNS0_4arch9wavefront6targetE1EEEvT1_
; %bb.0:
	.section	.rodata,"a",@progbits
	.p2align	6, 0x0
	.amdhsa_kernel _ZN7rocprim17ROCPRIM_400000_NS6detail17trampoline_kernelINS0_14default_configENS1_25partition_config_selectorILNS1_17partition_subalgoE0EjNS0_10empty_typeEbEEZZNS1_14partition_implILS5_0ELb0ES3_jN6thrust23THRUST_200600_302600_NS6detail15normal_iteratorINSA_10device_ptrIjEEEEPS6_SG_NS0_5tupleIJSF_SF_EEENSH_IJSG_SG_EEES6_PlJ7is_evenIjEEEE10hipError_tPvRmT3_T4_T5_T6_T7_T9_mT8_P12ihipStream_tbDpT10_ENKUlT_T0_E_clISt17integral_constantIbLb1EES15_IbLb0EEEEDaS11_S12_EUlS11_E_NS1_11comp_targetILNS1_3genE2ELNS1_11target_archE906ELNS1_3gpuE6ELNS1_3repE0EEENS1_30default_config_static_selectorELNS0_4arch9wavefront6targetE1EEEvT1_
		.amdhsa_group_segment_fixed_size 0
		.amdhsa_private_segment_fixed_size 0
		.amdhsa_kernarg_size 120
		.amdhsa_user_sgpr_count 2
		.amdhsa_user_sgpr_dispatch_ptr 0
		.amdhsa_user_sgpr_queue_ptr 0
		.amdhsa_user_sgpr_kernarg_segment_ptr 1
		.amdhsa_user_sgpr_dispatch_id 0
		.amdhsa_user_sgpr_kernarg_preload_length 0
		.amdhsa_user_sgpr_kernarg_preload_offset 0
		.amdhsa_user_sgpr_private_segment_size 0
		.amdhsa_uses_dynamic_stack 0
		.amdhsa_enable_private_segment 0
		.amdhsa_system_sgpr_workgroup_id_x 1
		.amdhsa_system_sgpr_workgroup_id_y 0
		.amdhsa_system_sgpr_workgroup_id_z 0
		.amdhsa_system_sgpr_workgroup_info 0
		.amdhsa_system_vgpr_workitem_id 0
		.amdhsa_next_free_vgpr 1
		.amdhsa_next_free_sgpr 0
		.amdhsa_accum_offset 4
		.amdhsa_reserve_vcc 0
		.amdhsa_float_round_mode_32 0
		.amdhsa_float_round_mode_16_64 0
		.amdhsa_float_denorm_mode_32 3
		.amdhsa_float_denorm_mode_16_64 3
		.amdhsa_dx10_clamp 1
		.amdhsa_ieee_mode 1
		.amdhsa_fp16_overflow 0
		.amdhsa_tg_split 0
		.amdhsa_exception_fp_ieee_invalid_op 0
		.amdhsa_exception_fp_denorm_src 0
		.amdhsa_exception_fp_ieee_div_zero 0
		.amdhsa_exception_fp_ieee_overflow 0
		.amdhsa_exception_fp_ieee_underflow 0
		.amdhsa_exception_fp_ieee_inexact 0
		.amdhsa_exception_int_div_zero 0
	.end_amdhsa_kernel
	.section	.text._ZN7rocprim17ROCPRIM_400000_NS6detail17trampoline_kernelINS0_14default_configENS1_25partition_config_selectorILNS1_17partition_subalgoE0EjNS0_10empty_typeEbEEZZNS1_14partition_implILS5_0ELb0ES3_jN6thrust23THRUST_200600_302600_NS6detail15normal_iteratorINSA_10device_ptrIjEEEEPS6_SG_NS0_5tupleIJSF_SF_EEENSH_IJSG_SG_EEES6_PlJ7is_evenIjEEEE10hipError_tPvRmT3_T4_T5_T6_T7_T9_mT8_P12ihipStream_tbDpT10_ENKUlT_T0_E_clISt17integral_constantIbLb1EES15_IbLb0EEEEDaS11_S12_EUlS11_E_NS1_11comp_targetILNS1_3genE2ELNS1_11target_archE906ELNS1_3gpuE6ELNS1_3repE0EEENS1_30default_config_static_selectorELNS0_4arch9wavefront6targetE1EEEvT1_,"axG",@progbits,_ZN7rocprim17ROCPRIM_400000_NS6detail17trampoline_kernelINS0_14default_configENS1_25partition_config_selectorILNS1_17partition_subalgoE0EjNS0_10empty_typeEbEEZZNS1_14partition_implILS5_0ELb0ES3_jN6thrust23THRUST_200600_302600_NS6detail15normal_iteratorINSA_10device_ptrIjEEEEPS6_SG_NS0_5tupleIJSF_SF_EEENSH_IJSG_SG_EEES6_PlJ7is_evenIjEEEE10hipError_tPvRmT3_T4_T5_T6_T7_T9_mT8_P12ihipStream_tbDpT10_ENKUlT_T0_E_clISt17integral_constantIbLb1EES15_IbLb0EEEEDaS11_S12_EUlS11_E_NS1_11comp_targetILNS1_3genE2ELNS1_11target_archE906ELNS1_3gpuE6ELNS1_3repE0EEENS1_30default_config_static_selectorELNS0_4arch9wavefront6targetE1EEEvT1_,comdat
.Lfunc_end2157:
	.size	_ZN7rocprim17ROCPRIM_400000_NS6detail17trampoline_kernelINS0_14default_configENS1_25partition_config_selectorILNS1_17partition_subalgoE0EjNS0_10empty_typeEbEEZZNS1_14partition_implILS5_0ELb0ES3_jN6thrust23THRUST_200600_302600_NS6detail15normal_iteratorINSA_10device_ptrIjEEEEPS6_SG_NS0_5tupleIJSF_SF_EEENSH_IJSG_SG_EEES6_PlJ7is_evenIjEEEE10hipError_tPvRmT3_T4_T5_T6_T7_T9_mT8_P12ihipStream_tbDpT10_ENKUlT_T0_E_clISt17integral_constantIbLb1EES15_IbLb0EEEEDaS11_S12_EUlS11_E_NS1_11comp_targetILNS1_3genE2ELNS1_11target_archE906ELNS1_3gpuE6ELNS1_3repE0EEENS1_30default_config_static_selectorELNS0_4arch9wavefront6targetE1EEEvT1_, .Lfunc_end2157-_ZN7rocprim17ROCPRIM_400000_NS6detail17trampoline_kernelINS0_14default_configENS1_25partition_config_selectorILNS1_17partition_subalgoE0EjNS0_10empty_typeEbEEZZNS1_14partition_implILS5_0ELb0ES3_jN6thrust23THRUST_200600_302600_NS6detail15normal_iteratorINSA_10device_ptrIjEEEEPS6_SG_NS0_5tupleIJSF_SF_EEENSH_IJSG_SG_EEES6_PlJ7is_evenIjEEEE10hipError_tPvRmT3_T4_T5_T6_T7_T9_mT8_P12ihipStream_tbDpT10_ENKUlT_T0_E_clISt17integral_constantIbLb1EES15_IbLb0EEEEDaS11_S12_EUlS11_E_NS1_11comp_targetILNS1_3genE2ELNS1_11target_archE906ELNS1_3gpuE6ELNS1_3repE0EEENS1_30default_config_static_selectorELNS0_4arch9wavefront6targetE1EEEvT1_
                                        ; -- End function
	.section	.AMDGPU.csdata,"",@progbits
; Kernel info:
; codeLenInByte = 0
; NumSgprs: 6
; NumVgprs: 0
; NumAgprs: 0
; TotalNumVgprs: 0
; ScratchSize: 0
; MemoryBound: 0
; FloatMode: 240
; IeeeMode: 1
; LDSByteSize: 0 bytes/workgroup (compile time only)
; SGPRBlocks: 0
; VGPRBlocks: 0
; NumSGPRsForWavesPerEU: 6
; NumVGPRsForWavesPerEU: 1
; AccumOffset: 4
; Occupancy: 8
; WaveLimiterHint : 0
; COMPUTE_PGM_RSRC2:SCRATCH_EN: 0
; COMPUTE_PGM_RSRC2:USER_SGPR: 2
; COMPUTE_PGM_RSRC2:TRAP_HANDLER: 0
; COMPUTE_PGM_RSRC2:TGID_X_EN: 1
; COMPUTE_PGM_RSRC2:TGID_Y_EN: 0
; COMPUTE_PGM_RSRC2:TGID_Z_EN: 0
; COMPUTE_PGM_RSRC2:TIDIG_COMP_CNT: 0
; COMPUTE_PGM_RSRC3_GFX90A:ACCUM_OFFSET: 0
; COMPUTE_PGM_RSRC3_GFX90A:TG_SPLIT: 0
	.section	.text._ZN7rocprim17ROCPRIM_400000_NS6detail17trampoline_kernelINS0_14default_configENS1_25partition_config_selectorILNS1_17partition_subalgoE0EjNS0_10empty_typeEbEEZZNS1_14partition_implILS5_0ELb0ES3_jN6thrust23THRUST_200600_302600_NS6detail15normal_iteratorINSA_10device_ptrIjEEEEPS6_SG_NS0_5tupleIJSF_SF_EEENSH_IJSG_SG_EEES6_PlJ7is_evenIjEEEE10hipError_tPvRmT3_T4_T5_T6_T7_T9_mT8_P12ihipStream_tbDpT10_ENKUlT_T0_E_clISt17integral_constantIbLb1EES15_IbLb0EEEEDaS11_S12_EUlS11_E_NS1_11comp_targetILNS1_3genE10ELNS1_11target_archE1200ELNS1_3gpuE4ELNS1_3repE0EEENS1_30default_config_static_selectorELNS0_4arch9wavefront6targetE1EEEvT1_,"axG",@progbits,_ZN7rocprim17ROCPRIM_400000_NS6detail17trampoline_kernelINS0_14default_configENS1_25partition_config_selectorILNS1_17partition_subalgoE0EjNS0_10empty_typeEbEEZZNS1_14partition_implILS5_0ELb0ES3_jN6thrust23THRUST_200600_302600_NS6detail15normal_iteratorINSA_10device_ptrIjEEEEPS6_SG_NS0_5tupleIJSF_SF_EEENSH_IJSG_SG_EEES6_PlJ7is_evenIjEEEE10hipError_tPvRmT3_T4_T5_T6_T7_T9_mT8_P12ihipStream_tbDpT10_ENKUlT_T0_E_clISt17integral_constantIbLb1EES15_IbLb0EEEEDaS11_S12_EUlS11_E_NS1_11comp_targetILNS1_3genE10ELNS1_11target_archE1200ELNS1_3gpuE4ELNS1_3repE0EEENS1_30default_config_static_selectorELNS0_4arch9wavefront6targetE1EEEvT1_,comdat
	.protected	_ZN7rocprim17ROCPRIM_400000_NS6detail17trampoline_kernelINS0_14default_configENS1_25partition_config_selectorILNS1_17partition_subalgoE0EjNS0_10empty_typeEbEEZZNS1_14partition_implILS5_0ELb0ES3_jN6thrust23THRUST_200600_302600_NS6detail15normal_iteratorINSA_10device_ptrIjEEEEPS6_SG_NS0_5tupleIJSF_SF_EEENSH_IJSG_SG_EEES6_PlJ7is_evenIjEEEE10hipError_tPvRmT3_T4_T5_T6_T7_T9_mT8_P12ihipStream_tbDpT10_ENKUlT_T0_E_clISt17integral_constantIbLb1EES15_IbLb0EEEEDaS11_S12_EUlS11_E_NS1_11comp_targetILNS1_3genE10ELNS1_11target_archE1200ELNS1_3gpuE4ELNS1_3repE0EEENS1_30default_config_static_selectorELNS0_4arch9wavefront6targetE1EEEvT1_ ; -- Begin function _ZN7rocprim17ROCPRIM_400000_NS6detail17trampoline_kernelINS0_14default_configENS1_25partition_config_selectorILNS1_17partition_subalgoE0EjNS0_10empty_typeEbEEZZNS1_14partition_implILS5_0ELb0ES3_jN6thrust23THRUST_200600_302600_NS6detail15normal_iteratorINSA_10device_ptrIjEEEEPS6_SG_NS0_5tupleIJSF_SF_EEENSH_IJSG_SG_EEES6_PlJ7is_evenIjEEEE10hipError_tPvRmT3_T4_T5_T6_T7_T9_mT8_P12ihipStream_tbDpT10_ENKUlT_T0_E_clISt17integral_constantIbLb1EES15_IbLb0EEEEDaS11_S12_EUlS11_E_NS1_11comp_targetILNS1_3genE10ELNS1_11target_archE1200ELNS1_3gpuE4ELNS1_3repE0EEENS1_30default_config_static_selectorELNS0_4arch9wavefront6targetE1EEEvT1_
	.globl	_ZN7rocprim17ROCPRIM_400000_NS6detail17trampoline_kernelINS0_14default_configENS1_25partition_config_selectorILNS1_17partition_subalgoE0EjNS0_10empty_typeEbEEZZNS1_14partition_implILS5_0ELb0ES3_jN6thrust23THRUST_200600_302600_NS6detail15normal_iteratorINSA_10device_ptrIjEEEEPS6_SG_NS0_5tupleIJSF_SF_EEENSH_IJSG_SG_EEES6_PlJ7is_evenIjEEEE10hipError_tPvRmT3_T4_T5_T6_T7_T9_mT8_P12ihipStream_tbDpT10_ENKUlT_T0_E_clISt17integral_constantIbLb1EES15_IbLb0EEEEDaS11_S12_EUlS11_E_NS1_11comp_targetILNS1_3genE10ELNS1_11target_archE1200ELNS1_3gpuE4ELNS1_3repE0EEENS1_30default_config_static_selectorELNS0_4arch9wavefront6targetE1EEEvT1_
	.p2align	8
	.type	_ZN7rocprim17ROCPRIM_400000_NS6detail17trampoline_kernelINS0_14default_configENS1_25partition_config_selectorILNS1_17partition_subalgoE0EjNS0_10empty_typeEbEEZZNS1_14partition_implILS5_0ELb0ES3_jN6thrust23THRUST_200600_302600_NS6detail15normal_iteratorINSA_10device_ptrIjEEEEPS6_SG_NS0_5tupleIJSF_SF_EEENSH_IJSG_SG_EEES6_PlJ7is_evenIjEEEE10hipError_tPvRmT3_T4_T5_T6_T7_T9_mT8_P12ihipStream_tbDpT10_ENKUlT_T0_E_clISt17integral_constantIbLb1EES15_IbLb0EEEEDaS11_S12_EUlS11_E_NS1_11comp_targetILNS1_3genE10ELNS1_11target_archE1200ELNS1_3gpuE4ELNS1_3repE0EEENS1_30default_config_static_selectorELNS0_4arch9wavefront6targetE1EEEvT1_,@function
_ZN7rocprim17ROCPRIM_400000_NS6detail17trampoline_kernelINS0_14default_configENS1_25partition_config_selectorILNS1_17partition_subalgoE0EjNS0_10empty_typeEbEEZZNS1_14partition_implILS5_0ELb0ES3_jN6thrust23THRUST_200600_302600_NS6detail15normal_iteratorINSA_10device_ptrIjEEEEPS6_SG_NS0_5tupleIJSF_SF_EEENSH_IJSG_SG_EEES6_PlJ7is_evenIjEEEE10hipError_tPvRmT3_T4_T5_T6_T7_T9_mT8_P12ihipStream_tbDpT10_ENKUlT_T0_E_clISt17integral_constantIbLb1EES15_IbLb0EEEEDaS11_S12_EUlS11_E_NS1_11comp_targetILNS1_3genE10ELNS1_11target_archE1200ELNS1_3gpuE4ELNS1_3repE0EEENS1_30default_config_static_selectorELNS0_4arch9wavefront6targetE1EEEvT1_: ; @_ZN7rocprim17ROCPRIM_400000_NS6detail17trampoline_kernelINS0_14default_configENS1_25partition_config_selectorILNS1_17partition_subalgoE0EjNS0_10empty_typeEbEEZZNS1_14partition_implILS5_0ELb0ES3_jN6thrust23THRUST_200600_302600_NS6detail15normal_iteratorINSA_10device_ptrIjEEEEPS6_SG_NS0_5tupleIJSF_SF_EEENSH_IJSG_SG_EEES6_PlJ7is_evenIjEEEE10hipError_tPvRmT3_T4_T5_T6_T7_T9_mT8_P12ihipStream_tbDpT10_ENKUlT_T0_E_clISt17integral_constantIbLb1EES15_IbLb0EEEEDaS11_S12_EUlS11_E_NS1_11comp_targetILNS1_3genE10ELNS1_11target_archE1200ELNS1_3gpuE4ELNS1_3repE0EEENS1_30default_config_static_selectorELNS0_4arch9wavefront6targetE1EEEvT1_
; %bb.0:
	.section	.rodata,"a",@progbits
	.p2align	6, 0x0
	.amdhsa_kernel _ZN7rocprim17ROCPRIM_400000_NS6detail17trampoline_kernelINS0_14default_configENS1_25partition_config_selectorILNS1_17partition_subalgoE0EjNS0_10empty_typeEbEEZZNS1_14partition_implILS5_0ELb0ES3_jN6thrust23THRUST_200600_302600_NS6detail15normal_iteratorINSA_10device_ptrIjEEEEPS6_SG_NS0_5tupleIJSF_SF_EEENSH_IJSG_SG_EEES6_PlJ7is_evenIjEEEE10hipError_tPvRmT3_T4_T5_T6_T7_T9_mT8_P12ihipStream_tbDpT10_ENKUlT_T0_E_clISt17integral_constantIbLb1EES15_IbLb0EEEEDaS11_S12_EUlS11_E_NS1_11comp_targetILNS1_3genE10ELNS1_11target_archE1200ELNS1_3gpuE4ELNS1_3repE0EEENS1_30default_config_static_selectorELNS0_4arch9wavefront6targetE1EEEvT1_
		.amdhsa_group_segment_fixed_size 0
		.amdhsa_private_segment_fixed_size 0
		.amdhsa_kernarg_size 120
		.amdhsa_user_sgpr_count 2
		.amdhsa_user_sgpr_dispatch_ptr 0
		.amdhsa_user_sgpr_queue_ptr 0
		.amdhsa_user_sgpr_kernarg_segment_ptr 1
		.amdhsa_user_sgpr_dispatch_id 0
		.amdhsa_user_sgpr_kernarg_preload_length 0
		.amdhsa_user_sgpr_kernarg_preload_offset 0
		.amdhsa_user_sgpr_private_segment_size 0
		.amdhsa_uses_dynamic_stack 0
		.amdhsa_enable_private_segment 0
		.amdhsa_system_sgpr_workgroup_id_x 1
		.amdhsa_system_sgpr_workgroup_id_y 0
		.amdhsa_system_sgpr_workgroup_id_z 0
		.amdhsa_system_sgpr_workgroup_info 0
		.amdhsa_system_vgpr_workitem_id 0
		.amdhsa_next_free_vgpr 1
		.amdhsa_next_free_sgpr 0
		.amdhsa_accum_offset 4
		.amdhsa_reserve_vcc 0
		.amdhsa_float_round_mode_32 0
		.amdhsa_float_round_mode_16_64 0
		.amdhsa_float_denorm_mode_32 3
		.amdhsa_float_denorm_mode_16_64 3
		.amdhsa_dx10_clamp 1
		.amdhsa_ieee_mode 1
		.amdhsa_fp16_overflow 0
		.amdhsa_tg_split 0
		.amdhsa_exception_fp_ieee_invalid_op 0
		.amdhsa_exception_fp_denorm_src 0
		.amdhsa_exception_fp_ieee_div_zero 0
		.amdhsa_exception_fp_ieee_overflow 0
		.amdhsa_exception_fp_ieee_underflow 0
		.amdhsa_exception_fp_ieee_inexact 0
		.amdhsa_exception_int_div_zero 0
	.end_amdhsa_kernel
	.section	.text._ZN7rocprim17ROCPRIM_400000_NS6detail17trampoline_kernelINS0_14default_configENS1_25partition_config_selectorILNS1_17partition_subalgoE0EjNS0_10empty_typeEbEEZZNS1_14partition_implILS5_0ELb0ES3_jN6thrust23THRUST_200600_302600_NS6detail15normal_iteratorINSA_10device_ptrIjEEEEPS6_SG_NS0_5tupleIJSF_SF_EEENSH_IJSG_SG_EEES6_PlJ7is_evenIjEEEE10hipError_tPvRmT3_T4_T5_T6_T7_T9_mT8_P12ihipStream_tbDpT10_ENKUlT_T0_E_clISt17integral_constantIbLb1EES15_IbLb0EEEEDaS11_S12_EUlS11_E_NS1_11comp_targetILNS1_3genE10ELNS1_11target_archE1200ELNS1_3gpuE4ELNS1_3repE0EEENS1_30default_config_static_selectorELNS0_4arch9wavefront6targetE1EEEvT1_,"axG",@progbits,_ZN7rocprim17ROCPRIM_400000_NS6detail17trampoline_kernelINS0_14default_configENS1_25partition_config_selectorILNS1_17partition_subalgoE0EjNS0_10empty_typeEbEEZZNS1_14partition_implILS5_0ELb0ES3_jN6thrust23THRUST_200600_302600_NS6detail15normal_iteratorINSA_10device_ptrIjEEEEPS6_SG_NS0_5tupleIJSF_SF_EEENSH_IJSG_SG_EEES6_PlJ7is_evenIjEEEE10hipError_tPvRmT3_T4_T5_T6_T7_T9_mT8_P12ihipStream_tbDpT10_ENKUlT_T0_E_clISt17integral_constantIbLb1EES15_IbLb0EEEEDaS11_S12_EUlS11_E_NS1_11comp_targetILNS1_3genE10ELNS1_11target_archE1200ELNS1_3gpuE4ELNS1_3repE0EEENS1_30default_config_static_selectorELNS0_4arch9wavefront6targetE1EEEvT1_,comdat
.Lfunc_end2158:
	.size	_ZN7rocprim17ROCPRIM_400000_NS6detail17trampoline_kernelINS0_14default_configENS1_25partition_config_selectorILNS1_17partition_subalgoE0EjNS0_10empty_typeEbEEZZNS1_14partition_implILS5_0ELb0ES3_jN6thrust23THRUST_200600_302600_NS6detail15normal_iteratorINSA_10device_ptrIjEEEEPS6_SG_NS0_5tupleIJSF_SF_EEENSH_IJSG_SG_EEES6_PlJ7is_evenIjEEEE10hipError_tPvRmT3_T4_T5_T6_T7_T9_mT8_P12ihipStream_tbDpT10_ENKUlT_T0_E_clISt17integral_constantIbLb1EES15_IbLb0EEEEDaS11_S12_EUlS11_E_NS1_11comp_targetILNS1_3genE10ELNS1_11target_archE1200ELNS1_3gpuE4ELNS1_3repE0EEENS1_30default_config_static_selectorELNS0_4arch9wavefront6targetE1EEEvT1_, .Lfunc_end2158-_ZN7rocprim17ROCPRIM_400000_NS6detail17trampoline_kernelINS0_14default_configENS1_25partition_config_selectorILNS1_17partition_subalgoE0EjNS0_10empty_typeEbEEZZNS1_14partition_implILS5_0ELb0ES3_jN6thrust23THRUST_200600_302600_NS6detail15normal_iteratorINSA_10device_ptrIjEEEEPS6_SG_NS0_5tupleIJSF_SF_EEENSH_IJSG_SG_EEES6_PlJ7is_evenIjEEEE10hipError_tPvRmT3_T4_T5_T6_T7_T9_mT8_P12ihipStream_tbDpT10_ENKUlT_T0_E_clISt17integral_constantIbLb1EES15_IbLb0EEEEDaS11_S12_EUlS11_E_NS1_11comp_targetILNS1_3genE10ELNS1_11target_archE1200ELNS1_3gpuE4ELNS1_3repE0EEENS1_30default_config_static_selectorELNS0_4arch9wavefront6targetE1EEEvT1_
                                        ; -- End function
	.section	.AMDGPU.csdata,"",@progbits
; Kernel info:
; codeLenInByte = 0
; NumSgprs: 6
; NumVgprs: 0
; NumAgprs: 0
; TotalNumVgprs: 0
; ScratchSize: 0
; MemoryBound: 0
; FloatMode: 240
; IeeeMode: 1
; LDSByteSize: 0 bytes/workgroup (compile time only)
; SGPRBlocks: 0
; VGPRBlocks: 0
; NumSGPRsForWavesPerEU: 6
; NumVGPRsForWavesPerEU: 1
; AccumOffset: 4
; Occupancy: 8
; WaveLimiterHint : 0
; COMPUTE_PGM_RSRC2:SCRATCH_EN: 0
; COMPUTE_PGM_RSRC2:USER_SGPR: 2
; COMPUTE_PGM_RSRC2:TRAP_HANDLER: 0
; COMPUTE_PGM_RSRC2:TGID_X_EN: 1
; COMPUTE_PGM_RSRC2:TGID_Y_EN: 0
; COMPUTE_PGM_RSRC2:TGID_Z_EN: 0
; COMPUTE_PGM_RSRC2:TIDIG_COMP_CNT: 0
; COMPUTE_PGM_RSRC3_GFX90A:ACCUM_OFFSET: 0
; COMPUTE_PGM_RSRC3_GFX90A:TG_SPLIT: 0
	.section	.text._ZN7rocprim17ROCPRIM_400000_NS6detail17trampoline_kernelINS0_14default_configENS1_25partition_config_selectorILNS1_17partition_subalgoE0EjNS0_10empty_typeEbEEZZNS1_14partition_implILS5_0ELb0ES3_jN6thrust23THRUST_200600_302600_NS6detail15normal_iteratorINSA_10device_ptrIjEEEEPS6_SG_NS0_5tupleIJSF_SF_EEENSH_IJSG_SG_EEES6_PlJ7is_evenIjEEEE10hipError_tPvRmT3_T4_T5_T6_T7_T9_mT8_P12ihipStream_tbDpT10_ENKUlT_T0_E_clISt17integral_constantIbLb1EES15_IbLb0EEEEDaS11_S12_EUlS11_E_NS1_11comp_targetILNS1_3genE9ELNS1_11target_archE1100ELNS1_3gpuE3ELNS1_3repE0EEENS1_30default_config_static_selectorELNS0_4arch9wavefront6targetE1EEEvT1_,"axG",@progbits,_ZN7rocprim17ROCPRIM_400000_NS6detail17trampoline_kernelINS0_14default_configENS1_25partition_config_selectorILNS1_17partition_subalgoE0EjNS0_10empty_typeEbEEZZNS1_14partition_implILS5_0ELb0ES3_jN6thrust23THRUST_200600_302600_NS6detail15normal_iteratorINSA_10device_ptrIjEEEEPS6_SG_NS0_5tupleIJSF_SF_EEENSH_IJSG_SG_EEES6_PlJ7is_evenIjEEEE10hipError_tPvRmT3_T4_T5_T6_T7_T9_mT8_P12ihipStream_tbDpT10_ENKUlT_T0_E_clISt17integral_constantIbLb1EES15_IbLb0EEEEDaS11_S12_EUlS11_E_NS1_11comp_targetILNS1_3genE9ELNS1_11target_archE1100ELNS1_3gpuE3ELNS1_3repE0EEENS1_30default_config_static_selectorELNS0_4arch9wavefront6targetE1EEEvT1_,comdat
	.protected	_ZN7rocprim17ROCPRIM_400000_NS6detail17trampoline_kernelINS0_14default_configENS1_25partition_config_selectorILNS1_17partition_subalgoE0EjNS0_10empty_typeEbEEZZNS1_14partition_implILS5_0ELb0ES3_jN6thrust23THRUST_200600_302600_NS6detail15normal_iteratorINSA_10device_ptrIjEEEEPS6_SG_NS0_5tupleIJSF_SF_EEENSH_IJSG_SG_EEES6_PlJ7is_evenIjEEEE10hipError_tPvRmT3_T4_T5_T6_T7_T9_mT8_P12ihipStream_tbDpT10_ENKUlT_T0_E_clISt17integral_constantIbLb1EES15_IbLb0EEEEDaS11_S12_EUlS11_E_NS1_11comp_targetILNS1_3genE9ELNS1_11target_archE1100ELNS1_3gpuE3ELNS1_3repE0EEENS1_30default_config_static_selectorELNS0_4arch9wavefront6targetE1EEEvT1_ ; -- Begin function _ZN7rocprim17ROCPRIM_400000_NS6detail17trampoline_kernelINS0_14default_configENS1_25partition_config_selectorILNS1_17partition_subalgoE0EjNS0_10empty_typeEbEEZZNS1_14partition_implILS5_0ELb0ES3_jN6thrust23THRUST_200600_302600_NS6detail15normal_iteratorINSA_10device_ptrIjEEEEPS6_SG_NS0_5tupleIJSF_SF_EEENSH_IJSG_SG_EEES6_PlJ7is_evenIjEEEE10hipError_tPvRmT3_T4_T5_T6_T7_T9_mT8_P12ihipStream_tbDpT10_ENKUlT_T0_E_clISt17integral_constantIbLb1EES15_IbLb0EEEEDaS11_S12_EUlS11_E_NS1_11comp_targetILNS1_3genE9ELNS1_11target_archE1100ELNS1_3gpuE3ELNS1_3repE0EEENS1_30default_config_static_selectorELNS0_4arch9wavefront6targetE1EEEvT1_
	.globl	_ZN7rocprim17ROCPRIM_400000_NS6detail17trampoline_kernelINS0_14default_configENS1_25partition_config_selectorILNS1_17partition_subalgoE0EjNS0_10empty_typeEbEEZZNS1_14partition_implILS5_0ELb0ES3_jN6thrust23THRUST_200600_302600_NS6detail15normal_iteratorINSA_10device_ptrIjEEEEPS6_SG_NS0_5tupleIJSF_SF_EEENSH_IJSG_SG_EEES6_PlJ7is_evenIjEEEE10hipError_tPvRmT3_T4_T5_T6_T7_T9_mT8_P12ihipStream_tbDpT10_ENKUlT_T0_E_clISt17integral_constantIbLb1EES15_IbLb0EEEEDaS11_S12_EUlS11_E_NS1_11comp_targetILNS1_3genE9ELNS1_11target_archE1100ELNS1_3gpuE3ELNS1_3repE0EEENS1_30default_config_static_selectorELNS0_4arch9wavefront6targetE1EEEvT1_
	.p2align	8
	.type	_ZN7rocprim17ROCPRIM_400000_NS6detail17trampoline_kernelINS0_14default_configENS1_25partition_config_selectorILNS1_17partition_subalgoE0EjNS0_10empty_typeEbEEZZNS1_14partition_implILS5_0ELb0ES3_jN6thrust23THRUST_200600_302600_NS6detail15normal_iteratorINSA_10device_ptrIjEEEEPS6_SG_NS0_5tupleIJSF_SF_EEENSH_IJSG_SG_EEES6_PlJ7is_evenIjEEEE10hipError_tPvRmT3_T4_T5_T6_T7_T9_mT8_P12ihipStream_tbDpT10_ENKUlT_T0_E_clISt17integral_constantIbLb1EES15_IbLb0EEEEDaS11_S12_EUlS11_E_NS1_11comp_targetILNS1_3genE9ELNS1_11target_archE1100ELNS1_3gpuE3ELNS1_3repE0EEENS1_30default_config_static_selectorELNS0_4arch9wavefront6targetE1EEEvT1_,@function
_ZN7rocprim17ROCPRIM_400000_NS6detail17trampoline_kernelINS0_14default_configENS1_25partition_config_selectorILNS1_17partition_subalgoE0EjNS0_10empty_typeEbEEZZNS1_14partition_implILS5_0ELb0ES3_jN6thrust23THRUST_200600_302600_NS6detail15normal_iteratorINSA_10device_ptrIjEEEEPS6_SG_NS0_5tupleIJSF_SF_EEENSH_IJSG_SG_EEES6_PlJ7is_evenIjEEEE10hipError_tPvRmT3_T4_T5_T6_T7_T9_mT8_P12ihipStream_tbDpT10_ENKUlT_T0_E_clISt17integral_constantIbLb1EES15_IbLb0EEEEDaS11_S12_EUlS11_E_NS1_11comp_targetILNS1_3genE9ELNS1_11target_archE1100ELNS1_3gpuE3ELNS1_3repE0EEENS1_30default_config_static_selectorELNS0_4arch9wavefront6targetE1EEEvT1_: ; @_ZN7rocprim17ROCPRIM_400000_NS6detail17trampoline_kernelINS0_14default_configENS1_25partition_config_selectorILNS1_17partition_subalgoE0EjNS0_10empty_typeEbEEZZNS1_14partition_implILS5_0ELb0ES3_jN6thrust23THRUST_200600_302600_NS6detail15normal_iteratorINSA_10device_ptrIjEEEEPS6_SG_NS0_5tupleIJSF_SF_EEENSH_IJSG_SG_EEES6_PlJ7is_evenIjEEEE10hipError_tPvRmT3_T4_T5_T6_T7_T9_mT8_P12ihipStream_tbDpT10_ENKUlT_T0_E_clISt17integral_constantIbLb1EES15_IbLb0EEEEDaS11_S12_EUlS11_E_NS1_11comp_targetILNS1_3genE9ELNS1_11target_archE1100ELNS1_3gpuE3ELNS1_3repE0EEENS1_30default_config_static_selectorELNS0_4arch9wavefront6targetE1EEEvT1_
; %bb.0:
	.section	.rodata,"a",@progbits
	.p2align	6, 0x0
	.amdhsa_kernel _ZN7rocprim17ROCPRIM_400000_NS6detail17trampoline_kernelINS0_14default_configENS1_25partition_config_selectorILNS1_17partition_subalgoE0EjNS0_10empty_typeEbEEZZNS1_14partition_implILS5_0ELb0ES3_jN6thrust23THRUST_200600_302600_NS6detail15normal_iteratorINSA_10device_ptrIjEEEEPS6_SG_NS0_5tupleIJSF_SF_EEENSH_IJSG_SG_EEES6_PlJ7is_evenIjEEEE10hipError_tPvRmT3_T4_T5_T6_T7_T9_mT8_P12ihipStream_tbDpT10_ENKUlT_T0_E_clISt17integral_constantIbLb1EES15_IbLb0EEEEDaS11_S12_EUlS11_E_NS1_11comp_targetILNS1_3genE9ELNS1_11target_archE1100ELNS1_3gpuE3ELNS1_3repE0EEENS1_30default_config_static_selectorELNS0_4arch9wavefront6targetE1EEEvT1_
		.amdhsa_group_segment_fixed_size 0
		.amdhsa_private_segment_fixed_size 0
		.amdhsa_kernarg_size 120
		.amdhsa_user_sgpr_count 2
		.amdhsa_user_sgpr_dispatch_ptr 0
		.amdhsa_user_sgpr_queue_ptr 0
		.amdhsa_user_sgpr_kernarg_segment_ptr 1
		.amdhsa_user_sgpr_dispatch_id 0
		.amdhsa_user_sgpr_kernarg_preload_length 0
		.amdhsa_user_sgpr_kernarg_preload_offset 0
		.amdhsa_user_sgpr_private_segment_size 0
		.amdhsa_uses_dynamic_stack 0
		.amdhsa_enable_private_segment 0
		.amdhsa_system_sgpr_workgroup_id_x 1
		.amdhsa_system_sgpr_workgroup_id_y 0
		.amdhsa_system_sgpr_workgroup_id_z 0
		.amdhsa_system_sgpr_workgroup_info 0
		.amdhsa_system_vgpr_workitem_id 0
		.amdhsa_next_free_vgpr 1
		.amdhsa_next_free_sgpr 0
		.amdhsa_accum_offset 4
		.amdhsa_reserve_vcc 0
		.amdhsa_float_round_mode_32 0
		.amdhsa_float_round_mode_16_64 0
		.amdhsa_float_denorm_mode_32 3
		.amdhsa_float_denorm_mode_16_64 3
		.amdhsa_dx10_clamp 1
		.amdhsa_ieee_mode 1
		.amdhsa_fp16_overflow 0
		.amdhsa_tg_split 0
		.amdhsa_exception_fp_ieee_invalid_op 0
		.amdhsa_exception_fp_denorm_src 0
		.amdhsa_exception_fp_ieee_div_zero 0
		.amdhsa_exception_fp_ieee_overflow 0
		.amdhsa_exception_fp_ieee_underflow 0
		.amdhsa_exception_fp_ieee_inexact 0
		.amdhsa_exception_int_div_zero 0
	.end_amdhsa_kernel
	.section	.text._ZN7rocprim17ROCPRIM_400000_NS6detail17trampoline_kernelINS0_14default_configENS1_25partition_config_selectorILNS1_17partition_subalgoE0EjNS0_10empty_typeEbEEZZNS1_14partition_implILS5_0ELb0ES3_jN6thrust23THRUST_200600_302600_NS6detail15normal_iteratorINSA_10device_ptrIjEEEEPS6_SG_NS0_5tupleIJSF_SF_EEENSH_IJSG_SG_EEES6_PlJ7is_evenIjEEEE10hipError_tPvRmT3_T4_T5_T6_T7_T9_mT8_P12ihipStream_tbDpT10_ENKUlT_T0_E_clISt17integral_constantIbLb1EES15_IbLb0EEEEDaS11_S12_EUlS11_E_NS1_11comp_targetILNS1_3genE9ELNS1_11target_archE1100ELNS1_3gpuE3ELNS1_3repE0EEENS1_30default_config_static_selectorELNS0_4arch9wavefront6targetE1EEEvT1_,"axG",@progbits,_ZN7rocprim17ROCPRIM_400000_NS6detail17trampoline_kernelINS0_14default_configENS1_25partition_config_selectorILNS1_17partition_subalgoE0EjNS0_10empty_typeEbEEZZNS1_14partition_implILS5_0ELb0ES3_jN6thrust23THRUST_200600_302600_NS6detail15normal_iteratorINSA_10device_ptrIjEEEEPS6_SG_NS0_5tupleIJSF_SF_EEENSH_IJSG_SG_EEES6_PlJ7is_evenIjEEEE10hipError_tPvRmT3_T4_T5_T6_T7_T9_mT8_P12ihipStream_tbDpT10_ENKUlT_T0_E_clISt17integral_constantIbLb1EES15_IbLb0EEEEDaS11_S12_EUlS11_E_NS1_11comp_targetILNS1_3genE9ELNS1_11target_archE1100ELNS1_3gpuE3ELNS1_3repE0EEENS1_30default_config_static_selectorELNS0_4arch9wavefront6targetE1EEEvT1_,comdat
.Lfunc_end2159:
	.size	_ZN7rocprim17ROCPRIM_400000_NS6detail17trampoline_kernelINS0_14default_configENS1_25partition_config_selectorILNS1_17partition_subalgoE0EjNS0_10empty_typeEbEEZZNS1_14partition_implILS5_0ELb0ES3_jN6thrust23THRUST_200600_302600_NS6detail15normal_iteratorINSA_10device_ptrIjEEEEPS6_SG_NS0_5tupleIJSF_SF_EEENSH_IJSG_SG_EEES6_PlJ7is_evenIjEEEE10hipError_tPvRmT3_T4_T5_T6_T7_T9_mT8_P12ihipStream_tbDpT10_ENKUlT_T0_E_clISt17integral_constantIbLb1EES15_IbLb0EEEEDaS11_S12_EUlS11_E_NS1_11comp_targetILNS1_3genE9ELNS1_11target_archE1100ELNS1_3gpuE3ELNS1_3repE0EEENS1_30default_config_static_selectorELNS0_4arch9wavefront6targetE1EEEvT1_, .Lfunc_end2159-_ZN7rocprim17ROCPRIM_400000_NS6detail17trampoline_kernelINS0_14default_configENS1_25partition_config_selectorILNS1_17partition_subalgoE0EjNS0_10empty_typeEbEEZZNS1_14partition_implILS5_0ELb0ES3_jN6thrust23THRUST_200600_302600_NS6detail15normal_iteratorINSA_10device_ptrIjEEEEPS6_SG_NS0_5tupleIJSF_SF_EEENSH_IJSG_SG_EEES6_PlJ7is_evenIjEEEE10hipError_tPvRmT3_T4_T5_T6_T7_T9_mT8_P12ihipStream_tbDpT10_ENKUlT_T0_E_clISt17integral_constantIbLb1EES15_IbLb0EEEEDaS11_S12_EUlS11_E_NS1_11comp_targetILNS1_3genE9ELNS1_11target_archE1100ELNS1_3gpuE3ELNS1_3repE0EEENS1_30default_config_static_selectorELNS0_4arch9wavefront6targetE1EEEvT1_
                                        ; -- End function
	.section	.AMDGPU.csdata,"",@progbits
; Kernel info:
; codeLenInByte = 0
; NumSgprs: 6
; NumVgprs: 0
; NumAgprs: 0
; TotalNumVgprs: 0
; ScratchSize: 0
; MemoryBound: 0
; FloatMode: 240
; IeeeMode: 1
; LDSByteSize: 0 bytes/workgroup (compile time only)
; SGPRBlocks: 0
; VGPRBlocks: 0
; NumSGPRsForWavesPerEU: 6
; NumVGPRsForWavesPerEU: 1
; AccumOffset: 4
; Occupancy: 8
; WaveLimiterHint : 0
; COMPUTE_PGM_RSRC2:SCRATCH_EN: 0
; COMPUTE_PGM_RSRC2:USER_SGPR: 2
; COMPUTE_PGM_RSRC2:TRAP_HANDLER: 0
; COMPUTE_PGM_RSRC2:TGID_X_EN: 1
; COMPUTE_PGM_RSRC2:TGID_Y_EN: 0
; COMPUTE_PGM_RSRC2:TGID_Z_EN: 0
; COMPUTE_PGM_RSRC2:TIDIG_COMP_CNT: 0
; COMPUTE_PGM_RSRC3_GFX90A:ACCUM_OFFSET: 0
; COMPUTE_PGM_RSRC3_GFX90A:TG_SPLIT: 0
	.section	.text._ZN7rocprim17ROCPRIM_400000_NS6detail17trampoline_kernelINS0_14default_configENS1_25partition_config_selectorILNS1_17partition_subalgoE0EjNS0_10empty_typeEbEEZZNS1_14partition_implILS5_0ELb0ES3_jN6thrust23THRUST_200600_302600_NS6detail15normal_iteratorINSA_10device_ptrIjEEEEPS6_SG_NS0_5tupleIJSF_SF_EEENSH_IJSG_SG_EEES6_PlJ7is_evenIjEEEE10hipError_tPvRmT3_T4_T5_T6_T7_T9_mT8_P12ihipStream_tbDpT10_ENKUlT_T0_E_clISt17integral_constantIbLb1EES15_IbLb0EEEEDaS11_S12_EUlS11_E_NS1_11comp_targetILNS1_3genE8ELNS1_11target_archE1030ELNS1_3gpuE2ELNS1_3repE0EEENS1_30default_config_static_selectorELNS0_4arch9wavefront6targetE1EEEvT1_,"axG",@progbits,_ZN7rocprim17ROCPRIM_400000_NS6detail17trampoline_kernelINS0_14default_configENS1_25partition_config_selectorILNS1_17partition_subalgoE0EjNS0_10empty_typeEbEEZZNS1_14partition_implILS5_0ELb0ES3_jN6thrust23THRUST_200600_302600_NS6detail15normal_iteratorINSA_10device_ptrIjEEEEPS6_SG_NS0_5tupleIJSF_SF_EEENSH_IJSG_SG_EEES6_PlJ7is_evenIjEEEE10hipError_tPvRmT3_T4_T5_T6_T7_T9_mT8_P12ihipStream_tbDpT10_ENKUlT_T0_E_clISt17integral_constantIbLb1EES15_IbLb0EEEEDaS11_S12_EUlS11_E_NS1_11comp_targetILNS1_3genE8ELNS1_11target_archE1030ELNS1_3gpuE2ELNS1_3repE0EEENS1_30default_config_static_selectorELNS0_4arch9wavefront6targetE1EEEvT1_,comdat
	.protected	_ZN7rocprim17ROCPRIM_400000_NS6detail17trampoline_kernelINS0_14default_configENS1_25partition_config_selectorILNS1_17partition_subalgoE0EjNS0_10empty_typeEbEEZZNS1_14partition_implILS5_0ELb0ES3_jN6thrust23THRUST_200600_302600_NS6detail15normal_iteratorINSA_10device_ptrIjEEEEPS6_SG_NS0_5tupleIJSF_SF_EEENSH_IJSG_SG_EEES6_PlJ7is_evenIjEEEE10hipError_tPvRmT3_T4_T5_T6_T7_T9_mT8_P12ihipStream_tbDpT10_ENKUlT_T0_E_clISt17integral_constantIbLb1EES15_IbLb0EEEEDaS11_S12_EUlS11_E_NS1_11comp_targetILNS1_3genE8ELNS1_11target_archE1030ELNS1_3gpuE2ELNS1_3repE0EEENS1_30default_config_static_selectorELNS0_4arch9wavefront6targetE1EEEvT1_ ; -- Begin function _ZN7rocprim17ROCPRIM_400000_NS6detail17trampoline_kernelINS0_14default_configENS1_25partition_config_selectorILNS1_17partition_subalgoE0EjNS0_10empty_typeEbEEZZNS1_14partition_implILS5_0ELb0ES3_jN6thrust23THRUST_200600_302600_NS6detail15normal_iteratorINSA_10device_ptrIjEEEEPS6_SG_NS0_5tupleIJSF_SF_EEENSH_IJSG_SG_EEES6_PlJ7is_evenIjEEEE10hipError_tPvRmT3_T4_T5_T6_T7_T9_mT8_P12ihipStream_tbDpT10_ENKUlT_T0_E_clISt17integral_constantIbLb1EES15_IbLb0EEEEDaS11_S12_EUlS11_E_NS1_11comp_targetILNS1_3genE8ELNS1_11target_archE1030ELNS1_3gpuE2ELNS1_3repE0EEENS1_30default_config_static_selectorELNS0_4arch9wavefront6targetE1EEEvT1_
	.globl	_ZN7rocprim17ROCPRIM_400000_NS6detail17trampoline_kernelINS0_14default_configENS1_25partition_config_selectorILNS1_17partition_subalgoE0EjNS0_10empty_typeEbEEZZNS1_14partition_implILS5_0ELb0ES3_jN6thrust23THRUST_200600_302600_NS6detail15normal_iteratorINSA_10device_ptrIjEEEEPS6_SG_NS0_5tupleIJSF_SF_EEENSH_IJSG_SG_EEES6_PlJ7is_evenIjEEEE10hipError_tPvRmT3_T4_T5_T6_T7_T9_mT8_P12ihipStream_tbDpT10_ENKUlT_T0_E_clISt17integral_constantIbLb1EES15_IbLb0EEEEDaS11_S12_EUlS11_E_NS1_11comp_targetILNS1_3genE8ELNS1_11target_archE1030ELNS1_3gpuE2ELNS1_3repE0EEENS1_30default_config_static_selectorELNS0_4arch9wavefront6targetE1EEEvT1_
	.p2align	8
	.type	_ZN7rocprim17ROCPRIM_400000_NS6detail17trampoline_kernelINS0_14default_configENS1_25partition_config_selectorILNS1_17partition_subalgoE0EjNS0_10empty_typeEbEEZZNS1_14partition_implILS5_0ELb0ES3_jN6thrust23THRUST_200600_302600_NS6detail15normal_iteratorINSA_10device_ptrIjEEEEPS6_SG_NS0_5tupleIJSF_SF_EEENSH_IJSG_SG_EEES6_PlJ7is_evenIjEEEE10hipError_tPvRmT3_T4_T5_T6_T7_T9_mT8_P12ihipStream_tbDpT10_ENKUlT_T0_E_clISt17integral_constantIbLb1EES15_IbLb0EEEEDaS11_S12_EUlS11_E_NS1_11comp_targetILNS1_3genE8ELNS1_11target_archE1030ELNS1_3gpuE2ELNS1_3repE0EEENS1_30default_config_static_selectorELNS0_4arch9wavefront6targetE1EEEvT1_,@function
_ZN7rocprim17ROCPRIM_400000_NS6detail17trampoline_kernelINS0_14default_configENS1_25partition_config_selectorILNS1_17partition_subalgoE0EjNS0_10empty_typeEbEEZZNS1_14partition_implILS5_0ELb0ES3_jN6thrust23THRUST_200600_302600_NS6detail15normal_iteratorINSA_10device_ptrIjEEEEPS6_SG_NS0_5tupleIJSF_SF_EEENSH_IJSG_SG_EEES6_PlJ7is_evenIjEEEE10hipError_tPvRmT3_T4_T5_T6_T7_T9_mT8_P12ihipStream_tbDpT10_ENKUlT_T0_E_clISt17integral_constantIbLb1EES15_IbLb0EEEEDaS11_S12_EUlS11_E_NS1_11comp_targetILNS1_3genE8ELNS1_11target_archE1030ELNS1_3gpuE2ELNS1_3repE0EEENS1_30default_config_static_selectorELNS0_4arch9wavefront6targetE1EEEvT1_: ; @_ZN7rocprim17ROCPRIM_400000_NS6detail17trampoline_kernelINS0_14default_configENS1_25partition_config_selectorILNS1_17partition_subalgoE0EjNS0_10empty_typeEbEEZZNS1_14partition_implILS5_0ELb0ES3_jN6thrust23THRUST_200600_302600_NS6detail15normal_iteratorINSA_10device_ptrIjEEEEPS6_SG_NS0_5tupleIJSF_SF_EEENSH_IJSG_SG_EEES6_PlJ7is_evenIjEEEE10hipError_tPvRmT3_T4_T5_T6_T7_T9_mT8_P12ihipStream_tbDpT10_ENKUlT_T0_E_clISt17integral_constantIbLb1EES15_IbLb0EEEEDaS11_S12_EUlS11_E_NS1_11comp_targetILNS1_3genE8ELNS1_11target_archE1030ELNS1_3gpuE2ELNS1_3repE0EEENS1_30default_config_static_selectorELNS0_4arch9wavefront6targetE1EEEvT1_
; %bb.0:
	.section	.rodata,"a",@progbits
	.p2align	6, 0x0
	.amdhsa_kernel _ZN7rocprim17ROCPRIM_400000_NS6detail17trampoline_kernelINS0_14default_configENS1_25partition_config_selectorILNS1_17partition_subalgoE0EjNS0_10empty_typeEbEEZZNS1_14partition_implILS5_0ELb0ES3_jN6thrust23THRUST_200600_302600_NS6detail15normal_iteratorINSA_10device_ptrIjEEEEPS6_SG_NS0_5tupleIJSF_SF_EEENSH_IJSG_SG_EEES6_PlJ7is_evenIjEEEE10hipError_tPvRmT3_T4_T5_T6_T7_T9_mT8_P12ihipStream_tbDpT10_ENKUlT_T0_E_clISt17integral_constantIbLb1EES15_IbLb0EEEEDaS11_S12_EUlS11_E_NS1_11comp_targetILNS1_3genE8ELNS1_11target_archE1030ELNS1_3gpuE2ELNS1_3repE0EEENS1_30default_config_static_selectorELNS0_4arch9wavefront6targetE1EEEvT1_
		.amdhsa_group_segment_fixed_size 0
		.amdhsa_private_segment_fixed_size 0
		.amdhsa_kernarg_size 120
		.amdhsa_user_sgpr_count 2
		.amdhsa_user_sgpr_dispatch_ptr 0
		.amdhsa_user_sgpr_queue_ptr 0
		.amdhsa_user_sgpr_kernarg_segment_ptr 1
		.amdhsa_user_sgpr_dispatch_id 0
		.amdhsa_user_sgpr_kernarg_preload_length 0
		.amdhsa_user_sgpr_kernarg_preload_offset 0
		.amdhsa_user_sgpr_private_segment_size 0
		.amdhsa_uses_dynamic_stack 0
		.amdhsa_enable_private_segment 0
		.amdhsa_system_sgpr_workgroup_id_x 1
		.amdhsa_system_sgpr_workgroup_id_y 0
		.amdhsa_system_sgpr_workgroup_id_z 0
		.amdhsa_system_sgpr_workgroup_info 0
		.amdhsa_system_vgpr_workitem_id 0
		.amdhsa_next_free_vgpr 1
		.amdhsa_next_free_sgpr 0
		.amdhsa_accum_offset 4
		.amdhsa_reserve_vcc 0
		.amdhsa_float_round_mode_32 0
		.amdhsa_float_round_mode_16_64 0
		.amdhsa_float_denorm_mode_32 3
		.amdhsa_float_denorm_mode_16_64 3
		.amdhsa_dx10_clamp 1
		.amdhsa_ieee_mode 1
		.amdhsa_fp16_overflow 0
		.amdhsa_tg_split 0
		.amdhsa_exception_fp_ieee_invalid_op 0
		.amdhsa_exception_fp_denorm_src 0
		.amdhsa_exception_fp_ieee_div_zero 0
		.amdhsa_exception_fp_ieee_overflow 0
		.amdhsa_exception_fp_ieee_underflow 0
		.amdhsa_exception_fp_ieee_inexact 0
		.amdhsa_exception_int_div_zero 0
	.end_amdhsa_kernel
	.section	.text._ZN7rocprim17ROCPRIM_400000_NS6detail17trampoline_kernelINS0_14default_configENS1_25partition_config_selectorILNS1_17partition_subalgoE0EjNS0_10empty_typeEbEEZZNS1_14partition_implILS5_0ELb0ES3_jN6thrust23THRUST_200600_302600_NS6detail15normal_iteratorINSA_10device_ptrIjEEEEPS6_SG_NS0_5tupleIJSF_SF_EEENSH_IJSG_SG_EEES6_PlJ7is_evenIjEEEE10hipError_tPvRmT3_T4_T5_T6_T7_T9_mT8_P12ihipStream_tbDpT10_ENKUlT_T0_E_clISt17integral_constantIbLb1EES15_IbLb0EEEEDaS11_S12_EUlS11_E_NS1_11comp_targetILNS1_3genE8ELNS1_11target_archE1030ELNS1_3gpuE2ELNS1_3repE0EEENS1_30default_config_static_selectorELNS0_4arch9wavefront6targetE1EEEvT1_,"axG",@progbits,_ZN7rocprim17ROCPRIM_400000_NS6detail17trampoline_kernelINS0_14default_configENS1_25partition_config_selectorILNS1_17partition_subalgoE0EjNS0_10empty_typeEbEEZZNS1_14partition_implILS5_0ELb0ES3_jN6thrust23THRUST_200600_302600_NS6detail15normal_iteratorINSA_10device_ptrIjEEEEPS6_SG_NS0_5tupleIJSF_SF_EEENSH_IJSG_SG_EEES6_PlJ7is_evenIjEEEE10hipError_tPvRmT3_T4_T5_T6_T7_T9_mT8_P12ihipStream_tbDpT10_ENKUlT_T0_E_clISt17integral_constantIbLb1EES15_IbLb0EEEEDaS11_S12_EUlS11_E_NS1_11comp_targetILNS1_3genE8ELNS1_11target_archE1030ELNS1_3gpuE2ELNS1_3repE0EEENS1_30default_config_static_selectorELNS0_4arch9wavefront6targetE1EEEvT1_,comdat
.Lfunc_end2160:
	.size	_ZN7rocprim17ROCPRIM_400000_NS6detail17trampoline_kernelINS0_14default_configENS1_25partition_config_selectorILNS1_17partition_subalgoE0EjNS0_10empty_typeEbEEZZNS1_14partition_implILS5_0ELb0ES3_jN6thrust23THRUST_200600_302600_NS6detail15normal_iteratorINSA_10device_ptrIjEEEEPS6_SG_NS0_5tupleIJSF_SF_EEENSH_IJSG_SG_EEES6_PlJ7is_evenIjEEEE10hipError_tPvRmT3_T4_T5_T6_T7_T9_mT8_P12ihipStream_tbDpT10_ENKUlT_T0_E_clISt17integral_constantIbLb1EES15_IbLb0EEEEDaS11_S12_EUlS11_E_NS1_11comp_targetILNS1_3genE8ELNS1_11target_archE1030ELNS1_3gpuE2ELNS1_3repE0EEENS1_30default_config_static_selectorELNS0_4arch9wavefront6targetE1EEEvT1_, .Lfunc_end2160-_ZN7rocprim17ROCPRIM_400000_NS6detail17trampoline_kernelINS0_14default_configENS1_25partition_config_selectorILNS1_17partition_subalgoE0EjNS0_10empty_typeEbEEZZNS1_14partition_implILS5_0ELb0ES3_jN6thrust23THRUST_200600_302600_NS6detail15normal_iteratorINSA_10device_ptrIjEEEEPS6_SG_NS0_5tupleIJSF_SF_EEENSH_IJSG_SG_EEES6_PlJ7is_evenIjEEEE10hipError_tPvRmT3_T4_T5_T6_T7_T9_mT8_P12ihipStream_tbDpT10_ENKUlT_T0_E_clISt17integral_constantIbLb1EES15_IbLb0EEEEDaS11_S12_EUlS11_E_NS1_11comp_targetILNS1_3genE8ELNS1_11target_archE1030ELNS1_3gpuE2ELNS1_3repE0EEENS1_30default_config_static_selectorELNS0_4arch9wavefront6targetE1EEEvT1_
                                        ; -- End function
	.section	.AMDGPU.csdata,"",@progbits
; Kernel info:
; codeLenInByte = 0
; NumSgprs: 6
; NumVgprs: 0
; NumAgprs: 0
; TotalNumVgprs: 0
; ScratchSize: 0
; MemoryBound: 0
; FloatMode: 240
; IeeeMode: 1
; LDSByteSize: 0 bytes/workgroup (compile time only)
; SGPRBlocks: 0
; VGPRBlocks: 0
; NumSGPRsForWavesPerEU: 6
; NumVGPRsForWavesPerEU: 1
; AccumOffset: 4
; Occupancy: 8
; WaveLimiterHint : 0
; COMPUTE_PGM_RSRC2:SCRATCH_EN: 0
; COMPUTE_PGM_RSRC2:USER_SGPR: 2
; COMPUTE_PGM_RSRC2:TRAP_HANDLER: 0
; COMPUTE_PGM_RSRC2:TGID_X_EN: 1
; COMPUTE_PGM_RSRC2:TGID_Y_EN: 0
; COMPUTE_PGM_RSRC2:TGID_Z_EN: 0
; COMPUTE_PGM_RSRC2:TIDIG_COMP_CNT: 0
; COMPUTE_PGM_RSRC3_GFX90A:ACCUM_OFFSET: 0
; COMPUTE_PGM_RSRC3_GFX90A:TG_SPLIT: 0
	.section	.text._ZN7rocprim17ROCPRIM_400000_NS6detail17trampoline_kernelINS0_14default_configENS1_25partition_config_selectorILNS1_17partition_subalgoE0EjNS0_10empty_typeEbEEZZNS1_14partition_implILS5_0ELb0ES3_jN6thrust23THRUST_200600_302600_NS6detail15normal_iteratorINSA_10device_ptrIjEEEEPS6_SG_NS0_5tupleIJSF_SF_EEENSH_IJSG_SG_EEES6_PlJ7is_evenIjEEEE10hipError_tPvRmT3_T4_T5_T6_T7_T9_mT8_P12ihipStream_tbDpT10_ENKUlT_T0_E_clISt17integral_constantIbLb0EES15_IbLb1EEEEDaS11_S12_EUlS11_E_NS1_11comp_targetILNS1_3genE0ELNS1_11target_archE4294967295ELNS1_3gpuE0ELNS1_3repE0EEENS1_30default_config_static_selectorELNS0_4arch9wavefront6targetE1EEEvT1_,"axG",@progbits,_ZN7rocprim17ROCPRIM_400000_NS6detail17trampoline_kernelINS0_14default_configENS1_25partition_config_selectorILNS1_17partition_subalgoE0EjNS0_10empty_typeEbEEZZNS1_14partition_implILS5_0ELb0ES3_jN6thrust23THRUST_200600_302600_NS6detail15normal_iteratorINSA_10device_ptrIjEEEEPS6_SG_NS0_5tupleIJSF_SF_EEENSH_IJSG_SG_EEES6_PlJ7is_evenIjEEEE10hipError_tPvRmT3_T4_T5_T6_T7_T9_mT8_P12ihipStream_tbDpT10_ENKUlT_T0_E_clISt17integral_constantIbLb0EES15_IbLb1EEEEDaS11_S12_EUlS11_E_NS1_11comp_targetILNS1_3genE0ELNS1_11target_archE4294967295ELNS1_3gpuE0ELNS1_3repE0EEENS1_30default_config_static_selectorELNS0_4arch9wavefront6targetE1EEEvT1_,comdat
	.protected	_ZN7rocprim17ROCPRIM_400000_NS6detail17trampoline_kernelINS0_14default_configENS1_25partition_config_selectorILNS1_17partition_subalgoE0EjNS0_10empty_typeEbEEZZNS1_14partition_implILS5_0ELb0ES3_jN6thrust23THRUST_200600_302600_NS6detail15normal_iteratorINSA_10device_ptrIjEEEEPS6_SG_NS0_5tupleIJSF_SF_EEENSH_IJSG_SG_EEES6_PlJ7is_evenIjEEEE10hipError_tPvRmT3_T4_T5_T6_T7_T9_mT8_P12ihipStream_tbDpT10_ENKUlT_T0_E_clISt17integral_constantIbLb0EES15_IbLb1EEEEDaS11_S12_EUlS11_E_NS1_11comp_targetILNS1_3genE0ELNS1_11target_archE4294967295ELNS1_3gpuE0ELNS1_3repE0EEENS1_30default_config_static_selectorELNS0_4arch9wavefront6targetE1EEEvT1_ ; -- Begin function _ZN7rocprim17ROCPRIM_400000_NS6detail17trampoline_kernelINS0_14default_configENS1_25partition_config_selectorILNS1_17partition_subalgoE0EjNS0_10empty_typeEbEEZZNS1_14partition_implILS5_0ELb0ES3_jN6thrust23THRUST_200600_302600_NS6detail15normal_iteratorINSA_10device_ptrIjEEEEPS6_SG_NS0_5tupleIJSF_SF_EEENSH_IJSG_SG_EEES6_PlJ7is_evenIjEEEE10hipError_tPvRmT3_T4_T5_T6_T7_T9_mT8_P12ihipStream_tbDpT10_ENKUlT_T0_E_clISt17integral_constantIbLb0EES15_IbLb1EEEEDaS11_S12_EUlS11_E_NS1_11comp_targetILNS1_3genE0ELNS1_11target_archE4294967295ELNS1_3gpuE0ELNS1_3repE0EEENS1_30default_config_static_selectorELNS0_4arch9wavefront6targetE1EEEvT1_
	.globl	_ZN7rocprim17ROCPRIM_400000_NS6detail17trampoline_kernelINS0_14default_configENS1_25partition_config_selectorILNS1_17partition_subalgoE0EjNS0_10empty_typeEbEEZZNS1_14partition_implILS5_0ELb0ES3_jN6thrust23THRUST_200600_302600_NS6detail15normal_iteratorINSA_10device_ptrIjEEEEPS6_SG_NS0_5tupleIJSF_SF_EEENSH_IJSG_SG_EEES6_PlJ7is_evenIjEEEE10hipError_tPvRmT3_T4_T5_T6_T7_T9_mT8_P12ihipStream_tbDpT10_ENKUlT_T0_E_clISt17integral_constantIbLb0EES15_IbLb1EEEEDaS11_S12_EUlS11_E_NS1_11comp_targetILNS1_3genE0ELNS1_11target_archE4294967295ELNS1_3gpuE0ELNS1_3repE0EEENS1_30default_config_static_selectorELNS0_4arch9wavefront6targetE1EEEvT1_
	.p2align	8
	.type	_ZN7rocprim17ROCPRIM_400000_NS6detail17trampoline_kernelINS0_14default_configENS1_25partition_config_selectorILNS1_17partition_subalgoE0EjNS0_10empty_typeEbEEZZNS1_14partition_implILS5_0ELb0ES3_jN6thrust23THRUST_200600_302600_NS6detail15normal_iteratorINSA_10device_ptrIjEEEEPS6_SG_NS0_5tupleIJSF_SF_EEENSH_IJSG_SG_EEES6_PlJ7is_evenIjEEEE10hipError_tPvRmT3_T4_T5_T6_T7_T9_mT8_P12ihipStream_tbDpT10_ENKUlT_T0_E_clISt17integral_constantIbLb0EES15_IbLb1EEEEDaS11_S12_EUlS11_E_NS1_11comp_targetILNS1_3genE0ELNS1_11target_archE4294967295ELNS1_3gpuE0ELNS1_3repE0EEENS1_30default_config_static_selectorELNS0_4arch9wavefront6targetE1EEEvT1_,@function
_ZN7rocprim17ROCPRIM_400000_NS6detail17trampoline_kernelINS0_14default_configENS1_25partition_config_selectorILNS1_17partition_subalgoE0EjNS0_10empty_typeEbEEZZNS1_14partition_implILS5_0ELb0ES3_jN6thrust23THRUST_200600_302600_NS6detail15normal_iteratorINSA_10device_ptrIjEEEEPS6_SG_NS0_5tupleIJSF_SF_EEENSH_IJSG_SG_EEES6_PlJ7is_evenIjEEEE10hipError_tPvRmT3_T4_T5_T6_T7_T9_mT8_P12ihipStream_tbDpT10_ENKUlT_T0_E_clISt17integral_constantIbLb0EES15_IbLb1EEEEDaS11_S12_EUlS11_E_NS1_11comp_targetILNS1_3genE0ELNS1_11target_archE4294967295ELNS1_3gpuE0ELNS1_3repE0EEENS1_30default_config_static_selectorELNS0_4arch9wavefront6targetE1EEEvT1_: ; @_ZN7rocprim17ROCPRIM_400000_NS6detail17trampoline_kernelINS0_14default_configENS1_25partition_config_selectorILNS1_17partition_subalgoE0EjNS0_10empty_typeEbEEZZNS1_14partition_implILS5_0ELb0ES3_jN6thrust23THRUST_200600_302600_NS6detail15normal_iteratorINSA_10device_ptrIjEEEEPS6_SG_NS0_5tupleIJSF_SF_EEENSH_IJSG_SG_EEES6_PlJ7is_evenIjEEEE10hipError_tPvRmT3_T4_T5_T6_T7_T9_mT8_P12ihipStream_tbDpT10_ENKUlT_T0_E_clISt17integral_constantIbLb0EES15_IbLb1EEEEDaS11_S12_EUlS11_E_NS1_11comp_targetILNS1_3genE0ELNS1_11target_archE4294967295ELNS1_3gpuE0ELNS1_3repE0EEENS1_30default_config_static_selectorELNS0_4arch9wavefront6targetE1EEEvT1_
; %bb.0:
	.section	.rodata,"a",@progbits
	.p2align	6, 0x0
	.amdhsa_kernel _ZN7rocprim17ROCPRIM_400000_NS6detail17trampoline_kernelINS0_14default_configENS1_25partition_config_selectorILNS1_17partition_subalgoE0EjNS0_10empty_typeEbEEZZNS1_14partition_implILS5_0ELb0ES3_jN6thrust23THRUST_200600_302600_NS6detail15normal_iteratorINSA_10device_ptrIjEEEEPS6_SG_NS0_5tupleIJSF_SF_EEENSH_IJSG_SG_EEES6_PlJ7is_evenIjEEEE10hipError_tPvRmT3_T4_T5_T6_T7_T9_mT8_P12ihipStream_tbDpT10_ENKUlT_T0_E_clISt17integral_constantIbLb0EES15_IbLb1EEEEDaS11_S12_EUlS11_E_NS1_11comp_targetILNS1_3genE0ELNS1_11target_archE4294967295ELNS1_3gpuE0ELNS1_3repE0EEENS1_30default_config_static_selectorELNS0_4arch9wavefront6targetE1EEEvT1_
		.amdhsa_group_segment_fixed_size 0
		.amdhsa_private_segment_fixed_size 0
		.amdhsa_kernarg_size 136
		.amdhsa_user_sgpr_count 2
		.amdhsa_user_sgpr_dispatch_ptr 0
		.amdhsa_user_sgpr_queue_ptr 0
		.amdhsa_user_sgpr_kernarg_segment_ptr 1
		.amdhsa_user_sgpr_dispatch_id 0
		.amdhsa_user_sgpr_kernarg_preload_length 0
		.amdhsa_user_sgpr_kernarg_preload_offset 0
		.amdhsa_user_sgpr_private_segment_size 0
		.amdhsa_uses_dynamic_stack 0
		.amdhsa_enable_private_segment 0
		.amdhsa_system_sgpr_workgroup_id_x 1
		.amdhsa_system_sgpr_workgroup_id_y 0
		.amdhsa_system_sgpr_workgroup_id_z 0
		.amdhsa_system_sgpr_workgroup_info 0
		.amdhsa_system_vgpr_workitem_id 0
		.amdhsa_next_free_vgpr 1
		.amdhsa_next_free_sgpr 0
		.amdhsa_accum_offset 4
		.amdhsa_reserve_vcc 0
		.amdhsa_float_round_mode_32 0
		.amdhsa_float_round_mode_16_64 0
		.amdhsa_float_denorm_mode_32 3
		.amdhsa_float_denorm_mode_16_64 3
		.amdhsa_dx10_clamp 1
		.amdhsa_ieee_mode 1
		.amdhsa_fp16_overflow 0
		.amdhsa_tg_split 0
		.amdhsa_exception_fp_ieee_invalid_op 0
		.amdhsa_exception_fp_denorm_src 0
		.amdhsa_exception_fp_ieee_div_zero 0
		.amdhsa_exception_fp_ieee_overflow 0
		.amdhsa_exception_fp_ieee_underflow 0
		.amdhsa_exception_fp_ieee_inexact 0
		.amdhsa_exception_int_div_zero 0
	.end_amdhsa_kernel
	.section	.text._ZN7rocprim17ROCPRIM_400000_NS6detail17trampoline_kernelINS0_14default_configENS1_25partition_config_selectorILNS1_17partition_subalgoE0EjNS0_10empty_typeEbEEZZNS1_14partition_implILS5_0ELb0ES3_jN6thrust23THRUST_200600_302600_NS6detail15normal_iteratorINSA_10device_ptrIjEEEEPS6_SG_NS0_5tupleIJSF_SF_EEENSH_IJSG_SG_EEES6_PlJ7is_evenIjEEEE10hipError_tPvRmT3_T4_T5_T6_T7_T9_mT8_P12ihipStream_tbDpT10_ENKUlT_T0_E_clISt17integral_constantIbLb0EES15_IbLb1EEEEDaS11_S12_EUlS11_E_NS1_11comp_targetILNS1_3genE0ELNS1_11target_archE4294967295ELNS1_3gpuE0ELNS1_3repE0EEENS1_30default_config_static_selectorELNS0_4arch9wavefront6targetE1EEEvT1_,"axG",@progbits,_ZN7rocprim17ROCPRIM_400000_NS6detail17trampoline_kernelINS0_14default_configENS1_25partition_config_selectorILNS1_17partition_subalgoE0EjNS0_10empty_typeEbEEZZNS1_14partition_implILS5_0ELb0ES3_jN6thrust23THRUST_200600_302600_NS6detail15normal_iteratorINSA_10device_ptrIjEEEEPS6_SG_NS0_5tupleIJSF_SF_EEENSH_IJSG_SG_EEES6_PlJ7is_evenIjEEEE10hipError_tPvRmT3_T4_T5_T6_T7_T9_mT8_P12ihipStream_tbDpT10_ENKUlT_T0_E_clISt17integral_constantIbLb0EES15_IbLb1EEEEDaS11_S12_EUlS11_E_NS1_11comp_targetILNS1_3genE0ELNS1_11target_archE4294967295ELNS1_3gpuE0ELNS1_3repE0EEENS1_30default_config_static_selectorELNS0_4arch9wavefront6targetE1EEEvT1_,comdat
.Lfunc_end2161:
	.size	_ZN7rocprim17ROCPRIM_400000_NS6detail17trampoline_kernelINS0_14default_configENS1_25partition_config_selectorILNS1_17partition_subalgoE0EjNS0_10empty_typeEbEEZZNS1_14partition_implILS5_0ELb0ES3_jN6thrust23THRUST_200600_302600_NS6detail15normal_iteratorINSA_10device_ptrIjEEEEPS6_SG_NS0_5tupleIJSF_SF_EEENSH_IJSG_SG_EEES6_PlJ7is_evenIjEEEE10hipError_tPvRmT3_T4_T5_T6_T7_T9_mT8_P12ihipStream_tbDpT10_ENKUlT_T0_E_clISt17integral_constantIbLb0EES15_IbLb1EEEEDaS11_S12_EUlS11_E_NS1_11comp_targetILNS1_3genE0ELNS1_11target_archE4294967295ELNS1_3gpuE0ELNS1_3repE0EEENS1_30default_config_static_selectorELNS0_4arch9wavefront6targetE1EEEvT1_, .Lfunc_end2161-_ZN7rocprim17ROCPRIM_400000_NS6detail17trampoline_kernelINS0_14default_configENS1_25partition_config_selectorILNS1_17partition_subalgoE0EjNS0_10empty_typeEbEEZZNS1_14partition_implILS5_0ELb0ES3_jN6thrust23THRUST_200600_302600_NS6detail15normal_iteratorINSA_10device_ptrIjEEEEPS6_SG_NS0_5tupleIJSF_SF_EEENSH_IJSG_SG_EEES6_PlJ7is_evenIjEEEE10hipError_tPvRmT3_T4_T5_T6_T7_T9_mT8_P12ihipStream_tbDpT10_ENKUlT_T0_E_clISt17integral_constantIbLb0EES15_IbLb1EEEEDaS11_S12_EUlS11_E_NS1_11comp_targetILNS1_3genE0ELNS1_11target_archE4294967295ELNS1_3gpuE0ELNS1_3repE0EEENS1_30default_config_static_selectorELNS0_4arch9wavefront6targetE1EEEvT1_
                                        ; -- End function
	.section	.AMDGPU.csdata,"",@progbits
; Kernel info:
; codeLenInByte = 0
; NumSgprs: 6
; NumVgprs: 0
; NumAgprs: 0
; TotalNumVgprs: 0
; ScratchSize: 0
; MemoryBound: 0
; FloatMode: 240
; IeeeMode: 1
; LDSByteSize: 0 bytes/workgroup (compile time only)
; SGPRBlocks: 0
; VGPRBlocks: 0
; NumSGPRsForWavesPerEU: 6
; NumVGPRsForWavesPerEU: 1
; AccumOffset: 4
; Occupancy: 8
; WaveLimiterHint : 0
; COMPUTE_PGM_RSRC2:SCRATCH_EN: 0
; COMPUTE_PGM_RSRC2:USER_SGPR: 2
; COMPUTE_PGM_RSRC2:TRAP_HANDLER: 0
; COMPUTE_PGM_RSRC2:TGID_X_EN: 1
; COMPUTE_PGM_RSRC2:TGID_Y_EN: 0
; COMPUTE_PGM_RSRC2:TGID_Z_EN: 0
; COMPUTE_PGM_RSRC2:TIDIG_COMP_CNT: 0
; COMPUTE_PGM_RSRC3_GFX90A:ACCUM_OFFSET: 0
; COMPUTE_PGM_RSRC3_GFX90A:TG_SPLIT: 0
	.section	.text._ZN7rocprim17ROCPRIM_400000_NS6detail17trampoline_kernelINS0_14default_configENS1_25partition_config_selectorILNS1_17partition_subalgoE0EjNS0_10empty_typeEbEEZZNS1_14partition_implILS5_0ELb0ES3_jN6thrust23THRUST_200600_302600_NS6detail15normal_iteratorINSA_10device_ptrIjEEEEPS6_SG_NS0_5tupleIJSF_SF_EEENSH_IJSG_SG_EEES6_PlJ7is_evenIjEEEE10hipError_tPvRmT3_T4_T5_T6_T7_T9_mT8_P12ihipStream_tbDpT10_ENKUlT_T0_E_clISt17integral_constantIbLb0EES15_IbLb1EEEEDaS11_S12_EUlS11_E_NS1_11comp_targetILNS1_3genE5ELNS1_11target_archE942ELNS1_3gpuE9ELNS1_3repE0EEENS1_30default_config_static_selectorELNS0_4arch9wavefront6targetE1EEEvT1_,"axG",@progbits,_ZN7rocprim17ROCPRIM_400000_NS6detail17trampoline_kernelINS0_14default_configENS1_25partition_config_selectorILNS1_17partition_subalgoE0EjNS0_10empty_typeEbEEZZNS1_14partition_implILS5_0ELb0ES3_jN6thrust23THRUST_200600_302600_NS6detail15normal_iteratorINSA_10device_ptrIjEEEEPS6_SG_NS0_5tupleIJSF_SF_EEENSH_IJSG_SG_EEES6_PlJ7is_evenIjEEEE10hipError_tPvRmT3_T4_T5_T6_T7_T9_mT8_P12ihipStream_tbDpT10_ENKUlT_T0_E_clISt17integral_constantIbLb0EES15_IbLb1EEEEDaS11_S12_EUlS11_E_NS1_11comp_targetILNS1_3genE5ELNS1_11target_archE942ELNS1_3gpuE9ELNS1_3repE0EEENS1_30default_config_static_selectorELNS0_4arch9wavefront6targetE1EEEvT1_,comdat
	.protected	_ZN7rocprim17ROCPRIM_400000_NS6detail17trampoline_kernelINS0_14default_configENS1_25partition_config_selectorILNS1_17partition_subalgoE0EjNS0_10empty_typeEbEEZZNS1_14partition_implILS5_0ELb0ES3_jN6thrust23THRUST_200600_302600_NS6detail15normal_iteratorINSA_10device_ptrIjEEEEPS6_SG_NS0_5tupleIJSF_SF_EEENSH_IJSG_SG_EEES6_PlJ7is_evenIjEEEE10hipError_tPvRmT3_T4_T5_T6_T7_T9_mT8_P12ihipStream_tbDpT10_ENKUlT_T0_E_clISt17integral_constantIbLb0EES15_IbLb1EEEEDaS11_S12_EUlS11_E_NS1_11comp_targetILNS1_3genE5ELNS1_11target_archE942ELNS1_3gpuE9ELNS1_3repE0EEENS1_30default_config_static_selectorELNS0_4arch9wavefront6targetE1EEEvT1_ ; -- Begin function _ZN7rocprim17ROCPRIM_400000_NS6detail17trampoline_kernelINS0_14default_configENS1_25partition_config_selectorILNS1_17partition_subalgoE0EjNS0_10empty_typeEbEEZZNS1_14partition_implILS5_0ELb0ES3_jN6thrust23THRUST_200600_302600_NS6detail15normal_iteratorINSA_10device_ptrIjEEEEPS6_SG_NS0_5tupleIJSF_SF_EEENSH_IJSG_SG_EEES6_PlJ7is_evenIjEEEE10hipError_tPvRmT3_T4_T5_T6_T7_T9_mT8_P12ihipStream_tbDpT10_ENKUlT_T0_E_clISt17integral_constantIbLb0EES15_IbLb1EEEEDaS11_S12_EUlS11_E_NS1_11comp_targetILNS1_3genE5ELNS1_11target_archE942ELNS1_3gpuE9ELNS1_3repE0EEENS1_30default_config_static_selectorELNS0_4arch9wavefront6targetE1EEEvT1_
	.globl	_ZN7rocprim17ROCPRIM_400000_NS6detail17trampoline_kernelINS0_14default_configENS1_25partition_config_selectorILNS1_17partition_subalgoE0EjNS0_10empty_typeEbEEZZNS1_14partition_implILS5_0ELb0ES3_jN6thrust23THRUST_200600_302600_NS6detail15normal_iteratorINSA_10device_ptrIjEEEEPS6_SG_NS0_5tupleIJSF_SF_EEENSH_IJSG_SG_EEES6_PlJ7is_evenIjEEEE10hipError_tPvRmT3_T4_T5_T6_T7_T9_mT8_P12ihipStream_tbDpT10_ENKUlT_T0_E_clISt17integral_constantIbLb0EES15_IbLb1EEEEDaS11_S12_EUlS11_E_NS1_11comp_targetILNS1_3genE5ELNS1_11target_archE942ELNS1_3gpuE9ELNS1_3repE0EEENS1_30default_config_static_selectorELNS0_4arch9wavefront6targetE1EEEvT1_
	.p2align	8
	.type	_ZN7rocprim17ROCPRIM_400000_NS6detail17trampoline_kernelINS0_14default_configENS1_25partition_config_selectorILNS1_17partition_subalgoE0EjNS0_10empty_typeEbEEZZNS1_14partition_implILS5_0ELb0ES3_jN6thrust23THRUST_200600_302600_NS6detail15normal_iteratorINSA_10device_ptrIjEEEEPS6_SG_NS0_5tupleIJSF_SF_EEENSH_IJSG_SG_EEES6_PlJ7is_evenIjEEEE10hipError_tPvRmT3_T4_T5_T6_T7_T9_mT8_P12ihipStream_tbDpT10_ENKUlT_T0_E_clISt17integral_constantIbLb0EES15_IbLb1EEEEDaS11_S12_EUlS11_E_NS1_11comp_targetILNS1_3genE5ELNS1_11target_archE942ELNS1_3gpuE9ELNS1_3repE0EEENS1_30default_config_static_selectorELNS0_4arch9wavefront6targetE1EEEvT1_,@function
_ZN7rocprim17ROCPRIM_400000_NS6detail17trampoline_kernelINS0_14default_configENS1_25partition_config_selectorILNS1_17partition_subalgoE0EjNS0_10empty_typeEbEEZZNS1_14partition_implILS5_0ELb0ES3_jN6thrust23THRUST_200600_302600_NS6detail15normal_iteratorINSA_10device_ptrIjEEEEPS6_SG_NS0_5tupleIJSF_SF_EEENSH_IJSG_SG_EEES6_PlJ7is_evenIjEEEE10hipError_tPvRmT3_T4_T5_T6_T7_T9_mT8_P12ihipStream_tbDpT10_ENKUlT_T0_E_clISt17integral_constantIbLb0EES15_IbLb1EEEEDaS11_S12_EUlS11_E_NS1_11comp_targetILNS1_3genE5ELNS1_11target_archE942ELNS1_3gpuE9ELNS1_3repE0EEENS1_30default_config_static_selectorELNS0_4arch9wavefront6targetE1EEEvT1_: ; @_ZN7rocprim17ROCPRIM_400000_NS6detail17trampoline_kernelINS0_14default_configENS1_25partition_config_selectorILNS1_17partition_subalgoE0EjNS0_10empty_typeEbEEZZNS1_14partition_implILS5_0ELb0ES3_jN6thrust23THRUST_200600_302600_NS6detail15normal_iteratorINSA_10device_ptrIjEEEEPS6_SG_NS0_5tupleIJSF_SF_EEENSH_IJSG_SG_EEES6_PlJ7is_evenIjEEEE10hipError_tPvRmT3_T4_T5_T6_T7_T9_mT8_P12ihipStream_tbDpT10_ENKUlT_T0_E_clISt17integral_constantIbLb0EES15_IbLb1EEEEDaS11_S12_EUlS11_E_NS1_11comp_targetILNS1_3genE5ELNS1_11target_archE942ELNS1_3gpuE9ELNS1_3repE0EEENS1_30default_config_static_selectorELNS0_4arch9wavefront6targetE1EEEvT1_
; %bb.0:
	s_load_dwordx2 s[2:3], s[0:1], 0x58
	s_load_dwordx4 s[24:27], s[0:1], 0x48
	s_load_dwordx2 s[34:35], s[0:1], 0x68
	v_cmp_eq_u32_e64 s[20:21], 0, v0
	s_and_saveexec_b64 s[4:5], s[20:21]
	s_cbranch_execz .LBB2162_4
; %bb.1:
	s_mov_b64 s[8:9], exec
	v_mbcnt_lo_u32_b32 v1, s8, 0
	v_mbcnt_hi_u32_b32 v1, s9, v1
	v_cmp_eq_u32_e32 vcc, 0, v1
                                        ; implicit-def: $vgpr2
	s_and_saveexec_b64 s[6:7], vcc
	s_cbranch_execz .LBB2162_3
; %bb.2:
	s_load_dwordx2 s[10:11], s[0:1], 0x78
	s_bcnt1_i32_b64 s8, s[8:9]
	v_mov_b32_e32 v2, 0
	v_mov_b32_e32 v3, s8
	s_waitcnt lgkmcnt(0)
	global_atomic_add v2, v2, v3, s[10:11] sc0
.LBB2162_3:
	s_or_b64 exec, exec, s[6:7]
	s_waitcnt vmcnt(0)
	v_readfirstlane_b32 s6, v2
	v_mov_b32_e32 v2, 0
	s_nop 0
	v_add_u32_e32 v1, s6, v1
	ds_write_b32 v2, v1
.LBB2162_4:
	s_or_b64 exec, exec, s[4:5]
	v_mov_b32_e32 v19, 0
	s_load_dwordx4 s[36:39], s[0:1], 0x8
	s_load_dwordx4 s[28:31], s[0:1], 0x28
	s_load_dword s4, s[0:1], 0x70
	s_waitcnt lgkmcnt(0)
	s_barrier
	ds_read_b32 v1, v19
	s_waitcnt lgkmcnt(0)
	s_barrier
	global_load_dwordx2 v[20:21], v19, s[26:27]
	v_mov_b32_e32 v3, s3
	s_lshl_b64 s[0:1], s[38:39], 2
	s_movk_i32 s3, 0x1e00
	s_add_u32 s0, s36, s0
	v_mul_lo_u32 v18, v1, s3
	s_mul_i32 s3, s4, 0x1e00
	s_addc_u32 s1, s37, s1
	s_add_i32 s5, s4, -1
	s_add_i32 s4, s3, s38
	s_sub_i32 s33, s2, s4
	s_addk_i32 s33, 0x1e00
	v_mov_b32_e32 v2, s2
	s_add_u32 s2, s38, s3
	v_readfirstlane_b32 s40, v1
	s_addc_u32 s3, s39, 0
	s_cmp_eq_u32 s40, s5
	s_cselect_b64 s[22:23], -1, 0
	s_cmp_lg_u32 s40, s5
	v_cmp_lt_u64_e32 vcc, s[2:3], v[2:3]
	s_cselect_b64 s[2:3], -1, 0
	s_or_b64 s[4:5], vcc, s[2:3]
	v_lshlrev_b64 v[22:23], 2, v[18:19]
	v_lshl_add_u64 v[24:25], s[0:1], 0, v[22:23]
	s_mov_b64 s[0:1], -1
	s_and_b64 vcc, exec, s[4:5]
	v_lshlrev_b32_e32 v18, 2, v0
	s_cbranch_vccz .LBB2162_6
; %bb.5:
	v_lshl_add_u64 v[2:3], v[24:25], 0, v[18:19]
	v_add_co_u32_e32 v4, vcc, 0x1000, v2
	s_mov_b64 s[0:1], 0
	s_nop 0
	v_addc_co_u32_e32 v5, vcc, 0, v3, vcc
	v_add_co_u32_e32 v6, vcc, 0x2000, v2
	s_nop 1
	v_addc_co_u32_e32 v7, vcc, 0, v3, vcc
	v_add_co_u32_e32 v8, vcc, 0x3000, v2
	s_nop 1
	v_addc_co_u32_e32 v9, vcc, 0, v3, vcc
	flat_load_dword v1, v[2:3]
	flat_load_dword v10, v[2:3] offset:2048
	flat_load_dword v11, v[4:5]
	flat_load_dword v12, v[4:5] offset:2048
	flat_load_dword v13, v[6:7]
	flat_load_dword v14, v[6:7] offset:2048
	flat_load_dword v15, v[8:9]
	flat_load_dword v16, v[8:9] offset:2048
	v_add_co_u32_e32 v4, vcc, 0x4000, v2
	s_nop 1
	v_addc_co_u32_e32 v5, vcc, 0, v3, vcc
	v_add_co_u32_e32 v6, vcc, 0x5000, v2
	s_nop 1
	v_addc_co_u32_e32 v7, vcc, 0, v3, vcc
	;; [unrolled: 3-line block ×4, first 2 shown]
	flat_load_dword v17, v[4:5]
	flat_load_dword v19, v[4:5] offset:2048
	flat_load_dword v26, v[6:7]
	flat_load_dword v27, v[6:7] offset:2048
	;; [unrolled: 2-line block ×3, first 2 shown]
	flat_load_dword v30, v[2:3]
	s_waitcnt vmcnt(0) lgkmcnt(0)
	ds_write2st64_b32 v18, v1, v10 offset1:8
	ds_write2st64_b32 v18, v11, v12 offset0:16 offset1:24
	ds_write2st64_b32 v18, v13, v14 offset0:32 offset1:40
	;; [unrolled: 1-line block ×6, first 2 shown]
	ds_write_b32 v18, v30 offset:28672
	s_waitcnt lgkmcnt(0)
	s_barrier
.LBB2162_6:
	s_andn2_b64 vcc, exec, s[0:1]
	v_cmp_gt_u32_e64 s[0:1], s33, v0
	s_cbranch_vccnz .LBB2162_38
; %bb.7:
                                        ; implicit-def: $vgpr2_vgpr3_vgpr4_vgpr5_vgpr6_vgpr7_vgpr8_vgpr9_vgpr10_vgpr11_vgpr12_vgpr13_vgpr14_vgpr15_vgpr16_vgpr17
	s_and_saveexec_b64 s[2:3], s[0:1]
	s_cbranch_execz .LBB2162_9
; %bb.8:
	v_mov_b32_e32 v19, 0
	v_lshl_add_u64 v[2:3], v[24:25], 0, v[18:19]
	flat_load_dword v2, v[2:3]
.LBB2162_9:
	s_or_b64 exec, exec, s[2:3]
	v_or_b32_e32 v1, 0x200, v0
	v_cmp_gt_u32_e32 vcc, s33, v1
	s_and_saveexec_b64 s[0:1], vcc
	s_cbranch_execz .LBB2162_11
; %bb.10:
	v_mov_b32_e32 v19, 0
	v_lshl_add_u64 v[26:27], v[24:25], 0, v[18:19]
	flat_load_dword v3, v[26:27] offset:2048
.LBB2162_11:
	s_or_b64 exec, exec, s[0:1]
	v_or_b32_e32 v1, 0x400, v0
	v_cmp_gt_u32_e32 vcc, s33, v1
	s_and_saveexec_b64 s[0:1], vcc
	s_cbranch_execz .LBB2162_13
; %bb.12:
	v_lshlrev_b32_e32 v26, 2, v1
	v_mov_b32_e32 v27, 0
	v_lshl_add_u64 v[26:27], v[24:25], 0, v[26:27]
	flat_load_dword v4, v[26:27]
.LBB2162_13:
	s_or_b64 exec, exec, s[0:1]
	v_or_b32_e32 v1, 0x600, v0
	v_cmp_gt_u32_e32 vcc, s33, v1
	s_and_saveexec_b64 s[0:1], vcc
	s_cbranch_execz .LBB2162_15
; %bb.14:
	v_lshlrev_b32_e32 v26, 2, v1
	v_mov_b32_e32 v27, 0
	v_lshl_add_u64 v[26:27], v[24:25], 0, v[26:27]
	flat_load_dword v5, v[26:27]
.LBB2162_15:
	;; [unrolled: 11-line block ×13, first 2 shown]
	s_or_b64 exec, exec, s[0:1]
	s_waitcnt vmcnt(0) lgkmcnt(0)
	ds_write2st64_b32 v18, v2, v3 offset1:8
	ds_write2st64_b32 v18, v4, v5 offset0:16 offset1:24
	ds_write2st64_b32 v18, v6, v7 offset0:32 offset1:40
	;; [unrolled: 1-line block ×6, first 2 shown]
	ds_write_b32 v18, v16 offset:28672
	s_waitcnt lgkmcnt(0)
	s_barrier
.LBB2162_38:
	v_mul_u32_u24_e32 v42, 15, v0
	v_lshlrev_b32_e32 v1, 2, v42
	ds_read2_b32 v[36:37], v1 offset1:1
	ds_read2_b32 v[34:35], v1 offset0:2 offset1:3
	ds_read2_b32 v[32:33], v1 offset0:4 offset1:5
	;; [unrolled: 1-line block ×6, first 2 shown]
	ds_read_b32 v1, v1 offset:56
	v_cndmask_b32_e64 v2, 0, 1, s[4:5]
	v_cmp_ne_u32_e64 s[2:3], 1, v2
	s_andn2_b64 vcc, exec, s[4:5]
	s_waitcnt lgkmcnt(7)
	v_xor_b32_e32 v16, -1, v36
	v_xor_b32_e32 v15, -1, v37
	s_waitcnt lgkmcnt(6)
	v_xor_b32_e32 v14, -1, v34
	v_xor_b32_e32 v13, -1, v35
	;; [unrolled: 3-line block ×7, first 2 shown]
	s_waitcnt lgkmcnt(0)
	v_xor_b32_e32 v2, -1, v1
	s_barrier
	s_cbranch_vccnz .LBB2162_40
; %bb.39:
	v_and_b32_e32 v55, 1, v16
	v_and_b32_e32 v54, 1, v15
	;; [unrolled: 1-line block ×15, first 2 shown]
	s_cbranch_execz .LBB2162_41
	s_branch .LBB2162_42
.LBB2162_40:
                                        ; implicit-def: $vgpr19
                                        ; implicit-def: $vgpr41
                                        ; implicit-def: $vgpr43
                                        ; implicit-def: $vgpr44
                                        ; implicit-def: $vgpr45
                                        ; implicit-def: $vgpr46
                                        ; implicit-def: $vgpr47
                                        ; implicit-def: $vgpr48
                                        ; implicit-def: $vgpr49
                                        ; implicit-def: $vgpr55
                                        ; implicit-def: $vgpr54
                                        ; implicit-def: $vgpr53
                                        ; implicit-def: $vgpr52
                                        ; implicit-def: $vgpr51
                                        ; implicit-def: $vgpr50
.LBB2162_41:
	v_add_u32_e32 v48, 1, v42
	v_cmp_gt_u32_e32 vcc, s33, v42
	v_add_u32_e32 v17, 2, v42
	v_add_u32_e32 v47, 3, v42
	v_cndmask_b32_e64 v49, 0, 1, vcc
	v_cmp_gt_u32_e32 vcc, s33, v48
	v_and_b32_e32 v55, v49, v16
	v_add_u32_e32 v19, 4, v42
	v_cndmask_b32_e64 v16, 0, 1, vcc
	v_cmp_gt_u32_e32 vcc, s33, v17
	v_and_b32_e32 v54, v16, v15
	;; [unrolled: 4-line block ×12, first 2 shown]
	s_nop 0
	v_cndmask_b32_e64 v5, 0, 1, vcc
	v_cmp_gt_u32_e32 vcc, s33, v57
	v_and_b32_e32 v43, v5, v4
	s_nop 0
	v_cndmask_b32_e64 v4, 0, 1, vcc
	v_cmp_gt_u32_e32 vcc, s33, v56
	v_and_b32_e32 v41, v4, v3
	s_nop 0
	v_cndmask_b32_e64 v3, 0, 1, vcc
	v_and_b32_e32 v19, v3, v2
.LBB2162_42:
	v_and_b32_e32 v59, 0xff, v52
	v_and_b32_e32 v60, 0xff, v51
	v_and_b32_e32 v61, 0xff, v50
	v_and_b32_e32 v57, 0xff, v54
	v_and_b32_e32 v58, 0xff, v53
	v_add3_u32 v3, v60, v61, v59
	v_and_b32_e32 v56, 0xff, v55
	v_and_b32_e32 v62, 0xff, v49
	v_add3_u32 v3, v3, v58, v57
	v_and_b32_e32 v63, 0xff, v48
	v_and_b32_e32 v64, 0xff, v47
	;; [unrolled: 3-line block ×5, first 2 shown]
	v_add3_u32 v3, v3, v67, v68
	v_add3_u32 v72, v3, v69, v2
	v_mbcnt_lo_u32_b32 v2, -1, 0
	v_mbcnt_hi_u32_b32 v70, -1, v2
	v_and_b32_e32 v2, 15, v70
	v_cmp_eq_u32_e64 s[16:17], 0, v2
	v_cmp_lt_u32_e64 s[14:15], 1, v2
	v_cmp_lt_u32_e64 s[12:13], 3, v2
	;; [unrolled: 1-line block ×3, first 2 shown]
	v_and_b32_e32 v2, 16, v70
	v_cmp_eq_u32_e64 s[8:9], 0, v2
	v_or_b32_e32 v2, 63, v0
	s_cmp_lg_u32 s40, 0
	v_cmp_lt_u32_e64 s[4:5], 31, v70
	v_lshrrev_b32_e32 v71, 6, v0
	v_cmp_eq_u32_e64 s[6:7], v2, v0
	s_cbranch_scc0 .LBB2162_69
; %bb.43:
	v_mov_b32_dpp v2, v72 row_shr:1 row_mask:0xf bank_mask:0xf
	v_cndmask_b32_e64 v2, v2, 0, s[16:17]
	v_add_u32_e32 v2, v2, v72
	s_nop 1
	v_mov_b32_dpp v3, v2 row_shr:2 row_mask:0xf bank_mask:0xf
	v_cndmask_b32_e64 v3, 0, v3, s[14:15]
	v_add_u32_e32 v2, v2, v3
	s_nop 1
	;; [unrolled: 4-line block ×4, first 2 shown]
	v_mov_b32_dpp v3, v2 row_bcast:15 row_mask:0xf bank_mask:0xf
	v_cndmask_b32_e64 v3, v3, 0, s[8:9]
	v_add_u32_e32 v2, v2, v3
	s_nop 1
	v_mov_b32_dpp v3, v2 row_bcast:31 row_mask:0xf bank_mask:0xf
	v_cndmask_b32_e64 v3, 0, v3, s[4:5]
	v_add_u32_e32 v2, v2, v3
	s_and_saveexec_b64 s[0:1], s[6:7]
	s_cbranch_execz .LBB2162_45
; %bb.44:
	v_lshlrev_b32_e32 v3, 2, v71
	ds_write_b32 v3, v2
.LBB2162_45:
	s_or_b64 exec, exec, s[0:1]
	v_cmp_gt_u32_e32 vcc, 8, v0
	s_waitcnt lgkmcnt(0)
	s_barrier
	s_and_saveexec_b64 s[0:1], vcc
	s_cbranch_execz .LBB2162_47
; %bb.46:
	ds_read_b32 v3, v18
	v_and_b32_e32 v4, 7, v70
	v_cmp_ne_u32_e32 vcc, 0, v4
	s_waitcnt lgkmcnt(0)
	v_mov_b32_dpp v5, v3 row_shr:1 row_mask:0xf bank_mask:0xf
	v_cndmask_b32_e32 v5, 0, v5, vcc
	v_add_u32_e32 v3, v5, v3
	v_cmp_lt_u32_e32 vcc, 1, v4
	s_nop 0
	v_mov_b32_dpp v5, v3 row_shr:2 row_mask:0xf bank_mask:0xf
	v_cndmask_b32_e32 v5, 0, v5, vcc
	v_add_u32_e32 v3, v3, v5
	v_cmp_lt_u32_e32 vcc, 3, v4
	s_nop 0
	v_mov_b32_dpp v5, v3 row_shr:4 row_mask:0xf bank_mask:0xf
	v_cndmask_b32_e32 v4, 0, v5, vcc
	v_add_u32_e32 v3, v3, v4
	ds_write_b32 v18, v3
.LBB2162_47:
	s_or_b64 exec, exec, s[0:1]
	v_cmp_gt_u32_e32 vcc, 64, v0
	v_cmp_lt_u32_e64 s[0:1], 63, v0
	s_waitcnt lgkmcnt(0)
	s_barrier
	s_waitcnt lgkmcnt(0)
                                        ; implicit-def: $vgpr12
	s_and_saveexec_b64 s[18:19], s[0:1]
	s_cbranch_execz .LBB2162_49
; %bb.48:
	v_lshl_add_u32 v3, v71, 2, -4
	ds_read_b32 v12, v3
	s_waitcnt lgkmcnt(0)
	v_add_u32_e32 v2, v12, v2
.LBB2162_49:
	s_or_b64 exec, exec, s[18:19]
	v_add_u32_e32 v3, -1, v70
	v_and_b32_e32 v4, 64, v70
	v_cmp_lt_i32_e64 s[0:1], v3, v4
	v_cmp_eq_u32_e64 s[18:19], 0, v70
	s_nop 0
	v_cndmask_b32_e64 v3, v3, v70, s[0:1]
	v_lshlrev_b32_e32 v3, 2, v3
	ds_bpermute_b32 v13, v3, v2
	s_and_saveexec_b64 s[0:1], vcc
	s_cbranch_execz .LBB2162_68
; %bb.50:
	v_mov_b32_e32 v9, 0
	ds_read_b32 v2, v9 offset:28
	s_and_saveexec_b64 s[26:27], s[18:19]
	s_cbranch_execz .LBB2162_52
; %bb.51:
	s_add_i32 s36, s40, 64
	s_mov_b32 s37, 0
	s_lshl_b64 s[36:37], s[36:37], 3
	s_add_u32 s36, s34, s36
	v_mov_b32_e32 v3, 1
	s_addc_u32 s37, s35, s37
	s_waitcnt lgkmcnt(0)
	global_store_dwordx2 v9, v[2:3], s[36:37] sc1
.LBB2162_52:
	s_or_b64 exec, exec, s[26:27]
	v_xad_u32 v4, v70, -1, s40
	v_add_u32_e32 v8, 64, v4
	v_lshl_add_u64 v[10:11], v[8:9], 3, s[34:35]
	global_load_dwordx2 v[6:7], v[10:11], off sc1
	s_waitcnt vmcnt(0)
	v_cmp_eq_u16_sdwa s[36:37], v7, v9 src0_sel:BYTE_0 src1_sel:DWORD
	s_and_saveexec_b64 s[26:27], s[36:37]
	s_cbranch_execz .LBB2162_56
; %bb.53:
	s_mov_b64 s[36:37], 0
	v_mov_b32_e32 v3, 0
.LBB2162_54:                            ; =>This Inner Loop Header: Depth=1
	global_load_dwordx2 v[6:7], v[10:11], off sc1
	s_waitcnt vmcnt(0)
	v_cmp_ne_u16_sdwa s[42:43], v7, v3 src0_sel:BYTE_0 src1_sel:DWORD
	s_or_b64 s[36:37], s[42:43], s[36:37]
	s_andn2_b64 exec, exec, s[36:37]
	s_cbranch_execnz .LBB2162_54
; %bb.55:
	s_or_b64 exec, exec, s[36:37]
.LBB2162_56:
	s_or_b64 exec, exec, s[26:27]
	v_and_b32_e32 v15, 63, v70
	v_mov_b32_e32 v14, 2
	v_cmp_ne_u32_e32 vcc, 63, v15
	v_cmp_eq_u16_sdwa s[26:27], v7, v14 src0_sel:BYTE_0 src1_sel:DWORD
	v_lshlrev_b64 v[8:9], v70, -1
	v_addc_co_u32_e32 v10, vcc, 0, v70, vcc
	v_and_b32_e32 v3, s27, v9
	v_lshlrev_b32_e32 v16, 2, v10
	v_or_b32_e32 v3, 0x80000000, v3
	ds_bpermute_b32 v10, v16, v6
	v_and_b32_e32 v5, s26, v8
	v_ffbl_b32_e32 v3, v3
	v_add_u32_e32 v3, 32, v3
	v_ffbl_b32_e32 v5, v5
	v_min_u32_e32 v3, v5, v3
	v_cmp_lt_u32_e32 vcc, v15, v3
	v_add_u32_e32 v38, 2, v15
	v_add_u32_e32 v40, 4, v15
	s_waitcnt lgkmcnt(0)
	v_cndmask_b32_e32 v5, 0, v10, vcc
	v_cmp_gt_u32_e32 vcc, 62, v15
	v_add_u32_e32 v5, v5, v6
	v_add_u32_e32 v74, 8, v15
	v_cndmask_b32_e64 v6, 0, 1, vcc
	v_lshlrev_b32_e32 v6, 1, v6
	v_add_lshl_u32 v17, v6, v70, 2
	ds_bpermute_b32 v6, v17, v5
	v_cmp_le_u32_e32 vcc, v38, v3
	v_add_u32_e32 v76, 16, v15
	v_add_u32_e32 v78, 32, v15
	s_waitcnt lgkmcnt(0)
	v_cndmask_b32_e32 v6, 0, v6, vcc
	v_cmp_gt_u32_e32 vcc, 60, v15
	v_add_u32_e32 v5, v5, v6
	s_nop 0
	v_cndmask_b32_e64 v6, 0, 1, vcc
	v_lshlrev_b32_e32 v6, 2, v6
	v_add_lshl_u32 v39, v6, v70, 2
	ds_bpermute_b32 v6, v39, v5
	v_cmp_le_u32_e32 vcc, v40, v3
	s_waitcnt lgkmcnt(0)
	s_nop 0
	v_cndmask_b32_e32 v6, 0, v6, vcc
	v_cmp_gt_u32_e32 vcc, 56, v15
	v_add_u32_e32 v5, v5, v6
	s_nop 0
	v_cndmask_b32_e64 v6, 0, 1, vcc
	v_lshlrev_b32_e32 v6, 3, v6
	v_add_lshl_u32 v73, v6, v70, 2
	ds_bpermute_b32 v6, v73, v5
	v_cmp_le_u32_e32 vcc, v74, v3
	s_waitcnt lgkmcnt(0)
	s_nop 0
	;; [unrolled: 11-line block ×4, first 2 shown]
	v_cndmask_b32_e32 v3, 0, v6, vcc
	v_add_u32_e32 v6, v5, v3
	v_mov_b32_e32 v5, 0
	s_branch .LBB2162_58
.LBB2162_57:                            ;   in Loop: Header=BB2162_58 Depth=1
	s_or_b64 exec, exec, s[26:27]
	v_cmp_eq_u16_sdwa s[26:27], v7, v14 src0_sel:BYTE_0 src1_sel:DWORD
	ds_bpermute_b32 v79, v16, v6
	v_subrev_u32_e32 v4, 64, v4
	v_and_b32_e32 v10, s27, v9
	v_or_b32_e32 v10, 0x80000000, v10
	v_and_b32_e32 v11, s26, v8
	v_ffbl_b32_e32 v10, v10
	v_add_u32_e32 v10, 32, v10
	v_ffbl_b32_e32 v11, v11
	v_min_u32_e32 v10, v11, v10
	v_cmp_lt_u32_e32 vcc, v15, v10
	s_waitcnt lgkmcnt(0)
	s_nop 0
	v_cndmask_b32_e32 v11, 0, v79, vcc
	v_add_u32_e32 v6, v11, v6
	ds_bpermute_b32 v11, v17, v6
	v_cmp_le_u32_e32 vcc, v38, v10
	s_waitcnt lgkmcnt(0)
	s_nop 0
	v_cndmask_b32_e32 v11, 0, v11, vcc
	v_add_u32_e32 v6, v6, v11
	ds_bpermute_b32 v11, v39, v6
	v_cmp_le_u32_e32 vcc, v40, v10
	;; [unrolled: 6-line block ×5, first 2 shown]
	s_waitcnt lgkmcnt(0)
	s_nop 0
	v_cndmask_b32_e32 v10, 0, v11, vcc
	v_add3_u32 v6, v10, v3, v6
.LBB2162_58:                            ; =>This Loop Header: Depth=1
                                        ;     Child Loop BB2162_61 Depth 2
	v_cmp_ne_u16_sdwa s[26:27], v7, v14 src0_sel:BYTE_0 src1_sel:DWORD
	s_nop 1
	v_cndmask_b32_e64 v3, 0, 1, s[26:27]
	;;#ASMSTART
	;;#ASMEND
	s_nop 0
	v_cmp_ne_u32_e32 vcc, 0, v3
	s_cmp_lg_u64 vcc, exec
	v_mov_b32_e32 v3, v6
	s_cbranch_scc1 .LBB2162_63
; %bb.59:                               ;   in Loop: Header=BB2162_58 Depth=1
	v_lshl_add_u64 v[10:11], v[4:5], 3, s[34:35]
	global_load_dwordx2 v[6:7], v[10:11], off sc1
	s_waitcnt vmcnt(0)
	v_cmp_eq_u16_sdwa s[36:37], v7, v5 src0_sel:BYTE_0 src1_sel:DWORD
	s_and_saveexec_b64 s[26:27], s[36:37]
	s_cbranch_execz .LBB2162_57
; %bb.60:                               ;   in Loop: Header=BB2162_58 Depth=1
	s_mov_b64 s[36:37], 0
.LBB2162_61:                            ;   Parent Loop BB2162_58 Depth=1
                                        ; =>  This Inner Loop Header: Depth=2
	global_load_dwordx2 v[6:7], v[10:11], off sc1
	s_waitcnt vmcnt(0)
	v_cmp_ne_u16_sdwa s[42:43], v7, v5 src0_sel:BYTE_0 src1_sel:DWORD
	s_or_b64 s[36:37], s[42:43], s[36:37]
	s_andn2_b64 exec, exec, s[36:37]
	s_cbranch_execnz .LBB2162_61
; %bb.62:                               ;   in Loop: Header=BB2162_58 Depth=1
	s_or_b64 exec, exec, s[36:37]
	s_branch .LBB2162_57
.LBB2162_63:                            ;   in Loop: Header=BB2162_58 Depth=1
                                        ; implicit-def: $vgpr6
                                        ; implicit-def: $vgpr7
	s_cbranch_execz .LBB2162_58
; %bb.64:
	s_and_saveexec_b64 s[26:27], s[18:19]
	s_cbranch_execz .LBB2162_66
; %bb.65:
	s_add_i32 s36, s40, 64
	s_mov_b32 s37, 0
	s_lshl_b64 s[36:37], s[36:37], 3
	s_add_u32 s36, s34, s36
	v_add_u32_e32 v4, v3, v2
	v_mov_b32_e32 v5, 2
	s_addc_u32 s37, s35, s37
	v_mov_b32_e32 v6, 0
	global_store_dwordx2 v6, v[4:5], s[36:37] sc1
	ds_write_b64 v6, v[2:3] offset:30720
.LBB2162_66:
	s_or_b64 exec, exec, s[26:27]
	s_and_b64 exec, exec, s[20:21]
	s_cbranch_execz .LBB2162_68
; %bb.67:
	v_mov_b32_e32 v2, 0
	ds_write_b32 v2, v3 offset:28
.LBB2162_68:
	s_or_b64 exec, exec, s[0:1]
	v_mov_b32_e32 v14, 0
	s_waitcnt lgkmcnt(0)
	s_barrier
	ds_read_b32 v2, v14 offset:28
	v_cndmask_b32_e64 v3, v13, v12, s[18:19]
	v_cndmask_b32_e64 v3, v3, 0, s[20:21]
	s_waitcnt lgkmcnt(0)
	s_barrier
	v_add_u32_e32 v2, v2, v3
	v_add_u32_e32 v3, v2, v56
	;; [unrolled: 1-line block ×10, first 2 shown]
	ds_read_b64 v[38:39], v14 offset:30720
	v_add_u32_e32 v12, v11, v65
	v_add_u32_e32 v13, v12, v66
	;; [unrolled: 1-line block ×5, first 2 shown]
	s_waitcnt lgkmcnt(0)
	v_mov_b32_e32 v40, v39
	s_branch .LBB2162_79
.LBB2162_69:
                                        ; implicit-def: $vgpr40
                                        ; implicit-def: $vgpr38
                                        ; implicit-def: $vgpr2_vgpr3_vgpr4_vgpr5_vgpr6_vgpr7_vgpr8_vgpr9_vgpr10_vgpr11_vgpr12_vgpr13_vgpr14_vgpr15_vgpr16_vgpr17
	s_cbranch_execz .LBB2162_79
; %bb.70:
	s_nop 0
	v_mov_b32_dpp v2, v72 row_shr:1 row_mask:0xf bank_mask:0xf
	v_cndmask_b32_e64 v2, v2, 0, s[16:17]
	v_add_u32_e32 v2, v2, v72
	s_nop 1
	v_mov_b32_dpp v3, v2 row_shr:2 row_mask:0xf bank_mask:0xf
	v_cndmask_b32_e64 v3, 0, v3, s[14:15]
	v_add_u32_e32 v2, v2, v3
	;; [unrolled: 4-line block ×4, first 2 shown]
	s_nop 1
	v_mov_b32_dpp v3, v2 row_bcast:15 row_mask:0xf bank_mask:0xf
	v_cndmask_b32_e64 v3, v3, 0, s[8:9]
	v_add_u32_e32 v2, v2, v3
	s_nop 1
	v_mov_b32_dpp v3, v2 row_bcast:31 row_mask:0xf bank_mask:0xf
	v_cndmask_b32_e64 v3, 0, v3, s[4:5]
	v_add_u32_e32 v2, v2, v3
	s_and_saveexec_b64 s[0:1], s[6:7]
	s_cbranch_execz .LBB2162_72
; %bb.71:
	v_lshlrev_b32_e32 v3, 2, v71
	ds_write_b32 v3, v2
.LBB2162_72:
	s_or_b64 exec, exec, s[0:1]
	v_cmp_gt_u32_e32 vcc, 8, v0
	s_waitcnt lgkmcnt(0)
	s_barrier
	s_and_saveexec_b64 s[0:1], vcc
	s_cbranch_execz .LBB2162_74
; %bb.73:
	ds_read_b32 v3, v18
	v_and_b32_e32 v4, 7, v70
	v_cmp_ne_u32_e32 vcc, 0, v4
	s_waitcnt lgkmcnt(0)
	v_mov_b32_dpp v5, v3 row_shr:1 row_mask:0xf bank_mask:0xf
	v_cndmask_b32_e32 v5, 0, v5, vcc
	v_add_u32_e32 v3, v5, v3
	v_cmp_lt_u32_e32 vcc, 1, v4
	s_nop 0
	v_mov_b32_dpp v5, v3 row_shr:2 row_mask:0xf bank_mask:0xf
	v_cndmask_b32_e32 v5, 0, v5, vcc
	v_add_u32_e32 v3, v3, v5
	v_cmp_lt_u32_e32 vcc, 3, v4
	s_nop 0
	v_mov_b32_dpp v5, v3 row_shr:4 row_mask:0xf bank_mask:0xf
	v_cndmask_b32_e32 v4, 0, v5, vcc
	v_add_u32_e32 v3, v3, v4
	ds_write_b32 v18, v3
.LBB2162_74:
	s_or_b64 exec, exec, s[0:1]
	v_cmp_lt_u32_e32 vcc, 63, v0
	v_mov_b32_e32 v4, 0
	v_mov_b32_e32 v3, 0
	s_waitcnt lgkmcnt(0)
	s_barrier
	s_and_saveexec_b64 s[0:1], vcc
	s_cbranch_execz .LBB2162_76
; %bb.75:
	v_lshl_add_u32 v3, v71, 2, -4
	ds_read_b32 v3, v3
.LBB2162_76:
	s_or_b64 exec, exec, s[0:1]
	v_add_u32_e32 v5, -1, v70
	v_and_b32_e32 v6, 64, v70
	v_cmp_lt_i32_e32 vcc, v5, v6
	s_waitcnt lgkmcnt(0)
	v_add_u32_e32 v2, v3, v2
	ds_read_b32 v38, v4 offset:28
	v_cndmask_b32_e32 v5, v5, v70, vcc
	v_lshlrev_b32_e32 v5, 2, v5
	ds_bpermute_b32 v2, v5, v2
	s_and_saveexec_b64 s[0:1], s[20:21]
	s_cbranch_execz .LBB2162_78
; %bb.77:
	v_mov_b32_e32 v4, 0
	v_mov_b32_e32 v39, 2
	s_waitcnt lgkmcnt(1)
	global_store_dwordx2 v4, v[38:39], s[34:35] offset:512 sc1
.LBB2162_78:
	s_or_b64 exec, exec, s[0:1]
	v_cmp_eq_u32_e32 vcc, 0, v70
	v_mov_b32_e32 v40, 0
	s_waitcnt lgkmcnt(0)
	v_cndmask_b32_e32 v2, v2, v3, vcc
	v_cndmask_b32_e64 v2, v2, 0, s[20:21]
	v_add_u32_e32 v3, v2, v56
	v_add_u32_e32 v4, v3, v57
	v_add_u32_e32 v5, v4, v58
	v_add_u32_e32 v6, v5, v59
	v_add_u32_e32 v7, v6, v60
	v_add_u32_e32 v8, v7, v61
	v_add_u32_e32 v9, v8, v62
	v_add_u32_e32 v10, v9, v63
	v_add_u32_e32 v11, v10, v64
	v_add_u32_e32 v12, v11, v65
	v_add_u32_e32 v13, v12, v66
	v_add_u32_e32 v14, v13, v67
	v_add_u32_e32 v15, v14, v68
	v_add_u32_e32 v16, v15, v69
	s_barrier
.LBB2162_79:
	v_add_u32_e32 v17, v38, v42
	v_sub_u32_e32 v2, v2, v40
	v_and_b32_e32 v42, 1, v55
	v_sub_u32_e32 v39, v17, v2
	v_cmp_eq_u32_e32 vcc, 1, v42
	v_or_b32_e32 v42, 0x800, v0
	s_nop 0
	v_cndmask_b32_e32 v2, v39, v2, vcc
	v_lshlrev_b32_e32 v2, 2, v2
	ds_write_b32 v2, v36
	v_sub_u32_e32 v2, v3, v40
	v_sub_u32_e32 v3, v17, v2
	v_and_b32_e32 v36, 1, v54
	v_add_u32_e32 v3, 1, v3
	v_cmp_eq_u32_e32 vcc, 1, v36
	v_or_b32_e32 v36, 0xc00, v0
	s_nop 0
	v_cndmask_b32_e32 v2, v3, v2, vcc
	v_lshlrev_b32_e32 v2, 2, v2
	ds_write_b32 v2, v37
	v_sub_u32_e32 v2, v4, v40
	v_sub_u32_e32 v3, v17, v2
	v_and_b32_e32 v4, 1, v53
	v_add_u32_e32 v3, 2, v3
	v_cmp_eq_u32_e32 vcc, 1, v4
	v_and_b32_e32 v4, 1, v52
	v_or_b32_e32 v37, 0xa00, v0
	v_cndmask_b32_e32 v2, v3, v2, vcc
	v_lshlrev_b32_e32 v2, 2, v2
	ds_write_b32 v2, v34
	v_sub_u32_e32 v2, v5, v40
	v_sub_u32_e32 v3, v17, v2
	v_add_u32_e32 v3, 3, v3
	v_cmp_eq_u32_e32 vcc, 1, v4
	v_and_b32_e32 v4, 1, v51
	v_or_b32_e32 v34, 0x1000, v0
	v_cndmask_b32_e32 v2, v3, v2, vcc
	v_lshlrev_b32_e32 v2, 2, v2
	ds_write_b32 v2, v35
	v_sub_u32_e32 v2, v6, v40
	v_sub_u32_e32 v3, v17, v2
	;; [unrolled: 9-line block ×3, first 2 shown]
	v_add_u32_e32 v3, 5, v3
	v_cmp_eq_u32_e32 vcc, 1, v4
	v_and_b32_e32 v4, 1, v49
	v_mov_b32_e32 v7, s39
	v_cndmask_b32_e32 v2, v3, v2, vcc
	v_lshlrev_b32_e32 v2, 2, v2
	ds_write_b32 v2, v33
	v_sub_u32_e32 v2, v8, v40
	v_sub_u32_e32 v3, v17, v2
	v_add_u32_e32 v3, 6, v3
	v_cmp_eq_u32_e32 vcc, 1, v4
	v_and_b32_e32 v4, 1, v48
	v_or_b32_e32 v33, 0x1200, v0
	v_cndmask_b32_e32 v2, v3, v2, vcc
	v_lshlrev_b32_e32 v2, 2, v2
	ds_write_b32 v2, v30
	v_sub_u32_e32 v2, v9, v40
	v_sub_u32_e32 v3, v17, v2
	v_add_u32_e32 v3, 7, v3
	v_cmp_eq_u32_e32 vcc, 1, v4
	v_and_b32_e32 v4, 1, v47
	v_or_b32_e32 v32, 0x1400, v0
	;; [unrolled: 9-line block ×6, first 2 shown]
	v_cndmask_b32_e32 v2, v3, v2, vcc
	v_lshlrev_b32_e32 v2, 2, v2
	ds_write_b32 v2, v27
	v_sub_u32_e32 v2, v14, v40
	v_sub_u32_e32 v3, v17, v2
	v_add_u32_e32 v3, 12, v3
	v_cmp_eq_u32_e32 vcc, 1, v4
	v_and_b32_e32 v4, 1, v41
	v_mov_b32_e32 v41, 0
	v_cndmask_b32_e32 v2, v3, v2, vcc
	v_lshlrev_b32_e32 v2, 2, v2
	ds_write_b32 v2, v24
	v_sub_u32_e32 v2, v15, v40
	v_sub_u32_e32 v3, v17, v2
	v_add_u32_e32 v3, 13, v3
	v_cmp_eq_u32_e32 vcc, 1, v4
	v_and_b32_e32 v4, 1, v19
	s_waitcnt vmcnt(0)
	v_lshl_add_u64 v[8:9], v[20:21], 0, v[40:41]
	v_cndmask_b32_e32 v2, v3, v2, vcc
	v_lshlrev_b32_e32 v2, 2, v2
	ds_write_b32 v2, v25
	v_sub_u32_e32 v2, v16, v40
	v_sub_u32_e32 v3, v17, v2
	v_add_u32_e32 v3, 14, v3
	v_cmp_eq_u32_e32 vcc, 1, v4
	v_mov_b32_e32 v39, v41
	v_or_b32_e32 v30, 0x1800, v0
	v_cndmask_b32_e32 v2, v3, v2, vcc
	v_lshlrev_b32_e32 v2, 2, v2
	ds_write_b32 v2, v1
	v_lshl_add_u64 v[2:3], v[8:9], 0, v[38:39]
	s_waitcnt lgkmcnt(0)
	s_barrier
	ds_read2st64_b32 v[26:27], v18 offset1:8
	ds_read2st64_b32 v[24:25], v18 offset0:16 offset1:24
	ds_read2st64_b32 v[16:17], v18 offset0:32 offset1:40
	;; [unrolled: 1-line block ×6, first 2 shown]
	ds_read_b32 v1, v18 offset:28672
	v_sub_co_u32_e32 v6, vcc, s38, v2
	v_lshlrev_b64 v[8:9], 2, v[8:9]
	s_nop 0
	v_subb_co_u32_e32 v7, vcc, v7, v3, vcc
	v_lshlrev_b64 v[6:7], 2, v[6:7]
	v_lshl_add_u64 v[6:7], s[30:31], 0, v[6:7]
	v_or_b32_e32 v29, 0x1a00, v0
	v_or_b32_e32 v28, 0x1c00, v0
	v_lshl_add_u64 v[6:7], v[6:7], 0, v[22:23]
	s_and_b64 vcc, exec, s[2:3]
	v_lshl_add_u64 v[8:9], s[28:29], 0, v[8:9]
	s_cbranch_vccnz .LBB2162_81
; %bb.80:
	v_cmp_gt_u32_e32 vcc, v38, v0
	v_mov_b32_e32 v19, v41
	v_lshlrev_b32_e32 v40, 2, v44
	v_cndmask_b32_e32 v21, v7, v9, vcc
	v_cndmask_b32_e32 v20, v6, v8, vcc
	v_lshl_add_u64 v[20:21], v[20:21], 0, v[18:19]
	v_cmp_lt_u32_e32 vcc, v45, v38
	s_waitcnt lgkmcnt(7)
	global_store_dword v[20:21], v26, off
	v_cndmask_b32_e32 v21, v7, v9, vcc
	v_cndmask_b32_e32 v20, v6, v8, vcc
	v_lshl_add_u64 v[20:21], v[20:21], 0, v[18:19]
	v_cmp_lt_u32_e32 vcc, v44, v38
	global_store_dword v[20:21], v27, off offset:2048
	s_mov_b64 s[0:1], -1
	v_cndmask_b32_e32 v21, v7, v9, vcc
	v_cndmask_b32_e32 v20, v6, v8, vcc
	v_lshl_add_u64 v[20:21], v[20:21], 0, v[40:41]
	v_cmp_lt_u32_e32 vcc, v43, v38
	s_waitcnt lgkmcnt(6)
	global_store_dword v[20:21], v24, off
	v_lshlrev_b32_e32 v40, 2, v43
	v_cndmask_b32_e32 v21, v7, v9, vcc
	v_cndmask_b32_e32 v20, v6, v8, vcc
	v_lshl_add_u64 v[20:21], v[20:21], 0, v[40:41]
	v_cmp_lt_u32_e32 vcc, v42, v38
	global_store_dword v[20:21], v25, off
	v_lshlrev_b32_e32 v40, 2, v42
	v_cndmask_b32_e32 v21, v7, v9, vcc
	v_cndmask_b32_e32 v20, v6, v8, vcc
	v_lshl_add_u64 v[20:21], v[20:21], 0, v[40:41]
	v_cmp_lt_u32_e32 vcc, v37, v38
	s_waitcnt lgkmcnt(5)
	global_store_dword v[20:21], v16, off
	v_lshlrev_b32_e32 v40, 2, v37
	v_cndmask_b32_e32 v21, v7, v9, vcc
	v_cndmask_b32_e32 v20, v6, v8, vcc
	v_lshl_add_u64 v[20:21], v[20:21], 0, v[40:41]
	v_cmp_lt_u32_e32 vcc, v36, v38
	global_store_dword v[20:21], v17, off
	v_lshlrev_b32_e32 v40, 2, v36
	;; [unrolled: 13-line block ×5, first 2 shown]
	v_cndmask_b32_e32 v21, v7, v9, vcc
	v_cndmask_b32_e32 v20, v6, v8, vcc
	v_lshl_add_u64 v[20:21], v[20:21], 0, v[40:41]
	v_cmp_lt_u32_e32 vcc, v29, v38
	s_waitcnt lgkmcnt(1)
	global_store_dword v[20:21], v4, off
	v_lshlrev_b32_e32 v40, 2, v29
	v_cndmask_b32_e32 v21, v7, v9, vcc
	v_cndmask_b32_e32 v20, v6, v8, vcc
	v_lshl_add_u64 v[20:21], v[20:21], 0, v[40:41]
	global_store_dword v[20:21], v5, off
	s_cbranch_execz .LBB2162_82
	s_branch .LBB2162_98
.LBB2162_81:
	s_mov_b64 s[0:1], 0
.LBB2162_82:
	v_cmp_gt_u32_e32 vcc, s33, v0
	s_and_saveexec_b64 s[0:1], vcc
	s_cbranch_execnz .LBB2162_103
; %bb.83:
	s_or_b64 exec, exec, s[0:1]
	v_cmp_gt_u32_e32 vcc, s33, v45
	s_and_saveexec_b64 s[0:1], vcc
	s_cbranch_execnz .LBB2162_104
.LBB2162_84:
	s_or_b64 exec, exec, s[0:1]
	v_cmp_gt_u32_e32 vcc, s33, v44
	s_and_saveexec_b64 s[0:1], vcc
	s_cbranch_execnz .LBB2162_105
.LBB2162_85:
	s_or_b64 exec, exec, s[0:1]
	v_cmp_gt_u32_e32 vcc, s33, v43
	s_and_saveexec_b64 s[0:1], vcc
	s_cbranch_execnz .LBB2162_106
.LBB2162_86:
	s_or_b64 exec, exec, s[0:1]
	v_cmp_gt_u32_e32 vcc, s33, v42
	s_and_saveexec_b64 s[0:1], vcc
	s_cbranch_execnz .LBB2162_107
.LBB2162_87:
	s_or_b64 exec, exec, s[0:1]
	v_cmp_gt_u32_e32 vcc, s33, v37
	s_and_saveexec_b64 s[0:1], vcc
	s_cbranch_execnz .LBB2162_108
.LBB2162_88:
	s_or_b64 exec, exec, s[0:1]
	v_cmp_gt_u32_e32 vcc, s33, v36
	s_and_saveexec_b64 s[0:1], vcc
	s_cbranch_execnz .LBB2162_109
.LBB2162_89:
	s_or_b64 exec, exec, s[0:1]
	v_cmp_gt_u32_e32 vcc, s33, v35
	s_and_saveexec_b64 s[0:1], vcc
	s_cbranch_execnz .LBB2162_110
.LBB2162_90:
	s_or_b64 exec, exec, s[0:1]
	v_cmp_gt_u32_e32 vcc, s33, v34
	s_and_saveexec_b64 s[0:1], vcc
	s_cbranch_execnz .LBB2162_111
.LBB2162_91:
	s_or_b64 exec, exec, s[0:1]
	v_cmp_gt_u32_e32 vcc, s33, v33
	s_and_saveexec_b64 s[0:1], vcc
	s_cbranch_execnz .LBB2162_112
.LBB2162_92:
	s_or_b64 exec, exec, s[0:1]
	v_cmp_gt_u32_e32 vcc, s33, v32
	s_and_saveexec_b64 s[0:1], vcc
	s_cbranch_execnz .LBB2162_113
.LBB2162_93:
	s_or_b64 exec, exec, s[0:1]
	v_cmp_gt_u32_e32 vcc, s33, v31
	s_and_saveexec_b64 s[0:1], vcc
	s_cbranch_execnz .LBB2162_114
.LBB2162_94:
	s_or_b64 exec, exec, s[0:1]
	v_cmp_gt_u32_e32 vcc, s33, v30
	s_and_saveexec_b64 s[0:1], vcc
	s_cbranch_execnz .LBB2162_115
.LBB2162_95:
	s_or_b64 exec, exec, s[0:1]
	v_cmp_gt_u32_e32 vcc, s33, v29
	s_and_saveexec_b64 s[0:1], vcc
	s_cbranch_execz .LBB2162_97
.LBB2162_96:
	v_cmp_lt_u32_e32 vcc, v29, v38
	s_waitcnt lgkmcnt(3)
	v_lshlrev_b32_e32 v12, 2, v29
	v_mov_b32_e32 v13, 0
	s_waitcnt lgkmcnt(2)
	v_cndmask_b32_e32 v11, v7, v9, vcc
	v_cndmask_b32_e32 v10, v6, v8, vcc
	v_lshl_add_u64 v[10:11], v[10:11], 0, v[12:13]
	s_waitcnt lgkmcnt(1)
	global_store_dword v[10:11], v5, off
.LBB2162_97:
	s_or_b64 exec, exec, s[0:1]
	v_cmp_gt_u32_e64 s[0:1], s33, v28
.LBB2162_98:
	s_and_saveexec_b64 s[2:3], s[0:1]
	s_cbranch_execnz .LBB2162_101
; %bb.99:
	s_or_b64 exec, exec, s[2:3]
	s_and_b64 s[0:1], s[20:21], s[22:23]
	s_and_saveexec_b64 s[2:3], s[0:1]
	s_cbranch_execnz .LBB2162_102
.LBB2162_100:
	s_endpgm
.LBB2162_101:
	v_cmp_lt_u32_e32 vcc, v28, v38
	s_waitcnt lgkmcnt(1)
	s_nop 0
	v_cndmask_b32_e32 v5, v7, v9, vcc
	v_cndmask_b32_e32 v4, v6, v8, vcc
	v_lshlrev_b32_e32 v6, 2, v28
	v_mov_b32_e32 v7, 0
	v_lshl_add_u64 v[4:5], v[4:5], 0, v[6:7]
	s_waitcnt lgkmcnt(0)
	global_store_dword v[4:5], v1, off
	s_or_b64 exec, exec, s[2:3]
	s_and_b64 s[0:1], s[20:21], s[22:23]
	s_and_saveexec_b64 s[2:3], s[0:1]
	s_cbranch_execz .LBB2162_100
.LBB2162_102:
	v_mov_b32_e32 v0, 0
	global_store_dwordx2 v0, v[2:3], s[24:25]
	s_endpgm
.LBB2162_103:
	v_cmp_gt_u32_e32 vcc, v38, v0
	v_mov_b32_e32 v19, 0
	s_nop 0
	v_cndmask_b32_e32 v21, v7, v9, vcc
	v_cndmask_b32_e32 v20, v6, v8, vcc
	v_lshl_add_u64 v[20:21], v[20:21], 0, v[18:19]
	s_waitcnt lgkmcnt(7)
	global_store_dword v[20:21], v26, off
	s_or_b64 exec, exec, s[0:1]
	v_cmp_gt_u32_e32 vcc, s33, v45
	s_and_saveexec_b64 s[0:1], vcc
	s_cbranch_execz .LBB2162_84
.LBB2162_104:
	v_cmp_lt_u32_e32 vcc, v45, v38
	v_mov_b32_e32 v19, 0
	s_nop 0
	v_cndmask_b32_e32 v21, v7, v9, vcc
	v_cndmask_b32_e32 v20, v6, v8, vcc
	v_lshl_add_u64 v[18:19], v[20:21], 0, v[18:19]
	s_waitcnt lgkmcnt(7)
	global_store_dword v[18:19], v27, off offset:2048
	s_or_b64 exec, exec, s[0:1]
	v_cmp_gt_u32_e32 vcc, s33, v44
	s_and_saveexec_b64 s[0:1], vcc
	s_cbranch_execz .LBB2162_85
.LBB2162_105:
	v_cmp_lt_u32_e32 vcc, v44, v38
	v_lshlrev_b32_e32 v20, 2, v44
	v_mov_b32_e32 v21, 0
	v_cndmask_b32_e32 v19, v7, v9, vcc
	v_cndmask_b32_e32 v18, v6, v8, vcc
	v_lshl_add_u64 v[18:19], v[18:19], 0, v[20:21]
	s_waitcnt lgkmcnt(6)
	global_store_dword v[18:19], v24, off
	s_or_b64 exec, exec, s[0:1]
	v_cmp_gt_u32_e32 vcc, s33, v43
	s_and_saveexec_b64 s[0:1], vcc
	s_cbranch_execz .LBB2162_86
.LBB2162_106:
	v_cmp_lt_u32_e32 vcc, v43, v38
	v_lshlrev_b32_e32 v20, 2, v43
	v_mov_b32_e32 v21, 0
	v_cndmask_b32_e32 v19, v7, v9, vcc
	v_cndmask_b32_e32 v18, v6, v8, vcc
	v_lshl_add_u64 v[18:19], v[18:19], 0, v[20:21]
	s_waitcnt lgkmcnt(6)
	global_store_dword v[18:19], v25, off
	s_or_b64 exec, exec, s[0:1]
	v_cmp_gt_u32_e32 vcc, s33, v42
	s_and_saveexec_b64 s[0:1], vcc
	s_cbranch_execz .LBB2162_87
.LBB2162_107:
	v_cmp_lt_u32_e32 vcc, v42, v38
	v_lshlrev_b32_e32 v20, 2, v42
	v_mov_b32_e32 v21, 0
	v_cndmask_b32_e32 v19, v7, v9, vcc
	v_cndmask_b32_e32 v18, v6, v8, vcc
	v_lshl_add_u64 v[18:19], v[18:19], 0, v[20:21]
	s_waitcnt lgkmcnt(5)
	global_store_dword v[18:19], v16, off
	s_or_b64 exec, exec, s[0:1]
	v_cmp_gt_u32_e32 vcc, s33, v37
	s_and_saveexec_b64 s[0:1], vcc
	s_cbranch_execz .LBB2162_88
.LBB2162_108:
	v_cmp_lt_u32_e32 vcc, v37, v38
	v_lshlrev_b32_e32 v20, 2, v37
	v_mov_b32_e32 v21, 0
	v_cndmask_b32_e32 v19, v7, v9, vcc
	v_cndmask_b32_e32 v18, v6, v8, vcc
	v_lshl_add_u64 v[18:19], v[18:19], 0, v[20:21]
	s_waitcnt lgkmcnt(5)
	global_store_dword v[18:19], v17, off
	s_or_b64 exec, exec, s[0:1]
	v_cmp_gt_u32_e32 vcc, s33, v36
	s_and_saveexec_b64 s[0:1], vcc
	s_cbranch_execz .LBB2162_89
.LBB2162_109:
	v_cmp_lt_u32_e32 vcc, v36, v38
	v_lshlrev_b32_e32 v18, 2, v36
	v_mov_b32_e32 v19, 0
	s_waitcnt lgkmcnt(5)
	v_cndmask_b32_e32 v17, v7, v9, vcc
	v_cndmask_b32_e32 v16, v6, v8, vcc
	v_lshl_add_u64 v[16:17], v[16:17], 0, v[18:19]
	s_waitcnt lgkmcnt(4)
	global_store_dword v[16:17], v14, off
	s_or_b64 exec, exec, s[0:1]
	v_cmp_gt_u32_e32 vcc, s33, v35
	s_and_saveexec_b64 s[0:1], vcc
	s_cbranch_execz .LBB2162_90
.LBB2162_110:
	v_cmp_lt_u32_e32 vcc, v35, v38
	v_lshlrev_b32_e32 v18, 2, v35
	v_mov_b32_e32 v19, 0
	s_waitcnt lgkmcnt(5)
	v_cndmask_b32_e32 v17, v7, v9, vcc
	v_cndmask_b32_e32 v16, v6, v8, vcc
	v_lshl_add_u64 v[16:17], v[16:17], 0, v[18:19]
	s_waitcnt lgkmcnt(4)
	global_store_dword v[16:17], v15, off
	s_or_b64 exec, exec, s[0:1]
	v_cmp_gt_u32_e32 vcc, s33, v34
	s_and_saveexec_b64 s[0:1], vcc
	s_cbranch_execz .LBB2162_91
.LBB2162_111:
	v_cmp_lt_u32_e32 vcc, v34, v38
	s_waitcnt lgkmcnt(5)
	v_lshlrev_b32_e32 v16, 2, v34
	v_mov_b32_e32 v17, 0
	s_waitcnt lgkmcnt(4)
	v_cndmask_b32_e32 v15, v7, v9, vcc
	v_cndmask_b32_e32 v14, v6, v8, vcc
	v_lshl_add_u64 v[14:15], v[14:15], 0, v[16:17]
	s_waitcnt lgkmcnt(3)
	global_store_dword v[14:15], v12, off
	s_or_b64 exec, exec, s[0:1]
	v_cmp_gt_u32_e32 vcc, s33, v33
	s_and_saveexec_b64 s[0:1], vcc
	s_cbranch_execz .LBB2162_92
.LBB2162_112:
	v_cmp_lt_u32_e32 vcc, v33, v38
	s_waitcnt lgkmcnt(5)
	v_lshlrev_b32_e32 v16, 2, v33
	v_mov_b32_e32 v17, 0
	s_waitcnt lgkmcnt(4)
	v_cndmask_b32_e32 v15, v7, v9, vcc
	v_cndmask_b32_e32 v14, v6, v8, vcc
	v_lshl_add_u64 v[14:15], v[14:15], 0, v[16:17]
	s_waitcnt lgkmcnt(3)
	global_store_dword v[14:15], v13, off
	s_or_b64 exec, exec, s[0:1]
	v_cmp_gt_u32_e32 vcc, s33, v32
	s_and_saveexec_b64 s[0:1], vcc
	s_cbranch_execz .LBB2162_93
.LBB2162_113:
	v_cmp_lt_u32_e32 vcc, v32, v38
	s_waitcnt lgkmcnt(4)
	v_lshlrev_b32_e32 v14, 2, v32
	v_mov_b32_e32 v15, 0
	s_waitcnt lgkmcnt(3)
	v_cndmask_b32_e32 v13, v7, v9, vcc
	v_cndmask_b32_e32 v12, v6, v8, vcc
	v_lshl_add_u64 v[12:13], v[12:13], 0, v[14:15]
	s_waitcnt lgkmcnt(2)
	global_store_dword v[12:13], v10, off
	s_or_b64 exec, exec, s[0:1]
	v_cmp_gt_u32_e32 vcc, s33, v31
	s_and_saveexec_b64 s[0:1], vcc
	s_cbranch_execz .LBB2162_94
.LBB2162_114:
	v_cmp_lt_u32_e32 vcc, v31, v38
	s_waitcnt lgkmcnt(4)
	v_lshlrev_b32_e32 v14, 2, v31
	v_mov_b32_e32 v15, 0
	s_waitcnt lgkmcnt(3)
	v_cndmask_b32_e32 v13, v7, v9, vcc
	v_cndmask_b32_e32 v12, v6, v8, vcc
	v_lshl_add_u64 v[12:13], v[12:13], 0, v[14:15]
	s_waitcnt lgkmcnt(2)
	global_store_dword v[12:13], v11, off
	s_or_b64 exec, exec, s[0:1]
	v_cmp_gt_u32_e32 vcc, s33, v30
	s_and_saveexec_b64 s[0:1], vcc
	s_cbranch_execz .LBB2162_95
.LBB2162_115:
	v_cmp_lt_u32_e32 vcc, v30, v38
	s_waitcnt lgkmcnt(3)
	v_lshlrev_b32_e32 v12, 2, v30
	v_mov_b32_e32 v13, 0
	s_waitcnt lgkmcnt(2)
	v_cndmask_b32_e32 v11, v7, v9, vcc
	v_cndmask_b32_e32 v10, v6, v8, vcc
	v_lshl_add_u64 v[10:11], v[10:11], 0, v[12:13]
	s_waitcnt lgkmcnt(1)
	global_store_dword v[10:11], v4, off
	s_or_b64 exec, exec, s[0:1]
	v_cmp_gt_u32_e32 vcc, s33, v29
	s_and_saveexec_b64 s[0:1], vcc
	s_cbranch_execnz .LBB2162_96
	s_branch .LBB2162_97
	.section	.rodata,"a",@progbits
	.p2align	6, 0x0
	.amdhsa_kernel _ZN7rocprim17ROCPRIM_400000_NS6detail17trampoline_kernelINS0_14default_configENS1_25partition_config_selectorILNS1_17partition_subalgoE0EjNS0_10empty_typeEbEEZZNS1_14partition_implILS5_0ELb0ES3_jN6thrust23THRUST_200600_302600_NS6detail15normal_iteratorINSA_10device_ptrIjEEEEPS6_SG_NS0_5tupleIJSF_SF_EEENSH_IJSG_SG_EEES6_PlJ7is_evenIjEEEE10hipError_tPvRmT3_T4_T5_T6_T7_T9_mT8_P12ihipStream_tbDpT10_ENKUlT_T0_E_clISt17integral_constantIbLb0EES15_IbLb1EEEEDaS11_S12_EUlS11_E_NS1_11comp_targetILNS1_3genE5ELNS1_11target_archE942ELNS1_3gpuE9ELNS1_3repE0EEENS1_30default_config_static_selectorELNS0_4arch9wavefront6targetE1EEEvT1_
		.amdhsa_group_segment_fixed_size 30728
		.amdhsa_private_segment_fixed_size 0
		.amdhsa_kernarg_size 136
		.amdhsa_user_sgpr_count 2
		.amdhsa_user_sgpr_dispatch_ptr 0
		.amdhsa_user_sgpr_queue_ptr 0
		.amdhsa_user_sgpr_kernarg_segment_ptr 1
		.amdhsa_user_sgpr_dispatch_id 0
		.amdhsa_user_sgpr_kernarg_preload_length 0
		.amdhsa_user_sgpr_kernarg_preload_offset 0
		.amdhsa_user_sgpr_private_segment_size 0
		.amdhsa_uses_dynamic_stack 0
		.amdhsa_enable_private_segment 0
		.amdhsa_system_sgpr_workgroup_id_x 1
		.amdhsa_system_sgpr_workgroup_id_y 0
		.amdhsa_system_sgpr_workgroup_id_z 0
		.amdhsa_system_sgpr_workgroup_info 0
		.amdhsa_system_vgpr_workitem_id 0
		.amdhsa_next_free_vgpr 80
		.amdhsa_next_free_sgpr 44
		.amdhsa_accum_offset 80
		.amdhsa_reserve_vcc 1
		.amdhsa_float_round_mode_32 0
		.amdhsa_float_round_mode_16_64 0
		.amdhsa_float_denorm_mode_32 3
		.amdhsa_float_denorm_mode_16_64 3
		.amdhsa_dx10_clamp 1
		.amdhsa_ieee_mode 1
		.amdhsa_fp16_overflow 0
		.amdhsa_tg_split 0
		.amdhsa_exception_fp_ieee_invalid_op 0
		.amdhsa_exception_fp_denorm_src 0
		.amdhsa_exception_fp_ieee_div_zero 0
		.amdhsa_exception_fp_ieee_overflow 0
		.amdhsa_exception_fp_ieee_underflow 0
		.amdhsa_exception_fp_ieee_inexact 0
		.amdhsa_exception_int_div_zero 0
	.end_amdhsa_kernel
	.section	.text._ZN7rocprim17ROCPRIM_400000_NS6detail17trampoline_kernelINS0_14default_configENS1_25partition_config_selectorILNS1_17partition_subalgoE0EjNS0_10empty_typeEbEEZZNS1_14partition_implILS5_0ELb0ES3_jN6thrust23THRUST_200600_302600_NS6detail15normal_iteratorINSA_10device_ptrIjEEEEPS6_SG_NS0_5tupleIJSF_SF_EEENSH_IJSG_SG_EEES6_PlJ7is_evenIjEEEE10hipError_tPvRmT3_T4_T5_T6_T7_T9_mT8_P12ihipStream_tbDpT10_ENKUlT_T0_E_clISt17integral_constantIbLb0EES15_IbLb1EEEEDaS11_S12_EUlS11_E_NS1_11comp_targetILNS1_3genE5ELNS1_11target_archE942ELNS1_3gpuE9ELNS1_3repE0EEENS1_30default_config_static_selectorELNS0_4arch9wavefront6targetE1EEEvT1_,"axG",@progbits,_ZN7rocprim17ROCPRIM_400000_NS6detail17trampoline_kernelINS0_14default_configENS1_25partition_config_selectorILNS1_17partition_subalgoE0EjNS0_10empty_typeEbEEZZNS1_14partition_implILS5_0ELb0ES3_jN6thrust23THRUST_200600_302600_NS6detail15normal_iteratorINSA_10device_ptrIjEEEEPS6_SG_NS0_5tupleIJSF_SF_EEENSH_IJSG_SG_EEES6_PlJ7is_evenIjEEEE10hipError_tPvRmT3_T4_T5_T6_T7_T9_mT8_P12ihipStream_tbDpT10_ENKUlT_T0_E_clISt17integral_constantIbLb0EES15_IbLb1EEEEDaS11_S12_EUlS11_E_NS1_11comp_targetILNS1_3genE5ELNS1_11target_archE942ELNS1_3gpuE9ELNS1_3repE0EEENS1_30default_config_static_selectorELNS0_4arch9wavefront6targetE1EEEvT1_,comdat
.Lfunc_end2162:
	.size	_ZN7rocprim17ROCPRIM_400000_NS6detail17trampoline_kernelINS0_14default_configENS1_25partition_config_selectorILNS1_17partition_subalgoE0EjNS0_10empty_typeEbEEZZNS1_14partition_implILS5_0ELb0ES3_jN6thrust23THRUST_200600_302600_NS6detail15normal_iteratorINSA_10device_ptrIjEEEEPS6_SG_NS0_5tupleIJSF_SF_EEENSH_IJSG_SG_EEES6_PlJ7is_evenIjEEEE10hipError_tPvRmT3_T4_T5_T6_T7_T9_mT8_P12ihipStream_tbDpT10_ENKUlT_T0_E_clISt17integral_constantIbLb0EES15_IbLb1EEEEDaS11_S12_EUlS11_E_NS1_11comp_targetILNS1_3genE5ELNS1_11target_archE942ELNS1_3gpuE9ELNS1_3repE0EEENS1_30default_config_static_selectorELNS0_4arch9wavefront6targetE1EEEvT1_, .Lfunc_end2162-_ZN7rocprim17ROCPRIM_400000_NS6detail17trampoline_kernelINS0_14default_configENS1_25partition_config_selectorILNS1_17partition_subalgoE0EjNS0_10empty_typeEbEEZZNS1_14partition_implILS5_0ELb0ES3_jN6thrust23THRUST_200600_302600_NS6detail15normal_iteratorINSA_10device_ptrIjEEEEPS6_SG_NS0_5tupleIJSF_SF_EEENSH_IJSG_SG_EEES6_PlJ7is_evenIjEEEE10hipError_tPvRmT3_T4_T5_T6_T7_T9_mT8_P12ihipStream_tbDpT10_ENKUlT_T0_E_clISt17integral_constantIbLb0EES15_IbLb1EEEEDaS11_S12_EUlS11_E_NS1_11comp_targetILNS1_3genE5ELNS1_11target_archE942ELNS1_3gpuE9ELNS1_3repE0EEENS1_30default_config_static_selectorELNS0_4arch9wavefront6targetE1EEEvT1_
                                        ; -- End function
	.section	.AMDGPU.csdata,"",@progbits
; Kernel info:
; codeLenInByte = 6748
; NumSgprs: 50
; NumVgprs: 80
; NumAgprs: 0
; TotalNumVgprs: 80
; ScratchSize: 0
; MemoryBound: 0
; FloatMode: 240
; IeeeMode: 1
; LDSByteSize: 30728 bytes/workgroup (compile time only)
; SGPRBlocks: 6
; VGPRBlocks: 9
; NumSGPRsForWavesPerEU: 50
; NumVGPRsForWavesPerEU: 80
; AccumOffset: 80
; Occupancy: 4
; WaveLimiterHint : 1
; COMPUTE_PGM_RSRC2:SCRATCH_EN: 0
; COMPUTE_PGM_RSRC2:USER_SGPR: 2
; COMPUTE_PGM_RSRC2:TRAP_HANDLER: 0
; COMPUTE_PGM_RSRC2:TGID_X_EN: 1
; COMPUTE_PGM_RSRC2:TGID_Y_EN: 0
; COMPUTE_PGM_RSRC2:TGID_Z_EN: 0
; COMPUTE_PGM_RSRC2:TIDIG_COMP_CNT: 0
; COMPUTE_PGM_RSRC3_GFX90A:ACCUM_OFFSET: 19
; COMPUTE_PGM_RSRC3_GFX90A:TG_SPLIT: 0
	.section	.text._ZN7rocprim17ROCPRIM_400000_NS6detail17trampoline_kernelINS0_14default_configENS1_25partition_config_selectorILNS1_17partition_subalgoE0EjNS0_10empty_typeEbEEZZNS1_14partition_implILS5_0ELb0ES3_jN6thrust23THRUST_200600_302600_NS6detail15normal_iteratorINSA_10device_ptrIjEEEEPS6_SG_NS0_5tupleIJSF_SF_EEENSH_IJSG_SG_EEES6_PlJ7is_evenIjEEEE10hipError_tPvRmT3_T4_T5_T6_T7_T9_mT8_P12ihipStream_tbDpT10_ENKUlT_T0_E_clISt17integral_constantIbLb0EES15_IbLb1EEEEDaS11_S12_EUlS11_E_NS1_11comp_targetILNS1_3genE4ELNS1_11target_archE910ELNS1_3gpuE8ELNS1_3repE0EEENS1_30default_config_static_selectorELNS0_4arch9wavefront6targetE1EEEvT1_,"axG",@progbits,_ZN7rocprim17ROCPRIM_400000_NS6detail17trampoline_kernelINS0_14default_configENS1_25partition_config_selectorILNS1_17partition_subalgoE0EjNS0_10empty_typeEbEEZZNS1_14partition_implILS5_0ELb0ES3_jN6thrust23THRUST_200600_302600_NS6detail15normal_iteratorINSA_10device_ptrIjEEEEPS6_SG_NS0_5tupleIJSF_SF_EEENSH_IJSG_SG_EEES6_PlJ7is_evenIjEEEE10hipError_tPvRmT3_T4_T5_T6_T7_T9_mT8_P12ihipStream_tbDpT10_ENKUlT_T0_E_clISt17integral_constantIbLb0EES15_IbLb1EEEEDaS11_S12_EUlS11_E_NS1_11comp_targetILNS1_3genE4ELNS1_11target_archE910ELNS1_3gpuE8ELNS1_3repE0EEENS1_30default_config_static_selectorELNS0_4arch9wavefront6targetE1EEEvT1_,comdat
	.protected	_ZN7rocprim17ROCPRIM_400000_NS6detail17trampoline_kernelINS0_14default_configENS1_25partition_config_selectorILNS1_17partition_subalgoE0EjNS0_10empty_typeEbEEZZNS1_14partition_implILS5_0ELb0ES3_jN6thrust23THRUST_200600_302600_NS6detail15normal_iteratorINSA_10device_ptrIjEEEEPS6_SG_NS0_5tupleIJSF_SF_EEENSH_IJSG_SG_EEES6_PlJ7is_evenIjEEEE10hipError_tPvRmT3_T4_T5_T6_T7_T9_mT8_P12ihipStream_tbDpT10_ENKUlT_T0_E_clISt17integral_constantIbLb0EES15_IbLb1EEEEDaS11_S12_EUlS11_E_NS1_11comp_targetILNS1_3genE4ELNS1_11target_archE910ELNS1_3gpuE8ELNS1_3repE0EEENS1_30default_config_static_selectorELNS0_4arch9wavefront6targetE1EEEvT1_ ; -- Begin function _ZN7rocprim17ROCPRIM_400000_NS6detail17trampoline_kernelINS0_14default_configENS1_25partition_config_selectorILNS1_17partition_subalgoE0EjNS0_10empty_typeEbEEZZNS1_14partition_implILS5_0ELb0ES3_jN6thrust23THRUST_200600_302600_NS6detail15normal_iteratorINSA_10device_ptrIjEEEEPS6_SG_NS0_5tupleIJSF_SF_EEENSH_IJSG_SG_EEES6_PlJ7is_evenIjEEEE10hipError_tPvRmT3_T4_T5_T6_T7_T9_mT8_P12ihipStream_tbDpT10_ENKUlT_T0_E_clISt17integral_constantIbLb0EES15_IbLb1EEEEDaS11_S12_EUlS11_E_NS1_11comp_targetILNS1_3genE4ELNS1_11target_archE910ELNS1_3gpuE8ELNS1_3repE0EEENS1_30default_config_static_selectorELNS0_4arch9wavefront6targetE1EEEvT1_
	.globl	_ZN7rocprim17ROCPRIM_400000_NS6detail17trampoline_kernelINS0_14default_configENS1_25partition_config_selectorILNS1_17partition_subalgoE0EjNS0_10empty_typeEbEEZZNS1_14partition_implILS5_0ELb0ES3_jN6thrust23THRUST_200600_302600_NS6detail15normal_iteratorINSA_10device_ptrIjEEEEPS6_SG_NS0_5tupleIJSF_SF_EEENSH_IJSG_SG_EEES6_PlJ7is_evenIjEEEE10hipError_tPvRmT3_T4_T5_T6_T7_T9_mT8_P12ihipStream_tbDpT10_ENKUlT_T0_E_clISt17integral_constantIbLb0EES15_IbLb1EEEEDaS11_S12_EUlS11_E_NS1_11comp_targetILNS1_3genE4ELNS1_11target_archE910ELNS1_3gpuE8ELNS1_3repE0EEENS1_30default_config_static_selectorELNS0_4arch9wavefront6targetE1EEEvT1_
	.p2align	8
	.type	_ZN7rocprim17ROCPRIM_400000_NS6detail17trampoline_kernelINS0_14default_configENS1_25partition_config_selectorILNS1_17partition_subalgoE0EjNS0_10empty_typeEbEEZZNS1_14partition_implILS5_0ELb0ES3_jN6thrust23THRUST_200600_302600_NS6detail15normal_iteratorINSA_10device_ptrIjEEEEPS6_SG_NS0_5tupleIJSF_SF_EEENSH_IJSG_SG_EEES6_PlJ7is_evenIjEEEE10hipError_tPvRmT3_T4_T5_T6_T7_T9_mT8_P12ihipStream_tbDpT10_ENKUlT_T0_E_clISt17integral_constantIbLb0EES15_IbLb1EEEEDaS11_S12_EUlS11_E_NS1_11comp_targetILNS1_3genE4ELNS1_11target_archE910ELNS1_3gpuE8ELNS1_3repE0EEENS1_30default_config_static_selectorELNS0_4arch9wavefront6targetE1EEEvT1_,@function
_ZN7rocprim17ROCPRIM_400000_NS6detail17trampoline_kernelINS0_14default_configENS1_25partition_config_selectorILNS1_17partition_subalgoE0EjNS0_10empty_typeEbEEZZNS1_14partition_implILS5_0ELb0ES3_jN6thrust23THRUST_200600_302600_NS6detail15normal_iteratorINSA_10device_ptrIjEEEEPS6_SG_NS0_5tupleIJSF_SF_EEENSH_IJSG_SG_EEES6_PlJ7is_evenIjEEEE10hipError_tPvRmT3_T4_T5_T6_T7_T9_mT8_P12ihipStream_tbDpT10_ENKUlT_T0_E_clISt17integral_constantIbLb0EES15_IbLb1EEEEDaS11_S12_EUlS11_E_NS1_11comp_targetILNS1_3genE4ELNS1_11target_archE910ELNS1_3gpuE8ELNS1_3repE0EEENS1_30default_config_static_selectorELNS0_4arch9wavefront6targetE1EEEvT1_: ; @_ZN7rocprim17ROCPRIM_400000_NS6detail17trampoline_kernelINS0_14default_configENS1_25partition_config_selectorILNS1_17partition_subalgoE0EjNS0_10empty_typeEbEEZZNS1_14partition_implILS5_0ELb0ES3_jN6thrust23THRUST_200600_302600_NS6detail15normal_iteratorINSA_10device_ptrIjEEEEPS6_SG_NS0_5tupleIJSF_SF_EEENSH_IJSG_SG_EEES6_PlJ7is_evenIjEEEE10hipError_tPvRmT3_T4_T5_T6_T7_T9_mT8_P12ihipStream_tbDpT10_ENKUlT_T0_E_clISt17integral_constantIbLb0EES15_IbLb1EEEEDaS11_S12_EUlS11_E_NS1_11comp_targetILNS1_3genE4ELNS1_11target_archE910ELNS1_3gpuE8ELNS1_3repE0EEENS1_30default_config_static_selectorELNS0_4arch9wavefront6targetE1EEEvT1_
; %bb.0:
	.section	.rodata,"a",@progbits
	.p2align	6, 0x0
	.amdhsa_kernel _ZN7rocprim17ROCPRIM_400000_NS6detail17trampoline_kernelINS0_14default_configENS1_25partition_config_selectorILNS1_17partition_subalgoE0EjNS0_10empty_typeEbEEZZNS1_14partition_implILS5_0ELb0ES3_jN6thrust23THRUST_200600_302600_NS6detail15normal_iteratorINSA_10device_ptrIjEEEEPS6_SG_NS0_5tupleIJSF_SF_EEENSH_IJSG_SG_EEES6_PlJ7is_evenIjEEEE10hipError_tPvRmT3_T4_T5_T6_T7_T9_mT8_P12ihipStream_tbDpT10_ENKUlT_T0_E_clISt17integral_constantIbLb0EES15_IbLb1EEEEDaS11_S12_EUlS11_E_NS1_11comp_targetILNS1_3genE4ELNS1_11target_archE910ELNS1_3gpuE8ELNS1_3repE0EEENS1_30default_config_static_selectorELNS0_4arch9wavefront6targetE1EEEvT1_
		.amdhsa_group_segment_fixed_size 0
		.amdhsa_private_segment_fixed_size 0
		.amdhsa_kernarg_size 136
		.amdhsa_user_sgpr_count 2
		.amdhsa_user_sgpr_dispatch_ptr 0
		.amdhsa_user_sgpr_queue_ptr 0
		.amdhsa_user_sgpr_kernarg_segment_ptr 1
		.amdhsa_user_sgpr_dispatch_id 0
		.amdhsa_user_sgpr_kernarg_preload_length 0
		.amdhsa_user_sgpr_kernarg_preload_offset 0
		.amdhsa_user_sgpr_private_segment_size 0
		.amdhsa_uses_dynamic_stack 0
		.amdhsa_enable_private_segment 0
		.amdhsa_system_sgpr_workgroup_id_x 1
		.amdhsa_system_sgpr_workgroup_id_y 0
		.amdhsa_system_sgpr_workgroup_id_z 0
		.amdhsa_system_sgpr_workgroup_info 0
		.amdhsa_system_vgpr_workitem_id 0
		.amdhsa_next_free_vgpr 1
		.amdhsa_next_free_sgpr 0
		.amdhsa_accum_offset 4
		.amdhsa_reserve_vcc 0
		.amdhsa_float_round_mode_32 0
		.amdhsa_float_round_mode_16_64 0
		.amdhsa_float_denorm_mode_32 3
		.amdhsa_float_denorm_mode_16_64 3
		.amdhsa_dx10_clamp 1
		.amdhsa_ieee_mode 1
		.amdhsa_fp16_overflow 0
		.amdhsa_tg_split 0
		.amdhsa_exception_fp_ieee_invalid_op 0
		.amdhsa_exception_fp_denorm_src 0
		.amdhsa_exception_fp_ieee_div_zero 0
		.amdhsa_exception_fp_ieee_overflow 0
		.amdhsa_exception_fp_ieee_underflow 0
		.amdhsa_exception_fp_ieee_inexact 0
		.amdhsa_exception_int_div_zero 0
	.end_amdhsa_kernel
	.section	.text._ZN7rocprim17ROCPRIM_400000_NS6detail17trampoline_kernelINS0_14default_configENS1_25partition_config_selectorILNS1_17partition_subalgoE0EjNS0_10empty_typeEbEEZZNS1_14partition_implILS5_0ELb0ES3_jN6thrust23THRUST_200600_302600_NS6detail15normal_iteratorINSA_10device_ptrIjEEEEPS6_SG_NS0_5tupleIJSF_SF_EEENSH_IJSG_SG_EEES6_PlJ7is_evenIjEEEE10hipError_tPvRmT3_T4_T5_T6_T7_T9_mT8_P12ihipStream_tbDpT10_ENKUlT_T0_E_clISt17integral_constantIbLb0EES15_IbLb1EEEEDaS11_S12_EUlS11_E_NS1_11comp_targetILNS1_3genE4ELNS1_11target_archE910ELNS1_3gpuE8ELNS1_3repE0EEENS1_30default_config_static_selectorELNS0_4arch9wavefront6targetE1EEEvT1_,"axG",@progbits,_ZN7rocprim17ROCPRIM_400000_NS6detail17trampoline_kernelINS0_14default_configENS1_25partition_config_selectorILNS1_17partition_subalgoE0EjNS0_10empty_typeEbEEZZNS1_14partition_implILS5_0ELb0ES3_jN6thrust23THRUST_200600_302600_NS6detail15normal_iteratorINSA_10device_ptrIjEEEEPS6_SG_NS0_5tupleIJSF_SF_EEENSH_IJSG_SG_EEES6_PlJ7is_evenIjEEEE10hipError_tPvRmT3_T4_T5_T6_T7_T9_mT8_P12ihipStream_tbDpT10_ENKUlT_T0_E_clISt17integral_constantIbLb0EES15_IbLb1EEEEDaS11_S12_EUlS11_E_NS1_11comp_targetILNS1_3genE4ELNS1_11target_archE910ELNS1_3gpuE8ELNS1_3repE0EEENS1_30default_config_static_selectorELNS0_4arch9wavefront6targetE1EEEvT1_,comdat
.Lfunc_end2163:
	.size	_ZN7rocprim17ROCPRIM_400000_NS6detail17trampoline_kernelINS0_14default_configENS1_25partition_config_selectorILNS1_17partition_subalgoE0EjNS0_10empty_typeEbEEZZNS1_14partition_implILS5_0ELb0ES3_jN6thrust23THRUST_200600_302600_NS6detail15normal_iteratorINSA_10device_ptrIjEEEEPS6_SG_NS0_5tupleIJSF_SF_EEENSH_IJSG_SG_EEES6_PlJ7is_evenIjEEEE10hipError_tPvRmT3_T4_T5_T6_T7_T9_mT8_P12ihipStream_tbDpT10_ENKUlT_T0_E_clISt17integral_constantIbLb0EES15_IbLb1EEEEDaS11_S12_EUlS11_E_NS1_11comp_targetILNS1_3genE4ELNS1_11target_archE910ELNS1_3gpuE8ELNS1_3repE0EEENS1_30default_config_static_selectorELNS0_4arch9wavefront6targetE1EEEvT1_, .Lfunc_end2163-_ZN7rocprim17ROCPRIM_400000_NS6detail17trampoline_kernelINS0_14default_configENS1_25partition_config_selectorILNS1_17partition_subalgoE0EjNS0_10empty_typeEbEEZZNS1_14partition_implILS5_0ELb0ES3_jN6thrust23THRUST_200600_302600_NS6detail15normal_iteratorINSA_10device_ptrIjEEEEPS6_SG_NS0_5tupleIJSF_SF_EEENSH_IJSG_SG_EEES6_PlJ7is_evenIjEEEE10hipError_tPvRmT3_T4_T5_T6_T7_T9_mT8_P12ihipStream_tbDpT10_ENKUlT_T0_E_clISt17integral_constantIbLb0EES15_IbLb1EEEEDaS11_S12_EUlS11_E_NS1_11comp_targetILNS1_3genE4ELNS1_11target_archE910ELNS1_3gpuE8ELNS1_3repE0EEENS1_30default_config_static_selectorELNS0_4arch9wavefront6targetE1EEEvT1_
                                        ; -- End function
	.section	.AMDGPU.csdata,"",@progbits
; Kernel info:
; codeLenInByte = 0
; NumSgprs: 6
; NumVgprs: 0
; NumAgprs: 0
; TotalNumVgprs: 0
; ScratchSize: 0
; MemoryBound: 0
; FloatMode: 240
; IeeeMode: 1
; LDSByteSize: 0 bytes/workgroup (compile time only)
; SGPRBlocks: 0
; VGPRBlocks: 0
; NumSGPRsForWavesPerEU: 6
; NumVGPRsForWavesPerEU: 1
; AccumOffset: 4
; Occupancy: 8
; WaveLimiterHint : 0
; COMPUTE_PGM_RSRC2:SCRATCH_EN: 0
; COMPUTE_PGM_RSRC2:USER_SGPR: 2
; COMPUTE_PGM_RSRC2:TRAP_HANDLER: 0
; COMPUTE_PGM_RSRC2:TGID_X_EN: 1
; COMPUTE_PGM_RSRC2:TGID_Y_EN: 0
; COMPUTE_PGM_RSRC2:TGID_Z_EN: 0
; COMPUTE_PGM_RSRC2:TIDIG_COMP_CNT: 0
; COMPUTE_PGM_RSRC3_GFX90A:ACCUM_OFFSET: 0
; COMPUTE_PGM_RSRC3_GFX90A:TG_SPLIT: 0
	.section	.text._ZN7rocprim17ROCPRIM_400000_NS6detail17trampoline_kernelINS0_14default_configENS1_25partition_config_selectorILNS1_17partition_subalgoE0EjNS0_10empty_typeEbEEZZNS1_14partition_implILS5_0ELb0ES3_jN6thrust23THRUST_200600_302600_NS6detail15normal_iteratorINSA_10device_ptrIjEEEEPS6_SG_NS0_5tupleIJSF_SF_EEENSH_IJSG_SG_EEES6_PlJ7is_evenIjEEEE10hipError_tPvRmT3_T4_T5_T6_T7_T9_mT8_P12ihipStream_tbDpT10_ENKUlT_T0_E_clISt17integral_constantIbLb0EES15_IbLb1EEEEDaS11_S12_EUlS11_E_NS1_11comp_targetILNS1_3genE3ELNS1_11target_archE908ELNS1_3gpuE7ELNS1_3repE0EEENS1_30default_config_static_selectorELNS0_4arch9wavefront6targetE1EEEvT1_,"axG",@progbits,_ZN7rocprim17ROCPRIM_400000_NS6detail17trampoline_kernelINS0_14default_configENS1_25partition_config_selectorILNS1_17partition_subalgoE0EjNS0_10empty_typeEbEEZZNS1_14partition_implILS5_0ELb0ES3_jN6thrust23THRUST_200600_302600_NS6detail15normal_iteratorINSA_10device_ptrIjEEEEPS6_SG_NS0_5tupleIJSF_SF_EEENSH_IJSG_SG_EEES6_PlJ7is_evenIjEEEE10hipError_tPvRmT3_T4_T5_T6_T7_T9_mT8_P12ihipStream_tbDpT10_ENKUlT_T0_E_clISt17integral_constantIbLb0EES15_IbLb1EEEEDaS11_S12_EUlS11_E_NS1_11comp_targetILNS1_3genE3ELNS1_11target_archE908ELNS1_3gpuE7ELNS1_3repE0EEENS1_30default_config_static_selectorELNS0_4arch9wavefront6targetE1EEEvT1_,comdat
	.protected	_ZN7rocprim17ROCPRIM_400000_NS6detail17trampoline_kernelINS0_14default_configENS1_25partition_config_selectorILNS1_17partition_subalgoE0EjNS0_10empty_typeEbEEZZNS1_14partition_implILS5_0ELb0ES3_jN6thrust23THRUST_200600_302600_NS6detail15normal_iteratorINSA_10device_ptrIjEEEEPS6_SG_NS0_5tupleIJSF_SF_EEENSH_IJSG_SG_EEES6_PlJ7is_evenIjEEEE10hipError_tPvRmT3_T4_T5_T6_T7_T9_mT8_P12ihipStream_tbDpT10_ENKUlT_T0_E_clISt17integral_constantIbLb0EES15_IbLb1EEEEDaS11_S12_EUlS11_E_NS1_11comp_targetILNS1_3genE3ELNS1_11target_archE908ELNS1_3gpuE7ELNS1_3repE0EEENS1_30default_config_static_selectorELNS0_4arch9wavefront6targetE1EEEvT1_ ; -- Begin function _ZN7rocprim17ROCPRIM_400000_NS6detail17trampoline_kernelINS0_14default_configENS1_25partition_config_selectorILNS1_17partition_subalgoE0EjNS0_10empty_typeEbEEZZNS1_14partition_implILS5_0ELb0ES3_jN6thrust23THRUST_200600_302600_NS6detail15normal_iteratorINSA_10device_ptrIjEEEEPS6_SG_NS0_5tupleIJSF_SF_EEENSH_IJSG_SG_EEES6_PlJ7is_evenIjEEEE10hipError_tPvRmT3_T4_T5_T6_T7_T9_mT8_P12ihipStream_tbDpT10_ENKUlT_T0_E_clISt17integral_constantIbLb0EES15_IbLb1EEEEDaS11_S12_EUlS11_E_NS1_11comp_targetILNS1_3genE3ELNS1_11target_archE908ELNS1_3gpuE7ELNS1_3repE0EEENS1_30default_config_static_selectorELNS0_4arch9wavefront6targetE1EEEvT1_
	.globl	_ZN7rocprim17ROCPRIM_400000_NS6detail17trampoline_kernelINS0_14default_configENS1_25partition_config_selectorILNS1_17partition_subalgoE0EjNS0_10empty_typeEbEEZZNS1_14partition_implILS5_0ELb0ES3_jN6thrust23THRUST_200600_302600_NS6detail15normal_iteratorINSA_10device_ptrIjEEEEPS6_SG_NS0_5tupleIJSF_SF_EEENSH_IJSG_SG_EEES6_PlJ7is_evenIjEEEE10hipError_tPvRmT3_T4_T5_T6_T7_T9_mT8_P12ihipStream_tbDpT10_ENKUlT_T0_E_clISt17integral_constantIbLb0EES15_IbLb1EEEEDaS11_S12_EUlS11_E_NS1_11comp_targetILNS1_3genE3ELNS1_11target_archE908ELNS1_3gpuE7ELNS1_3repE0EEENS1_30default_config_static_selectorELNS0_4arch9wavefront6targetE1EEEvT1_
	.p2align	8
	.type	_ZN7rocprim17ROCPRIM_400000_NS6detail17trampoline_kernelINS0_14default_configENS1_25partition_config_selectorILNS1_17partition_subalgoE0EjNS0_10empty_typeEbEEZZNS1_14partition_implILS5_0ELb0ES3_jN6thrust23THRUST_200600_302600_NS6detail15normal_iteratorINSA_10device_ptrIjEEEEPS6_SG_NS0_5tupleIJSF_SF_EEENSH_IJSG_SG_EEES6_PlJ7is_evenIjEEEE10hipError_tPvRmT3_T4_T5_T6_T7_T9_mT8_P12ihipStream_tbDpT10_ENKUlT_T0_E_clISt17integral_constantIbLb0EES15_IbLb1EEEEDaS11_S12_EUlS11_E_NS1_11comp_targetILNS1_3genE3ELNS1_11target_archE908ELNS1_3gpuE7ELNS1_3repE0EEENS1_30default_config_static_selectorELNS0_4arch9wavefront6targetE1EEEvT1_,@function
_ZN7rocprim17ROCPRIM_400000_NS6detail17trampoline_kernelINS0_14default_configENS1_25partition_config_selectorILNS1_17partition_subalgoE0EjNS0_10empty_typeEbEEZZNS1_14partition_implILS5_0ELb0ES3_jN6thrust23THRUST_200600_302600_NS6detail15normal_iteratorINSA_10device_ptrIjEEEEPS6_SG_NS0_5tupleIJSF_SF_EEENSH_IJSG_SG_EEES6_PlJ7is_evenIjEEEE10hipError_tPvRmT3_T4_T5_T6_T7_T9_mT8_P12ihipStream_tbDpT10_ENKUlT_T0_E_clISt17integral_constantIbLb0EES15_IbLb1EEEEDaS11_S12_EUlS11_E_NS1_11comp_targetILNS1_3genE3ELNS1_11target_archE908ELNS1_3gpuE7ELNS1_3repE0EEENS1_30default_config_static_selectorELNS0_4arch9wavefront6targetE1EEEvT1_: ; @_ZN7rocprim17ROCPRIM_400000_NS6detail17trampoline_kernelINS0_14default_configENS1_25partition_config_selectorILNS1_17partition_subalgoE0EjNS0_10empty_typeEbEEZZNS1_14partition_implILS5_0ELb0ES3_jN6thrust23THRUST_200600_302600_NS6detail15normal_iteratorINSA_10device_ptrIjEEEEPS6_SG_NS0_5tupleIJSF_SF_EEENSH_IJSG_SG_EEES6_PlJ7is_evenIjEEEE10hipError_tPvRmT3_T4_T5_T6_T7_T9_mT8_P12ihipStream_tbDpT10_ENKUlT_T0_E_clISt17integral_constantIbLb0EES15_IbLb1EEEEDaS11_S12_EUlS11_E_NS1_11comp_targetILNS1_3genE3ELNS1_11target_archE908ELNS1_3gpuE7ELNS1_3repE0EEENS1_30default_config_static_selectorELNS0_4arch9wavefront6targetE1EEEvT1_
; %bb.0:
	.section	.rodata,"a",@progbits
	.p2align	6, 0x0
	.amdhsa_kernel _ZN7rocprim17ROCPRIM_400000_NS6detail17trampoline_kernelINS0_14default_configENS1_25partition_config_selectorILNS1_17partition_subalgoE0EjNS0_10empty_typeEbEEZZNS1_14partition_implILS5_0ELb0ES3_jN6thrust23THRUST_200600_302600_NS6detail15normal_iteratorINSA_10device_ptrIjEEEEPS6_SG_NS0_5tupleIJSF_SF_EEENSH_IJSG_SG_EEES6_PlJ7is_evenIjEEEE10hipError_tPvRmT3_T4_T5_T6_T7_T9_mT8_P12ihipStream_tbDpT10_ENKUlT_T0_E_clISt17integral_constantIbLb0EES15_IbLb1EEEEDaS11_S12_EUlS11_E_NS1_11comp_targetILNS1_3genE3ELNS1_11target_archE908ELNS1_3gpuE7ELNS1_3repE0EEENS1_30default_config_static_selectorELNS0_4arch9wavefront6targetE1EEEvT1_
		.amdhsa_group_segment_fixed_size 0
		.amdhsa_private_segment_fixed_size 0
		.amdhsa_kernarg_size 136
		.amdhsa_user_sgpr_count 2
		.amdhsa_user_sgpr_dispatch_ptr 0
		.amdhsa_user_sgpr_queue_ptr 0
		.amdhsa_user_sgpr_kernarg_segment_ptr 1
		.amdhsa_user_sgpr_dispatch_id 0
		.amdhsa_user_sgpr_kernarg_preload_length 0
		.amdhsa_user_sgpr_kernarg_preload_offset 0
		.amdhsa_user_sgpr_private_segment_size 0
		.amdhsa_uses_dynamic_stack 0
		.amdhsa_enable_private_segment 0
		.amdhsa_system_sgpr_workgroup_id_x 1
		.amdhsa_system_sgpr_workgroup_id_y 0
		.amdhsa_system_sgpr_workgroup_id_z 0
		.amdhsa_system_sgpr_workgroup_info 0
		.amdhsa_system_vgpr_workitem_id 0
		.amdhsa_next_free_vgpr 1
		.amdhsa_next_free_sgpr 0
		.amdhsa_accum_offset 4
		.amdhsa_reserve_vcc 0
		.amdhsa_float_round_mode_32 0
		.amdhsa_float_round_mode_16_64 0
		.amdhsa_float_denorm_mode_32 3
		.amdhsa_float_denorm_mode_16_64 3
		.amdhsa_dx10_clamp 1
		.amdhsa_ieee_mode 1
		.amdhsa_fp16_overflow 0
		.amdhsa_tg_split 0
		.amdhsa_exception_fp_ieee_invalid_op 0
		.amdhsa_exception_fp_denorm_src 0
		.amdhsa_exception_fp_ieee_div_zero 0
		.amdhsa_exception_fp_ieee_overflow 0
		.amdhsa_exception_fp_ieee_underflow 0
		.amdhsa_exception_fp_ieee_inexact 0
		.amdhsa_exception_int_div_zero 0
	.end_amdhsa_kernel
	.section	.text._ZN7rocprim17ROCPRIM_400000_NS6detail17trampoline_kernelINS0_14default_configENS1_25partition_config_selectorILNS1_17partition_subalgoE0EjNS0_10empty_typeEbEEZZNS1_14partition_implILS5_0ELb0ES3_jN6thrust23THRUST_200600_302600_NS6detail15normal_iteratorINSA_10device_ptrIjEEEEPS6_SG_NS0_5tupleIJSF_SF_EEENSH_IJSG_SG_EEES6_PlJ7is_evenIjEEEE10hipError_tPvRmT3_T4_T5_T6_T7_T9_mT8_P12ihipStream_tbDpT10_ENKUlT_T0_E_clISt17integral_constantIbLb0EES15_IbLb1EEEEDaS11_S12_EUlS11_E_NS1_11comp_targetILNS1_3genE3ELNS1_11target_archE908ELNS1_3gpuE7ELNS1_3repE0EEENS1_30default_config_static_selectorELNS0_4arch9wavefront6targetE1EEEvT1_,"axG",@progbits,_ZN7rocprim17ROCPRIM_400000_NS6detail17trampoline_kernelINS0_14default_configENS1_25partition_config_selectorILNS1_17partition_subalgoE0EjNS0_10empty_typeEbEEZZNS1_14partition_implILS5_0ELb0ES3_jN6thrust23THRUST_200600_302600_NS6detail15normal_iteratorINSA_10device_ptrIjEEEEPS6_SG_NS0_5tupleIJSF_SF_EEENSH_IJSG_SG_EEES6_PlJ7is_evenIjEEEE10hipError_tPvRmT3_T4_T5_T6_T7_T9_mT8_P12ihipStream_tbDpT10_ENKUlT_T0_E_clISt17integral_constantIbLb0EES15_IbLb1EEEEDaS11_S12_EUlS11_E_NS1_11comp_targetILNS1_3genE3ELNS1_11target_archE908ELNS1_3gpuE7ELNS1_3repE0EEENS1_30default_config_static_selectorELNS0_4arch9wavefront6targetE1EEEvT1_,comdat
.Lfunc_end2164:
	.size	_ZN7rocprim17ROCPRIM_400000_NS6detail17trampoline_kernelINS0_14default_configENS1_25partition_config_selectorILNS1_17partition_subalgoE0EjNS0_10empty_typeEbEEZZNS1_14partition_implILS5_0ELb0ES3_jN6thrust23THRUST_200600_302600_NS6detail15normal_iteratorINSA_10device_ptrIjEEEEPS6_SG_NS0_5tupleIJSF_SF_EEENSH_IJSG_SG_EEES6_PlJ7is_evenIjEEEE10hipError_tPvRmT3_T4_T5_T6_T7_T9_mT8_P12ihipStream_tbDpT10_ENKUlT_T0_E_clISt17integral_constantIbLb0EES15_IbLb1EEEEDaS11_S12_EUlS11_E_NS1_11comp_targetILNS1_3genE3ELNS1_11target_archE908ELNS1_3gpuE7ELNS1_3repE0EEENS1_30default_config_static_selectorELNS0_4arch9wavefront6targetE1EEEvT1_, .Lfunc_end2164-_ZN7rocprim17ROCPRIM_400000_NS6detail17trampoline_kernelINS0_14default_configENS1_25partition_config_selectorILNS1_17partition_subalgoE0EjNS0_10empty_typeEbEEZZNS1_14partition_implILS5_0ELb0ES3_jN6thrust23THRUST_200600_302600_NS6detail15normal_iteratorINSA_10device_ptrIjEEEEPS6_SG_NS0_5tupleIJSF_SF_EEENSH_IJSG_SG_EEES6_PlJ7is_evenIjEEEE10hipError_tPvRmT3_T4_T5_T6_T7_T9_mT8_P12ihipStream_tbDpT10_ENKUlT_T0_E_clISt17integral_constantIbLb0EES15_IbLb1EEEEDaS11_S12_EUlS11_E_NS1_11comp_targetILNS1_3genE3ELNS1_11target_archE908ELNS1_3gpuE7ELNS1_3repE0EEENS1_30default_config_static_selectorELNS0_4arch9wavefront6targetE1EEEvT1_
                                        ; -- End function
	.section	.AMDGPU.csdata,"",@progbits
; Kernel info:
; codeLenInByte = 0
; NumSgprs: 6
; NumVgprs: 0
; NumAgprs: 0
; TotalNumVgprs: 0
; ScratchSize: 0
; MemoryBound: 0
; FloatMode: 240
; IeeeMode: 1
; LDSByteSize: 0 bytes/workgroup (compile time only)
; SGPRBlocks: 0
; VGPRBlocks: 0
; NumSGPRsForWavesPerEU: 6
; NumVGPRsForWavesPerEU: 1
; AccumOffset: 4
; Occupancy: 8
; WaveLimiterHint : 0
; COMPUTE_PGM_RSRC2:SCRATCH_EN: 0
; COMPUTE_PGM_RSRC2:USER_SGPR: 2
; COMPUTE_PGM_RSRC2:TRAP_HANDLER: 0
; COMPUTE_PGM_RSRC2:TGID_X_EN: 1
; COMPUTE_PGM_RSRC2:TGID_Y_EN: 0
; COMPUTE_PGM_RSRC2:TGID_Z_EN: 0
; COMPUTE_PGM_RSRC2:TIDIG_COMP_CNT: 0
; COMPUTE_PGM_RSRC3_GFX90A:ACCUM_OFFSET: 0
; COMPUTE_PGM_RSRC3_GFX90A:TG_SPLIT: 0
	.section	.text._ZN7rocprim17ROCPRIM_400000_NS6detail17trampoline_kernelINS0_14default_configENS1_25partition_config_selectorILNS1_17partition_subalgoE0EjNS0_10empty_typeEbEEZZNS1_14partition_implILS5_0ELb0ES3_jN6thrust23THRUST_200600_302600_NS6detail15normal_iteratorINSA_10device_ptrIjEEEEPS6_SG_NS0_5tupleIJSF_SF_EEENSH_IJSG_SG_EEES6_PlJ7is_evenIjEEEE10hipError_tPvRmT3_T4_T5_T6_T7_T9_mT8_P12ihipStream_tbDpT10_ENKUlT_T0_E_clISt17integral_constantIbLb0EES15_IbLb1EEEEDaS11_S12_EUlS11_E_NS1_11comp_targetILNS1_3genE2ELNS1_11target_archE906ELNS1_3gpuE6ELNS1_3repE0EEENS1_30default_config_static_selectorELNS0_4arch9wavefront6targetE1EEEvT1_,"axG",@progbits,_ZN7rocprim17ROCPRIM_400000_NS6detail17trampoline_kernelINS0_14default_configENS1_25partition_config_selectorILNS1_17partition_subalgoE0EjNS0_10empty_typeEbEEZZNS1_14partition_implILS5_0ELb0ES3_jN6thrust23THRUST_200600_302600_NS6detail15normal_iteratorINSA_10device_ptrIjEEEEPS6_SG_NS0_5tupleIJSF_SF_EEENSH_IJSG_SG_EEES6_PlJ7is_evenIjEEEE10hipError_tPvRmT3_T4_T5_T6_T7_T9_mT8_P12ihipStream_tbDpT10_ENKUlT_T0_E_clISt17integral_constantIbLb0EES15_IbLb1EEEEDaS11_S12_EUlS11_E_NS1_11comp_targetILNS1_3genE2ELNS1_11target_archE906ELNS1_3gpuE6ELNS1_3repE0EEENS1_30default_config_static_selectorELNS0_4arch9wavefront6targetE1EEEvT1_,comdat
	.protected	_ZN7rocprim17ROCPRIM_400000_NS6detail17trampoline_kernelINS0_14default_configENS1_25partition_config_selectorILNS1_17partition_subalgoE0EjNS0_10empty_typeEbEEZZNS1_14partition_implILS5_0ELb0ES3_jN6thrust23THRUST_200600_302600_NS6detail15normal_iteratorINSA_10device_ptrIjEEEEPS6_SG_NS0_5tupleIJSF_SF_EEENSH_IJSG_SG_EEES6_PlJ7is_evenIjEEEE10hipError_tPvRmT3_T4_T5_T6_T7_T9_mT8_P12ihipStream_tbDpT10_ENKUlT_T0_E_clISt17integral_constantIbLb0EES15_IbLb1EEEEDaS11_S12_EUlS11_E_NS1_11comp_targetILNS1_3genE2ELNS1_11target_archE906ELNS1_3gpuE6ELNS1_3repE0EEENS1_30default_config_static_selectorELNS0_4arch9wavefront6targetE1EEEvT1_ ; -- Begin function _ZN7rocprim17ROCPRIM_400000_NS6detail17trampoline_kernelINS0_14default_configENS1_25partition_config_selectorILNS1_17partition_subalgoE0EjNS0_10empty_typeEbEEZZNS1_14partition_implILS5_0ELb0ES3_jN6thrust23THRUST_200600_302600_NS6detail15normal_iteratorINSA_10device_ptrIjEEEEPS6_SG_NS0_5tupleIJSF_SF_EEENSH_IJSG_SG_EEES6_PlJ7is_evenIjEEEE10hipError_tPvRmT3_T4_T5_T6_T7_T9_mT8_P12ihipStream_tbDpT10_ENKUlT_T0_E_clISt17integral_constantIbLb0EES15_IbLb1EEEEDaS11_S12_EUlS11_E_NS1_11comp_targetILNS1_3genE2ELNS1_11target_archE906ELNS1_3gpuE6ELNS1_3repE0EEENS1_30default_config_static_selectorELNS0_4arch9wavefront6targetE1EEEvT1_
	.globl	_ZN7rocprim17ROCPRIM_400000_NS6detail17trampoline_kernelINS0_14default_configENS1_25partition_config_selectorILNS1_17partition_subalgoE0EjNS0_10empty_typeEbEEZZNS1_14partition_implILS5_0ELb0ES3_jN6thrust23THRUST_200600_302600_NS6detail15normal_iteratorINSA_10device_ptrIjEEEEPS6_SG_NS0_5tupleIJSF_SF_EEENSH_IJSG_SG_EEES6_PlJ7is_evenIjEEEE10hipError_tPvRmT3_T4_T5_T6_T7_T9_mT8_P12ihipStream_tbDpT10_ENKUlT_T0_E_clISt17integral_constantIbLb0EES15_IbLb1EEEEDaS11_S12_EUlS11_E_NS1_11comp_targetILNS1_3genE2ELNS1_11target_archE906ELNS1_3gpuE6ELNS1_3repE0EEENS1_30default_config_static_selectorELNS0_4arch9wavefront6targetE1EEEvT1_
	.p2align	8
	.type	_ZN7rocprim17ROCPRIM_400000_NS6detail17trampoline_kernelINS0_14default_configENS1_25partition_config_selectorILNS1_17partition_subalgoE0EjNS0_10empty_typeEbEEZZNS1_14partition_implILS5_0ELb0ES3_jN6thrust23THRUST_200600_302600_NS6detail15normal_iteratorINSA_10device_ptrIjEEEEPS6_SG_NS0_5tupleIJSF_SF_EEENSH_IJSG_SG_EEES6_PlJ7is_evenIjEEEE10hipError_tPvRmT3_T4_T5_T6_T7_T9_mT8_P12ihipStream_tbDpT10_ENKUlT_T0_E_clISt17integral_constantIbLb0EES15_IbLb1EEEEDaS11_S12_EUlS11_E_NS1_11comp_targetILNS1_3genE2ELNS1_11target_archE906ELNS1_3gpuE6ELNS1_3repE0EEENS1_30default_config_static_selectorELNS0_4arch9wavefront6targetE1EEEvT1_,@function
_ZN7rocprim17ROCPRIM_400000_NS6detail17trampoline_kernelINS0_14default_configENS1_25partition_config_selectorILNS1_17partition_subalgoE0EjNS0_10empty_typeEbEEZZNS1_14partition_implILS5_0ELb0ES3_jN6thrust23THRUST_200600_302600_NS6detail15normal_iteratorINSA_10device_ptrIjEEEEPS6_SG_NS0_5tupleIJSF_SF_EEENSH_IJSG_SG_EEES6_PlJ7is_evenIjEEEE10hipError_tPvRmT3_T4_T5_T6_T7_T9_mT8_P12ihipStream_tbDpT10_ENKUlT_T0_E_clISt17integral_constantIbLb0EES15_IbLb1EEEEDaS11_S12_EUlS11_E_NS1_11comp_targetILNS1_3genE2ELNS1_11target_archE906ELNS1_3gpuE6ELNS1_3repE0EEENS1_30default_config_static_selectorELNS0_4arch9wavefront6targetE1EEEvT1_: ; @_ZN7rocprim17ROCPRIM_400000_NS6detail17trampoline_kernelINS0_14default_configENS1_25partition_config_selectorILNS1_17partition_subalgoE0EjNS0_10empty_typeEbEEZZNS1_14partition_implILS5_0ELb0ES3_jN6thrust23THRUST_200600_302600_NS6detail15normal_iteratorINSA_10device_ptrIjEEEEPS6_SG_NS0_5tupleIJSF_SF_EEENSH_IJSG_SG_EEES6_PlJ7is_evenIjEEEE10hipError_tPvRmT3_T4_T5_T6_T7_T9_mT8_P12ihipStream_tbDpT10_ENKUlT_T0_E_clISt17integral_constantIbLb0EES15_IbLb1EEEEDaS11_S12_EUlS11_E_NS1_11comp_targetILNS1_3genE2ELNS1_11target_archE906ELNS1_3gpuE6ELNS1_3repE0EEENS1_30default_config_static_selectorELNS0_4arch9wavefront6targetE1EEEvT1_
; %bb.0:
	.section	.rodata,"a",@progbits
	.p2align	6, 0x0
	.amdhsa_kernel _ZN7rocprim17ROCPRIM_400000_NS6detail17trampoline_kernelINS0_14default_configENS1_25partition_config_selectorILNS1_17partition_subalgoE0EjNS0_10empty_typeEbEEZZNS1_14partition_implILS5_0ELb0ES3_jN6thrust23THRUST_200600_302600_NS6detail15normal_iteratorINSA_10device_ptrIjEEEEPS6_SG_NS0_5tupleIJSF_SF_EEENSH_IJSG_SG_EEES6_PlJ7is_evenIjEEEE10hipError_tPvRmT3_T4_T5_T6_T7_T9_mT8_P12ihipStream_tbDpT10_ENKUlT_T0_E_clISt17integral_constantIbLb0EES15_IbLb1EEEEDaS11_S12_EUlS11_E_NS1_11comp_targetILNS1_3genE2ELNS1_11target_archE906ELNS1_3gpuE6ELNS1_3repE0EEENS1_30default_config_static_selectorELNS0_4arch9wavefront6targetE1EEEvT1_
		.amdhsa_group_segment_fixed_size 0
		.amdhsa_private_segment_fixed_size 0
		.amdhsa_kernarg_size 136
		.amdhsa_user_sgpr_count 2
		.amdhsa_user_sgpr_dispatch_ptr 0
		.amdhsa_user_sgpr_queue_ptr 0
		.amdhsa_user_sgpr_kernarg_segment_ptr 1
		.amdhsa_user_sgpr_dispatch_id 0
		.amdhsa_user_sgpr_kernarg_preload_length 0
		.amdhsa_user_sgpr_kernarg_preload_offset 0
		.amdhsa_user_sgpr_private_segment_size 0
		.amdhsa_uses_dynamic_stack 0
		.amdhsa_enable_private_segment 0
		.amdhsa_system_sgpr_workgroup_id_x 1
		.amdhsa_system_sgpr_workgroup_id_y 0
		.amdhsa_system_sgpr_workgroup_id_z 0
		.amdhsa_system_sgpr_workgroup_info 0
		.amdhsa_system_vgpr_workitem_id 0
		.amdhsa_next_free_vgpr 1
		.amdhsa_next_free_sgpr 0
		.amdhsa_accum_offset 4
		.amdhsa_reserve_vcc 0
		.amdhsa_float_round_mode_32 0
		.amdhsa_float_round_mode_16_64 0
		.amdhsa_float_denorm_mode_32 3
		.amdhsa_float_denorm_mode_16_64 3
		.amdhsa_dx10_clamp 1
		.amdhsa_ieee_mode 1
		.amdhsa_fp16_overflow 0
		.amdhsa_tg_split 0
		.amdhsa_exception_fp_ieee_invalid_op 0
		.amdhsa_exception_fp_denorm_src 0
		.amdhsa_exception_fp_ieee_div_zero 0
		.amdhsa_exception_fp_ieee_overflow 0
		.amdhsa_exception_fp_ieee_underflow 0
		.amdhsa_exception_fp_ieee_inexact 0
		.amdhsa_exception_int_div_zero 0
	.end_amdhsa_kernel
	.section	.text._ZN7rocprim17ROCPRIM_400000_NS6detail17trampoline_kernelINS0_14default_configENS1_25partition_config_selectorILNS1_17partition_subalgoE0EjNS0_10empty_typeEbEEZZNS1_14partition_implILS5_0ELb0ES3_jN6thrust23THRUST_200600_302600_NS6detail15normal_iteratorINSA_10device_ptrIjEEEEPS6_SG_NS0_5tupleIJSF_SF_EEENSH_IJSG_SG_EEES6_PlJ7is_evenIjEEEE10hipError_tPvRmT3_T4_T5_T6_T7_T9_mT8_P12ihipStream_tbDpT10_ENKUlT_T0_E_clISt17integral_constantIbLb0EES15_IbLb1EEEEDaS11_S12_EUlS11_E_NS1_11comp_targetILNS1_3genE2ELNS1_11target_archE906ELNS1_3gpuE6ELNS1_3repE0EEENS1_30default_config_static_selectorELNS0_4arch9wavefront6targetE1EEEvT1_,"axG",@progbits,_ZN7rocprim17ROCPRIM_400000_NS6detail17trampoline_kernelINS0_14default_configENS1_25partition_config_selectorILNS1_17partition_subalgoE0EjNS0_10empty_typeEbEEZZNS1_14partition_implILS5_0ELb0ES3_jN6thrust23THRUST_200600_302600_NS6detail15normal_iteratorINSA_10device_ptrIjEEEEPS6_SG_NS0_5tupleIJSF_SF_EEENSH_IJSG_SG_EEES6_PlJ7is_evenIjEEEE10hipError_tPvRmT3_T4_T5_T6_T7_T9_mT8_P12ihipStream_tbDpT10_ENKUlT_T0_E_clISt17integral_constantIbLb0EES15_IbLb1EEEEDaS11_S12_EUlS11_E_NS1_11comp_targetILNS1_3genE2ELNS1_11target_archE906ELNS1_3gpuE6ELNS1_3repE0EEENS1_30default_config_static_selectorELNS0_4arch9wavefront6targetE1EEEvT1_,comdat
.Lfunc_end2165:
	.size	_ZN7rocprim17ROCPRIM_400000_NS6detail17trampoline_kernelINS0_14default_configENS1_25partition_config_selectorILNS1_17partition_subalgoE0EjNS0_10empty_typeEbEEZZNS1_14partition_implILS5_0ELb0ES3_jN6thrust23THRUST_200600_302600_NS6detail15normal_iteratorINSA_10device_ptrIjEEEEPS6_SG_NS0_5tupleIJSF_SF_EEENSH_IJSG_SG_EEES6_PlJ7is_evenIjEEEE10hipError_tPvRmT3_T4_T5_T6_T7_T9_mT8_P12ihipStream_tbDpT10_ENKUlT_T0_E_clISt17integral_constantIbLb0EES15_IbLb1EEEEDaS11_S12_EUlS11_E_NS1_11comp_targetILNS1_3genE2ELNS1_11target_archE906ELNS1_3gpuE6ELNS1_3repE0EEENS1_30default_config_static_selectorELNS0_4arch9wavefront6targetE1EEEvT1_, .Lfunc_end2165-_ZN7rocprim17ROCPRIM_400000_NS6detail17trampoline_kernelINS0_14default_configENS1_25partition_config_selectorILNS1_17partition_subalgoE0EjNS0_10empty_typeEbEEZZNS1_14partition_implILS5_0ELb0ES3_jN6thrust23THRUST_200600_302600_NS6detail15normal_iteratorINSA_10device_ptrIjEEEEPS6_SG_NS0_5tupleIJSF_SF_EEENSH_IJSG_SG_EEES6_PlJ7is_evenIjEEEE10hipError_tPvRmT3_T4_T5_T6_T7_T9_mT8_P12ihipStream_tbDpT10_ENKUlT_T0_E_clISt17integral_constantIbLb0EES15_IbLb1EEEEDaS11_S12_EUlS11_E_NS1_11comp_targetILNS1_3genE2ELNS1_11target_archE906ELNS1_3gpuE6ELNS1_3repE0EEENS1_30default_config_static_selectorELNS0_4arch9wavefront6targetE1EEEvT1_
                                        ; -- End function
	.section	.AMDGPU.csdata,"",@progbits
; Kernel info:
; codeLenInByte = 0
; NumSgprs: 6
; NumVgprs: 0
; NumAgprs: 0
; TotalNumVgprs: 0
; ScratchSize: 0
; MemoryBound: 0
; FloatMode: 240
; IeeeMode: 1
; LDSByteSize: 0 bytes/workgroup (compile time only)
; SGPRBlocks: 0
; VGPRBlocks: 0
; NumSGPRsForWavesPerEU: 6
; NumVGPRsForWavesPerEU: 1
; AccumOffset: 4
; Occupancy: 8
; WaveLimiterHint : 0
; COMPUTE_PGM_RSRC2:SCRATCH_EN: 0
; COMPUTE_PGM_RSRC2:USER_SGPR: 2
; COMPUTE_PGM_RSRC2:TRAP_HANDLER: 0
; COMPUTE_PGM_RSRC2:TGID_X_EN: 1
; COMPUTE_PGM_RSRC2:TGID_Y_EN: 0
; COMPUTE_PGM_RSRC2:TGID_Z_EN: 0
; COMPUTE_PGM_RSRC2:TIDIG_COMP_CNT: 0
; COMPUTE_PGM_RSRC3_GFX90A:ACCUM_OFFSET: 0
; COMPUTE_PGM_RSRC3_GFX90A:TG_SPLIT: 0
	.section	.text._ZN7rocprim17ROCPRIM_400000_NS6detail17trampoline_kernelINS0_14default_configENS1_25partition_config_selectorILNS1_17partition_subalgoE0EjNS0_10empty_typeEbEEZZNS1_14partition_implILS5_0ELb0ES3_jN6thrust23THRUST_200600_302600_NS6detail15normal_iteratorINSA_10device_ptrIjEEEEPS6_SG_NS0_5tupleIJSF_SF_EEENSH_IJSG_SG_EEES6_PlJ7is_evenIjEEEE10hipError_tPvRmT3_T4_T5_T6_T7_T9_mT8_P12ihipStream_tbDpT10_ENKUlT_T0_E_clISt17integral_constantIbLb0EES15_IbLb1EEEEDaS11_S12_EUlS11_E_NS1_11comp_targetILNS1_3genE10ELNS1_11target_archE1200ELNS1_3gpuE4ELNS1_3repE0EEENS1_30default_config_static_selectorELNS0_4arch9wavefront6targetE1EEEvT1_,"axG",@progbits,_ZN7rocprim17ROCPRIM_400000_NS6detail17trampoline_kernelINS0_14default_configENS1_25partition_config_selectorILNS1_17partition_subalgoE0EjNS0_10empty_typeEbEEZZNS1_14partition_implILS5_0ELb0ES3_jN6thrust23THRUST_200600_302600_NS6detail15normal_iteratorINSA_10device_ptrIjEEEEPS6_SG_NS0_5tupleIJSF_SF_EEENSH_IJSG_SG_EEES6_PlJ7is_evenIjEEEE10hipError_tPvRmT3_T4_T5_T6_T7_T9_mT8_P12ihipStream_tbDpT10_ENKUlT_T0_E_clISt17integral_constantIbLb0EES15_IbLb1EEEEDaS11_S12_EUlS11_E_NS1_11comp_targetILNS1_3genE10ELNS1_11target_archE1200ELNS1_3gpuE4ELNS1_3repE0EEENS1_30default_config_static_selectorELNS0_4arch9wavefront6targetE1EEEvT1_,comdat
	.protected	_ZN7rocprim17ROCPRIM_400000_NS6detail17trampoline_kernelINS0_14default_configENS1_25partition_config_selectorILNS1_17partition_subalgoE0EjNS0_10empty_typeEbEEZZNS1_14partition_implILS5_0ELb0ES3_jN6thrust23THRUST_200600_302600_NS6detail15normal_iteratorINSA_10device_ptrIjEEEEPS6_SG_NS0_5tupleIJSF_SF_EEENSH_IJSG_SG_EEES6_PlJ7is_evenIjEEEE10hipError_tPvRmT3_T4_T5_T6_T7_T9_mT8_P12ihipStream_tbDpT10_ENKUlT_T0_E_clISt17integral_constantIbLb0EES15_IbLb1EEEEDaS11_S12_EUlS11_E_NS1_11comp_targetILNS1_3genE10ELNS1_11target_archE1200ELNS1_3gpuE4ELNS1_3repE0EEENS1_30default_config_static_selectorELNS0_4arch9wavefront6targetE1EEEvT1_ ; -- Begin function _ZN7rocprim17ROCPRIM_400000_NS6detail17trampoline_kernelINS0_14default_configENS1_25partition_config_selectorILNS1_17partition_subalgoE0EjNS0_10empty_typeEbEEZZNS1_14partition_implILS5_0ELb0ES3_jN6thrust23THRUST_200600_302600_NS6detail15normal_iteratorINSA_10device_ptrIjEEEEPS6_SG_NS0_5tupleIJSF_SF_EEENSH_IJSG_SG_EEES6_PlJ7is_evenIjEEEE10hipError_tPvRmT3_T4_T5_T6_T7_T9_mT8_P12ihipStream_tbDpT10_ENKUlT_T0_E_clISt17integral_constantIbLb0EES15_IbLb1EEEEDaS11_S12_EUlS11_E_NS1_11comp_targetILNS1_3genE10ELNS1_11target_archE1200ELNS1_3gpuE4ELNS1_3repE0EEENS1_30default_config_static_selectorELNS0_4arch9wavefront6targetE1EEEvT1_
	.globl	_ZN7rocprim17ROCPRIM_400000_NS6detail17trampoline_kernelINS0_14default_configENS1_25partition_config_selectorILNS1_17partition_subalgoE0EjNS0_10empty_typeEbEEZZNS1_14partition_implILS5_0ELb0ES3_jN6thrust23THRUST_200600_302600_NS6detail15normal_iteratorINSA_10device_ptrIjEEEEPS6_SG_NS0_5tupleIJSF_SF_EEENSH_IJSG_SG_EEES6_PlJ7is_evenIjEEEE10hipError_tPvRmT3_T4_T5_T6_T7_T9_mT8_P12ihipStream_tbDpT10_ENKUlT_T0_E_clISt17integral_constantIbLb0EES15_IbLb1EEEEDaS11_S12_EUlS11_E_NS1_11comp_targetILNS1_3genE10ELNS1_11target_archE1200ELNS1_3gpuE4ELNS1_3repE0EEENS1_30default_config_static_selectorELNS0_4arch9wavefront6targetE1EEEvT1_
	.p2align	8
	.type	_ZN7rocprim17ROCPRIM_400000_NS6detail17trampoline_kernelINS0_14default_configENS1_25partition_config_selectorILNS1_17partition_subalgoE0EjNS0_10empty_typeEbEEZZNS1_14partition_implILS5_0ELb0ES3_jN6thrust23THRUST_200600_302600_NS6detail15normal_iteratorINSA_10device_ptrIjEEEEPS6_SG_NS0_5tupleIJSF_SF_EEENSH_IJSG_SG_EEES6_PlJ7is_evenIjEEEE10hipError_tPvRmT3_T4_T5_T6_T7_T9_mT8_P12ihipStream_tbDpT10_ENKUlT_T0_E_clISt17integral_constantIbLb0EES15_IbLb1EEEEDaS11_S12_EUlS11_E_NS1_11comp_targetILNS1_3genE10ELNS1_11target_archE1200ELNS1_3gpuE4ELNS1_3repE0EEENS1_30default_config_static_selectorELNS0_4arch9wavefront6targetE1EEEvT1_,@function
_ZN7rocprim17ROCPRIM_400000_NS6detail17trampoline_kernelINS0_14default_configENS1_25partition_config_selectorILNS1_17partition_subalgoE0EjNS0_10empty_typeEbEEZZNS1_14partition_implILS5_0ELb0ES3_jN6thrust23THRUST_200600_302600_NS6detail15normal_iteratorINSA_10device_ptrIjEEEEPS6_SG_NS0_5tupleIJSF_SF_EEENSH_IJSG_SG_EEES6_PlJ7is_evenIjEEEE10hipError_tPvRmT3_T4_T5_T6_T7_T9_mT8_P12ihipStream_tbDpT10_ENKUlT_T0_E_clISt17integral_constantIbLb0EES15_IbLb1EEEEDaS11_S12_EUlS11_E_NS1_11comp_targetILNS1_3genE10ELNS1_11target_archE1200ELNS1_3gpuE4ELNS1_3repE0EEENS1_30default_config_static_selectorELNS0_4arch9wavefront6targetE1EEEvT1_: ; @_ZN7rocprim17ROCPRIM_400000_NS6detail17trampoline_kernelINS0_14default_configENS1_25partition_config_selectorILNS1_17partition_subalgoE0EjNS0_10empty_typeEbEEZZNS1_14partition_implILS5_0ELb0ES3_jN6thrust23THRUST_200600_302600_NS6detail15normal_iteratorINSA_10device_ptrIjEEEEPS6_SG_NS0_5tupleIJSF_SF_EEENSH_IJSG_SG_EEES6_PlJ7is_evenIjEEEE10hipError_tPvRmT3_T4_T5_T6_T7_T9_mT8_P12ihipStream_tbDpT10_ENKUlT_T0_E_clISt17integral_constantIbLb0EES15_IbLb1EEEEDaS11_S12_EUlS11_E_NS1_11comp_targetILNS1_3genE10ELNS1_11target_archE1200ELNS1_3gpuE4ELNS1_3repE0EEENS1_30default_config_static_selectorELNS0_4arch9wavefront6targetE1EEEvT1_
; %bb.0:
	.section	.rodata,"a",@progbits
	.p2align	6, 0x0
	.amdhsa_kernel _ZN7rocprim17ROCPRIM_400000_NS6detail17trampoline_kernelINS0_14default_configENS1_25partition_config_selectorILNS1_17partition_subalgoE0EjNS0_10empty_typeEbEEZZNS1_14partition_implILS5_0ELb0ES3_jN6thrust23THRUST_200600_302600_NS6detail15normal_iteratorINSA_10device_ptrIjEEEEPS6_SG_NS0_5tupleIJSF_SF_EEENSH_IJSG_SG_EEES6_PlJ7is_evenIjEEEE10hipError_tPvRmT3_T4_T5_T6_T7_T9_mT8_P12ihipStream_tbDpT10_ENKUlT_T0_E_clISt17integral_constantIbLb0EES15_IbLb1EEEEDaS11_S12_EUlS11_E_NS1_11comp_targetILNS1_3genE10ELNS1_11target_archE1200ELNS1_3gpuE4ELNS1_3repE0EEENS1_30default_config_static_selectorELNS0_4arch9wavefront6targetE1EEEvT1_
		.amdhsa_group_segment_fixed_size 0
		.amdhsa_private_segment_fixed_size 0
		.amdhsa_kernarg_size 136
		.amdhsa_user_sgpr_count 2
		.amdhsa_user_sgpr_dispatch_ptr 0
		.amdhsa_user_sgpr_queue_ptr 0
		.amdhsa_user_sgpr_kernarg_segment_ptr 1
		.amdhsa_user_sgpr_dispatch_id 0
		.amdhsa_user_sgpr_kernarg_preload_length 0
		.amdhsa_user_sgpr_kernarg_preload_offset 0
		.amdhsa_user_sgpr_private_segment_size 0
		.amdhsa_uses_dynamic_stack 0
		.amdhsa_enable_private_segment 0
		.amdhsa_system_sgpr_workgroup_id_x 1
		.amdhsa_system_sgpr_workgroup_id_y 0
		.amdhsa_system_sgpr_workgroup_id_z 0
		.amdhsa_system_sgpr_workgroup_info 0
		.amdhsa_system_vgpr_workitem_id 0
		.amdhsa_next_free_vgpr 1
		.amdhsa_next_free_sgpr 0
		.amdhsa_accum_offset 4
		.amdhsa_reserve_vcc 0
		.amdhsa_float_round_mode_32 0
		.amdhsa_float_round_mode_16_64 0
		.amdhsa_float_denorm_mode_32 3
		.amdhsa_float_denorm_mode_16_64 3
		.amdhsa_dx10_clamp 1
		.amdhsa_ieee_mode 1
		.amdhsa_fp16_overflow 0
		.amdhsa_tg_split 0
		.amdhsa_exception_fp_ieee_invalid_op 0
		.amdhsa_exception_fp_denorm_src 0
		.amdhsa_exception_fp_ieee_div_zero 0
		.amdhsa_exception_fp_ieee_overflow 0
		.amdhsa_exception_fp_ieee_underflow 0
		.amdhsa_exception_fp_ieee_inexact 0
		.amdhsa_exception_int_div_zero 0
	.end_amdhsa_kernel
	.section	.text._ZN7rocprim17ROCPRIM_400000_NS6detail17trampoline_kernelINS0_14default_configENS1_25partition_config_selectorILNS1_17partition_subalgoE0EjNS0_10empty_typeEbEEZZNS1_14partition_implILS5_0ELb0ES3_jN6thrust23THRUST_200600_302600_NS6detail15normal_iteratorINSA_10device_ptrIjEEEEPS6_SG_NS0_5tupleIJSF_SF_EEENSH_IJSG_SG_EEES6_PlJ7is_evenIjEEEE10hipError_tPvRmT3_T4_T5_T6_T7_T9_mT8_P12ihipStream_tbDpT10_ENKUlT_T0_E_clISt17integral_constantIbLb0EES15_IbLb1EEEEDaS11_S12_EUlS11_E_NS1_11comp_targetILNS1_3genE10ELNS1_11target_archE1200ELNS1_3gpuE4ELNS1_3repE0EEENS1_30default_config_static_selectorELNS0_4arch9wavefront6targetE1EEEvT1_,"axG",@progbits,_ZN7rocprim17ROCPRIM_400000_NS6detail17trampoline_kernelINS0_14default_configENS1_25partition_config_selectorILNS1_17partition_subalgoE0EjNS0_10empty_typeEbEEZZNS1_14partition_implILS5_0ELb0ES3_jN6thrust23THRUST_200600_302600_NS6detail15normal_iteratorINSA_10device_ptrIjEEEEPS6_SG_NS0_5tupleIJSF_SF_EEENSH_IJSG_SG_EEES6_PlJ7is_evenIjEEEE10hipError_tPvRmT3_T4_T5_T6_T7_T9_mT8_P12ihipStream_tbDpT10_ENKUlT_T0_E_clISt17integral_constantIbLb0EES15_IbLb1EEEEDaS11_S12_EUlS11_E_NS1_11comp_targetILNS1_3genE10ELNS1_11target_archE1200ELNS1_3gpuE4ELNS1_3repE0EEENS1_30default_config_static_selectorELNS0_4arch9wavefront6targetE1EEEvT1_,comdat
.Lfunc_end2166:
	.size	_ZN7rocprim17ROCPRIM_400000_NS6detail17trampoline_kernelINS0_14default_configENS1_25partition_config_selectorILNS1_17partition_subalgoE0EjNS0_10empty_typeEbEEZZNS1_14partition_implILS5_0ELb0ES3_jN6thrust23THRUST_200600_302600_NS6detail15normal_iteratorINSA_10device_ptrIjEEEEPS6_SG_NS0_5tupleIJSF_SF_EEENSH_IJSG_SG_EEES6_PlJ7is_evenIjEEEE10hipError_tPvRmT3_T4_T5_T6_T7_T9_mT8_P12ihipStream_tbDpT10_ENKUlT_T0_E_clISt17integral_constantIbLb0EES15_IbLb1EEEEDaS11_S12_EUlS11_E_NS1_11comp_targetILNS1_3genE10ELNS1_11target_archE1200ELNS1_3gpuE4ELNS1_3repE0EEENS1_30default_config_static_selectorELNS0_4arch9wavefront6targetE1EEEvT1_, .Lfunc_end2166-_ZN7rocprim17ROCPRIM_400000_NS6detail17trampoline_kernelINS0_14default_configENS1_25partition_config_selectorILNS1_17partition_subalgoE0EjNS0_10empty_typeEbEEZZNS1_14partition_implILS5_0ELb0ES3_jN6thrust23THRUST_200600_302600_NS6detail15normal_iteratorINSA_10device_ptrIjEEEEPS6_SG_NS0_5tupleIJSF_SF_EEENSH_IJSG_SG_EEES6_PlJ7is_evenIjEEEE10hipError_tPvRmT3_T4_T5_T6_T7_T9_mT8_P12ihipStream_tbDpT10_ENKUlT_T0_E_clISt17integral_constantIbLb0EES15_IbLb1EEEEDaS11_S12_EUlS11_E_NS1_11comp_targetILNS1_3genE10ELNS1_11target_archE1200ELNS1_3gpuE4ELNS1_3repE0EEENS1_30default_config_static_selectorELNS0_4arch9wavefront6targetE1EEEvT1_
                                        ; -- End function
	.section	.AMDGPU.csdata,"",@progbits
; Kernel info:
; codeLenInByte = 0
; NumSgprs: 6
; NumVgprs: 0
; NumAgprs: 0
; TotalNumVgprs: 0
; ScratchSize: 0
; MemoryBound: 0
; FloatMode: 240
; IeeeMode: 1
; LDSByteSize: 0 bytes/workgroup (compile time only)
; SGPRBlocks: 0
; VGPRBlocks: 0
; NumSGPRsForWavesPerEU: 6
; NumVGPRsForWavesPerEU: 1
; AccumOffset: 4
; Occupancy: 8
; WaveLimiterHint : 0
; COMPUTE_PGM_RSRC2:SCRATCH_EN: 0
; COMPUTE_PGM_RSRC2:USER_SGPR: 2
; COMPUTE_PGM_RSRC2:TRAP_HANDLER: 0
; COMPUTE_PGM_RSRC2:TGID_X_EN: 1
; COMPUTE_PGM_RSRC2:TGID_Y_EN: 0
; COMPUTE_PGM_RSRC2:TGID_Z_EN: 0
; COMPUTE_PGM_RSRC2:TIDIG_COMP_CNT: 0
; COMPUTE_PGM_RSRC3_GFX90A:ACCUM_OFFSET: 0
; COMPUTE_PGM_RSRC3_GFX90A:TG_SPLIT: 0
	.section	.text._ZN7rocprim17ROCPRIM_400000_NS6detail17trampoline_kernelINS0_14default_configENS1_25partition_config_selectorILNS1_17partition_subalgoE0EjNS0_10empty_typeEbEEZZNS1_14partition_implILS5_0ELb0ES3_jN6thrust23THRUST_200600_302600_NS6detail15normal_iteratorINSA_10device_ptrIjEEEEPS6_SG_NS0_5tupleIJSF_SF_EEENSH_IJSG_SG_EEES6_PlJ7is_evenIjEEEE10hipError_tPvRmT3_T4_T5_T6_T7_T9_mT8_P12ihipStream_tbDpT10_ENKUlT_T0_E_clISt17integral_constantIbLb0EES15_IbLb1EEEEDaS11_S12_EUlS11_E_NS1_11comp_targetILNS1_3genE9ELNS1_11target_archE1100ELNS1_3gpuE3ELNS1_3repE0EEENS1_30default_config_static_selectorELNS0_4arch9wavefront6targetE1EEEvT1_,"axG",@progbits,_ZN7rocprim17ROCPRIM_400000_NS6detail17trampoline_kernelINS0_14default_configENS1_25partition_config_selectorILNS1_17partition_subalgoE0EjNS0_10empty_typeEbEEZZNS1_14partition_implILS5_0ELb0ES3_jN6thrust23THRUST_200600_302600_NS6detail15normal_iteratorINSA_10device_ptrIjEEEEPS6_SG_NS0_5tupleIJSF_SF_EEENSH_IJSG_SG_EEES6_PlJ7is_evenIjEEEE10hipError_tPvRmT3_T4_T5_T6_T7_T9_mT8_P12ihipStream_tbDpT10_ENKUlT_T0_E_clISt17integral_constantIbLb0EES15_IbLb1EEEEDaS11_S12_EUlS11_E_NS1_11comp_targetILNS1_3genE9ELNS1_11target_archE1100ELNS1_3gpuE3ELNS1_3repE0EEENS1_30default_config_static_selectorELNS0_4arch9wavefront6targetE1EEEvT1_,comdat
	.protected	_ZN7rocprim17ROCPRIM_400000_NS6detail17trampoline_kernelINS0_14default_configENS1_25partition_config_selectorILNS1_17partition_subalgoE0EjNS0_10empty_typeEbEEZZNS1_14partition_implILS5_0ELb0ES3_jN6thrust23THRUST_200600_302600_NS6detail15normal_iteratorINSA_10device_ptrIjEEEEPS6_SG_NS0_5tupleIJSF_SF_EEENSH_IJSG_SG_EEES6_PlJ7is_evenIjEEEE10hipError_tPvRmT3_T4_T5_T6_T7_T9_mT8_P12ihipStream_tbDpT10_ENKUlT_T0_E_clISt17integral_constantIbLb0EES15_IbLb1EEEEDaS11_S12_EUlS11_E_NS1_11comp_targetILNS1_3genE9ELNS1_11target_archE1100ELNS1_3gpuE3ELNS1_3repE0EEENS1_30default_config_static_selectorELNS0_4arch9wavefront6targetE1EEEvT1_ ; -- Begin function _ZN7rocprim17ROCPRIM_400000_NS6detail17trampoline_kernelINS0_14default_configENS1_25partition_config_selectorILNS1_17partition_subalgoE0EjNS0_10empty_typeEbEEZZNS1_14partition_implILS5_0ELb0ES3_jN6thrust23THRUST_200600_302600_NS6detail15normal_iteratorINSA_10device_ptrIjEEEEPS6_SG_NS0_5tupleIJSF_SF_EEENSH_IJSG_SG_EEES6_PlJ7is_evenIjEEEE10hipError_tPvRmT3_T4_T5_T6_T7_T9_mT8_P12ihipStream_tbDpT10_ENKUlT_T0_E_clISt17integral_constantIbLb0EES15_IbLb1EEEEDaS11_S12_EUlS11_E_NS1_11comp_targetILNS1_3genE9ELNS1_11target_archE1100ELNS1_3gpuE3ELNS1_3repE0EEENS1_30default_config_static_selectorELNS0_4arch9wavefront6targetE1EEEvT1_
	.globl	_ZN7rocprim17ROCPRIM_400000_NS6detail17trampoline_kernelINS0_14default_configENS1_25partition_config_selectorILNS1_17partition_subalgoE0EjNS0_10empty_typeEbEEZZNS1_14partition_implILS5_0ELb0ES3_jN6thrust23THRUST_200600_302600_NS6detail15normal_iteratorINSA_10device_ptrIjEEEEPS6_SG_NS0_5tupleIJSF_SF_EEENSH_IJSG_SG_EEES6_PlJ7is_evenIjEEEE10hipError_tPvRmT3_T4_T5_T6_T7_T9_mT8_P12ihipStream_tbDpT10_ENKUlT_T0_E_clISt17integral_constantIbLb0EES15_IbLb1EEEEDaS11_S12_EUlS11_E_NS1_11comp_targetILNS1_3genE9ELNS1_11target_archE1100ELNS1_3gpuE3ELNS1_3repE0EEENS1_30default_config_static_selectorELNS0_4arch9wavefront6targetE1EEEvT1_
	.p2align	8
	.type	_ZN7rocprim17ROCPRIM_400000_NS6detail17trampoline_kernelINS0_14default_configENS1_25partition_config_selectorILNS1_17partition_subalgoE0EjNS0_10empty_typeEbEEZZNS1_14partition_implILS5_0ELb0ES3_jN6thrust23THRUST_200600_302600_NS6detail15normal_iteratorINSA_10device_ptrIjEEEEPS6_SG_NS0_5tupleIJSF_SF_EEENSH_IJSG_SG_EEES6_PlJ7is_evenIjEEEE10hipError_tPvRmT3_T4_T5_T6_T7_T9_mT8_P12ihipStream_tbDpT10_ENKUlT_T0_E_clISt17integral_constantIbLb0EES15_IbLb1EEEEDaS11_S12_EUlS11_E_NS1_11comp_targetILNS1_3genE9ELNS1_11target_archE1100ELNS1_3gpuE3ELNS1_3repE0EEENS1_30default_config_static_selectorELNS0_4arch9wavefront6targetE1EEEvT1_,@function
_ZN7rocprim17ROCPRIM_400000_NS6detail17trampoline_kernelINS0_14default_configENS1_25partition_config_selectorILNS1_17partition_subalgoE0EjNS0_10empty_typeEbEEZZNS1_14partition_implILS5_0ELb0ES3_jN6thrust23THRUST_200600_302600_NS6detail15normal_iteratorINSA_10device_ptrIjEEEEPS6_SG_NS0_5tupleIJSF_SF_EEENSH_IJSG_SG_EEES6_PlJ7is_evenIjEEEE10hipError_tPvRmT3_T4_T5_T6_T7_T9_mT8_P12ihipStream_tbDpT10_ENKUlT_T0_E_clISt17integral_constantIbLb0EES15_IbLb1EEEEDaS11_S12_EUlS11_E_NS1_11comp_targetILNS1_3genE9ELNS1_11target_archE1100ELNS1_3gpuE3ELNS1_3repE0EEENS1_30default_config_static_selectorELNS0_4arch9wavefront6targetE1EEEvT1_: ; @_ZN7rocprim17ROCPRIM_400000_NS6detail17trampoline_kernelINS0_14default_configENS1_25partition_config_selectorILNS1_17partition_subalgoE0EjNS0_10empty_typeEbEEZZNS1_14partition_implILS5_0ELb0ES3_jN6thrust23THRUST_200600_302600_NS6detail15normal_iteratorINSA_10device_ptrIjEEEEPS6_SG_NS0_5tupleIJSF_SF_EEENSH_IJSG_SG_EEES6_PlJ7is_evenIjEEEE10hipError_tPvRmT3_T4_T5_T6_T7_T9_mT8_P12ihipStream_tbDpT10_ENKUlT_T0_E_clISt17integral_constantIbLb0EES15_IbLb1EEEEDaS11_S12_EUlS11_E_NS1_11comp_targetILNS1_3genE9ELNS1_11target_archE1100ELNS1_3gpuE3ELNS1_3repE0EEENS1_30default_config_static_selectorELNS0_4arch9wavefront6targetE1EEEvT1_
; %bb.0:
	.section	.rodata,"a",@progbits
	.p2align	6, 0x0
	.amdhsa_kernel _ZN7rocprim17ROCPRIM_400000_NS6detail17trampoline_kernelINS0_14default_configENS1_25partition_config_selectorILNS1_17partition_subalgoE0EjNS0_10empty_typeEbEEZZNS1_14partition_implILS5_0ELb0ES3_jN6thrust23THRUST_200600_302600_NS6detail15normal_iteratorINSA_10device_ptrIjEEEEPS6_SG_NS0_5tupleIJSF_SF_EEENSH_IJSG_SG_EEES6_PlJ7is_evenIjEEEE10hipError_tPvRmT3_T4_T5_T6_T7_T9_mT8_P12ihipStream_tbDpT10_ENKUlT_T0_E_clISt17integral_constantIbLb0EES15_IbLb1EEEEDaS11_S12_EUlS11_E_NS1_11comp_targetILNS1_3genE9ELNS1_11target_archE1100ELNS1_3gpuE3ELNS1_3repE0EEENS1_30default_config_static_selectorELNS0_4arch9wavefront6targetE1EEEvT1_
		.amdhsa_group_segment_fixed_size 0
		.amdhsa_private_segment_fixed_size 0
		.amdhsa_kernarg_size 136
		.amdhsa_user_sgpr_count 2
		.amdhsa_user_sgpr_dispatch_ptr 0
		.amdhsa_user_sgpr_queue_ptr 0
		.amdhsa_user_sgpr_kernarg_segment_ptr 1
		.amdhsa_user_sgpr_dispatch_id 0
		.amdhsa_user_sgpr_kernarg_preload_length 0
		.amdhsa_user_sgpr_kernarg_preload_offset 0
		.amdhsa_user_sgpr_private_segment_size 0
		.amdhsa_uses_dynamic_stack 0
		.amdhsa_enable_private_segment 0
		.amdhsa_system_sgpr_workgroup_id_x 1
		.amdhsa_system_sgpr_workgroup_id_y 0
		.amdhsa_system_sgpr_workgroup_id_z 0
		.amdhsa_system_sgpr_workgroup_info 0
		.amdhsa_system_vgpr_workitem_id 0
		.amdhsa_next_free_vgpr 1
		.amdhsa_next_free_sgpr 0
		.amdhsa_accum_offset 4
		.amdhsa_reserve_vcc 0
		.amdhsa_float_round_mode_32 0
		.amdhsa_float_round_mode_16_64 0
		.amdhsa_float_denorm_mode_32 3
		.amdhsa_float_denorm_mode_16_64 3
		.amdhsa_dx10_clamp 1
		.amdhsa_ieee_mode 1
		.amdhsa_fp16_overflow 0
		.amdhsa_tg_split 0
		.amdhsa_exception_fp_ieee_invalid_op 0
		.amdhsa_exception_fp_denorm_src 0
		.amdhsa_exception_fp_ieee_div_zero 0
		.amdhsa_exception_fp_ieee_overflow 0
		.amdhsa_exception_fp_ieee_underflow 0
		.amdhsa_exception_fp_ieee_inexact 0
		.amdhsa_exception_int_div_zero 0
	.end_amdhsa_kernel
	.section	.text._ZN7rocprim17ROCPRIM_400000_NS6detail17trampoline_kernelINS0_14default_configENS1_25partition_config_selectorILNS1_17partition_subalgoE0EjNS0_10empty_typeEbEEZZNS1_14partition_implILS5_0ELb0ES3_jN6thrust23THRUST_200600_302600_NS6detail15normal_iteratorINSA_10device_ptrIjEEEEPS6_SG_NS0_5tupleIJSF_SF_EEENSH_IJSG_SG_EEES6_PlJ7is_evenIjEEEE10hipError_tPvRmT3_T4_T5_T6_T7_T9_mT8_P12ihipStream_tbDpT10_ENKUlT_T0_E_clISt17integral_constantIbLb0EES15_IbLb1EEEEDaS11_S12_EUlS11_E_NS1_11comp_targetILNS1_3genE9ELNS1_11target_archE1100ELNS1_3gpuE3ELNS1_3repE0EEENS1_30default_config_static_selectorELNS0_4arch9wavefront6targetE1EEEvT1_,"axG",@progbits,_ZN7rocprim17ROCPRIM_400000_NS6detail17trampoline_kernelINS0_14default_configENS1_25partition_config_selectorILNS1_17partition_subalgoE0EjNS0_10empty_typeEbEEZZNS1_14partition_implILS5_0ELb0ES3_jN6thrust23THRUST_200600_302600_NS6detail15normal_iteratorINSA_10device_ptrIjEEEEPS6_SG_NS0_5tupleIJSF_SF_EEENSH_IJSG_SG_EEES6_PlJ7is_evenIjEEEE10hipError_tPvRmT3_T4_T5_T6_T7_T9_mT8_P12ihipStream_tbDpT10_ENKUlT_T0_E_clISt17integral_constantIbLb0EES15_IbLb1EEEEDaS11_S12_EUlS11_E_NS1_11comp_targetILNS1_3genE9ELNS1_11target_archE1100ELNS1_3gpuE3ELNS1_3repE0EEENS1_30default_config_static_selectorELNS0_4arch9wavefront6targetE1EEEvT1_,comdat
.Lfunc_end2167:
	.size	_ZN7rocprim17ROCPRIM_400000_NS6detail17trampoline_kernelINS0_14default_configENS1_25partition_config_selectorILNS1_17partition_subalgoE0EjNS0_10empty_typeEbEEZZNS1_14partition_implILS5_0ELb0ES3_jN6thrust23THRUST_200600_302600_NS6detail15normal_iteratorINSA_10device_ptrIjEEEEPS6_SG_NS0_5tupleIJSF_SF_EEENSH_IJSG_SG_EEES6_PlJ7is_evenIjEEEE10hipError_tPvRmT3_T4_T5_T6_T7_T9_mT8_P12ihipStream_tbDpT10_ENKUlT_T0_E_clISt17integral_constantIbLb0EES15_IbLb1EEEEDaS11_S12_EUlS11_E_NS1_11comp_targetILNS1_3genE9ELNS1_11target_archE1100ELNS1_3gpuE3ELNS1_3repE0EEENS1_30default_config_static_selectorELNS0_4arch9wavefront6targetE1EEEvT1_, .Lfunc_end2167-_ZN7rocprim17ROCPRIM_400000_NS6detail17trampoline_kernelINS0_14default_configENS1_25partition_config_selectorILNS1_17partition_subalgoE0EjNS0_10empty_typeEbEEZZNS1_14partition_implILS5_0ELb0ES3_jN6thrust23THRUST_200600_302600_NS6detail15normal_iteratorINSA_10device_ptrIjEEEEPS6_SG_NS0_5tupleIJSF_SF_EEENSH_IJSG_SG_EEES6_PlJ7is_evenIjEEEE10hipError_tPvRmT3_T4_T5_T6_T7_T9_mT8_P12ihipStream_tbDpT10_ENKUlT_T0_E_clISt17integral_constantIbLb0EES15_IbLb1EEEEDaS11_S12_EUlS11_E_NS1_11comp_targetILNS1_3genE9ELNS1_11target_archE1100ELNS1_3gpuE3ELNS1_3repE0EEENS1_30default_config_static_selectorELNS0_4arch9wavefront6targetE1EEEvT1_
                                        ; -- End function
	.section	.AMDGPU.csdata,"",@progbits
; Kernel info:
; codeLenInByte = 0
; NumSgprs: 6
; NumVgprs: 0
; NumAgprs: 0
; TotalNumVgprs: 0
; ScratchSize: 0
; MemoryBound: 0
; FloatMode: 240
; IeeeMode: 1
; LDSByteSize: 0 bytes/workgroup (compile time only)
; SGPRBlocks: 0
; VGPRBlocks: 0
; NumSGPRsForWavesPerEU: 6
; NumVGPRsForWavesPerEU: 1
; AccumOffset: 4
; Occupancy: 8
; WaveLimiterHint : 0
; COMPUTE_PGM_RSRC2:SCRATCH_EN: 0
; COMPUTE_PGM_RSRC2:USER_SGPR: 2
; COMPUTE_PGM_RSRC2:TRAP_HANDLER: 0
; COMPUTE_PGM_RSRC2:TGID_X_EN: 1
; COMPUTE_PGM_RSRC2:TGID_Y_EN: 0
; COMPUTE_PGM_RSRC2:TGID_Z_EN: 0
; COMPUTE_PGM_RSRC2:TIDIG_COMP_CNT: 0
; COMPUTE_PGM_RSRC3_GFX90A:ACCUM_OFFSET: 0
; COMPUTE_PGM_RSRC3_GFX90A:TG_SPLIT: 0
	.section	.text._ZN7rocprim17ROCPRIM_400000_NS6detail17trampoline_kernelINS0_14default_configENS1_25partition_config_selectorILNS1_17partition_subalgoE0EjNS0_10empty_typeEbEEZZNS1_14partition_implILS5_0ELb0ES3_jN6thrust23THRUST_200600_302600_NS6detail15normal_iteratorINSA_10device_ptrIjEEEEPS6_SG_NS0_5tupleIJSF_SF_EEENSH_IJSG_SG_EEES6_PlJ7is_evenIjEEEE10hipError_tPvRmT3_T4_T5_T6_T7_T9_mT8_P12ihipStream_tbDpT10_ENKUlT_T0_E_clISt17integral_constantIbLb0EES15_IbLb1EEEEDaS11_S12_EUlS11_E_NS1_11comp_targetILNS1_3genE8ELNS1_11target_archE1030ELNS1_3gpuE2ELNS1_3repE0EEENS1_30default_config_static_selectorELNS0_4arch9wavefront6targetE1EEEvT1_,"axG",@progbits,_ZN7rocprim17ROCPRIM_400000_NS6detail17trampoline_kernelINS0_14default_configENS1_25partition_config_selectorILNS1_17partition_subalgoE0EjNS0_10empty_typeEbEEZZNS1_14partition_implILS5_0ELb0ES3_jN6thrust23THRUST_200600_302600_NS6detail15normal_iteratorINSA_10device_ptrIjEEEEPS6_SG_NS0_5tupleIJSF_SF_EEENSH_IJSG_SG_EEES6_PlJ7is_evenIjEEEE10hipError_tPvRmT3_T4_T5_T6_T7_T9_mT8_P12ihipStream_tbDpT10_ENKUlT_T0_E_clISt17integral_constantIbLb0EES15_IbLb1EEEEDaS11_S12_EUlS11_E_NS1_11comp_targetILNS1_3genE8ELNS1_11target_archE1030ELNS1_3gpuE2ELNS1_3repE0EEENS1_30default_config_static_selectorELNS0_4arch9wavefront6targetE1EEEvT1_,comdat
	.protected	_ZN7rocprim17ROCPRIM_400000_NS6detail17trampoline_kernelINS0_14default_configENS1_25partition_config_selectorILNS1_17partition_subalgoE0EjNS0_10empty_typeEbEEZZNS1_14partition_implILS5_0ELb0ES3_jN6thrust23THRUST_200600_302600_NS6detail15normal_iteratorINSA_10device_ptrIjEEEEPS6_SG_NS0_5tupleIJSF_SF_EEENSH_IJSG_SG_EEES6_PlJ7is_evenIjEEEE10hipError_tPvRmT3_T4_T5_T6_T7_T9_mT8_P12ihipStream_tbDpT10_ENKUlT_T0_E_clISt17integral_constantIbLb0EES15_IbLb1EEEEDaS11_S12_EUlS11_E_NS1_11comp_targetILNS1_3genE8ELNS1_11target_archE1030ELNS1_3gpuE2ELNS1_3repE0EEENS1_30default_config_static_selectorELNS0_4arch9wavefront6targetE1EEEvT1_ ; -- Begin function _ZN7rocprim17ROCPRIM_400000_NS6detail17trampoline_kernelINS0_14default_configENS1_25partition_config_selectorILNS1_17partition_subalgoE0EjNS0_10empty_typeEbEEZZNS1_14partition_implILS5_0ELb0ES3_jN6thrust23THRUST_200600_302600_NS6detail15normal_iteratorINSA_10device_ptrIjEEEEPS6_SG_NS0_5tupleIJSF_SF_EEENSH_IJSG_SG_EEES6_PlJ7is_evenIjEEEE10hipError_tPvRmT3_T4_T5_T6_T7_T9_mT8_P12ihipStream_tbDpT10_ENKUlT_T0_E_clISt17integral_constantIbLb0EES15_IbLb1EEEEDaS11_S12_EUlS11_E_NS1_11comp_targetILNS1_3genE8ELNS1_11target_archE1030ELNS1_3gpuE2ELNS1_3repE0EEENS1_30default_config_static_selectorELNS0_4arch9wavefront6targetE1EEEvT1_
	.globl	_ZN7rocprim17ROCPRIM_400000_NS6detail17trampoline_kernelINS0_14default_configENS1_25partition_config_selectorILNS1_17partition_subalgoE0EjNS0_10empty_typeEbEEZZNS1_14partition_implILS5_0ELb0ES3_jN6thrust23THRUST_200600_302600_NS6detail15normal_iteratorINSA_10device_ptrIjEEEEPS6_SG_NS0_5tupleIJSF_SF_EEENSH_IJSG_SG_EEES6_PlJ7is_evenIjEEEE10hipError_tPvRmT3_T4_T5_T6_T7_T9_mT8_P12ihipStream_tbDpT10_ENKUlT_T0_E_clISt17integral_constantIbLb0EES15_IbLb1EEEEDaS11_S12_EUlS11_E_NS1_11comp_targetILNS1_3genE8ELNS1_11target_archE1030ELNS1_3gpuE2ELNS1_3repE0EEENS1_30default_config_static_selectorELNS0_4arch9wavefront6targetE1EEEvT1_
	.p2align	8
	.type	_ZN7rocprim17ROCPRIM_400000_NS6detail17trampoline_kernelINS0_14default_configENS1_25partition_config_selectorILNS1_17partition_subalgoE0EjNS0_10empty_typeEbEEZZNS1_14partition_implILS5_0ELb0ES3_jN6thrust23THRUST_200600_302600_NS6detail15normal_iteratorINSA_10device_ptrIjEEEEPS6_SG_NS0_5tupleIJSF_SF_EEENSH_IJSG_SG_EEES6_PlJ7is_evenIjEEEE10hipError_tPvRmT3_T4_T5_T6_T7_T9_mT8_P12ihipStream_tbDpT10_ENKUlT_T0_E_clISt17integral_constantIbLb0EES15_IbLb1EEEEDaS11_S12_EUlS11_E_NS1_11comp_targetILNS1_3genE8ELNS1_11target_archE1030ELNS1_3gpuE2ELNS1_3repE0EEENS1_30default_config_static_selectorELNS0_4arch9wavefront6targetE1EEEvT1_,@function
_ZN7rocprim17ROCPRIM_400000_NS6detail17trampoline_kernelINS0_14default_configENS1_25partition_config_selectorILNS1_17partition_subalgoE0EjNS0_10empty_typeEbEEZZNS1_14partition_implILS5_0ELb0ES3_jN6thrust23THRUST_200600_302600_NS6detail15normal_iteratorINSA_10device_ptrIjEEEEPS6_SG_NS0_5tupleIJSF_SF_EEENSH_IJSG_SG_EEES6_PlJ7is_evenIjEEEE10hipError_tPvRmT3_T4_T5_T6_T7_T9_mT8_P12ihipStream_tbDpT10_ENKUlT_T0_E_clISt17integral_constantIbLb0EES15_IbLb1EEEEDaS11_S12_EUlS11_E_NS1_11comp_targetILNS1_3genE8ELNS1_11target_archE1030ELNS1_3gpuE2ELNS1_3repE0EEENS1_30default_config_static_selectorELNS0_4arch9wavefront6targetE1EEEvT1_: ; @_ZN7rocprim17ROCPRIM_400000_NS6detail17trampoline_kernelINS0_14default_configENS1_25partition_config_selectorILNS1_17partition_subalgoE0EjNS0_10empty_typeEbEEZZNS1_14partition_implILS5_0ELb0ES3_jN6thrust23THRUST_200600_302600_NS6detail15normal_iteratorINSA_10device_ptrIjEEEEPS6_SG_NS0_5tupleIJSF_SF_EEENSH_IJSG_SG_EEES6_PlJ7is_evenIjEEEE10hipError_tPvRmT3_T4_T5_T6_T7_T9_mT8_P12ihipStream_tbDpT10_ENKUlT_T0_E_clISt17integral_constantIbLb0EES15_IbLb1EEEEDaS11_S12_EUlS11_E_NS1_11comp_targetILNS1_3genE8ELNS1_11target_archE1030ELNS1_3gpuE2ELNS1_3repE0EEENS1_30default_config_static_selectorELNS0_4arch9wavefront6targetE1EEEvT1_
; %bb.0:
	.section	.rodata,"a",@progbits
	.p2align	6, 0x0
	.amdhsa_kernel _ZN7rocprim17ROCPRIM_400000_NS6detail17trampoline_kernelINS0_14default_configENS1_25partition_config_selectorILNS1_17partition_subalgoE0EjNS0_10empty_typeEbEEZZNS1_14partition_implILS5_0ELb0ES3_jN6thrust23THRUST_200600_302600_NS6detail15normal_iteratorINSA_10device_ptrIjEEEEPS6_SG_NS0_5tupleIJSF_SF_EEENSH_IJSG_SG_EEES6_PlJ7is_evenIjEEEE10hipError_tPvRmT3_T4_T5_T6_T7_T9_mT8_P12ihipStream_tbDpT10_ENKUlT_T0_E_clISt17integral_constantIbLb0EES15_IbLb1EEEEDaS11_S12_EUlS11_E_NS1_11comp_targetILNS1_3genE8ELNS1_11target_archE1030ELNS1_3gpuE2ELNS1_3repE0EEENS1_30default_config_static_selectorELNS0_4arch9wavefront6targetE1EEEvT1_
		.amdhsa_group_segment_fixed_size 0
		.amdhsa_private_segment_fixed_size 0
		.amdhsa_kernarg_size 136
		.amdhsa_user_sgpr_count 2
		.amdhsa_user_sgpr_dispatch_ptr 0
		.amdhsa_user_sgpr_queue_ptr 0
		.amdhsa_user_sgpr_kernarg_segment_ptr 1
		.amdhsa_user_sgpr_dispatch_id 0
		.amdhsa_user_sgpr_kernarg_preload_length 0
		.amdhsa_user_sgpr_kernarg_preload_offset 0
		.amdhsa_user_sgpr_private_segment_size 0
		.amdhsa_uses_dynamic_stack 0
		.amdhsa_enable_private_segment 0
		.amdhsa_system_sgpr_workgroup_id_x 1
		.amdhsa_system_sgpr_workgroup_id_y 0
		.amdhsa_system_sgpr_workgroup_id_z 0
		.amdhsa_system_sgpr_workgroup_info 0
		.amdhsa_system_vgpr_workitem_id 0
		.amdhsa_next_free_vgpr 1
		.amdhsa_next_free_sgpr 0
		.amdhsa_accum_offset 4
		.amdhsa_reserve_vcc 0
		.amdhsa_float_round_mode_32 0
		.amdhsa_float_round_mode_16_64 0
		.amdhsa_float_denorm_mode_32 3
		.amdhsa_float_denorm_mode_16_64 3
		.amdhsa_dx10_clamp 1
		.amdhsa_ieee_mode 1
		.amdhsa_fp16_overflow 0
		.amdhsa_tg_split 0
		.amdhsa_exception_fp_ieee_invalid_op 0
		.amdhsa_exception_fp_denorm_src 0
		.amdhsa_exception_fp_ieee_div_zero 0
		.amdhsa_exception_fp_ieee_overflow 0
		.amdhsa_exception_fp_ieee_underflow 0
		.amdhsa_exception_fp_ieee_inexact 0
		.amdhsa_exception_int_div_zero 0
	.end_amdhsa_kernel
	.section	.text._ZN7rocprim17ROCPRIM_400000_NS6detail17trampoline_kernelINS0_14default_configENS1_25partition_config_selectorILNS1_17partition_subalgoE0EjNS0_10empty_typeEbEEZZNS1_14partition_implILS5_0ELb0ES3_jN6thrust23THRUST_200600_302600_NS6detail15normal_iteratorINSA_10device_ptrIjEEEEPS6_SG_NS0_5tupleIJSF_SF_EEENSH_IJSG_SG_EEES6_PlJ7is_evenIjEEEE10hipError_tPvRmT3_T4_T5_T6_T7_T9_mT8_P12ihipStream_tbDpT10_ENKUlT_T0_E_clISt17integral_constantIbLb0EES15_IbLb1EEEEDaS11_S12_EUlS11_E_NS1_11comp_targetILNS1_3genE8ELNS1_11target_archE1030ELNS1_3gpuE2ELNS1_3repE0EEENS1_30default_config_static_selectorELNS0_4arch9wavefront6targetE1EEEvT1_,"axG",@progbits,_ZN7rocprim17ROCPRIM_400000_NS6detail17trampoline_kernelINS0_14default_configENS1_25partition_config_selectorILNS1_17partition_subalgoE0EjNS0_10empty_typeEbEEZZNS1_14partition_implILS5_0ELb0ES3_jN6thrust23THRUST_200600_302600_NS6detail15normal_iteratorINSA_10device_ptrIjEEEEPS6_SG_NS0_5tupleIJSF_SF_EEENSH_IJSG_SG_EEES6_PlJ7is_evenIjEEEE10hipError_tPvRmT3_T4_T5_T6_T7_T9_mT8_P12ihipStream_tbDpT10_ENKUlT_T0_E_clISt17integral_constantIbLb0EES15_IbLb1EEEEDaS11_S12_EUlS11_E_NS1_11comp_targetILNS1_3genE8ELNS1_11target_archE1030ELNS1_3gpuE2ELNS1_3repE0EEENS1_30default_config_static_selectorELNS0_4arch9wavefront6targetE1EEEvT1_,comdat
.Lfunc_end2168:
	.size	_ZN7rocprim17ROCPRIM_400000_NS6detail17trampoline_kernelINS0_14default_configENS1_25partition_config_selectorILNS1_17partition_subalgoE0EjNS0_10empty_typeEbEEZZNS1_14partition_implILS5_0ELb0ES3_jN6thrust23THRUST_200600_302600_NS6detail15normal_iteratorINSA_10device_ptrIjEEEEPS6_SG_NS0_5tupleIJSF_SF_EEENSH_IJSG_SG_EEES6_PlJ7is_evenIjEEEE10hipError_tPvRmT3_T4_T5_T6_T7_T9_mT8_P12ihipStream_tbDpT10_ENKUlT_T0_E_clISt17integral_constantIbLb0EES15_IbLb1EEEEDaS11_S12_EUlS11_E_NS1_11comp_targetILNS1_3genE8ELNS1_11target_archE1030ELNS1_3gpuE2ELNS1_3repE0EEENS1_30default_config_static_selectorELNS0_4arch9wavefront6targetE1EEEvT1_, .Lfunc_end2168-_ZN7rocprim17ROCPRIM_400000_NS6detail17trampoline_kernelINS0_14default_configENS1_25partition_config_selectorILNS1_17partition_subalgoE0EjNS0_10empty_typeEbEEZZNS1_14partition_implILS5_0ELb0ES3_jN6thrust23THRUST_200600_302600_NS6detail15normal_iteratorINSA_10device_ptrIjEEEEPS6_SG_NS0_5tupleIJSF_SF_EEENSH_IJSG_SG_EEES6_PlJ7is_evenIjEEEE10hipError_tPvRmT3_T4_T5_T6_T7_T9_mT8_P12ihipStream_tbDpT10_ENKUlT_T0_E_clISt17integral_constantIbLb0EES15_IbLb1EEEEDaS11_S12_EUlS11_E_NS1_11comp_targetILNS1_3genE8ELNS1_11target_archE1030ELNS1_3gpuE2ELNS1_3repE0EEENS1_30default_config_static_selectorELNS0_4arch9wavefront6targetE1EEEvT1_
                                        ; -- End function
	.section	.AMDGPU.csdata,"",@progbits
; Kernel info:
; codeLenInByte = 0
; NumSgprs: 6
; NumVgprs: 0
; NumAgprs: 0
; TotalNumVgprs: 0
; ScratchSize: 0
; MemoryBound: 0
; FloatMode: 240
; IeeeMode: 1
; LDSByteSize: 0 bytes/workgroup (compile time only)
; SGPRBlocks: 0
; VGPRBlocks: 0
; NumSGPRsForWavesPerEU: 6
; NumVGPRsForWavesPerEU: 1
; AccumOffset: 4
; Occupancy: 8
; WaveLimiterHint : 0
; COMPUTE_PGM_RSRC2:SCRATCH_EN: 0
; COMPUTE_PGM_RSRC2:USER_SGPR: 2
; COMPUTE_PGM_RSRC2:TRAP_HANDLER: 0
; COMPUTE_PGM_RSRC2:TGID_X_EN: 1
; COMPUTE_PGM_RSRC2:TGID_Y_EN: 0
; COMPUTE_PGM_RSRC2:TGID_Z_EN: 0
; COMPUTE_PGM_RSRC2:TIDIG_COMP_CNT: 0
; COMPUTE_PGM_RSRC3_GFX90A:ACCUM_OFFSET: 0
; COMPUTE_PGM_RSRC3_GFX90A:TG_SPLIT: 0
	.section	.text._ZN6thrust23THRUST_200600_302600_NS11hip_rocprim14__parallel_for6kernelILj256ENS1_20__uninitialized_fill7functorINS0_10device_ptrItEEtEEmLj1EEEvT0_T1_SA_,"axG",@progbits,_ZN6thrust23THRUST_200600_302600_NS11hip_rocprim14__parallel_for6kernelILj256ENS1_20__uninitialized_fill7functorINS0_10device_ptrItEEtEEmLj1EEEvT0_T1_SA_,comdat
	.protected	_ZN6thrust23THRUST_200600_302600_NS11hip_rocprim14__parallel_for6kernelILj256ENS1_20__uninitialized_fill7functorINS0_10device_ptrItEEtEEmLj1EEEvT0_T1_SA_ ; -- Begin function _ZN6thrust23THRUST_200600_302600_NS11hip_rocprim14__parallel_for6kernelILj256ENS1_20__uninitialized_fill7functorINS0_10device_ptrItEEtEEmLj1EEEvT0_T1_SA_
	.globl	_ZN6thrust23THRUST_200600_302600_NS11hip_rocprim14__parallel_for6kernelILj256ENS1_20__uninitialized_fill7functorINS0_10device_ptrItEEtEEmLj1EEEvT0_T1_SA_
	.p2align	8
	.type	_ZN6thrust23THRUST_200600_302600_NS11hip_rocprim14__parallel_for6kernelILj256ENS1_20__uninitialized_fill7functorINS0_10device_ptrItEEtEEmLj1EEEvT0_T1_SA_,@function
_ZN6thrust23THRUST_200600_302600_NS11hip_rocprim14__parallel_for6kernelILj256ENS1_20__uninitialized_fill7functorINS0_10device_ptrItEEtEEmLj1EEEvT0_T1_SA_: ; @_ZN6thrust23THRUST_200600_302600_NS11hip_rocprim14__parallel_for6kernelILj256ENS1_20__uninitialized_fill7functorINS0_10device_ptrItEEtEEmLj1EEEvT0_T1_SA_
; %bb.0:
	s_load_dwordx4 s[4:7], s[0:1], 0x10
	s_lshl_b32 s2, s2, 8
	v_mov_b64_e32 v[2:3], 0x100
	s_waitcnt lgkmcnt(0)
	s_add_u32 s2, s2, s6
	s_addc_u32 s3, 0, s7
	s_sub_u32 s4, s4, s2
	s_subb_u32 s5, s5, s3
	v_cmp_lt_u64_e32 vcc, s[4:5], v[2:3]
	s_cbranch_vccz .LBB2169_2
; %bb.1:
	v_cmp_gt_u32_e32 vcc, s4, v0
	s_and_b64 s[4:5], vcc, exec
	s_cbranch_execz .LBB2169_3
	s_branch .LBB2169_4
.LBB2169_2:
	s_mov_b64 s[4:5], 0
.LBB2169_3:
	s_or_b64 s[4:5], s[4:5], exec
.LBB2169_4:
	s_and_saveexec_b64 s[6:7], s[4:5]
	s_cbranch_execnz .LBB2169_6
; %bb.5:
	s_endpgm
.LBB2169_6:
	s_load_dwordx2 s[4:5], s[0:1], 0x0
	s_load_dword s6, s[0:1], 0x8
	s_lshl_b64 s[0:1], s[2:3], 1
	v_mov_b32_e32 v1, 0
	s_waitcnt lgkmcnt(0)
	s_add_u32 s0, s4, s0
	s_addc_u32 s1, s5, s1
	v_lshl_add_u64 v[0:1], v[0:1], 1, s[0:1]
	v_mov_b32_e32 v2, s6
	flat_store_short v[0:1], v2
	s_endpgm
	.section	.rodata,"a",@progbits
	.p2align	6, 0x0
	.amdhsa_kernel _ZN6thrust23THRUST_200600_302600_NS11hip_rocprim14__parallel_for6kernelILj256ENS1_20__uninitialized_fill7functorINS0_10device_ptrItEEtEEmLj1EEEvT0_T1_SA_
		.amdhsa_group_segment_fixed_size 0
		.amdhsa_private_segment_fixed_size 0
		.amdhsa_kernarg_size 32
		.amdhsa_user_sgpr_count 2
		.amdhsa_user_sgpr_dispatch_ptr 0
		.amdhsa_user_sgpr_queue_ptr 0
		.amdhsa_user_sgpr_kernarg_segment_ptr 1
		.amdhsa_user_sgpr_dispatch_id 0
		.amdhsa_user_sgpr_kernarg_preload_length 0
		.amdhsa_user_sgpr_kernarg_preload_offset 0
		.amdhsa_user_sgpr_private_segment_size 0
		.amdhsa_uses_dynamic_stack 0
		.amdhsa_enable_private_segment 0
		.amdhsa_system_sgpr_workgroup_id_x 1
		.amdhsa_system_sgpr_workgroup_id_y 0
		.amdhsa_system_sgpr_workgroup_id_z 0
		.amdhsa_system_sgpr_workgroup_info 0
		.amdhsa_system_vgpr_workitem_id 0
		.amdhsa_next_free_vgpr 4
		.amdhsa_next_free_sgpr 8
		.amdhsa_accum_offset 4
		.amdhsa_reserve_vcc 1
		.amdhsa_float_round_mode_32 0
		.amdhsa_float_round_mode_16_64 0
		.amdhsa_float_denorm_mode_32 3
		.amdhsa_float_denorm_mode_16_64 3
		.amdhsa_dx10_clamp 1
		.amdhsa_ieee_mode 1
		.amdhsa_fp16_overflow 0
		.amdhsa_tg_split 0
		.amdhsa_exception_fp_ieee_invalid_op 0
		.amdhsa_exception_fp_denorm_src 0
		.amdhsa_exception_fp_ieee_div_zero 0
		.amdhsa_exception_fp_ieee_overflow 0
		.amdhsa_exception_fp_ieee_underflow 0
		.amdhsa_exception_fp_ieee_inexact 0
		.amdhsa_exception_int_div_zero 0
	.end_amdhsa_kernel
	.section	.text._ZN6thrust23THRUST_200600_302600_NS11hip_rocprim14__parallel_for6kernelILj256ENS1_20__uninitialized_fill7functorINS0_10device_ptrItEEtEEmLj1EEEvT0_T1_SA_,"axG",@progbits,_ZN6thrust23THRUST_200600_302600_NS11hip_rocprim14__parallel_for6kernelILj256ENS1_20__uninitialized_fill7functorINS0_10device_ptrItEEtEEmLj1EEEvT0_T1_SA_,comdat
.Lfunc_end2169:
	.size	_ZN6thrust23THRUST_200600_302600_NS11hip_rocprim14__parallel_for6kernelILj256ENS1_20__uninitialized_fill7functorINS0_10device_ptrItEEtEEmLj1EEEvT0_T1_SA_, .Lfunc_end2169-_ZN6thrust23THRUST_200600_302600_NS11hip_rocprim14__parallel_for6kernelILj256ENS1_20__uninitialized_fill7functorINS0_10device_ptrItEEtEEmLj1EEEvT0_T1_SA_
                                        ; -- End function
	.section	.AMDGPU.csdata,"",@progbits
; Kernel info:
; codeLenInByte = 144
; NumSgprs: 14
; NumVgprs: 4
; NumAgprs: 0
; TotalNumVgprs: 4
; ScratchSize: 0
; MemoryBound: 0
; FloatMode: 240
; IeeeMode: 1
; LDSByteSize: 0 bytes/workgroup (compile time only)
; SGPRBlocks: 1
; VGPRBlocks: 0
; NumSGPRsForWavesPerEU: 14
; NumVGPRsForWavesPerEU: 4
; AccumOffset: 4
; Occupancy: 8
; WaveLimiterHint : 0
; COMPUTE_PGM_RSRC2:SCRATCH_EN: 0
; COMPUTE_PGM_RSRC2:USER_SGPR: 2
; COMPUTE_PGM_RSRC2:TRAP_HANDLER: 0
; COMPUTE_PGM_RSRC2:TGID_X_EN: 1
; COMPUTE_PGM_RSRC2:TGID_Y_EN: 0
; COMPUTE_PGM_RSRC2:TGID_Z_EN: 0
; COMPUTE_PGM_RSRC2:TIDIG_COMP_CNT: 0
; COMPUTE_PGM_RSRC3_GFX90A:ACCUM_OFFSET: 0
; COMPUTE_PGM_RSRC3_GFX90A:TG_SPLIT: 0
	.section	.text._ZN7rocprim17ROCPRIM_400000_NS6detail17trampoline_kernelINS0_14default_configENS1_25partition_config_selectorILNS1_17partition_subalgoE0EtNS0_10empty_typeEbEEZZNS1_14partition_implILS5_0ELb0ES3_jN6thrust23THRUST_200600_302600_NS6detail15normal_iteratorINSA_10device_ptrItEEEEPS6_SG_NS0_5tupleIJSF_SF_EEENSH_IJSG_SG_EEES6_PlJ7is_evenItEEEE10hipError_tPvRmT3_T4_T5_T6_T7_T9_mT8_P12ihipStream_tbDpT10_ENKUlT_T0_E_clISt17integral_constantIbLb0EES16_EEDaS11_S12_EUlS11_E_NS1_11comp_targetILNS1_3genE0ELNS1_11target_archE4294967295ELNS1_3gpuE0ELNS1_3repE0EEENS1_30default_config_static_selectorELNS0_4arch9wavefront6targetE1EEEvT1_,"axG",@progbits,_ZN7rocprim17ROCPRIM_400000_NS6detail17trampoline_kernelINS0_14default_configENS1_25partition_config_selectorILNS1_17partition_subalgoE0EtNS0_10empty_typeEbEEZZNS1_14partition_implILS5_0ELb0ES3_jN6thrust23THRUST_200600_302600_NS6detail15normal_iteratorINSA_10device_ptrItEEEEPS6_SG_NS0_5tupleIJSF_SF_EEENSH_IJSG_SG_EEES6_PlJ7is_evenItEEEE10hipError_tPvRmT3_T4_T5_T6_T7_T9_mT8_P12ihipStream_tbDpT10_ENKUlT_T0_E_clISt17integral_constantIbLb0EES16_EEDaS11_S12_EUlS11_E_NS1_11comp_targetILNS1_3genE0ELNS1_11target_archE4294967295ELNS1_3gpuE0ELNS1_3repE0EEENS1_30default_config_static_selectorELNS0_4arch9wavefront6targetE1EEEvT1_,comdat
	.protected	_ZN7rocprim17ROCPRIM_400000_NS6detail17trampoline_kernelINS0_14default_configENS1_25partition_config_selectorILNS1_17partition_subalgoE0EtNS0_10empty_typeEbEEZZNS1_14partition_implILS5_0ELb0ES3_jN6thrust23THRUST_200600_302600_NS6detail15normal_iteratorINSA_10device_ptrItEEEEPS6_SG_NS0_5tupleIJSF_SF_EEENSH_IJSG_SG_EEES6_PlJ7is_evenItEEEE10hipError_tPvRmT3_T4_T5_T6_T7_T9_mT8_P12ihipStream_tbDpT10_ENKUlT_T0_E_clISt17integral_constantIbLb0EES16_EEDaS11_S12_EUlS11_E_NS1_11comp_targetILNS1_3genE0ELNS1_11target_archE4294967295ELNS1_3gpuE0ELNS1_3repE0EEENS1_30default_config_static_selectorELNS0_4arch9wavefront6targetE1EEEvT1_ ; -- Begin function _ZN7rocprim17ROCPRIM_400000_NS6detail17trampoline_kernelINS0_14default_configENS1_25partition_config_selectorILNS1_17partition_subalgoE0EtNS0_10empty_typeEbEEZZNS1_14partition_implILS5_0ELb0ES3_jN6thrust23THRUST_200600_302600_NS6detail15normal_iteratorINSA_10device_ptrItEEEEPS6_SG_NS0_5tupleIJSF_SF_EEENSH_IJSG_SG_EEES6_PlJ7is_evenItEEEE10hipError_tPvRmT3_T4_T5_T6_T7_T9_mT8_P12ihipStream_tbDpT10_ENKUlT_T0_E_clISt17integral_constantIbLb0EES16_EEDaS11_S12_EUlS11_E_NS1_11comp_targetILNS1_3genE0ELNS1_11target_archE4294967295ELNS1_3gpuE0ELNS1_3repE0EEENS1_30default_config_static_selectorELNS0_4arch9wavefront6targetE1EEEvT1_
	.globl	_ZN7rocprim17ROCPRIM_400000_NS6detail17trampoline_kernelINS0_14default_configENS1_25partition_config_selectorILNS1_17partition_subalgoE0EtNS0_10empty_typeEbEEZZNS1_14partition_implILS5_0ELb0ES3_jN6thrust23THRUST_200600_302600_NS6detail15normal_iteratorINSA_10device_ptrItEEEEPS6_SG_NS0_5tupleIJSF_SF_EEENSH_IJSG_SG_EEES6_PlJ7is_evenItEEEE10hipError_tPvRmT3_T4_T5_T6_T7_T9_mT8_P12ihipStream_tbDpT10_ENKUlT_T0_E_clISt17integral_constantIbLb0EES16_EEDaS11_S12_EUlS11_E_NS1_11comp_targetILNS1_3genE0ELNS1_11target_archE4294967295ELNS1_3gpuE0ELNS1_3repE0EEENS1_30default_config_static_selectorELNS0_4arch9wavefront6targetE1EEEvT1_
	.p2align	8
	.type	_ZN7rocprim17ROCPRIM_400000_NS6detail17trampoline_kernelINS0_14default_configENS1_25partition_config_selectorILNS1_17partition_subalgoE0EtNS0_10empty_typeEbEEZZNS1_14partition_implILS5_0ELb0ES3_jN6thrust23THRUST_200600_302600_NS6detail15normal_iteratorINSA_10device_ptrItEEEEPS6_SG_NS0_5tupleIJSF_SF_EEENSH_IJSG_SG_EEES6_PlJ7is_evenItEEEE10hipError_tPvRmT3_T4_T5_T6_T7_T9_mT8_P12ihipStream_tbDpT10_ENKUlT_T0_E_clISt17integral_constantIbLb0EES16_EEDaS11_S12_EUlS11_E_NS1_11comp_targetILNS1_3genE0ELNS1_11target_archE4294967295ELNS1_3gpuE0ELNS1_3repE0EEENS1_30default_config_static_selectorELNS0_4arch9wavefront6targetE1EEEvT1_,@function
_ZN7rocprim17ROCPRIM_400000_NS6detail17trampoline_kernelINS0_14default_configENS1_25partition_config_selectorILNS1_17partition_subalgoE0EtNS0_10empty_typeEbEEZZNS1_14partition_implILS5_0ELb0ES3_jN6thrust23THRUST_200600_302600_NS6detail15normal_iteratorINSA_10device_ptrItEEEEPS6_SG_NS0_5tupleIJSF_SF_EEENSH_IJSG_SG_EEES6_PlJ7is_evenItEEEE10hipError_tPvRmT3_T4_T5_T6_T7_T9_mT8_P12ihipStream_tbDpT10_ENKUlT_T0_E_clISt17integral_constantIbLb0EES16_EEDaS11_S12_EUlS11_E_NS1_11comp_targetILNS1_3genE0ELNS1_11target_archE4294967295ELNS1_3gpuE0ELNS1_3repE0EEENS1_30default_config_static_selectorELNS0_4arch9wavefront6targetE1EEEvT1_: ; @_ZN7rocprim17ROCPRIM_400000_NS6detail17trampoline_kernelINS0_14default_configENS1_25partition_config_selectorILNS1_17partition_subalgoE0EtNS0_10empty_typeEbEEZZNS1_14partition_implILS5_0ELb0ES3_jN6thrust23THRUST_200600_302600_NS6detail15normal_iteratorINSA_10device_ptrItEEEEPS6_SG_NS0_5tupleIJSF_SF_EEENSH_IJSG_SG_EEES6_PlJ7is_evenItEEEE10hipError_tPvRmT3_T4_T5_T6_T7_T9_mT8_P12ihipStream_tbDpT10_ENKUlT_T0_E_clISt17integral_constantIbLb0EES16_EEDaS11_S12_EUlS11_E_NS1_11comp_targetILNS1_3genE0ELNS1_11target_archE4294967295ELNS1_3gpuE0ELNS1_3repE0EEENS1_30default_config_static_selectorELNS0_4arch9wavefront6targetE1EEEvT1_
; %bb.0:
	.section	.rodata,"a",@progbits
	.p2align	6, 0x0
	.amdhsa_kernel _ZN7rocprim17ROCPRIM_400000_NS6detail17trampoline_kernelINS0_14default_configENS1_25partition_config_selectorILNS1_17partition_subalgoE0EtNS0_10empty_typeEbEEZZNS1_14partition_implILS5_0ELb0ES3_jN6thrust23THRUST_200600_302600_NS6detail15normal_iteratorINSA_10device_ptrItEEEEPS6_SG_NS0_5tupleIJSF_SF_EEENSH_IJSG_SG_EEES6_PlJ7is_evenItEEEE10hipError_tPvRmT3_T4_T5_T6_T7_T9_mT8_P12ihipStream_tbDpT10_ENKUlT_T0_E_clISt17integral_constantIbLb0EES16_EEDaS11_S12_EUlS11_E_NS1_11comp_targetILNS1_3genE0ELNS1_11target_archE4294967295ELNS1_3gpuE0ELNS1_3repE0EEENS1_30default_config_static_selectorELNS0_4arch9wavefront6targetE1EEEvT1_
		.amdhsa_group_segment_fixed_size 0
		.amdhsa_private_segment_fixed_size 0
		.amdhsa_kernarg_size 120
		.amdhsa_user_sgpr_count 2
		.amdhsa_user_sgpr_dispatch_ptr 0
		.amdhsa_user_sgpr_queue_ptr 0
		.amdhsa_user_sgpr_kernarg_segment_ptr 1
		.amdhsa_user_sgpr_dispatch_id 0
		.amdhsa_user_sgpr_kernarg_preload_length 0
		.amdhsa_user_sgpr_kernarg_preload_offset 0
		.amdhsa_user_sgpr_private_segment_size 0
		.amdhsa_uses_dynamic_stack 0
		.amdhsa_enable_private_segment 0
		.amdhsa_system_sgpr_workgroup_id_x 1
		.amdhsa_system_sgpr_workgroup_id_y 0
		.amdhsa_system_sgpr_workgroup_id_z 0
		.amdhsa_system_sgpr_workgroup_info 0
		.amdhsa_system_vgpr_workitem_id 0
		.amdhsa_next_free_vgpr 1
		.amdhsa_next_free_sgpr 0
		.amdhsa_accum_offset 4
		.amdhsa_reserve_vcc 0
		.amdhsa_float_round_mode_32 0
		.amdhsa_float_round_mode_16_64 0
		.amdhsa_float_denorm_mode_32 3
		.amdhsa_float_denorm_mode_16_64 3
		.amdhsa_dx10_clamp 1
		.amdhsa_ieee_mode 1
		.amdhsa_fp16_overflow 0
		.amdhsa_tg_split 0
		.amdhsa_exception_fp_ieee_invalid_op 0
		.amdhsa_exception_fp_denorm_src 0
		.amdhsa_exception_fp_ieee_div_zero 0
		.amdhsa_exception_fp_ieee_overflow 0
		.amdhsa_exception_fp_ieee_underflow 0
		.amdhsa_exception_fp_ieee_inexact 0
		.amdhsa_exception_int_div_zero 0
	.end_amdhsa_kernel
	.section	.text._ZN7rocprim17ROCPRIM_400000_NS6detail17trampoline_kernelINS0_14default_configENS1_25partition_config_selectorILNS1_17partition_subalgoE0EtNS0_10empty_typeEbEEZZNS1_14partition_implILS5_0ELb0ES3_jN6thrust23THRUST_200600_302600_NS6detail15normal_iteratorINSA_10device_ptrItEEEEPS6_SG_NS0_5tupleIJSF_SF_EEENSH_IJSG_SG_EEES6_PlJ7is_evenItEEEE10hipError_tPvRmT3_T4_T5_T6_T7_T9_mT8_P12ihipStream_tbDpT10_ENKUlT_T0_E_clISt17integral_constantIbLb0EES16_EEDaS11_S12_EUlS11_E_NS1_11comp_targetILNS1_3genE0ELNS1_11target_archE4294967295ELNS1_3gpuE0ELNS1_3repE0EEENS1_30default_config_static_selectorELNS0_4arch9wavefront6targetE1EEEvT1_,"axG",@progbits,_ZN7rocprim17ROCPRIM_400000_NS6detail17trampoline_kernelINS0_14default_configENS1_25partition_config_selectorILNS1_17partition_subalgoE0EtNS0_10empty_typeEbEEZZNS1_14partition_implILS5_0ELb0ES3_jN6thrust23THRUST_200600_302600_NS6detail15normal_iteratorINSA_10device_ptrItEEEEPS6_SG_NS0_5tupleIJSF_SF_EEENSH_IJSG_SG_EEES6_PlJ7is_evenItEEEE10hipError_tPvRmT3_T4_T5_T6_T7_T9_mT8_P12ihipStream_tbDpT10_ENKUlT_T0_E_clISt17integral_constantIbLb0EES16_EEDaS11_S12_EUlS11_E_NS1_11comp_targetILNS1_3genE0ELNS1_11target_archE4294967295ELNS1_3gpuE0ELNS1_3repE0EEENS1_30default_config_static_selectorELNS0_4arch9wavefront6targetE1EEEvT1_,comdat
.Lfunc_end2170:
	.size	_ZN7rocprim17ROCPRIM_400000_NS6detail17trampoline_kernelINS0_14default_configENS1_25partition_config_selectorILNS1_17partition_subalgoE0EtNS0_10empty_typeEbEEZZNS1_14partition_implILS5_0ELb0ES3_jN6thrust23THRUST_200600_302600_NS6detail15normal_iteratorINSA_10device_ptrItEEEEPS6_SG_NS0_5tupleIJSF_SF_EEENSH_IJSG_SG_EEES6_PlJ7is_evenItEEEE10hipError_tPvRmT3_T4_T5_T6_T7_T9_mT8_P12ihipStream_tbDpT10_ENKUlT_T0_E_clISt17integral_constantIbLb0EES16_EEDaS11_S12_EUlS11_E_NS1_11comp_targetILNS1_3genE0ELNS1_11target_archE4294967295ELNS1_3gpuE0ELNS1_3repE0EEENS1_30default_config_static_selectorELNS0_4arch9wavefront6targetE1EEEvT1_, .Lfunc_end2170-_ZN7rocprim17ROCPRIM_400000_NS6detail17trampoline_kernelINS0_14default_configENS1_25partition_config_selectorILNS1_17partition_subalgoE0EtNS0_10empty_typeEbEEZZNS1_14partition_implILS5_0ELb0ES3_jN6thrust23THRUST_200600_302600_NS6detail15normal_iteratorINSA_10device_ptrItEEEEPS6_SG_NS0_5tupleIJSF_SF_EEENSH_IJSG_SG_EEES6_PlJ7is_evenItEEEE10hipError_tPvRmT3_T4_T5_T6_T7_T9_mT8_P12ihipStream_tbDpT10_ENKUlT_T0_E_clISt17integral_constantIbLb0EES16_EEDaS11_S12_EUlS11_E_NS1_11comp_targetILNS1_3genE0ELNS1_11target_archE4294967295ELNS1_3gpuE0ELNS1_3repE0EEENS1_30default_config_static_selectorELNS0_4arch9wavefront6targetE1EEEvT1_
                                        ; -- End function
	.section	.AMDGPU.csdata,"",@progbits
; Kernel info:
; codeLenInByte = 0
; NumSgprs: 6
; NumVgprs: 0
; NumAgprs: 0
; TotalNumVgprs: 0
; ScratchSize: 0
; MemoryBound: 0
; FloatMode: 240
; IeeeMode: 1
; LDSByteSize: 0 bytes/workgroup (compile time only)
; SGPRBlocks: 0
; VGPRBlocks: 0
; NumSGPRsForWavesPerEU: 6
; NumVGPRsForWavesPerEU: 1
; AccumOffset: 4
; Occupancy: 8
; WaveLimiterHint : 0
; COMPUTE_PGM_RSRC2:SCRATCH_EN: 0
; COMPUTE_PGM_RSRC2:USER_SGPR: 2
; COMPUTE_PGM_RSRC2:TRAP_HANDLER: 0
; COMPUTE_PGM_RSRC2:TGID_X_EN: 1
; COMPUTE_PGM_RSRC2:TGID_Y_EN: 0
; COMPUTE_PGM_RSRC2:TGID_Z_EN: 0
; COMPUTE_PGM_RSRC2:TIDIG_COMP_CNT: 0
; COMPUTE_PGM_RSRC3_GFX90A:ACCUM_OFFSET: 0
; COMPUTE_PGM_RSRC3_GFX90A:TG_SPLIT: 0
	.section	.text._ZN7rocprim17ROCPRIM_400000_NS6detail17trampoline_kernelINS0_14default_configENS1_25partition_config_selectorILNS1_17partition_subalgoE0EtNS0_10empty_typeEbEEZZNS1_14partition_implILS5_0ELb0ES3_jN6thrust23THRUST_200600_302600_NS6detail15normal_iteratorINSA_10device_ptrItEEEEPS6_SG_NS0_5tupleIJSF_SF_EEENSH_IJSG_SG_EEES6_PlJ7is_evenItEEEE10hipError_tPvRmT3_T4_T5_T6_T7_T9_mT8_P12ihipStream_tbDpT10_ENKUlT_T0_E_clISt17integral_constantIbLb0EES16_EEDaS11_S12_EUlS11_E_NS1_11comp_targetILNS1_3genE5ELNS1_11target_archE942ELNS1_3gpuE9ELNS1_3repE0EEENS1_30default_config_static_selectorELNS0_4arch9wavefront6targetE1EEEvT1_,"axG",@progbits,_ZN7rocprim17ROCPRIM_400000_NS6detail17trampoline_kernelINS0_14default_configENS1_25partition_config_selectorILNS1_17partition_subalgoE0EtNS0_10empty_typeEbEEZZNS1_14partition_implILS5_0ELb0ES3_jN6thrust23THRUST_200600_302600_NS6detail15normal_iteratorINSA_10device_ptrItEEEEPS6_SG_NS0_5tupleIJSF_SF_EEENSH_IJSG_SG_EEES6_PlJ7is_evenItEEEE10hipError_tPvRmT3_T4_T5_T6_T7_T9_mT8_P12ihipStream_tbDpT10_ENKUlT_T0_E_clISt17integral_constantIbLb0EES16_EEDaS11_S12_EUlS11_E_NS1_11comp_targetILNS1_3genE5ELNS1_11target_archE942ELNS1_3gpuE9ELNS1_3repE0EEENS1_30default_config_static_selectorELNS0_4arch9wavefront6targetE1EEEvT1_,comdat
	.protected	_ZN7rocprim17ROCPRIM_400000_NS6detail17trampoline_kernelINS0_14default_configENS1_25partition_config_selectorILNS1_17partition_subalgoE0EtNS0_10empty_typeEbEEZZNS1_14partition_implILS5_0ELb0ES3_jN6thrust23THRUST_200600_302600_NS6detail15normal_iteratorINSA_10device_ptrItEEEEPS6_SG_NS0_5tupleIJSF_SF_EEENSH_IJSG_SG_EEES6_PlJ7is_evenItEEEE10hipError_tPvRmT3_T4_T5_T6_T7_T9_mT8_P12ihipStream_tbDpT10_ENKUlT_T0_E_clISt17integral_constantIbLb0EES16_EEDaS11_S12_EUlS11_E_NS1_11comp_targetILNS1_3genE5ELNS1_11target_archE942ELNS1_3gpuE9ELNS1_3repE0EEENS1_30default_config_static_selectorELNS0_4arch9wavefront6targetE1EEEvT1_ ; -- Begin function _ZN7rocprim17ROCPRIM_400000_NS6detail17trampoline_kernelINS0_14default_configENS1_25partition_config_selectorILNS1_17partition_subalgoE0EtNS0_10empty_typeEbEEZZNS1_14partition_implILS5_0ELb0ES3_jN6thrust23THRUST_200600_302600_NS6detail15normal_iteratorINSA_10device_ptrItEEEEPS6_SG_NS0_5tupleIJSF_SF_EEENSH_IJSG_SG_EEES6_PlJ7is_evenItEEEE10hipError_tPvRmT3_T4_T5_T6_T7_T9_mT8_P12ihipStream_tbDpT10_ENKUlT_T0_E_clISt17integral_constantIbLb0EES16_EEDaS11_S12_EUlS11_E_NS1_11comp_targetILNS1_3genE5ELNS1_11target_archE942ELNS1_3gpuE9ELNS1_3repE0EEENS1_30default_config_static_selectorELNS0_4arch9wavefront6targetE1EEEvT1_
	.globl	_ZN7rocprim17ROCPRIM_400000_NS6detail17trampoline_kernelINS0_14default_configENS1_25partition_config_selectorILNS1_17partition_subalgoE0EtNS0_10empty_typeEbEEZZNS1_14partition_implILS5_0ELb0ES3_jN6thrust23THRUST_200600_302600_NS6detail15normal_iteratorINSA_10device_ptrItEEEEPS6_SG_NS0_5tupleIJSF_SF_EEENSH_IJSG_SG_EEES6_PlJ7is_evenItEEEE10hipError_tPvRmT3_T4_T5_T6_T7_T9_mT8_P12ihipStream_tbDpT10_ENKUlT_T0_E_clISt17integral_constantIbLb0EES16_EEDaS11_S12_EUlS11_E_NS1_11comp_targetILNS1_3genE5ELNS1_11target_archE942ELNS1_3gpuE9ELNS1_3repE0EEENS1_30default_config_static_selectorELNS0_4arch9wavefront6targetE1EEEvT1_
	.p2align	8
	.type	_ZN7rocprim17ROCPRIM_400000_NS6detail17trampoline_kernelINS0_14default_configENS1_25partition_config_selectorILNS1_17partition_subalgoE0EtNS0_10empty_typeEbEEZZNS1_14partition_implILS5_0ELb0ES3_jN6thrust23THRUST_200600_302600_NS6detail15normal_iteratorINSA_10device_ptrItEEEEPS6_SG_NS0_5tupleIJSF_SF_EEENSH_IJSG_SG_EEES6_PlJ7is_evenItEEEE10hipError_tPvRmT3_T4_T5_T6_T7_T9_mT8_P12ihipStream_tbDpT10_ENKUlT_T0_E_clISt17integral_constantIbLb0EES16_EEDaS11_S12_EUlS11_E_NS1_11comp_targetILNS1_3genE5ELNS1_11target_archE942ELNS1_3gpuE9ELNS1_3repE0EEENS1_30default_config_static_selectorELNS0_4arch9wavefront6targetE1EEEvT1_,@function
_ZN7rocprim17ROCPRIM_400000_NS6detail17trampoline_kernelINS0_14default_configENS1_25partition_config_selectorILNS1_17partition_subalgoE0EtNS0_10empty_typeEbEEZZNS1_14partition_implILS5_0ELb0ES3_jN6thrust23THRUST_200600_302600_NS6detail15normal_iteratorINSA_10device_ptrItEEEEPS6_SG_NS0_5tupleIJSF_SF_EEENSH_IJSG_SG_EEES6_PlJ7is_evenItEEEE10hipError_tPvRmT3_T4_T5_T6_T7_T9_mT8_P12ihipStream_tbDpT10_ENKUlT_T0_E_clISt17integral_constantIbLb0EES16_EEDaS11_S12_EUlS11_E_NS1_11comp_targetILNS1_3genE5ELNS1_11target_archE942ELNS1_3gpuE9ELNS1_3repE0EEENS1_30default_config_static_selectorELNS0_4arch9wavefront6targetE1EEEvT1_: ; @_ZN7rocprim17ROCPRIM_400000_NS6detail17trampoline_kernelINS0_14default_configENS1_25partition_config_selectorILNS1_17partition_subalgoE0EtNS0_10empty_typeEbEEZZNS1_14partition_implILS5_0ELb0ES3_jN6thrust23THRUST_200600_302600_NS6detail15normal_iteratorINSA_10device_ptrItEEEEPS6_SG_NS0_5tupleIJSF_SF_EEENSH_IJSG_SG_EEES6_PlJ7is_evenItEEEE10hipError_tPvRmT3_T4_T5_T6_T7_T9_mT8_P12ihipStream_tbDpT10_ENKUlT_T0_E_clISt17integral_constantIbLb0EES16_EEDaS11_S12_EUlS11_E_NS1_11comp_targetILNS1_3genE5ELNS1_11target_archE942ELNS1_3gpuE9ELNS1_3repE0EEENS1_30default_config_static_selectorELNS0_4arch9wavefront6targetE1EEEvT1_
; %bb.0:
	s_load_dwordx2 s[4:5], s[0:1], 0x58
	s_load_dwordx4 s[20:23], s[0:1], 0x8
	s_load_dwordx4 s[24:27], s[0:1], 0x48
	s_load_dword s3, s[0:1], 0x70
	s_mul_i32 s8, s2, 0x3c00
	s_waitcnt lgkmcnt(0)
	v_mov_b32_e32 v3, s5
	s_lshl_b64 s[6:7], s[22:23], 1
	s_add_u32 s10, s20, s6
	s_addc_u32 s11, s21, s7
	s_add_i32 s6, s3, -1
	s_mulk_i32 s3, 0x3c00
	s_add_i32 s5, s3, s22
	s_sub_i32 s33, s4, s5
	s_addk_i32 s33, 0x3c00
	v_mov_b32_e32 v2, s4
	s_add_u32 s4, s22, s3
	s_addc_u32 s5, s23, 0
	s_cmp_eq_u32 s2, s6
	s_load_dwordx2 s[28:29], s[26:27], 0x0
	s_cselect_b64 s[26:27], -1, 0
	s_cmp_lg_u32 s2, s6
	s_mov_b32 s9, 0
	v_cmp_lt_u64_e32 vcc, s[4:5], v[2:3]
	s_cselect_b64 s[4:5], -1, 0
	s_or_b64 s[6:7], s[4:5], vcc
	s_lshl_b64 s[30:31], s[8:9], 1
	s_add_u32 s8, s10, s30
	s_addc_u32 s9, s11, s31
	s_mov_b64 s[4:5], -1
	s_and_b64 vcc, exec, s[6:7]
	v_lshlrev_b32_e32 v2, 1, v0
	s_cbranch_vccz .LBB2171_2
; %bb.1:
	v_mov_b32_e32 v3, 0
	v_lshl_add_u64 v[4:5], s[8:9], 0, v[2:3]
	v_add_co_u32_e32 v6, vcc, 0x1000, v4
	s_mov_b64 s[4:5], 0
	s_nop 0
	v_addc_co_u32_e32 v7, vcc, 0, v5, vcc
	flat_load_ushort v1, v[4:5]
	flat_load_ushort v3, v[4:5] offset:1024
	flat_load_ushort v10, v[4:5] offset:2048
	flat_load_ushort v11, v[4:5] offset:3072
	flat_load_ushort v12, v[6:7]
	flat_load_ushort v13, v[6:7] offset:1024
	flat_load_ushort v14, v[6:7] offset:2048
	flat_load_ushort v15, v[6:7] offset:3072
	v_add_co_u32_e32 v6, vcc, 0x2000, v4
	s_nop 1
	v_addc_co_u32_e32 v7, vcc, 0, v5, vcc
	v_add_co_u32_e32 v8, vcc, 0x3000, v4
	s_nop 1
	v_addc_co_u32_e32 v9, vcc, 0, v5, vcc
	flat_load_ushort v16, v[6:7]
	flat_load_ushort v17, v[6:7] offset:1024
	flat_load_ushort v18, v[6:7] offset:2048
	flat_load_ushort v19, v[6:7] offset:3072
	flat_load_ushort v20, v[8:9]
	flat_load_ushort v21, v[8:9] offset:1024
	flat_load_ushort v22, v[8:9] offset:2048
	flat_load_ushort v23, v[8:9] offset:3072
	v_add_co_u32_e32 v6, vcc, 0x4000, v4
	s_nop 1
	v_addc_co_u32_e32 v7, vcc, 0, v5, vcc
	v_add_co_u32_e32 v8, vcc, 0x5000, v4
	s_nop 1
	v_addc_co_u32_e32 v9, vcc, 0, v5, vcc
	flat_load_ushort v24, v[6:7]
	flat_load_ushort v25, v[6:7] offset:1024
	flat_load_ushort v26, v[6:7] offset:2048
	flat_load_ushort v27, v[6:7] offset:3072
	flat_load_ushort v28, v[8:9]
	flat_load_ushort v29, v[8:9] offset:1024
	flat_load_ushort v30, v[8:9] offset:2048
	flat_load_ushort v31, v[8:9] offset:3072
	v_add_co_u32_e32 v6, vcc, 0x6000, v4
	s_nop 1
	v_addc_co_u32_e32 v7, vcc, 0, v5, vcc
	v_add_co_u32_e32 v4, vcc, 0x7000, v4
	s_nop 1
	v_addc_co_u32_e32 v5, vcc, 0, v5, vcc
	flat_load_ushort v8, v[6:7]
	flat_load_ushort v9, v[6:7] offset:1024
	flat_load_ushort v32, v[6:7] offset:2048
	;; [unrolled: 1-line block ×3, first 2 shown]
	flat_load_ushort v34, v[4:5]
	flat_load_ushort v35, v[4:5] offset:1024
	s_waitcnt vmcnt(0) lgkmcnt(0)
	ds_write_b16 v2, v1
	ds_write_b16 v2, v3 offset:1024
	ds_write_b16 v2, v10 offset:2048
	;; [unrolled: 1-line block ×29, first 2 shown]
	s_waitcnt lgkmcnt(0)
	s_barrier
.LBB2171_2:
	s_andn2_b64 vcc, exec, s[4:5]
	v_cmp_gt_u32_e64 s[4:5], s33, v0
	s_cbranch_vccnz .LBB2171_64
; %bb.3:
                                        ; implicit-def: $vgpr1
	s_and_saveexec_b64 s[10:11], s[4:5]
	s_cbranch_execz .LBB2171_5
; %bb.4:
	v_mov_b32_e32 v3, 0
	v_lshl_add_u64 v[4:5], s[8:9], 0, v[2:3]
	flat_load_ushort v1, v[4:5]
.LBB2171_5:
	s_or_b64 exec, exec, s[10:11]
	v_or_b32_e32 v3, 0x200, v0
	v_cmp_gt_u32_e32 vcc, s33, v3
                                        ; implicit-def: $vgpr4
	s_and_saveexec_b64 s[4:5], vcc
	s_cbranch_execz .LBB2171_7
; %bb.6:
	v_mov_b32_e32 v3, 0
	v_lshl_add_u64 v[4:5], s[8:9], 0, v[2:3]
	flat_load_ushort v4, v[4:5] offset:1024
.LBB2171_7:
	s_or_b64 exec, exec, s[4:5]
	v_or_b32_e32 v3, 0x400, v0
	v_cmp_gt_u32_e32 vcc, s33, v3
                                        ; implicit-def: $vgpr5
	s_and_saveexec_b64 s[4:5], vcc
	s_cbranch_execz .LBB2171_9
; %bb.8:
	v_mov_b32_e32 v3, 0
	v_lshl_add_u64 v[6:7], s[8:9], 0, v[2:3]
	flat_load_ushort v5, v[6:7] offset:2048
.LBB2171_9:
	s_or_b64 exec, exec, s[4:5]
	v_or_b32_e32 v3, 0x600, v0
	v_cmp_gt_u32_e32 vcc, s33, v3
                                        ; implicit-def: $vgpr3
	s_and_saveexec_b64 s[4:5], vcc
	s_cbranch_execz .LBB2171_11
; %bb.10:
	v_mov_b32_e32 v3, 0
	v_lshl_add_u64 v[6:7], s[8:9], 0, v[2:3]
	flat_load_ushort v3, v[6:7] offset:3072
.LBB2171_11:
	s_or_b64 exec, exec, s[4:5]
	v_or_b32_e32 v7, 0x800, v0
	v_cmp_gt_u32_e32 vcc, s33, v7
                                        ; implicit-def: $vgpr6
	s_and_saveexec_b64 s[4:5], vcc
	s_cbranch_execz .LBB2171_13
; %bb.12:
	v_lshlrev_b32_e32 v6, 1, v7
	v_mov_b32_e32 v7, 0
	v_lshl_add_u64 v[6:7], s[8:9], 0, v[6:7]
	flat_load_ushort v6, v[6:7]
.LBB2171_13:
	s_or_b64 exec, exec, s[4:5]
	v_or_b32_e32 v8, 0xa00, v0
	v_cmp_gt_u32_e32 vcc, s33, v8
                                        ; implicit-def: $vgpr7
	s_and_saveexec_b64 s[4:5], vcc
	s_cbranch_execz .LBB2171_15
; %bb.14:
	v_lshlrev_b32_e32 v8, 1, v8
	v_mov_b32_e32 v9, 0
	v_lshl_add_u64 v[8:9], s[8:9], 0, v[8:9]
	flat_load_ushort v7, v[8:9]
.LBB2171_15:
	s_or_b64 exec, exec, s[4:5]
	v_or_b32_e32 v9, 0xc00, v0
	v_cmp_gt_u32_e32 vcc, s33, v9
                                        ; implicit-def: $vgpr8
	s_and_saveexec_b64 s[4:5], vcc
	s_cbranch_execz .LBB2171_17
; %bb.16:
	v_lshlrev_b32_e32 v8, 1, v9
	v_mov_b32_e32 v9, 0
	v_lshl_add_u64 v[8:9], s[8:9], 0, v[8:9]
	flat_load_ushort v8, v[8:9]
.LBB2171_17:
	s_or_b64 exec, exec, s[4:5]
	v_or_b32_e32 v10, 0xe00, v0
	v_cmp_gt_u32_e32 vcc, s33, v10
                                        ; implicit-def: $vgpr9
	s_and_saveexec_b64 s[4:5], vcc
	s_cbranch_execz .LBB2171_19
; %bb.18:
	v_lshlrev_b32_e32 v10, 1, v10
	v_mov_b32_e32 v11, 0
	v_lshl_add_u64 v[10:11], s[8:9], 0, v[10:11]
	flat_load_ushort v9, v[10:11]
.LBB2171_19:
	s_or_b64 exec, exec, s[4:5]
	v_or_b32_e32 v11, 0x1000, v0
	v_cmp_gt_u32_e32 vcc, s33, v11
                                        ; implicit-def: $vgpr10
	s_and_saveexec_b64 s[4:5], vcc
	s_cbranch_execz .LBB2171_21
; %bb.20:
	v_lshlrev_b32_e32 v10, 1, v11
	v_mov_b32_e32 v11, 0
	v_lshl_add_u64 v[10:11], s[8:9], 0, v[10:11]
	flat_load_ushort v10, v[10:11]
.LBB2171_21:
	s_or_b64 exec, exec, s[4:5]
	v_or_b32_e32 v12, 0x1200, v0
	v_cmp_gt_u32_e32 vcc, s33, v12
                                        ; implicit-def: $vgpr11
	s_and_saveexec_b64 s[4:5], vcc
	s_cbranch_execz .LBB2171_23
; %bb.22:
	v_lshlrev_b32_e32 v12, 1, v12
	v_mov_b32_e32 v13, 0
	v_lshl_add_u64 v[12:13], s[8:9], 0, v[12:13]
	flat_load_ushort v11, v[12:13]
.LBB2171_23:
	s_or_b64 exec, exec, s[4:5]
	v_or_b32_e32 v13, 0x1400, v0
	v_cmp_gt_u32_e32 vcc, s33, v13
                                        ; implicit-def: $vgpr12
	s_and_saveexec_b64 s[4:5], vcc
	s_cbranch_execz .LBB2171_25
; %bb.24:
	v_lshlrev_b32_e32 v12, 1, v13
	v_mov_b32_e32 v13, 0
	v_lshl_add_u64 v[12:13], s[8:9], 0, v[12:13]
	flat_load_ushort v12, v[12:13]
.LBB2171_25:
	s_or_b64 exec, exec, s[4:5]
	v_or_b32_e32 v14, 0x1600, v0
	v_cmp_gt_u32_e32 vcc, s33, v14
                                        ; implicit-def: $vgpr13
	s_and_saveexec_b64 s[4:5], vcc
	s_cbranch_execz .LBB2171_27
; %bb.26:
	v_lshlrev_b32_e32 v14, 1, v14
	v_mov_b32_e32 v15, 0
	v_lshl_add_u64 v[14:15], s[8:9], 0, v[14:15]
	flat_load_ushort v13, v[14:15]
.LBB2171_27:
	s_or_b64 exec, exec, s[4:5]
	v_or_b32_e32 v15, 0x1800, v0
	v_cmp_gt_u32_e32 vcc, s33, v15
                                        ; implicit-def: $vgpr14
	s_and_saveexec_b64 s[4:5], vcc
	s_cbranch_execz .LBB2171_29
; %bb.28:
	v_lshlrev_b32_e32 v14, 1, v15
	v_mov_b32_e32 v15, 0
	v_lshl_add_u64 v[14:15], s[8:9], 0, v[14:15]
	flat_load_ushort v14, v[14:15]
.LBB2171_29:
	s_or_b64 exec, exec, s[4:5]
	v_or_b32_e32 v16, 0x1a00, v0
	v_cmp_gt_u32_e32 vcc, s33, v16
                                        ; implicit-def: $vgpr15
	s_and_saveexec_b64 s[4:5], vcc
	s_cbranch_execz .LBB2171_31
; %bb.30:
	v_lshlrev_b32_e32 v16, 1, v16
	v_mov_b32_e32 v17, 0
	v_lshl_add_u64 v[16:17], s[8:9], 0, v[16:17]
	flat_load_ushort v15, v[16:17]
.LBB2171_31:
	s_or_b64 exec, exec, s[4:5]
	v_or_b32_e32 v17, 0x1c00, v0
	v_cmp_gt_u32_e32 vcc, s33, v17
                                        ; implicit-def: $vgpr16
	s_and_saveexec_b64 s[4:5], vcc
	s_cbranch_execz .LBB2171_33
; %bb.32:
	v_lshlrev_b32_e32 v16, 1, v17
	v_mov_b32_e32 v17, 0
	v_lshl_add_u64 v[16:17], s[8:9], 0, v[16:17]
	flat_load_ushort v16, v[16:17]
.LBB2171_33:
	s_or_b64 exec, exec, s[4:5]
	v_or_b32_e32 v18, 0x1e00, v0
	v_cmp_gt_u32_e32 vcc, s33, v18
                                        ; implicit-def: $vgpr17
	s_and_saveexec_b64 s[4:5], vcc
	s_cbranch_execz .LBB2171_35
; %bb.34:
	v_lshlrev_b32_e32 v18, 1, v18
	v_mov_b32_e32 v19, 0
	v_lshl_add_u64 v[18:19], s[8:9], 0, v[18:19]
	flat_load_ushort v17, v[18:19]
.LBB2171_35:
	s_or_b64 exec, exec, s[4:5]
	v_or_b32_e32 v19, 0x2000, v0
	v_cmp_gt_u32_e32 vcc, s33, v19
                                        ; implicit-def: $vgpr18
	s_and_saveexec_b64 s[4:5], vcc
	s_cbranch_execz .LBB2171_37
; %bb.36:
	v_lshlrev_b32_e32 v18, 1, v19
	v_mov_b32_e32 v19, 0
	v_lshl_add_u64 v[18:19], s[8:9], 0, v[18:19]
	flat_load_ushort v18, v[18:19]
.LBB2171_37:
	s_or_b64 exec, exec, s[4:5]
	v_or_b32_e32 v20, 0x2200, v0
	v_cmp_gt_u32_e32 vcc, s33, v20
                                        ; implicit-def: $vgpr19
	s_and_saveexec_b64 s[4:5], vcc
	s_cbranch_execz .LBB2171_39
; %bb.38:
	v_lshlrev_b32_e32 v20, 1, v20
	v_mov_b32_e32 v21, 0
	v_lshl_add_u64 v[20:21], s[8:9], 0, v[20:21]
	flat_load_ushort v19, v[20:21]
.LBB2171_39:
	s_or_b64 exec, exec, s[4:5]
	v_or_b32_e32 v21, 0x2400, v0
	v_cmp_gt_u32_e32 vcc, s33, v21
                                        ; implicit-def: $vgpr20
	s_and_saveexec_b64 s[4:5], vcc
	s_cbranch_execz .LBB2171_41
; %bb.40:
	v_lshlrev_b32_e32 v20, 1, v21
	v_mov_b32_e32 v21, 0
	v_lshl_add_u64 v[20:21], s[8:9], 0, v[20:21]
	flat_load_ushort v20, v[20:21]
.LBB2171_41:
	s_or_b64 exec, exec, s[4:5]
	v_or_b32_e32 v22, 0x2600, v0
	v_cmp_gt_u32_e32 vcc, s33, v22
                                        ; implicit-def: $vgpr21
	s_and_saveexec_b64 s[4:5], vcc
	s_cbranch_execz .LBB2171_43
; %bb.42:
	v_lshlrev_b32_e32 v22, 1, v22
	v_mov_b32_e32 v23, 0
	v_lshl_add_u64 v[22:23], s[8:9], 0, v[22:23]
	flat_load_ushort v21, v[22:23]
.LBB2171_43:
	s_or_b64 exec, exec, s[4:5]
	v_or_b32_e32 v23, 0x2800, v0
	v_cmp_gt_u32_e32 vcc, s33, v23
                                        ; implicit-def: $vgpr22
	s_and_saveexec_b64 s[4:5], vcc
	s_cbranch_execz .LBB2171_45
; %bb.44:
	v_lshlrev_b32_e32 v22, 1, v23
	v_mov_b32_e32 v23, 0
	v_lshl_add_u64 v[22:23], s[8:9], 0, v[22:23]
	flat_load_ushort v22, v[22:23]
.LBB2171_45:
	s_or_b64 exec, exec, s[4:5]
	v_or_b32_e32 v24, 0x2a00, v0
	v_cmp_gt_u32_e32 vcc, s33, v24
                                        ; implicit-def: $vgpr23
	s_and_saveexec_b64 s[4:5], vcc
	s_cbranch_execz .LBB2171_47
; %bb.46:
	v_lshlrev_b32_e32 v24, 1, v24
	v_mov_b32_e32 v25, 0
	v_lshl_add_u64 v[24:25], s[8:9], 0, v[24:25]
	flat_load_ushort v23, v[24:25]
.LBB2171_47:
	s_or_b64 exec, exec, s[4:5]
	v_or_b32_e32 v25, 0x2c00, v0
	v_cmp_gt_u32_e32 vcc, s33, v25
                                        ; implicit-def: $vgpr24
	s_and_saveexec_b64 s[4:5], vcc
	s_cbranch_execz .LBB2171_49
; %bb.48:
	v_lshlrev_b32_e32 v24, 1, v25
	v_mov_b32_e32 v25, 0
	v_lshl_add_u64 v[24:25], s[8:9], 0, v[24:25]
	flat_load_ushort v24, v[24:25]
.LBB2171_49:
	s_or_b64 exec, exec, s[4:5]
	v_or_b32_e32 v26, 0x2e00, v0
	v_cmp_gt_u32_e32 vcc, s33, v26
                                        ; implicit-def: $vgpr25
	s_and_saveexec_b64 s[4:5], vcc
	s_cbranch_execz .LBB2171_51
; %bb.50:
	v_lshlrev_b32_e32 v26, 1, v26
	v_mov_b32_e32 v27, 0
	v_lshl_add_u64 v[26:27], s[8:9], 0, v[26:27]
	flat_load_ushort v25, v[26:27]
.LBB2171_51:
	s_or_b64 exec, exec, s[4:5]
	v_or_b32_e32 v27, 0x3000, v0
	v_cmp_gt_u32_e32 vcc, s33, v27
                                        ; implicit-def: $vgpr26
	s_and_saveexec_b64 s[4:5], vcc
	s_cbranch_execz .LBB2171_53
; %bb.52:
	v_lshlrev_b32_e32 v26, 1, v27
	v_mov_b32_e32 v27, 0
	v_lshl_add_u64 v[26:27], s[8:9], 0, v[26:27]
	flat_load_ushort v26, v[26:27]
.LBB2171_53:
	s_or_b64 exec, exec, s[4:5]
	v_or_b32_e32 v28, 0x3200, v0
	v_cmp_gt_u32_e32 vcc, s33, v28
                                        ; implicit-def: $vgpr27
	s_and_saveexec_b64 s[4:5], vcc
	s_cbranch_execz .LBB2171_55
; %bb.54:
	v_lshlrev_b32_e32 v28, 1, v28
	v_mov_b32_e32 v29, 0
	v_lshl_add_u64 v[28:29], s[8:9], 0, v[28:29]
	flat_load_ushort v27, v[28:29]
.LBB2171_55:
	s_or_b64 exec, exec, s[4:5]
	v_or_b32_e32 v29, 0x3400, v0
	v_cmp_gt_u32_e32 vcc, s33, v29
                                        ; implicit-def: $vgpr28
	s_and_saveexec_b64 s[4:5], vcc
	s_cbranch_execz .LBB2171_57
; %bb.56:
	v_lshlrev_b32_e32 v28, 1, v29
	v_mov_b32_e32 v29, 0
	v_lshl_add_u64 v[28:29], s[8:9], 0, v[28:29]
	flat_load_ushort v28, v[28:29]
.LBB2171_57:
	s_or_b64 exec, exec, s[4:5]
	v_or_b32_e32 v30, 0x3600, v0
	v_cmp_gt_u32_e32 vcc, s33, v30
                                        ; implicit-def: $vgpr29
	s_and_saveexec_b64 s[4:5], vcc
	s_cbranch_execz .LBB2171_59
; %bb.58:
	v_lshlrev_b32_e32 v30, 1, v30
	v_mov_b32_e32 v31, 0
	v_lshl_add_u64 v[30:31], s[8:9], 0, v[30:31]
	flat_load_ushort v29, v[30:31]
.LBB2171_59:
	s_or_b64 exec, exec, s[4:5]
	v_or_b32_e32 v31, 0x3800, v0
	v_cmp_gt_u32_e32 vcc, s33, v31
                                        ; implicit-def: $vgpr30
	s_and_saveexec_b64 s[4:5], vcc
	s_cbranch_execz .LBB2171_61
; %bb.60:
	v_lshlrev_b32_e32 v30, 1, v31
	v_mov_b32_e32 v31, 0
	v_lshl_add_u64 v[30:31], s[8:9], 0, v[30:31]
	flat_load_ushort v30, v[30:31]
.LBB2171_61:
	s_or_b64 exec, exec, s[4:5]
	v_or_b32_e32 v32, 0x3a00, v0
	v_cmp_gt_u32_e32 vcc, s33, v32
                                        ; implicit-def: $vgpr31
	s_and_saveexec_b64 s[4:5], vcc
	s_cbranch_execz .LBB2171_63
; %bb.62:
	v_lshlrev_b32_e32 v32, 1, v32
	v_mov_b32_e32 v33, 0
	v_lshl_add_u64 v[32:33], s[8:9], 0, v[32:33]
	flat_load_ushort v31, v[32:33]
.LBB2171_63:
	s_or_b64 exec, exec, s[4:5]
	s_waitcnt vmcnt(0) lgkmcnt(0)
	ds_write_b16 v2, v1
	ds_write_b16 v2, v4 offset:1024
	ds_write_b16 v2, v5 offset:2048
	;; [unrolled: 1-line block ×29, first 2 shown]
	s_waitcnt lgkmcnt(0)
	s_barrier
.LBB2171_64:
	v_mul_u32_u24_e32 v40, 30, v0
	v_lshlrev_b32_e32 v4, 1, v40
	s_waitcnt lgkmcnt(0)
	ds_read_b32 v3, v4 offset:56
	ds_read2_b32 v[6:7], v4 offset0:12 offset1:13
	ds_read2_b32 v[8:9], v4 offset0:10 offset1:11
	;; [unrolled: 1-line block ×3, first 2 shown]
	ds_read2_b32 v[18:19], v4 offset1:1
	ds_read2_b32 v[16:17], v4 offset0:2 offset1:3
	ds_read2_b32 v[14:15], v4 offset0:4 offset1:5
	;; [unrolled: 1-line block ×3, first 2 shown]
	s_waitcnt lgkmcnt(7)
	v_lshrrev_b32_e32 v1, 16, v3
	s_waitcnt lgkmcnt(6)
	v_lshrrev_b32_e32 v29, 16, v6
	v_lshrrev_b32_e32 v28, 16, v7
	s_waitcnt lgkmcnt(5)
	v_lshrrev_b32_e32 v31, 16, v8
	;; [unrolled: 3-line block ×6, first 2 shown]
	v_lshrrev_b32_e32 v34, 16, v13
	v_lshrrev_b32_e32 v33, 16, v10
	;; [unrolled: 1-line block ×3, first 2 shown]
	v_cndmask_b32_e64 v4, 0, 1, s[6:7]
	v_cmp_ne_u32_e64 s[20:21], 1, v4
	s_andn2_b64 vcc, exec, s[6:7]
	v_xor_b32_e32 v92, -1, v18
	v_xor_b32_e32 v91, -1, v42
	;; [unrolled: 1-line block ×30, first 2 shown]
	s_barrier
	s_cbranch_vccnz .LBB2171_66
; %bb.65:
	v_and_b32_e32 v72, 1, v92
	v_and_b32_e32 v71, 1, v91
	;; [unrolled: 1-line block ×30, first 2 shown]
	s_load_dwordx2 s[34:35], s[0:1], 0x68
	s_cbranch_execz .LBB2171_67
	s_branch .LBB2171_68
.LBB2171_66:
                                        ; implicit-def: $vgpr72
                                        ; implicit-def: $vgpr71
                                        ; implicit-def: $vgpr70
                                        ; implicit-def: $vgpr69
                                        ; implicit-def: $vgpr68
                                        ; implicit-def: $vgpr67
                                        ; implicit-def: $vgpr66
                                        ; implicit-def: $vgpr65
                                        ; implicit-def: $vgpr64
                                        ; implicit-def: $vgpr63
                                        ; implicit-def: $vgpr62
                                        ; implicit-def: $vgpr61
                                        ; implicit-def: $vgpr60
                                        ; implicit-def: $vgpr59
                                        ; implicit-def: $vgpr58
                                        ; implicit-def: $vgpr57
                                        ; implicit-def: $vgpr56
                                        ; implicit-def: $vgpr55
                                        ; implicit-def: $vgpr54
                                        ; implicit-def: $vgpr53
                                        ; implicit-def: $vgpr52
                                        ; implicit-def: $vgpr51
                                        ; implicit-def: $vgpr50
                                        ; implicit-def: $vgpr49
                                        ; implicit-def: $vgpr48
                                        ; implicit-def: $vgpr47
                                        ; implicit-def: $vgpr46
                                        ; implicit-def: $vgpr45
                                        ; implicit-def: $vgpr43
                                        ; implicit-def: $vgpr44
	s_load_dwordx2 s[34:35], s[0:1], 0x68
.LBB2171_67:
	v_or_b32_e32 v52, 1, v40
	v_cmp_gt_u32_e32 vcc, s33, v40
	v_add_u32_e32 v53, 2, v40
	v_add_u32_e32 v54, 3, v40
	v_cndmask_b32_e64 v62, 0, 1, vcc
	v_cmp_gt_u32_e32 vcc, s33, v52
	v_add_u32_e32 v55, 4, v40
	v_add_u32_e32 v56, 5, v40
	v_cndmask_b32_e64 v52, 0, 1, vcc
	v_cmp_gt_u32_e32 vcc, s33, v53
	v_and_b32_e32 v71, v52, v91
	v_add_u32_e32 v57, 6, v40
	v_cndmask_b32_e64 v52, 0, 1, vcc
	v_cmp_gt_u32_e32 vcc, s33, v54
	v_and_b32_e32 v70, v52, v90
	;; [unrolled: 4-line block ×9, first 2 shown]
	v_and_b32_e32 v72, v62, v92
	v_cndmask_b32_e64 v52, 0, 1, vcc
	v_cmp_gt_u32_e32 vcc, s33, v93
	v_and_b32_e32 v62, v52, v82
	v_add_u32_e32 v96, 14, v40
	v_cndmask_b32_e64 v52, 0, 1, vcc
	v_cmp_gt_u32_e32 vcc, s33, v94
	v_and_b32_e32 v61, v52, v81
	v_add_u32_e32 v97, 15, v40
	;; [unrolled: 4-line block ×16, first 2 shown]
	v_cndmask_b32_e64 v22, 0, 1, vcc
	v_cmp_gt_u32_e32 vcc, s33, v45
	v_and_b32_e32 v46, v22, v21
	s_nop 0
	v_cndmask_b32_e64 v21, 0, 1, vcc
	v_cmp_gt_u32_e32 vcc, s33, v43
	v_and_b32_e32 v45, v21, v20
	s_nop 0
	;; [unrolled: 4-line block ×3, first 2 shown]
	v_cndmask_b32_e64 v5, 0, 1, vcc
	v_and_b32_e32 v44, v5, v4
.LBB2171_68:
	v_and_b32_e32 v99, 0xff, v46
	v_and_b32_e32 v100, 0xff, v45
	v_add_u32_sdwa v4, v43, v44 dst_sel:DWORD dst_unused:UNUSED_PAD src0_sel:BYTE_0 src1_sel:BYTE_0
	v_and_b32_e32 v97, 0xff, v48
	v_and_b32_e32 v98, 0xff, v47
	v_add3_u32 v4, v4, v100, v99
	v_and_b32_e32 v95, 0xff, v50
	v_and_b32_e32 v96, 0xff, v49
	v_add3_u32 v4, v4, v98, v97
	;; [unrolled: 3-line block ×13, first 2 shown]
	v_add3_u32 v103, v4, v74, v73
	v_mbcnt_lo_u32_b32 v4, -1, 0
	v_mbcnt_hi_u32_b32 v101, -1, v4
	v_and_b32_e32 v4, 15, v101
	v_cmp_eq_u32_e64 s[16:17], 0, v4
	v_cmp_lt_u32_e64 s[14:15], 1, v4
	v_cmp_lt_u32_e64 s[12:13], 3, v4
	;; [unrolled: 1-line block ×3, first 2 shown]
	v_and_b32_e32 v4, 16, v101
	v_cmp_eq_u32_e64 s[8:9], 0, v4
	v_or_b32_e32 v4, 63, v0
	s_cmp_lg_u32 s2, 0
	v_cmp_lt_u32_e64 s[4:5], 31, v101
	v_lshrrev_b32_e32 v102, 6, v0
	v_cmp_eq_u32_e64 s[6:7], v4, v0
	s_cbranch_scc0 .LBB2171_95
; %bb.69:
	v_mov_b32_dpp v4, v103 row_shr:1 row_mask:0xf bank_mask:0xf
	v_cndmask_b32_e64 v4, v4, 0, s[16:17]
	v_add_u32_e32 v4, v4, v103
	s_nop 1
	v_mov_b32_dpp v5, v4 row_shr:2 row_mask:0xf bank_mask:0xf
	v_cndmask_b32_e64 v5, 0, v5, s[14:15]
	v_add_u32_e32 v4, v4, v5
	s_nop 1
	;; [unrolled: 4-line block ×4, first 2 shown]
	v_mov_b32_dpp v5, v4 row_bcast:15 row_mask:0xf bank_mask:0xf
	v_cndmask_b32_e64 v5, v5, 0, s[8:9]
	v_add_u32_e32 v4, v4, v5
	s_nop 1
	v_mov_b32_dpp v5, v4 row_bcast:31 row_mask:0xf bank_mask:0xf
	v_cndmask_b32_e64 v5, 0, v5, s[4:5]
	v_add_u32_e32 v4, v4, v5
	s_and_saveexec_b64 s[18:19], s[6:7]
	s_cbranch_execz .LBB2171_71
; %bb.70:
	v_lshlrev_b32_e32 v5, 2, v102
	ds_write_b32 v5, v4
.LBB2171_71:
	s_or_b64 exec, exec, s[18:19]
	v_cmp_gt_u32_e32 vcc, 8, v0
	s_waitcnt lgkmcnt(0)
	s_barrier
	s_and_saveexec_b64 s[18:19], vcc
	s_cbranch_execz .LBB2171_73
; %bb.72:
	v_lshlrev_b32_e32 v5, 2, v0
	ds_read_b32 v20, v5
	v_and_b32_e32 v21, 7, v101
	v_cmp_ne_u32_e32 vcc, 0, v21
	s_waitcnt lgkmcnt(0)
	v_mov_b32_dpp v22, v20 row_shr:1 row_mask:0xf bank_mask:0xf
	v_cndmask_b32_e32 v22, 0, v22, vcc
	v_add_u32_e32 v20, v22, v20
	v_cmp_lt_u32_e32 vcc, 1, v21
	s_nop 0
	v_mov_b32_dpp v22, v20 row_shr:2 row_mask:0xf bank_mask:0xf
	v_cndmask_b32_e32 v22, 0, v22, vcc
	v_add_u32_e32 v20, v20, v22
	v_cmp_lt_u32_e32 vcc, 3, v21
	s_nop 0
	v_mov_b32_dpp v22, v20 row_shr:4 row_mask:0xf bank_mask:0xf
	v_cndmask_b32_e32 v21, 0, v22, vcc
	v_add_u32_e32 v20, v20, v21
	ds_write_b32 v5, v20
.LBB2171_73:
	s_or_b64 exec, exec, s[18:19]
	v_cmp_gt_u32_e32 vcc, 64, v0
	v_cmp_lt_u32_e64 s[18:19], 63, v0
	s_waitcnt lgkmcnt(0)
	s_barrier
	s_waitcnt lgkmcnt(0)
                                        ; implicit-def: $vgpr104
	s_and_saveexec_b64 s[36:37], s[18:19]
	s_cbranch_execz .LBB2171_75
; %bb.74:
	v_lshl_add_u32 v5, v102, 2, -4
	ds_read_b32 v104, v5
	s_waitcnt lgkmcnt(0)
	v_add_u32_e32 v4, v104, v4
.LBB2171_75:
	s_or_b64 exec, exec, s[36:37]
	v_add_u32_e32 v5, -1, v101
	v_and_b32_e32 v20, 64, v101
	v_cmp_lt_i32_e64 s[18:19], v5, v20
	s_nop 1
	v_cndmask_b32_e64 v5, v5, v101, s[18:19]
	v_lshlrev_b32_e32 v5, 2, v5
	ds_bpermute_b32 v105, v5, v4
	v_cmp_eq_u32_e64 s[18:19], 0, v101
	s_and_saveexec_b64 s[36:37], vcc
	s_cbranch_execz .LBB2171_94
; %bb.76:
	v_mov_b32_e32 v25, 0
	ds_read_b32 v4, v25 offset:28
	s_and_saveexec_b64 s[38:39], s[18:19]
	s_cbranch_execz .LBB2171_78
; %bb.77:
	s_add_i32 s40, s2, 64
	s_mov_b32 s41, 0
	s_lshl_b64 s[40:41], s[40:41], 3
	s_add_u32 s40, s34, s40
	v_mov_b32_e32 v5, 1
	s_addc_u32 s41, s35, s41
	s_waitcnt lgkmcnt(0)
	global_store_dwordx2 v25, v[4:5], s[40:41] sc1
.LBB2171_78:
	s_or_b64 exec, exec, s[38:39]
	v_xad_u32 v20, v101, -1, s2
	v_add_u32_e32 v24, 64, v20
	v_lshl_add_u64 v[26:27], v[24:25], 3, s[34:35]
	global_load_dwordx2 v[22:23], v[26:27], off sc1
	s_waitcnt vmcnt(0)
	v_cmp_eq_u16_sdwa s[40:41], v23, v25 src0_sel:BYTE_0 src1_sel:DWORD
	s_and_saveexec_b64 s[38:39], s[40:41]
	s_cbranch_execz .LBB2171_82
; %bb.79:
	s_mov_b64 s[40:41], 0
	v_mov_b32_e32 v5, 0
.LBB2171_80:                            ; =>This Inner Loop Header: Depth=1
	global_load_dwordx2 v[22:23], v[26:27], off sc1
	s_waitcnt vmcnt(0)
	v_cmp_ne_u16_sdwa s[42:43], v23, v5 src0_sel:BYTE_0 src1_sel:DWORD
	s_or_b64 s[40:41], s[42:43], s[40:41]
	s_andn2_b64 exec, exec, s[40:41]
	s_cbranch_execnz .LBB2171_80
; %bb.81:
	s_or_b64 exec, exec, s[40:41]
.LBB2171_82:
	s_or_b64 exec, exec, s[38:39]
	v_and_b32_e32 v107, 63, v101
	v_mov_b32_e32 v106, 2
	v_cmp_ne_u32_e32 vcc, 63, v107
	v_cmp_eq_u16_sdwa s[38:39], v23, v106 src0_sel:BYTE_0 src1_sel:DWORD
	v_lshlrev_b64 v[24:25], v101, -1
	v_addc_co_u32_e32 v26, vcc, 0, v101, vcc
	v_and_b32_e32 v5, s39, v25
	v_lshlrev_b32_e32 v108, 2, v26
	v_or_b32_e32 v5, 0x80000000, v5
	ds_bpermute_b32 v26, v108, v22
	v_and_b32_e32 v21, s38, v24
	v_ffbl_b32_e32 v5, v5
	v_add_u32_e32 v5, 32, v5
	v_ffbl_b32_e32 v21, v21
	v_min_u32_e32 v5, v21, v5
	v_cmp_lt_u32_e32 vcc, v107, v5
	v_add_u32_e32 v110, 2, v107
	v_add_u32_e32 v112, 4, v107
	s_waitcnt lgkmcnt(0)
	v_cndmask_b32_e32 v21, 0, v26, vcc
	v_cmp_gt_u32_e32 vcc, 62, v107
	v_add_u32_e32 v21, v21, v22
	v_add_u32_e32 v114, 8, v107
	v_cndmask_b32_e64 v22, 0, 1, vcc
	v_lshlrev_b32_e32 v22, 1, v22
	v_add_lshl_u32 v109, v22, v101, 2
	ds_bpermute_b32 v22, v109, v21
	v_cmp_le_u32_e32 vcc, v110, v5
	v_add_u32_e32 v116, 16, v107
	v_add_u32_e32 v118, 32, v107
	s_waitcnt lgkmcnt(0)
	v_cndmask_b32_e32 v22, 0, v22, vcc
	v_cmp_gt_u32_e32 vcc, 60, v107
	v_add_u32_e32 v21, v21, v22
	s_nop 0
	v_cndmask_b32_e64 v22, 0, 1, vcc
	v_lshlrev_b32_e32 v22, 2, v22
	v_add_lshl_u32 v111, v22, v101, 2
	ds_bpermute_b32 v22, v111, v21
	v_cmp_le_u32_e32 vcc, v112, v5
	s_waitcnt lgkmcnt(0)
	s_nop 0
	v_cndmask_b32_e32 v22, 0, v22, vcc
	v_cmp_gt_u32_e32 vcc, 56, v107
	v_add_u32_e32 v21, v21, v22
	s_nop 0
	v_cndmask_b32_e64 v22, 0, 1, vcc
	v_lshlrev_b32_e32 v22, 3, v22
	v_add_lshl_u32 v113, v22, v101, 2
	ds_bpermute_b32 v22, v113, v21
	v_cmp_le_u32_e32 vcc, v114, v5
	s_waitcnt lgkmcnt(0)
	s_nop 0
	;; [unrolled: 11-line block ×4, first 2 shown]
	v_cndmask_b32_e32 v5, 0, v22, vcc
	v_add_u32_e32 v22, v21, v5
	v_mov_b32_e32 v21, 0
	s_branch .LBB2171_84
.LBB2171_83:                            ;   in Loop: Header=BB2171_84 Depth=1
	s_or_b64 exec, exec, s[38:39]
	v_cmp_eq_u16_sdwa s[38:39], v23, v106 src0_sel:BYTE_0 src1_sel:DWORD
	ds_bpermute_b32 v119, v108, v22
	v_subrev_u32_e32 v20, 64, v20
	v_and_b32_e32 v26, s39, v25
	v_or_b32_e32 v26, 0x80000000, v26
	v_and_b32_e32 v27, s38, v24
	v_ffbl_b32_e32 v26, v26
	v_add_u32_e32 v26, 32, v26
	v_ffbl_b32_e32 v27, v27
	v_min_u32_e32 v26, v27, v26
	v_cmp_lt_u32_e32 vcc, v107, v26
	s_waitcnt lgkmcnt(0)
	s_nop 0
	v_cndmask_b32_e32 v27, 0, v119, vcc
	v_add_u32_e32 v22, v27, v22
	ds_bpermute_b32 v27, v109, v22
	v_cmp_le_u32_e32 vcc, v110, v26
	s_waitcnt lgkmcnt(0)
	s_nop 0
	v_cndmask_b32_e32 v27, 0, v27, vcc
	v_add_u32_e32 v22, v22, v27
	ds_bpermute_b32 v27, v111, v22
	v_cmp_le_u32_e32 vcc, v112, v26
	;; [unrolled: 6-line block ×5, first 2 shown]
	s_waitcnt lgkmcnt(0)
	s_nop 0
	v_cndmask_b32_e32 v26, 0, v27, vcc
	v_add3_u32 v22, v26, v5, v22
.LBB2171_84:                            ; =>This Loop Header: Depth=1
                                        ;     Child Loop BB2171_87 Depth 2
	v_cmp_ne_u16_sdwa s[38:39], v23, v106 src0_sel:BYTE_0 src1_sel:DWORD
	s_nop 1
	v_cndmask_b32_e64 v5, 0, 1, s[38:39]
	;;#ASMSTART
	;;#ASMEND
	s_nop 0
	v_cmp_ne_u32_e32 vcc, 0, v5
	s_cmp_lg_u64 vcc, exec
	v_mov_b32_e32 v5, v22
	s_cbranch_scc1 .LBB2171_89
; %bb.85:                               ;   in Loop: Header=BB2171_84 Depth=1
	v_lshl_add_u64 v[26:27], v[20:21], 3, s[34:35]
	global_load_dwordx2 v[22:23], v[26:27], off sc1
	s_waitcnt vmcnt(0)
	v_cmp_eq_u16_sdwa s[40:41], v23, v21 src0_sel:BYTE_0 src1_sel:DWORD
	s_and_saveexec_b64 s[38:39], s[40:41]
	s_cbranch_execz .LBB2171_83
; %bb.86:                               ;   in Loop: Header=BB2171_84 Depth=1
	s_mov_b64 s[40:41], 0
.LBB2171_87:                            ;   Parent Loop BB2171_84 Depth=1
                                        ; =>  This Inner Loop Header: Depth=2
	global_load_dwordx2 v[22:23], v[26:27], off sc1
	s_waitcnt vmcnt(0)
	v_cmp_ne_u16_sdwa s[42:43], v23, v21 src0_sel:BYTE_0 src1_sel:DWORD
	s_or_b64 s[40:41], s[42:43], s[40:41]
	s_andn2_b64 exec, exec, s[40:41]
	s_cbranch_execnz .LBB2171_87
; %bb.88:                               ;   in Loop: Header=BB2171_84 Depth=1
	s_or_b64 exec, exec, s[40:41]
	s_branch .LBB2171_83
.LBB2171_89:                            ;   in Loop: Header=BB2171_84 Depth=1
                                        ; implicit-def: $vgpr22
                                        ; implicit-def: $vgpr23
	s_cbranch_execz .LBB2171_84
; %bb.90:
	s_and_saveexec_b64 s[38:39], s[18:19]
	s_cbranch_execz .LBB2171_92
; %bb.91:
	s_add_i32 s2, s2, 64
	s_mov_b32 s3, 0
	s_lshl_b64 s[2:3], s[2:3], 3
	s_add_u32 s2, s34, s2
	v_add_u32_e32 v20, v5, v4
	v_mov_b32_e32 v21, 2
	s_addc_u32 s3, s35, s3
	v_mov_b32_e32 v22, 0
	global_store_dwordx2 v22, v[20:21], s[2:3] sc1
	ds_write_b64 v22, v[4:5] offset:30720
.LBB2171_92:
	s_or_b64 exec, exec, s[38:39]
	v_cmp_eq_u32_e32 vcc, 0, v0
	s_and_b64 exec, exec, vcc
	s_cbranch_execz .LBB2171_94
; %bb.93:
	v_mov_b32_e32 v4, 0
	ds_write_b32 v4, v5 offset:28
.LBB2171_94:
	s_or_b64 exec, exec, s[36:37]
	v_mov_b32_e32 v4, 0
	s_waitcnt lgkmcnt(0)
	s_barrier
	ds_read_b32 v21, v4 offset:28
	s_waitcnt lgkmcnt(0)
	s_barrier
	ds_read_b64 v[4:5], v4 offset:30720
	v_cndmask_b32_e64 v20, v105, v104, s[18:19]
	v_cmp_ne_u32_e32 vcc, 0, v0
	s_nop 1
	v_cndmask_b32_e32 v20, 0, v20, vcc
	v_add_u32_e32 v21, v21, v20
	s_waitcnt lgkmcnt(0)
	v_mov_b32_e32 v20, v5
	s_branch .LBB2171_105
.LBB2171_95:
                                        ; implicit-def: $vgpr20
                                        ; implicit-def: $vgpr4
                                        ; implicit-def: $vgpr21
	s_cbranch_execz .LBB2171_105
; %bb.96:
	s_nop 0
	v_mov_b32_dpp v4, v103 row_shr:1 row_mask:0xf bank_mask:0xf
	v_cndmask_b32_e64 v4, v4, 0, s[16:17]
	v_add_u32_e32 v4, v4, v103
	s_nop 1
	v_mov_b32_dpp v5, v4 row_shr:2 row_mask:0xf bank_mask:0xf
	v_cndmask_b32_e64 v5, 0, v5, s[14:15]
	v_add_u32_e32 v4, v4, v5
	;; [unrolled: 4-line block ×4, first 2 shown]
	s_nop 1
	v_mov_b32_dpp v5, v4 row_bcast:15 row_mask:0xf bank_mask:0xf
	v_cndmask_b32_e64 v5, v5, 0, s[8:9]
	v_add_u32_e32 v4, v4, v5
	s_nop 1
	v_mov_b32_dpp v5, v4 row_bcast:31 row_mask:0xf bank_mask:0xf
	v_cndmask_b32_e64 v5, 0, v5, s[4:5]
	v_add_u32_e32 v4, v4, v5
	s_and_saveexec_b64 s[2:3], s[6:7]
	s_cbranch_execz .LBB2171_98
; %bb.97:
	v_lshlrev_b32_e32 v5, 2, v102
	ds_write_b32 v5, v4
.LBB2171_98:
	s_or_b64 exec, exec, s[2:3]
	v_cmp_gt_u32_e32 vcc, 8, v0
	s_waitcnt lgkmcnt(0)
	s_barrier
	s_and_saveexec_b64 s[2:3], vcc
	s_cbranch_execz .LBB2171_100
; %bb.99:
	v_lshlrev_b32_e32 v5, 2, v0
	ds_read_b32 v20, v5
	v_and_b32_e32 v21, 7, v101
	v_cmp_ne_u32_e32 vcc, 0, v21
	s_waitcnt lgkmcnt(0)
	v_mov_b32_dpp v22, v20 row_shr:1 row_mask:0xf bank_mask:0xf
	v_cndmask_b32_e32 v22, 0, v22, vcc
	v_add_u32_e32 v20, v22, v20
	v_cmp_lt_u32_e32 vcc, 1, v21
	s_nop 0
	v_mov_b32_dpp v22, v20 row_shr:2 row_mask:0xf bank_mask:0xf
	v_cndmask_b32_e32 v22, 0, v22, vcc
	v_add_u32_e32 v20, v20, v22
	v_cmp_lt_u32_e32 vcc, 3, v21
	s_nop 0
	v_mov_b32_dpp v22, v20 row_shr:4 row_mask:0xf bank_mask:0xf
	v_cndmask_b32_e32 v21, 0, v22, vcc
	v_add_u32_e32 v20, v20, v21
	ds_write_b32 v5, v20
.LBB2171_100:
	s_or_b64 exec, exec, s[2:3]
	v_cmp_lt_u32_e32 vcc, 63, v0
	v_mov_b32_e32 v5, 0
	v_mov_b32_e32 v20, 0
	s_waitcnt lgkmcnt(0)
	s_barrier
	s_and_saveexec_b64 s[2:3], vcc
	s_cbranch_execz .LBB2171_102
; %bb.101:
	v_lshl_add_u32 v20, v102, 2, -4
	ds_read_b32 v20, v20
.LBB2171_102:
	s_or_b64 exec, exec, s[2:3]
	v_add_u32_e32 v21, -1, v101
	v_and_b32_e32 v22, 64, v101
	v_cmp_lt_i32_e32 vcc, v21, v22
	s_waitcnt lgkmcnt(0)
	v_add_u32_e32 v4, v20, v4
	v_cndmask_b32_e32 v21, v21, v101, vcc
	v_lshlrev_b32_e32 v21, 2, v21
	ds_bpermute_b32 v21, v21, v4
	ds_read_b32 v4, v5 offset:28
	v_cmp_eq_u32_e32 vcc, 0, v0
	s_and_saveexec_b64 s[2:3], vcc
	s_cbranch_execz .LBB2171_104
; %bb.103:
	v_mov_b32_e32 v22, 0
	v_mov_b32_e32 v5, 2
	s_waitcnt lgkmcnt(0)
	global_store_dwordx2 v22, v[4:5], s[34:35] offset:512 sc1
.LBB2171_104:
	s_or_b64 exec, exec, s[2:3]
	v_cmp_eq_u32_e64 s[2:3], 0, v101
	s_waitcnt lgkmcnt(0)
	s_barrier
	v_cndmask_b32_e64 v5, v21, v20, s[2:3]
	v_mov_b32_e32 v20, 0
	v_cndmask_b32_e64 v21, v5, 0, vcc
.LBB2171_105:
	v_add_u32_e32 v5, v21, v73
	v_add_u32_e32 v22, v5, v74
	;; [unrolled: 1-line block ×22, first 2 shown]
	v_sub_u32_e32 v21, v21, v20
	v_and_b32_e32 v72, 1, v72
	v_add_u32_e32 v87, v86, v94
	v_sub_u32_e32 v94, v40, v21
	v_cmp_eq_u32_e32 vcc, 1, v72
	v_sub_u32_e32 v5, v5, v20
	v_add_u32_e32 v88, v87, v95
	v_cndmask_b32_e32 v21, v94, v21, vcc
	v_lshlrev_b32_e32 v21, 1, v21
	ds_write_b16 v21, v18
	v_sub_u32_e32 v18, v40, v5
	v_and_b32_e32 v21, 1, v71
	v_add_u32_e32 v18, 1, v18
	v_cmp_eq_u32_e32 vcc, 1, v21
	v_and_b32_e32 v21, 1, v70
	v_add_u32_e32 v89, v88, v96
	v_cndmask_b32_e32 v5, v18, v5, vcc
	v_lshlrev_b32_e32 v5, 1, v5
	ds_write_b16 v5, v42
	v_sub_u32_e32 v5, v22, v20
	v_sub_u32_e32 v18, v40, v5
	v_add_u32_e32 v18, 2, v18
	v_cmp_eq_u32_e32 vcc, 1, v21
	v_add_u32_e32 v90, v89, v97
	v_add_u32_e32 v91, v90, v98
	v_cndmask_b32_e32 v5, v18, v5, vcc
	v_lshlrev_b32_e32 v5, 1, v5
	ds_write_b16 v5, v19
	v_sub_u32_e32 v5, v23, v20
	v_sub_u32_e32 v18, v40, v5
	v_and_b32_e32 v19, 1, v69
	v_add_u32_e32 v18, 3, v18
	v_cmp_eq_u32_e32 vcc, 1, v19
	v_and_b32_e32 v19, 1, v68
	v_add_u32_e32 v92, v91, v99
	v_cndmask_b32_e32 v5, v18, v5, vcc
	v_lshlrev_b32_e32 v5, 1, v5
	ds_write_b16 v5, v41
	v_sub_u32_e32 v5, v24, v20
	v_sub_u32_e32 v18, v40, v5
	v_add_u32_e32 v18, 4, v18
	v_cmp_eq_u32_e32 vcc, 1, v19
	v_add_u32_e32 v93, v92, v100
	v_mov_b32_e32 v21, 0
	v_cndmask_b32_e32 v5, v18, v5, vcc
	v_lshlrev_b32_e32 v5, 1, v5
	ds_write_b16 v5, v16
	v_sub_u32_e32 v5, v25, v20
	v_sub_u32_e32 v16, v40, v5
	v_and_b32_e32 v18, 1, v67
	v_add_u32_e32 v16, 5, v16
	v_cmp_eq_u32_e32 vcc, 1, v18
	v_and_b32_e32 v18, 1, v66
	s_load_dwordx4 s[0:3], s[0:1], 0x28
	v_cndmask_b32_e32 v5, v16, v5, vcc
	v_lshlrev_b32_e32 v5, 1, v5
	ds_write_b16 v5, v39
	v_sub_u32_e32 v5, v26, v20
	v_sub_u32_e32 v16, v40, v5
	v_add_u32_e32 v16, 6, v16
	v_cmp_eq_u32_e32 vcc, 1, v18
	v_or_b32_e32 v69, 0x200, v0
	v_or_b32_e32 v67, 0x400, v0
	v_cndmask_b32_e32 v5, v16, v5, vcc
	v_lshlrev_b32_e32 v5, 1, v5
	ds_write_b16 v5, v17
	v_sub_u32_e32 v5, v27, v20
	v_sub_u32_e32 v16, v40, v5
	v_and_b32_e32 v17, 1, v65
	v_add_u32_e32 v16, 7, v16
	v_cmp_eq_u32_e32 vcc, 1, v17
	v_and_b32_e32 v17, 1, v64
	v_or_b32_e32 v65, 0x600, v0
	v_cndmask_b32_e32 v5, v16, v5, vcc
	v_lshlrev_b32_e32 v5, 1, v5
	ds_write_b16 v5, v38
	v_sub_u32_e32 v5, v73, v20
	v_sub_u32_e32 v16, v40, v5
	v_add_u32_e32 v16, 8, v16
	v_cmp_eq_u32_e32 vcc, 1, v17
	v_or_b32_e32 v41, 0x1e00, v0
	v_or_b32_e32 v39, 0x2000, v0
	v_cndmask_b32_e32 v5, v16, v5, vcc
	v_lshlrev_b32_e32 v5, 1, v5
	ds_write_b16 v5, v14
	v_sub_u32_e32 v5, v74, v20
	v_sub_u32_e32 v14, v40, v5
	v_and_b32_e32 v16, 1, v63
	v_add_u32_e32 v14, 9, v14
	v_cmp_eq_u32_e32 vcc, 1, v16
	v_and_b32_e32 v16, 1, v62
	v_or_b32_e32 v63, 0x800, v0
	;; [unrolled: 19-line block ×7, first 2 shown]
	v_cndmask_b32_e32 v5, v10, v5, vcc
	v_lshlrev_b32_e32 v5, 1, v5
	ds_write_b16 v5, v32
	v_sub_u32_e32 v5, v85, v20
	v_sub_u32_e32 v10, v40, v5
	v_add_u32_e32 v10, 20, v10
	v_cmp_eq_u32_e32 vcc, 1, v11
	s_nop 1
	v_cndmask_b32_e32 v5, v10, v5, vcc
	v_lshlrev_b32_e32 v5, 1, v5
	ds_write_b16 v5, v8
	v_sub_u32_e32 v5, v86, v20
	v_sub_u32_e32 v8, v40, v5
	v_and_b32_e32 v10, 1, v51
	v_add_u32_e32 v8, 21, v8
	v_cmp_eq_u32_e32 vcc, 1, v10
	v_and_b32_e32 v10, 1, v50
	v_or_b32_e32 v51, 0x1400, v0
	v_cndmask_b32_e32 v5, v8, v5, vcc
	v_lshlrev_b32_e32 v5, 1, v5
	ds_write_b16 v5, v31
	v_sub_u32_e32 v5, v87, v20
	v_sub_u32_e32 v8, v40, v5
	v_add_u32_e32 v8, 22, v8
	v_cmp_eq_u32_e32 vcc, 1, v10
	v_lshl_add_u64 v[10:11], s[28:29], 0, v[20:21]
	v_or_b32_e32 v31, 0x2800, v0
	v_cndmask_b32_e32 v5, v8, v5, vcc
	v_lshlrev_b32_e32 v5, 1, v5
	ds_write_b16 v5, v9
	v_sub_u32_e32 v5, v88, v20
	v_sub_u32_e32 v8, v40, v5
	v_and_b32_e32 v9, 1, v49
	v_add_u32_e32 v8, 23, v8
	v_cmp_eq_u32_e32 vcc, 1, v9
	v_and_b32_e32 v9, 1, v48
	v_or_b32_e32 v49, 0x1600, v0
	v_cndmask_b32_e32 v5, v8, v5, vcc
	v_lshlrev_b32_e32 v5, 1, v5
	ds_write_b16 v5, v30
	v_sub_u32_e32 v5, v89, v20
	v_sub_u32_e32 v8, v40, v5
	v_add_u32_e32 v8, 24, v8
	v_cmp_eq_u32_e32 vcc, 1, v9
	s_nop 1
	v_cndmask_b32_e32 v5, v8, v5, vcc
	v_lshlrev_b32_e32 v5, 1, v5
	ds_write_b16 v5, v6
	v_sub_u32_e32 v5, v90, v20
	v_sub_u32_e32 v6, v40, v5
	v_and_b32_e32 v8, 1, v47
	v_add_u32_e32 v6, 25, v6
	v_cmp_eq_u32_e32 vcc, 1, v8
	v_and_b32_e32 v8, 1, v46
	v_or_b32_e32 v47, 0x1800, v0
	v_cndmask_b32_e32 v5, v6, v5, vcc
	v_lshlrev_b32_e32 v5, 1, v5
	ds_write_b16 v5, v29
	v_sub_u32_e32 v5, v91, v20
	v_sub_u32_e32 v6, v40, v5
	v_add_u32_e32 v6, 26, v6
	v_cmp_eq_u32_e32 vcc, 1, v8
	v_or_b32_e32 v29, 0x2a00, v0
	s_nop 0
	v_cndmask_b32_e32 v5, v6, v5, vcc
	v_lshlrev_b32_e32 v5, 1, v5
	ds_write_b16 v5, v7
	v_sub_u32_e32 v5, v92, v20
	v_sub_u32_e32 v6, v40, v5
	v_and_b32_e32 v7, 1, v45
	v_add_u32_e32 v6, 27, v6
	v_cmp_eq_u32_e32 vcc, 1, v7
	v_and_b32_e32 v7, 1, v43
	v_or_b32_e32 v45, 0x1a00, v0
	v_cndmask_b32_e32 v5, v6, v5, vcc
	v_lshlrev_b32_e32 v5, 1, v5
	ds_write_b16 v5, v28
	v_sub_u32_e32 v5, v93, v20
	v_sub_u32_e32 v6, v40, v5
	v_add_u32_e32 v6, 28, v6
	v_cmp_eq_u32_e32 vcc, 1, v7
	s_nop 1
	v_cndmask_b32_e32 v5, v6, v5, vcc
	v_lshlrev_b32_e32 v5, 1, v5
	ds_write_b16 v5, v3
	v_sub_u32_sdwa v3, v43, v20 dst_sel:DWORD dst_unused:UNUSED_PAD src0_sel:BYTE_0 src1_sel:DWORD
	v_add_u32_e32 v3, v93, v3
	v_sub_u32_e32 v5, v40, v3
	v_and_b32_e32 v6, 1, v44
	v_add_u32_e32 v5, 29, v5
	v_cmp_eq_u32_e32 vcc, 1, v6
	v_or_b32_e32 v43, 0x1c00, v0
	s_nop 0
	v_cndmask_b32_e32 v3, v5, v3, vcc
	v_lshlrev_b32_e32 v3, 1, v3
	ds_write_b16 v3, v1
	s_waitcnt lgkmcnt(0)
	s_barrier
	ds_read_u16 v71, v2
	ds_read_u16 v70, v2 offset:1024
	ds_read_u16 v68, v2 offset:2048
	;; [unrolled: 1-line block ×29, first 2 shown]
	v_mov_b32_e32 v5, v21
	v_lshl_add_u64 v[6:7], v[10:11], 0, v[4:5]
	v_mov_b32_e32 v3, s23
	v_sub_co_u32_e32 v8, vcc, s22, v6
	v_lshlrev_b64 v[10:11], 1, v[10:11]
	s_nop 0
	v_subb_co_u32_e32 v9, vcc, v3, v7, vcc
	v_lshlrev_b64 v[8:9], 1, v[8:9]
	v_lshl_add_u64 v[8:9], s[2:3], 0, v[8:9]
	v_or_b32_e32 v1, 0x3a00, v0
	v_lshl_add_u64 v[8:9], v[8:9], 0, s[30:31]
	s_and_b64 vcc, exec, s[20:21]
	v_lshl_add_u64 v[10:11], s[0:1], 0, v[10:11]
	s_cbranch_vccnz .LBB2171_107
; %bb.106:
	v_cmp_lt_u32_e32 vcc, v0, v4
	v_mov_b32_e32 v3, v21
	v_lshlrev_b32_e32 v20, 1, v63
	v_cndmask_b32_e32 v73, v9, v11, vcc
	v_cndmask_b32_e32 v72, v8, v10, vcc
	v_lshl_add_u64 v[72:73], v[72:73], 0, v[2:3]
	v_cmp_lt_u32_e32 vcc, v69, v4
	s_waitcnt lgkmcnt(14)
	global_store_short v[72:73], v71, off
	v_cndmask_b32_e32 v73, v9, v11, vcc
	v_cndmask_b32_e32 v72, v8, v10, vcc
	v_lshl_add_u64 v[72:73], v[72:73], 0, v[2:3]
	v_cmp_lt_u32_e32 vcc, v67, v4
	global_store_short v[72:73], v70, off offset:1024
	s_mov_b64 s[0:1], -1
	v_cndmask_b32_e32 v73, v9, v11, vcc
	v_cndmask_b32_e32 v72, v8, v10, vcc
	v_lshl_add_u64 v[72:73], v[72:73], 0, v[2:3]
	v_cmp_lt_u32_e32 vcc, v65, v4
	global_store_short v[72:73], v68, off offset:2048
	s_nop 0
	v_cndmask_b32_e32 v73, v9, v11, vcc
	v_cndmask_b32_e32 v72, v8, v10, vcc
	v_lshl_add_u64 v[72:73], v[72:73], 0, v[2:3]
	v_cmp_lt_u32_e32 vcc, v63, v4
	global_store_short v[72:73], v66, off offset:3072
	s_nop 0
	v_cndmask_b32_e32 v73, v9, v11, vcc
	v_cndmask_b32_e32 v72, v8, v10, vcc
	v_lshl_add_u64 v[72:73], v[72:73], 0, v[20:21]
	v_cmp_lt_u32_e32 vcc, v61, v4
	global_store_short v[72:73], v64, off
	v_lshlrev_b32_e32 v20, 1, v61
	v_cndmask_b32_e32 v73, v9, v11, vcc
	v_cndmask_b32_e32 v72, v8, v10, vcc
	v_lshl_add_u64 v[72:73], v[72:73], 0, v[20:21]
	v_cmp_lt_u32_e32 vcc, v59, v4
	global_store_short v[72:73], v62, off
	v_lshlrev_b32_e32 v20, 1, v59
	;; [unrolled: 6-line block ×12, first 2 shown]
	v_cndmask_b32_e32 v73, v9, v11, vcc
	v_cndmask_b32_e32 v72, v8, v10, vcc
	v_lshl_add_u64 v[72:73], v[72:73], 0, v[20:21]
	v_cmp_lt_u32_e32 vcc, v37, v4
	s_waitcnt lgkmcnt(13)
	global_store_short v[72:73], v40, off
	v_lshlrev_b32_e32 v20, 1, v37
	v_cndmask_b32_e32 v73, v9, v11, vcc
	v_cndmask_b32_e32 v72, v8, v10, vcc
	v_lshl_add_u64 v[72:73], v[72:73], 0, v[20:21]
	v_cmp_lt_u32_e32 vcc, v35, v4
	s_waitcnt lgkmcnt(12)
	global_store_short v[72:73], v38, off
	v_lshlrev_b32_e32 v20, 1, v35
	;; [unrolled: 7-line block ×12, first 2 shown]
	v_cndmask_b32_e32 v73, v9, v11, vcc
	v_cndmask_b32_e32 v72, v8, v10, vcc
	v_lshl_add_u64 v[20:21], v[72:73], 0, v[20:21]
	s_waitcnt lgkmcnt(1)
	global_store_short v[20:21], v14, off
	s_cbranch_execz .LBB2171_108
	s_branch .LBB2171_139
.LBB2171_107:
	s_mov_b64 s[0:1], 0
.LBB2171_108:
	v_cmp_gt_u32_e32 vcc, s33, v0
	s_and_saveexec_b64 s[0:1], vcc
	s_cbranch_execnz .LBB2171_144
; %bb.109:
	s_or_b64 exec, exec, s[0:1]
	v_cmp_gt_u32_e32 vcc, s33, v69
	s_and_saveexec_b64 s[0:1], vcc
	s_cbranch_execnz .LBB2171_145
.LBB2171_110:
	s_or_b64 exec, exec, s[0:1]
	v_cmp_gt_u32_e32 vcc, s33, v67
	s_and_saveexec_b64 s[0:1], vcc
	s_cbranch_execnz .LBB2171_146
.LBB2171_111:
	s_or_b64 exec, exec, s[0:1]
	v_cmp_gt_u32_e32 vcc, s33, v65
	s_and_saveexec_b64 s[0:1], vcc
	s_cbranch_execnz .LBB2171_147
.LBB2171_112:
	s_or_b64 exec, exec, s[0:1]
	v_cmp_gt_u32_e32 vcc, s33, v63
	s_and_saveexec_b64 s[0:1], vcc
	s_cbranch_execnz .LBB2171_148
.LBB2171_113:
	s_or_b64 exec, exec, s[0:1]
	v_cmp_gt_u32_e32 vcc, s33, v61
	s_and_saveexec_b64 s[0:1], vcc
	s_cbranch_execnz .LBB2171_149
.LBB2171_114:
	s_or_b64 exec, exec, s[0:1]
	v_cmp_gt_u32_e32 vcc, s33, v59
	s_and_saveexec_b64 s[0:1], vcc
	s_cbranch_execnz .LBB2171_150
.LBB2171_115:
	s_or_b64 exec, exec, s[0:1]
	v_cmp_gt_u32_e32 vcc, s33, v57
	s_and_saveexec_b64 s[0:1], vcc
	s_cbranch_execnz .LBB2171_151
.LBB2171_116:
	s_or_b64 exec, exec, s[0:1]
	v_cmp_gt_u32_e32 vcc, s33, v55
	s_and_saveexec_b64 s[0:1], vcc
	s_cbranch_execnz .LBB2171_152
.LBB2171_117:
	s_or_b64 exec, exec, s[0:1]
	v_cmp_gt_u32_e32 vcc, s33, v53
	s_and_saveexec_b64 s[0:1], vcc
	s_cbranch_execnz .LBB2171_153
.LBB2171_118:
	s_or_b64 exec, exec, s[0:1]
	v_cmp_gt_u32_e32 vcc, s33, v51
	s_and_saveexec_b64 s[0:1], vcc
	s_cbranch_execnz .LBB2171_154
.LBB2171_119:
	s_or_b64 exec, exec, s[0:1]
	v_cmp_gt_u32_e32 vcc, s33, v49
	s_and_saveexec_b64 s[0:1], vcc
	s_cbranch_execnz .LBB2171_155
.LBB2171_120:
	s_or_b64 exec, exec, s[0:1]
	v_cmp_gt_u32_e32 vcc, s33, v47
	s_and_saveexec_b64 s[0:1], vcc
	s_cbranch_execnz .LBB2171_156
.LBB2171_121:
	s_or_b64 exec, exec, s[0:1]
	v_cmp_gt_u32_e32 vcc, s33, v45
	s_and_saveexec_b64 s[0:1], vcc
	s_cbranch_execnz .LBB2171_157
.LBB2171_122:
	s_or_b64 exec, exec, s[0:1]
	v_cmp_gt_u32_e32 vcc, s33, v43
	s_and_saveexec_b64 s[0:1], vcc
	s_cbranch_execnz .LBB2171_158
.LBB2171_123:
	s_or_b64 exec, exec, s[0:1]
	v_cmp_gt_u32_e32 vcc, s33, v41
	s_and_saveexec_b64 s[0:1], vcc
	s_cbranch_execnz .LBB2171_159
.LBB2171_124:
	s_or_b64 exec, exec, s[0:1]
	v_cmp_gt_u32_e32 vcc, s33, v39
	s_and_saveexec_b64 s[0:1], vcc
	s_cbranch_execnz .LBB2171_160
.LBB2171_125:
	s_or_b64 exec, exec, s[0:1]
	v_cmp_gt_u32_e32 vcc, s33, v37
	s_and_saveexec_b64 s[0:1], vcc
	s_cbranch_execnz .LBB2171_161
.LBB2171_126:
	s_or_b64 exec, exec, s[0:1]
	v_cmp_gt_u32_e32 vcc, s33, v35
	s_and_saveexec_b64 s[0:1], vcc
	s_cbranch_execnz .LBB2171_162
.LBB2171_127:
	s_or_b64 exec, exec, s[0:1]
	v_cmp_gt_u32_e32 vcc, s33, v33
	s_and_saveexec_b64 s[0:1], vcc
	s_cbranch_execnz .LBB2171_163
.LBB2171_128:
	s_or_b64 exec, exec, s[0:1]
	v_cmp_gt_u32_e32 vcc, s33, v31
	s_and_saveexec_b64 s[0:1], vcc
	s_cbranch_execnz .LBB2171_164
.LBB2171_129:
	s_or_b64 exec, exec, s[0:1]
	v_cmp_gt_u32_e32 vcc, s33, v29
	s_and_saveexec_b64 s[0:1], vcc
	s_cbranch_execnz .LBB2171_165
.LBB2171_130:
	s_or_b64 exec, exec, s[0:1]
	v_cmp_gt_u32_e32 vcc, s33, v27
	s_and_saveexec_b64 s[0:1], vcc
	s_cbranch_execnz .LBB2171_166
.LBB2171_131:
	s_or_b64 exec, exec, s[0:1]
	v_cmp_gt_u32_e32 vcc, s33, v25
	s_and_saveexec_b64 s[0:1], vcc
	s_cbranch_execnz .LBB2171_167
.LBB2171_132:
	s_or_b64 exec, exec, s[0:1]
	v_cmp_gt_u32_e32 vcc, s33, v23
	s_and_saveexec_b64 s[0:1], vcc
	s_cbranch_execnz .LBB2171_168
.LBB2171_133:
	s_or_b64 exec, exec, s[0:1]
	v_cmp_gt_u32_e32 vcc, s33, v19
	s_and_saveexec_b64 s[0:1], vcc
	s_cbranch_execnz .LBB2171_169
.LBB2171_134:
	s_or_b64 exec, exec, s[0:1]
	v_cmp_gt_u32_e32 vcc, s33, v17
	s_and_saveexec_b64 s[0:1], vcc
	s_cbranch_execnz .LBB2171_170
.LBB2171_135:
	s_or_b64 exec, exec, s[0:1]
	v_cmp_gt_u32_e32 vcc, s33, v15
	s_and_saveexec_b64 s[0:1], vcc
	s_cbranch_execnz .LBB2171_171
.LBB2171_136:
	s_or_b64 exec, exec, s[0:1]
	v_cmp_gt_u32_e32 vcc, s33, v13
	s_and_saveexec_b64 s[0:1], vcc
	s_cbranch_execz .LBB2171_138
.LBB2171_137:
	v_cmp_lt_u32_e32 vcc, v13, v4
	s_waitcnt lgkmcnt(2)
	v_lshlrev_b32_e32 v16, 1, v13
	v_mov_b32_e32 v17, 0
	v_cndmask_b32_e32 v3, v9, v11, vcc
	v_cndmask_b32_e32 v2, v8, v10, vcc
	v_lshl_add_u64 v[2:3], v[2:3], 0, v[16:17]
	s_waitcnt lgkmcnt(1)
	global_store_short v[2:3], v14, off
.LBB2171_138:
	s_or_b64 exec, exec, s[0:1]
	v_cmp_gt_u32_e64 s[0:1], s33, v1
.LBB2171_139:
	s_and_saveexec_b64 s[2:3], s[0:1]
	s_cbranch_execz .LBB2171_141
; %bb.140:
	v_cmp_lt_u32_e32 vcc, v1, v4
	v_lshlrev_b32_e32 v4, 1, v1
	v_mov_b32_e32 v5, 0
	v_cndmask_b32_e32 v3, v9, v11, vcc
	v_cndmask_b32_e32 v2, v8, v10, vcc
	v_lshl_add_u64 v[2:3], v[2:3], 0, v[4:5]
	s_waitcnt lgkmcnt(0)
	global_store_short v[2:3], v12, off
.LBB2171_141:
	s_or_b64 exec, exec, s[2:3]
	v_cmp_eq_u32_e32 vcc, 0, v0
	s_and_b64 s[0:1], vcc, s[26:27]
	s_and_saveexec_b64 s[2:3], s[0:1]
	s_cbranch_execz .LBB2171_143
; %bb.142:
	v_mov_b32_e32 v0, 0
	global_store_dwordx2 v0, v[6:7], s[24:25]
.LBB2171_143:
	s_endpgm
.LBB2171_144:
	v_cmp_lt_u32_e32 vcc, v0, v4
	v_mov_b32_e32 v3, 0
	s_nop 0
	v_cndmask_b32_e32 v21, v9, v11, vcc
	v_cndmask_b32_e32 v20, v8, v10, vcc
	v_lshl_add_u64 v[20:21], v[20:21], 0, v[2:3]
	s_waitcnt lgkmcnt(14)
	global_store_short v[20:21], v71, off
	s_or_b64 exec, exec, s[0:1]
	v_cmp_gt_u32_e32 vcc, s33, v69
	s_and_saveexec_b64 s[0:1], vcc
	s_cbranch_execz .LBB2171_110
.LBB2171_145:
	v_cmp_lt_u32_e32 vcc, v69, v4
	v_mov_b32_e32 v3, 0
	s_nop 0
	v_cndmask_b32_e32 v21, v9, v11, vcc
	v_cndmask_b32_e32 v20, v8, v10, vcc
	v_lshl_add_u64 v[20:21], v[20:21], 0, v[2:3]
	s_waitcnt lgkmcnt(14)
	global_store_short v[20:21], v70, off offset:1024
	s_or_b64 exec, exec, s[0:1]
	v_cmp_gt_u32_e32 vcc, s33, v67
	s_and_saveexec_b64 s[0:1], vcc
	s_cbranch_execz .LBB2171_111
.LBB2171_146:
	v_cmp_lt_u32_e32 vcc, v67, v4
	v_mov_b32_e32 v3, 0
	s_nop 0
	v_cndmask_b32_e32 v21, v9, v11, vcc
	v_cndmask_b32_e32 v20, v8, v10, vcc
	v_lshl_add_u64 v[20:21], v[20:21], 0, v[2:3]
	s_waitcnt lgkmcnt(14)
	global_store_short v[20:21], v68, off offset:2048
	s_or_b64 exec, exec, s[0:1]
	v_cmp_gt_u32_e32 vcc, s33, v65
	s_and_saveexec_b64 s[0:1], vcc
	s_cbranch_execz .LBB2171_112
.LBB2171_147:
	v_cmp_lt_u32_e32 vcc, v65, v4
	v_mov_b32_e32 v3, 0
	s_nop 0
	v_cndmask_b32_e32 v21, v9, v11, vcc
	v_cndmask_b32_e32 v20, v8, v10, vcc
	v_lshl_add_u64 v[2:3], v[20:21], 0, v[2:3]
	s_waitcnt lgkmcnt(14)
	global_store_short v[2:3], v66, off offset:3072
	s_or_b64 exec, exec, s[0:1]
	v_cmp_gt_u32_e32 vcc, s33, v63
	s_and_saveexec_b64 s[0:1], vcc
	s_cbranch_execz .LBB2171_113
.LBB2171_148:
	v_cmp_lt_u32_e32 vcc, v63, v4
	v_lshlrev_b32_e32 v20, 1, v63
	v_mov_b32_e32 v21, 0
	v_cndmask_b32_e32 v3, v9, v11, vcc
	v_cndmask_b32_e32 v2, v8, v10, vcc
	v_lshl_add_u64 v[2:3], v[2:3], 0, v[20:21]
	s_waitcnt lgkmcnt(14)
	global_store_short v[2:3], v64, off
	s_or_b64 exec, exec, s[0:1]
	v_cmp_gt_u32_e32 vcc, s33, v61
	s_and_saveexec_b64 s[0:1], vcc
	s_cbranch_execz .LBB2171_114
.LBB2171_149:
	v_cmp_lt_u32_e32 vcc, v61, v4
	v_lshlrev_b32_e32 v20, 1, v61
	v_mov_b32_e32 v21, 0
	v_cndmask_b32_e32 v3, v9, v11, vcc
	v_cndmask_b32_e32 v2, v8, v10, vcc
	v_lshl_add_u64 v[2:3], v[2:3], 0, v[20:21]
	s_waitcnt lgkmcnt(14)
	global_store_short v[2:3], v62, off
	s_or_b64 exec, exec, s[0:1]
	v_cmp_gt_u32_e32 vcc, s33, v59
	s_and_saveexec_b64 s[0:1], vcc
	s_cbranch_execz .LBB2171_115
.LBB2171_150:
	v_cmp_lt_u32_e32 vcc, v59, v4
	v_lshlrev_b32_e32 v20, 1, v59
	v_mov_b32_e32 v21, 0
	v_cndmask_b32_e32 v3, v9, v11, vcc
	v_cndmask_b32_e32 v2, v8, v10, vcc
	v_lshl_add_u64 v[2:3], v[2:3], 0, v[20:21]
	s_waitcnt lgkmcnt(14)
	global_store_short v[2:3], v60, off
	s_or_b64 exec, exec, s[0:1]
	v_cmp_gt_u32_e32 vcc, s33, v57
	s_and_saveexec_b64 s[0:1], vcc
	s_cbranch_execz .LBB2171_116
.LBB2171_151:
	v_cmp_lt_u32_e32 vcc, v57, v4
	v_lshlrev_b32_e32 v20, 1, v57
	v_mov_b32_e32 v21, 0
	v_cndmask_b32_e32 v3, v9, v11, vcc
	v_cndmask_b32_e32 v2, v8, v10, vcc
	v_lshl_add_u64 v[2:3], v[2:3], 0, v[20:21]
	s_waitcnt lgkmcnt(14)
	global_store_short v[2:3], v58, off
	s_or_b64 exec, exec, s[0:1]
	v_cmp_gt_u32_e32 vcc, s33, v55
	s_and_saveexec_b64 s[0:1], vcc
	s_cbranch_execz .LBB2171_117
.LBB2171_152:
	v_cmp_lt_u32_e32 vcc, v55, v4
	v_lshlrev_b32_e32 v20, 1, v55
	v_mov_b32_e32 v21, 0
	v_cndmask_b32_e32 v3, v9, v11, vcc
	v_cndmask_b32_e32 v2, v8, v10, vcc
	v_lshl_add_u64 v[2:3], v[2:3], 0, v[20:21]
	s_waitcnt lgkmcnt(14)
	global_store_short v[2:3], v56, off
	s_or_b64 exec, exec, s[0:1]
	v_cmp_gt_u32_e32 vcc, s33, v53
	s_and_saveexec_b64 s[0:1], vcc
	s_cbranch_execz .LBB2171_118
.LBB2171_153:
	v_cmp_lt_u32_e32 vcc, v53, v4
	v_lshlrev_b32_e32 v20, 1, v53
	v_mov_b32_e32 v21, 0
	v_cndmask_b32_e32 v3, v9, v11, vcc
	v_cndmask_b32_e32 v2, v8, v10, vcc
	v_lshl_add_u64 v[2:3], v[2:3], 0, v[20:21]
	s_waitcnt lgkmcnt(14)
	global_store_short v[2:3], v54, off
	s_or_b64 exec, exec, s[0:1]
	v_cmp_gt_u32_e32 vcc, s33, v51
	s_and_saveexec_b64 s[0:1], vcc
	s_cbranch_execz .LBB2171_119
.LBB2171_154:
	v_cmp_lt_u32_e32 vcc, v51, v4
	v_lshlrev_b32_e32 v20, 1, v51
	v_mov_b32_e32 v21, 0
	v_cndmask_b32_e32 v3, v9, v11, vcc
	v_cndmask_b32_e32 v2, v8, v10, vcc
	v_lshl_add_u64 v[2:3], v[2:3], 0, v[20:21]
	s_waitcnt lgkmcnt(14)
	global_store_short v[2:3], v52, off
	s_or_b64 exec, exec, s[0:1]
	v_cmp_gt_u32_e32 vcc, s33, v49
	s_and_saveexec_b64 s[0:1], vcc
	s_cbranch_execz .LBB2171_120
.LBB2171_155:
	v_cmp_lt_u32_e32 vcc, v49, v4
	v_lshlrev_b32_e32 v20, 1, v49
	v_mov_b32_e32 v21, 0
	v_cndmask_b32_e32 v3, v9, v11, vcc
	v_cndmask_b32_e32 v2, v8, v10, vcc
	v_lshl_add_u64 v[2:3], v[2:3], 0, v[20:21]
	s_waitcnt lgkmcnt(14)
	global_store_short v[2:3], v50, off
	s_or_b64 exec, exec, s[0:1]
	v_cmp_gt_u32_e32 vcc, s33, v47
	s_and_saveexec_b64 s[0:1], vcc
	s_cbranch_execz .LBB2171_121
.LBB2171_156:
	v_cmp_lt_u32_e32 vcc, v47, v4
	v_lshlrev_b32_e32 v20, 1, v47
	v_mov_b32_e32 v21, 0
	v_cndmask_b32_e32 v3, v9, v11, vcc
	v_cndmask_b32_e32 v2, v8, v10, vcc
	v_lshl_add_u64 v[2:3], v[2:3], 0, v[20:21]
	s_waitcnt lgkmcnt(14)
	global_store_short v[2:3], v48, off
	s_or_b64 exec, exec, s[0:1]
	v_cmp_gt_u32_e32 vcc, s33, v45
	s_and_saveexec_b64 s[0:1], vcc
	s_cbranch_execz .LBB2171_122
.LBB2171_157:
	v_cmp_lt_u32_e32 vcc, v45, v4
	v_lshlrev_b32_e32 v20, 1, v45
	v_mov_b32_e32 v21, 0
	v_cndmask_b32_e32 v3, v9, v11, vcc
	v_cndmask_b32_e32 v2, v8, v10, vcc
	v_lshl_add_u64 v[2:3], v[2:3], 0, v[20:21]
	s_waitcnt lgkmcnt(14)
	global_store_short v[2:3], v46, off
	s_or_b64 exec, exec, s[0:1]
	v_cmp_gt_u32_e32 vcc, s33, v43
	s_and_saveexec_b64 s[0:1], vcc
	s_cbranch_execz .LBB2171_123
.LBB2171_158:
	v_cmp_lt_u32_e32 vcc, v43, v4
	v_lshlrev_b32_e32 v20, 1, v43
	v_mov_b32_e32 v21, 0
	v_cndmask_b32_e32 v3, v9, v11, vcc
	v_cndmask_b32_e32 v2, v8, v10, vcc
	v_lshl_add_u64 v[2:3], v[2:3], 0, v[20:21]
	s_waitcnt lgkmcnt(14)
	global_store_short v[2:3], v44, off
	s_or_b64 exec, exec, s[0:1]
	v_cmp_gt_u32_e32 vcc, s33, v41
	s_and_saveexec_b64 s[0:1], vcc
	s_cbranch_execz .LBB2171_124
.LBB2171_159:
	v_cmp_lt_u32_e32 vcc, v41, v4
	v_lshlrev_b32_e32 v20, 1, v41
	v_mov_b32_e32 v21, 0
	v_cndmask_b32_e32 v3, v9, v11, vcc
	v_cndmask_b32_e32 v2, v8, v10, vcc
	v_lshl_add_u64 v[2:3], v[2:3], 0, v[20:21]
	s_waitcnt lgkmcnt(14)
	global_store_short v[2:3], v42, off
	s_or_b64 exec, exec, s[0:1]
	v_cmp_gt_u32_e32 vcc, s33, v39
	s_and_saveexec_b64 s[0:1], vcc
	s_cbranch_execz .LBB2171_125
.LBB2171_160:
	v_cmp_lt_u32_e32 vcc, v39, v4
	v_lshlrev_b32_e32 v20, 1, v39
	v_mov_b32_e32 v21, 0
	v_cndmask_b32_e32 v3, v9, v11, vcc
	v_cndmask_b32_e32 v2, v8, v10, vcc
	v_lshl_add_u64 v[2:3], v[2:3], 0, v[20:21]
	s_waitcnt lgkmcnt(13)
	global_store_short v[2:3], v40, off
	s_or_b64 exec, exec, s[0:1]
	v_cmp_gt_u32_e32 vcc, s33, v37
	s_and_saveexec_b64 s[0:1], vcc
	s_cbranch_execz .LBB2171_126
.LBB2171_161:
	v_cmp_lt_u32_e32 vcc, v37, v4
	v_lshlrev_b32_e32 v20, 1, v37
	v_mov_b32_e32 v21, 0
	v_cndmask_b32_e32 v3, v9, v11, vcc
	v_cndmask_b32_e32 v2, v8, v10, vcc
	v_lshl_add_u64 v[2:3], v[2:3], 0, v[20:21]
	s_waitcnt lgkmcnt(12)
	global_store_short v[2:3], v38, off
	s_or_b64 exec, exec, s[0:1]
	v_cmp_gt_u32_e32 vcc, s33, v35
	s_and_saveexec_b64 s[0:1], vcc
	s_cbranch_execz .LBB2171_127
.LBB2171_162:
	v_cmp_lt_u32_e32 vcc, v35, v4
	v_lshlrev_b32_e32 v20, 1, v35
	v_mov_b32_e32 v21, 0
	v_cndmask_b32_e32 v3, v9, v11, vcc
	v_cndmask_b32_e32 v2, v8, v10, vcc
	v_lshl_add_u64 v[2:3], v[2:3], 0, v[20:21]
	s_waitcnt lgkmcnt(11)
	global_store_short v[2:3], v36, off
	s_or_b64 exec, exec, s[0:1]
	v_cmp_gt_u32_e32 vcc, s33, v33
	s_and_saveexec_b64 s[0:1], vcc
	s_cbranch_execz .LBB2171_128
.LBB2171_163:
	v_cmp_lt_u32_e32 vcc, v33, v4
	v_lshlrev_b32_e32 v20, 1, v33
	v_mov_b32_e32 v21, 0
	v_cndmask_b32_e32 v3, v9, v11, vcc
	v_cndmask_b32_e32 v2, v8, v10, vcc
	v_lshl_add_u64 v[2:3], v[2:3], 0, v[20:21]
	s_waitcnt lgkmcnt(10)
	global_store_short v[2:3], v34, off
	s_or_b64 exec, exec, s[0:1]
	v_cmp_gt_u32_e32 vcc, s33, v31
	s_and_saveexec_b64 s[0:1], vcc
	s_cbranch_execz .LBB2171_129
.LBB2171_164:
	v_cmp_lt_u32_e32 vcc, v31, v4
	v_lshlrev_b32_e32 v20, 1, v31
	v_mov_b32_e32 v21, 0
	v_cndmask_b32_e32 v3, v9, v11, vcc
	v_cndmask_b32_e32 v2, v8, v10, vcc
	v_lshl_add_u64 v[2:3], v[2:3], 0, v[20:21]
	s_waitcnt lgkmcnt(9)
	global_store_short v[2:3], v32, off
	s_or_b64 exec, exec, s[0:1]
	v_cmp_gt_u32_e32 vcc, s33, v29
	s_and_saveexec_b64 s[0:1], vcc
	s_cbranch_execz .LBB2171_130
.LBB2171_165:
	v_cmp_lt_u32_e32 vcc, v29, v4
	v_lshlrev_b32_e32 v20, 1, v29
	v_mov_b32_e32 v21, 0
	v_cndmask_b32_e32 v3, v9, v11, vcc
	v_cndmask_b32_e32 v2, v8, v10, vcc
	v_lshl_add_u64 v[2:3], v[2:3], 0, v[20:21]
	s_waitcnt lgkmcnt(8)
	global_store_short v[2:3], v30, off
	s_or_b64 exec, exec, s[0:1]
	v_cmp_gt_u32_e32 vcc, s33, v27
	s_and_saveexec_b64 s[0:1], vcc
	s_cbranch_execz .LBB2171_131
.LBB2171_166:
	v_cmp_lt_u32_e32 vcc, v27, v4
	v_lshlrev_b32_e32 v20, 1, v27
	v_mov_b32_e32 v21, 0
	v_cndmask_b32_e32 v3, v9, v11, vcc
	v_cndmask_b32_e32 v2, v8, v10, vcc
	v_lshl_add_u64 v[2:3], v[2:3], 0, v[20:21]
	s_waitcnt lgkmcnt(7)
	global_store_short v[2:3], v28, off
	s_or_b64 exec, exec, s[0:1]
	v_cmp_gt_u32_e32 vcc, s33, v25
	s_and_saveexec_b64 s[0:1], vcc
	s_cbranch_execz .LBB2171_132
.LBB2171_167:
	v_cmp_lt_u32_e32 vcc, v25, v4
	v_lshlrev_b32_e32 v20, 1, v25
	v_mov_b32_e32 v21, 0
	v_cndmask_b32_e32 v3, v9, v11, vcc
	v_cndmask_b32_e32 v2, v8, v10, vcc
	v_lshl_add_u64 v[2:3], v[2:3], 0, v[20:21]
	s_waitcnt lgkmcnt(6)
	global_store_short v[2:3], v26, off
	s_or_b64 exec, exec, s[0:1]
	v_cmp_gt_u32_e32 vcc, s33, v23
	s_and_saveexec_b64 s[0:1], vcc
	s_cbranch_execz .LBB2171_133
.LBB2171_168:
	v_cmp_lt_u32_e32 vcc, v23, v4
	v_lshlrev_b32_e32 v20, 1, v23
	v_mov_b32_e32 v21, 0
	v_cndmask_b32_e32 v3, v9, v11, vcc
	v_cndmask_b32_e32 v2, v8, v10, vcc
	v_lshl_add_u64 v[2:3], v[2:3], 0, v[20:21]
	s_waitcnt lgkmcnt(5)
	global_store_short v[2:3], v24, off
	s_or_b64 exec, exec, s[0:1]
	v_cmp_gt_u32_e32 vcc, s33, v19
	s_and_saveexec_b64 s[0:1], vcc
	s_cbranch_execz .LBB2171_134
.LBB2171_169:
	v_cmp_lt_u32_e32 vcc, v19, v4
	v_lshlrev_b32_e32 v20, 1, v19
	v_mov_b32_e32 v21, 0
	v_cndmask_b32_e32 v3, v9, v11, vcc
	v_cndmask_b32_e32 v2, v8, v10, vcc
	v_lshl_add_u64 v[2:3], v[2:3], 0, v[20:21]
	s_waitcnt lgkmcnt(4)
	global_store_short v[2:3], v22, off
	s_or_b64 exec, exec, s[0:1]
	v_cmp_gt_u32_e32 vcc, s33, v17
	s_and_saveexec_b64 s[0:1], vcc
	s_cbranch_execz .LBB2171_135
.LBB2171_170:
	v_cmp_lt_u32_e32 vcc, v17, v4
	v_lshlrev_b32_e32 v20, 1, v17
	v_mov_b32_e32 v21, 0
	v_cndmask_b32_e32 v3, v9, v11, vcc
	v_cndmask_b32_e32 v2, v8, v10, vcc
	v_lshl_add_u64 v[2:3], v[2:3], 0, v[20:21]
	s_waitcnt lgkmcnt(3)
	global_store_short v[2:3], v18, off
	s_or_b64 exec, exec, s[0:1]
	v_cmp_gt_u32_e32 vcc, s33, v15
	s_and_saveexec_b64 s[0:1], vcc
	s_cbranch_execz .LBB2171_136
.LBB2171_171:
	v_cmp_lt_u32_e32 vcc, v15, v4
	s_waitcnt lgkmcnt(3)
	v_lshlrev_b32_e32 v18, 1, v15
	v_mov_b32_e32 v19, 0
	v_cndmask_b32_e32 v3, v9, v11, vcc
	v_cndmask_b32_e32 v2, v8, v10, vcc
	v_lshl_add_u64 v[2:3], v[2:3], 0, v[18:19]
	s_waitcnt lgkmcnt(2)
	global_store_short v[2:3], v16, off
	s_or_b64 exec, exec, s[0:1]
	v_cmp_gt_u32_e32 vcc, s33, v13
	s_and_saveexec_b64 s[0:1], vcc
	s_cbranch_execnz .LBB2171_137
	s_branch .LBB2171_138
	.section	.rodata,"a",@progbits
	.p2align	6, 0x0
	.amdhsa_kernel _ZN7rocprim17ROCPRIM_400000_NS6detail17trampoline_kernelINS0_14default_configENS1_25partition_config_selectorILNS1_17partition_subalgoE0EtNS0_10empty_typeEbEEZZNS1_14partition_implILS5_0ELb0ES3_jN6thrust23THRUST_200600_302600_NS6detail15normal_iteratorINSA_10device_ptrItEEEEPS6_SG_NS0_5tupleIJSF_SF_EEENSH_IJSG_SG_EEES6_PlJ7is_evenItEEEE10hipError_tPvRmT3_T4_T5_T6_T7_T9_mT8_P12ihipStream_tbDpT10_ENKUlT_T0_E_clISt17integral_constantIbLb0EES16_EEDaS11_S12_EUlS11_E_NS1_11comp_targetILNS1_3genE5ELNS1_11target_archE942ELNS1_3gpuE9ELNS1_3repE0EEENS1_30default_config_static_selectorELNS0_4arch9wavefront6targetE1EEEvT1_
		.amdhsa_group_segment_fixed_size 30728
		.amdhsa_private_segment_fixed_size 0
		.amdhsa_kernarg_size 120
		.amdhsa_user_sgpr_count 2
		.amdhsa_user_sgpr_dispatch_ptr 0
		.amdhsa_user_sgpr_queue_ptr 0
		.amdhsa_user_sgpr_kernarg_segment_ptr 1
		.amdhsa_user_sgpr_dispatch_id 0
		.amdhsa_user_sgpr_kernarg_preload_length 0
		.amdhsa_user_sgpr_kernarg_preload_offset 0
		.amdhsa_user_sgpr_private_segment_size 0
		.amdhsa_uses_dynamic_stack 0
		.amdhsa_enable_private_segment 0
		.amdhsa_system_sgpr_workgroup_id_x 1
		.amdhsa_system_sgpr_workgroup_id_y 0
		.amdhsa_system_sgpr_workgroup_id_z 0
		.amdhsa_system_sgpr_workgroup_info 0
		.amdhsa_system_vgpr_workitem_id 0
		.amdhsa_next_free_vgpr 120
		.amdhsa_next_free_sgpr 44
		.amdhsa_accum_offset 120
		.amdhsa_reserve_vcc 1
		.amdhsa_float_round_mode_32 0
		.amdhsa_float_round_mode_16_64 0
		.amdhsa_float_denorm_mode_32 3
		.amdhsa_float_denorm_mode_16_64 3
		.amdhsa_dx10_clamp 1
		.amdhsa_ieee_mode 1
		.amdhsa_fp16_overflow 0
		.amdhsa_tg_split 0
		.amdhsa_exception_fp_ieee_invalid_op 0
		.amdhsa_exception_fp_denorm_src 0
		.amdhsa_exception_fp_ieee_div_zero 0
		.amdhsa_exception_fp_ieee_overflow 0
		.amdhsa_exception_fp_ieee_underflow 0
		.amdhsa_exception_fp_ieee_inexact 0
		.amdhsa_exception_int_div_zero 0
	.end_amdhsa_kernel
	.section	.text._ZN7rocprim17ROCPRIM_400000_NS6detail17trampoline_kernelINS0_14default_configENS1_25partition_config_selectorILNS1_17partition_subalgoE0EtNS0_10empty_typeEbEEZZNS1_14partition_implILS5_0ELb0ES3_jN6thrust23THRUST_200600_302600_NS6detail15normal_iteratorINSA_10device_ptrItEEEEPS6_SG_NS0_5tupleIJSF_SF_EEENSH_IJSG_SG_EEES6_PlJ7is_evenItEEEE10hipError_tPvRmT3_T4_T5_T6_T7_T9_mT8_P12ihipStream_tbDpT10_ENKUlT_T0_E_clISt17integral_constantIbLb0EES16_EEDaS11_S12_EUlS11_E_NS1_11comp_targetILNS1_3genE5ELNS1_11target_archE942ELNS1_3gpuE9ELNS1_3repE0EEENS1_30default_config_static_selectorELNS0_4arch9wavefront6targetE1EEEvT1_,"axG",@progbits,_ZN7rocprim17ROCPRIM_400000_NS6detail17trampoline_kernelINS0_14default_configENS1_25partition_config_selectorILNS1_17partition_subalgoE0EtNS0_10empty_typeEbEEZZNS1_14partition_implILS5_0ELb0ES3_jN6thrust23THRUST_200600_302600_NS6detail15normal_iteratorINSA_10device_ptrItEEEEPS6_SG_NS0_5tupleIJSF_SF_EEENSH_IJSG_SG_EEES6_PlJ7is_evenItEEEE10hipError_tPvRmT3_T4_T5_T6_T7_T9_mT8_P12ihipStream_tbDpT10_ENKUlT_T0_E_clISt17integral_constantIbLb0EES16_EEDaS11_S12_EUlS11_E_NS1_11comp_targetILNS1_3genE5ELNS1_11target_archE942ELNS1_3gpuE9ELNS1_3repE0EEENS1_30default_config_static_selectorELNS0_4arch9wavefront6targetE1EEEvT1_,comdat
.Lfunc_end2171:
	.size	_ZN7rocprim17ROCPRIM_400000_NS6detail17trampoline_kernelINS0_14default_configENS1_25partition_config_selectorILNS1_17partition_subalgoE0EtNS0_10empty_typeEbEEZZNS1_14partition_implILS5_0ELb0ES3_jN6thrust23THRUST_200600_302600_NS6detail15normal_iteratorINSA_10device_ptrItEEEEPS6_SG_NS0_5tupleIJSF_SF_EEENSH_IJSG_SG_EEES6_PlJ7is_evenItEEEE10hipError_tPvRmT3_T4_T5_T6_T7_T9_mT8_P12ihipStream_tbDpT10_ENKUlT_T0_E_clISt17integral_constantIbLb0EES16_EEDaS11_S12_EUlS11_E_NS1_11comp_targetILNS1_3genE5ELNS1_11target_archE942ELNS1_3gpuE9ELNS1_3repE0EEENS1_30default_config_static_selectorELNS0_4arch9wavefront6targetE1EEEvT1_, .Lfunc_end2171-_ZN7rocprim17ROCPRIM_400000_NS6detail17trampoline_kernelINS0_14default_configENS1_25partition_config_selectorILNS1_17partition_subalgoE0EtNS0_10empty_typeEbEEZZNS1_14partition_implILS5_0ELb0ES3_jN6thrust23THRUST_200600_302600_NS6detail15normal_iteratorINSA_10device_ptrItEEEEPS6_SG_NS0_5tupleIJSF_SF_EEENSH_IJSG_SG_EEES6_PlJ7is_evenItEEEE10hipError_tPvRmT3_T4_T5_T6_T7_T9_mT8_P12ihipStream_tbDpT10_ENKUlT_T0_E_clISt17integral_constantIbLb0EES16_EEDaS11_S12_EUlS11_E_NS1_11comp_targetILNS1_3genE5ELNS1_11target_archE942ELNS1_3gpuE9ELNS1_3repE0EEENS1_30default_config_static_selectorELNS0_4arch9wavefront6targetE1EEEvT1_
                                        ; -- End function
	.section	.AMDGPU.csdata,"",@progbits
; Kernel info:
; codeLenInByte = 10836
; NumSgprs: 50
; NumVgprs: 120
; NumAgprs: 0
; TotalNumVgprs: 120
; ScratchSize: 0
; MemoryBound: 0
; FloatMode: 240
; IeeeMode: 1
; LDSByteSize: 30728 bytes/workgroup (compile time only)
; SGPRBlocks: 6
; VGPRBlocks: 14
; NumSGPRsForWavesPerEU: 50
; NumVGPRsForWavesPerEU: 120
; AccumOffset: 120
; Occupancy: 4
; WaveLimiterHint : 1
; COMPUTE_PGM_RSRC2:SCRATCH_EN: 0
; COMPUTE_PGM_RSRC2:USER_SGPR: 2
; COMPUTE_PGM_RSRC2:TRAP_HANDLER: 0
; COMPUTE_PGM_RSRC2:TGID_X_EN: 1
; COMPUTE_PGM_RSRC2:TGID_Y_EN: 0
; COMPUTE_PGM_RSRC2:TGID_Z_EN: 0
; COMPUTE_PGM_RSRC2:TIDIG_COMP_CNT: 0
; COMPUTE_PGM_RSRC3_GFX90A:ACCUM_OFFSET: 29
; COMPUTE_PGM_RSRC3_GFX90A:TG_SPLIT: 0
	.section	.text._ZN7rocprim17ROCPRIM_400000_NS6detail17trampoline_kernelINS0_14default_configENS1_25partition_config_selectorILNS1_17partition_subalgoE0EtNS0_10empty_typeEbEEZZNS1_14partition_implILS5_0ELb0ES3_jN6thrust23THRUST_200600_302600_NS6detail15normal_iteratorINSA_10device_ptrItEEEEPS6_SG_NS0_5tupleIJSF_SF_EEENSH_IJSG_SG_EEES6_PlJ7is_evenItEEEE10hipError_tPvRmT3_T4_T5_T6_T7_T9_mT8_P12ihipStream_tbDpT10_ENKUlT_T0_E_clISt17integral_constantIbLb0EES16_EEDaS11_S12_EUlS11_E_NS1_11comp_targetILNS1_3genE4ELNS1_11target_archE910ELNS1_3gpuE8ELNS1_3repE0EEENS1_30default_config_static_selectorELNS0_4arch9wavefront6targetE1EEEvT1_,"axG",@progbits,_ZN7rocprim17ROCPRIM_400000_NS6detail17trampoline_kernelINS0_14default_configENS1_25partition_config_selectorILNS1_17partition_subalgoE0EtNS0_10empty_typeEbEEZZNS1_14partition_implILS5_0ELb0ES3_jN6thrust23THRUST_200600_302600_NS6detail15normal_iteratorINSA_10device_ptrItEEEEPS6_SG_NS0_5tupleIJSF_SF_EEENSH_IJSG_SG_EEES6_PlJ7is_evenItEEEE10hipError_tPvRmT3_T4_T5_T6_T7_T9_mT8_P12ihipStream_tbDpT10_ENKUlT_T0_E_clISt17integral_constantIbLb0EES16_EEDaS11_S12_EUlS11_E_NS1_11comp_targetILNS1_3genE4ELNS1_11target_archE910ELNS1_3gpuE8ELNS1_3repE0EEENS1_30default_config_static_selectorELNS0_4arch9wavefront6targetE1EEEvT1_,comdat
	.protected	_ZN7rocprim17ROCPRIM_400000_NS6detail17trampoline_kernelINS0_14default_configENS1_25partition_config_selectorILNS1_17partition_subalgoE0EtNS0_10empty_typeEbEEZZNS1_14partition_implILS5_0ELb0ES3_jN6thrust23THRUST_200600_302600_NS6detail15normal_iteratorINSA_10device_ptrItEEEEPS6_SG_NS0_5tupleIJSF_SF_EEENSH_IJSG_SG_EEES6_PlJ7is_evenItEEEE10hipError_tPvRmT3_T4_T5_T6_T7_T9_mT8_P12ihipStream_tbDpT10_ENKUlT_T0_E_clISt17integral_constantIbLb0EES16_EEDaS11_S12_EUlS11_E_NS1_11comp_targetILNS1_3genE4ELNS1_11target_archE910ELNS1_3gpuE8ELNS1_3repE0EEENS1_30default_config_static_selectorELNS0_4arch9wavefront6targetE1EEEvT1_ ; -- Begin function _ZN7rocprim17ROCPRIM_400000_NS6detail17trampoline_kernelINS0_14default_configENS1_25partition_config_selectorILNS1_17partition_subalgoE0EtNS0_10empty_typeEbEEZZNS1_14partition_implILS5_0ELb0ES3_jN6thrust23THRUST_200600_302600_NS6detail15normal_iteratorINSA_10device_ptrItEEEEPS6_SG_NS0_5tupleIJSF_SF_EEENSH_IJSG_SG_EEES6_PlJ7is_evenItEEEE10hipError_tPvRmT3_T4_T5_T6_T7_T9_mT8_P12ihipStream_tbDpT10_ENKUlT_T0_E_clISt17integral_constantIbLb0EES16_EEDaS11_S12_EUlS11_E_NS1_11comp_targetILNS1_3genE4ELNS1_11target_archE910ELNS1_3gpuE8ELNS1_3repE0EEENS1_30default_config_static_selectorELNS0_4arch9wavefront6targetE1EEEvT1_
	.globl	_ZN7rocprim17ROCPRIM_400000_NS6detail17trampoline_kernelINS0_14default_configENS1_25partition_config_selectorILNS1_17partition_subalgoE0EtNS0_10empty_typeEbEEZZNS1_14partition_implILS5_0ELb0ES3_jN6thrust23THRUST_200600_302600_NS6detail15normal_iteratorINSA_10device_ptrItEEEEPS6_SG_NS0_5tupleIJSF_SF_EEENSH_IJSG_SG_EEES6_PlJ7is_evenItEEEE10hipError_tPvRmT3_T4_T5_T6_T7_T9_mT8_P12ihipStream_tbDpT10_ENKUlT_T0_E_clISt17integral_constantIbLb0EES16_EEDaS11_S12_EUlS11_E_NS1_11comp_targetILNS1_3genE4ELNS1_11target_archE910ELNS1_3gpuE8ELNS1_3repE0EEENS1_30default_config_static_selectorELNS0_4arch9wavefront6targetE1EEEvT1_
	.p2align	8
	.type	_ZN7rocprim17ROCPRIM_400000_NS6detail17trampoline_kernelINS0_14default_configENS1_25partition_config_selectorILNS1_17partition_subalgoE0EtNS0_10empty_typeEbEEZZNS1_14partition_implILS5_0ELb0ES3_jN6thrust23THRUST_200600_302600_NS6detail15normal_iteratorINSA_10device_ptrItEEEEPS6_SG_NS0_5tupleIJSF_SF_EEENSH_IJSG_SG_EEES6_PlJ7is_evenItEEEE10hipError_tPvRmT3_T4_T5_T6_T7_T9_mT8_P12ihipStream_tbDpT10_ENKUlT_T0_E_clISt17integral_constantIbLb0EES16_EEDaS11_S12_EUlS11_E_NS1_11comp_targetILNS1_3genE4ELNS1_11target_archE910ELNS1_3gpuE8ELNS1_3repE0EEENS1_30default_config_static_selectorELNS0_4arch9wavefront6targetE1EEEvT1_,@function
_ZN7rocprim17ROCPRIM_400000_NS6detail17trampoline_kernelINS0_14default_configENS1_25partition_config_selectorILNS1_17partition_subalgoE0EtNS0_10empty_typeEbEEZZNS1_14partition_implILS5_0ELb0ES3_jN6thrust23THRUST_200600_302600_NS6detail15normal_iteratorINSA_10device_ptrItEEEEPS6_SG_NS0_5tupleIJSF_SF_EEENSH_IJSG_SG_EEES6_PlJ7is_evenItEEEE10hipError_tPvRmT3_T4_T5_T6_T7_T9_mT8_P12ihipStream_tbDpT10_ENKUlT_T0_E_clISt17integral_constantIbLb0EES16_EEDaS11_S12_EUlS11_E_NS1_11comp_targetILNS1_3genE4ELNS1_11target_archE910ELNS1_3gpuE8ELNS1_3repE0EEENS1_30default_config_static_selectorELNS0_4arch9wavefront6targetE1EEEvT1_: ; @_ZN7rocprim17ROCPRIM_400000_NS6detail17trampoline_kernelINS0_14default_configENS1_25partition_config_selectorILNS1_17partition_subalgoE0EtNS0_10empty_typeEbEEZZNS1_14partition_implILS5_0ELb0ES3_jN6thrust23THRUST_200600_302600_NS6detail15normal_iteratorINSA_10device_ptrItEEEEPS6_SG_NS0_5tupleIJSF_SF_EEENSH_IJSG_SG_EEES6_PlJ7is_evenItEEEE10hipError_tPvRmT3_T4_T5_T6_T7_T9_mT8_P12ihipStream_tbDpT10_ENKUlT_T0_E_clISt17integral_constantIbLb0EES16_EEDaS11_S12_EUlS11_E_NS1_11comp_targetILNS1_3genE4ELNS1_11target_archE910ELNS1_3gpuE8ELNS1_3repE0EEENS1_30default_config_static_selectorELNS0_4arch9wavefront6targetE1EEEvT1_
; %bb.0:
	.section	.rodata,"a",@progbits
	.p2align	6, 0x0
	.amdhsa_kernel _ZN7rocprim17ROCPRIM_400000_NS6detail17trampoline_kernelINS0_14default_configENS1_25partition_config_selectorILNS1_17partition_subalgoE0EtNS0_10empty_typeEbEEZZNS1_14partition_implILS5_0ELb0ES3_jN6thrust23THRUST_200600_302600_NS6detail15normal_iteratorINSA_10device_ptrItEEEEPS6_SG_NS0_5tupleIJSF_SF_EEENSH_IJSG_SG_EEES6_PlJ7is_evenItEEEE10hipError_tPvRmT3_T4_T5_T6_T7_T9_mT8_P12ihipStream_tbDpT10_ENKUlT_T0_E_clISt17integral_constantIbLb0EES16_EEDaS11_S12_EUlS11_E_NS1_11comp_targetILNS1_3genE4ELNS1_11target_archE910ELNS1_3gpuE8ELNS1_3repE0EEENS1_30default_config_static_selectorELNS0_4arch9wavefront6targetE1EEEvT1_
		.amdhsa_group_segment_fixed_size 0
		.amdhsa_private_segment_fixed_size 0
		.amdhsa_kernarg_size 120
		.amdhsa_user_sgpr_count 2
		.amdhsa_user_sgpr_dispatch_ptr 0
		.amdhsa_user_sgpr_queue_ptr 0
		.amdhsa_user_sgpr_kernarg_segment_ptr 1
		.amdhsa_user_sgpr_dispatch_id 0
		.amdhsa_user_sgpr_kernarg_preload_length 0
		.amdhsa_user_sgpr_kernarg_preload_offset 0
		.amdhsa_user_sgpr_private_segment_size 0
		.amdhsa_uses_dynamic_stack 0
		.amdhsa_enable_private_segment 0
		.amdhsa_system_sgpr_workgroup_id_x 1
		.amdhsa_system_sgpr_workgroup_id_y 0
		.amdhsa_system_sgpr_workgroup_id_z 0
		.amdhsa_system_sgpr_workgroup_info 0
		.amdhsa_system_vgpr_workitem_id 0
		.amdhsa_next_free_vgpr 1
		.amdhsa_next_free_sgpr 0
		.amdhsa_accum_offset 4
		.amdhsa_reserve_vcc 0
		.amdhsa_float_round_mode_32 0
		.amdhsa_float_round_mode_16_64 0
		.amdhsa_float_denorm_mode_32 3
		.amdhsa_float_denorm_mode_16_64 3
		.amdhsa_dx10_clamp 1
		.amdhsa_ieee_mode 1
		.amdhsa_fp16_overflow 0
		.amdhsa_tg_split 0
		.amdhsa_exception_fp_ieee_invalid_op 0
		.amdhsa_exception_fp_denorm_src 0
		.amdhsa_exception_fp_ieee_div_zero 0
		.amdhsa_exception_fp_ieee_overflow 0
		.amdhsa_exception_fp_ieee_underflow 0
		.amdhsa_exception_fp_ieee_inexact 0
		.amdhsa_exception_int_div_zero 0
	.end_amdhsa_kernel
	.section	.text._ZN7rocprim17ROCPRIM_400000_NS6detail17trampoline_kernelINS0_14default_configENS1_25partition_config_selectorILNS1_17partition_subalgoE0EtNS0_10empty_typeEbEEZZNS1_14partition_implILS5_0ELb0ES3_jN6thrust23THRUST_200600_302600_NS6detail15normal_iteratorINSA_10device_ptrItEEEEPS6_SG_NS0_5tupleIJSF_SF_EEENSH_IJSG_SG_EEES6_PlJ7is_evenItEEEE10hipError_tPvRmT3_T4_T5_T6_T7_T9_mT8_P12ihipStream_tbDpT10_ENKUlT_T0_E_clISt17integral_constantIbLb0EES16_EEDaS11_S12_EUlS11_E_NS1_11comp_targetILNS1_3genE4ELNS1_11target_archE910ELNS1_3gpuE8ELNS1_3repE0EEENS1_30default_config_static_selectorELNS0_4arch9wavefront6targetE1EEEvT1_,"axG",@progbits,_ZN7rocprim17ROCPRIM_400000_NS6detail17trampoline_kernelINS0_14default_configENS1_25partition_config_selectorILNS1_17partition_subalgoE0EtNS0_10empty_typeEbEEZZNS1_14partition_implILS5_0ELb0ES3_jN6thrust23THRUST_200600_302600_NS6detail15normal_iteratorINSA_10device_ptrItEEEEPS6_SG_NS0_5tupleIJSF_SF_EEENSH_IJSG_SG_EEES6_PlJ7is_evenItEEEE10hipError_tPvRmT3_T4_T5_T6_T7_T9_mT8_P12ihipStream_tbDpT10_ENKUlT_T0_E_clISt17integral_constantIbLb0EES16_EEDaS11_S12_EUlS11_E_NS1_11comp_targetILNS1_3genE4ELNS1_11target_archE910ELNS1_3gpuE8ELNS1_3repE0EEENS1_30default_config_static_selectorELNS0_4arch9wavefront6targetE1EEEvT1_,comdat
.Lfunc_end2172:
	.size	_ZN7rocprim17ROCPRIM_400000_NS6detail17trampoline_kernelINS0_14default_configENS1_25partition_config_selectorILNS1_17partition_subalgoE0EtNS0_10empty_typeEbEEZZNS1_14partition_implILS5_0ELb0ES3_jN6thrust23THRUST_200600_302600_NS6detail15normal_iteratorINSA_10device_ptrItEEEEPS6_SG_NS0_5tupleIJSF_SF_EEENSH_IJSG_SG_EEES6_PlJ7is_evenItEEEE10hipError_tPvRmT3_T4_T5_T6_T7_T9_mT8_P12ihipStream_tbDpT10_ENKUlT_T0_E_clISt17integral_constantIbLb0EES16_EEDaS11_S12_EUlS11_E_NS1_11comp_targetILNS1_3genE4ELNS1_11target_archE910ELNS1_3gpuE8ELNS1_3repE0EEENS1_30default_config_static_selectorELNS0_4arch9wavefront6targetE1EEEvT1_, .Lfunc_end2172-_ZN7rocprim17ROCPRIM_400000_NS6detail17trampoline_kernelINS0_14default_configENS1_25partition_config_selectorILNS1_17partition_subalgoE0EtNS0_10empty_typeEbEEZZNS1_14partition_implILS5_0ELb0ES3_jN6thrust23THRUST_200600_302600_NS6detail15normal_iteratorINSA_10device_ptrItEEEEPS6_SG_NS0_5tupleIJSF_SF_EEENSH_IJSG_SG_EEES6_PlJ7is_evenItEEEE10hipError_tPvRmT3_T4_T5_T6_T7_T9_mT8_P12ihipStream_tbDpT10_ENKUlT_T0_E_clISt17integral_constantIbLb0EES16_EEDaS11_S12_EUlS11_E_NS1_11comp_targetILNS1_3genE4ELNS1_11target_archE910ELNS1_3gpuE8ELNS1_3repE0EEENS1_30default_config_static_selectorELNS0_4arch9wavefront6targetE1EEEvT1_
                                        ; -- End function
	.section	.AMDGPU.csdata,"",@progbits
; Kernel info:
; codeLenInByte = 0
; NumSgprs: 6
; NumVgprs: 0
; NumAgprs: 0
; TotalNumVgprs: 0
; ScratchSize: 0
; MemoryBound: 0
; FloatMode: 240
; IeeeMode: 1
; LDSByteSize: 0 bytes/workgroup (compile time only)
; SGPRBlocks: 0
; VGPRBlocks: 0
; NumSGPRsForWavesPerEU: 6
; NumVGPRsForWavesPerEU: 1
; AccumOffset: 4
; Occupancy: 8
; WaveLimiterHint : 0
; COMPUTE_PGM_RSRC2:SCRATCH_EN: 0
; COMPUTE_PGM_RSRC2:USER_SGPR: 2
; COMPUTE_PGM_RSRC2:TRAP_HANDLER: 0
; COMPUTE_PGM_RSRC2:TGID_X_EN: 1
; COMPUTE_PGM_RSRC2:TGID_Y_EN: 0
; COMPUTE_PGM_RSRC2:TGID_Z_EN: 0
; COMPUTE_PGM_RSRC2:TIDIG_COMP_CNT: 0
; COMPUTE_PGM_RSRC3_GFX90A:ACCUM_OFFSET: 0
; COMPUTE_PGM_RSRC3_GFX90A:TG_SPLIT: 0
	.section	.text._ZN7rocprim17ROCPRIM_400000_NS6detail17trampoline_kernelINS0_14default_configENS1_25partition_config_selectorILNS1_17partition_subalgoE0EtNS0_10empty_typeEbEEZZNS1_14partition_implILS5_0ELb0ES3_jN6thrust23THRUST_200600_302600_NS6detail15normal_iteratorINSA_10device_ptrItEEEEPS6_SG_NS0_5tupleIJSF_SF_EEENSH_IJSG_SG_EEES6_PlJ7is_evenItEEEE10hipError_tPvRmT3_T4_T5_T6_T7_T9_mT8_P12ihipStream_tbDpT10_ENKUlT_T0_E_clISt17integral_constantIbLb0EES16_EEDaS11_S12_EUlS11_E_NS1_11comp_targetILNS1_3genE3ELNS1_11target_archE908ELNS1_3gpuE7ELNS1_3repE0EEENS1_30default_config_static_selectorELNS0_4arch9wavefront6targetE1EEEvT1_,"axG",@progbits,_ZN7rocprim17ROCPRIM_400000_NS6detail17trampoline_kernelINS0_14default_configENS1_25partition_config_selectorILNS1_17partition_subalgoE0EtNS0_10empty_typeEbEEZZNS1_14partition_implILS5_0ELb0ES3_jN6thrust23THRUST_200600_302600_NS6detail15normal_iteratorINSA_10device_ptrItEEEEPS6_SG_NS0_5tupleIJSF_SF_EEENSH_IJSG_SG_EEES6_PlJ7is_evenItEEEE10hipError_tPvRmT3_T4_T5_T6_T7_T9_mT8_P12ihipStream_tbDpT10_ENKUlT_T0_E_clISt17integral_constantIbLb0EES16_EEDaS11_S12_EUlS11_E_NS1_11comp_targetILNS1_3genE3ELNS1_11target_archE908ELNS1_3gpuE7ELNS1_3repE0EEENS1_30default_config_static_selectorELNS0_4arch9wavefront6targetE1EEEvT1_,comdat
	.protected	_ZN7rocprim17ROCPRIM_400000_NS6detail17trampoline_kernelINS0_14default_configENS1_25partition_config_selectorILNS1_17partition_subalgoE0EtNS0_10empty_typeEbEEZZNS1_14partition_implILS5_0ELb0ES3_jN6thrust23THRUST_200600_302600_NS6detail15normal_iteratorINSA_10device_ptrItEEEEPS6_SG_NS0_5tupleIJSF_SF_EEENSH_IJSG_SG_EEES6_PlJ7is_evenItEEEE10hipError_tPvRmT3_T4_T5_T6_T7_T9_mT8_P12ihipStream_tbDpT10_ENKUlT_T0_E_clISt17integral_constantIbLb0EES16_EEDaS11_S12_EUlS11_E_NS1_11comp_targetILNS1_3genE3ELNS1_11target_archE908ELNS1_3gpuE7ELNS1_3repE0EEENS1_30default_config_static_selectorELNS0_4arch9wavefront6targetE1EEEvT1_ ; -- Begin function _ZN7rocprim17ROCPRIM_400000_NS6detail17trampoline_kernelINS0_14default_configENS1_25partition_config_selectorILNS1_17partition_subalgoE0EtNS0_10empty_typeEbEEZZNS1_14partition_implILS5_0ELb0ES3_jN6thrust23THRUST_200600_302600_NS6detail15normal_iteratorINSA_10device_ptrItEEEEPS6_SG_NS0_5tupleIJSF_SF_EEENSH_IJSG_SG_EEES6_PlJ7is_evenItEEEE10hipError_tPvRmT3_T4_T5_T6_T7_T9_mT8_P12ihipStream_tbDpT10_ENKUlT_T0_E_clISt17integral_constantIbLb0EES16_EEDaS11_S12_EUlS11_E_NS1_11comp_targetILNS1_3genE3ELNS1_11target_archE908ELNS1_3gpuE7ELNS1_3repE0EEENS1_30default_config_static_selectorELNS0_4arch9wavefront6targetE1EEEvT1_
	.globl	_ZN7rocprim17ROCPRIM_400000_NS6detail17trampoline_kernelINS0_14default_configENS1_25partition_config_selectorILNS1_17partition_subalgoE0EtNS0_10empty_typeEbEEZZNS1_14partition_implILS5_0ELb0ES3_jN6thrust23THRUST_200600_302600_NS6detail15normal_iteratorINSA_10device_ptrItEEEEPS6_SG_NS0_5tupleIJSF_SF_EEENSH_IJSG_SG_EEES6_PlJ7is_evenItEEEE10hipError_tPvRmT3_T4_T5_T6_T7_T9_mT8_P12ihipStream_tbDpT10_ENKUlT_T0_E_clISt17integral_constantIbLb0EES16_EEDaS11_S12_EUlS11_E_NS1_11comp_targetILNS1_3genE3ELNS1_11target_archE908ELNS1_3gpuE7ELNS1_3repE0EEENS1_30default_config_static_selectorELNS0_4arch9wavefront6targetE1EEEvT1_
	.p2align	8
	.type	_ZN7rocprim17ROCPRIM_400000_NS6detail17trampoline_kernelINS0_14default_configENS1_25partition_config_selectorILNS1_17partition_subalgoE0EtNS0_10empty_typeEbEEZZNS1_14partition_implILS5_0ELb0ES3_jN6thrust23THRUST_200600_302600_NS6detail15normal_iteratorINSA_10device_ptrItEEEEPS6_SG_NS0_5tupleIJSF_SF_EEENSH_IJSG_SG_EEES6_PlJ7is_evenItEEEE10hipError_tPvRmT3_T4_T5_T6_T7_T9_mT8_P12ihipStream_tbDpT10_ENKUlT_T0_E_clISt17integral_constantIbLb0EES16_EEDaS11_S12_EUlS11_E_NS1_11comp_targetILNS1_3genE3ELNS1_11target_archE908ELNS1_3gpuE7ELNS1_3repE0EEENS1_30default_config_static_selectorELNS0_4arch9wavefront6targetE1EEEvT1_,@function
_ZN7rocprim17ROCPRIM_400000_NS6detail17trampoline_kernelINS0_14default_configENS1_25partition_config_selectorILNS1_17partition_subalgoE0EtNS0_10empty_typeEbEEZZNS1_14partition_implILS5_0ELb0ES3_jN6thrust23THRUST_200600_302600_NS6detail15normal_iteratorINSA_10device_ptrItEEEEPS6_SG_NS0_5tupleIJSF_SF_EEENSH_IJSG_SG_EEES6_PlJ7is_evenItEEEE10hipError_tPvRmT3_T4_T5_T6_T7_T9_mT8_P12ihipStream_tbDpT10_ENKUlT_T0_E_clISt17integral_constantIbLb0EES16_EEDaS11_S12_EUlS11_E_NS1_11comp_targetILNS1_3genE3ELNS1_11target_archE908ELNS1_3gpuE7ELNS1_3repE0EEENS1_30default_config_static_selectorELNS0_4arch9wavefront6targetE1EEEvT1_: ; @_ZN7rocprim17ROCPRIM_400000_NS6detail17trampoline_kernelINS0_14default_configENS1_25partition_config_selectorILNS1_17partition_subalgoE0EtNS0_10empty_typeEbEEZZNS1_14partition_implILS5_0ELb0ES3_jN6thrust23THRUST_200600_302600_NS6detail15normal_iteratorINSA_10device_ptrItEEEEPS6_SG_NS0_5tupleIJSF_SF_EEENSH_IJSG_SG_EEES6_PlJ7is_evenItEEEE10hipError_tPvRmT3_T4_T5_T6_T7_T9_mT8_P12ihipStream_tbDpT10_ENKUlT_T0_E_clISt17integral_constantIbLb0EES16_EEDaS11_S12_EUlS11_E_NS1_11comp_targetILNS1_3genE3ELNS1_11target_archE908ELNS1_3gpuE7ELNS1_3repE0EEENS1_30default_config_static_selectorELNS0_4arch9wavefront6targetE1EEEvT1_
; %bb.0:
	.section	.rodata,"a",@progbits
	.p2align	6, 0x0
	.amdhsa_kernel _ZN7rocprim17ROCPRIM_400000_NS6detail17trampoline_kernelINS0_14default_configENS1_25partition_config_selectorILNS1_17partition_subalgoE0EtNS0_10empty_typeEbEEZZNS1_14partition_implILS5_0ELb0ES3_jN6thrust23THRUST_200600_302600_NS6detail15normal_iteratorINSA_10device_ptrItEEEEPS6_SG_NS0_5tupleIJSF_SF_EEENSH_IJSG_SG_EEES6_PlJ7is_evenItEEEE10hipError_tPvRmT3_T4_T5_T6_T7_T9_mT8_P12ihipStream_tbDpT10_ENKUlT_T0_E_clISt17integral_constantIbLb0EES16_EEDaS11_S12_EUlS11_E_NS1_11comp_targetILNS1_3genE3ELNS1_11target_archE908ELNS1_3gpuE7ELNS1_3repE0EEENS1_30default_config_static_selectorELNS0_4arch9wavefront6targetE1EEEvT1_
		.amdhsa_group_segment_fixed_size 0
		.amdhsa_private_segment_fixed_size 0
		.amdhsa_kernarg_size 120
		.amdhsa_user_sgpr_count 2
		.amdhsa_user_sgpr_dispatch_ptr 0
		.amdhsa_user_sgpr_queue_ptr 0
		.amdhsa_user_sgpr_kernarg_segment_ptr 1
		.amdhsa_user_sgpr_dispatch_id 0
		.amdhsa_user_sgpr_kernarg_preload_length 0
		.amdhsa_user_sgpr_kernarg_preload_offset 0
		.amdhsa_user_sgpr_private_segment_size 0
		.amdhsa_uses_dynamic_stack 0
		.amdhsa_enable_private_segment 0
		.amdhsa_system_sgpr_workgroup_id_x 1
		.amdhsa_system_sgpr_workgroup_id_y 0
		.amdhsa_system_sgpr_workgroup_id_z 0
		.amdhsa_system_sgpr_workgroup_info 0
		.amdhsa_system_vgpr_workitem_id 0
		.amdhsa_next_free_vgpr 1
		.amdhsa_next_free_sgpr 0
		.amdhsa_accum_offset 4
		.amdhsa_reserve_vcc 0
		.amdhsa_float_round_mode_32 0
		.amdhsa_float_round_mode_16_64 0
		.amdhsa_float_denorm_mode_32 3
		.amdhsa_float_denorm_mode_16_64 3
		.amdhsa_dx10_clamp 1
		.amdhsa_ieee_mode 1
		.amdhsa_fp16_overflow 0
		.amdhsa_tg_split 0
		.amdhsa_exception_fp_ieee_invalid_op 0
		.amdhsa_exception_fp_denorm_src 0
		.amdhsa_exception_fp_ieee_div_zero 0
		.amdhsa_exception_fp_ieee_overflow 0
		.amdhsa_exception_fp_ieee_underflow 0
		.amdhsa_exception_fp_ieee_inexact 0
		.amdhsa_exception_int_div_zero 0
	.end_amdhsa_kernel
	.section	.text._ZN7rocprim17ROCPRIM_400000_NS6detail17trampoline_kernelINS0_14default_configENS1_25partition_config_selectorILNS1_17partition_subalgoE0EtNS0_10empty_typeEbEEZZNS1_14partition_implILS5_0ELb0ES3_jN6thrust23THRUST_200600_302600_NS6detail15normal_iteratorINSA_10device_ptrItEEEEPS6_SG_NS0_5tupleIJSF_SF_EEENSH_IJSG_SG_EEES6_PlJ7is_evenItEEEE10hipError_tPvRmT3_T4_T5_T6_T7_T9_mT8_P12ihipStream_tbDpT10_ENKUlT_T0_E_clISt17integral_constantIbLb0EES16_EEDaS11_S12_EUlS11_E_NS1_11comp_targetILNS1_3genE3ELNS1_11target_archE908ELNS1_3gpuE7ELNS1_3repE0EEENS1_30default_config_static_selectorELNS0_4arch9wavefront6targetE1EEEvT1_,"axG",@progbits,_ZN7rocprim17ROCPRIM_400000_NS6detail17trampoline_kernelINS0_14default_configENS1_25partition_config_selectorILNS1_17partition_subalgoE0EtNS0_10empty_typeEbEEZZNS1_14partition_implILS5_0ELb0ES3_jN6thrust23THRUST_200600_302600_NS6detail15normal_iteratorINSA_10device_ptrItEEEEPS6_SG_NS0_5tupleIJSF_SF_EEENSH_IJSG_SG_EEES6_PlJ7is_evenItEEEE10hipError_tPvRmT3_T4_T5_T6_T7_T9_mT8_P12ihipStream_tbDpT10_ENKUlT_T0_E_clISt17integral_constantIbLb0EES16_EEDaS11_S12_EUlS11_E_NS1_11comp_targetILNS1_3genE3ELNS1_11target_archE908ELNS1_3gpuE7ELNS1_3repE0EEENS1_30default_config_static_selectorELNS0_4arch9wavefront6targetE1EEEvT1_,comdat
.Lfunc_end2173:
	.size	_ZN7rocprim17ROCPRIM_400000_NS6detail17trampoline_kernelINS0_14default_configENS1_25partition_config_selectorILNS1_17partition_subalgoE0EtNS0_10empty_typeEbEEZZNS1_14partition_implILS5_0ELb0ES3_jN6thrust23THRUST_200600_302600_NS6detail15normal_iteratorINSA_10device_ptrItEEEEPS6_SG_NS0_5tupleIJSF_SF_EEENSH_IJSG_SG_EEES6_PlJ7is_evenItEEEE10hipError_tPvRmT3_T4_T5_T6_T7_T9_mT8_P12ihipStream_tbDpT10_ENKUlT_T0_E_clISt17integral_constantIbLb0EES16_EEDaS11_S12_EUlS11_E_NS1_11comp_targetILNS1_3genE3ELNS1_11target_archE908ELNS1_3gpuE7ELNS1_3repE0EEENS1_30default_config_static_selectorELNS0_4arch9wavefront6targetE1EEEvT1_, .Lfunc_end2173-_ZN7rocprim17ROCPRIM_400000_NS6detail17trampoline_kernelINS0_14default_configENS1_25partition_config_selectorILNS1_17partition_subalgoE0EtNS0_10empty_typeEbEEZZNS1_14partition_implILS5_0ELb0ES3_jN6thrust23THRUST_200600_302600_NS6detail15normal_iteratorINSA_10device_ptrItEEEEPS6_SG_NS0_5tupleIJSF_SF_EEENSH_IJSG_SG_EEES6_PlJ7is_evenItEEEE10hipError_tPvRmT3_T4_T5_T6_T7_T9_mT8_P12ihipStream_tbDpT10_ENKUlT_T0_E_clISt17integral_constantIbLb0EES16_EEDaS11_S12_EUlS11_E_NS1_11comp_targetILNS1_3genE3ELNS1_11target_archE908ELNS1_3gpuE7ELNS1_3repE0EEENS1_30default_config_static_selectorELNS0_4arch9wavefront6targetE1EEEvT1_
                                        ; -- End function
	.section	.AMDGPU.csdata,"",@progbits
; Kernel info:
; codeLenInByte = 0
; NumSgprs: 6
; NumVgprs: 0
; NumAgprs: 0
; TotalNumVgprs: 0
; ScratchSize: 0
; MemoryBound: 0
; FloatMode: 240
; IeeeMode: 1
; LDSByteSize: 0 bytes/workgroup (compile time only)
; SGPRBlocks: 0
; VGPRBlocks: 0
; NumSGPRsForWavesPerEU: 6
; NumVGPRsForWavesPerEU: 1
; AccumOffset: 4
; Occupancy: 8
; WaveLimiterHint : 0
; COMPUTE_PGM_RSRC2:SCRATCH_EN: 0
; COMPUTE_PGM_RSRC2:USER_SGPR: 2
; COMPUTE_PGM_RSRC2:TRAP_HANDLER: 0
; COMPUTE_PGM_RSRC2:TGID_X_EN: 1
; COMPUTE_PGM_RSRC2:TGID_Y_EN: 0
; COMPUTE_PGM_RSRC2:TGID_Z_EN: 0
; COMPUTE_PGM_RSRC2:TIDIG_COMP_CNT: 0
; COMPUTE_PGM_RSRC3_GFX90A:ACCUM_OFFSET: 0
; COMPUTE_PGM_RSRC3_GFX90A:TG_SPLIT: 0
	.section	.text._ZN7rocprim17ROCPRIM_400000_NS6detail17trampoline_kernelINS0_14default_configENS1_25partition_config_selectorILNS1_17partition_subalgoE0EtNS0_10empty_typeEbEEZZNS1_14partition_implILS5_0ELb0ES3_jN6thrust23THRUST_200600_302600_NS6detail15normal_iteratorINSA_10device_ptrItEEEEPS6_SG_NS0_5tupleIJSF_SF_EEENSH_IJSG_SG_EEES6_PlJ7is_evenItEEEE10hipError_tPvRmT3_T4_T5_T6_T7_T9_mT8_P12ihipStream_tbDpT10_ENKUlT_T0_E_clISt17integral_constantIbLb0EES16_EEDaS11_S12_EUlS11_E_NS1_11comp_targetILNS1_3genE2ELNS1_11target_archE906ELNS1_3gpuE6ELNS1_3repE0EEENS1_30default_config_static_selectorELNS0_4arch9wavefront6targetE1EEEvT1_,"axG",@progbits,_ZN7rocprim17ROCPRIM_400000_NS6detail17trampoline_kernelINS0_14default_configENS1_25partition_config_selectorILNS1_17partition_subalgoE0EtNS0_10empty_typeEbEEZZNS1_14partition_implILS5_0ELb0ES3_jN6thrust23THRUST_200600_302600_NS6detail15normal_iteratorINSA_10device_ptrItEEEEPS6_SG_NS0_5tupleIJSF_SF_EEENSH_IJSG_SG_EEES6_PlJ7is_evenItEEEE10hipError_tPvRmT3_T4_T5_T6_T7_T9_mT8_P12ihipStream_tbDpT10_ENKUlT_T0_E_clISt17integral_constantIbLb0EES16_EEDaS11_S12_EUlS11_E_NS1_11comp_targetILNS1_3genE2ELNS1_11target_archE906ELNS1_3gpuE6ELNS1_3repE0EEENS1_30default_config_static_selectorELNS0_4arch9wavefront6targetE1EEEvT1_,comdat
	.protected	_ZN7rocprim17ROCPRIM_400000_NS6detail17trampoline_kernelINS0_14default_configENS1_25partition_config_selectorILNS1_17partition_subalgoE0EtNS0_10empty_typeEbEEZZNS1_14partition_implILS5_0ELb0ES3_jN6thrust23THRUST_200600_302600_NS6detail15normal_iteratorINSA_10device_ptrItEEEEPS6_SG_NS0_5tupleIJSF_SF_EEENSH_IJSG_SG_EEES6_PlJ7is_evenItEEEE10hipError_tPvRmT3_T4_T5_T6_T7_T9_mT8_P12ihipStream_tbDpT10_ENKUlT_T0_E_clISt17integral_constantIbLb0EES16_EEDaS11_S12_EUlS11_E_NS1_11comp_targetILNS1_3genE2ELNS1_11target_archE906ELNS1_3gpuE6ELNS1_3repE0EEENS1_30default_config_static_selectorELNS0_4arch9wavefront6targetE1EEEvT1_ ; -- Begin function _ZN7rocprim17ROCPRIM_400000_NS6detail17trampoline_kernelINS0_14default_configENS1_25partition_config_selectorILNS1_17partition_subalgoE0EtNS0_10empty_typeEbEEZZNS1_14partition_implILS5_0ELb0ES3_jN6thrust23THRUST_200600_302600_NS6detail15normal_iteratorINSA_10device_ptrItEEEEPS6_SG_NS0_5tupleIJSF_SF_EEENSH_IJSG_SG_EEES6_PlJ7is_evenItEEEE10hipError_tPvRmT3_T4_T5_T6_T7_T9_mT8_P12ihipStream_tbDpT10_ENKUlT_T0_E_clISt17integral_constantIbLb0EES16_EEDaS11_S12_EUlS11_E_NS1_11comp_targetILNS1_3genE2ELNS1_11target_archE906ELNS1_3gpuE6ELNS1_3repE0EEENS1_30default_config_static_selectorELNS0_4arch9wavefront6targetE1EEEvT1_
	.globl	_ZN7rocprim17ROCPRIM_400000_NS6detail17trampoline_kernelINS0_14default_configENS1_25partition_config_selectorILNS1_17partition_subalgoE0EtNS0_10empty_typeEbEEZZNS1_14partition_implILS5_0ELb0ES3_jN6thrust23THRUST_200600_302600_NS6detail15normal_iteratorINSA_10device_ptrItEEEEPS6_SG_NS0_5tupleIJSF_SF_EEENSH_IJSG_SG_EEES6_PlJ7is_evenItEEEE10hipError_tPvRmT3_T4_T5_T6_T7_T9_mT8_P12ihipStream_tbDpT10_ENKUlT_T0_E_clISt17integral_constantIbLb0EES16_EEDaS11_S12_EUlS11_E_NS1_11comp_targetILNS1_3genE2ELNS1_11target_archE906ELNS1_3gpuE6ELNS1_3repE0EEENS1_30default_config_static_selectorELNS0_4arch9wavefront6targetE1EEEvT1_
	.p2align	8
	.type	_ZN7rocprim17ROCPRIM_400000_NS6detail17trampoline_kernelINS0_14default_configENS1_25partition_config_selectorILNS1_17partition_subalgoE0EtNS0_10empty_typeEbEEZZNS1_14partition_implILS5_0ELb0ES3_jN6thrust23THRUST_200600_302600_NS6detail15normal_iteratorINSA_10device_ptrItEEEEPS6_SG_NS0_5tupleIJSF_SF_EEENSH_IJSG_SG_EEES6_PlJ7is_evenItEEEE10hipError_tPvRmT3_T4_T5_T6_T7_T9_mT8_P12ihipStream_tbDpT10_ENKUlT_T0_E_clISt17integral_constantIbLb0EES16_EEDaS11_S12_EUlS11_E_NS1_11comp_targetILNS1_3genE2ELNS1_11target_archE906ELNS1_3gpuE6ELNS1_3repE0EEENS1_30default_config_static_selectorELNS0_4arch9wavefront6targetE1EEEvT1_,@function
_ZN7rocprim17ROCPRIM_400000_NS6detail17trampoline_kernelINS0_14default_configENS1_25partition_config_selectorILNS1_17partition_subalgoE0EtNS0_10empty_typeEbEEZZNS1_14partition_implILS5_0ELb0ES3_jN6thrust23THRUST_200600_302600_NS6detail15normal_iteratorINSA_10device_ptrItEEEEPS6_SG_NS0_5tupleIJSF_SF_EEENSH_IJSG_SG_EEES6_PlJ7is_evenItEEEE10hipError_tPvRmT3_T4_T5_T6_T7_T9_mT8_P12ihipStream_tbDpT10_ENKUlT_T0_E_clISt17integral_constantIbLb0EES16_EEDaS11_S12_EUlS11_E_NS1_11comp_targetILNS1_3genE2ELNS1_11target_archE906ELNS1_3gpuE6ELNS1_3repE0EEENS1_30default_config_static_selectorELNS0_4arch9wavefront6targetE1EEEvT1_: ; @_ZN7rocprim17ROCPRIM_400000_NS6detail17trampoline_kernelINS0_14default_configENS1_25partition_config_selectorILNS1_17partition_subalgoE0EtNS0_10empty_typeEbEEZZNS1_14partition_implILS5_0ELb0ES3_jN6thrust23THRUST_200600_302600_NS6detail15normal_iteratorINSA_10device_ptrItEEEEPS6_SG_NS0_5tupleIJSF_SF_EEENSH_IJSG_SG_EEES6_PlJ7is_evenItEEEE10hipError_tPvRmT3_T4_T5_T6_T7_T9_mT8_P12ihipStream_tbDpT10_ENKUlT_T0_E_clISt17integral_constantIbLb0EES16_EEDaS11_S12_EUlS11_E_NS1_11comp_targetILNS1_3genE2ELNS1_11target_archE906ELNS1_3gpuE6ELNS1_3repE0EEENS1_30default_config_static_selectorELNS0_4arch9wavefront6targetE1EEEvT1_
; %bb.0:
	.section	.rodata,"a",@progbits
	.p2align	6, 0x0
	.amdhsa_kernel _ZN7rocprim17ROCPRIM_400000_NS6detail17trampoline_kernelINS0_14default_configENS1_25partition_config_selectorILNS1_17partition_subalgoE0EtNS0_10empty_typeEbEEZZNS1_14partition_implILS5_0ELb0ES3_jN6thrust23THRUST_200600_302600_NS6detail15normal_iteratorINSA_10device_ptrItEEEEPS6_SG_NS0_5tupleIJSF_SF_EEENSH_IJSG_SG_EEES6_PlJ7is_evenItEEEE10hipError_tPvRmT3_T4_T5_T6_T7_T9_mT8_P12ihipStream_tbDpT10_ENKUlT_T0_E_clISt17integral_constantIbLb0EES16_EEDaS11_S12_EUlS11_E_NS1_11comp_targetILNS1_3genE2ELNS1_11target_archE906ELNS1_3gpuE6ELNS1_3repE0EEENS1_30default_config_static_selectorELNS0_4arch9wavefront6targetE1EEEvT1_
		.amdhsa_group_segment_fixed_size 0
		.amdhsa_private_segment_fixed_size 0
		.amdhsa_kernarg_size 120
		.amdhsa_user_sgpr_count 2
		.amdhsa_user_sgpr_dispatch_ptr 0
		.amdhsa_user_sgpr_queue_ptr 0
		.amdhsa_user_sgpr_kernarg_segment_ptr 1
		.amdhsa_user_sgpr_dispatch_id 0
		.amdhsa_user_sgpr_kernarg_preload_length 0
		.amdhsa_user_sgpr_kernarg_preload_offset 0
		.amdhsa_user_sgpr_private_segment_size 0
		.amdhsa_uses_dynamic_stack 0
		.amdhsa_enable_private_segment 0
		.amdhsa_system_sgpr_workgroup_id_x 1
		.amdhsa_system_sgpr_workgroup_id_y 0
		.amdhsa_system_sgpr_workgroup_id_z 0
		.amdhsa_system_sgpr_workgroup_info 0
		.amdhsa_system_vgpr_workitem_id 0
		.amdhsa_next_free_vgpr 1
		.amdhsa_next_free_sgpr 0
		.amdhsa_accum_offset 4
		.amdhsa_reserve_vcc 0
		.amdhsa_float_round_mode_32 0
		.amdhsa_float_round_mode_16_64 0
		.amdhsa_float_denorm_mode_32 3
		.amdhsa_float_denorm_mode_16_64 3
		.amdhsa_dx10_clamp 1
		.amdhsa_ieee_mode 1
		.amdhsa_fp16_overflow 0
		.amdhsa_tg_split 0
		.amdhsa_exception_fp_ieee_invalid_op 0
		.amdhsa_exception_fp_denorm_src 0
		.amdhsa_exception_fp_ieee_div_zero 0
		.amdhsa_exception_fp_ieee_overflow 0
		.amdhsa_exception_fp_ieee_underflow 0
		.amdhsa_exception_fp_ieee_inexact 0
		.amdhsa_exception_int_div_zero 0
	.end_amdhsa_kernel
	.section	.text._ZN7rocprim17ROCPRIM_400000_NS6detail17trampoline_kernelINS0_14default_configENS1_25partition_config_selectorILNS1_17partition_subalgoE0EtNS0_10empty_typeEbEEZZNS1_14partition_implILS5_0ELb0ES3_jN6thrust23THRUST_200600_302600_NS6detail15normal_iteratorINSA_10device_ptrItEEEEPS6_SG_NS0_5tupleIJSF_SF_EEENSH_IJSG_SG_EEES6_PlJ7is_evenItEEEE10hipError_tPvRmT3_T4_T5_T6_T7_T9_mT8_P12ihipStream_tbDpT10_ENKUlT_T0_E_clISt17integral_constantIbLb0EES16_EEDaS11_S12_EUlS11_E_NS1_11comp_targetILNS1_3genE2ELNS1_11target_archE906ELNS1_3gpuE6ELNS1_3repE0EEENS1_30default_config_static_selectorELNS0_4arch9wavefront6targetE1EEEvT1_,"axG",@progbits,_ZN7rocprim17ROCPRIM_400000_NS6detail17trampoline_kernelINS0_14default_configENS1_25partition_config_selectorILNS1_17partition_subalgoE0EtNS0_10empty_typeEbEEZZNS1_14partition_implILS5_0ELb0ES3_jN6thrust23THRUST_200600_302600_NS6detail15normal_iteratorINSA_10device_ptrItEEEEPS6_SG_NS0_5tupleIJSF_SF_EEENSH_IJSG_SG_EEES6_PlJ7is_evenItEEEE10hipError_tPvRmT3_T4_T5_T6_T7_T9_mT8_P12ihipStream_tbDpT10_ENKUlT_T0_E_clISt17integral_constantIbLb0EES16_EEDaS11_S12_EUlS11_E_NS1_11comp_targetILNS1_3genE2ELNS1_11target_archE906ELNS1_3gpuE6ELNS1_3repE0EEENS1_30default_config_static_selectorELNS0_4arch9wavefront6targetE1EEEvT1_,comdat
.Lfunc_end2174:
	.size	_ZN7rocprim17ROCPRIM_400000_NS6detail17trampoline_kernelINS0_14default_configENS1_25partition_config_selectorILNS1_17partition_subalgoE0EtNS0_10empty_typeEbEEZZNS1_14partition_implILS5_0ELb0ES3_jN6thrust23THRUST_200600_302600_NS6detail15normal_iteratorINSA_10device_ptrItEEEEPS6_SG_NS0_5tupleIJSF_SF_EEENSH_IJSG_SG_EEES6_PlJ7is_evenItEEEE10hipError_tPvRmT3_T4_T5_T6_T7_T9_mT8_P12ihipStream_tbDpT10_ENKUlT_T0_E_clISt17integral_constantIbLb0EES16_EEDaS11_S12_EUlS11_E_NS1_11comp_targetILNS1_3genE2ELNS1_11target_archE906ELNS1_3gpuE6ELNS1_3repE0EEENS1_30default_config_static_selectorELNS0_4arch9wavefront6targetE1EEEvT1_, .Lfunc_end2174-_ZN7rocprim17ROCPRIM_400000_NS6detail17trampoline_kernelINS0_14default_configENS1_25partition_config_selectorILNS1_17partition_subalgoE0EtNS0_10empty_typeEbEEZZNS1_14partition_implILS5_0ELb0ES3_jN6thrust23THRUST_200600_302600_NS6detail15normal_iteratorINSA_10device_ptrItEEEEPS6_SG_NS0_5tupleIJSF_SF_EEENSH_IJSG_SG_EEES6_PlJ7is_evenItEEEE10hipError_tPvRmT3_T4_T5_T6_T7_T9_mT8_P12ihipStream_tbDpT10_ENKUlT_T0_E_clISt17integral_constantIbLb0EES16_EEDaS11_S12_EUlS11_E_NS1_11comp_targetILNS1_3genE2ELNS1_11target_archE906ELNS1_3gpuE6ELNS1_3repE0EEENS1_30default_config_static_selectorELNS0_4arch9wavefront6targetE1EEEvT1_
                                        ; -- End function
	.section	.AMDGPU.csdata,"",@progbits
; Kernel info:
; codeLenInByte = 0
; NumSgprs: 6
; NumVgprs: 0
; NumAgprs: 0
; TotalNumVgprs: 0
; ScratchSize: 0
; MemoryBound: 0
; FloatMode: 240
; IeeeMode: 1
; LDSByteSize: 0 bytes/workgroup (compile time only)
; SGPRBlocks: 0
; VGPRBlocks: 0
; NumSGPRsForWavesPerEU: 6
; NumVGPRsForWavesPerEU: 1
; AccumOffset: 4
; Occupancy: 8
; WaveLimiterHint : 0
; COMPUTE_PGM_RSRC2:SCRATCH_EN: 0
; COMPUTE_PGM_RSRC2:USER_SGPR: 2
; COMPUTE_PGM_RSRC2:TRAP_HANDLER: 0
; COMPUTE_PGM_RSRC2:TGID_X_EN: 1
; COMPUTE_PGM_RSRC2:TGID_Y_EN: 0
; COMPUTE_PGM_RSRC2:TGID_Z_EN: 0
; COMPUTE_PGM_RSRC2:TIDIG_COMP_CNT: 0
; COMPUTE_PGM_RSRC3_GFX90A:ACCUM_OFFSET: 0
; COMPUTE_PGM_RSRC3_GFX90A:TG_SPLIT: 0
	.section	.text._ZN7rocprim17ROCPRIM_400000_NS6detail17trampoline_kernelINS0_14default_configENS1_25partition_config_selectorILNS1_17partition_subalgoE0EtNS0_10empty_typeEbEEZZNS1_14partition_implILS5_0ELb0ES3_jN6thrust23THRUST_200600_302600_NS6detail15normal_iteratorINSA_10device_ptrItEEEEPS6_SG_NS0_5tupleIJSF_SF_EEENSH_IJSG_SG_EEES6_PlJ7is_evenItEEEE10hipError_tPvRmT3_T4_T5_T6_T7_T9_mT8_P12ihipStream_tbDpT10_ENKUlT_T0_E_clISt17integral_constantIbLb0EES16_EEDaS11_S12_EUlS11_E_NS1_11comp_targetILNS1_3genE10ELNS1_11target_archE1200ELNS1_3gpuE4ELNS1_3repE0EEENS1_30default_config_static_selectorELNS0_4arch9wavefront6targetE1EEEvT1_,"axG",@progbits,_ZN7rocprim17ROCPRIM_400000_NS6detail17trampoline_kernelINS0_14default_configENS1_25partition_config_selectorILNS1_17partition_subalgoE0EtNS0_10empty_typeEbEEZZNS1_14partition_implILS5_0ELb0ES3_jN6thrust23THRUST_200600_302600_NS6detail15normal_iteratorINSA_10device_ptrItEEEEPS6_SG_NS0_5tupleIJSF_SF_EEENSH_IJSG_SG_EEES6_PlJ7is_evenItEEEE10hipError_tPvRmT3_T4_T5_T6_T7_T9_mT8_P12ihipStream_tbDpT10_ENKUlT_T0_E_clISt17integral_constantIbLb0EES16_EEDaS11_S12_EUlS11_E_NS1_11comp_targetILNS1_3genE10ELNS1_11target_archE1200ELNS1_3gpuE4ELNS1_3repE0EEENS1_30default_config_static_selectorELNS0_4arch9wavefront6targetE1EEEvT1_,comdat
	.protected	_ZN7rocprim17ROCPRIM_400000_NS6detail17trampoline_kernelINS0_14default_configENS1_25partition_config_selectorILNS1_17partition_subalgoE0EtNS0_10empty_typeEbEEZZNS1_14partition_implILS5_0ELb0ES3_jN6thrust23THRUST_200600_302600_NS6detail15normal_iteratorINSA_10device_ptrItEEEEPS6_SG_NS0_5tupleIJSF_SF_EEENSH_IJSG_SG_EEES6_PlJ7is_evenItEEEE10hipError_tPvRmT3_T4_T5_T6_T7_T9_mT8_P12ihipStream_tbDpT10_ENKUlT_T0_E_clISt17integral_constantIbLb0EES16_EEDaS11_S12_EUlS11_E_NS1_11comp_targetILNS1_3genE10ELNS1_11target_archE1200ELNS1_3gpuE4ELNS1_3repE0EEENS1_30default_config_static_selectorELNS0_4arch9wavefront6targetE1EEEvT1_ ; -- Begin function _ZN7rocprim17ROCPRIM_400000_NS6detail17trampoline_kernelINS0_14default_configENS1_25partition_config_selectorILNS1_17partition_subalgoE0EtNS0_10empty_typeEbEEZZNS1_14partition_implILS5_0ELb0ES3_jN6thrust23THRUST_200600_302600_NS6detail15normal_iteratorINSA_10device_ptrItEEEEPS6_SG_NS0_5tupleIJSF_SF_EEENSH_IJSG_SG_EEES6_PlJ7is_evenItEEEE10hipError_tPvRmT3_T4_T5_T6_T7_T9_mT8_P12ihipStream_tbDpT10_ENKUlT_T0_E_clISt17integral_constantIbLb0EES16_EEDaS11_S12_EUlS11_E_NS1_11comp_targetILNS1_3genE10ELNS1_11target_archE1200ELNS1_3gpuE4ELNS1_3repE0EEENS1_30default_config_static_selectorELNS0_4arch9wavefront6targetE1EEEvT1_
	.globl	_ZN7rocprim17ROCPRIM_400000_NS6detail17trampoline_kernelINS0_14default_configENS1_25partition_config_selectorILNS1_17partition_subalgoE0EtNS0_10empty_typeEbEEZZNS1_14partition_implILS5_0ELb0ES3_jN6thrust23THRUST_200600_302600_NS6detail15normal_iteratorINSA_10device_ptrItEEEEPS6_SG_NS0_5tupleIJSF_SF_EEENSH_IJSG_SG_EEES6_PlJ7is_evenItEEEE10hipError_tPvRmT3_T4_T5_T6_T7_T9_mT8_P12ihipStream_tbDpT10_ENKUlT_T0_E_clISt17integral_constantIbLb0EES16_EEDaS11_S12_EUlS11_E_NS1_11comp_targetILNS1_3genE10ELNS1_11target_archE1200ELNS1_3gpuE4ELNS1_3repE0EEENS1_30default_config_static_selectorELNS0_4arch9wavefront6targetE1EEEvT1_
	.p2align	8
	.type	_ZN7rocprim17ROCPRIM_400000_NS6detail17trampoline_kernelINS0_14default_configENS1_25partition_config_selectorILNS1_17partition_subalgoE0EtNS0_10empty_typeEbEEZZNS1_14partition_implILS5_0ELb0ES3_jN6thrust23THRUST_200600_302600_NS6detail15normal_iteratorINSA_10device_ptrItEEEEPS6_SG_NS0_5tupleIJSF_SF_EEENSH_IJSG_SG_EEES6_PlJ7is_evenItEEEE10hipError_tPvRmT3_T4_T5_T6_T7_T9_mT8_P12ihipStream_tbDpT10_ENKUlT_T0_E_clISt17integral_constantIbLb0EES16_EEDaS11_S12_EUlS11_E_NS1_11comp_targetILNS1_3genE10ELNS1_11target_archE1200ELNS1_3gpuE4ELNS1_3repE0EEENS1_30default_config_static_selectorELNS0_4arch9wavefront6targetE1EEEvT1_,@function
_ZN7rocprim17ROCPRIM_400000_NS6detail17trampoline_kernelINS0_14default_configENS1_25partition_config_selectorILNS1_17partition_subalgoE0EtNS0_10empty_typeEbEEZZNS1_14partition_implILS5_0ELb0ES3_jN6thrust23THRUST_200600_302600_NS6detail15normal_iteratorINSA_10device_ptrItEEEEPS6_SG_NS0_5tupleIJSF_SF_EEENSH_IJSG_SG_EEES6_PlJ7is_evenItEEEE10hipError_tPvRmT3_T4_T5_T6_T7_T9_mT8_P12ihipStream_tbDpT10_ENKUlT_T0_E_clISt17integral_constantIbLb0EES16_EEDaS11_S12_EUlS11_E_NS1_11comp_targetILNS1_3genE10ELNS1_11target_archE1200ELNS1_3gpuE4ELNS1_3repE0EEENS1_30default_config_static_selectorELNS0_4arch9wavefront6targetE1EEEvT1_: ; @_ZN7rocprim17ROCPRIM_400000_NS6detail17trampoline_kernelINS0_14default_configENS1_25partition_config_selectorILNS1_17partition_subalgoE0EtNS0_10empty_typeEbEEZZNS1_14partition_implILS5_0ELb0ES3_jN6thrust23THRUST_200600_302600_NS6detail15normal_iteratorINSA_10device_ptrItEEEEPS6_SG_NS0_5tupleIJSF_SF_EEENSH_IJSG_SG_EEES6_PlJ7is_evenItEEEE10hipError_tPvRmT3_T4_T5_T6_T7_T9_mT8_P12ihipStream_tbDpT10_ENKUlT_T0_E_clISt17integral_constantIbLb0EES16_EEDaS11_S12_EUlS11_E_NS1_11comp_targetILNS1_3genE10ELNS1_11target_archE1200ELNS1_3gpuE4ELNS1_3repE0EEENS1_30default_config_static_selectorELNS0_4arch9wavefront6targetE1EEEvT1_
; %bb.0:
	.section	.rodata,"a",@progbits
	.p2align	6, 0x0
	.amdhsa_kernel _ZN7rocprim17ROCPRIM_400000_NS6detail17trampoline_kernelINS0_14default_configENS1_25partition_config_selectorILNS1_17partition_subalgoE0EtNS0_10empty_typeEbEEZZNS1_14partition_implILS5_0ELb0ES3_jN6thrust23THRUST_200600_302600_NS6detail15normal_iteratorINSA_10device_ptrItEEEEPS6_SG_NS0_5tupleIJSF_SF_EEENSH_IJSG_SG_EEES6_PlJ7is_evenItEEEE10hipError_tPvRmT3_T4_T5_T6_T7_T9_mT8_P12ihipStream_tbDpT10_ENKUlT_T0_E_clISt17integral_constantIbLb0EES16_EEDaS11_S12_EUlS11_E_NS1_11comp_targetILNS1_3genE10ELNS1_11target_archE1200ELNS1_3gpuE4ELNS1_3repE0EEENS1_30default_config_static_selectorELNS0_4arch9wavefront6targetE1EEEvT1_
		.amdhsa_group_segment_fixed_size 0
		.amdhsa_private_segment_fixed_size 0
		.amdhsa_kernarg_size 120
		.amdhsa_user_sgpr_count 2
		.amdhsa_user_sgpr_dispatch_ptr 0
		.amdhsa_user_sgpr_queue_ptr 0
		.amdhsa_user_sgpr_kernarg_segment_ptr 1
		.amdhsa_user_sgpr_dispatch_id 0
		.amdhsa_user_sgpr_kernarg_preload_length 0
		.amdhsa_user_sgpr_kernarg_preload_offset 0
		.amdhsa_user_sgpr_private_segment_size 0
		.amdhsa_uses_dynamic_stack 0
		.amdhsa_enable_private_segment 0
		.amdhsa_system_sgpr_workgroup_id_x 1
		.amdhsa_system_sgpr_workgroup_id_y 0
		.amdhsa_system_sgpr_workgroup_id_z 0
		.amdhsa_system_sgpr_workgroup_info 0
		.amdhsa_system_vgpr_workitem_id 0
		.amdhsa_next_free_vgpr 1
		.amdhsa_next_free_sgpr 0
		.amdhsa_accum_offset 4
		.amdhsa_reserve_vcc 0
		.amdhsa_float_round_mode_32 0
		.amdhsa_float_round_mode_16_64 0
		.amdhsa_float_denorm_mode_32 3
		.amdhsa_float_denorm_mode_16_64 3
		.amdhsa_dx10_clamp 1
		.amdhsa_ieee_mode 1
		.amdhsa_fp16_overflow 0
		.amdhsa_tg_split 0
		.amdhsa_exception_fp_ieee_invalid_op 0
		.amdhsa_exception_fp_denorm_src 0
		.amdhsa_exception_fp_ieee_div_zero 0
		.amdhsa_exception_fp_ieee_overflow 0
		.amdhsa_exception_fp_ieee_underflow 0
		.amdhsa_exception_fp_ieee_inexact 0
		.amdhsa_exception_int_div_zero 0
	.end_amdhsa_kernel
	.section	.text._ZN7rocprim17ROCPRIM_400000_NS6detail17trampoline_kernelINS0_14default_configENS1_25partition_config_selectorILNS1_17partition_subalgoE0EtNS0_10empty_typeEbEEZZNS1_14partition_implILS5_0ELb0ES3_jN6thrust23THRUST_200600_302600_NS6detail15normal_iteratorINSA_10device_ptrItEEEEPS6_SG_NS0_5tupleIJSF_SF_EEENSH_IJSG_SG_EEES6_PlJ7is_evenItEEEE10hipError_tPvRmT3_T4_T5_T6_T7_T9_mT8_P12ihipStream_tbDpT10_ENKUlT_T0_E_clISt17integral_constantIbLb0EES16_EEDaS11_S12_EUlS11_E_NS1_11comp_targetILNS1_3genE10ELNS1_11target_archE1200ELNS1_3gpuE4ELNS1_3repE0EEENS1_30default_config_static_selectorELNS0_4arch9wavefront6targetE1EEEvT1_,"axG",@progbits,_ZN7rocprim17ROCPRIM_400000_NS6detail17trampoline_kernelINS0_14default_configENS1_25partition_config_selectorILNS1_17partition_subalgoE0EtNS0_10empty_typeEbEEZZNS1_14partition_implILS5_0ELb0ES3_jN6thrust23THRUST_200600_302600_NS6detail15normal_iteratorINSA_10device_ptrItEEEEPS6_SG_NS0_5tupleIJSF_SF_EEENSH_IJSG_SG_EEES6_PlJ7is_evenItEEEE10hipError_tPvRmT3_T4_T5_T6_T7_T9_mT8_P12ihipStream_tbDpT10_ENKUlT_T0_E_clISt17integral_constantIbLb0EES16_EEDaS11_S12_EUlS11_E_NS1_11comp_targetILNS1_3genE10ELNS1_11target_archE1200ELNS1_3gpuE4ELNS1_3repE0EEENS1_30default_config_static_selectorELNS0_4arch9wavefront6targetE1EEEvT1_,comdat
.Lfunc_end2175:
	.size	_ZN7rocprim17ROCPRIM_400000_NS6detail17trampoline_kernelINS0_14default_configENS1_25partition_config_selectorILNS1_17partition_subalgoE0EtNS0_10empty_typeEbEEZZNS1_14partition_implILS5_0ELb0ES3_jN6thrust23THRUST_200600_302600_NS6detail15normal_iteratorINSA_10device_ptrItEEEEPS6_SG_NS0_5tupleIJSF_SF_EEENSH_IJSG_SG_EEES6_PlJ7is_evenItEEEE10hipError_tPvRmT3_T4_T5_T6_T7_T9_mT8_P12ihipStream_tbDpT10_ENKUlT_T0_E_clISt17integral_constantIbLb0EES16_EEDaS11_S12_EUlS11_E_NS1_11comp_targetILNS1_3genE10ELNS1_11target_archE1200ELNS1_3gpuE4ELNS1_3repE0EEENS1_30default_config_static_selectorELNS0_4arch9wavefront6targetE1EEEvT1_, .Lfunc_end2175-_ZN7rocprim17ROCPRIM_400000_NS6detail17trampoline_kernelINS0_14default_configENS1_25partition_config_selectorILNS1_17partition_subalgoE0EtNS0_10empty_typeEbEEZZNS1_14partition_implILS5_0ELb0ES3_jN6thrust23THRUST_200600_302600_NS6detail15normal_iteratorINSA_10device_ptrItEEEEPS6_SG_NS0_5tupleIJSF_SF_EEENSH_IJSG_SG_EEES6_PlJ7is_evenItEEEE10hipError_tPvRmT3_T4_T5_T6_T7_T9_mT8_P12ihipStream_tbDpT10_ENKUlT_T0_E_clISt17integral_constantIbLb0EES16_EEDaS11_S12_EUlS11_E_NS1_11comp_targetILNS1_3genE10ELNS1_11target_archE1200ELNS1_3gpuE4ELNS1_3repE0EEENS1_30default_config_static_selectorELNS0_4arch9wavefront6targetE1EEEvT1_
                                        ; -- End function
	.section	.AMDGPU.csdata,"",@progbits
; Kernel info:
; codeLenInByte = 0
; NumSgprs: 6
; NumVgprs: 0
; NumAgprs: 0
; TotalNumVgprs: 0
; ScratchSize: 0
; MemoryBound: 0
; FloatMode: 240
; IeeeMode: 1
; LDSByteSize: 0 bytes/workgroup (compile time only)
; SGPRBlocks: 0
; VGPRBlocks: 0
; NumSGPRsForWavesPerEU: 6
; NumVGPRsForWavesPerEU: 1
; AccumOffset: 4
; Occupancy: 8
; WaveLimiterHint : 0
; COMPUTE_PGM_RSRC2:SCRATCH_EN: 0
; COMPUTE_PGM_RSRC2:USER_SGPR: 2
; COMPUTE_PGM_RSRC2:TRAP_HANDLER: 0
; COMPUTE_PGM_RSRC2:TGID_X_EN: 1
; COMPUTE_PGM_RSRC2:TGID_Y_EN: 0
; COMPUTE_PGM_RSRC2:TGID_Z_EN: 0
; COMPUTE_PGM_RSRC2:TIDIG_COMP_CNT: 0
; COMPUTE_PGM_RSRC3_GFX90A:ACCUM_OFFSET: 0
; COMPUTE_PGM_RSRC3_GFX90A:TG_SPLIT: 0
	.section	.text._ZN7rocprim17ROCPRIM_400000_NS6detail17trampoline_kernelINS0_14default_configENS1_25partition_config_selectorILNS1_17partition_subalgoE0EtNS0_10empty_typeEbEEZZNS1_14partition_implILS5_0ELb0ES3_jN6thrust23THRUST_200600_302600_NS6detail15normal_iteratorINSA_10device_ptrItEEEEPS6_SG_NS0_5tupleIJSF_SF_EEENSH_IJSG_SG_EEES6_PlJ7is_evenItEEEE10hipError_tPvRmT3_T4_T5_T6_T7_T9_mT8_P12ihipStream_tbDpT10_ENKUlT_T0_E_clISt17integral_constantIbLb0EES16_EEDaS11_S12_EUlS11_E_NS1_11comp_targetILNS1_3genE9ELNS1_11target_archE1100ELNS1_3gpuE3ELNS1_3repE0EEENS1_30default_config_static_selectorELNS0_4arch9wavefront6targetE1EEEvT1_,"axG",@progbits,_ZN7rocprim17ROCPRIM_400000_NS6detail17trampoline_kernelINS0_14default_configENS1_25partition_config_selectorILNS1_17partition_subalgoE0EtNS0_10empty_typeEbEEZZNS1_14partition_implILS5_0ELb0ES3_jN6thrust23THRUST_200600_302600_NS6detail15normal_iteratorINSA_10device_ptrItEEEEPS6_SG_NS0_5tupleIJSF_SF_EEENSH_IJSG_SG_EEES6_PlJ7is_evenItEEEE10hipError_tPvRmT3_T4_T5_T6_T7_T9_mT8_P12ihipStream_tbDpT10_ENKUlT_T0_E_clISt17integral_constantIbLb0EES16_EEDaS11_S12_EUlS11_E_NS1_11comp_targetILNS1_3genE9ELNS1_11target_archE1100ELNS1_3gpuE3ELNS1_3repE0EEENS1_30default_config_static_selectorELNS0_4arch9wavefront6targetE1EEEvT1_,comdat
	.protected	_ZN7rocprim17ROCPRIM_400000_NS6detail17trampoline_kernelINS0_14default_configENS1_25partition_config_selectorILNS1_17partition_subalgoE0EtNS0_10empty_typeEbEEZZNS1_14partition_implILS5_0ELb0ES3_jN6thrust23THRUST_200600_302600_NS6detail15normal_iteratorINSA_10device_ptrItEEEEPS6_SG_NS0_5tupleIJSF_SF_EEENSH_IJSG_SG_EEES6_PlJ7is_evenItEEEE10hipError_tPvRmT3_T4_T5_T6_T7_T9_mT8_P12ihipStream_tbDpT10_ENKUlT_T0_E_clISt17integral_constantIbLb0EES16_EEDaS11_S12_EUlS11_E_NS1_11comp_targetILNS1_3genE9ELNS1_11target_archE1100ELNS1_3gpuE3ELNS1_3repE0EEENS1_30default_config_static_selectorELNS0_4arch9wavefront6targetE1EEEvT1_ ; -- Begin function _ZN7rocprim17ROCPRIM_400000_NS6detail17trampoline_kernelINS0_14default_configENS1_25partition_config_selectorILNS1_17partition_subalgoE0EtNS0_10empty_typeEbEEZZNS1_14partition_implILS5_0ELb0ES3_jN6thrust23THRUST_200600_302600_NS6detail15normal_iteratorINSA_10device_ptrItEEEEPS6_SG_NS0_5tupleIJSF_SF_EEENSH_IJSG_SG_EEES6_PlJ7is_evenItEEEE10hipError_tPvRmT3_T4_T5_T6_T7_T9_mT8_P12ihipStream_tbDpT10_ENKUlT_T0_E_clISt17integral_constantIbLb0EES16_EEDaS11_S12_EUlS11_E_NS1_11comp_targetILNS1_3genE9ELNS1_11target_archE1100ELNS1_3gpuE3ELNS1_3repE0EEENS1_30default_config_static_selectorELNS0_4arch9wavefront6targetE1EEEvT1_
	.globl	_ZN7rocprim17ROCPRIM_400000_NS6detail17trampoline_kernelINS0_14default_configENS1_25partition_config_selectorILNS1_17partition_subalgoE0EtNS0_10empty_typeEbEEZZNS1_14partition_implILS5_0ELb0ES3_jN6thrust23THRUST_200600_302600_NS6detail15normal_iteratorINSA_10device_ptrItEEEEPS6_SG_NS0_5tupleIJSF_SF_EEENSH_IJSG_SG_EEES6_PlJ7is_evenItEEEE10hipError_tPvRmT3_T4_T5_T6_T7_T9_mT8_P12ihipStream_tbDpT10_ENKUlT_T0_E_clISt17integral_constantIbLb0EES16_EEDaS11_S12_EUlS11_E_NS1_11comp_targetILNS1_3genE9ELNS1_11target_archE1100ELNS1_3gpuE3ELNS1_3repE0EEENS1_30default_config_static_selectorELNS0_4arch9wavefront6targetE1EEEvT1_
	.p2align	8
	.type	_ZN7rocprim17ROCPRIM_400000_NS6detail17trampoline_kernelINS0_14default_configENS1_25partition_config_selectorILNS1_17partition_subalgoE0EtNS0_10empty_typeEbEEZZNS1_14partition_implILS5_0ELb0ES3_jN6thrust23THRUST_200600_302600_NS6detail15normal_iteratorINSA_10device_ptrItEEEEPS6_SG_NS0_5tupleIJSF_SF_EEENSH_IJSG_SG_EEES6_PlJ7is_evenItEEEE10hipError_tPvRmT3_T4_T5_T6_T7_T9_mT8_P12ihipStream_tbDpT10_ENKUlT_T0_E_clISt17integral_constantIbLb0EES16_EEDaS11_S12_EUlS11_E_NS1_11comp_targetILNS1_3genE9ELNS1_11target_archE1100ELNS1_3gpuE3ELNS1_3repE0EEENS1_30default_config_static_selectorELNS0_4arch9wavefront6targetE1EEEvT1_,@function
_ZN7rocprim17ROCPRIM_400000_NS6detail17trampoline_kernelINS0_14default_configENS1_25partition_config_selectorILNS1_17partition_subalgoE0EtNS0_10empty_typeEbEEZZNS1_14partition_implILS5_0ELb0ES3_jN6thrust23THRUST_200600_302600_NS6detail15normal_iteratorINSA_10device_ptrItEEEEPS6_SG_NS0_5tupleIJSF_SF_EEENSH_IJSG_SG_EEES6_PlJ7is_evenItEEEE10hipError_tPvRmT3_T4_T5_T6_T7_T9_mT8_P12ihipStream_tbDpT10_ENKUlT_T0_E_clISt17integral_constantIbLb0EES16_EEDaS11_S12_EUlS11_E_NS1_11comp_targetILNS1_3genE9ELNS1_11target_archE1100ELNS1_3gpuE3ELNS1_3repE0EEENS1_30default_config_static_selectorELNS0_4arch9wavefront6targetE1EEEvT1_: ; @_ZN7rocprim17ROCPRIM_400000_NS6detail17trampoline_kernelINS0_14default_configENS1_25partition_config_selectorILNS1_17partition_subalgoE0EtNS0_10empty_typeEbEEZZNS1_14partition_implILS5_0ELb0ES3_jN6thrust23THRUST_200600_302600_NS6detail15normal_iteratorINSA_10device_ptrItEEEEPS6_SG_NS0_5tupleIJSF_SF_EEENSH_IJSG_SG_EEES6_PlJ7is_evenItEEEE10hipError_tPvRmT3_T4_T5_T6_T7_T9_mT8_P12ihipStream_tbDpT10_ENKUlT_T0_E_clISt17integral_constantIbLb0EES16_EEDaS11_S12_EUlS11_E_NS1_11comp_targetILNS1_3genE9ELNS1_11target_archE1100ELNS1_3gpuE3ELNS1_3repE0EEENS1_30default_config_static_selectorELNS0_4arch9wavefront6targetE1EEEvT1_
; %bb.0:
	.section	.rodata,"a",@progbits
	.p2align	6, 0x0
	.amdhsa_kernel _ZN7rocprim17ROCPRIM_400000_NS6detail17trampoline_kernelINS0_14default_configENS1_25partition_config_selectorILNS1_17partition_subalgoE0EtNS0_10empty_typeEbEEZZNS1_14partition_implILS5_0ELb0ES3_jN6thrust23THRUST_200600_302600_NS6detail15normal_iteratorINSA_10device_ptrItEEEEPS6_SG_NS0_5tupleIJSF_SF_EEENSH_IJSG_SG_EEES6_PlJ7is_evenItEEEE10hipError_tPvRmT3_T4_T5_T6_T7_T9_mT8_P12ihipStream_tbDpT10_ENKUlT_T0_E_clISt17integral_constantIbLb0EES16_EEDaS11_S12_EUlS11_E_NS1_11comp_targetILNS1_3genE9ELNS1_11target_archE1100ELNS1_3gpuE3ELNS1_3repE0EEENS1_30default_config_static_selectorELNS0_4arch9wavefront6targetE1EEEvT1_
		.amdhsa_group_segment_fixed_size 0
		.amdhsa_private_segment_fixed_size 0
		.amdhsa_kernarg_size 120
		.amdhsa_user_sgpr_count 2
		.amdhsa_user_sgpr_dispatch_ptr 0
		.amdhsa_user_sgpr_queue_ptr 0
		.amdhsa_user_sgpr_kernarg_segment_ptr 1
		.amdhsa_user_sgpr_dispatch_id 0
		.amdhsa_user_sgpr_kernarg_preload_length 0
		.amdhsa_user_sgpr_kernarg_preload_offset 0
		.amdhsa_user_sgpr_private_segment_size 0
		.amdhsa_uses_dynamic_stack 0
		.amdhsa_enable_private_segment 0
		.amdhsa_system_sgpr_workgroup_id_x 1
		.amdhsa_system_sgpr_workgroup_id_y 0
		.amdhsa_system_sgpr_workgroup_id_z 0
		.amdhsa_system_sgpr_workgroup_info 0
		.amdhsa_system_vgpr_workitem_id 0
		.amdhsa_next_free_vgpr 1
		.amdhsa_next_free_sgpr 0
		.amdhsa_accum_offset 4
		.amdhsa_reserve_vcc 0
		.amdhsa_float_round_mode_32 0
		.amdhsa_float_round_mode_16_64 0
		.amdhsa_float_denorm_mode_32 3
		.amdhsa_float_denorm_mode_16_64 3
		.amdhsa_dx10_clamp 1
		.amdhsa_ieee_mode 1
		.amdhsa_fp16_overflow 0
		.amdhsa_tg_split 0
		.amdhsa_exception_fp_ieee_invalid_op 0
		.amdhsa_exception_fp_denorm_src 0
		.amdhsa_exception_fp_ieee_div_zero 0
		.amdhsa_exception_fp_ieee_overflow 0
		.amdhsa_exception_fp_ieee_underflow 0
		.amdhsa_exception_fp_ieee_inexact 0
		.amdhsa_exception_int_div_zero 0
	.end_amdhsa_kernel
	.section	.text._ZN7rocprim17ROCPRIM_400000_NS6detail17trampoline_kernelINS0_14default_configENS1_25partition_config_selectorILNS1_17partition_subalgoE0EtNS0_10empty_typeEbEEZZNS1_14partition_implILS5_0ELb0ES3_jN6thrust23THRUST_200600_302600_NS6detail15normal_iteratorINSA_10device_ptrItEEEEPS6_SG_NS0_5tupleIJSF_SF_EEENSH_IJSG_SG_EEES6_PlJ7is_evenItEEEE10hipError_tPvRmT3_T4_T5_T6_T7_T9_mT8_P12ihipStream_tbDpT10_ENKUlT_T0_E_clISt17integral_constantIbLb0EES16_EEDaS11_S12_EUlS11_E_NS1_11comp_targetILNS1_3genE9ELNS1_11target_archE1100ELNS1_3gpuE3ELNS1_3repE0EEENS1_30default_config_static_selectorELNS0_4arch9wavefront6targetE1EEEvT1_,"axG",@progbits,_ZN7rocprim17ROCPRIM_400000_NS6detail17trampoline_kernelINS0_14default_configENS1_25partition_config_selectorILNS1_17partition_subalgoE0EtNS0_10empty_typeEbEEZZNS1_14partition_implILS5_0ELb0ES3_jN6thrust23THRUST_200600_302600_NS6detail15normal_iteratorINSA_10device_ptrItEEEEPS6_SG_NS0_5tupleIJSF_SF_EEENSH_IJSG_SG_EEES6_PlJ7is_evenItEEEE10hipError_tPvRmT3_T4_T5_T6_T7_T9_mT8_P12ihipStream_tbDpT10_ENKUlT_T0_E_clISt17integral_constantIbLb0EES16_EEDaS11_S12_EUlS11_E_NS1_11comp_targetILNS1_3genE9ELNS1_11target_archE1100ELNS1_3gpuE3ELNS1_3repE0EEENS1_30default_config_static_selectorELNS0_4arch9wavefront6targetE1EEEvT1_,comdat
.Lfunc_end2176:
	.size	_ZN7rocprim17ROCPRIM_400000_NS6detail17trampoline_kernelINS0_14default_configENS1_25partition_config_selectorILNS1_17partition_subalgoE0EtNS0_10empty_typeEbEEZZNS1_14partition_implILS5_0ELb0ES3_jN6thrust23THRUST_200600_302600_NS6detail15normal_iteratorINSA_10device_ptrItEEEEPS6_SG_NS0_5tupleIJSF_SF_EEENSH_IJSG_SG_EEES6_PlJ7is_evenItEEEE10hipError_tPvRmT3_T4_T5_T6_T7_T9_mT8_P12ihipStream_tbDpT10_ENKUlT_T0_E_clISt17integral_constantIbLb0EES16_EEDaS11_S12_EUlS11_E_NS1_11comp_targetILNS1_3genE9ELNS1_11target_archE1100ELNS1_3gpuE3ELNS1_3repE0EEENS1_30default_config_static_selectorELNS0_4arch9wavefront6targetE1EEEvT1_, .Lfunc_end2176-_ZN7rocprim17ROCPRIM_400000_NS6detail17trampoline_kernelINS0_14default_configENS1_25partition_config_selectorILNS1_17partition_subalgoE0EtNS0_10empty_typeEbEEZZNS1_14partition_implILS5_0ELb0ES3_jN6thrust23THRUST_200600_302600_NS6detail15normal_iteratorINSA_10device_ptrItEEEEPS6_SG_NS0_5tupleIJSF_SF_EEENSH_IJSG_SG_EEES6_PlJ7is_evenItEEEE10hipError_tPvRmT3_T4_T5_T6_T7_T9_mT8_P12ihipStream_tbDpT10_ENKUlT_T0_E_clISt17integral_constantIbLb0EES16_EEDaS11_S12_EUlS11_E_NS1_11comp_targetILNS1_3genE9ELNS1_11target_archE1100ELNS1_3gpuE3ELNS1_3repE0EEENS1_30default_config_static_selectorELNS0_4arch9wavefront6targetE1EEEvT1_
                                        ; -- End function
	.section	.AMDGPU.csdata,"",@progbits
; Kernel info:
; codeLenInByte = 0
; NumSgprs: 6
; NumVgprs: 0
; NumAgprs: 0
; TotalNumVgprs: 0
; ScratchSize: 0
; MemoryBound: 0
; FloatMode: 240
; IeeeMode: 1
; LDSByteSize: 0 bytes/workgroup (compile time only)
; SGPRBlocks: 0
; VGPRBlocks: 0
; NumSGPRsForWavesPerEU: 6
; NumVGPRsForWavesPerEU: 1
; AccumOffset: 4
; Occupancy: 8
; WaveLimiterHint : 0
; COMPUTE_PGM_RSRC2:SCRATCH_EN: 0
; COMPUTE_PGM_RSRC2:USER_SGPR: 2
; COMPUTE_PGM_RSRC2:TRAP_HANDLER: 0
; COMPUTE_PGM_RSRC2:TGID_X_EN: 1
; COMPUTE_PGM_RSRC2:TGID_Y_EN: 0
; COMPUTE_PGM_RSRC2:TGID_Z_EN: 0
; COMPUTE_PGM_RSRC2:TIDIG_COMP_CNT: 0
; COMPUTE_PGM_RSRC3_GFX90A:ACCUM_OFFSET: 0
; COMPUTE_PGM_RSRC3_GFX90A:TG_SPLIT: 0
	.section	.text._ZN7rocprim17ROCPRIM_400000_NS6detail17trampoline_kernelINS0_14default_configENS1_25partition_config_selectorILNS1_17partition_subalgoE0EtNS0_10empty_typeEbEEZZNS1_14partition_implILS5_0ELb0ES3_jN6thrust23THRUST_200600_302600_NS6detail15normal_iteratorINSA_10device_ptrItEEEEPS6_SG_NS0_5tupleIJSF_SF_EEENSH_IJSG_SG_EEES6_PlJ7is_evenItEEEE10hipError_tPvRmT3_T4_T5_T6_T7_T9_mT8_P12ihipStream_tbDpT10_ENKUlT_T0_E_clISt17integral_constantIbLb0EES16_EEDaS11_S12_EUlS11_E_NS1_11comp_targetILNS1_3genE8ELNS1_11target_archE1030ELNS1_3gpuE2ELNS1_3repE0EEENS1_30default_config_static_selectorELNS0_4arch9wavefront6targetE1EEEvT1_,"axG",@progbits,_ZN7rocprim17ROCPRIM_400000_NS6detail17trampoline_kernelINS0_14default_configENS1_25partition_config_selectorILNS1_17partition_subalgoE0EtNS0_10empty_typeEbEEZZNS1_14partition_implILS5_0ELb0ES3_jN6thrust23THRUST_200600_302600_NS6detail15normal_iteratorINSA_10device_ptrItEEEEPS6_SG_NS0_5tupleIJSF_SF_EEENSH_IJSG_SG_EEES6_PlJ7is_evenItEEEE10hipError_tPvRmT3_T4_T5_T6_T7_T9_mT8_P12ihipStream_tbDpT10_ENKUlT_T0_E_clISt17integral_constantIbLb0EES16_EEDaS11_S12_EUlS11_E_NS1_11comp_targetILNS1_3genE8ELNS1_11target_archE1030ELNS1_3gpuE2ELNS1_3repE0EEENS1_30default_config_static_selectorELNS0_4arch9wavefront6targetE1EEEvT1_,comdat
	.protected	_ZN7rocprim17ROCPRIM_400000_NS6detail17trampoline_kernelINS0_14default_configENS1_25partition_config_selectorILNS1_17partition_subalgoE0EtNS0_10empty_typeEbEEZZNS1_14partition_implILS5_0ELb0ES3_jN6thrust23THRUST_200600_302600_NS6detail15normal_iteratorINSA_10device_ptrItEEEEPS6_SG_NS0_5tupleIJSF_SF_EEENSH_IJSG_SG_EEES6_PlJ7is_evenItEEEE10hipError_tPvRmT3_T4_T5_T6_T7_T9_mT8_P12ihipStream_tbDpT10_ENKUlT_T0_E_clISt17integral_constantIbLb0EES16_EEDaS11_S12_EUlS11_E_NS1_11comp_targetILNS1_3genE8ELNS1_11target_archE1030ELNS1_3gpuE2ELNS1_3repE0EEENS1_30default_config_static_selectorELNS0_4arch9wavefront6targetE1EEEvT1_ ; -- Begin function _ZN7rocprim17ROCPRIM_400000_NS6detail17trampoline_kernelINS0_14default_configENS1_25partition_config_selectorILNS1_17partition_subalgoE0EtNS0_10empty_typeEbEEZZNS1_14partition_implILS5_0ELb0ES3_jN6thrust23THRUST_200600_302600_NS6detail15normal_iteratorINSA_10device_ptrItEEEEPS6_SG_NS0_5tupleIJSF_SF_EEENSH_IJSG_SG_EEES6_PlJ7is_evenItEEEE10hipError_tPvRmT3_T4_T5_T6_T7_T9_mT8_P12ihipStream_tbDpT10_ENKUlT_T0_E_clISt17integral_constantIbLb0EES16_EEDaS11_S12_EUlS11_E_NS1_11comp_targetILNS1_3genE8ELNS1_11target_archE1030ELNS1_3gpuE2ELNS1_3repE0EEENS1_30default_config_static_selectorELNS0_4arch9wavefront6targetE1EEEvT1_
	.globl	_ZN7rocprim17ROCPRIM_400000_NS6detail17trampoline_kernelINS0_14default_configENS1_25partition_config_selectorILNS1_17partition_subalgoE0EtNS0_10empty_typeEbEEZZNS1_14partition_implILS5_0ELb0ES3_jN6thrust23THRUST_200600_302600_NS6detail15normal_iteratorINSA_10device_ptrItEEEEPS6_SG_NS0_5tupleIJSF_SF_EEENSH_IJSG_SG_EEES6_PlJ7is_evenItEEEE10hipError_tPvRmT3_T4_T5_T6_T7_T9_mT8_P12ihipStream_tbDpT10_ENKUlT_T0_E_clISt17integral_constantIbLb0EES16_EEDaS11_S12_EUlS11_E_NS1_11comp_targetILNS1_3genE8ELNS1_11target_archE1030ELNS1_3gpuE2ELNS1_3repE0EEENS1_30default_config_static_selectorELNS0_4arch9wavefront6targetE1EEEvT1_
	.p2align	8
	.type	_ZN7rocprim17ROCPRIM_400000_NS6detail17trampoline_kernelINS0_14default_configENS1_25partition_config_selectorILNS1_17partition_subalgoE0EtNS0_10empty_typeEbEEZZNS1_14partition_implILS5_0ELb0ES3_jN6thrust23THRUST_200600_302600_NS6detail15normal_iteratorINSA_10device_ptrItEEEEPS6_SG_NS0_5tupleIJSF_SF_EEENSH_IJSG_SG_EEES6_PlJ7is_evenItEEEE10hipError_tPvRmT3_T4_T5_T6_T7_T9_mT8_P12ihipStream_tbDpT10_ENKUlT_T0_E_clISt17integral_constantIbLb0EES16_EEDaS11_S12_EUlS11_E_NS1_11comp_targetILNS1_3genE8ELNS1_11target_archE1030ELNS1_3gpuE2ELNS1_3repE0EEENS1_30default_config_static_selectorELNS0_4arch9wavefront6targetE1EEEvT1_,@function
_ZN7rocprim17ROCPRIM_400000_NS6detail17trampoline_kernelINS0_14default_configENS1_25partition_config_selectorILNS1_17partition_subalgoE0EtNS0_10empty_typeEbEEZZNS1_14partition_implILS5_0ELb0ES3_jN6thrust23THRUST_200600_302600_NS6detail15normal_iteratorINSA_10device_ptrItEEEEPS6_SG_NS0_5tupleIJSF_SF_EEENSH_IJSG_SG_EEES6_PlJ7is_evenItEEEE10hipError_tPvRmT3_T4_T5_T6_T7_T9_mT8_P12ihipStream_tbDpT10_ENKUlT_T0_E_clISt17integral_constantIbLb0EES16_EEDaS11_S12_EUlS11_E_NS1_11comp_targetILNS1_3genE8ELNS1_11target_archE1030ELNS1_3gpuE2ELNS1_3repE0EEENS1_30default_config_static_selectorELNS0_4arch9wavefront6targetE1EEEvT1_: ; @_ZN7rocprim17ROCPRIM_400000_NS6detail17trampoline_kernelINS0_14default_configENS1_25partition_config_selectorILNS1_17partition_subalgoE0EtNS0_10empty_typeEbEEZZNS1_14partition_implILS5_0ELb0ES3_jN6thrust23THRUST_200600_302600_NS6detail15normal_iteratorINSA_10device_ptrItEEEEPS6_SG_NS0_5tupleIJSF_SF_EEENSH_IJSG_SG_EEES6_PlJ7is_evenItEEEE10hipError_tPvRmT3_T4_T5_T6_T7_T9_mT8_P12ihipStream_tbDpT10_ENKUlT_T0_E_clISt17integral_constantIbLb0EES16_EEDaS11_S12_EUlS11_E_NS1_11comp_targetILNS1_3genE8ELNS1_11target_archE1030ELNS1_3gpuE2ELNS1_3repE0EEENS1_30default_config_static_selectorELNS0_4arch9wavefront6targetE1EEEvT1_
; %bb.0:
	.section	.rodata,"a",@progbits
	.p2align	6, 0x0
	.amdhsa_kernel _ZN7rocprim17ROCPRIM_400000_NS6detail17trampoline_kernelINS0_14default_configENS1_25partition_config_selectorILNS1_17partition_subalgoE0EtNS0_10empty_typeEbEEZZNS1_14partition_implILS5_0ELb0ES3_jN6thrust23THRUST_200600_302600_NS6detail15normal_iteratorINSA_10device_ptrItEEEEPS6_SG_NS0_5tupleIJSF_SF_EEENSH_IJSG_SG_EEES6_PlJ7is_evenItEEEE10hipError_tPvRmT3_T4_T5_T6_T7_T9_mT8_P12ihipStream_tbDpT10_ENKUlT_T0_E_clISt17integral_constantIbLb0EES16_EEDaS11_S12_EUlS11_E_NS1_11comp_targetILNS1_3genE8ELNS1_11target_archE1030ELNS1_3gpuE2ELNS1_3repE0EEENS1_30default_config_static_selectorELNS0_4arch9wavefront6targetE1EEEvT1_
		.amdhsa_group_segment_fixed_size 0
		.amdhsa_private_segment_fixed_size 0
		.amdhsa_kernarg_size 120
		.amdhsa_user_sgpr_count 2
		.amdhsa_user_sgpr_dispatch_ptr 0
		.amdhsa_user_sgpr_queue_ptr 0
		.amdhsa_user_sgpr_kernarg_segment_ptr 1
		.amdhsa_user_sgpr_dispatch_id 0
		.amdhsa_user_sgpr_kernarg_preload_length 0
		.amdhsa_user_sgpr_kernarg_preload_offset 0
		.amdhsa_user_sgpr_private_segment_size 0
		.amdhsa_uses_dynamic_stack 0
		.amdhsa_enable_private_segment 0
		.amdhsa_system_sgpr_workgroup_id_x 1
		.amdhsa_system_sgpr_workgroup_id_y 0
		.amdhsa_system_sgpr_workgroup_id_z 0
		.amdhsa_system_sgpr_workgroup_info 0
		.amdhsa_system_vgpr_workitem_id 0
		.amdhsa_next_free_vgpr 1
		.amdhsa_next_free_sgpr 0
		.amdhsa_accum_offset 4
		.amdhsa_reserve_vcc 0
		.amdhsa_float_round_mode_32 0
		.amdhsa_float_round_mode_16_64 0
		.amdhsa_float_denorm_mode_32 3
		.amdhsa_float_denorm_mode_16_64 3
		.amdhsa_dx10_clamp 1
		.amdhsa_ieee_mode 1
		.amdhsa_fp16_overflow 0
		.amdhsa_tg_split 0
		.amdhsa_exception_fp_ieee_invalid_op 0
		.amdhsa_exception_fp_denorm_src 0
		.amdhsa_exception_fp_ieee_div_zero 0
		.amdhsa_exception_fp_ieee_overflow 0
		.amdhsa_exception_fp_ieee_underflow 0
		.amdhsa_exception_fp_ieee_inexact 0
		.amdhsa_exception_int_div_zero 0
	.end_amdhsa_kernel
	.section	.text._ZN7rocprim17ROCPRIM_400000_NS6detail17trampoline_kernelINS0_14default_configENS1_25partition_config_selectorILNS1_17partition_subalgoE0EtNS0_10empty_typeEbEEZZNS1_14partition_implILS5_0ELb0ES3_jN6thrust23THRUST_200600_302600_NS6detail15normal_iteratorINSA_10device_ptrItEEEEPS6_SG_NS0_5tupleIJSF_SF_EEENSH_IJSG_SG_EEES6_PlJ7is_evenItEEEE10hipError_tPvRmT3_T4_T5_T6_T7_T9_mT8_P12ihipStream_tbDpT10_ENKUlT_T0_E_clISt17integral_constantIbLb0EES16_EEDaS11_S12_EUlS11_E_NS1_11comp_targetILNS1_3genE8ELNS1_11target_archE1030ELNS1_3gpuE2ELNS1_3repE0EEENS1_30default_config_static_selectorELNS0_4arch9wavefront6targetE1EEEvT1_,"axG",@progbits,_ZN7rocprim17ROCPRIM_400000_NS6detail17trampoline_kernelINS0_14default_configENS1_25partition_config_selectorILNS1_17partition_subalgoE0EtNS0_10empty_typeEbEEZZNS1_14partition_implILS5_0ELb0ES3_jN6thrust23THRUST_200600_302600_NS6detail15normal_iteratorINSA_10device_ptrItEEEEPS6_SG_NS0_5tupleIJSF_SF_EEENSH_IJSG_SG_EEES6_PlJ7is_evenItEEEE10hipError_tPvRmT3_T4_T5_T6_T7_T9_mT8_P12ihipStream_tbDpT10_ENKUlT_T0_E_clISt17integral_constantIbLb0EES16_EEDaS11_S12_EUlS11_E_NS1_11comp_targetILNS1_3genE8ELNS1_11target_archE1030ELNS1_3gpuE2ELNS1_3repE0EEENS1_30default_config_static_selectorELNS0_4arch9wavefront6targetE1EEEvT1_,comdat
.Lfunc_end2177:
	.size	_ZN7rocprim17ROCPRIM_400000_NS6detail17trampoline_kernelINS0_14default_configENS1_25partition_config_selectorILNS1_17partition_subalgoE0EtNS0_10empty_typeEbEEZZNS1_14partition_implILS5_0ELb0ES3_jN6thrust23THRUST_200600_302600_NS6detail15normal_iteratorINSA_10device_ptrItEEEEPS6_SG_NS0_5tupleIJSF_SF_EEENSH_IJSG_SG_EEES6_PlJ7is_evenItEEEE10hipError_tPvRmT3_T4_T5_T6_T7_T9_mT8_P12ihipStream_tbDpT10_ENKUlT_T0_E_clISt17integral_constantIbLb0EES16_EEDaS11_S12_EUlS11_E_NS1_11comp_targetILNS1_3genE8ELNS1_11target_archE1030ELNS1_3gpuE2ELNS1_3repE0EEENS1_30default_config_static_selectorELNS0_4arch9wavefront6targetE1EEEvT1_, .Lfunc_end2177-_ZN7rocprim17ROCPRIM_400000_NS6detail17trampoline_kernelINS0_14default_configENS1_25partition_config_selectorILNS1_17partition_subalgoE0EtNS0_10empty_typeEbEEZZNS1_14partition_implILS5_0ELb0ES3_jN6thrust23THRUST_200600_302600_NS6detail15normal_iteratorINSA_10device_ptrItEEEEPS6_SG_NS0_5tupleIJSF_SF_EEENSH_IJSG_SG_EEES6_PlJ7is_evenItEEEE10hipError_tPvRmT3_T4_T5_T6_T7_T9_mT8_P12ihipStream_tbDpT10_ENKUlT_T0_E_clISt17integral_constantIbLb0EES16_EEDaS11_S12_EUlS11_E_NS1_11comp_targetILNS1_3genE8ELNS1_11target_archE1030ELNS1_3gpuE2ELNS1_3repE0EEENS1_30default_config_static_selectorELNS0_4arch9wavefront6targetE1EEEvT1_
                                        ; -- End function
	.section	.AMDGPU.csdata,"",@progbits
; Kernel info:
; codeLenInByte = 0
; NumSgprs: 6
; NumVgprs: 0
; NumAgprs: 0
; TotalNumVgprs: 0
; ScratchSize: 0
; MemoryBound: 0
; FloatMode: 240
; IeeeMode: 1
; LDSByteSize: 0 bytes/workgroup (compile time only)
; SGPRBlocks: 0
; VGPRBlocks: 0
; NumSGPRsForWavesPerEU: 6
; NumVGPRsForWavesPerEU: 1
; AccumOffset: 4
; Occupancy: 8
; WaveLimiterHint : 0
; COMPUTE_PGM_RSRC2:SCRATCH_EN: 0
; COMPUTE_PGM_RSRC2:USER_SGPR: 2
; COMPUTE_PGM_RSRC2:TRAP_HANDLER: 0
; COMPUTE_PGM_RSRC2:TGID_X_EN: 1
; COMPUTE_PGM_RSRC2:TGID_Y_EN: 0
; COMPUTE_PGM_RSRC2:TGID_Z_EN: 0
; COMPUTE_PGM_RSRC2:TIDIG_COMP_CNT: 0
; COMPUTE_PGM_RSRC3_GFX90A:ACCUM_OFFSET: 0
; COMPUTE_PGM_RSRC3_GFX90A:TG_SPLIT: 0
	.section	.text._ZN7rocprim17ROCPRIM_400000_NS6detail17trampoline_kernelINS0_14default_configENS1_25partition_config_selectorILNS1_17partition_subalgoE0EtNS0_10empty_typeEbEEZZNS1_14partition_implILS5_0ELb0ES3_jN6thrust23THRUST_200600_302600_NS6detail15normal_iteratorINSA_10device_ptrItEEEEPS6_SG_NS0_5tupleIJSF_SF_EEENSH_IJSG_SG_EEES6_PlJ7is_evenItEEEE10hipError_tPvRmT3_T4_T5_T6_T7_T9_mT8_P12ihipStream_tbDpT10_ENKUlT_T0_E_clISt17integral_constantIbLb1EES16_EEDaS11_S12_EUlS11_E_NS1_11comp_targetILNS1_3genE0ELNS1_11target_archE4294967295ELNS1_3gpuE0ELNS1_3repE0EEENS1_30default_config_static_selectorELNS0_4arch9wavefront6targetE1EEEvT1_,"axG",@progbits,_ZN7rocprim17ROCPRIM_400000_NS6detail17trampoline_kernelINS0_14default_configENS1_25partition_config_selectorILNS1_17partition_subalgoE0EtNS0_10empty_typeEbEEZZNS1_14partition_implILS5_0ELb0ES3_jN6thrust23THRUST_200600_302600_NS6detail15normal_iteratorINSA_10device_ptrItEEEEPS6_SG_NS0_5tupleIJSF_SF_EEENSH_IJSG_SG_EEES6_PlJ7is_evenItEEEE10hipError_tPvRmT3_T4_T5_T6_T7_T9_mT8_P12ihipStream_tbDpT10_ENKUlT_T0_E_clISt17integral_constantIbLb1EES16_EEDaS11_S12_EUlS11_E_NS1_11comp_targetILNS1_3genE0ELNS1_11target_archE4294967295ELNS1_3gpuE0ELNS1_3repE0EEENS1_30default_config_static_selectorELNS0_4arch9wavefront6targetE1EEEvT1_,comdat
	.protected	_ZN7rocprim17ROCPRIM_400000_NS6detail17trampoline_kernelINS0_14default_configENS1_25partition_config_selectorILNS1_17partition_subalgoE0EtNS0_10empty_typeEbEEZZNS1_14partition_implILS5_0ELb0ES3_jN6thrust23THRUST_200600_302600_NS6detail15normal_iteratorINSA_10device_ptrItEEEEPS6_SG_NS0_5tupleIJSF_SF_EEENSH_IJSG_SG_EEES6_PlJ7is_evenItEEEE10hipError_tPvRmT3_T4_T5_T6_T7_T9_mT8_P12ihipStream_tbDpT10_ENKUlT_T0_E_clISt17integral_constantIbLb1EES16_EEDaS11_S12_EUlS11_E_NS1_11comp_targetILNS1_3genE0ELNS1_11target_archE4294967295ELNS1_3gpuE0ELNS1_3repE0EEENS1_30default_config_static_selectorELNS0_4arch9wavefront6targetE1EEEvT1_ ; -- Begin function _ZN7rocprim17ROCPRIM_400000_NS6detail17trampoline_kernelINS0_14default_configENS1_25partition_config_selectorILNS1_17partition_subalgoE0EtNS0_10empty_typeEbEEZZNS1_14partition_implILS5_0ELb0ES3_jN6thrust23THRUST_200600_302600_NS6detail15normal_iteratorINSA_10device_ptrItEEEEPS6_SG_NS0_5tupleIJSF_SF_EEENSH_IJSG_SG_EEES6_PlJ7is_evenItEEEE10hipError_tPvRmT3_T4_T5_T6_T7_T9_mT8_P12ihipStream_tbDpT10_ENKUlT_T0_E_clISt17integral_constantIbLb1EES16_EEDaS11_S12_EUlS11_E_NS1_11comp_targetILNS1_3genE0ELNS1_11target_archE4294967295ELNS1_3gpuE0ELNS1_3repE0EEENS1_30default_config_static_selectorELNS0_4arch9wavefront6targetE1EEEvT1_
	.globl	_ZN7rocprim17ROCPRIM_400000_NS6detail17trampoline_kernelINS0_14default_configENS1_25partition_config_selectorILNS1_17partition_subalgoE0EtNS0_10empty_typeEbEEZZNS1_14partition_implILS5_0ELb0ES3_jN6thrust23THRUST_200600_302600_NS6detail15normal_iteratorINSA_10device_ptrItEEEEPS6_SG_NS0_5tupleIJSF_SF_EEENSH_IJSG_SG_EEES6_PlJ7is_evenItEEEE10hipError_tPvRmT3_T4_T5_T6_T7_T9_mT8_P12ihipStream_tbDpT10_ENKUlT_T0_E_clISt17integral_constantIbLb1EES16_EEDaS11_S12_EUlS11_E_NS1_11comp_targetILNS1_3genE0ELNS1_11target_archE4294967295ELNS1_3gpuE0ELNS1_3repE0EEENS1_30default_config_static_selectorELNS0_4arch9wavefront6targetE1EEEvT1_
	.p2align	8
	.type	_ZN7rocprim17ROCPRIM_400000_NS6detail17trampoline_kernelINS0_14default_configENS1_25partition_config_selectorILNS1_17partition_subalgoE0EtNS0_10empty_typeEbEEZZNS1_14partition_implILS5_0ELb0ES3_jN6thrust23THRUST_200600_302600_NS6detail15normal_iteratorINSA_10device_ptrItEEEEPS6_SG_NS0_5tupleIJSF_SF_EEENSH_IJSG_SG_EEES6_PlJ7is_evenItEEEE10hipError_tPvRmT3_T4_T5_T6_T7_T9_mT8_P12ihipStream_tbDpT10_ENKUlT_T0_E_clISt17integral_constantIbLb1EES16_EEDaS11_S12_EUlS11_E_NS1_11comp_targetILNS1_3genE0ELNS1_11target_archE4294967295ELNS1_3gpuE0ELNS1_3repE0EEENS1_30default_config_static_selectorELNS0_4arch9wavefront6targetE1EEEvT1_,@function
_ZN7rocprim17ROCPRIM_400000_NS6detail17trampoline_kernelINS0_14default_configENS1_25partition_config_selectorILNS1_17partition_subalgoE0EtNS0_10empty_typeEbEEZZNS1_14partition_implILS5_0ELb0ES3_jN6thrust23THRUST_200600_302600_NS6detail15normal_iteratorINSA_10device_ptrItEEEEPS6_SG_NS0_5tupleIJSF_SF_EEENSH_IJSG_SG_EEES6_PlJ7is_evenItEEEE10hipError_tPvRmT3_T4_T5_T6_T7_T9_mT8_P12ihipStream_tbDpT10_ENKUlT_T0_E_clISt17integral_constantIbLb1EES16_EEDaS11_S12_EUlS11_E_NS1_11comp_targetILNS1_3genE0ELNS1_11target_archE4294967295ELNS1_3gpuE0ELNS1_3repE0EEENS1_30default_config_static_selectorELNS0_4arch9wavefront6targetE1EEEvT1_: ; @_ZN7rocprim17ROCPRIM_400000_NS6detail17trampoline_kernelINS0_14default_configENS1_25partition_config_selectorILNS1_17partition_subalgoE0EtNS0_10empty_typeEbEEZZNS1_14partition_implILS5_0ELb0ES3_jN6thrust23THRUST_200600_302600_NS6detail15normal_iteratorINSA_10device_ptrItEEEEPS6_SG_NS0_5tupleIJSF_SF_EEENSH_IJSG_SG_EEES6_PlJ7is_evenItEEEE10hipError_tPvRmT3_T4_T5_T6_T7_T9_mT8_P12ihipStream_tbDpT10_ENKUlT_T0_E_clISt17integral_constantIbLb1EES16_EEDaS11_S12_EUlS11_E_NS1_11comp_targetILNS1_3genE0ELNS1_11target_archE4294967295ELNS1_3gpuE0ELNS1_3repE0EEENS1_30default_config_static_selectorELNS0_4arch9wavefront6targetE1EEEvT1_
; %bb.0:
	.section	.rodata,"a",@progbits
	.p2align	6, 0x0
	.amdhsa_kernel _ZN7rocprim17ROCPRIM_400000_NS6detail17trampoline_kernelINS0_14default_configENS1_25partition_config_selectorILNS1_17partition_subalgoE0EtNS0_10empty_typeEbEEZZNS1_14partition_implILS5_0ELb0ES3_jN6thrust23THRUST_200600_302600_NS6detail15normal_iteratorINSA_10device_ptrItEEEEPS6_SG_NS0_5tupleIJSF_SF_EEENSH_IJSG_SG_EEES6_PlJ7is_evenItEEEE10hipError_tPvRmT3_T4_T5_T6_T7_T9_mT8_P12ihipStream_tbDpT10_ENKUlT_T0_E_clISt17integral_constantIbLb1EES16_EEDaS11_S12_EUlS11_E_NS1_11comp_targetILNS1_3genE0ELNS1_11target_archE4294967295ELNS1_3gpuE0ELNS1_3repE0EEENS1_30default_config_static_selectorELNS0_4arch9wavefront6targetE1EEEvT1_
		.amdhsa_group_segment_fixed_size 0
		.amdhsa_private_segment_fixed_size 0
		.amdhsa_kernarg_size 136
		.amdhsa_user_sgpr_count 2
		.amdhsa_user_sgpr_dispatch_ptr 0
		.amdhsa_user_sgpr_queue_ptr 0
		.amdhsa_user_sgpr_kernarg_segment_ptr 1
		.amdhsa_user_sgpr_dispatch_id 0
		.amdhsa_user_sgpr_kernarg_preload_length 0
		.amdhsa_user_sgpr_kernarg_preload_offset 0
		.amdhsa_user_sgpr_private_segment_size 0
		.amdhsa_uses_dynamic_stack 0
		.amdhsa_enable_private_segment 0
		.amdhsa_system_sgpr_workgroup_id_x 1
		.amdhsa_system_sgpr_workgroup_id_y 0
		.amdhsa_system_sgpr_workgroup_id_z 0
		.amdhsa_system_sgpr_workgroup_info 0
		.amdhsa_system_vgpr_workitem_id 0
		.amdhsa_next_free_vgpr 1
		.amdhsa_next_free_sgpr 0
		.amdhsa_accum_offset 4
		.amdhsa_reserve_vcc 0
		.amdhsa_float_round_mode_32 0
		.amdhsa_float_round_mode_16_64 0
		.amdhsa_float_denorm_mode_32 3
		.amdhsa_float_denorm_mode_16_64 3
		.amdhsa_dx10_clamp 1
		.amdhsa_ieee_mode 1
		.amdhsa_fp16_overflow 0
		.amdhsa_tg_split 0
		.amdhsa_exception_fp_ieee_invalid_op 0
		.amdhsa_exception_fp_denorm_src 0
		.amdhsa_exception_fp_ieee_div_zero 0
		.amdhsa_exception_fp_ieee_overflow 0
		.amdhsa_exception_fp_ieee_underflow 0
		.amdhsa_exception_fp_ieee_inexact 0
		.amdhsa_exception_int_div_zero 0
	.end_amdhsa_kernel
	.section	.text._ZN7rocprim17ROCPRIM_400000_NS6detail17trampoline_kernelINS0_14default_configENS1_25partition_config_selectorILNS1_17partition_subalgoE0EtNS0_10empty_typeEbEEZZNS1_14partition_implILS5_0ELb0ES3_jN6thrust23THRUST_200600_302600_NS6detail15normal_iteratorINSA_10device_ptrItEEEEPS6_SG_NS0_5tupleIJSF_SF_EEENSH_IJSG_SG_EEES6_PlJ7is_evenItEEEE10hipError_tPvRmT3_T4_T5_T6_T7_T9_mT8_P12ihipStream_tbDpT10_ENKUlT_T0_E_clISt17integral_constantIbLb1EES16_EEDaS11_S12_EUlS11_E_NS1_11comp_targetILNS1_3genE0ELNS1_11target_archE4294967295ELNS1_3gpuE0ELNS1_3repE0EEENS1_30default_config_static_selectorELNS0_4arch9wavefront6targetE1EEEvT1_,"axG",@progbits,_ZN7rocprim17ROCPRIM_400000_NS6detail17trampoline_kernelINS0_14default_configENS1_25partition_config_selectorILNS1_17partition_subalgoE0EtNS0_10empty_typeEbEEZZNS1_14partition_implILS5_0ELb0ES3_jN6thrust23THRUST_200600_302600_NS6detail15normal_iteratorINSA_10device_ptrItEEEEPS6_SG_NS0_5tupleIJSF_SF_EEENSH_IJSG_SG_EEES6_PlJ7is_evenItEEEE10hipError_tPvRmT3_T4_T5_T6_T7_T9_mT8_P12ihipStream_tbDpT10_ENKUlT_T0_E_clISt17integral_constantIbLb1EES16_EEDaS11_S12_EUlS11_E_NS1_11comp_targetILNS1_3genE0ELNS1_11target_archE4294967295ELNS1_3gpuE0ELNS1_3repE0EEENS1_30default_config_static_selectorELNS0_4arch9wavefront6targetE1EEEvT1_,comdat
.Lfunc_end2178:
	.size	_ZN7rocprim17ROCPRIM_400000_NS6detail17trampoline_kernelINS0_14default_configENS1_25partition_config_selectorILNS1_17partition_subalgoE0EtNS0_10empty_typeEbEEZZNS1_14partition_implILS5_0ELb0ES3_jN6thrust23THRUST_200600_302600_NS6detail15normal_iteratorINSA_10device_ptrItEEEEPS6_SG_NS0_5tupleIJSF_SF_EEENSH_IJSG_SG_EEES6_PlJ7is_evenItEEEE10hipError_tPvRmT3_T4_T5_T6_T7_T9_mT8_P12ihipStream_tbDpT10_ENKUlT_T0_E_clISt17integral_constantIbLb1EES16_EEDaS11_S12_EUlS11_E_NS1_11comp_targetILNS1_3genE0ELNS1_11target_archE4294967295ELNS1_3gpuE0ELNS1_3repE0EEENS1_30default_config_static_selectorELNS0_4arch9wavefront6targetE1EEEvT1_, .Lfunc_end2178-_ZN7rocprim17ROCPRIM_400000_NS6detail17trampoline_kernelINS0_14default_configENS1_25partition_config_selectorILNS1_17partition_subalgoE0EtNS0_10empty_typeEbEEZZNS1_14partition_implILS5_0ELb0ES3_jN6thrust23THRUST_200600_302600_NS6detail15normal_iteratorINSA_10device_ptrItEEEEPS6_SG_NS0_5tupleIJSF_SF_EEENSH_IJSG_SG_EEES6_PlJ7is_evenItEEEE10hipError_tPvRmT3_T4_T5_T6_T7_T9_mT8_P12ihipStream_tbDpT10_ENKUlT_T0_E_clISt17integral_constantIbLb1EES16_EEDaS11_S12_EUlS11_E_NS1_11comp_targetILNS1_3genE0ELNS1_11target_archE4294967295ELNS1_3gpuE0ELNS1_3repE0EEENS1_30default_config_static_selectorELNS0_4arch9wavefront6targetE1EEEvT1_
                                        ; -- End function
	.section	.AMDGPU.csdata,"",@progbits
; Kernel info:
; codeLenInByte = 0
; NumSgprs: 6
; NumVgprs: 0
; NumAgprs: 0
; TotalNumVgprs: 0
; ScratchSize: 0
; MemoryBound: 0
; FloatMode: 240
; IeeeMode: 1
; LDSByteSize: 0 bytes/workgroup (compile time only)
; SGPRBlocks: 0
; VGPRBlocks: 0
; NumSGPRsForWavesPerEU: 6
; NumVGPRsForWavesPerEU: 1
; AccumOffset: 4
; Occupancy: 8
; WaveLimiterHint : 0
; COMPUTE_PGM_RSRC2:SCRATCH_EN: 0
; COMPUTE_PGM_RSRC2:USER_SGPR: 2
; COMPUTE_PGM_RSRC2:TRAP_HANDLER: 0
; COMPUTE_PGM_RSRC2:TGID_X_EN: 1
; COMPUTE_PGM_RSRC2:TGID_Y_EN: 0
; COMPUTE_PGM_RSRC2:TGID_Z_EN: 0
; COMPUTE_PGM_RSRC2:TIDIG_COMP_CNT: 0
; COMPUTE_PGM_RSRC3_GFX90A:ACCUM_OFFSET: 0
; COMPUTE_PGM_RSRC3_GFX90A:TG_SPLIT: 0
	.section	.text._ZN7rocprim17ROCPRIM_400000_NS6detail17trampoline_kernelINS0_14default_configENS1_25partition_config_selectorILNS1_17partition_subalgoE0EtNS0_10empty_typeEbEEZZNS1_14partition_implILS5_0ELb0ES3_jN6thrust23THRUST_200600_302600_NS6detail15normal_iteratorINSA_10device_ptrItEEEEPS6_SG_NS0_5tupleIJSF_SF_EEENSH_IJSG_SG_EEES6_PlJ7is_evenItEEEE10hipError_tPvRmT3_T4_T5_T6_T7_T9_mT8_P12ihipStream_tbDpT10_ENKUlT_T0_E_clISt17integral_constantIbLb1EES16_EEDaS11_S12_EUlS11_E_NS1_11comp_targetILNS1_3genE5ELNS1_11target_archE942ELNS1_3gpuE9ELNS1_3repE0EEENS1_30default_config_static_selectorELNS0_4arch9wavefront6targetE1EEEvT1_,"axG",@progbits,_ZN7rocprim17ROCPRIM_400000_NS6detail17trampoline_kernelINS0_14default_configENS1_25partition_config_selectorILNS1_17partition_subalgoE0EtNS0_10empty_typeEbEEZZNS1_14partition_implILS5_0ELb0ES3_jN6thrust23THRUST_200600_302600_NS6detail15normal_iteratorINSA_10device_ptrItEEEEPS6_SG_NS0_5tupleIJSF_SF_EEENSH_IJSG_SG_EEES6_PlJ7is_evenItEEEE10hipError_tPvRmT3_T4_T5_T6_T7_T9_mT8_P12ihipStream_tbDpT10_ENKUlT_T0_E_clISt17integral_constantIbLb1EES16_EEDaS11_S12_EUlS11_E_NS1_11comp_targetILNS1_3genE5ELNS1_11target_archE942ELNS1_3gpuE9ELNS1_3repE0EEENS1_30default_config_static_selectorELNS0_4arch9wavefront6targetE1EEEvT1_,comdat
	.protected	_ZN7rocprim17ROCPRIM_400000_NS6detail17trampoline_kernelINS0_14default_configENS1_25partition_config_selectorILNS1_17partition_subalgoE0EtNS0_10empty_typeEbEEZZNS1_14partition_implILS5_0ELb0ES3_jN6thrust23THRUST_200600_302600_NS6detail15normal_iteratorINSA_10device_ptrItEEEEPS6_SG_NS0_5tupleIJSF_SF_EEENSH_IJSG_SG_EEES6_PlJ7is_evenItEEEE10hipError_tPvRmT3_T4_T5_T6_T7_T9_mT8_P12ihipStream_tbDpT10_ENKUlT_T0_E_clISt17integral_constantIbLb1EES16_EEDaS11_S12_EUlS11_E_NS1_11comp_targetILNS1_3genE5ELNS1_11target_archE942ELNS1_3gpuE9ELNS1_3repE0EEENS1_30default_config_static_selectorELNS0_4arch9wavefront6targetE1EEEvT1_ ; -- Begin function _ZN7rocprim17ROCPRIM_400000_NS6detail17trampoline_kernelINS0_14default_configENS1_25partition_config_selectorILNS1_17partition_subalgoE0EtNS0_10empty_typeEbEEZZNS1_14partition_implILS5_0ELb0ES3_jN6thrust23THRUST_200600_302600_NS6detail15normal_iteratorINSA_10device_ptrItEEEEPS6_SG_NS0_5tupleIJSF_SF_EEENSH_IJSG_SG_EEES6_PlJ7is_evenItEEEE10hipError_tPvRmT3_T4_T5_T6_T7_T9_mT8_P12ihipStream_tbDpT10_ENKUlT_T0_E_clISt17integral_constantIbLb1EES16_EEDaS11_S12_EUlS11_E_NS1_11comp_targetILNS1_3genE5ELNS1_11target_archE942ELNS1_3gpuE9ELNS1_3repE0EEENS1_30default_config_static_selectorELNS0_4arch9wavefront6targetE1EEEvT1_
	.globl	_ZN7rocprim17ROCPRIM_400000_NS6detail17trampoline_kernelINS0_14default_configENS1_25partition_config_selectorILNS1_17partition_subalgoE0EtNS0_10empty_typeEbEEZZNS1_14partition_implILS5_0ELb0ES3_jN6thrust23THRUST_200600_302600_NS6detail15normal_iteratorINSA_10device_ptrItEEEEPS6_SG_NS0_5tupleIJSF_SF_EEENSH_IJSG_SG_EEES6_PlJ7is_evenItEEEE10hipError_tPvRmT3_T4_T5_T6_T7_T9_mT8_P12ihipStream_tbDpT10_ENKUlT_T0_E_clISt17integral_constantIbLb1EES16_EEDaS11_S12_EUlS11_E_NS1_11comp_targetILNS1_3genE5ELNS1_11target_archE942ELNS1_3gpuE9ELNS1_3repE0EEENS1_30default_config_static_selectorELNS0_4arch9wavefront6targetE1EEEvT1_
	.p2align	8
	.type	_ZN7rocprim17ROCPRIM_400000_NS6detail17trampoline_kernelINS0_14default_configENS1_25partition_config_selectorILNS1_17partition_subalgoE0EtNS0_10empty_typeEbEEZZNS1_14partition_implILS5_0ELb0ES3_jN6thrust23THRUST_200600_302600_NS6detail15normal_iteratorINSA_10device_ptrItEEEEPS6_SG_NS0_5tupleIJSF_SF_EEENSH_IJSG_SG_EEES6_PlJ7is_evenItEEEE10hipError_tPvRmT3_T4_T5_T6_T7_T9_mT8_P12ihipStream_tbDpT10_ENKUlT_T0_E_clISt17integral_constantIbLb1EES16_EEDaS11_S12_EUlS11_E_NS1_11comp_targetILNS1_3genE5ELNS1_11target_archE942ELNS1_3gpuE9ELNS1_3repE0EEENS1_30default_config_static_selectorELNS0_4arch9wavefront6targetE1EEEvT1_,@function
_ZN7rocprim17ROCPRIM_400000_NS6detail17trampoline_kernelINS0_14default_configENS1_25partition_config_selectorILNS1_17partition_subalgoE0EtNS0_10empty_typeEbEEZZNS1_14partition_implILS5_0ELb0ES3_jN6thrust23THRUST_200600_302600_NS6detail15normal_iteratorINSA_10device_ptrItEEEEPS6_SG_NS0_5tupleIJSF_SF_EEENSH_IJSG_SG_EEES6_PlJ7is_evenItEEEE10hipError_tPvRmT3_T4_T5_T6_T7_T9_mT8_P12ihipStream_tbDpT10_ENKUlT_T0_E_clISt17integral_constantIbLb1EES16_EEDaS11_S12_EUlS11_E_NS1_11comp_targetILNS1_3genE5ELNS1_11target_archE942ELNS1_3gpuE9ELNS1_3repE0EEENS1_30default_config_static_selectorELNS0_4arch9wavefront6targetE1EEEvT1_: ; @_ZN7rocprim17ROCPRIM_400000_NS6detail17trampoline_kernelINS0_14default_configENS1_25partition_config_selectorILNS1_17partition_subalgoE0EtNS0_10empty_typeEbEEZZNS1_14partition_implILS5_0ELb0ES3_jN6thrust23THRUST_200600_302600_NS6detail15normal_iteratorINSA_10device_ptrItEEEEPS6_SG_NS0_5tupleIJSF_SF_EEENSH_IJSG_SG_EEES6_PlJ7is_evenItEEEE10hipError_tPvRmT3_T4_T5_T6_T7_T9_mT8_P12ihipStream_tbDpT10_ENKUlT_T0_E_clISt17integral_constantIbLb1EES16_EEDaS11_S12_EUlS11_E_NS1_11comp_targetILNS1_3genE5ELNS1_11target_archE942ELNS1_3gpuE9ELNS1_3repE0EEENS1_30default_config_static_selectorELNS0_4arch9wavefront6targetE1EEEvT1_
; %bb.0:
	s_load_dwordx2 s[2:3], s[0:1], 0x58
	s_load_dwordx4 s[24:27], s[0:1], 0x48
	s_load_dwordx2 s[34:35], s[0:1], 0x68
	v_cmp_eq_u32_e64 s[20:21], 0, v0
	s_and_saveexec_b64 s[4:5], s[20:21]
	s_cbranch_execz .LBB2179_4
; %bb.1:
	s_mov_b64 s[8:9], exec
	v_mbcnt_lo_u32_b32 v1, s8, 0
	v_mbcnt_hi_u32_b32 v1, s9, v1
	v_cmp_eq_u32_e32 vcc, 0, v1
                                        ; implicit-def: $vgpr2
	s_and_saveexec_b64 s[6:7], vcc
	s_cbranch_execz .LBB2179_3
; %bb.2:
	s_load_dwordx2 s[10:11], s[0:1], 0x78
	s_bcnt1_i32_b64 s8, s[8:9]
	v_mov_b32_e32 v2, 0
	v_mov_b32_e32 v3, s8
	s_waitcnt lgkmcnt(0)
	global_atomic_add v2, v2, v3, s[10:11] sc0
.LBB2179_3:
	s_or_b64 exec, exec, s[6:7]
	s_waitcnt vmcnt(0)
	v_readfirstlane_b32 s6, v2
	v_mov_b32_e32 v2, 0
	s_nop 0
	v_add_u32_e32 v1, s6, v1
	ds_write_b32 v2, v1
.LBB2179_4:
	s_or_b64 exec, exec, s[4:5]
	v_mov_b32_e32 v3, 0
	s_load_dwordx4 s[36:39], s[0:1], 0x8
	s_load_dwordx4 s[28:31], s[0:1], 0x28
	s_load_dword s4, s[0:1], 0x70
	s_waitcnt lgkmcnt(0)
	s_barrier
	ds_read_b32 v1, v3
	s_waitcnt lgkmcnt(0)
	s_barrier
	global_load_dwordx2 v[4:5], v3, s[26:27]
	v_mov_b32_e32 v7, s3
	s_lshl_b64 s[0:1], s[38:39], 1
	s_movk_i32 s3, 0x3c00
	s_add_u32 s0, s36, s0
	v_mul_lo_u32 v2, v1, s3
	s_mul_i32 s3, s4, 0x3c00
	s_addc_u32 s1, s37, s1
	s_add_i32 s5, s4, -1
	s_add_i32 s4, s3, s38
	s_sub_i32 s33, s2, s4
	s_addk_i32 s33, 0x3c00
	v_mov_b32_e32 v6, s2
	s_add_u32 s2, s38, s3
	v_readfirstlane_b32 s40, v1
	s_addc_u32 s3, s39, 0
	s_cmp_eq_u32 s40, s5
	s_cselect_b64 s[22:23], -1, 0
	s_cmp_lg_u32 s40, s5
	v_cmp_lt_u64_e32 vcc, s[2:3], v[6:7]
	s_cselect_b64 s[2:3], -1, 0
	s_or_b64 s[4:5], vcc, s[2:3]
	v_lshlrev_b64 v[6:7], 1, v[2:3]
	v_lshl_add_u64 v[8:9], s[0:1], 0, v[6:7]
	s_mov_b64 s[0:1], -1
	s_and_b64 vcc, exec, s[4:5]
	v_lshlrev_b32_e32 v2, 1, v0
	s_cbranch_vccz .LBB2179_6
; %bb.5:
	v_lshl_add_u64 v[10:11], v[8:9], 0, v[2:3]
	v_add_co_u32_e32 v12, vcc, 0x1000, v10
	s_mov_b64 s[0:1], 0
	s_nop 0
	v_addc_co_u32_e32 v13, vcc, 0, v11, vcc
	flat_load_ushort v1, v[10:11]
	flat_load_ushort v3, v[10:11] offset:1024
	flat_load_ushort v16, v[10:11] offset:2048
	flat_load_ushort v17, v[10:11] offset:3072
	flat_load_ushort v18, v[12:13]
	flat_load_ushort v19, v[12:13] offset:1024
	flat_load_ushort v20, v[12:13] offset:2048
	flat_load_ushort v21, v[12:13] offset:3072
	v_add_co_u32_e32 v12, vcc, 0x2000, v10
	s_nop 1
	v_addc_co_u32_e32 v13, vcc, 0, v11, vcc
	v_add_co_u32_e32 v14, vcc, 0x3000, v10
	s_nop 1
	v_addc_co_u32_e32 v15, vcc, 0, v11, vcc
	flat_load_ushort v22, v[12:13]
	flat_load_ushort v23, v[12:13] offset:1024
	flat_load_ushort v24, v[12:13] offset:2048
	flat_load_ushort v25, v[12:13] offset:3072
	flat_load_ushort v26, v[14:15]
	flat_load_ushort v27, v[14:15] offset:1024
	flat_load_ushort v28, v[14:15] offset:2048
	flat_load_ushort v29, v[14:15] offset:3072
	v_add_co_u32_e32 v12, vcc, 0x4000, v10
	s_nop 1
	v_addc_co_u32_e32 v13, vcc, 0, v11, vcc
	v_add_co_u32_e32 v14, vcc, 0x5000, v10
	;; [unrolled: 14-line block ×3, first 2 shown]
	s_nop 1
	v_addc_co_u32_e32 v11, vcc, 0, v11, vcc
	flat_load_ushort v14, v[12:13]
	flat_load_ushort v15, v[12:13] offset:1024
	flat_load_ushort v38, v[12:13] offset:2048
	;; [unrolled: 1-line block ×3, first 2 shown]
	flat_load_ushort v40, v[10:11]
	flat_load_ushort v41, v[10:11] offset:1024
	s_waitcnt vmcnt(0) lgkmcnt(0)
	ds_write_b16 v2, v1
	ds_write_b16 v2, v3 offset:1024
	ds_write_b16 v2, v16 offset:2048
	;; [unrolled: 1-line block ×29, first 2 shown]
	s_waitcnt lgkmcnt(0)
	s_barrier
.LBB2179_6:
	s_andn2_b64 vcc, exec, s[0:1]
	v_cmp_gt_u32_e64 s[0:1], s33, v0
	s_cbranch_vccnz .LBB2179_68
; %bb.7:
                                        ; implicit-def: $vgpr1
	s_and_saveexec_b64 s[2:3], s[0:1]
	s_cbranch_execz .LBB2179_9
; %bb.8:
	v_mov_b32_e32 v3, 0
	v_lshl_add_u64 v[10:11], v[8:9], 0, v[2:3]
	flat_load_ushort v1, v[10:11]
.LBB2179_9:
	s_or_b64 exec, exec, s[2:3]
	v_or_b32_e32 v3, 0x200, v0
	v_cmp_gt_u32_e32 vcc, s33, v3
                                        ; implicit-def: $vgpr10
	s_and_saveexec_b64 s[0:1], vcc
	s_cbranch_execz .LBB2179_11
; %bb.10:
	v_mov_b32_e32 v3, 0
	v_lshl_add_u64 v[10:11], v[8:9], 0, v[2:3]
	flat_load_ushort v10, v[10:11] offset:1024
.LBB2179_11:
	s_or_b64 exec, exec, s[0:1]
	v_or_b32_e32 v3, 0x400, v0
	v_cmp_gt_u32_e32 vcc, s33, v3
                                        ; implicit-def: $vgpr11
	s_and_saveexec_b64 s[0:1], vcc
	s_cbranch_execz .LBB2179_13
; %bb.12:
	v_mov_b32_e32 v3, 0
	v_lshl_add_u64 v[12:13], v[8:9], 0, v[2:3]
	flat_load_ushort v11, v[12:13] offset:2048
.LBB2179_13:
	s_or_b64 exec, exec, s[0:1]
	v_or_b32_e32 v3, 0x600, v0
	v_cmp_gt_u32_e32 vcc, s33, v3
                                        ; implicit-def: $vgpr3
	s_and_saveexec_b64 s[0:1], vcc
	s_cbranch_execz .LBB2179_15
; %bb.14:
	v_mov_b32_e32 v3, 0
	v_lshl_add_u64 v[12:13], v[8:9], 0, v[2:3]
	flat_load_ushort v3, v[12:13] offset:3072
.LBB2179_15:
	s_or_b64 exec, exec, s[0:1]
	v_or_b32_e32 v13, 0x800, v0
	v_cmp_gt_u32_e32 vcc, s33, v13
                                        ; implicit-def: $vgpr12
	s_and_saveexec_b64 s[0:1], vcc
	s_cbranch_execz .LBB2179_17
; %bb.16:
	v_lshlrev_b32_e32 v12, 1, v13
	v_mov_b32_e32 v13, 0
	v_lshl_add_u64 v[12:13], v[8:9], 0, v[12:13]
	flat_load_ushort v12, v[12:13]
.LBB2179_17:
	s_or_b64 exec, exec, s[0:1]
	v_or_b32_e32 v14, 0xa00, v0
	v_cmp_gt_u32_e32 vcc, s33, v14
                                        ; implicit-def: $vgpr13
	s_and_saveexec_b64 s[0:1], vcc
	s_cbranch_execz .LBB2179_19
; %bb.18:
	v_lshlrev_b32_e32 v14, 1, v14
	v_mov_b32_e32 v15, 0
	v_lshl_add_u64 v[14:15], v[8:9], 0, v[14:15]
	flat_load_ushort v13, v[14:15]
.LBB2179_19:
	s_or_b64 exec, exec, s[0:1]
	v_or_b32_e32 v15, 0xc00, v0
	v_cmp_gt_u32_e32 vcc, s33, v15
                                        ; implicit-def: $vgpr14
	s_and_saveexec_b64 s[0:1], vcc
	s_cbranch_execz .LBB2179_21
; %bb.20:
	v_lshlrev_b32_e32 v14, 1, v15
	v_mov_b32_e32 v15, 0
	v_lshl_add_u64 v[14:15], v[8:9], 0, v[14:15]
	flat_load_ushort v14, v[14:15]
.LBB2179_21:
	s_or_b64 exec, exec, s[0:1]
	v_or_b32_e32 v16, 0xe00, v0
	v_cmp_gt_u32_e32 vcc, s33, v16
                                        ; implicit-def: $vgpr15
	s_and_saveexec_b64 s[0:1], vcc
	s_cbranch_execz .LBB2179_23
; %bb.22:
	v_lshlrev_b32_e32 v16, 1, v16
	v_mov_b32_e32 v17, 0
	v_lshl_add_u64 v[16:17], v[8:9], 0, v[16:17]
	flat_load_ushort v15, v[16:17]
.LBB2179_23:
	s_or_b64 exec, exec, s[0:1]
	v_or_b32_e32 v17, 0x1000, v0
	v_cmp_gt_u32_e32 vcc, s33, v17
                                        ; implicit-def: $vgpr16
	s_and_saveexec_b64 s[0:1], vcc
	s_cbranch_execz .LBB2179_25
; %bb.24:
	v_lshlrev_b32_e32 v16, 1, v17
	v_mov_b32_e32 v17, 0
	v_lshl_add_u64 v[16:17], v[8:9], 0, v[16:17]
	flat_load_ushort v16, v[16:17]
.LBB2179_25:
	s_or_b64 exec, exec, s[0:1]
	v_or_b32_e32 v18, 0x1200, v0
	v_cmp_gt_u32_e32 vcc, s33, v18
                                        ; implicit-def: $vgpr17
	s_and_saveexec_b64 s[0:1], vcc
	s_cbranch_execz .LBB2179_27
; %bb.26:
	v_lshlrev_b32_e32 v18, 1, v18
	v_mov_b32_e32 v19, 0
	v_lshl_add_u64 v[18:19], v[8:9], 0, v[18:19]
	flat_load_ushort v17, v[18:19]
.LBB2179_27:
	s_or_b64 exec, exec, s[0:1]
	v_or_b32_e32 v19, 0x1400, v0
	v_cmp_gt_u32_e32 vcc, s33, v19
                                        ; implicit-def: $vgpr18
	s_and_saveexec_b64 s[0:1], vcc
	s_cbranch_execz .LBB2179_29
; %bb.28:
	v_lshlrev_b32_e32 v18, 1, v19
	v_mov_b32_e32 v19, 0
	v_lshl_add_u64 v[18:19], v[8:9], 0, v[18:19]
	flat_load_ushort v18, v[18:19]
.LBB2179_29:
	s_or_b64 exec, exec, s[0:1]
	v_or_b32_e32 v20, 0x1600, v0
	v_cmp_gt_u32_e32 vcc, s33, v20
                                        ; implicit-def: $vgpr19
	s_and_saveexec_b64 s[0:1], vcc
	s_cbranch_execz .LBB2179_31
; %bb.30:
	v_lshlrev_b32_e32 v20, 1, v20
	v_mov_b32_e32 v21, 0
	v_lshl_add_u64 v[20:21], v[8:9], 0, v[20:21]
	flat_load_ushort v19, v[20:21]
.LBB2179_31:
	s_or_b64 exec, exec, s[0:1]
	v_or_b32_e32 v21, 0x1800, v0
	v_cmp_gt_u32_e32 vcc, s33, v21
                                        ; implicit-def: $vgpr20
	s_and_saveexec_b64 s[0:1], vcc
	s_cbranch_execz .LBB2179_33
; %bb.32:
	v_lshlrev_b32_e32 v20, 1, v21
	v_mov_b32_e32 v21, 0
	v_lshl_add_u64 v[20:21], v[8:9], 0, v[20:21]
	flat_load_ushort v20, v[20:21]
.LBB2179_33:
	s_or_b64 exec, exec, s[0:1]
	v_or_b32_e32 v22, 0x1a00, v0
	v_cmp_gt_u32_e32 vcc, s33, v22
                                        ; implicit-def: $vgpr21
	s_and_saveexec_b64 s[0:1], vcc
	s_cbranch_execz .LBB2179_35
; %bb.34:
	v_lshlrev_b32_e32 v22, 1, v22
	v_mov_b32_e32 v23, 0
	v_lshl_add_u64 v[22:23], v[8:9], 0, v[22:23]
	flat_load_ushort v21, v[22:23]
.LBB2179_35:
	s_or_b64 exec, exec, s[0:1]
	v_or_b32_e32 v23, 0x1c00, v0
	v_cmp_gt_u32_e32 vcc, s33, v23
                                        ; implicit-def: $vgpr22
	s_and_saveexec_b64 s[0:1], vcc
	s_cbranch_execz .LBB2179_37
; %bb.36:
	v_lshlrev_b32_e32 v22, 1, v23
	v_mov_b32_e32 v23, 0
	v_lshl_add_u64 v[22:23], v[8:9], 0, v[22:23]
	flat_load_ushort v22, v[22:23]
.LBB2179_37:
	s_or_b64 exec, exec, s[0:1]
	v_or_b32_e32 v24, 0x1e00, v0
	v_cmp_gt_u32_e32 vcc, s33, v24
                                        ; implicit-def: $vgpr23
	s_and_saveexec_b64 s[0:1], vcc
	s_cbranch_execz .LBB2179_39
; %bb.38:
	v_lshlrev_b32_e32 v24, 1, v24
	v_mov_b32_e32 v25, 0
	v_lshl_add_u64 v[24:25], v[8:9], 0, v[24:25]
	flat_load_ushort v23, v[24:25]
.LBB2179_39:
	s_or_b64 exec, exec, s[0:1]
	v_or_b32_e32 v25, 0x2000, v0
	v_cmp_gt_u32_e32 vcc, s33, v25
                                        ; implicit-def: $vgpr24
	s_and_saveexec_b64 s[0:1], vcc
	s_cbranch_execz .LBB2179_41
; %bb.40:
	v_lshlrev_b32_e32 v24, 1, v25
	v_mov_b32_e32 v25, 0
	v_lshl_add_u64 v[24:25], v[8:9], 0, v[24:25]
	flat_load_ushort v24, v[24:25]
.LBB2179_41:
	s_or_b64 exec, exec, s[0:1]
	v_or_b32_e32 v26, 0x2200, v0
	v_cmp_gt_u32_e32 vcc, s33, v26
                                        ; implicit-def: $vgpr25
	s_and_saveexec_b64 s[0:1], vcc
	s_cbranch_execz .LBB2179_43
; %bb.42:
	v_lshlrev_b32_e32 v26, 1, v26
	v_mov_b32_e32 v27, 0
	v_lshl_add_u64 v[26:27], v[8:9], 0, v[26:27]
	flat_load_ushort v25, v[26:27]
.LBB2179_43:
	s_or_b64 exec, exec, s[0:1]
	v_or_b32_e32 v27, 0x2400, v0
	v_cmp_gt_u32_e32 vcc, s33, v27
                                        ; implicit-def: $vgpr26
	s_and_saveexec_b64 s[0:1], vcc
	s_cbranch_execz .LBB2179_45
; %bb.44:
	v_lshlrev_b32_e32 v26, 1, v27
	v_mov_b32_e32 v27, 0
	v_lshl_add_u64 v[26:27], v[8:9], 0, v[26:27]
	flat_load_ushort v26, v[26:27]
.LBB2179_45:
	s_or_b64 exec, exec, s[0:1]
	v_or_b32_e32 v28, 0x2600, v0
	v_cmp_gt_u32_e32 vcc, s33, v28
                                        ; implicit-def: $vgpr27
	s_and_saveexec_b64 s[0:1], vcc
	s_cbranch_execz .LBB2179_47
; %bb.46:
	v_lshlrev_b32_e32 v28, 1, v28
	v_mov_b32_e32 v29, 0
	v_lshl_add_u64 v[28:29], v[8:9], 0, v[28:29]
	flat_load_ushort v27, v[28:29]
.LBB2179_47:
	s_or_b64 exec, exec, s[0:1]
	v_or_b32_e32 v29, 0x2800, v0
	v_cmp_gt_u32_e32 vcc, s33, v29
                                        ; implicit-def: $vgpr28
	s_and_saveexec_b64 s[0:1], vcc
	s_cbranch_execz .LBB2179_49
; %bb.48:
	v_lshlrev_b32_e32 v28, 1, v29
	v_mov_b32_e32 v29, 0
	v_lshl_add_u64 v[28:29], v[8:9], 0, v[28:29]
	flat_load_ushort v28, v[28:29]
.LBB2179_49:
	s_or_b64 exec, exec, s[0:1]
	v_or_b32_e32 v30, 0x2a00, v0
	v_cmp_gt_u32_e32 vcc, s33, v30
                                        ; implicit-def: $vgpr29
	s_and_saveexec_b64 s[0:1], vcc
	s_cbranch_execz .LBB2179_51
; %bb.50:
	v_lshlrev_b32_e32 v30, 1, v30
	v_mov_b32_e32 v31, 0
	v_lshl_add_u64 v[30:31], v[8:9], 0, v[30:31]
	flat_load_ushort v29, v[30:31]
.LBB2179_51:
	s_or_b64 exec, exec, s[0:1]
	v_or_b32_e32 v31, 0x2c00, v0
	v_cmp_gt_u32_e32 vcc, s33, v31
                                        ; implicit-def: $vgpr30
	s_and_saveexec_b64 s[0:1], vcc
	s_cbranch_execz .LBB2179_53
; %bb.52:
	v_lshlrev_b32_e32 v30, 1, v31
	v_mov_b32_e32 v31, 0
	v_lshl_add_u64 v[30:31], v[8:9], 0, v[30:31]
	flat_load_ushort v30, v[30:31]
.LBB2179_53:
	s_or_b64 exec, exec, s[0:1]
	v_or_b32_e32 v32, 0x2e00, v0
	v_cmp_gt_u32_e32 vcc, s33, v32
                                        ; implicit-def: $vgpr31
	s_and_saveexec_b64 s[0:1], vcc
	s_cbranch_execz .LBB2179_55
; %bb.54:
	v_lshlrev_b32_e32 v32, 1, v32
	v_mov_b32_e32 v33, 0
	v_lshl_add_u64 v[32:33], v[8:9], 0, v[32:33]
	flat_load_ushort v31, v[32:33]
.LBB2179_55:
	s_or_b64 exec, exec, s[0:1]
	v_or_b32_e32 v33, 0x3000, v0
	v_cmp_gt_u32_e32 vcc, s33, v33
                                        ; implicit-def: $vgpr32
	s_and_saveexec_b64 s[0:1], vcc
	s_cbranch_execz .LBB2179_57
; %bb.56:
	v_lshlrev_b32_e32 v32, 1, v33
	v_mov_b32_e32 v33, 0
	v_lshl_add_u64 v[32:33], v[8:9], 0, v[32:33]
	flat_load_ushort v32, v[32:33]
.LBB2179_57:
	s_or_b64 exec, exec, s[0:1]
	v_or_b32_e32 v34, 0x3200, v0
	v_cmp_gt_u32_e32 vcc, s33, v34
                                        ; implicit-def: $vgpr33
	s_and_saveexec_b64 s[0:1], vcc
	s_cbranch_execz .LBB2179_59
; %bb.58:
	v_lshlrev_b32_e32 v34, 1, v34
	v_mov_b32_e32 v35, 0
	v_lshl_add_u64 v[34:35], v[8:9], 0, v[34:35]
	flat_load_ushort v33, v[34:35]
.LBB2179_59:
	s_or_b64 exec, exec, s[0:1]
	v_or_b32_e32 v35, 0x3400, v0
	v_cmp_gt_u32_e32 vcc, s33, v35
                                        ; implicit-def: $vgpr34
	s_and_saveexec_b64 s[0:1], vcc
	s_cbranch_execz .LBB2179_61
; %bb.60:
	v_lshlrev_b32_e32 v34, 1, v35
	v_mov_b32_e32 v35, 0
	v_lshl_add_u64 v[34:35], v[8:9], 0, v[34:35]
	flat_load_ushort v34, v[34:35]
.LBB2179_61:
	s_or_b64 exec, exec, s[0:1]
	v_or_b32_e32 v36, 0x3600, v0
	v_cmp_gt_u32_e32 vcc, s33, v36
                                        ; implicit-def: $vgpr35
	s_and_saveexec_b64 s[0:1], vcc
	s_cbranch_execz .LBB2179_63
; %bb.62:
	v_lshlrev_b32_e32 v36, 1, v36
	v_mov_b32_e32 v37, 0
	v_lshl_add_u64 v[36:37], v[8:9], 0, v[36:37]
	flat_load_ushort v35, v[36:37]
.LBB2179_63:
	s_or_b64 exec, exec, s[0:1]
	v_or_b32_e32 v37, 0x3800, v0
	v_cmp_gt_u32_e32 vcc, s33, v37
                                        ; implicit-def: $vgpr36
	s_and_saveexec_b64 s[0:1], vcc
	s_cbranch_execz .LBB2179_65
; %bb.64:
	v_lshlrev_b32_e32 v36, 1, v37
	v_mov_b32_e32 v37, 0
	v_lshl_add_u64 v[36:37], v[8:9], 0, v[36:37]
	flat_load_ushort v36, v[36:37]
.LBB2179_65:
	s_or_b64 exec, exec, s[0:1]
	v_or_b32_e32 v38, 0x3a00, v0
	v_cmp_gt_u32_e32 vcc, s33, v38
                                        ; implicit-def: $vgpr37
	s_and_saveexec_b64 s[0:1], vcc
	s_cbranch_execz .LBB2179_67
; %bb.66:
	v_lshlrev_b32_e32 v38, 1, v38
	v_mov_b32_e32 v39, 0
	v_lshl_add_u64 v[8:9], v[8:9], 0, v[38:39]
	flat_load_ushort v37, v[8:9]
.LBB2179_67:
	s_or_b64 exec, exec, s[0:1]
	s_waitcnt vmcnt(0) lgkmcnt(0)
	ds_write_b16 v2, v1
	ds_write_b16 v2, v10 offset:1024
	ds_write_b16 v2, v11 offset:2048
	;; [unrolled: 1-line block ×29, first 2 shown]
	s_waitcnt lgkmcnt(0)
	s_barrier
.LBB2179_68:
	v_mul_u32_u24_e32 v44, 30, v0
	v_lshlrev_b32_e32 v8, 1, v44
	ds_read_b32 v3, v8 offset:56
	ds_read2_b32 v[10:11], v8 offset0:12 offset1:13
	ds_read2_b32 v[12:13], v8 offset0:10 offset1:11
	;; [unrolled: 1-line block ×3, first 2 shown]
	ds_read2_b32 v[22:23], v8 offset1:1
	ds_read2_b32 v[20:21], v8 offset0:2 offset1:3
	ds_read2_b32 v[18:19], v8 offset0:4 offset1:5
	;; [unrolled: 1-line block ×3, first 2 shown]
	s_waitcnt lgkmcnt(7)
	v_lshrrev_b32_e32 v1, 16, v3
	s_waitcnt lgkmcnt(6)
	v_lshrrev_b32_e32 v33, 16, v10
	v_lshrrev_b32_e32 v32, 16, v11
	s_waitcnt lgkmcnt(5)
	v_lshrrev_b32_e32 v35, 16, v12
	;; [unrolled: 3-line block ×6, first 2 shown]
	v_lshrrev_b32_e32 v38, 16, v17
	v_lshrrev_b32_e32 v37, 16, v14
	v_lshrrev_b32_e32 v36, 16, v15
	v_cndmask_b32_e64 v8, 0, 1, s[4:5]
	v_cmp_ne_u32_e64 s[2:3], 1, v8
	s_andn2_b64 vcc, exec, s[4:5]
	v_xor_b32_e32 v96, -1, v22
	v_xor_b32_e32 v95, -1, v46
	v_xor_b32_e32 v94, -1, v23
	v_xor_b32_e32 v93, -1, v45
	v_xor_b32_e32 v92, -1, v20
	v_xor_b32_e32 v91, -1, v43
	v_xor_b32_e32 v90, -1, v21
	v_xor_b32_e32 v89, -1, v42
	v_xor_b32_e32 v88, -1, v18
	v_xor_b32_e32 v87, -1, v41
	v_xor_b32_e32 v86, -1, v19
	v_xor_b32_e32 v85, -1, v40
	v_xor_b32_e32 v84, -1, v16
	v_xor_b32_e32 v83, -1, v39
	v_xor_b32_e32 v82, -1, v17
	v_xor_b32_e32 v81, -1, v38
	v_xor_b32_e32 v80, -1, v14
	v_xor_b32_e32 v79, -1, v37
	v_xor_b32_e32 v78, -1, v15
	v_xor_b32_e32 v77, -1, v36
	v_xor_b32_e32 v31, -1, v12
	v_xor_b32_e32 v30, -1, v35
	v_xor_b32_e32 v29, -1, v13
	v_xor_b32_e32 v28, -1, v34
	v_xor_b32_e32 v27, -1, v10
	v_xor_b32_e32 v26, -1, v33
	v_xor_b32_e32 v25, -1, v11
	v_xor_b32_e32 v24, -1, v32
	v_xor_b32_e32 v9, -1, v3
	v_xor_b32_e32 v8, -1, v1
	s_barrier
	s_cbranch_vccnz .LBB2179_70
; %bb.69:
	v_and_b32_e32 v76, 1, v96
	v_and_b32_e32 v75, 1, v95
	v_and_b32_e32 v74, 1, v94
	v_and_b32_e32 v73, 1, v93
	v_and_b32_e32 v72, 1, v92
	v_and_b32_e32 v71, 1, v91
	v_and_b32_e32 v70, 1, v90
	v_and_b32_e32 v69, 1, v89
	v_and_b32_e32 v68, 1, v88
	v_and_b32_e32 v67, 1, v87
	v_and_b32_e32 v66, 1, v86
	v_and_b32_e32 v65, 1, v85
	v_and_b32_e32 v64, 1, v84
	v_and_b32_e32 v63, 1, v83
	v_and_b32_e32 v62, 1, v82
	v_and_b32_e32 v61, 1, v81
	v_and_b32_e32 v60, 1, v80
	v_and_b32_e32 v59, 1, v79
	v_and_b32_e32 v58, 1, v78
	v_and_b32_e32 v57, 1, v77
	v_and_b32_e32 v56, 1, v31
	v_and_b32_e32 v55, 1, v30
	v_and_b32_e32 v54, 1, v29
	v_and_b32_e32 v53, 1, v28
	v_and_b32_e32 v52, 1, v27
	v_and_b32_e32 v51, 1, v26
	v_and_b32_e32 v50, 1, v25
	v_and_b32_e32 v49, 1, v24
	v_and_b32_e32 v47, 1, v9
	v_and_b32_e32 v48, 1, v8
	s_cbranch_execz .LBB2179_71
	s_branch .LBB2179_72
.LBB2179_70:
                                        ; implicit-def: $vgpr76
                                        ; implicit-def: $vgpr75
                                        ; implicit-def: $vgpr74
                                        ; implicit-def: $vgpr73
                                        ; implicit-def: $vgpr72
                                        ; implicit-def: $vgpr71
                                        ; implicit-def: $vgpr70
                                        ; implicit-def: $vgpr69
                                        ; implicit-def: $vgpr68
                                        ; implicit-def: $vgpr67
                                        ; implicit-def: $vgpr66
                                        ; implicit-def: $vgpr65
                                        ; implicit-def: $vgpr64
                                        ; implicit-def: $vgpr63
                                        ; implicit-def: $vgpr62
                                        ; implicit-def: $vgpr61
                                        ; implicit-def: $vgpr60
                                        ; implicit-def: $vgpr59
                                        ; implicit-def: $vgpr58
                                        ; implicit-def: $vgpr57
                                        ; implicit-def: $vgpr56
                                        ; implicit-def: $vgpr55
                                        ; implicit-def: $vgpr54
                                        ; implicit-def: $vgpr53
                                        ; implicit-def: $vgpr52
                                        ; implicit-def: $vgpr51
                                        ; implicit-def: $vgpr50
                                        ; implicit-def: $vgpr49
                                        ; implicit-def: $vgpr47
                                        ; implicit-def: $vgpr48
.LBB2179_71:
	v_or_b32_e32 v56, 1, v44
	v_cmp_gt_u32_e32 vcc, s33, v44
	v_add_u32_e32 v57, 2, v44
	v_add_u32_e32 v58, 3, v44
	v_cndmask_b32_e64 v66, 0, 1, vcc
	v_cmp_gt_u32_e32 vcc, s33, v56
	v_add_u32_e32 v59, 4, v44
	v_add_u32_e32 v60, 5, v44
	v_cndmask_b32_e64 v56, 0, 1, vcc
	v_cmp_gt_u32_e32 vcc, s33, v57
	v_and_b32_e32 v75, v56, v95
	v_add_u32_e32 v61, 6, v44
	v_cndmask_b32_e64 v56, 0, 1, vcc
	v_cmp_gt_u32_e32 vcc, s33, v58
	v_and_b32_e32 v74, v56, v94
	;; [unrolled: 4-line block ×9, first 2 shown]
	v_and_b32_e32 v76, v66, v96
	v_cndmask_b32_e64 v56, 0, 1, vcc
	v_cmp_gt_u32_e32 vcc, s33, v97
	v_and_b32_e32 v66, v56, v86
	v_add_u32_e32 v100, 14, v44
	v_cndmask_b32_e64 v56, 0, 1, vcc
	v_cmp_gt_u32_e32 vcc, s33, v98
	v_and_b32_e32 v65, v56, v85
	v_add_u32_e32 v101, 15, v44
	;; [unrolled: 4-line block ×16, first 2 shown]
	v_cndmask_b32_e64 v26, 0, 1, vcc
	v_cmp_gt_u32_e32 vcc, s33, v49
	v_and_b32_e32 v50, v26, v25
	s_nop 0
	v_cndmask_b32_e64 v25, 0, 1, vcc
	v_cmp_gt_u32_e32 vcc, s33, v47
	v_and_b32_e32 v49, v25, v24
	s_nop 0
	;; [unrolled: 4-line block ×3, first 2 shown]
	v_cndmask_b32_e64 v9, 0, 1, vcc
	v_and_b32_e32 v48, v9, v8
.LBB2179_72:
	v_and_b32_e32 v103, 0xff, v50
	v_and_b32_e32 v104, 0xff, v49
	v_add_u32_sdwa v8, v47, v48 dst_sel:DWORD dst_unused:UNUSED_PAD src0_sel:BYTE_0 src1_sel:BYTE_0
	v_and_b32_e32 v101, 0xff, v52
	v_and_b32_e32 v102, 0xff, v51
	v_add3_u32 v8, v8, v104, v103
	v_and_b32_e32 v99, 0xff, v54
	v_and_b32_e32 v100, 0xff, v53
	v_add3_u32 v8, v8, v102, v101
	;; [unrolled: 3-line block ×13, first 2 shown]
	v_add3_u32 v107, v8, v78, v77
	v_mbcnt_lo_u32_b32 v8, -1, 0
	v_mbcnt_hi_u32_b32 v105, -1, v8
	v_and_b32_e32 v8, 15, v105
	v_cmp_eq_u32_e64 s[16:17], 0, v8
	v_cmp_lt_u32_e64 s[14:15], 1, v8
	v_cmp_lt_u32_e64 s[12:13], 3, v8
	;; [unrolled: 1-line block ×3, first 2 shown]
	v_and_b32_e32 v8, 16, v105
	v_cmp_eq_u32_e64 s[8:9], 0, v8
	v_or_b32_e32 v8, 63, v0
	s_cmp_lg_u32 s40, 0
	v_cmp_lt_u32_e64 s[4:5], 31, v105
	v_lshrrev_b32_e32 v106, 6, v0
	v_cmp_eq_u32_e64 s[6:7], v8, v0
	s_cbranch_scc0 .LBB2179_103
; %bb.73:
	v_mov_b32_dpp v8, v107 row_shr:1 row_mask:0xf bank_mask:0xf
	v_cndmask_b32_e64 v8, v8, 0, s[16:17]
	v_add_u32_e32 v8, v8, v107
	s_nop 1
	v_mov_b32_dpp v9, v8 row_shr:2 row_mask:0xf bank_mask:0xf
	v_cndmask_b32_e64 v9, 0, v9, s[14:15]
	v_add_u32_e32 v8, v8, v9
	s_nop 1
	;; [unrolled: 4-line block ×4, first 2 shown]
	v_mov_b32_dpp v9, v8 row_bcast:15 row_mask:0xf bank_mask:0xf
	v_cndmask_b32_e64 v9, v9, 0, s[8:9]
	v_add_u32_e32 v8, v8, v9
	s_nop 1
	v_mov_b32_dpp v9, v8 row_bcast:31 row_mask:0xf bank_mask:0xf
	v_cndmask_b32_e64 v9, 0, v9, s[4:5]
	v_add_u32_e32 v8, v8, v9
	s_and_saveexec_b64 s[0:1], s[6:7]
	s_cbranch_execz .LBB2179_75
; %bb.74:
	v_lshlrev_b32_e32 v9, 2, v106
	ds_write_b32 v9, v8
.LBB2179_75:
	s_or_b64 exec, exec, s[0:1]
	v_cmp_gt_u32_e32 vcc, 8, v0
	s_waitcnt lgkmcnt(0)
	s_barrier
	s_and_saveexec_b64 s[0:1], vcc
	s_cbranch_execz .LBB2179_77
; %bb.76:
	v_lshlrev_b32_e32 v9, 2, v0
	ds_read_b32 v24, v9
	v_and_b32_e32 v25, 7, v105
	v_cmp_ne_u32_e32 vcc, 0, v25
	s_waitcnt lgkmcnt(0)
	v_mov_b32_dpp v26, v24 row_shr:1 row_mask:0xf bank_mask:0xf
	v_cndmask_b32_e32 v26, 0, v26, vcc
	v_add_u32_e32 v24, v26, v24
	v_cmp_lt_u32_e32 vcc, 1, v25
	s_nop 0
	v_mov_b32_dpp v26, v24 row_shr:2 row_mask:0xf bank_mask:0xf
	v_cndmask_b32_e32 v26, 0, v26, vcc
	v_add_u32_e32 v24, v24, v26
	v_cmp_lt_u32_e32 vcc, 3, v25
	s_nop 0
	v_mov_b32_dpp v26, v24 row_shr:4 row_mask:0xf bank_mask:0xf
	v_cndmask_b32_e32 v25, 0, v26, vcc
	v_add_u32_e32 v24, v24, v25
	ds_write_b32 v9, v24
.LBB2179_77:
	s_or_b64 exec, exec, s[0:1]
	v_cmp_gt_u32_e32 vcc, 64, v0
	v_cmp_lt_u32_e64 s[0:1], 63, v0
	s_waitcnt lgkmcnt(0)
	s_barrier
	s_waitcnt lgkmcnt(0)
                                        ; implicit-def: $vgpr108
	s_and_saveexec_b64 s[18:19], s[0:1]
	s_cbranch_execz .LBB2179_79
; %bb.78:
	v_lshl_add_u32 v9, v106, 2, -4
	ds_read_b32 v108, v9
	s_waitcnt lgkmcnt(0)
	v_add_u32_e32 v8, v108, v8
.LBB2179_79:
	s_or_b64 exec, exec, s[18:19]
	v_add_u32_e32 v9, -1, v105
	v_and_b32_e32 v24, 64, v105
	v_cmp_lt_i32_e64 s[0:1], v9, v24
	v_cmp_eq_u32_e64 s[18:19], 0, v105
	s_nop 0
	v_cndmask_b32_e64 v9, v9, v105, s[0:1]
	v_lshlrev_b32_e32 v9, 2, v9
	ds_bpermute_b32 v109, v9, v8
	s_and_saveexec_b64 s[0:1], vcc
	s_cbranch_execz .LBB2179_102
; %bb.80:
	v_mov_b32_e32 v31, 0
	ds_read_b32 v8, v31 offset:28
	s_and_saveexec_b64 s[26:27], s[18:19]
	s_cbranch_execz .LBB2179_82
; %bb.81:
	s_add_i32 s36, s40, 64
	s_mov_b32 s37, 0
	s_lshl_b64 s[36:37], s[36:37], 3
	s_add_u32 s36, s34, s36
	v_mov_b32_e32 v9, 1
	s_addc_u32 s37, s35, s37
	s_waitcnt lgkmcnt(0)
	global_store_dwordx2 v31, v[8:9], s[36:37] sc1
.LBB2179_82:
	s_or_b64 exec, exec, s[26:27]
	v_xad_u32 v24, v105, -1, s40
	v_add_u32_e32 v30, 64, v24
	v_lshl_add_u64 v[26:27], v[30:31], 3, s[34:35]
	global_load_dwordx2 v[28:29], v[26:27], off sc1
	s_waitcnt vmcnt(0)
	v_cmp_eq_u16_sdwa s[36:37], v29, v31 src0_sel:BYTE_0 src1_sel:DWORD
	s_and_saveexec_b64 s[26:27], s[36:37]
	s_cbranch_execz .LBB2179_88
; %bb.83:
	s_mov_b32 s41, 1
	s_mov_b64 s[36:37], 0
	v_mov_b32_e32 v9, 0
.LBB2179_84:                            ; =>This Loop Header: Depth=1
                                        ;     Child Loop BB2179_85 Depth 2
	s_max_u32 s42, s41, 1
.LBB2179_85:                            ;   Parent Loop BB2179_84 Depth=1
                                        ; =>  This Inner Loop Header: Depth=2
	s_add_i32 s42, s42, -1
	s_cmp_eq_u32 s42, 0
	s_sleep 1
	s_cbranch_scc0 .LBB2179_85
; %bb.86:                               ;   in Loop: Header=BB2179_84 Depth=1
	global_load_dwordx2 v[28:29], v[26:27], off sc1
	s_cmp_lt_u32 s41, 32
	s_cselect_b64 s[42:43], -1, 0
	s_cmp_lg_u64 s[42:43], 0
	s_addc_u32 s41, s41, 0
	s_waitcnt vmcnt(0)
	v_cmp_ne_u16_sdwa s[42:43], v29, v9 src0_sel:BYTE_0 src1_sel:DWORD
	s_or_b64 s[36:37], s[42:43], s[36:37]
	s_andn2_b64 exec, exec, s[36:37]
	s_cbranch_execnz .LBB2179_84
; %bb.87:
	s_or_b64 exec, exec, s[36:37]
.LBB2179_88:
	s_or_b64 exec, exec, s[26:27]
	v_and_b32_e32 v111, 63, v105
	v_mov_b32_e32 v110, 2
	v_cmp_ne_u32_e32 vcc, 63, v111
	v_cmp_eq_u16_sdwa s[26:27], v29, v110 src0_sel:BYTE_0 src1_sel:DWORD
	v_lshlrev_b64 v[26:27], v105, -1
	v_addc_co_u32_e32 v30, vcc, 0, v105, vcc
	v_and_b32_e32 v9, s27, v27
	v_lshlrev_b32_e32 v112, 2, v30
	v_or_b32_e32 v9, 0x80000000, v9
	ds_bpermute_b32 v30, v112, v28
	v_and_b32_e32 v25, s26, v26
	v_ffbl_b32_e32 v9, v9
	v_add_u32_e32 v9, 32, v9
	v_ffbl_b32_e32 v25, v25
	v_min_u32_e32 v9, v25, v9
	v_cmp_lt_u32_e32 vcc, v111, v9
	v_add_u32_e32 v114, 2, v111
	v_add_u32_e32 v116, 4, v111
	s_waitcnt lgkmcnt(0)
	v_cndmask_b32_e32 v25, 0, v30, vcc
	v_cmp_gt_u32_e32 vcc, 62, v111
	v_add_u32_e32 v25, v25, v28
	v_add_u32_e32 v118, 8, v111
	v_cndmask_b32_e64 v28, 0, 1, vcc
	v_lshlrev_b32_e32 v28, 1, v28
	v_add_lshl_u32 v113, v28, v105, 2
	ds_bpermute_b32 v28, v113, v25
	v_cmp_le_u32_e32 vcc, v114, v9
	v_add_u32_e32 v120, 16, v111
	v_add_u32_e32 v122, 32, v111
	s_waitcnt lgkmcnt(0)
	v_cndmask_b32_e32 v28, 0, v28, vcc
	v_cmp_gt_u32_e32 vcc, 60, v111
	v_add_u32_e32 v25, v25, v28
	s_nop 0
	v_cndmask_b32_e64 v28, 0, 1, vcc
	v_lshlrev_b32_e32 v28, 2, v28
	v_add_lshl_u32 v115, v28, v105, 2
	ds_bpermute_b32 v28, v115, v25
	v_cmp_le_u32_e32 vcc, v116, v9
	s_waitcnt lgkmcnt(0)
	s_nop 0
	v_cndmask_b32_e32 v28, 0, v28, vcc
	v_cmp_gt_u32_e32 vcc, 56, v111
	v_add_u32_e32 v25, v25, v28
	s_nop 0
	v_cndmask_b32_e64 v28, 0, 1, vcc
	v_lshlrev_b32_e32 v28, 3, v28
	v_add_lshl_u32 v117, v28, v105, 2
	ds_bpermute_b32 v28, v117, v25
	v_cmp_le_u32_e32 vcc, v118, v9
	s_waitcnt lgkmcnt(0)
	s_nop 0
	;; [unrolled: 11-line block ×4, first 2 shown]
	v_cndmask_b32_e32 v9, 0, v28, vcc
	v_add_u32_e32 v28, v25, v9
	v_mov_b32_e32 v25, 0
	s_branch .LBB2179_90
.LBB2179_89:                            ;   in Loop: Header=BB2179_90 Depth=1
	s_or_b64 exec, exec, s[26:27]
	v_cmp_eq_u16_sdwa s[26:27], v29, v110 src0_sel:BYTE_0 src1_sel:DWORD
	ds_bpermute_b32 v123, v112, v28
	v_subrev_u32_e32 v24, 64, v24
	v_and_b32_e32 v30, s27, v27
	v_or_b32_e32 v30, 0x80000000, v30
	v_and_b32_e32 v31, s26, v26
	v_ffbl_b32_e32 v30, v30
	v_add_u32_e32 v30, 32, v30
	v_ffbl_b32_e32 v31, v31
	v_min_u32_e32 v30, v31, v30
	v_cmp_lt_u32_e32 vcc, v111, v30
	s_waitcnt lgkmcnt(0)
	s_nop 0
	v_cndmask_b32_e32 v31, 0, v123, vcc
	v_add_u32_e32 v28, v31, v28
	ds_bpermute_b32 v31, v113, v28
	v_cmp_le_u32_e32 vcc, v114, v30
	s_waitcnt lgkmcnt(0)
	s_nop 0
	v_cndmask_b32_e32 v31, 0, v31, vcc
	v_add_u32_e32 v28, v28, v31
	ds_bpermute_b32 v31, v115, v28
	v_cmp_le_u32_e32 vcc, v116, v30
	;; [unrolled: 6-line block ×5, first 2 shown]
	s_waitcnt lgkmcnt(0)
	s_nop 0
	v_cndmask_b32_e32 v30, 0, v31, vcc
	v_add3_u32 v28, v30, v9, v28
.LBB2179_90:                            ; =>This Loop Header: Depth=1
                                        ;     Child Loop BB2179_93 Depth 2
                                        ;       Child Loop BB2179_94 Depth 3
	v_cmp_ne_u16_sdwa s[26:27], v29, v110 src0_sel:BYTE_0 src1_sel:DWORD
	s_nop 1
	v_cndmask_b32_e64 v9, 0, 1, s[26:27]
	;;#ASMSTART
	;;#ASMEND
	s_nop 0
	v_cmp_ne_u32_e32 vcc, 0, v9
	s_cmp_lg_u64 vcc, exec
	v_mov_b32_e32 v9, v28
	s_cbranch_scc1 .LBB2179_97
; %bb.91:                               ;   in Loop: Header=BB2179_90 Depth=1
	v_lshl_add_u64 v[30:31], v[24:25], 3, s[34:35]
	global_load_dwordx2 v[28:29], v[30:31], off sc1
	s_waitcnt vmcnt(0)
	v_cmp_eq_u16_sdwa s[36:37], v29, v25 src0_sel:BYTE_0 src1_sel:DWORD
	s_and_saveexec_b64 s[26:27], s[36:37]
	s_cbranch_execz .LBB2179_89
; %bb.92:                               ;   in Loop: Header=BB2179_90 Depth=1
	s_mov_b32 s41, 1
	s_mov_b64 s[36:37], 0
.LBB2179_93:                            ;   Parent Loop BB2179_90 Depth=1
                                        ; =>  This Loop Header: Depth=2
                                        ;       Child Loop BB2179_94 Depth 3
	s_max_u32 s42, s41, 1
.LBB2179_94:                            ;   Parent Loop BB2179_90 Depth=1
                                        ;     Parent Loop BB2179_93 Depth=2
                                        ; =>    This Inner Loop Header: Depth=3
	s_add_i32 s42, s42, -1
	s_cmp_eq_u32 s42, 0
	s_sleep 1
	s_cbranch_scc0 .LBB2179_94
; %bb.95:                               ;   in Loop: Header=BB2179_93 Depth=2
	global_load_dwordx2 v[28:29], v[30:31], off sc1
	s_cmp_lt_u32 s41, 32
	s_cselect_b64 s[42:43], -1, 0
	s_cmp_lg_u64 s[42:43], 0
	s_addc_u32 s41, s41, 0
	s_waitcnt vmcnt(0)
	v_cmp_ne_u16_sdwa s[42:43], v29, v25 src0_sel:BYTE_0 src1_sel:DWORD
	s_or_b64 s[36:37], s[42:43], s[36:37]
	s_andn2_b64 exec, exec, s[36:37]
	s_cbranch_execnz .LBB2179_93
; %bb.96:                               ;   in Loop: Header=BB2179_90 Depth=1
	s_or_b64 exec, exec, s[36:37]
	s_branch .LBB2179_89
.LBB2179_97:                            ;   in Loop: Header=BB2179_90 Depth=1
                                        ; implicit-def: $vgpr28
                                        ; implicit-def: $vgpr29
	s_cbranch_execz .LBB2179_90
; %bb.98:
	s_and_saveexec_b64 s[26:27], s[18:19]
	s_cbranch_execz .LBB2179_100
; %bb.99:
	s_add_i32 s36, s40, 64
	s_mov_b32 s37, 0
	s_lshl_b64 s[36:37], s[36:37], 3
	s_add_u32 s36, s34, s36
	v_add_u32_e32 v24, v9, v8
	v_mov_b32_e32 v25, 2
	s_addc_u32 s37, s35, s37
	v_mov_b32_e32 v26, 0
	global_store_dwordx2 v26, v[24:25], s[36:37] sc1
	ds_write_b64 v26, v[8:9] offset:30720
.LBB2179_100:
	s_or_b64 exec, exec, s[26:27]
	s_and_b64 exec, exec, s[20:21]
	s_cbranch_execz .LBB2179_102
; %bb.101:
	v_mov_b32_e32 v8, 0
	ds_write_b32 v8, v9 offset:28
.LBB2179_102:
	s_or_b64 exec, exec, s[0:1]
	v_mov_b32_e32 v8, 0
	s_waitcnt lgkmcnt(0)
	s_barrier
	ds_read_b32 v24, v8 offset:28
	s_waitcnt lgkmcnt(0)
	s_barrier
	ds_read_b64 v[8:9], v8 offset:30720
	v_cndmask_b32_e64 v25, v109, v108, s[18:19]
	v_cndmask_b32_e64 v25, v25, 0, s[20:21]
	v_add_u32_e32 v25, v24, v25
	s_waitcnt lgkmcnt(0)
	v_mov_b32_e32 v24, v9
	s_branch .LBB2179_113
.LBB2179_103:
                                        ; implicit-def: $vgpr24
                                        ; implicit-def: $vgpr8
                                        ; implicit-def: $vgpr25
	s_cbranch_execz .LBB2179_113
; %bb.104:
	s_nop 0
	v_mov_b32_dpp v8, v107 row_shr:1 row_mask:0xf bank_mask:0xf
	v_cndmask_b32_e64 v8, v8, 0, s[16:17]
	v_add_u32_e32 v8, v8, v107
	s_nop 1
	v_mov_b32_dpp v9, v8 row_shr:2 row_mask:0xf bank_mask:0xf
	v_cndmask_b32_e64 v9, 0, v9, s[14:15]
	v_add_u32_e32 v8, v8, v9
	;; [unrolled: 4-line block ×4, first 2 shown]
	s_nop 1
	v_mov_b32_dpp v9, v8 row_bcast:15 row_mask:0xf bank_mask:0xf
	v_cndmask_b32_e64 v9, v9, 0, s[8:9]
	v_add_u32_e32 v8, v8, v9
	s_nop 1
	v_mov_b32_dpp v9, v8 row_bcast:31 row_mask:0xf bank_mask:0xf
	v_cndmask_b32_e64 v9, 0, v9, s[4:5]
	v_add_u32_e32 v8, v8, v9
	s_and_saveexec_b64 s[0:1], s[6:7]
	s_cbranch_execz .LBB2179_106
; %bb.105:
	v_lshlrev_b32_e32 v9, 2, v106
	ds_write_b32 v9, v8
.LBB2179_106:
	s_or_b64 exec, exec, s[0:1]
	v_cmp_gt_u32_e32 vcc, 8, v0
	s_waitcnt lgkmcnt(0)
	s_barrier
	s_and_saveexec_b64 s[0:1], vcc
	s_cbranch_execz .LBB2179_108
; %bb.107:
	v_lshlrev_b32_e32 v9, 2, v0
	ds_read_b32 v24, v9
	v_and_b32_e32 v25, 7, v105
	v_cmp_ne_u32_e32 vcc, 0, v25
	s_waitcnt lgkmcnt(0)
	v_mov_b32_dpp v26, v24 row_shr:1 row_mask:0xf bank_mask:0xf
	v_cndmask_b32_e32 v26, 0, v26, vcc
	v_add_u32_e32 v24, v26, v24
	v_cmp_lt_u32_e32 vcc, 1, v25
	s_nop 0
	v_mov_b32_dpp v26, v24 row_shr:2 row_mask:0xf bank_mask:0xf
	v_cndmask_b32_e32 v26, 0, v26, vcc
	v_add_u32_e32 v24, v24, v26
	v_cmp_lt_u32_e32 vcc, 3, v25
	s_nop 0
	v_mov_b32_dpp v26, v24 row_shr:4 row_mask:0xf bank_mask:0xf
	v_cndmask_b32_e32 v25, 0, v26, vcc
	v_add_u32_e32 v24, v24, v25
	ds_write_b32 v9, v24
.LBB2179_108:
	s_or_b64 exec, exec, s[0:1]
	v_cmp_lt_u32_e32 vcc, 63, v0
	v_mov_b32_e32 v9, 0
	v_mov_b32_e32 v24, 0
	s_waitcnt lgkmcnt(0)
	s_barrier
	s_and_saveexec_b64 s[0:1], vcc
	s_cbranch_execz .LBB2179_110
; %bb.109:
	v_lshl_add_u32 v24, v106, 2, -4
	ds_read_b32 v24, v24
.LBB2179_110:
	s_or_b64 exec, exec, s[0:1]
	v_add_u32_e32 v25, -1, v105
	v_and_b32_e32 v26, 64, v105
	v_cmp_lt_i32_e32 vcc, v25, v26
	s_waitcnt lgkmcnt(0)
	v_add_u32_e32 v8, v24, v8
	v_cndmask_b32_e32 v25, v25, v105, vcc
	v_lshlrev_b32_e32 v25, 2, v25
	ds_bpermute_b32 v25, v25, v8
	ds_read_b32 v8, v9 offset:28
	s_and_saveexec_b64 s[0:1], s[20:21]
	s_cbranch_execz .LBB2179_112
; %bb.111:
	v_mov_b32_e32 v26, 0
	v_mov_b32_e32 v9, 2
	s_waitcnt lgkmcnt(0)
	global_store_dwordx2 v26, v[8:9], s[34:35] offset:512 sc1
.LBB2179_112:
	s_or_b64 exec, exec, s[0:1]
	v_cmp_eq_u32_e32 vcc, 0, v105
	s_waitcnt lgkmcnt(0)
	s_barrier
	v_cndmask_b32_e32 v9, v25, v24, vcc
	v_mov_b32_e32 v24, 0
	v_cndmask_b32_e64 v25, v9, 0, s[20:21]
.LBB2179_113:
	v_add_u32_e32 v9, v25, v77
	v_add_u32_e32 v26, v9, v78
	;; [unrolled: 1-line block ×22, first 2 shown]
	v_sub_u32_e32 v25, v25, v24
	v_and_b32_e32 v76, 1, v76
	v_add_u32_e32 v91, v90, v98
	v_sub_u32_e32 v98, v44, v25
	v_cmp_eq_u32_e32 vcc, 1, v76
	v_sub_u32_e32 v9, v9, v24
	v_add_u32_e32 v92, v91, v99
	v_cndmask_b32_e32 v25, v98, v25, vcc
	v_lshlrev_b32_e32 v25, 1, v25
	ds_write_b16 v25, v22
	v_sub_u32_e32 v22, v44, v9
	v_and_b32_e32 v25, 1, v75
	v_add_u32_e32 v22, 1, v22
	v_cmp_eq_u32_e32 vcc, 1, v25
	v_and_b32_e32 v25, 1, v74
	v_add_u32_e32 v93, v92, v100
	v_cndmask_b32_e32 v9, v22, v9, vcc
	v_lshlrev_b32_e32 v9, 1, v9
	ds_write_b16 v9, v46
	v_sub_u32_e32 v9, v26, v24
	v_sub_u32_e32 v22, v44, v9
	v_add_u32_e32 v22, 2, v22
	v_cmp_eq_u32_e32 vcc, 1, v25
	v_add_u32_e32 v94, v93, v101
	v_add_u32_e32 v95, v94, v102
	v_cndmask_b32_e32 v9, v22, v9, vcc
	v_lshlrev_b32_e32 v9, 1, v9
	ds_write_b16 v9, v23
	v_sub_u32_e32 v9, v27, v24
	v_sub_u32_e32 v22, v44, v9
	v_and_b32_e32 v23, 1, v73
	v_add_u32_e32 v22, 3, v22
	v_cmp_eq_u32_e32 vcc, 1, v23
	v_and_b32_e32 v23, 1, v72
	v_add_u32_e32 v96, v95, v103
	v_cndmask_b32_e32 v9, v22, v9, vcc
	v_lshlrev_b32_e32 v9, 1, v9
	ds_write_b16 v9, v45
	v_sub_u32_e32 v9, v28, v24
	v_sub_u32_e32 v22, v44, v9
	v_add_u32_e32 v22, 4, v22
	v_cmp_eq_u32_e32 vcc, 1, v23
	v_add_u32_e32 v97, v96, v104
	v_mov_b32_e32 v25, 0
	v_cndmask_b32_e32 v9, v22, v9, vcc
	v_lshlrev_b32_e32 v9, 1, v9
	ds_write_b16 v9, v20
	v_sub_u32_e32 v9, v29, v24
	v_sub_u32_e32 v20, v44, v9
	v_and_b32_e32 v22, 1, v71
	v_add_u32_e32 v20, 5, v20
	v_cmp_eq_u32_e32 vcc, 1, v22
	v_and_b32_e32 v22, 1, v70
	v_or_b32_e32 v45, 0x1a00, v0
	v_cndmask_b32_e32 v9, v20, v9, vcc
	v_lshlrev_b32_e32 v9, 1, v9
	ds_write_b16 v9, v43
	v_sub_u32_e32 v9, v30, v24
	v_sub_u32_e32 v20, v44, v9
	v_add_u32_e32 v20, 6, v20
	v_cmp_eq_u32_e32 vcc, 1, v22
	v_or_b32_e32 v43, 0x1c00, v0
	v_or_b32_e32 v29, 0x2a00, v0
	v_cndmask_b32_e32 v9, v20, v9, vcc
	v_lshlrev_b32_e32 v9, 1, v9
	ds_write_b16 v9, v21
	v_sub_u32_e32 v9, v31, v24
	v_sub_u32_e32 v20, v44, v9
	v_and_b32_e32 v21, 1, v69
	v_add_u32_e32 v20, 7, v20
	v_cmp_eq_u32_e32 vcc, 1, v21
	v_and_b32_e32 v21, 1, v68
	v_or_b32_e32 v69, 0x200, v0
	v_cndmask_b32_e32 v9, v20, v9, vcc
	v_lshlrev_b32_e32 v9, 1, v9
	ds_write_b16 v9, v42
	v_sub_u32_e32 v9, v77, v24
	v_sub_u32_e32 v20, v44, v9
	v_add_u32_e32 v20, 8, v20
	v_cmp_eq_u32_e32 vcc, 1, v21
	v_or_b32_e32 v31, 0x2800, v0
	v_or_b32_e32 v27, 0x2c00, v0
	;; [unrolled: 19-line block ×4, first 2 shown]
	v_cndmask_b32_e32 v9, v18, v9, vcc
	v_lshlrev_b32_e32 v9, 1, v9
	ds_write_b16 v9, v16
	v_sub_u32_e32 v9, v82, v24
	v_sub_u32_e32 v16, v44, v9
	v_and_b32_e32 v18, 1, v63
	v_add_u32_e32 v16, 13, v16
	v_cmp_eq_u32_e32 vcc, 1, v18
	v_and_b32_e32 v18, 1, v62
	v_or_b32_e32 v63, 0x800, v0
	v_cndmask_b32_e32 v9, v16, v9, vcc
	v_lshlrev_b32_e32 v9, 1, v9
	ds_write_b16 v9, v39
	v_sub_u32_e32 v9, v83, v24
	v_sub_u32_e32 v16, v44, v9
	v_add_u32_e32 v16, 14, v16
	v_cmp_eq_u32_e32 vcc, 1, v18
	v_or_b32_e32 v39, 0x2000, v0
	s_nop 0
	v_cndmask_b32_e32 v9, v16, v9, vcc
	v_lshlrev_b32_e32 v9, 1, v9
	ds_write_b16 v9, v17
	v_sub_u32_e32 v9, v84, v24
	v_sub_u32_e32 v16, v44, v9
	v_and_b32_e32 v17, 1, v61
	v_add_u32_e32 v16, 15, v16
	v_cmp_eq_u32_e32 vcc, 1, v17
	v_and_b32_e32 v17, 1, v60
	v_or_b32_e32 v61, 0xa00, v0
	v_cndmask_b32_e32 v9, v16, v9, vcc
	v_lshlrev_b32_e32 v9, 1, v9
	ds_write_b16 v9, v38
	v_sub_u32_e32 v9, v85, v24
	v_sub_u32_e32 v16, v44, v9
	v_add_u32_e32 v16, 16, v16
	v_cmp_eq_u32_e32 vcc, 1, v17
	v_or_b32_e32 v17, 0x3400, v0
	s_nop 0
	;; [unrolled: 19-line block ×7, first 2 shown]
	v_cndmask_b32_e32 v9, v10, v9, vcc
	v_lshlrev_b32_e32 v9, 1, v9
	ds_write_b16 v9, v11
	v_sub_u32_e32 v9, v96, v24
	v_sub_u32_e32 v10, v44, v9
	v_and_b32_e32 v11, 1, v49
	v_add_u32_e32 v10, 27, v10
	v_cmp_eq_u32_e32 vcc, 1, v11
	v_and_b32_e32 v11, 1, v47
	v_or_b32_e32 v49, 0x1600, v0
	v_cndmask_b32_e32 v9, v10, v9, vcc
	v_lshlrev_b32_e32 v9, 1, v9
	ds_write_b16 v9, v32
	v_sub_u32_e32 v9, v97, v24
	v_sub_u32_e32 v10, v44, v9
	v_add_u32_e32 v10, 28, v10
	v_cmp_eq_u32_e32 vcc, 1, v11
	s_nop 1
	v_cndmask_b32_e32 v9, v10, v9, vcc
	v_lshlrev_b32_e32 v9, 1, v9
	ds_write_b16 v9, v3
	v_sub_u32_sdwa v3, v47, v24 dst_sel:DWORD dst_unused:UNUSED_PAD src0_sel:BYTE_0 src1_sel:DWORD
	v_add_u32_e32 v3, v97, v3
	v_sub_u32_e32 v9, v44, v3
	v_and_b32_e32 v10, 1, v48
	v_add_u32_e32 v9, 29, v9
	v_cmp_eq_u32_e32 vcc, 1, v10
	s_waitcnt vmcnt(0)
	v_lshl_add_u64 v[10:11], v[4:5], 0, v[24:25]
	v_or_b32_e32 v47, 0x1800, v0
	v_cndmask_b32_e32 v3, v9, v3, vcc
	v_lshlrev_b32_e32 v3, 1, v3
	ds_write_b16 v3, v1
	s_waitcnt lgkmcnt(0)
	s_barrier
	ds_read_u16 v71, v2
	ds_read_u16 v70, v2 offset:1024
	ds_read_u16 v68, v2 offset:2048
	;; [unrolled: 1-line block ×29, first 2 shown]
	v_mov_b32_e32 v9, v25
	v_lshl_add_u64 v[4:5], v[10:11], 0, v[8:9]
	v_mov_b32_e32 v3, s39
	v_sub_co_u32_e32 v72, vcc, s38, v4
	v_lshlrev_b64 v[10:11], 1, v[10:11]
	s_nop 0
	v_subb_co_u32_e32 v73, vcc, v3, v5, vcc
	v_lshlrev_b64 v[72:73], 1, v[72:73]
	v_lshl_add_u64 v[72:73], s[30:31], 0, v[72:73]
	v_or_b32_e32 v1, 0x3a00, v0
	v_lshl_add_u64 v[6:7], v[72:73], 0, v[6:7]
	s_and_b64 vcc, exec, s[2:3]
	v_lshl_add_u64 v[10:11], s[28:29], 0, v[10:11]
	s_cbranch_vccnz .LBB2179_115
; %bb.114:
	v_cmp_lt_u32_e32 vcc, v0, v8
	v_mov_b32_e32 v3, v25
	v_lshlrev_b32_e32 v24, 1, v63
	v_cndmask_b32_e32 v73, v7, v11, vcc
	v_cndmask_b32_e32 v72, v6, v10, vcc
	v_lshl_add_u64 v[72:73], v[72:73], 0, v[2:3]
	v_cmp_lt_u32_e32 vcc, v69, v8
	s_waitcnt lgkmcnt(14)
	global_store_short v[72:73], v71, off
	v_cndmask_b32_e32 v73, v7, v11, vcc
	v_cndmask_b32_e32 v72, v6, v10, vcc
	v_lshl_add_u64 v[72:73], v[72:73], 0, v[2:3]
	v_cmp_lt_u32_e32 vcc, v67, v8
	global_store_short v[72:73], v70, off offset:1024
	s_mov_b64 s[0:1], -1
	v_cndmask_b32_e32 v73, v7, v11, vcc
	v_cndmask_b32_e32 v72, v6, v10, vcc
	v_lshl_add_u64 v[72:73], v[72:73], 0, v[2:3]
	v_cmp_lt_u32_e32 vcc, v65, v8
	global_store_short v[72:73], v68, off offset:2048
	s_nop 0
	v_cndmask_b32_e32 v73, v7, v11, vcc
	v_cndmask_b32_e32 v72, v6, v10, vcc
	v_lshl_add_u64 v[72:73], v[72:73], 0, v[2:3]
	v_cmp_lt_u32_e32 vcc, v63, v8
	global_store_short v[72:73], v66, off offset:3072
	s_nop 0
	v_cndmask_b32_e32 v73, v7, v11, vcc
	v_cndmask_b32_e32 v72, v6, v10, vcc
	v_lshl_add_u64 v[72:73], v[72:73], 0, v[24:25]
	v_cmp_lt_u32_e32 vcc, v61, v8
	global_store_short v[72:73], v64, off
	v_lshlrev_b32_e32 v24, 1, v61
	v_cndmask_b32_e32 v73, v7, v11, vcc
	v_cndmask_b32_e32 v72, v6, v10, vcc
	v_lshl_add_u64 v[72:73], v[72:73], 0, v[24:25]
	v_cmp_lt_u32_e32 vcc, v59, v8
	global_store_short v[72:73], v62, off
	v_lshlrev_b32_e32 v24, 1, v59
	;; [unrolled: 6-line block ×12, first 2 shown]
	v_cndmask_b32_e32 v73, v7, v11, vcc
	v_cndmask_b32_e32 v72, v6, v10, vcc
	v_lshl_add_u64 v[72:73], v[72:73], 0, v[24:25]
	v_cmp_lt_u32_e32 vcc, v37, v8
	s_waitcnt lgkmcnt(13)
	global_store_short v[72:73], v40, off
	v_lshlrev_b32_e32 v24, 1, v37
	v_cndmask_b32_e32 v73, v7, v11, vcc
	v_cndmask_b32_e32 v72, v6, v10, vcc
	v_lshl_add_u64 v[72:73], v[72:73], 0, v[24:25]
	v_cmp_lt_u32_e32 vcc, v35, v8
	s_waitcnt lgkmcnt(12)
	global_store_short v[72:73], v38, off
	v_lshlrev_b32_e32 v24, 1, v35
	;; [unrolled: 7-line block ×12, first 2 shown]
	v_cndmask_b32_e32 v73, v7, v11, vcc
	v_cndmask_b32_e32 v72, v6, v10, vcc
	v_lshl_add_u64 v[24:25], v[72:73], 0, v[24:25]
	s_waitcnt lgkmcnt(1)
	global_store_short v[24:25], v14, off
	s_cbranch_execz .LBB2179_116
	s_branch .LBB2179_147
.LBB2179_115:
	s_mov_b64 s[0:1], 0
.LBB2179_116:
	v_cmp_gt_u32_e32 vcc, s33, v0
	s_and_saveexec_b64 s[0:1], vcc
	s_cbranch_execnz .LBB2179_152
; %bb.117:
	s_or_b64 exec, exec, s[0:1]
	v_cmp_gt_u32_e32 vcc, s33, v69
	s_and_saveexec_b64 s[0:1], vcc
	s_cbranch_execnz .LBB2179_153
.LBB2179_118:
	s_or_b64 exec, exec, s[0:1]
	v_cmp_gt_u32_e32 vcc, s33, v67
	s_and_saveexec_b64 s[0:1], vcc
	s_cbranch_execnz .LBB2179_154
.LBB2179_119:
	s_or_b64 exec, exec, s[0:1]
	v_cmp_gt_u32_e32 vcc, s33, v65
	s_and_saveexec_b64 s[0:1], vcc
	s_cbranch_execnz .LBB2179_155
.LBB2179_120:
	s_or_b64 exec, exec, s[0:1]
	v_cmp_gt_u32_e32 vcc, s33, v63
	s_and_saveexec_b64 s[0:1], vcc
	s_cbranch_execnz .LBB2179_156
.LBB2179_121:
	s_or_b64 exec, exec, s[0:1]
	v_cmp_gt_u32_e32 vcc, s33, v61
	s_and_saveexec_b64 s[0:1], vcc
	s_cbranch_execnz .LBB2179_157
.LBB2179_122:
	s_or_b64 exec, exec, s[0:1]
	v_cmp_gt_u32_e32 vcc, s33, v59
	s_and_saveexec_b64 s[0:1], vcc
	s_cbranch_execnz .LBB2179_158
.LBB2179_123:
	s_or_b64 exec, exec, s[0:1]
	v_cmp_gt_u32_e32 vcc, s33, v57
	s_and_saveexec_b64 s[0:1], vcc
	s_cbranch_execnz .LBB2179_159
.LBB2179_124:
	s_or_b64 exec, exec, s[0:1]
	v_cmp_gt_u32_e32 vcc, s33, v55
	s_and_saveexec_b64 s[0:1], vcc
	s_cbranch_execnz .LBB2179_160
.LBB2179_125:
	s_or_b64 exec, exec, s[0:1]
	v_cmp_gt_u32_e32 vcc, s33, v53
	s_and_saveexec_b64 s[0:1], vcc
	s_cbranch_execnz .LBB2179_161
.LBB2179_126:
	s_or_b64 exec, exec, s[0:1]
	v_cmp_gt_u32_e32 vcc, s33, v51
	s_and_saveexec_b64 s[0:1], vcc
	s_cbranch_execnz .LBB2179_162
.LBB2179_127:
	s_or_b64 exec, exec, s[0:1]
	v_cmp_gt_u32_e32 vcc, s33, v49
	s_and_saveexec_b64 s[0:1], vcc
	s_cbranch_execnz .LBB2179_163
.LBB2179_128:
	s_or_b64 exec, exec, s[0:1]
	v_cmp_gt_u32_e32 vcc, s33, v47
	s_and_saveexec_b64 s[0:1], vcc
	s_cbranch_execnz .LBB2179_164
.LBB2179_129:
	s_or_b64 exec, exec, s[0:1]
	v_cmp_gt_u32_e32 vcc, s33, v45
	s_and_saveexec_b64 s[0:1], vcc
	s_cbranch_execnz .LBB2179_165
.LBB2179_130:
	s_or_b64 exec, exec, s[0:1]
	v_cmp_gt_u32_e32 vcc, s33, v43
	s_and_saveexec_b64 s[0:1], vcc
	s_cbranch_execnz .LBB2179_166
.LBB2179_131:
	s_or_b64 exec, exec, s[0:1]
	v_cmp_gt_u32_e32 vcc, s33, v41
	s_and_saveexec_b64 s[0:1], vcc
	s_cbranch_execnz .LBB2179_167
.LBB2179_132:
	s_or_b64 exec, exec, s[0:1]
	v_cmp_gt_u32_e32 vcc, s33, v39
	s_and_saveexec_b64 s[0:1], vcc
	s_cbranch_execnz .LBB2179_168
.LBB2179_133:
	s_or_b64 exec, exec, s[0:1]
	v_cmp_gt_u32_e32 vcc, s33, v37
	s_and_saveexec_b64 s[0:1], vcc
	s_cbranch_execnz .LBB2179_169
.LBB2179_134:
	s_or_b64 exec, exec, s[0:1]
	v_cmp_gt_u32_e32 vcc, s33, v35
	s_and_saveexec_b64 s[0:1], vcc
	s_cbranch_execnz .LBB2179_170
.LBB2179_135:
	s_or_b64 exec, exec, s[0:1]
	v_cmp_gt_u32_e32 vcc, s33, v33
	s_and_saveexec_b64 s[0:1], vcc
	s_cbranch_execnz .LBB2179_171
.LBB2179_136:
	s_or_b64 exec, exec, s[0:1]
	v_cmp_gt_u32_e32 vcc, s33, v31
	s_and_saveexec_b64 s[0:1], vcc
	s_cbranch_execnz .LBB2179_172
.LBB2179_137:
	s_or_b64 exec, exec, s[0:1]
	v_cmp_gt_u32_e32 vcc, s33, v29
	s_and_saveexec_b64 s[0:1], vcc
	s_cbranch_execnz .LBB2179_173
.LBB2179_138:
	s_or_b64 exec, exec, s[0:1]
	v_cmp_gt_u32_e32 vcc, s33, v27
	s_and_saveexec_b64 s[0:1], vcc
	s_cbranch_execnz .LBB2179_174
.LBB2179_139:
	s_or_b64 exec, exec, s[0:1]
	v_cmp_gt_u32_e32 vcc, s33, v23
	s_and_saveexec_b64 s[0:1], vcc
	s_cbranch_execnz .LBB2179_175
.LBB2179_140:
	s_or_b64 exec, exec, s[0:1]
	v_cmp_gt_u32_e32 vcc, s33, v21
	s_and_saveexec_b64 s[0:1], vcc
	s_cbranch_execnz .LBB2179_176
.LBB2179_141:
	s_or_b64 exec, exec, s[0:1]
	v_cmp_gt_u32_e32 vcc, s33, v19
	s_and_saveexec_b64 s[0:1], vcc
	s_cbranch_execnz .LBB2179_177
.LBB2179_142:
	s_or_b64 exec, exec, s[0:1]
	v_cmp_gt_u32_e32 vcc, s33, v17
	s_and_saveexec_b64 s[0:1], vcc
	s_cbranch_execnz .LBB2179_178
.LBB2179_143:
	s_or_b64 exec, exec, s[0:1]
	v_cmp_gt_u32_e32 vcc, s33, v15
	s_and_saveexec_b64 s[0:1], vcc
	s_cbranch_execnz .LBB2179_179
.LBB2179_144:
	s_or_b64 exec, exec, s[0:1]
	v_cmp_gt_u32_e32 vcc, s33, v13
	s_and_saveexec_b64 s[0:1], vcc
	s_cbranch_execz .LBB2179_146
.LBB2179_145:
	v_cmp_lt_u32_e32 vcc, v13, v8
	s_waitcnt lgkmcnt(2)
	v_lshlrev_b32_e32 v16, 1, v13
	v_mov_b32_e32 v17, 0
	v_cndmask_b32_e32 v3, v7, v11, vcc
	v_cndmask_b32_e32 v2, v6, v10, vcc
	v_lshl_add_u64 v[2:3], v[2:3], 0, v[16:17]
	s_waitcnt lgkmcnt(1)
	global_store_short v[2:3], v14, off
.LBB2179_146:
	s_or_b64 exec, exec, s[0:1]
	v_cmp_gt_u32_e64 s[0:1], s33, v1
.LBB2179_147:
	s_and_saveexec_b64 s[2:3], s[0:1]
	s_cbranch_execnz .LBB2179_150
; %bb.148:
	s_or_b64 exec, exec, s[2:3]
	s_and_b64 s[0:1], s[20:21], s[22:23]
	s_and_saveexec_b64 s[2:3], s[0:1]
	s_cbranch_execnz .LBB2179_151
.LBB2179_149:
	s_endpgm
.LBB2179_150:
	v_cmp_lt_u32_e32 vcc, v1, v8
	v_lshlrev_b32_e32 v0, 1, v1
	v_mov_b32_e32 v1, 0
	v_cndmask_b32_e32 v3, v7, v11, vcc
	v_cndmask_b32_e32 v2, v6, v10, vcc
	v_lshl_add_u64 v[0:1], v[2:3], 0, v[0:1]
	s_waitcnt lgkmcnt(0)
	global_store_short v[0:1], v12, off
	s_or_b64 exec, exec, s[2:3]
	s_and_b64 s[0:1], s[20:21], s[22:23]
	s_and_saveexec_b64 s[2:3], s[0:1]
	s_cbranch_execz .LBB2179_149
.LBB2179_151:
	v_mov_b32_e32 v0, 0
	global_store_dwordx2 v0, v[4:5], s[24:25]
	s_endpgm
.LBB2179_152:
	v_cmp_lt_u32_e32 vcc, v0, v8
	v_mov_b32_e32 v3, 0
	s_nop 0
	v_cndmask_b32_e32 v25, v7, v11, vcc
	v_cndmask_b32_e32 v24, v6, v10, vcc
	v_lshl_add_u64 v[24:25], v[24:25], 0, v[2:3]
	s_waitcnt lgkmcnt(14)
	global_store_short v[24:25], v71, off
	s_or_b64 exec, exec, s[0:1]
	v_cmp_gt_u32_e32 vcc, s33, v69
	s_and_saveexec_b64 s[0:1], vcc
	s_cbranch_execz .LBB2179_118
.LBB2179_153:
	v_cmp_lt_u32_e32 vcc, v69, v8
	v_mov_b32_e32 v3, 0
	s_nop 0
	v_cndmask_b32_e32 v25, v7, v11, vcc
	v_cndmask_b32_e32 v24, v6, v10, vcc
	v_lshl_add_u64 v[24:25], v[24:25], 0, v[2:3]
	s_waitcnt lgkmcnt(14)
	global_store_short v[24:25], v70, off offset:1024
	s_or_b64 exec, exec, s[0:1]
	v_cmp_gt_u32_e32 vcc, s33, v67
	s_and_saveexec_b64 s[0:1], vcc
	s_cbranch_execz .LBB2179_119
.LBB2179_154:
	v_cmp_lt_u32_e32 vcc, v67, v8
	v_mov_b32_e32 v3, 0
	s_nop 0
	v_cndmask_b32_e32 v25, v7, v11, vcc
	v_cndmask_b32_e32 v24, v6, v10, vcc
	v_lshl_add_u64 v[24:25], v[24:25], 0, v[2:3]
	s_waitcnt lgkmcnt(14)
	global_store_short v[24:25], v68, off offset:2048
	s_or_b64 exec, exec, s[0:1]
	v_cmp_gt_u32_e32 vcc, s33, v65
	s_and_saveexec_b64 s[0:1], vcc
	s_cbranch_execz .LBB2179_120
.LBB2179_155:
	v_cmp_lt_u32_e32 vcc, v65, v8
	v_mov_b32_e32 v3, 0
	s_nop 0
	v_cndmask_b32_e32 v25, v7, v11, vcc
	v_cndmask_b32_e32 v24, v6, v10, vcc
	v_lshl_add_u64 v[2:3], v[24:25], 0, v[2:3]
	s_waitcnt lgkmcnt(14)
	global_store_short v[2:3], v66, off offset:3072
	s_or_b64 exec, exec, s[0:1]
	v_cmp_gt_u32_e32 vcc, s33, v63
	s_and_saveexec_b64 s[0:1], vcc
	s_cbranch_execz .LBB2179_121
.LBB2179_156:
	v_cmp_lt_u32_e32 vcc, v63, v8
	v_lshlrev_b32_e32 v24, 1, v63
	v_mov_b32_e32 v25, 0
	v_cndmask_b32_e32 v3, v7, v11, vcc
	v_cndmask_b32_e32 v2, v6, v10, vcc
	v_lshl_add_u64 v[2:3], v[2:3], 0, v[24:25]
	s_waitcnt lgkmcnt(14)
	global_store_short v[2:3], v64, off
	s_or_b64 exec, exec, s[0:1]
	v_cmp_gt_u32_e32 vcc, s33, v61
	s_and_saveexec_b64 s[0:1], vcc
	s_cbranch_execz .LBB2179_122
.LBB2179_157:
	v_cmp_lt_u32_e32 vcc, v61, v8
	v_lshlrev_b32_e32 v24, 1, v61
	v_mov_b32_e32 v25, 0
	v_cndmask_b32_e32 v3, v7, v11, vcc
	v_cndmask_b32_e32 v2, v6, v10, vcc
	v_lshl_add_u64 v[2:3], v[2:3], 0, v[24:25]
	s_waitcnt lgkmcnt(14)
	global_store_short v[2:3], v62, off
	s_or_b64 exec, exec, s[0:1]
	v_cmp_gt_u32_e32 vcc, s33, v59
	s_and_saveexec_b64 s[0:1], vcc
	s_cbranch_execz .LBB2179_123
.LBB2179_158:
	v_cmp_lt_u32_e32 vcc, v59, v8
	v_lshlrev_b32_e32 v24, 1, v59
	v_mov_b32_e32 v25, 0
	v_cndmask_b32_e32 v3, v7, v11, vcc
	v_cndmask_b32_e32 v2, v6, v10, vcc
	v_lshl_add_u64 v[2:3], v[2:3], 0, v[24:25]
	s_waitcnt lgkmcnt(14)
	global_store_short v[2:3], v60, off
	s_or_b64 exec, exec, s[0:1]
	v_cmp_gt_u32_e32 vcc, s33, v57
	s_and_saveexec_b64 s[0:1], vcc
	s_cbranch_execz .LBB2179_124
.LBB2179_159:
	v_cmp_lt_u32_e32 vcc, v57, v8
	v_lshlrev_b32_e32 v24, 1, v57
	v_mov_b32_e32 v25, 0
	v_cndmask_b32_e32 v3, v7, v11, vcc
	v_cndmask_b32_e32 v2, v6, v10, vcc
	v_lshl_add_u64 v[2:3], v[2:3], 0, v[24:25]
	s_waitcnt lgkmcnt(14)
	global_store_short v[2:3], v58, off
	s_or_b64 exec, exec, s[0:1]
	v_cmp_gt_u32_e32 vcc, s33, v55
	s_and_saveexec_b64 s[0:1], vcc
	s_cbranch_execz .LBB2179_125
.LBB2179_160:
	v_cmp_lt_u32_e32 vcc, v55, v8
	v_lshlrev_b32_e32 v24, 1, v55
	v_mov_b32_e32 v25, 0
	v_cndmask_b32_e32 v3, v7, v11, vcc
	v_cndmask_b32_e32 v2, v6, v10, vcc
	v_lshl_add_u64 v[2:3], v[2:3], 0, v[24:25]
	s_waitcnt lgkmcnt(14)
	global_store_short v[2:3], v56, off
	s_or_b64 exec, exec, s[0:1]
	v_cmp_gt_u32_e32 vcc, s33, v53
	s_and_saveexec_b64 s[0:1], vcc
	s_cbranch_execz .LBB2179_126
.LBB2179_161:
	v_cmp_lt_u32_e32 vcc, v53, v8
	v_lshlrev_b32_e32 v24, 1, v53
	v_mov_b32_e32 v25, 0
	v_cndmask_b32_e32 v3, v7, v11, vcc
	v_cndmask_b32_e32 v2, v6, v10, vcc
	v_lshl_add_u64 v[2:3], v[2:3], 0, v[24:25]
	s_waitcnt lgkmcnt(14)
	global_store_short v[2:3], v54, off
	s_or_b64 exec, exec, s[0:1]
	v_cmp_gt_u32_e32 vcc, s33, v51
	s_and_saveexec_b64 s[0:1], vcc
	s_cbranch_execz .LBB2179_127
.LBB2179_162:
	v_cmp_lt_u32_e32 vcc, v51, v8
	v_lshlrev_b32_e32 v24, 1, v51
	v_mov_b32_e32 v25, 0
	v_cndmask_b32_e32 v3, v7, v11, vcc
	v_cndmask_b32_e32 v2, v6, v10, vcc
	v_lshl_add_u64 v[2:3], v[2:3], 0, v[24:25]
	s_waitcnt lgkmcnt(14)
	global_store_short v[2:3], v52, off
	s_or_b64 exec, exec, s[0:1]
	v_cmp_gt_u32_e32 vcc, s33, v49
	s_and_saveexec_b64 s[0:1], vcc
	s_cbranch_execz .LBB2179_128
.LBB2179_163:
	v_cmp_lt_u32_e32 vcc, v49, v8
	v_lshlrev_b32_e32 v24, 1, v49
	v_mov_b32_e32 v25, 0
	v_cndmask_b32_e32 v3, v7, v11, vcc
	v_cndmask_b32_e32 v2, v6, v10, vcc
	v_lshl_add_u64 v[2:3], v[2:3], 0, v[24:25]
	s_waitcnt lgkmcnt(14)
	global_store_short v[2:3], v50, off
	s_or_b64 exec, exec, s[0:1]
	v_cmp_gt_u32_e32 vcc, s33, v47
	s_and_saveexec_b64 s[0:1], vcc
	s_cbranch_execz .LBB2179_129
.LBB2179_164:
	v_cmp_lt_u32_e32 vcc, v47, v8
	v_lshlrev_b32_e32 v24, 1, v47
	v_mov_b32_e32 v25, 0
	v_cndmask_b32_e32 v3, v7, v11, vcc
	v_cndmask_b32_e32 v2, v6, v10, vcc
	v_lshl_add_u64 v[2:3], v[2:3], 0, v[24:25]
	s_waitcnt lgkmcnt(14)
	global_store_short v[2:3], v48, off
	s_or_b64 exec, exec, s[0:1]
	v_cmp_gt_u32_e32 vcc, s33, v45
	s_and_saveexec_b64 s[0:1], vcc
	s_cbranch_execz .LBB2179_130
.LBB2179_165:
	v_cmp_lt_u32_e32 vcc, v45, v8
	v_lshlrev_b32_e32 v24, 1, v45
	v_mov_b32_e32 v25, 0
	v_cndmask_b32_e32 v3, v7, v11, vcc
	v_cndmask_b32_e32 v2, v6, v10, vcc
	v_lshl_add_u64 v[2:3], v[2:3], 0, v[24:25]
	s_waitcnt lgkmcnt(14)
	global_store_short v[2:3], v46, off
	s_or_b64 exec, exec, s[0:1]
	v_cmp_gt_u32_e32 vcc, s33, v43
	s_and_saveexec_b64 s[0:1], vcc
	s_cbranch_execz .LBB2179_131
.LBB2179_166:
	v_cmp_lt_u32_e32 vcc, v43, v8
	v_lshlrev_b32_e32 v24, 1, v43
	v_mov_b32_e32 v25, 0
	v_cndmask_b32_e32 v3, v7, v11, vcc
	v_cndmask_b32_e32 v2, v6, v10, vcc
	v_lshl_add_u64 v[2:3], v[2:3], 0, v[24:25]
	s_waitcnt lgkmcnt(14)
	global_store_short v[2:3], v44, off
	s_or_b64 exec, exec, s[0:1]
	v_cmp_gt_u32_e32 vcc, s33, v41
	s_and_saveexec_b64 s[0:1], vcc
	s_cbranch_execz .LBB2179_132
.LBB2179_167:
	v_cmp_lt_u32_e32 vcc, v41, v8
	v_lshlrev_b32_e32 v24, 1, v41
	v_mov_b32_e32 v25, 0
	v_cndmask_b32_e32 v3, v7, v11, vcc
	v_cndmask_b32_e32 v2, v6, v10, vcc
	v_lshl_add_u64 v[2:3], v[2:3], 0, v[24:25]
	s_waitcnt lgkmcnt(14)
	global_store_short v[2:3], v42, off
	s_or_b64 exec, exec, s[0:1]
	v_cmp_gt_u32_e32 vcc, s33, v39
	s_and_saveexec_b64 s[0:1], vcc
	s_cbranch_execz .LBB2179_133
.LBB2179_168:
	v_cmp_lt_u32_e32 vcc, v39, v8
	v_lshlrev_b32_e32 v24, 1, v39
	v_mov_b32_e32 v25, 0
	v_cndmask_b32_e32 v3, v7, v11, vcc
	v_cndmask_b32_e32 v2, v6, v10, vcc
	v_lshl_add_u64 v[2:3], v[2:3], 0, v[24:25]
	s_waitcnt lgkmcnt(13)
	global_store_short v[2:3], v40, off
	s_or_b64 exec, exec, s[0:1]
	v_cmp_gt_u32_e32 vcc, s33, v37
	s_and_saveexec_b64 s[0:1], vcc
	s_cbranch_execz .LBB2179_134
.LBB2179_169:
	v_cmp_lt_u32_e32 vcc, v37, v8
	v_lshlrev_b32_e32 v24, 1, v37
	v_mov_b32_e32 v25, 0
	v_cndmask_b32_e32 v3, v7, v11, vcc
	v_cndmask_b32_e32 v2, v6, v10, vcc
	v_lshl_add_u64 v[2:3], v[2:3], 0, v[24:25]
	s_waitcnt lgkmcnt(12)
	global_store_short v[2:3], v38, off
	s_or_b64 exec, exec, s[0:1]
	v_cmp_gt_u32_e32 vcc, s33, v35
	s_and_saveexec_b64 s[0:1], vcc
	s_cbranch_execz .LBB2179_135
.LBB2179_170:
	v_cmp_lt_u32_e32 vcc, v35, v8
	v_lshlrev_b32_e32 v24, 1, v35
	v_mov_b32_e32 v25, 0
	v_cndmask_b32_e32 v3, v7, v11, vcc
	v_cndmask_b32_e32 v2, v6, v10, vcc
	v_lshl_add_u64 v[2:3], v[2:3], 0, v[24:25]
	s_waitcnt lgkmcnt(11)
	global_store_short v[2:3], v36, off
	s_or_b64 exec, exec, s[0:1]
	v_cmp_gt_u32_e32 vcc, s33, v33
	s_and_saveexec_b64 s[0:1], vcc
	s_cbranch_execz .LBB2179_136
.LBB2179_171:
	v_cmp_lt_u32_e32 vcc, v33, v8
	v_lshlrev_b32_e32 v24, 1, v33
	v_mov_b32_e32 v25, 0
	v_cndmask_b32_e32 v3, v7, v11, vcc
	v_cndmask_b32_e32 v2, v6, v10, vcc
	v_lshl_add_u64 v[2:3], v[2:3], 0, v[24:25]
	s_waitcnt lgkmcnt(10)
	global_store_short v[2:3], v34, off
	s_or_b64 exec, exec, s[0:1]
	v_cmp_gt_u32_e32 vcc, s33, v31
	s_and_saveexec_b64 s[0:1], vcc
	s_cbranch_execz .LBB2179_137
.LBB2179_172:
	v_cmp_lt_u32_e32 vcc, v31, v8
	v_lshlrev_b32_e32 v24, 1, v31
	v_mov_b32_e32 v25, 0
	v_cndmask_b32_e32 v3, v7, v11, vcc
	v_cndmask_b32_e32 v2, v6, v10, vcc
	v_lshl_add_u64 v[2:3], v[2:3], 0, v[24:25]
	s_waitcnt lgkmcnt(9)
	global_store_short v[2:3], v32, off
	s_or_b64 exec, exec, s[0:1]
	v_cmp_gt_u32_e32 vcc, s33, v29
	s_and_saveexec_b64 s[0:1], vcc
	s_cbranch_execz .LBB2179_138
.LBB2179_173:
	v_cmp_lt_u32_e32 vcc, v29, v8
	v_lshlrev_b32_e32 v24, 1, v29
	v_mov_b32_e32 v25, 0
	v_cndmask_b32_e32 v3, v7, v11, vcc
	v_cndmask_b32_e32 v2, v6, v10, vcc
	v_lshl_add_u64 v[2:3], v[2:3], 0, v[24:25]
	s_waitcnt lgkmcnt(8)
	global_store_short v[2:3], v30, off
	s_or_b64 exec, exec, s[0:1]
	v_cmp_gt_u32_e32 vcc, s33, v27
	s_and_saveexec_b64 s[0:1], vcc
	s_cbranch_execz .LBB2179_139
.LBB2179_174:
	v_cmp_lt_u32_e32 vcc, v27, v8
	v_lshlrev_b32_e32 v24, 1, v27
	v_mov_b32_e32 v25, 0
	v_cndmask_b32_e32 v3, v7, v11, vcc
	v_cndmask_b32_e32 v2, v6, v10, vcc
	v_lshl_add_u64 v[2:3], v[2:3], 0, v[24:25]
	s_waitcnt lgkmcnt(7)
	global_store_short v[2:3], v28, off
	s_or_b64 exec, exec, s[0:1]
	v_cmp_gt_u32_e32 vcc, s33, v23
	s_and_saveexec_b64 s[0:1], vcc
	s_cbranch_execz .LBB2179_140
.LBB2179_175:
	v_cmp_lt_u32_e32 vcc, v23, v8
	v_lshlrev_b32_e32 v24, 1, v23
	v_mov_b32_e32 v25, 0
	v_cndmask_b32_e32 v3, v7, v11, vcc
	v_cndmask_b32_e32 v2, v6, v10, vcc
	v_lshl_add_u64 v[2:3], v[2:3], 0, v[24:25]
	s_waitcnt lgkmcnt(6)
	global_store_short v[2:3], v26, off
	s_or_b64 exec, exec, s[0:1]
	v_cmp_gt_u32_e32 vcc, s33, v21
	s_and_saveexec_b64 s[0:1], vcc
	s_cbranch_execz .LBB2179_141
.LBB2179_176:
	v_cmp_lt_u32_e32 vcc, v21, v8
	v_lshlrev_b32_e32 v24, 1, v21
	v_mov_b32_e32 v25, 0
	v_cndmask_b32_e32 v3, v7, v11, vcc
	v_cndmask_b32_e32 v2, v6, v10, vcc
	v_lshl_add_u64 v[2:3], v[2:3], 0, v[24:25]
	s_waitcnt lgkmcnt(5)
	global_store_short v[2:3], v22, off
	s_or_b64 exec, exec, s[0:1]
	v_cmp_gt_u32_e32 vcc, s33, v19
	s_and_saveexec_b64 s[0:1], vcc
	s_cbranch_execz .LBB2179_142
.LBB2179_177:
	v_cmp_lt_u32_e32 vcc, v19, v8
	s_waitcnt lgkmcnt(5)
	v_lshlrev_b32_e32 v22, 1, v19
	v_mov_b32_e32 v23, 0
	v_cndmask_b32_e32 v3, v7, v11, vcc
	v_cndmask_b32_e32 v2, v6, v10, vcc
	v_lshl_add_u64 v[2:3], v[2:3], 0, v[22:23]
	s_waitcnt lgkmcnt(4)
	global_store_short v[2:3], v20, off
	s_or_b64 exec, exec, s[0:1]
	v_cmp_gt_u32_e32 vcc, s33, v17
	s_and_saveexec_b64 s[0:1], vcc
	s_cbranch_execz .LBB2179_143
.LBB2179_178:
	v_cmp_lt_u32_e32 vcc, v17, v8
	s_waitcnt lgkmcnt(4)
	v_lshlrev_b32_e32 v20, 1, v17
	v_mov_b32_e32 v21, 0
	v_cndmask_b32_e32 v3, v7, v11, vcc
	v_cndmask_b32_e32 v2, v6, v10, vcc
	v_lshl_add_u64 v[2:3], v[2:3], 0, v[20:21]
	s_waitcnt lgkmcnt(3)
	global_store_short v[2:3], v18, off
	s_or_b64 exec, exec, s[0:1]
	v_cmp_gt_u32_e32 vcc, s33, v15
	s_and_saveexec_b64 s[0:1], vcc
	s_cbranch_execz .LBB2179_144
.LBB2179_179:
	v_cmp_lt_u32_e32 vcc, v15, v8
	s_waitcnt lgkmcnt(3)
	v_lshlrev_b32_e32 v18, 1, v15
	v_mov_b32_e32 v19, 0
	v_cndmask_b32_e32 v3, v7, v11, vcc
	v_cndmask_b32_e32 v2, v6, v10, vcc
	v_lshl_add_u64 v[2:3], v[2:3], 0, v[18:19]
	s_waitcnt lgkmcnt(2)
	global_store_short v[2:3], v16, off
	s_or_b64 exec, exec, s[0:1]
	v_cmp_gt_u32_e32 vcc, s33, v13
	s_and_saveexec_b64 s[0:1], vcc
	s_cbranch_execnz .LBB2179_145
	s_branch .LBB2179_146
	.section	.rodata,"a",@progbits
	.p2align	6, 0x0
	.amdhsa_kernel _ZN7rocprim17ROCPRIM_400000_NS6detail17trampoline_kernelINS0_14default_configENS1_25partition_config_selectorILNS1_17partition_subalgoE0EtNS0_10empty_typeEbEEZZNS1_14partition_implILS5_0ELb0ES3_jN6thrust23THRUST_200600_302600_NS6detail15normal_iteratorINSA_10device_ptrItEEEEPS6_SG_NS0_5tupleIJSF_SF_EEENSH_IJSG_SG_EEES6_PlJ7is_evenItEEEE10hipError_tPvRmT3_T4_T5_T6_T7_T9_mT8_P12ihipStream_tbDpT10_ENKUlT_T0_E_clISt17integral_constantIbLb1EES16_EEDaS11_S12_EUlS11_E_NS1_11comp_targetILNS1_3genE5ELNS1_11target_archE942ELNS1_3gpuE9ELNS1_3repE0EEENS1_30default_config_static_selectorELNS0_4arch9wavefront6targetE1EEEvT1_
		.amdhsa_group_segment_fixed_size 30728
		.amdhsa_private_segment_fixed_size 0
		.amdhsa_kernarg_size 136
		.amdhsa_user_sgpr_count 2
		.amdhsa_user_sgpr_dispatch_ptr 0
		.amdhsa_user_sgpr_queue_ptr 0
		.amdhsa_user_sgpr_kernarg_segment_ptr 1
		.amdhsa_user_sgpr_dispatch_id 0
		.amdhsa_user_sgpr_kernarg_preload_length 0
		.amdhsa_user_sgpr_kernarg_preload_offset 0
		.amdhsa_user_sgpr_private_segment_size 0
		.amdhsa_uses_dynamic_stack 0
		.amdhsa_enable_private_segment 0
		.amdhsa_system_sgpr_workgroup_id_x 1
		.amdhsa_system_sgpr_workgroup_id_y 0
		.amdhsa_system_sgpr_workgroup_id_z 0
		.amdhsa_system_sgpr_workgroup_info 0
		.amdhsa_system_vgpr_workitem_id 0
		.amdhsa_next_free_vgpr 124
		.amdhsa_next_free_sgpr 44
		.amdhsa_accum_offset 124
		.amdhsa_reserve_vcc 1
		.amdhsa_float_round_mode_32 0
		.amdhsa_float_round_mode_16_64 0
		.amdhsa_float_denorm_mode_32 3
		.amdhsa_float_denorm_mode_16_64 3
		.amdhsa_dx10_clamp 1
		.amdhsa_ieee_mode 1
		.amdhsa_fp16_overflow 0
		.amdhsa_tg_split 0
		.amdhsa_exception_fp_ieee_invalid_op 0
		.amdhsa_exception_fp_denorm_src 0
		.amdhsa_exception_fp_ieee_div_zero 0
		.amdhsa_exception_fp_ieee_overflow 0
		.amdhsa_exception_fp_ieee_underflow 0
		.amdhsa_exception_fp_ieee_inexact 0
		.amdhsa_exception_int_div_zero 0
	.end_amdhsa_kernel
	.section	.text._ZN7rocprim17ROCPRIM_400000_NS6detail17trampoline_kernelINS0_14default_configENS1_25partition_config_selectorILNS1_17partition_subalgoE0EtNS0_10empty_typeEbEEZZNS1_14partition_implILS5_0ELb0ES3_jN6thrust23THRUST_200600_302600_NS6detail15normal_iteratorINSA_10device_ptrItEEEEPS6_SG_NS0_5tupleIJSF_SF_EEENSH_IJSG_SG_EEES6_PlJ7is_evenItEEEE10hipError_tPvRmT3_T4_T5_T6_T7_T9_mT8_P12ihipStream_tbDpT10_ENKUlT_T0_E_clISt17integral_constantIbLb1EES16_EEDaS11_S12_EUlS11_E_NS1_11comp_targetILNS1_3genE5ELNS1_11target_archE942ELNS1_3gpuE9ELNS1_3repE0EEENS1_30default_config_static_selectorELNS0_4arch9wavefront6targetE1EEEvT1_,"axG",@progbits,_ZN7rocprim17ROCPRIM_400000_NS6detail17trampoline_kernelINS0_14default_configENS1_25partition_config_selectorILNS1_17partition_subalgoE0EtNS0_10empty_typeEbEEZZNS1_14partition_implILS5_0ELb0ES3_jN6thrust23THRUST_200600_302600_NS6detail15normal_iteratorINSA_10device_ptrItEEEEPS6_SG_NS0_5tupleIJSF_SF_EEENSH_IJSG_SG_EEES6_PlJ7is_evenItEEEE10hipError_tPvRmT3_T4_T5_T6_T7_T9_mT8_P12ihipStream_tbDpT10_ENKUlT_T0_E_clISt17integral_constantIbLb1EES16_EEDaS11_S12_EUlS11_E_NS1_11comp_targetILNS1_3genE5ELNS1_11target_archE942ELNS1_3gpuE9ELNS1_3repE0EEENS1_30default_config_static_selectorELNS0_4arch9wavefront6targetE1EEEvT1_,comdat
.Lfunc_end2179:
	.size	_ZN7rocprim17ROCPRIM_400000_NS6detail17trampoline_kernelINS0_14default_configENS1_25partition_config_selectorILNS1_17partition_subalgoE0EtNS0_10empty_typeEbEEZZNS1_14partition_implILS5_0ELb0ES3_jN6thrust23THRUST_200600_302600_NS6detail15normal_iteratorINSA_10device_ptrItEEEEPS6_SG_NS0_5tupleIJSF_SF_EEENSH_IJSG_SG_EEES6_PlJ7is_evenItEEEE10hipError_tPvRmT3_T4_T5_T6_T7_T9_mT8_P12ihipStream_tbDpT10_ENKUlT_T0_E_clISt17integral_constantIbLb1EES16_EEDaS11_S12_EUlS11_E_NS1_11comp_targetILNS1_3genE5ELNS1_11target_archE942ELNS1_3gpuE9ELNS1_3repE0EEENS1_30default_config_static_selectorELNS0_4arch9wavefront6targetE1EEEvT1_, .Lfunc_end2179-_ZN7rocprim17ROCPRIM_400000_NS6detail17trampoline_kernelINS0_14default_configENS1_25partition_config_selectorILNS1_17partition_subalgoE0EtNS0_10empty_typeEbEEZZNS1_14partition_implILS5_0ELb0ES3_jN6thrust23THRUST_200600_302600_NS6detail15normal_iteratorINSA_10device_ptrItEEEEPS6_SG_NS0_5tupleIJSF_SF_EEENSH_IJSG_SG_EEES6_PlJ7is_evenItEEEE10hipError_tPvRmT3_T4_T5_T6_T7_T9_mT8_P12ihipStream_tbDpT10_ENKUlT_T0_E_clISt17integral_constantIbLb1EES16_EEDaS11_S12_EUlS11_E_NS1_11comp_targetILNS1_3genE5ELNS1_11target_archE942ELNS1_3gpuE9ELNS1_3repE0EEENS1_30default_config_static_selectorELNS0_4arch9wavefront6targetE1EEEvT1_
                                        ; -- End function
	.section	.AMDGPU.csdata,"",@progbits
; Kernel info:
; codeLenInByte = 11072
; NumSgprs: 50
; NumVgprs: 124
; NumAgprs: 0
; TotalNumVgprs: 124
; ScratchSize: 0
; MemoryBound: 0
; FloatMode: 240
; IeeeMode: 1
; LDSByteSize: 30728 bytes/workgroup (compile time only)
; SGPRBlocks: 6
; VGPRBlocks: 15
; NumSGPRsForWavesPerEU: 50
; NumVGPRsForWavesPerEU: 124
; AccumOffset: 124
; Occupancy: 4
; WaveLimiterHint : 1
; COMPUTE_PGM_RSRC2:SCRATCH_EN: 0
; COMPUTE_PGM_RSRC2:USER_SGPR: 2
; COMPUTE_PGM_RSRC2:TRAP_HANDLER: 0
; COMPUTE_PGM_RSRC2:TGID_X_EN: 1
; COMPUTE_PGM_RSRC2:TGID_Y_EN: 0
; COMPUTE_PGM_RSRC2:TGID_Z_EN: 0
; COMPUTE_PGM_RSRC2:TIDIG_COMP_CNT: 0
; COMPUTE_PGM_RSRC3_GFX90A:ACCUM_OFFSET: 30
; COMPUTE_PGM_RSRC3_GFX90A:TG_SPLIT: 0
	.section	.text._ZN7rocprim17ROCPRIM_400000_NS6detail17trampoline_kernelINS0_14default_configENS1_25partition_config_selectorILNS1_17partition_subalgoE0EtNS0_10empty_typeEbEEZZNS1_14partition_implILS5_0ELb0ES3_jN6thrust23THRUST_200600_302600_NS6detail15normal_iteratorINSA_10device_ptrItEEEEPS6_SG_NS0_5tupleIJSF_SF_EEENSH_IJSG_SG_EEES6_PlJ7is_evenItEEEE10hipError_tPvRmT3_T4_T5_T6_T7_T9_mT8_P12ihipStream_tbDpT10_ENKUlT_T0_E_clISt17integral_constantIbLb1EES16_EEDaS11_S12_EUlS11_E_NS1_11comp_targetILNS1_3genE4ELNS1_11target_archE910ELNS1_3gpuE8ELNS1_3repE0EEENS1_30default_config_static_selectorELNS0_4arch9wavefront6targetE1EEEvT1_,"axG",@progbits,_ZN7rocprim17ROCPRIM_400000_NS6detail17trampoline_kernelINS0_14default_configENS1_25partition_config_selectorILNS1_17partition_subalgoE0EtNS0_10empty_typeEbEEZZNS1_14partition_implILS5_0ELb0ES3_jN6thrust23THRUST_200600_302600_NS6detail15normal_iteratorINSA_10device_ptrItEEEEPS6_SG_NS0_5tupleIJSF_SF_EEENSH_IJSG_SG_EEES6_PlJ7is_evenItEEEE10hipError_tPvRmT3_T4_T5_T6_T7_T9_mT8_P12ihipStream_tbDpT10_ENKUlT_T0_E_clISt17integral_constantIbLb1EES16_EEDaS11_S12_EUlS11_E_NS1_11comp_targetILNS1_3genE4ELNS1_11target_archE910ELNS1_3gpuE8ELNS1_3repE0EEENS1_30default_config_static_selectorELNS0_4arch9wavefront6targetE1EEEvT1_,comdat
	.protected	_ZN7rocprim17ROCPRIM_400000_NS6detail17trampoline_kernelINS0_14default_configENS1_25partition_config_selectorILNS1_17partition_subalgoE0EtNS0_10empty_typeEbEEZZNS1_14partition_implILS5_0ELb0ES3_jN6thrust23THRUST_200600_302600_NS6detail15normal_iteratorINSA_10device_ptrItEEEEPS6_SG_NS0_5tupleIJSF_SF_EEENSH_IJSG_SG_EEES6_PlJ7is_evenItEEEE10hipError_tPvRmT3_T4_T5_T6_T7_T9_mT8_P12ihipStream_tbDpT10_ENKUlT_T0_E_clISt17integral_constantIbLb1EES16_EEDaS11_S12_EUlS11_E_NS1_11comp_targetILNS1_3genE4ELNS1_11target_archE910ELNS1_3gpuE8ELNS1_3repE0EEENS1_30default_config_static_selectorELNS0_4arch9wavefront6targetE1EEEvT1_ ; -- Begin function _ZN7rocprim17ROCPRIM_400000_NS6detail17trampoline_kernelINS0_14default_configENS1_25partition_config_selectorILNS1_17partition_subalgoE0EtNS0_10empty_typeEbEEZZNS1_14partition_implILS5_0ELb0ES3_jN6thrust23THRUST_200600_302600_NS6detail15normal_iteratorINSA_10device_ptrItEEEEPS6_SG_NS0_5tupleIJSF_SF_EEENSH_IJSG_SG_EEES6_PlJ7is_evenItEEEE10hipError_tPvRmT3_T4_T5_T6_T7_T9_mT8_P12ihipStream_tbDpT10_ENKUlT_T0_E_clISt17integral_constantIbLb1EES16_EEDaS11_S12_EUlS11_E_NS1_11comp_targetILNS1_3genE4ELNS1_11target_archE910ELNS1_3gpuE8ELNS1_3repE0EEENS1_30default_config_static_selectorELNS0_4arch9wavefront6targetE1EEEvT1_
	.globl	_ZN7rocprim17ROCPRIM_400000_NS6detail17trampoline_kernelINS0_14default_configENS1_25partition_config_selectorILNS1_17partition_subalgoE0EtNS0_10empty_typeEbEEZZNS1_14partition_implILS5_0ELb0ES3_jN6thrust23THRUST_200600_302600_NS6detail15normal_iteratorINSA_10device_ptrItEEEEPS6_SG_NS0_5tupleIJSF_SF_EEENSH_IJSG_SG_EEES6_PlJ7is_evenItEEEE10hipError_tPvRmT3_T4_T5_T6_T7_T9_mT8_P12ihipStream_tbDpT10_ENKUlT_T0_E_clISt17integral_constantIbLb1EES16_EEDaS11_S12_EUlS11_E_NS1_11comp_targetILNS1_3genE4ELNS1_11target_archE910ELNS1_3gpuE8ELNS1_3repE0EEENS1_30default_config_static_selectorELNS0_4arch9wavefront6targetE1EEEvT1_
	.p2align	8
	.type	_ZN7rocprim17ROCPRIM_400000_NS6detail17trampoline_kernelINS0_14default_configENS1_25partition_config_selectorILNS1_17partition_subalgoE0EtNS0_10empty_typeEbEEZZNS1_14partition_implILS5_0ELb0ES3_jN6thrust23THRUST_200600_302600_NS6detail15normal_iteratorINSA_10device_ptrItEEEEPS6_SG_NS0_5tupleIJSF_SF_EEENSH_IJSG_SG_EEES6_PlJ7is_evenItEEEE10hipError_tPvRmT3_T4_T5_T6_T7_T9_mT8_P12ihipStream_tbDpT10_ENKUlT_T0_E_clISt17integral_constantIbLb1EES16_EEDaS11_S12_EUlS11_E_NS1_11comp_targetILNS1_3genE4ELNS1_11target_archE910ELNS1_3gpuE8ELNS1_3repE0EEENS1_30default_config_static_selectorELNS0_4arch9wavefront6targetE1EEEvT1_,@function
_ZN7rocprim17ROCPRIM_400000_NS6detail17trampoline_kernelINS0_14default_configENS1_25partition_config_selectorILNS1_17partition_subalgoE0EtNS0_10empty_typeEbEEZZNS1_14partition_implILS5_0ELb0ES3_jN6thrust23THRUST_200600_302600_NS6detail15normal_iteratorINSA_10device_ptrItEEEEPS6_SG_NS0_5tupleIJSF_SF_EEENSH_IJSG_SG_EEES6_PlJ7is_evenItEEEE10hipError_tPvRmT3_T4_T5_T6_T7_T9_mT8_P12ihipStream_tbDpT10_ENKUlT_T0_E_clISt17integral_constantIbLb1EES16_EEDaS11_S12_EUlS11_E_NS1_11comp_targetILNS1_3genE4ELNS1_11target_archE910ELNS1_3gpuE8ELNS1_3repE0EEENS1_30default_config_static_selectorELNS0_4arch9wavefront6targetE1EEEvT1_: ; @_ZN7rocprim17ROCPRIM_400000_NS6detail17trampoline_kernelINS0_14default_configENS1_25partition_config_selectorILNS1_17partition_subalgoE0EtNS0_10empty_typeEbEEZZNS1_14partition_implILS5_0ELb0ES3_jN6thrust23THRUST_200600_302600_NS6detail15normal_iteratorINSA_10device_ptrItEEEEPS6_SG_NS0_5tupleIJSF_SF_EEENSH_IJSG_SG_EEES6_PlJ7is_evenItEEEE10hipError_tPvRmT3_T4_T5_T6_T7_T9_mT8_P12ihipStream_tbDpT10_ENKUlT_T0_E_clISt17integral_constantIbLb1EES16_EEDaS11_S12_EUlS11_E_NS1_11comp_targetILNS1_3genE4ELNS1_11target_archE910ELNS1_3gpuE8ELNS1_3repE0EEENS1_30default_config_static_selectorELNS0_4arch9wavefront6targetE1EEEvT1_
; %bb.0:
	.section	.rodata,"a",@progbits
	.p2align	6, 0x0
	.amdhsa_kernel _ZN7rocprim17ROCPRIM_400000_NS6detail17trampoline_kernelINS0_14default_configENS1_25partition_config_selectorILNS1_17partition_subalgoE0EtNS0_10empty_typeEbEEZZNS1_14partition_implILS5_0ELb0ES3_jN6thrust23THRUST_200600_302600_NS6detail15normal_iteratorINSA_10device_ptrItEEEEPS6_SG_NS0_5tupleIJSF_SF_EEENSH_IJSG_SG_EEES6_PlJ7is_evenItEEEE10hipError_tPvRmT3_T4_T5_T6_T7_T9_mT8_P12ihipStream_tbDpT10_ENKUlT_T0_E_clISt17integral_constantIbLb1EES16_EEDaS11_S12_EUlS11_E_NS1_11comp_targetILNS1_3genE4ELNS1_11target_archE910ELNS1_3gpuE8ELNS1_3repE0EEENS1_30default_config_static_selectorELNS0_4arch9wavefront6targetE1EEEvT1_
		.amdhsa_group_segment_fixed_size 0
		.amdhsa_private_segment_fixed_size 0
		.amdhsa_kernarg_size 136
		.amdhsa_user_sgpr_count 2
		.amdhsa_user_sgpr_dispatch_ptr 0
		.amdhsa_user_sgpr_queue_ptr 0
		.amdhsa_user_sgpr_kernarg_segment_ptr 1
		.amdhsa_user_sgpr_dispatch_id 0
		.amdhsa_user_sgpr_kernarg_preload_length 0
		.amdhsa_user_sgpr_kernarg_preload_offset 0
		.amdhsa_user_sgpr_private_segment_size 0
		.amdhsa_uses_dynamic_stack 0
		.amdhsa_enable_private_segment 0
		.amdhsa_system_sgpr_workgroup_id_x 1
		.amdhsa_system_sgpr_workgroup_id_y 0
		.amdhsa_system_sgpr_workgroup_id_z 0
		.amdhsa_system_sgpr_workgroup_info 0
		.amdhsa_system_vgpr_workitem_id 0
		.amdhsa_next_free_vgpr 1
		.amdhsa_next_free_sgpr 0
		.amdhsa_accum_offset 4
		.amdhsa_reserve_vcc 0
		.amdhsa_float_round_mode_32 0
		.amdhsa_float_round_mode_16_64 0
		.amdhsa_float_denorm_mode_32 3
		.amdhsa_float_denorm_mode_16_64 3
		.amdhsa_dx10_clamp 1
		.amdhsa_ieee_mode 1
		.amdhsa_fp16_overflow 0
		.amdhsa_tg_split 0
		.amdhsa_exception_fp_ieee_invalid_op 0
		.amdhsa_exception_fp_denorm_src 0
		.amdhsa_exception_fp_ieee_div_zero 0
		.amdhsa_exception_fp_ieee_overflow 0
		.amdhsa_exception_fp_ieee_underflow 0
		.amdhsa_exception_fp_ieee_inexact 0
		.amdhsa_exception_int_div_zero 0
	.end_amdhsa_kernel
	.section	.text._ZN7rocprim17ROCPRIM_400000_NS6detail17trampoline_kernelINS0_14default_configENS1_25partition_config_selectorILNS1_17partition_subalgoE0EtNS0_10empty_typeEbEEZZNS1_14partition_implILS5_0ELb0ES3_jN6thrust23THRUST_200600_302600_NS6detail15normal_iteratorINSA_10device_ptrItEEEEPS6_SG_NS0_5tupleIJSF_SF_EEENSH_IJSG_SG_EEES6_PlJ7is_evenItEEEE10hipError_tPvRmT3_T4_T5_T6_T7_T9_mT8_P12ihipStream_tbDpT10_ENKUlT_T0_E_clISt17integral_constantIbLb1EES16_EEDaS11_S12_EUlS11_E_NS1_11comp_targetILNS1_3genE4ELNS1_11target_archE910ELNS1_3gpuE8ELNS1_3repE0EEENS1_30default_config_static_selectorELNS0_4arch9wavefront6targetE1EEEvT1_,"axG",@progbits,_ZN7rocprim17ROCPRIM_400000_NS6detail17trampoline_kernelINS0_14default_configENS1_25partition_config_selectorILNS1_17partition_subalgoE0EtNS0_10empty_typeEbEEZZNS1_14partition_implILS5_0ELb0ES3_jN6thrust23THRUST_200600_302600_NS6detail15normal_iteratorINSA_10device_ptrItEEEEPS6_SG_NS0_5tupleIJSF_SF_EEENSH_IJSG_SG_EEES6_PlJ7is_evenItEEEE10hipError_tPvRmT3_T4_T5_T6_T7_T9_mT8_P12ihipStream_tbDpT10_ENKUlT_T0_E_clISt17integral_constantIbLb1EES16_EEDaS11_S12_EUlS11_E_NS1_11comp_targetILNS1_3genE4ELNS1_11target_archE910ELNS1_3gpuE8ELNS1_3repE0EEENS1_30default_config_static_selectorELNS0_4arch9wavefront6targetE1EEEvT1_,comdat
.Lfunc_end2180:
	.size	_ZN7rocprim17ROCPRIM_400000_NS6detail17trampoline_kernelINS0_14default_configENS1_25partition_config_selectorILNS1_17partition_subalgoE0EtNS0_10empty_typeEbEEZZNS1_14partition_implILS5_0ELb0ES3_jN6thrust23THRUST_200600_302600_NS6detail15normal_iteratorINSA_10device_ptrItEEEEPS6_SG_NS0_5tupleIJSF_SF_EEENSH_IJSG_SG_EEES6_PlJ7is_evenItEEEE10hipError_tPvRmT3_T4_T5_T6_T7_T9_mT8_P12ihipStream_tbDpT10_ENKUlT_T0_E_clISt17integral_constantIbLb1EES16_EEDaS11_S12_EUlS11_E_NS1_11comp_targetILNS1_3genE4ELNS1_11target_archE910ELNS1_3gpuE8ELNS1_3repE0EEENS1_30default_config_static_selectorELNS0_4arch9wavefront6targetE1EEEvT1_, .Lfunc_end2180-_ZN7rocprim17ROCPRIM_400000_NS6detail17trampoline_kernelINS0_14default_configENS1_25partition_config_selectorILNS1_17partition_subalgoE0EtNS0_10empty_typeEbEEZZNS1_14partition_implILS5_0ELb0ES3_jN6thrust23THRUST_200600_302600_NS6detail15normal_iteratorINSA_10device_ptrItEEEEPS6_SG_NS0_5tupleIJSF_SF_EEENSH_IJSG_SG_EEES6_PlJ7is_evenItEEEE10hipError_tPvRmT3_T4_T5_T6_T7_T9_mT8_P12ihipStream_tbDpT10_ENKUlT_T0_E_clISt17integral_constantIbLb1EES16_EEDaS11_S12_EUlS11_E_NS1_11comp_targetILNS1_3genE4ELNS1_11target_archE910ELNS1_3gpuE8ELNS1_3repE0EEENS1_30default_config_static_selectorELNS0_4arch9wavefront6targetE1EEEvT1_
                                        ; -- End function
	.section	.AMDGPU.csdata,"",@progbits
; Kernel info:
; codeLenInByte = 0
; NumSgprs: 6
; NumVgprs: 0
; NumAgprs: 0
; TotalNumVgprs: 0
; ScratchSize: 0
; MemoryBound: 0
; FloatMode: 240
; IeeeMode: 1
; LDSByteSize: 0 bytes/workgroup (compile time only)
; SGPRBlocks: 0
; VGPRBlocks: 0
; NumSGPRsForWavesPerEU: 6
; NumVGPRsForWavesPerEU: 1
; AccumOffset: 4
; Occupancy: 8
; WaveLimiterHint : 0
; COMPUTE_PGM_RSRC2:SCRATCH_EN: 0
; COMPUTE_PGM_RSRC2:USER_SGPR: 2
; COMPUTE_PGM_RSRC2:TRAP_HANDLER: 0
; COMPUTE_PGM_RSRC2:TGID_X_EN: 1
; COMPUTE_PGM_RSRC2:TGID_Y_EN: 0
; COMPUTE_PGM_RSRC2:TGID_Z_EN: 0
; COMPUTE_PGM_RSRC2:TIDIG_COMP_CNT: 0
; COMPUTE_PGM_RSRC3_GFX90A:ACCUM_OFFSET: 0
; COMPUTE_PGM_RSRC3_GFX90A:TG_SPLIT: 0
	.section	.text._ZN7rocprim17ROCPRIM_400000_NS6detail17trampoline_kernelINS0_14default_configENS1_25partition_config_selectorILNS1_17partition_subalgoE0EtNS0_10empty_typeEbEEZZNS1_14partition_implILS5_0ELb0ES3_jN6thrust23THRUST_200600_302600_NS6detail15normal_iteratorINSA_10device_ptrItEEEEPS6_SG_NS0_5tupleIJSF_SF_EEENSH_IJSG_SG_EEES6_PlJ7is_evenItEEEE10hipError_tPvRmT3_T4_T5_T6_T7_T9_mT8_P12ihipStream_tbDpT10_ENKUlT_T0_E_clISt17integral_constantIbLb1EES16_EEDaS11_S12_EUlS11_E_NS1_11comp_targetILNS1_3genE3ELNS1_11target_archE908ELNS1_3gpuE7ELNS1_3repE0EEENS1_30default_config_static_selectorELNS0_4arch9wavefront6targetE1EEEvT1_,"axG",@progbits,_ZN7rocprim17ROCPRIM_400000_NS6detail17trampoline_kernelINS0_14default_configENS1_25partition_config_selectorILNS1_17partition_subalgoE0EtNS0_10empty_typeEbEEZZNS1_14partition_implILS5_0ELb0ES3_jN6thrust23THRUST_200600_302600_NS6detail15normal_iteratorINSA_10device_ptrItEEEEPS6_SG_NS0_5tupleIJSF_SF_EEENSH_IJSG_SG_EEES6_PlJ7is_evenItEEEE10hipError_tPvRmT3_T4_T5_T6_T7_T9_mT8_P12ihipStream_tbDpT10_ENKUlT_T0_E_clISt17integral_constantIbLb1EES16_EEDaS11_S12_EUlS11_E_NS1_11comp_targetILNS1_3genE3ELNS1_11target_archE908ELNS1_3gpuE7ELNS1_3repE0EEENS1_30default_config_static_selectorELNS0_4arch9wavefront6targetE1EEEvT1_,comdat
	.protected	_ZN7rocprim17ROCPRIM_400000_NS6detail17trampoline_kernelINS0_14default_configENS1_25partition_config_selectorILNS1_17partition_subalgoE0EtNS0_10empty_typeEbEEZZNS1_14partition_implILS5_0ELb0ES3_jN6thrust23THRUST_200600_302600_NS6detail15normal_iteratorINSA_10device_ptrItEEEEPS6_SG_NS0_5tupleIJSF_SF_EEENSH_IJSG_SG_EEES6_PlJ7is_evenItEEEE10hipError_tPvRmT3_T4_T5_T6_T7_T9_mT8_P12ihipStream_tbDpT10_ENKUlT_T0_E_clISt17integral_constantIbLb1EES16_EEDaS11_S12_EUlS11_E_NS1_11comp_targetILNS1_3genE3ELNS1_11target_archE908ELNS1_3gpuE7ELNS1_3repE0EEENS1_30default_config_static_selectorELNS0_4arch9wavefront6targetE1EEEvT1_ ; -- Begin function _ZN7rocprim17ROCPRIM_400000_NS6detail17trampoline_kernelINS0_14default_configENS1_25partition_config_selectorILNS1_17partition_subalgoE0EtNS0_10empty_typeEbEEZZNS1_14partition_implILS5_0ELb0ES3_jN6thrust23THRUST_200600_302600_NS6detail15normal_iteratorINSA_10device_ptrItEEEEPS6_SG_NS0_5tupleIJSF_SF_EEENSH_IJSG_SG_EEES6_PlJ7is_evenItEEEE10hipError_tPvRmT3_T4_T5_T6_T7_T9_mT8_P12ihipStream_tbDpT10_ENKUlT_T0_E_clISt17integral_constantIbLb1EES16_EEDaS11_S12_EUlS11_E_NS1_11comp_targetILNS1_3genE3ELNS1_11target_archE908ELNS1_3gpuE7ELNS1_3repE0EEENS1_30default_config_static_selectorELNS0_4arch9wavefront6targetE1EEEvT1_
	.globl	_ZN7rocprim17ROCPRIM_400000_NS6detail17trampoline_kernelINS0_14default_configENS1_25partition_config_selectorILNS1_17partition_subalgoE0EtNS0_10empty_typeEbEEZZNS1_14partition_implILS5_0ELb0ES3_jN6thrust23THRUST_200600_302600_NS6detail15normal_iteratorINSA_10device_ptrItEEEEPS6_SG_NS0_5tupleIJSF_SF_EEENSH_IJSG_SG_EEES6_PlJ7is_evenItEEEE10hipError_tPvRmT3_T4_T5_T6_T7_T9_mT8_P12ihipStream_tbDpT10_ENKUlT_T0_E_clISt17integral_constantIbLb1EES16_EEDaS11_S12_EUlS11_E_NS1_11comp_targetILNS1_3genE3ELNS1_11target_archE908ELNS1_3gpuE7ELNS1_3repE0EEENS1_30default_config_static_selectorELNS0_4arch9wavefront6targetE1EEEvT1_
	.p2align	8
	.type	_ZN7rocprim17ROCPRIM_400000_NS6detail17trampoline_kernelINS0_14default_configENS1_25partition_config_selectorILNS1_17partition_subalgoE0EtNS0_10empty_typeEbEEZZNS1_14partition_implILS5_0ELb0ES3_jN6thrust23THRUST_200600_302600_NS6detail15normal_iteratorINSA_10device_ptrItEEEEPS6_SG_NS0_5tupleIJSF_SF_EEENSH_IJSG_SG_EEES6_PlJ7is_evenItEEEE10hipError_tPvRmT3_T4_T5_T6_T7_T9_mT8_P12ihipStream_tbDpT10_ENKUlT_T0_E_clISt17integral_constantIbLb1EES16_EEDaS11_S12_EUlS11_E_NS1_11comp_targetILNS1_3genE3ELNS1_11target_archE908ELNS1_3gpuE7ELNS1_3repE0EEENS1_30default_config_static_selectorELNS0_4arch9wavefront6targetE1EEEvT1_,@function
_ZN7rocprim17ROCPRIM_400000_NS6detail17trampoline_kernelINS0_14default_configENS1_25partition_config_selectorILNS1_17partition_subalgoE0EtNS0_10empty_typeEbEEZZNS1_14partition_implILS5_0ELb0ES3_jN6thrust23THRUST_200600_302600_NS6detail15normal_iteratorINSA_10device_ptrItEEEEPS6_SG_NS0_5tupleIJSF_SF_EEENSH_IJSG_SG_EEES6_PlJ7is_evenItEEEE10hipError_tPvRmT3_T4_T5_T6_T7_T9_mT8_P12ihipStream_tbDpT10_ENKUlT_T0_E_clISt17integral_constantIbLb1EES16_EEDaS11_S12_EUlS11_E_NS1_11comp_targetILNS1_3genE3ELNS1_11target_archE908ELNS1_3gpuE7ELNS1_3repE0EEENS1_30default_config_static_selectorELNS0_4arch9wavefront6targetE1EEEvT1_: ; @_ZN7rocprim17ROCPRIM_400000_NS6detail17trampoline_kernelINS0_14default_configENS1_25partition_config_selectorILNS1_17partition_subalgoE0EtNS0_10empty_typeEbEEZZNS1_14partition_implILS5_0ELb0ES3_jN6thrust23THRUST_200600_302600_NS6detail15normal_iteratorINSA_10device_ptrItEEEEPS6_SG_NS0_5tupleIJSF_SF_EEENSH_IJSG_SG_EEES6_PlJ7is_evenItEEEE10hipError_tPvRmT3_T4_T5_T6_T7_T9_mT8_P12ihipStream_tbDpT10_ENKUlT_T0_E_clISt17integral_constantIbLb1EES16_EEDaS11_S12_EUlS11_E_NS1_11comp_targetILNS1_3genE3ELNS1_11target_archE908ELNS1_3gpuE7ELNS1_3repE0EEENS1_30default_config_static_selectorELNS0_4arch9wavefront6targetE1EEEvT1_
; %bb.0:
	.section	.rodata,"a",@progbits
	.p2align	6, 0x0
	.amdhsa_kernel _ZN7rocprim17ROCPRIM_400000_NS6detail17trampoline_kernelINS0_14default_configENS1_25partition_config_selectorILNS1_17partition_subalgoE0EtNS0_10empty_typeEbEEZZNS1_14partition_implILS5_0ELb0ES3_jN6thrust23THRUST_200600_302600_NS6detail15normal_iteratorINSA_10device_ptrItEEEEPS6_SG_NS0_5tupleIJSF_SF_EEENSH_IJSG_SG_EEES6_PlJ7is_evenItEEEE10hipError_tPvRmT3_T4_T5_T6_T7_T9_mT8_P12ihipStream_tbDpT10_ENKUlT_T0_E_clISt17integral_constantIbLb1EES16_EEDaS11_S12_EUlS11_E_NS1_11comp_targetILNS1_3genE3ELNS1_11target_archE908ELNS1_3gpuE7ELNS1_3repE0EEENS1_30default_config_static_selectorELNS0_4arch9wavefront6targetE1EEEvT1_
		.amdhsa_group_segment_fixed_size 0
		.amdhsa_private_segment_fixed_size 0
		.amdhsa_kernarg_size 136
		.amdhsa_user_sgpr_count 2
		.amdhsa_user_sgpr_dispatch_ptr 0
		.amdhsa_user_sgpr_queue_ptr 0
		.amdhsa_user_sgpr_kernarg_segment_ptr 1
		.amdhsa_user_sgpr_dispatch_id 0
		.amdhsa_user_sgpr_kernarg_preload_length 0
		.amdhsa_user_sgpr_kernarg_preload_offset 0
		.amdhsa_user_sgpr_private_segment_size 0
		.amdhsa_uses_dynamic_stack 0
		.amdhsa_enable_private_segment 0
		.amdhsa_system_sgpr_workgroup_id_x 1
		.amdhsa_system_sgpr_workgroup_id_y 0
		.amdhsa_system_sgpr_workgroup_id_z 0
		.amdhsa_system_sgpr_workgroup_info 0
		.amdhsa_system_vgpr_workitem_id 0
		.amdhsa_next_free_vgpr 1
		.amdhsa_next_free_sgpr 0
		.amdhsa_accum_offset 4
		.amdhsa_reserve_vcc 0
		.amdhsa_float_round_mode_32 0
		.amdhsa_float_round_mode_16_64 0
		.amdhsa_float_denorm_mode_32 3
		.amdhsa_float_denorm_mode_16_64 3
		.amdhsa_dx10_clamp 1
		.amdhsa_ieee_mode 1
		.amdhsa_fp16_overflow 0
		.amdhsa_tg_split 0
		.amdhsa_exception_fp_ieee_invalid_op 0
		.amdhsa_exception_fp_denorm_src 0
		.amdhsa_exception_fp_ieee_div_zero 0
		.amdhsa_exception_fp_ieee_overflow 0
		.amdhsa_exception_fp_ieee_underflow 0
		.amdhsa_exception_fp_ieee_inexact 0
		.amdhsa_exception_int_div_zero 0
	.end_amdhsa_kernel
	.section	.text._ZN7rocprim17ROCPRIM_400000_NS6detail17trampoline_kernelINS0_14default_configENS1_25partition_config_selectorILNS1_17partition_subalgoE0EtNS0_10empty_typeEbEEZZNS1_14partition_implILS5_0ELb0ES3_jN6thrust23THRUST_200600_302600_NS6detail15normal_iteratorINSA_10device_ptrItEEEEPS6_SG_NS0_5tupleIJSF_SF_EEENSH_IJSG_SG_EEES6_PlJ7is_evenItEEEE10hipError_tPvRmT3_T4_T5_T6_T7_T9_mT8_P12ihipStream_tbDpT10_ENKUlT_T0_E_clISt17integral_constantIbLb1EES16_EEDaS11_S12_EUlS11_E_NS1_11comp_targetILNS1_3genE3ELNS1_11target_archE908ELNS1_3gpuE7ELNS1_3repE0EEENS1_30default_config_static_selectorELNS0_4arch9wavefront6targetE1EEEvT1_,"axG",@progbits,_ZN7rocprim17ROCPRIM_400000_NS6detail17trampoline_kernelINS0_14default_configENS1_25partition_config_selectorILNS1_17partition_subalgoE0EtNS0_10empty_typeEbEEZZNS1_14partition_implILS5_0ELb0ES3_jN6thrust23THRUST_200600_302600_NS6detail15normal_iteratorINSA_10device_ptrItEEEEPS6_SG_NS0_5tupleIJSF_SF_EEENSH_IJSG_SG_EEES6_PlJ7is_evenItEEEE10hipError_tPvRmT3_T4_T5_T6_T7_T9_mT8_P12ihipStream_tbDpT10_ENKUlT_T0_E_clISt17integral_constantIbLb1EES16_EEDaS11_S12_EUlS11_E_NS1_11comp_targetILNS1_3genE3ELNS1_11target_archE908ELNS1_3gpuE7ELNS1_3repE0EEENS1_30default_config_static_selectorELNS0_4arch9wavefront6targetE1EEEvT1_,comdat
.Lfunc_end2181:
	.size	_ZN7rocprim17ROCPRIM_400000_NS6detail17trampoline_kernelINS0_14default_configENS1_25partition_config_selectorILNS1_17partition_subalgoE0EtNS0_10empty_typeEbEEZZNS1_14partition_implILS5_0ELb0ES3_jN6thrust23THRUST_200600_302600_NS6detail15normal_iteratorINSA_10device_ptrItEEEEPS6_SG_NS0_5tupleIJSF_SF_EEENSH_IJSG_SG_EEES6_PlJ7is_evenItEEEE10hipError_tPvRmT3_T4_T5_T6_T7_T9_mT8_P12ihipStream_tbDpT10_ENKUlT_T0_E_clISt17integral_constantIbLb1EES16_EEDaS11_S12_EUlS11_E_NS1_11comp_targetILNS1_3genE3ELNS1_11target_archE908ELNS1_3gpuE7ELNS1_3repE0EEENS1_30default_config_static_selectorELNS0_4arch9wavefront6targetE1EEEvT1_, .Lfunc_end2181-_ZN7rocprim17ROCPRIM_400000_NS6detail17trampoline_kernelINS0_14default_configENS1_25partition_config_selectorILNS1_17partition_subalgoE0EtNS0_10empty_typeEbEEZZNS1_14partition_implILS5_0ELb0ES3_jN6thrust23THRUST_200600_302600_NS6detail15normal_iteratorINSA_10device_ptrItEEEEPS6_SG_NS0_5tupleIJSF_SF_EEENSH_IJSG_SG_EEES6_PlJ7is_evenItEEEE10hipError_tPvRmT3_T4_T5_T6_T7_T9_mT8_P12ihipStream_tbDpT10_ENKUlT_T0_E_clISt17integral_constantIbLb1EES16_EEDaS11_S12_EUlS11_E_NS1_11comp_targetILNS1_3genE3ELNS1_11target_archE908ELNS1_3gpuE7ELNS1_3repE0EEENS1_30default_config_static_selectorELNS0_4arch9wavefront6targetE1EEEvT1_
                                        ; -- End function
	.section	.AMDGPU.csdata,"",@progbits
; Kernel info:
; codeLenInByte = 0
; NumSgprs: 6
; NumVgprs: 0
; NumAgprs: 0
; TotalNumVgprs: 0
; ScratchSize: 0
; MemoryBound: 0
; FloatMode: 240
; IeeeMode: 1
; LDSByteSize: 0 bytes/workgroup (compile time only)
; SGPRBlocks: 0
; VGPRBlocks: 0
; NumSGPRsForWavesPerEU: 6
; NumVGPRsForWavesPerEU: 1
; AccumOffset: 4
; Occupancy: 8
; WaveLimiterHint : 0
; COMPUTE_PGM_RSRC2:SCRATCH_EN: 0
; COMPUTE_PGM_RSRC2:USER_SGPR: 2
; COMPUTE_PGM_RSRC2:TRAP_HANDLER: 0
; COMPUTE_PGM_RSRC2:TGID_X_EN: 1
; COMPUTE_PGM_RSRC2:TGID_Y_EN: 0
; COMPUTE_PGM_RSRC2:TGID_Z_EN: 0
; COMPUTE_PGM_RSRC2:TIDIG_COMP_CNT: 0
; COMPUTE_PGM_RSRC3_GFX90A:ACCUM_OFFSET: 0
; COMPUTE_PGM_RSRC3_GFX90A:TG_SPLIT: 0
	.section	.text._ZN7rocprim17ROCPRIM_400000_NS6detail17trampoline_kernelINS0_14default_configENS1_25partition_config_selectorILNS1_17partition_subalgoE0EtNS0_10empty_typeEbEEZZNS1_14partition_implILS5_0ELb0ES3_jN6thrust23THRUST_200600_302600_NS6detail15normal_iteratorINSA_10device_ptrItEEEEPS6_SG_NS0_5tupleIJSF_SF_EEENSH_IJSG_SG_EEES6_PlJ7is_evenItEEEE10hipError_tPvRmT3_T4_T5_T6_T7_T9_mT8_P12ihipStream_tbDpT10_ENKUlT_T0_E_clISt17integral_constantIbLb1EES16_EEDaS11_S12_EUlS11_E_NS1_11comp_targetILNS1_3genE2ELNS1_11target_archE906ELNS1_3gpuE6ELNS1_3repE0EEENS1_30default_config_static_selectorELNS0_4arch9wavefront6targetE1EEEvT1_,"axG",@progbits,_ZN7rocprim17ROCPRIM_400000_NS6detail17trampoline_kernelINS0_14default_configENS1_25partition_config_selectorILNS1_17partition_subalgoE0EtNS0_10empty_typeEbEEZZNS1_14partition_implILS5_0ELb0ES3_jN6thrust23THRUST_200600_302600_NS6detail15normal_iteratorINSA_10device_ptrItEEEEPS6_SG_NS0_5tupleIJSF_SF_EEENSH_IJSG_SG_EEES6_PlJ7is_evenItEEEE10hipError_tPvRmT3_T4_T5_T6_T7_T9_mT8_P12ihipStream_tbDpT10_ENKUlT_T0_E_clISt17integral_constantIbLb1EES16_EEDaS11_S12_EUlS11_E_NS1_11comp_targetILNS1_3genE2ELNS1_11target_archE906ELNS1_3gpuE6ELNS1_3repE0EEENS1_30default_config_static_selectorELNS0_4arch9wavefront6targetE1EEEvT1_,comdat
	.protected	_ZN7rocprim17ROCPRIM_400000_NS6detail17trampoline_kernelINS0_14default_configENS1_25partition_config_selectorILNS1_17partition_subalgoE0EtNS0_10empty_typeEbEEZZNS1_14partition_implILS5_0ELb0ES3_jN6thrust23THRUST_200600_302600_NS6detail15normal_iteratorINSA_10device_ptrItEEEEPS6_SG_NS0_5tupleIJSF_SF_EEENSH_IJSG_SG_EEES6_PlJ7is_evenItEEEE10hipError_tPvRmT3_T4_T5_T6_T7_T9_mT8_P12ihipStream_tbDpT10_ENKUlT_T0_E_clISt17integral_constantIbLb1EES16_EEDaS11_S12_EUlS11_E_NS1_11comp_targetILNS1_3genE2ELNS1_11target_archE906ELNS1_3gpuE6ELNS1_3repE0EEENS1_30default_config_static_selectorELNS0_4arch9wavefront6targetE1EEEvT1_ ; -- Begin function _ZN7rocprim17ROCPRIM_400000_NS6detail17trampoline_kernelINS0_14default_configENS1_25partition_config_selectorILNS1_17partition_subalgoE0EtNS0_10empty_typeEbEEZZNS1_14partition_implILS5_0ELb0ES3_jN6thrust23THRUST_200600_302600_NS6detail15normal_iteratorINSA_10device_ptrItEEEEPS6_SG_NS0_5tupleIJSF_SF_EEENSH_IJSG_SG_EEES6_PlJ7is_evenItEEEE10hipError_tPvRmT3_T4_T5_T6_T7_T9_mT8_P12ihipStream_tbDpT10_ENKUlT_T0_E_clISt17integral_constantIbLb1EES16_EEDaS11_S12_EUlS11_E_NS1_11comp_targetILNS1_3genE2ELNS1_11target_archE906ELNS1_3gpuE6ELNS1_3repE0EEENS1_30default_config_static_selectorELNS0_4arch9wavefront6targetE1EEEvT1_
	.globl	_ZN7rocprim17ROCPRIM_400000_NS6detail17trampoline_kernelINS0_14default_configENS1_25partition_config_selectorILNS1_17partition_subalgoE0EtNS0_10empty_typeEbEEZZNS1_14partition_implILS5_0ELb0ES3_jN6thrust23THRUST_200600_302600_NS6detail15normal_iteratorINSA_10device_ptrItEEEEPS6_SG_NS0_5tupleIJSF_SF_EEENSH_IJSG_SG_EEES6_PlJ7is_evenItEEEE10hipError_tPvRmT3_T4_T5_T6_T7_T9_mT8_P12ihipStream_tbDpT10_ENKUlT_T0_E_clISt17integral_constantIbLb1EES16_EEDaS11_S12_EUlS11_E_NS1_11comp_targetILNS1_3genE2ELNS1_11target_archE906ELNS1_3gpuE6ELNS1_3repE0EEENS1_30default_config_static_selectorELNS0_4arch9wavefront6targetE1EEEvT1_
	.p2align	8
	.type	_ZN7rocprim17ROCPRIM_400000_NS6detail17trampoline_kernelINS0_14default_configENS1_25partition_config_selectorILNS1_17partition_subalgoE0EtNS0_10empty_typeEbEEZZNS1_14partition_implILS5_0ELb0ES3_jN6thrust23THRUST_200600_302600_NS6detail15normal_iteratorINSA_10device_ptrItEEEEPS6_SG_NS0_5tupleIJSF_SF_EEENSH_IJSG_SG_EEES6_PlJ7is_evenItEEEE10hipError_tPvRmT3_T4_T5_T6_T7_T9_mT8_P12ihipStream_tbDpT10_ENKUlT_T0_E_clISt17integral_constantIbLb1EES16_EEDaS11_S12_EUlS11_E_NS1_11comp_targetILNS1_3genE2ELNS1_11target_archE906ELNS1_3gpuE6ELNS1_3repE0EEENS1_30default_config_static_selectorELNS0_4arch9wavefront6targetE1EEEvT1_,@function
_ZN7rocprim17ROCPRIM_400000_NS6detail17trampoline_kernelINS0_14default_configENS1_25partition_config_selectorILNS1_17partition_subalgoE0EtNS0_10empty_typeEbEEZZNS1_14partition_implILS5_0ELb0ES3_jN6thrust23THRUST_200600_302600_NS6detail15normal_iteratorINSA_10device_ptrItEEEEPS6_SG_NS0_5tupleIJSF_SF_EEENSH_IJSG_SG_EEES6_PlJ7is_evenItEEEE10hipError_tPvRmT3_T4_T5_T6_T7_T9_mT8_P12ihipStream_tbDpT10_ENKUlT_T0_E_clISt17integral_constantIbLb1EES16_EEDaS11_S12_EUlS11_E_NS1_11comp_targetILNS1_3genE2ELNS1_11target_archE906ELNS1_3gpuE6ELNS1_3repE0EEENS1_30default_config_static_selectorELNS0_4arch9wavefront6targetE1EEEvT1_: ; @_ZN7rocprim17ROCPRIM_400000_NS6detail17trampoline_kernelINS0_14default_configENS1_25partition_config_selectorILNS1_17partition_subalgoE0EtNS0_10empty_typeEbEEZZNS1_14partition_implILS5_0ELb0ES3_jN6thrust23THRUST_200600_302600_NS6detail15normal_iteratorINSA_10device_ptrItEEEEPS6_SG_NS0_5tupleIJSF_SF_EEENSH_IJSG_SG_EEES6_PlJ7is_evenItEEEE10hipError_tPvRmT3_T4_T5_T6_T7_T9_mT8_P12ihipStream_tbDpT10_ENKUlT_T0_E_clISt17integral_constantIbLb1EES16_EEDaS11_S12_EUlS11_E_NS1_11comp_targetILNS1_3genE2ELNS1_11target_archE906ELNS1_3gpuE6ELNS1_3repE0EEENS1_30default_config_static_selectorELNS0_4arch9wavefront6targetE1EEEvT1_
; %bb.0:
	.section	.rodata,"a",@progbits
	.p2align	6, 0x0
	.amdhsa_kernel _ZN7rocprim17ROCPRIM_400000_NS6detail17trampoline_kernelINS0_14default_configENS1_25partition_config_selectorILNS1_17partition_subalgoE0EtNS0_10empty_typeEbEEZZNS1_14partition_implILS5_0ELb0ES3_jN6thrust23THRUST_200600_302600_NS6detail15normal_iteratorINSA_10device_ptrItEEEEPS6_SG_NS0_5tupleIJSF_SF_EEENSH_IJSG_SG_EEES6_PlJ7is_evenItEEEE10hipError_tPvRmT3_T4_T5_T6_T7_T9_mT8_P12ihipStream_tbDpT10_ENKUlT_T0_E_clISt17integral_constantIbLb1EES16_EEDaS11_S12_EUlS11_E_NS1_11comp_targetILNS1_3genE2ELNS1_11target_archE906ELNS1_3gpuE6ELNS1_3repE0EEENS1_30default_config_static_selectorELNS0_4arch9wavefront6targetE1EEEvT1_
		.amdhsa_group_segment_fixed_size 0
		.amdhsa_private_segment_fixed_size 0
		.amdhsa_kernarg_size 136
		.amdhsa_user_sgpr_count 2
		.amdhsa_user_sgpr_dispatch_ptr 0
		.amdhsa_user_sgpr_queue_ptr 0
		.amdhsa_user_sgpr_kernarg_segment_ptr 1
		.amdhsa_user_sgpr_dispatch_id 0
		.amdhsa_user_sgpr_kernarg_preload_length 0
		.amdhsa_user_sgpr_kernarg_preload_offset 0
		.amdhsa_user_sgpr_private_segment_size 0
		.amdhsa_uses_dynamic_stack 0
		.amdhsa_enable_private_segment 0
		.amdhsa_system_sgpr_workgroup_id_x 1
		.amdhsa_system_sgpr_workgroup_id_y 0
		.amdhsa_system_sgpr_workgroup_id_z 0
		.amdhsa_system_sgpr_workgroup_info 0
		.amdhsa_system_vgpr_workitem_id 0
		.amdhsa_next_free_vgpr 1
		.amdhsa_next_free_sgpr 0
		.amdhsa_accum_offset 4
		.amdhsa_reserve_vcc 0
		.amdhsa_float_round_mode_32 0
		.amdhsa_float_round_mode_16_64 0
		.amdhsa_float_denorm_mode_32 3
		.amdhsa_float_denorm_mode_16_64 3
		.amdhsa_dx10_clamp 1
		.amdhsa_ieee_mode 1
		.amdhsa_fp16_overflow 0
		.amdhsa_tg_split 0
		.amdhsa_exception_fp_ieee_invalid_op 0
		.amdhsa_exception_fp_denorm_src 0
		.amdhsa_exception_fp_ieee_div_zero 0
		.amdhsa_exception_fp_ieee_overflow 0
		.amdhsa_exception_fp_ieee_underflow 0
		.amdhsa_exception_fp_ieee_inexact 0
		.amdhsa_exception_int_div_zero 0
	.end_amdhsa_kernel
	.section	.text._ZN7rocprim17ROCPRIM_400000_NS6detail17trampoline_kernelINS0_14default_configENS1_25partition_config_selectorILNS1_17partition_subalgoE0EtNS0_10empty_typeEbEEZZNS1_14partition_implILS5_0ELb0ES3_jN6thrust23THRUST_200600_302600_NS6detail15normal_iteratorINSA_10device_ptrItEEEEPS6_SG_NS0_5tupleIJSF_SF_EEENSH_IJSG_SG_EEES6_PlJ7is_evenItEEEE10hipError_tPvRmT3_T4_T5_T6_T7_T9_mT8_P12ihipStream_tbDpT10_ENKUlT_T0_E_clISt17integral_constantIbLb1EES16_EEDaS11_S12_EUlS11_E_NS1_11comp_targetILNS1_3genE2ELNS1_11target_archE906ELNS1_3gpuE6ELNS1_3repE0EEENS1_30default_config_static_selectorELNS0_4arch9wavefront6targetE1EEEvT1_,"axG",@progbits,_ZN7rocprim17ROCPRIM_400000_NS6detail17trampoline_kernelINS0_14default_configENS1_25partition_config_selectorILNS1_17partition_subalgoE0EtNS0_10empty_typeEbEEZZNS1_14partition_implILS5_0ELb0ES3_jN6thrust23THRUST_200600_302600_NS6detail15normal_iteratorINSA_10device_ptrItEEEEPS6_SG_NS0_5tupleIJSF_SF_EEENSH_IJSG_SG_EEES6_PlJ7is_evenItEEEE10hipError_tPvRmT3_T4_T5_T6_T7_T9_mT8_P12ihipStream_tbDpT10_ENKUlT_T0_E_clISt17integral_constantIbLb1EES16_EEDaS11_S12_EUlS11_E_NS1_11comp_targetILNS1_3genE2ELNS1_11target_archE906ELNS1_3gpuE6ELNS1_3repE0EEENS1_30default_config_static_selectorELNS0_4arch9wavefront6targetE1EEEvT1_,comdat
.Lfunc_end2182:
	.size	_ZN7rocprim17ROCPRIM_400000_NS6detail17trampoline_kernelINS0_14default_configENS1_25partition_config_selectorILNS1_17partition_subalgoE0EtNS0_10empty_typeEbEEZZNS1_14partition_implILS5_0ELb0ES3_jN6thrust23THRUST_200600_302600_NS6detail15normal_iteratorINSA_10device_ptrItEEEEPS6_SG_NS0_5tupleIJSF_SF_EEENSH_IJSG_SG_EEES6_PlJ7is_evenItEEEE10hipError_tPvRmT3_T4_T5_T6_T7_T9_mT8_P12ihipStream_tbDpT10_ENKUlT_T0_E_clISt17integral_constantIbLb1EES16_EEDaS11_S12_EUlS11_E_NS1_11comp_targetILNS1_3genE2ELNS1_11target_archE906ELNS1_3gpuE6ELNS1_3repE0EEENS1_30default_config_static_selectorELNS0_4arch9wavefront6targetE1EEEvT1_, .Lfunc_end2182-_ZN7rocprim17ROCPRIM_400000_NS6detail17trampoline_kernelINS0_14default_configENS1_25partition_config_selectorILNS1_17partition_subalgoE0EtNS0_10empty_typeEbEEZZNS1_14partition_implILS5_0ELb0ES3_jN6thrust23THRUST_200600_302600_NS6detail15normal_iteratorINSA_10device_ptrItEEEEPS6_SG_NS0_5tupleIJSF_SF_EEENSH_IJSG_SG_EEES6_PlJ7is_evenItEEEE10hipError_tPvRmT3_T4_T5_T6_T7_T9_mT8_P12ihipStream_tbDpT10_ENKUlT_T0_E_clISt17integral_constantIbLb1EES16_EEDaS11_S12_EUlS11_E_NS1_11comp_targetILNS1_3genE2ELNS1_11target_archE906ELNS1_3gpuE6ELNS1_3repE0EEENS1_30default_config_static_selectorELNS0_4arch9wavefront6targetE1EEEvT1_
                                        ; -- End function
	.section	.AMDGPU.csdata,"",@progbits
; Kernel info:
; codeLenInByte = 0
; NumSgprs: 6
; NumVgprs: 0
; NumAgprs: 0
; TotalNumVgprs: 0
; ScratchSize: 0
; MemoryBound: 0
; FloatMode: 240
; IeeeMode: 1
; LDSByteSize: 0 bytes/workgroup (compile time only)
; SGPRBlocks: 0
; VGPRBlocks: 0
; NumSGPRsForWavesPerEU: 6
; NumVGPRsForWavesPerEU: 1
; AccumOffset: 4
; Occupancy: 8
; WaveLimiterHint : 0
; COMPUTE_PGM_RSRC2:SCRATCH_EN: 0
; COMPUTE_PGM_RSRC2:USER_SGPR: 2
; COMPUTE_PGM_RSRC2:TRAP_HANDLER: 0
; COMPUTE_PGM_RSRC2:TGID_X_EN: 1
; COMPUTE_PGM_RSRC2:TGID_Y_EN: 0
; COMPUTE_PGM_RSRC2:TGID_Z_EN: 0
; COMPUTE_PGM_RSRC2:TIDIG_COMP_CNT: 0
; COMPUTE_PGM_RSRC3_GFX90A:ACCUM_OFFSET: 0
; COMPUTE_PGM_RSRC3_GFX90A:TG_SPLIT: 0
	.section	.text._ZN7rocprim17ROCPRIM_400000_NS6detail17trampoline_kernelINS0_14default_configENS1_25partition_config_selectorILNS1_17partition_subalgoE0EtNS0_10empty_typeEbEEZZNS1_14partition_implILS5_0ELb0ES3_jN6thrust23THRUST_200600_302600_NS6detail15normal_iteratorINSA_10device_ptrItEEEEPS6_SG_NS0_5tupleIJSF_SF_EEENSH_IJSG_SG_EEES6_PlJ7is_evenItEEEE10hipError_tPvRmT3_T4_T5_T6_T7_T9_mT8_P12ihipStream_tbDpT10_ENKUlT_T0_E_clISt17integral_constantIbLb1EES16_EEDaS11_S12_EUlS11_E_NS1_11comp_targetILNS1_3genE10ELNS1_11target_archE1200ELNS1_3gpuE4ELNS1_3repE0EEENS1_30default_config_static_selectorELNS0_4arch9wavefront6targetE1EEEvT1_,"axG",@progbits,_ZN7rocprim17ROCPRIM_400000_NS6detail17trampoline_kernelINS0_14default_configENS1_25partition_config_selectorILNS1_17partition_subalgoE0EtNS0_10empty_typeEbEEZZNS1_14partition_implILS5_0ELb0ES3_jN6thrust23THRUST_200600_302600_NS6detail15normal_iteratorINSA_10device_ptrItEEEEPS6_SG_NS0_5tupleIJSF_SF_EEENSH_IJSG_SG_EEES6_PlJ7is_evenItEEEE10hipError_tPvRmT3_T4_T5_T6_T7_T9_mT8_P12ihipStream_tbDpT10_ENKUlT_T0_E_clISt17integral_constantIbLb1EES16_EEDaS11_S12_EUlS11_E_NS1_11comp_targetILNS1_3genE10ELNS1_11target_archE1200ELNS1_3gpuE4ELNS1_3repE0EEENS1_30default_config_static_selectorELNS0_4arch9wavefront6targetE1EEEvT1_,comdat
	.protected	_ZN7rocprim17ROCPRIM_400000_NS6detail17trampoline_kernelINS0_14default_configENS1_25partition_config_selectorILNS1_17partition_subalgoE0EtNS0_10empty_typeEbEEZZNS1_14partition_implILS5_0ELb0ES3_jN6thrust23THRUST_200600_302600_NS6detail15normal_iteratorINSA_10device_ptrItEEEEPS6_SG_NS0_5tupleIJSF_SF_EEENSH_IJSG_SG_EEES6_PlJ7is_evenItEEEE10hipError_tPvRmT3_T4_T5_T6_T7_T9_mT8_P12ihipStream_tbDpT10_ENKUlT_T0_E_clISt17integral_constantIbLb1EES16_EEDaS11_S12_EUlS11_E_NS1_11comp_targetILNS1_3genE10ELNS1_11target_archE1200ELNS1_3gpuE4ELNS1_3repE0EEENS1_30default_config_static_selectorELNS0_4arch9wavefront6targetE1EEEvT1_ ; -- Begin function _ZN7rocprim17ROCPRIM_400000_NS6detail17trampoline_kernelINS0_14default_configENS1_25partition_config_selectorILNS1_17partition_subalgoE0EtNS0_10empty_typeEbEEZZNS1_14partition_implILS5_0ELb0ES3_jN6thrust23THRUST_200600_302600_NS6detail15normal_iteratorINSA_10device_ptrItEEEEPS6_SG_NS0_5tupleIJSF_SF_EEENSH_IJSG_SG_EEES6_PlJ7is_evenItEEEE10hipError_tPvRmT3_T4_T5_T6_T7_T9_mT8_P12ihipStream_tbDpT10_ENKUlT_T0_E_clISt17integral_constantIbLb1EES16_EEDaS11_S12_EUlS11_E_NS1_11comp_targetILNS1_3genE10ELNS1_11target_archE1200ELNS1_3gpuE4ELNS1_3repE0EEENS1_30default_config_static_selectorELNS0_4arch9wavefront6targetE1EEEvT1_
	.globl	_ZN7rocprim17ROCPRIM_400000_NS6detail17trampoline_kernelINS0_14default_configENS1_25partition_config_selectorILNS1_17partition_subalgoE0EtNS0_10empty_typeEbEEZZNS1_14partition_implILS5_0ELb0ES3_jN6thrust23THRUST_200600_302600_NS6detail15normal_iteratorINSA_10device_ptrItEEEEPS6_SG_NS0_5tupleIJSF_SF_EEENSH_IJSG_SG_EEES6_PlJ7is_evenItEEEE10hipError_tPvRmT3_T4_T5_T6_T7_T9_mT8_P12ihipStream_tbDpT10_ENKUlT_T0_E_clISt17integral_constantIbLb1EES16_EEDaS11_S12_EUlS11_E_NS1_11comp_targetILNS1_3genE10ELNS1_11target_archE1200ELNS1_3gpuE4ELNS1_3repE0EEENS1_30default_config_static_selectorELNS0_4arch9wavefront6targetE1EEEvT1_
	.p2align	8
	.type	_ZN7rocprim17ROCPRIM_400000_NS6detail17trampoline_kernelINS0_14default_configENS1_25partition_config_selectorILNS1_17partition_subalgoE0EtNS0_10empty_typeEbEEZZNS1_14partition_implILS5_0ELb0ES3_jN6thrust23THRUST_200600_302600_NS6detail15normal_iteratorINSA_10device_ptrItEEEEPS6_SG_NS0_5tupleIJSF_SF_EEENSH_IJSG_SG_EEES6_PlJ7is_evenItEEEE10hipError_tPvRmT3_T4_T5_T6_T7_T9_mT8_P12ihipStream_tbDpT10_ENKUlT_T0_E_clISt17integral_constantIbLb1EES16_EEDaS11_S12_EUlS11_E_NS1_11comp_targetILNS1_3genE10ELNS1_11target_archE1200ELNS1_3gpuE4ELNS1_3repE0EEENS1_30default_config_static_selectorELNS0_4arch9wavefront6targetE1EEEvT1_,@function
_ZN7rocprim17ROCPRIM_400000_NS6detail17trampoline_kernelINS0_14default_configENS1_25partition_config_selectorILNS1_17partition_subalgoE0EtNS0_10empty_typeEbEEZZNS1_14partition_implILS5_0ELb0ES3_jN6thrust23THRUST_200600_302600_NS6detail15normal_iteratorINSA_10device_ptrItEEEEPS6_SG_NS0_5tupleIJSF_SF_EEENSH_IJSG_SG_EEES6_PlJ7is_evenItEEEE10hipError_tPvRmT3_T4_T5_T6_T7_T9_mT8_P12ihipStream_tbDpT10_ENKUlT_T0_E_clISt17integral_constantIbLb1EES16_EEDaS11_S12_EUlS11_E_NS1_11comp_targetILNS1_3genE10ELNS1_11target_archE1200ELNS1_3gpuE4ELNS1_3repE0EEENS1_30default_config_static_selectorELNS0_4arch9wavefront6targetE1EEEvT1_: ; @_ZN7rocprim17ROCPRIM_400000_NS6detail17trampoline_kernelINS0_14default_configENS1_25partition_config_selectorILNS1_17partition_subalgoE0EtNS0_10empty_typeEbEEZZNS1_14partition_implILS5_0ELb0ES3_jN6thrust23THRUST_200600_302600_NS6detail15normal_iteratorINSA_10device_ptrItEEEEPS6_SG_NS0_5tupleIJSF_SF_EEENSH_IJSG_SG_EEES6_PlJ7is_evenItEEEE10hipError_tPvRmT3_T4_T5_T6_T7_T9_mT8_P12ihipStream_tbDpT10_ENKUlT_T0_E_clISt17integral_constantIbLb1EES16_EEDaS11_S12_EUlS11_E_NS1_11comp_targetILNS1_3genE10ELNS1_11target_archE1200ELNS1_3gpuE4ELNS1_3repE0EEENS1_30default_config_static_selectorELNS0_4arch9wavefront6targetE1EEEvT1_
; %bb.0:
	.section	.rodata,"a",@progbits
	.p2align	6, 0x0
	.amdhsa_kernel _ZN7rocprim17ROCPRIM_400000_NS6detail17trampoline_kernelINS0_14default_configENS1_25partition_config_selectorILNS1_17partition_subalgoE0EtNS0_10empty_typeEbEEZZNS1_14partition_implILS5_0ELb0ES3_jN6thrust23THRUST_200600_302600_NS6detail15normal_iteratorINSA_10device_ptrItEEEEPS6_SG_NS0_5tupleIJSF_SF_EEENSH_IJSG_SG_EEES6_PlJ7is_evenItEEEE10hipError_tPvRmT3_T4_T5_T6_T7_T9_mT8_P12ihipStream_tbDpT10_ENKUlT_T0_E_clISt17integral_constantIbLb1EES16_EEDaS11_S12_EUlS11_E_NS1_11comp_targetILNS1_3genE10ELNS1_11target_archE1200ELNS1_3gpuE4ELNS1_3repE0EEENS1_30default_config_static_selectorELNS0_4arch9wavefront6targetE1EEEvT1_
		.amdhsa_group_segment_fixed_size 0
		.amdhsa_private_segment_fixed_size 0
		.amdhsa_kernarg_size 136
		.amdhsa_user_sgpr_count 2
		.amdhsa_user_sgpr_dispatch_ptr 0
		.amdhsa_user_sgpr_queue_ptr 0
		.amdhsa_user_sgpr_kernarg_segment_ptr 1
		.amdhsa_user_sgpr_dispatch_id 0
		.amdhsa_user_sgpr_kernarg_preload_length 0
		.amdhsa_user_sgpr_kernarg_preload_offset 0
		.amdhsa_user_sgpr_private_segment_size 0
		.amdhsa_uses_dynamic_stack 0
		.amdhsa_enable_private_segment 0
		.amdhsa_system_sgpr_workgroup_id_x 1
		.amdhsa_system_sgpr_workgroup_id_y 0
		.amdhsa_system_sgpr_workgroup_id_z 0
		.amdhsa_system_sgpr_workgroup_info 0
		.amdhsa_system_vgpr_workitem_id 0
		.amdhsa_next_free_vgpr 1
		.amdhsa_next_free_sgpr 0
		.amdhsa_accum_offset 4
		.amdhsa_reserve_vcc 0
		.amdhsa_float_round_mode_32 0
		.amdhsa_float_round_mode_16_64 0
		.amdhsa_float_denorm_mode_32 3
		.amdhsa_float_denorm_mode_16_64 3
		.amdhsa_dx10_clamp 1
		.amdhsa_ieee_mode 1
		.amdhsa_fp16_overflow 0
		.amdhsa_tg_split 0
		.amdhsa_exception_fp_ieee_invalid_op 0
		.amdhsa_exception_fp_denorm_src 0
		.amdhsa_exception_fp_ieee_div_zero 0
		.amdhsa_exception_fp_ieee_overflow 0
		.amdhsa_exception_fp_ieee_underflow 0
		.amdhsa_exception_fp_ieee_inexact 0
		.amdhsa_exception_int_div_zero 0
	.end_amdhsa_kernel
	.section	.text._ZN7rocprim17ROCPRIM_400000_NS6detail17trampoline_kernelINS0_14default_configENS1_25partition_config_selectorILNS1_17partition_subalgoE0EtNS0_10empty_typeEbEEZZNS1_14partition_implILS5_0ELb0ES3_jN6thrust23THRUST_200600_302600_NS6detail15normal_iteratorINSA_10device_ptrItEEEEPS6_SG_NS0_5tupleIJSF_SF_EEENSH_IJSG_SG_EEES6_PlJ7is_evenItEEEE10hipError_tPvRmT3_T4_T5_T6_T7_T9_mT8_P12ihipStream_tbDpT10_ENKUlT_T0_E_clISt17integral_constantIbLb1EES16_EEDaS11_S12_EUlS11_E_NS1_11comp_targetILNS1_3genE10ELNS1_11target_archE1200ELNS1_3gpuE4ELNS1_3repE0EEENS1_30default_config_static_selectorELNS0_4arch9wavefront6targetE1EEEvT1_,"axG",@progbits,_ZN7rocprim17ROCPRIM_400000_NS6detail17trampoline_kernelINS0_14default_configENS1_25partition_config_selectorILNS1_17partition_subalgoE0EtNS0_10empty_typeEbEEZZNS1_14partition_implILS5_0ELb0ES3_jN6thrust23THRUST_200600_302600_NS6detail15normal_iteratorINSA_10device_ptrItEEEEPS6_SG_NS0_5tupleIJSF_SF_EEENSH_IJSG_SG_EEES6_PlJ7is_evenItEEEE10hipError_tPvRmT3_T4_T5_T6_T7_T9_mT8_P12ihipStream_tbDpT10_ENKUlT_T0_E_clISt17integral_constantIbLb1EES16_EEDaS11_S12_EUlS11_E_NS1_11comp_targetILNS1_3genE10ELNS1_11target_archE1200ELNS1_3gpuE4ELNS1_3repE0EEENS1_30default_config_static_selectorELNS0_4arch9wavefront6targetE1EEEvT1_,comdat
.Lfunc_end2183:
	.size	_ZN7rocprim17ROCPRIM_400000_NS6detail17trampoline_kernelINS0_14default_configENS1_25partition_config_selectorILNS1_17partition_subalgoE0EtNS0_10empty_typeEbEEZZNS1_14partition_implILS5_0ELb0ES3_jN6thrust23THRUST_200600_302600_NS6detail15normal_iteratorINSA_10device_ptrItEEEEPS6_SG_NS0_5tupleIJSF_SF_EEENSH_IJSG_SG_EEES6_PlJ7is_evenItEEEE10hipError_tPvRmT3_T4_T5_T6_T7_T9_mT8_P12ihipStream_tbDpT10_ENKUlT_T0_E_clISt17integral_constantIbLb1EES16_EEDaS11_S12_EUlS11_E_NS1_11comp_targetILNS1_3genE10ELNS1_11target_archE1200ELNS1_3gpuE4ELNS1_3repE0EEENS1_30default_config_static_selectorELNS0_4arch9wavefront6targetE1EEEvT1_, .Lfunc_end2183-_ZN7rocprim17ROCPRIM_400000_NS6detail17trampoline_kernelINS0_14default_configENS1_25partition_config_selectorILNS1_17partition_subalgoE0EtNS0_10empty_typeEbEEZZNS1_14partition_implILS5_0ELb0ES3_jN6thrust23THRUST_200600_302600_NS6detail15normal_iteratorINSA_10device_ptrItEEEEPS6_SG_NS0_5tupleIJSF_SF_EEENSH_IJSG_SG_EEES6_PlJ7is_evenItEEEE10hipError_tPvRmT3_T4_T5_T6_T7_T9_mT8_P12ihipStream_tbDpT10_ENKUlT_T0_E_clISt17integral_constantIbLb1EES16_EEDaS11_S12_EUlS11_E_NS1_11comp_targetILNS1_3genE10ELNS1_11target_archE1200ELNS1_3gpuE4ELNS1_3repE0EEENS1_30default_config_static_selectorELNS0_4arch9wavefront6targetE1EEEvT1_
                                        ; -- End function
	.section	.AMDGPU.csdata,"",@progbits
; Kernel info:
; codeLenInByte = 0
; NumSgprs: 6
; NumVgprs: 0
; NumAgprs: 0
; TotalNumVgprs: 0
; ScratchSize: 0
; MemoryBound: 0
; FloatMode: 240
; IeeeMode: 1
; LDSByteSize: 0 bytes/workgroup (compile time only)
; SGPRBlocks: 0
; VGPRBlocks: 0
; NumSGPRsForWavesPerEU: 6
; NumVGPRsForWavesPerEU: 1
; AccumOffset: 4
; Occupancy: 8
; WaveLimiterHint : 0
; COMPUTE_PGM_RSRC2:SCRATCH_EN: 0
; COMPUTE_PGM_RSRC2:USER_SGPR: 2
; COMPUTE_PGM_RSRC2:TRAP_HANDLER: 0
; COMPUTE_PGM_RSRC2:TGID_X_EN: 1
; COMPUTE_PGM_RSRC2:TGID_Y_EN: 0
; COMPUTE_PGM_RSRC2:TGID_Z_EN: 0
; COMPUTE_PGM_RSRC2:TIDIG_COMP_CNT: 0
; COMPUTE_PGM_RSRC3_GFX90A:ACCUM_OFFSET: 0
; COMPUTE_PGM_RSRC3_GFX90A:TG_SPLIT: 0
	.section	.text._ZN7rocprim17ROCPRIM_400000_NS6detail17trampoline_kernelINS0_14default_configENS1_25partition_config_selectorILNS1_17partition_subalgoE0EtNS0_10empty_typeEbEEZZNS1_14partition_implILS5_0ELb0ES3_jN6thrust23THRUST_200600_302600_NS6detail15normal_iteratorINSA_10device_ptrItEEEEPS6_SG_NS0_5tupleIJSF_SF_EEENSH_IJSG_SG_EEES6_PlJ7is_evenItEEEE10hipError_tPvRmT3_T4_T5_T6_T7_T9_mT8_P12ihipStream_tbDpT10_ENKUlT_T0_E_clISt17integral_constantIbLb1EES16_EEDaS11_S12_EUlS11_E_NS1_11comp_targetILNS1_3genE9ELNS1_11target_archE1100ELNS1_3gpuE3ELNS1_3repE0EEENS1_30default_config_static_selectorELNS0_4arch9wavefront6targetE1EEEvT1_,"axG",@progbits,_ZN7rocprim17ROCPRIM_400000_NS6detail17trampoline_kernelINS0_14default_configENS1_25partition_config_selectorILNS1_17partition_subalgoE0EtNS0_10empty_typeEbEEZZNS1_14partition_implILS5_0ELb0ES3_jN6thrust23THRUST_200600_302600_NS6detail15normal_iteratorINSA_10device_ptrItEEEEPS6_SG_NS0_5tupleIJSF_SF_EEENSH_IJSG_SG_EEES6_PlJ7is_evenItEEEE10hipError_tPvRmT3_T4_T5_T6_T7_T9_mT8_P12ihipStream_tbDpT10_ENKUlT_T0_E_clISt17integral_constantIbLb1EES16_EEDaS11_S12_EUlS11_E_NS1_11comp_targetILNS1_3genE9ELNS1_11target_archE1100ELNS1_3gpuE3ELNS1_3repE0EEENS1_30default_config_static_selectorELNS0_4arch9wavefront6targetE1EEEvT1_,comdat
	.protected	_ZN7rocprim17ROCPRIM_400000_NS6detail17trampoline_kernelINS0_14default_configENS1_25partition_config_selectorILNS1_17partition_subalgoE0EtNS0_10empty_typeEbEEZZNS1_14partition_implILS5_0ELb0ES3_jN6thrust23THRUST_200600_302600_NS6detail15normal_iteratorINSA_10device_ptrItEEEEPS6_SG_NS0_5tupleIJSF_SF_EEENSH_IJSG_SG_EEES6_PlJ7is_evenItEEEE10hipError_tPvRmT3_T4_T5_T6_T7_T9_mT8_P12ihipStream_tbDpT10_ENKUlT_T0_E_clISt17integral_constantIbLb1EES16_EEDaS11_S12_EUlS11_E_NS1_11comp_targetILNS1_3genE9ELNS1_11target_archE1100ELNS1_3gpuE3ELNS1_3repE0EEENS1_30default_config_static_selectorELNS0_4arch9wavefront6targetE1EEEvT1_ ; -- Begin function _ZN7rocprim17ROCPRIM_400000_NS6detail17trampoline_kernelINS0_14default_configENS1_25partition_config_selectorILNS1_17partition_subalgoE0EtNS0_10empty_typeEbEEZZNS1_14partition_implILS5_0ELb0ES3_jN6thrust23THRUST_200600_302600_NS6detail15normal_iteratorINSA_10device_ptrItEEEEPS6_SG_NS0_5tupleIJSF_SF_EEENSH_IJSG_SG_EEES6_PlJ7is_evenItEEEE10hipError_tPvRmT3_T4_T5_T6_T7_T9_mT8_P12ihipStream_tbDpT10_ENKUlT_T0_E_clISt17integral_constantIbLb1EES16_EEDaS11_S12_EUlS11_E_NS1_11comp_targetILNS1_3genE9ELNS1_11target_archE1100ELNS1_3gpuE3ELNS1_3repE0EEENS1_30default_config_static_selectorELNS0_4arch9wavefront6targetE1EEEvT1_
	.globl	_ZN7rocprim17ROCPRIM_400000_NS6detail17trampoline_kernelINS0_14default_configENS1_25partition_config_selectorILNS1_17partition_subalgoE0EtNS0_10empty_typeEbEEZZNS1_14partition_implILS5_0ELb0ES3_jN6thrust23THRUST_200600_302600_NS6detail15normal_iteratorINSA_10device_ptrItEEEEPS6_SG_NS0_5tupleIJSF_SF_EEENSH_IJSG_SG_EEES6_PlJ7is_evenItEEEE10hipError_tPvRmT3_T4_T5_T6_T7_T9_mT8_P12ihipStream_tbDpT10_ENKUlT_T0_E_clISt17integral_constantIbLb1EES16_EEDaS11_S12_EUlS11_E_NS1_11comp_targetILNS1_3genE9ELNS1_11target_archE1100ELNS1_3gpuE3ELNS1_3repE0EEENS1_30default_config_static_selectorELNS0_4arch9wavefront6targetE1EEEvT1_
	.p2align	8
	.type	_ZN7rocprim17ROCPRIM_400000_NS6detail17trampoline_kernelINS0_14default_configENS1_25partition_config_selectorILNS1_17partition_subalgoE0EtNS0_10empty_typeEbEEZZNS1_14partition_implILS5_0ELb0ES3_jN6thrust23THRUST_200600_302600_NS6detail15normal_iteratorINSA_10device_ptrItEEEEPS6_SG_NS0_5tupleIJSF_SF_EEENSH_IJSG_SG_EEES6_PlJ7is_evenItEEEE10hipError_tPvRmT3_T4_T5_T6_T7_T9_mT8_P12ihipStream_tbDpT10_ENKUlT_T0_E_clISt17integral_constantIbLb1EES16_EEDaS11_S12_EUlS11_E_NS1_11comp_targetILNS1_3genE9ELNS1_11target_archE1100ELNS1_3gpuE3ELNS1_3repE0EEENS1_30default_config_static_selectorELNS0_4arch9wavefront6targetE1EEEvT1_,@function
_ZN7rocprim17ROCPRIM_400000_NS6detail17trampoline_kernelINS0_14default_configENS1_25partition_config_selectorILNS1_17partition_subalgoE0EtNS0_10empty_typeEbEEZZNS1_14partition_implILS5_0ELb0ES3_jN6thrust23THRUST_200600_302600_NS6detail15normal_iteratorINSA_10device_ptrItEEEEPS6_SG_NS0_5tupleIJSF_SF_EEENSH_IJSG_SG_EEES6_PlJ7is_evenItEEEE10hipError_tPvRmT3_T4_T5_T6_T7_T9_mT8_P12ihipStream_tbDpT10_ENKUlT_T0_E_clISt17integral_constantIbLb1EES16_EEDaS11_S12_EUlS11_E_NS1_11comp_targetILNS1_3genE9ELNS1_11target_archE1100ELNS1_3gpuE3ELNS1_3repE0EEENS1_30default_config_static_selectorELNS0_4arch9wavefront6targetE1EEEvT1_: ; @_ZN7rocprim17ROCPRIM_400000_NS6detail17trampoline_kernelINS0_14default_configENS1_25partition_config_selectorILNS1_17partition_subalgoE0EtNS0_10empty_typeEbEEZZNS1_14partition_implILS5_0ELb0ES3_jN6thrust23THRUST_200600_302600_NS6detail15normal_iteratorINSA_10device_ptrItEEEEPS6_SG_NS0_5tupleIJSF_SF_EEENSH_IJSG_SG_EEES6_PlJ7is_evenItEEEE10hipError_tPvRmT3_T4_T5_T6_T7_T9_mT8_P12ihipStream_tbDpT10_ENKUlT_T0_E_clISt17integral_constantIbLb1EES16_EEDaS11_S12_EUlS11_E_NS1_11comp_targetILNS1_3genE9ELNS1_11target_archE1100ELNS1_3gpuE3ELNS1_3repE0EEENS1_30default_config_static_selectorELNS0_4arch9wavefront6targetE1EEEvT1_
; %bb.0:
	.section	.rodata,"a",@progbits
	.p2align	6, 0x0
	.amdhsa_kernel _ZN7rocprim17ROCPRIM_400000_NS6detail17trampoline_kernelINS0_14default_configENS1_25partition_config_selectorILNS1_17partition_subalgoE0EtNS0_10empty_typeEbEEZZNS1_14partition_implILS5_0ELb0ES3_jN6thrust23THRUST_200600_302600_NS6detail15normal_iteratorINSA_10device_ptrItEEEEPS6_SG_NS0_5tupleIJSF_SF_EEENSH_IJSG_SG_EEES6_PlJ7is_evenItEEEE10hipError_tPvRmT3_T4_T5_T6_T7_T9_mT8_P12ihipStream_tbDpT10_ENKUlT_T0_E_clISt17integral_constantIbLb1EES16_EEDaS11_S12_EUlS11_E_NS1_11comp_targetILNS1_3genE9ELNS1_11target_archE1100ELNS1_3gpuE3ELNS1_3repE0EEENS1_30default_config_static_selectorELNS0_4arch9wavefront6targetE1EEEvT1_
		.amdhsa_group_segment_fixed_size 0
		.amdhsa_private_segment_fixed_size 0
		.amdhsa_kernarg_size 136
		.amdhsa_user_sgpr_count 2
		.amdhsa_user_sgpr_dispatch_ptr 0
		.amdhsa_user_sgpr_queue_ptr 0
		.amdhsa_user_sgpr_kernarg_segment_ptr 1
		.amdhsa_user_sgpr_dispatch_id 0
		.amdhsa_user_sgpr_kernarg_preload_length 0
		.amdhsa_user_sgpr_kernarg_preload_offset 0
		.amdhsa_user_sgpr_private_segment_size 0
		.amdhsa_uses_dynamic_stack 0
		.amdhsa_enable_private_segment 0
		.amdhsa_system_sgpr_workgroup_id_x 1
		.amdhsa_system_sgpr_workgroup_id_y 0
		.amdhsa_system_sgpr_workgroup_id_z 0
		.amdhsa_system_sgpr_workgroup_info 0
		.amdhsa_system_vgpr_workitem_id 0
		.amdhsa_next_free_vgpr 1
		.amdhsa_next_free_sgpr 0
		.amdhsa_accum_offset 4
		.amdhsa_reserve_vcc 0
		.amdhsa_float_round_mode_32 0
		.amdhsa_float_round_mode_16_64 0
		.amdhsa_float_denorm_mode_32 3
		.amdhsa_float_denorm_mode_16_64 3
		.amdhsa_dx10_clamp 1
		.amdhsa_ieee_mode 1
		.amdhsa_fp16_overflow 0
		.amdhsa_tg_split 0
		.amdhsa_exception_fp_ieee_invalid_op 0
		.amdhsa_exception_fp_denorm_src 0
		.amdhsa_exception_fp_ieee_div_zero 0
		.amdhsa_exception_fp_ieee_overflow 0
		.amdhsa_exception_fp_ieee_underflow 0
		.amdhsa_exception_fp_ieee_inexact 0
		.amdhsa_exception_int_div_zero 0
	.end_amdhsa_kernel
	.section	.text._ZN7rocprim17ROCPRIM_400000_NS6detail17trampoline_kernelINS0_14default_configENS1_25partition_config_selectorILNS1_17partition_subalgoE0EtNS0_10empty_typeEbEEZZNS1_14partition_implILS5_0ELb0ES3_jN6thrust23THRUST_200600_302600_NS6detail15normal_iteratorINSA_10device_ptrItEEEEPS6_SG_NS0_5tupleIJSF_SF_EEENSH_IJSG_SG_EEES6_PlJ7is_evenItEEEE10hipError_tPvRmT3_T4_T5_T6_T7_T9_mT8_P12ihipStream_tbDpT10_ENKUlT_T0_E_clISt17integral_constantIbLb1EES16_EEDaS11_S12_EUlS11_E_NS1_11comp_targetILNS1_3genE9ELNS1_11target_archE1100ELNS1_3gpuE3ELNS1_3repE0EEENS1_30default_config_static_selectorELNS0_4arch9wavefront6targetE1EEEvT1_,"axG",@progbits,_ZN7rocprim17ROCPRIM_400000_NS6detail17trampoline_kernelINS0_14default_configENS1_25partition_config_selectorILNS1_17partition_subalgoE0EtNS0_10empty_typeEbEEZZNS1_14partition_implILS5_0ELb0ES3_jN6thrust23THRUST_200600_302600_NS6detail15normal_iteratorINSA_10device_ptrItEEEEPS6_SG_NS0_5tupleIJSF_SF_EEENSH_IJSG_SG_EEES6_PlJ7is_evenItEEEE10hipError_tPvRmT3_T4_T5_T6_T7_T9_mT8_P12ihipStream_tbDpT10_ENKUlT_T0_E_clISt17integral_constantIbLb1EES16_EEDaS11_S12_EUlS11_E_NS1_11comp_targetILNS1_3genE9ELNS1_11target_archE1100ELNS1_3gpuE3ELNS1_3repE0EEENS1_30default_config_static_selectorELNS0_4arch9wavefront6targetE1EEEvT1_,comdat
.Lfunc_end2184:
	.size	_ZN7rocprim17ROCPRIM_400000_NS6detail17trampoline_kernelINS0_14default_configENS1_25partition_config_selectorILNS1_17partition_subalgoE0EtNS0_10empty_typeEbEEZZNS1_14partition_implILS5_0ELb0ES3_jN6thrust23THRUST_200600_302600_NS6detail15normal_iteratorINSA_10device_ptrItEEEEPS6_SG_NS0_5tupleIJSF_SF_EEENSH_IJSG_SG_EEES6_PlJ7is_evenItEEEE10hipError_tPvRmT3_T4_T5_T6_T7_T9_mT8_P12ihipStream_tbDpT10_ENKUlT_T0_E_clISt17integral_constantIbLb1EES16_EEDaS11_S12_EUlS11_E_NS1_11comp_targetILNS1_3genE9ELNS1_11target_archE1100ELNS1_3gpuE3ELNS1_3repE0EEENS1_30default_config_static_selectorELNS0_4arch9wavefront6targetE1EEEvT1_, .Lfunc_end2184-_ZN7rocprim17ROCPRIM_400000_NS6detail17trampoline_kernelINS0_14default_configENS1_25partition_config_selectorILNS1_17partition_subalgoE0EtNS0_10empty_typeEbEEZZNS1_14partition_implILS5_0ELb0ES3_jN6thrust23THRUST_200600_302600_NS6detail15normal_iteratorINSA_10device_ptrItEEEEPS6_SG_NS0_5tupleIJSF_SF_EEENSH_IJSG_SG_EEES6_PlJ7is_evenItEEEE10hipError_tPvRmT3_T4_T5_T6_T7_T9_mT8_P12ihipStream_tbDpT10_ENKUlT_T0_E_clISt17integral_constantIbLb1EES16_EEDaS11_S12_EUlS11_E_NS1_11comp_targetILNS1_3genE9ELNS1_11target_archE1100ELNS1_3gpuE3ELNS1_3repE0EEENS1_30default_config_static_selectorELNS0_4arch9wavefront6targetE1EEEvT1_
                                        ; -- End function
	.section	.AMDGPU.csdata,"",@progbits
; Kernel info:
; codeLenInByte = 0
; NumSgprs: 6
; NumVgprs: 0
; NumAgprs: 0
; TotalNumVgprs: 0
; ScratchSize: 0
; MemoryBound: 0
; FloatMode: 240
; IeeeMode: 1
; LDSByteSize: 0 bytes/workgroup (compile time only)
; SGPRBlocks: 0
; VGPRBlocks: 0
; NumSGPRsForWavesPerEU: 6
; NumVGPRsForWavesPerEU: 1
; AccumOffset: 4
; Occupancy: 8
; WaveLimiterHint : 0
; COMPUTE_PGM_RSRC2:SCRATCH_EN: 0
; COMPUTE_PGM_RSRC2:USER_SGPR: 2
; COMPUTE_PGM_RSRC2:TRAP_HANDLER: 0
; COMPUTE_PGM_RSRC2:TGID_X_EN: 1
; COMPUTE_PGM_RSRC2:TGID_Y_EN: 0
; COMPUTE_PGM_RSRC2:TGID_Z_EN: 0
; COMPUTE_PGM_RSRC2:TIDIG_COMP_CNT: 0
; COMPUTE_PGM_RSRC3_GFX90A:ACCUM_OFFSET: 0
; COMPUTE_PGM_RSRC3_GFX90A:TG_SPLIT: 0
	.section	.text._ZN7rocprim17ROCPRIM_400000_NS6detail17trampoline_kernelINS0_14default_configENS1_25partition_config_selectorILNS1_17partition_subalgoE0EtNS0_10empty_typeEbEEZZNS1_14partition_implILS5_0ELb0ES3_jN6thrust23THRUST_200600_302600_NS6detail15normal_iteratorINSA_10device_ptrItEEEEPS6_SG_NS0_5tupleIJSF_SF_EEENSH_IJSG_SG_EEES6_PlJ7is_evenItEEEE10hipError_tPvRmT3_T4_T5_T6_T7_T9_mT8_P12ihipStream_tbDpT10_ENKUlT_T0_E_clISt17integral_constantIbLb1EES16_EEDaS11_S12_EUlS11_E_NS1_11comp_targetILNS1_3genE8ELNS1_11target_archE1030ELNS1_3gpuE2ELNS1_3repE0EEENS1_30default_config_static_selectorELNS0_4arch9wavefront6targetE1EEEvT1_,"axG",@progbits,_ZN7rocprim17ROCPRIM_400000_NS6detail17trampoline_kernelINS0_14default_configENS1_25partition_config_selectorILNS1_17partition_subalgoE0EtNS0_10empty_typeEbEEZZNS1_14partition_implILS5_0ELb0ES3_jN6thrust23THRUST_200600_302600_NS6detail15normal_iteratorINSA_10device_ptrItEEEEPS6_SG_NS0_5tupleIJSF_SF_EEENSH_IJSG_SG_EEES6_PlJ7is_evenItEEEE10hipError_tPvRmT3_T4_T5_T6_T7_T9_mT8_P12ihipStream_tbDpT10_ENKUlT_T0_E_clISt17integral_constantIbLb1EES16_EEDaS11_S12_EUlS11_E_NS1_11comp_targetILNS1_3genE8ELNS1_11target_archE1030ELNS1_3gpuE2ELNS1_3repE0EEENS1_30default_config_static_selectorELNS0_4arch9wavefront6targetE1EEEvT1_,comdat
	.protected	_ZN7rocprim17ROCPRIM_400000_NS6detail17trampoline_kernelINS0_14default_configENS1_25partition_config_selectorILNS1_17partition_subalgoE0EtNS0_10empty_typeEbEEZZNS1_14partition_implILS5_0ELb0ES3_jN6thrust23THRUST_200600_302600_NS6detail15normal_iteratorINSA_10device_ptrItEEEEPS6_SG_NS0_5tupleIJSF_SF_EEENSH_IJSG_SG_EEES6_PlJ7is_evenItEEEE10hipError_tPvRmT3_T4_T5_T6_T7_T9_mT8_P12ihipStream_tbDpT10_ENKUlT_T0_E_clISt17integral_constantIbLb1EES16_EEDaS11_S12_EUlS11_E_NS1_11comp_targetILNS1_3genE8ELNS1_11target_archE1030ELNS1_3gpuE2ELNS1_3repE0EEENS1_30default_config_static_selectorELNS0_4arch9wavefront6targetE1EEEvT1_ ; -- Begin function _ZN7rocprim17ROCPRIM_400000_NS6detail17trampoline_kernelINS0_14default_configENS1_25partition_config_selectorILNS1_17partition_subalgoE0EtNS0_10empty_typeEbEEZZNS1_14partition_implILS5_0ELb0ES3_jN6thrust23THRUST_200600_302600_NS6detail15normal_iteratorINSA_10device_ptrItEEEEPS6_SG_NS0_5tupleIJSF_SF_EEENSH_IJSG_SG_EEES6_PlJ7is_evenItEEEE10hipError_tPvRmT3_T4_T5_T6_T7_T9_mT8_P12ihipStream_tbDpT10_ENKUlT_T0_E_clISt17integral_constantIbLb1EES16_EEDaS11_S12_EUlS11_E_NS1_11comp_targetILNS1_3genE8ELNS1_11target_archE1030ELNS1_3gpuE2ELNS1_3repE0EEENS1_30default_config_static_selectorELNS0_4arch9wavefront6targetE1EEEvT1_
	.globl	_ZN7rocprim17ROCPRIM_400000_NS6detail17trampoline_kernelINS0_14default_configENS1_25partition_config_selectorILNS1_17partition_subalgoE0EtNS0_10empty_typeEbEEZZNS1_14partition_implILS5_0ELb0ES3_jN6thrust23THRUST_200600_302600_NS6detail15normal_iteratorINSA_10device_ptrItEEEEPS6_SG_NS0_5tupleIJSF_SF_EEENSH_IJSG_SG_EEES6_PlJ7is_evenItEEEE10hipError_tPvRmT3_T4_T5_T6_T7_T9_mT8_P12ihipStream_tbDpT10_ENKUlT_T0_E_clISt17integral_constantIbLb1EES16_EEDaS11_S12_EUlS11_E_NS1_11comp_targetILNS1_3genE8ELNS1_11target_archE1030ELNS1_3gpuE2ELNS1_3repE0EEENS1_30default_config_static_selectorELNS0_4arch9wavefront6targetE1EEEvT1_
	.p2align	8
	.type	_ZN7rocprim17ROCPRIM_400000_NS6detail17trampoline_kernelINS0_14default_configENS1_25partition_config_selectorILNS1_17partition_subalgoE0EtNS0_10empty_typeEbEEZZNS1_14partition_implILS5_0ELb0ES3_jN6thrust23THRUST_200600_302600_NS6detail15normal_iteratorINSA_10device_ptrItEEEEPS6_SG_NS0_5tupleIJSF_SF_EEENSH_IJSG_SG_EEES6_PlJ7is_evenItEEEE10hipError_tPvRmT3_T4_T5_T6_T7_T9_mT8_P12ihipStream_tbDpT10_ENKUlT_T0_E_clISt17integral_constantIbLb1EES16_EEDaS11_S12_EUlS11_E_NS1_11comp_targetILNS1_3genE8ELNS1_11target_archE1030ELNS1_3gpuE2ELNS1_3repE0EEENS1_30default_config_static_selectorELNS0_4arch9wavefront6targetE1EEEvT1_,@function
_ZN7rocprim17ROCPRIM_400000_NS6detail17trampoline_kernelINS0_14default_configENS1_25partition_config_selectorILNS1_17partition_subalgoE0EtNS0_10empty_typeEbEEZZNS1_14partition_implILS5_0ELb0ES3_jN6thrust23THRUST_200600_302600_NS6detail15normal_iteratorINSA_10device_ptrItEEEEPS6_SG_NS0_5tupleIJSF_SF_EEENSH_IJSG_SG_EEES6_PlJ7is_evenItEEEE10hipError_tPvRmT3_T4_T5_T6_T7_T9_mT8_P12ihipStream_tbDpT10_ENKUlT_T0_E_clISt17integral_constantIbLb1EES16_EEDaS11_S12_EUlS11_E_NS1_11comp_targetILNS1_3genE8ELNS1_11target_archE1030ELNS1_3gpuE2ELNS1_3repE0EEENS1_30default_config_static_selectorELNS0_4arch9wavefront6targetE1EEEvT1_: ; @_ZN7rocprim17ROCPRIM_400000_NS6detail17trampoline_kernelINS0_14default_configENS1_25partition_config_selectorILNS1_17partition_subalgoE0EtNS0_10empty_typeEbEEZZNS1_14partition_implILS5_0ELb0ES3_jN6thrust23THRUST_200600_302600_NS6detail15normal_iteratorINSA_10device_ptrItEEEEPS6_SG_NS0_5tupleIJSF_SF_EEENSH_IJSG_SG_EEES6_PlJ7is_evenItEEEE10hipError_tPvRmT3_T4_T5_T6_T7_T9_mT8_P12ihipStream_tbDpT10_ENKUlT_T0_E_clISt17integral_constantIbLb1EES16_EEDaS11_S12_EUlS11_E_NS1_11comp_targetILNS1_3genE8ELNS1_11target_archE1030ELNS1_3gpuE2ELNS1_3repE0EEENS1_30default_config_static_selectorELNS0_4arch9wavefront6targetE1EEEvT1_
; %bb.0:
	.section	.rodata,"a",@progbits
	.p2align	6, 0x0
	.amdhsa_kernel _ZN7rocprim17ROCPRIM_400000_NS6detail17trampoline_kernelINS0_14default_configENS1_25partition_config_selectorILNS1_17partition_subalgoE0EtNS0_10empty_typeEbEEZZNS1_14partition_implILS5_0ELb0ES3_jN6thrust23THRUST_200600_302600_NS6detail15normal_iteratorINSA_10device_ptrItEEEEPS6_SG_NS0_5tupleIJSF_SF_EEENSH_IJSG_SG_EEES6_PlJ7is_evenItEEEE10hipError_tPvRmT3_T4_T5_T6_T7_T9_mT8_P12ihipStream_tbDpT10_ENKUlT_T0_E_clISt17integral_constantIbLb1EES16_EEDaS11_S12_EUlS11_E_NS1_11comp_targetILNS1_3genE8ELNS1_11target_archE1030ELNS1_3gpuE2ELNS1_3repE0EEENS1_30default_config_static_selectorELNS0_4arch9wavefront6targetE1EEEvT1_
		.amdhsa_group_segment_fixed_size 0
		.amdhsa_private_segment_fixed_size 0
		.amdhsa_kernarg_size 136
		.amdhsa_user_sgpr_count 2
		.amdhsa_user_sgpr_dispatch_ptr 0
		.amdhsa_user_sgpr_queue_ptr 0
		.amdhsa_user_sgpr_kernarg_segment_ptr 1
		.amdhsa_user_sgpr_dispatch_id 0
		.amdhsa_user_sgpr_kernarg_preload_length 0
		.amdhsa_user_sgpr_kernarg_preload_offset 0
		.amdhsa_user_sgpr_private_segment_size 0
		.amdhsa_uses_dynamic_stack 0
		.amdhsa_enable_private_segment 0
		.amdhsa_system_sgpr_workgroup_id_x 1
		.amdhsa_system_sgpr_workgroup_id_y 0
		.amdhsa_system_sgpr_workgroup_id_z 0
		.amdhsa_system_sgpr_workgroup_info 0
		.amdhsa_system_vgpr_workitem_id 0
		.amdhsa_next_free_vgpr 1
		.amdhsa_next_free_sgpr 0
		.amdhsa_accum_offset 4
		.amdhsa_reserve_vcc 0
		.amdhsa_float_round_mode_32 0
		.amdhsa_float_round_mode_16_64 0
		.amdhsa_float_denorm_mode_32 3
		.amdhsa_float_denorm_mode_16_64 3
		.amdhsa_dx10_clamp 1
		.amdhsa_ieee_mode 1
		.amdhsa_fp16_overflow 0
		.amdhsa_tg_split 0
		.amdhsa_exception_fp_ieee_invalid_op 0
		.amdhsa_exception_fp_denorm_src 0
		.amdhsa_exception_fp_ieee_div_zero 0
		.amdhsa_exception_fp_ieee_overflow 0
		.amdhsa_exception_fp_ieee_underflow 0
		.amdhsa_exception_fp_ieee_inexact 0
		.amdhsa_exception_int_div_zero 0
	.end_amdhsa_kernel
	.section	.text._ZN7rocprim17ROCPRIM_400000_NS6detail17trampoline_kernelINS0_14default_configENS1_25partition_config_selectorILNS1_17partition_subalgoE0EtNS0_10empty_typeEbEEZZNS1_14partition_implILS5_0ELb0ES3_jN6thrust23THRUST_200600_302600_NS6detail15normal_iteratorINSA_10device_ptrItEEEEPS6_SG_NS0_5tupleIJSF_SF_EEENSH_IJSG_SG_EEES6_PlJ7is_evenItEEEE10hipError_tPvRmT3_T4_T5_T6_T7_T9_mT8_P12ihipStream_tbDpT10_ENKUlT_T0_E_clISt17integral_constantIbLb1EES16_EEDaS11_S12_EUlS11_E_NS1_11comp_targetILNS1_3genE8ELNS1_11target_archE1030ELNS1_3gpuE2ELNS1_3repE0EEENS1_30default_config_static_selectorELNS0_4arch9wavefront6targetE1EEEvT1_,"axG",@progbits,_ZN7rocprim17ROCPRIM_400000_NS6detail17trampoline_kernelINS0_14default_configENS1_25partition_config_selectorILNS1_17partition_subalgoE0EtNS0_10empty_typeEbEEZZNS1_14partition_implILS5_0ELb0ES3_jN6thrust23THRUST_200600_302600_NS6detail15normal_iteratorINSA_10device_ptrItEEEEPS6_SG_NS0_5tupleIJSF_SF_EEENSH_IJSG_SG_EEES6_PlJ7is_evenItEEEE10hipError_tPvRmT3_T4_T5_T6_T7_T9_mT8_P12ihipStream_tbDpT10_ENKUlT_T0_E_clISt17integral_constantIbLb1EES16_EEDaS11_S12_EUlS11_E_NS1_11comp_targetILNS1_3genE8ELNS1_11target_archE1030ELNS1_3gpuE2ELNS1_3repE0EEENS1_30default_config_static_selectorELNS0_4arch9wavefront6targetE1EEEvT1_,comdat
.Lfunc_end2185:
	.size	_ZN7rocprim17ROCPRIM_400000_NS6detail17trampoline_kernelINS0_14default_configENS1_25partition_config_selectorILNS1_17partition_subalgoE0EtNS0_10empty_typeEbEEZZNS1_14partition_implILS5_0ELb0ES3_jN6thrust23THRUST_200600_302600_NS6detail15normal_iteratorINSA_10device_ptrItEEEEPS6_SG_NS0_5tupleIJSF_SF_EEENSH_IJSG_SG_EEES6_PlJ7is_evenItEEEE10hipError_tPvRmT3_T4_T5_T6_T7_T9_mT8_P12ihipStream_tbDpT10_ENKUlT_T0_E_clISt17integral_constantIbLb1EES16_EEDaS11_S12_EUlS11_E_NS1_11comp_targetILNS1_3genE8ELNS1_11target_archE1030ELNS1_3gpuE2ELNS1_3repE0EEENS1_30default_config_static_selectorELNS0_4arch9wavefront6targetE1EEEvT1_, .Lfunc_end2185-_ZN7rocprim17ROCPRIM_400000_NS6detail17trampoline_kernelINS0_14default_configENS1_25partition_config_selectorILNS1_17partition_subalgoE0EtNS0_10empty_typeEbEEZZNS1_14partition_implILS5_0ELb0ES3_jN6thrust23THRUST_200600_302600_NS6detail15normal_iteratorINSA_10device_ptrItEEEEPS6_SG_NS0_5tupleIJSF_SF_EEENSH_IJSG_SG_EEES6_PlJ7is_evenItEEEE10hipError_tPvRmT3_T4_T5_T6_T7_T9_mT8_P12ihipStream_tbDpT10_ENKUlT_T0_E_clISt17integral_constantIbLb1EES16_EEDaS11_S12_EUlS11_E_NS1_11comp_targetILNS1_3genE8ELNS1_11target_archE1030ELNS1_3gpuE2ELNS1_3repE0EEENS1_30default_config_static_selectorELNS0_4arch9wavefront6targetE1EEEvT1_
                                        ; -- End function
	.section	.AMDGPU.csdata,"",@progbits
; Kernel info:
; codeLenInByte = 0
; NumSgprs: 6
; NumVgprs: 0
; NumAgprs: 0
; TotalNumVgprs: 0
; ScratchSize: 0
; MemoryBound: 0
; FloatMode: 240
; IeeeMode: 1
; LDSByteSize: 0 bytes/workgroup (compile time only)
; SGPRBlocks: 0
; VGPRBlocks: 0
; NumSGPRsForWavesPerEU: 6
; NumVGPRsForWavesPerEU: 1
; AccumOffset: 4
; Occupancy: 8
; WaveLimiterHint : 0
; COMPUTE_PGM_RSRC2:SCRATCH_EN: 0
; COMPUTE_PGM_RSRC2:USER_SGPR: 2
; COMPUTE_PGM_RSRC2:TRAP_HANDLER: 0
; COMPUTE_PGM_RSRC2:TGID_X_EN: 1
; COMPUTE_PGM_RSRC2:TGID_Y_EN: 0
; COMPUTE_PGM_RSRC2:TGID_Z_EN: 0
; COMPUTE_PGM_RSRC2:TIDIG_COMP_CNT: 0
; COMPUTE_PGM_RSRC3_GFX90A:ACCUM_OFFSET: 0
; COMPUTE_PGM_RSRC3_GFX90A:TG_SPLIT: 0
	.section	.text._ZN7rocprim17ROCPRIM_400000_NS6detail17trampoline_kernelINS0_14default_configENS1_25partition_config_selectorILNS1_17partition_subalgoE0EtNS0_10empty_typeEbEEZZNS1_14partition_implILS5_0ELb0ES3_jN6thrust23THRUST_200600_302600_NS6detail15normal_iteratorINSA_10device_ptrItEEEEPS6_SG_NS0_5tupleIJSF_SF_EEENSH_IJSG_SG_EEES6_PlJ7is_evenItEEEE10hipError_tPvRmT3_T4_T5_T6_T7_T9_mT8_P12ihipStream_tbDpT10_ENKUlT_T0_E_clISt17integral_constantIbLb1EES15_IbLb0EEEEDaS11_S12_EUlS11_E_NS1_11comp_targetILNS1_3genE0ELNS1_11target_archE4294967295ELNS1_3gpuE0ELNS1_3repE0EEENS1_30default_config_static_selectorELNS0_4arch9wavefront6targetE1EEEvT1_,"axG",@progbits,_ZN7rocprim17ROCPRIM_400000_NS6detail17trampoline_kernelINS0_14default_configENS1_25partition_config_selectorILNS1_17partition_subalgoE0EtNS0_10empty_typeEbEEZZNS1_14partition_implILS5_0ELb0ES3_jN6thrust23THRUST_200600_302600_NS6detail15normal_iteratorINSA_10device_ptrItEEEEPS6_SG_NS0_5tupleIJSF_SF_EEENSH_IJSG_SG_EEES6_PlJ7is_evenItEEEE10hipError_tPvRmT3_T4_T5_T6_T7_T9_mT8_P12ihipStream_tbDpT10_ENKUlT_T0_E_clISt17integral_constantIbLb1EES15_IbLb0EEEEDaS11_S12_EUlS11_E_NS1_11comp_targetILNS1_3genE0ELNS1_11target_archE4294967295ELNS1_3gpuE0ELNS1_3repE0EEENS1_30default_config_static_selectorELNS0_4arch9wavefront6targetE1EEEvT1_,comdat
	.protected	_ZN7rocprim17ROCPRIM_400000_NS6detail17trampoline_kernelINS0_14default_configENS1_25partition_config_selectorILNS1_17partition_subalgoE0EtNS0_10empty_typeEbEEZZNS1_14partition_implILS5_0ELb0ES3_jN6thrust23THRUST_200600_302600_NS6detail15normal_iteratorINSA_10device_ptrItEEEEPS6_SG_NS0_5tupleIJSF_SF_EEENSH_IJSG_SG_EEES6_PlJ7is_evenItEEEE10hipError_tPvRmT3_T4_T5_T6_T7_T9_mT8_P12ihipStream_tbDpT10_ENKUlT_T0_E_clISt17integral_constantIbLb1EES15_IbLb0EEEEDaS11_S12_EUlS11_E_NS1_11comp_targetILNS1_3genE0ELNS1_11target_archE4294967295ELNS1_3gpuE0ELNS1_3repE0EEENS1_30default_config_static_selectorELNS0_4arch9wavefront6targetE1EEEvT1_ ; -- Begin function _ZN7rocprim17ROCPRIM_400000_NS6detail17trampoline_kernelINS0_14default_configENS1_25partition_config_selectorILNS1_17partition_subalgoE0EtNS0_10empty_typeEbEEZZNS1_14partition_implILS5_0ELb0ES3_jN6thrust23THRUST_200600_302600_NS6detail15normal_iteratorINSA_10device_ptrItEEEEPS6_SG_NS0_5tupleIJSF_SF_EEENSH_IJSG_SG_EEES6_PlJ7is_evenItEEEE10hipError_tPvRmT3_T4_T5_T6_T7_T9_mT8_P12ihipStream_tbDpT10_ENKUlT_T0_E_clISt17integral_constantIbLb1EES15_IbLb0EEEEDaS11_S12_EUlS11_E_NS1_11comp_targetILNS1_3genE0ELNS1_11target_archE4294967295ELNS1_3gpuE0ELNS1_3repE0EEENS1_30default_config_static_selectorELNS0_4arch9wavefront6targetE1EEEvT1_
	.globl	_ZN7rocprim17ROCPRIM_400000_NS6detail17trampoline_kernelINS0_14default_configENS1_25partition_config_selectorILNS1_17partition_subalgoE0EtNS0_10empty_typeEbEEZZNS1_14partition_implILS5_0ELb0ES3_jN6thrust23THRUST_200600_302600_NS6detail15normal_iteratorINSA_10device_ptrItEEEEPS6_SG_NS0_5tupleIJSF_SF_EEENSH_IJSG_SG_EEES6_PlJ7is_evenItEEEE10hipError_tPvRmT3_T4_T5_T6_T7_T9_mT8_P12ihipStream_tbDpT10_ENKUlT_T0_E_clISt17integral_constantIbLb1EES15_IbLb0EEEEDaS11_S12_EUlS11_E_NS1_11comp_targetILNS1_3genE0ELNS1_11target_archE4294967295ELNS1_3gpuE0ELNS1_3repE0EEENS1_30default_config_static_selectorELNS0_4arch9wavefront6targetE1EEEvT1_
	.p2align	8
	.type	_ZN7rocprim17ROCPRIM_400000_NS6detail17trampoline_kernelINS0_14default_configENS1_25partition_config_selectorILNS1_17partition_subalgoE0EtNS0_10empty_typeEbEEZZNS1_14partition_implILS5_0ELb0ES3_jN6thrust23THRUST_200600_302600_NS6detail15normal_iteratorINSA_10device_ptrItEEEEPS6_SG_NS0_5tupleIJSF_SF_EEENSH_IJSG_SG_EEES6_PlJ7is_evenItEEEE10hipError_tPvRmT3_T4_T5_T6_T7_T9_mT8_P12ihipStream_tbDpT10_ENKUlT_T0_E_clISt17integral_constantIbLb1EES15_IbLb0EEEEDaS11_S12_EUlS11_E_NS1_11comp_targetILNS1_3genE0ELNS1_11target_archE4294967295ELNS1_3gpuE0ELNS1_3repE0EEENS1_30default_config_static_selectorELNS0_4arch9wavefront6targetE1EEEvT1_,@function
_ZN7rocprim17ROCPRIM_400000_NS6detail17trampoline_kernelINS0_14default_configENS1_25partition_config_selectorILNS1_17partition_subalgoE0EtNS0_10empty_typeEbEEZZNS1_14partition_implILS5_0ELb0ES3_jN6thrust23THRUST_200600_302600_NS6detail15normal_iteratorINSA_10device_ptrItEEEEPS6_SG_NS0_5tupleIJSF_SF_EEENSH_IJSG_SG_EEES6_PlJ7is_evenItEEEE10hipError_tPvRmT3_T4_T5_T6_T7_T9_mT8_P12ihipStream_tbDpT10_ENKUlT_T0_E_clISt17integral_constantIbLb1EES15_IbLb0EEEEDaS11_S12_EUlS11_E_NS1_11comp_targetILNS1_3genE0ELNS1_11target_archE4294967295ELNS1_3gpuE0ELNS1_3repE0EEENS1_30default_config_static_selectorELNS0_4arch9wavefront6targetE1EEEvT1_: ; @_ZN7rocprim17ROCPRIM_400000_NS6detail17trampoline_kernelINS0_14default_configENS1_25partition_config_selectorILNS1_17partition_subalgoE0EtNS0_10empty_typeEbEEZZNS1_14partition_implILS5_0ELb0ES3_jN6thrust23THRUST_200600_302600_NS6detail15normal_iteratorINSA_10device_ptrItEEEEPS6_SG_NS0_5tupleIJSF_SF_EEENSH_IJSG_SG_EEES6_PlJ7is_evenItEEEE10hipError_tPvRmT3_T4_T5_T6_T7_T9_mT8_P12ihipStream_tbDpT10_ENKUlT_T0_E_clISt17integral_constantIbLb1EES15_IbLb0EEEEDaS11_S12_EUlS11_E_NS1_11comp_targetILNS1_3genE0ELNS1_11target_archE4294967295ELNS1_3gpuE0ELNS1_3repE0EEENS1_30default_config_static_selectorELNS0_4arch9wavefront6targetE1EEEvT1_
; %bb.0:
	.section	.rodata,"a",@progbits
	.p2align	6, 0x0
	.amdhsa_kernel _ZN7rocprim17ROCPRIM_400000_NS6detail17trampoline_kernelINS0_14default_configENS1_25partition_config_selectorILNS1_17partition_subalgoE0EtNS0_10empty_typeEbEEZZNS1_14partition_implILS5_0ELb0ES3_jN6thrust23THRUST_200600_302600_NS6detail15normal_iteratorINSA_10device_ptrItEEEEPS6_SG_NS0_5tupleIJSF_SF_EEENSH_IJSG_SG_EEES6_PlJ7is_evenItEEEE10hipError_tPvRmT3_T4_T5_T6_T7_T9_mT8_P12ihipStream_tbDpT10_ENKUlT_T0_E_clISt17integral_constantIbLb1EES15_IbLb0EEEEDaS11_S12_EUlS11_E_NS1_11comp_targetILNS1_3genE0ELNS1_11target_archE4294967295ELNS1_3gpuE0ELNS1_3repE0EEENS1_30default_config_static_selectorELNS0_4arch9wavefront6targetE1EEEvT1_
		.amdhsa_group_segment_fixed_size 0
		.amdhsa_private_segment_fixed_size 0
		.amdhsa_kernarg_size 120
		.amdhsa_user_sgpr_count 2
		.amdhsa_user_sgpr_dispatch_ptr 0
		.amdhsa_user_sgpr_queue_ptr 0
		.amdhsa_user_sgpr_kernarg_segment_ptr 1
		.amdhsa_user_sgpr_dispatch_id 0
		.amdhsa_user_sgpr_kernarg_preload_length 0
		.amdhsa_user_sgpr_kernarg_preload_offset 0
		.amdhsa_user_sgpr_private_segment_size 0
		.amdhsa_uses_dynamic_stack 0
		.amdhsa_enable_private_segment 0
		.amdhsa_system_sgpr_workgroup_id_x 1
		.amdhsa_system_sgpr_workgroup_id_y 0
		.amdhsa_system_sgpr_workgroup_id_z 0
		.amdhsa_system_sgpr_workgroup_info 0
		.amdhsa_system_vgpr_workitem_id 0
		.amdhsa_next_free_vgpr 1
		.amdhsa_next_free_sgpr 0
		.amdhsa_accum_offset 4
		.amdhsa_reserve_vcc 0
		.amdhsa_float_round_mode_32 0
		.amdhsa_float_round_mode_16_64 0
		.amdhsa_float_denorm_mode_32 3
		.amdhsa_float_denorm_mode_16_64 3
		.amdhsa_dx10_clamp 1
		.amdhsa_ieee_mode 1
		.amdhsa_fp16_overflow 0
		.amdhsa_tg_split 0
		.amdhsa_exception_fp_ieee_invalid_op 0
		.amdhsa_exception_fp_denorm_src 0
		.amdhsa_exception_fp_ieee_div_zero 0
		.amdhsa_exception_fp_ieee_overflow 0
		.amdhsa_exception_fp_ieee_underflow 0
		.amdhsa_exception_fp_ieee_inexact 0
		.amdhsa_exception_int_div_zero 0
	.end_amdhsa_kernel
	.section	.text._ZN7rocprim17ROCPRIM_400000_NS6detail17trampoline_kernelINS0_14default_configENS1_25partition_config_selectorILNS1_17partition_subalgoE0EtNS0_10empty_typeEbEEZZNS1_14partition_implILS5_0ELb0ES3_jN6thrust23THRUST_200600_302600_NS6detail15normal_iteratorINSA_10device_ptrItEEEEPS6_SG_NS0_5tupleIJSF_SF_EEENSH_IJSG_SG_EEES6_PlJ7is_evenItEEEE10hipError_tPvRmT3_T4_T5_T6_T7_T9_mT8_P12ihipStream_tbDpT10_ENKUlT_T0_E_clISt17integral_constantIbLb1EES15_IbLb0EEEEDaS11_S12_EUlS11_E_NS1_11comp_targetILNS1_3genE0ELNS1_11target_archE4294967295ELNS1_3gpuE0ELNS1_3repE0EEENS1_30default_config_static_selectorELNS0_4arch9wavefront6targetE1EEEvT1_,"axG",@progbits,_ZN7rocprim17ROCPRIM_400000_NS6detail17trampoline_kernelINS0_14default_configENS1_25partition_config_selectorILNS1_17partition_subalgoE0EtNS0_10empty_typeEbEEZZNS1_14partition_implILS5_0ELb0ES3_jN6thrust23THRUST_200600_302600_NS6detail15normal_iteratorINSA_10device_ptrItEEEEPS6_SG_NS0_5tupleIJSF_SF_EEENSH_IJSG_SG_EEES6_PlJ7is_evenItEEEE10hipError_tPvRmT3_T4_T5_T6_T7_T9_mT8_P12ihipStream_tbDpT10_ENKUlT_T0_E_clISt17integral_constantIbLb1EES15_IbLb0EEEEDaS11_S12_EUlS11_E_NS1_11comp_targetILNS1_3genE0ELNS1_11target_archE4294967295ELNS1_3gpuE0ELNS1_3repE0EEENS1_30default_config_static_selectorELNS0_4arch9wavefront6targetE1EEEvT1_,comdat
.Lfunc_end2186:
	.size	_ZN7rocprim17ROCPRIM_400000_NS6detail17trampoline_kernelINS0_14default_configENS1_25partition_config_selectorILNS1_17partition_subalgoE0EtNS0_10empty_typeEbEEZZNS1_14partition_implILS5_0ELb0ES3_jN6thrust23THRUST_200600_302600_NS6detail15normal_iteratorINSA_10device_ptrItEEEEPS6_SG_NS0_5tupleIJSF_SF_EEENSH_IJSG_SG_EEES6_PlJ7is_evenItEEEE10hipError_tPvRmT3_T4_T5_T6_T7_T9_mT8_P12ihipStream_tbDpT10_ENKUlT_T0_E_clISt17integral_constantIbLb1EES15_IbLb0EEEEDaS11_S12_EUlS11_E_NS1_11comp_targetILNS1_3genE0ELNS1_11target_archE4294967295ELNS1_3gpuE0ELNS1_3repE0EEENS1_30default_config_static_selectorELNS0_4arch9wavefront6targetE1EEEvT1_, .Lfunc_end2186-_ZN7rocprim17ROCPRIM_400000_NS6detail17trampoline_kernelINS0_14default_configENS1_25partition_config_selectorILNS1_17partition_subalgoE0EtNS0_10empty_typeEbEEZZNS1_14partition_implILS5_0ELb0ES3_jN6thrust23THRUST_200600_302600_NS6detail15normal_iteratorINSA_10device_ptrItEEEEPS6_SG_NS0_5tupleIJSF_SF_EEENSH_IJSG_SG_EEES6_PlJ7is_evenItEEEE10hipError_tPvRmT3_T4_T5_T6_T7_T9_mT8_P12ihipStream_tbDpT10_ENKUlT_T0_E_clISt17integral_constantIbLb1EES15_IbLb0EEEEDaS11_S12_EUlS11_E_NS1_11comp_targetILNS1_3genE0ELNS1_11target_archE4294967295ELNS1_3gpuE0ELNS1_3repE0EEENS1_30default_config_static_selectorELNS0_4arch9wavefront6targetE1EEEvT1_
                                        ; -- End function
	.section	.AMDGPU.csdata,"",@progbits
; Kernel info:
; codeLenInByte = 0
; NumSgprs: 6
; NumVgprs: 0
; NumAgprs: 0
; TotalNumVgprs: 0
; ScratchSize: 0
; MemoryBound: 0
; FloatMode: 240
; IeeeMode: 1
; LDSByteSize: 0 bytes/workgroup (compile time only)
; SGPRBlocks: 0
; VGPRBlocks: 0
; NumSGPRsForWavesPerEU: 6
; NumVGPRsForWavesPerEU: 1
; AccumOffset: 4
; Occupancy: 8
; WaveLimiterHint : 0
; COMPUTE_PGM_RSRC2:SCRATCH_EN: 0
; COMPUTE_PGM_RSRC2:USER_SGPR: 2
; COMPUTE_PGM_RSRC2:TRAP_HANDLER: 0
; COMPUTE_PGM_RSRC2:TGID_X_EN: 1
; COMPUTE_PGM_RSRC2:TGID_Y_EN: 0
; COMPUTE_PGM_RSRC2:TGID_Z_EN: 0
; COMPUTE_PGM_RSRC2:TIDIG_COMP_CNT: 0
; COMPUTE_PGM_RSRC3_GFX90A:ACCUM_OFFSET: 0
; COMPUTE_PGM_RSRC3_GFX90A:TG_SPLIT: 0
	.section	.text._ZN7rocprim17ROCPRIM_400000_NS6detail17trampoline_kernelINS0_14default_configENS1_25partition_config_selectorILNS1_17partition_subalgoE0EtNS0_10empty_typeEbEEZZNS1_14partition_implILS5_0ELb0ES3_jN6thrust23THRUST_200600_302600_NS6detail15normal_iteratorINSA_10device_ptrItEEEEPS6_SG_NS0_5tupleIJSF_SF_EEENSH_IJSG_SG_EEES6_PlJ7is_evenItEEEE10hipError_tPvRmT3_T4_T5_T6_T7_T9_mT8_P12ihipStream_tbDpT10_ENKUlT_T0_E_clISt17integral_constantIbLb1EES15_IbLb0EEEEDaS11_S12_EUlS11_E_NS1_11comp_targetILNS1_3genE5ELNS1_11target_archE942ELNS1_3gpuE9ELNS1_3repE0EEENS1_30default_config_static_selectorELNS0_4arch9wavefront6targetE1EEEvT1_,"axG",@progbits,_ZN7rocprim17ROCPRIM_400000_NS6detail17trampoline_kernelINS0_14default_configENS1_25partition_config_selectorILNS1_17partition_subalgoE0EtNS0_10empty_typeEbEEZZNS1_14partition_implILS5_0ELb0ES3_jN6thrust23THRUST_200600_302600_NS6detail15normal_iteratorINSA_10device_ptrItEEEEPS6_SG_NS0_5tupleIJSF_SF_EEENSH_IJSG_SG_EEES6_PlJ7is_evenItEEEE10hipError_tPvRmT3_T4_T5_T6_T7_T9_mT8_P12ihipStream_tbDpT10_ENKUlT_T0_E_clISt17integral_constantIbLb1EES15_IbLb0EEEEDaS11_S12_EUlS11_E_NS1_11comp_targetILNS1_3genE5ELNS1_11target_archE942ELNS1_3gpuE9ELNS1_3repE0EEENS1_30default_config_static_selectorELNS0_4arch9wavefront6targetE1EEEvT1_,comdat
	.protected	_ZN7rocprim17ROCPRIM_400000_NS6detail17trampoline_kernelINS0_14default_configENS1_25partition_config_selectorILNS1_17partition_subalgoE0EtNS0_10empty_typeEbEEZZNS1_14partition_implILS5_0ELb0ES3_jN6thrust23THRUST_200600_302600_NS6detail15normal_iteratorINSA_10device_ptrItEEEEPS6_SG_NS0_5tupleIJSF_SF_EEENSH_IJSG_SG_EEES6_PlJ7is_evenItEEEE10hipError_tPvRmT3_T4_T5_T6_T7_T9_mT8_P12ihipStream_tbDpT10_ENKUlT_T0_E_clISt17integral_constantIbLb1EES15_IbLb0EEEEDaS11_S12_EUlS11_E_NS1_11comp_targetILNS1_3genE5ELNS1_11target_archE942ELNS1_3gpuE9ELNS1_3repE0EEENS1_30default_config_static_selectorELNS0_4arch9wavefront6targetE1EEEvT1_ ; -- Begin function _ZN7rocprim17ROCPRIM_400000_NS6detail17trampoline_kernelINS0_14default_configENS1_25partition_config_selectorILNS1_17partition_subalgoE0EtNS0_10empty_typeEbEEZZNS1_14partition_implILS5_0ELb0ES3_jN6thrust23THRUST_200600_302600_NS6detail15normal_iteratorINSA_10device_ptrItEEEEPS6_SG_NS0_5tupleIJSF_SF_EEENSH_IJSG_SG_EEES6_PlJ7is_evenItEEEE10hipError_tPvRmT3_T4_T5_T6_T7_T9_mT8_P12ihipStream_tbDpT10_ENKUlT_T0_E_clISt17integral_constantIbLb1EES15_IbLb0EEEEDaS11_S12_EUlS11_E_NS1_11comp_targetILNS1_3genE5ELNS1_11target_archE942ELNS1_3gpuE9ELNS1_3repE0EEENS1_30default_config_static_selectorELNS0_4arch9wavefront6targetE1EEEvT1_
	.globl	_ZN7rocprim17ROCPRIM_400000_NS6detail17trampoline_kernelINS0_14default_configENS1_25partition_config_selectorILNS1_17partition_subalgoE0EtNS0_10empty_typeEbEEZZNS1_14partition_implILS5_0ELb0ES3_jN6thrust23THRUST_200600_302600_NS6detail15normal_iteratorINSA_10device_ptrItEEEEPS6_SG_NS0_5tupleIJSF_SF_EEENSH_IJSG_SG_EEES6_PlJ7is_evenItEEEE10hipError_tPvRmT3_T4_T5_T6_T7_T9_mT8_P12ihipStream_tbDpT10_ENKUlT_T0_E_clISt17integral_constantIbLb1EES15_IbLb0EEEEDaS11_S12_EUlS11_E_NS1_11comp_targetILNS1_3genE5ELNS1_11target_archE942ELNS1_3gpuE9ELNS1_3repE0EEENS1_30default_config_static_selectorELNS0_4arch9wavefront6targetE1EEEvT1_
	.p2align	8
	.type	_ZN7rocprim17ROCPRIM_400000_NS6detail17trampoline_kernelINS0_14default_configENS1_25partition_config_selectorILNS1_17partition_subalgoE0EtNS0_10empty_typeEbEEZZNS1_14partition_implILS5_0ELb0ES3_jN6thrust23THRUST_200600_302600_NS6detail15normal_iteratorINSA_10device_ptrItEEEEPS6_SG_NS0_5tupleIJSF_SF_EEENSH_IJSG_SG_EEES6_PlJ7is_evenItEEEE10hipError_tPvRmT3_T4_T5_T6_T7_T9_mT8_P12ihipStream_tbDpT10_ENKUlT_T0_E_clISt17integral_constantIbLb1EES15_IbLb0EEEEDaS11_S12_EUlS11_E_NS1_11comp_targetILNS1_3genE5ELNS1_11target_archE942ELNS1_3gpuE9ELNS1_3repE0EEENS1_30default_config_static_selectorELNS0_4arch9wavefront6targetE1EEEvT1_,@function
_ZN7rocprim17ROCPRIM_400000_NS6detail17trampoline_kernelINS0_14default_configENS1_25partition_config_selectorILNS1_17partition_subalgoE0EtNS0_10empty_typeEbEEZZNS1_14partition_implILS5_0ELb0ES3_jN6thrust23THRUST_200600_302600_NS6detail15normal_iteratorINSA_10device_ptrItEEEEPS6_SG_NS0_5tupleIJSF_SF_EEENSH_IJSG_SG_EEES6_PlJ7is_evenItEEEE10hipError_tPvRmT3_T4_T5_T6_T7_T9_mT8_P12ihipStream_tbDpT10_ENKUlT_T0_E_clISt17integral_constantIbLb1EES15_IbLb0EEEEDaS11_S12_EUlS11_E_NS1_11comp_targetILNS1_3genE5ELNS1_11target_archE942ELNS1_3gpuE9ELNS1_3repE0EEENS1_30default_config_static_selectorELNS0_4arch9wavefront6targetE1EEEvT1_: ; @_ZN7rocprim17ROCPRIM_400000_NS6detail17trampoline_kernelINS0_14default_configENS1_25partition_config_selectorILNS1_17partition_subalgoE0EtNS0_10empty_typeEbEEZZNS1_14partition_implILS5_0ELb0ES3_jN6thrust23THRUST_200600_302600_NS6detail15normal_iteratorINSA_10device_ptrItEEEEPS6_SG_NS0_5tupleIJSF_SF_EEENSH_IJSG_SG_EEES6_PlJ7is_evenItEEEE10hipError_tPvRmT3_T4_T5_T6_T7_T9_mT8_P12ihipStream_tbDpT10_ENKUlT_T0_E_clISt17integral_constantIbLb1EES15_IbLb0EEEEDaS11_S12_EUlS11_E_NS1_11comp_targetILNS1_3genE5ELNS1_11target_archE942ELNS1_3gpuE9ELNS1_3repE0EEENS1_30default_config_static_selectorELNS0_4arch9wavefront6targetE1EEEvT1_
; %bb.0:
	s_load_dwordx2 s[4:5], s[0:1], 0x58
	s_load_dwordx4 s[20:23], s[0:1], 0x8
	s_load_dwordx4 s[24:27], s[0:1], 0x48
	s_load_dword s3, s[0:1], 0x70
	s_mul_i32 s8, s2, 0x3c00
	s_waitcnt lgkmcnt(0)
	v_mov_b32_e32 v3, s5
	s_lshl_b64 s[6:7], s[22:23], 1
	s_add_u32 s10, s20, s6
	s_addc_u32 s11, s21, s7
	s_add_i32 s6, s3, -1
	s_mulk_i32 s3, 0x3c00
	s_add_i32 s5, s3, s22
	s_sub_i32 s33, s4, s5
	s_addk_i32 s33, 0x3c00
	v_mov_b32_e32 v2, s4
	s_add_u32 s4, s22, s3
	s_addc_u32 s5, s23, 0
	s_cmp_eq_u32 s2, s6
	s_load_dwordx2 s[28:29], s[26:27], 0x0
	s_cselect_b64 s[26:27], -1, 0
	s_cmp_lg_u32 s2, s6
	s_mov_b32 s9, 0
	v_cmp_lt_u64_e32 vcc, s[4:5], v[2:3]
	s_cselect_b64 s[4:5], -1, 0
	s_or_b64 s[6:7], s[4:5], vcc
	s_lshl_b64 s[30:31], s[8:9], 1
	s_add_u32 s8, s10, s30
	s_addc_u32 s9, s11, s31
	s_mov_b64 s[4:5], -1
	s_and_b64 vcc, exec, s[6:7]
	v_lshlrev_b32_e32 v2, 1, v0
	s_cbranch_vccz .LBB2187_2
; %bb.1:
	v_mov_b32_e32 v3, 0
	v_lshl_add_u64 v[4:5], s[8:9], 0, v[2:3]
	v_add_co_u32_e32 v6, vcc, 0x1000, v4
	s_mov_b64 s[4:5], 0
	s_nop 0
	v_addc_co_u32_e32 v7, vcc, 0, v5, vcc
	flat_load_ushort v1, v[4:5]
	flat_load_ushort v3, v[4:5] offset:1024
	flat_load_ushort v10, v[4:5] offset:2048
	flat_load_ushort v11, v[4:5] offset:3072
	flat_load_ushort v12, v[6:7]
	flat_load_ushort v13, v[6:7] offset:1024
	flat_load_ushort v14, v[6:7] offset:2048
	flat_load_ushort v15, v[6:7] offset:3072
	v_add_co_u32_e32 v6, vcc, 0x2000, v4
	s_nop 1
	v_addc_co_u32_e32 v7, vcc, 0, v5, vcc
	v_add_co_u32_e32 v8, vcc, 0x3000, v4
	s_nop 1
	v_addc_co_u32_e32 v9, vcc, 0, v5, vcc
	flat_load_ushort v16, v[6:7]
	flat_load_ushort v17, v[6:7] offset:1024
	flat_load_ushort v18, v[6:7] offset:2048
	flat_load_ushort v19, v[6:7] offset:3072
	flat_load_ushort v20, v[8:9]
	flat_load_ushort v21, v[8:9] offset:1024
	flat_load_ushort v22, v[8:9] offset:2048
	flat_load_ushort v23, v[8:9] offset:3072
	v_add_co_u32_e32 v6, vcc, 0x4000, v4
	s_nop 1
	v_addc_co_u32_e32 v7, vcc, 0, v5, vcc
	v_add_co_u32_e32 v8, vcc, 0x5000, v4
	;; [unrolled: 14-line block ×3, first 2 shown]
	s_nop 1
	v_addc_co_u32_e32 v5, vcc, 0, v5, vcc
	flat_load_ushort v8, v[6:7]
	flat_load_ushort v9, v[6:7] offset:1024
	flat_load_ushort v32, v[6:7] offset:2048
	;; [unrolled: 1-line block ×3, first 2 shown]
	flat_load_ushort v34, v[4:5]
	flat_load_ushort v35, v[4:5] offset:1024
	s_waitcnt vmcnt(0) lgkmcnt(0)
	ds_write_b16 v2, v1
	ds_write_b16 v2, v3 offset:1024
	ds_write_b16 v2, v10 offset:2048
	;; [unrolled: 1-line block ×29, first 2 shown]
	s_waitcnt lgkmcnt(0)
	s_barrier
.LBB2187_2:
	s_andn2_b64 vcc, exec, s[4:5]
	v_cmp_gt_u32_e64 s[4:5], s33, v0
	s_cbranch_vccnz .LBB2187_64
; %bb.3:
                                        ; implicit-def: $vgpr1
	s_and_saveexec_b64 s[10:11], s[4:5]
	s_cbranch_execz .LBB2187_5
; %bb.4:
	v_mov_b32_e32 v3, 0
	v_lshl_add_u64 v[4:5], s[8:9], 0, v[2:3]
	flat_load_ushort v1, v[4:5]
.LBB2187_5:
	s_or_b64 exec, exec, s[10:11]
	v_or_b32_e32 v3, 0x200, v0
	v_cmp_gt_u32_e32 vcc, s33, v3
                                        ; implicit-def: $vgpr4
	s_and_saveexec_b64 s[4:5], vcc
	s_cbranch_execz .LBB2187_7
; %bb.6:
	v_mov_b32_e32 v3, 0
	v_lshl_add_u64 v[4:5], s[8:9], 0, v[2:3]
	flat_load_ushort v4, v[4:5] offset:1024
.LBB2187_7:
	s_or_b64 exec, exec, s[4:5]
	v_or_b32_e32 v3, 0x400, v0
	v_cmp_gt_u32_e32 vcc, s33, v3
                                        ; implicit-def: $vgpr5
	s_and_saveexec_b64 s[4:5], vcc
	s_cbranch_execz .LBB2187_9
; %bb.8:
	v_mov_b32_e32 v3, 0
	v_lshl_add_u64 v[6:7], s[8:9], 0, v[2:3]
	flat_load_ushort v5, v[6:7] offset:2048
.LBB2187_9:
	s_or_b64 exec, exec, s[4:5]
	v_or_b32_e32 v3, 0x600, v0
	v_cmp_gt_u32_e32 vcc, s33, v3
                                        ; implicit-def: $vgpr3
	s_and_saveexec_b64 s[4:5], vcc
	s_cbranch_execz .LBB2187_11
; %bb.10:
	v_mov_b32_e32 v3, 0
	v_lshl_add_u64 v[6:7], s[8:9], 0, v[2:3]
	flat_load_ushort v3, v[6:7] offset:3072
.LBB2187_11:
	s_or_b64 exec, exec, s[4:5]
	v_or_b32_e32 v7, 0x800, v0
	v_cmp_gt_u32_e32 vcc, s33, v7
                                        ; implicit-def: $vgpr6
	s_and_saveexec_b64 s[4:5], vcc
	s_cbranch_execz .LBB2187_13
; %bb.12:
	v_lshlrev_b32_e32 v6, 1, v7
	v_mov_b32_e32 v7, 0
	v_lshl_add_u64 v[6:7], s[8:9], 0, v[6:7]
	flat_load_ushort v6, v[6:7]
.LBB2187_13:
	s_or_b64 exec, exec, s[4:5]
	v_or_b32_e32 v8, 0xa00, v0
	v_cmp_gt_u32_e32 vcc, s33, v8
                                        ; implicit-def: $vgpr7
	s_and_saveexec_b64 s[4:5], vcc
	s_cbranch_execz .LBB2187_15
; %bb.14:
	v_lshlrev_b32_e32 v8, 1, v8
	v_mov_b32_e32 v9, 0
	v_lshl_add_u64 v[8:9], s[8:9], 0, v[8:9]
	flat_load_ushort v7, v[8:9]
.LBB2187_15:
	s_or_b64 exec, exec, s[4:5]
	v_or_b32_e32 v9, 0xc00, v0
	v_cmp_gt_u32_e32 vcc, s33, v9
                                        ; implicit-def: $vgpr8
	s_and_saveexec_b64 s[4:5], vcc
	s_cbranch_execz .LBB2187_17
; %bb.16:
	v_lshlrev_b32_e32 v8, 1, v9
	v_mov_b32_e32 v9, 0
	v_lshl_add_u64 v[8:9], s[8:9], 0, v[8:9]
	flat_load_ushort v8, v[8:9]
.LBB2187_17:
	s_or_b64 exec, exec, s[4:5]
	v_or_b32_e32 v10, 0xe00, v0
	v_cmp_gt_u32_e32 vcc, s33, v10
                                        ; implicit-def: $vgpr9
	s_and_saveexec_b64 s[4:5], vcc
	s_cbranch_execz .LBB2187_19
; %bb.18:
	v_lshlrev_b32_e32 v10, 1, v10
	v_mov_b32_e32 v11, 0
	v_lshl_add_u64 v[10:11], s[8:9], 0, v[10:11]
	flat_load_ushort v9, v[10:11]
.LBB2187_19:
	s_or_b64 exec, exec, s[4:5]
	v_or_b32_e32 v11, 0x1000, v0
	v_cmp_gt_u32_e32 vcc, s33, v11
                                        ; implicit-def: $vgpr10
	s_and_saveexec_b64 s[4:5], vcc
	s_cbranch_execz .LBB2187_21
; %bb.20:
	v_lshlrev_b32_e32 v10, 1, v11
	v_mov_b32_e32 v11, 0
	v_lshl_add_u64 v[10:11], s[8:9], 0, v[10:11]
	flat_load_ushort v10, v[10:11]
.LBB2187_21:
	s_or_b64 exec, exec, s[4:5]
	v_or_b32_e32 v12, 0x1200, v0
	v_cmp_gt_u32_e32 vcc, s33, v12
                                        ; implicit-def: $vgpr11
	s_and_saveexec_b64 s[4:5], vcc
	s_cbranch_execz .LBB2187_23
; %bb.22:
	v_lshlrev_b32_e32 v12, 1, v12
	v_mov_b32_e32 v13, 0
	v_lshl_add_u64 v[12:13], s[8:9], 0, v[12:13]
	flat_load_ushort v11, v[12:13]
.LBB2187_23:
	s_or_b64 exec, exec, s[4:5]
	v_or_b32_e32 v13, 0x1400, v0
	v_cmp_gt_u32_e32 vcc, s33, v13
                                        ; implicit-def: $vgpr12
	s_and_saveexec_b64 s[4:5], vcc
	s_cbranch_execz .LBB2187_25
; %bb.24:
	v_lshlrev_b32_e32 v12, 1, v13
	v_mov_b32_e32 v13, 0
	v_lshl_add_u64 v[12:13], s[8:9], 0, v[12:13]
	flat_load_ushort v12, v[12:13]
.LBB2187_25:
	s_or_b64 exec, exec, s[4:5]
	v_or_b32_e32 v14, 0x1600, v0
	v_cmp_gt_u32_e32 vcc, s33, v14
                                        ; implicit-def: $vgpr13
	s_and_saveexec_b64 s[4:5], vcc
	s_cbranch_execz .LBB2187_27
; %bb.26:
	v_lshlrev_b32_e32 v14, 1, v14
	v_mov_b32_e32 v15, 0
	v_lshl_add_u64 v[14:15], s[8:9], 0, v[14:15]
	flat_load_ushort v13, v[14:15]
.LBB2187_27:
	s_or_b64 exec, exec, s[4:5]
	v_or_b32_e32 v15, 0x1800, v0
	v_cmp_gt_u32_e32 vcc, s33, v15
                                        ; implicit-def: $vgpr14
	s_and_saveexec_b64 s[4:5], vcc
	s_cbranch_execz .LBB2187_29
; %bb.28:
	v_lshlrev_b32_e32 v14, 1, v15
	v_mov_b32_e32 v15, 0
	v_lshl_add_u64 v[14:15], s[8:9], 0, v[14:15]
	flat_load_ushort v14, v[14:15]
.LBB2187_29:
	s_or_b64 exec, exec, s[4:5]
	v_or_b32_e32 v16, 0x1a00, v0
	v_cmp_gt_u32_e32 vcc, s33, v16
                                        ; implicit-def: $vgpr15
	s_and_saveexec_b64 s[4:5], vcc
	s_cbranch_execz .LBB2187_31
; %bb.30:
	v_lshlrev_b32_e32 v16, 1, v16
	v_mov_b32_e32 v17, 0
	v_lshl_add_u64 v[16:17], s[8:9], 0, v[16:17]
	flat_load_ushort v15, v[16:17]
.LBB2187_31:
	s_or_b64 exec, exec, s[4:5]
	v_or_b32_e32 v17, 0x1c00, v0
	v_cmp_gt_u32_e32 vcc, s33, v17
                                        ; implicit-def: $vgpr16
	s_and_saveexec_b64 s[4:5], vcc
	s_cbranch_execz .LBB2187_33
; %bb.32:
	v_lshlrev_b32_e32 v16, 1, v17
	v_mov_b32_e32 v17, 0
	v_lshl_add_u64 v[16:17], s[8:9], 0, v[16:17]
	flat_load_ushort v16, v[16:17]
.LBB2187_33:
	s_or_b64 exec, exec, s[4:5]
	v_or_b32_e32 v18, 0x1e00, v0
	v_cmp_gt_u32_e32 vcc, s33, v18
                                        ; implicit-def: $vgpr17
	s_and_saveexec_b64 s[4:5], vcc
	s_cbranch_execz .LBB2187_35
; %bb.34:
	v_lshlrev_b32_e32 v18, 1, v18
	v_mov_b32_e32 v19, 0
	v_lshl_add_u64 v[18:19], s[8:9], 0, v[18:19]
	flat_load_ushort v17, v[18:19]
.LBB2187_35:
	s_or_b64 exec, exec, s[4:5]
	v_or_b32_e32 v19, 0x2000, v0
	v_cmp_gt_u32_e32 vcc, s33, v19
                                        ; implicit-def: $vgpr18
	s_and_saveexec_b64 s[4:5], vcc
	s_cbranch_execz .LBB2187_37
; %bb.36:
	v_lshlrev_b32_e32 v18, 1, v19
	v_mov_b32_e32 v19, 0
	v_lshl_add_u64 v[18:19], s[8:9], 0, v[18:19]
	flat_load_ushort v18, v[18:19]
.LBB2187_37:
	s_or_b64 exec, exec, s[4:5]
	v_or_b32_e32 v20, 0x2200, v0
	v_cmp_gt_u32_e32 vcc, s33, v20
                                        ; implicit-def: $vgpr19
	s_and_saveexec_b64 s[4:5], vcc
	s_cbranch_execz .LBB2187_39
; %bb.38:
	v_lshlrev_b32_e32 v20, 1, v20
	v_mov_b32_e32 v21, 0
	v_lshl_add_u64 v[20:21], s[8:9], 0, v[20:21]
	flat_load_ushort v19, v[20:21]
.LBB2187_39:
	s_or_b64 exec, exec, s[4:5]
	v_or_b32_e32 v21, 0x2400, v0
	v_cmp_gt_u32_e32 vcc, s33, v21
                                        ; implicit-def: $vgpr20
	s_and_saveexec_b64 s[4:5], vcc
	s_cbranch_execz .LBB2187_41
; %bb.40:
	v_lshlrev_b32_e32 v20, 1, v21
	v_mov_b32_e32 v21, 0
	v_lshl_add_u64 v[20:21], s[8:9], 0, v[20:21]
	flat_load_ushort v20, v[20:21]
.LBB2187_41:
	s_or_b64 exec, exec, s[4:5]
	v_or_b32_e32 v22, 0x2600, v0
	v_cmp_gt_u32_e32 vcc, s33, v22
                                        ; implicit-def: $vgpr21
	s_and_saveexec_b64 s[4:5], vcc
	s_cbranch_execz .LBB2187_43
; %bb.42:
	v_lshlrev_b32_e32 v22, 1, v22
	v_mov_b32_e32 v23, 0
	v_lshl_add_u64 v[22:23], s[8:9], 0, v[22:23]
	flat_load_ushort v21, v[22:23]
.LBB2187_43:
	s_or_b64 exec, exec, s[4:5]
	v_or_b32_e32 v23, 0x2800, v0
	v_cmp_gt_u32_e32 vcc, s33, v23
                                        ; implicit-def: $vgpr22
	s_and_saveexec_b64 s[4:5], vcc
	s_cbranch_execz .LBB2187_45
; %bb.44:
	v_lshlrev_b32_e32 v22, 1, v23
	v_mov_b32_e32 v23, 0
	v_lshl_add_u64 v[22:23], s[8:9], 0, v[22:23]
	flat_load_ushort v22, v[22:23]
.LBB2187_45:
	s_or_b64 exec, exec, s[4:5]
	v_or_b32_e32 v24, 0x2a00, v0
	v_cmp_gt_u32_e32 vcc, s33, v24
                                        ; implicit-def: $vgpr23
	s_and_saveexec_b64 s[4:5], vcc
	s_cbranch_execz .LBB2187_47
; %bb.46:
	v_lshlrev_b32_e32 v24, 1, v24
	v_mov_b32_e32 v25, 0
	v_lshl_add_u64 v[24:25], s[8:9], 0, v[24:25]
	flat_load_ushort v23, v[24:25]
.LBB2187_47:
	s_or_b64 exec, exec, s[4:5]
	v_or_b32_e32 v25, 0x2c00, v0
	v_cmp_gt_u32_e32 vcc, s33, v25
                                        ; implicit-def: $vgpr24
	s_and_saveexec_b64 s[4:5], vcc
	s_cbranch_execz .LBB2187_49
; %bb.48:
	v_lshlrev_b32_e32 v24, 1, v25
	v_mov_b32_e32 v25, 0
	v_lshl_add_u64 v[24:25], s[8:9], 0, v[24:25]
	flat_load_ushort v24, v[24:25]
.LBB2187_49:
	s_or_b64 exec, exec, s[4:5]
	v_or_b32_e32 v26, 0x2e00, v0
	v_cmp_gt_u32_e32 vcc, s33, v26
                                        ; implicit-def: $vgpr25
	s_and_saveexec_b64 s[4:5], vcc
	s_cbranch_execz .LBB2187_51
; %bb.50:
	v_lshlrev_b32_e32 v26, 1, v26
	v_mov_b32_e32 v27, 0
	v_lshl_add_u64 v[26:27], s[8:9], 0, v[26:27]
	flat_load_ushort v25, v[26:27]
.LBB2187_51:
	s_or_b64 exec, exec, s[4:5]
	v_or_b32_e32 v27, 0x3000, v0
	v_cmp_gt_u32_e32 vcc, s33, v27
                                        ; implicit-def: $vgpr26
	s_and_saveexec_b64 s[4:5], vcc
	s_cbranch_execz .LBB2187_53
; %bb.52:
	v_lshlrev_b32_e32 v26, 1, v27
	v_mov_b32_e32 v27, 0
	v_lshl_add_u64 v[26:27], s[8:9], 0, v[26:27]
	flat_load_ushort v26, v[26:27]
.LBB2187_53:
	s_or_b64 exec, exec, s[4:5]
	v_or_b32_e32 v28, 0x3200, v0
	v_cmp_gt_u32_e32 vcc, s33, v28
                                        ; implicit-def: $vgpr27
	s_and_saveexec_b64 s[4:5], vcc
	s_cbranch_execz .LBB2187_55
; %bb.54:
	v_lshlrev_b32_e32 v28, 1, v28
	v_mov_b32_e32 v29, 0
	v_lshl_add_u64 v[28:29], s[8:9], 0, v[28:29]
	flat_load_ushort v27, v[28:29]
.LBB2187_55:
	s_or_b64 exec, exec, s[4:5]
	v_or_b32_e32 v29, 0x3400, v0
	v_cmp_gt_u32_e32 vcc, s33, v29
                                        ; implicit-def: $vgpr28
	s_and_saveexec_b64 s[4:5], vcc
	s_cbranch_execz .LBB2187_57
; %bb.56:
	v_lshlrev_b32_e32 v28, 1, v29
	v_mov_b32_e32 v29, 0
	v_lshl_add_u64 v[28:29], s[8:9], 0, v[28:29]
	flat_load_ushort v28, v[28:29]
.LBB2187_57:
	s_or_b64 exec, exec, s[4:5]
	v_or_b32_e32 v30, 0x3600, v0
	v_cmp_gt_u32_e32 vcc, s33, v30
                                        ; implicit-def: $vgpr29
	s_and_saveexec_b64 s[4:5], vcc
	s_cbranch_execz .LBB2187_59
; %bb.58:
	v_lshlrev_b32_e32 v30, 1, v30
	v_mov_b32_e32 v31, 0
	v_lshl_add_u64 v[30:31], s[8:9], 0, v[30:31]
	flat_load_ushort v29, v[30:31]
.LBB2187_59:
	s_or_b64 exec, exec, s[4:5]
	v_or_b32_e32 v31, 0x3800, v0
	v_cmp_gt_u32_e32 vcc, s33, v31
                                        ; implicit-def: $vgpr30
	s_and_saveexec_b64 s[4:5], vcc
	s_cbranch_execz .LBB2187_61
; %bb.60:
	v_lshlrev_b32_e32 v30, 1, v31
	v_mov_b32_e32 v31, 0
	v_lshl_add_u64 v[30:31], s[8:9], 0, v[30:31]
	flat_load_ushort v30, v[30:31]
.LBB2187_61:
	s_or_b64 exec, exec, s[4:5]
	v_or_b32_e32 v32, 0x3a00, v0
	v_cmp_gt_u32_e32 vcc, s33, v32
                                        ; implicit-def: $vgpr31
	s_and_saveexec_b64 s[4:5], vcc
	s_cbranch_execz .LBB2187_63
; %bb.62:
	v_lshlrev_b32_e32 v32, 1, v32
	v_mov_b32_e32 v33, 0
	v_lshl_add_u64 v[32:33], s[8:9], 0, v[32:33]
	flat_load_ushort v31, v[32:33]
.LBB2187_63:
	s_or_b64 exec, exec, s[4:5]
	s_waitcnt vmcnt(0) lgkmcnt(0)
	ds_write_b16 v2, v1
	ds_write_b16 v2, v4 offset:1024
	ds_write_b16 v2, v5 offset:2048
	;; [unrolled: 1-line block ×29, first 2 shown]
	s_waitcnt lgkmcnt(0)
	s_barrier
.LBB2187_64:
	v_mul_u32_u24_e32 v40, 30, v0
	v_lshlrev_b32_e32 v4, 1, v40
	s_waitcnt lgkmcnt(0)
	ds_read_b32 v3, v4 offset:56
	ds_read2_b32 v[6:7], v4 offset0:12 offset1:13
	ds_read2_b32 v[8:9], v4 offset0:10 offset1:11
	;; [unrolled: 1-line block ×3, first 2 shown]
	ds_read2_b32 v[18:19], v4 offset1:1
	ds_read2_b32 v[16:17], v4 offset0:2 offset1:3
	ds_read2_b32 v[14:15], v4 offset0:4 offset1:5
	;; [unrolled: 1-line block ×3, first 2 shown]
	s_waitcnt lgkmcnt(7)
	v_lshrrev_b32_e32 v1, 16, v3
	s_waitcnt lgkmcnt(6)
	v_lshrrev_b32_e32 v29, 16, v6
	v_lshrrev_b32_e32 v28, 16, v7
	s_waitcnt lgkmcnt(5)
	v_lshrrev_b32_e32 v31, 16, v8
	;; [unrolled: 3-line block ×6, first 2 shown]
	v_lshrrev_b32_e32 v34, 16, v13
	v_lshrrev_b32_e32 v33, 16, v10
	;; [unrolled: 1-line block ×3, first 2 shown]
	v_cndmask_b32_e64 v4, 0, 1, s[6:7]
	v_cmp_ne_u32_e64 s[20:21], 1, v4
	s_andn2_b64 vcc, exec, s[6:7]
	v_xor_b32_e32 v92, -1, v18
	v_xor_b32_e32 v91, -1, v42
	;; [unrolled: 1-line block ×30, first 2 shown]
	s_barrier
	s_cbranch_vccnz .LBB2187_66
; %bb.65:
	v_and_b32_e32 v72, 1, v92
	v_and_b32_e32 v71, 1, v91
	;; [unrolled: 1-line block ×30, first 2 shown]
	s_load_dwordx2 s[34:35], s[0:1], 0x68
	s_cbranch_execz .LBB2187_67
	s_branch .LBB2187_68
.LBB2187_66:
                                        ; implicit-def: $vgpr72
                                        ; implicit-def: $vgpr71
                                        ; implicit-def: $vgpr70
                                        ; implicit-def: $vgpr69
                                        ; implicit-def: $vgpr68
                                        ; implicit-def: $vgpr67
                                        ; implicit-def: $vgpr66
                                        ; implicit-def: $vgpr65
                                        ; implicit-def: $vgpr64
                                        ; implicit-def: $vgpr63
                                        ; implicit-def: $vgpr62
                                        ; implicit-def: $vgpr61
                                        ; implicit-def: $vgpr60
                                        ; implicit-def: $vgpr59
                                        ; implicit-def: $vgpr58
                                        ; implicit-def: $vgpr57
                                        ; implicit-def: $vgpr56
                                        ; implicit-def: $vgpr55
                                        ; implicit-def: $vgpr54
                                        ; implicit-def: $vgpr53
                                        ; implicit-def: $vgpr52
                                        ; implicit-def: $vgpr51
                                        ; implicit-def: $vgpr50
                                        ; implicit-def: $vgpr49
                                        ; implicit-def: $vgpr48
                                        ; implicit-def: $vgpr47
                                        ; implicit-def: $vgpr46
                                        ; implicit-def: $vgpr45
                                        ; implicit-def: $vgpr43
                                        ; implicit-def: $vgpr44
	s_load_dwordx2 s[34:35], s[0:1], 0x68
.LBB2187_67:
	v_or_b32_e32 v52, 1, v40
	v_cmp_gt_u32_e32 vcc, s33, v40
	v_add_u32_e32 v53, 2, v40
	v_add_u32_e32 v54, 3, v40
	v_cndmask_b32_e64 v62, 0, 1, vcc
	v_cmp_gt_u32_e32 vcc, s33, v52
	v_add_u32_e32 v55, 4, v40
	v_add_u32_e32 v56, 5, v40
	v_cndmask_b32_e64 v52, 0, 1, vcc
	v_cmp_gt_u32_e32 vcc, s33, v53
	v_and_b32_e32 v71, v52, v91
	v_add_u32_e32 v57, 6, v40
	v_cndmask_b32_e64 v52, 0, 1, vcc
	v_cmp_gt_u32_e32 vcc, s33, v54
	v_and_b32_e32 v70, v52, v90
	;; [unrolled: 4-line block ×9, first 2 shown]
	v_and_b32_e32 v72, v62, v92
	v_cndmask_b32_e64 v52, 0, 1, vcc
	v_cmp_gt_u32_e32 vcc, s33, v93
	v_and_b32_e32 v62, v52, v82
	v_add_u32_e32 v96, 14, v40
	v_cndmask_b32_e64 v52, 0, 1, vcc
	v_cmp_gt_u32_e32 vcc, s33, v94
	v_and_b32_e32 v61, v52, v81
	v_add_u32_e32 v97, 15, v40
	;; [unrolled: 4-line block ×16, first 2 shown]
	v_cndmask_b32_e64 v22, 0, 1, vcc
	v_cmp_gt_u32_e32 vcc, s33, v45
	v_and_b32_e32 v46, v22, v21
	s_nop 0
	v_cndmask_b32_e64 v21, 0, 1, vcc
	v_cmp_gt_u32_e32 vcc, s33, v43
	v_and_b32_e32 v45, v21, v20
	s_nop 0
	;; [unrolled: 4-line block ×3, first 2 shown]
	v_cndmask_b32_e64 v5, 0, 1, vcc
	v_and_b32_e32 v44, v5, v4
.LBB2187_68:
	v_and_b32_e32 v99, 0xff, v46
	v_and_b32_e32 v100, 0xff, v45
	v_add_u32_sdwa v4, v43, v44 dst_sel:DWORD dst_unused:UNUSED_PAD src0_sel:BYTE_0 src1_sel:BYTE_0
	v_and_b32_e32 v97, 0xff, v48
	v_and_b32_e32 v98, 0xff, v47
	v_add3_u32 v4, v4, v100, v99
	v_and_b32_e32 v95, 0xff, v50
	v_and_b32_e32 v96, 0xff, v49
	v_add3_u32 v4, v4, v98, v97
	;; [unrolled: 3-line block ×13, first 2 shown]
	v_add3_u32 v103, v4, v74, v73
	v_mbcnt_lo_u32_b32 v4, -1, 0
	v_mbcnt_hi_u32_b32 v101, -1, v4
	v_and_b32_e32 v4, 15, v101
	v_cmp_eq_u32_e64 s[16:17], 0, v4
	v_cmp_lt_u32_e64 s[14:15], 1, v4
	v_cmp_lt_u32_e64 s[12:13], 3, v4
	;; [unrolled: 1-line block ×3, first 2 shown]
	v_and_b32_e32 v4, 16, v101
	v_cmp_eq_u32_e64 s[8:9], 0, v4
	v_or_b32_e32 v4, 63, v0
	s_cmp_lg_u32 s2, 0
	v_cmp_lt_u32_e64 s[4:5], 31, v101
	v_lshrrev_b32_e32 v102, 6, v0
	v_cmp_eq_u32_e64 s[6:7], v4, v0
	s_cbranch_scc0 .LBB2187_99
; %bb.69:
	v_mov_b32_dpp v4, v103 row_shr:1 row_mask:0xf bank_mask:0xf
	v_cndmask_b32_e64 v4, v4, 0, s[16:17]
	v_add_u32_e32 v4, v4, v103
	s_nop 1
	v_mov_b32_dpp v5, v4 row_shr:2 row_mask:0xf bank_mask:0xf
	v_cndmask_b32_e64 v5, 0, v5, s[14:15]
	v_add_u32_e32 v4, v4, v5
	s_nop 1
	;; [unrolled: 4-line block ×4, first 2 shown]
	v_mov_b32_dpp v5, v4 row_bcast:15 row_mask:0xf bank_mask:0xf
	v_cndmask_b32_e64 v5, v5, 0, s[8:9]
	v_add_u32_e32 v4, v4, v5
	s_nop 1
	v_mov_b32_dpp v5, v4 row_bcast:31 row_mask:0xf bank_mask:0xf
	v_cndmask_b32_e64 v5, 0, v5, s[4:5]
	v_add_u32_e32 v4, v4, v5
	s_and_saveexec_b64 s[18:19], s[6:7]
	s_cbranch_execz .LBB2187_71
; %bb.70:
	v_lshlrev_b32_e32 v5, 2, v102
	ds_write_b32 v5, v4
.LBB2187_71:
	s_or_b64 exec, exec, s[18:19]
	v_cmp_gt_u32_e32 vcc, 8, v0
	s_waitcnt lgkmcnt(0)
	s_barrier
	s_and_saveexec_b64 s[18:19], vcc
	s_cbranch_execz .LBB2187_73
; %bb.72:
	v_lshlrev_b32_e32 v5, 2, v0
	ds_read_b32 v20, v5
	v_and_b32_e32 v21, 7, v101
	v_cmp_ne_u32_e32 vcc, 0, v21
	s_waitcnt lgkmcnt(0)
	v_mov_b32_dpp v22, v20 row_shr:1 row_mask:0xf bank_mask:0xf
	v_cndmask_b32_e32 v22, 0, v22, vcc
	v_add_u32_e32 v20, v22, v20
	v_cmp_lt_u32_e32 vcc, 1, v21
	s_nop 0
	v_mov_b32_dpp v22, v20 row_shr:2 row_mask:0xf bank_mask:0xf
	v_cndmask_b32_e32 v22, 0, v22, vcc
	v_add_u32_e32 v20, v20, v22
	v_cmp_lt_u32_e32 vcc, 3, v21
	s_nop 0
	v_mov_b32_dpp v22, v20 row_shr:4 row_mask:0xf bank_mask:0xf
	v_cndmask_b32_e32 v21, 0, v22, vcc
	v_add_u32_e32 v20, v20, v21
	ds_write_b32 v5, v20
.LBB2187_73:
	s_or_b64 exec, exec, s[18:19]
	v_cmp_gt_u32_e32 vcc, 64, v0
	v_cmp_lt_u32_e64 s[18:19], 63, v0
	s_waitcnt lgkmcnt(0)
	s_barrier
	s_waitcnt lgkmcnt(0)
                                        ; implicit-def: $vgpr104
	s_and_saveexec_b64 s[36:37], s[18:19]
	s_cbranch_execz .LBB2187_75
; %bb.74:
	v_lshl_add_u32 v5, v102, 2, -4
	ds_read_b32 v104, v5
	s_waitcnt lgkmcnt(0)
	v_add_u32_e32 v4, v104, v4
.LBB2187_75:
	s_or_b64 exec, exec, s[36:37]
	v_add_u32_e32 v5, -1, v101
	v_and_b32_e32 v20, 64, v101
	v_cmp_lt_i32_e64 s[18:19], v5, v20
	s_nop 1
	v_cndmask_b32_e64 v5, v5, v101, s[18:19]
	v_lshlrev_b32_e32 v5, 2, v5
	ds_bpermute_b32 v105, v5, v4
	v_cmp_eq_u32_e64 s[18:19], 0, v101
	s_and_saveexec_b64 s[36:37], vcc
	s_cbranch_execz .LBB2187_98
; %bb.76:
	v_mov_b32_e32 v27, 0
	ds_read_b32 v4, v27 offset:28
	s_and_saveexec_b64 s[38:39], s[18:19]
	s_cbranch_execz .LBB2187_78
; %bb.77:
	s_add_i32 s40, s2, 64
	s_mov_b32 s41, 0
	s_lshl_b64 s[40:41], s[40:41], 3
	s_add_u32 s40, s34, s40
	v_mov_b32_e32 v5, 1
	s_addc_u32 s41, s35, s41
	s_waitcnt lgkmcnt(0)
	global_store_dwordx2 v27, v[4:5], s[40:41] sc1
.LBB2187_78:
	s_or_b64 exec, exec, s[38:39]
	v_xad_u32 v20, v101, -1, s2
	v_add_u32_e32 v26, 64, v20
	v_lshl_add_u64 v[22:23], v[26:27], 3, s[34:35]
	global_load_dwordx2 v[24:25], v[22:23], off sc1
	s_waitcnt vmcnt(0)
	v_cmp_eq_u16_sdwa s[40:41], v25, v27 src0_sel:BYTE_0 src1_sel:DWORD
	s_and_saveexec_b64 s[38:39], s[40:41]
	s_cbranch_execz .LBB2187_84
; %bb.79:
	s_mov_b32 s3, 1
	s_mov_b64 s[40:41], 0
	v_mov_b32_e32 v5, 0
.LBB2187_80:                            ; =>This Loop Header: Depth=1
                                        ;     Child Loop BB2187_81 Depth 2
	s_max_u32 s42, s3, 1
.LBB2187_81:                            ;   Parent Loop BB2187_80 Depth=1
                                        ; =>  This Inner Loop Header: Depth=2
	s_add_i32 s42, s42, -1
	s_cmp_eq_u32 s42, 0
	s_sleep 1
	s_cbranch_scc0 .LBB2187_81
; %bb.82:                               ;   in Loop: Header=BB2187_80 Depth=1
	global_load_dwordx2 v[24:25], v[22:23], off sc1
	s_cmp_lt_u32 s3, 32
	s_cselect_b64 s[42:43], -1, 0
	s_cmp_lg_u64 s[42:43], 0
	s_addc_u32 s3, s3, 0
	s_waitcnt vmcnt(0)
	v_cmp_ne_u16_sdwa s[42:43], v25, v5 src0_sel:BYTE_0 src1_sel:DWORD
	s_or_b64 s[40:41], s[42:43], s[40:41]
	s_andn2_b64 exec, exec, s[40:41]
	s_cbranch_execnz .LBB2187_80
; %bb.83:
	s_or_b64 exec, exec, s[40:41]
.LBB2187_84:
	s_or_b64 exec, exec, s[38:39]
	v_and_b32_e32 v107, 63, v101
	v_mov_b32_e32 v106, 2
	v_cmp_ne_u32_e32 vcc, 63, v107
	v_cmp_eq_u16_sdwa s[38:39], v25, v106 src0_sel:BYTE_0 src1_sel:DWORD
	v_lshlrev_b64 v[22:23], v101, -1
	v_addc_co_u32_e32 v26, vcc, 0, v101, vcc
	v_and_b32_e32 v5, s39, v23
	v_lshlrev_b32_e32 v108, 2, v26
	v_or_b32_e32 v5, 0x80000000, v5
	ds_bpermute_b32 v26, v108, v24
	v_and_b32_e32 v21, s38, v22
	v_ffbl_b32_e32 v5, v5
	v_add_u32_e32 v5, 32, v5
	v_ffbl_b32_e32 v21, v21
	v_min_u32_e32 v5, v21, v5
	v_cmp_lt_u32_e32 vcc, v107, v5
	v_add_u32_e32 v110, 2, v107
	v_add_u32_e32 v112, 4, v107
	s_waitcnt lgkmcnt(0)
	v_cndmask_b32_e32 v21, 0, v26, vcc
	v_cmp_gt_u32_e32 vcc, 62, v107
	v_add_u32_e32 v21, v21, v24
	v_add_u32_e32 v114, 8, v107
	v_cndmask_b32_e64 v24, 0, 1, vcc
	v_lshlrev_b32_e32 v24, 1, v24
	v_add_lshl_u32 v109, v24, v101, 2
	ds_bpermute_b32 v24, v109, v21
	v_cmp_le_u32_e32 vcc, v110, v5
	v_add_u32_e32 v116, 16, v107
	v_add_u32_e32 v118, 32, v107
	s_waitcnt lgkmcnt(0)
	v_cndmask_b32_e32 v24, 0, v24, vcc
	v_cmp_gt_u32_e32 vcc, 60, v107
	v_add_u32_e32 v21, v21, v24
	s_nop 0
	v_cndmask_b32_e64 v24, 0, 1, vcc
	v_lshlrev_b32_e32 v24, 2, v24
	v_add_lshl_u32 v111, v24, v101, 2
	ds_bpermute_b32 v24, v111, v21
	v_cmp_le_u32_e32 vcc, v112, v5
	s_waitcnt lgkmcnt(0)
	s_nop 0
	v_cndmask_b32_e32 v24, 0, v24, vcc
	v_cmp_gt_u32_e32 vcc, 56, v107
	v_add_u32_e32 v21, v21, v24
	s_nop 0
	v_cndmask_b32_e64 v24, 0, 1, vcc
	v_lshlrev_b32_e32 v24, 3, v24
	v_add_lshl_u32 v113, v24, v101, 2
	ds_bpermute_b32 v24, v113, v21
	v_cmp_le_u32_e32 vcc, v114, v5
	s_waitcnt lgkmcnt(0)
	s_nop 0
	;; [unrolled: 11-line block ×4, first 2 shown]
	v_cndmask_b32_e32 v5, 0, v24, vcc
	v_add_u32_e32 v24, v21, v5
	v_mov_b32_e32 v21, 0
	s_branch .LBB2187_86
.LBB2187_85:                            ;   in Loop: Header=BB2187_86 Depth=1
	s_or_b64 exec, exec, s[38:39]
	v_cmp_eq_u16_sdwa s[38:39], v25, v106 src0_sel:BYTE_0 src1_sel:DWORD
	ds_bpermute_b32 v119, v108, v24
	v_subrev_u32_e32 v20, 64, v20
	v_and_b32_e32 v26, s39, v23
	v_or_b32_e32 v26, 0x80000000, v26
	v_and_b32_e32 v27, s38, v22
	v_ffbl_b32_e32 v26, v26
	v_add_u32_e32 v26, 32, v26
	v_ffbl_b32_e32 v27, v27
	v_min_u32_e32 v26, v27, v26
	v_cmp_lt_u32_e32 vcc, v107, v26
	s_waitcnt lgkmcnt(0)
	s_nop 0
	v_cndmask_b32_e32 v27, 0, v119, vcc
	v_add_u32_e32 v24, v27, v24
	ds_bpermute_b32 v27, v109, v24
	v_cmp_le_u32_e32 vcc, v110, v26
	s_waitcnt lgkmcnt(0)
	s_nop 0
	v_cndmask_b32_e32 v27, 0, v27, vcc
	v_add_u32_e32 v24, v24, v27
	ds_bpermute_b32 v27, v111, v24
	v_cmp_le_u32_e32 vcc, v112, v26
	;; [unrolled: 6-line block ×5, first 2 shown]
	s_waitcnt lgkmcnt(0)
	s_nop 0
	v_cndmask_b32_e32 v26, 0, v27, vcc
	v_add3_u32 v24, v26, v5, v24
.LBB2187_86:                            ; =>This Loop Header: Depth=1
                                        ;     Child Loop BB2187_89 Depth 2
                                        ;       Child Loop BB2187_90 Depth 3
	v_cmp_ne_u16_sdwa s[38:39], v25, v106 src0_sel:BYTE_0 src1_sel:DWORD
	s_nop 1
	v_cndmask_b32_e64 v5, 0, 1, s[38:39]
	;;#ASMSTART
	;;#ASMEND
	s_nop 0
	v_cmp_ne_u32_e32 vcc, 0, v5
	s_cmp_lg_u64 vcc, exec
	v_mov_b32_e32 v5, v24
	s_cbranch_scc1 .LBB2187_93
; %bb.87:                               ;   in Loop: Header=BB2187_86 Depth=1
	v_lshl_add_u64 v[26:27], v[20:21], 3, s[34:35]
	global_load_dwordx2 v[24:25], v[26:27], off sc1
	s_waitcnt vmcnt(0)
	v_cmp_eq_u16_sdwa s[40:41], v25, v21 src0_sel:BYTE_0 src1_sel:DWORD
	s_and_saveexec_b64 s[38:39], s[40:41]
	s_cbranch_execz .LBB2187_85
; %bb.88:                               ;   in Loop: Header=BB2187_86 Depth=1
	s_mov_b32 s3, 1
	s_mov_b64 s[40:41], 0
.LBB2187_89:                            ;   Parent Loop BB2187_86 Depth=1
                                        ; =>  This Loop Header: Depth=2
                                        ;       Child Loop BB2187_90 Depth 3
	s_max_u32 s42, s3, 1
.LBB2187_90:                            ;   Parent Loop BB2187_86 Depth=1
                                        ;     Parent Loop BB2187_89 Depth=2
                                        ; =>    This Inner Loop Header: Depth=3
	s_add_i32 s42, s42, -1
	s_cmp_eq_u32 s42, 0
	s_sleep 1
	s_cbranch_scc0 .LBB2187_90
; %bb.91:                               ;   in Loop: Header=BB2187_89 Depth=2
	global_load_dwordx2 v[24:25], v[26:27], off sc1
	s_cmp_lt_u32 s3, 32
	s_cselect_b64 s[42:43], -1, 0
	s_cmp_lg_u64 s[42:43], 0
	s_addc_u32 s3, s3, 0
	s_waitcnt vmcnt(0)
	v_cmp_ne_u16_sdwa s[42:43], v25, v21 src0_sel:BYTE_0 src1_sel:DWORD
	s_or_b64 s[40:41], s[42:43], s[40:41]
	s_andn2_b64 exec, exec, s[40:41]
	s_cbranch_execnz .LBB2187_89
; %bb.92:                               ;   in Loop: Header=BB2187_86 Depth=1
	s_or_b64 exec, exec, s[40:41]
	s_branch .LBB2187_85
.LBB2187_93:                            ;   in Loop: Header=BB2187_86 Depth=1
                                        ; implicit-def: $vgpr24
                                        ; implicit-def: $vgpr25
	s_cbranch_execz .LBB2187_86
; %bb.94:
	s_and_saveexec_b64 s[38:39], s[18:19]
	s_cbranch_execz .LBB2187_96
; %bb.95:
	s_add_i32 s2, s2, 64
	s_mov_b32 s3, 0
	s_lshl_b64 s[2:3], s[2:3], 3
	s_add_u32 s2, s34, s2
	v_add_u32_e32 v20, v5, v4
	v_mov_b32_e32 v21, 2
	s_addc_u32 s3, s35, s3
	v_mov_b32_e32 v22, 0
	global_store_dwordx2 v22, v[20:21], s[2:3] sc1
	ds_write_b64 v22, v[4:5] offset:30720
.LBB2187_96:
	s_or_b64 exec, exec, s[38:39]
	v_cmp_eq_u32_e32 vcc, 0, v0
	s_and_b64 exec, exec, vcc
	s_cbranch_execz .LBB2187_98
; %bb.97:
	v_mov_b32_e32 v4, 0
	ds_write_b32 v4, v5 offset:28
.LBB2187_98:
	s_or_b64 exec, exec, s[36:37]
	v_mov_b32_e32 v4, 0
	s_waitcnt lgkmcnt(0)
	s_barrier
	ds_read_b32 v21, v4 offset:28
	s_waitcnt lgkmcnt(0)
	s_barrier
	ds_read_b64 v[4:5], v4 offset:30720
	v_cndmask_b32_e64 v20, v105, v104, s[18:19]
	v_cmp_ne_u32_e32 vcc, 0, v0
	s_nop 1
	v_cndmask_b32_e32 v20, 0, v20, vcc
	v_add_u32_e32 v21, v21, v20
	s_waitcnt lgkmcnt(0)
	v_mov_b32_e32 v20, v5
	s_branch .LBB2187_109
.LBB2187_99:
                                        ; implicit-def: $vgpr20
                                        ; implicit-def: $vgpr4
                                        ; implicit-def: $vgpr21
	s_cbranch_execz .LBB2187_109
; %bb.100:
	s_nop 0
	v_mov_b32_dpp v4, v103 row_shr:1 row_mask:0xf bank_mask:0xf
	v_cndmask_b32_e64 v4, v4, 0, s[16:17]
	v_add_u32_e32 v4, v4, v103
	s_nop 1
	v_mov_b32_dpp v5, v4 row_shr:2 row_mask:0xf bank_mask:0xf
	v_cndmask_b32_e64 v5, 0, v5, s[14:15]
	v_add_u32_e32 v4, v4, v5
	;; [unrolled: 4-line block ×4, first 2 shown]
	s_nop 1
	v_mov_b32_dpp v5, v4 row_bcast:15 row_mask:0xf bank_mask:0xf
	v_cndmask_b32_e64 v5, v5, 0, s[8:9]
	v_add_u32_e32 v4, v4, v5
	s_nop 1
	v_mov_b32_dpp v5, v4 row_bcast:31 row_mask:0xf bank_mask:0xf
	v_cndmask_b32_e64 v5, 0, v5, s[4:5]
	v_add_u32_e32 v4, v4, v5
	s_and_saveexec_b64 s[2:3], s[6:7]
	s_cbranch_execz .LBB2187_102
; %bb.101:
	v_lshlrev_b32_e32 v5, 2, v102
	ds_write_b32 v5, v4
.LBB2187_102:
	s_or_b64 exec, exec, s[2:3]
	v_cmp_gt_u32_e32 vcc, 8, v0
	s_waitcnt lgkmcnt(0)
	s_barrier
	s_and_saveexec_b64 s[2:3], vcc
	s_cbranch_execz .LBB2187_104
; %bb.103:
	v_lshlrev_b32_e32 v5, 2, v0
	ds_read_b32 v20, v5
	v_and_b32_e32 v21, 7, v101
	v_cmp_ne_u32_e32 vcc, 0, v21
	s_waitcnt lgkmcnt(0)
	v_mov_b32_dpp v22, v20 row_shr:1 row_mask:0xf bank_mask:0xf
	v_cndmask_b32_e32 v22, 0, v22, vcc
	v_add_u32_e32 v20, v22, v20
	v_cmp_lt_u32_e32 vcc, 1, v21
	s_nop 0
	v_mov_b32_dpp v22, v20 row_shr:2 row_mask:0xf bank_mask:0xf
	v_cndmask_b32_e32 v22, 0, v22, vcc
	v_add_u32_e32 v20, v20, v22
	v_cmp_lt_u32_e32 vcc, 3, v21
	s_nop 0
	v_mov_b32_dpp v22, v20 row_shr:4 row_mask:0xf bank_mask:0xf
	v_cndmask_b32_e32 v21, 0, v22, vcc
	v_add_u32_e32 v20, v20, v21
	ds_write_b32 v5, v20
.LBB2187_104:
	s_or_b64 exec, exec, s[2:3]
	v_cmp_lt_u32_e32 vcc, 63, v0
	v_mov_b32_e32 v5, 0
	v_mov_b32_e32 v20, 0
	s_waitcnt lgkmcnt(0)
	s_barrier
	s_and_saveexec_b64 s[2:3], vcc
	s_cbranch_execz .LBB2187_106
; %bb.105:
	v_lshl_add_u32 v20, v102, 2, -4
	ds_read_b32 v20, v20
.LBB2187_106:
	s_or_b64 exec, exec, s[2:3]
	v_add_u32_e32 v21, -1, v101
	v_and_b32_e32 v22, 64, v101
	v_cmp_lt_i32_e32 vcc, v21, v22
	s_waitcnt lgkmcnt(0)
	v_add_u32_e32 v4, v20, v4
	v_cndmask_b32_e32 v21, v21, v101, vcc
	v_lshlrev_b32_e32 v21, 2, v21
	ds_bpermute_b32 v21, v21, v4
	ds_read_b32 v4, v5 offset:28
	v_cmp_eq_u32_e32 vcc, 0, v0
	s_and_saveexec_b64 s[2:3], vcc
	s_cbranch_execz .LBB2187_108
; %bb.107:
	v_mov_b32_e32 v22, 0
	v_mov_b32_e32 v5, 2
	s_waitcnt lgkmcnt(0)
	global_store_dwordx2 v22, v[4:5], s[34:35] offset:512 sc1
.LBB2187_108:
	s_or_b64 exec, exec, s[2:3]
	v_cmp_eq_u32_e64 s[2:3], 0, v101
	s_waitcnt lgkmcnt(0)
	s_barrier
	v_cndmask_b32_e64 v5, v21, v20, s[2:3]
	v_mov_b32_e32 v20, 0
	v_cndmask_b32_e64 v21, v5, 0, vcc
.LBB2187_109:
	v_add_u32_e32 v5, v21, v73
	v_add_u32_e32 v22, v5, v74
	;; [unrolled: 1-line block ×22, first 2 shown]
	v_sub_u32_e32 v21, v21, v20
	v_and_b32_e32 v72, 1, v72
	v_add_u32_e32 v87, v86, v94
	v_sub_u32_e32 v94, v40, v21
	v_cmp_eq_u32_e32 vcc, 1, v72
	v_sub_u32_e32 v5, v5, v20
	v_add_u32_e32 v88, v87, v95
	v_cndmask_b32_e32 v21, v94, v21, vcc
	v_lshlrev_b32_e32 v21, 1, v21
	ds_write_b16 v21, v18
	v_sub_u32_e32 v18, v40, v5
	v_and_b32_e32 v21, 1, v71
	v_add_u32_e32 v18, 1, v18
	v_cmp_eq_u32_e32 vcc, 1, v21
	v_and_b32_e32 v21, 1, v70
	v_add_u32_e32 v89, v88, v96
	v_cndmask_b32_e32 v5, v18, v5, vcc
	v_lshlrev_b32_e32 v5, 1, v5
	ds_write_b16 v5, v42
	v_sub_u32_e32 v5, v22, v20
	v_sub_u32_e32 v18, v40, v5
	v_add_u32_e32 v18, 2, v18
	v_cmp_eq_u32_e32 vcc, 1, v21
	v_add_u32_e32 v90, v89, v97
	v_add_u32_e32 v91, v90, v98
	v_cndmask_b32_e32 v5, v18, v5, vcc
	v_lshlrev_b32_e32 v5, 1, v5
	ds_write_b16 v5, v19
	v_sub_u32_e32 v5, v23, v20
	v_sub_u32_e32 v18, v40, v5
	v_and_b32_e32 v19, 1, v69
	v_add_u32_e32 v18, 3, v18
	v_cmp_eq_u32_e32 vcc, 1, v19
	v_and_b32_e32 v19, 1, v68
	v_add_u32_e32 v92, v91, v99
	v_cndmask_b32_e32 v5, v18, v5, vcc
	v_lshlrev_b32_e32 v5, 1, v5
	ds_write_b16 v5, v41
	v_sub_u32_e32 v5, v24, v20
	v_sub_u32_e32 v18, v40, v5
	v_add_u32_e32 v18, 4, v18
	v_cmp_eq_u32_e32 vcc, 1, v19
	v_add_u32_e32 v93, v92, v100
	v_mov_b32_e32 v21, 0
	v_cndmask_b32_e32 v5, v18, v5, vcc
	v_lshlrev_b32_e32 v5, 1, v5
	ds_write_b16 v5, v16
	v_sub_u32_e32 v5, v25, v20
	v_sub_u32_e32 v16, v40, v5
	v_and_b32_e32 v18, 1, v67
	v_add_u32_e32 v16, 5, v16
	v_cmp_eq_u32_e32 vcc, 1, v18
	v_and_b32_e32 v18, 1, v66
	s_load_dwordx4 s[0:3], s[0:1], 0x28
	v_cndmask_b32_e32 v5, v16, v5, vcc
	v_lshlrev_b32_e32 v5, 1, v5
	ds_write_b16 v5, v39
	v_sub_u32_e32 v5, v26, v20
	v_sub_u32_e32 v16, v40, v5
	v_add_u32_e32 v16, 6, v16
	v_cmp_eq_u32_e32 vcc, 1, v18
	v_or_b32_e32 v69, 0x200, v0
	v_or_b32_e32 v67, 0x400, v0
	v_cndmask_b32_e32 v5, v16, v5, vcc
	v_lshlrev_b32_e32 v5, 1, v5
	ds_write_b16 v5, v17
	v_sub_u32_e32 v5, v27, v20
	v_sub_u32_e32 v16, v40, v5
	v_and_b32_e32 v17, 1, v65
	v_add_u32_e32 v16, 7, v16
	v_cmp_eq_u32_e32 vcc, 1, v17
	v_and_b32_e32 v17, 1, v64
	v_or_b32_e32 v65, 0x600, v0
	v_cndmask_b32_e32 v5, v16, v5, vcc
	v_lshlrev_b32_e32 v5, 1, v5
	ds_write_b16 v5, v38
	v_sub_u32_e32 v5, v73, v20
	v_sub_u32_e32 v16, v40, v5
	v_add_u32_e32 v16, 8, v16
	v_cmp_eq_u32_e32 vcc, 1, v17
	v_or_b32_e32 v41, 0x1e00, v0
	v_or_b32_e32 v39, 0x2000, v0
	v_cndmask_b32_e32 v5, v16, v5, vcc
	v_lshlrev_b32_e32 v5, 1, v5
	ds_write_b16 v5, v14
	v_sub_u32_e32 v5, v74, v20
	v_sub_u32_e32 v14, v40, v5
	v_and_b32_e32 v16, 1, v63
	v_add_u32_e32 v14, 9, v14
	v_cmp_eq_u32_e32 vcc, 1, v16
	v_and_b32_e32 v16, 1, v62
	v_or_b32_e32 v63, 0x800, v0
	;; [unrolled: 19-line block ×7, first 2 shown]
	v_cndmask_b32_e32 v5, v10, v5, vcc
	v_lshlrev_b32_e32 v5, 1, v5
	ds_write_b16 v5, v32
	v_sub_u32_e32 v5, v85, v20
	v_sub_u32_e32 v10, v40, v5
	v_add_u32_e32 v10, 20, v10
	v_cmp_eq_u32_e32 vcc, 1, v11
	s_nop 1
	v_cndmask_b32_e32 v5, v10, v5, vcc
	v_lshlrev_b32_e32 v5, 1, v5
	ds_write_b16 v5, v8
	v_sub_u32_e32 v5, v86, v20
	v_sub_u32_e32 v8, v40, v5
	v_and_b32_e32 v10, 1, v51
	v_add_u32_e32 v8, 21, v8
	v_cmp_eq_u32_e32 vcc, 1, v10
	v_and_b32_e32 v10, 1, v50
	v_or_b32_e32 v51, 0x1400, v0
	v_cndmask_b32_e32 v5, v8, v5, vcc
	v_lshlrev_b32_e32 v5, 1, v5
	ds_write_b16 v5, v31
	v_sub_u32_e32 v5, v87, v20
	v_sub_u32_e32 v8, v40, v5
	v_add_u32_e32 v8, 22, v8
	v_cmp_eq_u32_e32 vcc, 1, v10
	v_lshl_add_u64 v[10:11], s[28:29], 0, v[20:21]
	v_or_b32_e32 v31, 0x2800, v0
	v_cndmask_b32_e32 v5, v8, v5, vcc
	v_lshlrev_b32_e32 v5, 1, v5
	ds_write_b16 v5, v9
	v_sub_u32_e32 v5, v88, v20
	v_sub_u32_e32 v8, v40, v5
	v_and_b32_e32 v9, 1, v49
	v_add_u32_e32 v8, 23, v8
	v_cmp_eq_u32_e32 vcc, 1, v9
	v_and_b32_e32 v9, 1, v48
	v_or_b32_e32 v49, 0x1600, v0
	v_cndmask_b32_e32 v5, v8, v5, vcc
	v_lshlrev_b32_e32 v5, 1, v5
	ds_write_b16 v5, v30
	v_sub_u32_e32 v5, v89, v20
	v_sub_u32_e32 v8, v40, v5
	v_add_u32_e32 v8, 24, v8
	v_cmp_eq_u32_e32 vcc, 1, v9
	s_nop 1
	v_cndmask_b32_e32 v5, v8, v5, vcc
	v_lshlrev_b32_e32 v5, 1, v5
	ds_write_b16 v5, v6
	v_sub_u32_e32 v5, v90, v20
	v_sub_u32_e32 v6, v40, v5
	v_and_b32_e32 v8, 1, v47
	v_add_u32_e32 v6, 25, v6
	v_cmp_eq_u32_e32 vcc, 1, v8
	v_and_b32_e32 v8, 1, v46
	v_or_b32_e32 v47, 0x1800, v0
	v_cndmask_b32_e32 v5, v6, v5, vcc
	v_lshlrev_b32_e32 v5, 1, v5
	ds_write_b16 v5, v29
	v_sub_u32_e32 v5, v91, v20
	v_sub_u32_e32 v6, v40, v5
	v_add_u32_e32 v6, 26, v6
	v_cmp_eq_u32_e32 vcc, 1, v8
	v_or_b32_e32 v29, 0x2a00, v0
	s_nop 0
	v_cndmask_b32_e32 v5, v6, v5, vcc
	v_lshlrev_b32_e32 v5, 1, v5
	ds_write_b16 v5, v7
	v_sub_u32_e32 v5, v92, v20
	v_sub_u32_e32 v6, v40, v5
	v_and_b32_e32 v7, 1, v45
	v_add_u32_e32 v6, 27, v6
	v_cmp_eq_u32_e32 vcc, 1, v7
	v_and_b32_e32 v7, 1, v43
	v_or_b32_e32 v45, 0x1a00, v0
	v_cndmask_b32_e32 v5, v6, v5, vcc
	v_lshlrev_b32_e32 v5, 1, v5
	ds_write_b16 v5, v28
	v_sub_u32_e32 v5, v93, v20
	v_sub_u32_e32 v6, v40, v5
	v_add_u32_e32 v6, 28, v6
	v_cmp_eq_u32_e32 vcc, 1, v7
	s_nop 1
	v_cndmask_b32_e32 v5, v6, v5, vcc
	v_lshlrev_b32_e32 v5, 1, v5
	ds_write_b16 v5, v3
	v_sub_u32_sdwa v3, v43, v20 dst_sel:DWORD dst_unused:UNUSED_PAD src0_sel:BYTE_0 src1_sel:DWORD
	v_add_u32_e32 v3, v93, v3
	v_sub_u32_e32 v5, v40, v3
	v_and_b32_e32 v6, 1, v44
	v_add_u32_e32 v5, 29, v5
	v_cmp_eq_u32_e32 vcc, 1, v6
	v_or_b32_e32 v43, 0x1c00, v0
	s_nop 0
	v_cndmask_b32_e32 v3, v5, v3, vcc
	v_lshlrev_b32_e32 v3, 1, v3
	ds_write_b16 v3, v1
	s_waitcnt lgkmcnt(0)
	s_barrier
	ds_read_u16 v71, v2
	ds_read_u16 v70, v2 offset:1024
	ds_read_u16 v68, v2 offset:2048
	;; [unrolled: 1-line block ×29, first 2 shown]
	v_mov_b32_e32 v5, v21
	v_lshl_add_u64 v[6:7], v[10:11], 0, v[4:5]
	v_mov_b32_e32 v3, s23
	v_sub_co_u32_e32 v8, vcc, s22, v6
	v_lshlrev_b64 v[10:11], 1, v[10:11]
	s_nop 0
	v_subb_co_u32_e32 v9, vcc, v3, v7, vcc
	v_lshlrev_b64 v[8:9], 1, v[8:9]
	v_lshl_add_u64 v[8:9], s[2:3], 0, v[8:9]
	v_or_b32_e32 v1, 0x3a00, v0
	v_lshl_add_u64 v[8:9], v[8:9], 0, s[30:31]
	s_and_b64 vcc, exec, s[20:21]
	v_lshl_add_u64 v[10:11], s[0:1], 0, v[10:11]
	s_cbranch_vccnz .LBB2187_111
; %bb.110:
	v_cmp_lt_u32_e32 vcc, v0, v4
	v_mov_b32_e32 v3, v21
	v_lshlrev_b32_e32 v20, 1, v63
	v_cndmask_b32_e32 v73, v9, v11, vcc
	v_cndmask_b32_e32 v72, v8, v10, vcc
	v_lshl_add_u64 v[72:73], v[72:73], 0, v[2:3]
	v_cmp_lt_u32_e32 vcc, v69, v4
	s_waitcnt lgkmcnt(14)
	global_store_short v[72:73], v71, off
	v_cndmask_b32_e32 v73, v9, v11, vcc
	v_cndmask_b32_e32 v72, v8, v10, vcc
	v_lshl_add_u64 v[72:73], v[72:73], 0, v[2:3]
	v_cmp_lt_u32_e32 vcc, v67, v4
	global_store_short v[72:73], v70, off offset:1024
	s_mov_b64 s[0:1], -1
	v_cndmask_b32_e32 v73, v9, v11, vcc
	v_cndmask_b32_e32 v72, v8, v10, vcc
	v_lshl_add_u64 v[72:73], v[72:73], 0, v[2:3]
	v_cmp_lt_u32_e32 vcc, v65, v4
	global_store_short v[72:73], v68, off offset:2048
	s_nop 0
	v_cndmask_b32_e32 v73, v9, v11, vcc
	v_cndmask_b32_e32 v72, v8, v10, vcc
	v_lshl_add_u64 v[72:73], v[72:73], 0, v[2:3]
	v_cmp_lt_u32_e32 vcc, v63, v4
	global_store_short v[72:73], v66, off offset:3072
	s_nop 0
	v_cndmask_b32_e32 v73, v9, v11, vcc
	v_cndmask_b32_e32 v72, v8, v10, vcc
	v_lshl_add_u64 v[72:73], v[72:73], 0, v[20:21]
	v_cmp_lt_u32_e32 vcc, v61, v4
	global_store_short v[72:73], v64, off
	v_lshlrev_b32_e32 v20, 1, v61
	v_cndmask_b32_e32 v73, v9, v11, vcc
	v_cndmask_b32_e32 v72, v8, v10, vcc
	v_lshl_add_u64 v[72:73], v[72:73], 0, v[20:21]
	v_cmp_lt_u32_e32 vcc, v59, v4
	global_store_short v[72:73], v62, off
	v_lshlrev_b32_e32 v20, 1, v59
	;; [unrolled: 6-line block ×12, first 2 shown]
	v_cndmask_b32_e32 v73, v9, v11, vcc
	v_cndmask_b32_e32 v72, v8, v10, vcc
	v_lshl_add_u64 v[72:73], v[72:73], 0, v[20:21]
	v_cmp_lt_u32_e32 vcc, v37, v4
	s_waitcnt lgkmcnt(13)
	global_store_short v[72:73], v40, off
	v_lshlrev_b32_e32 v20, 1, v37
	v_cndmask_b32_e32 v73, v9, v11, vcc
	v_cndmask_b32_e32 v72, v8, v10, vcc
	v_lshl_add_u64 v[72:73], v[72:73], 0, v[20:21]
	v_cmp_lt_u32_e32 vcc, v35, v4
	s_waitcnt lgkmcnt(12)
	global_store_short v[72:73], v38, off
	v_lshlrev_b32_e32 v20, 1, v35
	;; [unrolled: 7-line block ×12, first 2 shown]
	v_cndmask_b32_e32 v73, v9, v11, vcc
	v_cndmask_b32_e32 v72, v8, v10, vcc
	v_lshl_add_u64 v[20:21], v[72:73], 0, v[20:21]
	s_waitcnt lgkmcnt(1)
	global_store_short v[20:21], v14, off
	s_cbranch_execz .LBB2187_112
	s_branch .LBB2187_143
.LBB2187_111:
	s_mov_b64 s[0:1], 0
.LBB2187_112:
	v_cmp_gt_u32_e32 vcc, s33, v0
	s_and_saveexec_b64 s[0:1], vcc
	s_cbranch_execnz .LBB2187_148
; %bb.113:
	s_or_b64 exec, exec, s[0:1]
	v_cmp_gt_u32_e32 vcc, s33, v69
	s_and_saveexec_b64 s[0:1], vcc
	s_cbranch_execnz .LBB2187_149
.LBB2187_114:
	s_or_b64 exec, exec, s[0:1]
	v_cmp_gt_u32_e32 vcc, s33, v67
	s_and_saveexec_b64 s[0:1], vcc
	s_cbranch_execnz .LBB2187_150
.LBB2187_115:
	s_or_b64 exec, exec, s[0:1]
	v_cmp_gt_u32_e32 vcc, s33, v65
	s_and_saveexec_b64 s[0:1], vcc
	s_cbranch_execnz .LBB2187_151
.LBB2187_116:
	s_or_b64 exec, exec, s[0:1]
	v_cmp_gt_u32_e32 vcc, s33, v63
	s_and_saveexec_b64 s[0:1], vcc
	s_cbranch_execnz .LBB2187_152
.LBB2187_117:
	s_or_b64 exec, exec, s[0:1]
	v_cmp_gt_u32_e32 vcc, s33, v61
	s_and_saveexec_b64 s[0:1], vcc
	s_cbranch_execnz .LBB2187_153
.LBB2187_118:
	s_or_b64 exec, exec, s[0:1]
	v_cmp_gt_u32_e32 vcc, s33, v59
	s_and_saveexec_b64 s[0:1], vcc
	s_cbranch_execnz .LBB2187_154
.LBB2187_119:
	s_or_b64 exec, exec, s[0:1]
	v_cmp_gt_u32_e32 vcc, s33, v57
	s_and_saveexec_b64 s[0:1], vcc
	s_cbranch_execnz .LBB2187_155
.LBB2187_120:
	s_or_b64 exec, exec, s[0:1]
	v_cmp_gt_u32_e32 vcc, s33, v55
	s_and_saveexec_b64 s[0:1], vcc
	s_cbranch_execnz .LBB2187_156
.LBB2187_121:
	s_or_b64 exec, exec, s[0:1]
	v_cmp_gt_u32_e32 vcc, s33, v53
	s_and_saveexec_b64 s[0:1], vcc
	s_cbranch_execnz .LBB2187_157
.LBB2187_122:
	s_or_b64 exec, exec, s[0:1]
	v_cmp_gt_u32_e32 vcc, s33, v51
	s_and_saveexec_b64 s[0:1], vcc
	s_cbranch_execnz .LBB2187_158
.LBB2187_123:
	s_or_b64 exec, exec, s[0:1]
	v_cmp_gt_u32_e32 vcc, s33, v49
	s_and_saveexec_b64 s[0:1], vcc
	s_cbranch_execnz .LBB2187_159
.LBB2187_124:
	s_or_b64 exec, exec, s[0:1]
	v_cmp_gt_u32_e32 vcc, s33, v47
	s_and_saveexec_b64 s[0:1], vcc
	s_cbranch_execnz .LBB2187_160
.LBB2187_125:
	s_or_b64 exec, exec, s[0:1]
	v_cmp_gt_u32_e32 vcc, s33, v45
	s_and_saveexec_b64 s[0:1], vcc
	s_cbranch_execnz .LBB2187_161
.LBB2187_126:
	s_or_b64 exec, exec, s[0:1]
	v_cmp_gt_u32_e32 vcc, s33, v43
	s_and_saveexec_b64 s[0:1], vcc
	s_cbranch_execnz .LBB2187_162
.LBB2187_127:
	s_or_b64 exec, exec, s[0:1]
	v_cmp_gt_u32_e32 vcc, s33, v41
	s_and_saveexec_b64 s[0:1], vcc
	s_cbranch_execnz .LBB2187_163
.LBB2187_128:
	s_or_b64 exec, exec, s[0:1]
	v_cmp_gt_u32_e32 vcc, s33, v39
	s_and_saveexec_b64 s[0:1], vcc
	s_cbranch_execnz .LBB2187_164
.LBB2187_129:
	s_or_b64 exec, exec, s[0:1]
	v_cmp_gt_u32_e32 vcc, s33, v37
	s_and_saveexec_b64 s[0:1], vcc
	s_cbranch_execnz .LBB2187_165
.LBB2187_130:
	s_or_b64 exec, exec, s[0:1]
	v_cmp_gt_u32_e32 vcc, s33, v35
	s_and_saveexec_b64 s[0:1], vcc
	s_cbranch_execnz .LBB2187_166
.LBB2187_131:
	s_or_b64 exec, exec, s[0:1]
	v_cmp_gt_u32_e32 vcc, s33, v33
	s_and_saveexec_b64 s[0:1], vcc
	s_cbranch_execnz .LBB2187_167
.LBB2187_132:
	s_or_b64 exec, exec, s[0:1]
	v_cmp_gt_u32_e32 vcc, s33, v31
	s_and_saveexec_b64 s[0:1], vcc
	s_cbranch_execnz .LBB2187_168
.LBB2187_133:
	s_or_b64 exec, exec, s[0:1]
	v_cmp_gt_u32_e32 vcc, s33, v29
	s_and_saveexec_b64 s[0:1], vcc
	s_cbranch_execnz .LBB2187_169
.LBB2187_134:
	s_or_b64 exec, exec, s[0:1]
	v_cmp_gt_u32_e32 vcc, s33, v27
	s_and_saveexec_b64 s[0:1], vcc
	s_cbranch_execnz .LBB2187_170
.LBB2187_135:
	s_or_b64 exec, exec, s[0:1]
	v_cmp_gt_u32_e32 vcc, s33, v25
	s_and_saveexec_b64 s[0:1], vcc
	s_cbranch_execnz .LBB2187_171
.LBB2187_136:
	s_or_b64 exec, exec, s[0:1]
	v_cmp_gt_u32_e32 vcc, s33, v23
	s_and_saveexec_b64 s[0:1], vcc
	s_cbranch_execnz .LBB2187_172
.LBB2187_137:
	s_or_b64 exec, exec, s[0:1]
	v_cmp_gt_u32_e32 vcc, s33, v19
	s_and_saveexec_b64 s[0:1], vcc
	s_cbranch_execnz .LBB2187_173
.LBB2187_138:
	s_or_b64 exec, exec, s[0:1]
	v_cmp_gt_u32_e32 vcc, s33, v17
	s_and_saveexec_b64 s[0:1], vcc
	s_cbranch_execnz .LBB2187_174
.LBB2187_139:
	s_or_b64 exec, exec, s[0:1]
	v_cmp_gt_u32_e32 vcc, s33, v15
	s_and_saveexec_b64 s[0:1], vcc
	s_cbranch_execnz .LBB2187_175
.LBB2187_140:
	s_or_b64 exec, exec, s[0:1]
	v_cmp_gt_u32_e32 vcc, s33, v13
	s_and_saveexec_b64 s[0:1], vcc
	s_cbranch_execz .LBB2187_142
.LBB2187_141:
	v_cmp_lt_u32_e32 vcc, v13, v4
	s_waitcnt lgkmcnt(2)
	v_lshlrev_b32_e32 v16, 1, v13
	v_mov_b32_e32 v17, 0
	v_cndmask_b32_e32 v3, v9, v11, vcc
	v_cndmask_b32_e32 v2, v8, v10, vcc
	v_lshl_add_u64 v[2:3], v[2:3], 0, v[16:17]
	s_waitcnt lgkmcnt(1)
	global_store_short v[2:3], v14, off
.LBB2187_142:
	s_or_b64 exec, exec, s[0:1]
	v_cmp_gt_u32_e64 s[0:1], s33, v1
.LBB2187_143:
	s_and_saveexec_b64 s[2:3], s[0:1]
	s_cbranch_execz .LBB2187_145
; %bb.144:
	v_cmp_lt_u32_e32 vcc, v1, v4
	v_lshlrev_b32_e32 v4, 1, v1
	v_mov_b32_e32 v5, 0
	v_cndmask_b32_e32 v3, v9, v11, vcc
	v_cndmask_b32_e32 v2, v8, v10, vcc
	v_lshl_add_u64 v[2:3], v[2:3], 0, v[4:5]
	s_waitcnt lgkmcnt(0)
	global_store_short v[2:3], v12, off
.LBB2187_145:
	s_or_b64 exec, exec, s[2:3]
	v_cmp_eq_u32_e32 vcc, 0, v0
	s_and_b64 s[0:1], vcc, s[26:27]
	s_and_saveexec_b64 s[2:3], s[0:1]
	s_cbranch_execz .LBB2187_147
; %bb.146:
	v_mov_b32_e32 v0, 0
	global_store_dwordx2 v0, v[6:7], s[24:25]
.LBB2187_147:
	s_endpgm
.LBB2187_148:
	v_cmp_lt_u32_e32 vcc, v0, v4
	v_mov_b32_e32 v3, 0
	s_nop 0
	v_cndmask_b32_e32 v21, v9, v11, vcc
	v_cndmask_b32_e32 v20, v8, v10, vcc
	v_lshl_add_u64 v[20:21], v[20:21], 0, v[2:3]
	s_waitcnt lgkmcnt(14)
	global_store_short v[20:21], v71, off
	s_or_b64 exec, exec, s[0:1]
	v_cmp_gt_u32_e32 vcc, s33, v69
	s_and_saveexec_b64 s[0:1], vcc
	s_cbranch_execz .LBB2187_114
.LBB2187_149:
	v_cmp_lt_u32_e32 vcc, v69, v4
	v_mov_b32_e32 v3, 0
	s_nop 0
	v_cndmask_b32_e32 v21, v9, v11, vcc
	v_cndmask_b32_e32 v20, v8, v10, vcc
	v_lshl_add_u64 v[20:21], v[20:21], 0, v[2:3]
	s_waitcnt lgkmcnt(14)
	global_store_short v[20:21], v70, off offset:1024
	s_or_b64 exec, exec, s[0:1]
	v_cmp_gt_u32_e32 vcc, s33, v67
	s_and_saveexec_b64 s[0:1], vcc
	s_cbranch_execz .LBB2187_115
.LBB2187_150:
	v_cmp_lt_u32_e32 vcc, v67, v4
	v_mov_b32_e32 v3, 0
	s_nop 0
	v_cndmask_b32_e32 v21, v9, v11, vcc
	v_cndmask_b32_e32 v20, v8, v10, vcc
	v_lshl_add_u64 v[20:21], v[20:21], 0, v[2:3]
	s_waitcnt lgkmcnt(14)
	global_store_short v[20:21], v68, off offset:2048
	s_or_b64 exec, exec, s[0:1]
	v_cmp_gt_u32_e32 vcc, s33, v65
	s_and_saveexec_b64 s[0:1], vcc
	s_cbranch_execz .LBB2187_116
.LBB2187_151:
	v_cmp_lt_u32_e32 vcc, v65, v4
	v_mov_b32_e32 v3, 0
	s_nop 0
	v_cndmask_b32_e32 v21, v9, v11, vcc
	v_cndmask_b32_e32 v20, v8, v10, vcc
	v_lshl_add_u64 v[2:3], v[20:21], 0, v[2:3]
	s_waitcnt lgkmcnt(14)
	global_store_short v[2:3], v66, off offset:3072
	s_or_b64 exec, exec, s[0:1]
	v_cmp_gt_u32_e32 vcc, s33, v63
	s_and_saveexec_b64 s[0:1], vcc
	s_cbranch_execz .LBB2187_117
.LBB2187_152:
	v_cmp_lt_u32_e32 vcc, v63, v4
	v_lshlrev_b32_e32 v20, 1, v63
	v_mov_b32_e32 v21, 0
	v_cndmask_b32_e32 v3, v9, v11, vcc
	v_cndmask_b32_e32 v2, v8, v10, vcc
	v_lshl_add_u64 v[2:3], v[2:3], 0, v[20:21]
	s_waitcnt lgkmcnt(14)
	global_store_short v[2:3], v64, off
	s_or_b64 exec, exec, s[0:1]
	v_cmp_gt_u32_e32 vcc, s33, v61
	s_and_saveexec_b64 s[0:1], vcc
	s_cbranch_execz .LBB2187_118
.LBB2187_153:
	v_cmp_lt_u32_e32 vcc, v61, v4
	v_lshlrev_b32_e32 v20, 1, v61
	v_mov_b32_e32 v21, 0
	v_cndmask_b32_e32 v3, v9, v11, vcc
	v_cndmask_b32_e32 v2, v8, v10, vcc
	v_lshl_add_u64 v[2:3], v[2:3], 0, v[20:21]
	s_waitcnt lgkmcnt(14)
	global_store_short v[2:3], v62, off
	s_or_b64 exec, exec, s[0:1]
	v_cmp_gt_u32_e32 vcc, s33, v59
	s_and_saveexec_b64 s[0:1], vcc
	s_cbranch_execz .LBB2187_119
.LBB2187_154:
	v_cmp_lt_u32_e32 vcc, v59, v4
	v_lshlrev_b32_e32 v20, 1, v59
	v_mov_b32_e32 v21, 0
	v_cndmask_b32_e32 v3, v9, v11, vcc
	v_cndmask_b32_e32 v2, v8, v10, vcc
	v_lshl_add_u64 v[2:3], v[2:3], 0, v[20:21]
	s_waitcnt lgkmcnt(14)
	global_store_short v[2:3], v60, off
	s_or_b64 exec, exec, s[0:1]
	v_cmp_gt_u32_e32 vcc, s33, v57
	s_and_saveexec_b64 s[0:1], vcc
	s_cbranch_execz .LBB2187_120
.LBB2187_155:
	v_cmp_lt_u32_e32 vcc, v57, v4
	v_lshlrev_b32_e32 v20, 1, v57
	v_mov_b32_e32 v21, 0
	v_cndmask_b32_e32 v3, v9, v11, vcc
	v_cndmask_b32_e32 v2, v8, v10, vcc
	v_lshl_add_u64 v[2:3], v[2:3], 0, v[20:21]
	s_waitcnt lgkmcnt(14)
	global_store_short v[2:3], v58, off
	s_or_b64 exec, exec, s[0:1]
	v_cmp_gt_u32_e32 vcc, s33, v55
	s_and_saveexec_b64 s[0:1], vcc
	s_cbranch_execz .LBB2187_121
.LBB2187_156:
	v_cmp_lt_u32_e32 vcc, v55, v4
	v_lshlrev_b32_e32 v20, 1, v55
	v_mov_b32_e32 v21, 0
	v_cndmask_b32_e32 v3, v9, v11, vcc
	v_cndmask_b32_e32 v2, v8, v10, vcc
	v_lshl_add_u64 v[2:3], v[2:3], 0, v[20:21]
	s_waitcnt lgkmcnt(14)
	global_store_short v[2:3], v56, off
	s_or_b64 exec, exec, s[0:1]
	v_cmp_gt_u32_e32 vcc, s33, v53
	s_and_saveexec_b64 s[0:1], vcc
	s_cbranch_execz .LBB2187_122
.LBB2187_157:
	v_cmp_lt_u32_e32 vcc, v53, v4
	v_lshlrev_b32_e32 v20, 1, v53
	v_mov_b32_e32 v21, 0
	v_cndmask_b32_e32 v3, v9, v11, vcc
	v_cndmask_b32_e32 v2, v8, v10, vcc
	v_lshl_add_u64 v[2:3], v[2:3], 0, v[20:21]
	s_waitcnt lgkmcnt(14)
	global_store_short v[2:3], v54, off
	s_or_b64 exec, exec, s[0:1]
	v_cmp_gt_u32_e32 vcc, s33, v51
	s_and_saveexec_b64 s[0:1], vcc
	s_cbranch_execz .LBB2187_123
.LBB2187_158:
	v_cmp_lt_u32_e32 vcc, v51, v4
	v_lshlrev_b32_e32 v20, 1, v51
	v_mov_b32_e32 v21, 0
	v_cndmask_b32_e32 v3, v9, v11, vcc
	v_cndmask_b32_e32 v2, v8, v10, vcc
	v_lshl_add_u64 v[2:3], v[2:3], 0, v[20:21]
	s_waitcnt lgkmcnt(14)
	global_store_short v[2:3], v52, off
	s_or_b64 exec, exec, s[0:1]
	v_cmp_gt_u32_e32 vcc, s33, v49
	s_and_saveexec_b64 s[0:1], vcc
	s_cbranch_execz .LBB2187_124
.LBB2187_159:
	v_cmp_lt_u32_e32 vcc, v49, v4
	v_lshlrev_b32_e32 v20, 1, v49
	v_mov_b32_e32 v21, 0
	v_cndmask_b32_e32 v3, v9, v11, vcc
	v_cndmask_b32_e32 v2, v8, v10, vcc
	v_lshl_add_u64 v[2:3], v[2:3], 0, v[20:21]
	s_waitcnt lgkmcnt(14)
	global_store_short v[2:3], v50, off
	s_or_b64 exec, exec, s[0:1]
	v_cmp_gt_u32_e32 vcc, s33, v47
	s_and_saveexec_b64 s[0:1], vcc
	s_cbranch_execz .LBB2187_125
.LBB2187_160:
	v_cmp_lt_u32_e32 vcc, v47, v4
	v_lshlrev_b32_e32 v20, 1, v47
	v_mov_b32_e32 v21, 0
	v_cndmask_b32_e32 v3, v9, v11, vcc
	v_cndmask_b32_e32 v2, v8, v10, vcc
	v_lshl_add_u64 v[2:3], v[2:3], 0, v[20:21]
	s_waitcnt lgkmcnt(14)
	global_store_short v[2:3], v48, off
	s_or_b64 exec, exec, s[0:1]
	v_cmp_gt_u32_e32 vcc, s33, v45
	s_and_saveexec_b64 s[0:1], vcc
	s_cbranch_execz .LBB2187_126
.LBB2187_161:
	v_cmp_lt_u32_e32 vcc, v45, v4
	v_lshlrev_b32_e32 v20, 1, v45
	v_mov_b32_e32 v21, 0
	v_cndmask_b32_e32 v3, v9, v11, vcc
	v_cndmask_b32_e32 v2, v8, v10, vcc
	v_lshl_add_u64 v[2:3], v[2:3], 0, v[20:21]
	s_waitcnt lgkmcnt(14)
	global_store_short v[2:3], v46, off
	s_or_b64 exec, exec, s[0:1]
	v_cmp_gt_u32_e32 vcc, s33, v43
	s_and_saveexec_b64 s[0:1], vcc
	s_cbranch_execz .LBB2187_127
.LBB2187_162:
	v_cmp_lt_u32_e32 vcc, v43, v4
	v_lshlrev_b32_e32 v20, 1, v43
	v_mov_b32_e32 v21, 0
	v_cndmask_b32_e32 v3, v9, v11, vcc
	v_cndmask_b32_e32 v2, v8, v10, vcc
	v_lshl_add_u64 v[2:3], v[2:3], 0, v[20:21]
	s_waitcnt lgkmcnt(14)
	global_store_short v[2:3], v44, off
	s_or_b64 exec, exec, s[0:1]
	v_cmp_gt_u32_e32 vcc, s33, v41
	s_and_saveexec_b64 s[0:1], vcc
	s_cbranch_execz .LBB2187_128
.LBB2187_163:
	v_cmp_lt_u32_e32 vcc, v41, v4
	v_lshlrev_b32_e32 v20, 1, v41
	v_mov_b32_e32 v21, 0
	v_cndmask_b32_e32 v3, v9, v11, vcc
	v_cndmask_b32_e32 v2, v8, v10, vcc
	v_lshl_add_u64 v[2:3], v[2:3], 0, v[20:21]
	s_waitcnt lgkmcnt(14)
	global_store_short v[2:3], v42, off
	s_or_b64 exec, exec, s[0:1]
	v_cmp_gt_u32_e32 vcc, s33, v39
	s_and_saveexec_b64 s[0:1], vcc
	s_cbranch_execz .LBB2187_129
.LBB2187_164:
	v_cmp_lt_u32_e32 vcc, v39, v4
	v_lshlrev_b32_e32 v20, 1, v39
	v_mov_b32_e32 v21, 0
	v_cndmask_b32_e32 v3, v9, v11, vcc
	v_cndmask_b32_e32 v2, v8, v10, vcc
	v_lshl_add_u64 v[2:3], v[2:3], 0, v[20:21]
	s_waitcnt lgkmcnt(13)
	global_store_short v[2:3], v40, off
	s_or_b64 exec, exec, s[0:1]
	v_cmp_gt_u32_e32 vcc, s33, v37
	s_and_saveexec_b64 s[0:1], vcc
	s_cbranch_execz .LBB2187_130
.LBB2187_165:
	v_cmp_lt_u32_e32 vcc, v37, v4
	v_lshlrev_b32_e32 v20, 1, v37
	v_mov_b32_e32 v21, 0
	v_cndmask_b32_e32 v3, v9, v11, vcc
	v_cndmask_b32_e32 v2, v8, v10, vcc
	v_lshl_add_u64 v[2:3], v[2:3], 0, v[20:21]
	s_waitcnt lgkmcnt(12)
	global_store_short v[2:3], v38, off
	s_or_b64 exec, exec, s[0:1]
	v_cmp_gt_u32_e32 vcc, s33, v35
	s_and_saveexec_b64 s[0:1], vcc
	s_cbranch_execz .LBB2187_131
.LBB2187_166:
	v_cmp_lt_u32_e32 vcc, v35, v4
	v_lshlrev_b32_e32 v20, 1, v35
	v_mov_b32_e32 v21, 0
	v_cndmask_b32_e32 v3, v9, v11, vcc
	v_cndmask_b32_e32 v2, v8, v10, vcc
	v_lshl_add_u64 v[2:3], v[2:3], 0, v[20:21]
	s_waitcnt lgkmcnt(11)
	global_store_short v[2:3], v36, off
	s_or_b64 exec, exec, s[0:1]
	v_cmp_gt_u32_e32 vcc, s33, v33
	s_and_saveexec_b64 s[0:1], vcc
	s_cbranch_execz .LBB2187_132
.LBB2187_167:
	v_cmp_lt_u32_e32 vcc, v33, v4
	v_lshlrev_b32_e32 v20, 1, v33
	v_mov_b32_e32 v21, 0
	v_cndmask_b32_e32 v3, v9, v11, vcc
	v_cndmask_b32_e32 v2, v8, v10, vcc
	v_lshl_add_u64 v[2:3], v[2:3], 0, v[20:21]
	s_waitcnt lgkmcnt(10)
	global_store_short v[2:3], v34, off
	s_or_b64 exec, exec, s[0:1]
	v_cmp_gt_u32_e32 vcc, s33, v31
	s_and_saveexec_b64 s[0:1], vcc
	s_cbranch_execz .LBB2187_133
.LBB2187_168:
	v_cmp_lt_u32_e32 vcc, v31, v4
	v_lshlrev_b32_e32 v20, 1, v31
	v_mov_b32_e32 v21, 0
	v_cndmask_b32_e32 v3, v9, v11, vcc
	v_cndmask_b32_e32 v2, v8, v10, vcc
	v_lshl_add_u64 v[2:3], v[2:3], 0, v[20:21]
	s_waitcnt lgkmcnt(9)
	global_store_short v[2:3], v32, off
	s_or_b64 exec, exec, s[0:1]
	v_cmp_gt_u32_e32 vcc, s33, v29
	s_and_saveexec_b64 s[0:1], vcc
	s_cbranch_execz .LBB2187_134
.LBB2187_169:
	v_cmp_lt_u32_e32 vcc, v29, v4
	v_lshlrev_b32_e32 v20, 1, v29
	v_mov_b32_e32 v21, 0
	v_cndmask_b32_e32 v3, v9, v11, vcc
	v_cndmask_b32_e32 v2, v8, v10, vcc
	v_lshl_add_u64 v[2:3], v[2:3], 0, v[20:21]
	s_waitcnt lgkmcnt(8)
	global_store_short v[2:3], v30, off
	s_or_b64 exec, exec, s[0:1]
	v_cmp_gt_u32_e32 vcc, s33, v27
	s_and_saveexec_b64 s[0:1], vcc
	s_cbranch_execz .LBB2187_135
.LBB2187_170:
	v_cmp_lt_u32_e32 vcc, v27, v4
	v_lshlrev_b32_e32 v20, 1, v27
	v_mov_b32_e32 v21, 0
	v_cndmask_b32_e32 v3, v9, v11, vcc
	v_cndmask_b32_e32 v2, v8, v10, vcc
	v_lshl_add_u64 v[2:3], v[2:3], 0, v[20:21]
	s_waitcnt lgkmcnt(7)
	global_store_short v[2:3], v28, off
	s_or_b64 exec, exec, s[0:1]
	v_cmp_gt_u32_e32 vcc, s33, v25
	s_and_saveexec_b64 s[0:1], vcc
	s_cbranch_execz .LBB2187_136
.LBB2187_171:
	v_cmp_lt_u32_e32 vcc, v25, v4
	v_lshlrev_b32_e32 v20, 1, v25
	v_mov_b32_e32 v21, 0
	v_cndmask_b32_e32 v3, v9, v11, vcc
	v_cndmask_b32_e32 v2, v8, v10, vcc
	v_lshl_add_u64 v[2:3], v[2:3], 0, v[20:21]
	s_waitcnt lgkmcnt(6)
	global_store_short v[2:3], v26, off
	s_or_b64 exec, exec, s[0:1]
	v_cmp_gt_u32_e32 vcc, s33, v23
	s_and_saveexec_b64 s[0:1], vcc
	s_cbranch_execz .LBB2187_137
.LBB2187_172:
	v_cmp_lt_u32_e32 vcc, v23, v4
	v_lshlrev_b32_e32 v20, 1, v23
	v_mov_b32_e32 v21, 0
	v_cndmask_b32_e32 v3, v9, v11, vcc
	v_cndmask_b32_e32 v2, v8, v10, vcc
	v_lshl_add_u64 v[2:3], v[2:3], 0, v[20:21]
	s_waitcnt lgkmcnt(5)
	global_store_short v[2:3], v24, off
	s_or_b64 exec, exec, s[0:1]
	v_cmp_gt_u32_e32 vcc, s33, v19
	s_and_saveexec_b64 s[0:1], vcc
	s_cbranch_execz .LBB2187_138
.LBB2187_173:
	v_cmp_lt_u32_e32 vcc, v19, v4
	v_lshlrev_b32_e32 v20, 1, v19
	v_mov_b32_e32 v21, 0
	v_cndmask_b32_e32 v3, v9, v11, vcc
	v_cndmask_b32_e32 v2, v8, v10, vcc
	v_lshl_add_u64 v[2:3], v[2:3], 0, v[20:21]
	s_waitcnt lgkmcnt(4)
	global_store_short v[2:3], v22, off
	s_or_b64 exec, exec, s[0:1]
	v_cmp_gt_u32_e32 vcc, s33, v17
	s_and_saveexec_b64 s[0:1], vcc
	s_cbranch_execz .LBB2187_139
.LBB2187_174:
	v_cmp_lt_u32_e32 vcc, v17, v4
	v_lshlrev_b32_e32 v20, 1, v17
	v_mov_b32_e32 v21, 0
	v_cndmask_b32_e32 v3, v9, v11, vcc
	v_cndmask_b32_e32 v2, v8, v10, vcc
	v_lshl_add_u64 v[2:3], v[2:3], 0, v[20:21]
	s_waitcnt lgkmcnt(3)
	global_store_short v[2:3], v18, off
	s_or_b64 exec, exec, s[0:1]
	v_cmp_gt_u32_e32 vcc, s33, v15
	s_and_saveexec_b64 s[0:1], vcc
	s_cbranch_execz .LBB2187_140
.LBB2187_175:
	v_cmp_lt_u32_e32 vcc, v15, v4
	s_waitcnt lgkmcnt(3)
	v_lshlrev_b32_e32 v18, 1, v15
	v_mov_b32_e32 v19, 0
	v_cndmask_b32_e32 v3, v9, v11, vcc
	v_cndmask_b32_e32 v2, v8, v10, vcc
	v_lshl_add_u64 v[2:3], v[2:3], 0, v[18:19]
	s_waitcnt lgkmcnt(2)
	global_store_short v[2:3], v16, off
	s_or_b64 exec, exec, s[0:1]
	v_cmp_gt_u32_e32 vcc, s33, v13
	s_and_saveexec_b64 s[0:1], vcc
	s_cbranch_execnz .LBB2187_141
	s_branch .LBB2187_142
	.section	.rodata,"a",@progbits
	.p2align	6, 0x0
	.amdhsa_kernel _ZN7rocprim17ROCPRIM_400000_NS6detail17trampoline_kernelINS0_14default_configENS1_25partition_config_selectorILNS1_17partition_subalgoE0EtNS0_10empty_typeEbEEZZNS1_14partition_implILS5_0ELb0ES3_jN6thrust23THRUST_200600_302600_NS6detail15normal_iteratorINSA_10device_ptrItEEEEPS6_SG_NS0_5tupleIJSF_SF_EEENSH_IJSG_SG_EEES6_PlJ7is_evenItEEEE10hipError_tPvRmT3_T4_T5_T6_T7_T9_mT8_P12ihipStream_tbDpT10_ENKUlT_T0_E_clISt17integral_constantIbLb1EES15_IbLb0EEEEDaS11_S12_EUlS11_E_NS1_11comp_targetILNS1_3genE5ELNS1_11target_archE942ELNS1_3gpuE9ELNS1_3repE0EEENS1_30default_config_static_selectorELNS0_4arch9wavefront6targetE1EEEvT1_
		.amdhsa_group_segment_fixed_size 30728
		.amdhsa_private_segment_fixed_size 0
		.amdhsa_kernarg_size 120
		.amdhsa_user_sgpr_count 2
		.amdhsa_user_sgpr_dispatch_ptr 0
		.amdhsa_user_sgpr_queue_ptr 0
		.amdhsa_user_sgpr_kernarg_segment_ptr 1
		.amdhsa_user_sgpr_dispatch_id 0
		.amdhsa_user_sgpr_kernarg_preload_length 0
		.amdhsa_user_sgpr_kernarg_preload_offset 0
		.amdhsa_user_sgpr_private_segment_size 0
		.amdhsa_uses_dynamic_stack 0
		.amdhsa_enable_private_segment 0
		.amdhsa_system_sgpr_workgroup_id_x 1
		.amdhsa_system_sgpr_workgroup_id_y 0
		.amdhsa_system_sgpr_workgroup_id_z 0
		.amdhsa_system_sgpr_workgroup_info 0
		.amdhsa_system_vgpr_workitem_id 0
		.amdhsa_next_free_vgpr 120
		.amdhsa_next_free_sgpr 44
		.amdhsa_accum_offset 120
		.amdhsa_reserve_vcc 1
		.amdhsa_float_round_mode_32 0
		.amdhsa_float_round_mode_16_64 0
		.amdhsa_float_denorm_mode_32 3
		.amdhsa_float_denorm_mode_16_64 3
		.amdhsa_dx10_clamp 1
		.amdhsa_ieee_mode 1
		.amdhsa_fp16_overflow 0
		.amdhsa_tg_split 0
		.amdhsa_exception_fp_ieee_invalid_op 0
		.amdhsa_exception_fp_denorm_src 0
		.amdhsa_exception_fp_ieee_div_zero 0
		.amdhsa_exception_fp_ieee_overflow 0
		.amdhsa_exception_fp_ieee_underflow 0
		.amdhsa_exception_fp_ieee_inexact 0
		.amdhsa_exception_int_div_zero 0
	.end_amdhsa_kernel
	.section	.text._ZN7rocprim17ROCPRIM_400000_NS6detail17trampoline_kernelINS0_14default_configENS1_25partition_config_selectorILNS1_17partition_subalgoE0EtNS0_10empty_typeEbEEZZNS1_14partition_implILS5_0ELb0ES3_jN6thrust23THRUST_200600_302600_NS6detail15normal_iteratorINSA_10device_ptrItEEEEPS6_SG_NS0_5tupleIJSF_SF_EEENSH_IJSG_SG_EEES6_PlJ7is_evenItEEEE10hipError_tPvRmT3_T4_T5_T6_T7_T9_mT8_P12ihipStream_tbDpT10_ENKUlT_T0_E_clISt17integral_constantIbLb1EES15_IbLb0EEEEDaS11_S12_EUlS11_E_NS1_11comp_targetILNS1_3genE5ELNS1_11target_archE942ELNS1_3gpuE9ELNS1_3repE0EEENS1_30default_config_static_selectorELNS0_4arch9wavefront6targetE1EEEvT1_,"axG",@progbits,_ZN7rocprim17ROCPRIM_400000_NS6detail17trampoline_kernelINS0_14default_configENS1_25partition_config_selectorILNS1_17partition_subalgoE0EtNS0_10empty_typeEbEEZZNS1_14partition_implILS5_0ELb0ES3_jN6thrust23THRUST_200600_302600_NS6detail15normal_iteratorINSA_10device_ptrItEEEEPS6_SG_NS0_5tupleIJSF_SF_EEENSH_IJSG_SG_EEES6_PlJ7is_evenItEEEE10hipError_tPvRmT3_T4_T5_T6_T7_T9_mT8_P12ihipStream_tbDpT10_ENKUlT_T0_E_clISt17integral_constantIbLb1EES15_IbLb0EEEEDaS11_S12_EUlS11_E_NS1_11comp_targetILNS1_3genE5ELNS1_11target_archE942ELNS1_3gpuE9ELNS1_3repE0EEENS1_30default_config_static_selectorELNS0_4arch9wavefront6targetE1EEEvT1_,comdat
.Lfunc_end2187:
	.size	_ZN7rocprim17ROCPRIM_400000_NS6detail17trampoline_kernelINS0_14default_configENS1_25partition_config_selectorILNS1_17partition_subalgoE0EtNS0_10empty_typeEbEEZZNS1_14partition_implILS5_0ELb0ES3_jN6thrust23THRUST_200600_302600_NS6detail15normal_iteratorINSA_10device_ptrItEEEEPS6_SG_NS0_5tupleIJSF_SF_EEENSH_IJSG_SG_EEES6_PlJ7is_evenItEEEE10hipError_tPvRmT3_T4_T5_T6_T7_T9_mT8_P12ihipStream_tbDpT10_ENKUlT_T0_E_clISt17integral_constantIbLb1EES15_IbLb0EEEEDaS11_S12_EUlS11_E_NS1_11comp_targetILNS1_3genE5ELNS1_11target_archE942ELNS1_3gpuE9ELNS1_3repE0EEENS1_30default_config_static_selectorELNS0_4arch9wavefront6targetE1EEEvT1_, .Lfunc_end2187-_ZN7rocprim17ROCPRIM_400000_NS6detail17trampoline_kernelINS0_14default_configENS1_25partition_config_selectorILNS1_17partition_subalgoE0EtNS0_10empty_typeEbEEZZNS1_14partition_implILS5_0ELb0ES3_jN6thrust23THRUST_200600_302600_NS6detail15normal_iteratorINSA_10device_ptrItEEEEPS6_SG_NS0_5tupleIJSF_SF_EEENSH_IJSG_SG_EEES6_PlJ7is_evenItEEEE10hipError_tPvRmT3_T4_T5_T6_T7_T9_mT8_P12ihipStream_tbDpT10_ENKUlT_T0_E_clISt17integral_constantIbLb1EES15_IbLb0EEEEDaS11_S12_EUlS11_E_NS1_11comp_targetILNS1_3genE5ELNS1_11target_archE942ELNS1_3gpuE9ELNS1_3repE0EEENS1_30default_config_static_selectorELNS0_4arch9wavefront6targetE1EEEvT1_
                                        ; -- End function
	.section	.AMDGPU.csdata,"",@progbits
; Kernel info:
; codeLenInByte = 10916
; NumSgprs: 50
; NumVgprs: 120
; NumAgprs: 0
; TotalNumVgprs: 120
; ScratchSize: 0
; MemoryBound: 0
; FloatMode: 240
; IeeeMode: 1
; LDSByteSize: 30728 bytes/workgroup (compile time only)
; SGPRBlocks: 6
; VGPRBlocks: 14
; NumSGPRsForWavesPerEU: 50
; NumVGPRsForWavesPerEU: 120
; AccumOffset: 120
; Occupancy: 4
; WaveLimiterHint : 1
; COMPUTE_PGM_RSRC2:SCRATCH_EN: 0
; COMPUTE_PGM_RSRC2:USER_SGPR: 2
; COMPUTE_PGM_RSRC2:TRAP_HANDLER: 0
; COMPUTE_PGM_RSRC2:TGID_X_EN: 1
; COMPUTE_PGM_RSRC2:TGID_Y_EN: 0
; COMPUTE_PGM_RSRC2:TGID_Z_EN: 0
; COMPUTE_PGM_RSRC2:TIDIG_COMP_CNT: 0
; COMPUTE_PGM_RSRC3_GFX90A:ACCUM_OFFSET: 29
; COMPUTE_PGM_RSRC3_GFX90A:TG_SPLIT: 0
	.section	.text._ZN7rocprim17ROCPRIM_400000_NS6detail17trampoline_kernelINS0_14default_configENS1_25partition_config_selectorILNS1_17partition_subalgoE0EtNS0_10empty_typeEbEEZZNS1_14partition_implILS5_0ELb0ES3_jN6thrust23THRUST_200600_302600_NS6detail15normal_iteratorINSA_10device_ptrItEEEEPS6_SG_NS0_5tupleIJSF_SF_EEENSH_IJSG_SG_EEES6_PlJ7is_evenItEEEE10hipError_tPvRmT3_T4_T5_T6_T7_T9_mT8_P12ihipStream_tbDpT10_ENKUlT_T0_E_clISt17integral_constantIbLb1EES15_IbLb0EEEEDaS11_S12_EUlS11_E_NS1_11comp_targetILNS1_3genE4ELNS1_11target_archE910ELNS1_3gpuE8ELNS1_3repE0EEENS1_30default_config_static_selectorELNS0_4arch9wavefront6targetE1EEEvT1_,"axG",@progbits,_ZN7rocprim17ROCPRIM_400000_NS6detail17trampoline_kernelINS0_14default_configENS1_25partition_config_selectorILNS1_17partition_subalgoE0EtNS0_10empty_typeEbEEZZNS1_14partition_implILS5_0ELb0ES3_jN6thrust23THRUST_200600_302600_NS6detail15normal_iteratorINSA_10device_ptrItEEEEPS6_SG_NS0_5tupleIJSF_SF_EEENSH_IJSG_SG_EEES6_PlJ7is_evenItEEEE10hipError_tPvRmT3_T4_T5_T6_T7_T9_mT8_P12ihipStream_tbDpT10_ENKUlT_T0_E_clISt17integral_constantIbLb1EES15_IbLb0EEEEDaS11_S12_EUlS11_E_NS1_11comp_targetILNS1_3genE4ELNS1_11target_archE910ELNS1_3gpuE8ELNS1_3repE0EEENS1_30default_config_static_selectorELNS0_4arch9wavefront6targetE1EEEvT1_,comdat
	.protected	_ZN7rocprim17ROCPRIM_400000_NS6detail17trampoline_kernelINS0_14default_configENS1_25partition_config_selectorILNS1_17partition_subalgoE0EtNS0_10empty_typeEbEEZZNS1_14partition_implILS5_0ELb0ES3_jN6thrust23THRUST_200600_302600_NS6detail15normal_iteratorINSA_10device_ptrItEEEEPS6_SG_NS0_5tupleIJSF_SF_EEENSH_IJSG_SG_EEES6_PlJ7is_evenItEEEE10hipError_tPvRmT3_T4_T5_T6_T7_T9_mT8_P12ihipStream_tbDpT10_ENKUlT_T0_E_clISt17integral_constantIbLb1EES15_IbLb0EEEEDaS11_S12_EUlS11_E_NS1_11comp_targetILNS1_3genE4ELNS1_11target_archE910ELNS1_3gpuE8ELNS1_3repE0EEENS1_30default_config_static_selectorELNS0_4arch9wavefront6targetE1EEEvT1_ ; -- Begin function _ZN7rocprim17ROCPRIM_400000_NS6detail17trampoline_kernelINS0_14default_configENS1_25partition_config_selectorILNS1_17partition_subalgoE0EtNS0_10empty_typeEbEEZZNS1_14partition_implILS5_0ELb0ES3_jN6thrust23THRUST_200600_302600_NS6detail15normal_iteratorINSA_10device_ptrItEEEEPS6_SG_NS0_5tupleIJSF_SF_EEENSH_IJSG_SG_EEES6_PlJ7is_evenItEEEE10hipError_tPvRmT3_T4_T5_T6_T7_T9_mT8_P12ihipStream_tbDpT10_ENKUlT_T0_E_clISt17integral_constantIbLb1EES15_IbLb0EEEEDaS11_S12_EUlS11_E_NS1_11comp_targetILNS1_3genE4ELNS1_11target_archE910ELNS1_3gpuE8ELNS1_3repE0EEENS1_30default_config_static_selectorELNS0_4arch9wavefront6targetE1EEEvT1_
	.globl	_ZN7rocprim17ROCPRIM_400000_NS6detail17trampoline_kernelINS0_14default_configENS1_25partition_config_selectorILNS1_17partition_subalgoE0EtNS0_10empty_typeEbEEZZNS1_14partition_implILS5_0ELb0ES3_jN6thrust23THRUST_200600_302600_NS6detail15normal_iteratorINSA_10device_ptrItEEEEPS6_SG_NS0_5tupleIJSF_SF_EEENSH_IJSG_SG_EEES6_PlJ7is_evenItEEEE10hipError_tPvRmT3_T4_T5_T6_T7_T9_mT8_P12ihipStream_tbDpT10_ENKUlT_T0_E_clISt17integral_constantIbLb1EES15_IbLb0EEEEDaS11_S12_EUlS11_E_NS1_11comp_targetILNS1_3genE4ELNS1_11target_archE910ELNS1_3gpuE8ELNS1_3repE0EEENS1_30default_config_static_selectorELNS0_4arch9wavefront6targetE1EEEvT1_
	.p2align	8
	.type	_ZN7rocprim17ROCPRIM_400000_NS6detail17trampoline_kernelINS0_14default_configENS1_25partition_config_selectorILNS1_17partition_subalgoE0EtNS0_10empty_typeEbEEZZNS1_14partition_implILS5_0ELb0ES3_jN6thrust23THRUST_200600_302600_NS6detail15normal_iteratorINSA_10device_ptrItEEEEPS6_SG_NS0_5tupleIJSF_SF_EEENSH_IJSG_SG_EEES6_PlJ7is_evenItEEEE10hipError_tPvRmT3_T4_T5_T6_T7_T9_mT8_P12ihipStream_tbDpT10_ENKUlT_T0_E_clISt17integral_constantIbLb1EES15_IbLb0EEEEDaS11_S12_EUlS11_E_NS1_11comp_targetILNS1_3genE4ELNS1_11target_archE910ELNS1_3gpuE8ELNS1_3repE0EEENS1_30default_config_static_selectorELNS0_4arch9wavefront6targetE1EEEvT1_,@function
_ZN7rocprim17ROCPRIM_400000_NS6detail17trampoline_kernelINS0_14default_configENS1_25partition_config_selectorILNS1_17partition_subalgoE0EtNS0_10empty_typeEbEEZZNS1_14partition_implILS5_0ELb0ES3_jN6thrust23THRUST_200600_302600_NS6detail15normal_iteratorINSA_10device_ptrItEEEEPS6_SG_NS0_5tupleIJSF_SF_EEENSH_IJSG_SG_EEES6_PlJ7is_evenItEEEE10hipError_tPvRmT3_T4_T5_T6_T7_T9_mT8_P12ihipStream_tbDpT10_ENKUlT_T0_E_clISt17integral_constantIbLb1EES15_IbLb0EEEEDaS11_S12_EUlS11_E_NS1_11comp_targetILNS1_3genE4ELNS1_11target_archE910ELNS1_3gpuE8ELNS1_3repE0EEENS1_30default_config_static_selectorELNS0_4arch9wavefront6targetE1EEEvT1_: ; @_ZN7rocprim17ROCPRIM_400000_NS6detail17trampoline_kernelINS0_14default_configENS1_25partition_config_selectorILNS1_17partition_subalgoE0EtNS0_10empty_typeEbEEZZNS1_14partition_implILS5_0ELb0ES3_jN6thrust23THRUST_200600_302600_NS6detail15normal_iteratorINSA_10device_ptrItEEEEPS6_SG_NS0_5tupleIJSF_SF_EEENSH_IJSG_SG_EEES6_PlJ7is_evenItEEEE10hipError_tPvRmT3_T4_T5_T6_T7_T9_mT8_P12ihipStream_tbDpT10_ENKUlT_T0_E_clISt17integral_constantIbLb1EES15_IbLb0EEEEDaS11_S12_EUlS11_E_NS1_11comp_targetILNS1_3genE4ELNS1_11target_archE910ELNS1_3gpuE8ELNS1_3repE0EEENS1_30default_config_static_selectorELNS0_4arch9wavefront6targetE1EEEvT1_
; %bb.0:
	.section	.rodata,"a",@progbits
	.p2align	6, 0x0
	.amdhsa_kernel _ZN7rocprim17ROCPRIM_400000_NS6detail17trampoline_kernelINS0_14default_configENS1_25partition_config_selectorILNS1_17partition_subalgoE0EtNS0_10empty_typeEbEEZZNS1_14partition_implILS5_0ELb0ES3_jN6thrust23THRUST_200600_302600_NS6detail15normal_iteratorINSA_10device_ptrItEEEEPS6_SG_NS0_5tupleIJSF_SF_EEENSH_IJSG_SG_EEES6_PlJ7is_evenItEEEE10hipError_tPvRmT3_T4_T5_T6_T7_T9_mT8_P12ihipStream_tbDpT10_ENKUlT_T0_E_clISt17integral_constantIbLb1EES15_IbLb0EEEEDaS11_S12_EUlS11_E_NS1_11comp_targetILNS1_3genE4ELNS1_11target_archE910ELNS1_3gpuE8ELNS1_3repE0EEENS1_30default_config_static_selectorELNS0_4arch9wavefront6targetE1EEEvT1_
		.amdhsa_group_segment_fixed_size 0
		.amdhsa_private_segment_fixed_size 0
		.amdhsa_kernarg_size 120
		.amdhsa_user_sgpr_count 2
		.amdhsa_user_sgpr_dispatch_ptr 0
		.amdhsa_user_sgpr_queue_ptr 0
		.amdhsa_user_sgpr_kernarg_segment_ptr 1
		.amdhsa_user_sgpr_dispatch_id 0
		.amdhsa_user_sgpr_kernarg_preload_length 0
		.amdhsa_user_sgpr_kernarg_preload_offset 0
		.amdhsa_user_sgpr_private_segment_size 0
		.amdhsa_uses_dynamic_stack 0
		.amdhsa_enable_private_segment 0
		.amdhsa_system_sgpr_workgroup_id_x 1
		.amdhsa_system_sgpr_workgroup_id_y 0
		.amdhsa_system_sgpr_workgroup_id_z 0
		.amdhsa_system_sgpr_workgroup_info 0
		.amdhsa_system_vgpr_workitem_id 0
		.amdhsa_next_free_vgpr 1
		.amdhsa_next_free_sgpr 0
		.amdhsa_accum_offset 4
		.amdhsa_reserve_vcc 0
		.amdhsa_float_round_mode_32 0
		.amdhsa_float_round_mode_16_64 0
		.amdhsa_float_denorm_mode_32 3
		.amdhsa_float_denorm_mode_16_64 3
		.amdhsa_dx10_clamp 1
		.amdhsa_ieee_mode 1
		.amdhsa_fp16_overflow 0
		.amdhsa_tg_split 0
		.amdhsa_exception_fp_ieee_invalid_op 0
		.amdhsa_exception_fp_denorm_src 0
		.amdhsa_exception_fp_ieee_div_zero 0
		.amdhsa_exception_fp_ieee_overflow 0
		.amdhsa_exception_fp_ieee_underflow 0
		.amdhsa_exception_fp_ieee_inexact 0
		.amdhsa_exception_int_div_zero 0
	.end_amdhsa_kernel
	.section	.text._ZN7rocprim17ROCPRIM_400000_NS6detail17trampoline_kernelINS0_14default_configENS1_25partition_config_selectorILNS1_17partition_subalgoE0EtNS0_10empty_typeEbEEZZNS1_14partition_implILS5_0ELb0ES3_jN6thrust23THRUST_200600_302600_NS6detail15normal_iteratorINSA_10device_ptrItEEEEPS6_SG_NS0_5tupleIJSF_SF_EEENSH_IJSG_SG_EEES6_PlJ7is_evenItEEEE10hipError_tPvRmT3_T4_T5_T6_T7_T9_mT8_P12ihipStream_tbDpT10_ENKUlT_T0_E_clISt17integral_constantIbLb1EES15_IbLb0EEEEDaS11_S12_EUlS11_E_NS1_11comp_targetILNS1_3genE4ELNS1_11target_archE910ELNS1_3gpuE8ELNS1_3repE0EEENS1_30default_config_static_selectorELNS0_4arch9wavefront6targetE1EEEvT1_,"axG",@progbits,_ZN7rocprim17ROCPRIM_400000_NS6detail17trampoline_kernelINS0_14default_configENS1_25partition_config_selectorILNS1_17partition_subalgoE0EtNS0_10empty_typeEbEEZZNS1_14partition_implILS5_0ELb0ES3_jN6thrust23THRUST_200600_302600_NS6detail15normal_iteratorINSA_10device_ptrItEEEEPS6_SG_NS0_5tupleIJSF_SF_EEENSH_IJSG_SG_EEES6_PlJ7is_evenItEEEE10hipError_tPvRmT3_T4_T5_T6_T7_T9_mT8_P12ihipStream_tbDpT10_ENKUlT_T0_E_clISt17integral_constantIbLb1EES15_IbLb0EEEEDaS11_S12_EUlS11_E_NS1_11comp_targetILNS1_3genE4ELNS1_11target_archE910ELNS1_3gpuE8ELNS1_3repE0EEENS1_30default_config_static_selectorELNS0_4arch9wavefront6targetE1EEEvT1_,comdat
.Lfunc_end2188:
	.size	_ZN7rocprim17ROCPRIM_400000_NS6detail17trampoline_kernelINS0_14default_configENS1_25partition_config_selectorILNS1_17partition_subalgoE0EtNS0_10empty_typeEbEEZZNS1_14partition_implILS5_0ELb0ES3_jN6thrust23THRUST_200600_302600_NS6detail15normal_iteratorINSA_10device_ptrItEEEEPS6_SG_NS0_5tupleIJSF_SF_EEENSH_IJSG_SG_EEES6_PlJ7is_evenItEEEE10hipError_tPvRmT3_T4_T5_T6_T7_T9_mT8_P12ihipStream_tbDpT10_ENKUlT_T0_E_clISt17integral_constantIbLb1EES15_IbLb0EEEEDaS11_S12_EUlS11_E_NS1_11comp_targetILNS1_3genE4ELNS1_11target_archE910ELNS1_3gpuE8ELNS1_3repE0EEENS1_30default_config_static_selectorELNS0_4arch9wavefront6targetE1EEEvT1_, .Lfunc_end2188-_ZN7rocprim17ROCPRIM_400000_NS6detail17trampoline_kernelINS0_14default_configENS1_25partition_config_selectorILNS1_17partition_subalgoE0EtNS0_10empty_typeEbEEZZNS1_14partition_implILS5_0ELb0ES3_jN6thrust23THRUST_200600_302600_NS6detail15normal_iteratorINSA_10device_ptrItEEEEPS6_SG_NS0_5tupleIJSF_SF_EEENSH_IJSG_SG_EEES6_PlJ7is_evenItEEEE10hipError_tPvRmT3_T4_T5_T6_T7_T9_mT8_P12ihipStream_tbDpT10_ENKUlT_T0_E_clISt17integral_constantIbLb1EES15_IbLb0EEEEDaS11_S12_EUlS11_E_NS1_11comp_targetILNS1_3genE4ELNS1_11target_archE910ELNS1_3gpuE8ELNS1_3repE0EEENS1_30default_config_static_selectorELNS0_4arch9wavefront6targetE1EEEvT1_
                                        ; -- End function
	.section	.AMDGPU.csdata,"",@progbits
; Kernel info:
; codeLenInByte = 0
; NumSgprs: 6
; NumVgprs: 0
; NumAgprs: 0
; TotalNumVgprs: 0
; ScratchSize: 0
; MemoryBound: 0
; FloatMode: 240
; IeeeMode: 1
; LDSByteSize: 0 bytes/workgroup (compile time only)
; SGPRBlocks: 0
; VGPRBlocks: 0
; NumSGPRsForWavesPerEU: 6
; NumVGPRsForWavesPerEU: 1
; AccumOffset: 4
; Occupancy: 8
; WaveLimiterHint : 0
; COMPUTE_PGM_RSRC2:SCRATCH_EN: 0
; COMPUTE_PGM_RSRC2:USER_SGPR: 2
; COMPUTE_PGM_RSRC2:TRAP_HANDLER: 0
; COMPUTE_PGM_RSRC2:TGID_X_EN: 1
; COMPUTE_PGM_RSRC2:TGID_Y_EN: 0
; COMPUTE_PGM_RSRC2:TGID_Z_EN: 0
; COMPUTE_PGM_RSRC2:TIDIG_COMP_CNT: 0
; COMPUTE_PGM_RSRC3_GFX90A:ACCUM_OFFSET: 0
; COMPUTE_PGM_RSRC3_GFX90A:TG_SPLIT: 0
	.section	.text._ZN7rocprim17ROCPRIM_400000_NS6detail17trampoline_kernelINS0_14default_configENS1_25partition_config_selectorILNS1_17partition_subalgoE0EtNS0_10empty_typeEbEEZZNS1_14partition_implILS5_0ELb0ES3_jN6thrust23THRUST_200600_302600_NS6detail15normal_iteratorINSA_10device_ptrItEEEEPS6_SG_NS0_5tupleIJSF_SF_EEENSH_IJSG_SG_EEES6_PlJ7is_evenItEEEE10hipError_tPvRmT3_T4_T5_T6_T7_T9_mT8_P12ihipStream_tbDpT10_ENKUlT_T0_E_clISt17integral_constantIbLb1EES15_IbLb0EEEEDaS11_S12_EUlS11_E_NS1_11comp_targetILNS1_3genE3ELNS1_11target_archE908ELNS1_3gpuE7ELNS1_3repE0EEENS1_30default_config_static_selectorELNS0_4arch9wavefront6targetE1EEEvT1_,"axG",@progbits,_ZN7rocprim17ROCPRIM_400000_NS6detail17trampoline_kernelINS0_14default_configENS1_25partition_config_selectorILNS1_17partition_subalgoE0EtNS0_10empty_typeEbEEZZNS1_14partition_implILS5_0ELb0ES3_jN6thrust23THRUST_200600_302600_NS6detail15normal_iteratorINSA_10device_ptrItEEEEPS6_SG_NS0_5tupleIJSF_SF_EEENSH_IJSG_SG_EEES6_PlJ7is_evenItEEEE10hipError_tPvRmT3_T4_T5_T6_T7_T9_mT8_P12ihipStream_tbDpT10_ENKUlT_T0_E_clISt17integral_constantIbLb1EES15_IbLb0EEEEDaS11_S12_EUlS11_E_NS1_11comp_targetILNS1_3genE3ELNS1_11target_archE908ELNS1_3gpuE7ELNS1_3repE0EEENS1_30default_config_static_selectorELNS0_4arch9wavefront6targetE1EEEvT1_,comdat
	.protected	_ZN7rocprim17ROCPRIM_400000_NS6detail17trampoline_kernelINS0_14default_configENS1_25partition_config_selectorILNS1_17partition_subalgoE0EtNS0_10empty_typeEbEEZZNS1_14partition_implILS5_0ELb0ES3_jN6thrust23THRUST_200600_302600_NS6detail15normal_iteratorINSA_10device_ptrItEEEEPS6_SG_NS0_5tupleIJSF_SF_EEENSH_IJSG_SG_EEES6_PlJ7is_evenItEEEE10hipError_tPvRmT3_T4_T5_T6_T7_T9_mT8_P12ihipStream_tbDpT10_ENKUlT_T0_E_clISt17integral_constantIbLb1EES15_IbLb0EEEEDaS11_S12_EUlS11_E_NS1_11comp_targetILNS1_3genE3ELNS1_11target_archE908ELNS1_3gpuE7ELNS1_3repE0EEENS1_30default_config_static_selectorELNS0_4arch9wavefront6targetE1EEEvT1_ ; -- Begin function _ZN7rocprim17ROCPRIM_400000_NS6detail17trampoline_kernelINS0_14default_configENS1_25partition_config_selectorILNS1_17partition_subalgoE0EtNS0_10empty_typeEbEEZZNS1_14partition_implILS5_0ELb0ES3_jN6thrust23THRUST_200600_302600_NS6detail15normal_iteratorINSA_10device_ptrItEEEEPS6_SG_NS0_5tupleIJSF_SF_EEENSH_IJSG_SG_EEES6_PlJ7is_evenItEEEE10hipError_tPvRmT3_T4_T5_T6_T7_T9_mT8_P12ihipStream_tbDpT10_ENKUlT_T0_E_clISt17integral_constantIbLb1EES15_IbLb0EEEEDaS11_S12_EUlS11_E_NS1_11comp_targetILNS1_3genE3ELNS1_11target_archE908ELNS1_3gpuE7ELNS1_3repE0EEENS1_30default_config_static_selectorELNS0_4arch9wavefront6targetE1EEEvT1_
	.globl	_ZN7rocprim17ROCPRIM_400000_NS6detail17trampoline_kernelINS0_14default_configENS1_25partition_config_selectorILNS1_17partition_subalgoE0EtNS0_10empty_typeEbEEZZNS1_14partition_implILS5_0ELb0ES3_jN6thrust23THRUST_200600_302600_NS6detail15normal_iteratorINSA_10device_ptrItEEEEPS6_SG_NS0_5tupleIJSF_SF_EEENSH_IJSG_SG_EEES6_PlJ7is_evenItEEEE10hipError_tPvRmT3_T4_T5_T6_T7_T9_mT8_P12ihipStream_tbDpT10_ENKUlT_T0_E_clISt17integral_constantIbLb1EES15_IbLb0EEEEDaS11_S12_EUlS11_E_NS1_11comp_targetILNS1_3genE3ELNS1_11target_archE908ELNS1_3gpuE7ELNS1_3repE0EEENS1_30default_config_static_selectorELNS0_4arch9wavefront6targetE1EEEvT1_
	.p2align	8
	.type	_ZN7rocprim17ROCPRIM_400000_NS6detail17trampoline_kernelINS0_14default_configENS1_25partition_config_selectorILNS1_17partition_subalgoE0EtNS0_10empty_typeEbEEZZNS1_14partition_implILS5_0ELb0ES3_jN6thrust23THRUST_200600_302600_NS6detail15normal_iteratorINSA_10device_ptrItEEEEPS6_SG_NS0_5tupleIJSF_SF_EEENSH_IJSG_SG_EEES6_PlJ7is_evenItEEEE10hipError_tPvRmT3_T4_T5_T6_T7_T9_mT8_P12ihipStream_tbDpT10_ENKUlT_T0_E_clISt17integral_constantIbLb1EES15_IbLb0EEEEDaS11_S12_EUlS11_E_NS1_11comp_targetILNS1_3genE3ELNS1_11target_archE908ELNS1_3gpuE7ELNS1_3repE0EEENS1_30default_config_static_selectorELNS0_4arch9wavefront6targetE1EEEvT1_,@function
_ZN7rocprim17ROCPRIM_400000_NS6detail17trampoline_kernelINS0_14default_configENS1_25partition_config_selectorILNS1_17partition_subalgoE0EtNS0_10empty_typeEbEEZZNS1_14partition_implILS5_0ELb0ES3_jN6thrust23THRUST_200600_302600_NS6detail15normal_iteratorINSA_10device_ptrItEEEEPS6_SG_NS0_5tupleIJSF_SF_EEENSH_IJSG_SG_EEES6_PlJ7is_evenItEEEE10hipError_tPvRmT3_T4_T5_T6_T7_T9_mT8_P12ihipStream_tbDpT10_ENKUlT_T0_E_clISt17integral_constantIbLb1EES15_IbLb0EEEEDaS11_S12_EUlS11_E_NS1_11comp_targetILNS1_3genE3ELNS1_11target_archE908ELNS1_3gpuE7ELNS1_3repE0EEENS1_30default_config_static_selectorELNS0_4arch9wavefront6targetE1EEEvT1_: ; @_ZN7rocprim17ROCPRIM_400000_NS6detail17trampoline_kernelINS0_14default_configENS1_25partition_config_selectorILNS1_17partition_subalgoE0EtNS0_10empty_typeEbEEZZNS1_14partition_implILS5_0ELb0ES3_jN6thrust23THRUST_200600_302600_NS6detail15normal_iteratorINSA_10device_ptrItEEEEPS6_SG_NS0_5tupleIJSF_SF_EEENSH_IJSG_SG_EEES6_PlJ7is_evenItEEEE10hipError_tPvRmT3_T4_T5_T6_T7_T9_mT8_P12ihipStream_tbDpT10_ENKUlT_T0_E_clISt17integral_constantIbLb1EES15_IbLb0EEEEDaS11_S12_EUlS11_E_NS1_11comp_targetILNS1_3genE3ELNS1_11target_archE908ELNS1_3gpuE7ELNS1_3repE0EEENS1_30default_config_static_selectorELNS0_4arch9wavefront6targetE1EEEvT1_
; %bb.0:
	.section	.rodata,"a",@progbits
	.p2align	6, 0x0
	.amdhsa_kernel _ZN7rocprim17ROCPRIM_400000_NS6detail17trampoline_kernelINS0_14default_configENS1_25partition_config_selectorILNS1_17partition_subalgoE0EtNS0_10empty_typeEbEEZZNS1_14partition_implILS5_0ELb0ES3_jN6thrust23THRUST_200600_302600_NS6detail15normal_iteratorINSA_10device_ptrItEEEEPS6_SG_NS0_5tupleIJSF_SF_EEENSH_IJSG_SG_EEES6_PlJ7is_evenItEEEE10hipError_tPvRmT3_T4_T5_T6_T7_T9_mT8_P12ihipStream_tbDpT10_ENKUlT_T0_E_clISt17integral_constantIbLb1EES15_IbLb0EEEEDaS11_S12_EUlS11_E_NS1_11comp_targetILNS1_3genE3ELNS1_11target_archE908ELNS1_3gpuE7ELNS1_3repE0EEENS1_30default_config_static_selectorELNS0_4arch9wavefront6targetE1EEEvT1_
		.amdhsa_group_segment_fixed_size 0
		.amdhsa_private_segment_fixed_size 0
		.amdhsa_kernarg_size 120
		.amdhsa_user_sgpr_count 2
		.amdhsa_user_sgpr_dispatch_ptr 0
		.amdhsa_user_sgpr_queue_ptr 0
		.amdhsa_user_sgpr_kernarg_segment_ptr 1
		.amdhsa_user_sgpr_dispatch_id 0
		.amdhsa_user_sgpr_kernarg_preload_length 0
		.amdhsa_user_sgpr_kernarg_preload_offset 0
		.amdhsa_user_sgpr_private_segment_size 0
		.amdhsa_uses_dynamic_stack 0
		.amdhsa_enable_private_segment 0
		.amdhsa_system_sgpr_workgroup_id_x 1
		.amdhsa_system_sgpr_workgroup_id_y 0
		.amdhsa_system_sgpr_workgroup_id_z 0
		.amdhsa_system_sgpr_workgroup_info 0
		.amdhsa_system_vgpr_workitem_id 0
		.amdhsa_next_free_vgpr 1
		.amdhsa_next_free_sgpr 0
		.amdhsa_accum_offset 4
		.amdhsa_reserve_vcc 0
		.amdhsa_float_round_mode_32 0
		.amdhsa_float_round_mode_16_64 0
		.amdhsa_float_denorm_mode_32 3
		.amdhsa_float_denorm_mode_16_64 3
		.amdhsa_dx10_clamp 1
		.amdhsa_ieee_mode 1
		.amdhsa_fp16_overflow 0
		.amdhsa_tg_split 0
		.amdhsa_exception_fp_ieee_invalid_op 0
		.amdhsa_exception_fp_denorm_src 0
		.amdhsa_exception_fp_ieee_div_zero 0
		.amdhsa_exception_fp_ieee_overflow 0
		.amdhsa_exception_fp_ieee_underflow 0
		.amdhsa_exception_fp_ieee_inexact 0
		.amdhsa_exception_int_div_zero 0
	.end_amdhsa_kernel
	.section	.text._ZN7rocprim17ROCPRIM_400000_NS6detail17trampoline_kernelINS0_14default_configENS1_25partition_config_selectorILNS1_17partition_subalgoE0EtNS0_10empty_typeEbEEZZNS1_14partition_implILS5_0ELb0ES3_jN6thrust23THRUST_200600_302600_NS6detail15normal_iteratorINSA_10device_ptrItEEEEPS6_SG_NS0_5tupleIJSF_SF_EEENSH_IJSG_SG_EEES6_PlJ7is_evenItEEEE10hipError_tPvRmT3_T4_T5_T6_T7_T9_mT8_P12ihipStream_tbDpT10_ENKUlT_T0_E_clISt17integral_constantIbLb1EES15_IbLb0EEEEDaS11_S12_EUlS11_E_NS1_11comp_targetILNS1_3genE3ELNS1_11target_archE908ELNS1_3gpuE7ELNS1_3repE0EEENS1_30default_config_static_selectorELNS0_4arch9wavefront6targetE1EEEvT1_,"axG",@progbits,_ZN7rocprim17ROCPRIM_400000_NS6detail17trampoline_kernelINS0_14default_configENS1_25partition_config_selectorILNS1_17partition_subalgoE0EtNS0_10empty_typeEbEEZZNS1_14partition_implILS5_0ELb0ES3_jN6thrust23THRUST_200600_302600_NS6detail15normal_iteratorINSA_10device_ptrItEEEEPS6_SG_NS0_5tupleIJSF_SF_EEENSH_IJSG_SG_EEES6_PlJ7is_evenItEEEE10hipError_tPvRmT3_T4_T5_T6_T7_T9_mT8_P12ihipStream_tbDpT10_ENKUlT_T0_E_clISt17integral_constantIbLb1EES15_IbLb0EEEEDaS11_S12_EUlS11_E_NS1_11comp_targetILNS1_3genE3ELNS1_11target_archE908ELNS1_3gpuE7ELNS1_3repE0EEENS1_30default_config_static_selectorELNS0_4arch9wavefront6targetE1EEEvT1_,comdat
.Lfunc_end2189:
	.size	_ZN7rocprim17ROCPRIM_400000_NS6detail17trampoline_kernelINS0_14default_configENS1_25partition_config_selectorILNS1_17partition_subalgoE0EtNS0_10empty_typeEbEEZZNS1_14partition_implILS5_0ELb0ES3_jN6thrust23THRUST_200600_302600_NS6detail15normal_iteratorINSA_10device_ptrItEEEEPS6_SG_NS0_5tupleIJSF_SF_EEENSH_IJSG_SG_EEES6_PlJ7is_evenItEEEE10hipError_tPvRmT3_T4_T5_T6_T7_T9_mT8_P12ihipStream_tbDpT10_ENKUlT_T0_E_clISt17integral_constantIbLb1EES15_IbLb0EEEEDaS11_S12_EUlS11_E_NS1_11comp_targetILNS1_3genE3ELNS1_11target_archE908ELNS1_3gpuE7ELNS1_3repE0EEENS1_30default_config_static_selectorELNS0_4arch9wavefront6targetE1EEEvT1_, .Lfunc_end2189-_ZN7rocprim17ROCPRIM_400000_NS6detail17trampoline_kernelINS0_14default_configENS1_25partition_config_selectorILNS1_17partition_subalgoE0EtNS0_10empty_typeEbEEZZNS1_14partition_implILS5_0ELb0ES3_jN6thrust23THRUST_200600_302600_NS6detail15normal_iteratorINSA_10device_ptrItEEEEPS6_SG_NS0_5tupleIJSF_SF_EEENSH_IJSG_SG_EEES6_PlJ7is_evenItEEEE10hipError_tPvRmT3_T4_T5_T6_T7_T9_mT8_P12ihipStream_tbDpT10_ENKUlT_T0_E_clISt17integral_constantIbLb1EES15_IbLb0EEEEDaS11_S12_EUlS11_E_NS1_11comp_targetILNS1_3genE3ELNS1_11target_archE908ELNS1_3gpuE7ELNS1_3repE0EEENS1_30default_config_static_selectorELNS0_4arch9wavefront6targetE1EEEvT1_
                                        ; -- End function
	.section	.AMDGPU.csdata,"",@progbits
; Kernel info:
; codeLenInByte = 0
; NumSgprs: 6
; NumVgprs: 0
; NumAgprs: 0
; TotalNumVgprs: 0
; ScratchSize: 0
; MemoryBound: 0
; FloatMode: 240
; IeeeMode: 1
; LDSByteSize: 0 bytes/workgroup (compile time only)
; SGPRBlocks: 0
; VGPRBlocks: 0
; NumSGPRsForWavesPerEU: 6
; NumVGPRsForWavesPerEU: 1
; AccumOffset: 4
; Occupancy: 8
; WaveLimiterHint : 0
; COMPUTE_PGM_RSRC2:SCRATCH_EN: 0
; COMPUTE_PGM_RSRC2:USER_SGPR: 2
; COMPUTE_PGM_RSRC2:TRAP_HANDLER: 0
; COMPUTE_PGM_RSRC2:TGID_X_EN: 1
; COMPUTE_PGM_RSRC2:TGID_Y_EN: 0
; COMPUTE_PGM_RSRC2:TGID_Z_EN: 0
; COMPUTE_PGM_RSRC2:TIDIG_COMP_CNT: 0
; COMPUTE_PGM_RSRC3_GFX90A:ACCUM_OFFSET: 0
; COMPUTE_PGM_RSRC3_GFX90A:TG_SPLIT: 0
	.section	.text._ZN7rocprim17ROCPRIM_400000_NS6detail17trampoline_kernelINS0_14default_configENS1_25partition_config_selectorILNS1_17partition_subalgoE0EtNS0_10empty_typeEbEEZZNS1_14partition_implILS5_0ELb0ES3_jN6thrust23THRUST_200600_302600_NS6detail15normal_iteratorINSA_10device_ptrItEEEEPS6_SG_NS0_5tupleIJSF_SF_EEENSH_IJSG_SG_EEES6_PlJ7is_evenItEEEE10hipError_tPvRmT3_T4_T5_T6_T7_T9_mT8_P12ihipStream_tbDpT10_ENKUlT_T0_E_clISt17integral_constantIbLb1EES15_IbLb0EEEEDaS11_S12_EUlS11_E_NS1_11comp_targetILNS1_3genE2ELNS1_11target_archE906ELNS1_3gpuE6ELNS1_3repE0EEENS1_30default_config_static_selectorELNS0_4arch9wavefront6targetE1EEEvT1_,"axG",@progbits,_ZN7rocprim17ROCPRIM_400000_NS6detail17trampoline_kernelINS0_14default_configENS1_25partition_config_selectorILNS1_17partition_subalgoE0EtNS0_10empty_typeEbEEZZNS1_14partition_implILS5_0ELb0ES3_jN6thrust23THRUST_200600_302600_NS6detail15normal_iteratorINSA_10device_ptrItEEEEPS6_SG_NS0_5tupleIJSF_SF_EEENSH_IJSG_SG_EEES6_PlJ7is_evenItEEEE10hipError_tPvRmT3_T4_T5_T6_T7_T9_mT8_P12ihipStream_tbDpT10_ENKUlT_T0_E_clISt17integral_constantIbLb1EES15_IbLb0EEEEDaS11_S12_EUlS11_E_NS1_11comp_targetILNS1_3genE2ELNS1_11target_archE906ELNS1_3gpuE6ELNS1_3repE0EEENS1_30default_config_static_selectorELNS0_4arch9wavefront6targetE1EEEvT1_,comdat
	.protected	_ZN7rocprim17ROCPRIM_400000_NS6detail17trampoline_kernelINS0_14default_configENS1_25partition_config_selectorILNS1_17partition_subalgoE0EtNS0_10empty_typeEbEEZZNS1_14partition_implILS5_0ELb0ES3_jN6thrust23THRUST_200600_302600_NS6detail15normal_iteratorINSA_10device_ptrItEEEEPS6_SG_NS0_5tupleIJSF_SF_EEENSH_IJSG_SG_EEES6_PlJ7is_evenItEEEE10hipError_tPvRmT3_T4_T5_T6_T7_T9_mT8_P12ihipStream_tbDpT10_ENKUlT_T0_E_clISt17integral_constantIbLb1EES15_IbLb0EEEEDaS11_S12_EUlS11_E_NS1_11comp_targetILNS1_3genE2ELNS1_11target_archE906ELNS1_3gpuE6ELNS1_3repE0EEENS1_30default_config_static_selectorELNS0_4arch9wavefront6targetE1EEEvT1_ ; -- Begin function _ZN7rocprim17ROCPRIM_400000_NS6detail17trampoline_kernelINS0_14default_configENS1_25partition_config_selectorILNS1_17partition_subalgoE0EtNS0_10empty_typeEbEEZZNS1_14partition_implILS5_0ELb0ES3_jN6thrust23THRUST_200600_302600_NS6detail15normal_iteratorINSA_10device_ptrItEEEEPS6_SG_NS0_5tupleIJSF_SF_EEENSH_IJSG_SG_EEES6_PlJ7is_evenItEEEE10hipError_tPvRmT3_T4_T5_T6_T7_T9_mT8_P12ihipStream_tbDpT10_ENKUlT_T0_E_clISt17integral_constantIbLb1EES15_IbLb0EEEEDaS11_S12_EUlS11_E_NS1_11comp_targetILNS1_3genE2ELNS1_11target_archE906ELNS1_3gpuE6ELNS1_3repE0EEENS1_30default_config_static_selectorELNS0_4arch9wavefront6targetE1EEEvT1_
	.globl	_ZN7rocprim17ROCPRIM_400000_NS6detail17trampoline_kernelINS0_14default_configENS1_25partition_config_selectorILNS1_17partition_subalgoE0EtNS0_10empty_typeEbEEZZNS1_14partition_implILS5_0ELb0ES3_jN6thrust23THRUST_200600_302600_NS6detail15normal_iteratorINSA_10device_ptrItEEEEPS6_SG_NS0_5tupleIJSF_SF_EEENSH_IJSG_SG_EEES6_PlJ7is_evenItEEEE10hipError_tPvRmT3_T4_T5_T6_T7_T9_mT8_P12ihipStream_tbDpT10_ENKUlT_T0_E_clISt17integral_constantIbLb1EES15_IbLb0EEEEDaS11_S12_EUlS11_E_NS1_11comp_targetILNS1_3genE2ELNS1_11target_archE906ELNS1_3gpuE6ELNS1_3repE0EEENS1_30default_config_static_selectorELNS0_4arch9wavefront6targetE1EEEvT1_
	.p2align	8
	.type	_ZN7rocprim17ROCPRIM_400000_NS6detail17trampoline_kernelINS0_14default_configENS1_25partition_config_selectorILNS1_17partition_subalgoE0EtNS0_10empty_typeEbEEZZNS1_14partition_implILS5_0ELb0ES3_jN6thrust23THRUST_200600_302600_NS6detail15normal_iteratorINSA_10device_ptrItEEEEPS6_SG_NS0_5tupleIJSF_SF_EEENSH_IJSG_SG_EEES6_PlJ7is_evenItEEEE10hipError_tPvRmT3_T4_T5_T6_T7_T9_mT8_P12ihipStream_tbDpT10_ENKUlT_T0_E_clISt17integral_constantIbLb1EES15_IbLb0EEEEDaS11_S12_EUlS11_E_NS1_11comp_targetILNS1_3genE2ELNS1_11target_archE906ELNS1_3gpuE6ELNS1_3repE0EEENS1_30default_config_static_selectorELNS0_4arch9wavefront6targetE1EEEvT1_,@function
_ZN7rocprim17ROCPRIM_400000_NS6detail17trampoline_kernelINS0_14default_configENS1_25partition_config_selectorILNS1_17partition_subalgoE0EtNS0_10empty_typeEbEEZZNS1_14partition_implILS5_0ELb0ES3_jN6thrust23THRUST_200600_302600_NS6detail15normal_iteratorINSA_10device_ptrItEEEEPS6_SG_NS0_5tupleIJSF_SF_EEENSH_IJSG_SG_EEES6_PlJ7is_evenItEEEE10hipError_tPvRmT3_T4_T5_T6_T7_T9_mT8_P12ihipStream_tbDpT10_ENKUlT_T0_E_clISt17integral_constantIbLb1EES15_IbLb0EEEEDaS11_S12_EUlS11_E_NS1_11comp_targetILNS1_3genE2ELNS1_11target_archE906ELNS1_3gpuE6ELNS1_3repE0EEENS1_30default_config_static_selectorELNS0_4arch9wavefront6targetE1EEEvT1_: ; @_ZN7rocprim17ROCPRIM_400000_NS6detail17trampoline_kernelINS0_14default_configENS1_25partition_config_selectorILNS1_17partition_subalgoE0EtNS0_10empty_typeEbEEZZNS1_14partition_implILS5_0ELb0ES3_jN6thrust23THRUST_200600_302600_NS6detail15normal_iteratorINSA_10device_ptrItEEEEPS6_SG_NS0_5tupleIJSF_SF_EEENSH_IJSG_SG_EEES6_PlJ7is_evenItEEEE10hipError_tPvRmT3_T4_T5_T6_T7_T9_mT8_P12ihipStream_tbDpT10_ENKUlT_T0_E_clISt17integral_constantIbLb1EES15_IbLb0EEEEDaS11_S12_EUlS11_E_NS1_11comp_targetILNS1_3genE2ELNS1_11target_archE906ELNS1_3gpuE6ELNS1_3repE0EEENS1_30default_config_static_selectorELNS0_4arch9wavefront6targetE1EEEvT1_
; %bb.0:
	.section	.rodata,"a",@progbits
	.p2align	6, 0x0
	.amdhsa_kernel _ZN7rocprim17ROCPRIM_400000_NS6detail17trampoline_kernelINS0_14default_configENS1_25partition_config_selectorILNS1_17partition_subalgoE0EtNS0_10empty_typeEbEEZZNS1_14partition_implILS5_0ELb0ES3_jN6thrust23THRUST_200600_302600_NS6detail15normal_iteratorINSA_10device_ptrItEEEEPS6_SG_NS0_5tupleIJSF_SF_EEENSH_IJSG_SG_EEES6_PlJ7is_evenItEEEE10hipError_tPvRmT3_T4_T5_T6_T7_T9_mT8_P12ihipStream_tbDpT10_ENKUlT_T0_E_clISt17integral_constantIbLb1EES15_IbLb0EEEEDaS11_S12_EUlS11_E_NS1_11comp_targetILNS1_3genE2ELNS1_11target_archE906ELNS1_3gpuE6ELNS1_3repE0EEENS1_30default_config_static_selectorELNS0_4arch9wavefront6targetE1EEEvT1_
		.amdhsa_group_segment_fixed_size 0
		.amdhsa_private_segment_fixed_size 0
		.amdhsa_kernarg_size 120
		.amdhsa_user_sgpr_count 2
		.amdhsa_user_sgpr_dispatch_ptr 0
		.amdhsa_user_sgpr_queue_ptr 0
		.amdhsa_user_sgpr_kernarg_segment_ptr 1
		.amdhsa_user_sgpr_dispatch_id 0
		.amdhsa_user_sgpr_kernarg_preload_length 0
		.amdhsa_user_sgpr_kernarg_preload_offset 0
		.amdhsa_user_sgpr_private_segment_size 0
		.amdhsa_uses_dynamic_stack 0
		.amdhsa_enable_private_segment 0
		.amdhsa_system_sgpr_workgroup_id_x 1
		.amdhsa_system_sgpr_workgroup_id_y 0
		.amdhsa_system_sgpr_workgroup_id_z 0
		.amdhsa_system_sgpr_workgroup_info 0
		.amdhsa_system_vgpr_workitem_id 0
		.amdhsa_next_free_vgpr 1
		.amdhsa_next_free_sgpr 0
		.amdhsa_accum_offset 4
		.amdhsa_reserve_vcc 0
		.amdhsa_float_round_mode_32 0
		.amdhsa_float_round_mode_16_64 0
		.amdhsa_float_denorm_mode_32 3
		.amdhsa_float_denorm_mode_16_64 3
		.amdhsa_dx10_clamp 1
		.amdhsa_ieee_mode 1
		.amdhsa_fp16_overflow 0
		.amdhsa_tg_split 0
		.amdhsa_exception_fp_ieee_invalid_op 0
		.amdhsa_exception_fp_denorm_src 0
		.amdhsa_exception_fp_ieee_div_zero 0
		.amdhsa_exception_fp_ieee_overflow 0
		.amdhsa_exception_fp_ieee_underflow 0
		.amdhsa_exception_fp_ieee_inexact 0
		.amdhsa_exception_int_div_zero 0
	.end_amdhsa_kernel
	.section	.text._ZN7rocprim17ROCPRIM_400000_NS6detail17trampoline_kernelINS0_14default_configENS1_25partition_config_selectorILNS1_17partition_subalgoE0EtNS0_10empty_typeEbEEZZNS1_14partition_implILS5_0ELb0ES3_jN6thrust23THRUST_200600_302600_NS6detail15normal_iteratorINSA_10device_ptrItEEEEPS6_SG_NS0_5tupleIJSF_SF_EEENSH_IJSG_SG_EEES6_PlJ7is_evenItEEEE10hipError_tPvRmT3_T4_T5_T6_T7_T9_mT8_P12ihipStream_tbDpT10_ENKUlT_T0_E_clISt17integral_constantIbLb1EES15_IbLb0EEEEDaS11_S12_EUlS11_E_NS1_11comp_targetILNS1_3genE2ELNS1_11target_archE906ELNS1_3gpuE6ELNS1_3repE0EEENS1_30default_config_static_selectorELNS0_4arch9wavefront6targetE1EEEvT1_,"axG",@progbits,_ZN7rocprim17ROCPRIM_400000_NS6detail17trampoline_kernelINS0_14default_configENS1_25partition_config_selectorILNS1_17partition_subalgoE0EtNS0_10empty_typeEbEEZZNS1_14partition_implILS5_0ELb0ES3_jN6thrust23THRUST_200600_302600_NS6detail15normal_iteratorINSA_10device_ptrItEEEEPS6_SG_NS0_5tupleIJSF_SF_EEENSH_IJSG_SG_EEES6_PlJ7is_evenItEEEE10hipError_tPvRmT3_T4_T5_T6_T7_T9_mT8_P12ihipStream_tbDpT10_ENKUlT_T0_E_clISt17integral_constantIbLb1EES15_IbLb0EEEEDaS11_S12_EUlS11_E_NS1_11comp_targetILNS1_3genE2ELNS1_11target_archE906ELNS1_3gpuE6ELNS1_3repE0EEENS1_30default_config_static_selectorELNS0_4arch9wavefront6targetE1EEEvT1_,comdat
.Lfunc_end2190:
	.size	_ZN7rocprim17ROCPRIM_400000_NS6detail17trampoline_kernelINS0_14default_configENS1_25partition_config_selectorILNS1_17partition_subalgoE0EtNS0_10empty_typeEbEEZZNS1_14partition_implILS5_0ELb0ES3_jN6thrust23THRUST_200600_302600_NS6detail15normal_iteratorINSA_10device_ptrItEEEEPS6_SG_NS0_5tupleIJSF_SF_EEENSH_IJSG_SG_EEES6_PlJ7is_evenItEEEE10hipError_tPvRmT3_T4_T5_T6_T7_T9_mT8_P12ihipStream_tbDpT10_ENKUlT_T0_E_clISt17integral_constantIbLb1EES15_IbLb0EEEEDaS11_S12_EUlS11_E_NS1_11comp_targetILNS1_3genE2ELNS1_11target_archE906ELNS1_3gpuE6ELNS1_3repE0EEENS1_30default_config_static_selectorELNS0_4arch9wavefront6targetE1EEEvT1_, .Lfunc_end2190-_ZN7rocprim17ROCPRIM_400000_NS6detail17trampoline_kernelINS0_14default_configENS1_25partition_config_selectorILNS1_17partition_subalgoE0EtNS0_10empty_typeEbEEZZNS1_14partition_implILS5_0ELb0ES3_jN6thrust23THRUST_200600_302600_NS6detail15normal_iteratorINSA_10device_ptrItEEEEPS6_SG_NS0_5tupleIJSF_SF_EEENSH_IJSG_SG_EEES6_PlJ7is_evenItEEEE10hipError_tPvRmT3_T4_T5_T6_T7_T9_mT8_P12ihipStream_tbDpT10_ENKUlT_T0_E_clISt17integral_constantIbLb1EES15_IbLb0EEEEDaS11_S12_EUlS11_E_NS1_11comp_targetILNS1_3genE2ELNS1_11target_archE906ELNS1_3gpuE6ELNS1_3repE0EEENS1_30default_config_static_selectorELNS0_4arch9wavefront6targetE1EEEvT1_
                                        ; -- End function
	.section	.AMDGPU.csdata,"",@progbits
; Kernel info:
; codeLenInByte = 0
; NumSgprs: 6
; NumVgprs: 0
; NumAgprs: 0
; TotalNumVgprs: 0
; ScratchSize: 0
; MemoryBound: 0
; FloatMode: 240
; IeeeMode: 1
; LDSByteSize: 0 bytes/workgroup (compile time only)
; SGPRBlocks: 0
; VGPRBlocks: 0
; NumSGPRsForWavesPerEU: 6
; NumVGPRsForWavesPerEU: 1
; AccumOffset: 4
; Occupancy: 8
; WaveLimiterHint : 0
; COMPUTE_PGM_RSRC2:SCRATCH_EN: 0
; COMPUTE_PGM_RSRC2:USER_SGPR: 2
; COMPUTE_PGM_RSRC2:TRAP_HANDLER: 0
; COMPUTE_PGM_RSRC2:TGID_X_EN: 1
; COMPUTE_PGM_RSRC2:TGID_Y_EN: 0
; COMPUTE_PGM_RSRC2:TGID_Z_EN: 0
; COMPUTE_PGM_RSRC2:TIDIG_COMP_CNT: 0
; COMPUTE_PGM_RSRC3_GFX90A:ACCUM_OFFSET: 0
; COMPUTE_PGM_RSRC3_GFX90A:TG_SPLIT: 0
	.section	.text._ZN7rocprim17ROCPRIM_400000_NS6detail17trampoline_kernelINS0_14default_configENS1_25partition_config_selectorILNS1_17partition_subalgoE0EtNS0_10empty_typeEbEEZZNS1_14partition_implILS5_0ELb0ES3_jN6thrust23THRUST_200600_302600_NS6detail15normal_iteratorINSA_10device_ptrItEEEEPS6_SG_NS0_5tupleIJSF_SF_EEENSH_IJSG_SG_EEES6_PlJ7is_evenItEEEE10hipError_tPvRmT3_T4_T5_T6_T7_T9_mT8_P12ihipStream_tbDpT10_ENKUlT_T0_E_clISt17integral_constantIbLb1EES15_IbLb0EEEEDaS11_S12_EUlS11_E_NS1_11comp_targetILNS1_3genE10ELNS1_11target_archE1200ELNS1_3gpuE4ELNS1_3repE0EEENS1_30default_config_static_selectorELNS0_4arch9wavefront6targetE1EEEvT1_,"axG",@progbits,_ZN7rocprim17ROCPRIM_400000_NS6detail17trampoline_kernelINS0_14default_configENS1_25partition_config_selectorILNS1_17partition_subalgoE0EtNS0_10empty_typeEbEEZZNS1_14partition_implILS5_0ELb0ES3_jN6thrust23THRUST_200600_302600_NS6detail15normal_iteratorINSA_10device_ptrItEEEEPS6_SG_NS0_5tupleIJSF_SF_EEENSH_IJSG_SG_EEES6_PlJ7is_evenItEEEE10hipError_tPvRmT3_T4_T5_T6_T7_T9_mT8_P12ihipStream_tbDpT10_ENKUlT_T0_E_clISt17integral_constantIbLb1EES15_IbLb0EEEEDaS11_S12_EUlS11_E_NS1_11comp_targetILNS1_3genE10ELNS1_11target_archE1200ELNS1_3gpuE4ELNS1_3repE0EEENS1_30default_config_static_selectorELNS0_4arch9wavefront6targetE1EEEvT1_,comdat
	.protected	_ZN7rocprim17ROCPRIM_400000_NS6detail17trampoline_kernelINS0_14default_configENS1_25partition_config_selectorILNS1_17partition_subalgoE0EtNS0_10empty_typeEbEEZZNS1_14partition_implILS5_0ELb0ES3_jN6thrust23THRUST_200600_302600_NS6detail15normal_iteratorINSA_10device_ptrItEEEEPS6_SG_NS0_5tupleIJSF_SF_EEENSH_IJSG_SG_EEES6_PlJ7is_evenItEEEE10hipError_tPvRmT3_T4_T5_T6_T7_T9_mT8_P12ihipStream_tbDpT10_ENKUlT_T0_E_clISt17integral_constantIbLb1EES15_IbLb0EEEEDaS11_S12_EUlS11_E_NS1_11comp_targetILNS1_3genE10ELNS1_11target_archE1200ELNS1_3gpuE4ELNS1_3repE0EEENS1_30default_config_static_selectorELNS0_4arch9wavefront6targetE1EEEvT1_ ; -- Begin function _ZN7rocprim17ROCPRIM_400000_NS6detail17trampoline_kernelINS0_14default_configENS1_25partition_config_selectorILNS1_17partition_subalgoE0EtNS0_10empty_typeEbEEZZNS1_14partition_implILS5_0ELb0ES3_jN6thrust23THRUST_200600_302600_NS6detail15normal_iteratorINSA_10device_ptrItEEEEPS6_SG_NS0_5tupleIJSF_SF_EEENSH_IJSG_SG_EEES6_PlJ7is_evenItEEEE10hipError_tPvRmT3_T4_T5_T6_T7_T9_mT8_P12ihipStream_tbDpT10_ENKUlT_T0_E_clISt17integral_constantIbLb1EES15_IbLb0EEEEDaS11_S12_EUlS11_E_NS1_11comp_targetILNS1_3genE10ELNS1_11target_archE1200ELNS1_3gpuE4ELNS1_3repE0EEENS1_30default_config_static_selectorELNS0_4arch9wavefront6targetE1EEEvT1_
	.globl	_ZN7rocprim17ROCPRIM_400000_NS6detail17trampoline_kernelINS0_14default_configENS1_25partition_config_selectorILNS1_17partition_subalgoE0EtNS0_10empty_typeEbEEZZNS1_14partition_implILS5_0ELb0ES3_jN6thrust23THRUST_200600_302600_NS6detail15normal_iteratorINSA_10device_ptrItEEEEPS6_SG_NS0_5tupleIJSF_SF_EEENSH_IJSG_SG_EEES6_PlJ7is_evenItEEEE10hipError_tPvRmT3_T4_T5_T6_T7_T9_mT8_P12ihipStream_tbDpT10_ENKUlT_T0_E_clISt17integral_constantIbLb1EES15_IbLb0EEEEDaS11_S12_EUlS11_E_NS1_11comp_targetILNS1_3genE10ELNS1_11target_archE1200ELNS1_3gpuE4ELNS1_3repE0EEENS1_30default_config_static_selectorELNS0_4arch9wavefront6targetE1EEEvT1_
	.p2align	8
	.type	_ZN7rocprim17ROCPRIM_400000_NS6detail17trampoline_kernelINS0_14default_configENS1_25partition_config_selectorILNS1_17partition_subalgoE0EtNS0_10empty_typeEbEEZZNS1_14partition_implILS5_0ELb0ES3_jN6thrust23THRUST_200600_302600_NS6detail15normal_iteratorINSA_10device_ptrItEEEEPS6_SG_NS0_5tupleIJSF_SF_EEENSH_IJSG_SG_EEES6_PlJ7is_evenItEEEE10hipError_tPvRmT3_T4_T5_T6_T7_T9_mT8_P12ihipStream_tbDpT10_ENKUlT_T0_E_clISt17integral_constantIbLb1EES15_IbLb0EEEEDaS11_S12_EUlS11_E_NS1_11comp_targetILNS1_3genE10ELNS1_11target_archE1200ELNS1_3gpuE4ELNS1_3repE0EEENS1_30default_config_static_selectorELNS0_4arch9wavefront6targetE1EEEvT1_,@function
_ZN7rocprim17ROCPRIM_400000_NS6detail17trampoline_kernelINS0_14default_configENS1_25partition_config_selectorILNS1_17partition_subalgoE0EtNS0_10empty_typeEbEEZZNS1_14partition_implILS5_0ELb0ES3_jN6thrust23THRUST_200600_302600_NS6detail15normal_iteratorINSA_10device_ptrItEEEEPS6_SG_NS0_5tupleIJSF_SF_EEENSH_IJSG_SG_EEES6_PlJ7is_evenItEEEE10hipError_tPvRmT3_T4_T5_T6_T7_T9_mT8_P12ihipStream_tbDpT10_ENKUlT_T0_E_clISt17integral_constantIbLb1EES15_IbLb0EEEEDaS11_S12_EUlS11_E_NS1_11comp_targetILNS1_3genE10ELNS1_11target_archE1200ELNS1_3gpuE4ELNS1_3repE0EEENS1_30default_config_static_selectorELNS0_4arch9wavefront6targetE1EEEvT1_: ; @_ZN7rocprim17ROCPRIM_400000_NS6detail17trampoline_kernelINS0_14default_configENS1_25partition_config_selectorILNS1_17partition_subalgoE0EtNS0_10empty_typeEbEEZZNS1_14partition_implILS5_0ELb0ES3_jN6thrust23THRUST_200600_302600_NS6detail15normal_iteratorINSA_10device_ptrItEEEEPS6_SG_NS0_5tupleIJSF_SF_EEENSH_IJSG_SG_EEES6_PlJ7is_evenItEEEE10hipError_tPvRmT3_T4_T5_T6_T7_T9_mT8_P12ihipStream_tbDpT10_ENKUlT_T0_E_clISt17integral_constantIbLb1EES15_IbLb0EEEEDaS11_S12_EUlS11_E_NS1_11comp_targetILNS1_3genE10ELNS1_11target_archE1200ELNS1_3gpuE4ELNS1_3repE0EEENS1_30default_config_static_selectorELNS0_4arch9wavefront6targetE1EEEvT1_
; %bb.0:
	.section	.rodata,"a",@progbits
	.p2align	6, 0x0
	.amdhsa_kernel _ZN7rocprim17ROCPRIM_400000_NS6detail17trampoline_kernelINS0_14default_configENS1_25partition_config_selectorILNS1_17partition_subalgoE0EtNS0_10empty_typeEbEEZZNS1_14partition_implILS5_0ELb0ES3_jN6thrust23THRUST_200600_302600_NS6detail15normal_iteratorINSA_10device_ptrItEEEEPS6_SG_NS0_5tupleIJSF_SF_EEENSH_IJSG_SG_EEES6_PlJ7is_evenItEEEE10hipError_tPvRmT3_T4_T5_T6_T7_T9_mT8_P12ihipStream_tbDpT10_ENKUlT_T0_E_clISt17integral_constantIbLb1EES15_IbLb0EEEEDaS11_S12_EUlS11_E_NS1_11comp_targetILNS1_3genE10ELNS1_11target_archE1200ELNS1_3gpuE4ELNS1_3repE0EEENS1_30default_config_static_selectorELNS0_4arch9wavefront6targetE1EEEvT1_
		.amdhsa_group_segment_fixed_size 0
		.amdhsa_private_segment_fixed_size 0
		.amdhsa_kernarg_size 120
		.amdhsa_user_sgpr_count 2
		.amdhsa_user_sgpr_dispatch_ptr 0
		.amdhsa_user_sgpr_queue_ptr 0
		.amdhsa_user_sgpr_kernarg_segment_ptr 1
		.amdhsa_user_sgpr_dispatch_id 0
		.amdhsa_user_sgpr_kernarg_preload_length 0
		.amdhsa_user_sgpr_kernarg_preload_offset 0
		.amdhsa_user_sgpr_private_segment_size 0
		.amdhsa_uses_dynamic_stack 0
		.amdhsa_enable_private_segment 0
		.amdhsa_system_sgpr_workgroup_id_x 1
		.amdhsa_system_sgpr_workgroup_id_y 0
		.amdhsa_system_sgpr_workgroup_id_z 0
		.amdhsa_system_sgpr_workgroup_info 0
		.amdhsa_system_vgpr_workitem_id 0
		.amdhsa_next_free_vgpr 1
		.amdhsa_next_free_sgpr 0
		.amdhsa_accum_offset 4
		.amdhsa_reserve_vcc 0
		.amdhsa_float_round_mode_32 0
		.amdhsa_float_round_mode_16_64 0
		.amdhsa_float_denorm_mode_32 3
		.amdhsa_float_denorm_mode_16_64 3
		.amdhsa_dx10_clamp 1
		.amdhsa_ieee_mode 1
		.amdhsa_fp16_overflow 0
		.amdhsa_tg_split 0
		.amdhsa_exception_fp_ieee_invalid_op 0
		.amdhsa_exception_fp_denorm_src 0
		.amdhsa_exception_fp_ieee_div_zero 0
		.amdhsa_exception_fp_ieee_overflow 0
		.amdhsa_exception_fp_ieee_underflow 0
		.amdhsa_exception_fp_ieee_inexact 0
		.amdhsa_exception_int_div_zero 0
	.end_amdhsa_kernel
	.section	.text._ZN7rocprim17ROCPRIM_400000_NS6detail17trampoline_kernelINS0_14default_configENS1_25partition_config_selectorILNS1_17partition_subalgoE0EtNS0_10empty_typeEbEEZZNS1_14partition_implILS5_0ELb0ES3_jN6thrust23THRUST_200600_302600_NS6detail15normal_iteratorINSA_10device_ptrItEEEEPS6_SG_NS0_5tupleIJSF_SF_EEENSH_IJSG_SG_EEES6_PlJ7is_evenItEEEE10hipError_tPvRmT3_T4_T5_T6_T7_T9_mT8_P12ihipStream_tbDpT10_ENKUlT_T0_E_clISt17integral_constantIbLb1EES15_IbLb0EEEEDaS11_S12_EUlS11_E_NS1_11comp_targetILNS1_3genE10ELNS1_11target_archE1200ELNS1_3gpuE4ELNS1_3repE0EEENS1_30default_config_static_selectorELNS0_4arch9wavefront6targetE1EEEvT1_,"axG",@progbits,_ZN7rocprim17ROCPRIM_400000_NS6detail17trampoline_kernelINS0_14default_configENS1_25partition_config_selectorILNS1_17partition_subalgoE0EtNS0_10empty_typeEbEEZZNS1_14partition_implILS5_0ELb0ES3_jN6thrust23THRUST_200600_302600_NS6detail15normal_iteratorINSA_10device_ptrItEEEEPS6_SG_NS0_5tupleIJSF_SF_EEENSH_IJSG_SG_EEES6_PlJ7is_evenItEEEE10hipError_tPvRmT3_T4_T5_T6_T7_T9_mT8_P12ihipStream_tbDpT10_ENKUlT_T0_E_clISt17integral_constantIbLb1EES15_IbLb0EEEEDaS11_S12_EUlS11_E_NS1_11comp_targetILNS1_3genE10ELNS1_11target_archE1200ELNS1_3gpuE4ELNS1_3repE0EEENS1_30default_config_static_selectorELNS0_4arch9wavefront6targetE1EEEvT1_,comdat
.Lfunc_end2191:
	.size	_ZN7rocprim17ROCPRIM_400000_NS6detail17trampoline_kernelINS0_14default_configENS1_25partition_config_selectorILNS1_17partition_subalgoE0EtNS0_10empty_typeEbEEZZNS1_14partition_implILS5_0ELb0ES3_jN6thrust23THRUST_200600_302600_NS6detail15normal_iteratorINSA_10device_ptrItEEEEPS6_SG_NS0_5tupleIJSF_SF_EEENSH_IJSG_SG_EEES6_PlJ7is_evenItEEEE10hipError_tPvRmT3_T4_T5_T6_T7_T9_mT8_P12ihipStream_tbDpT10_ENKUlT_T0_E_clISt17integral_constantIbLb1EES15_IbLb0EEEEDaS11_S12_EUlS11_E_NS1_11comp_targetILNS1_3genE10ELNS1_11target_archE1200ELNS1_3gpuE4ELNS1_3repE0EEENS1_30default_config_static_selectorELNS0_4arch9wavefront6targetE1EEEvT1_, .Lfunc_end2191-_ZN7rocprim17ROCPRIM_400000_NS6detail17trampoline_kernelINS0_14default_configENS1_25partition_config_selectorILNS1_17partition_subalgoE0EtNS0_10empty_typeEbEEZZNS1_14partition_implILS5_0ELb0ES3_jN6thrust23THRUST_200600_302600_NS6detail15normal_iteratorINSA_10device_ptrItEEEEPS6_SG_NS0_5tupleIJSF_SF_EEENSH_IJSG_SG_EEES6_PlJ7is_evenItEEEE10hipError_tPvRmT3_T4_T5_T6_T7_T9_mT8_P12ihipStream_tbDpT10_ENKUlT_T0_E_clISt17integral_constantIbLb1EES15_IbLb0EEEEDaS11_S12_EUlS11_E_NS1_11comp_targetILNS1_3genE10ELNS1_11target_archE1200ELNS1_3gpuE4ELNS1_3repE0EEENS1_30default_config_static_selectorELNS0_4arch9wavefront6targetE1EEEvT1_
                                        ; -- End function
	.section	.AMDGPU.csdata,"",@progbits
; Kernel info:
; codeLenInByte = 0
; NumSgprs: 6
; NumVgprs: 0
; NumAgprs: 0
; TotalNumVgprs: 0
; ScratchSize: 0
; MemoryBound: 0
; FloatMode: 240
; IeeeMode: 1
; LDSByteSize: 0 bytes/workgroup (compile time only)
; SGPRBlocks: 0
; VGPRBlocks: 0
; NumSGPRsForWavesPerEU: 6
; NumVGPRsForWavesPerEU: 1
; AccumOffset: 4
; Occupancy: 8
; WaveLimiterHint : 0
; COMPUTE_PGM_RSRC2:SCRATCH_EN: 0
; COMPUTE_PGM_RSRC2:USER_SGPR: 2
; COMPUTE_PGM_RSRC2:TRAP_HANDLER: 0
; COMPUTE_PGM_RSRC2:TGID_X_EN: 1
; COMPUTE_PGM_RSRC2:TGID_Y_EN: 0
; COMPUTE_PGM_RSRC2:TGID_Z_EN: 0
; COMPUTE_PGM_RSRC2:TIDIG_COMP_CNT: 0
; COMPUTE_PGM_RSRC3_GFX90A:ACCUM_OFFSET: 0
; COMPUTE_PGM_RSRC3_GFX90A:TG_SPLIT: 0
	.section	.text._ZN7rocprim17ROCPRIM_400000_NS6detail17trampoline_kernelINS0_14default_configENS1_25partition_config_selectorILNS1_17partition_subalgoE0EtNS0_10empty_typeEbEEZZNS1_14partition_implILS5_0ELb0ES3_jN6thrust23THRUST_200600_302600_NS6detail15normal_iteratorINSA_10device_ptrItEEEEPS6_SG_NS0_5tupleIJSF_SF_EEENSH_IJSG_SG_EEES6_PlJ7is_evenItEEEE10hipError_tPvRmT3_T4_T5_T6_T7_T9_mT8_P12ihipStream_tbDpT10_ENKUlT_T0_E_clISt17integral_constantIbLb1EES15_IbLb0EEEEDaS11_S12_EUlS11_E_NS1_11comp_targetILNS1_3genE9ELNS1_11target_archE1100ELNS1_3gpuE3ELNS1_3repE0EEENS1_30default_config_static_selectorELNS0_4arch9wavefront6targetE1EEEvT1_,"axG",@progbits,_ZN7rocprim17ROCPRIM_400000_NS6detail17trampoline_kernelINS0_14default_configENS1_25partition_config_selectorILNS1_17partition_subalgoE0EtNS0_10empty_typeEbEEZZNS1_14partition_implILS5_0ELb0ES3_jN6thrust23THRUST_200600_302600_NS6detail15normal_iteratorINSA_10device_ptrItEEEEPS6_SG_NS0_5tupleIJSF_SF_EEENSH_IJSG_SG_EEES6_PlJ7is_evenItEEEE10hipError_tPvRmT3_T4_T5_T6_T7_T9_mT8_P12ihipStream_tbDpT10_ENKUlT_T0_E_clISt17integral_constantIbLb1EES15_IbLb0EEEEDaS11_S12_EUlS11_E_NS1_11comp_targetILNS1_3genE9ELNS1_11target_archE1100ELNS1_3gpuE3ELNS1_3repE0EEENS1_30default_config_static_selectorELNS0_4arch9wavefront6targetE1EEEvT1_,comdat
	.protected	_ZN7rocprim17ROCPRIM_400000_NS6detail17trampoline_kernelINS0_14default_configENS1_25partition_config_selectorILNS1_17partition_subalgoE0EtNS0_10empty_typeEbEEZZNS1_14partition_implILS5_0ELb0ES3_jN6thrust23THRUST_200600_302600_NS6detail15normal_iteratorINSA_10device_ptrItEEEEPS6_SG_NS0_5tupleIJSF_SF_EEENSH_IJSG_SG_EEES6_PlJ7is_evenItEEEE10hipError_tPvRmT3_T4_T5_T6_T7_T9_mT8_P12ihipStream_tbDpT10_ENKUlT_T0_E_clISt17integral_constantIbLb1EES15_IbLb0EEEEDaS11_S12_EUlS11_E_NS1_11comp_targetILNS1_3genE9ELNS1_11target_archE1100ELNS1_3gpuE3ELNS1_3repE0EEENS1_30default_config_static_selectorELNS0_4arch9wavefront6targetE1EEEvT1_ ; -- Begin function _ZN7rocprim17ROCPRIM_400000_NS6detail17trampoline_kernelINS0_14default_configENS1_25partition_config_selectorILNS1_17partition_subalgoE0EtNS0_10empty_typeEbEEZZNS1_14partition_implILS5_0ELb0ES3_jN6thrust23THRUST_200600_302600_NS6detail15normal_iteratorINSA_10device_ptrItEEEEPS6_SG_NS0_5tupleIJSF_SF_EEENSH_IJSG_SG_EEES6_PlJ7is_evenItEEEE10hipError_tPvRmT3_T4_T5_T6_T7_T9_mT8_P12ihipStream_tbDpT10_ENKUlT_T0_E_clISt17integral_constantIbLb1EES15_IbLb0EEEEDaS11_S12_EUlS11_E_NS1_11comp_targetILNS1_3genE9ELNS1_11target_archE1100ELNS1_3gpuE3ELNS1_3repE0EEENS1_30default_config_static_selectorELNS0_4arch9wavefront6targetE1EEEvT1_
	.globl	_ZN7rocprim17ROCPRIM_400000_NS6detail17trampoline_kernelINS0_14default_configENS1_25partition_config_selectorILNS1_17partition_subalgoE0EtNS0_10empty_typeEbEEZZNS1_14partition_implILS5_0ELb0ES3_jN6thrust23THRUST_200600_302600_NS6detail15normal_iteratorINSA_10device_ptrItEEEEPS6_SG_NS0_5tupleIJSF_SF_EEENSH_IJSG_SG_EEES6_PlJ7is_evenItEEEE10hipError_tPvRmT3_T4_T5_T6_T7_T9_mT8_P12ihipStream_tbDpT10_ENKUlT_T0_E_clISt17integral_constantIbLb1EES15_IbLb0EEEEDaS11_S12_EUlS11_E_NS1_11comp_targetILNS1_3genE9ELNS1_11target_archE1100ELNS1_3gpuE3ELNS1_3repE0EEENS1_30default_config_static_selectorELNS0_4arch9wavefront6targetE1EEEvT1_
	.p2align	8
	.type	_ZN7rocprim17ROCPRIM_400000_NS6detail17trampoline_kernelINS0_14default_configENS1_25partition_config_selectorILNS1_17partition_subalgoE0EtNS0_10empty_typeEbEEZZNS1_14partition_implILS5_0ELb0ES3_jN6thrust23THRUST_200600_302600_NS6detail15normal_iteratorINSA_10device_ptrItEEEEPS6_SG_NS0_5tupleIJSF_SF_EEENSH_IJSG_SG_EEES6_PlJ7is_evenItEEEE10hipError_tPvRmT3_T4_T5_T6_T7_T9_mT8_P12ihipStream_tbDpT10_ENKUlT_T0_E_clISt17integral_constantIbLb1EES15_IbLb0EEEEDaS11_S12_EUlS11_E_NS1_11comp_targetILNS1_3genE9ELNS1_11target_archE1100ELNS1_3gpuE3ELNS1_3repE0EEENS1_30default_config_static_selectorELNS0_4arch9wavefront6targetE1EEEvT1_,@function
_ZN7rocprim17ROCPRIM_400000_NS6detail17trampoline_kernelINS0_14default_configENS1_25partition_config_selectorILNS1_17partition_subalgoE0EtNS0_10empty_typeEbEEZZNS1_14partition_implILS5_0ELb0ES3_jN6thrust23THRUST_200600_302600_NS6detail15normal_iteratorINSA_10device_ptrItEEEEPS6_SG_NS0_5tupleIJSF_SF_EEENSH_IJSG_SG_EEES6_PlJ7is_evenItEEEE10hipError_tPvRmT3_T4_T5_T6_T7_T9_mT8_P12ihipStream_tbDpT10_ENKUlT_T0_E_clISt17integral_constantIbLb1EES15_IbLb0EEEEDaS11_S12_EUlS11_E_NS1_11comp_targetILNS1_3genE9ELNS1_11target_archE1100ELNS1_3gpuE3ELNS1_3repE0EEENS1_30default_config_static_selectorELNS0_4arch9wavefront6targetE1EEEvT1_: ; @_ZN7rocprim17ROCPRIM_400000_NS6detail17trampoline_kernelINS0_14default_configENS1_25partition_config_selectorILNS1_17partition_subalgoE0EtNS0_10empty_typeEbEEZZNS1_14partition_implILS5_0ELb0ES3_jN6thrust23THRUST_200600_302600_NS6detail15normal_iteratorINSA_10device_ptrItEEEEPS6_SG_NS0_5tupleIJSF_SF_EEENSH_IJSG_SG_EEES6_PlJ7is_evenItEEEE10hipError_tPvRmT3_T4_T5_T6_T7_T9_mT8_P12ihipStream_tbDpT10_ENKUlT_T0_E_clISt17integral_constantIbLb1EES15_IbLb0EEEEDaS11_S12_EUlS11_E_NS1_11comp_targetILNS1_3genE9ELNS1_11target_archE1100ELNS1_3gpuE3ELNS1_3repE0EEENS1_30default_config_static_selectorELNS0_4arch9wavefront6targetE1EEEvT1_
; %bb.0:
	.section	.rodata,"a",@progbits
	.p2align	6, 0x0
	.amdhsa_kernel _ZN7rocprim17ROCPRIM_400000_NS6detail17trampoline_kernelINS0_14default_configENS1_25partition_config_selectorILNS1_17partition_subalgoE0EtNS0_10empty_typeEbEEZZNS1_14partition_implILS5_0ELb0ES3_jN6thrust23THRUST_200600_302600_NS6detail15normal_iteratorINSA_10device_ptrItEEEEPS6_SG_NS0_5tupleIJSF_SF_EEENSH_IJSG_SG_EEES6_PlJ7is_evenItEEEE10hipError_tPvRmT3_T4_T5_T6_T7_T9_mT8_P12ihipStream_tbDpT10_ENKUlT_T0_E_clISt17integral_constantIbLb1EES15_IbLb0EEEEDaS11_S12_EUlS11_E_NS1_11comp_targetILNS1_3genE9ELNS1_11target_archE1100ELNS1_3gpuE3ELNS1_3repE0EEENS1_30default_config_static_selectorELNS0_4arch9wavefront6targetE1EEEvT1_
		.amdhsa_group_segment_fixed_size 0
		.amdhsa_private_segment_fixed_size 0
		.amdhsa_kernarg_size 120
		.amdhsa_user_sgpr_count 2
		.amdhsa_user_sgpr_dispatch_ptr 0
		.amdhsa_user_sgpr_queue_ptr 0
		.amdhsa_user_sgpr_kernarg_segment_ptr 1
		.amdhsa_user_sgpr_dispatch_id 0
		.amdhsa_user_sgpr_kernarg_preload_length 0
		.amdhsa_user_sgpr_kernarg_preload_offset 0
		.amdhsa_user_sgpr_private_segment_size 0
		.amdhsa_uses_dynamic_stack 0
		.amdhsa_enable_private_segment 0
		.amdhsa_system_sgpr_workgroup_id_x 1
		.amdhsa_system_sgpr_workgroup_id_y 0
		.amdhsa_system_sgpr_workgroup_id_z 0
		.amdhsa_system_sgpr_workgroup_info 0
		.amdhsa_system_vgpr_workitem_id 0
		.amdhsa_next_free_vgpr 1
		.amdhsa_next_free_sgpr 0
		.amdhsa_accum_offset 4
		.amdhsa_reserve_vcc 0
		.amdhsa_float_round_mode_32 0
		.amdhsa_float_round_mode_16_64 0
		.amdhsa_float_denorm_mode_32 3
		.amdhsa_float_denorm_mode_16_64 3
		.amdhsa_dx10_clamp 1
		.amdhsa_ieee_mode 1
		.amdhsa_fp16_overflow 0
		.amdhsa_tg_split 0
		.amdhsa_exception_fp_ieee_invalid_op 0
		.amdhsa_exception_fp_denorm_src 0
		.amdhsa_exception_fp_ieee_div_zero 0
		.amdhsa_exception_fp_ieee_overflow 0
		.amdhsa_exception_fp_ieee_underflow 0
		.amdhsa_exception_fp_ieee_inexact 0
		.amdhsa_exception_int_div_zero 0
	.end_amdhsa_kernel
	.section	.text._ZN7rocprim17ROCPRIM_400000_NS6detail17trampoline_kernelINS0_14default_configENS1_25partition_config_selectorILNS1_17partition_subalgoE0EtNS0_10empty_typeEbEEZZNS1_14partition_implILS5_0ELb0ES3_jN6thrust23THRUST_200600_302600_NS6detail15normal_iteratorINSA_10device_ptrItEEEEPS6_SG_NS0_5tupleIJSF_SF_EEENSH_IJSG_SG_EEES6_PlJ7is_evenItEEEE10hipError_tPvRmT3_T4_T5_T6_T7_T9_mT8_P12ihipStream_tbDpT10_ENKUlT_T0_E_clISt17integral_constantIbLb1EES15_IbLb0EEEEDaS11_S12_EUlS11_E_NS1_11comp_targetILNS1_3genE9ELNS1_11target_archE1100ELNS1_3gpuE3ELNS1_3repE0EEENS1_30default_config_static_selectorELNS0_4arch9wavefront6targetE1EEEvT1_,"axG",@progbits,_ZN7rocprim17ROCPRIM_400000_NS6detail17trampoline_kernelINS0_14default_configENS1_25partition_config_selectorILNS1_17partition_subalgoE0EtNS0_10empty_typeEbEEZZNS1_14partition_implILS5_0ELb0ES3_jN6thrust23THRUST_200600_302600_NS6detail15normal_iteratorINSA_10device_ptrItEEEEPS6_SG_NS0_5tupleIJSF_SF_EEENSH_IJSG_SG_EEES6_PlJ7is_evenItEEEE10hipError_tPvRmT3_T4_T5_T6_T7_T9_mT8_P12ihipStream_tbDpT10_ENKUlT_T0_E_clISt17integral_constantIbLb1EES15_IbLb0EEEEDaS11_S12_EUlS11_E_NS1_11comp_targetILNS1_3genE9ELNS1_11target_archE1100ELNS1_3gpuE3ELNS1_3repE0EEENS1_30default_config_static_selectorELNS0_4arch9wavefront6targetE1EEEvT1_,comdat
.Lfunc_end2192:
	.size	_ZN7rocprim17ROCPRIM_400000_NS6detail17trampoline_kernelINS0_14default_configENS1_25partition_config_selectorILNS1_17partition_subalgoE0EtNS0_10empty_typeEbEEZZNS1_14partition_implILS5_0ELb0ES3_jN6thrust23THRUST_200600_302600_NS6detail15normal_iteratorINSA_10device_ptrItEEEEPS6_SG_NS0_5tupleIJSF_SF_EEENSH_IJSG_SG_EEES6_PlJ7is_evenItEEEE10hipError_tPvRmT3_T4_T5_T6_T7_T9_mT8_P12ihipStream_tbDpT10_ENKUlT_T0_E_clISt17integral_constantIbLb1EES15_IbLb0EEEEDaS11_S12_EUlS11_E_NS1_11comp_targetILNS1_3genE9ELNS1_11target_archE1100ELNS1_3gpuE3ELNS1_3repE0EEENS1_30default_config_static_selectorELNS0_4arch9wavefront6targetE1EEEvT1_, .Lfunc_end2192-_ZN7rocprim17ROCPRIM_400000_NS6detail17trampoline_kernelINS0_14default_configENS1_25partition_config_selectorILNS1_17partition_subalgoE0EtNS0_10empty_typeEbEEZZNS1_14partition_implILS5_0ELb0ES3_jN6thrust23THRUST_200600_302600_NS6detail15normal_iteratorINSA_10device_ptrItEEEEPS6_SG_NS0_5tupleIJSF_SF_EEENSH_IJSG_SG_EEES6_PlJ7is_evenItEEEE10hipError_tPvRmT3_T4_T5_T6_T7_T9_mT8_P12ihipStream_tbDpT10_ENKUlT_T0_E_clISt17integral_constantIbLb1EES15_IbLb0EEEEDaS11_S12_EUlS11_E_NS1_11comp_targetILNS1_3genE9ELNS1_11target_archE1100ELNS1_3gpuE3ELNS1_3repE0EEENS1_30default_config_static_selectorELNS0_4arch9wavefront6targetE1EEEvT1_
                                        ; -- End function
	.section	.AMDGPU.csdata,"",@progbits
; Kernel info:
; codeLenInByte = 0
; NumSgprs: 6
; NumVgprs: 0
; NumAgprs: 0
; TotalNumVgprs: 0
; ScratchSize: 0
; MemoryBound: 0
; FloatMode: 240
; IeeeMode: 1
; LDSByteSize: 0 bytes/workgroup (compile time only)
; SGPRBlocks: 0
; VGPRBlocks: 0
; NumSGPRsForWavesPerEU: 6
; NumVGPRsForWavesPerEU: 1
; AccumOffset: 4
; Occupancy: 8
; WaveLimiterHint : 0
; COMPUTE_PGM_RSRC2:SCRATCH_EN: 0
; COMPUTE_PGM_RSRC2:USER_SGPR: 2
; COMPUTE_PGM_RSRC2:TRAP_HANDLER: 0
; COMPUTE_PGM_RSRC2:TGID_X_EN: 1
; COMPUTE_PGM_RSRC2:TGID_Y_EN: 0
; COMPUTE_PGM_RSRC2:TGID_Z_EN: 0
; COMPUTE_PGM_RSRC2:TIDIG_COMP_CNT: 0
; COMPUTE_PGM_RSRC3_GFX90A:ACCUM_OFFSET: 0
; COMPUTE_PGM_RSRC3_GFX90A:TG_SPLIT: 0
	.section	.text._ZN7rocprim17ROCPRIM_400000_NS6detail17trampoline_kernelINS0_14default_configENS1_25partition_config_selectorILNS1_17partition_subalgoE0EtNS0_10empty_typeEbEEZZNS1_14partition_implILS5_0ELb0ES3_jN6thrust23THRUST_200600_302600_NS6detail15normal_iteratorINSA_10device_ptrItEEEEPS6_SG_NS0_5tupleIJSF_SF_EEENSH_IJSG_SG_EEES6_PlJ7is_evenItEEEE10hipError_tPvRmT3_T4_T5_T6_T7_T9_mT8_P12ihipStream_tbDpT10_ENKUlT_T0_E_clISt17integral_constantIbLb1EES15_IbLb0EEEEDaS11_S12_EUlS11_E_NS1_11comp_targetILNS1_3genE8ELNS1_11target_archE1030ELNS1_3gpuE2ELNS1_3repE0EEENS1_30default_config_static_selectorELNS0_4arch9wavefront6targetE1EEEvT1_,"axG",@progbits,_ZN7rocprim17ROCPRIM_400000_NS6detail17trampoline_kernelINS0_14default_configENS1_25partition_config_selectorILNS1_17partition_subalgoE0EtNS0_10empty_typeEbEEZZNS1_14partition_implILS5_0ELb0ES3_jN6thrust23THRUST_200600_302600_NS6detail15normal_iteratorINSA_10device_ptrItEEEEPS6_SG_NS0_5tupleIJSF_SF_EEENSH_IJSG_SG_EEES6_PlJ7is_evenItEEEE10hipError_tPvRmT3_T4_T5_T6_T7_T9_mT8_P12ihipStream_tbDpT10_ENKUlT_T0_E_clISt17integral_constantIbLb1EES15_IbLb0EEEEDaS11_S12_EUlS11_E_NS1_11comp_targetILNS1_3genE8ELNS1_11target_archE1030ELNS1_3gpuE2ELNS1_3repE0EEENS1_30default_config_static_selectorELNS0_4arch9wavefront6targetE1EEEvT1_,comdat
	.protected	_ZN7rocprim17ROCPRIM_400000_NS6detail17trampoline_kernelINS0_14default_configENS1_25partition_config_selectorILNS1_17partition_subalgoE0EtNS0_10empty_typeEbEEZZNS1_14partition_implILS5_0ELb0ES3_jN6thrust23THRUST_200600_302600_NS6detail15normal_iteratorINSA_10device_ptrItEEEEPS6_SG_NS0_5tupleIJSF_SF_EEENSH_IJSG_SG_EEES6_PlJ7is_evenItEEEE10hipError_tPvRmT3_T4_T5_T6_T7_T9_mT8_P12ihipStream_tbDpT10_ENKUlT_T0_E_clISt17integral_constantIbLb1EES15_IbLb0EEEEDaS11_S12_EUlS11_E_NS1_11comp_targetILNS1_3genE8ELNS1_11target_archE1030ELNS1_3gpuE2ELNS1_3repE0EEENS1_30default_config_static_selectorELNS0_4arch9wavefront6targetE1EEEvT1_ ; -- Begin function _ZN7rocprim17ROCPRIM_400000_NS6detail17trampoline_kernelINS0_14default_configENS1_25partition_config_selectorILNS1_17partition_subalgoE0EtNS0_10empty_typeEbEEZZNS1_14partition_implILS5_0ELb0ES3_jN6thrust23THRUST_200600_302600_NS6detail15normal_iteratorINSA_10device_ptrItEEEEPS6_SG_NS0_5tupleIJSF_SF_EEENSH_IJSG_SG_EEES6_PlJ7is_evenItEEEE10hipError_tPvRmT3_T4_T5_T6_T7_T9_mT8_P12ihipStream_tbDpT10_ENKUlT_T0_E_clISt17integral_constantIbLb1EES15_IbLb0EEEEDaS11_S12_EUlS11_E_NS1_11comp_targetILNS1_3genE8ELNS1_11target_archE1030ELNS1_3gpuE2ELNS1_3repE0EEENS1_30default_config_static_selectorELNS0_4arch9wavefront6targetE1EEEvT1_
	.globl	_ZN7rocprim17ROCPRIM_400000_NS6detail17trampoline_kernelINS0_14default_configENS1_25partition_config_selectorILNS1_17partition_subalgoE0EtNS0_10empty_typeEbEEZZNS1_14partition_implILS5_0ELb0ES3_jN6thrust23THRUST_200600_302600_NS6detail15normal_iteratorINSA_10device_ptrItEEEEPS6_SG_NS0_5tupleIJSF_SF_EEENSH_IJSG_SG_EEES6_PlJ7is_evenItEEEE10hipError_tPvRmT3_T4_T5_T6_T7_T9_mT8_P12ihipStream_tbDpT10_ENKUlT_T0_E_clISt17integral_constantIbLb1EES15_IbLb0EEEEDaS11_S12_EUlS11_E_NS1_11comp_targetILNS1_3genE8ELNS1_11target_archE1030ELNS1_3gpuE2ELNS1_3repE0EEENS1_30default_config_static_selectorELNS0_4arch9wavefront6targetE1EEEvT1_
	.p2align	8
	.type	_ZN7rocprim17ROCPRIM_400000_NS6detail17trampoline_kernelINS0_14default_configENS1_25partition_config_selectorILNS1_17partition_subalgoE0EtNS0_10empty_typeEbEEZZNS1_14partition_implILS5_0ELb0ES3_jN6thrust23THRUST_200600_302600_NS6detail15normal_iteratorINSA_10device_ptrItEEEEPS6_SG_NS0_5tupleIJSF_SF_EEENSH_IJSG_SG_EEES6_PlJ7is_evenItEEEE10hipError_tPvRmT3_T4_T5_T6_T7_T9_mT8_P12ihipStream_tbDpT10_ENKUlT_T0_E_clISt17integral_constantIbLb1EES15_IbLb0EEEEDaS11_S12_EUlS11_E_NS1_11comp_targetILNS1_3genE8ELNS1_11target_archE1030ELNS1_3gpuE2ELNS1_3repE0EEENS1_30default_config_static_selectorELNS0_4arch9wavefront6targetE1EEEvT1_,@function
_ZN7rocprim17ROCPRIM_400000_NS6detail17trampoline_kernelINS0_14default_configENS1_25partition_config_selectorILNS1_17partition_subalgoE0EtNS0_10empty_typeEbEEZZNS1_14partition_implILS5_0ELb0ES3_jN6thrust23THRUST_200600_302600_NS6detail15normal_iteratorINSA_10device_ptrItEEEEPS6_SG_NS0_5tupleIJSF_SF_EEENSH_IJSG_SG_EEES6_PlJ7is_evenItEEEE10hipError_tPvRmT3_T4_T5_T6_T7_T9_mT8_P12ihipStream_tbDpT10_ENKUlT_T0_E_clISt17integral_constantIbLb1EES15_IbLb0EEEEDaS11_S12_EUlS11_E_NS1_11comp_targetILNS1_3genE8ELNS1_11target_archE1030ELNS1_3gpuE2ELNS1_3repE0EEENS1_30default_config_static_selectorELNS0_4arch9wavefront6targetE1EEEvT1_: ; @_ZN7rocprim17ROCPRIM_400000_NS6detail17trampoline_kernelINS0_14default_configENS1_25partition_config_selectorILNS1_17partition_subalgoE0EtNS0_10empty_typeEbEEZZNS1_14partition_implILS5_0ELb0ES3_jN6thrust23THRUST_200600_302600_NS6detail15normal_iteratorINSA_10device_ptrItEEEEPS6_SG_NS0_5tupleIJSF_SF_EEENSH_IJSG_SG_EEES6_PlJ7is_evenItEEEE10hipError_tPvRmT3_T4_T5_T6_T7_T9_mT8_P12ihipStream_tbDpT10_ENKUlT_T0_E_clISt17integral_constantIbLb1EES15_IbLb0EEEEDaS11_S12_EUlS11_E_NS1_11comp_targetILNS1_3genE8ELNS1_11target_archE1030ELNS1_3gpuE2ELNS1_3repE0EEENS1_30default_config_static_selectorELNS0_4arch9wavefront6targetE1EEEvT1_
; %bb.0:
	.section	.rodata,"a",@progbits
	.p2align	6, 0x0
	.amdhsa_kernel _ZN7rocprim17ROCPRIM_400000_NS6detail17trampoline_kernelINS0_14default_configENS1_25partition_config_selectorILNS1_17partition_subalgoE0EtNS0_10empty_typeEbEEZZNS1_14partition_implILS5_0ELb0ES3_jN6thrust23THRUST_200600_302600_NS6detail15normal_iteratorINSA_10device_ptrItEEEEPS6_SG_NS0_5tupleIJSF_SF_EEENSH_IJSG_SG_EEES6_PlJ7is_evenItEEEE10hipError_tPvRmT3_T4_T5_T6_T7_T9_mT8_P12ihipStream_tbDpT10_ENKUlT_T0_E_clISt17integral_constantIbLb1EES15_IbLb0EEEEDaS11_S12_EUlS11_E_NS1_11comp_targetILNS1_3genE8ELNS1_11target_archE1030ELNS1_3gpuE2ELNS1_3repE0EEENS1_30default_config_static_selectorELNS0_4arch9wavefront6targetE1EEEvT1_
		.amdhsa_group_segment_fixed_size 0
		.amdhsa_private_segment_fixed_size 0
		.amdhsa_kernarg_size 120
		.amdhsa_user_sgpr_count 2
		.amdhsa_user_sgpr_dispatch_ptr 0
		.amdhsa_user_sgpr_queue_ptr 0
		.amdhsa_user_sgpr_kernarg_segment_ptr 1
		.amdhsa_user_sgpr_dispatch_id 0
		.amdhsa_user_sgpr_kernarg_preload_length 0
		.amdhsa_user_sgpr_kernarg_preload_offset 0
		.amdhsa_user_sgpr_private_segment_size 0
		.amdhsa_uses_dynamic_stack 0
		.amdhsa_enable_private_segment 0
		.amdhsa_system_sgpr_workgroup_id_x 1
		.amdhsa_system_sgpr_workgroup_id_y 0
		.amdhsa_system_sgpr_workgroup_id_z 0
		.amdhsa_system_sgpr_workgroup_info 0
		.amdhsa_system_vgpr_workitem_id 0
		.amdhsa_next_free_vgpr 1
		.amdhsa_next_free_sgpr 0
		.amdhsa_accum_offset 4
		.amdhsa_reserve_vcc 0
		.amdhsa_float_round_mode_32 0
		.amdhsa_float_round_mode_16_64 0
		.amdhsa_float_denorm_mode_32 3
		.amdhsa_float_denorm_mode_16_64 3
		.amdhsa_dx10_clamp 1
		.amdhsa_ieee_mode 1
		.amdhsa_fp16_overflow 0
		.amdhsa_tg_split 0
		.amdhsa_exception_fp_ieee_invalid_op 0
		.amdhsa_exception_fp_denorm_src 0
		.amdhsa_exception_fp_ieee_div_zero 0
		.amdhsa_exception_fp_ieee_overflow 0
		.amdhsa_exception_fp_ieee_underflow 0
		.amdhsa_exception_fp_ieee_inexact 0
		.amdhsa_exception_int_div_zero 0
	.end_amdhsa_kernel
	.section	.text._ZN7rocprim17ROCPRIM_400000_NS6detail17trampoline_kernelINS0_14default_configENS1_25partition_config_selectorILNS1_17partition_subalgoE0EtNS0_10empty_typeEbEEZZNS1_14partition_implILS5_0ELb0ES3_jN6thrust23THRUST_200600_302600_NS6detail15normal_iteratorINSA_10device_ptrItEEEEPS6_SG_NS0_5tupleIJSF_SF_EEENSH_IJSG_SG_EEES6_PlJ7is_evenItEEEE10hipError_tPvRmT3_T4_T5_T6_T7_T9_mT8_P12ihipStream_tbDpT10_ENKUlT_T0_E_clISt17integral_constantIbLb1EES15_IbLb0EEEEDaS11_S12_EUlS11_E_NS1_11comp_targetILNS1_3genE8ELNS1_11target_archE1030ELNS1_3gpuE2ELNS1_3repE0EEENS1_30default_config_static_selectorELNS0_4arch9wavefront6targetE1EEEvT1_,"axG",@progbits,_ZN7rocprim17ROCPRIM_400000_NS6detail17trampoline_kernelINS0_14default_configENS1_25partition_config_selectorILNS1_17partition_subalgoE0EtNS0_10empty_typeEbEEZZNS1_14partition_implILS5_0ELb0ES3_jN6thrust23THRUST_200600_302600_NS6detail15normal_iteratorINSA_10device_ptrItEEEEPS6_SG_NS0_5tupleIJSF_SF_EEENSH_IJSG_SG_EEES6_PlJ7is_evenItEEEE10hipError_tPvRmT3_T4_T5_T6_T7_T9_mT8_P12ihipStream_tbDpT10_ENKUlT_T0_E_clISt17integral_constantIbLb1EES15_IbLb0EEEEDaS11_S12_EUlS11_E_NS1_11comp_targetILNS1_3genE8ELNS1_11target_archE1030ELNS1_3gpuE2ELNS1_3repE0EEENS1_30default_config_static_selectorELNS0_4arch9wavefront6targetE1EEEvT1_,comdat
.Lfunc_end2193:
	.size	_ZN7rocprim17ROCPRIM_400000_NS6detail17trampoline_kernelINS0_14default_configENS1_25partition_config_selectorILNS1_17partition_subalgoE0EtNS0_10empty_typeEbEEZZNS1_14partition_implILS5_0ELb0ES3_jN6thrust23THRUST_200600_302600_NS6detail15normal_iteratorINSA_10device_ptrItEEEEPS6_SG_NS0_5tupleIJSF_SF_EEENSH_IJSG_SG_EEES6_PlJ7is_evenItEEEE10hipError_tPvRmT3_T4_T5_T6_T7_T9_mT8_P12ihipStream_tbDpT10_ENKUlT_T0_E_clISt17integral_constantIbLb1EES15_IbLb0EEEEDaS11_S12_EUlS11_E_NS1_11comp_targetILNS1_3genE8ELNS1_11target_archE1030ELNS1_3gpuE2ELNS1_3repE0EEENS1_30default_config_static_selectorELNS0_4arch9wavefront6targetE1EEEvT1_, .Lfunc_end2193-_ZN7rocprim17ROCPRIM_400000_NS6detail17trampoline_kernelINS0_14default_configENS1_25partition_config_selectorILNS1_17partition_subalgoE0EtNS0_10empty_typeEbEEZZNS1_14partition_implILS5_0ELb0ES3_jN6thrust23THRUST_200600_302600_NS6detail15normal_iteratorINSA_10device_ptrItEEEEPS6_SG_NS0_5tupleIJSF_SF_EEENSH_IJSG_SG_EEES6_PlJ7is_evenItEEEE10hipError_tPvRmT3_T4_T5_T6_T7_T9_mT8_P12ihipStream_tbDpT10_ENKUlT_T0_E_clISt17integral_constantIbLb1EES15_IbLb0EEEEDaS11_S12_EUlS11_E_NS1_11comp_targetILNS1_3genE8ELNS1_11target_archE1030ELNS1_3gpuE2ELNS1_3repE0EEENS1_30default_config_static_selectorELNS0_4arch9wavefront6targetE1EEEvT1_
                                        ; -- End function
	.section	.AMDGPU.csdata,"",@progbits
; Kernel info:
; codeLenInByte = 0
; NumSgprs: 6
; NumVgprs: 0
; NumAgprs: 0
; TotalNumVgprs: 0
; ScratchSize: 0
; MemoryBound: 0
; FloatMode: 240
; IeeeMode: 1
; LDSByteSize: 0 bytes/workgroup (compile time only)
; SGPRBlocks: 0
; VGPRBlocks: 0
; NumSGPRsForWavesPerEU: 6
; NumVGPRsForWavesPerEU: 1
; AccumOffset: 4
; Occupancy: 8
; WaveLimiterHint : 0
; COMPUTE_PGM_RSRC2:SCRATCH_EN: 0
; COMPUTE_PGM_RSRC2:USER_SGPR: 2
; COMPUTE_PGM_RSRC2:TRAP_HANDLER: 0
; COMPUTE_PGM_RSRC2:TGID_X_EN: 1
; COMPUTE_PGM_RSRC2:TGID_Y_EN: 0
; COMPUTE_PGM_RSRC2:TGID_Z_EN: 0
; COMPUTE_PGM_RSRC2:TIDIG_COMP_CNT: 0
; COMPUTE_PGM_RSRC3_GFX90A:ACCUM_OFFSET: 0
; COMPUTE_PGM_RSRC3_GFX90A:TG_SPLIT: 0
	.section	.text._ZN7rocprim17ROCPRIM_400000_NS6detail17trampoline_kernelINS0_14default_configENS1_25partition_config_selectorILNS1_17partition_subalgoE0EtNS0_10empty_typeEbEEZZNS1_14partition_implILS5_0ELb0ES3_jN6thrust23THRUST_200600_302600_NS6detail15normal_iteratorINSA_10device_ptrItEEEEPS6_SG_NS0_5tupleIJSF_SF_EEENSH_IJSG_SG_EEES6_PlJ7is_evenItEEEE10hipError_tPvRmT3_T4_T5_T6_T7_T9_mT8_P12ihipStream_tbDpT10_ENKUlT_T0_E_clISt17integral_constantIbLb0EES15_IbLb1EEEEDaS11_S12_EUlS11_E_NS1_11comp_targetILNS1_3genE0ELNS1_11target_archE4294967295ELNS1_3gpuE0ELNS1_3repE0EEENS1_30default_config_static_selectorELNS0_4arch9wavefront6targetE1EEEvT1_,"axG",@progbits,_ZN7rocprim17ROCPRIM_400000_NS6detail17trampoline_kernelINS0_14default_configENS1_25partition_config_selectorILNS1_17partition_subalgoE0EtNS0_10empty_typeEbEEZZNS1_14partition_implILS5_0ELb0ES3_jN6thrust23THRUST_200600_302600_NS6detail15normal_iteratorINSA_10device_ptrItEEEEPS6_SG_NS0_5tupleIJSF_SF_EEENSH_IJSG_SG_EEES6_PlJ7is_evenItEEEE10hipError_tPvRmT3_T4_T5_T6_T7_T9_mT8_P12ihipStream_tbDpT10_ENKUlT_T0_E_clISt17integral_constantIbLb0EES15_IbLb1EEEEDaS11_S12_EUlS11_E_NS1_11comp_targetILNS1_3genE0ELNS1_11target_archE4294967295ELNS1_3gpuE0ELNS1_3repE0EEENS1_30default_config_static_selectorELNS0_4arch9wavefront6targetE1EEEvT1_,comdat
	.protected	_ZN7rocprim17ROCPRIM_400000_NS6detail17trampoline_kernelINS0_14default_configENS1_25partition_config_selectorILNS1_17partition_subalgoE0EtNS0_10empty_typeEbEEZZNS1_14partition_implILS5_0ELb0ES3_jN6thrust23THRUST_200600_302600_NS6detail15normal_iteratorINSA_10device_ptrItEEEEPS6_SG_NS0_5tupleIJSF_SF_EEENSH_IJSG_SG_EEES6_PlJ7is_evenItEEEE10hipError_tPvRmT3_T4_T5_T6_T7_T9_mT8_P12ihipStream_tbDpT10_ENKUlT_T0_E_clISt17integral_constantIbLb0EES15_IbLb1EEEEDaS11_S12_EUlS11_E_NS1_11comp_targetILNS1_3genE0ELNS1_11target_archE4294967295ELNS1_3gpuE0ELNS1_3repE0EEENS1_30default_config_static_selectorELNS0_4arch9wavefront6targetE1EEEvT1_ ; -- Begin function _ZN7rocprim17ROCPRIM_400000_NS6detail17trampoline_kernelINS0_14default_configENS1_25partition_config_selectorILNS1_17partition_subalgoE0EtNS0_10empty_typeEbEEZZNS1_14partition_implILS5_0ELb0ES3_jN6thrust23THRUST_200600_302600_NS6detail15normal_iteratorINSA_10device_ptrItEEEEPS6_SG_NS0_5tupleIJSF_SF_EEENSH_IJSG_SG_EEES6_PlJ7is_evenItEEEE10hipError_tPvRmT3_T4_T5_T6_T7_T9_mT8_P12ihipStream_tbDpT10_ENKUlT_T0_E_clISt17integral_constantIbLb0EES15_IbLb1EEEEDaS11_S12_EUlS11_E_NS1_11comp_targetILNS1_3genE0ELNS1_11target_archE4294967295ELNS1_3gpuE0ELNS1_3repE0EEENS1_30default_config_static_selectorELNS0_4arch9wavefront6targetE1EEEvT1_
	.globl	_ZN7rocprim17ROCPRIM_400000_NS6detail17trampoline_kernelINS0_14default_configENS1_25partition_config_selectorILNS1_17partition_subalgoE0EtNS0_10empty_typeEbEEZZNS1_14partition_implILS5_0ELb0ES3_jN6thrust23THRUST_200600_302600_NS6detail15normal_iteratorINSA_10device_ptrItEEEEPS6_SG_NS0_5tupleIJSF_SF_EEENSH_IJSG_SG_EEES6_PlJ7is_evenItEEEE10hipError_tPvRmT3_T4_T5_T6_T7_T9_mT8_P12ihipStream_tbDpT10_ENKUlT_T0_E_clISt17integral_constantIbLb0EES15_IbLb1EEEEDaS11_S12_EUlS11_E_NS1_11comp_targetILNS1_3genE0ELNS1_11target_archE4294967295ELNS1_3gpuE0ELNS1_3repE0EEENS1_30default_config_static_selectorELNS0_4arch9wavefront6targetE1EEEvT1_
	.p2align	8
	.type	_ZN7rocprim17ROCPRIM_400000_NS6detail17trampoline_kernelINS0_14default_configENS1_25partition_config_selectorILNS1_17partition_subalgoE0EtNS0_10empty_typeEbEEZZNS1_14partition_implILS5_0ELb0ES3_jN6thrust23THRUST_200600_302600_NS6detail15normal_iteratorINSA_10device_ptrItEEEEPS6_SG_NS0_5tupleIJSF_SF_EEENSH_IJSG_SG_EEES6_PlJ7is_evenItEEEE10hipError_tPvRmT3_T4_T5_T6_T7_T9_mT8_P12ihipStream_tbDpT10_ENKUlT_T0_E_clISt17integral_constantIbLb0EES15_IbLb1EEEEDaS11_S12_EUlS11_E_NS1_11comp_targetILNS1_3genE0ELNS1_11target_archE4294967295ELNS1_3gpuE0ELNS1_3repE0EEENS1_30default_config_static_selectorELNS0_4arch9wavefront6targetE1EEEvT1_,@function
_ZN7rocprim17ROCPRIM_400000_NS6detail17trampoline_kernelINS0_14default_configENS1_25partition_config_selectorILNS1_17partition_subalgoE0EtNS0_10empty_typeEbEEZZNS1_14partition_implILS5_0ELb0ES3_jN6thrust23THRUST_200600_302600_NS6detail15normal_iteratorINSA_10device_ptrItEEEEPS6_SG_NS0_5tupleIJSF_SF_EEENSH_IJSG_SG_EEES6_PlJ7is_evenItEEEE10hipError_tPvRmT3_T4_T5_T6_T7_T9_mT8_P12ihipStream_tbDpT10_ENKUlT_T0_E_clISt17integral_constantIbLb0EES15_IbLb1EEEEDaS11_S12_EUlS11_E_NS1_11comp_targetILNS1_3genE0ELNS1_11target_archE4294967295ELNS1_3gpuE0ELNS1_3repE0EEENS1_30default_config_static_selectorELNS0_4arch9wavefront6targetE1EEEvT1_: ; @_ZN7rocprim17ROCPRIM_400000_NS6detail17trampoline_kernelINS0_14default_configENS1_25partition_config_selectorILNS1_17partition_subalgoE0EtNS0_10empty_typeEbEEZZNS1_14partition_implILS5_0ELb0ES3_jN6thrust23THRUST_200600_302600_NS6detail15normal_iteratorINSA_10device_ptrItEEEEPS6_SG_NS0_5tupleIJSF_SF_EEENSH_IJSG_SG_EEES6_PlJ7is_evenItEEEE10hipError_tPvRmT3_T4_T5_T6_T7_T9_mT8_P12ihipStream_tbDpT10_ENKUlT_T0_E_clISt17integral_constantIbLb0EES15_IbLb1EEEEDaS11_S12_EUlS11_E_NS1_11comp_targetILNS1_3genE0ELNS1_11target_archE4294967295ELNS1_3gpuE0ELNS1_3repE0EEENS1_30default_config_static_selectorELNS0_4arch9wavefront6targetE1EEEvT1_
; %bb.0:
	.section	.rodata,"a",@progbits
	.p2align	6, 0x0
	.amdhsa_kernel _ZN7rocprim17ROCPRIM_400000_NS6detail17trampoline_kernelINS0_14default_configENS1_25partition_config_selectorILNS1_17partition_subalgoE0EtNS0_10empty_typeEbEEZZNS1_14partition_implILS5_0ELb0ES3_jN6thrust23THRUST_200600_302600_NS6detail15normal_iteratorINSA_10device_ptrItEEEEPS6_SG_NS0_5tupleIJSF_SF_EEENSH_IJSG_SG_EEES6_PlJ7is_evenItEEEE10hipError_tPvRmT3_T4_T5_T6_T7_T9_mT8_P12ihipStream_tbDpT10_ENKUlT_T0_E_clISt17integral_constantIbLb0EES15_IbLb1EEEEDaS11_S12_EUlS11_E_NS1_11comp_targetILNS1_3genE0ELNS1_11target_archE4294967295ELNS1_3gpuE0ELNS1_3repE0EEENS1_30default_config_static_selectorELNS0_4arch9wavefront6targetE1EEEvT1_
		.amdhsa_group_segment_fixed_size 0
		.amdhsa_private_segment_fixed_size 0
		.amdhsa_kernarg_size 136
		.amdhsa_user_sgpr_count 2
		.amdhsa_user_sgpr_dispatch_ptr 0
		.amdhsa_user_sgpr_queue_ptr 0
		.amdhsa_user_sgpr_kernarg_segment_ptr 1
		.amdhsa_user_sgpr_dispatch_id 0
		.amdhsa_user_sgpr_kernarg_preload_length 0
		.amdhsa_user_sgpr_kernarg_preload_offset 0
		.amdhsa_user_sgpr_private_segment_size 0
		.amdhsa_uses_dynamic_stack 0
		.amdhsa_enable_private_segment 0
		.amdhsa_system_sgpr_workgroup_id_x 1
		.amdhsa_system_sgpr_workgroup_id_y 0
		.amdhsa_system_sgpr_workgroup_id_z 0
		.amdhsa_system_sgpr_workgroup_info 0
		.amdhsa_system_vgpr_workitem_id 0
		.amdhsa_next_free_vgpr 1
		.amdhsa_next_free_sgpr 0
		.amdhsa_accum_offset 4
		.amdhsa_reserve_vcc 0
		.amdhsa_float_round_mode_32 0
		.amdhsa_float_round_mode_16_64 0
		.amdhsa_float_denorm_mode_32 3
		.amdhsa_float_denorm_mode_16_64 3
		.amdhsa_dx10_clamp 1
		.amdhsa_ieee_mode 1
		.amdhsa_fp16_overflow 0
		.amdhsa_tg_split 0
		.amdhsa_exception_fp_ieee_invalid_op 0
		.amdhsa_exception_fp_denorm_src 0
		.amdhsa_exception_fp_ieee_div_zero 0
		.amdhsa_exception_fp_ieee_overflow 0
		.amdhsa_exception_fp_ieee_underflow 0
		.amdhsa_exception_fp_ieee_inexact 0
		.amdhsa_exception_int_div_zero 0
	.end_amdhsa_kernel
	.section	.text._ZN7rocprim17ROCPRIM_400000_NS6detail17trampoline_kernelINS0_14default_configENS1_25partition_config_selectorILNS1_17partition_subalgoE0EtNS0_10empty_typeEbEEZZNS1_14partition_implILS5_0ELb0ES3_jN6thrust23THRUST_200600_302600_NS6detail15normal_iteratorINSA_10device_ptrItEEEEPS6_SG_NS0_5tupleIJSF_SF_EEENSH_IJSG_SG_EEES6_PlJ7is_evenItEEEE10hipError_tPvRmT3_T4_T5_T6_T7_T9_mT8_P12ihipStream_tbDpT10_ENKUlT_T0_E_clISt17integral_constantIbLb0EES15_IbLb1EEEEDaS11_S12_EUlS11_E_NS1_11comp_targetILNS1_3genE0ELNS1_11target_archE4294967295ELNS1_3gpuE0ELNS1_3repE0EEENS1_30default_config_static_selectorELNS0_4arch9wavefront6targetE1EEEvT1_,"axG",@progbits,_ZN7rocprim17ROCPRIM_400000_NS6detail17trampoline_kernelINS0_14default_configENS1_25partition_config_selectorILNS1_17partition_subalgoE0EtNS0_10empty_typeEbEEZZNS1_14partition_implILS5_0ELb0ES3_jN6thrust23THRUST_200600_302600_NS6detail15normal_iteratorINSA_10device_ptrItEEEEPS6_SG_NS0_5tupleIJSF_SF_EEENSH_IJSG_SG_EEES6_PlJ7is_evenItEEEE10hipError_tPvRmT3_T4_T5_T6_T7_T9_mT8_P12ihipStream_tbDpT10_ENKUlT_T0_E_clISt17integral_constantIbLb0EES15_IbLb1EEEEDaS11_S12_EUlS11_E_NS1_11comp_targetILNS1_3genE0ELNS1_11target_archE4294967295ELNS1_3gpuE0ELNS1_3repE0EEENS1_30default_config_static_selectorELNS0_4arch9wavefront6targetE1EEEvT1_,comdat
.Lfunc_end2194:
	.size	_ZN7rocprim17ROCPRIM_400000_NS6detail17trampoline_kernelINS0_14default_configENS1_25partition_config_selectorILNS1_17partition_subalgoE0EtNS0_10empty_typeEbEEZZNS1_14partition_implILS5_0ELb0ES3_jN6thrust23THRUST_200600_302600_NS6detail15normal_iteratorINSA_10device_ptrItEEEEPS6_SG_NS0_5tupleIJSF_SF_EEENSH_IJSG_SG_EEES6_PlJ7is_evenItEEEE10hipError_tPvRmT3_T4_T5_T6_T7_T9_mT8_P12ihipStream_tbDpT10_ENKUlT_T0_E_clISt17integral_constantIbLb0EES15_IbLb1EEEEDaS11_S12_EUlS11_E_NS1_11comp_targetILNS1_3genE0ELNS1_11target_archE4294967295ELNS1_3gpuE0ELNS1_3repE0EEENS1_30default_config_static_selectorELNS0_4arch9wavefront6targetE1EEEvT1_, .Lfunc_end2194-_ZN7rocprim17ROCPRIM_400000_NS6detail17trampoline_kernelINS0_14default_configENS1_25partition_config_selectorILNS1_17partition_subalgoE0EtNS0_10empty_typeEbEEZZNS1_14partition_implILS5_0ELb0ES3_jN6thrust23THRUST_200600_302600_NS6detail15normal_iteratorINSA_10device_ptrItEEEEPS6_SG_NS0_5tupleIJSF_SF_EEENSH_IJSG_SG_EEES6_PlJ7is_evenItEEEE10hipError_tPvRmT3_T4_T5_T6_T7_T9_mT8_P12ihipStream_tbDpT10_ENKUlT_T0_E_clISt17integral_constantIbLb0EES15_IbLb1EEEEDaS11_S12_EUlS11_E_NS1_11comp_targetILNS1_3genE0ELNS1_11target_archE4294967295ELNS1_3gpuE0ELNS1_3repE0EEENS1_30default_config_static_selectorELNS0_4arch9wavefront6targetE1EEEvT1_
                                        ; -- End function
	.section	.AMDGPU.csdata,"",@progbits
; Kernel info:
; codeLenInByte = 0
; NumSgprs: 6
; NumVgprs: 0
; NumAgprs: 0
; TotalNumVgprs: 0
; ScratchSize: 0
; MemoryBound: 0
; FloatMode: 240
; IeeeMode: 1
; LDSByteSize: 0 bytes/workgroup (compile time only)
; SGPRBlocks: 0
; VGPRBlocks: 0
; NumSGPRsForWavesPerEU: 6
; NumVGPRsForWavesPerEU: 1
; AccumOffset: 4
; Occupancy: 8
; WaveLimiterHint : 0
; COMPUTE_PGM_RSRC2:SCRATCH_EN: 0
; COMPUTE_PGM_RSRC2:USER_SGPR: 2
; COMPUTE_PGM_RSRC2:TRAP_HANDLER: 0
; COMPUTE_PGM_RSRC2:TGID_X_EN: 1
; COMPUTE_PGM_RSRC2:TGID_Y_EN: 0
; COMPUTE_PGM_RSRC2:TGID_Z_EN: 0
; COMPUTE_PGM_RSRC2:TIDIG_COMP_CNT: 0
; COMPUTE_PGM_RSRC3_GFX90A:ACCUM_OFFSET: 0
; COMPUTE_PGM_RSRC3_GFX90A:TG_SPLIT: 0
	.section	.text._ZN7rocprim17ROCPRIM_400000_NS6detail17trampoline_kernelINS0_14default_configENS1_25partition_config_selectorILNS1_17partition_subalgoE0EtNS0_10empty_typeEbEEZZNS1_14partition_implILS5_0ELb0ES3_jN6thrust23THRUST_200600_302600_NS6detail15normal_iteratorINSA_10device_ptrItEEEEPS6_SG_NS0_5tupleIJSF_SF_EEENSH_IJSG_SG_EEES6_PlJ7is_evenItEEEE10hipError_tPvRmT3_T4_T5_T6_T7_T9_mT8_P12ihipStream_tbDpT10_ENKUlT_T0_E_clISt17integral_constantIbLb0EES15_IbLb1EEEEDaS11_S12_EUlS11_E_NS1_11comp_targetILNS1_3genE5ELNS1_11target_archE942ELNS1_3gpuE9ELNS1_3repE0EEENS1_30default_config_static_selectorELNS0_4arch9wavefront6targetE1EEEvT1_,"axG",@progbits,_ZN7rocprim17ROCPRIM_400000_NS6detail17trampoline_kernelINS0_14default_configENS1_25partition_config_selectorILNS1_17partition_subalgoE0EtNS0_10empty_typeEbEEZZNS1_14partition_implILS5_0ELb0ES3_jN6thrust23THRUST_200600_302600_NS6detail15normal_iteratorINSA_10device_ptrItEEEEPS6_SG_NS0_5tupleIJSF_SF_EEENSH_IJSG_SG_EEES6_PlJ7is_evenItEEEE10hipError_tPvRmT3_T4_T5_T6_T7_T9_mT8_P12ihipStream_tbDpT10_ENKUlT_T0_E_clISt17integral_constantIbLb0EES15_IbLb1EEEEDaS11_S12_EUlS11_E_NS1_11comp_targetILNS1_3genE5ELNS1_11target_archE942ELNS1_3gpuE9ELNS1_3repE0EEENS1_30default_config_static_selectorELNS0_4arch9wavefront6targetE1EEEvT1_,comdat
	.protected	_ZN7rocprim17ROCPRIM_400000_NS6detail17trampoline_kernelINS0_14default_configENS1_25partition_config_selectorILNS1_17partition_subalgoE0EtNS0_10empty_typeEbEEZZNS1_14partition_implILS5_0ELb0ES3_jN6thrust23THRUST_200600_302600_NS6detail15normal_iteratorINSA_10device_ptrItEEEEPS6_SG_NS0_5tupleIJSF_SF_EEENSH_IJSG_SG_EEES6_PlJ7is_evenItEEEE10hipError_tPvRmT3_T4_T5_T6_T7_T9_mT8_P12ihipStream_tbDpT10_ENKUlT_T0_E_clISt17integral_constantIbLb0EES15_IbLb1EEEEDaS11_S12_EUlS11_E_NS1_11comp_targetILNS1_3genE5ELNS1_11target_archE942ELNS1_3gpuE9ELNS1_3repE0EEENS1_30default_config_static_selectorELNS0_4arch9wavefront6targetE1EEEvT1_ ; -- Begin function _ZN7rocprim17ROCPRIM_400000_NS6detail17trampoline_kernelINS0_14default_configENS1_25partition_config_selectorILNS1_17partition_subalgoE0EtNS0_10empty_typeEbEEZZNS1_14partition_implILS5_0ELb0ES3_jN6thrust23THRUST_200600_302600_NS6detail15normal_iteratorINSA_10device_ptrItEEEEPS6_SG_NS0_5tupleIJSF_SF_EEENSH_IJSG_SG_EEES6_PlJ7is_evenItEEEE10hipError_tPvRmT3_T4_T5_T6_T7_T9_mT8_P12ihipStream_tbDpT10_ENKUlT_T0_E_clISt17integral_constantIbLb0EES15_IbLb1EEEEDaS11_S12_EUlS11_E_NS1_11comp_targetILNS1_3genE5ELNS1_11target_archE942ELNS1_3gpuE9ELNS1_3repE0EEENS1_30default_config_static_selectorELNS0_4arch9wavefront6targetE1EEEvT1_
	.globl	_ZN7rocprim17ROCPRIM_400000_NS6detail17trampoline_kernelINS0_14default_configENS1_25partition_config_selectorILNS1_17partition_subalgoE0EtNS0_10empty_typeEbEEZZNS1_14partition_implILS5_0ELb0ES3_jN6thrust23THRUST_200600_302600_NS6detail15normal_iteratorINSA_10device_ptrItEEEEPS6_SG_NS0_5tupleIJSF_SF_EEENSH_IJSG_SG_EEES6_PlJ7is_evenItEEEE10hipError_tPvRmT3_T4_T5_T6_T7_T9_mT8_P12ihipStream_tbDpT10_ENKUlT_T0_E_clISt17integral_constantIbLb0EES15_IbLb1EEEEDaS11_S12_EUlS11_E_NS1_11comp_targetILNS1_3genE5ELNS1_11target_archE942ELNS1_3gpuE9ELNS1_3repE0EEENS1_30default_config_static_selectorELNS0_4arch9wavefront6targetE1EEEvT1_
	.p2align	8
	.type	_ZN7rocprim17ROCPRIM_400000_NS6detail17trampoline_kernelINS0_14default_configENS1_25partition_config_selectorILNS1_17partition_subalgoE0EtNS0_10empty_typeEbEEZZNS1_14partition_implILS5_0ELb0ES3_jN6thrust23THRUST_200600_302600_NS6detail15normal_iteratorINSA_10device_ptrItEEEEPS6_SG_NS0_5tupleIJSF_SF_EEENSH_IJSG_SG_EEES6_PlJ7is_evenItEEEE10hipError_tPvRmT3_T4_T5_T6_T7_T9_mT8_P12ihipStream_tbDpT10_ENKUlT_T0_E_clISt17integral_constantIbLb0EES15_IbLb1EEEEDaS11_S12_EUlS11_E_NS1_11comp_targetILNS1_3genE5ELNS1_11target_archE942ELNS1_3gpuE9ELNS1_3repE0EEENS1_30default_config_static_selectorELNS0_4arch9wavefront6targetE1EEEvT1_,@function
_ZN7rocprim17ROCPRIM_400000_NS6detail17trampoline_kernelINS0_14default_configENS1_25partition_config_selectorILNS1_17partition_subalgoE0EtNS0_10empty_typeEbEEZZNS1_14partition_implILS5_0ELb0ES3_jN6thrust23THRUST_200600_302600_NS6detail15normal_iteratorINSA_10device_ptrItEEEEPS6_SG_NS0_5tupleIJSF_SF_EEENSH_IJSG_SG_EEES6_PlJ7is_evenItEEEE10hipError_tPvRmT3_T4_T5_T6_T7_T9_mT8_P12ihipStream_tbDpT10_ENKUlT_T0_E_clISt17integral_constantIbLb0EES15_IbLb1EEEEDaS11_S12_EUlS11_E_NS1_11comp_targetILNS1_3genE5ELNS1_11target_archE942ELNS1_3gpuE9ELNS1_3repE0EEENS1_30default_config_static_selectorELNS0_4arch9wavefront6targetE1EEEvT1_: ; @_ZN7rocprim17ROCPRIM_400000_NS6detail17trampoline_kernelINS0_14default_configENS1_25partition_config_selectorILNS1_17partition_subalgoE0EtNS0_10empty_typeEbEEZZNS1_14partition_implILS5_0ELb0ES3_jN6thrust23THRUST_200600_302600_NS6detail15normal_iteratorINSA_10device_ptrItEEEEPS6_SG_NS0_5tupleIJSF_SF_EEENSH_IJSG_SG_EEES6_PlJ7is_evenItEEEE10hipError_tPvRmT3_T4_T5_T6_T7_T9_mT8_P12ihipStream_tbDpT10_ENKUlT_T0_E_clISt17integral_constantIbLb0EES15_IbLb1EEEEDaS11_S12_EUlS11_E_NS1_11comp_targetILNS1_3genE5ELNS1_11target_archE942ELNS1_3gpuE9ELNS1_3repE0EEENS1_30default_config_static_selectorELNS0_4arch9wavefront6targetE1EEEvT1_
; %bb.0:
	s_load_dwordx2 s[2:3], s[0:1], 0x58
	s_load_dwordx4 s[24:27], s[0:1], 0x48
	s_load_dwordx2 s[34:35], s[0:1], 0x68
	v_cmp_eq_u32_e64 s[20:21], 0, v0
	s_and_saveexec_b64 s[4:5], s[20:21]
	s_cbranch_execz .LBB2195_4
; %bb.1:
	s_mov_b64 s[8:9], exec
	v_mbcnt_lo_u32_b32 v1, s8, 0
	v_mbcnt_hi_u32_b32 v1, s9, v1
	v_cmp_eq_u32_e32 vcc, 0, v1
                                        ; implicit-def: $vgpr2
	s_and_saveexec_b64 s[6:7], vcc
	s_cbranch_execz .LBB2195_3
; %bb.2:
	s_load_dwordx2 s[10:11], s[0:1], 0x78
	s_bcnt1_i32_b64 s8, s[8:9]
	v_mov_b32_e32 v2, 0
	v_mov_b32_e32 v3, s8
	s_waitcnt lgkmcnt(0)
	global_atomic_add v2, v2, v3, s[10:11] sc0
.LBB2195_3:
	s_or_b64 exec, exec, s[6:7]
	s_waitcnt vmcnt(0)
	v_readfirstlane_b32 s6, v2
	v_mov_b32_e32 v2, 0
	s_nop 0
	v_add_u32_e32 v1, s6, v1
	ds_write_b32 v2, v1
.LBB2195_4:
	s_or_b64 exec, exec, s[4:5]
	v_mov_b32_e32 v3, 0
	s_load_dwordx4 s[36:39], s[0:1], 0x8
	s_load_dwordx4 s[28:31], s[0:1], 0x28
	s_load_dword s4, s[0:1], 0x70
	s_waitcnt lgkmcnt(0)
	s_barrier
	ds_read_b32 v1, v3
	s_waitcnt lgkmcnt(0)
	s_barrier
	global_load_dwordx2 v[4:5], v3, s[26:27]
	v_mov_b32_e32 v7, s3
	s_lshl_b64 s[0:1], s[38:39], 1
	s_movk_i32 s3, 0x3c00
	s_add_u32 s0, s36, s0
	v_mul_lo_u32 v2, v1, s3
	s_mul_i32 s3, s4, 0x3c00
	s_addc_u32 s1, s37, s1
	s_add_i32 s5, s4, -1
	s_add_i32 s4, s3, s38
	s_sub_i32 s33, s2, s4
	s_addk_i32 s33, 0x3c00
	v_mov_b32_e32 v6, s2
	s_add_u32 s2, s38, s3
	v_readfirstlane_b32 s40, v1
	s_addc_u32 s3, s39, 0
	s_cmp_eq_u32 s40, s5
	s_cselect_b64 s[22:23], -1, 0
	s_cmp_lg_u32 s40, s5
	v_cmp_lt_u64_e32 vcc, s[2:3], v[6:7]
	s_cselect_b64 s[2:3], -1, 0
	s_or_b64 s[4:5], vcc, s[2:3]
	v_lshlrev_b64 v[6:7], 1, v[2:3]
	v_lshl_add_u64 v[8:9], s[0:1], 0, v[6:7]
	s_mov_b64 s[0:1], -1
	s_and_b64 vcc, exec, s[4:5]
	v_lshlrev_b32_e32 v2, 1, v0
	s_cbranch_vccz .LBB2195_6
; %bb.5:
	v_lshl_add_u64 v[10:11], v[8:9], 0, v[2:3]
	v_add_co_u32_e32 v12, vcc, 0x1000, v10
	s_mov_b64 s[0:1], 0
	s_nop 0
	v_addc_co_u32_e32 v13, vcc, 0, v11, vcc
	flat_load_ushort v1, v[10:11]
	flat_load_ushort v3, v[10:11] offset:1024
	flat_load_ushort v16, v[10:11] offset:2048
	flat_load_ushort v17, v[10:11] offset:3072
	flat_load_ushort v18, v[12:13]
	flat_load_ushort v19, v[12:13] offset:1024
	flat_load_ushort v20, v[12:13] offset:2048
	flat_load_ushort v21, v[12:13] offset:3072
	v_add_co_u32_e32 v12, vcc, 0x2000, v10
	s_nop 1
	v_addc_co_u32_e32 v13, vcc, 0, v11, vcc
	v_add_co_u32_e32 v14, vcc, 0x3000, v10
	s_nop 1
	v_addc_co_u32_e32 v15, vcc, 0, v11, vcc
	flat_load_ushort v22, v[12:13]
	flat_load_ushort v23, v[12:13] offset:1024
	flat_load_ushort v24, v[12:13] offset:2048
	flat_load_ushort v25, v[12:13] offset:3072
	flat_load_ushort v26, v[14:15]
	flat_load_ushort v27, v[14:15] offset:1024
	flat_load_ushort v28, v[14:15] offset:2048
	flat_load_ushort v29, v[14:15] offset:3072
	v_add_co_u32_e32 v12, vcc, 0x4000, v10
	s_nop 1
	v_addc_co_u32_e32 v13, vcc, 0, v11, vcc
	v_add_co_u32_e32 v14, vcc, 0x5000, v10
	;; [unrolled: 14-line block ×3, first 2 shown]
	s_nop 1
	v_addc_co_u32_e32 v11, vcc, 0, v11, vcc
	flat_load_ushort v14, v[12:13]
	flat_load_ushort v15, v[12:13] offset:1024
	flat_load_ushort v38, v[12:13] offset:2048
	;; [unrolled: 1-line block ×3, first 2 shown]
	flat_load_ushort v40, v[10:11]
	flat_load_ushort v41, v[10:11] offset:1024
	s_waitcnt vmcnt(0) lgkmcnt(0)
	ds_write_b16 v2, v1
	ds_write_b16 v2, v3 offset:1024
	ds_write_b16 v2, v16 offset:2048
	;; [unrolled: 1-line block ×29, first 2 shown]
	s_waitcnt lgkmcnt(0)
	s_barrier
.LBB2195_6:
	s_andn2_b64 vcc, exec, s[0:1]
	v_cmp_gt_u32_e64 s[0:1], s33, v0
	s_cbranch_vccnz .LBB2195_68
; %bb.7:
                                        ; implicit-def: $vgpr1
	s_and_saveexec_b64 s[2:3], s[0:1]
	s_cbranch_execz .LBB2195_9
; %bb.8:
	v_mov_b32_e32 v3, 0
	v_lshl_add_u64 v[10:11], v[8:9], 0, v[2:3]
	flat_load_ushort v1, v[10:11]
.LBB2195_9:
	s_or_b64 exec, exec, s[2:3]
	v_or_b32_e32 v3, 0x200, v0
	v_cmp_gt_u32_e32 vcc, s33, v3
                                        ; implicit-def: $vgpr10
	s_and_saveexec_b64 s[0:1], vcc
	s_cbranch_execz .LBB2195_11
; %bb.10:
	v_mov_b32_e32 v3, 0
	v_lshl_add_u64 v[10:11], v[8:9], 0, v[2:3]
	flat_load_ushort v10, v[10:11] offset:1024
.LBB2195_11:
	s_or_b64 exec, exec, s[0:1]
	v_or_b32_e32 v3, 0x400, v0
	v_cmp_gt_u32_e32 vcc, s33, v3
                                        ; implicit-def: $vgpr11
	s_and_saveexec_b64 s[0:1], vcc
	s_cbranch_execz .LBB2195_13
; %bb.12:
	v_mov_b32_e32 v3, 0
	v_lshl_add_u64 v[12:13], v[8:9], 0, v[2:3]
	flat_load_ushort v11, v[12:13] offset:2048
.LBB2195_13:
	s_or_b64 exec, exec, s[0:1]
	v_or_b32_e32 v3, 0x600, v0
	v_cmp_gt_u32_e32 vcc, s33, v3
                                        ; implicit-def: $vgpr3
	s_and_saveexec_b64 s[0:1], vcc
	s_cbranch_execz .LBB2195_15
; %bb.14:
	v_mov_b32_e32 v3, 0
	v_lshl_add_u64 v[12:13], v[8:9], 0, v[2:3]
	flat_load_ushort v3, v[12:13] offset:3072
.LBB2195_15:
	s_or_b64 exec, exec, s[0:1]
	v_or_b32_e32 v13, 0x800, v0
	v_cmp_gt_u32_e32 vcc, s33, v13
                                        ; implicit-def: $vgpr12
	s_and_saveexec_b64 s[0:1], vcc
	s_cbranch_execz .LBB2195_17
; %bb.16:
	v_lshlrev_b32_e32 v12, 1, v13
	v_mov_b32_e32 v13, 0
	v_lshl_add_u64 v[12:13], v[8:9], 0, v[12:13]
	flat_load_ushort v12, v[12:13]
.LBB2195_17:
	s_or_b64 exec, exec, s[0:1]
	v_or_b32_e32 v14, 0xa00, v0
	v_cmp_gt_u32_e32 vcc, s33, v14
                                        ; implicit-def: $vgpr13
	s_and_saveexec_b64 s[0:1], vcc
	s_cbranch_execz .LBB2195_19
; %bb.18:
	v_lshlrev_b32_e32 v14, 1, v14
	v_mov_b32_e32 v15, 0
	v_lshl_add_u64 v[14:15], v[8:9], 0, v[14:15]
	flat_load_ushort v13, v[14:15]
.LBB2195_19:
	s_or_b64 exec, exec, s[0:1]
	v_or_b32_e32 v15, 0xc00, v0
	v_cmp_gt_u32_e32 vcc, s33, v15
                                        ; implicit-def: $vgpr14
	s_and_saveexec_b64 s[0:1], vcc
	s_cbranch_execz .LBB2195_21
; %bb.20:
	v_lshlrev_b32_e32 v14, 1, v15
	v_mov_b32_e32 v15, 0
	v_lshl_add_u64 v[14:15], v[8:9], 0, v[14:15]
	flat_load_ushort v14, v[14:15]
.LBB2195_21:
	s_or_b64 exec, exec, s[0:1]
	v_or_b32_e32 v16, 0xe00, v0
	v_cmp_gt_u32_e32 vcc, s33, v16
                                        ; implicit-def: $vgpr15
	s_and_saveexec_b64 s[0:1], vcc
	s_cbranch_execz .LBB2195_23
; %bb.22:
	v_lshlrev_b32_e32 v16, 1, v16
	v_mov_b32_e32 v17, 0
	v_lshl_add_u64 v[16:17], v[8:9], 0, v[16:17]
	flat_load_ushort v15, v[16:17]
.LBB2195_23:
	s_or_b64 exec, exec, s[0:1]
	v_or_b32_e32 v17, 0x1000, v0
	v_cmp_gt_u32_e32 vcc, s33, v17
                                        ; implicit-def: $vgpr16
	s_and_saveexec_b64 s[0:1], vcc
	s_cbranch_execz .LBB2195_25
; %bb.24:
	v_lshlrev_b32_e32 v16, 1, v17
	v_mov_b32_e32 v17, 0
	v_lshl_add_u64 v[16:17], v[8:9], 0, v[16:17]
	flat_load_ushort v16, v[16:17]
.LBB2195_25:
	s_or_b64 exec, exec, s[0:1]
	v_or_b32_e32 v18, 0x1200, v0
	v_cmp_gt_u32_e32 vcc, s33, v18
                                        ; implicit-def: $vgpr17
	s_and_saveexec_b64 s[0:1], vcc
	s_cbranch_execz .LBB2195_27
; %bb.26:
	v_lshlrev_b32_e32 v18, 1, v18
	v_mov_b32_e32 v19, 0
	v_lshl_add_u64 v[18:19], v[8:9], 0, v[18:19]
	flat_load_ushort v17, v[18:19]
.LBB2195_27:
	s_or_b64 exec, exec, s[0:1]
	v_or_b32_e32 v19, 0x1400, v0
	v_cmp_gt_u32_e32 vcc, s33, v19
                                        ; implicit-def: $vgpr18
	s_and_saveexec_b64 s[0:1], vcc
	s_cbranch_execz .LBB2195_29
; %bb.28:
	v_lshlrev_b32_e32 v18, 1, v19
	v_mov_b32_e32 v19, 0
	v_lshl_add_u64 v[18:19], v[8:9], 0, v[18:19]
	flat_load_ushort v18, v[18:19]
.LBB2195_29:
	s_or_b64 exec, exec, s[0:1]
	v_or_b32_e32 v20, 0x1600, v0
	v_cmp_gt_u32_e32 vcc, s33, v20
                                        ; implicit-def: $vgpr19
	s_and_saveexec_b64 s[0:1], vcc
	s_cbranch_execz .LBB2195_31
; %bb.30:
	v_lshlrev_b32_e32 v20, 1, v20
	v_mov_b32_e32 v21, 0
	v_lshl_add_u64 v[20:21], v[8:9], 0, v[20:21]
	flat_load_ushort v19, v[20:21]
.LBB2195_31:
	s_or_b64 exec, exec, s[0:1]
	v_or_b32_e32 v21, 0x1800, v0
	v_cmp_gt_u32_e32 vcc, s33, v21
                                        ; implicit-def: $vgpr20
	s_and_saveexec_b64 s[0:1], vcc
	s_cbranch_execz .LBB2195_33
; %bb.32:
	v_lshlrev_b32_e32 v20, 1, v21
	v_mov_b32_e32 v21, 0
	v_lshl_add_u64 v[20:21], v[8:9], 0, v[20:21]
	flat_load_ushort v20, v[20:21]
.LBB2195_33:
	s_or_b64 exec, exec, s[0:1]
	v_or_b32_e32 v22, 0x1a00, v0
	v_cmp_gt_u32_e32 vcc, s33, v22
                                        ; implicit-def: $vgpr21
	s_and_saveexec_b64 s[0:1], vcc
	s_cbranch_execz .LBB2195_35
; %bb.34:
	v_lshlrev_b32_e32 v22, 1, v22
	v_mov_b32_e32 v23, 0
	v_lshl_add_u64 v[22:23], v[8:9], 0, v[22:23]
	flat_load_ushort v21, v[22:23]
.LBB2195_35:
	s_or_b64 exec, exec, s[0:1]
	v_or_b32_e32 v23, 0x1c00, v0
	v_cmp_gt_u32_e32 vcc, s33, v23
                                        ; implicit-def: $vgpr22
	s_and_saveexec_b64 s[0:1], vcc
	s_cbranch_execz .LBB2195_37
; %bb.36:
	v_lshlrev_b32_e32 v22, 1, v23
	v_mov_b32_e32 v23, 0
	v_lshl_add_u64 v[22:23], v[8:9], 0, v[22:23]
	flat_load_ushort v22, v[22:23]
.LBB2195_37:
	s_or_b64 exec, exec, s[0:1]
	v_or_b32_e32 v24, 0x1e00, v0
	v_cmp_gt_u32_e32 vcc, s33, v24
                                        ; implicit-def: $vgpr23
	s_and_saveexec_b64 s[0:1], vcc
	s_cbranch_execz .LBB2195_39
; %bb.38:
	v_lshlrev_b32_e32 v24, 1, v24
	v_mov_b32_e32 v25, 0
	v_lshl_add_u64 v[24:25], v[8:9], 0, v[24:25]
	flat_load_ushort v23, v[24:25]
.LBB2195_39:
	s_or_b64 exec, exec, s[0:1]
	v_or_b32_e32 v25, 0x2000, v0
	v_cmp_gt_u32_e32 vcc, s33, v25
                                        ; implicit-def: $vgpr24
	s_and_saveexec_b64 s[0:1], vcc
	s_cbranch_execz .LBB2195_41
; %bb.40:
	v_lshlrev_b32_e32 v24, 1, v25
	v_mov_b32_e32 v25, 0
	v_lshl_add_u64 v[24:25], v[8:9], 0, v[24:25]
	flat_load_ushort v24, v[24:25]
.LBB2195_41:
	s_or_b64 exec, exec, s[0:1]
	v_or_b32_e32 v26, 0x2200, v0
	v_cmp_gt_u32_e32 vcc, s33, v26
                                        ; implicit-def: $vgpr25
	s_and_saveexec_b64 s[0:1], vcc
	s_cbranch_execz .LBB2195_43
; %bb.42:
	v_lshlrev_b32_e32 v26, 1, v26
	v_mov_b32_e32 v27, 0
	v_lshl_add_u64 v[26:27], v[8:9], 0, v[26:27]
	flat_load_ushort v25, v[26:27]
.LBB2195_43:
	s_or_b64 exec, exec, s[0:1]
	v_or_b32_e32 v27, 0x2400, v0
	v_cmp_gt_u32_e32 vcc, s33, v27
                                        ; implicit-def: $vgpr26
	s_and_saveexec_b64 s[0:1], vcc
	s_cbranch_execz .LBB2195_45
; %bb.44:
	v_lshlrev_b32_e32 v26, 1, v27
	v_mov_b32_e32 v27, 0
	v_lshl_add_u64 v[26:27], v[8:9], 0, v[26:27]
	flat_load_ushort v26, v[26:27]
.LBB2195_45:
	s_or_b64 exec, exec, s[0:1]
	v_or_b32_e32 v28, 0x2600, v0
	v_cmp_gt_u32_e32 vcc, s33, v28
                                        ; implicit-def: $vgpr27
	s_and_saveexec_b64 s[0:1], vcc
	s_cbranch_execz .LBB2195_47
; %bb.46:
	v_lshlrev_b32_e32 v28, 1, v28
	v_mov_b32_e32 v29, 0
	v_lshl_add_u64 v[28:29], v[8:9], 0, v[28:29]
	flat_load_ushort v27, v[28:29]
.LBB2195_47:
	s_or_b64 exec, exec, s[0:1]
	v_or_b32_e32 v29, 0x2800, v0
	v_cmp_gt_u32_e32 vcc, s33, v29
                                        ; implicit-def: $vgpr28
	s_and_saveexec_b64 s[0:1], vcc
	s_cbranch_execz .LBB2195_49
; %bb.48:
	v_lshlrev_b32_e32 v28, 1, v29
	v_mov_b32_e32 v29, 0
	v_lshl_add_u64 v[28:29], v[8:9], 0, v[28:29]
	flat_load_ushort v28, v[28:29]
.LBB2195_49:
	s_or_b64 exec, exec, s[0:1]
	v_or_b32_e32 v30, 0x2a00, v0
	v_cmp_gt_u32_e32 vcc, s33, v30
                                        ; implicit-def: $vgpr29
	s_and_saveexec_b64 s[0:1], vcc
	s_cbranch_execz .LBB2195_51
; %bb.50:
	v_lshlrev_b32_e32 v30, 1, v30
	v_mov_b32_e32 v31, 0
	v_lshl_add_u64 v[30:31], v[8:9], 0, v[30:31]
	flat_load_ushort v29, v[30:31]
.LBB2195_51:
	s_or_b64 exec, exec, s[0:1]
	v_or_b32_e32 v31, 0x2c00, v0
	v_cmp_gt_u32_e32 vcc, s33, v31
                                        ; implicit-def: $vgpr30
	s_and_saveexec_b64 s[0:1], vcc
	s_cbranch_execz .LBB2195_53
; %bb.52:
	v_lshlrev_b32_e32 v30, 1, v31
	v_mov_b32_e32 v31, 0
	v_lshl_add_u64 v[30:31], v[8:9], 0, v[30:31]
	flat_load_ushort v30, v[30:31]
.LBB2195_53:
	s_or_b64 exec, exec, s[0:1]
	v_or_b32_e32 v32, 0x2e00, v0
	v_cmp_gt_u32_e32 vcc, s33, v32
                                        ; implicit-def: $vgpr31
	s_and_saveexec_b64 s[0:1], vcc
	s_cbranch_execz .LBB2195_55
; %bb.54:
	v_lshlrev_b32_e32 v32, 1, v32
	v_mov_b32_e32 v33, 0
	v_lshl_add_u64 v[32:33], v[8:9], 0, v[32:33]
	flat_load_ushort v31, v[32:33]
.LBB2195_55:
	s_or_b64 exec, exec, s[0:1]
	v_or_b32_e32 v33, 0x3000, v0
	v_cmp_gt_u32_e32 vcc, s33, v33
                                        ; implicit-def: $vgpr32
	s_and_saveexec_b64 s[0:1], vcc
	s_cbranch_execz .LBB2195_57
; %bb.56:
	v_lshlrev_b32_e32 v32, 1, v33
	v_mov_b32_e32 v33, 0
	v_lshl_add_u64 v[32:33], v[8:9], 0, v[32:33]
	flat_load_ushort v32, v[32:33]
.LBB2195_57:
	s_or_b64 exec, exec, s[0:1]
	v_or_b32_e32 v34, 0x3200, v0
	v_cmp_gt_u32_e32 vcc, s33, v34
                                        ; implicit-def: $vgpr33
	s_and_saveexec_b64 s[0:1], vcc
	s_cbranch_execz .LBB2195_59
; %bb.58:
	v_lshlrev_b32_e32 v34, 1, v34
	v_mov_b32_e32 v35, 0
	v_lshl_add_u64 v[34:35], v[8:9], 0, v[34:35]
	flat_load_ushort v33, v[34:35]
.LBB2195_59:
	s_or_b64 exec, exec, s[0:1]
	v_or_b32_e32 v35, 0x3400, v0
	v_cmp_gt_u32_e32 vcc, s33, v35
                                        ; implicit-def: $vgpr34
	s_and_saveexec_b64 s[0:1], vcc
	s_cbranch_execz .LBB2195_61
; %bb.60:
	v_lshlrev_b32_e32 v34, 1, v35
	v_mov_b32_e32 v35, 0
	v_lshl_add_u64 v[34:35], v[8:9], 0, v[34:35]
	flat_load_ushort v34, v[34:35]
.LBB2195_61:
	s_or_b64 exec, exec, s[0:1]
	v_or_b32_e32 v36, 0x3600, v0
	v_cmp_gt_u32_e32 vcc, s33, v36
                                        ; implicit-def: $vgpr35
	s_and_saveexec_b64 s[0:1], vcc
	s_cbranch_execz .LBB2195_63
; %bb.62:
	v_lshlrev_b32_e32 v36, 1, v36
	v_mov_b32_e32 v37, 0
	v_lshl_add_u64 v[36:37], v[8:9], 0, v[36:37]
	flat_load_ushort v35, v[36:37]
.LBB2195_63:
	s_or_b64 exec, exec, s[0:1]
	v_or_b32_e32 v37, 0x3800, v0
	v_cmp_gt_u32_e32 vcc, s33, v37
                                        ; implicit-def: $vgpr36
	s_and_saveexec_b64 s[0:1], vcc
	s_cbranch_execz .LBB2195_65
; %bb.64:
	v_lshlrev_b32_e32 v36, 1, v37
	v_mov_b32_e32 v37, 0
	v_lshl_add_u64 v[36:37], v[8:9], 0, v[36:37]
	flat_load_ushort v36, v[36:37]
.LBB2195_65:
	s_or_b64 exec, exec, s[0:1]
	v_or_b32_e32 v38, 0x3a00, v0
	v_cmp_gt_u32_e32 vcc, s33, v38
                                        ; implicit-def: $vgpr37
	s_and_saveexec_b64 s[0:1], vcc
	s_cbranch_execz .LBB2195_67
; %bb.66:
	v_lshlrev_b32_e32 v38, 1, v38
	v_mov_b32_e32 v39, 0
	v_lshl_add_u64 v[8:9], v[8:9], 0, v[38:39]
	flat_load_ushort v37, v[8:9]
.LBB2195_67:
	s_or_b64 exec, exec, s[0:1]
	s_waitcnt vmcnt(0) lgkmcnt(0)
	ds_write_b16 v2, v1
	ds_write_b16 v2, v10 offset:1024
	ds_write_b16 v2, v11 offset:2048
	;; [unrolled: 1-line block ×29, first 2 shown]
	s_waitcnt lgkmcnt(0)
	s_barrier
.LBB2195_68:
	v_mul_u32_u24_e32 v44, 30, v0
	v_lshlrev_b32_e32 v8, 1, v44
	ds_read_b32 v3, v8 offset:56
	ds_read2_b32 v[10:11], v8 offset0:12 offset1:13
	ds_read2_b32 v[12:13], v8 offset0:10 offset1:11
	ds_read2_b32 v[14:15], v8 offset0:8 offset1:9
	ds_read2_b32 v[22:23], v8 offset1:1
	ds_read2_b32 v[20:21], v8 offset0:2 offset1:3
	ds_read2_b32 v[18:19], v8 offset0:4 offset1:5
	;; [unrolled: 1-line block ×3, first 2 shown]
	s_waitcnt lgkmcnt(7)
	v_lshrrev_b32_e32 v1, 16, v3
	s_waitcnt lgkmcnt(6)
	v_lshrrev_b32_e32 v33, 16, v10
	v_lshrrev_b32_e32 v32, 16, v11
	s_waitcnt lgkmcnt(5)
	v_lshrrev_b32_e32 v35, 16, v12
	;; [unrolled: 3-line block ×6, first 2 shown]
	v_lshrrev_b32_e32 v38, 16, v17
	v_lshrrev_b32_e32 v37, 16, v14
	;; [unrolled: 1-line block ×3, first 2 shown]
	v_cndmask_b32_e64 v8, 0, 1, s[4:5]
	v_cmp_ne_u32_e64 s[2:3], 1, v8
	s_andn2_b64 vcc, exec, s[4:5]
	v_xor_b32_e32 v96, -1, v22
	v_xor_b32_e32 v95, -1, v46
	;; [unrolled: 1-line block ×30, first 2 shown]
	s_barrier
	s_cbranch_vccnz .LBB2195_70
; %bb.69:
	v_and_b32_e32 v76, 1, v96
	v_and_b32_e32 v75, 1, v95
	;; [unrolled: 1-line block ×30, first 2 shown]
	s_cbranch_execz .LBB2195_71
	s_branch .LBB2195_72
.LBB2195_70:
                                        ; implicit-def: $vgpr76
                                        ; implicit-def: $vgpr75
                                        ; implicit-def: $vgpr74
                                        ; implicit-def: $vgpr73
                                        ; implicit-def: $vgpr72
                                        ; implicit-def: $vgpr71
                                        ; implicit-def: $vgpr70
                                        ; implicit-def: $vgpr69
                                        ; implicit-def: $vgpr68
                                        ; implicit-def: $vgpr67
                                        ; implicit-def: $vgpr66
                                        ; implicit-def: $vgpr65
                                        ; implicit-def: $vgpr64
                                        ; implicit-def: $vgpr63
                                        ; implicit-def: $vgpr62
                                        ; implicit-def: $vgpr61
                                        ; implicit-def: $vgpr60
                                        ; implicit-def: $vgpr59
                                        ; implicit-def: $vgpr58
                                        ; implicit-def: $vgpr57
                                        ; implicit-def: $vgpr56
                                        ; implicit-def: $vgpr55
                                        ; implicit-def: $vgpr54
                                        ; implicit-def: $vgpr53
                                        ; implicit-def: $vgpr52
                                        ; implicit-def: $vgpr51
                                        ; implicit-def: $vgpr50
                                        ; implicit-def: $vgpr49
                                        ; implicit-def: $vgpr47
                                        ; implicit-def: $vgpr48
.LBB2195_71:
	v_or_b32_e32 v56, 1, v44
	v_cmp_gt_u32_e32 vcc, s33, v44
	v_add_u32_e32 v57, 2, v44
	v_add_u32_e32 v58, 3, v44
	v_cndmask_b32_e64 v66, 0, 1, vcc
	v_cmp_gt_u32_e32 vcc, s33, v56
	v_add_u32_e32 v59, 4, v44
	v_add_u32_e32 v60, 5, v44
	v_cndmask_b32_e64 v56, 0, 1, vcc
	v_cmp_gt_u32_e32 vcc, s33, v57
	v_and_b32_e32 v75, v56, v95
	v_add_u32_e32 v61, 6, v44
	v_cndmask_b32_e64 v56, 0, 1, vcc
	v_cmp_gt_u32_e32 vcc, s33, v58
	v_and_b32_e32 v74, v56, v94
	;; [unrolled: 4-line block ×9, first 2 shown]
	v_and_b32_e32 v76, v66, v96
	v_cndmask_b32_e64 v56, 0, 1, vcc
	v_cmp_gt_u32_e32 vcc, s33, v97
	v_and_b32_e32 v66, v56, v86
	v_add_u32_e32 v100, 14, v44
	v_cndmask_b32_e64 v56, 0, 1, vcc
	v_cmp_gt_u32_e32 vcc, s33, v98
	v_and_b32_e32 v65, v56, v85
	v_add_u32_e32 v101, 15, v44
	;; [unrolled: 4-line block ×16, first 2 shown]
	v_cndmask_b32_e64 v26, 0, 1, vcc
	v_cmp_gt_u32_e32 vcc, s33, v49
	v_and_b32_e32 v50, v26, v25
	s_nop 0
	v_cndmask_b32_e64 v25, 0, 1, vcc
	v_cmp_gt_u32_e32 vcc, s33, v47
	v_and_b32_e32 v49, v25, v24
	s_nop 0
	;; [unrolled: 4-line block ×3, first 2 shown]
	v_cndmask_b32_e64 v9, 0, 1, vcc
	v_and_b32_e32 v48, v9, v8
.LBB2195_72:
	v_and_b32_e32 v103, 0xff, v50
	v_and_b32_e32 v104, 0xff, v49
	v_add_u32_sdwa v8, v47, v48 dst_sel:DWORD dst_unused:UNUSED_PAD src0_sel:BYTE_0 src1_sel:BYTE_0
	v_and_b32_e32 v101, 0xff, v52
	v_and_b32_e32 v102, 0xff, v51
	v_add3_u32 v8, v8, v104, v103
	v_and_b32_e32 v99, 0xff, v54
	v_and_b32_e32 v100, 0xff, v53
	v_add3_u32 v8, v8, v102, v101
	;; [unrolled: 3-line block ×13, first 2 shown]
	v_add3_u32 v107, v8, v78, v77
	v_mbcnt_lo_u32_b32 v8, -1, 0
	v_mbcnt_hi_u32_b32 v105, -1, v8
	v_and_b32_e32 v8, 15, v105
	v_cmp_eq_u32_e64 s[16:17], 0, v8
	v_cmp_lt_u32_e64 s[14:15], 1, v8
	v_cmp_lt_u32_e64 s[12:13], 3, v8
	;; [unrolled: 1-line block ×3, first 2 shown]
	v_and_b32_e32 v8, 16, v105
	v_cmp_eq_u32_e64 s[8:9], 0, v8
	v_or_b32_e32 v8, 63, v0
	s_cmp_lg_u32 s40, 0
	v_cmp_lt_u32_e64 s[4:5], 31, v105
	v_lshrrev_b32_e32 v106, 6, v0
	v_cmp_eq_u32_e64 s[6:7], v8, v0
	s_cbranch_scc0 .LBB2195_99
; %bb.73:
	v_mov_b32_dpp v8, v107 row_shr:1 row_mask:0xf bank_mask:0xf
	v_cndmask_b32_e64 v8, v8, 0, s[16:17]
	v_add_u32_e32 v8, v8, v107
	s_nop 1
	v_mov_b32_dpp v9, v8 row_shr:2 row_mask:0xf bank_mask:0xf
	v_cndmask_b32_e64 v9, 0, v9, s[14:15]
	v_add_u32_e32 v8, v8, v9
	s_nop 1
	;; [unrolled: 4-line block ×4, first 2 shown]
	v_mov_b32_dpp v9, v8 row_bcast:15 row_mask:0xf bank_mask:0xf
	v_cndmask_b32_e64 v9, v9, 0, s[8:9]
	v_add_u32_e32 v8, v8, v9
	s_nop 1
	v_mov_b32_dpp v9, v8 row_bcast:31 row_mask:0xf bank_mask:0xf
	v_cndmask_b32_e64 v9, 0, v9, s[4:5]
	v_add_u32_e32 v8, v8, v9
	s_and_saveexec_b64 s[0:1], s[6:7]
	s_cbranch_execz .LBB2195_75
; %bb.74:
	v_lshlrev_b32_e32 v9, 2, v106
	ds_write_b32 v9, v8
.LBB2195_75:
	s_or_b64 exec, exec, s[0:1]
	v_cmp_gt_u32_e32 vcc, 8, v0
	s_waitcnt lgkmcnt(0)
	s_barrier
	s_and_saveexec_b64 s[0:1], vcc
	s_cbranch_execz .LBB2195_77
; %bb.76:
	v_lshlrev_b32_e32 v9, 2, v0
	ds_read_b32 v24, v9
	v_and_b32_e32 v25, 7, v105
	v_cmp_ne_u32_e32 vcc, 0, v25
	s_waitcnt lgkmcnt(0)
	v_mov_b32_dpp v26, v24 row_shr:1 row_mask:0xf bank_mask:0xf
	v_cndmask_b32_e32 v26, 0, v26, vcc
	v_add_u32_e32 v24, v26, v24
	v_cmp_lt_u32_e32 vcc, 1, v25
	s_nop 0
	v_mov_b32_dpp v26, v24 row_shr:2 row_mask:0xf bank_mask:0xf
	v_cndmask_b32_e32 v26, 0, v26, vcc
	v_add_u32_e32 v24, v24, v26
	v_cmp_lt_u32_e32 vcc, 3, v25
	s_nop 0
	v_mov_b32_dpp v26, v24 row_shr:4 row_mask:0xf bank_mask:0xf
	v_cndmask_b32_e32 v25, 0, v26, vcc
	v_add_u32_e32 v24, v24, v25
	ds_write_b32 v9, v24
.LBB2195_77:
	s_or_b64 exec, exec, s[0:1]
	v_cmp_gt_u32_e32 vcc, 64, v0
	v_cmp_lt_u32_e64 s[0:1], 63, v0
	s_waitcnt lgkmcnt(0)
	s_barrier
	s_waitcnt lgkmcnt(0)
                                        ; implicit-def: $vgpr108
	s_and_saveexec_b64 s[18:19], s[0:1]
	s_cbranch_execz .LBB2195_79
; %bb.78:
	v_lshl_add_u32 v9, v106, 2, -4
	ds_read_b32 v108, v9
	s_waitcnt lgkmcnt(0)
	v_add_u32_e32 v8, v108, v8
.LBB2195_79:
	s_or_b64 exec, exec, s[18:19]
	v_add_u32_e32 v9, -1, v105
	v_and_b32_e32 v24, 64, v105
	v_cmp_lt_i32_e64 s[0:1], v9, v24
	v_cmp_eq_u32_e64 s[18:19], 0, v105
	s_nop 0
	v_cndmask_b32_e64 v9, v9, v105, s[0:1]
	v_lshlrev_b32_e32 v9, 2, v9
	ds_bpermute_b32 v109, v9, v8
	s_and_saveexec_b64 s[0:1], vcc
	s_cbranch_execz .LBB2195_98
; %bb.80:
	v_mov_b32_e32 v29, 0
	ds_read_b32 v8, v29 offset:28
	s_and_saveexec_b64 s[26:27], s[18:19]
	s_cbranch_execz .LBB2195_82
; %bb.81:
	s_add_i32 s36, s40, 64
	s_mov_b32 s37, 0
	s_lshl_b64 s[36:37], s[36:37], 3
	s_add_u32 s36, s34, s36
	v_mov_b32_e32 v9, 1
	s_addc_u32 s37, s35, s37
	s_waitcnt lgkmcnt(0)
	global_store_dwordx2 v29, v[8:9], s[36:37] sc1
.LBB2195_82:
	s_or_b64 exec, exec, s[26:27]
	v_xad_u32 v24, v105, -1, s40
	v_add_u32_e32 v28, 64, v24
	v_lshl_add_u64 v[30:31], v[28:29], 3, s[34:35]
	global_load_dwordx2 v[26:27], v[30:31], off sc1
	s_waitcnt vmcnt(0)
	v_cmp_eq_u16_sdwa s[36:37], v27, v29 src0_sel:BYTE_0 src1_sel:DWORD
	s_and_saveexec_b64 s[26:27], s[36:37]
	s_cbranch_execz .LBB2195_86
; %bb.83:
	s_mov_b64 s[36:37], 0
	v_mov_b32_e32 v9, 0
.LBB2195_84:                            ; =>This Inner Loop Header: Depth=1
	global_load_dwordx2 v[26:27], v[30:31], off sc1
	s_waitcnt vmcnt(0)
	v_cmp_ne_u16_sdwa s[42:43], v27, v9 src0_sel:BYTE_0 src1_sel:DWORD
	s_or_b64 s[36:37], s[42:43], s[36:37]
	s_andn2_b64 exec, exec, s[36:37]
	s_cbranch_execnz .LBB2195_84
; %bb.85:
	s_or_b64 exec, exec, s[36:37]
.LBB2195_86:
	s_or_b64 exec, exec, s[26:27]
	v_and_b32_e32 v111, 63, v105
	v_mov_b32_e32 v110, 2
	v_cmp_ne_u32_e32 vcc, 63, v111
	v_cmp_eq_u16_sdwa s[26:27], v27, v110 src0_sel:BYTE_0 src1_sel:DWORD
	v_lshlrev_b64 v[28:29], v105, -1
	v_addc_co_u32_e32 v30, vcc, 0, v105, vcc
	v_and_b32_e32 v9, s27, v29
	v_lshlrev_b32_e32 v112, 2, v30
	v_or_b32_e32 v9, 0x80000000, v9
	ds_bpermute_b32 v30, v112, v26
	v_and_b32_e32 v25, s26, v28
	v_ffbl_b32_e32 v9, v9
	v_add_u32_e32 v9, 32, v9
	v_ffbl_b32_e32 v25, v25
	v_min_u32_e32 v9, v25, v9
	v_cmp_lt_u32_e32 vcc, v111, v9
	v_add_u32_e32 v114, 2, v111
	v_add_u32_e32 v116, 4, v111
	s_waitcnt lgkmcnt(0)
	v_cndmask_b32_e32 v25, 0, v30, vcc
	v_cmp_gt_u32_e32 vcc, 62, v111
	v_add_u32_e32 v25, v25, v26
	v_add_u32_e32 v118, 8, v111
	v_cndmask_b32_e64 v26, 0, 1, vcc
	v_lshlrev_b32_e32 v26, 1, v26
	v_add_lshl_u32 v113, v26, v105, 2
	ds_bpermute_b32 v26, v113, v25
	v_cmp_le_u32_e32 vcc, v114, v9
	v_add_u32_e32 v120, 16, v111
	v_add_u32_e32 v122, 32, v111
	s_waitcnt lgkmcnt(0)
	v_cndmask_b32_e32 v26, 0, v26, vcc
	v_cmp_gt_u32_e32 vcc, 60, v111
	v_add_u32_e32 v25, v25, v26
	s_nop 0
	v_cndmask_b32_e64 v26, 0, 1, vcc
	v_lshlrev_b32_e32 v26, 2, v26
	v_add_lshl_u32 v115, v26, v105, 2
	ds_bpermute_b32 v26, v115, v25
	v_cmp_le_u32_e32 vcc, v116, v9
	s_waitcnt lgkmcnt(0)
	s_nop 0
	v_cndmask_b32_e32 v26, 0, v26, vcc
	v_cmp_gt_u32_e32 vcc, 56, v111
	v_add_u32_e32 v25, v25, v26
	s_nop 0
	v_cndmask_b32_e64 v26, 0, 1, vcc
	v_lshlrev_b32_e32 v26, 3, v26
	v_add_lshl_u32 v117, v26, v105, 2
	ds_bpermute_b32 v26, v117, v25
	v_cmp_le_u32_e32 vcc, v118, v9
	s_waitcnt lgkmcnt(0)
	s_nop 0
	;; [unrolled: 11-line block ×4, first 2 shown]
	v_cndmask_b32_e32 v9, 0, v26, vcc
	v_add_u32_e32 v26, v25, v9
	v_mov_b32_e32 v25, 0
	s_branch .LBB2195_88
.LBB2195_87:                            ;   in Loop: Header=BB2195_88 Depth=1
	s_or_b64 exec, exec, s[26:27]
	v_cmp_eq_u16_sdwa s[26:27], v27, v110 src0_sel:BYTE_0 src1_sel:DWORD
	ds_bpermute_b32 v123, v112, v26
	v_subrev_u32_e32 v24, 64, v24
	v_and_b32_e32 v30, s27, v29
	v_or_b32_e32 v30, 0x80000000, v30
	v_and_b32_e32 v31, s26, v28
	v_ffbl_b32_e32 v30, v30
	v_add_u32_e32 v30, 32, v30
	v_ffbl_b32_e32 v31, v31
	v_min_u32_e32 v30, v31, v30
	v_cmp_lt_u32_e32 vcc, v111, v30
	s_waitcnt lgkmcnt(0)
	s_nop 0
	v_cndmask_b32_e32 v31, 0, v123, vcc
	v_add_u32_e32 v26, v31, v26
	ds_bpermute_b32 v31, v113, v26
	v_cmp_le_u32_e32 vcc, v114, v30
	s_waitcnt lgkmcnt(0)
	s_nop 0
	v_cndmask_b32_e32 v31, 0, v31, vcc
	v_add_u32_e32 v26, v26, v31
	ds_bpermute_b32 v31, v115, v26
	v_cmp_le_u32_e32 vcc, v116, v30
	;; [unrolled: 6-line block ×5, first 2 shown]
	s_waitcnt lgkmcnt(0)
	s_nop 0
	v_cndmask_b32_e32 v30, 0, v31, vcc
	v_add3_u32 v26, v30, v9, v26
.LBB2195_88:                            ; =>This Loop Header: Depth=1
                                        ;     Child Loop BB2195_91 Depth 2
	v_cmp_ne_u16_sdwa s[26:27], v27, v110 src0_sel:BYTE_0 src1_sel:DWORD
	s_nop 1
	v_cndmask_b32_e64 v9, 0, 1, s[26:27]
	;;#ASMSTART
	;;#ASMEND
	s_nop 0
	v_cmp_ne_u32_e32 vcc, 0, v9
	s_cmp_lg_u64 vcc, exec
	v_mov_b32_e32 v9, v26
	s_cbranch_scc1 .LBB2195_93
; %bb.89:                               ;   in Loop: Header=BB2195_88 Depth=1
	v_lshl_add_u64 v[30:31], v[24:25], 3, s[34:35]
	global_load_dwordx2 v[26:27], v[30:31], off sc1
	s_waitcnt vmcnt(0)
	v_cmp_eq_u16_sdwa s[36:37], v27, v25 src0_sel:BYTE_0 src1_sel:DWORD
	s_and_saveexec_b64 s[26:27], s[36:37]
	s_cbranch_execz .LBB2195_87
; %bb.90:                               ;   in Loop: Header=BB2195_88 Depth=1
	s_mov_b64 s[36:37], 0
.LBB2195_91:                            ;   Parent Loop BB2195_88 Depth=1
                                        ; =>  This Inner Loop Header: Depth=2
	global_load_dwordx2 v[26:27], v[30:31], off sc1
	s_waitcnt vmcnt(0)
	v_cmp_ne_u16_sdwa s[42:43], v27, v25 src0_sel:BYTE_0 src1_sel:DWORD
	s_or_b64 s[36:37], s[42:43], s[36:37]
	s_andn2_b64 exec, exec, s[36:37]
	s_cbranch_execnz .LBB2195_91
; %bb.92:                               ;   in Loop: Header=BB2195_88 Depth=1
	s_or_b64 exec, exec, s[36:37]
	s_branch .LBB2195_87
.LBB2195_93:                            ;   in Loop: Header=BB2195_88 Depth=1
                                        ; implicit-def: $vgpr26
                                        ; implicit-def: $vgpr27
	s_cbranch_execz .LBB2195_88
; %bb.94:
	s_and_saveexec_b64 s[26:27], s[18:19]
	s_cbranch_execz .LBB2195_96
; %bb.95:
	s_add_i32 s36, s40, 64
	s_mov_b32 s37, 0
	s_lshl_b64 s[36:37], s[36:37], 3
	s_add_u32 s36, s34, s36
	v_add_u32_e32 v24, v9, v8
	v_mov_b32_e32 v25, 2
	s_addc_u32 s37, s35, s37
	v_mov_b32_e32 v26, 0
	global_store_dwordx2 v26, v[24:25], s[36:37] sc1
	ds_write_b64 v26, v[8:9] offset:30720
.LBB2195_96:
	s_or_b64 exec, exec, s[26:27]
	s_and_b64 exec, exec, s[20:21]
	s_cbranch_execz .LBB2195_98
; %bb.97:
	v_mov_b32_e32 v8, 0
	ds_write_b32 v8, v9 offset:28
.LBB2195_98:
	s_or_b64 exec, exec, s[0:1]
	v_mov_b32_e32 v8, 0
	s_waitcnt lgkmcnt(0)
	s_barrier
	ds_read_b32 v24, v8 offset:28
	s_waitcnt lgkmcnt(0)
	s_barrier
	ds_read_b64 v[8:9], v8 offset:30720
	v_cndmask_b32_e64 v25, v109, v108, s[18:19]
	v_cndmask_b32_e64 v25, v25, 0, s[20:21]
	v_add_u32_e32 v25, v24, v25
	s_waitcnt lgkmcnt(0)
	v_mov_b32_e32 v24, v9
	s_branch .LBB2195_109
.LBB2195_99:
                                        ; implicit-def: $vgpr24
                                        ; implicit-def: $vgpr8
                                        ; implicit-def: $vgpr25
	s_cbranch_execz .LBB2195_109
; %bb.100:
	s_nop 0
	v_mov_b32_dpp v8, v107 row_shr:1 row_mask:0xf bank_mask:0xf
	v_cndmask_b32_e64 v8, v8, 0, s[16:17]
	v_add_u32_e32 v8, v8, v107
	s_nop 1
	v_mov_b32_dpp v9, v8 row_shr:2 row_mask:0xf bank_mask:0xf
	v_cndmask_b32_e64 v9, 0, v9, s[14:15]
	v_add_u32_e32 v8, v8, v9
	;; [unrolled: 4-line block ×4, first 2 shown]
	s_nop 1
	v_mov_b32_dpp v9, v8 row_bcast:15 row_mask:0xf bank_mask:0xf
	v_cndmask_b32_e64 v9, v9, 0, s[8:9]
	v_add_u32_e32 v8, v8, v9
	s_nop 1
	v_mov_b32_dpp v9, v8 row_bcast:31 row_mask:0xf bank_mask:0xf
	v_cndmask_b32_e64 v9, 0, v9, s[4:5]
	v_add_u32_e32 v8, v8, v9
	s_and_saveexec_b64 s[0:1], s[6:7]
	s_cbranch_execz .LBB2195_102
; %bb.101:
	v_lshlrev_b32_e32 v9, 2, v106
	ds_write_b32 v9, v8
.LBB2195_102:
	s_or_b64 exec, exec, s[0:1]
	v_cmp_gt_u32_e32 vcc, 8, v0
	s_waitcnt lgkmcnt(0)
	s_barrier
	s_and_saveexec_b64 s[0:1], vcc
	s_cbranch_execz .LBB2195_104
; %bb.103:
	v_lshlrev_b32_e32 v9, 2, v0
	ds_read_b32 v24, v9
	v_and_b32_e32 v25, 7, v105
	v_cmp_ne_u32_e32 vcc, 0, v25
	s_waitcnt lgkmcnt(0)
	v_mov_b32_dpp v26, v24 row_shr:1 row_mask:0xf bank_mask:0xf
	v_cndmask_b32_e32 v26, 0, v26, vcc
	v_add_u32_e32 v24, v26, v24
	v_cmp_lt_u32_e32 vcc, 1, v25
	s_nop 0
	v_mov_b32_dpp v26, v24 row_shr:2 row_mask:0xf bank_mask:0xf
	v_cndmask_b32_e32 v26, 0, v26, vcc
	v_add_u32_e32 v24, v24, v26
	v_cmp_lt_u32_e32 vcc, 3, v25
	s_nop 0
	v_mov_b32_dpp v26, v24 row_shr:4 row_mask:0xf bank_mask:0xf
	v_cndmask_b32_e32 v25, 0, v26, vcc
	v_add_u32_e32 v24, v24, v25
	ds_write_b32 v9, v24
.LBB2195_104:
	s_or_b64 exec, exec, s[0:1]
	v_cmp_lt_u32_e32 vcc, 63, v0
	v_mov_b32_e32 v9, 0
	v_mov_b32_e32 v24, 0
	s_waitcnt lgkmcnt(0)
	s_barrier
	s_and_saveexec_b64 s[0:1], vcc
	s_cbranch_execz .LBB2195_106
; %bb.105:
	v_lshl_add_u32 v24, v106, 2, -4
	ds_read_b32 v24, v24
.LBB2195_106:
	s_or_b64 exec, exec, s[0:1]
	v_add_u32_e32 v25, -1, v105
	v_and_b32_e32 v26, 64, v105
	v_cmp_lt_i32_e32 vcc, v25, v26
	s_waitcnt lgkmcnt(0)
	v_add_u32_e32 v8, v24, v8
	v_cndmask_b32_e32 v25, v25, v105, vcc
	v_lshlrev_b32_e32 v25, 2, v25
	ds_bpermute_b32 v25, v25, v8
	ds_read_b32 v8, v9 offset:28
	s_and_saveexec_b64 s[0:1], s[20:21]
	s_cbranch_execz .LBB2195_108
; %bb.107:
	v_mov_b32_e32 v26, 0
	v_mov_b32_e32 v9, 2
	s_waitcnt lgkmcnt(0)
	global_store_dwordx2 v26, v[8:9], s[34:35] offset:512 sc1
.LBB2195_108:
	s_or_b64 exec, exec, s[0:1]
	v_cmp_eq_u32_e32 vcc, 0, v105
	s_waitcnt lgkmcnt(0)
	s_barrier
	v_cndmask_b32_e32 v9, v25, v24, vcc
	v_mov_b32_e32 v24, 0
	v_cndmask_b32_e64 v25, v9, 0, s[20:21]
.LBB2195_109:
	v_add_u32_e32 v9, v25, v77
	v_add_u32_e32 v26, v9, v78
	;; [unrolled: 1-line block ×22, first 2 shown]
	v_sub_u32_e32 v25, v25, v24
	v_and_b32_e32 v76, 1, v76
	v_add_u32_e32 v91, v90, v98
	v_sub_u32_e32 v98, v44, v25
	v_cmp_eq_u32_e32 vcc, 1, v76
	v_sub_u32_e32 v9, v9, v24
	v_add_u32_e32 v92, v91, v99
	v_cndmask_b32_e32 v25, v98, v25, vcc
	v_lshlrev_b32_e32 v25, 1, v25
	ds_write_b16 v25, v22
	v_sub_u32_e32 v22, v44, v9
	v_and_b32_e32 v25, 1, v75
	v_add_u32_e32 v22, 1, v22
	v_cmp_eq_u32_e32 vcc, 1, v25
	v_and_b32_e32 v25, 1, v74
	v_add_u32_e32 v93, v92, v100
	v_cndmask_b32_e32 v9, v22, v9, vcc
	v_lshlrev_b32_e32 v9, 1, v9
	ds_write_b16 v9, v46
	v_sub_u32_e32 v9, v26, v24
	v_sub_u32_e32 v22, v44, v9
	v_add_u32_e32 v22, 2, v22
	v_cmp_eq_u32_e32 vcc, 1, v25
	v_add_u32_e32 v94, v93, v101
	v_add_u32_e32 v95, v94, v102
	v_cndmask_b32_e32 v9, v22, v9, vcc
	v_lshlrev_b32_e32 v9, 1, v9
	ds_write_b16 v9, v23
	v_sub_u32_e32 v9, v27, v24
	v_sub_u32_e32 v22, v44, v9
	v_and_b32_e32 v23, 1, v73
	v_add_u32_e32 v22, 3, v22
	v_cmp_eq_u32_e32 vcc, 1, v23
	v_and_b32_e32 v23, 1, v72
	v_add_u32_e32 v96, v95, v103
	v_cndmask_b32_e32 v9, v22, v9, vcc
	v_lshlrev_b32_e32 v9, 1, v9
	ds_write_b16 v9, v45
	v_sub_u32_e32 v9, v28, v24
	v_sub_u32_e32 v22, v44, v9
	v_add_u32_e32 v22, 4, v22
	v_cmp_eq_u32_e32 vcc, 1, v23
	v_add_u32_e32 v97, v96, v104
	v_mov_b32_e32 v25, 0
	v_cndmask_b32_e32 v9, v22, v9, vcc
	v_lshlrev_b32_e32 v9, 1, v9
	ds_write_b16 v9, v20
	v_sub_u32_e32 v9, v29, v24
	v_sub_u32_e32 v20, v44, v9
	v_and_b32_e32 v22, 1, v71
	v_add_u32_e32 v20, 5, v20
	v_cmp_eq_u32_e32 vcc, 1, v22
	v_and_b32_e32 v22, 1, v70
	v_or_b32_e32 v45, 0x1a00, v0
	v_cndmask_b32_e32 v9, v20, v9, vcc
	v_lshlrev_b32_e32 v9, 1, v9
	ds_write_b16 v9, v43
	v_sub_u32_e32 v9, v30, v24
	v_sub_u32_e32 v20, v44, v9
	v_add_u32_e32 v20, 6, v20
	v_cmp_eq_u32_e32 vcc, 1, v22
	v_or_b32_e32 v43, 0x1c00, v0
	v_or_b32_e32 v29, 0x2a00, v0
	v_cndmask_b32_e32 v9, v20, v9, vcc
	v_lshlrev_b32_e32 v9, 1, v9
	ds_write_b16 v9, v21
	v_sub_u32_e32 v9, v31, v24
	v_sub_u32_e32 v20, v44, v9
	v_and_b32_e32 v21, 1, v69
	v_add_u32_e32 v20, 7, v20
	v_cmp_eq_u32_e32 vcc, 1, v21
	v_and_b32_e32 v21, 1, v68
	v_or_b32_e32 v69, 0x200, v0
	v_cndmask_b32_e32 v9, v20, v9, vcc
	v_lshlrev_b32_e32 v9, 1, v9
	ds_write_b16 v9, v42
	v_sub_u32_e32 v9, v77, v24
	v_sub_u32_e32 v20, v44, v9
	v_add_u32_e32 v20, 8, v20
	v_cmp_eq_u32_e32 vcc, 1, v21
	v_or_b32_e32 v31, 0x2800, v0
	v_or_b32_e32 v27, 0x2c00, v0
	;; [unrolled: 19-line block ×4, first 2 shown]
	v_cndmask_b32_e32 v9, v18, v9, vcc
	v_lshlrev_b32_e32 v9, 1, v9
	ds_write_b16 v9, v16
	v_sub_u32_e32 v9, v82, v24
	v_sub_u32_e32 v16, v44, v9
	v_and_b32_e32 v18, 1, v63
	v_add_u32_e32 v16, 13, v16
	v_cmp_eq_u32_e32 vcc, 1, v18
	v_and_b32_e32 v18, 1, v62
	v_or_b32_e32 v63, 0x800, v0
	v_cndmask_b32_e32 v9, v16, v9, vcc
	v_lshlrev_b32_e32 v9, 1, v9
	ds_write_b16 v9, v39
	v_sub_u32_e32 v9, v83, v24
	v_sub_u32_e32 v16, v44, v9
	v_add_u32_e32 v16, 14, v16
	v_cmp_eq_u32_e32 vcc, 1, v18
	v_or_b32_e32 v39, 0x2000, v0
	s_nop 0
	v_cndmask_b32_e32 v9, v16, v9, vcc
	v_lshlrev_b32_e32 v9, 1, v9
	ds_write_b16 v9, v17
	v_sub_u32_e32 v9, v84, v24
	v_sub_u32_e32 v16, v44, v9
	v_and_b32_e32 v17, 1, v61
	v_add_u32_e32 v16, 15, v16
	v_cmp_eq_u32_e32 vcc, 1, v17
	v_and_b32_e32 v17, 1, v60
	v_or_b32_e32 v61, 0xa00, v0
	v_cndmask_b32_e32 v9, v16, v9, vcc
	v_lshlrev_b32_e32 v9, 1, v9
	ds_write_b16 v9, v38
	v_sub_u32_e32 v9, v85, v24
	v_sub_u32_e32 v16, v44, v9
	v_add_u32_e32 v16, 16, v16
	v_cmp_eq_u32_e32 vcc, 1, v17
	v_or_b32_e32 v17, 0x3400, v0
	s_nop 0
	;; [unrolled: 19-line block ×7, first 2 shown]
	v_cndmask_b32_e32 v9, v10, v9, vcc
	v_lshlrev_b32_e32 v9, 1, v9
	ds_write_b16 v9, v11
	v_sub_u32_e32 v9, v96, v24
	v_sub_u32_e32 v10, v44, v9
	v_and_b32_e32 v11, 1, v49
	v_add_u32_e32 v10, 27, v10
	v_cmp_eq_u32_e32 vcc, 1, v11
	v_and_b32_e32 v11, 1, v47
	v_or_b32_e32 v49, 0x1600, v0
	v_cndmask_b32_e32 v9, v10, v9, vcc
	v_lshlrev_b32_e32 v9, 1, v9
	ds_write_b16 v9, v32
	v_sub_u32_e32 v9, v97, v24
	v_sub_u32_e32 v10, v44, v9
	v_add_u32_e32 v10, 28, v10
	v_cmp_eq_u32_e32 vcc, 1, v11
	s_nop 1
	v_cndmask_b32_e32 v9, v10, v9, vcc
	v_lshlrev_b32_e32 v9, 1, v9
	ds_write_b16 v9, v3
	v_sub_u32_sdwa v3, v47, v24 dst_sel:DWORD dst_unused:UNUSED_PAD src0_sel:BYTE_0 src1_sel:DWORD
	v_add_u32_e32 v3, v97, v3
	v_sub_u32_e32 v9, v44, v3
	v_and_b32_e32 v10, 1, v48
	v_add_u32_e32 v9, 29, v9
	v_cmp_eq_u32_e32 vcc, 1, v10
	s_waitcnt vmcnt(0)
	v_lshl_add_u64 v[10:11], v[4:5], 0, v[24:25]
	v_or_b32_e32 v47, 0x1800, v0
	v_cndmask_b32_e32 v3, v9, v3, vcc
	v_lshlrev_b32_e32 v3, 1, v3
	ds_write_b16 v3, v1
	s_waitcnt lgkmcnt(0)
	s_barrier
	ds_read_u16 v71, v2
	ds_read_u16 v70, v2 offset:1024
	ds_read_u16 v68, v2 offset:2048
	;; [unrolled: 1-line block ×29, first 2 shown]
	v_mov_b32_e32 v9, v25
	v_lshl_add_u64 v[4:5], v[10:11], 0, v[8:9]
	v_mov_b32_e32 v3, s39
	v_sub_co_u32_e32 v72, vcc, s38, v4
	v_lshlrev_b64 v[10:11], 1, v[10:11]
	s_nop 0
	v_subb_co_u32_e32 v73, vcc, v3, v5, vcc
	v_lshlrev_b64 v[72:73], 1, v[72:73]
	v_lshl_add_u64 v[72:73], s[30:31], 0, v[72:73]
	v_or_b32_e32 v1, 0x3a00, v0
	v_lshl_add_u64 v[6:7], v[72:73], 0, v[6:7]
	s_and_b64 vcc, exec, s[2:3]
	v_lshl_add_u64 v[10:11], s[28:29], 0, v[10:11]
	s_cbranch_vccnz .LBB2195_111
; %bb.110:
	v_cmp_lt_u32_e32 vcc, v0, v8
	v_mov_b32_e32 v3, v25
	v_lshlrev_b32_e32 v24, 1, v63
	v_cndmask_b32_e32 v73, v7, v11, vcc
	v_cndmask_b32_e32 v72, v6, v10, vcc
	v_lshl_add_u64 v[72:73], v[72:73], 0, v[2:3]
	v_cmp_lt_u32_e32 vcc, v69, v8
	s_waitcnt lgkmcnt(14)
	global_store_short v[72:73], v71, off
	v_cndmask_b32_e32 v73, v7, v11, vcc
	v_cndmask_b32_e32 v72, v6, v10, vcc
	v_lshl_add_u64 v[72:73], v[72:73], 0, v[2:3]
	v_cmp_lt_u32_e32 vcc, v67, v8
	global_store_short v[72:73], v70, off offset:1024
	s_mov_b64 s[0:1], -1
	v_cndmask_b32_e32 v73, v7, v11, vcc
	v_cndmask_b32_e32 v72, v6, v10, vcc
	v_lshl_add_u64 v[72:73], v[72:73], 0, v[2:3]
	v_cmp_lt_u32_e32 vcc, v65, v8
	global_store_short v[72:73], v68, off offset:2048
	s_nop 0
	v_cndmask_b32_e32 v73, v7, v11, vcc
	v_cndmask_b32_e32 v72, v6, v10, vcc
	v_lshl_add_u64 v[72:73], v[72:73], 0, v[2:3]
	v_cmp_lt_u32_e32 vcc, v63, v8
	global_store_short v[72:73], v66, off offset:3072
	s_nop 0
	v_cndmask_b32_e32 v73, v7, v11, vcc
	v_cndmask_b32_e32 v72, v6, v10, vcc
	v_lshl_add_u64 v[72:73], v[72:73], 0, v[24:25]
	v_cmp_lt_u32_e32 vcc, v61, v8
	global_store_short v[72:73], v64, off
	v_lshlrev_b32_e32 v24, 1, v61
	v_cndmask_b32_e32 v73, v7, v11, vcc
	v_cndmask_b32_e32 v72, v6, v10, vcc
	v_lshl_add_u64 v[72:73], v[72:73], 0, v[24:25]
	v_cmp_lt_u32_e32 vcc, v59, v8
	global_store_short v[72:73], v62, off
	v_lshlrev_b32_e32 v24, 1, v59
	;; [unrolled: 6-line block ×12, first 2 shown]
	v_cndmask_b32_e32 v73, v7, v11, vcc
	v_cndmask_b32_e32 v72, v6, v10, vcc
	v_lshl_add_u64 v[72:73], v[72:73], 0, v[24:25]
	v_cmp_lt_u32_e32 vcc, v37, v8
	s_waitcnt lgkmcnt(13)
	global_store_short v[72:73], v40, off
	v_lshlrev_b32_e32 v24, 1, v37
	v_cndmask_b32_e32 v73, v7, v11, vcc
	v_cndmask_b32_e32 v72, v6, v10, vcc
	v_lshl_add_u64 v[72:73], v[72:73], 0, v[24:25]
	v_cmp_lt_u32_e32 vcc, v35, v8
	s_waitcnt lgkmcnt(12)
	global_store_short v[72:73], v38, off
	v_lshlrev_b32_e32 v24, 1, v35
	;; [unrolled: 7-line block ×12, first 2 shown]
	v_cndmask_b32_e32 v73, v7, v11, vcc
	v_cndmask_b32_e32 v72, v6, v10, vcc
	v_lshl_add_u64 v[24:25], v[72:73], 0, v[24:25]
	s_waitcnt lgkmcnt(1)
	global_store_short v[24:25], v14, off
	s_cbranch_execz .LBB2195_112
	s_branch .LBB2195_143
.LBB2195_111:
	s_mov_b64 s[0:1], 0
.LBB2195_112:
	v_cmp_gt_u32_e32 vcc, s33, v0
	s_and_saveexec_b64 s[0:1], vcc
	s_cbranch_execnz .LBB2195_148
; %bb.113:
	s_or_b64 exec, exec, s[0:1]
	v_cmp_gt_u32_e32 vcc, s33, v69
	s_and_saveexec_b64 s[0:1], vcc
	s_cbranch_execnz .LBB2195_149
.LBB2195_114:
	s_or_b64 exec, exec, s[0:1]
	v_cmp_gt_u32_e32 vcc, s33, v67
	s_and_saveexec_b64 s[0:1], vcc
	s_cbranch_execnz .LBB2195_150
.LBB2195_115:
	s_or_b64 exec, exec, s[0:1]
	v_cmp_gt_u32_e32 vcc, s33, v65
	s_and_saveexec_b64 s[0:1], vcc
	s_cbranch_execnz .LBB2195_151
.LBB2195_116:
	s_or_b64 exec, exec, s[0:1]
	v_cmp_gt_u32_e32 vcc, s33, v63
	s_and_saveexec_b64 s[0:1], vcc
	s_cbranch_execnz .LBB2195_152
.LBB2195_117:
	s_or_b64 exec, exec, s[0:1]
	v_cmp_gt_u32_e32 vcc, s33, v61
	s_and_saveexec_b64 s[0:1], vcc
	s_cbranch_execnz .LBB2195_153
.LBB2195_118:
	s_or_b64 exec, exec, s[0:1]
	v_cmp_gt_u32_e32 vcc, s33, v59
	s_and_saveexec_b64 s[0:1], vcc
	s_cbranch_execnz .LBB2195_154
.LBB2195_119:
	s_or_b64 exec, exec, s[0:1]
	v_cmp_gt_u32_e32 vcc, s33, v57
	s_and_saveexec_b64 s[0:1], vcc
	s_cbranch_execnz .LBB2195_155
.LBB2195_120:
	s_or_b64 exec, exec, s[0:1]
	v_cmp_gt_u32_e32 vcc, s33, v55
	s_and_saveexec_b64 s[0:1], vcc
	s_cbranch_execnz .LBB2195_156
.LBB2195_121:
	s_or_b64 exec, exec, s[0:1]
	v_cmp_gt_u32_e32 vcc, s33, v53
	s_and_saveexec_b64 s[0:1], vcc
	s_cbranch_execnz .LBB2195_157
.LBB2195_122:
	s_or_b64 exec, exec, s[0:1]
	v_cmp_gt_u32_e32 vcc, s33, v51
	s_and_saveexec_b64 s[0:1], vcc
	s_cbranch_execnz .LBB2195_158
.LBB2195_123:
	s_or_b64 exec, exec, s[0:1]
	v_cmp_gt_u32_e32 vcc, s33, v49
	s_and_saveexec_b64 s[0:1], vcc
	s_cbranch_execnz .LBB2195_159
.LBB2195_124:
	s_or_b64 exec, exec, s[0:1]
	v_cmp_gt_u32_e32 vcc, s33, v47
	s_and_saveexec_b64 s[0:1], vcc
	s_cbranch_execnz .LBB2195_160
.LBB2195_125:
	s_or_b64 exec, exec, s[0:1]
	v_cmp_gt_u32_e32 vcc, s33, v45
	s_and_saveexec_b64 s[0:1], vcc
	s_cbranch_execnz .LBB2195_161
.LBB2195_126:
	s_or_b64 exec, exec, s[0:1]
	v_cmp_gt_u32_e32 vcc, s33, v43
	s_and_saveexec_b64 s[0:1], vcc
	s_cbranch_execnz .LBB2195_162
.LBB2195_127:
	s_or_b64 exec, exec, s[0:1]
	v_cmp_gt_u32_e32 vcc, s33, v41
	s_and_saveexec_b64 s[0:1], vcc
	s_cbranch_execnz .LBB2195_163
.LBB2195_128:
	s_or_b64 exec, exec, s[0:1]
	v_cmp_gt_u32_e32 vcc, s33, v39
	s_and_saveexec_b64 s[0:1], vcc
	s_cbranch_execnz .LBB2195_164
.LBB2195_129:
	s_or_b64 exec, exec, s[0:1]
	v_cmp_gt_u32_e32 vcc, s33, v37
	s_and_saveexec_b64 s[0:1], vcc
	s_cbranch_execnz .LBB2195_165
.LBB2195_130:
	s_or_b64 exec, exec, s[0:1]
	v_cmp_gt_u32_e32 vcc, s33, v35
	s_and_saveexec_b64 s[0:1], vcc
	s_cbranch_execnz .LBB2195_166
.LBB2195_131:
	s_or_b64 exec, exec, s[0:1]
	v_cmp_gt_u32_e32 vcc, s33, v33
	s_and_saveexec_b64 s[0:1], vcc
	s_cbranch_execnz .LBB2195_167
.LBB2195_132:
	s_or_b64 exec, exec, s[0:1]
	v_cmp_gt_u32_e32 vcc, s33, v31
	s_and_saveexec_b64 s[0:1], vcc
	s_cbranch_execnz .LBB2195_168
.LBB2195_133:
	s_or_b64 exec, exec, s[0:1]
	v_cmp_gt_u32_e32 vcc, s33, v29
	s_and_saveexec_b64 s[0:1], vcc
	s_cbranch_execnz .LBB2195_169
.LBB2195_134:
	s_or_b64 exec, exec, s[0:1]
	v_cmp_gt_u32_e32 vcc, s33, v27
	s_and_saveexec_b64 s[0:1], vcc
	s_cbranch_execnz .LBB2195_170
.LBB2195_135:
	s_or_b64 exec, exec, s[0:1]
	v_cmp_gt_u32_e32 vcc, s33, v23
	s_and_saveexec_b64 s[0:1], vcc
	s_cbranch_execnz .LBB2195_171
.LBB2195_136:
	s_or_b64 exec, exec, s[0:1]
	v_cmp_gt_u32_e32 vcc, s33, v21
	s_and_saveexec_b64 s[0:1], vcc
	s_cbranch_execnz .LBB2195_172
.LBB2195_137:
	s_or_b64 exec, exec, s[0:1]
	v_cmp_gt_u32_e32 vcc, s33, v19
	s_and_saveexec_b64 s[0:1], vcc
	s_cbranch_execnz .LBB2195_173
.LBB2195_138:
	s_or_b64 exec, exec, s[0:1]
	v_cmp_gt_u32_e32 vcc, s33, v17
	s_and_saveexec_b64 s[0:1], vcc
	s_cbranch_execnz .LBB2195_174
.LBB2195_139:
	s_or_b64 exec, exec, s[0:1]
	v_cmp_gt_u32_e32 vcc, s33, v15
	s_and_saveexec_b64 s[0:1], vcc
	s_cbranch_execnz .LBB2195_175
.LBB2195_140:
	s_or_b64 exec, exec, s[0:1]
	v_cmp_gt_u32_e32 vcc, s33, v13
	s_and_saveexec_b64 s[0:1], vcc
	s_cbranch_execz .LBB2195_142
.LBB2195_141:
	v_cmp_lt_u32_e32 vcc, v13, v8
	s_waitcnt lgkmcnt(2)
	v_lshlrev_b32_e32 v16, 1, v13
	v_mov_b32_e32 v17, 0
	v_cndmask_b32_e32 v3, v7, v11, vcc
	v_cndmask_b32_e32 v2, v6, v10, vcc
	v_lshl_add_u64 v[2:3], v[2:3], 0, v[16:17]
	s_waitcnt lgkmcnt(1)
	global_store_short v[2:3], v14, off
.LBB2195_142:
	s_or_b64 exec, exec, s[0:1]
	v_cmp_gt_u32_e64 s[0:1], s33, v1
.LBB2195_143:
	s_and_saveexec_b64 s[2:3], s[0:1]
	s_cbranch_execnz .LBB2195_146
; %bb.144:
	s_or_b64 exec, exec, s[2:3]
	s_and_b64 s[0:1], s[20:21], s[22:23]
	s_and_saveexec_b64 s[2:3], s[0:1]
	s_cbranch_execnz .LBB2195_147
.LBB2195_145:
	s_endpgm
.LBB2195_146:
	v_cmp_lt_u32_e32 vcc, v1, v8
	v_lshlrev_b32_e32 v0, 1, v1
	v_mov_b32_e32 v1, 0
	v_cndmask_b32_e32 v3, v7, v11, vcc
	v_cndmask_b32_e32 v2, v6, v10, vcc
	v_lshl_add_u64 v[0:1], v[2:3], 0, v[0:1]
	s_waitcnt lgkmcnt(0)
	global_store_short v[0:1], v12, off
	s_or_b64 exec, exec, s[2:3]
	s_and_b64 s[0:1], s[20:21], s[22:23]
	s_and_saveexec_b64 s[2:3], s[0:1]
	s_cbranch_execz .LBB2195_145
.LBB2195_147:
	v_mov_b32_e32 v0, 0
	global_store_dwordx2 v0, v[4:5], s[24:25]
	s_endpgm
.LBB2195_148:
	v_cmp_lt_u32_e32 vcc, v0, v8
	v_mov_b32_e32 v3, 0
	s_nop 0
	v_cndmask_b32_e32 v25, v7, v11, vcc
	v_cndmask_b32_e32 v24, v6, v10, vcc
	v_lshl_add_u64 v[24:25], v[24:25], 0, v[2:3]
	s_waitcnt lgkmcnt(14)
	global_store_short v[24:25], v71, off
	s_or_b64 exec, exec, s[0:1]
	v_cmp_gt_u32_e32 vcc, s33, v69
	s_and_saveexec_b64 s[0:1], vcc
	s_cbranch_execz .LBB2195_114
.LBB2195_149:
	v_cmp_lt_u32_e32 vcc, v69, v8
	v_mov_b32_e32 v3, 0
	s_nop 0
	v_cndmask_b32_e32 v25, v7, v11, vcc
	v_cndmask_b32_e32 v24, v6, v10, vcc
	v_lshl_add_u64 v[24:25], v[24:25], 0, v[2:3]
	s_waitcnt lgkmcnt(14)
	global_store_short v[24:25], v70, off offset:1024
	s_or_b64 exec, exec, s[0:1]
	v_cmp_gt_u32_e32 vcc, s33, v67
	s_and_saveexec_b64 s[0:1], vcc
	s_cbranch_execz .LBB2195_115
.LBB2195_150:
	v_cmp_lt_u32_e32 vcc, v67, v8
	v_mov_b32_e32 v3, 0
	s_nop 0
	v_cndmask_b32_e32 v25, v7, v11, vcc
	v_cndmask_b32_e32 v24, v6, v10, vcc
	v_lshl_add_u64 v[24:25], v[24:25], 0, v[2:3]
	s_waitcnt lgkmcnt(14)
	global_store_short v[24:25], v68, off offset:2048
	s_or_b64 exec, exec, s[0:1]
	v_cmp_gt_u32_e32 vcc, s33, v65
	s_and_saveexec_b64 s[0:1], vcc
	s_cbranch_execz .LBB2195_116
.LBB2195_151:
	v_cmp_lt_u32_e32 vcc, v65, v8
	v_mov_b32_e32 v3, 0
	s_nop 0
	v_cndmask_b32_e32 v25, v7, v11, vcc
	v_cndmask_b32_e32 v24, v6, v10, vcc
	v_lshl_add_u64 v[2:3], v[24:25], 0, v[2:3]
	s_waitcnt lgkmcnt(14)
	global_store_short v[2:3], v66, off offset:3072
	s_or_b64 exec, exec, s[0:1]
	v_cmp_gt_u32_e32 vcc, s33, v63
	s_and_saveexec_b64 s[0:1], vcc
	s_cbranch_execz .LBB2195_117
.LBB2195_152:
	v_cmp_lt_u32_e32 vcc, v63, v8
	v_lshlrev_b32_e32 v24, 1, v63
	v_mov_b32_e32 v25, 0
	v_cndmask_b32_e32 v3, v7, v11, vcc
	v_cndmask_b32_e32 v2, v6, v10, vcc
	v_lshl_add_u64 v[2:3], v[2:3], 0, v[24:25]
	s_waitcnt lgkmcnt(14)
	global_store_short v[2:3], v64, off
	s_or_b64 exec, exec, s[0:1]
	v_cmp_gt_u32_e32 vcc, s33, v61
	s_and_saveexec_b64 s[0:1], vcc
	s_cbranch_execz .LBB2195_118
.LBB2195_153:
	v_cmp_lt_u32_e32 vcc, v61, v8
	v_lshlrev_b32_e32 v24, 1, v61
	v_mov_b32_e32 v25, 0
	v_cndmask_b32_e32 v3, v7, v11, vcc
	v_cndmask_b32_e32 v2, v6, v10, vcc
	v_lshl_add_u64 v[2:3], v[2:3], 0, v[24:25]
	s_waitcnt lgkmcnt(14)
	global_store_short v[2:3], v62, off
	s_or_b64 exec, exec, s[0:1]
	v_cmp_gt_u32_e32 vcc, s33, v59
	s_and_saveexec_b64 s[0:1], vcc
	s_cbranch_execz .LBB2195_119
.LBB2195_154:
	v_cmp_lt_u32_e32 vcc, v59, v8
	v_lshlrev_b32_e32 v24, 1, v59
	v_mov_b32_e32 v25, 0
	v_cndmask_b32_e32 v3, v7, v11, vcc
	v_cndmask_b32_e32 v2, v6, v10, vcc
	v_lshl_add_u64 v[2:3], v[2:3], 0, v[24:25]
	s_waitcnt lgkmcnt(14)
	global_store_short v[2:3], v60, off
	s_or_b64 exec, exec, s[0:1]
	v_cmp_gt_u32_e32 vcc, s33, v57
	s_and_saveexec_b64 s[0:1], vcc
	s_cbranch_execz .LBB2195_120
.LBB2195_155:
	v_cmp_lt_u32_e32 vcc, v57, v8
	v_lshlrev_b32_e32 v24, 1, v57
	v_mov_b32_e32 v25, 0
	v_cndmask_b32_e32 v3, v7, v11, vcc
	v_cndmask_b32_e32 v2, v6, v10, vcc
	v_lshl_add_u64 v[2:3], v[2:3], 0, v[24:25]
	s_waitcnt lgkmcnt(14)
	global_store_short v[2:3], v58, off
	s_or_b64 exec, exec, s[0:1]
	v_cmp_gt_u32_e32 vcc, s33, v55
	s_and_saveexec_b64 s[0:1], vcc
	s_cbranch_execz .LBB2195_121
.LBB2195_156:
	v_cmp_lt_u32_e32 vcc, v55, v8
	v_lshlrev_b32_e32 v24, 1, v55
	v_mov_b32_e32 v25, 0
	v_cndmask_b32_e32 v3, v7, v11, vcc
	v_cndmask_b32_e32 v2, v6, v10, vcc
	v_lshl_add_u64 v[2:3], v[2:3], 0, v[24:25]
	s_waitcnt lgkmcnt(14)
	global_store_short v[2:3], v56, off
	s_or_b64 exec, exec, s[0:1]
	v_cmp_gt_u32_e32 vcc, s33, v53
	s_and_saveexec_b64 s[0:1], vcc
	s_cbranch_execz .LBB2195_122
.LBB2195_157:
	v_cmp_lt_u32_e32 vcc, v53, v8
	v_lshlrev_b32_e32 v24, 1, v53
	v_mov_b32_e32 v25, 0
	v_cndmask_b32_e32 v3, v7, v11, vcc
	v_cndmask_b32_e32 v2, v6, v10, vcc
	v_lshl_add_u64 v[2:3], v[2:3], 0, v[24:25]
	s_waitcnt lgkmcnt(14)
	global_store_short v[2:3], v54, off
	s_or_b64 exec, exec, s[0:1]
	v_cmp_gt_u32_e32 vcc, s33, v51
	s_and_saveexec_b64 s[0:1], vcc
	s_cbranch_execz .LBB2195_123
.LBB2195_158:
	v_cmp_lt_u32_e32 vcc, v51, v8
	v_lshlrev_b32_e32 v24, 1, v51
	v_mov_b32_e32 v25, 0
	v_cndmask_b32_e32 v3, v7, v11, vcc
	v_cndmask_b32_e32 v2, v6, v10, vcc
	v_lshl_add_u64 v[2:3], v[2:3], 0, v[24:25]
	s_waitcnt lgkmcnt(14)
	global_store_short v[2:3], v52, off
	s_or_b64 exec, exec, s[0:1]
	v_cmp_gt_u32_e32 vcc, s33, v49
	s_and_saveexec_b64 s[0:1], vcc
	s_cbranch_execz .LBB2195_124
.LBB2195_159:
	v_cmp_lt_u32_e32 vcc, v49, v8
	v_lshlrev_b32_e32 v24, 1, v49
	v_mov_b32_e32 v25, 0
	v_cndmask_b32_e32 v3, v7, v11, vcc
	v_cndmask_b32_e32 v2, v6, v10, vcc
	v_lshl_add_u64 v[2:3], v[2:3], 0, v[24:25]
	s_waitcnt lgkmcnt(14)
	global_store_short v[2:3], v50, off
	s_or_b64 exec, exec, s[0:1]
	v_cmp_gt_u32_e32 vcc, s33, v47
	s_and_saveexec_b64 s[0:1], vcc
	s_cbranch_execz .LBB2195_125
.LBB2195_160:
	v_cmp_lt_u32_e32 vcc, v47, v8
	v_lshlrev_b32_e32 v24, 1, v47
	v_mov_b32_e32 v25, 0
	v_cndmask_b32_e32 v3, v7, v11, vcc
	v_cndmask_b32_e32 v2, v6, v10, vcc
	v_lshl_add_u64 v[2:3], v[2:3], 0, v[24:25]
	s_waitcnt lgkmcnt(14)
	global_store_short v[2:3], v48, off
	s_or_b64 exec, exec, s[0:1]
	v_cmp_gt_u32_e32 vcc, s33, v45
	s_and_saveexec_b64 s[0:1], vcc
	s_cbranch_execz .LBB2195_126
.LBB2195_161:
	v_cmp_lt_u32_e32 vcc, v45, v8
	v_lshlrev_b32_e32 v24, 1, v45
	v_mov_b32_e32 v25, 0
	v_cndmask_b32_e32 v3, v7, v11, vcc
	v_cndmask_b32_e32 v2, v6, v10, vcc
	v_lshl_add_u64 v[2:3], v[2:3], 0, v[24:25]
	s_waitcnt lgkmcnt(14)
	global_store_short v[2:3], v46, off
	s_or_b64 exec, exec, s[0:1]
	v_cmp_gt_u32_e32 vcc, s33, v43
	s_and_saveexec_b64 s[0:1], vcc
	s_cbranch_execz .LBB2195_127
.LBB2195_162:
	v_cmp_lt_u32_e32 vcc, v43, v8
	v_lshlrev_b32_e32 v24, 1, v43
	v_mov_b32_e32 v25, 0
	v_cndmask_b32_e32 v3, v7, v11, vcc
	v_cndmask_b32_e32 v2, v6, v10, vcc
	v_lshl_add_u64 v[2:3], v[2:3], 0, v[24:25]
	s_waitcnt lgkmcnt(14)
	global_store_short v[2:3], v44, off
	s_or_b64 exec, exec, s[0:1]
	v_cmp_gt_u32_e32 vcc, s33, v41
	s_and_saveexec_b64 s[0:1], vcc
	s_cbranch_execz .LBB2195_128
.LBB2195_163:
	v_cmp_lt_u32_e32 vcc, v41, v8
	v_lshlrev_b32_e32 v24, 1, v41
	v_mov_b32_e32 v25, 0
	v_cndmask_b32_e32 v3, v7, v11, vcc
	v_cndmask_b32_e32 v2, v6, v10, vcc
	v_lshl_add_u64 v[2:3], v[2:3], 0, v[24:25]
	s_waitcnt lgkmcnt(14)
	global_store_short v[2:3], v42, off
	s_or_b64 exec, exec, s[0:1]
	v_cmp_gt_u32_e32 vcc, s33, v39
	s_and_saveexec_b64 s[0:1], vcc
	s_cbranch_execz .LBB2195_129
.LBB2195_164:
	v_cmp_lt_u32_e32 vcc, v39, v8
	v_lshlrev_b32_e32 v24, 1, v39
	v_mov_b32_e32 v25, 0
	v_cndmask_b32_e32 v3, v7, v11, vcc
	v_cndmask_b32_e32 v2, v6, v10, vcc
	v_lshl_add_u64 v[2:3], v[2:3], 0, v[24:25]
	s_waitcnt lgkmcnt(13)
	global_store_short v[2:3], v40, off
	s_or_b64 exec, exec, s[0:1]
	v_cmp_gt_u32_e32 vcc, s33, v37
	s_and_saveexec_b64 s[0:1], vcc
	s_cbranch_execz .LBB2195_130
.LBB2195_165:
	v_cmp_lt_u32_e32 vcc, v37, v8
	v_lshlrev_b32_e32 v24, 1, v37
	v_mov_b32_e32 v25, 0
	v_cndmask_b32_e32 v3, v7, v11, vcc
	v_cndmask_b32_e32 v2, v6, v10, vcc
	v_lshl_add_u64 v[2:3], v[2:3], 0, v[24:25]
	s_waitcnt lgkmcnt(12)
	global_store_short v[2:3], v38, off
	s_or_b64 exec, exec, s[0:1]
	v_cmp_gt_u32_e32 vcc, s33, v35
	s_and_saveexec_b64 s[0:1], vcc
	s_cbranch_execz .LBB2195_131
.LBB2195_166:
	v_cmp_lt_u32_e32 vcc, v35, v8
	v_lshlrev_b32_e32 v24, 1, v35
	v_mov_b32_e32 v25, 0
	v_cndmask_b32_e32 v3, v7, v11, vcc
	v_cndmask_b32_e32 v2, v6, v10, vcc
	v_lshl_add_u64 v[2:3], v[2:3], 0, v[24:25]
	s_waitcnt lgkmcnt(11)
	global_store_short v[2:3], v36, off
	s_or_b64 exec, exec, s[0:1]
	v_cmp_gt_u32_e32 vcc, s33, v33
	s_and_saveexec_b64 s[0:1], vcc
	s_cbranch_execz .LBB2195_132
.LBB2195_167:
	v_cmp_lt_u32_e32 vcc, v33, v8
	v_lshlrev_b32_e32 v24, 1, v33
	v_mov_b32_e32 v25, 0
	v_cndmask_b32_e32 v3, v7, v11, vcc
	v_cndmask_b32_e32 v2, v6, v10, vcc
	v_lshl_add_u64 v[2:3], v[2:3], 0, v[24:25]
	s_waitcnt lgkmcnt(10)
	global_store_short v[2:3], v34, off
	s_or_b64 exec, exec, s[0:1]
	v_cmp_gt_u32_e32 vcc, s33, v31
	s_and_saveexec_b64 s[0:1], vcc
	s_cbranch_execz .LBB2195_133
.LBB2195_168:
	v_cmp_lt_u32_e32 vcc, v31, v8
	v_lshlrev_b32_e32 v24, 1, v31
	v_mov_b32_e32 v25, 0
	v_cndmask_b32_e32 v3, v7, v11, vcc
	v_cndmask_b32_e32 v2, v6, v10, vcc
	v_lshl_add_u64 v[2:3], v[2:3], 0, v[24:25]
	s_waitcnt lgkmcnt(9)
	global_store_short v[2:3], v32, off
	s_or_b64 exec, exec, s[0:1]
	v_cmp_gt_u32_e32 vcc, s33, v29
	s_and_saveexec_b64 s[0:1], vcc
	s_cbranch_execz .LBB2195_134
.LBB2195_169:
	v_cmp_lt_u32_e32 vcc, v29, v8
	v_lshlrev_b32_e32 v24, 1, v29
	v_mov_b32_e32 v25, 0
	v_cndmask_b32_e32 v3, v7, v11, vcc
	v_cndmask_b32_e32 v2, v6, v10, vcc
	v_lshl_add_u64 v[2:3], v[2:3], 0, v[24:25]
	s_waitcnt lgkmcnt(8)
	global_store_short v[2:3], v30, off
	s_or_b64 exec, exec, s[0:1]
	v_cmp_gt_u32_e32 vcc, s33, v27
	s_and_saveexec_b64 s[0:1], vcc
	s_cbranch_execz .LBB2195_135
.LBB2195_170:
	v_cmp_lt_u32_e32 vcc, v27, v8
	v_lshlrev_b32_e32 v24, 1, v27
	v_mov_b32_e32 v25, 0
	v_cndmask_b32_e32 v3, v7, v11, vcc
	v_cndmask_b32_e32 v2, v6, v10, vcc
	v_lshl_add_u64 v[2:3], v[2:3], 0, v[24:25]
	s_waitcnt lgkmcnt(7)
	global_store_short v[2:3], v28, off
	s_or_b64 exec, exec, s[0:1]
	v_cmp_gt_u32_e32 vcc, s33, v23
	s_and_saveexec_b64 s[0:1], vcc
	s_cbranch_execz .LBB2195_136
.LBB2195_171:
	v_cmp_lt_u32_e32 vcc, v23, v8
	v_lshlrev_b32_e32 v24, 1, v23
	v_mov_b32_e32 v25, 0
	v_cndmask_b32_e32 v3, v7, v11, vcc
	v_cndmask_b32_e32 v2, v6, v10, vcc
	v_lshl_add_u64 v[2:3], v[2:3], 0, v[24:25]
	s_waitcnt lgkmcnt(6)
	global_store_short v[2:3], v26, off
	s_or_b64 exec, exec, s[0:1]
	v_cmp_gt_u32_e32 vcc, s33, v21
	s_and_saveexec_b64 s[0:1], vcc
	s_cbranch_execz .LBB2195_137
.LBB2195_172:
	v_cmp_lt_u32_e32 vcc, v21, v8
	v_lshlrev_b32_e32 v24, 1, v21
	v_mov_b32_e32 v25, 0
	v_cndmask_b32_e32 v3, v7, v11, vcc
	v_cndmask_b32_e32 v2, v6, v10, vcc
	v_lshl_add_u64 v[2:3], v[2:3], 0, v[24:25]
	s_waitcnt lgkmcnt(5)
	global_store_short v[2:3], v22, off
	s_or_b64 exec, exec, s[0:1]
	v_cmp_gt_u32_e32 vcc, s33, v19
	s_and_saveexec_b64 s[0:1], vcc
	s_cbranch_execz .LBB2195_138
.LBB2195_173:
	v_cmp_lt_u32_e32 vcc, v19, v8
	s_waitcnt lgkmcnt(5)
	v_lshlrev_b32_e32 v22, 1, v19
	v_mov_b32_e32 v23, 0
	v_cndmask_b32_e32 v3, v7, v11, vcc
	v_cndmask_b32_e32 v2, v6, v10, vcc
	v_lshl_add_u64 v[2:3], v[2:3], 0, v[22:23]
	s_waitcnt lgkmcnt(4)
	global_store_short v[2:3], v20, off
	s_or_b64 exec, exec, s[0:1]
	v_cmp_gt_u32_e32 vcc, s33, v17
	s_and_saveexec_b64 s[0:1], vcc
	s_cbranch_execz .LBB2195_139
.LBB2195_174:
	v_cmp_lt_u32_e32 vcc, v17, v8
	s_waitcnt lgkmcnt(4)
	v_lshlrev_b32_e32 v20, 1, v17
	v_mov_b32_e32 v21, 0
	v_cndmask_b32_e32 v3, v7, v11, vcc
	v_cndmask_b32_e32 v2, v6, v10, vcc
	v_lshl_add_u64 v[2:3], v[2:3], 0, v[20:21]
	s_waitcnt lgkmcnt(3)
	global_store_short v[2:3], v18, off
	s_or_b64 exec, exec, s[0:1]
	v_cmp_gt_u32_e32 vcc, s33, v15
	s_and_saveexec_b64 s[0:1], vcc
	s_cbranch_execz .LBB2195_140
.LBB2195_175:
	v_cmp_lt_u32_e32 vcc, v15, v8
	s_waitcnt lgkmcnt(3)
	v_lshlrev_b32_e32 v18, 1, v15
	v_mov_b32_e32 v19, 0
	v_cndmask_b32_e32 v3, v7, v11, vcc
	v_cndmask_b32_e32 v2, v6, v10, vcc
	v_lshl_add_u64 v[2:3], v[2:3], 0, v[18:19]
	s_waitcnt lgkmcnt(2)
	global_store_short v[2:3], v16, off
	s_or_b64 exec, exec, s[0:1]
	v_cmp_gt_u32_e32 vcc, s33, v13
	s_and_saveexec_b64 s[0:1], vcc
	s_cbranch_execnz .LBB2195_141
	s_branch .LBB2195_142
	.section	.rodata,"a",@progbits
	.p2align	6, 0x0
	.amdhsa_kernel _ZN7rocprim17ROCPRIM_400000_NS6detail17trampoline_kernelINS0_14default_configENS1_25partition_config_selectorILNS1_17partition_subalgoE0EtNS0_10empty_typeEbEEZZNS1_14partition_implILS5_0ELb0ES3_jN6thrust23THRUST_200600_302600_NS6detail15normal_iteratorINSA_10device_ptrItEEEEPS6_SG_NS0_5tupleIJSF_SF_EEENSH_IJSG_SG_EEES6_PlJ7is_evenItEEEE10hipError_tPvRmT3_T4_T5_T6_T7_T9_mT8_P12ihipStream_tbDpT10_ENKUlT_T0_E_clISt17integral_constantIbLb0EES15_IbLb1EEEEDaS11_S12_EUlS11_E_NS1_11comp_targetILNS1_3genE5ELNS1_11target_archE942ELNS1_3gpuE9ELNS1_3repE0EEENS1_30default_config_static_selectorELNS0_4arch9wavefront6targetE1EEEvT1_
		.amdhsa_group_segment_fixed_size 30728
		.amdhsa_private_segment_fixed_size 0
		.amdhsa_kernarg_size 136
		.amdhsa_user_sgpr_count 2
		.amdhsa_user_sgpr_dispatch_ptr 0
		.amdhsa_user_sgpr_queue_ptr 0
		.amdhsa_user_sgpr_kernarg_segment_ptr 1
		.amdhsa_user_sgpr_dispatch_id 0
		.amdhsa_user_sgpr_kernarg_preload_length 0
		.amdhsa_user_sgpr_kernarg_preload_offset 0
		.amdhsa_user_sgpr_private_segment_size 0
		.amdhsa_uses_dynamic_stack 0
		.amdhsa_enable_private_segment 0
		.amdhsa_system_sgpr_workgroup_id_x 1
		.amdhsa_system_sgpr_workgroup_id_y 0
		.amdhsa_system_sgpr_workgroup_id_z 0
		.amdhsa_system_sgpr_workgroup_info 0
		.amdhsa_system_vgpr_workitem_id 0
		.amdhsa_next_free_vgpr 124
		.amdhsa_next_free_sgpr 44
		.amdhsa_accum_offset 124
		.amdhsa_reserve_vcc 1
		.amdhsa_float_round_mode_32 0
		.amdhsa_float_round_mode_16_64 0
		.amdhsa_float_denorm_mode_32 3
		.amdhsa_float_denorm_mode_16_64 3
		.amdhsa_dx10_clamp 1
		.amdhsa_ieee_mode 1
		.amdhsa_fp16_overflow 0
		.amdhsa_tg_split 0
		.amdhsa_exception_fp_ieee_invalid_op 0
		.amdhsa_exception_fp_denorm_src 0
		.amdhsa_exception_fp_ieee_div_zero 0
		.amdhsa_exception_fp_ieee_overflow 0
		.amdhsa_exception_fp_ieee_underflow 0
		.amdhsa_exception_fp_ieee_inexact 0
		.amdhsa_exception_int_div_zero 0
	.end_amdhsa_kernel
	.section	.text._ZN7rocprim17ROCPRIM_400000_NS6detail17trampoline_kernelINS0_14default_configENS1_25partition_config_selectorILNS1_17partition_subalgoE0EtNS0_10empty_typeEbEEZZNS1_14partition_implILS5_0ELb0ES3_jN6thrust23THRUST_200600_302600_NS6detail15normal_iteratorINSA_10device_ptrItEEEEPS6_SG_NS0_5tupleIJSF_SF_EEENSH_IJSG_SG_EEES6_PlJ7is_evenItEEEE10hipError_tPvRmT3_T4_T5_T6_T7_T9_mT8_P12ihipStream_tbDpT10_ENKUlT_T0_E_clISt17integral_constantIbLb0EES15_IbLb1EEEEDaS11_S12_EUlS11_E_NS1_11comp_targetILNS1_3genE5ELNS1_11target_archE942ELNS1_3gpuE9ELNS1_3repE0EEENS1_30default_config_static_selectorELNS0_4arch9wavefront6targetE1EEEvT1_,"axG",@progbits,_ZN7rocprim17ROCPRIM_400000_NS6detail17trampoline_kernelINS0_14default_configENS1_25partition_config_selectorILNS1_17partition_subalgoE0EtNS0_10empty_typeEbEEZZNS1_14partition_implILS5_0ELb0ES3_jN6thrust23THRUST_200600_302600_NS6detail15normal_iteratorINSA_10device_ptrItEEEEPS6_SG_NS0_5tupleIJSF_SF_EEENSH_IJSG_SG_EEES6_PlJ7is_evenItEEEE10hipError_tPvRmT3_T4_T5_T6_T7_T9_mT8_P12ihipStream_tbDpT10_ENKUlT_T0_E_clISt17integral_constantIbLb0EES15_IbLb1EEEEDaS11_S12_EUlS11_E_NS1_11comp_targetILNS1_3genE5ELNS1_11target_archE942ELNS1_3gpuE9ELNS1_3repE0EEENS1_30default_config_static_selectorELNS0_4arch9wavefront6targetE1EEEvT1_,comdat
.Lfunc_end2195:
	.size	_ZN7rocprim17ROCPRIM_400000_NS6detail17trampoline_kernelINS0_14default_configENS1_25partition_config_selectorILNS1_17partition_subalgoE0EtNS0_10empty_typeEbEEZZNS1_14partition_implILS5_0ELb0ES3_jN6thrust23THRUST_200600_302600_NS6detail15normal_iteratorINSA_10device_ptrItEEEEPS6_SG_NS0_5tupleIJSF_SF_EEENSH_IJSG_SG_EEES6_PlJ7is_evenItEEEE10hipError_tPvRmT3_T4_T5_T6_T7_T9_mT8_P12ihipStream_tbDpT10_ENKUlT_T0_E_clISt17integral_constantIbLb0EES15_IbLb1EEEEDaS11_S12_EUlS11_E_NS1_11comp_targetILNS1_3genE5ELNS1_11target_archE942ELNS1_3gpuE9ELNS1_3repE0EEENS1_30default_config_static_selectorELNS0_4arch9wavefront6targetE1EEEvT1_, .Lfunc_end2195-_ZN7rocprim17ROCPRIM_400000_NS6detail17trampoline_kernelINS0_14default_configENS1_25partition_config_selectorILNS1_17partition_subalgoE0EtNS0_10empty_typeEbEEZZNS1_14partition_implILS5_0ELb0ES3_jN6thrust23THRUST_200600_302600_NS6detail15normal_iteratorINSA_10device_ptrItEEEEPS6_SG_NS0_5tupleIJSF_SF_EEENSH_IJSG_SG_EEES6_PlJ7is_evenItEEEE10hipError_tPvRmT3_T4_T5_T6_T7_T9_mT8_P12ihipStream_tbDpT10_ENKUlT_T0_E_clISt17integral_constantIbLb0EES15_IbLb1EEEEDaS11_S12_EUlS11_E_NS1_11comp_targetILNS1_3genE5ELNS1_11target_archE942ELNS1_3gpuE9ELNS1_3repE0EEENS1_30default_config_static_selectorELNS0_4arch9wavefront6targetE1EEEvT1_
                                        ; -- End function
	.section	.AMDGPU.csdata,"",@progbits
; Kernel info:
; codeLenInByte = 10992
; NumSgprs: 50
; NumVgprs: 124
; NumAgprs: 0
; TotalNumVgprs: 124
; ScratchSize: 0
; MemoryBound: 0
; FloatMode: 240
; IeeeMode: 1
; LDSByteSize: 30728 bytes/workgroup (compile time only)
; SGPRBlocks: 6
; VGPRBlocks: 15
; NumSGPRsForWavesPerEU: 50
; NumVGPRsForWavesPerEU: 124
; AccumOffset: 124
; Occupancy: 4
; WaveLimiterHint : 1
; COMPUTE_PGM_RSRC2:SCRATCH_EN: 0
; COMPUTE_PGM_RSRC2:USER_SGPR: 2
; COMPUTE_PGM_RSRC2:TRAP_HANDLER: 0
; COMPUTE_PGM_RSRC2:TGID_X_EN: 1
; COMPUTE_PGM_RSRC2:TGID_Y_EN: 0
; COMPUTE_PGM_RSRC2:TGID_Z_EN: 0
; COMPUTE_PGM_RSRC2:TIDIG_COMP_CNT: 0
; COMPUTE_PGM_RSRC3_GFX90A:ACCUM_OFFSET: 30
; COMPUTE_PGM_RSRC3_GFX90A:TG_SPLIT: 0
	.section	.text._ZN7rocprim17ROCPRIM_400000_NS6detail17trampoline_kernelINS0_14default_configENS1_25partition_config_selectorILNS1_17partition_subalgoE0EtNS0_10empty_typeEbEEZZNS1_14partition_implILS5_0ELb0ES3_jN6thrust23THRUST_200600_302600_NS6detail15normal_iteratorINSA_10device_ptrItEEEEPS6_SG_NS0_5tupleIJSF_SF_EEENSH_IJSG_SG_EEES6_PlJ7is_evenItEEEE10hipError_tPvRmT3_T4_T5_T6_T7_T9_mT8_P12ihipStream_tbDpT10_ENKUlT_T0_E_clISt17integral_constantIbLb0EES15_IbLb1EEEEDaS11_S12_EUlS11_E_NS1_11comp_targetILNS1_3genE4ELNS1_11target_archE910ELNS1_3gpuE8ELNS1_3repE0EEENS1_30default_config_static_selectorELNS0_4arch9wavefront6targetE1EEEvT1_,"axG",@progbits,_ZN7rocprim17ROCPRIM_400000_NS6detail17trampoline_kernelINS0_14default_configENS1_25partition_config_selectorILNS1_17partition_subalgoE0EtNS0_10empty_typeEbEEZZNS1_14partition_implILS5_0ELb0ES3_jN6thrust23THRUST_200600_302600_NS6detail15normal_iteratorINSA_10device_ptrItEEEEPS6_SG_NS0_5tupleIJSF_SF_EEENSH_IJSG_SG_EEES6_PlJ7is_evenItEEEE10hipError_tPvRmT3_T4_T5_T6_T7_T9_mT8_P12ihipStream_tbDpT10_ENKUlT_T0_E_clISt17integral_constantIbLb0EES15_IbLb1EEEEDaS11_S12_EUlS11_E_NS1_11comp_targetILNS1_3genE4ELNS1_11target_archE910ELNS1_3gpuE8ELNS1_3repE0EEENS1_30default_config_static_selectorELNS0_4arch9wavefront6targetE1EEEvT1_,comdat
	.protected	_ZN7rocprim17ROCPRIM_400000_NS6detail17trampoline_kernelINS0_14default_configENS1_25partition_config_selectorILNS1_17partition_subalgoE0EtNS0_10empty_typeEbEEZZNS1_14partition_implILS5_0ELb0ES3_jN6thrust23THRUST_200600_302600_NS6detail15normal_iteratorINSA_10device_ptrItEEEEPS6_SG_NS0_5tupleIJSF_SF_EEENSH_IJSG_SG_EEES6_PlJ7is_evenItEEEE10hipError_tPvRmT3_T4_T5_T6_T7_T9_mT8_P12ihipStream_tbDpT10_ENKUlT_T0_E_clISt17integral_constantIbLb0EES15_IbLb1EEEEDaS11_S12_EUlS11_E_NS1_11comp_targetILNS1_3genE4ELNS1_11target_archE910ELNS1_3gpuE8ELNS1_3repE0EEENS1_30default_config_static_selectorELNS0_4arch9wavefront6targetE1EEEvT1_ ; -- Begin function _ZN7rocprim17ROCPRIM_400000_NS6detail17trampoline_kernelINS0_14default_configENS1_25partition_config_selectorILNS1_17partition_subalgoE0EtNS0_10empty_typeEbEEZZNS1_14partition_implILS5_0ELb0ES3_jN6thrust23THRUST_200600_302600_NS6detail15normal_iteratorINSA_10device_ptrItEEEEPS6_SG_NS0_5tupleIJSF_SF_EEENSH_IJSG_SG_EEES6_PlJ7is_evenItEEEE10hipError_tPvRmT3_T4_T5_T6_T7_T9_mT8_P12ihipStream_tbDpT10_ENKUlT_T0_E_clISt17integral_constantIbLb0EES15_IbLb1EEEEDaS11_S12_EUlS11_E_NS1_11comp_targetILNS1_3genE4ELNS1_11target_archE910ELNS1_3gpuE8ELNS1_3repE0EEENS1_30default_config_static_selectorELNS0_4arch9wavefront6targetE1EEEvT1_
	.globl	_ZN7rocprim17ROCPRIM_400000_NS6detail17trampoline_kernelINS0_14default_configENS1_25partition_config_selectorILNS1_17partition_subalgoE0EtNS0_10empty_typeEbEEZZNS1_14partition_implILS5_0ELb0ES3_jN6thrust23THRUST_200600_302600_NS6detail15normal_iteratorINSA_10device_ptrItEEEEPS6_SG_NS0_5tupleIJSF_SF_EEENSH_IJSG_SG_EEES6_PlJ7is_evenItEEEE10hipError_tPvRmT3_T4_T5_T6_T7_T9_mT8_P12ihipStream_tbDpT10_ENKUlT_T0_E_clISt17integral_constantIbLb0EES15_IbLb1EEEEDaS11_S12_EUlS11_E_NS1_11comp_targetILNS1_3genE4ELNS1_11target_archE910ELNS1_3gpuE8ELNS1_3repE0EEENS1_30default_config_static_selectorELNS0_4arch9wavefront6targetE1EEEvT1_
	.p2align	8
	.type	_ZN7rocprim17ROCPRIM_400000_NS6detail17trampoline_kernelINS0_14default_configENS1_25partition_config_selectorILNS1_17partition_subalgoE0EtNS0_10empty_typeEbEEZZNS1_14partition_implILS5_0ELb0ES3_jN6thrust23THRUST_200600_302600_NS6detail15normal_iteratorINSA_10device_ptrItEEEEPS6_SG_NS0_5tupleIJSF_SF_EEENSH_IJSG_SG_EEES6_PlJ7is_evenItEEEE10hipError_tPvRmT3_T4_T5_T6_T7_T9_mT8_P12ihipStream_tbDpT10_ENKUlT_T0_E_clISt17integral_constantIbLb0EES15_IbLb1EEEEDaS11_S12_EUlS11_E_NS1_11comp_targetILNS1_3genE4ELNS1_11target_archE910ELNS1_3gpuE8ELNS1_3repE0EEENS1_30default_config_static_selectorELNS0_4arch9wavefront6targetE1EEEvT1_,@function
_ZN7rocprim17ROCPRIM_400000_NS6detail17trampoline_kernelINS0_14default_configENS1_25partition_config_selectorILNS1_17partition_subalgoE0EtNS0_10empty_typeEbEEZZNS1_14partition_implILS5_0ELb0ES3_jN6thrust23THRUST_200600_302600_NS6detail15normal_iteratorINSA_10device_ptrItEEEEPS6_SG_NS0_5tupleIJSF_SF_EEENSH_IJSG_SG_EEES6_PlJ7is_evenItEEEE10hipError_tPvRmT3_T4_T5_T6_T7_T9_mT8_P12ihipStream_tbDpT10_ENKUlT_T0_E_clISt17integral_constantIbLb0EES15_IbLb1EEEEDaS11_S12_EUlS11_E_NS1_11comp_targetILNS1_3genE4ELNS1_11target_archE910ELNS1_3gpuE8ELNS1_3repE0EEENS1_30default_config_static_selectorELNS0_4arch9wavefront6targetE1EEEvT1_: ; @_ZN7rocprim17ROCPRIM_400000_NS6detail17trampoline_kernelINS0_14default_configENS1_25partition_config_selectorILNS1_17partition_subalgoE0EtNS0_10empty_typeEbEEZZNS1_14partition_implILS5_0ELb0ES3_jN6thrust23THRUST_200600_302600_NS6detail15normal_iteratorINSA_10device_ptrItEEEEPS6_SG_NS0_5tupleIJSF_SF_EEENSH_IJSG_SG_EEES6_PlJ7is_evenItEEEE10hipError_tPvRmT3_T4_T5_T6_T7_T9_mT8_P12ihipStream_tbDpT10_ENKUlT_T0_E_clISt17integral_constantIbLb0EES15_IbLb1EEEEDaS11_S12_EUlS11_E_NS1_11comp_targetILNS1_3genE4ELNS1_11target_archE910ELNS1_3gpuE8ELNS1_3repE0EEENS1_30default_config_static_selectorELNS0_4arch9wavefront6targetE1EEEvT1_
; %bb.0:
	.section	.rodata,"a",@progbits
	.p2align	6, 0x0
	.amdhsa_kernel _ZN7rocprim17ROCPRIM_400000_NS6detail17trampoline_kernelINS0_14default_configENS1_25partition_config_selectorILNS1_17partition_subalgoE0EtNS0_10empty_typeEbEEZZNS1_14partition_implILS5_0ELb0ES3_jN6thrust23THRUST_200600_302600_NS6detail15normal_iteratorINSA_10device_ptrItEEEEPS6_SG_NS0_5tupleIJSF_SF_EEENSH_IJSG_SG_EEES6_PlJ7is_evenItEEEE10hipError_tPvRmT3_T4_T5_T6_T7_T9_mT8_P12ihipStream_tbDpT10_ENKUlT_T0_E_clISt17integral_constantIbLb0EES15_IbLb1EEEEDaS11_S12_EUlS11_E_NS1_11comp_targetILNS1_3genE4ELNS1_11target_archE910ELNS1_3gpuE8ELNS1_3repE0EEENS1_30default_config_static_selectorELNS0_4arch9wavefront6targetE1EEEvT1_
		.amdhsa_group_segment_fixed_size 0
		.amdhsa_private_segment_fixed_size 0
		.amdhsa_kernarg_size 136
		.amdhsa_user_sgpr_count 2
		.amdhsa_user_sgpr_dispatch_ptr 0
		.amdhsa_user_sgpr_queue_ptr 0
		.amdhsa_user_sgpr_kernarg_segment_ptr 1
		.amdhsa_user_sgpr_dispatch_id 0
		.amdhsa_user_sgpr_kernarg_preload_length 0
		.amdhsa_user_sgpr_kernarg_preload_offset 0
		.amdhsa_user_sgpr_private_segment_size 0
		.amdhsa_uses_dynamic_stack 0
		.amdhsa_enable_private_segment 0
		.amdhsa_system_sgpr_workgroup_id_x 1
		.amdhsa_system_sgpr_workgroup_id_y 0
		.amdhsa_system_sgpr_workgroup_id_z 0
		.amdhsa_system_sgpr_workgroup_info 0
		.amdhsa_system_vgpr_workitem_id 0
		.amdhsa_next_free_vgpr 1
		.amdhsa_next_free_sgpr 0
		.amdhsa_accum_offset 4
		.amdhsa_reserve_vcc 0
		.amdhsa_float_round_mode_32 0
		.amdhsa_float_round_mode_16_64 0
		.amdhsa_float_denorm_mode_32 3
		.amdhsa_float_denorm_mode_16_64 3
		.amdhsa_dx10_clamp 1
		.amdhsa_ieee_mode 1
		.amdhsa_fp16_overflow 0
		.amdhsa_tg_split 0
		.amdhsa_exception_fp_ieee_invalid_op 0
		.amdhsa_exception_fp_denorm_src 0
		.amdhsa_exception_fp_ieee_div_zero 0
		.amdhsa_exception_fp_ieee_overflow 0
		.amdhsa_exception_fp_ieee_underflow 0
		.amdhsa_exception_fp_ieee_inexact 0
		.amdhsa_exception_int_div_zero 0
	.end_amdhsa_kernel
	.section	.text._ZN7rocprim17ROCPRIM_400000_NS6detail17trampoline_kernelINS0_14default_configENS1_25partition_config_selectorILNS1_17partition_subalgoE0EtNS0_10empty_typeEbEEZZNS1_14partition_implILS5_0ELb0ES3_jN6thrust23THRUST_200600_302600_NS6detail15normal_iteratorINSA_10device_ptrItEEEEPS6_SG_NS0_5tupleIJSF_SF_EEENSH_IJSG_SG_EEES6_PlJ7is_evenItEEEE10hipError_tPvRmT3_T4_T5_T6_T7_T9_mT8_P12ihipStream_tbDpT10_ENKUlT_T0_E_clISt17integral_constantIbLb0EES15_IbLb1EEEEDaS11_S12_EUlS11_E_NS1_11comp_targetILNS1_3genE4ELNS1_11target_archE910ELNS1_3gpuE8ELNS1_3repE0EEENS1_30default_config_static_selectorELNS0_4arch9wavefront6targetE1EEEvT1_,"axG",@progbits,_ZN7rocprim17ROCPRIM_400000_NS6detail17trampoline_kernelINS0_14default_configENS1_25partition_config_selectorILNS1_17partition_subalgoE0EtNS0_10empty_typeEbEEZZNS1_14partition_implILS5_0ELb0ES3_jN6thrust23THRUST_200600_302600_NS6detail15normal_iteratorINSA_10device_ptrItEEEEPS6_SG_NS0_5tupleIJSF_SF_EEENSH_IJSG_SG_EEES6_PlJ7is_evenItEEEE10hipError_tPvRmT3_T4_T5_T6_T7_T9_mT8_P12ihipStream_tbDpT10_ENKUlT_T0_E_clISt17integral_constantIbLb0EES15_IbLb1EEEEDaS11_S12_EUlS11_E_NS1_11comp_targetILNS1_3genE4ELNS1_11target_archE910ELNS1_3gpuE8ELNS1_3repE0EEENS1_30default_config_static_selectorELNS0_4arch9wavefront6targetE1EEEvT1_,comdat
.Lfunc_end2196:
	.size	_ZN7rocprim17ROCPRIM_400000_NS6detail17trampoline_kernelINS0_14default_configENS1_25partition_config_selectorILNS1_17partition_subalgoE0EtNS0_10empty_typeEbEEZZNS1_14partition_implILS5_0ELb0ES3_jN6thrust23THRUST_200600_302600_NS6detail15normal_iteratorINSA_10device_ptrItEEEEPS6_SG_NS0_5tupleIJSF_SF_EEENSH_IJSG_SG_EEES6_PlJ7is_evenItEEEE10hipError_tPvRmT3_T4_T5_T6_T7_T9_mT8_P12ihipStream_tbDpT10_ENKUlT_T0_E_clISt17integral_constantIbLb0EES15_IbLb1EEEEDaS11_S12_EUlS11_E_NS1_11comp_targetILNS1_3genE4ELNS1_11target_archE910ELNS1_3gpuE8ELNS1_3repE0EEENS1_30default_config_static_selectorELNS0_4arch9wavefront6targetE1EEEvT1_, .Lfunc_end2196-_ZN7rocprim17ROCPRIM_400000_NS6detail17trampoline_kernelINS0_14default_configENS1_25partition_config_selectorILNS1_17partition_subalgoE0EtNS0_10empty_typeEbEEZZNS1_14partition_implILS5_0ELb0ES3_jN6thrust23THRUST_200600_302600_NS6detail15normal_iteratorINSA_10device_ptrItEEEEPS6_SG_NS0_5tupleIJSF_SF_EEENSH_IJSG_SG_EEES6_PlJ7is_evenItEEEE10hipError_tPvRmT3_T4_T5_T6_T7_T9_mT8_P12ihipStream_tbDpT10_ENKUlT_T0_E_clISt17integral_constantIbLb0EES15_IbLb1EEEEDaS11_S12_EUlS11_E_NS1_11comp_targetILNS1_3genE4ELNS1_11target_archE910ELNS1_3gpuE8ELNS1_3repE0EEENS1_30default_config_static_selectorELNS0_4arch9wavefront6targetE1EEEvT1_
                                        ; -- End function
	.section	.AMDGPU.csdata,"",@progbits
; Kernel info:
; codeLenInByte = 0
; NumSgprs: 6
; NumVgprs: 0
; NumAgprs: 0
; TotalNumVgprs: 0
; ScratchSize: 0
; MemoryBound: 0
; FloatMode: 240
; IeeeMode: 1
; LDSByteSize: 0 bytes/workgroup (compile time only)
; SGPRBlocks: 0
; VGPRBlocks: 0
; NumSGPRsForWavesPerEU: 6
; NumVGPRsForWavesPerEU: 1
; AccumOffset: 4
; Occupancy: 8
; WaveLimiterHint : 0
; COMPUTE_PGM_RSRC2:SCRATCH_EN: 0
; COMPUTE_PGM_RSRC2:USER_SGPR: 2
; COMPUTE_PGM_RSRC2:TRAP_HANDLER: 0
; COMPUTE_PGM_RSRC2:TGID_X_EN: 1
; COMPUTE_PGM_RSRC2:TGID_Y_EN: 0
; COMPUTE_PGM_RSRC2:TGID_Z_EN: 0
; COMPUTE_PGM_RSRC2:TIDIG_COMP_CNT: 0
; COMPUTE_PGM_RSRC3_GFX90A:ACCUM_OFFSET: 0
; COMPUTE_PGM_RSRC3_GFX90A:TG_SPLIT: 0
	.section	.text._ZN7rocprim17ROCPRIM_400000_NS6detail17trampoline_kernelINS0_14default_configENS1_25partition_config_selectorILNS1_17partition_subalgoE0EtNS0_10empty_typeEbEEZZNS1_14partition_implILS5_0ELb0ES3_jN6thrust23THRUST_200600_302600_NS6detail15normal_iteratorINSA_10device_ptrItEEEEPS6_SG_NS0_5tupleIJSF_SF_EEENSH_IJSG_SG_EEES6_PlJ7is_evenItEEEE10hipError_tPvRmT3_T4_T5_T6_T7_T9_mT8_P12ihipStream_tbDpT10_ENKUlT_T0_E_clISt17integral_constantIbLb0EES15_IbLb1EEEEDaS11_S12_EUlS11_E_NS1_11comp_targetILNS1_3genE3ELNS1_11target_archE908ELNS1_3gpuE7ELNS1_3repE0EEENS1_30default_config_static_selectorELNS0_4arch9wavefront6targetE1EEEvT1_,"axG",@progbits,_ZN7rocprim17ROCPRIM_400000_NS6detail17trampoline_kernelINS0_14default_configENS1_25partition_config_selectorILNS1_17partition_subalgoE0EtNS0_10empty_typeEbEEZZNS1_14partition_implILS5_0ELb0ES3_jN6thrust23THRUST_200600_302600_NS6detail15normal_iteratorINSA_10device_ptrItEEEEPS6_SG_NS0_5tupleIJSF_SF_EEENSH_IJSG_SG_EEES6_PlJ7is_evenItEEEE10hipError_tPvRmT3_T4_T5_T6_T7_T9_mT8_P12ihipStream_tbDpT10_ENKUlT_T0_E_clISt17integral_constantIbLb0EES15_IbLb1EEEEDaS11_S12_EUlS11_E_NS1_11comp_targetILNS1_3genE3ELNS1_11target_archE908ELNS1_3gpuE7ELNS1_3repE0EEENS1_30default_config_static_selectorELNS0_4arch9wavefront6targetE1EEEvT1_,comdat
	.protected	_ZN7rocprim17ROCPRIM_400000_NS6detail17trampoline_kernelINS0_14default_configENS1_25partition_config_selectorILNS1_17partition_subalgoE0EtNS0_10empty_typeEbEEZZNS1_14partition_implILS5_0ELb0ES3_jN6thrust23THRUST_200600_302600_NS6detail15normal_iteratorINSA_10device_ptrItEEEEPS6_SG_NS0_5tupleIJSF_SF_EEENSH_IJSG_SG_EEES6_PlJ7is_evenItEEEE10hipError_tPvRmT3_T4_T5_T6_T7_T9_mT8_P12ihipStream_tbDpT10_ENKUlT_T0_E_clISt17integral_constantIbLb0EES15_IbLb1EEEEDaS11_S12_EUlS11_E_NS1_11comp_targetILNS1_3genE3ELNS1_11target_archE908ELNS1_3gpuE7ELNS1_3repE0EEENS1_30default_config_static_selectorELNS0_4arch9wavefront6targetE1EEEvT1_ ; -- Begin function _ZN7rocprim17ROCPRIM_400000_NS6detail17trampoline_kernelINS0_14default_configENS1_25partition_config_selectorILNS1_17partition_subalgoE0EtNS0_10empty_typeEbEEZZNS1_14partition_implILS5_0ELb0ES3_jN6thrust23THRUST_200600_302600_NS6detail15normal_iteratorINSA_10device_ptrItEEEEPS6_SG_NS0_5tupleIJSF_SF_EEENSH_IJSG_SG_EEES6_PlJ7is_evenItEEEE10hipError_tPvRmT3_T4_T5_T6_T7_T9_mT8_P12ihipStream_tbDpT10_ENKUlT_T0_E_clISt17integral_constantIbLb0EES15_IbLb1EEEEDaS11_S12_EUlS11_E_NS1_11comp_targetILNS1_3genE3ELNS1_11target_archE908ELNS1_3gpuE7ELNS1_3repE0EEENS1_30default_config_static_selectorELNS0_4arch9wavefront6targetE1EEEvT1_
	.globl	_ZN7rocprim17ROCPRIM_400000_NS6detail17trampoline_kernelINS0_14default_configENS1_25partition_config_selectorILNS1_17partition_subalgoE0EtNS0_10empty_typeEbEEZZNS1_14partition_implILS5_0ELb0ES3_jN6thrust23THRUST_200600_302600_NS6detail15normal_iteratorINSA_10device_ptrItEEEEPS6_SG_NS0_5tupleIJSF_SF_EEENSH_IJSG_SG_EEES6_PlJ7is_evenItEEEE10hipError_tPvRmT3_T4_T5_T6_T7_T9_mT8_P12ihipStream_tbDpT10_ENKUlT_T0_E_clISt17integral_constantIbLb0EES15_IbLb1EEEEDaS11_S12_EUlS11_E_NS1_11comp_targetILNS1_3genE3ELNS1_11target_archE908ELNS1_3gpuE7ELNS1_3repE0EEENS1_30default_config_static_selectorELNS0_4arch9wavefront6targetE1EEEvT1_
	.p2align	8
	.type	_ZN7rocprim17ROCPRIM_400000_NS6detail17trampoline_kernelINS0_14default_configENS1_25partition_config_selectorILNS1_17partition_subalgoE0EtNS0_10empty_typeEbEEZZNS1_14partition_implILS5_0ELb0ES3_jN6thrust23THRUST_200600_302600_NS6detail15normal_iteratorINSA_10device_ptrItEEEEPS6_SG_NS0_5tupleIJSF_SF_EEENSH_IJSG_SG_EEES6_PlJ7is_evenItEEEE10hipError_tPvRmT3_T4_T5_T6_T7_T9_mT8_P12ihipStream_tbDpT10_ENKUlT_T0_E_clISt17integral_constantIbLb0EES15_IbLb1EEEEDaS11_S12_EUlS11_E_NS1_11comp_targetILNS1_3genE3ELNS1_11target_archE908ELNS1_3gpuE7ELNS1_3repE0EEENS1_30default_config_static_selectorELNS0_4arch9wavefront6targetE1EEEvT1_,@function
_ZN7rocprim17ROCPRIM_400000_NS6detail17trampoline_kernelINS0_14default_configENS1_25partition_config_selectorILNS1_17partition_subalgoE0EtNS0_10empty_typeEbEEZZNS1_14partition_implILS5_0ELb0ES3_jN6thrust23THRUST_200600_302600_NS6detail15normal_iteratorINSA_10device_ptrItEEEEPS6_SG_NS0_5tupleIJSF_SF_EEENSH_IJSG_SG_EEES6_PlJ7is_evenItEEEE10hipError_tPvRmT3_T4_T5_T6_T7_T9_mT8_P12ihipStream_tbDpT10_ENKUlT_T0_E_clISt17integral_constantIbLb0EES15_IbLb1EEEEDaS11_S12_EUlS11_E_NS1_11comp_targetILNS1_3genE3ELNS1_11target_archE908ELNS1_3gpuE7ELNS1_3repE0EEENS1_30default_config_static_selectorELNS0_4arch9wavefront6targetE1EEEvT1_: ; @_ZN7rocprim17ROCPRIM_400000_NS6detail17trampoline_kernelINS0_14default_configENS1_25partition_config_selectorILNS1_17partition_subalgoE0EtNS0_10empty_typeEbEEZZNS1_14partition_implILS5_0ELb0ES3_jN6thrust23THRUST_200600_302600_NS6detail15normal_iteratorINSA_10device_ptrItEEEEPS6_SG_NS0_5tupleIJSF_SF_EEENSH_IJSG_SG_EEES6_PlJ7is_evenItEEEE10hipError_tPvRmT3_T4_T5_T6_T7_T9_mT8_P12ihipStream_tbDpT10_ENKUlT_T0_E_clISt17integral_constantIbLb0EES15_IbLb1EEEEDaS11_S12_EUlS11_E_NS1_11comp_targetILNS1_3genE3ELNS1_11target_archE908ELNS1_3gpuE7ELNS1_3repE0EEENS1_30default_config_static_selectorELNS0_4arch9wavefront6targetE1EEEvT1_
; %bb.0:
	.section	.rodata,"a",@progbits
	.p2align	6, 0x0
	.amdhsa_kernel _ZN7rocprim17ROCPRIM_400000_NS6detail17trampoline_kernelINS0_14default_configENS1_25partition_config_selectorILNS1_17partition_subalgoE0EtNS0_10empty_typeEbEEZZNS1_14partition_implILS5_0ELb0ES3_jN6thrust23THRUST_200600_302600_NS6detail15normal_iteratorINSA_10device_ptrItEEEEPS6_SG_NS0_5tupleIJSF_SF_EEENSH_IJSG_SG_EEES6_PlJ7is_evenItEEEE10hipError_tPvRmT3_T4_T5_T6_T7_T9_mT8_P12ihipStream_tbDpT10_ENKUlT_T0_E_clISt17integral_constantIbLb0EES15_IbLb1EEEEDaS11_S12_EUlS11_E_NS1_11comp_targetILNS1_3genE3ELNS1_11target_archE908ELNS1_3gpuE7ELNS1_3repE0EEENS1_30default_config_static_selectorELNS0_4arch9wavefront6targetE1EEEvT1_
		.amdhsa_group_segment_fixed_size 0
		.amdhsa_private_segment_fixed_size 0
		.amdhsa_kernarg_size 136
		.amdhsa_user_sgpr_count 2
		.amdhsa_user_sgpr_dispatch_ptr 0
		.amdhsa_user_sgpr_queue_ptr 0
		.amdhsa_user_sgpr_kernarg_segment_ptr 1
		.amdhsa_user_sgpr_dispatch_id 0
		.amdhsa_user_sgpr_kernarg_preload_length 0
		.amdhsa_user_sgpr_kernarg_preload_offset 0
		.amdhsa_user_sgpr_private_segment_size 0
		.amdhsa_uses_dynamic_stack 0
		.amdhsa_enable_private_segment 0
		.amdhsa_system_sgpr_workgroup_id_x 1
		.amdhsa_system_sgpr_workgroup_id_y 0
		.amdhsa_system_sgpr_workgroup_id_z 0
		.amdhsa_system_sgpr_workgroup_info 0
		.amdhsa_system_vgpr_workitem_id 0
		.amdhsa_next_free_vgpr 1
		.amdhsa_next_free_sgpr 0
		.amdhsa_accum_offset 4
		.amdhsa_reserve_vcc 0
		.amdhsa_float_round_mode_32 0
		.amdhsa_float_round_mode_16_64 0
		.amdhsa_float_denorm_mode_32 3
		.amdhsa_float_denorm_mode_16_64 3
		.amdhsa_dx10_clamp 1
		.amdhsa_ieee_mode 1
		.amdhsa_fp16_overflow 0
		.amdhsa_tg_split 0
		.amdhsa_exception_fp_ieee_invalid_op 0
		.amdhsa_exception_fp_denorm_src 0
		.amdhsa_exception_fp_ieee_div_zero 0
		.amdhsa_exception_fp_ieee_overflow 0
		.amdhsa_exception_fp_ieee_underflow 0
		.amdhsa_exception_fp_ieee_inexact 0
		.amdhsa_exception_int_div_zero 0
	.end_amdhsa_kernel
	.section	.text._ZN7rocprim17ROCPRIM_400000_NS6detail17trampoline_kernelINS0_14default_configENS1_25partition_config_selectorILNS1_17partition_subalgoE0EtNS0_10empty_typeEbEEZZNS1_14partition_implILS5_0ELb0ES3_jN6thrust23THRUST_200600_302600_NS6detail15normal_iteratorINSA_10device_ptrItEEEEPS6_SG_NS0_5tupleIJSF_SF_EEENSH_IJSG_SG_EEES6_PlJ7is_evenItEEEE10hipError_tPvRmT3_T4_T5_T6_T7_T9_mT8_P12ihipStream_tbDpT10_ENKUlT_T0_E_clISt17integral_constantIbLb0EES15_IbLb1EEEEDaS11_S12_EUlS11_E_NS1_11comp_targetILNS1_3genE3ELNS1_11target_archE908ELNS1_3gpuE7ELNS1_3repE0EEENS1_30default_config_static_selectorELNS0_4arch9wavefront6targetE1EEEvT1_,"axG",@progbits,_ZN7rocprim17ROCPRIM_400000_NS6detail17trampoline_kernelINS0_14default_configENS1_25partition_config_selectorILNS1_17partition_subalgoE0EtNS0_10empty_typeEbEEZZNS1_14partition_implILS5_0ELb0ES3_jN6thrust23THRUST_200600_302600_NS6detail15normal_iteratorINSA_10device_ptrItEEEEPS6_SG_NS0_5tupleIJSF_SF_EEENSH_IJSG_SG_EEES6_PlJ7is_evenItEEEE10hipError_tPvRmT3_T4_T5_T6_T7_T9_mT8_P12ihipStream_tbDpT10_ENKUlT_T0_E_clISt17integral_constantIbLb0EES15_IbLb1EEEEDaS11_S12_EUlS11_E_NS1_11comp_targetILNS1_3genE3ELNS1_11target_archE908ELNS1_3gpuE7ELNS1_3repE0EEENS1_30default_config_static_selectorELNS0_4arch9wavefront6targetE1EEEvT1_,comdat
.Lfunc_end2197:
	.size	_ZN7rocprim17ROCPRIM_400000_NS6detail17trampoline_kernelINS0_14default_configENS1_25partition_config_selectorILNS1_17partition_subalgoE0EtNS0_10empty_typeEbEEZZNS1_14partition_implILS5_0ELb0ES3_jN6thrust23THRUST_200600_302600_NS6detail15normal_iteratorINSA_10device_ptrItEEEEPS6_SG_NS0_5tupleIJSF_SF_EEENSH_IJSG_SG_EEES6_PlJ7is_evenItEEEE10hipError_tPvRmT3_T4_T5_T6_T7_T9_mT8_P12ihipStream_tbDpT10_ENKUlT_T0_E_clISt17integral_constantIbLb0EES15_IbLb1EEEEDaS11_S12_EUlS11_E_NS1_11comp_targetILNS1_3genE3ELNS1_11target_archE908ELNS1_3gpuE7ELNS1_3repE0EEENS1_30default_config_static_selectorELNS0_4arch9wavefront6targetE1EEEvT1_, .Lfunc_end2197-_ZN7rocprim17ROCPRIM_400000_NS6detail17trampoline_kernelINS0_14default_configENS1_25partition_config_selectorILNS1_17partition_subalgoE0EtNS0_10empty_typeEbEEZZNS1_14partition_implILS5_0ELb0ES3_jN6thrust23THRUST_200600_302600_NS6detail15normal_iteratorINSA_10device_ptrItEEEEPS6_SG_NS0_5tupleIJSF_SF_EEENSH_IJSG_SG_EEES6_PlJ7is_evenItEEEE10hipError_tPvRmT3_T4_T5_T6_T7_T9_mT8_P12ihipStream_tbDpT10_ENKUlT_T0_E_clISt17integral_constantIbLb0EES15_IbLb1EEEEDaS11_S12_EUlS11_E_NS1_11comp_targetILNS1_3genE3ELNS1_11target_archE908ELNS1_3gpuE7ELNS1_3repE0EEENS1_30default_config_static_selectorELNS0_4arch9wavefront6targetE1EEEvT1_
                                        ; -- End function
	.section	.AMDGPU.csdata,"",@progbits
; Kernel info:
; codeLenInByte = 0
; NumSgprs: 6
; NumVgprs: 0
; NumAgprs: 0
; TotalNumVgprs: 0
; ScratchSize: 0
; MemoryBound: 0
; FloatMode: 240
; IeeeMode: 1
; LDSByteSize: 0 bytes/workgroup (compile time only)
; SGPRBlocks: 0
; VGPRBlocks: 0
; NumSGPRsForWavesPerEU: 6
; NumVGPRsForWavesPerEU: 1
; AccumOffset: 4
; Occupancy: 8
; WaveLimiterHint : 0
; COMPUTE_PGM_RSRC2:SCRATCH_EN: 0
; COMPUTE_PGM_RSRC2:USER_SGPR: 2
; COMPUTE_PGM_RSRC2:TRAP_HANDLER: 0
; COMPUTE_PGM_RSRC2:TGID_X_EN: 1
; COMPUTE_PGM_RSRC2:TGID_Y_EN: 0
; COMPUTE_PGM_RSRC2:TGID_Z_EN: 0
; COMPUTE_PGM_RSRC2:TIDIG_COMP_CNT: 0
; COMPUTE_PGM_RSRC3_GFX90A:ACCUM_OFFSET: 0
; COMPUTE_PGM_RSRC3_GFX90A:TG_SPLIT: 0
	.section	.text._ZN7rocprim17ROCPRIM_400000_NS6detail17trampoline_kernelINS0_14default_configENS1_25partition_config_selectorILNS1_17partition_subalgoE0EtNS0_10empty_typeEbEEZZNS1_14partition_implILS5_0ELb0ES3_jN6thrust23THRUST_200600_302600_NS6detail15normal_iteratorINSA_10device_ptrItEEEEPS6_SG_NS0_5tupleIJSF_SF_EEENSH_IJSG_SG_EEES6_PlJ7is_evenItEEEE10hipError_tPvRmT3_T4_T5_T6_T7_T9_mT8_P12ihipStream_tbDpT10_ENKUlT_T0_E_clISt17integral_constantIbLb0EES15_IbLb1EEEEDaS11_S12_EUlS11_E_NS1_11comp_targetILNS1_3genE2ELNS1_11target_archE906ELNS1_3gpuE6ELNS1_3repE0EEENS1_30default_config_static_selectorELNS0_4arch9wavefront6targetE1EEEvT1_,"axG",@progbits,_ZN7rocprim17ROCPRIM_400000_NS6detail17trampoline_kernelINS0_14default_configENS1_25partition_config_selectorILNS1_17partition_subalgoE0EtNS0_10empty_typeEbEEZZNS1_14partition_implILS5_0ELb0ES3_jN6thrust23THRUST_200600_302600_NS6detail15normal_iteratorINSA_10device_ptrItEEEEPS6_SG_NS0_5tupleIJSF_SF_EEENSH_IJSG_SG_EEES6_PlJ7is_evenItEEEE10hipError_tPvRmT3_T4_T5_T6_T7_T9_mT8_P12ihipStream_tbDpT10_ENKUlT_T0_E_clISt17integral_constantIbLb0EES15_IbLb1EEEEDaS11_S12_EUlS11_E_NS1_11comp_targetILNS1_3genE2ELNS1_11target_archE906ELNS1_3gpuE6ELNS1_3repE0EEENS1_30default_config_static_selectorELNS0_4arch9wavefront6targetE1EEEvT1_,comdat
	.protected	_ZN7rocprim17ROCPRIM_400000_NS6detail17trampoline_kernelINS0_14default_configENS1_25partition_config_selectorILNS1_17partition_subalgoE0EtNS0_10empty_typeEbEEZZNS1_14partition_implILS5_0ELb0ES3_jN6thrust23THRUST_200600_302600_NS6detail15normal_iteratorINSA_10device_ptrItEEEEPS6_SG_NS0_5tupleIJSF_SF_EEENSH_IJSG_SG_EEES6_PlJ7is_evenItEEEE10hipError_tPvRmT3_T4_T5_T6_T7_T9_mT8_P12ihipStream_tbDpT10_ENKUlT_T0_E_clISt17integral_constantIbLb0EES15_IbLb1EEEEDaS11_S12_EUlS11_E_NS1_11comp_targetILNS1_3genE2ELNS1_11target_archE906ELNS1_3gpuE6ELNS1_3repE0EEENS1_30default_config_static_selectorELNS0_4arch9wavefront6targetE1EEEvT1_ ; -- Begin function _ZN7rocprim17ROCPRIM_400000_NS6detail17trampoline_kernelINS0_14default_configENS1_25partition_config_selectorILNS1_17partition_subalgoE0EtNS0_10empty_typeEbEEZZNS1_14partition_implILS5_0ELb0ES3_jN6thrust23THRUST_200600_302600_NS6detail15normal_iteratorINSA_10device_ptrItEEEEPS6_SG_NS0_5tupleIJSF_SF_EEENSH_IJSG_SG_EEES6_PlJ7is_evenItEEEE10hipError_tPvRmT3_T4_T5_T6_T7_T9_mT8_P12ihipStream_tbDpT10_ENKUlT_T0_E_clISt17integral_constantIbLb0EES15_IbLb1EEEEDaS11_S12_EUlS11_E_NS1_11comp_targetILNS1_3genE2ELNS1_11target_archE906ELNS1_3gpuE6ELNS1_3repE0EEENS1_30default_config_static_selectorELNS0_4arch9wavefront6targetE1EEEvT1_
	.globl	_ZN7rocprim17ROCPRIM_400000_NS6detail17trampoline_kernelINS0_14default_configENS1_25partition_config_selectorILNS1_17partition_subalgoE0EtNS0_10empty_typeEbEEZZNS1_14partition_implILS5_0ELb0ES3_jN6thrust23THRUST_200600_302600_NS6detail15normal_iteratorINSA_10device_ptrItEEEEPS6_SG_NS0_5tupleIJSF_SF_EEENSH_IJSG_SG_EEES6_PlJ7is_evenItEEEE10hipError_tPvRmT3_T4_T5_T6_T7_T9_mT8_P12ihipStream_tbDpT10_ENKUlT_T0_E_clISt17integral_constantIbLb0EES15_IbLb1EEEEDaS11_S12_EUlS11_E_NS1_11comp_targetILNS1_3genE2ELNS1_11target_archE906ELNS1_3gpuE6ELNS1_3repE0EEENS1_30default_config_static_selectorELNS0_4arch9wavefront6targetE1EEEvT1_
	.p2align	8
	.type	_ZN7rocprim17ROCPRIM_400000_NS6detail17trampoline_kernelINS0_14default_configENS1_25partition_config_selectorILNS1_17partition_subalgoE0EtNS0_10empty_typeEbEEZZNS1_14partition_implILS5_0ELb0ES3_jN6thrust23THRUST_200600_302600_NS6detail15normal_iteratorINSA_10device_ptrItEEEEPS6_SG_NS0_5tupleIJSF_SF_EEENSH_IJSG_SG_EEES6_PlJ7is_evenItEEEE10hipError_tPvRmT3_T4_T5_T6_T7_T9_mT8_P12ihipStream_tbDpT10_ENKUlT_T0_E_clISt17integral_constantIbLb0EES15_IbLb1EEEEDaS11_S12_EUlS11_E_NS1_11comp_targetILNS1_3genE2ELNS1_11target_archE906ELNS1_3gpuE6ELNS1_3repE0EEENS1_30default_config_static_selectorELNS0_4arch9wavefront6targetE1EEEvT1_,@function
_ZN7rocprim17ROCPRIM_400000_NS6detail17trampoline_kernelINS0_14default_configENS1_25partition_config_selectorILNS1_17partition_subalgoE0EtNS0_10empty_typeEbEEZZNS1_14partition_implILS5_0ELb0ES3_jN6thrust23THRUST_200600_302600_NS6detail15normal_iteratorINSA_10device_ptrItEEEEPS6_SG_NS0_5tupleIJSF_SF_EEENSH_IJSG_SG_EEES6_PlJ7is_evenItEEEE10hipError_tPvRmT3_T4_T5_T6_T7_T9_mT8_P12ihipStream_tbDpT10_ENKUlT_T0_E_clISt17integral_constantIbLb0EES15_IbLb1EEEEDaS11_S12_EUlS11_E_NS1_11comp_targetILNS1_3genE2ELNS1_11target_archE906ELNS1_3gpuE6ELNS1_3repE0EEENS1_30default_config_static_selectorELNS0_4arch9wavefront6targetE1EEEvT1_: ; @_ZN7rocprim17ROCPRIM_400000_NS6detail17trampoline_kernelINS0_14default_configENS1_25partition_config_selectorILNS1_17partition_subalgoE0EtNS0_10empty_typeEbEEZZNS1_14partition_implILS5_0ELb0ES3_jN6thrust23THRUST_200600_302600_NS6detail15normal_iteratorINSA_10device_ptrItEEEEPS6_SG_NS0_5tupleIJSF_SF_EEENSH_IJSG_SG_EEES6_PlJ7is_evenItEEEE10hipError_tPvRmT3_T4_T5_T6_T7_T9_mT8_P12ihipStream_tbDpT10_ENKUlT_T0_E_clISt17integral_constantIbLb0EES15_IbLb1EEEEDaS11_S12_EUlS11_E_NS1_11comp_targetILNS1_3genE2ELNS1_11target_archE906ELNS1_3gpuE6ELNS1_3repE0EEENS1_30default_config_static_selectorELNS0_4arch9wavefront6targetE1EEEvT1_
; %bb.0:
	.section	.rodata,"a",@progbits
	.p2align	6, 0x0
	.amdhsa_kernel _ZN7rocprim17ROCPRIM_400000_NS6detail17trampoline_kernelINS0_14default_configENS1_25partition_config_selectorILNS1_17partition_subalgoE0EtNS0_10empty_typeEbEEZZNS1_14partition_implILS5_0ELb0ES3_jN6thrust23THRUST_200600_302600_NS6detail15normal_iteratorINSA_10device_ptrItEEEEPS6_SG_NS0_5tupleIJSF_SF_EEENSH_IJSG_SG_EEES6_PlJ7is_evenItEEEE10hipError_tPvRmT3_T4_T5_T6_T7_T9_mT8_P12ihipStream_tbDpT10_ENKUlT_T0_E_clISt17integral_constantIbLb0EES15_IbLb1EEEEDaS11_S12_EUlS11_E_NS1_11comp_targetILNS1_3genE2ELNS1_11target_archE906ELNS1_3gpuE6ELNS1_3repE0EEENS1_30default_config_static_selectorELNS0_4arch9wavefront6targetE1EEEvT1_
		.amdhsa_group_segment_fixed_size 0
		.amdhsa_private_segment_fixed_size 0
		.amdhsa_kernarg_size 136
		.amdhsa_user_sgpr_count 2
		.amdhsa_user_sgpr_dispatch_ptr 0
		.amdhsa_user_sgpr_queue_ptr 0
		.amdhsa_user_sgpr_kernarg_segment_ptr 1
		.amdhsa_user_sgpr_dispatch_id 0
		.amdhsa_user_sgpr_kernarg_preload_length 0
		.amdhsa_user_sgpr_kernarg_preload_offset 0
		.amdhsa_user_sgpr_private_segment_size 0
		.amdhsa_uses_dynamic_stack 0
		.amdhsa_enable_private_segment 0
		.amdhsa_system_sgpr_workgroup_id_x 1
		.amdhsa_system_sgpr_workgroup_id_y 0
		.amdhsa_system_sgpr_workgroup_id_z 0
		.amdhsa_system_sgpr_workgroup_info 0
		.amdhsa_system_vgpr_workitem_id 0
		.amdhsa_next_free_vgpr 1
		.amdhsa_next_free_sgpr 0
		.amdhsa_accum_offset 4
		.amdhsa_reserve_vcc 0
		.amdhsa_float_round_mode_32 0
		.amdhsa_float_round_mode_16_64 0
		.amdhsa_float_denorm_mode_32 3
		.amdhsa_float_denorm_mode_16_64 3
		.amdhsa_dx10_clamp 1
		.amdhsa_ieee_mode 1
		.amdhsa_fp16_overflow 0
		.amdhsa_tg_split 0
		.amdhsa_exception_fp_ieee_invalid_op 0
		.amdhsa_exception_fp_denorm_src 0
		.amdhsa_exception_fp_ieee_div_zero 0
		.amdhsa_exception_fp_ieee_overflow 0
		.amdhsa_exception_fp_ieee_underflow 0
		.amdhsa_exception_fp_ieee_inexact 0
		.amdhsa_exception_int_div_zero 0
	.end_amdhsa_kernel
	.section	.text._ZN7rocprim17ROCPRIM_400000_NS6detail17trampoline_kernelINS0_14default_configENS1_25partition_config_selectorILNS1_17partition_subalgoE0EtNS0_10empty_typeEbEEZZNS1_14partition_implILS5_0ELb0ES3_jN6thrust23THRUST_200600_302600_NS6detail15normal_iteratorINSA_10device_ptrItEEEEPS6_SG_NS0_5tupleIJSF_SF_EEENSH_IJSG_SG_EEES6_PlJ7is_evenItEEEE10hipError_tPvRmT3_T4_T5_T6_T7_T9_mT8_P12ihipStream_tbDpT10_ENKUlT_T0_E_clISt17integral_constantIbLb0EES15_IbLb1EEEEDaS11_S12_EUlS11_E_NS1_11comp_targetILNS1_3genE2ELNS1_11target_archE906ELNS1_3gpuE6ELNS1_3repE0EEENS1_30default_config_static_selectorELNS0_4arch9wavefront6targetE1EEEvT1_,"axG",@progbits,_ZN7rocprim17ROCPRIM_400000_NS6detail17trampoline_kernelINS0_14default_configENS1_25partition_config_selectorILNS1_17partition_subalgoE0EtNS0_10empty_typeEbEEZZNS1_14partition_implILS5_0ELb0ES3_jN6thrust23THRUST_200600_302600_NS6detail15normal_iteratorINSA_10device_ptrItEEEEPS6_SG_NS0_5tupleIJSF_SF_EEENSH_IJSG_SG_EEES6_PlJ7is_evenItEEEE10hipError_tPvRmT3_T4_T5_T6_T7_T9_mT8_P12ihipStream_tbDpT10_ENKUlT_T0_E_clISt17integral_constantIbLb0EES15_IbLb1EEEEDaS11_S12_EUlS11_E_NS1_11comp_targetILNS1_3genE2ELNS1_11target_archE906ELNS1_3gpuE6ELNS1_3repE0EEENS1_30default_config_static_selectorELNS0_4arch9wavefront6targetE1EEEvT1_,comdat
.Lfunc_end2198:
	.size	_ZN7rocprim17ROCPRIM_400000_NS6detail17trampoline_kernelINS0_14default_configENS1_25partition_config_selectorILNS1_17partition_subalgoE0EtNS0_10empty_typeEbEEZZNS1_14partition_implILS5_0ELb0ES3_jN6thrust23THRUST_200600_302600_NS6detail15normal_iteratorINSA_10device_ptrItEEEEPS6_SG_NS0_5tupleIJSF_SF_EEENSH_IJSG_SG_EEES6_PlJ7is_evenItEEEE10hipError_tPvRmT3_T4_T5_T6_T7_T9_mT8_P12ihipStream_tbDpT10_ENKUlT_T0_E_clISt17integral_constantIbLb0EES15_IbLb1EEEEDaS11_S12_EUlS11_E_NS1_11comp_targetILNS1_3genE2ELNS1_11target_archE906ELNS1_3gpuE6ELNS1_3repE0EEENS1_30default_config_static_selectorELNS0_4arch9wavefront6targetE1EEEvT1_, .Lfunc_end2198-_ZN7rocprim17ROCPRIM_400000_NS6detail17trampoline_kernelINS0_14default_configENS1_25partition_config_selectorILNS1_17partition_subalgoE0EtNS0_10empty_typeEbEEZZNS1_14partition_implILS5_0ELb0ES3_jN6thrust23THRUST_200600_302600_NS6detail15normal_iteratorINSA_10device_ptrItEEEEPS6_SG_NS0_5tupleIJSF_SF_EEENSH_IJSG_SG_EEES6_PlJ7is_evenItEEEE10hipError_tPvRmT3_T4_T5_T6_T7_T9_mT8_P12ihipStream_tbDpT10_ENKUlT_T0_E_clISt17integral_constantIbLb0EES15_IbLb1EEEEDaS11_S12_EUlS11_E_NS1_11comp_targetILNS1_3genE2ELNS1_11target_archE906ELNS1_3gpuE6ELNS1_3repE0EEENS1_30default_config_static_selectorELNS0_4arch9wavefront6targetE1EEEvT1_
                                        ; -- End function
	.section	.AMDGPU.csdata,"",@progbits
; Kernel info:
; codeLenInByte = 0
; NumSgprs: 6
; NumVgprs: 0
; NumAgprs: 0
; TotalNumVgprs: 0
; ScratchSize: 0
; MemoryBound: 0
; FloatMode: 240
; IeeeMode: 1
; LDSByteSize: 0 bytes/workgroup (compile time only)
; SGPRBlocks: 0
; VGPRBlocks: 0
; NumSGPRsForWavesPerEU: 6
; NumVGPRsForWavesPerEU: 1
; AccumOffset: 4
; Occupancy: 8
; WaveLimiterHint : 0
; COMPUTE_PGM_RSRC2:SCRATCH_EN: 0
; COMPUTE_PGM_RSRC2:USER_SGPR: 2
; COMPUTE_PGM_RSRC2:TRAP_HANDLER: 0
; COMPUTE_PGM_RSRC2:TGID_X_EN: 1
; COMPUTE_PGM_RSRC2:TGID_Y_EN: 0
; COMPUTE_PGM_RSRC2:TGID_Z_EN: 0
; COMPUTE_PGM_RSRC2:TIDIG_COMP_CNT: 0
; COMPUTE_PGM_RSRC3_GFX90A:ACCUM_OFFSET: 0
; COMPUTE_PGM_RSRC3_GFX90A:TG_SPLIT: 0
	.section	.text._ZN7rocprim17ROCPRIM_400000_NS6detail17trampoline_kernelINS0_14default_configENS1_25partition_config_selectorILNS1_17partition_subalgoE0EtNS0_10empty_typeEbEEZZNS1_14partition_implILS5_0ELb0ES3_jN6thrust23THRUST_200600_302600_NS6detail15normal_iteratorINSA_10device_ptrItEEEEPS6_SG_NS0_5tupleIJSF_SF_EEENSH_IJSG_SG_EEES6_PlJ7is_evenItEEEE10hipError_tPvRmT3_T4_T5_T6_T7_T9_mT8_P12ihipStream_tbDpT10_ENKUlT_T0_E_clISt17integral_constantIbLb0EES15_IbLb1EEEEDaS11_S12_EUlS11_E_NS1_11comp_targetILNS1_3genE10ELNS1_11target_archE1200ELNS1_3gpuE4ELNS1_3repE0EEENS1_30default_config_static_selectorELNS0_4arch9wavefront6targetE1EEEvT1_,"axG",@progbits,_ZN7rocprim17ROCPRIM_400000_NS6detail17trampoline_kernelINS0_14default_configENS1_25partition_config_selectorILNS1_17partition_subalgoE0EtNS0_10empty_typeEbEEZZNS1_14partition_implILS5_0ELb0ES3_jN6thrust23THRUST_200600_302600_NS6detail15normal_iteratorINSA_10device_ptrItEEEEPS6_SG_NS0_5tupleIJSF_SF_EEENSH_IJSG_SG_EEES6_PlJ7is_evenItEEEE10hipError_tPvRmT3_T4_T5_T6_T7_T9_mT8_P12ihipStream_tbDpT10_ENKUlT_T0_E_clISt17integral_constantIbLb0EES15_IbLb1EEEEDaS11_S12_EUlS11_E_NS1_11comp_targetILNS1_3genE10ELNS1_11target_archE1200ELNS1_3gpuE4ELNS1_3repE0EEENS1_30default_config_static_selectorELNS0_4arch9wavefront6targetE1EEEvT1_,comdat
	.protected	_ZN7rocprim17ROCPRIM_400000_NS6detail17trampoline_kernelINS0_14default_configENS1_25partition_config_selectorILNS1_17partition_subalgoE0EtNS0_10empty_typeEbEEZZNS1_14partition_implILS5_0ELb0ES3_jN6thrust23THRUST_200600_302600_NS6detail15normal_iteratorINSA_10device_ptrItEEEEPS6_SG_NS0_5tupleIJSF_SF_EEENSH_IJSG_SG_EEES6_PlJ7is_evenItEEEE10hipError_tPvRmT3_T4_T5_T6_T7_T9_mT8_P12ihipStream_tbDpT10_ENKUlT_T0_E_clISt17integral_constantIbLb0EES15_IbLb1EEEEDaS11_S12_EUlS11_E_NS1_11comp_targetILNS1_3genE10ELNS1_11target_archE1200ELNS1_3gpuE4ELNS1_3repE0EEENS1_30default_config_static_selectorELNS0_4arch9wavefront6targetE1EEEvT1_ ; -- Begin function _ZN7rocprim17ROCPRIM_400000_NS6detail17trampoline_kernelINS0_14default_configENS1_25partition_config_selectorILNS1_17partition_subalgoE0EtNS0_10empty_typeEbEEZZNS1_14partition_implILS5_0ELb0ES3_jN6thrust23THRUST_200600_302600_NS6detail15normal_iteratorINSA_10device_ptrItEEEEPS6_SG_NS0_5tupleIJSF_SF_EEENSH_IJSG_SG_EEES6_PlJ7is_evenItEEEE10hipError_tPvRmT3_T4_T5_T6_T7_T9_mT8_P12ihipStream_tbDpT10_ENKUlT_T0_E_clISt17integral_constantIbLb0EES15_IbLb1EEEEDaS11_S12_EUlS11_E_NS1_11comp_targetILNS1_3genE10ELNS1_11target_archE1200ELNS1_3gpuE4ELNS1_3repE0EEENS1_30default_config_static_selectorELNS0_4arch9wavefront6targetE1EEEvT1_
	.globl	_ZN7rocprim17ROCPRIM_400000_NS6detail17trampoline_kernelINS0_14default_configENS1_25partition_config_selectorILNS1_17partition_subalgoE0EtNS0_10empty_typeEbEEZZNS1_14partition_implILS5_0ELb0ES3_jN6thrust23THRUST_200600_302600_NS6detail15normal_iteratorINSA_10device_ptrItEEEEPS6_SG_NS0_5tupleIJSF_SF_EEENSH_IJSG_SG_EEES6_PlJ7is_evenItEEEE10hipError_tPvRmT3_T4_T5_T6_T7_T9_mT8_P12ihipStream_tbDpT10_ENKUlT_T0_E_clISt17integral_constantIbLb0EES15_IbLb1EEEEDaS11_S12_EUlS11_E_NS1_11comp_targetILNS1_3genE10ELNS1_11target_archE1200ELNS1_3gpuE4ELNS1_3repE0EEENS1_30default_config_static_selectorELNS0_4arch9wavefront6targetE1EEEvT1_
	.p2align	8
	.type	_ZN7rocprim17ROCPRIM_400000_NS6detail17trampoline_kernelINS0_14default_configENS1_25partition_config_selectorILNS1_17partition_subalgoE0EtNS0_10empty_typeEbEEZZNS1_14partition_implILS5_0ELb0ES3_jN6thrust23THRUST_200600_302600_NS6detail15normal_iteratorINSA_10device_ptrItEEEEPS6_SG_NS0_5tupleIJSF_SF_EEENSH_IJSG_SG_EEES6_PlJ7is_evenItEEEE10hipError_tPvRmT3_T4_T5_T6_T7_T9_mT8_P12ihipStream_tbDpT10_ENKUlT_T0_E_clISt17integral_constantIbLb0EES15_IbLb1EEEEDaS11_S12_EUlS11_E_NS1_11comp_targetILNS1_3genE10ELNS1_11target_archE1200ELNS1_3gpuE4ELNS1_3repE0EEENS1_30default_config_static_selectorELNS0_4arch9wavefront6targetE1EEEvT1_,@function
_ZN7rocprim17ROCPRIM_400000_NS6detail17trampoline_kernelINS0_14default_configENS1_25partition_config_selectorILNS1_17partition_subalgoE0EtNS0_10empty_typeEbEEZZNS1_14partition_implILS5_0ELb0ES3_jN6thrust23THRUST_200600_302600_NS6detail15normal_iteratorINSA_10device_ptrItEEEEPS6_SG_NS0_5tupleIJSF_SF_EEENSH_IJSG_SG_EEES6_PlJ7is_evenItEEEE10hipError_tPvRmT3_T4_T5_T6_T7_T9_mT8_P12ihipStream_tbDpT10_ENKUlT_T0_E_clISt17integral_constantIbLb0EES15_IbLb1EEEEDaS11_S12_EUlS11_E_NS1_11comp_targetILNS1_3genE10ELNS1_11target_archE1200ELNS1_3gpuE4ELNS1_3repE0EEENS1_30default_config_static_selectorELNS0_4arch9wavefront6targetE1EEEvT1_: ; @_ZN7rocprim17ROCPRIM_400000_NS6detail17trampoline_kernelINS0_14default_configENS1_25partition_config_selectorILNS1_17partition_subalgoE0EtNS0_10empty_typeEbEEZZNS1_14partition_implILS5_0ELb0ES3_jN6thrust23THRUST_200600_302600_NS6detail15normal_iteratorINSA_10device_ptrItEEEEPS6_SG_NS0_5tupleIJSF_SF_EEENSH_IJSG_SG_EEES6_PlJ7is_evenItEEEE10hipError_tPvRmT3_T4_T5_T6_T7_T9_mT8_P12ihipStream_tbDpT10_ENKUlT_T0_E_clISt17integral_constantIbLb0EES15_IbLb1EEEEDaS11_S12_EUlS11_E_NS1_11comp_targetILNS1_3genE10ELNS1_11target_archE1200ELNS1_3gpuE4ELNS1_3repE0EEENS1_30default_config_static_selectorELNS0_4arch9wavefront6targetE1EEEvT1_
; %bb.0:
	.section	.rodata,"a",@progbits
	.p2align	6, 0x0
	.amdhsa_kernel _ZN7rocprim17ROCPRIM_400000_NS6detail17trampoline_kernelINS0_14default_configENS1_25partition_config_selectorILNS1_17partition_subalgoE0EtNS0_10empty_typeEbEEZZNS1_14partition_implILS5_0ELb0ES3_jN6thrust23THRUST_200600_302600_NS6detail15normal_iteratorINSA_10device_ptrItEEEEPS6_SG_NS0_5tupleIJSF_SF_EEENSH_IJSG_SG_EEES6_PlJ7is_evenItEEEE10hipError_tPvRmT3_T4_T5_T6_T7_T9_mT8_P12ihipStream_tbDpT10_ENKUlT_T0_E_clISt17integral_constantIbLb0EES15_IbLb1EEEEDaS11_S12_EUlS11_E_NS1_11comp_targetILNS1_3genE10ELNS1_11target_archE1200ELNS1_3gpuE4ELNS1_3repE0EEENS1_30default_config_static_selectorELNS0_4arch9wavefront6targetE1EEEvT1_
		.amdhsa_group_segment_fixed_size 0
		.amdhsa_private_segment_fixed_size 0
		.amdhsa_kernarg_size 136
		.amdhsa_user_sgpr_count 2
		.amdhsa_user_sgpr_dispatch_ptr 0
		.amdhsa_user_sgpr_queue_ptr 0
		.amdhsa_user_sgpr_kernarg_segment_ptr 1
		.amdhsa_user_sgpr_dispatch_id 0
		.amdhsa_user_sgpr_kernarg_preload_length 0
		.amdhsa_user_sgpr_kernarg_preload_offset 0
		.amdhsa_user_sgpr_private_segment_size 0
		.amdhsa_uses_dynamic_stack 0
		.amdhsa_enable_private_segment 0
		.amdhsa_system_sgpr_workgroup_id_x 1
		.amdhsa_system_sgpr_workgroup_id_y 0
		.amdhsa_system_sgpr_workgroup_id_z 0
		.amdhsa_system_sgpr_workgroup_info 0
		.amdhsa_system_vgpr_workitem_id 0
		.amdhsa_next_free_vgpr 1
		.amdhsa_next_free_sgpr 0
		.amdhsa_accum_offset 4
		.amdhsa_reserve_vcc 0
		.amdhsa_float_round_mode_32 0
		.amdhsa_float_round_mode_16_64 0
		.amdhsa_float_denorm_mode_32 3
		.amdhsa_float_denorm_mode_16_64 3
		.amdhsa_dx10_clamp 1
		.amdhsa_ieee_mode 1
		.amdhsa_fp16_overflow 0
		.amdhsa_tg_split 0
		.amdhsa_exception_fp_ieee_invalid_op 0
		.amdhsa_exception_fp_denorm_src 0
		.amdhsa_exception_fp_ieee_div_zero 0
		.amdhsa_exception_fp_ieee_overflow 0
		.amdhsa_exception_fp_ieee_underflow 0
		.amdhsa_exception_fp_ieee_inexact 0
		.amdhsa_exception_int_div_zero 0
	.end_amdhsa_kernel
	.section	.text._ZN7rocprim17ROCPRIM_400000_NS6detail17trampoline_kernelINS0_14default_configENS1_25partition_config_selectorILNS1_17partition_subalgoE0EtNS0_10empty_typeEbEEZZNS1_14partition_implILS5_0ELb0ES3_jN6thrust23THRUST_200600_302600_NS6detail15normal_iteratorINSA_10device_ptrItEEEEPS6_SG_NS0_5tupleIJSF_SF_EEENSH_IJSG_SG_EEES6_PlJ7is_evenItEEEE10hipError_tPvRmT3_T4_T5_T6_T7_T9_mT8_P12ihipStream_tbDpT10_ENKUlT_T0_E_clISt17integral_constantIbLb0EES15_IbLb1EEEEDaS11_S12_EUlS11_E_NS1_11comp_targetILNS1_3genE10ELNS1_11target_archE1200ELNS1_3gpuE4ELNS1_3repE0EEENS1_30default_config_static_selectorELNS0_4arch9wavefront6targetE1EEEvT1_,"axG",@progbits,_ZN7rocprim17ROCPRIM_400000_NS6detail17trampoline_kernelINS0_14default_configENS1_25partition_config_selectorILNS1_17partition_subalgoE0EtNS0_10empty_typeEbEEZZNS1_14partition_implILS5_0ELb0ES3_jN6thrust23THRUST_200600_302600_NS6detail15normal_iteratorINSA_10device_ptrItEEEEPS6_SG_NS0_5tupleIJSF_SF_EEENSH_IJSG_SG_EEES6_PlJ7is_evenItEEEE10hipError_tPvRmT3_T4_T5_T6_T7_T9_mT8_P12ihipStream_tbDpT10_ENKUlT_T0_E_clISt17integral_constantIbLb0EES15_IbLb1EEEEDaS11_S12_EUlS11_E_NS1_11comp_targetILNS1_3genE10ELNS1_11target_archE1200ELNS1_3gpuE4ELNS1_3repE0EEENS1_30default_config_static_selectorELNS0_4arch9wavefront6targetE1EEEvT1_,comdat
.Lfunc_end2199:
	.size	_ZN7rocprim17ROCPRIM_400000_NS6detail17trampoline_kernelINS0_14default_configENS1_25partition_config_selectorILNS1_17partition_subalgoE0EtNS0_10empty_typeEbEEZZNS1_14partition_implILS5_0ELb0ES3_jN6thrust23THRUST_200600_302600_NS6detail15normal_iteratorINSA_10device_ptrItEEEEPS6_SG_NS0_5tupleIJSF_SF_EEENSH_IJSG_SG_EEES6_PlJ7is_evenItEEEE10hipError_tPvRmT3_T4_T5_T6_T7_T9_mT8_P12ihipStream_tbDpT10_ENKUlT_T0_E_clISt17integral_constantIbLb0EES15_IbLb1EEEEDaS11_S12_EUlS11_E_NS1_11comp_targetILNS1_3genE10ELNS1_11target_archE1200ELNS1_3gpuE4ELNS1_3repE0EEENS1_30default_config_static_selectorELNS0_4arch9wavefront6targetE1EEEvT1_, .Lfunc_end2199-_ZN7rocprim17ROCPRIM_400000_NS6detail17trampoline_kernelINS0_14default_configENS1_25partition_config_selectorILNS1_17partition_subalgoE0EtNS0_10empty_typeEbEEZZNS1_14partition_implILS5_0ELb0ES3_jN6thrust23THRUST_200600_302600_NS6detail15normal_iteratorINSA_10device_ptrItEEEEPS6_SG_NS0_5tupleIJSF_SF_EEENSH_IJSG_SG_EEES6_PlJ7is_evenItEEEE10hipError_tPvRmT3_T4_T5_T6_T7_T9_mT8_P12ihipStream_tbDpT10_ENKUlT_T0_E_clISt17integral_constantIbLb0EES15_IbLb1EEEEDaS11_S12_EUlS11_E_NS1_11comp_targetILNS1_3genE10ELNS1_11target_archE1200ELNS1_3gpuE4ELNS1_3repE0EEENS1_30default_config_static_selectorELNS0_4arch9wavefront6targetE1EEEvT1_
                                        ; -- End function
	.section	.AMDGPU.csdata,"",@progbits
; Kernel info:
; codeLenInByte = 0
; NumSgprs: 6
; NumVgprs: 0
; NumAgprs: 0
; TotalNumVgprs: 0
; ScratchSize: 0
; MemoryBound: 0
; FloatMode: 240
; IeeeMode: 1
; LDSByteSize: 0 bytes/workgroup (compile time only)
; SGPRBlocks: 0
; VGPRBlocks: 0
; NumSGPRsForWavesPerEU: 6
; NumVGPRsForWavesPerEU: 1
; AccumOffset: 4
; Occupancy: 8
; WaveLimiterHint : 0
; COMPUTE_PGM_RSRC2:SCRATCH_EN: 0
; COMPUTE_PGM_RSRC2:USER_SGPR: 2
; COMPUTE_PGM_RSRC2:TRAP_HANDLER: 0
; COMPUTE_PGM_RSRC2:TGID_X_EN: 1
; COMPUTE_PGM_RSRC2:TGID_Y_EN: 0
; COMPUTE_PGM_RSRC2:TGID_Z_EN: 0
; COMPUTE_PGM_RSRC2:TIDIG_COMP_CNT: 0
; COMPUTE_PGM_RSRC3_GFX90A:ACCUM_OFFSET: 0
; COMPUTE_PGM_RSRC3_GFX90A:TG_SPLIT: 0
	.section	.text._ZN7rocprim17ROCPRIM_400000_NS6detail17trampoline_kernelINS0_14default_configENS1_25partition_config_selectorILNS1_17partition_subalgoE0EtNS0_10empty_typeEbEEZZNS1_14partition_implILS5_0ELb0ES3_jN6thrust23THRUST_200600_302600_NS6detail15normal_iteratorINSA_10device_ptrItEEEEPS6_SG_NS0_5tupleIJSF_SF_EEENSH_IJSG_SG_EEES6_PlJ7is_evenItEEEE10hipError_tPvRmT3_T4_T5_T6_T7_T9_mT8_P12ihipStream_tbDpT10_ENKUlT_T0_E_clISt17integral_constantIbLb0EES15_IbLb1EEEEDaS11_S12_EUlS11_E_NS1_11comp_targetILNS1_3genE9ELNS1_11target_archE1100ELNS1_3gpuE3ELNS1_3repE0EEENS1_30default_config_static_selectorELNS0_4arch9wavefront6targetE1EEEvT1_,"axG",@progbits,_ZN7rocprim17ROCPRIM_400000_NS6detail17trampoline_kernelINS0_14default_configENS1_25partition_config_selectorILNS1_17partition_subalgoE0EtNS0_10empty_typeEbEEZZNS1_14partition_implILS5_0ELb0ES3_jN6thrust23THRUST_200600_302600_NS6detail15normal_iteratorINSA_10device_ptrItEEEEPS6_SG_NS0_5tupleIJSF_SF_EEENSH_IJSG_SG_EEES6_PlJ7is_evenItEEEE10hipError_tPvRmT3_T4_T5_T6_T7_T9_mT8_P12ihipStream_tbDpT10_ENKUlT_T0_E_clISt17integral_constantIbLb0EES15_IbLb1EEEEDaS11_S12_EUlS11_E_NS1_11comp_targetILNS1_3genE9ELNS1_11target_archE1100ELNS1_3gpuE3ELNS1_3repE0EEENS1_30default_config_static_selectorELNS0_4arch9wavefront6targetE1EEEvT1_,comdat
	.protected	_ZN7rocprim17ROCPRIM_400000_NS6detail17trampoline_kernelINS0_14default_configENS1_25partition_config_selectorILNS1_17partition_subalgoE0EtNS0_10empty_typeEbEEZZNS1_14partition_implILS5_0ELb0ES3_jN6thrust23THRUST_200600_302600_NS6detail15normal_iteratorINSA_10device_ptrItEEEEPS6_SG_NS0_5tupleIJSF_SF_EEENSH_IJSG_SG_EEES6_PlJ7is_evenItEEEE10hipError_tPvRmT3_T4_T5_T6_T7_T9_mT8_P12ihipStream_tbDpT10_ENKUlT_T0_E_clISt17integral_constantIbLb0EES15_IbLb1EEEEDaS11_S12_EUlS11_E_NS1_11comp_targetILNS1_3genE9ELNS1_11target_archE1100ELNS1_3gpuE3ELNS1_3repE0EEENS1_30default_config_static_selectorELNS0_4arch9wavefront6targetE1EEEvT1_ ; -- Begin function _ZN7rocprim17ROCPRIM_400000_NS6detail17trampoline_kernelINS0_14default_configENS1_25partition_config_selectorILNS1_17partition_subalgoE0EtNS0_10empty_typeEbEEZZNS1_14partition_implILS5_0ELb0ES3_jN6thrust23THRUST_200600_302600_NS6detail15normal_iteratorINSA_10device_ptrItEEEEPS6_SG_NS0_5tupleIJSF_SF_EEENSH_IJSG_SG_EEES6_PlJ7is_evenItEEEE10hipError_tPvRmT3_T4_T5_T6_T7_T9_mT8_P12ihipStream_tbDpT10_ENKUlT_T0_E_clISt17integral_constantIbLb0EES15_IbLb1EEEEDaS11_S12_EUlS11_E_NS1_11comp_targetILNS1_3genE9ELNS1_11target_archE1100ELNS1_3gpuE3ELNS1_3repE0EEENS1_30default_config_static_selectorELNS0_4arch9wavefront6targetE1EEEvT1_
	.globl	_ZN7rocprim17ROCPRIM_400000_NS6detail17trampoline_kernelINS0_14default_configENS1_25partition_config_selectorILNS1_17partition_subalgoE0EtNS0_10empty_typeEbEEZZNS1_14partition_implILS5_0ELb0ES3_jN6thrust23THRUST_200600_302600_NS6detail15normal_iteratorINSA_10device_ptrItEEEEPS6_SG_NS0_5tupleIJSF_SF_EEENSH_IJSG_SG_EEES6_PlJ7is_evenItEEEE10hipError_tPvRmT3_T4_T5_T6_T7_T9_mT8_P12ihipStream_tbDpT10_ENKUlT_T0_E_clISt17integral_constantIbLb0EES15_IbLb1EEEEDaS11_S12_EUlS11_E_NS1_11comp_targetILNS1_3genE9ELNS1_11target_archE1100ELNS1_3gpuE3ELNS1_3repE0EEENS1_30default_config_static_selectorELNS0_4arch9wavefront6targetE1EEEvT1_
	.p2align	8
	.type	_ZN7rocprim17ROCPRIM_400000_NS6detail17trampoline_kernelINS0_14default_configENS1_25partition_config_selectorILNS1_17partition_subalgoE0EtNS0_10empty_typeEbEEZZNS1_14partition_implILS5_0ELb0ES3_jN6thrust23THRUST_200600_302600_NS6detail15normal_iteratorINSA_10device_ptrItEEEEPS6_SG_NS0_5tupleIJSF_SF_EEENSH_IJSG_SG_EEES6_PlJ7is_evenItEEEE10hipError_tPvRmT3_T4_T5_T6_T7_T9_mT8_P12ihipStream_tbDpT10_ENKUlT_T0_E_clISt17integral_constantIbLb0EES15_IbLb1EEEEDaS11_S12_EUlS11_E_NS1_11comp_targetILNS1_3genE9ELNS1_11target_archE1100ELNS1_3gpuE3ELNS1_3repE0EEENS1_30default_config_static_selectorELNS0_4arch9wavefront6targetE1EEEvT1_,@function
_ZN7rocprim17ROCPRIM_400000_NS6detail17trampoline_kernelINS0_14default_configENS1_25partition_config_selectorILNS1_17partition_subalgoE0EtNS0_10empty_typeEbEEZZNS1_14partition_implILS5_0ELb0ES3_jN6thrust23THRUST_200600_302600_NS6detail15normal_iteratorINSA_10device_ptrItEEEEPS6_SG_NS0_5tupleIJSF_SF_EEENSH_IJSG_SG_EEES6_PlJ7is_evenItEEEE10hipError_tPvRmT3_T4_T5_T6_T7_T9_mT8_P12ihipStream_tbDpT10_ENKUlT_T0_E_clISt17integral_constantIbLb0EES15_IbLb1EEEEDaS11_S12_EUlS11_E_NS1_11comp_targetILNS1_3genE9ELNS1_11target_archE1100ELNS1_3gpuE3ELNS1_3repE0EEENS1_30default_config_static_selectorELNS0_4arch9wavefront6targetE1EEEvT1_: ; @_ZN7rocprim17ROCPRIM_400000_NS6detail17trampoline_kernelINS0_14default_configENS1_25partition_config_selectorILNS1_17partition_subalgoE0EtNS0_10empty_typeEbEEZZNS1_14partition_implILS5_0ELb0ES3_jN6thrust23THRUST_200600_302600_NS6detail15normal_iteratorINSA_10device_ptrItEEEEPS6_SG_NS0_5tupleIJSF_SF_EEENSH_IJSG_SG_EEES6_PlJ7is_evenItEEEE10hipError_tPvRmT3_T4_T5_T6_T7_T9_mT8_P12ihipStream_tbDpT10_ENKUlT_T0_E_clISt17integral_constantIbLb0EES15_IbLb1EEEEDaS11_S12_EUlS11_E_NS1_11comp_targetILNS1_3genE9ELNS1_11target_archE1100ELNS1_3gpuE3ELNS1_3repE0EEENS1_30default_config_static_selectorELNS0_4arch9wavefront6targetE1EEEvT1_
; %bb.0:
	.section	.rodata,"a",@progbits
	.p2align	6, 0x0
	.amdhsa_kernel _ZN7rocprim17ROCPRIM_400000_NS6detail17trampoline_kernelINS0_14default_configENS1_25partition_config_selectorILNS1_17partition_subalgoE0EtNS0_10empty_typeEbEEZZNS1_14partition_implILS5_0ELb0ES3_jN6thrust23THRUST_200600_302600_NS6detail15normal_iteratorINSA_10device_ptrItEEEEPS6_SG_NS0_5tupleIJSF_SF_EEENSH_IJSG_SG_EEES6_PlJ7is_evenItEEEE10hipError_tPvRmT3_T4_T5_T6_T7_T9_mT8_P12ihipStream_tbDpT10_ENKUlT_T0_E_clISt17integral_constantIbLb0EES15_IbLb1EEEEDaS11_S12_EUlS11_E_NS1_11comp_targetILNS1_3genE9ELNS1_11target_archE1100ELNS1_3gpuE3ELNS1_3repE0EEENS1_30default_config_static_selectorELNS0_4arch9wavefront6targetE1EEEvT1_
		.amdhsa_group_segment_fixed_size 0
		.amdhsa_private_segment_fixed_size 0
		.amdhsa_kernarg_size 136
		.amdhsa_user_sgpr_count 2
		.amdhsa_user_sgpr_dispatch_ptr 0
		.amdhsa_user_sgpr_queue_ptr 0
		.amdhsa_user_sgpr_kernarg_segment_ptr 1
		.amdhsa_user_sgpr_dispatch_id 0
		.amdhsa_user_sgpr_kernarg_preload_length 0
		.amdhsa_user_sgpr_kernarg_preload_offset 0
		.amdhsa_user_sgpr_private_segment_size 0
		.amdhsa_uses_dynamic_stack 0
		.amdhsa_enable_private_segment 0
		.amdhsa_system_sgpr_workgroup_id_x 1
		.amdhsa_system_sgpr_workgroup_id_y 0
		.amdhsa_system_sgpr_workgroup_id_z 0
		.amdhsa_system_sgpr_workgroup_info 0
		.amdhsa_system_vgpr_workitem_id 0
		.amdhsa_next_free_vgpr 1
		.amdhsa_next_free_sgpr 0
		.amdhsa_accum_offset 4
		.amdhsa_reserve_vcc 0
		.amdhsa_float_round_mode_32 0
		.amdhsa_float_round_mode_16_64 0
		.amdhsa_float_denorm_mode_32 3
		.amdhsa_float_denorm_mode_16_64 3
		.amdhsa_dx10_clamp 1
		.amdhsa_ieee_mode 1
		.amdhsa_fp16_overflow 0
		.amdhsa_tg_split 0
		.amdhsa_exception_fp_ieee_invalid_op 0
		.amdhsa_exception_fp_denorm_src 0
		.amdhsa_exception_fp_ieee_div_zero 0
		.amdhsa_exception_fp_ieee_overflow 0
		.amdhsa_exception_fp_ieee_underflow 0
		.amdhsa_exception_fp_ieee_inexact 0
		.amdhsa_exception_int_div_zero 0
	.end_amdhsa_kernel
	.section	.text._ZN7rocprim17ROCPRIM_400000_NS6detail17trampoline_kernelINS0_14default_configENS1_25partition_config_selectorILNS1_17partition_subalgoE0EtNS0_10empty_typeEbEEZZNS1_14partition_implILS5_0ELb0ES3_jN6thrust23THRUST_200600_302600_NS6detail15normal_iteratorINSA_10device_ptrItEEEEPS6_SG_NS0_5tupleIJSF_SF_EEENSH_IJSG_SG_EEES6_PlJ7is_evenItEEEE10hipError_tPvRmT3_T4_T5_T6_T7_T9_mT8_P12ihipStream_tbDpT10_ENKUlT_T0_E_clISt17integral_constantIbLb0EES15_IbLb1EEEEDaS11_S12_EUlS11_E_NS1_11comp_targetILNS1_3genE9ELNS1_11target_archE1100ELNS1_3gpuE3ELNS1_3repE0EEENS1_30default_config_static_selectorELNS0_4arch9wavefront6targetE1EEEvT1_,"axG",@progbits,_ZN7rocprim17ROCPRIM_400000_NS6detail17trampoline_kernelINS0_14default_configENS1_25partition_config_selectorILNS1_17partition_subalgoE0EtNS0_10empty_typeEbEEZZNS1_14partition_implILS5_0ELb0ES3_jN6thrust23THRUST_200600_302600_NS6detail15normal_iteratorINSA_10device_ptrItEEEEPS6_SG_NS0_5tupleIJSF_SF_EEENSH_IJSG_SG_EEES6_PlJ7is_evenItEEEE10hipError_tPvRmT3_T4_T5_T6_T7_T9_mT8_P12ihipStream_tbDpT10_ENKUlT_T0_E_clISt17integral_constantIbLb0EES15_IbLb1EEEEDaS11_S12_EUlS11_E_NS1_11comp_targetILNS1_3genE9ELNS1_11target_archE1100ELNS1_3gpuE3ELNS1_3repE0EEENS1_30default_config_static_selectorELNS0_4arch9wavefront6targetE1EEEvT1_,comdat
.Lfunc_end2200:
	.size	_ZN7rocprim17ROCPRIM_400000_NS6detail17trampoline_kernelINS0_14default_configENS1_25partition_config_selectorILNS1_17partition_subalgoE0EtNS0_10empty_typeEbEEZZNS1_14partition_implILS5_0ELb0ES3_jN6thrust23THRUST_200600_302600_NS6detail15normal_iteratorINSA_10device_ptrItEEEEPS6_SG_NS0_5tupleIJSF_SF_EEENSH_IJSG_SG_EEES6_PlJ7is_evenItEEEE10hipError_tPvRmT3_T4_T5_T6_T7_T9_mT8_P12ihipStream_tbDpT10_ENKUlT_T0_E_clISt17integral_constantIbLb0EES15_IbLb1EEEEDaS11_S12_EUlS11_E_NS1_11comp_targetILNS1_3genE9ELNS1_11target_archE1100ELNS1_3gpuE3ELNS1_3repE0EEENS1_30default_config_static_selectorELNS0_4arch9wavefront6targetE1EEEvT1_, .Lfunc_end2200-_ZN7rocprim17ROCPRIM_400000_NS6detail17trampoline_kernelINS0_14default_configENS1_25partition_config_selectorILNS1_17partition_subalgoE0EtNS0_10empty_typeEbEEZZNS1_14partition_implILS5_0ELb0ES3_jN6thrust23THRUST_200600_302600_NS6detail15normal_iteratorINSA_10device_ptrItEEEEPS6_SG_NS0_5tupleIJSF_SF_EEENSH_IJSG_SG_EEES6_PlJ7is_evenItEEEE10hipError_tPvRmT3_T4_T5_T6_T7_T9_mT8_P12ihipStream_tbDpT10_ENKUlT_T0_E_clISt17integral_constantIbLb0EES15_IbLb1EEEEDaS11_S12_EUlS11_E_NS1_11comp_targetILNS1_3genE9ELNS1_11target_archE1100ELNS1_3gpuE3ELNS1_3repE0EEENS1_30default_config_static_selectorELNS0_4arch9wavefront6targetE1EEEvT1_
                                        ; -- End function
	.section	.AMDGPU.csdata,"",@progbits
; Kernel info:
; codeLenInByte = 0
; NumSgprs: 6
; NumVgprs: 0
; NumAgprs: 0
; TotalNumVgprs: 0
; ScratchSize: 0
; MemoryBound: 0
; FloatMode: 240
; IeeeMode: 1
; LDSByteSize: 0 bytes/workgroup (compile time only)
; SGPRBlocks: 0
; VGPRBlocks: 0
; NumSGPRsForWavesPerEU: 6
; NumVGPRsForWavesPerEU: 1
; AccumOffset: 4
; Occupancy: 8
; WaveLimiterHint : 0
; COMPUTE_PGM_RSRC2:SCRATCH_EN: 0
; COMPUTE_PGM_RSRC2:USER_SGPR: 2
; COMPUTE_PGM_RSRC2:TRAP_HANDLER: 0
; COMPUTE_PGM_RSRC2:TGID_X_EN: 1
; COMPUTE_PGM_RSRC2:TGID_Y_EN: 0
; COMPUTE_PGM_RSRC2:TGID_Z_EN: 0
; COMPUTE_PGM_RSRC2:TIDIG_COMP_CNT: 0
; COMPUTE_PGM_RSRC3_GFX90A:ACCUM_OFFSET: 0
; COMPUTE_PGM_RSRC3_GFX90A:TG_SPLIT: 0
	.section	.text._ZN7rocprim17ROCPRIM_400000_NS6detail17trampoline_kernelINS0_14default_configENS1_25partition_config_selectorILNS1_17partition_subalgoE0EtNS0_10empty_typeEbEEZZNS1_14partition_implILS5_0ELb0ES3_jN6thrust23THRUST_200600_302600_NS6detail15normal_iteratorINSA_10device_ptrItEEEEPS6_SG_NS0_5tupleIJSF_SF_EEENSH_IJSG_SG_EEES6_PlJ7is_evenItEEEE10hipError_tPvRmT3_T4_T5_T6_T7_T9_mT8_P12ihipStream_tbDpT10_ENKUlT_T0_E_clISt17integral_constantIbLb0EES15_IbLb1EEEEDaS11_S12_EUlS11_E_NS1_11comp_targetILNS1_3genE8ELNS1_11target_archE1030ELNS1_3gpuE2ELNS1_3repE0EEENS1_30default_config_static_selectorELNS0_4arch9wavefront6targetE1EEEvT1_,"axG",@progbits,_ZN7rocprim17ROCPRIM_400000_NS6detail17trampoline_kernelINS0_14default_configENS1_25partition_config_selectorILNS1_17partition_subalgoE0EtNS0_10empty_typeEbEEZZNS1_14partition_implILS5_0ELb0ES3_jN6thrust23THRUST_200600_302600_NS6detail15normal_iteratorINSA_10device_ptrItEEEEPS6_SG_NS0_5tupleIJSF_SF_EEENSH_IJSG_SG_EEES6_PlJ7is_evenItEEEE10hipError_tPvRmT3_T4_T5_T6_T7_T9_mT8_P12ihipStream_tbDpT10_ENKUlT_T0_E_clISt17integral_constantIbLb0EES15_IbLb1EEEEDaS11_S12_EUlS11_E_NS1_11comp_targetILNS1_3genE8ELNS1_11target_archE1030ELNS1_3gpuE2ELNS1_3repE0EEENS1_30default_config_static_selectorELNS0_4arch9wavefront6targetE1EEEvT1_,comdat
	.protected	_ZN7rocprim17ROCPRIM_400000_NS6detail17trampoline_kernelINS0_14default_configENS1_25partition_config_selectorILNS1_17partition_subalgoE0EtNS0_10empty_typeEbEEZZNS1_14partition_implILS5_0ELb0ES3_jN6thrust23THRUST_200600_302600_NS6detail15normal_iteratorINSA_10device_ptrItEEEEPS6_SG_NS0_5tupleIJSF_SF_EEENSH_IJSG_SG_EEES6_PlJ7is_evenItEEEE10hipError_tPvRmT3_T4_T5_T6_T7_T9_mT8_P12ihipStream_tbDpT10_ENKUlT_T0_E_clISt17integral_constantIbLb0EES15_IbLb1EEEEDaS11_S12_EUlS11_E_NS1_11comp_targetILNS1_3genE8ELNS1_11target_archE1030ELNS1_3gpuE2ELNS1_3repE0EEENS1_30default_config_static_selectorELNS0_4arch9wavefront6targetE1EEEvT1_ ; -- Begin function _ZN7rocprim17ROCPRIM_400000_NS6detail17trampoline_kernelINS0_14default_configENS1_25partition_config_selectorILNS1_17partition_subalgoE0EtNS0_10empty_typeEbEEZZNS1_14partition_implILS5_0ELb0ES3_jN6thrust23THRUST_200600_302600_NS6detail15normal_iteratorINSA_10device_ptrItEEEEPS6_SG_NS0_5tupleIJSF_SF_EEENSH_IJSG_SG_EEES6_PlJ7is_evenItEEEE10hipError_tPvRmT3_T4_T5_T6_T7_T9_mT8_P12ihipStream_tbDpT10_ENKUlT_T0_E_clISt17integral_constantIbLb0EES15_IbLb1EEEEDaS11_S12_EUlS11_E_NS1_11comp_targetILNS1_3genE8ELNS1_11target_archE1030ELNS1_3gpuE2ELNS1_3repE0EEENS1_30default_config_static_selectorELNS0_4arch9wavefront6targetE1EEEvT1_
	.globl	_ZN7rocprim17ROCPRIM_400000_NS6detail17trampoline_kernelINS0_14default_configENS1_25partition_config_selectorILNS1_17partition_subalgoE0EtNS0_10empty_typeEbEEZZNS1_14partition_implILS5_0ELb0ES3_jN6thrust23THRUST_200600_302600_NS6detail15normal_iteratorINSA_10device_ptrItEEEEPS6_SG_NS0_5tupleIJSF_SF_EEENSH_IJSG_SG_EEES6_PlJ7is_evenItEEEE10hipError_tPvRmT3_T4_T5_T6_T7_T9_mT8_P12ihipStream_tbDpT10_ENKUlT_T0_E_clISt17integral_constantIbLb0EES15_IbLb1EEEEDaS11_S12_EUlS11_E_NS1_11comp_targetILNS1_3genE8ELNS1_11target_archE1030ELNS1_3gpuE2ELNS1_3repE0EEENS1_30default_config_static_selectorELNS0_4arch9wavefront6targetE1EEEvT1_
	.p2align	8
	.type	_ZN7rocprim17ROCPRIM_400000_NS6detail17trampoline_kernelINS0_14default_configENS1_25partition_config_selectorILNS1_17partition_subalgoE0EtNS0_10empty_typeEbEEZZNS1_14partition_implILS5_0ELb0ES3_jN6thrust23THRUST_200600_302600_NS6detail15normal_iteratorINSA_10device_ptrItEEEEPS6_SG_NS0_5tupleIJSF_SF_EEENSH_IJSG_SG_EEES6_PlJ7is_evenItEEEE10hipError_tPvRmT3_T4_T5_T6_T7_T9_mT8_P12ihipStream_tbDpT10_ENKUlT_T0_E_clISt17integral_constantIbLb0EES15_IbLb1EEEEDaS11_S12_EUlS11_E_NS1_11comp_targetILNS1_3genE8ELNS1_11target_archE1030ELNS1_3gpuE2ELNS1_3repE0EEENS1_30default_config_static_selectorELNS0_4arch9wavefront6targetE1EEEvT1_,@function
_ZN7rocprim17ROCPRIM_400000_NS6detail17trampoline_kernelINS0_14default_configENS1_25partition_config_selectorILNS1_17partition_subalgoE0EtNS0_10empty_typeEbEEZZNS1_14partition_implILS5_0ELb0ES3_jN6thrust23THRUST_200600_302600_NS6detail15normal_iteratorINSA_10device_ptrItEEEEPS6_SG_NS0_5tupleIJSF_SF_EEENSH_IJSG_SG_EEES6_PlJ7is_evenItEEEE10hipError_tPvRmT3_T4_T5_T6_T7_T9_mT8_P12ihipStream_tbDpT10_ENKUlT_T0_E_clISt17integral_constantIbLb0EES15_IbLb1EEEEDaS11_S12_EUlS11_E_NS1_11comp_targetILNS1_3genE8ELNS1_11target_archE1030ELNS1_3gpuE2ELNS1_3repE0EEENS1_30default_config_static_selectorELNS0_4arch9wavefront6targetE1EEEvT1_: ; @_ZN7rocprim17ROCPRIM_400000_NS6detail17trampoline_kernelINS0_14default_configENS1_25partition_config_selectorILNS1_17partition_subalgoE0EtNS0_10empty_typeEbEEZZNS1_14partition_implILS5_0ELb0ES3_jN6thrust23THRUST_200600_302600_NS6detail15normal_iteratorINSA_10device_ptrItEEEEPS6_SG_NS0_5tupleIJSF_SF_EEENSH_IJSG_SG_EEES6_PlJ7is_evenItEEEE10hipError_tPvRmT3_T4_T5_T6_T7_T9_mT8_P12ihipStream_tbDpT10_ENKUlT_T0_E_clISt17integral_constantIbLb0EES15_IbLb1EEEEDaS11_S12_EUlS11_E_NS1_11comp_targetILNS1_3genE8ELNS1_11target_archE1030ELNS1_3gpuE2ELNS1_3repE0EEENS1_30default_config_static_selectorELNS0_4arch9wavefront6targetE1EEEvT1_
; %bb.0:
	.section	.rodata,"a",@progbits
	.p2align	6, 0x0
	.amdhsa_kernel _ZN7rocprim17ROCPRIM_400000_NS6detail17trampoline_kernelINS0_14default_configENS1_25partition_config_selectorILNS1_17partition_subalgoE0EtNS0_10empty_typeEbEEZZNS1_14partition_implILS5_0ELb0ES3_jN6thrust23THRUST_200600_302600_NS6detail15normal_iteratorINSA_10device_ptrItEEEEPS6_SG_NS0_5tupleIJSF_SF_EEENSH_IJSG_SG_EEES6_PlJ7is_evenItEEEE10hipError_tPvRmT3_T4_T5_T6_T7_T9_mT8_P12ihipStream_tbDpT10_ENKUlT_T0_E_clISt17integral_constantIbLb0EES15_IbLb1EEEEDaS11_S12_EUlS11_E_NS1_11comp_targetILNS1_3genE8ELNS1_11target_archE1030ELNS1_3gpuE2ELNS1_3repE0EEENS1_30default_config_static_selectorELNS0_4arch9wavefront6targetE1EEEvT1_
		.amdhsa_group_segment_fixed_size 0
		.amdhsa_private_segment_fixed_size 0
		.amdhsa_kernarg_size 136
		.amdhsa_user_sgpr_count 2
		.amdhsa_user_sgpr_dispatch_ptr 0
		.amdhsa_user_sgpr_queue_ptr 0
		.amdhsa_user_sgpr_kernarg_segment_ptr 1
		.amdhsa_user_sgpr_dispatch_id 0
		.amdhsa_user_sgpr_kernarg_preload_length 0
		.amdhsa_user_sgpr_kernarg_preload_offset 0
		.amdhsa_user_sgpr_private_segment_size 0
		.amdhsa_uses_dynamic_stack 0
		.amdhsa_enable_private_segment 0
		.amdhsa_system_sgpr_workgroup_id_x 1
		.amdhsa_system_sgpr_workgroup_id_y 0
		.amdhsa_system_sgpr_workgroup_id_z 0
		.amdhsa_system_sgpr_workgroup_info 0
		.amdhsa_system_vgpr_workitem_id 0
		.amdhsa_next_free_vgpr 1
		.amdhsa_next_free_sgpr 0
		.amdhsa_accum_offset 4
		.amdhsa_reserve_vcc 0
		.amdhsa_float_round_mode_32 0
		.amdhsa_float_round_mode_16_64 0
		.amdhsa_float_denorm_mode_32 3
		.amdhsa_float_denorm_mode_16_64 3
		.amdhsa_dx10_clamp 1
		.amdhsa_ieee_mode 1
		.amdhsa_fp16_overflow 0
		.amdhsa_tg_split 0
		.amdhsa_exception_fp_ieee_invalid_op 0
		.amdhsa_exception_fp_denorm_src 0
		.amdhsa_exception_fp_ieee_div_zero 0
		.amdhsa_exception_fp_ieee_overflow 0
		.amdhsa_exception_fp_ieee_underflow 0
		.amdhsa_exception_fp_ieee_inexact 0
		.amdhsa_exception_int_div_zero 0
	.end_amdhsa_kernel
	.section	.text._ZN7rocprim17ROCPRIM_400000_NS6detail17trampoline_kernelINS0_14default_configENS1_25partition_config_selectorILNS1_17partition_subalgoE0EtNS0_10empty_typeEbEEZZNS1_14partition_implILS5_0ELb0ES3_jN6thrust23THRUST_200600_302600_NS6detail15normal_iteratorINSA_10device_ptrItEEEEPS6_SG_NS0_5tupleIJSF_SF_EEENSH_IJSG_SG_EEES6_PlJ7is_evenItEEEE10hipError_tPvRmT3_T4_T5_T6_T7_T9_mT8_P12ihipStream_tbDpT10_ENKUlT_T0_E_clISt17integral_constantIbLb0EES15_IbLb1EEEEDaS11_S12_EUlS11_E_NS1_11comp_targetILNS1_3genE8ELNS1_11target_archE1030ELNS1_3gpuE2ELNS1_3repE0EEENS1_30default_config_static_selectorELNS0_4arch9wavefront6targetE1EEEvT1_,"axG",@progbits,_ZN7rocprim17ROCPRIM_400000_NS6detail17trampoline_kernelINS0_14default_configENS1_25partition_config_selectorILNS1_17partition_subalgoE0EtNS0_10empty_typeEbEEZZNS1_14partition_implILS5_0ELb0ES3_jN6thrust23THRUST_200600_302600_NS6detail15normal_iteratorINSA_10device_ptrItEEEEPS6_SG_NS0_5tupleIJSF_SF_EEENSH_IJSG_SG_EEES6_PlJ7is_evenItEEEE10hipError_tPvRmT3_T4_T5_T6_T7_T9_mT8_P12ihipStream_tbDpT10_ENKUlT_T0_E_clISt17integral_constantIbLb0EES15_IbLb1EEEEDaS11_S12_EUlS11_E_NS1_11comp_targetILNS1_3genE8ELNS1_11target_archE1030ELNS1_3gpuE2ELNS1_3repE0EEENS1_30default_config_static_selectorELNS0_4arch9wavefront6targetE1EEEvT1_,comdat
.Lfunc_end2201:
	.size	_ZN7rocprim17ROCPRIM_400000_NS6detail17trampoline_kernelINS0_14default_configENS1_25partition_config_selectorILNS1_17partition_subalgoE0EtNS0_10empty_typeEbEEZZNS1_14partition_implILS5_0ELb0ES3_jN6thrust23THRUST_200600_302600_NS6detail15normal_iteratorINSA_10device_ptrItEEEEPS6_SG_NS0_5tupleIJSF_SF_EEENSH_IJSG_SG_EEES6_PlJ7is_evenItEEEE10hipError_tPvRmT3_T4_T5_T6_T7_T9_mT8_P12ihipStream_tbDpT10_ENKUlT_T0_E_clISt17integral_constantIbLb0EES15_IbLb1EEEEDaS11_S12_EUlS11_E_NS1_11comp_targetILNS1_3genE8ELNS1_11target_archE1030ELNS1_3gpuE2ELNS1_3repE0EEENS1_30default_config_static_selectorELNS0_4arch9wavefront6targetE1EEEvT1_, .Lfunc_end2201-_ZN7rocprim17ROCPRIM_400000_NS6detail17trampoline_kernelINS0_14default_configENS1_25partition_config_selectorILNS1_17partition_subalgoE0EtNS0_10empty_typeEbEEZZNS1_14partition_implILS5_0ELb0ES3_jN6thrust23THRUST_200600_302600_NS6detail15normal_iteratorINSA_10device_ptrItEEEEPS6_SG_NS0_5tupleIJSF_SF_EEENSH_IJSG_SG_EEES6_PlJ7is_evenItEEEE10hipError_tPvRmT3_T4_T5_T6_T7_T9_mT8_P12ihipStream_tbDpT10_ENKUlT_T0_E_clISt17integral_constantIbLb0EES15_IbLb1EEEEDaS11_S12_EUlS11_E_NS1_11comp_targetILNS1_3genE8ELNS1_11target_archE1030ELNS1_3gpuE2ELNS1_3repE0EEENS1_30default_config_static_selectorELNS0_4arch9wavefront6targetE1EEEvT1_
                                        ; -- End function
	.section	.AMDGPU.csdata,"",@progbits
; Kernel info:
; codeLenInByte = 0
; NumSgprs: 6
; NumVgprs: 0
; NumAgprs: 0
; TotalNumVgprs: 0
; ScratchSize: 0
; MemoryBound: 0
; FloatMode: 240
; IeeeMode: 1
; LDSByteSize: 0 bytes/workgroup (compile time only)
; SGPRBlocks: 0
; VGPRBlocks: 0
; NumSGPRsForWavesPerEU: 6
; NumVGPRsForWavesPerEU: 1
; AccumOffset: 4
; Occupancy: 8
; WaveLimiterHint : 0
; COMPUTE_PGM_RSRC2:SCRATCH_EN: 0
; COMPUTE_PGM_RSRC2:USER_SGPR: 2
; COMPUTE_PGM_RSRC2:TRAP_HANDLER: 0
; COMPUTE_PGM_RSRC2:TGID_X_EN: 1
; COMPUTE_PGM_RSRC2:TGID_Y_EN: 0
; COMPUTE_PGM_RSRC2:TGID_Z_EN: 0
; COMPUTE_PGM_RSRC2:TIDIG_COMP_CNT: 0
; COMPUTE_PGM_RSRC3_GFX90A:ACCUM_OFFSET: 0
; COMPUTE_PGM_RSRC3_GFX90A:TG_SPLIT: 0
	.section	.text._ZN6thrust23THRUST_200600_302600_NS11hip_rocprim14__parallel_for6kernelILj256ENS1_20__uninitialized_fill7functorINS0_10device_ptrIiEEiEEmLj1EEEvT0_T1_SA_,"axG",@progbits,_ZN6thrust23THRUST_200600_302600_NS11hip_rocprim14__parallel_for6kernelILj256ENS1_20__uninitialized_fill7functorINS0_10device_ptrIiEEiEEmLj1EEEvT0_T1_SA_,comdat
	.protected	_ZN6thrust23THRUST_200600_302600_NS11hip_rocprim14__parallel_for6kernelILj256ENS1_20__uninitialized_fill7functorINS0_10device_ptrIiEEiEEmLj1EEEvT0_T1_SA_ ; -- Begin function _ZN6thrust23THRUST_200600_302600_NS11hip_rocprim14__parallel_for6kernelILj256ENS1_20__uninitialized_fill7functorINS0_10device_ptrIiEEiEEmLj1EEEvT0_T1_SA_
	.globl	_ZN6thrust23THRUST_200600_302600_NS11hip_rocprim14__parallel_for6kernelILj256ENS1_20__uninitialized_fill7functorINS0_10device_ptrIiEEiEEmLj1EEEvT0_T1_SA_
	.p2align	8
	.type	_ZN6thrust23THRUST_200600_302600_NS11hip_rocprim14__parallel_for6kernelILj256ENS1_20__uninitialized_fill7functorINS0_10device_ptrIiEEiEEmLj1EEEvT0_T1_SA_,@function
_ZN6thrust23THRUST_200600_302600_NS11hip_rocprim14__parallel_for6kernelILj256ENS1_20__uninitialized_fill7functorINS0_10device_ptrIiEEiEEmLj1EEEvT0_T1_SA_: ; @_ZN6thrust23THRUST_200600_302600_NS11hip_rocprim14__parallel_for6kernelILj256ENS1_20__uninitialized_fill7functorINS0_10device_ptrIiEEiEEmLj1EEEvT0_T1_SA_
; %bb.0:
	s_load_dwordx4 s[4:7], s[0:1], 0x10
	s_lshl_b32 s2, s2, 8
	v_mov_b64_e32 v[2:3], 0x100
	s_waitcnt lgkmcnt(0)
	s_add_u32 s2, s2, s6
	s_addc_u32 s3, 0, s7
	s_sub_u32 s4, s4, s2
	s_subb_u32 s5, s5, s3
	v_cmp_lt_u64_e32 vcc, s[4:5], v[2:3]
	s_cbranch_vccz .LBB2202_2
; %bb.1:
	v_cmp_gt_u32_e32 vcc, s4, v0
	s_and_b64 s[4:5], vcc, exec
	s_cbranch_execz .LBB2202_3
	s_branch .LBB2202_4
.LBB2202_2:
	s_mov_b64 s[4:5], 0
.LBB2202_3:
	s_or_b64 s[4:5], s[4:5], exec
.LBB2202_4:
	s_and_saveexec_b64 s[6:7], s[4:5]
	s_cbranch_execnz .LBB2202_6
; %bb.5:
	s_endpgm
.LBB2202_6:
	s_load_dwordx2 s[4:5], s[0:1], 0x0
	s_load_dword s6, s[0:1], 0x8
	s_lshl_b64 s[0:1], s[2:3], 2
	v_mov_b32_e32 v1, 0
	s_waitcnt lgkmcnt(0)
	s_add_u32 s0, s4, s0
	s_addc_u32 s1, s5, s1
	v_lshl_add_u64 v[0:1], v[0:1], 2, s[0:1]
	v_mov_b32_e32 v2, s6
	flat_store_dword v[0:1], v2
	s_endpgm
	.section	.rodata,"a",@progbits
	.p2align	6, 0x0
	.amdhsa_kernel _ZN6thrust23THRUST_200600_302600_NS11hip_rocprim14__parallel_for6kernelILj256ENS1_20__uninitialized_fill7functorINS0_10device_ptrIiEEiEEmLj1EEEvT0_T1_SA_
		.amdhsa_group_segment_fixed_size 0
		.amdhsa_private_segment_fixed_size 0
		.amdhsa_kernarg_size 32
		.amdhsa_user_sgpr_count 2
		.amdhsa_user_sgpr_dispatch_ptr 0
		.amdhsa_user_sgpr_queue_ptr 0
		.amdhsa_user_sgpr_kernarg_segment_ptr 1
		.amdhsa_user_sgpr_dispatch_id 0
		.amdhsa_user_sgpr_kernarg_preload_length 0
		.amdhsa_user_sgpr_kernarg_preload_offset 0
		.amdhsa_user_sgpr_private_segment_size 0
		.amdhsa_uses_dynamic_stack 0
		.amdhsa_enable_private_segment 0
		.amdhsa_system_sgpr_workgroup_id_x 1
		.amdhsa_system_sgpr_workgroup_id_y 0
		.amdhsa_system_sgpr_workgroup_id_z 0
		.amdhsa_system_sgpr_workgroup_info 0
		.amdhsa_system_vgpr_workitem_id 0
		.amdhsa_next_free_vgpr 4
		.amdhsa_next_free_sgpr 8
		.amdhsa_accum_offset 4
		.amdhsa_reserve_vcc 1
		.amdhsa_float_round_mode_32 0
		.amdhsa_float_round_mode_16_64 0
		.amdhsa_float_denorm_mode_32 3
		.amdhsa_float_denorm_mode_16_64 3
		.amdhsa_dx10_clamp 1
		.amdhsa_ieee_mode 1
		.amdhsa_fp16_overflow 0
		.amdhsa_tg_split 0
		.amdhsa_exception_fp_ieee_invalid_op 0
		.amdhsa_exception_fp_denorm_src 0
		.amdhsa_exception_fp_ieee_div_zero 0
		.amdhsa_exception_fp_ieee_overflow 0
		.amdhsa_exception_fp_ieee_underflow 0
		.amdhsa_exception_fp_ieee_inexact 0
		.amdhsa_exception_int_div_zero 0
	.end_amdhsa_kernel
	.section	.text._ZN6thrust23THRUST_200600_302600_NS11hip_rocprim14__parallel_for6kernelILj256ENS1_20__uninitialized_fill7functorINS0_10device_ptrIiEEiEEmLj1EEEvT0_T1_SA_,"axG",@progbits,_ZN6thrust23THRUST_200600_302600_NS11hip_rocprim14__parallel_for6kernelILj256ENS1_20__uninitialized_fill7functorINS0_10device_ptrIiEEiEEmLj1EEEvT0_T1_SA_,comdat
.Lfunc_end2202:
	.size	_ZN6thrust23THRUST_200600_302600_NS11hip_rocprim14__parallel_for6kernelILj256ENS1_20__uninitialized_fill7functorINS0_10device_ptrIiEEiEEmLj1EEEvT0_T1_SA_, .Lfunc_end2202-_ZN6thrust23THRUST_200600_302600_NS11hip_rocprim14__parallel_for6kernelILj256ENS1_20__uninitialized_fill7functorINS0_10device_ptrIiEEiEEmLj1EEEvT0_T1_SA_
                                        ; -- End function
	.section	.AMDGPU.csdata,"",@progbits
; Kernel info:
; codeLenInByte = 144
; NumSgprs: 14
; NumVgprs: 4
; NumAgprs: 0
; TotalNumVgprs: 4
; ScratchSize: 0
; MemoryBound: 0
; FloatMode: 240
; IeeeMode: 1
; LDSByteSize: 0 bytes/workgroup (compile time only)
; SGPRBlocks: 1
; VGPRBlocks: 0
; NumSGPRsForWavesPerEU: 14
; NumVGPRsForWavesPerEU: 4
; AccumOffset: 4
; Occupancy: 8
; WaveLimiterHint : 0
; COMPUTE_PGM_RSRC2:SCRATCH_EN: 0
; COMPUTE_PGM_RSRC2:USER_SGPR: 2
; COMPUTE_PGM_RSRC2:TRAP_HANDLER: 0
; COMPUTE_PGM_RSRC2:TGID_X_EN: 1
; COMPUTE_PGM_RSRC2:TGID_Y_EN: 0
; COMPUTE_PGM_RSRC2:TGID_Z_EN: 0
; COMPUTE_PGM_RSRC2:TIDIG_COMP_CNT: 0
; COMPUTE_PGM_RSRC3_GFX90A:ACCUM_OFFSET: 0
; COMPUTE_PGM_RSRC3_GFX90A:TG_SPLIT: 0
	.section	.text._ZN7rocprim17ROCPRIM_400000_NS6detail17trampoline_kernelINS0_14default_configENS1_25partition_config_selectorILNS1_17partition_subalgoE1EyNS0_10empty_typeEbEEZZNS1_14partition_implILS5_1ELb0ES3_jN6thrust23THRUST_200600_302600_NS6detail15normal_iteratorINSA_10device_ptrIyEEEEPS6_NSA_18transform_iteratorI7is_evenIyESF_NSA_11use_defaultESK_EENS0_5tupleIJSF_SF_EEENSM_IJSG_SG_EEES6_PlJS6_EEE10hipError_tPvRmT3_T4_T5_T6_T7_T9_mT8_P12ihipStream_tbDpT10_ENKUlT_T0_E_clISt17integral_constantIbLb0EES19_EEDaS14_S15_EUlS14_E_NS1_11comp_targetILNS1_3genE0ELNS1_11target_archE4294967295ELNS1_3gpuE0ELNS1_3repE0EEENS1_30default_config_static_selectorELNS0_4arch9wavefront6targetE1EEEvT1_,"axG",@progbits,_ZN7rocprim17ROCPRIM_400000_NS6detail17trampoline_kernelINS0_14default_configENS1_25partition_config_selectorILNS1_17partition_subalgoE1EyNS0_10empty_typeEbEEZZNS1_14partition_implILS5_1ELb0ES3_jN6thrust23THRUST_200600_302600_NS6detail15normal_iteratorINSA_10device_ptrIyEEEEPS6_NSA_18transform_iteratorI7is_evenIyESF_NSA_11use_defaultESK_EENS0_5tupleIJSF_SF_EEENSM_IJSG_SG_EEES6_PlJS6_EEE10hipError_tPvRmT3_T4_T5_T6_T7_T9_mT8_P12ihipStream_tbDpT10_ENKUlT_T0_E_clISt17integral_constantIbLb0EES19_EEDaS14_S15_EUlS14_E_NS1_11comp_targetILNS1_3genE0ELNS1_11target_archE4294967295ELNS1_3gpuE0ELNS1_3repE0EEENS1_30default_config_static_selectorELNS0_4arch9wavefront6targetE1EEEvT1_,comdat
	.protected	_ZN7rocprim17ROCPRIM_400000_NS6detail17trampoline_kernelINS0_14default_configENS1_25partition_config_selectorILNS1_17partition_subalgoE1EyNS0_10empty_typeEbEEZZNS1_14partition_implILS5_1ELb0ES3_jN6thrust23THRUST_200600_302600_NS6detail15normal_iteratorINSA_10device_ptrIyEEEEPS6_NSA_18transform_iteratorI7is_evenIyESF_NSA_11use_defaultESK_EENS0_5tupleIJSF_SF_EEENSM_IJSG_SG_EEES6_PlJS6_EEE10hipError_tPvRmT3_T4_T5_T6_T7_T9_mT8_P12ihipStream_tbDpT10_ENKUlT_T0_E_clISt17integral_constantIbLb0EES19_EEDaS14_S15_EUlS14_E_NS1_11comp_targetILNS1_3genE0ELNS1_11target_archE4294967295ELNS1_3gpuE0ELNS1_3repE0EEENS1_30default_config_static_selectorELNS0_4arch9wavefront6targetE1EEEvT1_ ; -- Begin function _ZN7rocprim17ROCPRIM_400000_NS6detail17trampoline_kernelINS0_14default_configENS1_25partition_config_selectorILNS1_17partition_subalgoE1EyNS0_10empty_typeEbEEZZNS1_14partition_implILS5_1ELb0ES3_jN6thrust23THRUST_200600_302600_NS6detail15normal_iteratorINSA_10device_ptrIyEEEEPS6_NSA_18transform_iteratorI7is_evenIyESF_NSA_11use_defaultESK_EENS0_5tupleIJSF_SF_EEENSM_IJSG_SG_EEES6_PlJS6_EEE10hipError_tPvRmT3_T4_T5_T6_T7_T9_mT8_P12ihipStream_tbDpT10_ENKUlT_T0_E_clISt17integral_constantIbLb0EES19_EEDaS14_S15_EUlS14_E_NS1_11comp_targetILNS1_3genE0ELNS1_11target_archE4294967295ELNS1_3gpuE0ELNS1_3repE0EEENS1_30default_config_static_selectorELNS0_4arch9wavefront6targetE1EEEvT1_
	.globl	_ZN7rocprim17ROCPRIM_400000_NS6detail17trampoline_kernelINS0_14default_configENS1_25partition_config_selectorILNS1_17partition_subalgoE1EyNS0_10empty_typeEbEEZZNS1_14partition_implILS5_1ELb0ES3_jN6thrust23THRUST_200600_302600_NS6detail15normal_iteratorINSA_10device_ptrIyEEEEPS6_NSA_18transform_iteratorI7is_evenIyESF_NSA_11use_defaultESK_EENS0_5tupleIJSF_SF_EEENSM_IJSG_SG_EEES6_PlJS6_EEE10hipError_tPvRmT3_T4_T5_T6_T7_T9_mT8_P12ihipStream_tbDpT10_ENKUlT_T0_E_clISt17integral_constantIbLb0EES19_EEDaS14_S15_EUlS14_E_NS1_11comp_targetILNS1_3genE0ELNS1_11target_archE4294967295ELNS1_3gpuE0ELNS1_3repE0EEENS1_30default_config_static_selectorELNS0_4arch9wavefront6targetE1EEEvT1_
	.p2align	8
	.type	_ZN7rocprim17ROCPRIM_400000_NS6detail17trampoline_kernelINS0_14default_configENS1_25partition_config_selectorILNS1_17partition_subalgoE1EyNS0_10empty_typeEbEEZZNS1_14partition_implILS5_1ELb0ES3_jN6thrust23THRUST_200600_302600_NS6detail15normal_iteratorINSA_10device_ptrIyEEEEPS6_NSA_18transform_iteratorI7is_evenIyESF_NSA_11use_defaultESK_EENS0_5tupleIJSF_SF_EEENSM_IJSG_SG_EEES6_PlJS6_EEE10hipError_tPvRmT3_T4_T5_T6_T7_T9_mT8_P12ihipStream_tbDpT10_ENKUlT_T0_E_clISt17integral_constantIbLb0EES19_EEDaS14_S15_EUlS14_E_NS1_11comp_targetILNS1_3genE0ELNS1_11target_archE4294967295ELNS1_3gpuE0ELNS1_3repE0EEENS1_30default_config_static_selectorELNS0_4arch9wavefront6targetE1EEEvT1_,@function
_ZN7rocprim17ROCPRIM_400000_NS6detail17trampoline_kernelINS0_14default_configENS1_25partition_config_selectorILNS1_17partition_subalgoE1EyNS0_10empty_typeEbEEZZNS1_14partition_implILS5_1ELb0ES3_jN6thrust23THRUST_200600_302600_NS6detail15normal_iteratorINSA_10device_ptrIyEEEEPS6_NSA_18transform_iteratorI7is_evenIyESF_NSA_11use_defaultESK_EENS0_5tupleIJSF_SF_EEENSM_IJSG_SG_EEES6_PlJS6_EEE10hipError_tPvRmT3_T4_T5_T6_T7_T9_mT8_P12ihipStream_tbDpT10_ENKUlT_T0_E_clISt17integral_constantIbLb0EES19_EEDaS14_S15_EUlS14_E_NS1_11comp_targetILNS1_3genE0ELNS1_11target_archE4294967295ELNS1_3gpuE0ELNS1_3repE0EEENS1_30default_config_static_selectorELNS0_4arch9wavefront6targetE1EEEvT1_: ; @_ZN7rocprim17ROCPRIM_400000_NS6detail17trampoline_kernelINS0_14default_configENS1_25partition_config_selectorILNS1_17partition_subalgoE1EyNS0_10empty_typeEbEEZZNS1_14partition_implILS5_1ELb0ES3_jN6thrust23THRUST_200600_302600_NS6detail15normal_iteratorINSA_10device_ptrIyEEEEPS6_NSA_18transform_iteratorI7is_evenIyESF_NSA_11use_defaultESK_EENS0_5tupleIJSF_SF_EEENSM_IJSG_SG_EEES6_PlJS6_EEE10hipError_tPvRmT3_T4_T5_T6_T7_T9_mT8_P12ihipStream_tbDpT10_ENKUlT_T0_E_clISt17integral_constantIbLb0EES19_EEDaS14_S15_EUlS14_E_NS1_11comp_targetILNS1_3genE0ELNS1_11target_archE4294967295ELNS1_3gpuE0ELNS1_3repE0EEENS1_30default_config_static_selectorELNS0_4arch9wavefront6targetE1EEEvT1_
; %bb.0:
	.section	.rodata,"a",@progbits
	.p2align	6, 0x0
	.amdhsa_kernel _ZN7rocprim17ROCPRIM_400000_NS6detail17trampoline_kernelINS0_14default_configENS1_25partition_config_selectorILNS1_17partition_subalgoE1EyNS0_10empty_typeEbEEZZNS1_14partition_implILS5_1ELb0ES3_jN6thrust23THRUST_200600_302600_NS6detail15normal_iteratorINSA_10device_ptrIyEEEEPS6_NSA_18transform_iteratorI7is_evenIyESF_NSA_11use_defaultESK_EENS0_5tupleIJSF_SF_EEENSM_IJSG_SG_EEES6_PlJS6_EEE10hipError_tPvRmT3_T4_T5_T6_T7_T9_mT8_P12ihipStream_tbDpT10_ENKUlT_T0_E_clISt17integral_constantIbLb0EES19_EEDaS14_S15_EUlS14_E_NS1_11comp_targetILNS1_3genE0ELNS1_11target_archE4294967295ELNS1_3gpuE0ELNS1_3repE0EEENS1_30default_config_static_selectorELNS0_4arch9wavefront6targetE1EEEvT1_
		.amdhsa_group_segment_fixed_size 0
		.amdhsa_private_segment_fixed_size 0
		.amdhsa_kernarg_size 128
		.amdhsa_user_sgpr_count 2
		.amdhsa_user_sgpr_dispatch_ptr 0
		.amdhsa_user_sgpr_queue_ptr 0
		.amdhsa_user_sgpr_kernarg_segment_ptr 1
		.amdhsa_user_sgpr_dispatch_id 0
		.amdhsa_user_sgpr_kernarg_preload_length 0
		.amdhsa_user_sgpr_kernarg_preload_offset 0
		.amdhsa_user_sgpr_private_segment_size 0
		.amdhsa_uses_dynamic_stack 0
		.amdhsa_enable_private_segment 0
		.amdhsa_system_sgpr_workgroup_id_x 1
		.amdhsa_system_sgpr_workgroup_id_y 0
		.amdhsa_system_sgpr_workgroup_id_z 0
		.amdhsa_system_sgpr_workgroup_info 0
		.amdhsa_system_vgpr_workitem_id 0
		.amdhsa_next_free_vgpr 1
		.amdhsa_next_free_sgpr 0
		.amdhsa_accum_offset 4
		.amdhsa_reserve_vcc 0
		.amdhsa_float_round_mode_32 0
		.amdhsa_float_round_mode_16_64 0
		.amdhsa_float_denorm_mode_32 3
		.amdhsa_float_denorm_mode_16_64 3
		.amdhsa_dx10_clamp 1
		.amdhsa_ieee_mode 1
		.amdhsa_fp16_overflow 0
		.amdhsa_tg_split 0
		.amdhsa_exception_fp_ieee_invalid_op 0
		.amdhsa_exception_fp_denorm_src 0
		.amdhsa_exception_fp_ieee_div_zero 0
		.amdhsa_exception_fp_ieee_overflow 0
		.amdhsa_exception_fp_ieee_underflow 0
		.amdhsa_exception_fp_ieee_inexact 0
		.amdhsa_exception_int_div_zero 0
	.end_amdhsa_kernel
	.section	.text._ZN7rocprim17ROCPRIM_400000_NS6detail17trampoline_kernelINS0_14default_configENS1_25partition_config_selectorILNS1_17partition_subalgoE1EyNS0_10empty_typeEbEEZZNS1_14partition_implILS5_1ELb0ES3_jN6thrust23THRUST_200600_302600_NS6detail15normal_iteratorINSA_10device_ptrIyEEEEPS6_NSA_18transform_iteratorI7is_evenIyESF_NSA_11use_defaultESK_EENS0_5tupleIJSF_SF_EEENSM_IJSG_SG_EEES6_PlJS6_EEE10hipError_tPvRmT3_T4_T5_T6_T7_T9_mT8_P12ihipStream_tbDpT10_ENKUlT_T0_E_clISt17integral_constantIbLb0EES19_EEDaS14_S15_EUlS14_E_NS1_11comp_targetILNS1_3genE0ELNS1_11target_archE4294967295ELNS1_3gpuE0ELNS1_3repE0EEENS1_30default_config_static_selectorELNS0_4arch9wavefront6targetE1EEEvT1_,"axG",@progbits,_ZN7rocprim17ROCPRIM_400000_NS6detail17trampoline_kernelINS0_14default_configENS1_25partition_config_selectorILNS1_17partition_subalgoE1EyNS0_10empty_typeEbEEZZNS1_14partition_implILS5_1ELb0ES3_jN6thrust23THRUST_200600_302600_NS6detail15normal_iteratorINSA_10device_ptrIyEEEEPS6_NSA_18transform_iteratorI7is_evenIyESF_NSA_11use_defaultESK_EENS0_5tupleIJSF_SF_EEENSM_IJSG_SG_EEES6_PlJS6_EEE10hipError_tPvRmT3_T4_T5_T6_T7_T9_mT8_P12ihipStream_tbDpT10_ENKUlT_T0_E_clISt17integral_constantIbLb0EES19_EEDaS14_S15_EUlS14_E_NS1_11comp_targetILNS1_3genE0ELNS1_11target_archE4294967295ELNS1_3gpuE0ELNS1_3repE0EEENS1_30default_config_static_selectorELNS0_4arch9wavefront6targetE1EEEvT1_,comdat
.Lfunc_end2203:
	.size	_ZN7rocprim17ROCPRIM_400000_NS6detail17trampoline_kernelINS0_14default_configENS1_25partition_config_selectorILNS1_17partition_subalgoE1EyNS0_10empty_typeEbEEZZNS1_14partition_implILS5_1ELb0ES3_jN6thrust23THRUST_200600_302600_NS6detail15normal_iteratorINSA_10device_ptrIyEEEEPS6_NSA_18transform_iteratorI7is_evenIyESF_NSA_11use_defaultESK_EENS0_5tupleIJSF_SF_EEENSM_IJSG_SG_EEES6_PlJS6_EEE10hipError_tPvRmT3_T4_T5_T6_T7_T9_mT8_P12ihipStream_tbDpT10_ENKUlT_T0_E_clISt17integral_constantIbLb0EES19_EEDaS14_S15_EUlS14_E_NS1_11comp_targetILNS1_3genE0ELNS1_11target_archE4294967295ELNS1_3gpuE0ELNS1_3repE0EEENS1_30default_config_static_selectorELNS0_4arch9wavefront6targetE1EEEvT1_, .Lfunc_end2203-_ZN7rocprim17ROCPRIM_400000_NS6detail17trampoline_kernelINS0_14default_configENS1_25partition_config_selectorILNS1_17partition_subalgoE1EyNS0_10empty_typeEbEEZZNS1_14partition_implILS5_1ELb0ES3_jN6thrust23THRUST_200600_302600_NS6detail15normal_iteratorINSA_10device_ptrIyEEEEPS6_NSA_18transform_iteratorI7is_evenIyESF_NSA_11use_defaultESK_EENS0_5tupleIJSF_SF_EEENSM_IJSG_SG_EEES6_PlJS6_EEE10hipError_tPvRmT3_T4_T5_T6_T7_T9_mT8_P12ihipStream_tbDpT10_ENKUlT_T0_E_clISt17integral_constantIbLb0EES19_EEDaS14_S15_EUlS14_E_NS1_11comp_targetILNS1_3genE0ELNS1_11target_archE4294967295ELNS1_3gpuE0ELNS1_3repE0EEENS1_30default_config_static_selectorELNS0_4arch9wavefront6targetE1EEEvT1_
                                        ; -- End function
	.section	.AMDGPU.csdata,"",@progbits
; Kernel info:
; codeLenInByte = 0
; NumSgprs: 6
; NumVgprs: 0
; NumAgprs: 0
; TotalNumVgprs: 0
; ScratchSize: 0
; MemoryBound: 0
; FloatMode: 240
; IeeeMode: 1
; LDSByteSize: 0 bytes/workgroup (compile time only)
; SGPRBlocks: 0
; VGPRBlocks: 0
; NumSGPRsForWavesPerEU: 6
; NumVGPRsForWavesPerEU: 1
; AccumOffset: 4
; Occupancy: 8
; WaveLimiterHint : 0
; COMPUTE_PGM_RSRC2:SCRATCH_EN: 0
; COMPUTE_PGM_RSRC2:USER_SGPR: 2
; COMPUTE_PGM_RSRC2:TRAP_HANDLER: 0
; COMPUTE_PGM_RSRC2:TGID_X_EN: 1
; COMPUTE_PGM_RSRC2:TGID_Y_EN: 0
; COMPUTE_PGM_RSRC2:TGID_Z_EN: 0
; COMPUTE_PGM_RSRC2:TIDIG_COMP_CNT: 0
; COMPUTE_PGM_RSRC3_GFX90A:ACCUM_OFFSET: 0
; COMPUTE_PGM_RSRC3_GFX90A:TG_SPLIT: 0
	.section	.text._ZN7rocprim17ROCPRIM_400000_NS6detail17trampoline_kernelINS0_14default_configENS1_25partition_config_selectorILNS1_17partition_subalgoE1EyNS0_10empty_typeEbEEZZNS1_14partition_implILS5_1ELb0ES3_jN6thrust23THRUST_200600_302600_NS6detail15normal_iteratorINSA_10device_ptrIyEEEEPS6_NSA_18transform_iteratorI7is_evenIyESF_NSA_11use_defaultESK_EENS0_5tupleIJSF_SF_EEENSM_IJSG_SG_EEES6_PlJS6_EEE10hipError_tPvRmT3_T4_T5_T6_T7_T9_mT8_P12ihipStream_tbDpT10_ENKUlT_T0_E_clISt17integral_constantIbLb0EES19_EEDaS14_S15_EUlS14_E_NS1_11comp_targetILNS1_3genE5ELNS1_11target_archE942ELNS1_3gpuE9ELNS1_3repE0EEENS1_30default_config_static_selectorELNS0_4arch9wavefront6targetE1EEEvT1_,"axG",@progbits,_ZN7rocprim17ROCPRIM_400000_NS6detail17trampoline_kernelINS0_14default_configENS1_25partition_config_selectorILNS1_17partition_subalgoE1EyNS0_10empty_typeEbEEZZNS1_14partition_implILS5_1ELb0ES3_jN6thrust23THRUST_200600_302600_NS6detail15normal_iteratorINSA_10device_ptrIyEEEEPS6_NSA_18transform_iteratorI7is_evenIyESF_NSA_11use_defaultESK_EENS0_5tupleIJSF_SF_EEENSM_IJSG_SG_EEES6_PlJS6_EEE10hipError_tPvRmT3_T4_T5_T6_T7_T9_mT8_P12ihipStream_tbDpT10_ENKUlT_T0_E_clISt17integral_constantIbLb0EES19_EEDaS14_S15_EUlS14_E_NS1_11comp_targetILNS1_3genE5ELNS1_11target_archE942ELNS1_3gpuE9ELNS1_3repE0EEENS1_30default_config_static_selectorELNS0_4arch9wavefront6targetE1EEEvT1_,comdat
	.protected	_ZN7rocprim17ROCPRIM_400000_NS6detail17trampoline_kernelINS0_14default_configENS1_25partition_config_selectorILNS1_17partition_subalgoE1EyNS0_10empty_typeEbEEZZNS1_14partition_implILS5_1ELb0ES3_jN6thrust23THRUST_200600_302600_NS6detail15normal_iteratorINSA_10device_ptrIyEEEEPS6_NSA_18transform_iteratorI7is_evenIyESF_NSA_11use_defaultESK_EENS0_5tupleIJSF_SF_EEENSM_IJSG_SG_EEES6_PlJS6_EEE10hipError_tPvRmT3_T4_T5_T6_T7_T9_mT8_P12ihipStream_tbDpT10_ENKUlT_T0_E_clISt17integral_constantIbLb0EES19_EEDaS14_S15_EUlS14_E_NS1_11comp_targetILNS1_3genE5ELNS1_11target_archE942ELNS1_3gpuE9ELNS1_3repE0EEENS1_30default_config_static_selectorELNS0_4arch9wavefront6targetE1EEEvT1_ ; -- Begin function _ZN7rocprim17ROCPRIM_400000_NS6detail17trampoline_kernelINS0_14default_configENS1_25partition_config_selectorILNS1_17partition_subalgoE1EyNS0_10empty_typeEbEEZZNS1_14partition_implILS5_1ELb0ES3_jN6thrust23THRUST_200600_302600_NS6detail15normal_iteratorINSA_10device_ptrIyEEEEPS6_NSA_18transform_iteratorI7is_evenIyESF_NSA_11use_defaultESK_EENS0_5tupleIJSF_SF_EEENSM_IJSG_SG_EEES6_PlJS6_EEE10hipError_tPvRmT3_T4_T5_T6_T7_T9_mT8_P12ihipStream_tbDpT10_ENKUlT_T0_E_clISt17integral_constantIbLb0EES19_EEDaS14_S15_EUlS14_E_NS1_11comp_targetILNS1_3genE5ELNS1_11target_archE942ELNS1_3gpuE9ELNS1_3repE0EEENS1_30default_config_static_selectorELNS0_4arch9wavefront6targetE1EEEvT1_
	.globl	_ZN7rocprim17ROCPRIM_400000_NS6detail17trampoline_kernelINS0_14default_configENS1_25partition_config_selectorILNS1_17partition_subalgoE1EyNS0_10empty_typeEbEEZZNS1_14partition_implILS5_1ELb0ES3_jN6thrust23THRUST_200600_302600_NS6detail15normal_iteratorINSA_10device_ptrIyEEEEPS6_NSA_18transform_iteratorI7is_evenIyESF_NSA_11use_defaultESK_EENS0_5tupleIJSF_SF_EEENSM_IJSG_SG_EEES6_PlJS6_EEE10hipError_tPvRmT3_T4_T5_T6_T7_T9_mT8_P12ihipStream_tbDpT10_ENKUlT_T0_E_clISt17integral_constantIbLb0EES19_EEDaS14_S15_EUlS14_E_NS1_11comp_targetILNS1_3genE5ELNS1_11target_archE942ELNS1_3gpuE9ELNS1_3repE0EEENS1_30default_config_static_selectorELNS0_4arch9wavefront6targetE1EEEvT1_
	.p2align	8
	.type	_ZN7rocprim17ROCPRIM_400000_NS6detail17trampoline_kernelINS0_14default_configENS1_25partition_config_selectorILNS1_17partition_subalgoE1EyNS0_10empty_typeEbEEZZNS1_14partition_implILS5_1ELb0ES3_jN6thrust23THRUST_200600_302600_NS6detail15normal_iteratorINSA_10device_ptrIyEEEEPS6_NSA_18transform_iteratorI7is_evenIyESF_NSA_11use_defaultESK_EENS0_5tupleIJSF_SF_EEENSM_IJSG_SG_EEES6_PlJS6_EEE10hipError_tPvRmT3_T4_T5_T6_T7_T9_mT8_P12ihipStream_tbDpT10_ENKUlT_T0_E_clISt17integral_constantIbLb0EES19_EEDaS14_S15_EUlS14_E_NS1_11comp_targetILNS1_3genE5ELNS1_11target_archE942ELNS1_3gpuE9ELNS1_3repE0EEENS1_30default_config_static_selectorELNS0_4arch9wavefront6targetE1EEEvT1_,@function
_ZN7rocprim17ROCPRIM_400000_NS6detail17trampoline_kernelINS0_14default_configENS1_25partition_config_selectorILNS1_17partition_subalgoE1EyNS0_10empty_typeEbEEZZNS1_14partition_implILS5_1ELb0ES3_jN6thrust23THRUST_200600_302600_NS6detail15normal_iteratorINSA_10device_ptrIyEEEEPS6_NSA_18transform_iteratorI7is_evenIyESF_NSA_11use_defaultESK_EENS0_5tupleIJSF_SF_EEENSM_IJSG_SG_EEES6_PlJS6_EEE10hipError_tPvRmT3_T4_T5_T6_T7_T9_mT8_P12ihipStream_tbDpT10_ENKUlT_T0_E_clISt17integral_constantIbLb0EES19_EEDaS14_S15_EUlS14_E_NS1_11comp_targetILNS1_3genE5ELNS1_11target_archE942ELNS1_3gpuE9ELNS1_3repE0EEENS1_30default_config_static_selectorELNS0_4arch9wavefront6targetE1EEEvT1_: ; @_ZN7rocprim17ROCPRIM_400000_NS6detail17trampoline_kernelINS0_14default_configENS1_25partition_config_selectorILNS1_17partition_subalgoE1EyNS0_10empty_typeEbEEZZNS1_14partition_implILS5_1ELb0ES3_jN6thrust23THRUST_200600_302600_NS6detail15normal_iteratorINSA_10device_ptrIyEEEEPS6_NSA_18transform_iteratorI7is_evenIyESF_NSA_11use_defaultESK_EENS0_5tupleIJSF_SF_EEENSM_IJSG_SG_EEES6_PlJS6_EEE10hipError_tPvRmT3_T4_T5_T6_T7_T9_mT8_P12ihipStream_tbDpT10_ENKUlT_T0_E_clISt17integral_constantIbLb0EES19_EEDaS14_S15_EUlS14_E_NS1_11comp_targetILNS1_3genE5ELNS1_11target_archE942ELNS1_3gpuE9ELNS1_3repE0EEENS1_30default_config_static_selectorELNS0_4arch9wavefront6targetE1EEEvT1_
; %bb.0:
	s_load_dwordx2 s[4:5], s[0:1], 0x60
	s_load_dwordx4 s[24:27], s[0:1], 0x8
	s_load_dwordx2 s[6:7], s[0:1], 0x20
	s_load_dwordx4 s[20:23], s[0:1], 0x50
	s_load_dword s3, s[0:1], 0x78
	s_waitcnt lgkmcnt(0)
	v_mov_b32_e32 v3, s5
	s_lshl_b64 s[8:9], s[26:27], 3
	s_add_u32 s12, s24, s8
	s_addc_u32 s13, s25, s9
	s_add_i32 s14, s3, -1
	s_mulk_i32 s3, 0xe00
	s_add_i32 s5, s3, s26
	s_sub_i32 s33, s4, s5
	s_addk_i32 s33, 0xe00
	v_mov_b32_e32 v2, s4
	s_add_u32 s4, s26, s3
	s_addc_u32 s5, s27, 0
	s_cmp_eq_u32 s2, s14
	s_load_dwordx2 s[28:29], s[22:23], 0x0
	s_cselect_b64 s[22:23], -1, 0
	s_cmp_lg_u32 s2, s14
	s_mul_i32 s10, s2, 0xe00
	s_mov_b32 s11, 0
	v_cmp_lt_u64_e32 vcc, s[4:5], v[2:3]
	s_cselect_b64 s[4:5], -1, 0
	s_or_b64 s[24:25], s[4:5], vcc
	s_lshl_b64 s[30:31], s[10:11], 3
	s_add_u32 s10, s12, s30
	s_addc_u32 s11, s13, s31
	s_mov_b64 s[4:5], -1
	s_and_b64 vcc, exec, s[24:25]
	v_lshlrev_b32_e32 v18, 3, v0
	s_cbranch_vccz .LBB2204_2
; %bb.1:
	v_mov_b32_e32 v19, 0
	v_lshl_add_u64 v[2:3], s[10:11], 0, v[18:19]
	v_add_co_u32_e32 v4, vcc, 0x1000, v2
	s_mov_b64 s[4:5], 0
	s_nop 0
	v_addc_co_u32_e32 v5, vcc, 0, v3, vcc
	v_add_co_u32_e32 v6, vcc, 0x2000, v2
	s_nop 1
	v_addc_co_u32_e32 v7, vcc, 0, v3, vcc
	v_add_co_u32_e32 v8, vcc, 0x3000, v2
	s_nop 1
	v_addc_co_u32_e32 v9, vcc, 0, v3, vcc
	flat_load_dwordx2 v[10:11], v[2:3]
	flat_load_dwordx2 v[12:13], v[4:5]
	;; [unrolled: 1-line block ×4, first 2 shown]
	v_add_co_u32_e32 v4, vcc, 0x4000, v2
	s_nop 1
	v_addc_co_u32_e32 v5, vcc, 0, v3, vcc
	v_add_co_u32_e32 v6, vcc, 0x5000, v2
	s_nop 1
	v_addc_co_u32_e32 v7, vcc, 0, v3, vcc
	;; [unrolled: 3-line block ×3, first 2 shown]
	flat_load_dwordx2 v[8:9], v[4:5]
	flat_load_dwordx2 v[20:21], v[6:7]
	;; [unrolled: 1-line block ×3, first 2 shown]
	s_waitcnt vmcnt(0) lgkmcnt(0)
	ds_write2st64_b64 v18, v[10:11], v[12:13] offset1:8
	ds_write2st64_b64 v18, v[14:15], v[16:17] offset0:16 offset1:24
	ds_write2st64_b64 v18, v[8:9], v[20:21] offset0:32 offset1:40
	ds_write_b64 v18, v[22:23] offset:24576
	s_waitcnt lgkmcnt(0)
	s_barrier
.LBB2204_2:
	s_andn2_b64 vcc, exec, s[4:5]
	v_cmp_gt_u32_e64 s[4:5], s33, v0
	s_cbranch_vccnz .LBB2204_18
; %bb.3:
                                        ; implicit-def: $vgpr2_vgpr3_vgpr4_vgpr5_vgpr6_vgpr7_vgpr8_vgpr9_vgpr10_vgpr11_vgpr12_vgpr13_vgpr14_vgpr15_vgpr16_vgpr17
	s_and_saveexec_b64 s[12:13], s[4:5]
	s_cbranch_execz .LBB2204_5
; %bb.4:
	v_mov_b32_e32 v19, 0
	v_lshl_add_u64 v[2:3], s[10:11], 0, v[18:19]
	flat_load_dwordx2 v[2:3], v[2:3]
.LBB2204_5:
	s_or_b64 exec, exec, s[12:13]
	v_or_b32_e32 v1, 0x200, v0
	v_cmp_gt_u32_e32 vcc, s33, v1
	s_and_saveexec_b64 s[4:5], vcc
	s_cbranch_execz .LBB2204_7
; %bb.6:
	v_lshlrev_b32_e32 v4, 3, v1
	v_mov_b32_e32 v5, 0
	v_lshl_add_u64 v[4:5], s[10:11], 0, v[4:5]
	flat_load_dwordx2 v[4:5], v[4:5]
.LBB2204_7:
	s_or_b64 exec, exec, s[4:5]
	v_or_b32_e32 v1, 0x400, v0
	v_cmp_gt_u32_e32 vcc, s33, v1
	s_and_saveexec_b64 s[4:5], vcc
	s_cbranch_execz .LBB2204_9
; %bb.8:
	v_lshlrev_b32_e32 v6, 3, v1
	v_mov_b32_e32 v7, 0
	v_lshl_add_u64 v[6:7], s[10:11], 0, v[6:7]
	flat_load_dwordx2 v[6:7], v[6:7]
.LBB2204_9:
	;; [unrolled: 11-line block ×6, first 2 shown]
	s_or_b64 exec, exec, s[4:5]
	s_waitcnt vmcnt(0) lgkmcnt(0)
	ds_write2st64_b64 v18, v[2:3], v[4:5] offset1:8
	ds_write2st64_b64 v18, v[6:7], v[8:9] offset0:16 offset1:24
	ds_write2st64_b64 v18, v[10:11], v[12:13] offset0:32 offset1:40
	ds_write_b64 v18, v[14:15] offset:24576
	s_waitcnt lgkmcnt(0)
	s_barrier
.LBB2204_18:
	v_mul_u32_u24_e32 v1, 7, v0
	v_lshlrev_b32_e32 v16, 3, v1
	s_waitcnt lgkmcnt(0)
	ds_read2_b64 v[10:13], v16 offset1:1
	ds_read2_b64 v[6:9], v16 offset0:2 offset1:3
	ds_read2_b64 v[2:5], v16 offset0:4 offset1:5
	ds_read_b64 v[14:15], v16 offset:48
	s_add_u32 s3, s6, s8
	s_addc_u32 s5, s7, s9
	s_add_u32 s4, s3, s30
	s_addc_u32 s5, s5, s31
	s_mov_b64 s[6:7], -1
	s_and_b64 vcc, exec, s[24:25]
	s_waitcnt lgkmcnt(0)
	s_barrier
	s_cbranch_vccz .LBB2204_20
; %bb.19:
	v_mov_b32_e32 v19, 0
	v_lshl_add_u64 v[20:21], s[4:5], 0, v[18:19]
	v_add_co_u32_e32 v24, vcc, 0x1000, v20
	global_load_dwordx2 v[22:23], v18, s[4:5]
	s_nop 0
	v_addc_co_u32_e32 v25, vcc, 0, v21, vcc
	v_add_co_u32_e32 v26, vcc, 0x2000, v20
	s_mov_b64 s[6:7], 0
	s_nop 0
	v_addc_co_u32_e32 v27, vcc, 0, v21, vcc
	v_add_co_u32_e32 v28, vcc, 0x3000, v20
	s_waitcnt vmcnt(0)
	v_xor_b32_e32 v17, -1, v22
	v_addc_co_u32_e32 v29, vcc, 0, v21, vcc
	v_add_co_u32_e32 v30, vcc, 0x4000, v20
	v_and_b32_e32 v17, 1, v17
	s_nop 0
	v_addc_co_u32_e32 v31, vcc, 0, v21, vcc
	global_load_dwordx2 v[32:33], v[24:25], off
	global_load_dwordx2 v[34:35], v[26:27], off
	;; [unrolled: 1-line block ×4, first 2 shown]
	v_add_co_u32_e32 v24, vcc, 0x5000, v20
	ds_write_b8 v0, v17
	s_nop 0
	v_addc_co_u32_e32 v25, vcc, 0, v21, vcc
	v_add_co_u32_e32 v20, vcc, 0x6000, v20
	global_load_dwordx2 v[24:25], v[24:25], off
	s_nop 0
	v_addc_co_u32_e32 v21, vcc, 0, v21, vcc
	global_load_dwordx2 v[20:21], v[20:21], off
	s_waitcnt vmcnt(5)
	v_xor_b32_e32 v17, -1, v32
	v_and_b32_e32 v17, 1, v17
	s_waitcnt vmcnt(4)
	v_xor_b32_e32 v19, -1, v34
	s_waitcnt vmcnt(0)
	v_xor_b32_e32 v21, -1, v36
	v_and_b32_e32 v19, 1, v19
	ds_write_b8 v0, v17 offset:512
	v_and_b32_e32 v17, 1, v21
	v_xor_b32_e32 v21, -1, v38
	ds_write_b8 v0, v19 offset:1024
	v_and_b32_e32 v19, 1, v21
	ds_write_b8 v0, v17 offset:1536
	v_xor_b32_e32 v21, -1, v24
	v_and_b32_e32 v17, 1, v21
	ds_write_b8 v0, v19 offset:2048
	v_xor_b32_e32 v20, -1, v20
	v_and_b32_e32 v19, 1, v20
	ds_write_b8 v0, v17 offset:2560
	ds_write_b8 v0, v19 offset:3072
	s_waitcnt lgkmcnt(0)
	s_barrier
.LBB2204_20:
	s_load_dwordx2 s[34:35], s[0:1], 0x70
	s_andn2_b64 vcc, exec, s[6:7]
	s_cbranch_vccnz .LBB2204_36
; %bb.21:
	v_cmp_gt_u32_e32 vcc, s33, v0
	v_mov_b32_e32 v17, 0
	v_mov_b32_e32 v19, 0
	s_and_saveexec_b64 s[6:7], vcc
	s_cbranch_execz .LBB2204_23
; %bb.22:
	global_load_dwordx2 v[20:21], v18, s[4:5]
	s_waitcnt vmcnt(0)
	v_xor_b32_e32 v19, -1, v20
	v_and_b32_e32 v19, 1, v19
.LBB2204_23:
	s_or_b64 exec, exec, s[6:7]
	v_or_b32_e32 v20, 0x200, v0
	v_cmp_gt_u32_e32 vcc, s33, v20
	s_and_saveexec_b64 s[6:7], vcc
	s_cbranch_execz .LBB2204_25
; %bb.24:
	v_lshlrev_b32_e32 v17, 3, v20
	global_load_dwordx2 v[20:21], v17, s[4:5]
	s_waitcnt vmcnt(0)
	v_xor_b32_e32 v17, -1, v20
	v_and_b32_e32 v17, 1, v17
.LBB2204_25:
	s_or_b64 exec, exec, s[6:7]
	v_or_b32_e32 v22, 0x400, v0
	v_cmp_gt_u32_e32 vcc, s33, v22
	v_mov_b32_e32 v20, 0
	v_mov_b32_e32 v21, 0
	s_and_saveexec_b64 s[6:7], vcc
	s_cbranch_execz .LBB2204_27
; %bb.26:
	v_lshlrev_b32_e32 v21, 3, v22
	global_load_dwordx2 v[22:23], v21, s[4:5]
	s_waitcnt vmcnt(0)
	v_xor_b32_e32 v21, -1, v22
	v_and_b32_e32 v21, 1, v21
.LBB2204_27:
	s_or_b64 exec, exec, s[6:7]
	v_or_b32_e32 v22, 0x600, v0
	v_cmp_gt_u32_e32 vcc, s33, v22
	s_and_saveexec_b64 s[6:7], vcc
	s_cbranch_execz .LBB2204_29
; %bb.28:
	v_lshlrev_b32_e32 v20, 3, v22
	global_load_dwordx2 v[22:23], v20, s[4:5]
	s_waitcnt vmcnt(0)
	v_xor_b32_e32 v20, -1, v22
	v_and_b32_e32 v20, 1, v20
.LBB2204_29:
	s_or_b64 exec, exec, s[6:7]
	v_or_b32_e32 v24, 0x800, v0
	v_cmp_gt_u32_e32 vcc, s33, v24
	v_mov_b32_e32 v22, 0
	v_mov_b32_e32 v23, 0
	s_and_saveexec_b64 s[6:7], vcc
	s_cbranch_execz .LBB2204_31
; %bb.30:
	v_lshlrev_b32_e32 v23, 3, v24
	global_load_dwordx2 v[24:25], v23, s[4:5]
	s_waitcnt vmcnt(0)
	v_xor_b32_e32 v23, -1, v24
	v_and_b32_e32 v23, 1, v23
.LBB2204_31:
	s_or_b64 exec, exec, s[6:7]
	v_or_b32_e32 v24, 0xa00, v0
	v_cmp_gt_u32_e32 vcc, s33, v24
	s_and_saveexec_b64 s[6:7], vcc
	s_cbranch_execz .LBB2204_33
; %bb.32:
	v_lshlrev_b32_e32 v22, 3, v24
	global_load_dwordx2 v[24:25], v22, s[4:5]
	s_waitcnt vmcnt(0)
	v_xor_b32_e32 v22, -1, v24
	v_and_b32_e32 v22, 1, v22
.LBB2204_33:
	s_or_b64 exec, exec, s[6:7]
	v_or_b32_e32 v25, 0xc00, v0
	v_cmp_gt_u32_e32 vcc, s33, v25
	v_mov_b32_e32 v24, 0
	s_and_saveexec_b64 s[6:7], vcc
	s_cbranch_execz .LBB2204_35
; %bb.34:
	v_lshlrev_b32_e32 v24, 3, v25
	global_load_dwordx2 v[24:25], v24, s[4:5]
	s_waitcnt vmcnt(0)
	v_xor_b32_e32 v24, -1, v24
	v_and_b32_e32 v24, 1, v24
.LBB2204_35:
	s_or_b64 exec, exec, s[6:7]
	ds_write_b8 v0, v19
	ds_write_b8 v0, v17 offset:512
	ds_write_b8 v0, v21 offset:1024
	;; [unrolled: 1-line block ×6, first 2 shown]
	s_waitcnt lgkmcnt(0)
	s_barrier
.LBB2204_36:
	s_movk_i32 s3, 0xffcf
	v_mad_i32_i24 v35, v0, s3, v16
	s_waitcnt lgkmcnt(0)
	ds_read_u8 v16, v35
	ds_read_u8 v17, v35 offset:1
	ds_read_u8 v19, v35 offset:2
	;; [unrolled: 1-line block ×6, first 2 shown]
	s_waitcnt lgkmcnt(6)
	v_and_b32_e32 v33, 1, v16
	s_waitcnt lgkmcnt(5)
	v_and_b32_e32 v32, 1, v17
	;; [unrolled: 2-line block ×5, first 2 shown]
	v_add3_u32 v16, v32, v33, v31
	s_waitcnt lgkmcnt(1)
	v_and_b32_e32 v28, 1, v22
	s_waitcnt lgkmcnt(0)
	v_and_b32_e32 v19, 1, v23
	v_add3_u32 v16, v16, v30, v29
	v_add3_u32 v37, v16, v28, v19
	v_mbcnt_lo_u32_b32 v16, -1, 0
	v_mbcnt_hi_u32_b32 v34, -1, v16
	v_and_b32_e32 v16, 15, v34
	v_cmp_eq_u32_e64 s[14:15], 0, v16
	v_cmp_lt_u32_e64 s[12:13], 1, v16
	v_cmp_lt_u32_e64 s[10:11], 3, v16
	;; [unrolled: 1-line block ×3, first 2 shown]
	v_and_b32_e32 v16, 16, v34
	v_cmp_eq_u32_e64 s[6:7], 0, v16
	v_or_b32_e32 v16, 63, v0
	s_cmp_lg_u32 s2, 0
	v_cmp_lt_u32_e64 s[18:19], 31, v34
	v_lshrrev_b32_e32 v36, 6, v0
	v_cmp_eq_u32_e64 s[4:5], v16, v0
	s_barrier
	s_cbranch_scc0 .LBB2204_63
; %bb.37:
	v_mov_b32_dpp v16, v37 row_shr:1 row_mask:0xf bank_mask:0xf
	v_cndmask_b32_e64 v16, v16, 0, s[14:15]
	v_add_u32_e32 v16, v16, v37
	s_nop 1
	v_mov_b32_dpp v17, v16 row_shr:2 row_mask:0xf bank_mask:0xf
	v_cndmask_b32_e64 v17, 0, v17, s[12:13]
	v_add_u32_e32 v16, v16, v17
	s_nop 1
	;; [unrolled: 4-line block ×4, first 2 shown]
	v_mov_b32_dpp v17, v16 row_bcast:15 row_mask:0xf bank_mask:0xf
	v_cndmask_b32_e64 v17, v17, 0, s[6:7]
	v_add_u32_e32 v16, v16, v17
	s_nop 1
	v_mov_b32_dpp v17, v16 row_bcast:31 row_mask:0xf bank_mask:0xf
	v_cndmask_b32_e64 v17, 0, v17, s[18:19]
	v_add_u32_e32 v16, v16, v17
	s_and_saveexec_b64 s[16:17], s[4:5]
	s_cbranch_execz .LBB2204_39
; %bb.38:
	v_lshlrev_b32_e32 v17, 2, v36
	ds_write_b32 v17, v16
.LBB2204_39:
	s_or_b64 exec, exec, s[16:17]
	v_cmp_gt_u32_e32 vcc, 8, v0
	s_waitcnt lgkmcnt(0)
	s_barrier
	s_and_saveexec_b64 s[16:17], vcc
	s_cbranch_execz .LBB2204_41
; %bb.40:
	v_lshlrev_b32_e32 v17, 2, v0
	ds_read_b32 v20, v17
	v_and_b32_e32 v21, 7, v34
	v_cmp_ne_u32_e32 vcc, 0, v21
	s_waitcnt lgkmcnt(0)
	v_mov_b32_dpp v22, v20 row_shr:1 row_mask:0xf bank_mask:0xf
	v_cndmask_b32_e32 v22, 0, v22, vcc
	v_add_u32_e32 v20, v22, v20
	v_cmp_lt_u32_e32 vcc, 1, v21
	s_nop 0
	v_mov_b32_dpp v22, v20 row_shr:2 row_mask:0xf bank_mask:0xf
	v_cndmask_b32_e32 v22, 0, v22, vcc
	v_add_u32_e32 v20, v20, v22
	v_cmp_lt_u32_e32 vcc, 3, v21
	s_nop 0
	v_mov_b32_dpp v22, v20 row_shr:4 row_mask:0xf bank_mask:0xf
	v_cndmask_b32_e32 v21, 0, v22, vcc
	v_add_u32_e32 v20, v20, v21
	ds_write_b32 v17, v20
.LBB2204_41:
	s_or_b64 exec, exec, s[16:17]
	v_cmp_gt_u32_e32 vcc, 64, v0
	v_cmp_lt_u32_e64 s[16:17], 63, v0
	s_waitcnt lgkmcnt(0)
	s_barrier
	s_waitcnt lgkmcnt(0)
                                        ; implicit-def: $vgpr38
	s_and_saveexec_b64 s[36:37], s[16:17]
	s_cbranch_execz .LBB2204_43
; %bb.42:
	v_lshl_add_u32 v17, v36, 2, -4
	ds_read_b32 v38, v17
	s_waitcnt lgkmcnt(0)
	v_add_u32_e32 v16, v38, v16
.LBB2204_43:
	s_or_b64 exec, exec, s[36:37]
	v_add_u32_e32 v17, -1, v34
	v_and_b32_e32 v20, 64, v34
	v_cmp_lt_i32_e64 s[16:17], v17, v20
	s_nop 1
	v_cndmask_b32_e64 v17, v17, v34, s[16:17]
	v_lshlrev_b32_e32 v17, 2, v17
	ds_bpermute_b32 v39, v17, v16
	v_cmp_eq_u32_e64 s[16:17], 0, v34
	s_and_saveexec_b64 s[36:37], vcc
	s_cbranch_execz .LBB2204_62
; %bb.44:
	v_mov_b32_e32 v25, 0
	ds_read_b32 v16, v25 offset:28
	s_and_saveexec_b64 s[38:39], s[16:17]
	s_cbranch_execz .LBB2204_46
; %bb.45:
	s_add_i32 s40, s2, 64
	s_mov_b32 s41, 0
	s_lshl_b64 s[40:41], s[40:41], 3
	s_add_u32 s40, s34, s40
	v_mov_b32_e32 v17, 1
	s_addc_u32 s41, s35, s41
	s_waitcnt lgkmcnt(0)
	global_store_dwordx2 v25, v[16:17], s[40:41] sc1
.LBB2204_46:
	s_or_b64 exec, exec, s[38:39]
	v_xad_u32 v20, v34, -1, s2
	v_add_u32_e32 v24, 64, v20
	v_lshl_add_u64 v[26:27], v[24:25], 3, s[34:35]
	global_load_dwordx2 v[22:23], v[26:27], off sc1
	s_waitcnt vmcnt(0)
	v_cmp_eq_u16_sdwa s[40:41], v23, v25 src0_sel:BYTE_0 src1_sel:DWORD
	s_and_saveexec_b64 s[38:39], s[40:41]
	s_cbranch_execz .LBB2204_50
; %bb.47:
	s_mov_b64 s[40:41], 0
	v_mov_b32_e32 v17, 0
.LBB2204_48:                            ; =>This Inner Loop Header: Depth=1
	global_load_dwordx2 v[22:23], v[26:27], off sc1
	s_waitcnt vmcnt(0)
	v_cmp_ne_u16_sdwa s[42:43], v23, v17 src0_sel:BYTE_0 src1_sel:DWORD
	s_or_b64 s[40:41], s[42:43], s[40:41]
	s_andn2_b64 exec, exec, s[40:41]
	s_cbranch_execnz .LBB2204_48
; %bb.49:
	s_or_b64 exec, exec, s[40:41]
.LBB2204_50:
	s_or_b64 exec, exec, s[38:39]
	v_and_b32_e32 v41, 63, v34
	v_mov_b32_e32 v40, 2
	v_cmp_ne_u32_e32 vcc, 63, v41
	v_cmp_eq_u16_sdwa s[38:39], v23, v40 src0_sel:BYTE_0 src1_sel:DWORD
	v_lshlrev_b64 v[24:25], v34, -1
	v_addc_co_u32_e32 v26, vcc, 0, v34, vcc
	v_and_b32_e32 v17, s39, v25
	v_lshlrev_b32_e32 v42, 2, v26
	v_or_b32_e32 v17, 0x80000000, v17
	ds_bpermute_b32 v26, v42, v22
	v_and_b32_e32 v21, s38, v24
	v_ffbl_b32_e32 v17, v17
	v_add_u32_e32 v17, 32, v17
	v_ffbl_b32_e32 v21, v21
	v_min_u32_e32 v17, v21, v17
	v_cmp_lt_u32_e32 vcc, v41, v17
	v_add_u32_e32 v44, 2, v41
	v_add_u32_e32 v46, 4, v41
	s_waitcnt lgkmcnt(0)
	v_cndmask_b32_e32 v21, 0, v26, vcc
	v_cmp_gt_u32_e32 vcc, 62, v41
	v_add_u32_e32 v21, v21, v22
	v_add_u32_e32 v48, 8, v41
	v_cndmask_b32_e64 v22, 0, 1, vcc
	v_lshlrev_b32_e32 v22, 1, v22
	v_add_lshl_u32 v43, v22, v34, 2
	ds_bpermute_b32 v22, v43, v21
	v_cmp_le_u32_e32 vcc, v44, v17
	v_add_u32_e32 v50, 16, v41
	v_add_u32_e32 v52, 32, v41
	s_waitcnt lgkmcnt(0)
	v_cndmask_b32_e32 v22, 0, v22, vcc
	v_cmp_gt_u32_e32 vcc, 60, v41
	v_add_u32_e32 v21, v21, v22
	s_nop 0
	v_cndmask_b32_e64 v22, 0, 1, vcc
	v_lshlrev_b32_e32 v22, 2, v22
	v_add_lshl_u32 v45, v22, v34, 2
	ds_bpermute_b32 v22, v45, v21
	v_cmp_le_u32_e32 vcc, v46, v17
	s_waitcnt lgkmcnt(0)
	s_nop 0
	v_cndmask_b32_e32 v22, 0, v22, vcc
	v_cmp_gt_u32_e32 vcc, 56, v41
	v_add_u32_e32 v21, v21, v22
	s_nop 0
	v_cndmask_b32_e64 v22, 0, 1, vcc
	v_lshlrev_b32_e32 v22, 3, v22
	v_add_lshl_u32 v47, v22, v34, 2
	ds_bpermute_b32 v22, v47, v21
	v_cmp_le_u32_e32 vcc, v48, v17
	s_waitcnt lgkmcnt(0)
	s_nop 0
	;; [unrolled: 11-line block ×4, first 2 shown]
	v_cndmask_b32_e32 v17, 0, v22, vcc
	v_add_u32_e32 v22, v21, v17
	v_mov_b32_e32 v21, 0
	s_branch .LBB2204_52
.LBB2204_51:                            ;   in Loop: Header=BB2204_52 Depth=1
	s_or_b64 exec, exec, s[38:39]
	v_cmp_eq_u16_sdwa s[38:39], v23, v40 src0_sel:BYTE_0 src1_sel:DWORD
	ds_bpermute_b32 v53, v42, v22
	v_subrev_u32_e32 v20, 64, v20
	v_and_b32_e32 v26, s39, v25
	v_or_b32_e32 v26, 0x80000000, v26
	v_and_b32_e32 v27, s38, v24
	v_ffbl_b32_e32 v26, v26
	v_add_u32_e32 v26, 32, v26
	v_ffbl_b32_e32 v27, v27
	v_min_u32_e32 v26, v27, v26
	v_cmp_lt_u32_e32 vcc, v41, v26
	s_waitcnt lgkmcnt(0)
	s_nop 0
	v_cndmask_b32_e32 v27, 0, v53, vcc
	v_add_u32_e32 v22, v27, v22
	ds_bpermute_b32 v27, v43, v22
	v_cmp_le_u32_e32 vcc, v44, v26
	s_waitcnt lgkmcnt(0)
	s_nop 0
	v_cndmask_b32_e32 v27, 0, v27, vcc
	v_add_u32_e32 v22, v22, v27
	ds_bpermute_b32 v27, v45, v22
	v_cmp_le_u32_e32 vcc, v46, v26
	;; [unrolled: 6-line block ×5, first 2 shown]
	s_waitcnt lgkmcnt(0)
	s_nop 0
	v_cndmask_b32_e32 v26, 0, v27, vcc
	v_add3_u32 v22, v26, v17, v22
.LBB2204_52:                            ; =>This Loop Header: Depth=1
                                        ;     Child Loop BB2204_55 Depth 2
	v_cmp_ne_u16_sdwa s[38:39], v23, v40 src0_sel:BYTE_0 src1_sel:DWORD
	s_nop 1
	v_cndmask_b32_e64 v17, 0, 1, s[38:39]
	;;#ASMSTART
	;;#ASMEND
	s_nop 0
	v_cmp_ne_u32_e32 vcc, 0, v17
	s_cmp_lg_u64 vcc, exec
	v_mov_b32_e32 v17, v22
	s_cbranch_scc1 .LBB2204_57
; %bb.53:                               ;   in Loop: Header=BB2204_52 Depth=1
	v_lshl_add_u64 v[26:27], v[20:21], 3, s[34:35]
	global_load_dwordx2 v[22:23], v[26:27], off sc1
	s_waitcnt vmcnt(0)
	v_cmp_eq_u16_sdwa s[40:41], v23, v21 src0_sel:BYTE_0 src1_sel:DWORD
	s_and_saveexec_b64 s[38:39], s[40:41]
	s_cbranch_execz .LBB2204_51
; %bb.54:                               ;   in Loop: Header=BB2204_52 Depth=1
	s_mov_b64 s[40:41], 0
.LBB2204_55:                            ;   Parent Loop BB2204_52 Depth=1
                                        ; =>  This Inner Loop Header: Depth=2
	global_load_dwordx2 v[22:23], v[26:27], off sc1
	s_waitcnt vmcnt(0)
	v_cmp_ne_u16_sdwa s[42:43], v23, v21 src0_sel:BYTE_0 src1_sel:DWORD
	s_or_b64 s[40:41], s[42:43], s[40:41]
	s_andn2_b64 exec, exec, s[40:41]
	s_cbranch_execnz .LBB2204_55
; %bb.56:                               ;   in Loop: Header=BB2204_52 Depth=1
	s_or_b64 exec, exec, s[40:41]
	s_branch .LBB2204_51
.LBB2204_57:                            ;   in Loop: Header=BB2204_52 Depth=1
                                        ; implicit-def: $vgpr22
                                        ; implicit-def: $vgpr23
	s_cbranch_execz .LBB2204_52
; %bb.58:
	s_and_saveexec_b64 s[38:39], s[16:17]
	s_cbranch_execz .LBB2204_60
; %bb.59:
	s_add_i32 s2, s2, 64
	s_mov_b32 s3, 0
	s_lshl_b64 s[2:3], s[2:3], 3
	s_add_u32 s2, s34, s2
	v_add_u32_e32 v20, v17, v16
	v_mov_b32_e32 v21, 2
	s_addc_u32 s3, s35, s3
	v_mov_b32_e32 v22, 0
	global_store_dwordx2 v22, v[20:21], s[2:3] sc1
	ds_write_b64 v22, v[16:17] offset:28672
.LBB2204_60:
	s_or_b64 exec, exec, s[38:39]
	v_cmp_eq_u32_e32 vcc, 0, v0
	s_and_b64 exec, exec, vcc
	s_cbranch_execz .LBB2204_62
; %bb.61:
	v_mov_b32_e32 v16, 0
	ds_write_b32 v16, v17 offset:28
.LBB2204_62:
	s_or_b64 exec, exec, s[36:37]
	v_mov_b32_e32 v16, 0
	s_waitcnt lgkmcnt(0)
	s_barrier
	ds_read_b32 v17, v16 offset:28
	v_cndmask_b32_e64 v20, v39, v38, s[16:17]
	v_cmp_ne_u32_e32 vcc, 0, v0
	s_waitcnt lgkmcnt(0)
	s_barrier
	v_cndmask_b32_e32 v20, 0, v20, vcc
	v_add_u32_e32 v27, v17, v20
	v_add_u32_e32 v26, v27, v33
	ds_read_b64 v[16:17], v16 offset:28672
	v_add_u32_e32 v25, v26, v32
	v_add_u32_e32 v23, v25, v31
	;; [unrolled: 1-line block ×5, first 2 shown]
	s_waitcnt lgkmcnt(0)
	v_mov_b32_e32 v20, v17
	s_branch .LBB2204_73
.LBB2204_63:
                                        ; implicit-def: $vgpr20
                                        ; implicit-def: $vgpr16
                                        ; implicit-def: $vgpr21
                                        ; implicit-def: $vgpr22
                                        ; implicit-def: $vgpr24
                                        ; implicit-def: $vgpr23
                                        ; implicit-def: $vgpr25
                                        ; implicit-def: $vgpr26
                                        ; implicit-def: $vgpr27
	s_cbranch_execz .LBB2204_73
; %bb.64:
	s_nop 0
	v_mov_b32_dpp v16, v37 row_shr:1 row_mask:0xf bank_mask:0xf
	v_cndmask_b32_e64 v16, v16, 0, s[14:15]
	v_add_u32_e32 v16, v16, v37
	s_nop 1
	v_mov_b32_dpp v17, v16 row_shr:2 row_mask:0xf bank_mask:0xf
	v_cndmask_b32_e64 v17, 0, v17, s[12:13]
	v_add_u32_e32 v16, v16, v17
	s_nop 1
	v_mov_b32_dpp v17, v16 row_shr:4 row_mask:0xf bank_mask:0xf
	v_cndmask_b32_e64 v17, 0, v17, s[10:11]
	v_add_u32_e32 v16, v16, v17
	s_nop 1
	v_mov_b32_dpp v17, v16 row_shr:8 row_mask:0xf bank_mask:0xf
	v_cndmask_b32_e64 v17, 0, v17, s[8:9]
	v_add_u32_e32 v16, v16, v17
	s_nop 1
	v_mov_b32_dpp v17, v16 row_bcast:15 row_mask:0xf bank_mask:0xf
	v_cndmask_b32_e64 v17, v17, 0, s[6:7]
	v_add_u32_e32 v16, v16, v17
	s_nop 1
	v_mov_b32_dpp v17, v16 row_bcast:31 row_mask:0xf bank_mask:0xf
	v_cndmask_b32_e64 v17, 0, v17, s[18:19]
	v_add_u32_e32 v16, v16, v17
	s_and_saveexec_b64 s[2:3], s[4:5]
	s_cbranch_execz .LBB2204_66
; %bb.65:
	v_lshlrev_b32_e32 v17, 2, v36
	ds_write_b32 v17, v16
.LBB2204_66:
	s_or_b64 exec, exec, s[2:3]
	v_cmp_gt_u32_e32 vcc, 8, v0
	s_waitcnt lgkmcnt(0)
	s_barrier
	s_and_saveexec_b64 s[2:3], vcc
	s_cbranch_execz .LBB2204_68
; %bb.67:
	v_mad_i32_i24 v17, v0, -3, v35
	ds_read_b32 v20, v17
	v_and_b32_e32 v21, 7, v34
	v_cmp_ne_u32_e32 vcc, 0, v21
	s_waitcnt lgkmcnt(0)
	v_mov_b32_dpp v22, v20 row_shr:1 row_mask:0xf bank_mask:0xf
	v_cndmask_b32_e32 v22, 0, v22, vcc
	v_add_u32_e32 v20, v22, v20
	v_cmp_lt_u32_e32 vcc, 1, v21
	s_nop 0
	v_mov_b32_dpp v22, v20 row_shr:2 row_mask:0xf bank_mask:0xf
	v_cndmask_b32_e32 v22, 0, v22, vcc
	v_add_u32_e32 v20, v20, v22
	v_cmp_lt_u32_e32 vcc, 3, v21
	s_nop 0
	v_mov_b32_dpp v22, v20 row_shr:4 row_mask:0xf bank_mask:0xf
	v_cndmask_b32_e32 v21, 0, v22, vcc
	v_add_u32_e32 v20, v20, v21
	ds_write_b32 v17, v20
.LBB2204_68:
	s_or_b64 exec, exec, s[2:3]
	v_cmp_lt_u32_e32 vcc, 63, v0
	v_mov_b32_e32 v17, 0
	v_mov_b32_e32 v20, 0
	s_waitcnt lgkmcnt(0)
	s_barrier
	s_and_saveexec_b64 s[2:3], vcc
	s_cbranch_execz .LBB2204_70
; %bb.69:
	v_lshl_add_u32 v20, v36, 2, -4
	ds_read_b32 v20, v20
.LBB2204_70:
	s_or_b64 exec, exec, s[2:3]
	v_add_u32_e32 v21, -1, v34
	v_and_b32_e32 v22, 64, v34
	v_cmp_lt_i32_e32 vcc, v21, v22
	s_waitcnt lgkmcnt(0)
	v_add_u32_e32 v16, v20, v16
	v_cndmask_b32_e32 v21, v21, v34, vcc
	v_lshlrev_b32_e32 v21, 2, v21
	ds_bpermute_b32 v21, v21, v16
	ds_read_b32 v16, v17 offset:28
	v_cmp_eq_u32_e32 vcc, 0, v0
	s_and_saveexec_b64 s[2:3], vcc
	s_cbranch_execz .LBB2204_72
; %bb.71:
	v_mov_b32_e32 v22, 0
	v_mov_b32_e32 v17, 2
	s_waitcnt lgkmcnt(0)
	global_store_dwordx2 v22, v[16:17], s[34:35] offset:512 sc1
.LBB2204_72:
	s_or_b64 exec, exec, s[2:3]
	v_cmp_eq_u32_e64 s[2:3], 0, v34
	s_waitcnt lgkmcnt(0)
	s_barrier
	v_cndmask_b32_e64 v17, v21, v20, s[2:3]
	v_cndmask_b32_e64 v27, v17, 0, vcc
	v_add_u32_e32 v26, v27, v33
	v_add_u32_e32 v25, v26, v32
	;; [unrolled: 1-line block ×5, first 2 shown]
	v_mov_b32_e32 v20, 0
	v_add_u32_e32 v21, v22, v28
.LBB2204_73:
	v_add_u32_e32 v1, v16, v1
	v_sub_u32_e32 v17, v27, v20
	v_sub_u32_e32 v27, v1, v17
	v_cmp_eq_u32_e32 vcc, 1, v33
	s_load_dwordx4 s[0:3], s[0:1], 0x30
	s_nop 0
	v_cndmask_b32_e32 v17, v27, v17, vcc
	v_lshlrev_b32_e32 v17, 3, v17
	ds_write_b64 v17, v[10:11]
	v_sub_u32_e32 v10, v26, v20
	v_sub_u32_e32 v11, v1, v10
	v_add_u32_e32 v11, 1, v11
	v_cmp_eq_u32_e32 vcc, 1, v32
	v_or_b32_e32 v32, 0x200, v0
	s_nop 0
	v_cndmask_b32_e32 v10, v11, v10, vcc
	v_lshlrev_b32_e32 v10, 3, v10
	ds_write_b64 v10, v[12:13]
	v_sub_u32_e32 v10, v25, v20
	v_sub_u32_e32 v11, v1, v10
	v_add_u32_e32 v11, 2, v11
	v_cmp_eq_u32_e32 vcc, 1, v31
	v_or_b32_e32 v31, 0x400, v0
	;; [unrolled: 9-line block ×5, first 2 shown]
	s_nop 0
	v_cndmask_b32_e32 v2, v3, v2, vcc
	v_lshlrev_b32_e32 v2, 3, v2
	ds_write_b64 v2, v[4:5]
	v_sub_u32_e32 v2, v21, v20
	v_sub_u32_e32 v1, v1, v2
	v_add_u32_e32 v1, 6, v1
	v_cmp_eq_u32_e32 vcc, 1, v19
	v_mov_b32_e32 v21, 0
	v_lshl_add_u64 v[26:27], s[28:29], 0, v[20:21]
	v_cndmask_b32_e32 v1, v1, v2, vcc
	v_lshlrev_b32_e32 v1, 3, v1
	v_mov_b32_e32 v17, v21
	ds_write_b64 v1, v[14:15]
	v_lshl_add_u64 v[14:15], v[26:27], 0, v[16:17]
	s_waitcnt lgkmcnt(0)
	s_barrier
	ds_read2st64_b64 v[10:13], v18 offset1:8
	ds_read2st64_b64 v[6:9], v18 offset0:16 offset1:24
	ds_read2st64_b64 v[2:5], v18 offset0:32 offset1:40
	ds_read_b64 v[22:23], v18 offset:24576
	v_mov_b32_e32 v17, s27
	v_sub_co_u32_e32 v24, vcc, s26, v14
	v_lshlrev_b64 v[26:27], 3, v[26:27]
	s_nop 0
	v_subb_co_u32_e32 v25, vcc, v17, v15, vcc
	v_lshlrev_b64 v[24:25], 3, v[24:25]
	v_lshl_add_u64 v[24:25], s[2:3], 0, v[24:25]
	v_or_b32_e32 v1, 0xc00, v0
	v_lshl_add_u64 v[24:25], v[24:25], 0, s[30:31]
	s_andn2_b64 vcc, exec, s[24:25]
	v_lshl_add_u64 v[26:27], s[0:1], 0, v[26:27]
	s_cbranch_vccnz .LBB2204_75
; %bb.74:
	v_cmp_lt_u32_e32 vcc, v0, v16
	v_mov_b32_e32 v19, v21
	v_lshlrev_b32_e32 v20, 3, v32
	v_cndmask_b32_e32 v35, v25, v27, vcc
	v_cndmask_b32_e32 v34, v24, v26, vcc
	v_lshl_add_u64 v[34:35], v[34:35], 0, v[18:19]
	v_cmp_lt_u32_e32 vcc, v32, v16
	s_waitcnt lgkmcnt(3)
	global_store_dwordx2 v[34:35], v[10:11], off
	v_cndmask_b32_e32 v35, v25, v27, vcc
	v_cndmask_b32_e32 v34, v24, v26, vcc
	v_lshl_add_u64 v[34:35], v[34:35], 0, v[20:21]
	v_cmp_lt_u32_e32 vcc, v31, v16
	global_store_dwordx2 v[34:35], v[12:13], off
	v_lshlrev_b32_e32 v20, 3, v31
	v_cndmask_b32_e32 v35, v25, v27, vcc
	v_cndmask_b32_e32 v34, v24, v26, vcc
	v_lshl_add_u64 v[34:35], v[34:35], 0, v[20:21]
	v_cmp_lt_u32_e32 vcc, v30, v16
	s_waitcnt lgkmcnt(2)
	global_store_dwordx2 v[34:35], v[6:7], off
	v_lshlrev_b32_e32 v20, 3, v30
	v_cndmask_b32_e32 v35, v25, v27, vcc
	v_cndmask_b32_e32 v34, v24, v26, vcc
	v_lshl_add_u64 v[34:35], v[34:35], 0, v[20:21]
	v_cmp_lt_u32_e32 vcc, v29, v16
	global_store_dwordx2 v[34:35], v[8:9], off
	v_lshlrev_b32_e32 v20, 3, v29
	v_cndmask_b32_e32 v35, v25, v27, vcc
	v_cndmask_b32_e32 v34, v24, v26, vcc
	v_lshl_add_u64 v[34:35], v[34:35], 0, v[20:21]
	v_cmp_lt_u32_e32 vcc, v28, v16
	s_waitcnt lgkmcnt(1)
	global_store_dwordx2 v[34:35], v[2:3], off
	v_lshlrev_b32_e32 v20, 3, v28
	v_cndmask_b32_e32 v35, v25, v27, vcc
	v_cndmask_b32_e32 v34, v24, v26, vcc
	v_lshl_add_u64 v[20:21], v[34:35], 0, v[20:21]
	s_mov_b64 s[0:1], -1
	global_store_dwordx2 v[20:21], v[4:5], off
	s_cbranch_execz .LBB2204_76
	s_branch .LBB2204_84
.LBB2204_75:
	s_mov_b64 s[0:1], 0
.LBB2204_76:
	v_cmp_gt_u32_e32 vcc, s33, v0
	s_and_saveexec_b64 s[0:1], vcc
	s_cbranch_execnz .LBB2204_89
; %bb.77:
	s_or_b64 exec, exec, s[0:1]
	v_cmp_gt_u32_e32 vcc, s33, v32
	s_and_saveexec_b64 s[0:1], vcc
	s_cbranch_execnz .LBB2204_90
.LBB2204_78:
	s_or_b64 exec, exec, s[0:1]
	v_cmp_gt_u32_e32 vcc, s33, v31
	s_and_saveexec_b64 s[0:1], vcc
	s_cbranch_execnz .LBB2204_91
.LBB2204_79:
	s_or_b64 exec, exec, s[0:1]
	v_cmp_gt_u32_e32 vcc, s33, v30
	s_and_saveexec_b64 s[0:1], vcc
	s_cbranch_execnz .LBB2204_92
.LBB2204_80:
	s_or_b64 exec, exec, s[0:1]
	v_cmp_gt_u32_e32 vcc, s33, v29
	s_and_saveexec_b64 s[0:1], vcc
	s_cbranch_execnz .LBB2204_93
.LBB2204_81:
	s_or_b64 exec, exec, s[0:1]
	v_cmp_gt_u32_e32 vcc, s33, v28
	s_and_saveexec_b64 s[0:1], vcc
	s_cbranch_execz .LBB2204_83
.LBB2204_82:
	v_cmp_lt_u32_e32 vcc, v28, v16
	s_waitcnt lgkmcnt(2)
	v_lshlrev_b32_e32 v6, 3, v28
	v_mov_b32_e32 v7, 0
	s_waitcnt lgkmcnt(1)
	v_cndmask_b32_e32 v3, v25, v27, vcc
	v_cndmask_b32_e32 v2, v24, v26, vcc
	v_lshl_add_u64 v[2:3], v[2:3], 0, v[6:7]
	global_store_dwordx2 v[2:3], v[4:5], off
.LBB2204_83:
	s_or_b64 exec, exec, s[0:1]
	v_cmp_gt_u32_e64 s[0:1], s33, v1
.LBB2204_84:
	s_and_saveexec_b64 s[2:3], s[0:1]
	s_cbranch_execz .LBB2204_86
; %bb.85:
	v_cmp_lt_u32_e32 vcc, v1, v16
	s_waitcnt lgkmcnt(1)
	v_lshlrev_b32_e32 v4, 3, v1
	v_mov_b32_e32 v5, 0
	v_cndmask_b32_e32 v3, v25, v27, vcc
	v_cndmask_b32_e32 v2, v24, v26, vcc
	v_lshl_add_u64 v[2:3], v[2:3], 0, v[4:5]
	s_waitcnt lgkmcnt(0)
	global_store_dwordx2 v[2:3], v[22:23], off
.LBB2204_86:
	s_or_b64 exec, exec, s[2:3]
	v_cmp_eq_u32_e32 vcc, 0, v0
	s_and_b64 s[0:1], vcc, s[22:23]
	s_and_saveexec_b64 s[2:3], s[0:1]
	s_cbranch_execz .LBB2204_88
; %bb.87:
	v_mov_b32_e32 v0, 0
	global_store_dwordx2 v0, v[14:15], s[20:21]
.LBB2204_88:
	s_endpgm
.LBB2204_89:
	v_cmp_lt_u32_e32 vcc, v0, v16
	v_mov_b32_e32 v19, 0
	s_nop 0
	v_cndmask_b32_e32 v21, v25, v27, vcc
	v_cndmask_b32_e32 v20, v24, v26, vcc
	v_lshl_add_u64 v[18:19], v[20:21], 0, v[18:19]
	s_waitcnt lgkmcnt(3)
	global_store_dwordx2 v[18:19], v[10:11], off
	s_or_b64 exec, exec, s[0:1]
	v_cmp_gt_u32_e32 vcc, s33, v32
	s_and_saveexec_b64 s[0:1], vcc
	s_cbranch_execz .LBB2204_78
.LBB2204_90:
	v_cmp_lt_u32_e32 vcc, v32, v16
	v_lshlrev_b32_e32 v18, 3, v32
	v_mov_b32_e32 v19, 0
	s_waitcnt lgkmcnt(3)
	v_cndmask_b32_e32 v11, v25, v27, vcc
	v_cndmask_b32_e32 v10, v24, v26, vcc
	v_lshl_add_u64 v[10:11], v[10:11], 0, v[18:19]
	global_store_dwordx2 v[10:11], v[12:13], off
	s_or_b64 exec, exec, s[0:1]
	v_cmp_gt_u32_e32 vcc, s33, v31
	s_and_saveexec_b64 s[0:1], vcc
	s_cbranch_execz .LBB2204_79
.LBB2204_91:
	v_cmp_lt_u32_e32 vcc, v31, v16
	s_waitcnt lgkmcnt(3)
	v_lshlrev_b32_e32 v12, 3, v31
	v_mov_b32_e32 v13, 0
	v_cndmask_b32_e32 v11, v25, v27, vcc
	v_cndmask_b32_e32 v10, v24, v26, vcc
	v_lshl_add_u64 v[10:11], v[10:11], 0, v[12:13]
	s_waitcnt lgkmcnt(2)
	global_store_dwordx2 v[10:11], v[6:7], off
	s_or_b64 exec, exec, s[0:1]
	v_cmp_gt_u32_e32 vcc, s33, v30
	s_and_saveexec_b64 s[0:1], vcc
	s_cbranch_execz .LBB2204_80
.LBB2204_92:
	v_cmp_lt_u32_e32 vcc, v30, v16
	s_waitcnt lgkmcnt(3)
	v_lshlrev_b32_e32 v10, 3, v30
	v_mov_b32_e32 v11, 0
	s_waitcnt lgkmcnt(2)
	v_cndmask_b32_e32 v7, v25, v27, vcc
	v_cndmask_b32_e32 v6, v24, v26, vcc
	v_lshl_add_u64 v[6:7], v[6:7], 0, v[10:11]
	global_store_dwordx2 v[6:7], v[8:9], off
	s_or_b64 exec, exec, s[0:1]
	v_cmp_gt_u32_e32 vcc, s33, v29
	s_and_saveexec_b64 s[0:1], vcc
	s_cbranch_execz .LBB2204_81
.LBB2204_93:
	v_cmp_lt_u32_e32 vcc, v29, v16
	s_waitcnt lgkmcnt(2)
	v_lshlrev_b32_e32 v8, 3, v29
	v_mov_b32_e32 v9, 0
	v_cndmask_b32_e32 v7, v25, v27, vcc
	v_cndmask_b32_e32 v6, v24, v26, vcc
	v_lshl_add_u64 v[6:7], v[6:7], 0, v[8:9]
	s_waitcnt lgkmcnt(1)
	global_store_dwordx2 v[6:7], v[2:3], off
	s_or_b64 exec, exec, s[0:1]
	v_cmp_gt_u32_e32 vcc, s33, v28
	s_and_saveexec_b64 s[0:1], vcc
	s_cbranch_execnz .LBB2204_82
	s_branch .LBB2204_83
	.section	.rodata,"a",@progbits
	.p2align	6, 0x0
	.amdhsa_kernel _ZN7rocprim17ROCPRIM_400000_NS6detail17trampoline_kernelINS0_14default_configENS1_25partition_config_selectorILNS1_17partition_subalgoE1EyNS0_10empty_typeEbEEZZNS1_14partition_implILS5_1ELb0ES3_jN6thrust23THRUST_200600_302600_NS6detail15normal_iteratorINSA_10device_ptrIyEEEEPS6_NSA_18transform_iteratorI7is_evenIyESF_NSA_11use_defaultESK_EENS0_5tupleIJSF_SF_EEENSM_IJSG_SG_EEES6_PlJS6_EEE10hipError_tPvRmT3_T4_T5_T6_T7_T9_mT8_P12ihipStream_tbDpT10_ENKUlT_T0_E_clISt17integral_constantIbLb0EES19_EEDaS14_S15_EUlS14_E_NS1_11comp_targetILNS1_3genE5ELNS1_11target_archE942ELNS1_3gpuE9ELNS1_3repE0EEENS1_30default_config_static_selectorELNS0_4arch9wavefront6targetE1EEEvT1_
		.amdhsa_group_segment_fixed_size 28680
		.amdhsa_private_segment_fixed_size 0
		.amdhsa_kernarg_size 128
		.amdhsa_user_sgpr_count 2
		.amdhsa_user_sgpr_dispatch_ptr 0
		.amdhsa_user_sgpr_queue_ptr 0
		.amdhsa_user_sgpr_kernarg_segment_ptr 1
		.amdhsa_user_sgpr_dispatch_id 0
		.amdhsa_user_sgpr_kernarg_preload_length 0
		.amdhsa_user_sgpr_kernarg_preload_offset 0
		.amdhsa_user_sgpr_private_segment_size 0
		.amdhsa_uses_dynamic_stack 0
		.amdhsa_enable_private_segment 0
		.amdhsa_system_sgpr_workgroup_id_x 1
		.amdhsa_system_sgpr_workgroup_id_y 0
		.amdhsa_system_sgpr_workgroup_id_z 0
		.amdhsa_system_sgpr_workgroup_info 0
		.amdhsa_system_vgpr_workitem_id 0
		.amdhsa_next_free_vgpr 54
		.amdhsa_next_free_sgpr 44
		.amdhsa_accum_offset 56
		.amdhsa_reserve_vcc 1
		.amdhsa_float_round_mode_32 0
		.amdhsa_float_round_mode_16_64 0
		.amdhsa_float_denorm_mode_32 3
		.amdhsa_float_denorm_mode_16_64 3
		.amdhsa_dx10_clamp 1
		.amdhsa_ieee_mode 1
		.amdhsa_fp16_overflow 0
		.amdhsa_tg_split 0
		.amdhsa_exception_fp_ieee_invalid_op 0
		.amdhsa_exception_fp_denorm_src 0
		.amdhsa_exception_fp_ieee_div_zero 0
		.amdhsa_exception_fp_ieee_overflow 0
		.amdhsa_exception_fp_ieee_underflow 0
		.amdhsa_exception_fp_ieee_inexact 0
		.amdhsa_exception_int_div_zero 0
	.end_amdhsa_kernel
	.section	.text._ZN7rocprim17ROCPRIM_400000_NS6detail17trampoline_kernelINS0_14default_configENS1_25partition_config_selectorILNS1_17partition_subalgoE1EyNS0_10empty_typeEbEEZZNS1_14partition_implILS5_1ELb0ES3_jN6thrust23THRUST_200600_302600_NS6detail15normal_iteratorINSA_10device_ptrIyEEEEPS6_NSA_18transform_iteratorI7is_evenIyESF_NSA_11use_defaultESK_EENS0_5tupleIJSF_SF_EEENSM_IJSG_SG_EEES6_PlJS6_EEE10hipError_tPvRmT3_T4_T5_T6_T7_T9_mT8_P12ihipStream_tbDpT10_ENKUlT_T0_E_clISt17integral_constantIbLb0EES19_EEDaS14_S15_EUlS14_E_NS1_11comp_targetILNS1_3genE5ELNS1_11target_archE942ELNS1_3gpuE9ELNS1_3repE0EEENS1_30default_config_static_selectorELNS0_4arch9wavefront6targetE1EEEvT1_,"axG",@progbits,_ZN7rocprim17ROCPRIM_400000_NS6detail17trampoline_kernelINS0_14default_configENS1_25partition_config_selectorILNS1_17partition_subalgoE1EyNS0_10empty_typeEbEEZZNS1_14partition_implILS5_1ELb0ES3_jN6thrust23THRUST_200600_302600_NS6detail15normal_iteratorINSA_10device_ptrIyEEEEPS6_NSA_18transform_iteratorI7is_evenIyESF_NSA_11use_defaultESK_EENS0_5tupleIJSF_SF_EEENSM_IJSG_SG_EEES6_PlJS6_EEE10hipError_tPvRmT3_T4_T5_T6_T7_T9_mT8_P12ihipStream_tbDpT10_ENKUlT_T0_E_clISt17integral_constantIbLb0EES19_EEDaS14_S15_EUlS14_E_NS1_11comp_targetILNS1_3genE5ELNS1_11target_archE942ELNS1_3gpuE9ELNS1_3repE0EEENS1_30default_config_static_selectorELNS0_4arch9wavefront6targetE1EEEvT1_,comdat
.Lfunc_end2204:
	.size	_ZN7rocprim17ROCPRIM_400000_NS6detail17trampoline_kernelINS0_14default_configENS1_25partition_config_selectorILNS1_17partition_subalgoE1EyNS0_10empty_typeEbEEZZNS1_14partition_implILS5_1ELb0ES3_jN6thrust23THRUST_200600_302600_NS6detail15normal_iteratorINSA_10device_ptrIyEEEEPS6_NSA_18transform_iteratorI7is_evenIyESF_NSA_11use_defaultESK_EENS0_5tupleIJSF_SF_EEENSM_IJSG_SG_EEES6_PlJS6_EEE10hipError_tPvRmT3_T4_T5_T6_T7_T9_mT8_P12ihipStream_tbDpT10_ENKUlT_T0_E_clISt17integral_constantIbLb0EES19_EEDaS14_S15_EUlS14_E_NS1_11comp_targetILNS1_3genE5ELNS1_11target_archE942ELNS1_3gpuE9ELNS1_3repE0EEENS1_30default_config_static_selectorELNS0_4arch9wavefront6targetE1EEEvT1_, .Lfunc_end2204-_ZN7rocprim17ROCPRIM_400000_NS6detail17trampoline_kernelINS0_14default_configENS1_25partition_config_selectorILNS1_17partition_subalgoE1EyNS0_10empty_typeEbEEZZNS1_14partition_implILS5_1ELb0ES3_jN6thrust23THRUST_200600_302600_NS6detail15normal_iteratorINSA_10device_ptrIyEEEEPS6_NSA_18transform_iteratorI7is_evenIyESF_NSA_11use_defaultESK_EENS0_5tupleIJSF_SF_EEENSM_IJSG_SG_EEES6_PlJS6_EEE10hipError_tPvRmT3_T4_T5_T6_T7_T9_mT8_P12ihipStream_tbDpT10_ENKUlT_T0_E_clISt17integral_constantIbLb0EES19_EEDaS14_S15_EUlS14_E_NS1_11comp_targetILNS1_3genE5ELNS1_11target_archE942ELNS1_3gpuE9ELNS1_3repE0EEENS1_30default_config_static_selectorELNS0_4arch9wavefront6targetE1EEEvT1_
                                        ; -- End function
	.section	.AMDGPU.csdata,"",@progbits
; Kernel info:
; codeLenInByte = 4960
; NumSgprs: 50
; NumVgprs: 54
; NumAgprs: 0
; TotalNumVgprs: 54
; ScratchSize: 0
; MemoryBound: 0
; FloatMode: 240
; IeeeMode: 1
; LDSByteSize: 28680 bytes/workgroup (compile time only)
; SGPRBlocks: 6
; VGPRBlocks: 6
; NumSGPRsForWavesPerEU: 50
; NumVGPRsForWavesPerEU: 54
; AccumOffset: 56
; Occupancy: 4
; WaveLimiterHint : 1
; COMPUTE_PGM_RSRC2:SCRATCH_EN: 0
; COMPUTE_PGM_RSRC2:USER_SGPR: 2
; COMPUTE_PGM_RSRC2:TRAP_HANDLER: 0
; COMPUTE_PGM_RSRC2:TGID_X_EN: 1
; COMPUTE_PGM_RSRC2:TGID_Y_EN: 0
; COMPUTE_PGM_RSRC2:TGID_Z_EN: 0
; COMPUTE_PGM_RSRC2:TIDIG_COMP_CNT: 0
; COMPUTE_PGM_RSRC3_GFX90A:ACCUM_OFFSET: 13
; COMPUTE_PGM_RSRC3_GFX90A:TG_SPLIT: 0
	.section	.text._ZN7rocprim17ROCPRIM_400000_NS6detail17trampoline_kernelINS0_14default_configENS1_25partition_config_selectorILNS1_17partition_subalgoE1EyNS0_10empty_typeEbEEZZNS1_14partition_implILS5_1ELb0ES3_jN6thrust23THRUST_200600_302600_NS6detail15normal_iteratorINSA_10device_ptrIyEEEEPS6_NSA_18transform_iteratorI7is_evenIyESF_NSA_11use_defaultESK_EENS0_5tupleIJSF_SF_EEENSM_IJSG_SG_EEES6_PlJS6_EEE10hipError_tPvRmT3_T4_T5_T6_T7_T9_mT8_P12ihipStream_tbDpT10_ENKUlT_T0_E_clISt17integral_constantIbLb0EES19_EEDaS14_S15_EUlS14_E_NS1_11comp_targetILNS1_3genE4ELNS1_11target_archE910ELNS1_3gpuE8ELNS1_3repE0EEENS1_30default_config_static_selectorELNS0_4arch9wavefront6targetE1EEEvT1_,"axG",@progbits,_ZN7rocprim17ROCPRIM_400000_NS6detail17trampoline_kernelINS0_14default_configENS1_25partition_config_selectorILNS1_17partition_subalgoE1EyNS0_10empty_typeEbEEZZNS1_14partition_implILS5_1ELb0ES3_jN6thrust23THRUST_200600_302600_NS6detail15normal_iteratorINSA_10device_ptrIyEEEEPS6_NSA_18transform_iteratorI7is_evenIyESF_NSA_11use_defaultESK_EENS0_5tupleIJSF_SF_EEENSM_IJSG_SG_EEES6_PlJS6_EEE10hipError_tPvRmT3_T4_T5_T6_T7_T9_mT8_P12ihipStream_tbDpT10_ENKUlT_T0_E_clISt17integral_constantIbLb0EES19_EEDaS14_S15_EUlS14_E_NS1_11comp_targetILNS1_3genE4ELNS1_11target_archE910ELNS1_3gpuE8ELNS1_3repE0EEENS1_30default_config_static_selectorELNS0_4arch9wavefront6targetE1EEEvT1_,comdat
	.protected	_ZN7rocprim17ROCPRIM_400000_NS6detail17trampoline_kernelINS0_14default_configENS1_25partition_config_selectorILNS1_17partition_subalgoE1EyNS0_10empty_typeEbEEZZNS1_14partition_implILS5_1ELb0ES3_jN6thrust23THRUST_200600_302600_NS6detail15normal_iteratorINSA_10device_ptrIyEEEEPS6_NSA_18transform_iteratorI7is_evenIyESF_NSA_11use_defaultESK_EENS0_5tupleIJSF_SF_EEENSM_IJSG_SG_EEES6_PlJS6_EEE10hipError_tPvRmT3_T4_T5_T6_T7_T9_mT8_P12ihipStream_tbDpT10_ENKUlT_T0_E_clISt17integral_constantIbLb0EES19_EEDaS14_S15_EUlS14_E_NS1_11comp_targetILNS1_3genE4ELNS1_11target_archE910ELNS1_3gpuE8ELNS1_3repE0EEENS1_30default_config_static_selectorELNS0_4arch9wavefront6targetE1EEEvT1_ ; -- Begin function _ZN7rocprim17ROCPRIM_400000_NS6detail17trampoline_kernelINS0_14default_configENS1_25partition_config_selectorILNS1_17partition_subalgoE1EyNS0_10empty_typeEbEEZZNS1_14partition_implILS5_1ELb0ES3_jN6thrust23THRUST_200600_302600_NS6detail15normal_iteratorINSA_10device_ptrIyEEEEPS6_NSA_18transform_iteratorI7is_evenIyESF_NSA_11use_defaultESK_EENS0_5tupleIJSF_SF_EEENSM_IJSG_SG_EEES6_PlJS6_EEE10hipError_tPvRmT3_T4_T5_T6_T7_T9_mT8_P12ihipStream_tbDpT10_ENKUlT_T0_E_clISt17integral_constantIbLb0EES19_EEDaS14_S15_EUlS14_E_NS1_11comp_targetILNS1_3genE4ELNS1_11target_archE910ELNS1_3gpuE8ELNS1_3repE0EEENS1_30default_config_static_selectorELNS0_4arch9wavefront6targetE1EEEvT1_
	.globl	_ZN7rocprim17ROCPRIM_400000_NS6detail17trampoline_kernelINS0_14default_configENS1_25partition_config_selectorILNS1_17partition_subalgoE1EyNS0_10empty_typeEbEEZZNS1_14partition_implILS5_1ELb0ES3_jN6thrust23THRUST_200600_302600_NS6detail15normal_iteratorINSA_10device_ptrIyEEEEPS6_NSA_18transform_iteratorI7is_evenIyESF_NSA_11use_defaultESK_EENS0_5tupleIJSF_SF_EEENSM_IJSG_SG_EEES6_PlJS6_EEE10hipError_tPvRmT3_T4_T5_T6_T7_T9_mT8_P12ihipStream_tbDpT10_ENKUlT_T0_E_clISt17integral_constantIbLb0EES19_EEDaS14_S15_EUlS14_E_NS1_11comp_targetILNS1_3genE4ELNS1_11target_archE910ELNS1_3gpuE8ELNS1_3repE0EEENS1_30default_config_static_selectorELNS0_4arch9wavefront6targetE1EEEvT1_
	.p2align	8
	.type	_ZN7rocprim17ROCPRIM_400000_NS6detail17trampoline_kernelINS0_14default_configENS1_25partition_config_selectorILNS1_17partition_subalgoE1EyNS0_10empty_typeEbEEZZNS1_14partition_implILS5_1ELb0ES3_jN6thrust23THRUST_200600_302600_NS6detail15normal_iteratorINSA_10device_ptrIyEEEEPS6_NSA_18transform_iteratorI7is_evenIyESF_NSA_11use_defaultESK_EENS0_5tupleIJSF_SF_EEENSM_IJSG_SG_EEES6_PlJS6_EEE10hipError_tPvRmT3_T4_T5_T6_T7_T9_mT8_P12ihipStream_tbDpT10_ENKUlT_T0_E_clISt17integral_constantIbLb0EES19_EEDaS14_S15_EUlS14_E_NS1_11comp_targetILNS1_3genE4ELNS1_11target_archE910ELNS1_3gpuE8ELNS1_3repE0EEENS1_30default_config_static_selectorELNS0_4arch9wavefront6targetE1EEEvT1_,@function
_ZN7rocprim17ROCPRIM_400000_NS6detail17trampoline_kernelINS0_14default_configENS1_25partition_config_selectorILNS1_17partition_subalgoE1EyNS0_10empty_typeEbEEZZNS1_14partition_implILS5_1ELb0ES3_jN6thrust23THRUST_200600_302600_NS6detail15normal_iteratorINSA_10device_ptrIyEEEEPS6_NSA_18transform_iteratorI7is_evenIyESF_NSA_11use_defaultESK_EENS0_5tupleIJSF_SF_EEENSM_IJSG_SG_EEES6_PlJS6_EEE10hipError_tPvRmT3_T4_T5_T6_T7_T9_mT8_P12ihipStream_tbDpT10_ENKUlT_T0_E_clISt17integral_constantIbLb0EES19_EEDaS14_S15_EUlS14_E_NS1_11comp_targetILNS1_3genE4ELNS1_11target_archE910ELNS1_3gpuE8ELNS1_3repE0EEENS1_30default_config_static_selectorELNS0_4arch9wavefront6targetE1EEEvT1_: ; @_ZN7rocprim17ROCPRIM_400000_NS6detail17trampoline_kernelINS0_14default_configENS1_25partition_config_selectorILNS1_17partition_subalgoE1EyNS0_10empty_typeEbEEZZNS1_14partition_implILS5_1ELb0ES3_jN6thrust23THRUST_200600_302600_NS6detail15normal_iteratorINSA_10device_ptrIyEEEEPS6_NSA_18transform_iteratorI7is_evenIyESF_NSA_11use_defaultESK_EENS0_5tupleIJSF_SF_EEENSM_IJSG_SG_EEES6_PlJS6_EEE10hipError_tPvRmT3_T4_T5_T6_T7_T9_mT8_P12ihipStream_tbDpT10_ENKUlT_T0_E_clISt17integral_constantIbLb0EES19_EEDaS14_S15_EUlS14_E_NS1_11comp_targetILNS1_3genE4ELNS1_11target_archE910ELNS1_3gpuE8ELNS1_3repE0EEENS1_30default_config_static_selectorELNS0_4arch9wavefront6targetE1EEEvT1_
; %bb.0:
	.section	.rodata,"a",@progbits
	.p2align	6, 0x0
	.amdhsa_kernel _ZN7rocprim17ROCPRIM_400000_NS6detail17trampoline_kernelINS0_14default_configENS1_25partition_config_selectorILNS1_17partition_subalgoE1EyNS0_10empty_typeEbEEZZNS1_14partition_implILS5_1ELb0ES3_jN6thrust23THRUST_200600_302600_NS6detail15normal_iteratorINSA_10device_ptrIyEEEEPS6_NSA_18transform_iteratorI7is_evenIyESF_NSA_11use_defaultESK_EENS0_5tupleIJSF_SF_EEENSM_IJSG_SG_EEES6_PlJS6_EEE10hipError_tPvRmT3_T4_T5_T6_T7_T9_mT8_P12ihipStream_tbDpT10_ENKUlT_T0_E_clISt17integral_constantIbLb0EES19_EEDaS14_S15_EUlS14_E_NS1_11comp_targetILNS1_3genE4ELNS1_11target_archE910ELNS1_3gpuE8ELNS1_3repE0EEENS1_30default_config_static_selectorELNS0_4arch9wavefront6targetE1EEEvT1_
		.amdhsa_group_segment_fixed_size 0
		.amdhsa_private_segment_fixed_size 0
		.amdhsa_kernarg_size 128
		.amdhsa_user_sgpr_count 2
		.amdhsa_user_sgpr_dispatch_ptr 0
		.amdhsa_user_sgpr_queue_ptr 0
		.amdhsa_user_sgpr_kernarg_segment_ptr 1
		.amdhsa_user_sgpr_dispatch_id 0
		.amdhsa_user_sgpr_kernarg_preload_length 0
		.amdhsa_user_sgpr_kernarg_preload_offset 0
		.amdhsa_user_sgpr_private_segment_size 0
		.amdhsa_uses_dynamic_stack 0
		.amdhsa_enable_private_segment 0
		.amdhsa_system_sgpr_workgroup_id_x 1
		.amdhsa_system_sgpr_workgroup_id_y 0
		.amdhsa_system_sgpr_workgroup_id_z 0
		.amdhsa_system_sgpr_workgroup_info 0
		.amdhsa_system_vgpr_workitem_id 0
		.amdhsa_next_free_vgpr 1
		.amdhsa_next_free_sgpr 0
		.amdhsa_accum_offset 4
		.amdhsa_reserve_vcc 0
		.amdhsa_float_round_mode_32 0
		.amdhsa_float_round_mode_16_64 0
		.amdhsa_float_denorm_mode_32 3
		.amdhsa_float_denorm_mode_16_64 3
		.amdhsa_dx10_clamp 1
		.amdhsa_ieee_mode 1
		.amdhsa_fp16_overflow 0
		.amdhsa_tg_split 0
		.amdhsa_exception_fp_ieee_invalid_op 0
		.amdhsa_exception_fp_denorm_src 0
		.amdhsa_exception_fp_ieee_div_zero 0
		.amdhsa_exception_fp_ieee_overflow 0
		.amdhsa_exception_fp_ieee_underflow 0
		.amdhsa_exception_fp_ieee_inexact 0
		.amdhsa_exception_int_div_zero 0
	.end_amdhsa_kernel
	.section	.text._ZN7rocprim17ROCPRIM_400000_NS6detail17trampoline_kernelINS0_14default_configENS1_25partition_config_selectorILNS1_17partition_subalgoE1EyNS0_10empty_typeEbEEZZNS1_14partition_implILS5_1ELb0ES3_jN6thrust23THRUST_200600_302600_NS6detail15normal_iteratorINSA_10device_ptrIyEEEEPS6_NSA_18transform_iteratorI7is_evenIyESF_NSA_11use_defaultESK_EENS0_5tupleIJSF_SF_EEENSM_IJSG_SG_EEES6_PlJS6_EEE10hipError_tPvRmT3_T4_T5_T6_T7_T9_mT8_P12ihipStream_tbDpT10_ENKUlT_T0_E_clISt17integral_constantIbLb0EES19_EEDaS14_S15_EUlS14_E_NS1_11comp_targetILNS1_3genE4ELNS1_11target_archE910ELNS1_3gpuE8ELNS1_3repE0EEENS1_30default_config_static_selectorELNS0_4arch9wavefront6targetE1EEEvT1_,"axG",@progbits,_ZN7rocprim17ROCPRIM_400000_NS6detail17trampoline_kernelINS0_14default_configENS1_25partition_config_selectorILNS1_17partition_subalgoE1EyNS0_10empty_typeEbEEZZNS1_14partition_implILS5_1ELb0ES3_jN6thrust23THRUST_200600_302600_NS6detail15normal_iteratorINSA_10device_ptrIyEEEEPS6_NSA_18transform_iteratorI7is_evenIyESF_NSA_11use_defaultESK_EENS0_5tupleIJSF_SF_EEENSM_IJSG_SG_EEES6_PlJS6_EEE10hipError_tPvRmT3_T4_T5_T6_T7_T9_mT8_P12ihipStream_tbDpT10_ENKUlT_T0_E_clISt17integral_constantIbLb0EES19_EEDaS14_S15_EUlS14_E_NS1_11comp_targetILNS1_3genE4ELNS1_11target_archE910ELNS1_3gpuE8ELNS1_3repE0EEENS1_30default_config_static_selectorELNS0_4arch9wavefront6targetE1EEEvT1_,comdat
.Lfunc_end2205:
	.size	_ZN7rocprim17ROCPRIM_400000_NS6detail17trampoline_kernelINS0_14default_configENS1_25partition_config_selectorILNS1_17partition_subalgoE1EyNS0_10empty_typeEbEEZZNS1_14partition_implILS5_1ELb0ES3_jN6thrust23THRUST_200600_302600_NS6detail15normal_iteratorINSA_10device_ptrIyEEEEPS6_NSA_18transform_iteratorI7is_evenIyESF_NSA_11use_defaultESK_EENS0_5tupleIJSF_SF_EEENSM_IJSG_SG_EEES6_PlJS6_EEE10hipError_tPvRmT3_T4_T5_T6_T7_T9_mT8_P12ihipStream_tbDpT10_ENKUlT_T0_E_clISt17integral_constantIbLb0EES19_EEDaS14_S15_EUlS14_E_NS1_11comp_targetILNS1_3genE4ELNS1_11target_archE910ELNS1_3gpuE8ELNS1_3repE0EEENS1_30default_config_static_selectorELNS0_4arch9wavefront6targetE1EEEvT1_, .Lfunc_end2205-_ZN7rocprim17ROCPRIM_400000_NS6detail17trampoline_kernelINS0_14default_configENS1_25partition_config_selectorILNS1_17partition_subalgoE1EyNS0_10empty_typeEbEEZZNS1_14partition_implILS5_1ELb0ES3_jN6thrust23THRUST_200600_302600_NS6detail15normal_iteratorINSA_10device_ptrIyEEEEPS6_NSA_18transform_iteratorI7is_evenIyESF_NSA_11use_defaultESK_EENS0_5tupleIJSF_SF_EEENSM_IJSG_SG_EEES6_PlJS6_EEE10hipError_tPvRmT3_T4_T5_T6_T7_T9_mT8_P12ihipStream_tbDpT10_ENKUlT_T0_E_clISt17integral_constantIbLb0EES19_EEDaS14_S15_EUlS14_E_NS1_11comp_targetILNS1_3genE4ELNS1_11target_archE910ELNS1_3gpuE8ELNS1_3repE0EEENS1_30default_config_static_selectorELNS0_4arch9wavefront6targetE1EEEvT1_
                                        ; -- End function
	.section	.AMDGPU.csdata,"",@progbits
; Kernel info:
; codeLenInByte = 0
; NumSgprs: 6
; NumVgprs: 0
; NumAgprs: 0
; TotalNumVgprs: 0
; ScratchSize: 0
; MemoryBound: 0
; FloatMode: 240
; IeeeMode: 1
; LDSByteSize: 0 bytes/workgroup (compile time only)
; SGPRBlocks: 0
; VGPRBlocks: 0
; NumSGPRsForWavesPerEU: 6
; NumVGPRsForWavesPerEU: 1
; AccumOffset: 4
; Occupancy: 8
; WaveLimiterHint : 0
; COMPUTE_PGM_RSRC2:SCRATCH_EN: 0
; COMPUTE_PGM_RSRC2:USER_SGPR: 2
; COMPUTE_PGM_RSRC2:TRAP_HANDLER: 0
; COMPUTE_PGM_RSRC2:TGID_X_EN: 1
; COMPUTE_PGM_RSRC2:TGID_Y_EN: 0
; COMPUTE_PGM_RSRC2:TGID_Z_EN: 0
; COMPUTE_PGM_RSRC2:TIDIG_COMP_CNT: 0
; COMPUTE_PGM_RSRC3_GFX90A:ACCUM_OFFSET: 0
; COMPUTE_PGM_RSRC3_GFX90A:TG_SPLIT: 0
	.section	.text._ZN7rocprim17ROCPRIM_400000_NS6detail17trampoline_kernelINS0_14default_configENS1_25partition_config_selectorILNS1_17partition_subalgoE1EyNS0_10empty_typeEbEEZZNS1_14partition_implILS5_1ELb0ES3_jN6thrust23THRUST_200600_302600_NS6detail15normal_iteratorINSA_10device_ptrIyEEEEPS6_NSA_18transform_iteratorI7is_evenIyESF_NSA_11use_defaultESK_EENS0_5tupleIJSF_SF_EEENSM_IJSG_SG_EEES6_PlJS6_EEE10hipError_tPvRmT3_T4_T5_T6_T7_T9_mT8_P12ihipStream_tbDpT10_ENKUlT_T0_E_clISt17integral_constantIbLb0EES19_EEDaS14_S15_EUlS14_E_NS1_11comp_targetILNS1_3genE3ELNS1_11target_archE908ELNS1_3gpuE7ELNS1_3repE0EEENS1_30default_config_static_selectorELNS0_4arch9wavefront6targetE1EEEvT1_,"axG",@progbits,_ZN7rocprim17ROCPRIM_400000_NS6detail17trampoline_kernelINS0_14default_configENS1_25partition_config_selectorILNS1_17partition_subalgoE1EyNS0_10empty_typeEbEEZZNS1_14partition_implILS5_1ELb0ES3_jN6thrust23THRUST_200600_302600_NS6detail15normal_iteratorINSA_10device_ptrIyEEEEPS6_NSA_18transform_iteratorI7is_evenIyESF_NSA_11use_defaultESK_EENS0_5tupleIJSF_SF_EEENSM_IJSG_SG_EEES6_PlJS6_EEE10hipError_tPvRmT3_T4_T5_T6_T7_T9_mT8_P12ihipStream_tbDpT10_ENKUlT_T0_E_clISt17integral_constantIbLb0EES19_EEDaS14_S15_EUlS14_E_NS1_11comp_targetILNS1_3genE3ELNS1_11target_archE908ELNS1_3gpuE7ELNS1_3repE0EEENS1_30default_config_static_selectorELNS0_4arch9wavefront6targetE1EEEvT1_,comdat
	.protected	_ZN7rocprim17ROCPRIM_400000_NS6detail17trampoline_kernelINS0_14default_configENS1_25partition_config_selectorILNS1_17partition_subalgoE1EyNS0_10empty_typeEbEEZZNS1_14partition_implILS5_1ELb0ES3_jN6thrust23THRUST_200600_302600_NS6detail15normal_iteratorINSA_10device_ptrIyEEEEPS6_NSA_18transform_iteratorI7is_evenIyESF_NSA_11use_defaultESK_EENS0_5tupleIJSF_SF_EEENSM_IJSG_SG_EEES6_PlJS6_EEE10hipError_tPvRmT3_T4_T5_T6_T7_T9_mT8_P12ihipStream_tbDpT10_ENKUlT_T0_E_clISt17integral_constantIbLb0EES19_EEDaS14_S15_EUlS14_E_NS1_11comp_targetILNS1_3genE3ELNS1_11target_archE908ELNS1_3gpuE7ELNS1_3repE0EEENS1_30default_config_static_selectorELNS0_4arch9wavefront6targetE1EEEvT1_ ; -- Begin function _ZN7rocprim17ROCPRIM_400000_NS6detail17trampoline_kernelINS0_14default_configENS1_25partition_config_selectorILNS1_17partition_subalgoE1EyNS0_10empty_typeEbEEZZNS1_14partition_implILS5_1ELb0ES3_jN6thrust23THRUST_200600_302600_NS6detail15normal_iteratorINSA_10device_ptrIyEEEEPS6_NSA_18transform_iteratorI7is_evenIyESF_NSA_11use_defaultESK_EENS0_5tupleIJSF_SF_EEENSM_IJSG_SG_EEES6_PlJS6_EEE10hipError_tPvRmT3_T4_T5_T6_T7_T9_mT8_P12ihipStream_tbDpT10_ENKUlT_T0_E_clISt17integral_constantIbLb0EES19_EEDaS14_S15_EUlS14_E_NS1_11comp_targetILNS1_3genE3ELNS1_11target_archE908ELNS1_3gpuE7ELNS1_3repE0EEENS1_30default_config_static_selectorELNS0_4arch9wavefront6targetE1EEEvT1_
	.globl	_ZN7rocprim17ROCPRIM_400000_NS6detail17trampoline_kernelINS0_14default_configENS1_25partition_config_selectorILNS1_17partition_subalgoE1EyNS0_10empty_typeEbEEZZNS1_14partition_implILS5_1ELb0ES3_jN6thrust23THRUST_200600_302600_NS6detail15normal_iteratorINSA_10device_ptrIyEEEEPS6_NSA_18transform_iteratorI7is_evenIyESF_NSA_11use_defaultESK_EENS0_5tupleIJSF_SF_EEENSM_IJSG_SG_EEES6_PlJS6_EEE10hipError_tPvRmT3_T4_T5_T6_T7_T9_mT8_P12ihipStream_tbDpT10_ENKUlT_T0_E_clISt17integral_constantIbLb0EES19_EEDaS14_S15_EUlS14_E_NS1_11comp_targetILNS1_3genE3ELNS1_11target_archE908ELNS1_3gpuE7ELNS1_3repE0EEENS1_30default_config_static_selectorELNS0_4arch9wavefront6targetE1EEEvT1_
	.p2align	8
	.type	_ZN7rocprim17ROCPRIM_400000_NS6detail17trampoline_kernelINS0_14default_configENS1_25partition_config_selectorILNS1_17partition_subalgoE1EyNS0_10empty_typeEbEEZZNS1_14partition_implILS5_1ELb0ES3_jN6thrust23THRUST_200600_302600_NS6detail15normal_iteratorINSA_10device_ptrIyEEEEPS6_NSA_18transform_iteratorI7is_evenIyESF_NSA_11use_defaultESK_EENS0_5tupleIJSF_SF_EEENSM_IJSG_SG_EEES6_PlJS6_EEE10hipError_tPvRmT3_T4_T5_T6_T7_T9_mT8_P12ihipStream_tbDpT10_ENKUlT_T0_E_clISt17integral_constantIbLb0EES19_EEDaS14_S15_EUlS14_E_NS1_11comp_targetILNS1_3genE3ELNS1_11target_archE908ELNS1_3gpuE7ELNS1_3repE0EEENS1_30default_config_static_selectorELNS0_4arch9wavefront6targetE1EEEvT1_,@function
_ZN7rocprim17ROCPRIM_400000_NS6detail17trampoline_kernelINS0_14default_configENS1_25partition_config_selectorILNS1_17partition_subalgoE1EyNS0_10empty_typeEbEEZZNS1_14partition_implILS5_1ELb0ES3_jN6thrust23THRUST_200600_302600_NS6detail15normal_iteratorINSA_10device_ptrIyEEEEPS6_NSA_18transform_iteratorI7is_evenIyESF_NSA_11use_defaultESK_EENS0_5tupleIJSF_SF_EEENSM_IJSG_SG_EEES6_PlJS6_EEE10hipError_tPvRmT3_T4_T5_T6_T7_T9_mT8_P12ihipStream_tbDpT10_ENKUlT_T0_E_clISt17integral_constantIbLb0EES19_EEDaS14_S15_EUlS14_E_NS1_11comp_targetILNS1_3genE3ELNS1_11target_archE908ELNS1_3gpuE7ELNS1_3repE0EEENS1_30default_config_static_selectorELNS0_4arch9wavefront6targetE1EEEvT1_: ; @_ZN7rocprim17ROCPRIM_400000_NS6detail17trampoline_kernelINS0_14default_configENS1_25partition_config_selectorILNS1_17partition_subalgoE1EyNS0_10empty_typeEbEEZZNS1_14partition_implILS5_1ELb0ES3_jN6thrust23THRUST_200600_302600_NS6detail15normal_iteratorINSA_10device_ptrIyEEEEPS6_NSA_18transform_iteratorI7is_evenIyESF_NSA_11use_defaultESK_EENS0_5tupleIJSF_SF_EEENSM_IJSG_SG_EEES6_PlJS6_EEE10hipError_tPvRmT3_T4_T5_T6_T7_T9_mT8_P12ihipStream_tbDpT10_ENKUlT_T0_E_clISt17integral_constantIbLb0EES19_EEDaS14_S15_EUlS14_E_NS1_11comp_targetILNS1_3genE3ELNS1_11target_archE908ELNS1_3gpuE7ELNS1_3repE0EEENS1_30default_config_static_selectorELNS0_4arch9wavefront6targetE1EEEvT1_
; %bb.0:
	.section	.rodata,"a",@progbits
	.p2align	6, 0x0
	.amdhsa_kernel _ZN7rocprim17ROCPRIM_400000_NS6detail17trampoline_kernelINS0_14default_configENS1_25partition_config_selectorILNS1_17partition_subalgoE1EyNS0_10empty_typeEbEEZZNS1_14partition_implILS5_1ELb0ES3_jN6thrust23THRUST_200600_302600_NS6detail15normal_iteratorINSA_10device_ptrIyEEEEPS6_NSA_18transform_iteratorI7is_evenIyESF_NSA_11use_defaultESK_EENS0_5tupleIJSF_SF_EEENSM_IJSG_SG_EEES6_PlJS6_EEE10hipError_tPvRmT3_T4_T5_T6_T7_T9_mT8_P12ihipStream_tbDpT10_ENKUlT_T0_E_clISt17integral_constantIbLb0EES19_EEDaS14_S15_EUlS14_E_NS1_11comp_targetILNS1_3genE3ELNS1_11target_archE908ELNS1_3gpuE7ELNS1_3repE0EEENS1_30default_config_static_selectorELNS0_4arch9wavefront6targetE1EEEvT1_
		.amdhsa_group_segment_fixed_size 0
		.amdhsa_private_segment_fixed_size 0
		.amdhsa_kernarg_size 128
		.amdhsa_user_sgpr_count 2
		.amdhsa_user_sgpr_dispatch_ptr 0
		.amdhsa_user_sgpr_queue_ptr 0
		.amdhsa_user_sgpr_kernarg_segment_ptr 1
		.amdhsa_user_sgpr_dispatch_id 0
		.amdhsa_user_sgpr_kernarg_preload_length 0
		.amdhsa_user_sgpr_kernarg_preload_offset 0
		.amdhsa_user_sgpr_private_segment_size 0
		.amdhsa_uses_dynamic_stack 0
		.amdhsa_enable_private_segment 0
		.amdhsa_system_sgpr_workgroup_id_x 1
		.amdhsa_system_sgpr_workgroup_id_y 0
		.amdhsa_system_sgpr_workgroup_id_z 0
		.amdhsa_system_sgpr_workgroup_info 0
		.amdhsa_system_vgpr_workitem_id 0
		.amdhsa_next_free_vgpr 1
		.amdhsa_next_free_sgpr 0
		.amdhsa_accum_offset 4
		.amdhsa_reserve_vcc 0
		.amdhsa_float_round_mode_32 0
		.amdhsa_float_round_mode_16_64 0
		.amdhsa_float_denorm_mode_32 3
		.amdhsa_float_denorm_mode_16_64 3
		.amdhsa_dx10_clamp 1
		.amdhsa_ieee_mode 1
		.amdhsa_fp16_overflow 0
		.amdhsa_tg_split 0
		.amdhsa_exception_fp_ieee_invalid_op 0
		.amdhsa_exception_fp_denorm_src 0
		.amdhsa_exception_fp_ieee_div_zero 0
		.amdhsa_exception_fp_ieee_overflow 0
		.amdhsa_exception_fp_ieee_underflow 0
		.amdhsa_exception_fp_ieee_inexact 0
		.amdhsa_exception_int_div_zero 0
	.end_amdhsa_kernel
	.section	.text._ZN7rocprim17ROCPRIM_400000_NS6detail17trampoline_kernelINS0_14default_configENS1_25partition_config_selectorILNS1_17partition_subalgoE1EyNS0_10empty_typeEbEEZZNS1_14partition_implILS5_1ELb0ES3_jN6thrust23THRUST_200600_302600_NS6detail15normal_iteratorINSA_10device_ptrIyEEEEPS6_NSA_18transform_iteratorI7is_evenIyESF_NSA_11use_defaultESK_EENS0_5tupleIJSF_SF_EEENSM_IJSG_SG_EEES6_PlJS6_EEE10hipError_tPvRmT3_T4_T5_T6_T7_T9_mT8_P12ihipStream_tbDpT10_ENKUlT_T0_E_clISt17integral_constantIbLb0EES19_EEDaS14_S15_EUlS14_E_NS1_11comp_targetILNS1_3genE3ELNS1_11target_archE908ELNS1_3gpuE7ELNS1_3repE0EEENS1_30default_config_static_selectorELNS0_4arch9wavefront6targetE1EEEvT1_,"axG",@progbits,_ZN7rocprim17ROCPRIM_400000_NS6detail17trampoline_kernelINS0_14default_configENS1_25partition_config_selectorILNS1_17partition_subalgoE1EyNS0_10empty_typeEbEEZZNS1_14partition_implILS5_1ELb0ES3_jN6thrust23THRUST_200600_302600_NS6detail15normal_iteratorINSA_10device_ptrIyEEEEPS6_NSA_18transform_iteratorI7is_evenIyESF_NSA_11use_defaultESK_EENS0_5tupleIJSF_SF_EEENSM_IJSG_SG_EEES6_PlJS6_EEE10hipError_tPvRmT3_T4_T5_T6_T7_T9_mT8_P12ihipStream_tbDpT10_ENKUlT_T0_E_clISt17integral_constantIbLb0EES19_EEDaS14_S15_EUlS14_E_NS1_11comp_targetILNS1_3genE3ELNS1_11target_archE908ELNS1_3gpuE7ELNS1_3repE0EEENS1_30default_config_static_selectorELNS0_4arch9wavefront6targetE1EEEvT1_,comdat
.Lfunc_end2206:
	.size	_ZN7rocprim17ROCPRIM_400000_NS6detail17trampoline_kernelINS0_14default_configENS1_25partition_config_selectorILNS1_17partition_subalgoE1EyNS0_10empty_typeEbEEZZNS1_14partition_implILS5_1ELb0ES3_jN6thrust23THRUST_200600_302600_NS6detail15normal_iteratorINSA_10device_ptrIyEEEEPS6_NSA_18transform_iteratorI7is_evenIyESF_NSA_11use_defaultESK_EENS0_5tupleIJSF_SF_EEENSM_IJSG_SG_EEES6_PlJS6_EEE10hipError_tPvRmT3_T4_T5_T6_T7_T9_mT8_P12ihipStream_tbDpT10_ENKUlT_T0_E_clISt17integral_constantIbLb0EES19_EEDaS14_S15_EUlS14_E_NS1_11comp_targetILNS1_3genE3ELNS1_11target_archE908ELNS1_3gpuE7ELNS1_3repE0EEENS1_30default_config_static_selectorELNS0_4arch9wavefront6targetE1EEEvT1_, .Lfunc_end2206-_ZN7rocprim17ROCPRIM_400000_NS6detail17trampoline_kernelINS0_14default_configENS1_25partition_config_selectorILNS1_17partition_subalgoE1EyNS0_10empty_typeEbEEZZNS1_14partition_implILS5_1ELb0ES3_jN6thrust23THRUST_200600_302600_NS6detail15normal_iteratorINSA_10device_ptrIyEEEEPS6_NSA_18transform_iteratorI7is_evenIyESF_NSA_11use_defaultESK_EENS0_5tupleIJSF_SF_EEENSM_IJSG_SG_EEES6_PlJS6_EEE10hipError_tPvRmT3_T4_T5_T6_T7_T9_mT8_P12ihipStream_tbDpT10_ENKUlT_T0_E_clISt17integral_constantIbLb0EES19_EEDaS14_S15_EUlS14_E_NS1_11comp_targetILNS1_3genE3ELNS1_11target_archE908ELNS1_3gpuE7ELNS1_3repE0EEENS1_30default_config_static_selectorELNS0_4arch9wavefront6targetE1EEEvT1_
                                        ; -- End function
	.section	.AMDGPU.csdata,"",@progbits
; Kernel info:
; codeLenInByte = 0
; NumSgprs: 6
; NumVgprs: 0
; NumAgprs: 0
; TotalNumVgprs: 0
; ScratchSize: 0
; MemoryBound: 0
; FloatMode: 240
; IeeeMode: 1
; LDSByteSize: 0 bytes/workgroup (compile time only)
; SGPRBlocks: 0
; VGPRBlocks: 0
; NumSGPRsForWavesPerEU: 6
; NumVGPRsForWavesPerEU: 1
; AccumOffset: 4
; Occupancy: 8
; WaveLimiterHint : 0
; COMPUTE_PGM_RSRC2:SCRATCH_EN: 0
; COMPUTE_PGM_RSRC2:USER_SGPR: 2
; COMPUTE_PGM_RSRC2:TRAP_HANDLER: 0
; COMPUTE_PGM_RSRC2:TGID_X_EN: 1
; COMPUTE_PGM_RSRC2:TGID_Y_EN: 0
; COMPUTE_PGM_RSRC2:TGID_Z_EN: 0
; COMPUTE_PGM_RSRC2:TIDIG_COMP_CNT: 0
; COMPUTE_PGM_RSRC3_GFX90A:ACCUM_OFFSET: 0
; COMPUTE_PGM_RSRC3_GFX90A:TG_SPLIT: 0
	.section	.text._ZN7rocprim17ROCPRIM_400000_NS6detail17trampoline_kernelINS0_14default_configENS1_25partition_config_selectorILNS1_17partition_subalgoE1EyNS0_10empty_typeEbEEZZNS1_14partition_implILS5_1ELb0ES3_jN6thrust23THRUST_200600_302600_NS6detail15normal_iteratorINSA_10device_ptrIyEEEEPS6_NSA_18transform_iteratorI7is_evenIyESF_NSA_11use_defaultESK_EENS0_5tupleIJSF_SF_EEENSM_IJSG_SG_EEES6_PlJS6_EEE10hipError_tPvRmT3_T4_T5_T6_T7_T9_mT8_P12ihipStream_tbDpT10_ENKUlT_T0_E_clISt17integral_constantIbLb0EES19_EEDaS14_S15_EUlS14_E_NS1_11comp_targetILNS1_3genE2ELNS1_11target_archE906ELNS1_3gpuE6ELNS1_3repE0EEENS1_30default_config_static_selectorELNS0_4arch9wavefront6targetE1EEEvT1_,"axG",@progbits,_ZN7rocprim17ROCPRIM_400000_NS6detail17trampoline_kernelINS0_14default_configENS1_25partition_config_selectorILNS1_17partition_subalgoE1EyNS0_10empty_typeEbEEZZNS1_14partition_implILS5_1ELb0ES3_jN6thrust23THRUST_200600_302600_NS6detail15normal_iteratorINSA_10device_ptrIyEEEEPS6_NSA_18transform_iteratorI7is_evenIyESF_NSA_11use_defaultESK_EENS0_5tupleIJSF_SF_EEENSM_IJSG_SG_EEES6_PlJS6_EEE10hipError_tPvRmT3_T4_T5_T6_T7_T9_mT8_P12ihipStream_tbDpT10_ENKUlT_T0_E_clISt17integral_constantIbLb0EES19_EEDaS14_S15_EUlS14_E_NS1_11comp_targetILNS1_3genE2ELNS1_11target_archE906ELNS1_3gpuE6ELNS1_3repE0EEENS1_30default_config_static_selectorELNS0_4arch9wavefront6targetE1EEEvT1_,comdat
	.protected	_ZN7rocprim17ROCPRIM_400000_NS6detail17trampoline_kernelINS0_14default_configENS1_25partition_config_selectorILNS1_17partition_subalgoE1EyNS0_10empty_typeEbEEZZNS1_14partition_implILS5_1ELb0ES3_jN6thrust23THRUST_200600_302600_NS6detail15normal_iteratorINSA_10device_ptrIyEEEEPS6_NSA_18transform_iteratorI7is_evenIyESF_NSA_11use_defaultESK_EENS0_5tupleIJSF_SF_EEENSM_IJSG_SG_EEES6_PlJS6_EEE10hipError_tPvRmT3_T4_T5_T6_T7_T9_mT8_P12ihipStream_tbDpT10_ENKUlT_T0_E_clISt17integral_constantIbLb0EES19_EEDaS14_S15_EUlS14_E_NS1_11comp_targetILNS1_3genE2ELNS1_11target_archE906ELNS1_3gpuE6ELNS1_3repE0EEENS1_30default_config_static_selectorELNS0_4arch9wavefront6targetE1EEEvT1_ ; -- Begin function _ZN7rocprim17ROCPRIM_400000_NS6detail17trampoline_kernelINS0_14default_configENS1_25partition_config_selectorILNS1_17partition_subalgoE1EyNS0_10empty_typeEbEEZZNS1_14partition_implILS5_1ELb0ES3_jN6thrust23THRUST_200600_302600_NS6detail15normal_iteratorINSA_10device_ptrIyEEEEPS6_NSA_18transform_iteratorI7is_evenIyESF_NSA_11use_defaultESK_EENS0_5tupleIJSF_SF_EEENSM_IJSG_SG_EEES6_PlJS6_EEE10hipError_tPvRmT3_T4_T5_T6_T7_T9_mT8_P12ihipStream_tbDpT10_ENKUlT_T0_E_clISt17integral_constantIbLb0EES19_EEDaS14_S15_EUlS14_E_NS1_11comp_targetILNS1_3genE2ELNS1_11target_archE906ELNS1_3gpuE6ELNS1_3repE0EEENS1_30default_config_static_selectorELNS0_4arch9wavefront6targetE1EEEvT1_
	.globl	_ZN7rocprim17ROCPRIM_400000_NS6detail17trampoline_kernelINS0_14default_configENS1_25partition_config_selectorILNS1_17partition_subalgoE1EyNS0_10empty_typeEbEEZZNS1_14partition_implILS5_1ELb0ES3_jN6thrust23THRUST_200600_302600_NS6detail15normal_iteratorINSA_10device_ptrIyEEEEPS6_NSA_18transform_iteratorI7is_evenIyESF_NSA_11use_defaultESK_EENS0_5tupleIJSF_SF_EEENSM_IJSG_SG_EEES6_PlJS6_EEE10hipError_tPvRmT3_T4_T5_T6_T7_T9_mT8_P12ihipStream_tbDpT10_ENKUlT_T0_E_clISt17integral_constantIbLb0EES19_EEDaS14_S15_EUlS14_E_NS1_11comp_targetILNS1_3genE2ELNS1_11target_archE906ELNS1_3gpuE6ELNS1_3repE0EEENS1_30default_config_static_selectorELNS0_4arch9wavefront6targetE1EEEvT1_
	.p2align	8
	.type	_ZN7rocprim17ROCPRIM_400000_NS6detail17trampoline_kernelINS0_14default_configENS1_25partition_config_selectorILNS1_17partition_subalgoE1EyNS0_10empty_typeEbEEZZNS1_14partition_implILS5_1ELb0ES3_jN6thrust23THRUST_200600_302600_NS6detail15normal_iteratorINSA_10device_ptrIyEEEEPS6_NSA_18transform_iteratorI7is_evenIyESF_NSA_11use_defaultESK_EENS0_5tupleIJSF_SF_EEENSM_IJSG_SG_EEES6_PlJS6_EEE10hipError_tPvRmT3_T4_T5_T6_T7_T9_mT8_P12ihipStream_tbDpT10_ENKUlT_T0_E_clISt17integral_constantIbLb0EES19_EEDaS14_S15_EUlS14_E_NS1_11comp_targetILNS1_3genE2ELNS1_11target_archE906ELNS1_3gpuE6ELNS1_3repE0EEENS1_30default_config_static_selectorELNS0_4arch9wavefront6targetE1EEEvT1_,@function
_ZN7rocprim17ROCPRIM_400000_NS6detail17trampoline_kernelINS0_14default_configENS1_25partition_config_selectorILNS1_17partition_subalgoE1EyNS0_10empty_typeEbEEZZNS1_14partition_implILS5_1ELb0ES3_jN6thrust23THRUST_200600_302600_NS6detail15normal_iteratorINSA_10device_ptrIyEEEEPS6_NSA_18transform_iteratorI7is_evenIyESF_NSA_11use_defaultESK_EENS0_5tupleIJSF_SF_EEENSM_IJSG_SG_EEES6_PlJS6_EEE10hipError_tPvRmT3_T4_T5_T6_T7_T9_mT8_P12ihipStream_tbDpT10_ENKUlT_T0_E_clISt17integral_constantIbLb0EES19_EEDaS14_S15_EUlS14_E_NS1_11comp_targetILNS1_3genE2ELNS1_11target_archE906ELNS1_3gpuE6ELNS1_3repE0EEENS1_30default_config_static_selectorELNS0_4arch9wavefront6targetE1EEEvT1_: ; @_ZN7rocprim17ROCPRIM_400000_NS6detail17trampoline_kernelINS0_14default_configENS1_25partition_config_selectorILNS1_17partition_subalgoE1EyNS0_10empty_typeEbEEZZNS1_14partition_implILS5_1ELb0ES3_jN6thrust23THRUST_200600_302600_NS6detail15normal_iteratorINSA_10device_ptrIyEEEEPS6_NSA_18transform_iteratorI7is_evenIyESF_NSA_11use_defaultESK_EENS0_5tupleIJSF_SF_EEENSM_IJSG_SG_EEES6_PlJS6_EEE10hipError_tPvRmT3_T4_T5_T6_T7_T9_mT8_P12ihipStream_tbDpT10_ENKUlT_T0_E_clISt17integral_constantIbLb0EES19_EEDaS14_S15_EUlS14_E_NS1_11comp_targetILNS1_3genE2ELNS1_11target_archE906ELNS1_3gpuE6ELNS1_3repE0EEENS1_30default_config_static_selectorELNS0_4arch9wavefront6targetE1EEEvT1_
; %bb.0:
	.section	.rodata,"a",@progbits
	.p2align	6, 0x0
	.amdhsa_kernel _ZN7rocprim17ROCPRIM_400000_NS6detail17trampoline_kernelINS0_14default_configENS1_25partition_config_selectorILNS1_17partition_subalgoE1EyNS0_10empty_typeEbEEZZNS1_14partition_implILS5_1ELb0ES3_jN6thrust23THRUST_200600_302600_NS6detail15normal_iteratorINSA_10device_ptrIyEEEEPS6_NSA_18transform_iteratorI7is_evenIyESF_NSA_11use_defaultESK_EENS0_5tupleIJSF_SF_EEENSM_IJSG_SG_EEES6_PlJS6_EEE10hipError_tPvRmT3_T4_T5_T6_T7_T9_mT8_P12ihipStream_tbDpT10_ENKUlT_T0_E_clISt17integral_constantIbLb0EES19_EEDaS14_S15_EUlS14_E_NS1_11comp_targetILNS1_3genE2ELNS1_11target_archE906ELNS1_3gpuE6ELNS1_3repE0EEENS1_30default_config_static_selectorELNS0_4arch9wavefront6targetE1EEEvT1_
		.amdhsa_group_segment_fixed_size 0
		.amdhsa_private_segment_fixed_size 0
		.amdhsa_kernarg_size 128
		.amdhsa_user_sgpr_count 2
		.amdhsa_user_sgpr_dispatch_ptr 0
		.amdhsa_user_sgpr_queue_ptr 0
		.amdhsa_user_sgpr_kernarg_segment_ptr 1
		.amdhsa_user_sgpr_dispatch_id 0
		.amdhsa_user_sgpr_kernarg_preload_length 0
		.amdhsa_user_sgpr_kernarg_preload_offset 0
		.amdhsa_user_sgpr_private_segment_size 0
		.amdhsa_uses_dynamic_stack 0
		.amdhsa_enable_private_segment 0
		.amdhsa_system_sgpr_workgroup_id_x 1
		.amdhsa_system_sgpr_workgroup_id_y 0
		.amdhsa_system_sgpr_workgroup_id_z 0
		.amdhsa_system_sgpr_workgroup_info 0
		.amdhsa_system_vgpr_workitem_id 0
		.amdhsa_next_free_vgpr 1
		.amdhsa_next_free_sgpr 0
		.amdhsa_accum_offset 4
		.amdhsa_reserve_vcc 0
		.amdhsa_float_round_mode_32 0
		.amdhsa_float_round_mode_16_64 0
		.amdhsa_float_denorm_mode_32 3
		.amdhsa_float_denorm_mode_16_64 3
		.amdhsa_dx10_clamp 1
		.amdhsa_ieee_mode 1
		.amdhsa_fp16_overflow 0
		.amdhsa_tg_split 0
		.amdhsa_exception_fp_ieee_invalid_op 0
		.amdhsa_exception_fp_denorm_src 0
		.amdhsa_exception_fp_ieee_div_zero 0
		.amdhsa_exception_fp_ieee_overflow 0
		.amdhsa_exception_fp_ieee_underflow 0
		.amdhsa_exception_fp_ieee_inexact 0
		.amdhsa_exception_int_div_zero 0
	.end_amdhsa_kernel
	.section	.text._ZN7rocprim17ROCPRIM_400000_NS6detail17trampoline_kernelINS0_14default_configENS1_25partition_config_selectorILNS1_17partition_subalgoE1EyNS0_10empty_typeEbEEZZNS1_14partition_implILS5_1ELb0ES3_jN6thrust23THRUST_200600_302600_NS6detail15normal_iteratorINSA_10device_ptrIyEEEEPS6_NSA_18transform_iteratorI7is_evenIyESF_NSA_11use_defaultESK_EENS0_5tupleIJSF_SF_EEENSM_IJSG_SG_EEES6_PlJS6_EEE10hipError_tPvRmT3_T4_T5_T6_T7_T9_mT8_P12ihipStream_tbDpT10_ENKUlT_T0_E_clISt17integral_constantIbLb0EES19_EEDaS14_S15_EUlS14_E_NS1_11comp_targetILNS1_3genE2ELNS1_11target_archE906ELNS1_3gpuE6ELNS1_3repE0EEENS1_30default_config_static_selectorELNS0_4arch9wavefront6targetE1EEEvT1_,"axG",@progbits,_ZN7rocprim17ROCPRIM_400000_NS6detail17trampoline_kernelINS0_14default_configENS1_25partition_config_selectorILNS1_17partition_subalgoE1EyNS0_10empty_typeEbEEZZNS1_14partition_implILS5_1ELb0ES3_jN6thrust23THRUST_200600_302600_NS6detail15normal_iteratorINSA_10device_ptrIyEEEEPS6_NSA_18transform_iteratorI7is_evenIyESF_NSA_11use_defaultESK_EENS0_5tupleIJSF_SF_EEENSM_IJSG_SG_EEES6_PlJS6_EEE10hipError_tPvRmT3_T4_T5_T6_T7_T9_mT8_P12ihipStream_tbDpT10_ENKUlT_T0_E_clISt17integral_constantIbLb0EES19_EEDaS14_S15_EUlS14_E_NS1_11comp_targetILNS1_3genE2ELNS1_11target_archE906ELNS1_3gpuE6ELNS1_3repE0EEENS1_30default_config_static_selectorELNS0_4arch9wavefront6targetE1EEEvT1_,comdat
.Lfunc_end2207:
	.size	_ZN7rocprim17ROCPRIM_400000_NS6detail17trampoline_kernelINS0_14default_configENS1_25partition_config_selectorILNS1_17partition_subalgoE1EyNS0_10empty_typeEbEEZZNS1_14partition_implILS5_1ELb0ES3_jN6thrust23THRUST_200600_302600_NS6detail15normal_iteratorINSA_10device_ptrIyEEEEPS6_NSA_18transform_iteratorI7is_evenIyESF_NSA_11use_defaultESK_EENS0_5tupleIJSF_SF_EEENSM_IJSG_SG_EEES6_PlJS6_EEE10hipError_tPvRmT3_T4_T5_T6_T7_T9_mT8_P12ihipStream_tbDpT10_ENKUlT_T0_E_clISt17integral_constantIbLb0EES19_EEDaS14_S15_EUlS14_E_NS1_11comp_targetILNS1_3genE2ELNS1_11target_archE906ELNS1_3gpuE6ELNS1_3repE0EEENS1_30default_config_static_selectorELNS0_4arch9wavefront6targetE1EEEvT1_, .Lfunc_end2207-_ZN7rocprim17ROCPRIM_400000_NS6detail17trampoline_kernelINS0_14default_configENS1_25partition_config_selectorILNS1_17partition_subalgoE1EyNS0_10empty_typeEbEEZZNS1_14partition_implILS5_1ELb0ES3_jN6thrust23THRUST_200600_302600_NS6detail15normal_iteratorINSA_10device_ptrIyEEEEPS6_NSA_18transform_iteratorI7is_evenIyESF_NSA_11use_defaultESK_EENS0_5tupleIJSF_SF_EEENSM_IJSG_SG_EEES6_PlJS6_EEE10hipError_tPvRmT3_T4_T5_T6_T7_T9_mT8_P12ihipStream_tbDpT10_ENKUlT_T0_E_clISt17integral_constantIbLb0EES19_EEDaS14_S15_EUlS14_E_NS1_11comp_targetILNS1_3genE2ELNS1_11target_archE906ELNS1_3gpuE6ELNS1_3repE0EEENS1_30default_config_static_selectorELNS0_4arch9wavefront6targetE1EEEvT1_
                                        ; -- End function
	.section	.AMDGPU.csdata,"",@progbits
; Kernel info:
; codeLenInByte = 0
; NumSgprs: 6
; NumVgprs: 0
; NumAgprs: 0
; TotalNumVgprs: 0
; ScratchSize: 0
; MemoryBound: 0
; FloatMode: 240
; IeeeMode: 1
; LDSByteSize: 0 bytes/workgroup (compile time only)
; SGPRBlocks: 0
; VGPRBlocks: 0
; NumSGPRsForWavesPerEU: 6
; NumVGPRsForWavesPerEU: 1
; AccumOffset: 4
; Occupancy: 8
; WaveLimiterHint : 0
; COMPUTE_PGM_RSRC2:SCRATCH_EN: 0
; COMPUTE_PGM_RSRC2:USER_SGPR: 2
; COMPUTE_PGM_RSRC2:TRAP_HANDLER: 0
; COMPUTE_PGM_RSRC2:TGID_X_EN: 1
; COMPUTE_PGM_RSRC2:TGID_Y_EN: 0
; COMPUTE_PGM_RSRC2:TGID_Z_EN: 0
; COMPUTE_PGM_RSRC2:TIDIG_COMP_CNT: 0
; COMPUTE_PGM_RSRC3_GFX90A:ACCUM_OFFSET: 0
; COMPUTE_PGM_RSRC3_GFX90A:TG_SPLIT: 0
	.section	.text._ZN7rocprim17ROCPRIM_400000_NS6detail17trampoline_kernelINS0_14default_configENS1_25partition_config_selectorILNS1_17partition_subalgoE1EyNS0_10empty_typeEbEEZZNS1_14partition_implILS5_1ELb0ES3_jN6thrust23THRUST_200600_302600_NS6detail15normal_iteratorINSA_10device_ptrIyEEEEPS6_NSA_18transform_iteratorI7is_evenIyESF_NSA_11use_defaultESK_EENS0_5tupleIJSF_SF_EEENSM_IJSG_SG_EEES6_PlJS6_EEE10hipError_tPvRmT3_T4_T5_T6_T7_T9_mT8_P12ihipStream_tbDpT10_ENKUlT_T0_E_clISt17integral_constantIbLb0EES19_EEDaS14_S15_EUlS14_E_NS1_11comp_targetILNS1_3genE10ELNS1_11target_archE1200ELNS1_3gpuE4ELNS1_3repE0EEENS1_30default_config_static_selectorELNS0_4arch9wavefront6targetE1EEEvT1_,"axG",@progbits,_ZN7rocprim17ROCPRIM_400000_NS6detail17trampoline_kernelINS0_14default_configENS1_25partition_config_selectorILNS1_17partition_subalgoE1EyNS0_10empty_typeEbEEZZNS1_14partition_implILS5_1ELb0ES3_jN6thrust23THRUST_200600_302600_NS6detail15normal_iteratorINSA_10device_ptrIyEEEEPS6_NSA_18transform_iteratorI7is_evenIyESF_NSA_11use_defaultESK_EENS0_5tupleIJSF_SF_EEENSM_IJSG_SG_EEES6_PlJS6_EEE10hipError_tPvRmT3_T4_T5_T6_T7_T9_mT8_P12ihipStream_tbDpT10_ENKUlT_T0_E_clISt17integral_constantIbLb0EES19_EEDaS14_S15_EUlS14_E_NS1_11comp_targetILNS1_3genE10ELNS1_11target_archE1200ELNS1_3gpuE4ELNS1_3repE0EEENS1_30default_config_static_selectorELNS0_4arch9wavefront6targetE1EEEvT1_,comdat
	.protected	_ZN7rocprim17ROCPRIM_400000_NS6detail17trampoline_kernelINS0_14default_configENS1_25partition_config_selectorILNS1_17partition_subalgoE1EyNS0_10empty_typeEbEEZZNS1_14partition_implILS5_1ELb0ES3_jN6thrust23THRUST_200600_302600_NS6detail15normal_iteratorINSA_10device_ptrIyEEEEPS6_NSA_18transform_iteratorI7is_evenIyESF_NSA_11use_defaultESK_EENS0_5tupleIJSF_SF_EEENSM_IJSG_SG_EEES6_PlJS6_EEE10hipError_tPvRmT3_T4_T5_T6_T7_T9_mT8_P12ihipStream_tbDpT10_ENKUlT_T0_E_clISt17integral_constantIbLb0EES19_EEDaS14_S15_EUlS14_E_NS1_11comp_targetILNS1_3genE10ELNS1_11target_archE1200ELNS1_3gpuE4ELNS1_3repE0EEENS1_30default_config_static_selectorELNS0_4arch9wavefront6targetE1EEEvT1_ ; -- Begin function _ZN7rocprim17ROCPRIM_400000_NS6detail17trampoline_kernelINS0_14default_configENS1_25partition_config_selectorILNS1_17partition_subalgoE1EyNS0_10empty_typeEbEEZZNS1_14partition_implILS5_1ELb0ES3_jN6thrust23THRUST_200600_302600_NS6detail15normal_iteratorINSA_10device_ptrIyEEEEPS6_NSA_18transform_iteratorI7is_evenIyESF_NSA_11use_defaultESK_EENS0_5tupleIJSF_SF_EEENSM_IJSG_SG_EEES6_PlJS6_EEE10hipError_tPvRmT3_T4_T5_T6_T7_T9_mT8_P12ihipStream_tbDpT10_ENKUlT_T0_E_clISt17integral_constantIbLb0EES19_EEDaS14_S15_EUlS14_E_NS1_11comp_targetILNS1_3genE10ELNS1_11target_archE1200ELNS1_3gpuE4ELNS1_3repE0EEENS1_30default_config_static_selectorELNS0_4arch9wavefront6targetE1EEEvT1_
	.globl	_ZN7rocprim17ROCPRIM_400000_NS6detail17trampoline_kernelINS0_14default_configENS1_25partition_config_selectorILNS1_17partition_subalgoE1EyNS0_10empty_typeEbEEZZNS1_14partition_implILS5_1ELb0ES3_jN6thrust23THRUST_200600_302600_NS6detail15normal_iteratorINSA_10device_ptrIyEEEEPS6_NSA_18transform_iteratorI7is_evenIyESF_NSA_11use_defaultESK_EENS0_5tupleIJSF_SF_EEENSM_IJSG_SG_EEES6_PlJS6_EEE10hipError_tPvRmT3_T4_T5_T6_T7_T9_mT8_P12ihipStream_tbDpT10_ENKUlT_T0_E_clISt17integral_constantIbLb0EES19_EEDaS14_S15_EUlS14_E_NS1_11comp_targetILNS1_3genE10ELNS1_11target_archE1200ELNS1_3gpuE4ELNS1_3repE0EEENS1_30default_config_static_selectorELNS0_4arch9wavefront6targetE1EEEvT1_
	.p2align	8
	.type	_ZN7rocprim17ROCPRIM_400000_NS6detail17trampoline_kernelINS0_14default_configENS1_25partition_config_selectorILNS1_17partition_subalgoE1EyNS0_10empty_typeEbEEZZNS1_14partition_implILS5_1ELb0ES3_jN6thrust23THRUST_200600_302600_NS6detail15normal_iteratorINSA_10device_ptrIyEEEEPS6_NSA_18transform_iteratorI7is_evenIyESF_NSA_11use_defaultESK_EENS0_5tupleIJSF_SF_EEENSM_IJSG_SG_EEES6_PlJS6_EEE10hipError_tPvRmT3_T4_T5_T6_T7_T9_mT8_P12ihipStream_tbDpT10_ENKUlT_T0_E_clISt17integral_constantIbLb0EES19_EEDaS14_S15_EUlS14_E_NS1_11comp_targetILNS1_3genE10ELNS1_11target_archE1200ELNS1_3gpuE4ELNS1_3repE0EEENS1_30default_config_static_selectorELNS0_4arch9wavefront6targetE1EEEvT1_,@function
_ZN7rocprim17ROCPRIM_400000_NS6detail17trampoline_kernelINS0_14default_configENS1_25partition_config_selectorILNS1_17partition_subalgoE1EyNS0_10empty_typeEbEEZZNS1_14partition_implILS5_1ELb0ES3_jN6thrust23THRUST_200600_302600_NS6detail15normal_iteratorINSA_10device_ptrIyEEEEPS6_NSA_18transform_iteratorI7is_evenIyESF_NSA_11use_defaultESK_EENS0_5tupleIJSF_SF_EEENSM_IJSG_SG_EEES6_PlJS6_EEE10hipError_tPvRmT3_T4_T5_T6_T7_T9_mT8_P12ihipStream_tbDpT10_ENKUlT_T0_E_clISt17integral_constantIbLb0EES19_EEDaS14_S15_EUlS14_E_NS1_11comp_targetILNS1_3genE10ELNS1_11target_archE1200ELNS1_3gpuE4ELNS1_3repE0EEENS1_30default_config_static_selectorELNS0_4arch9wavefront6targetE1EEEvT1_: ; @_ZN7rocprim17ROCPRIM_400000_NS6detail17trampoline_kernelINS0_14default_configENS1_25partition_config_selectorILNS1_17partition_subalgoE1EyNS0_10empty_typeEbEEZZNS1_14partition_implILS5_1ELb0ES3_jN6thrust23THRUST_200600_302600_NS6detail15normal_iteratorINSA_10device_ptrIyEEEEPS6_NSA_18transform_iteratorI7is_evenIyESF_NSA_11use_defaultESK_EENS0_5tupleIJSF_SF_EEENSM_IJSG_SG_EEES6_PlJS6_EEE10hipError_tPvRmT3_T4_T5_T6_T7_T9_mT8_P12ihipStream_tbDpT10_ENKUlT_T0_E_clISt17integral_constantIbLb0EES19_EEDaS14_S15_EUlS14_E_NS1_11comp_targetILNS1_3genE10ELNS1_11target_archE1200ELNS1_3gpuE4ELNS1_3repE0EEENS1_30default_config_static_selectorELNS0_4arch9wavefront6targetE1EEEvT1_
; %bb.0:
	.section	.rodata,"a",@progbits
	.p2align	6, 0x0
	.amdhsa_kernel _ZN7rocprim17ROCPRIM_400000_NS6detail17trampoline_kernelINS0_14default_configENS1_25partition_config_selectorILNS1_17partition_subalgoE1EyNS0_10empty_typeEbEEZZNS1_14partition_implILS5_1ELb0ES3_jN6thrust23THRUST_200600_302600_NS6detail15normal_iteratorINSA_10device_ptrIyEEEEPS6_NSA_18transform_iteratorI7is_evenIyESF_NSA_11use_defaultESK_EENS0_5tupleIJSF_SF_EEENSM_IJSG_SG_EEES6_PlJS6_EEE10hipError_tPvRmT3_T4_T5_T6_T7_T9_mT8_P12ihipStream_tbDpT10_ENKUlT_T0_E_clISt17integral_constantIbLb0EES19_EEDaS14_S15_EUlS14_E_NS1_11comp_targetILNS1_3genE10ELNS1_11target_archE1200ELNS1_3gpuE4ELNS1_3repE0EEENS1_30default_config_static_selectorELNS0_4arch9wavefront6targetE1EEEvT1_
		.amdhsa_group_segment_fixed_size 0
		.amdhsa_private_segment_fixed_size 0
		.amdhsa_kernarg_size 128
		.amdhsa_user_sgpr_count 2
		.amdhsa_user_sgpr_dispatch_ptr 0
		.amdhsa_user_sgpr_queue_ptr 0
		.amdhsa_user_sgpr_kernarg_segment_ptr 1
		.amdhsa_user_sgpr_dispatch_id 0
		.amdhsa_user_sgpr_kernarg_preload_length 0
		.amdhsa_user_sgpr_kernarg_preload_offset 0
		.amdhsa_user_sgpr_private_segment_size 0
		.amdhsa_uses_dynamic_stack 0
		.amdhsa_enable_private_segment 0
		.amdhsa_system_sgpr_workgroup_id_x 1
		.amdhsa_system_sgpr_workgroup_id_y 0
		.amdhsa_system_sgpr_workgroup_id_z 0
		.amdhsa_system_sgpr_workgroup_info 0
		.amdhsa_system_vgpr_workitem_id 0
		.amdhsa_next_free_vgpr 1
		.amdhsa_next_free_sgpr 0
		.amdhsa_accum_offset 4
		.amdhsa_reserve_vcc 0
		.amdhsa_float_round_mode_32 0
		.amdhsa_float_round_mode_16_64 0
		.amdhsa_float_denorm_mode_32 3
		.amdhsa_float_denorm_mode_16_64 3
		.amdhsa_dx10_clamp 1
		.amdhsa_ieee_mode 1
		.amdhsa_fp16_overflow 0
		.amdhsa_tg_split 0
		.amdhsa_exception_fp_ieee_invalid_op 0
		.amdhsa_exception_fp_denorm_src 0
		.amdhsa_exception_fp_ieee_div_zero 0
		.amdhsa_exception_fp_ieee_overflow 0
		.amdhsa_exception_fp_ieee_underflow 0
		.amdhsa_exception_fp_ieee_inexact 0
		.amdhsa_exception_int_div_zero 0
	.end_amdhsa_kernel
	.section	.text._ZN7rocprim17ROCPRIM_400000_NS6detail17trampoline_kernelINS0_14default_configENS1_25partition_config_selectorILNS1_17partition_subalgoE1EyNS0_10empty_typeEbEEZZNS1_14partition_implILS5_1ELb0ES3_jN6thrust23THRUST_200600_302600_NS6detail15normal_iteratorINSA_10device_ptrIyEEEEPS6_NSA_18transform_iteratorI7is_evenIyESF_NSA_11use_defaultESK_EENS0_5tupleIJSF_SF_EEENSM_IJSG_SG_EEES6_PlJS6_EEE10hipError_tPvRmT3_T4_T5_T6_T7_T9_mT8_P12ihipStream_tbDpT10_ENKUlT_T0_E_clISt17integral_constantIbLb0EES19_EEDaS14_S15_EUlS14_E_NS1_11comp_targetILNS1_3genE10ELNS1_11target_archE1200ELNS1_3gpuE4ELNS1_3repE0EEENS1_30default_config_static_selectorELNS0_4arch9wavefront6targetE1EEEvT1_,"axG",@progbits,_ZN7rocprim17ROCPRIM_400000_NS6detail17trampoline_kernelINS0_14default_configENS1_25partition_config_selectorILNS1_17partition_subalgoE1EyNS0_10empty_typeEbEEZZNS1_14partition_implILS5_1ELb0ES3_jN6thrust23THRUST_200600_302600_NS6detail15normal_iteratorINSA_10device_ptrIyEEEEPS6_NSA_18transform_iteratorI7is_evenIyESF_NSA_11use_defaultESK_EENS0_5tupleIJSF_SF_EEENSM_IJSG_SG_EEES6_PlJS6_EEE10hipError_tPvRmT3_T4_T5_T6_T7_T9_mT8_P12ihipStream_tbDpT10_ENKUlT_T0_E_clISt17integral_constantIbLb0EES19_EEDaS14_S15_EUlS14_E_NS1_11comp_targetILNS1_3genE10ELNS1_11target_archE1200ELNS1_3gpuE4ELNS1_3repE0EEENS1_30default_config_static_selectorELNS0_4arch9wavefront6targetE1EEEvT1_,comdat
.Lfunc_end2208:
	.size	_ZN7rocprim17ROCPRIM_400000_NS6detail17trampoline_kernelINS0_14default_configENS1_25partition_config_selectorILNS1_17partition_subalgoE1EyNS0_10empty_typeEbEEZZNS1_14partition_implILS5_1ELb0ES3_jN6thrust23THRUST_200600_302600_NS6detail15normal_iteratorINSA_10device_ptrIyEEEEPS6_NSA_18transform_iteratorI7is_evenIyESF_NSA_11use_defaultESK_EENS0_5tupleIJSF_SF_EEENSM_IJSG_SG_EEES6_PlJS6_EEE10hipError_tPvRmT3_T4_T5_T6_T7_T9_mT8_P12ihipStream_tbDpT10_ENKUlT_T0_E_clISt17integral_constantIbLb0EES19_EEDaS14_S15_EUlS14_E_NS1_11comp_targetILNS1_3genE10ELNS1_11target_archE1200ELNS1_3gpuE4ELNS1_3repE0EEENS1_30default_config_static_selectorELNS0_4arch9wavefront6targetE1EEEvT1_, .Lfunc_end2208-_ZN7rocprim17ROCPRIM_400000_NS6detail17trampoline_kernelINS0_14default_configENS1_25partition_config_selectorILNS1_17partition_subalgoE1EyNS0_10empty_typeEbEEZZNS1_14partition_implILS5_1ELb0ES3_jN6thrust23THRUST_200600_302600_NS6detail15normal_iteratorINSA_10device_ptrIyEEEEPS6_NSA_18transform_iteratorI7is_evenIyESF_NSA_11use_defaultESK_EENS0_5tupleIJSF_SF_EEENSM_IJSG_SG_EEES6_PlJS6_EEE10hipError_tPvRmT3_T4_T5_T6_T7_T9_mT8_P12ihipStream_tbDpT10_ENKUlT_T0_E_clISt17integral_constantIbLb0EES19_EEDaS14_S15_EUlS14_E_NS1_11comp_targetILNS1_3genE10ELNS1_11target_archE1200ELNS1_3gpuE4ELNS1_3repE0EEENS1_30default_config_static_selectorELNS0_4arch9wavefront6targetE1EEEvT1_
                                        ; -- End function
	.section	.AMDGPU.csdata,"",@progbits
; Kernel info:
; codeLenInByte = 0
; NumSgprs: 6
; NumVgprs: 0
; NumAgprs: 0
; TotalNumVgprs: 0
; ScratchSize: 0
; MemoryBound: 0
; FloatMode: 240
; IeeeMode: 1
; LDSByteSize: 0 bytes/workgroup (compile time only)
; SGPRBlocks: 0
; VGPRBlocks: 0
; NumSGPRsForWavesPerEU: 6
; NumVGPRsForWavesPerEU: 1
; AccumOffset: 4
; Occupancy: 8
; WaveLimiterHint : 0
; COMPUTE_PGM_RSRC2:SCRATCH_EN: 0
; COMPUTE_PGM_RSRC2:USER_SGPR: 2
; COMPUTE_PGM_RSRC2:TRAP_HANDLER: 0
; COMPUTE_PGM_RSRC2:TGID_X_EN: 1
; COMPUTE_PGM_RSRC2:TGID_Y_EN: 0
; COMPUTE_PGM_RSRC2:TGID_Z_EN: 0
; COMPUTE_PGM_RSRC2:TIDIG_COMP_CNT: 0
; COMPUTE_PGM_RSRC3_GFX90A:ACCUM_OFFSET: 0
; COMPUTE_PGM_RSRC3_GFX90A:TG_SPLIT: 0
	.section	.text._ZN7rocprim17ROCPRIM_400000_NS6detail17trampoline_kernelINS0_14default_configENS1_25partition_config_selectorILNS1_17partition_subalgoE1EyNS0_10empty_typeEbEEZZNS1_14partition_implILS5_1ELb0ES3_jN6thrust23THRUST_200600_302600_NS6detail15normal_iteratorINSA_10device_ptrIyEEEEPS6_NSA_18transform_iteratorI7is_evenIyESF_NSA_11use_defaultESK_EENS0_5tupleIJSF_SF_EEENSM_IJSG_SG_EEES6_PlJS6_EEE10hipError_tPvRmT3_T4_T5_T6_T7_T9_mT8_P12ihipStream_tbDpT10_ENKUlT_T0_E_clISt17integral_constantIbLb0EES19_EEDaS14_S15_EUlS14_E_NS1_11comp_targetILNS1_3genE9ELNS1_11target_archE1100ELNS1_3gpuE3ELNS1_3repE0EEENS1_30default_config_static_selectorELNS0_4arch9wavefront6targetE1EEEvT1_,"axG",@progbits,_ZN7rocprim17ROCPRIM_400000_NS6detail17trampoline_kernelINS0_14default_configENS1_25partition_config_selectorILNS1_17partition_subalgoE1EyNS0_10empty_typeEbEEZZNS1_14partition_implILS5_1ELb0ES3_jN6thrust23THRUST_200600_302600_NS6detail15normal_iteratorINSA_10device_ptrIyEEEEPS6_NSA_18transform_iteratorI7is_evenIyESF_NSA_11use_defaultESK_EENS0_5tupleIJSF_SF_EEENSM_IJSG_SG_EEES6_PlJS6_EEE10hipError_tPvRmT3_T4_T5_T6_T7_T9_mT8_P12ihipStream_tbDpT10_ENKUlT_T0_E_clISt17integral_constantIbLb0EES19_EEDaS14_S15_EUlS14_E_NS1_11comp_targetILNS1_3genE9ELNS1_11target_archE1100ELNS1_3gpuE3ELNS1_3repE0EEENS1_30default_config_static_selectorELNS0_4arch9wavefront6targetE1EEEvT1_,comdat
	.protected	_ZN7rocprim17ROCPRIM_400000_NS6detail17trampoline_kernelINS0_14default_configENS1_25partition_config_selectorILNS1_17partition_subalgoE1EyNS0_10empty_typeEbEEZZNS1_14partition_implILS5_1ELb0ES3_jN6thrust23THRUST_200600_302600_NS6detail15normal_iteratorINSA_10device_ptrIyEEEEPS6_NSA_18transform_iteratorI7is_evenIyESF_NSA_11use_defaultESK_EENS0_5tupleIJSF_SF_EEENSM_IJSG_SG_EEES6_PlJS6_EEE10hipError_tPvRmT3_T4_T5_T6_T7_T9_mT8_P12ihipStream_tbDpT10_ENKUlT_T0_E_clISt17integral_constantIbLb0EES19_EEDaS14_S15_EUlS14_E_NS1_11comp_targetILNS1_3genE9ELNS1_11target_archE1100ELNS1_3gpuE3ELNS1_3repE0EEENS1_30default_config_static_selectorELNS0_4arch9wavefront6targetE1EEEvT1_ ; -- Begin function _ZN7rocprim17ROCPRIM_400000_NS6detail17trampoline_kernelINS0_14default_configENS1_25partition_config_selectorILNS1_17partition_subalgoE1EyNS0_10empty_typeEbEEZZNS1_14partition_implILS5_1ELb0ES3_jN6thrust23THRUST_200600_302600_NS6detail15normal_iteratorINSA_10device_ptrIyEEEEPS6_NSA_18transform_iteratorI7is_evenIyESF_NSA_11use_defaultESK_EENS0_5tupleIJSF_SF_EEENSM_IJSG_SG_EEES6_PlJS6_EEE10hipError_tPvRmT3_T4_T5_T6_T7_T9_mT8_P12ihipStream_tbDpT10_ENKUlT_T0_E_clISt17integral_constantIbLb0EES19_EEDaS14_S15_EUlS14_E_NS1_11comp_targetILNS1_3genE9ELNS1_11target_archE1100ELNS1_3gpuE3ELNS1_3repE0EEENS1_30default_config_static_selectorELNS0_4arch9wavefront6targetE1EEEvT1_
	.globl	_ZN7rocprim17ROCPRIM_400000_NS6detail17trampoline_kernelINS0_14default_configENS1_25partition_config_selectorILNS1_17partition_subalgoE1EyNS0_10empty_typeEbEEZZNS1_14partition_implILS5_1ELb0ES3_jN6thrust23THRUST_200600_302600_NS6detail15normal_iteratorINSA_10device_ptrIyEEEEPS6_NSA_18transform_iteratorI7is_evenIyESF_NSA_11use_defaultESK_EENS0_5tupleIJSF_SF_EEENSM_IJSG_SG_EEES6_PlJS6_EEE10hipError_tPvRmT3_T4_T5_T6_T7_T9_mT8_P12ihipStream_tbDpT10_ENKUlT_T0_E_clISt17integral_constantIbLb0EES19_EEDaS14_S15_EUlS14_E_NS1_11comp_targetILNS1_3genE9ELNS1_11target_archE1100ELNS1_3gpuE3ELNS1_3repE0EEENS1_30default_config_static_selectorELNS0_4arch9wavefront6targetE1EEEvT1_
	.p2align	8
	.type	_ZN7rocprim17ROCPRIM_400000_NS6detail17trampoline_kernelINS0_14default_configENS1_25partition_config_selectorILNS1_17partition_subalgoE1EyNS0_10empty_typeEbEEZZNS1_14partition_implILS5_1ELb0ES3_jN6thrust23THRUST_200600_302600_NS6detail15normal_iteratorINSA_10device_ptrIyEEEEPS6_NSA_18transform_iteratorI7is_evenIyESF_NSA_11use_defaultESK_EENS0_5tupleIJSF_SF_EEENSM_IJSG_SG_EEES6_PlJS6_EEE10hipError_tPvRmT3_T4_T5_T6_T7_T9_mT8_P12ihipStream_tbDpT10_ENKUlT_T0_E_clISt17integral_constantIbLb0EES19_EEDaS14_S15_EUlS14_E_NS1_11comp_targetILNS1_3genE9ELNS1_11target_archE1100ELNS1_3gpuE3ELNS1_3repE0EEENS1_30default_config_static_selectorELNS0_4arch9wavefront6targetE1EEEvT1_,@function
_ZN7rocprim17ROCPRIM_400000_NS6detail17trampoline_kernelINS0_14default_configENS1_25partition_config_selectorILNS1_17partition_subalgoE1EyNS0_10empty_typeEbEEZZNS1_14partition_implILS5_1ELb0ES3_jN6thrust23THRUST_200600_302600_NS6detail15normal_iteratorINSA_10device_ptrIyEEEEPS6_NSA_18transform_iteratorI7is_evenIyESF_NSA_11use_defaultESK_EENS0_5tupleIJSF_SF_EEENSM_IJSG_SG_EEES6_PlJS6_EEE10hipError_tPvRmT3_T4_T5_T6_T7_T9_mT8_P12ihipStream_tbDpT10_ENKUlT_T0_E_clISt17integral_constantIbLb0EES19_EEDaS14_S15_EUlS14_E_NS1_11comp_targetILNS1_3genE9ELNS1_11target_archE1100ELNS1_3gpuE3ELNS1_3repE0EEENS1_30default_config_static_selectorELNS0_4arch9wavefront6targetE1EEEvT1_: ; @_ZN7rocprim17ROCPRIM_400000_NS6detail17trampoline_kernelINS0_14default_configENS1_25partition_config_selectorILNS1_17partition_subalgoE1EyNS0_10empty_typeEbEEZZNS1_14partition_implILS5_1ELb0ES3_jN6thrust23THRUST_200600_302600_NS6detail15normal_iteratorINSA_10device_ptrIyEEEEPS6_NSA_18transform_iteratorI7is_evenIyESF_NSA_11use_defaultESK_EENS0_5tupleIJSF_SF_EEENSM_IJSG_SG_EEES6_PlJS6_EEE10hipError_tPvRmT3_T4_T5_T6_T7_T9_mT8_P12ihipStream_tbDpT10_ENKUlT_T0_E_clISt17integral_constantIbLb0EES19_EEDaS14_S15_EUlS14_E_NS1_11comp_targetILNS1_3genE9ELNS1_11target_archE1100ELNS1_3gpuE3ELNS1_3repE0EEENS1_30default_config_static_selectorELNS0_4arch9wavefront6targetE1EEEvT1_
; %bb.0:
	.section	.rodata,"a",@progbits
	.p2align	6, 0x0
	.amdhsa_kernel _ZN7rocprim17ROCPRIM_400000_NS6detail17trampoline_kernelINS0_14default_configENS1_25partition_config_selectorILNS1_17partition_subalgoE1EyNS0_10empty_typeEbEEZZNS1_14partition_implILS5_1ELb0ES3_jN6thrust23THRUST_200600_302600_NS6detail15normal_iteratorINSA_10device_ptrIyEEEEPS6_NSA_18transform_iteratorI7is_evenIyESF_NSA_11use_defaultESK_EENS0_5tupleIJSF_SF_EEENSM_IJSG_SG_EEES6_PlJS6_EEE10hipError_tPvRmT3_T4_T5_T6_T7_T9_mT8_P12ihipStream_tbDpT10_ENKUlT_T0_E_clISt17integral_constantIbLb0EES19_EEDaS14_S15_EUlS14_E_NS1_11comp_targetILNS1_3genE9ELNS1_11target_archE1100ELNS1_3gpuE3ELNS1_3repE0EEENS1_30default_config_static_selectorELNS0_4arch9wavefront6targetE1EEEvT1_
		.amdhsa_group_segment_fixed_size 0
		.amdhsa_private_segment_fixed_size 0
		.amdhsa_kernarg_size 128
		.amdhsa_user_sgpr_count 2
		.amdhsa_user_sgpr_dispatch_ptr 0
		.amdhsa_user_sgpr_queue_ptr 0
		.amdhsa_user_sgpr_kernarg_segment_ptr 1
		.amdhsa_user_sgpr_dispatch_id 0
		.amdhsa_user_sgpr_kernarg_preload_length 0
		.amdhsa_user_sgpr_kernarg_preload_offset 0
		.amdhsa_user_sgpr_private_segment_size 0
		.amdhsa_uses_dynamic_stack 0
		.amdhsa_enable_private_segment 0
		.amdhsa_system_sgpr_workgroup_id_x 1
		.amdhsa_system_sgpr_workgroup_id_y 0
		.amdhsa_system_sgpr_workgroup_id_z 0
		.amdhsa_system_sgpr_workgroup_info 0
		.amdhsa_system_vgpr_workitem_id 0
		.amdhsa_next_free_vgpr 1
		.amdhsa_next_free_sgpr 0
		.amdhsa_accum_offset 4
		.amdhsa_reserve_vcc 0
		.amdhsa_float_round_mode_32 0
		.amdhsa_float_round_mode_16_64 0
		.amdhsa_float_denorm_mode_32 3
		.amdhsa_float_denorm_mode_16_64 3
		.amdhsa_dx10_clamp 1
		.amdhsa_ieee_mode 1
		.amdhsa_fp16_overflow 0
		.amdhsa_tg_split 0
		.amdhsa_exception_fp_ieee_invalid_op 0
		.amdhsa_exception_fp_denorm_src 0
		.amdhsa_exception_fp_ieee_div_zero 0
		.amdhsa_exception_fp_ieee_overflow 0
		.amdhsa_exception_fp_ieee_underflow 0
		.amdhsa_exception_fp_ieee_inexact 0
		.amdhsa_exception_int_div_zero 0
	.end_amdhsa_kernel
	.section	.text._ZN7rocprim17ROCPRIM_400000_NS6detail17trampoline_kernelINS0_14default_configENS1_25partition_config_selectorILNS1_17partition_subalgoE1EyNS0_10empty_typeEbEEZZNS1_14partition_implILS5_1ELb0ES3_jN6thrust23THRUST_200600_302600_NS6detail15normal_iteratorINSA_10device_ptrIyEEEEPS6_NSA_18transform_iteratorI7is_evenIyESF_NSA_11use_defaultESK_EENS0_5tupleIJSF_SF_EEENSM_IJSG_SG_EEES6_PlJS6_EEE10hipError_tPvRmT3_T4_T5_T6_T7_T9_mT8_P12ihipStream_tbDpT10_ENKUlT_T0_E_clISt17integral_constantIbLb0EES19_EEDaS14_S15_EUlS14_E_NS1_11comp_targetILNS1_3genE9ELNS1_11target_archE1100ELNS1_3gpuE3ELNS1_3repE0EEENS1_30default_config_static_selectorELNS0_4arch9wavefront6targetE1EEEvT1_,"axG",@progbits,_ZN7rocprim17ROCPRIM_400000_NS6detail17trampoline_kernelINS0_14default_configENS1_25partition_config_selectorILNS1_17partition_subalgoE1EyNS0_10empty_typeEbEEZZNS1_14partition_implILS5_1ELb0ES3_jN6thrust23THRUST_200600_302600_NS6detail15normal_iteratorINSA_10device_ptrIyEEEEPS6_NSA_18transform_iteratorI7is_evenIyESF_NSA_11use_defaultESK_EENS0_5tupleIJSF_SF_EEENSM_IJSG_SG_EEES6_PlJS6_EEE10hipError_tPvRmT3_T4_T5_T6_T7_T9_mT8_P12ihipStream_tbDpT10_ENKUlT_T0_E_clISt17integral_constantIbLb0EES19_EEDaS14_S15_EUlS14_E_NS1_11comp_targetILNS1_3genE9ELNS1_11target_archE1100ELNS1_3gpuE3ELNS1_3repE0EEENS1_30default_config_static_selectorELNS0_4arch9wavefront6targetE1EEEvT1_,comdat
.Lfunc_end2209:
	.size	_ZN7rocprim17ROCPRIM_400000_NS6detail17trampoline_kernelINS0_14default_configENS1_25partition_config_selectorILNS1_17partition_subalgoE1EyNS0_10empty_typeEbEEZZNS1_14partition_implILS5_1ELb0ES3_jN6thrust23THRUST_200600_302600_NS6detail15normal_iteratorINSA_10device_ptrIyEEEEPS6_NSA_18transform_iteratorI7is_evenIyESF_NSA_11use_defaultESK_EENS0_5tupleIJSF_SF_EEENSM_IJSG_SG_EEES6_PlJS6_EEE10hipError_tPvRmT3_T4_T5_T6_T7_T9_mT8_P12ihipStream_tbDpT10_ENKUlT_T0_E_clISt17integral_constantIbLb0EES19_EEDaS14_S15_EUlS14_E_NS1_11comp_targetILNS1_3genE9ELNS1_11target_archE1100ELNS1_3gpuE3ELNS1_3repE0EEENS1_30default_config_static_selectorELNS0_4arch9wavefront6targetE1EEEvT1_, .Lfunc_end2209-_ZN7rocprim17ROCPRIM_400000_NS6detail17trampoline_kernelINS0_14default_configENS1_25partition_config_selectorILNS1_17partition_subalgoE1EyNS0_10empty_typeEbEEZZNS1_14partition_implILS5_1ELb0ES3_jN6thrust23THRUST_200600_302600_NS6detail15normal_iteratorINSA_10device_ptrIyEEEEPS6_NSA_18transform_iteratorI7is_evenIyESF_NSA_11use_defaultESK_EENS0_5tupleIJSF_SF_EEENSM_IJSG_SG_EEES6_PlJS6_EEE10hipError_tPvRmT3_T4_T5_T6_T7_T9_mT8_P12ihipStream_tbDpT10_ENKUlT_T0_E_clISt17integral_constantIbLb0EES19_EEDaS14_S15_EUlS14_E_NS1_11comp_targetILNS1_3genE9ELNS1_11target_archE1100ELNS1_3gpuE3ELNS1_3repE0EEENS1_30default_config_static_selectorELNS0_4arch9wavefront6targetE1EEEvT1_
                                        ; -- End function
	.section	.AMDGPU.csdata,"",@progbits
; Kernel info:
; codeLenInByte = 0
; NumSgprs: 6
; NumVgprs: 0
; NumAgprs: 0
; TotalNumVgprs: 0
; ScratchSize: 0
; MemoryBound: 0
; FloatMode: 240
; IeeeMode: 1
; LDSByteSize: 0 bytes/workgroup (compile time only)
; SGPRBlocks: 0
; VGPRBlocks: 0
; NumSGPRsForWavesPerEU: 6
; NumVGPRsForWavesPerEU: 1
; AccumOffset: 4
; Occupancy: 8
; WaveLimiterHint : 0
; COMPUTE_PGM_RSRC2:SCRATCH_EN: 0
; COMPUTE_PGM_RSRC2:USER_SGPR: 2
; COMPUTE_PGM_RSRC2:TRAP_HANDLER: 0
; COMPUTE_PGM_RSRC2:TGID_X_EN: 1
; COMPUTE_PGM_RSRC2:TGID_Y_EN: 0
; COMPUTE_PGM_RSRC2:TGID_Z_EN: 0
; COMPUTE_PGM_RSRC2:TIDIG_COMP_CNT: 0
; COMPUTE_PGM_RSRC3_GFX90A:ACCUM_OFFSET: 0
; COMPUTE_PGM_RSRC3_GFX90A:TG_SPLIT: 0
	.section	.text._ZN7rocprim17ROCPRIM_400000_NS6detail17trampoline_kernelINS0_14default_configENS1_25partition_config_selectorILNS1_17partition_subalgoE1EyNS0_10empty_typeEbEEZZNS1_14partition_implILS5_1ELb0ES3_jN6thrust23THRUST_200600_302600_NS6detail15normal_iteratorINSA_10device_ptrIyEEEEPS6_NSA_18transform_iteratorI7is_evenIyESF_NSA_11use_defaultESK_EENS0_5tupleIJSF_SF_EEENSM_IJSG_SG_EEES6_PlJS6_EEE10hipError_tPvRmT3_T4_T5_T6_T7_T9_mT8_P12ihipStream_tbDpT10_ENKUlT_T0_E_clISt17integral_constantIbLb0EES19_EEDaS14_S15_EUlS14_E_NS1_11comp_targetILNS1_3genE8ELNS1_11target_archE1030ELNS1_3gpuE2ELNS1_3repE0EEENS1_30default_config_static_selectorELNS0_4arch9wavefront6targetE1EEEvT1_,"axG",@progbits,_ZN7rocprim17ROCPRIM_400000_NS6detail17trampoline_kernelINS0_14default_configENS1_25partition_config_selectorILNS1_17partition_subalgoE1EyNS0_10empty_typeEbEEZZNS1_14partition_implILS5_1ELb0ES3_jN6thrust23THRUST_200600_302600_NS6detail15normal_iteratorINSA_10device_ptrIyEEEEPS6_NSA_18transform_iteratorI7is_evenIyESF_NSA_11use_defaultESK_EENS0_5tupleIJSF_SF_EEENSM_IJSG_SG_EEES6_PlJS6_EEE10hipError_tPvRmT3_T4_T5_T6_T7_T9_mT8_P12ihipStream_tbDpT10_ENKUlT_T0_E_clISt17integral_constantIbLb0EES19_EEDaS14_S15_EUlS14_E_NS1_11comp_targetILNS1_3genE8ELNS1_11target_archE1030ELNS1_3gpuE2ELNS1_3repE0EEENS1_30default_config_static_selectorELNS0_4arch9wavefront6targetE1EEEvT1_,comdat
	.protected	_ZN7rocprim17ROCPRIM_400000_NS6detail17trampoline_kernelINS0_14default_configENS1_25partition_config_selectorILNS1_17partition_subalgoE1EyNS0_10empty_typeEbEEZZNS1_14partition_implILS5_1ELb0ES3_jN6thrust23THRUST_200600_302600_NS6detail15normal_iteratorINSA_10device_ptrIyEEEEPS6_NSA_18transform_iteratorI7is_evenIyESF_NSA_11use_defaultESK_EENS0_5tupleIJSF_SF_EEENSM_IJSG_SG_EEES6_PlJS6_EEE10hipError_tPvRmT3_T4_T5_T6_T7_T9_mT8_P12ihipStream_tbDpT10_ENKUlT_T0_E_clISt17integral_constantIbLb0EES19_EEDaS14_S15_EUlS14_E_NS1_11comp_targetILNS1_3genE8ELNS1_11target_archE1030ELNS1_3gpuE2ELNS1_3repE0EEENS1_30default_config_static_selectorELNS0_4arch9wavefront6targetE1EEEvT1_ ; -- Begin function _ZN7rocprim17ROCPRIM_400000_NS6detail17trampoline_kernelINS0_14default_configENS1_25partition_config_selectorILNS1_17partition_subalgoE1EyNS0_10empty_typeEbEEZZNS1_14partition_implILS5_1ELb0ES3_jN6thrust23THRUST_200600_302600_NS6detail15normal_iteratorINSA_10device_ptrIyEEEEPS6_NSA_18transform_iteratorI7is_evenIyESF_NSA_11use_defaultESK_EENS0_5tupleIJSF_SF_EEENSM_IJSG_SG_EEES6_PlJS6_EEE10hipError_tPvRmT3_T4_T5_T6_T7_T9_mT8_P12ihipStream_tbDpT10_ENKUlT_T0_E_clISt17integral_constantIbLb0EES19_EEDaS14_S15_EUlS14_E_NS1_11comp_targetILNS1_3genE8ELNS1_11target_archE1030ELNS1_3gpuE2ELNS1_3repE0EEENS1_30default_config_static_selectorELNS0_4arch9wavefront6targetE1EEEvT1_
	.globl	_ZN7rocprim17ROCPRIM_400000_NS6detail17trampoline_kernelINS0_14default_configENS1_25partition_config_selectorILNS1_17partition_subalgoE1EyNS0_10empty_typeEbEEZZNS1_14partition_implILS5_1ELb0ES3_jN6thrust23THRUST_200600_302600_NS6detail15normal_iteratorINSA_10device_ptrIyEEEEPS6_NSA_18transform_iteratorI7is_evenIyESF_NSA_11use_defaultESK_EENS0_5tupleIJSF_SF_EEENSM_IJSG_SG_EEES6_PlJS6_EEE10hipError_tPvRmT3_T4_T5_T6_T7_T9_mT8_P12ihipStream_tbDpT10_ENKUlT_T0_E_clISt17integral_constantIbLb0EES19_EEDaS14_S15_EUlS14_E_NS1_11comp_targetILNS1_3genE8ELNS1_11target_archE1030ELNS1_3gpuE2ELNS1_3repE0EEENS1_30default_config_static_selectorELNS0_4arch9wavefront6targetE1EEEvT1_
	.p2align	8
	.type	_ZN7rocprim17ROCPRIM_400000_NS6detail17trampoline_kernelINS0_14default_configENS1_25partition_config_selectorILNS1_17partition_subalgoE1EyNS0_10empty_typeEbEEZZNS1_14partition_implILS5_1ELb0ES3_jN6thrust23THRUST_200600_302600_NS6detail15normal_iteratorINSA_10device_ptrIyEEEEPS6_NSA_18transform_iteratorI7is_evenIyESF_NSA_11use_defaultESK_EENS0_5tupleIJSF_SF_EEENSM_IJSG_SG_EEES6_PlJS6_EEE10hipError_tPvRmT3_T4_T5_T6_T7_T9_mT8_P12ihipStream_tbDpT10_ENKUlT_T0_E_clISt17integral_constantIbLb0EES19_EEDaS14_S15_EUlS14_E_NS1_11comp_targetILNS1_3genE8ELNS1_11target_archE1030ELNS1_3gpuE2ELNS1_3repE0EEENS1_30default_config_static_selectorELNS0_4arch9wavefront6targetE1EEEvT1_,@function
_ZN7rocprim17ROCPRIM_400000_NS6detail17trampoline_kernelINS0_14default_configENS1_25partition_config_selectorILNS1_17partition_subalgoE1EyNS0_10empty_typeEbEEZZNS1_14partition_implILS5_1ELb0ES3_jN6thrust23THRUST_200600_302600_NS6detail15normal_iteratorINSA_10device_ptrIyEEEEPS6_NSA_18transform_iteratorI7is_evenIyESF_NSA_11use_defaultESK_EENS0_5tupleIJSF_SF_EEENSM_IJSG_SG_EEES6_PlJS6_EEE10hipError_tPvRmT3_T4_T5_T6_T7_T9_mT8_P12ihipStream_tbDpT10_ENKUlT_T0_E_clISt17integral_constantIbLb0EES19_EEDaS14_S15_EUlS14_E_NS1_11comp_targetILNS1_3genE8ELNS1_11target_archE1030ELNS1_3gpuE2ELNS1_3repE0EEENS1_30default_config_static_selectorELNS0_4arch9wavefront6targetE1EEEvT1_: ; @_ZN7rocprim17ROCPRIM_400000_NS6detail17trampoline_kernelINS0_14default_configENS1_25partition_config_selectorILNS1_17partition_subalgoE1EyNS0_10empty_typeEbEEZZNS1_14partition_implILS5_1ELb0ES3_jN6thrust23THRUST_200600_302600_NS6detail15normal_iteratorINSA_10device_ptrIyEEEEPS6_NSA_18transform_iteratorI7is_evenIyESF_NSA_11use_defaultESK_EENS0_5tupleIJSF_SF_EEENSM_IJSG_SG_EEES6_PlJS6_EEE10hipError_tPvRmT3_T4_T5_T6_T7_T9_mT8_P12ihipStream_tbDpT10_ENKUlT_T0_E_clISt17integral_constantIbLb0EES19_EEDaS14_S15_EUlS14_E_NS1_11comp_targetILNS1_3genE8ELNS1_11target_archE1030ELNS1_3gpuE2ELNS1_3repE0EEENS1_30default_config_static_selectorELNS0_4arch9wavefront6targetE1EEEvT1_
; %bb.0:
	.section	.rodata,"a",@progbits
	.p2align	6, 0x0
	.amdhsa_kernel _ZN7rocprim17ROCPRIM_400000_NS6detail17trampoline_kernelINS0_14default_configENS1_25partition_config_selectorILNS1_17partition_subalgoE1EyNS0_10empty_typeEbEEZZNS1_14partition_implILS5_1ELb0ES3_jN6thrust23THRUST_200600_302600_NS6detail15normal_iteratorINSA_10device_ptrIyEEEEPS6_NSA_18transform_iteratorI7is_evenIyESF_NSA_11use_defaultESK_EENS0_5tupleIJSF_SF_EEENSM_IJSG_SG_EEES6_PlJS6_EEE10hipError_tPvRmT3_T4_T5_T6_T7_T9_mT8_P12ihipStream_tbDpT10_ENKUlT_T0_E_clISt17integral_constantIbLb0EES19_EEDaS14_S15_EUlS14_E_NS1_11comp_targetILNS1_3genE8ELNS1_11target_archE1030ELNS1_3gpuE2ELNS1_3repE0EEENS1_30default_config_static_selectorELNS0_4arch9wavefront6targetE1EEEvT1_
		.amdhsa_group_segment_fixed_size 0
		.amdhsa_private_segment_fixed_size 0
		.amdhsa_kernarg_size 128
		.amdhsa_user_sgpr_count 2
		.amdhsa_user_sgpr_dispatch_ptr 0
		.amdhsa_user_sgpr_queue_ptr 0
		.amdhsa_user_sgpr_kernarg_segment_ptr 1
		.amdhsa_user_sgpr_dispatch_id 0
		.amdhsa_user_sgpr_kernarg_preload_length 0
		.amdhsa_user_sgpr_kernarg_preload_offset 0
		.amdhsa_user_sgpr_private_segment_size 0
		.amdhsa_uses_dynamic_stack 0
		.amdhsa_enable_private_segment 0
		.amdhsa_system_sgpr_workgroup_id_x 1
		.amdhsa_system_sgpr_workgroup_id_y 0
		.amdhsa_system_sgpr_workgroup_id_z 0
		.amdhsa_system_sgpr_workgroup_info 0
		.amdhsa_system_vgpr_workitem_id 0
		.amdhsa_next_free_vgpr 1
		.amdhsa_next_free_sgpr 0
		.amdhsa_accum_offset 4
		.amdhsa_reserve_vcc 0
		.amdhsa_float_round_mode_32 0
		.amdhsa_float_round_mode_16_64 0
		.amdhsa_float_denorm_mode_32 3
		.amdhsa_float_denorm_mode_16_64 3
		.amdhsa_dx10_clamp 1
		.amdhsa_ieee_mode 1
		.amdhsa_fp16_overflow 0
		.amdhsa_tg_split 0
		.amdhsa_exception_fp_ieee_invalid_op 0
		.amdhsa_exception_fp_denorm_src 0
		.amdhsa_exception_fp_ieee_div_zero 0
		.amdhsa_exception_fp_ieee_overflow 0
		.amdhsa_exception_fp_ieee_underflow 0
		.amdhsa_exception_fp_ieee_inexact 0
		.amdhsa_exception_int_div_zero 0
	.end_amdhsa_kernel
	.section	.text._ZN7rocprim17ROCPRIM_400000_NS6detail17trampoline_kernelINS0_14default_configENS1_25partition_config_selectorILNS1_17partition_subalgoE1EyNS0_10empty_typeEbEEZZNS1_14partition_implILS5_1ELb0ES3_jN6thrust23THRUST_200600_302600_NS6detail15normal_iteratorINSA_10device_ptrIyEEEEPS6_NSA_18transform_iteratorI7is_evenIyESF_NSA_11use_defaultESK_EENS0_5tupleIJSF_SF_EEENSM_IJSG_SG_EEES6_PlJS6_EEE10hipError_tPvRmT3_T4_T5_T6_T7_T9_mT8_P12ihipStream_tbDpT10_ENKUlT_T0_E_clISt17integral_constantIbLb0EES19_EEDaS14_S15_EUlS14_E_NS1_11comp_targetILNS1_3genE8ELNS1_11target_archE1030ELNS1_3gpuE2ELNS1_3repE0EEENS1_30default_config_static_selectorELNS0_4arch9wavefront6targetE1EEEvT1_,"axG",@progbits,_ZN7rocprim17ROCPRIM_400000_NS6detail17trampoline_kernelINS0_14default_configENS1_25partition_config_selectorILNS1_17partition_subalgoE1EyNS0_10empty_typeEbEEZZNS1_14partition_implILS5_1ELb0ES3_jN6thrust23THRUST_200600_302600_NS6detail15normal_iteratorINSA_10device_ptrIyEEEEPS6_NSA_18transform_iteratorI7is_evenIyESF_NSA_11use_defaultESK_EENS0_5tupleIJSF_SF_EEENSM_IJSG_SG_EEES6_PlJS6_EEE10hipError_tPvRmT3_T4_T5_T6_T7_T9_mT8_P12ihipStream_tbDpT10_ENKUlT_T0_E_clISt17integral_constantIbLb0EES19_EEDaS14_S15_EUlS14_E_NS1_11comp_targetILNS1_3genE8ELNS1_11target_archE1030ELNS1_3gpuE2ELNS1_3repE0EEENS1_30default_config_static_selectorELNS0_4arch9wavefront6targetE1EEEvT1_,comdat
.Lfunc_end2210:
	.size	_ZN7rocprim17ROCPRIM_400000_NS6detail17trampoline_kernelINS0_14default_configENS1_25partition_config_selectorILNS1_17partition_subalgoE1EyNS0_10empty_typeEbEEZZNS1_14partition_implILS5_1ELb0ES3_jN6thrust23THRUST_200600_302600_NS6detail15normal_iteratorINSA_10device_ptrIyEEEEPS6_NSA_18transform_iteratorI7is_evenIyESF_NSA_11use_defaultESK_EENS0_5tupleIJSF_SF_EEENSM_IJSG_SG_EEES6_PlJS6_EEE10hipError_tPvRmT3_T4_T5_T6_T7_T9_mT8_P12ihipStream_tbDpT10_ENKUlT_T0_E_clISt17integral_constantIbLb0EES19_EEDaS14_S15_EUlS14_E_NS1_11comp_targetILNS1_3genE8ELNS1_11target_archE1030ELNS1_3gpuE2ELNS1_3repE0EEENS1_30default_config_static_selectorELNS0_4arch9wavefront6targetE1EEEvT1_, .Lfunc_end2210-_ZN7rocprim17ROCPRIM_400000_NS6detail17trampoline_kernelINS0_14default_configENS1_25partition_config_selectorILNS1_17partition_subalgoE1EyNS0_10empty_typeEbEEZZNS1_14partition_implILS5_1ELb0ES3_jN6thrust23THRUST_200600_302600_NS6detail15normal_iteratorINSA_10device_ptrIyEEEEPS6_NSA_18transform_iteratorI7is_evenIyESF_NSA_11use_defaultESK_EENS0_5tupleIJSF_SF_EEENSM_IJSG_SG_EEES6_PlJS6_EEE10hipError_tPvRmT3_T4_T5_T6_T7_T9_mT8_P12ihipStream_tbDpT10_ENKUlT_T0_E_clISt17integral_constantIbLb0EES19_EEDaS14_S15_EUlS14_E_NS1_11comp_targetILNS1_3genE8ELNS1_11target_archE1030ELNS1_3gpuE2ELNS1_3repE0EEENS1_30default_config_static_selectorELNS0_4arch9wavefront6targetE1EEEvT1_
                                        ; -- End function
	.section	.AMDGPU.csdata,"",@progbits
; Kernel info:
; codeLenInByte = 0
; NumSgprs: 6
; NumVgprs: 0
; NumAgprs: 0
; TotalNumVgprs: 0
; ScratchSize: 0
; MemoryBound: 0
; FloatMode: 240
; IeeeMode: 1
; LDSByteSize: 0 bytes/workgroup (compile time only)
; SGPRBlocks: 0
; VGPRBlocks: 0
; NumSGPRsForWavesPerEU: 6
; NumVGPRsForWavesPerEU: 1
; AccumOffset: 4
; Occupancy: 8
; WaveLimiterHint : 0
; COMPUTE_PGM_RSRC2:SCRATCH_EN: 0
; COMPUTE_PGM_RSRC2:USER_SGPR: 2
; COMPUTE_PGM_RSRC2:TRAP_HANDLER: 0
; COMPUTE_PGM_RSRC2:TGID_X_EN: 1
; COMPUTE_PGM_RSRC2:TGID_Y_EN: 0
; COMPUTE_PGM_RSRC2:TGID_Z_EN: 0
; COMPUTE_PGM_RSRC2:TIDIG_COMP_CNT: 0
; COMPUTE_PGM_RSRC3_GFX90A:ACCUM_OFFSET: 0
; COMPUTE_PGM_RSRC3_GFX90A:TG_SPLIT: 0
	.section	.text._ZN7rocprim17ROCPRIM_400000_NS6detail17trampoline_kernelINS0_14default_configENS1_25partition_config_selectorILNS1_17partition_subalgoE1EyNS0_10empty_typeEbEEZZNS1_14partition_implILS5_1ELb0ES3_jN6thrust23THRUST_200600_302600_NS6detail15normal_iteratorINSA_10device_ptrIyEEEEPS6_NSA_18transform_iteratorI7is_evenIyESF_NSA_11use_defaultESK_EENS0_5tupleIJSF_SF_EEENSM_IJSG_SG_EEES6_PlJS6_EEE10hipError_tPvRmT3_T4_T5_T6_T7_T9_mT8_P12ihipStream_tbDpT10_ENKUlT_T0_E_clISt17integral_constantIbLb1EES19_EEDaS14_S15_EUlS14_E_NS1_11comp_targetILNS1_3genE0ELNS1_11target_archE4294967295ELNS1_3gpuE0ELNS1_3repE0EEENS1_30default_config_static_selectorELNS0_4arch9wavefront6targetE1EEEvT1_,"axG",@progbits,_ZN7rocprim17ROCPRIM_400000_NS6detail17trampoline_kernelINS0_14default_configENS1_25partition_config_selectorILNS1_17partition_subalgoE1EyNS0_10empty_typeEbEEZZNS1_14partition_implILS5_1ELb0ES3_jN6thrust23THRUST_200600_302600_NS6detail15normal_iteratorINSA_10device_ptrIyEEEEPS6_NSA_18transform_iteratorI7is_evenIyESF_NSA_11use_defaultESK_EENS0_5tupleIJSF_SF_EEENSM_IJSG_SG_EEES6_PlJS6_EEE10hipError_tPvRmT3_T4_T5_T6_T7_T9_mT8_P12ihipStream_tbDpT10_ENKUlT_T0_E_clISt17integral_constantIbLb1EES19_EEDaS14_S15_EUlS14_E_NS1_11comp_targetILNS1_3genE0ELNS1_11target_archE4294967295ELNS1_3gpuE0ELNS1_3repE0EEENS1_30default_config_static_selectorELNS0_4arch9wavefront6targetE1EEEvT1_,comdat
	.protected	_ZN7rocprim17ROCPRIM_400000_NS6detail17trampoline_kernelINS0_14default_configENS1_25partition_config_selectorILNS1_17partition_subalgoE1EyNS0_10empty_typeEbEEZZNS1_14partition_implILS5_1ELb0ES3_jN6thrust23THRUST_200600_302600_NS6detail15normal_iteratorINSA_10device_ptrIyEEEEPS6_NSA_18transform_iteratorI7is_evenIyESF_NSA_11use_defaultESK_EENS0_5tupleIJSF_SF_EEENSM_IJSG_SG_EEES6_PlJS6_EEE10hipError_tPvRmT3_T4_T5_T6_T7_T9_mT8_P12ihipStream_tbDpT10_ENKUlT_T0_E_clISt17integral_constantIbLb1EES19_EEDaS14_S15_EUlS14_E_NS1_11comp_targetILNS1_3genE0ELNS1_11target_archE4294967295ELNS1_3gpuE0ELNS1_3repE0EEENS1_30default_config_static_selectorELNS0_4arch9wavefront6targetE1EEEvT1_ ; -- Begin function _ZN7rocprim17ROCPRIM_400000_NS6detail17trampoline_kernelINS0_14default_configENS1_25partition_config_selectorILNS1_17partition_subalgoE1EyNS0_10empty_typeEbEEZZNS1_14partition_implILS5_1ELb0ES3_jN6thrust23THRUST_200600_302600_NS6detail15normal_iteratorINSA_10device_ptrIyEEEEPS6_NSA_18transform_iteratorI7is_evenIyESF_NSA_11use_defaultESK_EENS0_5tupleIJSF_SF_EEENSM_IJSG_SG_EEES6_PlJS6_EEE10hipError_tPvRmT3_T4_T5_T6_T7_T9_mT8_P12ihipStream_tbDpT10_ENKUlT_T0_E_clISt17integral_constantIbLb1EES19_EEDaS14_S15_EUlS14_E_NS1_11comp_targetILNS1_3genE0ELNS1_11target_archE4294967295ELNS1_3gpuE0ELNS1_3repE0EEENS1_30default_config_static_selectorELNS0_4arch9wavefront6targetE1EEEvT1_
	.globl	_ZN7rocprim17ROCPRIM_400000_NS6detail17trampoline_kernelINS0_14default_configENS1_25partition_config_selectorILNS1_17partition_subalgoE1EyNS0_10empty_typeEbEEZZNS1_14partition_implILS5_1ELb0ES3_jN6thrust23THRUST_200600_302600_NS6detail15normal_iteratorINSA_10device_ptrIyEEEEPS6_NSA_18transform_iteratorI7is_evenIyESF_NSA_11use_defaultESK_EENS0_5tupleIJSF_SF_EEENSM_IJSG_SG_EEES6_PlJS6_EEE10hipError_tPvRmT3_T4_T5_T6_T7_T9_mT8_P12ihipStream_tbDpT10_ENKUlT_T0_E_clISt17integral_constantIbLb1EES19_EEDaS14_S15_EUlS14_E_NS1_11comp_targetILNS1_3genE0ELNS1_11target_archE4294967295ELNS1_3gpuE0ELNS1_3repE0EEENS1_30default_config_static_selectorELNS0_4arch9wavefront6targetE1EEEvT1_
	.p2align	8
	.type	_ZN7rocprim17ROCPRIM_400000_NS6detail17trampoline_kernelINS0_14default_configENS1_25partition_config_selectorILNS1_17partition_subalgoE1EyNS0_10empty_typeEbEEZZNS1_14partition_implILS5_1ELb0ES3_jN6thrust23THRUST_200600_302600_NS6detail15normal_iteratorINSA_10device_ptrIyEEEEPS6_NSA_18transform_iteratorI7is_evenIyESF_NSA_11use_defaultESK_EENS0_5tupleIJSF_SF_EEENSM_IJSG_SG_EEES6_PlJS6_EEE10hipError_tPvRmT3_T4_T5_T6_T7_T9_mT8_P12ihipStream_tbDpT10_ENKUlT_T0_E_clISt17integral_constantIbLb1EES19_EEDaS14_S15_EUlS14_E_NS1_11comp_targetILNS1_3genE0ELNS1_11target_archE4294967295ELNS1_3gpuE0ELNS1_3repE0EEENS1_30default_config_static_selectorELNS0_4arch9wavefront6targetE1EEEvT1_,@function
_ZN7rocprim17ROCPRIM_400000_NS6detail17trampoline_kernelINS0_14default_configENS1_25partition_config_selectorILNS1_17partition_subalgoE1EyNS0_10empty_typeEbEEZZNS1_14partition_implILS5_1ELb0ES3_jN6thrust23THRUST_200600_302600_NS6detail15normal_iteratorINSA_10device_ptrIyEEEEPS6_NSA_18transform_iteratorI7is_evenIyESF_NSA_11use_defaultESK_EENS0_5tupleIJSF_SF_EEENSM_IJSG_SG_EEES6_PlJS6_EEE10hipError_tPvRmT3_T4_T5_T6_T7_T9_mT8_P12ihipStream_tbDpT10_ENKUlT_T0_E_clISt17integral_constantIbLb1EES19_EEDaS14_S15_EUlS14_E_NS1_11comp_targetILNS1_3genE0ELNS1_11target_archE4294967295ELNS1_3gpuE0ELNS1_3repE0EEENS1_30default_config_static_selectorELNS0_4arch9wavefront6targetE1EEEvT1_: ; @_ZN7rocprim17ROCPRIM_400000_NS6detail17trampoline_kernelINS0_14default_configENS1_25partition_config_selectorILNS1_17partition_subalgoE1EyNS0_10empty_typeEbEEZZNS1_14partition_implILS5_1ELb0ES3_jN6thrust23THRUST_200600_302600_NS6detail15normal_iteratorINSA_10device_ptrIyEEEEPS6_NSA_18transform_iteratorI7is_evenIyESF_NSA_11use_defaultESK_EENS0_5tupleIJSF_SF_EEENSM_IJSG_SG_EEES6_PlJS6_EEE10hipError_tPvRmT3_T4_T5_T6_T7_T9_mT8_P12ihipStream_tbDpT10_ENKUlT_T0_E_clISt17integral_constantIbLb1EES19_EEDaS14_S15_EUlS14_E_NS1_11comp_targetILNS1_3genE0ELNS1_11target_archE4294967295ELNS1_3gpuE0ELNS1_3repE0EEENS1_30default_config_static_selectorELNS0_4arch9wavefront6targetE1EEEvT1_
; %bb.0:
	.section	.rodata,"a",@progbits
	.p2align	6, 0x0
	.amdhsa_kernel _ZN7rocprim17ROCPRIM_400000_NS6detail17trampoline_kernelINS0_14default_configENS1_25partition_config_selectorILNS1_17partition_subalgoE1EyNS0_10empty_typeEbEEZZNS1_14partition_implILS5_1ELb0ES3_jN6thrust23THRUST_200600_302600_NS6detail15normal_iteratorINSA_10device_ptrIyEEEEPS6_NSA_18transform_iteratorI7is_evenIyESF_NSA_11use_defaultESK_EENS0_5tupleIJSF_SF_EEENSM_IJSG_SG_EEES6_PlJS6_EEE10hipError_tPvRmT3_T4_T5_T6_T7_T9_mT8_P12ihipStream_tbDpT10_ENKUlT_T0_E_clISt17integral_constantIbLb1EES19_EEDaS14_S15_EUlS14_E_NS1_11comp_targetILNS1_3genE0ELNS1_11target_archE4294967295ELNS1_3gpuE0ELNS1_3repE0EEENS1_30default_config_static_selectorELNS0_4arch9wavefront6targetE1EEEvT1_
		.amdhsa_group_segment_fixed_size 0
		.amdhsa_private_segment_fixed_size 0
		.amdhsa_kernarg_size 144
		.amdhsa_user_sgpr_count 2
		.amdhsa_user_sgpr_dispatch_ptr 0
		.amdhsa_user_sgpr_queue_ptr 0
		.amdhsa_user_sgpr_kernarg_segment_ptr 1
		.amdhsa_user_sgpr_dispatch_id 0
		.amdhsa_user_sgpr_kernarg_preload_length 0
		.amdhsa_user_sgpr_kernarg_preload_offset 0
		.amdhsa_user_sgpr_private_segment_size 0
		.amdhsa_uses_dynamic_stack 0
		.amdhsa_enable_private_segment 0
		.amdhsa_system_sgpr_workgroup_id_x 1
		.amdhsa_system_sgpr_workgroup_id_y 0
		.amdhsa_system_sgpr_workgroup_id_z 0
		.amdhsa_system_sgpr_workgroup_info 0
		.amdhsa_system_vgpr_workitem_id 0
		.amdhsa_next_free_vgpr 1
		.amdhsa_next_free_sgpr 0
		.amdhsa_accum_offset 4
		.amdhsa_reserve_vcc 0
		.amdhsa_float_round_mode_32 0
		.amdhsa_float_round_mode_16_64 0
		.amdhsa_float_denorm_mode_32 3
		.amdhsa_float_denorm_mode_16_64 3
		.amdhsa_dx10_clamp 1
		.amdhsa_ieee_mode 1
		.amdhsa_fp16_overflow 0
		.amdhsa_tg_split 0
		.amdhsa_exception_fp_ieee_invalid_op 0
		.amdhsa_exception_fp_denorm_src 0
		.amdhsa_exception_fp_ieee_div_zero 0
		.amdhsa_exception_fp_ieee_overflow 0
		.amdhsa_exception_fp_ieee_underflow 0
		.amdhsa_exception_fp_ieee_inexact 0
		.amdhsa_exception_int_div_zero 0
	.end_amdhsa_kernel
	.section	.text._ZN7rocprim17ROCPRIM_400000_NS6detail17trampoline_kernelINS0_14default_configENS1_25partition_config_selectorILNS1_17partition_subalgoE1EyNS0_10empty_typeEbEEZZNS1_14partition_implILS5_1ELb0ES3_jN6thrust23THRUST_200600_302600_NS6detail15normal_iteratorINSA_10device_ptrIyEEEEPS6_NSA_18transform_iteratorI7is_evenIyESF_NSA_11use_defaultESK_EENS0_5tupleIJSF_SF_EEENSM_IJSG_SG_EEES6_PlJS6_EEE10hipError_tPvRmT3_T4_T5_T6_T7_T9_mT8_P12ihipStream_tbDpT10_ENKUlT_T0_E_clISt17integral_constantIbLb1EES19_EEDaS14_S15_EUlS14_E_NS1_11comp_targetILNS1_3genE0ELNS1_11target_archE4294967295ELNS1_3gpuE0ELNS1_3repE0EEENS1_30default_config_static_selectorELNS0_4arch9wavefront6targetE1EEEvT1_,"axG",@progbits,_ZN7rocprim17ROCPRIM_400000_NS6detail17trampoline_kernelINS0_14default_configENS1_25partition_config_selectorILNS1_17partition_subalgoE1EyNS0_10empty_typeEbEEZZNS1_14partition_implILS5_1ELb0ES3_jN6thrust23THRUST_200600_302600_NS6detail15normal_iteratorINSA_10device_ptrIyEEEEPS6_NSA_18transform_iteratorI7is_evenIyESF_NSA_11use_defaultESK_EENS0_5tupleIJSF_SF_EEENSM_IJSG_SG_EEES6_PlJS6_EEE10hipError_tPvRmT3_T4_T5_T6_T7_T9_mT8_P12ihipStream_tbDpT10_ENKUlT_T0_E_clISt17integral_constantIbLb1EES19_EEDaS14_S15_EUlS14_E_NS1_11comp_targetILNS1_3genE0ELNS1_11target_archE4294967295ELNS1_3gpuE0ELNS1_3repE0EEENS1_30default_config_static_selectorELNS0_4arch9wavefront6targetE1EEEvT1_,comdat
.Lfunc_end2211:
	.size	_ZN7rocprim17ROCPRIM_400000_NS6detail17trampoline_kernelINS0_14default_configENS1_25partition_config_selectorILNS1_17partition_subalgoE1EyNS0_10empty_typeEbEEZZNS1_14partition_implILS5_1ELb0ES3_jN6thrust23THRUST_200600_302600_NS6detail15normal_iteratorINSA_10device_ptrIyEEEEPS6_NSA_18transform_iteratorI7is_evenIyESF_NSA_11use_defaultESK_EENS0_5tupleIJSF_SF_EEENSM_IJSG_SG_EEES6_PlJS6_EEE10hipError_tPvRmT3_T4_T5_T6_T7_T9_mT8_P12ihipStream_tbDpT10_ENKUlT_T0_E_clISt17integral_constantIbLb1EES19_EEDaS14_S15_EUlS14_E_NS1_11comp_targetILNS1_3genE0ELNS1_11target_archE4294967295ELNS1_3gpuE0ELNS1_3repE0EEENS1_30default_config_static_selectorELNS0_4arch9wavefront6targetE1EEEvT1_, .Lfunc_end2211-_ZN7rocprim17ROCPRIM_400000_NS6detail17trampoline_kernelINS0_14default_configENS1_25partition_config_selectorILNS1_17partition_subalgoE1EyNS0_10empty_typeEbEEZZNS1_14partition_implILS5_1ELb0ES3_jN6thrust23THRUST_200600_302600_NS6detail15normal_iteratorINSA_10device_ptrIyEEEEPS6_NSA_18transform_iteratorI7is_evenIyESF_NSA_11use_defaultESK_EENS0_5tupleIJSF_SF_EEENSM_IJSG_SG_EEES6_PlJS6_EEE10hipError_tPvRmT3_T4_T5_T6_T7_T9_mT8_P12ihipStream_tbDpT10_ENKUlT_T0_E_clISt17integral_constantIbLb1EES19_EEDaS14_S15_EUlS14_E_NS1_11comp_targetILNS1_3genE0ELNS1_11target_archE4294967295ELNS1_3gpuE0ELNS1_3repE0EEENS1_30default_config_static_selectorELNS0_4arch9wavefront6targetE1EEEvT1_
                                        ; -- End function
	.section	.AMDGPU.csdata,"",@progbits
; Kernel info:
; codeLenInByte = 0
; NumSgprs: 6
; NumVgprs: 0
; NumAgprs: 0
; TotalNumVgprs: 0
; ScratchSize: 0
; MemoryBound: 0
; FloatMode: 240
; IeeeMode: 1
; LDSByteSize: 0 bytes/workgroup (compile time only)
; SGPRBlocks: 0
; VGPRBlocks: 0
; NumSGPRsForWavesPerEU: 6
; NumVGPRsForWavesPerEU: 1
; AccumOffset: 4
; Occupancy: 8
; WaveLimiterHint : 0
; COMPUTE_PGM_RSRC2:SCRATCH_EN: 0
; COMPUTE_PGM_RSRC2:USER_SGPR: 2
; COMPUTE_PGM_RSRC2:TRAP_HANDLER: 0
; COMPUTE_PGM_RSRC2:TGID_X_EN: 1
; COMPUTE_PGM_RSRC2:TGID_Y_EN: 0
; COMPUTE_PGM_RSRC2:TGID_Z_EN: 0
; COMPUTE_PGM_RSRC2:TIDIG_COMP_CNT: 0
; COMPUTE_PGM_RSRC3_GFX90A:ACCUM_OFFSET: 0
; COMPUTE_PGM_RSRC3_GFX90A:TG_SPLIT: 0
	.section	.text._ZN7rocprim17ROCPRIM_400000_NS6detail17trampoline_kernelINS0_14default_configENS1_25partition_config_selectorILNS1_17partition_subalgoE1EyNS0_10empty_typeEbEEZZNS1_14partition_implILS5_1ELb0ES3_jN6thrust23THRUST_200600_302600_NS6detail15normal_iteratorINSA_10device_ptrIyEEEEPS6_NSA_18transform_iteratorI7is_evenIyESF_NSA_11use_defaultESK_EENS0_5tupleIJSF_SF_EEENSM_IJSG_SG_EEES6_PlJS6_EEE10hipError_tPvRmT3_T4_T5_T6_T7_T9_mT8_P12ihipStream_tbDpT10_ENKUlT_T0_E_clISt17integral_constantIbLb1EES19_EEDaS14_S15_EUlS14_E_NS1_11comp_targetILNS1_3genE5ELNS1_11target_archE942ELNS1_3gpuE9ELNS1_3repE0EEENS1_30default_config_static_selectorELNS0_4arch9wavefront6targetE1EEEvT1_,"axG",@progbits,_ZN7rocprim17ROCPRIM_400000_NS6detail17trampoline_kernelINS0_14default_configENS1_25partition_config_selectorILNS1_17partition_subalgoE1EyNS0_10empty_typeEbEEZZNS1_14partition_implILS5_1ELb0ES3_jN6thrust23THRUST_200600_302600_NS6detail15normal_iteratorINSA_10device_ptrIyEEEEPS6_NSA_18transform_iteratorI7is_evenIyESF_NSA_11use_defaultESK_EENS0_5tupleIJSF_SF_EEENSM_IJSG_SG_EEES6_PlJS6_EEE10hipError_tPvRmT3_T4_T5_T6_T7_T9_mT8_P12ihipStream_tbDpT10_ENKUlT_T0_E_clISt17integral_constantIbLb1EES19_EEDaS14_S15_EUlS14_E_NS1_11comp_targetILNS1_3genE5ELNS1_11target_archE942ELNS1_3gpuE9ELNS1_3repE0EEENS1_30default_config_static_selectorELNS0_4arch9wavefront6targetE1EEEvT1_,comdat
	.protected	_ZN7rocprim17ROCPRIM_400000_NS6detail17trampoline_kernelINS0_14default_configENS1_25partition_config_selectorILNS1_17partition_subalgoE1EyNS0_10empty_typeEbEEZZNS1_14partition_implILS5_1ELb0ES3_jN6thrust23THRUST_200600_302600_NS6detail15normal_iteratorINSA_10device_ptrIyEEEEPS6_NSA_18transform_iteratorI7is_evenIyESF_NSA_11use_defaultESK_EENS0_5tupleIJSF_SF_EEENSM_IJSG_SG_EEES6_PlJS6_EEE10hipError_tPvRmT3_T4_T5_T6_T7_T9_mT8_P12ihipStream_tbDpT10_ENKUlT_T0_E_clISt17integral_constantIbLb1EES19_EEDaS14_S15_EUlS14_E_NS1_11comp_targetILNS1_3genE5ELNS1_11target_archE942ELNS1_3gpuE9ELNS1_3repE0EEENS1_30default_config_static_selectorELNS0_4arch9wavefront6targetE1EEEvT1_ ; -- Begin function _ZN7rocprim17ROCPRIM_400000_NS6detail17trampoline_kernelINS0_14default_configENS1_25partition_config_selectorILNS1_17partition_subalgoE1EyNS0_10empty_typeEbEEZZNS1_14partition_implILS5_1ELb0ES3_jN6thrust23THRUST_200600_302600_NS6detail15normal_iteratorINSA_10device_ptrIyEEEEPS6_NSA_18transform_iteratorI7is_evenIyESF_NSA_11use_defaultESK_EENS0_5tupleIJSF_SF_EEENSM_IJSG_SG_EEES6_PlJS6_EEE10hipError_tPvRmT3_T4_T5_T6_T7_T9_mT8_P12ihipStream_tbDpT10_ENKUlT_T0_E_clISt17integral_constantIbLb1EES19_EEDaS14_S15_EUlS14_E_NS1_11comp_targetILNS1_3genE5ELNS1_11target_archE942ELNS1_3gpuE9ELNS1_3repE0EEENS1_30default_config_static_selectorELNS0_4arch9wavefront6targetE1EEEvT1_
	.globl	_ZN7rocprim17ROCPRIM_400000_NS6detail17trampoline_kernelINS0_14default_configENS1_25partition_config_selectorILNS1_17partition_subalgoE1EyNS0_10empty_typeEbEEZZNS1_14partition_implILS5_1ELb0ES3_jN6thrust23THRUST_200600_302600_NS6detail15normal_iteratorINSA_10device_ptrIyEEEEPS6_NSA_18transform_iteratorI7is_evenIyESF_NSA_11use_defaultESK_EENS0_5tupleIJSF_SF_EEENSM_IJSG_SG_EEES6_PlJS6_EEE10hipError_tPvRmT3_T4_T5_T6_T7_T9_mT8_P12ihipStream_tbDpT10_ENKUlT_T0_E_clISt17integral_constantIbLb1EES19_EEDaS14_S15_EUlS14_E_NS1_11comp_targetILNS1_3genE5ELNS1_11target_archE942ELNS1_3gpuE9ELNS1_3repE0EEENS1_30default_config_static_selectorELNS0_4arch9wavefront6targetE1EEEvT1_
	.p2align	8
	.type	_ZN7rocprim17ROCPRIM_400000_NS6detail17trampoline_kernelINS0_14default_configENS1_25partition_config_selectorILNS1_17partition_subalgoE1EyNS0_10empty_typeEbEEZZNS1_14partition_implILS5_1ELb0ES3_jN6thrust23THRUST_200600_302600_NS6detail15normal_iteratorINSA_10device_ptrIyEEEEPS6_NSA_18transform_iteratorI7is_evenIyESF_NSA_11use_defaultESK_EENS0_5tupleIJSF_SF_EEENSM_IJSG_SG_EEES6_PlJS6_EEE10hipError_tPvRmT3_T4_T5_T6_T7_T9_mT8_P12ihipStream_tbDpT10_ENKUlT_T0_E_clISt17integral_constantIbLb1EES19_EEDaS14_S15_EUlS14_E_NS1_11comp_targetILNS1_3genE5ELNS1_11target_archE942ELNS1_3gpuE9ELNS1_3repE0EEENS1_30default_config_static_selectorELNS0_4arch9wavefront6targetE1EEEvT1_,@function
_ZN7rocprim17ROCPRIM_400000_NS6detail17trampoline_kernelINS0_14default_configENS1_25partition_config_selectorILNS1_17partition_subalgoE1EyNS0_10empty_typeEbEEZZNS1_14partition_implILS5_1ELb0ES3_jN6thrust23THRUST_200600_302600_NS6detail15normal_iteratorINSA_10device_ptrIyEEEEPS6_NSA_18transform_iteratorI7is_evenIyESF_NSA_11use_defaultESK_EENS0_5tupleIJSF_SF_EEENSM_IJSG_SG_EEES6_PlJS6_EEE10hipError_tPvRmT3_T4_T5_T6_T7_T9_mT8_P12ihipStream_tbDpT10_ENKUlT_T0_E_clISt17integral_constantIbLb1EES19_EEDaS14_S15_EUlS14_E_NS1_11comp_targetILNS1_3genE5ELNS1_11target_archE942ELNS1_3gpuE9ELNS1_3repE0EEENS1_30default_config_static_selectorELNS0_4arch9wavefront6targetE1EEEvT1_: ; @_ZN7rocprim17ROCPRIM_400000_NS6detail17trampoline_kernelINS0_14default_configENS1_25partition_config_selectorILNS1_17partition_subalgoE1EyNS0_10empty_typeEbEEZZNS1_14partition_implILS5_1ELb0ES3_jN6thrust23THRUST_200600_302600_NS6detail15normal_iteratorINSA_10device_ptrIyEEEEPS6_NSA_18transform_iteratorI7is_evenIyESF_NSA_11use_defaultESK_EENS0_5tupleIJSF_SF_EEENSM_IJSG_SG_EEES6_PlJS6_EEE10hipError_tPvRmT3_T4_T5_T6_T7_T9_mT8_P12ihipStream_tbDpT10_ENKUlT_T0_E_clISt17integral_constantIbLb1EES19_EEDaS14_S15_EUlS14_E_NS1_11comp_targetILNS1_3genE5ELNS1_11target_archE942ELNS1_3gpuE9ELNS1_3repE0EEENS1_30default_config_static_selectorELNS0_4arch9wavefront6targetE1EEEvT1_
; %bb.0:
	s_load_dwordx2 s[2:3], s[0:1], 0x20
	s_load_dwordx4 s[20:23], s[0:1], 0x50
	s_load_dwordx2 s[6:7], s[0:1], 0x60
	s_load_dwordx2 s[34:35], s[0:1], 0x70
	v_cmp_eq_u32_e64 s[18:19], 0, v0
	s_and_saveexec_b64 s[4:5], s[18:19]
	s_cbranch_execz .LBB2212_4
; %bb.1:
	s_mov_b64 s[10:11], exec
	v_mbcnt_lo_u32_b32 v1, s10, 0
	v_mbcnt_hi_u32_b32 v1, s11, v1
	v_cmp_eq_u32_e32 vcc, 0, v1
                                        ; implicit-def: $vgpr2
	s_and_saveexec_b64 s[8:9], vcc
	s_cbranch_execz .LBB2212_3
; %bb.2:
	s_load_dwordx2 s[12:13], s[0:1], 0x80
	s_bcnt1_i32_b64 s10, s[10:11]
	v_mov_b32_e32 v2, 0
	v_mov_b32_e32 v3, s10
	s_waitcnt lgkmcnt(0)
	global_atomic_add v2, v2, v3, s[12:13] sc0
.LBB2212_3:
	s_or_b64 exec, exec, s[8:9]
	s_waitcnt vmcnt(0)
	v_readfirstlane_b32 s8, v2
	v_mov_b32_e32 v2, 0
	s_nop 0
	v_add_u32_e32 v1, s8, v1
	ds_write_b32 v2, v1
.LBB2212_4:
	s_or_b64 exec, exec, s[4:5]
	v_mov_b32_e32 v19, 0
	s_load_dwordx4 s[28:31], s[0:1], 0x8
	s_load_dwordx4 s[24:27], s[0:1], 0x30
	s_load_dword s8, s[0:1], 0x78
	s_waitcnt lgkmcnt(0)
	s_barrier
	ds_read_b32 v1, v19
	s_waitcnt lgkmcnt(0)
	s_barrier
	global_load_dwordx2 v[20:21], v19, s[22:23]
	v_mov_b32_e32 v3, s7
	s_lshl_b64 s[4:5], s[30:31], 3
	s_movk_i32 s7, 0xe00
	s_add_u32 s0, s28, s4
	v_mul_lo_u32 v18, v1, s7
	s_mul_i32 s7, s8, 0xe00
	s_addc_u32 s1, s29, s5
	s_add_i32 s9, s8, -1
	s_add_i32 s8, s7, s30
	s_sub_i32 s33, s6, s8
	s_addk_i32 s33, 0xe00
	v_mov_b32_e32 v2, s6
	s_add_u32 s6, s30, s7
	v_readfirstlane_b32 s40, v1
	s_addc_u32 s7, s31, 0
	s_cmp_eq_u32 s40, s9
	s_cselect_b64 s[22:23], -1, 0
	s_cmp_lg_u32 s40, s9
	v_cmp_lt_u64_e32 vcc, s[6:7], v[2:3]
	s_cselect_b64 s[6:7], -1, 0
	s_or_b64 s[28:29], vcc, s[6:7]
	v_lshlrev_b64 v[22:23], 3, v[18:19]
	v_lshl_add_u64 v[24:25], s[0:1], 0, v[22:23]
	s_mov_b64 s[0:1], -1
	s_and_b64 vcc, exec, s[28:29]
	v_lshlrev_b32_e32 v18, 3, v0
	s_cbranch_vccz .LBB2212_6
; %bb.5:
	v_lshl_add_u64 v[2:3], v[24:25], 0, v[18:19]
	v_add_co_u32_e32 v4, vcc, 0x1000, v2
	s_mov_b64 s[0:1], 0
	s_nop 0
	v_addc_co_u32_e32 v5, vcc, 0, v3, vcc
	v_add_co_u32_e32 v6, vcc, 0x2000, v2
	s_nop 1
	v_addc_co_u32_e32 v7, vcc, 0, v3, vcc
	v_add_co_u32_e32 v8, vcc, 0x3000, v2
	s_nop 1
	v_addc_co_u32_e32 v9, vcc, 0, v3, vcc
	flat_load_dwordx2 v[10:11], v[2:3]
	flat_load_dwordx2 v[12:13], v[4:5]
	;; [unrolled: 1-line block ×4, first 2 shown]
	v_add_co_u32_e32 v4, vcc, 0x4000, v2
	s_nop 1
	v_addc_co_u32_e32 v5, vcc, 0, v3, vcc
	v_add_co_u32_e32 v6, vcc, 0x5000, v2
	s_nop 1
	v_addc_co_u32_e32 v7, vcc, 0, v3, vcc
	;; [unrolled: 3-line block ×3, first 2 shown]
	flat_load_dwordx2 v[8:9], v[4:5]
	flat_load_dwordx2 v[26:27], v[6:7]
	;; [unrolled: 1-line block ×3, first 2 shown]
	s_waitcnt vmcnt(0) lgkmcnt(0)
	ds_write2st64_b64 v18, v[10:11], v[12:13] offset1:8
	ds_write2st64_b64 v18, v[14:15], v[16:17] offset0:16 offset1:24
	ds_write2st64_b64 v18, v[8:9], v[26:27] offset0:32 offset1:40
	ds_write_b64 v18, v[28:29] offset:24576
	s_waitcnt lgkmcnt(0)
	s_barrier
.LBB2212_6:
	s_andn2_b64 vcc, exec, s[0:1]
	v_cmp_gt_u32_e64 s[0:1], s33, v0
	s_cbranch_vccnz .LBB2212_22
; %bb.7:
                                        ; implicit-def: $vgpr2_vgpr3_vgpr4_vgpr5_vgpr6_vgpr7_vgpr8_vgpr9_vgpr10_vgpr11_vgpr12_vgpr13_vgpr14_vgpr15_vgpr16_vgpr17
	s_and_saveexec_b64 s[6:7], s[0:1]
	s_cbranch_execz .LBB2212_9
; %bb.8:
	v_mov_b32_e32 v19, 0
	v_lshl_add_u64 v[2:3], v[24:25], 0, v[18:19]
	flat_load_dwordx2 v[2:3], v[2:3]
.LBB2212_9:
	s_or_b64 exec, exec, s[6:7]
	v_or_b32_e32 v1, 0x200, v0
	v_cmp_gt_u32_e32 vcc, s33, v1
	s_and_saveexec_b64 s[0:1], vcc
	s_cbranch_execz .LBB2212_11
; %bb.10:
	v_lshlrev_b32_e32 v4, 3, v1
	v_mov_b32_e32 v5, 0
	v_lshl_add_u64 v[4:5], v[24:25], 0, v[4:5]
	flat_load_dwordx2 v[4:5], v[4:5]
.LBB2212_11:
	s_or_b64 exec, exec, s[0:1]
	v_or_b32_e32 v1, 0x400, v0
	v_cmp_gt_u32_e32 vcc, s33, v1
	s_and_saveexec_b64 s[0:1], vcc
	s_cbranch_execz .LBB2212_13
; %bb.12:
	v_lshlrev_b32_e32 v6, 3, v1
	v_mov_b32_e32 v7, 0
	v_lshl_add_u64 v[6:7], v[24:25], 0, v[6:7]
	flat_load_dwordx2 v[6:7], v[6:7]
.LBB2212_13:
	;; [unrolled: 11-line block ×6, first 2 shown]
	s_or_b64 exec, exec, s[0:1]
	s_waitcnt vmcnt(0) lgkmcnt(0)
	ds_write2st64_b64 v18, v[2:3], v[4:5] offset1:8
	ds_write2st64_b64 v18, v[6:7], v[8:9] offset0:16 offset1:24
	ds_write2st64_b64 v18, v[10:11], v[12:13] offset0:32 offset1:40
	ds_write_b64 v18, v[14:15] offset:24576
	s_waitcnt lgkmcnt(0)
	s_barrier
.LBB2212_22:
	v_mul_u32_u24_e32 v1, 7, v0
	v_lshlrev_b32_e32 v24, 3, v1
	ds_read2_b64 v[10:13], v24 offset1:1
	ds_read2_b64 v[6:9], v24 offset0:2 offset1:3
	ds_read2_b64 v[2:5], v24 offset0:4 offset1:5
	ds_read_b64 v[14:15], v24 offset:48
	s_add_u32 s0, s2, s4
	s_addc_u32 s1, s3, s5
	v_lshl_add_u64 v[16:17], s[0:1], 0, v[22:23]
	s_mov_b64 s[0:1], -1
	s_and_b64 vcc, exec, s[28:29]
	s_waitcnt lgkmcnt(0)
	s_barrier
	s_cbranch_vccz .LBB2212_24
; %bb.23:
	v_mov_b32_e32 v19, 0
	v_lshl_add_u64 v[26:27], v[16:17], 0, v[18:19]
	v_add_co_u32_e32 v30, vcc, 0x1000, v26
	v_readfirstlane_b32 s0, v16
	s_nop 0
	v_addc_co_u32_e32 v31, vcc, 0, v27, vcc
	v_add_co_u32_e32 v32, vcc, 0x2000, v26
	v_readfirstlane_b32 s1, v17
	s_nop 0
	v_addc_co_u32_e32 v33, vcc, 0, v27, vcc
	v_add_co_u32_e32 v34, vcc, 0x3000, v26
	s_nop 1
	v_addc_co_u32_e32 v35, vcc, 0, v27, vcc
	global_load_dwordx2 v[28:29], v18, s[0:1]
	v_add_co_u32_e32 v36, vcc, 0x4000, v26
	s_mov_b64 s[0:1], 0
	s_nop 0
	v_addc_co_u32_e32 v37, vcc, 0, v27, vcc
	global_load_dwordx2 v[38:39], v[30:31], off
	global_load_dwordx2 v[40:41], v[32:33], off
	;; [unrolled: 1-line block ×4, first 2 shown]
	v_add_co_u32_e32 v30, vcc, 0x5000, v26
	s_waitcnt vmcnt(4)
	v_xor_b32_e32 v19, -1, v28
	v_addc_co_u32_e32 v31, vcc, 0, v27, vcc
	v_add_co_u32_e32 v26, vcc, 0x6000, v26
	global_load_dwordx2 v[30:31], v[30:31], off
	s_nop 0
	v_addc_co_u32_e32 v27, vcc, 0, v27, vcc
	global_load_dwordx2 v[26:27], v[26:27], off
	v_and_b32_e32 v19, 1, v19
	ds_write_b8 v0, v19
	s_waitcnt vmcnt(5)
	v_xor_b32_e32 v19, -1, v38
	v_and_b32_e32 v19, 1, v19
	s_waitcnt vmcnt(4)
	v_xor_b32_e32 v25, -1, v40
	s_waitcnt vmcnt(0)
	v_xor_b32_e32 v27, -1, v42
	v_and_b32_e32 v25, 1, v25
	ds_write_b8 v0, v19 offset:512
	v_and_b32_e32 v19, 1, v27
	v_xor_b32_e32 v27, -1, v44
	ds_write_b8 v0, v25 offset:1024
	v_and_b32_e32 v25, 1, v27
	ds_write_b8 v0, v19 offset:1536
	ds_write_b8 v0, v25 offset:2048
	v_xor_b32_e32 v27, -1, v30
	v_and_b32_e32 v19, 1, v27
	v_xor_b32_e32 v26, -1, v26
	v_and_b32_e32 v25, 1, v26
	ds_write_b8 v0, v19 offset:2560
	ds_write_b8 v0, v25 offset:3072
	s_waitcnt lgkmcnt(0)
	s_barrier
.LBB2212_24:
	s_andn2_b64 vcc, exec, s[0:1]
	s_cbranch_vccnz .LBB2212_40
; %bb.25:
	v_cmp_gt_u32_e32 vcc, s33, v0
	v_mov_b32_e32 v19, 0
	v_mov_b32_e32 v25, 0
	s_and_saveexec_b64 s[0:1], vcc
	s_cbranch_execz .LBB2212_27
; %bb.26:
	v_readfirstlane_b32 s2, v16
	v_readfirstlane_b32 s3, v17
	s_nop 4
	global_load_dwordx2 v[26:27], v18, s[2:3]
	s_waitcnt vmcnt(0)
	v_xor_b32_e32 v25, -1, v26
	v_and_b32_e32 v25, 1, v25
.LBB2212_27:
	s_or_b64 exec, exec, s[0:1]
	v_or_b32_e32 v26, 0x200, v0
	v_cmp_gt_u32_e32 vcc, s33, v26
	s_and_saveexec_b64 s[0:1], vcc
	s_cbranch_execz .LBB2212_29
; %bb.28:
	v_lshlrev_b32_e32 v19, 3, v26
	v_readfirstlane_b32 s2, v16
	v_readfirstlane_b32 s3, v17
	s_nop 4
	global_load_dwordx2 v[26:27], v19, s[2:3]
	s_waitcnt vmcnt(0)
	v_xor_b32_e32 v19, -1, v26
	v_and_b32_e32 v19, 1, v19
.LBB2212_29:
	s_or_b64 exec, exec, s[0:1]
	v_or_b32_e32 v28, 0x400, v0
	v_cmp_gt_u32_e32 vcc, s33, v28
	v_mov_b32_e32 v26, 0
	v_mov_b32_e32 v27, 0
	s_and_saveexec_b64 s[0:1], vcc
	s_cbranch_execz .LBB2212_31
; %bb.30:
	v_lshlrev_b32_e32 v27, 3, v28
	v_readfirstlane_b32 s2, v16
	v_readfirstlane_b32 s3, v17
	s_nop 4
	global_load_dwordx2 v[28:29], v27, s[2:3]
	s_waitcnt vmcnt(0)
	v_xor_b32_e32 v27, -1, v28
	v_and_b32_e32 v27, 1, v27
.LBB2212_31:
	s_or_b64 exec, exec, s[0:1]
	v_or_b32_e32 v28, 0x600, v0
	v_cmp_gt_u32_e32 vcc, s33, v28
	s_and_saveexec_b64 s[0:1], vcc
	s_cbranch_execz .LBB2212_33
; %bb.32:
	v_lshlrev_b32_e32 v26, 3, v28
	v_readfirstlane_b32 s2, v16
	v_readfirstlane_b32 s3, v17
	s_nop 4
	global_load_dwordx2 v[28:29], v26, s[2:3]
	s_waitcnt vmcnt(0)
	v_xor_b32_e32 v26, -1, v28
	v_and_b32_e32 v26, 1, v26
.LBB2212_33:
	s_or_b64 exec, exec, s[0:1]
	v_or_b32_e32 v30, 0x800, v0
	v_cmp_gt_u32_e32 vcc, s33, v30
	v_mov_b32_e32 v28, 0
	v_mov_b32_e32 v29, 0
	s_and_saveexec_b64 s[0:1], vcc
	s_cbranch_execz .LBB2212_35
; %bb.34:
	v_lshlrev_b32_e32 v29, 3, v30
	v_readfirstlane_b32 s2, v16
	v_readfirstlane_b32 s3, v17
	s_nop 4
	global_load_dwordx2 v[30:31], v29, s[2:3]
	s_waitcnt vmcnt(0)
	v_xor_b32_e32 v29, -1, v30
	v_and_b32_e32 v29, 1, v29
.LBB2212_35:
	s_or_b64 exec, exec, s[0:1]
	v_or_b32_e32 v30, 0xa00, v0
	v_cmp_gt_u32_e32 vcc, s33, v30
	s_and_saveexec_b64 s[0:1], vcc
	s_cbranch_execz .LBB2212_37
; %bb.36:
	v_lshlrev_b32_e32 v28, 3, v30
	v_readfirstlane_b32 s2, v16
	v_readfirstlane_b32 s3, v17
	s_nop 4
	global_load_dwordx2 v[30:31], v28, s[2:3]
	s_waitcnt vmcnt(0)
	v_xor_b32_e32 v28, -1, v30
	v_and_b32_e32 v28, 1, v28
.LBB2212_37:
	s_or_b64 exec, exec, s[0:1]
	v_or_b32_e32 v31, 0xc00, v0
	v_cmp_gt_u32_e32 vcc, s33, v31
	v_mov_b32_e32 v30, 0
	s_and_saveexec_b64 s[0:1], vcc
	s_cbranch_execz .LBB2212_39
; %bb.38:
	v_lshlrev_b32_e32 v30, 3, v31
	v_readfirstlane_b32 s2, v16
	v_readfirstlane_b32 s3, v17
	s_nop 4
	global_load_dwordx2 v[16:17], v30, s[2:3]
	s_waitcnt vmcnt(0)
	v_xor_b32_e32 v16, -1, v16
	v_and_b32_e32 v30, 1, v16
.LBB2212_39:
	s_or_b64 exec, exec, s[0:1]
	ds_write_b8 v0, v25
	ds_write_b8 v0, v19 offset:512
	ds_write_b8 v0, v27 offset:1024
	;; [unrolled: 1-line block ×6, first 2 shown]
	s_waitcnt lgkmcnt(0)
	s_barrier
.LBB2212_40:
	s_movk_i32 s0, 0xffcf
	v_mad_i32_i24 v39, v0, s0, v24
	ds_read_u8 v16, v39
	ds_read_u8 v17, v39 offset:1
	ds_read_u8 v19, v39 offset:2
	ds_read_u8 v24, v39 offset:3
	ds_read_u8 v25, v39 offset:4
	ds_read_u8 v26, v39 offset:5
	ds_read_u8 v27, v39 offset:6
	s_waitcnt lgkmcnt(6)
	v_and_b32_e32 v37, 1, v16
	s_waitcnt lgkmcnt(5)
	v_and_b32_e32 v36, 1, v17
	s_waitcnt lgkmcnt(4)
	v_and_b32_e32 v35, 1, v19
	s_waitcnt lgkmcnt(3)
	v_and_b32_e32 v34, 1, v24
	s_waitcnt lgkmcnt(2)
	v_and_b32_e32 v33, 1, v25
	v_add3_u32 v16, v36, v37, v35
	s_waitcnt lgkmcnt(1)
	v_and_b32_e32 v32, 1, v26
	s_waitcnt lgkmcnt(0)
	v_and_b32_e32 v19, 1, v27
	v_add3_u32 v16, v16, v34, v33
	v_add3_u32 v41, v16, v32, v19
	v_mbcnt_lo_u32_b32 v16, -1, 0
	v_mbcnt_hi_u32_b32 v38, -1, v16
	v_and_b32_e32 v16, 15, v38
	v_cmp_eq_u32_e64 s[14:15], 0, v16
	v_cmp_lt_u32_e64 s[12:13], 1, v16
	v_cmp_lt_u32_e64 s[10:11], 3, v16
	;; [unrolled: 1-line block ×3, first 2 shown]
	v_and_b32_e32 v16, 16, v38
	v_cmp_eq_u32_e64 s[6:7], 0, v16
	v_or_b32_e32 v16, 63, v0
	s_cmp_lg_u32 s40, 0
	v_cmp_lt_u32_e64 s[2:3], 31, v38
	v_lshrrev_b32_e32 v40, 6, v0
	v_cmp_eq_u32_e64 s[4:5], v16, v0
	s_barrier
	s_cbranch_scc0 .LBB2212_71
; %bb.41:
	v_mov_b32_dpp v16, v41 row_shr:1 row_mask:0xf bank_mask:0xf
	v_cndmask_b32_e64 v16, v16, 0, s[14:15]
	v_add_u32_e32 v16, v16, v41
	s_nop 1
	v_mov_b32_dpp v17, v16 row_shr:2 row_mask:0xf bank_mask:0xf
	v_cndmask_b32_e64 v17, 0, v17, s[12:13]
	v_add_u32_e32 v16, v16, v17
	s_nop 1
	;; [unrolled: 4-line block ×4, first 2 shown]
	v_mov_b32_dpp v17, v16 row_bcast:15 row_mask:0xf bank_mask:0xf
	v_cndmask_b32_e64 v17, v17, 0, s[6:7]
	v_add_u32_e32 v16, v16, v17
	s_nop 1
	v_mov_b32_dpp v17, v16 row_bcast:31 row_mask:0xf bank_mask:0xf
	v_cndmask_b32_e64 v17, 0, v17, s[2:3]
	v_add_u32_e32 v16, v16, v17
	s_and_saveexec_b64 s[0:1], s[4:5]
	s_cbranch_execz .LBB2212_43
; %bb.42:
	v_lshlrev_b32_e32 v17, 2, v40
	ds_write_b32 v17, v16
.LBB2212_43:
	s_or_b64 exec, exec, s[0:1]
	v_cmp_gt_u32_e32 vcc, 8, v0
	s_waitcnt lgkmcnt(0)
	s_barrier
	s_and_saveexec_b64 s[0:1], vcc
	s_cbranch_execz .LBB2212_45
; %bb.44:
	v_lshlrev_b32_e32 v17, 2, v0
	ds_read_b32 v24, v17
	v_and_b32_e32 v25, 7, v38
	v_cmp_ne_u32_e32 vcc, 0, v25
	s_waitcnt lgkmcnt(0)
	v_mov_b32_dpp v26, v24 row_shr:1 row_mask:0xf bank_mask:0xf
	v_cndmask_b32_e32 v26, 0, v26, vcc
	v_add_u32_e32 v24, v26, v24
	v_cmp_lt_u32_e32 vcc, 1, v25
	s_nop 0
	v_mov_b32_dpp v26, v24 row_shr:2 row_mask:0xf bank_mask:0xf
	v_cndmask_b32_e32 v26, 0, v26, vcc
	v_add_u32_e32 v24, v24, v26
	v_cmp_lt_u32_e32 vcc, 3, v25
	s_nop 0
	v_mov_b32_dpp v26, v24 row_shr:4 row_mask:0xf bank_mask:0xf
	v_cndmask_b32_e32 v25, 0, v26, vcc
	v_add_u32_e32 v24, v24, v25
	ds_write_b32 v17, v24
.LBB2212_45:
	s_or_b64 exec, exec, s[0:1]
	v_cmp_gt_u32_e32 vcc, 64, v0
	v_cmp_lt_u32_e64 s[0:1], 63, v0
	s_waitcnt lgkmcnt(0)
	s_barrier
	s_waitcnt lgkmcnt(0)
                                        ; implicit-def: $vgpr42
	s_and_saveexec_b64 s[16:17], s[0:1]
	s_cbranch_execz .LBB2212_47
; %bb.46:
	v_lshl_add_u32 v17, v40, 2, -4
	ds_read_b32 v42, v17
	s_waitcnt lgkmcnt(0)
	v_add_u32_e32 v16, v42, v16
.LBB2212_47:
	s_or_b64 exec, exec, s[16:17]
	v_add_u32_e32 v17, -1, v38
	v_and_b32_e32 v24, 64, v38
	v_cmp_lt_i32_e64 s[0:1], v17, v24
	v_cmp_eq_u32_e64 s[16:17], 0, v38
	s_nop 0
	v_cndmask_b32_e64 v17, v17, v38, s[0:1]
	v_lshlrev_b32_e32 v17, 2, v17
	ds_bpermute_b32 v43, v17, v16
	s_and_saveexec_b64 s[0:1], vcc
	s_cbranch_execz .LBB2212_70
; %bb.48:
	v_mov_b32_e32 v31, 0
	ds_read_b32 v16, v31 offset:28
	s_and_saveexec_b64 s[36:37], s[16:17]
	s_cbranch_execz .LBB2212_50
; %bb.49:
	s_add_i32 s38, s40, 64
	s_mov_b32 s39, 0
	s_lshl_b64 s[38:39], s[38:39], 3
	s_add_u32 s38, s34, s38
	v_mov_b32_e32 v17, 1
	s_addc_u32 s39, s35, s39
	s_waitcnt lgkmcnt(0)
	global_store_dwordx2 v31, v[16:17], s[38:39] sc1
.LBB2212_50:
	s_or_b64 exec, exec, s[36:37]
	v_xad_u32 v24, v38, -1, s40
	v_add_u32_e32 v30, 64, v24
	v_lshl_add_u64 v[26:27], v[30:31], 3, s[34:35]
	global_load_dwordx2 v[28:29], v[26:27], off sc1
	s_waitcnt vmcnt(0)
	v_cmp_eq_u16_sdwa s[38:39], v29, v31 src0_sel:BYTE_0 src1_sel:DWORD
	s_and_saveexec_b64 s[36:37], s[38:39]
	s_cbranch_execz .LBB2212_56
; %bb.51:
	s_mov_b32 s41, 1
	s_mov_b64 s[38:39], 0
	v_mov_b32_e32 v17, 0
.LBB2212_52:                            ; =>This Loop Header: Depth=1
                                        ;     Child Loop BB2212_53 Depth 2
	s_max_u32 s42, s41, 1
.LBB2212_53:                            ;   Parent Loop BB2212_52 Depth=1
                                        ; =>  This Inner Loop Header: Depth=2
	s_add_i32 s42, s42, -1
	s_cmp_eq_u32 s42, 0
	s_sleep 1
	s_cbranch_scc0 .LBB2212_53
; %bb.54:                               ;   in Loop: Header=BB2212_52 Depth=1
	global_load_dwordx2 v[28:29], v[26:27], off sc1
	s_cmp_lt_u32 s41, 32
	s_cselect_b64 s[42:43], -1, 0
	s_cmp_lg_u64 s[42:43], 0
	s_addc_u32 s41, s41, 0
	s_waitcnt vmcnt(0)
	v_cmp_ne_u16_sdwa s[42:43], v29, v17 src0_sel:BYTE_0 src1_sel:DWORD
	s_or_b64 s[38:39], s[42:43], s[38:39]
	s_andn2_b64 exec, exec, s[38:39]
	s_cbranch_execnz .LBB2212_52
; %bb.55:
	s_or_b64 exec, exec, s[38:39]
.LBB2212_56:
	s_or_b64 exec, exec, s[36:37]
	v_and_b32_e32 v45, 63, v38
	v_mov_b32_e32 v44, 2
	v_cmp_ne_u32_e32 vcc, 63, v45
	v_cmp_eq_u16_sdwa s[36:37], v29, v44 src0_sel:BYTE_0 src1_sel:DWORD
	v_lshlrev_b64 v[26:27], v38, -1
	v_addc_co_u32_e32 v30, vcc, 0, v38, vcc
	v_and_b32_e32 v17, s37, v27
	v_lshlrev_b32_e32 v46, 2, v30
	v_or_b32_e32 v17, 0x80000000, v17
	ds_bpermute_b32 v30, v46, v28
	v_and_b32_e32 v25, s36, v26
	v_ffbl_b32_e32 v17, v17
	v_add_u32_e32 v17, 32, v17
	v_ffbl_b32_e32 v25, v25
	v_min_u32_e32 v17, v25, v17
	v_cmp_lt_u32_e32 vcc, v45, v17
	v_add_u32_e32 v48, 2, v45
	v_add_u32_e32 v50, 4, v45
	s_waitcnt lgkmcnt(0)
	v_cndmask_b32_e32 v25, 0, v30, vcc
	v_cmp_gt_u32_e32 vcc, 62, v45
	v_add_u32_e32 v25, v25, v28
	v_add_u32_e32 v52, 8, v45
	v_cndmask_b32_e64 v28, 0, 1, vcc
	v_lshlrev_b32_e32 v28, 1, v28
	v_add_lshl_u32 v47, v28, v38, 2
	ds_bpermute_b32 v28, v47, v25
	v_cmp_le_u32_e32 vcc, v48, v17
	v_add_u32_e32 v54, 16, v45
	v_add_u32_e32 v56, 32, v45
	s_waitcnt lgkmcnt(0)
	v_cndmask_b32_e32 v28, 0, v28, vcc
	v_cmp_gt_u32_e32 vcc, 60, v45
	v_add_u32_e32 v25, v25, v28
	s_nop 0
	v_cndmask_b32_e64 v28, 0, 1, vcc
	v_lshlrev_b32_e32 v28, 2, v28
	v_add_lshl_u32 v49, v28, v38, 2
	ds_bpermute_b32 v28, v49, v25
	v_cmp_le_u32_e32 vcc, v50, v17
	s_waitcnt lgkmcnt(0)
	s_nop 0
	v_cndmask_b32_e32 v28, 0, v28, vcc
	v_cmp_gt_u32_e32 vcc, 56, v45
	v_add_u32_e32 v25, v25, v28
	s_nop 0
	v_cndmask_b32_e64 v28, 0, 1, vcc
	v_lshlrev_b32_e32 v28, 3, v28
	v_add_lshl_u32 v51, v28, v38, 2
	ds_bpermute_b32 v28, v51, v25
	v_cmp_le_u32_e32 vcc, v52, v17
	s_waitcnt lgkmcnt(0)
	s_nop 0
	;; [unrolled: 11-line block ×4, first 2 shown]
	v_cndmask_b32_e32 v17, 0, v28, vcc
	v_add_u32_e32 v28, v25, v17
	v_mov_b32_e32 v25, 0
	s_branch .LBB2212_58
.LBB2212_57:                            ;   in Loop: Header=BB2212_58 Depth=1
	s_or_b64 exec, exec, s[36:37]
	v_cmp_eq_u16_sdwa s[36:37], v29, v44 src0_sel:BYTE_0 src1_sel:DWORD
	ds_bpermute_b32 v57, v46, v28
	v_subrev_u32_e32 v24, 64, v24
	v_and_b32_e32 v30, s37, v27
	v_or_b32_e32 v30, 0x80000000, v30
	v_and_b32_e32 v31, s36, v26
	v_ffbl_b32_e32 v30, v30
	v_add_u32_e32 v30, 32, v30
	v_ffbl_b32_e32 v31, v31
	v_min_u32_e32 v30, v31, v30
	v_cmp_lt_u32_e32 vcc, v45, v30
	s_waitcnt lgkmcnt(0)
	s_nop 0
	v_cndmask_b32_e32 v31, 0, v57, vcc
	v_add_u32_e32 v28, v31, v28
	ds_bpermute_b32 v31, v47, v28
	v_cmp_le_u32_e32 vcc, v48, v30
	s_waitcnt lgkmcnt(0)
	s_nop 0
	v_cndmask_b32_e32 v31, 0, v31, vcc
	v_add_u32_e32 v28, v28, v31
	ds_bpermute_b32 v31, v49, v28
	v_cmp_le_u32_e32 vcc, v50, v30
	;; [unrolled: 6-line block ×5, first 2 shown]
	s_waitcnt lgkmcnt(0)
	s_nop 0
	v_cndmask_b32_e32 v30, 0, v31, vcc
	v_add3_u32 v28, v30, v17, v28
.LBB2212_58:                            ; =>This Loop Header: Depth=1
                                        ;     Child Loop BB2212_61 Depth 2
                                        ;       Child Loop BB2212_62 Depth 3
	v_cmp_ne_u16_sdwa s[36:37], v29, v44 src0_sel:BYTE_0 src1_sel:DWORD
	s_nop 1
	v_cndmask_b32_e64 v17, 0, 1, s[36:37]
	;;#ASMSTART
	;;#ASMEND
	s_nop 0
	v_cmp_ne_u32_e32 vcc, 0, v17
	s_cmp_lg_u64 vcc, exec
	v_mov_b32_e32 v17, v28
	s_cbranch_scc1 .LBB2212_65
; %bb.59:                               ;   in Loop: Header=BB2212_58 Depth=1
	v_lshl_add_u64 v[30:31], v[24:25], 3, s[34:35]
	global_load_dwordx2 v[28:29], v[30:31], off sc1
	s_waitcnt vmcnt(0)
	v_cmp_eq_u16_sdwa s[38:39], v29, v25 src0_sel:BYTE_0 src1_sel:DWORD
	s_and_saveexec_b64 s[36:37], s[38:39]
	s_cbranch_execz .LBB2212_57
; %bb.60:                               ;   in Loop: Header=BB2212_58 Depth=1
	s_mov_b32 s41, 1
	s_mov_b64 s[38:39], 0
.LBB2212_61:                            ;   Parent Loop BB2212_58 Depth=1
                                        ; =>  This Loop Header: Depth=2
                                        ;       Child Loop BB2212_62 Depth 3
	s_max_u32 s42, s41, 1
.LBB2212_62:                            ;   Parent Loop BB2212_58 Depth=1
                                        ;     Parent Loop BB2212_61 Depth=2
                                        ; =>    This Inner Loop Header: Depth=3
	s_add_i32 s42, s42, -1
	s_cmp_eq_u32 s42, 0
	s_sleep 1
	s_cbranch_scc0 .LBB2212_62
; %bb.63:                               ;   in Loop: Header=BB2212_61 Depth=2
	global_load_dwordx2 v[28:29], v[30:31], off sc1
	s_cmp_lt_u32 s41, 32
	s_cselect_b64 s[42:43], -1, 0
	s_cmp_lg_u64 s[42:43], 0
	s_addc_u32 s41, s41, 0
	s_waitcnt vmcnt(0)
	v_cmp_ne_u16_sdwa s[42:43], v29, v25 src0_sel:BYTE_0 src1_sel:DWORD
	s_or_b64 s[38:39], s[42:43], s[38:39]
	s_andn2_b64 exec, exec, s[38:39]
	s_cbranch_execnz .LBB2212_61
; %bb.64:                               ;   in Loop: Header=BB2212_58 Depth=1
	s_or_b64 exec, exec, s[38:39]
	s_branch .LBB2212_57
.LBB2212_65:                            ;   in Loop: Header=BB2212_58 Depth=1
                                        ; implicit-def: $vgpr28
                                        ; implicit-def: $vgpr29
	s_cbranch_execz .LBB2212_58
; %bb.66:
	s_and_saveexec_b64 s[36:37], s[16:17]
	s_cbranch_execz .LBB2212_68
; %bb.67:
	s_add_i32 s38, s40, 64
	s_mov_b32 s39, 0
	s_lshl_b64 s[38:39], s[38:39], 3
	s_add_u32 s38, s34, s38
	v_add_u32_e32 v24, v17, v16
	v_mov_b32_e32 v25, 2
	s_addc_u32 s39, s35, s39
	v_mov_b32_e32 v26, 0
	global_store_dwordx2 v26, v[24:25], s[38:39] sc1
	ds_write_b64 v26, v[16:17] offset:28672
.LBB2212_68:
	s_or_b64 exec, exec, s[36:37]
	s_and_b64 exec, exec, s[18:19]
	s_cbranch_execz .LBB2212_70
; %bb.69:
	v_mov_b32_e32 v16, 0
	ds_write_b32 v16, v17 offset:28
.LBB2212_70:
	s_or_b64 exec, exec, s[0:1]
	v_mov_b32_e32 v16, 0
	s_waitcnt lgkmcnt(0)
	s_barrier
	ds_read_b32 v17, v16 offset:28
	v_cndmask_b32_e64 v24, v43, v42, s[16:17]
	v_cndmask_b32_e64 v24, v24, 0, s[18:19]
	s_waitcnt lgkmcnt(0)
	s_barrier
	v_add_u32_e32 v31, v17, v24
	v_add_u32_e32 v30, v31, v37
	ds_read_b64 v[16:17], v16 offset:28672
	v_add_u32_e32 v29, v30, v36
	v_add_u32_e32 v27, v29, v35
	;; [unrolled: 1-line block ×5, first 2 shown]
	s_waitcnt lgkmcnt(0)
	v_mov_b32_e32 v24, v17
	s_branch .LBB2212_81
.LBB2212_71:
                                        ; implicit-def: $vgpr24
                                        ; implicit-def: $vgpr16
                                        ; implicit-def: $vgpr25
                                        ; implicit-def: $vgpr26
                                        ; implicit-def: $vgpr28
                                        ; implicit-def: $vgpr27
                                        ; implicit-def: $vgpr29
                                        ; implicit-def: $vgpr30
                                        ; implicit-def: $vgpr31
	s_cbranch_execz .LBB2212_81
; %bb.72:
	s_nop 0
	v_mov_b32_dpp v16, v41 row_shr:1 row_mask:0xf bank_mask:0xf
	v_cndmask_b32_e64 v16, v16, 0, s[14:15]
	v_add_u32_e32 v16, v16, v41
	s_nop 1
	v_mov_b32_dpp v17, v16 row_shr:2 row_mask:0xf bank_mask:0xf
	v_cndmask_b32_e64 v17, 0, v17, s[12:13]
	v_add_u32_e32 v16, v16, v17
	;; [unrolled: 4-line block ×4, first 2 shown]
	s_nop 1
	v_mov_b32_dpp v17, v16 row_bcast:15 row_mask:0xf bank_mask:0xf
	v_cndmask_b32_e64 v17, v17, 0, s[6:7]
	v_add_u32_e32 v16, v16, v17
	s_nop 1
	v_mov_b32_dpp v17, v16 row_bcast:31 row_mask:0xf bank_mask:0xf
	v_cndmask_b32_e64 v17, 0, v17, s[2:3]
	v_add_u32_e32 v16, v16, v17
	s_and_saveexec_b64 s[0:1], s[4:5]
	s_cbranch_execz .LBB2212_74
; %bb.73:
	v_lshlrev_b32_e32 v17, 2, v40
	ds_write_b32 v17, v16
.LBB2212_74:
	s_or_b64 exec, exec, s[0:1]
	v_cmp_gt_u32_e32 vcc, 8, v0
	s_waitcnt lgkmcnt(0)
	s_barrier
	s_and_saveexec_b64 s[0:1], vcc
	s_cbranch_execz .LBB2212_76
; %bb.75:
	v_mad_i32_i24 v17, v0, -3, v39
	ds_read_b32 v24, v17
	v_and_b32_e32 v25, 7, v38
	v_cmp_ne_u32_e32 vcc, 0, v25
	s_waitcnt lgkmcnt(0)
	v_mov_b32_dpp v26, v24 row_shr:1 row_mask:0xf bank_mask:0xf
	v_cndmask_b32_e32 v26, 0, v26, vcc
	v_add_u32_e32 v24, v26, v24
	v_cmp_lt_u32_e32 vcc, 1, v25
	s_nop 0
	v_mov_b32_dpp v26, v24 row_shr:2 row_mask:0xf bank_mask:0xf
	v_cndmask_b32_e32 v26, 0, v26, vcc
	v_add_u32_e32 v24, v24, v26
	v_cmp_lt_u32_e32 vcc, 3, v25
	s_nop 0
	v_mov_b32_dpp v26, v24 row_shr:4 row_mask:0xf bank_mask:0xf
	v_cndmask_b32_e32 v25, 0, v26, vcc
	v_add_u32_e32 v24, v24, v25
	ds_write_b32 v17, v24
.LBB2212_76:
	s_or_b64 exec, exec, s[0:1]
	v_cmp_lt_u32_e32 vcc, 63, v0
	v_mov_b32_e32 v17, 0
	v_mov_b32_e32 v24, 0
	s_waitcnt lgkmcnt(0)
	s_barrier
	s_and_saveexec_b64 s[0:1], vcc
	s_cbranch_execz .LBB2212_78
; %bb.77:
	v_lshl_add_u32 v24, v40, 2, -4
	ds_read_b32 v24, v24
.LBB2212_78:
	s_or_b64 exec, exec, s[0:1]
	v_add_u32_e32 v25, -1, v38
	v_and_b32_e32 v26, 64, v38
	v_cmp_lt_i32_e32 vcc, v25, v26
	s_waitcnt lgkmcnt(0)
	v_add_u32_e32 v16, v24, v16
	v_cndmask_b32_e32 v25, v25, v38, vcc
	v_lshlrev_b32_e32 v25, 2, v25
	ds_bpermute_b32 v25, v25, v16
	ds_read_b32 v16, v17 offset:28
	s_and_saveexec_b64 s[0:1], s[18:19]
	s_cbranch_execz .LBB2212_80
; %bb.79:
	v_mov_b32_e32 v26, 0
	v_mov_b32_e32 v17, 2
	s_waitcnt lgkmcnt(0)
	global_store_dwordx2 v26, v[16:17], s[34:35] offset:512 sc1
.LBB2212_80:
	s_or_b64 exec, exec, s[0:1]
	v_cmp_eq_u32_e32 vcc, 0, v38
	s_waitcnt lgkmcnt(0)
	s_barrier
	v_cndmask_b32_e32 v17, v25, v24, vcc
	v_cndmask_b32_e64 v31, v17, 0, s[18:19]
	v_add_u32_e32 v30, v31, v37
	v_add_u32_e32 v29, v30, v36
	;; [unrolled: 1-line block ×5, first 2 shown]
	v_mov_b32_e32 v24, 0
	v_add_u32_e32 v25, v26, v32
.LBB2212_81:
	v_add_u32_e32 v1, v16, v1
	v_sub_u32_e32 v17, v31, v24
	v_sub_u32_e32 v31, v1, v17
	v_cmp_eq_u32_e32 vcc, 1, v37
	s_nop 1
	v_cndmask_b32_e32 v17, v31, v17, vcc
	v_lshlrev_b32_e32 v17, 3, v17
	ds_write_b64 v17, v[10:11]
	v_sub_u32_e32 v10, v30, v24
	v_sub_u32_e32 v11, v1, v10
	v_add_u32_e32 v11, 1, v11
	v_cmp_eq_u32_e32 vcc, 1, v36
	v_or_b32_e32 v31, 0x400, v0
	v_or_b32_e32 v30, 0x600, v0
	v_cndmask_b32_e32 v10, v11, v10, vcc
	v_lshlrev_b32_e32 v10, 3, v10
	ds_write_b64 v10, v[12:13]
	v_sub_u32_e32 v10, v29, v24
	v_sub_u32_e32 v11, v1, v10
	v_add_u32_e32 v11, 2, v11
	v_cmp_eq_u32_e32 vcc, 1, v35
	v_or_b32_e32 v29, 0x800, v0
	s_nop 0
	v_cndmask_b32_e32 v10, v11, v10, vcc
	v_lshlrev_b32_e32 v10, 3, v10
	ds_write_b64 v10, v[6:7]
	v_sub_u32_e32 v6, v27, v24
	v_sub_u32_e32 v7, v1, v6
	v_add_u32_e32 v7, 3, v7
	v_cmp_eq_u32_e32 vcc, 1, v34
	s_nop 1
	v_cndmask_b32_e32 v6, v7, v6, vcc
	v_lshlrev_b32_e32 v6, 3, v6
	ds_write_b64 v6, v[8:9]
	v_sub_u32_e32 v6, v28, v24
	v_sub_u32_e32 v7, v1, v6
	v_add_u32_e32 v7, 4, v7
	v_cmp_eq_u32_e32 vcc, 1, v33
	v_or_b32_e32 v28, 0xa00, v0
	s_nop 0
	v_cndmask_b32_e32 v6, v7, v6, vcc
	v_lshlrev_b32_e32 v6, 3, v6
	ds_write_b64 v6, v[2:3]
	v_sub_u32_e32 v2, v26, v24
	v_sub_u32_e32 v3, v1, v2
	v_add_u32_e32 v3, 5, v3
	v_cmp_eq_u32_e32 vcc, 1, v32
	v_or_b32_e32 v32, 0x200, v0
	s_nop 0
	v_cndmask_b32_e32 v2, v3, v2, vcc
	v_lshlrev_b32_e32 v2, 3, v2
	ds_write_b64 v2, v[4:5]
	v_sub_u32_e32 v2, v25, v24
	v_sub_u32_e32 v1, v1, v2
	v_add_u32_e32 v1, 6, v1
	v_cmp_eq_u32_e32 vcc, 1, v19
	v_mov_b32_e32 v25, 0
	s_waitcnt vmcnt(0)
	v_lshl_add_u64 v[34:35], v[20:21], 0, v[24:25]
	v_cndmask_b32_e32 v1, v1, v2, vcc
	v_lshlrev_b32_e32 v1, 3, v1
	v_mov_b32_e32 v17, v25
	ds_write_b64 v1, v[14:15]
	v_lshl_add_u64 v[14:15], v[34:35], 0, v[16:17]
	v_mov_b32_e32 v17, s31
	v_sub_co_u32_e32 v20, vcc, s30, v14
	s_waitcnt lgkmcnt(0)
	s_barrier
	ds_read2st64_b64 v[10:13], v18 offset1:8
	ds_read2st64_b64 v[6:9], v18 offset0:16 offset1:24
	ds_read2st64_b64 v[2:5], v18 offset0:32 offset1:40
	ds_read_b64 v[26:27], v18 offset:24576
	v_subb_co_u32_e32 v21, vcc, v17, v15, vcc
	v_lshlrev_b64 v[20:21], 3, v[20:21]
	v_lshl_add_u64 v[20:21], s[26:27], 0, v[20:21]
	v_lshl_add_u64 v[20:21], v[20:21], 0, v[22:23]
	v_lshlrev_b64 v[22:23], 3, v[34:35]
	v_or_b32_e32 v1, 0xc00, v0
	s_andn2_b64 vcc, exec, s[28:29]
	v_lshl_add_u64 v[22:23], s[24:25], 0, v[22:23]
	s_cbranch_vccnz .LBB2212_83
; %bb.82:
	v_cmp_lt_u32_e32 vcc, v0, v16
	v_mov_b32_e32 v19, v25
	v_lshlrev_b32_e32 v24, 3, v32
	v_cndmask_b32_e32 v35, v21, v23, vcc
	v_cndmask_b32_e32 v34, v20, v22, vcc
	v_lshl_add_u64 v[34:35], v[34:35], 0, v[18:19]
	v_cmp_lt_u32_e32 vcc, v32, v16
	s_waitcnt lgkmcnt(3)
	global_store_dwordx2 v[34:35], v[10:11], off
	v_cndmask_b32_e32 v35, v21, v23, vcc
	v_cndmask_b32_e32 v34, v20, v22, vcc
	v_lshl_add_u64 v[34:35], v[34:35], 0, v[24:25]
	v_cmp_lt_u32_e32 vcc, v31, v16
	global_store_dwordx2 v[34:35], v[12:13], off
	v_lshlrev_b32_e32 v24, 3, v31
	v_cndmask_b32_e32 v35, v21, v23, vcc
	v_cndmask_b32_e32 v34, v20, v22, vcc
	v_lshl_add_u64 v[34:35], v[34:35], 0, v[24:25]
	v_cmp_lt_u32_e32 vcc, v30, v16
	s_waitcnt lgkmcnt(2)
	global_store_dwordx2 v[34:35], v[6:7], off
	v_lshlrev_b32_e32 v24, 3, v30
	v_cndmask_b32_e32 v35, v21, v23, vcc
	v_cndmask_b32_e32 v34, v20, v22, vcc
	v_lshl_add_u64 v[34:35], v[34:35], 0, v[24:25]
	v_cmp_lt_u32_e32 vcc, v29, v16
	global_store_dwordx2 v[34:35], v[8:9], off
	v_lshlrev_b32_e32 v24, 3, v29
	v_cndmask_b32_e32 v35, v21, v23, vcc
	v_cndmask_b32_e32 v34, v20, v22, vcc
	v_lshl_add_u64 v[34:35], v[34:35], 0, v[24:25]
	v_cmp_lt_u32_e32 vcc, v28, v16
	s_waitcnt lgkmcnt(1)
	global_store_dwordx2 v[34:35], v[2:3], off
	v_lshlrev_b32_e32 v24, 3, v28
	v_cndmask_b32_e32 v35, v21, v23, vcc
	v_cndmask_b32_e32 v34, v20, v22, vcc
	v_lshl_add_u64 v[24:25], v[34:35], 0, v[24:25]
	s_mov_b64 s[0:1], -1
	global_store_dwordx2 v[24:25], v[4:5], off
	s_cbranch_execz .LBB2212_84
	s_branch .LBB2212_92
.LBB2212_83:
	s_mov_b64 s[0:1], 0
.LBB2212_84:
	v_cmp_gt_u32_e32 vcc, s33, v0
	s_and_saveexec_b64 s[0:1], vcc
	s_cbranch_execnz .LBB2212_97
; %bb.85:
	s_or_b64 exec, exec, s[0:1]
	v_cmp_gt_u32_e32 vcc, s33, v32
	s_and_saveexec_b64 s[0:1], vcc
	s_cbranch_execnz .LBB2212_98
.LBB2212_86:
	s_or_b64 exec, exec, s[0:1]
	v_cmp_gt_u32_e32 vcc, s33, v31
	s_and_saveexec_b64 s[0:1], vcc
	s_cbranch_execnz .LBB2212_99
.LBB2212_87:
	s_or_b64 exec, exec, s[0:1]
	v_cmp_gt_u32_e32 vcc, s33, v30
	s_and_saveexec_b64 s[0:1], vcc
	s_cbranch_execnz .LBB2212_100
.LBB2212_88:
	s_or_b64 exec, exec, s[0:1]
	v_cmp_gt_u32_e32 vcc, s33, v29
	s_and_saveexec_b64 s[0:1], vcc
	s_cbranch_execnz .LBB2212_101
.LBB2212_89:
	s_or_b64 exec, exec, s[0:1]
	v_cmp_gt_u32_e32 vcc, s33, v28
	s_and_saveexec_b64 s[0:1], vcc
	s_cbranch_execz .LBB2212_91
.LBB2212_90:
	v_cmp_lt_u32_e32 vcc, v28, v16
	s_waitcnt lgkmcnt(2)
	v_lshlrev_b32_e32 v6, 3, v28
	v_mov_b32_e32 v7, 0
	s_waitcnt lgkmcnt(1)
	v_cndmask_b32_e32 v3, v21, v23, vcc
	v_cndmask_b32_e32 v2, v20, v22, vcc
	v_lshl_add_u64 v[2:3], v[2:3], 0, v[6:7]
	global_store_dwordx2 v[2:3], v[4:5], off
.LBB2212_91:
	s_or_b64 exec, exec, s[0:1]
	v_cmp_gt_u32_e64 s[0:1], s33, v1
.LBB2212_92:
	s_and_saveexec_b64 s[2:3], s[0:1]
	s_cbranch_execnz .LBB2212_95
; %bb.93:
	s_or_b64 exec, exec, s[2:3]
	s_and_b64 s[0:1], s[18:19], s[22:23]
	s_and_saveexec_b64 s[2:3], s[0:1]
	s_cbranch_execnz .LBB2212_96
.LBB2212_94:
	s_endpgm
.LBB2212_95:
	v_cmp_lt_u32_e32 vcc, v1, v16
	v_lshlrev_b32_e32 v0, 3, v1
	v_mov_b32_e32 v1, 0
	s_waitcnt lgkmcnt(1)
	v_cndmask_b32_e32 v3, v21, v23, vcc
	v_cndmask_b32_e32 v2, v20, v22, vcc
	v_lshl_add_u64 v[0:1], v[2:3], 0, v[0:1]
	s_waitcnt lgkmcnt(0)
	global_store_dwordx2 v[0:1], v[26:27], off
	s_or_b64 exec, exec, s[2:3]
	s_and_b64 s[0:1], s[18:19], s[22:23]
	s_and_saveexec_b64 s[2:3], s[0:1]
	s_cbranch_execz .LBB2212_94
.LBB2212_96:
	v_mov_b32_e32 v0, 0
	global_store_dwordx2 v0, v[14:15], s[20:21]
	s_endpgm
.LBB2212_97:
	v_cmp_lt_u32_e32 vcc, v0, v16
	v_mov_b32_e32 v19, 0
	s_nop 0
	v_cndmask_b32_e32 v25, v21, v23, vcc
	v_cndmask_b32_e32 v24, v20, v22, vcc
	v_lshl_add_u64 v[18:19], v[24:25], 0, v[18:19]
	s_waitcnt lgkmcnt(3)
	global_store_dwordx2 v[18:19], v[10:11], off
	s_or_b64 exec, exec, s[0:1]
	v_cmp_gt_u32_e32 vcc, s33, v32
	s_and_saveexec_b64 s[0:1], vcc
	s_cbranch_execz .LBB2212_86
.LBB2212_98:
	v_cmp_lt_u32_e32 vcc, v32, v16
	v_lshlrev_b32_e32 v18, 3, v32
	v_mov_b32_e32 v19, 0
	s_waitcnt lgkmcnt(3)
	v_cndmask_b32_e32 v11, v21, v23, vcc
	v_cndmask_b32_e32 v10, v20, v22, vcc
	v_lshl_add_u64 v[10:11], v[10:11], 0, v[18:19]
	global_store_dwordx2 v[10:11], v[12:13], off
	s_or_b64 exec, exec, s[0:1]
	v_cmp_gt_u32_e32 vcc, s33, v31
	s_and_saveexec_b64 s[0:1], vcc
	s_cbranch_execz .LBB2212_87
.LBB2212_99:
	v_cmp_lt_u32_e32 vcc, v31, v16
	s_waitcnt lgkmcnt(3)
	v_lshlrev_b32_e32 v12, 3, v31
	v_mov_b32_e32 v13, 0
	v_cndmask_b32_e32 v11, v21, v23, vcc
	v_cndmask_b32_e32 v10, v20, v22, vcc
	v_lshl_add_u64 v[10:11], v[10:11], 0, v[12:13]
	s_waitcnt lgkmcnt(2)
	global_store_dwordx2 v[10:11], v[6:7], off
	s_or_b64 exec, exec, s[0:1]
	v_cmp_gt_u32_e32 vcc, s33, v30
	s_and_saveexec_b64 s[0:1], vcc
	s_cbranch_execz .LBB2212_88
.LBB2212_100:
	v_cmp_lt_u32_e32 vcc, v30, v16
	s_waitcnt lgkmcnt(3)
	v_lshlrev_b32_e32 v10, 3, v30
	v_mov_b32_e32 v11, 0
	s_waitcnt lgkmcnt(2)
	v_cndmask_b32_e32 v7, v21, v23, vcc
	v_cndmask_b32_e32 v6, v20, v22, vcc
	v_lshl_add_u64 v[6:7], v[6:7], 0, v[10:11]
	global_store_dwordx2 v[6:7], v[8:9], off
	s_or_b64 exec, exec, s[0:1]
	v_cmp_gt_u32_e32 vcc, s33, v29
	s_and_saveexec_b64 s[0:1], vcc
	s_cbranch_execz .LBB2212_89
.LBB2212_101:
	v_cmp_lt_u32_e32 vcc, v29, v16
	s_waitcnt lgkmcnt(2)
	v_lshlrev_b32_e32 v8, 3, v29
	v_mov_b32_e32 v9, 0
	v_cndmask_b32_e32 v7, v21, v23, vcc
	v_cndmask_b32_e32 v6, v20, v22, vcc
	v_lshl_add_u64 v[6:7], v[6:7], 0, v[8:9]
	s_waitcnt lgkmcnt(1)
	global_store_dwordx2 v[6:7], v[2:3], off
	s_or_b64 exec, exec, s[0:1]
	v_cmp_gt_u32_e32 vcc, s33, v28
	s_and_saveexec_b64 s[0:1], vcc
	s_cbranch_execnz .LBB2212_90
	s_branch .LBB2212_91
	.section	.rodata,"a",@progbits
	.p2align	6, 0x0
	.amdhsa_kernel _ZN7rocprim17ROCPRIM_400000_NS6detail17trampoline_kernelINS0_14default_configENS1_25partition_config_selectorILNS1_17partition_subalgoE1EyNS0_10empty_typeEbEEZZNS1_14partition_implILS5_1ELb0ES3_jN6thrust23THRUST_200600_302600_NS6detail15normal_iteratorINSA_10device_ptrIyEEEEPS6_NSA_18transform_iteratorI7is_evenIyESF_NSA_11use_defaultESK_EENS0_5tupleIJSF_SF_EEENSM_IJSG_SG_EEES6_PlJS6_EEE10hipError_tPvRmT3_T4_T5_T6_T7_T9_mT8_P12ihipStream_tbDpT10_ENKUlT_T0_E_clISt17integral_constantIbLb1EES19_EEDaS14_S15_EUlS14_E_NS1_11comp_targetILNS1_3genE5ELNS1_11target_archE942ELNS1_3gpuE9ELNS1_3repE0EEENS1_30default_config_static_selectorELNS0_4arch9wavefront6targetE1EEEvT1_
		.amdhsa_group_segment_fixed_size 28680
		.amdhsa_private_segment_fixed_size 0
		.amdhsa_kernarg_size 144
		.amdhsa_user_sgpr_count 2
		.amdhsa_user_sgpr_dispatch_ptr 0
		.amdhsa_user_sgpr_queue_ptr 0
		.amdhsa_user_sgpr_kernarg_segment_ptr 1
		.amdhsa_user_sgpr_dispatch_id 0
		.amdhsa_user_sgpr_kernarg_preload_length 0
		.amdhsa_user_sgpr_kernarg_preload_offset 0
		.amdhsa_user_sgpr_private_segment_size 0
		.amdhsa_uses_dynamic_stack 0
		.amdhsa_enable_private_segment 0
		.amdhsa_system_sgpr_workgroup_id_x 1
		.amdhsa_system_sgpr_workgroup_id_y 0
		.amdhsa_system_sgpr_workgroup_id_z 0
		.amdhsa_system_sgpr_workgroup_info 0
		.amdhsa_system_vgpr_workitem_id 0
		.amdhsa_next_free_vgpr 58
		.amdhsa_next_free_sgpr 44
		.amdhsa_accum_offset 60
		.amdhsa_reserve_vcc 1
		.amdhsa_float_round_mode_32 0
		.amdhsa_float_round_mode_16_64 0
		.amdhsa_float_denorm_mode_32 3
		.amdhsa_float_denorm_mode_16_64 3
		.amdhsa_dx10_clamp 1
		.amdhsa_ieee_mode 1
		.amdhsa_fp16_overflow 0
		.amdhsa_tg_split 0
		.amdhsa_exception_fp_ieee_invalid_op 0
		.amdhsa_exception_fp_denorm_src 0
		.amdhsa_exception_fp_ieee_div_zero 0
		.amdhsa_exception_fp_ieee_overflow 0
		.amdhsa_exception_fp_ieee_underflow 0
		.amdhsa_exception_fp_ieee_inexact 0
		.amdhsa_exception_int_div_zero 0
	.end_amdhsa_kernel
	.section	.text._ZN7rocprim17ROCPRIM_400000_NS6detail17trampoline_kernelINS0_14default_configENS1_25partition_config_selectorILNS1_17partition_subalgoE1EyNS0_10empty_typeEbEEZZNS1_14partition_implILS5_1ELb0ES3_jN6thrust23THRUST_200600_302600_NS6detail15normal_iteratorINSA_10device_ptrIyEEEEPS6_NSA_18transform_iteratorI7is_evenIyESF_NSA_11use_defaultESK_EENS0_5tupleIJSF_SF_EEENSM_IJSG_SG_EEES6_PlJS6_EEE10hipError_tPvRmT3_T4_T5_T6_T7_T9_mT8_P12ihipStream_tbDpT10_ENKUlT_T0_E_clISt17integral_constantIbLb1EES19_EEDaS14_S15_EUlS14_E_NS1_11comp_targetILNS1_3genE5ELNS1_11target_archE942ELNS1_3gpuE9ELNS1_3repE0EEENS1_30default_config_static_selectorELNS0_4arch9wavefront6targetE1EEEvT1_,"axG",@progbits,_ZN7rocprim17ROCPRIM_400000_NS6detail17trampoline_kernelINS0_14default_configENS1_25partition_config_selectorILNS1_17partition_subalgoE1EyNS0_10empty_typeEbEEZZNS1_14partition_implILS5_1ELb0ES3_jN6thrust23THRUST_200600_302600_NS6detail15normal_iteratorINSA_10device_ptrIyEEEEPS6_NSA_18transform_iteratorI7is_evenIyESF_NSA_11use_defaultESK_EENS0_5tupleIJSF_SF_EEENSM_IJSG_SG_EEES6_PlJS6_EEE10hipError_tPvRmT3_T4_T5_T6_T7_T9_mT8_P12ihipStream_tbDpT10_ENKUlT_T0_E_clISt17integral_constantIbLb1EES19_EEDaS14_S15_EUlS14_E_NS1_11comp_targetILNS1_3genE5ELNS1_11target_archE942ELNS1_3gpuE9ELNS1_3repE0EEENS1_30default_config_static_selectorELNS0_4arch9wavefront6targetE1EEEvT1_,comdat
.Lfunc_end2212:
	.size	_ZN7rocprim17ROCPRIM_400000_NS6detail17trampoline_kernelINS0_14default_configENS1_25partition_config_selectorILNS1_17partition_subalgoE1EyNS0_10empty_typeEbEEZZNS1_14partition_implILS5_1ELb0ES3_jN6thrust23THRUST_200600_302600_NS6detail15normal_iteratorINSA_10device_ptrIyEEEEPS6_NSA_18transform_iteratorI7is_evenIyESF_NSA_11use_defaultESK_EENS0_5tupleIJSF_SF_EEENSM_IJSG_SG_EEES6_PlJS6_EEE10hipError_tPvRmT3_T4_T5_T6_T7_T9_mT8_P12ihipStream_tbDpT10_ENKUlT_T0_E_clISt17integral_constantIbLb1EES19_EEDaS14_S15_EUlS14_E_NS1_11comp_targetILNS1_3genE5ELNS1_11target_archE942ELNS1_3gpuE9ELNS1_3repE0EEENS1_30default_config_static_selectorELNS0_4arch9wavefront6targetE1EEEvT1_, .Lfunc_end2212-_ZN7rocprim17ROCPRIM_400000_NS6detail17trampoline_kernelINS0_14default_configENS1_25partition_config_selectorILNS1_17partition_subalgoE1EyNS0_10empty_typeEbEEZZNS1_14partition_implILS5_1ELb0ES3_jN6thrust23THRUST_200600_302600_NS6detail15normal_iteratorINSA_10device_ptrIyEEEEPS6_NSA_18transform_iteratorI7is_evenIyESF_NSA_11use_defaultESK_EENS0_5tupleIJSF_SF_EEENSM_IJSG_SG_EEES6_PlJS6_EEE10hipError_tPvRmT3_T4_T5_T6_T7_T9_mT8_P12ihipStream_tbDpT10_ENKUlT_T0_E_clISt17integral_constantIbLb1EES19_EEDaS14_S15_EUlS14_E_NS1_11comp_targetILNS1_3genE5ELNS1_11target_archE942ELNS1_3gpuE9ELNS1_3repE0EEENS1_30default_config_static_selectorELNS0_4arch9wavefront6targetE1EEEvT1_
                                        ; -- End function
	.section	.AMDGPU.csdata,"",@progbits
; Kernel info:
; codeLenInByte = 5268
; NumSgprs: 50
; NumVgprs: 58
; NumAgprs: 0
; TotalNumVgprs: 58
; ScratchSize: 0
; MemoryBound: 0
; FloatMode: 240
; IeeeMode: 1
; LDSByteSize: 28680 bytes/workgroup (compile time only)
; SGPRBlocks: 6
; VGPRBlocks: 7
; NumSGPRsForWavesPerEU: 50
; NumVGPRsForWavesPerEU: 58
; AccumOffset: 60
; Occupancy: 4
; WaveLimiterHint : 1
; COMPUTE_PGM_RSRC2:SCRATCH_EN: 0
; COMPUTE_PGM_RSRC2:USER_SGPR: 2
; COMPUTE_PGM_RSRC2:TRAP_HANDLER: 0
; COMPUTE_PGM_RSRC2:TGID_X_EN: 1
; COMPUTE_PGM_RSRC2:TGID_Y_EN: 0
; COMPUTE_PGM_RSRC2:TGID_Z_EN: 0
; COMPUTE_PGM_RSRC2:TIDIG_COMP_CNT: 0
; COMPUTE_PGM_RSRC3_GFX90A:ACCUM_OFFSET: 14
; COMPUTE_PGM_RSRC3_GFX90A:TG_SPLIT: 0
	.section	.text._ZN7rocprim17ROCPRIM_400000_NS6detail17trampoline_kernelINS0_14default_configENS1_25partition_config_selectorILNS1_17partition_subalgoE1EyNS0_10empty_typeEbEEZZNS1_14partition_implILS5_1ELb0ES3_jN6thrust23THRUST_200600_302600_NS6detail15normal_iteratorINSA_10device_ptrIyEEEEPS6_NSA_18transform_iteratorI7is_evenIyESF_NSA_11use_defaultESK_EENS0_5tupleIJSF_SF_EEENSM_IJSG_SG_EEES6_PlJS6_EEE10hipError_tPvRmT3_T4_T5_T6_T7_T9_mT8_P12ihipStream_tbDpT10_ENKUlT_T0_E_clISt17integral_constantIbLb1EES19_EEDaS14_S15_EUlS14_E_NS1_11comp_targetILNS1_3genE4ELNS1_11target_archE910ELNS1_3gpuE8ELNS1_3repE0EEENS1_30default_config_static_selectorELNS0_4arch9wavefront6targetE1EEEvT1_,"axG",@progbits,_ZN7rocprim17ROCPRIM_400000_NS6detail17trampoline_kernelINS0_14default_configENS1_25partition_config_selectorILNS1_17partition_subalgoE1EyNS0_10empty_typeEbEEZZNS1_14partition_implILS5_1ELb0ES3_jN6thrust23THRUST_200600_302600_NS6detail15normal_iteratorINSA_10device_ptrIyEEEEPS6_NSA_18transform_iteratorI7is_evenIyESF_NSA_11use_defaultESK_EENS0_5tupleIJSF_SF_EEENSM_IJSG_SG_EEES6_PlJS6_EEE10hipError_tPvRmT3_T4_T5_T6_T7_T9_mT8_P12ihipStream_tbDpT10_ENKUlT_T0_E_clISt17integral_constantIbLb1EES19_EEDaS14_S15_EUlS14_E_NS1_11comp_targetILNS1_3genE4ELNS1_11target_archE910ELNS1_3gpuE8ELNS1_3repE0EEENS1_30default_config_static_selectorELNS0_4arch9wavefront6targetE1EEEvT1_,comdat
	.protected	_ZN7rocprim17ROCPRIM_400000_NS6detail17trampoline_kernelINS0_14default_configENS1_25partition_config_selectorILNS1_17partition_subalgoE1EyNS0_10empty_typeEbEEZZNS1_14partition_implILS5_1ELb0ES3_jN6thrust23THRUST_200600_302600_NS6detail15normal_iteratorINSA_10device_ptrIyEEEEPS6_NSA_18transform_iteratorI7is_evenIyESF_NSA_11use_defaultESK_EENS0_5tupleIJSF_SF_EEENSM_IJSG_SG_EEES6_PlJS6_EEE10hipError_tPvRmT3_T4_T5_T6_T7_T9_mT8_P12ihipStream_tbDpT10_ENKUlT_T0_E_clISt17integral_constantIbLb1EES19_EEDaS14_S15_EUlS14_E_NS1_11comp_targetILNS1_3genE4ELNS1_11target_archE910ELNS1_3gpuE8ELNS1_3repE0EEENS1_30default_config_static_selectorELNS0_4arch9wavefront6targetE1EEEvT1_ ; -- Begin function _ZN7rocprim17ROCPRIM_400000_NS6detail17trampoline_kernelINS0_14default_configENS1_25partition_config_selectorILNS1_17partition_subalgoE1EyNS0_10empty_typeEbEEZZNS1_14partition_implILS5_1ELb0ES3_jN6thrust23THRUST_200600_302600_NS6detail15normal_iteratorINSA_10device_ptrIyEEEEPS6_NSA_18transform_iteratorI7is_evenIyESF_NSA_11use_defaultESK_EENS0_5tupleIJSF_SF_EEENSM_IJSG_SG_EEES6_PlJS6_EEE10hipError_tPvRmT3_T4_T5_T6_T7_T9_mT8_P12ihipStream_tbDpT10_ENKUlT_T0_E_clISt17integral_constantIbLb1EES19_EEDaS14_S15_EUlS14_E_NS1_11comp_targetILNS1_3genE4ELNS1_11target_archE910ELNS1_3gpuE8ELNS1_3repE0EEENS1_30default_config_static_selectorELNS0_4arch9wavefront6targetE1EEEvT1_
	.globl	_ZN7rocprim17ROCPRIM_400000_NS6detail17trampoline_kernelINS0_14default_configENS1_25partition_config_selectorILNS1_17partition_subalgoE1EyNS0_10empty_typeEbEEZZNS1_14partition_implILS5_1ELb0ES3_jN6thrust23THRUST_200600_302600_NS6detail15normal_iteratorINSA_10device_ptrIyEEEEPS6_NSA_18transform_iteratorI7is_evenIyESF_NSA_11use_defaultESK_EENS0_5tupleIJSF_SF_EEENSM_IJSG_SG_EEES6_PlJS6_EEE10hipError_tPvRmT3_T4_T5_T6_T7_T9_mT8_P12ihipStream_tbDpT10_ENKUlT_T0_E_clISt17integral_constantIbLb1EES19_EEDaS14_S15_EUlS14_E_NS1_11comp_targetILNS1_3genE4ELNS1_11target_archE910ELNS1_3gpuE8ELNS1_3repE0EEENS1_30default_config_static_selectorELNS0_4arch9wavefront6targetE1EEEvT1_
	.p2align	8
	.type	_ZN7rocprim17ROCPRIM_400000_NS6detail17trampoline_kernelINS0_14default_configENS1_25partition_config_selectorILNS1_17partition_subalgoE1EyNS0_10empty_typeEbEEZZNS1_14partition_implILS5_1ELb0ES3_jN6thrust23THRUST_200600_302600_NS6detail15normal_iteratorINSA_10device_ptrIyEEEEPS6_NSA_18transform_iteratorI7is_evenIyESF_NSA_11use_defaultESK_EENS0_5tupleIJSF_SF_EEENSM_IJSG_SG_EEES6_PlJS6_EEE10hipError_tPvRmT3_T4_T5_T6_T7_T9_mT8_P12ihipStream_tbDpT10_ENKUlT_T0_E_clISt17integral_constantIbLb1EES19_EEDaS14_S15_EUlS14_E_NS1_11comp_targetILNS1_3genE4ELNS1_11target_archE910ELNS1_3gpuE8ELNS1_3repE0EEENS1_30default_config_static_selectorELNS0_4arch9wavefront6targetE1EEEvT1_,@function
_ZN7rocprim17ROCPRIM_400000_NS6detail17trampoline_kernelINS0_14default_configENS1_25partition_config_selectorILNS1_17partition_subalgoE1EyNS0_10empty_typeEbEEZZNS1_14partition_implILS5_1ELb0ES3_jN6thrust23THRUST_200600_302600_NS6detail15normal_iteratorINSA_10device_ptrIyEEEEPS6_NSA_18transform_iteratorI7is_evenIyESF_NSA_11use_defaultESK_EENS0_5tupleIJSF_SF_EEENSM_IJSG_SG_EEES6_PlJS6_EEE10hipError_tPvRmT3_T4_T5_T6_T7_T9_mT8_P12ihipStream_tbDpT10_ENKUlT_T0_E_clISt17integral_constantIbLb1EES19_EEDaS14_S15_EUlS14_E_NS1_11comp_targetILNS1_3genE4ELNS1_11target_archE910ELNS1_3gpuE8ELNS1_3repE0EEENS1_30default_config_static_selectorELNS0_4arch9wavefront6targetE1EEEvT1_: ; @_ZN7rocprim17ROCPRIM_400000_NS6detail17trampoline_kernelINS0_14default_configENS1_25partition_config_selectorILNS1_17partition_subalgoE1EyNS0_10empty_typeEbEEZZNS1_14partition_implILS5_1ELb0ES3_jN6thrust23THRUST_200600_302600_NS6detail15normal_iteratorINSA_10device_ptrIyEEEEPS6_NSA_18transform_iteratorI7is_evenIyESF_NSA_11use_defaultESK_EENS0_5tupleIJSF_SF_EEENSM_IJSG_SG_EEES6_PlJS6_EEE10hipError_tPvRmT3_T4_T5_T6_T7_T9_mT8_P12ihipStream_tbDpT10_ENKUlT_T0_E_clISt17integral_constantIbLb1EES19_EEDaS14_S15_EUlS14_E_NS1_11comp_targetILNS1_3genE4ELNS1_11target_archE910ELNS1_3gpuE8ELNS1_3repE0EEENS1_30default_config_static_selectorELNS0_4arch9wavefront6targetE1EEEvT1_
; %bb.0:
	.section	.rodata,"a",@progbits
	.p2align	6, 0x0
	.amdhsa_kernel _ZN7rocprim17ROCPRIM_400000_NS6detail17trampoline_kernelINS0_14default_configENS1_25partition_config_selectorILNS1_17partition_subalgoE1EyNS0_10empty_typeEbEEZZNS1_14partition_implILS5_1ELb0ES3_jN6thrust23THRUST_200600_302600_NS6detail15normal_iteratorINSA_10device_ptrIyEEEEPS6_NSA_18transform_iteratorI7is_evenIyESF_NSA_11use_defaultESK_EENS0_5tupleIJSF_SF_EEENSM_IJSG_SG_EEES6_PlJS6_EEE10hipError_tPvRmT3_T4_T5_T6_T7_T9_mT8_P12ihipStream_tbDpT10_ENKUlT_T0_E_clISt17integral_constantIbLb1EES19_EEDaS14_S15_EUlS14_E_NS1_11comp_targetILNS1_3genE4ELNS1_11target_archE910ELNS1_3gpuE8ELNS1_3repE0EEENS1_30default_config_static_selectorELNS0_4arch9wavefront6targetE1EEEvT1_
		.amdhsa_group_segment_fixed_size 0
		.amdhsa_private_segment_fixed_size 0
		.amdhsa_kernarg_size 144
		.amdhsa_user_sgpr_count 2
		.amdhsa_user_sgpr_dispatch_ptr 0
		.amdhsa_user_sgpr_queue_ptr 0
		.amdhsa_user_sgpr_kernarg_segment_ptr 1
		.amdhsa_user_sgpr_dispatch_id 0
		.amdhsa_user_sgpr_kernarg_preload_length 0
		.amdhsa_user_sgpr_kernarg_preload_offset 0
		.amdhsa_user_sgpr_private_segment_size 0
		.amdhsa_uses_dynamic_stack 0
		.amdhsa_enable_private_segment 0
		.amdhsa_system_sgpr_workgroup_id_x 1
		.amdhsa_system_sgpr_workgroup_id_y 0
		.amdhsa_system_sgpr_workgroup_id_z 0
		.amdhsa_system_sgpr_workgroup_info 0
		.amdhsa_system_vgpr_workitem_id 0
		.amdhsa_next_free_vgpr 1
		.amdhsa_next_free_sgpr 0
		.amdhsa_accum_offset 4
		.amdhsa_reserve_vcc 0
		.amdhsa_float_round_mode_32 0
		.amdhsa_float_round_mode_16_64 0
		.amdhsa_float_denorm_mode_32 3
		.amdhsa_float_denorm_mode_16_64 3
		.amdhsa_dx10_clamp 1
		.amdhsa_ieee_mode 1
		.amdhsa_fp16_overflow 0
		.amdhsa_tg_split 0
		.amdhsa_exception_fp_ieee_invalid_op 0
		.amdhsa_exception_fp_denorm_src 0
		.amdhsa_exception_fp_ieee_div_zero 0
		.amdhsa_exception_fp_ieee_overflow 0
		.amdhsa_exception_fp_ieee_underflow 0
		.amdhsa_exception_fp_ieee_inexact 0
		.amdhsa_exception_int_div_zero 0
	.end_amdhsa_kernel
	.section	.text._ZN7rocprim17ROCPRIM_400000_NS6detail17trampoline_kernelINS0_14default_configENS1_25partition_config_selectorILNS1_17partition_subalgoE1EyNS0_10empty_typeEbEEZZNS1_14partition_implILS5_1ELb0ES3_jN6thrust23THRUST_200600_302600_NS6detail15normal_iteratorINSA_10device_ptrIyEEEEPS6_NSA_18transform_iteratorI7is_evenIyESF_NSA_11use_defaultESK_EENS0_5tupleIJSF_SF_EEENSM_IJSG_SG_EEES6_PlJS6_EEE10hipError_tPvRmT3_T4_T5_T6_T7_T9_mT8_P12ihipStream_tbDpT10_ENKUlT_T0_E_clISt17integral_constantIbLb1EES19_EEDaS14_S15_EUlS14_E_NS1_11comp_targetILNS1_3genE4ELNS1_11target_archE910ELNS1_3gpuE8ELNS1_3repE0EEENS1_30default_config_static_selectorELNS0_4arch9wavefront6targetE1EEEvT1_,"axG",@progbits,_ZN7rocprim17ROCPRIM_400000_NS6detail17trampoline_kernelINS0_14default_configENS1_25partition_config_selectorILNS1_17partition_subalgoE1EyNS0_10empty_typeEbEEZZNS1_14partition_implILS5_1ELb0ES3_jN6thrust23THRUST_200600_302600_NS6detail15normal_iteratorINSA_10device_ptrIyEEEEPS6_NSA_18transform_iteratorI7is_evenIyESF_NSA_11use_defaultESK_EENS0_5tupleIJSF_SF_EEENSM_IJSG_SG_EEES6_PlJS6_EEE10hipError_tPvRmT3_T4_T5_T6_T7_T9_mT8_P12ihipStream_tbDpT10_ENKUlT_T0_E_clISt17integral_constantIbLb1EES19_EEDaS14_S15_EUlS14_E_NS1_11comp_targetILNS1_3genE4ELNS1_11target_archE910ELNS1_3gpuE8ELNS1_3repE0EEENS1_30default_config_static_selectorELNS0_4arch9wavefront6targetE1EEEvT1_,comdat
.Lfunc_end2213:
	.size	_ZN7rocprim17ROCPRIM_400000_NS6detail17trampoline_kernelINS0_14default_configENS1_25partition_config_selectorILNS1_17partition_subalgoE1EyNS0_10empty_typeEbEEZZNS1_14partition_implILS5_1ELb0ES3_jN6thrust23THRUST_200600_302600_NS6detail15normal_iteratorINSA_10device_ptrIyEEEEPS6_NSA_18transform_iteratorI7is_evenIyESF_NSA_11use_defaultESK_EENS0_5tupleIJSF_SF_EEENSM_IJSG_SG_EEES6_PlJS6_EEE10hipError_tPvRmT3_T4_T5_T6_T7_T9_mT8_P12ihipStream_tbDpT10_ENKUlT_T0_E_clISt17integral_constantIbLb1EES19_EEDaS14_S15_EUlS14_E_NS1_11comp_targetILNS1_3genE4ELNS1_11target_archE910ELNS1_3gpuE8ELNS1_3repE0EEENS1_30default_config_static_selectorELNS0_4arch9wavefront6targetE1EEEvT1_, .Lfunc_end2213-_ZN7rocprim17ROCPRIM_400000_NS6detail17trampoline_kernelINS0_14default_configENS1_25partition_config_selectorILNS1_17partition_subalgoE1EyNS0_10empty_typeEbEEZZNS1_14partition_implILS5_1ELb0ES3_jN6thrust23THRUST_200600_302600_NS6detail15normal_iteratorINSA_10device_ptrIyEEEEPS6_NSA_18transform_iteratorI7is_evenIyESF_NSA_11use_defaultESK_EENS0_5tupleIJSF_SF_EEENSM_IJSG_SG_EEES6_PlJS6_EEE10hipError_tPvRmT3_T4_T5_T6_T7_T9_mT8_P12ihipStream_tbDpT10_ENKUlT_T0_E_clISt17integral_constantIbLb1EES19_EEDaS14_S15_EUlS14_E_NS1_11comp_targetILNS1_3genE4ELNS1_11target_archE910ELNS1_3gpuE8ELNS1_3repE0EEENS1_30default_config_static_selectorELNS0_4arch9wavefront6targetE1EEEvT1_
                                        ; -- End function
	.section	.AMDGPU.csdata,"",@progbits
; Kernel info:
; codeLenInByte = 0
; NumSgprs: 6
; NumVgprs: 0
; NumAgprs: 0
; TotalNumVgprs: 0
; ScratchSize: 0
; MemoryBound: 0
; FloatMode: 240
; IeeeMode: 1
; LDSByteSize: 0 bytes/workgroup (compile time only)
; SGPRBlocks: 0
; VGPRBlocks: 0
; NumSGPRsForWavesPerEU: 6
; NumVGPRsForWavesPerEU: 1
; AccumOffset: 4
; Occupancy: 8
; WaveLimiterHint : 0
; COMPUTE_PGM_RSRC2:SCRATCH_EN: 0
; COMPUTE_PGM_RSRC2:USER_SGPR: 2
; COMPUTE_PGM_RSRC2:TRAP_HANDLER: 0
; COMPUTE_PGM_RSRC2:TGID_X_EN: 1
; COMPUTE_PGM_RSRC2:TGID_Y_EN: 0
; COMPUTE_PGM_RSRC2:TGID_Z_EN: 0
; COMPUTE_PGM_RSRC2:TIDIG_COMP_CNT: 0
; COMPUTE_PGM_RSRC3_GFX90A:ACCUM_OFFSET: 0
; COMPUTE_PGM_RSRC3_GFX90A:TG_SPLIT: 0
	.section	.text._ZN7rocprim17ROCPRIM_400000_NS6detail17trampoline_kernelINS0_14default_configENS1_25partition_config_selectorILNS1_17partition_subalgoE1EyNS0_10empty_typeEbEEZZNS1_14partition_implILS5_1ELb0ES3_jN6thrust23THRUST_200600_302600_NS6detail15normal_iteratorINSA_10device_ptrIyEEEEPS6_NSA_18transform_iteratorI7is_evenIyESF_NSA_11use_defaultESK_EENS0_5tupleIJSF_SF_EEENSM_IJSG_SG_EEES6_PlJS6_EEE10hipError_tPvRmT3_T4_T5_T6_T7_T9_mT8_P12ihipStream_tbDpT10_ENKUlT_T0_E_clISt17integral_constantIbLb1EES19_EEDaS14_S15_EUlS14_E_NS1_11comp_targetILNS1_3genE3ELNS1_11target_archE908ELNS1_3gpuE7ELNS1_3repE0EEENS1_30default_config_static_selectorELNS0_4arch9wavefront6targetE1EEEvT1_,"axG",@progbits,_ZN7rocprim17ROCPRIM_400000_NS6detail17trampoline_kernelINS0_14default_configENS1_25partition_config_selectorILNS1_17partition_subalgoE1EyNS0_10empty_typeEbEEZZNS1_14partition_implILS5_1ELb0ES3_jN6thrust23THRUST_200600_302600_NS6detail15normal_iteratorINSA_10device_ptrIyEEEEPS6_NSA_18transform_iteratorI7is_evenIyESF_NSA_11use_defaultESK_EENS0_5tupleIJSF_SF_EEENSM_IJSG_SG_EEES6_PlJS6_EEE10hipError_tPvRmT3_T4_T5_T6_T7_T9_mT8_P12ihipStream_tbDpT10_ENKUlT_T0_E_clISt17integral_constantIbLb1EES19_EEDaS14_S15_EUlS14_E_NS1_11comp_targetILNS1_3genE3ELNS1_11target_archE908ELNS1_3gpuE7ELNS1_3repE0EEENS1_30default_config_static_selectorELNS0_4arch9wavefront6targetE1EEEvT1_,comdat
	.protected	_ZN7rocprim17ROCPRIM_400000_NS6detail17trampoline_kernelINS0_14default_configENS1_25partition_config_selectorILNS1_17partition_subalgoE1EyNS0_10empty_typeEbEEZZNS1_14partition_implILS5_1ELb0ES3_jN6thrust23THRUST_200600_302600_NS6detail15normal_iteratorINSA_10device_ptrIyEEEEPS6_NSA_18transform_iteratorI7is_evenIyESF_NSA_11use_defaultESK_EENS0_5tupleIJSF_SF_EEENSM_IJSG_SG_EEES6_PlJS6_EEE10hipError_tPvRmT3_T4_T5_T6_T7_T9_mT8_P12ihipStream_tbDpT10_ENKUlT_T0_E_clISt17integral_constantIbLb1EES19_EEDaS14_S15_EUlS14_E_NS1_11comp_targetILNS1_3genE3ELNS1_11target_archE908ELNS1_3gpuE7ELNS1_3repE0EEENS1_30default_config_static_selectorELNS0_4arch9wavefront6targetE1EEEvT1_ ; -- Begin function _ZN7rocprim17ROCPRIM_400000_NS6detail17trampoline_kernelINS0_14default_configENS1_25partition_config_selectorILNS1_17partition_subalgoE1EyNS0_10empty_typeEbEEZZNS1_14partition_implILS5_1ELb0ES3_jN6thrust23THRUST_200600_302600_NS6detail15normal_iteratorINSA_10device_ptrIyEEEEPS6_NSA_18transform_iteratorI7is_evenIyESF_NSA_11use_defaultESK_EENS0_5tupleIJSF_SF_EEENSM_IJSG_SG_EEES6_PlJS6_EEE10hipError_tPvRmT3_T4_T5_T6_T7_T9_mT8_P12ihipStream_tbDpT10_ENKUlT_T0_E_clISt17integral_constantIbLb1EES19_EEDaS14_S15_EUlS14_E_NS1_11comp_targetILNS1_3genE3ELNS1_11target_archE908ELNS1_3gpuE7ELNS1_3repE0EEENS1_30default_config_static_selectorELNS0_4arch9wavefront6targetE1EEEvT1_
	.globl	_ZN7rocprim17ROCPRIM_400000_NS6detail17trampoline_kernelINS0_14default_configENS1_25partition_config_selectorILNS1_17partition_subalgoE1EyNS0_10empty_typeEbEEZZNS1_14partition_implILS5_1ELb0ES3_jN6thrust23THRUST_200600_302600_NS6detail15normal_iteratorINSA_10device_ptrIyEEEEPS6_NSA_18transform_iteratorI7is_evenIyESF_NSA_11use_defaultESK_EENS0_5tupleIJSF_SF_EEENSM_IJSG_SG_EEES6_PlJS6_EEE10hipError_tPvRmT3_T4_T5_T6_T7_T9_mT8_P12ihipStream_tbDpT10_ENKUlT_T0_E_clISt17integral_constantIbLb1EES19_EEDaS14_S15_EUlS14_E_NS1_11comp_targetILNS1_3genE3ELNS1_11target_archE908ELNS1_3gpuE7ELNS1_3repE0EEENS1_30default_config_static_selectorELNS0_4arch9wavefront6targetE1EEEvT1_
	.p2align	8
	.type	_ZN7rocprim17ROCPRIM_400000_NS6detail17trampoline_kernelINS0_14default_configENS1_25partition_config_selectorILNS1_17partition_subalgoE1EyNS0_10empty_typeEbEEZZNS1_14partition_implILS5_1ELb0ES3_jN6thrust23THRUST_200600_302600_NS6detail15normal_iteratorINSA_10device_ptrIyEEEEPS6_NSA_18transform_iteratorI7is_evenIyESF_NSA_11use_defaultESK_EENS0_5tupleIJSF_SF_EEENSM_IJSG_SG_EEES6_PlJS6_EEE10hipError_tPvRmT3_T4_T5_T6_T7_T9_mT8_P12ihipStream_tbDpT10_ENKUlT_T0_E_clISt17integral_constantIbLb1EES19_EEDaS14_S15_EUlS14_E_NS1_11comp_targetILNS1_3genE3ELNS1_11target_archE908ELNS1_3gpuE7ELNS1_3repE0EEENS1_30default_config_static_selectorELNS0_4arch9wavefront6targetE1EEEvT1_,@function
_ZN7rocprim17ROCPRIM_400000_NS6detail17trampoline_kernelINS0_14default_configENS1_25partition_config_selectorILNS1_17partition_subalgoE1EyNS0_10empty_typeEbEEZZNS1_14partition_implILS5_1ELb0ES3_jN6thrust23THRUST_200600_302600_NS6detail15normal_iteratorINSA_10device_ptrIyEEEEPS6_NSA_18transform_iteratorI7is_evenIyESF_NSA_11use_defaultESK_EENS0_5tupleIJSF_SF_EEENSM_IJSG_SG_EEES6_PlJS6_EEE10hipError_tPvRmT3_T4_T5_T6_T7_T9_mT8_P12ihipStream_tbDpT10_ENKUlT_T0_E_clISt17integral_constantIbLb1EES19_EEDaS14_S15_EUlS14_E_NS1_11comp_targetILNS1_3genE3ELNS1_11target_archE908ELNS1_3gpuE7ELNS1_3repE0EEENS1_30default_config_static_selectorELNS0_4arch9wavefront6targetE1EEEvT1_: ; @_ZN7rocprim17ROCPRIM_400000_NS6detail17trampoline_kernelINS0_14default_configENS1_25partition_config_selectorILNS1_17partition_subalgoE1EyNS0_10empty_typeEbEEZZNS1_14partition_implILS5_1ELb0ES3_jN6thrust23THRUST_200600_302600_NS6detail15normal_iteratorINSA_10device_ptrIyEEEEPS6_NSA_18transform_iteratorI7is_evenIyESF_NSA_11use_defaultESK_EENS0_5tupleIJSF_SF_EEENSM_IJSG_SG_EEES6_PlJS6_EEE10hipError_tPvRmT3_T4_T5_T6_T7_T9_mT8_P12ihipStream_tbDpT10_ENKUlT_T0_E_clISt17integral_constantIbLb1EES19_EEDaS14_S15_EUlS14_E_NS1_11comp_targetILNS1_3genE3ELNS1_11target_archE908ELNS1_3gpuE7ELNS1_3repE0EEENS1_30default_config_static_selectorELNS0_4arch9wavefront6targetE1EEEvT1_
; %bb.0:
	.section	.rodata,"a",@progbits
	.p2align	6, 0x0
	.amdhsa_kernel _ZN7rocprim17ROCPRIM_400000_NS6detail17trampoline_kernelINS0_14default_configENS1_25partition_config_selectorILNS1_17partition_subalgoE1EyNS0_10empty_typeEbEEZZNS1_14partition_implILS5_1ELb0ES3_jN6thrust23THRUST_200600_302600_NS6detail15normal_iteratorINSA_10device_ptrIyEEEEPS6_NSA_18transform_iteratorI7is_evenIyESF_NSA_11use_defaultESK_EENS0_5tupleIJSF_SF_EEENSM_IJSG_SG_EEES6_PlJS6_EEE10hipError_tPvRmT3_T4_T5_T6_T7_T9_mT8_P12ihipStream_tbDpT10_ENKUlT_T0_E_clISt17integral_constantIbLb1EES19_EEDaS14_S15_EUlS14_E_NS1_11comp_targetILNS1_3genE3ELNS1_11target_archE908ELNS1_3gpuE7ELNS1_3repE0EEENS1_30default_config_static_selectorELNS0_4arch9wavefront6targetE1EEEvT1_
		.amdhsa_group_segment_fixed_size 0
		.amdhsa_private_segment_fixed_size 0
		.amdhsa_kernarg_size 144
		.amdhsa_user_sgpr_count 2
		.amdhsa_user_sgpr_dispatch_ptr 0
		.amdhsa_user_sgpr_queue_ptr 0
		.amdhsa_user_sgpr_kernarg_segment_ptr 1
		.amdhsa_user_sgpr_dispatch_id 0
		.amdhsa_user_sgpr_kernarg_preload_length 0
		.amdhsa_user_sgpr_kernarg_preload_offset 0
		.amdhsa_user_sgpr_private_segment_size 0
		.amdhsa_uses_dynamic_stack 0
		.amdhsa_enable_private_segment 0
		.amdhsa_system_sgpr_workgroup_id_x 1
		.amdhsa_system_sgpr_workgroup_id_y 0
		.amdhsa_system_sgpr_workgroup_id_z 0
		.amdhsa_system_sgpr_workgroup_info 0
		.amdhsa_system_vgpr_workitem_id 0
		.amdhsa_next_free_vgpr 1
		.amdhsa_next_free_sgpr 0
		.amdhsa_accum_offset 4
		.amdhsa_reserve_vcc 0
		.amdhsa_float_round_mode_32 0
		.amdhsa_float_round_mode_16_64 0
		.amdhsa_float_denorm_mode_32 3
		.amdhsa_float_denorm_mode_16_64 3
		.amdhsa_dx10_clamp 1
		.amdhsa_ieee_mode 1
		.amdhsa_fp16_overflow 0
		.amdhsa_tg_split 0
		.amdhsa_exception_fp_ieee_invalid_op 0
		.amdhsa_exception_fp_denorm_src 0
		.amdhsa_exception_fp_ieee_div_zero 0
		.amdhsa_exception_fp_ieee_overflow 0
		.amdhsa_exception_fp_ieee_underflow 0
		.amdhsa_exception_fp_ieee_inexact 0
		.amdhsa_exception_int_div_zero 0
	.end_amdhsa_kernel
	.section	.text._ZN7rocprim17ROCPRIM_400000_NS6detail17trampoline_kernelINS0_14default_configENS1_25partition_config_selectorILNS1_17partition_subalgoE1EyNS0_10empty_typeEbEEZZNS1_14partition_implILS5_1ELb0ES3_jN6thrust23THRUST_200600_302600_NS6detail15normal_iteratorINSA_10device_ptrIyEEEEPS6_NSA_18transform_iteratorI7is_evenIyESF_NSA_11use_defaultESK_EENS0_5tupleIJSF_SF_EEENSM_IJSG_SG_EEES6_PlJS6_EEE10hipError_tPvRmT3_T4_T5_T6_T7_T9_mT8_P12ihipStream_tbDpT10_ENKUlT_T0_E_clISt17integral_constantIbLb1EES19_EEDaS14_S15_EUlS14_E_NS1_11comp_targetILNS1_3genE3ELNS1_11target_archE908ELNS1_3gpuE7ELNS1_3repE0EEENS1_30default_config_static_selectorELNS0_4arch9wavefront6targetE1EEEvT1_,"axG",@progbits,_ZN7rocprim17ROCPRIM_400000_NS6detail17trampoline_kernelINS0_14default_configENS1_25partition_config_selectorILNS1_17partition_subalgoE1EyNS0_10empty_typeEbEEZZNS1_14partition_implILS5_1ELb0ES3_jN6thrust23THRUST_200600_302600_NS6detail15normal_iteratorINSA_10device_ptrIyEEEEPS6_NSA_18transform_iteratorI7is_evenIyESF_NSA_11use_defaultESK_EENS0_5tupleIJSF_SF_EEENSM_IJSG_SG_EEES6_PlJS6_EEE10hipError_tPvRmT3_T4_T5_T6_T7_T9_mT8_P12ihipStream_tbDpT10_ENKUlT_T0_E_clISt17integral_constantIbLb1EES19_EEDaS14_S15_EUlS14_E_NS1_11comp_targetILNS1_3genE3ELNS1_11target_archE908ELNS1_3gpuE7ELNS1_3repE0EEENS1_30default_config_static_selectorELNS0_4arch9wavefront6targetE1EEEvT1_,comdat
.Lfunc_end2214:
	.size	_ZN7rocprim17ROCPRIM_400000_NS6detail17trampoline_kernelINS0_14default_configENS1_25partition_config_selectorILNS1_17partition_subalgoE1EyNS0_10empty_typeEbEEZZNS1_14partition_implILS5_1ELb0ES3_jN6thrust23THRUST_200600_302600_NS6detail15normal_iteratorINSA_10device_ptrIyEEEEPS6_NSA_18transform_iteratorI7is_evenIyESF_NSA_11use_defaultESK_EENS0_5tupleIJSF_SF_EEENSM_IJSG_SG_EEES6_PlJS6_EEE10hipError_tPvRmT3_T4_T5_T6_T7_T9_mT8_P12ihipStream_tbDpT10_ENKUlT_T0_E_clISt17integral_constantIbLb1EES19_EEDaS14_S15_EUlS14_E_NS1_11comp_targetILNS1_3genE3ELNS1_11target_archE908ELNS1_3gpuE7ELNS1_3repE0EEENS1_30default_config_static_selectorELNS0_4arch9wavefront6targetE1EEEvT1_, .Lfunc_end2214-_ZN7rocprim17ROCPRIM_400000_NS6detail17trampoline_kernelINS0_14default_configENS1_25partition_config_selectorILNS1_17partition_subalgoE1EyNS0_10empty_typeEbEEZZNS1_14partition_implILS5_1ELb0ES3_jN6thrust23THRUST_200600_302600_NS6detail15normal_iteratorINSA_10device_ptrIyEEEEPS6_NSA_18transform_iteratorI7is_evenIyESF_NSA_11use_defaultESK_EENS0_5tupleIJSF_SF_EEENSM_IJSG_SG_EEES6_PlJS6_EEE10hipError_tPvRmT3_T4_T5_T6_T7_T9_mT8_P12ihipStream_tbDpT10_ENKUlT_T0_E_clISt17integral_constantIbLb1EES19_EEDaS14_S15_EUlS14_E_NS1_11comp_targetILNS1_3genE3ELNS1_11target_archE908ELNS1_3gpuE7ELNS1_3repE0EEENS1_30default_config_static_selectorELNS0_4arch9wavefront6targetE1EEEvT1_
                                        ; -- End function
	.section	.AMDGPU.csdata,"",@progbits
; Kernel info:
; codeLenInByte = 0
; NumSgprs: 6
; NumVgprs: 0
; NumAgprs: 0
; TotalNumVgprs: 0
; ScratchSize: 0
; MemoryBound: 0
; FloatMode: 240
; IeeeMode: 1
; LDSByteSize: 0 bytes/workgroup (compile time only)
; SGPRBlocks: 0
; VGPRBlocks: 0
; NumSGPRsForWavesPerEU: 6
; NumVGPRsForWavesPerEU: 1
; AccumOffset: 4
; Occupancy: 8
; WaveLimiterHint : 0
; COMPUTE_PGM_RSRC2:SCRATCH_EN: 0
; COMPUTE_PGM_RSRC2:USER_SGPR: 2
; COMPUTE_PGM_RSRC2:TRAP_HANDLER: 0
; COMPUTE_PGM_RSRC2:TGID_X_EN: 1
; COMPUTE_PGM_RSRC2:TGID_Y_EN: 0
; COMPUTE_PGM_RSRC2:TGID_Z_EN: 0
; COMPUTE_PGM_RSRC2:TIDIG_COMP_CNT: 0
; COMPUTE_PGM_RSRC3_GFX90A:ACCUM_OFFSET: 0
; COMPUTE_PGM_RSRC3_GFX90A:TG_SPLIT: 0
	.section	.text._ZN7rocprim17ROCPRIM_400000_NS6detail17trampoline_kernelINS0_14default_configENS1_25partition_config_selectorILNS1_17partition_subalgoE1EyNS0_10empty_typeEbEEZZNS1_14partition_implILS5_1ELb0ES3_jN6thrust23THRUST_200600_302600_NS6detail15normal_iteratorINSA_10device_ptrIyEEEEPS6_NSA_18transform_iteratorI7is_evenIyESF_NSA_11use_defaultESK_EENS0_5tupleIJSF_SF_EEENSM_IJSG_SG_EEES6_PlJS6_EEE10hipError_tPvRmT3_T4_T5_T6_T7_T9_mT8_P12ihipStream_tbDpT10_ENKUlT_T0_E_clISt17integral_constantIbLb1EES19_EEDaS14_S15_EUlS14_E_NS1_11comp_targetILNS1_3genE2ELNS1_11target_archE906ELNS1_3gpuE6ELNS1_3repE0EEENS1_30default_config_static_selectorELNS0_4arch9wavefront6targetE1EEEvT1_,"axG",@progbits,_ZN7rocprim17ROCPRIM_400000_NS6detail17trampoline_kernelINS0_14default_configENS1_25partition_config_selectorILNS1_17partition_subalgoE1EyNS0_10empty_typeEbEEZZNS1_14partition_implILS5_1ELb0ES3_jN6thrust23THRUST_200600_302600_NS6detail15normal_iteratorINSA_10device_ptrIyEEEEPS6_NSA_18transform_iteratorI7is_evenIyESF_NSA_11use_defaultESK_EENS0_5tupleIJSF_SF_EEENSM_IJSG_SG_EEES6_PlJS6_EEE10hipError_tPvRmT3_T4_T5_T6_T7_T9_mT8_P12ihipStream_tbDpT10_ENKUlT_T0_E_clISt17integral_constantIbLb1EES19_EEDaS14_S15_EUlS14_E_NS1_11comp_targetILNS1_3genE2ELNS1_11target_archE906ELNS1_3gpuE6ELNS1_3repE0EEENS1_30default_config_static_selectorELNS0_4arch9wavefront6targetE1EEEvT1_,comdat
	.protected	_ZN7rocprim17ROCPRIM_400000_NS6detail17trampoline_kernelINS0_14default_configENS1_25partition_config_selectorILNS1_17partition_subalgoE1EyNS0_10empty_typeEbEEZZNS1_14partition_implILS5_1ELb0ES3_jN6thrust23THRUST_200600_302600_NS6detail15normal_iteratorINSA_10device_ptrIyEEEEPS6_NSA_18transform_iteratorI7is_evenIyESF_NSA_11use_defaultESK_EENS0_5tupleIJSF_SF_EEENSM_IJSG_SG_EEES6_PlJS6_EEE10hipError_tPvRmT3_T4_T5_T6_T7_T9_mT8_P12ihipStream_tbDpT10_ENKUlT_T0_E_clISt17integral_constantIbLb1EES19_EEDaS14_S15_EUlS14_E_NS1_11comp_targetILNS1_3genE2ELNS1_11target_archE906ELNS1_3gpuE6ELNS1_3repE0EEENS1_30default_config_static_selectorELNS0_4arch9wavefront6targetE1EEEvT1_ ; -- Begin function _ZN7rocprim17ROCPRIM_400000_NS6detail17trampoline_kernelINS0_14default_configENS1_25partition_config_selectorILNS1_17partition_subalgoE1EyNS0_10empty_typeEbEEZZNS1_14partition_implILS5_1ELb0ES3_jN6thrust23THRUST_200600_302600_NS6detail15normal_iteratorINSA_10device_ptrIyEEEEPS6_NSA_18transform_iteratorI7is_evenIyESF_NSA_11use_defaultESK_EENS0_5tupleIJSF_SF_EEENSM_IJSG_SG_EEES6_PlJS6_EEE10hipError_tPvRmT3_T4_T5_T6_T7_T9_mT8_P12ihipStream_tbDpT10_ENKUlT_T0_E_clISt17integral_constantIbLb1EES19_EEDaS14_S15_EUlS14_E_NS1_11comp_targetILNS1_3genE2ELNS1_11target_archE906ELNS1_3gpuE6ELNS1_3repE0EEENS1_30default_config_static_selectorELNS0_4arch9wavefront6targetE1EEEvT1_
	.globl	_ZN7rocprim17ROCPRIM_400000_NS6detail17trampoline_kernelINS0_14default_configENS1_25partition_config_selectorILNS1_17partition_subalgoE1EyNS0_10empty_typeEbEEZZNS1_14partition_implILS5_1ELb0ES3_jN6thrust23THRUST_200600_302600_NS6detail15normal_iteratorINSA_10device_ptrIyEEEEPS6_NSA_18transform_iteratorI7is_evenIyESF_NSA_11use_defaultESK_EENS0_5tupleIJSF_SF_EEENSM_IJSG_SG_EEES6_PlJS6_EEE10hipError_tPvRmT3_T4_T5_T6_T7_T9_mT8_P12ihipStream_tbDpT10_ENKUlT_T0_E_clISt17integral_constantIbLb1EES19_EEDaS14_S15_EUlS14_E_NS1_11comp_targetILNS1_3genE2ELNS1_11target_archE906ELNS1_3gpuE6ELNS1_3repE0EEENS1_30default_config_static_selectorELNS0_4arch9wavefront6targetE1EEEvT1_
	.p2align	8
	.type	_ZN7rocprim17ROCPRIM_400000_NS6detail17trampoline_kernelINS0_14default_configENS1_25partition_config_selectorILNS1_17partition_subalgoE1EyNS0_10empty_typeEbEEZZNS1_14partition_implILS5_1ELb0ES3_jN6thrust23THRUST_200600_302600_NS6detail15normal_iteratorINSA_10device_ptrIyEEEEPS6_NSA_18transform_iteratorI7is_evenIyESF_NSA_11use_defaultESK_EENS0_5tupleIJSF_SF_EEENSM_IJSG_SG_EEES6_PlJS6_EEE10hipError_tPvRmT3_T4_T5_T6_T7_T9_mT8_P12ihipStream_tbDpT10_ENKUlT_T0_E_clISt17integral_constantIbLb1EES19_EEDaS14_S15_EUlS14_E_NS1_11comp_targetILNS1_3genE2ELNS1_11target_archE906ELNS1_3gpuE6ELNS1_3repE0EEENS1_30default_config_static_selectorELNS0_4arch9wavefront6targetE1EEEvT1_,@function
_ZN7rocprim17ROCPRIM_400000_NS6detail17trampoline_kernelINS0_14default_configENS1_25partition_config_selectorILNS1_17partition_subalgoE1EyNS0_10empty_typeEbEEZZNS1_14partition_implILS5_1ELb0ES3_jN6thrust23THRUST_200600_302600_NS6detail15normal_iteratorINSA_10device_ptrIyEEEEPS6_NSA_18transform_iteratorI7is_evenIyESF_NSA_11use_defaultESK_EENS0_5tupleIJSF_SF_EEENSM_IJSG_SG_EEES6_PlJS6_EEE10hipError_tPvRmT3_T4_T5_T6_T7_T9_mT8_P12ihipStream_tbDpT10_ENKUlT_T0_E_clISt17integral_constantIbLb1EES19_EEDaS14_S15_EUlS14_E_NS1_11comp_targetILNS1_3genE2ELNS1_11target_archE906ELNS1_3gpuE6ELNS1_3repE0EEENS1_30default_config_static_selectorELNS0_4arch9wavefront6targetE1EEEvT1_: ; @_ZN7rocprim17ROCPRIM_400000_NS6detail17trampoline_kernelINS0_14default_configENS1_25partition_config_selectorILNS1_17partition_subalgoE1EyNS0_10empty_typeEbEEZZNS1_14partition_implILS5_1ELb0ES3_jN6thrust23THRUST_200600_302600_NS6detail15normal_iteratorINSA_10device_ptrIyEEEEPS6_NSA_18transform_iteratorI7is_evenIyESF_NSA_11use_defaultESK_EENS0_5tupleIJSF_SF_EEENSM_IJSG_SG_EEES6_PlJS6_EEE10hipError_tPvRmT3_T4_T5_T6_T7_T9_mT8_P12ihipStream_tbDpT10_ENKUlT_T0_E_clISt17integral_constantIbLb1EES19_EEDaS14_S15_EUlS14_E_NS1_11comp_targetILNS1_3genE2ELNS1_11target_archE906ELNS1_3gpuE6ELNS1_3repE0EEENS1_30default_config_static_selectorELNS0_4arch9wavefront6targetE1EEEvT1_
; %bb.0:
	.section	.rodata,"a",@progbits
	.p2align	6, 0x0
	.amdhsa_kernel _ZN7rocprim17ROCPRIM_400000_NS6detail17trampoline_kernelINS0_14default_configENS1_25partition_config_selectorILNS1_17partition_subalgoE1EyNS0_10empty_typeEbEEZZNS1_14partition_implILS5_1ELb0ES3_jN6thrust23THRUST_200600_302600_NS6detail15normal_iteratorINSA_10device_ptrIyEEEEPS6_NSA_18transform_iteratorI7is_evenIyESF_NSA_11use_defaultESK_EENS0_5tupleIJSF_SF_EEENSM_IJSG_SG_EEES6_PlJS6_EEE10hipError_tPvRmT3_T4_T5_T6_T7_T9_mT8_P12ihipStream_tbDpT10_ENKUlT_T0_E_clISt17integral_constantIbLb1EES19_EEDaS14_S15_EUlS14_E_NS1_11comp_targetILNS1_3genE2ELNS1_11target_archE906ELNS1_3gpuE6ELNS1_3repE0EEENS1_30default_config_static_selectorELNS0_4arch9wavefront6targetE1EEEvT1_
		.amdhsa_group_segment_fixed_size 0
		.amdhsa_private_segment_fixed_size 0
		.amdhsa_kernarg_size 144
		.amdhsa_user_sgpr_count 2
		.amdhsa_user_sgpr_dispatch_ptr 0
		.amdhsa_user_sgpr_queue_ptr 0
		.amdhsa_user_sgpr_kernarg_segment_ptr 1
		.amdhsa_user_sgpr_dispatch_id 0
		.amdhsa_user_sgpr_kernarg_preload_length 0
		.amdhsa_user_sgpr_kernarg_preload_offset 0
		.amdhsa_user_sgpr_private_segment_size 0
		.amdhsa_uses_dynamic_stack 0
		.amdhsa_enable_private_segment 0
		.amdhsa_system_sgpr_workgroup_id_x 1
		.amdhsa_system_sgpr_workgroup_id_y 0
		.amdhsa_system_sgpr_workgroup_id_z 0
		.amdhsa_system_sgpr_workgroup_info 0
		.amdhsa_system_vgpr_workitem_id 0
		.amdhsa_next_free_vgpr 1
		.amdhsa_next_free_sgpr 0
		.amdhsa_accum_offset 4
		.amdhsa_reserve_vcc 0
		.amdhsa_float_round_mode_32 0
		.amdhsa_float_round_mode_16_64 0
		.amdhsa_float_denorm_mode_32 3
		.amdhsa_float_denorm_mode_16_64 3
		.amdhsa_dx10_clamp 1
		.amdhsa_ieee_mode 1
		.amdhsa_fp16_overflow 0
		.amdhsa_tg_split 0
		.amdhsa_exception_fp_ieee_invalid_op 0
		.amdhsa_exception_fp_denorm_src 0
		.amdhsa_exception_fp_ieee_div_zero 0
		.amdhsa_exception_fp_ieee_overflow 0
		.amdhsa_exception_fp_ieee_underflow 0
		.amdhsa_exception_fp_ieee_inexact 0
		.amdhsa_exception_int_div_zero 0
	.end_amdhsa_kernel
	.section	.text._ZN7rocprim17ROCPRIM_400000_NS6detail17trampoline_kernelINS0_14default_configENS1_25partition_config_selectorILNS1_17partition_subalgoE1EyNS0_10empty_typeEbEEZZNS1_14partition_implILS5_1ELb0ES3_jN6thrust23THRUST_200600_302600_NS6detail15normal_iteratorINSA_10device_ptrIyEEEEPS6_NSA_18transform_iteratorI7is_evenIyESF_NSA_11use_defaultESK_EENS0_5tupleIJSF_SF_EEENSM_IJSG_SG_EEES6_PlJS6_EEE10hipError_tPvRmT3_T4_T5_T6_T7_T9_mT8_P12ihipStream_tbDpT10_ENKUlT_T0_E_clISt17integral_constantIbLb1EES19_EEDaS14_S15_EUlS14_E_NS1_11comp_targetILNS1_3genE2ELNS1_11target_archE906ELNS1_3gpuE6ELNS1_3repE0EEENS1_30default_config_static_selectorELNS0_4arch9wavefront6targetE1EEEvT1_,"axG",@progbits,_ZN7rocprim17ROCPRIM_400000_NS6detail17trampoline_kernelINS0_14default_configENS1_25partition_config_selectorILNS1_17partition_subalgoE1EyNS0_10empty_typeEbEEZZNS1_14partition_implILS5_1ELb0ES3_jN6thrust23THRUST_200600_302600_NS6detail15normal_iteratorINSA_10device_ptrIyEEEEPS6_NSA_18transform_iteratorI7is_evenIyESF_NSA_11use_defaultESK_EENS0_5tupleIJSF_SF_EEENSM_IJSG_SG_EEES6_PlJS6_EEE10hipError_tPvRmT3_T4_T5_T6_T7_T9_mT8_P12ihipStream_tbDpT10_ENKUlT_T0_E_clISt17integral_constantIbLb1EES19_EEDaS14_S15_EUlS14_E_NS1_11comp_targetILNS1_3genE2ELNS1_11target_archE906ELNS1_3gpuE6ELNS1_3repE0EEENS1_30default_config_static_selectorELNS0_4arch9wavefront6targetE1EEEvT1_,comdat
.Lfunc_end2215:
	.size	_ZN7rocprim17ROCPRIM_400000_NS6detail17trampoline_kernelINS0_14default_configENS1_25partition_config_selectorILNS1_17partition_subalgoE1EyNS0_10empty_typeEbEEZZNS1_14partition_implILS5_1ELb0ES3_jN6thrust23THRUST_200600_302600_NS6detail15normal_iteratorINSA_10device_ptrIyEEEEPS6_NSA_18transform_iteratorI7is_evenIyESF_NSA_11use_defaultESK_EENS0_5tupleIJSF_SF_EEENSM_IJSG_SG_EEES6_PlJS6_EEE10hipError_tPvRmT3_T4_T5_T6_T7_T9_mT8_P12ihipStream_tbDpT10_ENKUlT_T0_E_clISt17integral_constantIbLb1EES19_EEDaS14_S15_EUlS14_E_NS1_11comp_targetILNS1_3genE2ELNS1_11target_archE906ELNS1_3gpuE6ELNS1_3repE0EEENS1_30default_config_static_selectorELNS0_4arch9wavefront6targetE1EEEvT1_, .Lfunc_end2215-_ZN7rocprim17ROCPRIM_400000_NS6detail17trampoline_kernelINS0_14default_configENS1_25partition_config_selectorILNS1_17partition_subalgoE1EyNS0_10empty_typeEbEEZZNS1_14partition_implILS5_1ELb0ES3_jN6thrust23THRUST_200600_302600_NS6detail15normal_iteratorINSA_10device_ptrIyEEEEPS6_NSA_18transform_iteratorI7is_evenIyESF_NSA_11use_defaultESK_EENS0_5tupleIJSF_SF_EEENSM_IJSG_SG_EEES6_PlJS6_EEE10hipError_tPvRmT3_T4_T5_T6_T7_T9_mT8_P12ihipStream_tbDpT10_ENKUlT_T0_E_clISt17integral_constantIbLb1EES19_EEDaS14_S15_EUlS14_E_NS1_11comp_targetILNS1_3genE2ELNS1_11target_archE906ELNS1_3gpuE6ELNS1_3repE0EEENS1_30default_config_static_selectorELNS0_4arch9wavefront6targetE1EEEvT1_
                                        ; -- End function
	.section	.AMDGPU.csdata,"",@progbits
; Kernel info:
; codeLenInByte = 0
; NumSgprs: 6
; NumVgprs: 0
; NumAgprs: 0
; TotalNumVgprs: 0
; ScratchSize: 0
; MemoryBound: 0
; FloatMode: 240
; IeeeMode: 1
; LDSByteSize: 0 bytes/workgroup (compile time only)
; SGPRBlocks: 0
; VGPRBlocks: 0
; NumSGPRsForWavesPerEU: 6
; NumVGPRsForWavesPerEU: 1
; AccumOffset: 4
; Occupancy: 8
; WaveLimiterHint : 0
; COMPUTE_PGM_RSRC2:SCRATCH_EN: 0
; COMPUTE_PGM_RSRC2:USER_SGPR: 2
; COMPUTE_PGM_RSRC2:TRAP_HANDLER: 0
; COMPUTE_PGM_RSRC2:TGID_X_EN: 1
; COMPUTE_PGM_RSRC2:TGID_Y_EN: 0
; COMPUTE_PGM_RSRC2:TGID_Z_EN: 0
; COMPUTE_PGM_RSRC2:TIDIG_COMP_CNT: 0
; COMPUTE_PGM_RSRC3_GFX90A:ACCUM_OFFSET: 0
; COMPUTE_PGM_RSRC3_GFX90A:TG_SPLIT: 0
	.section	.text._ZN7rocprim17ROCPRIM_400000_NS6detail17trampoline_kernelINS0_14default_configENS1_25partition_config_selectorILNS1_17partition_subalgoE1EyNS0_10empty_typeEbEEZZNS1_14partition_implILS5_1ELb0ES3_jN6thrust23THRUST_200600_302600_NS6detail15normal_iteratorINSA_10device_ptrIyEEEEPS6_NSA_18transform_iteratorI7is_evenIyESF_NSA_11use_defaultESK_EENS0_5tupleIJSF_SF_EEENSM_IJSG_SG_EEES6_PlJS6_EEE10hipError_tPvRmT3_T4_T5_T6_T7_T9_mT8_P12ihipStream_tbDpT10_ENKUlT_T0_E_clISt17integral_constantIbLb1EES19_EEDaS14_S15_EUlS14_E_NS1_11comp_targetILNS1_3genE10ELNS1_11target_archE1200ELNS1_3gpuE4ELNS1_3repE0EEENS1_30default_config_static_selectorELNS0_4arch9wavefront6targetE1EEEvT1_,"axG",@progbits,_ZN7rocprim17ROCPRIM_400000_NS6detail17trampoline_kernelINS0_14default_configENS1_25partition_config_selectorILNS1_17partition_subalgoE1EyNS0_10empty_typeEbEEZZNS1_14partition_implILS5_1ELb0ES3_jN6thrust23THRUST_200600_302600_NS6detail15normal_iteratorINSA_10device_ptrIyEEEEPS6_NSA_18transform_iteratorI7is_evenIyESF_NSA_11use_defaultESK_EENS0_5tupleIJSF_SF_EEENSM_IJSG_SG_EEES6_PlJS6_EEE10hipError_tPvRmT3_T4_T5_T6_T7_T9_mT8_P12ihipStream_tbDpT10_ENKUlT_T0_E_clISt17integral_constantIbLb1EES19_EEDaS14_S15_EUlS14_E_NS1_11comp_targetILNS1_3genE10ELNS1_11target_archE1200ELNS1_3gpuE4ELNS1_3repE0EEENS1_30default_config_static_selectorELNS0_4arch9wavefront6targetE1EEEvT1_,comdat
	.protected	_ZN7rocprim17ROCPRIM_400000_NS6detail17trampoline_kernelINS0_14default_configENS1_25partition_config_selectorILNS1_17partition_subalgoE1EyNS0_10empty_typeEbEEZZNS1_14partition_implILS5_1ELb0ES3_jN6thrust23THRUST_200600_302600_NS6detail15normal_iteratorINSA_10device_ptrIyEEEEPS6_NSA_18transform_iteratorI7is_evenIyESF_NSA_11use_defaultESK_EENS0_5tupleIJSF_SF_EEENSM_IJSG_SG_EEES6_PlJS6_EEE10hipError_tPvRmT3_T4_T5_T6_T7_T9_mT8_P12ihipStream_tbDpT10_ENKUlT_T0_E_clISt17integral_constantIbLb1EES19_EEDaS14_S15_EUlS14_E_NS1_11comp_targetILNS1_3genE10ELNS1_11target_archE1200ELNS1_3gpuE4ELNS1_3repE0EEENS1_30default_config_static_selectorELNS0_4arch9wavefront6targetE1EEEvT1_ ; -- Begin function _ZN7rocprim17ROCPRIM_400000_NS6detail17trampoline_kernelINS0_14default_configENS1_25partition_config_selectorILNS1_17partition_subalgoE1EyNS0_10empty_typeEbEEZZNS1_14partition_implILS5_1ELb0ES3_jN6thrust23THRUST_200600_302600_NS6detail15normal_iteratorINSA_10device_ptrIyEEEEPS6_NSA_18transform_iteratorI7is_evenIyESF_NSA_11use_defaultESK_EENS0_5tupleIJSF_SF_EEENSM_IJSG_SG_EEES6_PlJS6_EEE10hipError_tPvRmT3_T4_T5_T6_T7_T9_mT8_P12ihipStream_tbDpT10_ENKUlT_T0_E_clISt17integral_constantIbLb1EES19_EEDaS14_S15_EUlS14_E_NS1_11comp_targetILNS1_3genE10ELNS1_11target_archE1200ELNS1_3gpuE4ELNS1_3repE0EEENS1_30default_config_static_selectorELNS0_4arch9wavefront6targetE1EEEvT1_
	.globl	_ZN7rocprim17ROCPRIM_400000_NS6detail17trampoline_kernelINS0_14default_configENS1_25partition_config_selectorILNS1_17partition_subalgoE1EyNS0_10empty_typeEbEEZZNS1_14partition_implILS5_1ELb0ES3_jN6thrust23THRUST_200600_302600_NS6detail15normal_iteratorINSA_10device_ptrIyEEEEPS6_NSA_18transform_iteratorI7is_evenIyESF_NSA_11use_defaultESK_EENS0_5tupleIJSF_SF_EEENSM_IJSG_SG_EEES6_PlJS6_EEE10hipError_tPvRmT3_T4_T5_T6_T7_T9_mT8_P12ihipStream_tbDpT10_ENKUlT_T0_E_clISt17integral_constantIbLb1EES19_EEDaS14_S15_EUlS14_E_NS1_11comp_targetILNS1_3genE10ELNS1_11target_archE1200ELNS1_3gpuE4ELNS1_3repE0EEENS1_30default_config_static_selectorELNS0_4arch9wavefront6targetE1EEEvT1_
	.p2align	8
	.type	_ZN7rocprim17ROCPRIM_400000_NS6detail17trampoline_kernelINS0_14default_configENS1_25partition_config_selectorILNS1_17partition_subalgoE1EyNS0_10empty_typeEbEEZZNS1_14partition_implILS5_1ELb0ES3_jN6thrust23THRUST_200600_302600_NS6detail15normal_iteratorINSA_10device_ptrIyEEEEPS6_NSA_18transform_iteratorI7is_evenIyESF_NSA_11use_defaultESK_EENS0_5tupleIJSF_SF_EEENSM_IJSG_SG_EEES6_PlJS6_EEE10hipError_tPvRmT3_T4_T5_T6_T7_T9_mT8_P12ihipStream_tbDpT10_ENKUlT_T0_E_clISt17integral_constantIbLb1EES19_EEDaS14_S15_EUlS14_E_NS1_11comp_targetILNS1_3genE10ELNS1_11target_archE1200ELNS1_3gpuE4ELNS1_3repE0EEENS1_30default_config_static_selectorELNS0_4arch9wavefront6targetE1EEEvT1_,@function
_ZN7rocprim17ROCPRIM_400000_NS6detail17trampoline_kernelINS0_14default_configENS1_25partition_config_selectorILNS1_17partition_subalgoE1EyNS0_10empty_typeEbEEZZNS1_14partition_implILS5_1ELb0ES3_jN6thrust23THRUST_200600_302600_NS6detail15normal_iteratorINSA_10device_ptrIyEEEEPS6_NSA_18transform_iteratorI7is_evenIyESF_NSA_11use_defaultESK_EENS0_5tupleIJSF_SF_EEENSM_IJSG_SG_EEES6_PlJS6_EEE10hipError_tPvRmT3_T4_T5_T6_T7_T9_mT8_P12ihipStream_tbDpT10_ENKUlT_T0_E_clISt17integral_constantIbLb1EES19_EEDaS14_S15_EUlS14_E_NS1_11comp_targetILNS1_3genE10ELNS1_11target_archE1200ELNS1_3gpuE4ELNS1_3repE0EEENS1_30default_config_static_selectorELNS0_4arch9wavefront6targetE1EEEvT1_: ; @_ZN7rocprim17ROCPRIM_400000_NS6detail17trampoline_kernelINS0_14default_configENS1_25partition_config_selectorILNS1_17partition_subalgoE1EyNS0_10empty_typeEbEEZZNS1_14partition_implILS5_1ELb0ES3_jN6thrust23THRUST_200600_302600_NS6detail15normal_iteratorINSA_10device_ptrIyEEEEPS6_NSA_18transform_iteratorI7is_evenIyESF_NSA_11use_defaultESK_EENS0_5tupleIJSF_SF_EEENSM_IJSG_SG_EEES6_PlJS6_EEE10hipError_tPvRmT3_T4_T5_T6_T7_T9_mT8_P12ihipStream_tbDpT10_ENKUlT_T0_E_clISt17integral_constantIbLb1EES19_EEDaS14_S15_EUlS14_E_NS1_11comp_targetILNS1_3genE10ELNS1_11target_archE1200ELNS1_3gpuE4ELNS1_3repE0EEENS1_30default_config_static_selectorELNS0_4arch9wavefront6targetE1EEEvT1_
; %bb.0:
	.section	.rodata,"a",@progbits
	.p2align	6, 0x0
	.amdhsa_kernel _ZN7rocprim17ROCPRIM_400000_NS6detail17trampoline_kernelINS0_14default_configENS1_25partition_config_selectorILNS1_17partition_subalgoE1EyNS0_10empty_typeEbEEZZNS1_14partition_implILS5_1ELb0ES3_jN6thrust23THRUST_200600_302600_NS6detail15normal_iteratorINSA_10device_ptrIyEEEEPS6_NSA_18transform_iteratorI7is_evenIyESF_NSA_11use_defaultESK_EENS0_5tupleIJSF_SF_EEENSM_IJSG_SG_EEES6_PlJS6_EEE10hipError_tPvRmT3_T4_T5_T6_T7_T9_mT8_P12ihipStream_tbDpT10_ENKUlT_T0_E_clISt17integral_constantIbLb1EES19_EEDaS14_S15_EUlS14_E_NS1_11comp_targetILNS1_3genE10ELNS1_11target_archE1200ELNS1_3gpuE4ELNS1_3repE0EEENS1_30default_config_static_selectorELNS0_4arch9wavefront6targetE1EEEvT1_
		.amdhsa_group_segment_fixed_size 0
		.amdhsa_private_segment_fixed_size 0
		.amdhsa_kernarg_size 144
		.amdhsa_user_sgpr_count 2
		.amdhsa_user_sgpr_dispatch_ptr 0
		.amdhsa_user_sgpr_queue_ptr 0
		.amdhsa_user_sgpr_kernarg_segment_ptr 1
		.amdhsa_user_sgpr_dispatch_id 0
		.amdhsa_user_sgpr_kernarg_preload_length 0
		.amdhsa_user_sgpr_kernarg_preload_offset 0
		.amdhsa_user_sgpr_private_segment_size 0
		.amdhsa_uses_dynamic_stack 0
		.amdhsa_enable_private_segment 0
		.amdhsa_system_sgpr_workgroup_id_x 1
		.amdhsa_system_sgpr_workgroup_id_y 0
		.amdhsa_system_sgpr_workgroup_id_z 0
		.amdhsa_system_sgpr_workgroup_info 0
		.amdhsa_system_vgpr_workitem_id 0
		.amdhsa_next_free_vgpr 1
		.amdhsa_next_free_sgpr 0
		.amdhsa_accum_offset 4
		.amdhsa_reserve_vcc 0
		.amdhsa_float_round_mode_32 0
		.amdhsa_float_round_mode_16_64 0
		.amdhsa_float_denorm_mode_32 3
		.amdhsa_float_denorm_mode_16_64 3
		.amdhsa_dx10_clamp 1
		.amdhsa_ieee_mode 1
		.amdhsa_fp16_overflow 0
		.amdhsa_tg_split 0
		.amdhsa_exception_fp_ieee_invalid_op 0
		.amdhsa_exception_fp_denorm_src 0
		.amdhsa_exception_fp_ieee_div_zero 0
		.amdhsa_exception_fp_ieee_overflow 0
		.amdhsa_exception_fp_ieee_underflow 0
		.amdhsa_exception_fp_ieee_inexact 0
		.amdhsa_exception_int_div_zero 0
	.end_amdhsa_kernel
	.section	.text._ZN7rocprim17ROCPRIM_400000_NS6detail17trampoline_kernelINS0_14default_configENS1_25partition_config_selectorILNS1_17partition_subalgoE1EyNS0_10empty_typeEbEEZZNS1_14partition_implILS5_1ELb0ES3_jN6thrust23THRUST_200600_302600_NS6detail15normal_iteratorINSA_10device_ptrIyEEEEPS6_NSA_18transform_iteratorI7is_evenIyESF_NSA_11use_defaultESK_EENS0_5tupleIJSF_SF_EEENSM_IJSG_SG_EEES6_PlJS6_EEE10hipError_tPvRmT3_T4_T5_T6_T7_T9_mT8_P12ihipStream_tbDpT10_ENKUlT_T0_E_clISt17integral_constantIbLb1EES19_EEDaS14_S15_EUlS14_E_NS1_11comp_targetILNS1_3genE10ELNS1_11target_archE1200ELNS1_3gpuE4ELNS1_3repE0EEENS1_30default_config_static_selectorELNS0_4arch9wavefront6targetE1EEEvT1_,"axG",@progbits,_ZN7rocprim17ROCPRIM_400000_NS6detail17trampoline_kernelINS0_14default_configENS1_25partition_config_selectorILNS1_17partition_subalgoE1EyNS0_10empty_typeEbEEZZNS1_14partition_implILS5_1ELb0ES3_jN6thrust23THRUST_200600_302600_NS6detail15normal_iteratorINSA_10device_ptrIyEEEEPS6_NSA_18transform_iteratorI7is_evenIyESF_NSA_11use_defaultESK_EENS0_5tupleIJSF_SF_EEENSM_IJSG_SG_EEES6_PlJS6_EEE10hipError_tPvRmT3_T4_T5_T6_T7_T9_mT8_P12ihipStream_tbDpT10_ENKUlT_T0_E_clISt17integral_constantIbLb1EES19_EEDaS14_S15_EUlS14_E_NS1_11comp_targetILNS1_3genE10ELNS1_11target_archE1200ELNS1_3gpuE4ELNS1_3repE0EEENS1_30default_config_static_selectorELNS0_4arch9wavefront6targetE1EEEvT1_,comdat
.Lfunc_end2216:
	.size	_ZN7rocprim17ROCPRIM_400000_NS6detail17trampoline_kernelINS0_14default_configENS1_25partition_config_selectorILNS1_17partition_subalgoE1EyNS0_10empty_typeEbEEZZNS1_14partition_implILS5_1ELb0ES3_jN6thrust23THRUST_200600_302600_NS6detail15normal_iteratorINSA_10device_ptrIyEEEEPS6_NSA_18transform_iteratorI7is_evenIyESF_NSA_11use_defaultESK_EENS0_5tupleIJSF_SF_EEENSM_IJSG_SG_EEES6_PlJS6_EEE10hipError_tPvRmT3_T4_T5_T6_T7_T9_mT8_P12ihipStream_tbDpT10_ENKUlT_T0_E_clISt17integral_constantIbLb1EES19_EEDaS14_S15_EUlS14_E_NS1_11comp_targetILNS1_3genE10ELNS1_11target_archE1200ELNS1_3gpuE4ELNS1_3repE0EEENS1_30default_config_static_selectorELNS0_4arch9wavefront6targetE1EEEvT1_, .Lfunc_end2216-_ZN7rocprim17ROCPRIM_400000_NS6detail17trampoline_kernelINS0_14default_configENS1_25partition_config_selectorILNS1_17partition_subalgoE1EyNS0_10empty_typeEbEEZZNS1_14partition_implILS5_1ELb0ES3_jN6thrust23THRUST_200600_302600_NS6detail15normal_iteratorINSA_10device_ptrIyEEEEPS6_NSA_18transform_iteratorI7is_evenIyESF_NSA_11use_defaultESK_EENS0_5tupleIJSF_SF_EEENSM_IJSG_SG_EEES6_PlJS6_EEE10hipError_tPvRmT3_T4_T5_T6_T7_T9_mT8_P12ihipStream_tbDpT10_ENKUlT_T0_E_clISt17integral_constantIbLb1EES19_EEDaS14_S15_EUlS14_E_NS1_11comp_targetILNS1_3genE10ELNS1_11target_archE1200ELNS1_3gpuE4ELNS1_3repE0EEENS1_30default_config_static_selectorELNS0_4arch9wavefront6targetE1EEEvT1_
                                        ; -- End function
	.section	.AMDGPU.csdata,"",@progbits
; Kernel info:
; codeLenInByte = 0
; NumSgprs: 6
; NumVgprs: 0
; NumAgprs: 0
; TotalNumVgprs: 0
; ScratchSize: 0
; MemoryBound: 0
; FloatMode: 240
; IeeeMode: 1
; LDSByteSize: 0 bytes/workgroup (compile time only)
; SGPRBlocks: 0
; VGPRBlocks: 0
; NumSGPRsForWavesPerEU: 6
; NumVGPRsForWavesPerEU: 1
; AccumOffset: 4
; Occupancy: 8
; WaveLimiterHint : 0
; COMPUTE_PGM_RSRC2:SCRATCH_EN: 0
; COMPUTE_PGM_RSRC2:USER_SGPR: 2
; COMPUTE_PGM_RSRC2:TRAP_HANDLER: 0
; COMPUTE_PGM_RSRC2:TGID_X_EN: 1
; COMPUTE_PGM_RSRC2:TGID_Y_EN: 0
; COMPUTE_PGM_RSRC2:TGID_Z_EN: 0
; COMPUTE_PGM_RSRC2:TIDIG_COMP_CNT: 0
; COMPUTE_PGM_RSRC3_GFX90A:ACCUM_OFFSET: 0
; COMPUTE_PGM_RSRC3_GFX90A:TG_SPLIT: 0
	.section	.text._ZN7rocprim17ROCPRIM_400000_NS6detail17trampoline_kernelINS0_14default_configENS1_25partition_config_selectorILNS1_17partition_subalgoE1EyNS0_10empty_typeEbEEZZNS1_14partition_implILS5_1ELb0ES3_jN6thrust23THRUST_200600_302600_NS6detail15normal_iteratorINSA_10device_ptrIyEEEEPS6_NSA_18transform_iteratorI7is_evenIyESF_NSA_11use_defaultESK_EENS0_5tupleIJSF_SF_EEENSM_IJSG_SG_EEES6_PlJS6_EEE10hipError_tPvRmT3_T4_T5_T6_T7_T9_mT8_P12ihipStream_tbDpT10_ENKUlT_T0_E_clISt17integral_constantIbLb1EES19_EEDaS14_S15_EUlS14_E_NS1_11comp_targetILNS1_3genE9ELNS1_11target_archE1100ELNS1_3gpuE3ELNS1_3repE0EEENS1_30default_config_static_selectorELNS0_4arch9wavefront6targetE1EEEvT1_,"axG",@progbits,_ZN7rocprim17ROCPRIM_400000_NS6detail17trampoline_kernelINS0_14default_configENS1_25partition_config_selectorILNS1_17partition_subalgoE1EyNS0_10empty_typeEbEEZZNS1_14partition_implILS5_1ELb0ES3_jN6thrust23THRUST_200600_302600_NS6detail15normal_iteratorINSA_10device_ptrIyEEEEPS6_NSA_18transform_iteratorI7is_evenIyESF_NSA_11use_defaultESK_EENS0_5tupleIJSF_SF_EEENSM_IJSG_SG_EEES6_PlJS6_EEE10hipError_tPvRmT3_T4_T5_T6_T7_T9_mT8_P12ihipStream_tbDpT10_ENKUlT_T0_E_clISt17integral_constantIbLb1EES19_EEDaS14_S15_EUlS14_E_NS1_11comp_targetILNS1_3genE9ELNS1_11target_archE1100ELNS1_3gpuE3ELNS1_3repE0EEENS1_30default_config_static_selectorELNS0_4arch9wavefront6targetE1EEEvT1_,comdat
	.protected	_ZN7rocprim17ROCPRIM_400000_NS6detail17trampoline_kernelINS0_14default_configENS1_25partition_config_selectorILNS1_17partition_subalgoE1EyNS0_10empty_typeEbEEZZNS1_14partition_implILS5_1ELb0ES3_jN6thrust23THRUST_200600_302600_NS6detail15normal_iteratorINSA_10device_ptrIyEEEEPS6_NSA_18transform_iteratorI7is_evenIyESF_NSA_11use_defaultESK_EENS0_5tupleIJSF_SF_EEENSM_IJSG_SG_EEES6_PlJS6_EEE10hipError_tPvRmT3_T4_T5_T6_T7_T9_mT8_P12ihipStream_tbDpT10_ENKUlT_T0_E_clISt17integral_constantIbLb1EES19_EEDaS14_S15_EUlS14_E_NS1_11comp_targetILNS1_3genE9ELNS1_11target_archE1100ELNS1_3gpuE3ELNS1_3repE0EEENS1_30default_config_static_selectorELNS0_4arch9wavefront6targetE1EEEvT1_ ; -- Begin function _ZN7rocprim17ROCPRIM_400000_NS6detail17trampoline_kernelINS0_14default_configENS1_25partition_config_selectorILNS1_17partition_subalgoE1EyNS0_10empty_typeEbEEZZNS1_14partition_implILS5_1ELb0ES3_jN6thrust23THRUST_200600_302600_NS6detail15normal_iteratorINSA_10device_ptrIyEEEEPS6_NSA_18transform_iteratorI7is_evenIyESF_NSA_11use_defaultESK_EENS0_5tupleIJSF_SF_EEENSM_IJSG_SG_EEES6_PlJS6_EEE10hipError_tPvRmT3_T4_T5_T6_T7_T9_mT8_P12ihipStream_tbDpT10_ENKUlT_T0_E_clISt17integral_constantIbLb1EES19_EEDaS14_S15_EUlS14_E_NS1_11comp_targetILNS1_3genE9ELNS1_11target_archE1100ELNS1_3gpuE3ELNS1_3repE0EEENS1_30default_config_static_selectorELNS0_4arch9wavefront6targetE1EEEvT1_
	.globl	_ZN7rocprim17ROCPRIM_400000_NS6detail17trampoline_kernelINS0_14default_configENS1_25partition_config_selectorILNS1_17partition_subalgoE1EyNS0_10empty_typeEbEEZZNS1_14partition_implILS5_1ELb0ES3_jN6thrust23THRUST_200600_302600_NS6detail15normal_iteratorINSA_10device_ptrIyEEEEPS6_NSA_18transform_iteratorI7is_evenIyESF_NSA_11use_defaultESK_EENS0_5tupleIJSF_SF_EEENSM_IJSG_SG_EEES6_PlJS6_EEE10hipError_tPvRmT3_T4_T5_T6_T7_T9_mT8_P12ihipStream_tbDpT10_ENKUlT_T0_E_clISt17integral_constantIbLb1EES19_EEDaS14_S15_EUlS14_E_NS1_11comp_targetILNS1_3genE9ELNS1_11target_archE1100ELNS1_3gpuE3ELNS1_3repE0EEENS1_30default_config_static_selectorELNS0_4arch9wavefront6targetE1EEEvT1_
	.p2align	8
	.type	_ZN7rocprim17ROCPRIM_400000_NS6detail17trampoline_kernelINS0_14default_configENS1_25partition_config_selectorILNS1_17partition_subalgoE1EyNS0_10empty_typeEbEEZZNS1_14partition_implILS5_1ELb0ES3_jN6thrust23THRUST_200600_302600_NS6detail15normal_iteratorINSA_10device_ptrIyEEEEPS6_NSA_18transform_iteratorI7is_evenIyESF_NSA_11use_defaultESK_EENS0_5tupleIJSF_SF_EEENSM_IJSG_SG_EEES6_PlJS6_EEE10hipError_tPvRmT3_T4_T5_T6_T7_T9_mT8_P12ihipStream_tbDpT10_ENKUlT_T0_E_clISt17integral_constantIbLb1EES19_EEDaS14_S15_EUlS14_E_NS1_11comp_targetILNS1_3genE9ELNS1_11target_archE1100ELNS1_3gpuE3ELNS1_3repE0EEENS1_30default_config_static_selectorELNS0_4arch9wavefront6targetE1EEEvT1_,@function
_ZN7rocprim17ROCPRIM_400000_NS6detail17trampoline_kernelINS0_14default_configENS1_25partition_config_selectorILNS1_17partition_subalgoE1EyNS0_10empty_typeEbEEZZNS1_14partition_implILS5_1ELb0ES3_jN6thrust23THRUST_200600_302600_NS6detail15normal_iteratorINSA_10device_ptrIyEEEEPS6_NSA_18transform_iteratorI7is_evenIyESF_NSA_11use_defaultESK_EENS0_5tupleIJSF_SF_EEENSM_IJSG_SG_EEES6_PlJS6_EEE10hipError_tPvRmT3_T4_T5_T6_T7_T9_mT8_P12ihipStream_tbDpT10_ENKUlT_T0_E_clISt17integral_constantIbLb1EES19_EEDaS14_S15_EUlS14_E_NS1_11comp_targetILNS1_3genE9ELNS1_11target_archE1100ELNS1_3gpuE3ELNS1_3repE0EEENS1_30default_config_static_selectorELNS0_4arch9wavefront6targetE1EEEvT1_: ; @_ZN7rocprim17ROCPRIM_400000_NS6detail17trampoline_kernelINS0_14default_configENS1_25partition_config_selectorILNS1_17partition_subalgoE1EyNS0_10empty_typeEbEEZZNS1_14partition_implILS5_1ELb0ES3_jN6thrust23THRUST_200600_302600_NS6detail15normal_iteratorINSA_10device_ptrIyEEEEPS6_NSA_18transform_iteratorI7is_evenIyESF_NSA_11use_defaultESK_EENS0_5tupleIJSF_SF_EEENSM_IJSG_SG_EEES6_PlJS6_EEE10hipError_tPvRmT3_T4_T5_T6_T7_T9_mT8_P12ihipStream_tbDpT10_ENKUlT_T0_E_clISt17integral_constantIbLb1EES19_EEDaS14_S15_EUlS14_E_NS1_11comp_targetILNS1_3genE9ELNS1_11target_archE1100ELNS1_3gpuE3ELNS1_3repE0EEENS1_30default_config_static_selectorELNS0_4arch9wavefront6targetE1EEEvT1_
; %bb.0:
	.section	.rodata,"a",@progbits
	.p2align	6, 0x0
	.amdhsa_kernel _ZN7rocprim17ROCPRIM_400000_NS6detail17trampoline_kernelINS0_14default_configENS1_25partition_config_selectorILNS1_17partition_subalgoE1EyNS0_10empty_typeEbEEZZNS1_14partition_implILS5_1ELb0ES3_jN6thrust23THRUST_200600_302600_NS6detail15normal_iteratorINSA_10device_ptrIyEEEEPS6_NSA_18transform_iteratorI7is_evenIyESF_NSA_11use_defaultESK_EENS0_5tupleIJSF_SF_EEENSM_IJSG_SG_EEES6_PlJS6_EEE10hipError_tPvRmT3_T4_T5_T6_T7_T9_mT8_P12ihipStream_tbDpT10_ENKUlT_T0_E_clISt17integral_constantIbLb1EES19_EEDaS14_S15_EUlS14_E_NS1_11comp_targetILNS1_3genE9ELNS1_11target_archE1100ELNS1_3gpuE3ELNS1_3repE0EEENS1_30default_config_static_selectorELNS0_4arch9wavefront6targetE1EEEvT1_
		.amdhsa_group_segment_fixed_size 0
		.amdhsa_private_segment_fixed_size 0
		.amdhsa_kernarg_size 144
		.amdhsa_user_sgpr_count 2
		.amdhsa_user_sgpr_dispatch_ptr 0
		.amdhsa_user_sgpr_queue_ptr 0
		.amdhsa_user_sgpr_kernarg_segment_ptr 1
		.amdhsa_user_sgpr_dispatch_id 0
		.amdhsa_user_sgpr_kernarg_preload_length 0
		.amdhsa_user_sgpr_kernarg_preload_offset 0
		.amdhsa_user_sgpr_private_segment_size 0
		.amdhsa_uses_dynamic_stack 0
		.amdhsa_enable_private_segment 0
		.amdhsa_system_sgpr_workgroup_id_x 1
		.amdhsa_system_sgpr_workgroup_id_y 0
		.amdhsa_system_sgpr_workgroup_id_z 0
		.amdhsa_system_sgpr_workgroup_info 0
		.amdhsa_system_vgpr_workitem_id 0
		.amdhsa_next_free_vgpr 1
		.amdhsa_next_free_sgpr 0
		.amdhsa_accum_offset 4
		.amdhsa_reserve_vcc 0
		.amdhsa_float_round_mode_32 0
		.amdhsa_float_round_mode_16_64 0
		.amdhsa_float_denorm_mode_32 3
		.amdhsa_float_denorm_mode_16_64 3
		.amdhsa_dx10_clamp 1
		.amdhsa_ieee_mode 1
		.amdhsa_fp16_overflow 0
		.amdhsa_tg_split 0
		.amdhsa_exception_fp_ieee_invalid_op 0
		.amdhsa_exception_fp_denorm_src 0
		.amdhsa_exception_fp_ieee_div_zero 0
		.amdhsa_exception_fp_ieee_overflow 0
		.amdhsa_exception_fp_ieee_underflow 0
		.amdhsa_exception_fp_ieee_inexact 0
		.amdhsa_exception_int_div_zero 0
	.end_amdhsa_kernel
	.section	.text._ZN7rocprim17ROCPRIM_400000_NS6detail17trampoline_kernelINS0_14default_configENS1_25partition_config_selectorILNS1_17partition_subalgoE1EyNS0_10empty_typeEbEEZZNS1_14partition_implILS5_1ELb0ES3_jN6thrust23THRUST_200600_302600_NS6detail15normal_iteratorINSA_10device_ptrIyEEEEPS6_NSA_18transform_iteratorI7is_evenIyESF_NSA_11use_defaultESK_EENS0_5tupleIJSF_SF_EEENSM_IJSG_SG_EEES6_PlJS6_EEE10hipError_tPvRmT3_T4_T5_T6_T7_T9_mT8_P12ihipStream_tbDpT10_ENKUlT_T0_E_clISt17integral_constantIbLb1EES19_EEDaS14_S15_EUlS14_E_NS1_11comp_targetILNS1_3genE9ELNS1_11target_archE1100ELNS1_3gpuE3ELNS1_3repE0EEENS1_30default_config_static_selectorELNS0_4arch9wavefront6targetE1EEEvT1_,"axG",@progbits,_ZN7rocprim17ROCPRIM_400000_NS6detail17trampoline_kernelINS0_14default_configENS1_25partition_config_selectorILNS1_17partition_subalgoE1EyNS0_10empty_typeEbEEZZNS1_14partition_implILS5_1ELb0ES3_jN6thrust23THRUST_200600_302600_NS6detail15normal_iteratorINSA_10device_ptrIyEEEEPS6_NSA_18transform_iteratorI7is_evenIyESF_NSA_11use_defaultESK_EENS0_5tupleIJSF_SF_EEENSM_IJSG_SG_EEES6_PlJS6_EEE10hipError_tPvRmT3_T4_T5_T6_T7_T9_mT8_P12ihipStream_tbDpT10_ENKUlT_T0_E_clISt17integral_constantIbLb1EES19_EEDaS14_S15_EUlS14_E_NS1_11comp_targetILNS1_3genE9ELNS1_11target_archE1100ELNS1_3gpuE3ELNS1_3repE0EEENS1_30default_config_static_selectorELNS0_4arch9wavefront6targetE1EEEvT1_,comdat
.Lfunc_end2217:
	.size	_ZN7rocprim17ROCPRIM_400000_NS6detail17trampoline_kernelINS0_14default_configENS1_25partition_config_selectorILNS1_17partition_subalgoE1EyNS0_10empty_typeEbEEZZNS1_14partition_implILS5_1ELb0ES3_jN6thrust23THRUST_200600_302600_NS6detail15normal_iteratorINSA_10device_ptrIyEEEEPS6_NSA_18transform_iteratorI7is_evenIyESF_NSA_11use_defaultESK_EENS0_5tupleIJSF_SF_EEENSM_IJSG_SG_EEES6_PlJS6_EEE10hipError_tPvRmT3_T4_T5_T6_T7_T9_mT8_P12ihipStream_tbDpT10_ENKUlT_T0_E_clISt17integral_constantIbLb1EES19_EEDaS14_S15_EUlS14_E_NS1_11comp_targetILNS1_3genE9ELNS1_11target_archE1100ELNS1_3gpuE3ELNS1_3repE0EEENS1_30default_config_static_selectorELNS0_4arch9wavefront6targetE1EEEvT1_, .Lfunc_end2217-_ZN7rocprim17ROCPRIM_400000_NS6detail17trampoline_kernelINS0_14default_configENS1_25partition_config_selectorILNS1_17partition_subalgoE1EyNS0_10empty_typeEbEEZZNS1_14partition_implILS5_1ELb0ES3_jN6thrust23THRUST_200600_302600_NS6detail15normal_iteratorINSA_10device_ptrIyEEEEPS6_NSA_18transform_iteratorI7is_evenIyESF_NSA_11use_defaultESK_EENS0_5tupleIJSF_SF_EEENSM_IJSG_SG_EEES6_PlJS6_EEE10hipError_tPvRmT3_T4_T5_T6_T7_T9_mT8_P12ihipStream_tbDpT10_ENKUlT_T0_E_clISt17integral_constantIbLb1EES19_EEDaS14_S15_EUlS14_E_NS1_11comp_targetILNS1_3genE9ELNS1_11target_archE1100ELNS1_3gpuE3ELNS1_3repE0EEENS1_30default_config_static_selectorELNS0_4arch9wavefront6targetE1EEEvT1_
                                        ; -- End function
	.section	.AMDGPU.csdata,"",@progbits
; Kernel info:
; codeLenInByte = 0
; NumSgprs: 6
; NumVgprs: 0
; NumAgprs: 0
; TotalNumVgprs: 0
; ScratchSize: 0
; MemoryBound: 0
; FloatMode: 240
; IeeeMode: 1
; LDSByteSize: 0 bytes/workgroup (compile time only)
; SGPRBlocks: 0
; VGPRBlocks: 0
; NumSGPRsForWavesPerEU: 6
; NumVGPRsForWavesPerEU: 1
; AccumOffset: 4
; Occupancy: 8
; WaveLimiterHint : 0
; COMPUTE_PGM_RSRC2:SCRATCH_EN: 0
; COMPUTE_PGM_RSRC2:USER_SGPR: 2
; COMPUTE_PGM_RSRC2:TRAP_HANDLER: 0
; COMPUTE_PGM_RSRC2:TGID_X_EN: 1
; COMPUTE_PGM_RSRC2:TGID_Y_EN: 0
; COMPUTE_PGM_RSRC2:TGID_Z_EN: 0
; COMPUTE_PGM_RSRC2:TIDIG_COMP_CNT: 0
; COMPUTE_PGM_RSRC3_GFX90A:ACCUM_OFFSET: 0
; COMPUTE_PGM_RSRC3_GFX90A:TG_SPLIT: 0
	.section	.text._ZN7rocprim17ROCPRIM_400000_NS6detail17trampoline_kernelINS0_14default_configENS1_25partition_config_selectorILNS1_17partition_subalgoE1EyNS0_10empty_typeEbEEZZNS1_14partition_implILS5_1ELb0ES3_jN6thrust23THRUST_200600_302600_NS6detail15normal_iteratorINSA_10device_ptrIyEEEEPS6_NSA_18transform_iteratorI7is_evenIyESF_NSA_11use_defaultESK_EENS0_5tupleIJSF_SF_EEENSM_IJSG_SG_EEES6_PlJS6_EEE10hipError_tPvRmT3_T4_T5_T6_T7_T9_mT8_P12ihipStream_tbDpT10_ENKUlT_T0_E_clISt17integral_constantIbLb1EES19_EEDaS14_S15_EUlS14_E_NS1_11comp_targetILNS1_3genE8ELNS1_11target_archE1030ELNS1_3gpuE2ELNS1_3repE0EEENS1_30default_config_static_selectorELNS0_4arch9wavefront6targetE1EEEvT1_,"axG",@progbits,_ZN7rocprim17ROCPRIM_400000_NS6detail17trampoline_kernelINS0_14default_configENS1_25partition_config_selectorILNS1_17partition_subalgoE1EyNS0_10empty_typeEbEEZZNS1_14partition_implILS5_1ELb0ES3_jN6thrust23THRUST_200600_302600_NS6detail15normal_iteratorINSA_10device_ptrIyEEEEPS6_NSA_18transform_iteratorI7is_evenIyESF_NSA_11use_defaultESK_EENS0_5tupleIJSF_SF_EEENSM_IJSG_SG_EEES6_PlJS6_EEE10hipError_tPvRmT3_T4_T5_T6_T7_T9_mT8_P12ihipStream_tbDpT10_ENKUlT_T0_E_clISt17integral_constantIbLb1EES19_EEDaS14_S15_EUlS14_E_NS1_11comp_targetILNS1_3genE8ELNS1_11target_archE1030ELNS1_3gpuE2ELNS1_3repE0EEENS1_30default_config_static_selectorELNS0_4arch9wavefront6targetE1EEEvT1_,comdat
	.protected	_ZN7rocprim17ROCPRIM_400000_NS6detail17trampoline_kernelINS0_14default_configENS1_25partition_config_selectorILNS1_17partition_subalgoE1EyNS0_10empty_typeEbEEZZNS1_14partition_implILS5_1ELb0ES3_jN6thrust23THRUST_200600_302600_NS6detail15normal_iteratorINSA_10device_ptrIyEEEEPS6_NSA_18transform_iteratorI7is_evenIyESF_NSA_11use_defaultESK_EENS0_5tupleIJSF_SF_EEENSM_IJSG_SG_EEES6_PlJS6_EEE10hipError_tPvRmT3_T4_T5_T6_T7_T9_mT8_P12ihipStream_tbDpT10_ENKUlT_T0_E_clISt17integral_constantIbLb1EES19_EEDaS14_S15_EUlS14_E_NS1_11comp_targetILNS1_3genE8ELNS1_11target_archE1030ELNS1_3gpuE2ELNS1_3repE0EEENS1_30default_config_static_selectorELNS0_4arch9wavefront6targetE1EEEvT1_ ; -- Begin function _ZN7rocprim17ROCPRIM_400000_NS6detail17trampoline_kernelINS0_14default_configENS1_25partition_config_selectorILNS1_17partition_subalgoE1EyNS0_10empty_typeEbEEZZNS1_14partition_implILS5_1ELb0ES3_jN6thrust23THRUST_200600_302600_NS6detail15normal_iteratorINSA_10device_ptrIyEEEEPS6_NSA_18transform_iteratorI7is_evenIyESF_NSA_11use_defaultESK_EENS0_5tupleIJSF_SF_EEENSM_IJSG_SG_EEES6_PlJS6_EEE10hipError_tPvRmT3_T4_T5_T6_T7_T9_mT8_P12ihipStream_tbDpT10_ENKUlT_T0_E_clISt17integral_constantIbLb1EES19_EEDaS14_S15_EUlS14_E_NS1_11comp_targetILNS1_3genE8ELNS1_11target_archE1030ELNS1_3gpuE2ELNS1_3repE0EEENS1_30default_config_static_selectorELNS0_4arch9wavefront6targetE1EEEvT1_
	.globl	_ZN7rocprim17ROCPRIM_400000_NS6detail17trampoline_kernelINS0_14default_configENS1_25partition_config_selectorILNS1_17partition_subalgoE1EyNS0_10empty_typeEbEEZZNS1_14partition_implILS5_1ELb0ES3_jN6thrust23THRUST_200600_302600_NS6detail15normal_iteratorINSA_10device_ptrIyEEEEPS6_NSA_18transform_iteratorI7is_evenIyESF_NSA_11use_defaultESK_EENS0_5tupleIJSF_SF_EEENSM_IJSG_SG_EEES6_PlJS6_EEE10hipError_tPvRmT3_T4_T5_T6_T7_T9_mT8_P12ihipStream_tbDpT10_ENKUlT_T0_E_clISt17integral_constantIbLb1EES19_EEDaS14_S15_EUlS14_E_NS1_11comp_targetILNS1_3genE8ELNS1_11target_archE1030ELNS1_3gpuE2ELNS1_3repE0EEENS1_30default_config_static_selectorELNS0_4arch9wavefront6targetE1EEEvT1_
	.p2align	8
	.type	_ZN7rocprim17ROCPRIM_400000_NS6detail17trampoline_kernelINS0_14default_configENS1_25partition_config_selectorILNS1_17partition_subalgoE1EyNS0_10empty_typeEbEEZZNS1_14partition_implILS5_1ELb0ES3_jN6thrust23THRUST_200600_302600_NS6detail15normal_iteratorINSA_10device_ptrIyEEEEPS6_NSA_18transform_iteratorI7is_evenIyESF_NSA_11use_defaultESK_EENS0_5tupleIJSF_SF_EEENSM_IJSG_SG_EEES6_PlJS6_EEE10hipError_tPvRmT3_T4_T5_T6_T7_T9_mT8_P12ihipStream_tbDpT10_ENKUlT_T0_E_clISt17integral_constantIbLb1EES19_EEDaS14_S15_EUlS14_E_NS1_11comp_targetILNS1_3genE8ELNS1_11target_archE1030ELNS1_3gpuE2ELNS1_3repE0EEENS1_30default_config_static_selectorELNS0_4arch9wavefront6targetE1EEEvT1_,@function
_ZN7rocprim17ROCPRIM_400000_NS6detail17trampoline_kernelINS0_14default_configENS1_25partition_config_selectorILNS1_17partition_subalgoE1EyNS0_10empty_typeEbEEZZNS1_14partition_implILS5_1ELb0ES3_jN6thrust23THRUST_200600_302600_NS6detail15normal_iteratorINSA_10device_ptrIyEEEEPS6_NSA_18transform_iteratorI7is_evenIyESF_NSA_11use_defaultESK_EENS0_5tupleIJSF_SF_EEENSM_IJSG_SG_EEES6_PlJS6_EEE10hipError_tPvRmT3_T4_T5_T6_T7_T9_mT8_P12ihipStream_tbDpT10_ENKUlT_T0_E_clISt17integral_constantIbLb1EES19_EEDaS14_S15_EUlS14_E_NS1_11comp_targetILNS1_3genE8ELNS1_11target_archE1030ELNS1_3gpuE2ELNS1_3repE0EEENS1_30default_config_static_selectorELNS0_4arch9wavefront6targetE1EEEvT1_: ; @_ZN7rocprim17ROCPRIM_400000_NS6detail17trampoline_kernelINS0_14default_configENS1_25partition_config_selectorILNS1_17partition_subalgoE1EyNS0_10empty_typeEbEEZZNS1_14partition_implILS5_1ELb0ES3_jN6thrust23THRUST_200600_302600_NS6detail15normal_iteratorINSA_10device_ptrIyEEEEPS6_NSA_18transform_iteratorI7is_evenIyESF_NSA_11use_defaultESK_EENS0_5tupleIJSF_SF_EEENSM_IJSG_SG_EEES6_PlJS6_EEE10hipError_tPvRmT3_T4_T5_T6_T7_T9_mT8_P12ihipStream_tbDpT10_ENKUlT_T0_E_clISt17integral_constantIbLb1EES19_EEDaS14_S15_EUlS14_E_NS1_11comp_targetILNS1_3genE8ELNS1_11target_archE1030ELNS1_3gpuE2ELNS1_3repE0EEENS1_30default_config_static_selectorELNS0_4arch9wavefront6targetE1EEEvT1_
; %bb.0:
	.section	.rodata,"a",@progbits
	.p2align	6, 0x0
	.amdhsa_kernel _ZN7rocprim17ROCPRIM_400000_NS6detail17trampoline_kernelINS0_14default_configENS1_25partition_config_selectorILNS1_17partition_subalgoE1EyNS0_10empty_typeEbEEZZNS1_14partition_implILS5_1ELb0ES3_jN6thrust23THRUST_200600_302600_NS6detail15normal_iteratorINSA_10device_ptrIyEEEEPS6_NSA_18transform_iteratorI7is_evenIyESF_NSA_11use_defaultESK_EENS0_5tupleIJSF_SF_EEENSM_IJSG_SG_EEES6_PlJS6_EEE10hipError_tPvRmT3_T4_T5_T6_T7_T9_mT8_P12ihipStream_tbDpT10_ENKUlT_T0_E_clISt17integral_constantIbLb1EES19_EEDaS14_S15_EUlS14_E_NS1_11comp_targetILNS1_3genE8ELNS1_11target_archE1030ELNS1_3gpuE2ELNS1_3repE0EEENS1_30default_config_static_selectorELNS0_4arch9wavefront6targetE1EEEvT1_
		.amdhsa_group_segment_fixed_size 0
		.amdhsa_private_segment_fixed_size 0
		.amdhsa_kernarg_size 144
		.amdhsa_user_sgpr_count 2
		.amdhsa_user_sgpr_dispatch_ptr 0
		.amdhsa_user_sgpr_queue_ptr 0
		.amdhsa_user_sgpr_kernarg_segment_ptr 1
		.amdhsa_user_sgpr_dispatch_id 0
		.amdhsa_user_sgpr_kernarg_preload_length 0
		.amdhsa_user_sgpr_kernarg_preload_offset 0
		.amdhsa_user_sgpr_private_segment_size 0
		.amdhsa_uses_dynamic_stack 0
		.amdhsa_enable_private_segment 0
		.amdhsa_system_sgpr_workgroup_id_x 1
		.amdhsa_system_sgpr_workgroup_id_y 0
		.amdhsa_system_sgpr_workgroup_id_z 0
		.amdhsa_system_sgpr_workgroup_info 0
		.amdhsa_system_vgpr_workitem_id 0
		.amdhsa_next_free_vgpr 1
		.amdhsa_next_free_sgpr 0
		.amdhsa_accum_offset 4
		.amdhsa_reserve_vcc 0
		.amdhsa_float_round_mode_32 0
		.amdhsa_float_round_mode_16_64 0
		.amdhsa_float_denorm_mode_32 3
		.amdhsa_float_denorm_mode_16_64 3
		.amdhsa_dx10_clamp 1
		.amdhsa_ieee_mode 1
		.amdhsa_fp16_overflow 0
		.amdhsa_tg_split 0
		.amdhsa_exception_fp_ieee_invalid_op 0
		.amdhsa_exception_fp_denorm_src 0
		.amdhsa_exception_fp_ieee_div_zero 0
		.amdhsa_exception_fp_ieee_overflow 0
		.amdhsa_exception_fp_ieee_underflow 0
		.amdhsa_exception_fp_ieee_inexact 0
		.amdhsa_exception_int_div_zero 0
	.end_amdhsa_kernel
	.section	.text._ZN7rocprim17ROCPRIM_400000_NS6detail17trampoline_kernelINS0_14default_configENS1_25partition_config_selectorILNS1_17partition_subalgoE1EyNS0_10empty_typeEbEEZZNS1_14partition_implILS5_1ELb0ES3_jN6thrust23THRUST_200600_302600_NS6detail15normal_iteratorINSA_10device_ptrIyEEEEPS6_NSA_18transform_iteratorI7is_evenIyESF_NSA_11use_defaultESK_EENS0_5tupleIJSF_SF_EEENSM_IJSG_SG_EEES6_PlJS6_EEE10hipError_tPvRmT3_T4_T5_T6_T7_T9_mT8_P12ihipStream_tbDpT10_ENKUlT_T0_E_clISt17integral_constantIbLb1EES19_EEDaS14_S15_EUlS14_E_NS1_11comp_targetILNS1_3genE8ELNS1_11target_archE1030ELNS1_3gpuE2ELNS1_3repE0EEENS1_30default_config_static_selectorELNS0_4arch9wavefront6targetE1EEEvT1_,"axG",@progbits,_ZN7rocprim17ROCPRIM_400000_NS6detail17trampoline_kernelINS0_14default_configENS1_25partition_config_selectorILNS1_17partition_subalgoE1EyNS0_10empty_typeEbEEZZNS1_14partition_implILS5_1ELb0ES3_jN6thrust23THRUST_200600_302600_NS6detail15normal_iteratorINSA_10device_ptrIyEEEEPS6_NSA_18transform_iteratorI7is_evenIyESF_NSA_11use_defaultESK_EENS0_5tupleIJSF_SF_EEENSM_IJSG_SG_EEES6_PlJS6_EEE10hipError_tPvRmT3_T4_T5_T6_T7_T9_mT8_P12ihipStream_tbDpT10_ENKUlT_T0_E_clISt17integral_constantIbLb1EES19_EEDaS14_S15_EUlS14_E_NS1_11comp_targetILNS1_3genE8ELNS1_11target_archE1030ELNS1_3gpuE2ELNS1_3repE0EEENS1_30default_config_static_selectorELNS0_4arch9wavefront6targetE1EEEvT1_,comdat
.Lfunc_end2218:
	.size	_ZN7rocprim17ROCPRIM_400000_NS6detail17trampoline_kernelINS0_14default_configENS1_25partition_config_selectorILNS1_17partition_subalgoE1EyNS0_10empty_typeEbEEZZNS1_14partition_implILS5_1ELb0ES3_jN6thrust23THRUST_200600_302600_NS6detail15normal_iteratorINSA_10device_ptrIyEEEEPS6_NSA_18transform_iteratorI7is_evenIyESF_NSA_11use_defaultESK_EENS0_5tupleIJSF_SF_EEENSM_IJSG_SG_EEES6_PlJS6_EEE10hipError_tPvRmT3_T4_T5_T6_T7_T9_mT8_P12ihipStream_tbDpT10_ENKUlT_T0_E_clISt17integral_constantIbLb1EES19_EEDaS14_S15_EUlS14_E_NS1_11comp_targetILNS1_3genE8ELNS1_11target_archE1030ELNS1_3gpuE2ELNS1_3repE0EEENS1_30default_config_static_selectorELNS0_4arch9wavefront6targetE1EEEvT1_, .Lfunc_end2218-_ZN7rocprim17ROCPRIM_400000_NS6detail17trampoline_kernelINS0_14default_configENS1_25partition_config_selectorILNS1_17partition_subalgoE1EyNS0_10empty_typeEbEEZZNS1_14partition_implILS5_1ELb0ES3_jN6thrust23THRUST_200600_302600_NS6detail15normal_iteratorINSA_10device_ptrIyEEEEPS6_NSA_18transform_iteratorI7is_evenIyESF_NSA_11use_defaultESK_EENS0_5tupleIJSF_SF_EEENSM_IJSG_SG_EEES6_PlJS6_EEE10hipError_tPvRmT3_T4_T5_T6_T7_T9_mT8_P12ihipStream_tbDpT10_ENKUlT_T0_E_clISt17integral_constantIbLb1EES19_EEDaS14_S15_EUlS14_E_NS1_11comp_targetILNS1_3genE8ELNS1_11target_archE1030ELNS1_3gpuE2ELNS1_3repE0EEENS1_30default_config_static_selectorELNS0_4arch9wavefront6targetE1EEEvT1_
                                        ; -- End function
	.section	.AMDGPU.csdata,"",@progbits
; Kernel info:
; codeLenInByte = 0
; NumSgprs: 6
; NumVgprs: 0
; NumAgprs: 0
; TotalNumVgprs: 0
; ScratchSize: 0
; MemoryBound: 0
; FloatMode: 240
; IeeeMode: 1
; LDSByteSize: 0 bytes/workgroup (compile time only)
; SGPRBlocks: 0
; VGPRBlocks: 0
; NumSGPRsForWavesPerEU: 6
; NumVGPRsForWavesPerEU: 1
; AccumOffset: 4
; Occupancy: 8
; WaveLimiterHint : 0
; COMPUTE_PGM_RSRC2:SCRATCH_EN: 0
; COMPUTE_PGM_RSRC2:USER_SGPR: 2
; COMPUTE_PGM_RSRC2:TRAP_HANDLER: 0
; COMPUTE_PGM_RSRC2:TGID_X_EN: 1
; COMPUTE_PGM_RSRC2:TGID_Y_EN: 0
; COMPUTE_PGM_RSRC2:TGID_Z_EN: 0
; COMPUTE_PGM_RSRC2:TIDIG_COMP_CNT: 0
; COMPUTE_PGM_RSRC3_GFX90A:ACCUM_OFFSET: 0
; COMPUTE_PGM_RSRC3_GFX90A:TG_SPLIT: 0
	.section	.text._ZN7rocprim17ROCPRIM_400000_NS6detail17trampoline_kernelINS0_14default_configENS1_25partition_config_selectorILNS1_17partition_subalgoE1EyNS0_10empty_typeEbEEZZNS1_14partition_implILS5_1ELb0ES3_jN6thrust23THRUST_200600_302600_NS6detail15normal_iteratorINSA_10device_ptrIyEEEEPS6_NSA_18transform_iteratorI7is_evenIyESF_NSA_11use_defaultESK_EENS0_5tupleIJSF_SF_EEENSM_IJSG_SG_EEES6_PlJS6_EEE10hipError_tPvRmT3_T4_T5_T6_T7_T9_mT8_P12ihipStream_tbDpT10_ENKUlT_T0_E_clISt17integral_constantIbLb1EES18_IbLb0EEEEDaS14_S15_EUlS14_E_NS1_11comp_targetILNS1_3genE0ELNS1_11target_archE4294967295ELNS1_3gpuE0ELNS1_3repE0EEENS1_30default_config_static_selectorELNS0_4arch9wavefront6targetE1EEEvT1_,"axG",@progbits,_ZN7rocprim17ROCPRIM_400000_NS6detail17trampoline_kernelINS0_14default_configENS1_25partition_config_selectorILNS1_17partition_subalgoE1EyNS0_10empty_typeEbEEZZNS1_14partition_implILS5_1ELb0ES3_jN6thrust23THRUST_200600_302600_NS6detail15normal_iteratorINSA_10device_ptrIyEEEEPS6_NSA_18transform_iteratorI7is_evenIyESF_NSA_11use_defaultESK_EENS0_5tupleIJSF_SF_EEENSM_IJSG_SG_EEES6_PlJS6_EEE10hipError_tPvRmT3_T4_T5_T6_T7_T9_mT8_P12ihipStream_tbDpT10_ENKUlT_T0_E_clISt17integral_constantIbLb1EES18_IbLb0EEEEDaS14_S15_EUlS14_E_NS1_11comp_targetILNS1_3genE0ELNS1_11target_archE4294967295ELNS1_3gpuE0ELNS1_3repE0EEENS1_30default_config_static_selectorELNS0_4arch9wavefront6targetE1EEEvT1_,comdat
	.protected	_ZN7rocprim17ROCPRIM_400000_NS6detail17trampoline_kernelINS0_14default_configENS1_25partition_config_selectorILNS1_17partition_subalgoE1EyNS0_10empty_typeEbEEZZNS1_14partition_implILS5_1ELb0ES3_jN6thrust23THRUST_200600_302600_NS6detail15normal_iteratorINSA_10device_ptrIyEEEEPS6_NSA_18transform_iteratorI7is_evenIyESF_NSA_11use_defaultESK_EENS0_5tupleIJSF_SF_EEENSM_IJSG_SG_EEES6_PlJS6_EEE10hipError_tPvRmT3_T4_T5_T6_T7_T9_mT8_P12ihipStream_tbDpT10_ENKUlT_T0_E_clISt17integral_constantIbLb1EES18_IbLb0EEEEDaS14_S15_EUlS14_E_NS1_11comp_targetILNS1_3genE0ELNS1_11target_archE4294967295ELNS1_3gpuE0ELNS1_3repE0EEENS1_30default_config_static_selectorELNS0_4arch9wavefront6targetE1EEEvT1_ ; -- Begin function _ZN7rocprim17ROCPRIM_400000_NS6detail17trampoline_kernelINS0_14default_configENS1_25partition_config_selectorILNS1_17partition_subalgoE1EyNS0_10empty_typeEbEEZZNS1_14partition_implILS5_1ELb0ES3_jN6thrust23THRUST_200600_302600_NS6detail15normal_iteratorINSA_10device_ptrIyEEEEPS6_NSA_18transform_iteratorI7is_evenIyESF_NSA_11use_defaultESK_EENS0_5tupleIJSF_SF_EEENSM_IJSG_SG_EEES6_PlJS6_EEE10hipError_tPvRmT3_T4_T5_T6_T7_T9_mT8_P12ihipStream_tbDpT10_ENKUlT_T0_E_clISt17integral_constantIbLb1EES18_IbLb0EEEEDaS14_S15_EUlS14_E_NS1_11comp_targetILNS1_3genE0ELNS1_11target_archE4294967295ELNS1_3gpuE0ELNS1_3repE0EEENS1_30default_config_static_selectorELNS0_4arch9wavefront6targetE1EEEvT1_
	.globl	_ZN7rocprim17ROCPRIM_400000_NS6detail17trampoline_kernelINS0_14default_configENS1_25partition_config_selectorILNS1_17partition_subalgoE1EyNS0_10empty_typeEbEEZZNS1_14partition_implILS5_1ELb0ES3_jN6thrust23THRUST_200600_302600_NS6detail15normal_iteratorINSA_10device_ptrIyEEEEPS6_NSA_18transform_iteratorI7is_evenIyESF_NSA_11use_defaultESK_EENS0_5tupleIJSF_SF_EEENSM_IJSG_SG_EEES6_PlJS6_EEE10hipError_tPvRmT3_T4_T5_T6_T7_T9_mT8_P12ihipStream_tbDpT10_ENKUlT_T0_E_clISt17integral_constantIbLb1EES18_IbLb0EEEEDaS14_S15_EUlS14_E_NS1_11comp_targetILNS1_3genE0ELNS1_11target_archE4294967295ELNS1_3gpuE0ELNS1_3repE0EEENS1_30default_config_static_selectorELNS0_4arch9wavefront6targetE1EEEvT1_
	.p2align	8
	.type	_ZN7rocprim17ROCPRIM_400000_NS6detail17trampoline_kernelINS0_14default_configENS1_25partition_config_selectorILNS1_17partition_subalgoE1EyNS0_10empty_typeEbEEZZNS1_14partition_implILS5_1ELb0ES3_jN6thrust23THRUST_200600_302600_NS6detail15normal_iteratorINSA_10device_ptrIyEEEEPS6_NSA_18transform_iteratorI7is_evenIyESF_NSA_11use_defaultESK_EENS0_5tupleIJSF_SF_EEENSM_IJSG_SG_EEES6_PlJS6_EEE10hipError_tPvRmT3_T4_T5_T6_T7_T9_mT8_P12ihipStream_tbDpT10_ENKUlT_T0_E_clISt17integral_constantIbLb1EES18_IbLb0EEEEDaS14_S15_EUlS14_E_NS1_11comp_targetILNS1_3genE0ELNS1_11target_archE4294967295ELNS1_3gpuE0ELNS1_3repE0EEENS1_30default_config_static_selectorELNS0_4arch9wavefront6targetE1EEEvT1_,@function
_ZN7rocprim17ROCPRIM_400000_NS6detail17trampoline_kernelINS0_14default_configENS1_25partition_config_selectorILNS1_17partition_subalgoE1EyNS0_10empty_typeEbEEZZNS1_14partition_implILS5_1ELb0ES3_jN6thrust23THRUST_200600_302600_NS6detail15normal_iteratorINSA_10device_ptrIyEEEEPS6_NSA_18transform_iteratorI7is_evenIyESF_NSA_11use_defaultESK_EENS0_5tupleIJSF_SF_EEENSM_IJSG_SG_EEES6_PlJS6_EEE10hipError_tPvRmT3_T4_T5_T6_T7_T9_mT8_P12ihipStream_tbDpT10_ENKUlT_T0_E_clISt17integral_constantIbLb1EES18_IbLb0EEEEDaS14_S15_EUlS14_E_NS1_11comp_targetILNS1_3genE0ELNS1_11target_archE4294967295ELNS1_3gpuE0ELNS1_3repE0EEENS1_30default_config_static_selectorELNS0_4arch9wavefront6targetE1EEEvT1_: ; @_ZN7rocprim17ROCPRIM_400000_NS6detail17trampoline_kernelINS0_14default_configENS1_25partition_config_selectorILNS1_17partition_subalgoE1EyNS0_10empty_typeEbEEZZNS1_14partition_implILS5_1ELb0ES3_jN6thrust23THRUST_200600_302600_NS6detail15normal_iteratorINSA_10device_ptrIyEEEEPS6_NSA_18transform_iteratorI7is_evenIyESF_NSA_11use_defaultESK_EENS0_5tupleIJSF_SF_EEENSM_IJSG_SG_EEES6_PlJS6_EEE10hipError_tPvRmT3_T4_T5_T6_T7_T9_mT8_P12ihipStream_tbDpT10_ENKUlT_T0_E_clISt17integral_constantIbLb1EES18_IbLb0EEEEDaS14_S15_EUlS14_E_NS1_11comp_targetILNS1_3genE0ELNS1_11target_archE4294967295ELNS1_3gpuE0ELNS1_3repE0EEENS1_30default_config_static_selectorELNS0_4arch9wavefront6targetE1EEEvT1_
; %bb.0:
	.section	.rodata,"a",@progbits
	.p2align	6, 0x0
	.amdhsa_kernel _ZN7rocprim17ROCPRIM_400000_NS6detail17trampoline_kernelINS0_14default_configENS1_25partition_config_selectorILNS1_17partition_subalgoE1EyNS0_10empty_typeEbEEZZNS1_14partition_implILS5_1ELb0ES3_jN6thrust23THRUST_200600_302600_NS6detail15normal_iteratorINSA_10device_ptrIyEEEEPS6_NSA_18transform_iteratorI7is_evenIyESF_NSA_11use_defaultESK_EENS0_5tupleIJSF_SF_EEENSM_IJSG_SG_EEES6_PlJS6_EEE10hipError_tPvRmT3_T4_T5_T6_T7_T9_mT8_P12ihipStream_tbDpT10_ENKUlT_T0_E_clISt17integral_constantIbLb1EES18_IbLb0EEEEDaS14_S15_EUlS14_E_NS1_11comp_targetILNS1_3genE0ELNS1_11target_archE4294967295ELNS1_3gpuE0ELNS1_3repE0EEENS1_30default_config_static_selectorELNS0_4arch9wavefront6targetE1EEEvT1_
		.amdhsa_group_segment_fixed_size 0
		.amdhsa_private_segment_fixed_size 0
		.amdhsa_kernarg_size 128
		.amdhsa_user_sgpr_count 2
		.amdhsa_user_sgpr_dispatch_ptr 0
		.amdhsa_user_sgpr_queue_ptr 0
		.amdhsa_user_sgpr_kernarg_segment_ptr 1
		.amdhsa_user_sgpr_dispatch_id 0
		.amdhsa_user_sgpr_kernarg_preload_length 0
		.amdhsa_user_sgpr_kernarg_preload_offset 0
		.amdhsa_user_sgpr_private_segment_size 0
		.amdhsa_uses_dynamic_stack 0
		.amdhsa_enable_private_segment 0
		.amdhsa_system_sgpr_workgroup_id_x 1
		.amdhsa_system_sgpr_workgroup_id_y 0
		.amdhsa_system_sgpr_workgroup_id_z 0
		.amdhsa_system_sgpr_workgroup_info 0
		.amdhsa_system_vgpr_workitem_id 0
		.amdhsa_next_free_vgpr 1
		.amdhsa_next_free_sgpr 0
		.amdhsa_accum_offset 4
		.amdhsa_reserve_vcc 0
		.amdhsa_float_round_mode_32 0
		.amdhsa_float_round_mode_16_64 0
		.amdhsa_float_denorm_mode_32 3
		.amdhsa_float_denorm_mode_16_64 3
		.amdhsa_dx10_clamp 1
		.amdhsa_ieee_mode 1
		.amdhsa_fp16_overflow 0
		.amdhsa_tg_split 0
		.amdhsa_exception_fp_ieee_invalid_op 0
		.amdhsa_exception_fp_denorm_src 0
		.amdhsa_exception_fp_ieee_div_zero 0
		.amdhsa_exception_fp_ieee_overflow 0
		.amdhsa_exception_fp_ieee_underflow 0
		.amdhsa_exception_fp_ieee_inexact 0
		.amdhsa_exception_int_div_zero 0
	.end_amdhsa_kernel
	.section	.text._ZN7rocprim17ROCPRIM_400000_NS6detail17trampoline_kernelINS0_14default_configENS1_25partition_config_selectorILNS1_17partition_subalgoE1EyNS0_10empty_typeEbEEZZNS1_14partition_implILS5_1ELb0ES3_jN6thrust23THRUST_200600_302600_NS6detail15normal_iteratorINSA_10device_ptrIyEEEEPS6_NSA_18transform_iteratorI7is_evenIyESF_NSA_11use_defaultESK_EENS0_5tupleIJSF_SF_EEENSM_IJSG_SG_EEES6_PlJS6_EEE10hipError_tPvRmT3_T4_T5_T6_T7_T9_mT8_P12ihipStream_tbDpT10_ENKUlT_T0_E_clISt17integral_constantIbLb1EES18_IbLb0EEEEDaS14_S15_EUlS14_E_NS1_11comp_targetILNS1_3genE0ELNS1_11target_archE4294967295ELNS1_3gpuE0ELNS1_3repE0EEENS1_30default_config_static_selectorELNS0_4arch9wavefront6targetE1EEEvT1_,"axG",@progbits,_ZN7rocprim17ROCPRIM_400000_NS6detail17trampoline_kernelINS0_14default_configENS1_25partition_config_selectorILNS1_17partition_subalgoE1EyNS0_10empty_typeEbEEZZNS1_14partition_implILS5_1ELb0ES3_jN6thrust23THRUST_200600_302600_NS6detail15normal_iteratorINSA_10device_ptrIyEEEEPS6_NSA_18transform_iteratorI7is_evenIyESF_NSA_11use_defaultESK_EENS0_5tupleIJSF_SF_EEENSM_IJSG_SG_EEES6_PlJS6_EEE10hipError_tPvRmT3_T4_T5_T6_T7_T9_mT8_P12ihipStream_tbDpT10_ENKUlT_T0_E_clISt17integral_constantIbLb1EES18_IbLb0EEEEDaS14_S15_EUlS14_E_NS1_11comp_targetILNS1_3genE0ELNS1_11target_archE4294967295ELNS1_3gpuE0ELNS1_3repE0EEENS1_30default_config_static_selectorELNS0_4arch9wavefront6targetE1EEEvT1_,comdat
.Lfunc_end2219:
	.size	_ZN7rocprim17ROCPRIM_400000_NS6detail17trampoline_kernelINS0_14default_configENS1_25partition_config_selectorILNS1_17partition_subalgoE1EyNS0_10empty_typeEbEEZZNS1_14partition_implILS5_1ELb0ES3_jN6thrust23THRUST_200600_302600_NS6detail15normal_iteratorINSA_10device_ptrIyEEEEPS6_NSA_18transform_iteratorI7is_evenIyESF_NSA_11use_defaultESK_EENS0_5tupleIJSF_SF_EEENSM_IJSG_SG_EEES6_PlJS6_EEE10hipError_tPvRmT3_T4_T5_T6_T7_T9_mT8_P12ihipStream_tbDpT10_ENKUlT_T0_E_clISt17integral_constantIbLb1EES18_IbLb0EEEEDaS14_S15_EUlS14_E_NS1_11comp_targetILNS1_3genE0ELNS1_11target_archE4294967295ELNS1_3gpuE0ELNS1_3repE0EEENS1_30default_config_static_selectorELNS0_4arch9wavefront6targetE1EEEvT1_, .Lfunc_end2219-_ZN7rocprim17ROCPRIM_400000_NS6detail17trampoline_kernelINS0_14default_configENS1_25partition_config_selectorILNS1_17partition_subalgoE1EyNS0_10empty_typeEbEEZZNS1_14partition_implILS5_1ELb0ES3_jN6thrust23THRUST_200600_302600_NS6detail15normal_iteratorINSA_10device_ptrIyEEEEPS6_NSA_18transform_iteratorI7is_evenIyESF_NSA_11use_defaultESK_EENS0_5tupleIJSF_SF_EEENSM_IJSG_SG_EEES6_PlJS6_EEE10hipError_tPvRmT3_T4_T5_T6_T7_T9_mT8_P12ihipStream_tbDpT10_ENKUlT_T0_E_clISt17integral_constantIbLb1EES18_IbLb0EEEEDaS14_S15_EUlS14_E_NS1_11comp_targetILNS1_3genE0ELNS1_11target_archE4294967295ELNS1_3gpuE0ELNS1_3repE0EEENS1_30default_config_static_selectorELNS0_4arch9wavefront6targetE1EEEvT1_
                                        ; -- End function
	.section	.AMDGPU.csdata,"",@progbits
; Kernel info:
; codeLenInByte = 0
; NumSgprs: 6
; NumVgprs: 0
; NumAgprs: 0
; TotalNumVgprs: 0
; ScratchSize: 0
; MemoryBound: 0
; FloatMode: 240
; IeeeMode: 1
; LDSByteSize: 0 bytes/workgroup (compile time only)
; SGPRBlocks: 0
; VGPRBlocks: 0
; NumSGPRsForWavesPerEU: 6
; NumVGPRsForWavesPerEU: 1
; AccumOffset: 4
; Occupancy: 8
; WaveLimiterHint : 0
; COMPUTE_PGM_RSRC2:SCRATCH_EN: 0
; COMPUTE_PGM_RSRC2:USER_SGPR: 2
; COMPUTE_PGM_RSRC2:TRAP_HANDLER: 0
; COMPUTE_PGM_RSRC2:TGID_X_EN: 1
; COMPUTE_PGM_RSRC2:TGID_Y_EN: 0
; COMPUTE_PGM_RSRC2:TGID_Z_EN: 0
; COMPUTE_PGM_RSRC2:TIDIG_COMP_CNT: 0
; COMPUTE_PGM_RSRC3_GFX90A:ACCUM_OFFSET: 0
; COMPUTE_PGM_RSRC3_GFX90A:TG_SPLIT: 0
	.section	.text._ZN7rocprim17ROCPRIM_400000_NS6detail17trampoline_kernelINS0_14default_configENS1_25partition_config_selectorILNS1_17partition_subalgoE1EyNS0_10empty_typeEbEEZZNS1_14partition_implILS5_1ELb0ES3_jN6thrust23THRUST_200600_302600_NS6detail15normal_iteratorINSA_10device_ptrIyEEEEPS6_NSA_18transform_iteratorI7is_evenIyESF_NSA_11use_defaultESK_EENS0_5tupleIJSF_SF_EEENSM_IJSG_SG_EEES6_PlJS6_EEE10hipError_tPvRmT3_T4_T5_T6_T7_T9_mT8_P12ihipStream_tbDpT10_ENKUlT_T0_E_clISt17integral_constantIbLb1EES18_IbLb0EEEEDaS14_S15_EUlS14_E_NS1_11comp_targetILNS1_3genE5ELNS1_11target_archE942ELNS1_3gpuE9ELNS1_3repE0EEENS1_30default_config_static_selectorELNS0_4arch9wavefront6targetE1EEEvT1_,"axG",@progbits,_ZN7rocprim17ROCPRIM_400000_NS6detail17trampoline_kernelINS0_14default_configENS1_25partition_config_selectorILNS1_17partition_subalgoE1EyNS0_10empty_typeEbEEZZNS1_14partition_implILS5_1ELb0ES3_jN6thrust23THRUST_200600_302600_NS6detail15normal_iteratorINSA_10device_ptrIyEEEEPS6_NSA_18transform_iteratorI7is_evenIyESF_NSA_11use_defaultESK_EENS0_5tupleIJSF_SF_EEENSM_IJSG_SG_EEES6_PlJS6_EEE10hipError_tPvRmT3_T4_T5_T6_T7_T9_mT8_P12ihipStream_tbDpT10_ENKUlT_T0_E_clISt17integral_constantIbLb1EES18_IbLb0EEEEDaS14_S15_EUlS14_E_NS1_11comp_targetILNS1_3genE5ELNS1_11target_archE942ELNS1_3gpuE9ELNS1_3repE0EEENS1_30default_config_static_selectorELNS0_4arch9wavefront6targetE1EEEvT1_,comdat
	.protected	_ZN7rocprim17ROCPRIM_400000_NS6detail17trampoline_kernelINS0_14default_configENS1_25partition_config_selectorILNS1_17partition_subalgoE1EyNS0_10empty_typeEbEEZZNS1_14partition_implILS5_1ELb0ES3_jN6thrust23THRUST_200600_302600_NS6detail15normal_iteratorINSA_10device_ptrIyEEEEPS6_NSA_18transform_iteratorI7is_evenIyESF_NSA_11use_defaultESK_EENS0_5tupleIJSF_SF_EEENSM_IJSG_SG_EEES6_PlJS6_EEE10hipError_tPvRmT3_T4_T5_T6_T7_T9_mT8_P12ihipStream_tbDpT10_ENKUlT_T0_E_clISt17integral_constantIbLb1EES18_IbLb0EEEEDaS14_S15_EUlS14_E_NS1_11comp_targetILNS1_3genE5ELNS1_11target_archE942ELNS1_3gpuE9ELNS1_3repE0EEENS1_30default_config_static_selectorELNS0_4arch9wavefront6targetE1EEEvT1_ ; -- Begin function _ZN7rocprim17ROCPRIM_400000_NS6detail17trampoline_kernelINS0_14default_configENS1_25partition_config_selectorILNS1_17partition_subalgoE1EyNS0_10empty_typeEbEEZZNS1_14partition_implILS5_1ELb0ES3_jN6thrust23THRUST_200600_302600_NS6detail15normal_iteratorINSA_10device_ptrIyEEEEPS6_NSA_18transform_iteratorI7is_evenIyESF_NSA_11use_defaultESK_EENS0_5tupleIJSF_SF_EEENSM_IJSG_SG_EEES6_PlJS6_EEE10hipError_tPvRmT3_T4_T5_T6_T7_T9_mT8_P12ihipStream_tbDpT10_ENKUlT_T0_E_clISt17integral_constantIbLb1EES18_IbLb0EEEEDaS14_S15_EUlS14_E_NS1_11comp_targetILNS1_3genE5ELNS1_11target_archE942ELNS1_3gpuE9ELNS1_3repE0EEENS1_30default_config_static_selectorELNS0_4arch9wavefront6targetE1EEEvT1_
	.globl	_ZN7rocprim17ROCPRIM_400000_NS6detail17trampoline_kernelINS0_14default_configENS1_25partition_config_selectorILNS1_17partition_subalgoE1EyNS0_10empty_typeEbEEZZNS1_14partition_implILS5_1ELb0ES3_jN6thrust23THRUST_200600_302600_NS6detail15normal_iteratorINSA_10device_ptrIyEEEEPS6_NSA_18transform_iteratorI7is_evenIyESF_NSA_11use_defaultESK_EENS0_5tupleIJSF_SF_EEENSM_IJSG_SG_EEES6_PlJS6_EEE10hipError_tPvRmT3_T4_T5_T6_T7_T9_mT8_P12ihipStream_tbDpT10_ENKUlT_T0_E_clISt17integral_constantIbLb1EES18_IbLb0EEEEDaS14_S15_EUlS14_E_NS1_11comp_targetILNS1_3genE5ELNS1_11target_archE942ELNS1_3gpuE9ELNS1_3repE0EEENS1_30default_config_static_selectorELNS0_4arch9wavefront6targetE1EEEvT1_
	.p2align	8
	.type	_ZN7rocprim17ROCPRIM_400000_NS6detail17trampoline_kernelINS0_14default_configENS1_25partition_config_selectorILNS1_17partition_subalgoE1EyNS0_10empty_typeEbEEZZNS1_14partition_implILS5_1ELb0ES3_jN6thrust23THRUST_200600_302600_NS6detail15normal_iteratorINSA_10device_ptrIyEEEEPS6_NSA_18transform_iteratorI7is_evenIyESF_NSA_11use_defaultESK_EENS0_5tupleIJSF_SF_EEENSM_IJSG_SG_EEES6_PlJS6_EEE10hipError_tPvRmT3_T4_T5_T6_T7_T9_mT8_P12ihipStream_tbDpT10_ENKUlT_T0_E_clISt17integral_constantIbLb1EES18_IbLb0EEEEDaS14_S15_EUlS14_E_NS1_11comp_targetILNS1_3genE5ELNS1_11target_archE942ELNS1_3gpuE9ELNS1_3repE0EEENS1_30default_config_static_selectorELNS0_4arch9wavefront6targetE1EEEvT1_,@function
_ZN7rocprim17ROCPRIM_400000_NS6detail17trampoline_kernelINS0_14default_configENS1_25partition_config_selectorILNS1_17partition_subalgoE1EyNS0_10empty_typeEbEEZZNS1_14partition_implILS5_1ELb0ES3_jN6thrust23THRUST_200600_302600_NS6detail15normal_iteratorINSA_10device_ptrIyEEEEPS6_NSA_18transform_iteratorI7is_evenIyESF_NSA_11use_defaultESK_EENS0_5tupleIJSF_SF_EEENSM_IJSG_SG_EEES6_PlJS6_EEE10hipError_tPvRmT3_T4_T5_T6_T7_T9_mT8_P12ihipStream_tbDpT10_ENKUlT_T0_E_clISt17integral_constantIbLb1EES18_IbLb0EEEEDaS14_S15_EUlS14_E_NS1_11comp_targetILNS1_3genE5ELNS1_11target_archE942ELNS1_3gpuE9ELNS1_3repE0EEENS1_30default_config_static_selectorELNS0_4arch9wavefront6targetE1EEEvT1_: ; @_ZN7rocprim17ROCPRIM_400000_NS6detail17trampoline_kernelINS0_14default_configENS1_25partition_config_selectorILNS1_17partition_subalgoE1EyNS0_10empty_typeEbEEZZNS1_14partition_implILS5_1ELb0ES3_jN6thrust23THRUST_200600_302600_NS6detail15normal_iteratorINSA_10device_ptrIyEEEEPS6_NSA_18transform_iteratorI7is_evenIyESF_NSA_11use_defaultESK_EENS0_5tupleIJSF_SF_EEENSM_IJSG_SG_EEES6_PlJS6_EEE10hipError_tPvRmT3_T4_T5_T6_T7_T9_mT8_P12ihipStream_tbDpT10_ENKUlT_T0_E_clISt17integral_constantIbLb1EES18_IbLb0EEEEDaS14_S15_EUlS14_E_NS1_11comp_targetILNS1_3genE5ELNS1_11target_archE942ELNS1_3gpuE9ELNS1_3repE0EEENS1_30default_config_static_selectorELNS0_4arch9wavefront6targetE1EEEvT1_
; %bb.0:
	s_load_dwordx2 s[4:5], s[0:1], 0x60
	s_load_dwordx4 s[24:27], s[0:1], 0x8
	s_load_dwordx2 s[6:7], s[0:1], 0x20
	s_load_dwordx4 s[20:23], s[0:1], 0x50
	s_load_dword s3, s[0:1], 0x78
	s_waitcnt lgkmcnt(0)
	v_mov_b32_e32 v3, s5
	s_lshl_b64 s[8:9], s[26:27], 3
	s_add_u32 s12, s24, s8
	s_addc_u32 s13, s25, s9
	s_add_i32 s14, s3, -1
	s_mulk_i32 s3, 0xe00
	s_add_i32 s5, s3, s26
	s_sub_i32 s33, s4, s5
	s_addk_i32 s33, 0xe00
	v_mov_b32_e32 v2, s4
	s_add_u32 s4, s26, s3
	s_addc_u32 s5, s27, 0
	s_cmp_eq_u32 s2, s14
	s_load_dwordx2 s[28:29], s[22:23], 0x0
	s_cselect_b64 s[22:23], -1, 0
	s_cmp_lg_u32 s2, s14
	s_mul_i32 s10, s2, 0xe00
	s_mov_b32 s11, 0
	v_cmp_lt_u64_e32 vcc, s[4:5], v[2:3]
	s_cselect_b64 s[4:5], -1, 0
	s_or_b64 s[24:25], s[4:5], vcc
	s_lshl_b64 s[30:31], s[10:11], 3
	s_add_u32 s10, s12, s30
	s_addc_u32 s11, s13, s31
	s_mov_b64 s[4:5], -1
	s_and_b64 vcc, exec, s[24:25]
	v_lshlrev_b32_e32 v18, 3, v0
	s_cbranch_vccz .LBB2220_2
; %bb.1:
	v_mov_b32_e32 v19, 0
	v_lshl_add_u64 v[2:3], s[10:11], 0, v[18:19]
	v_add_co_u32_e32 v4, vcc, 0x1000, v2
	s_mov_b64 s[4:5], 0
	s_nop 0
	v_addc_co_u32_e32 v5, vcc, 0, v3, vcc
	v_add_co_u32_e32 v6, vcc, 0x2000, v2
	s_nop 1
	v_addc_co_u32_e32 v7, vcc, 0, v3, vcc
	v_add_co_u32_e32 v8, vcc, 0x3000, v2
	s_nop 1
	v_addc_co_u32_e32 v9, vcc, 0, v3, vcc
	flat_load_dwordx2 v[10:11], v[2:3]
	flat_load_dwordx2 v[12:13], v[4:5]
	;; [unrolled: 1-line block ×4, first 2 shown]
	v_add_co_u32_e32 v4, vcc, 0x4000, v2
	s_nop 1
	v_addc_co_u32_e32 v5, vcc, 0, v3, vcc
	v_add_co_u32_e32 v6, vcc, 0x5000, v2
	s_nop 1
	v_addc_co_u32_e32 v7, vcc, 0, v3, vcc
	;; [unrolled: 3-line block ×3, first 2 shown]
	flat_load_dwordx2 v[8:9], v[4:5]
	flat_load_dwordx2 v[20:21], v[6:7]
	;; [unrolled: 1-line block ×3, first 2 shown]
	s_waitcnt vmcnt(0) lgkmcnt(0)
	ds_write2st64_b64 v18, v[10:11], v[12:13] offset1:8
	ds_write2st64_b64 v18, v[14:15], v[16:17] offset0:16 offset1:24
	ds_write2st64_b64 v18, v[8:9], v[20:21] offset0:32 offset1:40
	ds_write_b64 v18, v[22:23] offset:24576
	s_waitcnt lgkmcnt(0)
	s_barrier
.LBB2220_2:
	s_andn2_b64 vcc, exec, s[4:5]
	v_cmp_gt_u32_e64 s[4:5], s33, v0
	s_cbranch_vccnz .LBB2220_18
; %bb.3:
                                        ; implicit-def: $vgpr2_vgpr3_vgpr4_vgpr5_vgpr6_vgpr7_vgpr8_vgpr9_vgpr10_vgpr11_vgpr12_vgpr13_vgpr14_vgpr15_vgpr16_vgpr17
	s_and_saveexec_b64 s[12:13], s[4:5]
	s_cbranch_execz .LBB2220_5
; %bb.4:
	v_mov_b32_e32 v19, 0
	v_lshl_add_u64 v[2:3], s[10:11], 0, v[18:19]
	flat_load_dwordx2 v[2:3], v[2:3]
.LBB2220_5:
	s_or_b64 exec, exec, s[12:13]
	v_or_b32_e32 v1, 0x200, v0
	v_cmp_gt_u32_e32 vcc, s33, v1
	s_and_saveexec_b64 s[4:5], vcc
	s_cbranch_execz .LBB2220_7
; %bb.6:
	v_lshlrev_b32_e32 v4, 3, v1
	v_mov_b32_e32 v5, 0
	v_lshl_add_u64 v[4:5], s[10:11], 0, v[4:5]
	flat_load_dwordx2 v[4:5], v[4:5]
.LBB2220_7:
	s_or_b64 exec, exec, s[4:5]
	v_or_b32_e32 v1, 0x400, v0
	v_cmp_gt_u32_e32 vcc, s33, v1
	s_and_saveexec_b64 s[4:5], vcc
	s_cbranch_execz .LBB2220_9
; %bb.8:
	v_lshlrev_b32_e32 v6, 3, v1
	v_mov_b32_e32 v7, 0
	v_lshl_add_u64 v[6:7], s[10:11], 0, v[6:7]
	flat_load_dwordx2 v[6:7], v[6:7]
.LBB2220_9:
	;; [unrolled: 11-line block ×6, first 2 shown]
	s_or_b64 exec, exec, s[4:5]
	s_waitcnt vmcnt(0) lgkmcnt(0)
	ds_write2st64_b64 v18, v[2:3], v[4:5] offset1:8
	ds_write2st64_b64 v18, v[6:7], v[8:9] offset0:16 offset1:24
	ds_write2st64_b64 v18, v[10:11], v[12:13] offset0:32 offset1:40
	ds_write_b64 v18, v[14:15] offset:24576
	s_waitcnt lgkmcnt(0)
	s_barrier
.LBB2220_18:
	v_mul_u32_u24_e32 v1, 7, v0
	v_lshlrev_b32_e32 v16, 3, v1
	s_waitcnt lgkmcnt(0)
	ds_read2_b64 v[10:13], v16 offset1:1
	ds_read2_b64 v[6:9], v16 offset0:2 offset1:3
	ds_read2_b64 v[2:5], v16 offset0:4 offset1:5
	ds_read_b64 v[14:15], v16 offset:48
	s_add_u32 s3, s6, s8
	s_addc_u32 s5, s7, s9
	s_add_u32 s4, s3, s30
	s_addc_u32 s5, s5, s31
	s_mov_b64 s[6:7], -1
	s_and_b64 vcc, exec, s[24:25]
	s_waitcnt lgkmcnt(0)
	s_barrier
	s_cbranch_vccz .LBB2220_20
; %bb.19:
	v_mov_b32_e32 v19, 0
	v_lshl_add_u64 v[20:21], s[4:5], 0, v[18:19]
	v_add_co_u32_e32 v24, vcc, 0x1000, v20
	global_load_dwordx2 v[22:23], v18, s[4:5]
	s_nop 0
	v_addc_co_u32_e32 v25, vcc, 0, v21, vcc
	v_add_co_u32_e32 v26, vcc, 0x2000, v20
	s_mov_b64 s[6:7], 0
	s_nop 0
	v_addc_co_u32_e32 v27, vcc, 0, v21, vcc
	v_add_co_u32_e32 v28, vcc, 0x3000, v20
	s_waitcnt vmcnt(0)
	v_xor_b32_e32 v17, -1, v22
	v_addc_co_u32_e32 v29, vcc, 0, v21, vcc
	v_add_co_u32_e32 v30, vcc, 0x4000, v20
	v_and_b32_e32 v17, 1, v17
	s_nop 0
	v_addc_co_u32_e32 v31, vcc, 0, v21, vcc
	global_load_dwordx2 v[32:33], v[24:25], off
	global_load_dwordx2 v[34:35], v[26:27], off
	;; [unrolled: 1-line block ×4, first 2 shown]
	v_add_co_u32_e32 v24, vcc, 0x5000, v20
	ds_write_b8 v0, v17
	s_nop 0
	v_addc_co_u32_e32 v25, vcc, 0, v21, vcc
	v_add_co_u32_e32 v20, vcc, 0x6000, v20
	global_load_dwordx2 v[24:25], v[24:25], off
	s_nop 0
	v_addc_co_u32_e32 v21, vcc, 0, v21, vcc
	global_load_dwordx2 v[20:21], v[20:21], off
	s_waitcnt vmcnt(5)
	v_xor_b32_e32 v17, -1, v32
	v_and_b32_e32 v17, 1, v17
	s_waitcnt vmcnt(4)
	v_xor_b32_e32 v19, -1, v34
	s_waitcnt vmcnt(0)
	v_xor_b32_e32 v21, -1, v36
	v_and_b32_e32 v19, 1, v19
	ds_write_b8 v0, v17 offset:512
	v_and_b32_e32 v17, 1, v21
	v_xor_b32_e32 v21, -1, v38
	ds_write_b8 v0, v19 offset:1024
	v_and_b32_e32 v19, 1, v21
	ds_write_b8 v0, v17 offset:1536
	v_xor_b32_e32 v21, -1, v24
	v_and_b32_e32 v17, 1, v21
	ds_write_b8 v0, v19 offset:2048
	v_xor_b32_e32 v20, -1, v20
	v_and_b32_e32 v19, 1, v20
	ds_write_b8 v0, v17 offset:2560
	ds_write_b8 v0, v19 offset:3072
	s_waitcnt lgkmcnt(0)
	s_barrier
.LBB2220_20:
	s_load_dwordx2 s[34:35], s[0:1], 0x70
	s_andn2_b64 vcc, exec, s[6:7]
	s_cbranch_vccnz .LBB2220_36
; %bb.21:
	v_cmp_gt_u32_e32 vcc, s33, v0
	v_mov_b32_e32 v17, 0
	v_mov_b32_e32 v19, 0
	s_and_saveexec_b64 s[6:7], vcc
	s_cbranch_execz .LBB2220_23
; %bb.22:
	global_load_dwordx2 v[20:21], v18, s[4:5]
	s_waitcnt vmcnt(0)
	v_xor_b32_e32 v19, -1, v20
	v_and_b32_e32 v19, 1, v19
.LBB2220_23:
	s_or_b64 exec, exec, s[6:7]
	v_or_b32_e32 v20, 0x200, v0
	v_cmp_gt_u32_e32 vcc, s33, v20
	s_and_saveexec_b64 s[6:7], vcc
	s_cbranch_execz .LBB2220_25
; %bb.24:
	v_lshlrev_b32_e32 v17, 3, v20
	global_load_dwordx2 v[20:21], v17, s[4:5]
	s_waitcnt vmcnt(0)
	v_xor_b32_e32 v17, -1, v20
	v_and_b32_e32 v17, 1, v17
.LBB2220_25:
	s_or_b64 exec, exec, s[6:7]
	v_or_b32_e32 v22, 0x400, v0
	v_cmp_gt_u32_e32 vcc, s33, v22
	v_mov_b32_e32 v20, 0
	v_mov_b32_e32 v21, 0
	s_and_saveexec_b64 s[6:7], vcc
	s_cbranch_execz .LBB2220_27
; %bb.26:
	v_lshlrev_b32_e32 v21, 3, v22
	global_load_dwordx2 v[22:23], v21, s[4:5]
	s_waitcnt vmcnt(0)
	v_xor_b32_e32 v21, -1, v22
	v_and_b32_e32 v21, 1, v21
.LBB2220_27:
	s_or_b64 exec, exec, s[6:7]
	v_or_b32_e32 v22, 0x600, v0
	v_cmp_gt_u32_e32 vcc, s33, v22
	s_and_saveexec_b64 s[6:7], vcc
	s_cbranch_execz .LBB2220_29
; %bb.28:
	v_lshlrev_b32_e32 v20, 3, v22
	global_load_dwordx2 v[22:23], v20, s[4:5]
	s_waitcnt vmcnt(0)
	v_xor_b32_e32 v20, -1, v22
	v_and_b32_e32 v20, 1, v20
.LBB2220_29:
	s_or_b64 exec, exec, s[6:7]
	v_or_b32_e32 v24, 0x800, v0
	v_cmp_gt_u32_e32 vcc, s33, v24
	v_mov_b32_e32 v22, 0
	v_mov_b32_e32 v23, 0
	s_and_saveexec_b64 s[6:7], vcc
	s_cbranch_execz .LBB2220_31
; %bb.30:
	v_lshlrev_b32_e32 v23, 3, v24
	global_load_dwordx2 v[24:25], v23, s[4:5]
	s_waitcnt vmcnt(0)
	v_xor_b32_e32 v23, -1, v24
	v_and_b32_e32 v23, 1, v23
.LBB2220_31:
	s_or_b64 exec, exec, s[6:7]
	v_or_b32_e32 v24, 0xa00, v0
	v_cmp_gt_u32_e32 vcc, s33, v24
	s_and_saveexec_b64 s[6:7], vcc
	s_cbranch_execz .LBB2220_33
; %bb.32:
	v_lshlrev_b32_e32 v22, 3, v24
	global_load_dwordx2 v[24:25], v22, s[4:5]
	s_waitcnt vmcnt(0)
	v_xor_b32_e32 v22, -1, v24
	v_and_b32_e32 v22, 1, v22
.LBB2220_33:
	s_or_b64 exec, exec, s[6:7]
	v_or_b32_e32 v25, 0xc00, v0
	v_cmp_gt_u32_e32 vcc, s33, v25
	v_mov_b32_e32 v24, 0
	s_and_saveexec_b64 s[6:7], vcc
	s_cbranch_execz .LBB2220_35
; %bb.34:
	v_lshlrev_b32_e32 v24, 3, v25
	global_load_dwordx2 v[24:25], v24, s[4:5]
	s_waitcnt vmcnt(0)
	v_xor_b32_e32 v24, -1, v24
	v_and_b32_e32 v24, 1, v24
.LBB2220_35:
	s_or_b64 exec, exec, s[6:7]
	ds_write_b8 v0, v19
	ds_write_b8 v0, v17 offset:512
	ds_write_b8 v0, v21 offset:1024
	;; [unrolled: 1-line block ×6, first 2 shown]
	s_waitcnt lgkmcnt(0)
	s_barrier
.LBB2220_36:
	s_movk_i32 s3, 0xffcf
	v_mad_i32_i24 v35, v0, s3, v16
	s_waitcnt lgkmcnt(0)
	ds_read_u8 v16, v35
	ds_read_u8 v17, v35 offset:1
	ds_read_u8 v19, v35 offset:2
	;; [unrolled: 1-line block ×6, first 2 shown]
	s_waitcnt lgkmcnt(6)
	v_and_b32_e32 v33, 1, v16
	s_waitcnt lgkmcnt(5)
	v_and_b32_e32 v32, 1, v17
	;; [unrolled: 2-line block ×5, first 2 shown]
	v_add3_u32 v16, v32, v33, v31
	s_waitcnt lgkmcnt(1)
	v_and_b32_e32 v28, 1, v22
	s_waitcnt lgkmcnt(0)
	v_and_b32_e32 v19, 1, v23
	v_add3_u32 v16, v16, v30, v29
	v_add3_u32 v37, v16, v28, v19
	v_mbcnt_lo_u32_b32 v16, -1, 0
	v_mbcnt_hi_u32_b32 v34, -1, v16
	v_and_b32_e32 v16, 15, v34
	v_cmp_eq_u32_e64 s[14:15], 0, v16
	v_cmp_lt_u32_e64 s[12:13], 1, v16
	v_cmp_lt_u32_e64 s[10:11], 3, v16
	v_cmp_lt_u32_e64 s[8:9], 7, v16
	v_and_b32_e32 v16, 16, v34
	v_cmp_eq_u32_e64 s[6:7], 0, v16
	v_or_b32_e32 v16, 63, v0
	s_cmp_lg_u32 s2, 0
	v_cmp_lt_u32_e64 s[18:19], 31, v34
	v_lshrrev_b32_e32 v36, 6, v0
	v_cmp_eq_u32_e64 s[4:5], v16, v0
	s_barrier
	s_cbranch_scc0 .LBB2220_67
; %bb.37:
	v_mov_b32_dpp v16, v37 row_shr:1 row_mask:0xf bank_mask:0xf
	v_cndmask_b32_e64 v16, v16, 0, s[14:15]
	v_add_u32_e32 v16, v16, v37
	s_nop 1
	v_mov_b32_dpp v17, v16 row_shr:2 row_mask:0xf bank_mask:0xf
	v_cndmask_b32_e64 v17, 0, v17, s[12:13]
	v_add_u32_e32 v16, v16, v17
	s_nop 1
	;; [unrolled: 4-line block ×4, first 2 shown]
	v_mov_b32_dpp v17, v16 row_bcast:15 row_mask:0xf bank_mask:0xf
	v_cndmask_b32_e64 v17, v17, 0, s[6:7]
	v_add_u32_e32 v16, v16, v17
	s_nop 1
	v_mov_b32_dpp v17, v16 row_bcast:31 row_mask:0xf bank_mask:0xf
	v_cndmask_b32_e64 v17, 0, v17, s[18:19]
	v_add_u32_e32 v16, v16, v17
	s_and_saveexec_b64 s[16:17], s[4:5]
	s_cbranch_execz .LBB2220_39
; %bb.38:
	v_lshlrev_b32_e32 v17, 2, v36
	ds_write_b32 v17, v16
.LBB2220_39:
	s_or_b64 exec, exec, s[16:17]
	v_cmp_gt_u32_e32 vcc, 8, v0
	s_waitcnt lgkmcnt(0)
	s_barrier
	s_and_saveexec_b64 s[16:17], vcc
	s_cbranch_execz .LBB2220_41
; %bb.40:
	v_lshlrev_b32_e32 v17, 2, v0
	ds_read_b32 v20, v17
	v_and_b32_e32 v21, 7, v34
	v_cmp_ne_u32_e32 vcc, 0, v21
	s_waitcnt lgkmcnt(0)
	v_mov_b32_dpp v22, v20 row_shr:1 row_mask:0xf bank_mask:0xf
	v_cndmask_b32_e32 v22, 0, v22, vcc
	v_add_u32_e32 v20, v22, v20
	v_cmp_lt_u32_e32 vcc, 1, v21
	s_nop 0
	v_mov_b32_dpp v22, v20 row_shr:2 row_mask:0xf bank_mask:0xf
	v_cndmask_b32_e32 v22, 0, v22, vcc
	v_add_u32_e32 v20, v20, v22
	v_cmp_lt_u32_e32 vcc, 3, v21
	s_nop 0
	v_mov_b32_dpp v22, v20 row_shr:4 row_mask:0xf bank_mask:0xf
	v_cndmask_b32_e32 v21, 0, v22, vcc
	v_add_u32_e32 v20, v20, v21
	ds_write_b32 v17, v20
.LBB2220_41:
	s_or_b64 exec, exec, s[16:17]
	v_cmp_gt_u32_e32 vcc, 64, v0
	v_cmp_lt_u32_e64 s[16:17], 63, v0
	s_waitcnt lgkmcnt(0)
	s_barrier
	s_waitcnt lgkmcnt(0)
                                        ; implicit-def: $vgpr38
	s_and_saveexec_b64 s[36:37], s[16:17]
	s_cbranch_execz .LBB2220_43
; %bb.42:
	v_lshl_add_u32 v17, v36, 2, -4
	ds_read_b32 v38, v17
	s_waitcnt lgkmcnt(0)
	v_add_u32_e32 v16, v38, v16
.LBB2220_43:
	s_or_b64 exec, exec, s[36:37]
	v_add_u32_e32 v17, -1, v34
	v_and_b32_e32 v20, 64, v34
	v_cmp_lt_i32_e64 s[16:17], v17, v20
	s_nop 1
	v_cndmask_b32_e64 v17, v17, v34, s[16:17]
	v_lshlrev_b32_e32 v17, 2, v17
	ds_bpermute_b32 v39, v17, v16
	v_cmp_eq_u32_e64 s[16:17], 0, v34
	s_and_saveexec_b64 s[36:37], vcc
	s_cbranch_execz .LBB2220_66
; %bb.44:
	v_mov_b32_e32 v27, 0
	ds_read_b32 v16, v27 offset:28
	s_and_saveexec_b64 s[38:39], s[16:17]
	s_cbranch_execz .LBB2220_46
; %bb.45:
	s_add_i32 s40, s2, 64
	s_mov_b32 s41, 0
	s_lshl_b64 s[40:41], s[40:41], 3
	s_add_u32 s40, s34, s40
	v_mov_b32_e32 v17, 1
	s_addc_u32 s41, s35, s41
	s_waitcnt lgkmcnt(0)
	global_store_dwordx2 v27, v[16:17], s[40:41] sc1
.LBB2220_46:
	s_or_b64 exec, exec, s[38:39]
	v_xad_u32 v20, v34, -1, s2
	v_add_u32_e32 v26, 64, v20
	v_lshl_add_u64 v[22:23], v[26:27], 3, s[34:35]
	global_load_dwordx2 v[24:25], v[22:23], off sc1
	s_waitcnt vmcnt(0)
	v_cmp_eq_u16_sdwa s[40:41], v25, v27 src0_sel:BYTE_0 src1_sel:DWORD
	s_and_saveexec_b64 s[38:39], s[40:41]
	s_cbranch_execz .LBB2220_52
; %bb.47:
	s_mov_b32 s3, 1
	s_mov_b64 s[40:41], 0
	v_mov_b32_e32 v17, 0
.LBB2220_48:                            ; =>This Loop Header: Depth=1
                                        ;     Child Loop BB2220_49 Depth 2
	s_max_u32 s42, s3, 1
.LBB2220_49:                            ;   Parent Loop BB2220_48 Depth=1
                                        ; =>  This Inner Loop Header: Depth=2
	s_add_i32 s42, s42, -1
	s_cmp_eq_u32 s42, 0
	s_sleep 1
	s_cbranch_scc0 .LBB2220_49
; %bb.50:                               ;   in Loop: Header=BB2220_48 Depth=1
	global_load_dwordx2 v[24:25], v[22:23], off sc1
	s_cmp_lt_u32 s3, 32
	s_cselect_b64 s[42:43], -1, 0
	s_cmp_lg_u64 s[42:43], 0
	s_addc_u32 s3, s3, 0
	s_waitcnt vmcnt(0)
	v_cmp_ne_u16_sdwa s[42:43], v25, v17 src0_sel:BYTE_0 src1_sel:DWORD
	s_or_b64 s[40:41], s[42:43], s[40:41]
	s_andn2_b64 exec, exec, s[40:41]
	s_cbranch_execnz .LBB2220_48
; %bb.51:
	s_or_b64 exec, exec, s[40:41]
.LBB2220_52:
	s_or_b64 exec, exec, s[38:39]
	v_and_b32_e32 v41, 63, v34
	v_mov_b32_e32 v40, 2
	v_cmp_ne_u32_e32 vcc, 63, v41
	v_cmp_eq_u16_sdwa s[38:39], v25, v40 src0_sel:BYTE_0 src1_sel:DWORD
	v_lshlrev_b64 v[22:23], v34, -1
	v_addc_co_u32_e32 v26, vcc, 0, v34, vcc
	v_and_b32_e32 v17, s39, v23
	v_lshlrev_b32_e32 v42, 2, v26
	v_or_b32_e32 v17, 0x80000000, v17
	ds_bpermute_b32 v26, v42, v24
	v_and_b32_e32 v21, s38, v22
	v_ffbl_b32_e32 v17, v17
	v_add_u32_e32 v17, 32, v17
	v_ffbl_b32_e32 v21, v21
	v_min_u32_e32 v17, v21, v17
	v_cmp_lt_u32_e32 vcc, v41, v17
	v_add_u32_e32 v44, 2, v41
	v_add_u32_e32 v46, 4, v41
	s_waitcnt lgkmcnt(0)
	v_cndmask_b32_e32 v21, 0, v26, vcc
	v_cmp_gt_u32_e32 vcc, 62, v41
	v_add_u32_e32 v21, v21, v24
	v_add_u32_e32 v48, 8, v41
	v_cndmask_b32_e64 v24, 0, 1, vcc
	v_lshlrev_b32_e32 v24, 1, v24
	v_add_lshl_u32 v43, v24, v34, 2
	ds_bpermute_b32 v24, v43, v21
	v_cmp_le_u32_e32 vcc, v44, v17
	v_add_u32_e32 v50, 16, v41
	v_add_u32_e32 v52, 32, v41
	s_waitcnt lgkmcnt(0)
	v_cndmask_b32_e32 v24, 0, v24, vcc
	v_cmp_gt_u32_e32 vcc, 60, v41
	v_add_u32_e32 v21, v21, v24
	s_nop 0
	v_cndmask_b32_e64 v24, 0, 1, vcc
	v_lshlrev_b32_e32 v24, 2, v24
	v_add_lshl_u32 v45, v24, v34, 2
	ds_bpermute_b32 v24, v45, v21
	v_cmp_le_u32_e32 vcc, v46, v17
	s_waitcnt lgkmcnt(0)
	s_nop 0
	v_cndmask_b32_e32 v24, 0, v24, vcc
	v_cmp_gt_u32_e32 vcc, 56, v41
	v_add_u32_e32 v21, v21, v24
	s_nop 0
	v_cndmask_b32_e64 v24, 0, 1, vcc
	v_lshlrev_b32_e32 v24, 3, v24
	v_add_lshl_u32 v47, v24, v34, 2
	ds_bpermute_b32 v24, v47, v21
	v_cmp_le_u32_e32 vcc, v48, v17
	s_waitcnt lgkmcnt(0)
	s_nop 0
	;; [unrolled: 11-line block ×4, first 2 shown]
	v_cndmask_b32_e32 v17, 0, v24, vcc
	v_add_u32_e32 v24, v21, v17
	v_mov_b32_e32 v21, 0
	s_branch .LBB2220_54
.LBB2220_53:                            ;   in Loop: Header=BB2220_54 Depth=1
	s_or_b64 exec, exec, s[38:39]
	v_cmp_eq_u16_sdwa s[38:39], v25, v40 src0_sel:BYTE_0 src1_sel:DWORD
	ds_bpermute_b32 v53, v42, v24
	v_subrev_u32_e32 v20, 64, v20
	v_and_b32_e32 v26, s39, v23
	v_or_b32_e32 v26, 0x80000000, v26
	v_and_b32_e32 v27, s38, v22
	v_ffbl_b32_e32 v26, v26
	v_add_u32_e32 v26, 32, v26
	v_ffbl_b32_e32 v27, v27
	v_min_u32_e32 v26, v27, v26
	v_cmp_lt_u32_e32 vcc, v41, v26
	s_waitcnt lgkmcnt(0)
	s_nop 0
	v_cndmask_b32_e32 v27, 0, v53, vcc
	v_add_u32_e32 v24, v27, v24
	ds_bpermute_b32 v27, v43, v24
	v_cmp_le_u32_e32 vcc, v44, v26
	s_waitcnt lgkmcnt(0)
	s_nop 0
	v_cndmask_b32_e32 v27, 0, v27, vcc
	v_add_u32_e32 v24, v24, v27
	ds_bpermute_b32 v27, v45, v24
	v_cmp_le_u32_e32 vcc, v46, v26
	;; [unrolled: 6-line block ×5, first 2 shown]
	s_waitcnt lgkmcnt(0)
	s_nop 0
	v_cndmask_b32_e32 v26, 0, v27, vcc
	v_add3_u32 v24, v26, v17, v24
.LBB2220_54:                            ; =>This Loop Header: Depth=1
                                        ;     Child Loop BB2220_57 Depth 2
                                        ;       Child Loop BB2220_58 Depth 3
	v_cmp_ne_u16_sdwa s[38:39], v25, v40 src0_sel:BYTE_0 src1_sel:DWORD
	s_nop 1
	v_cndmask_b32_e64 v17, 0, 1, s[38:39]
	;;#ASMSTART
	;;#ASMEND
	s_nop 0
	v_cmp_ne_u32_e32 vcc, 0, v17
	s_cmp_lg_u64 vcc, exec
	v_mov_b32_e32 v17, v24
	s_cbranch_scc1 .LBB2220_61
; %bb.55:                               ;   in Loop: Header=BB2220_54 Depth=1
	v_lshl_add_u64 v[26:27], v[20:21], 3, s[34:35]
	global_load_dwordx2 v[24:25], v[26:27], off sc1
	s_waitcnt vmcnt(0)
	v_cmp_eq_u16_sdwa s[40:41], v25, v21 src0_sel:BYTE_0 src1_sel:DWORD
	s_and_saveexec_b64 s[38:39], s[40:41]
	s_cbranch_execz .LBB2220_53
; %bb.56:                               ;   in Loop: Header=BB2220_54 Depth=1
	s_mov_b32 s3, 1
	s_mov_b64 s[40:41], 0
.LBB2220_57:                            ;   Parent Loop BB2220_54 Depth=1
                                        ; =>  This Loop Header: Depth=2
                                        ;       Child Loop BB2220_58 Depth 3
	s_max_u32 s42, s3, 1
.LBB2220_58:                            ;   Parent Loop BB2220_54 Depth=1
                                        ;     Parent Loop BB2220_57 Depth=2
                                        ; =>    This Inner Loop Header: Depth=3
	s_add_i32 s42, s42, -1
	s_cmp_eq_u32 s42, 0
	s_sleep 1
	s_cbranch_scc0 .LBB2220_58
; %bb.59:                               ;   in Loop: Header=BB2220_57 Depth=2
	global_load_dwordx2 v[24:25], v[26:27], off sc1
	s_cmp_lt_u32 s3, 32
	s_cselect_b64 s[42:43], -1, 0
	s_cmp_lg_u64 s[42:43], 0
	s_addc_u32 s3, s3, 0
	s_waitcnt vmcnt(0)
	v_cmp_ne_u16_sdwa s[42:43], v25, v21 src0_sel:BYTE_0 src1_sel:DWORD
	s_or_b64 s[40:41], s[42:43], s[40:41]
	s_andn2_b64 exec, exec, s[40:41]
	s_cbranch_execnz .LBB2220_57
; %bb.60:                               ;   in Loop: Header=BB2220_54 Depth=1
	s_or_b64 exec, exec, s[40:41]
	s_branch .LBB2220_53
.LBB2220_61:                            ;   in Loop: Header=BB2220_54 Depth=1
                                        ; implicit-def: $vgpr24
                                        ; implicit-def: $vgpr25
	s_cbranch_execz .LBB2220_54
; %bb.62:
	s_and_saveexec_b64 s[38:39], s[16:17]
	s_cbranch_execz .LBB2220_64
; %bb.63:
	s_add_i32 s2, s2, 64
	s_mov_b32 s3, 0
	s_lshl_b64 s[2:3], s[2:3], 3
	s_add_u32 s2, s34, s2
	v_add_u32_e32 v20, v17, v16
	v_mov_b32_e32 v21, 2
	s_addc_u32 s3, s35, s3
	v_mov_b32_e32 v22, 0
	global_store_dwordx2 v22, v[20:21], s[2:3] sc1
	ds_write_b64 v22, v[16:17] offset:28672
.LBB2220_64:
	s_or_b64 exec, exec, s[38:39]
	v_cmp_eq_u32_e32 vcc, 0, v0
	s_and_b64 exec, exec, vcc
	s_cbranch_execz .LBB2220_66
; %bb.65:
	v_mov_b32_e32 v16, 0
	ds_write_b32 v16, v17 offset:28
.LBB2220_66:
	s_or_b64 exec, exec, s[36:37]
	v_mov_b32_e32 v16, 0
	s_waitcnt lgkmcnt(0)
	s_barrier
	ds_read_b32 v17, v16 offset:28
	v_cndmask_b32_e64 v20, v39, v38, s[16:17]
	v_cmp_ne_u32_e32 vcc, 0, v0
	s_waitcnt lgkmcnt(0)
	s_barrier
	v_cndmask_b32_e32 v20, 0, v20, vcc
	v_add_u32_e32 v27, v17, v20
	v_add_u32_e32 v26, v27, v33
	ds_read_b64 v[16:17], v16 offset:28672
	v_add_u32_e32 v25, v26, v32
	v_add_u32_e32 v23, v25, v31
	;; [unrolled: 1-line block ×5, first 2 shown]
	s_waitcnt lgkmcnt(0)
	v_mov_b32_e32 v20, v17
	s_branch .LBB2220_77
.LBB2220_67:
                                        ; implicit-def: $vgpr20
                                        ; implicit-def: $vgpr16
                                        ; implicit-def: $vgpr21
                                        ; implicit-def: $vgpr22
                                        ; implicit-def: $vgpr24
                                        ; implicit-def: $vgpr23
                                        ; implicit-def: $vgpr25
                                        ; implicit-def: $vgpr26
                                        ; implicit-def: $vgpr27
	s_cbranch_execz .LBB2220_77
; %bb.68:
	s_nop 0
	v_mov_b32_dpp v16, v37 row_shr:1 row_mask:0xf bank_mask:0xf
	v_cndmask_b32_e64 v16, v16, 0, s[14:15]
	v_add_u32_e32 v16, v16, v37
	s_nop 1
	v_mov_b32_dpp v17, v16 row_shr:2 row_mask:0xf bank_mask:0xf
	v_cndmask_b32_e64 v17, 0, v17, s[12:13]
	v_add_u32_e32 v16, v16, v17
	s_nop 1
	v_mov_b32_dpp v17, v16 row_shr:4 row_mask:0xf bank_mask:0xf
	v_cndmask_b32_e64 v17, 0, v17, s[10:11]
	v_add_u32_e32 v16, v16, v17
	s_nop 1
	v_mov_b32_dpp v17, v16 row_shr:8 row_mask:0xf bank_mask:0xf
	v_cndmask_b32_e64 v17, 0, v17, s[8:9]
	v_add_u32_e32 v16, v16, v17
	s_nop 1
	v_mov_b32_dpp v17, v16 row_bcast:15 row_mask:0xf bank_mask:0xf
	v_cndmask_b32_e64 v17, v17, 0, s[6:7]
	v_add_u32_e32 v16, v16, v17
	s_nop 1
	v_mov_b32_dpp v17, v16 row_bcast:31 row_mask:0xf bank_mask:0xf
	v_cndmask_b32_e64 v17, 0, v17, s[18:19]
	v_add_u32_e32 v16, v16, v17
	s_and_saveexec_b64 s[2:3], s[4:5]
	s_cbranch_execz .LBB2220_70
; %bb.69:
	v_lshlrev_b32_e32 v17, 2, v36
	ds_write_b32 v17, v16
.LBB2220_70:
	s_or_b64 exec, exec, s[2:3]
	v_cmp_gt_u32_e32 vcc, 8, v0
	s_waitcnt lgkmcnt(0)
	s_barrier
	s_and_saveexec_b64 s[2:3], vcc
	s_cbranch_execz .LBB2220_72
; %bb.71:
	v_mad_i32_i24 v17, v0, -3, v35
	ds_read_b32 v20, v17
	v_and_b32_e32 v21, 7, v34
	v_cmp_ne_u32_e32 vcc, 0, v21
	s_waitcnt lgkmcnt(0)
	v_mov_b32_dpp v22, v20 row_shr:1 row_mask:0xf bank_mask:0xf
	v_cndmask_b32_e32 v22, 0, v22, vcc
	v_add_u32_e32 v20, v22, v20
	v_cmp_lt_u32_e32 vcc, 1, v21
	s_nop 0
	v_mov_b32_dpp v22, v20 row_shr:2 row_mask:0xf bank_mask:0xf
	v_cndmask_b32_e32 v22, 0, v22, vcc
	v_add_u32_e32 v20, v20, v22
	v_cmp_lt_u32_e32 vcc, 3, v21
	s_nop 0
	v_mov_b32_dpp v22, v20 row_shr:4 row_mask:0xf bank_mask:0xf
	v_cndmask_b32_e32 v21, 0, v22, vcc
	v_add_u32_e32 v20, v20, v21
	ds_write_b32 v17, v20
.LBB2220_72:
	s_or_b64 exec, exec, s[2:3]
	v_cmp_lt_u32_e32 vcc, 63, v0
	v_mov_b32_e32 v17, 0
	v_mov_b32_e32 v20, 0
	s_waitcnt lgkmcnt(0)
	s_barrier
	s_and_saveexec_b64 s[2:3], vcc
	s_cbranch_execz .LBB2220_74
; %bb.73:
	v_lshl_add_u32 v20, v36, 2, -4
	ds_read_b32 v20, v20
.LBB2220_74:
	s_or_b64 exec, exec, s[2:3]
	v_add_u32_e32 v21, -1, v34
	v_and_b32_e32 v22, 64, v34
	v_cmp_lt_i32_e32 vcc, v21, v22
	s_waitcnt lgkmcnt(0)
	v_add_u32_e32 v16, v20, v16
	v_cndmask_b32_e32 v21, v21, v34, vcc
	v_lshlrev_b32_e32 v21, 2, v21
	ds_bpermute_b32 v21, v21, v16
	ds_read_b32 v16, v17 offset:28
	v_cmp_eq_u32_e32 vcc, 0, v0
	s_and_saveexec_b64 s[2:3], vcc
	s_cbranch_execz .LBB2220_76
; %bb.75:
	v_mov_b32_e32 v22, 0
	v_mov_b32_e32 v17, 2
	s_waitcnt lgkmcnt(0)
	global_store_dwordx2 v22, v[16:17], s[34:35] offset:512 sc1
.LBB2220_76:
	s_or_b64 exec, exec, s[2:3]
	v_cmp_eq_u32_e64 s[2:3], 0, v34
	s_waitcnt lgkmcnt(0)
	s_barrier
	v_cndmask_b32_e64 v17, v21, v20, s[2:3]
	v_cndmask_b32_e64 v27, v17, 0, vcc
	v_add_u32_e32 v26, v27, v33
	v_add_u32_e32 v25, v26, v32
	;; [unrolled: 1-line block ×5, first 2 shown]
	v_mov_b32_e32 v20, 0
	v_add_u32_e32 v21, v22, v28
.LBB2220_77:
	v_add_u32_e32 v1, v16, v1
	v_sub_u32_e32 v17, v27, v20
	v_sub_u32_e32 v27, v1, v17
	v_cmp_eq_u32_e32 vcc, 1, v33
	s_load_dwordx4 s[0:3], s[0:1], 0x30
	s_nop 0
	v_cndmask_b32_e32 v17, v27, v17, vcc
	v_lshlrev_b32_e32 v17, 3, v17
	ds_write_b64 v17, v[10:11]
	v_sub_u32_e32 v10, v26, v20
	v_sub_u32_e32 v11, v1, v10
	v_add_u32_e32 v11, 1, v11
	v_cmp_eq_u32_e32 vcc, 1, v32
	v_or_b32_e32 v32, 0x200, v0
	s_nop 0
	v_cndmask_b32_e32 v10, v11, v10, vcc
	v_lshlrev_b32_e32 v10, 3, v10
	ds_write_b64 v10, v[12:13]
	v_sub_u32_e32 v10, v25, v20
	v_sub_u32_e32 v11, v1, v10
	v_add_u32_e32 v11, 2, v11
	v_cmp_eq_u32_e32 vcc, 1, v31
	v_or_b32_e32 v31, 0x400, v0
	;; [unrolled: 9-line block ×5, first 2 shown]
	s_nop 0
	v_cndmask_b32_e32 v2, v3, v2, vcc
	v_lshlrev_b32_e32 v2, 3, v2
	ds_write_b64 v2, v[4:5]
	v_sub_u32_e32 v2, v21, v20
	v_sub_u32_e32 v1, v1, v2
	v_add_u32_e32 v1, 6, v1
	v_cmp_eq_u32_e32 vcc, 1, v19
	v_mov_b32_e32 v21, 0
	v_lshl_add_u64 v[26:27], s[28:29], 0, v[20:21]
	v_cndmask_b32_e32 v1, v1, v2, vcc
	v_lshlrev_b32_e32 v1, 3, v1
	v_mov_b32_e32 v17, v21
	ds_write_b64 v1, v[14:15]
	v_lshl_add_u64 v[14:15], v[26:27], 0, v[16:17]
	s_waitcnt lgkmcnt(0)
	s_barrier
	ds_read2st64_b64 v[10:13], v18 offset1:8
	ds_read2st64_b64 v[6:9], v18 offset0:16 offset1:24
	ds_read2st64_b64 v[2:5], v18 offset0:32 offset1:40
	ds_read_b64 v[22:23], v18 offset:24576
	v_mov_b32_e32 v17, s27
	v_sub_co_u32_e32 v24, vcc, s26, v14
	v_lshlrev_b64 v[26:27], 3, v[26:27]
	s_nop 0
	v_subb_co_u32_e32 v25, vcc, v17, v15, vcc
	v_lshlrev_b64 v[24:25], 3, v[24:25]
	v_lshl_add_u64 v[24:25], s[2:3], 0, v[24:25]
	v_or_b32_e32 v1, 0xc00, v0
	v_lshl_add_u64 v[24:25], v[24:25], 0, s[30:31]
	s_andn2_b64 vcc, exec, s[24:25]
	v_lshl_add_u64 v[26:27], s[0:1], 0, v[26:27]
	s_cbranch_vccnz .LBB2220_79
; %bb.78:
	v_cmp_lt_u32_e32 vcc, v0, v16
	v_mov_b32_e32 v19, v21
	v_lshlrev_b32_e32 v20, 3, v32
	v_cndmask_b32_e32 v35, v25, v27, vcc
	v_cndmask_b32_e32 v34, v24, v26, vcc
	v_lshl_add_u64 v[34:35], v[34:35], 0, v[18:19]
	v_cmp_lt_u32_e32 vcc, v32, v16
	s_waitcnt lgkmcnt(3)
	global_store_dwordx2 v[34:35], v[10:11], off
	v_cndmask_b32_e32 v35, v25, v27, vcc
	v_cndmask_b32_e32 v34, v24, v26, vcc
	v_lshl_add_u64 v[34:35], v[34:35], 0, v[20:21]
	v_cmp_lt_u32_e32 vcc, v31, v16
	global_store_dwordx2 v[34:35], v[12:13], off
	v_lshlrev_b32_e32 v20, 3, v31
	v_cndmask_b32_e32 v35, v25, v27, vcc
	v_cndmask_b32_e32 v34, v24, v26, vcc
	v_lshl_add_u64 v[34:35], v[34:35], 0, v[20:21]
	v_cmp_lt_u32_e32 vcc, v30, v16
	s_waitcnt lgkmcnt(2)
	global_store_dwordx2 v[34:35], v[6:7], off
	v_lshlrev_b32_e32 v20, 3, v30
	v_cndmask_b32_e32 v35, v25, v27, vcc
	v_cndmask_b32_e32 v34, v24, v26, vcc
	v_lshl_add_u64 v[34:35], v[34:35], 0, v[20:21]
	v_cmp_lt_u32_e32 vcc, v29, v16
	global_store_dwordx2 v[34:35], v[8:9], off
	v_lshlrev_b32_e32 v20, 3, v29
	v_cndmask_b32_e32 v35, v25, v27, vcc
	v_cndmask_b32_e32 v34, v24, v26, vcc
	v_lshl_add_u64 v[34:35], v[34:35], 0, v[20:21]
	v_cmp_lt_u32_e32 vcc, v28, v16
	s_waitcnt lgkmcnt(1)
	global_store_dwordx2 v[34:35], v[2:3], off
	v_lshlrev_b32_e32 v20, 3, v28
	v_cndmask_b32_e32 v35, v25, v27, vcc
	v_cndmask_b32_e32 v34, v24, v26, vcc
	v_lshl_add_u64 v[20:21], v[34:35], 0, v[20:21]
	s_mov_b64 s[0:1], -1
	global_store_dwordx2 v[20:21], v[4:5], off
	s_cbranch_execz .LBB2220_80
	s_branch .LBB2220_88
.LBB2220_79:
	s_mov_b64 s[0:1], 0
.LBB2220_80:
	v_cmp_gt_u32_e32 vcc, s33, v0
	s_and_saveexec_b64 s[0:1], vcc
	s_cbranch_execnz .LBB2220_93
; %bb.81:
	s_or_b64 exec, exec, s[0:1]
	v_cmp_gt_u32_e32 vcc, s33, v32
	s_and_saveexec_b64 s[0:1], vcc
	s_cbranch_execnz .LBB2220_94
.LBB2220_82:
	s_or_b64 exec, exec, s[0:1]
	v_cmp_gt_u32_e32 vcc, s33, v31
	s_and_saveexec_b64 s[0:1], vcc
	s_cbranch_execnz .LBB2220_95
.LBB2220_83:
	s_or_b64 exec, exec, s[0:1]
	v_cmp_gt_u32_e32 vcc, s33, v30
	s_and_saveexec_b64 s[0:1], vcc
	s_cbranch_execnz .LBB2220_96
.LBB2220_84:
	s_or_b64 exec, exec, s[0:1]
	v_cmp_gt_u32_e32 vcc, s33, v29
	s_and_saveexec_b64 s[0:1], vcc
	s_cbranch_execnz .LBB2220_97
.LBB2220_85:
	s_or_b64 exec, exec, s[0:1]
	v_cmp_gt_u32_e32 vcc, s33, v28
	s_and_saveexec_b64 s[0:1], vcc
	s_cbranch_execz .LBB2220_87
.LBB2220_86:
	v_cmp_lt_u32_e32 vcc, v28, v16
	s_waitcnt lgkmcnt(2)
	v_lshlrev_b32_e32 v6, 3, v28
	v_mov_b32_e32 v7, 0
	s_waitcnt lgkmcnt(1)
	v_cndmask_b32_e32 v3, v25, v27, vcc
	v_cndmask_b32_e32 v2, v24, v26, vcc
	v_lshl_add_u64 v[2:3], v[2:3], 0, v[6:7]
	global_store_dwordx2 v[2:3], v[4:5], off
.LBB2220_87:
	s_or_b64 exec, exec, s[0:1]
	v_cmp_gt_u32_e64 s[0:1], s33, v1
.LBB2220_88:
	s_and_saveexec_b64 s[2:3], s[0:1]
	s_cbranch_execz .LBB2220_90
; %bb.89:
	v_cmp_lt_u32_e32 vcc, v1, v16
	s_waitcnt lgkmcnt(1)
	v_lshlrev_b32_e32 v4, 3, v1
	v_mov_b32_e32 v5, 0
	v_cndmask_b32_e32 v3, v25, v27, vcc
	v_cndmask_b32_e32 v2, v24, v26, vcc
	v_lshl_add_u64 v[2:3], v[2:3], 0, v[4:5]
	s_waitcnt lgkmcnt(0)
	global_store_dwordx2 v[2:3], v[22:23], off
.LBB2220_90:
	s_or_b64 exec, exec, s[2:3]
	v_cmp_eq_u32_e32 vcc, 0, v0
	s_and_b64 s[0:1], vcc, s[22:23]
	s_and_saveexec_b64 s[2:3], s[0:1]
	s_cbranch_execz .LBB2220_92
; %bb.91:
	v_mov_b32_e32 v0, 0
	global_store_dwordx2 v0, v[14:15], s[20:21]
.LBB2220_92:
	s_endpgm
.LBB2220_93:
	v_cmp_lt_u32_e32 vcc, v0, v16
	v_mov_b32_e32 v19, 0
	s_nop 0
	v_cndmask_b32_e32 v21, v25, v27, vcc
	v_cndmask_b32_e32 v20, v24, v26, vcc
	v_lshl_add_u64 v[18:19], v[20:21], 0, v[18:19]
	s_waitcnt lgkmcnt(3)
	global_store_dwordx2 v[18:19], v[10:11], off
	s_or_b64 exec, exec, s[0:1]
	v_cmp_gt_u32_e32 vcc, s33, v32
	s_and_saveexec_b64 s[0:1], vcc
	s_cbranch_execz .LBB2220_82
.LBB2220_94:
	v_cmp_lt_u32_e32 vcc, v32, v16
	v_lshlrev_b32_e32 v18, 3, v32
	v_mov_b32_e32 v19, 0
	s_waitcnt lgkmcnt(3)
	v_cndmask_b32_e32 v11, v25, v27, vcc
	v_cndmask_b32_e32 v10, v24, v26, vcc
	v_lshl_add_u64 v[10:11], v[10:11], 0, v[18:19]
	global_store_dwordx2 v[10:11], v[12:13], off
	s_or_b64 exec, exec, s[0:1]
	v_cmp_gt_u32_e32 vcc, s33, v31
	s_and_saveexec_b64 s[0:1], vcc
	s_cbranch_execz .LBB2220_83
.LBB2220_95:
	v_cmp_lt_u32_e32 vcc, v31, v16
	s_waitcnt lgkmcnt(3)
	v_lshlrev_b32_e32 v12, 3, v31
	v_mov_b32_e32 v13, 0
	v_cndmask_b32_e32 v11, v25, v27, vcc
	v_cndmask_b32_e32 v10, v24, v26, vcc
	v_lshl_add_u64 v[10:11], v[10:11], 0, v[12:13]
	s_waitcnt lgkmcnt(2)
	global_store_dwordx2 v[10:11], v[6:7], off
	s_or_b64 exec, exec, s[0:1]
	v_cmp_gt_u32_e32 vcc, s33, v30
	s_and_saveexec_b64 s[0:1], vcc
	s_cbranch_execz .LBB2220_84
.LBB2220_96:
	v_cmp_lt_u32_e32 vcc, v30, v16
	s_waitcnt lgkmcnt(3)
	v_lshlrev_b32_e32 v10, 3, v30
	v_mov_b32_e32 v11, 0
	s_waitcnt lgkmcnt(2)
	v_cndmask_b32_e32 v7, v25, v27, vcc
	v_cndmask_b32_e32 v6, v24, v26, vcc
	v_lshl_add_u64 v[6:7], v[6:7], 0, v[10:11]
	global_store_dwordx2 v[6:7], v[8:9], off
	s_or_b64 exec, exec, s[0:1]
	v_cmp_gt_u32_e32 vcc, s33, v29
	s_and_saveexec_b64 s[0:1], vcc
	s_cbranch_execz .LBB2220_85
.LBB2220_97:
	v_cmp_lt_u32_e32 vcc, v29, v16
	s_waitcnt lgkmcnt(2)
	v_lshlrev_b32_e32 v8, 3, v29
	v_mov_b32_e32 v9, 0
	v_cndmask_b32_e32 v7, v25, v27, vcc
	v_cndmask_b32_e32 v6, v24, v26, vcc
	v_lshl_add_u64 v[6:7], v[6:7], 0, v[8:9]
	s_waitcnt lgkmcnt(1)
	global_store_dwordx2 v[6:7], v[2:3], off
	s_or_b64 exec, exec, s[0:1]
	v_cmp_gt_u32_e32 vcc, s33, v28
	s_and_saveexec_b64 s[0:1], vcc
	s_cbranch_execnz .LBB2220_86
	s_branch .LBB2220_87
	.section	.rodata,"a",@progbits
	.p2align	6, 0x0
	.amdhsa_kernel _ZN7rocprim17ROCPRIM_400000_NS6detail17trampoline_kernelINS0_14default_configENS1_25partition_config_selectorILNS1_17partition_subalgoE1EyNS0_10empty_typeEbEEZZNS1_14partition_implILS5_1ELb0ES3_jN6thrust23THRUST_200600_302600_NS6detail15normal_iteratorINSA_10device_ptrIyEEEEPS6_NSA_18transform_iteratorI7is_evenIyESF_NSA_11use_defaultESK_EENS0_5tupleIJSF_SF_EEENSM_IJSG_SG_EEES6_PlJS6_EEE10hipError_tPvRmT3_T4_T5_T6_T7_T9_mT8_P12ihipStream_tbDpT10_ENKUlT_T0_E_clISt17integral_constantIbLb1EES18_IbLb0EEEEDaS14_S15_EUlS14_E_NS1_11comp_targetILNS1_3genE5ELNS1_11target_archE942ELNS1_3gpuE9ELNS1_3repE0EEENS1_30default_config_static_selectorELNS0_4arch9wavefront6targetE1EEEvT1_
		.amdhsa_group_segment_fixed_size 28680
		.amdhsa_private_segment_fixed_size 0
		.amdhsa_kernarg_size 128
		.amdhsa_user_sgpr_count 2
		.amdhsa_user_sgpr_dispatch_ptr 0
		.amdhsa_user_sgpr_queue_ptr 0
		.amdhsa_user_sgpr_kernarg_segment_ptr 1
		.amdhsa_user_sgpr_dispatch_id 0
		.amdhsa_user_sgpr_kernarg_preload_length 0
		.amdhsa_user_sgpr_kernarg_preload_offset 0
		.amdhsa_user_sgpr_private_segment_size 0
		.amdhsa_uses_dynamic_stack 0
		.amdhsa_enable_private_segment 0
		.amdhsa_system_sgpr_workgroup_id_x 1
		.amdhsa_system_sgpr_workgroup_id_y 0
		.amdhsa_system_sgpr_workgroup_id_z 0
		.amdhsa_system_sgpr_workgroup_info 0
		.amdhsa_system_vgpr_workitem_id 0
		.amdhsa_next_free_vgpr 54
		.amdhsa_next_free_sgpr 44
		.amdhsa_accum_offset 56
		.amdhsa_reserve_vcc 1
		.amdhsa_float_round_mode_32 0
		.amdhsa_float_round_mode_16_64 0
		.amdhsa_float_denorm_mode_32 3
		.amdhsa_float_denorm_mode_16_64 3
		.amdhsa_dx10_clamp 1
		.amdhsa_ieee_mode 1
		.amdhsa_fp16_overflow 0
		.amdhsa_tg_split 0
		.amdhsa_exception_fp_ieee_invalid_op 0
		.amdhsa_exception_fp_denorm_src 0
		.amdhsa_exception_fp_ieee_div_zero 0
		.amdhsa_exception_fp_ieee_overflow 0
		.amdhsa_exception_fp_ieee_underflow 0
		.amdhsa_exception_fp_ieee_inexact 0
		.amdhsa_exception_int_div_zero 0
	.end_amdhsa_kernel
	.section	.text._ZN7rocprim17ROCPRIM_400000_NS6detail17trampoline_kernelINS0_14default_configENS1_25partition_config_selectorILNS1_17partition_subalgoE1EyNS0_10empty_typeEbEEZZNS1_14partition_implILS5_1ELb0ES3_jN6thrust23THRUST_200600_302600_NS6detail15normal_iteratorINSA_10device_ptrIyEEEEPS6_NSA_18transform_iteratorI7is_evenIyESF_NSA_11use_defaultESK_EENS0_5tupleIJSF_SF_EEENSM_IJSG_SG_EEES6_PlJS6_EEE10hipError_tPvRmT3_T4_T5_T6_T7_T9_mT8_P12ihipStream_tbDpT10_ENKUlT_T0_E_clISt17integral_constantIbLb1EES18_IbLb0EEEEDaS14_S15_EUlS14_E_NS1_11comp_targetILNS1_3genE5ELNS1_11target_archE942ELNS1_3gpuE9ELNS1_3repE0EEENS1_30default_config_static_selectorELNS0_4arch9wavefront6targetE1EEEvT1_,"axG",@progbits,_ZN7rocprim17ROCPRIM_400000_NS6detail17trampoline_kernelINS0_14default_configENS1_25partition_config_selectorILNS1_17partition_subalgoE1EyNS0_10empty_typeEbEEZZNS1_14partition_implILS5_1ELb0ES3_jN6thrust23THRUST_200600_302600_NS6detail15normal_iteratorINSA_10device_ptrIyEEEEPS6_NSA_18transform_iteratorI7is_evenIyESF_NSA_11use_defaultESK_EENS0_5tupleIJSF_SF_EEENSM_IJSG_SG_EEES6_PlJS6_EEE10hipError_tPvRmT3_T4_T5_T6_T7_T9_mT8_P12ihipStream_tbDpT10_ENKUlT_T0_E_clISt17integral_constantIbLb1EES18_IbLb0EEEEDaS14_S15_EUlS14_E_NS1_11comp_targetILNS1_3genE5ELNS1_11target_archE942ELNS1_3gpuE9ELNS1_3repE0EEENS1_30default_config_static_selectorELNS0_4arch9wavefront6targetE1EEEvT1_,comdat
.Lfunc_end2220:
	.size	_ZN7rocprim17ROCPRIM_400000_NS6detail17trampoline_kernelINS0_14default_configENS1_25partition_config_selectorILNS1_17partition_subalgoE1EyNS0_10empty_typeEbEEZZNS1_14partition_implILS5_1ELb0ES3_jN6thrust23THRUST_200600_302600_NS6detail15normal_iteratorINSA_10device_ptrIyEEEEPS6_NSA_18transform_iteratorI7is_evenIyESF_NSA_11use_defaultESK_EENS0_5tupleIJSF_SF_EEENSM_IJSG_SG_EEES6_PlJS6_EEE10hipError_tPvRmT3_T4_T5_T6_T7_T9_mT8_P12ihipStream_tbDpT10_ENKUlT_T0_E_clISt17integral_constantIbLb1EES18_IbLb0EEEEDaS14_S15_EUlS14_E_NS1_11comp_targetILNS1_3genE5ELNS1_11target_archE942ELNS1_3gpuE9ELNS1_3repE0EEENS1_30default_config_static_selectorELNS0_4arch9wavefront6targetE1EEEvT1_, .Lfunc_end2220-_ZN7rocprim17ROCPRIM_400000_NS6detail17trampoline_kernelINS0_14default_configENS1_25partition_config_selectorILNS1_17partition_subalgoE1EyNS0_10empty_typeEbEEZZNS1_14partition_implILS5_1ELb0ES3_jN6thrust23THRUST_200600_302600_NS6detail15normal_iteratorINSA_10device_ptrIyEEEEPS6_NSA_18transform_iteratorI7is_evenIyESF_NSA_11use_defaultESK_EENS0_5tupleIJSF_SF_EEENSM_IJSG_SG_EEES6_PlJS6_EEE10hipError_tPvRmT3_T4_T5_T6_T7_T9_mT8_P12ihipStream_tbDpT10_ENKUlT_T0_E_clISt17integral_constantIbLb1EES18_IbLb0EEEEDaS14_S15_EUlS14_E_NS1_11comp_targetILNS1_3genE5ELNS1_11target_archE942ELNS1_3gpuE9ELNS1_3repE0EEENS1_30default_config_static_selectorELNS0_4arch9wavefront6targetE1EEEvT1_
                                        ; -- End function
	.section	.AMDGPU.csdata,"",@progbits
; Kernel info:
; codeLenInByte = 5040
; NumSgprs: 50
; NumVgprs: 54
; NumAgprs: 0
; TotalNumVgprs: 54
; ScratchSize: 0
; MemoryBound: 0
; FloatMode: 240
; IeeeMode: 1
; LDSByteSize: 28680 bytes/workgroup (compile time only)
; SGPRBlocks: 6
; VGPRBlocks: 6
; NumSGPRsForWavesPerEU: 50
; NumVGPRsForWavesPerEU: 54
; AccumOffset: 56
; Occupancy: 4
; WaveLimiterHint : 1
; COMPUTE_PGM_RSRC2:SCRATCH_EN: 0
; COMPUTE_PGM_RSRC2:USER_SGPR: 2
; COMPUTE_PGM_RSRC2:TRAP_HANDLER: 0
; COMPUTE_PGM_RSRC2:TGID_X_EN: 1
; COMPUTE_PGM_RSRC2:TGID_Y_EN: 0
; COMPUTE_PGM_RSRC2:TGID_Z_EN: 0
; COMPUTE_PGM_RSRC2:TIDIG_COMP_CNT: 0
; COMPUTE_PGM_RSRC3_GFX90A:ACCUM_OFFSET: 13
; COMPUTE_PGM_RSRC3_GFX90A:TG_SPLIT: 0
	.section	.text._ZN7rocprim17ROCPRIM_400000_NS6detail17trampoline_kernelINS0_14default_configENS1_25partition_config_selectorILNS1_17partition_subalgoE1EyNS0_10empty_typeEbEEZZNS1_14partition_implILS5_1ELb0ES3_jN6thrust23THRUST_200600_302600_NS6detail15normal_iteratorINSA_10device_ptrIyEEEEPS6_NSA_18transform_iteratorI7is_evenIyESF_NSA_11use_defaultESK_EENS0_5tupleIJSF_SF_EEENSM_IJSG_SG_EEES6_PlJS6_EEE10hipError_tPvRmT3_T4_T5_T6_T7_T9_mT8_P12ihipStream_tbDpT10_ENKUlT_T0_E_clISt17integral_constantIbLb1EES18_IbLb0EEEEDaS14_S15_EUlS14_E_NS1_11comp_targetILNS1_3genE4ELNS1_11target_archE910ELNS1_3gpuE8ELNS1_3repE0EEENS1_30default_config_static_selectorELNS0_4arch9wavefront6targetE1EEEvT1_,"axG",@progbits,_ZN7rocprim17ROCPRIM_400000_NS6detail17trampoline_kernelINS0_14default_configENS1_25partition_config_selectorILNS1_17partition_subalgoE1EyNS0_10empty_typeEbEEZZNS1_14partition_implILS5_1ELb0ES3_jN6thrust23THRUST_200600_302600_NS6detail15normal_iteratorINSA_10device_ptrIyEEEEPS6_NSA_18transform_iteratorI7is_evenIyESF_NSA_11use_defaultESK_EENS0_5tupleIJSF_SF_EEENSM_IJSG_SG_EEES6_PlJS6_EEE10hipError_tPvRmT3_T4_T5_T6_T7_T9_mT8_P12ihipStream_tbDpT10_ENKUlT_T0_E_clISt17integral_constantIbLb1EES18_IbLb0EEEEDaS14_S15_EUlS14_E_NS1_11comp_targetILNS1_3genE4ELNS1_11target_archE910ELNS1_3gpuE8ELNS1_3repE0EEENS1_30default_config_static_selectorELNS0_4arch9wavefront6targetE1EEEvT1_,comdat
	.protected	_ZN7rocprim17ROCPRIM_400000_NS6detail17trampoline_kernelINS0_14default_configENS1_25partition_config_selectorILNS1_17partition_subalgoE1EyNS0_10empty_typeEbEEZZNS1_14partition_implILS5_1ELb0ES3_jN6thrust23THRUST_200600_302600_NS6detail15normal_iteratorINSA_10device_ptrIyEEEEPS6_NSA_18transform_iteratorI7is_evenIyESF_NSA_11use_defaultESK_EENS0_5tupleIJSF_SF_EEENSM_IJSG_SG_EEES6_PlJS6_EEE10hipError_tPvRmT3_T4_T5_T6_T7_T9_mT8_P12ihipStream_tbDpT10_ENKUlT_T0_E_clISt17integral_constantIbLb1EES18_IbLb0EEEEDaS14_S15_EUlS14_E_NS1_11comp_targetILNS1_3genE4ELNS1_11target_archE910ELNS1_3gpuE8ELNS1_3repE0EEENS1_30default_config_static_selectorELNS0_4arch9wavefront6targetE1EEEvT1_ ; -- Begin function _ZN7rocprim17ROCPRIM_400000_NS6detail17trampoline_kernelINS0_14default_configENS1_25partition_config_selectorILNS1_17partition_subalgoE1EyNS0_10empty_typeEbEEZZNS1_14partition_implILS5_1ELb0ES3_jN6thrust23THRUST_200600_302600_NS6detail15normal_iteratorINSA_10device_ptrIyEEEEPS6_NSA_18transform_iteratorI7is_evenIyESF_NSA_11use_defaultESK_EENS0_5tupleIJSF_SF_EEENSM_IJSG_SG_EEES6_PlJS6_EEE10hipError_tPvRmT3_T4_T5_T6_T7_T9_mT8_P12ihipStream_tbDpT10_ENKUlT_T0_E_clISt17integral_constantIbLb1EES18_IbLb0EEEEDaS14_S15_EUlS14_E_NS1_11comp_targetILNS1_3genE4ELNS1_11target_archE910ELNS1_3gpuE8ELNS1_3repE0EEENS1_30default_config_static_selectorELNS0_4arch9wavefront6targetE1EEEvT1_
	.globl	_ZN7rocprim17ROCPRIM_400000_NS6detail17trampoline_kernelINS0_14default_configENS1_25partition_config_selectorILNS1_17partition_subalgoE1EyNS0_10empty_typeEbEEZZNS1_14partition_implILS5_1ELb0ES3_jN6thrust23THRUST_200600_302600_NS6detail15normal_iteratorINSA_10device_ptrIyEEEEPS6_NSA_18transform_iteratorI7is_evenIyESF_NSA_11use_defaultESK_EENS0_5tupleIJSF_SF_EEENSM_IJSG_SG_EEES6_PlJS6_EEE10hipError_tPvRmT3_T4_T5_T6_T7_T9_mT8_P12ihipStream_tbDpT10_ENKUlT_T0_E_clISt17integral_constantIbLb1EES18_IbLb0EEEEDaS14_S15_EUlS14_E_NS1_11comp_targetILNS1_3genE4ELNS1_11target_archE910ELNS1_3gpuE8ELNS1_3repE0EEENS1_30default_config_static_selectorELNS0_4arch9wavefront6targetE1EEEvT1_
	.p2align	8
	.type	_ZN7rocprim17ROCPRIM_400000_NS6detail17trampoline_kernelINS0_14default_configENS1_25partition_config_selectorILNS1_17partition_subalgoE1EyNS0_10empty_typeEbEEZZNS1_14partition_implILS5_1ELb0ES3_jN6thrust23THRUST_200600_302600_NS6detail15normal_iteratorINSA_10device_ptrIyEEEEPS6_NSA_18transform_iteratorI7is_evenIyESF_NSA_11use_defaultESK_EENS0_5tupleIJSF_SF_EEENSM_IJSG_SG_EEES6_PlJS6_EEE10hipError_tPvRmT3_T4_T5_T6_T7_T9_mT8_P12ihipStream_tbDpT10_ENKUlT_T0_E_clISt17integral_constantIbLb1EES18_IbLb0EEEEDaS14_S15_EUlS14_E_NS1_11comp_targetILNS1_3genE4ELNS1_11target_archE910ELNS1_3gpuE8ELNS1_3repE0EEENS1_30default_config_static_selectorELNS0_4arch9wavefront6targetE1EEEvT1_,@function
_ZN7rocprim17ROCPRIM_400000_NS6detail17trampoline_kernelINS0_14default_configENS1_25partition_config_selectorILNS1_17partition_subalgoE1EyNS0_10empty_typeEbEEZZNS1_14partition_implILS5_1ELb0ES3_jN6thrust23THRUST_200600_302600_NS6detail15normal_iteratorINSA_10device_ptrIyEEEEPS6_NSA_18transform_iteratorI7is_evenIyESF_NSA_11use_defaultESK_EENS0_5tupleIJSF_SF_EEENSM_IJSG_SG_EEES6_PlJS6_EEE10hipError_tPvRmT3_T4_T5_T6_T7_T9_mT8_P12ihipStream_tbDpT10_ENKUlT_T0_E_clISt17integral_constantIbLb1EES18_IbLb0EEEEDaS14_S15_EUlS14_E_NS1_11comp_targetILNS1_3genE4ELNS1_11target_archE910ELNS1_3gpuE8ELNS1_3repE0EEENS1_30default_config_static_selectorELNS0_4arch9wavefront6targetE1EEEvT1_: ; @_ZN7rocprim17ROCPRIM_400000_NS6detail17trampoline_kernelINS0_14default_configENS1_25partition_config_selectorILNS1_17partition_subalgoE1EyNS0_10empty_typeEbEEZZNS1_14partition_implILS5_1ELb0ES3_jN6thrust23THRUST_200600_302600_NS6detail15normal_iteratorINSA_10device_ptrIyEEEEPS6_NSA_18transform_iteratorI7is_evenIyESF_NSA_11use_defaultESK_EENS0_5tupleIJSF_SF_EEENSM_IJSG_SG_EEES6_PlJS6_EEE10hipError_tPvRmT3_T4_T5_T6_T7_T9_mT8_P12ihipStream_tbDpT10_ENKUlT_T0_E_clISt17integral_constantIbLb1EES18_IbLb0EEEEDaS14_S15_EUlS14_E_NS1_11comp_targetILNS1_3genE4ELNS1_11target_archE910ELNS1_3gpuE8ELNS1_3repE0EEENS1_30default_config_static_selectorELNS0_4arch9wavefront6targetE1EEEvT1_
; %bb.0:
	.section	.rodata,"a",@progbits
	.p2align	6, 0x0
	.amdhsa_kernel _ZN7rocprim17ROCPRIM_400000_NS6detail17trampoline_kernelINS0_14default_configENS1_25partition_config_selectorILNS1_17partition_subalgoE1EyNS0_10empty_typeEbEEZZNS1_14partition_implILS5_1ELb0ES3_jN6thrust23THRUST_200600_302600_NS6detail15normal_iteratorINSA_10device_ptrIyEEEEPS6_NSA_18transform_iteratorI7is_evenIyESF_NSA_11use_defaultESK_EENS0_5tupleIJSF_SF_EEENSM_IJSG_SG_EEES6_PlJS6_EEE10hipError_tPvRmT3_T4_T5_T6_T7_T9_mT8_P12ihipStream_tbDpT10_ENKUlT_T0_E_clISt17integral_constantIbLb1EES18_IbLb0EEEEDaS14_S15_EUlS14_E_NS1_11comp_targetILNS1_3genE4ELNS1_11target_archE910ELNS1_3gpuE8ELNS1_3repE0EEENS1_30default_config_static_selectorELNS0_4arch9wavefront6targetE1EEEvT1_
		.amdhsa_group_segment_fixed_size 0
		.amdhsa_private_segment_fixed_size 0
		.amdhsa_kernarg_size 128
		.amdhsa_user_sgpr_count 2
		.amdhsa_user_sgpr_dispatch_ptr 0
		.amdhsa_user_sgpr_queue_ptr 0
		.amdhsa_user_sgpr_kernarg_segment_ptr 1
		.amdhsa_user_sgpr_dispatch_id 0
		.amdhsa_user_sgpr_kernarg_preload_length 0
		.amdhsa_user_sgpr_kernarg_preload_offset 0
		.amdhsa_user_sgpr_private_segment_size 0
		.amdhsa_uses_dynamic_stack 0
		.amdhsa_enable_private_segment 0
		.amdhsa_system_sgpr_workgroup_id_x 1
		.amdhsa_system_sgpr_workgroup_id_y 0
		.amdhsa_system_sgpr_workgroup_id_z 0
		.amdhsa_system_sgpr_workgroup_info 0
		.amdhsa_system_vgpr_workitem_id 0
		.amdhsa_next_free_vgpr 1
		.amdhsa_next_free_sgpr 0
		.amdhsa_accum_offset 4
		.amdhsa_reserve_vcc 0
		.amdhsa_float_round_mode_32 0
		.amdhsa_float_round_mode_16_64 0
		.amdhsa_float_denorm_mode_32 3
		.amdhsa_float_denorm_mode_16_64 3
		.amdhsa_dx10_clamp 1
		.amdhsa_ieee_mode 1
		.amdhsa_fp16_overflow 0
		.amdhsa_tg_split 0
		.amdhsa_exception_fp_ieee_invalid_op 0
		.amdhsa_exception_fp_denorm_src 0
		.amdhsa_exception_fp_ieee_div_zero 0
		.amdhsa_exception_fp_ieee_overflow 0
		.amdhsa_exception_fp_ieee_underflow 0
		.amdhsa_exception_fp_ieee_inexact 0
		.amdhsa_exception_int_div_zero 0
	.end_amdhsa_kernel
	.section	.text._ZN7rocprim17ROCPRIM_400000_NS6detail17trampoline_kernelINS0_14default_configENS1_25partition_config_selectorILNS1_17partition_subalgoE1EyNS0_10empty_typeEbEEZZNS1_14partition_implILS5_1ELb0ES3_jN6thrust23THRUST_200600_302600_NS6detail15normal_iteratorINSA_10device_ptrIyEEEEPS6_NSA_18transform_iteratorI7is_evenIyESF_NSA_11use_defaultESK_EENS0_5tupleIJSF_SF_EEENSM_IJSG_SG_EEES6_PlJS6_EEE10hipError_tPvRmT3_T4_T5_T6_T7_T9_mT8_P12ihipStream_tbDpT10_ENKUlT_T0_E_clISt17integral_constantIbLb1EES18_IbLb0EEEEDaS14_S15_EUlS14_E_NS1_11comp_targetILNS1_3genE4ELNS1_11target_archE910ELNS1_3gpuE8ELNS1_3repE0EEENS1_30default_config_static_selectorELNS0_4arch9wavefront6targetE1EEEvT1_,"axG",@progbits,_ZN7rocprim17ROCPRIM_400000_NS6detail17trampoline_kernelINS0_14default_configENS1_25partition_config_selectorILNS1_17partition_subalgoE1EyNS0_10empty_typeEbEEZZNS1_14partition_implILS5_1ELb0ES3_jN6thrust23THRUST_200600_302600_NS6detail15normal_iteratorINSA_10device_ptrIyEEEEPS6_NSA_18transform_iteratorI7is_evenIyESF_NSA_11use_defaultESK_EENS0_5tupleIJSF_SF_EEENSM_IJSG_SG_EEES6_PlJS6_EEE10hipError_tPvRmT3_T4_T5_T6_T7_T9_mT8_P12ihipStream_tbDpT10_ENKUlT_T0_E_clISt17integral_constantIbLb1EES18_IbLb0EEEEDaS14_S15_EUlS14_E_NS1_11comp_targetILNS1_3genE4ELNS1_11target_archE910ELNS1_3gpuE8ELNS1_3repE0EEENS1_30default_config_static_selectorELNS0_4arch9wavefront6targetE1EEEvT1_,comdat
.Lfunc_end2221:
	.size	_ZN7rocprim17ROCPRIM_400000_NS6detail17trampoline_kernelINS0_14default_configENS1_25partition_config_selectorILNS1_17partition_subalgoE1EyNS0_10empty_typeEbEEZZNS1_14partition_implILS5_1ELb0ES3_jN6thrust23THRUST_200600_302600_NS6detail15normal_iteratorINSA_10device_ptrIyEEEEPS6_NSA_18transform_iteratorI7is_evenIyESF_NSA_11use_defaultESK_EENS0_5tupleIJSF_SF_EEENSM_IJSG_SG_EEES6_PlJS6_EEE10hipError_tPvRmT3_T4_T5_T6_T7_T9_mT8_P12ihipStream_tbDpT10_ENKUlT_T0_E_clISt17integral_constantIbLb1EES18_IbLb0EEEEDaS14_S15_EUlS14_E_NS1_11comp_targetILNS1_3genE4ELNS1_11target_archE910ELNS1_3gpuE8ELNS1_3repE0EEENS1_30default_config_static_selectorELNS0_4arch9wavefront6targetE1EEEvT1_, .Lfunc_end2221-_ZN7rocprim17ROCPRIM_400000_NS6detail17trampoline_kernelINS0_14default_configENS1_25partition_config_selectorILNS1_17partition_subalgoE1EyNS0_10empty_typeEbEEZZNS1_14partition_implILS5_1ELb0ES3_jN6thrust23THRUST_200600_302600_NS6detail15normal_iteratorINSA_10device_ptrIyEEEEPS6_NSA_18transform_iteratorI7is_evenIyESF_NSA_11use_defaultESK_EENS0_5tupleIJSF_SF_EEENSM_IJSG_SG_EEES6_PlJS6_EEE10hipError_tPvRmT3_T4_T5_T6_T7_T9_mT8_P12ihipStream_tbDpT10_ENKUlT_T0_E_clISt17integral_constantIbLb1EES18_IbLb0EEEEDaS14_S15_EUlS14_E_NS1_11comp_targetILNS1_3genE4ELNS1_11target_archE910ELNS1_3gpuE8ELNS1_3repE0EEENS1_30default_config_static_selectorELNS0_4arch9wavefront6targetE1EEEvT1_
                                        ; -- End function
	.section	.AMDGPU.csdata,"",@progbits
; Kernel info:
; codeLenInByte = 0
; NumSgprs: 6
; NumVgprs: 0
; NumAgprs: 0
; TotalNumVgprs: 0
; ScratchSize: 0
; MemoryBound: 0
; FloatMode: 240
; IeeeMode: 1
; LDSByteSize: 0 bytes/workgroup (compile time only)
; SGPRBlocks: 0
; VGPRBlocks: 0
; NumSGPRsForWavesPerEU: 6
; NumVGPRsForWavesPerEU: 1
; AccumOffset: 4
; Occupancy: 8
; WaveLimiterHint : 0
; COMPUTE_PGM_RSRC2:SCRATCH_EN: 0
; COMPUTE_PGM_RSRC2:USER_SGPR: 2
; COMPUTE_PGM_RSRC2:TRAP_HANDLER: 0
; COMPUTE_PGM_RSRC2:TGID_X_EN: 1
; COMPUTE_PGM_RSRC2:TGID_Y_EN: 0
; COMPUTE_PGM_RSRC2:TGID_Z_EN: 0
; COMPUTE_PGM_RSRC2:TIDIG_COMP_CNT: 0
; COMPUTE_PGM_RSRC3_GFX90A:ACCUM_OFFSET: 0
; COMPUTE_PGM_RSRC3_GFX90A:TG_SPLIT: 0
	.section	.text._ZN7rocprim17ROCPRIM_400000_NS6detail17trampoline_kernelINS0_14default_configENS1_25partition_config_selectorILNS1_17partition_subalgoE1EyNS0_10empty_typeEbEEZZNS1_14partition_implILS5_1ELb0ES3_jN6thrust23THRUST_200600_302600_NS6detail15normal_iteratorINSA_10device_ptrIyEEEEPS6_NSA_18transform_iteratorI7is_evenIyESF_NSA_11use_defaultESK_EENS0_5tupleIJSF_SF_EEENSM_IJSG_SG_EEES6_PlJS6_EEE10hipError_tPvRmT3_T4_T5_T6_T7_T9_mT8_P12ihipStream_tbDpT10_ENKUlT_T0_E_clISt17integral_constantIbLb1EES18_IbLb0EEEEDaS14_S15_EUlS14_E_NS1_11comp_targetILNS1_3genE3ELNS1_11target_archE908ELNS1_3gpuE7ELNS1_3repE0EEENS1_30default_config_static_selectorELNS0_4arch9wavefront6targetE1EEEvT1_,"axG",@progbits,_ZN7rocprim17ROCPRIM_400000_NS6detail17trampoline_kernelINS0_14default_configENS1_25partition_config_selectorILNS1_17partition_subalgoE1EyNS0_10empty_typeEbEEZZNS1_14partition_implILS5_1ELb0ES3_jN6thrust23THRUST_200600_302600_NS6detail15normal_iteratorINSA_10device_ptrIyEEEEPS6_NSA_18transform_iteratorI7is_evenIyESF_NSA_11use_defaultESK_EENS0_5tupleIJSF_SF_EEENSM_IJSG_SG_EEES6_PlJS6_EEE10hipError_tPvRmT3_T4_T5_T6_T7_T9_mT8_P12ihipStream_tbDpT10_ENKUlT_T0_E_clISt17integral_constantIbLb1EES18_IbLb0EEEEDaS14_S15_EUlS14_E_NS1_11comp_targetILNS1_3genE3ELNS1_11target_archE908ELNS1_3gpuE7ELNS1_3repE0EEENS1_30default_config_static_selectorELNS0_4arch9wavefront6targetE1EEEvT1_,comdat
	.protected	_ZN7rocprim17ROCPRIM_400000_NS6detail17trampoline_kernelINS0_14default_configENS1_25partition_config_selectorILNS1_17partition_subalgoE1EyNS0_10empty_typeEbEEZZNS1_14partition_implILS5_1ELb0ES3_jN6thrust23THRUST_200600_302600_NS6detail15normal_iteratorINSA_10device_ptrIyEEEEPS6_NSA_18transform_iteratorI7is_evenIyESF_NSA_11use_defaultESK_EENS0_5tupleIJSF_SF_EEENSM_IJSG_SG_EEES6_PlJS6_EEE10hipError_tPvRmT3_T4_T5_T6_T7_T9_mT8_P12ihipStream_tbDpT10_ENKUlT_T0_E_clISt17integral_constantIbLb1EES18_IbLb0EEEEDaS14_S15_EUlS14_E_NS1_11comp_targetILNS1_3genE3ELNS1_11target_archE908ELNS1_3gpuE7ELNS1_3repE0EEENS1_30default_config_static_selectorELNS0_4arch9wavefront6targetE1EEEvT1_ ; -- Begin function _ZN7rocprim17ROCPRIM_400000_NS6detail17trampoline_kernelINS0_14default_configENS1_25partition_config_selectorILNS1_17partition_subalgoE1EyNS0_10empty_typeEbEEZZNS1_14partition_implILS5_1ELb0ES3_jN6thrust23THRUST_200600_302600_NS6detail15normal_iteratorINSA_10device_ptrIyEEEEPS6_NSA_18transform_iteratorI7is_evenIyESF_NSA_11use_defaultESK_EENS0_5tupleIJSF_SF_EEENSM_IJSG_SG_EEES6_PlJS6_EEE10hipError_tPvRmT3_T4_T5_T6_T7_T9_mT8_P12ihipStream_tbDpT10_ENKUlT_T0_E_clISt17integral_constantIbLb1EES18_IbLb0EEEEDaS14_S15_EUlS14_E_NS1_11comp_targetILNS1_3genE3ELNS1_11target_archE908ELNS1_3gpuE7ELNS1_3repE0EEENS1_30default_config_static_selectorELNS0_4arch9wavefront6targetE1EEEvT1_
	.globl	_ZN7rocprim17ROCPRIM_400000_NS6detail17trampoline_kernelINS0_14default_configENS1_25partition_config_selectorILNS1_17partition_subalgoE1EyNS0_10empty_typeEbEEZZNS1_14partition_implILS5_1ELb0ES3_jN6thrust23THRUST_200600_302600_NS6detail15normal_iteratorINSA_10device_ptrIyEEEEPS6_NSA_18transform_iteratorI7is_evenIyESF_NSA_11use_defaultESK_EENS0_5tupleIJSF_SF_EEENSM_IJSG_SG_EEES6_PlJS6_EEE10hipError_tPvRmT3_T4_T5_T6_T7_T9_mT8_P12ihipStream_tbDpT10_ENKUlT_T0_E_clISt17integral_constantIbLb1EES18_IbLb0EEEEDaS14_S15_EUlS14_E_NS1_11comp_targetILNS1_3genE3ELNS1_11target_archE908ELNS1_3gpuE7ELNS1_3repE0EEENS1_30default_config_static_selectorELNS0_4arch9wavefront6targetE1EEEvT1_
	.p2align	8
	.type	_ZN7rocprim17ROCPRIM_400000_NS6detail17trampoline_kernelINS0_14default_configENS1_25partition_config_selectorILNS1_17partition_subalgoE1EyNS0_10empty_typeEbEEZZNS1_14partition_implILS5_1ELb0ES3_jN6thrust23THRUST_200600_302600_NS6detail15normal_iteratorINSA_10device_ptrIyEEEEPS6_NSA_18transform_iteratorI7is_evenIyESF_NSA_11use_defaultESK_EENS0_5tupleIJSF_SF_EEENSM_IJSG_SG_EEES6_PlJS6_EEE10hipError_tPvRmT3_T4_T5_T6_T7_T9_mT8_P12ihipStream_tbDpT10_ENKUlT_T0_E_clISt17integral_constantIbLb1EES18_IbLb0EEEEDaS14_S15_EUlS14_E_NS1_11comp_targetILNS1_3genE3ELNS1_11target_archE908ELNS1_3gpuE7ELNS1_3repE0EEENS1_30default_config_static_selectorELNS0_4arch9wavefront6targetE1EEEvT1_,@function
_ZN7rocprim17ROCPRIM_400000_NS6detail17trampoline_kernelINS0_14default_configENS1_25partition_config_selectorILNS1_17partition_subalgoE1EyNS0_10empty_typeEbEEZZNS1_14partition_implILS5_1ELb0ES3_jN6thrust23THRUST_200600_302600_NS6detail15normal_iteratorINSA_10device_ptrIyEEEEPS6_NSA_18transform_iteratorI7is_evenIyESF_NSA_11use_defaultESK_EENS0_5tupleIJSF_SF_EEENSM_IJSG_SG_EEES6_PlJS6_EEE10hipError_tPvRmT3_T4_T5_T6_T7_T9_mT8_P12ihipStream_tbDpT10_ENKUlT_T0_E_clISt17integral_constantIbLb1EES18_IbLb0EEEEDaS14_S15_EUlS14_E_NS1_11comp_targetILNS1_3genE3ELNS1_11target_archE908ELNS1_3gpuE7ELNS1_3repE0EEENS1_30default_config_static_selectorELNS0_4arch9wavefront6targetE1EEEvT1_: ; @_ZN7rocprim17ROCPRIM_400000_NS6detail17trampoline_kernelINS0_14default_configENS1_25partition_config_selectorILNS1_17partition_subalgoE1EyNS0_10empty_typeEbEEZZNS1_14partition_implILS5_1ELb0ES3_jN6thrust23THRUST_200600_302600_NS6detail15normal_iteratorINSA_10device_ptrIyEEEEPS6_NSA_18transform_iteratorI7is_evenIyESF_NSA_11use_defaultESK_EENS0_5tupleIJSF_SF_EEENSM_IJSG_SG_EEES6_PlJS6_EEE10hipError_tPvRmT3_T4_T5_T6_T7_T9_mT8_P12ihipStream_tbDpT10_ENKUlT_T0_E_clISt17integral_constantIbLb1EES18_IbLb0EEEEDaS14_S15_EUlS14_E_NS1_11comp_targetILNS1_3genE3ELNS1_11target_archE908ELNS1_3gpuE7ELNS1_3repE0EEENS1_30default_config_static_selectorELNS0_4arch9wavefront6targetE1EEEvT1_
; %bb.0:
	.section	.rodata,"a",@progbits
	.p2align	6, 0x0
	.amdhsa_kernel _ZN7rocprim17ROCPRIM_400000_NS6detail17trampoline_kernelINS0_14default_configENS1_25partition_config_selectorILNS1_17partition_subalgoE1EyNS0_10empty_typeEbEEZZNS1_14partition_implILS5_1ELb0ES3_jN6thrust23THRUST_200600_302600_NS6detail15normal_iteratorINSA_10device_ptrIyEEEEPS6_NSA_18transform_iteratorI7is_evenIyESF_NSA_11use_defaultESK_EENS0_5tupleIJSF_SF_EEENSM_IJSG_SG_EEES6_PlJS6_EEE10hipError_tPvRmT3_T4_T5_T6_T7_T9_mT8_P12ihipStream_tbDpT10_ENKUlT_T0_E_clISt17integral_constantIbLb1EES18_IbLb0EEEEDaS14_S15_EUlS14_E_NS1_11comp_targetILNS1_3genE3ELNS1_11target_archE908ELNS1_3gpuE7ELNS1_3repE0EEENS1_30default_config_static_selectorELNS0_4arch9wavefront6targetE1EEEvT1_
		.amdhsa_group_segment_fixed_size 0
		.amdhsa_private_segment_fixed_size 0
		.amdhsa_kernarg_size 128
		.amdhsa_user_sgpr_count 2
		.amdhsa_user_sgpr_dispatch_ptr 0
		.amdhsa_user_sgpr_queue_ptr 0
		.amdhsa_user_sgpr_kernarg_segment_ptr 1
		.amdhsa_user_sgpr_dispatch_id 0
		.amdhsa_user_sgpr_kernarg_preload_length 0
		.amdhsa_user_sgpr_kernarg_preload_offset 0
		.amdhsa_user_sgpr_private_segment_size 0
		.amdhsa_uses_dynamic_stack 0
		.amdhsa_enable_private_segment 0
		.amdhsa_system_sgpr_workgroup_id_x 1
		.amdhsa_system_sgpr_workgroup_id_y 0
		.amdhsa_system_sgpr_workgroup_id_z 0
		.amdhsa_system_sgpr_workgroup_info 0
		.amdhsa_system_vgpr_workitem_id 0
		.amdhsa_next_free_vgpr 1
		.amdhsa_next_free_sgpr 0
		.amdhsa_accum_offset 4
		.amdhsa_reserve_vcc 0
		.amdhsa_float_round_mode_32 0
		.amdhsa_float_round_mode_16_64 0
		.amdhsa_float_denorm_mode_32 3
		.amdhsa_float_denorm_mode_16_64 3
		.amdhsa_dx10_clamp 1
		.amdhsa_ieee_mode 1
		.amdhsa_fp16_overflow 0
		.amdhsa_tg_split 0
		.amdhsa_exception_fp_ieee_invalid_op 0
		.amdhsa_exception_fp_denorm_src 0
		.amdhsa_exception_fp_ieee_div_zero 0
		.amdhsa_exception_fp_ieee_overflow 0
		.amdhsa_exception_fp_ieee_underflow 0
		.amdhsa_exception_fp_ieee_inexact 0
		.amdhsa_exception_int_div_zero 0
	.end_amdhsa_kernel
	.section	.text._ZN7rocprim17ROCPRIM_400000_NS6detail17trampoline_kernelINS0_14default_configENS1_25partition_config_selectorILNS1_17partition_subalgoE1EyNS0_10empty_typeEbEEZZNS1_14partition_implILS5_1ELb0ES3_jN6thrust23THRUST_200600_302600_NS6detail15normal_iteratorINSA_10device_ptrIyEEEEPS6_NSA_18transform_iteratorI7is_evenIyESF_NSA_11use_defaultESK_EENS0_5tupleIJSF_SF_EEENSM_IJSG_SG_EEES6_PlJS6_EEE10hipError_tPvRmT3_T4_T5_T6_T7_T9_mT8_P12ihipStream_tbDpT10_ENKUlT_T0_E_clISt17integral_constantIbLb1EES18_IbLb0EEEEDaS14_S15_EUlS14_E_NS1_11comp_targetILNS1_3genE3ELNS1_11target_archE908ELNS1_3gpuE7ELNS1_3repE0EEENS1_30default_config_static_selectorELNS0_4arch9wavefront6targetE1EEEvT1_,"axG",@progbits,_ZN7rocprim17ROCPRIM_400000_NS6detail17trampoline_kernelINS0_14default_configENS1_25partition_config_selectorILNS1_17partition_subalgoE1EyNS0_10empty_typeEbEEZZNS1_14partition_implILS5_1ELb0ES3_jN6thrust23THRUST_200600_302600_NS6detail15normal_iteratorINSA_10device_ptrIyEEEEPS6_NSA_18transform_iteratorI7is_evenIyESF_NSA_11use_defaultESK_EENS0_5tupleIJSF_SF_EEENSM_IJSG_SG_EEES6_PlJS6_EEE10hipError_tPvRmT3_T4_T5_T6_T7_T9_mT8_P12ihipStream_tbDpT10_ENKUlT_T0_E_clISt17integral_constantIbLb1EES18_IbLb0EEEEDaS14_S15_EUlS14_E_NS1_11comp_targetILNS1_3genE3ELNS1_11target_archE908ELNS1_3gpuE7ELNS1_3repE0EEENS1_30default_config_static_selectorELNS0_4arch9wavefront6targetE1EEEvT1_,comdat
.Lfunc_end2222:
	.size	_ZN7rocprim17ROCPRIM_400000_NS6detail17trampoline_kernelINS0_14default_configENS1_25partition_config_selectorILNS1_17partition_subalgoE1EyNS0_10empty_typeEbEEZZNS1_14partition_implILS5_1ELb0ES3_jN6thrust23THRUST_200600_302600_NS6detail15normal_iteratorINSA_10device_ptrIyEEEEPS6_NSA_18transform_iteratorI7is_evenIyESF_NSA_11use_defaultESK_EENS0_5tupleIJSF_SF_EEENSM_IJSG_SG_EEES6_PlJS6_EEE10hipError_tPvRmT3_T4_T5_T6_T7_T9_mT8_P12ihipStream_tbDpT10_ENKUlT_T0_E_clISt17integral_constantIbLb1EES18_IbLb0EEEEDaS14_S15_EUlS14_E_NS1_11comp_targetILNS1_3genE3ELNS1_11target_archE908ELNS1_3gpuE7ELNS1_3repE0EEENS1_30default_config_static_selectorELNS0_4arch9wavefront6targetE1EEEvT1_, .Lfunc_end2222-_ZN7rocprim17ROCPRIM_400000_NS6detail17trampoline_kernelINS0_14default_configENS1_25partition_config_selectorILNS1_17partition_subalgoE1EyNS0_10empty_typeEbEEZZNS1_14partition_implILS5_1ELb0ES3_jN6thrust23THRUST_200600_302600_NS6detail15normal_iteratorINSA_10device_ptrIyEEEEPS6_NSA_18transform_iteratorI7is_evenIyESF_NSA_11use_defaultESK_EENS0_5tupleIJSF_SF_EEENSM_IJSG_SG_EEES6_PlJS6_EEE10hipError_tPvRmT3_T4_T5_T6_T7_T9_mT8_P12ihipStream_tbDpT10_ENKUlT_T0_E_clISt17integral_constantIbLb1EES18_IbLb0EEEEDaS14_S15_EUlS14_E_NS1_11comp_targetILNS1_3genE3ELNS1_11target_archE908ELNS1_3gpuE7ELNS1_3repE0EEENS1_30default_config_static_selectorELNS0_4arch9wavefront6targetE1EEEvT1_
                                        ; -- End function
	.section	.AMDGPU.csdata,"",@progbits
; Kernel info:
; codeLenInByte = 0
; NumSgprs: 6
; NumVgprs: 0
; NumAgprs: 0
; TotalNumVgprs: 0
; ScratchSize: 0
; MemoryBound: 0
; FloatMode: 240
; IeeeMode: 1
; LDSByteSize: 0 bytes/workgroup (compile time only)
; SGPRBlocks: 0
; VGPRBlocks: 0
; NumSGPRsForWavesPerEU: 6
; NumVGPRsForWavesPerEU: 1
; AccumOffset: 4
; Occupancy: 8
; WaveLimiterHint : 0
; COMPUTE_PGM_RSRC2:SCRATCH_EN: 0
; COMPUTE_PGM_RSRC2:USER_SGPR: 2
; COMPUTE_PGM_RSRC2:TRAP_HANDLER: 0
; COMPUTE_PGM_RSRC2:TGID_X_EN: 1
; COMPUTE_PGM_RSRC2:TGID_Y_EN: 0
; COMPUTE_PGM_RSRC2:TGID_Z_EN: 0
; COMPUTE_PGM_RSRC2:TIDIG_COMP_CNT: 0
; COMPUTE_PGM_RSRC3_GFX90A:ACCUM_OFFSET: 0
; COMPUTE_PGM_RSRC3_GFX90A:TG_SPLIT: 0
	.section	.text._ZN7rocprim17ROCPRIM_400000_NS6detail17trampoline_kernelINS0_14default_configENS1_25partition_config_selectorILNS1_17partition_subalgoE1EyNS0_10empty_typeEbEEZZNS1_14partition_implILS5_1ELb0ES3_jN6thrust23THRUST_200600_302600_NS6detail15normal_iteratorINSA_10device_ptrIyEEEEPS6_NSA_18transform_iteratorI7is_evenIyESF_NSA_11use_defaultESK_EENS0_5tupleIJSF_SF_EEENSM_IJSG_SG_EEES6_PlJS6_EEE10hipError_tPvRmT3_T4_T5_T6_T7_T9_mT8_P12ihipStream_tbDpT10_ENKUlT_T0_E_clISt17integral_constantIbLb1EES18_IbLb0EEEEDaS14_S15_EUlS14_E_NS1_11comp_targetILNS1_3genE2ELNS1_11target_archE906ELNS1_3gpuE6ELNS1_3repE0EEENS1_30default_config_static_selectorELNS0_4arch9wavefront6targetE1EEEvT1_,"axG",@progbits,_ZN7rocprim17ROCPRIM_400000_NS6detail17trampoline_kernelINS0_14default_configENS1_25partition_config_selectorILNS1_17partition_subalgoE1EyNS0_10empty_typeEbEEZZNS1_14partition_implILS5_1ELb0ES3_jN6thrust23THRUST_200600_302600_NS6detail15normal_iteratorINSA_10device_ptrIyEEEEPS6_NSA_18transform_iteratorI7is_evenIyESF_NSA_11use_defaultESK_EENS0_5tupleIJSF_SF_EEENSM_IJSG_SG_EEES6_PlJS6_EEE10hipError_tPvRmT3_T4_T5_T6_T7_T9_mT8_P12ihipStream_tbDpT10_ENKUlT_T0_E_clISt17integral_constantIbLb1EES18_IbLb0EEEEDaS14_S15_EUlS14_E_NS1_11comp_targetILNS1_3genE2ELNS1_11target_archE906ELNS1_3gpuE6ELNS1_3repE0EEENS1_30default_config_static_selectorELNS0_4arch9wavefront6targetE1EEEvT1_,comdat
	.protected	_ZN7rocprim17ROCPRIM_400000_NS6detail17trampoline_kernelINS0_14default_configENS1_25partition_config_selectorILNS1_17partition_subalgoE1EyNS0_10empty_typeEbEEZZNS1_14partition_implILS5_1ELb0ES3_jN6thrust23THRUST_200600_302600_NS6detail15normal_iteratorINSA_10device_ptrIyEEEEPS6_NSA_18transform_iteratorI7is_evenIyESF_NSA_11use_defaultESK_EENS0_5tupleIJSF_SF_EEENSM_IJSG_SG_EEES6_PlJS6_EEE10hipError_tPvRmT3_T4_T5_T6_T7_T9_mT8_P12ihipStream_tbDpT10_ENKUlT_T0_E_clISt17integral_constantIbLb1EES18_IbLb0EEEEDaS14_S15_EUlS14_E_NS1_11comp_targetILNS1_3genE2ELNS1_11target_archE906ELNS1_3gpuE6ELNS1_3repE0EEENS1_30default_config_static_selectorELNS0_4arch9wavefront6targetE1EEEvT1_ ; -- Begin function _ZN7rocprim17ROCPRIM_400000_NS6detail17trampoline_kernelINS0_14default_configENS1_25partition_config_selectorILNS1_17partition_subalgoE1EyNS0_10empty_typeEbEEZZNS1_14partition_implILS5_1ELb0ES3_jN6thrust23THRUST_200600_302600_NS6detail15normal_iteratorINSA_10device_ptrIyEEEEPS6_NSA_18transform_iteratorI7is_evenIyESF_NSA_11use_defaultESK_EENS0_5tupleIJSF_SF_EEENSM_IJSG_SG_EEES6_PlJS6_EEE10hipError_tPvRmT3_T4_T5_T6_T7_T9_mT8_P12ihipStream_tbDpT10_ENKUlT_T0_E_clISt17integral_constantIbLb1EES18_IbLb0EEEEDaS14_S15_EUlS14_E_NS1_11comp_targetILNS1_3genE2ELNS1_11target_archE906ELNS1_3gpuE6ELNS1_3repE0EEENS1_30default_config_static_selectorELNS0_4arch9wavefront6targetE1EEEvT1_
	.globl	_ZN7rocprim17ROCPRIM_400000_NS6detail17trampoline_kernelINS0_14default_configENS1_25partition_config_selectorILNS1_17partition_subalgoE1EyNS0_10empty_typeEbEEZZNS1_14partition_implILS5_1ELb0ES3_jN6thrust23THRUST_200600_302600_NS6detail15normal_iteratorINSA_10device_ptrIyEEEEPS6_NSA_18transform_iteratorI7is_evenIyESF_NSA_11use_defaultESK_EENS0_5tupleIJSF_SF_EEENSM_IJSG_SG_EEES6_PlJS6_EEE10hipError_tPvRmT3_T4_T5_T6_T7_T9_mT8_P12ihipStream_tbDpT10_ENKUlT_T0_E_clISt17integral_constantIbLb1EES18_IbLb0EEEEDaS14_S15_EUlS14_E_NS1_11comp_targetILNS1_3genE2ELNS1_11target_archE906ELNS1_3gpuE6ELNS1_3repE0EEENS1_30default_config_static_selectorELNS0_4arch9wavefront6targetE1EEEvT1_
	.p2align	8
	.type	_ZN7rocprim17ROCPRIM_400000_NS6detail17trampoline_kernelINS0_14default_configENS1_25partition_config_selectorILNS1_17partition_subalgoE1EyNS0_10empty_typeEbEEZZNS1_14partition_implILS5_1ELb0ES3_jN6thrust23THRUST_200600_302600_NS6detail15normal_iteratorINSA_10device_ptrIyEEEEPS6_NSA_18transform_iteratorI7is_evenIyESF_NSA_11use_defaultESK_EENS0_5tupleIJSF_SF_EEENSM_IJSG_SG_EEES6_PlJS6_EEE10hipError_tPvRmT3_T4_T5_T6_T7_T9_mT8_P12ihipStream_tbDpT10_ENKUlT_T0_E_clISt17integral_constantIbLb1EES18_IbLb0EEEEDaS14_S15_EUlS14_E_NS1_11comp_targetILNS1_3genE2ELNS1_11target_archE906ELNS1_3gpuE6ELNS1_3repE0EEENS1_30default_config_static_selectorELNS0_4arch9wavefront6targetE1EEEvT1_,@function
_ZN7rocprim17ROCPRIM_400000_NS6detail17trampoline_kernelINS0_14default_configENS1_25partition_config_selectorILNS1_17partition_subalgoE1EyNS0_10empty_typeEbEEZZNS1_14partition_implILS5_1ELb0ES3_jN6thrust23THRUST_200600_302600_NS6detail15normal_iteratorINSA_10device_ptrIyEEEEPS6_NSA_18transform_iteratorI7is_evenIyESF_NSA_11use_defaultESK_EENS0_5tupleIJSF_SF_EEENSM_IJSG_SG_EEES6_PlJS6_EEE10hipError_tPvRmT3_T4_T5_T6_T7_T9_mT8_P12ihipStream_tbDpT10_ENKUlT_T0_E_clISt17integral_constantIbLb1EES18_IbLb0EEEEDaS14_S15_EUlS14_E_NS1_11comp_targetILNS1_3genE2ELNS1_11target_archE906ELNS1_3gpuE6ELNS1_3repE0EEENS1_30default_config_static_selectorELNS0_4arch9wavefront6targetE1EEEvT1_: ; @_ZN7rocprim17ROCPRIM_400000_NS6detail17trampoline_kernelINS0_14default_configENS1_25partition_config_selectorILNS1_17partition_subalgoE1EyNS0_10empty_typeEbEEZZNS1_14partition_implILS5_1ELb0ES3_jN6thrust23THRUST_200600_302600_NS6detail15normal_iteratorINSA_10device_ptrIyEEEEPS6_NSA_18transform_iteratorI7is_evenIyESF_NSA_11use_defaultESK_EENS0_5tupleIJSF_SF_EEENSM_IJSG_SG_EEES6_PlJS6_EEE10hipError_tPvRmT3_T4_T5_T6_T7_T9_mT8_P12ihipStream_tbDpT10_ENKUlT_T0_E_clISt17integral_constantIbLb1EES18_IbLb0EEEEDaS14_S15_EUlS14_E_NS1_11comp_targetILNS1_3genE2ELNS1_11target_archE906ELNS1_3gpuE6ELNS1_3repE0EEENS1_30default_config_static_selectorELNS0_4arch9wavefront6targetE1EEEvT1_
; %bb.0:
	.section	.rodata,"a",@progbits
	.p2align	6, 0x0
	.amdhsa_kernel _ZN7rocprim17ROCPRIM_400000_NS6detail17trampoline_kernelINS0_14default_configENS1_25partition_config_selectorILNS1_17partition_subalgoE1EyNS0_10empty_typeEbEEZZNS1_14partition_implILS5_1ELb0ES3_jN6thrust23THRUST_200600_302600_NS6detail15normal_iteratorINSA_10device_ptrIyEEEEPS6_NSA_18transform_iteratorI7is_evenIyESF_NSA_11use_defaultESK_EENS0_5tupleIJSF_SF_EEENSM_IJSG_SG_EEES6_PlJS6_EEE10hipError_tPvRmT3_T4_T5_T6_T7_T9_mT8_P12ihipStream_tbDpT10_ENKUlT_T0_E_clISt17integral_constantIbLb1EES18_IbLb0EEEEDaS14_S15_EUlS14_E_NS1_11comp_targetILNS1_3genE2ELNS1_11target_archE906ELNS1_3gpuE6ELNS1_3repE0EEENS1_30default_config_static_selectorELNS0_4arch9wavefront6targetE1EEEvT1_
		.amdhsa_group_segment_fixed_size 0
		.amdhsa_private_segment_fixed_size 0
		.amdhsa_kernarg_size 128
		.amdhsa_user_sgpr_count 2
		.amdhsa_user_sgpr_dispatch_ptr 0
		.amdhsa_user_sgpr_queue_ptr 0
		.amdhsa_user_sgpr_kernarg_segment_ptr 1
		.amdhsa_user_sgpr_dispatch_id 0
		.amdhsa_user_sgpr_kernarg_preload_length 0
		.amdhsa_user_sgpr_kernarg_preload_offset 0
		.amdhsa_user_sgpr_private_segment_size 0
		.amdhsa_uses_dynamic_stack 0
		.amdhsa_enable_private_segment 0
		.amdhsa_system_sgpr_workgroup_id_x 1
		.amdhsa_system_sgpr_workgroup_id_y 0
		.amdhsa_system_sgpr_workgroup_id_z 0
		.amdhsa_system_sgpr_workgroup_info 0
		.amdhsa_system_vgpr_workitem_id 0
		.amdhsa_next_free_vgpr 1
		.amdhsa_next_free_sgpr 0
		.amdhsa_accum_offset 4
		.amdhsa_reserve_vcc 0
		.amdhsa_float_round_mode_32 0
		.amdhsa_float_round_mode_16_64 0
		.amdhsa_float_denorm_mode_32 3
		.amdhsa_float_denorm_mode_16_64 3
		.amdhsa_dx10_clamp 1
		.amdhsa_ieee_mode 1
		.amdhsa_fp16_overflow 0
		.amdhsa_tg_split 0
		.amdhsa_exception_fp_ieee_invalid_op 0
		.amdhsa_exception_fp_denorm_src 0
		.amdhsa_exception_fp_ieee_div_zero 0
		.amdhsa_exception_fp_ieee_overflow 0
		.amdhsa_exception_fp_ieee_underflow 0
		.amdhsa_exception_fp_ieee_inexact 0
		.amdhsa_exception_int_div_zero 0
	.end_amdhsa_kernel
	.section	.text._ZN7rocprim17ROCPRIM_400000_NS6detail17trampoline_kernelINS0_14default_configENS1_25partition_config_selectorILNS1_17partition_subalgoE1EyNS0_10empty_typeEbEEZZNS1_14partition_implILS5_1ELb0ES3_jN6thrust23THRUST_200600_302600_NS6detail15normal_iteratorINSA_10device_ptrIyEEEEPS6_NSA_18transform_iteratorI7is_evenIyESF_NSA_11use_defaultESK_EENS0_5tupleIJSF_SF_EEENSM_IJSG_SG_EEES6_PlJS6_EEE10hipError_tPvRmT3_T4_T5_T6_T7_T9_mT8_P12ihipStream_tbDpT10_ENKUlT_T0_E_clISt17integral_constantIbLb1EES18_IbLb0EEEEDaS14_S15_EUlS14_E_NS1_11comp_targetILNS1_3genE2ELNS1_11target_archE906ELNS1_3gpuE6ELNS1_3repE0EEENS1_30default_config_static_selectorELNS0_4arch9wavefront6targetE1EEEvT1_,"axG",@progbits,_ZN7rocprim17ROCPRIM_400000_NS6detail17trampoline_kernelINS0_14default_configENS1_25partition_config_selectorILNS1_17partition_subalgoE1EyNS0_10empty_typeEbEEZZNS1_14partition_implILS5_1ELb0ES3_jN6thrust23THRUST_200600_302600_NS6detail15normal_iteratorINSA_10device_ptrIyEEEEPS6_NSA_18transform_iteratorI7is_evenIyESF_NSA_11use_defaultESK_EENS0_5tupleIJSF_SF_EEENSM_IJSG_SG_EEES6_PlJS6_EEE10hipError_tPvRmT3_T4_T5_T6_T7_T9_mT8_P12ihipStream_tbDpT10_ENKUlT_T0_E_clISt17integral_constantIbLb1EES18_IbLb0EEEEDaS14_S15_EUlS14_E_NS1_11comp_targetILNS1_3genE2ELNS1_11target_archE906ELNS1_3gpuE6ELNS1_3repE0EEENS1_30default_config_static_selectorELNS0_4arch9wavefront6targetE1EEEvT1_,comdat
.Lfunc_end2223:
	.size	_ZN7rocprim17ROCPRIM_400000_NS6detail17trampoline_kernelINS0_14default_configENS1_25partition_config_selectorILNS1_17partition_subalgoE1EyNS0_10empty_typeEbEEZZNS1_14partition_implILS5_1ELb0ES3_jN6thrust23THRUST_200600_302600_NS6detail15normal_iteratorINSA_10device_ptrIyEEEEPS6_NSA_18transform_iteratorI7is_evenIyESF_NSA_11use_defaultESK_EENS0_5tupleIJSF_SF_EEENSM_IJSG_SG_EEES6_PlJS6_EEE10hipError_tPvRmT3_T4_T5_T6_T7_T9_mT8_P12ihipStream_tbDpT10_ENKUlT_T0_E_clISt17integral_constantIbLb1EES18_IbLb0EEEEDaS14_S15_EUlS14_E_NS1_11comp_targetILNS1_3genE2ELNS1_11target_archE906ELNS1_3gpuE6ELNS1_3repE0EEENS1_30default_config_static_selectorELNS0_4arch9wavefront6targetE1EEEvT1_, .Lfunc_end2223-_ZN7rocprim17ROCPRIM_400000_NS6detail17trampoline_kernelINS0_14default_configENS1_25partition_config_selectorILNS1_17partition_subalgoE1EyNS0_10empty_typeEbEEZZNS1_14partition_implILS5_1ELb0ES3_jN6thrust23THRUST_200600_302600_NS6detail15normal_iteratorINSA_10device_ptrIyEEEEPS6_NSA_18transform_iteratorI7is_evenIyESF_NSA_11use_defaultESK_EENS0_5tupleIJSF_SF_EEENSM_IJSG_SG_EEES6_PlJS6_EEE10hipError_tPvRmT3_T4_T5_T6_T7_T9_mT8_P12ihipStream_tbDpT10_ENKUlT_T0_E_clISt17integral_constantIbLb1EES18_IbLb0EEEEDaS14_S15_EUlS14_E_NS1_11comp_targetILNS1_3genE2ELNS1_11target_archE906ELNS1_3gpuE6ELNS1_3repE0EEENS1_30default_config_static_selectorELNS0_4arch9wavefront6targetE1EEEvT1_
                                        ; -- End function
	.section	.AMDGPU.csdata,"",@progbits
; Kernel info:
; codeLenInByte = 0
; NumSgprs: 6
; NumVgprs: 0
; NumAgprs: 0
; TotalNumVgprs: 0
; ScratchSize: 0
; MemoryBound: 0
; FloatMode: 240
; IeeeMode: 1
; LDSByteSize: 0 bytes/workgroup (compile time only)
; SGPRBlocks: 0
; VGPRBlocks: 0
; NumSGPRsForWavesPerEU: 6
; NumVGPRsForWavesPerEU: 1
; AccumOffset: 4
; Occupancy: 8
; WaveLimiterHint : 0
; COMPUTE_PGM_RSRC2:SCRATCH_EN: 0
; COMPUTE_PGM_RSRC2:USER_SGPR: 2
; COMPUTE_PGM_RSRC2:TRAP_HANDLER: 0
; COMPUTE_PGM_RSRC2:TGID_X_EN: 1
; COMPUTE_PGM_RSRC2:TGID_Y_EN: 0
; COMPUTE_PGM_RSRC2:TGID_Z_EN: 0
; COMPUTE_PGM_RSRC2:TIDIG_COMP_CNT: 0
; COMPUTE_PGM_RSRC3_GFX90A:ACCUM_OFFSET: 0
; COMPUTE_PGM_RSRC3_GFX90A:TG_SPLIT: 0
	.section	.text._ZN7rocprim17ROCPRIM_400000_NS6detail17trampoline_kernelINS0_14default_configENS1_25partition_config_selectorILNS1_17partition_subalgoE1EyNS0_10empty_typeEbEEZZNS1_14partition_implILS5_1ELb0ES3_jN6thrust23THRUST_200600_302600_NS6detail15normal_iteratorINSA_10device_ptrIyEEEEPS6_NSA_18transform_iteratorI7is_evenIyESF_NSA_11use_defaultESK_EENS0_5tupleIJSF_SF_EEENSM_IJSG_SG_EEES6_PlJS6_EEE10hipError_tPvRmT3_T4_T5_T6_T7_T9_mT8_P12ihipStream_tbDpT10_ENKUlT_T0_E_clISt17integral_constantIbLb1EES18_IbLb0EEEEDaS14_S15_EUlS14_E_NS1_11comp_targetILNS1_3genE10ELNS1_11target_archE1200ELNS1_3gpuE4ELNS1_3repE0EEENS1_30default_config_static_selectorELNS0_4arch9wavefront6targetE1EEEvT1_,"axG",@progbits,_ZN7rocprim17ROCPRIM_400000_NS6detail17trampoline_kernelINS0_14default_configENS1_25partition_config_selectorILNS1_17partition_subalgoE1EyNS0_10empty_typeEbEEZZNS1_14partition_implILS5_1ELb0ES3_jN6thrust23THRUST_200600_302600_NS6detail15normal_iteratorINSA_10device_ptrIyEEEEPS6_NSA_18transform_iteratorI7is_evenIyESF_NSA_11use_defaultESK_EENS0_5tupleIJSF_SF_EEENSM_IJSG_SG_EEES6_PlJS6_EEE10hipError_tPvRmT3_T4_T5_T6_T7_T9_mT8_P12ihipStream_tbDpT10_ENKUlT_T0_E_clISt17integral_constantIbLb1EES18_IbLb0EEEEDaS14_S15_EUlS14_E_NS1_11comp_targetILNS1_3genE10ELNS1_11target_archE1200ELNS1_3gpuE4ELNS1_3repE0EEENS1_30default_config_static_selectorELNS0_4arch9wavefront6targetE1EEEvT1_,comdat
	.protected	_ZN7rocprim17ROCPRIM_400000_NS6detail17trampoline_kernelINS0_14default_configENS1_25partition_config_selectorILNS1_17partition_subalgoE1EyNS0_10empty_typeEbEEZZNS1_14partition_implILS5_1ELb0ES3_jN6thrust23THRUST_200600_302600_NS6detail15normal_iteratorINSA_10device_ptrIyEEEEPS6_NSA_18transform_iteratorI7is_evenIyESF_NSA_11use_defaultESK_EENS0_5tupleIJSF_SF_EEENSM_IJSG_SG_EEES6_PlJS6_EEE10hipError_tPvRmT3_T4_T5_T6_T7_T9_mT8_P12ihipStream_tbDpT10_ENKUlT_T0_E_clISt17integral_constantIbLb1EES18_IbLb0EEEEDaS14_S15_EUlS14_E_NS1_11comp_targetILNS1_3genE10ELNS1_11target_archE1200ELNS1_3gpuE4ELNS1_3repE0EEENS1_30default_config_static_selectorELNS0_4arch9wavefront6targetE1EEEvT1_ ; -- Begin function _ZN7rocprim17ROCPRIM_400000_NS6detail17trampoline_kernelINS0_14default_configENS1_25partition_config_selectorILNS1_17partition_subalgoE1EyNS0_10empty_typeEbEEZZNS1_14partition_implILS5_1ELb0ES3_jN6thrust23THRUST_200600_302600_NS6detail15normal_iteratorINSA_10device_ptrIyEEEEPS6_NSA_18transform_iteratorI7is_evenIyESF_NSA_11use_defaultESK_EENS0_5tupleIJSF_SF_EEENSM_IJSG_SG_EEES6_PlJS6_EEE10hipError_tPvRmT3_T4_T5_T6_T7_T9_mT8_P12ihipStream_tbDpT10_ENKUlT_T0_E_clISt17integral_constantIbLb1EES18_IbLb0EEEEDaS14_S15_EUlS14_E_NS1_11comp_targetILNS1_3genE10ELNS1_11target_archE1200ELNS1_3gpuE4ELNS1_3repE0EEENS1_30default_config_static_selectorELNS0_4arch9wavefront6targetE1EEEvT1_
	.globl	_ZN7rocprim17ROCPRIM_400000_NS6detail17trampoline_kernelINS0_14default_configENS1_25partition_config_selectorILNS1_17partition_subalgoE1EyNS0_10empty_typeEbEEZZNS1_14partition_implILS5_1ELb0ES3_jN6thrust23THRUST_200600_302600_NS6detail15normal_iteratorINSA_10device_ptrIyEEEEPS6_NSA_18transform_iteratorI7is_evenIyESF_NSA_11use_defaultESK_EENS0_5tupleIJSF_SF_EEENSM_IJSG_SG_EEES6_PlJS6_EEE10hipError_tPvRmT3_T4_T5_T6_T7_T9_mT8_P12ihipStream_tbDpT10_ENKUlT_T0_E_clISt17integral_constantIbLb1EES18_IbLb0EEEEDaS14_S15_EUlS14_E_NS1_11comp_targetILNS1_3genE10ELNS1_11target_archE1200ELNS1_3gpuE4ELNS1_3repE0EEENS1_30default_config_static_selectorELNS0_4arch9wavefront6targetE1EEEvT1_
	.p2align	8
	.type	_ZN7rocprim17ROCPRIM_400000_NS6detail17trampoline_kernelINS0_14default_configENS1_25partition_config_selectorILNS1_17partition_subalgoE1EyNS0_10empty_typeEbEEZZNS1_14partition_implILS5_1ELb0ES3_jN6thrust23THRUST_200600_302600_NS6detail15normal_iteratorINSA_10device_ptrIyEEEEPS6_NSA_18transform_iteratorI7is_evenIyESF_NSA_11use_defaultESK_EENS0_5tupleIJSF_SF_EEENSM_IJSG_SG_EEES6_PlJS6_EEE10hipError_tPvRmT3_T4_T5_T6_T7_T9_mT8_P12ihipStream_tbDpT10_ENKUlT_T0_E_clISt17integral_constantIbLb1EES18_IbLb0EEEEDaS14_S15_EUlS14_E_NS1_11comp_targetILNS1_3genE10ELNS1_11target_archE1200ELNS1_3gpuE4ELNS1_3repE0EEENS1_30default_config_static_selectorELNS0_4arch9wavefront6targetE1EEEvT1_,@function
_ZN7rocprim17ROCPRIM_400000_NS6detail17trampoline_kernelINS0_14default_configENS1_25partition_config_selectorILNS1_17partition_subalgoE1EyNS0_10empty_typeEbEEZZNS1_14partition_implILS5_1ELb0ES3_jN6thrust23THRUST_200600_302600_NS6detail15normal_iteratorINSA_10device_ptrIyEEEEPS6_NSA_18transform_iteratorI7is_evenIyESF_NSA_11use_defaultESK_EENS0_5tupleIJSF_SF_EEENSM_IJSG_SG_EEES6_PlJS6_EEE10hipError_tPvRmT3_T4_T5_T6_T7_T9_mT8_P12ihipStream_tbDpT10_ENKUlT_T0_E_clISt17integral_constantIbLb1EES18_IbLb0EEEEDaS14_S15_EUlS14_E_NS1_11comp_targetILNS1_3genE10ELNS1_11target_archE1200ELNS1_3gpuE4ELNS1_3repE0EEENS1_30default_config_static_selectorELNS0_4arch9wavefront6targetE1EEEvT1_: ; @_ZN7rocprim17ROCPRIM_400000_NS6detail17trampoline_kernelINS0_14default_configENS1_25partition_config_selectorILNS1_17partition_subalgoE1EyNS0_10empty_typeEbEEZZNS1_14partition_implILS5_1ELb0ES3_jN6thrust23THRUST_200600_302600_NS6detail15normal_iteratorINSA_10device_ptrIyEEEEPS6_NSA_18transform_iteratorI7is_evenIyESF_NSA_11use_defaultESK_EENS0_5tupleIJSF_SF_EEENSM_IJSG_SG_EEES6_PlJS6_EEE10hipError_tPvRmT3_T4_T5_T6_T7_T9_mT8_P12ihipStream_tbDpT10_ENKUlT_T0_E_clISt17integral_constantIbLb1EES18_IbLb0EEEEDaS14_S15_EUlS14_E_NS1_11comp_targetILNS1_3genE10ELNS1_11target_archE1200ELNS1_3gpuE4ELNS1_3repE0EEENS1_30default_config_static_selectorELNS0_4arch9wavefront6targetE1EEEvT1_
; %bb.0:
	.section	.rodata,"a",@progbits
	.p2align	6, 0x0
	.amdhsa_kernel _ZN7rocprim17ROCPRIM_400000_NS6detail17trampoline_kernelINS0_14default_configENS1_25partition_config_selectorILNS1_17partition_subalgoE1EyNS0_10empty_typeEbEEZZNS1_14partition_implILS5_1ELb0ES3_jN6thrust23THRUST_200600_302600_NS6detail15normal_iteratorINSA_10device_ptrIyEEEEPS6_NSA_18transform_iteratorI7is_evenIyESF_NSA_11use_defaultESK_EENS0_5tupleIJSF_SF_EEENSM_IJSG_SG_EEES6_PlJS6_EEE10hipError_tPvRmT3_T4_T5_T6_T7_T9_mT8_P12ihipStream_tbDpT10_ENKUlT_T0_E_clISt17integral_constantIbLb1EES18_IbLb0EEEEDaS14_S15_EUlS14_E_NS1_11comp_targetILNS1_3genE10ELNS1_11target_archE1200ELNS1_3gpuE4ELNS1_3repE0EEENS1_30default_config_static_selectorELNS0_4arch9wavefront6targetE1EEEvT1_
		.amdhsa_group_segment_fixed_size 0
		.amdhsa_private_segment_fixed_size 0
		.amdhsa_kernarg_size 128
		.amdhsa_user_sgpr_count 2
		.amdhsa_user_sgpr_dispatch_ptr 0
		.amdhsa_user_sgpr_queue_ptr 0
		.amdhsa_user_sgpr_kernarg_segment_ptr 1
		.amdhsa_user_sgpr_dispatch_id 0
		.amdhsa_user_sgpr_kernarg_preload_length 0
		.amdhsa_user_sgpr_kernarg_preload_offset 0
		.amdhsa_user_sgpr_private_segment_size 0
		.amdhsa_uses_dynamic_stack 0
		.amdhsa_enable_private_segment 0
		.amdhsa_system_sgpr_workgroup_id_x 1
		.amdhsa_system_sgpr_workgroup_id_y 0
		.amdhsa_system_sgpr_workgroup_id_z 0
		.amdhsa_system_sgpr_workgroup_info 0
		.amdhsa_system_vgpr_workitem_id 0
		.amdhsa_next_free_vgpr 1
		.amdhsa_next_free_sgpr 0
		.amdhsa_accum_offset 4
		.amdhsa_reserve_vcc 0
		.amdhsa_float_round_mode_32 0
		.amdhsa_float_round_mode_16_64 0
		.amdhsa_float_denorm_mode_32 3
		.amdhsa_float_denorm_mode_16_64 3
		.amdhsa_dx10_clamp 1
		.amdhsa_ieee_mode 1
		.amdhsa_fp16_overflow 0
		.amdhsa_tg_split 0
		.amdhsa_exception_fp_ieee_invalid_op 0
		.amdhsa_exception_fp_denorm_src 0
		.amdhsa_exception_fp_ieee_div_zero 0
		.amdhsa_exception_fp_ieee_overflow 0
		.amdhsa_exception_fp_ieee_underflow 0
		.amdhsa_exception_fp_ieee_inexact 0
		.amdhsa_exception_int_div_zero 0
	.end_amdhsa_kernel
	.section	.text._ZN7rocprim17ROCPRIM_400000_NS6detail17trampoline_kernelINS0_14default_configENS1_25partition_config_selectorILNS1_17partition_subalgoE1EyNS0_10empty_typeEbEEZZNS1_14partition_implILS5_1ELb0ES3_jN6thrust23THRUST_200600_302600_NS6detail15normal_iteratorINSA_10device_ptrIyEEEEPS6_NSA_18transform_iteratorI7is_evenIyESF_NSA_11use_defaultESK_EENS0_5tupleIJSF_SF_EEENSM_IJSG_SG_EEES6_PlJS6_EEE10hipError_tPvRmT3_T4_T5_T6_T7_T9_mT8_P12ihipStream_tbDpT10_ENKUlT_T0_E_clISt17integral_constantIbLb1EES18_IbLb0EEEEDaS14_S15_EUlS14_E_NS1_11comp_targetILNS1_3genE10ELNS1_11target_archE1200ELNS1_3gpuE4ELNS1_3repE0EEENS1_30default_config_static_selectorELNS0_4arch9wavefront6targetE1EEEvT1_,"axG",@progbits,_ZN7rocprim17ROCPRIM_400000_NS6detail17trampoline_kernelINS0_14default_configENS1_25partition_config_selectorILNS1_17partition_subalgoE1EyNS0_10empty_typeEbEEZZNS1_14partition_implILS5_1ELb0ES3_jN6thrust23THRUST_200600_302600_NS6detail15normal_iteratorINSA_10device_ptrIyEEEEPS6_NSA_18transform_iteratorI7is_evenIyESF_NSA_11use_defaultESK_EENS0_5tupleIJSF_SF_EEENSM_IJSG_SG_EEES6_PlJS6_EEE10hipError_tPvRmT3_T4_T5_T6_T7_T9_mT8_P12ihipStream_tbDpT10_ENKUlT_T0_E_clISt17integral_constantIbLb1EES18_IbLb0EEEEDaS14_S15_EUlS14_E_NS1_11comp_targetILNS1_3genE10ELNS1_11target_archE1200ELNS1_3gpuE4ELNS1_3repE0EEENS1_30default_config_static_selectorELNS0_4arch9wavefront6targetE1EEEvT1_,comdat
.Lfunc_end2224:
	.size	_ZN7rocprim17ROCPRIM_400000_NS6detail17trampoline_kernelINS0_14default_configENS1_25partition_config_selectorILNS1_17partition_subalgoE1EyNS0_10empty_typeEbEEZZNS1_14partition_implILS5_1ELb0ES3_jN6thrust23THRUST_200600_302600_NS6detail15normal_iteratorINSA_10device_ptrIyEEEEPS6_NSA_18transform_iteratorI7is_evenIyESF_NSA_11use_defaultESK_EENS0_5tupleIJSF_SF_EEENSM_IJSG_SG_EEES6_PlJS6_EEE10hipError_tPvRmT3_T4_T5_T6_T7_T9_mT8_P12ihipStream_tbDpT10_ENKUlT_T0_E_clISt17integral_constantIbLb1EES18_IbLb0EEEEDaS14_S15_EUlS14_E_NS1_11comp_targetILNS1_3genE10ELNS1_11target_archE1200ELNS1_3gpuE4ELNS1_3repE0EEENS1_30default_config_static_selectorELNS0_4arch9wavefront6targetE1EEEvT1_, .Lfunc_end2224-_ZN7rocprim17ROCPRIM_400000_NS6detail17trampoline_kernelINS0_14default_configENS1_25partition_config_selectorILNS1_17partition_subalgoE1EyNS0_10empty_typeEbEEZZNS1_14partition_implILS5_1ELb0ES3_jN6thrust23THRUST_200600_302600_NS6detail15normal_iteratorINSA_10device_ptrIyEEEEPS6_NSA_18transform_iteratorI7is_evenIyESF_NSA_11use_defaultESK_EENS0_5tupleIJSF_SF_EEENSM_IJSG_SG_EEES6_PlJS6_EEE10hipError_tPvRmT3_T4_T5_T6_T7_T9_mT8_P12ihipStream_tbDpT10_ENKUlT_T0_E_clISt17integral_constantIbLb1EES18_IbLb0EEEEDaS14_S15_EUlS14_E_NS1_11comp_targetILNS1_3genE10ELNS1_11target_archE1200ELNS1_3gpuE4ELNS1_3repE0EEENS1_30default_config_static_selectorELNS0_4arch9wavefront6targetE1EEEvT1_
                                        ; -- End function
	.section	.AMDGPU.csdata,"",@progbits
; Kernel info:
; codeLenInByte = 0
; NumSgprs: 6
; NumVgprs: 0
; NumAgprs: 0
; TotalNumVgprs: 0
; ScratchSize: 0
; MemoryBound: 0
; FloatMode: 240
; IeeeMode: 1
; LDSByteSize: 0 bytes/workgroup (compile time only)
; SGPRBlocks: 0
; VGPRBlocks: 0
; NumSGPRsForWavesPerEU: 6
; NumVGPRsForWavesPerEU: 1
; AccumOffset: 4
; Occupancy: 8
; WaveLimiterHint : 0
; COMPUTE_PGM_RSRC2:SCRATCH_EN: 0
; COMPUTE_PGM_RSRC2:USER_SGPR: 2
; COMPUTE_PGM_RSRC2:TRAP_HANDLER: 0
; COMPUTE_PGM_RSRC2:TGID_X_EN: 1
; COMPUTE_PGM_RSRC2:TGID_Y_EN: 0
; COMPUTE_PGM_RSRC2:TGID_Z_EN: 0
; COMPUTE_PGM_RSRC2:TIDIG_COMP_CNT: 0
; COMPUTE_PGM_RSRC3_GFX90A:ACCUM_OFFSET: 0
; COMPUTE_PGM_RSRC3_GFX90A:TG_SPLIT: 0
	.section	.text._ZN7rocprim17ROCPRIM_400000_NS6detail17trampoline_kernelINS0_14default_configENS1_25partition_config_selectorILNS1_17partition_subalgoE1EyNS0_10empty_typeEbEEZZNS1_14partition_implILS5_1ELb0ES3_jN6thrust23THRUST_200600_302600_NS6detail15normal_iteratorINSA_10device_ptrIyEEEEPS6_NSA_18transform_iteratorI7is_evenIyESF_NSA_11use_defaultESK_EENS0_5tupleIJSF_SF_EEENSM_IJSG_SG_EEES6_PlJS6_EEE10hipError_tPvRmT3_T4_T5_T6_T7_T9_mT8_P12ihipStream_tbDpT10_ENKUlT_T0_E_clISt17integral_constantIbLb1EES18_IbLb0EEEEDaS14_S15_EUlS14_E_NS1_11comp_targetILNS1_3genE9ELNS1_11target_archE1100ELNS1_3gpuE3ELNS1_3repE0EEENS1_30default_config_static_selectorELNS0_4arch9wavefront6targetE1EEEvT1_,"axG",@progbits,_ZN7rocprim17ROCPRIM_400000_NS6detail17trampoline_kernelINS0_14default_configENS1_25partition_config_selectorILNS1_17partition_subalgoE1EyNS0_10empty_typeEbEEZZNS1_14partition_implILS5_1ELb0ES3_jN6thrust23THRUST_200600_302600_NS6detail15normal_iteratorINSA_10device_ptrIyEEEEPS6_NSA_18transform_iteratorI7is_evenIyESF_NSA_11use_defaultESK_EENS0_5tupleIJSF_SF_EEENSM_IJSG_SG_EEES6_PlJS6_EEE10hipError_tPvRmT3_T4_T5_T6_T7_T9_mT8_P12ihipStream_tbDpT10_ENKUlT_T0_E_clISt17integral_constantIbLb1EES18_IbLb0EEEEDaS14_S15_EUlS14_E_NS1_11comp_targetILNS1_3genE9ELNS1_11target_archE1100ELNS1_3gpuE3ELNS1_3repE0EEENS1_30default_config_static_selectorELNS0_4arch9wavefront6targetE1EEEvT1_,comdat
	.protected	_ZN7rocprim17ROCPRIM_400000_NS6detail17trampoline_kernelINS0_14default_configENS1_25partition_config_selectorILNS1_17partition_subalgoE1EyNS0_10empty_typeEbEEZZNS1_14partition_implILS5_1ELb0ES3_jN6thrust23THRUST_200600_302600_NS6detail15normal_iteratorINSA_10device_ptrIyEEEEPS6_NSA_18transform_iteratorI7is_evenIyESF_NSA_11use_defaultESK_EENS0_5tupleIJSF_SF_EEENSM_IJSG_SG_EEES6_PlJS6_EEE10hipError_tPvRmT3_T4_T5_T6_T7_T9_mT8_P12ihipStream_tbDpT10_ENKUlT_T0_E_clISt17integral_constantIbLb1EES18_IbLb0EEEEDaS14_S15_EUlS14_E_NS1_11comp_targetILNS1_3genE9ELNS1_11target_archE1100ELNS1_3gpuE3ELNS1_3repE0EEENS1_30default_config_static_selectorELNS0_4arch9wavefront6targetE1EEEvT1_ ; -- Begin function _ZN7rocprim17ROCPRIM_400000_NS6detail17trampoline_kernelINS0_14default_configENS1_25partition_config_selectorILNS1_17partition_subalgoE1EyNS0_10empty_typeEbEEZZNS1_14partition_implILS5_1ELb0ES3_jN6thrust23THRUST_200600_302600_NS6detail15normal_iteratorINSA_10device_ptrIyEEEEPS6_NSA_18transform_iteratorI7is_evenIyESF_NSA_11use_defaultESK_EENS0_5tupleIJSF_SF_EEENSM_IJSG_SG_EEES6_PlJS6_EEE10hipError_tPvRmT3_T4_T5_T6_T7_T9_mT8_P12ihipStream_tbDpT10_ENKUlT_T0_E_clISt17integral_constantIbLb1EES18_IbLb0EEEEDaS14_S15_EUlS14_E_NS1_11comp_targetILNS1_3genE9ELNS1_11target_archE1100ELNS1_3gpuE3ELNS1_3repE0EEENS1_30default_config_static_selectorELNS0_4arch9wavefront6targetE1EEEvT1_
	.globl	_ZN7rocprim17ROCPRIM_400000_NS6detail17trampoline_kernelINS0_14default_configENS1_25partition_config_selectorILNS1_17partition_subalgoE1EyNS0_10empty_typeEbEEZZNS1_14partition_implILS5_1ELb0ES3_jN6thrust23THRUST_200600_302600_NS6detail15normal_iteratorINSA_10device_ptrIyEEEEPS6_NSA_18transform_iteratorI7is_evenIyESF_NSA_11use_defaultESK_EENS0_5tupleIJSF_SF_EEENSM_IJSG_SG_EEES6_PlJS6_EEE10hipError_tPvRmT3_T4_T5_T6_T7_T9_mT8_P12ihipStream_tbDpT10_ENKUlT_T0_E_clISt17integral_constantIbLb1EES18_IbLb0EEEEDaS14_S15_EUlS14_E_NS1_11comp_targetILNS1_3genE9ELNS1_11target_archE1100ELNS1_3gpuE3ELNS1_3repE0EEENS1_30default_config_static_selectorELNS0_4arch9wavefront6targetE1EEEvT1_
	.p2align	8
	.type	_ZN7rocprim17ROCPRIM_400000_NS6detail17trampoline_kernelINS0_14default_configENS1_25partition_config_selectorILNS1_17partition_subalgoE1EyNS0_10empty_typeEbEEZZNS1_14partition_implILS5_1ELb0ES3_jN6thrust23THRUST_200600_302600_NS6detail15normal_iteratorINSA_10device_ptrIyEEEEPS6_NSA_18transform_iteratorI7is_evenIyESF_NSA_11use_defaultESK_EENS0_5tupleIJSF_SF_EEENSM_IJSG_SG_EEES6_PlJS6_EEE10hipError_tPvRmT3_T4_T5_T6_T7_T9_mT8_P12ihipStream_tbDpT10_ENKUlT_T0_E_clISt17integral_constantIbLb1EES18_IbLb0EEEEDaS14_S15_EUlS14_E_NS1_11comp_targetILNS1_3genE9ELNS1_11target_archE1100ELNS1_3gpuE3ELNS1_3repE0EEENS1_30default_config_static_selectorELNS0_4arch9wavefront6targetE1EEEvT1_,@function
_ZN7rocprim17ROCPRIM_400000_NS6detail17trampoline_kernelINS0_14default_configENS1_25partition_config_selectorILNS1_17partition_subalgoE1EyNS0_10empty_typeEbEEZZNS1_14partition_implILS5_1ELb0ES3_jN6thrust23THRUST_200600_302600_NS6detail15normal_iteratorINSA_10device_ptrIyEEEEPS6_NSA_18transform_iteratorI7is_evenIyESF_NSA_11use_defaultESK_EENS0_5tupleIJSF_SF_EEENSM_IJSG_SG_EEES6_PlJS6_EEE10hipError_tPvRmT3_T4_T5_T6_T7_T9_mT8_P12ihipStream_tbDpT10_ENKUlT_T0_E_clISt17integral_constantIbLb1EES18_IbLb0EEEEDaS14_S15_EUlS14_E_NS1_11comp_targetILNS1_3genE9ELNS1_11target_archE1100ELNS1_3gpuE3ELNS1_3repE0EEENS1_30default_config_static_selectorELNS0_4arch9wavefront6targetE1EEEvT1_: ; @_ZN7rocprim17ROCPRIM_400000_NS6detail17trampoline_kernelINS0_14default_configENS1_25partition_config_selectorILNS1_17partition_subalgoE1EyNS0_10empty_typeEbEEZZNS1_14partition_implILS5_1ELb0ES3_jN6thrust23THRUST_200600_302600_NS6detail15normal_iteratorINSA_10device_ptrIyEEEEPS6_NSA_18transform_iteratorI7is_evenIyESF_NSA_11use_defaultESK_EENS0_5tupleIJSF_SF_EEENSM_IJSG_SG_EEES6_PlJS6_EEE10hipError_tPvRmT3_T4_T5_T6_T7_T9_mT8_P12ihipStream_tbDpT10_ENKUlT_T0_E_clISt17integral_constantIbLb1EES18_IbLb0EEEEDaS14_S15_EUlS14_E_NS1_11comp_targetILNS1_3genE9ELNS1_11target_archE1100ELNS1_3gpuE3ELNS1_3repE0EEENS1_30default_config_static_selectorELNS0_4arch9wavefront6targetE1EEEvT1_
; %bb.0:
	.section	.rodata,"a",@progbits
	.p2align	6, 0x0
	.amdhsa_kernel _ZN7rocprim17ROCPRIM_400000_NS6detail17trampoline_kernelINS0_14default_configENS1_25partition_config_selectorILNS1_17partition_subalgoE1EyNS0_10empty_typeEbEEZZNS1_14partition_implILS5_1ELb0ES3_jN6thrust23THRUST_200600_302600_NS6detail15normal_iteratorINSA_10device_ptrIyEEEEPS6_NSA_18transform_iteratorI7is_evenIyESF_NSA_11use_defaultESK_EENS0_5tupleIJSF_SF_EEENSM_IJSG_SG_EEES6_PlJS6_EEE10hipError_tPvRmT3_T4_T5_T6_T7_T9_mT8_P12ihipStream_tbDpT10_ENKUlT_T0_E_clISt17integral_constantIbLb1EES18_IbLb0EEEEDaS14_S15_EUlS14_E_NS1_11comp_targetILNS1_3genE9ELNS1_11target_archE1100ELNS1_3gpuE3ELNS1_3repE0EEENS1_30default_config_static_selectorELNS0_4arch9wavefront6targetE1EEEvT1_
		.amdhsa_group_segment_fixed_size 0
		.amdhsa_private_segment_fixed_size 0
		.amdhsa_kernarg_size 128
		.amdhsa_user_sgpr_count 2
		.amdhsa_user_sgpr_dispatch_ptr 0
		.amdhsa_user_sgpr_queue_ptr 0
		.amdhsa_user_sgpr_kernarg_segment_ptr 1
		.amdhsa_user_sgpr_dispatch_id 0
		.amdhsa_user_sgpr_kernarg_preload_length 0
		.amdhsa_user_sgpr_kernarg_preload_offset 0
		.amdhsa_user_sgpr_private_segment_size 0
		.amdhsa_uses_dynamic_stack 0
		.amdhsa_enable_private_segment 0
		.amdhsa_system_sgpr_workgroup_id_x 1
		.amdhsa_system_sgpr_workgroup_id_y 0
		.amdhsa_system_sgpr_workgroup_id_z 0
		.amdhsa_system_sgpr_workgroup_info 0
		.amdhsa_system_vgpr_workitem_id 0
		.amdhsa_next_free_vgpr 1
		.amdhsa_next_free_sgpr 0
		.amdhsa_accum_offset 4
		.amdhsa_reserve_vcc 0
		.amdhsa_float_round_mode_32 0
		.amdhsa_float_round_mode_16_64 0
		.amdhsa_float_denorm_mode_32 3
		.amdhsa_float_denorm_mode_16_64 3
		.amdhsa_dx10_clamp 1
		.amdhsa_ieee_mode 1
		.amdhsa_fp16_overflow 0
		.amdhsa_tg_split 0
		.amdhsa_exception_fp_ieee_invalid_op 0
		.amdhsa_exception_fp_denorm_src 0
		.amdhsa_exception_fp_ieee_div_zero 0
		.amdhsa_exception_fp_ieee_overflow 0
		.amdhsa_exception_fp_ieee_underflow 0
		.amdhsa_exception_fp_ieee_inexact 0
		.amdhsa_exception_int_div_zero 0
	.end_amdhsa_kernel
	.section	.text._ZN7rocprim17ROCPRIM_400000_NS6detail17trampoline_kernelINS0_14default_configENS1_25partition_config_selectorILNS1_17partition_subalgoE1EyNS0_10empty_typeEbEEZZNS1_14partition_implILS5_1ELb0ES3_jN6thrust23THRUST_200600_302600_NS6detail15normal_iteratorINSA_10device_ptrIyEEEEPS6_NSA_18transform_iteratorI7is_evenIyESF_NSA_11use_defaultESK_EENS0_5tupleIJSF_SF_EEENSM_IJSG_SG_EEES6_PlJS6_EEE10hipError_tPvRmT3_T4_T5_T6_T7_T9_mT8_P12ihipStream_tbDpT10_ENKUlT_T0_E_clISt17integral_constantIbLb1EES18_IbLb0EEEEDaS14_S15_EUlS14_E_NS1_11comp_targetILNS1_3genE9ELNS1_11target_archE1100ELNS1_3gpuE3ELNS1_3repE0EEENS1_30default_config_static_selectorELNS0_4arch9wavefront6targetE1EEEvT1_,"axG",@progbits,_ZN7rocprim17ROCPRIM_400000_NS6detail17trampoline_kernelINS0_14default_configENS1_25partition_config_selectorILNS1_17partition_subalgoE1EyNS0_10empty_typeEbEEZZNS1_14partition_implILS5_1ELb0ES3_jN6thrust23THRUST_200600_302600_NS6detail15normal_iteratorINSA_10device_ptrIyEEEEPS6_NSA_18transform_iteratorI7is_evenIyESF_NSA_11use_defaultESK_EENS0_5tupleIJSF_SF_EEENSM_IJSG_SG_EEES6_PlJS6_EEE10hipError_tPvRmT3_T4_T5_T6_T7_T9_mT8_P12ihipStream_tbDpT10_ENKUlT_T0_E_clISt17integral_constantIbLb1EES18_IbLb0EEEEDaS14_S15_EUlS14_E_NS1_11comp_targetILNS1_3genE9ELNS1_11target_archE1100ELNS1_3gpuE3ELNS1_3repE0EEENS1_30default_config_static_selectorELNS0_4arch9wavefront6targetE1EEEvT1_,comdat
.Lfunc_end2225:
	.size	_ZN7rocprim17ROCPRIM_400000_NS6detail17trampoline_kernelINS0_14default_configENS1_25partition_config_selectorILNS1_17partition_subalgoE1EyNS0_10empty_typeEbEEZZNS1_14partition_implILS5_1ELb0ES3_jN6thrust23THRUST_200600_302600_NS6detail15normal_iteratorINSA_10device_ptrIyEEEEPS6_NSA_18transform_iteratorI7is_evenIyESF_NSA_11use_defaultESK_EENS0_5tupleIJSF_SF_EEENSM_IJSG_SG_EEES6_PlJS6_EEE10hipError_tPvRmT3_T4_T5_T6_T7_T9_mT8_P12ihipStream_tbDpT10_ENKUlT_T0_E_clISt17integral_constantIbLb1EES18_IbLb0EEEEDaS14_S15_EUlS14_E_NS1_11comp_targetILNS1_3genE9ELNS1_11target_archE1100ELNS1_3gpuE3ELNS1_3repE0EEENS1_30default_config_static_selectorELNS0_4arch9wavefront6targetE1EEEvT1_, .Lfunc_end2225-_ZN7rocprim17ROCPRIM_400000_NS6detail17trampoline_kernelINS0_14default_configENS1_25partition_config_selectorILNS1_17partition_subalgoE1EyNS0_10empty_typeEbEEZZNS1_14partition_implILS5_1ELb0ES3_jN6thrust23THRUST_200600_302600_NS6detail15normal_iteratorINSA_10device_ptrIyEEEEPS6_NSA_18transform_iteratorI7is_evenIyESF_NSA_11use_defaultESK_EENS0_5tupleIJSF_SF_EEENSM_IJSG_SG_EEES6_PlJS6_EEE10hipError_tPvRmT3_T4_T5_T6_T7_T9_mT8_P12ihipStream_tbDpT10_ENKUlT_T0_E_clISt17integral_constantIbLb1EES18_IbLb0EEEEDaS14_S15_EUlS14_E_NS1_11comp_targetILNS1_3genE9ELNS1_11target_archE1100ELNS1_3gpuE3ELNS1_3repE0EEENS1_30default_config_static_selectorELNS0_4arch9wavefront6targetE1EEEvT1_
                                        ; -- End function
	.section	.AMDGPU.csdata,"",@progbits
; Kernel info:
; codeLenInByte = 0
; NumSgprs: 6
; NumVgprs: 0
; NumAgprs: 0
; TotalNumVgprs: 0
; ScratchSize: 0
; MemoryBound: 0
; FloatMode: 240
; IeeeMode: 1
; LDSByteSize: 0 bytes/workgroup (compile time only)
; SGPRBlocks: 0
; VGPRBlocks: 0
; NumSGPRsForWavesPerEU: 6
; NumVGPRsForWavesPerEU: 1
; AccumOffset: 4
; Occupancy: 8
; WaveLimiterHint : 0
; COMPUTE_PGM_RSRC2:SCRATCH_EN: 0
; COMPUTE_PGM_RSRC2:USER_SGPR: 2
; COMPUTE_PGM_RSRC2:TRAP_HANDLER: 0
; COMPUTE_PGM_RSRC2:TGID_X_EN: 1
; COMPUTE_PGM_RSRC2:TGID_Y_EN: 0
; COMPUTE_PGM_RSRC2:TGID_Z_EN: 0
; COMPUTE_PGM_RSRC2:TIDIG_COMP_CNT: 0
; COMPUTE_PGM_RSRC3_GFX90A:ACCUM_OFFSET: 0
; COMPUTE_PGM_RSRC3_GFX90A:TG_SPLIT: 0
	.section	.text._ZN7rocprim17ROCPRIM_400000_NS6detail17trampoline_kernelINS0_14default_configENS1_25partition_config_selectorILNS1_17partition_subalgoE1EyNS0_10empty_typeEbEEZZNS1_14partition_implILS5_1ELb0ES3_jN6thrust23THRUST_200600_302600_NS6detail15normal_iteratorINSA_10device_ptrIyEEEEPS6_NSA_18transform_iteratorI7is_evenIyESF_NSA_11use_defaultESK_EENS0_5tupleIJSF_SF_EEENSM_IJSG_SG_EEES6_PlJS6_EEE10hipError_tPvRmT3_T4_T5_T6_T7_T9_mT8_P12ihipStream_tbDpT10_ENKUlT_T0_E_clISt17integral_constantIbLb1EES18_IbLb0EEEEDaS14_S15_EUlS14_E_NS1_11comp_targetILNS1_3genE8ELNS1_11target_archE1030ELNS1_3gpuE2ELNS1_3repE0EEENS1_30default_config_static_selectorELNS0_4arch9wavefront6targetE1EEEvT1_,"axG",@progbits,_ZN7rocprim17ROCPRIM_400000_NS6detail17trampoline_kernelINS0_14default_configENS1_25partition_config_selectorILNS1_17partition_subalgoE1EyNS0_10empty_typeEbEEZZNS1_14partition_implILS5_1ELb0ES3_jN6thrust23THRUST_200600_302600_NS6detail15normal_iteratorINSA_10device_ptrIyEEEEPS6_NSA_18transform_iteratorI7is_evenIyESF_NSA_11use_defaultESK_EENS0_5tupleIJSF_SF_EEENSM_IJSG_SG_EEES6_PlJS6_EEE10hipError_tPvRmT3_T4_T5_T6_T7_T9_mT8_P12ihipStream_tbDpT10_ENKUlT_T0_E_clISt17integral_constantIbLb1EES18_IbLb0EEEEDaS14_S15_EUlS14_E_NS1_11comp_targetILNS1_3genE8ELNS1_11target_archE1030ELNS1_3gpuE2ELNS1_3repE0EEENS1_30default_config_static_selectorELNS0_4arch9wavefront6targetE1EEEvT1_,comdat
	.protected	_ZN7rocprim17ROCPRIM_400000_NS6detail17trampoline_kernelINS0_14default_configENS1_25partition_config_selectorILNS1_17partition_subalgoE1EyNS0_10empty_typeEbEEZZNS1_14partition_implILS5_1ELb0ES3_jN6thrust23THRUST_200600_302600_NS6detail15normal_iteratorINSA_10device_ptrIyEEEEPS6_NSA_18transform_iteratorI7is_evenIyESF_NSA_11use_defaultESK_EENS0_5tupleIJSF_SF_EEENSM_IJSG_SG_EEES6_PlJS6_EEE10hipError_tPvRmT3_T4_T5_T6_T7_T9_mT8_P12ihipStream_tbDpT10_ENKUlT_T0_E_clISt17integral_constantIbLb1EES18_IbLb0EEEEDaS14_S15_EUlS14_E_NS1_11comp_targetILNS1_3genE8ELNS1_11target_archE1030ELNS1_3gpuE2ELNS1_3repE0EEENS1_30default_config_static_selectorELNS0_4arch9wavefront6targetE1EEEvT1_ ; -- Begin function _ZN7rocprim17ROCPRIM_400000_NS6detail17trampoline_kernelINS0_14default_configENS1_25partition_config_selectorILNS1_17partition_subalgoE1EyNS0_10empty_typeEbEEZZNS1_14partition_implILS5_1ELb0ES3_jN6thrust23THRUST_200600_302600_NS6detail15normal_iteratorINSA_10device_ptrIyEEEEPS6_NSA_18transform_iteratorI7is_evenIyESF_NSA_11use_defaultESK_EENS0_5tupleIJSF_SF_EEENSM_IJSG_SG_EEES6_PlJS6_EEE10hipError_tPvRmT3_T4_T5_T6_T7_T9_mT8_P12ihipStream_tbDpT10_ENKUlT_T0_E_clISt17integral_constantIbLb1EES18_IbLb0EEEEDaS14_S15_EUlS14_E_NS1_11comp_targetILNS1_3genE8ELNS1_11target_archE1030ELNS1_3gpuE2ELNS1_3repE0EEENS1_30default_config_static_selectorELNS0_4arch9wavefront6targetE1EEEvT1_
	.globl	_ZN7rocprim17ROCPRIM_400000_NS6detail17trampoline_kernelINS0_14default_configENS1_25partition_config_selectorILNS1_17partition_subalgoE1EyNS0_10empty_typeEbEEZZNS1_14partition_implILS5_1ELb0ES3_jN6thrust23THRUST_200600_302600_NS6detail15normal_iteratorINSA_10device_ptrIyEEEEPS6_NSA_18transform_iteratorI7is_evenIyESF_NSA_11use_defaultESK_EENS0_5tupleIJSF_SF_EEENSM_IJSG_SG_EEES6_PlJS6_EEE10hipError_tPvRmT3_T4_T5_T6_T7_T9_mT8_P12ihipStream_tbDpT10_ENKUlT_T0_E_clISt17integral_constantIbLb1EES18_IbLb0EEEEDaS14_S15_EUlS14_E_NS1_11comp_targetILNS1_3genE8ELNS1_11target_archE1030ELNS1_3gpuE2ELNS1_3repE0EEENS1_30default_config_static_selectorELNS0_4arch9wavefront6targetE1EEEvT1_
	.p2align	8
	.type	_ZN7rocprim17ROCPRIM_400000_NS6detail17trampoline_kernelINS0_14default_configENS1_25partition_config_selectorILNS1_17partition_subalgoE1EyNS0_10empty_typeEbEEZZNS1_14partition_implILS5_1ELb0ES3_jN6thrust23THRUST_200600_302600_NS6detail15normal_iteratorINSA_10device_ptrIyEEEEPS6_NSA_18transform_iteratorI7is_evenIyESF_NSA_11use_defaultESK_EENS0_5tupleIJSF_SF_EEENSM_IJSG_SG_EEES6_PlJS6_EEE10hipError_tPvRmT3_T4_T5_T6_T7_T9_mT8_P12ihipStream_tbDpT10_ENKUlT_T0_E_clISt17integral_constantIbLb1EES18_IbLb0EEEEDaS14_S15_EUlS14_E_NS1_11comp_targetILNS1_3genE8ELNS1_11target_archE1030ELNS1_3gpuE2ELNS1_3repE0EEENS1_30default_config_static_selectorELNS0_4arch9wavefront6targetE1EEEvT1_,@function
_ZN7rocprim17ROCPRIM_400000_NS6detail17trampoline_kernelINS0_14default_configENS1_25partition_config_selectorILNS1_17partition_subalgoE1EyNS0_10empty_typeEbEEZZNS1_14partition_implILS5_1ELb0ES3_jN6thrust23THRUST_200600_302600_NS6detail15normal_iteratorINSA_10device_ptrIyEEEEPS6_NSA_18transform_iteratorI7is_evenIyESF_NSA_11use_defaultESK_EENS0_5tupleIJSF_SF_EEENSM_IJSG_SG_EEES6_PlJS6_EEE10hipError_tPvRmT3_T4_T5_T6_T7_T9_mT8_P12ihipStream_tbDpT10_ENKUlT_T0_E_clISt17integral_constantIbLb1EES18_IbLb0EEEEDaS14_S15_EUlS14_E_NS1_11comp_targetILNS1_3genE8ELNS1_11target_archE1030ELNS1_3gpuE2ELNS1_3repE0EEENS1_30default_config_static_selectorELNS0_4arch9wavefront6targetE1EEEvT1_: ; @_ZN7rocprim17ROCPRIM_400000_NS6detail17trampoline_kernelINS0_14default_configENS1_25partition_config_selectorILNS1_17partition_subalgoE1EyNS0_10empty_typeEbEEZZNS1_14partition_implILS5_1ELb0ES3_jN6thrust23THRUST_200600_302600_NS6detail15normal_iteratorINSA_10device_ptrIyEEEEPS6_NSA_18transform_iteratorI7is_evenIyESF_NSA_11use_defaultESK_EENS0_5tupleIJSF_SF_EEENSM_IJSG_SG_EEES6_PlJS6_EEE10hipError_tPvRmT3_T4_T5_T6_T7_T9_mT8_P12ihipStream_tbDpT10_ENKUlT_T0_E_clISt17integral_constantIbLb1EES18_IbLb0EEEEDaS14_S15_EUlS14_E_NS1_11comp_targetILNS1_3genE8ELNS1_11target_archE1030ELNS1_3gpuE2ELNS1_3repE0EEENS1_30default_config_static_selectorELNS0_4arch9wavefront6targetE1EEEvT1_
; %bb.0:
	.section	.rodata,"a",@progbits
	.p2align	6, 0x0
	.amdhsa_kernel _ZN7rocprim17ROCPRIM_400000_NS6detail17trampoline_kernelINS0_14default_configENS1_25partition_config_selectorILNS1_17partition_subalgoE1EyNS0_10empty_typeEbEEZZNS1_14partition_implILS5_1ELb0ES3_jN6thrust23THRUST_200600_302600_NS6detail15normal_iteratorINSA_10device_ptrIyEEEEPS6_NSA_18transform_iteratorI7is_evenIyESF_NSA_11use_defaultESK_EENS0_5tupleIJSF_SF_EEENSM_IJSG_SG_EEES6_PlJS6_EEE10hipError_tPvRmT3_T4_T5_T6_T7_T9_mT8_P12ihipStream_tbDpT10_ENKUlT_T0_E_clISt17integral_constantIbLb1EES18_IbLb0EEEEDaS14_S15_EUlS14_E_NS1_11comp_targetILNS1_3genE8ELNS1_11target_archE1030ELNS1_3gpuE2ELNS1_3repE0EEENS1_30default_config_static_selectorELNS0_4arch9wavefront6targetE1EEEvT1_
		.amdhsa_group_segment_fixed_size 0
		.amdhsa_private_segment_fixed_size 0
		.amdhsa_kernarg_size 128
		.amdhsa_user_sgpr_count 2
		.amdhsa_user_sgpr_dispatch_ptr 0
		.amdhsa_user_sgpr_queue_ptr 0
		.amdhsa_user_sgpr_kernarg_segment_ptr 1
		.amdhsa_user_sgpr_dispatch_id 0
		.amdhsa_user_sgpr_kernarg_preload_length 0
		.amdhsa_user_sgpr_kernarg_preload_offset 0
		.amdhsa_user_sgpr_private_segment_size 0
		.amdhsa_uses_dynamic_stack 0
		.amdhsa_enable_private_segment 0
		.amdhsa_system_sgpr_workgroup_id_x 1
		.amdhsa_system_sgpr_workgroup_id_y 0
		.amdhsa_system_sgpr_workgroup_id_z 0
		.amdhsa_system_sgpr_workgroup_info 0
		.amdhsa_system_vgpr_workitem_id 0
		.amdhsa_next_free_vgpr 1
		.amdhsa_next_free_sgpr 0
		.amdhsa_accum_offset 4
		.amdhsa_reserve_vcc 0
		.amdhsa_float_round_mode_32 0
		.amdhsa_float_round_mode_16_64 0
		.amdhsa_float_denorm_mode_32 3
		.amdhsa_float_denorm_mode_16_64 3
		.amdhsa_dx10_clamp 1
		.amdhsa_ieee_mode 1
		.amdhsa_fp16_overflow 0
		.amdhsa_tg_split 0
		.amdhsa_exception_fp_ieee_invalid_op 0
		.amdhsa_exception_fp_denorm_src 0
		.amdhsa_exception_fp_ieee_div_zero 0
		.amdhsa_exception_fp_ieee_overflow 0
		.amdhsa_exception_fp_ieee_underflow 0
		.amdhsa_exception_fp_ieee_inexact 0
		.amdhsa_exception_int_div_zero 0
	.end_amdhsa_kernel
	.section	.text._ZN7rocprim17ROCPRIM_400000_NS6detail17trampoline_kernelINS0_14default_configENS1_25partition_config_selectorILNS1_17partition_subalgoE1EyNS0_10empty_typeEbEEZZNS1_14partition_implILS5_1ELb0ES3_jN6thrust23THRUST_200600_302600_NS6detail15normal_iteratorINSA_10device_ptrIyEEEEPS6_NSA_18transform_iteratorI7is_evenIyESF_NSA_11use_defaultESK_EENS0_5tupleIJSF_SF_EEENSM_IJSG_SG_EEES6_PlJS6_EEE10hipError_tPvRmT3_T4_T5_T6_T7_T9_mT8_P12ihipStream_tbDpT10_ENKUlT_T0_E_clISt17integral_constantIbLb1EES18_IbLb0EEEEDaS14_S15_EUlS14_E_NS1_11comp_targetILNS1_3genE8ELNS1_11target_archE1030ELNS1_3gpuE2ELNS1_3repE0EEENS1_30default_config_static_selectorELNS0_4arch9wavefront6targetE1EEEvT1_,"axG",@progbits,_ZN7rocprim17ROCPRIM_400000_NS6detail17trampoline_kernelINS0_14default_configENS1_25partition_config_selectorILNS1_17partition_subalgoE1EyNS0_10empty_typeEbEEZZNS1_14partition_implILS5_1ELb0ES3_jN6thrust23THRUST_200600_302600_NS6detail15normal_iteratorINSA_10device_ptrIyEEEEPS6_NSA_18transform_iteratorI7is_evenIyESF_NSA_11use_defaultESK_EENS0_5tupleIJSF_SF_EEENSM_IJSG_SG_EEES6_PlJS6_EEE10hipError_tPvRmT3_T4_T5_T6_T7_T9_mT8_P12ihipStream_tbDpT10_ENKUlT_T0_E_clISt17integral_constantIbLb1EES18_IbLb0EEEEDaS14_S15_EUlS14_E_NS1_11comp_targetILNS1_3genE8ELNS1_11target_archE1030ELNS1_3gpuE2ELNS1_3repE0EEENS1_30default_config_static_selectorELNS0_4arch9wavefront6targetE1EEEvT1_,comdat
.Lfunc_end2226:
	.size	_ZN7rocprim17ROCPRIM_400000_NS6detail17trampoline_kernelINS0_14default_configENS1_25partition_config_selectorILNS1_17partition_subalgoE1EyNS0_10empty_typeEbEEZZNS1_14partition_implILS5_1ELb0ES3_jN6thrust23THRUST_200600_302600_NS6detail15normal_iteratorINSA_10device_ptrIyEEEEPS6_NSA_18transform_iteratorI7is_evenIyESF_NSA_11use_defaultESK_EENS0_5tupleIJSF_SF_EEENSM_IJSG_SG_EEES6_PlJS6_EEE10hipError_tPvRmT3_T4_T5_T6_T7_T9_mT8_P12ihipStream_tbDpT10_ENKUlT_T0_E_clISt17integral_constantIbLb1EES18_IbLb0EEEEDaS14_S15_EUlS14_E_NS1_11comp_targetILNS1_3genE8ELNS1_11target_archE1030ELNS1_3gpuE2ELNS1_3repE0EEENS1_30default_config_static_selectorELNS0_4arch9wavefront6targetE1EEEvT1_, .Lfunc_end2226-_ZN7rocprim17ROCPRIM_400000_NS6detail17trampoline_kernelINS0_14default_configENS1_25partition_config_selectorILNS1_17partition_subalgoE1EyNS0_10empty_typeEbEEZZNS1_14partition_implILS5_1ELb0ES3_jN6thrust23THRUST_200600_302600_NS6detail15normal_iteratorINSA_10device_ptrIyEEEEPS6_NSA_18transform_iteratorI7is_evenIyESF_NSA_11use_defaultESK_EENS0_5tupleIJSF_SF_EEENSM_IJSG_SG_EEES6_PlJS6_EEE10hipError_tPvRmT3_T4_T5_T6_T7_T9_mT8_P12ihipStream_tbDpT10_ENKUlT_T0_E_clISt17integral_constantIbLb1EES18_IbLb0EEEEDaS14_S15_EUlS14_E_NS1_11comp_targetILNS1_3genE8ELNS1_11target_archE1030ELNS1_3gpuE2ELNS1_3repE0EEENS1_30default_config_static_selectorELNS0_4arch9wavefront6targetE1EEEvT1_
                                        ; -- End function
	.section	.AMDGPU.csdata,"",@progbits
; Kernel info:
; codeLenInByte = 0
; NumSgprs: 6
; NumVgprs: 0
; NumAgprs: 0
; TotalNumVgprs: 0
; ScratchSize: 0
; MemoryBound: 0
; FloatMode: 240
; IeeeMode: 1
; LDSByteSize: 0 bytes/workgroup (compile time only)
; SGPRBlocks: 0
; VGPRBlocks: 0
; NumSGPRsForWavesPerEU: 6
; NumVGPRsForWavesPerEU: 1
; AccumOffset: 4
; Occupancy: 8
; WaveLimiterHint : 0
; COMPUTE_PGM_RSRC2:SCRATCH_EN: 0
; COMPUTE_PGM_RSRC2:USER_SGPR: 2
; COMPUTE_PGM_RSRC2:TRAP_HANDLER: 0
; COMPUTE_PGM_RSRC2:TGID_X_EN: 1
; COMPUTE_PGM_RSRC2:TGID_Y_EN: 0
; COMPUTE_PGM_RSRC2:TGID_Z_EN: 0
; COMPUTE_PGM_RSRC2:TIDIG_COMP_CNT: 0
; COMPUTE_PGM_RSRC3_GFX90A:ACCUM_OFFSET: 0
; COMPUTE_PGM_RSRC3_GFX90A:TG_SPLIT: 0
	.section	.text._ZN7rocprim17ROCPRIM_400000_NS6detail17trampoline_kernelINS0_14default_configENS1_25partition_config_selectorILNS1_17partition_subalgoE1EyNS0_10empty_typeEbEEZZNS1_14partition_implILS5_1ELb0ES3_jN6thrust23THRUST_200600_302600_NS6detail15normal_iteratorINSA_10device_ptrIyEEEEPS6_NSA_18transform_iteratorI7is_evenIyESF_NSA_11use_defaultESK_EENS0_5tupleIJSF_SF_EEENSM_IJSG_SG_EEES6_PlJS6_EEE10hipError_tPvRmT3_T4_T5_T6_T7_T9_mT8_P12ihipStream_tbDpT10_ENKUlT_T0_E_clISt17integral_constantIbLb0EES18_IbLb1EEEEDaS14_S15_EUlS14_E_NS1_11comp_targetILNS1_3genE0ELNS1_11target_archE4294967295ELNS1_3gpuE0ELNS1_3repE0EEENS1_30default_config_static_selectorELNS0_4arch9wavefront6targetE1EEEvT1_,"axG",@progbits,_ZN7rocprim17ROCPRIM_400000_NS6detail17trampoline_kernelINS0_14default_configENS1_25partition_config_selectorILNS1_17partition_subalgoE1EyNS0_10empty_typeEbEEZZNS1_14partition_implILS5_1ELb0ES3_jN6thrust23THRUST_200600_302600_NS6detail15normal_iteratorINSA_10device_ptrIyEEEEPS6_NSA_18transform_iteratorI7is_evenIyESF_NSA_11use_defaultESK_EENS0_5tupleIJSF_SF_EEENSM_IJSG_SG_EEES6_PlJS6_EEE10hipError_tPvRmT3_T4_T5_T6_T7_T9_mT8_P12ihipStream_tbDpT10_ENKUlT_T0_E_clISt17integral_constantIbLb0EES18_IbLb1EEEEDaS14_S15_EUlS14_E_NS1_11comp_targetILNS1_3genE0ELNS1_11target_archE4294967295ELNS1_3gpuE0ELNS1_3repE0EEENS1_30default_config_static_selectorELNS0_4arch9wavefront6targetE1EEEvT1_,comdat
	.protected	_ZN7rocprim17ROCPRIM_400000_NS6detail17trampoline_kernelINS0_14default_configENS1_25partition_config_selectorILNS1_17partition_subalgoE1EyNS0_10empty_typeEbEEZZNS1_14partition_implILS5_1ELb0ES3_jN6thrust23THRUST_200600_302600_NS6detail15normal_iteratorINSA_10device_ptrIyEEEEPS6_NSA_18transform_iteratorI7is_evenIyESF_NSA_11use_defaultESK_EENS0_5tupleIJSF_SF_EEENSM_IJSG_SG_EEES6_PlJS6_EEE10hipError_tPvRmT3_T4_T5_T6_T7_T9_mT8_P12ihipStream_tbDpT10_ENKUlT_T0_E_clISt17integral_constantIbLb0EES18_IbLb1EEEEDaS14_S15_EUlS14_E_NS1_11comp_targetILNS1_3genE0ELNS1_11target_archE4294967295ELNS1_3gpuE0ELNS1_3repE0EEENS1_30default_config_static_selectorELNS0_4arch9wavefront6targetE1EEEvT1_ ; -- Begin function _ZN7rocprim17ROCPRIM_400000_NS6detail17trampoline_kernelINS0_14default_configENS1_25partition_config_selectorILNS1_17partition_subalgoE1EyNS0_10empty_typeEbEEZZNS1_14partition_implILS5_1ELb0ES3_jN6thrust23THRUST_200600_302600_NS6detail15normal_iteratorINSA_10device_ptrIyEEEEPS6_NSA_18transform_iteratorI7is_evenIyESF_NSA_11use_defaultESK_EENS0_5tupleIJSF_SF_EEENSM_IJSG_SG_EEES6_PlJS6_EEE10hipError_tPvRmT3_T4_T5_T6_T7_T9_mT8_P12ihipStream_tbDpT10_ENKUlT_T0_E_clISt17integral_constantIbLb0EES18_IbLb1EEEEDaS14_S15_EUlS14_E_NS1_11comp_targetILNS1_3genE0ELNS1_11target_archE4294967295ELNS1_3gpuE0ELNS1_3repE0EEENS1_30default_config_static_selectorELNS0_4arch9wavefront6targetE1EEEvT1_
	.globl	_ZN7rocprim17ROCPRIM_400000_NS6detail17trampoline_kernelINS0_14default_configENS1_25partition_config_selectorILNS1_17partition_subalgoE1EyNS0_10empty_typeEbEEZZNS1_14partition_implILS5_1ELb0ES3_jN6thrust23THRUST_200600_302600_NS6detail15normal_iteratorINSA_10device_ptrIyEEEEPS6_NSA_18transform_iteratorI7is_evenIyESF_NSA_11use_defaultESK_EENS0_5tupleIJSF_SF_EEENSM_IJSG_SG_EEES6_PlJS6_EEE10hipError_tPvRmT3_T4_T5_T6_T7_T9_mT8_P12ihipStream_tbDpT10_ENKUlT_T0_E_clISt17integral_constantIbLb0EES18_IbLb1EEEEDaS14_S15_EUlS14_E_NS1_11comp_targetILNS1_3genE0ELNS1_11target_archE4294967295ELNS1_3gpuE0ELNS1_3repE0EEENS1_30default_config_static_selectorELNS0_4arch9wavefront6targetE1EEEvT1_
	.p2align	8
	.type	_ZN7rocprim17ROCPRIM_400000_NS6detail17trampoline_kernelINS0_14default_configENS1_25partition_config_selectorILNS1_17partition_subalgoE1EyNS0_10empty_typeEbEEZZNS1_14partition_implILS5_1ELb0ES3_jN6thrust23THRUST_200600_302600_NS6detail15normal_iteratorINSA_10device_ptrIyEEEEPS6_NSA_18transform_iteratorI7is_evenIyESF_NSA_11use_defaultESK_EENS0_5tupleIJSF_SF_EEENSM_IJSG_SG_EEES6_PlJS6_EEE10hipError_tPvRmT3_T4_T5_T6_T7_T9_mT8_P12ihipStream_tbDpT10_ENKUlT_T0_E_clISt17integral_constantIbLb0EES18_IbLb1EEEEDaS14_S15_EUlS14_E_NS1_11comp_targetILNS1_3genE0ELNS1_11target_archE4294967295ELNS1_3gpuE0ELNS1_3repE0EEENS1_30default_config_static_selectorELNS0_4arch9wavefront6targetE1EEEvT1_,@function
_ZN7rocprim17ROCPRIM_400000_NS6detail17trampoline_kernelINS0_14default_configENS1_25partition_config_selectorILNS1_17partition_subalgoE1EyNS0_10empty_typeEbEEZZNS1_14partition_implILS5_1ELb0ES3_jN6thrust23THRUST_200600_302600_NS6detail15normal_iteratorINSA_10device_ptrIyEEEEPS6_NSA_18transform_iteratorI7is_evenIyESF_NSA_11use_defaultESK_EENS0_5tupleIJSF_SF_EEENSM_IJSG_SG_EEES6_PlJS6_EEE10hipError_tPvRmT3_T4_T5_T6_T7_T9_mT8_P12ihipStream_tbDpT10_ENKUlT_T0_E_clISt17integral_constantIbLb0EES18_IbLb1EEEEDaS14_S15_EUlS14_E_NS1_11comp_targetILNS1_3genE0ELNS1_11target_archE4294967295ELNS1_3gpuE0ELNS1_3repE0EEENS1_30default_config_static_selectorELNS0_4arch9wavefront6targetE1EEEvT1_: ; @_ZN7rocprim17ROCPRIM_400000_NS6detail17trampoline_kernelINS0_14default_configENS1_25partition_config_selectorILNS1_17partition_subalgoE1EyNS0_10empty_typeEbEEZZNS1_14partition_implILS5_1ELb0ES3_jN6thrust23THRUST_200600_302600_NS6detail15normal_iteratorINSA_10device_ptrIyEEEEPS6_NSA_18transform_iteratorI7is_evenIyESF_NSA_11use_defaultESK_EENS0_5tupleIJSF_SF_EEENSM_IJSG_SG_EEES6_PlJS6_EEE10hipError_tPvRmT3_T4_T5_T6_T7_T9_mT8_P12ihipStream_tbDpT10_ENKUlT_T0_E_clISt17integral_constantIbLb0EES18_IbLb1EEEEDaS14_S15_EUlS14_E_NS1_11comp_targetILNS1_3genE0ELNS1_11target_archE4294967295ELNS1_3gpuE0ELNS1_3repE0EEENS1_30default_config_static_selectorELNS0_4arch9wavefront6targetE1EEEvT1_
; %bb.0:
	.section	.rodata,"a",@progbits
	.p2align	6, 0x0
	.amdhsa_kernel _ZN7rocprim17ROCPRIM_400000_NS6detail17trampoline_kernelINS0_14default_configENS1_25partition_config_selectorILNS1_17partition_subalgoE1EyNS0_10empty_typeEbEEZZNS1_14partition_implILS5_1ELb0ES3_jN6thrust23THRUST_200600_302600_NS6detail15normal_iteratorINSA_10device_ptrIyEEEEPS6_NSA_18transform_iteratorI7is_evenIyESF_NSA_11use_defaultESK_EENS0_5tupleIJSF_SF_EEENSM_IJSG_SG_EEES6_PlJS6_EEE10hipError_tPvRmT3_T4_T5_T6_T7_T9_mT8_P12ihipStream_tbDpT10_ENKUlT_T0_E_clISt17integral_constantIbLb0EES18_IbLb1EEEEDaS14_S15_EUlS14_E_NS1_11comp_targetILNS1_3genE0ELNS1_11target_archE4294967295ELNS1_3gpuE0ELNS1_3repE0EEENS1_30default_config_static_selectorELNS0_4arch9wavefront6targetE1EEEvT1_
		.amdhsa_group_segment_fixed_size 0
		.amdhsa_private_segment_fixed_size 0
		.amdhsa_kernarg_size 144
		.amdhsa_user_sgpr_count 2
		.amdhsa_user_sgpr_dispatch_ptr 0
		.amdhsa_user_sgpr_queue_ptr 0
		.amdhsa_user_sgpr_kernarg_segment_ptr 1
		.amdhsa_user_sgpr_dispatch_id 0
		.amdhsa_user_sgpr_kernarg_preload_length 0
		.amdhsa_user_sgpr_kernarg_preload_offset 0
		.amdhsa_user_sgpr_private_segment_size 0
		.amdhsa_uses_dynamic_stack 0
		.amdhsa_enable_private_segment 0
		.amdhsa_system_sgpr_workgroup_id_x 1
		.amdhsa_system_sgpr_workgroup_id_y 0
		.amdhsa_system_sgpr_workgroup_id_z 0
		.amdhsa_system_sgpr_workgroup_info 0
		.amdhsa_system_vgpr_workitem_id 0
		.amdhsa_next_free_vgpr 1
		.amdhsa_next_free_sgpr 0
		.amdhsa_accum_offset 4
		.amdhsa_reserve_vcc 0
		.amdhsa_float_round_mode_32 0
		.amdhsa_float_round_mode_16_64 0
		.amdhsa_float_denorm_mode_32 3
		.amdhsa_float_denorm_mode_16_64 3
		.amdhsa_dx10_clamp 1
		.amdhsa_ieee_mode 1
		.amdhsa_fp16_overflow 0
		.amdhsa_tg_split 0
		.amdhsa_exception_fp_ieee_invalid_op 0
		.amdhsa_exception_fp_denorm_src 0
		.amdhsa_exception_fp_ieee_div_zero 0
		.amdhsa_exception_fp_ieee_overflow 0
		.amdhsa_exception_fp_ieee_underflow 0
		.amdhsa_exception_fp_ieee_inexact 0
		.amdhsa_exception_int_div_zero 0
	.end_amdhsa_kernel
	.section	.text._ZN7rocprim17ROCPRIM_400000_NS6detail17trampoline_kernelINS0_14default_configENS1_25partition_config_selectorILNS1_17partition_subalgoE1EyNS0_10empty_typeEbEEZZNS1_14partition_implILS5_1ELb0ES3_jN6thrust23THRUST_200600_302600_NS6detail15normal_iteratorINSA_10device_ptrIyEEEEPS6_NSA_18transform_iteratorI7is_evenIyESF_NSA_11use_defaultESK_EENS0_5tupleIJSF_SF_EEENSM_IJSG_SG_EEES6_PlJS6_EEE10hipError_tPvRmT3_T4_T5_T6_T7_T9_mT8_P12ihipStream_tbDpT10_ENKUlT_T0_E_clISt17integral_constantIbLb0EES18_IbLb1EEEEDaS14_S15_EUlS14_E_NS1_11comp_targetILNS1_3genE0ELNS1_11target_archE4294967295ELNS1_3gpuE0ELNS1_3repE0EEENS1_30default_config_static_selectorELNS0_4arch9wavefront6targetE1EEEvT1_,"axG",@progbits,_ZN7rocprim17ROCPRIM_400000_NS6detail17trampoline_kernelINS0_14default_configENS1_25partition_config_selectorILNS1_17partition_subalgoE1EyNS0_10empty_typeEbEEZZNS1_14partition_implILS5_1ELb0ES3_jN6thrust23THRUST_200600_302600_NS6detail15normal_iteratorINSA_10device_ptrIyEEEEPS6_NSA_18transform_iteratorI7is_evenIyESF_NSA_11use_defaultESK_EENS0_5tupleIJSF_SF_EEENSM_IJSG_SG_EEES6_PlJS6_EEE10hipError_tPvRmT3_T4_T5_T6_T7_T9_mT8_P12ihipStream_tbDpT10_ENKUlT_T0_E_clISt17integral_constantIbLb0EES18_IbLb1EEEEDaS14_S15_EUlS14_E_NS1_11comp_targetILNS1_3genE0ELNS1_11target_archE4294967295ELNS1_3gpuE0ELNS1_3repE0EEENS1_30default_config_static_selectorELNS0_4arch9wavefront6targetE1EEEvT1_,comdat
.Lfunc_end2227:
	.size	_ZN7rocprim17ROCPRIM_400000_NS6detail17trampoline_kernelINS0_14default_configENS1_25partition_config_selectorILNS1_17partition_subalgoE1EyNS0_10empty_typeEbEEZZNS1_14partition_implILS5_1ELb0ES3_jN6thrust23THRUST_200600_302600_NS6detail15normal_iteratorINSA_10device_ptrIyEEEEPS6_NSA_18transform_iteratorI7is_evenIyESF_NSA_11use_defaultESK_EENS0_5tupleIJSF_SF_EEENSM_IJSG_SG_EEES6_PlJS6_EEE10hipError_tPvRmT3_T4_T5_T6_T7_T9_mT8_P12ihipStream_tbDpT10_ENKUlT_T0_E_clISt17integral_constantIbLb0EES18_IbLb1EEEEDaS14_S15_EUlS14_E_NS1_11comp_targetILNS1_3genE0ELNS1_11target_archE4294967295ELNS1_3gpuE0ELNS1_3repE0EEENS1_30default_config_static_selectorELNS0_4arch9wavefront6targetE1EEEvT1_, .Lfunc_end2227-_ZN7rocprim17ROCPRIM_400000_NS6detail17trampoline_kernelINS0_14default_configENS1_25partition_config_selectorILNS1_17partition_subalgoE1EyNS0_10empty_typeEbEEZZNS1_14partition_implILS5_1ELb0ES3_jN6thrust23THRUST_200600_302600_NS6detail15normal_iteratorINSA_10device_ptrIyEEEEPS6_NSA_18transform_iteratorI7is_evenIyESF_NSA_11use_defaultESK_EENS0_5tupleIJSF_SF_EEENSM_IJSG_SG_EEES6_PlJS6_EEE10hipError_tPvRmT3_T4_T5_T6_T7_T9_mT8_P12ihipStream_tbDpT10_ENKUlT_T0_E_clISt17integral_constantIbLb0EES18_IbLb1EEEEDaS14_S15_EUlS14_E_NS1_11comp_targetILNS1_3genE0ELNS1_11target_archE4294967295ELNS1_3gpuE0ELNS1_3repE0EEENS1_30default_config_static_selectorELNS0_4arch9wavefront6targetE1EEEvT1_
                                        ; -- End function
	.section	.AMDGPU.csdata,"",@progbits
; Kernel info:
; codeLenInByte = 0
; NumSgprs: 6
; NumVgprs: 0
; NumAgprs: 0
; TotalNumVgprs: 0
; ScratchSize: 0
; MemoryBound: 0
; FloatMode: 240
; IeeeMode: 1
; LDSByteSize: 0 bytes/workgroup (compile time only)
; SGPRBlocks: 0
; VGPRBlocks: 0
; NumSGPRsForWavesPerEU: 6
; NumVGPRsForWavesPerEU: 1
; AccumOffset: 4
; Occupancy: 8
; WaveLimiterHint : 0
; COMPUTE_PGM_RSRC2:SCRATCH_EN: 0
; COMPUTE_PGM_RSRC2:USER_SGPR: 2
; COMPUTE_PGM_RSRC2:TRAP_HANDLER: 0
; COMPUTE_PGM_RSRC2:TGID_X_EN: 1
; COMPUTE_PGM_RSRC2:TGID_Y_EN: 0
; COMPUTE_PGM_RSRC2:TGID_Z_EN: 0
; COMPUTE_PGM_RSRC2:TIDIG_COMP_CNT: 0
; COMPUTE_PGM_RSRC3_GFX90A:ACCUM_OFFSET: 0
; COMPUTE_PGM_RSRC3_GFX90A:TG_SPLIT: 0
	.section	.text._ZN7rocprim17ROCPRIM_400000_NS6detail17trampoline_kernelINS0_14default_configENS1_25partition_config_selectorILNS1_17partition_subalgoE1EyNS0_10empty_typeEbEEZZNS1_14partition_implILS5_1ELb0ES3_jN6thrust23THRUST_200600_302600_NS6detail15normal_iteratorINSA_10device_ptrIyEEEEPS6_NSA_18transform_iteratorI7is_evenIyESF_NSA_11use_defaultESK_EENS0_5tupleIJSF_SF_EEENSM_IJSG_SG_EEES6_PlJS6_EEE10hipError_tPvRmT3_T4_T5_T6_T7_T9_mT8_P12ihipStream_tbDpT10_ENKUlT_T0_E_clISt17integral_constantIbLb0EES18_IbLb1EEEEDaS14_S15_EUlS14_E_NS1_11comp_targetILNS1_3genE5ELNS1_11target_archE942ELNS1_3gpuE9ELNS1_3repE0EEENS1_30default_config_static_selectorELNS0_4arch9wavefront6targetE1EEEvT1_,"axG",@progbits,_ZN7rocprim17ROCPRIM_400000_NS6detail17trampoline_kernelINS0_14default_configENS1_25partition_config_selectorILNS1_17partition_subalgoE1EyNS0_10empty_typeEbEEZZNS1_14partition_implILS5_1ELb0ES3_jN6thrust23THRUST_200600_302600_NS6detail15normal_iteratorINSA_10device_ptrIyEEEEPS6_NSA_18transform_iteratorI7is_evenIyESF_NSA_11use_defaultESK_EENS0_5tupleIJSF_SF_EEENSM_IJSG_SG_EEES6_PlJS6_EEE10hipError_tPvRmT3_T4_T5_T6_T7_T9_mT8_P12ihipStream_tbDpT10_ENKUlT_T0_E_clISt17integral_constantIbLb0EES18_IbLb1EEEEDaS14_S15_EUlS14_E_NS1_11comp_targetILNS1_3genE5ELNS1_11target_archE942ELNS1_3gpuE9ELNS1_3repE0EEENS1_30default_config_static_selectorELNS0_4arch9wavefront6targetE1EEEvT1_,comdat
	.protected	_ZN7rocprim17ROCPRIM_400000_NS6detail17trampoline_kernelINS0_14default_configENS1_25partition_config_selectorILNS1_17partition_subalgoE1EyNS0_10empty_typeEbEEZZNS1_14partition_implILS5_1ELb0ES3_jN6thrust23THRUST_200600_302600_NS6detail15normal_iteratorINSA_10device_ptrIyEEEEPS6_NSA_18transform_iteratorI7is_evenIyESF_NSA_11use_defaultESK_EENS0_5tupleIJSF_SF_EEENSM_IJSG_SG_EEES6_PlJS6_EEE10hipError_tPvRmT3_T4_T5_T6_T7_T9_mT8_P12ihipStream_tbDpT10_ENKUlT_T0_E_clISt17integral_constantIbLb0EES18_IbLb1EEEEDaS14_S15_EUlS14_E_NS1_11comp_targetILNS1_3genE5ELNS1_11target_archE942ELNS1_3gpuE9ELNS1_3repE0EEENS1_30default_config_static_selectorELNS0_4arch9wavefront6targetE1EEEvT1_ ; -- Begin function _ZN7rocprim17ROCPRIM_400000_NS6detail17trampoline_kernelINS0_14default_configENS1_25partition_config_selectorILNS1_17partition_subalgoE1EyNS0_10empty_typeEbEEZZNS1_14partition_implILS5_1ELb0ES3_jN6thrust23THRUST_200600_302600_NS6detail15normal_iteratorINSA_10device_ptrIyEEEEPS6_NSA_18transform_iteratorI7is_evenIyESF_NSA_11use_defaultESK_EENS0_5tupleIJSF_SF_EEENSM_IJSG_SG_EEES6_PlJS6_EEE10hipError_tPvRmT3_T4_T5_T6_T7_T9_mT8_P12ihipStream_tbDpT10_ENKUlT_T0_E_clISt17integral_constantIbLb0EES18_IbLb1EEEEDaS14_S15_EUlS14_E_NS1_11comp_targetILNS1_3genE5ELNS1_11target_archE942ELNS1_3gpuE9ELNS1_3repE0EEENS1_30default_config_static_selectorELNS0_4arch9wavefront6targetE1EEEvT1_
	.globl	_ZN7rocprim17ROCPRIM_400000_NS6detail17trampoline_kernelINS0_14default_configENS1_25partition_config_selectorILNS1_17partition_subalgoE1EyNS0_10empty_typeEbEEZZNS1_14partition_implILS5_1ELb0ES3_jN6thrust23THRUST_200600_302600_NS6detail15normal_iteratorINSA_10device_ptrIyEEEEPS6_NSA_18transform_iteratorI7is_evenIyESF_NSA_11use_defaultESK_EENS0_5tupleIJSF_SF_EEENSM_IJSG_SG_EEES6_PlJS6_EEE10hipError_tPvRmT3_T4_T5_T6_T7_T9_mT8_P12ihipStream_tbDpT10_ENKUlT_T0_E_clISt17integral_constantIbLb0EES18_IbLb1EEEEDaS14_S15_EUlS14_E_NS1_11comp_targetILNS1_3genE5ELNS1_11target_archE942ELNS1_3gpuE9ELNS1_3repE0EEENS1_30default_config_static_selectorELNS0_4arch9wavefront6targetE1EEEvT1_
	.p2align	8
	.type	_ZN7rocprim17ROCPRIM_400000_NS6detail17trampoline_kernelINS0_14default_configENS1_25partition_config_selectorILNS1_17partition_subalgoE1EyNS0_10empty_typeEbEEZZNS1_14partition_implILS5_1ELb0ES3_jN6thrust23THRUST_200600_302600_NS6detail15normal_iteratorINSA_10device_ptrIyEEEEPS6_NSA_18transform_iteratorI7is_evenIyESF_NSA_11use_defaultESK_EENS0_5tupleIJSF_SF_EEENSM_IJSG_SG_EEES6_PlJS6_EEE10hipError_tPvRmT3_T4_T5_T6_T7_T9_mT8_P12ihipStream_tbDpT10_ENKUlT_T0_E_clISt17integral_constantIbLb0EES18_IbLb1EEEEDaS14_S15_EUlS14_E_NS1_11comp_targetILNS1_3genE5ELNS1_11target_archE942ELNS1_3gpuE9ELNS1_3repE0EEENS1_30default_config_static_selectorELNS0_4arch9wavefront6targetE1EEEvT1_,@function
_ZN7rocprim17ROCPRIM_400000_NS6detail17trampoline_kernelINS0_14default_configENS1_25partition_config_selectorILNS1_17partition_subalgoE1EyNS0_10empty_typeEbEEZZNS1_14partition_implILS5_1ELb0ES3_jN6thrust23THRUST_200600_302600_NS6detail15normal_iteratorINSA_10device_ptrIyEEEEPS6_NSA_18transform_iteratorI7is_evenIyESF_NSA_11use_defaultESK_EENS0_5tupleIJSF_SF_EEENSM_IJSG_SG_EEES6_PlJS6_EEE10hipError_tPvRmT3_T4_T5_T6_T7_T9_mT8_P12ihipStream_tbDpT10_ENKUlT_T0_E_clISt17integral_constantIbLb0EES18_IbLb1EEEEDaS14_S15_EUlS14_E_NS1_11comp_targetILNS1_3genE5ELNS1_11target_archE942ELNS1_3gpuE9ELNS1_3repE0EEENS1_30default_config_static_selectorELNS0_4arch9wavefront6targetE1EEEvT1_: ; @_ZN7rocprim17ROCPRIM_400000_NS6detail17trampoline_kernelINS0_14default_configENS1_25partition_config_selectorILNS1_17partition_subalgoE1EyNS0_10empty_typeEbEEZZNS1_14partition_implILS5_1ELb0ES3_jN6thrust23THRUST_200600_302600_NS6detail15normal_iteratorINSA_10device_ptrIyEEEEPS6_NSA_18transform_iteratorI7is_evenIyESF_NSA_11use_defaultESK_EENS0_5tupleIJSF_SF_EEENSM_IJSG_SG_EEES6_PlJS6_EEE10hipError_tPvRmT3_T4_T5_T6_T7_T9_mT8_P12ihipStream_tbDpT10_ENKUlT_T0_E_clISt17integral_constantIbLb0EES18_IbLb1EEEEDaS14_S15_EUlS14_E_NS1_11comp_targetILNS1_3genE5ELNS1_11target_archE942ELNS1_3gpuE9ELNS1_3repE0EEENS1_30default_config_static_selectorELNS0_4arch9wavefront6targetE1EEEvT1_
; %bb.0:
	s_load_dwordx2 s[2:3], s[0:1], 0x20
	s_load_dwordx4 s[20:23], s[0:1], 0x50
	s_load_dwordx2 s[6:7], s[0:1], 0x60
	s_load_dwordx2 s[34:35], s[0:1], 0x70
	v_cmp_eq_u32_e64 s[18:19], 0, v0
	s_and_saveexec_b64 s[4:5], s[18:19]
	s_cbranch_execz .LBB2228_4
; %bb.1:
	s_mov_b64 s[10:11], exec
	v_mbcnt_lo_u32_b32 v1, s10, 0
	v_mbcnt_hi_u32_b32 v1, s11, v1
	v_cmp_eq_u32_e32 vcc, 0, v1
                                        ; implicit-def: $vgpr2
	s_and_saveexec_b64 s[8:9], vcc
	s_cbranch_execz .LBB2228_3
; %bb.2:
	s_load_dwordx2 s[12:13], s[0:1], 0x80
	s_bcnt1_i32_b64 s10, s[10:11]
	v_mov_b32_e32 v2, 0
	v_mov_b32_e32 v3, s10
	s_waitcnt lgkmcnt(0)
	global_atomic_add v2, v2, v3, s[12:13] sc0
.LBB2228_3:
	s_or_b64 exec, exec, s[8:9]
	s_waitcnt vmcnt(0)
	v_readfirstlane_b32 s8, v2
	v_mov_b32_e32 v2, 0
	s_nop 0
	v_add_u32_e32 v1, s8, v1
	ds_write_b32 v2, v1
.LBB2228_4:
	s_or_b64 exec, exec, s[4:5]
	v_mov_b32_e32 v19, 0
	s_load_dwordx4 s[28:31], s[0:1], 0x8
	s_load_dwordx4 s[24:27], s[0:1], 0x30
	s_load_dword s8, s[0:1], 0x78
	s_waitcnt lgkmcnt(0)
	s_barrier
	ds_read_b32 v1, v19
	s_waitcnt lgkmcnt(0)
	s_barrier
	global_load_dwordx2 v[20:21], v19, s[22:23]
	v_mov_b32_e32 v3, s7
	s_lshl_b64 s[4:5], s[30:31], 3
	s_movk_i32 s7, 0xe00
	s_add_u32 s0, s28, s4
	v_mul_lo_u32 v18, v1, s7
	s_mul_i32 s7, s8, 0xe00
	s_addc_u32 s1, s29, s5
	s_add_i32 s9, s8, -1
	s_add_i32 s8, s7, s30
	s_sub_i32 s33, s6, s8
	s_addk_i32 s33, 0xe00
	v_mov_b32_e32 v2, s6
	s_add_u32 s6, s30, s7
	v_readfirstlane_b32 s40, v1
	s_addc_u32 s7, s31, 0
	s_cmp_eq_u32 s40, s9
	s_cselect_b64 s[22:23], -1, 0
	s_cmp_lg_u32 s40, s9
	v_cmp_lt_u64_e32 vcc, s[6:7], v[2:3]
	s_cselect_b64 s[6:7], -1, 0
	s_or_b64 s[28:29], vcc, s[6:7]
	v_lshlrev_b64 v[22:23], 3, v[18:19]
	v_lshl_add_u64 v[24:25], s[0:1], 0, v[22:23]
	s_mov_b64 s[0:1], -1
	s_and_b64 vcc, exec, s[28:29]
	v_lshlrev_b32_e32 v18, 3, v0
	s_cbranch_vccz .LBB2228_6
; %bb.5:
	v_lshl_add_u64 v[2:3], v[24:25], 0, v[18:19]
	v_add_co_u32_e32 v4, vcc, 0x1000, v2
	s_mov_b64 s[0:1], 0
	s_nop 0
	v_addc_co_u32_e32 v5, vcc, 0, v3, vcc
	v_add_co_u32_e32 v6, vcc, 0x2000, v2
	s_nop 1
	v_addc_co_u32_e32 v7, vcc, 0, v3, vcc
	v_add_co_u32_e32 v8, vcc, 0x3000, v2
	s_nop 1
	v_addc_co_u32_e32 v9, vcc, 0, v3, vcc
	flat_load_dwordx2 v[10:11], v[2:3]
	flat_load_dwordx2 v[12:13], v[4:5]
	;; [unrolled: 1-line block ×4, first 2 shown]
	v_add_co_u32_e32 v4, vcc, 0x4000, v2
	s_nop 1
	v_addc_co_u32_e32 v5, vcc, 0, v3, vcc
	v_add_co_u32_e32 v6, vcc, 0x5000, v2
	s_nop 1
	v_addc_co_u32_e32 v7, vcc, 0, v3, vcc
	;; [unrolled: 3-line block ×3, first 2 shown]
	flat_load_dwordx2 v[8:9], v[4:5]
	flat_load_dwordx2 v[26:27], v[6:7]
	flat_load_dwordx2 v[28:29], v[2:3]
	s_waitcnt vmcnt(0) lgkmcnt(0)
	ds_write2st64_b64 v18, v[10:11], v[12:13] offset1:8
	ds_write2st64_b64 v18, v[14:15], v[16:17] offset0:16 offset1:24
	ds_write2st64_b64 v18, v[8:9], v[26:27] offset0:32 offset1:40
	ds_write_b64 v18, v[28:29] offset:24576
	s_waitcnt lgkmcnt(0)
	s_barrier
.LBB2228_6:
	s_andn2_b64 vcc, exec, s[0:1]
	v_cmp_gt_u32_e64 s[0:1], s33, v0
	s_cbranch_vccnz .LBB2228_22
; %bb.7:
                                        ; implicit-def: $vgpr2_vgpr3_vgpr4_vgpr5_vgpr6_vgpr7_vgpr8_vgpr9_vgpr10_vgpr11_vgpr12_vgpr13_vgpr14_vgpr15_vgpr16_vgpr17
	s_and_saveexec_b64 s[6:7], s[0:1]
	s_cbranch_execz .LBB2228_9
; %bb.8:
	v_mov_b32_e32 v19, 0
	v_lshl_add_u64 v[2:3], v[24:25], 0, v[18:19]
	flat_load_dwordx2 v[2:3], v[2:3]
.LBB2228_9:
	s_or_b64 exec, exec, s[6:7]
	v_or_b32_e32 v1, 0x200, v0
	v_cmp_gt_u32_e32 vcc, s33, v1
	s_and_saveexec_b64 s[0:1], vcc
	s_cbranch_execz .LBB2228_11
; %bb.10:
	v_lshlrev_b32_e32 v4, 3, v1
	v_mov_b32_e32 v5, 0
	v_lshl_add_u64 v[4:5], v[24:25], 0, v[4:5]
	flat_load_dwordx2 v[4:5], v[4:5]
.LBB2228_11:
	s_or_b64 exec, exec, s[0:1]
	v_or_b32_e32 v1, 0x400, v0
	v_cmp_gt_u32_e32 vcc, s33, v1
	s_and_saveexec_b64 s[0:1], vcc
	s_cbranch_execz .LBB2228_13
; %bb.12:
	v_lshlrev_b32_e32 v6, 3, v1
	v_mov_b32_e32 v7, 0
	v_lshl_add_u64 v[6:7], v[24:25], 0, v[6:7]
	flat_load_dwordx2 v[6:7], v[6:7]
.LBB2228_13:
	;; [unrolled: 11-line block ×6, first 2 shown]
	s_or_b64 exec, exec, s[0:1]
	s_waitcnt vmcnt(0) lgkmcnt(0)
	ds_write2st64_b64 v18, v[2:3], v[4:5] offset1:8
	ds_write2st64_b64 v18, v[6:7], v[8:9] offset0:16 offset1:24
	ds_write2st64_b64 v18, v[10:11], v[12:13] offset0:32 offset1:40
	ds_write_b64 v18, v[14:15] offset:24576
	s_waitcnt lgkmcnt(0)
	s_barrier
.LBB2228_22:
	v_mul_u32_u24_e32 v1, 7, v0
	v_lshlrev_b32_e32 v24, 3, v1
	ds_read2_b64 v[10:13], v24 offset1:1
	ds_read2_b64 v[6:9], v24 offset0:2 offset1:3
	ds_read2_b64 v[2:5], v24 offset0:4 offset1:5
	ds_read_b64 v[14:15], v24 offset:48
	s_add_u32 s0, s2, s4
	s_addc_u32 s1, s3, s5
	v_lshl_add_u64 v[16:17], s[0:1], 0, v[22:23]
	s_mov_b64 s[0:1], -1
	s_and_b64 vcc, exec, s[28:29]
	s_waitcnt lgkmcnt(0)
	s_barrier
	s_cbranch_vccz .LBB2228_24
; %bb.23:
	v_mov_b32_e32 v19, 0
	v_lshl_add_u64 v[26:27], v[16:17], 0, v[18:19]
	v_add_co_u32_e32 v30, vcc, 0x1000, v26
	v_readfirstlane_b32 s0, v16
	s_nop 0
	v_addc_co_u32_e32 v31, vcc, 0, v27, vcc
	v_add_co_u32_e32 v32, vcc, 0x2000, v26
	v_readfirstlane_b32 s1, v17
	s_nop 0
	v_addc_co_u32_e32 v33, vcc, 0, v27, vcc
	v_add_co_u32_e32 v34, vcc, 0x3000, v26
	s_nop 1
	v_addc_co_u32_e32 v35, vcc, 0, v27, vcc
	global_load_dwordx2 v[28:29], v18, s[0:1]
	v_add_co_u32_e32 v36, vcc, 0x4000, v26
	s_mov_b64 s[0:1], 0
	s_nop 0
	v_addc_co_u32_e32 v37, vcc, 0, v27, vcc
	global_load_dwordx2 v[38:39], v[30:31], off
	global_load_dwordx2 v[40:41], v[32:33], off
	;; [unrolled: 1-line block ×4, first 2 shown]
	v_add_co_u32_e32 v30, vcc, 0x5000, v26
	s_waitcnt vmcnt(4)
	v_xor_b32_e32 v19, -1, v28
	v_addc_co_u32_e32 v31, vcc, 0, v27, vcc
	v_add_co_u32_e32 v26, vcc, 0x6000, v26
	global_load_dwordx2 v[30:31], v[30:31], off
	s_nop 0
	v_addc_co_u32_e32 v27, vcc, 0, v27, vcc
	global_load_dwordx2 v[26:27], v[26:27], off
	v_and_b32_e32 v19, 1, v19
	ds_write_b8 v0, v19
	s_waitcnt vmcnt(5)
	v_xor_b32_e32 v19, -1, v38
	v_and_b32_e32 v19, 1, v19
	s_waitcnt vmcnt(4)
	v_xor_b32_e32 v25, -1, v40
	s_waitcnt vmcnt(0)
	v_xor_b32_e32 v27, -1, v42
	v_and_b32_e32 v25, 1, v25
	ds_write_b8 v0, v19 offset:512
	v_and_b32_e32 v19, 1, v27
	v_xor_b32_e32 v27, -1, v44
	ds_write_b8 v0, v25 offset:1024
	v_and_b32_e32 v25, 1, v27
	ds_write_b8 v0, v19 offset:1536
	ds_write_b8 v0, v25 offset:2048
	v_xor_b32_e32 v27, -1, v30
	v_and_b32_e32 v19, 1, v27
	v_xor_b32_e32 v26, -1, v26
	v_and_b32_e32 v25, 1, v26
	ds_write_b8 v0, v19 offset:2560
	ds_write_b8 v0, v25 offset:3072
	s_waitcnt lgkmcnt(0)
	s_barrier
.LBB2228_24:
	s_andn2_b64 vcc, exec, s[0:1]
	s_cbranch_vccnz .LBB2228_40
; %bb.25:
	v_cmp_gt_u32_e32 vcc, s33, v0
	v_mov_b32_e32 v19, 0
	v_mov_b32_e32 v25, 0
	s_and_saveexec_b64 s[0:1], vcc
	s_cbranch_execz .LBB2228_27
; %bb.26:
	v_readfirstlane_b32 s2, v16
	v_readfirstlane_b32 s3, v17
	s_nop 4
	global_load_dwordx2 v[26:27], v18, s[2:3]
	s_waitcnt vmcnt(0)
	v_xor_b32_e32 v25, -1, v26
	v_and_b32_e32 v25, 1, v25
.LBB2228_27:
	s_or_b64 exec, exec, s[0:1]
	v_or_b32_e32 v26, 0x200, v0
	v_cmp_gt_u32_e32 vcc, s33, v26
	s_and_saveexec_b64 s[0:1], vcc
	s_cbranch_execz .LBB2228_29
; %bb.28:
	v_lshlrev_b32_e32 v19, 3, v26
	v_readfirstlane_b32 s2, v16
	v_readfirstlane_b32 s3, v17
	s_nop 4
	global_load_dwordx2 v[26:27], v19, s[2:3]
	s_waitcnt vmcnt(0)
	v_xor_b32_e32 v19, -1, v26
	v_and_b32_e32 v19, 1, v19
.LBB2228_29:
	s_or_b64 exec, exec, s[0:1]
	v_or_b32_e32 v28, 0x400, v0
	v_cmp_gt_u32_e32 vcc, s33, v28
	v_mov_b32_e32 v26, 0
	v_mov_b32_e32 v27, 0
	s_and_saveexec_b64 s[0:1], vcc
	s_cbranch_execz .LBB2228_31
; %bb.30:
	v_lshlrev_b32_e32 v27, 3, v28
	v_readfirstlane_b32 s2, v16
	v_readfirstlane_b32 s3, v17
	s_nop 4
	global_load_dwordx2 v[28:29], v27, s[2:3]
	s_waitcnt vmcnt(0)
	v_xor_b32_e32 v27, -1, v28
	v_and_b32_e32 v27, 1, v27
.LBB2228_31:
	s_or_b64 exec, exec, s[0:1]
	v_or_b32_e32 v28, 0x600, v0
	v_cmp_gt_u32_e32 vcc, s33, v28
	s_and_saveexec_b64 s[0:1], vcc
	s_cbranch_execz .LBB2228_33
; %bb.32:
	v_lshlrev_b32_e32 v26, 3, v28
	v_readfirstlane_b32 s2, v16
	v_readfirstlane_b32 s3, v17
	s_nop 4
	global_load_dwordx2 v[28:29], v26, s[2:3]
	s_waitcnt vmcnt(0)
	v_xor_b32_e32 v26, -1, v28
	v_and_b32_e32 v26, 1, v26
.LBB2228_33:
	s_or_b64 exec, exec, s[0:1]
	v_or_b32_e32 v30, 0x800, v0
	v_cmp_gt_u32_e32 vcc, s33, v30
	v_mov_b32_e32 v28, 0
	v_mov_b32_e32 v29, 0
	s_and_saveexec_b64 s[0:1], vcc
	s_cbranch_execz .LBB2228_35
; %bb.34:
	v_lshlrev_b32_e32 v29, 3, v30
	v_readfirstlane_b32 s2, v16
	v_readfirstlane_b32 s3, v17
	s_nop 4
	global_load_dwordx2 v[30:31], v29, s[2:3]
	s_waitcnt vmcnt(0)
	v_xor_b32_e32 v29, -1, v30
	v_and_b32_e32 v29, 1, v29
.LBB2228_35:
	s_or_b64 exec, exec, s[0:1]
	v_or_b32_e32 v30, 0xa00, v0
	v_cmp_gt_u32_e32 vcc, s33, v30
	s_and_saveexec_b64 s[0:1], vcc
	s_cbranch_execz .LBB2228_37
; %bb.36:
	v_lshlrev_b32_e32 v28, 3, v30
	v_readfirstlane_b32 s2, v16
	v_readfirstlane_b32 s3, v17
	s_nop 4
	global_load_dwordx2 v[30:31], v28, s[2:3]
	s_waitcnt vmcnt(0)
	v_xor_b32_e32 v28, -1, v30
	v_and_b32_e32 v28, 1, v28
.LBB2228_37:
	s_or_b64 exec, exec, s[0:1]
	v_or_b32_e32 v31, 0xc00, v0
	v_cmp_gt_u32_e32 vcc, s33, v31
	v_mov_b32_e32 v30, 0
	s_and_saveexec_b64 s[0:1], vcc
	s_cbranch_execz .LBB2228_39
; %bb.38:
	v_lshlrev_b32_e32 v30, 3, v31
	v_readfirstlane_b32 s2, v16
	v_readfirstlane_b32 s3, v17
	s_nop 4
	global_load_dwordx2 v[16:17], v30, s[2:3]
	s_waitcnt vmcnt(0)
	v_xor_b32_e32 v16, -1, v16
	v_and_b32_e32 v30, 1, v16
.LBB2228_39:
	s_or_b64 exec, exec, s[0:1]
	ds_write_b8 v0, v25
	ds_write_b8 v0, v19 offset:512
	ds_write_b8 v0, v27 offset:1024
	;; [unrolled: 1-line block ×6, first 2 shown]
	s_waitcnt lgkmcnt(0)
	s_barrier
.LBB2228_40:
	s_movk_i32 s0, 0xffcf
	v_mad_i32_i24 v39, v0, s0, v24
	ds_read_u8 v16, v39
	ds_read_u8 v17, v39 offset:1
	ds_read_u8 v19, v39 offset:2
	;; [unrolled: 1-line block ×6, first 2 shown]
	s_waitcnt lgkmcnt(6)
	v_and_b32_e32 v37, 1, v16
	s_waitcnt lgkmcnt(5)
	v_and_b32_e32 v36, 1, v17
	;; [unrolled: 2-line block ×5, first 2 shown]
	v_add3_u32 v16, v36, v37, v35
	s_waitcnt lgkmcnt(1)
	v_and_b32_e32 v32, 1, v26
	s_waitcnt lgkmcnt(0)
	v_and_b32_e32 v19, 1, v27
	v_add3_u32 v16, v16, v34, v33
	v_add3_u32 v41, v16, v32, v19
	v_mbcnt_lo_u32_b32 v16, -1, 0
	v_mbcnt_hi_u32_b32 v38, -1, v16
	v_and_b32_e32 v16, 15, v38
	v_cmp_eq_u32_e64 s[14:15], 0, v16
	v_cmp_lt_u32_e64 s[12:13], 1, v16
	v_cmp_lt_u32_e64 s[10:11], 3, v16
	;; [unrolled: 1-line block ×3, first 2 shown]
	v_and_b32_e32 v16, 16, v38
	v_cmp_eq_u32_e64 s[6:7], 0, v16
	v_or_b32_e32 v16, 63, v0
	s_cmp_lg_u32 s40, 0
	v_cmp_lt_u32_e64 s[2:3], 31, v38
	v_lshrrev_b32_e32 v40, 6, v0
	v_cmp_eq_u32_e64 s[4:5], v16, v0
	s_barrier
	s_cbranch_scc0 .LBB2228_67
; %bb.41:
	v_mov_b32_dpp v16, v41 row_shr:1 row_mask:0xf bank_mask:0xf
	v_cndmask_b32_e64 v16, v16, 0, s[14:15]
	v_add_u32_e32 v16, v16, v41
	s_nop 1
	v_mov_b32_dpp v17, v16 row_shr:2 row_mask:0xf bank_mask:0xf
	v_cndmask_b32_e64 v17, 0, v17, s[12:13]
	v_add_u32_e32 v16, v16, v17
	s_nop 1
	;; [unrolled: 4-line block ×4, first 2 shown]
	v_mov_b32_dpp v17, v16 row_bcast:15 row_mask:0xf bank_mask:0xf
	v_cndmask_b32_e64 v17, v17, 0, s[6:7]
	v_add_u32_e32 v16, v16, v17
	s_nop 1
	v_mov_b32_dpp v17, v16 row_bcast:31 row_mask:0xf bank_mask:0xf
	v_cndmask_b32_e64 v17, 0, v17, s[2:3]
	v_add_u32_e32 v16, v16, v17
	s_and_saveexec_b64 s[0:1], s[4:5]
	s_cbranch_execz .LBB2228_43
; %bb.42:
	v_lshlrev_b32_e32 v17, 2, v40
	ds_write_b32 v17, v16
.LBB2228_43:
	s_or_b64 exec, exec, s[0:1]
	v_cmp_gt_u32_e32 vcc, 8, v0
	s_waitcnt lgkmcnt(0)
	s_barrier
	s_and_saveexec_b64 s[0:1], vcc
	s_cbranch_execz .LBB2228_45
; %bb.44:
	v_lshlrev_b32_e32 v17, 2, v0
	ds_read_b32 v24, v17
	v_and_b32_e32 v25, 7, v38
	v_cmp_ne_u32_e32 vcc, 0, v25
	s_waitcnt lgkmcnt(0)
	v_mov_b32_dpp v26, v24 row_shr:1 row_mask:0xf bank_mask:0xf
	v_cndmask_b32_e32 v26, 0, v26, vcc
	v_add_u32_e32 v24, v26, v24
	v_cmp_lt_u32_e32 vcc, 1, v25
	s_nop 0
	v_mov_b32_dpp v26, v24 row_shr:2 row_mask:0xf bank_mask:0xf
	v_cndmask_b32_e32 v26, 0, v26, vcc
	v_add_u32_e32 v24, v24, v26
	v_cmp_lt_u32_e32 vcc, 3, v25
	s_nop 0
	v_mov_b32_dpp v26, v24 row_shr:4 row_mask:0xf bank_mask:0xf
	v_cndmask_b32_e32 v25, 0, v26, vcc
	v_add_u32_e32 v24, v24, v25
	ds_write_b32 v17, v24
.LBB2228_45:
	s_or_b64 exec, exec, s[0:1]
	v_cmp_gt_u32_e32 vcc, 64, v0
	v_cmp_lt_u32_e64 s[0:1], 63, v0
	s_waitcnt lgkmcnt(0)
	s_barrier
	s_waitcnt lgkmcnt(0)
                                        ; implicit-def: $vgpr42
	s_and_saveexec_b64 s[16:17], s[0:1]
	s_cbranch_execz .LBB2228_47
; %bb.46:
	v_lshl_add_u32 v17, v40, 2, -4
	ds_read_b32 v42, v17
	s_waitcnt lgkmcnt(0)
	v_add_u32_e32 v16, v42, v16
.LBB2228_47:
	s_or_b64 exec, exec, s[16:17]
	v_add_u32_e32 v17, -1, v38
	v_and_b32_e32 v24, 64, v38
	v_cmp_lt_i32_e64 s[0:1], v17, v24
	v_cmp_eq_u32_e64 s[16:17], 0, v38
	s_nop 0
	v_cndmask_b32_e64 v17, v17, v38, s[0:1]
	v_lshlrev_b32_e32 v17, 2, v17
	ds_bpermute_b32 v43, v17, v16
	s_and_saveexec_b64 s[0:1], vcc
	s_cbranch_execz .LBB2228_66
; %bb.48:
	v_mov_b32_e32 v29, 0
	ds_read_b32 v16, v29 offset:28
	s_and_saveexec_b64 s[36:37], s[16:17]
	s_cbranch_execz .LBB2228_50
; %bb.49:
	s_add_i32 s38, s40, 64
	s_mov_b32 s39, 0
	s_lshl_b64 s[38:39], s[38:39], 3
	s_add_u32 s38, s34, s38
	v_mov_b32_e32 v17, 1
	s_addc_u32 s39, s35, s39
	s_waitcnt lgkmcnt(0)
	global_store_dwordx2 v29, v[16:17], s[38:39] sc1
.LBB2228_50:
	s_or_b64 exec, exec, s[36:37]
	v_xad_u32 v24, v38, -1, s40
	v_add_u32_e32 v28, 64, v24
	v_lshl_add_u64 v[30:31], v[28:29], 3, s[34:35]
	global_load_dwordx2 v[26:27], v[30:31], off sc1
	s_waitcnt vmcnt(0)
	v_cmp_eq_u16_sdwa s[38:39], v27, v29 src0_sel:BYTE_0 src1_sel:DWORD
	s_and_saveexec_b64 s[36:37], s[38:39]
	s_cbranch_execz .LBB2228_54
; %bb.51:
	s_mov_b64 s[38:39], 0
	v_mov_b32_e32 v17, 0
.LBB2228_52:                            ; =>This Inner Loop Header: Depth=1
	global_load_dwordx2 v[26:27], v[30:31], off sc1
	s_waitcnt vmcnt(0)
	v_cmp_ne_u16_sdwa s[42:43], v27, v17 src0_sel:BYTE_0 src1_sel:DWORD
	s_or_b64 s[38:39], s[42:43], s[38:39]
	s_andn2_b64 exec, exec, s[38:39]
	s_cbranch_execnz .LBB2228_52
; %bb.53:
	s_or_b64 exec, exec, s[38:39]
.LBB2228_54:
	s_or_b64 exec, exec, s[36:37]
	v_and_b32_e32 v45, 63, v38
	v_mov_b32_e32 v44, 2
	v_cmp_ne_u32_e32 vcc, 63, v45
	v_cmp_eq_u16_sdwa s[36:37], v27, v44 src0_sel:BYTE_0 src1_sel:DWORD
	v_lshlrev_b64 v[28:29], v38, -1
	v_addc_co_u32_e32 v30, vcc, 0, v38, vcc
	v_and_b32_e32 v17, s37, v29
	v_lshlrev_b32_e32 v46, 2, v30
	v_or_b32_e32 v17, 0x80000000, v17
	ds_bpermute_b32 v30, v46, v26
	v_and_b32_e32 v25, s36, v28
	v_ffbl_b32_e32 v17, v17
	v_add_u32_e32 v17, 32, v17
	v_ffbl_b32_e32 v25, v25
	v_min_u32_e32 v17, v25, v17
	v_cmp_lt_u32_e32 vcc, v45, v17
	v_add_u32_e32 v48, 2, v45
	v_add_u32_e32 v50, 4, v45
	s_waitcnt lgkmcnt(0)
	v_cndmask_b32_e32 v25, 0, v30, vcc
	v_cmp_gt_u32_e32 vcc, 62, v45
	v_add_u32_e32 v25, v25, v26
	v_add_u32_e32 v52, 8, v45
	v_cndmask_b32_e64 v26, 0, 1, vcc
	v_lshlrev_b32_e32 v26, 1, v26
	v_add_lshl_u32 v47, v26, v38, 2
	ds_bpermute_b32 v26, v47, v25
	v_cmp_le_u32_e32 vcc, v48, v17
	v_add_u32_e32 v54, 16, v45
	v_add_u32_e32 v56, 32, v45
	s_waitcnt lgkmcnt(0)
	v_cndmask_b32_e32 v26, 0, v26, vcc
	v_cmp_gt_u32_e32 vcc, 60, v45
	v_add_u32_e32 v25, v25, v26
	s_nop 0
	v_cndmask_b32_e64 v26, 0, 1, vcc
	v_lshlrev_b32_e32 v26, 2, v26
	v_add_lshl_u32 v49, v26, v38, 2
	ds_bpermute_b32 v26, v49, v25
	v_cmp_le_u32_e32 vcc, v50, v17
	s_waitcnt lgkmcnt(0)
	s_nop 0
	v_cndmask_b32_e32 v26, 0, v26, vcc
	v_cmp_gt_u32_e32 vcc, 56, v45
	v_add_u32_e32 v25, v25, v26
	s_nop 0
	v_cndmask_b32_e64 v26, 0, 1, vcc
	v_lshlrev_b32_e32 v26, 3, v26
	v_add_lshl_u32 v51, v26, v38, 2
	ds_bpermute_b32 v26, v51, v25
	v_cmp_le_u32_e32 vcc, v52, v17
	s_waitcnt lgkmcnt(0)
	s_nop 0
	;; [unrolled: 11-line block ×4, first 2 shown]
	v_cndmask_b32_e32 v17, 0, v26, vcc
	v_add_u32_e32 v26, v25, v17
	v_mov_b32_e32 v25, 0
	s_branch .LBB2228_56
.LBB2228_55:                            ;   in Loop: Header=BB2228_56 Depth=1
	s_or_b64 exec, exec, s[36:37]
	v_cmp_eq_u16_sdwa s[36:37], v27, v44 src0_sel:BYTE_0 src1_sel:DWORD
	ds_bpermute_b32 v57, v46, v26
	v_subrev_u32_e32 v24, 64, v24
	v_and_b32_e32 v30, s37, v29
	v_or_b32_e32 v30, 0x80000000, v30
	v_and_b32_e32 v31, s36, v28
	v_ffbl_b32_e32 v30, v30
	v_add_u32_e32 v30, 32, v30
	v_ffbl_b32_e32 v31, v31
	v_min_u32_e32 v30, v31, v30
	v_cmp_lt_u32_e32 vcc, v45, v30
	s_waitcnt lgkmcnt(0)
	s_nop 0
	v_cndmask_b32_e32 v31, 0, v57, vcc
	v_add_u32_e32 v26, v31, v26
	ds_bpermute_b32 v31, v47, v26
	v_cmp_le_u32_e32 vcc, v48, v30
	s_waitcnt lgkmcnt(0)
	s_nop 0
	v_cndmask_b32_e32 v31, 0, v31, vcc
	v_add_u32_e32 v26, v26, v31
	ds_bpermute_b32 v31, v49, v26
	v_cmp_le_u32_e32 vcc, v50, v30
	;; [unrolled: 6-line block ×5, first 2 shown]
	s_waitcnt lgkmcnt(0)
	s_nop 0
	v_cndmask_b32_e32 v30, 0, v31, vcc
	v_add3_u32 v26, v30, v17, v26
.LBB2228_56:                            ; =>This Loop Header: Depth=1
                                        ;     Child Loop BB2228_59 Depth 2
	v_cmp_ne_u16_sdwa s[36:37], v27, v44 src0_sel:BYTE_0 src1_sel:DWORD
	s_nop 1
	v_cndmask_b32_e64 v17, 0, 1, s[36:37]
	;;#ASMSTART
	;;#ASMEND
	s_nop 0
	v_cmp_ne_u32_e32 vcc, 0, v17
	s_cmp_lg_u64 vcc, exec
	v_mov_b32_e32 v17, v26
	s_cbranch_scc1 .LBB2228_61
; %bb.57:                               ;   in Loop: Header=BB2228_56 Depth=1
	v_lshl_add_u64 v[30:31], v[24:25], 3, s[34:35]
	global_load_dwordx2 v[26:27], v[30:31], off sc1
	s_waitcnt vmcnt(0)
	v_cmp_eq_u16_sdwa s[38:39], v27, v25 src0_sel:BYTE_0 src1_sel:DWORD
	s_and_saveexec_b64 s[36:37], s[38:39]
	s_cbranch_execz .LBB2228_55
; %bb.58:                               ;   in Loop: Header=BB2228_56 Depth=1
	s_mov_b64 s[38:39], 0
.LBB2228_59:                            ;   Parent Loop BB2228_56 Depth=1
                                        ; =>  This Inner Loop Header: Depth=2
	global_load_dwordx2 v[26:27], v[30:31], off sc1
	s_waitcnt vmcnt(0)
	v_cmp_ne_u16_sdwa s[42:43], v27, v25 src0_sel:BYTE_0 src1_sel:DWORD
	s_or_b64 s[38:39], s[42:43], s[38:39]
	s_andn2_b64 exec, exec, s[38:39]
	s_cbranch_execnz .LBB2228_59
; %bb.60:                               ;   in Loop: Header=BB2228_56 Depth=1
	s_or_b64 exec, exec, s[38:39]
	s_branch .LBB2228_55
.LBB2228_61:                            ;   in Loop: Header=BB2228_56 Depth=1
                                        ; implicit-def: $vgpr26
                                        ; implicit-def: $vgpr27
	s_cbranch_execz .LBB2228_56
; %bb.62:
	s_and_saveexec_b64 s[36:37], s[16:17]
	s_cbranch_execz .LBB2228_64
; %bb.63:
	s_add_i32 s38, s40, 64
	s_mov_b32 s39, 0
	s_lshl_b64 s[38:39], s[38:39], 3
	s_add_u32 s38, s34, s38
	v_add_u32_e32 v24, v17, v16
	v_mov_b32_e32 v25, 2
	s_addc_u32 s39, s35, s39
	v_mov_b32_e32 v26, 0
	global_store_dwordx2 v26, v[24:25], s[38:39] sc1
	ds_write_b64 v26, v[16:17] offset:28672
.LBB2228_64:
	s_or_b64 exec, exec, s[36:37]
	s_and_b64 exec, exec, s[18:19]
	s_cbranch_execz .LBB2228_66
; %bb.65:
	v_mov_b32_e32 v16, 0
	ds_write_b32 v16, v17 offset:28
.LBB2228_66:
	s_or_b64 exec, exec, s[0:1]
	v_mov_b32_e32 v16, 0
	s_waitcnt lgkmcnt(0)
	s_barrier
	ds_read_b32 v17, v16 offset:28
	v_cndmask_b32_e64 v24, v43, v42, s[16:17]
	v_cndmask_b32_e64 v24, v24, 0, s[18:19]
	s_waitcnt lgkmcnt(0)
	s_barrier
	v_add_u32_e32 v31, v17, v24
	v_add_u32_e32 v30, v31, v37
	ds_read_b64 v[16:17], v16 offset:28672
	v_add_u32_e32 v29, v30, v36
	v_add_u32_e32 v27, v29, v35
	;; [unrolled: 1-line block ×5, first 2 shown]
	s_waitcnt lgkmcnt(0)
	v_mov_b32_e32 v24, v17
	s_branch .LBB2228_77
.LBB2228_67:
                                        ; implicit-def: $vgpr24
                                        ; implicit-def: $vgpr16
                                        ; implicit-def: $vgpr25
                                        ; implicit-def: $vgpr26
                                        ; implicit-def: $vgpr28
                                        ; implicit-def: $vgpr27
                                        ; implicit-def: $vgpr29
                                        ; implicit-def: $vgpr30
                                        ; implicit-def: $vgpr31
	s_cbranch_execz .LBB2228_77
; %bb.68:
	s_nop 0
	v_mov_b32_dpp v16, v41 row_shr:1 row_mask:0xf bank_mask:0xf
	v_cndmask_b32_e64 v16, v16, 0, s[14:15]
	v_add_u32_e32 v16, v16, v41
	s_nop 1
	v_mov_b32_dpp v17, v16 row_shr:2 row_mask:0xf bank_mask:0xf
	v_cndmask_b32_e64 v17, 0, v17, s[12:13]
	v_add_u32_e32 v16, v16, v17
	;; [unrolled: 4-line block ×4, first 2 shown]
	s_nop 1
	v_mov_b32_dpp v17, v16 row_bcast:15 row_mask:0xf bank_mask:0xf
	v_cndmask_b32_e64 v17, v17, 0, s[6:7]
	v_add_u32_e32 v16, v16, v17
	s_nop 1
	v_mov_b32_dpp v17, v16 row_bcast:31 row_mask:0xf bank_mask:0xf
	v_cndmask_b32_e64 v17, 0, v17, s[2:3]
	v_add_u32_e32 v16, v16, v17
	s_and_saveexec_b64 s[0:1], s[4:5]
	s_cbranch_execz .LBB2228_70
; %bb.69:
	v_lshlrev_b32_e32 v17, 2, v40
	ds_write_b32 v17, v16
.LBB2228_70:
	s_or_b64 exec, exec, s[0:1]
	v_cmp_gt_u32_e32 vcc, 8, v0
	s_waitcnt lgkmcnt(0)
	s_barrier
	s_and_saveexec_b64 s[0:1], vcc
	s_cbranch_execz .LBB2228_72
; %bb.71:
	v_mad_i32_i24 v17, v0, -3, v39
	ds_read_b32 v24, v17
	v_and_b32_e32 v25, 7, v38
	v_cmp_ne_u32_e32 vcc, 0, v25
	s_waitcnt lgkmcnt(0)
	v_mov_b32_dpp v26, v24 row_shr:1 row_mask:0xf bank_mask:0xf
	v_cndmask_b32_e32 v26, 0, v26, vcc
	v_add_u32_e32 v24, v26, v24
	v_cmp_lt_u32_e32 vcc, 1, v25
	s_nop 0
	v_mov_b32_dpp v26, v24 row_shr:2 row_mask:0xf bank_mask:0xf
	v_cndmask_b32_e32 v26, 0, v26, vcc
	v_add_u32_e32 v24, v24, v26
	v_cmp_lt_u32_e32 vcc, 3, v25
	s_nop 0
	v_mov_b32_dpp v26, v24 row_shr:4 row_mask:0xf bank_mask:0xf
	v_cndmask_b32_e32 v25, 0, v26, vcc
	v_add_u32_e32 v24, v24, v25
	ds_write_b32 v17, v24
.LBB2228_72:
	s_or_b64 exec, exec, s[0:1]
	v_cmp_lt_u32_e32 vcc, 63, v0
	v_mov_b32_e32 v17, 0
	v_mov_b32_e32 v24, 0
	s_waitcnt lgkmcnt(0)
	s_barrier
	s_and_saveexec_b64 s[0:1], vcc
	s_cbranch_execz .LBB2228_74
; %bb.73:
	v_lshl_add_u32 v24, v40, 2, -4
	ds_read_b32 v24, v24
.LBB2228_74:
	s_or_b64 exec, exec, s[0:1]
	v_add_u32_e32 v25, -1, v38
	v_and_b32_e32 v26, 64, v38
	v_cmp_lt_i32_e32 vcc, v25, v26
	s_waitcnt lgkmcnt(0)
	v_add_u32_e32 v16, v24, v16
	v_cndmask_b32_e32 v25, v25, v38, vcc
	v_lshlrev_b32_e32 v25, 2, v25
	ds_bpermute_b32 v25, v25, v16
	ds_read_b32 v16, v17 offset:28
	s_and_saveexec_b64 s[0:1], s[18:19]
	s_cbranch_execz .LBB2228_76
; %bb.75:
	v_mov_b32_e32 v26, 0
	v_mov_b32_e32 v17, 2
	s_waitcnt lgkmcnt(0)
	global_store_dwordx2 v26, v[16:17], s[34:35] offset:512 sc1
.LBB2228_76:
	s_or_b64 exec, exec, s[0:1]
	v_cmp_eq_u32_e32 vcc, 0, v38
	s_waitcnt lgkmcnt(0)
	s_barrier
	v_cndmask_b32_e32 v17, v25, v24, vcc
	v_cndmask_b32_e64 v31, v17, 0, s[18:19]
	v_add_u32_e32 v30, v31, v37
	v_add_u32_e32 v29, v30, v36
	;; [unrolled: 1-line block ×5, first 2 shown]
	v_mov_b32_e32 v24, 0
	v_add_u32_e32 v25, v26, v32
.LBB2228_77:
	v_add_u32_e32 v1, v16, v1
	v_sub_u32_e32 v17, v31, v24
	v_sub_u32_e32 v31, v1, v17
	v_cmp_eq_u32_e32 vcc, 1, v37
	s_nop 1
	v_cndmask_b32_e32 v17, v31, v17, vcc
	v_lshlrev_b32_e32 v17, 3, v17
	ds_write_b64 v17, v[10:11]
	v_sub_u32_e32 v10, v30, v24
	v_sub_u32_e32 v11, v1, v10
	v_add_u32_e32 v11, 1, v11
	v_cmp_eq_u32_e32 vcc, 1, v36
	v_or_b32_e32 v31, 0x400, v0
	v_or_b32_e32 v30, 0x600, v0
	v_cndmask_b32_e32 v10, v11, v10, vcc
	v_lshlrev_b32_e32 v10, 3, v10
	ds_write_b64 v10, v[12:13]
	v_sub_u32_e32 v10, v29, v24
	v_sub_u32_e32 v11, v1, v10
	v_add_u32_e32 v11, 2, v11
	v_cmp_eq_u32_e32 vcc, 1, v35
	v_or_b32_e32 v29, 0x800, v0
	s_nop 0
	v_cndmask_b32_e32 v10, v11, v10, vcc
	v_lshlrev_b32_e32 v10, 3, v10
	ds_write_b64 v10, v[6:7]
	v_sub_u32_e32 v6, v27, v24
	v_sub_u32_e32 v7, v1, v6
	v_add_u32_e32 v7, 3, v7
	v_cmp_eq_u32_e32 vcc, 1, v34
	s_nop 1
	v_cndmask_b32_e32 v6, v7, v6, vcc
	v_lshlrev_b32_e32 v6, 3, v6
	ds_write_b64 v6, v[8:9]
	v_sub_u32_e32 v6, v28, v24
	v_sub_u32_e32 v7, v1, v6
	v_add_u32_e32 v7, 4, v7
	v_cmp_eq_u32_e32 vcc, 1, v33
	v_or_b32_e32 v28, 0xa00, v0
	s_nop 0
	v_cndmask_b32_e32 v6, v7, v6, vcc
	v_lshlrev_b32_e32 v6, 3, v6
	ds_write_b64 v6, v[2:3]
	v_sub_u32_e32 v2, v26, v24
	v_sub_u32_e32 v3, v1, v2
	v_add_u32_e32 v3, 5, v3
	v_cmp_eq_u32_e32 vcc, 1, v32
	v_or_b32_e32 v32, 0x200, v0
	s_nop 0
	v_cndmask_b32_e32 v2, v3, v2, vcc
	v_lshlrev_b32_e32 v2, 3, v2
	ds_write_b64 v2, v[4:5]
	v_sub_u32_e32 v2, v25, v24
	v_sub_u32_e32 v1, v1, v2
	v_add_u32_e32 v1, 6, v1
	v_cmp_eq_u32_e32 vcc, 1, v19
	v_mov_b32_e32 v25, 0
	s_waitcnt vmcnt(0)
	v_lshl_add_u64 v[34:35], v[20:21], 0, v[24:25]
	v_cndmask_b32_e32 v1, v1, v2, vcc
	v_lshlrev_b32_e32 v1, 3, v1
	v_mov_b32_e32 v17, v25
	ds_write_b64 v1, v[14:15]
	v_lshl_add_u64 v[14:15], v[34:35], 0, v[16:17]
	v_mov_b32_e32 v17, s31
	v_sub_co_u32_e32 v20, vcc, s30, v14
	s_waitcnt lgkmcnt(0)
	s_barrier
	ds_read2st64_b64 v[10:13], v18 offset1:8
	ds_read2st64_b64 v[6:9], v18 offset0:16 offset1:24
	ds_read2st64_b64 v[2:5], v18 offset0:32 offset1:40
	ds_read_b64 v[26:27], v18 offset:24576
	v_subb_co_u32_e32 v21, vcc, v17, v15, vcc
	v_lshlrev_b64 v[20:21], 3, v[20:21]
	v_lshl_add_u64 v[20:21], s[26:27], 0, v[20:21]
	v_lshl_add_u64 v[20:21], v[20:21], 0, v[22:23]
	v_lshlrev_b64 v[22:23], 3, v[34:35]
	v_or_b32_e32 v1, 0xc00, v0
	s_andn2_b64 vcc, exec, s[28:29]
	v_lshl_add_u64 v[22:23], s[24:25], 0, v[22:23]
	s_cbranch_vccnz .LBB2228_79
; %bb.78:
	v_cmp_lt_u32_e32 vcc, v0, v16
	v_mov_b32_e32 v19, v25
	v_lshlrev_b32_e32 v24, 3, v32
	v_cndmask_b32_e32 v35, v21, v23, vcc
	v_cndmask_b32_e32 v34, v20, v22, vcc
	v_lshl_add_u64 v[34:35], v[34:35], 0, v[18:19]
	v_cmp_lt_u32_e32 vcc, v32, v16
	s_waitcnt lgkmcnt(3)
	global_store_dwordx2 v[34:35], v[10:11], off
	v_cndmask_b32_e32 v35, v21, v23, vcc
	v_cndmask_b32_e32 v34, v20, v22, vcc
	v_lshl_add_u64 v[34:35], v[34:35], 0, v[24:25]
	v_cmp_lt_u32_e32 vcc, v31, v16
	global_store_dwordx2 v[34:35], v[12:13], off
	v_lshlrev_b32_e32 v24, 3, v31
	v_cndmask_b32_e32 v35, v21, v23, vcc
	v_cndmask_b32_e32 v34, v20, v22, vcc
	v_lshl_add_u64 v[34:35], v[34:35], 0, v[24:25]
	v_cmp_lt_u32_e32 vcc, v30, v16
	s_waitcnt lgkmcnt(2)
	global_store_dwordx2 v[34:35], v[6:7], off
	v_lshlrev_b32_e32 v24, 3, v30
	v_cndmask_b32_e32 v35, v21, v23, vcc
	v_cndmask_b32_e32 v34, v20, v22, vcc
	v_lshl_add_u64 v[34:35], v[34:35], 0, v[24:25]
	v_cmp_lt_u32_e32 vcc, v29, v16
	global_store_dwordx2 v[34:35], v[8:9], off
	v_lshlrev_b32_e32 v24, 3, v29
	v_cndmask_b32_e32 v35, v21, v23, vcc
	v_cndmask_b32_e32 v34, v20, v22, vcc
	v_lshl_add_u64 v[34:35], v[34:35], 0, v[24:25]
	v_cmp_lt_u32_e32 vcc, v28, v16
	s_waitcnt lgkmcnt(1)
	global_store_dwordx2 v[34:35], v[2:3], off
	v_lshlrev_b32_e32 v24, 3, v28
	v_cndmask_b32_e32 v35, v21, v23, vcc
	v_cndmask_b32_e32 v34, v20, v22, vcc
	v_lshl_add_u64 v[24:25], v[34:35], 0, v[24:25]
	s_mov_b64 s[0:1], -1
	global_store_dwordx2 v[24:25], v[4:5], off
	s_cbranch_execz .LBB2228_80
	s_branch .LBB2228_88
.LBB2228_79:
	s_mov_b64 s[0:1], 0
.LBB2228_80:
	v_cmp_gt_u32_e32 vcc, s33, v0
	s_and_saveexec_b64 s[0:1], vcc
	s_cbranch_execnz .LBB2228_93
; %bb.81:
	s_or_b64 exec, exec, s[0:1]
	v_cmp_gt_u32_e32 vcc, s33, v32
	s_and_saveexec_b64 s[0:1], vcc
	s_cbranch_execnz .LBB2228_94
.LBB2228_82:
	s_or_b64 exec, exec, s[0:1]
	v_cmp_gt_u32_e32 vcc, s33, v31
	s_and_saveexec_b64 s[0:1], vcc
	s_cbranch_execnz .LBB2228_95
.LBB2228_83:
	s_or_b64 exec, exec, s[0:1]
	v_cmp_gt_u32_e32 vcc, s33, v30
	s_and_saveexec_b64 s[0:1], vcc
	s_cbranch_execnz .LBB2228_96
.LBB2228_84:
	s_or_b64 exec, exec, s[0:1]
	v_cmp_gt_u32_e32 vcc, s33, v29
	s_and_saveexec_b64 s[0:1], vcc
	s_cbranch_execnz .LBB2228_97
.LBB2228_85:
	s_or_b64 exec, exec, s[0:1]
	v_cmp_gt_u32_e32 vcc, s33, v28
	s_and_saveexec_b64 s[0:1], vcc
	s_cbranch_execz .LBB2228_87
.LBB2228_86:
	v_cmp_lt_u32_e32 vcc, v28, v16
	s_waitcnt lgkmcnt(2)
	v_lshlrev_b32_e32 v6, 3, v28
	v_mov_b32_e32 v7, 0
	s_waitcnt lgkmcnt(1)
	v_cndmask_b32_e32 v3, v21, v23, vcc
	v_cndmask_b32_e32 v2, v20, v22, vcc
	v_lshl_add_u64 v[2:3], v[2:3], 0, v[6:7]
	global_store_dwordx2 v[2:3], v[4:5], off
.LBB2228_87:
	s_or_b64 exec, exec, s[0:1]
	v_cmp_gt_u32_e64 s[0:1], s33, v1
.LBB2228_88:
	s_and_saveexec_b64 s[2:3], s[0:1]
	s_cbranch_execnz .LBB2228_91
; %bb.89:
	s_or_b64 exec, exec, s[2:3]
	s_and_b64 s[0:1], s[18:19], s[22:23]
	s_and_saveexec_b64 s[2:3], s[0:1]
	s_cbranch_execnz .LBB2228_92
.LBB2228_90:
	s_endpgm
.LBB2228_91:
	v_cmp_lt_u32_e32 vcc, v1, v16
	v_lshlrev_b32_e32 v0, 3, v1
	v_mov_b32_e32 v1, 0
	s_waitcnt lgkmcnt(1)
	v_cndmask_b32_e32 v3, v21, v23, vcc
	v_cndmask_b32_e32 v2, v20, v22, vcc
	v_lshl_add_u64 v[0:1], v[2:3], 0, v[0:1]
	s_waitcnt lgkmcnt(0)
	global_store_dwordx2 v[0:1], v[26:27], off
	s_or_b64 exec, exec, s[2:3]
	s_and_b64 s[0:1], s[18:19], s[22:23]
	s_and_saveexec_b64 s[2:3], s[0:1]
	s_cbranch_execz .LBB2228_90
.LBB2228_92:
	v_mov_b32_e32 v0, 0
	global_store_dwordx2 v0, v[14:15], s[20:21]
	s_endpgm
.LBB2228_93:
	v_cmp_lt_u32_e32 vcc, v0, v16
	v_mov_b32_e32 v19, 0
	s_nop 0
	v_cndmask_b32_e32 v25, v21, v23, vcc
	v_cndmask_b32_e32 v24, v20, v22, vcc
	v_lshl_add_u64 v[18:19], v[24:25], 0, v[18:19]
	s_waitcnt lgkmcnt(3)
	global_store_dwordx2 v[18:19], v[10:11], off
	s_or_b64 exec, exec, s[0:1]
	v_cmp_gt_u32_e32 vcc, s33, v32
	s_and_saveexec_b64 s[0:1], vcc
	s_cbranch_execz .LBB2228_82
.LBB2228_94:
	v_cmp_lt_u32_e32 vcc, v32, v16
	v_lshlrev_b32_e32 v18, 3, v32
	v_mov_b32_e32 v19, 0
	s_waitcnt lgkmcnt(3)
	v_cndmask_b32_e32 v11, v21, v23, vcc
	v_cndmask_b32_e32 v10, v20, v22, vcc
	v_lshl_add_u64 v[10:11], v[10:11], 0, v[18:19]
	global_store_dwordx2 v[10:11], v[12:13], off
	s_or_b64 exec, exec, s[0:1]
	v_cmp_gt_u32_e32 vcc, s33, v31
	s_and_saveexec_b64 s[0:1], vcc
	s_cbranch_execz .LBB2228_83
.LBB2228_95:
	v_cmp_lt_u32_e32 vcc, v31, v16
	s_waitcnt lgkmcnt(3)
	v_lshlrev_b32_e32 v12, 3, v31
	v_mov_b32_e32 v13, 0
	v_cndmask_b32_e32 v11, v21, v23, vcc
	v_cndmask_b32_e32 v10, v20, v22, vcc
	v_lshl_add_u64 v[10:11], v[10:11], 0, v[12:13]
	s_waitcnt lgkmcnt(2)
	global_store_dwordx2 v[10:11], v[6:7], off
	s_or_b64 exec, exec, s[0:1]
	v_cmp_gt_u32_e32 vcc, s33, v30
	s_and_saveexec_b64 s[0:1], vcc
	s_cbranch_execz .LBB2228_84
.LBB2228_96:
	v_cmp_lt_u32_e32 vcc, v30, v16
	s_waitcnt lgkmcnt(3)
	v_lshlrev_b32_e32 v10, 3, v30
	v_mov_b32_e32 v11, 0
	s_waitcnt lgkmcnt(2)
	v_cndmask_b32_e32 v7, v21, v23, vcc
	v_cndmask_b32_e32 v6, v20, v22, vcc
	v_lshl_add_u64 v[6:7], v[6:7], 0, v[10:11]
	global_store_dwordx2 v[6:7], v[8:9], off
	s_or_b64 exec, exec, s[0:1]
	v_cmp_gt_u32_e32 vcc, s33, v29
	s_and_saveexec_b64 s[0:1], vcc
	s_cbranch_execz .LBB2228_85
.LBB2228_97:
	v_cmp_lt_u32_e32 vcc, v29, v16
	s_waitcnt lgkmcnt(2)
	v_lshlrev_b32_e32 v8, 3, v29
	v_mov_b32_e32 v9, 0
	v_cndmask_b32_e32 v7, v21, v23, vcc
	v_cndmask_b32_e32 v6, v20, v22, vcc
	v_lshl_add_u64 v[6:7], v[6:7], 0, v[8:9]
	s_waitcnt lgkmcnt(1)
	global_store_dwordx2 v[6:7], v[2:3], off
	s_or_b64 exec, exec, s[0:1]
	v_cmp_gt_u32_e32 vcc, s33, v28
	s_and_saveexec_b64 s[0:1], vcc
	s_cbranch_execnz .LBB2228_86
	s_branch .LBB2228_87
	.section	.rodata,"a",@progbits
	.p2align	6, 0x0
	.amdhsa_kernel _ZN7rocprim17ROCPRIM_400000_NS6detail17trampoline_kernelINS0_14default_configENS1_25partition_config_selectorILNS1_17partition_subalgoE1EyNS0_10empty_typeEbEEZZNS1_14partition_implILS5_1ELb0ES3_jN6thrust23THRUST_200600_302600_NS6detail15normal_iteratorINSA_10device_ptrIyEEEEPS6_NSA_18transform_iteratorI7is_evenIyESF_NSA_11use_defaultESK_EENS0_5tupleIJSF_SF_EEENSM_IJSG_SG_EEES6_PlJS6_EEE10hipError_tPvRmT3_T4_T5_T6_T7_T9_mT8_P12ihipStream_tbDpT10_ENKUlT_T0_E_clISt17integral_constantIbLb0EES18_IbLb1EEEEDaS14_S15_EUlS14_E_NS1_11comp_targetILNS1_3genE5ELNS1_11target_archE942ELNS1_3gpuE9ELNS1_3repE0EEENS1_30default_config_static_selectorELNS0_4arch9wavefront6targetE1EEEvT1_
		.amdhsa_group_segment_fixed_size 28680
		.amdhsa_private_segment_fixed_size 0
		.amdhsa_kernarg_size 144
		.amdhsa_user_sgpr_count 2
		.amdhsa_user_sgpr_dispatch_ptr 0
		.amdhsa_user_sgpr_queue_ptr 0
		.amdhsa_user_sgpr_kernarg_segment_ptr 1
		.amdhsa_user_sgpr_dispatch_id 0
		.amdhsa_user_sgpr_kernarg_preload_length 0
		.amdhsa_user_sgpr_kernarg_preload_offset 0
		.amdhsa_user_sgpr_private_segment_size 0
		.amdhsa_uses_dynamic_stack 0
		.amdhsa_enable_private_segment 0
		.amdhsa_system_sgpr_workgroup_id_x 1
		.amdhsa_system_sgpr_workgroup_id_y 0
		.amdhsa_system_sgpr_workgroup_id_z 0
		.amdhsa_system_sgpr_workgroup_info 0
		.amdhsa_system_vgpr_workitem_id 0
		.amdhsa_next_free_vgpr 58
		.amdhsa_next_free_sgpr 44
		.amdhsa_accum_offset 60
		.amdhsa_reserve_vcc 1
		.amdhsa_float_round_mode_32 0
		.amdhsa_float_round_mode_16_64 0
		.amdhsa_float_denorm_mode_32 3
		.amdhsa_float_denorm_mode_16_64 3
		.amdhsa_dx10_clamp 1
		.amdhsa_ieee_mode 1
		.amdhsa_fp16_overflow 0
		.amdhsa_tg_split 0
		.amdhsa_exception_fp_ieee_invalid_op 0
		.amdhsa_exception_fp_denorm_src 0
		.amdhsa_exception_fp_ieee_div_zero 0
		.amdhsa_exception_fp_ieee_overflow 0
		.amdhsa_exception_fp_ieee_underflow 0
		.amdhsa_exception_fp_ieee_inexact 0
		.amdhsa_exception_int_div_zero 0
	.end_amdhsa_kernel
	.section	.text._ZN7rocprim17ROCPRIM_400000_NS6detail17trampoline_kernelINS0_14default_configENS1_25partition_config_selectorILNS1_17partition_subalgoE1EyNS0_10empty_typeEbEEZZNS1_14partition_implILS5_1ELb0ES3_jN6thrust23THRUST_200600_302600_NS6detail15normal_iteratorINSA_10device_ptrIyEEEEPS6_NSA_18transform_iteratorI7is_evenIyESF_NSA_11use_defaultESK_EENS0_5tupleIJSF_SF_EEENSM_IJSG_SG_EEES6_PlJS6_EEE10hipError_tPvRmT3_T4_T5_T6_T7_T9_mT8_P12ihipStream_tbDpT10_ENKUlT_T0_E_clISt17integral_constantIbLb0EES18_IbLb1EEEEDaS14_S15_EUlS14_E_NS1_11comp_targetILNS1_3genE5ELNS1_11target_archE942ELNS1_3gpuE9ELNS1_3repE0EEENS1_30default_config_static_selectorELNS0_4arch9wavefront6targetE1EEEvT1_,"axG",@progbits,_ZN7rocprim17ROCPRIM_400000_NS6detail17trampoline_kernelINS0_14default_configENS1_25partition_config_selectorILNS1_17partition_subalgoE1EyNS0_10empty_typeEbEEZZNS1_14partition_implILS5_1ELb0ES3_jN6thrust23THRUST_200600_302600_NS6detail15normal_iteratorINSA_10device_ptrIyEEEEPS6_NSA_18transform_iteratorI7is_evenIyESF_NSA_11use_defaultESK_EENS0_5tupleIJSF_SF_EEENSM_IJSG_SG_EEES6_PlJS6_EEE10hipError_tPvRmT3_T4_T5_T6_T7_T9_mT8_P12ihipStream_tbDpT10_ENKUlT_T0_E_clISt17integral_constantIbLb0EES18_IbLb1EEEEDaS14_S15_EUlS14_E_NS1_11comp_targetILNS1_3genE5ELNS1_11target_archE942ELNS1_3gpuE9ELNS1_3repE0EEENS1_30default_config_static_selectorELNS0_4arch9wavefront6targetE1EEEvT1_,comdat
.Lfunc_end2228:
	.size	_ZN7rocprim17ROCPRIM_400000_NS6detail17trampoline_kernelINS0_14default_configENS1_25partition_config_selectorILNS1_17partition_subalgoE1EyNS0_10empty_typeEbEEZZNS1_14partition_implILS5_1ELb0ES3_jN6thrust23THRUST_200600_302600_NS6detail15normal_iteratorINSA_10device_ptrIyEEEEPS6_NSA_18transform_iteratorI7is_evenIyESF_NSA_11use_defaultESK_EENS0_5tupleIJSF_SF_EEENSM_IJSG_SG_EEES6_PlJS6_EEE10hipError_tPvRmT3_T4_T5_T6_T7_T9_mT8_P12ihipStream_tbDpT10_ENKUlT_T0_E_clISt17integral_constantIbLb0EES18_IbLb1EEEEDaS14_S15_EUlS14_E_NS1_11comp_targetILNS1_3genE5ELNS1_11target_archE942ELNS1_3gpuE9ELNS1_3repE0EEENS1_30default_config_static_selectorELNS0_4arch9wavefront6targetE1EEEvT1_, .Lfunc_end2228-_ZN7rocprim17ROCPRIM_400000_NS6detail17trampoline_kernelINS0_14default_configENS1_25partition_config_selectorILNS1_17partition_subalgoE1EyNS0_10empty_typeEbEEZZNS1_14partition_implILS5_1ELb0ES3_jN6thrust23THRUST_200600_302600_NS6detail15normal_iteratorINSA_10device_ptrIyEEEEPS6_NSA_18transform_iteratorI7is_evenIyESF_NSA_11use_defaultESK_EENS0_5tupleIJSF_SF_EEENSM_IJSG_SG_EEES6_PlJS6_EEE10hipError_tPvRmT3_T4_T5_T6_T7_T9_mT8_P12ihipStream_tbDpT10_ENKUlT_T0_E_clISt17integral_constantIbLb0EES18_IbLb1EEEEDaS14_S15_EUlS14_E_NS1_11comp_targetILNS1_3genE5ELNS1_11target_archE942ELNS1_3gpuE9ELNS1_3repE0EEENS1_30default_config_static_selectorELNS0_4arch9wavefront6targetE1EEEvT1_
                                        ; -- End function
	.section	.AMDGPU.csdata,"",@progbits
; Kernel info:
; codeLenInByte = 5188
; NumSgprs: 50
; NumVgprs: 58
; NumAgprs: 0
; TotalNumVgprs: 58
; ScratchSize: 0
; MemoryBound: 0
; FloatMode: 240
; IeeeMode: 1
; LDSByteSize: 28680 bytes/workgroup (compile time only)
; SGPRBlocks: 6
; VGPRBlocks: 7
; NumSGPRsForWavesPerEU: 50
; NumVGPRsForWavesPerEU: 58
; AccumOffset: 60
; Occupancy: 4
; WaveLimiterHint : 1
; COMPUTE_PGM_RSRC2:SCRATCH_EN: 0
; COMPUTE_PGM_RSRC2:USER_SGPR: 2
; COMPUTE_PGM_RSRC2:TRAP_HANDLER: 0
; COMPUTE_PGM_RSRC2:TGID_X_EN: 1
; COMPUTE_PGM_RSRC2:TGID_Y_EN: 0
; COMPUTE_PGM_RSRC2:TGID_Z_EN: 0
; COMPUTE_PGM_RSRC2:TIDIG_COMP_CNT: 0
; COMPUTE_PGM_RSRC3_GFX90A:ACCUM_OFFSET: 14
; COMPUTE_PGM_RSRC3_GFX90A:TG_SPLIT: 0
	.section	.text._ZN7rocprim17ROCPRIM_400000_NS6detail17trampoline_kernelINS0_14default_configENS1_25partition_config_selectorILNS1_17partition_subalgoE1EyNS0_10empty_typeEbEEZZNS1_14partition_implILS5_1ELb0ES3_jN6thrust23THRUST_200600_302600_NS6detail15normal_iteratorINSA_10device_ptrIyEEEEPS6_NSA_18transform_iteratorI7is_evenIyESF_NSA_11use_defaultESK_EENS0_5tupleIJSF_SF_EEENSM_IJSG_SG_EEES6_PlJS6_EEE10hipError_tPvRmT3_T4_T5_T6_T7_T9_mT8_P12ihipStream_tbDpT10_ENKUlT_T0_E_clISt17integral_constantIbLb0EES18_IbLb1EEEEDaS14_S15_EUlS14_E_NS1_11comp_targetILNS1_3genE4ELNS1_11target_archE910ELNS1_3gpuE8ELNS1_3repE0EEENS1_30default_config_static_selectorELNS0_4arch9wavefront6targetE1EEEvT1_,"axG",@progbits,_ZN7rocprim17ROCPRIM_400000_NS6detail17trampoline_kernelINS0_14default_configENS1_25partition_config_selectorILNS1_17partition_subalgoE1EyNS0_10empty_typeEbEEZZNS1_14partition_implILS5_1ELb0ES3_jN6thrust23THRUST_200600_302600_NS6detail15normal_iteratorINSA_10device_ptrIyEEEEPS6_NSA_18transform_iteratorI7is_evenIyESF_NSA_11use_defaultESK_EENS0_5tupleIJSF_SF_EEENSM_IJSG_SG_EEES6_PlJS6_EEE10hipError_tPvRmT3_T4_T5_T6_T7_T9_mT8_P12ihipStream_tbDpT10_ENKUlT_T0_E_clISt17integral_constantIbLb0EES18_IbLb1EEEEDaS14_S15_EUlS14_E_NS1_11comp_targetILNS1_3genE4ELNS1_11target_archE910ELNS1_3gpuE8ELNS1_3repE0EEENS1_30default_config_static_selectorELNS0_4arch9wavefront6targetE1EEEvT1_,comdat
	.protected	_ZN7rocprim17ROCPRIM_400000_NS6detail17trampoline_kernelINS0_14default_configENS1_25partition_config_selectorILNS1_17partition_subalgoE1EyNS0_10empty_typeEbEEZZNS1_14partition_implILS5_1ELb0ES3_jN6thrust23THRUST_200600_302600_NS6detail15normal_iteratorINSA_10device_ptrIyEEEEPS6_NSA_18transform_iteratorI7is_evenIyESF_NSA_11use_defaultESK_EENS0_5tupleIJSF_SF_EEENSM_IJSG_SG_EEES6_PlJS6_EEE10hipError_tPvRmT3_T4_T5_T6_T7_T9_mT8_P12ihipStream_tbDpT10_ENKUlT_T0_E_clISt17integral_constantIbLb0EES18_IbLb1EEEEDaS14_S15_EUlS14_E_NS1_11comp_targetILNS1_3genE4ELNS1_11target_archE910ELNS1_3gpuE8ELNS1_3repE0EEENS1_30default_config_static_selectorELNS0_4arch9wavefront6targetE1EEEvT1_ ; -- Begin function _ZN7rocprim17ROCPRIM_400000_NS6detail17trampoline_kernelINS0_14default_configENS1_25partition_config_selectorILNS1_17partition_subalgoE1EyNS0_10empty_typeEbEEZZNS1_14partition_implILS5_1ELb0ES3_jN6thrust23THRUST_200600_302600_NS6detail15normal_iteratorINSA_10device_ptrIyEEEEPS6_NSA_18transform_iteratorI7is_evenIyESF_NSA_11use_defaultESK_EENS0_5tupleIJSF_SF_EEENSM_IJSG_SG_EEES6_PlJS6_EEE10hipError_tPvRmT3_T4_T5_T6_T7_T9_mT8_P12ihipStream_tbDpT10_ENKUlT_T0_E_clISt17integral_constantIbLb0EES18_IbLb1EEEEDaS14_S15_EUlS14_E_NS1_11comp_targetILNS1_3genE4ELNS1_11target_archE910ELNS1_3gpuE8ELNS1_3repE0EEENS1_30default_config_static_selectorELNS0_4arch9wavefront6targetE1EEEvT1_
	.globl	_ZN7rocprim17ROCPRIM_400000_NS6detail17trampoline_kernelINS0_14default_configENS1_25partition_config_selectorILNS1_17partition_subalgoE1EyNS0_10empty_typeEbEEZZNS1_14partition_implILS5_1ELb0ES3_jN6thrust23THRUST_200600_302600_NS6detail15normal_iteratorINSA_10device_ptrIyEEEEPS6_NSA_18transform_iteratorI7is_evenIyESF_NSA_11use_defaultESK_EENS0_5tupleIJSF_SF_EEENSM_IJSG_SG_EEES6_PlJS6_EEE10hipError_tPvRmT3_T4_T5_T6_T7_T9_mT8_P12ihipStream_tbDpT10_ENKUlT_T0_E_clISt17integral_constantIbLb0EES18_IbLb1EEEEDaS14_S15_EUlS14_E_NS1_11comp_targetILNS1_3genE4ELNS1_11target_archE910ELNS1_3gpuE8ELNS1_3repE0EEENS1_30default_config_static_selectorELNS0_4arch9wavefront6targetE1EEEvT1_
	.p2align	8
	.type	_ZN7rocprim17ROCPRIM_400000_NS6detail17trampoline_kernelINS0_14default_configENS1_25partition_config_selectorILNS1_17partition_subalgoE1EyNS0_10empty_typeEbEEZZNS1_14partition_implILS5_1ELb0ES3_jN6thrust23THRUST_200600_302600_NS6detail15normal_iteratorINSA_10device_ptrIyEEEEPS6_NSA_18transform_iteratorI7is_evenIyESF_NSA_11use_defaultESK_EENS0_5tupleIJSF_SF_EEENSM_IJSG_SG_EEES6_PlJS6_EEE10hipError_tPvRmT3_T4_T5_T6_T7_T9_mT8_P12ihipStream_tbDpT10_ENKUlT_T0_E_clISt17integral_constantIbLb0EES18_IbLb1EEEEDaS14_S15_EUlS14_E_NS1_11comp_targetILNS1_3genE4ELNS1_11target_archE910ELNS1_3gpuE8ELNS1_3repE0EEENS1_30default_config_static_selectorELNS0_4arch9wavefront6targetE1EEEvT1_,@function
_ZN7rocprim17ROCPRIM_400000_NS6detail17trampoline_kernelINS0_14default_configENS1_25partition_config_selectorILNS1_17partition_subalgoE1EyNS0_10empty_typeEbEEZZNS1_14partition_implILS5_1ELb0ES3_jN6thrust23THRUST_200600_302600_NS6detail15normal_iteratorINSA_10device_ptrIyEEEEPS6_NSA_18transform_iteratorI7is_evenIyESF_NSA_11use_defaultESK_EENS0_5tupleIJSF_SF_EEENSM_IJSG_SG_EEES6_PlJS6_EEE10hipError_tPvRmT3_T4_T5_T6_T7_T9_mT8_P12ihipStream_tbDpT10_ENKUlT_T0_E_clISt17integral_constantIbLb0EES18_IbLb1EEEEDaS14_S15_EUlS14_E_NS1_11comp_targetILNS1_3genE4ELNS1_11target_archE910ELNS1_3gpuE8ELNS1_3repE0EEENS1_30default_config_static_selectorELNS0_4arch9wavefront6targetE1EEEvT1_: ; @_ZN7rocprim17ROCPRIM_400000_NS6detail17trampoline_kernelINS0_14default_configENS1_25partition_config_selectorILNS1_17partition_subalgoE1EyNS0_10empty_typeEbEEZZNS1_14partition_implILS5_1ELb0ES3_jN6thrust23THRUST_200600_302600_NS6detail15normal_iteratorINSA_10device_ptrIyEEEEPS6_NSA_18transform_iteratorI7is_evenIyESF_NSA_11use_defaultESK_EENS0_5tupleIJSF_SF_EEENSM_IJSG_SG_EEES6_PlJS6_EEE10hipError_tPvRmT3_T4_T5_T6_T7_T9_mT8_P12ihipStream_tbDpT10_ENKUlT_T0_E_clISt17integral_constantIbLb0EES18_IbLb1EEEEDaS14_S15_EUlS14_E_NS1_11comp_targetILNS1_3genE4ELNS1_11target_archE910ELNS1_3gpuE8ELNS1_3repE0EEENS1_30default_config_static_selectorELNS0_4arch9wavefront6targetE1EEEvT1_
; %bb.0:
	.section	.rodata,"a",@progbits
	.p2align	6, 0x0
	.amdhsa_kernel _ZN7rocprim17ROCPRIM_400000_NS6detail17trampoline_kernelINS0_14default_configENS1_25partition_config_selectorILNS1_17partition_subalgoE1EyNS0_10empty_typeEbEEZZNS1_14partition_implILS5_1ELb0ES3_jN6thrust23THRUST_200600_302600_NS6detail15normal_iteratorINSA_10device_ptrIyEEEEPS6_NSA_18transform_iteratorI7is_evenIyESF_NSA_11use_defaultESK_EENS0_5tupleIJSF_SF_EEENSM_IJSG_SG_EEES6_PlJS6_EEE10hipError_tPvRmT3_T4_T5_T6_T7_T9_mT8_P12ihipStream_tbDpT10_ENKUlT_T0_E_clISt17integral_constantIbLb0EES18_IbLb1EEEEDaS14_S15_EUlS14_E_NS1_11comp_targetILNS1_3genE4ELNS1_11target_archE910ELNS1_3gpuE8ELNS1_3repE0EEENS1_30default_config_static_selectorELNS0_4arch9wavefront6targetE1EEEvT1_
		.amdhsa_group_segment_fixed_size 0
		.amdhsa_private_segment_fixed_size 0
		.amdhsa_kernarg_size 144
		.amdhsa_user_sgpr_count 2
		.amdhsa_user_sgpr_dispatch_ptr 0
		.amdhsa_user_sgpr_queue_ptr 0
		.amdhsa_user_sgpr_kernarg_segment_ptr 1
		.amdhsa_user_sgpr_dispatch_id 0
		.amdhsa_user_sgpr_kernarg_preload_length 0
		.amdhsa_user_sgpr_kernarg_preload_offset 0
		.amdhsa_user_sgpr_private_segment_size 0
		.amdhsa_uses_dynamic_stack 0
		.amdhsa_enable_private_segment 0
		.amdhsa_system_sgpr_workgroup_id_x 1
		.amdhsa_system_sgpr_workgroup_id_y 0
		.amdhsa_system_sgpr_workgroup_id_z 0
		.amdhsa_system_sgpr_workgroup_info 0
		.amdhsa_system_vgpr_workitem_id 0
		.amdhsa_next_free_vgpr 1
		.amdhsa_next_free_sgpr 0
		.amdhsa_accum_offset 4
		.amdhsa_reserve_vcc 0
		.amdhsa_float_round_mode_32 0
		.amdhsa_float_round_mode_16_64 0
		.amdhsa_float_denorm_mode_32 3
		.amdhsa_float_denorm_mode_16_64 3
		.amdhsa_dx10_clamp 1
		.amdhsa_ieee_mode 1
		.amdhsa_fp16_overflow 0
		.amdhsa_tg_split 0
		.amdhsa_exception_fp_ieee_invalid_op 0
		.amdhsa_exception_fp_denorm_src 0
		.amdhsa_exception_fp_ieee_div_zero 0
		.amdhsa_exception_fp_ieee_overflow 0
		.amdhsa_exception_fp_ieee_underflow 0
		.amdhsa_exception_fp_ieee_inexact 0
		.amdhsa_exception_int_div_zero 0
	.end_amdhsa_kernel
	.section	.text._ZN7rocprim17ROCPRIM_400000_NS6detail17trampoline_kernelINS0_14default_configENS1_25partition_config_selectorILNS1_17partition_subalgoE1EyNS0_10empty_typeEbEEZZNS1_14partition_implILS5_1ELb0ES3_jN6thrust23THRUST_200600_302600_NS6detail15normal_iteratorINSA_10device_ptrIyEEEEPS6_NSA_18transform_iteratorI7is_evenIyESF_NSA_11use_defaultESK_EENS0_5tupleIJSF_SF_EEENSM_IJSG_SG_EEES6_PlJS6_EEE10hipError_tPvRmT3_T4_T5_T6_T7_T9_mT8_P12ihipStream_tbDpT10_ENKUlT_T0_E_clISt17integral_constantIbLb0EES18_IbLb1EEEEDaS14_S15_EUlS14_E_NS1_11comp_targetILNS1_3genE4ELNS1_11target_archE910ELNS1_3gpuE8ELNS1_3repE0EEENS1_30default_config_static_selectorELNS0_4arch9wavefront6targetE1EEEvT1_,"axG",@progbits,_ZN7rocprim17ROCPRIM_400000_NS6detail17trampoline_kernelINS0_14default_configENS1_25partition_config_selectorILNS1_17partition_subalgoE1EyNS0_10empty_typeEbEEZZNS1_14partition_implILS5_1ELb0ES3_jN6thrust23THRUST_200600_302600_NS6detail15normal_iteratorINSA_10device_ptrIyEEEEPS6_NSA_18transform_iteratorI7is_evenIyESF_NSA_11use_defaultESK_EENS0_5tupleIJSF_SF_EEENSM_IJSG_SG_EEES6_PlJS6_EEE10hipError_tPvRmT3_T4_T5_T6_T7_T9_mT8_P12ihipStream_tbDpT10_ENKUlT_T0_E_clISt17integral_constantIbLb0EES18_IbLb1EEEEDaS14_S15_EUlS14_E_NS1_11comp_targetILNS1_3genE4ELNS1_11target_archE910ELNS1_3gpuE8ELNS1_3repE0EEENS1_30default_config_static_selectorELNS0_4arch9wavefront6targetE1EEEvT1_,comdat
.Lfunc_end2229:
	.size	_ZN7rocprim17ROCPRIM_400000_NS6detail17trampoline_kernelINS0_14default_configENS1_25partition_config_selectorILNS1_17partition_subalgoE1EyNS0_10empty_typeEbEEZZNS1_14partition_implILS5_1ELb0ES3_jN6thrust23THRUST_200600_302600_NS6detail15normal_iteratorINSA_10device_ptrIyEEEEPS6_NSA_18transform_iteratorI7is_evenIyESF_NSA_11use_defaultESK_EENS0_5tupleIJSF_SF_EEENSM_IJSG_SG_EEES6_PlJS6_EEE10hipError_tPvRmT3_T4_T5_T6_T7_T9_mT8_P12ihipStream_tbDpT10_ENKUlT_T0_E_clISt17integral_constantIbLb0EES18_IbLb1EEEEDaS14_S15_EUlS14_E_NS1_11comp_targetILNS1_3genE4ELNS1_11target_archE910ELNS1_3gpuE8ELNS1_3repE0EEENS1_30default_config_static_selectorELNS0_4arch9wavefront6targetE1EEEvT1_, .Lfunc_end2229-_ZN7rocprim17ROCPRIM_400000_NS6detail17trampoline_kernelINS0_14default_configENS1_25partition_config_selectorILNS1_17partition_subalgoE1EyNS0_10empty_typeEbEEZZNS1_14partition_implILS5_1ELb0ES3_jN6thrust23THRUST_200600_302600_NS6detail15normal_iteratorINSA_10device_ptrIyEEEEPS6_NSA_18transform_iteratorI7is_evenIyESF_NSA_11use_defaultESK_EENS0_5tupleIJSF_SF_EEENSM_IJSG_SG_EEES6_PlJS6_EEE10hipError_tPvRmT3_T4_T5_T6_T7_T9_mT8_P12ihipStream_tbDpT10_ENKUlT_T0_E_clISt17integral_constantIbLb0EES18_IbLb1EEEEDaS14_S15_EUlS14_E_NS1_11comp_targetILNS1_3genE4ELNS1_11target_archE910ELNS1_3gpuE8ELNS1_3repE0EEENS1_30default_config_static_selectorELNS0_4arch9wavefront6targetE1EEEvT1_
                                        ; -- End function
	.section	.AMDGPU.csdata,"",@progbits
; Kernel info:
; codeLenInByte = 0
; NumSgprs: 6
; NumVgprs: 0
; NumAgprs: 0
; TotalNumVgprs: 0
; ScratchSize: 0
; MemoryBound: 0
; FloatMode: 240
; IeeeMode: 1
; LDSByteSize: 0 bytes/workgroup (compile time only)
; SGPRBlocks: 0
; VGPRBlocks: 0
; NumSGPRsForWavesPerEU: 6
; NumVGPRsForWavesPerEU: 1
; AccumOffset: 4
; Occupancy: 8
; WaveLimiterHint : 0
; COMPUTE_PGM_RSRC2:SCRATCH_EN: 0
; COMPUTE_PGM_RSRC2:USER_SGPR: 2
; COMPUTE_PGM_RSRC2:TRAP_HANDLER: 0
; COMPUTE_PGM_RSRC2:TGID_X_EN: 1
; COMPUTE_PGM_RSRC2:TGID_Y_EN: 0
; COMPUTE_PGM_RSRC2:TGID_Z_EN: 0
; COMPUTE_PGM_RSRC2:TIDIG_COMP_CNT: 0
; COMPUTE_PGM_RSRC3_GFX90A:ACCUM_OFFSET: 0
; COMPUTE_PGM_RSRC3_GFX90A:TG_SPLIT: 0
	.section	.text._ZN7rocprim17ROCPRIM_400000_NS6detail17trampoline_kernelINS0_14default_configENS1_25partition_config_selectorILNS1_17partition_subalgoE1EyNS0_10empty_typeEbEEZZNS1_14partition_implILS5_1ELb0ES3_jN6thrust23THRUST_200600_302600_NS6detail15normal_iteratorINSA_10device_ptrIyEEEEPS6_NSA_18transform_iteratorI7is_evenIyESF_NSA_11use_defaultESK_EENS0_5tupleIJSF_SF_EEENSM_IJSG_SG_EEES6_PlJS6_EEE10hipError_tPvRmT3_T4_T5_T6_T7_T9_mT8_P12ihipStream_tbDpT10_ENKUlT_T0_E_clISt17integral_constantIbLb0EES18_IbLb1EEEEDaS14_S15_EUlS14_E_NS1_11comp_targetILNS1_3genE3ELNS1_11target_archE908ELNS1_3gpuE7ELNS1_3repE0EEENS1_30default_config_static_selectorELNS0_4arch9wavefront6targetE1EEEvT1_,"axG",@progbits,_ZN7rocprim17ROCPRIM_400000_NS6detail17trampoline_kernelINS0_14default_configENS1_25partition_config_selectorILNS1_17partition_subalgoE1EyNS0_10empty_typeEbEEZZNS1_14partition_implILS5_1ELb0ES3_jN6thrust23THRUST_200600_302600_NS6detail15normal_iteratorINSA_10device_ptrIyEEEEPS6_NSA_18transform_iteratorI7is_evenIyESF_NSA_11use_defaultESK_EENS0_5tupleIJSF_SF_EEENSM_IJSG_SG_EEES6_PlJS6_EEE10hipError_tPvRmT3_T4_T5_T6_T7_T9_mT8_P12ihipStream_tbDpT10_ENKUlT_T0_E_clISt17integral_constantIbLb0EES18_IbLb1EEEEDaS14_S15_EUlS14_E_NS1_11comp_targetILNS1_3genE3ELNS1_11target_archE908ELNS1_3gpuE7ELNS1_3repE0EEENS1_30default_config_static_selectorELNS0_4arch9wavefront6targetE1EEEvT1_,comdat
	.protected	_ZN7rocprim17ROCPRIM_400000_NS6detail17trampoline_kernelINS0_14default_configENS1_25partition_config_selectorILNS1_17partition_subalgoE1EyNS0_10empty_typeEbEEZZNS1_14partition_implILS5_1ELb0ES3_jN6thrust23THRUST_200600_302600_NS6detail15normal_iteratorINSA_10device_ptrIyEEEEPS6_NSA_18transform_iteratorI7is_evenIyESF_NSA_11use_defaultESK_EENS0_5tupleIJSF_SF_EEENSM_IJSG_SG_EEES6_PlJS6_EEE10hipError_tPvRmT3_T4_T5_T6_T7_T9_mT8_P12ihipStream_tbDpT10_ENKUlT_T0_E_clISt17integral_constantIbLb0EES18_IbLb1EEEEDaS14_S15_EUlS14_E_NS1_11comp_targetILNS1_3genE3ELNS1_11target_archE908ELNS1_3gpuE7ELNS1_3repE0EEENS1_30default_config_static_selectorELNS0_4arch9wavefront6targetE1EEEvT1_ ; -- Begin function _ZN7rocprim17ROCPRIM_400000_NS6detail17trampoline_kernelINS0_14default_configENS1_25partition_config_selectorILNS1_17partition_subalgoE1EyNS0_10empty_typeEbEEZZNS1_14partition_implILS5_1ELb0ES3_jN6thrust23THRUST_200600_302600_NS6detail15normal_iteratorINSA_10device_ptrIyEEEEPS6_NSA_18transform_iteratorI7is_evenIyESF_NSA_11use_defaultESK_EENS0_5tupleIJSF_SF_EEENSM_IJSG_SG_EEES6_PlJS6_EEE10hipError_tPvRmT3_T4_T5_T6_T7_T9_mT8_P12ihipStream_tbDpT10_ENKUlT_T0_E_clISt17integral_constantIbLb0EES18_IbLb1EEEEDaS14_S15_EUlS14_E_NS1_11comp_targetILNS1_3genE3ELNS1_11target_archE908ELNS1_3gpuE7ELNS1_3repE0EEENS1_30default_config_static_selectorELNS0_4arch9wavefront6targetE1EEEvT1_
	.globl	_ZN7rocprim17ROCPRIM_400000_NS6detail17trampoline_kernelINS0_14default_configENS1_25partition_config_selectorILNS1_17partition_subalgoE1EyNS0_10empty_typeEbEEZZNS1_14partition_implILS5_1ELb0ES3_jN6thrust23THRUST_200600_302600_NS6detail15normal_iteratorINSA_10device_ptrIyEEEEPS6_NSA_18transform_iteratorI7is_evenIyESF_NSA_11use_defaultESK_EENS0_5tupleIJSF_SF_EEENSM_IJSG_SG_EEES6_PlJS6_EEE10hipError_tPvRmT3_T4_T5_T6_T7_T9_mT8_P12ihipStream_tbDpT10_ENKUlT_T0_E_clISt17integral_constantIbLb0EES18_IbLb1EEEEDaS14_S15_EUlS14_E_NS1_11comp_targetILNS1_3genE3ELNS1_11target_archE908ELNS1_3gpuE7ELNS1_3repE0EEENS1_30default_config_static_selectorELNS0_4arch9wavefront6targetE1EEEvT1_
	.p2align	8
	.type	_ZN7rocprim17ROCPRIM_400000_NS6detail17trampoline_kernelINS0_14default_configENS1_25partition_config_selectorILNS1_17partition_subalgoE1EyNS0_10empty_typeEbEEZZNS1_14partition_implILS5_1ELb0ES3_jN6thrust23THRUST_200600_302600_NS6detail15normal_iteratorINSA_10device_ptrIyEEEEPS6_NSA_18transform_iteratorI7is_evenIyESF_NSA_11use_defaultESK_EENS0_5tupleIJSF_SF_EEENSM_IJSG_SG_EEES6_PlJS6_EEE10hipError_tPvRmT3_T4_T5_T6_T7_T9_mT8_P12ihipStream_tbDpT10_ENKUlT_T0_E_clISt17integral_constantIbLb0EES18_IbLb1EEEEDaS14_S15_EUlS14_E_NS1_11comp_targetILNS1_3genE3ELNS1_11target_archE908ELNS1_3gpuE7ELNS1_3repE0EEENS1_30default_config_static_selectorELNS0_4arch9wavefront6targetE1EEEvT1_,@function
_ZN7rocprim17ROCPRIM_400000_NS6detail17trampoline_kernelINS0_14default_configENS1_25partition_config_selectorILNS1_17partition_subalgoE1EyNS0_10empty_typeEbEEZZNS1_14partition_implILS5_1ELb0ES3_jN6thrust23THRUST_200600_302600_NS6detail15normal_iteratorINSA_10device_ptrIyEEEEPS6_NSA_18transform_iteratorI7is_evenIyESF_NSA_11use_defaultESK_EENS0_5tupleIJSF_SF_EEENSM_IJSG_SG_EEES6_PlJS6_EEE10hipError_tPvRmT3_T4_T5_T6_T7_T9_mT8_P12ihipStream_tbDpT10_ENKUlT_T0_E_clISt17integral_constantIbLb0EES18_IbLb1EEEEDaS14_S15_EUlS14_E_NS1_11comp_targetILNS1_3genE3ELNS1_11target_archE908ELNS1_3gpuE7ELNS1_3repE0EEENS1_30default_config_static_selectorELNS0_4arch9wavefront6targetE1EEEvT1_: ; @_ZN7rocprim17ROCPRIM_400000_NS6detail17trampoline_kernelINS0_14default_configENS1_25partition_config_selectorILNS1_17partition_subalgoE1EyNS0_10empty_typeEbEEZZNS1_14partition_implILS5_1ELb0ES3_jN6thrust23THRUST_200600_302600_NS6detail15normal_iteratorINSA_10device_ptrIyEEEEPS6_NSA_18transform_iteratorI7is_evenIyESF_NSA_11use_defaultESK_EENS0_5tupleIJSF_SF_EEENSM_IJSG_SG_EEES6_PlJS6_EEE10hipError_tPvRmT3_T4_T5_T6_T7_T9_mT8_P12ihipStream_tbDpT10_ENKUlT_T0_E_clISt17integral_constantIbLb0EES18_IbLb1EEEEDaS14_S15_EUlS14_E_NS1_11comp_targetILNS1_3genE3ELNS1_11target_archE908ELNS1_3gpuE7ELNS1_3repE0EEENS1_30default_config_static_selectorELNS0_4arch9wavefront6targetE1EEEvT1_
; %bb.0:
	.section	.rodata,"a",@progbits
	.p2align	6, 0x0
	.amdhsa_kernel _ZN7rocprim17ROCPRIM_400000_NS6detail17trampoline_kernelINS0_14default_configENS1_25partition_config_selectorILNS1_17partition_subalgoE1EyNS0_10empty_typeEbEEZZNS1_14partition_implILS5_1ELb0ES3_jN6thrust23THRUST_200600_302600_NS6detail15normal_iteratorINSA_10device_ptrIyEEEEPS6_NSA_18transform_iteratorI7is_evenIyESF_NSA_11use_defaultESK_EENS0_5tupleIJSF_SF_EEENSM_IJSG_SG_EEES6_PlJS6_EEE10hipError_tPvRmT3_T4_T5_T6_T7_T9_mT8_P12ihipStream_tbDpT10_ENKUlT_T0_E_clISt17integral_constantIbLb0EES18_IbLb1EEEEDaS14_S15_EUlS14_E_NS1_11comp_targetILNS1_3genE3ELNS1_11target_archE908ELNS1_3gpuE7ELNS1_3repE0EEENS1_30default_config_static_selectorELNS0_4arch9wavefront6targetE1EEEvT1_
		.amdhsa_group_segment_fixed_size 0
		.amdhsa_private_segment_fixed_size 0
		.amdhsa_kernarg_size 144
		.amdhsa_user_sgpr_count 2
		.amdhsa_user_sgpr_dispatch_ptr 0
		.amdhsa_user_sgpr_queue_ptr 0
		.amdhsa_user_sgpr_kernarg_segment_ptr 1
		.amdhsa_user_sgpr_dispatch_id 0
		.amdhsa_user_sgpr_kernarg_preload_length 0
		.amdhsa_user_sgpr_kernarg_preload_offset 0
		.amdhsa_user_sgpr_private_segment_size 0
		.amdhsa_uses_dynamic_stack 0
		.amdhsa_enable_private_segment 0
		.amdhsa_system_sgpr_workgroup_id_x 1
		.amdhsa_system_sgpr_workgroup_id_y 0
		.amdhsa_system_sgpr_workgroup_id_z 0
		.amdhsa_system_sgpr_workgroup_info 0
		.amdhsa_system_vgpr_workitem_id 0
		.amdhsa_next_free_vgpr 1
		.amdhsa_next_free_sgpr 0
		.amdhsa_accum_offset 4
		.amdhsa_reserve_vcc 0
		.amdhsa_float_round_mode_32 0
		.amdhsa_float_round_mode_16_64 0
		.amdhsa_float_denorm_mode_32 3
		.amdhsa_float_denorm_mode_16_64 3
		.amdhsa_dx10_clamp 1
		.amdhsa_ieee_mode 1
		.amdhsa_fp16_overflow 0
		.amdhsa_tg_split 0
		.amdhsa_exception_fp_ieee_invalid_op 0
		.amdhsa_exception_fp_denorm_src 0
		.amdhsa_exception_fp_ieee_div_zero 0
		.amdhsa_exception_fp_ieee_overflow 0
		.amdhsa_exception_fp_ieee_underflow 0
		.amdhsa_exception_fp_ieee_inexact 0
		.amdhsa_exception_int_div_zero 0
	.end_amdhsa_kernel
	.section	.text._ZN7rocprim17ROCPRIM_400000_NS6detail17trampoline_kernelINS0_14default_configENS1_25partition_config_selectorILNS1_17partition_subalgoE1EyNS0_10empty_typeEbEEZZNS1_14partition_implILS5_1ELb0ES3_jN6thrust23THRUST_200600_302600_NS6detail15normal_iteratorINSA_10device_ptrIyEEEEPS6_NSA_18transform_iteratorI7is_evenIyESF_NSA_11use_defaultESK_EENS0_5tupleIJSF_SF_EEENSM_IJSG_SG_EEES6_PlJS6_EEE10hipError_tPvRmT3_T4_T5_T6_T7_T9_mT8_P12ihipStream_tbDpT10_ENKUlT_T0_E_clISt17integral_constantIbLb0EES18_IbLb1EEEEDaS14_S15_EUlS14_E_NS1_11comp_targetILNS1_3genE3ELNS1_11target_archE908ELNS1_3gpuE7ELNS1_3repE0EEENS1_30default_config_static_selectorELNS0_4arch9wavefront6targetE1EEEvT1_,"axG",@progbits,_ZN7rocprim17ROCPRIM_400000_NS6detail17trampoline_kernelINS0_14default_configENS1_25partition_config_selectorILNS1_17partition_subalgoE1EyNS0_10empty_typeEbEEZZNS1_14partition_implILS5_1ELb0ES3_jN6thrust23THRUST_200600_302600_NS6detail15normal_iteratorINSA_10device_ptrIyEEEEPS6_NSA_18transform_iteratorI7is_evenIyESF_NSA_11use_defaultESK_EENS0_5tupleIJSF_SF_EEENSM_IJSG_SG_EEES6_PlJS6_EEE10hipError_tPvRmT3_T4_T5_T6_T7_T9_mT8_P12ihipStream_tbDpT10_ENKUlT_T0_E_clISt17integral_constantIbLb0EES18_IbLb1EEEEDaS14_S15_EUlS14_E_NS1_11comp_targetILNS1_3genE3ELNS1_11target_archE908ELNS1_3gpuE7ELNS1_3repE0EEENS1_30default_config_static_selectorELNS0_4arch9wavefront6targetE1EEEvT1_,comdat
.Lfunc_end2230:
	.size	_ZN7rocprim17ROCPRIM_400000_NS6detail17trampoline_kernelINS0_14default_configENS1_25partition_config_selectorILNS1_17partition_subalgoE1EyNS0_10empty_typeEbEEZZNS1_14partition_implILS5_1ELb0ES3_jN6thrust23THRUST_200600_302600_NS6detail15normal_iteratorINSA_10device_ptrIyEEEEPS6_NSA_18transform_iteratorI7is_evenIyESF_NSA_11use_defaultESK_EENS0_5tupleIJSF_SF_EEENSM_IJSG_SG_EEES6_PlJS6_EEE10hipError_tPvRmT3_T4_T5_T6_T7_T9_mT8_P12ihipStream_tbDpT10_ENKUlT_T0_E_clISt17integral_constantIbLb0EES18_IbLb1EEEEDaS14_S15_EUlS14_E_NS1_11comp_targetILNS1_3genE3ELNS1_11target_archE908ELNS1_3gpuE7ELNS1_3repE0EEENS1_30default_config_static_selectorELNS0_4arch9wavefront6targetE1EEEvT1_, .Lfunc_end2230-_ZN7rocprim17ROCPRIM_400000_NS6detail17trampoline_kernelINS0_14default_configENS1_25partition_config_selectorILNS1_17partition_subalgoE1EyNS0_10empty_typeEbEEZZNS1_14partition_implILS5_1ELb0ES3_jN6thrust23THRUST_200600_302600_NS6detail15normal_iteratorINSA_10device_ptrIyEEEEPS6_NSA_18transform_iteratorI7is_evenIyESF_NSA_11use_defaultESK_EENS0_5tupleIJSF_SF_EEENSM_IJSG_SG_EEES6_PlJS6_EEE10hipError_tPvRmT3_T4_T5_T6_T7_T9_mT8_P12ihipStream_tbDpT10_ENKUlT_T0_E_clISt17integral_constantIbLb0EES18_IbLb1EEEEDaS14_S15_EUlS14_E_NS1_11comp_targetILNS1_3genE3ELNS1_11target_archE908ELNS1_3gpuE7ELNS1_3repE0EEENS1_30default_config_static_selectorELNS0_4arch9wavefront6targetE1EEEvT1_
                                        ; -- End function
	.section	.AMDGPU.csdata,"",@progbits
; Kernel info:
; codeLenInByte = 0
; NumSgprs: 6
; NumVgprs: 0
; NumAgprs: 0
; TotalNumVgprs: 0
; ScratchSize: 0
; MemoryBound: 0
; FloatMode: 240
; IeeeMode: 1
; LDSByteSize: 0 bytes/workgroup (compile time only)
; SGPRBlocks: 0
; VGPRBlocks: 0
; NumSGPRsForWavesPerEU: 6
; NumVGPRsForWavesPerEU: 1
; AccumOffset: 4
; Occupancy: 8
; WaveLimiterHint : 0
; COMPUTE_PGM_RSRC2:SCRATCH_EN: 0
; COMPUTE_PGM_RSRC2:USER_SGPR: 2
; COMPUTE_PGM_RSRC2:TRAP_HANDLER: 0
; COMPUTE_PGM_RSRC2:TGID_X_EN: 1
; COMPUTE_PGM_RSRC2:TGID_Y_EN: 0
; COMPUTE_PGM_RSRC2:TGID_Z_EN: 0
; COMPUTE_PGM_RSRC2:TIDIG_COMP_CNT: 0
; COMPUTE_PGM_RSRC3_GFX90A:ACCUM_OFFSET: 0
; COMPUTE_PGM_RSRC3_GFX90A:TG_SPLIT: 0
	.section	.text._ZN7rocprim17ROCPRIM_400000_NS6detail17trampoline_kernelINS0_14default_configENS1_25partition_config_selectorILNS1_17partition_subalgoE1EyNS0_10empty_typeEbEEZZNS1_14partition_implILS5_1ELb0ES3_jN6thrust23THRUST_200600_302600_NS6detail15normal_iteratorINSA_10device_ptrIyEEEEPS6_NSA_18transform_iteratorI7is_evenIyESF_NSA_11use_defaultESK_EENS0_5tupleIJSF_SF_EEENSM_IJSG_SG_EEES6_PlJS6_EEE10hipError_tPvRmT3_T4_T5_T6_T7_T9_mT8_P12ihipStream_tbDpT10_ENKUlT_T0_E_clISt17integral_constantIbLb0EES18_IbLb1EEEEDaS14_S15_EUlS14_E_NS1_11comp_targetILNS1_3genE2ELNS1_11target_archE906ELNS1_3gpuE6ELNS1_3repE0EEENS1_30default_config_static_selectorELNS0_4arch9wavefront6targetE1EEEvT1_,"axG",@progbits,_ZN7rocprim17ROCPRIM_400000_NS6detail17trampoline_kernelINS0_14default_configENS1_25partition_config_selectorILNS1_17partition_subalgoE1EyNS0_10empty_typeEbEEZZNS1_14partition_implILS5_1ELb0ES3_jN6thrust23THRUST_200600_302600_NS6detail15normal_iteratorINSA_10device_ptrIyEEEEPS6_NSA_18transform_iteratorI7is_evenIyESF_NSA_11use_defaultESK_EENS0_5tupleIJSF_SF_EEENSM_IJSG_SG_EEES6_PlJS6_EEE10hipError_tPvRmT3_T4_T5_T6_T7_T9_mT8_P12ihipStream_tbDpT10_ENKUlT_T0_E_clISt17integral_constantIbLb0EES18_IbLb1EEEEDaS14_S15_EUlS14_E_NS1_11comp_targetILNS1_3genE2ELNS1_11target_archE906ELNS1_3gpuE6ELNS1_3repE0EEENS1_30default_config_static_selectorELNS0_4arch9wavefront6targetE1EEEvT1_,comdat
	.protected	_ZN7rocprim17ROCPRIM_400000_NS6detail17trampoline_kernelINS0_14default_configENS1_25partition_config_selectorILNS1_17partition_subalgoE1EyNS0_10empty_typeEbEEZZNS1_14partition_implILS5_1ELb0ES3_jN6thrust23THRUST_200600_302600_NS6detail15normal_iteratorINSA_10device_ptrIyEEEEPS6_NSA_18transform_iteratorI7is_evenIyESF_NSA_11use_defaultESK_EENS0_5tupleIJSF_SF_EEENSM_IJSG_SG_EEES6_PlJS6_EEE10hipError_tPvRmT3_T4_T5_T6_T7_T9_mT8_P12ihipStream_tbDpT10_ENKUlT_T0_E_clISt17integral_constantIbLb0EES18_IbLb1EEEEDaS14_S15_EUlS14_E_NS1_11comp_targetILNS1_3genE2ELNS1_11target_archE906ELNS1_3gpuE6ELNS1_3repE0EEENS1_30default_config_static_selectorELNS0_4arch9wavefront6targetE1EEEvT1_ ; -- Begin function _ZN7rocprim17ROCPRIM_400000_NS6detail17trampoline_kernelINS0_14default_configENS1_25partition_config_selectorILNS1_17partition_subalgoE1EyNS0_10empty_typeEbEEZZNS1_14partition_implILS5_1ELb0ES3_jN6thrust23THRUST_200600_302600_NS6detail15normal_iteratorINSA_10device_ptrIyEEEEPS6_NSA_18transform_iteratorI7is_evenIyESF_NSA_11use_defaultESK_EENS0_5tupleIJSF_SF_EEENSM_IJSG_SG_EEES6_PlJS6_EEE10hipError_tPvRmT3_T4_T5_T6_T7_T9_mT8_P12ihipStream_tbDpT10_ENKUlT_T0_E_clISt17integral_constantIbLb0EES18_IbLb1EEEEDaS14_S15_EUlS14_E_NS1_11comp_targetILNS1_3genE2ELNS1_11target_archE906ELNS1_3gpuE6ELNS1_3repE0EEENS1_30default_config_static_selectorELNS0_4arch9wavefront6targetE1EEEvT1_
	.globl	_ZN7rocprim17ROCPRIM_400000_NS6detail17trampoline_kernelINS0_14default_configENS1_25partition_config_selectorILNS1_17partition_subalgoE1EyNS0_10empty_typeEbEEZZNS1_14partition_implILS5_1ELb0ES3_jN6thrust23THRUST_200600_302600_NS6detail15normal_iteratorINSA_10device_ptrIyEEEEPS6_NSA_18transform_iteratorI7is_evenIyESF_NSA_11use_defaultESK_EENS0_5tupleIJSF_SF_EEENSM_IJSG_SG_EEES6_PlJS6_EEE10hipError_tPvRmT3_T4_T5_T6_T7_T9_mT8_P12ihipStream_tbDpT10_ENKUlT_T0_E_clISt17integral_constantIbLb0EES18_IbLb1EEEEDaS14_S15_EUlS14_E_NS1_11comp_targetILNS1_3genE2ELNS1_11target_archE906ELNS1_3gpuE6ELNS1_3repE0EEENS1_30default_config_static_selectorELNS0_4arch9wavefront6targetE1EEEvT1_
	.p2align	8
	.type	_ZN7rocprim17ROCPRIM_400000_NS6detail17trampoline_kernelINS0_14default_configENS1_25partition_config_selectorILNS1_17partition_subalgoE1EyNS0_10empty_typeEbEEZZNS1_14partition_implILS5_1ELb0ES3_jN6thrust23THRUST_200600_302600_NS6detail15normal_iteratorINSA_10device_ptrIyEEEEPS6_NSA_18transform_iteratorI7is_evenIyESF_NSA_11use_defaultESK_EENS0_5tupleIJSF_SF_EEENSM_IJSG_SG_EEES6_PlJS6_EEE10hipError_tPvRmT3_T4_T5_T6_T7_T9_mT8_P12ihipStream_tbDpT10_ENKUlT_T0_E_clISt17integral_constantIbLb0EES18_IbLb1EEEEDaS14_S15_EUlS14_E_NS1_11comp_targetILNS1_3genE2ELNS1_11target_archE906ELNS1_3gpuE6ELNS1_3repE0EEENS1_30default_config_static_selectorELNS0_4arch9wavefront6targetE1EEEvT1_,@function
_ZN7rocprim17ROCPRIM_400000_NS6detail17trampoline_kernelINS0_14default_configENS1_25partition_config_selectorILNS1_17partition_subalgoE1EyNS0_10empty_typeEbEEZZNS1_14partition_implILS5_1ELb0ES3_jN6thrust23THRUST_200600_302600_NS6detail15normal_iteratorINSA_10device_ptrIyEEEEPS6_NSA_18transform_iteratorI7is_evenIyESF_NSA_11use_defaultESK_EENS0_5tupleIJSF_SF_EEENSM_IJSG_SG_EEES6_PlJS6_EEE10hipError_tPvRmT3_T4_T5_T6_T7_T9_mT8_P12ihipStream_tbDpT10_ENKUlT_T0_E_clISt17integral_constantIbLb0EES18_IbLb1EEEEDaS14_S15_EUlS14_E_NS1_11comp_targetILNS1_3genE2ELNS1_11target_archE906ELNS1_3gpuE6ELNS1_3repE0EEENS1_30default_config_static_selectorELNS0_4arch9wavefront6targetE1EEEvT1_: ; @_ZN7rocprim17ROCPRIM_400000_NS6detail17trampoline_kernelINS0_14default_configENS1_25partition_config_selectorILNS1_17partition_subalgoE1EyNS0_10empty_typeEbEEZZNS1_14partition_implILS5_1ELb0ES3_jN6thrust23THRUST_200600_302600_NS6detail15normal_iteratorINSA_10device_ptrIyEEEEPS6_NSA_18transform_iteratorI7is_evenIyESF_NSA_11use_defaultESK_EENS0_5tupleIJSF_SF_EEENSM_IJSG_SG_EEES6_PlJS6_EEE10hipError_tPvRmT3_T4_T5_T6_T7_T9_mT8_P12ihipStream_tbDpT10_ENKUlT_T0_E_clISt17integral_constantIbLb0EES18_IbLb1EEEEDaS14_S15_EUlS14_E_NS1_11comp_targetILNS1_3genE2ELNS1_11target_archE906ELNS1_3gpuE6ELNS1_3repE0EEENS1_30default_config_static_selectorELNS0_4arch9wavefront6targetE1EEEvT1_
; %bb.0:
	.section	.rodata,"a",@progbits
	.p2align	6, 0x0
	.amdhsa_kernel _ZN7rocprim17ROCPRIM_400000_NS6detail17trampoline_kernelINS0_14default_configENS1_25partition_config_selectorILNS1_17partition_subalgoE1EyNS0_10empty_typeEbEEZZNS1_14partition_implILS5_1ELb0ES3_jN6thrust23THRUST_200600_302600_NS6detail15normal_iteratorINSA_10device_ptrIyEEEEPS6_NSA_18transform_iteratorI7is_evenIyESF_NSA_11use_defaultESK_EENS0_5tupleIJSF_SF_EEENSM_IJSG_SG_EEES6_PlJS6_EEE10hipError_tPvRmT3_T4_T5_T6_T7_T9_mT8_P12ihipStream_tbDpT10_ENKUlT_T0_E_clISt17integral_constantIbLb0EES18_IbLb1EEEEDaS14_S15_EUlS14_E_NS1_11comp_targetILNS1_3genE2ELNS1_11target_archE906ELNS1_3gpuE6ELNS1_3repE0EEENS1_30default_config_static_selectorELNS0_4arch9wavefront6targetE1EEEvT1_
		.amdhsa_group_segment_fixed_size 0
		.amdhsa_private_segment_fixed_size 0
		.amdhsa_kernarg_size 144
		.amdhsa_user_sgpr_count 2
		.amdhsa_user_sgpr_dispatch_ptr 0
		.amdhsa_user_sgpr_queue_ptr 0
		.amdhsa_user_sgpr_kernarg_segment_ptr 1
		.amdhsa_user_sgpr_dispatch_id 0
		.amdhsa_user_sgpr_kernarg_preload_length 0
		.amdhsa_user_sgpr_kernarg_preload_offset 0
		.amdhsa_user_sgpr_private_segment_size 0
		.amdhsa_uses_dynamic_stack 0
		.amdhsa_enable_private_segment 0
		.amdhsa_system_sgpr_workgroup_id_x 1
		.amdhsa_system_sgpr_workgroup_id_y 0
		.amdhsa_system_sgpr_workgroup_id_z 0
		.amdhsa_system_sgpr_workgroup_info 0
		.amdhsa_system_vgpr_workitem_id 0
		.amdhsa_next_free_vgpr 1
		.amdhsa_next_free_sgpr 0
		.amdhsa_accum_offset 4
		.amdhsa_reserve_vcc 0
		.amdhsa_float_round_mode_32 0
		.amdhsa_float_round_mode_16_64 0
		.amdhsa_float_denorm_mode_32 3
		.amdhsa_float_denorm_mode_16_64 3
		.amdhsa_dx10_clamp 1
		.amdhsa_ieee_mode 1
		.amdhsa_fp16_overflow 0
		.amdhsa_tg_split 0
		.amdhsa_exception_fp_ieee_invalid_op 0
		.amdhsa_exception_fp_denorm_src 0
		.amdhsa_exception_fp_ieee_div_zero 0
		.amdhsa_exception_fp_ieee_overflow 0
		.amdhsa_exception_fp_ieee_underflow 0
		.amdhsa_exception_fp_ieee_inexact 0
		.amdhsa_exception_int_div_zero 0
	.end_amdhsa_kernel
	.section	.text._ZN7rocprim17ROCPRIM_400000_NS6detail17trampoline_kernelINS0_14default_configENS1_25partition_config_selectorILNS1_17partition_subalgoE1EyNS0_10empty_typeEbEEZZNS1_14partition_implILS5_1ELb0ES3_jN6thrust23THRUST_200600_302600_NS6detail15normal_iteratorINSA_10device_ptrIyEEEEPS6_NSA_18transform_iteratorI7is_evenIyESF_NSA_11use_defaultESK_EENS0_5tupleIJSF_SF_EEENSM_IJSG_SG_EEES6_PlJS6_EEE10hipError_tPvRmT3_T4_T5_T6_T7_T9_mT8_P12ihipStream_tbDpT10_ENKUlT_T0_E_clISt17integral_constantIbLb0EES18_IbLb1EEEEDaS14_S15_EUlS14_E_NS1_11comp_targetILNS1_3genE2ELNS1_11target_archE906ELNS1_3gpuE6ELNS1_3repE0EEENS1_30default_config_static_selectorELNS0_4arch9wavefront6targetE1EEEvT1_,"axG",@progbits,_ZN7rocprim17ROCPRIM_400000_NS6detail17trampoline_kernelINS0_14default_configENS1_25partition_config_selectorILNS1_17partition_subalgoE1EyNS0_10empty_typeEbEEZZNS1_14partition_implILS5_1ELb0ES3_jN6thrust23THRUST_200600_302600_NS6detail15normal_iteratorINSA_10device_ptrIyEEEEPS6_NSA_18transform_iteratorI7is_evenIyESF_NSA_11use_defaultESK_EENS0_5tupleIJSF_SF_EEENSM_IJSG_SG_EEES6_PlJS6_EEE10hipError_tPvRmT3_T4_T5_T6_T7_T9_mT8_P12ihipStream_tbDpT10_ENKUlT_T0_E_clISt17integral_constantIbLb0EES18_IbLb1EEEEDaS14_S15_EUlS14_E_NS1_11comp_targetILNS1_3genE2ELNS1_11target_archE906ELNS1_3gpuE6ELNS1_3repE0EEENS1_30default_config_static_selectorELNS0_4arch9wavefront6targetE1EEEvT1_,comdat
.Lfunc_end2231:
	.size	_ZN7rocprim17ROCPRIM_400000_NS6detail17trampoline_kernelINS0_14default_configENS1_25partition_config_selectorILNS1_17partition_subalgoE1EyNS0_10empty_typeEbEEZZNS1_14partition_implILS5_1ELb0ES3_jN6thrust23THRUST_200600_302600_NS6detail15normal_iteratorINSA_10device_ptrIyEEEEPS6_NSA_18transform_iteratorI7is_evenIyESF_NSA_11use_defaultESK_EENS0_5tupleIJSF_SF_EEENSM_IJSG_SG_EEES6_PlJS6_EEE10hipError_tPvRmT3_T4_T5_T6_T7_T9_mT8_P12ihipStream_tbDpT10_ENKUlT_T0_E_clISt17integral_constantIbLb0EES18_IbLb1EEEEDaS14_S15_EUlS14_E_NS1_11comp_targetILNS1_3genE2ELNS1_11target_archE906ELNS1_3gpuE6ELNS1_3repE0EEENS1_30default_config_static_selectorELNS0_4arch9wavefront6targetE1EEEvT1_, .Lfunc_end2231-_ZN7rocprim17ROCPRIM_400000_NS6detail17trampoline_kernelINS0_14default_configENS1_25partition_config_selectorILNS1_17partition_subalgoE1EyNS0_10empty_typeEbEEZZNS1_14partition_implILS5_1ELb0ES3_jN6thrust23THRUST_200600_302600_NS6detail15normal_iteratorINSA_10device_ptrIyEEEEPS6_NSA_18transform_iteratorI7is_evenIyESF_NSA_11use_defaultESK_EENS0_5tupleIJSF_SF_EEENSM_IJSG_SG_EEES6_PlJS6_EEE10hipError_tPvRmT3_T4_T5_T6_T7_T9_mT8_P12ihipStream_tbDpT10_ENKUlT_T0_E_clISt17integral_constantIbLb0EES18_IbLb1EEEEDaS14_S15_EUlS14_E_NS1_11comp_targetILNS1_3genE2ELNS1_11target_archE906ELNS1_3gpuE6ELNS1_3repE0EEENS1_30default_config_static_selectorELNS0_4arch9wavefront6targetE1EEEvT1_
                                        ; -- End function
	.section	.AMDGPU.csdata,"",@progbits
; Kernel info:
; codeLenInByte = 0
; NumSgprs: 6
; NumVgprs: 0
; NumAgprs: 0
; TotalNumVgprs: 0
; ScratchSize: 0
; MemoryBound: 0
; FloatMode: 240
; IeeeMode: 1
; LDSByteSize: 0 bytes/workgroup (compile time only)
; SGPRBlocks: 0
; VGPRBlocks: 0
; NumSGPRsForWavesPerEU: 6
; NumVGPRsForWavesPerEU: 1
; AccumOffset: 4
; Occupancy: 8
; WaveLimiterHint : 0
; COMPUTE_PGM_RSRC2:SCRATCH_EN: 0
; COMPUTE_PGM_RSRC2:USER_SGPR: 2
; COMPUTE_PGM_RSRC2:TRAP_HANDLER: 0
; COMPUTE_PGM_RSRC2:TGID_X_EN: 1
; COMPUTE_PGM_RSRC2:TGID_Y_EN: 0
; COMPUTE_PGM_RSRC2:TGID_Z_EN: 0
; COMPUTE_PGM_RSRC2:TIDIG_COMP_CNT: 0
; COMPUTE_PGM_RSRC3_GFX90A:ACCUM_OFFSET: 0
; COMPUTE_PGM_RSRC3_GFX90A:TG_SPLIT: 0
	.section	.text._ZN7rocprim17ROCPRIM_400000_NS6detail17trampoline_kernelINS0_14default_configENS1_25partition_config_selectorILNS1_17partition_subalgoE1EyNS0_10empty_typeEbEEZZNS1_14partition_implILS5_1ELb0ES3_jN6thrust23THRUST_200600_302600_NS6detail15normal_iteratorINSA_10device_ptrIyEEEEPS6_NSA_18transform_iteratorI7is_evenIyESF_NSA_11use_defaultESK_EENS0_5tupleIJSF_SF_EEENSM_IJSG_SG_EEES6_PlJS6_EEE10hipError_tPvRmT3_T4_T5_T6_T7_T9_mT8_P12ihipStream_tbDpT10_ENKUlT_T0_E_clISt17integral_constantIbLb0EES18_IbLb1EEEEDaS14_S15_EUlS14_E_NS1_11comp_targetILNS1_3genE10ELNS1_11target_archE1200ELNS1_3gpuE4ELNS1_3repE0EEENS1_30default_config_static_selectorELNS0_4arch9wavefront6targetE1EEEvT1_,"axG",@progbits,_ZN7rocprim17ROCPRIM_400000_NS6detail17trampoline_kernelINS0_14default_configENS1_25partition_config_selectorILNS1_17partition_subalgoE1EyNS0_10empty_typeEbEEZZNS1_14partition_implILS5_1ELb0ES3_jN6thrust23THRUST_200600_302600_NS6detail15normal_iteratorINSA_10device_ptrIyEEEEPS6_NSA_18transform_iteratorI7is_evenIyESF_NSA_11use_defaultESK_EENS0_5tupleIJSF_SF_EEENSM_IJSG_SG_EEES6_PlJS6_EEE10hipError_tPvRmT3_T4_T5_T6_T7_T9_mT8_P12ihipStream_tbDpT10_ENKUlT_T0_E_clISt17integral_constantIbLb0EES18_IbLb1EEEEDaS14_S15_EUlS14_E_NS1_11comp_targetILNS1_3genE10ELNS1_11target_archE1200ELNS1_3gpuE4ELNS1_3repE0EEENS1_30default_config_static_selectorELNS0_4arch9wavefront6targetE1EEEvT1_,comdat
	.protected	_ZN7rocprim17ROCPRIM_400000_NS6detail17trampoline_kernelINS0_14default_configENS1_25partition_config_selectorILNS1_17partition_subalgoE1EyNS0_10empty_typeEbEEZZNS1_14partition_implILS5_1ELb0ES3_jN6thrust23THRUST_200600_302600_NS6detail15normal_iteratorINSA_10device_ptrIyEEEEPS6_NSA_18transform_iteratorI7is_evenIyESF_NSA_11use_defaultESK_EENS0_5tupleIJSF_SF_EEENSM_IJSG_SG_EEES6_PlJS6_EEE10hipError_tPvRmT3_T4_T5_T6_T7_T9_mT8_P12ihipStream_tbDpT10_ENKUlT_T0_E_clISt17integral_constantIbLb0EES18_IbLb1EEEEDaS14_S15_EUlS14_E_NS1_11comp_targetILNS1_3genE10ELNS1_11target_archE1200ELNS1_3gpuE4ELNS1_3repE0EEENS1_30default_config_static_selectorELNS0_4arch9wavefront6targetE1EEEvT1_ ; -- Begin function _ZN7rocprim17ROCPRIM_400000_NS6detail17trampoline_kernelINS0_14default_configENS1_25partition_config_selectorILNS1_17partition_subalgoE1EyNS0_10empty_typeEbEEZZNS1_14partition_implILS5_1ELb0ES3_jN6thrust23THRUST_200600_302600_NS6detail15normal_iteratorINSA_10device_ptrIyEEEEPS6_NSA_18transform_iteratorI7is_evenIyESF_NSA_11use_defaultESK_EENS0_5tupleIJSF_SF_EEENSM_IJSG_SG_EEES6_PlJS6_EEE10hipError_tPvRmT3_T4_T5_T6_T7_T9_mT8_P12ihipStream_tbDpT10_ENKUlT_T0_E_clISt17integral_constantIbLb0EES18_IbLb1EEEEDaS14_S15_EUlS14_E_NS1_11comp_targetILNS1_3genE10ELNS1_11target_archE1200ELNS1_3gpuE4ELNS1_3repE0EEENS1_30default_config_static_selectorELNS0_4arch9wavefront6targetE1EEEvT1_
	.globl	_ZN7rocprim17ROCPRIM_400000_NS6detail17trampoline_kernelINS0_14default_configENS1_25partition_config_selectorILNS1_17partition_subalgoE1EyNS0_10empty_typeEbEEZZNS1_14partition_implILS5_1ELb0ES3_jN6thrust23THRUST_200600_302600_NS6detail15normal_iteratorINSA_10device_ptrIyEEEEPS6_NSA_18transform_iteratorI7is_evenIyESF_NSA_11use_defaultESK_EENS0_5tupleIJSF_SF_EEENSM_IJSG_SG_EEES6_PlJS6_EEE10hipError_tPvRmT3_T4_T5_T6_T7_T9_mT8_P12ihipStream_tbDpT10_ENKUlT_T0_E_clISt17integral_constantIbLb0EES18_IbLb1EEEEDaS14_S15_EUlS14_E_NS1_11comp_targetILNS1_3genE10ELNS1_11target_archE1200ELNS1_3gpuE4ELNS1_3repE0EEENS1_30default_config_static_selectorELNS0_4arch9wavefront6targetE1EEEvT1_
	.p2align	8
	.type	_ZN7rocprim17ROCPRIM_400000_NS6detail17trampoline_kernelINS0_14default_configENS1_25partition_config_selectorILNS1_17partition_subalgoE1EyNS0_10empty_typeEbEEZZNS1_14partition_implILS5_1ELb0ES3_jN6thrust23THRUST_200600_302600_NS6detail15normal_iteratorINSA_10device_ptrIyEEEEPS6_NSA_18transform_iteratorI7is_evenIyESF_NSA_11use_defaultESK_EENS0_5tupleIJSF_SF_EEENSM_IJSG_SG_EEES6_PlJS6_EEE10hipError_tPvRmT3_T4_T5_T6_T7_T9_mT8_P12ihipStream_tbDpT10_ENKUlT_T0_E_clISt17integral_constantIbLb0EES18_IbLb1EEEEDaS14_S15_EUlS14_E_NS1_11comp_targetILNS1_3genE10ELNS1_11target_archE1200ELNS1_3gpuE4ELNS1_3repE0EEENS1_30default_config_static_selectorELNS0_4arch9wavefront6targetE1EEEvT1_,@function
_ZN7rocprim17ROCPRIM_400000_NS6detail17trampoline_kernelINS0_14default_configENS1_25partition_config_selectorILNS1_17partition_subalgoE1EyNS0_10empty_typeEbEEZZNS1_14partition_implILS5_1ELb0ES3_jN6thrust23THRUST_200600_302600_NS6detail15normal_iteratorINSA_10device_ptrIyEEEEPS6_NSA_18transform_iteratorI7is_evenIyESF_NSA_11use_defaultESK_EENS0_5tupleIJSF_SF_EEENSM_IJSG_SG_EEES6_PlJS6_EEE10hipError_tPvRmT3_T4_T5_T6_T7_T9_mT8_P12ihipStream_tbDpT10_ENKUlT_T0_E_clISt17integral_constantIbLb0EES18_IbLb1EEEEDaS14_S15_EUlS14_E_NS1_11comp_targetILNS1_3genE10ELNS1_11target_archE1200ELNS1_3gpuE4ELNS1_3repE0EEENS1_30default_config_static_selectorELNS0_4arch9wavefront6targetE1EEEvT1_: ; @_ZN7rocprim17ROCPRIM_400000_NS6detail17trampoline_kernelINS0_14default_configENS1_25partition_config_selectorILNS1_17partition_subalgoE1EyNS0_10empty_typeEbEEZZNS1_14partition_implILS5_1ELb0ES3_jN6thrust23THRUST_200600_302600_NS6detail15normal_iteratorINSA_10device_ptrIyEEEEPS6_NSA_18transform_iteratorI7is_evenIyESF_NSA_11use_defaultESK_EENS0_5tupleIJSF_SF_EEENSM_IJSG_SG_EEES6_PlJS6_EEE10hipError_tPvRmT3_T4_T5_T6_T7_T9_mT8_P12ihipStream_tbDpT10_ENKUlT_T0_E_clISt17integral_constantIbLb0EES18_IbLb1EEEEDaS14_S15_EUlS14_E_NS1_11comp_targetILNS1_3genE10ELNS1_11target_archE1200ELNS1_3gpuE4ELNS1_3repE0EEENS1_30default_config_static_selectorELNS0_4arch9wavefront6targetE1EEEvT1_
; %bb.0:
	.section	.rodata,"a",@progbits
	.p2align	6, 0x0
	.amdhsa_kernel _ZN7rocprim17ROCPRIM_400000_NS6detail17trampoline_kernelINS0_14default_configENS1_25partition_config_selectorILNS1_17partition_subalgoE1EyNS0_10empty_typeEbEEZZNS1_14partition_implILS5_1ELb0ES3_jN6thrust23THRUST_200600_302600_NS6detail15normal_iteratorINSA_10device_ptrIyEEEEPS6_NSA_18transform_iteratorI7is_evenIyESF_NSA_11use_defaultESK_EENS0_5tupleIJSF_SF_EEENSM_IJSG_SG_EEES6_PlJS6_EEE10hipError_tPvRmT3_T4_T5_T6_T7_T9_mT8_P12ihipStream_tbDpT10_ENKUlT_T0_E_clISt17integral_constantIbLb0EES18_IbLb1EEEEDaS14_S15_EUlS14_E_NS1_11comp_targetILNS1_3genE10ELNS1_11target_archE1200ELNS1_3gpuE4ELNS1_3repE0EEENS1_30default_config_static_selectorELNS0_4arch9wavefront6targetE1EEEvT1_
		.amdhsa_group_segment_fixed_size 0
		.amdhsa_private_segment_fixed_size 0
		.amdhsa_kernarg_size 144
		.amdhsa_user_sgpr_count 2
		.amdhsa_user_sgpr_dispatch_ptr 0
		.amdhsa_user_sgpr_queue_ptr 0
		.amdhsa_user_sgpr_kernarg_segment_ptr 1
		.amdhsa_user_sgpr_dispatch_id 0
		.amdhsa_user_sgpr_kernarg_preload_length 0
		.amdhsa_user_sgpr_kernarg_preload_offset 0
		.amdhsa_user_sgpr_private_segment_size 0
		.amdhsa_uses_dynamic_stack 0
		.amdhsa_enable_private_segment 0
		.amdhsa_system_sgpr_workgroup_id_x 1
		.amdhsa_system_sgpr_workgroup_id_y 0
		.amdhsa_system_sgpr_workgroup_id_z 0
		.amdhsa_system_sgpr_workgroup_info 0
		.amdhsa_system_vgpr_workitem_id 0
		.amdhsa_next_free_vgpr 1
		.amdhsa_next_free_sgpr 0
		.amdhsa_accum_offset 4
		.amdhsa_reserve_vcc 0
		.amdhsa_float_round_mode_32 0
		.amdhsa_float_round_mode_16_64 0
		.amdhsa_float_denorm_mode_32 3
		.amdhsa_float_denorm_mode_16_64 3
		.amdhsa_dx10_clamp 1
		.amdhsa_ieee_mode 1
		.amdhsa_fp16_overflow 0
		.amdhsa_tg_split 0
		.amdhsa_exception_fp_ieee_invalid_op 0
		.amdhsa_exception_fp_denorm_src 0
		.amdhsa_exception_fp_ieee_div_zero 0
		.amdhsa_exception_fp_ieee_overflow 0
		.amdhsa_exception_fp_ieee_underflow 0
		.amdhsa_exception_fp_ieee_inexact 0
		.amdhsa_exception_int_div_zero 0
	.end_amdhsa_kernel
	.section	.text._ZN7rocprim17ROCPRIM_400000_NS6detail17trampoline_kernelINS0_14default_configENS1_25partition_config_selectorILNS1_17partition_subalgoE1EyNS0_10empty_typeEbEEZZNS1_14partition_implILS5_1ELb0ES3_jN6thrust23THRUST_200600_302600_NS6detail15normal_iteratorINSA_10device_ptrIyEEEEPS6_NSA_18transform_iteratorI7is_evenIyESF_NSA_11use_defaultESK_EENS0_5tupleIJSF_SF_EEENSM_IJSG_SG_EEES6_PlJS6_EEE10hipError_tPvRmT3_T4_T5_T6_T7_T9_mT8_P12ihipStream_tbDpT10_ENKUlT_T0_E_clISt17integral_constantIbLb0EES18_IbLb1EEEEDaS14_S15_EUlS14_E_NS1_11comp_targetILNS1_3genE10ELNS1_11target_archE1200ELNS1_3gpuE4ELNS1_3repE0EEENS1_30default_config_static_selectorELNS0_4arch9wavefront6targetE1EEEvT1_,"axG",@progbits,_ZN7rocprim17ROCPRIM_400000_NS6detail17trampoline_kernelINS0_14default_configENS1_25partition_config_selectorILNS1_17partition_subalgoE1EyNS0_10empty_typeEbEEZZNS1_14partition_implILS5_1ELb0ES3_jN6thrust23THRUST_200600_302600_NS6detail15normal_iteratorINSA_10device_ptrIyEEEEPS6_NSA_18transform_iteratorI7is_evenIyESF_NSA_11use_defaultESK_EENS0_5tupleIJSF_SF_EEENSM_IJSG_SG_EEES6_PlJS6_EEE10hipError_tPvRmT3_T4_T5_T6_T7_T9_mT8_P12ihipStream_tbDpT10_ENKUlT_T0_E_clISt17integral_constantIbLb0EES18_IbLb1EEEEDaS14_S15_EUlS14_E_NS1_11comp_targetILNS1_3genE10ELNS1_11target_archE1200ELNS1_3gpuE4ELNS1_3repE0EEENS1_30default_config_static_selectorELNS0_4arch9wavefront6targetE1EEEvT1_,comdat
.Lfunc_end2232:
	.size	_ZN7rocprim17ROCPRIM_400000_NS6detail17trampoline_kernelINS0_14default_configENS1_25partition_config_selectorILNS1_17partition_subalgoE1EyNS0_10empty_typeEbEEZZNS1_14partition_implILS5_1ELb0ES3_jN6thrust23THRUST_200600_302600_NS6detail15normal_iteratorINSA_10device_ptrIyEEEEPS6_NSA_18transform_iteratorI7is_evenIyESF_NSA_11use_defaultESK_EENS0_5tupleIJSF_SF_EEENSM_IJSG_SG_EEES6_PlJS6_EEE10hipError_tPvRmT3_T4_T5_T6_T7_T9_mT8_P12ihipStream_tbDpT10_ENKUlT_T0_E_clISt17integral_constantIbLb0EES18_IbLb1EEEEDaS14_S15_EUlS14_E_NS1_11comp_targetILNS1_3genE10ELNS1_11target_archE1200ELNS1_3gpuE4ELNS1_3repE0EEENS1_30default_config_static_selectorELNS0_4arch9wavefront6targetE1EEEvT1_, .Lfunc_end2232-_ZN7rocprim17ROCPRIM_400000_NS6detail17trampoline_kernelINS0_14default_configENS1_25partition_config_selectorILNS1_17partition_subalgoE1EyNS0_10empty_typeEbEEZZNS1_14partition_implILS5_1ELb0ES3_jN6thrust23THRUST_200600_302600_NS6detail15normal_iteratorINSA_10device_ptrIyEEEEPS6_NSA_18transform_iteratorI7is_evenIyESF_NSA_11use_defaultESK_EENS0_5tupleIJSF_SF_EEENSM_IJSG_SG_EEES6_PlJS6_EEE10hipError_tPvRmT3_T4_T5_T6_T7_T9_mT8_P12ihipStream_tbDpT10_ENKUlT_T0_E_clISt17integral_constantIbLb0EES18_IbLb1EEEEDaS14_S15_EUlS14_E_NS1_11comp_targetILNS1_3genE10ELNS1_11target_archE1200ELNS1_3gpuE4ELNS1_3repE0EEENS1_30default_config_static_selectorELNS0_4arch9wavefront6targetE1EEEvT1_
                                        ; -- End function
	.section	.AMDGPU.csdata,"",@progbits
; Kernel info:
; codeLenInByte = 0
; NumSgprs: 6
; NumVgprs: 0
; NumAgprs: 0
; TotalNumVgprs: 0
; ScratchSize: 0
; MemoryBound: 0
; FloatMode: 240
; IeeeMode: 1
; LDSByteSize: 0 bytes/workgroup (compile time only)
; SGPRBlocks: 0
; VGPRBlocks: 0
; NumSGPRsForWavesPerEU: 6
; NumVGPRsForWavesPerEU: 1
; AccumOffset: 4
; Occupancy: 8
; WaveLimiterHint : 0
; COMPUTE_PGM_RSRC2:SCRATCH_EN: 0
; COMPUTE_PGM_RSRC2:USER_SGPR: 2
; COMPUTE_PGM_RSRC2:TRAP_HANDLER: 0
; COMPUTE_PGM_RSRC2:TGID_X_EN: 1
; COMPUTE_PGM_RSRC2:TGID_Y_EN: 0
; COMPUTE_PGM_RSRC2:TGID_Z_EN: 0
; COMPUTE_PGM_RSRC2:TIDIG_COMP_CNT: 0
; COMPUTE_PGM_RSRC3_GFX90A:ACCUM_OFFSET: 0
; COMPUTE_PGM_RSRC3_GFX90A:TG_SPLIT: 0
	.section	.text._ZN7rocprim17ROCPRIM_400000_NS6detail17trampoline_kernelINS0_14default_configENS1_25partition_config_selectorILNS1_17partition_subalgoE1EyNS0_10empty_typeEbEEZZNS1_14partition_implILS5_1ELb0ES3_jN6thrust23THRUST_200600_302600_NS6detail15normal_iteratorINSA_10device_ptrIyEEEEPS6_NSA_18transform_iteratorI7is_evenIyESF_NSA_11use_defaultESK_EENS0_5tupleIJSF_SF_EEENSM_IJSG_SG_EEES6_PlJS6_EEE10hipError_tPvRmT3_T4_T5_T6_T7_T9_mT8_P12ihipStream_tbDpT10_ENKUlT_T0_E_clISt17integral_constantIbLb0EES18_IbLb1EEEEDaS14_S15_EUlS14_E_NS1_11comp_targetILNS1_3genE9ELNS1_11target_archE1100ELNS1_3gpuE3ELNS1_3repE0EEENS1_30default_config_static_selectorELNS0_4arch9wavefront6targetE1EEEvT1_,"axG",@progbits,_ZN7rocprim17ROCPRIM_400000_NS6detail17trampoline_kernelINS0_14default_configENS1_25partition_config_selectorILNS1_17partition_subalgoE1EyNS0_10empty_typeEbEEZZNS1_14partition_implILS5_1ELb0ES3_jN6thrust23THRUST_200600_302600_NS6detail15normal_iteratorINSA_10device_ptrIyEEEEPS6_NSA_18transform_iteratorI7is_evenIyESF_NSA_11use_defaultESK_EENS0_5tupleIJSF_SF_EEENSM_IJSG_SG_EEES6_PlJS6_EEE10hipError_tPvRmT3_T4_T5_T6_T7_T9_mT8_P12ihipStream_tbDpT10_ENKUlT_T0_E_clISt17integral_constantIbLb0EES18_IbLb1EEEEDaS14_S15_EUlS14_E_NS1_11comp_targetILNS1_3genE9ELNS1_11target_archE1100ELNS1_3gpuE3ELNS1_3repE0EEENS1_30default_config_static_selectorELNS0_4arch9wavefront6targetE1EEEvT1_,comdat
	.protected	_ZN7rocprim17ROCPRIM_400000_NS6detail17trampoline_kernelINS0_14default_configENS1_25partition_config_selectorILNS1_17partition_subalgoE1EyNS0_10empty_typeEbEEZZNS1_14partition_implILS5_1ELb0ES3_jN6thrust23THRUST_200600_302600_NS6detail15normal_iteratorINSA_10device_ptrIyEEEEPS6_NSA_18transform_iteratorI7is_evenIyESF_NSA_11use_defaultESK_EENS0_5tupleIJSF_SF_EEENSM_IJSG_SG_EEES6_PlJS6_EEE10hipError_tPvRmT3_T4_T5_T6_T7_T9_mT8_P12ihipStream_tbDpT10_ENKUlT_T0_E_clISt17integral_constantIbLb0EES18_IbLb1EEEEDaS14_S15_EUlS14_E_NS1_11comp_targetILNS1_3genE9ELNS1_11target_archE1100ELNS1_3gpuE3ELNS1_3repE0EEENS1_30default_config_static_selectorELNS0_4arch9wavefront6targetE1EEEvT1_ ; -- Begin function _ZN7rocprim17ROCPRIM_400000_NS6detail17trampoline_kernelINS0_14default_configENS1_25partition_config_selectorILNS1_17partition_subalgoE1EyNS0_10empty_typeEbEEZZNS1_14partition_implILS5_1ELb0ES3_jN6thrust23THRUST_200600_302600_NS6detail15normal_iteratorINSA_10device_ptrIyEEEEPS6_NSA_18transform_iteratorI7is_evenIyESF_NSA_11use_defaultESK_EENS0_5tupleIJSF_SF_EEENSM_IJSG_SG_EEES6_PlJS6_EEE10hipError_tPvRmT3_T4_T5_T6_T7_T9_mT8_P12ihipStream_tbDpT10_ENKUlT_T0_E_clISt17integral_constantIbLb0EES18_IbLb1EEEEDaS14_S15_EUlS14_E_NS1_11comp_targetILNS1_3genE9ELNS1_11target_archE1100ELNS1_3gpuE3ELNS1_3repE0EEENS1_30default_config_static_selectorELNS0_4arch9wavefront6targetE1EEEvT1_
	.globl	_ZN7rocprim17ROCPRIM_400000_NS6detail17trampoline_kernelINS0_14default_configENS1_25partition_config_selectorILNS1_17partition_subalgoE1EyNS0_10empty_typeEbEEZZNS1_14partition_implILS5_1ELb0ES3_jN6thrust23THRUST_200600_302600_NS6detail15normal_iteratorINSA_10device_ptrIyEEEEPS6_NSA_18transform_iteratorI7is_evenIyESF_NSA_11use_defaultESK_EENS0_5tupleIJSF_SF_EEENSM_IJSG_SG_EEES6_PlJS6_EEE10hipError_tPvRmT3_T4_T5_T6_T7_T9_mT8_P12ihipStream_tbDpT10_ENKUlT_T0_E_clISt17integral_constantIbLb0EES18_IbLb1EEEEDaS14_S15_EUlS14_E_NS1_11comp_targetILNS1_3genE9ELNS1_11target_archE1100ELNS1_3gpuE3ELNS1_3repE0EEENS1_30default_config_static_selectorELNS0_4arch9wavefront6targetE1EEEvT1_
	.p2align	8
	.type	_ZN7rocprim17ROCPRIM_400000_NS6detail17trampoline_kernelINS0_14default_configENS1_25partition_config_selectorILNS1_17partition_subalgoE1EyNS0_10empty_typeEbEEZZNS1_14partition_implILS5_1ELb0ES3_jN6thrust23THRUST_200600_302600_NS6detail15normal_iteratorINSA_10device_ptrIyEEEEPS6_NSA_18transform_iteratorI7is_evenIyESF_NSA_11use_defaultESK_EENS0_5tupleIJSF_SF_EEENSM_IJSG_SG_EEES6_PlJS6_EEE10hipError_tPvRmT3_T4_T5_T6_T7_T9_mT8_P12ihipStream_tbDpT10_ENKUlT_T0_E_clISt17integral_constantIbLb0EES18_IbLb1EEEEDaS14_S15_EUlS14_E_NS1_11comp_targetILNS1_3genE9ELNS1_11target_archE1100ELNS1_3gpuE3ELNS1_3repE0EEENS1_30default_config_static_selectorELNS0_4arch9wavefront6targetE1EEEvT1_,@function
_ZN7rocprim17ROCPRIM_400000_NS6detail17trampoline_kernelINS0_14default_configENS1_25partition_config_selectorILNS1_17partition_subalgoE1EyNS0_10empty_typeEbEEZZNS1_14partition_implILS5_1ELb0ES3_jN6thrust23THRUST_200600_302600_NS6detail15normal_iteratorINSA_10device_ptrIyEEEEPS6_NSA_18transform_iteratorI7is_evenIyESF_NSA_11use_defaultESK_EENS0_5tupleIJSF_SF_EEENSM_IJSG_SG_EEES6_PlJS6_EEE10hipError_tPvRmT3_T4_T5_T6_T7_T9_mT8_P12ihipStream_tbDpT10_ENKUlT_T0_E_clISt17integral_constantIbLb0EES18_IbLb1EEEEDaS14_S15_EUlS14_E_NS1_11comp_targetILNS1_3genE9ELNS1_11target_archE1100ELNS1_3gpuE3ELNS1_3repE0EEENS1_30default_config_static_selectorELNS0_4arch9wavefront6targetE1EEEvT1_: ; @_ZN7rocprim17ROCPRIM_400000_NS6detail17trampoline_kernelINS0_14default_configENS1_25partition_config_selectorILNS1_17partition_subalgoE1EyNS0_10empty_typeEbEEZZNS1_14partition_implILS5_1ELb0ES3_jN6thrust23THRUST_200600_302600_NS6detail15normal_iteratorINSA_10device_ptrIyEEEEPS6_NSA_18transform_iteratorI7is_evenIyESF_NSA_11use_defaultESK_EENS0_5tupleIJSF_SF_EEENSM_IJSG_SG_EEES6_PlJS6_EEE10hipError_tPvRmT3_T4_T5_T6_T7_T9_mT8_P12ihipStream_tbDpT10_ENKUlT_T0_E_clISt17integral_constantIbLb0EES18_IbLb1EEEEDaS14_S15_EUlS14_E_NS1_11comp_targetILNS1_3genE9ELNS1_11target_archE1100ELNS1_3gpuE3ELNS1_3repE0EEENS1_30default_config_static_selectorELNS0_4arch9wavefront6targetE1EEEvT1_
; %bb.0:
	.section	.rodata,"a",@progbits
	.p2align	6, 0x0
	.amdhsa_kernel _ZN7rocprim17ROCPRIM_400000_NS6detail17trampoline_kernelINS0_14default_configENS1_25partition_config_selectorILNS1_17partition_subalgoE1EyNS0_10empty_typeEbEEZZNS1_14partition_implILS5_1ELb0ES3_jN6thrust23THRUST_200600_302600_NS6detail15normal_iteratorINSA_10device_ptrIyEEEEPS6_NSA_18transform_iteratorI7is_evenIyESF_NSA_11use_defaultESK_EENS0_5tupleIJSF_SF_EEENSM_IJSG_SG_EEES6_PlJS6_EEE10hipError_tPvRmT3_T4_T5_T6_T7_T9_mT8_P12ihipStream_tbDpT10_ENKUlT_T0_E_clISt17integral_constantIbLb0EES18_IbLb1EEEEDaS14_S15_EUlS14_E_NS1_11comp_targetILNS1_3genE9ELNS1_11target_archE1100ELNS1_3gpuE3ELNS1_3repE0EEENS1_30default_config_static_selectorELNS0_4arch9wavefront6targetE1EEEvT1_
		.amdhsa_group_segment_fixed_size 0
		.amdhsa_private_segment_fixed_size 0
		.amdhsa_kernarg_size 144
		.amdhsa_user_sgpr_count 2
		.amdhsa_user_sgpr_dispatch_ptr 0
		.amdhsa_user_sgpr_queue_ptr 0
		.amdhsa_user_sgpr_kernarg_segment_ptr 1
		.amdhsa_user_sgpr_dispatch_id 0
		.amdhsa_user_sgpr_kernarg_preload_length 0
		.amdhsa_user_sgpr_kernarg_preload_offset 0
		.amdhsa_user_sgpr_private_segment_size 0
		.amdhsa_uses_dynamic_stack 0
		.amdhsa_enable_private_segment 0
		.amdhsa_system_sgpr_workgroup_id_x 1
		.amdhsa_system_sgpr_workgroup_id_y 0
		.amdhsa_system_sgpr_workgroup_id_z 0
		.amdhsa_system_sgpr_workgroup_info 0
		.amdhsa_system_vgpr_workitem_id 0
		.amdhsa_next_free_vgpr 1
		.amdhsa_next_free_sgpr 0
		.amdhsa_accum_offset 4
		.amdhsa_reserve_vcc 0
		.amdhsa_float_round_mode_32 0
		.amdhsa_float_round_mode_16_64 0
		.amdhsa_float_denorm_mode_32 3
		.amdhsa_float_denorm_mode_16_64 3
		.amdhsa_dx10_clamp 1
		.amdhsa_ieee_mode 1
		.amdhsa_fp16_overflow 0
		.amdhsa_tg_split 0
		.amdhsa_exception_fp_ieee_invalid_op 0
		.amdhsa_exception_fp_denorm_src 0
		.amdhsa_exception_fp_ieee_div_zero 0
		.amdhsa_exception_fp_ieee_overflow 0
		.amdhsa_exception_fp_ieee_underflow 0
		.amdhsa_exception_fp_ieee_inexact 0
		.amdhsa_exception_int_div_zero 0
	.end_amdhsa_kernel
	.section	.text._ZN7rocprim17ROCPRIM_400000_NS6detail17trampoline_kernelINS0_14default_configENS1_25partition_config_selectorILNS1_17partition_subalgoE1EyNS0_10empty_typeEbEEZZNS1_14partition_implILS5_1ELb0ES3_jN6thrust23THRUST_200600_302600_NS6detail15normal_iteratorINSA_10device_ptrIyEEEEPS6_NSA_18transform_iteratorI7is_evenIyESF_NSA_11use_defaultESK_EENS0_5tupleIJSF_SF_EEENSM_IJSG_SG_EEES6_PlJS6_EEE10hipError_tPvRmT3_T4_T5_T6_T7_T9_mT8_P12ihipStream_tbDpT10_ENKUlT_T0_E_clISt17integral_constantIbLb0EES18_IbLb1EEEEDaS14_S15_EUlS14_E_NS1_11comp_targetILNS1_3genE9ELNS1_11target_archE1100ELNS1_3gpuE3ELNS1_3repE0EEENS1_30default_config_static_selectorELNS0_4arch9wavefront6targetE1EEEvT1_,"axG",@progbits,_ZN7rocprim17ROCPRIM_400000_NS6detail17trampoline_kernelINS0_14default_configENS1_25partition_config_selectorILNS1_17partition_subalgoE1EyNS0_10empty_typeEbEEZZNS1_14partition_implILS5_1ELb0ES3_jN6thrust23THRUST_200600_302600_NS6detail15normal_iteratorINSA_10device_ptrIyEEEEPS6_NSA_18transform_iteratorI7is_evenIyESF_NSA_11use_defaultESK_EENS0_5tupleIJSF_SF_EEENSM_IJSG_SG_EEES6_PlJS6_EEE10hipError_tPvRmT3_T4_T5_T6_T7_T9_mT8_P12ihipStream_tbDpT10_ENKUlT_T0_E_clISt17integral_constantIbLb0EES18_IbLb1EEEEDaS14_S15_EUlS14_E_NS1_11comp_targetILNS1_3genE9ELNS1_11target_archE1100ELNS1_3gpuE3ELNS1_3repE0EEENS1_30default_config_static_selectorELNS0_4arch9wavefront6targetE1EEEvT1_,comdat
.Lfunc_end2233:
	.size	_ZN7rocprim17ROCPRIM_400000_NS6detail17trampoline_kernelINS0_14default_configENS1_25partition_config_selectorILNS1_17partition_subalgoE1EyNS0_10empty_typeEbEEZZNS1_14partition_implILS5_1ELb0ES3_jN6thrust23THRUST_200600_302600_NS6detail15normal_iteratorINSA_10device_ptrIyEEEEPS6_NSA_18transform_iteratorI7is_evenIyESF_NSA_11use_defaultESK_EENS0_5tupleIJSF_SF_EEENSM_IJSG_SG_EEES6_PlJS6_EEE10hipError_tPvRmT3_T4_T5_T6_T7_T9_mT8_P12ihipStream_tbDpT10_ENKUlT_T0_E_clISt17integral_constantIbLb0EES18_IbLb1EEEEDaS14_S15_EUlS14_E_NS1_11comp_targetILNS1_3genE9ELNS1_11target_archE1100ELNS1_3gpuE3ELNS1_3repE0EEENS1_30default_config_static_selectorELNS0_4arch9wavefront6targetE1EEEvT1_, .Lfunc_end2233-_ZN7rocprim17ROCPRIM_400000_NS6detail17trampoline_kernelINS0_14default_configENS1_25partition_config_selectorILNS1_17partition_subalgoE1EyNS0_10empty_typeEbEEZZNS1_14partition_implILS5_1ELb0ES3_jN6thrust23THRUST_200600_302600_NS6detail15normal_iteratorINSA_10device_ptrIyEEEEPS6_NSA_18transform_iteratorI7is_evenIyESF_NSA_11use_defaultESK_EENS0_5tupleIJSF_SF_EEENSM_IJSG_SG_EEES6_PlJS6_EEE10hipError_tPvRmT3_T4_T5_T6_T7_T9_mT8_P12ihipStream_tbDpT10_ENKUlT_T0_E_clISt17integral_constantIbLb0EES18_IbLb1EEEEDaS14_S15_EUlS14_E_NS1_11comp_targetILNS1_3genE9ELNS1_11target_archE1100ELNS1_3gpuE3ELNS1_3repE0EEENS1_30default_config_static_selectorELNS0_4arch9wavefront6targetE1EEEvT1_
                                        ; -- End function
	.section	.AMDGPU.csdata,"",@progbits
; Kernel info:
; codeLenInByte = 0
; NumSgprs: 6
; NumVgprs: 0
; NumAgprs: 0
; TotalNumVgprs: 0
; ScratchSize: 0
; MemoryBound: 0
; FloatMode: 240
; IeeeMode: 1
; LDSByteSize: 0 bytes/workgroup (compile time only)
; SGPRBlocks: 0
; VGPRBlocks: 0
; NumSGPRsForWavesPerEU: 6
; NumVGPRsForWavesPerEU: 1
; AccumOffset: 4
; Occupancy: 8
; WaveLimiterHint : 0
; COMPUTE_PGM_RSRC2:SCRATCH_EN: 0
; COMPUTE_PGM_RSRC2:USER_SGPR: 2
; COMPUTE_PGM_RSRC2:TRAP_HANDLER: 0
; COMPUTE_PGM_RSRC2:TGID_X_EN: 1
; COMPUTE_PGM_RSRC2:TGID_Y_EN: 0
; COMPUTE_PGM_RSRC2:TGID_Z_EN: 0
; COMPUTE_PGM_RSRC2:TIDIG_COMP_CNT: 0
; COMPUTE_PGM_RSRC3_GFX90A:ACCUM_OFFSET: 0
; COMPUTE_PGM_RSRC3_GFX90A:TG_SPLIT: 0
	.section	.text._ZN7rocprim17ROCPRIM_400000_NS6detail17trampoline_kernelINS0_14default_configENS1_25partition_config_selectorILNS1_17partition_subalgoE1EyNS0_10empty_typeEbEEZZNS1_14partition_implILS5_1ELb0ES3_jN6thrust23THRUST_200600_302600_NS6detail15normal_iteratorINSA_10device_ptrIyEEEEPS6_NSA_18transform_iteratorI7is_evenIyESF_NSA_11use_defaultESK_EENS0_5tupleIJSF_SF_EEENSM_IJSG_SG_EEES6_PlJS6_EEE10hipError_tPvRmT3_T4_T5_T6_T7_T9_mT8_P12ihipStream_tbDpT10_ENKUlT_T0_E_clISt17integral_constantIbLb0EES18_IbLb1EEEEDaS14_S15_EUlS14_E_NS1_11comp_targetILNS1_3genE8ELNS1_11target_archE1030ELNS1_3gpuE2ELNS1_3repE0EEENS1_30default_config_static_selectorELNS0_4arch9wavefront6targetE1EEEvT1_,"axG",@progbits,_ZN7rocprim17ROCPRIM_400000_NS6detail17trampoline_kernelINS0_14default_configENS1_25partition_config_selectorILNS1_17partition_subalgoE1EyNS0_10empty_typeEbEEZZNS1_14partition_implILS5_1ELb0ES3_jN6thrust23THRUST_200600_302600_NS6detail15normal_iteratorINSA_10device_ptrIyEEEEPS6_NSA_18transform_iteratorI7is_evenIyESF_NSA_11use_defaultESK_EENS0_5tupleIJSF_SF_EEENSM_IJSG_SG_EEES6_PlJS6_EEE10hipError_tPvRmT3_T4_T5_T6_T7_T9_mT8_P12ihipStream_tbDpT10_ENKUlT_T0_E_clISt17integral_constantIbLb0EES18_IbLb1EEEEDaS14_S15_EUlS14_E_NS1_11comp_targetILNS1_3genE8ELNS1_11target_archE1030ELNS1_3gpuE2ELNS1_3repE0EEENS1_30default_config_static_selectorELNS0_4arch9wavefront6targetE1EEEvT1_,comdat
	.protected	_ZN7rocprim17ROCPRIM_400000_NS6detail17trampoline_kernelINS0_14default_configENS1_25partition_config_selectorILNS1_17partition_subalgoE1EyNS0_10empty_typeEbEEZZNS1_14partition_implILS5_1ELb0ES3_jN6thrust23THRUST_200600_302600_NS6detail15normal_iteratorINSA_10device_ptrIyEEEEPS6_NSA_18transform_iteratorI7is_evenIyESF_NSA_11use_defaultESK_EENS0_5tupleIJSF_SF_EEENSM_IJSG_SG_EEES6_PlJS6_EEE10hipError_tPvRmT3_T4_T5_T6_T7_T9_mT8_P12ihipStream_tbDpT10_ENKUlT_T0_E_clISt17integral_constantIbLb0EES18_IbLb1EEEEDaS14_S15_EUlS14_E_NS1_11comp_targetILNS1_3genE8ELNS1_11target_archE1030ELNS1_3gpuE2ELNS1_3repE0EEENS1_30default_config_static_selectorELNS0_4arch9wavefront6targetE1EEEvT1_ ; -- Begin function _ZN7rocprim17ROCPRIM_400000_NS6detail17trampoline_kernelINS0_14default_configENS1_25partition_config_selectorILNS1_17partition_subalgoE1EyNS0_10empty_typeEbEEZZNS1_14partition_implILS5_1ELb0ES3_jN6thrust23THRUST_200600_302600_NS6detail15normal_iteratorINSA_10device_ptrIyEEEEPS6_NSA_18transform_iteratorI7is_evenIyESF_NSA_11use_defaultESK_EENS0_5tupleIJSF_SF_EEENSM_IJSG_SG_EEES6_PlJS6_EEE10hipError_tPvRmT3_T4_T5_T6_T7_T9_mT8_P12ihipStream_tbDpT10_ENKUlT_T0_E_clISt17integral_constantIbLb0EES18_IbLb1EEEEDaS14_S15_EUlS14_E_NS1_11comp_targetILNS1_3genE8ELNS1_11target_archE1030ELNS1_3gpuE2ELNS1_3repE0EEENS1_30default_config_static_selectorELNS0_4arch9wavefront6targetE1EEEvT1_
	.globl	_ZN7rocprim17ROCPRIM_400000_NS6detail17trampoline_kernelINS0_14default_configENS1_25partition_config_selectorILNS1_17partition_subalgoE1EyNS0_10empty_typeEbEEZZNS1_14partition_implILS5_1ELb0ES3_jN6thrust23THRUST_200600_302600_NS6detail15normal_iteratorINSA_10device_ptrIyEEEEPS6_NSA_18transform_iteratorI7is_evenIyESF_NSA_11use_defaultESK_EENS0_5tupleIJSF_SF_EEENSM_IJSG_SG_EEES6_PlJS6_EEE10hipError_tPvRmT3_T4_T5_T6_T7_T9_mT8_P12ihipStream_tbDpT10_ENKUlT_T0_E_clISt17integral_constantIbLb0EES18_IbLb1EEEEDaS14_S15_EUlS14_E_NS1_11comp_targetILNS1_3genE8ELNS1_11target_archE1030ELNS1_3gpuE2ELNS1_3repE0EEENS1_30default_config_static_selectorELNS0_4arch9wavefront6targetE1EEEvT1_
	.p2align	8
	.type	_ZN7rocprim17ROCPRIM_400000_NS6detail17trampoline_kernelINS0_14default_configENS1_25partition_config_selectorILNS1_17partition_subalgoE1EyNS0_10empty_typeEbEEZZNS1_14partition_implILS5_1ELb0ES3_jN6thrust23THRUST_200600_302600_NS6detail15normal_iteratorINSA_10device_ptrIyEEEEPS6_NSA_18transform_iteratorI7is_evenIyESF_NSA_11use_defaultESK_EENS0_5tupleIJSF_SF_EEENSM_IJSG_SG_EEES6_PlJS6_EEE10hipError_tPvRmT3_T4_T5_T6_T7_T9_mT8_P12ihipStream_tbDpT10_ENKUlT_T0_E_clISt17integral_constantIbLb0EES18_IbLb1EEEEDaS14_S15_EUlS14_E_NS1_11comp_targetILNS1_3genE8ELNS1_11target_archE1030ELNS1_3gpuE2ELNS1_3repE0EEENS1_30default_config_static_selectorELNS0_4arch9wavefront6targetE1EEEvT1_,@function
_ZN7rocprim17ROCPRIM_400000_NS6detail17trampoline_kernelINS0_14default_configENS1_25partition_config_selectorILNS1_17partition_subalgoE1EyNS0_10empty_typeEbEEZZNS1_14partition_implILS5_1ELb0ES3_jN6thrust23THRUST_200600_302600_NS6detail15normal_iteratorINSA_10device_ptrIyEEEEPS6_NSA_18transform_iteratorI7is_evenIyESF_NSA_11use_defaultESK_EENS0_5tupleIJSF_SF_EEENSM_IJSG_SG_EEES6_PlJS6_EEE10hipError_tPvRmT3_T4_T5_T6_T7_T9_mT8_P12ihipStream_tbDpT10_ENKUlT_T0_E_clISt17integral_constantIbLb0EES18_IbLb1EEEEDaS14_S15_EUlS14_E_NS1_11comp_targetILNS1_3genE8ELNS1_11target_archE1030ELNS1_3gpuE2ELNS1_3repE0EEENS1_30default_config_static_selectorELNS0_4arch9wavefront6targetE1EEEvT1_: ; @_ZN7rocprim17ROCPRIM_400000_NS6detail17trampoline_kernelINS0_14default_configENS1_25partition_config_selectorILNS1_17partition_subalgoE1EyNS0_10empty_typeEbEEZZNS1_14partition_implILS5_1ELb0ES3_jN6thrust23THRUST_200600_302600_NS6detail15normal_iteratorINSA_10device_ptrIyEEEEPS6_NSA_18transform_iteratorI7is_evenIyESF_NSA_11use_defaultESK_EENS0_5tupleIJSF_SF_EEENSM_IJSG_SG_EEES6_PlJS6_EEE10hipError_tPvRmT3_T4_T5_T6_T7_T9_mT8_P12ihipStream_tbDpT10_ENKUlT_T0_E_clISt17integral_constantIbLb0EES18_IbLb1EEEEDaS14_S15_EUlS14_E_NS1_11comp_targetILNS1_3genE8ELNS1_11target_archE1030ELNS1_3gpuE2ELNS1_3repE0EEENS1_30default_config_static_selectorELNS0_4arch9wavefront6targetE1EEEvT1_
; %bb.0:
	.section	.rodata,"a",@progbits
	.p2align	6, 0x0
	.amdhsa_kernel _ZN7rocprim17ROCPRIM_400000_NS6detail17trampoline_kernelINS0_14default_configENS1_25partition_config_selectorILNS1_17partition_subalgoE1EyNS0_10empty_typeEbEEZZNS1_14partition_implILS5_1ELb0ES3_jN6thrust23THRUST_200600_302600_NS6detail15normal_iteratorINSA_10device_ptrIyEEEEPS6_NSA_18transform_iteratorI7is_evenIyESF_NSA_11use_defaultESK_EENS0_5tupleIJSF_SF_EEENSM_IJSG_SG_EEES6_PlJS6_EEE10hipError_tPvRmT3_T4_T5_T6_T7_T9_mT8_P12ihipStream_tbDpT10_ENKUlT_T0_E_clISt17integral_constantIbLb0EES18_IbLb1EEEEDaS14_S15_EUlS14_E_NS1_11comp_targetILNS1_3genE8ELNS1_11target_archE1030ELNS1_3gpuE2ELNS1_3repE0EEENS1_30default_config_static_selectorELNS0_4arch9wavefront6targetE1EEEvT1_
		.amdhsa_group_segment_fixed_size 0
		.amdhsa_private_segment_fixed_size 0
		.amdhsa_kernarg_size 144
		.amdhsa_user_sgpr_count 2
		.amdhsa_user_sgpr_dispatch_ptr 0
		.amdhsa_user_sgpr_queue_ptr 0
		.amdhsa_user_sgpr_kernarg_segment_ptr 1
		.amdhsa_user_sgpr_dispatch_id 0
		.amdhsa_user_sgpr_kernarg_preload_length 0
		.amdhsa_user_sgpr_kernarg_preload_offset 0
		.amdhsa_user_sgpr_private_segment_size 0
		.amdhsa_uses_dynamic_stack 0
		.amdhsa_enable_private_segment 0
		.amdhsa_system_sgpr_workgroup_id_x 1
		.amdhsa_system_sgpr_workgroup_id_y 0
		.amdhsa_system_sgpr_workgroup_id_z 0
		.amdhsa_system_sgpr_workgroup_info 0
		.amdhsa_system_vgpr_workitem_id 0
		.amdhsa_next_free_vgpr 1
		.amdhsa_next_free_sgpr 0
		.amdhsa_accum_offset 4
		.amdhsa_reserve_vcc 0
		.amdhsa_float_round_mode_32 0
		.amdhsa_float_round_mode_16_64 0
		.amdhsa_float_denorm_mode_32 3
		.amdhsa_float_denorm_mode_16_64 3
		.amdhsa_dx10_clamp 1
		.amdhsa_ieee_mode 1
		.amdhsa_fp16_overflow 0
		.amdhsa_tg_split 0
		.amdhsa_exception_fp_ieee_invalid_op 0
		.amdhsa_exception_fp_denorm_src 0
		.amdhsa_exception_fp_ieee_div_zero 0
		.amdhsa_exception_fp_ieee_overflow 0
		.amdhsa_exception_fp_ieee_underflow 0
		.amdhsa_exception_fp_ieee_inexact 0
		.amdhsa_exception_int_div_zero 0
	.end_amdhsa_kernel
	.section	.text._ZN7rocprim17ROCPRIM_400000_NS6detail17trampoline_kernelINS0_14default_configENS1_25partition_config_selectorILNS1_17partition_subalgoE1EyNS0_10empty_typeEbEEZZNS1_14partition_implILS5_1ELb0ES3_jN6thrust23THRUST_200600_302600_NS6detail15normal_iteratorINSA_10device_ptrIyEEEEPS6_NSA_18transform_iteratorI7is_evenIyESF_NSA_11use_defaultESK_EENS0_5tupleIJSF_SF_EEENSM_IJSG_SG_EEES6_PlJS6_EEE10hipError_tPvRmT3_T4_T5_T6_T7_T9_mT8_P12ihipStream_tbDpT10_ENKUlT_T0_E_clISt17integral_constantIbLb0EES18_IbLb1EEEEDaS14_S15_EUlS14_E_NS1_11comp_targetILNS1_3genE8ELNS1_11target_archE1030ELNS1_3gpuE2ELNS1_3repE0EEENS1_30default_config_static_selectorELNS0_4arch9wavefront6targetE1EEEvT1_,"axG",@progbits,_ZN7rocprim17ROCPRIM_400000_NS6detail17trampoline_kernelINS0_14default_configENS1_25partition_config_selectorILNS1_17partition_subalgoE1EyNS0_10empty_typeEbEEZZNS1_14partition_implILS5_1ELb0ES3_jN6thrust23THRUST_200600_302600_NS6detail15normal_iteratorINSA_10device_ptrIyEEEEPS6_NSA_18transform_iteratorI7is_evenIyESF_NSA_11use_defaultESK_EENS0_5tupleIJSF_SF_EEENSM_IJSG_SG_EEES6_PlJS6_EEE10hipError_tPvRmT3_T4_T5_T6_T7_T9_mT8_P12ihipStream_tbDpT10_ENKUlT_T0_E_clISt17integral_constantIbLb0EES18_IbLb1EEEEDaS14_S15_EUlS14_E_NS1_11comp_targetILNS1_3genE8ELNS1_11target_archE1030ELNS1_3gpuE2ELNS1_3repE0EEENS1_30default_config_static_selectorELNS0_4arch9wavefront6targetE1EEEvT1_,comdat
.Lfunc_end2234:
	.size	_ZN7rocprim17ROCPRIM_400000_NS6detail17trampoline_kernelINS0_14default_configENS1_25partition_config_selectorILNS1_17partition_subalgoE1EyNS0_10empty_typeEbEEZZNS1_14partition_implILS5_1ELb0ES3_jN6thrust23THRUST_200600_302600_NS6detail15normal_iteratorINSA_10device_ptrIyEEEEPS6_NSA_18transform_iteratorI7is_evenIyESF_NSA_11use_defaultESK_EENS0_5tupleIJSF_SF_EEENSM_IJSG_SG_EEES6_PlJS6_EEE10hipError_tPvRmT3_T4_T5_T6_T7_T9_mT8_P12ihipStream_tbDpT10_ENKUlT_T0_E_clISt17integral_constantIbLb0EES18_IbLb1EEEEDaS14_S15_EUlS14_E_NS1_11comp_targetILNS1_3genE8ELNS1_11target_archE1030ELNS1_3gpuE2ELNS1_3repE0EEENS1_30default_config_static_selectorELNS0_4arch9wavefront6targetE1EEEvT1_, .Lfunc_end2234-_ZN7rocprim17ROCPRIM_400000_NS6detail17trampoline_kernelINS0_14default_configENS1_25partition_config_selectorILNS1_17partition_subalgoE1EyNS0_10empty_typeEbEEZZNS1_14partition_implILS5_1ELb0ES3_jN6thrust23THRUST_200600_302600_NS6detail15normal_iteratorINSA_10device_ptrIyEEEEPS6_NSA_18transform_iteratorI7is_evenIyESF_NSA_11use_defaultESK_EENS0_5tupleIJSF_SF_EEENSM_IJSG_SG_EEES6_PlJS6_EEE10hipError_tPvRmT3_T4_T5_T6_T7_T9_mT8_P12ihipStream_tbDpT10_ENKUlT_T0_E_clISt17integral_constantIbLb0EES18_IbLb1EEEEDaS14_S15_EUlS14_E_NS1_11comp_targetILNS1_3genE8ELNS1_11target_archE1030ELNS1_3gpuE2ELNS1_3repE0EEENS1_30default_config_static_selectorELNS0_4arch9wavefront6targetE1EEEvT1_
                                        ; -- End function
	.section	.AMDGPU.csdata,"",@progbits
; Kernel info:
; codeLenInByte = 0
; NumSgprs: 6
; NumVgprs: 0
; NumAgprs: 0
; TotalNumVgprs: 0
; ScratchSize: 0
; MemoryBound: 0
; FloatMode: 240
; IeeeMode: 1
; LDSByteSize: 0 bytes/workgroup (compile time only)
; SGPRBlocks: 0
; VGPRBlocks: 0
; NumSGPRsForWavesPerEU: 6
; NumVGPRsForWavesPerEU: 1
; AccumOffset: 4
; Occupancy: 8
; WaveLimiterHint : 0
; COMPUTE_PGM_RSRC2:SCRATCH_EN: 0
; COMPUTE_PGM_RSRC2:USER_SGPR: 2
; COMPUTE_PGM_RSRC2:TRAP_HANDLER: 0
; COMPUTE_PGM_RSRC2:TGID_X_EN: 1
; COMPUTE_PGM_RSRC2:TGID_Y_EN: 0
; COMPUTE_PGM_RSRC2:TGID_Z_EN: 0
; COMPUTE_PGM_RSRC2:TIDIG_COMP_CNT: 0
; COMPUTE_PGM_RSRC3_GFX90A:ACCUM_OFFSET: 0
; COMPUTE_PGM_RSRC3_GFX90A:TG_SPLIT: 0
	.section	.text._ZN7rocprim17ROCPRIM_400000_NS6detail17trampoline_kernelINS0_14default_configENS1_25partition_config_selectorILNS1_17partition_subalgoE1EjNS0_10empty_typeEbEEZZNS1_14partition_implILS5_1ELb0ES3_jN6thrust23THRUST_200600_302600_NS6detail15normal_iteratorINSA_10device_ptrIjEEEEPS6_NSA_18transform_iteratorI7is_evenIjESF_NSA_11use_defaultESK_EENS0_5tupleIJSF_SF_EEENSM_IJSG_SG_EEES6_PlJS6_EEE10hipError_tPvRmT3_T4_T5_T6_T7_T9_mT8_P12ihipStream_tbDpT10_ENKUlT_T0_E_clISt17integral_constantIbLb0EES19_EEDaS14_S15_EUlS14_E_NS1_11comp_targetILNS1_3genE0ELNS1_11target_archE4294967295ELNS1_3gpuE0ELNS1_3repE0EEENS1_30default_config_static_selectorELNS0_4arch9wavefront6targetE1EEEvT1_,"axG",@progbits,_ZN7rocprim17ROCPRIM_400000_NS6detail17trampoline_kernelINS0_14default_configENS1_25partition_config_selectorILNS1_17partition_subalgoE1EjNS0_10empty_typeEbEEZZNS1_14partition_implILS5_1ELb0ES3_jN6thrust23THRUST_200600_302600_NS6detail15normal_iteratorINSA_10device_ptrIjEEEEPS6_NSA_18transform_iteratorI7is_evenIjESF_NSA_11use_defaultESK_EENS0_5tupleIJSF_SF_EEENSM_IJSG_SG_EEES6_PlJS6_EEE10hipError_tPvRmT3_T4_T5_T6_T7_T9_mT8_P12ihipStream_tbDpT10_ENKUlT_T0_E_clISt17integral_constantIbLb0EES19_EEDaS14_S15_EUlS14_E_NS1_11comp_targetILNS1_3genE0ELNS1_11target_archE4294967295ELNS1_3gpuE0ELNS1_3repE0EEENS1_30default_config_static_selectorELNS0_4arch9wavefront6targetE1EEEvT1_,comdat
	.protected	_ZN7rocprim17ROCPRIM_400000_NS6detail17trampoline_kernelINS0_14default_configENS1_25partition_config_selectorILNS1_17partition_subalgoE1EjNS0_10empty_typeEbEEZZNS1_14partition_implILS5_1ELb0ES3_jN6thrust23THRUST_200600_302600_NS6detail15normal_iteratorINSA_10device_ptrIjEEEEPS6_NSA_18transform_iteratorI7is_evenIjESF_NSA_11use_defaultESK_EENS0_5tupleIJSF_SF_EEENSM_IJSG_SG_EEES6_PlJS6_EEE10hipError_tPvRmT3_T4_T5_T6_T7_T9_mT8_P12ihipStream_tbDpT10_ENKUlT_T0_E_clISt17integral_constantIbLb0EES19_EEDaS14_S15_EUlS14_E_NS1_11comp_targetILNS1_3genE0ELNS1_11target_archE4294967295ELNS1_3gpuE0ELNS1_3repE0EEENS1_30default_config_static_selectorELNS0_4arch9wavefront6targetE1EEEvT1_ ; -- Begin function _ZN7rocprim17ROCPRIM_400000_NS6detail17trampoline_kernelINS0_14default_configENS1_25partition_config_selectorILNS1_17partition_subalgoE1EjNS0_10empty_typeEbEEZZNS1_14partition_implILS5_1ELb0ES3_jN6thrust23THRUST_200600_302600_NS6detail15normal_iteratorINSA_10device_ptrIjEEEEPS6_NSA_18transform_iteratorI7is_evenIjESF_NSA_11use_defaultESK_EENS0_5tupleIJSF_SF_EEENSM_IJSG_SG_EEES6_PlJS6_EEE10hipError_tPvRmT3_T4_T5_T6_T7_T9_mT8_P12ihipStream_tbDpT10_ENKUlT_T0_E_clISt17integral_constantIbLb0EES19_EEDaS14_S15_EUlS14_E_NS1_11comp_targetILNS1_3genE0ELNS1_11target_archE4294967295ELNS1_3gpuE0ELNS1_3repE0EEENS1_30default_config_static_selectorELNS0_4arch9wavefront6targetE1EEEvT1_
	.globl	_ZN7rocprim17ROCPRIM_400000_NS6detail17trampoline_kernelINS0_14default_configENS1_25partition_config_selectorILNS1_17partition_subalgoE1EjNS0_10empty_typeEbEEZZNS1_14partition_implILS5_1ELb0ES3_jN6thrust23THRUST_200600_302600_NS6detail15normal_iteratorINSA_10device_ptrIjEEEEPS6_NSA_18transform_iteratorI7is_evenIjESF_NSA_11use_defaultESK_EENS0_5tupleIJSF_SF_EEENSM_IJSG_SG_EEES6_PlJS6_EEE10hipError_tPvRmT3_T4_T5_T6_T7_T9_mT8_P12ihipStream_tbDpT10_ENKUlT_T0_E_clISt17integral_constantIbLb0EES19_EEDaS14_S15_EUlS14_E_NS1_11comp_targetILNS1_3genE0ELNS1_11target_archE4294967295ELNS1_3gpuE0ELNS1_3repE0EEENS1_30default_config_static_selectorELNS0_4arch9wavefront6targetE1EEEvT1_
	.p2align	8
	.type	_ZN7rocprim17ROCPRIM_400000_NS6detail17trampoline_kernelINS0_14default_configENS1_25partition_config_selectorILNS1_17partition_subalgoE1EjNS0_10empty_typeEbEEZZNS1_14partition_implILS5_1ELb0ES3_jN6thrust23THRUST_200600_302600_NS6detail15normal_iteratorINSA_10device_ptrIjEEEEPS6_NSA_18transform_iteratorI7is_evenIjESF_NSA_11use_defaultESK_EENS0_5tupleIJSF_SF_EEENSM_IJSG_SG_EEES6_PlJS6_EEE10hipError_tPvRmT3_T4_T5_T6_T7_T9_mT8_P12ihipStream_tbDpT10_ENKUlT_T0_E_clISt17integral_constantIbLb0EES19_EEDaS14_S15_EUlS14_E_NS1_11comp_targetILNS1_3genE0ELNS1_11target_archE4294967295ELNS1_3gpuE0ELNS1_3repE0EEENS1_30default_config_static_selectorELNS0_4arch9wavefront6targetE1EEEvT1_,@function
_ZN7rocprim17ROCPRIM_400000_NS6detail17trampoline_kernelINS0_14default_configENS1_25partition_config_selectorILNS1_17partition_subalgoE1EjNS0_10empty_typeEbEEZZNS1_14partition_implILS5_1ELb0ES3_jN6thrust23THRUST_200600_302600_NS6detail15normal_iteratorINSA_10device_ptrIjEEEEPS6_NSA_18transform_iteratorI7is_evenIjESF_NSA_11use_defaultESK_EENS0_5tupleIJSF_SF_EEENSM_IJSG_SG_EEES6_PlJS6_EEE10hipError_tPvRmT3_T4_T5_T6_T7_T9_mT8_P12ihipStream_tbDpT10_ENKUlT_T0_E_clISt17integral_constantIbLb0EES19_EEDaS14_S15_EUlS14_E_NS1_11comp_targetILNS1_3genE0ELNS1_11target_archE4294967295ELNS1_3gpuE0ELNS1_3repE0EEENS1_30default_config_static_selectorELNS0_4arch9wavefront6targetE1EEEvT1_: ; @_ZN7rocprim17ROCPRIM_400000_NS6detail17trampoline_kernelINS0_14default_configENS1_25partition_config_selectorILNS1_17partition_subalgoE1EjNS0_10empty_typeEbEEZZNS1_14partition_implILS5_1ELb0ES3_jN6thrust23THRUST_200600_302600_NS6detail15normal_iteratorINSA_10device_ptrIjEEEEPS6_NSA_18transform_iteratorI7is_evenIjESF_NSA_11use_defaultESK_EENS0_5tupleIJSF_SF_EEENSM_IJSG_SG_EEES6_PlJS6_EEE10hipError_tPvRmT3_T4_T5_T6_T7_T9_mT8_P12ihipStream_tbDpT10_ENKUlT_T0_E_clISt17integral_constantIbLb0EES19_EEDaS14_S15_EUlS14_E_NS1_11comp_targetILNS1_3genE0ELNS1_11target_archE4294967295ELNS1_3gpuE0ELNS1_3repE0EEENS1_30default_config_static_selectorELNS0_4arch9wavefront6targetE1EEEvT1_
; %bb.0:
	.section	.rodata,"a",@progbits
	.p2align	6, 0x0
	.amdhsa_kernel _ZN7rocprim17ROCPRIM_400000_NS6detail17trampoline_kernelINS0_14default_configENS1_25partition_config_selectorILNS1_17partition_subalgoE1EjNS0_10empty_typeEbEEZZNS1_14partition_implILS5_1ELb0ES3_jN6thrust23THRUST_200600_302600_NS6detail15normal_iteratorINSA_10device_ptrIjEEEEPS6_NSA_18transform_iteratorI7is_evenIjESF_NSA_11use_defaultESK_EENS0_5tupleIJSF_SF_EEENSM_IJSG_SG_EEES6_PlJS6_EEE10hipError_tPvRmT3_T4_T5_T6_T7_T9_mT8_P12ihipStream_tbDpT10_ENKUlT_T0_E_clISt17integral_constantIbLb0EES19_EEDaS14_S15_EUlS14_E_NS1_11comp_targetILNS1_3genE0ELNS1_11target_archE4294967295ELNS1_3gpuE0ELNS1_3repE0EEENS1_30default_config_static_selectorELNS0_4arch9wavefront6targetE1EEEvT1_
		.amdhsa_group_segment_fixed_size 0
		.amdhsa_private_segment_fixed_size 0
		.amdhsa_kernarg_size 128
		.amdhsa_user_sgpr_count 2
		.amdhsa_user_sgpr_dispatch_ptr 0
		.amdhsa_user_sgpr_queue_ptr 0
		.amdhsa_user_sgpr_kernarg_segment_ptr 1
		.amdhsa_user_sgpr_dispatch_id 0
		.amdhsa_user_sgpr_kernarg_preload_length 0
		.amdhsa_user_sgpr_kernarg_preload_offset 0
		.amdhsa_user_sgpr_private_segment_size 0
		.amdhsa_uses_dynamic_stack 0
		.amdhsa_enable_private_segment 0
		.amdhsa_system_sgpr_workgroup_id_x 1
		.amdhsa_system_sgpr_workgroup_id_y 0
		.amdhsa_system_sgpr_workgroup_id_z 0
		.amdhsa_system_sgpr_workgroup_info 0
		.amdhsa_system_vgpr_workitem_id 0
		.amdhsa_next_free_vgpr 1
		.amdhsa_next_free_sgpr 0
		.amdhsa_accum_offset 4
		.amdhsa_reserve_vcc 0
		.amdhsa_float_round_mode_32 0
		.amdhsa_float_round_mode_16_64 0
		.amdhsa_float_denorm_mode_32 3
		.amdhsa_float_denorm_mode_16_64 3
		.amdhsa_dx10_clamp 1
		.amdhsa_ieee_mode 1
		.amdhsa_fp16_overflow 0
		.amdhsa_tg_split 0
		.amdhsa_exception_fp_ieee_invalid_op 0
		.amdhsa_exception_fp_denorm_src 0
		.amdhsa_exception_fp_ieee_div_zero 0
		.amdhsa_exception_fp_ieee_overflow 0
		.amdhsa_exception_fp_ieee_underflow 0
		.amdhsa_exception_fp_ieee_inexact 0
		.amdhsa_exception_int_div_zero 0
	.end_amdhsa_kernel
	.section	.text._ZN7rocprim17ROCPRIM_400000_NS6detail17trampoline_kernelINS0_14default_configENS1_25partition_config_selectorILNS1_17partition_subalgoE1EjNS0_10empty_typeEbEEZZNS1_14partition_implILS5_1ELb0ES3_jN6thrust23THRUST_200600_302600_NS6detail15normal_iteratorINSA_10device_ptrIjEEEEPS6_NSA_18transform_iteratorI7is_evenIjESF_NSA_11use_defaultESK_EENS0_5tupleIJSF_SF_EEENSM_IJSG_SG_EEES6_PlJS6_EEE10hipError_tPvRmT3_T4_T5_T6_T7_T9_mT8_P12ihipStream_tbDpT10_ENKUlT_T0_E_clISt17integral_constantIbLb0EES19_EEDaS14_S15_EUlS14_E_NS1_11comp_targetILNS1_3genE0ELNS1_11target_archE4294967295ELNS1_3gpuE0ELNS1_3repE0EEENS1_30default_config_static_selectorELNS0_4arch9wavefront6targetE1EEEvT1_,"axG",@progbits,_ZN7rocprim17ROCPRIM_400000_NS6detail17trampoline_kernelINS0_14default_configENS1_25partition_config_selectorILNS1_17partition_subalgoE1EjNS0_10empty_typeEbEEZZNS1_14partition_implILS5_1ELb0ES3_jN6thrust23THRUST_200600_302600_NS6detail15normal_iteratorINSA_10device_ptrIjEEEEPS6_NSA_18transform_iteratorI7is_evenIjESF_NSA_11use_defaultESK_EENS0_5tupleIJSF_SF_EEENSM_IJSG_SG_EEES6_PlJS6_EEE10hipError_tPvRmT3_T4_T5_T6_T7_T9_mT8_P12ihipStream_tbDpT10_ENKUlT_T0_E_clISt17integral_constantIbLb0EES19_EEDaS14_S15_EUlS14_E_NS1_11comp_targetILNS1_3genE0ELNS1_11target_archE4294967295ELNS1_3gpuE0ELNS1_3repE0EEENS1_30default_config_static_selectorELNS0_4arch9wavefront6targetE1EEEvT1_,comdat
.Lfunc_end2235:
	.size	_ZN7rocprim17ROCPRIM_400000_NS6detail17trampoline_kernelINS0_14default_configENS1_25partition_config_selectorILNS1_17partition_subalgoE1EjNS0_10empty_typeEbEEZZNS1_14partition_implILS5_1ELb0ES3_jN6thrust23THRUST_200600_302600_NS6detail15normal_iteratorINSA_10device_ptrIjEEEEPS6_NSA_18transform_iteratorI7is_evenIjESF_NSA_11use_defaultESK_EENS0_5tupleIJSF_SF_EEENSM_IJSG_SG_EEES6_PlJS6_EEE10hipError_tPvRmT3_T4_T5_T6_T7_T9_mT8_P12ihipStream_tbDpT10_ENKUlT_T0_E_clISt17integral_constantIbLb0EES19_EEDaS14_S15_EUlS14_E_NS1_11comp_targetILNS1_3genE0ELNS1_11target_archE4294967295ELNS1_3gpuE0ELNS1_3repE0EEENS1_30default_config_static_selectorELNS0_4arch9wavefront6targetE1EEEvT1_, .Lfunc_end2235-_ZN7rocprim17ROCPRIM_400000_NS6detail17trampoline_kernelINS0_14default_configENS1_25partition_config_selectorILNS1_17partition_subalgoE1EjNS0_10empty_typeEbEEZZNS1_14partition_implILS5_1ELb0ES3_jN6thrust23THRUST_200600_302600_NS6detail15normal_iteratorINSA_10device_ptrIjEEEEPS6_NSA_18transform_iteratorI7is_evenIjESF_NSA_11use_defaultESK_EENS0_5tupleIJSF_SF_EEENSM_IJSG_SG_EEES6_PlJS6_EEE10hipError_tPvRmT3_T4_T5_T6_T7_T9_mT8_P12ihipStream_tbDpT10_ENKUlT_T0_E_clISt17integral_constantIbLb0EES19_EEDaS14_S15_EUlS14_E_NS1_11comp_targetILNS1_3genE0ELNS1_11target_archE4294967295ELNS1_3gpuE0ELNS1_3repE0EEENS1_30default_config_static_selectorELNS0_4arch9wavefront6targetE1EEEvT1_
                                        ; -- End function
	.section	.AMDGPU.csdata,"",@progbits
; Kernel info:
; codeLenInByte = 0
; NumSgprs: 6
; NumVgprs: 0
; NumAgprs: 0
; TotalNumVgprs: 0
; ScratchSize: 0
; MemoryBound: 0
; FloatMode: 240
; IeeeMode: 1
; LDSByteSize: 0 bytes/workgroup (compile time only)
; SGPRBlocks: 0
; VGPRBlocks: 0
; NumSGPRsForWavesPerEU: 6
; NumVGPRsForWavesPerEU: 1
; AccumOffset: 4
; Occupancy: 8
; WaveLimiterHint : 0
; COMPUTE_PGM_RSRC2:SCRATCH_EN: 0
; COMPUTE_PGM_RSRC2:USER_SGPR: 2
; COMPUTE_PGM_RSRC2:TRAP_HANDLER: 0
; COMPUTE_PGM_RSRC2:TGID_X_EN: 1
; COMPUTE_PGM_RSRC2:TGID_Y_EN: 0
; COMPUTE_PGM_RSRC2:TGID_Z_EN: 0
; COMPUTE_PGM_RSRC2:TIDIG_COMP_CNT: 0
; COMPUTE_PGM_RSRC3_GFX90A:ACCUM_OFFSET: 0
; COMPUTE_PGM_RSRC3_GFX90A:TG_SPLIT: 0
	.section	.text._ZN7rocprim17ROCPRIM_400000_NS6detail17trampoline_kernelINS0_14default_configENS1_25partition_config_selectorILNS1_17partition_subalgoE1EjNS0_10empty_typeEbEEZZNS1_14partition_implILS5_1ELb0ES3_jN6thrust23THRUST_200600_302600_NS6detail15normal_iteratorINSA_10device_ptrIjEEEEPS6_NSA_18transform_iteratorI7is_evenIjESF_NSA_11use_defaultESK_EENS0_5tupleIJSF_SF_EEENSM_IJSG_SG_EEES6_PlJS6_EEE10hipError_tPvRmT3_T4_T5_T6_T7_T9_mT8_P12ihipStream_tbDpT10_ENKUlT_T0_E_clISt17integral_constantIbLb0EES19_EEDaS14_S15_EUlS14_E_NS1_11comp_targetILNS1_3genE5ELNS1_11target_archE942ELNS1_3gpuE9ELNS1_3repE0EEENS1_30default_config_static_selectorELNS0_4arch9wavefront6targetE1EEEvT1_,"axG",@progbits,_ZN7rocprim17ROCPRIM_400000_NS6detail17trampoline_kernelINS0_14default_configENS1_25partition_config_selectorILNS1_17partition_subalgoE1EjNS0_10empty_typeEbEEZZNS1_14partition_implILS5_1ELb0ES3_jN6thrust23THRUST_200600_302600_NS6detail15normal_iteratorINSA_10device_ptrIjEEEEPS6_NSA_18transform_iteratorI7is_evenIjESF_NSA_11use_defaultESK_EENS0_5tupleIJSF_SF_EEENSM_IJSG_SG_EEES6_PlJS6_EEE10hipError_tPvRmT3_T4_T5_T6_T7_T9_mT8_P12ihipStream_tbDpT10_ENKUlT_T0_E_clISt17integral_constantIbLb0EES19_EEDaS14_S15_EUlS14_E_NS1_11comp_targetILNS1_3genE5ELNS1_11target_archE942ELNS1_3gpuE9ELNS1_3repE0EEENS1_30default_config_static_selectorELNS0_4arch9wavefront6targetE1EEEvT1_,comdat
	.protected	_ZN7rocprim17ROCPRIM_400000_NS6detail17trampoline_kernelINS0_14default_configENS1_25partition_config_selectorILNS1_17partition_subalgoE1EjNS0_10empty_typeEbEEZZNS1_14partition_implILS5_1ELb0ES3_jN6thrust23THRUST_200600_302600_NS6detail15normal_iteratorINSA_10device_ptrIjEEEEPS6_NSA_18transform_iteratorI7is_evenIjESF_NSA_11use_defaultESK_EENS0_5tupleIJSF_SF_EEENSM_IJSG_SG_EEES6_PlJS6_EEE10hipError_tPvRmT3_T4_T5_T6_T7_T9_mT8_P12ihipStream_tbDpT10_ENKUlT_T0_E_clISt17integral_constantIbLb0EES19_EEDaS14_S15_EUlS14_E_NS1_11comp_targetILNS1_3genE5ELNS1_11target_archE942ELNS1_3gpuE9ELNS1_3repE0EEENS1_30default_config_static_selectorELNS0_4arch9wavefront6targetE1EEEvT1_ ; -- Begin function _ZN7rocprim17ROCPRIM_400000_NS6detail17trampoline_kernelINS0_14default_configENS1_25partition_config_selectorILNS1_17partition_subalgoE1EjNS0_10empty_typeEbEEZZNS1_14partition_implILS5_1ELb0ES3_jN6thrust23THRUST_200600_302600_NS6detail15normal_iteratorINSA_10device_ptrIjEEEEPS6_NSA_18transform_iteratorI7is_evenIjESF_NSA_11use_defaultESK_EENS0_5tupleIJSF_SF_EEENSM_IJSG_SG_EEES6_PlJS6_EEE10hipError_tPvRmT3_T4_T5_T6_T7_T9_mT8_P12ihipStream_tbDpT10_ENKUlT_T0_E_clISt17integral_constantIbLb0EES19_EEDaS14_S15_EUlS14_E_NS1_11comp_targetILNS1_3genE5ELNS1_11target_archE942ELNS1_3gpuE9ELNS1_3repE0EEENS1_30default_config_static_selectorELNS0_4arch9wavefront6targetE1EEEvT1_
	.globl	_ZN7rocprim17ROCPRIM_400000_NS6detail17trampoline_kernelINS0_14default_configENS1_25partition_config_selectorILNS1_17partition_subalgoE1EjNS0_10empty_typeEbEEZZNS1_14partition_implILS5_1ELb0ES3_jN6thrust23THRUST_200600_302600_NS6detail15normal_iteratorINSA_10device_ptrIjEEEEPS6_NSA_18transform_iteratorI7is_evenIjESF_NSA_11use_defaultESK_EENS0_5tupleIJSF_SF_EEENSM_IJSG_SG_EEES6_PlJS6_EEE10hipError_tPvRmT3_T4_T5_T6_T7_T9_mT8_P12ihipStream_tbDpT10_ENKUlT_T0_E_clISt17integral_constantIbLb0EES19_EEDaS14_S15_EUlS14_E_NS1_11comp_targetILNS1_3genE5ELNS1_11target_archE942ELNS1_3gpuE9ELNS1_3repE0EEENS1_30default_config_static_selectorELNS0_4arch9wavefront6targetE1EEEvT1_
	.p2align	8
	.type	_ZN7rocprim17ROCPRIM_400000_NS6detail17trampoline_kernelINS0_14default_configENS1_25partition_config_selectorILNS1_17partition_subalgoE1EjNS0_10empty_typeEbEEZZNS1_14partition_implILS5_1ELb0ES3_jN6thrust23THRUST_200600_302600_NS6detail15normal_iteratorINSA_10device_ptrIjEEEEPS6_NSA_18transform_iteratorI7is_evenIjESF_NSA_11use_defaultESK_EENS0_5tupleIJSF_SF_EEENSM_IJSG_SG_EEES6_PlJS6_EEE10hipError_tPvRmT3_T4_T5_T6_T7_T9_mT8_P12ihipStream_tbDpT10_ENKUlT_T0_E_clISt17integral_constantIbLb0EES19_EEDaS14_S15_EUlS14_E_NS1_11comp_targetILNS1_3genE5ELNS1_11target_archE942ELNS1_3gpuE9ELNS1_3repE0EEENS1_30default_config_static_selectorELNS0_4arch9wavefront6targetE1EEEvT1_,@function
_ZN7rocprim17ROCPRIM_400000_NS6detail17trampoline_kernelINS0_14default_configENS1_25partition_config_selectorILNS1_17partition_subalgoE1EjNS0_10empty_typeEbEEZZNS1_14partition_implILS5_1ELb0ES3_jN6thrust23THRUST_200600_302600_NS6detail15normal_iteratorINSA_10device_ptrIjEEEEPS6_NSA_18transform_iteratorI7is_evenIjESF_NSA_11use_defaultESK_EENS0_5tupleIJSF_SF_EEENSM_IJSG_SG_EEES6_PlJS6_EEE10hipError_tPvRmT3_T4_T5_T6_T7_T9_mT8_P12ihipStream_tbDpT10_ENKUlT_T0_E_clISt17integral_constantIbLb0EES19_EEDaS14_S15_EUlS14_E_NS1_11comp_targetILNS1_3genE5ELNS1_11target_archE942ELNS1_3gpuE9ELNS1_3repE0EEENS1_30default_config_static_selectorELNS0_4arch9wavefront6targetE1EEEvT1_: ; @_ZN7rocprim17ROCPRIM_400000_NS6detail17trampoline_kernelINS0_14default_configENS1_25partition_config_selectorILNS1_17partition_subalgoE1EjNS0_10empty_typeEbEEZZNS1_14partition_implILS5_1ELb0ES3_jN6thrust23THRUST_200600_302600_NS6detail15normal_iteratorINSA_10device_ptrIjEEEEPS6_NSA_18transform_iteratorI7is_evenIjESF_NSA_11use_defaultESK_EENS0_5tupleIJSF_SF_EEENSM_IJSG_SG_EEES6_PlJS6_EEE10hipError_tPvRmT3_T4_T5_T6_T7_T9_mT8_P12ihipStream_tbDpT10_ENKUlT_T0_E_clISt17integral_constantIbLb0EES19_EEDaS14_S15_EUlS14_E_NS1_11comp_targetILNS1_3genE5ELNS1_11target_archE942ELNS1_3gpuE9ELNS1_3repE0EEENS1_30default_config_static_selectorELNS0_4arch9wavefront6targetE1EEEvT1_
; %bb.0:
	s_load_dwordx2 s[4:5], s[0:1], 0x60
	s_load_dwordx4 s[24:27], s[0:1], 0x8
	s_load_dwordx2 s[6:7], s[0:1], 0x20
	s_load_dwordx4 s[20:23], s[0:1], 0x50
	s_load_dword s3, s[0:1], 0x78
	s_waitcnt lgkmcnt(0)
	v_mov_b32_e32 v3, s5
	s_lshl_b64 s[8:9], s[26:27], 2
	s_add_u32 s12, s24, s8
	s_addc_u32 s13, s25, s9
	s_add_i32 s14, s3, -1
	s_mulk_i32 s3, 0x1e00
	s_add_i32 s5, s3, s26
	s_sub_i32 s33, s4, s5
	s_addk_i32 s33, 0x1e00
	v_mov_b32_e32 v2, s4
	s_add_u32 s4, s26, s3
	s_addc_u32 s5, s27, 0
	s_cmp_eq_u32 s2, s14
	s_load_dwordx2 s[28:29], s[22:23], 0x0
	s_cselect_b64 s[22:23], -1, 0
	s_cmp_lg_u32 s2, s14
	s_mul_i32 s10, s2, 0x1e00
	s_mov_b32 s11, 0
	v_cmp_lt_u64_e32 vcc, s[4:5], v[2:3]
	s_cselect_b64 s[4:5], -1, 0
	s_or_b64 s[24:25], s[4:5], vcc
	s_lshl_b64 s[30:31], s[10:11], 2
	s_add_u32 s10, s12, s30
	s_addc_u32 s11, s13, s31
	s_mov_b64 s[4:5], -1
	s_and_b64 vcc, exec, s[24:25]
	v_lshlrev_b32_e32 v22, 2, v0
	s_cbranch_vccz .LBB2236_2
; %bb.1:
	v_mov_b32_e32 v23, 0
	v_lshl_add_u64 v[2:3], s[10:11], 0, v[22:23]
	v_add_co_u32_e32 v4, vcc, 0x1000, v2
	s_mov_b64 s[4:5], 0
	s_nop 0
	v_addc_co_u32_e32 v5, vcc, 0, v3, vcc
	v_add_co_u32_e32 v6, vcc, 0x2000, v2
	s_nop 1
	v_addc_co_u32_e32 v7, vcc, 0, v3, vcc
	v_add_co_u32_e32 v8, vcc, 0x3000, v2
	s_nop 1
	v_addc_co_u32_e32 v9, vcc, 0, v3, vcc
	flat_load_dword v1, v[2:3]
	flat_load_dword v10, v[2:3] offset:2048
	flat_load_dword v11, v[4:5]
	flat_load_dword v12, v[4:5] offset:2048
	;; [unrolled: 2-line block ×4, first 2 shown]
	v_add_co_u32_e32 v4, vcc, 0x4000, v2
	s_nop 1
	v_addc_co_u32_e32 v5, vcc, 0, v3, vcc
	v_add_co_u32_e32 v6, vcc, 0x5000, v2
	s_nop 1
	v_addc_co_u32_e32 v7, vcc, 0, v3, vcc
	;; [unrolled: 3-line block ×4, first 2 shown]
	flat_load_dword v17, v[4:5]
	flat_load_dword v18, v[4:5] offset:2048
	flat_load_dword v19, v[6:7]
	flat_load_dword v20, v[6:7] offset:2048
	;; [unrolled: 2-line block ×3, first 2 shown]
	flat_load_dword v24, v[2:3]
	s_waitcnt vmcnt(0) lgkmcnt(0)
	ds_write2st64_b32 v22, v1, v10 offset1:8
	ds_write2st64_b32 v22, v11, v12 offset0:16 offset1:24
	ds_write2st64_b32 v22, v13, v14 offset0:32 offset1:40
	;; [unrolled: 1-line block ×6, first 2 shown]
	ds_write_b32 v22, v24 offset:28672
	s_waitcnt lgkmcnt(0)
	s_barrier
.LBB2236_2:
	s_andn2_b64 vcc, exec, s[4:5]
	v_cmp_gt_u32_e64 s[4:5], s33, v0
	s_cbranch_vccnz .LBB2236_34
; %bb.3:
                                        ; implicit-def: $vgpr2_vgpr3_vgpr4_vgpr5_vgpr6_vgpr7_vgpr8_vgpr9_vgpr10_vgpr11_vgpr12_vgpr13_vgpr14_vgpr15_vgpr16_vgpr17
	s_and_saveexec_b64 s[12:13], s[4:5]
	s_cbranch_execz .LBB2236_5
; %bb.4:
	v_mov_b32_e32 v23, 0
	v_lshl_add_u64 v[2:3], s[10:11], 0, v[22:23]
	flat_load_dword v2, v[2:3]
.LBB2236_5:
	s_or_b64 exec, exec, s[12:13]
	v_or_b32_e32 v1, 0x200, v0
	v_cmp_gt_u32_e32 vcc, s33, v1
	s_and_saveexec_b64 s[4:5], vcc
	s_cbranch_execz .LBB2236_7
; %bb.6:
	v_mov_b32_e32 v23, 0
	v_lshl_add_u64 v[18:19], s[10:11], 0, v[22:23]
	flat_load_dword v3, v[18:19] offset:2048
.LBB2236_7:
	s_or_b64 exec, exec, s[4:5]
	v_or_b32_e32 v1, 0x400, v0
	v_cmp_gt_u32_e32 vcc, s33, v1
	s_and_saveexec_b64 s[4:5], vcc
	s_cbranch_execz .LBB2236_9
; %bb.8:
	v_lshlrev_b32_e32 v18, 2, v1
	v_mov_b32_e32 v19, 0
	v_lshl_add_u64 v[18:19], s[10:11], 0, v[18:19]
	flat_load_dword v4, v[18:19]
.LBB2236_9:
	s_or_b64 exec, exec, s[4:5]
	v_or_b32_e32 v1, 0x600, v0
	v_cmp_gt_u32_e32 vcc, s33, v1
	s_and_saveexec_b64 s[4:5], vcc
	s_cbranch_execz .LBB2236_11
; %bb.10:
	v_lshlrev_b32_e32 v18, 2, v1
	v_mov_b32_e32 v19, 0
	v_lshl_add_u64 v[18:19], s[10:11], 0, v[18:19]
	flat_load_dword v5, v[18:19]
.LBB2236_11:
	;; [unrolled: 11-line block ×13, first 2 shown]
	s_or_b64 exec, exec, s[4:5]
	s_waitcnt vmcnt(0) lgkmcnt(0)
	ds_write2st64_b32 v22, v2, v3 offset1:8
	ds_write2st64_b32 v22, v4, v5 offset0:16 offset1:24
	ds_write2st64_b32 v22, v6, v7 offset0:32 offset1:40
	;; [unrolled: 1-line block ×6, first 2 shown]
	ds_write_b32 v22, v16 offset:28672
	s_waitcnt lgkmcnt(0)
	s_barrier
.LBB2236_34:
	v_mul_u32_u24_e32 v21, 15, v0
	v_lshlrev_b32_e32 v1, 2, v21
	s_waitcnt lgkmcnt(0)
	ds_read2_b32 v[36:37], v1 offset1:1
	ds_read2_b32 v[34:35], v1 offset0:2 offset1:3
	ds_read2_b32 v[32:33], v1 offset0:4 offset1:5
	;; [unrolled: 1-line block ×6, first 2 shown]
	ds_read_b32 v1, v1 offset:56
	s_add_u32 s3, s6, s8
	s_addc_u32 s5, s7, s9
	s_add_u32 s4, s3, s30
	s_addc_u32 s5, s5, s31
	s_mov_b64 s[6:7], -1
	s_and_b64 vcc, exec, s[24:25]
	s_waitcnt lgkmcnt(0)
	s_barrier
	s_cbranch_vccz .LBB2236_36
; %bb.35:
	v_mov_b32_e32 v23, 0
	v_lshl_add_u64 v[2:3], s[4:5], 0, v[22:23]
	v_add_co_u32_e32 v4, vcc, 0x1000, v2
	global_load_dword v10, v22, s[4:5]
	global_load_dword v11, v22, s[4:5] offset:2048
	v_addc_co_u32_e32 v5, vcc, 0, v3, vcc
	v_add_co_u32_e32 v6, vcc, 0x2000, v2
	s_mov_b64 s[6:7], 0
	s_nop 0
	v_addc_co_u32_e32 v7, vcc, 0, v3, vcc
	v_add_co_u32_e32 v8, vcc, 0x3000, v2
	s_nop 1
	v_addc_co_u32_e32 v9, vcc, 0, v3, vcc
	global_load_dword v12, v[4:5], off
	global_load_dword v13, v[4:5], off offset:2048
	global_load_dword v14, v[6:7], off
	global_load_dword v15, v[6:7], off offset:2048
	;; [unrolled: 2-line block ×3, first 2 shown]
	v_add_co_u32_e32 v4, vcc, 0x4000, v2
	s_nop 1
	v_addc_co_u32_e32 v5, vcc, 0, v3, vcc
	global_load_dword v6, v[4:5], off
	global_load_dword v7, v[4:5], off offset:2048
	v_add_co_u32_e32 v4, vcc, 0x5000, v2
	s_waitcnt vmcnt(1)
	v_xor_b32_e32 v6, -1, v6
	v_addc_co_u32_e32 v5, vcc, 0, v3, vcc
	global_load_dword v8, v[4:5], off
	global_load_dword v9, v[4:5], off offset:2048
	v_add_co_u32_e32 v4, vcc, 0x6000, v2
	s_waitcnt vmcnt(2)
	v_xor_b32_e32 v7, -1, v7
	v_addc_co_u32_e32 v5, vcc, 0, v3, vcc
	v_add_co_u32_e32 v2, vcc, 0x7000, v2
	global_load_dword v18, v[4:5], off
	global_load_dword v19, v[4:5], off offset:2048
	v_addc_co_u32_e32 v3, vcc, 0, v3, vcc
	global_load_dword v2, v[2:3], off
	v_xor_b32_e32 v3, -1, v10
	v_xor_b32_e32 v4, -1, v11
	v_and_b32_e32 v3, 1, v3
	v_and_b32_e32 v4, 1, v4
	ds_write_b8 v0, v3
	ds_write_b8 v0, v4 offset:512
	v_xor_b32_e32 v3, -1, v12
	v_xor_b32_e32 v4, -1, v13
	v_xor_b32_e32 v5, -1, v14
	v_and_b32_e32 v3, 1, v3
	v_and_b32_e32 v4, 1, v4
	v_xor_b32_e32 v10, -1, v15
	v_and_b32_e32 v5, 1, v5
	v_xor_b32_e32 v11, -1, v16
	v_xor_b32_e32 v12, -1, v17
	v_and_b32_e32 v10, 1, v10
	ds_write_b8 v0, v3 offset:1024
	ds_write_b8 v0, v4 offset:1536
	v_and_b32_e32 v3, 1, v11
	v_and_b32_e32 v4, 1, v12
	ds_write_b8 v0, v5 offset:2048
	ds_write_b8 v0, v10 offset:2560
	v_and_b32_e32 v5, 1, v6
	v_and_b32_e32 v6, 1, v7
	ds_write_b8 v0, v3 offset:3072
	ds_write_b8 v0, v4 offset:3584
	;; [unrolled: 1-line block ×4, first 2 shown]
	s_waitcnt vmcnt(4)
	v_xor_b32_e32 v7, -1, v8
	s_waitcnt vmcnt(3)
	v_xor_b32_e32 v8, -1, v9
	v_and_b32_e32 v3, 1, v7
	v_and_b32_e32 v4, 1, v8
	s_waitcnt vmcnt(2)
	v_xor_b32_e32 v7, -1, v18
	s_waitcnt vmcnt(1)
	v_xor_b32_e32 v8, -1, v19
	v_and_b32_e32 v5, 1, v7
	v_and_b32_e32 v6, 1, v8
	s_waitcnt vmcnt(0)
	v_xor_b32_e32 v2, -1, v2
	v_and_b32_e32 v2, 1, v2
	ds_write_b8 v0, v3 offset:5120
	ds_write_b8 v0, v4 offset:5632
	ds_write_b8 v0, v5 offset:6144
	ds_write_b8 v0, v6 offset:6656
	ds_write_b8 v0, v2 offset:7168
	s_waitcnt lgkmcnt(0)
	s_barrier
.LBB2236_36:
	s_load_dwordx2 s[34:35], s[0:1], 0x70
	s_andn2_b64 vcc, exec, s[6:7]
	s_cbranch_vccnz .LBB2236_68
; %bb.37:
	v_cmp_gt_u32_e32 vcc, s33, v0
	v_mov_b32_e32 v2, 0
	v_mov_b32_e32 v3, 0
	s_and_saveexec_b64 s[6:7], vcc
	s_cbranch_execz .LBB2236_39
; %bb.38:
	global_load_dword v3, v22, s[4:5]
	s_waitcnt vmcnt(0)
	v_xor_b32_e32 v3, -1, v3
	v_and_b32_e32 v3, 1, v3
.LBB2236_39:
	s_or_b64 exec, exec, s[6:7]
	v_or_b32_e32 v4, 0x200, v0
	v_cmp_gt_u32_e32 vcc, s33, v4
	s_and_saveexec_b64 s[6:7], vcc
	s_cbranch_execz .LBB2236_41
; %bb.40:
	global_load_dword v2, v22, s[4:5] offset:2048
	s_waitcnt vmcnt(0)
	v_xor_b32_e32 v2, -1, v2
	v_and_b32_e32 v2, 1, v2
.LBB2236_41:
	s_or_b64 exec, exec, s[6:7]
	v_or_b32_e32 v6, 0x400, v0
	v_cmp_gt_u32_e32 vcc, s33, v6
	v_mov_b32_e32 v4, 0
	v_mov_b32_e32 v5, 0
	s_and_saveexec_b64 s[6:7], vcc
	s_cbranch_execz .LBB2236_43
; %bb.42:
	v_lshlrev_b32_e32 v5, 2, v6
	global_load_dword v5, v5, s[4:5]
	s_waitcnt vmcnt(0)
	v_xor_b32_e32 v5, -1, v5
	v_and_b32_e32 v5, 1, v5
.LBB2236_43:
	s_or_b64 exec, exec, s[6:7]
	v_or_b32_e32 v6, 0x600, v0
	v_cmp_gt_u32_e32 vcc, s33, v6
	s_and_saveexec_b64 s[6:7], vcc
	s_cbranch_execz .LBB2236_45
; %bb.44:
	v_lshlrev_b32_e32 v4, 2, v6
	global_load_dword v4, v4, s[4:5]
	s_waitcnt vmcnt(0)
	v_xor_b32_e32 v4, -1, v4
	v_and_b32_e32 v4, 1, v4
.LBB2236_45:
	s_or_b64 exec, exec, s[6:7]
	v_or_b32_e32 v8, 0x800, v0
	v_cmp_gt_u32_e32 vcc, s33, v8
	v_mov_b32_e32 v6, 0
	v_mov_b32_e32 v7, 0
	s_and_saveexec_b64 s[6:7], vcc
	s_cbranch_execz .LBB2236_47
; %bb.46:
	v_lshlrev_b32_e32 v7, 2, v8
	global_load_dword v7, v7, s[4:5]
	s_waitcnt vmcnt(0)
	v_xor_b32_e32 v7, -1, v7
	v_and_b32_e32 v7, 1, v7
.LBB2236_47:
	s_or_b64 exec, exec, s[6:7]
	v_or_b32_e32 v8, 0xa00, v0
	v_cmp_gt_u32_e32 vcc, s33, v8
	s_and_saveexec_b64 s[6:7], vcc
	s_cbranch_execz .LBB2236_49
; %bb.48:
	v_lshlrev_b32_e32 v6, 2, v8
	global_load_dword v6, v6, s[4:5]
	s_waitcnt vmcnt(0)
	v_xor_b32_e32 v6, -1, v6
	v_and_b32_e32 v6, 1, v6
.LBB2236_49:
	;; [unrolled: 26-line block ×6, first 2 shown]
	s_or_b64 exec, exec, s[6:7]
	v_or_b32_e32 v17, 0x1c00, v0
	v_cmp_gt_u32_e32 vcc, s33, v17
	v_mov_b32_e32 v16, 0
	s_and_saveexec_b64 s[6:7], vcc
	s_cbranch_execz .LBB2236_67
; %bb.66:
	v_lshlrev_b32_e32 v16, 2, v17
	global_load_dword v16, v16, s[4:5]
	s_waitcnt vmcnt(0)
	v_xor_b32_e32 v16, -1, v16
	v_and_b32_e32 v16, 1, v16
.LBB2236_67:
	s_or_b64 exec, exec, s[6:7]
	ds_write_b8 v0, v3
	ds_write_b8 v0, v2 offset:512
	ds_write_b8 v0, v5 offset:1024
	;; [unrolled: 1-line block ×14, first 2 shown]
	s_waitcnt lgkmcnt(0)
	s_barrier
.LBB2236_68:
	s_waitcnt lgkmcnt(0)
	ds_read_b96 v[18:20], v21
	ds_read_u8 v2, v21 offset:12
	ds_read_u8 v3, v21 offset:13
	ds_read_u8 v4, v21 offset:14
	s_cmp_lg_u32 s2, 0
	v_lshrrev_b32_e32 v56, 6, v0
	s_waitcnt lgkmcnt(2)
	v_and_b32_e32 v43, 1, v2
	v_and_b32_e32 v52, 0xff, v18
	v_bfe_u32 v53, v18, 8, 8
	v_bfe_u32 v54, v18, 16, 8
	v_lshrrev_b32_e32 v45, 24, v18
	v_and_b32_e32 v49, 0xff, v19
	v_add3_u32 v2, v53, v52, v54
	v_bfe_u32 v50, v19, 8, 8
	v_bfe_u32 v51, v19, 16, 8
	v_add3_u32 v2, v2, v45, v49
	v_lshrrev_b32_e32 v44, 24, v19
	v_and_b32_e32 v46, 0xff, v20
	v_add3_u32 v2, v2, v50, v51
	v_bfe_u32 v47, v20, 8, 8
	v_bfe_u32 v48, v20, 16, 8
	v_add3_u32 v2, v2, v44, v46
	v_lshrrev_b32_e32 v42, 24, v20
	v_add3_u32 v2, v2, v47, v48
	s_waitcnt lgkmcnt(1)
	v_and_b32_e32 v41, 1, v3
	s_waitcnt lgkmcnt(0)
	v_and_b32_e32 v23, 1, v4
	v_add3_u32 v2, v2, v42, v43
	v_add3_u32 v57, v2, v41, v23
	v_mbcnt_lo_u32_b32 v2, -1, 0
	v_mbcnt_hi_u32_b32 v55, -1, v2
	v_and_b32_e32 v2, 15, v55
	v_cmp_eq_u32_e64 s[14:15], 0, v2
	v_cmp_lt_u32_e64 s[12:13], 1, v2
	v_cmp_lt_u32_e64 s[10:11], 3, v2
	;; [unrolled: 1-line block ×3, first 2 shown]
	v_and_b32_e32 v2, 16, v55
	v_cmp_eq_u32_e64 s[6:7], 0, v2
	v_or_b32_e32 v2, 63, v0
	v_cmp_lt_u32_e64 s[18:19], 31, v55
	v_cmp_eq_u32_e64 s[4:5], v2, v0
	s_barrier
	s_cbranch_scc0 .LBB2236_95
; %bb.69:
	v_mov_b32_dpp v2, v57 row_shr:1 row_mask:0xf bank_mask:0xf
	v_cndmask_b32_e64 v2, v2, 0, s[14:15]
	v_add_u32_e32 v2, v2, v57
	s_nop 1
	v_mov_b32_dpp v3, v2 row_shr:2 row_mask:0xf bank_mask:0xf
	v_cndmask_b32_e64 v3, 0, v3, s[12:13]
	v_add_u32_e32 v2, v2, v3
	s_nop 1
	v_mov_b32_dpp v3, v2 row_shr:4 row_mask:0xf bank_mask:0xf
	v_cndmask_b32_e64 v3, 0, v3, s[10:11]
	v_add_u32_e32 v2, v2, v3
	s_nop 1
	v_mov_b32_dpp v3, v2 row_shr:8 row_mask:0xf bank_mask:0xf
	v_cndmask_b32_e64 v3, 0, v3, s[8:9]
	v_add_u32_e32 v2, v2, v3
	s_nop 1
	v_mov_b32_dpp v3, v2 row_bcast:15 row_mask:0xf bank_mask:0xf
	v_cndmask_b32_e64 v3, v3, 0, s[6:7]
	v_add_u32_e32 v2, v2, v3
	s_nop 1
	v_mov_b32_dpp v3, v2 row_bcast:31 row_mask:0xf bank_mask:0xf
	v_cndmask_b32_e64 v3, 0, v3, s[18:19]
	v_add_u32_e32 v2, v2, v3
	s_and_saveexec_b64 s[16:17], s[4:5]
	s_cbranch_execz .LBB2236_71
; %bb.70:
	v_lshlrev_b32_e32 v3, 2, v56
	ds_write_b32 v3, v2
.LBB2236_71:
	s_or_b64 exec, exec, s[16:17]
	v_cmp_gt_u32_e32 vcc, 8, v0
	s_waitcnt lgkmcnt(0)
	s_barrier
	s_and_saveexec_b64 s[16:17], vcc
	s_cbranch_execz .LBB2236_73
; %bb.72:
	ds_read_b32 v3, v22
	v_and_b32_e32 v4, 7, v55
	v_cmp_ne_u32_e32 vcc, 0, v4
	s_waitcnt lgkmcnt(0)
	v_mov_b32_dpp v5, v3 row_shr:1 row_mask:0xf bank_mask:0xf
	v_cndmask_b32_e32 v5, 0, v5, vcc
	v_add_u32_e32 v3, v5, v3
	v_cmp_lt_u32_e32 vcc, 1, v4
	s_nop 0
	v_mov_b32_dpp v5, v3 row_shr:2 row_mask:0xf bank_mask:0xf
	v_cndmask_b32_e32 v5, 0, v5, vcc
	v_add_u32_e32 v3, v3, v5
	v_cmp_lt_u32_e32 vcc, 3, v4
	s_nop 0
	v_mov_b32_dpp v5, v3 row_shr:4 row_mask:0xf bank_mask:0xf
	v_cndmask_b32_e32 v4, 0, v5, vcc
	v_add_u32_e32 v3, v3, v4
	ds_write_b32 v22, v3
.LBB2236_73:
	s_or_b64 exec, exec, s[16:17]
	v_cmp_gt_u32_e32 vcc, 64, v0
	v_cmp_lt_u32_e64 s[16:17], 63, v0
	s_waitcnt lgkmcnt(0)
	s_barrier
	s_waitcnt lgkmcnt(0)
                                        ; implicit-def: $vgpr12
	s_and_saveexec_b64 s[36:37], s[16:17]
	s_cbranch_execz .LBB2236_75
; %bb.74:
	v_lshl_add_u32 v3, v56, 2, -4
	ds_read_b32 v12, v3
	s_waitcnt lgkmcnt(0)
	v_add_u32_e32 v2, v12, v2
.LBB2236_75:
	s_or_b64 exec, exec, s[36:37]
	v_add_u32_e32 v3, -1, v55
	v_and_b32_e32 v4, 64, v55
	v_cmp_lt_i32_e64 s[16:17], v3, v4
	s_nop 1
	v_cndmask_b32_e64 v3, v3, v55, s[16:17]
	v_lshlrev_b32_e32 v3, 2, v3
	ds_bpermute_b32 v13, v3, v2
	v_cmp_eq_u32_e64 s[16:17], 0, v55
	s_and_saveexec_b64 s[36:37], vcc
	s_cbranch_execz .LBB2236_94
; %bb.76:
	v_mov_b32_e32 v9, 0
	ds_read_b32 v2, v9 offset:28
	s_and_saveexec_b64 s[38:39], s[16:17]
	s_cbranch_execz .LBB2236_78
; %bb.77:
	s_add_i32 s40, s2, 64
	s_mov_b32 s41, 0
	s_lshl_b64 s[40:41], s[40:41], 3
	s_add_u32 s40, s34, s40
	v_mov_b32_e32 v3, 1
	s_addc_u32 s41, s35, s41
	s_waitcnt lgkmcnt(0)
	global_store_dwordx2 v9, v[2:3], s[40:41] sc1
.LBB2236_78:
	s_or_b64 exec, exec, s[38:39]
	v_xad_u32 v4, v55, -1, s2
	v_add_u32_e32 v8, 64, v4
	v_lshl_add_u64 v[10:11], v[8:9], 3, s[34:35]
	global_load_dwordx2 v[6:7], v[10:11], off sc1
	s_waitcnt vmcnt(0)
	v_cmp_eq_u16_sdwa s[40:41], v7, v9 src0_sel:BYTE_0 src1_sel:DWORD
	s_and_saveexec_b64 s[38:39], s[40:41]
	s_cbranch_execz .LBB2236_82
; %bb.79:
	s_mov_b64 s[40:41], 0
	v_mov_b32_e32 v3, 0
.LBB2236_80:                            ; =>This Inner Loop Header: Depth=1
	global_load_dwordx2 v[6:7], v[10:11], off sc1
	s_waitcnt vmcnt(0)
	v_cmp_ne_u16_sdwa s[42:43], v7, v3 src0_sel:BYTE_0 src1_sel:DWORD
	s_or_b64 s[40:41], s[42:43], s[40:41]
	s_andn2_b64 exec, exec, s[40:41]
	s_cbranch_execnz .LBB2236_80
; %bb.81:
	s_or_b64 exec, exec, s[40:41]
.LBB2236_82:
	s_or_b64 exec, exec, s[38:39]
	v_and_b32_e32 v15, 63, v55
	v_mov_b32_e32 v14, 2
	v_cmp_ne_u32_e32 vcc, 63, v15
	v_cmp_eq_u16_sdwa s[38:39], v7, v14 src0_sel:BYTE_0 src1_sel:DWORD
	v_lshlrev_b64 v[8:9], v55, -1
	v_addc_co_u32_e32 v10, vcc, 0, v55, vcc
	v_and_b32_e32 v3, s39, v9
	v_lshlrev_b32_e32 v16, 2, v10
	v_or_b32_e32 v3, 0x80000000, v3
	ds_bpermute_b32 v10, v16, v6
	v_and_b32_e32 v5, s38, v8
	v_ffbl_b32_e32 v3, v3
	v_add_u32_e32 v3, 32, v3
	v_ffbl_b32_e32 v5, v5
	v_min_u32_e32 v3, v5, v3
	v_cmp_lt_u32_e32 vcc, v15, v3
	v_add_u32_e32 v38, 2, v15
	v_add_u32_e32 v40, 4, v15
	s_waitcnt lgkmcnt(0)
	v_cndmask_b32_e32 v5, 0, v10, vcc
	v_cmp_gt_u32_e32 vcc, 62, v15
	v_add_u32_e32 v5, v5, v6
	v_add_u32_e32 v59, 8, v15
	v_cndmask_b32_e64 v6, 0, 1, vcc
	v_lshlrev_b32_e32 v6, 1, v6
	v_add_lshl_u32 v17, v6, v55, 2
	ds_bpermute_b32 v6, v17, v5
	v_cmp_le_u32_e32 vcc, v38, v3
	v_add_u32_e32 v61, 16, v15
	v_add_u32_e32 v63, 32, v15
	s_waitcnt lgkmcnt(0)
	v_cndmask_b32_e32 v6, 0, v6, vcc
	v_cmp_gt_u32_e32 vcc, 60, v15
	v_add_u32_e32 v5, v5, v6
	s_nop 0
	v_cndmask_b32_e64 v6, 0, 1, vcc
	v_lshlrev_b32_e32 v6, 2, v6
	v_add_lshl_u32 v39, v6, v55, 2
	ds_bpermute_b32 v6, v39, v5
	v_cmp_le_u32_e32 vcc, v40, v3
	s_waitcnt lgkmcnt(0)
	s_nop 0
	v_cndmask_b32_e32 v6, 0, v6, vcc
	v_cmp_gt_u32_e32 vcc, 56, v15
	v_add_u32_e32 v5, v5, v6
	s_nop 0
	v_cndmask_b32_e64 v6, 0, 1, vcc
	v_lshlrev_b32_e32 v6, 3, v6
	v_add_lshl_u32 v58, v6, v55, 2
	ds_bpermute_b32 v6, v58, v5
	v_cmp_le_u32_e32 vcc, v59, v3
	s_waitcnt lgkmcnt(0)
	s_nop 0
	;; [unrolled: 11-line block ×4, first 2 shown]
	v_cndmask_b32_e32 v3, 0, v6, vcc
	v_add_u32_e32 v6, v5, v3
	v_mov_b32_e32 v5, 0
	s_branch .LBB2236_84
.LBB2236_83:                            ;   in Loop: Header=BB2236_84 Depth=1
	s_or_b64 exec, exec, s[38:39]
	v_cmp_eq_u16_sdwa s[38:39], v7, v14 src0_sel:BYTE_0 src1_sel:DWORD
	ds_bpermute_b32 v64, v16, v6
	v_subrev_u32_e32 v4, 64, v4
	v_and_b32_e32 v10, s39, v9
	v_or_b32_e32 v10, 0x80000000, v10
	v_and_b32_e32 v11, s38, v8
	v_ffbl_b32_e32 v10, v10
	v_add_u32_e32 v10, 32, v10
	v_ffbl_b32_e32 v11, v11
	v_min_u32_e32 v10, v11, v10
	v_cmp_lt_u32_e32 vcc, v15, v10
	s_waitcnt lgkmcnt(0)
	s_nop 0
	v_cndmask_b32_e32 v11, 0, v64, vcc
	v_add_u32_e32 v6, v11, v6
	ds_bpermute_b32 v11, v17, v6
	v_cmp_le_u32_e32 vcc, v38, v10
	s_waitcnt lgkmcnt(0)
	s_nop 0
	v_cndmask_b32_e32 v11, 0, v11, vcc
	v_add_u32_e32 v6, v6, v11
	ds_bpermute_b32 v11, v39, v6
	v_cmp_le_u32_e32 vcc, v40, v10
	;; [unrolled: 6-line block ×5, first 2 shown]
	s_waitcnt lgkmcnt(0)
	s_nop 0
	v_cndmask_b32_e32 v10, 0, v11, vcc
	v_add3_u32 v6, v10, v3, v6
.LBB2236_84:                            ; =>This Loop Header: Depth=1
                                        ;     Child Loop BB2236_87 Depth 2
	v_cmp_ne_u16_sdwa s[38:39], v7, v14 src0_sel:BYTE_0 src1_sel:DWORD
	s_nop 1
	v_cndmask_b32_e64 v3, 0, 1, s[38:39]
	;;#ASMSTART
	;;#ASMEND
	s_nop 0
	v_cmp_ne_u32_e32 vcc, 0, v3
	s_cmp_lg_u64 vcc, exec
	v_mov_b32_e32 v3, v6
	s_cbranch_scc1 .LBB2236_89
; %bb.85:                               ;   in Loop: Header=BB2236_84 Depth=1
	v_lshl_add_u64 v[10:11], v[4:5], 3, s[34:35]
	global_load_dwordx2 v[6:7], v[10:11], off sc1
	s_waitcnt vmcnt(0)
	v_cmp_eq_u16_sdwa s[40:41], v7, v5 src0_sel:BYTE_0 src1_sel:DWORD
	s_and_saveexec_b64 s[38:39], s[40:41]
	s_cbranch_execz .LBB2236_83
; %bb.86:                               ;   in Loop: Header=BB2236_84 Depth=1
	s_mov_b64 s[40:41], 0
.LBB2236_87:                            ;   Parent Loop BB2236_84 Depth=1
                                        ; =>  This Inner Loop Header: Depth=2
	global_load_dwordx2 v[6:7], v[10:11], off sc1
	s_waitcnt vmcnt(0)
	v_cmp_ne_u16_sdwa s[42:43], v7, v5 src0_sel:BYTE_0 src1_sel:DWORD
	s_or_b64 s[40:41], s[42:43], s[40:41]
	s_andn2_b64 exec, exec, s[40:41]
	s_cbranch_execnz .LBB2236_87
; %bb.88:                               ;   in Loop: Header=BB2236_84 Depth=1
	s_or_b64 exec, exec, s[40:41]
	s_branch .LBB2236_83
.LBB2236_89:                            ;   in Loop: Header=BB2236_84 Depth=1
                                        ; implicit-def: $vgpr6
                                        ; implicit-def: $vgpr7
	s_cbranch_execz .LBB2236_84
; %bb.90:
	s_and_saveexec_b64 s[38:39], s[16:17]
	s_cbranch_execz .LBB2236_92
; %bb.91:
	s_add_i32 s2, s2, 64
	s_mov_b32 s3, 0
	s_lshl_b64 s[2:3], s[2:3], 3
	s_add_u32 s2, s34, s2
	v_add_u32_e32 v4, v3, v2
	v_mov_b32_e32 v5, 2
	s_addc_u32 s3, s35, s3
	v_mov_b32_e32 v6, 0
	global_store_dwordx2 v6, v[4:5], s[2:3] sc1
	ds_write_b64 v6, v[2:3] offset:30720
.LBB2236_92:
	s_or_b64 exec, exec, s[38:39]
	v_cmp_eq_u32_e32 vcc, 0, v0
	s_and_b64 exec, exec, vcc
	s_cbranch_execz .LBB2236_94
; %bb.93:
	v_mov_b32_e32 v2, 0
	ds_write_b32 v2, v3 offset:28
.LBB2236_94:
	s_or_b64 exec, exec, s[36:37]
	v_mov_b32_e32 v14, 0
	s_waitcnt lgkmcnt(0)
	s_barrier
	ds_read_b32 v2, v14 offset:28
	v_cndmask_b32_e64 v3, v13, v12, s[16:17]
	v_cmp_ne_u32_e32 vcc, 0, v0
	s_waitcnt lgkmcnt(0)
	s_barrier
	v_cndmask_b32_e32 v3, 0, v3, vcc
	v_add_u32_e32 v2, v2, v3
	v_add_u32_e32 v3, v2, v52
	;; [unrolled: 1-line block ×10, first 2 shown]
	ds_read_b64 v[38:39], v14 offset:30720
	v_add_u32_e32 v12, v11, v47
	v_add_u32_e32 v13, v12, v48
	;; [unrolled: 1-line block ×5, first 2 shown]
	s_waitcnt lgkmcnt(0)
	v_mov_b32_e32 v40, v39
	s_branch .LBB2236_105
.LBB2236_95:
                                        ; implicit-def: $vgpr40
                                        ; implicit-def: $vgpr38
                                        ; implicit-def: $vgpr2_vgpr3_vgpr4_vgpr5_vgpr6_vgpr7_vgpr8_vgpr9_vgpr10_vgpr11_vgpr12_vgpr13_vgpr14_vgpr15_vgpr16_vgpr17
	s_cbranch_execz .LBB2236_105
; %bb.96:
	s_nop 0
	v_mov_b32_dpp v2, v57 row_shr:1 row_mask:0xf bank_mask:0xf
	v_cndmask_b32_e64 v2, v2, 0, s[14:15]
	v_add_u32_e32 v2, v2, v57
	s_nop 1
	v_mov_b32_dpp v3, v2 row_shr:2 row_mask:0xf bank_mask:0xf
	v_cndmask_b32_e64 v3, 0, v3, s[12:13]
	v_add_u32_e32 v2, v2, v3
	;; [unrolled: 4-line block ×4, first 2 shown]
	s_nop 1
	v_mov_b32_dpp v3, v2 row_bcast:15 row_mask:0xf bank_mask:0xf
	v_cndmask_b32_e64 v3, v3, 0, s[6:7]
	v_add_u32_e32 v2, v2, v3
	s_nop 1
	v_mov_b32_dpp v3, v2 row_bcast:31 row_mask:0xf bank_mask:0xf
	v_cndmask_b32_e64 v3, 0, v3, s[18:19]
	v_add_u32_e32 v2, v2, v3
	s_and_saveexec_b64 s[2:3], s[4:5]
	s_cbranch_execz .LBB2236_98
; %bb.97:
	v_lshlrev_b32_e32 v3, 2, v56
	ds_write_b32 v3, v2
.LBB2236_98:
	s_or_b64 exec, exec, s[2:3]
	v_cmp_gt_u32_e32 vcc, 8, v0
	s_waitcnt lgkmcnt(0)
	s_barrier
	s_and_saveexec_b64 s[2:3], vcc
	s_cbranch_execz .LBB2236_100
; %bb.99:
	v_mad_i32_i24 v3, v0, -11, v21
	ds_read_b32 v4, v3
	v_and_b32_e32 v5, 7, v55
	v_cmp_ne_u32_e32 vcc, 0, v5
	s_waitcnt lgkmcnt(0)
	v_mov_b32_dpp v6, v4 row_shr:1 row_mask:0xf bank_mask:0xf
	v_cndmask_b32_e32 v6, 0, v6, vcc
	v_add_u32_e32 v4, v6, v4
	v_cmp_lt_u32_e32 vcc, 1, v5
	s_nop 0
	v_mov_b32_dpp v6, v4 row_shr:2 row_mask:0xf bank_mask:0xf
	v_cndmask_b32_e32 v6, 0, v6, vcc
	v_add_u32_e32 v4, v4, v6
	v_cmp_lt_u32_e32 vcc, 3, v5
	s_nop 0
	v_mov_b32_dpp v6, v4 row_shr:4 row_mask:0xf bank_mask:0xf
	v_cndmask_b32_e32 v5, 0, v6, vcc
	v_add_u32_e32 v4, v4, v5
	ds_write_b32 v3, v4
.LBB2236_100:
	s_or_b64 exec, exec, s[2:3]
	v_cmp_lt_u32_e32 vcc, 63, v0
	v_mov_b32_e32 v4, 0
	v_mov_b32_e32 v3, 0
	s_waitcnt lgkmcnt(0)
	s_barrier
	s_and_saveexec_b64 s[2:3], vcc
	s_cbranch_execz .LBB2236_102
; %bb.101:
	v_lshl_add_u32 v3, v56, 2, -4
	ds_read_b32 v3, v3
.LBB2236_102:
	s_or_b64 exec, exec, s[2:3]
	v_add_u32_e32 v5, -1, v55
	v_and_b32_e32 v6, 64, v55
	v_cmp_lt_i32_e32 vcc, v5, v6
	s_waitcnt lgkmcnt(0)
	v_add_u32_e32 v2, v3, v2
	ds_read_b32 v38, v4 offset:28
	v_cndmask_b32_e32 v5, v5, v55, vcc
	v_lshlrev_b32_e32 v5, 2, v5
	ds_bpermute_b32 v2, v5, v2
	v_cmp_eq_u32_e32 vcc, 0, v0
	s_and_saveexec_b64 s[2:3], vcc
	s_cbranch_execz .LBB2236_104
; %bb.103:
	v_mov_b32_e32 v4, 0
	v_mov_b32_e32 v39, 2
	s_waitcnt lgkmcnt(1)
	global_store_dwordx2 v4, v[38:39], s[34:35] offset:512 sc1
.LBB2236_104:
	s_or_b64 exec, exec, s[2:3]
	v_cmp_eq_u32_e64 s[2:3], 0, v55
	v_mov_b32_e32 v40, 0
	s_waitcnt lgkmcnt(0)
	v_cndmask_b32_e64 v2, v2, v3, s[2:3]
	v_cndmask_b32_e64 v2, v2, 0, vcc
	v_add_u32_e32 v3, v2, v52
	v_add_u32_e32 v4, v3, v53
	;; [unrolled: 1-line block ×14, first 2 shown]
	s_barrier
.LBB2236_105:
	v_add_u32_e32 v21, v38, v21
	v_sub_u32_e32 v2, v2, v40
	v_and_b32_e32 v48, 1, v18
	v_sub_u32_e32 v47, v21, v2
	v_cmp_eq_u32_e32 vcc, 1, v48
	v_lshrrev_b32_e32 v46, 8, v18
	v_lshrrev_b32_e32 v39, 8, v19
	v_cndmask_b32_e32 v2, v47, v2, vcc
	v_lshlrev_b32_e32 v2, 2, v2
	ds_write_b32 v2, v36
	v_sub_u32_e32 v2, v3, v40
	v_sub_u32_e32 v3, v21, v2
	v_and_b32_e32 v36, 1, v46
	v_add_u32_e32 v3, 1, v3
	v_cmp_eq_u32_e32 vcc, 1, v36
	v_lshrrev_b32_e32 v17, 8, v20
	s_load_dwordx4 s[0:3], s[0:1], 0x30
	v_cndmask_b32_e32 v2, v3, v2, vcc
	v_lshlrev_b32_e32 v2, 2, v2
	ds_write_b32 v2, v37
	v_sub_u32_e32 v2, v4, v40
	v_mov_b32_e32 v4, 1
	v_sub_u32_e32 v3, v21, v2
	v_and_b32_sdwa v18, v4, v18 dst_sel:DWORD dst_unused:UNUSED_PAD src0_sel:DWORD src1_sel:WORD_1
	v_add_u32_e32 v3, 2, v3
	v_cmp_eq_u32_e32 vcc, 1, v18
	v_or_b32_e32 v37, 0x200, v0
	v_or_b32_e32 v36, 0x400, v0
	v_cndmask_b32_e32 v2, v3, v2, vcc
	v_lshlrev_b32_e32 v2, 2, v2
	ds_write_b32 v2, v34
	v_sub_u32_e32 v2, v5, v40
	v_sub_u32_e32 v3, v21, v2
	v_and_b32_e32 v5, 1, v45
	v_add_u32_e32 v3, 3, v3
	v_cmp_eq_u32_e32 vcc, 1, v5
	v_and_b32_e32 v5, 1, v19
	v_or_b32_e32 v34, 0x800, v0
	v_cndmask_b32_e32 v2, v3, v2, vcc
	v_lshlrev_b32_e32 v2, 2, v2
	ds_write_b32 v2, v35
	v_sub_u32_e32 v2, v6, v40
	v_sub_u32_e32 v3, v21, v2
	v_add_u32_e32 v3, 4, v3
	v_cmp_eq_u32_e32 vcc, 1, v5
	v_and_b32_e32 v5, 1, v39
	v_or_b32_e32 v35, 0x600, v0
	v_cndmask_b32_e32 v2, v3, v2, vcc
	v_lshlrev_b32_e32 v2, 2, v2
	ds_write_b32 v2, v32
	v_sub_u32_e32 v2, v7, v40
	v_sub_u32_e32 v3, v21, v2
	v_add_u32_e32 v3, 5, v3
	v_cmp_eq_u32_e32 vcc, 1, v5
	v_and_b32_sdwa v5, v4, v19 dst_sel:DWORD dst_unused:UNUSED_PAD src0_sel:DWORD src1_sel:WORD_1
	v_and_b32_sdwa v4, v4, v20 dst_sel:DWORD dst_unused:UNUSED_PAD src0_sel:DWORD src1_sel:WORD_1
	v_cndmask_b32_e32 v2, v3, v2, vcc
	v_lshlrev_b32_e32 v2, 2, v2
	ds_write_b32 v2, v33
	v_sub_u32_e32 v2, v8, v40
	v_sub_u32_e32 v3, v21, v2
	v_add_u32_e32 v3, 6, v3
	v_cmp_eq_u32_e32 vcc, 1, v5
	v_and_b32_e32 v5, 1, v44
	v_mov_b32_e32 v7, s27
	v_cndmask_b32_e32 v2, v3, v2, vcc
	v_lshlrev_b32_e32 v2, 2, v2
	ds_write_b32 v2, v30
	v_sub_u32_e32 v2, v9, v40
	v_sub_u32_e32 v3, v21, v2
	v_add_u32_e32 v3, 7, v3
	v_cmp_eq_u32_e32 vcc, 1, v5
	v_and_b32_e32 v5, 1, v20
	v_or_b32_e32 v33, 0xa00, v0
	v_cndmask_b32_e32 v2, v3, v2, vcc
	v_lshlrev_b32_e32 v2, 2, v2
	ds_write_b32 v2, v31
	v_sub_u32_e32 v2, v10, v40
	v_sub_u32_e32 v3, v21, v2
	v_add_u32_e32 v3, 8, v3
	v_cmp_eq_u32_e32 vcc, 1, v5
	v_and_b32_e32 v5, 1, v17
	v_or_b32_e32 v32, 0xc00, v0
	v_cndmask_b32_e32 v2, v3, v2, vcc
	v_lshlrev_b32_e32 v2, 2, v2
	ds_write_b32 v2, v28
	v_sub_u32_e32 v2, v11, v40
	v_sub_u32_e32 v3, v21, v2
	v_add_u32_e32 v3, 9, v3
	v_cmp_eq_u32_e32 vcc, 1, v5
	v_or_b32_e32 v31, 0xe00, v0
	v_or_b32_e32 v30, 0x1000, v0
	v_cndmask_b32_e32 v2, v3, v2, vcc
	v_lshlrev_b32_e32 v2, 2, v2
	ds_write_b32 v2, v29
	v_sub_u32_e32 v2, v12, v40
	v_sub_u32_e32 v3, v21, v2
	v_add_u32_e32 v3, 10, v3
	v_cmp_eq_u32_e32 vcc, 1, v4
	v_and_b32_e32 v4, 1, v42
	v_or_b32_e32 v29, 0x1200, v0
	v_cndmask_b32_e32 v2, v3, v2, vcc
	v_lshlrev_b32_e32 v2, 2, v2
	ds_write_b32 v2, v26
	v_sub_u32_e32 v2, v13, v40
	v_sub_u32_e32 v3, v21, v2
	v_add_u32_e32 v3, 11, v3
	v_cmp_eq_u32_e32 vcc, 1, v4
	v_or_b32_e32 v28, 0x1400, v0
	v_or_b32_e32 v26, 0x1800, v0
	v_cndmask_b32_e32 v2, v3, v2, vcc
	v_lshlrev_b32_e32 v2, 2, v2
	ds_write_b32 v2, v27
	v_sub_u32_e32 v2, v14, v40
	v_sub_u32_e32 v3, v21, v2
	v_add_u32_e32 v3, 12, v3
	v_cmp_eq_u32_e32 vcc, 1, v43
	v_or_b32_e32 v27, 0x1600, v0
	s_nop 0
	v_cndmask_b32_e32 v2, v3, v2, vcc
	v_lshlrev_b32_e32 v2, 2, v2
	ds_write_b32 v2, v24
	v_sub_u32_e32 v2, v15, v40
	v_sub_u32_e32 v3, v21, v2
	v_add_u32_e32 v3, 13, v3
	v_cmp_eq_u32_e32 vcc, 1, v41
	v_mov_b32_e32 v41, 0
	v_lshl_add_u64 v[8:9], s[28:29], 0, v[40:41]
	v_cndmask_b32_e32 v2, v3, v2, vcc
	v_lshlrev_b32_e32 v2, 2, v2
	ds_write_b32 v2, v25
	v_sub_u32_e32 v2, v16, v40
	v_sub_u32_e32 v3, v21, v2
	v_add_u32_e32 v3, 14, v3
	v_cmp_eq_u32_e32 vcc, 1, v23
	v_mov_b32_e32 v39, v41
	v_or_b32_e32 v25, 0x1a00, v0
	v_cndmask_b32_e32 v2, v3, v2, vcc
	v_lshlrev_b32_e32 v2, 2, v2
	ds_write_b32 v2, v1
	v_lshl_add_u64 v[2:3], v[8:9], 0, v[38:39]
	s_waitcnt lgkmcnt(0)
	s_barrier
	ds_read2st64_b32 v[20:21], v22 offset1:8
	ds_read2st64_b32 v[18:19], v22 offset0:16 offset1:24
	ds_read2st64_b32 v[16:17], v22 offset0:32 offset1:40
	;; [unrolled: 1-line block ×6, first 2 shown]
	ds_read_b32 v1, v22 offset:28672
	v_sub_co_u32_e32 v6, vcc, s26, v2
	v_lshlrev_b64 v[8:9], 2, v[8:9]
	s_nop 0
	v_subb_co_u32_e32 v7, vcc, v7, v3, vcc
	v_lshlrev_b64 v[6:7], 2, v[6:7]
	v_lshl_add_u64 v[6:7], s[2:3], 0, v[6:7]
	v_or_b32_e32 v24, 0x1c00, v0
	v_lshl_add_u64 v[6:7], v[6:7], 0, s[30:31]
	s_andn2_b64 vcc, exec, s[24:25]
	v_lshl_add_u64 v[8:9], s[0:1], 0, v[8:9]
	s_cbranch_vccnz .LBB2236_107
; %bb.106:
	v_cmp_gt_u32_e32 vcc, v38, v0
	v_mov_b32_e32 v23, v41
	v_lshlrev_b32_e32 v40, 2, v36
	v_cndmask_b32_e32 v43, v7, v9, vcc
	v_cndmask_b32_e32 v42, v6, v8, vcc
	v_lshl_add_u64 v[42:43], v[42:43], 0, v[22:23]
	v_cmp_lt_u32_e32 vcc, v37, v38
	s_waitcnt lgkmcnt(7)
	global_store_dword v[42:43], v20, off
	v_cndmask_b32_e32 v43, v7, v9, vcc
	v_cndmask_b32_e32 v42, v6, v8, vcc
	v_lshl_add_u64 v[42:43], v[42:43], 0, v[22:23]
	v_cmp_lt_u32_e32 vcc, v36, v38
	global_store_dword v[42:43], v21, off offset:2048
	s_mov_b64 s[0:1], -1
	v_cndmask_b32_e32 v43, v7, v9, vcc
	v_cndmask_b32_e32 v42, v6, v8, vcc
	v_lshl_add_u64 v[42:43], v[42:43], 0, v[40:41]
	v_cmp_lt_u32_e32 vcc, v35, v38
	s_waitcnt lgkmcnt(6)
	global_store_dword v[42:43], v18, off
	v_lshlrev_b32_e32 v40, 2, v35
	v_cndmask_b32_e32 v43, v7, v9, vcc
	v_cndmask_b32_e32 v42, v6, v8, vcc
	v_lshl_add_u64 v[42:43], v[42:43], 0, v[40:41]
	v_cmp_lt_u32_e32 vcc, v34, v38
	global_store_dword v[42:43], v19, off
	v_lshlrev_b32_e32 v40, 2, v34
	v_cndmask_b32_e32 v43, v7, v9, vcc
	v_cndmask_b32_e32 v42, v6, v8, vcc
	v_lshl_add_u64 v[42:43], v[42:43], 0, v[40:41]
	v_cmp_lt_u32_e32 vcc, v33, v38
	s_waitcnt lgkmcnt(5)
	global_store_dword v[42:43], v16, off
	v_lshlrev_b32_e32 v40, 2, v33
	v_cndmask_b32_e32 v43, v7, v9, vcc
	v_cndmask_b32_e32 v42, v6, v8, vcc
	v_lshl_add_u64 v[42:43], v[42:43], 0, v[40:41]
	v_cmp_lt_u32_e32 vcc, v32, v38
	global_store_dword v[42:43], v17, off
	v_lshlrev_b32_e32 v40, 2, v32
	;; [unrolled: 13-line block ×5, first 2 shown]
	v_cndmask_b32_e32 v43, v7, v9, vcc
	v_cndmask_b32_e32 v42, v6, v8, vcc
	v_lshl_add_u64 v[42:43], v[42:43], 0, v[40:41]
	v_cmp_lt_u32_e32 vcc, v25, v38
	s_waitcnt lgkmcnt(1)
	global_store_dword v[42:43], v4, off
	v_lshlrev_b32_e32 v40, 2, v25
	v_cndmask_b32_e32 v43, v7, v9, vcc
	v_cndmask_b32_e32 v42, v6, v8, vcc
	v_lshl_add_u64 v[40:41], v[42:43], 0, v[40:41]
	global_store_dword v[40:41], v5, off
	s_cbranch_execz .LBB2236_108
	s_branch .LBB2236_124
.LBB2236_107:
	s_mov_b64 s[0:1], 0
.LBB2236_108:
	v_cmp_gt_u32_e32 vcc, s33, v0
	s_and_saveexec_b64 s[0:1], vcc
	s_cbranch_execnz .LBB2236_129
; %bb.109:
	s_or_b64 exec, exec, s[0:1]
	v_cmp_gt_u32_e32 vcc, s33, v37
	s_and_saveexec_b64 s[0:1], vcc
	s_cbranch_execnz .LBB2236_130
.LBB2236_110:
	s_or_b64 exec, exec, s[0:1]
	v_cmp_gt_u32_e32 vcc, s33, v36
	s_and_saveexec_b64 s[0:1], vcc
	s_cbranch_execnz .LBB2236_131
.LBB2236_111:
	s_or_b64 exec, exec, s[0:1]
	v_cmp_gt_u32_e32 vcc, s33, v35
	s_and_saveexec_b64 s[0:1], vcc
	s_cbranch_execnz .LBB2236_132
.LBB2236_112:
	s_or_b64 exec, exec, s[0:1]
	v_cmp_gt_u32_e32 vcc, s33, v34
	s_and_saveexec_b64 s[0:1], vcc
	s_cbranch_execnz .LBB2236_133
.LBB2236_113:
	s_or_b64 exec, exec, s[0:1]
	v_cmp_gt_u32_e32 vcc, s33, v33
	s_and_saveexec_b64 s[0:1], vcc
	s_cbranch_execnz .LBB2236_134
.LBB2236_114:
	s_or_b64 exec, exec, s[0:1]
	v_cmp_gt_u32_e32 vcc, s33, v32
	s_and_saveexec_b64 s[0:1], vcc
	s_cbranch_execnz .LBB2236_135
.LBB2236_115:
	s_or_b64 exec, exec, s[0:1]
	v_cmp_gt_u32_e32 vcc, s33, v31
	s_and_saveexec_b64 s[0:1], vcc
	s_cbranch_execnz .LBB2236_136
.LBB2236_116:
	s_or_b64 exec, exec, s[0:1]
	v_cmp_gt_u32_e32 vcc, s33, v30
	s_and_saveexec_b64 s[0:1], vcc
	s_cbranch_execnz .LBB2236_137
.LBB2236_117:
	s_or_b64 exec, exec, s[0:1]
	v_cmp_gt_u32_e32 vcc, s33, v29
	s_and_saveexec_b64 s[0:1], vcc
	s_cbranch_execnz .LBB2236_138
.LBB2236_118:
	s_or_b64 exec, exec, s[0:1]
	v_cmp_gt_u32_e32 vcc, s33, v28
	s_and_saveexec_b64 s[0:1], vcc
	s_cbranch_execnz .LBB2236_139
.LBB2236_119:
	s_or_b64 exec, exec, s[0:1]
	v_cmp_gt_u32_e32 vcc, s33, v27
	s_and_saveexec_b64 s[0:1], vcc
	s_cbranch_execnz .LBB2236_140
.LBB2236_120:
	s_or_b64 exec, exec, s[0:1]
	v_cmp_gt_u32_e32 vcc, s33, v26
	s_and_saveexec_b64 s[0:1], vcc
	s_cbranch_execnz .LBB2236_141
.LBB2236_121:
	s_or_b64 exec, exec, s[0:1]
	v_cmp_gt_u32_e32 vcc, s33, v25
	s_and_saveexec_b64 s[0:1], vcc
	s_cbranch_execz .LBB2236_123
.LBB2236_122:
	v_cmp_lt_u32_e32 vcc, v25, v38
	s_waitcnt lgkmcnt(3)
	v_lshlrev_b32_e32 v12, 2, v25
	v_mov_b32_e32 v13, 0
	s_waitcnt lgkmcnt(2)
	v_cndmask_b32_e32 v11, v7, v9, vcc
	v_cndmask_b32_e32 v10, v6, v8, vcc
	v_lshl_add_u64 v[10:11], v[10:11], 0, v[12:13]
	s_waitcnt lgkmcnt(1)
	global_store_dword v[10:11], v5, off
.LBB2236_123:
	s_or_b64 exec, exec, s[0:1]
	v_cmp_gt_u32_e64 s[0:1], s33, v24
.LBB2236_124:
	s_and_saveexec_b64 s[2:3], s[0:1]
	s_cbranch_execz .LBB2236_126
; %bb.125:
	v_cmp_lt_u32_e32 vcc, v24, v38
	s_waitcnt lgkmcnt(1)
	s_nop 0
	v_cndmask_b32_e32 v5, v7, v9, vcc
	v_cndmask_b32_e32 v4, v6, v8, vcc
	v_lshlrev_b32_e32 v6, 2, v24
	v_mov_b32_e32 v7, 0
	v_lshl_add_u64 v[4:5], v[4:5], 0, v[6:7]
	s_waitcnt lgkmcnt(0)
	global_store_dword v[4:5], v1, off
.LBB2236_126:
	s_or_b64 exec, exec, s[2:3]
	v_cmp_eq_u32_e32 vcc, 0, v0
	s_and_b64 s[0:1], vcc, s[22:23]
	s_and_saveexec_b64 s[2:3], s[0:1]
	s_cbranch_execz .LBB2236_128
; %bb.127:
	v_mov_b32_e32 v0, 0
	global_store_dwordx2 v0, v[2:3], s[20:21]
.LBB2236_128:
	s_endpgm
.LBB2236_129:
	v_cmp_gt_u32_e32 vcc, v38, v0
	v_mov_b32_e32 v23, 0
	s_nop 0
	v_cndmask_b32_e32 v41, v7, v9, vcc
	v_cndmask_b32_e32 v40, v6, v8, vcc
	v_lshl_add_u64 v[40:41], v[40:41], 0, v[22:23]
	s_waitcnt lgkmcnt(7)
	global_store_dword v[40:41], v20, off
	s_or_b64 exec, exec, s[0:1]
	v_cmp_gt_u32_e32 vcc, s33, v37
	s_and_saveexec_b64 s[0:1], vcc
	s_cbranch_execz .LBB2236_110
.LBB2236_130:
	v_cmp_lt_u32_e32 vcc, v37, v38
	v_mov_b32_e32 v23, 0
	s_nop 0
	v_cndmask_b32_e32 v41, v7, v9, vcc
	v_cndmask_b32_e32 v40, v6, v8, vcc
	v_lshl_add_u64 v[22:23], v[40:41], 0, v[22:23]
	s_waitcnt lgkmcnt(7)
	global_store_dword v[22:23], v21, off offset:2048
	s_or_b64 exec, exec, s[0:1]
	v_cmp_gt_u32_e32 vcc, s33, v36
	s_and_saveexec_b64 s[0:1], vcc
	s_cbranch_execz .LBB2236_111
.LBB2236_131:
	v_cmp_lt_u32_e32 vcc, v36, v38
	v_lshlrev_b32_e32 v22, 2, v36
	v_mov_b32_e32 v23, 0
	s_waitcnt lgkmcnt(7)
	v_cndmask_b32_e32 v21, v7, v9, vcc
	v_cndmask_b32_e32 v20, v6, v8, vcc
	v_lshl_add_u64 v[20:21], v[20:21], 0, v[22:23]
	s_waitcnt lgkmcnt(6)
	global_store_dword v[20:21], v18, off
	s_or_b64 exec, exec, s[0:1]
	v_cmp_gt_u32_e32 vcc, s33, v35
	s_and_saveexec_b64 s[0:1], vcc
	s_cbranch_execz .LBB2236_112
.LBB2236_132:
	v_cmp_lt_u32_e32 vcc, v35, v38
	v_lshlrev_b32_e32 v22, 2, v35
	v_mov_b32_e32 v23, 0
	s_waitcnt lgkmcnt(7)
	v_cndmask_b32_e32 v21, v7, v9, vcc
	v_cndmask_b32_e32 v20, v6, v8, vcc
	v_lshl_add_u64 v[20:21], v[20:21], 0, v[22:23]
	s_waitcnt lgkmcnt(6)
	global_store_dword v[20:21], v19, off
	s_or_b64 exec, exec, s[0:1]
	v_cmp_gt_u32_e32 vcc, s33, v34
	s_and_saveexec_b64 s[0:1], vcc
	s_cbranch_execz .LBB2236_113
.LBB2236_133:
	v_cmp_lt_u32_e32 vcc, v34, v38
	s_waitcnt lgkmcnt(7)
	v_lshlrev_b32_e32 v20, 2, v34
	v_mov_b32_e32 v21, 0
	s_waitcnt lgkmcnt(6)
	v_cndmask_b32_e32 v19, v7, v9, vcc
	v_cndmask_b32_e32 v18, v6, v8, vcc
	v_lshl_add_u64 v[18:19], v[18:19], 0, v[20:21]
	s_waitcnt lgkmcnt(5)
	global_store_dword v[18:19], v16, off
	s_or_b64 exec, exec, s[0:1]
	v_cmp_gt_u32_e32 vcc, s33, v33
	s_and_saveexec_b64 s[0:1], vcc
	s_cbranch_execz .LBB2236_114
.LBB2236_134:
	v_cmp_lt_u32_e32 vcc, v33, v38
	s_waitcnt lgkmcnt(7)
	v_lshlrev_b32_e32 v20, 2, v33
	v_mov_b32_e32 v21, 0
	s_waitcnt lgkmcnt(6)
	v_cndmask_b32_e32 v19, v7, v9, vcc
	v_cndmask_b32_e32 v18, v6, v8, vcc
	v_lshl_add_u64 v[18:19], v[18:19], 0, v[20:21]
	s_waitcnt lgkmcnt(5)
	global_store_dword v[18:19], v17, off
	s_or_b64 exec, exec, s[0:1]
	v_cmp_gt_u32_e32 vcc, s33, v32
	s_and_saveexec_b64 s[0:1], vcc
	s_cbranch_execz .LBB2236_115
.LBB2236_135:
	v_cmp_lt_u32_e32 vcc, v32, v38
	s_waitcnt lgkmcnt(6)
	v_lshlrev_b32_e32 v18, 2, v32
	v_mov_b32_e32 v19, 0
	s_waitcnt lgkmcnt(5)
	v_cndmask_b32_e32 v17, v7, v9, vcc
	v_cndmask_b32_e32 v16, v6, v8, vcc
	v_lshl_add_u64 v[16:17], v[16:17], 0, v[18:19]
	s_waitcnt lgkmcnt(4)
	global_store_dword v[16:17], v14, off
	s_or_b64 exec, exec, s[0:1]
	v_cmp_gt_u32_e32 vcc, s33, v31
	s_and_saveexec_b64 s[0:1], vcc
	s_cbranch_execz .LBB2236_116
.LBB2236_136:
	v_cmp_lt_u32_e32 vcc, v31, v38
	s_waitcnt lgkmcnt(6)
	v_lshlrev_b32_e32 v18, 2, v31
	v_mov_b32_e32 v19, 0
	s_waitcnt lgkmcnt(5)
	v_cndmask_b32_e32 v17, v7, v9, vcc
	v_cndmask_b32_e32 v16, v6, v8, vcc
	v_lshl_add_u64 v[16:17], v[16:17], 0, v[18:19]
	s_waitcnt lgkmcnt(4)
	global_store_dword v[16:17], v15, off
	s_or_b64 exec, exec, s[0:1]
	v_cmp_gt_u32_e32 vcc, s33, v30
	s_and_saveexec_b64 s[0:1], vcc
	s_cbranch_execz .LBB2236_117
.LBB2236_137:
	v_cmp_lt_u32_e32 vcc, v30, v38
	s_waitcnt lgkmcnt(5)
	v_lshlrev_b32_e32 v16, 2, v30
	v_mov_b32_e32 v17, 0
	s_waitcnt lgkmcnt(4)
	v_cndmask_b32_e32 v15, v7, v9, vcc
	v_cndmask_b32_e32 v14, v6, v8, vcc
	v_lshl_add_u64 v[14:15], v[14:15], 0, v[16:17]
	s_waitcnt lgkmcnt(3)
	global_store_dword v[14:15], v12, off
	s_or_b64 exec, exec, s[0:1]
	v_cmp_gt_u32_e32 vcc, s33, v29
	s_and_saveexec_b64 s[0:1], vcc
	s_cbranch_execz .LBB2236_118
.LBB2236_138:
	v_cmp_lt_u32_e32 vcc, v29, v38
	s_waitcnt lgkmcnt(5)
	v_lshlrev_b32_e32 v16, 2, v29
	v_mov_b32_e32 v17, 0
	s_waitcnt lgkmcnt(4)
	v_cndmask_b32_e32 v15, v7, v9, vcc
	v_cndmask_b32_e32 v14, v6, v8, vcc
	v_lshl_add_u64 v[14:15], v[14:15], 0, v[16:17]
	s_waitcnt lgkmcnt(3)
	global_store_dword v[14:15], v13, off
	s_or_b64 exec, exec, s[0:1]
	v_cmp_gt_u32_e32 vcc, s33, v28
	s_and_saveexec_b64 s[0:1], vcc
	s_cbranch_execz .LBB2236_119
.LBB2236_139:
	v_cmp_lt_u32_e32 vcc, v28, v38
	s_waitcnt lgkmcnt(4)
	v_lshlrev_b32_e32 v14, 2, v28
	v_mov_b32_e32 v15, 0
	s_waitcnt lgkmcnt(3)
	v_cndmask_b32_e32 v13, v7, v9, vcc
	v_cndmask_b32_e32 v12, v6, v8, vcc
	v_lshl_add_u64 v[12:13], v[12:13], 0, v[14:15]
	s_waitcnt lgkmcnt(2)
	global_store_dword v[12:13], v10, off
	s_or_b64 exec, exec, s[0:1]
	v_cmp_gt_u32_e32 vcc, s33, v27
	s_and_saveexec_b64 s[0:1], vcc
	s_cbranch_execz .LBB2236_120
.LBB2236_140:
	v_cmp_lt_u32_e32 vcc, v27, v38
	s_waitcnt lgkmcnt(4)
	v_lshlrev_b32_e32 v14, 2, v27
	v_mov_b32_e32 v15, 0
	s_waitcnt lgkmcnt(3)
	v_cndmask_b32_e32 v13, v7, v9, vcc
	v_cndmask_b32_e32 v12, v6, v8, vcc
	v_lshl_add_u64 v[12:13], v[12:13], 0, v[14:15]
	s_waitcnt lgkmcnt(2)
	global_store_dword v[12:13], v11, off
	s_or_b64 exec, exec, s[0:1]
	v_cmp_gt_u32_e32 vcc, s33, v26
	s_and_saveexec_b64 s[0:1], vcc
	s_cbranch_execz .LBB2236_121
.LBB2236_141:
	v_cmp_lt_u32_e32 vcc, v26, v38
	s_waitcnt lgkmcnt(3)
	v_lshlrev_b32_e32 v12, 2, v26
	v_mov_b32_e32 v13, 0
	s_waitcnt lgkmcnt(2)
	v_cndmask_b32_e32 v11, v7, v9, vcc
	v_cndmask_b32_e32 v10, v6, v8, vcc
	v_lshl_add_u64 v[10:11], v[10:11], 0, v[12:13]
	s_waitcnt lgkmcnt(1)
	global_store_dword v[10:11], v4, off
	s_or_b64 exec, exec, s[0:1]
	v_cmp_gt_u32_e32 vcc, s33, v25
	s_and_saveexec_b64 s[0:1], vcc
	s_cbranch_execnz .LBB2236_122
	s_branch .LBB2236_123
	.section	.rodata,"a",@progbits
	.p2align	6, 0x0
	.amdhsa_kernel _ZN7rocprim17ROCPRIM_400000_NS6detail17trampoline_kernelINS0_14default_configENS1_25partition_config_selectorILNS1_17partition_subalgoE1EjNS0_10empty_typeEbEEZZNS1_14partition_implILS5_1ELb0ES3_jN6thrust23THRUST_200600_302600_NS6detail15normal_iteratorINSA_10device_ptrIjEEEEPS6_NSA_18transform_iteratorI7is_evenIjESF_NSA_11use_defaultESK_EENS0_5tupleIJSF_SF_EEENSM_IJSG_SG_EEES6_PlJS6_EEE10hipError_tPvRmT3_T4_T5_T6_T7_T9_mT8_P12ihipStream_tbDpT10_ENKUlT_T0_E_clISt17integral_constantIbLb0EES19_EEDaS14_S15_EUlS14_E_NS1_11comp_targetILNS1_3genE5ELNS1_11target_archE942ELNS1_3gpuE9ELNS1_3repE0EEENS1_30default_config_static_selectorELNS0_4arch9wavefront6targetE1EEEvT1_
		.amdhsa_group_segment_fixed_size 30728
		.amdhsa_private_segment_fixed_size 0
		.amdhsa_kernarg_size 128
		.amdhsa_user_sgpr_count 2
		.amdhsa_user_sgpr_dispatch_ptr 0
		.amdhsa_user_sgpr_queue_ptr 0
		.amdhsa_user_sgpr_kernarg_segment_ptr 1
		.amdhsa_user_sgpr_dispatch_id 0
		.amdhsa_user_sgpr_kernarg_preload_length 0
		.amdhsa_user_sgpr_kernarg_preload_offset 0
		.amdhsa_user_sgpr_private_segment_size 0
		.amdhsa_uses_dynamic_stack 0
		.amdhsa_enable_private_segment 0
		.amdhsa_system_sgpr_workgroup_id_x 1
		.amdhsa_system_sgpr_workgroup_id_y 0
		.amdhsa_system_sgpr_workgroup_id_z 0
		.amdhsa_system_sgpr_workgroup_info 0
		.amdhsa_system_vgpr_workitem_id 0
		.amdhsa_next_free_vgpr 65
		.amdhsa_next_free_sgpr 44
		.amdhsa_accum_offset 68
		.amdhsa_reserve_vcc 1
		.amdhsa_float_round_mode_32 0
		.amdhsa_float_round_mode_16_64 0
		.amdhsa_float_denorm_mode_32 3
		.amdhsa_float_denorm_mode_16_64 3
		.amdhsa_dx10_clamp 1
		.amdhsa_ieee_mode 1
		.amdhsa_fp16_overflow 0
		.amdhsa_tg_split 0
		.amdhsa_exception_fp_ieee_invalid_op 0
		.amdhsa_exception_fp_denorm_src 0
		.amdhsa_exception_fp_ieee_div_zero 0
		.amdhsa_exception_fp_ieee_overflow 0
		.amdhsa_exception_fp_ieee_underflow 0
		.amdhsa_exception_fp_ieee_inexact 0
		.amdhsa_exception_int_div_zero 0
	.end_amdhsa_kernel
	.section	.text._ZN7rocprim17ROCPRIM_400000_NS6detail17trampoline_kernelINS0_14default_configENS1_25partition_config_selectorILNS1_17partition_subalgoE1EjNS0_10empty_typeEbEEZZNS1_14partition_implILS5_1ELb0ES3_jN6thrust23THRUST_200600_302600_NS6detail15normal_iteratorINSA_10device_ptrIjEEEEPS6_NSA_18transform_iteratorI7is_evenIjESF_NSA_11use_defaultESK_EENS0_5tupleIJSF_SF_EEENSM_IJSG_SG_EEES6_PlJS6_EEE10hipError_tPvRmT3_T4_T5_T6_T7_T9_mT8_P12ihipStream_tbDpT10_ENKUlT_T0_E_clISt17integral_constantIbLb0EES19_EEDaS14_S15_EUlS14_E_NS1_11comp_targetILNS1_3genE5ELNS1_11target_archE942ELNS1_3gpuE9ELNS1_3repE0EEENS1_30default_config_static_selectorELNS0_4arch9wavefront6targetE1EEEvT1_,"axG",@progbits,_ZN7rocprim17ROCPRIM_400000_NS6detail17trampoline_kernelINS0_14default_configENS1_25partition_config_selectorILNS1_17partition_subalgoE1EjNS0_10empty_typeEbEEZZNS1_14partition_implILS5_1ELb0ES3_jN6thrust23THRUST_200600_302600_NS6detail15normal_iteratorINSA_10device_ptrIjEEEEPS6_NSA_18transform_iteratorI7is_evenIjESF_NSA_11use_defaultESK_EENS0_5tupleIJSF_SF_EEENSM_IJSG_SG_EEES6_PlJS6_EEE10hipError_tPvRmT3_T4_T5_T6_T7_T9_mT8_P12ihipStream_tbDpT10_ENKUlT_T0_E_clISt17integral_constantIbLb0EES19_EEDaS14_S15_EUlS14_E_NS1_11comp_targetILNS1_3genE5ELNS1_11target_archE942ELNS1_3gpuE9ELNS1_3repE0EEENS1_30default_config_static_selectorELNS0_4arch9wavefront6targetE1EEEvT1_,comdat
.Lfunc_end2236:
	.size	_ZN7rocprim17ROCPRIM_400000_NS6detail17trampoline_kernelINS0_14default_configENS1_25partition_config_selectorILNS1_17partition_subalgoE1EjNS0_10empty_typeEbEEZZNS1_14partition_implILS5_1ELb0ES3_jN6thrust23THRUST_200600_302600_NS6detail15normal_iteratorINSA_10device_ptrIjEEEEPS6_NSA_18transform_iteratorI7is_evenIjESF_NSA_11use_defaultESK_EENS0_5tupleIJSF_SF_EEENSM_IJSG_SG_EEES6_PlJS6_EEE10hipError_tPvRmT3_T4_T5_T6_T7_T9_mT8_P12ihipStream_tbDpT10_ENKUlT_T0_E_clISt17integral_constantIbLb0EES19_EEDaS14_S15_EUlS14_E_NS1_11comp_targetILNS1_3genE5ELNS1_11target_archE942ELNS1_3gpuE9ELNS1_3repE0EEENS1_30default_config_static_selectorELNS0_4arch9wavefront6targetE1EEEvT1_, .Lfunc_end2236-_ZN7rocprim17ROCPRIM_400000_NS6detail17trampoline_kernelINS0_14default_configENS1_25partition_config_selectorILNS1_17partition_subalgoE1EjNS0_10empty_typeEbEEZZNS1_14partition_implILS5_1ELb0ES3_jN6thrust23THRUST_200600_302600_NS6detail15normal_iteratorINSA_10device_ptrIjEEEEPS6_NSA_18transform_iteratorI7is_evenIjESF_NSA_11use_defaultESK_EENS0_5tupleIJSF_SF_EEENSM_IJSG_SG_EEES6_PlJS6_EEE10hipError_tPvRmT3_T4_T5_T6_T7_T9_mT8_P12ihipStream_tbDpT10_ENKUlT_T0_E_clISt17integral_constantIbLb0EES19_EEDaS14_S15_EUlS14_E_NS1_11comp_targetILNS1_3genE5ELNS1_11target_archE942ELNS1_3gpuE9ELNS1_3repE0EEENS1_30default_config_static_selectorELNS0_4arch9wavefront6targetE1EEEvT1_
                                        ; -- End function
	.section	.AMDGPU.csdata,"",@progbits
; Kernel info:
; codeLenInByte = 7636
; NumSgprs: 50
; NumVgprs: 65
; NumAgprs: 0
; TotalNumVgprs: 65
; ScratchSize: 0
; MemoryBound: 0
; FloatMode: 240
; IeeeMode: 1
; LDSByteSize: 30728 bytes/workgroup (compile time only)
; SGPRBlocks: 6
; VGPRBlocks: 8
; NumSGPRsForWavesPerEU: 50
; NumVGPRsForWavesPerEU: 65
; AccumOffset: 68
; Occupancy: 4
; WaveLimiterHint : 1
; COMPUTE_PGM_RSRC2:SCRATCH_EN: 0
; COMPUTE_PGM_RSRC2:USER_SGPR: 2
; COMPUTE_PGM_RSRC2:TRAP_HANDLER: 0
; COMPUTE_PGM_RSRC2:TGID_X_EN: 1
; COMPUTE_PGM_RSRC2:TGID_Y_EN: 0
; COMPUTE_PGM_RSRC2:TGID_Z_EN: 0
; COMPUTE_PGM_RSRC2:TIDIG_COMP_CNT: 0
; COMPUTE_PGM_RSRC3_GFX90A:ACCUM_OFFSET: 16
; COMPUTE_PGM_RSRC3_GFX90A:TG_SPLIT: 0
	.section	.text._ZN7rocprim17ROCPRIM_400000_NS6detail17trampoline_kernelINS0_14default_configENS1_25partition_config_selectorILNS1_17partition_subalgoE1EjNS0_10empty_typeEbEEZZNS1_14partition_implILS5_1ELb0ES3_jN6thrust23THRUST_200600_302600_NS6detail15normal_iteratorINSA_10device_ptrIjEEEEPS6_NSA_18transform_iteratorI7is_evenIjESF_NSA_11use_defaultESK_EENS0_5tupleIJSF_SF_EEENSM_IJSG_SG_EEES6_PlJS6_EEE10hipError_tPvRmT3_T4_T5_T6_T7_T9_mT8_P12ihipStream_tbDpT10_ENKUlT_T0_E_clISt17integral_constantIbLb0EES19_EEDaS14_S15_EUlS14_E_NS1_11comp_targetILNS1_3genE4ELNS1_11target_archE910ELNS1_3gpuE8ELNS1_3repE0EEENS1_30default_config_static_selectorELNS0_4arch9wavefront6targetE1EEEvT1_,"axG",@progbits,_ZN7rocprim17ROCPRIM_400000_NS6detail17trampoline_kernelINS0_14default_configENS1_25partition_config_selectorILNS1_17partition_subalgoE1EjNS0_10empty_typeEbEEZZNS1_14partition_implILS5_1ELb0ES3_jN6thrust23THRUST_200600_302600_NS6detail15normal_iteratorINSA_10device_ptrIjEEEEPS6_NSA_18transform_iteratorI7is_evenIjESF_NSA_11use_defaultESK_EENS0_5tupleIJSF_SF_EEENSM_IJSG_SG_EEES6_PlJS6_EEE10hipError_tPvRmT3_T4_T5_T6_T7_T9_mT8_P12ihipStream_tbDpT10_ENKUlT_T0_E_clISt17integral_constantIbLb0EES19_EEDaS14_S15_EUlS14_E_NS1_11comp_targetILNS1_3genE4ELNS1_11target_archE910ELNS1_3gpuE8ELNS1_3repE0EEENS1_30default_config_static_selectorELNS0_4arch9wavefront6targetE1EEEvT1_,comdat
	.protected	_ZN7rocprim17ROCPRIM_400000_NS6detail17trampoline_kernelINS0_14default_configENS1_25partition_config_selectorILNS1_17partition_subalgoE1EjNS0_10empty_typeEbEEZZNS1_14partition_implILS5_1ELb0ES3_jN6thrust23THRUST_200600_302600_NS6detail15normal_iteratorINSA_10device_ptrIjEEEEPS6_NSA_18transform_iteratorI7is_evenIjESF_NSA_11use_defaultESK_EENS0_5tupleIJSF_SF_EEENSM_IJSG_SG_EEES6_PlJS6_EEE10hipError_tPvRmT3_T4_T5_T6_T7_T9_mT8_P12ihipStream_tbDpT10_ENKUlT_T0_E_clISt17integral_constantIbLb0EES19_EEDaS14_S15_EUlS14_E_NS1_11comp_targetILNS1_3genE4ELNS1_11target_archE910ELNS1_3gpuE8ELNS1_3repE0EEENS1_30default_config_static_selectorELNS0_4arch9wavefront6targetE1EEEvT1_ ; -- Begin function _ZN7rocprim17ROCPRIM_400000_NS6detail17trampoline_kernelINS0_14default_configENS1_25partition_config_selectorILNS1_17partition_subalgoE1EjNS0_10empty_typeEbEEZZNS1_14partition_implILS5_1ELb0ES3_jN6thrust23THRUST_200600_302600_NS6detail15normal_iteratorINSA_10device_ptrIjEEEEPS6_NSA_18transform_iteratorI7is_evenIjESF_NSA_11use_defaultESK_EENS0_5tupleIJSF_SF_EEENSM_IJSG_SG_EEES6_PlJS6_EEE10hipError_tPvRmT3_T4_T5_T6_T7_T9_mT8_P12ihipStream_tbDpT10_ENKUlT_T0_E_clISt17integral_constantIbLb0EES19_EEDaS14_S15_EUlS14_E_NS1_11comp_targetILNS1_3genE4ELNS1_11target_archE910ELNS1_3gpuE8ELNS1_3repE0EEENS1_30default_config_static_selectorELNS0_4arch9wavefront6targetE1EEEvT1_
	.globl	_ZN7rocprim17ROCPRIM_400000_NS6detail17trampoline_kernelINS0_14default_configENS1_25partition_config_selectorILNS1_17partition_subalgoE1EjNS0_10empty_typeEbEEZZNS1_14partition_implILS5_1ELb0ES3_jN6thrust23THRUST_200600_302600_NS6detail15normal_iteratorINSA_10device_ptrIjEEEEPS6_NSA_18transform_iteratorI7is_evenIjESF_NSA_11use_defaultESK_EENS0_5tupleIJSF_SF_EEENSM_IJSG_SG_EEES6_PlJS6_EEE10hipError_tPvRmT3_T4_T5_T6_T7_T9_mT8_P12ihipStream_tbDpT10_ENKUlT_T0_E_clISt17integral_constantIbLb0EES19_EEDaS14_S15_EUlS14_E_NS1_11comp_targetILNS1_3genE4ELNS1_11target_archE910ELNS1_3gpuE8ELNS1_3repE0EEENS1_30default_config_static_selectorELNS0_4arch9wavefront6targetE1EEEvT1_
	.p2align	8
	.type	_ZN7rocprim17ROCPRIM_400000_NS6detail17trampoline_kernelINS0_14default_configENS1_25partition_config_selectorILNS1_17partition_subalgoE1EjNS0_10empty_typeEbEEZZNS1_14partition_implILS5_1ELb0ES3_jN6thrust23THRUST_200600_302600_NS6detail15normal_iteratorINSA_10device_ptrIjEEEEPS6_NSA_18transform_iteratorI7is_evenIjESF_NSA_11use_defaultESK_EENS0_5tupleIJSF_SF_EEENSM_IJSG_SG_EEES6_PlJS6_EEE10hipError_tPvRmT3_T4_T5_T6_T7_T9_mT8_P12ihipStream_tbDpT10_ENKUlT_T0_E_clISt17integral_constantIbLb0EES19_EEDaS14_S15_EUlS14_E_NS1_11comp_targetILNS1_3genE4ELNS1_11target_archE910ELNS1_3gpuE8ELNS1_3repE0EEENS1_30default_config_static_selectorELNS0_4arch9wavefront6targetE1EEEvT1_,@function
_ZN7rocprim17ROCPRIM_400000_NS6detail17trampoline_kernelINS0_14default_configENS1_25partition_config_selectorILNS1_17partition_subalgoE1EjNS0_10empty_typeEbEEZZNS1_14partition_implILS5_1ELb0ES3_jN6thrust23THRUST_200600_302600_NS6detail15normal_iteratorINSA_10device_ptrIjEEEEPS6_NSA_18transform_iteratorI7is_evenIjESF_NSA_11use_defaultESK_EENS0_5tupleIJSF_SF_EEENSM_IJSG_SG_EEES6_PlJS6_EEE10hipError_tPvRmT3_T4_T5_T6_T7_T9_mT8_P12ihipStream_tbDpT10_ENKUlT_T0_E_clISt17integral_constantIbLb0EES19_EEDaS14_S15_EUlS14_E_NS1_11comp_targetILNS1_3genE4ELNS1_11target_archE910ELNS1_3gpuE8ELNS1_3repE0EEENS1_30default_config_static_selectorELNS0_4arch9wavefront6targetE1EEEvT1_: ; @_ZN7rocprim17ROCPRIM_400000_NS6detail17trampoline_kernelINS0_14default_configENS1_25partition_config_selectorILNS1_17partition_subalgoE1EjNS0_10empty_typeEbEEZZNS1_14partition_implILS5_1ELb0ES3_jN6thrust23THRUST_200600_302600_NS6detail15normal_iteratorINSA_10device_ptrIjEEEEPS6_NSA_18transform_iteratorI7is_evenIjESF_NSA_11use_defaultESK_EENS0_5tupleIJSF_SF_EEENSM_IJSG_SG_EEES6_PlJS6_EEE10hipError_tPvRmT3_T4_T5_T6_T7_T9_mT8_P12ihipStream_tbDpT10_ENKUlT_T0_E_clISt17integral_constantIbLb0EES19_EEDaS14_S15_EUlS14_E_NS1_11comp_targetILNS1_3genE4ELNS1_11target_archE910ELNS1_3gpuE8ELNS1_3repE0EEENS1_30default_config_static_selectorELNS0_4arch9wavefront6targetE1EEEvT1_
; %bb.0:
	.section	.rodata,"a",@progbits
	.p2align	6, 0x0
	.amdhsa_kernel _ZN7rocprim17ROCPRIM_400000_NS6detail17trampoline_kernelINS0_14default_configENS1_25partition_config_selectorILNS1_17partition_subalgoE1EjNS0_10empty_typeEbEEZZNS1_14partition_implILS5_1ELb0ES3_jN6thrust23THRUST_200600_302600_NS6detail15normal_iteratorINSA_10device_ptrIjEEEEPS6_NSA_18transform_iteratorI7is_evenIjESF_NSA_11use_defaultESK_EENS0_5tupleIJSF_SF_EEENSM_IJSG_SG_EEES6_PlJS6_EEE10hipError_tPvRmT3_T4_T5_T6_T7_T9_mT8_P12ihipStream_tbDpT10_ENKUlT_T0_E_clISt17integral_constantIbLb0EES19_EEDaS14_S15_EUlS14_E_NS1_11comp_targetILNS1_3genE4ELNS1_11target_archE910ELNS1_3gpuE8ELNS1_3repE0EEENS1_30default_config_static_selectorELNS0_4arch9wavefront6targetE1EEEvT1_
		.amdhsa_group_segment_fixed_size 0
		.amdhsa_private_segment_fixed_size 0
		.amdhsa_kernarg_size 128
		.amdhsa_user_sgpr_count 2
		.amdhsa_user_sgpr_dispatch_ptr 0
		.amdhsa_user_sgpr_queue_ptr 0
		.amdhsa_user_sgpr_kernarg_segment_ptr 1
		.amdhsa_user_sgpr_dispatch_id 0
		.amdhsa_user_sgpr_kernarg_preload_length 0
		.amdhsa_user_sgpr_kernarg_preload_offset 0
		.amdhsa_user_sgpr_private_segment_size 0
		.amdhsa_uses_dynamic_stack 0
		.amdhsa_enable_private_segment 0
		.amdhsa_system_sgpr_workgroup_id_x 1
		.amdhsa_system_sgpr_workgroup_id_y 0
		.amdhsa_system_sgpr_workgroup_id_z 0
		.amdhsa_system_sgpr_workgroup_info 0
		.amdhsa_system_vgpr_workitem_id 0
		.amdhsa_next_free_vgpr 1
		.amdhsa_next_free_sgpr 0
		.amdhsa_accum_offset 4
		.amdhsa_reserve_vcc 0
		.amdhsa_float_round_mode_32 0
		.amdhsa_float_round_mode_16_64 0
		.amdhsa_float_denorm_mode_32 3
		.amdhsa_float_denorm_mode_16_64 3
		.amdhsa_dx10_clamp 1
		.amdhsa_ieee_mode 1
		.amdhsa_fp16_overflow 0
		.amdhsa_tg_split 0
		.amdhsa_exception_fp_ieee_invalid_op 0
		.amdhsa_exception_fp_denorm_src 0
		.amdhsa_exception_fp_ieee_div_zero 0
		.amdhsa_exception_fp_ieee_overflow 0
		.amdhsa_exception_fp_ieee_underflow 0
		.amdhsa_exception_fp_ieee_inexact 0
		.amdhsa_exception_int_div_zero 0
	.end_amdhsa_kernel
	.section	.text._ZN7rocprim17ROCPRIM_400000_NS6detail17trampoline_kernelINS0_14default_configENS1_25partition_config_selectorILNS1_17partition_subalgoE1EjNS0_10empty_typeEbEEZZNS1_14partition_implILS5_1ELb0ES3_jN6thrust23THRUST_200600_302600_NS6detail15normal_iteratorINSA_10device_ptrIjEEEEPS6_NSA_18transform_iteratorI7is_evenIjESF_NSA_11use_defaultESK_EENS0_5tupleIJSF_SF_EEENSM_IJSG_SG_EEES6_PlJS6_EEE10hipError_tPvRmT3_T4_T5_T6_T7_T9_mT8_P12ihipStream_tbDpT10_ENKUlT_T0_E_clISt17integral_constantIbLb0EES19_EEDaS14_S15_EUlS14_E_NS1_11comp_targetILNS1_3genE4ELNS1_11target_archE910ELNS1_3gpuE8ELNS1_3repE0EEENS1_30default_config_static_selectorELNS0_4arch9wavefront6targetE1EEEvT1_,"axG",@progbits,_ZN7rocprim17ROCPRIM_400000_NS6detail17trampoline_kernelINS0_14default_configENS1_25partition_config_selectorILNS1_17partition_subalgoE1EjNS0_10empty_typeEbEEZZNS1_14partition_implILS5_1ELb0ES3_jN6thrust23THRUST_200600_302600_NS6detail15normal_iteratorINSA_10device_ptrIjEEEEPS6_NSA_18transform_iteratorI7is_evenIjESF_NSA_11use_defaultESK_EENS0_5tupleIJSF_SF_EEENSM_IJSG_SG_EEES6_PlJS6_EEE10hipError_tPvRmT3_T4_T5_T6_T7_T9_mT8_P12ihipStream_tbDpT10_ENKUlT_T0_E_clISt17integral_constantIbLb0EES19_EEDaS14_S15_EUlS14_E_NS1_11comp_targetILNS1_3genE4ELNS1_11target_archE910ELNS1_3gpuE8ELNS1_3repE0EEENS1_30default_config_static_selectorELNS0_4arch9wavefront6targetE1EEEvT1_,comdat
.Lfunc_end2237:
	.size	_ZN7rocprim17ROCPRIM_400000_NS6detail17trampoline_kernelINS0_14default_configENS1_25partition_config_selectorILNS1_17partition_subalgoE1EjNS0_10empty_typeEbEEZZNS1_14partition_implILS5_1ELb0ES3_jN6thrust23THRUST_200600_302600_NS6detail15normal_iteratorINSA_10device_ptrIjEEEEPS6_NSA_18transform_iteratorI7is_evenIjESF_NSA_11use_defaultESK_EENS0_5tupleIJSF_SF_EEENSM_IJSG_SG_EEES6_PlJS6_EEE10hipError_tPvRmT3_T4_T5_T6_T7_T9_mT8_P12ihipStream_tbDpT10_ENKUlT_T0_E_clISt17integral_constantIbLb0EES19_EEDaS14_S15_EUlS14_E_NS1_11comp_targetILNS1_3genE4ELNS1_11target_archE910ELNS1_3gpuE8ELNS1_3repE0EEENS1_30default_config_static_selectorELNS0_4arch9wavefront6targetE1EEEvT1_, .Lfunc_end2237-_ZN7rocprim17ROCPRIM_400000_NS6detail17trampoline_kernelINS0_14default_configENS1_25partition_config_selectorILNS1_17partition_subalgoE1EjNS0_10empty_typeEbEEZZNS1_14partition_implILS5_1ELb0ES3_jN6thrust23THRUST_200600_302600_NS6detail15normal_iteratorINSA_10device_ptrIjEEEEPS6_NSA_18transform_iteratorI7is_evenIjESF_NSA_11use_defaultESK_EENS0_5tupleIJSF_SF_EEENSM_IJSG_SG_EEES6_PlJS6_EEE10hipError_tPvRmT3_T4_T5_T6_T7_T9_mT8_P12ihipStream_tbDpT10_ENKUlT_T0_E_clISt17integral_constantIbLb0EES19_EEDaS14_S15_EUlS14_E_NS1_11comp_targetILNS1_3genE4ELNS1_11target_archE910ELNS1_3gpuE8ELNS1_3repE0EEENS1_30default_config_static_selectorELNS0_4arch9wavefront6targetE1EEEvT1_
                                        ; -- End function
	.section	.AMDGPU.csdata,"",@progbits
; Kernel info:
; codeLenInByte = 0
; NumSgprs: 6
; NumVgprs: 0
; NumAgprs: 0
; TotalNumVgprs: 0
; ScratchSize: 0
; MemoryBound: 0
; FloatMode: 240
; IeeeMode: 1
; LDSByteSize: 0 bytes/workgroup (compile time only)
; SGPRBlocks: 0
; VGPRBlocks: 0
; NumSGPRsForWavesPerEU: 6
; NumVGPRsForWavesPerEU: 1
; AccumOffset: 4
; Occupancy: 8
; WaveLimiterHint : 0
; COMPUTE_PGM_RSRC2:SCRATCH_EN: 0
; COMPUTE_PGM_RSRC2:USER_SGPR: 2
; COMPUTE_PGM_RSRC2:TRAP_HANDLER: 0
; COMPUTE_PGM_RSRC2:TGID_X_EN: 1
; COMPUTE_PGM_RSRC2:TGID_Y_EN: 0
; COMPUTE_PGM_RSRC2:TGID_Z_EN: 0
; COMPUTE_PGM_RSRC2:TIDIG_COMP_CNT: 0
; COMPUTE_PGM_RSRC3_GFX90A:ACCUM_OFFSET: 0
; COMPUTE_PGM_RSRC3_GFX90A:TG_SPLIT: 0
	.section	.text._ZN7rocprim17ROCPRIM_400000_NS6detail17trampoline_kernelINS0_14default_configENS1_25partition_config_selectorILNS1_17partition_subalgoE1EjNS0_10empty_typeEbEEZZNS1_14partition_implILS5_1ELb0ES3_jN6thrust23THRUST_200600_302600_NS6detail15normal_iteratorINSA_10device_ptrIjEEEEPS6_NSA_18transform_iteratorI7is_evenIjESF_NSA_11use_defaultESK_EENS0_5tupleIJSF_SF_EEENSM_IJSG_SG_EEES6_PlJS6_EEE10hipError_tPvRmT3_T4_T5_T6_T7_T9_mT8_P12ihipStream_tbDpT10_ENKUlT_T0_E_clISt17integral_constantIbLb0EES19_EEDaS14_S15_EUlS14_E_NS1_11comp_targetILNS1_3genE3ELNS1_11target_archE908ELNS1_3gpuE7ELNS1_3repE0EEENS1_30default_config_static_selectorELNS0_4arch9wavefront6targetE1EEEvT1_,"axG",@progbits,_ZN7rocprim17ROCPRIM_400000_NS6detail17trampoline_kernelINS0_14default_configENS1_25partition_config_selectorILNS1_17partition_subalgoE1EjNS0_10empty_typeEbEEZZNS1_14partition_implILS5_1ELb0ES3_jN6thrust23THRUST_200600_302600_NS6detail15normal_iteratorINSA_10device_ptrIjEEEEPS6_NSA_18transform_iteratorI7is_evenIjESF_NSA_11use_defaultESK_EENS0_5tupleIJSF_SF_EEENSM_IJSG_SG_EEES6_PlJS6_EEE10hipError_tPvRmT3_T4_T5_T6_T7_T9_mT8_P12ihipStream_tbDpT10_ENKUlT_T0_E_clISt17integral_constantIbLb0EES19_EEDaS14_S15_EUlS14_E_NS1_11comp_targetILNS1_3genE3ELNS1_11target_archE908ELNS1_3gpuE7ELNS1_3repE0EEENS1_30default_config_static_selectorELNS0_4arch9wavefront6targetE1EEEvT1_,comdat
	.protected	_ZN7rocprim17ROCPRIM_400000_NS6detail17trampoline_kernelINS0_14default_configENS1_25partition_config_selectorILNS1_17partition_subalgoE1EjNS0_10empty_typeEbEEZZNS1_14partition_implILS5_1ELb0ES3_jN6thrust23THRUST_200600_302600_NS6detail15normal_iteratorINSA_10device_ptrIjEEEEPS6_NSA_18transform_iteratorI7is_evenIjESF_NSA_11use_defaultESK_EENS0_5tupleIJSF_SF_EEENSM_IJSG_SG_EEES6_PlJS6_EEE10hipError_tPvRmT3_T4_T5_T6_T7_T9_mT8_P12ihipStream_tbDpT10_ENKUlT_T0_E_clISt17integral_constantIbLb0EES19_EEDaS14_S15_EUlS14_E_NS1_11comp_targetILNS1_3genE3ELNS1_11target_archE908ELNS1_3gpuE7ELNS1_3repE0EEENS1_30default_config_static_selectorELNS0_4arch9wavefront6targetE1EEEvT1_ ; -- Begin function _ZN7rocprim17ROCPRIM_400000_NS6detail17trampoline_kernelINS0_14default_configENS1_25partition_config_selectorILNS1_17partition_subalgoE1EjNS0_10empty_typeEbEEZZNS1_14partition_implILS5_1ELb0ES3_jN6thrust23THRUST_200600_302600_NS6detail15normal_iteratorINSA_10device_ptrIjEEEEPS6_NSA_18transform_iteratorI7is_evenIjESF_NSA_11use_defaultESK_EENS0_5tupleIJSF_SF_EEENSM_IJSG_SG_EEES6_PlJS6_EEE10hipError_tPvRmT3_T4_T5_T6_T7_T9_mT8_P12ihipStream_tbDpT10_ENKUlT_T0_E_clISt17integral_constantIbLb0EES19_EEDaS14_S15_EUlS14_E_NS1_11comp_targetILNS1_3genE3ELNS1_11target_archE908ELNS1_3gpuE7ELNS1_3repE0EEENS1_30default_config_static_selectorELNS0_4arch9wavefront6targetE1EEEvT1_
	.globl	_ZN7rocprim17ROCPRIM_400000_NS6detail17trampoline_kernelINS0_14default_configENS1_25partition_config_selectorILNS1_17partition_subalgoE1EjNS0_10empty_typeEbEEZZNS1_14partition_implILS5_1ELb0ES3_jN6thrust23THRUST_200600_302600_NS6detail15normal_iteratorINSA_10device_ptrIjEEEEPS6_NSA_18transform_iteratorI7is_evenIjESF_NSA_11use_defaultESK_EENS0_5tupleIJSF_SF_EEENSM_IJSG_SG_EEES6_PlJS6_EEE10hipError_tPvRmT3_T4_T5_T6_T7_T9_mT8_P12ihipStream_tbDpT10_ENKUlT_T0_E_clISt17integral_constantIbLb0EES19_EEDaS14_S15_EUlS14_E_NS1_11comp_targetILNS1_3genE3ELNS1_11target_archE908ELNS1_3gpuE7ELNS1_3repE0EEENS1_30default_config_static_selectorELNS0_4arch9wavefront6targetE1EEEvT1_
	.p2align	8
	.type	_ZN7rocprim17ROCPRIM_400000_NS6detail17trampoline_kernelINS0_14default_configENS1_25partition_config_selectorILNS1_17partition_subalgoE1EjNS0_10empty_typeEbEEZZNS1_14partition_implILS5_1ELb0ES3_jN6thrust23THRUST_200600_302600_NS6detail15normal_iteratorINSA_10device_ptrIjEEEEPS6_NSA_18transform_iteratorI7is_evenIjESF_NSA_11use_defaultESK_EENS0_5tupleIJSF_SF_EEENSM_IJSG_SG_EEES6_PlJS6_EEE10hipError_tPvRmT3_T4_T5_T6_T7_T9_mT8_P12ihipStream_tbDpT10_ENKUlT_T0_E_clISt17integral_constantIbLb0EES19_EEDaS14_S15_EUlS14_E_NS1_11comp_targetILNS1_3genE3ELNS1_11target_archE908ELNS1_3gpuE7ELNS1_3repE0EEENS1_30default_config_static_selectorELNS0_4arch9wavefront6targetE1EEEvT1_,@function
_ZN7rocprim17ROCPRIM_400000_NS6detail17trampoline_kernelINS0_14default_configENS1_25partition_config_selectorILNS1_17partition_subalgoE1EjNS0_10empty_typeEbEEZZNS1_14partition_implILS5_1ELb0ES3_jN6thrust23THRUST_200600_302600_NS6detail15normal_iteratorINSA_10device_ptrIjEEEEPS6_NSA_18transform_iteratorI7is_evenIjESF_NSA_11use_defaultESK_EENS0_5tupleIJSF_SF_EEENSM_IJSG_SG_EEES6_PlJS6_EEE10hipError_tPvRmT3_T4_T5_T6_T7_T9_mT8_P12ihipStream_tbDpT10_ENKUlT_T0_E_clISt17integral_constantIbLb0EES19_EEDaS14_S15_EUlS14_E_NS1_11comp_targetILNS1_3genE3ELNS1_11target_archE908ELNS1_3gpuE7ELNS1_3repE0EEENS1_30default_config_static_selectorELNS0_4arch9wavefront6targetE1EEEvT1_: ; @_ZN7rocprim17ROCPRIM_400000_NS6detail17trampoline_kernelINS0_14default_configENS1_25partition_config_selectorILNS1_17partition_subalgoE1EjNS0_10empty_typeEbEEZZNS1_14partition_implILS5_1ELb0ES3_jN6thrust23THRUST_200600_302600_NS6detail15normal_iteratorINSA_10device_ptrIjEEEEPS6_NSA_18transform_iteratorI7is_evenIjESF_NSA_11use_defaultESK_EENS0_5tupleIJSF_SF_EEENSM_IJSG_SG_EEES6_PlJS6_EEE10hipError_tPvRmT3_T4_T5_T6_T7_T9_mT8_P12ihipStream_tbDpT10_ENKUlT_T0_E_clISt17integral_constantIbLb0EES19_EEDaS14_S15_EUlS14_E_NS1_11comp_targetILNS1_3genE3ELNS1_11target_archE908ELNS1_3gpuE7ELNS1_3repE0EEENS1_30default_config_static_selectorELNS0_4arch9wavefront6targetE1EEEvT1_
; %bb.0:
	.section	.rodata,"a",@progbits
	.p2align	6, 0x0
	.amdhsa_kernel _ZN7rocprim17ROCPRIM_400000_NS6detail17trampoline_kernelINS0_14default_configENS1_25partition_config_selectorILNS1_17partition_subalgoE1EjNS0_10empty_typeEbEEZZNS1_14partition_implILS5_1ELb0ES3_jN6thrust23THRUST_200600_302600_NS6detail15normal_iteratorINSA_10device_ptrIjEEEEPS6_NSA_18transform_iteratorI7is_evenIjESF_NSA_11use_defaultESK_EENS0_5tupleIJSF_SF_EEENSM_IJSG_SG_EEES6_PlJS6_EEE10hipError_tPvRmT3_T4_T5_T6_T7_T9_mT8_P12ihipStream_tbDpT10_ENKUlT_T0_E_clISt17integral_constantIbLb0EES19_EEDaS14_S15_EUlS14_E_NS1_11comp_targetILNS1_3genE3ELNS1_11target_archE908ELNS1_3gpuE7ELNS1_3repE0EEENS1_30default_config_static_selectorELNS0_4arch9wavefront6targetE1EEEvT1_
		.amdhsa_group_segment_fixed_size 0
		.amdhsa_private_segment_fixed_size 0
		.amdhsa_kernarg_size 128
		.amdhsa_user_sgpr_count 2
		.amdhsa_user_sgpr_dispatch_ptr 0
		.amdhsa_user_sgpr_queue_ptr 0
		.amdhsa_user_sgpr_kernarg_segment_ptr 1
		.amdhsa_user_sgpr_dispatch_id 0
		.amdhsa_user_sgpr_kernarg_preload_length 0
		.amdhsa_user_sgpr_kernarg_preload_offset 0
		.amdhsa_user_sgpr_private_segment_size 0
		.amdhsa_uses_dynamic_stack 0
		.amdhsa_enable_private_segment 0
		.amdhsa_system_sgpr_workgroup_id_x 1
		.amdhsa_system_sgpr_workgroup_id_y 0
		.amdhsa_system_sgpr_workgroup_id_z 0
		.amdhsa_system_sgpr_workgroup_info 0
		.amdhsa_system_vgpr_workitem_id 0
		.amdhsa_next_free_vgpr 1
		.amdhsa_next_free_sgpr 0
		.amdhsa_accum_offset 4
		.amdhsa_reserve_vcc 0
		.amdhsa_float_round_mode_32 0
		.amdhsa_float_round_mode_16_64 0
		.amdhsa_float_denorm_mode_32 3
		.amdhsa_float_denorm_mode_16_64 3
		.amdhsa_dx10_clamp 1
		.amdhsa_ieee_mode 1
		.amdhsa_fp16_overflow 0
		.amdhsa_tg_split 0
		.amdhsa_exception_fp_ieee_invalid_op 0
		.amdhsa_exception_fp_denorm_src 0
		.amdhsa_exception_fp_ieee_div_zero 0
		.amdhsa_exception_fp_ieee_overflow 0
		.amdhsa_exception_fp_ieee_underflow 0
		.amdhsa_exception_fp_ieee_inexact 0
		.amdhsa_exception_int_div_zero 0
	.end_amdhsa_kernel
	.section	.text._ZN7rocprim17ROCPRIM_400000_NS6detail17trampoline_kernelINS0_14default_configENS1_25partition_config_selectorILNS1_17partition_subalgoE1EjNS0_10empty_typeEbEEZZNS1_14partition_implILS5_1ELb0ES3_jN6thrust23THRUST_200600_302600_NS6detail15normal_iteratorINSA_10device_ptrIjEEEEPS6_NSA_18transform_iteratorI7is_evenIjESF_NSA_11use_defaultESK_EENS0_5tupleIJSF_SF_EEENSM_IJSG_SG_EEES6_PlJS6_EEE10hipError_tPvRmT3_T4_T5_T6_T7_T9_mT8_P12ihipStream_tbDpT10_ENKUlT_T0_E_clISt17integral_constantIbLb0EES19_EEDaS14_S15_EUlS14_E_NS1_11comp_targetILNS1_3genE3ELNS1_11target_archE908ELNS1_3gpuE7ELNS1_3repE0EEENS1_30default_config_static_selectorELNS0_4arch9wavefront6targetE1EEEvT1_,"axG",@progbits,_ZN7rocprim17ROCPRIM_400000_NS6detail17trampoline_kernelINS0_14default_configENS1_25partition_config_selectorILNS1_17partition_subalgoE1EjNS0_10empty_typeEbEEZZNS1_14partition_implILS5_1ELb0ES3_jN6thrust23THRUST_200600_302600_NS6detail15normal_iteratorINSA_10device_ptrIjEEEEPS6_NSA_18transform_iteratorI7is_evenIjESF_NSA_11use_defaultESK_EENS0_5tupleIJSF_SF_EEENSM_IJSG_SG_EEES6_PlJS6_EEE10hipError_tPvRmT3_T4_T5_T6_T7_T9_mT8_P12ihipStream_tbDpT10_ENKUlT_T0_E_clISt17integral_constantIbLb0EES19_EEDaS14_S15_EUlS14_E_NS1_11comp_targetILNS1_3genE3ELNS1_11target_archE908ELNS1_3gpuE7ELNS1_3repE0EEENS1_30default_config_static_selectorELNS0_4arch9wavefront6targetE1EEEvT1_,comdat
.Lfunc_end2238:
	.size	_ZN7rocprim17ROCPRIM_400000_NS6detail17trampoline_kernelINS0_14default_configENS1_25partition_config_selectorILNS1_17partition_subalgoE1EjNS0_10empty_typeEbEEZZNS1_14partition_implILS5_1ELb0ES3_jN6thrust23THRUST_200600_302600_NS6detail15normal_iteratorINSA_10device_ptrIjEEEEPS6_NSA_18transform_iteratorI7is_evenIjESF_NSA_11use_defaultESK_EENS0_5tupleIJSF_SF_EEENSM_IJSG_SG_EEES6_PlJS6_EEE10hipError_tPvRmT3_T4_T5_T6_T7_T9_mT8_P12ihipStream_tbDpT10_ENKUlT_T0_E_clISt17integral_constantIbLb0EES19_EEDaS14_S15_EUlS14_E_NS1_11comp_targetILNS1_3genE3ELNS1_11target_archE908ELNS1_3gpuE7ELNS1_3repE0EEENS1_30default_config_static_selectorELNS0_4arch9wavefront6targetE1EEEvT1_, .Lfunc_end2238-_ZN7rocprim17ROCPRIM_400000_NS6detail17trampoline_kernelINS0_14default_configENS1_25partition_config_selectorILNS1_17partition_subalgoE1EjNS0_10empty_typeEbEEZZNS1_14partition_implILS5_1ELb0ES3_jN6thrust23THRUST_200600_302600_NS6detail15normal_iteratorINSA_10device_ptrIjEEEEPS6_NSA_18transform_iteratorI7is_evenIjESF_NSA_11use_defaultESK_EENS0_5tupleIJSF_SF_EEENSM_IJSG_SG_EEES6_PlJS6_EEE10hipError_tPvRmT3_T4_T5_T6_T7_T9_mT8_P12ihipStream_tbDpT10_ENKUlT_T0_E_clISt17integral_constantIbLb0EES19_EEDaS14_S15_EUlS14_E_NS1_11comp_targetILNS1_3genE3ELNS1_11target_archE908ELNS1_3gpuE7ELNS1_3repE0EEENS1_30default_config_static_selectorELNS0_4arch9wavefront6targetE1EEEvT1_
                                        ; -- End function
	.section	.AMDGPU.csdata,"",@progbits
; Kernel info:
; codeLenInByte = 0
; NumSgprs: 6
; NumVgprs: 0
; NumAgprs: 0
; TotalNumVgprs: 0
; ScratchSize: 0
; MemoryBound: 0
; FloatMode: 240
; IeeeMode: 1
; LDSByteSize: 0 bytes/workgroup (compile time only)
; SGPRBlocks: 0
; VGPRBlocks: 0
; NumSGPRsForWavesPerEU: 6
; NumVGPRsForWavesPerEU: 1
; AccumOffset: 4
; Occupancy: 8
; WaveLimiterHint : 0
; COMPUTE_PGM_RSRC2:SCRATCH_EN: 0
; COMPUTE_PGM_RSRC2:USER_SGPR: 2
; COMPUTE_PGM_RSRC2:TRAP_HANDLER: 0
; COMPUTE_PGM_RSRC2:TGID_X_EN: 1
; COMPUTE_PGM_RSRC2:TGID_Y_EN: 0
; COMPUTE_PGM_RSRC2:TGID_Z_EN: 0
; COMPUTE_PGM_RSRC2:TIDIG_COMP_CNT: 0
; COMPUTE_PGM_RSRC3_GFX90A:ACCUM_OFFSET: 0
; COMPUTE_PGM_RSRC3_GFX90A:TG_SPLIT: 0
	.section	.text._ZN7rocprim17ROCPRIM_400000_NS6detail17trampoline_kernelINS0_14default_configENS1_25partition_config_selectorILNS1_17partition_subalgoE1EjNS0_10empty_typeEbEEZZNS1_14partition_implILS5_1ELb0ES3_jN6thrust23THRUST_200600_302600_NS6detail15normal_iteratorINSA_10device_ptrIjEEEEPS6_NSA_18transform_iteratorI7is_evenIjESF_NSA_11use_defaultESK_EENS0_5tupleIJSF_SF_EEENSM_IJSG_SG_EEES6_PlJS6_EEE10hipError_tPvRmT3_T4_T5_T6_T7_T9_mT8_P12ihipStream_tbDpT10_ENKUlT_T0_E_clISt17integral_constantIbLb0EES19_EEDaS14_S15_EUlS14_E_NS1_11comp_targetILNS1_3genE2ELNS1_11target_archE906ELNS1_3gpuE6ELNS1_3repE0EEENS1_30default_config_static_selectorELNS0_4arch9wavefront6targetE1EEEvT1_,"axG",@progbits,_ZN7rocprim17ROCPRIM_400000_NS6detail17trampoline_kernelINS0_14default_configENS1_25partition_config_selectorILNS1_17partition_subalgoE1EjNS0_10empty_typeEbEEZZNS1_14partition_implILS5_1ELb0ES3_jN6thrust23THRUST_200600_302600_NS6detail15normal_iteratorINSA_10device_ptrIjEEEEPS6_NSA_18transform_iteratorI7is_evenIjESF_NSA_11use_defaultESK_EENS0_5tupleIJSF_SF_EEENSM_IJSG_SG_EEES6_PlJS6_EEE10hipError_tPvRmT3_T4_T5_T6_T7_T9_mT8_P12ihipStream_tbDpT10_ENKUlT_T0_E_clISt17integral_constantIbLb0EES19_EEDaS14_S15_EUlS14_E_NS1_11comp_targetILNS1_3genE2ELNS1_11target_archE906ELNS1_3gpuE6ELNS1_3repE0EEENS1_30default_config_static_selectorELNS0_4arch9wavefront6targetE1EEEvT1_,comdat
	.protected	_ZN7rocprim17ROCPRIM_400000_NS6detail17trampoline_kernelINS0_14default_configENS1_25partition_config_selectorILNS1_17partition_subalgoE1EjNS0_10empty_typeEbEEZZNS1_14partition_implILS5_1ELb0ES3_jN6thrust23THRUST_200600_302600_NS6detail15normal_iteratorINSA_10device_ptrIjEEEEPS6_NSA_18transform_iteratorI7is_evenIjESF_NSA_11use_defaultESK_EENS0_5tupleIJSF_SF_EEENSM_IJSG_SG_EEES6_PlJS6_EEE10hipError_tPvRmT3_T4_T5_T6_T7_T9_mT8_P12ihipStream_tbDpT10_ENKUlT_T0_E_clISt17integral_constantIbLb0EES19_EEDaS14_S15_EUlS14_E_NS1_11comp_targetILNS1_3genE2ELNS1_11target_archE906ELNS1_3gpuE6ELNS1_3repE0EEENS1_30default_config_static_selectorELNS0_4arch9wavefront6targetE1EEEvT1_ ; -- Begin function _ZN7rocprim17ROCPRIM_400000_NS6detail17trampoline_kernelINS0_14default_configENS1_25partition_config_selectorILNS1_17partition_subalgoE1EjNS0_10empty_typeEbEEZZNS1_14partition_implILS5_1ELb0ES3_jN6thrust23THRUST_200600_302600_NS6detail15normal_iteratorINSA_10device_ptrIjEEEEPS6_NSA_18transform_iteratorI7is_evenIjESF_NSA_11use_defaultESK_EENS0_5tupleIJSF_SF_EEENSM_IJSG_SG_EEES6_PlJS6_EEE10hipError_tPvRmT3_T4_T5_T6_T7_T9_mT8_P12ihipStream_tbDpT10_ENKUlT_T0_E_clISt17integral_constantIbLb0EES19_EEDaS14_S15_EUlS14_E_NS1_11comp_targetILNS1_3genE2ELNS1_11target_archE906ELNS1_3gpuE6ELNS1_3repE0EEENS1_30default_config_static_selectorELNS0_4arch9wavefront6targetE1EEEvT1_
	.globl	_ZN7rocprim17ROCPRIM_400000_NS6detail17trampoline_kernelINS0_14default_configENS1_25partition_config_selectorILNS1_17partition_subalgoE1EjNS0_10empty_typeEbEEZZNS1_14partition_implILS5_1ELb0ES3_jN6thrust23THRUST_200600_302600_NS6detail15normal_iteratorINSA_10device_ptrIjEEEEPS6_NSA_18transform_iteratorI7is_evenIjESF_NSA_11use_defaultESK_EENS0_5tupleIJSF_SF_EEENSM_IJSG_SG_EEES6_PlJS6_EEE10hipError_tPvRmT3_T4_T5_T6_T7_T9_mT8_P12ihipStream_tbDpT10_ENKUlT_T0_E_clISt17integral_constantIbLb0EES19_EEDaS14_S15_EUlS14_E_NS1_11comp_targetILNS1_3genE2ELNS1_11target_archE906ELNS1_3gpuE6ELNS1_3repE0EEENS1_30default_config_static_selectorELNS0_4arch9wavefront6targetE1EEEvT1_
	.p2align	8
	.type	_ZN7rocprim17ROCPRIM_400000_NS6detail17trampoline_kernelINS0_14default_configENS1_25partition_config_selectorILNS1_17partition_subalgoE1EjNS0_10empty_typeEbEEZZNS1_14partition_implILS5_1ELb0ES3_jN6thrust23THRUST_200600_302600_NS6detail15normal_iteratorINSA_10device_ptrIjEEEEPS6_NSA_18transform_iteratorI7is_evenIjESF_NSA_11use_defaultESK_EENS0_5tupleIJSF_SF_EEENSM_IJSG_SG_EEES6_PlJS6_EEE10hipError_tPvRmT3_T4_T5_T6_T7_T9_mT8_P12ihipStream_tbDpT10_ENKUlT_T0_E_clISt17integral_constantIbLb0EES19_EEDaS14_S15_EUlS14_E_NS1_11comp_targetILNS1_3genE2ELNS1_11target_archE906ELNS1_3gpuE6ELNS1_3repE0EEENS1_30default_config_static_selectorELNS0_4arch9wavefront6targetE1EEEvT1_,@function
_ZN7rocprim17ROCPRIM_400000_NS6detail17trampoline_kernelINS0_14default_configENS1_25partition_config_selectorILNS1_17partition_subalgoE1EjNS0_10empty_typeEbEEZZNS1_14partition_implILS5_1ELb0ES3_jN6thrust23THRUST_200600_302600_NS6detail15normal_iteratorINSA_10device_ptrIjEEEEPS6_NSA_18transform_iteratorI7is_evenIjESF_NSA_11use_defaultESK_EENS0_5tupleIJSF_SF_EEENSM_IJSG_SG_EEES6_PlJS6_EEE10hipError_tPvRmT3_T4_T5_T6_T7_T9_mT8_P12ihipStream_tbDpT10_ENKUlT_T0_E_clISt17integral_constantIbLb0EES19_EEDaS14_S15_EUlS14_E_NS1_11comp_targetILNS1_3genE2ELNS1_11target_archE906ELNS1_3gpuE6ELNS1_3repE0EEENS1_30default_config_static_selectorELNS0_4arch9wavefront6targetE1EEEvT1_: ; @_ZN7rocprim17ROCPRIM_400000_NS6detail17trampoline_kernelINS0_14default_configENS1_25partition_config_selectorILNS1_17partition_subalgoE1EjNS0_10empty_typeEbEEZZNS1_14partition_implILS5_1ELb0ES3_jN6thrust23THRUST_200600_302600_NS6detail15normal_iteratorINSA_10device_ptrIjEEEEPS6_NSA_18transform_iteratorI7is_evenIjESF_NSA_11use_defaultESK_EENS0_5tupleIJSF_SF_EEENSM_IJSG_SG_EEES6_PlJS6_EEE10hipError_tPvRmT3_T4_T5_T6_T7_T9_mT8_P12ihipStream_tbDpT10_ENKUlT_T0_E_clISt17integral_constantIbLb0EES19_EEDaS14_S15_EUlS14_E_NS1_11comp_targetILNS1_3genE2ELNS1_11target_archE906ELNS1_3gpuE6ELNS1_3repE0EEENS1_30default_config_static_selectorELNS0_4arch9wavefront6targetE1EEEvT1_
; %bb.0:
	.section	.rodata,"a",@progbits
	.p2align	6, 0x0
	.amdhsa_kernel _ZN7rocprim17ROCPRIM_400000_NS6detail17trampoline_kernelINS0_14default_configENS1_25partition_config_selectorILNS1_17partition_subalgoE1EjNS0_10empty_typeEbEEZZNS1_14partition_implILS5_1ELb0ES3_jN6thrust23THRUST_200600_302600_NS6detail15normal_iteratorINSA_10device_ptrIjEEEEPS6_NSA_18transform_iteratorI7is_evenIjESF_NSA_11use_defaultESK_EENS0_5tupleIJSF_SF_EEENSM_IJSG_SG_EEES6_PlJS6_EEE10hipError_tPvRmT3_T4_T5_T6_T7_T9_mT8_P12ihipStream_tbDpT10_ENKUlT_T0_E_clISt17integral_constantIbLb0EES19_EEDaS14_S15_EUlS14_E_NS1_11comp_targetILNS1_3genE2ELNS1_11target_archE906ELNS1_3gpuE6ELNS1_3repE0EEENS1_30default_config_static_selectorELNS0_4arch9wavefront6targetE1EEEvT1_
		.amdhsa_group_segment_fixed_size 0
		.amdhsa_private_segment_fixed_size 0
		.amdhsa_kernarg_size 128
		.amdhsa_user_sgpr_count 2
		.amdhsa_user_sgpr_dispatch_ptr 0
		.amdhsa_user_sgpr_queue_ptr 0
		.amdhsa_user_sgpr_kernarg_segment_ptr 1
		.amdhsa_user_sgpr_dispatch_id 0
		.amdhsa_user_sgpr_kernarg_preload_length 0
		.amdhsa_user_sgpr_kernarg_preload_offset 0
		.amdhsa_user_sgpr_private_segment_size 0
		.amdhsa_uses_dynamic_stack 0
		.amdhsa_enable_private_segment 0
		.amdhsa_system_sgpr_workgroup_id_x 1
		.amdhsa_system_sgpr_workgroup_id_y 0
		.amdhsa_system_sgpr_workgroup_id_z 0
		.amdhsa_system_sgpr_workgroup_info 0
		.amdhsa_system_vgpr_workitem_id 0
		.amdhsa_next_free_vgpr 1
		.amdhsa_next_free_sgpr 0
		.amdhsa_accum_offset 4
		.amdhsa_reserve_vcc 0
		.amdhsa_float_round_mode_32 0
		.amdhsa_float_round_mode_16_64 0
		.amdhsa_float_denorm_mode_32 3
		.amdhsa_float_denorm_mode_16_64 3
		.amdhsa_dx10_clamp 1
		.amdhsa_ieee_mode 1
		.amdhsa_fp16_overflow 0
		.amdhsa_tg_split 0
		.amdhsa_exception_fp_ieee_invalid_op 0
		.amdhsa_exception_fp_denorm_src 0
		.amdhsa_exception_fp_ieee_div_zero 0
		.amdhsa_exception_fp_ieee_overflow 0
		.amdhsa_exception_fp_ieee_underflow 0
		.amdhsa_exception_fp_ieee_inexact 0
		.amdhsa_exception_int_div_zero 0
	.end_amdhsa_kernel
	.section	.text._ZN7rocprim17ROCPRIM_400000_NS6detail17trampoline_kernelINS0_14default_configENS1_25partition_config_selectorILNS1_17partition_subalgoE1EjNS0_10empty_typeEbEEZZNS1_14partition_implILS5_1ELb0ES3_jN6thrust23THRUST_200600_302600_NS6detail15normal_iteratorINSA_10device_ptrIjEEEEPS6_NSA_18transform_iteratorI7is_evenIjESF_NSA_11use_defaultESK_EENS0_5tupleIJSF_SF_EEENSM_IJSG_SG_EEES6_PlJS6_EEE10hipError_tPvRmT3_T4_T5_T6_T7_T9_mT8_P12ihipStream_tbDpT10_ENKUlT_T0_E_clISt17integral_constantIbLb0EES19_EEDaS14_S15_EUlS14_E_NS1_11comp_targetILNS1_3genE2ELNS1_11target_archE906ELNS1_3gpuE6ELNS1_3repE0EEENS1_30default_config_static_selectorELNS0_4arch9wavefront6targetE1EEEvT1_,"axG",@progbits,_ZN7rocprim17ROCPRIM_400000_NS6detail17trampoline_kernelINS0_14default_configENS1_25partition_config_selectorILNS1_17partition_subalgoE1EjNS0_10empty_typeEbEEZZNS1_14partition_implILS5_1ELb0ES3_jN6thrust23THRUST_200600_302600_NS6detail15normal_iteratorINSA_10device_ptrIjEEEEPS6_NSA_18transform_iteratorI7is_evenIjESF_NSA_11use_defaultESK_EENS0_5tupleIJSF_SF_EEENSM_IJSG_SG_EEES6_PlJS6_EEE10hipError_tPvRmT3_T4_T5_T6_T7_T9_mT8_P12ihipStream_tbDpT10_ENKUlT_T0_E_clISt17integral_constantIbLb0EES19_EEDaS14_S15_EUlS14_E_NS1_11comp_targetILNS1_3genE2ELNS1_11target_archE906ELNS1_3gpuE6ELNS1_3repE0EEENS1_30default_config_static_selectorELNS0_4arch9wavefront6targetE1EEEvT1_,comdat
.Lfunc_end2239:
	.size	_ZN7rocprim17ROCPRIM_400000_NS6detail17trampoline_kernelINS0_14default_configENS1_25partition_config_selectorILNS1_17partition_subalgoE1EjNS0_10empty_typeEbEEZZNS1_14partition_implILS5_1ELb0ES3_jN6thrust23THRUST_200600_302600_NS6detail15normal_iteratorINSA_10device_ptrIjEEEEPS6_NSA_18transform_iteratorI7is_evenIjESF_NSA_11use_defaultESK_EENS0_5tupleIJSF_SF_EEENSM_IJSG_SG_EEES6_PlJS6_EEE10hipError_tPvRmT3_T4_T5_T6_T7_T9_mT8_P12ihipStream_tbDpT10_ENKUlT_T0_E_clISt17integral_constantIbLb0EES19_EEDaS14_S15_EUlS14_E_NS1_11comp_targetILNS1_3genE2ELNS1_11target_archE906ELNS1_3gpuE6ELNS1_3repE0EEENS1_30default_config_static_selectorELNS0_4arch9wavefront6targetE1EEEvT1_, .Lfunc_end2239-_ZN7rocprim17ROCPRIM_400000_NS6detail17trampoline_kernelINS0_14default_configENS1_25partition_config_selectorILNS1_17partition_subalgoE1EjNS0_10empty_typeEbEEZZNS1_14partition_implILS5_1ELb0ES3_jN6thrust23THRUST_200600_302600_NS6detail15normal_iteratorINSA_10device_ptrIjEEEEPS6_NSA_18transform_iteratorI7is_evenIjESF_NSA_11use_defaultESK_EENS0_5tupleIJSF_SF_EEENSM_IJSG_SG_EEES6_PlJS6_EEE10hipError_tPvRmT3_T4_T5_T6_T7_T9_mT8_P12ihipStream_tbDpT10_ENKUlT_T0_E_clISt17integral_constantIbLb0EES19_EEDaS14_S15_EUlS14_E_NS1_11comp_targetILNS1_3genE2ELNS1_11target_archE906ELNS1_3gpuE6ELNS1_3repE0EEENS1_30default_config_static_selectorELNS0_4arch9wavefront6targetE1EEEvT1_
                                        ; -- End function
	.section	.AMDGPU.csdata,"",@progbits
; Kernel info:
; codeLenInByte = 0
; NumSgprs: 6
; NumVgprs: 0
; NumAgprs: 0
; TotalNumVgprs: 0
; ScratchSize: 0
; MemoryBound: 0
; FloatMode: 240
; IeeeMode: 1
; LDSByteSize: 0 bytes/workgroup (compile time only)
; SGPRBlocks: 0
; VGPRBlocks: 0
; NumSGPRsForWavesPerEU: 6
; NumVGPRsForWavesPerEU: 1
; AccumOffset: 4
; Occupancy: 8
; WaveLimiterHint : 0
; COMPUTE_PGM_RSRC2:SCRATCH_EN: 0
; COMPUTE_PGM_RSRC2:USER_SGPR: 2
; COMPUTE_PGM_RSRC2:TRAP_HANDLER: 0
; COMPUTE_PGM_RSRC2:TGID_X_EN: 1
; COMPUTE_PGM_RSRC2:TGID_Y_EN: 0
; COMPUTE_PGM_RSRC2:TGID_Z_EN: 0
; COMPUTE_PGM_RSRC2:TIDIG_COMP_CNT: 0
; COMPUTE_PGM_RSRC3_GFX90A:ACCUM_OFFSET: 0
; COMPUTE_PGM_RSRC3_GFX90A:TG_SPLIT: 0
	.section	.text._ZN7rocprim17ROCPRIM_400000_NS6detail17trampoline_kernelINS0_14default_configENS1_25partition_config_selectorILNS1_17partition_subalgoE1EjNS0_10empty_typeEbEEZZNS1_14partition_implILS5_1ELb0ES3_jN6thrust23THRUST_200600_302600_NS6detail15normal_iteratorINSA_10device_ptrIjEEEEPS6_NSA_18transform_iteratorI7is_evenIjESF_NSA_11use_defaultESK_EENS0_5tupleIJSF_SF_EEENSM_IJSG_SG_EEES6_PlJS6_EEE10hipError_tPvRmT3_T4_T5_T6_T7_T9_mT8_P12ihipStream_tbDpT10_ENKUlT_T0_E_clISt17integral_constantIbLb0EES19_EEDaS14_S15_EUlS14_E_NS1_11comp_targetILNS1_3genE10ELNS1_11target_archE1200ELNS1_3gpuE4ELNS1_3repE0EEENS1_30default_config_static_selectorELNS0_4arch9wavefront6targetE1EEEvT1_,"axG",@progbits,_ZN7rocprim17ROCPRIM_400000_NS6detail17trampoline_kernelINS0_14default_configENS1_25partition_config_selectorILNS1_17partition_subalgoE1EjNS0_10empty_typeEbEEZZNS1_14partition_implILS5_1ELb0ES3_jN6thrust23THRUST_200600_302600_NS6detail15normal_iteratorINSA_10device_ptrIjEEEEPS6_NSA_18transform_iteratorI7is_evenIjESF_NSA_11use_defaultESK_EENS0_5tupleIJSF_SF_EEENSM_IJSG_SG_EEES6_PlJS6_EEE10hipError_tPvRmT3_T4_T5_T6_T7_T9_mT8_P12ihipStream_tbDpT10_ENKUlT_T0_E_clISt17integral_constantIbLb0EES19_EEDaS14_S15_EUlS14_E_NS1_11comp_targetILNS1_3genE10ELNS1_11target_archE1200ELNS1_3gpuE4ELNS1_3repE0EEENS1_30default_config_static_selectorELNS0_4arch9wavefront6targetE1EEEvT1_,comdat
	.protected	_ZN7rocprim17ROCPRIM_400000_NS6detail17trampoline_kernelINS0_14default_configENS1_25partition_config_selectorILNS1_17partition_subalgoE1EjNS0_10empty_typeEbEEZZNS1_14partition_implILS5_1ELb0ES3_jN6thrust23THRUST_200600_302600_NS6detail15normal_iteratorINSA_10device_ptrIjEEEEPS6_NSA_18transform_iteratorI7is_evenIjESF_NSA_11use_defaultESK_EENS0_5tupleIJSF_SF_EEENSM_IJSG_SG_EEES6_PlJS6_EEE10hipError_tPvRmT3_T4_T5_T6_T7_T9_mT8_P12ihipStream_tbDpT10_ENKUlT_T0_E_clISt17integral_constantIbLb0EES19_EEDaS14_S15_EUlS14_E_NS1_11comp_targetILNS1_3genE10ELNS1_11target_archE1200ELNS1_3gpuE4ELNS1_3repE0EEENS1_30default_config_static_selectorELNS0_4arch9wavefront6targetE1EEEvT1_ ; -- Begin function _ZN7rocprim17ROCPRIM_400000_NS6detail17trampoline_kernelINS0_14default_configENS1_25partition_config_selectorILNS1_17partition_subalgoE1EjNS0_10empty_typeEbEEZZNS1_14partition_implILS5_1ELb0ES3_jN6thrust23THRUST_200600_302600_NS6detail15normal_iteratorINSA_10device_ptrIjEEEEPS6_NSA_18transform_iteratorI7is_evenIjESF_NSA_11use_defaultESK_EENS0_5tupleIJSF_SF_EEENSM_IJSG_SG_EEES6_PlJS6_EEE10hipError_tPvRmT3_T4_T5_T6_T7_T9_mT8_P12ihipStream_tbDpT10_ENKUlT_T0_E_clISt17integral_constantIbLb0EES19_EEDaS14_S15_EUlS14_E_NS1_11comp_targetILNS1_3genE10ELNS1_11target_archE1200ELNS1_3gpuE4ELNS1_3repE0EEENS1_30default_config_static_selectorELNS0_4arch9wavefront6targetE1EEEvT1_
	.globl	_ZN7rocprim17ROCPRIM_400000_NS6detail17trampoline_kernelINS0_14default_configENS1_25partition_config_selectorILNS1_17partition_subalgoE1EjNS0_10empty_typeEbEEZZNS1_14partition_implILS5_1ELb0ES3_jN6thrust23THRUST_200600_302600_NS6detail15normal_iteratorINSA_10device_ptrIjEEEEPS6_NSA_18transform_iteratorI7is_evenIjESF_NSA_11use_defaultESK_EENS0_5tupleIJSF_SF_EEENSM_IJSG_SG_EEES6_PlJS6_EEE10hipError_tPvRmT3_T4_T5_T6_T7_T9_mT8_P12ihipStream_tbDpT10_ENKUlT_T0_E_clISt17integral_constantIbLb0EES19_EEDaS14_S15_EUlS14_E_NS1_11comp_targetILNS1_3genE10ELNS1_11target_archE1200ELNS1_3gpuE4ELNS1_3repE0EEENS1_30default_config_static_selectorELNS0_4arch9wavefront6targetE1EEEvT1_
	.p2align	8
	.type	_ZN7rocprim17ROCPRIM_400000_NS6detail17trampoline_kernelINS0_14default_configENS1_25partition_config_selectorILNS1_17partition_subalgoE1EjNS0_10empty_typeEbEEZZNS1_14partition_implILS5_1ELb0ES3_jN6thrust23THRUST_200600_302600_NS6detail15normal_iteratorINSA_10device_ptrIjEEEEPS6_NSA_18transform_iteratorI7is_evenIjESF_NSA_11use_defaultESK_EENS0_5tupleIJSF_SF_EEENSM_IJSG_SG_EEES6_PlJS6_EEE10hipError_tPvRmT3_T4_T5_T6_T7_T9_mT8_P12ihipStream_tbDpT10_ENKUlT_T0_E_clISt17integral_constantIbLb0EES19_EEDaS14_S15_EUlS14_E_NS1_11comp_targetILNS1_3genE10ELNS1_11target_archE1200ELNS1_3gpuE4ELNS1_3repE0EEENS1_30default_config_static_selectorELNS0_4arch9wavefront6targetE1EEEvT1_,@function
_ZN7rocprim17ROCPRIM_400000_NS6detail17trampoline_kernelINS0_14default_configENS1_25partition_config_selectorILNS1_17partition_subalgoE1EjNS0_10empty_typeEbEEZZNS1_14partition_implILS5_1ELb0ES3_jN6thrust23THRUST_200600_302600_NS6detail15normal_iteratorINSA_10device_ptrIjEEEEPS6_NSA_18transform_iteratorI7is_evenIjESF_NSA_11use_defaultESK_EENS0_5tupleIJSF_SF_EEENSM_IJSG_SG_EEES6_PlJS6_EEE10hipError_tPvRmT3_T4_T5_T6_T7_T9_mT8_P12ihipStream_tbDpT10_ENKUlT_T0_E_clISt17integral_constantIbLb0EES19_EEDaS14_S15_EUlS14_E_NS1_11comp_targetILNS1_3genE10ELNS1_11target_archE1200ELNS1_3gpuE4ELNS1_3repE0EEENS1_30default_config_static_selectorELNS0_4arch9wavefront6targetE1EEEvT1_: ; @_ZN7rocprim17ROCPRIM_400000_NS6detail17trampoline_kernelINS0_14default_configENS1_25partition_config_selectorILNS1_17partition_subalgoE1EjNS0_10empty_typeEbEEZZNS1_14partition_implILS5_1ELb0ES3_jN6thrust23THRUST_200600_302600_NS6detail15normal_iteratorINSA_10device_ptrIjEEEEPS6_NSA_18transform_iteratorI7is_evenIjESF_NSA_11use_defaultESK_EENS0_5tupleIJSF_SF_EEENSM_IJSG_SG_EEES6_PlJS6_EEE10hipError_tPvRmT3_T4_T5_T6_T7_T9_mT8_P12ihipStream_tbDpT10_ENKUlT_T0_E_clISt17integral_constantIbLb0EES19_EEDaS14_S15_EUlS14_E_NS1_11comp_targetILNS1_3genE10ELNS1_11target_archE1200ELNS1_3gpuE4ELNS1_3repE0EEENS1_30default_config_static_selectorELNS0_4arch9wavefront6targetE1EEEvT1_
; %bb.0:
	.section	.rodata,"a",@progbits
	.p2align	6, 0x0
	.amdhsa_kernel _ZN7rocprim17ROCPRIM_400000_NS6detail17trampoline_kernelINS0_14default_configENS1_25partition_config_selectorILNS1_17partition_subalgoE1EjNS0_10empty_typeEbEEZZNS1_14partition_implILS5_1ELb0ES3_jN6thrust23THRUST_200600_302600_NS6detail15normal_iteratorINSA_10device_ptrIjEEEEPS6_NSA_18transform_iteratorI7is_evenIjESF_NSA_11use_defaultESK_EENS0_5tupleIJSF_SF_EEENSM_IJSG_SG_EEES6_PlJS6_EEE10hipError_tPvRmT3_T4_T5_T6_T7_T9_mT8_P12ihipStream_tbDpT10_ENKUlT_T0_E_clISt17integral_constantIbLb0EES19_EEDaS14_S15_EUlS14_E_NS1_11comp_targetILNS1_3genE10ELNS1_11target_archE1200ELNS1_3gpuE4ELNS1_3repE0EEENS1_30default_config_static_selectorELNS0_4arch9wavefront6targetE1EEEvT1_
		.amdhsa_group_segment_fixed_size 0
		.amdhsa_private_segment_fixed_size 0
		.amdhsa_kernarg_size 128
		.amdhsa_user_sgpr_count 2
		.amdhsa_user_sgpr_dispatch_ptr 0
		.amdhsa_user_sgpr_queue_ptr 0
		.amdhsa_user_sgpr_kernarg_segment_ptr 1
		.amdhsa_user_sgpr_dispatch_id 0
		.amdhsa_user_sgpr_kernarg_preload_length 0
		.amdhsa_user_sgpr_kernarg_preload_offset 0
		.amdhsa_user_sgpr_private_segment_size 0
		.amdhsa_uses_dynamic_stack 0
		.amdhsa_enable_private_segment 0
		.amdhsa_system_sgpr_workgroup_id_x 1
		.amdhsa_system_sgpr_workgroup_id_y 0
		.amdhsa_system_sgpr_workgroup_id_z 0
		.amdhsa_system_sgpr_workgroup_info 0
		.amdhsa_system_vgpr_workitem_id 0
		.amdhsa_next_free_vgpr 1
		.amdhsa_next_free_sgpr 0
		.amdhsa_accum_offset 4
		.amdhsa_reserve_vcc 0
		.amdhsa_float_round_mode_32 0
		.amdhsa_float_round_mode_16_64 0
		.amdhsa_float_denorm_mode_32 3
		.amdhsa_float_denorm_mode_16_64 3
		.amdhsa_dx10_clamp 1
		.amdhsa_ieee_mode 1
		.amdhsa_fp16_overflow 0
		.amdhsa_tg_split 0
		.amdhsa_exception_fp_ieee_invalid_op 0
		.amdhsa_exception_fp_denorm_src 0
		.amdhsa_exception_fp_ieee_div_zero 0
		.amdhsa_exception_fp_ieee_overflow 0
		.amdhsa_exception_fp_ieee_underflow 0
		.amdhsa_exception_fp_ieee_inexact 0
		.amdhsa_exception_int_div_zero 0
	.end_amdhsa_kernel
	.section	.text._ZN7rocprim17ROCPRIM_400000_NS6detail17trampoline_kernelINS0_14default_configENS1_25partition_config_selectorILNS1_17partition_subalgoE1EjNS0_10empty_typeEbEEZZNS1_14partition_implILS5_1ELb0ES3_jN6thrust23THRUST_200600_302600_NS6detail15normal_iteratorINSA_10device_ptrIjEEEEPS6_NSA_18transform_iteratorI7is_evenIjESF_NSA_11use_defaultESK_EENS0_5tupleIJSF_SF_EEENSM_IJSG_SG_EEES6_PlJS6_EEE10hipError_tPvRmT3_T4_T5_T6_T7_T9_mT8_P12ihipStream_tbDpT10_ENKUlT_T0_E_clISt17integral_constantIbLb0EES19_EEDaS14_S15_EUlS14_E_NS1_11comp_targetILNS1_3genE10ELNS1_11target_archE1200ELNS1_3gpuE4ELNS1_3repE0EEENS1_30default_config_static_selectorELNS0_4arch9wavefront6targetE1EEEvT1_,"axG",@progbits,_ZN7rocprim17ROCPRIM_400000_NS6detail17trampoline_kernelINS0_14default_configENS1_25partition_config_selectorILNS1_17partition_subalgoE1EjNS0_10empty_typeEbEEZZNS1_14partition_implILS5_1ELb0ES3_jN6thrust23THRUST_200600_302600_NS6detail15normal_iteratorINSA_10device_ptrIjEEEEPS6_NSA_18transform_iteratorI7is_evenIjESF_NSA_11use_defaultESK_EENS0_5tupleIJSF_SF_EEENSM_IJSG_SG_EEES6_PlJS6_EEE10hipError_tPvRmT3_T4_T5_T6_T7_T9_mT8_P12ihipStream_tbDpT10_ENKUlT_T0_E_clISt17integral_constantIbLb0EES19_EEDaS14_S15_EUlS14_E_NS1_11comp_targetILNS1_3genE10ELNS1_11target_archE1200ELNS1_3gpuE4ELNS1_3repE0EEENS1_30default_config_static_selectorELNS0_4arch9wavefront6targetE1EEEvT1_,comdat
.Lfunc_end2240:
	.size	_ZN7rocprim17ROCPRIM_400000_NS6detail17trampoline_kernelINS0_14default_configENS1_25partition_config_selectorILNS1_17partition_subalgoE1EjNS0_10empty_typeEbEEZZNS1_14partition_implILS5_1ELb0ES3_jN6thrust23THRUST_200600_302600_NS6detail15normal_iteratorINSA_10device_ptrIjEEEEPS6_NSA_18transform_iteratorI7is_evenIjESF_NSA_11use_defaultESK_EENS0_5tupleIJSF_SF_EEENSM_IJSG_SG_EEES6_PlJS6_EEE10hipError_tPvRmT3_T4_T5_T6_T7_T9_mT8_P12ihipStream_tbDpT10_ENKUlT_T0_E_clISt17integral_constantIbLb0EES19_EEDaS14_S15_EUlS14_E_NS1_11comp_targetILNS1_3genE10ELNS1_11target_archE1200ELNS1_3gpuE4ELNS1_3repE0EEENS1_30default_config_static_selectorELNS0_4arch9wavefront6targetE1EEEvT1_, .Lfunc_end2240-_ZN7rocprim17ROCPRIM_400000_NS6detail17trampoline_kernelINS0_14default_configENS1_25partition_config_selectorILNS1_17partition_subalgoE1EjNS0_10empty_typeEbEEZZNS1_14partition_implILS5_1ELb0ES3_jN6thrust23THRUST_200600_302600_NS6detail15normal_iteratorINSA_10device_ptrIjEEEEPS6_NSA_18transform_iteratorI7is_evenIjESF_NSA_11use_defaultESK_EENS0_5tupleIJSF_SF_EEENSM_IJSG_SG_EEES6_PlJS6_EEE10hipError_tPvRmT3_T4_T5_T6_T7_T9_mT8_P12ihipStream_tbDpT10_ENKUlT_T0_E_clISt17integral_constantIbLb0EES19_EEDaS14_S15_EUlS14_E_NS1_11comp_targetILNS1_3genE10ELNS1_11target_archE1200ELNS1_3gpuE4ELNS1_3repE0EEENS1_30default_config_static_selectorELNS0_4arch9wavefront6targetE1EEEvT1_
                                        ; -- End function
	.section	.AMDGPU.csdata,"",@progbits
; Kernel info:
; codeLenInByte = 0
; NumSgprs: 6
; NumVgprs: 0
; NumAgprs: 0
; TotalNumVgprs: 0
; ScratchSize: 0
; MemoryBound: 0
; FloatMode: 240
; IeeeMode: 1
; LDSByteSize: 0 bytes/workgroup (compile time only)
; SGPRBlocks: 0
; VGPRBlocks: 0
; NumSGPRsForWavesPerEU: 6
; NumVGPRsForWavesPerEU: 1
; AccumOffset: 4
; Occupancy: 8
; WaveLimiterHint : 0
; COMPUTE_PGM_RSRC2:SCRATCH_EN: 0
; COMPUTE_PGM_RSRC2:USER_SGPR: 2
; COMPUTE_PGM_RSRC2:TRAP_HANDLER: 0
; COMPUTE_PGM_RSRC2:TGID_X_EN: 1
; COMPUTE_PGM_RSRC2:TGID_Y_EN: 0
; COMPUTE_PGM_RSRC2:TGID_Z_EN: 0
; COMPUTE_PGM_RSRC2:TIDIG_COMP_CNT: 0
; COMPUTE_PGM_RSRC3_GFX90A:ACCUM_OFFSET: 0
; COMPUTE_PGM_RSRC3_GFX90A:TG_SPLIT: 0
	.section	.text._ZN7rocprim17ROCPRIM_400000_NS6detail17trampoline_kernelINS0_14default_configENS1_25partition_config_selectorILNS1_17partition_subalgoE1EjNS0_10empty_typeEbEEZZNS1_14partition_implILS5_1ELb0ES3_jN6thrust23THRUST_200600_302600_NS6detail15normal_iteratorINSA_10device_ptrIjEEEEPS6_NSA_18transform_iteratorI7is_evenIjESF_NSA_11use_defaultESK_EENS0_5tupleIJSF_SF_EEENSM_IJSG_SG_EEES6_PlJS6_EEE10hipError_tPvRmT3_T4_T5_T6_T7_T9_mT8_P12ihipStream_tbDpT10_ENKUlT_T0_E_clISt17integral_constantIbLb0EES19_EEDaS14_S15_EUlS14_E_NS1_11comp_targetILNS1_3genE9ELNS1_11target_archE1100ELNS1_3gpuE3ELNS1_3repE0EEENS1_30default_config_static_selectorELNS0_4arch9wavefront6targetE1EEEvT1_,"axG",@progbits,_ZN7rocprim17ROCPRIM_400000_NS6detail17trampoline_kernelINS0_14default_configENS1_25partition_config_selectorILNS1_17partition_subalgoE1EjNS0_10empty_typeEbEEZZNS1_14partition_implILS5_1ELb0ES3_jN6thrust23THRUST_200600_302600_NS6detail15normal_iteratorINSA_10device_ptrIjEEEEPS6_NSA_18transform_iteratorI7is_evenIjESF_NSA_11use_defaultESK_EENS0_5tupleIJSF_SF_EEENSM_IJSG_SG_EEES6_PlJS6_EEE10hipError_tPvRmT3_T4_T5_T6_T7_T9_mT8_P12ihipStream_tbDpT10_ENKUlT_T0_E_clISt17integral_constantIbLb0EES19_EEDaS14_S15_EUlS14_E_NS1_11comp_targetILNS1_3genE9ELNS1_11target_archE1100ELNS1_3gpuE3ELNS1_3repE0EEENS1_30default_config_static_selectorELNS0_4arch9wavefront6targetE1EEEvT1_,comdat
	.protected	_ZN7rocprim17ROCPRIM_400000_NS6detail17trampoline_kernelINS0_14default_configENS1_25partition_config_selectorILNS1_17partition_subalgoE1EjNS0_10empty_typeEbEEZZNS1_14partition_implILS5_1ELb0ES3_jN6thrust23THRUST_200600_302600_NS6detail15normal_iteratorINSA_10device_ptrIjEEEEPS6_NSA_18transform_iteratorI7is_evenIjESF_NSA_11use_defaultESK_EENS0_5tupleIJSF_SF_EEENSM_IJSG_SG_EEES6_PlJS6_EEE10hipError_tPvRmT3_T4_T5_T6_T7_T9_mT8_P12ihipStream_tbDpT10_ENKUlT_T0_E_clISt17integral_constantIbLb0EES19_EEDaS14_S15_EUlS14_E_NS1_11comp_targetILNS1_3genE9ELNS1_11target_archE1100ELNS1_3gpuE3ELNS1_3repE0EEENS1_30default_config_static_selectorELNS0_4arch9wavefront6targetE1EEEvT1_ ; -- Begin function _ZN7rocprim17ROCPRIM_400000_NS6detail17trampoline_kernelINS0_14default_configENS1_25partition_config_selectorILNS1_17partition_subalgoE1EjNS0_10empty_typeEbEEZZNS1_14partition_implILS5_1ELb0ES3_jN6thrust23THRUST_200600_302600_NS6detail15normal_iteratorINSA_10device_ptrIjEEEEPS6_NSA_18transform_iteratorI7is_evenIjESF_NSA_11use_defaultESK_EENS0_5tupleIJSF_SF_EEENSM_IJSG_SG_EEES6_PlJS6_EEE10hipError_tPvRmT3_T4_T5_T6_T7_T9_mT8_P12ihipStream_tbDpT10_ENKUlT_T0_E_clISt17integral_constantIbLb0EES19_EEDaS14_S15_EUlS14_E_NS1_11comp_targetILNS1_3genE9ELNS1_11target_archE1100ELNS1_3gpuE3ELNS1_3repE0EEENS1_30default_config_static_selectorELNS0_4arch9wavefront6targetE1EEEvT1_
	.globl	_ZN7rocprim17ROCPRIM_400000_NS6detail17trampoline_kernelINS0_14default_configENS1_25partition_config_selectorILNS1_17partition_subalgoE1EjNS0_10empty_typeEbEEZZNS1_14partition_implILS5_1ELb0ES3_jN6thrust23THRUST_200600_302600_NS6detail15normal_iteratorINSA_10device_ptrIjEEEEPS6_NSA_18transform_iteratorI7is_evenIjESF_NSA_11use_defaultESK_EENS0_5tupleIJSF_SF_EEENSM_IJSG_SG_EEES6_PlJS6_EEE10hipError_tPvRmT3_T4_T5_T6_T7_T9_mT8_P12ihipStream_tbDpT10_ENKUlT_T0_E_clISt17integral_constantIbLb0EES19_EEDaS14_S15_EUlS14_E_NS1_11comp_targetILNS1_3genE9ELNS1_11target_archE1100ELNS1_3gpuE3ELNS1_3repE0EEENS1_30default_config_static_selectorELNS0_4arch9wavefront6targetE1EEEvT1_
	.p2align	8
	.type	_ZN7rocprim17ROCPRIM_400000_NS6detail17trampoline_kernelINS0_14default_configENS1_25partition_config_selectorILNS1_17partition_subalgoE1EjNS0_10empty_typeEbEEZZNS1_14partition_implILS5_1ELb0ES3_jN6thrust23THRUST_200600_302600_NS6detail15normal_iteratorINSA_10device_ptrIjEEEEPS6_NSA_18transform_iteratorI7is_evenIjESF_NSA_11use_defaultESK_EENS0_5tupleIJSF_SF_EEENSM_IJSG_SG_EEES6_PlJS6_EEE10hipError_tPvRmT3_T4_T5_T6_T7_T9_mT8_P12ihipStream_tbDpT10_ENKUlT_T0_E_clISt17integral_constantIbLb0EES19_EEDaS14_S15_EUlS14_E_NS1_11comp_targetILNS1_3genE9ELNS1_11target_archE1100ELNS1_3gpuE3ELNS1_3repE0EEENS1_30default_config_static_selectorELNS0_4arch9wavefront6targetE1EEEvT1_,@function
_ZN7rocprim17ROCPRIM_400000_NS6detail17trampoline_kernelINS0_14default_configENS1_25partition_config_selectorILNS1_17partition_subalgoE1EjNS0_10empty_typeEbEEZZNS1_14partition_implILS5_1ELb0ES3_jN6thrust23THRUST_200600_302600_NS6detail15normal_iteratorINSA_10device_ptrIjEEEEPS6_NSA_18transform_iteratorI7is_evenIjESF_NSA_11use_defaultESK_EENS0_5tupleIJSF_SF_EEENSM_IJSG_SG_EEES6_PlJS6_EEE10hipError_tPvRmT3_T4_T5_T6_T7_T9_mT8_P12ihipStream_tbDpT10_ENKUlT_T0_E_clISt17integral_constantIbLb0EES19_EEDaS14_S15_EUlS14_E_NS1_11comp_targetILNS1_3genE9ELNS1_11target_archE1100ELNS1_3gpuE3ELNS1_3repE0EEENS1_30default_config_static_selectorELNS0_4arch9wavefront6targetE1EEEvT1_: ; @_ZN7rocprim17ROCPRIM_400000_NS6detail17trampoline_kernelINS0_14default_configENS1_25partition_config_selectorILNS1_17partition_subalgoE1EjNS0_10empty_typeEbEEZZNS1_14partition_implILS5_1ELb0ES3_jN6thrust23THRUST_200600_302600_NS6detail15normal_iteratorINSA_10device_ptrIjEEEEPS6_NSA_18transform_iteratorI7is_evenIjESF_NSA_11use_defaultESK_EENS0_5tupleIJSF_SF_EEENSM_IJSG_SG_EEES6_PlJS6_EEE10hipError_tPvRmT3_T4_T5_T6_T7_T9_mT8_P12ihipStream_tbDpT10_ENKUlT_T0_E_clISt17integral_constantIbLb0EES19_EEDaS14_S15_EUlS14_E_NS1_11comp_targetILNS1_3genE9ELNS1_11target_archE1100ELNS1_3gpuE3ELNS1_3repE0EEENS1_30default_config_static_selectorELNS0_4arch9wavefront6targetE1EEEvT1_
; %bb.0:
	.section	.rodata,"a",@progbits
	.p2align	6, 0x0
	.amdhsa_kernel _ZN7rocprim17ROCPRIM_400000_NS6detail17trampoline_kernelINS0_14default_configENS1_25partition_config_selectorILNS1_17partition_subalgoE1EjNS0_10empty_typeEbEEZZNS1_14partition_implILS5_1ELb0ES3_jN6thrust23THRUST_200600_302600_NS6detail15normal_iteratorINSA_10device_ptrIjEEEEPS6_NSA_18transform_iteratorI7is_evenIjESF_NSA_11use_defaultESK_EENS0_5tupleIJSF_SF_EEENSM_IJSG_SG_EEES6_PlJS6_EEE10hipError_tPvRmT3_T4_T5_T6_T7_T9_mT8_P12ihipStream_tbDpT10_ENKUlT_T0_E_clISt17integral_constantIbLb0EES19_EEDaS14_S15_EUlS14_E_NS1_11comp_targetILNS1_3genE9ELNS1_11target_archE1100ELNS1_3gpuE3ELNS1_3repE0EEENS1_30default_config_static_selectorELNS0_4arch9wavefront6targetE1EEEvT1_
		.amdhsa_group_segment_fixed_size 0
		.amdhsa_private_segment_fixed_size 0
		.amdhsa_kernarg_size 128
		.amdhsa_user_sgpr_count 2
		.amdhsa_user_sgpr_dispatch_ptr 0
		.amdhsa_user_sgpr_queue_ptr 0
		.amdhsa_user_sgpr_kernarg_segment_ptr 1
		.amdhsa_user_sgpr_dispatch_id 0
		.amdhsa_user_sgpr_kernarg_preload_length 0
		.amdhsa_user_sgpr_kernarg_preload_offset 0
		.amdhsa_user_sgpr_private_segment_size 0
		.amdhsa_uses_dynamic_stack 0
		.amdhsa_enable_private_segment 0
		.amdhsa_system_sgpr_workgroup_id_x 1
		.amdhsa_system_sgpr_workgroup_id_y 0
		.amdhsa_system_sgpr_workgroup_id_z 0
		.amdhsa_system_sgpr_workgroup_info 0
		.amdhsa_system_vgpr_workitem_id 0
		.amdhsa_next_free_vgpr 1
		.amdhsa_next_free_sgpr 0
		.amdhsa_accum_offset 4
		.amdhsa_reserve_vcc 0
		.amdhsa_float_round_mode_32 0
		.amdhsa_float_round_mode_16_64 0
		.amdhsa_float_denorm_mode_32 3
		.amdhsa_float_denorm_mode_16_64 3
		.amdhsa_dx10_clamp 1
		.amdhsa_ieee_mode 1
		.amdhsa_fp16_overflow 0
		.amdhsa_tg_split 0
		.amdhsa_exception_fp_ieee_invalid_op 0
		.amdhsa_exception_fp_denorm_src 0
		.amdhsa_exception_fp_ieee_div_zero 0
		.amdhsa_exception_fp_ieee_overflow 0
		.amdhsa_exception_fp_ieee_underflow 0
		.amdhsa_exception_fp_ieee_inexact 0
		.amdhsa_exception_int_div_zero 0
	.end_amdhsa_kernel
	.section	.text._ZN7rocprim17ROCPRIM_400000_NS6detail17trampoline_kernelINS0_14default_configENS1_25partition_config_selectorILNS1_17partition_subalgoE1EjNS0_10empty_typeEbEEZZNS1_14partition_implILS5_1ELb0ES3_jN6thrust23THRUST_200600_302600_NS6detail15normal_iteratorINSA_10device_ptrIjEEEEPS6_NSA_18transform_iteratorI7is_evenIjESF_NSA_11use_defaultESK_EENS0_5tupleIJSF_SF_EEENSM_IJSG_SG_EEES6_PlJS6_EEE10hipError_tPvRmT3_T4_T5_T6_T7_T9_mT8_P12ihipStream_tbDpT10_ENKUlT_T0_E_clISt17integral_constantIbLb0EES19_EEDaS14_S15_EUlS14_E_NS1_11comp_targetILNS1_3genE9ELNS1_11target_archE1100ELNS1_3gpuE3ELNS1_3repE0EEENS1_30default_config_static_selectorELNS0_4arch9wavefront6targetE1EEEvT1_,"axG",@progbits,_ZN7rocprim17ROCPRIM_400000_NS6detail17trampoline_kernelINS0_14default_configENS1_25partition_config_selectorILNS1_17partition_subalgoE1EjNS0_10empty_typeEbEEZZNS1_14partition_implILS5_1ELb0ES3_jN6thrust23THRUST_200600_302600_NS6detail15normal_iteratorINSA_10device_ptrIjEEEEPS6_NSA_18transform_iteratorI7is_evenIjESF_NSA_11use_defaultESK_EENS0_5tupleIJSF_SF_EEENSM_IJSG_SG_EEES6_PlJS6_EEE10hipError_tPvRmT3_T4_T5_T6_T7_T9_mT8_P12ihipStream_tbDpT10_ENKUlT_T0_E_clISt17integral_constantIbLb0EES19_EEDaS14_S15_EUlS14_E_NS1_11comp_targetILNS1_3genE9ELNS1_11target_archE1100ELNS1_3gpuE3ELNS1_3repE0EEENS1_30default_config_static_selectorELNS0_4arch9wavefront6targetE1EEEvT1_,comdat
.Lfunc_end2241:
	.size	_ZN7rocprim17ROCPRIM_400000_NS6detail17trampoline_kernelINS0_14default_configENS1_25partition_config_selectorILNS1_17partition_subalgoE1EjNS0_10empty_typeEbEEZZNS1_14partition_implILS5_1ELb0ES3_jN6thrust23THRUST_200600_302600_NS6detail15normal_iteratorINSA_10device_ptrIjEEEEPS6_NSA_18transform_iteratorI7is_evenIjESF_NSA_11use_defaultESK_EENS0_5tupleIJSF_SF_EEENSM_IJSG_SG_EEES6_PlJS6_EEE10hipError_tPvRmT3_T4_T5_T6_T7_T9_mT8_P12ihipStream_tbDpT10_ENKUlT_T0_E_clISt17integral_constantIbLb0EES19_EEDaS14_S15_EUlS14_E_NS1_11comp_targetILNS1_3genE9ELNS1_11target_archE1100ELNS1_3gpuE3ELNS1_3repE0EEENS1_30default_config_static_selectorELNS0_4arch9wavefront6targetE1EEEvT1_, .Lfunc_end2241-_ZN7rocprim17ROCPRIM_400000_NS6detail17trampoline_kernelINS0_14default_configENS1_25partition_config_selectorILNS1_17partition_subalgoE1EjNS0_10empty_typeEbEEZZNS1_14partition_implILS5_1ELb0ES3_jN6thrust23THRUST_200600_302600_NS6detail15normal_iteratorINSA_10device_ptrIjEEEEPS6_NSA_18transform_iteratorI7is_evenIjESF_NSA_11use_defaultESK_EENS0_5tupleIJSF_SF_EEENSM_IJSG_SG_EEES6_PlJS6_EEE10hipError_tPvRmT3_T4_T5_T6_T7_T9_mT8_P12ihipStream_tbDpT10_ENKUlT_T0_E_clISt17integral_constantIbLb0EES19_EEDaS14_S15_EUlS14_E_NS1_11comp_targetILNS1_3genE9ELNS1_11target_archE1100ELNS1_3gpuE3ELNS1_3repE0EEENS1_30default_config_static_selectorELNS0_4arch9wavefront6targetE1EEEvT1_
                                        ; -- End function
	.section	.AMDGPU.csdata,"",@progbits
; Kernel info:
; codeLenInByte = 0
; NumSgprs: 6
; NumVgprs: 0
; NumAgprs: 0
; TotalNumVgprs: 0
; ScratchSize: 0
; MemoryBound: 0
; FloatMode: 240
; IeeeMode: 1
; LDSByteSize: 0 bytes/workgroup (compile time only)
; SGPRBlocks: 0
; VGPRBlocks: 0
; NumSGPRsForWavesPerEU: 6
; NumVGPRsForWavesPerEU: 1
; AccumOffset: 4
; Occupancy: 8
; WaveLimiterHint : 0
; COMPUTE_PGM_RSRC2:SCRATCH_EN: 0
; COMPUTE_PGM_RSRC2:USER_SGPR: 2
; COMPUTE_PGM_RSRC2:TRAP_HANDLER: 0
; COMPUTE_PGM_RSRC2:TGID_X_EN: 1
; COMPUTE_PGM_RSRC2:TGID_Y_EN: 0
; COMPUTE_PGM_RSRC2:TGID_Z_EN: 0
; COMPUTE_PGM_RSRC2:TIDIG_COMP_CNT: 0
; COMPUTE_PGM_RSRC3_GFX90A:ACCUM_OFFSET: 0
; COMPUTE_PGM_RSRC3_GFX90A:TG_SPLIT: 0
	.section	.text._ZN7rocprim17ROCPRIM_400000_NS6detail17trampoline_kernelINS0_14default_configENS1_25partition_config_selectorILNS1_17partition_subalgoE1EjNS0_10empty_typeEbEEZZNS1_14partition_implILS5_1ELb0ES3_jN6thrust23THRUST_200600_302600_NS6detail15normal_iteratorINSA_10device_ptrIjEEEEPS6_NSA_18transform_iteratorI7is_evenIjESF_NSA_11use_defaultESK_EENS0_5tupleIJSF_SF_EEENSM_IJSG_SG_EEES6_PlJS6_EEE10hipError_tPvRmT3_T4_T5_T6_T7_T9_mT8_P12ihipStream_tbDpT10_ENKUlT_T0_E_clISt17integral_constantIbLb0EES19_EEDaS14_S15_EUlS14_E_NS1_11comp_targetILNS1_3genE8ELNS1_11target_archE1030ELNS1_3gpuE2ELNS1_3repE0EEENS1_30default_config_static_selectorELNS0_4arch9wavefront6targetE1EEEvT1_,"axG",@progbits,_ZN7rocprim17ROCPRIM_400000_NS6detail17trampoline_kernelINS0_14default_configENS1_25partition_config_selectorILNS1_17partition_subalgoE1EjNS0_10empty_typeEbEEZZNS1_14partition_implILS5_1ELb0ES3_jN6thrust23THRUST_200600_302600_NS6detail15normal_iteratorINSA_10device_ptrIjEEEEPS6_NSA_18transform_iteratorI7is_evenIjESF_NSA_11use_defaultESK_EENS0_5tupleIJSF_SF_EEENSM_IJSG_SG_EEES6_PlJS6_EEE10hipError_tPvRmT3_T4_T5_T6_T7_T9_mT8_P12ihipStream_tbDpT10_ENKUlT_T0_E_clISt17integral_constantIbLb0EES19_EEDaS14_S15_EUlS14_E_NS1_11comp_targetILNS1_3genE8ELNS1_11target_archE1030ELNS1_3gpuE2ELNS1_3repE0EEENS1_30default_config_static_selectorELNS0_4arch9wavefront6targetE1EEEvT1_,comdat
	.protected	_ZN7rocprim17ROCPRIM_400000_NS6detail17trampoline_kernelINS0_14default_configENS1_25partition_config_selectorILNS1_17partition_subalgoE1EjNS0_10empty_typeEbEEZZNS1_14partition_implILS5_1ELb0ES3_jN6thrust23THRUST_200600_302600_NS6detail15normal_iteratorINSA_10device_ptrIjEEEEPS6_NSA_18transform_iteratorI7is_evenIjESF_NSA_11use_defaultESK_EENS0_5tupleIJSF_SF_EEENSM_IJSG_SG_EEES6_PlJS6_EEE10hipError_tPvRmT3_T4_T5_T6_T7_T9_mT8_P12ihipStream_tbDpT10_ENKUlT_T0_E_clISt17integral_constantIbLb0EES19_EEDaS14_S15_EUlS14_E_NS1_11comp_targetILNS1_3genE8ELNS1_11target_archE1030ELNS1_3gpuE2ELNS1_3repE0EEENS1_30default_config_static_selectorELNS0_4arch9wavefront6targetE1EEEvT1_ ; -- Begin function _ZN7rocprim17ROCPRIM_400000_NS6detail17trampoline_kernelINS0_14default_configENS1_25partition_config_selectorILNS1_17partition_subalgoE1EjNS0_10empty_typeEbEEZZNS1_14partition_implILS5_1ELb0ES3_jN6thrust23THRUST_200600_302600_NS6detail15normal_iteratorINSA_10device_ptrIjEEEEPS6_NSA_18transform_iteratorI7is_evenIjESF_NSA_11use_defaultESK_EENS0_5tupleIJSF_SF_EEENSM_IJSG_SG_EEES6_PlJS6_EEE10hipError_tPvRmT3_T4_T5_T6_T7_T9_mT8_P12ihipStream_tbDpT10_ENKUlT_T0_E_clISt17integral_constantIbLb0EES19_EEDaS14_S15_EUlS14_E_NS1_11comp_targetILNS1_3genE8ELNS1_11target_archE1030ELNS1_3gpuE2ELNS1_3repE0EEENS1_30default_config_static_selectorELNS0_4arch9wavefront6targetE1EEEvT1_
	.globl	_ZN7rocprim17ROCPRIM_400000_NS6detail17trampoline_kernelINS0_14default_configENS1_25partition_config_selectorILNS1_17partition_subalgoE1EjNS0_10empty_typeEbEEZZNS1_14partition_implILS5_1ELb0ES3_jN6thrust23THRUST_200600_302600_NS6detail15normal_iteratorINSA_10device_ptrIjEEEEPS6_NSA_18transform_iteratorI7is_evenIjESF_NSA_11use_defaultESK_EENS0_5tupleIJSF_SF_EEENSM_IJSG_SG_EEES6_PlJS6_EEE10hipError_tPvRmT3_T4_T5_T6_T7_T9_mT8_P12ihipStream_tbDpT10_ENKUlT_T0_E_clISt17integral_constantIbLb0EES19_EEDaS14_S15_EUlS14_E_NS1_11comp_targetILNS1_3genE8ELNS1_11target_archE1030ELNS1_3gpuE2ELNS1_3repE0EEENS1_30default_config_static_selectorELNS0_4arch9wavefront6targetE1EEEvT1_
	.p2align	8
	.type	_ZN7rocprim17ROCPRIM_400000_NS6detail17trampoline_kernelINS0_14default_configENS1_25partition_config_selectorILNS1_17partition_subalgoE1EjNS0_10empty_typeEbEEZZNS1_14partition_implILS5_1ELb0ES3_jN6thrust23THRUST_200600_302600_NS6detail15normal_iteratorINSA_10device_ptrIjEEEEPS6_NSA_18transform_iteratorI7is_evenIjESF_NSA_11use_defaultESK_EENS0_5tupleIJSF_SF_EEENSM_IJSG_SG_EEES6_PlJS6_EEE10hipError_tPvRmT3_T4_T5_T6_T7_T9_mT8_P12ihipStream_tbDpT10_ENKUlT_T0_E_clISt17integral_constantIbLb0EES19_EEDaS14_S15_EUlS14_E_NS1_11comp_targetILNS1_3genE8ELNS1_11target_archE1030ELNS1_3gpuE2ELNS1_3repE0EEENS1_30default_config_static_selectorELNS0_4arch9wavefront6targetE1EEEvT1_,@function
_ZN7rocprim17ROCPRIM_400000_NS6detail17trampoline_kernelINS0_14default_configENS1_25partition_config_selectorILNS1_17partition_subalgoE1EjNS0_10empty_typeEbEEZZNS1_14partition_implILS5_1ELb0ES3_jN6thrust23THRUST_200600_302600_NS6detail15normal_iteratorINSA_10device_ptrIjEEEEPS6_NSA_18transform_iteratorI7is_evenIjESF_NSA_11use_defaultESK_EENS0_5tupleIJSF_SF_EEENSM_IJSG_SG_EEES6_PlJS6_EEE10hipError_tPvRmT3_T4_T5_T6_T7_T9_mT8_P12ihipStream_tbDpT10_ENKUlT_T0_E_clISt17integral_constantIbLb0EES19_EEDaS14_S15_EUlS14_E_NS1_11comp_targetILNS1_3genE8ELNS1_11target_archE1030ELNS1_3gpuE2ELNS1_3repE0EEENS1_30default_config_static_selectorELNS0_4arch9wavefront6targetE1EEEvT1_: ; @_ZN7rocprim17ROCPRIM_400000_NS6detail17trampoline_kernelINS0_14default_configENS1_25partition_config_selectorILNS1_17partition_subalgoE1EjNS0_10empty_typeEbEEZZNS1_14partition_implILS5_1ELb0ES3_jN6thrust23THRUST_200600_302600_NS6detail15normal_iteratorINSA_10device_ptrIjEEEEPS6_NSA_18transform_iteratorI7is_evenIjESF_NSA_11use_defaultESK_EENS0_5tupleIJSF_SF_EEENSM_IJSG_SG_EEES6_PlJS6_EEE10hipError_tPvRmT3_T4_T5_T6_T7_T9_mT8_P12ihipStream_tbDpT10_ENKUlT_T0_E_clISt17integral_constantIbLb0EES19_EEDaS14_S15_EUlS14_E_NS1_11comp_targetILNS1_3genE8ELNS1_11target_archE1030ELNS1_3gpuE2ELNS1_3repE0EEENS1_30default_config_static_selectorELNS0_4arch9wavefront6targetE1EEEvT1_
; %bb.0:
	.section	.rodata,"a",@progbits
	.p2align	6, 0x0
	.amdhsa_kernel _ZN7rocprim17ROCPRIM_400000_NS6detail17trampoline_kernelINS0_14default_configENS1_25partition_config_selectorILNS1_17partition_subalgoE1EjNS0_10empty_typeEbEEZZNS1_14partition_implILS5_1ELb0ES3_jN6thrust23THRUST_200600_302600_NS6detail15normal_iteratorINSA_10device_ptrIjEEEEPS6_NSA_18transform_iteratorI7is_evenIjESF_NSA_11use_defaultESK_EENS0_5tupleIJSF_SF_EEENSM_IJSG_SG_EEES6_PlJS6_EEE10hipError_tPvRmT3_T4_T5_T6_T7_T9_mT8_P12ihipStream_tbDpT10_ENKUlT_T0_E_clISt17integral_constantIbLb0EES19_EEDaS14_S15_EUlS14_E_NS1_11comp_targetILNS1_3genE8ELNS1_11target_archE1030ELNS1_3gpuE2ELNS1_3repE0EEENS1_30default_config_static_selectorELNS0_4arch9wavefront6targetE1EEEvT1_
		.amdhsa_group_segment_fixed_size 0
		.amdhsa_private_segment_fixed_size 0
		.amdhsa_kernarg_size 128
		.amdhsa_user_sgpr_count 2
		.amdhsa_user_sgpr_dispatch_ptr 0
		.amdhsa_user_sgpr_queue_ptr 0
		.amdhsa_user_sgpr_kernarg_segment_ptr 1
		.amdhsa_user_sgpr_dispatch_id 0
		.amdhsa_user_sgpr_kernarg_preload_length 0
		.amdhsa_user_sgpr_kernarg_preload_offset 0
		.amdhsa_user_sgpr_private_segment_size 0
		.amdhsa_uses_dynamic_stack 0
		.amdhsa_enable_private_segment 0
		.amdhsa_system_sgpr_workgroup_id_x 1
		.amdhsa_system_sgpr_workgroup_id_y 0
		.amdhsa_system_sgpr_workgroup_id_z 0
		.amdhsa_system_sgpr_workgroup_info 0
		.amdhsa_system_vgpr_workitem_id 0
		.amdhsa_next_free_vgpr 1
		.amdhsa_next_free_sgpr 0
		.amdhsa_accum_offset 4
		.amdhsa_reserve_vcc 0
		.amdhsa_float_round_mode_32 0
		.amdhsa_float_round_mode_16_64 0
		.amdhsa_float_denorm_mode_32 3
		.amdhsa_float_denorm_mode_16_64 3
		.amdhsa_dx10_clamp 1
		.amdhsa_ieee_mode 1
		.amdhsa_fp16_overflow 0
		.amdhsa_tg_split 0
		.amdhsa_exception_fp_ieee_invalid_op 0
		.amdhsa_exception_fp_denorm_src 0
		.amdhsa_exception_fp_ieee_div_zero 0
		.amdhsa_exception_fp_ieee_overflow 0
		.amdhsa_exception_fp_ieee_underflow 0
		.amdhsa_exception_fp_ieee_inexact 0
		.amdhsa_exception_int_div_zero 0
	.end_amdhsa_kernel
	.section	.text._ZN7rocprim17ROCPRIM_400000_NS6detail17trampoline_kernelINS0_14default_configENS1_25partition_config_selectorILNS1_17partition_subalgoE1EjNS0_10empty_typeEbEEZZNS1_14partition_implILS5_1ELb0ES3_jN6thrust23THRUST_200600_302600_NS6detail15normal_iteratorINSA_10device_ptrIjEEEEPS6_NSA_18transform_iteratorI7is_evenIjESF_NSA_11use_defaultESK_EENS0_5tupleIJSF_SF_EEENSM_IJSG_SG_EEES6_PlJS6_EEE10hipError_tPvRmT3_T4_T5_T6_T7_T9_mT8_P12ihipStream_tbDpT10_ENKUlT_T0_E_clISt17integral_constantIbLb0EES19_EEDaS14_S15_EUlS14_E_NS1_11comp_targetILNS1_3genE8ELNS1_11target_archE1030ELNS1_3gpuE2ELNS1_3repE0EEENS1_30default_config_static_selectorELNS0_4arch9wavefront6targetE1EEEvT1_,"axG",@progbits,_ZN7rocprim17ROCPRIM_400000_NS6detail17trampoline_kernelINS0_14default_configENS1_25partition_config_selectorILNS1_17partition_subalgoE1EjNS0_10empty_typeEbEEZZNS1_14partition_implILS5_1ELb0ES3_jN6thrust23THRUST_200600_302600_NS6detail15normal_iteratorINSA_10device_ptrIjEEEEPS6_NSA_18transform_iteratorI7is_evenIjESF_NSA_11use_defaultESK_EENS0_5tupleIJSF_SF_EEENSM_IJSG_SG_EEES6_PlJS6_EEE10hipError_tPvRmT3_T4_T5_T6_T7_T9_mT8_P12ihipStream_tbDpT10_ENKUlT_T0_E_clISt17integral_constantIbLb0EES19_EEDaS14_S15_EUlS14_E_NS1_11comp_targetILNS1_3genE8ELNS1_11target_archE1030ELNS1_3gpuE2ELNS1_3repE0EEENS1_30default_config_static_selectorELNS0_4arch9wavefront6targetE1EEEvT1_,comdat
.Lfunc_end2242:
	.size	_ZN7rocprim17ROCPRIM_400000_NS6detail17trampoline_kernelINS0_14default_configENS1_25partition_config_selectorILNS1_17partition_subalgoE1EjNS0_10empty_typeEbEEZZNS1_14partition_implILS5_1ELb0ES3_jN6thrust23THRUST_200600_302600_NS6detail15normal_iteratorINSA_10device_ptrIjEEEEPS6_NSA_18transform_iteratorI7is_evenIjESF_NSA_11use_defaultESK_EENS0_5tupleIJSF_SF_EEENSM_IJSG_SG_EEES6_PlJS6_EEE10hipError_tPvRmT3_T4_T5_T6_T7_T9_mT8_P12ihipStream_tbDpT10_ENKUlT_T0_E_clISt17integral_constantIbLb0EES19_EEDaS14_S15_EUlS14_E_NS1_11comp_targetILNS1_3genE8ELNS1_11target_archE1030ELNS1_3gpuE2ELNS1_3repE0EEENS1_30default_config_static_selectorELNS0_4arch9wavefront6targetE1EEEvT1_, .Lfunc_end2242-_ZN7rocprim17ROCPRIM_400000_NS6detail17trampoline_kernelINS0_14default_configENS1_25partition_config_selectorILNS1_17partition_subalgoE1EjNS0_10empty_typeEbEEZZNS1_14partition_implILS5_1ELb0ES3_jN6thrust23THRUST_200600_302600_NS6detail15normal_iteratorINSA_10device_ptrIjEEEEPS6_NSA_18transform_iteratorI7is_evenIjESF_NSA_11use_defaultESK_EENS0_5tupleIJSF_SF_EEENSM_IJSG_SG_EEES6_PlJS6_EEE10hipError_tPvRmT3_T4_T5_T6_T7_T9_mT8_P12ihipStream_tbDpT10_ENKUlT_T0_E_clISt17integral_constantIbLb0EES19_EEDaS14_S15_EUlS14_E_NS1_11comp_targetILNS1_3genE8ELNS1_11target_archE1030ELNS1_3gpuE2ELNS1_3repE0EEENS1_30default_config_static_selectorELNS0_4arch9wavefront6targetE1EEEvT1_
                                        ; -- End function
	.section	.AMDGPU.csdata,"",@progbits
; Kernel info:
; codeLenInByte = 0
; NumSgprs: 6
; NumVgprs: 0
; NumAgprs: 0
; TotalNumVgprs: 0
; ScratchSize: 0
; MemoryBound: 0
; FloatMode: 240
; IeeeMode: 1
; LDSByteSize: 0 bytes/workgroup (compile time only)
; SGPRBlocks: 0
; VGPRBlocks: 0
; NumSGPRsForWavesPerEU: 6
; NumVGPRsForWavesPerEU: 1
; AccumOffset: 4
; Occupancy: 8
; WaveLimiterHint : 0
; COMPUTE_PGM_RSRC2:SCRATCH_EN: 0
; COMPUTE_PGM_RSRC2:USER_SGPR: 2
; COMPUTE_PGM_RSRC2:TRAP_HANDLER: 0
; COMPUTE_PGM_RSRC2:TGID_X_EN: 1
; COMPUTE_PGM_RSRC2:TGID_Y_EN: 0
; COMPUTE_PGM_RSRC2:TGID_Z_EN: 0
; COMPUTE_PGM_RSRC2:TIDIG_COMP_CNT: 0
; COMPUTE_PGM_RSRC3_GFX90A:ACCUM_OFFSET: 0
; COMPUTE_PGM_RSRC3_GFX90A:TG_SPLIT: 0
	.section	.text._ZN7rocprim17ROCPRIM_400000_NS6detail17trampoline_kernelINS0_14default_configENS1_25partition_config_selectorILNS1_17partition_subalgoE1EjNS0_10empty_typeEbEEZZNS1_14partition_implILS5_1ELb0ES3_jN6thrust23THRUST_200600_302600_NS6detail15normal_iteratorINSA_10device_ptrIjEEEEPS6_NSA_18transform_iteratorI7is_evenIjESF_NSA_11use_defaultESK_EENS0_5tupleIJSF_SF_EEENSM_IJSG_SG_EEES6_PlJS6_EEE10hipError_tPvRmT3_T4_T5_T6_T7_T9_mT8_P12ihipStream_tbDpT10_ENKUlT_T0_E_clISt17integral_constantIbLb1EES19_EEDaS14_S15_EUlS14_E_NS1_11comp_targetILNS1_3genE0ELNS1_11target_archE4294967295ELNS1_3gpuE0ELNS1_3repE0EEENS1_30default_config_static_selectorELNS0_4arch9wavefront6targetE1EEEvT1_,"axG",@progbits,_ZN7rocprim17ROCPRIM_400000_NS6detail17trampoline_kernelINS0_14default_configENS1_25partition_config_selectorILNS1_17partition_subalgoE1EjNS0_10empty_typeEbEEZZNS1_14partition_implILS5_1ELb0ES3_jN6thrust23THRUST_200600_302600_NS6detail15normal_iteratorINSA_10device_ptrIjEEEEPS6_NSA_18transform_iteratorI7is_evenIjESF_NSA_11use_defaultESK_EENS0_5tupleIJSF_SF_EEENSM_IJSG_SG_EEES6_PlJS6_EEE10hipError_tPvRmT3_T4_T5_T6_T7_T9_mT8_P12ihipStream_tbDpT10_ENKUlT_T0_E_clISt17integral_constantIbLb1EES19_EEDaS14_S15_EUlS14_E_NS1_11comp_targetILNS1_3genE0ELNS1_11target_archE4294967295ELNS1_3gpuE0ELNS1_3repE0EEENS1_30default_config_static_selectorELNS0_4arch9wavefront6targetE1EEEvT1_,comdat
	.protected	_ZN7rocprim17ROCPRIM_400000_NS6detail17trampoline_kernelINS0_14default_configENS1_25partition_config_selectorILNS1_17partition_subalgoE1EjNS0_10empty_typeEbEEZZNS1_14partition_implILS5_1ELb0ES3_jN6thrust23THRUST_200600_302600_NS6detail15normal_iteratorINSA_10device_ptrIjEEEEPS6_NSA_18transform_iteratorI7is_evenIjESF_NSA_11use_defaultESK_EENS0_5tupleIJSF_SF_EEENSM_IJSG_SG_EEES6_PlJS6_EEE10hipError_tPvRmT3_T4_T5_T6_T7_T9_mT8_P12ihipStream_tbDpT10_ENKUlT_T0_E_clISt17integral_constantIbLb1EES19_EEDaS14_S15_EUlS14_E_NS1_11comp_targetILNS1_3genE0ELNS1_11target_archE4294967295ELNS1_3gpuE0ELNS1_3repE0EEENS1_30default_config_static_selectorELNS0_4arch9wavefront6targetE1EEEvT1_ ; -- Begin function _ZN7rocprim17ROCPRIM_400000_NS6detail17trampoline_kernelINS0_14default_configENS1_25partition_config_selectorILNS1_17partition_subalgoE1EjNS0_10empty_typeEbEEZZNS1_14partition_implILS5_1ELb0ES3_jN6thrust23THRUST_200600_302600_NS6detail15normal_iteratorINSA_10device_ptrIjEEEEPS6_NSA_18transform_iteratorI7is_evenIjESF_NSA_11use_defaultESK_EENS0_5tupleIJSF_SF_EEENSM_IJSG_SG_EEES6_PlJS6_EEE10hipError_tPvRmT3_T4_T5_T6_T7_T9_mT8_P12ihipStream_tbDpT10_ENKUlT_T0_E_clISt17integral_constantIbLb1EES19_EEDaS14_S15_EUlS14_E_NS1_11comp_targetILNS1_3genE0ELNS1_11target_archE4294967295ELNS1_3gpuE0ELNS1_3repE0EEENS1_30default_config_static_selectorELNS0_4arch9wavefront6targetE1EEEvT1_
	.globl	_ZN7rocprim17ROCPRIM_400000_NS6detail17trampoline_kernelINS0_14default_configENS1_25partition_config_selectorILNS1_17partition_subalgoE1EjNS0_10empty_typeEbEEZZNS1_14partition_implILS5_1ELb0ES3_jN6thrust23THRUST_200600_302600_NS6detail15normal_iteratorINSA_10device_ptrIjEEEEPS6_NSA_18transform_iteratorI7is_evenIjESF_NSA_11use_defaultESK_EENS0_5tupleIJSF_SF_EEENSM_IJSG_SG_EEES6_PlJS6_EEE10hipError_tPvRmT3_T4_T5_T6_T7_T9_mT8_P12ihipStream_tbDpT10_ENKUlT_T0_E_clISt17integral_constantIbLb1EES19_EEDaS14_S15_EUlS14_E_NS1_11comp_targetILNS1_3genE0ELNS1_11target_archE4294967295ELNS1_3gpuE0ELNS1_3repE0EEENS1_30default_config_static_selectorELNS0_4arch9wavefront6targetE1EEEvT1_
	.p2align	8
	.type	_ZN7rocprim17ROCPRIM_400000_NS6detail17trampoline_kernelINS0_14default_configENS1_25partition_config_selectorILNS1_17partition_subalgoE1EjNS0_10empty_typeEbEEZZNS1_14partition_implILS5_1ELb0ES3_jN6thrust23THRUST_200600_302600_NS6detail15normal_iteratorINSA_10device_ptrIjEEEEPS6_NSA_18transform_iteratorI7is_evenIjESF_NSA_11use_defaultESK_EENS0_5tupleIJSF_SF_EEENSM_IJSG_SG_EEES6_PlJS6_EEE10hipError_tPvRmT3_T4_T5_T6_T7_T9_mT8_P12ihipStream_tbDpT10_ENKUlT_T0_E_clISt17integral_constantIbLb1EES19_EEDaS14_S15_EUlS14_E_NS1_11comp_targetILNS1_3genE0ELNS1_11target_archE4294967295ELNS1_3gpuE0ELNS1_3repE0EEENS1_30default_config_static_selectorELNS0_4arch9wavefront6targetE1EEEvT1_,@function
_ZN7rocprim17ROCPRIM_400000_NS6detail17trampoline_kernelINS0_14default_configENS1_25partition_config_selectorILNS1_17partition_subalgoE1EjNS0_10empty_typeEbEEZZNS1_14partition_implILS5_1ELb0ES3_jN6thrust23THRUST_200600_302600_NS6detail15normal_iteratorINSA_10device_ptrIjEEEEPS6_NSA_18transform_iteratorI7is_evenIjESF_NSA_11use_defaultESK_EENS0_5tupleIJSF_SF_EEENSM_IJSG_SG_EEES6_PlJS6_EEE10hipError_tPvRmT3_T4_T5_T6_T7_T9_mT8_P12ihipStream_tbDpT10_ENKUlT_T0_E_clISt17integral_constantIbLb1EES19_EEDaS14_S15_EUlS14_E_NS1_11comp_targetILNS1_3genE0ELNS1_11target_archE4294967295ELNS1_3gpuE0ELNS1_3repE0EEENS1_30default_config_static_selectorELNS0_4arch9wavefront6targetE1EEEvT1_: ; @_ZN7rocprim17ROCPRIM_400000_NS6detail17trampoline_kernelINS0_14default_configENS1_25partition_config_selectorILNS1_17partition_subalgoE1EjNS0_10empty_typeEbEEZZNS1_14partition_implILS5_1ELb0ES3_jN6thrust23THRUST_200600_302600_NS6detail15normal_iteratorINSA_10device_ptrIjEEEEPS6_NSA_18transform_iteratorI7is_evenIjESF_NSA_11use_defaultESK_EENS0_5tupleIJSF_SF_EEENSM_IJSG_SG_EEES6_PlJS6_EEE10hipError_tPvRmT3_T4_T5_T6_T7_T9_mT8_P12ihipStream_tbDpT10_ENKUlT_T0_E_clISt17integral_constantIbLb1EES19_EEDaS14_S15_EUlS14_E_NS1_11comp_targetILNS1_3genE0ELNS1_11target_archE4294967295ELNS1_3gpuE0ELNS1_3repE0EEENS1_30default_config_static_selectorELNS0_4arch9wavefront6targetE1EEEvT1_
; %bb.0:
	.section	.rodata,"a",@progbits
	.p2align	6, 0x0
	.amdhsa_kernel _ZN7rocprim17ROCPRIM_400000_NS6detail17trampoline_kernelINS0_14default_configENS1_25partition_config_selectorILNS1_17partition_subalgoE1EjNS0_10empty_typeEbEEZZNS1_14partition_implILS5_1ELb0ES3_jN6thrust23THRUST_200600_302600_NS6detail15normal_iteratorINSA_10device_ptrIjEEEEPS6_NSA_18transform_iteratorI7is_evenIjESF_NSA_11use_defaultESK_EENS0_5tupleIJSF_SF_EEENSM_IJSG_SG_EEES6_PlJS6_EEE10hipError_tPvRmT3_T4_T5_T6_T7_T9_mT8_P12ihipStream_tbDpT10_ENKUlT_T0_E_clISt17integral_constantIbLb1EES19_EEDaS14_S15_EUlS14_E_NS1_11comp_targetILNS1_3genE0ELNS1_11target_archE4294967295ELNS1_3gpuE0ELNS1_3repE0EEENS1_30default_config_static_selectorELNS0_4arch9wavefront6targetE1EEEvT1_
		.amdhsa_group_segment_fixed_size 0
		.amdhsa_private_segment_fixed_size 0
		.amdhsa_kernarg_size 144
		.amdhsa_user_sgpr_count 2
		.amdhsa_user_sgpr_dispatch_ptr 0
		.amdhsa_user_sgpr_queue_ptr 0
		.amdhsa_user_sgpr_kernarg_segment_ptr 1
		.amdhsa_user_sgpr_dispatch_id 0
		.amdhsa_user_sgpr_kernarg_preload_length 0
		.amdhsa_user_sgpr_kernarg_preload_offset 0
		.amdhsa_user_sgpr_private_segment_size 0
		.amdhsa_uses_dynamic_stack 0
		.amdhsa_enable_private_segment 0
		.amdhsa_system_sgpr_workgroup_id_x 1
		.amdhsa_system_sgpr_workgroup_id_y 0
		.amdhsa_system_sgpr_workgroup_id_z 0
		.amdhsa_system_sgpr_workgroup_info 0
		.amdhsa_system_vgpr_workitem_id 0
		.amdhsa_next_free_vgpr 1
		.amdhsa_next_free_sgpr 0
		.amdhsa_accum_offset 4
		.amdhsa_reserve_vcc 0
		.amdhsa_float_round_mode_32 0
		.amdhsa_float_round_mode_16_64 0
		.amdhsa_float_denorm_mode_32 3
		.amdhsa_float_denorm_mode_16_64 3
		.amdhsa_dx10_clamp 1
		.amdhsa_ieee_mode 1
		.amdhsa_fp16_overflow 0
		.amdhsa_tg_split 0
		.amdhsa_exception_fp_ieee_invalid_op 0
		.amdhsa_exception_fp_denorm_src 0
		.amdhsa_exception_fp_ieee_div_zero 0
		.amdhsa_exception_fp_ieee_overflow 0
		.amdhsa_exception_fp_ieee_underflow 0
		.amdhsa_exception_fp_ieee_inexact 0
		.amdhsa_exception_int_div_zero 0
	.end_amdhsa_kernel
	.section	.text._ZN7rocprim17ROCPRIM_400000_NS6detail17trampoline_kernelINS0_14default_configENS1_25partition_config_selectorILNS1_17partition_subalgoE1EjNS0_10empty_typeEbEEZZNS1_14partition_implILS5_1ELb0ES3_jN6thrust23THRUST_200600_302600_NS6detail15normal_iteratorINSA_10device_ptrIjEEEEPS6_NSA_18transform_iteratorI7is_evenIjESF_NSA_11use_defaultESK_EENS0_5tupleIJSF_SF_EEENSM_IJSG_SG_EEES6_PlJS6_EEE10hipError_tPvRmT3_T4_T5_T6_T7_T9_mT8_P12ihipStream_tbDpT10_ENKUlT_T0_E_clISt17integral_constantIbLb1EES19_EEDaS14_S15_EUlS14_E_NS1_11comp_targetILNS1_3genE0ELNS1_11target_archE4294967295ELNS1_3gpuE0ELNS1_3repE0EEENS1_30default_config_static_selectorELNS0_4arch9wavefront6targetE1EEEvT1_,"axG",@progbits,_ZN7rocprim17ROCPRIM_400000_NS6detail17trampoline_kernelINS0_14default_configENS1_25partition_config_selectorILNS1_17partition_subalgoE1EjNS0_10empty_typeEbEEZZNS1_14partition_implILS5_1ELb0ES3_jN6thrust23THRUST_200600_302600_NS6detail15normal_iteratorINSA_10device_ptrIjEEEEPS6_NSA_18transform_iteratorI7is_evenIjESF_NSA_11use_defaultESK_EENS0_5tupleIJSF_SF_EEENSM_IJSG_SG_EEES6_PlJS6_EEE10hipError_tPvRmT3_T4_T5_T6_T7_T9_mT8_P12ihipStream_tbDpT10_ENKUlT_T0_E_clISt17integral_constantIbLb1EES19_EEDaS14_S15_EUlS14_E_NS1_11comp_targetILNS1_3genE0ELNS1_11target_archE4294967295ELNS1_3gpuE0ELNS1_3repE0EEENS1_30default_config_static_selectorELNS0_4arch9wavefront6targetE1EEEvT1_,comdat
.Lfunc_end2243:
	.size	_ZN7rocprim17ROCPRIM_400000_NS6detail17trampoline_kernelINS0_14default_configENS1_25partition_config_selectorILNS1_17partition_subalgoE1EjNS0_10empty_typeEbEEZZNS1_14partition_implILS5_1ELb0ES3_jN6thrust23THRUST_200600_302600_NS6detail15normal_iteratorINSA_10device_ptrIjEEEEPS6_NSA_18transform_iteratorI7is_evenIjESF_NSA_11use_defaultESK_EENS0_5tupleIJSF_SF_EEENSM_IJSG_SG_EEES6_PlJS6_EEE10hipError_tPvRmT3_T4_T5_T6_T7_T9_mT8_P12ihipStream_tbDpT10_ENKUlT_T0_E_clISt17integral_constantIbLb1EES19_EEDaS14_S15_EUlS14_E_NS1_11comp_targetILNS1_3genE0ELNS1_11target_archE4294967295ELNS1_3gpuE0ELNS1_3repE0EEENS1_30default_config_static_selectorELNS0_4arch9wavefront6targetE1EEEvT1_, .Lfunc_end2243-_ZN7rocprim17ROCPRIM_400000_NS6detail17trampoline_kernelINS0_14default_configENS1_25partition_config_selectorILNS1_17partition_subalgoE1EjNS0_10empty_typeEbEEZZNS1_14partition_implILS5_1ELb0ES3_jN6thrust23THRUST_200600_302600_NS6detail15normal_iteratorINSA_10device_ptrIjEEEEPS6_NSA_18transform_iteratorI7is_evenIjESF_NSA_11use_defaultESK_EENS0_5tupleIJSF_SF_EEENSM_IJSG_SG_EEES6_PlJS6_EEE10hipError_tPvRmT3_T4_T5_T6_T7_T9_mT8_P12ihipStream_tbDpT10_ENKUlT_T0_E_clISt17integral_constantIbLb1EES19_EEDaS14_S15_EUlS14_E_NS1_11comp_targetILNS1_3genE0ELNS1_11target_archE4294967295ELNS1_3gpuE0ELNS1_3repE0EEENS1_30default_config_static_selectorELNS0_4arch9wavefront6targetE1EEEvT1_
                                        ; -- End function
	.section	.AMDGPU.csdata,"",@progbits
; Kernel info:
; codeLenInByte = 0
; NumSgprs: 6
; NumVgprs: 0
; NumAgprs: 0
; TotalNumVgprs: 0
; ScratchSize: 0
; MemoryBound: 0
; FloatMode: 240
; IeeeMode: 1
; LDSByteSize: 0 bytes/workgroup (compile time only)
; SGPRBlocks: 0
; VGPRBlocks: 0
; NumSGPRsForWavesPerEU: 6
; NumVGPRsForWavesPerEU: 1
; AccumOffset: 4
; Occupancy: 8
; WaveLimiterHint : 0
; COMPUTE_PGM_RSRC2:SCRATCH_EN: 0
; COMPUTE_PGM_RSRC2:USER_SGPR: 2
; COMPUTE_PGM_RSRC2:TRAP_HANDLER: 0
; COMPUTE_PGM_RSRC2:TGID_X_EN: 1
; COMPUTE_PGM_RSRC2:TGID_Y_EN: 0
; COMPUTE_PGM_RSRC2:TGID_Z_EN: 0
; COMPUTE_PGM_RSRC2:TIDIG_COMP_CNT: 0
; COMPUTE_PGM_RSRC3_GFX90A:ACCUM_OFFSET: 0
; COMPUTE_PGM_RSRC3_GFX90A:TG_SPLIT: 0
	.section	.text._ZN7rocprim17ROCPRIM_400000_NS6detail17trampoline_kernelINS0_14default_configENS1_25partition_config_selectorILNS1_17partition_subalgoE1EjNS0_10empty_typeEbEEZZNS1_14partition_implILS5_1ELb0ES3_jN6thrust23THRUST_200600_302600_NS6detail15normal_iteratorINSA_10device_ptrIjEEEEPS6_NSA_18transform_iteratorI7is_evenIjESF_NSA_11use_defaultESK_EENS0_5tupleIJSF_SF_EEENSM_IJSG_SG_EEES6_PlJS6_EEE10hipError_tPvRmT3_T4_T5_T6_T7_T9_mT8_P12ihipStream_tbDpT10_ENKUlT_T0_E_clISt17integral_constantIbLb1EES19_EEDaS14_S15_EUlS14_E_NS1_11comp_targetILNS1_3genE5ELNS1_11target_archE942ELNS1_3gpuE9ELNS1_3repE0EEENS1_30default_config_static_selectorELNS0_4arch9wavefront6targetE1EEEvT1_,"axG",@progbits,_ZN7rocprim17ROCPRIM_400000_NS6detail17trampoline_kernelINS0_14default_configENS1_25partition_config_selectorILNS1_17partition_subalgoE1EjNS0_10empty_typeEbEEZZNS1_14partition_implILS5_1ELb0ES3_jN6thrust23THRUST_200600_302600_NS6detail15normal_iteratorINSA_10device_ptrIjEEEEPS6_NSA_18transform_iteratorI7is_evenIjESF_NSA_11use_defaultESK_EENS0_5tupleIJSF_SF_EEENSM_IJSG_SG_EEES6_PlJS6_EEE10hipError_tPvRmT3_T4_T5_T6_T7_T9_mT8_P12ihipStream_tbDpT10_ENKUlT_T0_E_clISt17integral_constantIbLb1EES19_EEDaS14_S15_EUlS14_E_NS1_11comp_targetILNS1_3genE5ELNS1_11target_archE942ELNS1_3gpuE9ELNS1_3repE0EEENS1_30default_config_static_selectorELNS0_4arch9wavefront6targetE1EEEvT1_,comdat
	.protected	_ZN7rocprim17ROCPRIM_400000_NS6detail17trampoline_kernelINS0_14default_configENS1_25partition_config_selectorILNS1_17partition_subalgoE1EjNS0_10empty_typeEbEEZZNS1_14partition_implILS5_1ELb0ES3_jN6thrust23THRUST_200600_302600_NS6detail15normal_iteratorINSA_10device_ptrIjEEEEPS6_NSA_18transform_iteratorI7is_evenIjESF_NSA_11use_defaultESK_EENS0_5tupleIJSF_SF_EEENSM_IJSG_SG_EEES6_PlJS6_EEE10hipError_tPvRmT3_T4_T5_T6_T7_T9_mT8_P12ihipStream_tbDpT10_ENKUlT_T0_E_clISt17integral_constantIbLb1EES19_EEDaS14_S15_EUlS14_E_NS1_11comp_targetILNS1_3genE5ELNS1_11target_archE942ELNS1_3gpuE9ELNS1_3repE0EEENS1_30default_config_static_selectorELNS0_4arch9wavefront6targetE1EEEvT1_ ; -- Begin function _ZN7rocprim17ROCPRIM_400000_NS6detail17trampoline_kernelINS0_14default_configENS1_25partition_config_selectorILNS1_17partition_subalgoE1EjNS0_10empty_typeEbEEZZNS1_14partition_implILS5_1ELb0ES3_jN6thrust23THRUST_200600_302600_NS6detail15normal_iteratorINSA_10device_ptrIjEEEEPS6_NSA_18transform_iteratorI7is_evenIjESF_NSA_11use_defaultESK_EENS0_5tupleIJSF_SF_EEENSM_IJSG_SG_EEES6_PlJS6_EEE10hipError_tPvRmT3_T4_T5_T6_T7_T9_mT8_P12ihipStream_tbDpT10_ENKUlT_T0_E_clISt17integral_constantIbLb1EES19_EEDaS14_S15_EUlS14_E_NS1_11comp_targetILNS1_3genE5ELNS1_11target_archE942ELNS1_3gpuE9ELNS1_3repE0EEENS1_30default_config_static_selectorELNS0_4arch9wavefront6targetE1EEEvT1_
	.globl	_ZN7rocprim17ROCPRIM_400000_NS6detail17trampoline_kernelINS0_14default_configENS1_25partition_config_selectorILNS1_17partition_subalgoE1EjNS0_10empty_typeEbEEZZNS1_14partition_implILS5_1ELb0ES3_jN6thrust23THRUST_200600_302600_NS6detail15normal_iteratorINSA_10device_ptrIjEEEEPS6_NSA_18transform_iteratorI7is_evenIjESF_NSA_11use_defaultESK_EENS0_5tupleIJSF_SF_EEENSM_IJSG_SG_EEES6_PlJS6_EEE10hipError_tPvRmT3_T4_T5_T6_T7_T9_mT8_P12ihipStream_tbDpT10_ENKUlT_T0_E_clISt17integral_constantIbLb1EES19_EEDaS14_S15_EUlS14_E_NS1_11comp_targetILNS1_3genE5ELNS1_11target_archE942ELNS1_3gpuE9ELNS1_3repE0EEENS1_30default_config_static_selectorELNS0_4arch9wavefront6targetE1EEEvT1_
	.p2align	8
	.type	_ZN7rocprim17ROCPRIM_400000_NS6detail17trampoline_kernelINS0_14default_configENS1_25partition_config_selectorILNS1_17partition_subalgoE1EjNS0_10empty_typeEbEEZZNS1_14partition_implILS5_1ELb0ES3_jN6thrust23THRUST_200600_302600_NS6detail15normal_iteratorINSA_10device_ptrIjEEEEPS6_NSA_18transform_iteratorI7is_evenIjESF_NSA_11use_defaultESK_EENS0_5tupleIJSF_SF_EEENSM_IJSG_SG_EEES6_PlJS6_EEE10hipError_tPvRmT3_T4_T5_T6_T7_T9_mT8_P12ihipStream_tbDpT10_ENKUlT_T0_E_clISt17integral_constantIbLb1EES19_EEDaS14_S15_EUlS14_E_NS1_11comp_targetILNS1_3genE5ELNS1_11target_archE942ELNS1_3gpuE9ELNS1_3repE0EEENS1_30default_config_static_selectorELNS0_4arch9wavefront6targetE1EEEvT1_,@function
_ZN7rocprim17ROCPRIM_400000_NS6detail17trampoline_kernelINS0_14default_configENS1_25partition_config_selectorILNS1_17partition_subalgoE1EjNS0_10empty_typeEbEEZZNS1_14partition_implILS5_1ELb0ES3_jN6thrust23THRUST_200600_302600_NS6detail15normal_iteratorINSA_10device_ptrIjEEEEPS6_NSA_18transform_iteratorI7is_evenIjESF_NSA_11use_defaultESK_EENS0_5tupleIJSF_SF_EEENSM_IJSG_SG_EEES6_PlJS6_EEE10hipError_tPvRmT3_T4_T5_T6_T7_T9_mT8_P12ihipStream_tbDpT10_ENKUlT_T0_E_clISt17integral_constantIbLb1EES19_EEDaS14_S15_EUlS14_E_NS1_11comp_targetILNS1_3genE5ELNS1_11target_archE942ELNS1_3gpuE9ELNS1_3repE0EEENS1_30default_config_static_selectorELNS0_4arch9wavefront6targetE1EEEvT1_: ; @_ZN7rocprim17ROCPRIM_400000_NS6detail17trampoline_kernelINS0_14default_configENS1_25partition_config_selectorILNS1_17partition_subalgoE1EjNS0_10empty_typeEbEEZZNS1_14partition_implILS5_1ELb0ES3_jN6thrust23THRUST_200600_302600_NS6detail15normal_iteratorINSA_10device_ptrIjEEEEPS6_NSA_18transform_iteratorI7is_evenIjESF_NSA_11use_defaultESK_EENS0_5tupleIJSF_SF_EEENSM_IJSG_SG_EEES6_PlJS6_EEE10hipError_tPvRmT3_T4_T5_T6_T7_T9_mT8_P12ihipStream_tbDpT10_ENKUlT_T0_E_clISt17integral_constantIbLb1EES19_EEDaS14_S15_EUlS14_E_NS1_11comp_targetILNS1_3genE5ELNS1_11target_archE942ELNS1_3gpuE9ELNS1_3repE0EEENS1_30default_config_static_selectorELNS0_4arch9wavefront6targetE1EEEvT1_
; %bb.0:
	s_load_dwordx2 s[2:3], s[0:1], 0x20
	s_load_dwordx4 s[20:23], s[0:1], 0x50
	s_load_dwordx2 s[6:7], s[0:1], 0x60
	s_load_dwordx2 s[34:35], s[0:1], 0x70
	v_cmp_eq_u32_e64 s[18:19], 0, v0
	s_and_saveexec_b64 s[4:5], s[18:19]
	s_cbranch_execz .LBB2244_4
; %bb.1:
	s_mov_b64 s[10:11], exec
	v_mbcnt_lo_u32_b32 v1, s10, 0
	v_mbcnt_hi_u32_b32 v1, s11, v1
	v_cmp_eq_u32_e32 vcc, 0, v1
                                        ; implicit-def: $vgpr2
	s_and_saveexec_b64 s[8:9], vcc
	s_cbranch_execz .LBB2244_3
; %bb.2:
	s_load_dwordx2 s[12:13], s[0:1], 0x80
	s_bcnt1_i32_b64 s10, s[10:11]
	v_mov_b32_e32 v2, 0
	v_mov_b32_e32 v3, s10
	s_waitcnt lgkmcnt(0)
	global_atomic_add v2, v2, v3, s[12:13] sc0
.LBB2244_3:
	s_or_b64 exec, exec, s[8:9]
	s_waitcnt vmcnt(0)
	v_readfirstlane_b32 s8, v2
	v_mov_b32_e32 v2, 0
	s_nop 0
	v_add_u32_e32 v1, s8, v1
	ds_write_b32 v2, v1
.LBB2244_4:
	s_or_b64 exec, exec, s[4:5]
	v_mov_b32_e32 v23, 0
	s_load_dwordx4 s[28:31], s[0:1], 0x8
	s_load_dwordx4 s[24:27], s[0:1], 0x30
	s_load_dword s8, s[0:1], 0x78
	s_waitcnt lgkmcnt(0)
	s_barrier
	ds_read_b32 v1, v23
	s_waitcnt lgkmcnt(0)
	s_barrier
	global_load_dwordx2 v[24:25], v23, s[22:23]
	v_mov_b32_e32 v3, s7
	s_lshl_b64 s[4:5], s[30:31], 2
	s_movk_i32 s7, 0x1e00
	s_add_u32 s0, s28, s4
	v_mul_lo_u32 v22, v1, s7
	s_mul_i32 s7, s8, 0x1e00
	s_addc_u32 s1, s29, s5
	s_add_i32 s9, s8, -1
	s_add_i32 s8, s7, s30
	s_sub_i32 s33, s6, s8
	s_addk_i32 s33, 0x1e00
	v_mov_b32_e32 v2, s6
	s_add_u32 s6, s30, s7
	v_readfirstlane_b32 s40, v1
	s_addc_u32 s7, s31, 0
	s_cmp_eq_u32 s40, s9
	s_cselect_b64 s[22:23], -1, 0
	s_cmp_lg_u32 s40, s9
	v_cmp_lt_u64_e32 vcc, s[6:7], v[2:3]
	s_cselect_b64 s[6:7], -1, 0
	s_or_b64 s[28:29], vcc, s[6:7]
	v_lshlrev_b64 v[26:27], 2, v[22:23]
	v_lshl_add_u64 v[18:19], s[0:1], 0, v[26:27]
	s_mov_b64 s[0:1], -1
	s_and_b64 vcc, exec, s[28:29]
	v_lshlrev_b32_e32 v22, 2, v0
	s_cbranch_vccz .LBB2244_6
; %bb.5:
	v_lshl_add_u64 v[2:3], v[18:19], 0, v[22:23]
	v_add_co_u32_e32 v4, vcc, 0x1000, v2
	s_mov_b64 s[0:1], 0
	s_nop 0
	v_addc_co_u32_e32 v5, vcc, 0, v3, vcc
	v_add_co_u32_e32 v6, vcc, 0x2000, v2
	s_nop 1
	v_addc_co_u32_e32 v7, vcc, 0, v3, vcc
	v_add_co_u32_e32 v8, vcc, 0x3000, v2
	s_nop 1
	v_addc_co_u32_e32 v9, vcc, 0, v3, vcc
	flat_load_dword v1, v[2:3]
	flat_load_dword v10, v[2:3] offset:2048
	flat_load_dword v11, v[4:5]
	flat_load_dword v12, v[4:5] offset:2048
	;; [unrolled: 2-line block ×4, first 2 shown]
	v_add_co_u32_e32 v4, vcc, 0x4000, v2
	s_nop 1
	v_addc_co_u32_e32 v5, vcc, 0, v3, vcc
	v_add_co_u32_e32 v6, vcc, 0x5000, v2
	s_nop 1
	v_addc_co_u32_e32 v7, vcc, 0, v3, vcc
	;; [unrolled: 3-line block ×4, first 2 shown]
	flat_load_dword v17, v[4:5]
	flat_load_dword v20, v[4:5] offset:2048
	flat_load_dword v21, v[6:7]
	flat_load_dword v23, v[6:7] offset:2048
	flat_load_dword v28, v[8:9]
	flat_load_dword v29, v[8:9] offset:2048
	flat_load_dword v30, v[2:3]
	s_waitcnt vmcnt(0) lgkmcnt(0)
	ds_write2st64_b32 v22, v1, v10 offset1:8
	ds_write2st64_b32 v22, v11, v12 offset0:16 offset1:24
	ds_write2st64_b32 v22, v13, v14 offset0:32 offset1:40
	;; [unrolled: 1-line block ×6, first 2 shown]
	ds_write_b32 v22, v30 offset:28672
	s_waitcnt lgkmcnt(0)
	s_barrier
.LBB2244_6:
	s_andn2_b64 vcc, exec, s[0:1]
	v_cmp_gt_u32_e64 s[0:1], s33, v0
	s_cbranch_vccnz .LBB2244_38
; %bb.7:
                                        ; implicit-def: $vgpr2_vgpr3_vgpr4_vgpr5_vgpr6_vgpr7_vgpr8_vgpr9_vgpr10_vgpr11_vgpr12_vgpr13_vgpr14_vgpr15_vgpr16_vgpr17
	s_and_saveexec_b64 s[6:7], s[0:1]
	s_cbranch_execz .LBB2244_9
; %bb.8:
	v_mov_b32_e32 v23, 0
	v_lshl_add_u64 v[2:3], v[18:19], 0, v[22:23]
	flat_load_dword v2, v[2:3]
.LBB2244_9:
	s_or_b64 exec, exec, s[6:7]
	v_or_b32_e32 v1, 0x200, v0
	v_cmp_gt_u32_e32 vcc, s33, v1
	s_and_saveexec_b64 s[0:1], vcc
	s_cbranch_execz .LBB2244_11
; %bb.10:
	v_mov_b32_e32 v23, 0
	v_lshl_add_u64 v[20:21], v[18:19], 0, v[22:23]
	flat_load_dword v3, v[20:21] offset:2048
.LBB2244_11:
	s_or_b64 exec, exec, s[0:1]
	v_or_b32_e32 v1, 0x400, v0
	v_cmp_gt_u32_e32 vcc, s33, v1
	s_and_saveexec_b64 s[0:1], vcc
	s_cbranch_execz .LBB2244_13
; %bb.12:
	v_lshlrev_b32_e32 v20, 2, v1
	v_mov_b32_e32 v21, 0
	v_lshl_add_u64 v[20:21], v[18:19], 0, v[20:21]
	flat_load_dword v4, v[20:21]
.LBB2244_13:
	s_or_b64 exec, exec, s[0:1]
	v_or_b32_e32 v1, 0x600, v0
	v_cmp_gt_u32_e32 vcc, s33, v1
	s_and_saveexec_b64 s[0:1], vcc
	s_cbranch_execz .LBB2244_15
; %bb.14:
	v_lshlrev_b32_e32 v20, 2, v1
	v_mov_b32_e32 v21, 0
	v_lshl_add_u64 v[20:21], v[18:19], 0, v[20:21]
	flat_load_dword v5, v[20:21]
.LBB2244_15:
	;; [unrolled: 11-line block ×13, first 2 shown]
	s_or_b64 exec, exec, s[0:1]
	s_waitcnt vmcnt(0) lgkmcnt(0)
	ds_write2st64_b32 v22, v2, v3 offset1:8
	ds_write2st64_b32 v22, v4, v5 offset0:16 offset1:24
	ds_write2st64_b32 v22, v6, v7 offset0:32 offset1:40
	;; [unrolled: 1-line block ×6, first 2 shown]
	ds_write_b32 v22, v16 offset:28672
	s_waitcnt lgkmcnt(0)
	s_barrier
.LBB2244_38:
	v_mul_u32_u24_e32 v21, 15, v0
	v_lshlrev_b32_e32 v1, 2, v21
	ds_read2_b32 v[40:41], v1 offset1:1
	ds_read2_b32 v[38:39], v1 offset0:2 offset1:3
	ds_read2_b32 v[36:37], v1 offset0:4 offset1:5
	;; [unrolled: 1-line block ×6, first 2 shown]
	ds_read_b32 v1, v1 offset:56
	s_add_u32 s0, s2, s4
	s_addc_u32 s1, s3, s5
	v_lshl_add_u64 v[2:3], s[0:1], 0, v[26:27]
	s_mov_b64 s[0:1], -1
	s_and_b64 vcc, exec, s[28:29]
	s_waitcnt lgkmcnt(0)
	s_barrier
	s_cbranch_vccz .LBB2244_40
; %bb.39:
	v_mov_b32_e32 v23, 0
	v_lshl_add_u64 v[4:5], v[2:3], 0, v[22:23]
	v_add_co_u32_e32 v6, vcc, 0x1000, v4
	v_readfirstlane_b32 s0, v2
	s_nop 0
	v_addc_co_u32_e32 v7, vcc, 0, v5, vcc
	v_add_co_u32_e32 v8, vcc, 0x2000, v4
	v_readfirstlane_b32 s1, v3
	s_nop 0
	v_addc_co_u32_e32 v9, vcc, 0, v5, vcc
	s_nop 2
	global_load_dword v10, v22, s[0:1]
	global_load_dword v11, v22, s[0:1] offset:2048
	global_load_dword v12, v[6:7], off
	global_load_dword v13, v[6:7], off offset:2048
	global_load_dword v14, v[8:9], off
	global_load_dword v15, v[8:9], off offset:2048
	v_add_co_u32_e32 v6, vcc, 0x3000, v4
	s_mov_b64 s[0:1], 0
	s_nop 0
	v_addc_co_u32_e32 v7, vcc, 0, v5, vcc
	v_add_co_u32_e32 v8, vcc, 0x4000, v4
	s_nop 1
	v_addc_co_u32_e32 v9, vcc, 0, v5, vcc
	global_load_dword v16, v[6:7], off
	global_load_dword v17, v[6:7], off offset:2048
	global_load_dword v18, v[8:9], off
	global_load_dword v19, v[8:9], off offset:2048
	v_add_co_u32_e32 v6, vcc, 0x5000, v4
	s_nop 1
	v_addc_co_u32_e32 v7, vcc, 0, v5, vcc
	global_load_dword v8, v[6:7], off
	global_load_dword v9, v[6:7], off offset:2048
	v_add_co_u32_e32 v6, vcc, 0x6000, v4
	s_waitcnt vmcnt(1)
	v_xor_b32_e32 v8, -1, v8
	v_addc_co_u32_e32 v7, vcc, 0, v5, vcc
	v_add_co_u32_e32 v4, vcc, 0x7000, v4
	global_load_dword v20, v[6:7], off
	global_load_dword v23, v[6:7], off offset:2048
	v_addc_co_u32_e32 v5, vcc, 0, v5, vcc
	global_load_dword v4, v[4:5], off
	v_xor_b32_e32 v5, -1, v10
	v_xor_b32_e32 v6, -1, v11
	v_and_b32_e32 v5, 1, v5
	v_and_b32_e32 v6, 1, v6
	ds_write_b8 v0, v5
	ds_write_b8 v0, v6 offset:512
	v_xor_b32_e32 v5, -1, v12
	v_xor_b32_e32 v6, -1, v13
	v_and_b32_e32 v5, 1, v5
	v_and_b32_e32 v6, 1, v6
	v_xor_b32_e32 v7, -1, v14
	v_xor_b32_e32 v11, -1, v16
	;; [unrolled: 1-line block ×4, first 2 shown]
	v_and_b32_e32 v7, 1, v7
	ds_write_b8 v0, v5 offset:1024
	ds_write_b8 v0, v6 offset:1536
	v_and_b32_e32 v5, 1, v11
	v_and_b32_e32 v6, 1, v12
	v_xor_b32_e32 v11, -1, v18
	s_waitcnt vmcnt(3)
	v_xor_b32_e32 v9, -1, v9
	v_and_b32_e32 v10, 1, v10
	v_xor_b32_e32 v12, -1, v19
	ds_write_b8 v0, v7 offset:2048
	ds_write_b8 v0, v10 offset:2560
	v_and_b32_e32 v7, 1, v11
	ds_write_b8 v0, v5 offset:3072
	ds_write_b8 v0, v6 offset:3584
	v_and_b32_e32 v5, 1, v8
	v_and_b32_e32 v6, 1, v9
	;; [unrolled: 1-line block ×3, first 2 shown]
	s_waitcnt vmcnt(2)
	v_xor_b32_e32 v8, -1, v20
	s_waitcnt vmcnt(1)
	v_xor_b32_e32 v9, -1, v23
	v_and_b32_e32 v8, 1, v8
	v_and_b32_e32 v9, 1, v9
	s_waitcnt vmcnt(0)
	v_xor_b32_e32 v4, -1, v4
	v_and_b32_e32 v4, 1, v4
	ds_write_b8 v0, v7 offset:4096
	ds_write_b8 v0, v10 offset:4608
	;; [unrolled: 1-line block ×7, first 2 shown]
	s_waitcnt lgkmcnt(0)
	s_barrier
.LBB2244_40:
	s_andn2_b64 vcc, exec, s[0:1]
	s_cbranch_vccnz .LBB2244_72
; %bb.41:
	v_cmp_gt_u32_e32 vcc, s33, v0
	v_mov_b32_e32 v4, 0
	v_mov_b32_e32 v5, 0
	s_and_saveexec_b64 s[0:1], vcc
	s_cbranch_execz .LBB2244_43
; %bb.42:
	v_readfirstlane_b32 s2, v2
	v_readfirstlane_b32 s3, v3
	s_nop 4
	global_load_dword v5, v22, s[2:3]
	s_waitcnt vmcnt(0)
	v_xor_b32_e32 v5, -1, v5
	v_and_b32_e32 v5, 1, v5
.LBB2244_43:
	s_or_b64 exec, exec, s[0:1]
	v_or_b32_e32 v6, 0x200, v0
	v_cmp_gt_u32_e32 vcc, s33, v6
	s_and_saveexec_b64 s[0:1], vcc
	s_cbranch_execz .LBB2244_45
; %bb.44:
	v_readfirstlane_b32 s2, v2
	v_readfirstlane_b32 s3, v3
	s_nop 4
	global_load_dword v4, v22, s[2:3] offset:2048
	s_waitcnt vmcnt(0)
	v_xor_b32_e32 v4, -1, v4
	v_and_b32_e32 v4, 1, v4
.LBB2244_45:
	s_or_b64 exec, exec, s[0:1]
	v_or_b32_e32 v8, 0x400, v0
	v_cmp_gt_u32_e32 vcc, s33, v8
	v_mov_b32_e32 v6, 0
	v_mov_b32_e32 v7, 0
	s_and_saveexec_b64 s[0:1], vcc
	s_cbranch_execz .LBB2244_47
; %bb.46:
	v_lshlrev_b32_e32 v7, 2, v8
	v_readfirstlane_b32 s2, v2
	v_readfirstlane_b32 s3, v3
	s_nop 4
	global_load_dword v7, v7, s[2:3]
	s_waitcnt vmcnt(0)
	v_xor_b32_e32 v7, -1, v7
	v_and_b32_e32 v7, 1, v7
.LBB2244_47:
	s_or_b64 exec, exec, s[0:1]
	v_or_b32_e32 v8, 0x600, v0
	v_cmp_gt_u32_e32 vcc, s33, v8
	s_and_saveexec_b64 s[0:1], vcc
	s_cbranch_execz .LBB2244_49
; %bb.48:
	v_lshlrev_b32_e32 v6, 2, v8
	v_readfirstlane_b32 s2, v2
	v_readfirstlane_b32 s3, v3
	s_nop 4
	global_load_dword v6, v6, s[2:3]
	s_waitcnt vmcnt(0)
	v_xor_b32_e32 v6, -1, v6
	v_and_b32_e32 v6, 1, v6
.LBB2244_49:
	s_or_b64 exec, exec, s[0:1]
	v_or_b32_e32 v10, 0x800, v0
	v_cmp_gt_u32_e32 vcc, s33, v10
	v_mov_b32_e32 v8, 0
	v_mov_b32_e32 v9, 0
	s_and_saveexec_b64 s[0:1], vcc
	s_cbranch_execz .LBB2244_51
; %bb.50:
	v_lshlrev_b32_e32 v9, 2, v10
	v_readfirstlane_b32 s2, v2
	v_readfirstlane_b32 s3, v3
	s_nop 4
	global_load_dword v9, v9, s[2:3]
	s_waitcnt vmcnt(0)
	v_xor_b32_e32 v9, -1, v9
	v_and_b32_e32 v9, 1, v9
.LBB2244_51:
	s_or_b64 exec, exec, s[0:1]
	v_or_b32_e32 v10, 0xa00, v0
	v_cmp_gt_u32_e32 vcc, s33, v10
	s_and_saveexec_b64 s[0:1], vcc
	s_cbranch_execz .LBB2244_53
; %bb.52:
	v_lshlrev_b32_e32 v8, 2, v10
	v_readfirstlane_b32 s2, v2
	v_readfirstlane_b32 s3, v3
	s_nop 4
	global_load_dword v8, v8, s[2:3]
	s_waitcnt vmcnt(0)
	v_xor_b32_e32 v8, -1, v8
	v_and_b32_e32 v8, 1, v8
.LBB2244_53:
	;; [unrolled: 32-line block ×6, first 2 shown]
	s_or_b64 exec, exec, s[0:1]
	v_or_b32_e32 v19, 0x1c00, v0
	v_cmp_gt_u32_e32 vcc, s33, v19
	v_mov_b32_e32 v18, 0
	s_and_saveexec_b64 s[0:1], vcc
	s_cbranch_execz .LBB2244_71
; %bb.70:
	v_lshlrev_b32_e32 v18, 2, v19
	v_readfirstlane_b32 s2, v2
	v_readfirstlane_b32 s3, v3
	s_nop 4
	global_load_dword v2, v18, s[2:3]
	s_waitcnt vmcnt(0)
	v_xor_b32_e32 v2, -1, v2
	v_and_b32_e32 v18, 1, v2
.LBB2244_71:
	s_or_b64 exec, exec, s[0:1]
	ds_write_b8 v0, v5
	ds_write_b8 v0, v4 offset:512
	ds_write_b8 v0, v7 offset:1024
	;; [unrolled: 1-line block ×14, first 2 shown]
	s_waitcnt lgkmcnt(0)
	s_barrier
.LBB2244_72:
	ds_read_b96 v[18:20], v21
	ds_read_u8 v2, v21 offset:12
	ds_read_u8 v3, v21 offset:13
	;; [unrolled: 1-line block ×3, first 2 shown]
	s_cmp_lg_u32 s40, 0
	v_lshrrev_b32_e32 v60, 6, v0
	s_waitcnt lgkmcnt(2)
	v_and_b32_e32 v47, 1, v2
	v_and_b32_e32 v56, 0xff, v18
	v_bfe_u32 v57, v18, 8, 8
	v_bfe_u32 v58, v18, 16, 8
	v_lshrrev_b32_e32 v49, 24, v18
	v_and_b32_e32 v53, 0xff, v19
	v_add3_u32 v2, v57, v56, v58
	v_bfe_u32 v54, v19, 8, 8
	v_bfe_u32 v55, v19, 16, 8
	v_add3_u32 v2, v2, v49, v53
	v_lshrrev_b32_e32 v48, 24, v19
	v_and_b32_e32 v50, 0xff, v20
	v_add3_u32 v2, v2, v54, v55
	v_bfe_u32 v51, v20, 8, 8
	v_bfe_u32 v52, v20, 16, 8
	v_add3_u32 v2, v2, v48, v50
	v_lshrrev_b32_e32 v46, 24, v20
	v_add3_u32 v2, v2, v51, v52
	s_waitcnt lgkmcnt(1)
	v_and_b32_e32 v45, 1, v3
	s_waitcnt lgkmcnt(0)
	v_and_b32_e32 v23, 1, v4
	v_add3_u32 v2, v2, v46, v47
	v_add3_u32 v61, v2, v45, v23
	v_mbcnt_lo_u32_b32 v2, -1, 0
	v_mbcnt_hi_u32_b32 v59, -1, v2
	v_and_b32_e32 v2, 15, v59
	v_cmp_eq_u32_e64 s[14:15], 0, v2
	v_cmp_lt_u32_e64 s[12:13], 1, v2
	v_cmp_lt_u32_e64 s[10:11], 3, v2
	;; [unrolled: 1-line block ×3, first 2 shown]
	v_and_b32_e32 v2, 16, v59
	v_cmp_eq_u32_e64 s[6:7], 0, v2
	v_or_b32_e32 v2, 63, v0
	v_cmp_lt_u32_e64 s[2:3], 31, v59
	v_cmp_eq_u32_e64 s[4:5], v2, v0
	s_barrier
	s_cbranch_scc0 .LBB2244_103
; %bb.73:
	v_mov_b32_dpp v2, v61 row_shr:1 row_mask:0xf bank_mask:0xf
	v_cndmask_b32_e64 v2, v2, 0, s[14:15]
	v_add_u32_e32 v2, v2, v61
	s_nop 1
	v_mov_b32_dpp v3, v2 row_shr:2 row_mask:0xf bank_mask:0xf
	v_cndmask_b32_e64 v3, 0, v3, s[12:13]
	v_add_u32_e32 v2, v2, v3
	s_nop 1
	;; [unrolled: 4-line block ×4, first 2 shown]
	v_mov_b32_dpp v3, v2 row_bcast:15 row_mask:0xf bank_mask:0xf
	v_cndmask_b32_e64 v3, v3, 0, s[6:7]
	v_add_u32_e32 v2, v2, v3
	s_nop 1
	v_mov_b32_dpp v3, v2 row_bcast:31 row_mask:0xf bank_mask:0xf
	v_cndmask_b32_e64 v3, 0, v3, s[2:3]
	v_add_u32_e32 v2, v2, v3
	s_and_saveexec_b64 s[0:1], s[4:5]
	s_cbranch_execz .LBB2244_75
; %bb.74:
	v_lshlrev_b32_e32 v3, 2, v60
	ds_write_b32 v3, v2
.LBB2244_75:
	s_or_b64 exec, exec, s[0:1]
	v_cmp_gt_u32_e32 vcc, 8, v0
	s_waitcnt lgkmcnt(0)
	s_barrier
	s_and_saveexec_b64 s[0:1], vcc
	s_cbranch_execz .LBB2244_77
; %bb.76:
	ds_read_b32 v3, v22
	v_and_b32_e32 v4, 7, v59
	v_cmp_ne_u32_e32 vcc, 0, v4
	s_waitcnt lgkmcnt(0)
	v_mov_b32_dpp v5, v3 row_shr:1 row_mask:0xf bank_mask:0xf
	v_cndmask_b32_e32 v5, 0, v5, vcc
	v_add_u32_e32 v3, v5, v3
	v_cmp_lt_u32_e32 vcc, 1, v4
	s_nop 0
	v_mov_b32_dpp v5, v3 row_shr:2 row_mask:0xf bank_mask:0xf
	v_cndmask_b32_e32 v5, 0, v5, vcc
	v_add_u32_e32 v3, v3, v5
	v_cmp_lt_u32_e32 vcc, 3, v4
	s_nop 0
	v_mov_b32_dpp v5, v3 row_shr:4 row_mask:0xf bank_mask:0xf
	v_cndmask_b32_e32 v4, 0, v5, vcc
	v_add_u32_e32 v3, v3, v4
	ds_write_b32 v22, v3
.LBB2244_77:
	s_or_b64 exec, exec, s[0:1]
	v_cmp_gt_u32_e32 vcc, 64, v0
	v_cmp_lt_u32_e64 s[0:1], 63, v0
	s_waitcnt lgkmcnt(0)
	s_barrier
	s_waitcnt lgkmcnt(0)
                                        ; implicit-def: $vgpr12
	s_and_saveexec_b64 s[16:17], s[0:1]
	s_cbranch_execz .LBB2244_79
; %bb.78:
	v_lshl_add_u32 v3, v60, 2, -4
	ds_read_b32 v12, v3
	s_waitcnt lgkmcnt(0)
	v_add_u32_e32 v2, v12, v2
.LBB2244_79:
	s_or_b64 exec, exec, s[16:17]
	v_add_u32_e32 v3, -1, v59
	v_and_b32_e32 v4, 64, v59
	v_cmp_lt_i32_e64 s[0:1], v3, v4
	v_cmp_eq_u32_e64 s[16:17], 0, v59
	s_nop 0
	v_cndmask_b32_e64 v3, v3, v59, s[0:1]
	v_lshlrev_b32_e32 v3, 2, v3
	ds_bpermute_b32 v13, v3, v2
	s_and_saveexec_b64 s[0:1], vcc
	s_cbranch_execz .LBB2244_102
; %bb.80:
	v_mov_b32_e32 v11, 0
	ds_read_b32 v2, v11 offset:28
	s_and_saveexec_b64 s[36:37], s[16:17]
	s_cbranch_execz .LBB2244_82
; %bb.81:
	s_add_i32 s38, s40, 64
	s_mov_b32 s39, 0
	s_lshl_b64 s[38:39], s[38:39], 3
	s_add_u32 s38, s34, s38
	v_mov_b32_e32 v3, 1
	s_addc_u32 s39, s35, s39
	s_waitcnt lgkmcnt(0)
	global_store_dwordx2 v11, v[2:3], s[38:39] sc1
.LBB2244_82:
	s_or_b64 exec, exec, s[36:37]
	v_xad_u32 v4, v59, -1, s40
	v_add_u32_e32 v10, 64, v4
	v_lshl_add_u64 v[6:7], v[10:11], 3, s[34:35]
	global_load_dwordx2 v[8:9], v[6:7], off sc1
	s_waitcnt vmcnt(0)
	v_cmp_eq_u16_sdwa s[38:39], v9, v11 src0_sel:BYTE_0 src1_sel:DWORD
	s_and_saveexec_b64 s[36:37], s[38:39]
	s_cbranch_execz .LBB2244_88
; %bb.83:
	s_mov_b32 s41, 1
	s_mov_b64 s[38:39], 0
	v_mov_b32_e32 v3, 0
.LBB2244_84:                            ; =>This Loop Header: Depth=1
                                        ;     Child Loop BB2244_85 Depth 2
	s_max_u32 s42, s41, 1
.LBB2244_85:                            ;   Parent Loop BB2244_84 Depth=1
                                        ; =>  This Inner Loop Header: Depth=2
	s_add_i32 s42, s42, -1
	s_cmp_eq_u32 s42, 0
	s_sleep 1
	s_cbranch_scc0 .LBB2244_85
; %bb.86:                               ;   in Loop: Header=BB2244_84 Depth=1
	global_load_dwordx2 v[8:9], v[6:7], off sc1
	s_cmp_lt_u32 s41, 32
	s_cselect_b64 s[42:43], -1, 0
	s_cmp_lg_u64 s[42:43], 0
	s_addc_u32 s41, s41, 0
	s_waitcnt vmcnt(0)
	v_cmp_ne_u16_sdwa s[42:43], v9, v3 src0_sel:BYTE_0 src1_sel:DWORD
	s_or_b64 s[38:39], s[42:43], s[38:39]
	s_andn2_b64 exec, exec, s[38:39]
	s_cbranch_execnz .LBB2244_84
; %bb.87:
	s_or_b64 exec, exec, s[38:39]
.LBB2244_88:
	s_or_b64 exec, exec, s[36:37]
	v_and_b32_e32 v15, 63, v59
	v_mov_b32_e32 v14, 2
	v_cmp_ne_u32_e32 vcc, 63, v15
	v_cmp_eq_u16_sdwa s[36:37], v9, v14 src0_sel:BYTE_0 src1_sel:DWORD
	v_lshlrev_b64 v[6:7], v59, -1
	v_addc_co_u32_e32 v10, vcc, 0, v59, vcc
	v_and_b32_e32 v3, s37, v7
	v_lshlrev_b32_e32 v16, 2, v10
	v_or_b32_e32 v3, 0x80000000, v3
	ds_bpermute_b32 v10, v16, v8
	v_and_b32_e32 v5, s36, v6
	v_ffbl_b32_e32 v3, v3
	v_add_u32_e32 v3, 32, v3
	v_ffbl_b32_e32 v5, v5
	v_min_u32_e32 v3, v5, v3
	v_cmp_lt_u32_e32 vcc, v15, v3
	v_add_u32_e32 v42, 2, v15
	v_add_u32_e32 v44, 4, v15
	s_waitcnt lgkmcnt(0)
	v_cndmask_b32_e32 v5, 0, v10, vcc
	v_cmp_gt_u32_e32 vcc, 62, v15
	v_add_u32_e32 v5, v5, v8
	v_add_u32_e32 v63, 8, v15
	v_cndmask_b32_e64 v8, 0, 1, vcc
	v_lshlrev_b32_e32 v8, 1, v8
	v_add_lshl_u32 v17, v8, v59, 2
	ds_bpermute_b32 v8, v17, v5
	v_cmp_le_u32_e32 vcc, v42, v3
	v_add_u32_e32 v65, 16, v15
	v_add_u32_e32 v67, 32, v15
	s_waitcnt lgkmcnt(0)
	v_cndmask_b32_e32 v8, 0, v8, vcc
	v_cmp_gt_u32_e32 vcc, 60, v15
	v_add_u32_e32 v5, v5, v8
	s_nop 0
	v_cndmask_b32_e64 v8, 0, 1, vcc
	v_lshlrev_b32_e32 v8, 2, v8
	v_add_lshl_u32 v43, v8, v59, 2
	ds_bpermute_b32 v8, v43, v5
	v_cmp_le_u32_e32 vcc, v44, v3
	s_waitcnt lgkmcnt(0)
	s_nop 0
	v_cndmask_b32_e32 v8, 0, v8, vcc
	v_cmp_gt_u32_e32 vcc, 56, v15
	v_add_u32_e32 v5, v5, v8
	s_nop 0
	v_cndmask_b32_e64 v8, 0, 1, vcc
	v_lshlrev_b32_e32 v8, 3, v8
	v_add_lshl_u32 v62, v8, v59, 2
	ds_bpermute_b32 v8, v62, v5
	v_cmp_le_u32_e32 vcc, v63, v3
	s_waitcnt lgkmcnt(0)
	s_nop 0
	;; [unrolled: 11-line block ×4, first 2 shown]
	v_cndmask_b32_e32 v3, 0, v8, vcc
	v_add_u32_e32 v8, v5, v3
	v_mov_b32_e32 v5, 0
	s_branch .LBB2244_90
.LBB2244_89:                            ;   in Loop: Header=BB2244_90 Depth=1
	s_or_b64 exec, exec, s[36:37]
	v_cmp_eq_u16_sdwa s[36:37], v9, v14 src0_sel:BYTE_0 src1_sel:DWORD
	ds_bpermute_b32 v68, v16, v8
	v_subrev_u32_e32 v4, 64, v4
	v_and_b32_e32 v10, s37, v7
	v_or_b32_e32 v10, 0x80000000, v10
	v_and_b32_e32 v11, s36, v6
	v_ffbl_b32_e32 v10, v10
	v_add_u32_e32 v10, 32, v10
	v_ffbl_b32_e32 v11, v11
	v_min_u32_e32 v10, v11, v10
	v_cmp_lt_u32_e32 vcc, v15, v10
	s_waitcnt lgkmcnt(0)
	s_nop 0
	v_cndmask_b32_e32 v11, 0, v68, vcc
	v_add_u32_e32 v8, v11, v8
	ds_bpermute_b32 v11, v17, v8
	v_cmp_le_u32_e32 vcc, v42, v10
	s_waitcnt lgkmcnt(0)
	s_nop 0
	v_cndmask_b32_e32 v11, 0, v11, vcc
	v_add_u32_e32 v8, v8, v11
	ds_bpermute_b32 v11, v43, v8
	v_cmp_le_u32_e32 vcc, v44, v10
	;; [unrolled: 6-line block ×5, first 2 shown]
	s_waitcnt lgkmcnt(0)
	s_nop 0
	v_cndmask_b32_e32 v10, 0, v11, vcc
	v_add3_u32 v8, v10, v3, v8
.LBB2244_90:                            ; =>This Loop Header: Depth=1
                                        ;     Child Loop BB2244_93 Depth 2
                                        ;       Child Loop BB2244_94 Depth 3
	v_cmp_ne_u16_sdwa s[36:37], v9, v14 src0_sel:BYTE_0 src1_sel:DWORD
	s_nop 1
	v_cndmask_b32_e64 v3, 0, 1, s[36:37]
	;;#ASMSTART
	;;#ASMEND
	s_nop 0
	v_cmp_ne_u32_e32 vcc, 0, v3
	s_cmp_lg_u64 vcc, exec
	v_mov_b32_e32 v3, v8
	s_cbranch_scc1 .LBB2244_97
; %bb.91:                               ;   in Loop: Header=BB2244_90 Depth=1
	v_lshl_add_u64 v[10:11], v[4:5], 3, s[34:35]
	global_load_dwordx2 v[8:9], v[10:11], off sc1
	s_waitcnt vmcnt(0)
	v_cmp_eq_u16_sdwa s[38:39], v9, v5 src0_sel:BYTE_0 src1_sel:DWORD
	s_and_saveexec_b64 s[36:37], s[38:39]
	s_cbranch_execz .LBB2244_89
; %bb.92:                               ;   in Loop: Header=BB2244_90 Depth=1
	s_mov_b32 s41, 1
	s_mov_b64 s[38:39], 0
.LBB2244_93:                            ;   Parent Loop BB2244_90 Depth=1
                                        ; =>  This Loop Header: Depth=2
                                        ;       Child Loop BB2244_94 Depth 3
	s_max_u32 s42, s41, 1
.LBB2244_94:                            ;   Parent Loop BB2244_90 Depth=1
                                        ;     Parent Loop BB2244_93 Depth=2
                                        ; =>    This Inner Loop Header: Depth=3
	s_add_i32 s42, s42, -1
	s_cmp_eq_u32 s42, 0
	s_sleep 1
	s_cbranch_scc0 .LBB2244_94
; %bb.95:                               ;   in Loop: Header=BB2244_93 Depth=2
	global_load_dwordx2 v[8:9], v[10:11], off sc1
	s_cmp_lt_u32 s41, 32
	s_cselect_b64 s[42:43], -1, 0
	s_cmp_lg_u64 s[42:43], 0
	s_addc_u32 s41, s41, 0
	s_waitcnt vmcnt(0)
	v_cmp_ne_u16_sdwa s[42:43], v9, v5 src0_sel:BYTE_0 src1_sel:DWORD
	s_or_b64 s[38:39], s[42:43], s[38:39]
	s_andn2_b64 exec, exec, s[38:39]
	s_cbranch_execnz .LBB2244_93
; %bb.96:                               ;   in Loop: Header=BB2244_90 Depth=1
	s_or_b64 exec, exec, s[38:39]
	s_branch .LBB2244_89
.LBB2244_97:                            ;   in Loop: Header=BB2244_90 Depth=1
                                        ; implicit-def: $vgpr8
                                        ; implicit-def: $vgpr9
	s_cbranch_execz .LBB2244_90
; %bb.98:
	s_and_saveexec_b64 s[36:37], s[16:17]
	s_cbranch_execz .LBB2244_100
; %bb.99:
	s_add_i32 s38, s40, 64
	s_mov_b32 s39, 0
	s_lshl_b64 s[38:39], s[38:39], 3
	s_add_u32 s38, s34, s38
	v_add_u32_e32 v4, v3, v2
	v_mov_b32_e32 v5, 2
	s_addc_u32 s39, s35, s39
	v_mov_b32_e32 v6, 0
	global_store_dwordx2 v6, v[4:5], s[38:39] sc1
	ds_write_b64 v6, v[2:3] offset:30720
.LBB2244_100:
	s_or_b64 exec, exec, s[36:37]
	s_and_b64 exec, exec, s[18:19]
	s_cbranch_execz .LBB2244_102
; %bb.101:
	v_mov_b32_e32 v2, 0
	ds_write_b32 v2, v3 offset:28
.LBB2244_102:
	s_or_b64 exec, exec, s[0:1]
	v_mov_b32_e32 v14, 0
	s_waitcnt lgkmcnt(0)
	s_barrier
	ds_read_b32 v2, v14 offset:28
	v_cndmask_b32_e64 v3, v13, v12, s[16:17]
	v_cndmask_b32_e64 v3, v3, 0, s[18:19]
	s_waitcnt lgkmcnt(0)
	s_barrier
	v_add_u32_e32 v2, v2, v3
	v_add_u32_e32 v3, v2, v56
	;; [unrolled: 1-line block ×10, first 2 shown]
	ds_read_b64 v[42:43], v14 offset:30720
	v_add_u32_e32 v12, v11, v51
	v_add_u32_e32 v13, v12, v52
	;; [unrolled: 1-line block ×5, first 2 shown]
	s_waitcnt lgkmcnt(0)
	v_mov_b32_e32 v44, v43
	s_branch .LBB2244_113
.LBB2244_103:
                                        ; implicit-def: $vgpr44
                                        ; implicit-def: $vgpr42
                                        ; implicit-def: $vgpr2_vgpr3_vgpr4_vgpr5_vgpr6_vgpr7_vgpr8_vgpr9_vgpr10_vgpr11_vgpr12_vgpr13_vgpr14_vgpr15_vgpr16_vgpr17
	s_cbranch_execz .LBB2244_113
; %bb.104:
	s_nop 0
	v_mov_b32_dpp v2, v61 row_shr:1 row_mask:0xf bank_mask:0xf
	v_cndmask_b32_e64 v2, v2, 0, s[14:15]
	v_add_u32_e32 v2, v2, v61
	s_nop 1
	v_mov_b32_dpp v3, v2 row_shr:2 row_mask:0xf bank_mask:0xf
	v_cndmask_b32_e64 v3, 0, v3, s[12:13]
	v_add_u32_e32 v2, v2, v3
	;; [unrolled: 4-line block ×4, first 2 shown]
	s_nop 1
	v_mov_b32_dpp v3, v2 row_bcast:15 row_mask:0xf bank_mask:0xf
	v_cndmask_b32_e64 v3, v3, 0, s[6:7]
	v_add_u32_e32 v2, v2, v3
	s_nop 1
	v_mov_b32_dpp v3, v2 row_bcast:31 row_mask:0xf bank_mask:0xf
	v_cndmask_b32_e64 v3, 0, v3, s[2:3]
	v_add_u32_e32 v2, v2, v3
	s_and_saveexec_b64 s[0:1], s[4:5]
	s_cbranch_execz .LBB2244_106
; %bb.105:
	v_lshlrev_b32_e32 v3, 2, v60
	ds_write_b32 v3, v2
.LBB2244_106:
	s_or_b64 exec, exec, s[0:1]
	v_cmp_gt_u32_e32 vcc, 8, v0
	s_waitcnt lgkmcnt(0)
	s_barrier
	s_and_saveexec_b64 s[0:1], vcc
	s_cbranch_execz .LBB2244_108
; %bb.107:
	v_mad_i32_i24 v3, v0, -11, v21
	ds_read_b32 v4, v3
	v_and_b32_e32 v5, 7, v59
	v_cmp_ne_u32_e32 vcc, 0, v5
	s_waitcnt lgkmcnt(0)
	v_mov_b32_dpp v6, v4 row_shr:1 row_mask:0xf bank_mask:0xf
	v_cndmask_b32_e32 v6, 0, v6, vcc
	v_add_u32_e32 v4, v6, v4
	v_cmp_lt_u32_e32 vcc, 1, v5
	s_nop 0
	v_mov_b32_dpp v6, v4 row_shr:2 row_mask:0xf bank_mask:0xf
	v_cndmask_b32_e32 v6, 0, v6, vcc
	v_add_u32_e32 v4, v4, v6
	v_cmp_lt_u32_e32 vcc, 3, v5
	s_nop 0
	v_mov_b32_dpp v6, v4 row_shr:4 row_mask:0xf bank_mask:0xf
	v_cndmask_b32_e32 v5, 0, v6, vcc
	v_add_u32_e32 v4, v4, v5
	ds_write_b32 v3, v4
.LBB2244_108:
	s_or_b64 exec, exec, s[0:1]
	v_cmp_lt_u32_e32 vcc, 63, v0
	v_mov_b32_e32 v4, 0
	v_mov_b32_e32 v3, 0
	s_waitcnt lgkmcnt(0)
	s_barrier
	s_and_saveexec_b64 s[0:1], vcc
	s_cbranch_execz .LBB2244_110
; %bb.109:
	v_lshl_add_u32 v3, v60, 2, -4
	ds_read_b32 v3, v3
.LBB2244_110:
	s_or_b64 exec, exec, s[0:1]
	v_add_u32_e32 v5, -1, v59
	v_and_b32_e32 v6, 64, v59
	v_cmp_lt_i32_e32 vcc, v5, v6
	s_waitcnt lgkmcnt(0)
	v_add_u32_e32 v2, v3, v2
	ds_read_b32 v42, v4 offset:28
	v_cndmask_b32_e32 v5, v5, v59, vcc
	v_lshlrev_b32_e32 v5, 2, v5
	ds_bpermute_b32 v2, v5, v2
	s_and_saveexec_b64 s[0:1], s[18:19]
	s_cbranch_execz .LBB2244_112
; %bb.111:
	v_mov_b32_e32 v4, 0
	v_mov_b32_e32 v43, 2
	s_waitcnt lgkmcnt(1)
	global_store_dwordx2 v4, v[42:43], s[34:35] offset:512 sc1
.LBB2244_112:
	s_or_b64 exec, exec, s[0:1]
	v_cmp_eq_u32_e32 vcc, 0, v59
	v_mov_b32_e32 v44, 0
	s_waitcnt lgkmcnt(0)
	v_cndmask_b32_e32 v2, v2, v3, vcc
	v_cndmask_b32_e64 v2, v2, 0, s[18:19]
	v_add_u32_e32 v3, v2, v56
	v_add_u32_e32 v4, v3, v57
	;; [unrolled: 1-line block ×14, first 2 shown]
	s_barrier
.LBB2244_113:
	v_add_u32_e32 v21, v42, v21
	v_sub_u32_e32 v2, v2, v44
	v_and_b32_e32 v52, 1, v18
	v_sub_u32_e32 v51, v21, v2
	v_cmp_eq_u32_e32 vcc, 1, v52
	v_lshrrev_b32_e32 v50, 8, v18
	v_lshrrev_b32_e32 v43, 8, v19
	v_cndmask_b32_e32 v2, v51, v2, vcc
	v_lshlrev_b32_e32 v2, 2, v2
	ds_write_b32 v2, v40
	v_sub_u32_e32 v2, v3, v44
	v_sub_u32_e32 v3, v21, v2
	v_and_b32_e32 v40, 1, v50
	v_add_u32_e32 v3, 1, v3
	v_cmp_eq_u32_e32 vcc, 1, v40
	v_lshrrev_b32_e32 v17, 8, v20
	v_or_b32_e32 v40, 0x400, v0
	v_cndmask_b32_e32 v2, v3, v2, vcc
	v_lshlrev_b32_e32 v2, 2, v2
	ds_write_b32 v2, v41
	v_sub_u32_e32 v2, v4, v44
	v_mov_b32_e32 v4, 1
	v_sub_u32_e32 v3, v21, v2
	v_and_b32_sdwa v18, v4, v18 dst_sel:DWORD dst_unused:UNUSED_PAD src0_sel:DWORD src1_sel:WORD_1
	v_add_u32_e32 v3, 2, v3
	v_cmp_eq_u32_e32 vcc, 1, v18
	v_or_b32_e32 v41, 0x200, v0
	s_nop 0
	v_cndmask_b32_e32 v2, v3, v2, vcc
	v_lshlrev_b32_e32 v2, 2, v2
	ds_write_b32 v2, v38
	v_sub_u32_e32 v2, v5, v44
	v_sub_u32_e32 v3, v21, v2
	v_and_b32_e32 v5, 1, v49
	v_add_u32_e32 v3, 3, v3
	v_cmp_eq_u32_e32 vcc, 1, v5
	v_and_b32_e32 v5, 1, v19
	v_or_b32_e32 v38, 0x800, v0
	v_cndmask_b32_e32 v2, v3, v2, vcc
	v_lshlrev_b32_e32 v2, 2, v2
	ds_write_b32 v2, v39
	v_sub_u32_e32 v2, v6, v44
	v_sub_u32_e32 v3, v21, v2
	v_add_u32_e32 v3, 4, v3
	v_cmp_eq_u32_e32 vcc, 1, v5
	v_and_b32_e32 v5, 1, v43
	v_or_b32_e32 v39, 0x600, v0
	v_cndmask_b32_e32 v2, v3, v2, vcc
	v_lshlrev_b32_e32 v2, 2, v2
	ds_write_b32 v2, v36
	v_sub_u32_e32 v2, v7, v44
	v_sub_u32_e32 v3, v21, v2
	v_add_u32_e32 v3, 5, v3
	v_cmp_eq_u32_e32 vcc, 1, v5
	v_and_b32_sdwa v5, v4, v19 dst_sel:DWORD dst_unused:UNUSED_PAD src0_sel:DWORD src1_sel:WORD_1
	v_and_b32_sdwa v4, v4, v20 dst_sel:DWORD dst_unused:UNUSED_PAD src0_sel:DWORD src1_sel:WORD_1
	v_cndmask_b32_e32 v2, v3, v2, vcc
	v_lshlrev_b32_e32 v2, 2, v2
	ds_write_b32 v2, v37
	v_sub_u32_e32 v2, v8, v44
	v_sub_u32_e32 v3, v21, v2
	v_add_u32_e32 v3, 6, v3
	v_cmp_eq_u32_e32 vcc, 1, v5
	v_and_b32_e32 v5, 1, v48
	v_mov_b32_e32 v7, s31
	v_cndmask_b32_e32 v2, v3, v2, vcc
	v_lshlrev_b32_e32 v2, 2, v2
	ds_write_b32 v2, v34
	v_sub_u32_e32 v2, v9, v44
	v_sub_u32_e32 v3, v21, v2
	v_add_u32_e32 v3, 7, v3
	v_cmp_eq_u32_e32 vcc, 1, v5
	v_and_b32_e32 v5, 1, v20
	v_or_b32_e32 v37, 0xa00, v0
	v_cndmask_b32_e32 v2, v3, v2, vcc
	v_lshlrev_b32_e32 v2, 2, v2
	ds_write_b32 v2, v35
	v_sub_u32_e32 v2, v10, v44
	v_sub_u32_e32 v3, v21, v2
	v_add_u32_e32 v3, 8, v3
	v_cmp_eq_u32_e32 vcc, 1, v5
	v_and_b32_e32 v5, 1, v17
	v_or_b32_e32 v36, 0xc00, v0
	v_cndmask_b32_e32 v2, v3, v2, vcc
	v_lshlrev_b32_e32 v2, 2, v2
	ds_write_b32 v2, v32
	v_sub_u32_e32 v2, v11, v44
	v_sub_u32_e32 v3, v21, v2
	v_add_u32_e32 v3, 9, v3
	v_cmp_eq_u32_e32 vcc, 1, v5
	v_or_b32_e32 v35, 0xe00, v0
	v_or_b32_e32 v34, 0x1000, v0
	v_cndmask_b32_e32 v2, v3, v2, vcc
	v_lshlrev_b32_e32 v2, 2, v2
	ds_write_b32 v2, v33
	v_sub_u32_e32 v2, v12, v44
	v_sub_u32_e32 v3, v21, v2
	v_add_u32_e32 v3, 10, v3
	v_cmp_eq_u32_e32 vcc, 1, v4
	v_and_b32_e32 v4, 1, v46
	v_or_b32_e32 v33, 0x1200, v0
	v_cndmask_b32_e32 v2, v3, v2, vcc
	v_lshlrev_b32_e32 v2, 2, v2
	ds_write_b32 v2, v30
	v_sub_u32_e32 v2, v13, v44
	v_sub_u32_e32 v3, v21, v2
	v_add_u32_e32 v3, 11, v3
	v_cmp_eq_u32_e32 vcc, 1, v4
	v_or_b32_e32 v32, 0x1400, v0
	v_or_b32_e32 v30, 0x1800, v0
	v_cndmask_b32_e32 v2, v3, v2, vcc
	v_lshlrev_b32_e32 v2, 2, v2
	ds_write_b32 v2, v31
	v_sub_u32_e32 v2, v14, v44
	v_sub_u32_e32 v3, v21, v2
	v_add_u32_e32 v3, 12, v3
	v_cmp_eq_u32_e32 vcc, 1, v47
	v_or_b32_e32 v31, 0x1600, v0
	s_nop 0
	v_cndmask_b32_e32 v2, v3, v2, vcc
	v_lshlrev_b32_e32 v2, 2, v2
	ds_write_b32 v2, v28
	v_sub_u32_e32 v2, v15, v44
	v_sub_u32_e32 v3, v21, v2
	v_add_u32_e32 v3, 13, v3
	v_cmp_eq_u32_e32 vcc, 1, v45
	v_mov_b32_e32 v45, 0
	s_waitcnt vmcnt(0)
	v_lshl_add_u64 v[8:9], v[24:25], 0, v[44:45]
	v_cndmask_b32_e32 v2, v3, v2, vcc
	v_lshlrev_b32_e32 v2, 2, v2
	ds_write_b32 v2, v29
	v_sub_u32_e32 v2, v16, v44
	v_sub_u32_e32 v3, v21, v2
	v_add_u32_e32 v3, 14, v3
	v_cmp_eq_u32_e32 vcc, 1, v23
	v_mov_b32_e32 v43, v45
	v_or_b32_e32 v29, 0x1a00, v0
	v_cndmask_b32_e32 v2, v3, v2, vcc
	v_lshlrev_b32_e32 v2, 2, v2
	ds_write_b32 v2, v1
	v_lshl_add_u64 v[2:3], v[8:9], 0, v[42:43]
	s_waitcnt lgkmcnt(0)
	s_barrier
	ds_read2st64_b32 v[20:21], v22 offset1:8
	ds_read2st64_b32 v[18:19], v22 offset0:16 offset1:24
	ds_read2st64_b32 v[16:17], v22 offset0:32 offset1:40
	;; [unrolled: 1-line block ×6, first 2 shown]
	ds_read_b32 v1, v22 offset:28672
	v_sub_co_u32_e32 v6, vcc, s30, v2
	v_lshlrev_b64 v[8:9], 2, v[8:9]
	s_nop 0
	v_subb_co_u32_e32 v7, vcc, v7, v3, vcc
	v_lshlrev_b64 v[6:7], 2, v[6:7]
	v_lshl_add_u64 v[6:7], s[26:27], 0, v[6:7]
	v_or_b32_e32 v28, 0x1c00, v0
	v_lshl_add_u64 v[6:7], v[6:7], 0, v[26:27]
	s_andn2_b64 vcc, exec, s[28:29]
	v_lshl_add_u64 v[8:9], s[24:25], 0, v[8:9]
	s_cbranch_vccnz .LBB2244_115
; %bb.114:
	v_cmp_gt_u32_e32 vcc, v42, v0
	v_mov_b32_e32 v23, v45
	v_lshlrev_b32_e32 v44, 2, v40
	v_cndmask_b32_e32 v25, v7, v9, vcc
	v_cndmask_b32_e32 v24, v6, v8, vcc
	v_lshl_add_u64 v[24:25], v[24:25], 0, v[22:23]
	v_cmp_lt_u32_e32 vcc, v41, v42
	s_waitcnt lgkmcnt(7)
	global_store_dword v[24:25], v20, off
	v_cndmask_b32_e32 v25, v7, v9, vcc
	v_cndmask_b32_e32 v24, v6, v8, vcc
	v_lshl_add_u64 v[24:25], v[24:25], 0, v[22:23]
	v_cmp_lt_u32_e32 vcc, v40, v42
	global_store_dword v[24:25], v21, off offset:2048
	s_mov_b64 s[0:1], -1
	v_cndmask_b32_e32 v25, v7, v9, vcc
	v_cndmask_b32_e32 v24, v6, v8, vcc
	v_lshl_add_u64 v[24:25], v[24:25], 0, v[44:45]
	v_cmp_lt_u32_e32 vcc, v39, v42
	s_waitcnt lgkmcnt(6)
	global_store_dword v[24:25], v18, off
	v_lshlrev_b32_e32 v44, 2, v39
	v_cndmask_b32_e32 v25, v7, v9, vcc
	v_cndmask_b32_e32 v24, v6, v8, vcc
	v_lshl_add_u64 v[24:25], v[24:25], 0, v[44:45]
	v_cmp_lt_u32_e32 vcc, v38, v42
	global_store_dword v[24:25], v19, off
	v_lshlrev_b32_e32 v44, 2, v38
	v_cndmask_b32_e32 v25, v7, v9, vcc
	v_cndmask_b32_e32 v24, v6, v8, vcc
	v_lshl_add_u64 v[24:25], v[24:25], 0, v[44:45]
	v_cmp_lt_u32_e32 vcc, v37, v42
	s_waitcnt lgkmcnt(5)
	global_store_dword v[24:25], v16, off
	v_lshlrev_b32_e32 v44, 2, v37
	v_cndmask_b32_e32 v25, v7, v9, vcc
	v_cndmask_b32_e32 v24, v6, v8, vcc
	v_lshl_add_u64 v[24:25], v[24:25], 0, v[44:45]
	v_cmp_lt_u32_e32 vcc, v36, v42
	global_store_dword v[24:25], v17, off
	v_lshlrev_b32_e32 v44, 2, v36
	;; [unrolled: 13-line block ×5, first 2 shown]
	v_cndmask_b32_e32 v25, v7, v9, vcc
	v_cndmask_b32_e32 v24, v6, v8, vcc
	v_lshl_add_u64 v[24:25], v[24:25], 0, v[44:45]
	v_cmp_lt_u32_e32 vcc, v29, v42
	s_waitcnt lgkmcnt(1)
	global_store_dword v[24:25], v4, off
	v_lshlrev_b32_e32 v44, 2, v29
	v_cndmask_b32_e32 v25, v7, v9, vcc
	v_cndmask_b32_e32 v24, v6, v8, vcc
	v_lshl_add_u64 v[24:25], v[24:25], 0, v[44:45]
	global_store_dword v[24:25], v5, off
	s_cbranch_execz .LBB2244_116
	s_branch .LBB2244_132
.LBB2244_115:
	s_mov_b64 s[0:1], 0
.LBB2244_116:
	v_cmp_gt_u32_e32 vcc, s33, v0
	s_and_saveexec_b64 s[0:1], vcc
	s_cbranch_execnz .LBB2244_137
; %bb.117:
	s_or_b64 exec, exec, s[0:1]
	v_cmp_gt_u32_e32 vcc, s33, v41
	s_and_saveexec_b64 s[0:1], vcc
	s_cbranch_execnz .LBB2244_138
.LBB2244_118:
	s_or_b64 exec, exec, s[0:1]
	v_cmp_gt_u32_e32 vcc, s33, v40
	s_and_saveexec_b64 s[0:1], vcc
	s_cbranch_execnz .LBB2244_139
.LBB2244_119:
	s_or_b64 exec, exec, s[0:1]
	v_cmp_gt_u32_e32 vcc, s33, v39
	s_and_saveexec_b64 s[0:1], vcc
	s_cbranch_execnz .LBB2244_140
.LBB2244_120:
	s_or_b64 exec, exec, s[0:1]
	v_cmp_gt_u32_e32 vcc, s33, v38
	s_and_saveexec_b64 s[0:1], vcc
	s_cbranch_execnz .LBB2244_141
.LBB2244_121:
	s_or_b64 exec, exec, s[0:1]
	v_cmp_gt_u32_e32 vcc, s33, v37
	s_and_saveexec_b64 s[0:1], vcc
	s_cbranch_execnz .LBB2244_142
.LBB2244_122:
	s_or_b64 exec, exec, s[0:1]
	v_cmp_gt_u32_e32 vcc, s33, v36
	s_and_saveexec_b64 s[0:1], vcc
	s_cbranch_execnz .LBB2244_143
.LBB2244_123:
	s_or_b64 exec, exec, s[0:1]
	v_cmp_gt_u32_e32 vcc, s33, v35
	s_and_saveexec_b64 s[0:1], vcc
	s_cbranch_execnz .LBB2244_144
.LBB2244_124:
	s_or_b64 exec, exec, s[0:1]
	v_cmp_gt_u32_e32 vcc, s33, v34
	s_and_saveexec_b64 s[0:1], vcc
	s_cbranch_execnz .LBB2244_145
.LBB2244_125:
	s_or_b64 exec, exec, s[0:1]
	v_cmp_gt_u32_e32 vcc, s33, v33
	s_and_saveexec_b64 s[0:1], vcc
	s_cbranch_execnz .LBB2244_146
.LBB2244_126:
	s_or_b64 exec, exec, s[0:1]
	v_cmp_gt_u32_e32 vcc, s33, v32
	s_and_saveexec_b64 s[0:1], vcc
	s_cbranch_execnz .LBB2244_147
.LBB2244_127:
	s_or_b64 exec, exec, s[0:1]
	v_cmp_gt_u32_e32 vcc, s33, v31
	s_and_saveexec_b64 s[0:1], vcc
	s_cbranch_execnz .LBB2244_148
.LBB2244_128:
	s_or_b64 exec, exec, s[0:1]
	v_cmp_gt_u32_e32 vcc, s33, v30
	s_and_saveexec_b64 s[0:1], vcc
	s_cbranch_execnz .LBB2244_149
.LBB2244_129:
	s_or_b64 exec, exec, s[0:1]
	v_cmp_gt_u32_e32 vcc, s33, v29
	s_and_saveexec_b64 s[0:1], vcc
	s_cbranch_execz .LBB2244_131
.LBB2244_130:
	v_cmp_lt_u32_e32 vcc, v29, v42
	s_waitcnt lgkmcnt(3)
	v_lshlrev_b32_e32 v12, 2, v29
	v_mov_b32_e32 v13, 0
	s_waitcnt lgkmcnt(2)
	v_cndmask_b32_e32 v11, v7, v9, vcc
	v_cndmask_b32_e32 v10, v6, v8, vcc
	v_lshl_add_u64 v[10:11], v[10:11], 0, v[12:13]
	s_waitcnt lgkmcnt(1)
	global_store_dword v[10:11], v5, off
.LBB2244_131:
	s_or_b64 exec, exec, s[0:1]
	v_cmp_gt_u32_e64 s[0:1], s33, v28
.LBB2244_132:
	s_and_saveexec_b64 s[2:3], s[0:1]
	s_cbranch_execnz .LBB2244_135
; %bb.133:
	s_or_b64 exec, exec, s[2:3]
	s_and_b64 s[0:1], s[18:19], s[22:23]
	s_and_saveexec_b64 s[2:3], s[0:1]
	s_cbranch_execnz .LBB2244_136
.LBB2244_134:
	s_endpgm
.LBB2244_135:
	v_cmp_lt_u32_e32 vcc, v28, v42
	s_waitcnt lgkmcnt(1)
	s_nop 0
	v_cndmask_b32_e32 v5, v7, v9, vcc
	v_cndmask_b32_e32 v4, v6, v8, vcc
	v_lshlrev_b32_e32 v6, 2, v28
	v_mov_b32_e32 v7, 0
	v_lshl_add_u64 v[4:5], v[4:5], 0, v[6:7]
	s_waitcnt lgkmcnt(0)
	global_store_dword v[4:5], v1, off
	s_or_b64 exec, exec, s[2:3]
	s_and_b64 s[0:1], s[18:19], s[22:23]
	s_and_saveexec_b64 s[2:3], s[0:1]
	s_cbranch_execz .LBB2244_134
.LBB2244_136:
	v_mov_b32_e32 v0, 0
	global_store_dwordx2 v0, v[2:3], s[20:21]
	s_endpgm
.LBB2244_137:
	v_cmp_gt_u32_e32 vcc, v42, v0
	v_mov_b32_e32 v23, 0
	s_nop 0
	v_cndmask_b32_e32 v25, v7, v9, vcc
	v_cndmask_b32_e32 v24, v6, v8, vcc
	v_lshl_add_u64 v[24:25], v[24:25], 0, v[22:23]
	s_waitcnt lgkmcnt(7)
	global_store_dword v[24:25], v20, off
	s_or_b64 exec, exec, s[0:1]
	v_cmp_gt_u32_e32 vcc, s33, v41
	s_and_saveexec_b64 s[0:1], vcc
	s_cbranch_execz .LBB2244_118
.LBB2244_138:
	v_cmp_lt_u32_e32 vcc, v41, v42
	v_mov_b32_e32 v23, 0
	s_nop 0
	v_cndmask_b32_e32 v25, v7, v9, vcc
	v_cndmask_b32_e32 v24, v6, v8, vcc
	v_lshl_add_u64 v[22:23], v[24:25], 0, v[22:23]
	s_waitcnt lgkmcnt(7)
	global_store_dword v[22:23], v21, off offset:2048
	s_or_b64 exec, exec, s[0:1]
	v_cmp_gt_u32_e32 vcc, s33, v40
	s_and_saveexec_b64 s[0:1], vcc
	s_cbranch_execz .LBB2244_119
.LBB2244_139:
	v_cmp_lt_u32_e32 vcc, v40, v42
	v_lshlrev_b32_e32 v22, 2, v40
	v_mov_b32_e32 v23, 0
	s_waitcnt lgkmcnt(7)
	v_cndmask_b32_e32 v21, v7, v9, vcc
	v_cndmask_b32_e32 v20, v6, v8, vcc
	v_lshl_add_u64 v[20:21], v[20:21], 0, v[22:23]
	s_waitcnt lgkmcnt(6)
	global_store_dword v[20:21], v18, off
	s_or_b64 exec, exec, s[0:1]
	v_cmp_gt_u32_e32 vcc, s33, v39
	s_and_saveexec_b64 s[0:1], vcc
	s_cbranch_execz .LBB2244_120
.LBB2244_140:
	v_cmp_lt_u32_e32 vcc, v39, v42
	v_lshlrev_b32_e32 v22, 2, v39
	v_mov_b32_e32 v23, 0
	s_waitcnt lgkmcnt(7)
	v_cndmask_b32_e32 v21, v7, v9, vcc
	v_cndmask_b32_e32 v20, v6, v8, vcc
	v_lshl_add_u64 v[20:21], v[20:21], 0, v[22:23]
	s_waitcnt lgkmcnt(6)
	global_store_dword v[20:21], v19, off
	s_or_b64 exec, exec, s[0:1]
	v_cmp_gt_u32_e32 vcc, s33, v38
	s_and_saveexec_b64 s[0:1], vcc
	s_cbranch_execz .LBB2244_121
.LBB2244_141:
	v_cmp_lt_u32_e32 vcc, v38, v42
	s_waitcnt lgkmcnt(7)
	v_lshlrev_b32_e32 v20, 2, v38
	v_mov_b32_e32 v21, 0
	s_waitcnt lgkmcnt(6)
	v_cndmask_b32_e32 v19, v7, v9, vcc
	v_cndmask_b32_e32 v18, v6, v8, vcc
	v_lshl_add_u64 v[18:19], v[18:19], 0, v[20:21]
	s_waitcnt lgkmcnt(5)
	global_store_dword v[18:19], v16, off
	s_or_b64 exec, exec, s[0:1]
	v_cmp_gt_u32_e32 vcc, s33, v37
	s_and_saveexec_b64 s[0:1], vcc
	s_cbranch_execz .LBB2244_122
.LBB2244_142:
	v_cmp_lt_u32_e32 vcc, v37, v42
	s_waitcnt lgkmcnt(7)
	v_lshlrev_b32_e32 v20, 2, v37
	v_mov_b32_e32 v21, 0
	s_waitcnt lgkmcnt(6)
	v_cndmask_b32_e32 v19, v7, v9, vcc
	v_cndmask_b32_e32 v18, v6, v8, vcc
	v_lshl_add_u64 v[18:19], v[18:19], 0, v[20:21]
	s_waitcnt lgkmcnt(5)
	global_store_dword v[18:19], v17, off
	s_or_b64 exec, exec, s[0:1]
	v_cmp_gt_u32_e32 vcc, s33, v36
	s_and_saveexec_b64 s[0:1], vcc
	s_cbranch_execz .LBB2244_123
.LBB2244_143:
	v_cmp_lt_u32_e32 vcc, v36, v42
	s_waitcnt lgkmcnt(6)
	v_lshlrev_b32_e32 v18, 2, v36
	v_mov_b32_e32 v19, 0
	s_waitcnt lgkmcnt(5)
	v_cndmask_b32_e32 v17, v7, v9, vcc
	v_cndmask_b32_e32 v16, v6, v8, vcc
	v_lshl_add_u64 v[16:17], v[16:17], 0, v[18:19]
	s_waitcnt lgkmcnt(4)
	global_store_dword v[16:17], v14, off
	s_or_b64 exec, exec, s[0:1]
	v_cmp_gt_u32_e32 vcc, s33, v35
	s_and_saveexec_b64 s[0:1], vcc
	s_cbranch_execz .LBB2244_124
.LBB2244_144:
	v_cmp_lt_u32_e32 vcc, v35, v42
	s_waitcnt lgkmcnt(6)
	v_lshlrev_b32_e32 v18, 2, v35
	v_mov_b32_e32 v19, 0
	s_waitcnt lgkmcnt(5)
	v_cndmask_b32_e32 v17, v7, v9, vcc
	v_cndmask_b32_e32 v16, v6, v8, vcc
	v_lshl_add_u64 v[16:17], v[16:17], 0, v[18:19]
	s_waitcnt lgkmcnt(4)
	global_store_dword v[16:17], v15, off
	s_or_b64 exec, exec, s[0:1]
	v_cmp_gt_u32_e32 vcc, s33, v34
	s_and_saveexec_b64 s[0:1], vcc
	s_cbranch_execz .LBB2244_125
.LBB2244_145:
	v_cmp_lt_u32_e32 vcc, v34, v42
	s_waitcnt lgkmcnt(5)
	v_lshlrev_b32_e32 v16, 2, v34
	v_mov_b32_e32 v17, 0
	s_waitcnt lgkmcnt(4)
	v_cndmask_b32_e32 v15, v7, v9, vcc
	v_cndmask_b32_e32 v14, v6, v8, vcc
	v_lshl_add_u64 v[14:15], v[14:15], 0, v[16:17]
	s_waitcnt lgkmcnt(3)
	global_store_dword v[14:15], v12, off
	s_or_b64 exec, exec, s[0:1]
	v_cmp_gt_u32_e32 vcc, s33, v33
	s_and_saveexec_b64 s[0:1], vcc
	s_cbranch_execz .LBB2244_126
.LBB2244_146:
	v_cmp_lt_u32_e32 vcc, v33, v42
	s_waitcnt lgkmcnt(5)
	v_lshlrev_b32_e32 v16, 2, v33
	v_mov_b32_e32 v17, 0
	s_waitcnt lgkmcnt(4)
	v_cndmask_b32_e32 v15, v7, v9, vcc
	v_cndmask_b32_e32 v14, v6, v8, vcc
	v_lshl_add_u64 v[14:15], v[14:15], 0, v[16:17]
	s_waitcnt lgkmcnt(3)
	global_store_dword v[14:15], v13, off
	s_or_b64 exec, exec, s[0:1]
	v_cmp_gt_u32_e32 vcc, s33, v32
	s_and_saveexec_b64 s[0:1], vcc
	s_cbranch_execz .LBB2244_127
.LBB2244_147:
	v_cmp_lt_u32_e32 vcc, v32, v42
	s_waitcnt lgkmcnt(4)
	v_lshlrev_b32_e32 v14, 2, v32
	v_mov_b32_e32 v15, 0
	s_waitcnt lgkmcnt(3)
	v_cndmask_b32_e32 v13, v7, v9, vcc
	v_cndmask_b32_e32 v12, v6, v8, vcc
	v_lshl_add_u64 v[12:13], v[12:13], 0, v[14:15]
	s_waitcnt lgkmcnt(2)
	global_store_dword v[12:13], v10, off
	s_or_b64 exec, exec, s[0:1]
	v_cmp_gt_u32_e32 vcc, s33, v31
	s_and_saveexec_b64 s[0:1], vcc
	s_cbranch_execz .LBB2244_128
.LBB2244_148:
	v_cmp_lt_u32_e32 vcc, v31, v42
	s_waitcnt lgkmcnt(4)
	v_lshlrev_b32_e32 v14, 2, v31
	v_mov_b32_e32 v15, 0
	s_waitcnt lgkmcnt(3)
	v_cndmask_b32_e32 v13, v7, v9, vcc
	v_cndmask_b32_e32 v12, v6, v8, vcc
	v_lshl_add_u64 v[12:13], v[12:13], 0, v[14:15]
	s_waitcnt lgkmcnt(2)
	global_store_dword v[12:13], v11, off
	s_or_b64 exec, exec, s[0:1]
	v_cmp_gt_u32_e32 vcc, s33, v30
	s_and_saveexec_b64 s[0:1], vcc
	s_cbranch_execz .LBB2244_129
.LBB2244_149:
	v_cmp_lt_u32_e32 vcc, v30, v42
	s_waitcnt lgkmcnt(3)
	v_lshlrev_b32_e32 v12, 2, v30
	v_mov_b32_e32 v13, 0
	s_waitcnt lgkmcnt(2)
	v_cndmask_b32_e32 v11, v7, v9, vcc
	v_cndmask_b32_e32 v10, v6, v8, vcc
	v_lshl_add_u64 v[10:11], v[10:11], 0, v[12:13]
	s_waitcnt lgkmcnt(1)
	global_store_dword v[10:11], v4, off
	s_or_b64 exec, exec, s[0:1]
	v_cmp_gt_u32_e32 vcc, s33, v29
	s_and_saveexec_b64 s[0:1], vcc
	s_cbranch_execnz .LBB2244_130
	s_branch .LBB2244_131
	.section	.rodata,"a",@progbits
	.p2align	6, 0x0
	.amdhsa_kernel _ZN7rocprim17ROCPRIM_400000_NS6detail17trampoline_kernelINS0_14default_configENS1_25partition_config_selectorILNS1_17partition_subalgoE1EjNS0_10empty_typeEbEEZZNS1_14partition_implILS5_1ELb0ES3_jN6thrust23THRUST_200600_302600_NS6detail15normal_iteratorINSA_10device_ptrIjEEEEPS6_NSA_18transform_iteratorI7is_evenIjESF_NSA_11use_defaultESK_EENS0_5tupleIJSF_SF_EEENSM_IJSG_SG_EEES6_PlJS6_EEE10hipError_tPvRmT3_T4_T5_T6_T7_T9_mT8_P12ihipStream_tbDpT10_ENKUlT_T0_E_clISt17integral_constantIbLb1EES19_EEDaS14_S15_EUlS14_E_NS1_11comp_targetILNS1_3genE5ELNS1_11target_archE942ELNS1_3gpuE9ELNS1_3repE0EEENS1_30default_config_static_selectorELNS0_4arch9wavefront6targetE1EEEvT1_
		.amdhsa_group_segment_fixed_size 30728
		.amdhsa_private_segment_fixed_size 0
		.amdhsa_kernarg_size 144
		.amdhsa_user_sgpr_count 2
		.amdhsa_user_sgpr_dispatch_ptr 0
		.amdhsa_user_sgpr_queue_ptr 0
		.amdhsa_user_sgpr_kernarg_segment_ptr 1
		.amdhsa_user_sgpr_dispatch_id 0
		.amdhsa_user_sgpr_kernarg_preload_length 0
		.amdhsa_user_sgpr_kernarg_preload_offset 0
		.amdhsa_user_sgpr_private_segment_size 0
		.amdhsa_uses_dynamic_stack 0
		.amdhsa_enable_private_segment 0
		.amdhsa_system_sgpr_workgroup_id_x 1
		.amdhsa_system_sgpr_workgroup_id_y 0
		.amdhsa_system_sgpr_workgroup_id_z 0
		.amdhsa_system_sgpr_workgroup_info 0
		.amdhsa_system_vgpr_workitem_id 0
		.amdhsa_next_free_vgpr 69
		.amdhsa_next_free_sgpr 44
		.amdhsa_accum_offset 72
		.amdhsa_reserve_vcc 1
		.amdhsa_float_round_mode_32 0
		.amdhsa_float_round_mode_16_64 0
		.amdhsa_float_denorm_mode_32 3
		.amdhsa_float_denorm_mode_16_64 3
		.amdhsa_dx10_clamp 1
		.amdhsa_ieee_mode 1
		.amdhsa_fp16_overflow 0
		.amdhsa_tg_split 0
		.amdhsa_exception_fp_ieee_invalid_op 0
		.amdhsa_exception_fp_denorm_src 0
		.amdhsa_exception_fp_ieee_div_zero 0
		.amdhsa_exception_fp_ieee_overflow 0
		.amdhsa_exception_fp_ieee_underflow 0
		.amdhsa_exception_fp_ieee_inexact 0
		.amdhsa_exception_int_div_zero 0
	.end_amdhsa_kernel
	.section	.text._ZN7rocprim17ROCPRIM_400000_NS6detail17trampoline_kernelINS0_14default_configENS1_25partition_config_selectorILNS1_17partition_subalgoE1EjNS0_10empty_typeEbEEZZNS1_14partition_implILS5_1ELb0ES3_jN6thrust23THRUST_200600_302600_NS6detail15normal_iteratorINSA_10device_ptrIjEEEEPS6_NSA_18transform_iteratorI7is_evenIjESF_NSA_11use_defaultESK_EENS0_5tupleIJSF_SF_EEENSM_IJSG_SG_EEES6_PlJS6_EEE10hipError_tPvRmT3_T4_T5_T6_T7_T9_mT8_P12ihipStream_tbDpT10_ENKUlT_T0_E_clISt17integral_constantIbLb1EES19_EEDaS14_S15_EUlS14_E_NS1_11comp_targetILNS1_3genE5ELNS1_11target_archE942ELNS1_3gpuE9ELNS1_3repE0EEENS1_30default_config_static_selectorELNS0_4arch9wavefront6targetE1EEEvT1_,"axG",@progbits,_ZN7rocprim17ROCPRIM_400000_NS6detail17trampoline_kernelINS0_14default_configENS1_25partition_config_selectorILNS1_17partition_subalgoE1EjNS0_10empty_typeEbEEZZNS1_14partition_implILS5_1ELb0ES3_jN6thrust23THRUST_200600_302600_NS6detail15normal_iteratorINSA_10device_ptrIjEEEEPS6_NSA_18transform_iteratorI7is_evenIjESF_NSA_11use_defaultESK_EENS0_5tupleIJSF_SF_EEENSM_IJSG_SG_EEES6_PlJS6_EEE10hipError_tPvRmT3_T4_T5_T6_T7_T9_mT8_P12ihipStream_tbDpT10_ENKUlT_T0_E_clISt17integral_constantIbLb1EES19_EEDaS14_S15_EUlS14_E_NS1_11comp_targetILNS1_3genE5ELNS1_11target_archE942ELNS1_3gpuE9ELNS1_3repE0EEENS1_30default_config_static_selectorELNS0_4arch9wavefront6targetE1EEEvT1_,comdat
.Lfunc_end2244:
	.size	_ZN7rocprim17ROCPRIM_400000_NS6detail17trampoline_kernelINS0_14default_configENS1_25partition_config_selectorILNS1_17partition_subalgoE1EjNS0_10empty_typeEbEEZZNS1_14partition_implILS5_1ELb0ES3_jN6thrust23THRUST_200600_302600_NS6detail15normal_iteratorINSA_10device_ptrIjEEEEPS6_NSA_18transform_iteratorI7is_evenIjESF_NSA_11use_defaultESK_EENS0_5tupleIJSF_SF_EEENSM_IJSG_SG_EEES6_PlJS6_EEE10hipError_tPvRmT3_T4_T5_T6_T7_T9_mT8_P12ihipStream_tbDpT10_ENKUlT_T0_E_clISt17integral_constantIbLb1EES19_EEDaS14_S15_EUlS14_E_NS1_11comp_targetILNS1_3genE5ELNS1_11target_archE942ELNS1_3gpuE9ELNS1_3repE0EEENS1_30default_config_static_selectorELNS0_4arch9wavefront6targetE1EEEvT1_, .Lfunc_end2244-_ZN7rocprim17ROCPRIM_400000_NS6detail17trampoline_kernelINS0_14default_configENS1_25partition_config_selectorILNS1_17partition_subalgoE1EjNS0_10empty_typeEbEEZZNS1_14partition_implILS5_1ELb0ES3_jN6thrust23THRUST_200600_302600_NS6detail15normal_iteratorINSA_10device_ptrIjEEEEPS6_NSA_18transform_iteratorI7is_evenIjESF_NSA_11use_defaultESK_EENS0_5tupleIJSF_SF_EEENSM_IJSG_SG_EEES6_PlJS6_EEE10hipError_tPvRmT3_T4_T5_T6_T7_T9_mT8_P12ihipStream_tbDpT10_ENKUlT_T0_E_clISt17integral_constantIbLb1EES19_EEDaS14_S15_EUlS14_E_NS1_11comp_targetILNS1_3genE5ELNS1_11target_archE942ELNS1_3gpuE9ELNS1_3repE0EEENS1_30default_config_static_selectorELNS0_4arch9wavefront6targetE1EEEvT1_
                                        ; -- End function
	.section	.AMDGPU.csdata,"",@progbits
; Kernel info:
; codeLenInByte = 8056
; NumSgprs: 50
; NumVgprs: 69
; NumAgprs: 0
; TotalNumVgprs: 69
; ScratchSize: 0
; MemoryBound: 0
; FloatMode: 240
; IeeeMode: 1
; LDSByteSize: 30728 bytes/workgroup (compile time only)
; SGPRBlocks: 6
; VGPRBlocks: 8
; NumSGPRsForWavesPerEU: 50
; NumVGPRsForWavesPerEU: 69
; AccumOffset: 72
; Occupancy: 4
; WaveLimiterHint : 1
; COMPUTE_PGM_RSRC2:SCRATCH_EN: 0
; COMPUTE_PGM_RSRC2:USER_SGPR: 2
; COMPUTE_PGM_RSRC2:TRAP_HANDLER: 0
; COMPUTE_PGM_RSRC2:TGID_X_EN: 1
; COMPUTE_PGM_RSRC2:TGID_Y_EN: 0
; COMPUTE_PGM_RSRC2:TGID_Z_EN: 0
; COMPUTE_PGM_RSRC2:TIDIG_COMP_CNT: 0
; COMPUTE_PGM_RSRC3_GFX90A:ACCUM_OFFSET: 17
; COMPUTE_PGM_RSRC3_GFX90A:TG_SPLIT: 0
	.section	.text._ZN7rocprim17ROCPRIM_400000_NS6detail17trampoline_kernelINS0_14default_configENS1_25partition_config_selectorILNS1_17partition_subalgoE1EjNS0_10empty_typeEbEEZZNS1_14partition_implILS5_1ELb0ES3_jN6thrust23THRUST_200600_302600_NS6detail15normal_iteratorINSA_10device_ptrIjEEEEPS6_NSA_18transform_iteratorI7is_evenIjESF_NSA_11use_defaultESK_EENS0_5tupleIJSF_SF_EEENSM_IJSG_SG_EEES6_PlJS6_EEE10hipError_tPvRmT3_T4_T5_T6_T7_T9_mT8_P12ihipStream_tbDpT10_ENKUlT_T0_E_clISt17integral_constantIbLb1EES19_EEDaS14_S15_EUlS14_E_NS1_11comp_targetILNS1_3genE4ELNS1_11target_archE910ELNS1_3gpuE8ELNS1_3repE0EEENS1_30default_config_static_selectorELNS0_4arch9wavefront6targetE1EEEvT1_,"axG",@progbits,_ZN7rocprim17ROCPRIM_400000_NS6detail17trampoline_kernelINS0_14default_configENS1_25partition_config_selectorILNS1_17partition_subalgoE1EjNS0_10empty_typeEbEEZZNS1_14partition_implILS5_1ELb0ES3_jN6thrust23THRUST_200600_302600_NS6detail15normal_iteratorINSA_10device_ptrIjEEEEPS6_NSA_18transform_iteratorI7is_evenIjESF_NSA_11use_defaultESK_EENS0_5tupleIJSF_SF_EEENSM_IJSG_SG_EEES6_PlJS6_EEE10hipError_tPvRmT3_T4_T5_T6_T7_T9_mT8_P12ihipStream_tbDpT10_ENKUlT_T0_E_clISt17integral_constantIbLb1EES19_EEDaS14_S15_EUlS14_E_NS1_11comp_targetILNS1_3genE4ELNS1_11target_archE910ELNS1_3gpuE8ELNS1_3repE0EEENS1_30default_config_static_selectorELNS0_4arch9wavefront6targetE1EEEvT1_,comdat
	.protected	_ZN7rocprim17ROCPRIM_400000_NS6detail17trampoline_kernelINS0_14default_configENS1_25partition_config_selectorILNS1_17partition_subalgoE1EjNS0_10empty_typeEbEEZZNS1_14partition_implILS5_1ELb0ES3_jN6thrust23THRUST_200600_302600_NS6detail15normal_iteratorINSA_10device_ptrIjEEEEPS6_NSA_18transform_iteratorI7is_evenIjESF_NSA_11use_defaultESK_EENS0_5tupleIJSF_SF_EEENSM_IJSG_SG_EEES6_PlJS6_EEE10hipError_tPvRmT3_T4_T5_T6_T7_T9_mT8_P12ihipStream_tbDpT10_ENKUlT_T0_E_clISt17integral_constantIbLb1EES19_EEDaS14_S15_EUlS14_E_NS1_11comp_targetILNS1_3genE4ELNS1_11target_archE910ELNS1_3gpuE8ELNS1_3repE0EEENS1_30default_config_static_selectorELNS0_4arch9wavefront6targetE1EEEvT1_ ; -- Begin function _ZN7rocprim17ROCPRIM_400000_NS6detail17trampoline_kernelINS0_14default_configENS1_25partition_config_selectorILNS1_17partition_subalgoE1EjNS0_10empty_typeEbEEZZNS1_14partition_implILS5_1ELb0ES3_jN6thrust23THRUST_200600_302600_NS6detail15normal_iteratorINSA_10device_ptrIjEEEEPS6_NSA_18transform_iteratorI7is_evenIjESF_NSA_11use_defaultESK_EENS0_5tupleIJSF_SF_EEENSM_IJSG_SG_EEES6_PlJS6_EEE10hipError_tPvRmT3_T4_T5_T6_T7_T9_mT8_P12ihipStream_tbDpT10_ENKUlT_T0_E_clISt17integral_constantIbLb1EES19_EEDaS14_S15_EUlS14_E_NS1_11comp_targetILNS1_3genE4ELNS1_11target_archE910ELNS1_3gpuE8ELNS1_3repE0EEENS1_30default_config_static_selectorELNS0_4arch9wavefront6targetE1EEEvT1_
	.globl	_ZN7rocprim17ROCPRIM_400000_NS6detail17trampoline_kernelINS0_14default_configENS1_25partition_config_selectorILNS1_17partition_subalgoE1EjNS0_10empty_typeEbEEZZNS1_14partition_implILS5_1ELb0ES3_jN6thrust23THRUST_200600_302600_NS6detail15normal_iteratorINSA_10device_ptrIjEEEEPS6_NSA_18transform_iteratorI7is_evenIjESF_NSA_11use_defaultESK_EENS0_5tupleIJSF_SF_EEENSM_IJSG_SG_EEES6_PlJS6_EEE10hipError_tPvRmT3_T4_T5_T6_T7_T9_mT8_P12ihipStream_tbDpT10_ENKUlT_T0_E_clISt17integral_constantIbLb1EES19_EEDaS14_S15_EUlS14_E_NS1_11comp_targetILNS1_3genE4ELNS1_11target_archE910ELNS1_3gpuE8ELNS1_3repE0EEENS1_30default_config_static_selectorELNS0_4arch9wavefront6targetE1EEEvT1_
	.p2align	8
	.type	_ZN7rocprim17ROCPRIM_400000_NS6detail17trampoline_kernelINS0_14default_configENS1_25partition_config_selectorILNS1_17partition_subalgoE1EjNS0_10empty_typeEbEEZZNS1_14partition_implILS5_1ELb0ES3_jN6thrust23THRUST_200600_302600_NS6detail15normal_iteratorINSA_10device_ptrIjEEEEPS6_NSA_18transform_iteratorI7is_evenIjESF_NSA_11use_defaultESK_EENS0_5tupleIJSF_SF_EEENSM_IJSG_SG_EEES6_PlJS6_EEE10hipError_tPvRmT3_T4_T5_T6_T7_T9_mT8_P12ihipStream_tbDpT10_ENKUlT_T0_E_clISt17integral_constantIbLb1EES19_EEDaS14_S15_EUlS14_E_NS1_11comp_targetILNS1_3genE4ELNS1_11target_archE910ELNS1_3gpuE8ELNS1_3repE0EEENS1_30default_config_static_selectorELNS0_4arch9wavefront6targetE1EEEvT1_,@function
_ZN7rocprim17ROCPRIM_400000_NS6detail17trampoline_kernelINS0_14default_configENS1_25partition_config_selectorILNS1_17partition_subalgoE1EjNS0_10empty_typeEbEEZZNS1_14partition_implILS5_1ELb0ES3_jN6thrust23THRUST_200600_302600_NS6detail15normal_iteratorINSA_10device_ptrIjEEEEPS6_NSA_18transform_iteratorI7is_evenIjESF_NSA_11use_defaultESK_EENS0_5tupleIJSF_SF_EEENSM_IJSG_SG_EEES6_PlJS6_EEE10hipError_tPvRmT3_T4_T5_T6_T7_T9_mT8_P12ihipStream_tbDpT10_ENKUlT_T0_E_clISt17integral_constantIbLb1EES19_EEDaS14_S15_EUlS14_E_NS1_11comp_targetILNS1_3genE4ELNS1_11target_archE910ELNS1_3gpuE8ELNS1_3repE0EEENS1_30default_config_static_selectorELNS0_4arch9wavefront6targetE1EEEvT1_: ; @_ZN7rocprim17ROCPRIM_400000_NS6detail17trampoline_kernelINS0_14default_configENS1_25partition_config_selectorILNS1_17partition_subalgoE1EjNS0_10empty_typeEbEEZZNS1_14partition_implILS5_1ELb0ES3_jN6thrust23THRUST_200600_302600_NS6detail15normal_iteratorINSA_10device_ptrIjEEEEPS6_NSA_18transform_iteratorI7is_evenIjESF_NSA_11use_defaultESK_EENS0_5tupleIJSF_SF_EEENSM_IJSG_SG_EEES6_PlJS6_EEE10hipError_tPvRmT3_T4_T5_T6_T7_T9_mT8_P12ihipStream_tbDpT10_ENKUlT_T0_E_clISt17integral_constantIbLb1EES19_EEDaS14_S15_EUlS14_E_NS1_11comp_targetILNS1_3genE4ELNS1_11target_archE910ELNS1_3gpuE8ELNS1_3repE0EEENS1_30default_config_static_selectorELNS0_4arch9wavefront6targetE1EEEvT1_
; %bb.0:
	.section	.rodata,"a",@progbits
	.p2align	6, 0x0
	.amdhsa_kernel _ZN7rocprim17ROCPRIM_400000_NS6detail17trampoline_kernelINS0_14default_configENS1_25partition_config_selectorILNS1_17partition_subalgoE1EjNS0_10empty_typeEbEEZZNS1_14partition_implILS5_1ELb0ES3_jN6thrust23THRUST_200600_302600_NS6detail15normal_iteratorINSA_10device_ptrIjEEEEPS6_NSA_18transform_iteratorI7is_evenIjESF_NSA_11use_defaultESK_EENS0_5tupleIJSF_SF_EEENSM_IJSG_SG_EEES6_PlJS6_EEE10hipError_tPvRmT3_T4_T5_T6_T7_T9_mT8_P12ihipStream_tbDpT10_ENKUlT_T0_E_clISt17integral_constantIbLb1EES19_EEDaS14_S15_EUlS14_E_NS1_11comp_targetILNS1_3genE4ELNS1_11target_archE910ELNS1_3gpuE8ELNS1_3repE0EEENS1_30default_config_static_selectorELNS0_4arch9wavefront6targetE1EEEvT1_
		.amdhsa_group_segment_fixed_size 0
		.amdhsa_private_segment_fixed_size 0
		.amdhsa_kernarg_size 144
		.amdhsa_user_sgpr_count 2
		.amdhsa_user_sgpr_dispatch_ptr 0
		.amdhsa_user_sgpr_queue_ptr 0
		.amdhsa_user_sgpr_kernarg_segment_ptr 1
		.amdhsa_user_sgpr_dispatch_id 0
		.amdhsa_user_sgpr_kernarg_preload_length 0
		.amdhsa_user_sgpr_kernarg_preload_offset 0
		.amdhsa_user_sgpr_private_segment_size 0
		.amdhsa_uses_dynamic_stack 0
		.amdhsa_enable_private_segment 0
		.amdhsa_system_sgpr_workgroup_id_x 1
		.amdhsa_system_sgpr_workgroup_id_y 0
		.amdhsa_system_sgpr_workgroup_id_z 0
		.amdhsa_system_sgpr_workgroup_info 0
		.amdhsa_system_vgpr_workitem_id 0
		.amdhsa_next_free_vgpr 1
		.amdhsa_next_free_sgpr 0
		.amdhsa_accum_offset 4
		.amdhsa_reserve_vcc 0
		.amdhsa_float_round_mode_32 0
		.amdhsa_float_round_mode_16_64 0
		.amdhsa_float_denorm_mode_32 3
		.amdhsa_float_denorm_mode_16_64 3
		.amdhsa_dx10_clamp 1
		.amdhsa_ieee_mode 1
		.amdhsa_fp16_overflow 0
		.amdhsa_tg_split 0
		.amdhsa_exception_fp_ieee_invalid_op 0
		.amdhsa_exception_fp_denorm_src 0
		.amdhsa_exception_fp_ieee_div_zero 0
		.amdhsa_exception_fp_ieee_overflow 0
		.amdhsa_exception_fp_ieee_underflow 0
		.amdhsa_exception_fp_ieee_inexact 0
		.amdhsa_exception_int_div_zero 0
	.end_amdhsa_kernel
	.section	.text._ZN7rocprim17ROCPRIM_400000_NS6detail17trampoline_kernelINS0_14default_configENS1_25partition_config_selectorILNS1_17partition_subalgoE1EjNS0_10empty_typeEbEEZZNS1_14partition_implILS5_1ELb0ES3_jN6thrust23THRUST_200600_302600_NS6detail15normal_iteratorINSA_10device_ptrIjEEEEPS6_NSA_18transform_iteratorI7is_evenIjESF_NSA_11use_defaultESK_EENS0_5tupleIJSF_SF_EEENSM_IJSG_SG_EEES6_PlJS6_EEE10hipError_tPvRmT3_T4_T5_T6_T7_T9_mT8_P12ihipStream_tbDpT10_ENKUlT_T0_E_clISt17integral_constantIbLb1EES19_EEDaS14_S15_EUlS14_E_NS1_11comp_targetILNS1_3genE4ELNS1_11target_archE910ELNS1_3gpuE8ELNS1_3repE0EEENS1_30default_config_static_selectorELNS0_4arch9wavefront6targetE1EEEvT1_,"axG",@progbits,_ZN7rocprim17ROCPRIM_400000_NS6detail17trampoline_kernelINS0_14default_configENS1_25partition_config_selectorILNS1_17partition_subalgoE1EjNS0_10empty_typeEbEEZZNS1_14partition_implILS5_1ELb0ES3_jN6thrust23THRUST_200600_302600_NS6detail15normal_iteratorINSA_10device_ptrIjEEEEPS6_NSA_18transform_iteratorI7is_evenIjESF_NSA_11use_defaultESK_EENS0_5tupleIJSF_SF_EEENSM_IJSG_SG_EEES6_PlJS6_EEE10hipError_tPvRmT3_T4_T5_T6_T7_T9_mT8_P12ihipStream_tbDpT10_ENKUlT_T0_E_clISt17integral_constantIbLb1EES19_EEDaS14_S15_EUlS14_E_NS1_11comp_targetILNS1_3genE4ELNS1_11target_archE910ELNS1_3gpuE8ELNS1_3repE0EEENS1_30default_config_static_selectorELNS0_4arch9wavefront6targetE1EEEvT1_,comdat
.Lfunc_end2245:
	.size	_ZN7rocprim17ROCPRIM_400000_NS6detail17trampoline_kernelINS0_14default_configENS1_25partition_config_selectorILNS1_17partition_subalgoE1EjNS0_10empty_typeEbEEZZNS1_14partition_implILS5_1ELb0ES3_jN6thrust23THRUST_200600_302600_NS6detail15normal_iteratorINSA_10device_ptrIjEEEEPS6_NSA_18transform_iteratorI7is_evenIjESF_NSA_11use_defaultESK_EENS0_5tupleIJSF_SF_EEENSM_IJSG_SG_EEES6_PlJS6_EEE10hipError_tPvRmT3_T4_T5_T6_T7_T9_mT8_P12ihipStream_tbDpT10_ENKUlT_T0_E_clISt17integral_constantIbLb1EES19_EEDaS14_S15_EUlS14_E_NS1_11comp_targetILNS1_3genE4ELNS1_11target_archE910ELNS1_3gpuE8ELNS1_3repE0EEENS1_30default_config_static_selectorELNS0_4arch9wavefront6targetE1EEEvT1_, .Lfunc_end2245-_ZN7rocprim17ROCPRIM_400000_NS6detail17trampoline_kernelINS0_14default_configENS1_25partition_config_selectorILNS1_17partition_subalgoE1EjNS0_10empty_typeEbEEZZNS1_14partition_implILS5_1ELb0ES3_jN6thrust23THRUST_200600_302600_NS6detail15normal_iteratorINSA_10device_ptrIjEEEEPS6_NSA_18transform_iteratorI7is_evenIjESF_NSA_11use_defaultESK_EENS0_5tupleIJSF_SF_EEENSM_IJSG_SG_EEES6_PlJS6_EEE10hipError_tPvRmT3_T4_T5_T6_T7_T9_mT8_P12ihipStream_tbDpT10_ENKUlT_T0_E_clISt17integral_constantIbLb1EES19_EEDaS14_S15_EUlS14_E_NS1_11comp_targetILNS1_3genE4ELNS1_11target_archE910ELNS1_3gpuE8ELNS1_3repE0EEENS1_30default_config_static_selectorELNS0_4arch9wavefront6targetE1EEEvT1_
                                        ; -- End function
	.section	.AMDGPU.csdata,"",@progbits
; Kernel info:
; codeLenInByte = 0
; NumSgprs: 6
; NumVgprs: 0
; NumAgprs: 0
; TotalNumVgprs: 0
; ScratchSize: 0
; MemoryBound: 0
; FloatMode: 240
; IeeeMode: 1
; LDSByteSize: 0 bytes/workgroup (compile time only)
; SGPRBlocks: 0
; VGPRBlocks: 0
; NumSGPRsForWavesPerEU: 6
; NumVGPRsForWavesPerEU: 1
; AccumOffset: 4
; Occupancy: 8
; WaveLimiterHint : 0
; COMPUTE_PGM_RSRC2:SCRATCH_EN: 0
; COMPUTE_PGM_RSRC2:USER_SGPR: 2
; COMPUTE_PGM_RSRC2:TRAP_HANDLER: 0
; COMPUTE_PGM_RSRC2:TGID_X_EN: 1
; COMPUTE_PGM_RSRC2:TGID_Y_EN: 0
; COMPUTE_PGM_RSRC2:TGID_Z_EN: 0
; COMPUTE_PGM_RSRC2:TIDIG_COMP_CNT: 0
; COMPUTE_PGM_RSRC3_GFX90A:ACCUM_OFFSET: 0
; COMPUTE_PGM_RSRC3_GFX90A:TG_SPLIT: 0
	.section	.text._ZN7rocprim17ROCPRIM_400000_NS6detail17trampoline_kernelINS0_14default_configENS1_25partition_config_selectorILNS1_17partition_subalgoE1EjNS0_10empty_typeEbEEZZNS1_14partition_implILS5_1ELb0ES3_jN6thrust23THRUST_200600_302600_NS6detail15normal_iteratorINSA_10device_ptrIjEEEEPS6_NSA_18transform_iteratorI7is_evenIjESF_NSA_11use_defaultESK_EENS0_5tupleIJSF_SF_EEENSM_IJSG_SG_EEES6_PlJS6_EEE10hipError_tPvRmT3_T4_T5_T6_T7_T9_mT8_P12ihipStream_tbDpT10_ENKUlT_T0_E_clISt17integral_constantIbLb1EES19_EEDaS14_S15_EUlS14_E_NS1_11comp_targetILNS1_3genE3ELNS1_11target_archE908ELNS1_3gpuE7ELNS1_3repE0EEENS1_30default_config_static_selectorELNS0_4arch9wavefront6targetE1EEEvT1_,"axG",@progbits,_ZN7rocprim17ROCPRIM_400000_NS6detail17trampoline_kernelINS0_14default_configENS1_25partition_config_selectorILNS1_17partition_subalgoE1EjNS0_10empty_typeEbEEZZNS1_14partition_implILS5_1ELb0ES3_jN6thrust23THRUST_200600_302600_NS6detail15normal_iteratorINSA_10device_ptrIjEEEEPS6_NSA_18transform_iteratorI7is_evenIjESF_NSA_11use_defaultESK_EENS0_5tupleIJSF_SF_EEENSM_IJSG_SG_EEES6_PlJS6_EEE10hipError_tPvRmT3_T4_T5_T6_T7_T9_mT8_P12ihipStream_tbDpT10_ENKUlT_T0_E_clISt17integral_constantIbLb1EES19_EEDaS14_S15_EUlS14_E_NS1_11comp_targetILNS1_3genE3ELNS1_11target_archE908ELNS1_3gpuE7ELNS1_3repE0EEENS1_30default_config_static_selectorELNS0_4arch9wavefront6targetE1EEEvT1_,comdat
	.protected	_ZN7rocprim17ROCPRIM_400000_NS6detail17trampoline_kernelINS0_14default_configENS1_25partition_config_selectorILNS1_17partition_subalgoE1EjNS0_10empty_typeEbEEZZNS1_14partition_implILS5_1ELb0ES3_jN6thrust23THRUST_200600_302600_NS6detail15normal_iteratorINSA_10device_ptrIjEEEEPS6_NSA_18transform_iteratorI7is_evenIjESF_NSA_11use_defaultESK_EENS0_5tupleIJSF_SF_EEENSM_IJSG_SG_EEES6_PlJS6_EEE10hipError_tPvRmT3_T4_T5_T6_T7_T9_mT8_P12ihipStream_tbDpT10_ENKUlT_T0_E_clISt17integral_constantIbLb1EES19_EEDaS14_S15_EUlS14_E_NS1_11comp_targetILNS1_3genE3ELNS1_11target_archE908ELNS1_3gpuE7ELNS1_3repE0EEENS1_30default_config_static_selectorELNS0_4arch9wavefront6targetE1EEEvT1_ ; -- Begin function _ZN7rocprim17ROCPRIM_400000_NS6detail17trampoline_kernelINS0_14default_configENS1_25partition_config_selectorILNS1_17partition_subalgoE1EjNS0_10empty_typeEbEEZZNS1_14partition_implILS5_1ELb0ES3_jN6thrust23THRUST_200600_302600_NS6detail15normal_iteratorINSA_10device_ptrIjEEEEPS6_NSA_18transform_iteratorI7is_evenIjESF_NSA_11use_defaultESK_EENS0_5tupleIJSF_SF_EEENSM_IJSG_SG_EEES6_PlJS6_EEE10hipError_tPvRmT3_T4_T5_T6_T7_T9_mT8_P12ihipStream_tbDpT10_ENKUlT_T0_E_clISt17integral_constantIbLb1EES19_EEDaS14_S15_EUlS14_E_NS1_11comp_targetILNS1_3genE3ELNS1_11target_archE908ELNS1_3gpuE7ELNS1_3repE0EEENS1_30default_config_static_selectorELNS0_4arch9wavefront6targetE1EEEvT1_
	.globl	_ZN7rocprim17ROCPRIM_400000_NS6detail17trampoline_kernelINS0_14default_configENS1_25partition_config_selectorILNS1_17partition_subalgoE1EjNS0_10empty_typeEbEEZZNS1_14partition_implILS5_1ELb0ES3_jN6thrust23THRUST_200600_302600_NS6detail15normal_iteratorINSA_10device_ptrIjEEEEPS6_NSA_18transform_iteratorI7is_evenIjESF_NSA_11use_defaultESK_EENS0_5tupleIJSF_SF_EEENSM_IJSG_SG_EEES6_PlJS6_EEE10hipError_tPvRmT3_T4_T5_T6_T7_T9_mT8_P12ihipStream_tbDpT10_ENKUlT_T0_E_clISt17integral_constantIbLb1EES19_EEDaS14_S15_EUlS14_E_NS1_11comp_targetILNS1_3genE3ELNS1_11target_archE908ELNS1_3gpuE7ELNS1_3repE0EEENS1_30default_config_static_selectorELNS0_4arch9wavefront6targetE1EEEvT1_
	.p2align	8
	.type	_ZN7rocprim17ROCPRIM_400000_NS6detail17trampoline_kernelINS0_14default_configENS1_25partition_config_selectorILNS1_17partition_subalgoE1EjNS0_10empty_typeEbEEZZNS1_14partition_implILS5_1ELb0ES3_jN6thrust23THRUST_200600_302600_NS6detail15normal_iteratorINSA_10device_ptrIjEEEEPS6_NSA_18transform_iteratorI7is_evenIjESF_NSA_11use_defaultESK_EENS0_5tupleIJSF_SF_EEENSM_IJSG_SG_EEES6_PlJS6_EEE10hipError_tPvRmT3_T4_T5_T6_T7_T9_mT8_P12ihipStream_tbDpT10_ENKUlT_T0_E_clISt17integral_constantIbLb1EES19_EEDaS14_S15_EUlS14_E_NS1_11comp_targetILNS1_3genE3ELNS1_11target_archE908ELNS1_3gpuE7ELNS1_3repE0EEENS1_30default_config_static_selectorELNS0_4arch9wavefront6targetE1EEEvT1_,@function
_ZN7rocprim17ROCPRIM_400000_NS6detail17trampoline_kernelINS0_14default_configENS1_25partition_config_selectorILNS1_17partition_subalgoE1EjNS0_10empty_typeEbEEZZNS1_14partition_implILS5_1ELb0ES3_jN6thrust23THRUST_200600_302600_NS6detail15normal_iteratorINSA_10device_ptrIjEEEEPS6_NSA_18transform_iteratorI7is_evenIjESF_NSA_11use_defaultESK_EENS0_5tupleIJSF_SF_EEENSM_IJSG_SG_EEES6_PlJS6_EEE10hipError_tPvRmT3_T4_T5_T6_T7_T9_mT8_P12ihipStream_tbDpT10_ENKUlT_T0_E_clISt17integral_constantIbLb1EES19_EEDaS14_S15_EUlS14_E_NS1_11comp_targetILNS1_3genE3ELNS1_11target_archE908ELNS1_3gpuE7ELNS1_3repE0EEENS1_30default_config_static_selectorELNS0_4arch9wavefront6targetE1EEEvT1_: ; @_ZN7rocprim17ROCPRIM_400000_NS6detail17trampoline_kernelINS0_14default_configENS1_25partition_config_selectorILNS1_17partition_subalgoE1EjNS0_10empty_typeEbEEZZNS1_14partition_implILS5_1ELb0ES3_jN6thrust23THRUST_200600_302600_NS6detail15normal_iteratorINSA_10device_ptrIjEEEEPS6_NSA_18transform_iteratorI7is_evenIjESF_NSA_11use_defaultESK_EENS0_5tupleIJSF_SF_EEENSM_IJSG_SG_EEES6_PlJS6_EEE10hipError_tPvRmT3_T4_T5_T6_T7_T9_mT8_P12ihipStream_tbDpT10_ENKUlT_T0_E_clISt17integral_constantIbLb1EES19_EEDaS14_S15_EUlS14_E_NS1_11comp_targetILNS1_3genE3ELNS1_11target_archE908ELNS1_3gpuE7ELNS1_3repE0EEENS1_30default_config_static_selectorELNS0_4arch9wavefront6targetE1EEEvT1_
; %bb.0:
	.section	.rodata,"a",@progbits
	.p2align	6, 0x0
	.amdhsa_kernel _ZN7rocprim17ROCPRIM_400000_NS6detail17trampoline_kernelINS0_14default_configENS1_25partition_config_selectorILNS1_17partition_subalgoE1EjNS0_10empty_typeEbEEZZNS1_14partition_implILS5_1ELb0ES3_jN6thrust23THRUST_200600_302600_NS6detail15normal_iteratorINSA_10device_ptrIjEEEEPS6_NSA_18transform_iteratorI7is_evenIjESF_NSA_11use_defaultESK_EENS0_5tupleIJSF_SF_EEENSM_IJSG_SG_EEES6_PlJS6_EEE10hipError_tPvRmT3_T4_T5_T6_T7_T9_mT8_P12ihipStream_tbDpT10_ENKUlT_T0_E_clISt17integral_constantIbLb1EES19_EEDaS14_S15_EUlS14_E_NS1_11comp_targetILNS1_3genE3ELNS1_11target_archE908ELNS1_3gpuE7ELNS1_3repE0EEENS1_30default_config_static_selectorELNS0_4arch9wavefront6targetE1EEEvT1_
		.amdhsa_group_segment_fixed_size 0
		.amdhsa_private_segment_fixed_size 0
		.amdhsa_kernarg_size 144
		.amdhsa_user_sgpr_count 2
		.amdhsa_user_sgpr_dispatch_ptr 0
		.amdhsa_user_sgpr_queue_ptr 0
		.amdhsa_user_sgpr_kernarg_segment_ptr 1
		.amdhsa_user_sgpr_dispatch_id 0
		.amdhsa_user_sgpr_kernarg_preload_length 0
		.amdhsa_user_sgpr_kernarg_preload_offset 0
		.amdhsa_user_sgpr_private_segment_size 0
		.amdhsa_uses_dynamic_stack 0
		.amdhsa_enable_private_segment 0
		.amdhsa_system_sgpr_workgroup_id_x 1
		.amdhsa_system_sgpr_workgroup_id_y 0
		.amdhsa_system_sgpr_workgroup_id_z 0
		.amdhsa_system_sgpr_workgroup_info 0
		.amdhsa_system_vgpr_workitem_id 0
		.amdhsa_next_free_vgpr 1
		.amdhsa_next_free_sgpr 0
		.amdhsa_accum_offset 4
		.amdhsa_reserve_vcc 0
		.amdhsa_float_round_mode_32 0
		.amdhsa_float_round_mode_16_64 0
		.amdhsa_float_denorm_mode_32 3
		.amdhsa_float_denorm_mode_16_64 3
		.amdhsa_dx10_clamp 1
		.amdhsa_ieee_mode 1
		.amdhsa_fp16_overflow 0
		.amdhsa_tg_split 0
		.amdhsa_exception_fp_ieee_invalid_op 0
		.amdhsa_exception_fp_denorm_src 0
		.amdhsa_exception_fp_ieee_div_zero 0
		.amdhsa_exception_fp_ieee_overflow 0
		.amdhsa_exception_fp_ieee_underflow 0
		.amdhsa_exception_fp_ieee_inexact 0
		.amdhsa_exception_int_div_zero 0
	.end_amdhsa_kernel
	.section	.text._ZN7rocprim17ROCPRIM_400000_NS6detail17trampoline_kernelINS0_14default_configENS1_25partition_config_selectorILNS1_17partition_subalgoE1EjNS0_10empty_typeEbEEZZNS1_14partition_implILS5_1ELb0ES3_jN6thrust23THRUST_200600_302600_NS6detail15normal_iteratorINSA_10device_ptrIjEEEEPS6_NSA_18transform_iteratorI7is_evenIjESF_NSA_11use_defaultESK_EENS0_5tupleIJSF_SF_EEENSM_IJSG_SG_EEES6_PlJS6_EEE10hipError_tPvRmT3_T4_T5_T6_T7_T9_mT8_P12ihipStream_tbDpT10_ENKUlT_T0_E_clISt17integral_constantIbLb1EES19_EEDaS14_S15_EUlS14_E_NS1_11comp_targetILNS1_3genE3ELNS1_11target_archE908ELNS1_3gpuE7ELNS1_3repE0EEENS1_30default_config_static_selectorELNS0_4arch9wavefront6targetE1EEEvT1_,"axG",@progbits,_ZN7rocprim17ROCPRIM_400000_NS6detail17trampoline_kernelINS0_14default_configENS1_25partition_config_selectorILNS1_17partition_subalgoE1EjNS0_10empty_typeEbEEZZNS1_14partition_implILS5_1ELb0ES3_jN6thrust23THRUST_200600_302600_NS6detail15normal_iteratorINSA_10device_ptrIjEEEEPS6_NSA_18transform_iteratorI7is_evenIjESF_NSA_11use_defaultESK_EENS0_5tupleIJSF_SF_EEENSM_IJSG_SG_EEES6_PlJS6_EEE10hipError_tPvRmT3_T4_T5_T6_T7_T9_mT8_P12ihipStream_tbDpT10_ENKUlT_T0_E_clISt17integral_constantIbLb1EES19_EEDaS14_S15_EUlS14_E_NS1_11comp_targetILNS1_3genE3ELNS1_11target_archE908ELNS1_3gpuE7ELNS1_3repE0EEENS1_30default_config_static_selectorELNS0_4arch9wavefront6targetE1EEEvT1_,comdat
.Lfunc_end2246:
	.size	_ZN7rocprim17ROCPRIM_400000_NS6detail17trampoline_kernelINS0_14default_configENS1_25partition_config_selectorILNS1_17partition_subalgoE1EjNS0_10empty_typeEbEEZZNS1_14partition_implILS5_1ELb0ES3_jN6thrust23THRUST_200600_302600_NS6detail15normal_iteratorINSA_10device_ptrIjEEEEPS6_NSA_18transform_iteratorI7is_evenIjESF_NSA_11use_defaultESK_EENS0_5tupleIJSF_SF_EEENSM_IJSG_SG_EEES6_PlJS6_EEE10hipError_tPvRmT3_T4_T5_T6_T7_T9_mT8_P12ihipStream_tbDpT10_ENKUlT_T0_E_clISt17integral_constantIbLb1EES19_EEDaS14_S15_EUlS14_E_NS1_11comp_targetILNS1_3genE3ELNS1_11target_archE908ELNS1_3gpuE7ELNS1_3repE0EEENS1_30default_config_static_selectorELNS0_4arch9wavefront6targetE1EEEvT1_, .Lfunc_end2246-_ZN7rocprim17ROCPRIM_400000_NS6detail17trampoline_kernelINS0_14default_configENS1_25partition_config_selectorILNS1_17partition_subalgoE1EjNS0_10empty_typeEbEEZZNS1_14partition_implILS5_1ELb0ES3_jN6thrust23THRUST_200600_302600_NS6detail15normal_iteratorINSA_10device_ptrIjEEEEPS6_NSA_18transform_iteratorI7is_evenIjESF_NSA_11use_defaultESK_EENS0_5tupleIJSF_SF_EEENSM_IJSG_SG_EEES6_PlJS6_EEE10hipError_tPvRmT3_T4_T5_T6_T7_T9_mT8_P12ihipStream_tbDpT10_ENKUlT_T0_E_clISt17integral_constantIbLb1EES19_EEDaS14_S15_EUlS14_E_NS1_11comp_targetILNS1_3genE3ELNS1_11target_archE908ELNS1_3gpuE7ELNS1_3repE0EEENS1_30default_config_static_selectorELNS0_4arch9wavefront6targetE1EEEvT1_
                                        ; -- End function
	.section	.AMDGPU.csdata,"",@progbits
; Kernel info:
; codeLenInByte = 0
; NumSgprs: 6
; NumVgprs: 0
; NumAgprs: 0
; TotalNumVgprs: 0
; ScratchSize: 0
; MemoryBound: 0
; FloatMode: 240
; IeeeMode: 1
; LDSByteSize: 0 bytes/workgroup (compile time only)
; SGPRBlocks: 0
; VGPRBlocks: 0
; NumSGPRsForWavesPerEU: 6
; NumVGPRsForWavesPerEU: 1
; AccumOffset: 4
; Occupancy: 8
; WaveLimiterHint : 0
; COMPUTE_PGM_RSRC2:SCRATCH_EN: 0
; COMPUTE_PGM_RSRC2:USER_SGPR: 2
; COMPUTE_PGM_RSRC2:TRAP_HANDLER: 0
; COMPUTE_PGM_RSRC2:TGID_X_EN: 1
; COMPUTE_PGM_RSRC2:TGID_Y_EN: 0
; COMPUTE_PGM_RSRC2:TGID_Z_EN: 0
; COMPUTE_PGM_RSRC2:TIDIG_COMP_CNT: 0
; COMPUTE_PGM_RSRC3_GFX90A:ACCUM_OFFSET: 0
; COMPUTE_PGM_RSRC3_GFX90A:TG_SPLIT: 0
	.section	.text._ZN7rocprim17ROCPRIM_400000_NS6detail17trampoline_kernelINS0_14default_configENS1_25partition_config_selectorILNS1_17partition_subalgoE1EjNS0_10empty_typeEbEEZZNS1_14partition_implILS5_1ELb0ES3_jN6thrust23THRUST_200600_302600_NS6detail15normal_iteratorINSA_10device_ptrIjEEEEPS6_NSA_18transform_iteratorI7is_evenIjESF_NSA_11use_defaultESK_EENS0_5tupleIJSF_SF_EEENSM_IJSG_SG_EEES6_PlJS6_EEE10hipError_tPvRmT3_T4_T5_T6_T7_T9_mT8_P12ihipStream_tbDpT10_ENKUlT_T0_E_clISt17integral_constantIbLb1EES19_EEDaS14_S15_EUlS14_E_NS1_11comp_targetILNS1_3genE2ELNS1_11target_archE906ELNS1_3gpuE6ELNS1_3repE0EEENS1_30default_config_static_selectorELNS0_4arch9wavefront6targetE1EEEvT1_,"axG",@progbits,_ZN7rocprim17ROCPRIM_400000_NS6detail17trampoline_kernelINS0_14default_configENS1_25partition_config_selectorILNS1_17partition_subalgoE1EjNS0_10empty_typeEbEEZZNS1_14partition_implILS5_1ELb0ES3_jN6thrust23THRUST_200600_302600_NS6detail15normal_iteratorINSA_10device_ptrIjEEEEPS6_NSA_18transform_iteratorI7is_evenIjESF_NSA_11use_defaultESK_EENS0_5tupleIJSF_SF_EEENSM_IJSG_SG_EEES6_PlJS6_EEE10hipError_tPvRmT3_T4_T5_T6_T7_T9_mT8_P12ihipStream_tbDpT10_ENKUlT_T0_E_clISt17integral_constantIbLb1EES19_EEDaS14_S15_EUlS14_E_NS1_11comp_targetILNS1_3genE2ELNS1_11target_archE906ELNS1_3gpuE6ELNS1_3repE0EEENS1_30default_config_static_selectorELNS0_4arch9wavefront6targetE1EEEvT1_,comdat
	.protected	_ZN7rocprim17ROCPRIM_400000_NS6detail17trampoline_kernelINS0_14default_configENS1_25partition_config_selectorILNS1_17partition_subalgoE1EjNS0_10empty_typeEbEEZZNS1_14partition_implILS5_1ELb0ES3_jN6thrust23THRUST_200600_302600_NS6detail15normal_iteratorINSA_10device_ptrIjEEEEPS6_NSA_18transform_iteratorI7is_evenIjESF_NSA_11use_defaultESK_EENS0_5tupleIJSF_SF_EEENSM_IJSG_SG_EEES6_PlJS6_EEE10hipError_tPvRmT3_T4_T5_T6_T7_T9_mT8_P12ihipStream_tbDpT10_ENKUlT_T0_E_clISt17integral_constantIbLb1EES19_EEDaS14_S15_EUlS14_E_NS1_11comp_targetILNS1_3genE2ELNS1_11target_archE906ELNS1_3gpuE6ELNS1_3repE0EEENS1_30default_config_static_selectorELNS0_4arch9wavefront6targetE1EEEvT1_ ; -- Begin function _ZN7rocprim17ROCPRIM_400000_NS6detail17trampoline_kernelINS0_14default_configENS1_25partition_config_selectorILNS1_17partition_subalgoE1EjNS0_10empty_typeEbEEZZNS1_14partition_implILS5_1ELb0ES3_jN6thrust23THRUST_200600_302600_NS6detail15normal_iteratorINSA_10device_ptrIjEEEEPS6_NSA_18transform_iteratorI7is_evenIjESF_NSA_11use_defaultESK_EENS0_5tupleIJSF_SF_EEENSM_IJSG_SG_EEES6_PlJS6_EEE10hipError_tPvRmT3_T4_T5_T6_T7_T9_mT8_P12ihipStream_tbDpT10_ENKUlT_T0_E_clISt17integral_constantIbLb1EES19_EEDaS14_S15_EUlS14_E_NS1_11comp_targetILNS1_3genE2ELNS1_11target_archE906ELNS1_3gpuE6ELNS1_3repE0EEENS1_30default_config_static_selectorELNS0_4arch9wavefront6targetE1EEEvT1_
	.globl	_ZN7rocprim17ROCPRIM_400000_NS6detail17trampoline_kernelINS0_14default_configENS1_25partition_config_selectorILNS1_17partition_subalgoE1EjNS0_10empty_typeEbEEZZNS1_14partition_implILS5_1ELb0ES3_jN6thrust23THRUST_200600_302600_NS6detail15normal_iteratorINSA_10device_ptrIjEEEEPS6_NSA_18transform_iteratorI7is_evenIjESF_NSA_11use_defaultESK_EENS0_5tupleIJSF_SF_EEENSM_IJSG_SG_EEES6_PlJS6_EEE10hipError_tPvRmT3_T4_T5_T6_T7_T9_mT8_P12ihipStream_tbDpT10_ENKUlT_T0_E_clISt17integral_constantIbLb1EES19_EEDaS14_S15_EUlS14_E_NS1_11comp_targetILNS1_3genE2ELNS1_11target_archE906ELNS1_3gpuE6ELNS1_3repE0EEENS1_30default_config_static_selectorELNS0_4arch9wavefront6targetE1EEEvT1_
	.p2align	8
	.type	_ZN7rocprim17ROCPRIM_400000_NS6detail17trampoline_kernelINS0_14default_configENS1_25partition_config_selectorILNS1_17partition_subalgoE1EjNS0_10empty_typeEbEEZZNS1_14partition_implILS5_1ELb0ES3_jN6thrust23THRUST_200600_302600_NS6detail15normal_iteratorINSA_10device_ptrIjEEEEPS6_NSA_18transform_iteratorI7is_evenIjESF_NSA_11use_defaultESK_EENS0_5tupleIJSF_SF_EEENSM_IJSG_SG_EEES6_PlJS6_EEE10hipError_tPvRmT3_T4_T5_T6_T7_T9_mT8_P12ihipStream_tbDpT10_ENKUlT_T0_E_clISt17integral_constantIbLb1EES19_EEDaS14_S15_EUlS14_E_NS1_11comp_targetILNS1_3genE2ELNS1_11target_archE906ELNS1_3gpuE6ELNS1_3repE0EEENS1_30default_config_static_selectorELNS0_4arch9wavefront6targetE1EEEvT1_,@function
_ZN7rocprim17ROCPRIM_400000_NS6detail17trampoline_kernelINS0_14default_configENS1_25partition_config_selectorILNS1_17partition_subalgoE1EjNS0_10empty_typeEbEEZZNS1_14partition_implILS5_1ELb0ES3_jN6thrust23THRUST_200600_302600_NS6detail15normal_iteratorINSA_10device_ptrIjEEEEPS6_NSA_18transform_iteratorI7is_evenIjESF_NSA_11use_defaultESK_EENS0_5tupleIJSF_SF_EEENSM_IJSG_SG_EEES6_PlJS6_EEE10hipError_tPvRmT3_T4_T5_T6_T7_T9_mT8_P12ihipStream_tbDpT10_ENKUlT_T0_E_clISt17integral_constantIbLb1EES19_EEDaS14_S15_EUlS14_E_NS1_11comp_targetILNS1_3genE2ELNS1_11target_archE906ELNS1_3gpuE6ELNS1_3repE0EEENS1_30default_config_static_selectorELNS0_4arch9wavefront6targetE1EEEvT1_: ; @_ZN7rocprim17ROCPRIM_400000_NS6detail17trampoline_kernelINS0_14default_configENS1_25partition_config_selectorILNS1_17partition_subalgoE1EjNS0_10empty_typeEbEEZZNS1_14partition_implILS5_1ELb0ES3_jN6thrust23THRUST_200600_302600_NS6detail15normal_iteratorINSA_10device_ptrIjEEEEPS6_NSA_18transform_iteratorI7is_evenIjESF_NSA_11use_defaultESK_EENS0_5tupleIJSF_SF_EEENSM_IJSG_SG_EEES6_PlJS6_EEE10hipError_tPvRmT3_T4_T5_T6_T7_T9_mT8_P12ihipStream_tbDpT10_ENKUlT_T0_E_clISt17integral_constantIbLb1EES19_EEDaS14_S15_EUlS14_E_NS1_11comp_targetILNS1_3genE2ELNS1_11target_archE906ELNS1_3gpuE6ELNS1_3repE0EEENS1_30default_config_static_selectorELNS0_4arch9wavefront6targetE1EEEvT1_
; %bb.0:
	.section	.rodata,"a",@progbits
	.p2align	6, 0x0
	.amdhsa_kernel _ZN7rocprim17ROCPRIM_400000_NS6detail17trampoline_kernelINS0_14default_configENS1_25partition_config_selectorILNS1_17partition_subalgoE1EjNS0_10empty_typeEbEEZZNS1_14partition_implILS5_1ELb0ES3_jN6thrust23THRUST_200600_302600_NS6detail15normal_iteratorINSA_10device_ptrIjEEEEPS6_NSA_18transform_iteratorI7is_evenIjESF_NSA_11use_defaultESK_EENS0_5tupleIJSF_SF_EEENSM_IJSG_SG_EEES6_PlJS6_EEE10hipError_tPvRmT3_T4_T5_T6_T7_T9_mT8_P12ihipStream_tbDpT10_ENKUlT_T0_E_clISt17integral_constantIbLb1EES19_EEDaS14_S15_EUlS14_E_NS1_11comp_targetILNS1_3genE2ELNS1_11target_archE906ELNS1_3gpuE6ELNS1_3repE0EEENS1_30default_config_static_selectorELNS0_4arch9wavefront6targetE1EEEvT1_
		.amdhsa_group_segment_fixed_size 0
		.amdhsa_private_segment_fixed_size 0
		.amdhsa_kernarg_size 144
		.amdhsa_user_sgpr_count 2
		.amdhsa_user_sgpr_dispatch_ptr 0
		.amdhsa_user_sgpr_queue_ptr 0
		.amdhsa_user_sgpr_kernarg_segment_ptr 1
		.amdhsa_user_sgpr_dispatch_id 0
		.amdhsa_user_sgpr_kernarg_preload_length 0
		.amdhsa_user_sgpr_kernarg_preload_offset 0
		.amdhsa_user_sgpr_private_segment_size 0
		.amdhsa_uses_dynamic_stack 0
		.amdhsa_enable_private_segment 0
		.amdhsa_system_sgpr_workgroup_id_x 1
		.amdhsa_system_sgpr_workgroup_id_y 0
		.amdhsa_system_sgpr_workgroup_id_z 0
		.amdhsa_system_sgpr_workgroup_info 0
		.amdhsa_system_vgpr_workitem_id 0
		.amdhsa_next_free_vgpr 1
		.amdhsa_next_free_sgpr 0
		.amdhsa_accum_offset 4
		.amdhsa_reserve_vcc 0
		.amdhsa_float_round_mode_32 0
		.amdhsa_float_round_mode_16_64 0
		.amdhsa_float_denorm_mode_32 3
		.amdhsa_float_denorm_mode_16_64 3
		.amdhsa_dx10_clamp 1
		.amdhsa_ieee_mode 1
		.amdhsa_fp16_overflow 0
		.amdhsa_tg_split 0
		.amdhsa_exception_fp_ieee_invalid_op 0
		.amdhsa_exception_fp_denorm_src 0
		.amdhsa_exception_fp_ieee_div_zero 0
		.amdhsa_exception_fp_ieee_overflow 0
		.amdhsa_exception_fp_ieee_underflow 0
		.amdhsa_exception_fp_ieee_inexact 0
		.amdhsa_exception_int_div_zero 0
	.end_amdhsa_kernel
	.section	.text._ZN7rocprim17ROCPRIM_400000_NS6detail17trampoline_kernelINS0_14default_configENS1_25partition_config_selectorILNS1_17partition_subalgoE1EjNS0_10empty_typeEbEEZZNS1_14partition_implILS5_1ELb0ES3_jN6thrust23THRUST_200600_302600_NS6detail15normal_iteratorINSA_10device_ptrIjEEEEPS6_NSA_18transform_iteratorI7is_evenIjESF_NSA_11use_defaultESK_EENS0_5tupleIJSF_SF_EEENSM_IJSG_SG_EEES6_PlJS6_EEE10hipError_tPvRmT3_T4_T5_T6_T7_T9_mT8_P12ihipStream_tbDpT10_ENKUlT_T0_E_clISt17integral_constantIbLb1EES19_EEDaS14_S15_EUlS14_E_NS1_11comp_targetILNS1_3genE2ELNS1_11target_archE906ELNS1_3gpuE6ELNS1_3repE0EEENS1_30default_config_static_selectorELNS0_4arch9wavefront6targetE1EEEvT1_,"axG",@progbits,_ZN7rocprim17ROCPRIM_400000_NS6detail17trampoline_kernelINS0_14default_configENS1_25partition_config_selectorILNS1_17partition_subalgoE1EjNS0_10empty_typeEbEEZZNS1_14partition_implILS5_1ELb0ES3_jN6thrust23THRUST_200600_302600_NS6detail15normal_iteratorINSA_10device_ptrIjEEEEPS6_NSA_18transform_iteratorI7is_evenIjESF_NSA_11use_defaultESK_EENS0_5tupleIJSF_SF_EEENSM_IJSG_SG_EEES6_PlJS6_EEE10hipError_tPvRmT3_T4_T5_T6_T7_T9_mT8_P12ihipStream_tbDpT10_ENKUlT_T0_E_clISt17integral_constantIbLb1EES19_EEDaS14_S15_EUlS14_E_NS1_11comp_targetILNS1_3genE2ELNS1_11target_archE906ELNS1_3gpuE6ELNS1_3repE0EEENS1_30default_config_static_selectorELNS0_4arch9wavefront6targetE1EEEvT1_,comdat
.Lfunc_end2247:
	.size	_ZN7rocprim17ROCPRIM_400000_NS6detail17trampoline_kernelINS0_14default_configENS1_25partition_config_selectorILNS1_17partition_subalgoE1EjNS0_10empty_typeEbEEZZNS1_14partition_implILS5_1ELb0ES3_jN6thrust23THRUST_200600_302600_NS6detail15normal_iteratorINSA_10device_ptrIjEEEEPS6_NSA_18transform_iteratorI7is_evenIjESF_NSA_11use_defaultESK_EENS0_5tupleIJSF_SF_EEENSM_IJSG_SG_EEES6_PlJS6_EEE10hipError_tPvRmT3_T4_T5_T6_T7_T9_mT8_P12ihipStream_tbDpT10_ENKUlT_T0_E_clISt17integral_constantIbLb1EES19_EEDaS14_S15_EUlS14_E_NS1_11comp_targetILNS1_3genE2ELNS1_11target_archE906ELNS1_3gpuE6ELNS1_3repE0EEENS1_30default_config_static_selectorELNS0_4arch9wavefront6targetE1EEEvT1_, .Lfunc_end2247-_ZN7rocprim17ROCPRIM_400000_NS6detail17trampoline_kernelINS0_14default_configENS1_25partition_config_selectorILNS1_17partition_subalgoE1EjNS0_10empty_typeEbEEZZNS1_14partition_implILS5_1ELb0ES3_jN6thrust23THRUST_200600_302600_NS6detail15normal_iteratorINSA_10device_ptrIjEEEEPS6_NSA_18transform_iteratorI7is_evenIjESF_NSA_11use_defaultESK_EENS0_5tupleIJSF_SF_EEENSM_IJSG_SG_EEES6_PlJS6_EEE10hipError_tPvRmT3_T4_T5_T6_T7_T9_mT8_P12ihipStream_tbDpT10_ENKUlT_T0_E_clISt17integral_constantIbLb1EES19_EEDaS14_S15_EUlS14_E_NS1_11comp_targetILNS1_3genE2ELNS1_11target_archE906ELNS1_3gpuE6ELNS1_3repE0EEENS1_30default_config_static_selectorELNS0_4arch9wavefront6targetE1EEEvT1_
                                        ; -- End function
	.section	.AMDGPU.csdata,"",@progbits
; Kernel info:
; codeLenInByte = 0
; NumSgprs: 6
; NumVgprs: 0
; NumAgprs: 0
; TotalNumVgprs: 0
; ScratchSize: 0
; MemoryBound: 0
; FloatMode: 240
; IeeeMode: 1
; LDSByteSize: 0 bytes/workgroup (compile time only)
; SGPRBlocks: 0
; VGPRBlocks: 0
; NumSGPRsForWavesPerEU: 6
; NumVGPRsForWavesPerEU: 1
; AccumOffset: 4
; Occupancy: 8
; WaveLimiterHint : 0
; COMPUTE_PGM_RSRC2:SCRATCH_EN: 0
; COMPUTE_PGM_RSRC2:USER_SGPR: 2
; COMPUTE_PGM_RSRC2:TRAP_HANDLER: 0
; COMPUTE_PGM_RSRC2:TGID_X_EN: 1
; COMPUTE_PGM_RSRC2:TGID_Y_EN: 0
; COMPUTE_PGM_RSRC2:TGID_Z_EN: 0
; COMPUTE_PGM_RSRC2:TIDIG_COMP_CNT: 0
; COMPUTE_PGM_RSRC3_GFX90A:ACCUM_OFFSET: 0
; COMPUTE_PGM_RSRC3_GFX90A:TG_SPLIT: 0
	.section	.text._ZN7rocprim17ROCPRIM_400000_NS6detail17trampoline_kernelINS0_14default_configENS1_25partition_config_selectorILNS1_17partition_subalgoE1EjNS0_10empty_typeEbEEZZNS1_14partition_implILS5_1ELb0ES3_jN6thrust23THRUST_200600_302600_NS6detail15normal_iteratorINSA_10device_ptrIjEEEEPS6_NSA_18transform_iteratorI7is_evenIjESF_NSA_11use_defaultESK_EENS0_5tupleIJSF_SF_EEENSM_IJSG_SG_EEES6_PlJS6_EEE10hipError_tPvRmT3_T4_T5_T6_T7_T9_mT8_P12ihipStream_tbDpT10_ENKUlT_T0_E_clISt17integral_constantIbLb1EES19_EEDaS14_S15_EUlS14_E_NS1_11comp_targetILNS1_3genE10ELNS1_11target_archE1200ELNS1_3gpuE4ELNS1_3repE0EEENS1_30default_config_static_selectorELNS0_4arch9wavefront6targetE1EEEvT1_,"axG",@progbits,_ZN7rocprim17ROCPRIM_400000_NS6detail17trampoline_kernelINS0_14default_configENS1_25partition_config_selectorILNS1_17partition_subalgoE1EjNS0_10empty_typeEbEEZZNS1_14partition_implILS5_1ELb0ES3_jN6thrust23THRUST_200600_302600_NS6detail15normal_iteratorINSA_10device_ptrIjEEEEPS6_NSA_18transform_iteratorI7is_evenIjESF_NSA_11use_defaultESK_EENS0_5tupleIJSF_SF_EEENSM_IJSG_SG_EEES6_PlJS6_EEE10hipError_tPvRmT3_T4_T5_T6_T7_T9_mT8_P12ihipStream_tbDpT10_ENKUlT_T0_E_clISt17integral_constantIbLb1EES19_EEDaS14_S15_EUlS14_E_NS1_11comp_targetILNS1_3genE10ELNS1_11target_archE1200ELNS1_3gpuE4ELNS1_3repE0EEENS1_30default_config_static_selectorELNS0_4arch9wavefront6targetE1EEEvT1_,comdat
	.protected	_ZN7rocprim17ROCPRIM_400000_NS6detail17trampoline_kernelINS0_14default_configENS1_25partition_config_selectorILNS1_17partition_subalgoE1EjNS0_10empty_typeEbEEZZNS1_14partition_implILS5_1ELb0ES3_jN6thrust23THRUST_200600_302600_NS6detail15normal_iteratorINSA_10device_ptrIjEEEEPS6_NSA_18transform_iteratorI7is_evenIjESF_NSA_11use_defaultESK_EENS0_5tupleIJSF_SF_EEENSM_IJSG_SG_EEES6_PlJS6_EEE10hipError_tPvRmT3_T4_T5_T6_T7_T9_mT8_P12ihipStream_tbDpT10_ENKUlT_T0_E_clISt17integral_constantIbLb1EES19_EEDaS14_S15_EUlS14_E_NS1_11comp_targetILNS1_3genE10ELNS1_11target_archE1200ELNS1_3gpuE4ELNS1_3repE0EEENS1_30default_config_static_selectorELNS0_4arch9wavefront6targetE1EEEvT1_ ; -- Begin function _ZN7rocprim17ROCPRIM_400000_NS6detail17trampoline_kernelINS0_14default_configENS1_25partition_config_selectorILNS1_17partition_subalgoE1EjNS0_10empty_typeEbEEZZNS1_14partition_implILS5_1ELb0ES3_jN6thrust23THRUST_200600_302600_NS6detail15normal_iteratorINSA_10device_ptrIjEEEEPS6_NSA_18transform_iteratorI7is_evenIjESF_NSA_11use_defaultESK_EENS0_5tupleIJSF_SF_EEENSM_IJSG_SG_EEES6_PlJS6_EEE10hipError_tPvRmT3_T4_T5_T6_T7_T9_mT8_P12ihipStream_tbDpT10_ENKUlT_T0_E_clISt17integral_constantIbLb1EES19_EEDaS14_S15_EUlS14_E_NS1_11comp_targetILNS1_3genE10ELNS1_11target_archE1200ELNS1_3gpuE4ELNS1_3repE0EEENS1_30default_config_static_selectorELNS0_4arch9wavefront6targetE1EEEvT1_
	.globl	_ZN7rocprim17ROCPRIM_400000_NS6detail17trampoline_kernelINS0_14default_configENS1_25partition_config_selectorILNS1_17partition_subalgoE1EjNS0_10empty_typeEbEEZZNS1_14partition_implILS5_1ELb0ES3_jN6thrust23THRUST_200600_302600_NS6detail15normal_iteratorINSA_10device_ptrIjEEEEPS6_NSA_18transform_iteratorI7is_evenIjESF_NSA_11use_defaultESK_EENS0_5tupleIJSF_SF_EEENSM_IJSG_SG_EEES6_PlJS6_EEE10hipError_tPvRmT3_T4_T5_T6_T7_T9_mT8_P12ihipStream_tbDpT10_ENKUlT_T0_E_clISt17integral_constantIbLb1EES19_EEDaS14_S15_EUlS14_E_NS1_11comp_targetILNS1_3genE10ELNS1_11target_archE1200ELNS1_3gpuE4ELNS1_3repE0EEENS1_30default_config_static_selectorELNS0_4arch9wavefront6targetE1EEEvT1_
	.p2align	8
	.type	_ZN7rocprim17ROCPRIM_400000_NS6detail17trampoline_kernelINS0_14default_configENS1_25partition_config_selectorILNS1_17partition_subalgoE1EjNS0_10empty_typeEbEEZZNS1_14partition_implILS5_1ELb0ES3_jN6thrust23THRUST_200600_302600_NS6detail15normal_iteratorINSA_10device_ptrIjEEEEPS6_NSA_18transform_iteratorI7is_evenIjESF_NSA_11use_defaultESK_EENS0_5tupleIJSF_SF_EEENSM_IJSG_SG_EEES6_PlJS6_EEE10hipError_tPvRmT3_T4_T5_T6_T7_T9_mT8_P12ihipStream_tbDpT10_ENKUlT_T0_E_clISt17integral_constantIbLb1EES19_EEDaS14_S15_EUlS14_E_NS1_11comp_targetILNS1_3genE10ELNS1_11target_archE1200ELNS1_3gpuE4ELNS1_3repE0EEENS1_30default_config_static_selectorELNS0_4arch9wavefront6targetE1EEEvT1_,@function
_ZN7rocprim17ROCPRIM_400000_NS6detail17trampoline_kernelINS0_14default_configENS1_25partition_config_selectorILNS1_17partition_subalgoE1EjNS0_10empty_typeEbEEZZNS1_14partition_implILS5_1ELb0ES3_jN6thrust23THRUST_200600_302600_NS6detail15normal_iteratorINSA_10device_ptrIjEEEEPS6_NSA_18transform_iteratorI7is_evenIjESF_NSA_11use_defaultESK_EENS0_5tupleIJSF_SF_EEENSM_IJSG_SG_EEES6_PlJS6_EEE10hipError_tPvRmT3_T4_T5_T6_T7_T9_mT8_P12ihipStream_tbDpT10_ENKUlT_T0_E_clISt17integral_constantIbLb1EES19_EEDaS14_S15_EUlS14_E_NS1_11comp_targetILNS1_3genE10ELNS1_11target_archE1200ELNS1_3gpuE4ELNS1_3repE0EEENS1_30default_config_static_selectorELNS0_4arch9wavefront6targetE1EEEvT1_: ; @_ZN7rocprim17ROCPRIM_400000_NS6detail17trampoline_kernelINS0_14default_configENS1_25partition_config_selectorILNS1_17partition_subalgoE1EjNS0_10empty_typeEbEEZZNS1_14partition_implILS5_1ELb0ES3_jN6thrust23THRUST_200600_302600_NS6detail15normal_iteratorINSA_10device_ptrIjEEEEPS6_NSA_18transform_iteratorI7is_evenIjESF_NSA_11use_defaultESK_EENS0_5tupleIJSF_SF_EEENSM_IJSG_SG_EEES6_PlJS6_EEE10hipError_tPvRmT3_T4_T5_T6_T7_T9_mT8_P12ihipStream_tbDpT10_ENKUlT_T0_E_clISt17integral_constantIbLb1EES19_EEDaS14_S15_EUlS14_E_NS1_11comp_targetILNS1_3genE10ELNS1_11target_archE1200ELNS1_3gpuE4ELNS1_3repE0EEENS1_30default_config_static_selectorELNS0_4arch9wavefront6targetE1EEEvT1_
; %bb.0:
	.section	.rodata,"a",@progbits
	.p2align	6, 0x0
	.amdhsa_kernel _ZN7rocprim17ROCPRIM_400000_NS6detail17trampoline_kernelINS0_14default_configENS1_25partition_config_selectorILNS1_17partition_subalgoE1EjNS0_10empty_typeEbEEZZNS1_14partition_implILS5_1ELb0ES3_jN6thrust23THRUST_200600_302600_NS6detail15normal_iteratorINSA_10device_ptrIjEEEEPS6_NSA_18transform_iteratorI7is_evenIjESF_NSA_11use_defaultESK_EENS0_5tupleIJSF_SF_EEENSM_IJSG_SG_EEES6_PlJS6_EEE10hipError_tPvRmT3_T4_T5_T6_T7_T9_mT8_P12ihipStream_tbDpT10_ENKUlT_T0_E_clISt17integral_constantIbLb1EES19_EEDaS14_S15_EUlS14_E_NS1_11comp_targetILNS1_3genE10ELNS1_11target_archE1200ELNS1_3gpuE4ELNS1_3repE0EEENS1_30default_config_static_selectorELNS0_4arch9wavefront6targetE1EEEvT1_
		.amdhsa_group_segment_fixed_size 0
		.amdhsa_private_segment_fixed_size 0
		.amdhsa_kernarg_size 144
		.amdhsa_user_sgpr_count 2
		.amdhsa_user_sgpr_dispatch_ptr 0
		.amdhsa_user_sgpr_queue_ptr 0
		.amdhsa_user_sgpr_kernarg_segment_ptr 1
		.amdhsa_user_sgpr_dispatch_id 0
		.amdhsa_user_sgpr_kernarg_preload_length 0
		.amdhsa_user_sgpr_kernarg_preload_offset 0
		.amdhsa_user_sgpr_private_segment_size 0
		.amdhsa_uses_dynamic_stack 0
		.amdhsa_enable_private_segment 0
		.amdhsa_system_sgpr_workgroup_id_x 1
		.amdhsa_system_sgpr_workgroup_id_y 0
		.amdhsa_system_sgpr_workgroup_id_z 0
		.amdhsa_system_sgpr_workgroup_info 0
		.amdhsa_system_vgpr_workitem_id 0
		.amdhsa_next_free_vgpr 1
		.amdhsa_next_free_sgpr 0
		.amdhsa_accum_offset 4
		.amdhsa_reserve_vcc 0
		.amdhsa_float_round_mode_32 0
		.amdhsa_float_round_mode_16_64 0
		.amdhsa_float_denorm_mode_32 3
		.amdhsa_float_denorm_mode_16_64 3
		.amdhsa_dx10_clamp 1
		.amdhsa_ieee_mode 1
		.amdhsa_fp16_overflow 0
		.amdhsa_tg_split 0
		.amdhsa_exception_fp_ieee_invalid_op 0
		.amdhsa_exception_fp_denorm_src 0
		.amdhsa_exception_fp_ieee_div_zero 0
		.amdhsa_exception_fp_ieee_overflow 0
		.amdhsa_exception_fp_ieee_underflow 0
		.amdhsa_exception_fp_ieee_inexact 0
		.amdhsa_exception_int_div_zero 0
	.end_amdhsa_kernel
	.section	.text._ZN7rocprim17ROCPRIM_400000_NS6detail17trampoline_kernelINS0_14default_configENS1_25partition_config_selectorILNS1_17partition_subalgoE1EjNS0_10empty_typeEbEEZZNS1_14partition_implILS5_1ELb0ES3_jN6thrust23THRUST_200600_302600_NS6detail15normal_iteratorINSA_10device_ptrIjEEEEPS6_NSA_18transform_iteratorI7is_evenIjESF_NSA_11use_defaultESK_EENS0_5tupleIJSF_SF_EEENSM_IJSG_SG_EEES6_PlJS6_EEE10hipError_tPvRmT3_T4_T5_T6_T7_T9_mT8_P12ihipStream_tbDpT10_ENKUlT_T0_E_clISt17integral_constantIbLb1EES19_EEDaS14_S15_EUlS14_E_NS1_11comp_targetILNS1_3genE10ELNS1_11target_archE1200ELNS1_3gpuE4ELNS1_3repE0EEENS1_30default_config_static_selectorELNS0_4arch9wavefront6targetE1EEEvT1_,"axG",@progbits,_ZN7rocprim17ROCPRIM_400000_NS6detail17trampoline_kernelINS0_14default_configENS1_25partition_config_selectorILNS1_17partition_subalgoE1EjNS0_10empty_typeEbEEZZNS1_14partition_implILS5_1ELb0ES3_jN6thrust23THRUST_200600_302600_NS6detail15normal_iteratorINSA_10device_ptrIjEEEEPS6_NSA_18transform_iteratorI7is_evenIjESF_NSA_11use_defaultESK_EENS0_5tupleIJSF_SF_EEENSM_IJSG_SG_EEES6_PlJS6_EEE10hipError_tPvRmT3_T4_T5_T6_T7_T9_mT8_P12ihipStream_tbDpT10_ENKUlT_T0_E_clISt17integral_constantIbLb1EES19_EEDaS14_S15_EUlS14_E_NS1_11comp_targetILNS1_3genE10ELNS1_11target_archE1200ELNS1_3gpuE4ELNS1_3repE0EEENS1_30default_config_static_selectorELNS0_4arch9wavefront6targetE1EEEvT1_,comdat
.Lfunc_end2248:
	.size	_ZN7rocprim17ROCPRIM_400000_NS6detail17trampoline_kernelINS0_14default_configENS1_25partition_config_selectorILNS1_17partition_subalgoE1EjNS0_10empty_typeEbEEZZNS1_14partition_implILS5_1ELb0ES3_jN6thrust23THRUST_200600_302600_NS6detail15normal_iteratorINSA_10device_ptrIjEEEEPS6_NSA_18transform_iteratorI7is_evenIjESF_NSA_11use_defaultESK_EENS0_5tupleIJSF_SF_EEENSM_IJSG_SG_EEES6_PlJS6_EEE10hipError_tPvRmT3_T4_T5_T6_T7_T9_mT8_P12ihipStream_tbDpT10_ENKUlT_T0_E_clISt17integral_constantIbLb1EES19_EEDaS14_S15_EUlS14_E_NS1_11comp_targetILNS1_3genE10ELNS1_11target_archE1200ELNS1_3gpuE4ELNS1_3repE0EEENS1_30default_config_static_selectorELNS0_4arch9wavefront6targetE1EEEvT1_, .Lfunc_end2248-_ZN7rocprim17ROCPRIM_400000_NS6detail17trampoline_kernelINS0_14default_configENS1_25partition_config_selectorILNS1_17partition_subalgoE1EjNS0_10empty_typeEbEEZZNS1_14partition_implILS5_1ELb0ES3_jN6thrust23THRUST_200600_302600_NS6detail15normal_iteratorINSA_10device_ptrIjEEEEPS6_NSA_18transform_iteratorI7is_evenIjESF_NSA_11use_defaultESK_EENS0_5tupleIJSF_SF_EEENSM_IJSG_SG_EEES6_PlJS6_EEE10hipError_tPvRmT3_T4_T5_T6_T7_T9_mT8_P12ihipStream_tbDpT10_ENKUlT_T0_E_clISt17integral_constantIbLb1EES19_EEDaS14_S15_EUlS14_E_NS1_11comp_targetILNS1_3genE10ELNS1_11target_archE1200ELNS1_3gpuE4ELNS1_3repE0EEENS1_30default_config_static_selectorELNS0_4arch9wavefront6targetE1EEEvT1_
                                        ; -- End function
	.section	.AMDGPU.csdata,"",@progbits
; Kernel info:
; codeLenInByte = 0
; NumSgprs: 6
; NumVgprs: 0
; NumAgprs: 0
; TotalNumVgprs: 0
; ScratchSize: 0
; MemoryBound: 0
; FloatMode: 240
; IeeeMode: 1
; LDSByteSize: 0 bytes/workgroup (compile time only)
; SGPRBlocks: 0
; VGPRBlocks: 0
; NumSGPRsForWavesPerEU: 6
; NumVGPRsForWavesPerEU: 1
; AccumOffset: 4
; Occupancy: 8
; WaveLimiterHint : 0
; COMPUTE_PGM_RSRC2:SCRATCH_EN: 0
; COMPUTE_PGM_RSRC2:USER_SGPR: 2
; COMPUTE_PGM_RSRC2:TRAP_HANDLER: 0
; COMPUTE_PGM_RSRC2:TGID_X_EN: 1
; COMPUTE_PGM_RSRC2:TGID_Y_EN: 0
; COMPUTE_PGM_RSRC2:TGID_Z_EN: 0
; COMPUTE_PGM_RSRC2:TIDIG_COMP_CNT: 0
; COMPUTE_PGM_RSRC3_GFX90A:ACCUM_OFFSET: 0
; COMPUTE_PGM_RSRC3_GFX90A:TG_SPLIT: 0
	.section	.text._ZN7rocprim17ROCPRIM_400000_NS6detail17trampoline_kernelINS0_14default_configENS1_25partition_config_selectorILNS1_17partition_subalgoE1EjNS0_10empty_typeEbEEZZNS1_14partition_implILS5_1ELb0ES3_jN6thrust23THRUST_200600_302600_NS6detail15normal_iteratorINSA_10device_ptrIjEEEEPS6_NSA_18transform_iteratorI7is_evenIjESF_NSA_11use_defaultESK_EENS0_5tupleIJSF_SF_EEENSM_IJSG_SG_EEES6_PlJS6_EEE10hipError_tPvRmT3_T4_T5_T6_T7_T9_mT8_P12ihipStream_tbDpT10_ENKUlT_T0_E_clISt17integral_constantIbLb1EES19_EEDaS14_S15_EUlS14_E_NS1_11comp_targetILNS1_3genE9ELNS1_11target_archE1100ELNS1_3gpuE3ELNS1_3repE0EEENS1_30default_config_static_selectorELNS0_4arch9wavefront6targetE1EEEvT1_,"axG",@progbits,_ZN7rocprim17ROCPRIM_400000_NS6detail17trampoline_kernelINS0_14default_configENS1_25partition_config_selectorILNS1_17partition_subalgoE1EjNS0_10empty_typeEbEEZZNS1_14partition_implILS5_1ELb0ES3_jN6thrust23THRUST_200600_302600_NS6detail15normal_iteratorINSA_10device_ptrIjEEEEPS6_NSA_18transform_iteratorI7is_evenIjESF_NSA_11use_defaultESK_EENS0_5tupleIJSF_SF_EEENSM_IJSG_SG_EEES6_PlJS6_EEE10hipError_tPvRmT3_T4_T5_T6_T7_T9_mT8_P12ihipStream_tbDpT10_ENKUlT_T0_E_clISt17integral_constantIbLb1EES19_EEDaS14_S15_EUlS14_E_NS1_11comp_targetILNS1_3genE9ELNS1_11target_archE1100ELNS1_3gpuE3ELNS1_3repE0EEENS1_30default_config_static_selectorELNS0_4arch9wavefront6targetE1EEEvT1_,comdat
	.protected	_ZN7rocprim17ROCPRIM_400000_NS6detail17trampoline_kernelINS0_14default_configENS1_25partition_config_selectorILNS1_17partition_subalgoE1EjNS0_10empty_typeEbEEZZNS1_14partition_implILS5_1ELb0ES3_jN6thrust23THRUST_200600_302600_NS6detail15normal_iteratorINSA_10device_ptrIjEEEEPS6_NSA_18transform_iteratorI7is_evenIjESF_NSA_11use_defaultESK_EENS0_5tupleIJSF_SF_EEENSM_IJSG_SG_EEES6_PlJS6_EEE10hipError_tPvRmT3_T4_T5_T6_T7_T9_mT8_P12ihipStream_tbDpT10_ENKUlT_T0_E_clISt17integral_constantIbLb1EES19_EEDaS14_S15_EUlS14_E_NS1_11comp_targetILNS1_3genE9ELNS1_11target_archE1100ELNS1_3gpuE3ELNS1_3repE0EEENS1_30default_config_static_selectorELNS0_4arch9wavefront6targetE1EEEvT1_ ; -- Begin function _ZN7rocprim17ROCPRIM_400000_NS6detail17trampoline_kernelINS0_14default_configENS1_25partition_config_selectorILNS1_17partition_subalgoE1EjNS0_10empty_typeEbEEZZNS1_14partition_implILS5_1ELb0ES3_jN6thrust23THRUST_200600_302600_NS6detail15normal_iteratorINSA_10device_ptrIjEEEEPS6_NSA_18transform_iteratorI7is_evenIjESF_NSA_11use_defaultESK_EENS0_5tupleIJSF_SF_EEENSM_IJSG_SG_EEES6_PlJS6_EEE10hipError_tPvRmT3_T4_T5_T6_T7_T9_mT8_P12ihipStream_tbDpT10_ENKUlT_T0_E_clISt17integral_constantIbLb1EES19_EEDaS14_S15_EUlS14_E_NS1_11comp_targetILNS1_3genE9ELNS1_11target_archE1100ELNS1_3gpuE3ELNS1_3repE0EEENS1_30default_config_static_selectorELNS0_4arch9wavefront6targetE1EEEvT1_
	.globl	_ZN7rocprim17ROCPRIM_400000_NS6detail17trampoline_kernelINS0_14default_configENS1_25partition_config_selectorILNS1_17partition_subalgoE1EjNS0_10empty_typeEbEEZZNS1_14partition_implILS5_1ELb0ES3_jN6thrust23THRUST_200600_302600_NS6detail15normal_iteratorINSA_10device_ptrIjEEEEPS6_NSA_18transform_iteratorI7is_evenIjESF_NSA_11use_defaultESK_EENS0_5tupleIJSF_SF_EEENSM_IJSG_SG_EEES6_PlJS6_EEE10hipError_tPvRmT3_T4_T5_T6_T7_T9_mT8_P12ihipStream_tbDpT10_ENKUlT_T0_E_clISt17integral_constantIbLb1EES19_EEDaS14_S15_EUlS14_E_NS1_11comp_targetILNS1_3genE9ELNS1_11target_archE1100ELNS1_3gpuE3ELNS1_3repE0EEENS1_30default_config_static_selectorELNS0_4arch9wavefront6targetE1EEEvT1_
	.p2align	8
	.type	_ZN7rocprim17ROCPRIM_400000_NS6detail17trampoline_kernelINS0_14default_configENS1_25partition_config_selectorILNS1_17partition_subalgoE1EjNS0_10empty_typeEbEEZZNS1_14partition_implILS5_1ELb0ES3_jN6thrust23THRUST_200600_302600_NS6detail15normal_iteratorINSA_10device_ptrIjEEEEPS6_NSA_18transform_iteratorI7is_evenIjESF_NSA_11use_defaultESK_EENS0_5tupleIJSF_SF_EEENSM_IJSG_SG_EEES6_PlJS6_EEE10hipError_tPvRmT3_T4_T5_T6_T7_T9_mT8_P12ihipStream_tbDpT10_ENKUlT_T0_E_clISt17integral_constantIbLb1EES19_EEDaS14_S15_EUlS14_E_NS1_11comp_targetILNS1_3genE9ELNS1_11target_archE1100ELNS1_3gpuE3ELNS1_3repE0EEENS1_30default_config_static_selectorELNS0_4arch9wavefront6targetE1EEEvT1_,@function
_ZN7rocprim17ROCPRIM_400000_NS6detail17trampoline_kernelINS0_14default_configENS1_25partition_config_selectorILNS1_17partition_subalgoE1EjNS0_10empty_typeEbEEZZNS1_14partition_implILS5_1ELb0ES3_jN6thrust23THRUST_200600_302600_NS6detail15normal_iteratorINSA_10device_ptrIjEEEEPS6_NSA_18transform_iteratorI7is_evenIjESF_NSA_11use_defaultESK_EENS0_5tupleIJSF_SF_EEENSM_IJSG_SG_EEES6_PlJS6_EEE10hipError_tPvRmT3_T4_T5_T6_T7_T9_mT8_P12ihipStream_tbDpT10_ENKUlT_T0_E_clISt17integral_constantIbLb1EES19_EEDaS14_S15_EUlS14_E_NS1_11comp_targetILNS1_3genE9ELNS1_11target_archE1100ELNS1_3gpuE3ELNS1_3repE0EEENS1_30default_config_static_selectorELNS0_4arch9wavefront6targetE1EEEvT1_: ; @_ZN7rocprim17ROCPRIM_400000_NS6detail17trampoline_kernelINS0_14default_configENS1_25partition_config_selectorILNS1_17partition_subalgoE1EjNS0_10empty_typeEbEEZZNS1_14partition_implILS5_1ELb0ES3_jN6thrust23THRUST_200600_302600_NS6detail15normal_iteratorINSA_10device_ptrIjEEEEPS6_NSA_18transform_iteratorI7is_evenIjESF_NSA_11use_defaultESK_EENS0_5tupleIJSF_SF_EEENSM_IJSG_SG_EEES6_PlJS6_EEE10hipError_tPvRmT3_T4_T5_T6_T7_T9_mT8_P12ihipStream_tbDpT10_ENKUlT_T0_E_clISt17integral_constantIbLb1EES19_EEDaS14_S15_EUlS14_E_NS1_11comp_targetILNS1_3genE9ELNS1_11target_archE1100ELNS1_3gpuE3ELNS1_3repE0EEENS1_30default_config_static_selectorELNS0_4arch9wavefront6targetE1EEEvT1_
; %bb.0:
	.section	.rodata,"a",@progbits
	.p2align	6, 0x0
	.amdhsa_kernel _ZN7rocprim17ROCPRIM_400000_NS6detail17trampoline_kernelINS0_14default_configENS1_25partition_config_selectorILNS1_17partition_subalgoE1EjNS0_10empty_typeEbEEZZNS1_14partition_implILS5_1ELb0ES3_jN6thrust23THRUST_200600_302600_NS6detail15normal_iteratorINSA_10device_ptrIjEEEEPS6_NSA_18transform_iteratorI7is_evenIjESF_NSA_11use_defaultESK_EENS0_5tupleIJSF_SF_EEENSM_IJSG_SG_EEES6_PlJS6_EEE10hipError_tPvRmT3_T4_T5_T6_T7_T9_mT8_P12ihipStream_tbDpT10_ENKUlT_T0_E_clISt17integral_constantIbLb1EES19_EEDaS14_S15_EUlS14_E_NS1_11comp_targetILNS1_3genE9ELNS1_11target_archE1100ELNS1_3gpuE3ELNS1_3repE0EEENS1_30default_config_static_selectorELNS0_4arch9wavefront6targetE1EEEvT1_
		.amdhsa_group_segment_fixed_size 0
		.amdhsa_private_segment_fixed_size 0
		.amdhsa_kernarg_size 144
		.amdhsa_user_sgpr_count 2
		.amdhsa_user_sgpr_dispatch_ptr 0
		.amdhsa_user_sgpr_queue_ptr 0
		.amdhsa_user_sgpr_kernarg_segment_ptr 1
		.amdhsa_user_sgpr_dispatch_id 0
		.amdhsa_user_sgpr_kernarg_preload_length 0
		.amdhsa_user_sgpr_kernarg_preload_offset 0
		.amdhsa_user_sgpr_private_segment_size 0
		.amdhsa_uses_dynamic_stack 0
		.amdhsa_enable_private_segment 0
		.amdhsa_system_sgpr_workgroup_id_x 1
		.amdhsa_system_sgpr_workgroup_id_y 0
		.amdhsa_system_sgpr_workgroup_id_z 0
		.amdhsa_system_sgpr_workgroup_info 0
		.amdhsa_system_vgpr_workitem_id 0
		.amdhsa_next_free_vgpr 1
		.amdhsa_next_free_sgpr 0
		.amdhsa_accum_offset 4
		.amdhsa_reserve_vcc 0
		.amdhsa_float_round_mode_32 0
		.amdhsa_float_round_mode_16_64 0
		.amdhsa_float_denorm_mode_32 3
		.amdhsa_float_denorm_mode_16_64 3
		.amdhsa_dx10_clamp 1
		.amdhsa_ieee_mode 1
		.amdhsa_fp16_overflow 0
		.amdhsa_tg_split 0
		.amdhsa_exception_fp_ieee_invalid_op 0
		.amdhsa_exception_fp_denorm_src 0
		.amdhsa_exception_fp_ieee_div_zero 0
		.amdhsa_exception_fp_ieee_overflow 0
		.amdhsa_exception_fp_ieee_underflow 0
		.amdhsa_exception_fp_ieee_inexact 0
		.amdhsa_exception_int_div_zero 0
	.end_amdhsa_kernel
	.section	.text._ZN7rocprim17ROCPRIM_400000_NS6detail17trampoline_kernelINS0_14default_configENS1_25partition_config_selectorILNS1_17partition_subalgoE1EjNS0_10empty_typeEbEEZZNS1_14partition_implILS5_1ELb0ES3_jN6thrust23THRUST_200600_302600_NS6detail15normal_iteratorINSA_10device_ptrIjEEEEPS6_NSA_18transform_iteratorI7is_evenIjESF_NSA_11use_defaultESK_EENS0_5tupleIJSF_SF_EEENSM_IJSG_SG_EEES6_PlJS6_EEE10hipError_tPvRmT3_T4_T5_T6_T7_T9_mT8_P12ihipStream_tbDpT10_ENKUlT_T0_E_clISt17integral_constantIbLb1EES19_EEDaS14_S15_EUlS14_E_NS1_11comp_targetILNS1_3genE9ELNS1_11target_archE1100ELNS1_3gpuE3ELNS1_3repE0EEENS1_30default_config_static_selectorELNS0_4arch9wavefront6targetE1EEEvT1_,"axG",@progbits,_ZN7rocprim17ROCPRIM_400000_NS6detail17trampoline_kernelINS0_14default_configENS1_25partition_config_selectorILNS1_17partition_subalgoE1EjNS0_10empty_typeEbEEZZNS1_14partition_implILS5_1ELb0ES3_jN6thrust23THRUST_200600_302600_NS6detail15normal_iteratorINSA_10device_ptrIjEEEEPS6_NSA_18transform_iteratorI7is_evenIjESF_NSA_11use_defaultESK_EENS0_5tupleIJSF_SF_EEENSM_IJSG_SG_EEES6_PlJS6_EEE10hipError_tPvRmT3_T4_T5_T6_T7_T9_mT8_P12ihipStream_tbDpT10_ENKUlT_T0_E_clISt17integral_constantIbLb1EES19_EEDaS14_S15_EUlS14_E_NS1_11comp_targetILNS1_3genE9ELNS1_11target_archE1100ELNS1_3gpuE3ELNS1_3repE0EEENS1_30default_config_static_selectorELNS0_4arch9wavefront6targetE1EEEvT1_,comdat
.Lfunc_end2249:
	.size	_ZN7rocprim17ROCPRIM_400000_NS6detail17trampoline_kernelINS0_14default_configENS1_25partition_config_selectorILNS1_17partition_subalgoE1EjNS0_10empty_typeEbEEZZNS1_14partition_implILS5_1ELb0ES3_jN6thrust23THRUST_200600_302600_NS6detail15normal_iteratorINSA_10device_ptrIjEEEEPS6_NSA_18transform_iteratorI7is_evenIjESF_NSA_11use_defaultESK_EENS0_5tupleIJSF_SF_EEENSM_IJSG_SG_EEES6_PlJS6_EEE10hipError_tPvRmT3_T4_T5_T6_T7_T9_mT8_P12ihipStream_tbDpT10_ENKUlT_T0_E_clISt17integral_constantIbLb1EES19_EEDaS14_S15_EUlS14_E_NS1_11comp_targetILNS1_3genE9ELNS1_11target_archE1100ELNS1_3gpuE3ELNS1_3repE0EEENS1_30default_config_static_selectorELNS0_4arch9wavefront6targetE1EEEvT1_, .Lfunc_end2249-_ZN7rocprim17ROCPRIM_400000_NS6detail17trampoline_kernelINS0_14default_configENS1_25partition_config_selectorILNS1_17partition_subalgoE1EjNS0_10empty_typeEbEEZZNS1_14partition_implILS5_1ELb0ES3_jN6thrust23THRUST_200600_302600_NS6detail15normal_iteratorINSA_10device_ptrIjEEEEPS6_NSA_18transform_iteratorI7is_evenIjESF_NSA_11use_defaultESK_EENS0_5tupleIJSF_SF_EEENSM_IJSG_SG_EEES6_PlJS6_EEE10hipError_tPvRmT3_T4_T5_T6_T7_T9_mT8_P12ihipStream_tbDpT10_ENKUlT_T0_E_clISt17integral_constantIbLb1EES19_EEDaS14_S15_EUlS14_E_NS1_11comp_targetILNS1_3genE9ELNS1_11target_archE1100ELNS1_3gpuE3ELNS1_3repE0EEENS1_30default_config_static_selectorELNS0_4arch9wavefront6targetE1EEEvT1_
                                        ; -- End function
	.section	.AMDGPU.csdata,"",@progbits
; Kernel info:
; codeLenInByte = 0
; NumSgprs: 6
; NumVgprs: 0
; NumAgprs: 0
; TotalNumVgprs: 0
; ScratchSize: 0
; MemoryBound: 0
; FloatMode: 240
; IeeeMode: 1
; LDSByteSize: 0 bytes/workgroup (compile time only)
; SGPRBlocks: 0
; VGPRBlocks: 0
; NumSGPRsForWavesPerEU: 6
; NumVGPRsForWavesPerEU: 1
; AccumOffset: 4
; Occupancy: 8
; WaveLimiterHint : 0
; COMPUTE_PGM_RSRC2:SCRATCH_EN: 0
; COMPUTE_PGM_RSRC2:USER_SGPR: 2
; COMPUTE_PGM_RSRC2:TRAP_HANDLER: 0
; COMPUTE_PGM_RSRC2:TGID_X_EN: 1
; COMPUTE_PGM_RSRC2:TGID_Y_EN: 0
; COMPUTE_PGM_RSRC2:TGID_Z_EN: 0
; COMPUTE_PGM_RSRC2:TIDIG_COMP_CNT: 0
; COMPUTE_PGM_RSRC3_GFX90A:ACCUM_OFFSET: 0
; COMPUTE_PGM_RSRC3_GFX90A:TG_SPLIT: 0
	.section	.text._ZN7rocprim17ROCPRIM_400000_NS6detail17trampoline_kernelINS0_14default_configENS1_25partition_config_selectorILNS1_17partition_subalgoE1EjNS0_10empty_typeEbEEZZNS1_14partition_implILS5_1ELb0ES3_jN6thrust23THRUST_200600_302600_NS6detail15normal_iteratorINSA_10device_ptrIjEEEEPS6_NSA_18transform_iteratorI7is_evenIjESF_NSA_11use_defaultESK_EENS0_5tupleIJSF_SF_EEENSM_IJSG_SG_EEES6_PlJS6_EEE10hipError_tPvRmT3_T4_T5_T6_T7_T9_mT8_P12ihipStream_tbDpT10_ENKUlT_T0_E_clISt17integral_constantIbLb1EES19_EEDaS14_S15_EUlS14_E_NS1_11comp_targetILNS1_3genE8ELNS1_11target_archE1030ELNS1_3gpuE2ELNS1_3repE0EEENS1_30default_config_static_selectorELNS0_4arch9wavefront6targetE1EEEvT1_,"axG",@progbits,_ZN7rocprim17ROCPRIM_400000_NS6detail17trampoline_kernelINS0_14default_configENS1_25partition_config_selectorILNS1_17partition_subalgoE1EjNS0_10empty_typeEbEEZZNS1_14partition_implILS5_1ELb0ES3_jN6thrust23THRUST_200600_302600_NS6detail15normal_iteratorINSA_10device_ptrIjEEEEPS6_NSA_18transform_iteratorI7is_evenIjESF_NSA_11use_defaultESK_EENS0_5tupleIJSF_SF_EEENSM_IJSG_SG_EEES6_PlJS6_EEE10hipError_tPvRmT3_T4_T5_T6_T7_T9_mT8_P12ihipStream_tbDpT10_ENKUlT_T0_E_clISt17integral_constantIbLb1EES19_EEDaS14_S15_EUlS14_E_NS1_11comp_targetILNS1_3genE8ELNS1_11target_archE1030ELNS1_3gpuE2ELNS1_3repE0EEENS1_30default_config_static_selectorELNS0_4arch9wavefront6targetE1EEEvT1_,comdat
	.protected	_ZN7rocprim17ROCPRIM_400000_NS6detail17trampoline_kernelINS0_14default_configENS1_25partition_config_selectorILNS1_17partition_subalgoE1EjNS0_10empty_typeEbEEZZNS1_14partition_implILS5_1ELb0ES3_jN6thrust23THRUST_200600_302600_NS6detail15normal_iteratorINSA_10device_ptrIjEEEEPS6_NSA_18transform_iteratorI7is_evenIjESF_NSA_11use_defaultESK_EENS0_5tupleIJSF_SF_EEENSM_IJSG_SG_EEES6_PlJS6_EEE10hipError_tPvRmT3_T4_T5_T6_T7_T9_mT8_P12ihipStream_tbDpT10_ENKUlT_T0_E_clISt17integral_constantIbLb1EES19_EEDaS14_S15_EUlS14_E_NS1_11comp_targetILNS1_3genE8ELNS1_11target_archE1030ELNS1_3gpuE2ELNS1_3repE0EEENS1_30default_config_static_selectorELNS0_4arch9wavefront6targetE1EEEvT1_ ; -- Begin function _ZN7rocprim17ROCPRIM_400000_NS6detail17trampoline_kernelINS0_14default_configENS1_25partition_config_selectorILNS1_17partition_subalgoE1EjNS0_10empty_typeEbEEZZNS1_14partition_implILS5_1ELb0ES3_jN6thrust23THRUST_200600_302600_NS6detail15normal_iteratorINSA_10device_ptrIjEEEEPS6_NSA_18transform_iteratorI7is_evenIjESF_NSA_11use_defaultESK_EENS0_5tupleIJSF_SF_EEENSM_IJSG_SG_EEES6_PlJS6_EEE10hipError_tPvRmT3_T4_T5_T6_T7_T9_mT8_P12ihipStream_tbDpT10_ENKUlT_T0_E_clISt17integral_constantIbLb1EES19_EEDaS14_S15_EUlS14_E_NS1_11comp_targetILNS1_3genE8ELNS1_11target_archE1030ELNS1_3gpuE2ELNS1_3repE0EEENS1_30default_config_static_selectorELNS0_4arch9wavefront6targetE1EEEvT1_
	.globl	_ZN7rocprim17ROCPRIM_400000_NS6detail17trampoline_kernelINS0_14default_configENS1_25partition_config_selectorILNS1_17partition_subalgoE1EjNS0_10empty_typeEbEEZZNS1_14partition_implILS5_1ELb0ES3_jN6thrust23THRUST_200600_302600_NS6detail15normal_iteratorINSA_10device_ptrIjEEEEPS6_NSA_18transform_iteratorI7is_evenIjESF_NSA_11use_defaultESK_EENS0_5tupleIJSF_SF_EEENSM_IJSG_SG_EEES6_PlJS6_EEE10hipError_tPvRmT3_T4_T5_T6_T7_T9_mT8_P12ihipStream_tbDpT10_ENKUlT_T0_E_clISt17integral_constantIbLb1EES19_EEDaS14_S15_EUlS14_E_NS1_11comp_targetILNS1_3genE8ELNS1_11target_archE1030ELNS1_3gpuE2ELNS1_3repE0EEENS1_30default_config_static_selectorELNS0_4arch9wavefront6targetE1EEEvT1_
	.p2align	8
	.type	_ZN7rocprim17ROCPRIM_400000_NS6detail17trampoline_kernelINS0_14default_configENS1_25partition_config_selectorILNS1_17partition_subalgoE1EjNS0_10empty_typeEbEEZZNS1_14partition_implILS5_1ELb0ES3_jN6thrust23THRUST_200600_302600_NS6detail15normal_iteratorINSA_10device_ptrIjEEEEPS6_NSA_18transform_iteratorI7is_evenIjESF_NSA_11use_defaultESK_EENS0_5tupleIJSF_SF_EEENSM_IJSG_SG_EEES6_PlJS6_EEE10hipError_tPvRmT3_T4_T5_T6_T7_T9_mT8_P12ihipStream_tbDpT10_ENKUlT_T0_E_clISt17integral_constantIbLb1EES19_EEDaS14_S15_EUlS14_E_NS1_11comp_targetILNS1_3genE8ELNS1_11target_archE1030ELNS1_3gpuE2ELNS1_3repE0EEENS1_30default_config_static_selectorELNS0_4arch9wavefront6targetE1EEEvT1_,@function
_ZN7rocprim17ROCPRIM_400000_NS6detail17trampoline_kernelINS0_14default_configENS1_25partition_config_selectorILNS1_17partition_subalgoE1EjNS0_10empty_typeEbEEZZNS1_14partition_implILS5_1ELb0ES3_jN6thrust23THRUST_200600_302600_NS6detail15normal_iteratorINSA_10device_ptrIjEEEEPS6_NSA_18transform_iteratorI7is_evenIjESF_NSA_11use_defaultESK_EENS0_5tupleIJSF_SF_EEENSM_IJSG_SG_EEES6_PlJS6_EEE10hipError_tPvRmT3_T4_T5_T6_T7_T9_mT8_P12ihipStream_tbDpT10_ENKUlT_T0_E_clISt17integral_constantIbLb1EES19_EEDaS14_S15_EUlS14_E_NS1_11comp_targetILNS1_3genE8ELNS1_11target_archE1030ELNS1_3gpuE2ELNS1_3repE0EEENS1_30default_config_static_selectorELNS0_4arch9wavefront6targetE1EEEvT1_: ; @_ZN7rocprim17ROCPRIM_400000_NS6detail17trampoline_kernelINS0_14default_configENS1_25partition_config_selectorILNS1_17partition_subalgoE1EjNS0_10empty_typeEbEEZZNS1_14partition_implILS5_1ELb0ES3_jN6thrust23THRUST_200600_302600_NS6detail15normal_iteratorINSA_10device_ptrIjEEEEPS6_NSA_18transform_iteratorI7is_evenIjESF_NSA_11use_defaultESK_EENS0_5tupleIJSF_SF_EEENSM_IJSG_SG_EEES6_PlJS6_EEE10hipError_tPvRmT3_T4_T5_T6_T7_T9_mT8_P12ihipStream_tbDpT10_ENKUlT_T0_E_clISt17integral_constantIbLb1EES19_EEDaS14_S15_EUlS14_E_NS1_11comp_targetILNS1_3genE8ELNS1_11target_archE1030ELNS1_3gpuE2ELNS1_3repE0EEENS1_30default_config_static_selectorELNS0_4arch9wavefront6targetE1EEEvT1_
; %bb.0:
	.section	.rodata,"a",@progbits
	.p2align	6, 0x0
	.amdhsa_kernel _ZN7rocprim17ROCPRIM_400000_NS6detail17trampoline_kernelINS0_14default_configENS1_25partition_config_selectorILNS1_17partition_subalgoE1EjNS0_10empty_typeEbEEZZNS1_14partition_implILS5_1ELb0ES3_jN6thrust23THRUST_200600_302600_NS6detail15normal_iteratorINSA_10device_ptrIjEEEEPS6_NSA_18transform_iteratorI7is_evenIjESF_NSA_11use_defaultESK_EENS0_5tupleIJSF_SF_EEENSM_IJSG_SG_EEES6_PlJS6_EEE10hipError_tPvRmT3_T4_T5_T6_T7_T9_mT8_P12ihipStream_tbDpT10_ENKUlT_T0_E_clISt17integral_constantIbLb1EES19_EEDaS14_S15_EUlS14_E_NS1_11comp_targetILNS1_3genE8ELNS1_11target_archE1030ELNS1_3gpuE2ELNS1_3repE0EEENS1_30default_config_static_selectorELNS0_4arch9wavefront6targetE1EEEvT1_
		.amdhsa_group_segment_fixed_size 0
		.amdhsa_private_segment_fixed_size 0
		.amdhsa_kernarg_size 144
		.amdhsa_user_sgpr_count 2
		.amdhsa_user_sgpr_dispatch_ptr 0
		.amdhsa_user_sgpr_queue_ptr 0
		.amdhsa_user_sgpr_kernarg_segment_ptr 1
		.amdhsa_user_sgpr_dispatch_id 0
		.amdhsa_user_sgpr_kernarg_preload_length 0
		.amdhsa_user_sgpr_kernarg_preload_offset 0
		.amdhsa_user_sgpr_private_segment_size 0
		.amdhsa_uses_dynamic_stack 0
		.amdhsa_enable_private_segment 0
		.amdhsa_system_sgpr_workgroup_id_x 1
		.amdhsa_system_sgpr_workgroup_id_y 0
		.amdhsa_system_sgpr_workgroup_id_z 0
		.amdhsa_system_sgpr_workgroup_info 0
		.amdhsa_system_vgpr_workitem_id 0
		.amdhsa_next_free_vgpr 1
		.amdhsa_next_free_sgpr 0
		.amdhsa_accum_offset 4
		.amdhsa_reserve_vcc 0
		.amdhsa_float_round_mode_32 0
		.amdhsa_float_round_mode_16_64 0
		.amdhsa_float_denorm_mode_32 3
		.amdhsa_float_denorm_mode_16_64 3
		.amdhsa_dx10_clamp 1
		.amdhsa_ieee_mode 1
		.amdhsa_fp16_overflow 0
		.amdhsa_tg_split 0
		.amdhsa_exception_fp_ieee_invalid_op 0
		.amdhsa_exception_fp_denorm_src 0
		.amdhsa_exception_fp_ieee_div_zero 0
		.amdhsa_exception_fp_ieee_overflow 0
		.amdhsa_exception_fp_ieee_underflow 0
		.amdhsa_exception_fp_ieee_inexact 0
		.amdhsa_exception_int_div_zero 0
	.end_amdhsa_kernel
	.section	.text._ZN7rocprim17ROCPRIM_400000_NS6detail17trampoline_kernelINS0_14default_configENS1_25partition_config_selectorILNS1_17partition_subalgoE1EjNS0_10empty_typeEbEEZZNS1_14partition_implILS5_1ELb0ES3_jN6thrust23THRUST_200600_302600_NS6detail15normal_iteratorINSA_10device_ptrIjEEEEPS6_NSA_18transform_iteratorI7is_evenIjESF_NSA_11use_defaultESK_EENS0_5tupleIJSF_SF_EEENSM_IJSG_SG_EEES6_PlJS6_EEE10hipError_tPvRmT3_T4_T5_T6_T7_T9_mT8_P12ihipStream_tbDpT10_ENKUlT_T0_E_clISt17integral_constantIbLb1EES19_EEDaS14_S15_EUlS14_E_NS1_11comp_targetILNS1_3genE8ELNS1_11target_archE1030ELNS1_3gpuE2ELNS1_3repE0EEENS1_30default_config_static_selectorELNS0_4arch9wavefront6targetE1EEEvT1_,"axG",@progbits,_ZN7rocprim17ROCPRIM_400000_NS6detail17trampoline_kernelINS0_14default_configENS1_25partition_config_selectorILNS1_17partition_subalgoE1EjNS0_10empty_typeEbEEZZNS1_14partition_implILS5_1ELb0ES3_jN6thrust23THRUST_200600_302600_NS6detail15normal_iteratorINSA_10device_ptrIjEEEEPS6_NSA_18transform_iteratorI7is_evenIjESF_NSA_11use_defaultESK_EENS0_5tupleIJSF_SF_EEENSM_IJSG_SG_EEES6_PlJS6_EEE10hipError_tPvRmT3_T4_T5_T6_T7_T9_mT8_P12ihipStream_tbDpT10_ENKUlT_T0_E_clISt17integral_constantIbLb1EES19_EEDaS14_S15_EUlS14_E_NS1_11comp_targetILNS1_3genE8ELNS1_11target_archE1030ELNS1_3gpuE2ELNS1_3repE0EEENS1_30default_config_static_selectorELNS0_4arch9wavefront6targetE1EEEvT1_,comdat
.Lfunc_end2250:
	.size	_ZN7rocprim17ROCPRIM_400000_NS6detail17trampoline_kernelINS0_14default_configENS1_25partition_config_selectorILNS1_17partition_subalgoE1EjNS0_10empty_typeEbEEZZNS1_14partition_implILS5_1ELb0ES3_jN6thrust23THRUST_200600_302600_NS6detail15normal_iteratorINSA_10device_ptrIjEEEEPS6_NSA_18transform_iteratorI7is_evenIjESF_NSA_11use_defaultESK_EENS0_5tupleIJSF_SF_EEENSM_IJSG_SG_EEES6_PlJS6_EEE10hipError_tPvRmT3_T4_T5_T6_T7_T9_mT8_P12ihipStream_tbDpT10_ENKUlT_T0_E_clISt17integral_constantIbLb1EES19_EEDaS14_S15_EUlS14_E_NS1_11comp_targetILNS1_3genE8ELNS1_11target_archE1030ELNS1_3gpuE2ELNS1_3repE0EEENS1_30default_config_static_selectorELNS0_4arch9wavefront6targetE1EEEvT1_, .Lfunc_end2250-_ZN7rocprim17ROCPRIM_400000_NS6detail17trampoline_kernelINS0_14default_configENS1_25partition_config_selectorILNS1_17partition_subalgoE1EjNS0_10empty_typeEbEEZZNS1_14partition_implILS5_1ELb0ES3_jN6thrust23THRUST_200600_302600_NS6detail15normal_iteratorINSA_10device_ptrIjEEEEPS6_NSA_18transform_iteratorI7is_evenIjESF_NSA_11use_defaultESK_EENS0_5tupleIJSF_SF_EEENSM_IJSG_SG_EEES6_PlJS6_EEE10hipError_tPvRmT3_T4_T5_T6_T7_T9_mT8_P12ihipStream_tbDpT10_ENKUlT_T0_E_clISt17integral_constantIbLb1EES19_EEDaS14_S15_EUlS14_E_NS1_11comp_targetILNS1_3genE8ELNS1_11target_archE1030ELNS1_3gpuE2ELNS1_3repE0EEENS1_30default_config_static_selectorELNS0_4arch9wavefront6targetE1EEEvT1_
                                        ; -- End function
	.section	.AMDGPU.csdata,"",@progbits
; Kernel info:
; codeLenInByte = 0
; NumSgprs: 6
; NumVgprs: 0
; NumAgprs: 0
; TotalNumVgprs: 0
; ScratchSize: 0
; MemoryBound: 0
; FloatMode: 240
; IeeeMode: 1
; LDSByteSize: 0 bytes/workgroup (compile time only)
; SGPRBlocks: 0
; VGPRBlocks: 0
; NumSGPRsForWavesPerEU: 6
; NumVGPRsForWavesPerEU: 1
; AccumOffset: 4
; Occupancy: 8
; WaveLimiterHint : 0
; COMPUTE_PGM_RSRC2:SCRATCH_EN: 0
; COMPUTE_PGM_RSRC2:USER_SGPR: 2
; COMPUTE_PGM_RSRC2:TRAP_HANDLER: 0
; COMPUTE_PGM_RSRC2:TGID_X_EN: 1
; COMPUTE_PGM_RSRC2:TGID_Y_EN: 0
; COMPUTE_PGM_RSRC2:TGID_Z_EN: 0
; COMPUTE_PGM_RSRC2:TIDIG_COMP_CNT: 0
; COMPUTE_PGM_RSRC3_GFX90A:ACCUM_OFFSET: 0
; COMPUTE_PGM_RSRC3_GFX90A:TG_SPLIT: 0
	.section	.text._ZN7rocprim17ROCPRIM_400000_NS6detail17trampoline_kernelINS0_14default_configENS1_25partition_config_selectorILNS1_17partition_subalgoE1EjNS0_10empty_typeEbEEZZNS1_14partition_implILS5_1ELb0ES3_jN6thrust23THRUST_200600_302600_NS6detail15normal_iteratorINSA_10device_ptrIjEEEEPS6_NSA_18transform_iteratorI7is_evenIjESF_NSA_11use_defaultESK_EENS0_5tupleIJSF_SF_EEENSM_IJSG_SG_EEES6_PlJS6_EEE10hipError_tPvRmT3_T4_T5_T6_T7_T9_mT8_P12ihipStream_tbDpT10_ENKUlT_T0_E_clISt17integral_constantIbLb1EES18_IbLb0EEEEDaS14_S15_EUlS14_E_NS1_11comp_targetILNS1_3genE0ELNS1_11target_archE4294967295ELNS1_3gpuE0ELNS1_3repE0EEENS1_30default_config_static_selectorELNS0_4arch9wavefront6targetE1EEEvT1_,"axG",@progbits,_ZN7rocprim17ROCPRIM_400000_NS6detail17trampoline_kernelINS0_14default_configENS1_25partition_config_selectorILNS1_17partition_subalgoE1EjNS0_10empty_typeEbEEZZNS1_14partition_implILS5_1ELb0ES3_jN6thrust23THRUST_200600_302600_NS6detail15normal_iteratorINSA_10device_ptrIjEEEEPS6_NSA_18transform_iteratorI7is_evenIjESF_NSA_11use_defaultESK_EENS0_5tupleIJSF_SF_EEENSM_IJSG_SG_EEES6_PlJS6_EEE10hipError_tPvRmT3_T4_T5_T6_T7_T9_mT8_P12ihipStream_tbDpT10_ENKUlT_T0_E_clISt17integral_constantIbLb1EES18_IbLb0EEEEDaS14_S15_EUlS14_E_NS1_11comp_targetILNS1_3genE0ELNS1_11target_archE4294967295ELNS1_3gpuE0ELNS1_3repE0EEENS1_30default_config_static_selectorELNS0_4arch9wavefront6targetE1EEEvT1_,comdat
	.protected	_ZN7rocprim17ROCPRIM_400000_NS6detail17trampoline_kernelINS0_14default_configENS1_25partition_config_selectorILNS1_17partition_subalgoE1EjNS0_10empty_typeEbEEZZNS1_14partition_implILS5_1ELb0ES3_jN6thrust23THRUST_200600_302600_NS6detail15normal_iteratorINSA_10device_ptrIjEEEEPS6_NSA_18transform_iteratorI7is_evenIjESF_NSA_11use_defaultESK_EENS0_5tupleIJSF_SF_EEENSM_IJSG_SG_EEES6_PlJS6_EEE10hipError_tPvRmT3_T4_T5_T6_T7_T9_mT8_P12ihipStream_tbDpT10_ENKUlT_T0_E_clISt17integral_constantIbLb1EES18_IbLb0EEEEDaS14_S15_EUlS14_E_NS1_11comp_targetILNS1_3genE0ELNS1_11target_archE4294967295ELNS1_3gpuE0ELNS1_3repE0EEENS1_30default_config_static_selectorELNS0_4arch9wavefront6targetE1EEEvT1_ ; -- Begin function _ZN7rocprim17ROCPRIM_400000_NS6detail17trampoline_kernelINS0_14default_configENS1_25partition_config_selectorILNS1_17partition_subalgoE1EjNS0_10empty_typeEbEEZZNS1_14partition_implILS5_1ELb0ES3_jN6thrust23THRUST_200600_302600_NS6detail15normal_iteratorINSA_10device_ptrIjEEEEPS6_NSA_18transform_iteratorI7is_evenIjESF_NSA_11use_defaultESK_EENS0_5tupleIJSF_SF_EEENSM_IJSG_SG_EEES6_PlJS6_EEE10hipError_tPvRmT3_T4_T5_T6_T7_T9_mT8_P12ihipStream_tbDpT10_ENKUlT_T0_E_clISt17integral_constantIbLb1EES18_IbLb0EEEEDaS14_S15_EUlS14_E_NS1_11comp_targetILNS1_3genE0ELNS1_11target_archE4294967295ELNS1_3gpuE0ELNS1_3repE0EEENS1_30default_config_static_selectorELNS0_4arch9wavefront6targetE1EEEvT1_
	.globl	_ZN7rocprim17ROCPRIM_400000_NS6detail17trampoline_kernelINS0_14default_configENS1_25partition_config_selectorILNS1_17partition_subalgoE1EjNS0_10empty_typeEbEEZZNS1_14partition_implILS5_1ELb0ES3_jN6thrust23THRUST_200600_302600_NS6detail15normal_iteratorINSA_10device_ptrIjEEEEPS6_NSA_18transform_iteratorI7is_evenIjESF_NSA_11use_defaultESK_EENS0_5tupleIJSF_SF_EEENSM_IJSG_SG_EEES6_PlJS6_EEE10hipError_tPvRmT3_T4_T5_T6_T7_T9_mT8_P12ihipStream_tbDpT10_ENKUlT_T0_E_clISt17integral_constantIbLb1EES18_IbLb0EEEEDaS14_S15_EUlS14_E_NS1_11comp_targetILNS1_3genE0ELNS1_11target_archE4294967295ELNS1_3gpuE0ELNS1_3repE0EEENS1_30default_config_static_selectorELNS0_4arch9wavefront6targetE1EEEvT1_
	.p2align	8
	.type	_ZN7rocprim17ROCPRIM_400000_NS6detail17trampoline_kernelINS0_14default_configENS1_25partition_config_selectorILNS1_17partition_subalgoE1EjNS0_10empty_typeEbEEZZNS1_14partition_implILS5_1ELb0ES3_jN6thrust23THRUST_200600_302600_NS6detail15normal_iteratorINSA_10device_ptrIjEEEEPS6_NSA_18transform_iteratorI7is_evenIjESF_NSA_11use_defaultESK_EENS0_5tupleIJSF_SF_EEENSM_IJSG_SG_EEES6_PlJS6_EEE10hipError_tPvRmT3_T4_T5_T6_T7_T9_mT8_P12ihipStream_tbDpT10_ENKUlT_T0_E_clISt17integral_constantIbLb1EES18_IbLb0EEEEDaS14_S15_EUlS14_E_NS1_11comp_targetILNS1_3genE0ELNS1_11target_archE4294967295ELNS1_3gpuE0ELNS1_3repE0EEENS1_30default_config_static_selectorELNS0_4arch9wavefront6targetE1EEEvT1_,@function
_ZN7rocprim17ROCPRIM_400000_NS6detail17trampoline_kernelINS0_14default_configENS1_25partition_config_selectorILNS1_17partition_subalgoE1EjNS0_10empty_typeEbEEZZNS1_14partition_implILS5_1ELb0ES3_jN6thrust23THRUST_200600_302600_NS6detail15normal_iteratorINSA_10device_ptrIjEEEEPS6_NSA_18transform_iteratorI7is_evenIjESF_NSA_11use_defaultESK_EENS0_5tupleIJSF_SF_EEENSM_IJSG_SG_EEES6_PlJS6_EEE10hipError_tPvRmT3_T4_T5_T6_T7_T9_mT8_P12ihipStream_tbDpT10_ENKUlT_T0_E_clISt17integral_constantIbLb1EES18_IbLb0EEEEDaS14_S15_EUlS14_E_NS1_11comp_targetILNS1_3genE0ELNS1_11target_archE4294967295ELNS1_3gpuE0ELNS1_3repE0EEENS1_30default_config_static_selectorELNS0_4arch9wavefront6targetE1EEEvT1_: ; @_ZN7rocprim17ROCPRIM_400000_NS6detail17trampoline_kernelINS0_14default_configENS1_25partition_config_selectorILNS1_17partition_subalgoE1EjNS0_10empty_typeEbEEZZNS1_14partition_implILS5_1ELb0ES3_jN6thrust23THRUST_200600_302600_NS6detail15normal_iteratorINSA_10device_ptrIjEEEEPS6_NSA_18transform_iteratorI7is_evenIjESF_NSA_11use_defaultESK_EENS0_5tupleIJSF_SF_EEENSM_IJSG_SG_EEES6_PlJS6_EEE10hipError_tPvRmT3_T4_T5_T6_T7_T9_mT8_P12ihipStream_tbDpT10_ENKUlT_T0_E_clISt17integral_constantIbLb1EES18_IbLb0EEEEDaS14_S15_EUlS14_E_NS1_11comp_targetILNS1_3genE0ELNS1_11target_archE4294967295ELNS1_3gpuE0ELNS1_3repE0EEENS1_30default_config_static_selectorELNS0_4arch9wavefront6targetE1EEEvT1_
; %bb.0:
	.section	.rodata,"a",@progbits
	.p2align	6, 0x0
	.amdhsa_kernel _ZN7rocprim17ROCPRIM_400000_NS6detail17trampoline_kernelINS0_14default_configENS1_25partition_config_selectorILNS1_17partition_subalgoE1EjNS0_10empty_typeEbEEZZNS1_14partition_implILS5_1ELb0ES3_jN6thrust23THRUST_200600_302600_NS6detail15normal_iteratorINSA_10device_ptrIjEEEEPS6_NSA_18transform_iteratorI7is_evenIjESF_NSA_11use_defaultESK_EENS0_5tupleIJSF_SF_EEENSM_IJSG_SG_EEES6_PlJS6_EEE10hipError_tPvRmT3_T4_T5_T6_T7_T9_mT8_P12ihipStream_tbDpT10_ENKUlT_T0_E_clISt17integral_constantIbLb1EES18_IbLb0EEEEDaS14_S15_EUlS14_E_NS1_11comp_targetILNS1_3genE0ELNS1_11target_archE4294967295ELNS1_3gpuE0ELNS1_3repE0EEENS1_30default_config_static_selectorELNS0_4arch9wavefront6targetE1EEEvT1_
		.amdhsa_group_segment_fixed_size 0
		.amdhsa_private_segment_fixed_size 0
		.amdhsa_kernarg_size 128
		.amdhsa_user_sgpr_count 2
		.amdhsa_user_sgpr_dispatch_ptr 0
		.amdhsa_user_sgpr_queue_ptr 0
		.amdhsa_user_sgpr_kernarg_segment_ptr 1
		.amdhsa_user_sgpr_dispatch_id 0
		.amdhsa_user_sgpr_kernarg_preload_length 0
		.amdhsa_user_sgpr_kernarg_preload_offset 0
		.amdhsa_user_sgpr_private_segment_size 0
		.amdhsa_uses_dynamic_stack 0
		.amdhsa_enable_private_segment 0
		.amdhsa_system_sgpr_workgroup_id_x 1
		.amdhsa_system_sgpr_workgroup_id_y 0
		.amdhsa_system_sgpr_workgroup_id_z 0
		.amdhsa_system_sgpr_workgroup_info 0
		.amdhsa_system_vgpr_workitem_id 0
		.amdhsa_next_free_vgpr 1
		.amdhsa_next_free_sgpr 0
		.amdhsa_accum_offset 4
		.amdhsa_reserve_vcc 0
		.amdhsa_float_round_mode_32 0
		.amdhsa_float_round_mode_16_64 0
		.amdhsa_float_denorm_mode_32 3
		.amdhsa_float_denorm_mode_16_64 3
		.amdhsa_dx10_clamp 1
		.amdhsa_ieee_mode 1
		.amdhsa_fp16_overflow 0
		.amdhsa_tg_split 0
		.amdhsa_exception_fp_ieee_invalid_op 0
		.amdhsa_exception_fp_denorm_src 0
		.amdhsa_exception_fp_ieee_div_zero 0
		.amdhsa_exception_fp_ieee_overflow 0
		.amdhsa_exception_fp_ieee_underflow 0
		.amdhsa_exception_fp_ieee_inexact 0
		.amdhsa_exception_int_div_zero 0
	.end_amdhsa_kernel
	.section	.text._ZN7rocprim17ROCPRIM_400000_NS6detail17trampoline_kernelINS0_14default_configENS1_25partition_config_selectorILNS1_17partition_subalgoE1EjNS0_10empty_typeEbEEZZNS1_14partition_implILS5_1ELb0ES3_jN6thrust23THRUST_200600_302600_NS6detail15normal_iteratorINSA_10device_ptrIjEEEEPS6_NSA_18transform_iteratorI7is_evenIjESF_NSA_11use_defaultESK_EENS0_5tupleIJSF_SF_EEENSM_IJSG_SG_EEES6_PlJS6_EEE10hipError_tPvRmT3_T4_T5_T6_T7_T9_mT8_P12ihipStream_tbDpT10_ENKUlT_T0_E_clISt17integral_constantIbLb1EES18_IbLb0EEEEDaS14_S15_EUlS14_E_NS1_11comp_targetILNS1_3genE0ELNS1_11target_archE4294967295ELNS1_3gpuE0ELNS1_3repE0EEENS1_30default_config_static_selectorELNS0_4arch9wavefront6targetE1EEEvT1_,"axG",@progbits,_ZN7rocprim17ROCPRIM_400000_NS6detail17trampoline_kernelINS0_14default_configENS1_25partition_config_selectorILNS1_17partition_subalgoE1EjNS0_10empty_typeEbEEZZNS1_14partition_implILS5_1ELb0ES3_jN6thrust23THRUST_200600_302600_NS6detail15normal_iteratorINSA_10device_ptrIjEEEEPS6_NSA_18transform_iteratorI7is_evenIjESF_NSA_11use_defaultESK_EENS0_5tupleIJSF_SF_EEENSM_IJSG_SG_EEES6_PlJS6_EEE10hipError_tPvRmT3_T4_T5_T6_T7_T9_mT8_P12ihipStream_tbDpT10_ENKUlT_T0_E_clISt17integral_constantIbLb1EES18_IbLb0EEEEDaS14_S15_EUlS14_E_NS1_11comp_targetILNS1_3genE0ELNS1_11target_archE4294967295ELNS1_3gpuE0ELNS1_3repE0EEENS1_30default_config_static_selectorELNS0_4arch9wavefront6targetE1EEEvT1_,comdat
.Lfunc_end2251:
	.size	_ZN7rocprim17ROCPRIM_400000_NS6detail17trampoline_kernelINS0_14default_configENS1_25partition_config_selectorILNS1_17partition_subalgoE1EjNS0_10empty_typeEbEEZZNS1_14partition_implILS5_1ELb0ES3_jN6thrust23THRUST_200600_302600_NS6detail15normal_iteratorINSA_10device_ptrIjEEEEPS6_NSA_18transform_iteratorI7is_evenIjESF_NSA_11use_defaultESK_EENS0_5tupleIJSF_SF_EEENSM_IJSG_SG_EEES6_PlJS6_EEE10hipError_tPvRmT3_T4_T5_T6_T7_T9_mT8_P12ihipStream_tbDpT10_ENKUlT_T0_E_clISt17integral_constantIbLb1EES18_IbLb0EEEEDaS14_S15_EUlS14_E_NS1_11comp_targetILNS1_3genE0ELNS1_11target_archE4294967295ELNS1_3gpuE0ELNS1_3repE0EEENS1_30default_config_static_selectorELNS0_4arch9wavefront6targetE1EEEvT1_, .Lfunc_end2251-_ZN7rocprim17ROCPRIM_400000_NS6detail17trampoline_kernelINS0_14default_configENS1_25partition_config_selectorILNS1_17partition_subalgoE1EjNS0_10empty_typeEbEEZZNS1_14partition_implILS5_1ELb0ES3_jN6thrust23THRUST_200600_302600_NS6detail15normal_iteratorINSA_10device_ptrIjEEEEPS6_NSA_18transform_iteratorI7is_evenIjESF_NSA_11use_defaultESK_EENS0_5tupleIJSF_SF_EEENSM_IJSG_SG_EEES6_PlJS6_EEE10hipError_tPvRmT3_T4_T5_T6_T7_T9_mT8_P12ihipStream_tbDpT10_ENKUlT_T0_E_clISt17integral_constantIbLb1EES18_IbLb0EEEEDaS14_S15_EUlS14_E_NS1_11comp_targetILNS1_3genE0ELNS1_11target_archE4294967295ELNS1_3gpuE0ELNS1_3repE0EEENS1_30default_config_static_selectorELNS0_4arch9wavefront6targetE1EEEvT1_
                                        ; -- End function
	.section	.AMDGPU.csdata,"",@progbits
; Kernel info:
; codeLenInByte = 0
; NumSgprs: 6
; NumVgprs: 0
; NumAgprs: 0
; TotalNumVgprs: 0
; ScratchSize: 0
; MemoryBound: 0
; FloatMode: 240
; IeeeMode: 1
; LDSByteSize: 0 bytes/workgroup (compile time only)
; SGPRBlocks: 0
; VGPRBlocks: 0
; NumSGPRsForWavesPerEU: 6
; NumVGPRsForWavesPerEU: 1
; AccumOffset: 4
; Occupancy: 8
; WaveLimiterHint : 0
; COMPUTE_PGM_RSRC2:SCRATCH_EN: 0
; COMPUTE_PGM_RSRC2:USER_SGPR: 2
; COMPUTE_PGM_RSRC2:TRAP_HANDLER: 0
; COMPUTE_PGM_RSRC2:TGID_X_EN: 1
; COMPUTE_PGM_RSRC2:TGID_Y_EN: 0
; COMPUTE_PGM_RSRC2:TGID_Z_EN: 0
; COMPUTE_PGM_RSRC2:TIDIG_COMP_CNT: 0
; COMPUTE_PGM_RSRC3_GFX90A:ACCUM_OFFSET: 0
; COMPUTE_PGM_RSRC3_GFX90A:TG_SPLIT: 0
	.section	.text._ZN7rocprim17ROCPRIM_400000_NS6detail17trampoline_kernelINS0_14default_configENS1_25partition_config_selectorILNS1_17partition_subalgoE1EjNS0_10empty_typeEbEEZZNS1_14partition_implILS5_1ELb0ES3_jN6thrust23THRUST_200600_302600_NS6detail15normal_iteratorINSA_10device_ptrIjEEEEPS6_NSA_18transform_iteratorI7is_evenIjESF_NSA_11use_defaultESK_EENS0_5tupleIJSF_SF_EEENSM_IJSG_SG_EEES6_PlJS6_EEE10hipError_tPvRmT3_T4_T5_T6_T7_T9_mT8_P12ihipStream_tbDpT10_ENKUlT_T0_E_clISt17integral_constantIbLb1EES18_IbLb0EEEEDaS14_S15_EUlS14_E_NS1_11comp_targetILNS1_3genE5ELNS1_11target_archE942ELNS1_3gpuE9ELNS1_3repE0EEENS1_30default_config_static_selectorELNS0_4arch9wavefront6targetE1EEEvT1_,"axG",@progbits,_ZN7rocprim17ROCPRIM_400000_NS6detail17trampoline_kernelINS0_14default_configENS1_25partition_config_selectorILNS1_17partition_subalgoE1EjNS0_10empty_typeEbEEZZNS1_14partition_implILS5_1ELb0ES3_jN6thrust23THRUST_200600_302600_NS6detail15normal_iteratorINSA_10device_ptrIjEEEEPS6_NSA_18transform_iteratorI7is_evenIjESF_NSA_11use_defaultESK_EENS0_5tupleIJSF_SF_EEENSM_IJSG_SG_EEES6_PlJS6_EEE10hipError_tPvRmT3_T4_T5_T6_T7_T9_mT8_P12ihipStream_tbDpT10_ENKUlT_T0_E_clISt17integral_constantIbLb1EES18_IbLb0EEEEDaS14_S15_EUlS14_E_NS1_11comp_targetILNS1_3genE5ELNS1_11target_archE942ELNS1_3gpuE9ELNS1_3repE0EEENS1_30default_config_static_selectorELNS0_4arch9wavefront6targetE1EEEvT1_,comdat
	.protected	_ZN7rocprim17ROCPRIM_400000_NS6detail17trampoline_kernelINS0_14default_configENS1_25partition_config_selectorILNS1_17partition_subalgoE1EjNS0_10empty_typeEbEEZZNS1_14partition_implILS5_1ELb0ES3_jN6thrust23THRUST_200600_302600_NS6detail15normal_iteratorINSA_10device_ptrIjEEEEPS6_NSA_18transform_iteratorI7is_evenIjESF_NSA_11use_defaultESK_EENS0_5tupleIJSF_SF_EEENSM_IJSG_SG_EEES6_PlJS6_EEE10hipError_tPvRmT3_T4_T5_T6_T7_T9_mT8_P12ihipStream_tbDpT10_ENKUlT_T0_E_clISt17integral_constantIbLb1EES18_IbLb0EEEEDaS14_S15_EUlS14_E_NS1_11comp_targetILNS1_3genE5ELNS1_11target_archE942ELNS1_3gpuE9ELNS1_3repE0EEENS1_30default_config_static_selectorELNS0_4arch9wavefront6targetE1EEEvT1_ ; -- Begin function _ZN7rocprim17ROCPRIM_400000_NS6detail17trampoline_kernelINS0_14default_configENS1_25partition_config_selectorILNS1_17partition_subalgoE1EjNS0_10empty_typeEbEEZZNS1_14partition_implILS5_1ELb0ES3_jN6thrust23THRUST_200600_302600_NS6detail15normal_iteratorINSA_10device_ptrIjEEEEPS6_NSA_18transform_iteratorI7is_evenIjESF_NSA_11use_defaultESK_EENS0_5tupleIJSF_SF_EEENSM_IJSG_SG_EEES6_PlJS6_EEE10hipError_tPvRmT3_T4_T5_T6_T7_T9_mT8_P12ihipStream_tbDpT10_ENKUlT_T0_E_clISt17integral_constantIbLb1EES18_IbLb0EEEEDaS14_S15_EUlS14_E_NS1_11comp_targetILNS1_3genE5ELNS1_11target_archE942ELNS1_3gpuE9ELNS1_3repE0EEENS1_30default_config_static_selectorELNS0_4arch9wavefront6targetE1EEEvT1_
	.globl	_ZN7rocprim17ROCPRIM_400000_NS6detail17trampoline_kernelINS0_14default_configENS1_25partition_config_selectorILNS1_17partition_subalgoE1EjNS0_10empty_typeEbEEZZNS1_14partition_implILS5_1ELb0ES3_jN6thrust23THRUST_200600_302600_NS6detail15normal_iteratorINSA_10device_ptrIjEEEEPS6_NSA_18transform_iteratorI7is_evenIjESF_NSA_11use_defaultESK_EENS0_5tupleIJSF_SF_EEENSM_IJSG_SG_EEES6_PlJS6_EEE10hipError_tPvRmT3_T4_T5_T6_T7_T9_mT8_P12ihipStream_tbDpT10_ENKUlT_T0_E_clISt17integral_constantIbLb1EES18_IbLb0EEEEDaS14_S15_EUlS14_E_NS1_11comp_targetILNS1_3genE5ELNS1_11target_archE942ELNS1_3gpuE9ELNS1_3repE0EEENS1_30default_config_static_selectorELNS0_4arch9wavefront6targetE1EEEvT1_
	.p2align	8
	.type	_ZN7rocprim17ROCPRIM_400000_NS6detail17trampoline_kernelINS0_14default_configENS1_25partition_config_selectorILNS1_17partition_subalgoE1EjNS0_10empty_typeEbEEZZNS1_14partition_implILS5_1ELb0ES3_jN6thrust23THRUST_200600_302600_NS6detail15normal_iteratorINSA_10device_ptrIjEEEEPS6_NSA_18transform_iteratorI7is_evenIjESF_NSA_11use_defaultESK_EENS0_5tupleIJSF_SF_EEENSM_IJSG_SG_EEES6_PlJS6_EEE10hipError_tPvRmT3_T4_T5_T6_T7_T9_mT8_P12ihipStream_tbDpT10_ENKUlT_T0_E_clISt17integral_constantIbLb1EES18_IbLb0EEEEDaS14_S15_EUlS14_E_NS1_11comp_targetILNS1_3genE5ELNS1_11target_archE942ELNS1_3gpuE9ELNS1_3repE0EEENS1_30default_config_static_selectorELNS0_4arch9wavefront6targetE1EEEvT1_,@function
_ZN7rocprim17ROCPRIM_400000_NS6detail17trampoline_kernelINS0_14default_configENS1_25partition_config_selectorILNS1_17partition_subalgoE1EjNS0_10empty_typeEbEEZZNS1_14partition_implILS5_1ELb0ES3_jN6thrust23THRUST_200600_302600_NS6detail15normal_iteratorINSA_10device_ptrIjEEEEPS6_NSA_18transform_iteratorI7is_evenIjESF_NSA_11use_defaultESK_EENS0_5tupleIJSF_SF_EEENSM_IJSG_SG_EEES6_PlJS6_EEE10hipError_tPvRmT3_T4_T5_T6_T7_T9_mT8_P12ihipStream_tbDpT10_ENKUlT_T0_E_clISt17integral_constantIbLb1EES18_IbLb0EEEEDaS14_S15_EUlS14_E_NS1_11comp_targetILNS1_3genE5ELNS1_11target_archE942ELNS1_3gpuE9ELNS1_3repE0EEENS1_30default_config_static_selectorELNS0_4arch9wavefront6targetE1EEEvT1_: ; @_ZN7rocprim17ROCPRIM_400000_NS6detail17trampoline_kernelINS0_14default_configENS1_25partition_config_selectorILNS1_17partition_subalgoE1EjNS0_10empty_typeEbEEZZNS1_14partition_implILS5_1ELb0ES3_jN6thrust23THRUST_200600_302600_NS6detail15normal_iteratorINSA_10device_ptrIjEEEEPS6_NSA_18transform_iteratorI7is_evenIjESF_NSA_11use_defaultESK_EENS0_5tupleIJSF_SF_EEENSM_IJSG_SG_EEES6_PlJS6_EEE10hipError_tPvRmT3_T4_T5_T6_T7_T9_mT8_P12ihipStream_tbDpT10_ENKUlT_T0_E_clISt17integral_constantIbLb1EES18_IbLb0EEEEDaS14_S15_EUlS14_E_NS1_11comp_targetILNS1_3genE5ELNS1_11target_archE942ELNS1_3gpuE9ELNS1_3repE0EEENS1_30default_config_static_selectorELNS0_4arch9wavefront6targetE1EEEvT1_
; %bb.0:
	s_load_dwordx2 s[4:5], s[0:1], 0x60
	s_load_dwordx4 s[24:27], s[0:1], 0x8
	s_load_dwordx2 s[6:7], s[0:1], 0x20
	s_load_dwordx4 s[20:23], s[0:1], 0x50
	s_load_dword s3, s[0:1], 0x78
	s_waitcnt lgkmcnt(0)
	v_mov_b32_e32 v3, s5
	s_lshl_b64 s[8:9], s[26:27], 2
	s_add_u32 s12, s24, s8
	s_addc_u32 s13, s25, s9
	s_add_i32 s14, s3, -1
	s_mulk_i32 s3, 0x1e00
	s_add_i32 s5, s3, s26
	s_sub_i32 s33, s4, s5
	s_addk_i32 s33, 0x1e00
	v_mov_b32_e32 v2, s4
	s_add_u32 s4, s26, s3
	s_addc_u32 s5, s27, 0
	s_cmp_eq_u32 s2, s14
	s_load_dwordx2 s[28:29], s[22:23], 0x0
	s_cselect_b64 s[22:23], -1, 0
	s_cmp_lg_u32 s2, s14
	s_mul_i32 s10, s2, 0x1e00
	s_mov_b32 s11, 0
	v_cmp_lt_u64_e32 vcc, s[4:5], v[2:3]
	s_cselect_b64 s[4:5], -1, 0
	s_or_b64 s[24:25], s[4:5], vcc
	s_lshl_b64 s[30:31], s[10:11], 2
	s_add_u32 s10, s12, s30
	s_addc_u32 s11, s13, s31
	s_mov_b64 s[4:5], -1
	s_and_b64 vcc, exec, s[24:25]
	v_lshlrev_b32_e32 v22, 2, v0
	s_cbranch_vccz .LBB2252_2
; %bb.1:
	v_mov_b32_e32 v23, 0
	v_lshl_add_u64 v[2:3], s[10:11], 0, v[22:23]
	v_add_co_u32_e32 v4, vcc, 0x1000, v2
	s_mov_b64 s[4:5], 0
	s_nop 0
	v_addc_co_u32_e32 v5, vcc, 0, v3, vcc
	v_add_co_u32_e32 v6, vcc, 0x2000, v2
	s_nop 1
	v_addc_co_u32_e32 v7, vcc, 0, v3, vcc
	v_add_co_u32_e32 v8, vcc, 0x3000, v2
	s_nop 1
	v_addc_co_u32_e32 v9, vcc, 0, v3, vcc
	flat_load_dword v1, v[2:3]
	flat_load_dword v10, v[2:3] offset:2048
	flat_load_dword v11, v[4:5]
	flat_load_dword v12, v[4:5] offset:2048
	;; [unrolled: 2-line block ×4, first 2 shown]
	v_add_co_u32_e32 v4, vcc, 0x4000, v2
	s_nop 1
	v_addc_co_u32_e32 v5, vcc, 0, v3, vcc
	v_add_co_u32_e32 v6, vcc, 0x5000, v2
	s_nop 1
	v_addc_co_u32_e32 v7, vcc, 0, v3, vcc
	;; [unrolled: 3-line block ×4, first 2 shown]
	flat_load_dword v17, v[4:5]
	flat_load_dword v18, v[4:5] offset:2048
	flat_load_dword v19, v[6:7]
	flat_load_dword v20, v[6:7] offset:2048
	;; [unrolled: 2-line block ×3, first 2 shown]
	flat_load_dword v24, v[2:3]
	s_waitcnt vmcnt(0) lgkmcnt(0)
	ds_write2st64_b32 v22, v1, v10 offset1:8
	ds_write2st64_b32 v22, v11, v12 offset0:16 offset1:24
	ds_write2st64_b32 v22, v13, v14 offset0:32 offset1:40
	ds_write2st64_b32 v22, v15, v16 offset0:48 offset1:56
	ds_write2st64_b32 v22, v17, v18 offset0:64 offset1:72
	ds_write2st64_b32 v22, v19, v20 offset0:80 offset1:88
	ds_write2st64_b32 v22, v21, v23 offset0:96 offset1:104
	ds_write_b32 v22, v24 offset:28672
	s_waitcnt lgkmcnt(0)
	s_barrier
.LBB2252_2:
	s_andn2_b64 vcc, exec, s[4:5]
	v_cmp_gt_u32_e64 s[4:5], s33, v0
	s_cbranch_vccnz .LBB2252_34
; %bb.3:
                                        ; implicit-def: $vgpr2_vgpr3_vgpr4_vgpr5_vgpr6_vgpr7_vgpr8_vgpr9_vgpr10_vgpr11_vgpr12_vgpr13_vgpr14_vgpr15_vgpr16_vgpr17
	s_and_saveexec_b64 s[12:13], s[4:5]
	s_cbranch_execz .LBB2252_5
; %bb.4:
	v_mov_b32_e32 v23, 0
	v_lshl_add_u64 v[2:3], s[10:11], 0, v[22:23]
	flat_load_dword v2, v[2:3]
.LBB2252_5:
	s_or_b64 exec, exec, s[12:13]
	v_or_b32_e32 v1, 0x200, v0
	v_cmp_gt_u32_e32 vcc, s33, v1
	s_and_saveexec_b64 s[4:5], vcc
	s_cbranch_execz .LBB2252_7
; %bb.6:
	v_mov_b32_e32 v23, 0
	v_lshl_add_u64 v[18:19], s[10:11], 0, v[22:23]
	flat_load_dword v3, v[18:19] offset:2048
.LBB2252_7:
	s_or_b64 exec, exec, s[4:5]
	v_or_b32_e32 v1, 0x400, v0
	v_cmp_gt_u32_e32 vcc, s33, v1
	s_and_saveexec_b64 s[4:5], vcc
	s_cbranch_execz .LBB2252_9
; %bb.8:
	v_lshlrev_b32_e32 v18, 2, v1
	v_mov_b32_e32 v19, 0
	v_lshl_add_u64 v[18:19], s[10:11], 0, v[18:19]
	flat_load_dword v4, v[18:19]
.LBB2252_9:
	s_or_b64 exec, exec, s[4:5]
	v_or_b32_e32 v1, 0x600, v0
	v_cmp_gt_u32_e32 vcc, s33, v1
	s_and_saveexec_b64 s[4:5], vcc
	s_cbranch_execz .LBB2252_11
; %bb.10:
	v_lshlrev_b32_e32 v18, 2, v1
	v_mov_b32_e32 v19, 0
	v_lshl_add_u64 v[18:19], s[10:11], 0, v[18:19]
	flat_load_dword v5, v[18:19]
.LBB2252_11:
	;; [unrolled: 11-line block ×13, first 2 shown]
	s_or_b64 exec, exec, s[4:5]
	s_waitcnt vmcnt(0) lgkmcnt(0)
	ds_write2st64_b32 v22, v2, v3 offset1:8
	ds_write2st64_b32 v22, v4, v5 offset0:16 offset1:24
	ds_write2st64_b32 v22, v6, v7 offset0:32 offset1:40
	;; [unrolled: 1-line block ×6, first 2 shown]
	ds_write_b32 v22, v16 offset:28672
	s_waitcnt lgkmcnt(0)
	s_barrier
.LBB2252_34:
	v_mul_u32_u24_e32 v21, 15, v0
	v_lshlrev_b32_e32 v1, 2, v21
	s_waitcnt lgkmcnt(0)
	ds_read2_b32 v[36:37], v1 offset1:1
	ds_read2_b32 v[34:35], v1 offset0:2 offset1:3
	ds_read2_b32 v[32:33], v1 offset0:4 offset1:5
	;; [unrolled: 1-line block ×6, first 2 shown]
	ds_read_b32 v1, v1 offset:56
	s_add_u32 s3, s6, s8
	s_addc_u32 s5, s7, s9
	s_add_u32 s4, s3, s30
	s_addc_u32 s5, s5, s31
	s_mov_b64 s[6:7], -1
	s_and_b64 vcc, exec, s[24:25]
	s_waitcnt lgkmcnt(0)
	s_barrier
	s_cbranch_vccz .LBB2252_36
; %bb.35:
	v_mov_b32_e32 v23, 0
	v_lshl_add_u64 v[2:3], s[4:5], 0, v[22:23]
	v_add_co_u32_e32 v4, vcc, 0x1000, v2
	global_load_dword v10, v22, s[4:5]
	global_load_dword v11, v22, s[4:5] offset:2048
	v_addc_co_u32_e32 v5, vcc, 0, v3, vcc
	v_add_co_u32_e32 v6, vcc, 0x2000, v2
	s_mov_b64 s[6:7], 0
	s_nop 0
	v_addc_co_u32_e32 v7, vcc, 0, v3, vcc
	v_add_co_u32_e32 v8, vcc, 0x3000, v2
	s_nop 1
	v_addc_co_u32_e32 v9, vcc, 0, v3, vcc
	global_load_dword v12, v[4:5], off
	global_load_dword v13, v[4:5], off offset:2048
	global_load_dword v14, v[6:7], off
	global_load_dword v15, v[6:7], off offset:2048
	;; [unrolled: 2-line block ×3, first 2 shown]
	v_add_co_u32_e32 v4, vcc, 0x4000, v2
	s_nop 1
	v_addc_co_u32_e32 v5, vcc, 0, v3, vcc
	global_load_dword v6, v[4:5], off
	global_load_dword v7, v[4:5], off offset:2048
	v_add_co_u32_e32 v4, vcc, 0x5000, v2
	s_waitcnt vmcnt(1)
	v_xor_b32_e32 v6, -1, v6
	v_addc_co_u32_e32 v5, vcc, 0, v3, vcc
	global_load_dword v8, v[4:5], off
	global_load_dword v9, v[4:5], off offset:2048
	v_add_co_u32_e32 v4, vcc, 0x6000, v2
	s_waitcnt vmcnt(2)
	v_xor_b32_e32 v7, -1, v7
	v_addc_co_u32_e32 v5, vcc, 0, v3, vcc
	v_add_co_u32_e32 v2, vcc, 0x7000, v2
	global_load_dword v18, v[4:5], off
	global_load_dword v19, v[4:5], off offset:2048
	v_addc_co_u32_e32 v3, vcc, 0, v3, vcc
	global_load_dword v2, v[2:3], off
	v_xor_b32_e32 v3, -1, v10
	v_xor_b32_e32 v4, -1, v11
	v_and_b32_e32 v3, 1, v3
	v_and_b32_e32 v4, 1, v4
	ds_write_b8 v0, v3
	ds_write_b8 v0, v4 offset:512
	v_xor_b32_e32 v3, -1, v12
	v_xor_b32_e32 v4, -1, v13
	;; [unrolled: 1-line block ×3, first 2 shown]
	v_and_b32_e32 v3, 1, v3
	v_and_b32_e32 v4, 1, v4
	v_xor_b32_e32 v10, -1, v15
	v_and_b32_e32 v5, 1, v5
	v_xor_b32_e32 v11, -1, v16
	v_xor_b32_e32 v12, -1, v17
	v_and_b32_e32 v10, 1, v10
	ds_write_b8 v0, v3 offset:1024
	ds_write_b8 v0, v4 offset:1536
	v_and_b32_e32 v3, 1, v11
	v_and_b32_e32 v4, 1, v12
	ds_write_b8 v0, v5 offset:2048
	ds_write_b8 v0, v10 offset:2560
	v_and_b32_e32 v5, 1, v6
	v_and_b32_e32 v6, 1, v7
	ds_write_b8 v0, v3 offset:3072
	ds_write_b8 v0, v4 offset:3584
	;; [unrolled: 1-line block ×4, first 2 shown]
	s_waitcnt vmcnt(4)
	v_xor_b32_e32 v7, -1, v8
	s_waitcnt vmcnt(3)
	v_xor_b32_e32 v8, -1, v9
	v_and_b32_e32 v3, 1, v7
	v_and_b32_e32 v4, 1, v8
	s_waitcnt vmcnt(2)
	v_xor_b32_e32 v7, -1, v18
	s_waitcnt vmcnt(1)
	v_xor_b32_e32 v8, -1, v19
	v_and_b32_e32 v5, 1, v7
	v_and_b32_e32 v6, 1, v8
	s_waitcnt vmcnt(0)
	v_xor_b32_e32 v2, -1, v2
	v_and_b32_e32 v2, 1, v2
	ds_write_b8 v0, v3 offset:5120
	ds_write_b8 v0, v4 offset:5632
	;; [unrolled: 1-line block ×5, first 2 shown]
	s_waitcnt lgkmcnt(0)
	s_barrier
.LBB2252_36:
	s_load_dwordx2 s[34:35], s[0:1], 0x70
	s_andn2_b64 vcc, exec, s[6:7]
	s_cbranch_vccnz .LBB2252_68
; %bb.37:
	v_cmp_gt_u32_e32 vcc, s33, v0
	v_mov_b32_e32 v2, 0
	v_mov_b32_e32 v3, 0
	s_and_saveexec_b64 s[6:7], vcc
	s_cbranch_execz .LBB2252_39
; %bb.38:
	global_load_dword v3, v22, s[4:5]
	s_waitcnt vmcnt(0)
	v_xor_b32_e32 v3, -1, v3
	v_and_b32_e32 v3, 1, v3
.LBB2252_39:
	s_or_b64 exec, exec, s[6:7]
	v_or_b32_e32 v4, 0x200, v0
	v_cmp_gt_u32_e32 vcc, s33, v4
	s_and_saveexec_b64 s[6:7], vcc
	s_cbranch_execz .LBB2252_41
; %bb.40:
	global_load_dword v2, v22, s[4:5] offset:2048
	s_waitcnt vmcnt(0)
	v_xor_b32_e32 v2, -1, v2
	v_and_b32_e32 v2, 1, v2
.LBB2252_41:
	s_or_b64 exec, exec, s[6:7]
	v_or_b32_e32 v6, 0x400, v0
	v_cmp_gt_u32_e32 vcc, s33, v6
	v_mov_b32_e32 v4, 0
	v_mov_b32_e32 v5, 0
	s_and_saveexec_b64 s[6:7], vcc
	s_cbranch_execz .LBB2252_43
; %bb.42:
	v_lshlrev_b32_e32 v5, 2, v6
	global_load_dword v5, v5, s[4:5]
	s_waitcnt vmcnt(0)
	v_xor_b32_e32 v5, -1, v5
	v_and_b32_e32 v5, 1, v5
.LBB2252_43:
	s_or_b64 exec, exec, s[6:7]
	v_or_b32_e32 v6, 0x600, v0
	v_cmp_gt_u32_e32 vcc, s33, v6
	s_and_saveexec_b64 s[6:7], vcc
	s_cbranch_execz .LBB2252_45
; %bb.44:
	v_lshlrev_b32_e32 v4, 2, v6
	global_load_dword v4, v4, s[4:5]
	s_waitcnt vmcnt(0)
	v_xor_b32_e32 v4, -1, v4
	v_and_b32_e32 v4, 1, v4
.LBB2252_45:
	s_or_b64 exec, exec, s[6:7]
	v_or_b32_e32 v8, 0x800, v0
	v_cmp_gt_u32_e32 vcc, s33, v8
	v_mov_b32_e32 v6, 0
	v_mov_b32_e32 v7, 0
	s_and_saveexec_b64 s[6:7], vcc
	s_cbranch_execz .LBB2252_47
; %bb.46:
	v_lshlrev_b32_e32 v7, 2, v8
	global_load_dword v7, v7, s[4:5]
	s_waitcnt vmcnt(0)
	v_xor_b32_e32 v7, -1, v7
	v_and_b32_e32 v7, 1, v7
.LBB2252_47:
	s_or_b64 exec, exec, s[6:7]
	v_or_b32_e32 v8, 0xa00, v0
	v_cmp_gt_u32_e32 vcc, s33, v8
	s_and_saveexec_b64 s[6:7], vcc
	s_cbranch_execz .LBB2252_49
; %bb.48:
	v_lshlrev_b32_e32 v6, 2, v8
	global_load_dword v6, v6, s[4:5]
	s_waitcnt vmcnt(0)
	v_xor_b32_e32 v6, -1, v6
	v_and_b32_e32 v6, 1, v6
.LBB2252_49:
	s_or_b64 exec, exec, s[6:7]
	v_or_b32_e32 v10, 0xc00, v0
	v_cmp_gt_u32_e32 vcc, s33, v10
	v_mov_b32_e32 v8, 0
	v_mov_b32_e32 v9, 0
	s_and_saveexec_b64 s[6:7], vcc
	s_cbranch_execz .LBB2252_51
; %bb.50:
	v_lshlrev_b32_e32 v9, 2, v10
	global_load_dword v9, v9, s[4:5]
	s_waitcnt vmcnt(0)
	v_xor_b32_e32 v9, -1, v9
	v_and_b32_e32 v9, 1, v9
.LBB2252_51:
	s_or_b64 exec, exec, s[6:7]
	v_or_b32_e32 v10, 0xe00, v0
	v_cmp_gt_u32_e32 vcc, s33, v10
	s_and_saveexec_b64 s[6:7], vcc
	s_cbranch_execz .LBB2252_53
; %bb.52:
	v_lshlrev_b32_e32 v8, 2, v10
	global_load_dword v8, v8, s[4:5]
	s_waitcnt vmcnt(0)
	v_xor_b32_e32 v8, -1, v8
	v_and_b32_e32 v8, 1, v8
.LBB2252_53:
	s_or_b64 exec, exec, s[6:7]
	v_or_b32_e32 v12, 0x1000, v0
	v_cmp_gt_u32_e32 vcc, s33, v12
	v_mov_b32_e32 v10, 0
	v_mov_b32_e32 v11, 0
	s_and_saveexec_b64 s[6:7], vcc
	s_cbranch_execz .LBB2252_55
; %bb.54:
	v_lshlrev_b32_e32 v11, 2, v12
	global_load_dword v11, v11, s[4:5]
	s_waitcnt vmcnt(0)
	v_xor_b32_e32 v11, -1, v11
	v_and_b32_e32 v11, 1, v11
.LBB2252_55:
	s_or_b64 exec, exec, s[6:7]
	v_or_b32_e32 v12, 0x1200, v0
	v_cmp_gt_u32_e32 vcc, s33, v12
	s_and_saveexec_b64 s[6:7], vcc
	s_cbranch_execz .LBB2252_57
; %bb.56:
	v_lshlrev_b32_e32 v10, 2, v12
	global_load_dword v10, v10, s[4:5]
	s_waitcnt vmcnt(0)
	v_xor_b32_e32 v10, -1, v10
	v_and_b32_e32 v10, 1, v10
.LBB2252_57:
	s_or_b64 exec, exec, s[6:7]
	v_or_b32_e32 v14, 0x1400, v0
	v_cmp_gt_u32_e32 vcc, s33, v14
	v_mov_b32_e32 v12, 0
	v_mov_b32_e32 v13, 0
	s_and_saveexec_b64 s[6:7], vcc
	s_cbranch_execz .LBB2252_59
; %bb.58:
	v_lshlrev_b32_e32 v13, 2, v14
	global_load_dword v13, v13, s[4:5]
	s_waitcnt vmcnt(0)
	v_xor_b32_e32 v13, -1, v13
	v_and_b32_e32 v13, 1, v13
.LBB2252_59:
	s_or_b64 exec, exec, s[6:7]
	v_or_b32_e32 v14, 0x1600, v0
	v_cmp_gt_u32_e32 vcc, s33, v14
	s_and_saveexec_b64 s[6:7], vcc
	s_cbranch_execz .LBB2252_61
; %bb.60:
	v_lshlrev_b32_e32 v12, 2, v14
	global_load_dword v12, v12, s[4:5]
	s_waitcnt vmcnt(0)
	v_xor_b32_e32 v12, -1, v12
	v_and_b32_e32 v12, 1, v12
.LBB2252_61:
	s_or_b64 exec, exec, s[6:7]
	v_or_b32_e32 v16, 0x1800, v0
	v_cmp_gt_u32_e32 vcc, s33, v16
	v_mov_b32_e32 v14, 0
	v_mov_b32_e32 v15, 0
	s_and_saveexec_b64 s[6:7], vcc
	s_cbranch_execz .LBB2252_63
; %bb.62:
	v_lshlrev_b32_e32 v15, 2, v16
	global_load_dword v15, v15, s[4:5]
	s_waitcnt vmcnt(0)
	v_xor_b32_e32 v15, -1, v15
	v_and_b32_e32 v15, 1, v15
.LBB2252_63:
	s_or_b64 exec, exec, s[6:7]
	v_or_b32_e32 v16, 0x1a00, v0
	v_cmp_gt_u32_e32 vcc, s33, v16
	s_and_saveexec_b64 s[6:7], vcc
	s_cbranch_execz .LBB2252_65
; %bb.64:
	v_lshlrev_b32_e32 v14, 2, v16
	global_load_dword v14, v14, s[4:5]
	s_waitcnt vmcnt(0)
	v_xor_b32_e32 v14, -1, v14
	v_and_b32_e32 v14, 1, v14
.LBB2252_65:
	s_or_b64 exec, exec, s[6:7]
	v_or_b32_e32 v17, 0x1c00, v0
	v_cmp_gt_u32_e32 vcc, s33, v17
	v_mov_b32_e32 v16, 0
	s_and_saveexec_b64 s[6:7], vcc
	s_cbranch_execz .LBB2252_67
; %bb.66:
	v_lshlrev_b32_e32 v16, 2, v17
	global_load_dword v16, v16, s[4:5]
	s_waitcnt vmcnt(0)
	v_xor_b32_e32 v16, -1, v16
	v_and_b32_e32 v16, 1, v16
.LBB2252_67:
	s_or_b64 exec, exec, s[6:7]
	ds_write_b8 v0, v3
	ds_write_b8 v0, v2 offset:512
	ds_write_b8 v0, v5 offset:1024
	;; [unrolled: 1-line block ×14, first 2 shown]
	s_waitcnt lgkmcnt(0)
	s_barrier
.LBB2252_68:
	s_waitcnt lgkmcnt(0)
	ds_read_b96 v[18:20], v21
	ds_read_u8 v2, v21 offset:12
	ds_read_u8 v3, v21 offset:13
	;; [unrolled: 1-line block ×3, first 2 shown]
	s_cmp_lg_u32 s2, 0
	v_lshrrev_b32_e32 v56, 6, v0
	s_waitcnt lgkmcnt(2)
	v_and_b32_e32 v43, 1, v2
	v_and_b32_e32 v52, 0xff, v18
	v_bfe_u32 v53, v18, 8, 8
	v_bfe_u32 v54, v18, 16, 8
	v_lshrrev_b32_e32 v45, 24, v18
	v_and_b32_e32 v49, 0xff, v19
	v_add3_u32 v2, v53, v52, v54
	v_bfe_u32 v50, v19, 8, 8
	v_bfe_u32 v51, v19, 16, 8
	v_add3_u32 v2, v2, v45, v49
	v_lshrrev_b32_e32 v44, 24, v19
	v_and_b32_e32 v46, 0xff, v20
	v_add3_u32 v2, v2, v50, v51
	v_bfe_u32 v47, v20, 8, 8
	v_bfe_u32 v48, v20, 16, 8
	v_add3_u32 v2, v2, v44, v46
	v_lshrrev_b32_e32 v42, 24, v20
	v_add3_u32 v2, v2, v47, v48
	s_waitcnt lgkmcnt(1)
	v_and_b32_e32 v41, 1, v3
	s_waitcnt lgkmcnt(0)
	v_and_b32_e32 v23, 1, v4
	v_add3_u32 v2, v2, v42, v43
	v_add3_u32 v57, v2, v41, v23
	v_mbcnt_lo_u32_b32 v2, -1, 0
	v_mbcnt_hi_u32_b32 v55, -1, v2
	v_and_b32_e32 v2, 15, v55
	v_cmp_eq_u32_e64 s[14:15], 0, v2
	v_cmp_lt_u32_e64 s[12:13], 1, v2
	v_cmp_lt_u32_e64 s[10:11], 3, v2
	;; [unrolled: 1-line block ×3, first 2 shown]
	v_and_b32_e32 v2, 16, v55
	v_cmp_eq_u32_e64 s[6:7], 0, v2
	v_or_b32_e32 v2, 63, v0
	v_cmp_lt_u32_e64 s[18:19], 31, v55
	v_cmp_eq_u32_e64 s[4:5], v2, v0
	s_barrier
	s_cbranch_scc0 .LBB2252_99
; %bb.69:
	v_mov_b32_dpp v2, v57 row_shr:1 row_mask:0xf bank_mask:0xf
	v_cndmask_b32_e64 v2, v2, 0, s[14:15]
	v_add_u32_e32 v2, v2, v57
	s_nop 1
	v_mov_b32_dpp v3, v2 row_shr:2 row_mask:0xf bank_mask:0xf
	v_cndmask_b32_e64 v3, 0, v3, s[12:13]
	v_add_u32_e32 v2, v2, v3
	s_nop 1
	;; [unrolled: 4-line block ×4, first 2 shown]
	v_mov_b32_dpp v3, v2 row_bcast:15 row_mask:0xf bank_mask:0xf
	v_cndmask_b32_e64 v3, v3, 0, s[6:7]
	v_add_u32_e32 v2, v2, v3
	s_nop 1
	v_mov_b32_dpp v3, v2 row_bcast:31 row_mask:0xf bank_mask:0xf
	v_cndmask_b32_e64 v3, 0, v3, s[18:19]
	v_add_u32_e32 v2, v2, v3
	s_and_saveexec_b64 s[16:17], s[4:5]
	s_cbranch_execz .LBB2252_71
; %bb.70:
	v_lshlrev_b32_e32 v3, 2, v56
	ds_write_b32 v3, v2
.LBB2252_71:
	s_or_b64 exec, exec, s[16:17]
	v_cmp_gt_u32_e32 vcc, 8, v0
	s_waitcnt lgkmcnt(0)
	s_barrier
	s_and_saveexec_b64 s[16:17], vcc
	s_cbranch_execz .LBB2252_73
; %bb.72:
	ds_read_b32 v3, v22
	v_and_b32_e32 v4, 7, v55
	v_cmp_ne_u32_e32 vcc, 0, v4
	s_waitcnt lgkmcnt(0)
	v_mov_b32_dpp v5, v3 row_shr:1 row_mask:0xf bank_mask:0xf
	v_cndmask_b32_e32 v5, 0, v5, vcc
	v_add_u32_e32 v3, v5, v3
	v_cmp_lt_u32_e32 vcc, 1, v4
	s_nop 0
	v_mov_b32_dpp v5, v3 row_shr:2 row_mask:0xf bank_mask:0xf
	v_cndmask_b32_e32 v5, 0, v5, vcc
	v_add_u32_e32 v3, v3, v5
	v_cmp_lt_u32_e32 vcc, 3, v4
	s_nop 0
	v_mov_b32_dpp v5, v3 row_shr:4 row_mask:0xf bank_mask:0xf
	v_cndmask_b32_e32 v4, 0, v5, vcc
	v_add_u32_e32 v3, v3, v4
	ds_write_b32 v22, v3
.LBB2252_73:
	s_or_b64 exec, exec, s[16:17]
	v_cmp_gt_u32_e32 vcc, 64, v0
	v_cmp_lt_u32_e64 s[16:17], 63, v0
	s_waitcnt lgkmcnt(0)
	s_barrier
	s_waitcnt lgkmcnt(0)
                                        ; implicit-def: $vgpr12
	s_and_saveexec_b64 s[36:37], s[16:17]
	s_cbranch_execz .LBB2252_75
; %bb.74:
	v_lshl_add_u32 v3, v56, 2, -4
	ds_read_b32 v12, v3
	s_waitcnt lgkmcnt(0)
	v_add_u32_e32 v2, v12, v2
.LBB2252_75:
	s_or_b64 exec, exec, s[36:37]
	v_add_u32_e32 v3, -1, v55
	v_and_b32_e32 v4, 64, v55
	v_cmp_lt_i32_e64 s[16:17], v3, v4
	s_nop 1
	v_cndmask_b32_e64 v3, v3, v55, s[16:17]
	v_lshlrev_b32_e32 v3, 2, v3
	ds_bpermute_b32 v13, v3, v2
	v_cmp_eq_u32_e64 s[16:17], 0, v55
	s_and_saveexec_b64 s[36:37], vcc
	s_cbranch_execz .LBB2252_98
; %bb.76:
	v_mov_b32_e32 v11, 0
	ds_read_b32 v2, v11 offset:28
	s_and_saveexec_b64 s[38:39], s[16:17]
	s_cbranch_execz .LBB2252_78
; %bb.77:
	s_add_i32 s40, s2, 64
	s_mov_b32 s41, 0
	s_lshl_b64 s[40:41], s[40:41], 3
	s_add_u32 s40, s34, s40
	v_mov_b32_e32 v3, 1
	s_addc_u32 s41, s35, s41
	s_waitcnt lgkmcnt(0)
	global_store_dwordx2 v11, v[2:3], s[40:41] sc1
.LBB2252_78:
	s_or_b64 exec, exec, s[38:39]
	v_xad_u32 v4, v55, -1, s2
	v_add_u32_e32 v10, 64, v4
	v_lshl_add_u64 v[6:7], v[10:11], 3, s[34:35]
	global_load_dwordx2 v[8:9], v[6:7], off sc1
	s_waitcnt vmcnt(0)
	v_cmp_eq_u16_sdwa s[40:41], v9, v11 src0_sel:BYTE_0 src1_sel:DWORD
	s_and_saveexec_b64 s[38:39], s[40:41]
	s_cbranch_execz .LBB2252_84
; %bb.79:
	s_mov_b32 s3, 1
	s_mov_b64 s[40:41], 0
	v_mov_b32_e32 v3, 0
.LBB2252_80:                            ; =>This Loop Header: Depth=1
                                        ;     Child Loop BB2252_81 Depth 2
	s_max_u32 s42, s3, 1
.LBB2252_81:                            ;   Parent Loop BB2252_80 Depth=1
                                        ; =>  This Inner Loop Header: Depth=2
	s_add_i32 s42, s42, -1
	s_cmp_eq_u32 s42, 0
	s_sleep 1
	s_cbranch_scc0 .LBB2252_81
; %bb.82:                               ;   in Loop: Header=BB2252_80 Depth=1
	global_load_dwordx2 v[8:9], v[6:7], off sc1
	s_cmp_lt_u32 s3, 32
	s_cselect_b64 s[42:43], -1, 0
	s_cmp_lg_u64 s[42:43], 0
	s_addc_u32 s3, s3, 0
	s_waitcnt vmcnt(0)
	v_cmp_ne_u16_sdwa s[42:43], v9, v3 src0_sel:BYTE_0 src1_sel:DWORD
	s_or_b64 s[40:41], s[42:43], s[40:41]
	s_andn2_b64 exec, exec, s[40:41]
	s_cbranch_execnz .LBB2252_80
; %bb.83:
	s_or_b64 exec, exec, s[40:41]
.LBB2252_84:
	s_or_b64 exec, exec, s[38:39]
	v_and_b32_e32 v15, 63, v55
	v_mov_b32_e32 v14, 2
	v_cmp_ne_u32_e32 vcc, 63, v15
	v_cmp_eq_u16_sdwa s[38:39], v9, v14 src0_sel:BYTE_0 src1_sel:DWORD
	v_lshlrev_b64 v[6:7], v55, -1
	v_addc_co_u32_e32 v10, vcc, 0, v55, vcc
	v_and_b32_e32 v3, s39, v7
	v_lshlrev_b32_e32 v16, 2, v10
	v_or_b32_e32 v3, 0x80000000, v3
	ds_bpermute_b32 v10, v16, v8
	v_and_b32_e32 v5, s38, v6
	v_ffbl_b32_e32 v3, v3
	v_add_u32_e32 v3, 32, v3
	v_ffbl_b32_e32 v5, v5
	v_min_u32_e32 v3, v5, v3
	v_cmp_lt_u32_e32 vcc, v15, v3
	v_add_u32_e32 v38, 2, v15
	v_add_u32_e32 v40, 4, v15
	s_waitcnt lgkmcnt(0)
	v_cndmask_b32_e32 v5, 0, v10, vcc
	v_cmp_gt_u32_e32 vcc, 62, v15
	v_add_u32_e32 v5, v5, v8
	v_add_u32_e32 v59, 8, v15
	v_cndmask_b32_e64 v8, 0, 1, vcc
	v_lshlrev_b32_e32 v8, 1, v8
	v_add_lshl_u32 v17, v8, v55, 2
	ds_bpermute_b32 v8, v17, v5
	v_cmp_le_u32_e32 vcc, v38, v3
	v_add_u32_e32 v61, 16, v15
	v_add_u32_e32 v63, 32, v15
	s_waitcnt lgkmcnt(0)
	v_cndmask_b32_e32 v8, 0, v8, vcc
	v_cmp_gt_u32_e32 vcc, 60, v15
	v_add_u32_e32 v5, v5, v8
	s_nop 0
	v_cndmask_b32_e64 v8, 0, 1, vcc
	v_lshlrev_b32_e32 v8, 2, v8
	v_add_lshl_u32 v39, v8, v55, 2
	ds_bpermute_b32 v8, v39, v5
	v_cmp_le_u32_e32 vcc, v40, v3
	s_waitcnt lgkmcnt(0)
	s_nop 0
	v_cndmask_b32_e32 v8, 0, v8, vcc
	v_cmp_gt_u32_e32 vcc, 56, v15
	v_add_u32_e32 v5, v5, v8
	s_nop 0
	v_cndmask_b32_e64 v8, 0, 1, vcc
	v_lshlrev_b32_e32 v8, 3, v8
	v_add_lshl_u32 v58, v8, v55, 2
	ds_bpermute_b32 v8, v58, v5
	v_cmp_le_u32_e32 vcc, v59, v3
	s_waitcnt lgkmcnt(0)
	s_nop 0
	;; [unrolled: 11-line block ×4, first 2 shown]
	v_cndmask_b32_e32 v3, 0, v8, vcc
	v_add_u32_e32 v8, v5, v3
	v_mov_b32_e32 v5, 0
	s_branch .LBB2252_86
.LBB2252_85:                            ;   in Loop: Header=BB2252_86 Depth=1
	s_or_b64 exec, exec, s[38:39]
	v_cmp_eq_u16_sdwa s[38:39], v9, v14 src0_sel:BYTE_0 src1_sel:DWORD
	ds_bpermute_b32 v64, v16, v8
	v_subrev_u32_e32 v4, 64, v4
	v_and_b32_e32 v10, s39, v7
	v_or_b32_e32 v10, 0x80000000, v10
	v_and_b32_e32 v11, s38, v6
	v_ffbl_b32_e32 v10, v10
	v_add_u32_e32 v10, 32, v10
	v_ffbl_b32_e32 v11, v11
	v_min_u32_e32 v10, v11, v10
	v_cmp_lt_u32_e32 vcc, v15, v10
	s_waitcnt lgkmcnt(0)
	s_nop 0
	v_cndmask_b32_e32 v11, 0, v64, vcc
	v_add_u32_e32 v8, v11, v8
	ds_bpermute_b32 v11, v17, v8
	v_cmp_le_u32_e32 vcc, v38, v10
	s_waitcnt lgkmcnt(0)
	s_nop 0
	v_cndmask_b32_e32 v11, 0, v11, vcc
	v_add_u32_e32 v8, v8, v11
	ds_bpermute_b32 v11, v39, v8
	v_cmp_le_u32_e32 vcc, v40, v10
	;; [unrolled: 6-line block ×5, first 2 shown]
	s_waitcnt lgkmcnt(0)
	s_nop 0
	v_cndmask_b32_e32 v10, 0, v11, vcc
	v_add3_u32 v8, v10, v3, v8
.LBB2252_86:                            ; =>This Loop Header: Depth=1
                                        ;     Child Loop BB2252_89 Depth 2
                                        ;       Child Loop BB2252_90 Depth 3
	v_cmp_ne_u16_sdwa s[38:39], v9, v14 src0_sel:BYTE_0 src1_sel:DWORD
	s_nop 1
	v_cndmask_b32_e64 v3, 0, 1, s[38:39]
	;;#ASMSTART
	;;#ASMEND
	s_nop 0
	v_cmp_ne_u32_e32 vcc, 0, v3
	s_cmp_lg_u64 vcc, exec
	v_mov_b32_e32 v3, v8
	s_cbranch_scc1 .LBB2252_93
; %bb.87:                               ;   in Loop: Header=BB2252_86 Depth=1
	v_lshl_add_u64 v[10:11], v[4:5], 3, s[34:35]
	global_load_dwordx2 v[8:9], v[10:11], off sc1
	s_waitcnt vmcnt(0)
	v_cmp_eq_u16_sdwa s[40:41], v9, v5 src0_sel:BYTE_0 src1_sel:DWORD
	s_and_saveexec_b64 s[38:39], s[40:41]
	s_cbranch_execz .LBB2252_85
; %bb.88:                               ;   in Loop: Header=BB2252_86 Depth=1
	s_mov_b32 s3, 1
	s_mov_b64 s[40:41], 0
.LBB2252_89:                            ;   Parent Loop BB2252_86 Depth=1
                                        ; =>  This Loop Header: Depth=2
                                        ;       Child Loop BB2252_90 Depth 3
	s_max_u32 s42, s3, 1
.LBB2252_90:                            ;   Parent Loop BB2252_86 Depth=1
                                        ;     Parent Loop BB2252_89 Depth=2
                                        ; =>    This Inner Loop Header: Depth=3
	s_add_i32 s42, s42, -1
	s_cmp_eq_u32 s42, 0
	s_sleep 1
	s_cbranch_scc0 .LBB2252_90
; %bb.91:                               ;   in Loop: Header=BB2252_89 Depth=2
	global_load_dwordx2 v[8:9], v[10:11], off sc1
	s_cmp_lt_u32 s3, 32
	s_cselect_b64 s[42:43], -1, 0
	s_cmp_lg_u64 s[42:43], 0
	s_addc_u32 s3, s3, 0
	s_waitcnt vmcnt(0)
	v_cmp_ne_u16_sdwa s[42:43], v9, v5 src0_sel:BYTE_0 src1_sel:DWORD
	s_or_b64 s[40:41], s[42:43], s[40:41]
	s_andn2_b64 exec, exec, s[40:41]
	s_cbranch_execnz .LBB2252_89
; %bb.92:                               ;   in Loop: Header=BB2252_86 Depth=1
	s_or_b64 exec, exec, s[40:41]
	s_branch .LBB2252_85
.LBB2252_93:                            ;   in Loop: Header=BB2252_86 Depth=1
                                        ; implicit-def: $vgpr8
                                        ; implicit-def: $vgpr9
	s_cbranch_execz .LBB2252_86
; %bb.94:
	s_and_saveexec_b64 s[38:39], s[16:17]
	s_cbranch_execz .LBB2252_96
; %bb.95:
	s_add_i32 s2, s2, 64
	s_mov_b32 s3, 0
	s_lshl_b64 s[2:3], s[2:3], 3
	s_add_u32 s2, s34, s2
	v_add_u32_e32 v4, v3, v2
	v_mov_b32_e32 v5, 2
	s_addc_u32 s3, s35, s3
	v_mov_b32_e32 v6, 0
	global_store_dwordx2 v6, v[4:5], s[2:3] sc1
	ds_write_b64 v6, v[2:3] offset:30720
.LBB2252_96:
	s_or_b64 exec, exec, s[38:39]
	v_cmp_eq_u32_e32 vcc, 0, v0
	s_and_b64 exec, exec, vcc
	s_cbranch_execz .LBB2252_98
; %bb.97:
	v_mov_b32_e32 v2, 0
	ds_write_b32 v2, v3 offset:28
.LBB2252_98:
	s_or_b64 exec, exec, s[36:37]
	v_mov_b32_e32 v14, 0
	s_waitcnt lgkmcnt(0)
	s_barrier
	ds_read_b32 v2, v14 offset:28
	v_cndmask_b32_e64 v3, v13, v12, s[16:17]
	v_cmp_ne_u32_e32 vcc, 0, v0
	s_waitcnt lgkmcnt(0)
	s_barrier
	v_cndmask_b32_e32 v3, 0, v3, vcc
	v_add_u32_e32 v2, v2, v3
	v_add_u32_e32 v3, v2, v52
	;; [unrolled: 1-line block ×10, first 2 shown]
	ds_read_b64 v[38:39], v14 offset:30720
	v_add_u32_e32 v12, v11, v47
	v_add_u32_e32 v13, v12, v48
	v_add_u32_e32 v14, v13, v42
	v_add_u32_e32 v15, v14, v43
	v_add_u32_e32 v16, v15, v41
	s_waitcnt lgkmcnt(0)
	v_mov_b32_e32 v40, v39
	s_branch .LBB2252_109
.LBB2252_99:
                                        ; implicit-def: $vgpr40
                                        ; implicit-def: $vgpr38
                                        ; implicit-def: $vgpr2_vgpr3_vgpr4_vgpr5_vgpr6_vgpr7_vgpr8_vgpr9_vgpr10_vgpr11_vgpr12_vgpr13_vgpr14_vgpr15_vgpr16_vgpr17
	s_cbranch_execz .LBB2252_109
; %bb.100:
	s_nop 0
	v_mov_b32_dpp v2, v57 row_shr:1 row_mask:0xf bank_mask:0xf
	v_cndmask_b32_e64 v2, v2, 0, s[14:15]
	v_add_u32_e32 v2, v2, v57
	s_nop 1
	v_mov_b32_dpp v3, v2 row_shr:2 row_mask:0xf bank_mask:0xf
	v_cndmask_b32_e64 v3, 0, v3, s[12:13]
	v_add_u32_e32 v2, v2, v3
	;; [unrolled: 4-line block ×4, first 2 shown]
	s_nop 1
	v_mov_b32_dpp v3, v2 row_bcast:15 row_mask:0xf bank_mask:0xf
	v_cndmask_b32_e64 v3, v3, 0, s[6:7]
	v_add_u32_e32 v2, v2, v3
	s_nop 1
	v_mov_b32_dpp v3, v2 row_bcast:31 row_mask:0xf bank_mask:0xf
	v_cndmask_b32_e64 v3, 0, v3, s[18:19]
	v_add_u32_e32 v2, v2, v3
	s_and_saveexec_b64 s[2:3], s[4:5]
	s_cbranch_execz .LBB2252_102
; %bb.101:
	v_lshlrev_b32_e32 v3, 2, v56
	ds_write_b32 v3, v2
.LBB2252_102:
	s_or_b64 exec, exec, s[2:3]
	v_cmp_gt_u32_e32 vcc, 8, v0
	s_waitcnt lgkmcnt(0)
	s_barrier
	s_and_saveexec_b64 s[2:3], vcc
	s_cbranch_execz .LBB2252_104
; %bb.103:
	v_mad_i32_i24 v3, v0, -11, v21
	ds_read_b32 v4, v3
	v_and_b32_e32 v5, 7, v55
	v_cmp_ne_u32_e32 vcc, 0, v5
	s_waitcnt lgkmcnt(0)
	v_mov_b32_dpp v6, v4 row_shr:1 row_mask:0xf bank_mask:0xf
	v_cndmask_b32_e32 v6, 0, v6, vcc
	v_add_u32_e32 v4, v6, v4
	v_cmp_lt_u32_e32 vcc, 1, v5
	s_nop 0
	v_mov_b32_dpp v6, v4 row_shr:2 row_mask:0xf bank_mask:0xf
	v_cndmask_b32_e32 v6, 0, v6, vcc
	v_add_u32_e32 v4, v4, v6
	v_cmp_lt_u32_e32 vcc, 3, v5
	s_nop 0
	v_mov_b32_dpp v6, v4 row_shr:4 row_mask:0xf bank_mask:0xf
	v_cndmask_b32_e32 v5, 0, v6, vcc
	v_add_u32_e32 v4, v4, v5
	ds_write_b32 v3, v4
.LBB2252_104:
	s_or_b64 exec, exec, s[2:3]
	v_cmp_lt_u32_e32 vcc, 63, v0
	v_mov_b32_e32 v4, 0
	v_mov_b32_e32 v3, 0
	s_waitcnt lgkmcnt(0)
	s_barrier
	s_and_saveexec_b64 s[2:3], vcc
	s_cbranch_execz .LBB2252_106
; %bb.105:
	v_lshl_add_u32 v3, v56, 2, -4
	ds_read_b32 v3, v3
.LBB2252_106:
	s_or_b64 exec, exec, s[2:3]
	v_add_u32_e32 v5, -1, v55
	v_and_b32_e32 v6, 64, v55
	v_cmp_lt_i32_e32 vcc, v5, v6
	s_waitcnt lgkmcnt(0)
	v_add_u32_e32 v2, v3, v2
	ds_read_b32 v38, v4 offset:28
	v_cndmask_b32_e32 v5, v5, v55, vcc
	v_lshlrev_b32_e32 v5, 2, v5
	ds_bpermute_b32 v2, v5, v2
	v_cmp_eq_u32_e32 vcc, 0, v0
	s_and_saveexec_b64 s[2:3], vcc
	s_cbranch_execz .LBB2252_108
; %bb.107:
	v_mov_b32_e32 v4, 0
	v_mov_b32_e32 v39, 2
	s_waitcnt lgkmcnt(1)
	global_store_dwordx2 v4, v[38:39], s[34:35] offset:512 sc1
.LBB2252_108:
	s_or_b64 exec, exec, s[2:3]
	v_cmp_eq_u32_e64 s[2:3], 0, v55
	v_mov_b32_e32 v40, 0
	s_waitcnt lgkmcnt(0)
	v_cndmask_b32_e64 v2, v2, v3, s[2:3]
	v_cndmask_b32_e64 v2, v2, 0, vcc
	v_add_u32_e32 v3, v2, v52
	v_add_u32_e32 v4, v3, v53
	;; [unrolled: 1-line block ×14, first 2 shown]
	s_barrier
.LBB2252_109:
	v_add_u32_e32 v21, v38, v21
	v_sub_u32_e32 v2, v2, v40
	v_and_b32_e32 v48, 1, v18
	v_sub_u32_e32 v47, v21, v2
	v_cmp_eq_u32_e32 vcc, 1, v48
	v_lshrrev_b32_e32 v46, 8, v18
	v_lshrrev_b32_e32 v39, 8, v19
	v_cndmask_b32_e32 v2, v47, v2, vcc
	v_lshlrev_b32_e32 v2, 2, v2
	ds_write_b32 v2, v36
	v_sub_u32_e32 v2, v3, v40
	v_sub_u32_e32 v3, v21, v2
	v_and_b32_e32 v36, 1, v46
	v_add_u32_e32 v3, 1, v3
	v_cmp_eq_u32_e32 vcc, 1, v36
	v_lshrrev_b32_e32 v17, 8, v20
	s_load_dwordx4 s[0:3], s[0:1], 0x30
	v_cndmask_b32_e32 v2, v3, v2, vcc
	v_lshlrev_b32_e32 v2, 2, v2
	ds_write_b32 v2, v37
	v_sub_u32_e32 v2, v4, v40
	v_mov_b32_e32 v4, 1
	v_sub_u32_e32 v3, v21, v2
	v_and_b32_sdwa v18, v4, v18 dst_sel:DWORD dst_unused:UNUSED_PAD src0_sel:DWORD src1_sel:WORD_1
	v_add_u32_e32 v3, 2, v3
	v_cmp_eq_u32_e32 vcc, 1, v18
	v_or_b32_e32 v37, 0x200, v0
	v_or_b32_e32 v36, 0x400, v0
	v_cndmask_b32_e32 v2, v3, v2, vcc
	v_lshlrev_b32_e32 v2, 2, v2
	ds_write_b32 v2, v34
	v_sub_u32_e32 v2, v5, v40
	v_sub_u32_e32 v3, v21, v2
	v_and_b32_e32 v5, 1, v45
	v_add_u32_e32 v3, 3, v3
	v_cmp_eq_u32_e32 vcc, 1, v5
	v_and_b32_e32 v5, 1, v19
	v_or_b32_e32 v34, 0x800, v0
	v_cndmask_b32_e32 v2, v3, v2, vcc
	v_lshlrev_b32_e32 v2, 2, v2
	ds_write_b32 v2, v35
	v_sub_u32_e32 v2, v6, v40
	v_sub_u32_e32 v3, v21, v2
	v_add_u32_e32 v3, 4, v3
	v_cmp_eq_u32_e32 vcc, 1, v5
	v_and_b32_e32 v5, 1, v39
	v_or_b32_e32 v35, 0x600, v0
	v_cndmask_b32_e32 v2, v3, v2, vcc
	v_lshlrev_b32_e32 v2, 2, v2
	ds_write_b32 v2, v32
	v_sub_u32_e32 v2, v7, v40
	v_sub_u32_e32 v3, v21, v2
	v_add_u32_e32 v3, 5, v3
	v_cmp_eq_u32_e32 vcc, 1, v5
	v_and_b32_sdwa v5, v4, v19 dst_sel:DWORD dst_unused:UNUSED_PAD src0_sel:DWORD src1_sel:WORD_1
	v_and_b32_sdwa v4, v4, v20 dst_sel:DWORD dst_unused:UNUSED_PAD src0_sel:DWORD src1_sel:WORD_1
	v_cndmask_b32_e32 v2, v3, v2, vcc
	v_lshlrev_b32_e32 v2, 2, v2
	ds_write_b32 v2, v33
	v_sub_u32_e32 v2, v8, v40
	v_sub_u32_e32 v3, v21, v2
	v_add_u32_e32 v3, 6, v3
	v_cmp_eq_u32_e32 vcc, 1, v5
	v_and_b32_e32 v5, 1, v44
	v_mov_b32_e32 v7, s27
	v_cndmask_b32_e32 v2, v3, v2, vcc
	v_lshlrev_b32_e32 v2, 2, v2
	ds_write_b32 v2, v30
	v_sub_u32_e32 v2, v9, v40
	v_sub_u32_e32 v3, v21, v2
	v_add_u32_e32 v3, 7, v3
	v_cmp_eq_u32_e32 vcc, 1, v5
	v_and_b32_e32 v5, 1, v20
	v_or_b32_e32 v33, 0xa00, v0
	v_cndmask_b32_e32 v2, v3, v2, vcc
	v_lshlrev_b32_e32 v2, 2, v2
	ds_write_b32 v2, v31
	v_sub_u32_e32 v2, v10, v40
	v_sub_u32_e32 v3, v21, v2
	v_add_u32_e32 v3, 8, v3
	v_cmp_eq_u32_e32 vcc, 1, v5
	v_and_b32_e32 v5, 1, v17
	v_or_b32_e32 v32, 0xc00, v0
	v_cndmask_b32_e32 v2, v3, v2, vcc
	v_lshlrev_b32_e32 v2, 2, v2
	ds_write_b32 v2, v28
	v_sub_u32_e32 v2, v11, v40
	v_sub_u32_e32 v3, v21, v2
	v_add_u32_e32 v3, 9, v3
	v_cmp_eq_u32_e32 vcc, 1, v5
	v_or_b32_e32 v31, 0xe00, v0
	v_or_b32_e32 v30, 0x1000, v0
	v_cndmask_b32_e32 v2, v3, v2, vcc
	v_lshlrev_b32_e32 v2, 2, v2
	ds_write_b32 v2, v29
	v_sub_u32_e32 v2, v12, v40
	v_sub_u32_e32 v3, v21, v2
	v_add_u32_e32 v3, 10, v3
	v_cmp_eq_u32_e32 vcc, 1, v4
	v_and_b32_e32 v4, 1, v42
	v_or_b32_e32 v29, 0x1200, v0
	v_cndmask_b32_e32 v2, v3, v2, vcc
	v_lshlrev_b32_e32 v2, 2, v2
	ds_write_b32 v2, v26
	v_sub_u32_e32 v2, v13, v40
	v_sub_u32_e32 v3, v21, v2
	v_add_u32_e32 v3, 11, v3
	v_cmp_eq_u32_e32 vcc, 1, v4
	v_or_b32_e32 v28, 0x1400, v0
	v_or_b32_e32 v26, 0x1800, v0
	v_cndmask_b32_e32 v2, v3, v2, vcc
	v_lshlrev_b32_e32 v2, 2, v2
	ds_write_b32 v2, v27
	v_sub_u32_e32 v2, v14, v40
	v_sub_u32_e32 v3, v21, v2
	v_add_u32_e32 v3, 12, v3
	v_cmp_eq_u32_e32 vcc, 1, v43
	v_or_b32_e32 v27, 0x1600, v0
	s_nop 0
	v_cndmask_b32_e32 v2, v3, v2, vcc
	v_lshlrev_b32_e32 v2, 2, v2
	ds_write_b32 v2, v24
	v_sub_u32_e32 v2, v15, v40
	v_sub_u32_e32 v3, v21, v2
	v_add_u32_e32 v3, 13, v3
	v_cmp_eq_u32_e32 vcc, 1, v41
	v_mov_b32_e32 v41, 0
	v_lshl_add_u64 v[8:9], s[28:29], 0, v[40:41]
	v_cndmask_b32_e32 v2, v3, v2, vcc
	v_lshlrev_b32_e32 v2, 2, v2
	ds_write_b32 v2, v25
	v_sub_u32_e32 v2, v16, v40
	v_sub_u32_e32 v3, v21, v2
	v_add_u32_e32 v3, 14, v3
	v_cmp_eq_u32_e32 vcc, 1, v23
	v_mov_b32_e32 v39, v41
	v_or_b32_e32 v25, 0x1a00, v0
	v_cndmask_b32_e32 v2, v3, v2, vcc
	v_lshlrev_b32_e32 v2, 2, v2
	ds_write_b32 v2, v1
	v_lshl_add_u64 v[2:3], v[8:9], 0, v[38:39]
	s_waitcnt lgkmcnt(0)
	s_barrier
	ds_read2st64_b32 v[20:21], v22 offset1:8
	ds_read2st64_b32 v[18:19], v22 offset0:16 offset1:24
	ds_read2st64_b32 v[16:17], v22 offset0:32 offset1:40
	ds_read2st64_b32 v[14:15], v22 offset0:48 offset1:56
	ds_read2st64_b32 v[12:13], v22 offset0:64 offset1:72
	ds_read2st64_b32 v[10:11], v22 offset0:80 offset1:88
	ds_read2st64_b32 v[4:5], v22 offset0:96 offset1:104
	ds_read_b32 v1, v22 offset:28672
	v_sub_co_u32_e32 v6, vcc, s26, v2
	v_lshlrev_b64 v[8:9], 2, v[8:9]
	s_nop 0
	v_subb_co_u32_e32 v7, vcc, v7, v3, vcc
	v_lshlrev_b64 v[6:7], 2, v[6:7]
	v_lshl_add_u64 v[6:7], s[2:3], 0, v[6:7]
	v_or_b32_e32 v24, 0x1c00, v0
	v_lshl_add_u64 v[6:7], v[6:7], 0, s[30:31]
	s_andn2_b64 vcc, exec, s[24:25]
	v_lshl_add_u64 v[8:9], s[0:1], 0, v[8:9]
	s_cbranch_vccnz .LBB2252_111
; %bb.110:
	v_cmp_gt_u32_e32 vcc, v38, v0
	v_mov_b32_e32 v23, v41
	v_lshlrev_b32_e32 v40, 2, v36
	v_cndmask_b32_e32 v43, v7, v9, vcc
	v_cndmask_b32_e32 v42, v6, v8, vcc
	v_lshl_add_u64 v[42:43], v[42:43], 0, v[22:23]
	v_cmp_lt_u32_e32 vcc, v37, v38
	s_waitcnt lgkmcnt(7)
	global_store_dword v[42:43], v20, off
	v_cndmask_b32_e32 v43, v7, v9, vcc
	v_cndmask_b32_e32 v42, v6, v8, vcc
	v_lshl_add_u64 v[42:43], v[42:43], 0, v[22:23]
	v_cmp_lt_u32_e32 vcc, v36, v38
	global_store_dword v[42:43], v21, off offset:2048
	s_mov_b64 s[0:1], -1
	v_cndmask_b32_e32 v43, v7, v9, vcc
	v_cndmask_b32_e32 v42, v6, v8, vcc
	v_lshl_add_u64 v[42:43], v[42:43], 0, v[40:41]
	v_cmp_lt_u32_e32 vcc, v35, v38
	s_waitcnt lgkmcnt(6)
	global_store_dword v[42:43], v18, off
	v_lshlrev_b32_e32 v40, 2, v35
	v_cndmask_b32_e32 v43, v7, v9, vcc
	v_cndmask_b32_e32 v42, v6, v8, vcc
	v_lshl_add_u64 v[42:43], v[42:43], 0, v[40:41]
	v_cmp_lt_u32_e32 vcc, v34, v38
	global_store_dword v[42:43], v19, off
	v_lshlrev_b32_e32 v40, 2, v34
	v_cndmask_b32_e32 v43, v7, v9, vcc
	v_cndmask_b32_e32 v42, v6, v8, vcc
	v_lshl_add_u64 v[42:43], v[42:43], 0, v[40:41]
	v_cmp_lt_u32_e32 vcc, v33, v38
	s_waitcnt lgkmcnt(5)
	global_store_dword v[42:43], v16, off
	v_lshlrev_b32_e32 v40, 2, v33
	v_cndmask_b32_e32 v43, v7, v9, vcc
	v_cndmask_b32_e32 v42, v6, v8, vcc
	v_lshl_add_u64 v[42:43], v[42:43], 0, v[40:41]
	v_cmp_lt_u32_e32 vcc, v32, v38
	global_store_dword v[42:43], v17, off
	v_lshlrev_b32_e32 v40, 2, v32
	;; [unrolled: 13-line block ×5, first 2 shown]
	v_cndmask_b32_e32 v43, v7, v9, vcc
	v_cndmask_b32_e32 v42, v6, v8, vcc
	v_lshl_add_u64 v[42:43], v[42:43], 0, v[40:41]
	v_cmp_lt_u32_e32 vcc, v25, v38
	s_waitcnt lgkmcnt(1)
	global_store_dword v[42:43], v4, off
	v_lshlrev_b32_e32 v40, 2, v25
	v_cndmask_b32_e32 v43, v7, v9, vcc
	v_cndmask_b32_e32 v42, v6, v8, vcc
	v_lshl_add_u64 v[40:41], v[42:43], 0, v[40:41]
	global_store_dword v[40:41], v5, off
	s_cbranch_execz .LBB2252_112
	s_branch .LBB2252_128
.LBB2252_111:
	s_mov_b64 s[0:1], 0
.LBB2252_112:
	v_cmp_gt_u32_e32 vcc, s33, v0
	s_and_saveexec_b64 s[0:1], vcc
	s_cbranch_execnz .LBB2252_133
; %bb.113:
	s_or_b64 exec, exec, s[0:1]
	v_cmp_gt_u32_e32 vcc, s33, v37
	s_and_saveexec_b64 s[0:1], vcc
	s_cbranch_execnz .LBB2252_134
.LBB2252_114:
	s_or_b64 exec, exec, s[0:1]
	v_cmp_gt_u32_e32 vcc, s33, v36
	s_and_saveexec_b64 s[0:1], vcc
	s_cbranch_execnz .LBB2252_135
.LBB2252_115:
	s_or_b64 exec, exec, s[0:1]
	v_cmp_gt_u32_e32 vcc, s33, v35
	s_and_saveexec_b64 s[0:1], vcc
	s_cbranch_execnz .LBB2252_136
.LBB2252_116:
	s_or_b64 exec, exec, s[0:1]
	v_cmp_gt_u32_e32 vcc, s33, v34
	s_and_saveexec_b64 s[0:1], vcc
	s_cbranch_execnz .LBB2252_137
.LBB2252_117:
	s_or_b64 exec, exec, s[0:1]
	v_cmp_gt_u32_e32 vcc, s33, v33
	s_and_saveexec_b64 s[0:1], vcc
	s_cbranch_execnz .LBB2252_138
.LBB2252_118:
	s_or_b64 exec, exec, s[0:1]
	v_cmp_gt_u32_e32 vcc, s33, v32
	s_and_saveexec_b64 s[0:1], vcc
	s_cbranch_execnz .LBB2252_139
.LBB2252_119:
	s_or_b64 exec, exec, s[0:1]
	v_cmp_gt_u32_e32 vcc, s33, v31
	s_and_saveexec_b64 s[0:1], vcc
	s_cbranch_execnz .LBB2252_140
.LBB2252_120:
	s_or_b64 exec, exec, s[0:1]
	v_cmp_gt_u32_e32 vcc, s33, v30
	s_and_saveexec_b64 s[0:1], vcc
	s_cbranch_execnz .LBB2252_141
.LBB2252_121:
	s_or_b64 exec, exec, s[0:1]
	v_cmp_gt_u32_e32 vcc, s33, v29
	s_and_saveexec_b64 s[0:1], vcc
	s_cbranch_execnz .LBB2252_142
.LBB2252_122:
	s_or_b64 exec, exec, s[0:1]
	v_cmp_gt_u32_e32 vcc, s33, v28
	s_and_saveexec_b64 s[0:1], vcc
	s_cbranch_execnz .LBB2252_143
.LBB2252_123:
	s_or_b64 exec, exec, s[0:1]
	v_cmp_gt_u32_e32 vcc, s33, v27
	s_and_saveexec_b64 s[0:1], vcc
	s_cbranch_execnz .LBB2252_144
.LBB2252_124:
	s_or_b64 exec, exec, s[0:1]
	v_cmp_gt_u32_e32 vcc, s33, v26
	s_and_saveexec_b64 s[0:1], vcc
	s_cbranch_execnz .LBB2252_145
.LBB2252_125:
	s_or_b64 exec, exec, s[0:1]
	v_cmp_gt_u32_e32 vcc, s33, v25
	s_and_saveexec_b64 s[0:1], vcc
	s_cbranch_execz .LBB2252_127
.LBB2252_126:
	v_cmp_lt_u32_e32 vcc, v25, v38
	s_waitcnt lgkmcnt(3)
	v_lshlrev_b32_e32 v12, 2, v25
	v_mov_b32_e32 v13, 0
	s_waitcnt lgkmcnt(2)
	v_cndmask_b32_e32 v11, v7, v9, vcc
	v_cndmask_b32_e32 v10, v6, v8, vcc
	v_lshl_add_u64 v[10:11], v[10:11], 0, v[12:13]
	s_waitcnt lgkmcnt(1)
	global_store_dword v[10:11], v5, off
.LBB2252_127:
	s_or_b64 exec, exec, s[0:1]
	v_cmp_gt_u32_e64 s[0:1], s33, v24
.LBB2252_128:
	s_and_saveexec_b64 s[2:3], s[0:1]
	s_cbranch_execz .LBB2252_130
; %bb.129:
	v_cmp_lt_u32_e32 vcc, v24, v38
	s_waitcnt lgkmcnt(1)
	s_nop 0
	v_cndmask_b32_e32 v5, v7, v9, vcc
	v_cndmask_b32_e32 v4, v6, v8, vcc
	v_lshlrev_b32_e32 v6, 2, v24
	v_mov_b32_e32 v7, 0
	v_lshl_add_u64 v[4:5], v[4:5], 0, v[6:7]
	s_waitcnt lgkmcnt(0)
	global_store_dword v[4:5], v1, off
.LBB2252_130:
	s_or_b64 exec, exec, s[2:3]
	v_cmp_eq_u32_e32 vcc, 0, v0
	s_and_b64 s[0:1], vcc, s[22:23]
	s_and_saveexec_b64 s[2:3], s[0:1]
	s_cbranch_execz .LBB2252_132
; %bb.131:
	v_mov_b32_e32 v0, 0
	global_store_dwordx2 v0, v[2:3], s[20:21]
.LBB2252_132:
	s_endpgm
.LBB2252_133:
	v_cmp_gt_u32_e32 vcc, v38, v0
	v_mov_b32_e32 v23, 0
	s_nop 0
	v_cndmask_b32_e32 v41, v7, v9, vcc
	v_cndmask_b32_e32 v40, v6, v8, vcc
	v_lshl_add_u64 v[40:41], v[40:41], 0, v[22:23]
	s_waitcnt lgkmcnt(7)
	global_store_dword v[40:41], v20, off
	s_or_b64 exec, exec, s[0:1]
	v_cmp_gt_u32_e32 vcc, s33, v37
	s_and_saveexec_b64 s[0:1], vcc
	s_cbranch_execz .LBB2252_114
.LBB2252_134:
	v_cmp_lt_u32_e32 vcc, v37, v38
	v_mov_b32_e32 v23, 0
	s_nop 0
	v_cndmask_b32_e32 v41, v7, v9, vcc
	v_cndmask_b32_e32 v40, v6, v8, vcc
	v_lshl_add_u64 v[22:23], v[40:41], 0, v[22:23]
	s_waitcnt lgkmcnt(7)
	global_store_dword v[22:23], v21, off offset:2048
	s_or_b64 exec, exec, s[0:1]
	v_cmp_gt_u32_e32 vcc, s33, v36
	s_and_saveexec_b64 s[0:1], vcc
	s_cbranch_execz .LBB2252_115
.LBB2252_135:
	v_cmp_lt_u32_e32 vcc, v36, v38
	v_lshlrev_b32_e32 v22, 2, v36
	v_mov_b32_e32 v23, 0
	s_waitcnt lgkmcnt(7)
	v_cndmask_b32_e32 v21, v7, v9, vcc
	v_cndmask_b32_e32 v20, v6, v8, vcc
	v_lshl_add_u64 v[20:21], v[20:21], 0, v[22:23]
	s_waitcnt lgkmcnt(6)
	global_store_dword v[20:21], v18, off
	s_or_b64 exec, exec, s[0:1]
	v_cmp_gt_u32_e32 vcc, s33, v35
	s_and_saveexec_b64 s[0:1], vcc
	s_cbranch_execz .LBB2252_116
.LBB2252_136:
	v_cmp_lt_u32_e32 vcc, v35, v38
	v_lshlrev_b32_e32 v22, 2, v35
	v_mov_b32_e32 v23, 0
	s_waitcnt lgkmcnt(7)
	v_cndmask_b32_e32 v21, v7, v9, vcc
	v_cndmask_b32_e32 v20, v6, v8, vcc
	v_lshl_add_u64 v[20:21], v[20:21], 0, v[22:23]
	s_waitcnt lgkmcnt(6)
	global_store_dword v[20:21], v19, off
	s_or_b64 exec, exec, s[0:1]
	v_cmp_gt_u32_e32 vcc, s33, v34
	s_and_saveexec_b64 s[0:1], vcc
	s_cbranch_execz .LBB2252_117
.LBB2252_137:
	v_cmp_lt_u32_e32 vcc, v34, v38
	s_waitcnt lgkmcnt(7)
	v_lshlrev_b32_e32 v20, 2, v34
	v_mov_b32_e32 v21, 0
	s_waitcnt lgkmcnt(6)
	v_cndmask_b32_e32 v19, v7, v9, vcc
	v_cndmask_b32_e32 v18, v6, v8, vcc
	v_lshl_add_u64 v[18:19], v[18:19], 0, v[20:21]
	s_waitcnt lgkmcnt(5)
	global_store_dword v[18:19], v16, off
	s_or_b64 exec, exec, s[0:1]
	v_cmp_gt_u32_e32 vcc, s33, v33
	s_and_saveexec_b64 s[0:1], vcc
	s_cbranch_execz .LBB2252_118
.LBB2252_138:
	v_cmp_lt_u32_e32 vcc, v33, v38
	s_waitcnt lgkmcnt(7)
	v_lshlrev_b32_e32 v20, 2, v33
	v_mov_b32_e32 v21, 0
	s_waitcnt lgkmcnt(6)
	v_cndmask_b32_e32 v19, v7, v9, vcc
	v_cndmask_b32_e32 v18, v6, v8, vcc
	v_lshl_add_u64 v[18:19], v[18:19], 0, v[20:21]
	s_waitcnt lgkmcnt(5)
	global_store_dword v[18:19], v17, off
	s_or_b64 exec, exec, s[0:1]
	v_cmp_gt_u32_e32 vcc, s33, v32
	s_and_saveexec_b64 s[0:1], vcc
	s_cbranch_execz .LBB2252_119
.LBB2252_139:
	v_cmp_lt_u32_e32 vcc, v32, v38
	s_waitcnt lgkmcnt(6)
	v_lshlrev_b32_e32 v18, 2, v32
	v_mov_b32_e32 v19, 0
	s_waitcnt lgkmcnt(5)
	v_cndmask_b32_e32 v17, v7, v9, vcc
	v_cndmask_b32_e32 v16, v6, v8, vcc
	v_lshl_add_u64 v[16:17], v[16:17], 0, v[18:19]
	s_waitcnt lgkmcnt(4)
	global_store_dword v[16:17], v14, off
	s_or_b64 exec, exec, s[0:1]
	v_cmp_gt_u32_e32 vcc, s33, v31
	s_and_saveexec_b64 s[0:1], vcc
	s_cbranch_execz .LBB2252_120
.LBB2252_140:
	v_cmp_lt_u32_e32 vcc, v31, v38
	s_waitcnt lgkmcnt(6)
	v_lshlrev_b32_e32 v18, 2, v31
	v_mov_b32_e32 v19, 0
	s_waitcnt lgkmcnt(5)
	v_cndmask_b32_e32 v17, v7, v9, vcc
	v_cndmask_b32_e32 v16, v6, v8, vcc
	v_lshl_add_u64 v[16:17], v[16:17], 0, v[18:19]
	s_waitcnt lgkmcnt(4)
	global_store_dword v[16:17], v15, off
	s_or_b64 exec, exec, s[0:1]
	v_cmp_gt_u32_e32 vcc, s33, v30
	s_and_saveexec_b64 s[0:1], vcc
	s_cbranch_execz .LBB2252_121
.LBB2252_141:
	v_cmp_lt_u32_e32 vcc, v30, v38
	s_waitcnt lgkmcnt(5)
	v_lshlrev_b32_e32 v16, 2, v30
	v_mov_b32_e32 v17, 0
	s_waitcnt lgkmcnt(4)
	v_cndmask_b32_e32 v15, v7, v9, vcc
	v_cndmask_b32_e32 v14, v6, v8, vcc
	v_lshl_add_u64 v[14:15], v[14:15], 0, v[16:17]
	s_waitcnt lgkmcnt(3)
	global_store_dword v[14:15], v12, off
	s_or_b64 exec, exec, s[0:1]
	v_cmp_gt_u32_e32 vcc, s33, v29
	s_and_saveexec_b64 s[0:1], vcc
	s_cbranch_execz .LBB2252_122
.LBB2252_142:
	v_cmp_lt_u32_e32 vcc, v29, v38
	s_waitcnt lgkmcnt(5)
	v_lshlrev_b32_e32 v16, 2, v29
	v_mov_b32_e32 v17, 0
	s_waitcnt lgkmcnt(4)
	v_cndmask_b32_e32 v15, v7, v9, vcc
	v_cndmask_b32_e32 v14, v6, v8, vcc
	v_lshl_add_u64 v[14:15], v[14:15], 0, v[16:17]
	s_waitcnt lgkmcnt(3)
	global_store_dword v[14:15], v13, off
	s_or_b64 exec, exec, s[0:1]
	v_cmp_gt_u32_e32 vcc, s33, v28
	s_and_saveexec_b64 s[0:1], vcc
	s_cbranch_execz .LBB2252_123
.LBB2252_143:
	v_cmp_lt_u32_e32 vcc, v28, v38
	s_waitcnt lgkmcnt(4)
	v_lshlrev_b32_e32 v14, 2, v28
	v_mov_b32_e32 v15, 0
	s_waitcnt lgkmcnt(3)
	v_cndmask_b32_e32 v13, v7, v9, vcc
	v_cndmask_b32_e32 v12, v6, v8, vcc
	v_lshl_add_u64 v[12:13], v[12:13], 0, v[14:15]
	s_waitcnt lgkmcnt(2)
	global_store_dword v[12:13], v10, off
	s_or_b64 exec, exec, s[0:1]
	v_cmp_gt_u32_e32 vcc, s33, v27
	s_and_saveexec_b64 s[0:1], vcc
	s_cbranch_execz .LBB2252_124
.LBB2252_144:
	v_cmp_lt_u32_e32 vcc, v27, v38
	s_waitcnt lgkmcnt(4)
	v_lshlrev_b32_e32 v14, 2, v27
	v_mov_b32_e32 v15, 0
	s_waitcnt lgkmcnt(3)
	v_cndmask_b32_e32 v13, v7, v9, vcc
	v_cndmask_b32_e32 v12, v6, v8, vcc
	v_lshl_add_u64 v[12:13], v[12:13], 0, v[14:15]
	s_waitcnt lgkmcnt(2)
	global_store_dword v[12:13], v11, off
	s_or_b64 exec, exec, s[0:1]
	v_cmp_gt_u32_e32 vcc, s33, v26
	s_and_saveexec_b64 s[0:1], vcc
	s_cbranch_execz .LBB2252_125
.LBB2252_145:
	v_cmp_lt_u32_e32 vcc, v26, v38
	s_waitcnt lgkmcnt(3)
	v_lshlrev_b32_e32 v12, 2, v26
	v_mov_b32_e32 v13, 0
	s_waitcnt lgkmcnt(2)
	v_cndmask_b32_e32 v11, v7, v9, vcc
	v_cndmask_b32_e32 v10, v6, v8, vcc
	v_lshl_add_u64 v[10:11], v[10:11], 0, v[12:13]
	s_waitcnt lgkmcnt(1)
	global_store_dword v[10:11], v4, off
	s_or_b64 exec, exec, s[0:1]
	v_cmp_gt_u32_e32 vcc, s33, v25
	s_and_saveexec_b64 s[0:1], vcc
	s_cbranch_execnz .LBB2252_126
	s_branch .LBB2252_127
	.section	.rodata,"a",@progbits
	.p2align	6, 0x0
	.amdhsa_kernel _ZN7rocprim17ROCPRIM_400000_NS6detail17trampoline_kernelINS0_14default_configENS1_25partition_config_selectorILNS1_17partition_subalgoE1EjNS0_10empty_typeEbEEZZNS1_14partition_implILS5_1ELb0ES3_jN6thrust23THRUST_200600_302600_NS6detail15normal_iteratorINSA_10device_ptrIjEEEEPS6_NSA_18transform_iteratorI7is_evenIjESF_NSA_11use_defaultESK_EENS0_5tupleIJSF_SF_EEENSM_IJSG_SG_EEES6_PlJS6_EEE10hipError_tPvRmT3_T4_T5_T6_T7_T9_mT8_P12ihipStream_tbDpT10_ENKUlT_T0_E_clISt17integral_constantIbLb1EES18_IbLb0EEEEDaS14_S15_EUlS14_E_NS1_11comp_targetILNS1_3genE5ELNS1_11target_archE942ELNS1_3gpuE9ELNS1_3repE0EEENS1_30default_config_static_selectorELNS0_4arch9wavefront6targetE1EEEvT1_
		.amdhsa_group_segment_fixed_size 30728
		.amdhsa_private_segment_fixed_size 0
		.amdhsa_kernarg_size 128
		.amdhsa_user_sgpr_count 2
		.amdhsa_user_sgpr_dispatch_ptr 0
		.amdhsa_user_sgpr_queue_ptr 0
		.amdhsa_user_sgpr_kernarg_segment_ptr 1
		.amdhsa_user_sgpr_dispatch_id 0
		.amdhsa_user_sgpr_kernarg_preload_length 0
		.amdhsa_user_sgpr_kernarg_preload_offset 0
		.amdhsa_user_sgpr_private_segment_size 0
		.amdhsa_uses_dynamic_stack 0
		.amdhsa_enable_private_segment 0
		.amdhsa_system_sgpr_workgroup_id_x 1
		.amdhsa_system_sgpr_workgroup_id_y 0
		.amdhsa_system_sgpr_workgroup_id_z 0
		.amdhsa_system_sgpr_workgroup_info 0
		.amdhsa_system_vgpr_workitem_id 0
		.amdhsa_next_free_vgpr 65
		.amdhsa_next_free_sgpr 44
		.amdhsa_accum_offset 68
		.amdhsa_reserve_vcc 1
		.amdhsa_float_round_mode_32 0
		.amdhsa_float_round_mode_16_64 0
		.amdhsa_float_denorm_mode_32 3
		.amdhsa_float_denorm_mode_16_64 3
		.amdhsa_dx10_clamp 1
		.amdhsa_ieee_mode 1
		.amdhsa_fp16_overflow 0
		.amdhsa_tg_split 0
		.amdhsa_exception_fp_ieee_invalid_op 0
		.amdhsa_exception_fp_denorm_src 0
		.amdhsa_exception_fp_ieee_div_zero 0
		.amdhsa_exception_fp_ieee_overflow 0
		.amdhsa_exception_fp_ieee_underflow 0
		.amdhsa_exception_fp_ieee_inexact 0
		.amdhsa_exception_int_div_zero 0
	.end_amdhsa_kernel
	.section	.text._ZN7rocprim17ROCPRIM_400000_NS6detail17trampoline_kernelINS0_14default_configENS1_25partition_config_selectorILNS1_17partition_subalgoE1EjNS0_10empty_typeEbEEZZNS1_14partition_implILS5_1ELb0ES3_jN6thrust23THRUST_200600_302600_NS6detail15normal_iteratorINSA_10device_ptrIjEEEEPS6_NSA_18transform_iteratorI7is_evenIjESF_NSA_11use_defaultESK_EENS0_5tupleIJSF_SF_EEENSM_IJSG_SG_EEES6_PlJS6_EEE10hipError_tPvRmT3_T4_T5_T6_T7_T9_mT8_P12ihipStream_tbDpT10_ENKUlT_T0_E_clISt17integral_constantIbLb1EES18_IbLb0EEEEDaS14_S15_EUlS14_E_NS1_11comp_targetILNS1_3genE5ELNS1_11target_archE942ELNS1_3gpuE9ELNS1_3repE0EEENS1_30default_config_static_selectorELNS0_4arch9wavefront6targetE1EEEvT1_,"axG",@progbits,_ZN7rocprim17ROCPRIM_400000_NS6detail17trampoline_kernelINS0_14default_configENS1_25partition_config_selectorILNS1_17partition_subalgoE1EjNS0_10empty_typeEbEEZZNS1_14partition_implILS5_1ELb0ES3_jN6thrust23THRUST_200600_302600_NS6detail15normal_iteratorINSA_10device_ptrIjEEEEPS6_NSA_18transform_iteratorI7is_evenIjESF_NSA_11use_defaultESK_EENS0_5tupleIJSF_SF_EEENSM_IJSG_SG_EEES6_PlJS6_EEE10hipError_tPvRmT3_T4_T5_T6_T7_T9_mT8_P12ihipStream_tbDpT10_ENKUlT_T0_E_clISt17integral_constantIbLb1EES18_IbLb0EEEEDaS14_S15_EUlS14_E_NS1_11comp_targetILNS1_3genE5ELNS1_11target_archE942ELNS1_3gpuE9ELNS1_3repE0EEENS1_30default_config_static_selectorELNS0_4arch9wavefront6targetE1EEEvT1_,comdat
.Lfunc_end2252:
	.size	_ZN7rocprim17ROCPRIM_400000_NS6detail17trampoline_kernelINS0_14default_configENS1_25partition_config_selectorILNS1_17partition_subalgoE1EjNS0_10empty_typeEbEEZZNS1_14partition_implILS5_1ELb0ES3_jN6thrust23THRUST_200600_302600_NS6detail15normal_iteratorINSA_10device_ptrIjEEEEPS6_NSA_18transform_iteratorI7is_evenIjESF_NSA_11use_defaultESK_EENS0_5tupleIJSF_SF_EEENSM_IJSG_SG_EEES6_PlJS6_EEE10hipError_tPvRmT3_T4_T5_T6_T7_T9_mT8_P12ihipStream_tbDpT10_ENKUlT_T0_E_clISt17integral_constantIbLb1EES18_IbLb0EEEEDaS14_S15_EUlS14_E_NS1_11comp_targetILNS1_3genE5ELNS1_11target_archE942ELNS1_3gpuE9ELNS1_3repE0EEENS1_30default_config_static_selectorELNS0_4arch9wavefront6targetE1EEEvT1_, .Lfunc_end2252-_ZN7rocprim17ROCPRIM_400000_NS6detail17trampoline_kernelINS0_14default_configENS1_25partition_config_selectorILNS1_17partition_subalgoE1EjNS0_10empty_typeEbEEZZNS1_14partition_implILS5_1ELb0ES3_jN6thrust23THRUST_200600_302600_NS6detail15normal_iteratorINSA_10device_ptrIjEEEEPS6_NSA_18transform_iteratorI7is_evenIjESF_NSA_11use_defaultESK_EENS0_5tupleIJSF_SF_EEENSM_IJSG_SG_EEES6_PlJS6_EEE10hipError_tPvRmT3_T4_T5_T6_T7_T9_mT8_P12ihipStream_tbDpT10_ENKUlT_T0_E_clISt17integral_constantIbLb1EES18_IbLb0EEEEDaS14_S15_EUlS14_E_NS1_11comp_targetILNS1_3genE5ELNS1_11target_archE942ELNS1_3gpuE9ELNS1_3repE0EEENS1_30default_config_static_selectorELNS0_4arch9wavefront6targetE1EEEvT1_
                                        ; -- End function
	.section	.AMDGPU.csdata,"",@progbits
; Kernel info:
; codeLenInByte = 7716
; NumSgprs: 50
; NumVgprs: 65
; NumAgprs: 0
; TotalNumVgprs: 65
; ScratchSize: 0
; MemoryBound: 0
; FloatMode: 240
; IeeeMode: 1
; LDSByteSize: 30728 bytes/workgroup (compile time only)
; SGPRBlocks: 6
; VGPRBlocks: 8
; NumSGPRsForWavesPerEU: 50
; NumVGPRsForWavesPerEU: 65
; AccumOffset: 68
; Occupancy: 4
; WaveLimiterHint : 1
; COMPUTE_PGM_RSRC2:SCRATCH_EN: 0
; COMPUTE_PGM_RSRC2:USER_SGPR: 2
; COMPUTE_PGM_RSRC2:TRAP_HANDLER: 0
; COMPUTE_PGM_RSRC2:TGID_X_EN: 1
; COMPUTE_PGM_RSRC2:TGID_Y_EN: 0
; COMPUTE_PGM_RSRC2:TGID_Z_EN: 0
; COMPUTE_PGM_RSRC2:TIDIG_COMP_CNT: 0
; COMPUTE_PGM_RSRC3_GFX90A:ACCUM_OFFSET: 16
; COMPUTE_PGM_RSRC3_GFX90A:TG_SPLIT: 0
	.section	.text._ZN7rocprim17ROCPRIM_400000_NS6detail17trampoline_kernelINS0_14default_configENS1_25partition_config_selectorILNS1_17partition_subalgoE1EjNS0_10empty_typeEbEEZZNS1_14partition_implILS5_1ELb0ES3_jN6thrust23THRUST_200600_302600_NS6detail15normal_iteratorINSA_10device_ptrIjEEEEPS6_NSA_18transform_iteratorI7is_evenIjESF_NSA_11use_defaultESK_EENS0_5tupleIJSF_SF_EEENSM_IJSG_SG_EEES6_PlJS6_EEE10hipError_tPvRmT3_T4_T5_T6_T7_T9_mT8_P12ihipStream_tbDpT10_ENKUlT_T0_E_clISt17integral_constantIbLb1EES18_IbLb0EEEEDaS14_S15_EUlS14_E_NS1_11comp_targetILNS1_3genE4ELNS1_11target_archE910ELNS1_3gpuE8ELNS1_3repE0EEENS1_30default_config_static_selectorELNS0_4arch9wavefront6targetE1EEEvT1_,"axG",@progbits,_ZN7rocprim17ROCPRIM_400000_NS6detail17trampoline_kernelINS0_14default_configENS1_25partition_config_selectorILNS1_17partition_subalgoE1EjNS0_10empty_typeEbEEZZNS1_14partition_implILS5_1ELb0ES3_jN6thrust23THRUST_200600_302600_NS6detail15normal_iteratorINSA_10device_ptrIjEEEEPS6_NSA_18transform_iteratorI7is_evenIjESF_NSA_11use_defaultESK_EENS0_5tupleIJSF_SF_EEENSM_IJSG_SG_EEES6_PlJS6_EEE10hipError_tPvRmT3_T4_T5_T6_T7_T9_mT8_P12ihipStream_tbDpT10_ENKUlT_T0_E_clISt17integral_constantIbLb1EES18_IbLb0EEEEDaS14_S15_EUlS14_E_NS1_11comp_targetILNS1_3genE4ELNS1_11target_archE910ELNS1_3gpuE8ELNS1_3repE0EEENS1_30default_config_static_selectorELNS0_4arch9wavefront6targetE1EEEvT1_,comdat
	.protected	_ZN7rocprim17ROCPRIM_400000_NS6detail17trampoline_kernelINS0_14default_configENS1_25partition_config_selectorILNS1_17partition_subalgoE1EjNS0_10empty_typeEbEEZZNS1_14partition_implILS5_1ELb0ES3_jN6thrust23THRUST_200600_302600_NS6detail15normal_iteratorINSA_10device_ptrIjEEEEPS6_NSA_18transform_iteratorI7is_evenIjESF_NSA_11use_defaultESK_EENS0_5tupleIJSF_SF_EEENSM_IJSG_SG_EEES6_PlJS6_EEE10hipError_tPvRmT3_T4_T5_T6_T7_T9_mT8_P12ihipStream_tbDpT10_ENKUlT_T0_E_clISt17integral_constantIbLb1EES18_IbLb0EEEEDaS14_S15_EUlS14_E_NS1_11comp_targetILNS1_3genE4ELNS1_11target_archE910ELNS1_3gpuE8ELNS1_3repE0EEENS1_30default_config_static_selectorELNS0_4arch9wavefront6targetE1EEEvT1_ ; -- Begin function _ZN7rocprim17ROCPRIM_400000_NS6detail17trampoline_kernelINS0_14default_configENS1_25partition_config_selectorILNS1_17partition_subalgoE1EjNS0_10empty_typeEbEEZZNS1_14partition_implILS5_1ELb0ES3_jN6thrust23THRUST_200600_302600_NS6detail15normal_iteratorINSA_10device_ptrIjEEEEPS6_NSA_18transform_iteratorI7is_evenIjESF_NSA_11use_defaultESK_EENS0_5tupleIJSF_SF_EEENSM_IJSG_SG_EEES6_PlJS6_EEE10hipError_tPvRmT3_T4_T5_T6_T7_T9_mT8_P12ihipStream_tbDpT10_ENKUlT_T0_E_clISt17integral_constantIbLb1EES18_IbLb0EEEEDaS14_S15_EUlS14_E_NS1_11comp_targetILNS1_3genE4ELNS1_11target_archE910ELNS1_3gpuE8ELNS1_3repE0EEENS1_30default_config_static_selectorELNS0_4arch9wavefront6targetE1EEEvT1_
	.globl	_ZN7rocprim17ROCPRIM_400000_NS6detail17trampoline_kernelINS0_14default_configENS1_25partition_config_selectorILNS1_17partition_subalgoE1EjNS0_10empty_typeEbEEZZNS1_14partition_implILS5_1ELb0ES3_jN6thrust23THRUST_200600_302600_NS6detail15normal_iteratorINSA_10device_ptrIjEEEEPS6_NSA_18transform_iteratorI7is_evenIjESF_NSA_11use_defaultESK_EENS0_5tupleIJSF_SF_EEENSM_IJSG_SG_EEES6_PlJS6_EEE10hipError_tPvRmT3_T4_T5_T6_T7_T9_mT8_P12ihipStream_tbDpT10_ENKUlT_T0_E_clISt17integral_constantIbLb1EES18_IbLb0EEEEDaS14_S15_EUlS14_E_NS1_11comp_targetILNS1_3genE4ELNS1_11target_archE910ELNS1_3gpuE8ELNS1_3repE0EEENS1_30default_config_static_selectorELNS0_4arch9wavefront6targetE1EEEvT1_
	.p2align	8
	.type	_ZN7rocprim17ROCPRIM_400000_NS6detail17trampoline_kernelINS0_14default_configENS1_25partition_config_selectorILNS1_17partition_subalgoE1EjNS0_10empty_typeEbEEZZNS1_14partition_implILS5_1ELb0ES3_jN6thrust23THRUST_200600_302600_NS6detail15normal_iteratorINSA_10device_ptrIjEEEEPS6_NSA_18transform_iteratorI7is_evenIjESF_NSA_11use_defaultESK_EENS0_5tupleIJSF_SF_EEENSM_IJSG_SG_EEES6_PlJS6_EEE10hipError_tPvRmT3_T4_T5_T6_T7_T9_mT8_P12ihipStream_tbDpT10_ENKUlT_T0_E_clISt17integral_constantIbLb1EES18_IbLb0EEEEDaS14_S15_EUlS14_E_NS1_11comp_targetILNS1_3genE4ELNS1_11target_archE910ELNS1_3gpuE8ELNS1_3repE0EEENS1_30default_config_static_selectorELNS0_4arch9wavefront6targetE1EEEvT1_,@function
_ZN7rocprim17ROCPRIM_400000_NS6detail17trampoline_kernelINS0_14default_configENS1_25partition_config_selectorILNS1_17partition_subalgoE1EjNS0_10empty_typeEbEEZZNS1_14partition_implILS5_1ELb0ES3_jN6thrust23THRUST_200600_302600_NS6detail15normal_iteratorINSA_10device_ptrIjEEEEPS6_NSA_18transform_iteratorI7is_evenIjESF_NSA_11use_defaultESK_EENS0_5tupleIJSF_SF_EEENSM_IJSG_SG_EEES6_PlJS6_EEE10hipError_tPvRmT3_T4_T5_T6_T7_T9_mT8_P12ihipStream_tbDpT10_ENKUlT_T0_E_clISt17integral_constantIbLb1EES18_IbLb0EEEEDaS14_S15_EUlS14_E_NS1_11comp_targetILNS1_3genE4ELNS1_11target_archE910ELNS1_3gpuE8ELNS1_3repE0EEENS1_30default_config_static_selectorELNS0_4arch9wavefront6targetE1EEEvT1_: ; @_ZN7rocprim17ROCPRIM_400000_NS6detail17trampoline_kernelINS0_14default_configENS1_25partition_config_selectorILNS1_17partition_subalgoE1EjNS0_10empty_typeEbEEZZNS1_14partition_implILS5_1ELb0ES3_jN6thrust23THRUST_200600_302600_NS6detail15normal_iteratorINSA_10device_ptrIjEEEEPS6_NSA_18transform_iteratorI7is_evenIjESF_NSA_11use_defaultESK_EENS0_5tupleIJSF_SF_EEENSM_IJSG_SG_EEES6_PlJS6_EEE10hipError_tPvRmT3_T4_T5_T6_T7_T9_mT8_P12ihipStream_tbDpT10_ENKUlT_T0_E_clISt17integral_constantIbLb1EES18_IbLb0EEEEDaS14_S15_EUlS14_E_NS1_11comp_targetILNS1_3genE4ELNS1_11target_archE910ELNS1_3gpuE8ELNS1_3repE0EEENS1_30default_config_static_selectorELNS0_4arch9wavefront6targetE1EEEvT1_
; %bb.0:
	.section	.rodata,"a",@progbits
	.p2align	6, 0x0
	.amdhsa_kernel _ZN7rocprim17ROCPRIM_400000_NS6detail17trampoline_kernelINS0_14default_configENS1_25partition_config_selectorILNS1_17partition_subalgoE1EjNS0_10empty_typeEbEEZZNS1_14partition_implILS5_1ELb0ES3_jN6thrust23THRUST_200600_302600_NS6detail15normal_iteratorINSA_10device_ptrIjEEEEPS6_NSA_18transform_iteratorI7is_evenIjESF_NSA_11use_defaultESK_EENS0_5tupleIJSF_SF_EEENSM_IJSG_SG_EEES6_PlJS6_EEE10hipError_tPvRmT3_T4_T5_T6_T7_T9_mT8_P12ihipStream_tbDpT10_ENKUlT_T0_E_clISt17integral_constantIbLb1EES18_IbLb0EEEEDaS14_S15_EUlS14_E_NS1_11comp_targetILNS1_3genE4ELNS1_11target_archE910ELNS1_3gpuE8ELNS1_3repE0EEENS1_30default_config_static_selectorELNS0_4arch9wavefront6targetE1EEEvT1_
		.amdhsa_group_segment_fixed_size 0
		.amdhsa_private_segment_fixed_size 0
		.amdhsa_kernarg_size 128
		.amdhsa_user_sgpr_count 2
		.amdhsa_user_sgpr_dispatch_ptr 0
		.amdhsa_user_sgpr_queue_ptr 0
		.amdhsa_user_sgpr_kernarg_segment_ptr 1
		.amdhsa_user_sgpr_dispatch_id 0
		.amdhsa_user_sgpr_kernarg_preload_length 0
		.amdhsa_user_sgpr_kernarg_preload_offset 0
		.amdhsa_user_sgpr_private_segment_size 0
		.amdhsa_uses_dynamic_stack 0
		.amdhsa_enable_private_segment 0
		.amdhsa_system_sgpr_workgroup_id_x 1
		.amdhsa_system_sgpr_workgroup_id_y 0
		.amdhsa_system_sgpr_workgroup_id_z 0
		.amdhsa_system_sgpr_workgroup_info 0
		.amdhsa_system_vgpr_workitem_id 0
		.amdhsa_next_free_vgpr 1
		.amdhsa_next_free_sgpr 0
		.amdhsa_accum_offset 4
		.amdhsa_reserve_vcc 0
		.amdhsa_float_round_mode_32 0
		.amdhsa_float_round_mode_16_64 0
		.amdhsa_float_denorm_mode_32 3
		.amdhsa_float_denorm_mode_16_64 3
		.amdhsa_dx10_clamp 1
		.amdhsa_ieee_mode 1
		.amdhsa_fp16_overflow 0
		.amdhsa_tg_split 0
		.amdhsa_exception_fp_ieee_invalid_op 0
		.amdhsa_exception_fp_denorm_src 0
		.amdhsa_exception_fp_ieee_div_zero 0
		.amdhsa_exception_fp_ieee_overflow 0
		.amdhsa_exception_fp_ieee_underflow 0
		.amdhsa_exception_fp_ieee_inexact 0
		.amdhsa_exception_int_div_zero 0
	.end_amdhsa_kernel
	.section	.text._ZN7rocprim17ROCPRIM_400000_NS6detail17trampoline_kernelINS0_14default_configENS1_25partition_config_selectorILNS1_17partition_subalgoE1EjNS0_10empty_typeEbEEZZNS1_14partition_implILS5_1ELb0ES3_jN6thrust23THRUST_200600_302600_NS6detail15normal_iteratorINSA_10device_ptrIjEEEEPS6_NSA_18transform_iteratorI7is_evenIjESF_NSA_11use_defaultESK_EENS0_5tupleIJSF_SF_EEENSM_IJSG_SG_EEES6_PlJS6_EEE10hipError_tPvRmT3_T4_T5_T6_T7_T9_mT8_P12ihipStream_tbDpT10_ENKUlT_T0_E_clISt17integral_constantIbLb1EES18_IbLb0EEEEDaS14_S15_EUlS14_E_NS1_11comp_targetILNS1_3genE4ELNS1_11target_archE910ELNS1_3gpuE8ELNS1_3repE0EEENS1_30default_config_static_selectorELNS0_4arch9wavefront6targetE1EEEvT1_,"axG",@progbits,_ZN7rocprim17ROCPRIM_400000_NS6detail17trampoline_kernelINS0_14default_configENS1_25partition_config_selectorILNS1_17partition_subalgoE1EjNS0_10empty_typeEbEEZZNS1_14partition_implILS5_1ELb0ES3_jN6thrust23THRUST_200600_302600_NS6detail15normal_iteratorINSA_10device_ptrIjEEEEPS6_NSA_18transform_iteratorI7is_evenIjESF_NSA_11use_defaultESK_EENS0_5tupleIJSF_SF_EEENSM_IJSG_SG_EEES6_PlJS6_EEE10hipError_tPvRmT3_T4_T5_T6_T7_T9_mT8_P12ihipStream_tbDpT10_ENKUlT_T0_E_clISt17integral_constantIbLb1EES18_IbLb0EEEEDaS14_S15_EUlS14_E_NS1_11comp_targetILNS1_3genE4ELNS1_11target_archE910ELNS1_3gpuE8ELNS1_3repE0EEENS1_30default_config_static_selectorELNS0_4arch9wavefront6targetE1EEEvT1_,comdat
.Lfunc_end2253:
	.size	_ZN7rocprim17ROCPRIM_400000_NS6detail17trampoline_kernelINS0_14default_configENS1_25partition_config_selectorILNS1_17partition_subalgoE1EjNS0_10empty_typeEbEEZZNS1_14partition_implILS5_1ELb0ES3_jN6thrust23THRUST_200600_302600_NS6detail15normal_iteratorINSA_10device_ptrIjEEEEPS6_NSA_18transform_iteratorI7is_evenIjESF_NSA_11use_defaultESK_EENS0_5tupleIJSF_SF_EEENSM_IJSG_SG_EEES6_PlJS6_EEE10hipError_tPvRmT3_T4_T5_T6_T7_T9_mT8_P12ihipStream_tbDpT10_ENKUlT_T0_E_clISt17integral_constantIbLb1EES18_IbLb0EEEEDaS14_S15_EUlS14_E_NS1_11comp_targetILNS1_3genE4ELNS1_11target_archE910ELNS1_3gpuE8ELNS1_3repE0EEENS1_30default_config_static_selectorELNS0_4arch9wavefront6targetE1EEEvT1_, .Lfunc_end2253-_ZN7rocprim17ROCPRIM_400000_NS6detail17trampoline_kernelINS0_14default_configENS1_25partition_config_selectorILNS1_17partition_subalgoE1EjNS0_10empty_typeEbEEZZNS1_14partition_implILS5_1ELb0ES3_jN6thrust23THRUST_200600_302600_NS6detail15normal_iteratorINSA_10device_ptrIjEEEEPS6_NSA_18transform_iteratorI7is_evenIjESF_NSA_11use_defaultESK_EENS0_5tupleIJSF_SF_EEENSM_IJSG_SG_EEES6_PlJS6_EEE10hipError_tPvRmT3_T4_T5_T6_T7_T9_mT8_P12ihipStream_tbDpT10_ENKUlT_T0_E_clISt17integral_constantIbLb1EES18_IbLb0EEEEDaS14_S15_EUlS14_E_NS1_11comp_targetILNS1_3genE4ELNS1_11target_archE910ELNS1_3gpuE8ELNS1_3repE0EEENS1_30default_config_static_selectorELNS0_4arch9wavefront6targetE1EEEvT1_
                                        ; -- End function
	.section	.AMDGPU.csdata,"",@progbits
; Kernel info:
; codeLenInByte = 0
; NumSgprs: 6
; NumVgprs: 0
; NumAgprs: 0
; TotalNumVgprs: 0
; ScratchSize: 0
; MemoryBound: 0
; FloatMode: 240
; IeeeMode: 1
; LDSByteSize: 0 bytes/workgroup (compile time only)
; SGPRBlocks: 0
; VGPRBlocks: 0
; NumSGPRsForWavesPerEU: 6
; NumVGPRsForWavesPerEU: 1
; AccumOffset: 4
; Occupancy: 8
; WaveLimiterHint : 0
; COMPUTE_PGM_RSRC2:SCRATCH_EN: 0
; COMPUTE_PGM_RSRC2:USER_SGPR: 2
; COMPUTE_PGM_RSRC2:TRAP_HANDLER: 0
; COMPUTE_PGM_RSRC2:TGID_X_EN: 1
; COMPUTE_PGM_RSRC2:TGID_Y_EN: 0
; COMPUTE_PGM_RSRC2:TGID_Z_EN: 0
; COMPUTE_PGM_RSRC2:TIDIG_COMP_CNT: 0
; COMPUTE_PGM_RSRC3_GFX90A:ACCUM_OFFSET: 0
; COMPUTE_PGM_RSRC3_GFX90A:TG_SPLIT: 0
	.section	.text._ZN7rocprim17ROCPRIM_400000_NS6detail17trampoline_kernelINS0_14default_configENS1_25partition_config_selectorILNS1_17partition_subalgoE1EjNS0_10empty_typeEbEEZZNS1_14partition_implILS5_1ELb0ES3_jN6thrust23THRUST_200600_302600_NS6detail15normal_iteratorINSA_10device_ptrIjEEEEPS6_NSA_18transform_iteratorI7is_evenIjESF_NSA_11use_defaultESK_EENS0_5tupleIJSF_SF_EEENSM_IJSG_SG_EEES6_PlJS6_EEE10hipError_tPvRmT3_T4_T5_T6_T7_T9_mT8_P12ihipStream_tbDpT10_ENKUlT_T0_E_clISt17integral_constantIbLb1EES18_IbLb0EEEEDaS14_S15_EUlS14_E_NS1_11comp_targetILNS1_3genE3ELNS1_11target_archE908ELNS1_3gpuE7ELNS1_3repE0EEENS1_30default_config_static_selectorELNS0_4arch9wavefront6targetE1EEEvT1_,"axG",@progbits,_ZN7rocprim17ROCPRIM_400000_NS6detail17trampoline_kernelINS0_14default_configENS1_25partition_config_selectorILNS1_17partition_subalgoE1EjNS0_10empty_typeEbEEZZNS1_14partition_implILS5_1ELb0ES3_jN6thrust23THRUST_200600_302600_NS6detail15normal_iteratorINSA_10device_ptrIjEEEEPS6_NSA_18transform_iteratorI7is_evenIjESF_NSA_11use_defaultESK_EENS0_5tupleIJSF_SF_EEENSM_IJSG_SG_EEES6_PlJS6_EEE10hipError_tPvRmT3_T4_T5_T6_T7_T9_mT8_P12ihipStream_tbDpT10_ENKUlT_T0_E_clISt17integral_constantIbLb1EES18_IbLb0EEEEDaS14_S15_EUlS14_E_NS1_11comp_targetILNS1_3genE3ELNS1_11target_archE908ELNS1_3gpuE7ELNS1_3repE0EEENS1_30default_config_static_selectorELNS0_4arch9wavefront6targetE1EEEvT1_,comdat
	.protected	_ZN7rocprim17ROCPRIM_400000_NS6detail17trampoline_kernelINS0_14default_configENS1_25partition_config_selectorILNS1_17partition_subalgoE1EjNS0_10empty_typeEbEEZZNS1_14partition_implILS5_1ELb0ES3_jN6thrust23THRUST_200600_302600_NS6detail15normal_iteratorINSA_10device_ptrIjEEEEPS6_NSA_18transform_iteratorI7is_evenIjESF_NSA_11use_defaultESK_EENS0_5tupleIJSF_SF_EEENSM_IJSG_SG_EEES6_PlJS6_EEE10hipError_tPvRmT3_T4_T5_T6_T7_T9_mT8_P12ihipStream_tbDpT10_ENKUlT_T0_E_clISt17integral_constantIbLb1EES18_IbLb0EEEEDaS14_S15_EUlS14_E_NS1_11comp_targetILNS1_3genE3ELNS1_11target_archE908ELNS1_3gpuE7ELNS1_3repE0EEENS1_30default_config_static_selectorELNS0_4arch9wavefront6targetE1EEEvT1_ ; -- Begin function _ZN7rocprim17ROCPRIM_400000_NS6detail17trampoline_kernelINS0_14default_configENS1_25partition_config_selectorILNS1_17partition_subalgoE1EjNS0_10empty_typeEbEEZZNS1_14partition_implILS5_1ELb0ES3_jN6thrust23THRUST_200600_302600_NS6detail15normal_iteratorINSA_10device_ptrIjEEEEPS6_NSA_18transform_iteratorI7is_evenIjESF_NSA_11use_defaultESK_EENS0_5tupleIJSF_SF_EEENSM_IJSG_SG_EEES6_PlJS6_EEE10hipError_tPvRmT3_T4_T5_T6_T7_T9_mT8_P12ihipStream_tbDpT10_ENKUlT_T0_E_clISt17integral_constantIbLb1EES18_IbLb0EEEEDaS14_S15_EUlS14_E_NS1_11comp_targetILNS1_3genE3ELNS1_11target_archE908ELNS1_3gpuE7ELNS1_3repE0EEENS1_30default_config_static_selectorELNS0_4arch9wavefront6targetE1EEEvT1_
	.globl	_ZN7rocprim17ROCPRIM_400000_NS6detail17trampoline_kernelINS0_14default_configENS1_25partition_config_selectorILNS1_17partition_subalgoE1EjNS0_10empty_typeEbEEZZNS1_14partition_implILS5_1ELb0ES3_jN6thrust23THRUST_200600_302600_NS6detail15normal_iteratorINSA_10device_ptrIjEEEEPS6_NSA_18transform_iteratorI7is_evenIjESF_NSA_11use_defaultESK_EENS0_5tupleIJSF_SF_EEENSM_IJSG_SG_EEES6_PlJS6_EEE10hipError_tPvRmT3_T4_T5_T6_T7_T9_mT8_P12ihipStream_tbDpT10_ENKUlT_T0_E_clISt17integral_constantIbLb1EES18_IbLb0EEEEDaS14_S15_EUlS14_E_NS1_11comp_targetILNS1_3genE3ELNS1_11target_archE908ELNS1_3gpuE7ELNS1_3repE0EEENS1_30default_config_static_selectorELNS0_4arch9wavefront6targetE1EEEvT1_
	.p2align	8
	.type	_ZN7rocprim17ROCPRIM_400000_NS6detail17trampoline_kernelINS0_14default_configENS1_25partition_config_selectorILNS1_17partition_subalgoE1EjNS0_10empty_typeEbEEZZNS1_14partition_implILS5_1ELb0ES3_jN6thrust23THRUST_200600_302600_NS6detail15normal_iteratorINSA_10device_ptrIjEEEEPS6_NSA_18transform_iteratorI7is_evenIjESF_NSA_11use_defaultESK_EENS0_5tupleIJSF_SF_EEENSM_IJSG_SG_EEES6_PlJS6_EEE10hipError_tPvRmT3_T4_T5_T6_T7_T9_mT8_P12ihipStream_tbDpT10_ENKUlT_T0_E_clISt17integral_constantIbLb1EES18_IbLb0EEEEDaS14_S15_EUlS14_E_NS1_11comp_targetILNS1_3genE3ELNS1_11target_archE908ELNS1_3gpuE7ELNS1_3repE0EEENS1_30default_config_static_selectorELNS0_4arch9wavefront6targetE1EEEvT1_,@function
_ZN7rocprim17ROCPRIM_400000_NS6detail17trampoline_kernelINS0_14default_configENS1_25partition_config_selectorILNS1_17partition_subalgoE1EjNS0_10empty_typeEbEEZZNS1_14partition_implILS5_1ELb0ES3_jN6thrust23THRUST_200600_302600_NS6detail15normal_iteratorINSA_10device_ptrIjEEEEPS6_NSA_18transform_iteratorI7is_evenIjESF_NSA_11use_defaultESK_EENS0_5tupleIJSF_SF_EEENSM_IJSG_SG_EEES6_PlJS6_EEE10hipError_tPvRmT3_T4_T5_T6_T7_T9_mT8_P12ihipStream_tbDpT10_ENKUlT_T0_E_clISt17integral_constantIbLb1EES18_IbLb0EEEEDaS14_S15_EUlS14_E_NS1_11comp_targetILNS1_3genE3ELNS1_11target_archE908ELNS1_3gpuE7ELNS1_3repE0EEENS1_30default_config_static_selectorELNS0_4arch9wavefront6targetE1EEEvT1_: ; @_ZN7rocprim17ROCPRIM_400000_NS6detail17trampoline_kernelINS0_14default_configENS1_25partition_config_selectorILNS1_17partition_subalgoE1EjNS0_10empty_typeEbEEZZNS1_14partition_implILS5_1ELb0ES3_jN6thrust23THRUST_200600_302600_NS6detail15normal_iteratorINSA_10device_ptrIjEEEEPS6_NSA_18transform_iteratorI7is_evenIjESF_NSA_11use_defaultESK_EENS0_5tupleIJSF_SF_EEENSM_IJSG_SG_EEES6_PlJS6_EEE10hipError_tPvRmT3_T4_T5_T6_T7_T9_mT8_P12ihipStream_tbDpT10_ENKUlT_T0_E_clISt17integral_constantIbLb1EES18_IbLb0EEEEDaS14_S15_EUlS14_E_NS1_11comp_targetILNS1_3genE3ELNS1_11target_archE908ELNS1_3gpuE7ELNS1_3repE0EEENS1_30default_config_static_selectorELNS0_4arch9wavefront6targetE1EEEvT1_
; %bb.0:
	.section	.rodata,"a",@progbits
	.p2align	6, 0x0
	.amdhsa_kernel _ZN7rocprim17ROCPRIM_400000_NS6detail17trampoline_kernelINS0_14default_configENS1_25partition_config_selectorILNS1_17partition_subalgoE1EjNS0_10empty_typeEbEEZZNS1_14partition_implILS5_1ELb0ES3_jN6thrust23THRUST_200600_302600_NS6detail15normal_iteratorINSA_10device_ptrIjEEEEPS6_NSA_18transform_iteratorI7is_evenIjESF_NSA_11use_defaultESK_EENS0_5tupleIJSF_SF_EEENSM_IJSG_SG_EEES6_PlJS6_EEE10hipError_tPvRmT3_T4_T5_T6_T7_T9_mT8_P12ihipStream_tbDpT10_ENKUlT_T0_E_clISt17integral_constantIbLb1EES18_IbLb0EEEEDaS14_S15_EUlS14_E_NS1_11comp_targetILNS1_3genE3ELNS1_11target_archE908ELNS1_3gpuE7ELNS1_3repE0EEENS1_30default_config_static_selectorELNS0_4arch9wavefront6targetE1EEEvT1_
		.amdhsa_group_segment_fixed_size 0
		.amdhsa_private_segment_fixed_size 0
		.amdhsa_kernarg_size 128
		.amdhsa_user_sgpr_count 2
		.amdhsa_user_sgpr_dispatch_ptr 0
		.amdhsa_user_sgpr_queue_ptr 0
		.amdhsa_user_sgpr_kernarg_segment_ptr 1
		.amdhsa_user_sgpr_dispatch_id 0
		.amdhsa_user_sgpr_kernarg_preload_length 0
		.amdhsa_user_sgpr_kernarg_preload_offset 0
		.amdhsa_user_sgpr_private_segment_size 0
		.amdhsa_uses_dynamic_stack 0
		.amdhsa_enable_private_segment 0
		.amdhsa_system_sgpr_workgroup_id_x 1
		.amdhsa_system_sgpr_workgroup_id_y 0
		.amdhsa_system_sgpr_workgroup_id_z 0
		.amdhsa_system_sgpr_workgroup_info 0
		.amdhsa_system_vgpr_workitem_id 0
		.amdhsa_next_free_vgpr 1
		.amdhsa_next_free_sgpr 0
		.amdhsa_accum_offset 4
		.amdhsa_reserve_vcc 0
		.amdhsa_float_round_mode_32 0
		.amdhsa_float_round_mode_16_64 0
		.amdhsa_float_denorm_mode_32 3
		.amdhsa_float_denorm_mode_16_64 3
		.amdhsa_dx10_clamp 1
		.amdhsa_ieee_mode 1
		.amdhsa_fp16_overflow 0
		.amdhsa_tg_split 0
		.amdhsa_exception_fp_ieee_invalid_op 0
		.amdhsa_exception_fp_denorm_src 0
		.amdhsa_exception_fp_ieee_div_zero 0
		.amdhsa_exception_fp_ieee_overflow 0
		.amdhsa_exception_fp_ieee_underflow 0
		.amdhsa_exception_fp_ieee_inexact 0
		.amdhsa_exception_int_div_zero 0
	.end_amdhsa_kernel
	.section	.text._ZN7rocprim17ROCPRIM_400000_NS6detail17trampoline_kernelINS0_14default_configENS1_25partition_config_selectorILNS1_17partition_subalgoE1EjNS0_10empty_typeEbEEZZNS1_14partition_implILS5_1ELb0ES3_jN6thrust23THRUST_200600_302600_NS6detail15normal_iteratorINSA_10device_ptrIjEEEEPS6_NSA_18transform_iteratorI7is_evenIjESF_NSA_11use_defaultESK_EENS0_5tupleIJSF_SF_EEENSM_IJSG_SG_EEES6_PlJS6_EEE10hipError_tPvRmT3_T4_T5_T6_T7_T9_mT8_P12ihipStream_tbDpT10_ENKUlT_T0_E_clISt17integral_constantIbLb1EES18_IbLb0EEEEDaS14_S15_EUlS14_E_NS1_11comp_targetILNS1_3genE3ELNS1_11target_archE908ELNS1_3gpuE7ELNS1_3repE0EEENS1_30default_config_static_selectorELNS0_4arch9wavefront6targetE1EEEvT1_,"axG",@progbits,_ZN7rocprim17ROCPRIM_400000_NS6detail17trampoline_kernelINS0_14default_configENS1_25partition_config_selectorILNS1_17partition_subalgoE1EjNS0_10empty_typeEbEEZZNS1_14partition_implILS5_1ELb0ES3_jN6thrust23THRUST_200600_302600_NS6detail15normal_iteratorINSA_10device_ptrIjEEEEPS6_NSA_18transform_iteratorI7is_evenIjESF_NSA_11use_defaultESK_EENS0_5tupleIJSF_SF_EEENSM_IJSG_SG_EEES6_PlJS6_EEE10hipError_tPvRmT3_T4_T5_T6_T7_T9_mT8_P12ihipStream_tbDpT10_ENKUlT_T0_E_clISt17integral_constantIbLb1EES18_IbLb0EEEEDaS14_S15_EUlS14_E_NS1_11comp_targetILNS1_3genE3ELNS1_11target_archE908ELNS1_3gpuE7ELNS1_3repE0EEENS1_30default_config_static_selectorELNS0_4arch9wavefront6targetE1EEEvT1_,comdat
.Lfunc_end2254:
	.size	_ZN7rocprim17ROCPRIM_400000_NS6detail17trampoline_kernelINS0_14default_configENS1_25partition_config_selectorILNS1_17partition_subalgoE1EjNS0_10empty_typeEbEEZZNS1_14partition_implILS5_1ELb0ES3_jN6thrust23THRUST_200600_302600_NS6detail15normal_iteratorINSA_10device_ptrIjEEEEPS6_NSA_18transform_iteratorI7is_evenIjESF_NSA_11use_defaultESK_EENS0_5tupleIJSF_SF_EEENSM_IJSG_SG_EEES6_PlJS6_EEE10hipError_tPvRmT3_T4_T5_T6_T7_T9_mT8_P12ihipStream_tbDpT10_ENKUlT_T0_E_clISt17integral_constantIbLb1EES18_IbLb0EEEEDaS14_S15_EUlS14_E_NS1_11comp_targetILNS1_3genE3ELNS1_11target_archE908ELNS1_3gpuE7ELNS1_3repE0EEENS1_30default_config_static_selectorELNS0_4arch9wavefront6targetE1EEEvT1_, .Lfunc_end2254-_ZN7rocprim17ROCPRIM_400000_NS6detail17trampoline_kernelINS0_14default_configENS1_25partition_config_selectorILNS1_17partition_subalgoE1EjNS0_10empty_typeEbEEZZNS1_14partition_implILS5_1ELb0ES3_jN6thrust23THRUST_200600_302600_NS6detail15normal_iteratorINSA_10device_ptrIjEEEEPS6_NSA_18transform_iteratorI7is_evenIjESF_NSA_11use_defaultESK_EENS0_5tupleIJSF_SF_EEENSM_IJSG_SG_EEES6_PlJS6_EEE10hipError_tPvRmT3_T4_T5_T6_T7_T9_mT8_P12ihipStream_tbDpT10_ENKUlT_T0_E_clISt17integral_constantIbLb1EES18_IbLb0EEEEDaS14_S15_EUlS14_E_NS1_11comp_targetILNS1_3genE3ELNS1_11target_archE908ELNS1_3gpuE7ELNS1_3repE0EEENS1_30default_config_static_selectorELNS0_4arch9wavefront6targetE1EEEvT1_
                                        ; -- End function
	.section	.AMDGPU.csdata,"",@progbits
; Kernel info:
; codeLenInByte = 0
; NumSgprs: 6
; NumVgprs: 0
; NumAgprs: 0
; TotalNumVgprs: 0
; ScratchSize: 0
; MemoryBound: 0
; FloatMode: 240
; IeeeMode: 1
; LDSByteSize: 0 bytes/workgroup (compile time only)
; SGPRBlocks: 0
; VGPRBlocks: 0
; NumSGPRsForWavesPerEU: 6
; NumVGPRsForWavesPerEU: 1
; AccumOffset: 4
; Occupancy: 8
; WaveLimiterHint : 0
; COMPUTE_PGM_RSRC2:SCRATCH_EN: 0
; COMPUTE_PGM_RSRC2:USER_SGPR: 2
; COMPUTE_PGM_RSRC2:TRAP_HANDLER: 0
; COMPUTE_PGM_RSRC2:TGID_X_EN: 1
; COMPUTE_PGM_RSRC2:TGID_Y_EN: 0
; COMPUTE_PGM_RSRC2:TGID_Z_EN: 0
; COMPUTE_PGM_RSRC2:TIDIG_COMP_CNT: 0
; COMPUTE_PGM_RSRC3_GFX90A:ACCUM_OFFSET: 0
; COMPUTE_PGM_RSRC3_GFX90A:TG_SPLIT: 0
	.section	.text._ZN7rocprim17ROCPRIM_400000_NS6detail17trampoline_kernelINS0_14default_configENS1_25partition_config_selectorILNS1_17partition_subalgoE1EjNS0_10empty_typeEbEEZZNS1_14partition_implILS5_1ELb0ES3_jN6thrust23THRUST_200600_302600_NS6detail15normal_iteratorINSA_10device_ptrIjEEEEPS6_NSA_18transform_iteratorI7is_evenIjESF_NSA_11use_defaultESK_EENS0_5tupleIJSF_SF_EEENSM_IJSG_SG_EEES6_PlJS6_EEE10hipError_tPvRmT3_T4_T5_T6_T7_T9_mT8_P12ihipStream_tbDpT10_ENKUlT_T0_E_clISt17integral_constantIbLb1EES18_IbLb0EEEEDaS14_S15_EUlS14_E_NS1_11comp_targetILNS1_3genE2ELNS1_11target_archE906ELNS1_3gpuE6ELNS1_3repE0EEENS1_30default_config_static_selectorELNS0_4arch9wavefront6targetE1EEEvT1_,"axG",@progbits,_ZN7rocprim17ROCPRIM_400000_NS6detail17trampoline_kernelINS0_14default_configENS1_25partition_config_selectorILNS1_17partition_subalgoE1EjNS0_10empty_typeEbEEZZNS1_14partition_implILS5_1ELb0ES3_jN6thrust23THRUST_200600_302600_NS6detail15normal_iteratorINSA_10device_ptrIjEEEEPS6_NSA_18transform_iteratorI7is_evenIjESF_NSA_11use_defaultESK_EENS0_5tupleIJSF_SF_EEENSM_IJSG_SG_EEES6_PlJS6_EEE10hipError_tPvRmT3_T4_T5_T6_T7_T9_mT8_P12ihipStream_tbDpT10_ENKUlT_T0_E_clISt17integral_constantIbLb1EES18_IbLb0EEEEDaS14_S15_EUlS14_E_NS1_11comp_targetILNS1_3genE2ELNS1_11target_archE906ELNS1_3gpuE6ELNS1_3repE0EEENS1_30default_config_static_selectorELNS0_4arch9wavefront6targetE1EEEvT1_,comdat
	.protected	_ZN7rocprim17ROCPRIM_400000_NS6detail17trampoline_kernelINS0_14default_configENS1_25partition_config_selectorILNS1_17partition_subalgoE1EjNS0_10empty_typeEbEEZZNS1_14partition_implILS5_1ELb0ES3_jN6thrust23THRUST_200600_302600_NS6detail15normal_iteratorINSA_10device_ptrIjEEEEPS6_NSA_18transform_iteratorI7is_evenIjESF_NSA_11use_defaultESK_EENS0_5tupleIJSF_SF_EEENSM_IJSG_SG_EEES6_PlJS6_EEE10hipError_tPvRmT3_T4_T5_T6_T7_T9_mT8_P12ihipStream_tbDpT10_ENKUlT_T0_E_clISt17integral_constantIbLb1EES18_IbLb0EEEEDaS14_S15_EUlS14_E_NS1_11comp_targetILNS1_3genE2ELNS1_11target_archE906ELNS1_3gpuE6ELNS1_3repE0EEENS1_30default_config_static_selectorELNS0_4arch9wavefront6targetE1EEEvT1_ ; -- Begin function _ZN7rocprim17ROCPRIM_400000_NS6detail17trampoline_kernelINS0_14default_configENS1_25partition_config_selectorILNS1_17partition_subalgoE1EjNS0_10empty_typeEbEEZZNS1_14partition_implILS5_1ELb0ES3_jN6thrust23THRUST_200600_302600_NS6detail15normal_iteratorINSA_10device_ptrIjEEEEPS6_NSA_18transform_iteratorI7is_evenIjESF_NSA_11use_defaultESK_EENS0_5tupleIJSF_SF_EEENSM_IJSG_SG_EEES6_PlJS6_EEE10hipError_tPvRmT3_T4_T5_T6_T7_T9_mT8_P12ihipStream_tbDpT10_ENKUlT_T0_E_clISt17integral_constantIbLb1EES18_IbLb0EEEEDaS14_S15_EUlS14_E_NS1_11comp_targetILNS1_3genE2ELNS1_11target_archE906ELNS1_3gpuE6ELNS1_3repE0EEENS1_30default_config_static_selectorELNS0_4arch9wavefront6targetE1EEEvT1_
	.globl	_ZN7rocprim17ROCPRIM_400000_NS6detail17trampoline_kernelINS0_14default_configENS1_25partition_config_selectorILNS1_17partition_subalgoE1EjNS0_10empty_typeEbEEZZNS1_14partition_implILS5_1ELb0ES3_jN6thrust23THRUST_200600_302600_NS6detail15normal_iteratorINSA_10device_ptrIjEEEEPS6_NSA_18transform_iteratorI7is_evenIjESF_NSA_11use_defaultESK_EENS0_5tupleIJSF_SF_EEENSM_IJSG_SG_EEES6_PlJS6_EEE10hipError_tPvRmT3_T4_T5_T6_T7_T9_mT8_P12ihipStream_tbDpT10_ENKUlT_T0_E_clISt17integral_constantIbLb1EES18_IbLb0EEEEDaS14_S15_EUlS14_E_NS1_11comp_targetILNS1_3genE2ELNS1_11target_archE906ELNS1_3gpuE6ELNS1_3repE0EEENS1_30default_config_static_selectorELNS0_4arch9wavefront6targetE1EEEvT1_
	.p2align	8
	.type	_ZN7rocprim17ROCPRIM_400000_NS6detail17trampoline_kernelINS0_14default_configENS1_25partition_config_selectorILNS1_17partition_subalgoE1EjNS0_10empty_typeEbEEZZNS1_14partition_implILS5_1ELb0ES3_jN6thrust23THRUST_200600_302600_NS6detail15normal_iteratorINSA_10device_ptrIjEEEEPS6_NSA_18transform_iteratorI7is_evenIjESF_NSA_11use_defaultESK_EENS0_5tupleIJSF_SF_EEENSM_IJSG_SG_EEES6_PlJS6_EEE10hipError_tPvRmT3_T4_T5_T6_T7_T9_mT8_P12ihipStream_tbDpT10_ENKUlT_T0_E_clISt17integral_constantIbLb1EES18_IbLb0EEEEDaS14_S15_EUlS14_E_NS1_11comp_targetILNS1_3genE2ELNS1_11target_archE906ELNS1_3gpuE6ELNS1_3repE0EEENS1_30default_config_static_selectorELNS0_4arch9wavefront6targetE1EEEvT1_,@function
_ZN7rocprim17ROCPRIM_400000_NS6detail17trampoline_kernelINS0_14default_configENS1_25partition_config_selectorILNS1_17partition_subalgoE1EjNS0_10empty_typeEbEEZZNS1_14partition_implILS5_1ELb0ES3_jN6thrust23THRUST_200600_302600_NS6detail15normal_iteratorINSA_10device_ptrIjEEEEPS6_NSA_18transform_iteratorI7is_evenIjESF_NSA_11use_defaultESK_EENS0_5tupleIJSF_SF_EEENSM_IJSG_SG_EEES6_PlJS6_EEE10hipError_tPvRmT3_T4_T5_T6_T7_T9_mT8_P12ihipStream_tbDpT10_ENKUlT_T0_E_clISt17integral_constantIbLb1EES18_IbLb0EEEEDaS14_S15_EUlS14_E_NS1_11comp_targetILNS1_3genE2ELNS1_11target_archE906ELNS1_3gpuE6ELNS1_3repE0EEENS1_30default_config_static_selectorELNS0_4arch9wavefront6targetE1EEEvT1_: ; @_ZN7rocprim17ROCPRIM_400000_NS6detail17trampoline_kernelINS0_14default_configENS1_25partition_config_selectorILNS1_17partition_subalgoE1EjNS0_10empty_typeEbEEZZNS1_14partition_implILS5_1ELb0ES3_jN6thrust23THRUST_200600_302600_NS6detail15normal_iteratorINSA_10device_ptrIjEEEEPS6_NSA_18transform_iteratorI7is_evenIjESF_NSA_11use_defaultESK_EENS0_5tupleIJSF_SF_EEENSM_IJSG_SG_EEES6_PlJS6_EEE10hipError_tPvRmT3_T4_T5_T6_T7_T9_mT8_P12ihipStream_tbDpT10_ENKUlT_T0_E_clISt17integral_constantIbLb1EES18_IbLb0EEEEDaS14_S15_EUlS14_E_NS1_11comp_targetILNS1_3genE2ELNS1_11target_archE906ELNS1_3gpuE6ELNS1_3repE0EEENS1_30default_config_static_selectorELNS0_4arch9wavefront6targetE1EEEvT1_
; %bb.0:
	.section	.rodata,"a",@progbits
	.p2align	6, 0x0
	.amdhsa_kernel _ZN7rocprim17ROCPRIM_400000_NS6detail17trampoline_kernelINS0_14default_configENS1_25partition_config_selectorILNS1_17partition_subalgoE1EjNS0_10empty_typeEbEEZZNS1_14partition_implILS5_1ELb0ES3_jN6thrust23THRUST_200600_302600_NS6detail15normal_iteratorINSA_10device_ptrIjEEEEPS6_NSA_18transform_iteratorI7is_evenIjESF_NSA_11use_defaultESK_EENS0_5tupleIJSF_SF_EEENSM_IJSG_SG_EEES6_PlJS6_EEE10hipError_tPvRmT3_T4_T5_T6_T7_T9_mT8_P12ihipStream_tbDpT10_ENKUlT_T0_E_clISt17integral_constantIbLb1EES18_IbLb0EEEEDaS14_S15_EUlS14_E_NS1_11comp_targetILNS1_3genE2ELNS1_11target_archE906ELNS1_3gpuE6ELNS1_3repE0EEENS1_30default_config_static_selectorELNS0_4arch9wavefront6targetE1EEEvT1_
		.amdhsa_group_segment_fixed_size 0
		.amdhsa_private_segment_fixed_size 0
		.amdhsa_kernarg_size 128
		.amdhsa_user_sgpr_count 2
		.amdhsa_user_sgpr_dispatch_ptr 0
		.amdhsa_user_sgpr_queue_ptr 0
		.amdhsa_user_sgpr_kernarg_segment_ptr 1
		.amdhsa_user_sgpr_dispatch_id 0
		.amdhsa_user_sgpr_kernarg_preload_length 0
		.amdhsa_user_sgpr_kernarg_preload_offset 0
		.amdhsa_user_sgpr_private_segment_size 0
		.amdhsa_uses_dynamic_stack 0
		.amdhsa_enable_private_segment 0
		.amdhsa_system_sgpr_workgroup_id_x 1
		.amdhsa_system_sgpr_workgroup_id_y 0
		.amdhsa_system_sgpr_workgroup_id_z 0
		.amdhsa_system_sgpr_workgroup_info 0
		.amdhsa_system_vgpr_workitem_id 0
		.amdhsa_next_free_vgpr 1
		.amdhsa_next_free_sgpr 0
		.amdhsa_accum_offset 4
		.amdhsa_reserve_vcc 0
		.amdhsa_float_round_mode_32 0
		.amdhsa_float_round_mode_16_64 0
		.amdhsa_float_denorm_mode_32 3
		.amdhsa_float_denorm_mode_16_64 3
		.amdhsa_dx10_clamp 1
		.amdhsa_ieee_mode 1
		.amdhsa_fp16_overflow 0
		.amdhsa_tg_split 0
		.amdhsa_exception_fp_ieee_invalid_op 0
		.amdhsa_exception_fp_denorm_src 0
		.amdhsa_exception_fp_ieee_div_zero 0
		.amdhsa_exception_fp_ieee_overflow 0
		.amdhsa_exception_fp_ieee_underflow 0
		.amdhsa_exception_fp_ieee_inexact 0
		.amdhsa_exception_int_div_zero 0
	.end_amdhsa_kernel
	.section	.text._ZN7rocprim17ROCPRIM_400000_NS6detail17trampoline_kernelINS0_14default_configENS1_25partition_config_selectorILNS1_17partition_subalgoE1EjNS0_10empty_typeEbEEZZNS1_14partition_implILS5_1ELb0ES3_jN6thrust23THRUST_200600_302600_NS6detail15normal_iteratorINSA_10device_ptrIjEEEEPS6_NSA_18transform_iteratorI7is_evenIjESF_NSA_11use_defaultESK_EENS0_5tupleIJSF_SF_EEENSM_IJSG_SG_EEES6_PlJS6_EEE10hipError_tPvRmT3_T4_T5_T6_T7_T9_mT8_P12ihipStream_tbDpT10_ENKUlT_T0_E_clISt17integral_constantIbLb1EES18_IbLb0EEEEDaS14_S15_EUlS14_E_NS1_11comp_targetILNS1_3genE2ELNS1_11target_archE906ELNS1_3gpuE6ELNS1_3repE0EEENS1_30default_config_static_selectorELNS0_4arch9wavefront6targetE1EEEvT1_,"axG",@progbits,_ZN7rocprim17ROCPRIM_400000_NS6detail17trampoline_kernelINS0_14default_configENS1_25partition_config_selectorILNS1_17partition_subalgoE1EjNS0_10empty_typeEbEEZZNS1_14partition_implILS5_1ELb0ES3_jN6thrust23THRUST_200600_302600_NS6detail15normal_iteratorINSA_10device_ptrIjEEEEPS6_NSA_18transform_iteratorI7is_evenIjESF_NSA_11use_defaultESK_EENS0_5tupleIJSF_SF_EEENSM_IJSG_SG_EEES6_PlJS6_EEE10hipError_tPvRmT3_T4_T5_T6_T7_T9_mT8_P12ihipStream_tbDpT10_ENKUlT_T0_E_clISt17integral_constantIbLb1EES18_IbLb0EEEEDaS14_S15_EUlS14_E_NS1_11comp_targetILNS1_3genE2ELNS1_11target_archE906ELNS1_3gpuE6ELNS1_3repE0EEENS1_30default_config_static_selectorELNS0_4arch9wavefront6targetE1EEEvT1_,comdat
.Lfunc_end2255:
	.size	_ZN7rocprim17ROCPRIM_400000_NS6detail17trampoline_kernelINS0_14default_configENS1_25partition_config_selectorILNS1_17partition_subalgoE1EjNS0_10empty_typeEbEEZZNS1_14partition_implILS5_1ELb0ES3_jN6thrust23THRUST_200600_302600_NS6detail15normal_iteratorINSA_10device_ptrIjEEEEPS6_NSA_18transform_iteratorI7is_evenIjESF_NSA_11use_defaultESK_EENS0_5tupleIJSF_SF_EEENSM_IJSG_SG_EEES6_PlJS6_EEE10hipError_tPvRmT3_T4_T5_T6_T7_T9_mT8_P12ihipStream_tbDpT10_ENKUlT_T0_E_clISt17integral_constantIbLb1EES18_IbLb0EEEEDaS14_S15_EUlS14_E_NS1_11comp_targetILNS1_3genE2ELNS1_11target_archE906ELNS1_3gpuE6ELNS1_3repE0EEENS1_30default_config_static_selectorELNS0_4arch9wavefront6targetE1EEEvT1_, .Lfunc_end2255-_ZN7rocprim17ROCPRIM_400000_NS6detail17trampoline_kernelINS0_14default_configENS1_25partition_config_selectorILNS1_17partition_subalgoE1EjNS0_10empty_typeEbEEZZNS1_14partition_implILS5_1ELb0ES3_jN6thrust23THRUST_200600_302600_NS6detail15normal_iteratorINSA_10device_ptrIjEEEEPS6_NSA_18transform_iteratorI7is_evenIjESF_NSA_11use_defaultESK_EENS0_5tupleIJSF_SF_EEENSM_IJSG_SG_EEES6_PlJS6_EEE10hipError_tPvRmT3_T4_T5_T6_T7_T9_mT8_P12ihipStream_tbDpT10_ENKUlT_T0_E_clISt17integral_constantIbLb1EES18_IbLb0EEEEDaS14_S15_EUlS14_E_NS1_11comp_targetILNS1_3genE2ELNS1_11target_archE906ELNS1_3gpuE6ELNS1_3repE0EEENS1_30default_config_static_selectorELNS0_4arch9wavefront6targetE1EEEvT1_
                                        ; -- End function
	.section	.AMDGPU.csdata,"",@progbits
; Kernel info:
; codeLenInByte = 0
; NumSgprs: 6
; NumVgprs: 0
; NumAgprs: 0
; TotalNumVgprs: 0
; ScratchSize: 0
; MemoryBound: 0
; FloatMode: 240
; IeeeMode: 1
; LDSByteSize: 0 bytes/workgroup (compile time only)
; SGPRBlocks: 0
; VGPRBlocks: 0
; NumSGPRsForWavesPerEU: 6
; NumVGPRsForWavesPerEU: 1
; AccumOffset: 4
; Occupancy: 8
; WaveLimiterHint : 0
; COMPUTE_PGM_RSRC2:SCRATCH_EN: 0
; COMPUTE_PGM_RSRC2:USER_SGPR: 2
; COMPUTE_PGM_RSRC2:TRAP_HANDLER: 0
; COMPUTE_PGM_RSRC2:TGID_X_EN: 1
; COMPUTE_PGM_RSRC2:TGID_Y_EN: 0
; COMPUTE_PGM_RSRC2:TGID_Z_EN: 0
; COMPUTE_PGM_RSRC2:TIDIG_COMP_CNT: 0
; COMPUTE_PGM_RSRC3_GFX90A:ACCUM_OFFSET: 0
; COMPUTE_PGM_RSRC3_GFX90A:TG_SPLIT: 0
	.section	.text._ZN7rocprim17ROCPRIM_400000_NS6detail17trampoline_kernelINS0_14default_configENS1_25partition_config_selectorILNS1_17partition_subalgoE1EjNS0_10empty_typeEbEEZZNS1_14partition_implILS5_1ELb0ES3_jN6thrust23THRUST_200600_302600_NS6detail15normal_iteratorINSA_10device_ptrIjEEEEPS6_NSA_18transform_iteratorI7is_evenIjESF_NSA_11use_defaultESK_EENS0_5tupleIJSF_SF_EEENSM_IJSG_SG_EEES6_PlJS6_EEE10hipError_tPvRmT3_T4_T5_T6_T7_T9_mT8_P12ihipStream_tbDpT10_ENKUlT_T0_E_clISt17integral_constantIbLb1EES18_IbLb0EEEEDaS14_S15_EUlS14_E_NS1_11comp_targetILNS1_3genE10ELNS1_11target_archE1200ELNS1_3gpuE4ELNS1_3repE0EEENS1_30default_config_static_selectorELNS0_4arch9wavefront6targetE1EEEvT1_,"axG",@progbits,_ZN7rocprim17ROCPRIM_400000_NS6detail17trampoline_kernelINS0_14default_configENS1_25partition_config_selectorILNS1_17partition_subalgoE1EjNS0_10empty_typeEbEEZZNS1_14partition_implILS5_1ELb0ES3_jN6thrust23THRUST_200600_302600_NS6detail15normal_iteratorINSA_10device_ptrIjEEEEPS6_NSA_18transform_iteratorI7is_evenIjESF_NSA_11use_defaultESK_EENS0_5tupleIJSF_SF_EEENSM_IJSG_SG_EEES6_PlJS6_EEE10hipError_tPvRmT3_T4_T5_T6_T7_T9_mT8_P12ihipStream_tbDpT10_ENKUlT_T0_E_clISt17integral_constantIbLb1EES18_IbLb0EEEEDaS14_S15_EUlS14_E_NS1_11comp_targetILNS1_3genE10ELNS1_11target_archE1200ELNS1_3gpuE4ELNS1_3repE0EEENS1_30default_config_static_selectorELNS0_4arch9wavefront6targetE1EEEvT1_,comdat
	.protected	_ZN7rocprim17ROCPRIM_400000_NS6detail17trampoline_kernelINS0_14default_configENS1_25partition_config_selectorILNS1_17partition_subalgoE1EjNS0_10empty_typeEbEEZZNS1_14partition_implILS5_1ELb0ES3_jN6thrust23THRUST_200600_302600_NS6detail15normal_iteratorINSA_10device_ptrIjEEEEPS6_NSA_18transform_iteratorI7is_evenIjESF_NSA_11use_defaultESK_EENS0_5tupleIJSF_SF_EEENSM_IJSG_SG_EEES6_PlJS6_EEE10hipError_tPvRmT3_T4_T5_T6_T7_T9_mT8_P12ihipStream_tbDpT10_ENKUlT_T0_E_clISt17integral_constantIbLb1EES18_IbLb0EEEEDaS14_S15_EUlS14_E_NS1_11comp_targetILNS1_3genE10ELNS1_11target_archE1200ELNS1_3gpuE4ELNS1_3repE0EEENS1_30default_config_static_selectorELNS0_4arch9wavefront6targetE1EEEvT1_ ; -- Begin function _ZN7rocprim17ROCPRIM_400000_NS6detail17trampoline_kernelINS0_14default_configENS1_25partition_config_selectorILNS1_17partition_subalgoE1EjNS0_10empty_typeEbEEZZNS1_14partition_implILS5_1ELb0ES3_jN6thrust23THRUST_200600_302600_NS6detail15normal_iteratorINSA_10device_ptrIjEEEEPS6_NSA_18transform_iteratorI7is_evenIjESF_NSA_11use_defaultESK_EENS0_5tupleIJSF_SF_EEENSM_IJSG_SG_EEES6_PlJS6_EEE10hipError_tPvRmT3_T4_T5_T6_T7_T9_mT8_P12ihipStream_tbDpT10_ENKUlT_T0_E_clISt17integral_constantIbLb1EES18_IbLb0EEEEDaS14_S15_EUlS14_E_NS1_11comp_targetILNS1_3genE10ELNS1_11target_archE1200ELNS1_3gpuE4ELNS1_3repE0EEENS1_30default_config_static_selectorELNS0_4arch9wavefront6targetE1EEEvT1_
	.globl	_ZN7rocprim17ROCPRIM_400000_NS6detail17trampoline_kernelINS0_14default_configENS1_25partition_config_selectorILNS1_17partition_subalgoE1EjNS0_10empty_typeEbEEZZNS1_14partition_implILS5_1ELb0ES3_jN6thrust23THRUST_200600_302600_NS6detail15normal_iteratorINSA_10device_ptrIjEEEEPS6_NSA_18transform_iteratorI7is_evenIjESF_NSA_11use_defaultESK_EENS0_5tupleIJSF_SF_EEENSM_IJSG_SG_EEES6_PlJS6_EEE10hipError_tPvRmT3_T4_T5_T6_T7_T9_mT8_P12ihipStream_tbDpT10_ENKUlT_T0_E_clISt17integral_constantIbLb1EES18_IbLb0EEEEDaS14_S15_EUlS14_E_NS1_11comp_targetILNS1_3genE10ELNS1_11target_archE1200ELNS1_3gpuE4ELNS1_3repE0EEENS1_30default_config_static_selectorELNS0_4arch9wavefront6targetE1EEEvT1_
	.p2align	8
	.type	_ZN7rocprim17ROCPRIM_400000_NS6detail17trampoline_kernelINS0_14default_configENS1_25partition_config_selectorILNS1_17partition_subalgoE1EjNS0_10empty_typeEbEEZZNS1_14partition_implILS5_1ELb0ES3_jN6thrust23THRUST_200600_302600_NS6detail15normal_iteratorINSA_10device_ptrIjEEEEPS6_NSA_18transform_iteratorI7is_evenIjESF_NSA_11use_defaultESK_EENS0_5tupleIJSF_SF_EEENSM_IJSG_SG_EEES6_PlJS6_EEE10hipError_tPvRmT3_T4_T5_T6_T7_T9_mT8_P12ihipStream_tbDpT10_ENKUlT_T0_E_clISt17integral_constantIbLb1EES18_IbLb0EEEEDaS14_S15_EUlS14_E_NS1_11comp_targetILNS1_3genE10ELNS1_11target_archE1200ELNS1_3gpuE4ELNS1_3repE0EEENS1_30default_config_static_selectorELNS0_4arch9wavefront6targetE1EEEvT1_,@function
_ZN7rocprim17ROCPRIM_400000_NS6detail17trampoline_kernelINS0_14default_configENS1_25partition_config_selectorILNS1_17partition_subalgoE1EjNS0_10empty_typeEbEEZZNS1_14partition_implILS5_1ELb0ES3_jN6thrust23THRUST_200600_302600_NS6detail15normal_iteratorINSA_10device_ptrIjEEEEPS6_NSA_18transform_iteratorI7is_evenIjESF_NSA_11use_defaultESK_EENS0_5tupleIJSF_SF_EEENSM_IJSG_SG_EEES6_PlJS6_EEE10hipError_tPvRmT3_T4_T5_T6_T7_T9_mT8_P12ihipStream_tbDpT10_ENKUlT_T0_E_clISt17integral_constantIbLb1EES18_IbLb0EEEEDaS14_S15_EUlS14_E_NS1_11comp_targetILNS1_3genE10ELNS1_11target_archE1200ELNS1_3gpuE4ELNS1_3repE0EEENS1_30default_config_static_selectorELNS0_4arch9wavefront6targetE1EEEvT1_: ; @_ZN7rocprim17ROCPRIM_400000_NS6detail17trampoline_kernelINS0_14default_configENS1_25partition_config_selectorILNS1_17partition_subalgoE1EjNS0_10empty_typeEbEEZZNS1_14partition_implILS5_1ELb0ES3_jN6thrust23THRUST_200600_302600_NS6detail15normal_iteratorINSA_10device_ptrIjEEEEPS6_NSA_18transform_iteratorI7is_evenIjESF_NSA_11use_defaultESK_EENS0_5tupleIJSF_SF_EEENSM_IJSG_SG_EEES6_PlJS6_EEE10hipError_tPvRmT3_T4_T5_T6_T7_T9_mT8_P12ihipStream_tbDpT10_ENKUlT_T0_E_clISt17integral_constantIbLb1EES18_IbLb0EEEEDaS14_S15_EUlS14_E_NS1_11comp_targetILNS1_3genE10ELNS1_11target_archE1200ELNS1_3gpuE4ELNS1_3repE0EEENS1_30default_config_static_selectorELNS0_4arch9wavefront6targetE1EEEvT1_
; %bb.0:
	.section	.rodata,"a",@progbits
	.p2align	6, 0x0
	.amdhsa_kernel _ZN7rocprim17ROCPRIM_400000_NS6detail17trampoline_kernelINS0_14default_configENS1_25partition_config_selectorILNS1_17partition_subalgoE1EjNS0_10empty_typeEbEEZZNS1_14partition_implILS5_1ELb0ES3_jN6thrust23THRUST_200600_302600_NS6detail15normal_iteratorINSA_10device_ptrIjEEEEPS6_NSA_18transform_iteratorI7is_evenIjESF_NSA_11use_defaultESK_EENS0_5tupleIJSF_SF_EEENSM_IJSG_SG_EEES6_PlJS6_EEE10hipError_tPvRmT3_T4_T5_T6_T7_T9_mT8_P12ihipStream_tbDpT10_ENKUlT_T0_E_clISt17integral_constantIbLb1EES18_IbLb0EEEEDaS14_S15_EUlS14_E_NS1_11comp_targetILNS1_3genE10ELNS1_11target_archE1200ELNS1_3gpuE4ELNS1_3repE0EEENS1_30default_config_static_selectorELNS0_4arch9wavefront6targetE1EEEvT1_
		.amdhsa_group_segment_fixed_size 0
		.amdhsa_private_segment_fixed_size 0
		.amdhsa_kernarg_size 128
		.amdhsa_user_sgpr_count 2
		.amdhsa_user_sgpr_dispatch_ptr 0
		.amdhsa_user_sgpr_queue_ptr 0
		.amdhsa_user_sgpr_kernarg_segment_ptr 1
		.amdhsa_user_sgpr_dispatch_id 0
		.amdhsa_user_sgpr_kernarg_preload_length 0
		.amdhsa_user_sgpr_kernarg_preload_offset 0
		.amdhsa_user_sgpr_private_segment_size 0
		.amdhsa_uses_dynamic_stack 0
		.amdhsa_enable_private_segment 0
		.amdhsa_system_sgpr_workgroup_id_x 1
		.amdhsa_system_sgpr_workgroup_id_y 0
		.amdhsa_system_sgpr_workgroup_id_z 0
		.amdhsa_system_sgpr_workgroup_info 0
		.amdhsa_system_vgpr_workitem_id 0
		.amdhsa_next_free_vgpr 1
		.amdhsa_next_free_sgpr 0
		.amdhsa_accum_offset 4
		.amdhsa_reserve_vcc 0
		.amdhsa_float_round_mode_32 0
		.amdhsa_float_round_mode_16_64 0
		.amdhsa_float_denorm_mode_32 3
		.amdhsa_float_denorm_mode_16_64 3
		.amdhsa_dx10_clamp 1
		.amdhsa_ieee_mode 1
		.amdhsa_fp16_overflow 0
		.amdhsa_tg_split 0
		.amdhsa_exception_fp_ieee_invalid_op 0
		.amdhsa_exception_fp_denorm_src 0
		.amdhsa_exception_fp_ieee_div_zero 0
		.amdhsa_exception_fp_ieee_overflow 0
		.amdhsa_exception_fp_ieee_underflow 0
		.amdhsa_exception_fp_ieee_inexact 0
		.amdhsa_exception_int_div_zero 0
	.end_amdhsa_kernel
	.section	.text._ZN7rocprim17ROCPRIM_400000_NS6detail17trampoline_kernelINS0_14default_configENS1_25partition_config_selectorILNS1_17partition_subalgoE1EjNS0_10empty_typeEbEEZZNS1_14partition_implILS5_1ELb0ES3_jN6thrust23THRUST_200600_302600_NS6detail15normal_iteratorINSA_10device_ptrIjEEEEPS6_NSA_18transform_iteratorI7is_evenIjESF_NSA_11use_defaultESK_EENS0_5tupleIJSF_SF_EEENSM_IJSG_SG_EEES6_PlJS6_EEE10hipError_tPvRmT3_T4_T5_T6_T7_T9_mT8_P12ihipStream_tbDpT10_ENKUlT_T0_E_clISt17integral_constantIbLb1EES18_IbLb0EEEEDaS14_S15_EUlS14_E_NS1_11comp_targetILNS1_3genE10ELNS1_11target_archE1200ELNS1_3gpuE4ELNS1_3repE0EEENS1_30default_config_static_selectorELNS0_4arch9wavefront6targetE1EEEvT1_,"axG",@progbits,_ZN7rocprim17ROCPRIM_400000_NS6detail17trampoline_kernelINS0_14default_configENS1_25partition_config_selectorILNS1_17partition_subalgoE1EjNS0_10empty_typeEbEEZZNS1_14partition_implILS5_1ELb0ES3_jN6thrust23THRUST_200600_302600_NS6detail15normal_iteratorINSA_10device_ptrIjEEEEPS6_NSA_18transform_iteratorI7is_evenIjESF_NSA_11use_defaultESK_EENS0_5tupleIJSF_SF_EEENSM_IJSG_SG_EEES6_PlJS6_EEE10hipError_tPvRmT3_T4_T5_T6_T7_T9_mT8_P12ihipStream_tbDpT10_ENKUlT_T0_E_clISt17integral_constantIbLb1EES18_IbLb0EEEEDaS14_S15_EUlS14_E_NS1_11comp_targetILNS1_3genE10ELNS1_11target_archE1200ELNS1_3gpuE4ELNS1_3repE0EEENS1_30default_config_static_selectorELNS0_4arch9wavefront6targetE1EEEvT1_,comdat
.Lfunc_end2256:
	.size	_ZN7rocprim17ROCPRIM_400000_NS6detail17trampoline_kernelINS0_14default_configENS1_25partition_config_selectorILNS1_17partition_subalgoE1EjNS0_10empty_typeEbEEZZNS1_14partition_implILS5_1ELb0ES3_jN6thrust23THRUST_200600_302600_NS6detail15normal_iteratorINSA_10device_ptrIjEEEEPS6_NSA_18transform_iteratorI7is_evenIjESF_NSA_11use_defaultESK_EENS0_5tupleIJSF_SF_EEENSM_IJSG_SG_EEES6_PlJS6_EEE10hipError_tPvRmT3_T4_T5_T6_T7_T9_mT8_P12ihipStream_tbDpT10_ENKUlT_T0_E_clISt17integral_constantIbLb1EES18_IbLb0EEEEDaS14_S15_EUlS14_E_NS1_11comp_targetILNS1_3genE10ELNS1_11target_archE1200ELNS1_3gpuE4ELNS1_3repE0EEENS1_30default_config_static_selectorELNS0_4arch9wavefront6targetE1EEEvT1_, .Lfunc_end2256-_ZN7rocprim17ROCPRIM_400000_NS6detail17trampoline_kernelINS0_14default_configENS1_25partition_config_selectorILNS1_17partition_subalgoE1EjNS0_10empty_typeEbEEZZNS1_14partition_implILS5_1ELb0ES3_jN6thrust23THRUST_200600_302600_NS6detail15normal_iteratorINSA_10device_ptrIjEEEEPS6_NSA_18transform_iteratorI7is_evenIjESF_NSA_11use_defaultESK_EENS0_5tupleIJSF_SF_EEENSM_IJSG_SG_EEES6_PlJS6_EEE10hipError_tPvRmT3_T4_T5_T6_T7_T9_mT8_P12ihipStream_tbDpT10_ENKUlT_T0_E_clISt17integral_constantIbLb1EES18_IbLb0EEEEDaS14_S15_EUlS14_E_NS1_11comp_targetILNS1_3genE10ELNS1_11target_archE1200ELNS1_3gpuE4ELNS1_3repE0EEENS1_30default_config_static_selectorELNS0_4arch9wavefront6targetE1EEEvT1_
                                        ; -- End function
	.section	.AMDGPU.csdata,"",@progbits
; Kernel info:
; codeLenInByte = 0
; NumSgprs: 6
; NumVgprs: 0
; NumAgprs: 0
; TotalNumVgprs: 0
; ScratchSize: 0
; MemoryBound: 0
; FloatMode: 240
; IeeeMode: 1
; LDSByteSize: 0 bytes/workgroup (compile time only)
; SGPRBlocks: 0
; VGPRBlocks: 0
; NumSGPRsForWavesPerEU: 6
; NumVGPRsForWavesPerEU: 1
; AccumOffset: 4
; Occupancy: 8
; WaveLimiterHint : 0
; COMPUTE_PGM_RSRC2:SCRATCH_EN: 0
; COMPUTE_PGM_RSRC2:USER_SGPR: 2
; COMPUTE_PGM_RSRC2:TRAP_HANDLER: 0
; COMPUTE_PGM_RSRC2:TGID_X_EN: 1
; COMPUTE_PGM_RSRC2:TGID_Y_EN: 0
; COMPUTE_PGM_RSRC2:TGID_Z_EN: 0
; COMPUTE_PGM_RSRC2:TIDIG_COMP_CNT: 0
; COMPUTE_PGM_RSRC3_GFX90A:ACCUM_OFFSET: 0
; COMPUTE_PGM_RSRC3_GFX90A:TG_SPLIT: 0
	.section	.text._ZN7rocprim17ROCPRIM_400000_NS6detail17trampoline_kernelINS0_14default_configENS1_25partition_config_selectorILNS1_17partition_subalgoE1EjNS0_10empty_typeEbEEZZNS1_14partition_implILS5_1ELb0ES3_jN6thrust23THRUST_200600_302600_NS6detail15normal_iteratorINSA_10device_ptrIjEEEEPS6_NSA_18transform_iteratorI7is_evenIjESF_NSA_11use_defaultESK_EENS0_5tupleIJSF_SF_EEENSM_IJSG_SG_EEES6_PlJS6_EEE10hipError_tPvRmT3_T4_T5_T6_T7_T9_mT8_P12ihipStream_tbDpT10_ENKUlT_T0_E_clISt17integral_constantIbLb1EES18_IbLb0EEEEDaS14_S15_EUlS14_E_NS1_11comp_targetILNS1_3genE9ELNS1_11target_archE1100ELNS1_3gpuE3ELNS1_3repE0EEENS1_30default_config_static_selectorELNS0_4arch9wavefront6targetE1EEEvT1_,"axG",@progbits,_ZN7rocprim17ROCPRIM_400000_NS6detail17trampoline_kernelINS0_14default_configENS1_25partition_config_selectorILNS1_17partition_subalgoE1EjNS0_10empty_typeEbEEZZNS1_14partition_implILS5_1ELb0ES3_jN6thrust23THRUST_200600_302600_NS6detail15normal_iteratorINSA_10device_ptrIjEEEEPS6_NSA_18transform_iteratorI7is_evenIjESF_NSA_11use_defaultESK_EENS0_5tupleIJSF_SF_EEENSM_IJSG_SG_EEES6_PlJS6_EEE10hipError_tPvRmT3_T4_T5_T6_T7_T9_mT8_P12ihipStream_tbDpT10_ENKUlT_T0_E_clISt17integral_constantIbLb1EES18_IbLb0EEEEDaS14_S15_EUlS14_E_NS1_11comp_targetILNS1_3genE9ELNS1_11target_archE1100ELNS1_3gpuE3ELNS1_3repE0EEENS1_30default_config_static_selectorELNS0_4arch9wavefront6targetE1EEEvT1_,comdat
	.protected	_ZN7rocprim17ROCPRIM_400000_NS6detail17trampoline_kernelINS0_14default_configENS1_25partition_config_selectorILNS1_17partition_subalgoE1EjNS0_10empty_typeEbEEZZNS1_14partition_implILS5_1ELb0ES3_jN6thrust23THRUST_200600_302600_NS6detail15normal_iteratorINSA_10device_ptrIjEEEEPS6_NSA_18transform_iteratorI7is_evenIjESF_NSA_11use_defaultESK_EENS0_5tupleIJSF_SF_EEENSM_IJSG_SG_EEES6_PlJS6_EEE10hipError_tPvRmT3_T4_T5_T6_T7_T9_mT8_P12ihipStream_tbDpT10_ENKUlT_T0_E_clISt17integral_constantIbLb1EES18_IbLb0EEEEDaS14_S15_EUlS14_E_NS1_11comp_targetILNS1_3genE9ELNS1_11target_archE1100ELNS1_3gpuE3ELNS1_3repE0EEENS1_30default_config_static_selectorELNS0_4arch9wavefront6targetE1EEEvT1_ ; -- Begin function _ZN7rocprim17ROCPRIM_400000_NS6detail17trampoline_kernelINS0_14default_configENS1_25partition_config_selectorILNS1_17partition_subalgoE1EjNS0_10empty_typeEbEEZZNS1_14partition_implILS5_1ELb0ES3_jN6thrust23THRUST_200600_302600_NS6detail15normal_iteratorINSA_10device_ptrIjEEEEPS6_NSA_18transform_iteratorI7is_evenIjESF_NSA_11use_defaultESK_EENS0_5tupleIJSF_SF_EEENSM_IJSG_SG_EEES6_PlJS6_EEE10hipError_tPvRmT3_T4_T5_T6_T7_T9_mT8_P12ihipStream_tbDpT10_ENKUlT_T0_E_clISt17integral_constantIbLb1EES18_IbLb0EEEEDaS14_S15_EUlS14_E_NS1_11comp_targetILNS1_3genE9ELNS1_11target_archE1100ELNS1_3gpuE3ELNS1_3repE0EEENS1_30default_config_static_selectorELNS0_4arch9wavefront6targetE1EEEvT1_
	.globl	_ZN7rocprim17ROCPRIM_400000_NS6detail17trampoline_kernelINS0_14default_configENS1_25partition_config_selectorILNS1_17partition_subalgoE1EjNS0_10empty_typeEbEEZZNS1_14partition_implILS5_1ELb0ES3_jN6thrust23THRUST_200600_302600_NS6detail15normal_iteratorINSA_10device_ptrIjEEEEPS6_NSA_18transform_iteratorI7is_evenIjESF_NSA_11use_defaultESK_EENS0_5tupleIJSF_SF_EEENSM_IJSG_SG_EEES6_PlJS6_EEE10hipError_tPvRmT3_T4_T5_T6_T7_T9_mT8_P12ihipStream_tbDpT10_ENKUlT_T0_E_clISt17integral_constantIbLb1EES18_IbLb0EEEEDaS14_S15_EUlS14_E_NS1_11comp_targetILNS1_3genE9ELNS1_11target_archE1100ELNS1_3gpuE3ELNS1_3repE0EEENS1_30default_config_static_selectorELNS0_4arch9wavefront6targetE1EEEvT1_
	.p2align	8
	.type	_ZN7rocprim17ROCPRIM_400000_NS6detail17trampoline_kernelINS0_14default_configENS1_25partition_config_selectorILNS1_17partition_subalgoE1EjNS0_10empty_typeEbEEZZNS1_14partition_implILS5_1ELb0ES3_jN6thrust23THRUST_200600_302600_NS6detail15normal_iteratorINSA_10device_ptrIjEEEEPS6_NSA_18transform_iteratorI7is_evenIjESF_NSA_11use_defaultESK_EENS0_5tupleIJSF_SF_EEENSM_IJSG_SG_EEES6_PlJS6_EEE10hipError_tPvRmT3_T4_T5_T6_T7_T9_mT8_P12ihipStream_tbDpT10_ENKUlT_T0_E_clISt17integral_constantIbLb1EES18_IbLb0EEEEDaS14_S15_EUlS14_E_NS1_11comp_targetILNS1_3genE9ELNS1_11target_archE1100ELNS1_3gpuE3ELNS1_3repE0EEENS1_30default_config_static_selectorELNS0_4arch9wavefront6targetE1EEEvT1_,@function
_ZN7rocprim17ROCPRIM_400000_NS6detail17trampoline_kernelINS0_14default_configENS1_25partition_config_selectorILNS1_17partition_subalgoE1EjNS0_10empty_typeEbEEZZNS1_14partition_implILS5_1ELb0ES3_jN6thrust23THRUST_200600_302600_NS6detail15normal_iteratorINSA_10device_ptrIjEEEEPS6_NSA_18transform_iteratorI7is_evenIjESF_NSA_11use_defaultESK_EENS0_5tupleIJSF_SF_EEENSM_IJSG_SG_EEES6_PlJS6_EEE10hipError_tPvRmT3_T4_T5_T6_T7_T9_mT8_P12ihipStream_tbDpT10_ENKUlT_T0_E_clISt17integral_constantIbLb1EES18_IbLb0EEEEDaS14_S15_EUlS14_E_NS1_11comp_targetILNS1_3genE9ELNS1_11target_archE1100ELNS1_3gpuE3ELNS1_3repE0EEENS1_30default_config_static_selectorELNS0_4arch9wavefront6targetE1EEEvT1_: ; @_ZN7rocprim17ROCPRIM_400000_NS6detail17trampoline_kernelINS0_14default_configENS1_25partition_config_selectorILNS1_17partition_subalgoE1EjNS0_10empty_typeEbEEZZNS1_14partition_implILS5_1ELb0ES3_jN6thrust23THRUST_200600_302600_NS6detail15normal_iteratorINSA_10device_ptrIjEEEEPS6_NSA_18transform_iteratorI7is_evenIjESF_NSA_11use_defaultESK_EENS0_5tupleIJSF_SF_EEENSM_IJSG_SG_EEES6_PlJS6_EEE10hipError_tPvRmT3_T4_T5_T6_T7_T9_mT8_P12ihipStream_tbDpT10_ENKUlT_T0_E_clISt17integral_constantIbLb1EES18_IbLb0EEEEDaS14_S15_EUlS14_E_NS1_11comp_targetILNS1_3genE9ELNS1_11target_archE1100ELNS1_3gpuE3ELNS1_3repE0EEENS1_30default_config_static_selectorELNS0_4arch9wavefront6targetE1EEEvT1_
; %bb.0:
	.section	.rodata,"a",@progbits
	.p2align	6, 0x0
	.amdhsa_kernel _ZN7rocprim17ROCPRIM_400000_NS6detail17trampoline_kernelINS0_14default_configENS1_25partition_config_selectorILNS1_17partition_subalgoE1EjNS0_10empty_typeEbEEZZNS1_14partition_implILS5_1ELb0ES3_jN6thrust23THRUST_200600_302600_NS6detail15normal_iteratorINSA_10device_ptrIjEEEEPS6_NSA_18transform_iteratorI7is_evenIjESF_NSA_11use_defaultESK_EENS0_5tupleIJSF_SF_EEENSM_IJSG_SG_EEES6_PlJS6_EEE10hipError_tPvRmT3_T4_T5_T6_T7_T9_mT8_P12ihipStream_tbDpT10_ENKUlT_T0_E_clISt17integral_constantIbLb1EES18_IbLb0EEEEDaS14_S15_EUlS14_E_NS1_11comp_targetILNS1_3genE9ELNS1_11target_archE1100ELNS1_3gpuE3ELNS1_3repE0EEENS1_30default_config_static_selectorELNS0_4arch9wavefront6targetE1EEEvT1_
		.amdhsa_group_segment_fixed_size 0
		.amdhsa_private_segment_fixed_size 0
		.amdhsa_kernarg_size 128
		.amdhsa_user_sgpr_count 2
		.amdhsa_user_sgpr_dispatch_ptr 0
		.amdhsa_user_sgpr_queue_ptr 0
		.amdhsa_user_sgpr_kernarg_segment_ptr 1
		.amdhsa_user_sgpr_dispatch_id 0
		.amdhsa_user_sgpr_kernarg_preload_length 0
		.amdhsa_user_sgpr_kernarg_preload_offset 0
		.amdhsa_user_sgpr_private_segment_size 0
		.amdhsa_uses_dynamic_stack 0
		.amdhsa_enable_private_segment 0
		.amdhsa_system_sgpr_workgroup_id_x 1
		.amdhsa_system_sgpr_workgroup_id_y 0
		.amdhsa_system_sgpr_workgroup_id_z 0
		.amdhsa_system_sgpr_workgroup_info 0
		.amdhsa_system_vgpr_workitem_id 0
		.amdhsa_next_free_vgpr 1
		.amdhsa_next_free_sgpr 0
		.amdhsa_accum_offset 4
		.amdhsa_reserve_vcc 0
		.amdhsa_float_round_mode_32 0
		.amdhsa_float_round_mode_16_64 0
		.amdhsa_float_denorm_mode_32 3
		.amdhsa_float_denorm_mode_16_64 3
		.amdhsa_dx10_clamp 1
		.amdhsa_ieee_mode 1
		.amdhsa_fp16_overflow 0
		.amdhsa_tg_split 0
		.amdhsa_exception_fp_ieee_invalid_op 0
		.amdhsa_exception_fp_denorm_src 0
		.amdhsa_exception_fp_ieee_div_zero 0
		.amdhsa_exception_fp_ieee_overflow 0
		.amdhsa_exception_fp_ieee_underflow 0
		.amdhsa_exception_fp_ieee_inexact 0
		.amdhsa_exception_int_div_zero 0
	.end_amdhsa_kernel
	.section	.text._ZN7rocprim17ROCPRIM_400000_NS6detail17trampoline_kernelINS0_14default_configENS1_25partition_config_selectorILNS1_17partition_subalgoE1EjNS0_10empty_typeEbEEZZNS1_14partition_implILS5_1ELb0ES3_jN6thrust23THRUST_200600_302600_NS6detail15normal_iteratorINSA_10device_ptrIjEEEEPS6_NSA_18transform_iteratorI7is_evenIjESF_NSA_11use_defaultESK_EENS0_5tupleIJSF_SF_EEENSM_IJSG_SG_EEES6_PlJS6_EEE10hipError_tPvRmT3_T4_T5_T6_T7_T9_mT8_P12ihipStream_tbDpT10_ENKUlT_T0_E_clISt17integral_constantIbLb1EES18_IbLb0EEEEDaS14_S15_EUlS14_E_NS1_11comp_targetILNS1_3genE9ELNS1_11target_archE1100ELNS1_3gpuE3ELNS1_3repE0EEENS1_30default_config_static_selectorELNS0_4arch9wavefront6targetE1EEEvT1_,"axG",@progbits,_ZN7rocprim17ROCPRIM_400000_NS6detail17trampoline_kernelINS0_14default_configENS1_25partition_config_selectorILNS1_17partition_subalgoE1EjNS0_10empty_typeEbEEZZNS1_14partition_implILS5_1ELb0ES3_jN6thrust23THRUST_200600_302600_NS6detail15normal_iteratorINSA_10device_ptrIjEEEEPS6_NSA_18transform_iteratorI7is_evenIjESF_NSA_11use_defaultESK_EENS0_5tupleIJSF_SF_EEENSM_IJSG_SG_EEES6_PlJS6_EEE10hipError_tPvRmT3_T4_T5_T6_T7_T9_mT8_P12ihipStream_tbDpT10_ENKUlT_T0_E_clISt17integral_constantIbLb1EES18_IbLb0EEEEDaS14_S15_EUlS14_E_NS1_11comp_targetILNS1_3genE9ELNS1_11target_archE1100ELNS1_3gpuE3ELNS1_3repE0EEENS1_30default_config_static_selectorELNS0_4arch9wavefront6targetE1EEEvT1_,comdat
.Lfunc_end2257:
	.size	_ZN7rocprim17ROCPRIM_400000_NS6detail17trampoline_kernelINS0_14default_configENS1_25partition_config_selectorILNS1_17partition_subalgoE1EjNS0_10empty_typeEbEEZZNS1_14partition_implILS5_1ELb0ES3_jN6thrust23THRUST_200600_302600_NS6detail15normal_iteratorINSA_10device_ptrIjEEEEPS6_NSA_18transform_iteratorI7is_evenIjESF_NSA_11use_defaultESK_EENS0_5tupleIJSF_SF_EEENSM_IJSG_SG_EEES6_PlJS6_EEE10hipError_tPvRmT3_T4_T5_T6_T7_T9_mT8_P12ihipStream_tbDpT10_ENKUlT_T0_E_clISt17integral_constantIbLb1EES18_IbLb0EEEEDaS14_S15_EUlS14_E_NS1_11comp_targetILNS1_3genE9ELNS1_11target_archE1100ELNS1_3gpuE3ELNS1_3repE0EEENS1_30default_config_static_selectorELNS0_4arch9wavefront6targetE1EEEvT1_, .Lfunc_end2257-_ZN7rocprim17ROCPRIM_400000_NS6detail17trampoline_kernelINS0_14default_configENS1_25partition_config_selectorILNS1_17partition_subalgoE1EjNS0_10empty_typeEbEEZZNS1_14partition_implILS5_1ELb0ES3_jN6thrust23THRUST_200600_302600_NS6detail15normal_iteratorINSA_10device_ptrIjEEEEPS6_NSA_18transform_iteratorI7is_evenIjESF_NSA_11use_defaultESK_EENS0_5tupleIJSF_SF_EEENSM_IJSG_SG_EEES6_PlJS6_EEE10hipError_tPvRmT3_T4_T5_T6_T7_T9_mT8_P12ihipStream_tbDpT10_ENKUlT_T0_E_clISt17integral_constantIbLb1EES18_IbLb0EEEEDaS14_S15_EUlS14_E_NS1_11comp_targetILNS1_3genE9ELNS1_11target_archE1100ELNS1_3gpuE3ELNS1_3repE0EEENS1_30default_config_static_selectorELNS0_4arch9wavefront6targetE1EEEvT1_
                                        ; -- End function
	.section	.AMDGPU.csdata,"",@progbits
; Kernel info:
; codeLenInByte = 0
; NumSgprs: 6
; NumVgprs: 0
; NumAgprs: 0
; TotalNumVgprs: 0
; ScratchSize: 0
; MemoryBound: 0
; FloatMode: 240
; IeeeMode: 1
; LDSByteSize: 0 bytes/workgroup (compile time only)
; SGPRBlocks: 0
; VGPRBlocks: 0
; NumSGPRsForWavesPerEU: 6
; NumVGPRsForWavesPerEU: 1
; AccumOffset: 4
; Occupancy: 8
; WaveLimiterHint : 0
; COMPUTE_PGM_RSRC2:SCRATCH_EN: 0
; COMPUTE_PGM_RSRC2:USER_SGPR: 2
; COMPUTE_PGM_RSRC2:TRAP_HANDLER: 0
; COMPUTE_PGM_RSRC2:TGID_X_EN: 1
; COMPUTE_PGM_RSRC2:TGID_Y_EN: 0
; COMPUTE_PGM_RSRC2:TGID_Z_EN: 0
; COMPUTE_PGM_RSRC2:TIDIG_COMP_CNT: 0
; COMPUTE_PGM_RSRC3_GFX90A:ACCUM_OFFSET: 0
; COMPUTE_PGM_RSRC3_GFX90A:TG_SPLIT: 0
	.section	.text._ZN7rocprim17ROCPRIM_400000_NS6detail17trampoline_kernelINS0_14default_configENS1_25partition_config_selectorILNS1_17partition_subalgoE1EjNS0_10empty_typeEbEEZZNS1_14partition_implILS5_1ELb0ES3_jN6thrust23THRUST_200600_302600_NS6detail15normal_iteratorINSA_10device_ptrIjEEEEPS6_NSA_18transform_iteratorI7is_evenIjESF_NSA_11use_defaultESK_EENS0_5tupleIJSF_SF_EEENSM_IJSG_SG_EEES6_PlJS6_EEE10hipError_tPvRmT3_T4_T5_T6_T7_T9_mT8_P12ihipStream_tbDpT10_ENKUlT_T0_E_clISt17integral_constantIbLb1EES18_IbLb0EEEEDaS14_S15_EUlS14_E_NS1_11comp_targetILNS1_3genE8ELNS1_11target_archE1030ELNS1_3gpuE2ELNS1_3repE0EEENS1_30default_config_static_selectorELNS0_4arch9wavefront6targetE1EEEvT1_,"axG",@progbits,_ZN7rocprim17ROCPRIM_400000_NS6detail17trampoline_kernelINS0_14default_configENS1_25partition_config_selectorILNS1_17partition_subalgoE1EjNS0_10empty_typeEbEEZZNS1_14partition_implILS5_1ELb0ES3_jN6thrust23THRUST_200600_302600_NS6detail15normal_iteratorINSA_10device_ptrIjEEEEPS6_NSA_18transform_iteratorI7is_evenIjESF_NSA_11use_defaultESK_EENS0_5tupleIJSF_SF_EEENSM_IJSG_SG_EEES6_PlJS6_EEE10hipError_tPvRmT3_T4_T5_T6_T7_T9_mT8_P12ihipStream_tbDpT10_ENKUlT_T0_E_clISt17integral_constantIbLb1EES18_IbLb0EEEEDaS14_S15_EUlS14_E_NS1_11comp_targetILNS1_3genE8ELNS1_11target_archE1030ELNS1_3gpuE2ELNS1_3repE0EEENS1_30default_config_static_selectorELNS0_4arch9wavefront6targetE1EEEvT1_,comdat
	.protected	_ZN7rocprim17ROCPRIM_400000_NS6detail17trampoline_kernelINS0_14default_configENS1_25partition_config_selectorILNS1_17partition_subalgoE1EjNS0_10empty_typeEbEEZZNS1_14partition_implILS5_1ELb0ES3_jN6thrust23THRUST_200600_302600_NS6detail15normal_iteratorINSA_10device_ptrIjEEEEPS6_NSA_18transform_iteratorI7is_evenIjESF_NSA_11use_defaultESK_EENS0_5tupleIJSF_SF_EEENSM_IJSG_SG_EEES6_PlJS6_EEE10hipError_tPvRmT3_T4_T5_T6_T7_T9_mT8_P12ihipStream_tbDpT10_ENKUlT_T0_E_clISt17integral_constantIbLb1EES18_IbLb0EEEEDaS14_S15_EUlS14_E_NS1_11comp_targetILNS1_3genE8ELNS1_11target_archE1030ELNS1_3gpuE2ELNS1_3repE0EEENS1_30default_config_static_selectorELNS0_4arch9wavefront6targetE1EEEvT1_ ; -- Begin function _ZN7rocprim17ROCPRIM_400000_NS6detail17trampoline_kernelINS0_14default_configENS1_25partition_config_selectorILNS1_17partition_subalgoE1EjNS0_10empty_typeEbEEZZNS1_14partition_implILS5_1ELb0ES3_jN6thrust23THRUST_200600_302600_NS6detail15normal_iteratorINSA_10device_ptrIjEEEEPS6_NSA_18transform_iteratorI7is_evenIjESF_NSA_11use_defaultESK_EENS0_5tupleIJSF_SF_EEENSM_IJSG_SG_EEES6_PlJS6_EEE10hipError_tPvRmT3_T4_T5_T6_T7_T9_mT8_P12ihipStream_tbDpT10_ENKUlT_T0_E_clISt17integral_constantIbLb1EES18_IbLb0EEEEDaS14_S15_EUlS14_E_NS1_11comp_targetILNS1_3genE8ELNS1_11target_archE1030ELNS1_3gpuE2ELNS1_3repE0EEENS1_30default_config_static_selectorELNS0_4arch9wavefront6targetE1EEEvT1_
	.globl	_ZN7rocprim17ROCPRIM_400000_NS6detail17trampoline_kernelINS0_14default_configENS1_25partition_config_selectorILNS1_17partition_subalgoE1EjNS0_10empty_typeEbEEZZNS1_14partition_implILS5_1ELb0ES3_jN6thrust23THRUST_200600_302600_NS6detail15normal_iteratorINSA_10device_ptrIjEEEEPS6_NSA_18transform_iteratorI7is_evenIjESF_NSA_11use_defaultESK_EENS0_5tupleIJSF_SF_EEENSM_IJSG_SG_EEES6_PlJS6_EEE10hipError_tPvRmT3_T4_T5_T6_T7_T9_mT8_P12ihipStream_tbDpT10_ENKUlT_T0_E_clISt17integral_constantIbLb1EES18_IbLb0EEEEDaS14_S15_EUlS14_E_NS1_11comp_targetILNS1_3genE8ELNS1_11target_archE1030ELNS1_3gpuE2ELNS1_3repE0EEENS1_30default_config_static_selectorELNS0_4arch9wavefront6targetE1EEEvT1_
	.p2align	8
	.type	_ZN7rocprim17ROCPRIM_400000_NS6detail17trampoline_kernelINS0_14default_configENS1_25partition_config_selectorILNS1_17partition_subalgoE1EjNS0_10empty_typeEbEEZZNS1_14partition_implILS5_1ELb0ES3_jN6thrust23THRUST_200600_302600_NS6detail15normal_iteratorINSA_10device_ptrIjEEEEPS6_NSA_18transform_iteratorI7is_evenIjESF_NSA_11use_defaultESK_EENS0_5tupleIJSF_SF_EEENSM_IJSG_SG_EEES6_PlJS6_EEE10hipError_tPvRmT3_T4_T5_T6_T7_T9_mT8_P12ihipStream_tbDpT10_ENKUlT_T0_E_clISt17integral_constantIbLb1EES18_IbLb0EEEEDaS14_S15_EUlS14_E_NS1_11comp_targetILNS1_3genE8ELNS1_11target_archE1030ELNS1_3gpuE2ELNS1_3repE0EEENS1_30default_config_static_selectorELNS0_4arch9wavefront6targetE1EEEvT1_,@function
_ZN7rocprim17ROCPRIM_400000_NS6detail17trampoline_kernelINS0_14default_configENS1_25partition_config_selectorILNS1_17partition_subalgoE1EjNS0_10empty_typeEbEEZZNS1_14partition_implILS5_1ELb0ES3_jN6thrust23THRUST_200600_302600_NS6detail15normal_iteratorINSA_10device_ptrIjEEEEPS6_NSA_18transform_iteratorI7is_evenIjESF_NSA_11use_defaultESK_EENS0_5tupleIJSF_SF_EEENSM_IJSG_SG_EEES6_PlJS6_EEE10hipError_tPvRmT3_T4_T5_T6_T7_T9_mT8_P12ihipStream_tbDpT10_ENKUlT_T0_E_clISt17integral_constantIbLb1EES18_IbLb0EEEEDaS14_S15_EUlS14_E_NS1_11comp_targetILNS1_3genE8ELNS1_11target_archE1030ELNS1_3gpuE2ELNS1_3repE0EEENS1_30default_config_static_selectorELNS0_4arch9wavefront6targetE1EEEvT1_: ; @_ZN7rocprim17ROCPRIM_400000_NS6detail17trampoline_kernelINS0_14default_configENS1_25partition_config_selectorILNS1_17partition_subalgoE1EjNS0_10empty_typeEbEEZZNS1_14partition_implILS5_1ELb0ES3_jN6thrust23THRUST_200600_302600_NS6detail15normal_iteratorINSA_10device_ptrIjEEEEPS6_NSA_18transform_iteratorI7is_evenIjESF_NSA_11use_defaultESK_EENS0_5tupleIJSF_SF_EEENSM_IJSG_SG_EEES6_PlJS6_EEE10hipError_tPvRmT3_T4_T5_T6_T7_T9_mT8_P12ihipStream_tbDpT10_ENKUlT_T0_E_clISt17integral_constantIbLb1EES18_IbLb0EEEEDaS14_S15_EUlS14_E_NS1_11comp_targetILNS1_3genE8ELNS1_11target_archE1030ELNS1_3gpuE2ELNS1_3repE0EEENS1_30default_config_static_selectorELNS0_4arch9wavefront6targetE1EEEvT1_
; %bb.0:
	.section	.rodata,"a",@progbits
	.p2align	6, 0x0
	.amdhsa_kernel _ZN7rocprim17ROCPRIM_400000_NS6detail17trampoline_kernelINS0_14default_configENS1_25partition_config_selectorILNS1_17partition_subalgoE1EjNS0_10empty_typeEbEEZZNS1_14partition_implILS5_1ELb0ES3_jN6thrust23THRUST_200600_302600_NS6detail15normal_iteratorINSA_10device_ptrIjEEEEPS6_NSA_18transform_iteratorI7is_evenIjESF_NSA_11use_defaultESK_EENS0_5tupleIJSF_SF_EEENSM_IJSG_SG_EEES6_PlJS6_EEE10hipError_tPvRmT3_T4_T5_T6_T7_T9_mT8_P12ihipStream_tbDpT10_ENKUlT_T0_E_clISt17integral_constantIbLb1EES18_IbLb0EEEEDaS14_S15_EUlS14_E_NS1_11comp_targetILNS1_3genE8ELNS1_11target_archE1030ELNS1_3gpuE2ELNS1_3repE0EEENS1_30default_config_static_selectorELNS0_4arch9wavefront6targetE1EEEvT1_
		.amdhsa_group_segment_fixed_size 0
		.amdhsa_private_segment_fixed_size 0
		.amdhsa_kernarg_size 128
		.amdhsa_user_sgpr_count 2
		.amdhsa_user_sgpr_dispatch_ptr 0
		.amdhsa_user_sgpr_queue_ptr 0
		.amdhsa_user_sgpr_kernarg_segment_ptr 1
		.amdhsa_user_sgpr_dispatch_id 0
		.amdhsa_user_sgpr_kernarg_preload_length 0
		.amdhsa_user_sgpr_kernarg_preload_offset 0
		.amdhsa_user_sgpr_private_segment_size 0
		.amdhsa_uses_dynamic_stack 0
		.amdhsa_enable_private_segment 0
		.amdhsa_system_sgpr_workgroup_id_x 1
		.amdhsa_system_sgpr_workgroup_id_y 0
		.amdhsa_system_sgpr_workgroup_id_z 0
		.amdhsa_system_sgpr_workgroup_info 0
		.amdhsa_system_vgpr_workitem_id 0
		.amdhsa_next_free_vgpr 1
		.amdhsa_next_free_sgpr 0
		.amdhsa_accum_offset 4
		.amdhsa_reserve_vcc 0
		.amdhsa_float_round_mode_32 0
		.amdhsa_float_round_mode_16_64 0
		.amdhsa_float_denorm_mode_32 3
		.amdhsa_float_denorm_mode_16_64 3
		.amdhsa_dx10_clamp 1
		.amdhsa_ieee_mode 1
		.amdhsa_fp16_overflow 0
		.amdhsa_tg_split 0
		.amdhsa_exception_fp_ieee_invalid_op 0
		.amdhsa_exception_fp_denorm_src 0
		.amdhsa_exception_fp_ieee_div_zero 0
		.amdhsa_exception_fp_ieee_overflow 0
		.amdhsa_exception_fp_ieee_underflow 0
		.amdhsa_exception_fp_ieee_inexact 0
		.amdhsa_exception_int_div_zero 0
	.end_amdhsa_kernel
	.section	.text._ZN7rocprim17ROCPRIM_400000_NS6detail17trampoline_kernelINS0_14default_configENS1_25partition_config_selectorILNS1_17partition_subalgoE1EjNS0_10empty_typeEbEEZZNS1_14partition_implILS5_1ELb0ES3_jN6thrust23THRUST_200600_302600_NS6detail15normal_iteratorINSA_10device_ptrIjEEEEPS6_NSA_18transform_iteratorI7is_evenIjESF_NSA_11use_defaultESK_EENS0_5tupleIJSF_SF_EEENSM_IJSG_SG_EEES6_PlJS6_EEE10hipError_tPvRmT3_T4_T5_T6_T7_T9_mT8_P12ihipStream_tbDpT10_ENKUlT_T0_E_clISt17integral_constantIbLb1EES18_IbLb0EEEEDaS14_S15_EUlS14_E_NS1_11comp_targetILNS1_3genE8ELNS1_11target_archE1030ELNS1_3gpuE2ELNS1_3repE0EEENS1_30default_config_static_selectorELNS0_4arch9wavefront6targetE1EEEvT1_,"axG",@progbits,_ZN7rocprim17ROCPRIM_400000_NS6detail17trampoline_kernelINS0_14default_configENS1_25partition_config_selectorILNS1_17partition_subalgoE1EjNS0_10empty_typeEbEEZZNS1_14partition_implILS5_1ELb0ES3_jN6thrust23THRUST_200600_302600_NS6detail15normal_iteratorINSA_10device_ptrIjEEEEPS6_NSA_18transform_iteratorI7is_evenIjESF_NSA_11use_defaultESK_EENS0_5tupleIJSF_SF_EEENSM_IJSG_SG_EEES6_PlJS6_EEE10hipError_tPvRmT3_T4_T5_T6_T7_T9_mT8_P12ihipStream_tbDpT10_ENKUlT_T0_E_clISt17integral_constantIbLb1EES18_IbLb0EEEEDaS14_S15_EUlS14_E_NS1_11comp_targetILNS1_3genE8ELNS1_11target_archE1030ELNS1_3gpuE2ELNS1_3repE0EEENS1_30default_config_static_selectorELNS0_4arch9wavefront6targetE1EEEvT1_,comdat
.Lfunc_end2258:
	.size	_ZN7rocprim17ROCPRIM_400000_NS6detail17trampoline_kernelINS0_14default_configENS1_25partition_config_selectorILNS1_17partition_subalgoE1EjNS0_10empty_typeEbEEZZNS1_14partition_implILS5_1ELb0ES3_jN6thrust23THRUST_200600_302600_NS6detail15normal_iteratorINSA_10device_ptrIjEEEEPS6_NSA_18transform_iteratorI7is_evenIjESF_NSA_11use_defaultESK_EENS0_5tupleIJSF_SF_EEENSM_IJSG_SG_EEES6_PlJS6_EEE10hipError_tPvRmT3_T4_T5_T6_T7_T9_mT8_P12ihipStream_tbDpT10_ENKUlT_T0_E_clISt17integral_constantIbLb1EES18_IbLb0EEEEDaS14_S15_EUlS14_E_NS1_11comp_targetILNS1_3genE8ELNS1_11target_archE1030ELNS1_3gpuE2ELNS1_3repE0EEENS1_30default_config_static_selectorELNS0_4arch9wavefront6targetE1EEEvT1_, .Lfunc_end2258-_ZN7rocprim17ROCPRIM_400000_NS6detail17trampoline_kernelINS0_14default_configENS1_25partition_config_selectorILNS1_17partition_subalgoE1EjNS0_10empty_typeEbEEZZNS1_14partition_implILS5_1ELb0ES3_jN6thrust23THRUST_200600_302600_NS6detail15normal_iteratorINSA_10device_ptrIjEEEEPS6_NSA_18transform_iteratorI7is_evenIjESF_NSA_11use_defaultESK_EENS0_5tupleIJSF_SF_EEENSM_IJSG_SG_EEES6_PlJS6_EEE10hipError_tPvRmT3_T4_T5_T6_T7_T9_mT8_P12ihipStream_tbDpT10_ENKUlT_T0_E_clISt17integral_constantIbLb1EES18_IbLb0EEEEDaS14_S15_EUlS14_E_NS1_11comp_targetILNS1_3genE8ELNS1_11target_archE1030ELNS1_3gpuE2ELNS1_3repE0EEENS1_30default_config_static_selectorELNS0_4arch9wavefront6targetE1EEEvT1_
                                        ; -- End function
	.section	.AMDGPU.csdata,"",@progbits
; Kernel info:
; codeLenInByte = 0
; NumSgprs: 6
; NumVgprs: 0
; NumAgprs: 0
; TotalNumVgprs: 0
; ScratchSize: 0
; MemoryBound: 0
; FloatMode: 240
; IeeeMode: 1
; LDSByteSize: 0 bytes/workgroup (compile time only)
; SGPRBlocks: 0
; VGPRBlocks: 0
; NumSGPRsForWavesPerEU: 6
; NumVGPRsForWavesPerEU: 1
; AccumOffset: 4
; Occupancy: 8
; WaveLimiterHint : 0
; COMPUTE_PGM_RSRC2:SCRATCH_EN: 0
; COMPUTE_PGM_RSRC2:USER_SGPR: 2
; COMPUTE_PGM_RSRC2:TRAP_HANDLER: 0
; COMPUTE_PGM_RSRC2:TGID_X_EN: 1
; COMPUTE_PGM_RSRC2:TGID_Y_EN: 0
; COMPUTE_PGM_RSRC2:TGID_Z_EN: 0
; COMPUTE_PGM_RSRC2:TIDIG_COMP_CNT: 0
; COMPUTE_PGM_RSRC3_GFX90A:ACCUM_OFFSET: 0
; COMPUTE_PGM_RSRC3_GFX90A:TG_SPLIT: 0
	.section	.text._ZN7rocprim17ROCPRIM_400000_NS6detail17trampoline_kernelINS0_14default_configENS1_25partition_config_selectorILNS1_17partition_subalgoE1EjNS0_10empty_typeEbEEZZNS1_14partition_implILS5_1ELb0ES3_jN6thrust23THRUST_200600_302600_NS6detail15normal_iteratorINSA_10device_ptrIjEEEEPS6_NSA_18transform_iteratorI7is_evenIjESF_NSA_11use_defaultESK_EENS0_5tupleIJSF_SF_EEENSM_IJSG_SG_EEES6_PlJS6_EEE10hipError_tPvRmT3_T4_T5_T6_T7_T9_mT8_P12ihipStream_tbDpT10_ENKUlT_T0_E_clISt17integral_constantIbLb0EES18_IbLb1EEEEDaS14_S15_EUlS14_E_NS1_11comp_targetILNS1_3genE0ELNS1_11target_archE4294967295ELNS1_3gpuE0ELNS1_3repE0EEENS1_30default_config_static_selectorELNS0_4arch9wavefront6targetE1EEEvT1_,"axG",@progbits,_ZN7rocprim17ROCPRIM_400000_NS6detail17trampoline_kernelINS0_14default_configENS1_25partition_config_selectorILNS1_17partition_subalgoE1EjNS0_10empty_typeEbEEZZNS1_14partition_implILS5_1ELb0ES3_jN6thrust23THRUST_200600_302600_NS6detail15normal_iteratorINSA_10device_ptrIjEEEEPS6_NSA_18transform_iteratorI7is_evenIjESF_NSA_11use_defaultESK_EENS0_5tupleIJSF_SF_EEENSM_IJSG_SG_EEES6_PlJS6_EEE10hipError_tPvRmT3_T4_T5_T6_T7_T9_mT8_P12ihipStream_tbDpT10_ENKUlT_T0_E_clISt17integral_constantIbLb0EES18_IbLb1EEEEDaS14_S15_EUlS14_E_NS1_11comp_targetILNS1_3genE0ELNS1_11target_archE4294967295ELNS1_3gpuE0ELNS1_3repE0EEENS1_30default_config_static_selectorELNS0_4arch9wavefront6targetE1EEEvT1_,comdat
	.protected	_ZN7rocprim17ROCPRIM_400000_NS6detail17trampoline_kernelINS0_14default_configENS1_25partition_config_selectorILNS1_17partition_subalgoE1EjNS0_10empty_typeEbEEZZNS1_14partition_implILS5_1ELb0ES3_jN6thrust23THRUST_200600_302600_NS6detail15normal_iteratorINSA_10device_ptrIjEEEEPS6_NSA_18transform_iteratorI7is_evenIjESF_NSA_11use_defaultESK_EENS0_5tupleIJSF_SF_EEENSM_IJSG_SG_EEES6_PlJS6_EEE10hipError_tPvRmT3_T4_T5_T6_T7_T9_mT8_P12ihipStream_tbDpT10_ENKUlT_T0_E_clISt17integral_constantIbLb0EES18_IbLb1EEEEDaS14_S15_EUlS14_E_NS1_11comp_targetILNS1_3genE0ELNS1_11target_archE4294967295ELNS1_3gpuE0ELNS1_3repE0EEENS1_30default_config_static_selectorELNS0_4arch9wavefront6targetE1EEEvT1_ ; -- Begin function _ZN7rocprim17ROCPRIM_400000_NS6detail17trampoline_kernelINS0_14default_configENS1_25partition_config_selectorILNS1_17partition_subalgoE1EjNS0_10empty_typeEbEEZZNS1_14partition_implILS5_1ELb0ES3_jN6thrust23THRUST_200600_302600_NS6detail15normal_iteratorINSA_10device_ptrIjEEEEPS6_NSA_18transform_iteratorI7is_evenIjESF_NSA_11use_defaultESK_EENS0_5tupleIJSF_SF_EEENSM_IJSG_SG_EEES6_PlJS6_EEE10hipError_tPvRmT3_T4_T5_T6_T7_T9_mT8_P12ihipStream_tbDpT10_ENKUlT_T0_E_clISt17integral_constantIbLb0EES18_IbLb1EEEEDaS14_S15_EUlS14_E_NS1_11comp_targetILNS1_3genE0ELNS1_11target_archE4294967295ELNS1_3gpuE0ELNS1_3repE0EEENS1_30default_config_static_selectorELNS0_4arch9wavefront6targetE1EEEvT1_
	.globl	_ZN7rocprim17ROCPRIM_400000_NS6detail17trampoline_kernelINS0_14default_configENS1_25partition_config_selectorILNS1_17partition_subalgoE1EjNS0_10empty_typeEbEEZZNS1_14partition_implILS5_1ELb0ES3_jN6thrust23THRUST_200600_302600_NS6detail15normal_iteratorINSA_10device_ptrIjEEEEPS6_NSA_18transform_iteratorI7is_evenIjESF_NSA_11use_defaultESK_EENS0_5tupleIJSF_SF_EEENSM_IJSG_SG_EEES6_PlJS6_EEE10hipError_tPvRmT3_T4_T5_T6_T7_T9_mT8_P12ihipStream_tbDpT10_ENKUlT_T0_E_clISt17integral_constantIbLb0EES18_IbLb1EEEEDaS14_S15_EUlS14_E_NS1_11comp_targetILNS1_3genE0ELNS1_11target_archE4294967295ELNS1_3gpuE0ELNS1_3repE0EEENS1_30default_config_static_selectorELNS0_4arch9wavefront6targetE1EEEvT1_
	.p2align	8
	.type	_ZN7rocprim17ROCPRIM_400000_NS6detail17trampoline_kernelINS0_14default_configENS1_25partition_config_selectorILNS1_17partition_subalgoE1EjNS0_10empty_typeEbEEZZNS1_14partition_implILS5_1ELb0ES3_jN6thrust23THRUST_200600_302600_NS6detail15normal_iteratorINSA_10device_ptrIjEEEEPS6_NSA_18transform_iteratorI7is_evenIjESF_NSA_11use_defaultESK_EENS0_5tupleIJSF_SF_EEENSM_IJSG_SG_EEES6_PlJS6_EEE10hipError_tPvRmT3_T4_T5_T6_T7_T9_mT8_P12ihipStream_tbDpT10_ENKUlT_T0_E_clISt17integral_constantIbLb0EES18_IbLb1EEEEDaS14_S15_EUlS14_E_NS1_11comp_targetILNS1_3genE0ELNS1_11target_archE4294967295ELNS1_3gpuE0ELNS1_3repE0EEENS1_30default_config_static_selectorELNS0_4arch9wavefront6targetE1EEEvT1_,@function
_ZN7rocprim17ROCPRIM_400000_NS6detail17trampoline_kernelINS0_14default_configENS1_25partition_config_selectorILNS1_17partition_subalgoE1EjNS0_10empty_typeEbEEZZNS1_14partition_implILS5_1ELb0ES3_jN6thrust23THRUST_200600_302600_NS6detail15normal_iteratorINSA_10device_ptrIjEEEEPS6_NSA_18transform_iteratorI7is_evenIjESF_NSA_11use_defaultESK_EENS0_5tupleIJSF_SF_EEENSM_IJSG_SG_EEES6_PlJS6_EEE10hipError_tPvRmT3_T4_T5_T6_T7_T9_mT8_P12ihipStream_tbDpT10_ENKUlT_T0_E_clISt17integral_constantIbLb0EES18_IbLb1EEEEDaS14_S15_EUlS14_E_NS1_11comp_targetILNS1_3genE0ELNS1_11target_archE4294967295ELNS1_3gpuE0ELNS1_3repE0EEENS1_30default_config_static_selectorELNS0_4arch9wavefront6targetE1EEEvT1_: ; @_ZN7rocprim17ROCPRIM_400000_NS6detail17trampoline_kernelINS0_14default_configENS1_25partition_config_selectorILNS1_17partition_subalgoE1EjNS0_10empty_typeEbEEZZNS1_14partition_implILS5_1ELb0ES3_jN6thrust23THRUST_200600_302600_NS6detail15normal_iteratorINSA_10device_ptrIjEEEEPS6_NSA_18transform_iteratorI7is_evenIjESF_NSA_11use_defaultESK_EENS0_5tupleIJSF_SF_EEENSM_IJSG_SG_EEES6_PlJS6_EEE10hipError_tPvRmT3_T4_T5_T6_T7_T9_mT8_P12ihipStream_tbDpT10_ENKUlT_T0_E_clISt17integral_constantIbLb0EES18_IbLb1EEEEDaS14_S15_EUlS14_E_NS1_11comp_targetILNS1_3genE0ELNS1_11target_archE4294967295ELNS1_3gpuE0ELNS1_3repE0EEENS1_30default_config_static_selectorELNS0_4arch9wavefront6targetE1EEEvT1_
; %bb.0:
	.section	.rodata,"a",@progbits
	.p2align	6, 0x0
	.amdhsa_kernel _ZN7rocprim17ROCPRIM_400000_NS6detail17trampoline_kernelINS0_14default_configENS1_25partition_config_selectorILNS1_17partition_subalgoE1EjNS0_10empty_typeEbEEZZNS1_14partition_implILS5_1ELb0ES3_jN6thrust23THRUST_200600_302600_NS6detail15normal_iteratorINSA_10device_ptrIjEEEEPS6_NSA_18transform_iteratorI7is_evenIjESF_NSA_11use_defaultESK_EENS0_5tupleIJSF_SF_EEENSM_IJSG_SG_EEES6_PlJS6_EEE10hipError_tPvRmT3_T4_T5_T6_T7_T9_mT8_P12ihipStream_tbDpT10_ENKUlT_T0_E_clISt17integral_constantIbLb0EES18_IbLb1EEEEDaS14_S15_EUlS14_E_NS1_11comp_targetILNS1_3genE0ELNS1_11target_archE4294967295ELNS1_3gpuE0ELNS1_3repE0EEENS1_30default_config_static_selectorELNS0_4arch9wavefront6targetE1EEEvT1_
		.amdhsa_group_segment_fixed_size 0
		.amdhsa_private_segment_fixed_size 0
		.amdhsa_kernarg_size 144
		.amdhsa_user_sgpr_count 2
		.amdhsa_user_sgpr_dispatch_ptr 0
		.amdhsa_user_sgpr_queue_ptr 0
		.amdhsa_user_sgpr_kernarg_segment_ptr 1
		.amdhsa_user_sgpr_dispatch_id 0
		.amdhsa_user_sgpr_kernarg_preload_length 0
		.amdhsa_user_sgpr_kernarg_preload_offset 0
		.amdhsa_user_sgpr_private_segment_size 0
		.amdhsa_uses_dynamic_stack 0
		.amdhsa_enable_private_segment 0
		.amdhsa_system_sgpr_workgroup_id_x 1
		.amdhsa_system_sgpr_workgroup_id_y 0
		.amdhsa_system_sgpr_workgroup_id_z 0
		.amdhsa_system_sgpr_workgroup_info 0
		.amdhsa_system_vgpr_workitem_id 0
		.amdhsa_next_free_vgpr 1
		.amdhsa_next_free_sgpr 0
		.amdhsa_accum_offset 4
		.amdhsa_reserve_vcc 0
		.amdhsa_float_round_mode_32 0
		.amdhsa_float_round_mode_16_64 0
		.amdhsa_float_denorm_mode_32 3
		.amdhsa_float_denorm_mode_16_64 3
		.amdhsa_dx10_clamp 1
		.amdhsa_ieee_mode 1
		.amdhsa_fp16_overflow 0
		.amdhsa_tg_split 0
		.amdhsa_exception_fp_ieee_invalid_op 0
		.amdhsa_exception_fp_denorm_src 0
		.amdhsa_exception_fp_ieee_div_zero 0
		.amdhsa_exception_fp_ieee_overflow 0
		.amdhsa_exception_fp_ieee_underflow 0
		.amdhsa_exception_fp_ieee_inexact 0
		.amdhsa_exception_int_div_zero 0
	.end_amdhsa_kernel
	.section	.text._ZN7rocprim17ROCPRIM_400000_NS6detail17trampoline_kernelINS0_14default_configENS1_25partition_config_selectorILNS1_17partition_subalgoE1EjNS0_10empty_typeEbEEZZNS1_14partition_implILS5_1ELb0ES3_jN6thrust23THRUST_200600_302600_NS6detail15normal_iteratorINSA_10device_ptrIjEEEEPS6_NSA_18transform_iteratorI7is_evenIjESF_NSA_11use_defaultESK_EENS0_5tupleIJSF_SF_EEENSM_IJSG_SG_EEES6_PlJS6_EEE10hipError_tPvRmT3_T4_T5_T6_T7_T9_mT8_P12ihipStream_tbDpT10_ENKUlT_T0_E_clISt17integral_constantIbLb0EES18_IbLb1EEEEDaS14_S15_EUlS14_E_NS1_11comp_targetILNS1_3genE0ELNS1_11target_archE4294967295ELNS1_3gpuE0ELNS1_3repE0EEENS1_30default_config_static_selectorELNS0_4arch9wavefront6targetE1EEEvT1_,"axG",@progbits,_ZN7rocprim17ROCPRIM_400000_NS6detail17trampoline_kernelINS0_14default_configENS1_25partition_config_selectorILNS1_17partition_subalgoE1EjNS0_10empty_typeEbEEZZNS1_14partition_implILS5_1ELb0ES3_jN6thrust23THRUST_200600_302600_NS6detail15normal_iteratorINSA_10device_ptrIjEEEEPS6_NSA_18transform_iteratorI7is_evenIjESF_NSA_11use_defaultESK_EENS0_5tupleIJSF_SF_EEENSM_IJSG_SG_EEES6_PlJS6_EEE10hipError_tPvRmT3_T4_T5_T6_T7_T9_mT8_P12ihipStream_tbDpT10_ENKUlT_T0_E_clISt17integral_constantIbLb0EES18_IbLb1EEEEDaS14_S15_EUlS14_E_NS1_11comp_targetILNS1_3genE0ELNS1_11target_archE4294967295ELNS1_3gpuE0ELNS1_3repE0EEENS1_30default_config_static_selectorELNS0_4arch9wavefront6targetE1EEEvT1_,comdat
.Lfunc_end2259:
	.size	_ZN7rocprim17ROCPRIM_400000_NS6detail17trampoline_kernelINS0_14default_configENS1_25partition_config_selectorILNS1_17partition_subalgoE1EjNS0_10empty_typeEbEEZZNS1_14partition_implILS5_1ELb0ES3_jN6thrust23THRUST_200600_302600_NS6detail15normal_iteratorINSA_10device_ptrIjEEEEPS6_NSA_18transform_iteratorI7is_evenIjESF_NSA_11use_defaultESK_EENS0_5tupleIJSF_SF_EEENSM_IJSG_SG_EEES6_PlJS6_EEE10hipError_tPvRmT3_T4_T5_T6_T7_T9_mT8_P12ihipStream_tbDpT10_ENKUlT_T0_E_clISt17integral_constantIbLb0EES18_IbLb1EEEEDaS14_S15_EUlS14_E_NS1_11comp_targetILNS1_3genE0ELNS1_11target_archE4294967295ELNS1_3gpuE0ELNS1_3repE0EEENS1_30default_config_static_selectorELNS0_4arch9wavefront6targetE1EEEvT1_, .Lfunc_end2259-_ZN7rocprim17ROCPRIM_400000_NS6detail17trampoline_kernelINS0_14default_configENS1_25partition_config_selectorILNS1_17partition_subalgoE1EjNS0_10empty_typeEbEEZZNS1_14partition_implILS5_1ELb0ES3_jN6thrust23THRUST_200600_302600_NS6detail15normal_iteratorINSA_10device_ptrIjEEEEPS6_NSA_18transform_iteratorI7is_evenIjESF_NSA_11use_defaultESK_EENS0_5tupleIJSF_SF_EEENSM_IJSG_SG_EEES6_PlJS6_EEE10hipError_tPvRmT3_T4_T5_T6_T7_T9_mT8_P12ihipStream_tbDpT10_ENKUlT_T0_E_clISt17integral_constantIbLb0EES18_IbLb1EEEEDaS14_S15_EUlS14_E_NS1_11comp_targetILNS1_3genE0ELNS1_11target_archE4294967295ELNS1_3gpuE0ELNS1_3repE0EEENS1_30default_config_static_selectorELNS0_4arch9wavefront6targetE1EEEvT1_
                                        ; -- End function
	.section	.AMDGPU.csdata,"",@progbits
; Kernel info:
; codeLenInByte = 0
; NumSgprs: 6
; NumVgprs: 0
; NumAgprs: 0
; TotalNumVgprs: 0
; ScratchSize: 0
; MemoryBound: 0
; FloatMode: 240
; IeeeMode: 1
; LDSByteSize: 0 bytes/workgroup (compile time only)
; SGPRBlocks: 0
; VGPRBlocks: 0
; NumSGPRsForWavesPerEU: 6
; NumVGPRsForWavesPerEU: 1
; AccumOffset: 4
; Occupancy: 8
; WaveLimiterHint : 0
; COMPUTE_PGM_RSRC2:SCRATCH_EN: 0
; COMPUTE_PGM_RSRC2:USER_SGPR: 2
; COMPUTE_PGM_RSRC2:TRAP_HANDLER: 0
; COMPUTE_PGM_RSRC2:TGID_X_EN: 1
; COMPUTE_PGM_RSRC2:TGID_Y_EN: 0
; COMPUTE_PGM_RSRC2:TGID_Z_EN: 0
; COMPUTE_PGM_RSRC2:TIDIG_COMP_CNT: 0
; COMPUTE_PGM_RSRC3_GFX90A:ACCUM_OFFSET: 0
; COMPUTE_PGM_RSRC3_GFX90A:TG_SPLIT: 0
	.section	.text._ZN7rocprim17ROCPRIM_400000_NS6detail17trampoline_kernelINS0_14default_configENS1_25partition_config_selectorILNS1_17partition_subalgoE1EjNS0_10empty_typeEbEEZZNS1_14partition_implILS5_1ELb0ES3_jN6thrust23THRUST_200600_302600_NS6detail15normal_iteratorINSA_10device_ptrIjEEEEPS6_NSA_18transform_iteratorI7is_evenIjESF_NSA_11use_defaultESK_EENS0_5tupleIJSF_SF_EEENSM_IJSG_SG_EEES6_PlJS6_EEE10hipError_tPvRmT3_T4_T5_T6_T7_T9_mT8_P12ihipStream_tbDpT10_ENKUlT_T0_E_clISt17integral_constantIbLb0EES18_IbLb1EEEEDaS14_S15_EUlS14_E_NS1_11comp_targetILNS1_3genE5ELNS1_11target_archE942ELNS1_3gpuE9ELNS1_3repE0EEENS1_30default_config_static_selectorELNS0_4arch9wavefront6targetE1EEEvT1_,"axG",@progbits,_ZN7rocprim17ROCPRIM_400000_NS6detail17trampoline_kernelINS0_14default_configENS1_25partition_config_selectorILNS1_17partition_subalgoE1EjNS0_10empty_typeEbEEZZNS1_14partition_implILS5_1ELb0ES3_jN6thrust23THRUST_200600_302600_NS6detail15normal_iteratorINSA_10device_ptrIjEEEEPS6_NSA_18transform_iteratorI7is_evenIjESF_NSA_11use_defaultESK_EENS0_5tupleIJSF_SF_EEENSM_IJSG_SG_EEES6_PlJS6_EEE10hipError_tPvRmT3_T4_T5_T6_T7_T9_mT8_P12ihipStream_tbDpT10_ENKUlT_T0_E_clISt17integral_constantIbLb0EES18_IbLb1EEEEDaS14_S15_EUlS14_E_NS1_11comp_targetILNS1_3genE5ELNS1_11target_archE942ELNS1_3gpuE9ELNS1_3repE0EEENS1_30default_config_static_selectorELNS0_4arch9wavefront6targetE1EEEvT1_,comdat
	.protected	_ZN7rocprim17ROCPRIM_400000_NS6detail17trampoline_kernelINS0_14default_configENS1_25partition_config_selectorILNS1_17partition_subalgoE1EjNS0_10empty_typeEbEEZZNS1_14partition_implILS5_1ELb0ES3_jN6thrust23THRUST_200600_302600_NS6detail15normal_iteratorINSA_10device_ptrIjEEEEPS6_NSA_18transform_iteratorI7is_evenIjESF_NSA_11use_defaultESK_EENS0_5tupleIJSF_SF_EEENSM_IJSG_SG_EEES6_PlJS6_EEE10hipError_tPvRmT3_T4_T5_T6_T7_T9_mT8_P12ihipStream_tbDpT10_ENKUlT_T0_E_clISt17integral_constantIbLb0EES18_IbLb1EEEEDaS14_S15_EUlS14_E_NS1_11comp_targetILNS1_3genE5ELNS1_11target_archE942ELNS1_3gpuE9ELNS1_3repE0EEENS1_30default_config_static_selectorELNS0_4arch9wavefront6targetE1EEEvT1_ ; -- Begin function _ZN7rocprim17ROCPRIM_400000_NS6detail17trampoline_kernelINS0_14default_configENS1_25partition_config_selectorILNS1_17partition_subalgoE1EjNS0_10empty_typeEbEEZZNS1_14partition_implILS5_1ELb0ES3_jN6thrust23THRUST_200600_302600_NS6detail15normal_iteratorINSA_10device_ptrIjEEEEPS6_NSA_18transform_iteratorI7is_evenIjESF_NSA_11use_defaultESK_EENS0_5tupleIJSF_SF_EEENSM_IJSG_SG_EEES6_PlJS6_EEE10hipError_tPvRmT3_T4_T5_T6_T7_T9_mT8_P12ihipStream_tbDpT10_ENKUlT_T0_E_clISt17integral_constantIbLb0EES18_IbLb1EEEEDaS14_S15_EUlS14_E_NS1_11comp_targetILNS1_3genE5ELNS1_11target_archE942ELNS1_3gpuE9ELNS1_3repE0EEENS1_30default_config_static_selectorELNS0_4arch9wavefront6targetE1EEEvT1_
	.globl	_ZN7rocprim17ROCPRIM_400000_NS6detail17trampoline_kernelINS0_14default_configENS1_25partition_config_selectorILNS1_17partition_subalgoE1EjNS0_10empty_typeEbEEZZNS1_14partition_implILS5_1ELb0ES3_jN6thrust23THRUST_200600_302600_NS6detail15normal_iteratorINSA_10device_ptrIjEEEEPS6_NSA_18transform_iteratorI7is_evenIjESF_NSA_11use_defaultESK_EENS0_5tupleIJSF_SF_EEENSM_IJSG_SG_EEES6_PlJS6_EEE10hipError_tPvRmT3_T4_T5_T6_T7_T9_mT8_P12ihipStream_tbDpT10_ENKUlT_T0_E_clISt17integral_constantIbLb0EES18_IbLb1EEEEDaS14_S15_EUlS14_E_NS1_11comp_targetILNS1_3genE5ELNS1_11target_archE942ELNS1_3gpuE9ELNS1_3repE0EEENS1_30default_config_static_selectorELNS0_4arch9wavefront6targetE1EEEvT1_
	.p2align	8
	.type	_ZN7rocprim17ROCPRIM_400000_NS6detail17trampoline_kernelINS0_14default_configENS1_25partition_config_selectorILNS1_17partition_subalgoE1EjNS0_10empty_typeEbEEZZNS1_14partition_implILS5_1ELb0ES3_jN6thrust23THRUST_200600_302600_NS6detail15normal_iteratorINSA_10device_ptrIjEEEEPS6_NSA_18transform_iteratorI7is_evenIjESF_NSA_11use_defaultESK_EENS0_5tupleIJSF_SF_EEENSM_IJSG_SG_EEES6_PlJS6_EEE10hipError_tPvRmT3_T4_T5_T6_T7_T9_mT8_P12ihipStream_tbDpT10_ENKUlT_T0_E_clISt17integral_constantIbLb0EES18_IbLb1EEEEDaS14_S15_EUlS14_E_NS1_11comp_targetILNS1_3genE5ELNS1_11target_archE942ELNS1_3gpuE9ELNS1_3repE0EEENS1_30default_config_static_selectorELNS0_4arch9wavefront6targetE1EEEvT1_,@function
_ZN7rocprim17ROCPRIM_400000_NS6detail17trampoline_kernelINS0_14default_configENS1_25partition_config_selectorILNS1_17partition_subalgoE1EjNS0_10empty_typeEbEEZZNS1_14partition_implILS5_1ELb0ES3_jN6thrust23THRUST_200600_302600_NS6detail15normal_iteratorINSA_10device_ptrIjEEEEPS6_NSA_18transform_iteratorI7is_evenIjESF_NSA_11use_defaultESK_EENS0_5tupleIJSF_SF_EEENSM_IJSG_SG_EEES6_PlJS6_EEE10hipError_tPvRmT3_T4_T5_T6_T7_T9_mT8_P12ihipStream_tbDpT10_ENKUlT_T0_E_clISt17integral_constantIbLb0EES18_IbLb1EEEEDaS14_S15_EUlS14_E_NS1_11comp_targetILNS1_3genE5ELNS1_11target_archE942ELNS1_3gpuE9ELNS1_3repE0EEENS1_30default_config_static_selectorELNS0_4arch9wavefront6targetE1EEEvT1_: ; @_ZN7rocprim17ROCPRIM_400000_NS6detail17trampoline_kernelINS0_14default_configENS1_25partition_config_selectorILNS1_17partition_subalgoE1EjNS0_10empty_typeEbEEZZNS1_14partition_implILS5_1ELb0ES3_jN6thrust23THRUST_200600_302600_NS6detail15normal_iteratorINSA_10device_ptrIjEEEEPS6_NSA_18transform_iteratorI7is_evenIjESF_NSA_11use_defaultESK_EENS0_5tupleIJSF_SF_EEENSM_IJSG_SG_EEES6_PlJS6_EEE10hipError_tPvRmT3_T4_T5_T6_T7_T9_mT8_P12ihipStream_tbDpT10_ENKUlT_T0_E_clISt17integral_constantIbLb0EES18_IbLb1EEEEDaS14_S15_EUlS14_E_NS1_11comp_targetILNS1_3genE5ELNS1_11target_archE942ELNS1_3gpuE9ELNS1_3repE0EEENS1_30default_config_static_selectorELNS0_4arch9wavefront6targetE1EEEvT1_
; %bb.0:
	s_load_dwordx2 s[2:3], s[0:1], 0x20
	s_load_dwordx4 s[20:23], s[0:1], 0x50
	s_load_dwordx2 s[6:7], s[0:1], 0x60
	s_load_dwordx2 s[34:35], s[0:1], 0x70
	v_cmp_eq_u32_e64 s[18:19], 0, v0
	s_and_saveexec_b64 s[4:5], s[18:19]
	s_cbranch_execz .LBB2260_4
; %bb.1:
	s_mov_b64 s[10:11], exec
	v_mbcnt_lo_u32_b32 v1, s10, 0
	v_mbcnt_hi_u32_b32 v1, s11, v1
	v_cmp_eq_u32_e32 vcc, 0, v1
                                        ; implicit-def: $vgpr2
	s_and_saveexec_b64 s[8:9], vcc
	s_cbranch_execz .LBB2260_3
; %bb.2:
	s_load_dwordx2 s[12:13], s[0:1], 0x80
	s_bcnt1_i32_b64 s10, s[10:11]
	v_mov_b32_e32 v2, 0
	v_mov_b32_e32 v3, s10
	s_waitcnt lgkmcnt(0)
	global_atomic_add v2, v2, v3, s[12:13] sc0
.LBB2260_3:
	s_or_b64 exec, exec, s[8:9]
	s_waitcnt vmcnt(0)
	v_readfirstlane_b32 s8, v2
	v_mov_b32_e32 v2, 0
	s_nop 0
	v_add_u32_e32 v1, s8, v1
	ds_write_b32 v2, v1
.LBB2260_4:
	s_or_b64 exec, exec, s[4:5]
	v_mov_b32_e32 v23, 0
	s_load_dwordx4 s[28:31], s[0:1], 0x8
	s_load_dwordx4 s[24:27], s[0:1], 0x30
	s_load_dword s8, s[0:1], 0x78
	s_waitcnt lgkmcnt(0)
	s_barrier
	ds_read_b32 v1, v23
	s_waitcnt lgkmcnt(0)
	s_barrier
	global_load_dwordx2 v[24:25], v23, s[22:23]
	v_mov_b32_e32 v3, s7
	s_lshl_b64 s[4:5], s[30:31], 2
	s_movk_i32 s7, 0x1e00
	s_add_u32 s0, s28, s4
	v_mul_lo_u32 v22, v1, s7
	s_mul_i32 s7, s8, 0x1e00
	s_addc_u32 s1, s29, s5
	s_add_i32 s9, s8, -1
	s_add_i32 s8, s7, s30
	s_sub_i32 s33, s6, s8
	s_addk_i32 s33, 0x1e00
	v_mov_b32_e32 v2, s6
	s_add_u32 s6, s30, s7
	v_readfirstlane_b32 s40, v1
	s_addc_u32 s7, s31, 0
	s_cmp_eq_u32 s40, s9
	s_cselect_b64 s[22:23], -1, 0
	s_cmp_lg_u32 s40, s9
	v_cmp_lt_u64_e32 vcc, s[6:7], v[2:3]
	s_cselect_b64 s[6:7], -1, 0
	s_or_b64 s[28:29], vcc, s[6:7]
	v_lshlrev_b64 v[26:27], 2, v[22:23]
	v_lshl_add_u64 v[18:19], s[0:1], 0, v[26:27]
	s_mov_b64 s[0:1], -1
	s_and_b64 vcc, exec, s[28:29]
	v_lshlrev_b32_e32 v22, 2, v0
	s_cbranch_vccz .LBB2260_6
; %bb.5:
	v_lshl_add_u64 v[2:3], v[18:19], 0, v[22:23]
	v_add_co_u32_e32 v4, vcc, 0x1000, v2
	s_mov_b64 s[0:1], 0
	s_nop 0
	v_addc_co_u32_e32 v5, vcc, 0, v3, vcc
	v_add_co_u32_e32 v6, vcc, 0x2000, v2
	s_nop 1
	v_addc_co_u32_e32 v7, vcc, 0, v3, vcc
	v_add_co_u32_e32 v8, vcc, 0x3000, v2
	s_nop 1
	v_addc_co_u32_e32 v9, vcc, 0, v3, vcc
	flat_load_dword v1, v[2:3]
	flat_load_dword v10, v[2:3] offset:2048
	flat_load_dword v11, v[4:5]
	flat_load_dword v12, v[4:5] offset:2048
	;; [unrolled: 2-line block ×4, first 2 shown]
	v_add_co_u32_e32 v4, vcc, 0x4000, v2
	s_nop 1
	v_addc_co_u32_e32 v5, vcc, 0, v3, vcc
	v_add_co_u32_e32 v6, vcc, 0x5000, v2
	s_nop 1
	v_addc_co_u32_e32 v7, vcc, 0, v3, vcc
	;; [unrolled: 3-line block ×4, first 2 shown]
	flat_load_dword v17, v[4:5]
	flat_load_dword v20, v[4:5] offset:2048
	flat_load_dword v21, v[6:7]
	flat_load_dword v23, v[6:7] offset:2048
	;; [unrolled: 2-line block ×3, first 2 shown]
	flat_load_dword v30, v[2:3]
	s_waitcnt vmcnt(0) lgkmcnt(0)
	ds_write2st64_b32 v22, v1, v10 offset1:8
	ds_write2st64_b32 v22, v11, v12 offset0:16 offset1:24
	ds_write2st64_b32 v22, v13, v14 offset0:32 offset1:40
	ds_write2st64_b32 v22, v15, v16 offset0:48 offset1:56
	ds_write2st64_b32 v22, v17, v20 offset0:64 offset1:72
	ds_write2st64_b32 v22, v21, v23 offset0:80 offset1:88
	ds_write2st64_b32 v22, v28, v29 offset0:96 offset1:104
	ds_write_b32 v22, v30 offset:28672
	s_waitcnt lgkmcnt(0)
	s_barrier
.LBB2260_6:
	s_andn2_b64 vcc, exec, s[0:1]
	v_cmp_gt_u32_e64 s[0:1], s33, v0
	s_cbranch_vccnz .LBB2260_38
; %bb.7:
                                        ; implicit-def: $vgpr2_vgpr3_vgpr4_vgpr5_vgpr6_vgpr7_vgpr8_vgpr9_vgpr10_vgpr11_vgpr12_vgpr13_vgpr14_vgpr15_vgpr16_vgpr17
	s_and_saveexec_b64 s[6:7], s[0:1]
	s_cbranch_execz .LBB2260_9
; %bb.8:
	v_mov_b32_e32 v23, 0
	v_lshl_add_u64 v[2:3], v[18:19], 0, v[22:23]
	flat_load_dword v2, v[2:3]
.LBB2260_9:
	s_or_b64 exec, exec, s[6:7]
	v_or_b32_e32 v1, 0x200, v0
	v_cmp_gt_u32_e32 vcc, s33, v1
	s_and_saveexec_b64 s[0:1], vcc
	s_cbranch_execz .LBB2260_11
; %bb.10:
	v_mov_b32_e32 v23, 0
	v_lshl_add_u64 v[20:21], v[18:19], 0, v[22:23]
	flat_load_dword v3, v[20:21] offset:2048
.LBB2260_11:
	s_or_b64 exec, exec, s[0:1]
	v_or_b32_e32 v1, 0x400, v0
	v_cmp_gt_u32_e32 vcc, s33, v1
	s_and_saveexec_b64 s[0:1], vcc
	s_cbranch_execz .LBB2260_13
; %bb.12:
	v_lshlrev_b32_e32 v20, 2, v1
	v_mov_b32_e32 v21, 0
	v_lshl_add_u64 v[20:21], v[18:19], 0, v[20:21]
	flat_load_dword v4, v[20:21]
.LBB2260_13:
	s_or_b64 exec, exec, s[0:1]
	v_or_b32_e32 v1, 0x600, v0
	v_cmp_gt_u32_e32 vcc, s33, v1
	s_and_saveexec_b64 s[0:1], vcc
	s_cbranch_execz .LBB2260_15
; %bb.14:
	v_lshlrev_b32_e32 v20, 2, v1
	v_mov_b32_e32 v21, 0
	v_lshl_add_u64 v[20:21], v[18:19], 0, v[20:21]
	flat_load_dword v5, v[20:21]
.LBB2260_15:
	;; [unrolled: 11-line block ×13, first 2 shown]
	s_or_b64 exec, exec, s[0:1]
	s_waitcnt vmcnt(0) lgkmcnt(0)
	ds_write2st64_b32 v22, v2, v3 offset1:8
	ds_write2st64_b32 v22, v4, v5 offset0:16 offset1:24
	ds_write2st64_b32 v22, v6, v7 offset0:32 offset1:40
	;; [unrolled: 1-line block ×6, first 2 shown]
	ds_write_b32 v22, v16 offset:28672
	s_waitcnt lgkmcnt(0)
	s_barrier
.LBB2260_38:
	v_mul_u32_u24_e32 v21, 15, v0
	v_lshlrev_b32_e32 v1, 2, v21
	ds_read2_b32 v[40:41], v1 offset1:1
	ds_read2_b32 v[38:39], v1 offset0:2 offset1:3
	ds_read2_b32 v[36:37], v1 offset0:4 offset1:5
	;; [unrolled: 1-line block ×6, first 2 shown]
	ds_read_b32 v1, v1 offset:56
	s_add_u32 s0, s2, s4
	s_addc_u32 s1, s3, s5
	v_lshl_add_u64 v[2:3], s[0:1], 0, v[26:27]
	s_mov_b64 s[0:1], -1
	s_and_b64 vcc, exec, s[28:29]
	s_waitcnt lgkmcnt(0)
	s_barrier
	s_cbranch_vccz .LBB2260_40
; %bb.39:
	v_mov_b32_e32 v23, 0
	v_lshl_add_u64 v[4:5], v[2:3], 0, v[22:23]
	v_add_co_u32_e32 v6, vcc, 0x1000, v4
	v_readfirstlane_b32 s0, v2
	s_nop 0
	v_addc_co_u32_e32 v7, vcc, 0, v5, vcc
	v_add_co_u32_e32 v8, vcc, 0x2000, v4
	v_readfirstlane_b32 s1, v3
	s_nop 0
	v_addc_co_u32_e32 v9, vcc, 0, v5, vcc
	s_nop 2
	global_load_dword v10, v22, s[0:1]
	global_load_dword v11, v22, s[0:1] offset:2048
	global_load_dword v12, v[6:7], off
	global_load_dword v13, v[6:7], off offset:2048
	global_load_dword v14, v[8:9], off
	global_load_dword v15, v[8:9], off offset:2048
	v_add_co_u32_e32 v6, vcc, 0x3000, v4
	s_mov_b64 s[0:1], 0
	s_nop 0
	v_addc_co_u32_e32 v7, vcc, 0, v5, vcc
	v_add_co_u32_e32 v8, vcc, 0x4000, v4
	s_nop 1
	v_addc_co_u32_e32 v9, vcc, 0, v5, vcc
	global_load_dword v16, v[6:7], off
	global_load_dword v17, v[6:7], off offset:2048
	global_load_dword v18, v[8:9], off
	global_load_dword v19, v[8:9], off offset:2048
	v_add_co_u32_e32 v6, vcc, 0x5000, v4
	s_nop 1
	v_addc_co_u32_e32 v7, vcc, 0, v5, vcc
	global_load_dword v8, v[6:7], off
	global_load_dword v9, v[6:7], off offset:2048
	v_add_co_u32_e32 v6, vcc, 0x6000, v4
	s_waitcnt vmcnt(1)
	v_xor_b32_e32 v8, -1, v8
	v_addc_co_u32_e32 v7, vcc, 0, v5, vcc
	v_add_co_u32_e32 v4, vcc, 0x7000, v4
	global_load_dword v20, v[6:7], off
	global_load_dword v23, v[6:7], off offset:2048
	v_addc_co_u32_e32 v5, vcc, 0, v5, vcc
	global_load_dword v4, v[4:5], off
	v_xor_b32_e32 v5, -1, v10
	v_xor_b32_e32 v6, -1, v11
	v_and_b32_e32 v5, 1, v5
	v_and_b32_e32 v6, 1, v6
	ds_write_b8 v0, v5
	ds_write_b8 v0, v6 offset:512
	v_xor_b32_e32 v5, -1, v12
	v_xor_b32_e32 v6, -1, v13
	v_and_b32_e32 v5, 1, v5
	v_and_b32_e32 v6, 1, v6
	v_xor_b32_e32 v7, -1, v14
	v_xor_b32_e32 v11, -1, v16
	v_xor_b32_e32 v12, -1, v17
	v_xor_b32_e32 v10, -1, v15
	v_and_b32_e32 v7, 1, v7
	ds_write_b8 v0, v5 offset:1024
	ds_write_b8 v0, v6 offset:1536
	v_and_b32_e32 v5, 1, v11
	v_and_b32_e32 v6, 1, v12
	v_xor_b32_e32 v11, -1, v18
	s_waitcnt vmcnt(3)
	v_xor_b32_e32 v9, -1, v9
	v_and_b32_e32 v10, 1, v10
	v_xor_b32_e32 v12, -1, v19
	ds_write_b8 v0, v7 offset:2048
	ds_write_b8 v0, v10 offset:2560
	v_and_b32_e32 v7, 1, v11
	ds_write_b8 v0, v5 offset:3072
	ds_write_b8 v0, v6 offset:3584
	v_and_b32_e32 v5, 1, v8
	v_and_b32_e32 v6, 1, v9
	;; [unrolled: 1-line block ×3, first 2 shown]
	s_waitcnt vmcnt(2)
	v_xor_b32_e32 v8, -1, v20
	s_waitcnt vmcnt(1)
	v_xor_b32_e32 v9, -1, v23
	v_and_b32_e32 v8, 1, v8
	v_and_b32_e32 v9, 1, v9
	s_waitcnt vmcnt(0)
	v_xor_b32_e32 v4, -1, v4
	v_and_b32_e32 v4, 1, v4
	ds_write_b8 v0, v7 offset:4096
	ds_write_b8 v0, v10 offset:4608
	;; [unrolled: 1-line block ×7, first 2 shown]
	s_waitcnt lgkmcnt(0)
	s_barrier
.LBB2260_40:
	s_andn2_b64 vcc, exec, s[0:1]
	s_cbranch_vccnz .LBB2260_72
; %bb.41:
	v_cmp_gt_u32_e32 vcc, s33, v0
	v_mov_b32_e32 v4, 0
	v_mov_b32_e32 v5, 0
	s_and_saveexec_b64 s[0:1], vcc
	s_cbranch_execz .LBB2260_43
; %bb.42:
	v_readfirstlane_b32 s2, v2
	v_readfirstlane_b32 s3, v3
	s_nop 4
	global_load_dword v5, v22, s[2:3]
	s_waitcnt vmcnt(0)
	v_xor_b32_e32 v5, -1, v5
	v_and_b32_e32 v5, 1, v5
.LBB2260_43:
	s_or_b64 exec, exec, s[0:1]
	v_or_b32_e32 v6, 0x200, v0
	v_cmp_gt_u32_e32 vcc, s33, v6
	s_and_saveexec_b64 s[0:1], vcc
	s_cbranch_execz .LBB2260_45
; %bb.44:
	v_readfirstlane_b32 s2, v2
	v_readfirstlane_b32 s3, v3
	s_nop 4
	global_load_dword v4, v22, s[2:3] offset:2048
	s_waitcnt vmcnt(0)
	v_xor_b32_e32 v4, -1, v4
	v_and_b32_e32 v4, 1, v4
.LBB2260_45:
	s_or_b64 exec, exec, s[0:1]
	v_or_b32_e32 v8, 0x400, v0
	v_cmp_gt_u32_e32 vcc, s33, v8
	v_mov_b32_e32 v6, 0
	v_mov_b32_e32 v7, 0
	s_and_saveexec_b64 s[0:1], vcc
	s_cbranch_execz .LBB2260_47
; %bb.46:
	v_lshlrev_b32_e32 v7, 2, v8
	v_readfirstlane_b32 s2, v2
	v_readfirstlane_b32 s3, v3
	s_nop 4
	global_load_dword v7, v7, s[2:3]
	s_waitcnt vmcnt(0)
	v_xor_b32_e32 v7, -1, v7
	v_and_b32_e32 v7, 1, v7
.LBB2260_47:
	s_or_b64 exec, exec, s[0:1]
	v_or_b32_e32 v8, 0x600, v0
	v_cmp_gt_u32_e32 vcc, s33, v8
	s_and_saveexec_b64 s[0:1], vcc
	s_cbranch_execz .LBB2260_49
; %bb.48:
	v_lshlrev_b32_e32 v6, 2, v8
	v_readfirstlane_b32 s2, v2
	v_readfirstlane_b32 s3, v3
	s_nop 4
	global_load_dword v6, v6, s[2:3]
	s_waitcnt vmcnt(0)
	v_xor_b32_e32 v6, -1, v6
	v_and_b32_e32 v6, 1, v6
.LBB2260_49:
	s_or_b64 exec, exec, s[0:1]
	v_or_b32_e32 v10, 0x800, v0
	v_cmp_gt_u32_e32 vcc, s33, v10
	v_mov_b32_e32 v8, 0
	v_mov_b32_e32 v9, 0
	s_and_saveexec_b64 s[0:1], vcc
	s_cbranch_execz .LBB2260_51
; %bb.50:
	v_lshlrev_b32_e32 v9, 2, v10
	v_readfirstlane_b32 s2, v2
	v_readfirstlane_b32 s3, v3
	s_nop 4
	global_load_dword v9, v9, s[2:3]
	s_waitcnt vmcnt(0)
	v_xor_b32_e32 v9, -1, v9
	v_and_b32_e32 v9, 1, v9
.LBB2260_51:
	s_or_b64 exec, exec, s[0:1]
	v_or_b32_e32 v10, 0xa00, v0
	v_cmp_gt_u32_e32 vcc, s33, v10
	s_and_saveexec_b64 s[0:1], vcc
	s_cbranch_execz .LBB2260_53
; %bb.52:
	v_lshlrev_b32_e32 v8, 2, v10
	v_readfirstlane_b32 s2, v2
	v_readfirstlane_b32 s3, v3
	s_nop 4
	global_load_dword v8, v8, s[2:3]
	s_waitcnt vmcnt(0)
	v_xor_b32_e32 v8, -1, v8
	v_and_b32_e32 v8, 1, v8
.LBB2260_53:
	;; [unrolled: 32-line block ×6, first 2 shown]
	s_or_b64 exec, exec, s[0:1]
	v_or_b32_e32 v19, 0x1c00, v0
	v_cmp_gt_u32_e32 vcc, s33, v19
	v_mov_b32_e32 v18, 0
	s_and_saveexec_b64 s[0:1], vcc
	s_cbranch_execz .LBB2260_71
; %bb.70:
	v_lshlrev_b32_e32 v18, 2, v19
	v_readfirstlane_b32 s2, v2
	v_readfirstlane_b32 s3, v3
	s_nop 4
	global_load_dword v2, v18, s[2:3]
	s_waitcnt vmcnt(0)
	v_xor_b32_e32 v2, -1, v2
	v_and_b32_e32 v18, 1, v2
.LBB2260_71:
	s_or_b64 exec, exec, s[0:1]
	ds_write_b8 v0, v5
	ds_write_b8 v0, v4 offset:512
	ds_write_b8 v0, v7 offset:1024
	;; [unrolled: 1-line block ×14, first 2 shown]
	s_waitcnt lgkmcnt(0)
	s_barrier
.LBB2260_72:
	ds_read_b96 v[18:20], v21
	ds_read_u8 v2, v21 offset:12
	ds_read_u8 v3, v21 offset:13
	;; [unrolled: 1-line block ×3, first 2 shown]
	s_cmp_lg_u32 s40, 0
	v_lshrrev_b32_e32 v60, 6, v0
	s_waitcnt lgkmcnt(2)
	v_and_b32_e32 v47, 1, v2
	v_and_b32_e32 v56, 0xff, v18
	v_bfe_u32 v57, v18, 8, 8
	v_bfe_u32 v58, v18, 16, 8
	v_lshrrev_b32_e32 v49, 24, v18
	v_and_b32_e32 v53, 0xff, v19
	v_add3_u32 v2, v57, v56, v58
	v_bfe_u32 v54, v19, 8, 8
	v_bfe_u32 v55, v19, 16, 8
	v_add3_u32 v2, v2, v49, v53
	v_lshrrev_b32_e32 v48, 24, v19
	v_and_b32_e32 v50, 0xff, v20
	v_add3_u32 v2, v2, v54, v55
	v_bfe_u32 v51, v20, 8, 8
	v_bfe_u32 v52, v20, 16, 8
	v_add3_u32 v2, v2, v48, v50
	v_lshrrev_b32_e32 v46, 24, v20
	v_add3_u32 v2, v2, v51, v52
	s_waitcnt lgkmcnt(1)
	v_and_b32_e32 v45, 1, v3
	s_waitcnt lgkmcnt(0)
	v_and_b32_e32 v23, 1, v4
	v_add3_u32 v2, v2, v46, v47
	v_add3_u32 v61, v2, v45, v23
	v_mbcnt_lo_u32_b32 v2, -1, 0
	v_mbcnt_hi_u32_b32 v59, -1, v2
	v_and_b32_e32 v2, 15, v59
	v_cmp_eq_u32_e64 s[14:15], 0, v2
	v_cmp_lt_u32_e64 s[12:13], 1, v2
	v_cmp_lt_u32_e64 s[10:11], 3, v2
	;; [unrolled: 1-line block ×3, first 2 shown]
	v_and_b32_e32 v2, 16, v59
	v_cmp_eq_u32_e64 s[6:7], 0, v2
	v_or_b32_e32 v2, 63, v0
	v_cmp_lt_u32_e64 s[2:3], 31, v59
	v_cmp_eq_u32_e64 s[4:5], v2, v0
	s_barrier
	s_cbranch_scc0 .LBB2260_99
; %bb.73:
	v_mov_b32_dpp v2, v61 row_shr:1 row_mask:0xf bank_mask:0xf
	v_cndmask_b32_e64 v2, v2, 0, s[14:15]
	v_add_u32_e32 v2, v2, v61
	s_nop 1
	v_mov_b32_dpp v3, v2 row_shr:2 row_mask:0xf bank_mask:0xf
	v_cndmask_b32_e64 v3, 0, v3, s[12:13]
	v_add_u32_e32 v2, v2, v3
	s_nop 1
	;; [unrolled: 4-line block ×4, first 2 shown]
	v_mov_b32_dpp v3, v2 row_bcast:15 row_mask:0xf bank_mask:0xf
	v_cndmask_b32_e64 v3, v3, 0, s[6:7]
	v_add_u32_e32 v2, v2, v3
	s_nop 1
	v_mov_b32_dpp v3, v2 row_bcast:31 row_mask:0xf bank_mask:0xf
	v_cndmask_b32_e64 v3, 0, v3, s[2:3]
	v_add_u32_e32 v2, v2, v3
	s_and_saveexec_b64 s[0:1], s[4:5]
	s_cbranch_execz .LBB2260_75
; %bb.74:
	v_lshlrev_b32_e32 v3, 2, v60
	ds_write_b32 v3, v2
.LBB2260_75:
	s_or_b64 exec, exec, s[0:1]
	v_cmp_gt_u32_e32 vcc, 8, v0
	s_waitcnt lgkmcnt(0)
	s_barrier
	s_and_saveexec_b64 s[0:1], vcc
	s_cbranch_execz .LBB2260_77
; %bb.76:
	ds_read_b32 v3, v22
	v_and_b32_e32 v4, 7, v59
	v_cmp_ne_u32_e32 vcc, 0, v4
	s_waitcnt lgkmcnt(0)
	v_mov_b32_dpp v5, v3 row_shr:1 row_mask:0xf bank_mask:0xf
	v_cndmask_b32_e32 v5, 0, v5, vcc
	v_add_u32_e32 v3, v5, v3
	v_cmp_lt_u32_e32 vcc, 1, v4
	s_nop 0
	v_mov_b32_dpp v5, v3 row_shr:2 row_mask:0xf bank_mask:0xf
	v_cndmask_b32_e32 v5, 0, v5, vcc
	v_add_u32_e32 v3, v3, v5
	v_cmp_lt_u32_e32 vcc, 3, v4
	s_nop 0
	v_mov_b32_dpp v5, v3 row_shr:4 row_mask:0xf bank_mask:0xf
	v_cndmask_b32_e32 v4, 0, v5, vcc
	v_add_u32_e32 v3, v3, v4
	ds_write_b32 v22, v3
.LBB2260_77:
	s_or_b64 exec, exec, s[0:1]
	v_cmp_gt_u32_e32 vcc, 64, v0
	v_cmp_lt_u32_e64 s[0:1], 63, v0
	s_waitcnt lgkmcnt(0)
	s_barrier
	s_waitcnt lgkmcnt(0)
                                        ; implicit-def: $vgpr12
	s_and_saveexec_b64 s[16:17], s[0:1]
	s_cbranch_execz .LBB2260_79
; %bb.78:
	v_lshl_add_u32 v3, v60, 2, -4
	ds_read_b32 v12, v3
	s_waitcnt lgkmcnt(0)
	v_add_u32_e32 v2, v12, v2
.LBB2260_79:
	s_or_b64 exec, exec, s[16:17]
	v_add_u32_e32 v3, -1, v59
	v_and_b32_e32 v4, 64, v59
	v_cmp_lt_i32_e64 s[0:1], v3, v4
	v_cmp_eq_u32_e64 s[16:17], 0, v59
	s_nop 0
	v_cndmask_b32_e64 v3, v3, v59, s[0:1]
	v_lshlrev_b32_e32 v3, 2, v3
	ds_bpermute_b32 v13, v3, v2
	s_and_saveexec_b64 s[0:1], vcc
	s_cbranch_execz .LBB2260_98
; %bb.80:
	v_mov_b32_e32 v9, 0
	ds_read_b32 v2, v9 offset:28
	s_and_saveexec_b64 s[36:37], s[16:17]
	s_cbranch_execz .LBB2260_82
; %bb.81:
	s_add_i32 s38, s40, 64
	s_mov_b32 s39, 0
	s_lshl_b64 s[38:39], s[38:39], 3
	s_add_u32 s38, s34, s38
	v_mov_b32_e32 v3, 1
	s_addc_u32 s39, s35, s39
	s_waitcnt lgkmcnt(0)
	global_store_dwordx2 v9, v[2:3], s[38:39] sc1
.LBB2260_82:
	s_or_b64 exec, exec, s[36:37]
	v_xad_u32 v4, v59, -1, s40
	v_add_u32_e32 v8, 64, v4
	v_lshl_add_u64 v[10:11], v[8:9], 3, s[34:35]
	global_load_dwordx2 v[6:7], v[10:11], off sc1
	s_waitcnt vmcnt(0)
	v_cmp_eq_u16_sdwa s[38:39], v7, v9 src0_sel:BYTE_0 src1_sel:DWORD
	s_and_saveexec_b64 s[36:37], s[38:39]
	s_cbranch_execz .LBB2260_86
; %bb.83:
	s_mov_b64 s[38:39], 0
	v_mov_b32_e32 v3, 0
.LBB2260_84:                            ; =>This Inner Loop Header: Depth=1
	global_load_dwordx2 v[6:7], v[10:11], off sc1
	s_waitcnt vmcnt(0)
	v_cmp_ne_u16_sdwa s[42:43], v7, v3 src0_sel:BYTE_0 src1_sel:DWORD
	s_or_b64 s[38:39], s[42:43], s[38:39]
	s_andn2_b64 exec, exec, s[38:39]
	s_cbranch_execnz .LBB2260_84
; %bb.85:
	s_or_b64 exec, exec, s[38:39]
.LBB2260_86:
	s_or_b64 exec, exec, s[36:37]
	v_and_b32_e32 v15, 63, v59
	v_mov_b32_e32 v14, 2
	v_cmp_ne_u32_e32 vcc, 63, v15
	v_cmp_eq_u16_sdwa s[36:37], v7, v14 src0_sel:BYTE_0 src1_sel:DWORD
	v_lshlrev_b64 v[8:9], v59, -1
	v_addc_co_u32_e32 v10, vcc, 0, v59, vcc
	v_and_b32_e32 v3, s37, v9
	v_lshlrev_b32_e32 v16, 2, v10
	v_or_b32_e32 v3, 0x80000000, v3
	ds_bpermute_b32 v10, v16, v6
	v_and_b32_e32 v5, s36, v8
	v_ffbl_b32_e32 v3, v3
	v_add_u32_e32 v3, 32, v3
	v_ffbl_b32_e32 v5, v5
	v_min_u32_e32 v3, v5, v3
	v_cmp_lt_u32_e32 vcc, v15, v3
	v_add_u32_e32 v42, 2, v15
	v_add_u32_e32 v44, 4, v15
	s_waitcnt lgkmcnt(0)
	v_cndmask_b32_e32 v5, 0, v10, vcc
	v_cmp_gt_u32_e32 vcc, 62, v15
	v_add_u32_e32 v5, v5, v6
	v_add_u32_e32 v63, 8, v15
	v_cndmask_b32_e64 v6, 0, 1, vcc
	v_lshlrev_b32_e32 v6, 1, v6
	v_add_lshl_u32 v17, v6, v59, 2
	ds_bpermute_b32 v6, v17, v5
	v_cmp_le_u32_e32 vcc, v42, v3
	v_add_u32_e32 v65, 16, v15
	v_add_u32_e32 v67, 32, v15
	s_waitcnt lgkmcnt(0)
	v_cndmask_b32_e32 v6, 0, v6, vcc
	v_cmp_gt_u32_e32 vcc, 60, v15
	v_add_u32_e32 v5, v5, v6
	s_nop 0
	v_cndmask_b32_e64 v6, 0, 1, vcc
	v_lshlrev_b32_e32 v6, 2, v6
	v_add_lshl_u32 v43, v6, v59, 2
	ds_bpermute_b32 v6, v43, v5
	v_cmp_le_u32_e32 vcc, v44, v3
	s_waitcnt lgkmcnt(0)
	s_nop 0
	v_cndmask_b32_e32 v6, 0, v6, vcc
	v_cmp_gt_u32_e32 vcc, 56, v15
	v_add_u32_e32 v5, v5, v6
	s_nop 0
	v_cndmask_b32_e64 v6, 0, 1, vcc
	v_lshlrev_b32_e32 v6, 3, v6
	v_add_lshl_u32 v62, v6, v59, 2
	ds_bpermute_b32 v6, v62, v5
	v_cmp_le_u32_e32 vcc, v63, v3
	s_waitcnt lgkmcnt(0)
	s_nop 0
	;; [unrolled: 11-line block ×4, first 2 shown]
	v_cndmask_b32_e32 v3, 0, v6, vcc
	v_add_u32_e32 v6, v5, v3
	v_mov_b32_e32 v5, 0
	s_branch .LBB2260_88
.LBB2260_87:                            ;   in Loop: Header=BB2260_88 Depth=1
	s_or_b64 exec, exec, s[36:37]
	v_cmp_eq_u16_sdwa s[36:37], v7, v14 src0_sel:BYTE_0 src1_sel:DWORD
	ds_bpermute_b32 v68, v16, v6
	v_subrev_u32_e32 v4, 64, v4
	v_and_b32_e32 v10, s37, v9
	v_or_b32_e32 v10, 0x80000000, v10
	v_and_b32_e32 v11, s36, v8
	v_ffbl_b32_e32 v10, v10
	v_add_u32_e32 v10, 32, v10
	v_ffbl_b32_e32 v11, v11
	v_min_u32_e32 v10, v11, v10
	v_cmp_lt_u32_e32 vcc, v15, v10
	s_waitcnt lgkmcnt(0)
	s_nop 0
	v_cndmask_b32_e32 v11, 0, v68, vcc
	v_add_u32_e32 v6, v11, v6
	ds_bpermute_b32 v11, v17, v6
	v_cmp_le_u32_e32 vcc, v42, v10
	s_waitcnt lgkmcnt(0)
	s_nop 0
	v_cndmask_b32_e32 v11, 0, v11, vcc
	v_add_u32_e32 v6, v6, v11
	ds_bpermute_b32 v11, v43, v6
	v_cmp_le_u32_e32 vcc, v44, v10
	;; [unrolled: 6-line block ×5, first 2 shown]
	s_waitcnt lgkmcnt(0)
	s_nop 0
	v_cndmask_b32_e32 v10, 0, v11, vcc
	v_add3_u32 v6, v10, v3, v6
.LBB2260_88:                            ; =>This Loop Header: Depth=1
                                        ;     Child Loop BB2260_91 Depth 2
	v_cmp_ne_u16_sdwa s[36:37], v7, v14 src0_sel:BYTE_0 src1_sel:DWORD
	s_nop 1
	v_cndmask_b32_e64 v3, 0, 1, s[36:37]
	;;#ASMSTART
	;;#ASMEND
	s_nop 0
	v_cmp_ne_u32_e32 vcc, 0, v3
	s_cmp_lg_u64 vcc, exec
	v_mov_b32_e32 v3, v6
	s_cbranch_scc1 .LBB2260_93
; %bb.89:                               ;   in Loop: Header=BB2260_88 Depth=1
	v_lshl_add_u64 v[10:11], v[4:5], 3, s[34:35]
	global_load_dwordx2 v[6:7], v[10:11], off sc1
	s_waitcnt vmcnt(0)
	v_cmp_eq_u16_sdwa s[38:39], v7, v5 src0_sel:BYTE_0 src1_sel:DWORD
	s_and_saveexec_b64 s[36:37], s[38:39]
	s_cbranch_execz .LBB2260_87
; %bb.90:                               ;   in Loop: Header=BB2260_88 Depth=1
	s_mov_b64 s[38:39], 0
.LBB2260_91:                            ;   Parent Loop BB2260_88 Depth=1
                                        ; =>  This Inner Loop Header: Depth=2
	global_load_dwordx2 v[6:7], v[10:11], off sc1
	s_waitcnt vmcnt(0)
	v_cmp_ne_u16_sdwa s[42:43], v7, v5 src0_sel:BYTE_0 src1_sel:DWORD
	s_or_b64 s[38:39], s[42:43], s[38:39]
	s_andn2_b64 exec, exec, s[38:39]
	s_cbranch_execnz .LBB2260_91
; %bb.92:                               ;   in Loop: Header=BB2260_88 Depth=1
	s_or_b64 exec, exec, s[38:39]
	s_branch .LBB2260_87
.LBB2260_93:                            ;   in Loop: Header=BB2260_88 Depth=1
                                        ; implicit-def: $vgpr6
                                        ; implicit-def: $vgpr7
	s_cbranch_execz .LBB2260_88
; %bb.94:
	s_and_saveexec_b64 s[36:37], s[16:17]
	s_cbranch_execz .LBB2260_96
; %bb.95:
	s_add_i32 s38, s40, 64
	s_mov_b32 s39, 0
	s_lshl_b64 s[38:39], s[38:39], 3
	s_add_u32 s38, s34, s38
	v_add_u32_e32 v4, v3, v2
	v_mov_b32_e32 v5, 2
	s_addc_u32 s39, s35, s39
	v_mov_b32_e32 v6, 0
	global_store_dwordx2 v6, v[4:5], s[38:39] sc1
	ds_write_b64 v6, v[2:3] offset:30720
.LBB2260_96:
	s_or_b64 exec, exec, s[36:37]
	s_and_b64 exec, exec, s[18:19]
	s_cbranch_execz .LBB2260_98
; %bb.97:
	v_mov_b32_e32 v2, 0
	ds_write_b32 v2, v3 offset:28
.LBB2260_98:
	s_or_b64 exec, exec, s[0:1]
	v_mov_b32_e32 v14, 0
	s_waitcnt lgkmcnt(0)
	s_barrier
	ds_read_b32 v2, v14 offset:28
	v_cndmask_b32_e64 v3, v13, v12, s[16:17]
	v_cndmask_b32_e64 v3, v3, 0, s[18:19]
	s_waitcnt lgkmcnt(0)
	s_barrier
	v_add_u32_e32 v2, v2, v3
	v_add_u32_e32 v3, v2, v56
	;; [unrolled: 1-line block ×10, first 2 shown]
	ds_read_b64 v[42:43], v14 offset:30720
	v_add_u32_e32 v12, v11, v51
	v_add_u32_e32 v13, v12, v52
	;; [unrolled: 1-line block ×5, first 2 shown]
	s_waitcnt lgkmcnt(0)
	v_mov_b32_e32 v44, v43
	s_branch .LBB2260_109
.LBB2260_99:
                                        ; implicit-def: $vgpr44
                                        ; implicit-def: $vgpr42
                                        ; implicit-def: $vgpr2_vgpr3_vgpr4_vgpr5_vgpr6_vgpr7_vgpr8_vgpr9_vgpr10_vgpr11_vgpr12_vgpr13_vgpr14_vgpr15_vgpr16_vgpr17
	s_cbranch_execz .LBB2260_109
; %bb.100:
	s_nop 0
	v_mov_b32_dpp v2, v61 row_shr:1 row_mask:0xf bank_mask:0xf
	v_cndmask_b32_e64 v2, v2, 0, s[14:15]
	v_add_u32_e32 v2, v2, v61
	s_nop 1
	v_mov_b32_dpp v3, v2 row_shr:2 row_mask:0xf bank_mask:0xf
	v_cndmask_b32_e64 v3, 0, v3, s[12:13]
	v_add_u32_e32 v2, v2, v3
	;; [unrolled: 4-line block ×4, first 2 shown]
	s_nop 1
	v_mov_b32_dpp v3, v2 row_bcast:15 row_mask:0xf bank_mask:0xf
	v_cndmask_b32_e64 v3, v3, 0, s[6:7]
	v_add_u32_e32 v2, v2, v3
	s_nop 1
	v_mov_b32_dpp v3, v2 row_bcast:31 row_mask:0xf bank_mask:0xf
	v_cndmask_b32_e64 v3, 0, v3, s[2:3]
	v_add_u32_e32 v2, v2, v3
	s_and_saveexec_b64 s[0:1], s[4:5]
	s_cbranch_execz .LBB2260_102
; %bb.101:
	v_lshlrev_b32_e32 v3, 2, v60
	ds_write_b32 v3, v2
.LBB2260_102:
	s_or_b64 exec, exec, s[0:1]
	v_cmp_gt_u32_e32 vcc, 8, v0
	s_waitcnt lgkmcnt(0)
	s_barrier
	s_and_saveexec_b64 s[0:1], vcc
	s_cbranch_execz .LBB2260_104
; %bb.103:
	v_mad_i32_i24 v3, v0, -11, v21
	ds_read_b32 v4, v3
	v_and_b32_e32 v5, 7, v59
	v_cmp_ne_u32_e32 vcc, 0, v5
	s_waitcnt lgkmcnt(0)
	v_mov_b32_dpp v6, v4 row_shr:1 row_mask:0xf bank_mask:0xf
	v_cndmask_b32_e32 v6, 0, v6, vcc
	v_add_u32_e32 v4, v6, v4
	v_cmp_lt_u32_e32 vcc, 1, v5
	s_nop 0
	v_mov_b32_dpp v6, v4 row_shr:2 row_mask:0xf bank_mask:0xf
	v_cndmask_b32_e32 v6, 0, v6, vcc
	v_add_u32_e32 v4, v4, v6
	v_cmp_lt_u32_e32 vcc, 3, v5
	s_nop 0
	v_mov_b32_dpp v6, v4 row_shr:4 row_mask:0xf bank_mask:0xf
	v_cndmask_b32_e32 v5, 0, v6, vcc
	v_add_u32_e32 v4, v4, v5
	ds_write_b32 v3, v4
.LBB2260_104:
	s_or_b64 exec, exec, s[0:1]
	v_cmp_lt_u32_e32 vcc, 63, v0
	v_mov_b32_e32 v4, 0
	v_mov_b32_e32 v3, 0
	s_waitcnt lgkmcnt(0)
	s_barrier
	s_and_saveexec_b64 s[0:1], vcc
	s_cbranch_execz .LBB2260_106
; %bb.105:
	v_lshl_add_u32 v3, v60, 2, -4
	ds_read_b32 v3, v3
.LBB2260_106:
	s_or_b64 exec, exec, s[0:1]
	v_add_u32_e32 v5, -1, v59
	v_and_b32_e32 v6, 64, v59
	v_cmp_lt_i32_e32 vcc, v5, v6
	s_waitcnt lgkmcnt(0)
	v_add_u32_e32 v2, v3, v2
	ds_read_b32 v42, v4 offset:28
	v_cndmask_b32_e32 v5, v5, v59, vcc
	v_lshlrev_b32_e32 v5, 2, v5
	ds_bpermute_b32 v2, v5, v2
	s_and_saveexec_b64 s[0:1], s[18:19]
	s_cbranch_execz .LBB2260_108
; %bb.107:
	v_mov_b32_e32 v4, 0
	v_mov_b32_e32 v43, 2
	s_waitcnt lgkmcnt(1)
	global_store_dwordx2 v4, v[42:43], s[34:35] offset:512 sc1
.LBB2260_108:
	s_or_b64 exec, exec, s[0:1]
	v_cmp_eq_u32_e32 vcc, 0, v59
	v_mov_b32_e32 v44, 0
	s_waitcnt lgkmcnt(0)
	v_cndmask_b32_e32 v2, v2, v3, vcc
	v_cndmask_b32_e64 v2, v2, 0, s[18:19]
	v_add_u32_e32 v3, v2, v56
	v_add_u32_e32 v4, v3, v57
	;; [unrolled: 1-line block ×14, first 2 shown]
	s_barrier
.LBB2260_109:
	v_add_u32_e32 v21, v42, v21
	v_sub_u32_e32 v2, v2, v44
	v_and_b32_e32 v52, 1, v18
	v_sub_u32_e32 v51, v21, v2
	v_cmp_eq_u32_e32 vcc, 1, v52
	v_lshrrev_b32_e32 v50, 8, v18
	v_lshrrev_b32_e32 v43, 8, v19
	v_cndmask_b32_e32 v2, v51, v2, vcc
	v_lshlrev_b32_e32 v2, 2, v2
	ds_write_b32 v2, v40
	v_sub_u32_e32 v2, v3, v44
	v_sub_u32_e32 v3, v21, v2
	v_and_b32_e32 v40, 1, v50
	v_add_u32_e32 v3, 1, v3
	v_cmp_eq_u32_e32 vcc, 1, v40
	v_lshrrev_b32_e32 v17, 8, v20
	v_or_b32_e32 v40, 0x400, v0
	v_cndmask_b32_e32 v2, v3, v2, vcc
	v_lshlrev_b32_e32 v2, 2, v2
	ds_write_b32 v2, v41
	v_sub_u32_e32 v2, v4, v44
	v_mov_b32_e32 v4, 1
	v_sub_u32_e32 v3, v21, v2
	v_and_b32_sdwa v18, v4, v18 dst_sel:DWORD dst_unused:UNUSED_PAD src0_sel:DWORD src1_sel:WORD_1
	v_add_u32_e32 v3, 2, v3
	v_cmp_eq_u32_e32 vcc, 1, v18
	v_or_b32_e32 v41, 0x200, v0
	s_nop 0
	v_cndmask_b32_e32 v2, v3, v2, vcc
	v_lshlrev_b32_e32 v2, 2, v2
	ds_write_b32 v2, v38
	v_sub_u32_e32 v2, v5, v44
	v_sub_u32_e32 v3, v21, v2
	v_and_b32_e32 v5, 1, v49
	v_add_u32_e32 v3, 3, v3
	v_cmp_eq_u32_e32 vcc, 1, v5
	v_and_b32_e32 v5, 1, v19
	v_or_b32_e32 v38, 0x800, v0
	v_cndmask_b32_e32 v2, v3, v2, vcc
	v_lshlrev_b32_e32 v2, 2, v2
	ds_write_b32 v2, v39
	v_sub_u32_e32 v2, v6, v44
	v_sub_u32_e32 v3, v21, v2
	v_add_u32_e32 v3, 4, v3
	v_cmp_eq_u32_e32 vcc, 1, v5
	v_and_b32_e32 v5, 1, v43
	v_or_b32_e32 v39, 0x600, v0
	v_cndmask_b32_e32 v2, v3, v2, vcc
	v_lshlrev_b32_e32 v2, 2, v2
	ds_write_b32 v2, v36
	v_sub_u32_e32 v2, v7, v44
	v_sub_u32_e32 v3, v21, v2
	v_add_u32_e32 v3, 5, v3
	v_cmp_eq_u32_e32 vcc, 1, v5
	v_and_b32_sdwa v5, v4, v19 dst_sel:DWORD dst_unused:UNUSED_PAD src0_sel:DWORD src1_sel:WORD_1
	v_and_b32_sdwa v4, v4, v20 dst_sel:DWORD dst_unused:UNUSED_PAD src0_sel:DWORD src1_sel:WORD_1
	v_cndmask_b32_e32 v2, v3, v2, vcc
	v_lshlrev_b32_e32 v2, 2, v2
	ds_write_b32 v2, v37
	v_sub_u32_e32 v2, v8, v44
	v_sub_u32_e32 v3, v21, v2
	v_add_u32_e32 v3, 6, v3
	v_cmp_eq_u32_e32 vcc, 1, v5
	v_and_b32_e32 v5, 1, v48
	v_mov_b32_e32 v7, s31
	v_cndmask_b32_e32 v2, v3, v2, vcc
	v_lshlrev_b32_e32 v2, 2, v2
	ds_write_b32 v2, v34
	v_sub_u32_e32 v2, v9, v44
	v_sub_u32_e32 v3, v21, v2
	v_add_u32_e32 v3, 7, v3
	v_cmp_eq_u32_e32 vcc, 1, v5
	v_and_b32_e32 v5, 1, v20
	v_or_b32_e32 v37, 0xa00, v0
	v_cndmask_b32_e32 v2, v3, v2, vcc
	v_lshlrev_b32_e32 v2, 2, v2
	ds_write_b32 v2, v35
	v_sub_u32_e32 v2, v10, v44
	v_sub_u32_e32 v3, v21, v2
	v_add_u32_e32 v3, 8, v3
	v_cmp_eq_u32_e32 vcc, 1, v5
	v_and_b32_e32 v5, 1, v17
	v_or_b32_e32 v36, 0xc00, v0
	v_cndmask_b32_e32 v2, v3, v2, vcc
	v_lshlrev_b32_e32 v2, 2, v2
	ds_write_b32 v2, v32
	v_sub_u32_e32 v2, v11, v44
	v_sub_u32_e32 v3, v21, v2
	v_add_u32_e32 v3, 9, v3
	v_cmp_eq_u32_e32 vcc, 1, v5
	v_or_b32_e32 v35, 0xe00, v0
	v_or_b32_e32 v34, 0x1000, v0
	v_cndmask_b32_e32 v2, v3, v2, vcc
	v_lshlrev_b32_e32 v2, 2, v2
	ds_write_b32 v2, v33
	v_sub_u32_e32 v2, v12, v44
	v_sub_u32_e32 v3, v21, v2
	v_add_u32_e32 v3, 10, v3
	v_cmp_eq_u32_e32 vcc, 1, v4
	v_and_b32_e32 v4, 1, v46
	v_or_b32_e32 v33, 0x1200, v0
	v_cndmask_b32_e32 v2, v3, v2, vcc
	v_lshlrev_b32_e32 v2, 2, v2
	ds_write_b32 v2, v30
	v_sub_u32_e32 v2, v13, v44
	v_sub_u32_e32 v3, v21, v2
	v_add_u32_e32 v3, 11, v3
	v_cmp_eq_u32_e32 vcc, 1, v4
	v_or_b32_e32 v32, 0x1400, v0
	v_or_b32_e32 v30, 0x1800, v0
	v_cndmask_b32_e32 v2, v3, v2, vcc
	v_lshlrev_b32_e32 v2, 2, v2
	ds_write_b32 v2, v31
	v_sub_u32_e32 v2, v14, v44
	v_sub_u32_e32 v3, v21, v2
	v_add_u32_e32 v3, 12, v3
	v_cmp_eq_u32_e32 vcc, 1, v47
	v_or_b32_e32 v31, 0x1600, v0
	s_nop 0
	v_cndmask_b32_e32 v2, v3, v2, vcc
	v_lshlrev_b32_e32 v2, 2, v2
	ds_write_b32 v2, v28
	v_sub_u32_e32 v2, v15, v44
	v_sub_u32_e32 v3, v21, v2
	v_add_u32_e32 v3, 13, v3
	v_cmp_eq_u32_e32 vcc, 1, v45
	v_mov_b32_e32 v45, 0
	s_waitcnt vmcnt(0)
	v_lshl_add_u64 v[8:9], v[24:25], 0, v[44:45]
	v_cndmask_b32_e32 v2, v3, v2, vcc
	v_lshlrev_b32_e32 v2, 2, v2
	ds_write_b32 v2, v29
	v_sub_u32_e32 v2, v16, v44
	v_sub_u32_e32 v3, v21, v2
	v_add_u32_e32 v3, 14, v3
	v_cmp_eq_u32_e32 vcc, 1, v23
	v_mov_b32_e32 v43, v45
	v_or_b32_e32 v29, 0x1a00, v0
	v_cndmask_b32_e32 v2, v3, v2, vcc
	v_lshlrev_b32_e32 v2, 2, v2
	ds_write_b32 v2, v1
	v_lshl_add_u64 v[2:3], v[8:9], 0, v[42:43]
	s_waitcnt lgkmcnt(0)
	s_barrier
	ds_read2st64_b32 v[20:21], v22 offset1:8
	ds_read2st64_b32 v[18:19], v22 offset0:16 offset1:24
	ds_read2st64_b32 v[16:17], v22 offset0:32 offset1:40
	ds_read2st64_b32 v[14:15], v22 offset0:48 offset1:56
	ds_read2st64_b32 v[12:13], v22 offset0:64 offset1:72
	ds_read2st64_b32 v[10:11], v22 offset0:80 offset1:88
	ds_read2st64_b32 v[4:5], v22 offset0:96 offset1:104
	ds_read_b32 v1, v22 offset:28672
	v_sub_co_u32_e32 v6, vcc, s30, v2
	v_lshlrev_b64 v[8:9], 2, v[8:9]
	s_nop 0
	v_subb_co_u32_e32 v7, vcc, v7, v3, vcc
	v_lshlrev_b64 v[6:7], 2, v[6:7]
	v_lshl_add_u64 v[6:7], s[26:27], 0, v[6:7]
	v_or_b32_e32 v28, 0x1c00, v0
	v_lshl_add_u64 v[6:7], v[6:7], 0, v[26:27]
	s_andn2_b64 vcc, exec, s[28:29]
	v_lshl_add_u64 v[8:9], s[24:25], 0, v[8:9]
	s_cbranch_vccnz .LBB2260_111
; %bb.110:
	v_cmp_gt_u32_e32 vcc, v42, v0
	v_mov_b32_e32 v23, v45
	v_lshlrev_b32_e32 v44, 2, v40
	v_cndmask_b32_e32 v25, v7, v9, vcc
	v_cndmask_b32_e32 v24, v6, v8, vcc
	v_lshl_add_u64 v[24:25], v[24:25], 0, v[22:23]
	v_cmp_lt_u32_e32 vcc, v41, v42
	s_waitcnt lgkmcnt(7)
	global_store_dword v[24:25], v20, off
	v_cndmask_b32_e32 v25, v7, v9, vcc
	v_cndmask_b32_e32 v24, v6, v8, vcc
	v_lshl_add_u64 v[24:25], v[24:25], 0, v[22:23]
	v_cmp_lt_u32_e32 vcc, v40, v42
	global_store_dword v[24:25], v21, off offset:2048
	s_mov_b64 s[0:1], -1
	v_cndmask_b32_e32 v25, v7, v9, vcc
	v_cndmask_b32_e32 v24, v6, v8, vcc
	v_lshl_add_u64 v[24:25], v[24:25], 0, v[44:45]
	v_cmp_lt_u32_e32 vcc, v39, v42
	s_waitcnt lgkmcnt(6)
	global_store_dword v[24:25], v18, off
	v_lshlrev_b32_e32 v44, 2, v39
	v_cndmask_b32_e32 v25, v7, v9, vcc
	v_cndmask_b32_e32 v24, v6, v8, vcc
	v_lshl_add_u64 v[24:25], v[24:25], 0, v[44:45]
	v_cmp_lt_u32_e32 vcc, v38, v42
	global_store_dword v[24:25], v19, off
	v_lshlrev_b32_e32 v44, 2, v38
	v_cndmask_b32_e32 v25, v7, v9, vcc
	v_cndmask_b32_e32 v24, v6, v8, vcc
	v_lshl_add_u64 v[24:25], v[24:25], 0, v[44:45]
	v_cmp_lt_u32_e32 vcc, v37, v42
	s_waitcnt lgkmcnt(5)
	global_store_dword v[24:25], v16, off
	v_lshlrev_b32_e32 v44, 2, v37
	v_cndmask_b32_e32 v25, v7, v9, vcc
	v_cndmask_b32_e32 v24, v6, v8, vcc
	v_lshl_add_u64 v[24:25], v[24:25], 0, v[44:45]
	v_cmp_lt_u32_e32 vcc, v36, v42
	global_store_dword v[24:25], v17, off
	v_lshlrev_b32_e32 v44, 2, v36
	;; [unrolled: 13-line block ×5, first 2 shown]
	v_cndmask_b32_e32 v25, v7, v9, vcc
	v_cndmask_b32_e32 v24, v6, v8, vcc
	v_lshl_add_u64 v[24:25], v[24:25], 0, v[44:45]
	v_cmp_lt_u32_e32 vcc, v29, v42
	s_waitcnt lgkmcnt(1)
	global_store_dword v[24:25], v4, off
	v_lshlrev_b32_e32 v44, 2, v29
	v_cndmask_b32_e32 v25, v7, v9, vcc
	v_cndmask_b32_e32 v24, v6, v8, vcc
	v_lshl_add_u64 v[24:25], v[24:25], 0, v[44:45]
	global_store_dword v[24:25], v5, off
	s_cbranch_execz .LBB2260_112
	s_branch .LBB2260_128
.LBB2260_111:
	s_mov_b64 s[0:1], 0
.LBB2260_112:
	v_cmp_gt_u32_e32 vcc, s33, v0
	s_and_saveexec_b64 s[0:1], vcc
	s_cbranch_execnz .LBB2260_133
; %bb.113:
	s_or_b64 exec, exec, s[0:1]
	v_cmp_gt_u32_e32 vcc, s33, v41
	s_and_saveexec_b64 s[0:1], vcc
	s_cbranch_execnz .LBB2260_134
.LBB2260_114:
	s_or_b64 exec, exec, s[0:1]
	v_cmp_gt_u32_e32 vcc, s33, v40
	s_and_saveexec_b64 s[0:1], vcc
	s_cbranch_execnz .LBB2260_135
.LBB2260_115:
	s_or_b64 exec, exec, s[0:1]
	v_cmp_gt_u32_e32 vcc, s33, v39
	s_and_saveexec_b64 s[0:1], vcc
	s_cbranch_execnz .LBB2260_136
.LBB2260_116:
	s_or_b64 exec, exec, s[0:1]
	v_cmp_gt_u32_e32 vcc, s33, v38
	s_and_saveexec_b64 s[0:1], vcc
	s_cbranch_execnz .LBB2260_137
.LBB2260_117:
	s_or_b64 exec, exec, s[0:1]
	v_cmp_gt_u32_e32 vcc, s33, v37
	s_and_saveexec_b64 s[0:1], vcc
	s_cbranch_execnz .LBB2260_138
.LBB2260_118:
	s_or_b64 exec, exec, s[0:1]
	v_cmp_gt_u32_e32 vcc, s33, v36
	s_and_saveexec_b64 s[0:1], vcc
	s_cbranch_execnz .LBB2260_139
.LBB2260_119:
	s_or_b64 exec, exec, s[0:1]
	v_cmp_gt_u32_e32 vcc, s33, v35
	s_and_saveexec_b64 s[0:1], vcc
	s_cbranch_execnz .LBB2260_140
.LBB2260_120:
	s_or_b64 exec, exec, s[0:1]
	v_cmp_gt_u32_e32 vcc, s33, v34
	s_and_saveexec_b64 s[0:1], vcc
	s_cbranch_execnz .LBB2260_141
.LBB2260_121:
	s_or_b64 exec, exec, s[0:1]
	v_cmp_gt_u32_e32 vcc, s33, v33
	s_and_saveexec_b64 s[0:1], vcc
	s_cbranch_execnz .LBB2260_142
.LBB2260_122:
	s_or_b64 exec, exec, s[0:1]
	v_cmp_gt_u32_e32 vcc, s33, v32
	s_and_saveexec_b64 s[0:1], vcc
	s_cbranch_execnz .LBB2260_143
.LBB2260_123:
	s_or_b64 exec, exec, s[0:1]
	v_cmp_gt_u32_e32 vcc, s33, v31
	s_and_saveexec_b64 s[0:1], vcc
	s_cbranch_execnz .LBB2260_144
.LBB2260_124:
	s_or_b64 exec, exec, s[0:1]
	v_cmp_gt_u32_e32 vcc, s33, v30
	s_and_saveexec_b64 s[0:1], vcc
	s_cbranch_execnz .LBB2260_145
.LBB2260_125:
	s_or_b64 exec, exec, s[0:1]
	v_cmp_gt_u32_e32 vcc, s33, v29
	s_and_saveexec_b64 s[0:1], vcc
	s_cbranch_execz .LBB2260_127
.LBB2260_126:
	v_cmp_lt_u32_e32 vcc, v29, v42
	s_waitcnt lgkmcnt(3)
	v_lshlrev_b32_e32 v12, 2, v29
	v_mov_b32_e32 v13, 0
	s_waitcnt lgkmcnt(2)
	v_cndmask_b32_e32 v11, v7, v9, vcc
	v_cndmask_b32_e32 v10, v6, v8, vcc
	v_lshl_add_u64 v[10:11], v[10:11], 0, v[12:13]
	s_waitcnt lgkmcnt(1)
	global_store_dword v[10:11], v5, off
.LBB2260_127:
	s_or_b64 exec, exec, s[0:1]
	v_cmp_gt_u32_e64 s[0:1], s33, v28
.LBB2260_128:
	s_and_saveexec_b64 s[2:3], s[0:1]
	s_cbranch_execnz .LBB2260_131
; %bb.129:
	s_or_b64 exec, exec, s[2:3]
	s_and_b64 s[0:1], s[18:19], s[22:23]
	s_and_saveexec_b64 s[2:3], s[0:1]
	s_cbranch_execnz .LBB2260_132
.LBB2260_130:
	s_endpgm
.LBB2260_131:
	v_cmp_lt_u32_e32 vcc, v28, v42
	s_waitcnt lgkmcnt(1)
	s_nop 0
	v_cndmask_b32_e32 v5, v7, v9, vcc
	v_cndmask_b32_e32 v4, v6, v8, vcc
	v_lshlrev_b32_e32 v6, 2, v28
	v_mov_b32_e32 v7, 0
	v_lshl_add_u64 v[4:5], v[4:5], 0, v[6:7]
	s_waitcnt lgkmcnt(0)
	global_store_dword v[4:5], v1, off
	s_or_b64 exec, exec, s[2:3]
	s_and_b64 s[0:1], s[18:19], s[22:23]
	s_and_saveexec_b64 s[2:3], s[0:1]
	s_cbranch_execz .LBB2260_130
.LBB2260_132:
	v_mov_b32_e32 v0, 0
	global_store_dwordx2 v0, v[2:3], s[20:21]
	s_endpgm
.LBB2260_133:
	v_cmp_gt_u32_e32 vcc, v42, v0
	v_mov_b32_e32 v23, 0
	s_nop 0
	v_cndmask_b32_e32 v25, v7, v9, vcc
	v_cndmask_b32_e32 v24, v6, v8, vcc
	v_lshl_add_u64 v[24:25], v[24:25], 0, v[22:23]
	s_waitcnt lgkmcnt(7)
	global_store_dword v[24:25], v20, off
	s_or_b64 exec, exec, s[0:1]
	v_cmp_gt_u32_e32 vcc, s33, v41
	s_and_saveexec_b64 s[0:1], vcc
	s_cbranch_execz .LBB2260_114
.LBB2260_134:
	v_cmp_lt_u32_e32 vcc, v41, v42
	v_mov_b32_e32 v23, 0
	s_nop 0
	v_cndmask_b32_e32 v25, v7, v9, vcc
	v_cndmask_b32_e32 v24, v6, v8, vcc
	v_lshl_add_u64 v[22:23], v[24:25], 0, v[22:23]
	s_waitcnt lgkmcnt(7)
	global_store_dword v[22:23], v21, off offset:2048
	s_or_b64 exec, exec, s[0:1]
	v_cmp_gt_u32_e32 vcc, s33, v40
	s_and_saveexec_b64 s[0:1], vcc
	s_cbranch_execz .LBB2260_115
.LBB2260_135:
	v_cmp_lt_u32_e32 vcc, v40, v42
	v_lshlrev_b32_e32 v22, 2, v40
	v_mov_b32_e32 v23, 0
	s_waitcnt lgkmcnt(7)
	v_cndmask_b32_e32 v21, v7, v9, vcc
	v_cndmask_b32_e32 v20, v6, v8, vcc
	v_lshl_add_u64 v[20:21], v[20:21], 0, v[22:23]
	s_waitcnt lgkmcnt(6)
	global_store_dword v[20:21], v18, off
	s_or_b64 exec, exec, s[0:1]
	v_cmp_gt_u32_e32 vcc, s33, v39
	s_and_saveexec_b64 s[0:1], vcc
	s_cbranch_execz .LBB2260_116
.LBB2260_136:
	v_cmp_lt_u32_e32 vcc, v39, v42
	v_lshlrev_b32_e32 v22, 2, v39
	v_mov_b32_e32 v23, 0
	s_waitcnt lgkmcnt(7)
	v_cndmask_b32_e32 v21, v7, v9, vcc
	v_cndmask_b32_e32 v20, v6, v8, vcc
	v_lshl_add_u64 v[20:21], v[20:21], 0, v[22:23]
	s_waitcnt lgkmcnt(6)
	global_store_dword v[20:21], v19, off
	s_or_b64 exec, exec, s[0:1]
	v_cmp_gt_u32_e32 vcc, s33, v38
	s_and_saveexec_b64 s[0:1], vcc
	s_cbranch_execz .LBB2260_117
.LBB2260_137:
	v_cmp_lt_u32_e32 vcc, v38, v42
	s_waitcnt lgkmcnt(7)
	v_lshlrev_b32_e32 v20, 2, v38
	v_mov_b32_e32 v21, 0
	s_waitcnt lgkmcnt(6)
	v_cndmask_b32_e32 v19, v7, v9, vcc
	v_cndmask_b32_e32 v18, v6, v8, vcc
	v_lshl_add_u64 v[18:19], v[18:19], 0, v[20:21]
	s_waitcnt lgkmcnt(5)
	global_store_dword v[18:19], v16, off
	s_or_b64 exec, exec, s[0:1]
	v_cmp_gt_u32_e32 vcc, s33, v37
	s_and_saveexec_b64 s[0:1], vcc
	s_cbranch_execz .LBB2260_118
.LBB2260_138:
	v_cmp_lt_u32_e32 vcc, v37, v42
	s_waitcnt lgkmcnt(7)
	v_lshlrev_b32_e32 v20, 2, v37
	v_mov_b32_e32 v21, 0
	s_waitcnt lgkmcnt(6)
	v_cndmask_b32_e32 v19, v7, v9, vcc
	v_cndmask_b32_e32 v18, v6, v8, vcc
	v_lshl_add_u64 v[18:19], v[18:19], 0, v[20:21]
	s_waitcnt lgkmcnt(5)
	global_store_dword v[18:19], v17, off
	s_or_b64 exec, exec, s[0:1]
	v_cmp_gt_u32_e32 vcc, s33, v36
	s_and_saveexec_b64 s[0:1], vcc
	s_cbranch_execz .LBB2260_119
.LBB2260_139:
	v_cmp_lt_u32_e32 vcc, v36, v42
	s_waitcnt lgkmcnt(6)
	v_lshlrev_b32_e32 v18, 2, v36
	v_mov_b32_e32 v19, 0
	s_waitcnt lgkmcnt(5)
	v_cndmask_b32_e32 v17, v7, v9, vcc
	v_cndmask_b32_e32 v16, v6, v8, vcc
	v_lshl_add_u64 v[16:17], v[16:17], 0, v[18:19]
	s_waitcnt lgkmcnt(4)
	global_store_dword v[16:17], v14, off
	s_or_b64 exec, exec, s[0:1]
	v_cmp_gt_u32_e32 vcc, s33, v35
	s_and_saveexec_b64 s[0:1], vcc
	s_cbranch_execz .LBB2260_120
.LBB2260_140:
	v_cmp_lt_u32_e32 vcc, v35, v42
	s_waitcnt lgkmcnt(6)
	v_lshlrev_b32_e32 v18, 2, v35
	v_mov_b32_e32 v19, 0
	s_waitcnt lgkmcnt(5)
	v_cndmask_b32_e32 v17, v7, v9, vcc
	v_cndmask_b32_e32 v16, v6, v8, vcc
	v_lshl_add_u64 v[16:17], v[16:17], 0, v[18:19]
	s_waitcnt lgkmcnt(4)
	global_store_dword v[16:17], v15, off
	s_or_b64 exec, exec, s[0:1]
	v_cmp_gt_u32_e32 vcc, s33, v34
	s_and_saveexec_b64 s[0:1], vcc
	s_cbranch_execz .LBB2260_121
.LBB2260_141:
	v_cmp_lt_u32_e32 vcc, v34, v42
	s_waitcnt lgkmcnt(5)
	v_lshlrev_b32_e32 v16, 2, v34
	v_mov_b32_e32 v17, 0
	s_waitcnt lgkmcnt(4)
	v_cndmask_b32_e32 v15, v7, v9, vcc
	v_cndmask_b32_e32 v14, v6, v8, vcc
	v_lshl_add_u64 v[14:15], v[14:15], 0, v[16:17]
	s_waitcnt lgkmcnt(3)
	global_store_dword v[14:15], v12, off
	s_or_b64 exec, exec, s[0:1]
	v_cmp_gt_u32_e32 vcc, s33, v33
	s_and_saveexec_b64 s[0:1], vcc
	s_cbranch_execz .LBB2260_122
.LBB2260_142:
	v_cmp_lt_u32_e32 vcc, v33, v42
	s_waitcnt lgkmcnt(5)
	v_lshlrev_b32_e32 v16, 2, v33
	v_mov_b32_e32 v17, 0
	s_waitcnt lgkmcnt(4)
	v_cndmask_b32_e32 v15, v7, v9, vcc
	v_cndmask_b32_e32 v14, v6, v8, vcc
	v_lshl_add_u64 v[14:15], v[14:15], 0, v[16:17]
	s_waitcnt lgkmcnt(3)
	global_store_dword v[14:15], v13, off
	s_or_b64 exec, exec, s[0:1]
	v_cmp_gt_u32_e32 vcc, s33, v32
	s_and_saveexec_b64 s[0:1], vcc
	s_cbranch_execz .LBB2260_123
.LBB2260_143:
	v_cmp_lt_u32_e32 vcc, v32, v42
	s_waitcnt lgkmcnt(4)
	v_lshlrev_b32_e32 v14, 2, v32
	v_mov_b32_e32 v15, 0
	s_waitcnt lgkmcnt(3)
	v_cndmask_b32_e32 v13, v7, v9, vcc
	v_cndmask_b32_e32 v12, v6, v8, vcc
	v_lshl_add_u64 v[12:13], v[12:13], 0, v[14:15]
	s_waitcnt lgkmcnt(2)
	global_store_dword v[12:13], v10, off
	s_or_b64 exec, exec, s[0:1]
	v_cmp_gt_u32_e32 vcc, s33, v31
	s_and_saveexec_b64 s[0:1], vcc
	s_cbranch_execz .LBB2260_124
.LBB2260_144:
	v_cmp_lt_u32_e32 vcc, v31, v42
	s_waitcnt lgkmcnt(4)
	v_lshlrev_b32_e32 v14, 2, v31
	v_mov_b32_e32 v15, 0
	s_waitcnt lgkmcnt(3)
	v_cndmask_b32_e32 v13, v7, v9, vcc
	v_cndmask_b32_e32 v12, v6, v8, vcc
	v_lshl_add_u64 v[12:13], v[12:13], 0, v[14:15]
	s_waitcnt lgkmcnt(2)
	global_store_dword v[12:13], v11, off
	s_or_b64 exec, exec, s[0:1]
	v_cmp_gt_u32_e32 vcc, s33, v30
	s_and_saveexec_b64 s[0:1], vcc
	s_cbranch_execz .LBB2260_125
.LBB2260_145:
	v_cmp_lt_u32_e32 vcc, v30, v42
	s_waitcnt lgkmcnt(3)
	v_lshlrev_b32_e32 v12, 2, v30
	v_mov_b32_e32 v13, 0
	s_waitcnt lgkmcnt(2)
	v_cndmask_b32_e32 v11, v7, v9, vcc
	v_cndmask_b32_e32 v10, v6, v8, vcc
	v_lshl_add_u64 v[10:11], v[10:11], 0, v[12:13]
	s_waitcnt lgkmcnt(1)
	global_store_dword v[10:11], v4, off
	s_or_b64 exec, exec, s[0:1]
	v_cmp_gt_u32_e32 vcc, s33, v29
	s_and_saveexec_b64 s[0:1], vcc
	s_cbranch_execnz .LBB2260_126
	s_branch .LBB2260_127
	.section	.rodata,"a",@progbits
	.p2align	6, 0x0
	.amdhsa_kernel _ZN7rocprim17ROCPRIM_400000_NS6detail17trampoline_kernelINS0_14default_configENS1_25partition_config_selectorILNS1_17partition_subalgoE1EjNS0_10empty_typeEbEEZZNS1_14partition_implILS5_1ELb0ES3_jN6thrust23THRUST_200600_302600_NS6detail15normal_iteratorINSA_10device_ptrIjEEEEPS6_NSA_18transform_iteratorI7is_evenIjESF_NSA_11use_defaultESK_EENS0_5tupleIJSF_SF_EEENSM_IJSG_SG_EEES6_PlJS6_EEE10hipError_tPvRmT3_T4_T5_T6_T7_T9_mT8_P12ihipStream_tbDpT10_ENKUlT_T0_E_clISt17integral_constantIbLb0EES18_IbLb1EEEEDaS14_S15_EUlS14_E_NS1_11comp_targetILNS1_3genE5ELNS1_11target_archE942ELNS1_3gpuE9ELNS1_3repE0EEENS1_30default_config_static_selectorELNS0_4arch9wavefront6targetE1EEEvT1_
		.amdhsa_group_segment_fixed_size 30728
		.amdhsa_private_segment_fixed_size 0
		.amdhsa_kernarg_size 144
		.amdhsa_user_sgpr_count 2
		.amdhsa_user_sgpr_dispatch_ptr 0
		.amdhsa_user_sgpr_queue_ptr 0
		.amdhsa_user_sgpr_kernarg_segment_ptr 1
		.amdhsa_user_sgpr_dispatch_id 0
		.amdhsa_user_sgpr_kernarg_preload_length 0
		.amdhsa_user_sgpr_kernarg_preload_offset 0
		.amdhsa_user_sgpr_private_segment_size 0
		.amdhsa_uses_dynamic_stack 0
		.amdhsa_enable_private_segment 0
		.amdhsa_system_sgpr_workgroup_id_x 1
		.amdhsa_system_sgpr_workgroup_id_y 0
		.amdhsa_system_sgpr_workgroup_id_z 0
		.amdhsa_system_sgpr_workgroup_info 0
		.amdhsa_system_vgpr_workitem_id 0
		.amdhsa_next_free_vgpr 69
		.amdhsa_next_free_sgpr 44
		.amdhsa_accum_offset 72
		.amdhsa_reserve_vcc 1
		.amdhsa_float_round_mode_32 0
		.amdhsa_float_round_mode_16_64 0
		.amdhsa_float_denorm_mode_32 3
		.amdhsa_float_denorm_mode_16_64 3
		.amdhsa_dx10_clamp 1
		.amdhsa_ieee_mode 1
		.amdhsa_fp16_overflow 0
		.amdhsa_tg_split 0
		.amdhsa_exception_fp_ieee_invalid_op 0
		.amdhsa_exception_fp_denorm_src 0
		.amdhsa_exception_fp_ieee_div_zero 0
		.amdhsa_exception_fp_ieee_overflow 0
		.amdhsa_exception_fp_ieee_underflow 0
		.amdhsa_exception_fp_ieee_inexact 0
		.amdhsa_exception_int_div_zero 0
	.end_amdhsa_kernel
	.section	.text._ZN7rocprim17ROCPRIM_400000_NS6detail17trampoline_kernelINS0_14default_configENS1_25partition_config_selectorILNS1_17partition_subalgoE1EjNS0_10empty_typeEbEEZZNS1_14partition_implILS5_1ELb0ES3_jN6thrust23THRUST_200600_302600_NS6detail15normal_iteratorINSA_10device_ptrIjEEEEPS6_NSA_18transform_iteratorI7is_evenIjESF_NSA_11use_defaultESK_EENS0_5tupleIJSF_SF_EEENSM_IJSG_SG_EEES6_PlJS6_EEE10hipError_tPvRmT3_T4_T5_T6_T7_T9_mT8_P12ihipStream_tbDpT10_ENKUlT_T0_E_clISt17integral_constantIbLb0EES18_IbLb1EEEEDaS14_S15_EUlS14_E_NS1_11comp_targetILNS1_3genE5ELNS1_11target_archE942ELNS1_3gpuE9ELNS1_3repE0EEENS1_30default_config_static_selectorELNS0_4arch9wavefront6targetE1EEEvT1_,"axG",@progbits,_ZN7rocprim17ROCPRIM_400000_NS6detail17trampoline_kernelINS0_14default_configENS1_25partition_config_selectorILNS1_17partition_subalgoE1EjNS0_10empty_typeEbEEZZNS1_14partition_implILS5_1ELb0ES3_jN6thrust23THRUST_200600_302600_NS6detail15normal_iteratorINSA_10device_ptrIjEEEEPS6_NSA_18transform_iteratorI7is_evenIjESF_NSA_11use_defaultESK_EENS0_5tupleIJSF_SF_EEENSM_IJSG_SG_EEES6_PlJS6_EEE10hipError_tPvRmT3_T4_T5_T6_T7_T9_mT8_P12ihipStream_tbDpT10_ENKUlT_T0_E_clISt17integral_constantIbLb0EES18_IbLb1EEEEDaS14_S15_EUlS14_E_NS1_11comp_targetILNS1_3genE5ELNS1_11target_archE942ELNS1_3gpuE9ELNS1_3repE0EEENS1_30default_config_static_selectorELNS0_4arch9wavefront6targetE1EEEvT1_,comdat
.Lfunc_end2260:
	.size	_ZN7rocprim17ROCPRIM_400000_NS6detail17trampoline_kernelINS0_14default_configENS1_25partition_config_selectorILNS1_17partition_subalgoE1EjNS0_10empty_typeEbEEZZNS1_14partition_implILS5_1ELb0ES3_jN6thrust23THRUST_200600_302600_NS6detail15normal_iteratorINSA_10device_ptrIjEEEEPS6_NSA_18transform_iteratorI7is_evenIjESF_NSA_11use_defaultESK_EENS0_5tupleIJSF_SF_EEENSM_IJSG_SG_EEES6_PlJS6_EEE10hipError_tPvRmT3_T4_T5_T6_T7_T9_mT8_P12ihipStream_tbDpT10_ENKUlT_T0_E_clISt17integral_constantIbLb0EES18_IbLb1EEEEDaS14_S15_EUlS14_E_NS1_11comp_targetILNS1_3genE5ELNS1_11target_archE942ELNS1_3gpuE9ELNS1_3repE0EEENS1_30default_config_static_selectorELNS0_4arch9wavefront6targetE1EEEvT1_, .Lfunc_end2260-_ZN7rocprim17ROCPRIM_400000_NS6detail17trampoline_kernelINS0_14default_configENS1_25partition_config_selectorILNS1_17partition_subalgoE1EjNS0_10empty_typeEbEEZZNS1_14partition_implILS5_1ELb0ES3_jN6thrust23THRUST_200600_302600_NS6detail15normal_iteratorINSA_10device_ptrIjEEEEPS6_NSA_18transform_iteratorI7is_evenIjESF_NSA_11use_defaultESK_EENS0_5tupleIJSF_SF_EEENSM_IJSG_SG_EEES6_PlJS6_EEE10hipError_tPvRmT3_T4_T5_T6_T7_T9_mT8_P12ihipStream_tbDpT10_ENKUlT_T0_E_clISt17integral_constantIbLb0EES18_IbLb1EEEEDaS14_S15_EUlS14_E_NS1_11comp_targetILNS1_3genE5ELNS1_11target_archE942ELNS1_3gpuE9ELNS1_3repE0EEENS1_30default_config_static_selectorELNS0_4arch9wavefront6targetE1EEEvT1_
                                        ; -- End function
	.section	.AMDGPU.csdata,"",@progbits
; Kernel info:
; codeLenInByte = 7976
; NumSgprs: 50
; NumVgprs: 69
; NumAgprs: 0
; TotalNumVgprs: 69
; ScratchSize: 0
; MemoryBound: 0
; FloatMode: 240
; IeeeMode: 1
; LDSByteSize: 30728 bytes/workgroup (compile time only)
; SGPRBlocks: 6
; VGPRBlocks: 8
; NumSGPRsForWavesPerEU: 50
; NumVGPRsForWavesPerEU: 69
; AccumOffset: 72
; Occupancy: 4
; WaveLimiterHint : 1
; COMPUTE_PGM_RSRC2:SCRATCH_EN: 0
; COMPUTE_PGM_RSRC2:USER_SGPR: 2
; COMPUTE_PGM_RSRC2:TRAP_HANDLER: 0
; COMPUTE_PGM_RSRC2:TGID_X_EN: 1
; COMPUTE_PGM_RSRC2:TGID_Y_EN: 0
; COMPUTE_PGM_RSRC2:TGID_Z_EN: 0
; COMPUTE_PGM_RSRC2:TIDIG_COMP_CNT: 0
; COMPUTE_PGM_RSRC3_GFX90A:ACCUM_OFFSET: 17
; COMPUTE_PGM_RSRC3_GFX90A:TG_SPLIT: 0
	.section	.text._ZN7rocprim17ROCPRIM_400000_NS6detail17trampoline_kernelINS0_14default_configENS1_25partition_config_selectorILNS1_17partition_subalgoE1EjNS0_10empty_typeEbEEZZNS1_14partition_implILS5_1ELb0ES3_jN6thrust23THRUST_200600_302600_NS6detail15normal_iteratorINSA_10device_ptrIjEEEEPS6_NSA_18transform_iteratorI7is_evenIjESF_NSA_11use_defaultESK_EENS0_5tupleIJSF_SF_EEENSM_IJSG_SG_EEES6_PlJS6_EEE10hipError_tPvRmT3_T4_T5_T6_T7_T9_mT8_P12ihipStream_tbDpT10_ENKUlT_T0_E_clISt17integral_constantIbLb0EES18_IbLb1EEEEDaS14_S15_EUlS14_E_NS1_11comp_targetILNS1_3genE4ELNS1_11target_archE910ELNS1_3gpuE8ELNS1_3repE0EEENS1_30default_config_static_selectorELNS0_4arch9wavefront6targetE1EEEvT1_,"axG",@progbits,_ZN7rocprim17ROCPRIM_400000_NS6detail17trampoline_kernelINS0_14default_configENS1_25partition_config_selectorILNS1_17partition_subalgoE1EjNS0_10empty_typeEbEEZZNS1_14partition_implILS5_1ELb0ES3_jN6thrust23THRUST_200600_302600_NS6detail15normal_iteratorINSA_10device_ptrIjEEEEPS6_NSA_18transform_iteratorI7is_evenIjESF_NSA_11use_defaultESK_EENS0_5tupleIJSF_SF_EEENSM_IJSG_SG_EEES6_PlJS6_EEE10hipError_tPvRmT3_T4_T5_T6_T7_T9_mT8_P12ihipStream_tbDpT10_ENKUlT_T0_E_clISt17integral_constantIbLb0EES18_IbLb1EEEEDaS14_S15_EUlS14_E_NS1_11comp_targetILNS1_3genE4ELNS1_11target_archE910ELNS1_3gpuE8ELNS1_3repE0EEENS1_30default_config_static_selectorELNS0_4arch9wavefront6targetE1EEEvT1_,comdat
	.protected	_ZN7rocprim17ROCPRIM_400000_NS6detail17trampoline_kernelINS0_14default_configENS1_25partition_config_selectorILNS1_17partition_subalgoE1EjNS0_10empty_typeEbEEZZNS1_14partition_implILS5_1ELb0ES3_jN6thrust23THRUST_200600_302600_NS6detail15normal_iteratorINSA_10device_ptrIjEEEEPS6_NSA_18transform_iteratorI7is_evenIjESF_NSA_11use_defaultESK_EENS0_5tupleIJSF_SF_EEENSM_IJSG_SG_EEES6_PlJS6_EEE10hipError_tPvRmT3_T4_T5_T6_T7_T9_mT8_P12ihipStream_tbDpT10_ENKUlT_T0_E_clISt17integral_constantIbLb0EES18_IbLb1EEEEDaS14_S15_EUlS14_E_NS1_11comp_targetILNS1_3genE4ELNS1_11target_archE910ELNS1_3gpuE8ELNS1_3repE0EEENS1_30default_config_static_selectorELNS0_4arch9wavefront6targetE1EEEvT1_ ; -- Begin function _ZN7rocprim17ROCPRIM_400000_NS6detail17trampoline_kernelINS0_14default_configENS1_25partition_config_selectorILNS1_17partition_subalgoE1EjNS0_10empty_typeEbEEZZNS1_14partition_implILS5_1ELb0ES3_jN6thrust23THRUST_200600_302600_NS6detail15normal_iteratorINSA_10device_ptrIjEEEEPS6_NSA_18transform_iteratorI7is_evenIjESF_NSA_11use_defaultESK_EENS0_5tupleIJSF_SF_EEENSM_IJSG_SG_EEES6_PlJS6_EEE10hipError_tPvRmT3_T4_T5_T6_T7_T9_mT8_P12ihipStream_tbDpT10_ENKUlT_T0_E_clISt17integral_constantIbLb0EES18_IbLb1EEEEDaS14_S15_EUlS14_E_NS1_11comp_targetILNS1_3genE4ELNS1_11target_archE910ELNS1_3gpuE8ELNS1_3repE0EEENS1_30default_config_static_selectorELNS0_4arch9wavefront6targetE1EEEvT1_
	.globl	_ZN7rocprim17ROCPRIM_400000_NS6detail17trampoline_kernelINS0_14default_configENS1_25partition_config_selectorILNS1_17partition_subalgoE1EjNS0_10empty_typeEbEEZZNS1_14partition_implILS5_1ELb0ES3_jN6thrust23THRUST_200600_302600_NS6detail15normal_iteratorINSA_10device_ptrIjEEEEPS6_NSA_18transform_iteratorI7is_evenIjESF_NSA_11use_defaultESK_EENS0_5tupleIJSF_SF_EEENSM_IJSG_SG_EEES6_PlJS6_EEE10hipError_tPvRmT3_T4_T5_T6_T7_T9_mT8_P12ihipStream_tbDpT10_ENKUlT_T0_E_clISt17integral_constantIbLb0EES18_IbLb1EEEEDaS14_S15_EUlS14_E_NS1_11comp_targetILNS1_3genE4ELNS1_11target_archE910ELNS1_3gpuE8ELNS1_3repE0EEENS1_30default_config_static_selectorELNS0_4arch9wavefront6targetE1EEEvT1_
	.p2align	8
	.type	_ZN7rocprim17ROCPRIM_400000_NS6detail17trampoline_kernelINS0_14default_configENS1_25partition_config_selectorILNS1_17partition_subalgoE1EjNS0_10empty_typeEbEEZZNS1_14partition_implILS5_1ELb0ES3_jN6thrust23THRUST_200600_302600_NS6detail15normal_iteratorINSA_10device_ptrIjEEEEPS6_NSA_18transform_iteratorI7is_evenIjESF_NSA_11use_defaultESK_EENS0_5tupleIJSF_SF_EEENSM_IJSG_SG_EEES6_PlJS6_EEE10hipError_tPvRmT3_T4_T5_T6_T7_T9_mT8_P12ihipStream_tbDpT10_ENKUlT_T0_E_clISt17integral_constantIbLb0EES18_IbLb1EEEEDaS14_S15_EUlS14_E_NS1_11comp_targetILNS1_3genE4ELNS1_11target_archE910ELNS1_3gpuE8ELNS1_3repE0EEENS1_30default_config_static_selectorELNS0_4arch9wavefront6targetE1EEEvT1_,@function
_ZN7rocprim17ROCPRIM_400000_NS6detail17trampoline_kernelINS0_14default_configENS1_25partition_config_selectorILNS1_17partition_subalgoE1EjNS0_10empty_typeEbEEZZNS1_14partition_implILS5_1ELb0ES3_jN6thrust23THRUST_200600_302600_NS6detail15normal_iteratorINSA_10device_ptrIjEEEEPS6_NSA_18transform_iteratorI7is_evenIjESF_NSA_11use_defaultESK_EENS0_5tupleIJSF_SF_EEENSM_IJSG_SG_EEES6_PlJS6_EEE10hipError_tPvRmT3_T4_T5_T6_T7_T9_mT8_P12ihipStream_tbDpT10_ENKUlT_T0_E_clISt17integral_constantIbLb0EES18_IbLb1EEEEDaS14_S15_EUlS14_E_NS1_11comp_targetILNS1_3genE4ELNS1_11target_archE910ELNS1_3gpuE8ELNS1_3repE0EEENS1_30default_config_static_selectorELNS0_4arch9wavefront6targetE1EEEvT1_: ; @_ZN7rocprim17ROCPRIM_400000_NS6detail17trampoline_kernelINS0_14default_configENS1_25partition_config_selectorILNS1_17partition_subalgoE1EjNS0_10empty_typeEbEEZZNS1_14partition_implILS5_1ELb0ES3_jN6thrust23THRUST_200600_302600_NS6detail15normal_iteratorINSA_10device_ptrIjEEEEPS6_NSA_18transform_iteratorI7is_evenIjESF_NSA_11use_defaultESK_EENS0_5tupleIJSF_SF_EEENSM_IJSG_SG_EEES6_PlJS6_EEE10hipError_tPvRmT3_T4_T5_T6_T7_T9_mT8_P12ihipStream_tbDpT10_ENKUlT_T0_E_clISt17integral_constantIbLb0EES18_IbLb1EEEEDaS14_S15_EUlS14_E_NS1_11comp_targetILNS1_3genE4ELNS1_11target_archE910ELNS1_3gpuE8ELNS1_3repE0EEENS1_30default_config_static_selectorELNS0_4arch9wavefront6targetE1EEEvT1_
; %bb.0:
	.section	.rodata,"a",@progbits
	.p2align	6, 0x0
	.amdhsa_kernel _ZN7rocprim17ROCPRIM_400000_NS6detail17trampoline_kernelINS0_14default_configENS1_25partition_config_selectorILNS1_17partition_subalgoE1EjNS0_10empty_typeEbEEZZNS1_14partition_implILS5_1ELb0ES3_jN6thrust23THRUST_200600_302600_NS6detail15normal_iteratorINSA_10device_ptrIjEEEEPS6_NSA_18transform_iteratorI7is_evenIjESF_NSA_11use_defaultESK_EENS0_5tupleIJSF_SF_EEENSM_IJSG_SG_EEES6_PlJS6_EEE10hipError_tPvRmT3_T4_T5_T6_T7_T9_mT8_P12ihipStream_tbDpT10_ENKUlT_T0_E_clISt17integral_constantIbLb0EES18_IbLb1EEEEDaS14_S15_EUlS14_E_NS1_11comp_targetILNS1_3genE4ELNS1_11target_archE910ELNS1_3gpuE8ELNS1_3repE0EEENS1_30default_config_static_selectorELNS0_4arch9wavefront6targetE1EEEvT1_
		.amdhsa_group_segment_fixed_size 0
		.amdhsa_private_segment_fixed_size 0
		.amdhsa_kernarg_size 144
		.amdhsa_user_sgpr_count 2
		.amdhsa_user_sgpr_dispatch_ptr 0
		.amdhsa_user_sgpr_queue_ptr 0
		.amdhsa_user_sgpr_kernarg_segment_ptr 1
		.amdhsa_user_sgpr_dispatch_id 0
		.amdhsa_user_sgpr_kernarg_preload_length 0
		.amdhsa_user_sgpr_kernarg_preload_offset 0
		.amdhsa_user_sgpr_private_segment_size 0
		.amdhsa_uses_dynamic_stack 0
		.amdhsa_enable_private_segment 0
		.amdhsa_system_sgpr_workgroup_id_x 1
		.amdhsa_system_sgpr_workgroup_id_y 0
		.amdhsa_system_sgpr_workgroup_id_z 0
		.amdhsa_system_sgpr_workgroup_info 0
		.amdhsa_system_vgpr_workitem_id 0
		.amdhsa_next_free_vgpr 1
		.amdhsa_next_free_sgpr 0
		.amdhsa_accum_offset 4
		.amdhsa_reserve_vcc 0
		.amdhsa_float_round_mode_32 0
		.amdhsa_float_round_mode_16_64 0
		.amdhsa_float_denorm_mode_32 3
		.amdhsa_float_denorm_mode_16_64 3
		.amdhsa_dx10_clamp 1
		.amdhsa_ieee_mode 1
		.amdhsa_fp16_overflow 0
		.amdhsa_tg_split 0
		.amdhsa_exception_fp_ieee_invalid_op 0
		.amdhsa_exception_fp_denorm_src 0
		.amdhsa_exception_fp_ieee_div_zero 0
		.amdhsa_exception_fp_ieee_overflow 0
		.amdhsa_exception_fp_ieee_underflow 0
		.amdhsa_exception_fp_ieee_inexact 0
		.amdhsa_exception_int_div_zero 0
	.end_amdhsa_kernel
	.section	.text._ZN7rocprim17ROCPRIM_400000_NS6detail17trampoline_kernelINS0_14default_configENS1_25partition_config_selectorILNS1_17partition_subalgoE1EjNS0_10empty_typeEbEEZZNS1_14partition_implILS5_1ELb0ES3_jN6thrust23THRUST_200600_302600_NS6detail15normal_iteratorINSA_10device_ptrIjEEEEPS6_NSA_18transform_iteratorI7is_evenIjESF_NSA_11use_defaultESK_EENS0_5tupleIJSF_SF_EEENSM_IJSG_SG_EEES6_PlJS6_EEE10hipError_tPvRmT3_T4_T5_T6_T7_T9_mT8_P12ihipStream_tbDpT10_ENKUlT_T0_E_clISt17integral_constantIbLb0EES18_IbLb1EEEEDaS14_S15_EUlS14_E_NS1_11comp_targetILNS1_3genE4ELNS1_11target_archE910ELNS1_3gpuE8ELNS1_3repE0EEENS1_30default_config_static_selectorELNS0_4arch9wavefront6targetE1EEEvT1_,"axG",@progbits,_ZN7rocprim17ROCPRIM_400000_NS6detail17trampoline_kernelINS0_14default_configENS1_25partition_config_selectorILNS1_17partition_subalgoE1EjNS0_10empty_typeEbEEZZNS1_14partition_implILS5_1ELb0ES3_jN6thrust23THRUST_200600_302600_NS6detail15normal_iteratorINSA_10device_ptrIjEEEEPS6_NSA_18transform_iteratorI7is_evenIjESF_NSA_11use_defaultESK_EENS0_5tupleIJSF_SF_EEENSM_IJSG_SG_EEES6_PlJS6_EEE10hipError_tPvRmT3_T4_T5_T6_T7_T9_mT8_P12ihipStream_tbDpT10_ENKUlT_T0_E_clISt17integral_constantIbLb0EES18_IbLb1EEEEDaS14_S15_EUlS14_E_NS1_11comp_targetILNS1_3genE4ELNS1_11target_archE910ELNS1_3gpuE8ELNS1_3repE0EEENS1_30default_config_static_selectorELNS0_4arch9wavefront6targetE1EEEvT1_,comdat
.Lfunc_end2261:
	.size	_ZN7rocprim17ROCPRIM_400000_NS6detail17trampoline_kernelINS0_14default_configENS1_25partition_config_selectorILNS1_17partition_subalgoE1EjNS0_10empty_typeEbEEZZNS1_14partition_implILS5_1ELb0ES3_jN6thrust23THRUST_200600_302600_NS6detail15normal_iteratorINSA_10device_ptrIjEEEEPS6_NSA_18transform_iteratorI7is_evenIjESF_NSA_11use_defaultESK_EENS0_5tupleIJSF_SF_EEENSM_IJSG_SG_EEES6_PlJS6_EEE10hipError_tPvRmT3_T4_T5_T6_T7_T9_mT8_P12ihipStream_tbDpT10_ENKUlT_T0_E_clISt17integral_constantIbLb0EES18_IbLb1EEEEDaS14_S15_EUlS14_E_NS1_11comp_targetILNS1_3genE4ELNS1_11target_archE910ELNS1_3gpuE8ELNS1_3repE0EEENS1_30default_config_static_selectorELNS0_4arch9wavefront6targetE1EEEvT1_, .Lfunc_end2261-_ZN7rocprim17ROCPRIM_400000_NS6detail17trampoline_kernelINS0_14default_configENS1_25partition_config_selectorILNS1_17partition_subalgoE1EjNS0_10empty_typeEbEEZZNS1_14partition_implILS5_1ELb0ES3_jN6thrust23THRUST_200600_302600_NS6detail15normal_iteratorINSA_10device_ptrIjEEEEPS6_NSA_18transform_iteratorI7is_evenIjESF_NSA_11use_defaultESK_EENS0_5tupleIJSF_SF_EEENSM_IJSG_SG_EEES6_PlJS6_EEE10hipError_tPvRmT3_T4_T5_T6_T7_T9_mT8_P12ihipStream_tbDpT10_ENKUlT_T0_E_clISt17integral_constantIbLb0EES18_IbLb1EEEEDaS14_S15_EUlS14_E_NS1_11comp_targetILNS1_3genE4ELNS1_11target_archE910ELNS1_3gpuE8ELNS1_3repE0EEENS1_30default_config_static_selectorELNS0_4arch9wavefront6targetE1EEEvT1_
                                        ; -- End function
	.section	.AMDGPU.csdata,"",@progbits
; Kernel info:
; codeLenInByte = 0
; NumSgprs: 6
; NumVgprs: 0
; NumAgprs: 0
; TotalNumVgprs: 0
; ScratchSize: 0
; MemoryBound: 0
; FloatMode: 240
; IeeeMode: 1
; LDSByteSize: 0 bytes/workgroup (compile time only)
; SGPRBlocks: 0
; VGPRBlocks: 0
; NumSGPRsForWavesPerEU: 6
; NumVGPRsForWavesPerEU: 1
; AccumOffset: 4
; Occupancy: 8
; WaveLimiterHint : 0
; COMPUTE_PGM_RSRC2:SCRATCH_EN: 0
; COMPUTE_PGM_RSRC2:USER_SGPR: 2
; COMPUTE_PGM_RSRC2:TRAP_HANDLER: 0
; COMPUTE_PGM_RSRC2:TGID_X_EN: 1
; COMPUTE_PGM_RSRC2:TGID_Y_EN: 0
; COMPUTE_PGM_RSRC2:TGID_Z_EN: 0
; COMPUTE_PGM_RSRC2:TIDIG_COMP_CNT: 0
; COMPUTE_PGM_RSRC3_GFX90A:ACCUM_OFFSET: 0
; COMPUTE_PGM_RSRC3_GFX90A:TG_SPLIT: 0
	.section	.text._ZN7rocprim17ROCPRIM_400000_NS6detail17trampoline_kernelINS0_14default_configENS1_25partition_config_selectorILNS1_17partition_subalgoE1EjNS0_10empty_typeEbEEZZNS1_14partition_implILS5_1ELb0ES3_jN6thrust23THRUST_200600_302600_NS6detail15normal_iteratorINSA_10device_ptrIjEEEEPS6_NSA_18transform_iteratorI7is_evenIjESF_NSA_11use_defaultESK_EENS0_5tupleIJSF_SF_EEENSM_IJSG_SG_EEES6_PlJS6_EEE10hipError_tPvRmT3_T4_T5_T6_T7_T9_mT8_P12ihipStream_tbDpT10_ENKUlT_T0_E_clISt17integral_constantIbLb0EES18_IbLb1EEEEDaS14_S15_EUlS14_E_NS1_11comp_targetILNS1_3genE3ELNS1_11target_archE908ELNS1_3gpuE7ELNS1_3repE0EEENS1_30default_config_static_selectorELNS0_4arch9wavefront6targetE1EEEvT1_,"axG",@progbits,_ZN7rocprim17ROCPRIM_400000_NS6detail17trampoline_kernelINS0_14default_configENS1_25partition_config_selectorILNS1_17partition_subalgoE1EjNS0_10empty_typeEbEEZZNS1_14partition_implILS5_1ELb0ES3_jN6thrust23THRUST_200600_302600_NS6detail15normal_iteratorINSA_10device_ptrIjEEEEPS6_NSA_18transform_iteratorI7is_evenIjESF_NSA_11use_defaultESK_EENS0_5tupleIJSF_SF_EEENSM_IJSG_SG_EEES6_PlJS6_EEE10hipError_tPvRmT3_T4_T5_T6_T7_T9_mT8_P12ihipStream_tbDpT10_ENKUlT_T0_E_clISt17integral_constantIbLb0EES18_IbLb1EEEEDaS14_S15_EUlS14_E_NS1_11comp_targetILNS1_3genE3ELNS1_11target_archE908ELNS1_3gpuE7ELNS1_3repE0EEENS1_30default_config_static_selectorELNS0_4arch9wavefront6targetE1EEEvT1_,comdat
	.protected	_ZN7rocprim17ROCPRIM_400000_NS6detail17trampoline_kernelINS0_14default_configENS1_25partition_config_selectorILNS1_17partition_subalgoE1EjNS0_10empty_typeEbEEZZNS1_14partition_implILS5_1ELb0ES3_jN6thrust23THRUST_200600_302600_NS6detail15normal_iteratorINSA_10device_ptrIjEEEEPS6_NSA_18transform_iteratorI7is_evenIjESF_NSA_11use_defaultESK_EENS0_5tupleIJSF_SF_EEENSM_IJSG_SG_EEES6_PlJS6_EEE10hipError_tPvRmT3_T4_T5_T6_T7_T9_mT8_P12ihipStream_tbDpT10_ENKUlT_T0_E_clISt17integral_constantIbLb0EES18_IbLb1EEEEDaS14_S15_EUlS14_E_NS1_11comp_targetILNS1_3genE3ELNS1_11target_archE908ELNS1_3gpuE7ELNS1_3repE0EEENS1_30default_config_static_selectorELNS0_4arch9wavefront6targetE1EEEvT1_ ; -- Begin function _ZN7rocprim17ROCPRIM_400000_NS6detail17trampoline_kernelINS0_14default_configENS1_25partition_config_selectorILNS1_17partition_subalgoE1EjNS0_10empty_typeEbEEZZNS1_14partition_implILS5_1ELb0ES3_jN6thrust23THRUST_200600_302600_NS6detail15normal_iteratorINSA_10device_ptrIjEEEEPS6_NSA_18transform_iteratorI7is_evenIjESF_NSA_11use_defaultESK_EENS0_5tupleIJSF_SF_EEENSM_IJSG_SG_EEES6_PlJS6_EEE10hipError_tPvRmT3_T4_T5_T6_T7_T9_mT8_P12ihipStream_tbDpT10_ENKUlT_T0_E_clISt17integral_constantIbLb0EES18_IbLb1EEEEDaS14_S15_EUlS14_E_NS1_11comp_targetILNS1_3genE3ELNS1_11target_archE908ELNS1_3gpuE7ELNS1_3repE0EEENS1_30default_config_static_selectorELNS0_4arch9wavefront6targetE1EEEvT1_
	.globl	_ZN7rocprim17ROCPRIM_400000_NS6detail17trampoline_kernelINS0_14default_configENS1_25partition_config_selectorILNS1_17partition_subalgoE1EjNS0_10empty_typeEbEEZZNS1_14partition_implILS5_1ELb0ES3_jN6thrust23THRUST_200600_302600_NS6detail15normal_iteratorINSA_10device_ptrIjEEEEPS6_NSA_18transform_iteratorI7is_evenIjESF_NSA_11use_defaultESK_EENS0_5tupleIJSF_SF_EEENSM_IJSG_SG_EEES6_PlJS6_EEE10hipError_tPvRmT3_T4_T5_T6_T7_T9_mT8_P12ihipStream_tbDpT10_ENKUlT_T0_E_clISt17integral_constantIbLb0EES18_IbLb1EEEEDaS14_S15_EUlS14_E_NS1_11comp_targetILNS1_3genE3ELNS1_11target_archE908ELNS1_3gpuE7ELNS1_3repE0EEENS1_30default_config_static_selectorELNS0_4arch9wavefront6targetE1EEEvT1_
	.p2align	8
	.type	_ZN7rocprim17ROCPRIM_400000_NS6detail17trampoline_kernelINS0_14default_configENS1_25partition_config_selectorILNS1_17partition_subalgoE1EjNS0_10empty_typeEbEEZZNS1_14partition_implILS5_1ELb0ES3_jN6thrust23THRUST_200600_302600_NS6detail15normal_iteratorINSA_10device_ptrIjEEEEPS6_NSA_18transform_iteratorI7is_evenIjESF_NSA_11use_defaultESK_EENS0_5tupleIJSF_SF_EEENSM_IJSG_SG_EEES6_PlJS6_EEE10hipError_tPvRmT3_T4_T5_T6_T7_T9_mT8_P12ihipStream_tbDpT10_ENKUlT_T0_E_clISt17integral_constantIbLb0EES18_IbLb1EEEEDaS14_S15_EUlS14_E_NS1_11comp_targetILNS1_3genE3ELNS1_11target_archE908ELNS1_3gpuE7ELNS1_3repE0EEENS1_30default_config_static_selectorELNS0_4arch9wavefront6targetE1EEEvT1_,@function
_ZN7rocprim17ROCPRIM_400000_NS6detail17trampoline_kernelINS0_14default_configENS1_25partition_config_selectorILNS1_17partition_subalgoE1EjNS0_10empty_typeEbEEZZNS1_14partition_implILS5_1ELb0ES3_jN6thrust23THRUST_200600_302600_NS6detail15normal_iteratorINSA_10device_ptrIjEEEEPS6_NSA_18transform_iteratorI7is_evenIjESF_NSA_11use_defaultESK_EENS0_5tupleIJSF_SF_EEENSM_IJSG_SG_EEES6_PlJS6_EEE10hipError_tPvRmT3_T4_T5_T6_T7_T9_mT8_P12ihipStream_tbDpT10_ENKUlT_T0_E_clISt17integral_constantIbLb0EES18_IbLb1EEEEDaS14_S15_EUlS14_E_NS1_11comp_targetILNS1_3genE3ELNS1_11target_archE908ELNS1_3gpuE7ELNS1_3repE0EEENS1_30default_config_static_selectorELNS0_4arch9wavefront6targetE1EEEvT1_: ; @_ZN7rocprim17ROCPRIM_400000_NS6detail17trampoline_kernelINS0_14default_configENS1_25partition_config_selectorILNS1_17partition_subalgoE1EjNS0_10empty_typeEbEEZZNS1_14partition_implILS5_1ELb0ES3_jN6thrust23THRUST_200600_302600_NS6detail15normal_iteratorINSA_10device_ptrIjEEEEPS6_NSA_18transform_iteratorI7is_evenIjESF_NSA_11use_defaultESK_EENS0_5tupleIJSF_SF_EEENSM_IJSG_SG_EEES6_PlJS6_EEE10hipError_tPvRmT3_T4_T5_T6_T7_T9_mT8_P12ihipStream_tbDpT10_ENKUlT_T0_E_clISt17integral_constantIbLb0EES18_IbLb1EEEEDaS14_S15_EUlS14_E_NS1_11comp_targetILNS1_3genE3ELNS1_11target_archE908ELNS1_3gpuE7ELNS1_3repE0EEENS1_30default_config_static_selectorELNS0_4arch9wavefront6targetE1EEEvT1_
; %bb.0:
	.section	.rodata,"a",@progbits
	.p2align	6, 0x0
	.amdhsa_kernel _ZN7rocprim17ROCPRIM_400000_NS6detail17trampoline_kernelINS0_14default_configENS1_25partition_config_selectorILNS1_17partition_subalgoE1EjNS0_10empty_typeEbEEZZNS1_14partition_implILS5_1ELb0ES3_jN6thrust23THRUST_200600_302600_NS6detail15normal_iteratorINSA_10device_ptrIjEEEEPS6_NSA_18transform_iteratorI7is_evenIjESF_NSA_11use_defaultESK_EENS0_5tupleIJSF_SF_EEENSM_IJSG_SG_EEES6_PlJS6_EEE10hipError_tPvRmT3_T4_T5_T6_T7_T9_mT8_P12ihipStream_tbDpT10_ENKUlT_T0_E_clISt17integral_constantIbLb0EES18_IbLb1EEEEDaS14_S15_EUlS14_E_NS1_11comp_targetILNS1_3genE3ELNS1_11target_archE908ELNS1_3gpuE7ELNS1_3repE0EEENS1_30default_config_static_selectorELNS0_4arch9wavefront6targetE1EEEvT1_
		.amdhsa_group_segment_fixed_size 0
		.amdhsa_private_segment_fixed_size 0
		.amdhsa_kernarg_size 144
		.amdhsa_user_sgpr_count 2
		.amdhsa_user_sgpr_dispatch_ptr 0
		.amdhsa_user_sgpr_queue_ptr 0
		.amdhsa_user_sgpr_kernarg_segment_ptr 1
		.amdhsa_user_sgpr_dispatch_id 0
		.amdhsa_user_sgpr_kernarg_preload_length 0
		.amdhsa_user_sgpr_kernarg_preload_offset 0
		.amdhsa_user_sgpr_private_segment_size 0
		.amdhsa_uses_dynamic_stack 0
		.amdhsa_enable_private_segment 0
		.amdhsa_system_sgpr_workgroup_id_x 1
		.amdhsa_system_sgpr_workgroup_id_y 0
		.amdhsa_system_sgpr_workgroup_id_z 0
		.amdhsa_system_sgpr_workgroup_info 0
		.amdhsa_system_vgpr_workitem_id 0
		.amdhsa_next_free_vgpr 1
		.amdhsa_next_free_sgpr 0
		.amdhsa_accum_offset 4
		.amdhsa_reserve_vcc 0
		.amdhsa_float_round_mode_32 0
		.amdhsa_float_round_mode_16_64 0
		.amdhsa_float_denorm_mode_32 3
		.amdhsa_float_denorm_mode_16_64 3
		.amdhsa_dx10_clamp 1
		.amdhsa_ieee_mode 1
		.amdhsa_fp16_overflow 0
		.amdhsa_tg_split 0
		.amdhsa_exception_fp_ieee_invalid_op 0
		.amdhsa_exception_fp_denorm_src 0
		.amdhsa_exception_fp_ieee_div_zero 0
		.amdhsa_exception_fp_ieee_overflow 0
		.amdhsa_exception_fp_ieee_underflow 0
		.amdhsa_exception_fp_ieee_inexact 0
		.amdhsa_exception_int_div_zero 0
	.end_amdhsa_kernel
	.section	.text._ZN7rocprim17ROCPRIM_400000_NS6detail17trampoline_kernelINS0_14default_configENS1_25partition_config_selectorILNS1_17partition_subalgoE1EjNS0_10empty_typeEbEEZZNS1_14partition_implILS5_1ELb0ES3_jN6thrust23THRUST_200600_302600_NS6detail15normal_iteratorINSA_10device_ptrIjEEEEPS6_NSA_18transform_iteratorI7is_evenIjESF_NSA_11use_defaultESK_EENS0_5tupleIJSF_SF_EEENSM_IJSG_SG_EEES6_PlJS6_EEE10hipError_tPvRmT3_T4_T5_T6_T7_T9_mT8_P12ihipStream_tbDpT10_ENKUlT_T0_E_clISt17integral_constantIbLb0EES18_IbLb1EEEEDaS14_S15_EUlS14_E_NS1_11comp_targetILNS1_3genE3ELNS1_11target_archE908ELNS1_3gpuE7ELNS1_3repE0EEENS1_30default_config_static_selectorELNS0_4arch9wavefront6targetE1EEEvT1_,"axG",@progbits,_ZN7rocprim17ROCPRIM_400000_NS6detail17trampoline_kernelINS0_14default_configENS1_25partition_config_selectorILNS1_17partition_subalgoE1EjNS0_10empty_typeEbEEZZNS1_14partition_implILS5_1ELb0ES3_jN6thrust23THRUST_200600_302600_NS6detail15normal_iteratorINSA_10device_ptrIjEEEEPS6_NSA_18transform_iteratorI7is_evenIjESF_NSA_11use_defaultESK_EENS0_5tupleIJSF_SF_EEENSM_IJSG_SG_EEES6_PlJS6_EEE10hipError_tPvRmT3_T4_T5_T6_T7_T9_mT8_P12ihipStream_tbDpT10_ENKUlT_T0_E_clISt17integral_constantIbLb0EES18_IbLb1EEEEDaS14_S15_EUlS14_E_NS1_11comp_targetILNS1_3genE3ELNS1_11target_archE908ELNS1_3gpuE7ELNS1_3repE0EEENS1_30default_config_static_selectorELNS0_4arch9wavefront6targetE1EEEvT1_,comdat
.Lfunc_end2262:
	.size	_ZN7rocprim17ROCPRIM_400000_NS6detail17trampoline_kernelINS0_14default_configENS1_25partition_config_selectorILNS1_17partition_subalgoE1EjNS0_10empty_typeEbEEZZNS1_14partition_implILS5_1ELb0ES3_jN6thrust23THRUST_200600_302600_NS6detail15normal_iteratorINSA_10device_ptrIjEEEEPS6_NSA_18transform_iteratorI7is_evenIjESF_NSA_11use_defaultESK_EENS0_5tupleIJSF_SF_EEENSM_IJSG_SG_EEES6_PlJS6_EEE10hipError_tPvRmT3_T4_T5_T6_T7_T9_mT8_P12ihipStream_tbDpT10_ENKUlT_T0_E_clISt17integral_constantIbLb0EES18_IbLb1EEEEDaS14_S15_EUlS14_E_NS1_11comp_targetILNS1_3genE3ELNS1_11target_archE908ELNS1_3gpuE7ELNS1_3repE0EEENS1_30default_config_static_selectorELNS0_4arch9wavefront6targetE1EEEvT1_, .Lfunc_end2262-_ZN7rocprim17ROCPRIM_400000_NS6detail17trampoline_kernelINS0_14default_configENS1_25partition_config_selectorILNS1_17partition_subalgoE1EjNS0_10empty_typeEbEEZZNS1_14partition_implILS5_1ELb0ES3_jN6thrust23THRUST_200600_302600_NS6detail15normal_iteratorINSA_10device_ptrIjEEEEPS6_NSA_18transform_iteratorI7is_evenIjESF_NSA_11use_defaultESK_EENS0_5tupleIJSF_SF_EEENSM_IJSG_SG_EEES6_PlJS6_EEE10hipError_tPvRmT3_T4_T5_T6_T7_T9_mT8_P12ihipStream_tbDpT10_ENKUlT_T0_E_clISt17integral_constantIbLb0EES18_IbLb1EEEEDaS14_S15_EUlS14_E_NS1_11comp_targetILNS1_3genE3ELNS1_11target_archE908ELNS1_3gpuE7ELNS1_3repE0EEENS1_30default_config_static_selectorELNS0_4arch9wavefront6targetE1EEEvT1_
                                        ; -- End function
	.section	.AMDGPU.csdata,"",@progbits
; Kernel info:
; codeLenInByte = 0
; NumSgprs: 6
; NumVgprs: 0
; NumAgprs: 0
; TotalNumVgprs: 0
; ScratchSize: 0
; MemoryBound: 0
; FloatMode: 240
; IeeeMode: 1
; LDSByteSize: 0 bytes/workgroup (compile time only)
; SGPRBlocks: 0
; VGPRBlocks: 0
; NumSGPRsForWavesPerEU: 6
; NumVGPRsForWavesPerEU: 1
; AccumOffset: 4
; Occupancy: 8
; WaveLimiterHint : 0
; COMPUTE_PGM_RSRC2:SCRATCH_EN: 0
; COMPUTE_PGM_RSRC2:USER_SGPR: 2
; COMPUTE_PGM_RSRC2:TRAP_HANDLER: 0
; COMPUTE_PGM_RSRC2:TGID_X_EN: 1
; COMPUTE_PGM_RSRC2:TGID_Y_EN: 0
; COMPUTE_PGM_RSRC2:TGID_Z_EN: 0
; COMPUTE_PGM_RSRC2:TIDIG_COMP_CNT: 0
; COMPUTE_PGM_RSRC3_GFX90A:ACCUM_OFFSET: 0
; COMPUTE_PGM_RSRC3_GFX90A:TG_SPLIT: 0
	.section	.text._ZN7rocprim17ROCPRIM_400000_NS6detail17trampoline_kernelINS0_14default_configENS1_25partition_config_selectorILNS1_17partition_subalgoE1EjNS0_10empty_typeEbEEZZNS1_14partition_implILS5_1ELb0ES3_jN6thrust23THRUST_200600_302600_NS6detail15normal_iteratorINSA_10device_ptrIjEEEEPS6_NSA_18transform_iteratorI7is_evenIjESF_NSA_11use_defaultESK_EENS0_5tupleIJSF_SF_EEENSM_IJSG_SG_EEES6_PlJS6_EEE10hipError_tPvRmT3_T4_T5_T6_T7_T9_mT8_P12ihipStream_tbDpT10_ENKUlT_T0_E_clISt17integral_constantIbLb0EES18_IbLb1EEEEDaS14_S15_EUlS14_E_NS1_11comp_targetILNS1_3genE2ELNS1_11target_archE906ELNS1_3gpuE6ELNS1_3repE0EEENS1_30default_config_static_selectorELNS0_4arch9wavefront6targetE1EEEvT1_,"axG",@progbits,_ZN7rocprim17ROCPRIM_400000_NS6detail17trampoline_kernelINS0_14default_configENS1_25partition_config_selectorILNS1_17partition_subalgoE1EjNS0_10empty_typeEbEEZZNS1_14partition_implILS5_1ELb0ES3_jN6thrust23THRUST_200600_302600_NS6detail15normal_iteratorINSA_10device_ptrIjEEEEPS6_NSA_18transform_iteratorI7is_evenIjESF_NSA_11use_defaultESK_EENS0_5tupleIJSF_SF_EEENSM_IJSG_SG_EEES6_PlJS6_EEE10hipError_tPvRmT3_T4_T5_T6_T7_T9_mT8_P12ihipStream_tbDpT10_ENKUlT_T0_E_clISt17integral_constantIbLb0EES18_IbLb1EEEEDaS14_S15_EUlS14_E_NS1_11comp_targetILNS1_3genE2ELNS1_11target_archE906ELNS1_3gpuE6ELNS1_3repE0EEENS1_30default_config_static_selectorELNS0_4arch9wavefront6targetE1EEEvT1_,comdat
	.protected	_ZN7rocprim17ROCPRIM_400000_NS6detail17trampoline_kernelINS0_14default_configENS1_25partition_config_selectorILNS1_17partition_subalgoE1EjNS0_10empty_typeEbEEZZNS1_14partition_implILS5_1ELb0ES3_jN6thrust23THRUST_200600_302600_NS6detail15normal_iteratorINSA_10device_ptrIjEEEEPS6_NSA_18transform_iteratorI7is_evenIjESF_NSA_11use_defaultESK_EENS0_5tupleIJSF_SF_EEENSM_IJSG_SG_EEES6_PlJS6_EEE10hipError_tPvRmT3_T4_T5_T6_T7_T9_mT8_P12ihipStream_tbDpT10_ENKUlT_T0_E_clISt17integral_constantIbLb0EES18_IbLb1EEEEDaS14_S15_EUlS14_E_NS1_11comp_targetILNS1_3genE2ELNS1_11target_archE906ELNS1_3gpuE6ELNS1_3repE0EEENS1_30default_config_static_selectorELNS0_4arch9wavefront6targetE1EEEvT1_ ; -- Begin function _ZN7rocprim17ROCPRIM_400000_NS6detail17trampoline_kernelINS0_14default_configENS1_25partition_config_selectorILNS1_17partition_subalgoE1EjNS0_10empty_typeEbEEZZNS1_14partition_implILS5_1ELb0ES3_jN6thrust23THRUST_200600_302600_NS6detail15normal_iteratorINSA_10device_ptrIjEEEEPS6_NSA_18transform_iteratorI7is_evenIjESF_NSA_11use_defaultESK_EENS0_5tupleIJSF_SF_EEENSM_IJSG_SG_EEES6_PlJS6_EEE10hipError_tPvRmT3_T4_T5_T6_T7_T9_mT8_P12ihipStream_tbDpT10_ENKUlT_T0_E_clISt17integral_constantIbLb0EES18_IbLb1EEEEDaS14_S15_EUlS14_E_NS1_11comp_targetILNS1_3genE2ELNS1_11target_archE906ELNS1_3gpuE6ELNS1_3repE0EEENS1_30default_config_static_selectorELNS0_4arch9wavefront6targetE1EEEvT1_
	.globl	_ZN7rocprim17ROCPRIM_400000_NS6detail17trampoline_kernelINS0_14default_configENS1_25partition_config_selectorILNS1_17partition_subalgoE1EjNS0_10empty_typeEbEEZZNS1_14partition_implILS5_1ELb0ES3_jN6thrust23THRUST_200600_302600_NS6detail15normal_iteratorINSA_10device_ptrIjEEEEPS6_NSA_18transform_iteratorI7is_evenIjESF_NSA_11use_defaultESK_EENS0_5tupleIJSF_SF_EEENSM_IJSG_SG_EEES6_PlJS6_EEE10hipError_tPvRmT3_T4_T5_T6_T7_T9_mT8_P12ihipStream_tbDpT10_ENKUlT_T0_E_clISt17integral_constantIbLb0EES18_IbLb1EEEEDaS14_S15_EUlS14_E_NS1_11comp_targetILNS1_3genE2ELNS1_11target_archE906ELNS1_3gpuE6ELNS1_3repE0EEENS1_30default_config_static_selectorELNS0_4arch9wavefront6targetE1EEEvT1_
	.p2align	8
	.type	_ZN7rocprim17ROCPRIM_400000_NS6detail17trampoline_kernelINS0_14default_configENS1_25partition_config_selectorILNS1_17partition_subalgoE1EjNS0_10empty_typeEbEEZZNS1_14partition_implILS5_1ELb0ES3_jN6thrust23THRUST_200600_302600_NS6detail15normal_iteratorINSA_10device_ptrIjEEEEPS6_NSA_18transform_iteratorI7is_evenIjESF_NSA_11use_defaultESK_EENS0_5tupleIJSF_SF_EEENSM_IJSG_SG_EEES6_PlJS6_EEE10hipError_tPvRmT3_T4_T5_T6_T7_T9_mT8_P12ihipStream_tbDpT10_ENKUlT_T0_E_clISt17integral_constantIbLb0EES18_IbLb1EEEEDaS14_S15_EUlS14_E_NS1_11comp_targetILNS1_3genE2ELNS1_11target_archE906ELNS1_3gpuE6ELNS1_3repE0EEENS1_30default_config_static_selectorELNS0_4arch9wavefront6targetE1EEEvT1_,@function
_ZN7rocprim17ROCPRIM_400000_NS6detail17trampoline_kernelINS0_14default_configENS1_25partition_config_selectorILNS1_17partition_subalgoE1EjNS0_10empty_typeEbEEZZNS1_14partition_implILS5_1ELb0ES3_jN6thrust23THRUST_200600_302600_NS6detail15normal_iteratorINSA_10device_ptrIjEEEEPS6_NSA_18transform_iteratorI7is_evenIjESF_NSA_11use_defaultESK_EENS0_5tupleIJSF_SF_EEENSM_IJSG_SG_EEES6_PlJS6_EEE10hipError_tPvRmT3_T4_T5_T6_T7_T9_mT8_P12ihipStream_tbDpT10_ENKUlT_T0_E_clISt17integral_constantIbLb0EES18_IbLb1EEEEDaS14_S15_EUlS14_E_NS1_11comp_targetILNS1_3genE2ELNS1_11target_archE906ELNS1_3gpuE6ELNS1_3repE0EEENS1_30default_config_static_selectorELNS0_4arch9wavefront6targetE1EEEvT1_: ; @_ZN7rocprim17ROCPRIM_400000_NS6detail17trampoline_kernelINS0_14default_configENS1_25partition_config_selectorILNS1_17partition_subalgoE1EjNS0_10empty_typeEbEEZZNS1_14partition_implILS5_1ELb0ES3_jN6thrust23THRUST_200600_302600_NS6detail15normal_iteratorINSA_10device_ptrIjEEEEPS6_NSA_18transform_iteratorI7is_evenIjESF_NSA_11use_defaultESK_EENS0_5tupleIJSF_SF_EEENSM_IJSG_SG_EEES6_PlJS6_EEE10hipError_tPvRmT3_T4_T5_T6_T7_T9_mT8_P12ihipStream_tbDpT10_ENKUlT_T0_E_clISt17integral_constantIbLb0EES18_IbLb1EEEEDaS14_S15_EUlS14_E_NS1_11comp_targetILNS1_3genE2ELNS1_11target_archE906ELNS1_3gpuE6ELNS1_3repE0EEENS1_30default_config_static_selectorELNS0_4arch9wavefront6targetE1EEEvT1_
; %bb.0:
	.section	.rodata,"a",@progbits
	.p2align	6, 0x0
	.amdhsa_kernel _ZN7rocprim17ROCPRIM_400000_NS6detail17trampoline_kernelINS0_14default_configENS1_25partition_config_selectorILNS1_17partition_subalgoE1EjNS0_10empty_typeEbEEZZNS1_14partition_implILS5_1ELb0ES3_jN6thrust23THRUST_200600_302600_NS6detail15normal_iteratorINSA_10device_ptrIjEEEEPS6_NSA_18transform_iteratorI7is_evenIjESF_NSA_11use_defaultESK_EENS0_5tupleIJSF_SF_EEENSM_IJSG_SG_EEES6_PlJS6_EEE10hipError_tPvRmT3_T4_T5_T6_T7_T9_mT8_P12ihipStream_tbDpT10_ENKUlT_T0_E_clISt17integral_constantIbLb0EES18_IbLb1EEEEDaS14_S15_EUlS14_E_NS1_11comp_targetILNS1_3genE2ELNS1_11target_archE906ELNS1_3gpuE6ELNS1_3repE0EEENS1_30default_config_static_selectorELNS0_4arch9wavefront6targetE1EEEvT1_
		.amdhsa_group_segment_fixed_size 0
		.amdhsa_private_segment_fixed_size 0
		.amdhsa_kernarg_size 144
		.amdhsa_user_sgpr_count 2
		.amdhsa_user_sgpr_dispatch_ptr 0
		.amdhsa_user_sgpr_queue_ptr 0
		.amdhsa_user_sgpr_kernarg_segment_ptr 1
		.amdhsa_user_sgpr_dispatch_id 0
		.amdhsa_user_sgpr_kernarg_preload_length 0
		.amdhsa_user_sgpr_kernarg_preload_offset 0
		.amdhsa_user_sgpr_private_segment_size 0
		.amdhsa_uses_dynamic_stack 0
		.amdhsa_enable_private_segment 0
		.amdhsa_system_sgpr_workgroup_id_x 1
		.amdhsa_system_sgpr_workgroup_id_y 0
		.amdhsa_system_sgpr_workgroup_id_z 0
		.amdhsa_system_sgpr_workgroup_info 0
		.amdhsa_system_vgpr_workitem_id 0
		.amdhsa_next_free_vgpr 1
		.amdhsa_next_free_sgpr 0
		.amdhsa_accum_offset 4
		.amdhsa_reserve_vcc 0
		.amdhsa_float_round_mode_32 0
		.amdhsa_float_round_mode_16_64 0
		.amdhsa_float_denorm_mode_32 3
		.amdhsa_float_denorm_mode_16_64 3
		.amdhsa_dx10_clamp 1
		.amdhsa_ieee_mode 1
		.amdhsa_fp16_overflow 0
		.amdhsa_tg_split 0
		.amdhsa_exception_fp_ieee_invalid_op 0
		.amdhsa_exception_fp_denorm_src 0
		.amdhsa_exception_fp_ieee_div_zero 0
		.amdhsa_exception_fp_ieee_overflow 0
		.amdhsa_exception_fp_ieee_underflow 0
		.amdhsa_exception_fp_ieee_inexact 0
		.amdhsa_exception_int_div_zero 0
	.end_amdhsa_kernel
	.section	.text._ZN7rocprim17ROCPRIM_400000_NS6detail17trampoline_kernelINS0_14default_configENS1_25partition_config_selectorILNS1_17partition_subalgoE1EjNS0_10empty_typeEbEEZZNS1_14partition_implILS5_1ELb0ES3_jN6thrust23THRUST_200600_302600_NS6detail15normal_iteratorINSA_10device_ptrIjEEEEPS6_NSA_18transform_iteratorI7is_evenIjESF_NSA_11use_defaultESK_EENS0_5tupleIJSF_SF_EEENSM_IJSG_SG_EEES6_PlJS6_EEE10hipError_tPvRmT3_T4_T5_T6_T7_T9_mT8_P12ihipStream_tbDpT10_ENKUlT_T0_E_clISt17integral_constantIbLb0EES18_IbLb1EEEEDaS14_S15_EUlS14_E_NS1_11comp_targetILNS1_3genE2ELNS1_11target_archE906ELNS1_3gpuE6ELNS1_3repE0EEENS1_30default_config_static_selectorELNS0_4arch9wavefront6targetE1EEEvT1_,"axG",@progbits,_ZN7rocprim17ROCPRIM_400000_NS6detail17trampoline_kernelINS0_14default_configENS1_25partition_config_selectorILNS1_17partition_subalgoE1EjNS0_10empty_typeEbEEZZNS1_14partition_implILS5_1ELb0ES3_jN6thrust23THRUST_200600_302600_NS6detail15normal_iteratorINSA_10device_ptrIjEEEEPS6_NSA_18transform_iteratorI7is_evenIjESF_NSA_11use_defaultESK_EENS0_5tupleIJSF_SF_EEENSM_IJSG_SG_EEES6_PlJS6_EEE10hipError_tPvRmT3_T4_T5_T6_T7_T9_mT8_P12ihipStream_tbDpT10_ENKUlT_T0_E_clISt17integral_constantIbLb0EES18_IbLb1EEEEDaS14_S15_EUlS14_E_NS1_11comp_targetILNS1_3genE2ELNS1_11target_archE906ELNS1_3gpuE6ELNS1_3repE0EEENS1_30default_config_static_selectorELNS0_4arch9wavefront6targetE1EEEvT1_,comdat
.Lfunc_end2263:
	.size	_ZN7rocprim17ROCPRIM_400000_NS6detail17trampoline_kernelINS0_14default_configENS1_25partition_config_selectorILNS1_17partition_subalgoE1EjNS0_10empty_typeEbEEZZNS1_14partition_implILS5_1ELb0ES3_jN6thrust23THRUST_200600_302600_NS6detail15normal_iteratorINSA_10device_ptrIjEEEEPS6_NSA_18transform_iteratorI7is_evenIjESF_NSA_11use_defaultESK_EENS0_5tupleIJSF_SF_EEENSM_IJSG_SG_EEES6_PlJS6_EEE10hipError_tPvRmT3_T4_T5_T6_T7_T9_mT8_P12ihipStream_tbDpT10_ENKUlT_T0_E_clISt17integral_constantIbLb0EES18_IbLb1EEEEDaS14_S15_EUlS14_E_NS1_11comp_targetILNS1_3genE2ELNS1_11target_archE906ELNS1_3gpuE6ELNS1_3repE0EEENS1_30default_config_static_selectorELNS0_4arch9wavefront6targetE1EEEvT1_, .Lfunc_end2263-_ZN7rocprim17ROCPRIM_400000_NS6detail17trampoline_kernelINS0_14default_configENS1_25partition_config_selectorILNS1_17partition_subalgoE1EjNS0_10empty_typeEbEEZZNS1_14partition_implILS5_1ELb0ES3_jN6thrust23THRUST_200600_302600_NS6detail15normal_iteratorINSA_10device_ptrIjEEEEPS6_NSA_18transform_iteratorI7is_evenIjESF_NSA_11use_defaultESK_EENS0_5tupleIJSF_SF_EEENSM_IJSG_SG_EEES6_PlJS6_EEE10hipError_tPvRmT3_T4_T5_T6_T7_T9_mT8_P12ihipStream_tbDpT10_ENKUlT_T0_E_clISt17integral_constantIbLb0EES18_IbLb1EEEEDaS14_S15_EUlS14_E_NS1_11comp_targetILNS1_3genE2ELNS1_11target_archE906ELNS1_3gpuE6ELNS1_3repE0EEENS1_30default_config_static_selectorELNS0_4arch9wavefront6targetE1EEEvT1_
                                        ; -- End function
	.section	.AMDGPU.csdata,"",@progbits
; Kernel info:
; codeLenInByte = 0
; NumSgprs: 6
; NumVgprs: 0
; NumAgprs: 0
; TotalNumVgprs: 0
; ScratchSize: 0
; MemoryBound: 0
; FloatMode: 240
; IeeeMode: 1
; LDSByteSize: 0 bytes/workgroup (compile time only)
; SGPRBlocks: 0
; VGPRBlocks: 0
; NumSGPRsForWavesPerEU: 6
; NumVGPRsForWavesPerEU: 1
; AccumOffset: 4
; Occupancy: 8
; WaveLimiterHint : 0
; COMPUTE_PGM_RSRC2:SCRATCH_EN: 0
; COMPUTE_PGM_RSRC2:USER_SGPR: 2
; COMPUTE_PGM_RSRC2:TRAP_HANDLER: 0
; COMPUTE_PGM_RSRC2:TGID_X_EN: 1
; COMPUTE_PGM_RSRC2:TGID_Y_EN: 0
; COMPUTE_PGM_RSRC2:TGID_Z_EN: 0
; COMPUTE_PGM_RSRC2:TIDIG_COMP_CNT: 0
; COMPUTE_PGM_RSRC3_GFX90A:ACCUM_OFFSET: 0
; COMPUTE_PGM_RSRC3_GFX90A:TG_SPLIT: 0
	.section	.text._ZN7rocprim17ROCPRIM_400000_NS6detail17trampoline_kernelINS0_14default_configENS1_25partition_config_selectorILNS1_17partition_subalgoE1EjNS0_10empty_typeEbEEZZNS1_14partition_implILS5_1ELb0ES3_jN6thrust23THRUST_200600_302600_NS6detail15normal_iteratorINSA_10device_ptrIjEEEEPS6_NSA_18transform_iteratorI7is_evenIjESF_NSA_11use_defaultESK_EENS0_5tupleIJSF_SF_EEENSM_IJSG_SG_EEES6_PlJS6_EEE10hipError_tPvRmT3_T4_T5_T6_T7_T9_mT8_P12ihipStream_tbDpT10_ENKUlT_T0_E_clISt17integral_constantIbLb0EES18_IbLb1EEEEDaS14_S15_EUlS14_E_NS1_11comp_targetILNS1_3genE10ELNS1_11target_archE1200ELNS1_3gpuE4ELNS1_3repE0EEENS1_30default_config_static_selectorELNS0_4arch9wavefront6targetE1EEEvT1_,"axG",@progbits,_ZN7rocprim17ROCPRIM_400000_NS6detail17trampoline_kernelINS0_14default_configENS1_25partition_config_selectorILNS1_17partition_subalgoE1EjNS0_10empty_typeEbEEZZNS1_14partition_implILS5_1ELb0ES3_jN6thrust23THRUST_200600_302600_NS6detail15normal_iteratorINSA_10device_ptrIjEEEEPS6_NSA_18transform_iteratorI7is_evenIjESF_NSA_11use_defaultESK_EENS0_5tupleIJSF_SF_EEENSM_IJSG_SG_EEES6_PlJS6_EEE10hipError_tPvRmT3_T4_T5_T6_T7_T9_mT8_P12ihipStream_tbDpT10_ENKUlT_T0_E_clISt17integral_constantIbLb0EES18_IbLb1EEEEDaS14_S15_EUlS14_E_NS1_11comp_targetILNS1_3genE10ELNS1_11target_archE1200ELNS1_3gpuE4ELNS1_3repE0EEENS1_30default_config_static_selectorELNS0_4arch9wavefront6targetE1EEEvT1_,comdat
	.protected	_ZN7rocprim17ROCPRIM_400000_NS6detail17trampoline_kernelINS0_14default_configENS1_25partition_config_selectorILNS1_17partition_subalgoE1EjNS0_10empty_typeEbEEZZNS1_14partition_implILS5_1ELb0ES3_jN6thrust23THRUST_200600_302600_NS6detail15normal_iteratorINSA_10device_ptrIjEEEEPS6_NSA_18transform_iteratorI7is_evenIjESF_NSA_11use_defaultESK_EENS0_5tupleIJSF_SF_EEENSM_IJSG_SG_EEES6_PlJS6_EEE10hipError_tPvRmT3_T4_T5_T6_T7_T9_mT8_P12ihipStream_tbDpT10_ENKUlT_T0_E_clISt17integral_constantIbLb0EES18_IbLb1EEEEDaS14_S15_EUlS14_E_NS1_11comp_targetILNS1_3genE10ELNS1_11target_archE1200ELNS1_3gpuE4ELNS1_3repE0EEENS1_30default_config_static_selectorELNS0_4arch9wavefront6targetE1EEEvT1_ ; -- Begin function _ZN7rocprim17ROCPRIM_400000_NS6detail17trampoline_kernelINS0_14default_configENS1_25partition_config_selectorILNS1_17partition_subalgoE1EjNS0_10empty_typeEbEEZZNS1_14partition_implILS5_1ELb0ES3_jN6thrust23THRUST_200600_302600_NS6detail15normal_iteratorINSA_10device_ptrIjEEEEPS6_NSA_18transform_iteratorI7is_evenIjESF_NSA_11use_defaultESK_EENS0_5tupleIJSF_SF_EEENSM_IJSG_SG_EEES6_PlJS6_EEE10hipError_tPvRmT3_T4_T5_T6_T7_T9_mT8_P12ihipStream_tbDpT10_ENKUlT_T0_E_clISt17integral_constantIbLb0EES18_IbLb1EEEEDaS14_S15_EUlS14_E_NS1_11comp_targetILNS1_3genE10ELNS1_11target_archE1200ELNS1_3gpuE4ELNS1_3repE0EEENS1_30default_config_static_selectorELNS0_4arch9wavefront6targetE1EEEvT1_
	.globl	_ZN7rocprim17ROCPRIM_400000_NS6detail17trampoline_kernelINS0_14default_configENS1_25partition_config_selectorILNS1_17partition_subalgoE1EjNS0_10empty_typeEbEEZZNS1_14partition_implILS5_1ELb0ES3_jN6thrust23THRUST_200600_302600_NS6detail15normal_iteratorINSA_10device_ptrIjEEEEPS6_NSA_18transform_iteratorI7is_evenIjESF_NSA_11use_defaultESK_EENS0_5tupleIJSF_SF_EEENSM_IJSG_SG_EEES6_PlJS6_EEE10hipError_tPvRmT3_T4_T5_T6_T7_T9_mT8_P12ihipStream_tbDpT10_ENKUlT_T0_E_clISt17integral_constantIbLb0EES18_IbLb1EEEEDaS14_S15_EUlS14_E_NS1_11comp_targetILNS1_3genE10ELNS1_11target_archE1200ELNS1_3gpuE4ELNS1_3repE0EEENS1_30default_config_static_selectorELNS0_4arch9wavefront6targetE1EEEvT1_
	.p2align	8
	.type	_ZN7rocprim17ROCPRIM_400000_NS6detail17trampoline_kernelINS0_14default_configENS1_25partition_config_selectorILNS1_17partition_subalgoE1EjNS0_10empty_typeEbEEZZNS1_14partition_implILS5_1ELb0ES3_jN6thrust23THRUST_200600_302600_NS6detail15normal_iteratorINSA_10device_ptrIjEEEEPS6_NSA_18transform_iteratorI7is_evenIjESF_NSA_11use_defaultESK_EENS0_5tupleIJSF_SF_EEENSM_IJSG_SG_EEES6_PlJS6_EEE10hipError_tPvRmT3_T4_T5_T6_T7_T9_mT8_P12ihipStream_tbDpT10_ENKUlT_T0_E_clISt17integral_constantIbLb0EES18_IbLb1EEEEDaS14_S15_EUlS14_E_NS1_11comp_targetILNS1_3genE10ELNS1_11target_archE1200ELNS1_3gpuE4ELNS1_3repE0EEENS1_30default_config_static_selectorELNS0_4arch9wavefront6targetE1EEEvT1_,@function
_ZN7rocprim17ROCPRIM_400000_NS6detail17trampoline_kernelINS0_14default_configENS1_25partition_config_selectorILNS1_17partition_subalgoE1EjNS0_10empty_typeEbEEZZNS1_14partition_implILS5_1ELb0ES3_jN6thrust23THRUST_200600_302600_NS6detail15normal_iteratorINSA_10device_ptrIjEEEEPS6_NSA_18transform_iteratorI7is_evenIjESF_NSA_11use_defaultESK_EENS0_5tupleIJSF_SF_EEENSM_IJSG_SG_EEES6_PlJS6_EEE10hipError_tPvRmT3_T4_T5_T6_T7_T9_mT8_P12ihipStream_tbDpT10_ENKUlT_T0_E_clISt17integral_constantIbLb0EES18_IbLb1EEEEDaS14_S15_EUlS14_E_NS1_11comp_targetILNS1_3genE10ELNS1_11target_archE1200ELNS1_3gpuE4ELNS1_3repE0EEENS1_30default_config_static_selectorELNS0_4arch9wavefront6targetE1EEEvT1_: ; @_ZN7rocprim17ROCPRIM_400000_NS6detail17trampoline_kernelINS0_14default_configENS1_25partition_config_selectorILNS1_17partition_subalgoE1EjNS0_10empty_typeEbEEZZNS1_14partition_implILS5_1ELb0ES3_jN6thrust23THRUST_200600_302600_NS6detail15normal_iteratorINSA_10device_ptrIjEEEEPS6_NSA_18transform_iteratorI7is_evenIjESF_NSA_11use_defaultESK_EENS0_5tupleIJSF_SF_EEENSM_IJSG_SG_EEES6_PlJS6_EEE10hipError_tPvRmT3_T4_T5_T6_T7_T9_mT8_P12ihipStream_tbDpT10_ENKUlT_T0_E_clISt17integral_constantIbLb0EES18_IbLb1EEEEDaS14_S15_EUlS14_E_NS1_11comp_targetILNS1_3genE10ELNS1_11target_archE1200ELNS1_3gpuE4ELNS1_3repE0EEENS1_30default_config_static_selectorELNS0_4arch9wavefront6targetE1EEEvT1_
; %bb.0:
	.section	.rodata,"a",@progbits
	.p2align	6, 0x0
	.amdhsa_kernel _ZN7rocprim17ROCPRIM_400000_NS6detail17trampoline_kernelINS0_14default_configENS1_25partition_config_selectorILNS1_17partition_subalgoE1EjNS0_10empty_typeEbEEZZNS1_14partition_implILS5_1ELb0ES3_jN6thrust23THRUST_200600_302600_NS6detail15normal_iteratorINSA_10device_ptrIjEEEEPS6_NSA_18transform_iteratorI7is_evenIjESF_NSA_11use_defaultESK_EENS0_5tupleIJSF_SF_EEENSM_IJSG_SG_EEES6_PlJS6_EEE10hipError_tPvRmT3_T4_T5_T6_T7_T9_mT8_P12ihipStream_tbDpT10_ENKUlT_T0_E_clISt17integral_constantIbLb0EES18_IbLb1EEEEDaS14_S15_EUlS14_E_NS1_11comp_targetILNS1_3genE10ELNS1_11target_archE1200ELNS1_3gpuE4ELNS1_3repE0EEENS1_30default_config_static_selectorELNS0_4arch9wavefront6targetE1EEEvT1_
		.amdhsa_group_segment_fixed_size 0
		.amdhsa_private_segment_fixed_size 0
		.amdhsa_kernarg_size 144
		.amdhsa_user_sgpr_count 2
		.amdhsa_user_sgpr_dispatch_ptr 0
		.amdhsa_user_sgpr_queue_ptr 0
		.amdhsa_user_sgpr_kernarg_segment_ptr 1
		.amdhsa_user_sgpr_dispatch_id 0
		.amdhsa_user_sgpr_kernarg_preload_length 0
		.amdhsa_user_sgpr_kernarg_preload_offset 0
		.amdhsa_user_sgpr_private_segment_size 0
		.amdhsa_uses_dynamic_stack 0
		.amdhsa_enable_private_segment 0
		.amdhsa_system_sgpr_workgroup_id_x 1
		.amdhsa_system_sgpr_workgroup_id_y 0
		.amdhsa_system_sgpr_workgroup_id_z 0
		.amdhsa_system_sgpr_workgroup_info 0
		.amdhsa_system_vgpr_workitem_id 0
		.amdhsa_next_free_vgpr 1
		.amdhsa_next_free_sgpr 0
		.amdhsa_accum_offset 4
		.amdhsa_reserve_vcc 0
		.amdhsa_float_round_mode_32 0
		.amdhsa_float_round_mode_16_64 0
		.amdhsa_float_denorm_mode_32 3
		.amdhsa_float_denorm_mode_16_64 3
		.amdhsa_dx10_clamp 1
		.amdhsa_ieee_mode 1
		.amdhsa_fp16_overflow 0
		.amdhsa_tg_split 0
		.amdhsa_exception_fp_ieee_invalid_op 0
		.amdhsa_exception_fp_denorm_src 0
		.amdhsa_exception_fp_ieee_div_zero 0
		.amdhsa_exception_fp_ieee_overflow 0
		.amdhsa_exception_fp_ieee_underflow 0
		.amdhsa_exception_fp_ieee_inexact 0
		.amdhsa_exception_int_div_zero 0
	.end_amdhsa_kernel
	.section	.text._ZN7rocprim17ROCPRIM_400000_NS6detail17trampoline_kernelINS0_14default_configENS1_25partition_config_selectorILNS1_17partition_subalgoE1EjNS0_10empty_typeEbEEZZNS1_14partition_implILS5_1ELb0ES3_jN6thrust23THRUST_200600_302600_NS6detail15normal_iteratorINSA_10device_ptrIjEEEEPS6_NSA_18transform_iteratorI7is_evenIjESF_NSA_11use_defaultESK_EENS0_5tupleIJSF_SF_EEENSM_IJSG_SG_EEES6_PlJS6_EEE10hipError_tPvRmT3_T4_T5_T6_T7_T9_mT8_P12ihipStream_tbDpT10_ENKUlT_T0_E_clISt17integral_constantIbLb0EES18_IbLb1EEEEDaS14_S15_EUlS14_E_NS1_11comp_targetILNS1_3genE10ELNS1_11target_archE1200ELNS1_3gpuE4ELNS1_3repE0EEENS1_30default_config_static_selectorELNS0_4arch9wavefront6targetE1EEEvT1_,"axG",@progbits,_ZN7rocprim17ROCPRIM_400000_NS6detail17trampoline_kernelINS0_14default_configENS1_25partition_config_selectorILNS1_17partition_subalgoE1EjNS0_10empty_typeEbEEZZNS1_14partition_implILS5_1ELb0ES3_jN6thrust23THRUST_200600_302600_NS6detail15normal_iteratorINSA_10device_ptrIjEEEEPS6_NSA_18transform_iteratorI7is_evenIjESF_NSA_11use_defaultESK_EENS0_5tupleIJSF_SF_EEENSM_IJSG_SG_EEES6_PlJS6_EEE10hipError_tPvRmT3_T4_T5_T6_T7_T9_mT8_P12ihipStream_tbDpT10_ENKUlT_T0_E_clISt17integral_constantIbLb0EES18_IbLb1EEEEDaS14_S15_EUlS14_E_NS1_11comp_targetILNS1_3genE10ELNS1_11target_archE1200ELNS1_3gpuE4ELNS1_3repE0EEENS1_30default_config_static_selectorELNS0_4arch9wavefront6targetE1EEEvT1_,comdat
.Lfunc_end2264:
	.size	_ZN7rocprim17ROCPRIM_400000_NS6detail17trampoline_kernelINS0_14default_configENS1_25partition_config_selectorILNS1_17partition_subalgoE1EjNS0_10empty_typeEbEEZZNS1_14partition_implILS5_1ELb0ES3_jN6thrust23THRUST_200600_302600_NS6detail15normal_iteratorINSA_10device_ptrIjEEEEPS6_NSA_18transform_iteratorI7is_evenIjESF_NSA_11use_defaultESK_EENS0_5tupleIJSF_SF_EEENSM_IJSG_SG_EEES6_PlJS6_EEE10hipError_tPvRmT3_T4_T5_T6_T7_T9_mT8_P12ihipStream_tbDpT10_ENKUlT_T0_E_clISt17integral_constantIbLb0EES18_IbLb1EEEEDaS14_S15_EUlS14_E_NS1_11comp_targetILNS1_3genE10ELNS1_11target_archE1200ELNS1_3gpuE4ELNS1_3repE0EEENS1_30default_config_static_selectorELNS0_4arch9wavefront6targetE1EEEvT1_, .Lfunc_end2264-_ZN7rocprim17ROCPRIM_400000_NS6detail17trampoline_kernelINS0_14default_configENS1_25partition_config_selectorILNS1_17partition_subalgoE1EjNS0_10empty_typeEbEEZZNS1_14partition_implILS5_1ELb0ES3_jN6thrust23THRUST_200600_302600_NS6detail15normal_iteratorINSA_10device_ptrIjEEEEPS6_NSA_18transform_iteratorI7is_evenIjESF_NSA_11use_defaultESK_EENS0_5tupleIJSF_SF_EEENSM_IJSG_SG_EEES6_PlJS6_EEE10hipError_tPvRmT3_T4_T5_T6_T7_T9_mT8_P12ihipStream_tbDpT10_ENKUlT_T0_E_clISt17integral_constantIbLb0EES18_IbLb1EEEEDaS14_S15_EUlS14_E_NS1_11comp_targetILNS1_3genE10ELNS1_11target_archE1200ELNS1_3gpuE4ELNS1_3repE0EEENS1_30default_config_static_selectorELNS0_4arch9wavefront6targetE1EEEvT1_
                                        ; -- End function
	.section	.AMDGPU.csdata,"",@progbits
; Kernel info:
; codeLenInByte = 0
; NumSgprs: 6
; NumVgprs: 0
; NumAgprs: 0
; TotalNumVgprs: 0
; ScratchSize: 0
; MemoryBound: 0
; FloatMode: 240
; IeeeMode: 1
; LDSByteSize: 0 bytes/workgroup (compile time only)
; SGPRBlocks: 0
; VGPRBlocks: 0
; NumSGPRsForWavesPerEU: 6
; NumVGPRsForWavesPerEU: 1
; AccumOffset: 4
; Occupancy: 8
; WaveLimiterHint : 0
; COMPUTE_PGM_RSRC2:SCRATCH_EN: 0
; COMPUTE_PGM_RSRC2:USER_SGPR: 2
; COMPUTE_PGM_RSRC2:TRAP_HANDLER: 0
; COMPUTE_PGM_RSRC2:TGID_X_EN: 1
; COMPUTE_PGM_RSRC2:TGID_Y_EN: 0
; COMPUTE_PGM_RSRC2:TGID_Z_EN: 0
; COMPUTE_PGM_RSRC2:TIDIG_COMP_CNT: 0
; COMPUTE_PGM_RSRC3_GFX90A:ACCUM_OFFSET: 0
; COMPUTE_PGM_RSRC3_GFX90A:TG_SPLIT: 0
	.section	.text._ZN7rocprim17ROCPRIM_400000_NS6detail17trampoline_kernelINS0_14default_configENS1_25partition_config_selectorILNS1_17partition_subalgoE1EjNS0_10empty_typeEbEEZZNS1_14partition_implILS5_1ELb0ES3_jN6thrust23THRUST_200600_302600_NS6detail15normal_iteratorINSA_10device_ptrIjEEEEPS6_NSA_18transform_iteratorI7is_evenIjESF_NSA_11use_defaultESK_EENS0_5tupleIJSF_SF_EEENSM_IJSG_SG_EEES6_PlJS6_EEE10hipError_tPvRmT3_T4_T5_T6_T7_T9_mT8_P12ihipStream_tbDpT10_ENKUlT_T0_E_clISt17integral_constantIbLb0EES18_IbLb1EEEEDaS14_S15_EUlS14_E_NS1_11comp_targetILNS1_3genE9ELNS1_11target_archE1100ELNS1_3gpuE3ELNS1_3repE0EEENS1_30default_config_static_selectorELNS0_4arch9wavefront6targetE1EEEvT1_,"axG",@progbits,_ZN7rocprim17ROCPRIM_400000_NS6detail17trampoline_kernelINS0_14default_configENS1_25partition_config_selectorILNS1_17partition_subalgoE1EjNS0_10empty_typeEbEEZZNS1_14partition_implILS5_1ELb0ES3_jN6thrust23THRUST_200600_302600_NS6detail15normal_iteratorINSA_10device_ptrIjEEEEPS6_NSA_18transform_iteratorI7is_evenIjESF_NSA_11use_defaultESK_EENS0_5tupleIJSF_SF_EEENSM_IJSG_SG_EEES6_PlJS6_EEE10hipError_tPvRmT3_T4_T5_T6_T7_T9_mT8_P12ihipStream_tbDpT10_ENKUlT_T0_E_clISt17integral_constantIbLb0EES18_IbLb1EEEEDaS14_S15_EUlS14_E_NS1_11comp_targetILNS1_3genE9ELNS1_11target_archE1100ELNS1_3gpuE3ELNS1_3repE0EEENS1_30default_config_static_selectorELNS0_4arch9wavefront6targetE1EEEvT1_,comdat
	.protected	_ZN7rocprim17ROCPRIM_400000_NS6detail17trampoline_kernelINS0_14default_configENS1_25partition_config_selectorILNS1_17partition_subalgoE1EjNS0_10empty_typeEbEEZZNS1_14partition_implILS5_1ELb0ES3_jN6thrust23THRUST_200600_302600_NS6detail15normal_iteratorINSA_10device_ptrIjEEEEPS6_NSA_18transform_iteratorI7is_evenIjESF_NSA_11use_defaultESK_EENS0_5tupleIJSF_SF_EEENSM_IJSG_SG_EEES6_PlJS6_EEE10hipError_tPvRmT3_T4_T5_T6_T7_T9_mT8_P12ihipStream_tbDpT10_ENKUlT_T0_E_clISt17integral_constantIbLb0EES18_IbLb1EEEEDaS14_S15_EUlS14_E_NS1_11comp_targetILNS1_3genE9ELNS1_11target_archE1100ELNS1_3gpuE3ELNS1_3repE0EEENS1_30default_config_static_selectorELNS0_4arch9wavefront6targetE1EEEvT1_ ; -- Begin function _ZN7rocprim17ROCPRIM_400000_NS6detail17trampoline_kernelINS0_14default_configENS1_25partition_config_selectorILNS1_17partition_subalgoE1EjNS0_10empty_typeEbEEZZNS1_14partition_implILS5_1ELb0ES3_jN6thrust23THRUST_200600_302600_NS6detail15normal_iteratorINSA_10device_ptrIjEEEEPS6_NSA_18transform_iteratorI7is_evenIjESF_NSA_11use_defaultESK_EENS0_5tupleIJSF_SF_EEENSM_IJSG_SG_EEES6_PlJS6_EEE10hipError_tPvRmT3_T4_T5_T6_T7_T9_mT8_P12ihipStream_tbDpT10_ENKUlT_T0_E_clISt17integral_constantIbLb0EES18_IbLb1EEEEDaS14_S15_EUlS14_E_NS1_11comp_targetILNS1_3genE9ELNS1_11target_archE1100ELNS1_3gpuE3ELNS1_3repE0EEENS1_30default_config_static_selectorELNS0_4arch9wavefront6targetE1EEEvT1_
	.globl	_ZN7rocprim17ROCPRIM_400000_NS6detail17trampoline_kernelINS0_14default_configENS1_25partition_config_selectorILNS1_17partition_subalgoE1EjNS0_10empty_typeEbEEZZNS1_14partition_implILS5_1ELb0ES3_jN6thrust23THRUST_200600_302600_NS6detail15normal_iteratorINSA_10device_ptrIjEEEEPS6_NSA_18transform_iteratorI7is_evenIjESF_NSA_11use_defaultESK_EENS0_5tupleIJSF_SF_EEENSM_IJSG_SG_EEES6_PlJS6_EEE10hipError_tPvRmT3_T4_T5_T6_T7_T9_mT8_P12ihipStream_tbDpT10_ENKUlT_T0_E_clISt17integral_constantIbLb0EES18_IbLb1EEEEDaS14_S15_EUlS14_E_NS1_11comp_targetILNS1_3genE9ELNS1_11target_archE1100ELNS1_3gpuE3ELNS1_3repE0EEENS1_30default_config_static_selectorELNS0_4arch9wavefront6targetE1EEEvT1_
	.p2align	8
	.type	_ZN7rocprim17ROCPRIM_400000_NS6detail17trampoline_kernelINS0_14default_configENS1_25partition_config_selectorILNS1_17partition_subalgoE1EjNS0_10empty_typeEbEEZZNS1_14partition_implILS5_1ELb0ES3_jN6thrust23THRUST_200600_302600_NS6detail15normal_iteratorINSA_10device_ptrIjEEEEPS6_NSA_18transform_iteratorI7is_evenIjESF_NSA_11use_defaultESK_EENS0_5tupleIJSF_SF_EEENSM_IJSG_SG_EEES6_PlJS6_EEE10hipError_tPvRmT3_T4_T5_T6_T7_T9_mT8_P12ihipStream_tbDpT10_ENKUlT_T0_E_clISt17integral_constantIbLb0EES18_IbLb1EEEEDaS14_S15_EUlS14_E_NS1_11comp_targetILNS1_3genE9ELNS1_11target_archE1100ELNS1_3gpuE3ELNS1_3repE0EEENS1_30default_config_static_selectorELNS0_4arch9wavefront6targetE1EEEvT1_,@function
_ZN7rocprim17ROCPRIM_400000_NS6detail17trampoline_kernelINS0_14default_configENS1_25partition_config_selectorILNS1_17partition_subalgoE1EjNS0_10empty_typeEbEEZZNS1_14partition_implILS5_1ELb0ES3_jN6thrust23THRUST_200600_302600_NS6detail15normal_iteratorINSA_10device_ptrIjEEEEPS6_NSA_18transform_iteratorI7is_evenIjESF_NSA_11use_defaultESK_EENS0_5tupleIJSF_SF_EEENSM_IJSG_SG_EEES6_PlJS6_EEE10hipError_tPvRmT3_T4_T5_T6_T7_T9_mT8_P12ihipStream_tbDpT10_ENKUlT_T0_E_clISt17integral_constantIbLb0EES18_IbLb1EEEEDaS14_S15_EUlS14_E_NS1_11comp_targetILNS1_3genE9ELNS1_11target_archE1100ELNS1_3gpuE3ELNS1_3repE0EEENS1_30default_config_static_selectorELNS0_4arch9wavefront6targetE1EEEvT1_: ; @_ZN7rocprim17ROCPRIM_400000_NS6detail17trampoline_kernelINS0_14default_configENS1_25partition_config_selectorILNS1_17partition_subalgoE1EjNS0_10empty_typeEbEEZZNS1_14partition_implILS5_1ELb0ES3_jN6thrust23THRUST_200600_302600_NS6detail15normal_iteratorINSA_10device_ptrIjEEEEPS6_NSA_18transform_iteratorI7is_evenIjESF_NSA_11use_defaultESK_EENS0_5tupleIJSF_SF_EEENSM_IJSG_SG_EEES6_PlJS6_EEE10hipError_tPvRmT3_T4_T5_T6_T7_T9_mT8_P12ihipStream_tbDpT10_ENKUlT_T0_E_clISt17integral_constantIbLb0EES18_IbLb1EEEEDaS14_S15_EUlS14_E_NS1_11comp_targetILNS1_3genE9ELNS1_11target_archE1100ELNS1_3gpuE3ELNS1_3repE0EEENS1_30default_config_static_selectorELNS0_4arch9wavefront6targetE1EEEvT1_
; %bb.0:
	.section	.rodata,"a",@progbits
	.p2align	6, 0x0
	.amdhsa_kernel _ZN7rocprim17ROCPRIM_400000_NS6detail17trampoline_kernelINS0_14default_configENS1_25partition_config_selectorILNS1_17partition_subalgoE1EjNS0_10empty_typeEbEEZZNS1_14partition_implILS5_1ELb0ES3_jN6thrust23THRUST_200600_302600_NS6detail15normal_iteratorINSA_10device_ptrIjEEEEPS6_NSA_18transform_iteratorI7is_evenIjESF_NSA_11use_defaultESK_EENS0_5tupleIJSF_SF_EEENSM_IJSG_SG_EEES6_PlJS6_EEE10hipError_tPvRmT3_T4_T5_T6_T7_T9_mT8_P12ihipStream_tbDpT10_ENKUlT_T0_E_clISt17integral_constantIbLb0EES18_IbLb1EEEEDaS14_S15_EUlS14_E_NS1_11comp_targetILNS1_3genE9ELNS1_11target_archE1100ELNS1_3gpuE3ELNS1_3repE0EEENS1_30default_config_static_selectorELNS0_4arch9wavefront6targetE1EEEvT1_
		.amdhsa_group_segment_fixed_size 0
		.amdhsa_private_segment_fixed_size 0
		.amdhsa_kernarg_size 144
		.amdhsa_user_sgpr_count 2
		.amdhsa_user_sgpr_dispatch_ptr 0
		.amdhsa_user_sgpr_queue_ptr 0
		.amdhsa_user_sgpr_kernarg_segment_ptr 1
		.amdhsa_user_sgpr_dispatch_id 0
		.amdhsa_user_sgpr_kernarg_preload_length 0
		.amdhsa_user_sgpr_kernarg_preload_offset 0
		.amdhsa_user_sgpr_private_segment_size 0
		.amdhsa_uses_dynamic_stack 0
		.amdhsa_enable_private_segment 0
		.amdhsa_system_sgpr_workgroup_id_x 1
		.amdhsa_system_sgpr_workgroup_id_y 0
		.amdhsa_system_sgpr_workgroup_id_z 0
		.amdhsa_system_sgpr_workgroup_info 0
		.amdhsa_system_vgpr_workitem_id 0
		.amdhsa_next_free_vgpr 1
		.amdhsa_next_free_sgpr 0
		.amdhsa_accum_offset 4
		.amdhsa_reserve_vcc 0
		.amdhsa_float_round_mode_32 0
		.amdhsa_float_round_mode_16_64 0
		.amdhsa_float_denorm_mode_32 3
		.amdhsa_float_denorm_mode_16_64 3
		.amdhsa_dx10_clamp 1
		.amdhsa_ieee_mode 1
		.amdhsa_fp16_overflow 0
		.amdhsa_tg_split 0
		.amdhsa_exception_fp_ieee_invalid_op 0
		.amdhsa_exception_fp_denorm_src 0
		.amdhsa_exception_fp_ieee_div_zero 0
		.amdhsa_exception_fp_ieee_overflow 0
		.amdhsa_exception_fp_ieee_underflow 0
		.amdhsa_exception_fp_ieee_inexact 0
		.amdhsa_exception_int_div_zero 0
	.end_amdhsa_kernel
	.section	.text._ZN7rocprim17ROCPRIM_400000_NS6detail17trampoline_kernelINS0_14default_configENS1_25partition_config_selectorILNS1_17partition_subalgoE1EjNS0_10empty_typeEbEEZZNS1_14partition_implILS5_1ELb0ES3_jN6thrust23THRUST_200600_302600_NS6detail15normal_iteratorINSA_10device_ptrIjEEEEPS6_NSA_18transform_iteratorI7is_evenIjESF_NSA_11use_defaultESK_EENS0_5tupleIJSF_SF_EEENSM_IJSG_SG_EEES6_PlJS6_EEE10hipError_tPvRmT3_T4_T5_T6_T7_T9_mT8_P12ihipStream_tbDpT10_ENKUlT_T0_E_clISt17integral_constantIbLb0EES18_IbLb1EEEEDaS14_S15_EUlS14_E_NS1_11comp_targetILNS1_3genE9ELNS1_11target_archE1100ELNS1_3gpuE3ELNS1_3repE0EEENS1_30default_config_static_selectorELNS0_4arch9wavefront6targetE1EEEvT1_,"axG",@progbits,_ZN7rocprim17ROCPRIM_400000_NS6detail17trampoline_kernelINS0_14default_configENS1_25partition_config_selectorILNS1_17partition_subalgoE1EjNS0_10empty_typeEbEEZZNS1_14partition_implILS5_1ELb0ES3_jN6thrust23THRUST_200600_302600_NS6detail15normal_iteratorINSA_10device_ptrIjEEEEPS6_NSA_18transform_iteratorI7is_evenIjESF_NSA_11use_defaultESK_EENS0_5tupleIJSF_SF_EEENSM_IJSG_SG_EEES6_PlJS6_EEE10hipError_tPvRmT3_T4_T5_T6_T7_T9_mT8_P12ihipStream_tbDpT10_ENKUlT_T0_E_clISt17integral_constantIbLb0EES18_IbLb1EEEEDaS14_S15_EUlS14_E_NS1_11comp_targetILNS1_3genE9ELNS1_11target_archE1100ELNS1_3gpuE3ELNS1_3repE0EEENS1_30default_config_static_selectorELNS0_4arch9wavefront6targetE1EEEvT1_,comdat
.Lfunc_end2265:
	.size	_ZN7rocprim17ROCPRIM_400000_NS6detail17trampoline_kernelINS0_14default_configENS1_25partition_config_selectorILNS1_17partition_subalgoE1EjNS0_10empty_typeEbEEZZNS1_14partition_implILS5_1ELb0ES3_jN6thrust23THRUST_200600_302600_NS6detail15normal_iteratorINSA_10device_ptrIjEEEEPS6_NSA_18transform_iteratorI7is_evenIjESF_NSA_11use_defaultESK_EENS0_5tupleIJSF_SF_EEENSM_IJSG_SG_EEES6_PlJS6_EEE10hipError_tPvRmT3_T4_T5_T6_T7_T9_mT8_P12ihipStream_tbDpT10_ENKUlT_T0_E_clISt17integral_constantIbLb0EES18_IbLb1EEEEDaS14_S15_EUlS14_E_NS1_11comp_targetILNS1_3genE9ELNS1_11target_archE1100ELNS1_3gpuE3ELNS1_3repE0EEENS1_30default_config_static_selectorELNS0_4arch9wavefront6targetE1EEEvT1_, .Lfunc_end2265-_ZN7rocprim17ROCPRIM_400000_NS6detail17trampoline_kernelINS0_14default_configENS1_25partition_config_selectorILNS1_17partition_subalgoE1EjNS0_10empty_typeEbEEZZNS1_14partition_implILS5_1ELb0ES3_jN6thrust23THRUST_200600_302600_NS6detail15normal_iteratorINSA_10device_ptrIjEEEEPS6_NSA_18transform_iteratorI7is_evenIjESF_NSA_11use_defaultESK_EENS0_5tupleIJSF_SF_EEENSM_IJSG_SG_EEES6_PlJS6_EEE10hipError_tPvRmT3_T4_T5_T6_T7_T9_mT8_P12ihipStream_tbDpT10_ENKUlT_T0_E_clISt17integral_constantIbLb0EES18_IbLb1EEEEDaS14_S15_EUlS14_E_NS1_11comp_targetILNS1_3genE9ELNS1_11target_archE1100ELNS1_3gpuE3ELNS1_3repE0EEENS1_30default_config_static_selectorELNS0_4arch9wavefront6targetE1EEEvT1_
                                        ; -- End function
	.section	.AMDGPU.csdata,"",@progbits
; Kernel info:
; codeLenInByte = 0
; NumSgprs: 6
; NumVgprs: 0
; NumAgprs: 0
; TotalNumVgprs: 0
; ScratchSize: 0
; MemoryBound: 0
; FloatMode: 240
; IeeeMode: 1
; LDSByteSize: 0 bytes/workgroup (compile time only)
; SGPRBlocks: 0
; VGPRBlocks: 0
; NumSGPRsForWavesPerEU: 6
; NumVGPRsForWavesPerEU: 1
; AccumOffset: 4
; Occupancy: 8
; WaveLimiterHint : 0
; COMPUTE_PGM_RSRC2:SCRATCH_EN: 0
; COMPUTE_PGM_RSRC2:USER_SGPR: 2
; COMPUTE_PGM_RSRC2:TRAP_HANDLER: 0
; COMPUTE_PGM_RSRC2:TGID_X_EN: 1
; COMPUTE_PGM_RSRC2:TGID_Y_EN: 0
; COMPUTE_PGM_RSRC2:TGID_Z_EN: 0
; COMPUTE_PGM_RSRC2:TIDIG_COMP_CNT: 0
; COMPUTE_PGM_RSRC3_GFX90A:ACCUM_OFFSET: 0
; COMPUTE_PGM_RSRC3_GFX90A:TG_SPLIT: 0
	.section	.text._ZN7rocprim17ROCPRIM_400000_NS6detail17trampoline_kernelINS0_14default_configENS1_25partition_config_selectorILNS1_17partition_subalgoE1EjNS0_10empty_typeEbEEZZNS1_14partition_implILS5_1ELb0ES3_jN6thrust23THRUST_200600_302600_NS6detail15normal_iteratorINSA_10device_ptrIjEEEEPS6_NSA_18transform_iteratorI7is_evenIjESF_NSA_11use_defaultESK_EENS0_5tupleIJSF_SF_EEENSM_IJSG_SG_EEES6_PlJS6_EEE10hipError_tPvRmT3_T4_T5_T6_T7_T9_mT8_P12ihipStream_tbDpT10_ENKUlT_T0_E_clISt17integral_constantIbLb0EES18_IbLb1EEEEDaS14_S15_EUlS14_E_NS1_11comp_targetILNS1_3genE8ELNS1_11target_archE1030ELNS1_3gpuE2ELNS1_3repE0EEENS1_30default_config_static_selectorELNS0_4arch9wavefront6targetE1EEEvT1_,"axG",@progbits,_ZN7rocprim17ROCPRIM_400000_NS6detail17trampoline_kernelINS0_14default_configENS1_25partition_config_selectorILNS1_17partition_subalgoE1EjNS0_10empty_typeEbEEZZNS1_14partition_implILS5_1ELb0ES3_jN6thrust23THRUST_200600_302600_NS6detail15normal_iteratorINSA_10device_ptrIjEEEEPS6_NSA_18transform_iteratorI7is_evenIjESF_NSA_11use_defaultESK_EENS0_5tupleIJSF_SF_EEENSM_IJSG_SG_EEES6_PlJS6_EEE10hipError_tPvRmT3_T4_T5_T6_T7_T9_mT8_P12ihipStream_tbDpT10_ENKUlT_T0_E_clISt17integral_constantIbLb0EES18_IbLb1EEEEDaS14_S15_EUlS14_E_NS1_11comp_targetILNS1_3genE8ELNS1_11target_archE1030ELNS1_3gpuE2ELNS1_3repE0EEENS1_30default_config_static_selectorELNS0_4arch9wavefront6targetE1EEEvT1_,comdat
	.protected	_ZN7rocprim17ROCPRIM_400000_NS6detail17trampoline_kernelINS0_14default_configENS1_25partition_config_selectorILNS1_17partition_subalgoE1EjNS0_10empty_typeEbEEZZNS1_14partition_implILS5_1ELb0ES3_jN6thrust23THRUST_200600_302600_NS6detail15normal_iteratorINSA_10device_ptrIjEEEEPS6_NSA_18transform_iteratorI7is_evenIjESF_NSA_11use_defaultESK_EENS0_5tupleIJSF_SF_EEENSM_IJSG_SG_EEES6_PlJS6_EEE10hipError_tPvRmT3_T4_T5_T6_T7_T9_mT8_P12ihipStream_tbDpT10_ENKUlT_T0_E_clISt17integral_constantIbLb0EES18_IbLb1EEEEDaS14_S15_EUlS14_E_NS1_11comp_targetILNS1_3genE8ELNS1_11target_archE1030ELNS1_3gpuE2ELNS1_3repE0EEENS1_30default_config_static_selectorELNS0_4arch9wavefront6targetE1EEEvT1_ ; -- Begin function _ZN7rocprim17ROCPRIM_400000_NS6detail17trampoline_kernelINS0_14default_configENS1_25partition_config_selectorILNS1_17partition_subalgoE1EjNS0_10empty_typeEbEEZZNS1_14partition_implILS5_1ELb0ES3_jN6thrust23THRUST_200600_302600_NS6detail15normal_iteratorINSA_10device_ptrIjEEEEPS6_NSA_18transform_iteratorI7is_evenIjESF_NSA_11use_defaultESK_EENS0_5tupleIJSF_SF_EEENSM_IJSG_SG_EEES6_PlJS6_EEE10hipError_tPvRmT3_T4_T5_T6_T7_T9_mT8_P12ihipStream_tbDpT10_ENKUlT_T0_E_clISt17integral_constantIbLb0EES18_IbLb1EEEEDaS14_S15_EUlS14_E_NS1_11comp_targetILNS1_3genE8ELNS1_11target_archE1030ELNS1_3gpuE2ELNS1_3repE0EEENS1_30default_config_static_selectorELNS0_4arch9wavefront6targetE1EEEvT1_
	.globl	_ZN7rocprim17ROCPRIM_400000_NS6detail17trampoline_kernelINS0_14default_configENS1_25partition_config_selectorILNS1_17partition_subalgoE1EjNS0_10empty_typeEbEEZZNS1_14partition_implILS5_1ELb0ES3_jN6thrust23THRUST_200600_302600_NS6detail15normal_iteratorINSA_10device_ptrIjEEEEPS6_NSA_18transform_iteratorI7is_evenIjESF_NSA_11use_defaultESK_EENS0_5tupleIJSF_SF_EEENSM_IJSG_SG_EEES6_PlJS6_EEE10hipError_tPvRmT3_T4_T5_T6_T7_T9_mT8_P12ihipStream_tbDpT10_ENKUlT_T0_E_clISt17integral_constantIbLb0EES18_IbLb1EEEEDaS14_S15_EUlS14_E_NS1_11comp_targetILNS1_3genE8ELNS1_11target_archE1030ELNS1_3gpuE2ELNS1_3repE0EEENS1_30default_config_static_selectorELNS0_4arch9wavefront6targetE1EEEvT1_
	.p2align	8
	.type	_ZN7rocprim17ROCPRIM_400000_NS6detail17trampoline_kernelINS0_14default_configENS1_25partition_config_selectorILNS1_17partition_subalgoE1EjNS0_10empty_typeEbEEZZNS1_14partition_implILS5_1ELb0ES3_jN6thrust23THRUST_200600_302600_NS6detail15normal_iteratorINSA_10device_ptrIjEEEEPS6_NSA_18transform_iteratorI7is_evenIjESF_NSA_11use_defaultESK_EENS0_5tupleIJSF_SF_EEENSM_IJSG_SG_EEES6_PlJS6_EEE10hipError_tPvRmT3_T4_T5_T6_T7_T9_mT8_P12ihipStream_tbDpT10_ENKUlT_T0_E_clISt17integral_constantIbLb0EES18_IbLb1EEEEDaS14_S15_EUlS14_E_NS1_11comp_targetILNS1_3genE8ELNS1_11target_archE1030ELNS1_3gpuE2ELNS1_3repE0EEENS1_30default_config_static_selectorELNS0_4arch9wavefront6targetE1EEEvT1_,@function
_ZN7rocprim17ROCPRIM_400000_NS6detail17trampoline_kernelINS0_14default_configENS1_25partition_config_selectorILNS1_17partition_subalgoE1EjNS0_10empty_typeEbEEZZNS1_14partition_implILS5_1ELb0ES3_jN6thrust23THRUST_200600_302600_NS6detail15normal_iteratorINSA_10device_ptrIjEEEEPS6_NSA_18transform_iteratorI7is_evenIjESF_NSA_11use_defaultESK_EENS0_5tupleIJSF_SF_EEENSM_IJSG_SG_EEES6_PlJS6_EEE10hipError_tPvRmT3_T4_T5_T6_T7_T9_mT8_P12ihipStream_tbDpT10_ENKUlT_T0_E_clISt17integral_constantIbLb0EES18_IbLb1EEEEDaS14_S15_EUlS14_E_NS1_11comp_targetILNS1_3genE8ELNS1_11target_archE1030ELNS1_3gpuE2ELNS1_3repE0EEENS1_30default_config_static_selectorELNS0_4arch9wavefront6targetE1EEEvT1_: ; @_ZN7rocprim17ROCPRIM_400000_NS6detail17trampoline_kernelINS0_14default_configENS1_25partition_config_selectorILNS1_17partition_subalgoE1EjNS0_10empty_typeEbEEZZNS1_14partition_implILS5_1ELb0ES3_jN6thrust23THRUST_200600_302600_NS6detail15normal_iteratorINSA_10device_ptrIjEEEEPS6_NSA_18transform_iteratorI7is_evenIjESF_NSA_11use_defaultESK_EENS0_5tupleIJSF_SF_EEENSM_IJSG_SG_EEES6_PlJS6_EEE10hipError_tPvRmT3_T4_T5_T6_T7_T9_mT8_P12ihipStream_tbDpT10_ENKUlT_T0_E_clISt17integral_constantIbLb0EES18_IbLb1EEEEDaS14_S15_EUlS14_E_NS1_11comp_targetILNS1_3genE8ELNS1_11target_archE1030ELNS1_3gpuE2ELNS1_3repE0EEENS1_30default_config_static_selectorELNS0_4arch9wavefront6targetE1EEEvT1_
; %bb.0:
	.section	.rodata,"a",@progbits
	.p2align	6, 0x0
	.amdhsa_kernel _ZN7rocprim17ROCPRIM_400000_NS6detail17trampoline_kernelINS0_14default_configENS1_25partition_config_selectorILNS1_17partition_subalgoE1EjNS0_10empty_typeEbEEZZNS1_14partition_implILS5_1ELb0ES3_jN6thrust23THRUST_200600_302600_NS6detail15normal_iteratorINSA_10device_ptrIjEEEEPS6_NSA_18transform_iteratorI7is_evenIjESF_NSA_11use_defaultESK_EENS0_5tupleIJSF_SF_EEENSM_IJSG_SG_EEES6_PlJS6_EEE10hipError_tPvRmT3_T4_T5_T6_T7_T9_mT8_P12ihipStream_tbDpT10_ENKUlT_T0_E_clISt17integral_constantIbLb0EES18_IbLb1EEEEDaS14_S15_EUlS14_E_NS1_11comp_targetILNS1_3genE8ELNS1_11target_archE1030ELNS1_3gpuE2ELNS1_3repE0EEENS1_30default_config_static_selectorELNS0_4arch9wavefront6targetE1EEEvT1_
		.amdhsa_group_segment_fixed_size 0
		.amdhsa_private_segment_fixed_size 0
		.amdhsa_kernarg_size 144
		.amdhsa_user_sgpr_count 2
		.amdhsa_user_sgpr_dispatch_ptr 0
		.amdhsa_user_sgpr_queue_ptr 0
		.amdhsa_user_sgpr_kernarg_segment_ptr 1
		.amdhsa_user_sgpr_dispatch_id 0
		.amdhsa_user_sgpr_kernarg_preload_length 0
		.amdhsa_user_sgpr_kernarg_preload_offset 0
		.amdhsa_user_sgpr_private_segment_size 0
		.amdhsa_uses_dynamic_stack 0
		.amdhsa_enable_private_segment 0
		.amdhsa_system_sgpr_workgroup_id_x 1
		.amdhsa_system_sgpr_workgroup_id_y 0
		.amdhsa_system_sgpr_workgroup_id_z 0
		.amdhsa_system_sgpr_workgroup_info 0
		.amdhsa_system_vgpr_workitem_id 0
		.amdhsa_next_free_vgpr 1
		.amdhsa_next_free_sgpr 0
		.amdhsa_accum_offset 4
		.amdhsa_reserve_vcc 0
		.amdhsa_float_round_mode_32 0
		.amdhsa_float_round_mode_16_64 0
		.amdhsa_float_denorm_mode_32 3
		.amdhsa_float_denorm_mode_16_64 3
		.amdhsa_dx10_clamp 1
		.amdhsa_ieee_mode 1
		.amdhsa_fp16_overflow 0
		.amdhsa_tg_split 0
		.amdhsa_exception_fp_ieee_invalid_op 0
		.amdhsa_exception_fp_denorm_src 0
		.amdhsa_exception_fp_ieee_div_zero 0
		.amdhsa_exception_fp_ieee_overflow 0
		.amdhsa_exception_fp_ieee_underflow 0
		.amdhsa_exception_fp_ieee_inexact 0
		.amdhsa_exception_int_div_zero 0
	.end_amdhsa_kernel
	.section	.text._ZN7rocprim17ROCPRIM_400000_NS6detail17trampoline_kernelINS0_14default_configENS1_25partition_config_selectorILNS1_17partition_subalgoE1EjNS0_10empty_typeEbEEZZNS1_14partition_implILS5_1ELb0ES3_jN6thrust23THRUST_200600_302600_NS6detail15normal_iteratorINSA_10device_ptrIjEEEEPS6_NSA_18transform_iteratorI7is_evenIjESF_NSA_11use_defaultESK_EENS0_5tupleIJSF_SF_EEENSM_IJSG_SG_EEES6_PlJS6_EEE10hipError_tPvRmT3_T4_T5_T6_T7_T9_mT8_P12ihipStream_tbDpT10_ENKUlT_T0_E_clISt17integral_constantIbLb0EES18_IbLb1EEEEDaS14_S15_EUlS14_E_NS1_11comp_targetILNS1_3genE8ELNS1_11target_archE1030ELNS1_3gpuE2ELNS1_3repE0EEENS1_30default_config_static_selectorELNS0_4arch9wavefront6targetE1EEEvT1_,"axG",@progbits,_ZN7rocprim17ROCPRIM_400000_NS6detail17trampoline_kernelINS0_14default_configENS1_25partition_config_selectorILNS1_17partition_subalgoE1EjNS0_10empty_typeEbEEZZNS1_14partition_implILS5_1ELb0ES3_jN6thrust23THRUST_200600_302600_NS6detail15normal_iteratorINSA_10device_ptrIjEEEEPS6_NSA_18transform_iteratorI7is_evenIjESF_NSA_11use_defaultESK_EENS0_5tupleIJSF_SF_EEENSM_IJSG_SG_EEES6_PlJS6_EEE10hipError_tPvRmT3_T4_T5_T6_T7_T9_mT8_P12ihipStream_tbDpT10_ENKUlT_T0_E_clISt17integral_constantIbLb0EES18_IbLb1EEEEDaS14_S15_EUlS14_E_NS1_11comp_targetILNS1_3genE8ELNS1_11target_archE1030ELNS1_3gpuE2ELNS1_3repE0EEENS1_30default_config_static_selectorELNS0_4arch9wavefront6targetE1EEEvT1_,comdat
.Lfunc_end2266:
	.size	_ZN7rocprim17ROCPRIM_400000_NS6detail17trampoline_kernelINS0_14default_configENS1_25partition_config_selectorILNS1_17partition_subalgoE1EjNS0_10empty_typeEbEEZZNS1_14partition_implILS5_1ELb0ES3_jN6thrust23THRUST_200600_302600_NS6detail15normal_iteratorINSA_10device_ptrIjEEEEPS6_NSA_18transform_iteratorI7is_evenIjESF_NSA_11use_defaultESK_EENS0_5tupleIJSF_SF_EEENSM_IJSG_SG_EEES6_PlJS6_EEE10hipError_tPvRmT3_T4_T5_T6_T7_T9_mT8_P12ihipStream_tbDpT10_ENKUlT_T0_E_clISt17integral_constantIbLb0EES18_IbLb1EEEEDaS14_S15_EUlS14_E_NS1_11comp_targetILNS1_3genE8ELNS1_11target_archE1030ELNS1_3gpuE2ELNS1_3repE0EEENS1_30default_config_static_selectorELNS0_4arch9wavefront6targetE1EEEvT1_, .Lfunc_end2266-_ZN7rocprim17ROCPRIM_400000_NS6detail17trampoline_kernelINS0_14default_configENS1_25partition_config_selectorILNS1_17partition_subalgoE1EjNS0_10empty_typeEbEEZZNS1_14partition_implILS5_1ELb0ES3_jN6thrust23THRUST_200600_302600_NS6detail15normal_iteratorINSA_10device_ptrIjEEEEPS6_NSA_18transform_iteratorI7is_evenIjESF_NSA_11use_defaultESK_EENS0_5tupleIJSF_SF_EEENSM_IJSG_SG_EEES6_PlJS6_EEE10hipError_tPvRmT3_T4_T5_T6_T7_T9_mT8_P12ihipStream_tbDpT10_ENKUlT_T0_E_clISt17integral_constantIbLb0EES18_IbLb1EEEEDaS14_S15_EUlS14_E_NS1_11comp_targetILNS1_3genE8ELNS1_11target_archE1030ELNS1_3gpuE2ELNS1_3repE0EEENS1_30default_config_static_selectorELNS0_4arch9wavefront6targetE1EEEvT1_
                                        ; -- End function
	.section	.AMDGPU.csdata,"",@progbits
; Kernel info:
; codeLenInByte = 0
; NumSgprs: 6
; NumVgprs: 0
; NumAgprs: 0
; TotalNumVgprs: 0
; ScratchSize: 0
; MemoryBound: 0
; FloatMode: 240
; IeeeMode: 1
; LDSByteSize: 0 bytes/workgroup (compile time only)
; SGPRBlocks: 0
; VGPRBlocks: 0
; NumSGPRsForWavesPerEU: 6
; NumVGPRsForWavesPerEU: 1
; AccumOffset: 4
; Occupancy: 8
; WaveLimiterHint : 0
; COMPUTE_PGM_RSRC2:SCRATCH_EN: 0
; COMPUTE_PGM_RSRC2:USER_SGPR: 2
; COMPUTE_PGM_RSRC2:TRAP_HANDLER: 0
; COMPUTE_PGM_RSRC2:TGID_X_EN: 1
; COMPUTE_PGM_RSRC2:TGID_Y_EN: 0
; COMPUTE_PGM_RSRC2:TGID_Z_EN: 0
; COMPUTE_PGM_RSRC2:TIDIG_COMP_CNT: 0
; COMPUTE_PGM_RSRC3_GFX90A:ACCUM_OFFSET: 0
; COMPUTE_PGM_RSRC3_GFX90A:TG_SPLIT: 0
	.section	.text._ZN7rocprim17ROCPRIM_400000_NS6detail17trampoline_kernelINS0_14default_configENS1_25partition_config_selectorILNS1_17partition_subalgoE1EtNS0_10empty_typeEbEEZZNS1_14partition_implILS5_1ELb0ES3_jN6thrust23THRUST_200600_302600_NS6detail15normal_iteratorINSA_10device_ptrItEEEEPS6_NSA_18transform_iteratorI7is_evenItESF_NSA_11use_defaultESK_EENS0_5tupleIJSF_SF_EEENSM_IJSG_SG_EEES6_PlJS6_EEE10hipError_tPvRmT3_T4_T5_T6_T7_T9_mT8_P12ihipStream_tbDpT10_ENKUlT_T0_E_clISt17integral_constantIbLb0EES19_EEDaS14_S15_EUlS14_E_NS1_11comp_targetILNS1_3genE0ELNS1_11target_archE4294967295ELNS1_3gpuE0ELNS1_3repE0EEENS1_30default_config_static_selectorELNS0_4arch9wavefront6targetE1EEEvT1_,"axG",@progbits,_ZN7rocprim17ROCPRIM_400000_NS6detail17trampoline_kernelINS0_14default_configENS1_25partition_config_selectorILNS1_17partition_subalgoE1EtNS0_10empty_typeEbEEZZNS1_14partition_implILS5_1ELb0ES3_jN6thrust23THRUST_200600_302600_NS6detail15normal_iteratorINSA_10device_ptrItEEEEPS6_NSA_18transform_iteratorI7is_evenItESF_NSA_11use_defaultESK_EENS0_5tupleIJSF_SF_EEENSM_IJSG_SG_EEES6_PlJS6_EEE10hipError_tPvRmT3_T4_T5_T6_T7_T9_mT8_P12ihipStream_tbDpT10_ENKUlT_T0_E_clISt17integral_constantIbLb0EES19_EEDaS14_S15_EUlS14_E_NS1_11comp_targetILNS1_3genE0ELNS1_11target_archE4294967295ELNS1_3gpuE0ELNS1_3repE0EEENS1_30default_config_static_selectorELNS0_4arch9wavefront6targetE1EEEvT1_,comdat
	.protected	_ZN7rocprim17ROCPRIM_400000_NS6detail17trampoline_kernelINS0_14default_configENS1_25partition_config_selectorILNS1_17partition_subalgoE1EtNS0_10empty_typeEbEEZZNS1_14partition_implILS5_1ELb0ES3_jN6thrust23THRUST_200600_302600_NS6detail15normal_iteratorINSA_10device_ptrItEEEEPS6_NSA_18transform_iteratorI7is_evenItESF_NSA_11use_defaultESK_EENS0_5tupleIJSF_SF_EEENSM_IJSG_SG_EEES6_PlJS6_EEE10hipError_tPvRmT3_T4_T5_T6_T7_T9_mT8_P12ihipStream_tbDpT10_ENKUlT_T0_E_clISt17integral_constantIbLb0EES19_EEDaS14_S15_EUlS14_E_NS1_11comp_targetILNS1_3genE0ELNS1_11target_archE4294967295ELNS1_3gpuE0ELNS1_3repE0EEENS1_30default_config_static_selectorELNS0_4arch9wavefront6targetE1EEEvT1_ ; -- Begin function _ZN7rocprim17ROCPRIM_400000_NS6detail17trampoline_kernelINS0_14default_configENS1_25partition_config_selectorILNS1_17partition_subalgoE1EtNS0_10empty_typeEbEEZZNS1_14partition_implILS5_1ELb0ES3_jN6thrust23THRUST_200600_302600_NS6detail15normal_iteratorINSA_10device_ptrItEEEEPS6_NSA_18transform_iteratorI7is_evenItESF_NSA_11use_defaultESK_EENS0_5tupleIJSF_SF_EEENSM_IJSG_SG_EEES6_PlJS6_EEE10hipError_tPvRmT3_T4_T5_T6_T7_T9_mT8_P12ihipStream_tbDpT10_ENKUlT_T0_E_clISt17integral_constantIbLb0EES19_EEDaS14_S15_EUlS14_E_NS1_11comp_targetILNS1_3genE0ELNS1_11target_archE4294967295ELNS1_3gpuE0ELNS1_3repE0EEENS1_30default_config_static_selectorELNS0_4arch9wavefront6targetE1EEEvT1_
	.globl	_ZN7rocprim17ROCPRIM_400000_NS6detail17trampoline_kernelINS0_14default_configENS1_25partition_config_selectorILNS1_17partition_subalgoE1EtNS0_10empty_typeEbEEZZNS1_14partition_implILS5_1ELb0ES3_jN6thrust23THRUST_200600_302600_NS6detail15normal_iteratorINSA_10device_ptrItEEEEPS6_NSA_18transform_iteratorI7is_evenItESF_NSA_11use_defaultESK_EENS0_5tupleIJSF_SF_EEENSM_IJSG_SG_EEES6_PlJS6_EEE10hipError_tPvRmT3_T4_T5_T6_T7_T9_mT8_P12ihipStream_tbDpT10_ENKUlT_T0_E_clISt17integral_constantIbLb0EES19_EEDaS14_S15_EUlS14_E_NS1_11comp_targetILNS1_3genE0ELNS1_11target_archE4294967295ELNS1_3gpuE0ELNS1_3repE0EEENS1_30default_config_static_selectorELNS0_4arch9wavefront6targetE1EEEvT1_
	.p2align	8
	.type	_ZN7rocprim17ROCPRIM_400000_NS6detail17trampoline_kernelINS0_14default_configENS1_25partition_config_selectorILNS1_17partition_subalgoE1EtNS0_10empty_typeEbEEZZNS1_14partition_implILS5_1ELb0ES3_jN6thrust23THRUST_200600_302600_NS6detail15normal_iteratorINSA_10device_ptrItEEEEPS6_NSA_18transform_iteratorI7is_evenItESF_NSA_11use_defaultESK_EENS0_5tupleIJSF_SF_EEENSM_IJSG_SG_EEES6_PlJS6_EEE10hipError_tPvRmT3_T4_T5_T6_T7_T9_mT8_P12ihipStream_tbDpT10_ENKUlT_T0_E_clISt17integral_constantIbLb0EES19_EEDaS14_S15_EUlS14_E_NS1_11comp_targetILNS1_3genE0ELNS1_11target_archE4294967295ELNS1_3gpuE0ELNS1_3repE0EEENS1_30default_config_static_selectorELNS0_4arch9wavefront6targetE1EEEvT1_,@function
_ZN7rocprim17ROCPRIM_400000_NS6detail17trampoline_kernelINS0_14default_configENS1_25partition_config_selectorILNS1_17partition_subalgoE1EtNS0_10empty_typeEbEEZZNS1_14partition_implILS5_1ELb0ES3_jN6thrust23THRUST_200600_302600_NS6detail15normal_iteratorINSA_10device_ptrItEEEEPS6_NSA_18transform_iteratorI7is_evenItESF_NSA_11use_defaultESK_EENS0_5tupleIJSF_SF_EEENSM_IJSG_SG_EEES6_PlJS6_EEE10hipError_tPvRmT3_T4_T5_T6_T7_T9_mT8_P12ihipStream_tbDpT10_ENKUlT_T0_E_clISt17integral_constantIbLb0EES19_EEDaS14_S15_EUlS14_E_NS1_11comp_targetILNS1_3genE0ELNS1_11target_archE4294967295ELNS1_3gpuE0ELNS1_3repE0EEENS1_30default_config_static_selectorELNS0_4arch9wavefront6targetE1EEEvT1_: ; @_ZN7rocprim17ROCPRIM_400000_NS6detail17trampoline_kernelINS0_14default_configENS1_25partition_config_selectorILNS1_17partition_subalgoE1EtNS0_10empty_typeEbEEZZNS1_14partition_implILS5_1ELb0ES3_jN6thrust23THRUST_200600_302600_NS6detail15normal_iteratorINSA_10device_ptrItEEEEPS6_NSA_18transform_iteratorI7is_evenItESF_NSA_11use_defaultESK_EENS0_5tupleIJSF_SF_EEENSM_IJSG_SG_EEES6_PlJS6_EEE10hipError_tPvRmT3_T4_T5_T6_T7_T9_mT8_P12ihipStream_tbDpT10_ENKUlT_T0_E_clISt17integral_constantIbLb0EES19_EEDaS14_S15_EUlS14_E_NS1_11comp_targetILNS1_3genE0ELNS1_11target_archE4294967295ELNS1_3gpuE0ELNS1_3repE0EEENS1_30default_config_static_selectorELNS0_4arch9wavefront6targetE1EEEvT1_
; %bb.0:
	.section	.rodata,"a",@progbits
	.p2align	6, 0x0
	.amdhsa_kernel _ZN7rocprim17ROCPRIM_400000_NS6detail17trampoline_kernelINS0_14default_configENS1_25partition_config_selectorILNS1_17partition_subalgoE1EtNS0_10empty_typeEbEEZZNS1_14partition_implILS5_1ELb0ES3_jN6thrust23THRUST_200600_302600_NS6detail15normal_iteratorINSA_10device_ptrItEEEEPS6_NSA_18transform_iteratorI7is_evenItESF_NSA_11use_defaultESK_EENS0_5tupleIJSF_SF_EEENSM_IJSG_SG_EEES6_PlJS6_EEE10hipError_tPvRmT3_T4_T5_T6_T7_T9_mT8_P12ihipStream_tbDpT10_ENKUlT_T0_E_clISt17integral_constantIbLb0EES19_EEDaS14_S15_EUlS14_E_NS1_11comp_targetILNS1_3genE0ELNS1_11target_archE4294967295ELNS1_3gpuE0ELNS1_3repE0EEENS1_30default_config_static_selectorELNS0_4arch9wavefront6targetE1EEEvT1_
		.amdhsa_group_segment_fixed_size 0
		.amdhsa_private_segment_fixed_size 0
		.amdhsa_kernarg_size 128
		.amdhsa_user_sgpr_count 2
		.amdhsa_user_sgpr_dispatch_ptr 0
		.amdhsa_user_sgpr_queue_ptr 0
		.amdhsa_user_sgpr_kernarg_segment_ptr 1
		.amdhsa_user_sgpr_dispatch_id 0
		.amdhsa_user_sgpr_kernarg_preload_length 0
		.amdhsa_user_sgpr_kernarg_preload_offset 0
		.amdhsa_user_sgpr_private_segment_size 0
		.amdhsa_uses_dynamic_stack 0
		.amdhsa_enable_private_segment 0
		.amdhsa_system_sgpr_workgroup_id_x 1
		.amdhsa_system_sgpr_workgroup_id_y 0
		.amdhsa_system_sgpr_workgroup_id_z 0
		.amdhsa_system_sgpr_workgroup_info 0
		.amdhsa_system_vgpr_workitem_id 0
		.amdhsa_next_free_vgpr 1
		.amdhsa_next_free_sgpr 0
		.amdhsa_accum_offset 4
		.amdhsa_reserve_vcc 0
		.amdhsa_float_round_mode_32 0
		.amdhsa_float_round_mode_16_64 0
		.amdhsa_float_denorm_mode_32 3
		.amdhsa_float_denorm_mode_16_64 3
		.amdhsa_dx10_clamp 1
		.amdhsa_ieee_mode 1
		.amdhsa_fp16_overflow 0
		.amdhsa_tg_split 0
		.amdhsa_exception_fp_ieee_invalid_op 0
		.amdhsa_exception_fp_denorm_src 0
		.amdhsa_exception_fp_ieee_div_zero 0
		.amdhsa_exception_fp_ieee_overflow 0
		.amdhsa_exception_fp_ieee_underflow 0
		.amdhsa_exception_fp_ieee_inexact 0
		.amdhsa_exception_int_div_zero 0
	.end_amdhsa_kernel
	.section	.text._ZN7rocprim17ROCPRIM_400000_NS6detail17trampoline_kernelINS0_14default_configENS1_25partition_config_selectorILNS1_17partition_subalgoE1EtNS0_10empty_typeEbEEZZNS1_14partition_implILS5_1ELb0ES3_jN6thrust23THRUST_200600_302600_NS6detail15normal_iteratorINSA_10device_ptrItEEEEPS6_NSA_18transform_iteratorI7is_evenItESF_NSA_11use_defaultESK_EENS0_5tupleIJSF_SF_EEENSM_IJSG_SG_EEES6_PlJS6_EEE10hipError_tPvRmT3_T4_T5_T6_T7_T9_mT8_P12ihipStream_tbDpT10_ENKUlT_T0_E_clISt17integral_constantIbLb0EES19_EEDaS14_S15_EUlS14_E_NS1_11comp_targetILNS1_3genE0ELNS1_11target_archE4294967295ELNS1_3gpuE0ELNS1_3repE0EEENS1_30default_config_static_selectorELNS0_4arch9wavefront6targetE1EEEvT1_,"axG",@progbits,_ZN7rocprim17ROCPRIM_400000_NS6detail17trampoline_kernelINS0_14default_configENS1_25partition_config_selectorILNS1_17partition_subalgoE1EtNS0_10empty_typeEbEEZZNS1_14partition_implILS5_1ELb0ES3_jN6thrust23THRUST_200600_302600_NS6detail15normal_iteratorINSA_10device_ptrItEEEEPS6_NSA_18transform_iteratorI7is_evenItESF_NSA_11use_defaultESK_EENS0_5tupleIJSF_SF_EEENSM_IJSG_SG_EEES6_PlJS6_EEE10hipError_tPvRmT3_T4_T5_T6_T7_T9_mT8_P12ihipStream_tbDpT10_ENKUlT_T0_E_clISt17integral_constantIbLb0EES19_EEDaS14_S15_EUlS14_E_NS1_11comp_targetILNS1_3genE0ELNS1_11target_archE4294967295ELNS1_3gpuE0ELNS1_3repE0EEENS1_30default_config_static_selectorELNS0_4arch9wavefront6targetE1EEEvT1_,comdat
.Lfunc_end2267:
	.size	_ZN7rocprim17ROCPRIM_400000_NS6detail17trampoline_kernelINS0_14default_configENS1_25partition_config_selectorILNS1_17partition_subalgoE1EtNS0_10empty_typeEbEEZZNS1_14partition_implILS5_1ELb0ES3_jN6thrust23THRUST_200600_302600_NS6detail15normal_iteratorINSA_10device_ptrItEEEEPS6_NSA_18transform_iteratorI7is_evenItESF_NSA_11use_defaultESK_EENS0_5tupleIJSF_SF_EEENSM_IJSG_SG_EEES6_PlJS6_EEE10hipError_tPvRmT3_T4_T5_T6_T7_T9_mT8_P12ihipStream_tbDpT10_ENKUlT_T0_E_clISt17integral_constantIbLb0EES19_EEDaS14_S15_EUlS14_E_NS1_11comp_targetILNS1_3genE0ELNS1_11target_archE4294967295ELNS1_3gpuE0ELNS1_3repE0EEENS1_30default_config_static_selectorELNS0_4arch9wavefront6targetE1EEEvT1_, .Lfunc_end2267-_ZN7rocprim17ROCPRIM_400000_NS6detail17trampoline_kernelINS0_14default_configENS1_25partition_config_selectorILNS1_17partition_subalgoE1EtNS0_10empty_typeEbEEZZNS1_14partition_implILS5_1ELb0ES3_jN6thrust23THRUST_200600_302600_NS6detail15normal_iteratorINSA_10device_ptrItEEEEPS6_NSA_18transform_iteratorI7is_evenItESF_NSA_11use_defaultESK_EENS0_5tupleIJSF_SF_EEENSM_IJSG_SG_EEES6_PlJS6_EEE10hipError_tPvRmT3_T4_T5_T6_T7_T9_mT8_P12ihipStream_tbDpT10_ENKUlT_T0_E_clISt17integral_constantIbLb0EES19_EEDaS14_S15_EUlS14_E_NS1_11comp_targetILNS1_3genE0ELNS1_11target_archE4294967295ELNS1_3gpuE0ELNS1_3repE0EEENS1_30default_config_static_selectorELNS0_4arch9wavefront6targetE1EEEvT1_
                                        ; -- End function
	.section	.AMDGPU.csdata,"",@progbits
; Kernel info:
; codeLenInByte = 0
; NumSgprs: 6
; NumVgprs: 0
; NumAgprs: 0
; TotalNumVgprs: 0
; ScratchSize: 0
; MemoryBound: 0
; FloatMode: 240
; IeeeMode: 1
; LDSByteSize: 0 bytes/workgroup (compile time only)
; SGPRBlocks: 0
; VGPRBlocks: 0
; NumSGPRsForWavesPerEU: 6
; NumVGPRsForWavesPerEU: 1
; AccumOffset: 4
; Occupancy: 8
; WaveLimiterHint : 0
; COMPUTE_PGM_RSRC2:SCRATCH_EN: 0
; COMPUTE_PGM_RSRC2:USER_SGPR: 2
; COMPUTE_PGM_RSRC2:TRAP_HANDLER: 0
; COMPUTE_PGM_RSRC2:TGID_X_EN: 1
; COMPUTE_PGM_RSRC2:TGID_Y_EN: 0
; COMPUTE_PGM_RSRC2:TGID_Z_EN: 0
; COMPUTE_PGM_RSRC2:TIDIG_COMP_CNT: 0
; COMPUTE_PGM_RSRC3_GFX90A:ACCUM_OFFSET: 0
; COMPUTE_PGM_RSRC3_GFX90A:TG_SPLIT: 0
	.section	.text._ZN7rocprim17ROCPRIM_400000_NS6detail17trampoline_kernelINS0_14default_configENS1_25partition_config_selectorILNS1_17partition_subalgoE1EtNS0_10empty_typeEbEEZZNS1_14partition_implILS5_1ELb0ES3_jN6thrust23THRUST_200600_302600_NS6detail15normal_iteratorINSA_10device_ptrItEEEEPS6_NSA_18transform_iteratorI7is_evenItESF_NSA_11use_defaultESK_EENS0_5tupleIJSF_SF_EEENSM_IJSG_SG_EEES6_PlJS6_EEE10hipError_tPvRmT3_T4_T5_T6_T7_T9_mT8_P12ihipStream_tbDpT10_ENKUlT_T0_E_clISt17integral_constantIbLb0EES19_EEDaS14_S15_EUlS14_E_NS1_11comp_targetILNS1_3genE5ELNS1_11target_archE942ELNS1_3gpuE9ELNS1_3repE0EEENS1_30default_config_static_selectorELNS0_4arch9wavefront6targetE1EEEvT1_,"axG",@progbits,_ZN7rocprim17ROCPRIM_400000_NS6detail17trampoline_kernelINS0_14default_configENS1_25partition_config_selectorILNS1_17partition_subalgoE1EtNS0_10empty_typeEbEEZZNS1_14partition_implILS5_1ELb0ES3_jN6thrust23THRUST_200600_302600_NS6detail15normal_iteratorINSA_10device_ptrItEEEEPS6_NSA_18transform_iteratorI7is_evenItESF_NSA_11use_defaultESK_EENS0_5tupleIJSF_SF_EEENSM_IJSG_SG_EEES6_PlJS6_EEE10hipError_tPvRmT3_T4_T5_T6_T7_T9_mT8_P12ihipStream_tbDpT10_ENKUlT_T0_E_clISt17integral_constantIbLb0EES19_EEDaS14_S15_EUlS14_E_NS1_11comp_targetILNS1_3genE5ELNS1_11target_archE942ELNS1_3gpuE9ELNS1_3repE0EEENS1_30default_config_static_selectorELNS0_4arch9wavefront6targetE1EEEvT1_,comdat
	.protected	_ZN7rocprim17ROCPRIM_400000_NS6detail17trampoline_kernelINS0_14default_configENS1_25partition_config_selectorILNS1_17partition_subalgoE1EtNS0_10empty_typeEbEEZZNS1_14partition_implILS5_1ELb0ES3_jN6thrust23THRUST_200600_302600_NS6detail15normal_iteratorINSA_10device_ptrItEEEEPS6_NSA_18transform_iteratorI7is_evenItESF_NSA_11use_defaultESK_EENS0_5tupleIJSF_SF_EEENSM_IJSG_SG_EEES6_PlJS6_EEE10hipError_tPvRmT3_T4_T5_T6_T7_T9_mT8_P12ihipStream_tbDpT10_ENKUlT_T0_E_clISt17integral_constantIbLb0EES19_EEDaS14_S15_EUlS14_E_NS1_11comp_targetILNS1_3genE5ELNS1_11target_archE942ELNS1_3gpuE9ELNS1_3repE0EEENS1_30default_config_static_selectorELNS0_4arch9wavefront6targetE1EEEvT1_ ; -- Begin function _ZN7rocprim17ROCPRIM_400000_NS6detail17trampoline_kernelINS0_14default_configENS1_25partition_config_selectorILNS1_17partition_subalgoE1EtNS0_10empty_typeEbEEZZNS1_14partition_implILS5_1ELb0ES3_jN6thrust23THRUST_200600_302600_NS6detail15normal_iteratorINSA_10device_ptrItEEEEPS6_NSA_18transform_iteratorI7is_evenItESF_NSA_11use_defaultESK_EENS0_5tupleIJSF_SF_EEENSM_IJSG_SG_EEES6_PlJS6_EEE10hipError_tPvRmT3_T4_T5_T6_T7_T9_mT8_P12ihipStream_tbDpT10_ENKUlT_T0_E_clISt17integral_constantIbLb0EES19_EEDaS14_S15_EUlS14_E_NS1_11comp_targetILNS1_3genE5ELNS1_11target_archE942ELNS1_3gpuE9ELNS1_3repE0EEENS1_30default_config_static_selectorELNS0_4arch9wavefront6targetE1EEEvT1_
	.globl	_ZN7rocprim17ROCPRIM_400000_NS6detail17trampoline_kernelINS0_14default_configENS1_25partition_config_selectorILNS1_17partition_subalgoE1EtNS0_10empty_typeEbEEZZNS1_14partition_implILS5_1ELb0ES3_jN6thrust23THRUST_200600_302600_NS6detail15normal_iteratorINSA_10device_ptrItEEEEPS6_NSA_18transform_iteratorI7is_evenItESF_NSA_11use_defaultESK_EENS0_5tupleIJSF_SF_EEENSM_IJSG_SG_EEES6_PlJS6_EEE10hipError_tPvRmT3_T4_T5_T6_T7_T9_mT8_P12ihipStream_tbDpT10_ENKUlT_T0_E_clISt17integral_constantIbLb0EES19_EEDaS14_S15_EUlS14_E_NS1_11comp_targetILNS1_3genE5ELNS1_11target_archE942ELNS1_3gpuE9ELNS1_3repE0EEENS1_30default_config_static_selectorELNS0_4arch9wavefront6targetE1EEEvT1_
	.p2align	8
	.type	_ZN7rocprim17ROCPRIM_400000_NS6detail17trampoline_kernelINS0_14default_configENS1_25partition_config_selectorILNS1_17partition_subalgoE1EtNS0_10empty_typeEbEEZZNS1_14partition_implILS5_1ELb0ES3_jN6thrust23THRUST_200600_302600_NS6detail15normal_iteratorINSA_10device_ptrItEEEEPS6_NSA_18transform_iteratorI7is_evenItESF_NSA_11use_defaultESK_EENS0_5tupleIJSF_SF_EEENSM_IJSG_SG_EEES6_PlJS6_EEE10hipError_tPvRmT3_T4_T5_T6_T7_T9_mT8_P12ihipStream_tbDpT10_ENKUlT_T0_E_clISt17integral_constantIbLb0EES19_EEDaS14_S15_EUlS14_E_NS1_11comp_targetILNS1_3genE5ELNS1_11target_archE942ELNS1_3gpuE9ELNS1_3repE0EEENS1_30default_config_static_selectorELNS0_4arch9wavefront6targetE1EEEvT1_,@function
_ZN7rocprim17ROCPRIM_400000_NS6detail17trampoline_kernelINS0_14default_configENS1_25partition_config_selectorILNS1_17partition_subalgoE1EtNS0_10empty_typeEbEEZZNS1_14partition_implILS5_1ELb0ES3_jN6thrust23THRUST_200600_302600_NS6detail15normal_iteratorINSA_10device_ptrItEEEEPS6_NSA_18transform_iteratorI7is_evenItESF_NSA_11use_defaultESK_EENS0_5tupleIJSF_SF_EEENSM_IJSG_SG_EEES6_PlJS6_EEE10hipError_tPvRmT3_T4_T5_T6_T7_T9_mT8_P12ihipStream_tbDpT10_ENKUlT_T0_E_clISt17integral_constantIbLb0EES19_EEDaS14_S15_EUlS14_E_NS1_11comp_targetILNS1_3genE5ELNS1_11target_archE942ELNS1_3gpuE9ELNS1_3repE0EEENS1_30default_config_static_selectorELNS0_4arch9wavefront6targetE1EEEvT1_: ; @_ZN7rocprim17ROCPRIM_400000_NS6detail17trampoline_kernelINS0_14default_configENS1_25partition_config_selectorILNS1_17partition_subalgoE1EtNS0_10empty_typeEbEEZZNS1_14partition_implILS5_1ELb0ES3_jN6thrust23THRUST_200600_302600_NS6detail15normal_iteratorINSA_10device_ptrItEEEEPS6_NSA_18transform_iteratorI7is_evenItESF_NSA_11use_defaultESK_EENS0_5tupleIJSF_SF_EEENSM_IJSG_SG_EEES6_PlJS6_EEE10hipError_tPvRmT3_T4_T5_T6_T7_T9_mT8_P12ihipStream_tbDpT10_ENKUlT_T0_E_clISt17integral_constantIbLb0EES19_EEDaS14_S15_EUlS14_E_NS1_11comp_targetILNS1_3genE5ELNS1_11target_archE942ELNS1_3gpuE9ELNS1_3repE0EEENS1_30default_config_static_selectorELNS0_4arch9wavefront6targetE1EEEvT1_
; %bb.0:
	s_load_dwordx2 s[4:5], s[0:1], 0x60
	s_load_dwordx4 s[24:27], s[0:1], 0x8
	s_load_dwordx2 s[6:7], s[0:1], 0x20
	s_load_dwordx4 s[20:23], s[0:1], 0x50
	s_load_dword s3, s[0:1], 0x78
	s_waitcnt lgkmcnt(0)
	v_mov_b32_e32 v3, s5
	s_lshl_b64 s[8:9], s[26:27], 1
	s_add_u32 s12, s24, s8
	s_addc_u32 s13, s25, s9
	s_add_i32 s14, s3, -1
	s_mulk_i32 s3, 0x3800
	s_add_i32 s5, s3, s26
	s_sub_i32 s33, s4, s5
	s_addk_i32 s33, 0x3800
	v_mov_b32_e32 v2, s4
	s_add_u32 s4, s26, s3
	s_addc_u32 s5, s27, 0
	s_cmp_eq_u32 s2, s14
	s_load_dwordx2 s[28:29], s[22:23], 0x0
	s_cselect_b64 s[22:23], -1, 0
	s_cmp_lg_u32 s2, s14
	s_mul_i32 s10, s2, 0x3800
	s_mov_b32 s11, 0
	v_cmp_lt_u64_e32 vcc, s[4:5], v[2:3]
	s_cselect_b64 s[4:5], -1, 0
	s_or_b64 s[24:25], s[4:5], vcc
	s_lshl_b64 s[30:31], s[10:11], 1
	s_add_u32 s10, s12, s30
	s_addc_u32 s11, s13, s31
	s_mov_b64 s[4:5], -1
	s_and_b64 vcc, exec, s[24:25]
	v_lshlrev_b32_e32 v14, 1, v0
	s_cbranch_vccz .LBB2268_2
; %bb.1:
	v_mov_b32_e32 v15, 0
	v_lshl_add_u64 v[2:3], s[10:11], 0, v[14:15]
	v_add_co_u32_e32 v4, vcc, 0x1000, v2
	s_mov_b64 s[4:5], 0
	s_nop 0
	v_addc_co_u32_e32 v5, vcc, 0, v3, vcc
	flat_load_ushort v1, v[2:3]
	flat_load_ushort v8, v[2:3] offset:1024
	flat_load_ushort v9, v[2:3] offset:2048
	;; [unrolled: 1-line block ×3, first 2 shown]
	flat_load_ushort v11, v[4:5]
	flat_load_ushort v12, v[4:5] offset:1024
	flat_load_ushort v13, v[4:5] offset:2048
	;; [unrolled: 1-line block ×3, first 2 shown]
	v_add_co_u32_e32 v4, vcc, 0x2000, v2
	s_nop 1
	v_addc_co_u32_e32 v5, vcc, 0, v3, vcc
	v_add_co_u32_e32 v6, vcc, 0x3000, v2
	s_nop 1
	v_addc_co_u32_e32 v7, vcc, 0, v3, vcc
	flat_load_ushort v16, v[4:5]
	flat_load_ushort v17, v[4:5] offset:1024
	flat_load_ushort v18, v[4:5] offset:2048
	;; [unrolled: 1-line block ×3, first 2 shown]
	flat_load_ushort v20, v[6:7]
	flat_load_ushort v21, v[6:7] offset:1024
	flat_load_ushort v22, v[6:7] offset:2048
	;; [unrolled: 1-line block ×3, first 2 shown]
	v_add_co_u32_e32 v4, vcc, 0x4000, v2
	s_nop 1
	v_addc_co_u32_e32 v5, vcc, 0, v3, vcc
	v_add_co_u32_e32 v6, vcc, 0x5000, v2
	s_nop 1
	v_addc_co_u32_e32 v7, vcc, 0, v3, vcc
	v_add_co_u32_e32 v2, vcc, 0x6000, v2
	flat_load_ushort v24, v[4:5]
	flat_load_ushort v25, v[4:5] offset:1024
	flat_load_ushort v26, v[4:5] offset:2048
	;; [unrolled: 1-line block ×3, first 2 shown]
	flat_load_ushort v28, v[6:7]
	flat_load_ushort v29, v[6:7] offset:1024
	flat_load_ushort v30, v[6:7] offset:2048
	;; [unrolled: 1-line block ×3, first 2 shown]
	v_addc_co_u32_e32 v3, vcc, 0, v3, vcc
	flat_load_ushort v4, v[2:3]
	flat_load_ushort v5, v[2:3] offset:1024
	flat_load_ushort v6, v[2:3] offset:2048
	;; [unrolled: 1-line block ×3, first 2 shown]
	s_waitcnt vmcnt(0) lgkmcnt(0)
	ds_write_b16 v14, v1
	ds_write_b16 v14, v8 offset:1024
	ds_write_b16 v14, v9 offset:2048
	ds_write_b16 v14, v10 offset:3072
	ds_write_b16 v14, v11 offset:4096
	ds_write_b16 v14, v12 offset:5120
	ds_write_b16 v14, v13 offset:6144
	ds_write_b16 v14, v15 offset:7168
	ds_write_b16 v14, v16 offset:8192
	ds_write_b16 v14, v17 offset:9216
	ds_write_b16 v14, v18 offset:10240
	ds_write_b16 v14, v19 offset:11264
	ds_write_b16 v14, v20 offset:12288
	ds_write_b16 v14, v21 offset:13312
	ds_write_b16 v14, v22 offset:14336
	ds_write_b16 v14, v23 offset:15360
	ds_write_b16 v14, v24 offset:16384
	ds_write_b16 v14, v25 offset:17408
	ds_write_b16 v14, v26 offset:18432
	ds_write_b16 v14, v27 offset:19456
	ds_write_b16 v14, v28 offset:20480
	ds_write_b16 v14, v29 offset:21504
	ds_write_b16 v14, v30 offset:22528
	ds_write_b16 v14, v31 offset:23552
	ds_write_b16 v14, v4 offset:24576
	ds_write_b16 v14, v5 offset:25600
	ds_write_b16 v14, v6 offset:26624
	ds_write_b16 v14, v7 offset:27648
	s_waitcnt lgkmcnt(0)
	s_barrier
.LBB2268_2:
	s_andn2_b64 vcc, exec, s[4:5]
	v_cmp_gt_u32_e64 s[4:5], s33, v0
	s_cbranch_vccnz .LBB2268_60
; %bb.3:
                                        ; implicit-def: $vgpr1
	s_and_saveexec_b64 s[12:13], s[4:5]
	s_cbranch_execz .LBB2268_5
; %bb.4:
	v_mov_b32_e32 v15, 0
	v_lshl_add_u64 v[2:3], s[10:11], 0, v[14:15]
	flat_load_ushort v1, v[2:3]
.LBB2268_5:
	s_or_b64 exec, exec, s[12:13]
	v_or_b32_e32 v2, 0x200, v0
	v_cmp_gt_u32_e32 vcc, s33, v2
                                        ; implicit-def: $vgpr2
	s_and_saveexec_b64 s[4:5], vcc
	s_cbranch_execz .LBB2268_7
; %bb.6:
	v_mov_b32_e32 v15, 0
	v_lshl_add_u64 v[2:3], s[10:11], 0, v[14:15]
	flat_load_ushort v2, v[2:3] offset:1024
.LBB2268_7:
	s_or_b64 exec, exec, s[4:5]
	v_or_b32_e32 v3, 0x400, v0
	v_cmp_gt_u32_e32 vcc, s33, v3
                                        ; implicit-def: $vgpr3
	s_and_saveexec_b64 s[4:5], vcc
	s_cbranch_execz .LBB2268_9
; %bb.8:
	v_mov_b32_e32 v15, 0
	v_lshl_add_u64 v[4:5], s[10:11], 0, v[14:15]
	flat_load_ushort v3, v[4:5] offset:2048
.LBB2268_9:
	s_or_b64 exec, exec, s[4:5]
	v_or_b32_e32 v4, 0x600, v0
	v_cmp_gt_u32_e32 vcc, s33, v4
                                        ; implicit-def: $vgpr4
	s_and_saveexec_b64 s[4:5], vcc
	s_cbranch_execz .LBB2268_11
; %bb.10:
	v_mov_b32_e32 v15, 0
	v_lshl_add_u64 v[4:5], s[10:11], 0, v[14:15]
	flat_load_ushort v4, v[4:5] offset:3072
.LBB2268_11:
	s_or_b64 exec, exec, s[4:5]
	v_or_b32_e32 v6, 0x800, v0
	v_cmp_gt_u32_e32 vcc, s33, v6
                                        ; implicit-def: $vgpr5
	s_and_saveexec_b64 s[4:5], vcc
	s_cbranch_execz .LBB2268_13
; %bb.12:
	v_lshlrev_b32_e32 v6, 1, v6
	v_mov_b32_e32 v7, 0
	v_lshl_add_u64 v[6:7], s[10:11], 0, v[6:7]
	flat_load_ushort v5, v[6:7]
.LBB2268_13:
	s_or_b64 exec, exec, s[4:5]
	v_or_b32_e32 v7, 0xa00, v0
	v_cmp_gt_u32_e32 vcc, s33, v7
                                        ; implicit-def: $vgpr6
	s_and_saveexec_b64 s[4:5], vcc
	s_cbranch_execz .LBB2268_15
; %bb.14:
	v_lshlrev_b32_e32 v6, 1, v7
	v_mov_b32_e32 v7, 0
	v_lshl_add_u64 v[6:7], s[10:11], 0, v[6:7]
	flat_load_ushort v6, v[6:7]
.LBB2268_15:
	s_or_b64 exec, exec, s[4:5]
	v_or_b32_e32 v8, 0xc00, v0
	v_cmp_gt_u32_e32 vcc, s33, v8
                                        ; implicit-def: $vgpr7
	s_and_saveexec_b64 s[4:5], vcc
	s_cbranch_execz .LBB2268_17
; %bb.16:
	v_lshlrev_b32_e32 v8, 1, v8
	v_mov_b32_e32 v9, 0
	v_lshl_add_u64 v[8:9], s[10:11], 0, v[8:9]
	flat_load_ushort v7, v[8:9]
.LBB2268_17:
	s_or_b64 exec, exec, s[4:5]
	v_or_b32_e32 v9, 0xe00, v0
	v_cmp_gt_u32_e32 vcc, s33, v9
                                        ; implicit-def: $vgpr8
	s_and_saveexec_b64 s[4:5], vcc
	s_cbranch_execz .LBB2268_19
; %bb.18:
	v_lshlrev_b32_e32 v8, 1, v9
	v_mov_b32_e32 v9, 0
	v_lshl_add_u64 v[8:9], s[10:11], 0, v[8:9]
	flat_load_ushort v8, v[8:9]
.LBB2268_19:
	s_or_b64 exec, exec, s[4:5]
	v_or_b32_e32 v10, 0x1000, v0
	v_cmp_gt_u32_e32 vcc, s33, v10
                                        ; implicit-def: $vgpr9
	s_and_saveexec_b64 s[4:5], vcc
	s_cbranch_execz .LBB2268_21
; %bb.20:
	v_lshlrev_b32_e32 v10, 1, v10
	v_mov_b32_e32 v11, 0
	v_lshl_add_u64 v[10:11], s[10:11], 0, v[10:11]
	flat_load_ushort v9, v[10:11]
.LBB2268_21:
	s_or_b64 exec, exec, s[4:5]
	v_or_b32_e32 v11, 0x1200, v0
	v_cmp_gt_u32_e32 vcc, s33, v11
                                        ; implicit-def: $vgpr10
	s_and_saveexec_b64 s[4:5], vcc
	s_cbranch_execz .LBB2268_23
; %bb.22:
	v_lshlrev_b32_e32 v10, 1, v11
	v_mov_b32_e32 v11, 0
	v_lshl_add_u64 v[10:11], s[10:11], 0, v[10:11]
	flat_load_ushort v10, v[10:11]
.LBB2268_23:
	s_or_b64 exec, exec, s[4:5]
	v_or_b32_e32 v12, 0x1400, v0
	v_cmp_gt_u32_e32 vcc, s33, v12
                                        ; implicit-def: $vgpr11
	s_and_saveexec_b64 s[4:5], vcc
	s_cbranch_execz .LBB2268_25
; %bb.24:
	v_lshlrev_b32_e32 v12, 1, v12
	v_mov_b32_e32 v13, 0
	v_lshl_add_u64 v[12:13], s[10:11], 0, v[12:13]
	flat_load_ushort v11, v[12:13]
.LBB2268_25:
	s_or_b64 exec, exec, s[4:5]
	v_or_b32_e32 v13, 0x1600, v0
	v_cmp_gt_u32_e32 vcc, s33, v13
                                        ; implicit-def: $vgpr12
	s_and_saveexec_b64 s[4:5], vcc
	s_cbranch_execz .LBB2268_27
; %bb.26:
	v_lshlrev_b32_e32 v12, 1, v13
	v_mov_b32_e32 v13, 0
	v_lshl_add_u64 v[12:13], s[10:11], 0, v[12:13]
	flat_load_ushort v12, v[12:13]
.LBB2268_27:
	s_or_b64 exec, exec, s[4:5]
	v_or_b32_e32 v15, 0x1800, v0
	v_cmp_gt_u32_e32 vcc, s33, v15
                                        ; implicit-def: $vgpr13
	s_and_saveexec_b64 s[4:5], vcc
	s_cbranch_execz .LBB2268_29
; %bb.28:
	v_lshlrev_b32_e32 v16, 1, v15
	v_mov_b32_e32 v17, 0
	v_lshl_add_u64 v[16:17], s[10:11], 0, v[16:17]
	flat_load_ushort v13, v[16:17]
.LBB2268_29:
	s_or_b64 exec, exec, s[4:5]
	v_or_b32_e32 v16, 0x1a00, v0
	v_cmp_gt_u32_e32 vcc, s33, v16
                                        ; implicit-def: $vgpr15
	s_and_saveexec_b64 s[4:5], vcc
	s_cbranch_execz .LBB2268_31
; %bb.30:
	v_lshlrev_b32_e32 v16, 1, v16
	v_mov_b32_e32 v17, 0
	v_lshl_add_u64 v[16:17], s[10:11], 0, v[16:17]
	flat_load_ushort v15, v[16:17]
.LBB2268_31:
	s_or_b64 exec, exec, s[4:5]
	v_or_b32_e32 v17, 0x1c00, v0
	v_cmp_gt_u32_e32 vcc, s33, v17
                                        ; implicit-def: $vgpr16
	s_and_saveexec_b64 s[4:5], vcc
	s_cbranch_execz .LBB2268_33
; %bb.32:
	v_lshlrev_b32_e32 v16, 1, v17
	v_mov_b32_e32 v17, 0
	v_lshl_add_u64 v[16:17], s[10:11], 0, v[16:17]
	flat_load_ushort v16, v[16:17]
.LBB2268_33:
	s_or_b64 exec, exec, s[4:5]
	v_or_b32_e32 v18, 0x1e00, v0
	v_cmp_gt_u32_e32 vcc, s33, v18
                                        ; implicit-def: $vgpr17
	s_and_saveexec_b64 s[4:5], vcc
	s_cbranch_execz .LBB2268_35
; %bb.34:
	v_lshlrev_b32_e32 v18, 1, v18
	v_mov_b32_e32 v19, 0
	v_lshl_add_u64 v[18:19], s[10:11], 0, v[18:19]
	flat_load_ushort v17, v[18:19]
.LBB2268_35:
	s_or_b64 exec, exec, s[4:5]
	v_or_b32_e32 v19, 0x2000, v0
	v_cmp_gt_u32_e32 vcc, s33, v19
                                        ; implicit-def: $vgpr18
	s_and_saveexec_b64 s[4:5], vcc
	s_cbranch_execz .LBB2268_37
; %bb.36:
	v_lshlrev_b32_e32 v18, 1, v19
	v_mov_b32_e32 v19, 0
	v_lshl_add_u64 v[18:19], s[10:11], 0, v[18:19]
	flat_load_ushort v18, v[18:19]
.LBB2268_37:
	s_or_b64 exec, exec, s[4:5]
	v_or_b32_e32 v20, 0x2200, v0
	v_cmp_gt_u32_e32 vcc, s33, v20
                                        ; implicit-def: $vgpr19
	s_and_saveexec_b64 s[4:5], vcc
	s_cbranch_execz .LBB2268_39
; %bb.38:
	v_lshlrev_b32_e32 v20, 1, v20
	v_mov_b32_e32 v21, 0
	v_lshl_add_u64 v[20:21], s[10:11], 0, v[20:21]
	flat_load_ushort v19, v[20:21]
.LBB2268_39:
	s_or_b64 exec, exec, s[4:5]
	v_or_b32_e32 v21, 0x2400, v0
	v_cmp_gt_u32_e32 vcc, s33, v21
                                        ; implicit-def: $vgpr20
	s_and_saveexec_b64 s[4:5], vcc
	s_cbranch_execz .LBB2268_41
; %bb.40:
	v_lshlrev_b32_e32 v20, 1, v21
	v_mov_b32_e32 v21, 0
	v_lshl_add_u64 v[20:21], s[10:11], 0, v[20:21]
	flat_load_ushort v20, v[20:21]
.LBB2268_41:
	s_or_b64 exec, exec, s[4:5]
	v_or_b32_e32 v22, 0x2600, v0
	v_cmp_gt_u32_e32 vcc, s33, v22
                                        ; implicit-def: $vgpr21
	s_and_saveexec_b64 s[4:5], vcc
	s_cbranch_execz .LBB2268_43
; %bb.42:
	v_lshlrev_b32_e32 v22, 1, v22
	v_mov_b32_e32 v23, 0
	v_lshl_add_u64 v[22:23], s[10:11], 0, v[22:23]
	flat_load_ushort v21, v[22:23]
.LBB2268_43:
	s_or_b64 exec, exec, s[4:5]
	v_or_b32_e32 v23, 0x2800, v0
	v_cmp_gt_u32_e32 vcc, s33, v23
                                        ; implicit-def: $vgpr22
	s_and_saveexec_b64 s[4:5], vcc
	s_cbranch_execz .LBB2268_45
; %bb.44:
	v_lshlrev_b32_e32 v22, 1, v23
	v_mov_b32_e32 v23, 0
	v_lshl_add_u64 v[22:23], s[10:11], 0, v[22:23]
	flat_load_ushort v22, v[22:23]
.LBB2268_45:
	s_or_b64 exec, exec, s[4:5]
	v_or_b32_e32 v24, 0x2a00, v0
	v_cmp_gt_u32_e32 vcc, s33, v24
                                        ; implicit-def: $vgpr23
	s_and_saveexec_b64 s[4:5], vcc
	s_cbranch_execz .LBB2268_47
; %bb.46:
	v_lshlrev_b32_e32 v24, 1, v24
	v_mov_b32_e32 v25, 0
	v_lshl_add_u64 v[24:25], s[10:11], 0, v[24:25]
	flat_load_ushort v23, v[24:25]
.LBB2268_47:
	s_or_b64 exec, exec, s[4:5]
	v_or_b32_e32 v25, 0x2c00, v0
	v_cmp_gt_u32_e32 vcc, s33, v25
                                        ; implicit-def: $vgpr24
	s_and_saveexec_b64 s[4:5], vcc
	s_cbranch_execz .LBB2268_49
; %bb.48:
	v_lshlrev_b32_e32 v24, 1, v25
	v_mov_b32_e32 v25, 0
	v_lshl_add_u64 v[24:25], s[10:11], 0, v[24:25]
	flat_load_ushort v24, v[24:25]
.LBB2268_49:
	s_or_b64 exec, exec, s[4:5]
	v_or_b32_e32 v26, 0x2e00, v0
	v_cmp_gt_u32_e32 vcc, s33, v26
                                        ; implicit-def: $vgpr25
	s_and_saveexec_b64 s[4:5], vcc
	s_cbranch_execz .LBB2268_51
; %bb.50:
	v_lshlrev_b32_e32 v26, 1, v26
	v_mov_b32_e32 v27, 0
	v_lshl_add_u64 v[26:27], s[10:11], 0, v[26:27]
	flat_load_ushort v25, v[26:27]
.LBB2268_51:
	s_or_b64 exec, exec, s[4:5]
	v_or_b32_e32 v27, 0x3000, v0
	v_cmp_gt_u32_e32 vcc, s33, v27
                                        ; implicit-def: $vgpr26
	s_and_saveexec_b64 s[4:5], vcc
	s_cbranch_execz .LBB2268_53
; %bb.52:
	v_lshlrev_b32_e32 v26, 1, v27
	v_mov_b32_e32 v27, 0
	v_lshl_add_u64 v[26:27], s[10:11], 0, v[26:27]
	flat_load_ushort v26, v[26:27]
.LBB2268_53:
	s_or_b64 exec, exec, s[4:5]
	v_or_b32_e32 v28, 0x3200, v0
	v_cmp_gt_u32_e32 vcc, s33, v28
                                        ; implicit-def: $vgpr27
	s_and_saveexec_b64 s[4:5], vcc
	s_cbranch_execz .LBB2268_55
; %bb.54:
	v_lshlrev_b32_e32 v28, 1, v28
	v_mov_b32_e32 v29, 0
	v_lshl_add_u64 v[28:29], s[10:11], 0, v[28:29]
	flat_load_ushort v27, v[28:29]
.LBB2268_55:
	s_or_b64 exec, exec, s[4:5]
	v_or_b32_e32 v29, 0x3400, v0
	v_cmp_gt_u32_e32 vcc, s33, v29
                                        ; implicit-def: $vgpr28
	s_and_saveexec_b64 s[4:5], vcc
	s_cbranch_execz .LBB2268_57
; %bb.56:
	v_lshlrev_b32_e32 v28, 1, v29
	v_mov_b32_e32 v29, 0
	v_lshl_add_u64 v[28:29], s[10:11], 0, v[28:29]
	flat_load_ushort v28, v[28:29]
.LBB2268_57:
	s_or_b64 exec, exec, s[4:5]
	v_or_b32_e32 v30, 0x3600, v0
	v_cmp_gt_u32_e32 vcc, s33, v30
                                        ; implicit-def: $vgpr29
	s_and_saveexec_b64 s[4:5], vcc
	s_cbranch_execz .LBB2268_59
; %bb.58:
	v_lshlrev_b32_e32 v30, 1, v30
	v_mov_b32_e32 v31, 0
	v_lshl_add_u64 v[30:31], s[10:11], 0, v[30:31]
	flat_load_ushort v29, v[30:31]
.LBB2268_59:
	s_or_b64 exec, exec, s[4:5]
	s_waitcnt vmcnt(0) lgkmcnt(0)
	ds_write_b16 v14, v1
	ds_write_b16 v14, v2 offset:1024
	ds_write_b16 v14, v3 offset:2048
	;; [unrolled: 1-line block ×27, first 2 shown]
	s_waitcnt lgkmcnt(0)
	s_barrier
.LBB2268_60:
	v_mul_u32_u24_e32 v1, 28, v0
	v_lshlrev_b32_e32 v6, 1, v1
	s_waitcnt lgkmcnt(0)
	ds_read_b64 v[16:17], v6 offset:48
	ds_read2_b64 v[2:5], v6 offset0:4 offset1:5
	ds_read2_b64 v[10:13], v6 offset1:1
	ds_read2_b64 v[6:9], v6 offset0:2 offset1:3
	s_add_u32 s3, s6, s8
	s_addc_u32 s5, s7, s9
	s_add_u32 s4, s3, s30
	s_addc_u32 s5, s5, s31
	s_mov_b64 s[6:7], -1
	s_and_b64 vcc, exec, s[24:25]
	s_waitcnt lgkmcnt(0)
	s_barrier
	s_cbranch_vccz .LBB2268_62
; %bb.61:
	v_mov_b32_e32 v15, 0
	v_lshl_add_u64 v[18:19], s[4:5], 0, v[14:15]
	s_movk_i32 s3, 0x1000
	v_add_co_u32_e32 v20, vcc, s3, v18
	s_movk_i32 s3, 0x2000
	s_nop 0
	v_addc_co_u32_e32 v21, vcc, 0, v19, vcc
	v_add_co_u32_e32 v22, vcc, s3, v18
	s_movk_i32 s6, 0x4000
	s_nop 0
	v_addc_co_u32_e32 v23, vcc, 0, v19, vcc
	global_load_ubyte v15, v14, s[4:5]
	global_load_ubyte v24, v14, s[4:5] offset:1024
	global_load_ubyte v25, v14, s[4:5] offset:2048
	global_load_ubyte v26, v14, s[4:5] offset:3072
	global_load_ubyte v27, v[20:21], off offset:1024
	global_load_ubyte v28, v[20:21], off offset:2048
	;; [unrolled: 1-line block ×3, first 2 shown]
	global_load_ubyte v30, v[22:23], off offset:-4096
	global_load_ubyte v31, v[22:23], off
	global_load_ubyte v32, v[22:23], off offset:1024
	v_add_co_u32_e32 v20, vcc, s6, v18
	s_movk_i32 s3, 0x3000
	s_nop 0
	v_addc_co_u32_e32 v21, vcc, 0, v19, vcc
	global_load_ubyte v33, v[22:23], off offset:2048
	global_load_ubyte v34, v[22:23], off offset:3072
	global_load_ubyte v35, v[20:21], off offset:-4096
	v_add_co_u32_e32 v22, vcc, s3, v18
	s_movk_i32 s6, 0x6000
	s_nop 0
	v_addc_co_u32_e32 v23, vcc, 0, v19, vcc
	global_load_ubyte v36, v[22:23], off offset:1024
	global_load_ubyte v37, v[22:23], off offset:2048
	;; [unrolled: 1-line block ×3, first 2 shown]
	global_load_ubyte v39, v[20:21], off
	v_add_co_u32_e32 v22, vcc, s6, v18
	s_movk_i32 s3, 0x5000
	s_nop 0
	v_addc_co_u32_e32 v23, vcc, 0, v19, vcc
	v_add_co_u32_e32 v18, vcc, s3, v18
	global_load_ubyte v40, v[20:21], off offset:1024
	global_load_ubyte v41, v[20:21], off offset:2048
	;; [unrolled: 1-line block ×3, first 2 shown]
	global_load_ubyte v43, v[22:23], off offset:-4096
	v_addc_co_u32_e32 v19, vcc, 0, v19, vcc
	global_load_ubyte v20, v[18:19], off offset:1024
	global_load_ubyte v21, v[18:19], off offset:2048
	;; [unrolled: 1-line block ×3, first 2 shown]
	global_load_ubyte v45, v[22:23], off
	global_load_ubyte v46, v[22:23], off offset:1024
	global_load_ubyte v47, v[22:23], off offset:2048
	;; [unrolled: 1-line block ×3, first 2 shown]
	s_mov_b64 s[6:7], 0
	s_waitcnt vmcnt(23)
	v_xor_b32_e32 v23, -1, v27
	v_xor_b32_e32 v15, -1, v15
	v_xor_b32_e32 v18, -1, v24
	v_xor_b32_e32 v19, -1, v25
	v_xor_b32_e32 v22, -1, v26
	v_and_b32_e32 v15, 1, v15
	s_waitcnt vmcnt(22)
	v_xor_b32_e32 v24, -1, v28
	s_waitcnt vmcnt(21)
	v_xor_b32_e32 v25, -1, v29
	;; [unrolled: 2-line block ×12, first 2 shown]
	v_and_b32_e32 v18, 1, v18
	v_and_b32_e32 v19, 1, v19
	;; [unrolled: 1-line block ×4, first 2 shown]
	s_waitcnt vmcnt(10)
	v_xor_b32_e32 v36, -1, v40
	s_waitcnt vmcnt(9)
	v_xor_b32_e32 v37, -1, v41
	;; [unrolled: 2-line block ×11, first 2 shown]
	v_and_b32_e32 v24, 1, v24
	v_and_b32_e32 v25, 1, v25
	;; [unrolled: 1-line block ×23, first 2 shown]
	ds_write_b8 v0, v15
	ds_write_b8 v0, v18 offset:512
	ds_write_b8 v0, v19 offset:1024
	;; [unrolled: 1-line block ×27, first 2 shown]
	s_waitcnt lgkmcnt(0)
	s_barrier
.LBB2268_62:
	s_load_dwordx2 s[34:35], s[0:1], 0x70
	s_andn2_b64 vcc, exec, s[6:7]
	s_cbranch_vccnz .LBB2268_120
; %bb.63:
	v_cmp_gt_u32_e32 vcc, s33, v0
	v_mov_b32_e32 v15, 0
	v_mov_b32_e32 v18, 0
	s_and_saveexec_b64 s[6:7], vcc
	s_cbranch_execz .LBB2268_65
; %bb.64:
	global_load_ubyte v18, v14, s[4:5]
	s_waitcnt vmcnt(0)
	v_xor_b32_e32 v18, -1, v18
	v_and_b32_e32 v18, 1, v18
.LBB2268_65:
	s_or_b64 exec, exec, s[6:7]
	v_or_b32_e32 v19, 0x200, v0
	v_cmp_gt_u32_e32 vcc, s33, v19
	s_and_saveexec_b64 s[6:7], vcc
	s_cbranch_execz .LBB2268_67
; %bb.66:
	global_load_ubyte v15, v14, s[4:5] offset:1024
	s_waitcnt vmcnt(0)
	v_xor_b32_e32 v15, -1, v15
	v_and_b32_e32 v15, 1, v15
.LBB2268_67:
	s_or_b64 exec, exec, s[6:7]
	v_or_b32_e32 v19, 0x400, v0
	v_cmp_gt_u32_e32 vcc, s33, v19
	v_mov_b32_e32 v19, 0
	v_mov_b32_e32 v20, 0
	s_and_saveexec_b64 s[6:7], vcc
	s_cbranch_execz .LBB2268_69
; %bb.68:
	global_load_ubyte v20, v14, s[4:5] offset:2048
	s_waitcnt vmcnt(0)
	v_xor_b32_e32 v20, -1, v20
	v_and_b32_e32 v20, 1, v20
.LBB2268_69:
	s_or_b64 exec, exec, s[6:7]
	v_or_b32_e32 v21, 0x600, v0
	v_cmp_gt_u32_e32 vcc, s33, v21
	s_and_saveexec_b64 s[6:7], vcc
	s_cbranch_execz .LBB2268_71
; %bb.70:
	global_load_ubyte v19, v14, s[4:5] offset:3072
	s_waitcnt vmcnt(0)
	v_xor_b32_e32 v19, -1, v19
	v_and_b32_e32 v19, 1, v19
.LBB2268_71:
	s_or_b64 exec, exec, s[6:7]
	v_or_b32_e32 v23, 0x800, v0
	v_cmp_gt_u32_e32 vcc, s33, v23
	v_mov_b32_e32 v21, 0
	v_mov_b32_e32 v22, 0
	s_and_saveexec_b64 s[6:7], vcc
	s_cbranch_execz .LBB2268_73
; %bb.72:
	v_lshlrev_b32_e32 v22, 1, v23
	global_load_ubyte v22, v22, s[4:5]
	s_waitcnt vmcnt(0)
	v_xor_b32_e32 v22, -1, v22
	v_and_b32_e32 v22, 1, v22
.LBB2268_73:
	s_or_b64 exec, exec, s[6:7]
	v_or_b32_e32 v23, 0xa00, v0
	v_cmp_gt_u32_e32 vcc, s33, v23
	s_and_saveexec_b64 s[6:7], vcc
	s_cbranch_execz .LBB2268_75
; %bb.74:
	v_lshlrev_b32_e32 v21, 1, v23
	global_load_ubyte v21, v21, s[4:5]
	s_waitcnt vmcnt(0)
	v_xor_b32_e32 v21, -1, v21
	v_and_b32_e32 v21, 1, v21
.LBB2268_75:
	s_or_b64 exec, exec, s[6:7]
	v_or_b32_e32 v25, 0xc00, v0
	v_cmp_gt_u32_e32 vcc, s33, v25
	v_mov_b32_e32 v23, 0
	v_mov_b32_e32 v24, 0
	s_and_saveexec_b64 s[6:7], vcc
	s_cbranch_execz .LBB2268_77
; %bb.76:
	v_lshlrev_b32_e32 v24, 1, v25
	global_load_ubyte v24, v24, s[4:5]
	s_waitcnt vmcnt(0)
	v_xor_b32_e32 v24, -1, v24
	v_and_b32_e32 v24, 1, v24
.LBB2268_77:
	s_or_b64 exec, exec, s[6:7]
	v_or_b32_e32 v25, 0xe00, v0
	v_cmp_gt_u32_e32 vcc, s33, v25
	s_and_saveexec_b64 s[6:7], vcc
	s_cbranch_execz .LBB2268_79
; %bb.78:
	v_lshlrev_b32_e32 v23, 1, v25
	global_load_ubyte v23, v23, s[4:5]
	s_waitcnt vmcnt(0)
	v_xor_b32_e32 v23, -1, v23
	v_and_b32_e32 v23, 1, v23
.LBB2268_79:
	;; [unrolled: 26-line block ×12, first 2 shown]
	s_or_b64 exec, exec, s[6:7]
	ds_write_b8 v0, v18
	ds_write_b8 v0, v15 offset:512
	ds_write_b8 v0, v20 offset:1024
	;; [unrolled: 1-line block ×27, first 2 shown]
	s_waitcnt lgkmcnt(0)
	s_barrier
.LBB2268_120:
	s_waitcnt lgkmcnt(0)
	ds_read2_b32 v[24:25], v1 offset1:1
	ds_read2_b32 v[22:23], v1 offset0:2 offset1:3
	ds_read2_b32 v[20:21], v1 offset0:4 offset1:5
	ds_read_b32 v34, v1 offset:24
	s_cmp_lg_u32 s2, 0
	v_lshrrev_b32_e32 v61, 6, v0
	s_waitcnt lgkmcnt(2)
	v_and_b32_e32 v53, 0xff, v22
	v_lshrrev_b32_e32 v41, 24, v24
	v_bfe_u32 v59, v24, 16, 8
	v_add_u32_sdwa v18, v24, v24 dst_sel:DWORD dst_unused:UNUSED_PAD src0_sel:BYTE_1 src1_sel:BYTE_0
	v_and_b32_e32 v56, 0xff, v25
	v_bfe_u32 v57, v25, 8, 8
	v_add3_u32 v18, v18, v59, v41
	v_lshrrev_b32_e32 v40, 24, v25
	v_bfe_u32 v58, v25, 16, 8
	v_add3_u32 v18, v18, v56, v57
	v_bfe_u32 v54, v22, 8, 8
	v_add3_u32 v18, v18, v58, v40
	v_lshrrev_b32_e32 v39, 24, v22
	v_bfe_u32 v55, v22, 16, 8
	v_add3_u32 v18, v18, v53, v54
	v_and_b32_e32 v50, 0xff, v23
	v_bfe_u32 v51, v23, 8, 8
	v_add3_u32 v18, v18, v55, v39
	v_lshrrev_b32_e32 v38, 24, v23
	v_bfe_u32 v52, v23, 16, 8
	v_add3_u32 v18, v18, v50, v51
	s_waitcnt lgkmcnt(1)
	v_and_b32_e32 v47, 0xff, v20
	v_bfe_u32 v48, v20, 8, 8
	v_add3_u32 v18, v18, v52, v38
	v_lshrrev_b32_e32 v37, 24, v20
	v_bfe_u32 v49, v20, 16, 8
	v_add3_u32 v18, v18, v47, v48
	v_and_b32_e32 v44, 0xff, v21
	v_bfe_u32 v45, v21, 8, 8
	v_add3_u32 v18, v18, v49, v37
	v_lshrrev_b32_e32 v36, 24, v21
	v_bfe_u32 v46, v21, 16, 8
	v_add3_u32 v18, v18, v44, v45
	s_waitcnt lgkmcnt(0)
	v_and_b32_e32 v42, 0xff, v34
	v_bfe_u32 v43, v34, 8, 8
	v_add3_u32 v18, v18, v46, v36
	v_lshrrev_b32_e32 v15, 24, v34
	v_bfe_u32 v35, v34, 16, 8
	v_add3_u32 v18, v18, v42, v43
	v_add3_u32 v62, v18, v35, v15
	v_mbcnt_lo_u32_b32 v18, -1, 0
	v_mbcnt_hi_u32_b32 v60, -1, v18
	v_and_b32_e32 v18, 15, v60
	v_cmp_eq_u32_e64 s[14:15], 0, v18
	v_cmp_lt_u32_e64 s[12:13], 1, v18
	v_cmp_lt_u32_e64 s[10:11], 3, v18
	;; [unrolled: 1-line block ×3, first 2 shown]
	v_and_b32_e32 v18, 16, v60
	v_cmp_eq_u32_e64 s[6:7], 0, v18
	v_or_b32_e32 v18, 63, v0
	v_cmp_lt_u32_e64 s[18:19], 31, v60
	v_cmp_eq_u32_e64 s[4:5], v18, v0
	s_barrier
	s_cbranch_scc0 .LBB2268_147
; %bb.121:
	v_mov_b32_dpp v18, v62 row_shr:1 row_mask:0xf bank_mask:0xf
	v_cndmask_b32_e64 v18, v18, 0, s[14:15]
	v_add_u32_e32 v18, v18, v62
	s_nop 1
	v_mov_b32_dpp v19, v18 row_shr:2 row_mask:0xf bank_mask:0xf
	v_cndmask_b32_e64 v19, 0, v19, s[12:13]
	v_add_u32_e32 v18, v18, v19
	s_nop 1
	;; [unrolled: 4-line block ×4, first 2 shown]
	v_mov_b32_dpp v19, v18 row_bcast:15 row_mask:0xf bank_mask:0xf
	v_cndmask_b32_e64 v19, v19, 0, s[6:7]
	v_add_u32_e32 v18, v18, v19
	s_nop 1
	v_mov_b32_dpp v19, v18 row_bcast:31 row_mask:0xf bank_mask:0xf
	v_cndmask_b32_e64 v19, 0, v19, s[18:19]
	v_add_u32_e32 v18, v18, v19
	s_and_saveexec_b64 s[16:17], s[4:5]
	s_cbranch_execz .LBB2268_123
; %bb.122:
	v_lshlrev_b32_e32 v19, 2, v61
	ds_write_b32 v19, v18
.LBB2268_123:
	s_or_b64 exec, exec, s[16:17]
	v_cmp_gt_u32_e32 vcc, 8, v0
	s_waitcnt lgkmcnt(0)
	s_barrier
	s_and_saveexec_b64 s[16:17], vcc
	s_cbranch_execz .LBB2268_125
; %bb.124:
	v_lshlrev_b32_e32 v19, 2, v0
	ds_read_b32 v26, v19
	v_and_b32_e32 v27, 7, v60
	v_cmp_ne_u32_e32 vcc, 0, v27
	s_waitcnt lgkmcnt(0)
	v_mov_b32_dpp v28, v26 row_shr:1 row_mask:0xf bank_mask:0xf
	v_cndmask_b32_e32 v28, 0, v28, vcc
	v_add_u32_e32 v26, v28, v26
	v_cmp_lt_u32_e32 vcc, 1, v27
	s_nop 0
	v_mov_b32_dpp v28, v26 row_shr:2 row_mask:0xf bank_mask:0xf
	v_cndmask_b32_e32 v28, 0, v28, vcc
	v_add_u32_e32 v26, v26, v28
	v_cmp_lt_u32_e32 vcc, 3, v27
	s_nop 0
	v_mov_b32_dpp v28, v26 row_shr:4 row_mask:0xf bank_mask:0xf
	v_cndmask_b32_e32 v27, 0, v28, vcc
	v_add_u32_e32 v26, v26, v27
	ds_write_b32 v19, v26
.LBB2268_125:
	s_or_b64 exec, exec, s[16:17]
	v_cmp_gt_u32_e32 vcc, 64, v0
	v_cmp_lt_u32_e64 s[16:17], 63, v0
	s_waitcnt lgkmcnt(0)
	s_barrier
	s_waitcnt lgkmcnt(0)
                                        ; implicit-def: $vgpr63
	s_and_saveexec_b64 s[36:37], s[16:17]
	s_cbranch_execz .LBB2268_127
; %bb.126:
	v_lshl_add_u32 v19, v61, 2, -4
	ds_read_b32 v63, v19
	s_waitcnt lgkmcnt(0)
	v_add_u32_e32 v18, v63, v18
.LBB2268_127:
	s_or_b64 exec, exec, s[36:37]
	v_add_u32_e32 v19, -1, v60
	v_and_b32_e32 v26, 64, v60
	v_cmp_lt_i32_e64 s[16:17], v19, v26
	s_nop 1
	v_cndmask_b32_e64 v19, v19, v60, s[16:17]
	v_lshlrev_b32_e32 v19, 2, v19
	ds_bpermute_b32 v64, v19, v18
	v_cmp_eq_u32_e64 s[16:17], 0, v60
	s_and_saveexec_b64 s[36:37], vcc
	s_cbranch_execz .LBB2268_146
; %bb.128:
	v_mov_b32_e32 v31, 0
	ds_read_b32 v18, v31 offset:28
	s_and_saveexec_b64 s[38:39], s[16:17]
	s_cbranch_execz .LBB2268_130
; %bb.129:
	s_add_i32 s40, s2, 64
	s_mov_b32 s41, 0
	s_lshl_b64 s[40:41], s[40:41], 3
	s_add_u32 s40, s34, s40
	v_mov_b32_e32 v19, 1
	s_addc_u32 s41, s35, s41
	s_waitcnt lgkmcnt(0)
	global_store_dwordx2 v31, v[18:19], s[40:41] sc1
.LBB2268_130:
	s_or_b64 exec, exec, s[38:39]
	v_xad_u32 v26, v60, -1, s2
	v_add_u32_e32 v30, 64, v26
	v_lshl_add_u64 v[32:33], v[30:31], 3, s[34:35]
	global_load_dwordx2 v[28:29], v[32:33], off sc1
	s_waitcnt vmcnt(0)
	v_cmp_eq_u16_sdwa s[40:41], v29, v31 src0_sel:BYTE_0 src1_sel:DWORD
	s_and_saveexec_b64 s[38:39], s[40:41]
	s_cbranch_execz .LBB2268_134
; %bb.131:
	s_mov_b64 s[40:41], 0
	v_mov_b32_e32 v19, 0
.LBB2268_132:                           ; =>This Inner Loop Header: Depth=1
	global_load_dwordx2 v[28:29], v[32:33], off sc1
	s_waitcnt vmcnt(0)
	v_cmp_ne_u16_sdwa s[42:43], v29, v19 src0_sel:BYTE_0 src1_sel:DWORD
	s_or_b64 s[40:41], s[42:43], s[40:41]
	s_andn2_b64 exec, exec, s[40:41]
	s_cbranch_execnz .LBB2268_132
; %bb.133:
	s_or_b64 exec, exec, s[40:41]
.LBB2268_134:
	s_or_b64 exec, exec, s[38:39]
	v_and_b32_e32 v66, 63, v60
	v_mov_b32_e32 v65, 2
	v_cmp_ne_u32_e32 vcc, 63, v66
	v_cmp_eq_u16_sdwa s[38:39], v29, v65 src0_sel:BYTE_0 src1_sel:DWORD
	v_lshlrev_b64 v[30:31], v60, -1
	v_addc_co_u32_e32 v32, vcc, 0, v60, vcc
	v_and_b32_e32 v19, s39, v31
	v_lshlrev_b32_e32 v67, 2, v32
	v_or_b32_e32 v19, 0x80000000, v19
	ds_bpermute_b32 v32, v67, v28
	v_and_b32_e32 v27, s38, v30
	v_ffbl_b32_e32 v19, v19
	v_add_u32_e32 v19, 32, v19
	v_ffbl_b32_e32 v27, v27
	v_min_u32_e32 v19, v27, v19
	v_cmp_lt_u32_e32 vcc, v66, v19
	v_add_u32_e32 v69, 2, v66
	v_add_u32_e32 v71, 4, v66
	s_waitcnt lgkmcnt(0)
	v_cndmask_b32_e32 v27, 0, v32, vcc
	v_cmp_gt_u32_e32 vcc, 62, v66
	v_add_u32_e32 v27, v27, v28
	v_add_u32_e32 v73, 8, v66
	v_cndmask_b32_e64 v28, 0, 1, vcc
	v_lshlrev_b32_e32 v28, 1, v28
	v_add_lshl_u32 v68, v28, v60, 2
	ds_bpermute_b32 v28, v68, v27
	v_cmp_le_u32_e32 vcc, v69, v19
	v_add_u32_e32 v75, 16, v66
	v_add_u32_e32 v77, 32, v66
	s_waitcnt lgkmcnt(0)
	v_cndmask_b32_e32 v28, 0, v28, vcc
	v_cmp_gt_u32_e32 vcc, 60, v66
	v_add_u32_e32 v27, v27, v28
	s_nop 0
	v_cndmask_b32_e64 v28, 0, 1, vcc
	v_lshlrev_b32_e32 v28, 2, v28
	v_add_lshl_u32 v70, v28, v60, 2
	ds_bpermute_b32 v28, v70, v27
	v_cmp_le_u32_e32 vcc, v71, v19
	s_waitcnt lgkmcnt(0)
	s_nop 0
	v_cndmask_b32_e32 v28, 0, v28, vcc
	v_cmp_gt_u32_e32 vcc, 56, v66
	v_add_u32_e32 v27, v27, v28
	s_nop 0
	v_cndmask_b32_e64 v28, 0, 1, vcc
	v_lshlrev_b32_e32 v28, 3, v28
	v_add_lshl_u32 v72, v28, v60, 2
	ds_bpermute_b32 v28, v72, v27
	v_cmp_le_u32_e32 vcc, v73, v19
	s_waitcnt lgkmcnt(0)
	s_nop 0
	;; [unrolled: 11-line block ×4, first 2 shown]
	v_cndmask_b32_e32 v19, 0, v28, vcc
	v_add_u32_e32 v28, v27, v19
	v_mov_b32_e32 v27, 0
	s_branch .LBB2268_136
.LBB2268_135:                           ;   in Loop: Header=BB2268_136 Depth=1
	s_or_b64 exec, exec, s[38:39]
	v_cmp_eq_u16_sdwa s[38:39], v29, v65 src0_sel:BYTE_0 src1_sel:DWORD
	ds_bpermute_b32 v78, v67, v28
	v_subrev_u32_e32 v26, 64, v26
	v_and_b32_e32 v32, s39, v31
	v_or_b32_e32 v32, 0x80000000, v32
	v_and_b32_e32 v33, s38, v30
	v_ffbl_b32_e32 v32, v32
	v_add_u32_e32 v32, 32, v32
	v_ffbl_b32_e32 v33, v33
	v_min_u32_e32 v32, v33, v32
	v_cmp_lt_u32_e32 vcc, v66, v32
	s_waitcnt lgkmcnt(0)
	s_nop 0
	v_cndmask_b32_e32 v33, 0, v78, vcc
	v_add_u32_e32 v28, v33, v28
	ds_bpermute_b32 v33, v68, v28
	v_cmp_le_u32_e32 vcc, v69, v32
	s_waitcnt lgkmcnt(0)
	s_nop 0
	v_cndmask_b32_e32 v33, 0, v33, vcc
	v_add_u32_e32 v28, v28, v33
	ds_bpermute_b32 v33, v70, v28
	v_cmp_le_u32_e32 vcc, v71, v32
	;; [unrolled: 6-line block ×5, first 2 shown]
	s_waitcnt lgkmcnt(0)
	s_nop 0
	v_cndmask_b32_e32 v32, 0, v33, vcc
	v_add3_u32 v28, v32, v19, v28
.LBB2268_136:                           ; =>This Loop Header: Depth=1
                                        ;     Child Loop BB2268_139 Depth 2
	v_cmp_ne_u16_sdwa s[38:39], v29, v65 src0_sel:BYTE_0 src1_sel:DWORD
	s_nop 1
	v_cndmask_b32_e64 v19, 0, 1, s[38:39]
	;;#ASMSTART
	;;#ASMEND
	s_nop 0
	v_cmp_ne_u32_e32 vcc, 0, v19
	s_cmp_lg_u64 vcc, exec
	v_mov_b32_e32 v19, v28
	s_cbranch_scc1 .LBB2268_141
; %bb.137:                              ;   in Loop: Header=BB2268_136 Depth=1
	v_lshl_add_u64 v[32:33], v[26:27], 3, s[34:35]
	global_load_dwordx2 v[28:29], v[32:33], off sc1
	s_waitcnt vmcnt(0)
	v_cmp_eq_u16_sdwa s[40:41], v29, v27 src0_sel:BYTE_0 src1_sel:DWORD
	s_and_saveexec_b64 s[38:39], s[40:41]
	s_cbranch_execz .LBB2268_135
; %bb.138:                              ;   in Loop: Header=BB2268_136 Depth=1
	s_mov_b64 s[40:41], 0
.LBB2268_139:                           ;   Parent Loop BB2268_136 Depth=1
                                        ; =>  This Inner Loop Header: Depth=2
	global_load_dwordx2 v[28:29], v[32:33], off sc1
	s_waitcnt vmcnt(0)
	v_cmp_ne_u16_sdwa s[42:43], v29, v27 src0_sel:BYTE_0 src1_sel:DWORD
	s_or_b64 s[40:41], s[42:43], s[40:41]
	s_andn2_b64 exec, exec, s[40:41]
	s_cbranch_execnz .LBB2268_139
; %bb.140:                              ;   in Loop: Header=BB2268_136 Depth=1
	s_or_b64 exec, exec, s[40:41]
	s_branch .LBB2268_135
.LBB2268_141:                           ;   in Loop: Header=BB2268_136 Depth=1
                                        ; implicit-def: $vgpr28
                                        ; implicit-def: $vgpr29
	s_cbranch_execz .LBB2268_136
; %bb.142:
	s_and_saveexec_b64 s[38:39], s[16:17]
	s_cbranch_execz .LBB2268_144
; %bb.143:
	s_add_i32 s2, s2, 64
	s_mov_b32 s3, 0
	s_lshl_b64 s[2:3], s[2:3], 3
	s_add_u32 s2, s34, s2
	v_add_u32_e32 v26, v19, v18
	v_mov_b32_e32 v27, 2
	s_addc_u32 s3, s35, s3
	v_mov_b32_e32 v28, 0
	global_store_dwordx2 v28, v[26:27], s[2:3] sc1
	ds_write_b64 v28, v[18:19] offset:28672
.LBB2268_144:
	s_or_b64 exec, exec, s[38:39]
	v_cmp_eq_u32_e32 vcc, 0, v0
	s_and_b64 exec, exec, vcc
	s_cbranch_execz .LBB2268_146
; %bb.145:
	v_mov_b32_e32 v18, 0
	ds_write_b32 v18, v19 offset:28
.LBB2268_146:
	s_or_b64 exec, exec, s[36:37]
	v_mov_b32_e32 v18, 0
	s_waitcnt lgkmcnt(0)
	s_barrier
	ds_read_b32 v27, v18 offset:28
	s_waitcnt lgkmcnt(0)
	s_barrier
	ds_read_b64 v[18:19], v18 offset:28672
	v_cndmask_b32_e64 v26, v64, v63, s[16:17]
	v_cmp_ne_u32_e32 vcc, 0, v0
	s_nop 1
	v_cndmask_b32_e32 v26, 0, v26, vcc
	v_add_u32_e32 v32, v27, v26
	s_waitcnt lgkmcnt(0)
	v_mov_b32_e32 v26, v19
	s_branch .LBB2268_157
.LBB2268_147:
                                        ; implicit-def: $vgpr26
                                        ; implicit-def: $vgpr18
                                        ; implicit-def: $vgpr32
	s_cbranch_execz .LBB2268_157
; %bb.148:
	s_nop 0
	v_mov_b32_dpp v18, v62 row_shr:1 row_mask:0xf bank_mask:0xf
	v_cndmask_b32_e64 v18, v18, 0, s[14:15]
	v_add_u32_e32 v18, v18, v62
	s_nop 1
	v_mov_b32_dpp v19, v18 row_shr:2 row_mask:0xf bank_mask:0xf
	v_cndmask_b32_e64 v19, 0, v19, s[12:13]
	v_add_u32_e32 v18, v18, v19
	;; [unrolled: 4-line block ×4, first 2 shown]
	s_nop 1
	v_mov_b32_dpp v19, v18 row_bcast:15 row_mask:0xf bank_mask:0xf
	v_cndmask_b32_e64 v19, v19, 0, s[6:7]
	v_add_u32_e32 v18, v18, v19
	s_nop 1
	v_mov_b32_dpp v19, v18 row_bcast:31 row_mask:0xf bank_mask:0xf
	v_cndmask_b32_e64 v19, 0, v19, s[18:19]
	v_add_u32_e32 v18, v18, v19
	s_and_saveexec_b64 s[2:3], s[4:5]
	s_cbranch_execz .LBB2268_150
; %bb.149:
	v_lshlrev_b32_e32 v19, 2, v61
	ds_write_b32 v19, v18
.LBB2268_150:
	s_or_b64 exec, exec, s[2:3]
	v_cmp_gt_u32_e32 vcc, 8, v0
	s_waitcnt lgkmcnt(0)
	s_barrier
	s_and_saveexec_b64 s[2:3], vcc
	s_cbranch_execz .LBB2268_152
; %bb.151:
	v_lshlrev_b32_e32 v19, 2, v0
	ds_read_b32 v26, v19
	v_and_b32_e32 v27, 7, v60
	v_cmp_ne_u32_e32 vcc, 0, v27
	s_waitcnt lgkmcnt(0)
	v_mov_b32_dpp v28, v26 row_shr:1 row_mask:0xf bank_mask:0xf
	v_cndmask_b32_e32 v28, 0, v28, vcc
	v_add_u32_e32 v26, v28, v26
	v_cmp_lt_u32_e32 vcc, 1, v27
	s_nop 0
	v_mov_b32_dpp v28, v26 row_shr:2 row_mask:0xf bank_mask:0xf
	v_cndmask_b32_e32 v28, 0, v28, vcc
	v_add_u32_e32 v26, v26, v28
	v_cmp_lt_u32_e32 vcc, 3, v27
	s_nop 0
	v_mov_b32_dpp v28, v26 row_shr:4 row_mask:0xf bank_mask:0xf
	v_cndmask_b32_e32 v27, 0, v28, vcc
	v_add_u32_e32 v26, v26, v27
	ds_write_b32 v19, v26
.LBB2268_152:
	s_or_b64 exec, exec, s[2:3]
	v_cmp_lt_u32_e32 vcc, 63, v0
	v_mov_b32_e32 v19, 0
	v_mov_b32_e32 v26, 0
	s_waitcnt lgkmcnt(0)
	s_barrier
	s_and_saveexec_b64 s[2:3], vcc
	s_cbranch_execz .LBB2268_154
; %bb.153:
	v_lshl_add_u32 v26, v61, 2, -4
	ds_read_b32 v26, v26
.LBB2268_154:
	s_or_b64 exec, exec, s[2:3]
	v_add_u32_e32 v27, -1, v60
	v_and_b32_e32 v28, 64, v60
	v_cmp_lt_i32_e32 vcc, v27, v28
	s_waitcnt lgkmcnt(0)
	v_add_u32_e32 v18, v26, v18
	v_cndmask_b32_e32 v27, v27, v60, vcc
	v_lshlrev_b32_e32 v27, 2, v27
	ds_bpermute_b32 v27, v27, v18
	ds_read_b32 v18, v19 offset:28
	v_cmp_eq_u32_e32 vcc, 0, v0
	s_and_saveexec_b64 s[2:3], vcc
	s_cbranch_execz .LBB2268_156
; %bb.155:
	v_mov_b32_e32 v28, 0
	v_mov_b32_e32 v19, 2
	s_waitcnt lgkmcnt(0)
	global_store_dwordx2 v28, v[18:19], s[34:35] offset:512 sc1
.LBB2268_156:
	s_or_b64 exec, exec, s[2:3]
	v_cmp_eq_u32_e64 s[2:3], 0, v60
	s_waitcnt lgkmcnt(0)
	s_barrier
	v_cndmask_b32_e64 v19, v27, v26, s[2:3]
	v_mov_b32_e32 v26, 0
	v_cndmask_b32_e64 v32, v19, 0, vcc
.LBB2268_157:
	v_add_u32_sdwa v60, v32, v24 dst_sel:DWORD dst_unused:UNUSED_PAD src0_sel:DWORD src1_sel:BYTE_0
	v_add_u32_e32 v1, v18, v1
	v_sub_u32_e32 v32, v32, v26
	v_and_b32_e32 v69, 1, v24
	v_sub_u32_e32 v68, v1, v32
	v_cmp_eq_u32_e32 vcc, 1, v69
	v_lshrrev_b32_e32 v33, 8, v24
	v_add_u32_sdwa v61, v60, v24 dst_sel:DWORD dst_unused:UNUSED_PAD src0_sel:DWORD src1_sel:BYTE_1
	v_cndmask_b32_e32 v32, v68, v32, vcc
	v_lshlrev_b32_e32 v32, 1, v32
	ds_write_b16 v32, v10
	v_sub_u32_e32 v32, v60, v26
	v_sub_u32_e32 v60, v1, v32
	v_and_b32_e32 v33, 1, v33
	v_add_u32_e32 v60, 1, v60
	v_cmp_eq_u32_e32 vcc, 1, v33
	v_mov_b32_e32 v33, 1
	v_and_b32_sdwa v24, v33, v24 dst_sel:DWORD dst_unused:UNUSED_PAD src0_sel:DWORD src1_sel:WORD_1
	v_cndmask_b32_e32 v32, v60, v32, vcc
	v_lshlrev_b32_e32 v32, 1, v32
	ds_write_b16_d16_hi v32, v10
	v_sub_u32_e32 v10, v61, v26
	v_sub_u32_e32 v32, v1, v10
	v_add_u32_e32 v32, 2, v32
	v_cmp_eq_u32_e32 vcc, 1, v24
	v_add_u32_e32 v59, v61, v59
	v_add_u32_e32 v62, v59, v41
	v_cndmask_b32_e32 v10, v32, v10, vcc
	v_lshlrev_b32_e32 v10, 1, v10
	ds_write_b16 v10, v11
	v_sub_u32_e32 v10, v59, v26
	v_sub_u32_e32 v24, v1, v10
	v_and_b32_e32 v32, 1, v41
	v_add_u32_e32 v24, 3, v24
	v_cmp_eq_u32_e32 vcc, 1, v32
	v_add_u32_e32 v56, v62, v56
	v_lshrrev_b32_e32 v31, 8, v25
	v_cndmask_b32_e32 v10, v24, v10, vcc
	v_lshlrev_b32_e32 v10, 1, v10
	ds_write_b16_d16_hi v10, v11
	v_sub_u32_e32 v10, v62, v26
	v_sub_u32_e32 v11, v1, v10
	v_and_b32_e32 v24, 1, v25
	v_add_u32_e32 v11, 4, v11
	v_cmp_eq_u32_e32 vcc, 1, v24
	v_and_b32_e32 v24, 1, v31
	v_add_u32_e32 v57, v56, v57
	v_cndmask_b32_e32 v10, v11, v10, vcc
	v_lshlrev_b32_e32 v10, 1, v10
	ds_write_b16 v10, v12
	v_sub_u32_e32 v10, v56, v26
	v_sub_u32_e32 v11, v1, v10
	v_add_u32_e32 v11, 5, v11
	v_cmp_eq_u32_e32 vcc, 1, v24
	v_add_u32_e32 v58, v57, v58
	v_add_u32_e32 v63, v58, v40
	v_cndmask_b32_e32 v10, v11, v10, vcc
	v_lshlrev_b32_e32 v10, 1, v10
	ds_write_b16_d16_hi v10, v12
	v_sub_u32_e32 v10, v57, v26
	v_sub_u32_e32 v11, v1, v10
	v_and_b32_sdwa v12, v33, v25 dst_sel:DWORD dst_unused:UNUSED_PAD src0_sel:DWORD src1_sel:WORD_1
	v_add_u32_e32 v11, 6, v11
	v_cmp_eq_u32_e32 vcc, 1, v12
	v_and_b32_e32 v12, 1, v40
	v_add_u32_e32 v53, v63, v53
	v_cndmask_b32_e32 v10, v11, v10, vcc
	v_lshlrev_b32_e32 v10, 1, v10
	ds_write_b16 v10, v13
	v_sub_u32_e32 v10, v58, v26
	v_sub_u32_e32 v11, v1, v10
	v_add_u32_e32 v11, 7, v11
	v_cmp_eq_u32_e32 vcc, 1, v12
	v_and_b32_e32 v12, 1, v22
	v_lshrrev_b32_e32 v30, 8, v22
	v_cndmask_b32_e32 v10, v11, v10, vcc
	v_lshlrev_b32_e32 v10, 1, v10
	ds_write_b16_d16_hi v10, v13
	v_sub_u32_e32 v10, v63, v26
	v_sub_u32_e32 v11, v1, v10
	v_add_u32_e32 v11, 8, v11
	v_cmp_eq_u32_e32 vcc, 1, v12
	v_and_b32_e32 v12, 1, v30
	v_add_u32_e32 v54, v53, v54
	v_cndmask_b32_e32 v10, v11, v10, vcc
	v_lshlrev_b32_e32 v10, 1, v10
	ds_write_b16 v10, v6
	v_sub_u32_e32 v10, v53, v26
	v_sub_u32_e32 v11, v1, v10
	v_add_u32_e32 v11, 9, v11
	v_cmp_eq_u32_e32 vcc, 1, v12
	v_add_u32_e32 v55, v54, v55
	v_add_u32_e32 v64, v55, v39
	v_cndmask_b32_e32 v10, v11, v10, vcc
	v_lshlrev_b32_e32 v10, 1, v10
	ds_write_b16_d16_hi v10, v6
	v_sub_u32_e32 v6, v54, v26
	v_sub_u32_e32 v10, v1, v6
	v_and_b32_sdwa v11, v33, v22 dst_sel:DWORD dst_unused:UNUSED_PAD src0_sel:DWORD src1_sel:WORD_1
	v_add_u32_e32 v10, 10, v10
	v_cmp_eq_u32_e32 vcc, 1, v11
	v_and_b32_e32 v11, 1, v39
	v_add_u32_e32 v50, v64, v50
	v_cndmask_b32_e32 v6, v10, v6, vcc
	v_lshlrev_b32_e32 v6, 1, v6
	ds_write_b16 v6, v7
	v_sub_u32_e32 v6, v55, v26
	v_sub_u32_e32 v10, v1, v6
	v_add_u32_e32 v10, 11, v10
	v_cmp_eq_u32_e32 vcc, 1, v11
	v_lshrrev_b32_e32 v29, 8, v23
	v_add_u32_e32 v51, v50, v51
	v_cndmask_b32_e32 v6, v10, v6, vcc
	v_lshlrev_b32_e32 v6, 1, v6
	ds_write_b16_d16_hi v6, v7
	v_sub_u32_e32 v6, v64, v26
	v_sub_u32_e32 v7, v1, v6
	v_and_b32_e32 v10, 1, v23
	v_add_u32_e32 v7, 12, v7
	v_cmp_eq_u32_e32 vcc, 1, v10
	v_and_b32_e32 v10, 1, v29
	v_add_u32_e32 v52, v51, v52
	v_cndmask_b32_e32 v6, v7, v6, vcc
	v_lshlrev_b32_e32 v6, 1, v6
	ds_write_b16 v6, v8
	v_sub_u32_e32 v6, v50, v26
	v_sub_u32_e32 v7, v1, v6
	v_add_u32_e32 v7, 13, v7
	v_cmp_eq_u32_e32 vcc, 1, v10
	v_add_u32_e32 v65, v52, v38
	v_add_u32_e32 v47, v65, v47
	v_cndmask_b32_e32 v6, v7, v6, vcc
	v_lshlrev_b32_e32 v6, 1, v6
	ds_write_b16_d16_hi v6, v8
	v_sub_u32_e32 v6, v51, v26
	v_sub_u32_e32 v7, v1, v6
	v_and_b32_sdwa v8, v33, v23 dst_sel:DWORD dst_unused:UNUSED_PAD src0_sel:DWORD src1_sel:WORD_1
	v_add_u32_e32 v7, 14, v7
	v_cmp_eq_u32_e32 vcc, 1, v8
	v_and_b32_e32 v8, 1, v38
	v_lshrrev_b32_e32 v28, 8, v20
	v_cndmask_b32_e32 v6, v7, v6, vcc
	v_lshlrev_b32_e32 v6, 1, v6
	ds_write_b16 v6, v9
	v_sub_u32_e32 v6, v52, v26
	v_sub_u32_e32 v7, v1, v6
	v_add_u32_e32 v7, 15, v7
	v_cmp_eq_u32_e32 vcc, 1, v8
	v_and_b32_e32 v8, 1, v20
	v_add_u32_e32 v48, v47, v48
	v_cndmask_b32_e32 v6, v7, v6, vcc
	v_lshlrev_b32_e32 v6, 1, v6
	ds_write_b16_d16_hi v6, v9
	v_sub_u32_e32 v6, v65, v26
	v_sub_u32_e32 v7, v1, v6
	v_add_u32_e32 v7, 16, v7
	v_cmp_eq_u32_e32 vcc, 1, v8
	v_and_b32_e32 v8, 1, v28
	v_add_u32_e32 v49, v48, v49
	v_cndmask_b32_e32 v6, v7, v6, vcc
	v_lshlrev_b32_e32 v6, 1, v6
	ds_write_b16 v6, v2
	v_sub_u32_e32 v6, v47, v26
	v_sub_u32_e32 v7, v1, v6
	v_add_u32_e32 v7, 17, v7
	v_cmp_eq_u32_e32 vcc, 1, v8
	v_add_u32_e32 v66, v49, v37
	v_add_u32_e32 v44, v66, v44
	v_cndmask_b32_e32 v6, v7, v6, vcc
	v_lshlrev_b32_e32 v6, 1, v6
	ds_write_b16_d16_hi v6, v2
	v_sub_u32_e32 v2, v48, v26
	v_sub_u32_e32 v6, v1, v2
	v_and_b32_sdwa v7, v33, v20 dst_sel:DWORD dst_unused:UNUSED_PAD src0_sel:DWORD src1_sel:WORD_1
	v_add_u32_e32 v6, 18, v6
	v_cmp_eq_u32_e32 vcc, 1, v7
	v_and_b32_e32 v7, 1, v37
	v_lshrrev_b32_e32 v27, 8, v21
	v_cndmask_b32_e32 v2, v6, v2, vcc
	v_lshlrev_b32_e32 v2, 1, v2
	ds_write_b16 v2, v3
	v_sub_u32_e32 v2, v49, v26
	v_sub_u32_e32 v6, v1, v2
	v_add_u32_e32 v6, 19, v6
	v_cmp_eq_u32_e32 vcc, 1, v7
	v_add_u32_e32 v45, v44, v45
	v_add_u32_e32 v46, v45, v46
	v_cndmask_b32_e32 v2, v6, v2, vcc
	v_lshlrev_b32_e32 v2, 1, v2
	ds_write_b16_d16_hi v2, v3
	v_sub_u32_e32 v2, v66, v26
	v_sub_u32_e32 v3, v1, v2
	v_and_b32_e32 v6, 1, v21
	v_add_u32_e32 v3, 20, v3
	v_cmp_eq_u32_e32 vcc, 1, v6
	v_and_b32_e32 v6, 1, v27
	v_add_u32_e32 v67, v46, v36
	v_cndmask_b32_e32 v2, v3, v2, vcc
	v_lshlrev_b32_e32 v2, 1, v2
	ds_write_b16 v2, v4
	v_sub_u32_e32 v2, v44, v26
	v_sub_u32_e32 v3, v1, v2
	v_add_u32_e32 v3, 21, v3
	v_cmp_eq_u32_e32 vcc, 1, v6
	v_add_u32_e32 v42, v67, v42
	v_lshrrev_b32_e32 v19, 8, v34
	v_cndmask_b32_e32 v2, v3, v2, vcc
	v_lshlrev_b32_e32 v2, 1, v2
	ds_write_b16_d16_hi v2, v4
	v_sub_u32_e32 v2, v45, v26
	v_sub_u32_e32 v3, v1, v2
	v_and_b32_sdwa v4, v33, v21 dst_sel:DWORD dst_unused:UNUSED_PAD src0_sel:DWORD src1_sel:WORD_1
	v_add_u32_e32 v3, 22, v3
	v_cmp_eq_u32_e32 vcc, 1, v4
	v_and_b32_e32 v4, 1, v36
	v_add_u32_e32 v43, v42, v43
	v_cndmask_b32_e32 v2, v3, v2, vcc
	v_lshlrev_b32_e32 v2, 1, v2
	ds_write_b16 v2, v5
	v_sub_u32_e32 v2, v46, v26
	v_sub_u32_e32 v3, v1, v2
	v_add_u32_e32 v3, 23, v3
	v_cmp_eq_u32_e32 vcc, 1, v4
	v_and_b32_e32 v4, 1, v34
	v_mov_b32_e32 v27, 0
	v_cndmask_b32_e32 v2, v3, v2, vcc
	v_lshlrev_b32_e32 v2, 1, v2
	ds_write_b16_d16_hi v2, v5
	v_sub_u32_e32 v2, v67, v26
	v_sub_u32_e32 v3, v1, v2
	v_add_u32_e32 v3, 24, v3
	v_cmp_eq_u32_e32 vcc, 1, v4
	v_and_b32_e32 v4, 1, v19
	s_load_dwordx4 s[0:3], s[0:1], 0x30
	v_cndmask_b32_e32 v2, v3, v2, vcc
	v_lshlrev_b32_e32 v2, 1, v2
	ds_write_b16 v2, v16
	v_sub_u32_e32 v2, v42, v26
	v_sub_u32_e32 v3, v1, v2
	v_add_u32_e32 v3, 25, v3
	v_cmp_eq_u32_e32 vcc, 1, v4
	v_and_b32_sdwa v4, v33, v34 dst_sel:DWORD dst_unused:UNUSED_PAD src0_sel:DWORD src1_sel:WORD_1
	v_lshl_add_u64 v[6:7], s[28:29], 0, v[26:27]
	v_cndmask_b32_e32 v2, v3, v2, vcc
	v_lshlrev_b32_e32 v2, 1, v2
	ds_write_b16_d16_hi v2, v16
	v_sub_u32_e32 v2, v43, v26
	v_sub_u32_e32 v3, v1, v2
	v_add_u32_e32 v3, 26, v3
	v_cmp_eq_u32_e32 vcc, 1, v4
	v_mov_b32_e32 v19, v27
	v_mov_b32_e32 v5, s27
	v_cndmask_b32_e32 v2, v3, v2, vcc
	v_lshlrev_b32_e32 v2, 1, v2
	ds_write_b16 v2, v17
	v_sub_u32_e32 v2, v35, v26
	v_add_u32_e32 v2, v43, v2
	v_sub_u32_e32 v1, v1, v2
	v_and_b32_e32 v3, 1, v15
	v_add_u32_e32 v1, 27, v1
	v_cmp_eq_u32_e32 vcc, 1, v3
	v_or_b32_e32 v65, 0x200, v0
	v_or_b32_e32 v63, 0x400, v0
	v_cndmask_b32_e32 v1, v1, v2, vcc
	v_lshlrev_b32_e32 v1, 1, v1
	ds_write_b16_d16_hi v1, v17
	s_waitcnt lgkmcnt(0)
	s_barrier
	ds_read_u16 v67, v14
	ds_read_u16 v66, v14 offset:1024
	ds_read_u16 v64, v14 offset:2048
	;; [unrolled: 1-line block ×27, first 2 shown]
	v_lshl_add_u64 v[2:3], v[6:7], 0, v[18:19]
	v_sub_co_u32_e32 v4, vcc, s26, v2
	v_lshlrev_b64 v[6:7], 1, v[6:7]
	s_nop 0
	v_subb_co_u32_e32 v5, vcc, v5, v3, vcc
	v_lshlrev_b64 v[4:5], 1, v[4:5]
	v_lshl_add_u64 v[4:5], s[2:3], 0, v[4:5]
	v_or_b32_e32 v61, 0x600, v0
	v_or_b32_e32 v59, 0x800, v0
	;; [unrolled: 1-line block ×25, first 2 shown]
	v_lshl_add_u64 v[4:5], v[4:5], 0, s[30:31]
	s_andn2_b64 vcc, exec, s[24:25]
	v_lshl_add_u64 v[6:7], s[0:1], 0, v[6:7]
	s_cbranch_vccnz .LBB2268_159
; %bb.158:
	v_cmp_lt_u32_e32 vcc, v0, v18
	v_mov_b32_e32 v15, v27
	v_lshlrev_b32_e32 v26, 1, v59
	v_cndmask_b32_e32 v69, v5, v7, vcc
	v_cndmask_b32_e32 v68, v4, v6, vcc
	v_lshl_add_u64 v[68:69], v[68:69], 0, v[14:15]
	v_cmp_lt_u32_e32 vcc, v65, v18
	s_waitcnt lgkmcnt(14)
	global_store_short v[68:69], v67, off
	v_cndmask_b32_e32 v69, v5, v7, vcc
	v_cndmask_b32_e32 v68, v4, v6, vcc
	v_lshl_add_u64 v[68:69], v[68:69], 0, v[14:15]
	v_cmp_lt_u32_e32 vcc, v63, v18
	global_store_short v[68:69], v66, off offset:1024
	s_mov_b64 s[0:1], -1
	v_cndmask_b32_e32 v69, v5, v7, vcc
	v_cndmask_b32_e32 v68, v4, v6, vcc
	v_lshl_add_u64 v[68:69], v[68:69], 0, v[14:15]
	v_cmp_lt_u32_e32 vcc, v61, v18
	global_store_short v[68:69], v64, off offset:2048
	s_nop 0
	v_cndmask_b32_e32 v69, v5, v7, vcc
	v_cndmask_b32_e32 v68, v4, v6, vcc
	v_lshl_add_u64 v[68:69], v[68:69], 0, v[14:15]
	v_cmp_lt_u32_e32 vcc, v59, v18
	global_store_short v[68:69], v62, off offset:3072
	s_nop 0
	v_cndmask_b32_e32 v69, v5, v7, vcc
	v_cndmask_b32_e32 v68, v4, v6, vcc
	v_lshl_add_u64 v[68:69], v[68:69], 0, v[26:27]
	v_cmp_lt_u32_e32 vcc, v57, v18
	global_store_short v[68:69], v60, off
	v_lshlrev_b32_e32 v26, 1, v57
	v_cndmask_b32_e32 v69, v5, v7, vcc
	v_cndmask_b32_e32 v68, v4, v6, vcc
	v_lshl_add_u64 v[68:69], v[68:69], 0, v[26:27]
	v_cmp_lt_u32_e32 vcc, v55, v18
	global_store_short v[68:69], v58, off
	v_lshlrev_b32_e32 v26, 1, v55
	;; [unrolled: 6-line block ×10, first 2 shown]
	v_cndmask_b32_e32 v69, v5, v7, vcc
	v_cndmask_b32_e32 v68, v4, v6, vcc
	v_lshl_add_u64 v[68:69], v[68:69], 0, v[26:27]
	v_cmp_lt_u32_e32 vcc, v37, v18
	s_waitcnt lgkmcnt(13)
	global_store_short v[68:69], v40, off
	v_lshlrev_b32_e32 v26, 1, v37
	v_cndmask_b32_e32 v69, v5, v7, vcc
	v_cndmask_b32_e32 v68, v4, v6, vcc
	v_lshl_add_u64 v[68:69], v[68:69], 0, v[26:27]
	v_cmp_lt_u32_e32 vcc, v35, v18
	s_waitcnt lgkmcnt(12)
	global_store_short v[68:69], v38, off
	v_lshlrev_b32_e32 v26, 1, v35
	;; [unrolled: 7-line block ×12, first 2 shown]
	v_cndmask_b32_e32 v69, v5, v7, vcc
	v_cndmask_b32_e32 v68, v4, v6, vcc
	v_lshl_add_u64 v[26:27], v[68:69], 0, v[26:27]
	s_waitcnt lgkmcnt(1)
	global_store_short v[26:27], v9, off
	s_cbranch_execz .LBB2268_160
	s_branch .LBB2268_189
.LBB2268_159:
	s_mov_b64 s[0:1], 0
.LBB2268_160:
	v_cmp_gt_u32_e32 vcc, s33, v0
	s_and_saveexec_b64 s[0:1], vcc
	s_cbranch_execnz .LBB2268_194
; %bb.161:
	s_or_b64 exec, exec, s[0:1]
	v_cmp_gt_u32_e32 vcc, s33, v65
	s_and_saveexec_b64 s[0:1], vcc
	s_cbranch_execnz .LBB2268_195
.LBB2268_162:
	s_or_b64 exec, exec, s[0:1]
	v_cmp_gt_u32_e32 vcc, s33, v63
	s_and_saveexec_b64 s[0:1], vcc
	s_cbranch_execnz .LBB2268_196
.LBB2268_163:
	s_or_b64 exec, exec, s[0:1]
	v_cmp_gt_u32_e32 vcc, s33, v61
	s_and_saveexec_b64 s[0:1], vcc
	s_cbranch_execnz .LBB2268_197
.LBB2268_164:
	s_or_b64 exec, exec, s[0:1]
	v_cmp_gt_u32_e32 vcc, s33, v59
	s_and_saveexec_b64 s[0:1], vcc
	s_cbranch_execnz .LBB2268_198
.LBB2268_165:
	s_or_b64 exec, exec, s[0:1]
	v_cmp_gt_u32_e32 vcc, s33, v57
	s_and_saveexec_b64 s[0:1], vcc
	s_cbranch_execnz .LBB2268_199
.LBB2268_166:
	s_or_b64 exec, exec, s[0:1]
	v_cmp_gt_u32_e32 vcc, s33, v55
	s_and_saveexec_b64 s[0:1], vcc
	s_cbranch_execnz .LBB2268_200
.LBB2268_167:
	s_or_b64 exec, exec, s[0:1]
	v_cmp_gt_u32_e32 vcc, s33, v53
	s_and_saveexec_b64 s[0:1], vcc
	s_cbranch_execnz .LBB2268_201
.LBB2268_168:
	s_or_b64 exec, exec, s[0:1]
	v_cmp_gt_u32_e32 vcc, s33, v51
	s_and_saveexec_b64 s[0:1], vcc
	s_cbranch_execnz .LBB2268_202
.LBB2268_169:
	s_or_b64 exec, exec, s[0:1]
	v_cmp_gt_u32_e32 vcc, s33, v49
	s_and_saveexec_b64 s[0:1], vcc
	s_cbranch_execnz .LBB2268_203
.LBB2268_170:
	s_or_b64 exec, exec, s[0:1]
	v_cmp_gt_u32_e32 vcc, s33, v47
	s_and_saveexec_b64 s[0:1], vcc
	s_cbranch_execnz .LBB2268_204
.LBB2268_171:
	s_or_b64 exec, exec, s[0:1]
	v_cmp_gt_u32_e32 vcc, s33, v45
	s_and_saveexec_b64 s[0:1], vcc
	s_cbranch_execnz .LBB2268_205
.LBB2268_172:
	s_or_b64 exec, exec, s[0:1]
	v_cmp_gt_u32_e32 vcc, s33, v43
	s_and_saveexec_b64 s[0:1], vcc
	s_cbranch_execnz .LBB2268_206
.LBB2268_173:
	s_or_b64 exec, exec, s[0:1]
	v_cmp_gt_u32_e32 vcc, s33, v41
	s_and_saveexec_b64 s[0:1], vcc
	s_cbranch_execnz .LBB2268_207
.LBB2268_174:
	s_or_b64 exec, exec, s[0:1]
	v_cmp_gt_u32_e32 vcc, s33, v39
	s_and_saveexec_b64 s[0:1], vcc
	s_cbranch_execnz .LBB2268_208
.LBB2268_175:
	s_or_b64 exec, exec, s[0:1]
	v_cmp_gt_u32_e32 vcc, s33, v37
	s_and_saveexec_b64 s[0:1], vcc
	s_cbranch_execnz .LBB2268_209
.LBB2268_176:
	s_or_b64 exec, exec, s[0:1]
	v_cmp_gt_u32_e32 vcc, s33, v35
	s_and_saveexec_b64 s[0:1], vcc
	s_cbranch_execnz .LBB2268_210
.LBB2268_177:
	s_or_b64 exec, exec, s[0:1]
	v_cmp_gt_u32_e32 vcc, s33, v33
	s_and_saveexec_b64 s[0:1], vcc
	s_cbranch_execnz .LBB2268_211
.LBB2268_178:
	s_or_b64 exec, exec, s[0:1]
	v_cmp_gt_u32_e32 vcc, s33, v31
	s_and_saveexec_b64 s[0:1], vcc
	s_cbranch_execnz .LBB2268_212
.LBB2268_179:
	s_or_b64 exec, exec, s[0:1]
	v_cmp_gt_u32_e32 vcc, s33, v29
	s_and_saveexec_b64 s[0:1], vcc
	s_cbranch_execnz .LBB2268_213
.LBB2268_180:
	s_or_b64 exec, exec, s[0:1]
	v_cmp_gt_u32_e32 vcc, s33, v25
	s_and_saveexec_b64 s[0:1], vcc
	s_cbranch_execnz .LBB2268_214
.LBB2268_181:
	s_or_b64 exec, exec, s[0:1]
	v_cmp_gt_u32_e32 vcc, s33, v23
	s_and_saveexec_b64 s[0:1], vcc
	s_cbranch_execnz .LBB2268_215
.LBB2268_182:
	s_or_b64 exec, exec, s[0:1]
	v_cmp_gt_u32_e32 vcc, s33, v21
	s_and_saveexec_b64 s[0:1], vcc
	s_cbranch_execnz .LBB2268_216
.LBB2268_183:
	s_or_b64 exec, exec, s[0:1]
	v_cmp_gt_u32_e32 vcc, s33, v17
	s_and_saveexec_b64 s[0:1], vcc
	s_cbranch_execnz .LBB2268_217
.LBB2268_184:
	s_or_b64 exec, exec, s[0:1]
	v_cmp_gt_u32_e32 vcc, s33, v13
	s_and_saveexec_b64 s[0:1], vcc
	s_cbranch_execnz .LBB2268_218
.LBB2268_185:
	s_or_b64 exec, exec, s[0:1]
	v_cmp_gt_u32_e32 vcc, s33, v11
	s_and_saveexec_b64 s[0:1], vcc
	s_cbranch_execnz .LBB2268_219
.LBB2268_186:
	s_or_b64 exec, exec, s[0:1]
	v_cmp_gt_u32_e32 vcc, s33, v10
	s_and_saveexec_b64 s[0:1], vcc
	s_cbranch_execz .LBB2268_188
.LBB2268_187:
	v_cmp_lt_u32_e32 vcc, v10, v18
	v_lshlrev_b32_e32 v10, 1, v10
	v_mov_b32_e32 v11, 0
	v_cndmask_b32_e32 v13, v5, v7, vcc
	s_waitcnt lgkmcnt(2)
	v_cndmask_b32_e32 v12, v4, v6, vcc
	v_lshl_add_u64 v[10:11], v[12:13], 0, v[10:11]
	s_waitcnt lgkmcnt(1)
	global_store_short v[10:11], v9, off
.LBB2268_188:
	s_or_b64 exec, exec, s[0:1]
	v_cmp_gt_u32_e64 s[0:1], s33, v8
.LBB2268_189:
	s_and_saveexec_b64 s[2:3], s[0:1]
	s_cbranch_execz .LBB2268_191
; %bb.190:
	v_cmp_lt_u32_e32 vcc, v8, v18
	s_nop 1
	v_cndmask_b32_e32 v5, v5, v7, vcc
	v_cndmask_b32_e32 v4, v4, v6, vcc
	v_lshlrev_b32_e32 v6, 1, v8
	v_mov_b32_e32 v7, 0
	v_lshl_add_u64 v[4:5], v[4:5], 0, v[6:7]
	s_waitcnt lgkmcnt(0)
	global_store_short v[4:5], v1, off
.LBB2268_191:
	s_or_b64 exec, exec, s[2:3]
	v_cmp_eq_u32_e32 vcc, 0, v0
	s_and_b64 s[0:1], vcc, s[22:23]
	s_and_saveexec_b64 s[2:3], s[0:1]
	s_cbranch_execz .LBB2268_193
; %bb.192:
	v_mov_b32_e32 v0, 0
	global_store_dwordx2 v0, v[2:3], s[20:21]
.LBB2268_193:
	s_endpgm
.LBB2268_194:
	v_cmp_lt_u32_e32 vcc, v0, v18
	v_mov_b32_e32 v15, 0
	s_nop 0
	v_cndmask_b32_e32 v27, v5, v7, vcc
	v_cndmask_b32_e32 v26, v4, v6, vcc
	v_lshl_add_u64 v[26:27], v[26:27], 0, v[14:15]
	s_waitcnt lgkmcnt(14)
	global_store_short v[26:27], v67, off
	s_or_b64 exec, exec, s[0:1]
	v_cmp_gt_u32_e32 vcc, s33, v65
	s_and_saveexec_b64 s[0:1], vcc
	s_cbranch_execz .LBB2268_162
.LBB2268_195:
	v_cmp_lt_u32_e32 vcc, v65, v18
	v_mov_b32_e32 v15, 0
	s_nop 0
	v_cndmask_b32_e32 v27, v5, v7, vcc
	v_cndmask_b32_e32 v26, v4, v6, vcc
	v_lshl_add_u64 v[26:27], v[26:27], 0, v[14:15]
	s_waitcnt lgkmcnt(14)
	global_store_short v[26:27], v66, off offset:1024
	s_or_b64 exec, exec, s[0:1]
	v_cmp_gt_u32_e32 vcc, s33, v63
	s_and_saveexec_b64 s[0:1], vcc
	s_cbranch_execz .LBB2268_163
.LBB2268_196:
	v_cmp_lt_u32_e32 vcc, v63, v18
	v_mov_b32_e32 v15, 0
	s_nop 0
	v_cndmask_b32_e32 v27, v5, v7, vcc
	v_cndmask_b32_e32 v26, v4, v6, vcc
	v_lshl_add_u64 v[26:27], v[26:27], 0, v[14:15]
	s_waitcnt lgkmcnt(14)
	global_store_short v[26:27], v64, off offset:2048
	s_or_b64 exec, exec, s[0:1]
	v_cmp_gt_u32_e32 vcc, s33, v61
	s_and_saveexec_b64 s[0:1], vcc
	s_cbranch_execz .LBB2268_164
.LBB2268_197:
	v_cmp_lt_u32_e32 vcc, v61, v18
	v_mov_b32_e32 v15, 0
	s_nop 0
	v_cndmask_b32_e32 v27, v5, v7, vcc
	v_cndmask_b32_e32 v26, v4, v6, vcc
	v_lshl_add_u64 v[14:15], v[26:27], 0, v[14:15]
	s_waitcnt lgkmcnt(14)
	global_store_short v[14:15], v62, off offset:3072
	s_or_b64 exec, exec, s[0:1]
	v_cmp_gt_u32_e32 vcc, s33, v59
	s_and_saveexec_b64 s[0:1], vcc
	s_cbranch_execz .LBB2268_165
.LBB2268_198:
	v_cmp_lt_u32_e32 vcc, v59, v18
	v_lshlrev_b32_e32 v26, 1, v59
	v_mov_b32_e32 v27, 0
	v_cndmask_b32_e32 v15, v5, v7, vcc
	v_cndmask_b32_e32 v14, v4, v6, vcc
	v_lshl_add_u64 v[14:15], v[14:15], 0, v[26:27]
	s_waitcnt lgkmcnt(14)
	global_store_short v[14:15], v60, off
	s_or_b64 exec, exec, s[0:1]
	v_cmp_gt_u32_e32 vcc, s33, v57
	s_and_saveexec_b64 s[0:1], vcc
	s_cbranch_execz .LBB2268_166
.LBB2268_199:
	v_cmp_lt_u32_e32 vcc, v57, v18
	v_lshlrev_b32_e32 v26, 1, v57
	v_mov_b32_e32 v27, 0
	v_cndmask_b32_e32 v15, v5, v7, vcc
	v_cndmask_b32_e32 v14, v4, v6, vcc
	v_lshl_add_u64 v[14:15], v[14:15], 0, v[26:27]
	s_waitcnt lgkmcnt(14)
	global_store_short v[14:15], v58, off
	s_or_b64 exec, exec, s[0:1]
	v_cmp_gt_u32_e32 vcc, s33, v55
	s_and_saveexec_b64 s[0:1], vcc
	s_cbranch_execz .LBB2268_167
.LBB2268_200:
	v_cmp_lt_u32_e32 vcc, v55, v18
	v_lshlrev_b32_e32 v26, 1, v55
	v_mov_b32_e32 v27, 0
	v_cndmask_b32_e32 v15, v5, v7, vcc
	v_cndmask_b32_e32 v14, v4, v6, vcc
	v_lshl_add_u64 v[14:15], v[14:15], 0, v[26:27]
	s_waitcnt lgkmcnt(14)
	global_store_short v[14:15], v56, off
	s_or_b64 exec, exec, s[0:1]
	v_cmp_gt_u32_e32 vcc, s33, v53
	s_and_saveexec_b64 s[0:1], vcc
	s_cbranch_execz .LBB2268_168
.LBB2268_201:
	v_cmp_lt_u32_e32 vcc, v53, v18
	v_lshlrev_b32_e32 v26, 1, v53
	v_mov_b32_e32 v27, 0
	v_cndmask_b32_e32 v15, v5, v7, vcc
	v_cndmask_b32_e32 v14, v4, v6, vcc
	v_lshl_add_u64 v[14:15], v[14:15], 0, v[26:27]
	s_waitcnt lgkmcnt(14)
	global_store_short v[14:15], v54, off
	s_or_b64 exec, exec, s[0:1]
	v_cmp_gt_u32_e32 vcc, s33, v51
	s_and_saveexec_b64 s[0:1], vcc
	s_cbranch_execz .LBB2268_169
.LBB2268_202:
	v_cmp_lt_u32_e32 vcc, v51, v18
	v_lshlrev_b32_e32 v26, 1, v51
	v_mov_b32_e32 v27, 0
	v_cndmask_b32_e32 v15, v5, v7, vcc
	v_cndmask_b32_e32 v14, v4, v6, vcc
	v_lshl_add_u64 v[14:15], v[14:15], 0, v[26:27]
	s_waitcnt lgkmcnt(14)
	global_store_short v[14:15], v52, off
	s_or_b64 exec, exec, s[0:1]
	v_cmp_gt_u32_e32 vcc, s33, v49
	s_and_saveexec_b64 s[0:1], vcc
	s_cbranch_execz .LBB2268_170
.LBB2268_203:
	v_cmp_lt_u32_e32 vcc, v49, v18
	v_lshlrev_b32_e32 v26, 1, v49
	v_mov_b32_e32 v27, 0
	v_cndmask_b32_e32 v15, v5, v7, vcc
	v_cndmask_b32_e32 v14, v4, v6, vcc
	v_lshl_add_u64 v[14:15], v[14:15], 0, v[26:27]
	s_waitcnt lgkmcnt(14)
	global_store_short v[14:15], v50, off
	s_or_b64 exec, exec, s[0:1]
	v_cmp_gt_u32_e32 vcc, s33, v47
	s_and_saveexec_b64 s[0:1], vcc
	s_cbranch_execz .LBB2268_171
.LBB2268_204:
	v_cmp_lt_u32_e32 vcc, v47, v18
	v_lshlrev_b32_e32 v26, 1, v47
	v_mov_b32_e32 v27, 0
	v_cndmask_b32_e32 v15, v5, v7, vcc
	v_cndmask_b32_e32 v14, v4, v6, vcc
	v_lshl_add_u64 v[14:15], v[14:15], 0, v[26:27]
	s_waitcnt lgkmcnt(14)
	global_store_short v[14:15], v48, off
	s_or_b64 exec, exec, s[0:1]
	v_cmp_gt_u32_e32 vcc, s33, v45
	s_and_saveexec_b64 s[0:1], vcc
	s_cbranch_execz .LBB2268_172
.LBB2268_205:
	v_cmp_lt_u32_e32 vcc, v45, v18
	v_lshlrev_b32_e32 v26, 1, v45
	v_mov_b32_e32 v27, 0
	v_cndmask_b32_e32 v15, v5, v7, vcc
	v_cndmask_b32_e32 v14, v4, v6, vcc
	v_lshl_add_u64 v[14:15], v[14:15], 0, v[26:27]
	s_waitcnt lgkmcnt(14)
	global_store_short v[14:15], v46, off
	s_or_b64 exec, exec, s[0:1]
	v_cmp_gt_u32_e32 vcc, s33, v43
	s_and_saveexec_b64 s[0:1], vcc
	s_cbranch_execz .LBB2268_173
.LBB2268_206:
	v_cmp_lt_u32_e32 vcc, v43, v18
	v_lshlrev_b32_e32 v26, 1, v43
	v_mov_b32_e32 v27, 0
	v_cndmask_b32_e32 v15, v5, v7, vcc
	v_cndmask_b32_e32 v14, v4, v6, vcc
	v_lshl_add_u64 v[14:15], v[14:15], 0, v[26:27]
	s_waitcnt lgkmcnt(14)
	global_store_short v[14:15], v44, off
	s_or_b64 exec, exec, s[0:1]
	v_cmp_gt_u32_e32 vcc, s33, v41
	s_and_saveexec_b64 s[0:1], vcc
	s_cbranch_execz .LBB2268_174
.LBB2268_207:
	v_cmp_lt_u32_e32 vcc, v41, v18
	v_lshlrev_b32_e32 v26, 1, v41
	v_mov_b32_e32 v27, 0
	v_cndmask_b32_e32 v15, v5, v7, vcc
	v_cndmask_b32_e32 v14, v4, v6, vcc
	v_lshl_add_u64 v[14:15], v[14:15], 0, v[26:27]
	s_waitcnt lgkmcnt(14)
	global_store_short v[14:15], v42, off
	s_or_b64 exec, exec, s[0:1]
	v_cmp_gt_u32_e32 vcc, s33, v39
	s_and_saveexec_b64 s[0:1], vcc
	s_cbranch_execz .LBB2268_175
.LBB2268_208:
	v_cmp_lt_u32_e32 vcc, v39, v18
	v_lshlrev_b32_e32 v26, 1, v39
	v_mov_b32_e32 v27, 0
	v_cndmask_b32_e32 v15, v5, v7, vcc
	v_cndmask_b32_e32 v14, v4, v6, vcc
	v_lshl_add_u64 v[14:15], v[14:15], 0, v[26:27]
	s_waitcnt lgkmcnt(13)
	global_store_short v[14:15], v40, off
	s_or_b64 exec, exec, s[0:1]
	v_cmp_gt_u32_e32 vcc, s33, v37
	s_and_saveexec_b64 s[0:1], vcc
	s_cbranch_execz .LBB2268_176
.LBB2268_209:
	v_cmp_lt_u32_e32 vcc, v37, v18
	v_lshlrev_b32_e32 v26, 1, v37
	v_mov_b32_e32 v27, 0
	v_cndmask_b32_e32 v15, v5, v7, vcc
	v_cndmask_b32_e32 v14, v4, v6, vcc
	v_lshl_add_u64 v[14:15], v[14:15], 0, v[26:27]
	s_waitcnt lgkmcnt(12)
	global_store_short v[14:15], v38, off
	s_or_b64 exec, exec, s[0:1]
	v_cmp_gt_u32_e32 vcc, s33, v35
	s_and_saveexec_b64 s[0:1], vcc
	s_cbranch_execz .LBB2268_177
.LBB2268_210:
	v_cmp_lt_u32_e32 vcc, v35, v18
	v_lshlrev_b32_e32 v26, 1, v35
	v_mov_b32_e32 v27, 0
	v_cndmask_b32_e32 v15, v5, v7, vcc
	v_cndmask_b32_e32 v14, v4, v6, vcc
	v_lshl_add_u64 v[14:15], v[14:15], 0, v[26:27]
	s_waitcnt lgkmcnt(11)
	global_store_short v[14:15], v36, off
	s_or_b64 exec, exec, s[0:1]
	v_cmp_gt_u32_e32 vcc, s33, v33
	s_and_saveexec_b64 s[0:1], vcc
	s_cbranch_execz .LBB2268_178
.LBB2268_211:
	v_cmp_lt_u32_e32 vcc, v33, v18
	v_lshlrev_b32_e32 v26, 1, v33
	v_mov_b32_e32 v27, 0
	v_cndmask_b32_e32 v15, v5, v7, vcc
	v_cndmask_b32_e32 v14, v4, v6, vcc
	v_lshl_add_u64 v[14:15], v[14:15], 0, v[26:27]
	s_waitcnt lgkmcnt(10)
	global_store_short v[14:15], v34, off
	s_or_b64 exec, exec, s[0:1]
	v_cmp_gt_u32_e32 vcc, s33, v31
	s_and_saveexec_b64 s[0:1], vcc
	s_cbranch_execz .LBB2268_179
.LBB2268_212:
	v_cmp_lt_u32_e32 vcc, v31, v18
	v_lshlrev_b32_e32 v26, 1, v31
	v_mov_b32_e32 v27, 0
	v_cndmask_b32_e32 v15, v5, v7, vcc
	v_cndmask_b32_e32 v14, v4, v6, vcc
	v_lshl_add_u64 v[14:15], v[14:15], 0, v[26:27]
	s_waitcnt lgkmcnt(9)
	global_store_short v[14:15], v32, off
	s_or_b64 exec, exec, s[0:1]
	v_cmp_gt_u32_e32 vcc, s33, v29
	s_and_saveexec_b64 s[0:1], vcc
	s_cbranch_execz .LBB2268_180
.LBB2268_213:
	v_cmp_lt_u32_e32 vcc, v29, v18
	v_lshlrev_b32_e32 v26, 1, v29
	v_mov_b32_e32 v27, 0
	v_cndmask_b32_e32 v15, v5, v7, vcc
	v_cndmask_b32_e32 v14, v4, v6, vcc
	v_lshl_add_u64 v[14:15], v[14:15], 0, v[26:27]
	s_waitcnt lgkmcnt(8)
	global_store_short v[14:15], v30, off
	s_or_b64 exec, exec, s[0:1]
	v_cmp_gt_u32_e32 vcc, s33, v25
	s_and_saveexec_b64 s[0:1], vcc
	s_cbranch_execz .LBB2268_181
.LBB2268_214:
	v_cmp_lt_u32_e32 vcc, v25, v18
	v_lshlrev_b32_e32 v26, 1, v25
	v_mov_b32_e32 v27, 0
	v_cndmask_b32_e32 v15, v5, v7, vcc
	v_cndmask_b32_e32 v14, v4, v6, vcc
	v_lshl_add_u64 v[14:15], v[14:15], 0, v[26:27]
	s_waitcnt lgkmcnt(7)
	global_store_short v[14:15], v28, off
	s_or_b64 exec, exec, s[0:1]
	v_cmp_gt_u32_e32 vcc, s33, v23
	s_and_saveexec_b64 s[0:1], vcc
	s_cbranch_execz .LBB2268_182
.LBB2268_215:
	v_cmp_lt_u32_e32 vcc, v23, v18
	v_lshlrev_b32_e32 v26, 1, v23
	v_mov_b32_e32 v27, 0
	v_cndmask_b32_e32 v15, v5, v7, vcc
	v_cndmask_b32_e32 v14, v4, v6, vcc
	v_lshl_add_u64 v[14:15], v[14:15], 0, v[26:27]
	s_waitcnt lgkmcnt(6)
	global_store_short v[14:15], v24, off
	s_or_b64 exec, exec, s[0:1]
	v_cmp_gt_u32_e32 vcc, s33, v21
	s_and_saveexec_b64 s[0:1], vcc
	s_cbranch_execz .LBB2268_183
.LBB2268_216:
	v_cmp_lt_u32_e32 vcc, v21, v18
	s_waitcnt lgkmcnt(6)
	v_lshlrev_b32_e32 v24, 1, v21
	v_mov_b32_e32 v25, 0
	v_cndmask_b32_e32 v15, v5, v7, vcc
	v_cndmask_b32_e32 v14, v4, v6, vcc
	v_lshl_add_u64 v[14:15], v[14:15], 0, v[24:25]
	s_waitcnt lgkmcnt(5)
	global_store_short v[14:15], v22, off
	s_or_b64 exec, exec, s[0:1]
	v_cmp_gt_u32_e32 vcc, s33, v17
	s_and_saveexec_b64 s[0:1], vcc
	s_cbranch_execz .LBB2268_184
.LBB2268_217:
	v_cmp_lt_u32_e32 vcc, v17, v18
	s_waitcnt lgkmcnt(5)
	v_lshlrev_b32_e32 v22, 1, v17
	v_mov_b32_e32 v23, 0
	v_cndmask_b32_e32 v15, v5, v7, vcc
	v_cndmask_b32_e32 v14, v4, v6, vcc
	v_lshl_add_u64 v[14:15], v[14:15], 0, v[22:23]
	s_waitcnt lgkmcnt(4)
	global_store_short v[14:15], v20, off
	s_or_b64 exec, exec, s[0:1]
	v_cmp_gt_u32_e32 vcc, s33, v13
	s_and_saveexec_b64 s[0:1], vcc
	s_cbranch_execz .LBB2268_185
.LBB2268_218:
	v_cmp_lt_u32_e32 vcc, v13, v18
	s_waitcnt lgkmcnt(4)
	v_lshlrev_b32_e32 v20, 1, v13
	v_mov_b32_e32 v21, 0
	v_cndmask_b32_e32 v15, v5, v7, vcc
	v_cndmask_b32_e32 v14, v4, v6, vcc
	v_lshl_add_u64 v[14:15], v[14:15], 0, v[20:21]
	s_waitcnt lgkmcnt(3)
	global_store_short v[14:15], v16, off
	s_or_b64 exec, exec, s[0:1]
	v_cmp_gt_u32_e32 vcc, s33, v11
	s_and_saveexec_b64 s[0:1], vcc
	s_cbranch_execz .LBB2268_186
.LBB2268_219:
	v_cmp_lt_u32_e32 vcc, v11, v18
	s_waitcnt lgkmcnt(3)
	v_lshlrev_b32_e32 v16, 1, v11
	v_mov_b32_e32 v17, 0
	v_cndmask_b32_e32 v15, v5, v7, vcc
	v_cndmask_b32_e32 v14, v4, v6, vcc
	v_lshl_add_u64 v[14:15], v[14:15], 0, v[16:17]
	s_waitcnt lgkmcnt(2)
	global_store_short v[14:15], v12, off
	s_or_b64 exec, exec, s[0:1]
	v_cmp_gt_u32_e32 vcc, s33, v10
	s_and_saveexec_b64 s[0:1], vcc
	s_cbranch_execnz .LBB2268_187
	s_branch .LBB2268_188
	.section	.rodata,"a",@progbits
	.p2align	6, 0x0
	.amdhsa_kernel _ZN7rocprim17ROCPRIM_400000_NS6detail17trampoline_kernelINS0_14default_configENS1_25partition_config_selectorILNS1_17partition_subalgoE1EtNS0_10empty_typeEbEEZZNS1_14partition_implILS5_1ELb0ES3_jN6thrust23THRUST_200600_302600_NS6detail15normal_iteratorINSA_10device_ptrItEEEEPS6_NSA_18transform_iteratorI7is_evenItESF_NSA_11use_defaultESK_EENS0_5tupleIJSF_SF_EEENSM_IJSG_SG_EEES6_PlJS6_EEE10hipError_tPvRmT3_T4_T5_T6_T7_T9_mT8_P12ihipStream_tbDpT10_ENKUlT_T0_E_clISt17integral_constantIbLb0EES19_EEDaS14_S15_EUlS14_E_NS1_11comp_targetILNS1_3genE5ELNS1_11target_archE942ELNS1_3gpuE9ELNS1_3repE0EEENS1_30default_config_static_selectorELNS0_4arch9wavefront6targetE1EEEvT1_
		.amdhsa_group_segment_fixed_size 28680
		.amdhsa_private_segment_fixed_size 0
		.amdhsa_kernarg_size 128
		.amdhsa_user_sgpr_count 2
		.amdhsa_user_sgpr_dispatch_ptr 0
		.amdhsa_user_sgpr_queue_ptr 0
		.amdhsa_user_sgpr_kernarg_segment_ptr 1
		.amdhsa_user_sgpr_dispatch_id 0
		.amdhsa_user_sgpr_kernarg_preload_length 0
		.amdhsa_user_sgpr_kernarg_preload_offset 0
		.amdhsa_user_sgpr_private_segment_size 0
		.amdhsa_uses_dynamic_stack 0
		.amdhsa_enable_private_segment 0
		.amdhsa_system_sgpr_workgroup_id_x 1
		.amdhsa_system_sgpr_workgroup_id_y 0
		.amdhsa_system_sgpr_workgroup_id_z 0
		.amdhsa_system_sgpr_workgroup_info 0
		.amdhsa_system_vgpr_workitem_id 0
		.amdhsa_next_free_vgpr 79
		.amdhsa_next_free_sgpr 44
		.amdhsa_accum_offset 80
		.amdhsa_reserve_vcc 1
		.amdhsa_float_round_mode_32 0
		.amdhsa_float_round_mode_16_64 0
		.amdhsa_float_denorm_mode_32 3
		.amdhsa_float_denorm_mode_16_64 3
		.amdhsa_dx10_clamp 1
		.amdhsa_ieee_mode 1
		.amdhsa_fp16_overflow 0
		.amdhsa_tg_split 0
		.amdhsa_exception_fp_ieee_invalid_op 0
		.amdhsa_exception_fp_denorm_src 0
		.amdhsa_exception_fp_ieee_div_zero 0
		.amdhsa_exception_fp_ieee_overflow 0
		.amdhsa_exception_fp_ieee_underflow 0
		.amdhsa_exception_fp_ieee_inexact 0
		.amdhsa_exception_int_div_zero 0
	.end_amdhsa_kernel
	.section	.text._ZN7rocprim17ROCPRIM_400000_NS6detail17trampoline_kernelINS0_14default_configENS1_25partition_config_selectorILNS1_17partition_subalgoE1EtNS0_10empty_typeEbEEZZNS1_14partition_implILS5_1ELb0ES3_jN6thrust23THRUST_200600_302600_NS6detail15normal_iteratorINSA_10device_ptrItEEEEPS6_NSA_18transform_iteratorI7is_evenItESF_NSA_11use_defaultESK_EENS0_5tupleIJSF_SF_EEENSM_IJSG_SG_EEES6_PlJS6_EEE10hipError_tPvRmT3_T4_T5_T6_T7_T9_mT8_P12ihipStream_tbDpT10_ENKUlT_T0_E_clISt17integral_constantIbLb0EES19_EEDaS14_S15_EUlS14_E_NS1_11comp_targetILNS1_3genE5ELNS1_11target_archE942ELNS1_3gpuE9ELNS1_3repE0EEENS1_30default_config_static_selectorELNS0_4arch9wavefront6targetE1EEEvT1_,"axG",@progbits,_ZN7rocprim17ROCPRIM_400000_NS6detail17trampoline_kernelINS0_14default_configENS1_25partition_config_selectorILNS1_17partition_subalgoE1EtNS0_10empty_typeEbEEZZNS1_14partition_implILS5_1ELb0ES3_jN6thrust23THRUST_200600_302600_NS6detail15normal_iteratorINSA_10device_ptrItEEEEPS6_NSA_18transform_iteratorI7is_evenItESF_NSA_11use_defaultESK_EENS0_5tupleIJSF_SF_EEENSM_IJSG_SG_EEES6_PlJS6_EEE10hipError_tPvRmT3_T4_T5_T6_T7_T9_mT8_P12ihipStream_tbDpT10_ENKUlT_T0_E_clISt17integral_constantIbLb0EES19_EEDaS14_S15_EUlS14_E_NS1_11comp_targetILNS1_3genE5ELNS1_11target_archE942ELNS1_3gpuE9ELNS1_3repE0EEENS1_30default_config_static_selectorELNS0_4arch9wavefront6targetE1EEEvT1_,comdat
.Lfunc_end2268:
	.size	_ZN7rocprim17ROCPRIM_400000_NS6detail17trampoline_kernelINS0_14default_configENS1_25partition_config_selectorILNS1_17partition_subalgoE1EtNS0_10empty_typeEbEEZZNS1_14partition_implILS5_1ELb0ES3_jN6thrust23THRUST_200600_302600_NS6detail15normal_iteratorINSA_10device_ptrItEEEEPS6_NSA_18transform_iteratorI7is_evenItESF_NSA_11use_defaultESK_EENS0_5tupleIJSF_SF_EEENSM_IJSG_SG_EEES6_PlJS6_EEE10hipError_tPvRmT3_T4_T5_T6_T7_T9_mT8_P12ihipStream_tbDpT10_ENKUlT_T0_E_clISt17integral_constantIbLb0EES19_EEDaS14_S15_EUlS14_E_NS1_11comp_targetILNS1_3genE5ELNS1_11target_archE942ELNS1_3gpuE9ELNS1_3repE0EEENS1_30default_config_static_selectorELNS0_4arch9wavefront6targetE1EEEvT1_, .Lfunc_end2268-_ZN7rocprim17ROCPRIM_400000_NS6detail17trampoline_kernelINS0_14default_configENS1_25partition_config_selectorILNS1_17partition_subalgoE1EtNS0_10empty_typeEbEEZZNS1_14partition_implILS5_1ELb0ES3_jN6thrust23THRUST_200600_302600_NS6detail15normal_iteratorINSA_10device_ptrItEEEEPS6_NSA_18transform_iteratorI7is_evenItESF_NSA_11use_defaultESK_EENS0_5tupleIJSF_SF_EEENSM_IJSG_SG_EEES6_PlJS6_EEE10hipError_tPvRmT3_T4_T5_T6_T7_T9_mT8_P12ihipStream_tbDpT10_ENKUlT_T0_E_clISt17integral_constantIbLb0EES19_EEDaS14_S15_EUlS14_E_NS1_11comp_targetILNS1_3genE5ELNS1_11target_archE942ELNS1_3gpuE9ELNS1_3repE0EEENS1_30default_config_static_selectorELNS0_4arch9wavefront6targetE1EEEvT1_
                                        ; -- End function
	.section	.AMDGPU.csdata,"",@progbits
; Kernel info:
; codeLenInByte = 12000
; NumSgprs: 50
; NumVgprs: 79
; NumAgprs: 0
; TotalNumVgprs: 79
; ScratchSize: 0
; MemoryBound: 0
; FloatMode: 240
; IeeeMode: 1
; LDSByteSize: 28680 bytes/workgroup (compile time only)
; SGPRBlocks: 6
; VGPRBlocks: 9
; NumSGPRsForWavesPerEU: 50
; NumVGPRsForWavesPerEU: 79
; AccumOffset: 80
; Occupancy: 4
; WaveLimiterHint : 1
; COMPUTE_PGM_RSRC2:SCRATCH_EN: 0
; COMPUTE_PGM_RSRC2:USER_SGPR: 2
; COMPUTE_PGM_RSRC2:TRAP_HANDLER: 0
; COMPUTE_PGM_RSRC2:TGID_X_EN: 1
; COMPUTE_PGM_RSRC2:TGID_Y_EN: 0
; COMPUTE_PGM_RSRC2:TGID_Z_EN: 0
; COMPUTE_PGM_RSRC2:TIDIG_COMP_CNT: 0
; COMPUTE_PGM_RSRC3_GFX90A:ACCUM_OFFSET: 19
; COMPUTE_PGM_RSRC3_GFX90A:TG_SPLIT: 0
	.section	.text._ZN7rocprim17ROCPRIM_400000_NS6detail17trampoline_kernelINS0_14default_configENS1_25partition_config_selectorILNS1_17partition_subalgoE1EtNS0_10empty_typeEbEEZZNS1_14partition_implILS5_1ELb0ES3_jN6thrust23THRUST_200600_302600_NS6detail15normal_iteratorINSA_10device_ptrItEEEEPS6_NSA_18transform_iteratorI7is_evenItESF_NSA_11use_defaultESK_EENS0_5tupleIJSF_SF_EEENSM_IJSG_SG_EEES6_PlJS6_EEE10hipError_tPvRmT3_T4_T5_T6_T7_T9_mT8_P12ihipStream_tbDpT10_ENKUlT_T0_E_clISt17integral_constantIbLb0EES19_EEDaS14_S15_EUlS14_E_NS1_11comp_targetILNS1_3genE4ELNS1_11target_archE910ELNS1_3gpuE8ELNS1_3repE0EEENS1_30default_config_static_selectorELNS0_4arch9wavefront6targetE1EEEvT1_,"axG",@progbits,_ZN7rocprim17ROCPRIM_400000_NS6detail17trampoline_kernelINS0_14default_configENS1_25partition_config_selectorILNS1_17partition_subalgoE1EtNS0_10empty_typeEbEEZZNS1_14partition_implILS5_1ELb0ES3_jN6thrust23THRUST_200600_302600_NS6detail15normal_iteratorINSA_10device_ptrItEEEEPS6_NSA_18transform_iteratorI7is_evenItESF_NSA_11use_defaultESK_EENS0_5tupleIJSF_SF_EEENSM_IJSG_SG_EEES6_PlJS6_EEE10hipError_tPvRmT3_T4_T5_T6_T7_T9_mT8_P12ihipStream_tbDpT10_ENKUlT_T0_E_clISt17integral_constantIbLb0EES19_EEDaS14_S15_EUlS14_E_NS1_11comp_targetILNS1_3genE4ELNS1_11target_archE910ELNS1_3gpuE8ELNS1_3repE0EEENS1_30default_config_static_selectorELNS0_4arch9wavefront6targetE1EEEvT1_,comdat
	.protected	_ZN7rocprim17ROCPRIM_400000_NS6detail17trampoline_kernelINS0_14default_configENS1_25partition_config_selectorILNS1_17partition_subalgoE1EtNS0_10empty_typeEbEEZZNS1_14partition_implILS5_1ELb0ES3_jN6thrust23THRUST_200600_302600_NS6detail15normal_iteratorINSA_10device_ptrItEEEEPS6_NSA_18transform_iteratorI7is_evenItESF_NSA_11use_defaultESK_EENS0_5tupleIJSF_SF_EEENSM_IJSG_SG_EEES6_PlJS6_EEE10hipError_tPvRmT3_T4_T5_T6_T7_T9_mT8_P12ihipStream_tbDpT10_ENKUlT_T0_E_clISt17integral_constantIbLb0EES19_EEDaS14_S15_EUlS14_E_NS1_11comp_targetILNS1_3genE4ELNS1_11target_archE910ELNS1_3gpuE8ELNS1_3repE0EEENS1_30default_config_static_selectorELNS0_4arch9wavefront6targetE1EEEvT1_ ; -- Begin function _ZN7rocprim17ROCPRIM_400000_NS6detail17trampoline_kernelINS0_14default_configENS1_25partition_config_selectorILNS1_17partition_subalgoE1EtNS0_10empty_typeEbEEZZNS1_14partition_implILS5_1ELb0ES3_jN6thrust23THRUST_200600_302600_NS6detail15normal_iteratorINSA_10device_ptrItEEEEPS6_NSA_18transform_iteratorI7is_evenItESF_NSA_11use_defaultESK_EENS0_5tupleIJSF_SF_EEENSM_IJSG_SG_EEES6_PlJS6_EEE10hipError_tPvRmT3_T4_T5_T6_T7_T9_mT8_P12ihipStream_tbDpT10_ENKUlT_T0_E_clISt17integral_constantIbLb0EES19_EEDaS14_S15_EUlS14_E_NS1_11comp_targetILNS1_3genE4ELNS1_11target_archE910ELNS1_3gpuE8ELNS1_3repE0EEENS1_30default_config_static_selectorELNS0_4arch9wavefront6targetE1EEEvT1_
	.globl	_ZN7rocprim17ROCPRIM_400000_NS6detail17trampoline_kernelINS0_14default_configENS1_25partition_config_selectorILNS1_17partition_subalgoE1EtNS0_10empty_typeEbEEZZNS1_14partition_implILS5_1ELb0ES3_jN6thrust23THRUST_200600_302600_NS6detail15normal_iteratorINSA_10device_ptrItEEEEPS6_NSA_18transform_iteratorI7is_evenItESF_NSA_11use_defaultESK_EENS0_5tupleIJSF_SF_EEENSM_IJSG_SG_EEES6_PlJS6_EEE10hipError_tPvRmT3_T4_T5_T6_T7_T9_mT8_P12ihipStream_tbDpT10_ENKUlT_T0_E_clISt17integral_constantIbLb0EES19_EEDaS14_S15_EUlS14_E_NS1_11comp_targetILNS1_3genE4ELNS1_11target_archE910ELNS1_3gpuE8ELNS1_3repE0EEENS1_30default_config_static_selectorELNS0_4arch9wavefront6targetE1EEEvT1_
	.p2align	8
	.type	_ZN7rocprim17ROCPRIM_400000_NS6detail17trampoline_kernelINS0_14default_configENS1_25partition_config_selectorILNS1_17partition_subalgoE1EtNS0_10empty_typeEbEEZZNS1_14partition_implILS5_1ELb0ES3_jN6thrust23THRUST_200600_302600_NS6detail15normal_iteratorINSA_10device_ptrItEEEEPS6_NSA_18transform_iteratorI7is_evenItESF_NSA_11use_defaultESK_EENS0_5tupleIJSF_SF_EEENSM_IJSG_SG_EEES6_PlJS6_EEE10hipError_tPvRmT3_T4_T5_T6_T7_T9_mT8_P12ihipStream_tbDpT10_ENKUlT_T0_E_clISt17integral_constantIbLb0EES19_EEDaS14_S15_EUlS14_E_NS1_11comp_targetILNS1_3genE4ELNS1_11target_archE910ELNS1_3gpuE8ELNS1_3repE0EEENS1_30default_config_static_selectorELNS0_4arch9wavefront6targetE1EEEvT1_,@function
_ZN7rocprim17ROCPRIM_400000_NS6detail17trampoline_kernelINS0_14default_configENS1_25partition_config_selectorILNS1_17partition_subalgoE1EtNS0_10empty_typeEbEEZZNS1_14partition_implILS5_1ELb0ES3_jN6thrust23THRUST_200600_302600_NS6detail15normal_iteratorINSA_10device_ptrItEEEEPS6_NSA_18transform_iteratorI7is_evenItESF_NSA_11use_defaultESK_EENS0_5tupleIJSF_SF_EEENSM_IJSG_SG_EEES6_PlJS6_EEE10hipError_tPvRmT3_T4_T5_T6_T7_T9_mT8_P12ihipStream_tbDpT10_ENKUlT_T0_E_clISt17integral_constantIbLb0EES19_EEDaS14_S15_EUlS14_E_NS1_11comp_targetILNS1_3genE4ELNS1_11target_archE910ELNS1_3gpuE8ELNS1_3repE0EEENS1_30default_config_static_selectorELNS0_4arch9wavefront6targetE1EEEvT1_: ; @_ZN7rocprim17ROCPRIM_400000_NS6detail17trampoline_kernelINS0_14default_configENS1_25partition_config_selectorILNS1_17partition_subalgoE1EtNS0_10empty_typeEbEEZZNS1_14partition_implILS5_1ELb0ES3_jN6thrust23THRUST_200600_302600_NS6detail15normal_iteratorINSA_10device_ptrItEEEEPS6_NSA_18transform_iteratorI7is_evenItESF_NSA_11use_defaultESK_EENS0_5tupleIJSF_SF_EEENSM_IJSG_SG_EEES6_PlJS6_EEE10hipError_tPvRmT3_T4_T5_T6_T7_T9_mT8_P12ihipStream_tbDpT10_ENKUlT_T0_E_clISt17integral_constantIbLb0EES19_EEDaS14_S15_EUlS14_E_NS1_11comp_targetILNS1_3genE4ELNS1_11target_archE910ELNS1_3gpuE8ELNS1_3repE0EEENS1_30default_config_static_selectorELNS0_4arch9wavefront6targetE1EEEvT1_
; %bb.0:
	.section	.rodata,"a",@progbits
	.p2align	6, 0x0
	.amdhsa_kernel _ZN7rocprim17ROCPRIM_400000_NS6detail17trampoline_kernelINS0_14default_configENS1_25partition_config_selectorILNS1_17partition_subalgoE1EtNS0_10empty_typeEbEEZZNS1_14partition_implILS5_1ELb0ES3_jN6thrust23THRUST_200600_302600_NS6detail15normal_iteratorINSA_10device_ptrItEEEEPS6_NSA_18transform_iteratorI7is_evenItESF_NSA_11use_defaultESK_EENS0_5tupleIJSF_SF_EEENSM_IJSG_SG_EEES6_PlJS6_EEE10hipError_tPvRmT3_T4_T5_T6_T7_T9_mT8_P12ihipStream_tbDpT10_ENKUlT_T0_E_clISt17integral_constantIbLb0EES19_EEDaS14_S15_EUlS14_E_NS1_11comp_targetILNS1_3genE4ELNS1_11target_archE910ELNS1_3gpuE8ELNS1_3repE0EEENS1_30default_config_static_selectorELNS0_4arch9wavefront6targetE1EEEvT1_
		.amdhsa_group_segment_fixed_size 0
		.amdhsa_private_segment_fixed_size 0
		.amdhsa_kernarg_size 128
		.amdhsa_user_sgpr_count 2
		.amdhsa_user_sgpr_dispatch_ptr 0
		.amdhsa_user_sgpr_queue_ptr 0
		.amdhsa_user_sgpr_kernarg_segment_ptr 1
		.amdhsa_user_sgpr_dispatch_id 0
		.amdhsa_user_sgpr_kernarg_preload_length 0
		.amdhsa_user_sgpr_kernarg_preload_offset 0
		.amdhsa_user_sgpr_private_segment_size 0
		.amdhsa_uses_dynamic_stack 0
		.amdhsa_enable_private_segment 0
		.amdhsa_system_sgpr_workgroup_id_x 1
		.amdhsa_system_sgpr_workgroup_id_y 0
		.amdhsa_system_sgpr_workgroup_id_z 0
		.amdhsa_system_sgpr_workgroup_info 0
		.amdhsa_system_vgpr_workitem_id 0
		.amdhsa_next_free_vgpr 1
		.amdhsa_next_free_sgpr 0
		.amdhsa_accum_offset 4
		.amdhsa_reserve_vcc 0
		.amdhsa_float_round_mode_32 0
		.amdhsa_float_round_mode_16_64 0
		.amdhsa_float_denorm_mode_32 3
		.amdhsa_float_denorm_mode_16_64 3
		.amdhsa_dx10_clamp 1
		.amdhsa_ieee_mode 1
		.amdhsa_fp16_overflow 0
		.amdhsa_tg_split 0
		.amdhsa_exception_fp_ieee_invalid_op 0
		.amdhsa_exception_fp_denorm_src 0
		.amdhsa_exception_fp_ieee_div_zero 0
		.amdhsa_exception_fp_ieee_overflow 0
		.amdhsa_exception_fp_ieee_underflow 0
		.amdhsa_exception_fp_ieee_inexact 0
		.amdhsa_exception_int_div_zero 0
	.end_amdhsa_kernel
	.section	.text._ZN7rocprim17ROCPRIM_400000_NS6detail17trampoline_kernelINS0_14default_configENS1_25partition_config_selectorILNS1_17partition_subalgoE1EtNS0_10empty_typeEbEEZZNS1_14partition_implILS5_1ELb0ES3_jN6thrust23THRUST_200600_302600_NS6detail15normal_iteratorINSA_10device_ptrItEEEEPS6_NSA_18transform_iteratorI7is_evenItESF_NSA_11use_defaultESK_EENS0_5tupleIJSF_SF_EEENSM_IJSG_SG_EEES6_PlJS6_EEE10hipError_tPvRmT3_T4_T5_T6_T7_T9_mT8_P12ihipStream_tbDpT10_ENKUlT_T0_E_clISt17integral_constantIbLb0EES19_EEDaS14_S15_EUlS14_E_NS1_11comp_targetILNS1_3genE4ELNS1_11target_archE910ELNS1_3gpuE8ELNS1_3repE0EEENS1_30default_config_static_selectorELNS0_4arch9wavefront6targetE1EEEvT1_,"axG",@progbits,_ZN7rocprim17ROCPRIM_400000_NS6detail17trampoline_kernelINS0_14default_configENS1_25partition_config_selectorILNS1_17partition_subalgoE1EtNS0_10empty_typeEbEEZZNS1_14partition_implILS5_1ELb0ES3_jN6thrust23THRUST_200600_302600_NS6detail15normal_iteratorINSA_10device_ptrItEEEEPS6_NSA_18transform_iteratorI7is_evenItESF_NSA_11use_defaultESK_EENS0_5tupleIJSF_SF_EEENSM_IJSG_SG_EEES6_PlJS6_EEE10hipError_tPvRmT3_T4_T5_T6_T7_T9_mT8_P12ihipStream_tbDpT10_ENKUlT_T0_E_clISt17integral_constantIbLb0EES19_EEDaS14_S15_EUlS14_E_NS1_11comp_targetILNS1_3genE4ELNS1_11target_archE910ELNS1_3gpuE8ELNS1_3repE0EEENS1_30default_config_static_selectorELNS0_4arch9wavefront6targetE1EEEvT1_,comdat
.Lfunc_end2269:
	.size	_ZN7rocprim17ROCPRIM_400000_NS6detail17trampoline_kernelINS0_14default_configENS1_25partition_config_selectorILNS1_17partition_subalgoE1EtNS0_10empty_typeEbEEZZNS1_14partition_implILS5_1ELb0ES3_jN6thrust23THRUST_200600_302600_NS6detail15normal_iteratorINSA_10device_ptrItEEEEPS6_NSA_18transform_iteratorI7is_evenItESF_NSA_11use_defaultESK_EENS0_5tupleIJSF_SF_EEENSM_IJSG_SG_EEES6_PlJS6_EEE10hipError_tPvRmT3_T4_T5_T6_T7_T9_mT8_P12ihipStream_tbDpT10_ENKUlT_T0_E_clISt17integral_constantIbLb0EES19_EEDaS14_S15_EUlS14_E_NS1_11comp_targetILNS1_3genE4ELNS1_11target_archE910ELNS1_3gpuE8ELNS1_3repE0EEENS1_30default_config_static_selectorELNS0_4arch9wavefront6targetE1EEEvT1_, .Lfunc_end2269-_ZN7rocprim17ROCPRIM_400000_NS6detail17trampoline_kernelINS0_14default_configENS1_25partition_config_selectorILNS1_17partition_subalgoE1EtNS0_10empty_typeEbEEZZNS1_14partition_implILS5_1ELb0ES3_jN6thrust23THRUST_200600_302600_NS6detail15normal_iteratorINSA_10device_ptrItEEEEPS6_NSA_18transform_iteratorI7is_evenItESF_NSA_11use_defaultESK_EENS0_5tupleIJSF_SF_EEENSM_IJSG_SG_EEES6_PlJS6_EEE10hipError_tPvRmT3_T4_T5_T6_T7_T9_mT8_P12ihipStream_tbDpT10_ENKUlT_T0_E_clISt17integral_constantIbLb0EES19_EEDaS14_S15_EUlS14_E_NS1_11comp_targetILNS1_3genE4ELNS1_11target_archE910ELNS1_3gpuE8ELNS1_3repE0EEENS1_30default_config_static_selectorELNS0_4arch9wavefront6targetE1EEEvT1_
                                        ; -- End function
	.section	.AMDGPU.csdata,"",@progbits
; Kernel info:
; codeLenInByte = 0
; NumSgprs: 6
; NumVgprs: 0
; NumAgprs: 0
; TotalNumVgprs: 0
; ScratchSize: 0
; MemoryBound: 0
; FloatMode: 240
; IeeeMode: 1
; LDSByteSize: 0 bytes/workgroup (compile time only)
; SGPRBlocks: 0
; VGPRBlocks: 0
; NumSGPRsForWavesPerEU: 6
; NumVGPRsForWavesPerEU: 1
; AccumOffset: 4
; Occupancy: 8
; WaveLimiterHint : 0
; COMPUTE_PGM_RSRC2:SCRATCH_EN: 0
; COMPUTE_PGM_RSRC2:USER_SGPR: 2
; COMPUTE_PGM_RSRC2:TRAP_HANDLER: 0
; COMPUTE_PGM_RSRC2:TGID_X_EN: 1
; COMPUTE_PGM_RSRC2:TGID_Y_EN: 0
; COMPUTE_PGM_RSRC2:TGID_Z_EN: 0
; COMPUTE_PGM_RSRC2:TIDIG_COMP_CNT: 0
; COMPUTE_PGM_RSRC3_GFX90A:ACCUM_OFFSET: 0
; COMPUTE_PGM_RSRC3_GFX90A:TG_SPLIT: 0
	.section	.text._ZN7rocprim17ROCPRIM_400000_NS6detail17trampoline_kernelINS0_14default_configENS1_25partition_config_selectorILNS1_17partition_subalgoE1EtNS0_10empty_typeEbEEZZNS1_14partition_implILS5_1ELb0ES3_jN6thrust23THRUST_200600_302600_NS6detail15normal_iteratorINSA_10device_ptrItEEEEPS6_NSA_18transform_iteratorI7is_evenItESF_NSA_11use_defaultESK_EENS0_5tupleIJSF_SF_EEENSM_IJSG_SG_EEES6_PlJS6_EEE10hipError_tPvRmT3_T4_T5_T6_T7_T9_mT8_P12ihipStream_tbDpT10_ENKUlT_T0_E_clISt17integral_constantIbLb0EES19_EEDaS14_S15_EUlS14_E_NS1_11comp_targetILNS1_3genE3ELNS1_11target_archE908ELNS1_3gpuE7ELNS1_3repE0EEENS1_30default_config_static_selectorELNS0_4arch9wavefront6targetE1EEEvT1_,"axG",@progbits,_ZN7rocprim17ROCPRIM_400000_NS6detail17trampoline_kernelINS0_14default_configENS1_25partition_config_selectorILNS1_17partition_subalgoE1EtNS0_10empty_typeEbEEZZNS1_14partition_implILS5_1ELb0ES3_jN6thrust23THRUST_200600_302600_NS6detail15normal_iteratorINSA_10device_ptrItEEEEPS6_NSA_18transform_iteratorI7is_evenItESF_NSA_11use_defaultESK_EENS0_5tupleIJSF_SF_EEENSM_IJSG_SG_EEES6_PlJS6_EEE10hipError_tPvRmT3_T4_T5_T6_T7_T9_mT8_P12ihipStream_tbDpT10_ENKUlT_T0_E_clISt17integral_constantIbLb0EES19_EEDaS14_S15_EUlS14_E_NS1_11comp_targetILNS1_3genE3ELNS1_11target_archE908ELNS1_3gpuE7ELNS1_3repE0EEENS1_30default_config_static_selectorELNS0_4arch9wavefront6targetE1EEEvT1_,comdat
	.protected	_ZN7rocprim17ROCPRIM_400000_NS6detail17trampoline_kernelINS0_14default_configENS1_25partition_config_selectorILNS1_17partition_subalgoE1EtNS0_10empty_typeEbEEZZNS1_14partition_implILS5_1ELb0ES3_jN6thrust23THRUST_200600_302600_NS6detail15normal_iteratorINSA_10device_ptrItEEEEPS6_NSA_18transform_iteratorI7is_evenItESF_NSA_11use_defaultESK_EENS0_5tupleIJSF_SF_EEENSM_IJSG_SG_EEES6_PlJS6_EEE10hipError_tPvRmT3_T4_T5_T6_T7_T9_mT8_P12ihipStream_tbDpT10_ENKUlT_T0_E_clISt17integral_constantIbLb0EES19_EEDaS14_S15_EUlS14_E_NS1_11comp_targetILNS1_3genE3ELNS1_11target_archE908ELNS1_3gpuE7ELNS1_3repE0EEENS1_30default_config_static_selectorELNS0_4arch9wavefront6targetE1EEEvT1_ ; -- Begin function _ZN7rocprim17ROCPRIM_400000_NS6detail17trampoline_kernelINS0_14default_configENS1_25partition_config_selectorILNS1_17partition_subalgoE1EtNS0_10empty_typeEbEEZZNS1_14partition_implILS5_1ELb0ES3_jN6thrust23THRUST_200600_302600_NS6detail15normal_iteratorINSA_10device_ptrItEEEEPS6_NSA_18transform_iteratorI7is_evenItESF_NSA_11use_defaultESK_EENS0_5tupleIJSF_SF_EEENSM_IJSG_SG_EEES6_PlJS6_EEE10hipError_tPvRmT3_T4_T5_T6_T7_T9_mT8_P12ihipStream_tbDpT10_ENKUlT_T0_E_clISt17integral_constantIbLb0EES19_EEDaS14_S15_EUlS14_E_NS1_11comp_targetILNS1_3genE3ELNS1_11target_archE908ELNS1_3gpuE7ELNS1_3repE0EEENS1_30default_config_static_selectorELNS0_4arch9wavefront6targetE1EEEvT1_
	.globl	_ZN7rocprim17ROCPRIM_400000_NS6detail17trampoline_kernelINS0_14default_configENS1_25partition_config_selectorILNS1_17partition_subalgoE1EtNS0_10empty_typeEbEEZZNS1_14partition_implILS5_1ELb0ES3_jN6thrust23THRUST_200600_302600_NS6detail15normal_iteratorINSA_10device_ptrItEEEEPS6_NSA_18transform_iteratorI7is_evenItESF_NSA_11use_defaultESK_EENS0_5tupleIJSF_SF_EEENSM_IJSG_SG_EEES6_PlJS6_EEE10hipError_tPvRmT3_T4_T5_T6_T7_T9_mT8_P12ihipStream_tbDpT10_ENKUlT_T0_E_clISt17integral_constantIbLb0EES19_EEDaS14_S15_EUlS14_E_NS1_11comp_targetILNS1_3genE3ELNS1_11target_archE908ELNS1_3gpuE7ELNS1_3repE0EEENS1_30default_config_static_selectorELNS0_4arch9wavefront6targetE1EEEvT1_
	.p2align	8
	.type	_ZN7rocprim17ROCPRIM_400000_NS6detail17trampoline_kernelINS0_14default_configENS1_25partition_config_selectorILNS1_17partition_subalgoE1EtNS0_10empty_typeEbEEZZNS1_14partition_implILS5_1ELb0ES3_jN6thrust23THRUST_200600_302600_NS6detail15normal_iteratorINSA_10device_ptrItEEEEPS6_NSA_18transform_iteratorI7is_evenItESF_NSA_11use_defaultESK_EENS0_5tupleIJSF_SF_EEENSM_IJSG_SG_EEES6_PlJS6_EEE10hipError_tPvRmT3_T4_T5_T6_T7_T9_mT8_P12ihipStream_tbDpT10_ENKUlT_T0_E_clISt17integral_constantIbLb0EES19_EEDaS14_S15_EUlS14_E_NS1_11comp_targetILNS1_3genE3ELNS1_11target_archE908ELNS1_3gpuE7ELNS1_3repE0EEENS1_30default_config_static_selectorELNS0_4arch9wavefront6targetE1EEEvT1_,@function
_ZN7rocprim17ROCPRIM_400000_NS6detail17trampoline_kernelINS0_14default_configENS1_25partition_config_selectorILNS1_17partition_subalgoE1EtNS0_10empty_typeEbEEZZNS1_14partition_implILS5_1ELb0ES3_jN6thrust23THRUST_200600_302600_NS6detail15normal_iteratorINSA_10device_ptrItEEEEPS6_NSA_18transform_iteratorI7is_evenItESF_NSA_11use_defaultESK_EENS0_5tupleIJSF_SF_EEENSM_IJSG_SG_EEES6_PlJS6_EEE10hipError_tPvRmT3_T4_T5_T6_T7_T9_mT8_P12ihipStream_tbDpT10_ENKUlT_T0_E_clISt17integral_constantIbLb0EES19_EEDaS14_S15_EUlS14_E_NS1_11comp_targetILNS1_3genE3ELNS1_11target_archE908ELNS1_3gpuE7ELNS1_3repE0EEENS1_30default_config_static_selectorELNS0_4arch9wavefront6targetE1EEEvT1_: ; @_ZN7rocprim17ROCPRIM_400000_NS6detail17trampoline_kernelINS0_14default_configENS1_25partition_config_selectorILNS1_17partition_subalgoE1EtNS0_10empty_typeEbEEZZNS1_14partition_implILS5_1ELb0ES3_jN6thrust23THRUST_200600_302600_NS6detail15normal_iteratorINSA_10device_ptrItEEEEPS6_NSA_18transform_iteratorI7is_evenItESF_NSA_11use_defaultESK_EENS0_5tupleIJSF_SF_EEENSM_IJSG_SG_EEES6_PlJS6_EEE10hipError_tPvRmT3_T4_T5_T6_T7_T9_mT8_P12ihipStream_tbDpT10_ENKUlT_T0_E_clISt17integral_constantIbLb0EES19_EEDaS14_S15_EUlS14_E_NS1_11comp_targetILNS1_3genE3ELNS1_11target_archE908ELNS1_3gpuE7ELNS1_3repE0EEENS1_30default_config_static_selectorELNS0_4arch9wavefront6targetE1EEEvT1_
; %bb.0:
	.section	.rodata,"a",@progbits
	.p2align	6, 0x0
	.amdhsa_kernel _ZN7rocprim17ROCPRIM_400000_NS6detail17trampoline_kernelINS0_14default_configENS1_25partition_config_selectorILNS1_17partition_subalgoE1EtNS0_10empty_typeEbEEZZNS1_14partition_implILS5_1ELb0ES3_jN6thrust23THRUST_200600_302600_NS6detail15normal_iteratorINSA_10device_ptrItEEEEPS6_NSA_18transform_iteratorI7is_evenItESF_NSA_11use_defaultESK_EENS0_5tupleIJSF_SF_EEENSM_IJSG_SG_EEES6_PlJS6_EEE10hipError_tPvRmT3_T4_T5_T6_T7_T9_mT8_P12ihipStream_tbDpT10_ENKUlT_T0_E_clISt17integral_constantIbLb0EES19_EEDaS14_S15_EUlS14_E_NS1_11comp_targetILNS1_3genE3ELNS1_11target_archE908ELNS1_3gpuE7ELNS1_3repE0EEENS1_30default_config_static_selectorELNS0_4arch9wavefront6targetE1EEEvT1_
		.amdhsa_group_segment_fixed_size 0
		.amdhsa_private_segment_fixed_size 0
		.amdhsa_kernarg_size 128
		.amdhsa_user_sgpr_count 2
		.amdhsa_user_sgpr_dispatch_ptr 0
		.amdhsa_user_sgpr_queue_ptr 0
		.amdhsa_user_sgpr_kernarg_segment_ptr 1
		.amdhsa_user_sgpr_dispatch_id 0
		.amdhsa_user_sgpr_kernarg_preload_length 0
		.amdhsa_user_sgpr_kernarg_preload_offset 0
		.amdhsa_user_sgpr_private_segment_size 0
		.amdhsa_uses_dynamic_stack 0
		.amdhsa_enable_private_segment 0
		.amdhsa_system_sgpr_workgroup_id_x 1
		.amdhsa_system_sgpr_workgroup_id_y 0
		.amdhsa_system_sgpr_workgroup_id_z 0
		.amdhsa_system_sgpr_workgroup_info 0
		.amdhsa_system_vgpr_workitem_id 0
		.amdhsa_next_free_vgpr 1
		.amdhsa_next_free_sgpr 0
		.amdhsa_accum_offset 4
		.amdhsa_reserve_vcc 0
		.amdhsa_float_round_mode_32 0
		.amdhsa_float_round_mode_16_64 0
		.amdhsa_float_denorm_mode_32 3
		.amdhsa_float_denorm_mode_16_64 3
		.amdhsa_dx10_clamp 1
		.amdhsa_ieee_mode 1
		.amdhsa_fp16_overflow 0
		.amdhsa_tg_split 0
		.amdhsa_exception_fp_ieee_invalid_op 0
		.amdhsa_exception_fp_denorm_src 0
		.amdhsa_exception_fp_ieee_div_zero 0
		.amdhsa_exception_fp_ieee_overflow 0
		.amdhsa_exception_fp_ieee_underflow 0
		.amdhsa_exception_fp_ieee_inexact 0
		.amdhsa_exception_int_div_zero 0
	.end_amdhsa_kernel
	.section	.text._ZN7rocprim17ROCPRIM_400000_NS6detail17trampoline_kernelINS0_14default_configENS1_25partition_config_selectorILNS1_17partition_subalgoE1EtNS0_10empty_typeEbEEZZNS1_14partition_implILS5_1ELb0ES3_jN6thrust23THRUST_200600_302600_NS6detail15normal_iteratorINSA_10device_ptrItEEEEPS6_NSA_18transform_iteratorI7is_evenItESF_NSA_11use_defaultESK_EENS0_5tupleIJSF_SF_EEENSM_IJSG_SG_EEES6_PlJS6_EEE10hipError_tPvRmT3_T4_T5_T6_T7_T9_mT8_P12ihipStream_tbDpT10_ENKUlT_T0_E_clISt17integral_constantIbLb0EES19_EEDaS14_S15_EUlS14_E_NS1_11comp_targetILNS1_3genE3ELNS1_11target_archE908ELNS1_3gpuE7ELNS1_3repE0EEENS1_30default_config_static_selectorELNS0_4arch9wavefront6targetE1EEEvT1_,"axG",@progbits,_ZN7rocprim17ROCPRIM_400000_NS6detail17trampoline_kernelINS0_14default_configENS1_25partition_config_selectorILNS1_17partition_subalgoE1EtNS0_10empty_typeEbEEZZNS1_14partition_implILS5_1ELb0ES3_jN6thrust23THRUST_200600_302600_NS6detail15normal_iteratorINSA_10device_ptrItEEEEPS6_NSA_18transform_iteratorI7is_evenItESF_NSA_11use_defaultESK_EENS0_5tupleIJSF_SF_EEENSM_IJSG_SG_EEES6_PlJS6_EEE10hipError_tPvRmT3_T4_T5_T6_T7_T9_mT8_P12ihipStream_tbDpT10_ENKUlT_T0_E_clISt17integral_constantIbLb0EES19_EEDaS14_S15_EUlS14_E_NS1_11comp_targetILNS1_3genE3ELNS1_11target_archE908ELNS1_3gpuE7ELNS1_3repE0EEENS1_30default_config_static_selectorELNS0_4arch9wavefront6targetE1EEEvT1_,comdat
.Lfunc_end2270:
	.size	_ZN7rocprim17ROCPRIM_400000_NS6detail17trampoline_kernelINS0_14default_configENS1_25partition_config_selectorILNS1_17partition_subalgoE1EtNS0_10empty_typeEbEEZZNS1_14partition_implILS5_1ELb0ES3_jN6thrust23THRUST_200600_302600_NS6detail15normal_iteratorINSA_10device_ptrItEEEEPS6_NSA_18transform_iteratorI7is_evenItESF_NSA_11use_defaultESK_EENS0_5tupleIJSF_SF_EEENSM_IJSG_SG_EEES6_PlJS6_EEE10hipError_tPvRmT3_T4_T5_T6_T7_T9_mT8_P12ihipStream_tbDpT10_ENKUlT_T0_E_clISt17integral_constantIbLb0EES19_EEDaS14_S15_EUlS14_E_NS1_11comp_targetILNS1_3genE3ELNS1_11target_archE908ELNS1_3gpuE7ELNS1_3repE0EEENS1_30default_config_static_selectorELNS0_4arch9wavefront6targetE1EEEvT1_, .Lfunc_end2270-_ZN7rocprim17ROCPRIM_400000_NS6detail17trampoline_kernelINS0_14default_configENS1_25partition_config_selectorILNS1_17partition_subalgoE1EtNS0_10empty_typeEbEEZZNS1_14partition_implILS5_1ELb0ES3_jN6thrust23THRUST_200600_302600_NS6detail15normal_iteratorINSA_10device_ptrItEEEEPS6_NSA_18transform_iteratorI7is_evenItESF_NSA_11use_defaultESK_EENS0_5tupleIJSF_SF_EEENSM_IJSG_SG_EEES6_PlJS6_EEE10hipError_tPvRmT3_T4_T5_T6_T7_T9_mT8_P12ihipStream_tbDpT10_ENKUlT_T0_E_clISt17integral_constantIbLb0EES19_EEDaS14_S15_EUlS14_E_NS1_11comp_targetILNS1_3genE3ELNS1_11target_archE908ELNS1_3gpuE7ELNS1_3repE0EEENS1_30default_config_static_selectorELNS0_4arch9wavefront6targetE1EEEvT1_
                                        ; -- End function
	.section	.AMDGPU.csdata,"",@progbits
; Kernel info:
; codeLenInByte = 0
; NumSgprs: 6
; NumVgprs: 0
; NumAgprs: 0
; TotalNumVgprs: 0
; ScratchSize: 0
; MemoryBound: 0
; FloatMode: 240
; IeeeMode: 1
; LDSByteSize: 0 bytes/workgroup (compile time only)
; SGPRBlocks: 0
; VGPRBlocks: 0
; NumSGPRsForWavesPerEU: 6
; NumVGPRsForWavesPerEU: 1
; AccumOffset: 4
; Occupancy: 8
; WaveLimiterHint : 0
; COMPUTE_PGM_RSRC2:SCRATCH_EN: 0
; COMPUTE_PGM_RSRC2:USER_SGPR: 2
; COMPUTE_PGM_RSRC2:TRAP_HANDLER: 0
; COMPUTE_PGM_RSRC2:TGID_X_EN: 1
; COMPUTE_PGM_RSRC2:TGID_Y_EN: 0
; COMPUTE_PGM_RSRC2:TGID_Z_EN: 0
; COMPUTE_PGM_RSRC2:TIDIG_COMP_CNT: 0
; COMPUTE_PGM_RSRC3_GFX90A:ACCUM_OFFSET: 0
; COMPUTE_PGM_RSRC3_GFX90A:TG_SPLIT: 0
	.section	.text._ZN7rocprim17ROCPRIM_400000_NS6detail17trampoline_kernelINS0_14default_configENS1_25partition_config_selectorILNS1_17partition_subalgoE1EtNS0_10empty_typeEbEEZZNS1_14partition_implILS5_1ELb0ES3_jN6thrust23THRUST_200600_302600_NS6detail15normal_iteratorINSA_10device_ptrItEEEEPS6_NSA_18transform_iteratorI7is_evenItESF_NSA_11use_defaultESK_EENS0_5tupleIJSF_SF_EEENSM_IJSG_SG_EEES6_PlJS6_EEE10hipError_tPvRmT3_T4_T5_T6_T7_T9_mT8_P12ihipStream_tbDpT10_ENKUlT_T0_E_clISt17integral_constantIbLb0EES19_EEDaS14_S15_EUlS14_E_NS1_11comp_targetILNS1_3genE2ELNS1_11target_archE906ELNS1_3gpuE6ELNS1_3repE0EEENS1_30default_config_static_selectorELNS0_4arch9wavefront6targetE1EEEvT1_,"axG",@progbits,_ZN7rocprim17ROCPRIM_400000_NS6detail17trampoline_kernelINS0_14default_configENS1_25partition_config_selectorILNS1_17partition_subalgoE1EtNS0_10empty_typeEbEEZZNS1_14partition_implILS5_1ELb0ES3_jN6thrust23THRUST_200600_302600_NS6detail15normal_iteratorINSA_10device_ptrItEEEEPS6_NSA_18transform_iteratorI7is_evenItESF_NSA_11use_defaultESK_EENS0_5tupleIJSF_SF_EEENSM_IJSG_SG_EEES6_PlJS6_EEE10hipError_tPvRmT3_T4_T5_T6_T7_T9_mT8_P12ihipStream_tbDpT10_ENKUlT_T0_E_clISt17integral_constantIbLb0EES19_EEDaS14_S15_EUlS14_E_NS1_11comp_targetILNS1_3genE2ELNS1_11target_archE906ELNS1_3gpuE6ELNS1_3repE0EEENS1_30default_config_static_selectorELNS0_4arch9wavefront6targetE1EEEvT1_,comdat
	.protected	_ZN7rocprim17ROCPRIM_400000_NS6detail17trampoline_kernelINS0_14default_configENS1_25partition_config_selectorILNS1_17partition_subalgoE1EtNS0_10empty_typeEbEEZZNS1_14partition_implILS5_1ELb0ES3_jN6thrust23THRUST_200600_302600_NS6detail15normal_iteratorINSA_10device_ptrItEEEEPS6_NSA_18transform_iteratorI7is_evenItESF_NSA_11use_defaultESK_EENS0_5tupleIJSF_SF_EEENSM_IJSG_SG_EEES6_PlJS6_EEE10hipError_tPvRmT3_T4_T5_T6_T7_T9_mT8_P12ihipStream_tbDpT10_ENKUlT_T0_E_clISt17integral_constantIbLb0EES19_EEDaS14_S15_EUlS14_E_NS1_11comp_targetILNS1_3genE2ELNS1_11target_archE906ELNS1_3gpuE6ELNS1_3repE0EEENS1_30default_config_static_selectorELNS0_4arch9wavefront6targetE1EEEvT1_ ; -- Begin function _ZN7rocprim17ROCPRIM_400000_NS6detail17trampoline_kernelINS0_14default_configENS1_25partition_config_selectorILNS1_17partition_subalgoE1EtNS0_10empty_typeEbEEZZNS1_14partition_implILS5_1ELb0ES3_jN6thrust23THRUST_200600_302600_NS6detail15normal_iteratorINSA_10device_ptrItEEEEPS6_NSA_18transform_iteratorI7is_evenItESF_NSA_11use_defaultESK_EENS0_5tupleIJSF_SF_EEENSM_IJSG_SG_EEES6_PlJS6_EEE10hipError_tPvRmT3_T4_T5_T6_T7_T9_mT8_P12ihipStream_tbDpT10_ENKUlT_T0_E_clISt17integral_constantIbLb0EES19_EEDaS14_S15_EUlS14_E_NS1_11comp_targetILNS1_3genE2ELNS1_11target_archE906ELNS1_3gpuE6ELNS1_3repE0EEENS1_30default_config_static_selectorELNS0_4arch9wavefront6targetE1EEEvT1_
	.globl	_ZN7rocprim17ROCPRIM_400000_NS6detail17trampoline_kernelINS0_14default_configENS1_25partition_config_selectorILNS1_17partition_subalgoE1EtNS0_10empty_typeEbEEZZNS1_14partition_implILS5_1ELb0ES3_jN6thrust23THRUST_200600_302600_NS6detail15normal_iteratorINSA_10device_ptrItEEEEPS6_NSA_18transform_iteratorI7is_evenItESF_NSA_11use_defaultESK_EENS0_5tupleIJSF_SF_EEENSM_IJSG_SG_EEES6_PlJS6_EEE10hipError_tPvRmT3_T4_T5_T6_T7_T9_mT8_P12ihipStream_tbDpT10_ENKUlT_T0_E_clISt17integral_constantIbLb0EES19_EEDaS14_S15_EUlS14_E_NS1_11comp_targetILNS1_3genE2ELNS1_11target_archE906ELNS1_3gpuE6ELNS1_3repE0EEENS1_30default_config_static_selectorELNS0_4arch9wavefront6targetE1EEEvT1_
	.p2align	8
	.type	_ZN7rocprim17ROCPRIM_400000_NS6detail17trampoline_kernelINS0_14default_configENS1_25partition_config_selectorILNS1_17partition_subalgoE1EtNS0_10empty_typeEbEEZZNS1_14partition_implILS5_1ELb0ES3_jN6thrust23THRUST_200600_302600_NS6detail15normal_iteratorINSA_10device_ptrItEEEEPS6_NSA_18transform_iteratorI7is_evenItESF_NSA_11use_defaultESK_EENS0_5tupleIJSF_SF_EEENSM_IJSG_SG_EEES6_PlJS6_EEE10hipError_tPvRmT3_T4_T5_T6_T7_T9_mT8_P12ihipStream_tbDpT10_ENKUlT_T0_E_clISt17integral_constantIbLb0EES19_EEDaS14_S15_EUlS14_E_NS1_11comp_targetILNS1_3genE2ELNS1_11target_archE906ELNS1_3gpuE6ELNS1_3repE0EEENS1_30default_config_static_selectorELNS0_4arch9wavefront6targetE1EEEvT1_,@function
_ZN7rocprim17ROCPRIM_400000_NS6detail17trampoline_kernelINS0_14default_configENS1_25partition_config_selectorILNS1_17partition_subalgoE1EtNS0_10empty_typeEbEEZZNS1_14partition_implILS5_1ELb0ES3_jN6thrust23THRUST_200600_302600_NS6detail15normal_iteratorINSA_10device_ptrItEEEEPS6_NSA_18transform_iteratorI7is_evenItESF_NSA_11use_defaultESK_EENS0_5tupleIJSF_SF_EEENSM_IJSG_SG_EEES6_PlJS6_EEE10hipError_tPvRmT3_T4_T5_T6_T7_T9_mT8_P12ihipStream_tbDpT10_ENKUlT_T0_E_clISt17integral_constantIbLb0EES19_EEDaS14_S15_EUlS14_E_NS1_11comp_targetILNS1_3genE2ELNS1_11target_archE906ELNS1_3gpuE6ELNS1_3repE0EEENS1_30default_config_static_selectorELNS0_4arch9wavefront6targetE1EEEvT1_: ; @_ZN7rocprim17ROCPRIM_400000_NS6detail17trampoline_kernelINS0_14default_configENS1_25partition_config_selectorILNS1_17partition_subalgoE1EtNS0_10empty_typeEbEEZZNS1_14partition_implILS5_1ELb0ES3_jN6thrust23THRUST_200600_302600_NS6detail15normal_iteratorINSA_10device_ptrItEEEEPS6_NSA_18transform_iteratorI7is_evenItESF_NSA_11use_defaultESK_EENS0_5tupleIJSF_SF_EEENSM_IJSG_SG_EEES6_PlJS6_EEE10hipError_tPvRmT3_T4_T5_T6_T7_T9_mT8_P12ihipStream_tbDpT10_ENKUlT_T0_E_clISt17integral_constantIbLb0EES19_EEDaS14_S15_EUlS14_E_NS1_11comp_targetILNS1_3genE2ELNS1_11target_archE906ELNS1_3gpuE6ELNS1_3repE0EEENS1_30default_config_static_selectorELNS0_4arch9wavefront6targetE1EEEvT1_
; %bb.0:
	.section	.rodata,"a",@progbits
	.p2align	6, 0x0
	.amdhsa_kernel _ZN7rocprim17ROCPRIM_400000_NS6detail17trampoline_kernelINS0_14default_configENS1_25partition_config_selectorILNS1_17partition_subalgoE1EtNS0_10empty_typeEbEEZZNS1_14partition_implILS5_1ELb0ES3_jN6thrust23THRUST_200600_302600_NS6detail15normal_iteratorINSA_10device_ptrItEEEEPS6_NSA_18transform_iteratorI7is_evenItESF_NSA_11use_defaultESK_EENS0_5tupleIJSF_SF_EEENSM_IJSG_SG_EEES6_PlJS6_EEE10hipError_tPvRmT3_T4_T5_T6_T7_T9_mT8_P12ihipStream_tbDpT10_ENKUlT_T0_E_clISt17integral_constantIbLb0EES19_EEDaS14_S15_EUlS14_E_NS1_11comp_targetILNS1_3genE2ELNS1_11target_archE906ELNS1_3gpuE6ELNS1_3repE0EEENS1_30default_config_static_selectorELNS0_4arch9wavefront6targetE1EEEvT1_
		.amdhsa_group_segment_fixed_size 0
		.amdhsa_private_segment_fixed_size 0
		.amdhsa_kernarg_size 128
		.amdhsa_user_sgpr_count 2
		.amdhsa_user_sgpr_dispatch_ptr 0
		.amdhsa_user_sgpr_queue_ptr 0
		.amdhsa_user_sgpr_kernarg_segment_ptr 1
		.amdhsa_user_sgpr_dispatch_id 0
		.amdhsa_user_sgpr_kernarg_preload_length 0
		.amdhsa_user_sgpr_kernarg_preload_offset 0
		.amdhsa_user_sgpr_private_segment_size 0
		.amdhsa_uses_dynamic_stack 0
		.amdhsa_enable_private_segment 0
		.amdhsa_system_sgpr_workgroup_id_x 1
		.amdhsa_system_sgpr_workgroup_id_y 0
		.amdhsa_system_sgpr_workgroup_id_z 0
		.amdhsa_system_sgpr_workgroup_info 0
		.amdhsa_system_vgpr_workitem_id 0
		.amdhsa_next_free_vgpr 1
		.amdhsa_next_free_sgpr 0
		.amdhsa_accum_offset 4
		.amdhsa_reserve_vcc 0
		.amdhsa_float_round_mode_32 0
		.amdhsa_float_round_mode_16_64 0
		.amdhsa_float_denorm_mode_32 3
		.amdhsa_float_denorm_mode_16_64 3
		.amdhsa_dx10_clamp 1
		.amdhsa_ieee_mode 1
		.amdhsa_fp16_overflow 0
		.amdhsa_tg_split 0
		.amdhsa_exception_fp_ieee_invalid_op 0
		.amdhsa_exception_fp_denorm_src 0
		.amdhsa_exception_fp_ieee_div_zero 0
		.amdhsa_exception_fp_ieee_overflow 0
		.amdhsa_exception_fp_ieee_underflow 0
		.amdhsa_exception_fp_ieee_inexact 0
		.amdhsa_exception_int_div_zero 0
	.end_amdhsa_kernel
	.section	.text._ZN7rocprim17ROCPRIM_400000_NS6detail17trampoline_kernelINS0_14default_configENS1_25partition_config_selectorILNS1_17partition_subalgoE1EtNS0_10empty_typeEbEEZZNS1_14partition_implILS5_1ELb0ES3_jN6thrust23THRUST_200600_302600_NS6detail15normal_iteratorINSA_10device_ptrItEEEEPS6_NSA_18transform_iteratorI7is_evenItESF_NSA_11use_defaultESK_EENS0_5tupleIJSF_SF_EEENSM_IJSG_SG_EEES6_PlJS6_EEE10hipError_tPvRmT3_T4_T5_T6_T7_T9_mT8_P12ihipStream_tbDpT10_ENKUlT_T0_E_clISt17integral_constantIbLb0EES19_EEDaS14_S15_EUlS14_E_NS1_11comp_targetILNS1_3genE2ELNS1_11target_archE906ELNS1_3gpuE6ELNS1_3repE0EEENS1_30default_config_static_selectorELNS0_4arch9wavefront6targetE1EEEvT1_,"axG",@progbits,_ZN7rocprim17ROCPRIM_400000_NS6detail17trampoline_kernelINS0_14default_configENS1_25partition_config_selectorILNS1_17partition_subalgoE1EtNS0_10empty_typeEbEEZZNS1_14partition_implILS5_1ELb0ES3_jN6thrust23THRUST_200600_302600_NS6detail15normal_iteratorINSA_10device_ptrItEEEEPS6_NSA_18transform_iteratorI7is_evenItESF_NSA_11use_defaultESK_EENS0_5tupleIJSF_SF_EEENSM_IJSG_SG_EEES6_PlJS6_EEE10hipError_tPvRmT3_T4_T5_T6_T7_T9_mT8_P12ihipStream_tbDpT10_ENKUlT_T0_E_clISt17integral_constantIbLb0EES19_EEDaS14_S15_EUlS14_E_NS1_11comp_targetILNS1_3genE2ELNS1_11target_archE906ELNS1_3gpuE6ELNS1_3repE0EEENS1_30default_config_static_selectorELNS0_4arch9wavefront6targetE1EEEvT1_,comdat
.Lfunc_end2271:
	.size	_ZN7rocprim17ROCPRIM_400000_NS6detail17trampoline_kernelINS0_14default_configENS1_25partition_config_selectorILNS1_17partition_subalgoE1EtNS0_10empty_typeEbEEZZNS1_14partition_implILS5_1ELb0ES3_jN6thrust23THRUST_200600_302600_NS6detail15normal_iteratorINSA_10device_ptrItEEEEPS6_NSA_18transform_iteratorI7is_evenItESF_NSA_11use_defaultESK_EENS0_5tupleIJSF_SF_EEENSM_IJSG_SG_EEES6_PlJS6_EEE10hipError_tPvRmT3_T4_T5_T6_T7_T9_mT8_P12ihipStream_tbDpT10_ENKUlT_T0_E_clISt17integral_constantIbLb0EES19_EEDaS14_S15_EUlS14_E_NS1_11comp_targetILNS1_3genE2ELNS1_11target_archE906ELNS1_3gpuE6ELNS1_3repE0EEENS1_30default_config_static_selectorELNS0_4arch9wavefront6targetE1EEEvT1_, .Lfunc_end2271-_ZN7rocprim17ROCPRIM_400000_NS6detail17trampoline_kernelINS0_14default_configENS1_25partition_config_selectorILNS1_17partition_subalgoE1EtNS0_10empty_typeEbEEZZNS1_14partition_implILS5_1ELb0ES3_jN6thrust23THRUST_200600_302600_NS6detail15normal_iteratorINSA_10device_ptrItEEEEPS6_NSA_18transform_iteratorI7is_evenItESF_NSA_11use_defaultESK_EENS0_5tupleIJSF_SF_EEENSM_IJSG_SG_EEES6_PlJS6_EEE10hipError_tPvRmT3_T4_T5_T6_T7_T9_mT8_P12ihipStream_tbDpT10_ENKUlT_T0_E_clISt17integral_constantIbLb0EES19_EEDaS14_S15_EUlS14_E_NS1_11comp_targetILNS1_3genE2ELNS1_11target_archE906ELNS1_3gpuE6ELNS1_3repE0EEENS1_30default_config_static_selectorELNS0_4arch9wavefront6targetE1EEEvT1_
                                        ; -- End function
	.section	.AMDGPU.csdata,"",@progbits
; Kernel info:
; codeLenInByte = 0
; NumSgprs: 6
; NumVgprs: 0
; NumAgprs: 0
; TotalNumVgprs: 0
; ScratchSize: 0
; MemoryBound: 0
; FloatMode: 240
; IeeeMode: 1
; LDSByteSize: 0 bytes/workgroup (compile time only)
; SGPRBlocks: 0
; VGPRBlocks: 0
; NumSGPRsForWavesPerEU: 6
; NumVGPRsForWavesPerEU: 1
; AccumOffset: 4
; Occupancy: 8
; WaveLimiterHint : 0
; COMPUTE_PGM_RSRC2:SCRATCH_EN: 0
; COMPUTE_PGM_RSRC2:USER_SGPR: 2
; COMPUTE_PGM_RSRC2:TRAP_HANDLER: 0
; COMPUTE_PGM_RSRC2:TGID_X_EN: 1
; COMPUTE_PGM_RSRC2:TGID_Y_EN: 0
; COMPUTE_PGM_RSRC2:TGID_Z_EN: 0
; COMPUTE_PGM_RSRC2:TIDIG_COMP_CNT: 0
; COMPUTE_PGM_RSRC3_GFX90A:ACCUM_OFFSET: 0
; COMPUTE_PGM_RSRC3_GFX90A:TG_SPLIT: 0
	.section	.text._ZN7rocprim17ROCPRIM_400000_NS6detail17trampoline_kernelINS0_14default_configENS1_25partition_config_selectorILNS1_17partition_subalgoE1EtNS0_10empty_typeEbEEZZNS1_14partition_implILS5_1ELb0ES3_jN6thrust23THRUST_200600_302600_NS6detail15normal_iteratorINSA_10device_ptrItEEEEPS6_NSA_18transform_iteratorI7is_evenItESF_NSA_11use_defaultESK_EENS0_5tupleIJSF_SF_EEENSM_IJSG_SG_EEES6_PlJS6_EEE10hipError_tPvRmT3_T4_T5_T6_T7_T9_mT8_P12ihipStream_tbDpT10_ENKUlT_T0_E_clISt17integral_constantIbLb0EES19_EEDaS14_S15_EUlS14_E_NS1_11comp_targetILNS1_3genE10ELNS1_11target_archE1200ELNS1_3gpuE4ELNS1_3repE0EEENS1_30default_config_static_selectorELNS0_4arch9wavefront6targetE1EEEvT1_,"axG",@progbits,_ZN7rocprim17ROCPRIM_400000_NS6detail17trampoline_kernelINS0_14default_configENS1_25partition_config_selectorILNS1_17partition_subalgoE1EtNS0_10empty_typeEbEEZZNS1_14partition_implILS5_1ELb0ES3_jN6thrust23THRUST_200600_302600_NS6detail15normal_iteratorINSA_10device_ptrItEEEEPS6_NSA_18transform_iteratorI7is_evenItESF_NSA_11use_defaultESK_EENS0_5tupleIJSF_SF_EEENSM_IJSG_SG_EEES6_PlJS6_EEE10hipError_tPvRmT3_T4_T5_T6_T7_T9_mT8_P12ihipStream_tbDpT10_ENKUlT_T0_E_clISt17integral_constantIbLb0EES19_EEDaS14_S15_EUlS14_E_NS1_11comp_targetILNS1_3genE10ELNS1_11target_archE1200ELNS1_3gpuE4ELNS1_3repE0EEENS1_30default_config_static_selectorELNS0_4arch9wavefront6targetE1EEEvT1_,comdat
	.protected	_ZN7rocprim17ROCPRIM_400000_NS6detail17trampoline_kernelINS0_14default_configENS1_25partition_config_selectorILNS1_17partition_subalgoE1EtNS0_10empty_typeEbEEZZNS1_14partition_implILS5_1ELb0ES3_jN6thrust23THRUST_200600_302600_NS6detail15normal_iteratorINSA_10device_ptrItEEEEPS6_NSA_18transform_iteratorI7is_evenItESF_NSA_11use_defaultESK_EENS0_5tupleIJSF_SF_EEENSM_IJSG_SG_EEES6_PlJS6_EEE10hipError_tPvRmT3_T4_T5_T6_T7_T9_mT8_P12ihipStream_tbDpT10_ENKUlT_T0_E_clISt17integral_constantIbLb0EES19_EEDaS14_S15_EUlS14_E_NS1_11comp_targetILNS1_3genE10ELNS1_11target_archE1200ELNS1_3gpuE4ELNS1_3repE0EEENS1_30default_config_static_selectorELNS0_4arch9wavefront6targetE1EEEvT1_ ; -- Begin function _ZN7rocprim17ROCPRIM_400000_NS6detail17trampoline_kernelINS0_14default_configENS1_25partition_config_selectorILNS1_17partition_subalgoE1EtNS0_10empty_typeEbEEZZNS1_14partition_implILS5_1ELb0ES3_jN6thrust23THRUST_200600_302600_NS6detail15normal_iteratorINSA_10device_ptrItEEEEPS6_NSA_18transform_iteratorI7is_evenItESF_NSA_11use_defaultESK_EENS0_5tupleIJSF_SF_EEENSM_IJSG_SG_EEES6_PlJS6_EEE10hipError_tPvRmT3_T4_T5_T6_T7_T9_mT8_P12ihipStream_tbDpT10_ENKUlT_T0_E_clISt17integral_constantIbLb0EES19_EEDaS14_S15_EUlS14_E_NS1_11comp_targetILNS1_3genE10ELNS1_11target_archE1200ELNS1_3gpuE4ELNS1_3repE0EEENS1_30default_config_static_selectorELNS0_4arch9wavefront6targetE1EEEvT1_
	.globl	_ZN7rocprim17ROCPRIM_400000_NS6detail17trampoline_kernelINS0_14default_configENS1_25partition_config_selectorILNS1_17partition_subalgoE1EtNS0_10empty_typeEbEEZZNS1_14partition_implILS5_1ELb0ES3_jN6thrust23THRUST_200600_302600_NS6detail15normal_iteratorINSA_10device_ptrItEEEEPS6_NSA_18transform_iteratorI7is_evenItESF_NSA_11use_defaultESK_EENS0_5tupleIJSF_SF_EEENSM_IJSG_SG_EEES6_PlJS6_EEE10hipError_tPvRmT3_T4_T5_T6_T7_T9_mT8_P12ihipStream_tbDpT10_ENKUlT_T0_E_clISt17integral_constantIbLb0EES19_EEDaS14_S15_EUlS14_E_NS1_11comp_targetILNS1_3genE10ELNS1_11target_archE1200ELNS1_3gpuE4ELNS1_3repE0EEENS1_30default_config_static_selectorELNS0_4arch9wavefront6targetE1EEEvT1_
	.p2align	8
	.type	_ZN7rocprim17ROCPRIM_400000_NS6detail17trampoline_kernelINS0_14default_configENS1_25partition_config_selectorILNS1_17partition_subalgoE1EtNS0_10empty_typeEbEEZZNS1_14partition_implILS5_1ELb0ES3_jN6thrust23THRUST_200600_302600_NS6detail15normal_iteratorINSA_10device_ptrItEEEEPS6_NSA_18transform_iteratorI7is_evenItESF_NSA_11use_defaultESK_EENS0_5tupleIJSF_SF_EEENSM_IJSG_SG_EEES6_PlJS6_EEE10hipError_tPvRmT3_T4_T5_T6_T7_T9_mT8_P12ihipStream_tbDpT10_ENKUlT_T0_E_clISt17integral_constantIbLb0EES19_EEDaS14_S15_EUlS14_E_NS1_11comp_targetILNS1_3genE10ELNS1_11target_archE1200ELNS1_3gpuE4ELNS1_3repE0EEENS1_30default_config_static_selectorELNS0_4arch9wavefront6targetE1EEEvT1_,@function
_ZN7rocprim17ROCPRIM_400000_NS6detail17trampoline_kernelINS0_14default_configENS1_25partition_config_selectorILNS1_17partition_subalgoE1EtNS0_10empty_typeEbEEZZNS1_14partition_implILS5_1ELb0ES3_jN6thrust23THRUST_200600_302600_NS6detail15normal_iteratorINSA_10device_ptrItEEEEPS6_NSA_18transform_iteratorI7is_evenItESF_NSA_11use_defaultESK_EENS0_5tupleIJSF_SF_EEENSM_IJSG_SG_EEES6_PlJS6_EEE10hipError_tPvRmT3_T4_T5_T6_T7_T9_mT8_P12ihipStream_tbDpT10_ENKUlT_T0_E_clISt17integral_constantIbLb0EES19_EEDaS14_S15_EUlS14_E_NS1_11comp_targetILNS1_3genE10ELNS1_11target_archE1200ELNS1_3gpuE4ELNS1_3repE0EEENS1_30default_config_static_selectorELNS0_4arch9wavefront6targetE1EEEvT1_: ; @_ZN7rocprim17ROCPRIM_400000_NS6detail17trampoline_kernelINS0_14default_configENS1_25partition_config_selectorILNS1_17partition_subalgoE1EtNS0_10empty_typeEbEEZZNS1_14partition_implILS5_1ELb0ES3_jN6thrust23THRUST_200600_302600_NS6detail15normal_iteratorINSA_10device_ptrItEEEEPS6_NSA_18transform_iteratorI7is_evenItESF_NSA_11use_defaultESK_EENS0_5tupleIJSF_SF_EEENSM_IJSG_SG_EEES6_PlJS6_EEE10hipError_tPvRmT3_T4_T5_T6_T7_T9_mT8_P12ihipStream_tbDpT10_ENKUlT_T0_E_clISt17integral_constantIbLb0EES19_EEDaS14_S15_EUlS14_E_NS1_11comp_targetILNS1_3genE10ELNS1_11target_archE1200ELNS1_3gpuE4ELNS1_3repE0EEENS1_30default_config_static_selectorELNS0_4arch9wavefront6targetE1EEEvT1_
; %bb.0:
	.section	.rodata,"a",@progbits
	.p2align	6, 0x0
	.amdhsa_kernel _ZN7rocprim17ROCPRIM_400000_NS6detail17trampoline_kernelINS0_14default_configENS1_25partition_config_selectorILNS1_17partition_subalgoE1EtNS0_10empty_typeEbEEZZNS1_14partition_implILS5_1ELb0ES3_jN6thrust23THRUST_200600_302600_NS6detail15normal_iteratorINSA_10device_ptrItEEEEPS6_NSA_18transform_iteratorI7is_evenItESF_NSA_11use_defaultESK_EENS0_5tupleIJSF_SF_EEENSM_IJSG_SG_EEES6_PlJS6_EEE10hipError_tPvRmT3_T4_T5_T6_T7_T9_mT8_P12ihipStream_tbDpT10_ENKUlT_T0_E_clISt17integral_constantIbLb0EES19_EEDaS14_S15_EUlS14_E_NS1_11comp_targetILNS1_3genE10ELNS1_11target_archE1200ELNS1_3gpuE4ELNS1_3repE0EEENS1_30default_config_static_selectorELNS0_4arch9wavefront6targetE1EEEvT1_
		.amdhsa_group_segment_fixed_size 0
		.amdhsa_private_segment_fixed_size 0
		.amdhsa_kernarg_size 128
		.amdhsa_user_sgpr_count 2
		.amdhsa_user_sgpr_dispatch_ptr 0
		.amdhsa_user_sgpr_queue_ptr 0
		.amdhsa_user_sgpr_kernarg_segment_ptr 1
		.amdhsa_user_sgpr_dispatch_id 0
		.amdhsa_user_sgpr_kernarg_preload_length 0
		.amdhsa_user_sgpr_kernarg_preload_offset 0
		.amdhsa_user_sgpr_private_segment_size 0
		.amdhsa_uses_dynamic_stack 0
		.amdhsa_enable_private_segment 0
		.amdhsa_system_sgpr_workgroup_id_x 1
		.amdhsa_system_sgpr_workgroup_id_y 0
		.amdhsa_system_sgpr_workgroup_id_z 0
		.amdhsa_system_sgpr_workgroup_info 0
		.amdhsa_system_vgpr_workitem_id 0
		.amdhsa_next_free_vgpr 1
		.amdhsa_next_free_sgpr 0
		.amdhsa_accum_offset 4
		.amdhsa_reserve_vcc 0
		.amdhsa_float_round_mode_32 0
		.amdhsa_float_round_mode_16_64 0
		.amdhsa_float_denorm_mode_32 3
		.amdhsa_float_denorm_mode_16_64 3
		.amdhsa_dx10_clamp 1
		.amdhsa_ieee_mode 1
		.amdhsa_fp16_overflow 0
		.amdhsa_tg_split 0
		.amdhsa_exception_fp_ieee_invalid_op 0
		.amdhsa_exception_fp_denorm_src 0
		.amdhsa_exception_fp_ieee_div_zero 0
		.amdhsa_exception_fp_ieee_overflow 0
		.amdhsa_exception_fp_ieee_underflow 0
		.amdhsa_exception_fp_ieee_inexact 0
		.amdhsa_exception_int_div_zero 0
	.end_amdhsa_kernel
	.section	.text._ZN7rocprim17ROCPRIM_400000_NS6detail17trampoline_kernelINS0_14default_configENS1_25partition_config_selectorILNS1_17partition_subalgoE1EtNS0_10empty_typeEbEEZZNS1_14partition_implILS5_1ELb0ES3_jN6thrust23THRUST_200600_302600_NS6detail15normal_iteratorINSA_10device_ptrItEEEEPS6_NSA_18transform_iteratorI7is_evenItESF_NSA_11use_defaultESK_EENS0_5tupleIJSF_SF_EEENSM_IJSG_SG_EEES6_PlJS6_EEE10hipError_tPvRmT3_T4_T5_T6_T7_T9_mT8_P12ihipStream_tbDpT10_ENKUlT_T0_E_clISt17integral_constantIbLb0EES19_EEDaS14_S15_EUlS14_E_NS1_11comp_targetILNS1_3genE10ELNS1_11target_archE1200ELNS1_3gpuE4ELNS1_3repE0EEENS1_30default_config_static_selectorELNS0_4arch9wavefront6targetE1EEEvT1_,"axG",@progbits,_ZN7rocprim17ROCPRIM_400000_NS6detail17trampoline_kernelINS0_14default_configENS1_25partition_config_selectorILNS1_17partition_subalgoE1EtNS0_10empty_typeEbEEZZNS1_14partition_implILS5_1ELb0ES3_jN6thrust23THRUST_200600_302600_NS6detail15normal_iteratorINSA_10device_ptrItEEEEPS6_NSA_18transform_iteratorI7is_evenItESF_NSA_11use_defaultESK_EENS0_5tupleIJSF_SF_EEENSM_IJSG_SG_EEES6_PlJS6_EEE10hipError_tPvRmT3_T4_T5_T6_T7_T9_mT8_P12ihipStream_tbDpT10_ENKUlT_T0_E_clISt17integral_constantIbLb0EES19_EEDaS14_S15_EUlS14_E_NS1_11comp_targetILNS1_3genE10ELNS1_11target_archE1200ELNS1_3gpuE4ELNS1_3repE0EEENS1_30default_config_static_selectorELNS0_4arch9wavefront6targetE1EEEvT1_,comdat
.Lfunc_end2272:
	.size	_ZN7rocprim17ROCPRIM_400000_NS6detail17trampoline_kernelINS0_14default_configENS1_25partition_config_selectorILNS1_17partition_subalgoE1EtNS0_10empty_typeEbEEZZNS1_14partition_implILS5_1ELb0ES3_jN6thrust23THRUST_200600_302600_NS6detail15normal_iteratorINSA_10device_ptrItEEEEPS6_NSA_18transform_iteratorI7is_evenItESF_NSA_11use_defaultESK_EENS0_5tupleIJSF_SF_EEENSM_IJSG_SG_EEES6_PlJS6_EEE10hipError_tPvRmT3_T4_T5_T6_T7_T9_mT8_P12ihipStream_tbDpT10_ENKUlT_T0_E_clISt17integral_constantIbLb0EES19_EEDaS14_S15_EUlS14_E_NS1_11comp_targetILNS1_3genE10ELNS1_11target_archE1200ELNS1_3gpuE4ELNS1_3repE0EEENS1_30default_config_static_selectorELNS0_4arch9wavefront6targetE1EEEvT1_, .Lfunc_end2272-_ZN7rocprim17ROCPRIM_400000_NS6detail17trampoline_kernelINS0_14default_configENS1_25partition_config_selectorILNS1_17partition_subalgoE1EtNS0_10empty_typeEbEEZZNS1_14partition_implILS5_1ELb0ES3_jN6thrust23THRUST_200600_302600_NS6detail15normal_iteratorINSA_10device_ptrItEEEEPS6_NSA_18transform_iteratorI7is_evenItESF_NSA_11use_defaultESK_EENS0_5tupleIJSF_SF_EEENSM_IJSG_SG_EEES6_PlJS6_EEE10hipError_tPvRmT3_T4_T5_T6_T7_T9_mT8_P12ihipStream_tbDpT10_ENKUlT_T0_E_clISt17integral_constantIbLb0EES19_EEDaS14_S15_EUlS14_E_NS1_11comp_targetILNS1_3genE10ELNS1_11target_archE1200ELNS1_3gpuE4ELNS1_3repE0EEENS1_30default_config_static_selectorELNS0_4arch9wavefront6targetE1EEEvT1_
                                        ; -- End function
	.section	.AMDGPU.csdata,"",@progbits
; Kernel info:
; codeLenInByte = 0
; NumSgprs: 6
; NumVgprs: 0
; NumAgprs: 0
; TotalNumVgprs: 0
; ScratchSize: 0
; MemoryBound: 0
; FloatMode: 240
; IeeeMode: 1
; LDSByteSize: 0 bytes/workgroup (compile time only)
; SGPRBlocks: 0
; VGPRBlocks: 0
; NumSGPRsForWavesPerEU: 6
; NumVGPRsForWavesPerEU: 1
; AccumOffset: 4
; Occupancy: 8
; WaveLimiterHint : 0
; COMPUTE_PGM_RSRC2:SCRATCH_EN: 0
; COMPUTE_PGM_RSRC2:USER_SGPR: 2
; COMPUTE_PGM_RSRC2:TRAP_HANDLER: 0
; COMPUTE_PGM_RSRC2:TGID_X_EN: 1
; COMPUTE_PGM_RSRC2:TGID_Y_EN: 0
; COMPUTE_PGM_RSRC2:TGID_Z_EN: 0
; COMPUTE_PGM_RSRC2:TIDIG_COMP_CNT: 0
; COMPUTE_PGM_RSRC3_GFX90A:ACCUM_OFFSET: 0
; COMPUTE_PGM_RSRC3_GFX90A:TG_SPLIT: 0
	.section	.text._ZN7rocprim17ROCPRIM_400000_NS6detail17trampoline_kernelINS0_14default_configENS1_25partition_config_selectorILNS1_17partition_subalgoE1EtNS0_10empty_typeEbEEZZNS1_14partition_implILS5_1ELb0ES3_jN6thrust23THRUST_200600_302600_NS6detail15normal_iteratorINSA_10device_ptrItEEEEPS6_NSA_18transform_iteratorI7is_evenItESF_NSA_11use_defaultESK_EENS0_5tupleIJSF_SF_EEENSM_IJSG_SG_EEES6_PlJS6_EEE10hipError_tPvRmT3_T4_T5_T6_T7_T9_mT8_P12ihipStream_tbDpT10_ENKUlT_T0_E_clISt17integral_constantIbLb0EES19_EEDaS14_S15_EUlS14_E_NS1_11comp_targetILNS1_3genE9ELNS1_11target_archE1100ELNS1_3gpuE3ELNS1_3repE0EEENS1_30default_config_static_selectorELNS0_4arch9wavefront6targetE1EEEvT1_,"axG",@progbits,_ZN7rocprim17ROCPRIM_400000_NS6detail17trampoline_kernelINS0_14default_configENS1_25partition_config_selectorILNS1_17partition_subalgoE1EtNS0_10empty_typeEbEEZZNS1_14partition_implILS5_1ELb0ES3_jN6thrust23THRUST_200600_302600_NS6detail15normal_iteratorINSA_10device_ptrItEEEEPS6_NSA_18transform_iteratorI7is_evenItESF_NSA_11use_defaultESK_EENS0_5tupleIJSF_SF_EEENSM_IJSG_SG_EEES6_PlJS6_EEE10hipError_tPvRmT3_T4_T5_T6_T7_T9_mT8_P12ihipStream_tbDpT10_ENKUlT_T0_E_clISt17integral_constantIbLb0EES19_EEDaS14_S15_EUlS14_E_NS1_11comp_targetILNS1_3genE9ELNS1_11target_archE1100ELNS1_3gpuE3ELNS1_3repE0EEENS1_30default_config_static_selectorELNS0_4arch9wavefront6targetE1EEEvT1_,comdat
	.protected	_ZN7rocprim17ROCPRIM_400000_NS6detail17trampoline_kernelINS0_14default_configENS1_25partition_config_selectorILNS1_17partition_subalgoE1EtNS0_10empty_typeEbEEZZNS1_14partition_implILS5_1ELb0ES3_jN6thrust23THRUST_200600_302600_NS6detail15normal_iteratorINSA_10device_ptrItEEEEPS6_NSA_18transform_iteratorI7is_evenItESF_NSA_11use_defaultESK_EENS0_5tupleIJSF_SF_EEENSM_IJSG_SG_EEES6_PlJS6_EEE10hipError_tPvRmT3_T4_T5_T6_T7_T9_mT8_P12ihipStream_tbDpT10_ENKUlT_T0_E_clISt17integral_constantIbLb0EES19_EEDaS14_S15_EUlS14_E_NS1_11comp_targetILNS1_3genE9ELNS1_11target_archE1100ELNS1_3gpuE3ELNS1_3repE0EEENS1_30default_config_static_selectorELNS0_4arch9wavefront6targetE1EEEvT1_ ; -- Begin function _ZN7rocprim17ROCPRIM_400000_NS6detail17trampoline_kernelINS0_14default_configENS1_25partition_config_selectorILNS1_17partition_subalgoE1EtNS0_10empty_typeEbEEZZNS1_14partition_implILS5_1ELb0ES3_jN6thrust23THRUST_200600_302600_NS6detail15normal_iteratorINSA_10device_ptrItEEEEPS6_NSA_18transform_iteratorI7is_evenItESF_NSA_11use_defaultESK_EENS0_5tupleIJSF_SF_EEENSM_IJSG_SG_EEES6_PlJS6_EEE10hipError_tPvRmT3_T4_T5_T6_T7_T9_mT8_P12ihipStream_tbDpT10_ENKUlT_T0_E_clISt17integral_constantIbLb0EES19_EEDaS14_S15_EUlS14_E_NS1_11comp_targetILNS1_3genE9ELNS1_11target_archE1100ELNS1_3gpuE3ELNS1_3repE0EEENS1_30default_config_static_selectorELNS0_4arch9wavefront6targetE1EEEvT1_
	.globl	_ZN7rocprim17ROCPRIM_400000_NS6detail17trampoline_kernelINS0_14default_configENS1_25partition_config_selectorILNS1_17partition_subalgoE1EtNS0_10empty_typeEbEEZZNS1_14partition_implILS5_1ELb0ES3_jN6thrust23THRUST_200600_302600_NS6detail15normal_iteratorINSA_10device_ptrItEEEEPS6_NSA_18transform_iteratorI7is_evenItESF_NSA_11use_defaultESK_EENS0_5tupleIJSF_SF_EEENSM_IJSG_SG_EEES6_PlJS6_EEE10hipError_tPvRmT3_T4_T5_T6_T7_T9_mT8_P12ihipStream_tbDpT10_ENKUlT_T0_E_clISt17integral_constantIbLb0EES19_EEDaS14_S15_EUlS14_E_NS1_11comp_targetILNS1_3genE9ELNS1_11target_archE1100ELNS1_3gpuE3ELNS1_3repE0EEENS1_30default_config_static_selectorELNS0_4arch9wavefront6targetE1EEEvT1_
	.p2align	8
	.type	_ZN7rocprim17ROCPRIM_400000_NS6detail17trampoline_kernelINS0_14default_configENS1_25partition_config_selectorILNS1_17partition_subalgoE1EtNS0_10empty_typeEbEEZZNS1_14partition_implILS5_1ELb0ES3_jN6thrust23THRUST_200600_302600_NS6detail15normal_iteratorINSA_10device_ptrItEEEEPS6_NSA_18transform_iteratorI7is_evenItESF_NSA_11use_defaultESK_EENS0_5tupleIJSF_SF_EEENSM_IJSG_SG_EEES6_PlJS6_EEE10hipError_tPvRmT3_T4_T5_T6_T7_T9_mT8_P12ihipStream_tbDpT10_ENKUlT_T0_E_clISt17integral_constantIbLb0EES19_EEDaS14_S15_EUlS14_E_NS1_11comp_targetILNS1_3genE9ELNS1_11target_archE1100ELNS1_3gpuE3ELNS1_3repE0EEENS1_30default_config_static_selectorELNS0_4arch9wavefront6targetE1EEEvT1_,@function
_ZN7rocprim17ROCPRIM_400000_NS6detail17trampoline_kernelINS0_14default_configENS1_25partition_config_selectorILNS1_17partition_subalgoE1EtNS0_10empty_typeEbEEZZNS1_14partition_implILS5_1ELb0ES3_jN6thrust23THRUST_200600_302600_NS6detail15normal_iteratorINSA_10device_ptrItEEEEPS6_NSA_18transform_iteratorI7is_evenItESF_NSA_11use_defaultESK_EENS0_5tupleIJSF_SF_EEENSM_IJSG_SG_EEES6_PlJS6_EEE10hipError_tPvRmT3_T4_T5_T6_T7_T9_mT8_P12ihipStream_tbDpT10_ENKUlT_T0_E_clISt17integral_constantIbLb0EES19_EEDaS14_S15_EUlS14_E_NS1_11comp_targetILNS1_3genE9ELNS1_11target_archE1100ELNS1_3gpuE3ELNS1_3repE0EEENS1_30default_config_static_selectorELNS0_4arch9wavefront6targetE1EEEvT1_: ; @_ZN7rocprim17ROCPRIM_400000_NS6detail17trampoline_kernelINS0_14default_configENS1_25partition_config_selectorILNS1_17partition_subalgoE1EtNS0_10empty_typeEbEEZZNS1_14partition_implILS5_1ELb0ES3_jN6thrust23THRUST_200600_302600_NS6detail15normal_iteratorINSA_10device_ptrItEEEEPS6_NSA_18transform_iteratorI7is_evenItESF_NSA_11use_defaultESK_EENS0_5tupleIJSF_SF_EEENSM_IJSG_SG_EEES6_PlJS6_EEE10hipError_tPvRmT3_T4_T5_T6_T7_T9_mT8_P12ihipStream_tbDpT10_ENKUlT_T0_E_clISt17integral_constantIbLb0EES19_EEDaS14_S15_EUlS14_E_NS1_11comp_targetILNS1_3genE9ELNS1_11target_archE1100ELNS1_3gpuE3ELNS1_3repE0EEENS1_30default_config_static_selectorELNS0_4arch9wavefront6targetE1EEEvT1_
; %bb.0:
	.section	.rodata,"a",@progbits
	.p2align	6, 0x0
	.amdhsa_kernel _ZN7rocprim17ROCPRIM_400000_NS6detail17trampoline_kernelINS0_14default_configENS1_25partition_config_selectorILNS1_17partition_subalgoE1EtNS0_10empty_typeEbEEZZNS1_14partition_implILS5_1ELb0ES3_jN6thrust23THRUST_200600_302600_NS6detail15normal_iteratorINSA_10device_ptrItEEEEPS6_NSA_18transform_iteratorI7is_evenItESF_NSA_11use_defaultESK_EENS0_5tupleIJSF_SF_EEENSM_IJSG_SG_EEES6_PlJS6_EEE10hipError_tPvRmT3_T4_T5_T6_T7_T9_mT8_P12ihipStream_tbDpT10_ENKUlT_T0_E_clISt17integral_constantIbLb0EES19_EEDaS14_S15_EUlS14_E_NS1_11comp_targetILNS1_3genE9ELNS1_11target_archE1100ELNS1_3gpuE3ELNS1_3repE0EEENS1_30default_config_static_selectorELNS0_4arch9wavefront6targetE1EEEvT1_
		.amdhsa_group_segment_fixed_size 0
		.amdhsa_private_segment_fixed_size 0
		.amdhsa_kernarg_size 128
		.amdhsa_user_sgpr_count 2
		.amdhsa_user_sgpr_dispatch_ptr 0
		.amdhsa_user_sgpr_queue_ptr 0
		.amdhsa_user_sgpr_kernarg_segment_ptr 1
		.amdhsa_user_sgpr_dispatch_id 0
		.amdhsa_user_sgpr_kernarg_preload_length 0
		.amdhsa_user_sgpr_kernarg_preload_offset 0
		.amdhsa_user_sgpr_private_segment_size 0
		.amdhsa_uses_dynamic_stack 0
		.amdhsa_enable_private_segment 0
		.amdhsa_system_sgpr_workgroup_id_x 1
		.amdhsa_system_sgpr_workgroup_id_y 0
		.amdhsa_system_sgpr_workgroup_id_z 0
		.amdhsa_system_sgpr_workgroup_info 0
		.amdhsa_system_vgpr_workitem_id 0
		.amdhsa_next_free_vgpr 1
		.amdhsa_next_free_sgpr 0
		.amdhsa_accum_offset 4
		.amdhsa_reserve_vcc 0
		.amdhsa_float_round_mode_32 0
		.amdhsa_float_round_mode_16_64 0
		.amdhsa_float_denorm_mode_32 3
		.amdhsa_float_denorm_mode_16_64 3
		.amdhsa_dx10_clamp 1
		.amdhsa_ieee_mode 1
		.amdhsa_fp16_overflow 0
		.amdhsa_tg_split 0
		.amdhsa_exception_fp_ieee_invalid_op 0
		.amdhsa_exception_fp_denorm_src 0
		.amdhsa_exception_fp_ieee_div_zero 0
		.amdhsa_exception_fp_ieee_overflow 0
		.amdhsa_exception_fp_ieee_underflow 0
		.amdhsa_exception_fp_ieee_inexact 0
		.amdhsa_exception_int_div_zero 0
	.end_amdhsa_kernel
	.section	.text._ZN7rocprim17ROCPRIM_400000_NS6detail17trampoline_kernelINS0_14default_configENS1_25partition_config_selectorILNS1_17partition_subalgoE1EtNS0_10empty_typeEbEEZZNS1_14partition_implILS5_1ELb0ES3_jN6thrust23THRUST_200600_302600_NS6detail15normal_iteratorINSA_10device_ptrItEEEEPS6_NSA_18transform_iteratorI7is_evenItESF_NSA_11use_defaultESK_EENS0_5tupleIJSF_SF_EEENSM_IJSG_SG_EEES6_PlJS6_EEE10hipError_tPvRmT3_T4_T5_T6_T7_T9_mT8_P12ihipStream_tbDpT10_ENKUlT_T0_E_clISt17integral_constantIbLb0EES19_EEDaS14_S15_EUlS14_E_NS1_11comp_targetILNS1_3genE9ELNS1_11target_archE1100ELNS1_3gpuE3ELNS1_3repE0EEENS1_30default_config_static_selectorELNS0_4arch9wavefront6targetE1EEEvT1_,"axG",@progbits,_ZN7rocprim17ROCPRIM_400000_NS6detail17trampoline_kernelINS0_14default_configENS1_25partition_config_selectorILNS1_17partition_subalgoE1EtNS0_10empty_typeEbEEZZNS1_14partition_implILS5_1ELb0ES3_jN6thrust23THRUST_200600_302600_NS6detail15normal_iteratorINSA_10device_ptrItEEEEPS6_NSA_18transform_iteratorI7is_evenItESF_NSA_11use_defaultESK_EENS0_5tupleIJSF_SF_EEENSM_IJSG_SG_EEES6_PlJS6_EEE10hipError_tPvRmT3_T4_T5_T6_T7_T9_mT8_P12ihipStream_tbDpT10_ENKUlT_T0_E_clISt17integral_constantIbLb0EES19_EEDaS14_S15_EUlS14_E_NS1_11comp_targetILNS1_3genE9ELNS1_11target_archE1100ELNS1_3gpuE3ELNS1_3repE0EEENS1_30default_config_static_selectorELNS0_4arch9wavefront6targetE1EEEvT1_,comdat
.Lfunc_end2273:
	.size	_ZN7rocprim17ROCPRIM_400000_NS6detail17trampoline_kernelINS0_14default_configENS1_25partition_config_selectorILNS1_17partition_subalgoE1EtNS0_10empty_typeEbEEZZNS1_14partition_implILS5_1ELb0ES3_jN6thrust23THRUST_200600_302600_NS6detail15normal_iteratorINSA_10device_ptrItEEEEPS6_NSA_18transform_iteratorI7is_evenItESF_NSA_11use_defaultESK_EENS0_5tupleIJSF_SF_EEENSM_IJSG_SG_EEES6_PlJS6_EEE10hipError_tPvRmT3_T4_T5_T6_T7_T9_mT8_P12ihipStream_tbDpT10_ENKUlT_T0_E_clISt17integral_constantIbLb0EES19_EEDaS14_S15_EUlS14_E_NS1_11comp_targetILNS1_3genE9ELNS1_11target_archE1100ELNS1_3gpuE3ELNS1_3repE0EEENS1_30default_config_static_selectorELNS0_4arch9wavefront6targetE1EEEvT1_, .Lfunc_end2273-_ZN7rocprim17ROCPRIM_400000_NS6detail17trampoline_kernelINS0_14default_configENS1_25partition_config_selectorILNS1_17partition_subalgoE1EtNS0_10empty_typeEbEEZZNS1_14partition_implILS5_1ELb0ES3_jN6thrust23THRUST_200600_302600_NS6detail15normal_iteratorINSA_10device_ptrItEEEEPS6_NSA_18transform_iteratorI7is_evenItESF_NSA_11use_defaultESK_EENS0_5tupleIJSF_SF_EEENSM_IJSG_SG_EEES6_PlJS6_EEE10hipError_tPvRmT3_T4_T5_T6_T7_T9_mT8_P12ihipStream_tbDpT10_ENKUlT_T0_E_clISt17integral_constantIbLb0EES19_EEDaS14_S15_EUlS14_E_NS1_11comp_targetILNS1_3genE9ELNS1_11target_archE1100ELNS1_3gpuE3ELNS1_3repE0EEENS1_30default_config_static_selectorELNS0_4arch9wavefront6targetE1EEEvT1_
                                        ; -- End function
	.section	.AMDGPU.csdata,"",@progbits
; Kernel info:
; codeLenInByte = 0
; NumSgprs: 6
; NumVgprs: 0
; NumAgprs: 0
; TotalNumVgprs: 0
; ScratchSize: 0
; MemoryBound: 0
; FloatMode: 240
; IeeeMode: 1
; LDSByteSize: 0 bytes/workgroup (compile time only)
; SGPRBlocks: 0
; VGPRBlocks: 0
; NumSGPRsForWavesPerEU: 6
; NumVGPRsForWavesPerEU: 1
; AccumOffset: 4
; Occupancy: 8
; WaveLimiterHint : 0
; COMPUTE_PGM_RSRC2:SCRATCH_EN: 0
; COMPUTE_PGM_RSRC2:USER_SGPR: 2
; COMPUTE_PGM_RSRC2:TRAP_HANDLER: 0
; COMPUTE_PGM_RSRC2:TGID_X_EN: 1
; COMPUTE_PGM_RSRC2:TGID_Y_EN: 0
; COMPUTE_PGM_RSRC2:TGID_Z_EN: 0
; COMPUTE_PGM_RSRC2:TIDIG_COMP_CNT: 0
; COMPUTE_PGM_RSRC3_GFX90A:ACCUM_OFFSET: 0
; COMPUTE_PGM_RSRC3_GFX90A:TG_SPLIT: 0
	.section	.text._ZN7rocprim17ROCPRIM_400000_NS6detail17trampoline_kernelINS0_14default_configENS1_25partition_config_selectorILNS1_17partition_subalgoE1EtNS0_10empty_typeEbEEZZNS1_14partition_implILS5_1ELb0ES3_jN6thrust23THRUST_200600_302600_NS6detail15normal_iteratorINSA_10device_ptrItEEEEPS6_NSA_18transform_iteratorI7is_evenItESF_NSA_11use_defaultESK_EENS0_5tupleIJSF_SF_EEENSM_IJSG_SG_EEES6_PlJS6_EEE10hipError_tPvRmT3_T4_T5_T6_T7_T9_mT8_P12ihipStream_tbDpT10_ENKUlT_T0_E_clISt17integral_constantIbLb0EES19_EEDaS14_S15_EUlS14_E_NS1_11comp_targetILNS1_3genE8ELNS1_11target_archE1030ELNS1_3gpuE2ELNS1_3repE0EEENS1_30default_config_static_selectorELNS0_4arch9wavefront6targetE1EEEvT1_,"axG",@progbits,_ZN7rocprim17ROCPRIM_400000_NS6detail17trampoline_kernelINS0_14default_configENS1_25partition_config_selectorILNS1_17partition_subalgoE1EtNS0_10empty_typeEbEEZZNS1_14partition_implILS5_1ELb0ES3_jN6thrust23THRUST_200600_302600_NS6detail15normal_iteratorINSA_10device_ptrItEEEEPS6_NSA_18transform_iteratorI7is_evenItESF_NSA_11use_defaultESK_EENS0_5tupleIJSF_SF_EEENSM_IJSG_SG_EEES6_PlJS6_EEE10hipError_tPvRmT3_T4_T5_T6_T7_T9_mT8_P12ihipStream_tbDpT10_ENKUlT_T0_E_clISt17integral_constantIbLb0EES19_EEDaS14_S15_EUlS14_E_NS1_11comp_targetILNS1_3genE8ELNS1_11target_archE1030ELNS1_3gpuE2ELNS1_3repE0EEENS1_30default_config_static_selectorELNS0_4arch9wavefront6targetE1EEEvT1_,comdat
	.protected	_ZN7rocprim17ROCPRIM_400000_NS6detail17trampoline_kernelINS0_14default_configENS1_25partition_config_selectorILNS1_17partition_subalgoE1EtNS0_10empty_typeEbEEZZNS1_14partition_implILS5_1ELb0ES3_jN6thrust23THRUST_200600_302600_NS6detail15normal_iteratorINSA_10device_ptrItEEEEPS6_NSA_18transform_iteratorI7is_evenItESF_NSA_11use_defaultESK_EENS0_5tupleIJSF_SF_EEENSM_IJSG_SG_EEES6_PlJS6_EEE10hipError_tPvRmT3_T4_T5_T6_T7_T9_mT8_P12ihipStream_tbDpT10_ENKUlT_T0_E_clISt17integral_constantIbLb0EES19_EEDaS14_S15_EUlS14_E_NS1_11comp_targetILNS1_3genE8ELNS1_11target_archE1030ELNS1_3gpuE2ELNS1_3repE0EEENS1_30default_config_static_selectorELNS0_4arch9wavefront6targetE1EEEvT1_ ; -- Begin function _ZN7rocprim17ROCPRIM_400000_NS6detail17trampoline_kernelINS0_14default_configENS1_25partition_config_selectorILNS1_17partition_subalgoE1EtNS0_10empty_typeEbEEZZNS1_14partition_implILS5_1ELb0ES3_jN6thrust23THRUST_200600_302600_NS6detail15normal_iteratorINSA_10device_ptrItEEEEPS6_NSA_18transform_iteratorI7is_evenItESF_NSA_11use_defaultESK_EENS0_5tupleIJSF_SF_EEENSM_IJSG_SG_EEES6_PlJS6_EEE10hipError_tPvRmT3_T4_T5_T6_T7_T9_mT8_P12ihipStream_tbDpT10_ENKUlT_T0_E_clISt17integral_constantIbLb0EES19_EEDaS14_S15_EUlS14_E_NS1_11comp_targetILNS1_3genE8ELNS1_11target_archE1030ELNS1_3gpuE2ELNS1_3repE0EEENS1_30default_config_static_selectorELNS0_4arch9wavefront6targetE1EEEvT1_
	.globl	_ZN7rocprim17ROCPRIM_400000_NS6detail17trampoline_kernelINS0_14default_configENS1_25partition_config_selectorILNS1_17partition_subalgoE1EtNS0_10empty_typeEbEEZZNS1_14partition_implILS5_1ELb0ES3_jN6thrust23THRUST_200600_302600_NS6detail15normal_iteratorINSA_10device_ptrItEEEEPS6_NSA_18transform_iteratorI7is_evenItESF_NSA_11use_defaultESK_EENS0_5tupleIJSF_SF_EEENSM_IJSG_SG_EEES6_PlJS6_EEE10hipError_tPvRmT3_T4_T5_T6_T7_T9_mT8_P12ihipStream_tbDpT10_ENKUlT_T0_E_clISt17integral_constantIbLb0EES19_EEDaS14_S15_EUlS14_E_NS1_11comp_targetILNS1_3genE8ELNS1_11target_archE1030ELNS1_3gpuE2ELNS1_3repE0EEENS1_30default_config_static_selectorELNS0_4arch9wavefront6targetE1EEEvT1_
	.p2align	8
	.type	_ZN7rocprim17ROCPRIM_400000_NS6detail17trampoline_kernelINS0_14default_configENS1_25partition_config_selectorILNS1_17partition_subalgoE1EtNS0_10empty_typeEbEEZZNS1_14partition_implILS5_1ELb0ES3_jN6thrust23THRUST_200600_302600_NS6detail15normal_iteratorINSA_10device_ptrItEEEEPS6_NSA_18transform_iteratorI7is_evenItESF_NSA_11use_defaultESK_EENS0_5tupleIJSF_SF_EEENSM_IJSG_SG_EEES6_PlJS6_EEE10hipError_tPvRmT3_T4_T5_T6_T7_T9_mT8_P12ihipStream_tbDpT10_ENKUlT_T0_E_clISt17integral_constantIbLb0EES19_EEDaS14_S15_EUlS14_E_NS1_11comp_targetILNS1_3genE8ELNS1_11target_archE1030ELNS1_3gpuE2ELNS1_3repE0EEENS1_30default_config_static_selectorELNS0_4arch9wavefront6targetE1EEEvT1_,@function
_ZN7rocprim17ROCPRIM_400000_NS6detail17trampoline_kernelINS0_14default_configENS1_25partition_config_selectorILNS1_17partition_subalgoE1EtNS0_10empty_typeEbEEZZNS1_14partition_implILS5_1ELb0ES3_jN6thrust23THRUST_200600_302600_NS6detail15normal_iteratorINSA_10device_ptrItEEEEPS6_NSA_18transform_iteratorI7is_evenItESF_NSA_11use_defaultESK_EENS0_5tupleIJSF_SF_EEENSM_IJSG_SG_EEES6_PlJS6_EEE10hipError_tPvRmT3_T4_T5_T6_T7_T9_mT8_P12ihipStream_tbDpT10_ENKUlT_T0_E_clISt17integral_constantIbLb0EES19_EEDaS14_S15_EUlS14_E_NS1_11comp_targetILNS1_3genE8ELNS1_11target_archE1030ELNS1_3gpuE2ELNS1_3repE0EEENS1_30default_config_static_selectorELNS0_4arch9wavefront6targetE1EEEvT1_: ; @_ZN7rocprim17ROCPRIM_400000_NS6detail17trampoline_kernelINS0_14default_configENS1_25partition_config_selectorILNS1_17partition_subalgoE1EtNS0_10empty_typeEbEEZZNS1_14partition_implILS5_1ELb0ES3_jN6thrust23THRUST_200600_302600_NS6detail15normal_iteratorINSA_10device_ptrItEEEEPS6_NSA_18transform_iteratorI7is_evenItESF_NSA_11use_defaultESK_EENS0_5tupleIJSF_SF_EEENSM_IJSG_SG_EEES6_PlJS6_EEE10hipError_tPvRmT3_T4_T5_T6_T7_T9_mT8_P12ihipStream_tbDpT10_ENKUlT_T0_E_clISt17integral_constantIbLb0EES19_EEDaS14_S15_EUlS14_E_NS1_11comp_targetILNS1_3genE8ELNS1_11target_archE1030ELNS1_3gpuE2ELNS1_3repE0EEENS1_30default_config_static_selectorELNS0_4arch9wavefront6targetE1EEEvT1_
; %bb.0:
	.section	.rodata,"a",@progbits
	.p2align	6, 0x0
	.amdhsa_kernel _ZN7rocprim17ROCPRIM_400000_NS6detail17trampoline_kernelINS0_14default_configENS1_25partition_config_selectorILNS1_17partition_subalgoE1EtNS0_10empty_typeEbEEZZNS1_14partition_implILS5_1ELb0ES3_jN6thrust23THRUST_200600_302600_NS6detail15normal_iteratorINSA_10device_ptrItEEEEPS6_NSA_18transform_iteratorI7is_evenItESF_NSA_11use_defaultESK_EENS0_5tupleIJSF_SF_EEENSM_IJSG_SG_EEES6_PlJS6_EEE10hipError_tPvRmT3_T4_T5_T6_T7_T9_mT8_P12ihipStream_tbDpT10_ENKUlT_T0_E_clISt17integral_constantIbLb0EES19_EEDaS14_S15_EUlS14_E_NS1_11comp_targetILNS1_3genE8ELNS1_11target_archE1030ELNS1_3gpuE2ELNS1_3repE0EEENS1_30default_config_static_selectorELNS0_4arch9wavefront6targetE1EEEvT1_
		.amdhsa_group_segment_fixed_size 0
		.amdhsa_private_segment_fixed_size 0
		.amdhsa_kernarg_size 128
		.amdhsa_user_sgpr_count 2
		.amdhsa_user_sgpr_dispatch_ptr 0
		.amdhsa_user_sgpr_queue_ptr 0
		.amdhsa_user_sgpr_kernarg_segment_ptr 1
		.amdhsa_user_sgpr_dispatch_id 0
		.amdhsa_user_sgpr_kernarg_preload_length 0
		.amdhsa_user_sgpr_kernarg_preload_offset 0
		.amdhsa_user_sgpr_private_segment_size 0
		.amdhsa_uses_dynamic_stack 0
		.amdhsa_enable_private_segment 0
		.amdhsa_system_sgpr_workgroup_id_x 1
		.amdhsa_system_sgpr_workgroup_id_y 0
		.amdhsa_system_sgpr_workgroup_id_z 0
		.amdhsa_system_sgpr_workgroup_info 0
		.amdhsa_system_vgpr_workitem_id 0
		.amdhsa_next_free_vgpr 1
		.amdhsa_next_free_sgpr 0
		.amdhsa_accum_offset 4
		.amdhsa_reserve_vcc 0
		.amdhsa_float_round_mode_32 0
		.amdhsa_float_round_mode_16_64 0
		.amdhsa_float_denorm_mode_32 3
		.amdhsa_float_denorm_mode_16_64 3
		.amdhsa_dx10_clamp 1
		.amdhsa_ieee_mode 1
		.amdhsa_fp16_overflow 0
		.amdhsa_tg_split 0
		.amdhsa_exception_fp_ieee_invalid_op 0
		.amdhsa_exception_fp_denorm_src 0
		.amdhsa_exception_fp_ieee_div_zero 0
		.amdhsa_exception_fp_ieee_overflow 0
		.amdhsa_exception_fp_ieee_underflow 0
		.amdhsa_exception_fp_ieee_inexact 0
		.amdhsa_exception_int_div_zero 0
	.end_amdhsa_kernel
	.section	.text._ZN7rocprim17ROCPRIM_400000_NS6detail17trampoline_kernelINS0_14default_configENS1_25partition_config_selectorILNS1_17partition_subalgoE1EtNS0_10empty_typeEbEEZZNS1_14partition_implILS5_1ELb0ES3_jN6thrust23THRUST_200600_302600_NS6detail15normal_iteratorINSA_10device_ptrItEEEEPS6_NSA_18transform_iteratorI7is_evenItESF_NSA_11use_defaultESK_EENS0_5tupleIJSF_SF_EEENSM_IJSG_SG_EEES6_PlJS6_EEE10hipError_tPvRmT3_T4_T5_T6_T7_T9_mT8_P12ihipStream_tbDpT10_ENKUlT_T0_E_clISt17integral_constantIbLb0EES19_EEDaS14_S15_EUlS14_E_NS1_11comp_targetILNS1_3genE8ELNS1_11target_archE1030ELNS1_3gpuE2ELNS1_3repE0EEENS1_30default_config_static_selectorELNS0_4arch9wavefront6targetE1EEEvT1_,"axG",@progbits,_ZN7rocprim17ROCPRIM_400000_NS6detail17trampoline_kernelINS0_14default_configENS1_25partition_config_selectorILNS1_17partition_subalgoE1EtNS0_10empty_typeEbEEZZNS1_14partition_implILS5_1ELb0ES3_jN6thrust23THRUST_200600_302600_NS6detail15normal_iteratorINSA_10device_ptrItEEEEPS6_NSA_18transform_iteratorI7is_evenItESF_NSA_11use_defaultESK_EENS0_5tupleIJSF_SF_EEENSM_IJSG_SG_EEES6_PlJS6_EEE10hipError_tPvRmT3_T4_T5_T6_T7_T9_mT8_P12ihipStream_tbDpT10_ENKUlT_T0_E_clISt17integral_constantIbLb0EES19_EEDaS14_S15_EUlS14_E_NS1_11comp_targetILNS1_3genE8ELNS1_11target_archE1030ELNS1_3gpuE2ELNS1_3repE0EEENS1_30default_config_static_selectorELNS0_4arch9wavefront6targetE1EEEvT1_,comdat
.Lfunc_end2274:
	.size	_ZN7rocprim17ROCPRIM_400000_NS6detail17trampoline_kernelINS0_14default_configENS1_25partition_config_selectorILNS1_17partition_subalgoE1EtNS0_10empty_typeEbEEZZNS1_14partition_implILS5_1ELb0ES3_jN6thrust23THRUST_200600_302600_NS6detail15normal_iteratorINSA_10device_ptrItEEEEPS6_NSA_18transform_iteratorI7is_evenItESF_NSA_11use_defaultESK_EENS0_5tupleIJSF_SF_EEENSM_IJSG_SG_EEES6_PlJS6_EEE10hipError_tPvRmT3_T4_T5_T6_T7_T9_mT8_P12ihipStream_tbDpT10_ENKUlT_T0_E_clISt17integral_constantIbLb0EES19_EEDaS14_S15_EUlS14_E_NS1_11comp_targetILNS1_3genE8ELNS1_11target_archE1030ELNS1_3gpuE2ELNS1_3repE0EEENS1_30default_config_static_selectorELNS0_4arch9wavefront6targetE1EEEvT1_, .Lfunc_end2274-_ZN7rocprim17ROCPRIM_400000_NS6detail17trampoline_kernelINS0_14default_configENS1_25partition_config_selectorILNS1_17partition_subalgoE1EtNS0_10empty_typeEbEEZZNS1_14partition_implILS5_1ELb0ES3_jN6thrust23THRUST_200600_302600_NS6detail15normal_iteratorINSA_10device_ptrItEEEEPS6_NSA_18transform_iteratorI7is_evenItESF_NSA_11use_defaultESK_EENS0_5tupleIJSF_SF_EEENSM_IJSG_SG_EEES6_PlJS6_EEE10hipError_tPvRmT3_T4_T5_T6_T7_T9_mT8_P12ihipStream_tbDpT10_ENKUlT_T0_E_clISt17integral_constantIbLb0EES19_EEDaS14_S15_EUlS14_E_NS1_11comp_targetILNS1_3genE8ELNS1_11target_archE1030ELNS1_3gpuE2ELNS1_3repE0EEENS1_30default_config_static_selectorELNS0_4arch9wavefront6targetE1EEEvT1_
                                        ; -- End function
	.section	.AMDGPU.csdata,"",@progbits
; Kernel info:
; codeLenInByte = 0
; NumSgprs: 6
; NumVgprs: 0
; NumAgprs: 0
; TotalNumVgprs: 0
; ScratchSize: 0
; MemoryBound: 0
; FloatMode: 240
; IeeeMode: 1
; LDSByteSize: 0 bytes/workgroup (compile time only)
; SGPRBlocks: 0
; VGPRBlocks: 0
; NumSGPRsForWavesPerEU: 6
; NumVGPRsForWavesPerEU: 1
; AccumOffset: 4
; Occupancy: 8
; WaveLimiterHint : 0
; COMPUTE_PGM_RSRC2:SCRATCH_EN: 0
; COMPUTE_PGM_RSRC2:USER_SGPR: 2
; COMPUTE_PGM_RSRC2:TRAP_HANDLER: 0
; COMPUTE_PGM_RSRC2:TGID_X_EN: 1
; COMPUTE_PGM_RSRC2:TGID_Y_EN: 0
; COMPUTE_PGM_RSRC2:TGID_Z_EN: 0
; COMPUTE_PGM_RSRC2:TIDIG_COMP_CNT: 0
; COMPUTE_PGM_RSRC3_GFX90A:ACCUM_OFFSET: 0
; COMPUTE_PGM_RSRC3_GFX90A:TG_SPLIT: 0
	.section	.text._ZN7rocprim17ROCPRIM_400000_NS6detail17trampoline_kernelINS0_14default_configENS1_25partition_config_selectorILNS1_17partition_subalgoE1EtNS0_10empty_typeEbEEZZNS1_14partition_implILS5_1ELb0ES3_jN6thrust23THRUST_200600_302600_NS6detail15normal_iteratorINSA_10device_ptrItEEEEPS6_NSA_18transform_iteratorI7is_evenItESF_NSA_11use_defaultESK_EENS0_5tupleIJSF_SF_EEENSM_IJSG_SG_EEES6_PlJS6_EEE10hipError_tPvRmT3_T4_T5_T6_T7_T9_mT8_P12ihipStream_tbDpT10_ENKUlT_T0_E_clISt17integral_constantIbLb1EES19_EEDaS14_S15_EUlS14_E_NS1_11comp_targetILNS1_3genE0ELNS1_11target_archE4294967295ELNS1_3gpuE0ELNS1_3repE0EEENS1_30default_config_static_selectorELNS0_4arch9wavefront6targetE1EEEvT1_,"axG",@progbits,_ZN7rocprim17ROCPRIM_400000_NS6detail17trampoline_kernelINS0_14default_configENS1_25partition_config_selectorILNS1_17partition_subalgoE1EtNS0_10empty_typeEbEEZZNS1_14partition_implILS5_1ELb0ES3_jN6thrust23THRUST_200600_302600_NS6detail15normal_iteratorINSA_10device_ptrItEEEEPS6_NSA_18transform_iteratorI7is_evenItESF_NSA_11use_defaultESK_EENS0_5tupleIJSF_SF_EEENSM_IJSG_SG_EEES6_PlJS6_EEE10hipError_tPvRmT3_T4_T5_T6_T7_T9_mT8_P12ihipStream_tbDpT10_ENKUlT_T0_E_clISt17integral_constantIbLb1EES19_EEDaS14_S15_EUlS14_E_NS1_11comp_targetILNS1_3genE0ELNS1_11target_archE4294967295ELNS1_3gpuE0ELNS1_3repE0EEENS1_30default_config_static_selectorELNS0_4arch9wavefront6targetE1EEEvT1_,comdat
	.protected	_ZN7rocprim17ROCPRIM_400000_NS6detail17trampoline_kernelINS0_14default_configENS1_25partition_config_selectorILNS1_17partition_subalgoE1EtNS0_10empty_typeEbEEZZNS1_14partition_implILS5_1ELb0ES3_jN6thrust23THRUST_200600_302600_NS6detail15normal_iteratorINSA_10device_ptrItEEEEPS6_NSA_18transform_iteratorI7is_evenItESF_NSA_11use_defaultESK_EENS0_5tupleIJSF_SF_EEENSM_IJSG_SG_EEES6_PlJS6_EEE10hipError_tPvRmT3_T4_T5_T6_T7_T9_mT8_P12ihipStream_tbDpT10_ENKUlT_T0_E_clISt17integral_constantIbLb1EES19_EEDaS14_S15_EUlS14_E_NS1_11comp_targetILNS1_3genE0ELNS1_11target_archE4294967295ELNS1_3gpuE0ELNS1_3repE0EEENS1_30default_config_static_selectorELNS0_4arch9wavefront6targetE1EEEvT1_ ; -- Begin function _ZN7rocprim17ROCPRIM_400000_NS6detail17trampoline_kernelINS0_14default_configENS1_25partition_config_selectorILNS1_17partition_subalgoE1EtNS0_10empty_typeEbEEZZNS1_14partition_implILS5_1ELb0ES3_jN6thrust23THRUST_200600_302600_NS6detail15normal_iteratorINSA_10device_ptrItEEEEPS6_NSA_18transform_iteratorI7is_evenItESF_NSA_11use_defaultESK_EENS0_5tupleIJSF_SF_EEENSM_IJSG_SG_EEES6_PlJS6_EEE10hipError_tPvRmT3_T4_T5_T6_T7_T9_mT8_P12ihipStream_tbDpT10_ENKUlT_T0_E_clISt17integral_constantIbLb1EES19_EEDaS14_S15_EUlS14_E_NS1_11comp_targetILNS1_3genE0ELNS1_11target_archE4294967295ELNS1_3gpuE0ELNS1_3repE0EEENS1_30default_config_static_selectorELNS0_4arch9wavefront6targetE1EEEvT1_
	.globl	_ZN7rocprim17ROCPRIM_400000_NS6detail17trampoline_kernelINS0_14default_configENS1_25partition_config_selectorILNS1_17partition_subalgoE1EtNS0_10empty_typeEbEEZZNS1_14partition_implILS5_1ELb0ES3_jN6thrust23THRUST_200600_302600_NS6detail15normal_iteratorINSA_10device_ptrItEEEEPS6_NSA_18transform_iteratorI7is_evenItESF_NSA_11use_defaultESK_EENS0_5tupleIJSF_SF_EEENSM_IJSG_SG_EEES6_PlJS6_EEE10hipError_tPvRmT3_T4_T5_T6_T7_T9_mT8_P12ihipStream_tbDpT10_ENKUlT_T0_E_clISt17integral_constantIbLb1EES19_EEDaS14_S15_EUlS14_E_NS1_11comp_targetILNS1_3genE0ELNS1_11target_archE4294967295ELNS1_3gpuE0ELNS1_3repE0EEENS1_30default_config_static_selectorELNS0_4arch9wavefront6targetE1EEEvT1_
	.p2align	8
	.type	_ZN7rocprim17ROCPRIM_400000_NS6detail17trampoline_kernelINS0_14default_configENS1_25partition_config_selectorILNS1_17partition_subalgoE1EtNS0_10empty_typeEbEEZZNS1_14partition_implILS5_1ELb0ES3_jN6thrust23THRUST_200600_302600_NS6detail15normal_iteratorINSA_10device_ptrItEEEEPS6_NSA_18transform_iteratorI7is_evenItESF_NSA_11use_defaultESK_EENS0_5tupleIJSF_SF_EEENSM_IJSG_SG_EEES6_PlJS6_EEE10hipError_tPvRmT3_T4_T5_T6_T7_T9_mT8_P12ihipStream_tbDpT10_ENKUlT_T0_E_clISt17integral_constantIbLb1EES19_EEDaS14_S15_EUlS14_E_NS1_11comp_targetILNS1_3genE0ELNS1_11target_archE4294967295ELNS1_3gpuE0ELNS1_3repE0EEENS1_30default_config_static_selectorELNS0_4arch9wavefront6targetE1EEEvT1_,@function
_ZN7rocprim17ROCPRIM_400000_NS6detail17trampoline_kernelINS0_14default_configENS1_25partition_config_selectorILNS1_17partition_subalgoE1EtNS0_10empty_typeEbEEZZNS1_14partition_implILS5_1ELb0ES3_jN6thrust23THRUST_200600_302600_NS6detail15normal_iteratorINSA_10device_ptrItEEEEPS6_NSA_18transform_iteratorI7is_evenItESF_NSA_11use_defaultESK_EENS0_5tupleIJSF_SF_EEENSM_IJSG_SG_EEES6_PlJS6_EEE10hipError_tPvRmT3_T4_T5_T6_T7_T9_mT8_P12ihipStream_tbDpT10_ENKUlT_T0_E_clISt17integral_constantIbLb1EES19_EEDaS14_S15_EUlS14_E_NS1_11comp_targetILNS1_3genE0ELNS1_11target_archE4294967295ELNS1_3gpuE0ELNS1_3repE0EEENS1_30default_config_static_selectorELNS0_4arch9wavefront6targetE1EEEvT1_: ; @_ZN7rocprim17ROCPRIM_400000_NS6detail17trampoline_kernelINS0_14default_configENS1_25partition_config_selectorILNS1_17partition_subalgoE1EtNS0_10empty_typeEbEEZZNS1_14partition_implILS5_1ELb0ES3_jN6thrust23THRUST_200600_302600_NS6detail15normal_iteratorINSA_10device_ptrItEEEEPS6_NSA_18transform_iteratorI7is_evenItESF_NSA_11use_defaultESK_EENS0_5tupleIJSF_SF_EEENSM_IJSG_SG_EEES6_PlJS6_EEE10hipError_tPvRmT3_T4_T5_T6_T7_T9_mT8_P12ihipStream_tbDpT10_ENKUlT_T0_E_clISt17integral_constantIbLb1EES19_EEDaS14_S15_EUlS14_E_NS1_11comp_targetILNS1_3genE0ELNS1_11target_archE4294967295ELNS1_3gpuE0ELNS1_3repE0EEENS1_30default_config_static_selectorELNS0_4arch9wavefront6targetE1EEEvT1_
; %bb.0:
	.section	.rodata,"a",@progbits
	.p2align	6, 0x0
	.amdhsa_kernel _ZN7rocprim17ROCPRIM_400000_NS6detail17trampoline_kernelINS0_14default_configENS1_25partition_config_selectorILNS1_17partition_subalgoE1EtNS0_10empty_typeEbEEZZNS1_14partition_implILS5_1ELb0ES3_jN6thrust23THRUST_200600_302600_NS6detail15normal_iteratorINSA_10device_ptrItEEEEPS6_NSA_18transform_iteratorI7is_evenItESF_NSA_11use_defaultESK_EENS0_5tupleIJSF_SF_EEENSM_IJSG_SG_EEES6_PlJS6_EEE10hipError_tPvRmT3_T4_T5_T6_T7_T9_mT8_P12ihipStream_tbDpT10_ENKUlT_T0_E_clISt17integral_constantIbLb1EES19_EEDaS14_S15_EUlS14_E_NS1_11comp_targetILNS1_3genE0ELNS1_11target_archE4294967295ELNS1_3gpuE0ELNS1_3repE0EEENS1_30default_config_static_selectorELNS0_4arch9wavefront6targetE1EEEvT1_
		.amdhsa_group_segment_fixed_size 0
		.amdhsa_private_segment_fixed_size 0
		.amdhsa_kernarg_size 144
		.amdhsa_user_sgpr_count 2
		.amdhsa_user_sgpr_dispatch_ptr 0
		.amdhsa_user_sgpr_queue_ptr 0
		.amdhsa_user_sgpr_kernarg_segment_ptr 1
		.amdhsa_user_sgpr_dispatch_id 0
		.amdhsa_user_sgpr_kernarg_preload_length 0
		.amdhsa_user_sgpr_kernarg_preload_offset 0
		.amdhsa_user_sgpr_private_segment_size 0
		.amdhsa_uses_dynamic_stack 0
		.amdhsa_enable_private_segment 0
		.amdhsa_system_sgpr_workgroup_id_x 1
		.amdhsa_system_sgpr_workgroup_id_y 0
		.amdhsa_system_sgpr_workgroup_id_z 0
		.amdhsa_system_sgpr_workgroup_info 0
		.amdhsa_system_vgpr_workitem_id 0
		.amdhsa_next_free_vgpr 1
		.amdhsa_next_free_sgpr 0
		.amdhsa_accum_offset 4
		.amdhsa_reserve_vcc 0
		.amdhsa_float_round_mode_32 0
		.amdhsa_float_round_mode_16_64 0
		.amdhsa_float_denorm_mode_32 3
		.amdhsa_float_denorm_mode_16_64 3
		.amdhsa_dx10_clamp 1
		.amdhsa_ieee_mode 1
		.amdhsa_fp16_overflow 0
		.amdhsa_tg_split 0
		.amdhsa_exception_fp_ieee_invalid_op 0
		.amdhsa_exception_fp_denorm_src 0
		.amdhsa_exception_fp_ieee_div_zero 0
		.amdhsa_exception_fp_ieee_overflow 0
		.amdhsa_exception_fp_ieee_underflow 0
		.amdhsa_exception_fp_ieee_inexact 0
		.amdhsa_exception_int_div_zero 0
	.end_amdhsa_kernel
	.section	.text._ZN7rocprim17ROCPRIM_400000_NS6detail17trampoline_kernelINS0_14default_configENS1_25partition_config_selectorILNS1_17partition_subalgoE1EtNS0_10empty_typeEbEEZZNS1_14partition_implILS5_1ELb0ES3_jN6thrust23THRUST_200600_302600_NS6detail15normal_iteratorINSA_10device_ptrItEEEEPS6_NSA_18transform_iteratorI7is_evenItESF_NSA_11use_defaultESK_EENS0_5tupleIJSF_SF_EEENSM_IJSG_SG_EEES6_PlJS6_EEE10hipError_tPvRmT3_T4_T5_T6_T7_T9_mT8_P12ihipStream_tbDpT10_ENKUlT_T0_E_clISt17integral_constantIbLb1EES19_EEDaS14_S15_EUlS14_E_NS1_11comp_targetILNS1_3genE0ELNS1_11target_archE4294967295ELNS1_3gpuE0ELNS1_3repE0EEENS1_30default_config_static_selectorELNS0_4arch9wavefront6targetE1EEEvT1_,"axG",@progbits,_ZN7rocprim17ROCPRIM_400000_NS6detail17trampoline_kernelINS0_14default_configENS1_25partition_config_selectorILNS1_17partition_subalgoE1EtNS0_10empty_typeEbEEZZNS1_14partition_implILS5_1ELb0ES3_jN6thrust23THRUST_200600_302600_NS6detail15normal_iteratorINSA_10device_ptrItEEEEPS6_NSA_18transform_iteratorI7is_evenItESF_NSA_11use_defaultESK_EENS0_5tupleIJSF_SF_EEENSM_IJSG_SG_EEES6_PlJS6_EEE10hipError_tPvRmT3_T4_T5_T6_T7_T9_mT8_P12ihipStream_tbDpT10_ENKUlT_T0_E_clISt17integral_constantIbLb1EES19_EEDaS14_S15_EUlS14_E_NS1_11comp_targetILNS1_3genE0ELNS1_11target_archE4294967295ELNS1_3gpuE0ELNS1_3repE0EEENS1_30default_config_static_selectorELNS0_4arch9wavefront6targetE1EEEvT1_,comdat
.Lfunc_end2275:
	.size	_ZN7rocprim17ROCPRIM_400000_NS6detail17trampoline_kernelINS0_14default_configENS1_25partition_config_selectorILNS1_17partition_subalgoE1EtNS0_10empty_typeEbEEZZNS1_14partition_implILS5_1ELb0ES3_jN6thrust23THRUST_200600_302600_NS6detail15normal_iteratorINSA_10device_ptrItEEEEPS6_NSA_18transform_iteratorI7is_evenItESF_NSA_11use_defaultESK_EENS0_5tupleIJSF_SF_EEENSM_IJSG_SG_EEES6_PlJS6_EEE10hipError_tPvRmT3_T4_T5_T6_T7_T9_mT8_P12ihipStream_tbDpT10_ENKUlT_T0_E_clISt17integral_constantIbLb1EES19_EEDaS14_S15_EUlS14_E_NS1_11comp_targetILNS1_3genE0ELNS1_11target_archE4294967295ELNS1_3gpuE0ELNS1_3repE0EEENS1_30default_config_static_selectorELNS0_4arch9wavefront6targetE1EEEvT1_, .Lfunc_end2275-_ZN7rocprim17ROCPRIM_400000_NS6detail17trampoline_kernelINS0_14default_configENS1_25partition_config_selectorILNS1_17partition_subalgoE1EtNS0_10empty_typeEbEEZZNS1_14partition_implILS5_1ELb0ES3_jN6thrust23THRUST_200600_302600_NS6detail15normal_iteratorINSA_10device_ptrItEEEEPS6_NSA_18transform_iteratorI7is_evenItESF_NSA_11use_defaultESK_EENS0_5tupleIJSF_SF_EEENSM_IJSG_SG_EEES6_PlJS6_EEE10hipError_tPvRmT3_T4_T5_T6_T7_T9_mT8_P12ihipStream_tbDpT10_ENKUlT_T0_E_clISt17integral_constantIbLb1EES19_EEDaS14_S15_EUlS14_E_NS1_11comp_targetILNS1_3genE0ELNS1_11target_archE4294967295ELNS1_3gpuE0ELNS1_3repE0EEENS1_30default_config_static_selectorELNS0_4arch9wavefront6targetE1EEEvT1_
                                        ; -- End function
	.section	.AMDGPU.csdata,"",@progbits
; Kernel info:
; codeLenInByte = 0
; NumSgprs: 6
; NumVgprs: 0
; NumAgprs: 0
; TotalNumVgprs: 0
; ScratchSize: 0
; MemoryBound: 0
; FloatMode: 240
; IeeeMode: 1
; LDSByteSize: 0 bytes/workgroup (compile time only)
; SGPRBlocks: 0
; VGPRBlocks: 0
; NumSGPRsForWavesPerEU: 6
; NumVGPRsForWavesPerEU: 1
; AccumOffset: 4
; Occupancy: 8
; WaveLimiterHint : 0
; COMPUTE_PGM_RSRC2:SCRATCH_EN: 0
; COMPUTE_PGM_RSRC2:USER_SGPR: 2
; COMPUTE_PGM_RSRC2:TRAP_HANDLER: 0
; COMPUTE_PGM_RSRC2:TGID_X_EN: 1
; COMPUTE_PGM_RSRC2:TGID_Y_EN: 0
; COMPUTE_PGM_RSRC2:TGID_Z_EN: 0
; COMPUTE_PGM_RSRC2:TIDIG_COMP_CNT: 0
; COMPUTE_PGM_RSRC3_GFX90A:ACCUM_OFFSET: 0
; COMPUTE_PGM_RSRC3_GFX90A:TG_SPLIT: 0
	.section	.text._ZN7rocprim17ROCPRIM_400000_NS6detail17trampoline_kernelINS0_14default_configENS1_25partition_config_selectorILNS1_17partition_subalgoE1EtNS0_10empty_typeEbEEZZNS1_14partition_implILS5_1ELb0ES3_jN6thrust23THRUST_200600_302600_NS6detail15normal_iteratorINSA_10device_ptrItEEEEPS6_NSA_18transform_iteratorI7is_evenItESF_NSA_11use_defaultESK_EENS0_5tupleIJSF_SF_EEENSM_IJSG_SG_EEES6_PlJS6_EEE10hipError_tPvRmT3_T4_T5_T6_T7_T9_mT8_P12ihipStream_tbDpT10_ENKUlT_T0_E_clISt17integral_constantIbLb1EES19_EEDaS14_S15_EUlS14_E_NS1_11comp_targetILNS1_3genE5ELNS1_11target_archE942ELNS1_3gpuE9ELNS1_3repE0EEENS1_30default_config_static_selectorELNS0_4arch9wavefront6targetE1EEEvT1_,"axG",@progbits,_ZN7rocprim17ROCPRIM_400000_NS6detail17trampoline_kernelINS0_14default_configENS1_25partition_config_selectorILNS1_17partition_subalgoE1EtNS0_10empty_typeEbEEZZNS1_14partition_implILS5_1ELb0ES3_jN6thrust23THRUST_200600_302600_NS6detail15normal_iteratorINSA_10device_ptrItEEEEPS6_NSA_18transform_iteratorI7is_evenItESF_NSA_11use_defaultESK_EENS0_5tupleIJSF_SF_EEENSM_IJSG_SG_EEES6_PlJS6_EEE10hipError_tPvRmT3_T4_T5_T6_T7_T9_mT8_P12ihipStream_tbDpT10_ENKUlT_T0_E_clISt17integral_constantIbLb1EES19_EEDaS14_S15_EUlS14_E_NS1_11comp_targetILNS1_3genE5ELNS1_11target_archE942ELNS1_3gpuE9ELNS1_3repE0EEENS1_30default_config_static_selectorELNS0_4arch9wavefront6targetE1EEEvT1_,comdat
	.protected	_ZN7rocprim17ROCPRIM_400000_NS6detail17trampoline_kernelINS0_14default_configENS1_25partition_config_selectorILNS1_17partition_subalgoE1EtNS0_10empty_typeEbEEZZNS1_14partition_implILS5_1ELb0ES3_jN6thrust23THRUST_200600_302600_NS6detail15normal_iteratorINSA_10device_ptrItEEEEPS6_NSA_18transform_iteratorI7is_evenItESF_NSA_11use_defaultESK_EENS0_5tupleIJSF_SF_EEENSM_IJSG_SG_EEES6_PlJS6_EEE10hipError_tPvRmT3_T4_T5_T6_T7_T9_mT8_P12ihipStream_tbDpT10_ENKUlT_T0_E_clISt17integral_constantIbLb1EES19_EEDaS14_S15_EUlS14_E_NS1_11comp_targetILNS1_3genE5ELNS1_11target_archE942ELNS1_3gpuE9ELNS1_3repE0EEENS1_30default_config_static_selectorELNS0_4arch9wavefront6targetE1EEEvT1_ ; -- Begin function _ZN7rocprim17ROCPRIM_400000_NS6detail17trampoline_kernelINS0_14default_configENS1_25partition_config_selectorILNS1_17partition_subalgoE1EtNS0_10empty_typeEbEEZZNS1_14partition_implILS5_1ELb0ES3_jN6thrust23THRUST_200600_302600_NS6detail15normal_iteratorINSA_10device_ptrItEEEEPS6_NSA_18transform_iteratorI7is_evenItESF_NSA_11use_defaultESK_EENS0_5tupleIJSF_SF_EEENSM_IJSG_SG_EEES6_PlJS6_EEE10hipError_tPvRmT3_T4_T5_T6_T7_T9_mT8_P12ihipStream_tbDpT10_ENKUlT_T0_E_clISt17integral_constantIbLb1EES19_EEDaS14_S15_EUlS14_E_NS1_11comp_targetILNS1_3genE5ELNS1_11target_archE942ELNS1_3gpuE9ELNS1_3repE0EEENS1_30default_config_static_selectorELNS0_4arch9wavefront6targetE1EEEvT1_
	.globl	_ZN7rocprim17ROCPRIM_400000_NS6detail17trampoline_kernelINS0_14default_configENS1_25partition_config_selectorILNS1_17partition_subalgoE1EtNS0_10empty_typeEbEEZZNS1_14partition_implILS5_1ELb0ES3_jN6thrust23THRUST_200600_302600_NS6detail15normal_iteratorINSA_10device_ptrItEEEEPS6_NSA_18transform_iteratorI7is_evenItESF_NSA_11use_defaultESK_EENS0_5tupleIJSF_SF_EEENSM_IJSG_SG_EEES6_PlJS6_EEE10hipError_tPvRmT3_T4_T5_T6_T7_T9_mT8_P12ihipStream_tbDpT10_ENKUlT_T0_E_clISt17integral_constantIbLb1EES19_EEDaS14_S15_EUlS14_E_NS1_11comp_targetILNS1_3genE5ELNS1_11target_archE942ELNS1_3gpuE9ELNS1_3repE0EEENS1_30default_config_static_selectorELNS0_4arch9wavefront6targetE1EEEvT1_
	.p2align	8
	.type	_ZN7rocprim17ROCPRIM_400000_NS6detail17trampoline_kernelINS0_14default_configENS1_25partition_config_selectorILNS1_17partition_subalgoE1EtNS0_10empty_typeEbEEZZNS1_14partition_implILS5_1ELb0ES3_jN6thrust23THRUST_200600_302600_NS6detail15normal_iteratorINSA_10device_ptrItEEEEPS6_NSA_18transform_iteratorI7is_evenItESF_NSA_11use_defaultESK_EENS0_5tupleIJSF_SF_EEENSM_IJSG_SG_EEES6_PlJS6_EEE10hipError_tPvRmT3_T4_T5_T6_T7_T9_mT8_P12ihipStream_tbDpT10_ENKUlT_T0_E_clISt17integral_constantIbLb1EES19_EEDaS14_S15_EUlS14_E_NS1_11comp_targetILNS1_3genE5ELNS1_11target_archE942ELNS1_3gpuE9ELNS1_3repE0EEENS1_30default_config_static_selectorELNS0_4arch9wavefront6targetE1EEEvT1_,@function
_ZN7rocprim17ROCPRIM_400000_NS6detail17trampoline_kernelINS0_14default_configENS1_25partition_config_selectorILNS1_17partition_subalgoE1EtNS0_10empty_typeEbEEZZNS1_14partition_implILS5_1ELb0ES3_jN6thrust23THRUST_200600_302600_NS6detail15normal_iteratorINSA_10device_ptrItEEEEPS6_NSA_18transform_iteratorI7is_evenItESF_NSA_11use_defaultESK_EENS0_5tupleIJSF_SF_EEENSM_IJSG_SG_EEES6_PlJS6_EEE10hipError_tPvRmT3_T4_T5_T6_T7_T9_mT8_P12ihipStream_tbDpT10_ENKUlT_T0_E_clISt17integral_constantIbLb1EES19_EEDaS14_S15_EUlS14_E_NS1_11comp_targetILNS1_3genE5ELNS1_11target_archE942ELNS1_3gpuE9ELNS1_3repE0EEENS1_30default_config_static_selectorELNS0_4arch9wavefront6targetE1EEEvT1_: ; @_ZN7rocprim17ROCPRIM_400000_NS6detail17trampoline_kernelINS0_14default_configENS1_25partition_config_selectorILNS1_17partition_subalgoE1EtNS0_10empty_typeEbEEZZNS1_14partition_implILS5_1ELb0ES3_jN6thrust23THRUST_200600_302600_NS6detail15normal_iteratorINSA_10device_ptrItEEEEPS6_NSA_18transform_iteratorI7is_evenItESF_NSA_11use_defaultESK_EENS0_5tupleIJSF_SF_EEENSM_IJSG_SG_EEES6_PlJS6_EEE10hipError_tPvRmT3_T4_T5_T6_T7_T9_mT8_P12ihipStream_tbDpT10_ENKUlT_T0_E_clISt17integral_constantIbLb1EES19_EEDaS14_S15_EUlS14_E_NS1_11comp_targetILNS1_3genE5ELNS1_11target_archE942ELNS1_3gpuE9ELNS1_3repE0EEENS1_30default_config_static_selectorELNS0_4arch9wavefront6targetE1EEEvT1_
; %bb.0:
	s_load_dwordx2 s[2:3], s[0:1], 0x20
	s_load_dwordx4 s[20:23], s[0:1], 0x50
	s_load_dwordx2 s[6:7], s[0:1], 0x60
	s_load_dwordx2 s[34:35], s[0:1], 0x70
	v_cmp_eq_u32_e64 s[18:19], 0, v0
	s_and_saveexec_b64 s[4:5], s[18:19]
	s_cbranch_execz .LBB2276_4
; %bb.1:
	s_mov_b64 s[10:11], exec
	v_mbcnt_lo_u32_b32 v1, s10, 0
	v_mbcnt_hi_u32_b32 v1, s11, v1
	v_cmp_eq_u32_e32 vcc, 0, v1
                                        ; implicit-def: $vgpr2
	s_and_saveexec_b64 s[8:9], vcc
	s_cbranch_execz .LBB2276_3
; %bb.2:
	s_load_dwordx2 s[12:13], s[0:1], 0x80
	s_bcnt1_i32_b64 s10, s[10:11]
	v_mov_b32_e32 v2, 0
	v_mov_b32_e32 v3, s10
	s_waitcnt lgkmcnt(0)
	global_atomic_add v2, v2, v3, s[12:13] sc0
.LBB2276_3:
	s_or_b64 exec, exec, s[8:9]
	s_waitcnt vmcnt(0)
	v_readfirstlane_b32 s8, v2
	v_mov_b32_e32 v2, 0
	s_nop 0
	v_add_u32_e32 v1, s8, v1
	ds_write_b32 v2, v1
.LBB2276_4:
	s_or_b64 exec, exec, s[4:5]
	v_mov_b32_e32 v15, 0
	s_load_dwordx4 s[28:31], s[0:1], 0x8
	s_load_dwordx4 s[24:27], s[0:1], 0x30
	s_load_dword s8, s[0:1], 0x78
	s_waitcnt lgkmcnt(0)
	s_barrier
	ds_read_b32 v1, v15
	s_waitcnt lgkmcnt(0)
	s_barrier
	global_load_dwordx2 v[16:17], v15, s[22:23]
	v_mov_b32_e32 v3, s7
	s_lshl_b64 s[4:5], s[30:31], 1
	s_movk_i32 s7, 0x3800
	s_add_u32 s0, s28, s4
	v_mul_lo_u32 v14, v1, s7
	s_mul_i32 s7, s8, 0x3800
	s_addc_u32 s1, s29, s5
	s_add_i32 s9, s8, -1
	s_add_i32 s8, s7, s30
	s_sub_i32 s33, s6, s8
	s_addk_i32 s33, 0x3800
	v_mov_b32_e32 v2, s6
	s_add_u32 s6, s30, s7
	v_readfirstlane_b32 s40, v1
	s_addc_u32 s7, s31, 0
	s_cmp_eq_u32 s40, s9
	s_cselect_b64 s[22:23], -1, 0
	s_cmp_lg_u32 s40, s9
	v_cmp_lt_u64_e32 vcc, s[6:7], v[2:3]
	s_cselect_b64 s[6:7], -1, 0
	s_or_b64 s[28:29], vcc, s[6:7]
	v_lshlrev_b64 v[18:19], 1, v[14:15]
	v_lshl_add_u64 v[2:3], s[0:1], 0, v[18:19]
	s_mov_b64 s[0:1], -1
	s_and_b64 vcc, exec, s[28:29]
	v_lshlrev_b32_e32 v14, 1, v0
	s_cbranch_vccz .LBB2276_6
; %bb.5:
	v_lshl_add_u64 v[4:5], v[2:3], 0, v[14:15]
	v_add_co_u32_e32 v6, vcc, 0x1000, v4
	s_mov_b64 s[0:1], 0
	s_nop 0
	v_addc_co_u32_e32 v7, vcc, 0, v5, vcc
	flat_load_ushort v1, v[4:5]
	flat_load_ushort v10, v[4:5] offset:1024
	flat_load_ushort v11, v[4:5] offset:2048
	;; [unrolled: 1-line block ×3, first 2 shown]
	flat_load_ushort v13, v[6:7]
	flat_load_ushort v15, v[6:7] offset:1024
	flat_load_ushort v20, v[6:7] offset:2048
	flat_load_ushort v21, v[6:7] offset:3072
	v_add_co_u32_e32 v6, vcc, 0x2000, v4
	s_nop 1
	v_addc_co_u32_e32 v7, vcc, 0, v5, vcc
	v_add_co_u32_e32 v8, vcc, 0x3000, v4
	s_nop 1
	v_addc_co_u32_e32 v9, vcc, 0, v5, vcc
	flat_load_ushort v22, v[6:7]
	flat_load_ushort v23, v[6:7] offset:1024
	flat_load_ushort v24, v[6:7] offset:2048
	;; [unrolled: 1-line block ×3, first 2 shown]
	flat_load_ushort v26, v[8:9]
	flat_load_ushort v27, v[8:9] offset:1024
	flat_load_ushort v28, v[8:9] offset:2048
	;; [unrolled: 1-line block ×3, first 2 shown]
	v_add_co_u32_e32 v6, vcc, 0x4000, v4
	s_nop 1
	v_addc_co_u32_e32 v7, vcc, 0, v5, vcc
	v_add_co_u32_e32 v8, vcc, 0x5000, v4
	s_nop 1
	v_addc_co_u32_e32 v9, vcc, 0, v5, vcc
	v_add_co_u32_e32 v4, vcc, 0x6000, v4
	flat_load_ushort v30, v[6:7]
	flat_load_ushort v31, v[6:7] offset:1024
	flat_load_ushort v32, v[6:7] offset:2048
	;; [unrolled: 1-line block ×3, first 2 shown]
	flat_load_ushort v34, v[8:9]
	flat_load_ushort v35, v[8:9] offset:1024
	flat_load_ushort v36, v[8:9] offset:2048
	;; [unrolled: 1-line block ×3, first 2 shown]
	v_addc_co_u32_e32 v5, vcc, 0, v5, vcc
	flat_load_ushort v6, v[4:5]
	flat_load_ushort v7, v[4:5] offset:1024
	flat_load_ushort v8, v[4:5] offset:2048
	;; [unrolled: 1-line block ×3, first 2 shown]
	s_waitcnt vmcnt(0) lgkmcnt(0)
	ds_write_b16 v14, v1
	ds_write_b16 v14, v10 offset:1024
	ds_write_b16 v14, v11 offset:2048
	;; [unrolled: 1-line block ×27, first 2 shown]
	s_waitcnt lgkmcnt(0)
	s_barrier
.LBB2276_6:
	s_andn2_b64 vcc, exec, s[0:1]
	v_cmp_gt_u32_e64 s[0:1], s33, v0
	s_cbranch_vccnz .LBB2276_64
; %bb.7:
                                        ; implicit-def: $vgpr1
	s_and_saveexec_b64 s[6:7], s[0:1]
	s_cbranch_execz .LBB2276_9
; %bb.8:
	v_mov_b32_e32 v15, 0
	v_lshl_add_u64 v[4:5], v[2:3], 0, v[14:15]
	flat_load_ushort v1, v[4:5]
.LBB2276_9:
	s_or_b64 exec, exec, s[6:7]
	v_or_b32_e32 v4, 0x200, v0
	v_cmp_gt_u32_e32 vcc, s33, v4
                                        ; implicit-def: $vgpr4
	s_and_saveexec_b64 s[0:1], vcc
	s_cbranch_execz .LBB2276_11
; %bb.10:
	v_mov_b32_e32 v15, 0
	v_lshl_add_u64 v[4:5], v[2:3], 0, v[14:15]
	flat_load_ushort v4, v[4:5] offset:1024
.LBB2276_11:
	s_or_b64 exec, exec, s[0:1]
	v_or_b32_e32 v5, 0x400, v0
	v_cmp_gt_u32_e32 vcc, s33, v5
                                        ; implicit-def: $vgpr5
	s_and_saveexec_b64 s[0:1], vcc
	s_cbranch_execz .LBB2276_13
; %bb.12:
	v_mov_b32_e32 v15, 0
	v_lshl_add_u64 v[6:7], v[2:3], 0, v[14:15]
	flat_load_ushort v5, v[6:7] offset:2048
.LBB2276_13:
	s_or_b64 exec, exec, s[0:1]
	v_or_b32_e32 v6, 0x600, v0
	v_cmp_gt_u32_e32 vcc, s33, v6
                                        ; implicit-def: $vgpr6
	s_and_saveexec_b64 s[0:1], vcc
	s_cbranch_execz .LBB2276_15
; %bb.14:
	v_mov_b32_e32 v15, 0
	v_lshl_add_u64 v[6:7], v[2:3], 0, v[14:15]
	flat_load_ushort v6, v[6:7] offset:3072
.LBB2276_15:
	s_or_b64 exec, exec, s[0:1]
	v_or_b32_e32 v8, 0x800, v0
	v_cmp_gt_u32_e32 vcc, s33, v8
                                        ; implicit-def: $vgpr7
	s_and_saveexec_b64 s[0:1], vcc
	s_cbranch_execz .LBB2276_17
; %bb.16:
	v_lshlrev_b32_e32 v8, 1, v8
	v_mov_b32_e32 v9, 0
	v_lshl_add_u64 v[8:9], v[2:3], 0, v[8:9]
	flat_load_ushort v7, v[8:9]
.LBB2276_17:
	s_or_b64 exec, exec, s[0:1]
	v_or_b32_e32 v9, 0xa00, v0
	v_cmp_gt_u32_e32 vcc, s33, v9
                                        ; implicit-def: $vgpr8
	s_and_saveexec_b64 s[0:1], vcc
	s_cbranch_execz .LBB2276_19
; %bb.18:
	v_lshlrev_b32_e32 v8, 1, v9
	v_mov_b32_e32 v9, 0
	v_lshl_add_u64 v[8:9], v[2:3], 0, v[8:9]
	flat_load_ushort v8, v[8:9]
.LBB2276_19:
	s_or_b64 exec, exec, s[0:1]
	v_or_b32_e32 v10, 0xc00, v0
	v_cmp_gt_u32_e32 vcc, s33, v10
                                        ; implicit-def: $vgpr9
	s_and_saveexec_b64 s[0:1], vcc
	s_cbranch_execz .LBB2276_21
; %bb.20:
	v_lshlrev_b32_e32 v10, 1, v10
	v_mov_b32_e32 v11, 0
	v_lshl_add_u64 v[10:11], v[2:3], 0, v[10:11]
	flat_load_ushort v9, v[10:11]
.LBB2276_21:
	s_or_b64 exec, exec, s[0:1]
	v_or_b32_e32 v11, 0xe00, v0
	v_cmp_gt_u32_e32 vcc, s33, v11
                                        ; implicit-def: $vgpr10
	s_and_saveexec_b64 s[0:1], vcc
	s_cbranch_execz .LBB2276_23
; %bb.22:
	v_lshlrev_b32_e32 v10, 1, v11
	v_mov_b32_e32 v11, 0
	v_lshl_add_u64 v[10:11], v[2:3], 0, v[10:11]
	flat_load_ushort v10, v[10:11]
.LBB2276_23:
	s_or_b64 exec, exec, s[0:1]
	v_or_b32_e32 v12, 0x1000, v0
	v_cmp_gt_u32_e32 vcc, s33, v12
                                        ; implicit-def: $vgpr11
	s_and_saveexec_b64 s[0:1], vcc
	s_cbranch_execz .LBB2276_25
; %bb.24:
	v_lshlrev_b32_e32 v12, 1, v12
	v_mov_b32_e32 v13, 0
	v_lshl_add_u64 v[12:13], v[2:3], 0, v[12:13]
	flat_load_ushort v11, v[12:13]
.LBB2276_25:
	s_or_b64 exec, exec, s[0:1]
	v_or_b32_e32 v13, 0x1200, v0
	v_cmp_gt_u32_e32 vcc, s33, v13
                                        ; implicit-def: $vgpr12
	s_and_saveexec_b64 s[0:1], vcc
	s_cbranch_execz .LBB2276_27
; %bb.26:
	v_lshlrev_b32_e32 v12, 1, v13
	v_mov_b32_e32 v13, 0
	v_lshl_add_u64 v[12:13], v[2:3], 0, v[12:13]
	flat_load_ushort v12, v[12:13]
.LBB2276_27:
	s_or_b64 exec, exec, s[0:1]
	v_or_b32_e32 v15, 0x1400, v0
	v_cmp_gt_u32_e32 vcc, s33, v15
                                        ; implicit-def: $vgpr13
	s_and_saveexec_b64 s[0:1], vcc
	s_cbranch_execz .LBB2276_29
; %bb.28:
	v_lshlrev_b32_e32 v20, 1, v15
	v_mov_b32_e32 v21, 0
	v_lshl_add_u64 v[20:21], v[2:3], 0, v[20:21]
	flat_load_ushort v13, v[20:21]
.LBB2276_29:
	s_or_b64 exec, exec, s[0:1]
	v_or_b32_e32 v20, 0x1600, v0
	v_cmp_gt_u32_e32 vcc, s33, v20
                                        ; implicit-def: $vgpr15
	s_and_saveexec_b64 s[0:1], vcc
	s_cbranch_execz .LBB2276_31
; %bb.30:
	v_lshlrev_b32_e32 v20, 1, v20
	v_mov_b32_e32 v21, 0
	v_lshl_add_u64 v[20:21], v[2:3], 0, v[20:21]
	flat_load_ushort v15, v[20:21]
.LBB2276_31:
	s_or_b64 exec, exec, s[0:1]
	v_or_b32_e32 v21, 0x1800, v0
	v_cmp_gt_u32_e32 vcc, s33, v21
                                        ; implicit-def: $vgpr20
	s_and_saveexec_b64 s[0:1], vcc
	s_cbranch_execz .LBB2276_33
; %bb.32:
	v_lshlrev_b32_e32 v20, 1, v21
	v_mov_b32_e32 v21, 0
	v_lshl_add_u64 v[20:21], v[2:3], 0, v[20:21]
	flat_load_ushort v20, v[20:21]
.LBB2276_33:
	s_or_b64 exec, exec, s[0:1]
	v_or_b32_e32 v22, 0x1a00, v0
	v_cmp_gt_u32_e32 vcc, s33, v22
                                        ; implicit-def: $vgpr21
	s_and_saveexec_b64 s[0:1], vcc
	s_cbranch_execz .LBB2276_35
; %bb.34:
	v_lshlrev_b32_e32 v22, 1, v22
	v_mov_b32_e32 v23, 0
	v_lshl_add_u64 v[22:23], v[2:3], 0, v[22:23]
	flat_load_ushort v21, v[22:23]
.LBB2276_35:
	s_or_b64 exec, exec, s[0:1]
	v_or_b32_e32 v23, 0x1c00, v0
	v_cmp_gt_u32_e32 vcc, s33, v23
                                        ; implicit-def: $vgpr22
	s_and_saveexec_b64 s[0:1], vcc
	s_cbranch_execz .LBB2276_37
; %bb.36:
	v_lshlrev_b32_e32 v22, 1, v23
	v_mov_b32_e32 v23, 0
	v_lshl_add_u64 v[22:23], v[2:3], 0, v[22:23]
	flat_load_ushort v22, v[22:23]
.LBB2276_37:
	s_or_b64 exec, exec, s[0:1]
	v_or_b32_e32 v24, 0x1e00, v0
	v_cmp_gt_u32_e32 vcc, s33, v24
                                        ; implicit-def: $vgpr23
	s_and_saveexec_b64 s[0:1], vcc
	s_cbranch_execz .LBB2276_39
; %bb.38:
	v_lshlrev_b32_e32 v24, 1, v24
	v_mov_b32_e32 v25, 0
	v_lshl_add_u64 v[24:25], v[2:3], 0, v[24:25]
	flat_load_ushort v23, v[24:25]
.LBB2276_39:
	s_or_b64 exec, exec, s[0:1]
	v_or_b32_e32 v25, 0x2000, v0
	v_cmp_gt_u32_e32 vcc, s33, v25
                                        ; implicit-def: $vgpr24
	s_and_saveexec_b64 s[0:1], vcc
	s_cbranch_execz .LBB2276_41
; %bb.40:
	v_lshlrev_b32_e32 v24, 1, v25
	v_mov_b32_e32 v25, 0
	v_lshl_add_u64 v[24:25], v[2:3], 0, v[24:25]
	flat_load_ushort v24, v[24:25]
.LBB2276_41:
	s_or_b64 exec, exec, s[0:1]
	v_or_b32_e32 v26, 0x2200, v0
	v_cmp_gt_u32_e32 vcc, s33, v26
                                        ; implicit-def: $vgpr25
	s_and_saveexec_b64 s[0:1], vcc
	s_cbranch_execz .LBB2276_43
; %bb.42:
	v_lshlrev_b32_e32 v26, 1, v26
	v_mov_b32_e32 v27, 0
	v_lshl_add_u64 v[26:27], v[2:3], 0, v[26:27]
	flat_load_ushort v25, v[26:27]
.LBB2276_43:
	s_or_b64 exec, exec, s[0:1]
	v_or_b32_e32 v27, 0x2400, v0
	v_cmp_gt_u32_e32 vcc, s33, v27
                                        ; implicit-def: $vgpr26
	s_and_saveexec_b64 s[0:1], vcc
	s_cbranch_execz .LBB2276_45
; %bb.44:
	v_lshlrev_b32_e32 v26, 1, v27
	v_mov_b32_e32 v27, 0
	v_lshl_add_u64 v[26:27], v[2:3], 0, v[26:27]
	flat_load_ushort v26, v[26:27]
.LBB2276_45:
	s_or_b64 exec, exec, s[0:1]
	v_or_b32_e32 v28, 0x2600, v0
	v_cmp_gt_u32_e32 vcc, s33, v28
                                        ; implicit-def: $vgpr27
	s_and_saveexec_b64 s[0:1], vcc
	s_cbranch_execz .LBB2276_47
; %bb.46:
	v_lshlrev_b32_e32 v28, 1, v28
	v_mov_b32_e32 v29, 0
	v_lshl_add_u64 v[28:29], v[2:3], 0, v[28:29]
	flat_load_ushort v27, v[28:29]
.LBB2276_47:
	s_or_b64 exec, exec, s[0:1]
	v_or_b32_e32 v29, 0x2800, v0
	v_cmp_gt_u32_e32 vcc, s33, v29
                                        ; implicit-def: $vgpr28
	s_and_saveexec_b64 s[0:1], vcc
	s_cbranch_execz .LBB2276_49
; %bb.48:
	v_lshlrev_b32_e32 v28, 1, v29
	v_mov_b32_e32 v29, 0
	v_lshl_add_u64 v[28:29], v[2:3], 0, v[28:29]
	flat_load_ushort v28, v[28:29]
.LBB2276_49:
	s_or_b64 exec, exec, s[0:1]
	v_or_b32_e32 v30, 0x2a00, v0
	v_cmp_gt_u32_e32 vcc, s33, v30
                                        ; implicit-def: $vgpr29
	s_and_saveexec_b64 s[0:1], vcc
	s_cbranch_execz .LBB2276_51
; %bb.50:
	v_lshlrev_b32_e32 v30, 1, v30
	v_mov_b32_e32 v31, 0
	v_lshl_add_u64 v[30:31], v[2:3], 0, v[30:31]
	flat_load_ushort v29, v[30:31]
.LBB2276_51:
	s_or_b64 exec, exec, s[0:1]
	v_or_b32_e32 v31, 0x2c00, v0
	v_cmp_gt_u32_e32 vcc, s33, v31
                                        ; implicit-def: $vgpr30
	s_and_saveexec_b64 s[0:1], vcc
	s_cbranch_execz .LBB2276_53
; %bb.52:
	v_lshlrev_b32_e32 v30, 1, v31
	v_mov_b32_e32 v31, 0
	v_lshl_add_u64 v[30:31], v[2:3], 0, v[30:31]
	flat_load_ushort v30, v[30:31]
.LBB2276_53:
	s_or_b64 exec, exec, s[0:1]
	v_or_b32_e32 v32, 0x2e00, v0
	v_cmp_gt_u32_e32 vcc, s33, v32
                                        ; implicit-def: $vgpr31
	s_and_saveexec_b64 s[0:1], vcc
	s_cbranch_execz .LBB2276_55
; %bb.54:
	v_lshlrev_b32_e32 v32, 1, v32
	v_mov_b32_e32 v33, 0
	v_lshl_add_u64 v[32:33], v[2:3], 0, v[32:33]
	flat_load_ushort v31, v[32:33]
.LBB2276_55:
	s_or_b64 exec, exec, s[0:1]
	v_or_b32_e32 v33, 0x3000, v0
	v_cmp_gt_u32_e32 vcc, s33, v33
                                        ; implicit-def: $vgpr32
	s_and_saveexec_b64 s[0:1], vcc
	s_cbranch_execz .LBB2276_57
; %bb.56:
	v_lshlrev_b32_e32 v32, 1, v33
	v_mov_b32_e32 v33, 0
	v_lshl_add_u64 v[32:33], v[2:3], 0, v[32:33]
	flat_load_ushort v32, v[32:33]
.LBB2276_57:
	s_or_b64 exec, exec, s[0:1]
	v_or_b32_e32 v34, 0x3200, v0
	v_cmp_gt_u32_e32 vcc, s33, v34
                                        ; implicit-def: $vgpr33
	s_and_saveexec_b64 s[0:1], vcc
	s_cbranch_execz .LBB2276_59
; %bb.58:
	v_lshlrev_b32_e32 v34, 1, v34
	v_mov_b32_e32 v35, 0
	v_lshl_add_u64 v[34:35], v[2:3], 0, v[34:35]
	flat_load_ushort v33, v[34:35]
.LBB2276_59:
	s_or_b64 exec, exec, s[0:1]
	v_or_b32_e32 v35, 0x3400, v0
	v_cmp_gt_u32_e32 vcc, s33, v35
                                        ; implicit-def: $vgpr34
	s_and_saveexec_b64 s[0:1], vcc
	s_cbranch_execz .LBB2276_61
; %bb.60:
	v_lshlrev_b32_e32 v34, 1, v35
	v_mov_b32_e32 v35, 0
	v_lshl_add_u64 v[34:35], v[2:3], 0, v[34:35]
	flat_load_ushort v34, v[34:35]
.LBB2276_61:
	s_or_b64 exec, exec, s[0:1]
	v_or_b32_e32 v36, 0x3600, v0
	v_cmp_gt_u32_e32 vcc, s33, v36
                                        ; implicit-def: $vgpr35
	s_and_saveexec_b64 s[0:1], vcc
	s_cbranch_execz .LBB2276_63
; %bb.62:
	v_lshlrev_b32_e32 v36, 1, v36
	v_mov_b32_e32 v37, 0
	v_lshl_add_u64 v[2:3], v[2:3], 0, v[36:37]
	flat_load_ushort v35, v[2:3]
.LBB2276_63:
	s_or_b64 exec, exec, s[0:1]
	s_waitcnt vmcnt(0) lgkmcnt(0)
	ds_write_b16 v14, v1
	ds_write_b16 v14, v4 offset:1024
	ds_write_b16 v14, v5 offset:2048
	;; [unrolled: 1-line block ×27, first 2 shown]
	s_waitcnt lgkmcnt(0)
	s_barrier
.LBB2276_64:
	v_mul_u32_u24_e32 v1, 28, v0
	v_lshlrev_b32_e32 v6, 1, v1
	ds_read_b64 v[20:21], v6 offset:48
	ds_read2_b64 v[2:5], v6 offset0:4 offset1:5
	ds_read2_b64 v[10:13], v6 offset1:1
	ds_read2_b64 v[6:9], v6 offset0:2 offset1:3
	s_add_u32 s0, s2, s4
	s_addc_u32 s1, s3, s5
	v_lshl_add_u64 v[22:23], s[0:1], 0, v[18:19]
	s_mov_b64 s[0:1], -1
	s_and_b64 vcc, exec, s[28:29]
	s_waitcnt lgkmcnt(0)
	s_barrier
	s_cbranch_vccz .LBB2276_66
; %bb.65:
	v_mov_b32_e32 v15, 0
	v_readfirstlane_b32 s0, v22
	v_readfirstlane_b32 s1, v23
	v_lshl_add_u64 v[24:25], v[22:23], 0, v[14:15]
	s_nop 3
	global_load_ubyte v15, v14, s[0:1]
	global_load_ubyte v30, v14, s[0:1] offset:1024
	global_load_ubyte v31, v14, s[0:1] offset:2048
	;; [unrolled: 1-line block ×3, first 2 shown]
	s_movk_i32 s0, 0x1000
	v_add_co_u32_e32 v26, vcc, s0, v24
	s_movk_i32 s0, 0x2000
	s_nop 0
	v_addc_co_u32_e32 v27, vcc, 0, v25, vcc
	v_add_co_u32_e32 v28, vcc, s0, v24
	s_movk_i32 s0, 0x3000
	s_nop 0
	v_addc_co_u32_e32 v29, vcc, 0, v25, vcc
	global_load_ubyte v33, v[26:27], off offset:1024
	global_load_ubyte v34, v[26:27], off offset:2048
	;; [unrolled: 1-line block ×3, first 2 shown]
	global_load_ubyte v36, v[28:29], off offset:-4096
	global_load_ubyte v37, v[28:29], off
	global_load_ubyte v38, v[28:29], off offset:1024
	global_load_ubyte v39, v[28:29], off offset:2048
	;; [unrolled: 1-line block ×3, first 2 shown]
	v_add_co_u32_e32 v26, vcc, s0, v24
	s_movk_i32 s0, 0x4000
	s_nop 0
	v_addc_co_u32_e32 v27, vcc, 0, v25, vcc
	v_add_co_u32_e32 v28, vcc, s0, v24
	s_movk_i32 s1, 0x6000
	s_nop 0
	v_addc_co_u32_e32 v29, vcc, 0, v25, vcc
	global_load_ubyte v41, v[28:29], off offset:-4096
	global_load_ubyte v42, v[26:27], off offset:1024
	global_load_ubyte v43, v[26:27], off offset:2048
	;; [unrolled: 1-line block ×3, first 2 shown]
	global_load_ubyte v45, v[28:29], off
	v_add_co_u32_e32 v26, vcc, s1, v24
	s_movk_i32 s0, 0x5000
	s_nop 0
	v_addc_co_u32_e32 v27, vcc, 0, v25, vcc
	v_add_co_u32_e32 v24, vcc, s0, v24
	global_load_ubyte v46, v[28:29], off offset:1024
	global_load_ubyte v47, v[28:29], off offset:2048
	;; [unrolled: 1-line block ×3, first 2 shown]
	global_load_ubyte v49, v[26:27], off offset:-4096
	v_addc_co_u32_e32 v25, vcc, 0, v25, vcc
	global_load_ubyte v28, v[24:25], off offset:1024
	global_load_ubyte v29, v[24:25], off offset:2048
	;; [unrolled: 1-line block ×3, first 2 shown]
	global_load_ubyte v51, v[26:27], off
	global_load_ubyte v52, v[26:27], off offset:1024
	global_load_ubyte v53, v[26:27], off offset:2048
	;; [unrolled: 1-line block ×3, first 2 shown]
	s_mov_b64 s[0:1], 0
	s_waitcnt vmcnt(27)
	v_xor_b32_e32 v15, -1, v15
	s_waitcnt vmcnt(26)
	v_xor_b32_e32 v24, -1, v30
	;; [unrolled: 2-line block ×4, first 2 shown]
	v_and_b32_e32 v15, 1, v15
	v_and_b32_e32 v24, 1, v24
	;; [unrolled: 1-line block ×4, first 2 shown]
	s_waitcnt vmcnt(23)
	v_xor_b32_e32 v30, -1, v33
	s_waitcnt vmcnt(22)
	v_xor_b32_e32 v31, -1, v34
	;; [unrolled: 2-line block ×8, first 2 shown]
	v_and_b32_e32 v27, 1, v27
	v_and_b32_e32 v30, 1, v30
	;; [unrolled: 1-line block ×6, first 2 shown]
	s_waitcnt vmcnt(15)
	v_xor_b32_e32 v37, -1, v41
	s_waitcnt vmcnt(14)
	v_xor_b32_e32 v38, -1, v42
	;; [unrolled: 2-line block ×5, first 2 shown]
	v_and_b32_e32 v35, 1, v35
	v_and_b32_e32 v36, 1, v36
	;; [unrolled: 1-line block ×4, first 2 shown]
	s_waitcnt vmcnt(10)
	v_xor_b32_e32 v42, -1, v46
	s_waitcnt vmcnt(9)
	v_xor_b32_e32 v43, -1, v47
	;; [unrolled: 2-line block ×11, first 2 shown]
	v_and_b32_e32 v39, 1, v39
	v_and_b32_e32 v40, 1, v40
	;; [unrolled: 1-line block ×14, first 2 shown]
	ds_write_b8 v0, v15
	ds_write_b8 v0, v24 offset:512
	ds_write_b8 v0, v25 offset:1024
	;; [unrolled: 1-line block ×27, first 2 shown]
	s_waitcnt lgkmcnt(0)
	s_barrier
.LBB2276_66:
	s_andn2_b64 vcc, exec, s[0:1]
	s_cbranch_vccnz .LBB2276_124
; %bb.67:
	v_cmp_gt_u32_e32 vcc, s33, v0
	v_mov_b32_e32 v15, 0
	v_mov_b32_e32 v24, 0
	s_and_saveexec_b64 s[0:1], vcc
	s_cbranch_execz .LBB2276_69
; %bb.68:
	v_readfirstlane_b32 s2, v22
	v_readfirstlane_b32 s3, v23
	s_nop 4
	global_load_ubyte v24, v14, s[2:3]
	s_waitcnt vmcnt(0)
	v_xor_b32_e32 v24, -1, v24
	v_and_b32_e32 v24, 1, v24
.LBB2276_69:
	s_or_b64 exec, exec, s[0:1]
	v_or_b32_e32 v25, 0x200, v0
	v_cmp_gt_u32_e32 vcc, s33, v25
	s_and_saveexec_b64 s[0:1], vcc
	s_cbranch_execz .LBB2276_71
; %bb.70:
	v_readfirstlane_b32 s2, v22
	v_readfirstlane_b32 s3, v23
	s_nop 4
	global_load_ubyte v15, v14, s[2:3] offset:1024
	s_waitcnt vmcnt(0)
	v_xor_b32_e32 v15, -1, v15
	v_and_b32_e32 v15, 1, v15
.LBB2276_71:
	s_or_b64 exec, exec, s[0:1]
	v_or_b32_e32 v25, 0x400, v0
	v_cmp_gt_u32_e32 vcc, s33, v25
	v_mov_b32_e32 v25, 0
	v_mov_b32_e32 v26, 0
	s_and_saveexec_b64 s[0:1], vcc
	s_cbranch_execz .LBB2276_73
; %bb.72:
	v_readfirstlane_b32 s2, v22
	v_readfirstlane_b32 s3, v23
	s_nop 4
	global_load_ubyte v26, v14, s[2:3] offset:2048
	s_waitcnt vmcnt(0)
	v_xor_b32_e32 v26, -1, v26
	v_and_b32_e32 v26, 1, v26
.LBB2276_73:
	s_or_b64 exec, exec, s[0:1]
	v_or_b32_e32 v27, 0x600, v0
	v_cmp_gt_u32_e32 vcc, s33, v27
	s_and_saveexec_b64 s[0:1], vcc
	s_cbranch_execz .LBB2276_75
; %bb.74:
	v_readfirstlane_b32 s2, v22
	v_readfirstlane_b32 s3, v23
	s_nop 4
	global_load_ubyte v25, v14, s[2:3] offset:3072
	s_waitcnt vmcnt(0)
	v_xor_b32_e32 v25, -1, v25
	v_and_b32_e32 v25, 1, v25
.LBB2276_75:
	s_or_b64 exec, exec, s[0:1]
	v_or_b32_e32 v29, 0x800, v0
	v_cmp_gt_u32_e32 vcc, s33, v29
	v_mov_b32_e32 v27, 0
	v_mov_b32_e32 v28, 0
	s_and_saveexec_b64 s[0:1], vcc
	s_cbranch_execz .LBB2276_77
; %bb.76:
	v_lshlrev_b32_e32 v28, 1, v29
	v_readfirstlane_b32 s2, v22
	v_readfirstlane_b32 s3, v23
	s_nop 4
	global_load_ubyte v28, v28, s[2:3]
	s_waitcnt vmcnt(0)
	v_xor_b32_e32 v28, -1, v28
	v_and_b32_e32 v28, 1, v28
.LBB2276_77:
	s_or_b64 exec, exec, s[0:1]
	v_or_b32_e32 v29, 0xa00, v0
	v_cmp_gt_u32_e32 vcc, s33, v29
	s_and_saveexec_b64 s[0:1], vcc
	s_cbranch_execz .LBB2276_79
; %bb.78:
	v_lshlrev_b32_e32 v27, 1, v29
	v_readfirstlane_b32 s2, v22
	v_readfirstlane_b32 s3, v23
	s_nop 4
	global_load_ubyte v27, v27, s[2:3]
	s_waitcnt vmcnt(0)
	v_xor_b32_e32 v27, -1, v27
	v_and_b32_e32 v27, 1, v27
.LBB2276_79:
	s_or_b64 exec, exec, s[0:1]
	v_or_b32_e32 v31, 0xc00, v0
	v_cmp_gt_u32_e32 vcc, s33, v31
	v_mov_b32_e32 v29, 0
	v_mov_b32_e32 v30, 0
	s_and_saveexec_b64 s[0:1], vcc
	s_cbranch_execz .LBB2276_81
; %bb.80:
	v_lshlrev_b32_e32 v30, 1, v31
	v_readfirstlane_b32 s2, v22
	v_readfirstlane_b32 s3, v23
	s_nop 4
	global_load_ubyte v30, v30, s[2:3]
	s_waitcnt vmcnt(0)
	v_xor_b32_e32 v30, -1, v30
	v_and_b32_e32 v30, 1, v30
.LBB2276_81:
	s_or_b64 exec, exec, s[0:1]
	v_or_b32_e32 v31, 0xe00, v0
	v_cmp_gt_u32_e32 vcc, s33, v31
	s_and_saveexec_b64 s[0:1], vcc
	s_cbranch_execz .LBB2276_83
; %bb.82:
	v_lshlrev_b32_e32 v29, 1, v31
	v_readfirstlane_b32 s2, v22
	v_readfirstlane_b32 s3, v23
	s_nop 4
	global_load_ubyte v29, v29, s[2:3]
	s_waitcnt vmcnt(0)
	v_xor_b32_e32 v29, -1, v29
	v_and_b32_e32 v29, 1, v29
.LBB2276_83:
	;; [unrolled: 32-line block ×12, first 2 shown]
	s_or_b64 exec, exec, s[0:1]
	ds_write_b8 v0, v24
	ds_write_b8 v0, v15 offset:512
	ds_write_b8 v0, v26 offset:1024
	;; [unrolled: 1-line block ×27, first 2 shown]
	s_waitcnt lgkmcnt(0)
	s_barrier
.LBB2276_124:
	ds_read2_b32 v[28:29], v1 offset1:1
	ds_read2_b32 v[26:27], v1 offset0:2 offset1:3
	ds_read2_b32 v[24:25], v1 offset0:4 offset1:5
	ds_read_b32 v38, v1 offset:24
	s_cmp_lg_u32 s40, 0
	v_lshrrev_b32_e32 v65, 6, v0
	s_waitcnt lgkmcnt(2)
	v_and_b32_e32 v57, 0xff, v26
	v_lshrrev_b32_e32 v45, 24, v28
	v_bfe_u32 v63, v28, 16, 8
	v_add_u32_sdwa v22, v28, v28 dst_sel:DWORD dst_unused:UNUSED_PAD src0_sel:BYTE_1 src1_sel:BYTE_0
	v_and_b32_e32 v60, 0xff, v29
	v_bfe_u32 v61, v29, 8, 8
	v_add3_u32 v22, v22, v63, v45
	v_lshrrev_b32_e32 v44, 24, v29
	v_bfe_u32 v62, v29, 16, 8
	v_add3_u32 v22, v22, v60, v61
	v_bfe_u32 v58, v26, 8, 8
	v_add3_u32 v22, v22, v62, v44
	v_lshrrev_b32_e32 v43, 24, v26
	v_bfe_u32 v59, v26, 16, 8
	v_add3_u32 v22, v22, v57, v58
	v_and_b32_e32 v54, 0xff, v27
	v_bfe_u32 v55, v27, 8, 8
	v_add3_u32 v22, v22, v59, v43
	v_lshrrev_b32_e32 v42, 24, v27
	v_bfe_u32 v56, v27, 16, 8
	v_add3_u32 v22, v22, v54, v55
	s_waitcnt lgkmcnt(1)
	v_and_b32_e32 v51, 0xff, v24
	v_bfe_u32 v52, v24, 8, 8
	v_add3_u32 v22, v22, v56, v42
	v_lshrrev_b32_e32 v41, 24, v24
	v_bfe_u32 v53, v24, 16, 8
	v_add3_u32 v22, v22, v51, v52
	v_and_b32_e32 v48, 0xff, v25
	v_bfe_u32 v49, v25, 8, 8
	v_add3_u32 v22, v22, v53, v41
	v_lshrrev_b32_e32 v40, 24, v25
	v_bfe_u32 v50, v25, 16, 8
	v_add3_u32 v22, v22, v48, v49
	s_waitcnt lgkmcnt(0)
	v_and_b32_e32 v46, 0xff, v38
	v_bfe_u32 v47, v38, 8, 8
	v_add3_u32 v22, v22, v50, v40
	v_lshrrev_b32_e32 v15, 24, v38
	v_bfe_u32 v39, v38, 16, 8
	v_add3_u32 v22, v22, v46, v47
	v_add3_u32 v66, v22, v39, v15
	v_mbcnt_lo_u32_b32 v22, -1, 0
	v_mbcnt_hi_u32_b32 v64, -1, v22
	v_and_b32_e32 v22, 15, v64
	v_cmp_eq_u32_e64 s[14:15], 0, v22
	v_cmp_lt_u32_e64 s[12:13], 1, v22
	v_cmp_lt_u32_e64 s[10:11], 3, v22
	;; [unrolled: 1-line block ×3, first 2 shown]
	v_and_b32_e32 v22, 16, v64
	v_cmp_eq_u32_e64 s[6:7], 0, v22
	v_or_b32_e32 v22, 63, v0
	v_cmp_lt_u32_e64 s[2:3], 31, v64
	v_cmp_eq_u32_e64 s[4:5], v22, v0
	s_barrier
	s_cbranch_scc0 .LBB2276_155
; %bb.125:
	v_mov_b32_dpp v22, v66 row_shr:1 row_mask:0xf bank_mask:0xf
	v_cndmask_b32_e64 v22, v22, 0, s[14:15]
	v_add_u32_e32 v22, v22, v66
	s_nop 1
	v_mov_b32_dpp v23, v22 row_shr:2 row_mask:0xf bank_mask:0xf
	v_cndmask_b32_e64 v23, 0, v23, s[12:13]
	v_add_u32_e32 v22, v22, v23
	s_nop 1
	;; [unrolled: 4-line block ×4, first 2 shown]
	v_mov_b32_dpp v23, v22 row_bcast:15 row_mask:0xf bank_mask:0xf
	v_cndmask_b32_e64 v23, v23, 0, s[6:7]
	v_add_u32_e32 v22, v22, v23
	s_nop 1
	v_mov_b32_dpp v23, v22 row_bcast:31 row_mask:0xf bank_mask:0xf
	v_cndmask_b32_e64 v23, 0, v23, s[2:3]
	v_add_u32_e32 v22, v22, v23
	s_and_saveexec_b64 s[0:1], s[4:5]
	s_cbranch_execz .LBB2276_127
; %bb.126:
	v_lshlrev_b32_e32 v23, 2, v65
	ds_write_b32 v23, v22
.LBB2276_127:
	s_or_b64 exec, exec, s[0:1]
	v_cmp_gt_u32_e32 vcc, 8, v0
	s_waitcnt lgkmcnt(0)
	s_barrier
	s_and_saveexec_b64 s[0:1], vcc
	s_cbranch_execz .LBB2276_129
; %bb.128:
	v_lshlrev_b32_e32 v23, 2, v0
	ds_read_b32 v30, v23
	v_and_b32_e32 v31, 7, v64
	v_cmp_ne_u32_e32 vcc, 0, v31
	s_waitcnt lgkmcnt(0)
	v_mov_b32_dpp v32, v30 row_shr:1 row_mask:0xf bank_mask:0xf
	v_cndmask_b32_e32 v32, 0, v32, vcc
	v_add_u32_e32 v30, v32, v30
	v_cmp_lt_u32_e32 vcc, 1, v31
	s_nop 0
	v_mov_b32_dpp v32, v30 row_shr:2 row_mask:0xf bank_mask:0xf
	v_cndmask_b32_e32 v32, 0, v32, vcc
	v_add_u32_e32 v30, v30, v32
	v_cmp_lt_u32_e32 vcc, 3, v31
	s_nop 0
	v_mov_b32_dpp v32, v30 row_shr:4 row_mask:0xf bank_mask:0xf
	v_cndmask_b32_e32 v31, 0, v32, vcc
	v_add_u32_e32 v30, v30, v31
	ds_write_b32 v23, v30
.LBB2276_129:
	s_or_b64 exec, exec, s[0:1]
	v_cmp_gt_u32_e32 vcc, 64, v0
	v_cmp_lt_u32_e64 s[0:1], 63, v0
	s_waitcnt lgkmcnt(0)
	s_barrier
	s_waitcnt lgkmcnt(0)
                                        ; implicit-def: $vgpr67
	s_and_saveexec_b64 s[16:17], s[0:1]
	s_cbranch_execz .LBB2276_131
; %bb.130:
	v_lshl_add_u32 v23, v65, 2, -4
	ds_read_b32 v67, v23
	s_waitcnt lgkmcnt(0)
	v_add_u32_e32 v22, v67, v22
.LBB2276_131:
	s_or_b64 exec, exec, s[16:17]
	v_add_u32_e32 v23, -1, v64
	v_and_b32_e32 v30, 64, v64
	v_cmp_lt_i32_e64 s[0:1], v23, v30
	v_cmp_eq_u32_e64 s[16:17], 0, v64
	s_nop 0
	v_cndmask_b32_e64 v23, v23, v64, s[0:1]
	v_lshlrev_b32_e32 v23, 2, v23
	ds_bpermute_b32 v68, v23, v22
	s_and_saveexec_b64 s[0:1], vcc
	s_cbranch_execz .LBB2276_154
; %bb.132:
	v_mov_b32_e32 v37, 0
	ds_read_b32 v22, v37 offset:28
	s_and_saveexec_b64 s[36:37], s[16:17]
	s_cbranch_execz .LBB2276_134
; %bb.133:
	s_add_i32 s38, s40, 64
	s_mov_b32 s39, 0
	s_lshl_b64 s[38:39], s[38:39], 3
	s_add_u32 s38, s34, s38
	v_mov_b32_e32 v23, 1
	s_addc_u32 s39, s35, s39
	s_waitcnt lgkmcnt(0)
	global_store_dwordx2 v37, v[22:23], s[38:39] sc1
.LBB2276_134:
	s_or_b64 exec, exec, s[36:37]
	v_xad_u32 v30, v64, -1, s40
	v_add_u32_e32 v36, 64, v30
	v_lshl_add_u64 v[32:33], v[36:37], 3, s[34:35]
	global_load_dwordx2 v[34:35], v[32:33], off sc1
	s_waitcnt vmcnt(0)
	v_cmp_eq_u16_sdwa s[38:39], v35, v37 src0_sel:BYTE_0 src1_sel:DWORD
	s_and_saveexec_b64 s[36:37], s[38:39]
	s_cbranch_execz .LBB2276_140
; %bb.135:
	s_mov_b32 s41, 1
	s_mov_b64 s[38:39], 0
	v_mov_b32_e32 v23, 0
.LBB2276_136:                           ; =>This Loop Header: Depth=1
                                        ;     Child Loop BB2276_137 Depth 2
	s_max_u32 s42, s41, 1
.LBB2276_137:                           ;   Parent Loop BB2276_136 Depth=1
                                        ; =>  This Inner Loop Header: Depth=2
	s_add_i32 s42, s42, -1
	s_cmp_eq_u32 s42, 0
	s_sleep 1
	s_cbranch_scc0 .LBB2276_137
; %bb.138:                              ;   in Loop: Header=BB2276_136 Depth=1
	global_load_dwordx2 v[34:35], v[32:33], off sc1
	s_cmp_lt_u32 s41, 32
	s_cselect_b64 s[42:43], -1, 0
	s_cmp_lg_u64 s[42:43], 0
	s_addc_u32 s41, s41, 0
	s_waitcnt vmcnt(0)
	v_cmp_ne_u16_sdwa s[42:43], v35, v23 src0_sel:BYTE_0 src1_sel:DWORD
	s_or_b64 s[38:39], s[42:43], s[38:39]
	s_andn2_b64 exec, exec, s[38:39]
	s_cbranch_execnz .LBB2276_136
; %bb.139:
	s_or_b64 exec, exec, s[38:39]
.LBB2276_140:
	s_or_b64 exec, exec, s[36:37]
	v_and_b32_e32 v70, 63, v64
	v_mov_b32_e32 v69, 2
	v_cmp_ne_u32_e32 vcc, 63, v70
	v_cmp_eq_u16_sdwa s[36:37], v35, v69 src0_sel:BYTE_0 src1_sel:DWORD
	v_lshlrev_b64 v[32:33], v64, -1
	v_addc_co_u32_e32 v36, vcc, 0, v64, vcc
	v_and_b32_e32 v23, s37, v33
	v_lshlrev_b32_e32 v71, 2, v36
	v_or_b32_e32 v23, 0x80000000, v23
	ds_bpermute_b32 v36, v71, v34
	v_and_b32_e32 v31, s36, v32
	v_ffbl_b32_e32 v23, v23
	v_add_u32_e32 v23, 32, v23
	v_ffbl_b32_e32 v31, v31
	v_min_u32_e32 v23, v31, v23
	v_cmp_lt_u32_e32 vcc, v70, v23
	v_add_u32_e32 v73, 2, v70
	v_add_u32_e32 v75, 4, v70
	s_waitcnt lgkmcnt(0)
	v_cndmask_b32_e32 v31, 0, v36, vcc
	v_cmp_gt_u32_e32 vcc, 62, v70
	v_add_u32_e32 v31, v31, v34
	v_add_u32_e32 v77, 8, v70
	v_cndmask_b32_e64 v34, 0, 1, vcc
	v_lshlrev_b32_e32 v34, 1, v34
	v_add_lshl_u32 v72, v34, v64, 2
	ds_bpermute_b32 v34, v72, v31
	v_cmp_le_u32_e32 vcc, v73, v23
	v_add_u32_e32 v79, 16, v70
	v_add_u32_e32 v81, 32, v70
	s_waitcnt lgkmcnt(0)
	v_cndmask_b32_e32 v34, 0, v34, vcc
	v_cmp_gt_u32_e32 vcc, 60, v70
	v_add_u32_e32 v31, v31, v34
	s_nop 0
	v_cndmask_b32_e64 v34, 0, 1, vcc
	v_lshlrev_b32_e32 v34, 2, v34
	v_add_lshl_u32 v74, v34, v64, 2
	ds_bpermute_b32 v34, v74, v31
	v_cmp_le_u32_e32 vcc, v75, v23
	s_waitcnt lgkmcnt(0)
	s_nop 0
	v_cndmask_b32_e32 v34, 0, v34, vcc
	v_cmp_gt_u32_e32 vcc, 56, v70
	v_add_u32_e32 v31, v31, v34
	s_nop 0
	v_cndmask_b32_e64 v34, 0, 1, vcc
	v_lshlrev_b32_e32 v34, 3, v34
	v_add_lshl_u32 v76, v34, v64, 2
	ds_bpermute_b32 v34, v76, v31
	v_cmp_le_u32_e32 vcc, v77, v23
	s_waitcnt lgkmcnt(0)
	s_nop 0
	;; [unrolled: 11-line block ×4, first 2 shown]
	v_cndmask_b32_e32 v23, 0, v34, vcc
	v_add_u32_e32 v34, v31, v23
	v_mov_b32_e32 v31, 0
	s_branch .LBB2276_142
.LBB2276_141:                           ;   in Loop: Header=BB2276_142 Depth=1
	s_or_b64 exec, exec, s[36:37]
	v_cmp_eq_u16_sdwa s[36:37], v35, v69 src0_sel:BYTE_0 src1_sel:DWORD
	ds_bpermute_b32 v82, v71, v34
	v_subrev_u32_e32 v30, 64, v30
	v_and_b32_e32 v36, s37, v33
	v_or_b32_e32 v36, 0x80000000, v36
	v_and_b32_e32 v37, s36, v32
	v_ffbl_b32_e32 v36, v36
	v_add_u32_e32 v36, 32, v36
	v_ffbl_b32_e32 v37, v37
	v_min_u32_e32 v36, v37, v36
	v_cmp_lt_u32_e32 vcc, v70, v36
	s_waitcnt lgkmcnt(0)
	s_nop 0
	v_cndmask_b32_e32 v37, 0, v82, vcc
	v_add_u32_e32 v34, v37, v34
	ds_bpermute_b32 v37, v72, v34
	v_cmp_le_u32_e32 vcc, v73, v36
	s_waitcnt lgkmcnt(0)
	s_nop 0
	v_cndmask_b32_e32 v37, 0, v37, vcc
	v_add_u32_e32 v34, v34, v37
	ds_bpermute_b32 v37, v74, v34
	v_cmp_le_u32_e32 vcc, v75, v36
	;; [unrolled: 6-line block ×5, first 2 shown]
	s_waitcnt lgkmcnt(0)
	s_nop 0
	v_cndmask_b32_e32 v36, 0, v37, vcc
	v_add3_u32 v34, v36, v23, v34
.LBB2276_142:                           ; =>This Loop Header: Depth=1
                                        ;     Child Loop BB2276_145 Depth 2
                                        ;       Child Loop BB2276_146 Depth 3
	v_cmp_ne_u16_sdwa s[36:37], v35, v69 src0_sel:BYTE_0 src1_sel:DWORD
	s_nop 1
	v_cndmask_b32_e64 v23, 0, 1, s[36:37]
	;;#ASMSTART
	;;#ASMEND
	s_nop 0
	v_cmp_ne_u32_e32 vcc, 0, v23
	s_cmp_lg_u64 vcc, exec
	v_mov_b32_e32 v23, v34
	s_cbranch_scc1 .LBB2276_149
; %bb.143:                              ;   in Loop: Header=BB2276_142 Depth=1
	v_lshl_add_u64 v[36:37], v[30:31], 3, s[34:35]
	global_load_dwordx2 v[34:35], v[36:37], off sc1
	s_waitcnt vmcnt(0)
	v_cmp_eq_u16_sdwa s[38:39], v35, v31 src0_sel:BYTE_0 src1_sel:DWORD
	s_and_saveexec_b64 s[36:37], s[38:39]
	s_cbranch_execz .LBB2276_141
; %bb.144:                              ;   in Loop: Header=BB2276_142 Depth=1
	s_mov_b32 s41, 1
	s_mov_b64 s[38:39], 0
.LBB2276_145:                           ;   Parent Loop BB2276_142 Depth=1
                                        ; =>  This Loop Header: Depth=2
                                        ;       Child Loop BB2276_146 Depth 3
	s_max_u32 s42, s41, 1
.LBB2276_146:                           ;   Parent Loop BB2276_142 Depth=1
                                        ;     Parent Loop BB2276_145 Depth=2
                                        ; =>    This Inner Loop Header: Depth=3
	s_add_i32 s42, s42, -1
	s_cmp_eq_u32 s42, 0
	s_sleep 1
	s_cbranch_scc0 .LBB2276_146
; %bb.147:                              ;   in Loop: Header=BB2276_145 Depth=2
	global_load_dwordx2 v[34:35], v[36:37], off sc1
	s_cmp_lt_u32 s41, 32
	s_cselect_b64 s[42:43], -1, 0
	s_cmp_lg_u64 s[42:43], 0
	s_addc_u32 s41, s41, 0
	s_waitcnt vmcnt(0)
	v_cmp_ne_u16_sdwa s[42:43], v35, v31 src0_sel:BYTE_0 src1_sel:DWORD
	s_or_b64 s[38:39], s[42:43], s[38:39]
	s_andn2_b64 exec, exec, s[38:39]
	s_cbranch_execnz .LBB2276_145
; %bb.148:                              ;   in Loop: Header=BB2276_142 Depth=1
	s_or_b64 exec, exec, s[38:39]
	s_branch .LBB2276_141
.LBB2276_149:                           ;   in Loop: Header=BB2276_142 Depth=1
                                        ; implicit-def: $vgpr34
                                        ; implicit-def: $vgpr35
	s_cbranch_execz .LBB2276_142
; %bb.150:
	s_and_saveexec_b64 s[36:37], s[16:17]
	s_cbranch_execz .LBB2276_152
; %bb.151:
	s_add_i32 s38, s40, 64
	s_mov_b32 s39, 0
	s_lshl_b64 s[38:39], s[38:39], 3
	s_add_u32 s38, s34, s38
	v_add_u32_e32 v30, v23, v22
	v_mov_b32_e32 v31, 2
	s_addc_u32 s39, s35, s39
	v_mov_b32_e32 v32, 0
	global_store_dwordx2 v32, v[30:31], s[38:39] sc1
	ds_write_b64 v32, v[22:23] offset:28672
.LBB2276_152:
	s_or_b64 exec, exec, s[36:37]
	s_and_b64 exec, exec, s[18:19]
	s_cbranch_execz .LBB2276_154
; %bb.153:
	v_mov_b32_e32 v22, 0
	ds_write_b32 v22, v23 offset:28
.LBB2276_154:
	s_or_b64 exec, exec, s[0:1]
	v_mov_b32_e32 v22, 0
	s_waitcnt lgkmcnt(0)
	s_barrier
	ds_read_b32 v30, v22 offset:28
	s_waitcnt lgkmcnt(0)
	s_barrier
	ds_read_b64 v[22:23], v22 offset:28672
	v_cndmask_b32_e64 v31, v68, v67, s[16:17]
	v_cndmask_b32_e64 v31, v31, 0, s[18:19]
	v_add_u32_e32 v36, v30, v31
	s_waitcnt lgkmcnt(0)
	v_mov_b32_e32 v30, v23
	s_branch .LBB2276_165
.LBB2276_155:
                                        ; implicit-def: $vgpr30
                                        ; implicit-def: $vgpr22
                                        ; implicit-def: $vgpr36
	s_cbranch_execz .LBB2276_165
; %bb.156:
	s_nop 0
	v_mov_b32_dpp v22, v66 row_shr:1 row_mask:0xf bank_mask:0xf
	v_cndmask_b32_e64 v22, v22, 0, s[14:15]
	v_add_u32_e32 v22, v22, v66
	s_nop 1
	v_mov_b32_dpp v23, v22 row_shr:2 row_mask:0xf bank_mask:0xf
	v_cndmask_b32_e64 v23, 0, v23, s[12:13]
	v_add_u32_e32 v22, v22, v23
	;; [unrolled: 4-line block ×4, first 2 shown]
	s_nop 1
	v_mov_b32_dpp v23, v22 row_bcast:15 row_mask:0xf bank_mask:0xf
	v_cndmask_b32_e64 v23, v23, 0, s[6:7]
	v_add_u32_e32 v22, v22, v23
	s_nop 1
	v_mov_b32_dpp v23, v22 row_bcast:31 row_mask:0xf bank_mask:0xf
	v_cndmask_b32_e64 v23, 0, v23, s[2:3]
	v_add_u32_e32 v22, v22, v23
	s_and_saveexec_b64 s[0:1], s[4:5]
	s_cbranch_execz .LBB2276_158
; %bb.157:
	v_lshlrev_b32_e32 v23, 2, v65
	ds_write_b32 v23, v22
.LBB2276_158:
	s_or_b64 exec, exec, s[0:1]
	v_cmp_gt_u32_e32 vcc, 8, v0
	s_waitcnt lgkmcnt(0)
	s_barrier
	s_and_saveexec_b64 s[0:1], vcc
	s_cbranch_execz .LBB2276_160
; %bb.159:
	v_lshlrev_b32_e32 v23, 2, v0
	ds_read_b32 v30, v23
	v_and_b32_e32 v31, 7, v64
	v_cmp_ne_u32_e32 vcc, 0, v31
	s_waitcnt lgkmcnt(0)
	v_mov_b32_dpp v32, v30 row_shr:1 row_mask:0xf bank_mask:0xf
	v_cndmask_b32_e32 v32, 0, v32, vcc
	v_add_u32_e32 v30, v32, v30
	v_cmp_lt_u32_e32 vcc, 1, v31
	s_nop 0
	v_mov_b32_dpp v32, v30 row_shr:2 row_mask:0xf bank_mask:0xf
	v_cndmask_b32_e32 v32, 0, v32, vcc
	v_add_u32_e32 v30, v30, v32
	v_cmp_lt_u32_e32 vcc, 3, v31
	s_nop 0
	v_mov_b32_dpp v32, v30 row_shr:4 row_mask:0xf bank_mask:0xf
	v_cndmask_b32_e32 v31, 0, v32, vcc
	v_add_u32_e32 v30, v30, v31
	ds_write_b32 v23, v30
.LBB2276_160:
	s_or_b64 exec, exec, s[0:1]
	v_cmp_lt_u32_e32 vcc, 63, v0
	v_mov_b32_e32 v23, 0
	v_mov_b32_e32 v30, 0
	s_waitcnt lgkmcnt(0)
	s_barrier
	s_and_saveexec_b64 s[0:1], vcc
	s_cbranch_execz .LBB2276_162
; %bb.161:
	v_lshl_add_u32 v30, v65, 2, -4
	ds_read_b32 v30, v30
.LBB2276_162:
	s_or_b64 exec, exec, s[0:1]
	v_add_u32_e32 v31, -1, v64
	v_and_b32_e32 v32, 64, v64
	v_cmp_lt_i32_e32 vcc, v31, v32
	s_waitcnt lgkmcnt(0)
	v_add_u32_e32 v22, v30, v22
	v_cndmask_b32_e32 v31, v31, v64, vcc
	v_lshlrev_b32_e32 v31, 2, v31
	ds_bpermute_b32 v31, v31, v22
	ds_read_b32 v22, v23 offset:28
	s_and_saveexec_b64 s[0:1], s[18:19]
	s_cbranch_execz .LBB2276_164
; %bb.163:
	v_mov_b32_e32 v32, 0
	v_mov_b32_e32 v23, 2
	s_waitcnt lgkmcnt(0)
	global_store_dwordx2 v32, v[22:23], s[34:35] offset:512 sc1
.LBB2276_164:
	s_or_b64 exec, exec, s[0:1]
	v_cmp_eq_u32_e32 vcc, 0, v64
	s_waitcnt lgkmcnt(0)
	s_barrier
	v_cndmask_b32_e32 v23, v31, v30, vcc
	v_mov_b32_e32 v30, 0
	v_cndmask_b32_e64 v36, v23, 0, s[18:19]
.LBB2276_165:
	v_add_u32_sdwa v64, v36, v28 dst_sel:DWORD dst_unused:UNUSED_PAD src0_sel:DWORD src1_sel:BYTE_0
	v_add_u32_e32 v1, v22, v1
	v_sub_u32_e32 v36, v36, v30
	v_and_b32_e32 v73, 1, v28
	v_sub_u32_e32 v72, v1, v36
	v_cmp_eq_u32_e32 vcc, 1, v73
	v_lshrrev_b32_e32 v37, 8, v28
	v_add_u32_sdwa v65, v64, v28 dst_sel:DWORD dst_unused:UNUSED_PAD src0_sel:DWORD src1_sel:BYTE_1
	v_cndmask_b32_e32 v36, v72, v36, vcc
	v_lshlrev_b32_e32 v36, 1, v36
	ds_write_b16 v36, v10
	v_sub_u32_e32 v36, v64, v30
	v_sub_u32_e32 v64, v1, v36
	v_and_b32_e32 v37, 1, v37
	v_add_u32_e32 v64, 1, v64
	v_cmp_eq_u32_e32 vcc, 1, v37
	v_mov_b32_e32 v37, 1
	v_and_b32_sdwa v28, v37, v28 dst_sel:DWORD dst_unused:UNUSED_PAD src0_sel:DWORD src1_sel:WORD_1
	v_cndmask_b32_e32 v36, v64, v36, vcc
	v_lshlrev_b32_e32 v36, 1, v36
	ds_write_b16_d16_hi v36, v10
	v_sub_u32_e32 v10, v65, v30
	v_sub_u32_e32 v36, v1, v10
	v_add_u32_e32 v36, 2, v36
	v_cmp_eq_u32_e32 vcc, 1, v28
	v_add_u32_e32 v63, v65, v63
	v_add_u32_e32 v66, v63, v45
	v_cndmask_b32_e32 v10, v36, v10, vcc
	v_lshlrev_b32_e32 v10, 1, v10
	ds_write_b16 v10, v11
	v_sub_u32_e32 v10, v63, v30
	v_sub_u32_e32 v28, v1, v10
	v_and_b32_e32 v36, 1, v45
	v_add_u32_e32 v28, 3, v28
	v_cmp_eq_u32_e32 vcc, 1, v36
	v_add_u32_e32 v60, v66, v60
	v_lshrrev_b32_e32 v35, 8, v29
	v_cndmask_b32_e32 v10, v28, v10, vcc
	v_lshlrev_b32_e32 v10, 1, v10
	ds_write_b16_d16_hi v10, v11
	v_sub_u32_e32 v10, v66, v30
	v_sub_u32_e32 v11, v1, v10
	v_and_b32_e32 v28, 1, v29
	v_add_u32_e32 v11, 4, v11
	v_cmp_eq_u32_e32 vcc, 1, v28
	v_and_b32_e32 v28, 1, v35
	v_add_u32_e32 v61, v60, v61
	v_cndmask_b32_e32 v10, v11, v10, vcc
	v_lshlrev_b32_e32 v10, 1, v10
	ds_write_b16 v10, v12
	v_sub_u32_e32 v10, v60, v30
	v_sub_u32_e32 v11, v1, v10
	v_add_u32_e32 v11, 5, v11
	v_cmp_eq_u32_e32 vcc, 1, v28
	v_add_u32_e32 v62, v61, v62
	v_add_u32_e32 v67, v62, v44
	v_cndmask_b32_e32 v10, v11, v10, vcc
	v_lshlrev_b32_e32 v10, 1, v10
	ds_write_b16_d16_hi v10, v12
	v_sub_u32_e32 v10, v61, v30
	v_sub_u32_e32 v11, v1, v10
	v_and_b32_sdwa v12, v37, v29 dst_sel:DWORD dst_unused:UNUSED_PAD src0_sel:DWORD src1_sel:WORD_1
	v_add_u32_e32 v11, 6, v11
	v_cmp_eq_u32_e32 vcc, 1, v12
	v_and_b32_e32 v12, 1, v44
	v_add_u32_e32 v57, v67, v57
	v_cndmask_b32_e32 v10, v11, v10, vcc
	v_lshlrev_b32_e32 v10, 1, v10
	ds_write_b16 v10, v13
	v_sub_u32_e32 v10, v62, v30
	v_sub_u32_e32 v11, v1, v10
	v_add_u32_e32 v11, 7, v11
	v_cmp_eq_u32_e32 vcc, 1, v12
	v_and_b32_e32 v12, 1, v26
	v_lshrrev_b32_e32 v34, 8, v26
	v_cndmask_b32_e32 v10, v11, v10, vcc
	v_lshlrev_b32_e32 v10, 1, v10
	ds_write_b16_d16_hi v10, v13
	v_sub_u32_e32 v10, v67, v30
	v_sub_u32_e32 v11, v1, v10
	v_add_u32_e32 v11, 8, v11
	v_cmp_eq_u32_e32 vcc, 1, v12
	v_and_b32_e32 v12, 1, v34
	v_add_u32_e32 v58, v57, v58
	v_cndmask_b32_e32 v10, v11, v10, vcc
	v_lshlrev_b32_e32 v10, 1, v10
	ds_write_b16 v10, v6
	v_sub_u32_e32 v10, v57, v30
	v_sub_u32_e32 v11, v1, v10
	v_add_u32_e32 v11, 9, v11
	v_cmp_eq_u32_e32 vcc, 1, v12
	v_add_u32_e32 v59, v58, v59
	v_add_u32_e32 v68, v59, v43
	v_cndmask_b32_e32 v10, v11, v10, vcc
	v_lshlrev_b32_e32 v10, 1, v10
	ds_write_b16_d16_hi v10, v6
	v_sub_u32_e32 v6, v58, v30
	v_sub_u32_e32 v10, v1, v6
	v_and_b32_sdwa v11, v37, v26 dst_sel:DWORD dst_unused:UNUSED_PAD src0_sel:DWORD src1_sel:WORD_1
	v_add_u32_e32 v10, 10, v10
	v_cmp_eq_u32_e32 vcc, 1, v11
	v_and_b32_e32 v11, 1, v43
	v_add_u32_e32 v54, v68, v54
	v_cndmask_b32_e32 v6, v10, v6, vcc
	v_lshlrev_b32_e32 v6, 1, v6
	ds_write_b16 v6, v7
	v_sub_u32_e32 v6, v59, v30
	v_sub_u32_e32 v10, v1, v6
	v_add_u32_e32 v10, 11, v10
	v_cmp_eq_u32_e32 vcc, 1, v11
	v_lshrrev_b32_e32 v33, 8, v27
	v_add_u32_e32 v55, v54, v55
	v_cndmask_b32_e32 v6, v10, v6, vcc
	v_lshlrev_b32_e32 v6, 1, v6
	ds_write_b16_d16_hi v6, v7
	v_sub_u32_e32 v6, v68, v30
	v_sub_u32_e32 v7, v1, v6
	v_and_b32_e32 v10, 1, v27
	v_add_u32_e32 v7, 12, v7
	v_cmp_eq_u32_e32 vcc, 1, v10
	v_and_b32_e32 v10, 1, v33
	v_add_u32_e32 v56, v55, v56
	v_cndmask_b32_e32 v6, v7, v6, vcc
	v_lshlrev_b32_e32 v6, 1, v6
	ds_write_b16 v6, v8
	v_sub_u32_e32 v6, v54, v30
	v_sub_u32_e32 v7, v1, v6
	v_add_u32_e32 v7, 13, v7
	v_cmp_eq_u32_e32 vcc, 1, v10
	v_add_u32_e32 v69, v56, v42
	v_add_u32_e32 v51, v69, v51
	v_cndmask_b32_e32 v6, v7, v6, vcc
	v_lshlrev_b32_e32 v6, 1, v6
	ds_write_b16_d16_hi v6, v8
	v_sub_u32_e32 v6, v55, v30
	v_sub_u32_e32 v7, v1, v6
	v_and_b32_sdwa v8, v37, v27 dst_sel:DWORD dst_unused:UNUSED_PAD src0_sel:DWORD src1_sel:WORD_1
	v_add_u32_e32 v7, 14, v7
	v_cmp_eq_u32_e32 vcc, 1, v8
	v_and_b32_e32 v8, 1, v42
	v_lshrrev_b32_e32 v32, 8, v24
	v_cndmask_b32_e32 v6, v7, v6, vcc
	v_lshlrev_b32_e32 v6, 1, v6
	ds_write_b16 v6, v9
	v_sub_u32_e32 v6, v56, v30
	v_sub_u32_e32 v7, v1, v6
	v_add_u32_e32 v7, 15, v7
	v_cmp_eq_u32_e32 vcc, 1, v8
	v_and_b32_e32 v8, 1, v24
	v_add_u32_e32 v52, v51, v52
	v_cndmask_b32_e32 v6, v7, v6, vcc
	v_lshlrev_b32_e32 v6, 1, v6
	ds_write_b16_d16_hi v6, v9
	v_sub_u32_e32 v6, v69, v30
	v_sub_u32_e32 v7, v1, v6
	v_add_u32_e32 v7, 16, v7
	v_cmp_eq_u32_e32 vcc, 1, v8
	v_and_b32_e32 v8, 1, v32
	v_add_u32_e32 v53, v52, v53
	v_cndmask_b32_e32 v6, v7, v6, vcc
	v_lshlrev_b32_e32 v6, 1, v6
	ds_write_b16 v6, v2
	v_sub_u32_e32 v6, v51, v30
	v_sub_u32_e32 v7, v1, v6
	v_add_u32_e32 v7, 17, v7
	v_cmp_eq_u32_e32 vcc, 1, v8
	v_add_u32_e32 v70, v53, v41
	v_add_u32_e32 v48, v70, v48
	v_cndmask_b32_e32 v6, v7, v6, vcc
	v_lshlrev_b32_e32 v6, 1, v6
	ds_write_b16_d16_hi v6, v2
	v_sub_u32_e32 v2, v52, v30
	v_sub_u32_e32 v6, v1, v2
	v_and_b32_sdwa v7, v37, v24 dst_sel:DWORD dst_unused:UNUSED_PAD src0_sel:DWORD src1_sel:WORD_1
	v_add_u32_e32 v6, 18, v6
	v_cmp_eq_u32_e32 vcc, 1, v7
	v_and_b32_e32 v7, 1, v41
	v_lshrrev_b32_e32 v31, 8, v25
	v_cndmask_b32_e32 v2, v6, v2, vcc
	v_lshlrev_b32_e32 v2, 1, v2
	ds_write_b16 v2, v3
	v_sub_u32_e32 v2, v53, v30
	v_sub_u32_e32 v6, v1, v2
	v_add_u32_e32 v6, 19, v6
	v_cmp_eq_u32_e32 vcc, 1, v7
	v_add_u32_e32 v49, v48, v49
	v_add_u32_e32 v50, v49, v50
	v_cndmask_b32_e32 v2, v6, v2, vcc
	v_lshlrev_b32_e32 v2, 1, v2
	ds_write_b16_d16_hi v2, v3
	v_sub_u32_e32 v2, v70, v30
	v_sub_u32_e32 v3, v1, v2
	v_and_b32_e32 v6, 1, v25
	v_add_u32_e32 v3, 20, v3
	v_cmp_eq_u32_e32 vcc, 1, v6
	v_and_b32_e32 v6, 1, v31
	v_add_u32_e32 v71, v50, v40
	v_cndmask_b32_e32 v2, v3, v2, vcc
	v_lshlrev_b32_e32 v2, 1, v2
	ds_write_b16 v2, v4
	v_sub_u32_e32 v2, v48, v30
	v_sub_u32_e32 v3, v1, v2
	v_add_u32_e32 v3, 21, v3
	v_cmp_eq_u32_e32 vcc, 1, v6
	v_add_u32_e32 v46, v71, v46
	v_lshrrev_b32_e32 v23, 8, v38
	v_cndmask_b32_e32 v2, v3, v2, vcc
	v_lshlrev_b32_e32 v2, 1, v2
	ds_write_b16_d16_hi v2, v4
	v_sub_u32_e32 v2, v49, v30
	v_sub_u32_e32 v3, v1, v2
	v_and_b32_sdwa v4, v37, v25 dst_sel:DWORD dst_unused:UNUSED_PAD src0_sel:DWORD src1_sel:WORD_1
	v_add_u32_e32 v3, 22, v3
	v_cmp_eq_u32_e32 vcc, 1, v4
	v_and_b32_e32 v4, 1, v40
	v_add_u32_e32 v47, v46, v47
	v_cndmask_b32_e32 v2, v3, v2, vcc
	v_lshlrev_b32_e32 v2, 1, v2
	ds_write_b16 v2, v5
	v_sub_u32_e32 v2, v50, v30
	v_sub_u32_e32 v3, v1, v2
	v_add_u32_e32 v3, 23, v3
	v_cmp_eq_u32_e32 vcc, 1, v4
	v_and_b32_e32 v4, 1, v38
	v_mov_b32_e32 v31, 0
	v_cndmask_b32_e32 v2, v3, v2, vcc
	v_lshlrev_b32_e32 v2, 1, v2
	ds_write_b16_d16_hi v2, v5
	v_sub_u32_e32 v2, v71, v30
	v_sub_u32_e32 v3, v1, v2
	v_add_u32_e32 v3, 24, v3
	v_cmp_eq_u32_e32 vcc, 1, v4
	v_and_b32_e32 v4, 1, v23
	s_waitcnt vmcnt(0)
	v_lshl_add_u64 v[6:7], v[16:17], 0, v[30:31]
	v_cndmask_b32_e32 v2, v3, v2, vcc
	v_lshlrev_b32_e32 v2, 1, v2
	ds_write_b16 v2, v20
	v_sub_u32_e32 v2, v46, v30
	v_sub_u32_e32 v3, v1, v2
	v_add_u32_e32 v3, 25, v3
	v_cmp_eq_u32_e32 vcc, 1, v4
	v_and_b32_sdwa v4, v37, v38 dst_sel:DWORD dst_unused:UNUSED_PAD src0_sel:DWORD src1_sel:WORD_1
	v_mov_b32_e32 v23, v31
	v_cndmask_b32_e32 v2, v3, v2, vcc
	v_lshlrev_b32_e32 v2, 1, v2
	ds_write_b16_d16_hi v2, v20
	v_sub_u32_e32 v2, v47, v30
	v_sub_u32_e32 v3, v1, v2
	v_add_u32_e32 v3, 26, v3
	v_cmp_eq_u32_e32 vcc, 1, v4
	v_mov_b32_e32 v5, s31
	v_or_b32_e32 v69, 0x200, v0
	v_cndmask_b32_e32 v2, v3, v2, vcc
	v_lshlrev_b32_e32 v2, 1, v2
	ds_write_b16 v2, v21
	v_sub_u32_e32 v2, v39, v30
	v_add_u32_e32 v2, v47, v2
	v_sub_u32_e32 v1, v1, v2
	v_and_b32_e32 v3, 1, v15
	v_add_u32_e32 v1, 27, v1
	v_cmp_eq_u32_e32 vcc, 1, v3
	v_or_b32_e32 v67, 0x400, v0
	v_or_b32_e32 v65, 0x600, v0
	v_cndmask_b32_e32 v1, v1, v2, vcc
	v_lshlrev_b32_e32 v1, 1, v1
	ds_write_b16_d16_hi v1, v21
	s_waitcnt lgkmcnt(0)
	s_barrier
	ds_read_u16 v71, v14
	ds_read_u16 v70, v14 offset:1024
	ds_read_u16 v68, v14 offset:2048
	;; [unrolled: 1-line block ×27, first 2 shown]
	v_lshl_add_u64 v[2:3], v[6:7], 0, v[22:23]
	v_sub_co_u32_e32 v4, vcc, s30, v2
	v_lshlrev_b64 v[6:7], 1, v[6:7]
	s_nop 0
	v_subb_co_u32_e32 v5, vcc, v5, v3, vcc
	v_lshlrev_b64 v[4:5], 1, v[4:5]
	v_lshl_add_u64 v[4:5], s[26:27], 0, v[4:5]
	v_or_b32_e32 v63, 0x800, v0
	v_or_b32_e32 v61, 0xa00, v0
	;; [unrolled: 1-line block ×24, first 2 shown]
	v_lshl_add_u64 v[4:5], v[4:5], 0, v[18:19]
	s_andn2_b64 vcc, exec, s[28:29]
	v_lshl_add_u64 v[6:7], s[24:25], 0, v[6:7]
	s_cbranch_vccnz .LBB2276_167
; %bb.166:
	v_cmp_lt_u32_e32 vcc, v0, v22
	v_mov_b32_e32 v15, v31
	v_lshlrev_b32_e32 v30, 1, v63
	v_cndmask_b32_e32 v17, v5, v7, vcc
	v_cndmask_b32_e32 v16, v4, v6, vcc
	v_lshl_add_u64 v[16:17], v[16:17], 0, v[14:15]
	v_cmp_lt_u32_e32 vcc, v69, v22
	s_waitcnt lgkmcnt(14)
	global_store_short v[16:17], v71, off
	v_cndmask_b32_e32 v17, v5, v7, vcc
	v_cndmask_b32_e32 v16, v4, v6, vcc
	v_lshl_add_u64 v[16:17], v[16:17], 0, v[14:15]
	v_cmp_lt_u32_e32 vcc, v67, v22
	global_store_short v[16:17], v70, off offset:1024
	s_mov_b64 s[0:1], -1
	v_cndmask_b32_e32 v17, v5, v7, vcc
	v_cndmask_b32_e32 v16, v4, v6, vcc
	v_lshl_add_u64 v[16:17], v[16:17], 0, v[14:15]
	v_cmp_lt_u32_e32 vcc, v65, v22
	global_store_short v[16:17], v68, off offset:2048
	s_nop 0
	v_cndmask_b32_e32 v17, v5, v7, vcc
	v_cndmask_b32_e32 v16, v4, v6, vcc
	v_lshl_add_u64 v[16:17], v[16:17], 0, v[14:15]
	v_cmp_lt_u32_e32 vcc, v63, v22
	global_store_short v[16:17], v66, off offset:3072
	s_nop 0
	v_cndmask_b32_e32 v17, v5, v7, vcc
	v_cndmask_b32_e32 v16, v4, v6, vcc
	v_lshl_add_u64 v[16:17], v[16:17], 0, v[30:31]
	v_cmp_lt_u32_e32 vcc, v61, v22
	global_store_short v[16:17], v64, off
	v_lshlrev_b32_e32 v30, 1, v61
	v_cndmask_b32_e32 v17, v5, v7, vcc
	v_cndmask_b32_e32 v16, v4, v6, vcc
	v_lshl_add_u64 v[16:17], v[16:17], 0, v[30:31]
	v_cmp_lt_u32_e32 vcc, v59, v22
	global_store_short v[16:17], v62, off
	v_lshlrev_b32_e32 v30, 1, v59
	;; [unrolled: 6-line block ×10, first 2 shown]
	v_cndmask_b32_e32 v17, v5, v7, vcc
	v_cndmask_b32_e32 v16, v4, v6, vcc
	v_lshl_add_u64 v[16:17], v[16:17], 0, v[30:31]
	v_cmp_lt_u32_e32 vcc, v41, v22
	s_waitcnt lgkmcnt(13)
	global_store_short v[16:17], v44, off
	v_lshlrev_b32_e32 v30, 1, v41
	v_cndmask_b32_e32 v17, v5, v7, vcc
	v_cndmask_b32_e32 v16, v4, v6, vcc
	v_lshl_add_u64 v[16:17], v[16:17], 0, v[30:31]
	v_cmp_lt_u32_e32 vcc, v39, v22
	s_waitcnt lgkmcnt(12)
	global_store_short v[16:17], v42, off
	v_lshlrev_b32_e32 v30, 1, v39
	;; [unrolled: 7-line block ×12, first 2 shown]
	v_cndmask_b32_e32 v17, v5, v7, vcc
	v_cndmask_b32_e32 v16, v4, v6, vcc
	v_lshl_add_u64 v[16:17], v[16:17], 0, v[30:31]
	s_waitcnt lgkmcnt(1)
	global_store_short v[16:17], v9, off
	s_cbranch_execz .LBB2276_168
	s_branch .LBB2276_197
.LBB2276_167:
	s_mov_b64 s[0:1], 0
.LBB2276_168:
	v_cmp_gt_u32_e32 vcc, s33, v0
	s_and_saveexec_b64 s[0:1], vcc
	s_cbranch_execnz .LBB2276_202
; %bb.169:
	s_or_b64 exec, exec, s[0:1]
	v_cmp_gt_u32_e32 vcc, s33, v69
	s_and_saveexec_b64 s[0:1], vcc
	s_cbranch_execnz .LBB2276_203
.LBB2276_170:
	s_or_b64 exec, exec, s[0:1]
	v_cmp_gt_u32_e32 vcc, s33, v67
	s_and_saveexec_b64 s[0:1], vcc
	s_cbranch_execnz .LBB2276_204
.LBB2276_171:
	s_or_b64 exec, exec, s[0:1]
	v_cmp_gt_u32_e32 vcc, s33, v65
	s_and_saveexec_b64 s[0:1], vcc
	s_cbranch_execnz .LBB2276_205
.LBB2276_172:
	s_or_b64 exec, exec, s[0:1]
	v_cmp_gt_u32_e32 vcc, s33, v63
	s_and_saveexec_b64 s[0:1], vcc
	s_cbranch_execnz .LBB2276_206
.LBB2276_173:
	s_or_b64 exec, exec, s[0:1]
	v_cmp_gt_u32_e32 vcc, s33, v61
	s_and_saveexec_b64 s[0:1], vcc
	s_cbranch_execnz .LBB2276_207
.LBB2276_174:
	s_or_b64 exec, exec, s[0:1]
	v_cmp_gt_u32_e32 vcc, s33, v59
	s_and_saveexec_b64 s[0:1], vcc
	s_cbranch_execnz .LBB2276_208
.LBB2276_175:
	s_or_b64 exec, exec, s[0:1]
	v_cmp_gt_u32_e32 vcc, s33, v57
	s_and_saveexec_b64 s[0:1], vcc
	s_cbranch_execnz .LBB2276_209
.LBB2276_176:
	s_or_b64 exec, exec, s[0:1]
	v_cmp_gt_u32_e32 vcc, s33, v55
	s_and_saveexec_b64 s[0:1], vcc
	s_cbranch_execnz .LBB2276_210
.LBB2276_177:
	s_or_b64 exec, exec, s[0:1]
	v_cmp_gt_u32_e32 vcc, s33, v53
	s_and_saveexec_b64 s[0:1], vcc
	s_cbranch_execnz .LBB2276_211
.LBB2276_178:
	s_or_b64 exec, exec, s[0:1]
	v_cmp_gt_u32_e32 vcc, s33, v51
	s_and_saveexec_b64 s[0:1], vcc
	s_cbranch_execnz .LBB2276_212
.LBB2276_179:
	s_or_b64 exec, exec, s[0:1]
	v_cmp_gt_u32_e32 vcc, s33, v49
	s_and_saveexec_b64 s[0:1], vcc
	s_cbranch_execnz .LBB2276_213
.LBB2276_180:
	s_or_b64 exec, exec, s[0:1]
	v_cmp_gt_u32_e32 vcc, s33, v47
	s_and_saveexec_b64 s[0:1], vcc
	s_cbranch_execnz .LBB2276_214
.LBB2276_181:
	s_or_b64 exec, exec, s[0:1]
	v_cmp_gt_u32_e32 vcc, s33, v45
	s_and_saveexec_b64 s[0:1], vcc
	s_cbranch_execnz .LBB2276_215
.LBB2276_182:
	s_or_b64 exec, exec, s[0:1]
	v_cmp_gt_u32_e32 vcc, s33, v43
	s_and_saveexec_b64 s[0:1], vcc
	s_cbranch_execnz .LBB2276_216
.LBB2276_183:
	s_or_b64 exec, exec, s[0:1]
	v_cmp_gt_u32_e32 vcc, s33, v41
	s_and_saveexec_b64 s[0:1], vcc
	s_cbranch_execnz .LBB2276_217
.LBB2276_184:
	s_or_b64 exec, exec, s[0:1]
	v_cmp_gt_u32_e32 vcc, s33, v39
	s_and_saveexec_b64 s[0:1], vcc
	s_cbranch_execnz .LBB2276_218
.LBB2276_185:
	s_or_b64 exec, exec, s[0:1]
	v_cmp_gt_u32_e32 vcc, s33, v37
	s_and_saveexec_b64 s[0:1], vcc
	s_cbranch_execnz .LBB2276_219
.LBB2276_186:
	s_or_b64 exec, exec, s[0:1]
	v_cmp_gt_u32_e32 vcc, s33, v35
	s_and_saveexec_b64 s[0:1], vcc
	s_cbranch_execnz .LBB2276_220
.LBB2276_187:
	s_or_b64 exec, exec, s[0:1]
	v_cmp_gt_u32_e32 vcc, s33, v33
	s_and_saveexec_b64 s[0:1], vcc
	s_cbranch_execnz .LBB2276_221
.LBB2276_188:
	s_or_b64 exec, exec, s[0:1]
	v_cmp_gt_u32_e32 vcc, s33, v29
	s_and_saveexec_b64 s[0:1], vcc
	s_cbranch_execnz .LBB2276_222
.LBB2276_189:
	s_or_b64 exec, exec, s[0:1]
	v_cmp_gt_u32_e32 vcc, s33, v27
	s_and_saveexec_b64 s[0:1], vcc
	s_cbranch_execnz .LBB2276_223
.LBB2276_190:
	s_or_b64 exec, exec, s[0:1]
	v_cmp_gt_u32_e32 vcc, s33, v25
	s_and_saveexec_b64 s[0:1], vcc
	s_cbranch_execnz .LBB2276_224
.LBB2276_191:
	s_or_b64 exec, exec, s[0:1]
	v_cmp_gt_u32_e32 vcc, s33, v21
	s_and_saveexec_b64 s[0:1], vcc
	s_cbranch_execnz .LBB2276_225
.LBB2276_192:
	s_or_b64 exec, exec, s[0:1]
	v_cmp_gt_u32_e32 vcc, s33, v13
	s_and_saveexec_b64 s[0:1], vcc
	s_cbranch_execnz .LBB2276_226
.LBB2276_193:
	s_or_b64 exec, exec, s[0:1]
	v_cmp_gt_u32_e32 vcc, s33, v11
	s_and_saveexec_b64 s[0:1], vcc
	s_cbranch_execnz .LBB2276_227
.LBB2276_194:
	s_or_b64 exec, exec, s[0:1]
	v_cmp_gt_u32_e32 vcc, s33, v10
	s_and_saveexec_b64 s[0:1], vcc
	s_cbranch_execz .LBB2276_196
.LBB2276_195:
	v_cmp_lt_u32_e32 vcc, v10, v22
	v_lshlrev_b32_e32 v10, 1, v10
	v_mov_b32_e32 v11, 0
	v_cndmask_b32_e32 v13, v5, v7, vcc
	s_waitcnt lgkmcnt(2)
	v_cndmask_b32_e32 v12, v4, v6, vcc
	v_lshl_add_u64 v[10:11], v[12:13], 0, v[10:11]
	s_waitcnt lgkmcnt(1)
	global_store_short v[10:11], v9, off
.LBB2276_196:
	s_or_b64 exec, exec, s[0:1]
	v_cmp_gt_u32_e64 s[0:1], s33, v8
.LBB2276_197:
	s_and_saveexec_b64 s[2:3], s[0:1]
	s_cbranch_execnz .LBB2276_200
; %bb.198:
	s_or_b64 exec, exec, s[2:3]
	s_and_b64 s[0:1], s[18:19], s[22:23]
	s_and_saveexec_b64 s[2:3], s[0:1]
	s_cbranch_execnz .LBB2276_201
.LBB2276_199:
	s_endpgm
.LBB2276_200:
	v_cmp_lt_u32_e32 vcc, v8, v22
	s_nop 1
	v_cndmask_b32_e32 v5, v5, v7, vcc
	v_cndmask_b32_e32 v4, v4, v6, vcc
	v_lshlrev_b32_e32 v6, 1, v8
	v_mov_b32_e32 v7, 0
	v_lshl_add_u64 v[4:5], v[4:5], 0, v[6:7]
	s_waitcnt lgkmcnt(0)
	global_store_short v[4:5], v1, off
	s_or_b64 exec, exec, s[2:3]
	s_and_b64 s[0:1], s[18:19], s[22:23]
	s_and_saveexec_b64 s[2:3], s[0:1]
	s_cbranch_execz .LBB2276_199
.LBB2276_201:
	v_mov_b32_e32 v0, 0
	global_store_dwordx2 v0, v[2:3], s[20:21]
	s_endpgm
.LBB2276_202:
	v_cmp_lt_u32_e32 vcc, v0, v22
	v_mov_b32_e32 v15, 0
	s_nop 0
	v_cndmask_b32_e32 v17, v5, v7, vcc
	v_cndmask_b32_e32 v16, v4, v6, vcc
	v_lshl_add_u64 v[16:17], v[16:17], 0, v[14:15]
	s_waitcnt lgkmcnt(14)
	global_store_short v[16:17], v71, off
	s_or_b64 exec, exec, s[0:1]
	v_cmp_gt_u32_e32 vcc, s33, v69
	s_and_saveexec_b64 s[0:1], vcc
	s_cbranch_execz .LBB2276_170
.LBB2276_203:
	v_cmp_lt_u32_e32 vcc, v69, v22
	v_mov_b32_e32 v15, 0
	s_nop 0
	v_cndmask_b32_e32 v17, v5, v7, vcc
	v_cndmask_b32_e32 v16, v4, v6, vcc
	v_lshl_add_u64 v[16:17], v[16:17], 0, v[14:15]
	s_waitcnt lgkmcnt(14)
	global_store_short v[16:17], v70, off offset:1024
	s_or_b64 exec, exec, s[0:1]
	v_cmp_gt_u32_e32 vcc, s33, v67
	s_and_saveexec_b64 s[0:1], vcc
	s_cbranch_execz .LBB2276_171
.LBB2276_204:
	v_cmp_lt_u32_e32 vcc, v67, v22
	v_mov_b32_e32 v15, 0
	s_nop 0
	v_cndmask_b32_e32 v17, v5, v7, vcc
	v_cndmask_b32_e32 v16, v4, v6, vcc
	v_lshl_add_u64 v[16:17], v[16:17], 0, v[14:15]
	s_waitcnt lgkmcnt(14)
	global_store_short v[16:17], v68, off offset:2048
	s_or_b64 exec, exec, s[0:1]
	v_cmp_gt_u32_e32 vcc, s33, v65
	s_and_saveexec_b64 s[0:1], vcc
	s_cbranch_execz .LBB2276_172
.LBB2276_205:
	v_cmp_lt_u32_e32 vcc, v65, v22
	v_mov_b32_e32 v15, 0
	s_nop 0
	v_cndmask_b32_e32 v17, v5, v7, vcc
	v_cndmask_b32_e32 v16, v4, v6, vcc
	v_lshl_add_u64 v[14:15], v[16:17], 0, v[14:15]
	s_waitcnt lgkmcnt(14)
	global_store_short v[14:15], v66, off offset:3072
	s_or_b64 exec, exec, s[0:1]
	v_cmp_gt_u32_e32 vcc, s33, v63
	s_and_saveexec_b64 s[0:1], vcc
	s_cbranch_execz .LBB2276_173
.LBB2276_206:
	v_cmp_lt_u32_e32 vcc, v63, v22
	v_lshlrev_b32_e32 v16, 1, v63
	v_mov_b32_e32 v17, 0
	v_cndmask_b32_e32 v15, v5, v7, vcc
	v_cndmask_b32_e32 v14, v4, v6, vcc
	v_lshl_add_u64 v[14:15], v[14:15], 0, v[16:17]
	s_waitcnt lgkmcnt(14)
	global_store_short v[14:15], v64, off
	s_or_b64 exec, exec, s[0:1]
	v_cmp_gt_u32_e32 vcc, s33, v61
	s_and_saveexec_b64 s[0:1], vcc
	s_cbranch_execz .LBB2276_174
.LBB2276_207:
	v_cmp_lt_u32_e32 vcc, v61, v22
	v_lshlrev_b32_e32 v16, 1, v61
	v_mov_b32_e32 v17, 0
	v_cndmask_b32_e32 v15, v5, v7, vcc
	v_cndmask_b32_e32 v14, v4, v6, vcc
	v_lshl_add_u64 v[14:15], v[14:15], 0, v[16:17]
	s_waitcnt lgkmcnt(14)
	global_store_short v[14:15], v62, off
	s_or_b64 exec, exec, s[0:1]
	v_cmp_gt_u32_e32 vcc, s33, v59
	s_and_saveexec_b64 s[0:1], vcc
	s_cbranch_execz .LBB2276_175
.LBB2276_208:
	v_cmp_lt_u32_e32 vcc, v59, v22
	v_lshlrev_b32_e32 v16, 1, v59
	v_mov_b32_e32 v17, 0
	v_cndmask_b32_e32 v15, v5, v7, vcc
	v_cndmask_b32_e32 v14, v4, v6, vcc
	v_lshl_add_u64 v[14:15], v[14:15], 0, v[16:17]
	s_waitcnt lgkmcnt(14)
	global_store_short v[14:15], v60, off
	s_or_b64 exec, exec, s[0:1]
	v_cmp_gt_u32_e32 vcc, s33, v57
	s_and_saveexec_b64 s[0:1], vcc
	s_cbranch_execz .LBB2276_176
.LBB2276_209:
	v_cmp_lt_u32_e32 vcc, v57, v22
	v_lshlrev_b32_e32 v16, 1, v57
	v_mov_b32_e32 v17, 0
	v_cndmask_b32_e32 v15, v5, v7, vcc
	v_cndmask_b32_e32 v14, v4, v6, vcc
	v_lshl_add_u64 v[14:15], v[14:15], 0, v[16:17]
	s_waitcnt lgkmcnt(14)
	global_store_short v[14:15], v58, off
	s_or_b64 exec, exec, s[0:1]
	v_cmp_gt_u32_e32 vcc, s33, v55
	s_and_saveexec_b64 s[0:1], vcc
	s_cbranch_execz .LBB2276_177
.LBB2276_210:
	v_cmp_lt_u32_e32 vcc, v55, v22
	v_lshlrev_b32_e32 v16, 1, v55
	v_mov_b32_e32 v17, 0
	v_cndmask_b32_e32 v15, v5, v7, vcc
	v_cndmask_b32_e32 v14, v4, v6, vcc
	v_lshl_add_u64 v[14:15], v[14:15], 0, v[16:17]
	s_waitcnt lgkmcnt(14)
	global_store_short v[14:15], v56, off
	s_or_b64 exec, exec, s[0:1]
	v_cmp_gt_u32_e32 vcc, s33, v53
	s_and_saveexec_b64 s[0:1], vcc
	s_cbranch_execz .LBB2276_178
.LBB2276_211:
	v_cmp_lt_u32_e32 vcc, v53, v22
	v_lshlrev_b32_e32 v16, 1, v53
	v_mov_b32_e32 v17, 0
	v_cndmask_b32_e32 v15, v5, v7, vcc
	v_cndmask_b32_e32 v14, v4, v6, vcc
	v_lshl_add_u64 v[14:15], v[14:15], 0, v[16:17]
	s_waitcnt lgkmcnt(14)
	global_store_short v[14:15], v54, off
	s_or_b64 exec, exec, s[0:1]
	v_cmp_gt_u32_e32 vcc, s33, v51
	s_and_saveexec_b64 s[0:1], vcc
	s_cbranch_execz .LBB2276_179
.LBB2276_212:
	v_cmp_lt_u32_e32 vcc, v51, v22
	v_lshlrev_b32_e32 v16, 1, v51
	v_mov_b32_e32 v17, 0
	v_cndmask_b32_e32 v15, v5, v7, vcc
	v_cndmask_b32_e32 v14, v4, v6, vcc
	v_lshl_add_u64 v[14:15], v[14:15], 0, v[16:17]
	s_waitcnt lgkmcnt(14)
	global_store_short v[14:15], v52, off
	s_or_b64 exec, exec, s[0:1]
	v_cmp_gt_u32_e32 vcc, s33, v49
	s_and_saveexec_b64 s[0:1], vcc
	s_cbranch_execz .LBB2276_180
.LBB2276_213:
	v_cmp_lt_u32_e32 vcc, v49, v22
	v_lshlrev_b32_e32 v16, 1, v49
	v_mov_b32_e32 v17, 0
	v_cndmask_b32_e32 v15, v5, v7, vcc
	v_cndmask_b32_e32 v14, v4, v6, vcc
	v_lshl_add_u64 v[14:15], v[14:15], 0, v[16:17]
	s_waitcnt lgkmcnt(14)
	global_store_short v[14:15], v50, off
	s_or_b64 exec, exec, s[0:1]
	v_cmp_gt_u32_e32 vcc, s33, v47
	s_and_saveexec_b64 s[0:1], vcc
	s_cbranch_execz .LBB2276_181
.LBB2276_214:
	v_cmp_lt_u32_e32 vcc, v47, v22
	v_lshlrev_b32_e32 v16, 1, v47
	v_mov_b32_e32 v17, 0
	v_cndmask_b32_e32 v15, v5, v7, vcc
	v_cndmask_b32_e32 v14, v4, v6, vcc
	v_lshl_add_u64 v[14:15], v[14:15], 0, v[16:17]
	s_waitcnt lgkmcnt(14)
	global_store_short v[14:15], v48, off
	s_or_b64 exec, exec, s[0:1]
	v_cmp_gt_u32_e32 vcc, s33, v45
	s_and_saveexec_b64 s[0:1], vcc
	s_cbranch_execz .LBB2276_182
.LBB2276_215:
	v_cmp_lt_u32_e32 vcc, v45, v22
	v_lshlrev_b32_e32 v16, 1, v45
	v_mov_b32_e32 v17, 0
	v_cndmask_b32_e32 v15, v5, v7, vcc
	v_cndmask_b32_e32 v14, v4, v6, vcc
	v_lshl_add_u64 v[14:15], v[14:15], 0, v[16:17]
	s_waitcnt lgkmcnt(14)
	global_store_short v[14:15], v46, off
	s_or_b64 exec, exec, s[0:1]
	v_cmp_gt_u32_e32 vcc, s33, v43
	s_and_saveexec_b64 s[0:1], vcc
	s_cbranch_execz .LBB2276_183
.LBB2276_216:
	v_cmp_lt_u32_e32 vcc, v43, v22
	v_lshlrev_b32_e32 v16, 1, v43
	v_mov_b32_e32 v17, 0
	v_cndmask_b32_e32 v15, v5, v7, vcc
	v_cndmask_b32_e32 v14, v4, v6, vcc
	v_lshl_add_u64 v[14:15], v[14:15], 0, v[16:17]
	s_waitcnt lgkmcnt(13)
	global_store_short v[14:15], v44, off
	s_or_b64 exec, exec, s[0:1]
	v_cmp_gt_u32_e32 vcc, s33, v41
	s_and_saveexec_b64 s[0:1], vcc
	s_cbranch_execz .LBB2276_184
.LBB2276_217:
	v_cmp_lt_u32_e32 vcc, v41, v22
	v_lshlrev_b32_e32 v16, 1, v41
	v_mov_b32_e32 v17, 0
	v_cndmask_b32_e32 v15, v5, v7, vcc
	v_cndmask_b32_e32 v14, v4, v6, vcc
	v_lshl_add_u64 v[14:15], v[14:15], 0, v[16:17]
	s_waitcnt lgkmcnt(12)
	global_store_short v[14:15], v42, off
	s_or_b64 exec, exec, s[0:1]
	v_cmp_gt_u32_e32 vcc, s33, v39
	s_and_saveexec_b64 s[0:1], vcc
	s_cbranch_execz .LBB2276_185
.LBB2276_218:
	v_cmp_lt_u32_e32 vcc, v39, v22
	v_lshlrev_b32_e32 v16, 1, v39
	v_mov_b32_e32 v17, 0
	v_cndmask_b32_e32 v15, v5, v7, vcc
	v_cndmask_b32_e32 v14, v4, v6, vcc
	v_lshl_add_u64 v[14:15], v[14:15], 0, v[16:17]
	s_waitcnt lgkmcnt(11)
	global_store_short v[14:15], v40, off
	s_or_b64 exec, exec, s[0:1]
	v_cmp_gt_u32_e32 vcc, s33, v37
	s_and_saveexec_b64 s[0:1], vcc
	s_cbranch_execz .LBB2276_186
.LBB2276_219:
	v_cmp_lt_u32_e32 vcc, v37, v22
	v_lshlrev_b32_e32 v16, 1, v37
	v_mov_b32_e32 v17, 0
	v_cndmask_b32_e32 v15, v5, v7, vcc
	v_cndmask_b32_e32 v14, v4, v6, vcc
	v_lshl_add_u64 v[14:15], v[14:15], 0, v[16:17]
	s_waitcnt lgkmcnt(10)
	global_store_short v[14:15], v38, off
	s_or_b64 exec, exec, s[0:1]
	v_cmp_gt_u32_e32 vcc, s33, v35
	s_and_saveexec_b64 s[0:1], vcc
	s_cbranch_execz .LBB2276_187
.LBB2276_220:
	v_cmp_lt_u32_e32 vcc, v35, v22
	v_lshlrev_b32_e32 v16, 1, v35
	v_mov_b32_e32 v17, 0
	v_cndmask_b32_e32 v15, v5, v7, vcc
	v_cndmask_b32_e32 v14, v4, v6, vcc
	v_lshl_add_u64 v[14:15], v[14:15], 0, v[16:17]
	s_waitcnt lgkmcnt(9)
	global_store_short v[14:15], v36, off
	s_or_b64 exec, exec, s[0:1]
	v_cmp_gt_u32_e32 vcc, s33, v33
	s_and_saveexec_b64 s[0:1], vcc
	s_cbranch_execz .LBB2276_188
.LBB2276_221:
	v_cmp_lt_u32_e32 vcc, v33, v22
	v_lshlrev_b32_e32 v16, 1, v33
	v_mov_b32_e32 v17, 0
	v_cndmask_b32_e32 v15, v5, v7, vcc
	v_cndmask_b32_e32 v14, v4, v6, vcc
	v_lshl_add_u64 v[14:15], v[14:15], 0, v[16:17]
	s_waitcnt lgkmcnt(8)
	global_store_short v[14:15], v34, off
	s_or_b64 exec, exec, s[0:1]
	v_cmp_gt_u32_e32 vcc, s33, v29
	s_and_saveexec_b64 s[0:1], vcc
	s_cbranch_execz .LBB2276_189
.LBB2276_222:
	v_cmp_lt_u32_e32 vcc, v29, v22
	v_lshlrev_b32_e32 v16, 1, v29
	v_mov_b32_e32 v17, 0
	v_cndmask_b32_e32 v15, v5, v7, vcc
	v_cndmask_b32_e32 v14, v4, v6, vcc
	v_lshl_add_u64 v[14:15], v[14:15], 0, v[16:17]
	s_waitcnt lgkmcnt(7)
	global_store_short v[14:15], v32, off
	s_or_b64 exec, exec, s[0:1]
	v_cmp_gt_u32_e32 vcc, s33, v27
	s_and_saveexec_b64 s[0:1], vcc
	s_cbranch_execz .LBB2276_190
.LBB2276_223:
	v_cmp_lt_u32_e32 vcc, v27, v22
	v_lshlrev_b32_e32 v16, 1, v27
	v_mov_b32_e32 v17, 0
	v_cndmask_b32_e32 v15, v5, v7, vcc
	v_cndmask_b32_e32 v14, v4, v6, vcc
	v_lshl_add_u64 v[14:15], v[14:15], 0, v[16:17]
	s_waitcnt lgkmcnt(6)
	global_store_short v[14:15], v28, off
	s_or_b64 exec, exec, s[0:1]
	v_cmp_gt_u32_e32 vcc, s33, v25
	s_and_saveexec_b64 s[0:1], vcc
	s_cbranch_execz .LBB2276_191
.LBB2276_224:
	v_cmp_lt_u32_e32 vcc, v25, v22
	v_lshlrev_b32_e32 v16, 1, v25
	v_mov_b32_e32 v17, 0
	v_cndmask_b32_e32 v15, v5, v7, vcc
	v_cndmask_b32_e32 v14, v4, v6, vcc
	v_lshl_add_u64 v[14:15], v[14:15], 0, v[16:17]
	s_waitcnt lgkmcnt(5)
	global_store_short v[14:15], v26, off
	s_or_b64 exec, exec, s[0:1]
	v_cmp_gt_u32_e32 vcc, s33, v21
	s_and_saveexec_b64 s[0:1], vcc
	s_cbranch_execz .LBB2276_192
.LBB2276_225:
	v_cmp_lt_u32_e32 vcc, v21, v22
	v_lshlrev_b32_e32 v16, 1, v21
	v_mov_b32_e32 v17, 0
	v_cndmask_b32_e32 v15, v5, v7, vcc
	v_cndmask_b32_e32 v14, v4, v6, vcc
	v_lshl_add_u64 v[14:15], v[14:15], 0, v[16:17]
	s_waitcnt lgkmcnt(4)
	global_store_short v[14:15], v24, off
	s_or_b64 exec, exec, s[0:1]
	v_cmp_gt_u32_e32 vcc, s33, v13
	s_and_saveexec_b64 s[0:1], vcc
	s_cbranch_execz .LBB2276_193
.LBB2276_226:
	v_cmp_lt_u32_e32 vcc, v13, v22
	v_lshlrev_b32_e32 v16, 1, v13
	v_mov_b32_e32 v17, 0
	v_cndmask_b32_e32 v15, v5, v7, vcc
	v_cndmask_b32_e32 v14, v4, v6, vcc
	v_lshl_add_u64 v[14:15], v[14:15], 0, v[16:17]
	s_waitcnt lgkmcnt(3)
	global_store_short v[14:15], v20, off
	s_or_b64 exec, exec, s[0:1]
	v_cmp_gt_u32_e32 vcc, s33, v11
	s_and_saveexec_b64 s[0:1], vcc
	s_cbranch_execz .LBB2276_194
.LBB2276_227:
	v_cmp_lt_u32_e32 vcc, v11, v22
	v_lshlrev_b32_e32 v16, 1, v11
	v_mov_b32_e32 v17, 0
	v_cndmask_b32_e32 v15, v5, v7, vcc
	v_cndmask_b32_e32 v14, v4, v6, vcc
	v_lshl_add_u64 v[14:15], v[14:15], 0, v[16:17]
	s_waitcnt lgkmcnt(2)
	global_store_short v[14:15], v12, off
	s_or_b64 exec, exec, s[0:1]
	v_cmp_gt_u32_e32 vcc, s33, v10
	s_and_saveexec_b64 s[0:1], vcc
	s_cbranch_execnz .LBB2276_195
	s_branch .LBB2276_196
	.section	.rodata,"a",@progbits
	.p2align	6, 0x0
	.amdhsa_kernel _ZN7rocprim17ROCPRIM_400000_NS6detail17trampoline_kernelINS0_14default_configENS1_25partition_config_selectorILNS1_17partition_subalgoE1EtNS0_10empty_typeEbEEZZNS1_14partition_implILS5_1ELb0ES3_jN6thrust23THRUST_200600_302600_NS6detail15normal_iteratorINSA_10device_ptrItEEEEPS6_NSA_18transform_iteratorI7is_evenItESF_NSA_11use_defaultESK_EENS0_5tupleIJSF_SF_EEENSM_IJSG_SG_EEES6_PlJS6_EEE10hipError_tPvRmT3_T4_T5_T6_T7_T9_mT8_P12ihipStream_tbDpT10_ENKUlT_T0_E_clISt17integral_constantIbLb1EES19_EEDaS14_S15_EUlS14_E_NS1_11comp_targetILNS1_3genE5ELNS1_11target_archE942ELNS1_3gpuE9ELNS1_3repE0EEENS1_30default_config_static_selectorELNS0_4arch9wavefront6targetE1EEEvT1_
		.amdhsa_group_segment_fixed_size 28680
		.amdhsa_private_segment_fixed_size 0
		.amdhsa_kernarg_size 144
		.amdhsa_user_sgpr_count 2
		.amdhsa_user_sgpr_dispatch_ptr 0
		.amdhsa_user_sgpr_queue_ptr 0
		.amdhsa_user_sgpr_kernarg_segment_ptr 1
		.amdhsa_user_sgpr_dispatch_id 0
		.amdhsa_user_sgpr_kernarg_preload_length 0
		.amdhsa_user_sgpr_kernarg_preload_offset 0
		.amdhsa_user_sgpr_private_segment_size 0
		.amdhsa_uses_dynamic_stack 0
		.amdhsa_enable_private_segment 0
		.amdhsa_system_sgpr_workgroup_id_x 1
		.amdhsa_system_sgpr_workgroup_id_y 0
		.amdhsa_system_sgpr_workgroup_id_z 0
		.amdhsa_system_sgpr_workgroup_info 0
		.amdhsa_system_vgpr_workitem_id 0
		.amdhsa_next_free_vgpr 83
		.amdhsa_next_free_sgpr 44
		.amdhsa_accum_offset 84
		.amdhsa_reserve_vcc 1
		.amdhsa_float_round_mode_32 0
		.amdhsa_float_round_mode_16_64 0
		.amdhsa_float_denorm_mode_32 3
		.amdhsa_float_denorm_mode_16_64 3
		.amdhsa_dx10_clamp 1
		.amdhsa_ieee_mode 1
		.amdhsa_fp16_overflow 0
		.amdhsa_tg_split 0
		.amdhsa_exception_fp_ieee_invalid_op 0
		.amdhsa_exception_fp_denorm_src 0
		.amdhsa_exception_fp_ieee_div_zero 0
		.amdhsa_exception_fp_ieee_overflow 0
		.amdhsa_exception_fp_ieee_underflow 0
		.amdhsa_exception_fp_ieee_inexact 0
		.amdhsa_exception_int_div_zero 0
	.end_amdhsa_kernel
	.section	.text._ZN7rocprim17ROCPRIM_400000_NS6detail17trampoline_kernelINS0_14default_configENS1_25partition_config_selectorILNS1_17partition_subalgoE1EtNS0_10empty_typeEbEEZZNS1_14partition_implILS5_1ELb0ES3_jN6thrust23THRUST_200600_302600_NS6detail15normal_iteratorINSA_10device_ptrItEEEEPS6_NSA_18transform_iteratorI7is_evenItESF_NSA_11use_defaultESK_EENS0_5tupleIJSF_SF_EEENSM_IJSG_SG_EEES6_PlJS6_EEE10hipError_tPvRmT3_T4_T5_T6_T7_T9_mT8_P12ihipStream_tbDpT10_ENKUlT_T0_E_clISt17integral_constantIbLb1EES19_EEDaS14_S15_EUlS14_E_NS1_11comp_targetILNS1_3genE5ELNS1_11target_archE942ELNS1_3gpuE9ELNS1_3repE0EEENS1_30default_config_static_selectorELNS0_4arch9wavefront6targetE1EEEvT1_,"axG",@progbits,_ZN7rocprim17ROCPRIM_400000_NS6detail17trampoline_kernelINS0_14default_configENS1_25partition_config_selectorILNS1_17partition_subalgoE1EtNS0_10empty_typeEbEEZZNS1_14partition_implILS5_1ELb0ES3_jN6thrust23THRUST_200600_302600_NS6detail15normal_iteratorINSA_10device_ptrItEEEEPS6_NSA_18transform_iteratorI7is_evenItESF_NSA_11use_defaultESK_EENS0_5tupleIJSF_SF_EEENSM_IJSG_SG_EEES6_PlJS6_EEE10hipError_tPvRmT3_T4_T5_T6_T7_T9_mT8_P12ihipStream_tbDpT10_ENKUlT_T0_E_clISt17integral_constantIbLb1EES19_EEDaS14_S15_EUlS14_E_NS1_11comp_targetILNS1_3genE5ELNS1_11target_archE942ELNS1_3gpuE9ELNS1_3repE0EEENS1_30default_config_static_selectorELNS0_4arch9wavefront6targetE1EEEvT1_,comdat
.Lfunc_end2276:
	.size	_ZN7rocprim17ROCPRIM_400000_NS6detail17trampoline_kernelINS0_14default_configENS1_25partition_config_selectorILNS1_17partition_subalgoE1EtNS0_10empty_typeEbEEZZNS1_14partition_implILS5_1ELb0ES3_jN6thrust23THRUST_200600_302600_NS6detail15normal_iteratorINSA_10device_ptrItEEEEPS6_NSA_18transform_iteratorI7is_evenItESF_NSA_11use_defaultESK_EENS0_5tupleIJSF_SF_EEENSM_IJSG_SG_EEES6_PlJS6_EEE10hipError_tPvRmT3_T4_T5_T6_T7_T9_mT8_P12ihipStream_tbDpT10_ENKUlT_T0_E_clISt17integral_constantIbLb1EES19_EEDaS14_S15_EUlS14_E_NS1_11comp_targetILNS1_3genE5ELNS1_11target_archE942ELNS1_3gpuE9ELNS1_3repE0EEENS1_30default_config_static_selectorELNS0_4arch9wavefront6targetE1EEEvT1_, .Lfunc_end2276-_ZN7rocprim17ROCPRIM_400000_NS6detail17trampoline_kernelINS0_14default_configENS1_25partition_config_selectorILNS1_17partition_subalgoE1EtNS0_10empty_typeEbEEZZNS1_14partition_implILS5_1ELb0ES3_jN6thrust23THRUST_200600_302600_NS6detail15normal_iteratorINSA_10device_ptrItEEEEPS6_NSA_18transform_iteratorI7is_evenItESF_NSA_11use_defaultESK_EENS0_5tupleIJSF_SF_EEENSM_IJSG_SG_EEES6_PlJS6_EEE10hipError_tPvRmT3_T4_T5_T6_T7_T9_mT8_P12ihipStream_tbDpT10_ENKUlT_T0_E_clISt17integral_constantIbLb1EES19_EEDaS14_S15_EUlS14_E_NS1_11comp_targetILNS1_3genE5ELNS1_11target_archE942ELNS1_3gpuE9ELNS1_3repE0EEENS1_30default_config_static_selectorELNS0_4arch9wavefront6targetE1EEEvT1_
                                        ; -- End function
	.section	.AMDGPU.csdata,"",@progbits
; Kernel info:
; codeLenInByte = 12568
; NumSgprs: 50
; NumVgprs: 83
; NumAgprs: 0
; TotalNumVgprs: 83
; ScratchSize: 0
; MemoryBound: 0
; FloatMode: 240
; IeeeMode: 1
; LDSByteSize: 28680 bytes/workgroup (compile time only)
; SGPRBlocks: 6
; VGPRBlocks: 10
; NumSGPRsForWavesPerEU: 50
; NumVGPRsForWavesPerEU: 83
; AccumOffset: 84
; Occupancy: 4
; WaveLimiterHint : 1
; COMPUTE_PGM_RSRC2:SCRATCH_EN: 0
; COMPUTE_PGM_RSRC2:USER_SGPR: 2
; COMPUTE_PGM_RSRC2:TRAP_HANDLER: 0
; COMPUTE_PGM_RSRC2:TGID_X_EN: 1
; COMPUTE_PGM_RSRC2:TGID_Y_EN: 0
; COMPUTE_PGM_RSRC2:TGID_Z_EN: 0
; COMPUTE_PGM_RSRC2:TIDIG_COMP_CNT: 0
; COMPUTE_PGM_RSRC3_GFX90A:ACCUM_OFFSET: 20
; COMPUTE_PGM_RSRC3_GFX90A:TG_SPLIT: 0
	.section	.text._ZN7rocprim17ROCPRIM_400000_NS6detail17trampoline_kernelINS0_14default_configENS1_25partition_config_selectorILNS1_17partition_subalgoE1EtNS0_10empty_typeEbEEZZNS1_14partition_implILS5_1ELb0ES3_jN6thrust23THRUST_200600_302600_NS6detail15normal_iteratorINSA_10device_ptrItEEEEPS6_NSA_18transform_iteratorI7is_evenItESF_NSA_11use_defaultESK_EENS0_5tupleIJSF_SF_EEENSM_IJSG_SG_EEES6_PlJS6_EEE10hipError_tPvRmT3_T4_T5_T6_T7_T9_mT8_P12ihipStream_tbDpT10_ENKUlT_T0_E_clISt17integral_constantIbLb1EES19_EEDaS14_S15_EUlS14_E_NS1_11comp_targetILNS1_3genE4ELNS1_11target_archE910ELNS1_3gpuE8ELNS1_3repE0EEENS1_30default_config_static_selectorELNS0_4arch9wavefront6targetE1EEEvT1_,"axG",@progbits,_ZN7rocprim17ROCPRIM_400000_NS6detail17trampoline_kernelINS0_14default_configENS1_25partition_config_selectorILNS1_17partition_subalgoE1EtNS0_10empty_typeEbEEZZNS1_14partition_implILS5_1ELb0ES3_jN6thrust23THRUST_200600_302600_NS6detail15normal_iteratorINSA_10device_ptrItEEEEPS6_NSA_18transform_iteratorI7is_evenItESF_NSA_11use_defaultESK_EENS0_5tupleIJSF_SF_EEENSM_IJSG_SG_EEES6_PlJS6_EEE10hipError_tPvRmT3_T4_T5_T6_T7_T9_mT8_P12ihipStream_tbDpT10_ENKUlT_T0_E_clISt17integral_constantIbLb1EES19_EEDaS14_S15_EUlS14_E_NS1_11comp_targetILNS1_3genE4ELNS1_11target_archE910ELNS1_3gpuE8ELNS1_3repE0EEENS1_30default_config_static_selectorELNS0_4arch9wavefront6targetE1EEEvT1_,comdat
	.protected	_ZN7rocprim17ROCPRIM_400000_NS6detail17trampoline_kernelINS0_14default_configENS1_25partition_config_selectorILNS1_17partition_subalgoE1EtNS0_10empty_typeEbEEZZNS1_14partition_implILS5_1ELb0ES3_jN6thrust23THRUST_200600_302600_NS6detail15normal_iteratorINSA_10device_ptrItEEEEPS6_NSA_18transform_iteratorI7is_evenItESF_NSA_11use_defaultESK_EENS0_5tupleIJSF_SF_EEENSM_IJSG_SG_EEES6_PlJS6_EEE10hipError_tPvRmT3_T4_T5_T6_T7_T9_mT8_P12ihipStream_tbDpT10_ENKUlT_T0_E_clISt17integral_constantIbLb1EES19_EEDaS14_S15_EUlS14_E_NS1_11comp_targetILNS1_3genE4ELNS1_11target_archE910ELNS1_3gpuE8ELNS1_3repE0EEENS1_30default_config_static_selectorELNS0_4arch9wavefront6targetE1EEEvT1_ ; -- Begin function _ZN7rocprim17ROCPRIM_400000_NS6detail17trampoline_kernelINS0_14default_configENS1_25partition_config_selectorILNS1_17partition_subalgoE1EtNS0_10empty_typeEbEEZZNS1_14partition_implILS5_1ELb0ES3_jN6thrust23THRUST_200600_302600_NS6detail15normal_iteratorINSA_10device_ptrItEEEEPS6_NSA_18transform_iteratorI7is_evenItESF_NSA_11use_defaultESK_EENS0_5tupleIJSF_SF_EEENSM_IJSG_SG_EEES6_PlJS6_EEE10hipError_tPvRmT3_T4_T5_T6_T7_T9_mT8_P12ihipStream_tbDpT10_ENKUlT_T0_E_clISt17integral_constantIbLb1EES19_EEDaS14_S15_EUlS14_E_NS1_11comp_targetILNS1_3genE4ELNS1_11target_archE910ELNS1_3gpuE8ELNS1_3repE0EEENS1_30default_config_static_selectorELNS0_4arch9wavefront6targetE1EEEvT1_
	.globl	_ZN7rocprim17ROCPRIM_400000_NS6detail17trampoline_kernelINS0_14default_configENS1_25partition_config_selectorILNS1_17partition_subalgoE1EtNS0_10empty_typeEbEEZZNS1_14partition_implILS5_1ELb0ES3_jN6thrust23THRUST_200600_302600_NS6detail15normal_iteratorINSA_10device_ptrItEEEEPS6_NSA_18transform_iteratorI7is_evenItESF_NSA_11use_defaultESK_EENS0_5tupleIJSF_SF_EEENSM_IJSG_SG_EEES6_PlJS6_EEE10hipError_tPvRmT3_T4_T5_T6_T7_T9_mT8_P12ihipStream_tbDpT10_ENKUlT_T0_E_clISt17integral_constantIbLb1EES19_EEDaS14_S15_EUlS14_E_NS1_11comp_targetILNS1_3genE4ELNS1_11target_archE910ELNS1_3gpuE8ELNS1_3repE0EEENS1_30default_config_static_selectorELNS0_4arch9wavefront6targetE1EEEvT1_
	.p2align	8
	.type	_ZN7rocprim17ROCPRIM_400000_NS6detail17trampoline_kernelINS0_14default_configENS1_25partition_config_selectorILNS1_17partition_subalgoE1EtNS0_10empty_typeEbEEZZNS1_14partition_implILS5_1ELb0ES3_jN6thrust23THRUST_200600_302600_NS6detail15normal_iteratorINSA_10device_ptrItEEEEPS6_NSA_18transform_iteratorI7is_evenItESF_NSA_11use_defaultESK_EENS0_5tupleIJSF_SF_EEENSM_IJSG_SG_EEES6_PlJS6_EEE10hipError_tPvRmT3_T4_T5_T6_T7_T9_mT8_P12ihipStream_tbDpT10_ENKUlT_T0_E_clISt17integral_constantIbLb1EES19_EEDaS14_S15_EUlS14_E_NS1_11comp_targetILNS1_3genE4ELNS1_11target_archE910ELNS1_3gpuE8ELNS1_3repE0EEENS1_30default_config_static_selectorELNS0_4arch9wavefront6targetE1EEEvT1_,@function
_ZN7rocprim17ROCPRIM_400000_NS6detail17trampoline_kernelINS0_14default_configENS1_25partition_config_selectorILNS1_17partition_subalgoE1EtNS0_10empty_typeEbEEZZNS1_14partition_implILS5_1ELb0ES3_jN6thrust23THRUST_200600_302600_NS6detail15normal_iteratorINSA_10device_ptrItEEEEPS6_NSA_18transform_iteratorI7is_evenItESF_NSA_11use_defaultESK_EENS0_5tupleIJSF_SF_EEENSM_IJSG_SG_EEES6_PlJS6_EEE10hipError_tPvRmT3_T4_T5_T6_T7_T9_mT8_P12ihipStream_tbDpT10_ENKUlT_T0_E_clISt17integral_constantIbLb1EES19_EEDaS14_S15_EUlS14_E_NS1_11comp_targetILNS1_3genE4ELNS1_11target_archE910ELNS1_3gpuE8ELNS1_3repE0EEENS1_30default_config_static_selectorELNS0_4arch9wavefront6targetE1EEEvT1_: ; @_ZN7rocprim17ROCPRIM_400000_NS6detail17trampoline_kernelINS0_14default_configENS1_25partition_config_selectorILNS1_17partition_subalgoE1EtNS0_10empty_typeEbEEZZNS1_14partition_implILS5_1ELb0ES3_jN6thrust23THRUST_200600_302600_NS6detail15normal_iteratorINSA_10device_ptrItEEEEPS6_NSA_18transform_iteratorI7is_evenItESF_NSA_11use_defaultESK_EENS0_5tupleIJSF_SF_EEENSM_IJSG_SG_EEES6_PlJS6_EEE10hipError_tPvRmT3_T4_T5_T6_T7_T9_mT8_P12ihipStream_tbDpT10_ENKUlT_T0_E_clISt17integral_constantIbLb1EES19_EEDaS14_S15_EUlS14_E_NS1_11comp_targetILNS1_3genE4ELNS1_11target_archE910ELNS1_3gpuE8ELNS1_3repE0EEENS1_30default_config_static_selectorELNS0_4arch9wavefront6targetE1EEEvT1_
; %bb.0:
	.section	.rodata,"a",@progbits
	.p2align	6, 0x0
	.amdhsa_kernel _ZN7rocprim17ROCPRIM_400000_NS6detail17trampoline_kernelINS0_14default_configENS1_25partition_config_selectorILNS1_17partition_subalgoE1EtNS0_10empty_typeEbEEZZNS1_14partition_implILS5_1ELb0ES3_jN6thrust23THRUST_200600_302600_NS6detail15normal_iteratorINSA_10device_ptrItEEEEPS6_NSA_18transform_iteratorI7is_evenItESF_NSA_11use_defaultESK_EENS0_5tupleIJSF_SF_EEENSM_IJSG_SG_EEES6_PlJS6_EEE10hipError_tPvRmT3_T4_T5_T6_T7_T9_mT8_P12ihipStream_tbDpT10_ENKUlT_T0_E_clISt17integral_constantIbLb1EES19_EEDaS14_S15_EUlS14_E_NS1_11comp_targetILNS1_3genE4ELNS1_11target_archE910ELNS1_3gpuE8ELNS1_3repE0EEENS1_30default_config_static_selectorELNS0_4arch9wavefront6targetE1EEEvT1_
		.amdhsa_group_segment_fixed_size 0
		.amdhsa_private_segment_fixed_size 0
		.amdhsa_kernarg_size 144
		.amdhsa_user_sgpr_count 2
		.amdhsa_user_sgpr_dispatch_ptr 0
		.amdhsa_user_sgpr_queue_ptr 0
		.amdhsa_user_sgpr_kernarg_segment_ptr 1
		.amdhsa_user_sgpr_dispatch_id 0
		.amdhsa_user_sgpr_kernarg_preload_length 0
		.amdhsa_user_sgpr_kernarg_preload_offset 0
		.amdhsa_user_sgpr_private_segment_size 0
		.amdhsa_uses_dynamic_stack 0
		.amdhsa_enable_private_segment 0
		.amdhsa_system_sgpr_workgroup_id_x 1
		.amdhsa_system_sgpr_workgroup_id_y 0
		.amdhsa_system_sgpr_workgroup_id_z 0
		.amdhsa_system_sgpr_workgroup_info 0
		.amdhsa_system_vgpr_workitem_id 0
		.amdhsa_next_free_vgpr 1
		.amdhsa_next_free_sgpr 0
		.amdhsa_accum_offset 4
		.amdhsa_reserve_vcc 0
		.amdhsa_float_round_mode_32 0
		.amdhsa_float_round_mode_16_64 0
		.amdhsa_float_denorm_mode_32 3
		.amdhsa_float_denorm_mode_16_64 3
		.amdhsa_dx10_clamp 1
		.amdhsa_ieee_mode 1
		.amdhsa_fp16_overflow 0
		.amdhsa_tg_split 0
		.amdhsa_exception_fp_ieee_invalid_op 0
		.amdhsa_exception_fp_denorm_src 0
		.amdhsa_exception_fp_ieee_div_zero 0
		.amdhsa_exception_fp_ieee_overflow 0
		.amdhsa_exception_fp_ieee_underflow 0
		.amdhsa_exception_fp_ieee_inexact 0
		.amdhsa_exception_int_div_zero 0
	.end_amdhsa_kernel
	.section	.text._ZN7rocprim17ROCPRIM_400000_NS6detail17trampoline_kernelINS0_14default_configENS1_25partition_config_selectorILNS1_17partition_subalgoE1EtNS0_10empty_typeEbEEZZNS1_14partition_implILS5_1ELb0ES3_jN6thrust23THRUST_200600_302600_NS6detail15normal_iteratorINSA_10device_ptrItEEEEPS6_NSA_18transform_iteratorI7is_evenItESF_NSA_11use_defaultESK_EENS0_5tupleIJSF_SF_EEENSM_IJSG_SG_EEES6_PlJS6_EEE10hipError_tPvRmT3_T4_T5_T6_T7_T9_mT8_P12ihipStream_tbDpT10_ENKUlT_T0_E_clISt17integral_constantIbLb1EES19_EEDaS14_S15_EUlS14_E_NS1_11comp_targetILNS1_3genE4ELNS1_11target_archE910ELNS1_3gpuE8ELNS1_3repE0EEENS1_30default_config_static_selectorELNS0_4arch9wavefront6targetE1EEEvT1_,"axG",@progbits,_ZN7rocprim17ROCPRIM_400000_NS6detail17trampoline_kernelINS0_14default_configENS1_25partition_config_selectorILNS1_17partition_subalgoE1EtNS0_10empty_typeEbEEZZNS1_14partition_implILS5_1ELb0ES3_jN6thrust23THRUST_200600_302600_NS6detail15normal_iteratorINSA_10device_ptrItEEEEPS6_NSA_18transform_iteratorI7is_evenItESF_NSA_11use_defaultESK_EENS0_5tupleIJSF_SF_EEENSM_IJSG_SG_EEES6_PlJS6_EEE10hipError_tPvRmT3_T4_T5_T6_T7_T9_mT8_P12ihipStream_tbDpT10_ENKUlT_T0_E_clISt17integral_constantIbLb1EES19_EEDaS14_S15_EUlS14_E_NS1_11comp_targetILNS1_3genE4ELNS1_11target_archE910ELNS1_3gpuE8ELNS1_3repE0EEENS1_30default_config_static_selectorELNS0_4arch9wavefront6targetE1EEEvT1_,comdat
.Lfunc_end2277:
	.size	_ZN7rocprim17ROCPRIM_400000_NS6detail17trampoline_kernelINS0_14default_configENS1_25partition_config_selectorILNS1_17partition_subalgoE1EtNS0_10empty_typeEbEEZZNS1_14partition_implILS5_1ELb0ES3_jN6thrust23THRUST_200600_302600_NS6detail15normal_iteratorINSA_10device_ptrItEEEEPS6_NSA_18transform_iteratorI7is_evenItESF_NSA_11use_defaultESK_EENS0_5tupleIJSF_SF_EEENSM_IJSG_SG_EEES6_PlJS6_EEE10hipError_tPvRmT3_T4_T5_T6_T7_T9_mT8_P12ihipStream_tbDpT10_ENKUlT_T0_E_clISt17integral_constantIbLb1EES19_EEDaS14_S15_EUlS14_E_NS1_11comp_targetILNS1_3genE4ELNS1_11target_archE910ELNS1_3gpuE8ELNS1_3repE0EEENS1_30default_config_static_selectorELNS0_4arch9wavefront6targetE1EEEvT1_, .Lfunc_end2277-_ZN7rocprim17ROCPRIM_400000_NS6detail17trampoline_kernelINS0_14default_configENS1_25partition_config_selectorILNS1_17partition_subalgoE1EtNS0_10empty_typeEbEEZZNS1_14partition_implILS5_1ELb0ES3_jN6thrust23THRUST_200600_302600_NS6detail15normal_iteratorINSA_10device_ptrItEEEEPS6_NSA_18transform_iteratorI7is_evenItESF_NSA_11use_defaultESK_EENS0_5tupleIJSF_SF_EEENSM_IJSG_SG_EEES6_PlJS6_EEE10hipError_tPvRmT3_T4_T5_T6_T7_T9_mT8_P12ihipStream_tbDpT10_ENKUlT_T0_E_clISt17integral_constantIbLb1EES19_EEDaS14_S15_EUlS14_E_NS1_11comp_targetILNS1_3genE4ELNS1_11target_archE910ELNS1_3gpuE8ELNS1_3repE0EEENS1_30default_config_static_selectorELNS0_4arch9wavefront6targetE1EEEvT1_
                                        ; -- End function
	.section	.AMDGPU.csdata,"",@progbits
; Kernel info:
; codeLenInByte = 0
; NumSgprs: 6
; NumVgprs: 0
; NumAgprs: 0
; TotalNumVgprs: 0
; ScratchSize: 0
; MemoryBound: 0
; FloatMode: 240
; IeeeMode: 1
; LDSByteSize: 0 bytes/workgroup (compile time only)
; SGPRBlocks: 0
; VGPRBlocks: 0
; NumSGPRsForWavesPerEU: 6
; NumVGPRsForWavesPerEU: 1
; AccumOffset: 4
; Occupancy: 8
; WaveLimiterHint : 0
; COMPUTE_PGM_RSRC2:SCRATCH_EN: 0
; COMPUTE_PGM_RSRC2:USER_SGPR: 2
; COMPUTE_PGM_RSRC2:TRAP_HANDLER: 0
; COMPUTE_PGM_RSRC2:TGID_X_EN: 1
; COMPUTE_PGM_RSRC2:TGID_Y_EN: 0
; COMPUTE_PGM_RSRC2:TGID_Z_EN: 0
; COMPUTE_PGM_RSRC2:TIDIG_COMP_CNT: 0
; COMPUTE_PGM_RSRC3_GFX90A:ACCUM_OFFSET: 0
; COMPUTE_PGM_RSRC3_GFX90A:TG_SPLIT: 0
	.section	.text._ZN7rocprim17ROCPRIM_400000_NS6detail17trampoline_kernelINS0_14default_configENS1_25partition_config_selectorILNS1_17partition_subalgoE1EtNS0_10empty_typeEbEEZZNS1_14partition_implILS5_1ELb0ES3_jN6thrust23THRUST_200600_302600_NS6detail15normal_iteratorINSA_10device_ptrItEEEEPS6_NSA_18transform_iteratorI7is_evenItESF_NSA_11use_defaultESK_EENS0_5tupleIJSF_SF_EEENSM_IJSG_SG_EEES6_PlJS6_EEE10hipError_tPvRmT3_T4_T5_T6_T7_T9_mT8_P12ihipStream_tbDpT10_ENKUlT_T0_E_clISt17integral_constantIbLb1EES19_EEDaS14_S15_EUlS14_E_NS1_11comp_targetILNS1_3genE3ELNS1_11target_archE908ELNS1_3gpuE7ELNS1_3repE0EEENS1_30default_config_static_selectorELNS0_4arch9wavefront6targetE1EEEvT1_,"axG",@progbits,_ZN7rocprim17ROCPRIM_400000_NS6detail17trampoline_kernelINS0_14default_configENS1_25partition_config_selectorILNS1_17partition_subalgoE1EtNS0_10empty_typeEbEEZZNS1_14partition_implILS5_1ELb0ES3_jN6thrust23THRUST_200600_302600_NS6detail15normal_iteratorINSA_10device_ptrItEEEEPS6_NSA_18transform_iteratorI7is_evenItESF_NSA_11use_defaultESK_EENS0_5tupleIJSF_SF_EEENSM_IJSG_SG_EEES6_PlJS6_EEE10hipError_tPvRmT3_T4_T5_T6_T7_T9_mT8_P12ihipStream_tbDpT10_ENKUlT_T0_E_clISt17integral_constantIbLb1EES19_EEDaS14_S15_EUlS14_E_NS1_11comp_targetILNS1_3genE3ELNS1_11target_archE908ELNS1_3gpuE7ELNS1_3repE0EEENS1_30default_config_static_selectorELNS0_4arch9wavefront6targetE1EEEvT1_,comdat
	.protected	_ZN7rocprim17ROCPRIM_400000_NS6detail17trampoline_kernelINS0_14default_configENS1_25partition_config_selectorILNS1_17partition_subalgoE1EtNS0_10empty_typeEbEEZZNS1_14partition_implILS5_1ELb0ES3_jN6thrust23THRUST_200600_302600_NS6detail15normal_iteratorINSA_10device_ptrItEEEEPS6_NSA_18transform_iteratorI7is_evenItESF_NSA_11use_defaultESK_EENS0_5tupleIJSF_SF_EEENSM_IJSG_SG_EEES6_PlJS6_EEE10hipError_tPvRmT3_T4_T5_T6_T7_T9_mT8_P12ihipStream_tbDpT10_ENKUlT_T0_E_clISt17integral_constantIbLb1EES19_EEDaS14_S15_EUlS14_E_NS1_11comp_targetILNS1_3genE3ELNS1_11target_archE908ELNS1_3gpuE7ELNS1_3repE0EEENS1_30default_config_static_selectorELNS0_4arch9wavefront6targetE1EEEvT1_ ; -- Begin function _ZN7rocprim17ROCPRIM_400000_NS6detail17trampoline_kernelINS0_14default_configENS1_25partition_config_selectorILNS1_17partition_subalgoE1EtNS0_10empty_typeEbEEZZNS1_14partition_implILS5_1ELb0ES3_jN6thrust23THRUST_200600_302600_NS6detail15normal_iteratorINSA_10device_ptrItEEEEPS6_NSA_18transform_iteratorI7is_evenItESF_NSA_11use_defaultESK_EENS0_5tupleIJSF_SF_EEENSM_IJSG_SG_EEES6_PlJS6_EEE10hipError_tPvRmT3_T4_T5_T6_T7_T9_mT8_P12ihipStream_tbDpT10_ENKUlT_T0_E_clISt17integral_constantIbLb1EES19_EEDaS14_S15_EUlS14_E_NS1_11comp_targetILNS1_3genE3ELNS1_11target_archE908ELNS1_3gpuE7ELNS1_3repE0EEENS1_30default_config_static_selectorELNS0_4arch9wavefront6targetE1EEEvT1_
	.globl	_ZN7rocprim17ROCPRIM_400000_NS6detail17trampoline_kernelINS0_14default_configENS1_25partition_config_selectorILNS1_17partition_subalgoE1EtNS0_10empty_typeEbEEZZNS1_14partition_implILS5_1ELb0ES3_jN6thrust23THRUST_200600_302600_NS6detail15normal_iteratorINSA_10device_ptrItEEEEPS6_NSA_18transform_iteratorI7is_evenItESF_NSA_11use_defaultESK_EENS0_5tupleIJSF_SF_EEENSM_IJSG_SG_EEES6_PlJS6_EEE10hipError_tPvRmT3_T4_T5_T6_T7_T9_mT8_P12ihipStream_tbDpT10_ENKUlT_T0_E_clISt17integral_constantIbLb1EES19_EEDaS14_S15_EUlS14_E_NS1_11comp_targetILNS1_3genE3ELNS1_11target_archE908ELNS1_3gpuE7ELNS1_3repE0EEENS1_30default_config_static_selectorELNS0_4arch9wavefront6targetE1EEEvT1_
	.p2align	8
	.type	_ZN7rocprim17ROCPRIM_400000_NS6detail17trampoline_kernelINS0_14default_configENS1_25partition_config_selectorILNS1_17partition_subalgoE1EtNS0_10empty_typeEbEEZZNS1_14partition_implILS5_1ELb0ES3_jN6thrust23THRUST_200600_302600_NS6detail15normal_iteratorINSA_10device_ptrItEEEEPS6_NSA_18transform_iteratorI7is_evenItESF_NSA_11use_defaultESK_EENS0_5tupleIJSF_SF_EEENSM_IJSG_SG_EEES6_PlJS6_EEE10hipError_tPvRmT3_T4_T5_T6_T7_T9_mT8_P12ihipStream_tbDpT10_ENKUlT_T0_E_clISt17integral_constantIbLb1EES19_EEDaS14_S15_EUlS14_E_NS1_11comp_targetILNS1_3genE3ELNS1_11target_archE908ELNS1_3gpuE7ELNS1_3repE0EEENS1_30default_config_static_selectorELNS0_4arch9wavefront6targetE1EEEvT1_,@function
_ZN7rocprim17ROCPRIM_400000_NS6detail17trampoline_kernelINS0_14default_configENS1_25partition_config_selectorILNS1_17partition_subalgoE1EtNS0_10empty_typeEbEEZZNS1_14partition_implILS5_1ELb0ES3_jN6thrust23THRUST_200600_302600_NS6detail15normal_iteratorINSA_10device_ptrItEEEEPS6_NSA_18transform_iteratorI7is_evenItESF_NSA_11use_defaultESK_EENS0_5tupleIJSF_SF_EEENSM_IJSG_SG_EEES6_PlJS6_EEE10hipError_tPvRmT3_T4_T5_T6_T7_T9_mT8_P12ihipStream_tbDpT10_ENKUlT_T0_E_clISt17integral_constantIbLb1EES19_EEDaS14_S15_EUlS14_E_NS1_11comp_targetILNS1_3genE3ELNS1_11target_archE908ELNS1_3gpuE7ELNS1_3repE0EEENS1_30default_config_static_selectorELNS0_4arch9wavefront6targetE1EEEvT1_: ; @_ZN7rocprim17ROCPRIM_400000_NS6detail17trampoline_kernelINS0_14default_configENS1_25partition_config_selectorILNS1_17partition_subalgoE1EtNS0_10empty_typeEbEEZZNS1_14partition_implILS5_1ELb0ES3_jN6thrust23THRUST_200600_302600_NS6detail15normal_iteratorINSA_10device_ptrItEEEEPS6_NSA_18transform_iteratorI7is_evenItESF_NSA_11use_defaultESK_EENS0_5tupleIJSF_SF_EEENSM_IJSG_SG_EEES6_PlJS6_EEE10hipError_tPvRmT3_T4_T5_T6_T7_T9_mT8_P12ihipStream_tbDpT10_ENKUlT_T0_E_clISt17integral_constantIbLb1EES19_EEDaS14_S15_EUlS14_E_NS1_11comp_targetILNS1_3genE3ELNS1_11target_archE908ELNS1_3gpuE7ELNS1_3repE0EEENS1_30default_config_static_selectorELNS0_4arch9wavefront6targetE1EEEvT1_
; %bb.0:
	.section	.rodata,"a",@progbits
	.p2align	6, 0x0
	.amdhsa_kernel _ZN7rocprim17ROCPRIM_400000_NS6detail17trampoline_kernelINS0_14default_configENS1_25partition_config_selectorILNS1_17partition_subalgoE1EtNS0_10empty_typeEbEEZZNS1_14partition_implILS5_1ELb0ES3_jN6thrust23THRUST_200600_302600_NS6detail15normal_iteratorINSA_10device_ptrItEEEEPS6_NSA_18transform_iteratorI7is_evenItESF_NSA_11use_defaultESK_EENS0_5tupleIJSF_SF_EEENSM_IJSG_SG_EEES6_PlJS6_EEE10hipError_tPvRmT3_T4_T5_T6_T7_T9_mT8_P12ihipStream_tbDpT10_ENKUlT_T0_E_clISt17integral_constantIbLb1EES19_EEDaS14_S15_EUlS14_E_NS1_11comp_targetILNS1_3genE3ELNS1_11target_archE908ELNS1_3gpuE7ELNS1_3repE0EEENS1_30default_config_static_selectorELNS0_4arch9wavefront6targetE1EEEvT1_
		.amdhsa_group_segment_fixed_size 0
		.amdhsa_private_segment_fixed_size 0
		.amdhsa_kernarg_size 144
		.amdhsa_user_sgpr_count 2
		.amdhsa_user_sgpr_dispatch_ptr 0
		.amdhsa_user_sgpr_queue_ptr 0
		.amdhsa_user_sgpr_kernarg_segment_ptr 1
		.amdhsa_user_sgpr_dispatch_id 0
		.amdhsa_user_sgpr_kernarg_preload_length 0
		.amdhsa_user_sgpr_kernarg_preload_offset 0
		.amdhsa_user_sgpr_private_segment_size 0
		.amdhsa_uses_dynamic_stack 0
		.amdhsa_enable_private_segment 0
		.amdhsa_system_sgpr_workgroup_id_x 1
		.amdhsa_system_sgpr_workgroup_id_y 0
		.amdhsa_system_sgpr_workgroup_id_z 0
		.amdhsa_system_sgpr_workgroup_info 0
		.amdhsa_system_vgpr_workitem_id 0
		.amdhsa_next_free_vgpr 1
		.amdhsa_next_free_sgpr 0
		.amdhsa_accum_offset 4
		.amdhsa_reserve_vcc 0
		.amdhsa_float_round_mode_32 0
		.amdhsa_float_round_mode_16_64 0
		.amdhsa_float_denorm_mode_32 3
		.amdhsa_float_denorm_mode_16_64 3
		.amdhsa_dx10_clamp 1
		.amdhsa_ieee_mode 1
		.amdhsa_fp16_overflow 0
		.amdhsa_tg_split 0
		.amdhsa_exception_fp_ieee_invalid_op 0
		.amdhsa_exception_fp_denorm_src 0
		.amdhsa_exception_fp_ieee_div_zero 0
		.amdhsa_exception_fp_ieee_overflow 0
		.amdhsa_exception_fp_ieee_underflow 0
		.amdhsa_exception_fp_ieee_inexact 0
		.amdhsa_exception_int_div_zero 0
	.end_amdhsa_kernel
	.section	.text._ZN7rocprim17ROCPRIM_400000_NS6detail17trampoline_kernelINS0_14default_configENS1_25partition_config_selectorILNS1_17partition_subalgoE1EtNS0_10empty_typeEbEEZZNS1_14partition_implILS5_1ELb0ES3_jN6thrust23THRUST_200600_302600_NS6detail15normal_iteratorINSA_10device_ptrItEEEEPS6_NSA_18transform_iteratorI7is_evenItESF_NSA_11use_defaultESK_EENS0_5tupleIJSF_SF_EEENSM_IJSG_SG_EEES6_PlJS6_EEE10hipError_tPvRmT3_T4_T5_T6_T7_T9_mT8_P12ihipStream_tbDpT10_ENKUlT_T0_E_clISt17integral_constantIbLb1EES19_EEDaS14_S15_EUlS14_E_NS1_11comp_targetILNS1_3genE3ELNS1_11target_archE908ELNS1_3gpuE7ELNS1_3repE0EEENS1_30default_config_static_selectorELNS0_4arch9wavefront6targetE1EEEvT1_,"axG",@progbits,_ZN7rocprim17ROCPRIM_400000_NS6detail17trampoline_kernelINS0_14default_configENS1_25partition_config_selectorILNS1_17partition_subalgoE1EtNS0_10empty_typeEbEEZZNS1_14partition_implILS5_1ELb0ES3_jN6thrust23THRUST_200600_302600_NS6detail15normal_iteratorINSA_10device_ptrItEEEEPS6_NSA_18transform_iteratorI7is_evenItESF_NSA_11use_defaultESK_EENS0_5tupleIJSF_SF_EEENSM_IJSG_SG_EEES6_PlJS6_EEE10hipError_tPvRmT3_T4_T5_T6_T7_T9_mT8_P12ihipStream_tbDpT10_ENKUlT_T0_E_clISt17integral_constantIbLb1EES19_EEDaS14_S15_EUlS14_E_NS1_11comp_targetILNS1_3genE3ELNS1_11target_archE908ELNS1_3gpuE7ELNS1_3repE0EEENS1_30default_config_static_selectorELNS0_4arch9wavefront6targetE1EEEvT1_,comdat
.Lfunc_end2278:
	.size	_ZN7rocprim17ROCPRIM_400000_NS6detail17trampoline_kernelINS0_14default_configENS1_25partition_config_selectorILNS1_17partition_subalgoE1EtNS0_10empty_typeEbEEZZNS1_14partition_implILS5_1ELb0ES3_jN6thrust23THRUST_200600_302600_NS6detail15normal_iteratorINSA_10device_ptrItEEEEPS6_NSA_18transform_iteratorI7is_evenItESF_NSA_11use_defaultESK_EENS0_5tupleIJSF_SF_EEENSM_IJSG_SG_EEES6_PlJS6_EEE10hipError_tPvRmT3_T4_T5_T6_T7_T9_mT8_P12ihipStream_tbDpT10_ENKUlT_T0_E_clISt17integral_constantIbLb1EES19_EEDaS14_S15_EUlS14_E_NS1_11comp_targetILNS1_3genE3ELNS1_11target_archE908ELNS1_3gpuE7ELNS1_3repE0EEENS1_30default_config_static_selectorELNS0_4arch9wavefront6targetE1EEEvT1_, .Lfunc_end2278-_ZN7rocprim17ROCPRIM_400000_NS6detail17trampoline_kernelINS0_14default_configENS1_25partition_config_selectorILNS1_17partition_subalgoE1EtNS0_10empty_typeEbEEZZNS1_14partition_implILS5_1ELb0ES3_jN6thrust23THRUST_200600_302600_NS6detail15normal_iteratorINSA_10device_ptrItEEEEPS6_NSA_18transform_iteratorI7is_evenItESF_NSA_11use_defaultESK_EENS0_5tupleIJSF_SF_EEENSM_IJSG_SG_EEES6_PlJS6_EEE10hipError_tPvRmT3_T4_T5_T6_T7_T9_mT8_P12ihipStream_tbDpT10_ENKUlT_T0_E_clISt17integral_constantIbLb1EES19_EEDaS14_S15_EUlS14_E_NS1_11comp_targetILNS1_3genE3ELNS1_11target_archE908ELNS1_3gpuE7ELNS1_3repE0EEENS1_30default_config_static_selectorELNS0_4arch9wavefront6targetE1EEEvT1_
                                        ; -- End function
	.section	.AMDGPU.csdata,"",@progbits
; Kernel info:
; codeLenInByte = 0
; NumSgprs: 6
; NumVgprs: 0
; NumAgprs: 0
; TotalNumVgprs: 0
; ScratchSize: 0
; MemoryBound: 0
; FloatMode: 240
; IeeeMode: 1
; LDSByteSize: 0 bytes/workgroup (compile time only)
; SGPRBlocks: 0
; VGPRBlocks: 0
; NumSGPRsForWavesPerEU: 6
; NumVGPRsForWavesPerEU: 1
; AccumOffset: 4
; Occupancy: 8
; WaveLimiterHint : 0
; COMPUTE_PGM_RSRC2:SCRATCH_EN: 0
; COMPUTE_PGM_RSRC2:USER_SGPR: 2
; COMPUTE_PGM_RSRC2:TRAP_HANDLER: 0
; COMPUTE_PGM_RSRC2:TGID_X_EN: 1
; COMPUTE_PGM_RSRC2:TGID_Y_EN: 0
; COMPUTE_PGM_RSRC2:TGID_Z_EN: 0
; COMPUTE_PGM_RSRC2:TIDIG_COMP_CNT: 0
; COMPUTE_PGM_RSRC3_GFX90A:ACCUM_OFFSET: 0
; COMPUTE_PGM_RSRC3_GFX90A:TG_SPLIT: 0
	.section	.text._ZN7rocprim17ROCPRIM_400000_NS6detail17trampoline_kernelINS0_14default_configENS1_25partition_config_selectorILNS1_17partition_subalgoE1EtNS0_10empty_typeEbEEZZNS1_14partition_implILS5_1ELb0ES3_jN6thrust23THRUST_200600_302600_NS6detail15normal_iteratorINSA_10device_ptrItEEEEPS6_NSA_18transform_iteratorI7is_evenItESF_NSA_11use_defaultESK_EENS0_5tupleIJSF_SF_EEENSM_IJSG_SG_EEES6_PlJS6_EEE10hipError_tPvRmT3_T4_T5_T6_T7_T9_mT8_P12ihipStream_tbDpT10_ENKUlT_T0_E_clISt17integral_constantIbLb1EES19_EEDaS14_S15_EUlS14_E_NS1_11comp_targetILNS1_3genE2ELNS1_11target_archE906ELNS1_3gpuE6ELNS1_3repE0EEENS1_30default_config_static_selectorELNS0_4arch9wavefront6targetE1EEEvT1_,"axG",@progbits,_ZN7rocprim17ROCPRIM_400000_NS6detail17trampoline_kernelINS0_14default_configENS1_25partition_config_selectorILNS1_17partition_subalgoE1EtNS0_10empty_typeEbEEZZNS1_14partition_implILS5_1ELb0ES3_jN6thrust23THRUST_200600_302600_NS6detail15normal_iteratorINSA_10device_ptrItEEEEPS6_NSA_18transform_iteratorI7is_evenItESF_NSA_11use_defaultESK_EENS0_5tupleIJSF_SF_EEENSM_IJSG_SG_EEES6_PlJS6_EEE10hipError_tPvRmT3_T4_T5_T6_T7_T9_mT8_P12ihipStream_tbDpT10_ENKUlT_T0_E_clISt17integral_constantIbLb1EES19_EEDaS14_S15_EUlS14_E_NS1_11comp_targetILNS1_3genE2ELNS1_11target_archE906ELNS1_3gpuE6ELNS1_3repE0EEENS1_30default_config_static_selectorELNS0_4arch9wavefront6targetE1EEEvT1_,comdat
	.protected	_ZN7rocprim17ROCPRIM_400000_NS6detail17trampoline_kernelINS0_14default_configENS1_25partition_config_selectorILNS1_17partition_subalgoE1EtNS0_10empty_typeEbEEZZNS1_14partition_implILS5_1ELb0ES3_jN6thrust23THRUST_200600_302600_NS6detail15normal_iteratorINSA_10device_ptrItEEEEPS6_NSA_18transform_iteratorI7is_evenItESF_NSA_11use_defaultESK_EENS0_5tupleIJSF_SF_EEENSM_IJSG_SG_EEES6_PlJS6_EEE10hipError_tPvRmT3_T4_T5_T6_T7_T9_mT8_P12ihipStream_tbDpT10_ENKUlT_T0_E_clISt17integral_constantIbLb1EES19_EEDaS14_S15_EUlS14_E_NS1_11comp_targetILNS1_3genE2ELNS1_11target_archE906ELNS1_3gpuE6ELNS1_3repE0EEENS1_30default_config_static_selectorELNS0_4arch9wavefront6targetE1EEEvT1_ ; -- Begin function _ZN7rocprim17ROCPRIM_400000_NS6detail17trampoline_kernelINS0_14default_configENS1_25partition_config_selectorILNS1_17partition_subalgoE1EtNS0_10empty_typeEbEEZZNS1_14partition_implILS5_1ELb0ES3_jN6thrust23THRUST_200600_302600_NS6detail15normal_iteratorINSA_10device_ptrItEEEEPS6_NSA_18transform_iteratorI7is_evenItESF_NSA_11use_defaultESK_EENS0_5tupleIJSF_SF_EEENSM_IJSG_SG_EEES6_PlJS6_EEE10hipError_tPvRmT3_T4_T5_T6_T7_T9_mT8_P12ihipStream_tbDpT10_ENKUlT_T0_E_clISt17integral_constantIbLb1EES19_EEDaS14_S15_EUlS14_E_NS1_11comp_targetILNS1_3genE2ELNS1_11target_archE906ELNS1_3gpuE6ELNS1_3repE0EEENS1_30default_config_static_selectorELNS0_4arch9wavefront6targetE1EEEvT1_
	.globl	_ZN7rocprim17ROCPRIM_400000_NS6detail17trampoline_kernelINS0_14default_configENS1_25partition_config_selectorILNS1_17partition_subalgoE1EtNS0_10empty_typeEbEEZZNS1_14partition_implILS5_1ELb0ES3_jN6thrust23THRUST_200600_302600_NS6detail15normal_iteratorINSA_10device_ptrItEEEEPS6_NSA_18transform_iteratorI7is_evenItESF_NSA_11use_defaultESK_EENS0_5tupleIJSF_SF_EEENSM_IJSG_SG_EEES6_PlJS6_EEE10hipError_tPvRmT3_T4_T5_T6_T7_T9_mT8_P12ihipStream_tbDpT10_ENKUlT_T0_E_clISt17integral_constantIbLb1EES19_EEDaS14_S15_EUlS14_E_NS1_11comp_targetILNS1_3genE2ELNS1_11target_archE906ELNS1_3gpuE6ELNS1_3repE0EEENS1_30default_config_static_selectorELNS0_4arch9wavefront6targetE1EEEvT1_
	.p2align	8
	.type	_ZN7rocprim17ROCPRIM_400000_NS6detail17trampoline_kernelINS0_14default_configENS1_25partition_config_selectorILNS1_17partition_subalgoE1EtNS0_10empty_typeEbEEZZNS1_14partition_implILS5_1ELb0ES3_jN6thrust23THRUST_200600_302600_NS6detail15normal_iteratorINSA_10device_ptrItEEEEPS6_NSA_18transform_iteratorI7is_evenItESF_NSA_11use_defaultESK_EENS0_5tupleIJSF_SF_EEENSM_IJSG_SG_EEES6_PlJS6_EEE10hipError_tPvRmT3_T4_T5_T6_T7_T9_mT8_P12ihipStream_tbDpT10_ENKUlT_T0_E_clISt17integral_constantIbLb1EES19_EEDaS14_S15_EUlS14_E_NS1_11comp_targetILNS1_3genE2ELNS1_11target_archE906ELNS1_3gpuE6ELNS1_3repE0EEENS1_30default_config_static_selectorELNS0_4arch9wavefront6targetE1EEEvT1_,@function
_ZN7rocprim17ROCPRIM_400000_NS6detail17trampoline_kernelINS0_14default_configENS1_25partition_config_selectorILNS1_17partition_subalgoE1EtNS0_10empty_typeEbEEZZNS1_14partition_implILS5_1ELb0ES3_jN6thrust23THRUST_200600_302600_NS6detail15normal_iteratorINSA_10device_ptrItEEEEPS6_NSA_18transform_iteratorI7is_evenItESF_NSA_11use_defaultESK_EENS0_5tupleIJSF_SF_EEENSM_IJSG_SG_EEES6_PlJS6_EEE10hipError_tPvRmT3_T4_T5_T6_T7_T9_mT8_P12ihipStream_tbDpT10_ENKUlT_T0_E_clISt17integral_constantIbLb1EES19_EEDaS14_S15_EUlS14_E_NS1_11comp_targetILNS1_3genE2ELNS1_11target_archE906ELNS1_3gpuE6ELNS1_3repE0EEENS1_30default_config_static_selectorELNS0_4arch9wavefront6targetE1EEEvT1_: ; @_ZN7rocprim17ROCPRIM_400000_NS6detail17trampoline_kernelINS0_14default_configENS1_25partition_config_selectorILNS1_17partition_subalgoE1EtNS0_10empty_typeEbEEZZNS1_14partition_implILS5_1ELb0ES3_jN6thrust23THRUST_200600_302600_NS6detail15normal_iteratorINSA_10device_ptrItEEEEPS6_NSA_18transform_iteratorI7is_evenItESF_NSA_11use_defaultESK_EENS0_5tupleIJSF_SF_EEENSM_IJSG_SG_EEES6_PlJS6_EEE10hipError_tPvRmT3_T4_T5_T6_T7_T9_mT8_P12ihipStream_tbDpT10_ENKUlT_T0_E_clISt17integral_constantIbLb1EES19_EEDaS14_S15_EUlS14_E_NS1_11comp_targetILNS1_3genE2ELNS1_11target_archE906ELNS1_3gpuE6ELNS1_3repE0EEENS1_30default_config_static_selectorELNS0_4arch9wavefront6targetE1EEEvT1_
; %bb.0:
	.section	.rodata,"a",@progbits
	.p2align	6, 0x0
	.amdhsa_kernel _ZN7rocprim17ROCPRIM_400000_NS6detail17trampoline_kernelINS0_14default_configENS1_25partition_config_selectorILNS1_17partition_subalgoE1EtNS0_10empty_typeEbEEZZNS1_14partition_implILS5_1ELb0ES3_jN6thrust23THRUST_200600_302600_NS6detail15normal_iteratorINSA_10device_ptrItEEEEPS6_NSA_18transform_iteratorI7is_evenItESF_NSA_11use_defaultESK_EENS0_5tupleIJSF_SF_EEENSM_IJSG_SG_EEES6_PlJS6_EEE10hipError_tPvRmT3_T4_T5_T6_T7_T9_mT8_P12ihipStream_tbDpT10_ENKUlT_T0_E_clISt17integral_constantIbLb1EES19_EEDaS14_S15_EUlS14_E_NS1_11comp_targetILNS1_3genE2ELNS1_11target_archE906ELNS1_3gpuE6ELNS1_3repE0EEENS1_30default_config_static_selectorELNS0_4arch9wavefront6targetE1EEEvT1_
		.amdhsa_group_segment_fixed_size 0
		.amdhsa_private_segment_fixed_size 0
		.amdhsa_kernarg_size 144
		.amdhsa_user_sgpr_count 2
		.amdhsa_user_sgpr_dispatch_ptr 0
		.amdhsa_user_sgpr_queue_ptr 0
		.amdhsa_user_sgpr_kernarg_segment_ptr 1
		.amdhsa_user_sgpr_dispatch_id 0
		.amdhsa_user_sgpr_kernarg_preload_length 0
		.amdhsa_user_sgpr_kernarg_preload_offset 0
		.amdhsa_user_sgpr_private_segment_size 0
		.amdhsa_uses_dynamic_stack 0
		.amdhsa_enable_private_segment 0
		.amdhsa_system_sgpr_workgroup_id_x 1
		.amdhsa_system_sgpr_workgroup_id_y 0
		.amdhsa_system_sgpr_workgroup_id_z 0
		.amdhsa_system_sgpr_workgroup_info 0
		.amdhsa_system_vgpr_workitem_id 0
		.amdhsa_next_free_vgpr 1
		.amdhsa_next_free_sgpr 0
		.amdhsa_accum_offset 4
		.amdhsa_reserve_vcc 0
		.amdhsa_float_round_mode_32 0
		.amdhsa_float_round_mode_16_64 0
		.amdhsa_float_denorm_mode_32 3
		.amdhsa_float_denorm_mode_16_64 3
		.amdhsa_dx10_clamp 1
		.amdhsa_ieee_mode 1
		.amdhsa_fp16_overflow 0
		.amdhsa_tg_split 0
		.amdhsa_exception_fp_ieee_invalid_op 0
		.amdhsa_exception_fp_denorm_src 0
		.amdhsa_exception_fp_ieee_div_zero 0
		.amdhsa_exception_fp_ieee_overflow 0
		.amdhsa_exception_fp_ieee_underflow 0
		.amdhsa_exception_fp_ieee_inexact 0
		.amdhsa_exception_int_div_zero 0
	.end_amdhsa_kernel
	.section	.text._ZN7rocprim17ROCPRIM_400000_NS6detail17trampoline_kernelINS0_14default_configENS1_25partition_config_selectorILNS1_17partition_subalgoE1EtNS0_10empty_typeEbEEZZNS1_14partition_implILS5_1ELb0ES3_jN6thrust23THRUST_200600_302600_NS6detail15normal_iteratorINSA_10device_ptrItEEEEPS6_NSA_18transform_iteratorI7is_evenItESF_NSA_11use_defaultESK_EENS0_5tupleIJSF_SF_EEENSM_IJSG_SG_EEES6_PlJS6_EEE10hipError_tPvRmT3_T4_T5_T6_T7_T9_mT8_P12ihipStream_tbDpT10_ENKUlT_T0_E_clISt17integral_constantIbLb1EES19_EEDaS14_S15_EUlS14_E_NS1_11comp_targetILNS1_3genE2ELNS1_11target_archE906ELNS1_3gpuE6ELNS1_3repE0EEENS1_30default_config_static_selectorELNS0_4arch9wavefront6targetE1EEEvT1_,"axG",@progbits,_ZN7rocprim17ROCPRIM_400000_NS6detail17trampoline_kernelINS0_14default_configENS1_25partition_config_selectorILNS1_17partition_subalgoE1EtNS0_10empty_typeEbEEZZNS1_14partition_implILS5_1ELb0ES3_jN6thrust23THRUST_200600_302600_NS6detail15normal_iteratorINSA_10device_ptrItEEEEPS6_NSA_18transform_iteratorI7is_evenItESF_NSA_11use_defaultESK_EENS0_5tupleIJSF_SF_EEENSM_IJSG_SG_EEES6_PlJS6_EEE10hipError_tPvRmT3_T4_T5_T6_T7_T9_mT8_P12ihipStream_tbDpT10_ENKUlT_T0_E_clISt17integral_constantIbLb1EES19_EEDaS14_S15_EUlS14_E_NS1_11comp_targetILNS1_3genE2ELNS1_11target_archE906ELNS1_3gpuE6ELNS1_3repE0EEENS1_30default_config_static_selectorELNS0_4arch9wavefront6targetE1EEEvT1_,comdat
.Lfunc_end2279:
	.size	_ZN7rocprim17ROCPRIM_400000_NS6detail17trampoline_kernelINS0_14default_configENS1_25partition_config_selectorILNS1_17partition_subalgoE1EtNS0_10empty_typeEbEEZZNS1_14partition_implILS5_1ELb0ES3_jN6thrust23THRUST_200600_302600_NS6detail15normal_iteratorINSA_10device_ptrItEEEEPS6_NSA_18transform_iteratorI7is_evenItESF_NSA_11use_defaultESK_EENS0_5tupleIJSF_SF_EEENSM_IJSG_SG_EEES6_PlJS6_EEE10hipError_tPvRmT3_T4_T5_T6_T7_T9_mT8_P12ihipStream_tbDpT10_ENKUlT_T0_E_clISt17integral_constantIbLb1EES19_EEDaS14_S15_EUlS14_E_NS1_11comp_targetILNS1_3genE2ELNS1_11target_archE906ELNS1_3gpuE6ELNS1_3repE0EEENS1_30default_config_static_selectorELNS0_4arch9wavefront6targetE1EEEvT1_, .Lfunc_end2279-_ZN7rocprim17ROCPRIM_400000_NS6detail17trampoline_kernelINS0_14default_configENS1_25partition_config_selectorILNS1_17partition_subalgoE1EtNS0_10empty_typeEbEEZZNS1_14partition_implILS5_1ELb0ES3_jN6thrust23THRUST_200600_302600_NS6detail15normal_iteratorINSA_10device_ptrItEEEEPS6_NSA_18transform_iteratorI7is_evenItESF_NSA_11use_defaultESK_EENS0_5tupleIJSF_SF_EEENSM_IJSG_SG_EEES6_PlJS6_EEE10hipError_tPvRmT3_T4_T5_T6_T7_T9_mT8_P12ihipStream_tbDpT10_ENKUlT_T0_E_clISt17integral_constantIbLb1EES19_EEDaS14_S15_EUlS14_E_NS1_11comp_targetILNS1_3genE2ELNS1_11target_archE906ELNS1_3gpuE6ELNS1_3repE0EEENS1_30default_config_static_selectorELNS0_4arch9wavefront6targetE1EEEvT1_
                                        ; -- End function
	.section	.AMDGPU.csdata,"",@progbits
; Kernel info:
; codeLenInByte = 0
; NumSgprs: 6
; NumVgprs: 0
; NumAgprs: 0
; TotalNumVgprs: 0
; ScratchSize: 0
; MemoryBound: 0
; FloatMode: 240
; IeeeMode: 1
; LDSByteSize: 0 bytes/workgroup (compile time only)
; SGPRBlocks: 0
; VGPRBlocks: 0
; NumSGPRsForWavesPerEU: 6
; NumVGPRsForWavesPerEU: 1
; AccumOffset: 4
; Occupancy: 8
; WaveLimiterHint : 0
; COMPUTE_PGM_RSRC2:SCRATCH_EN: 0
; COMPUTE_PGM_RSRC2:USER_SGPR: 2
; COMPUTE_PGM_RSRC2:TRAP_HANDLER: 0
; COMPUTE_PGM_RSRC2:TGID_X_EN: 1
; COMPUTE_PGM_RSRC2:TGID_Y_EN: 0
; COMPUTE_PGM_RSRC2:TGID_Z_EN: 0
; COMPUTE_PGM_RSRC2:TIDIG_COMP_CNT: 0
; COMPUTE_PGM_RSRC3_GFX90A:ACCUM_OFFSET: 0
; COMPUTE_PGM_RSRC3_GFX90A:TG_SPLIT: 0
	.section	.text._ZN7rocprim17ROCPRIM_400000_NS6detail17trampoline_kernelINS0_14default_configENS1_25partition_config_selectorILNS1_17partition_subalgoE1EtNS0_10empty_typeEbEEZZNS1_14partition_implILS5_1ELb0ES3_jN6thrust23THRUST_200600_302600_NS6detail15normal_iteratorINSA_10device_ptrItEEEEPS6_NSA_18transform_iteratorI7is_evenItESF_NSA_11use_defaultESK_EENS0_5tupleIJSF_SF_EEENSM_IJSG_SG_EEES6_PlJS6_EEE10hipError_tPvRmT3_T4_T5_T6_T7_T9_mT8_P12ihipStream_tbDpT10_ENKUlT_T0_E_clISt17integral_constantIbLb1EES19_EEDaS14_S15_EUlS14_E_NS1_11comp_targetILNS1_3genE10ELNS1_11target_archE1200ELNS1_3gpuE4ELNS1_3repE0EEENS1_30default_config_static_selectorELNS0_4arch9wavefront6targetE1EEEvT1_,"axG",@progbits,_ZN7rocprim17ROCPRIM_400000_NS6detail17trampoline_kernelINS0_14default_configENS1_25partition_config_selectorILNS1_17partition_subalgoE1EtNS0_10empty_typeEbEEZZNS1_14partition_implILS5_1ELb0ES3_jN6thrust23THRUST_200600_302600_NS6detail15normal_iteratorINSA_10device_ptrItEEEEPS6_NSA_18transform_iteratorI7is_evenItESF_NSA_11use_defaultESK_EENS0_5tupleIJSF_SF_EEENSM_IJSG_SG_EEES6_PlJS6_EEE10hipError_tPvRmT3_T4_T5_T6_T7_T9_mT8_P12ihipStream_tbDpT10_ENKUlT_T0_E_clISt17integral_constantIbLb1EES19_EEDaS14_S15_EUlS14_E_NS1_11comp_targetILNS1_3genE10ELNS1_11target_archE1200ELNS1_3gpuE4ELNS1_3repE0EEENS1_30default_config_static_selectorELNS0_4arch9wavefront6targetE1EEEvT1_,comdat
	.protected	_ZN7rocprim17ROCPRIM_400000_NS6detail17trampoline_kernelINS0_14default_configENS1_25partition_config_selectorILNS1_17partition_subalgoE1EtNS0_10empty_typeEbEEZZNS1_14partition_implILS5_1ELb0ES3_jN6thrust23THRUST_200600_302600_NS6detail15normal_iteratorINSA_10device_ptrItEEEEPS6_NSA_18transform_iteratorI7is_evenItESF_NSA_11use_defaultESK_EENS0_5tupleIJSF_SF_EEENSM_IJSG_SG_EEES6_PlJS6_EEE10hipError_tPvRmT3_T4_T5_T6_T7_T9_mT8_P12ihipStream_tbDpT10_ENKUlT_T0_E_clISt17integral_constantIbLb1EES19_EEDaS14_S15_EUlS14_E_NS1_11comp_targetILNS1_3genE10ELNS1_11target_archE1200ELNS1_3gpuE4ELNS1_3repE0EEENS1_30default_config_static_selectorELNS0_4arch9wavefront6targetE1EEEvT1_ ; -- Begin function _ZN7rocprim17ROCPRIM_400000_NS6detail17trampoline_kernelINS0_14default_configENS1_25partition_config_selectorILNS1_17partition_subalgoE1EtNS0_10empty_typeEbEEZZNS1_14partition_implILS5_1ELb0ES3_jN6thrust23THRUST_200600_302600_NS6detail15normal_iteratorINSA_10device_ptrItEEEEPS6_NSA_18transform_iteratorI7is_evenItESF_NSA_11use_defaultESK_EENS0_5tupleIJSF_SF_EEENSM_IJSG_SG_EEES6_PlJS6_EEE10hipError_tPvRmT3_T4_T5_T6_T7_T9_mT8_P12ihipStream_tbDpT10_ENKUlT_T0_E_clISt17integral_constantIbLb1EES19_EEDaS14_S15_EUlS14_E_NS1_11comp_targetILNS1_3genE10ELNS1_11target_archE1200ELNS1_3gpuE4ELNS1_3repE0EEENS1_30default_config_static_selectorELNS0_4arch9wavefront6targetE1EEEvT1_
	.globl	_ZN7rocprim17ROCPRIM_400000_NS6detail17trampoline_kernelINS0_14default_configENS1_25partition_config_selectorILNS1_17partition_subalgoE1EtNS0_10empty_typeEbEEZZNS1_14partition_implILS5_1ELb0ES3_jN6thrust23THRUST_200600_302600_NS6detail15normal_iteratorINSA_10device_ptrItEEEEPS6_NSA_18transform_iteratorI7is_evenItESF_NSA_11use_defaultESK_EENS0_5tupleIJSF_SF_EEENSM_IJSG_SG_EEES6_PlJS6_EEE10hipError_tPvRmT3_T4_T5_T6_T7_T9_mT8_P12ihipStream_tbDpT10_ENKUlT_T0_E_clISt17integral_constantIbLb1EES19_EEDaS14_S15_EUlS14_E_NS1_11comp_targetILNS1_3genE10ELNS1_11target_archE1200ELNS1_3gpuE4ELNS1_3repE0EEENS1_30default_config_static_selectorELNS0_4arch9wavefront6targetE1EEEvT1_
	.p2align	8
	.type	_ZN7rocprim17ROCPRIM_400000_NS6detail17trampoline_kernelINS0_14default_configENS1_25partition_config_selectorILNS1_17partition_subalgoE1EtNS0_10empty_typeEbEEZZNS1_14partition_implILS5_1ELb0ES3_jN6thrust23THRUST_200600_302600_NS6detail15normal_iteratorINSA_10device_ptrItEEEEPS6_NSA_18transform_iteratorI7is_evenItESF_NSA_11use_defaultESK_EENS0_5tupleIJSF_SF_EEENSM_IJSG_SG_EEES6_PlJS6_EEE10hipError_tPvRmT3_T4_T5_T6_T7_T9_mT8_P12ihipStream_tbDpT10_ENKUlT_T0_E_clISt17integral_constantIbLb1EES19_EEDaS14_S15_EUlS14_E_NS1_11comp_targetILNS1_3genE10ELNS1_11target_archE1200ELNS1_3gpuE4ELNS1_3repE0EEENS1_30default_config_static_selectorELNS0_4arch9wavefront6targetE1EEEvT1_,@function
_ZN7rocprim17ROCPRIM_400000_NS6detail17trampoline_kernelINS0_14default_configENS1_25partition_config_selectorILNS1_17partition_subalgoE1EtNS0_10empty_typeEbEEZZNS1_14partition_implILS5_1ELb0ES3_jN6thrust23THRUST_200600_302600_NS6detail15normal_iteratorINSA_10device_ptrItEEEEPS6_NSA_18transform_iteratorI7is_evenItESF_NSA_11use_defaultESK_EENS0_5tupleIJSF_SF_EEENSM_IJSG_SG_EEES6_PlJS6_EEE10hipError_tPvRmT3_T4_T5_T6_T7_T9_mT8_P12ihipStream_tbDpT10_ENKUlT_T0_E_clISt17integral_constantIbLb1EES19_EEDaS14_S15_EUlS14_E_NS1_11comp_targetILNS1_3genE10ELNS1_11target_archE1200ELNS1_3gpuE4ELNS1_3repE0EEENS1_30default_config_static_selectorELNS0_4arch9wavefront6targetE1EEEvT1_: ; @_ZN7rocprim17ROCPRIM_400000_NS6detail17trampoline_kernelINS0_14default_configENS1_25partition_config_selectorILNS1_17partition_subalgoE1EtNS0_10empty_typeEbEEZZNS1_14partition_implILS5_1ELb0ES3_jN6thrust23THRUST_200600_302600_NS6detail15normal_iteratorINSA_10device_ptrItEEEEPS6_NSA_18transform_iteratorI7is_evenItESF_NSA_11use_defaultESK_EENS0_5tupleIJSF_SF_EEENSM_IJSG_SG_EEES6_PlJS6_EEE10hipError_tPvRmT3_T4_T5_T6_T7_T9_mT8_P12ihipStream_tbDpT10_ENKUlT_T0_E_clISt17integral_constantIbLb1EES19_EEDaS14_S15_EUlS14_E_NS1_11comp_targetILNS1_3genE10ELNS1_11target_archE1200ELNS1_3gpuE4ELNS1_3repE0EEENS1_30default_config_static_selectorELNS0_4arch9wavefront6targetE1EEEvT1_
; %bb.0:
	.section	.rodata,"a",@progbits
	.p2align	6, 0x0
	.amdhsa_kernel _ZN7rocprim17ROCPRIM_400000_NS6detail17trampoline_kernelINS0_14default_configENS1_25partition_config_selectorILNS1_17partition_subalgoE1EtNS0_10empty_typeEbEEZZNS1_14partition_implILS5_1ELb0ES3_jN6thrust23THRUST_200600_302600_NS6detail15normal_iteratorINSA_10device_ptrItEEEEPS6_NSA_18transform_iteratorI7is_evenItESF_NSA_11use_defaultESK_EENS0_5tupleIJSF_SF_EEENSM_IJSG_SG_EEES6_PlJS6_EEE10hipError_tPvRmT3_T4_T5_T6_T7_T9_mT8_P12ihipStream_tbDpT10_ENKUlT_T0_E_clISt17integral_constantIbLb1EES19_EEDaS14_S15_EUlS14_E_NS1_11comp_targetILNS1_3genE10ELNS1_11target_archE1200ELNS1_3gpuE4ELNS1_3repE0EEENS1_30default_config_static_selectorELNS0_4arch9wavefront6targetE1EEEvT1_
		.amdhsa_group_segment_fixed_size 0
		.amdhsa_private_segment_fixed_size 0
		.amdhsa_kernarg_size 144
		.amdhsa_user_sgpr_count 2
		.amdhsa_user_sgpr_dispatch_ptr 0
		.amdhsa_user_sgpr_queue_ptr 0
		.amdhsa_user_sgpr_kernarg_segment_ptr 1
		.amdhsa_user_sgpr_dispatch_id 0
		.amdhsa_user_sgpr_kernarg_preload_length 0
		.amdhsa_user_sgpr_kernarg_preload_offset 0
		.amdhsa_user_sgpr_private_segment_size 0
		.amdhsa_uses_dynamic_stack 0
		.amdhsa_enable_private_segment 0
		.amdhsa_system_sgpr_workgroup_id_x 1
		.amdhsa_system_sgpr_workgroup_id_y 0
		.amdhsa_system_sgpr_workgroup_id_z 0
		.amdhsa_system_sgpr_workgroup_info 0
		.amdhsa_system_vgpr_workitem_id 0
		.amdhsa_next_free_vgpr 1
		.amdhsa_next_free_sgpr 0
		.amdhsa_accum_offset 4
		.amdhsa_reserve_vcc 0
		.amdhsa_float_round_mode_32 0
		.amdhsa_float_round_mode_16_64 0
		.amdhsa_float_denorm_mode_32 3
		.amdhsa_float_denorm_mode_16_64 3
		.amdhsa_dx10_clamp 1
		.amdhsa_ieee_mode 1
		.amdhsa_fp16_overflow 0
		.amdhsa_tg_split 0
		.amdhsa_exception_fp_ieee_invalid_op 0
		.amdhsa_exception_fp_denorm_src 0
		.amdhsa_exception_fp_ieee_div_zero 0
		.amdhsa_exception_fp_ieee_overflow 0
		.amdhsa_exception_fp_ieee_underflow 0
		.amdhsa_exception_fp_ieee_inexact 0
		.amdhsa_exception_int_div_zero 0
	.end_amdhsa_kernel
	.section	.text._ZN7rocprim17ROCPRIM_400000_NS6detail17trampoline_kernelINS0_14default_configENS1_25partition_config_selectorILNS1_17partition_subalgoE1EtNS0_10empty_typeEbEEZZNS1_14partition_implILS5_1ELb0ES3_jN6thrust23THRUST_200600_302600_NS6detail15normal_iteratorINSA_10device_ptrItEEEEPS6_NSA_18transform_iteratorI7is_evenItESF_NSA_11use_defaultESK_EENS0_5tupleIJSF_SF_EEENSM_IJSG_SG_EEES6_PlJS6_EEE10hipError_tPvRmT3_T4_T5_T6_T7_T9_mT8_P12ihipStream_tbDpT10_ENKUlT_T0_E_clISt17integral_constantIbLb1EES19_EEDaS14_S15_EUlS14_E_NS1_11comp_targetILNS1_3genE10ELNS1_11target_archE1200ELNS1_3gpuE4ELNS1_3repE0EEENS1_30default_config_static_selectorELNS0_4arch9wavefront6targetE1EEEvT1_,"axG",@progbits,_ZN7rocprim17ROCPRIM_400000_NS6detail17trampoline_kernelINS0_14default_configENS1_25partition_config_selectorILNS1_17partition_subalgoE1EtNS0_10empty_typeEbEEZZNS1_14partition_implILS5_1ELb0ES3_jN6thrust23THRUST_200600_302600_NS6detail15normal_iteratorINSA_10device_ptrItEEEEPS6_NSA_18transform_iteratorI7is_evenItESF_NSA_11use_defaultESK_EENS0_5tupleIJSF_SF_EEENSM_IJSG_SG_EEES6_PlJS6_EEE10hipError_tPvRmT3_T4_T5_T6_T7_T9_mT8_P12ihipStream_tbDpT10_ENKUlT_T0_E_clISt17integral_constantIbLb1EES19_EEDaS14_S15_EUlS14_E_NS1_11comp_targetILNS1_3genE10ELNS1_11target_archE1200ELNS1_3gpuE4ELNS1_3repE0EEENS1_30default_config_static_selectorELNS0_4arch9wavefront6targetE1EEEvT1_,comdat
.Lfunc_end2280:
	.size	_ZN7rocprim17ROCPRIM_400000_NS6detail17trampoline_kernelINS0_14default_configENS1_25partition_config_selectorILNS1_17partition_subalgoE1EtNS0_10empty_typeEbEEZZNS1_14partition_implILS5_1ELb0ES3_jN6thrust23THRUST_200600_302600_NS6detail15normal_iteratorINSA_10device_ptrItEEEEPS6_NSA_18transform_iteratorI7is_evenItESF_NSA_11use_defaultESK_EENS0_5tupleIJSF_SF_EEENSM_IJSG_SG_EEES6_PlJS6_EEE10hipError_tPvRmT3_T4_T5_T6_T7_T9_mT8_P12ihipStream_tbDpT10_ENKUlT_T0_E_clISt17integral_constantIbLb1EES19_EEDaS14_S15_EUlS14_E_NS1_11comp_targetILNS1_3genE10ELNS1_11target_archE1200ELNS1_3gpuE4ELNS1_3repE0EEENS1_30default_config_static_selectorELNS0_4arch9wavefront6targetE1EEEvT1_, .Lfunc_end2280-_ZN7rocprim17ROCPRIM_400000_NS6detail17trampoline_kernelINS0_14default_configENS1_25partition_config_selectorILNS1_17partition_subalgoE1EtNS0_10empty_typeEbEEZZNS1_14partition_implILS5_1ELb0ES3_jN6thrust23THRUST_200600_302600_NS6detail15normal_iteratorINSA_10device_ptrItEEEEPS6_NSA_18transform_iteratorI7is_evenItESF_NSA_11use_defaultESK_EENS0_5tupleIJSF_SF_EEENSM_IJSG_SG_EEES6_PlJS6_EEE10hipError_tPvRmT3_T4_T5_T6_T7_T9_mT8_P12ihipStream_tbDpT10_ENKUlT_T0_E_clISt17integral_constantIbLb1EES19_EEDaS14_S15_EUlS14_E_NS1_11comp_targetILNS1_3genE10ELNS1_11target_archE1200ELNS1_3gpuE4ELNS1_3repE0EEENS1_30default_config_static_selectorELNS0_4arch9wavefront6targetE1EEEvT1_
                                        ; -- End function
	.section	.AMDGPU.csdata,"",@progbits
; Kernel info:
; codeLenInByte = 0
; NumSgprs: 6
; NumVgprs: 0
; NumAgprs: 0
; TotalNumVgprs: 0
; ScratchSize: 0
; MemoryBound: 0
; FloatMode: 240
; IeeeMode: 1
; LDSByteSize: 0 bytes/workgroup (compile time only)
; SGPRBlocks: 0
; VGPRBlocks: 0
; NumSGPRsForWavesPerEU: 6
; NumVGPRsForWavesPerEU: 1
; AccumOffset: 4
; Occupancy: 8
; WaveLimiterHint : 0
; COMPUTE_PGM_RSRC2:SCRATCH_EN: 0
; COMPUTE_PGM_RSRC2:USER_SGPR: 2
; COMPUTE_PGM_RSRC2:TRAP_HANDLER: 0
; COMPUTE_PGM_RSRC2:TGID_X_EN: 1
; COMPUTE_PGM_RSRC2:TGID_Y_EN: 0
; COMPUTE_PGM_RSRC2:TGID_Z_EN: 0
; COMPUTE_PGM_RSRC2:TIDIG_COMP_CNT: 0
; COMPUTE_PGM_RSRC3_GFX90A:ACCUM_OFFSET: 0
; COMPUTE_PGM_RSRC3_GFX90A:TG_SPLIT: 0
	.section	.text._ZN7rocprim17ROCPRIM_400000_NS6detail17trampoline_kernelINS0_14default_configENS1_25partition_config_selectorILNS1_17partition_subalgoE1EtNS0_10empty_typeEbEEZZNS1_14partition_implILS5_1ELb0ES3_jN6thrust23THRUST_200600_302600_NS6detail15normal_iteratorINSA_10device_ptrItEEEEPS6_NSA_18transform_iteratorI7is_evenItESF_NSA_11use_defaultESK_EENS0_5tupleIJSF_SF_EEENSM_IJSG_SG_EEES6_PlJS6_EEE10hipError_tPvRmT3_T4_T5_T6_T7_T9_mT8_P12ihipStream_tbDpT10_ENKUlT_T0_E_clISt17integral_constantIbLb1EES19_EEDaS14_S15_EUlS14_E_NS1_11comp_targetILNS1_3genE9ELNS1_11target_archE1100ELNS1_3gpuE3ELNS1_3repE0EEENS1_30default_config_static_selectorELNS0_4arch9wavefront6targetE1EEEvT1_,"axG",@progbits,_ZN7rocprim17ROCPRIM_400000_NS6detail17trampoline_kernelINS0_14default_configENS1_25partition_config_selectorILNS1_17partition_subalgoE1EtNS0_10empty_typeEbEEZZNS1_14partition_implILS5_1ELb0ES3_jN6thrust23THRUST_200600_302600_NS6detail15normal_iteratorINSA_10device_ptrItEEEEPS6_NSA_18transform_iteratorI7is_evenItESF_NSA_11use_defaultESK_EENS0_5tupleIJSF_SF_EEENSM_IJSG_SG_EEES6_PlJS6_EEE10hipError_tPvRmT3_T4_T5_T6_T7_T9_mT8_P12ihipStream_tbDpT10_ENKUlT_T0_E_clISt17integral_constantIbLb1EES19_EEDaS14_S15_EUlS14_E_NS1_11comp_targetILNS1_3genE9ELNS1_11target_archE1100ELNS1_3gpuE3ELNS1_3repE0EEENS1_30default_config_static_selectorELNS0_4arch9wavefront6targetE1EEEvT1_,comdat
	.protected	_ZN7rocprim17ROCPRIM_400000_NS6detail17trampoline_kernelINS0_14default_configENS1_25partition_config_selectorILNS1_17partition_subalgoE1EtNS0_10empty_typeEbEEZZNS1_14partition_implILS5_1ELb0ES3_jN6thrust23THRUST_200600_302600_NS6detail15normal_iteratorINSA_10device_ptrItEEEEPS6_NSA_18transform_iteratorI7is_evenItESF_NSA_11use_defaultESK_EENS0_5tupleIJSF_SF_EEENSM_IJSG_SG_EEES6_PlJS6_EEE10hipError_tPvRmT3_T4_T5_T6_T7_T9_mT8_P12ihipStream_tbDpT10_ENKUlT_T0_E_clISt17integral_constantIbLb1EES19_EEDaS14_S15_EUlS14_E_NS1_11comp_targetILNS1_3genE9ELNS1_11target_archE1100ELNS1_3gpuE3ELNS1_3repE0EEENS1_30default_config_static_selectorELNS0_4arch9wavefront6targetE1EEEvT1_ ; -- Begin function _ZN7rocprim17ROCPRIM_400000_NS6detail17trampoline_kernelINS0_14default_configENS1_25partition_config_selectorILNS1_17partition_subalgoE1EtNS0_10empty_typeEbEEZZNS1_14partition_implILS5_1ELb0ES3_jN6thrust23THRUST_200600_302600_NS6detail15normal_iteratorINSA_10device_ptrItEEEEPS6_NSA_18transform_iteratorI7is_evenItESF_NSA_11use_defaultESK_EENS0_5tupleIJSF_SF_EEENSM_IJSG_SG_EEES6_PlJS6_EEE10hipError_tPvRmT3_T4_T5_T6_T7_T9_mT8_P12ihipStream_tbDpT10_ENKUlT_T0_E_clISt17integral_constantIbLb1EES19_EEDaS14_S15_EUlS14_E_NS1_11comp_targetILNS1_3genE9ELNS1_11target_archE1100ELNS1_3gpuE3ELNS1_3repE0EEENS1_30default_config_static_selectorELNS0_4arch9wavefront6targetE1EEEvT1_
	.globl	_ZN7rocprim17ROCPRIM_400000_NS6detail17trampoline_kernelINS0_14default_configENS1_25partition_config_selectorILNS1_17partition_subalgoE1EtNS0_10empty_typeEbEEZZNS1_14partition_implILS5_1ELb0ES3_jN6thrust23THRUST_200600_302600_NS6detail15normal_iteratorINSA_10device_ptrItEEEEPS6_NSA_18transform_iteratorI7is_evenItESF_NSA_11use_defaultESK_EENS0_5tupleIJSF_SF_EEENSM_IJSG_SG_EEES6_PlJS6_EEE10hipError_tPvRmT3_T4_T5_T6_T7_T9_mT8_P12ihipStream_tbDpT10_ENKUlT_T0_E_clISt17integral_constantIbLb1EES19_EEDaS14_S15_EUlS14_E_NS1_11comp_targetILNS1_3genE9ELNS1_11target_archE1100ELNS1_3gpuE3ELNS1_3repE0EEENS1_30default_config_static_selectorELNS0_4arch9wavefront6targetE1EEEvT1_
	.p2align	8
	.type	_ZN7rocprim17ROCPRIM_400000_NS6detail17trampoline_kernelINS0_14default_configENS1_25partition_config_selectorILNS1_17partition_subalgoE1EtNS0_10empty_typeEbEEZZNS1_14partition_implILS5_1ELb0ES3_jN6thrust23THRUST_200600_302600_NS6detail15normal_iteratorINSA_10device_ptrItEEEEPS6_NSA_18transform_iteratorI7is_evenItESF_NSA_11use_defaultESK_EENS0_5tupleIJSF_SF_EEENSM_IJSG_SG_EEES6_PlJS6_EEE10hipError_tPvRmT3_T4_T5_T6_T7_T9_mT8_P12ihipStream_tbDpT10_ENKUlT_T0_E_clISt17integral_constantIbLb1EES19_EEDaS14_S15_EUlS14_E_NS1_11comp_targetILNS1_3genE9ELNS1_11target_archE1100ELNS1_3gpuE3ELNS1_3repE0EEENS1_30default_config_static_selectorELNS0_4arch9wavefront6targetE1EEEvT1_,@function
_ZN7rocprim17ROCPRIM_400000_NS6detail17trampoline_kernelINS0_14default_configENS1_25partition_config_selectorILNS1_17partition_subalgoE1EtNS0_10empty_typeEbEEZZNS1_14partition_implILS5_1ELb0ES3_jN6thrust23THRUST_200600_302600_NS6detail15normal_iteratorINSA_10device_ptrItEEEEPS6_NSA_18transform_iteratorI7is_evenItESF_NSA_11use_defaultESK_EENS0_5tupleIJSF_SF_EEENSM_IJSG_SG_EEES6_PlJS6_EEE10hipError_tPvRmT3_T4_T5_T6_T7_T9_mT8_P12ihipStream_tbDpT10_ENKUlT_T0_E_clISt17integral_constantIbLb1EES19_EEDaS14_S15_EUlS14_E_NS1_11comp_targetILNS1_3genE9ELNS1_11target_archE1100ELNS1_3gpuE3ELNS1_3repE0EEENS1_30default_config_static_selectorELNS0_4arch9wavefront6targetE1EEEvT1_: ; @_ZN7rocprim17ROCPRIM_400000_NS6detail17trampoline_kernelINS0_14default_configENS1_25partition_config_selectorILNS1_17partition_subalgoE1EtNS0_10empty_typeEbEEZZNS1_14partition_implILS5_1ELb0ES3_jN6thrust23THRUST_200600_302600_NS6detail15normal_iteratorINSA_10device_ptrItEEEEPS6_NSA_18transform_iteratorI7is_evenItESF_NSA_11use_defaultESK_EENS0_5tupleIJSF_SF_EEENSM_IJSG_SG_EEES6_PlJS6_EEE10hipError_tPvRmT3_T4_T5_T6_T7_T9_mT8_P12ihipStream_tbDpT10_ENKUlT_T0_E_clISt17integral_constantIbLb1EES19_EEDaS14_S15_EUlS14_E_NS1_11comp_targetILNS1_3genE9ELNS1_11target_archE1100ELNS1_3gpuE3ELNS1_3repE0EEENS1_30default_config_static_selectorELNS0_4arch9wavefront6targetE1EEEvT1_
; %bb.0:
	.section	.rodata,"a",@progbits
	.p2align	6, 0x0
	.amdhsa_kernel _ZN7rocprim17ROCPRIM_400000_NS6detail17trampoline_kernelINS0_14default_configENS1_25partition_config_selectorILNS1_17partition_subalgoE1EtNS0_10empty_typeEbEEZZNS1_14partition_implILS5_1ELb0ES3_jN6thrust23THRUST_200600_302600_NS6detail15normal_iteratorINSA_10device_ptrItEEEEPS6_NSA_18transform_iteratorI7is_evenItESF_NSA_11use_defaultESK_EENS0_5tupleIJSF_SF_EEENSM_IJSG_SG_EEES6_PlJS6_EEE10hipError_tPvRmT3_T4_T5_T6_T7_T9_mT8_P12ihipStream_tbDpT10_ENKUlT_T0_E_clISt17integral_constantIbLb1EES19_EEDaS14_S15_EUlS14_E_NS1_11comp_targetILNS1_3genE9ELNS1_11target_archE1100ELNS1_3gpuE3ELNS1_3repE0EEENS1_30default_config_static_selectorELNS0_4arch9wavefront6targetE1EEEvT1_
		.amdhsa_group_segment_fixed_size 0
		.amdhsa_private_segment_fixed_size 0
		.amdhsa_kernarg_size 144
		.amdhsa_user_sgpr_count 2
		.amdhsa_user_sgpr_dispatch_ptr 0
		.amdhsa_user_sgpr_queue_ptr 0
		.amdhsa_user_sgpr_kernarg_segment_ptr 1
		.amdhsa_user_sgpr_dispatch_id 0
		.amdhsa_user_sgpr_kernarg_preload_length 0
		.amdhsa_user_sgpr_kernarg_preload_offset 0
		.amdhsa_user_sgpr_private_segment_size 0
		.amdhsa_uses_dynamic_stack 0
		.amdhsa_enable_private_segment 0
		.amdhsa_system_sgpr_workgroup_id_x 1
		.amdhsa_system_sgpr_workgroup_id_y 0
		.amdhsa_system_sgpr_workgroup_id_z 0
		.amdhsa_system_sgpr_workgroup_info 0
		.amdhsa_system_vgpr_workitem_id 0
		.amdhsa_next_free_vgpr 1
		.amdhsa_next_free_sgpr 0
		.amdhsa_accum_offset 4
		.amdhsa_reserve_vcc 0
		.amdhsa_float_round_mode_32 0
		.amdhsa_float_round_mode_16_64 0
		.amdhsa_float_denorm_mode_32 3
		.amdhsa_float_denorm_mode_16_64 3
		.amdhsa_dx10_clamp 1
		.amdhsa_ieee_mode 1
		.amdhsa_fp16_overflow 0
		.amdhsa_tg_split 0
		.amdhsa_exception_fp_ieee_invalid_op 0
		.amdhsa_exception_fp_denorm_src 0
		.amdhsa_exception_fp_ieee_div_zero 0
		.amdhsa_exception_fp_ieee_overflow 0
		.amdhsa_exception_fp_ieee_underflow 0
		.amdhsa_exception_fp_ieee_inexact 0
		.amdhsa_exception_int_div_zero 0
	.end_amdhsa_kernel
	.section	.text._ZN7rocprim17ROCPRIM_400000_NS6detail17trampoline_kernelINS0_14default_configENS1_25partition_config_selectorILNS1_17partition_subalgoE1EtNS0_10empty_typeEbEEZZNS1_14partition_implILS5_1ELb0ES3_jN6thrust23THRUST_200600_302600_NS6detail15normal_iteratorINSA_10device_ptrItEEEEPS6_NSA_18transform_iteratorI7is_evenItESF_NSA_11use_defaultESK_EENS0_5tupleIJSF_SF_EEENSM_IJSG_SG_EEES6_PlJS6_EEE10hipError_tPvRmT3_T4_T5_T6_T7_T9_mT8_P12ihipStream_tbDpT10_ENKUlT_T0_E_clISt17integral_constantIbLb1EES19_EEDaS14_S15_EUlS14_E_NS1_11comp_targetILNS1_3genE9ELNS1_11target_archE1100ELNS1_3gpuE3ELNS1_3repE0EEENS1_30default_config_static_selectorELNS0_4arch9wavefront6targetE1EEEvT1_,"axG",@progbits,_ZN7rocprim17ROCPRIM_400000_NS6detail17trampoline_kernelINS0_14default_configENS1_25partition_config_selectorILNS1_17partition_subalgoE1EtNS0_10empty_typeEbEEZZNS1_14partition_implILS5_1ELb0ES3_jN6thrust23THRUST_200600_302600_NS6detail15normal_iteratorINSA_10device_ptrItEEEEPS6_NSA_18transform_iteratorI7is_evenItESF_NSA_11use_defaultESK_EENS0_5tupleIJSF_SF_EEENSM_IJSG_SG_EEES6_PlJS6_EEE10hipError_tPvRmT3_T4_T5_T6_T7_T9_mT8_P12ihipStream_tbDpT10_ENKUlT_T0_E_clISt17integral_constantIbLb1EES19_EEDaS14_S15_EUlS14_E_NS1_11comp_targetILNS1_3genE9ELNS1_11target_archE1100ELNS1_3gpuE3ELNS1_3repE0EEENS1_30default_config_static_selectorELNS0_4arch9wavefront6targetE1EEEvT1_,comdat
.Lfunc_end2281:
	.size	_ZN7rocprim17ROCPRIM_400000_NS6detail17trampoline_kernelINS0_14default_configENS1_25partition_config_selectorILNS1_17partition_subalgoE1EtNS0_10empty_typeEbEEZZNS1_14partition_implILS5_1ELb0ES3_jN6thrust23THRUST_200600_302600_NS6detail15normal_iteratorINSA_10device_ptrItEEEEPS6_NSA_18transform_iteratorI7is_evenItESF_NSA_11use_defaultESK_EENS0_5tupleIJSF_SF_EEENSM_IJSG_SG_EEES6_PlJS6_EEE10hipError_tPvRmT3_T4_T5_T6_T7_T9_mT8_P12ihipStream_tbDpT10_ENKUlT_T0_E_clISt17integral_constantIbLb1EES19_EEDaS14_S15_EUlS14_E_NS1_11comp_targetILNS1_3genE9ELNS1_11target_archE1100ELNS1_3gpuE3ELNS1_3repE0EEENS1_30default_config_static_selectorELNS0_4arch9wavefront6targetE1EEEvT1_, .Lfunc_end2281-_ZN7rocprim17ROCPRIM_400000_NS6detail17trampoline_kernelINS0_14default_configENS1_25partition_config_selectorILNS1_17partition_subalgoE1EtNS0_10empty_typeEbEEZZNS1_14partition_implILS5_1ELb0ES3_jN6thrust23THRUST_200600_302600_NS6detail15normal_iteratorINSA_10device_ptrItEEEEPS6_NSA_18transform_iteratorI7is_evenItESF_NSA_11use_defaultESK_EENS0_5tupleIJSF_SF_EEENSM_IJSG_SG_EEES6_PlJS6_EEE10hipError_tPvRmT3_T4_T5_T6_T7_T9_mT8_P12ihipStream_tbDpT10_ENKUlT_T0_E_clISt17integral_constantIbLb1EES19_EEDaS14_S15_EUlS14_E_NS1_11comp_targetILNS1_3genE9ELNS1_11target_archE1100ELNS1_3gpuE3ELNS1_3repE0EEENS1_30default_config_static_selectorELNS0_4arch9wavefront6targetE1EEEvT1_
                                        ; -- End function
	.section	.AMDGPU.csdata,"",@progbits
; Kernel info:
; codeLenInByte = 0
; NumSgprs: 6
; NumVgprs: 0
; NumAgprs: 0
; TotalNumVgprs: 0
; ScratchSize: 0
; MemoryBound: 0
; FloatMode: 240
; IeeeMode: 1
; LDSByteSize: 0 bytes/workgroup (compile time only)
; SGPRBlocks: 0
; VGPRBlocks: 0
; NumSGPRsForWavesPerEU: 6
; NumVGPRsForWavesPerEU: 1
; AccumOffset: 4
; Occupancy: 8
; WaveLimiterHint : 0
; COMPUTE_PGM_RSRC2:SCRATCH_EN: 0
; COMPUTE_PGM_RSRC2:USER_SGPR: 2
; COMPUTE_PGM_RSRC2:TRAP_HANDLER: 0
; COMPUTE_PGM_RSRC2:TGID_X_EN: 1
; COMPUTE_PGM_RSRC2:TGID_Y_EN: 0
; COMPUTE_PGM_RSRC2:TGID_Z_EN: 0
; COMPUTE_PGM_RSRC2:TIDIG_COMP_CNT: 0
; COMPUTE_PGM_RSRC3_GFX90A:ACCUM_OFFSET: 0
; COMPUTE_PGM_RSRC3_GFX90A:TG_SPLIT: 0
	.section	.text._ZN7rocprim17ROCPRIM_400000_NS6detail17trampoline_kernelINS0_14default_configENS1_25partition_config_selectorILNS1_17partition_subalgoE1EtNS0_10empty_typeEbEEZZNS1_14partition_implILS5_1ELb0ES3_jN6thrust23THRUST_200600_302600_NS6detail15normal_iteratorINSA_10device_ptrItEEEEPS6_NSA_18transform_iteratorI7is_evenItESF_NSA_11use_defaultESK_EENS0_5tupleIJSF_SF_EEENSM_IJSG_SG_EEES6_PlJS6_EEE10hipError_tPvRmT3_T4_T5_T6_T7_T9_mT8_P12ihipStream_tbDpT10_ENKUlT_T0_E_clISt17integral_constantIbLb1EES19_EEDaS14_S15_EUlS14_E_NS1_11comp_targetILNS1_3genE8ELNS1_11target_archE1030ELNS1_3gpuE2ELNS1_3repE0EEENS1_30default_config_static_selectorELNS0_4arch9wavefront6targetE1EEEvT1_,"axG",@progbits,_ZN7rocprim17ROCPRIM_400000_NS6detail17trampoline_kernelINS0_14default_configENS1_25partition_config_selectorILNS1_17partition_subalgoE1EtNS0_10empty_typeEbEEZZNS1_14partition_implILS5_1ELb0ES3_jN6thrust23THRUST_200600_302600_NS6detail15normal_iteratorINSA_10device_ptrItEEEEPS6_NSA_18transform_iteratorI7is_evenItESF_NSA_11use_defaultESK_EENS0_5tupleIJSF_SF_EEENSM_IJSG_SG_EEES6_PlJS6_EEE10hipError_tPvRmT3_T4_T5_T6_T7_T9_mT8_P12ihipStream_tbDpT10_ENKUlT_T0_E_clISt17integral_constantIbLb1EES19_EEDaS14_S15_EUlS14_E_NS1_11comp_targetILNS1_3genE8ELNS1_11target_archE1030ELNS1_3gpuE2ELNS1_3repE0EEENS1_30default_config_static_selectorELNS0_4arch9wavefront6targetE1EEEvT1_,comdat
	.protected	_ZN7rocprim17ROCPRIM_400000_NS6detail17trampoline_kernelINS0_14default_configENS1_25partition_config_selectorILNS1_17partition_subalgoE1EtNS0_10empty_typeEbEEZZNS1_14partition_implILS5_1ELb0ES3_jN6thrust23THRUST_200600_302600_NS6detail15normal_iteratorINSA_10device_ptrItEEEEPS6_NSA_18transform_iteratorI7is_evenItESF_NSA_11use_defaultESK_EENS0_5tupleIJSF_SF_EEENSM_IJSG_SG_EEES6_PlJS6_EEE10hipError_tPvRmT3_T4_T5_T6_T7_T9_mT8_P12ihipStream_tbDpT10_ENKUlT_T0_E_clISt17integral_constantIbLb1EES19_EEDaS14_S15_EUlS14_E_NS1_11comp_targetILNS1_3genE8ELNS1_11target_archE1030ELNS1_3gpuE2ELNS1_3repE0EEENS1_30default_config_static_selectorELNS0_4arch9wavefront6targetE1EEEvT1_ ; -- Begin function _ZN7rocprim17ROCPRIM_400000_NS6detail17trampoline_kernelINS0_14default_configENS1_25partition_config_selectorILNS1_17partition_subalgoE1EtNS0_10empty_typeEbEEZZNS1_14partition_implILS5_1ELb0ES3_jN6thrust23THRUST_200600_302600_NS6detail15normal_iteratorINSA_10device_ptrItEEEEPS6_NSA_18transform_iteratorI7is_evenItESF_NSA_11use_defaultESK_EENS0_5tupleIJSF_SF_EEENSM_IJSG_SG_EEES6_PlJS6_EEE10hipError_tPvRmT3_T4_T5_T6_T7_T9_mT8_P12ihipStream_tbDpT10_ENKUlT_T0_E_clISt17integral_constantIbLb1EES19_EEDaS14_S15_EUlS14_E_NS1_11comp_targetILNS1_3genE8ELNS1_11target_archE1030ELNS1_3gpuE2ELNS1_3repE0EEENS1_30default_config_static_selectorELNS0_4arch9wavefront6targetE1EEEvT1_
	.globl	_ZN7rocprim17ROCPRIM_400000_NS6detail17trampoline_kernelINS0_14default_configENS1_25partition_config_selectorILNS1_17partition_subalgoE1EtNS0_10empty_typeEbEEZZNS1_14partition_implILS5_1ELb0ES3_jN6thrust23THRUST_200600_302600_NS6detail15normal_iteratorINSA_10device_ptrItEEEEPS6_NSA_18transform_iteratorI7is_evenItESF_NSA_11use_defaultESK_EENS0_5tupleIJSF_SF_EEENSM_IJSG_SG_EEES6_PlJS6_EEE10hipError_tPvRmT3_T4_T5_T6_T7_T9_mT8_P12ihipStream_tbDpT10_ENKUlT_T0_E_clISt17integral_constantIbLb1EES19_EEDaS14_S15_EUlS14_E_NS1_11comp_targetILNS1_3genE8ELNS1_11target_archE1030ELNS1_3gpuE2ELNS1_3repE0EEENS1_30default_config_static_selectorELNS0_4arch9wavefront6targetE1EEEvT1_
	.p2align	8
	.type	_ZN7rocprim17ROCPRIM_400000_NS6detail17trampoline_kernelINS0_14default_configENS1_25partition_config_selectorILNS1_17partition_subalgoE1EtNS0_10empty_typeEbEEZZNS1_14partition_implILS5_1ELb0ES3_jN6thrust23THRUST_200600_302600_NS6detail15normal_iteratorINSA_10device_ptrItEEEEPS6_NSA_18transform_iteratorI7is_evenItESF_NSA_11use_defaultESK_EENS0_5tupleIJSF_SF_EEENSM_IJSG_SG_EEES6_PlJS6_EEE10hipError_tPvRmT3_T4_T5_T6_T7_T9_mT8_P12ihipStream_tbDpT10_ENKUlT_T0_E_clISt17integral_constantIbLb1EES19_EEDaS14_S15_EUlS14_E_NS1_11comp_targetILNS1_3genE8ELNS1_11target_archE1030ELNS1_3gpuE2ELNS1_3repE0EEENS1_30default_config_static_selectorELNS0_4arch9wavefront6targetE1EEEvT1_,@function
_ZN7rocprim17ROCPRIM_400000_NS6detail17trampoline_kernelINS0_14default_configENS1_25partition_config_selectorILNS1_17partition_subalgoE1EtNS0_10empty_typeEbEEZZNS1_14partition_implILS5_1ELb0ES3_jN6thrust23THRUST_200600_302600_NS6detail15normal_iteratorINSA_10device_ptrItEEEEPS6_NSA_18transform_iteratorI7is_evenItESF_NSA_11use_defaultESK_EENS0_5tupleIJSF_SF_EEENSM_IJSG_SG_EEES6_PlJS6_EEE10hipError_tPvRmT3_T4_T5_T6_T7_T9_mT8_P12ihipStream_tbDpT10_ENKUlT_T0_E_clISt17integral_constantIbLb1EES19_EEDaS14_S15_EUlS14_E_NS1_11comp_targetILNS1_3genE8ELNS1_11target_archE1030ELNS1_3gpuE2ELNS1_3repE0EEENS1_30default_config_static_selectorELNS0_4arch9wavefront6targetE1EEEvT1_: ; @_ZN7rocprim17ROCPRIM_400000_NS6detail17trampoline_kernelINS0_14default_configENS1_25partition_config_selectorILNS1_17partition_subalgoE1EtNS0_10empty_typeEbEEZZNS1_14partition_implILS5_1ELb0ES3_jN6thrust23THRUST_200600_302600_NS6detail15normal_iteratorINSA_10device_ptrItEEEEPS6_NSA_18transform_iteratorI7is_evenItESF_NSA_11use_defaultESK_EENS0_5tupleIJSF_SF_EEENSM_IJSG_SG_EEES6_PlJS6_EEE10hipError_tPvRmT3_T4_T5_T6_T7_T9_mT8_P12ihipStream_tbDpT10_ENKUlT_T0_E_clISt17integral_constantIbLb1EES19_EEDaS14_S15_EUlS14_E_NS1_11comp_targetILNS1_3genE8ELNS1_11target_archE1030ELNS1_3gpuE2ELNS1_3repE0EEENS1_30default_config_static_selectorELNS0_4arch9wavefront6targetE1EEEvT1_
; %bb.0:
	.section	.rodata,"a",@progbits
	.p2align	6, 0x0
	.amdhsa_kernel _ZN7rocprim17ROCPRIM_400000_NS6detail17trampoline_kernelINS0_14default_configENS1_25partition_config_selectorILNS1_17partition_subalgoE1EtNS0_10empty_typeEbEEZZNS1_14partition_implILS5_1ELb0ES3_jN6thrust23THRUST_200600_302600_NS6detail15normal_iteratorINSA_10device_ptrItEEEEPS6_NSA_18transform_iteratorI7is_evenItESF_NSA_11use_defaultESK_EENS0_5tupleIJSF_SF_EEENSM_IJSG_SG_EEES6_PlJS6_EEE10hipError_tPvRmT3_T4_T5_T6_T7_T9_mT8_P12ihipStream_tbDpT10_ENKUlT_T0_E_clISt17integral_constantIbLb1EES19_EEDaS14_S15_EUlS14_E_NS1_11comp_targetILNS1_3genE8ELNS1_11target_archE1030ELNS1_3gpuE2ELNS1_3repE0EEENS1_30default_config_static_selectorELNS0_4arch9wavefront6targetE1EEEvT1_
		.amdhsa_group_segment_fixed_size 0
		.amdhsa_private_segment_fixed_size 0
		.amdhsa_kernarg_size 144
		.amdhsa_user_sgpr_count 2
		.amdhsa_user_sgpr_dispatch_ptr 0
		.amdhsa_user_sgpr_queue_ptr 0
		.amdhsa_user_sgpr_kernarg_segment_ptr 1
		.amdhsa_user_sgpr_dispatch_id 0
		.amdhsa_user_sgpr_kernarg_preload_length 0
		.amdhsa_user_sgpr_kernarg_preload_offset 0
		.amdhsa_user_sgpr_private_segment_size 0
		.amdhsa_uses_dynamic_stack 0
		.amdhsa_enable_private_segment 0
		.amdhsa_system_sgpr_workgroup_id_x 1
		.amdhsa_system_sgpr_workgroup_id_y 0
		.amdhsa_system_sgpr_workgroup_id_z 0
		.amdhsa_system_sgpr_workgroup_info 0
		.amdhsa_system_vgpr_workitem_id 0
		.amdhsa_next_free_vgpr 1
		.amdhsa_next_free_sgpr 0
		.amdhsa_accum_offset 4
		.amdhsa_reserve_vcc 0
		.amdhsa_float_round_mode_32 0
		.amdhsa_float_round_mode_16_64 0
		.amdhsa_float_denorm_mode_32 3
		.amdhsa_float_denorm_mode_16_64 3
		.amdhsa_dx10_clamp 1
		.amdhsa_ieee_mode 1
		.amdhsa_fp16_overflow 0
		.amdhsa_tg_split 0
		.amdhsa_exception_fp_ieee_invalid_op 0
		.amdhsa_exception_fp_denorm_src 0
		.amdhsa_exception_fp_ieee_div_zero 0
		.amdhsa_exception_fp_ieee_overflow 0
		.amdhsa_exception_fp_ieee_underflow 0
		.amdhsa_exception_fp_ieee_inexact 0
		.amdhsa_exception_int_div_zero 0
	.end_amdhsa_kernel
	.section	.text._ZN7rocprim17ROCPRIM_400000_NS6detail17trampoline_kernelINS0_14default_configENS1_25partition_config_selectorILNS1_17partition_subalgoE1EtNS0_10empty_typeEbEEZZNS1_14partition_implILS5_1ELb0ES3_jN6thrust23THRUST_200600_302600_NS6detail15normal_iteratorINSA_10device_ptrItEEEEPS6_NSA_18transform_iteratorI7is_evenItESF_NSA_11use_defaultESK_EENS0_5tupleIJSF_SF_EEENSM_IJSG_SG_EEES6_PlJS6_EEE10hipError_tPvRmT3_T4_T5_T6_T7_T9_mT8_P12ihipStream_tbDpT10_ENKUlT_T0_E_clISt17integral_constantIbLb1EES19_EEDaS14_S15_EUlS14_E_NS1_11comp_targetILNS1_3genE8ELNS1_11target_archE1030ELNS1_3gpuE2ELNS1_3repE0EEENS1_30default_config_static_selectorELNS0_4arch9wavefront6targetE1EEEvT1_,"axG",@progbits,_ZN7rocprim17ROCPRIM_400000_NS6detail17trampoline_kernelINS0_14default_configENS1_25partition_config_selectorILNS1_17partition_subalgoE1EtNS0_10empty_typeEbEEZZNS1_14partition_implILS5_1ELb0ES3_jN6thrust23THRUST_200600_302600_NS6detail15normal_iteratorINSA_10device_ptrItEEEEPS6_NSA_18transform_iteratorI7is_evenItESF_NSA_11use_defaultESK_EENS0_5tupleIJSF_SF_EEENSM_IJSG_SG_EEES6_PlJS6_EEE10hipError_tPvRmT3_T4_T5_T6_T7_T9_mT8_P12ihipStream_tbDpT10_ENKUlT_T0_E_clISt17integral_constantIbLb1EES19_EEDaS14_S15_EUlS14_E_NS1_11comp_targetILNS1_3genE8ELNS1_11target_archE1030ELNS1_3gpuE2ELNS1_3repE0EEENS1_30default_config_static_selectorELNS0_4arch9wavefront6targetE1EEEvT1_,comdat
.Lfunc_end2282:
	.size	_ZN7rocprim17ROCPRIM_400000_NS6detail17trampoline_kernelINS0_14default_configENS1_25partition_config_selectorILNS1_17partition_subalgoE1EtNS0_10empty_typeEbEEZZNS1_14partition_implILS5_1ELb0ES3_jN6thrust23THRUST_200600_302600_NS6detail15normal_iteratorINSA_10device_ptrItEEEEPS6_NSA_18transform_iteratorI7is_evenItESF_NSA_11use_defaultESK_EENS0_5tupleIJSF_SF_EEENSM_IJSG_SG_EEES6_PlJS6_EEE10hipError_tPvRmT3_T4_T5_T6_T7_T9_mT8_P12ihipStream_tbDpT10_ENKUlT_T0_E_clISt17integral_constantIbLb1EES19_EEDaS14_S15_EUlS14_E_NS1_11comp_targetILNS1_3genE8ELNS1_11target_archE1030ELNS1_3gpuE2ELNS1_3repE0EEENS1_30default_config_static_selectorELNS0_4arch9wavefront6targetE1EEEvT1_, .Lfunc_end2282-_ZN7rocprim17ROCPRIM_400000_NS6detail17trampoline_kernelINS0_14default_configENS1_25partition_config_selectorILNS1_17partition_subalgoE1EtNS0_10empty_typeEbEEZZNS1_14partition_implILS5_1ELb0ES3_jN6thrust23THRUST_200600_302600_NS6detail15normal_iteratorINSA_10device_ptrItEEEEPS6_NSA_18transform_iteratorI7is_evenItESF_NSA_11use_defaultESK_EENS0_5tupleIJSF_SF_EEENSM_IJSG_SG_EEES6_PlJS6_EEE10hipError_tPvRmT3_T4_T5_T6_T7_T9_mT8_P12ihipStream_tbDpT10_ENKUlT_T0_E_clISt17integral_constantIbLb1EES19_EEDaS14_S15_EUlS14_E_NS1_11comp_targetILNS1_3genE8ELNS1_11target_archE1030ELNS1_3gpuE2ELNS1_3repE0EEENS1_30default_config_static_selectorELNS0_4arch9wavefront6targetE1EEEvT1_
                                        ; -- End function
	.section	.AMDGPU.csdata,"",@progbits
; Kernel info:
; codeLenInByte = 0
; NumSgprs: 6
; NumVgprs: 0
; NumAgprs: 0
; TotalNumVgprs: 0
; ScratchSize: 0
; MemoryBound: 0
; FloatMode: 240
; IeeeMode: 1
; LDSByteSize: 0 bytes/workgroup (compile time only)
; SGPRBlocks: 0
; VGPRBlocks: 0
; NumSGPRsForWavesPerEU: 6
; NumVGPRsForWavesPerEU: 1
; AccumOffset: 4
; Occupancy: 8
; WaveLimiterHint : 0
; COMPUTE_PGM_RSRC2:SCRATCH_EN: 0
; COMPUTE_PGM_RSRC2:USER_SGPR: 2
; COMPUTE_PGM_RSRC2:TRAP_HANDLER: 0
; COMPUTE_PGM_RSRC2:TGID_X_EN: 1
; COMPUTE_PGM_RSRC2:TGID_Y_EN: 0
; COMPUTE_PGM_RSRC2:TGID_Z_EN: 0
; COMPUTE_PGM_RSRC2:TIDIG_COMP_CNT: 0
; COMPUTE_PGM_RSRC3_GFX90A:ACCUM_OFFSET: 0
; COMPUTE_PGM_RSRC3_GFX90A:TG_SPLIT: 0
	.section	.text._ZN7rocprim17ROCPRIM_400000_NS6detail17trampoline_kernelINS0_14default_configENS1_25partition_config_selectorILNS1_17partition_subalgoE1EtNS0_10empty_typeEbEEZZNS1_14partition_implILS5_1ELb0ES3_jN6thrust23THRUST_200600_302600_NS6detail15normal_iteratorINSA_10device_ptrItEEEEPS6_NSA_18transform_iteratorI7is_evenItESF_NSA_11use_defaultESK_EENS0_5tupleIJSF_SF_EEENSM_IJSG_SG_EEES6_PlJS6_EEE10hipError_tPvRmT3_T4_T5_T6_T7_T9_mT8_P12ihipStream_tbDpT10_ENKUlT_T0_E_clISt17integral_constantIbLb1EES18_IbLb0EEEEDaS14_S15_EUlS14_E_NS1_11comp_targetILNS1_3genE0ELNS1_11target_archE4294967295ELNS1_3gpuE0ELNS1_3repE0EEENS1_30default_config_static_selectorELNS0_4arch9wavefront6targetE1EEEvT1_,"axG",@progbits,_ZN7rocprim17ROCPRIM_400000_NS6detail17trampoline_kernelINS0_14default_configENS1_25partition_config_selectorILNS1_17partition_subalgoE1EtNS0_10empty_typeEbEEZZNS1_14partition_implILS5_1ELb0ES3_jN6thrust23THRUST_200600_302600_NS6detail15normal_iteratorINSA_10device_ptrItEEEEPS6_NSA_18transform_iteratorI7is_evenItESF_NSA_11use_defaultESK_EENS0_5tupleIJSF_SF_EEENSM_IJSG_SG_EEES6_PlJS6_EEE10hipError_tPvRmT3_T4_T5_T6_T7_T9_mT8_P12ihipStream_tbDpT10_ENKUlT_T0_E_clISt17integral_constantIbLb1EES18_IbLb0EEEEDaS14_S15_EUlS14_E_NS1_11comp_targetILNS1_3genE0ELNS1_11target_archE4294967295ELNS1_3gpuE0ELNS1_3repE0EEENS1_30default_config_static_selectorELNS0_4arch9wavefront6targetE1EEEvT1_,comdat
	.protected	_ZN7rocprim17ROCPRIM_400000_NS6detail17trampoline_kernelINS0_14default_configENS1_25partition_config_selectorILNS1_17partition_subalgoE1EtNS0_10empty_typeEbEEZZNS1_14partition_implILS5_1ELb0ES3_jN6thrust23THRUST_200600_302600_NS6detail15normal_iteratorINSA_10device_ptrItEEEEPS6_NSA_18transform_iteratorI7is_evenItESF_NSA_11use_defaultESK_EENS0_5tupleIJSF_SF_EEENSM_IJSG_SG_EEES6_PlJS6_EEE10hipError_tPvRmT3_T4_T5_T6_T7_T9_mT8_P12ihipStream_tbDpT10_ENKUlT_T0_E_clISt17integral_constantIbLb1EES18_IbLb0EEEEDaS14_S15_EUlS14_E_NS1_11comp_targetILNS1_3genE0ELNS1_11target_archE4294967295ELNS1_3gpuE0ELNS1_3repE0EEENS1_30default_config_static_selectorELNS0_4arch9wavefront6targetE1EEEvT1_ ; -- Begin function _ZN7rocprim17ROCPRIM_400000_NS6detail17trampoline_kernelINS0_14default_configENS1_25partition_config_selectorILNS1_17partition_subalgoE1EtNS0_10empty_typeEbEEZZNS1_14partition_implILS5_1ELb0ES3_jN6thrust23THRUST_200600_302600_NS6detail15normal_iteratorINSA_10device_ptrItEEEEPS6_NSA_18transform_iteratorI7is_evenItESF_NSA_11use_defaultESK_EENS0_5tupleIJSF_SF_EEENSM_IJSG_SG_EEES6_PlJS6_EEE10hipError_tPvRmT3_T4_T5_T6_T7_T9_mT8_P12ihipStream_tbDpT10_ENKUlT_T0_E_clISt17integral_constantIbLb1EES18_IbLb0EEEEDaS14_S15_EUlS14_E_NS1_11comp_targetILNS1_3genE0ELNS1_11target_archE4294967295ELNS1_3gpuE0ELNS1_3repE0EEENS1_30default_config_static_selectorELNS0_4arch9wavefront6targetE1EEEvT1_
	.globl	_ZN7rocprim17ROCPRIM_400000_NS6detail17trampoline_kernelINS0_14default_configENS1_25partition_config_selectorILNS1_17partition_subalgoE1EtNS0_10empty_typeEbEEZZNS1_14partition_implILS5_1ELb0ES3_jN6thrust23THRUST_200600_302600_NS6detail15normal_iteratorINSA_10device_ptrItEEEEPS6_NSA_18transform_iteratorI7is_evenItESF_NSA_11use_defaultESK_EENS0_5tupleIJSF_SF_EEENSM_IJSG_SG_EEES6_PlJS6_EEE10hipError_tPvRmT3_T4_T5_T6_T7_T9_mT8_P12ihipStream_tbDpT10_ENKUlT_T0_E_clISt17integral_constantIbLb1EES18_IbLb0EEEEDaS14_S15_EUlS14_E_NS1_11comp_targetILNS1_3genE0ELNS1_11target_archE4294967295ELNS1_3gpuE0ELNS1_3repE0EEENS1_30default_config_static_selectorELNS0_4arch9wavefront6targetE1EEEvT1_
	.p2align	8
	.type	_ZN7rocprim17ROCPRIM_400000_NS6detail17trampoline_kernelINS0_14default_configENS1_25partition_config_selectorILNS1_17partition_subalgoE1EtNS0_10empty_typeEbEEZZNS1_14partition_implILS5_1ELb0ES3_jN6thrust23THRUST_200600_302600_NS6detail15normal_iteratorINSA_10device_ptrItEEEEPS6_NSA_18transform_iteratorI7is_evenItESF_NSA_11use_defaultESK_EENS0_5tupleIJSF_SF_EEENSM_IJSG_SG_EEES6_PlJS6_EEE10hipError_tPvRmT3_T4_T5_T6_T7_T9_mT8_P12ihipStream_tbDpT10_ENKUlT_T0_E_clISt17integral_constantIbLb1EES18_IbLb0EEEEDaS14_S15_EUlS14_E_NS1_11comp_targetILNS1_3genE0ELNS1_11target_archE4294967295ELNS1_3gpuE0ELNS1_3repE0EEENS1_30default_config_static_selectorELNS0_4arch9wavefront6targetE1EEEvT1_,@function
_ZN7rocprim17ROCPRIM_400000_NS6detail17trampoline_kernelINS0_14default_configENS1_25partition_config_selectorILNS1_17partition_subalgoE1EtNS0_10empty_typeEbEEZZNS1_14partition_implILS5_1ELb0ES3_jN6thrust23THRUST_200600_302600_NS6detail15normal_iteratorINSA_10device_ptrItEEEEPS6_NSA_18transform_iteratorI7is_evenItESF_NSA_11use_defaultESK_EENS0_5tupleIJSF_SF_EEENSM_IJSG_SG_EEES6_PlJS6_EEE10hipError_tPvRmT3_T4_T5_T6_T7_T9_mT8_P12ihipStream_tbDpT10_ENKUlT_T0_E_clISt17integral_constantIbLb1EES18_IbLb0EEEEDaS14_S15_EUlS14_E_NS1_11comp_targetILNS1_3genE0ELNS1_11target_archE4294967295ELNS1_3gpuE0ELNS1_3repE0EEENS1_30default_config_static_selectorELNS0_4arch9wavefront6targetE1EEEvT1_: ; @_ZN7rocprim17ROCPRIM_400000_NS6detail17trampoline_kernelINS0_14default_configENS1_25partition_config_selectorILNS1_17partition_subalgoE1EtNS0_10empty_typeEbEEZZNS1_14partition_implILS5_1ELb0ES3_jN6thrust23THRUST_200600_302600_NS6detail15normal_iteratorINSA_10device_ptrItEEEEPS6_NSA_18transform_iteratorI7is_evenItESF_NSA_11use_defaultESK_EENS0_5tupleIJSF_SF_EEENSM_IJSG_SG_EEES6_PlJS6_EEE10hipError_tPvRmT3_T4_T5_T6_T7_T9_mT8_P12ihipStream_tbDpT10_ENKUlT_T0_E_clISt17integral_constantIbLb1EES18_IbLb0EEEEDaS14_S15_EUlS14_E_NS1_11comp_targetILNS1_3genE0ELNS1_11target_archE4294967295ELNS1_3gpuE0ELNS1_3repE0EEENS1_30default_config_static_selectorELNS0_4arch9wavefront6targetE1EEEvT1_
; %bb.0:
	.section	.rodata,"a",@progbits
	.p2align	6, 0x0
	.amdhsa_kernel _ZN7rocprim17ROCPRIM_400000_NS6detail17trampoline_kernelINS0_14default_configENS1_25partition_config_selectorILNS1_17partition_subalgoE1EtNS0_10empty_typeEbEEZZNS1_14partition_implILS5_1ELb0ES3_jN6thrust23THRUST_200600_302600_NS6detail15normal_iteratorINSA_10device_ptrItEEEEPS6_NSA_18transform_iteratorI7is_evenItESF_NSA_11use_defaultESK_EENS0_5tupleIJSF_SF_EEENSM_IJSG_SG_EEES6_PlJS6_EEE10hipError_tPvRmT3_T4_T5_T6_T7_T9_mT8_P12ihipStream_tbDpT10_ENKUlT_T0_E_clISt17integral_constantIbLb1EES18_IbLb0EEEEDaS14_S15_EUlS14_E_NS1_11comp_targetILNS1_3genE0ELNS1_11target_archE4294967295ELNS1_3gpuE0ELNS1_3repE0EEENS1_30default_config_static_selectorELNS0_4arch9wavefront6targetE1EEEvT1_
		.amdhsa_group_segment_fixed_size 0
		.amdhsa_private_segment_fixed_size 0
		.amdhsa_kernarg_size 128
		.amdhsa_user_sgpr_count 2
		.amdhsa_user_sgpr_dispatch_ptr 0
		.amdhsa_user_sgpr_queue_ptr 0
		.amdhsa_user_sgpr_kernarg_segment_ptr 1
		.amdhsa_user_sgpr_dispatch_id 0
		.amdhsa_user_sgpr_kernarg_preload_length 0
		.amdhsa_user_sgpr_kernarg_preload_offset 0
		.amdhsa_user_sgpr_private_segment_size 0
		.amdhsa_uses_dynamic_stack 0
		.amdhsa_enable_private_segment 0
		.amdhsa_system_sgpr_workgroup_id_x 1
		.amdhsa_system_sgpr_workgroup_id_y 0
		.amdhsa_system_sgpr_workgroup_id_z 0
		.amdhsa_system_sgpr_workgroup_info 0
		.amdhsa_system_vgpr_workitem_id 0
		.amdhsa_next_free_vgpr 1
		.amdhsa_next_free_sgpr 0
		.amdhsa_accum_offset 4
		.amdhsa_reserve_vcc 0
		.amdhsa_float_round_mode_32 0
		.amdhsa_float_round_mode_16_64 0
		.amdhsa_float_denorm_mode_32 3
		.amdhsa_float_denorm_mode_16_64 3
		.amdhsa_dx10_clamp 1
		.amdhsa_ieee_mode 1
		.amdhsa_fp16_overflow 0
		.amdhsa_tg_split 0
		.amdhsa_exception_fp_ieee_invalid_op 0
		.amdhsa_exception_fp_denorm_src 0
		.amdhsa_exception_fp_ieee_div_zero 0
		.amdhsa_exception_fp_ieee_overflow 0
		.amdhsa_exception_fp_ieee_underflow 0
		.amdhsa_exception_fp_ieee_inexact 0
		.amdhsa_exception_int_div_zero 0
	.end_amdhsa_kernel
	.section	.text._ZN7rocprim17ROCPRIM_400000_NS6detail17trampoline_kernelINS0_14default_configENS1_25partition_config_selectorILNS1_17partition_subalgoE1EtNS0_10empty_typeEbEEZZNS1_14partition_implILS5_1ELb0ES3_jN6thrust23THRUST_200600_302600_NS6detail15normal_iteratorINSA_10device_ptrItEEEEPS6_NSA_18transform_iteratorI7is_evenItESF_NSA_11use_defaultESK_EENS0_5tupleIJSF_SF_EEENSM_IJSG_SG_EEES6_PlJS6_EEE10hipError_tPvRmT3_T4_T5_T6_T7_T9_mT8_P12ihipStream_tbDpT10_ENKUlT_T0_E_clISt17integral_constantIbLb1EES18_IbLb0EEEEDaS14_S15_EUlS14_E_NS1_11comp_targetILNS1_3genE0ELNS1_11target_archE4294967295ELNS1_3gpuE0ELNS1_3repE0EEENS1_30default_config_static_selectorELNS0_4arch9wavefront6targetE1EEEvT1_,"axG",@progbits,_ZN7rocprim17ROCPRIM_400000_NS6detail17trampoline_kernelINS0_14default_configENS1_25partition_config_selectorILNS1_17partition_subalgoE1EtNS0_10empty_typeEbEEZZNS1_14partition_implILS5_1ELb0ES3_jN6thrust23THRUST_200600_302600_NS6detail15normal_iteratorINSA_10device_ptrItEEEEPS6_NSA_18transform_iteratorI7is_evenItESF_NSA_11use_defaultESK_EENS0_5tupleIJSF_SF_EEENSM_IJSG_SG_EEES6_PlJS6_EEE10hipError_tPvRmT3_T4_T5_T6_T7_T9_mT8_P12ihipStream_tbDpT10_ENKUlT_T0_E_clISt17integral_constantIbLb1EES18_IbLb0EEEEDaS14_S15_EUlS14_E_NS1_11comp_targetILNS1_3genE0ELNS1_11target_archE4294967295ELNS1_3gpuE0ELNS1_3repE0EEENS1_30default_config_static_selectorELNS0_4arch9wavefront6targetE1EEEvT1_,comdat
.Lfunc_end2283:
	.size	_ZN7rocprim17ROCPRIM_400000_NS6detail17trampoline_kernelINS0_14default_configENS1_25partition_config_selectorILNS1_17partition_subalgoE1EtNS0_10empty_typeEbEEZZNS1_14partition_implILS5_1ELb0ES3_jN6thrust23THRUST_200600_302600_NS6detail15normal_iteratorINSA_10device_ptrItEEEEPS6_NSA_18transform_iteratorI7is_evenItESF_NSA_11use_defaultESK_EENS0_5tupleIJSF_SF_EEENSM_IJSG_SG_EEES6_PlJS6_EEE10hipError_tPvRmT3_T4_T5_T6_T7_T9_mT8_P12ihipStream_tbDpT10_ENKUlT_T0_E_clISt17integral_constantIbLb1EES18_IbLb0EEEEDaS14_S15_EUlS14_E_NS1_11comp_targetILNS1_3genE0ELNS1_11target_archE4294967295ELNS1_3gpuE0ELNS1_3repE0EEENS1_30default_config_static_selectorELNS0_4arch9wavefront6targetE1EEEvT1_, .Lfunc_end2283-_ZN7rocprim17ROCPRIM_400000_NS6detail17trampoline_kernelINS0_14default_configENS1_25partition_config_selectorILNS1_17partition_subalgoE1EtNS0_10empty_typeEbEEZZNS1_14partition_implILS5_1ELb0ES3_jN6thrust23THRUST_200600_302600_NS6detail15normal_iteratorINSA_10device_ptrItEEEEPS6_NSA_18transform_iteratorI7is_evenItESF_NSA_11use_defaultESK_EENS0_5tupleIJSF_SF_EEENSM_IJSG_SG_EEES6_PlJS6_EEE10hipError_tPvRmT3_T4_T5_T6_T7_T9_mT8_P12ihipStream_tbDpT10_ENKUlT_T0_E_clISt17integral_constantIbLb1EES18_IbLb0EEEEDaS14_S15_EUlS14_E_NS1_11comp_targetILNS1_3genE0ELNS1_11target_archE4294967295ELNS1_3gpuE0ELNS1_3repE0EEENS1_30default_config_static_selectorELNS0_4arch9wavefront6targetE1EEEvT1_
                                        ; -- End function
	.section	.AMDGPU.csdata,"",@progbits
; Kernel info:
; codeLenInByte = 0
; NumSgprs: 6
; NumVgprs: 0
; NumAgprs: 0
; TotalNumVgprs: 0
; ScratchSize: 0
; MemoryBound: 0
; FloatMode: 240
; IeeeMode: 1
; LDSByteSize: 0 bytes/workgroup (compile time only)
; SGPRBlocks: 0
; VGPRBlocks: 0
; NumSGPRsForWavesPerEU: 6
; NumVGPRsForWavesPerEU: 1
; AccumOffset: 4
; Occupancy: 8
; WaveLimiterHint : 0
; COMPUTE_PGM_RSRC2:SCRATCH_EN: 0
; COMPUTE_PGM_RSRC2:USER_SGPR: 2
; COMPUTE_PGM_RSRC2:TRAP_HANDLER: 0
; COMPUTE_PGM_RSRC2:TGID_X_EN: 1
; COMPUTE_PGM_RSRC2:TGID_Y_EN: 0
; COMPUTE_PGM_RSRC2:TGID_Z_EN: 0
; COMPUTE_PGM_RSRC2:TIDIG_COMP_CNT: 0
; COMPUTE_PGM_RSRC3_GFX90A:ACCUM_OFFSET: 0
; COMPUTE_PGM_RSRC3_GFX90A:TG_SPLIT: 0
	.section	.text._ZN7rocprim17ROCPRIM_400000_NS6detail17trampoline_kernelINS0_14default_configENS1_25partition_config_selectorILNS1_17partition_subalgoE1EtNS0_10empty_typeEbEEZZNS1_14partition_implILS5_1ELb0ES3_jN6thrust23THRUST_200600_302600_NS6detail15normal_iteratorINSA_10device_ptrItEEEEPS6_NSA_18transform_iteratorI7is_evenItESF_NSA_11use_defaultESK_EENS0_5tupleIJSF_SF_EEENSM_IJSG_SG_EEES6_PlJS6_EEE10hipError_tPvRmT3_T4_T5_T6_T7_T9_mT8_P12ihipStream_tbDpT10_ENKUlT_T0_E_clISt17integral_constantIbLb1EES18_IbLb0EEEEDaS14_S15_EUlS14_E_NS1_11comp_targetILNS1_3genE5ELNS1_11target_archE942ELNS1_3gpuE9ELNS1_3repE0EEENS1_30default_config_static_selectorELNS0_4arch9wavefront6targetE1EEEvT1_,"axG",@progbits,_ZN7rocprim17ROCPRIM_400000_NS6detail17trampoline_kernelINS0_14default_configENS1_25partition_config_selectorILNS1_17partition_subalgoE1EtNS0_10empty_typeEbEEZZNS1_14partition_implILS5_1ELb0ES3_jN6thrust23THRUST_200600_302600_NS6detail15normal_iteratorINSA_10device_ptrItEEEEPS6_NSA_18transform_iteratorI7is_evenItESF_NSA_11use_defaultESK_EENS0_5tupleIJSF_SF_EEENSM_IJSG_SG_EEES6_PlJS6_EEE10hipError_tPvRmT3_T4_T5_T6_T7_T9_mT8_P12ihipStream_tbDpT10_ENKUlT_T0_E_clISt17integral_constantIbLb1EES18_IbLb0EEEEDaS14_S15_EUlS14_E_NS1_11comp_targetILNS1_3genE5ELNS1_11target_archE942ELNS1_3gpuE9ELNS1_3repE0EEENS1_30default_config_static_selectorELNS0_4arch9wavefront6targetE1EEEvT1_,comdat
	.protected	_ZN7rocprim17ROCPRIM_400000_NS6detail17trampoline_kernelINS0_14default_configENS1_25partition_config_selectorILNS1_17partition_subalgoE1EtNS0_10empty_typeEbEEZZNS1_14partition_implILS5_1ELb0ES3_jN6thrust23THRUST_200600_302600_NS6detail15normal_iteratorINSA_10device_ptrItEEEEPS6_NSA_18transform_iteratorI7is_evenItESF_NSA_11use_defaultESK_EENS0_5tupleIJSF_SF_EEENSM_IJSG_SG_EEES6_PlJS6_EEE10hipError_tPvRmT3_T4_T5_T6_T7_T9_mT8_P12ihipStream_tbDpT10_ENKUlT_T0_E_clISt17integral_constantIbLb1EES18_IbLb0EEEEDaS14_S15_EUlS14_E_NS1_11comp_targetILNS1_3genE5ELNS1_11target_archE942ELNS1_3gpuE9ELNS1_3repE0EEENS1_30default_config_static_selectorELNS0_4arch9wavefront6targetE1EEEvT1_ ; -- Begin function _ZN7rocprim17ROCPRIM_400000_NS6detail17trampoline_kernelINS0_14default_configENS1_25partition_config_selectorILNS1_17partition_subalgoE1EtNS0_10empty_typeEbEEZZNS1_14partition_implILS5_1ELb0ES3_jN6thrust23THRUST_200600_302600_NS6detail15normal_iteratorINSA_10device_ptrItEEEEPS6_NSA_18transform_iteratorI7is_evenItESF_NSA_11use_defaultESK_EENS0_5tupleIJSF_SF_EEENSM_IJSG_SG_EEES6_PlJS6_EEE10hipError_tPvRmT3_T4_T5_T6_T7_T9_mT8_P12ihipStream_tbDpT10_ENKUlT_T0_E_clISt17integral_constantIbLb1EES18_IbLb0EEEEDaS14_S15_EUlS14_E_NS1_11comp_targetILNS1_3genE5ELNS1_11target_archE942ELNS1_3gpuE9ELNS1_3repE0EEENS1_30default_config_static_selectorELNS0_4arch9wavefront6targetE1EEEvT1_
	.globl	_ZN7rocprim17ROCPRIM_400000_NS6detail17trampoline_kernelINS0_14default_configENS1_25partition_config_selectorILNS1_17partition_subalgoE1EtNS0_10empty_typeEbEEZZNS1_14partition_implILS5_1ELb0ES3_jN6thrust23THRUST_200600_302600_NS6detail15normal_iteratorINSA_10device_ptrItEEEEPS6_NSA_18transform_iteratorI7is_evenItESF_NSA_11use_defaultESK_EENS0_5tupleIJSF_SF_EEENSM_IJSG_SG_EEES6_PlJS6_EEE10hipError_tPvRmT3_T4_T5_T6_T7_T9_mT8_P12ihipStream_tbDpT10_ENKUlT_T0_E_clISt17integral_constantIbLb1EES18_IbLb0EEEEDaS14_S15_EUlS14_E_NS1_11comp_targetILNS1_3genE5ELNS1_11target_archE942ELNS1_3gpuE9ELNS1_3repE0EEENS1_30default_config_static_selectorELNS0_4arch9wavefront6targetE1EEEvT1_
	.p2align	8
	.type	_ZN7rocprim17ROCPRIM_400000_NS6detail17trampoline_kernelINS0_14default_configENS1_25partition_config_selectorILNS1_17partition_subalgoE1EtNS0_10empty_typeEbEEZZNS1_14partition_implILS5_1ELb0ES3_jN6thrust23THRUST_200600_302600_NS6detail15normal_iteratorINSA_10device_ptrItEEEEPS6_NSA_18transform_iteratorI7is_evenItESF_NSA_11use_defaultESK_EENS0_5tupleIJSF_SF_EEENSM_IJSG_SG_EEES6_PlJS6_EEE10hipError_tPvRmT3_T4_T5_T6_T7_T9_mT8_P12ihipStream_tbDpT10_ENKUlT_T0_E_clISt17integral_constantIbLb1EES18_IbLb0EEEEDaS14_S15_EUlS14_E_NS1_11comp_targetILNS1_3genE5ELNS1_11target_archE942ELNS1_3gpuE9ELNS1_3repE0EEENS1_30default_config_static_selectorELNS0_4arch9wavefront6targetE1EEEvT1_,@function
_ZN7rocprim17ROCPRIM_400000_NS6detail17trampoline_kernelINS0_14default_configENS1_25partition_config_selectorILNS1_17partition_subalgoE1EtNS0_10empty_typeEbEEZZNS1_14partition_implILS5_1ELb0ES3_jN6thrust23THRUST_200600_302600_NS6detail15normal_iteratorINSA_10device_ptrItEEEEPS6_NSA_18transform_iteratorI7is_evenItESF_NSA_11use_defaultESK_EENS0_5tupleIJSF_SF_EEENSM_IJSG_SG_EEES6_PlJS6_EEE10hipError_tPvRmT3_T4_T5_T6_T7_T9_mT8_P12ihipStream_tbDpT10_ENKUlT_T0_E_clISt17integral_constantIbLb1EES18_IbLb0EEEEDaS14_S15_EUlS14_E_NS1_11comp_targetILNS1_3genE5ELNS1_11target_archE942ELNS1_3gpuE9ELNS1_3repE0EEENS1_30default_config_static_selectorELNS0_4arch9wavefront6targetE1EEEvT1_: ; @_ZN7rocprim17ROCPRIM_400000_NS6detail17trampoline_kernelINS0_14default_configENS1_25partition_config_selectorILNS1_17partition_subalgoE1EtNS0_10empty_typeEbEEZZNS1_14partition_implILS5_1ELb0ES3_jN6thrust23THRUST_200600_302600_NS6detail15normal_iteratorINSA_10device_ptrItEEEEPS6_NSA_18transform_iteratorI7is_evenItESF_NSA_11use_defaultESK_EENS0_5tupleIJSF_SF_EEENSM_IJSG_SG_EEES6_PlJS6_EEE10hipError_tPvRmT3_T4_T5_T6_T7_T9_mT8_P12ihipStream_tbDpT10_ENKUlT_T0_E_clISt17integral_constantIbLb1EES18_IbLb0EEEEDaS14_S15_EUlS14_E_NS1_11comp_targetILNS1_3genE5ELNS1_11target_archE942ELNS1_3gpuE9ELNS1_3repE0EEENS1_30default_config_static_selectorELNS0_4arch9wavefront6targetE1EEEvT1_
; %bb.0:
	s_load_dwordx2 s[4:5], s[0:1], 0x60
	s_load_dwordx4 s[24:27], s[0:1], 0x8
	s_load_dwordx2 s[6:7], s[0:1], 0x20
	s_load_dwordx4 s[20:23], s[0:1], 0x50
	s_load_dword s3, s[0:1], 0x78
	s_waitcnt lgkmcnt(0)
	v_mov_b32_e32 v3, s5
	s_lshl_b64 s[8:9], s[26:27], 1
	s_add_u32 s12, s24, s8
	s_addc_u32 s13, s25, s9
	s_add_i32 s14, s3, -1
	s_mulk_i32 s3, 0x3800
	s_add_i32 s5, s3, s26
	s_sub_i32 s33, s4, s5
	s_addk_i32 s33, 0x3800
	v_mov_b32_e32 v2, s4
	s_add_u32 s4, s26, s3
	s_addc_u32 s5, s27, 0
	s_cmp_eq_u32 s2, s14
	s_load_dwordx2 s[28:29], s[22:23], 0x0
	s_cselect_b64 s[22:23], -1, 0
	s_cmp_lg_u32 s2, s14
	s_mul_i32 s10, s2, 0x3800
	s_mov_b32 s11, 0
	v_cmp_lt_u64_e32 vcc, s[4:5], v[2:3]
	s_cselect_b64 s[4:5], -1, 0
	s_or_b64 s[24:25], s[4:5], vcc
	s_lshl_b64 s[30:31], s[10:11], 1
	s_add_u32 s10, s12, s30
	s_addc_u32 s11, s13, s31
	s_mov_b64 s[4:5], -1
	s_and_b64 vcc, exec, s[24:25]
	v_lshlrev_b32_e32 v14, 1, v0
	s_cbranch_vccz .LBB2284_2
; %bb.1:
	v_mov_b32_e32 v15, 0
	v_lshl_add_u64 v[2:3], s[10:11], 0, v[14:15]
	v_add_co_u32_e32 v4, vcc, 0x1000, v2
	s_mov_b64 s[4:5], 0
	s_nop 0
	v_addc_co_u32_e32 v5, vcc, 0, v3, vcc
	flat_load_ushort v1, v[2:3]
	flat_load_ushort v8, v[2:3] offset:1024
	flat_load_ushort v9, v[2:3] offset:2048
	;; [unrolled: 1-line block ×3, first 2 shown]
	flat_load_ushort v11, v[4:5]
	flat_load_ushort v12, v[4:5] offset:1024
	flat_load_ushort v13, v[4:5] offset:2048
	;; [unrolled: 1-line block ×3, first 2 shown]
	v_add_co_u32_e32 v4, vcc, 0x2000, v2
	s_nop 1
	v_addc_co_u32_e32 v5, vcc, 0, v3, vcc
	v_add_co_u32_e32 v6, vcc, 0x3000, v2
	s_nop 1
	v_addc_co_u32_e32 v7, vcc, 0, v3, vcc
	flat_load_ushort v16, v[4:5]
	flat_load_ushort v17, v[4:5] offset:1024
	flat_load_ushort v18, v[4:5] offset:2048
	;; [unrolled: 1-line block ×3, first 2 shown]
	flat_load_ushort v20, v[6:7]
	flat_load_ushort v21, v[6:7] offset:1024
	flat_load_ushort v22, v[6:7] offset:2048
	;; [unrolled: 1-line block ×3, first 2 shown]
	v_add_co_u32_e32 v4, vcc, 0x4000, v2
	s_nop 1
	v_addc_co_u32_e32 v5, vcc, 0, v3, vcc
	v_add_co_u32_e32 v6, vcc, 0x5000, v2
	s_nop 1
	v_addc_co_u32_e32 v7, vcc, 0, v3, vcc
	v_add_co_u32_e32 v2, vcc, 0x6000, v2
	flat_load_ushort v24, v[4:5]
	flat_load_ushort v25, v[4:5] offset:1024
	flat_load_ushort v26, v[4:5] offset:2048
	;; [unrolled: 1-line block ×3, first 2 shown]
	flat_load_ushort v28, v[6:7]
	flat_load_ushort v29, v[6:7] offset:1024
	flat_load_ushort v30, v[6:7] offset:2048
	;; [unrolled: 1-line block ×3, first 2 shown]
	v_addc_co_u32_e32 v3, vcc, 0, v3, vcc
	flat_load_ushort v4, v[2:3]
	flat_load_ushort v5, v[2:3] offset:1024
	flat_load_ushort v6, v[2:3] offset:2048
	;; [unrolled: 1-line block ×3, first 2 shown]
	s_waitcnt vmcnt(0) lgkmcnt(0)
	ds_write_b16 v14, v1
	ds_write_b16 v14, v8 offset:1024
	ds_write_b16 v14, v9 offset:2048
	;; [unrolled: 1-line block ×27, first 2 shown]
	s_waitcnt lgkmcnt(0)
	s_barrier
.LBB2284_2:
	s_andn2_b64 vcc, exec, s[4:5]
	v_cmp_gt_u32_e64 s[4:5], s33, v0
	s_cbranch_vccnz .LBB2284_60
; %bb.3:
                                        ; implicit-def: $vgpr1
	s_and_saveexec_b64 s[12:13], s[4:5]
	s_cbranch_execz .LBB2284_5
; %bb.4:
	v_mov_b32_e32 v15, 0
	v_lshl_add_u64 v[2:3], s[10:11], 0, v[14:15]
	flat_load_ushort v1, v[2:3]
.LBB2284_5:
	s_or_b64 exec, exec, s[12:13]
	v_or_b32_e32 v2, 0x200, v0
	v_cmp_gt_u32_e32 vcc, s33, v2
                                        ; implicit-def: $vgpr2
	s_and_saveexec_b64 s[4:5], vcc
	s_cbranch_execz .LBB2284_7
; %bb.6:
	v_mov_b32_e32 v15, 0
	v_lshl_add_u64 v[2:3], s[10:11], 0, v[14:15]
	flat_load_ushort v2, v[2:3] offset:1024
.LBB2284_7:
	s_or_b64 exec, exec, s[4:5]
	v_or_b32_e32 v3, 0x400, v0
	v_cmp_gt_u32_e32 vcc, s33, v3
                                        ; implicit-def: $vgpr3
	s_and_saveexec_b64 s[4:5], vcc
	s_cbranch_execz .LBB2284_9
; %bb.8:
	v_mov_b32_e32 v15, 0
	v_lshl_add_u64 v[4:5], s[10:11], 0, v[14:15]
	flat_load_ushort v3, v[4:5] offset:2048
.LBB2284_9:
	s_or_b64 exec, exec, s[4:5]
	v_or_b32_e32 v4, 0x600, v0
	v_cmp_gt_u32_e32 vcc, s33, v4
                                        ; implicit-def: $vgpr4
	s_and_saveexec_b64 s[4:5], vcc
	s_cbranch_execz .LBB2284_11
; %bb.10:
	v_mov_b32_e32 v15, 0
	v_lshl_add_u64 v[4:5], s[10:11], 0, v[14:15]
	flat_load_ushort v4, v[4:5] offset:3072
.LBB2284_11:
	s_or_b64 exec, exec, s[4:5]
	v_or_b32_e32 v6, 0x800, v0
	v_cmp_gt_u32_e32 vcc, s33, v6
                                        ; implicit-def: $vgpr5
	s_and_saveexec_b64 s[4:5], vcc
	s_cbranch_execz .LBB2284_13
; %bb.12:
	v_lshlrev_b32_e32 v6, 1, v6
	v_mov_b32_e32 v7, 0
	v_lshl_add_u64 v[6:7], s[10:11], 0, v[6:7]
	flat_load_ushort v5, v[6:7]
.LBB2284_13:
	s_or_b64 exec, exec, s[4:5]
	v_or_b32_e32 v7, 0xa00, v0
	v_cmp_gt_u32_e32 vcc, s33, v7
                                        ; implicit-def: $vgpr6
	s_and_saveexec_b64 s[4:5], vcc
	s_cbranch_execz .LBB2284_15
; %bb.14:
	v_lshlrev_b32_e32 v6, 1, v7
	v_mov_b32_e32 v7, 0
	v_lshl_add_u64 v[6:7], s[10:11], 0, v[6:7]
	flat_load_ushort v6, v[6:7]
.LBB2284_15:
	s_or_b64 exec, exec, s[4:5]
	v_or_b32_e32 v8, 0xc00, v0
	v_cmp_gt_u32_e32 vcc, s33, v8
                                        ; implicit-def: $vgpr7
	s_and_saveexec_b64 s[4:5], vcc
	s_cbranch_execz .LBB2284_17
; %bb.16:
	v_lshlrev_b32_e32 v8, 1, v8
	v_mov_b32_e32 v9, 0
	v_lshl_add_u64 v[8:9], s[10:11], 0, v[8:9]
	flat_load_ushort v7, v[8:9]
.LBB2284_17:
	s_or_b64 exec, exec, s[4:5]
	v_or_b32_e32 v9, 0xe00, v0
	v_cmp_gt_u32_e32 vcc, s33, v9
                                        ; implicit-def: $vgpr8
	s_and_saveexec_b64 s[4:5], vcc
	s_cbranch_execz .LBB2284_19
; %bb.18:
	v_lshlrev_b32_e32 v8, 1, v9
	v_mov_b32_e32 v9, 0
	v_lshl_add_u64 v[8:9], s[10:11], 0, v[8:9]
	flat_load_ushort v8, v[8:9]
.LBB2284_19:
	s_or_b64 exec, exec, s[4:5]
	v_or_b32_e32 v10, 0x1000, v0
	v_cmp_gt_u32_e32 vcc, s33, v10
                                        ; implicit-def: $vgpr9
	s_and_saveexec_b64 s[4:5], vcc
	s_cbranch_execz .LBB2284_21
; %bb.20:
	v_lshlrev_b32_e32 v10, 1, v10
	v_mov_b32_e32 v11, 0
	v_lshl_add_u64 v[10:11], s[10:11], 0, v[10:11]
	flat_load_ushort v9, v[10:11]
.LBB2284_21:
	s_or_b64 exec, exec, s[4:5]
	v_or_b32_e32 v11, 0x1200, v0
	v_cmp_gt_u32_e32 vcc, s33, v11
                                        ; implicit-def: $vgpr10
	s_and_saveexec_b64 s[4:5], vcc
	s_cbranch_execz .LBB2284_23
; %bb.22:
	v_lshlrev_b32_e32 v10, 1, v11
	v_mov_b32_e32 v11, 0
	v_lshl_add_u64 v[10:11], s[10:11], 0, v[10:11]
	flat_load_ushort v10, v[10:11]
.LBB2284_23:
	s_or_b64 exec, exec, s[4:5]
	v_or_b32_e32 v12, 0x1400, v0
	v_cmp_gt_u32_e32 vcc, s33, v12
                                        ; implicit-def: $vgpr11
	s_and_saveexec_b64 s[4:5], vcc
	s_cbranch_execz .LBB2284_25
; %bb.24:
	v_lshlrev_b32_e32 v12, 1, v12
	v_mov_b32_e32 v13, 0
	v_lshl_add_u64 v[12:13], s[10:11], 0, v[12:13]
	flat_load_ushort v11, v[12:13]
.LBB2284_25:
	s_or_b64 exec, exec, s[4:5]
	v_or_b32_e32 v13, 0x1600, v0
	v_cmp_gt_u32_e32 vcc, s33, v13
                                        ; implicit-def: $vgpr12
	s_and_saveexec_b64 s[4:5], vcc
	s_cbranch_execz .LBB2284_27
; %bb.26:
	v_lshlrev_b32_e32 v12, 1, v13
	v_mov_b32_e32 v13, 0
	v_lshl_add_u64 v[12:13], s[10:11], 0, v[12:13]
	flat_load_ushort v12, v[12:13]
.LBB2284_27:
	s_or_b64 exec, exec, s[4:5]
	v_or_b32_e32 v15, 0x1800, v0
	v_cmp_gt_u32_e32 vcc, s33, v15
                                        ; implicit-def: $vgpr13
	s_and_saveexec_b64 s[4:5], vcc
	s_cbranch_execz .LBB2284_29
; %bb.28:
	v_lshlrev_b32_e32 v16, 1, v15
	v_mov_b32_e32 v17, 0
	v_lshl_add_u64 v[16:17], s[10:11], 0, v[16:17]
	flat_load_ushort v13, v[16:17]
.LBB2284_29:
	s_or_b64 exec, exec, s[4:5]
	v_or_b32_e32 v16, 0x1a00, v0
	v_cmp_gt_u32_e32 vcc, s33, v16
                                        ; implicit-def: $vgpr15
	s_and_saveexec_b64 s[4:5], vcc
	s_cbranch_execz .LBB2284_31
; %bb.30:
	v_lshlrev_b32_e32 v16, 1, v16
	v_mov_b32_e32 v17, 0
	v_lshl_add_u64 v[16:17], s[10:11], 0, v[16:17]
	flat_load_ushort v15, v[16:17]
.LBB2284_31:
	s_or_b64 exec, exec, s[4:5]
	v_or_b32_e32 v17, 0x1c00, v0
	v_cmp_gt_u32_e32 vcc, s33, v17
                                        ; implicit-def: $vgpr16
	s_and_saveexec_b64 s[4:5], vcc
	s_cbranch_execz .LBB2284_33
; %bb.32:
	v_lshlrev_b32_e32 v16, 1, v17
	v_mov_b32_e32 v17, 0
	v_lshl_add_u64 v[16:17], s[10:11], 0, v[16:17]
	flat_load_ushort v16, v[16:17]
.LBB2284_33:
	s_or_b64 exec, exec, s[4:5]
	v_or_b32_e32 v18, 0x1e00, v0
	v_cmp_gt_u32_e32 vcc, s33, v18
                                        ; implicit-def: $vgpr17
	s_and_saveexec_b64 s[4:5], vcc
	s_cbranch_execz .LBB2284_35
; %bb.34:
	v_lshlrev_b32_e32 v18, 1, v18
	v_mov_b32_e32 v19, 0
	v_lshl_add_u64 v[18:19], s[10:11], 0, v[18:19]
	flat_load_ushort v17, v[18:19]
.LBB2284_35:
	s_or_b64 exec, exec, s[4:5]
	v_or_b32_e32 v19, 0x2000, v0
	v_cmp_gt_u32_e32 vcc, s33, v19
                                        ; implicit-def: $vgpr18
	s_and_saveexec_b64 s[4:5], vcc
	s_cbranch_execz .LBB2284_37
; %bb.36:
	v_lshlrev_b32_e32 v18, 1, v19
	v_mov_b32_e32 v19, 0
	v_lshl_add_u64 v[18:19], s[10:11], 0, v[18:19]
	flat_load_ushort v18, v[18:19]
.LBB2284_37:
	s_or_b64 exec, exec, s[4:5]
	v_or_b32_e32 v20, 0x2200, v0
	v_cmp_gt_u32_e32 vcc, s33, v20
                                        ; implicit-def: $vgpr19
	s_and_saveexec_b64 s[4:5], vcc
	s_cbranch_execz .LBB2284_39
; %bb.38:
	v_lshlrev_b32_e32 v20, 1, v20
	v_mov_b32_e32 v21, 0
	v_lshl_add_u64 v[20:21], s[10:11], 0, v[20:21]
	flat_load_ushort v19, v[20:21]
.LBB2284_39:
	s_or_b64 exec, exec, s[4:5]
	v_or_b32_e32 v21, 0x2400, v0
	v_cmp_gt_u32_e32 vcc, s33, v21
                                        ; implicit-def: $vgpr20
	s_and_saveexec_b64 s[4:5], vcc
	s_cbranch_execz .LBB2284_41
; %bb.40:
	v_lshlrev_b32_e32 v20, 1, v21
	v_mov_b32_e32 v21, 0
	v_lshl_add_u64 v[20:21], s[10:11], 0, v[20:21]
	flat_load_ushort v20, v[20:21]
.LBB2284_41:
	s_or_b64 exec, exec, s[4:5]
	v_or_b32_e32 v22, 0x2600, v0
	v_cmp_gt_u32_e32 vcc, s33, v22
                                        ; implicit-def: $vgpr21
	s_and_saveexec_b64 s[4:5], vcc
	s_cbranch_execz .LBB2284_43
; %bb.42:
	v_lshlrev_b32_e32 v22, 1, v22
	v_mov_b32_e32 v23, 0
	v_lshl_add_u64 v[22:23], s[10:11], 0, v[22:23]
	flat_load_ushort v21, v[22:23]
.LBB2284_43:
	s_or_b64 exec, exec, s[4:5]
	v_or_b32_e32 v23, 0x2800, v0
	v_cmp_gt_u32_e32 vcc, s33, v23
                                        ; implicit-def: $vgpr22
	s_and_saveexec_b64 s[4:5], vcc
	s_cbranch_execz .LBB2284_45
; %bb.44:
	v_lshlrev_b32_e32 v22, 1, v23
	v_mov_b32_e32 v23, 0
	v_lshl_add_u64 v[22:23], s[10:11], 0, v[22:23]
	flat_load_ushort v22, v[22:23]
.LBB2284_45:
	s_or_b64 exec, exec, s[4:5]
	v_or_b32_e32 v24, 0x2a00, v0
	v_cmp_gt_u32_e32 vcc, s33, v24
                                        ; implicit-def: $vgpr23
	s_and_saveexec_b64 s[4:5], vcc
	s_cbranch_execz .LBB2284_47
; %bb.46:
	v_lshlrev_b32_e32 v24, 1, v24
	v_mov_b32_e32 v25, 0
	v_lshl_add_u64 v[24:25], s[10:11], 0, v[24:25]
	flat_load_ushort v23, v[24:25]
.LBB2284_47:
	s_or_b64 exec, exec, s[4:5]
	v_or_b32_e32 v25, 0x2c00, v0
	v_cmp_gt_u32_e32 vcc, s33, v25
                                        ; implicit-def: $vgpr24
	s_and_saveexec_b64 s[4:5], vcc
	s_cbranch_execz .LBB2284_49
; %bb.48:
	v_lshlrev_b32_e32 v24, 1, v25
	v_mov_b32_e32 v25, 0
	v_lshl_add_u64 v[24:25], s[10:11], 0, v[24:25]
	flat_load_ushort v24, v[24:25]
.LBB2284_49:
	s_or_b64 exec, exec, s[4:5]
	v_or_b32_e32 v26, 0x2e00, v0
	v_cmp_gt_u32_e32 vcc, s33, v26
                                        ; implicit-def: $vgpr25
	s_and_saveexec_b64 s[4:5], vcc
	s_cbranch_execz .LBB2284_51
; %bb.50:
	v_lshlrev_b32_e32 v26, 1, v26
	v_mov_b32_e32 v27, 0
	v_lshl_add_u64 v[26:27], s[10:11], 0, v[26:27]
	flat_load_ushort v25, v[26:27]
.LBB2284_51:
	s_or_b64 exec, exec, s[4:5]
	v_or_b32_e32 v27, 0x3000, v0
	v_cmp_gt_u32_e32 vcc, s33, v27
                                        ; implicit-def: $vgpr26
	s_and_saveexec_b64 s[4:5], vcc
	s_cbranch_execz .LBB2284_53
; %bb.52:
	v_lshlrev_b32_e32 v26, 1, v27
	v_mov_b32_e32 v27, 0
	v_lshl_add_u64 v[26:27], s[10:11], 0, v[26:27]
	flat_load_ushort v26, v[26:27]
.LBB2284_53:
	s_or_b64 exec, exec, s[4:5]
	v_or_b32_e32 v28, 0x3200, v0
	v_cmp_gt_u32_e32 vcc, s33, v28
                                        ; implicit-def: $vgpr27
	s_and_saveexec_b64 s[4:5], vcc
	s_cbranch_execz .LBB2284_55
; %bb.54:
	v_lshlrev_b32_e32 v28, 1, v28
	v_mov_b32_e32 v29, 0
	v_lshl_add_u64 v[28:29], s[10:11], 0, v[28:29]
	flat_load_ushort v27, v[28:29]
.LBB2284_55:
	s_or_b64 exec, exec, s[4:5]
	v_or_b32_e32 v29, 0x3400, v0
	v_cmp_gt_u32_e32 vcc, s33, v29
                                        ; implicit-def: $vgpr28
	s_and_saveexec_b64 s[4:5], vcc
	s_cbranch_execz .LBB2284_57
; %bb.56:
	v_lshlrev_b32_e32 v28, 1, v29
	v_mov_b32_e32 v29, 0
	v_lshl_add_u64 v[28:29], s[10:11], 0, v[28:29]
	flat_load_ushort v28, v[28:29]
.LBB2284_57:
	s_or_b64 exec, exec, s[4:5]
	v_or_b32_e32 v30, 0x3600, v0
	v_cmp_gt_u32_e32 vcc, s33, v30
                                        ; implicit-def: $vgpr29
	s_and_saveexec_b64 s[4:5], vcc
	s_cbranch_execz .LBB2284_59
; %bb.58:
	v_lshlrev_b32_e32 v30, 1, v30
	v_mov_b32_e32 v31, 0
	v_lshl_add_u64 v[30:31], s[10:11], 0, v[30:31]
	flat_load_ushort v29, v[30:31]
.LBB2284_59:
	s_or_b64 exec, exec, s[4:5]
	s_waitcnt vmcnt(0) lgkmcnt(0)
	ds_write_b16 v14, v1
	ds_write_b16 v14, v2 offset:1024
	ds_write_b16 v14, v3 offset:2048
	;; [unrolled: 1-line block ×27, first 2 shown]
	s_waitcnt lgkmcnt(0)
	s_barrier
.LBB2284_60:
	v_mul_u32_u24_e32 v1, 28, v0
	v_lshlrev_b32_e32 v6, 1, v1
	s_waitcnt lgkmcnt(0)
	ds_read_b64 v[16:17], v6 offset:48
	ds_read2_b64 v[2:5], v6 offset0:4 offset1:5
	ds_read2_b64 v[10:13], v6 offset1:1
	ds_read2_b64 v[6:9], v6 offset0:2 offset1:3
	s_add_u32 s3, s6, s8
	s_addc_u32 s5, s7, s9
	s_add_u32 s4, s3, s30
	s_addc_u32 s5, s5, s31
	s_mov_b64 s[6:7], -1
	s_and_b64 vcc, exec, s[24:25]
	s_waitcnt lgkmcnt(0)
	s_barrier
	s_cbranch_vccz .LBB2284_62
; %bb.61:
	v_mov_b32_e32 v15, 0
	v_lshl_add_u64 v[18:19], s[4:5], 0, v[14:15]
	s_movk_i32 s3, 0x1000
	v_add_co_u32_e32 v20, vcc, s3, v18
	s_movk_i32 s3, 0x2000
	s_nop 0
	v_addc_co_u32_e32 v21, vcc, 0, v19, vcc
	v_add_co_u32_e32 v22, vcc, s3, v18
	s_movk_i32 s6, 0x4000
	s_nop 0
	v_addc_co_u32_e32 v23, vcc, 0, v19, vcc
	global_load_ubyte v15, v14, s[4:5]
	global_load_ubyte v24, v14, s[4:5] offset:1024
	global_load_ubyte v25, v14, s[4:5] offset:2048
	;; [unrolled: 1-line block ×3, first 2 shown]
	global_load_ubyte v27, v[20:21], off offset:1024
	global_load_ubyte v28, v[20:21], off offset:2048
	;; [unrolled: 1-line block ×3, first 2 shown]
	global_load_ubyte v30, v[22:23], off offset:-4096
	global_load_ubyte v31, v[22:23], off
	global_load_ubyte v32, v[22:23], off offset:1024
	v_add_co_u32_e32 v20, vcc, s6, v18
	s_movk_i32 s3, 0x3000
	s_nop 0
	v_addc_co_u32_e32 v21, vcc, 0, v19, vcc
	global_load_ubyte v33, v[22:23], off offset:2048
	global_load_ubyte v34, v[22:23], off offset:3072
	global_load_ubyte v35, v[20:21], off offset:-4096
	v_add_co_u32_e32 v22, vcc, s3, v18
	s_movk_i32 s6, 0x6000
	s_nop 0
	v_addc_co_u32_e32 v23, vcc, 0, v19, vcc
	global_load_ubyte v36, v[22:23], off offset:1024
	global_load_ubyte v37, v[22:23], off offset:2048
	;; [unrolled: 1-line block ×3, first 2 shown]
	global_load_ubyte v39, v[20:21], off
	v_add_co_u32_e32 v22, vcc, s6, v18
	s_movk_i32 s3, 0x5000
	s_nop 0
	v_addc_co_u32_e32 v23, vcc, 0, v19, vcc
	v_add_co_u32_e32 v18, vcc, s3, v18
	global_load_ubyte v40, v[20:21], off offset:1024
	global_load_ubyte v41, v[20:21], off offset:2048
	;; [unrolled: 1-line block ×3, first 2 shown]
	global_load_ubyte v43, v[22:23], off offset:-4096
	v_addc_co_u32_e32 v19, vcc, 0, v19, vcc
	global_load_ubyte v20, v[18:19], off offset:1024
	global_load_ubyte v21, v[18:19], off offset:2048
	;; [unrolled: 1-line block ×3, first 2 shown]
	global_load_ubyte v45, v[22:23], off
	global_load_ubyte v46, v[22:23], off offset:1024
	global_load_ubyte v47, v[22:23], off offset:2048
	;; [unrolled: 1-line block ×3, first 2 shown]
	s_mov_b64 s[6:7], 0
	s_waitcnt vmcnt(23)
	v_xor_b32_e32 v23, -1, v27
	v_xor_b32_e32 v15, -1, v15
	;; [unrolled: 1-line block ×5, first 2 shown]
	v_and_b32_e32 v15, 1, v15
	s_waitcnt vmcnt(22)
	v_xor_b32_e32 v24, -1, v28
	s_waitcnt vmcnt(21)
	v_xor_b32_e32 v25, -1, v29
	;; [unrolled: 2-line block ×12, first 2 shown]
	v_and_b32_e32 v18, 1, v18
	v_and_b32_e32 v19, 1, v19
	;; [unrolled: 1-line block ×4, first 2 shown]
	s_waitcnt vmcnt(10)
	v_xor_b32_e32 v36, -1, v40
	s_waitcnt vmcnt(9)
	v_xor_b32_e32 v37, -1, v41
	;; [unrolled: 2-line block ×11, first 2 shown]
	v_and_b32_e32 v24, 1, v24
	v_and_b32_e32 v25, 1, v25
	;; [unrolled: 1-line block ×23, first 2 shown]
	ds_write_b8 v0, v15
	ds_write_b8 v0, v18 offset:512
	ds_write_b8 v0, v19 offset:1024
	;; [unrolled: 1-line block ×27, first 2 shown]
	s_waitcnt lgkmcnt(0)
	s_barrier
.LBB2284_62:
	s_load_dwordx2 s[34:35], s[0:1], 0x70
	s_andn2_b64 vcc, exec, s[6:7]
	s_cbranch_vccnz .LBB2284_120
; %bb.63:
	v_cmp_gt_u32_e32 vcc, s33, v0
	v_mov_b32_e32 v15, 0
	v_mov_b32_e32 v18, 0
	s_and_saveexec_b64 s[6:7], vcc
	s_cbranch_execz .LBB2284_65
; %bb.64:
	global_load_ubyte v18, v14, s[4:5]
	s_waitcnt vmcnt(0)
	v_xor_b32_e32 v18, -1, v18
	v_and_b32_e32 v18, 1, v18
.LBB2284_65:
	s_or_b64 exec, exec, s[6:7]
	v_or_b32_e32 v19, 0x200, v0
	v_cmp_gt_u32_e32 vcc, s33, v19
	s_and_saveexec_b64 s[6:7], vcc
	s_cbranch_execz .LBB2284_67
; %bb.66:
	global_load_ubyte v15, v14, s[4:5] offset:1024
	s_waitcnt vmcnt(0)
	v_xor_b32_e32 v15, -1, v15
	v_and_b32_e32 v15, 1, v15
.LBB2284_67:
	s_or_b64 exec, exec, s[6:7]
	v_or_b32_e32 v19, 0x400, v0
	v_cmp_gt_u32_e32 vcc, s33, v19
	v_mov_b32_e32 v19, 0
	v_mov_b32_e32 v20, 0
	s_and_saveexec_b64 s[6:7], vcc
	s_cbranch_execz .LBB2284_69
; %bb.68:
	global_load_ubyte v20, v14, s[4:5] offset:2048
	s_waitcnt vmcnt(0)
	v_xor_b32_e32 v20, -1, v20
	v_and_b32_e32 v20, 1, v20
.LBB2284_69:
	s_or_b64 exec, exec, s[6:7]
	v_or_b32_e32 v21, 0x600, v0
	v_cmp_gt_u32_e32 vcc, s33, v21
	s_and_saveexec_b64 s[6:7], vcc
	s_cbranch_execz .LBB2284_71
; %bb.70:
	global_load_ubyte v19, v14, s[4:5] offset:3072
	s_waitcnt vmcnt(0)
	v_xor_b32_e32 v19, -1, v19
	v_and_b32_e32 v19, 1, v19
.LBB2284_71:
	s_or_b64 exec, exec, s[6:7]
	v_or_b32_e32 v23, 0x800, v0
	v_cmp_gt_u32_e32 vcc, s33, v23
	v_mov_b32_e32 v21, 0
	v_mov_b32_e32 v22, 0
	s_and_saveexec_b64 s[6:7], vcc
	s_cbranch_execz .LBB2284_73
; %bb.72:
	v_lshlrev_b32_e32 v22, 1, v23
	global_load_ubyte v22, v22, s[4:5]
	s_waitcnt vmcnt(0)
	v_xor_b32_e32 v22, -1, v22
	v_and_b32_e32 v22, 1, v22
.LBB2284_73:
	s_or_b64 exec, exec, s[6:7]
	v_or_b32_e32 v23, 0xa00, v0
	v_cmp_gt_u32_e32 vcc, s33, v23
	s_and_saveexec_b64 s[6:7], vcc
	s_cbranch_execz .LBB2284_75
; %bb.74:
	v_lshlrev_b32_e32 v21, 1, v23
	global_load_ubyte v21, v21, s[4:5]
	s_waitcnt vmcnt(0)
	v_xor_b32_e32 v21, -1, v21
	v_and_b32_e32 v21, 1, v21
.LBB2284_75:
	s_or_b64 exec, exec, s[6:7]
	v_or_b32_e32 v25, 0xc00, v0
	v_cmp_gt_u32_e32 vcc, s33, v25
	v_mov_b32_e32 v23, 0
	v_mov_b32_e32 v24, 0
	s_and_saveexec_b64 s[6:7], vcc
	s_cbranch_execz .LBB2284_77
; %bb.76:
	v_lshlrev_b32_e32 v24, 1, v25
	global_load_ubyte v24, v24, s[4:5]
	s_waitcnt vmcnt(0)
	v_xor_b32_e32 v24, -1, v24
	v_and_b32_e32 v24, 1, v24
.LBB2284_77:
	s_or_b64 exec, exec, s[6:7]
	v_or_b32_e32 v25, 0xe00, v0
	v_cmp_gt_u32_e32 vcc, s33, v25
	s_and_saveexec_b64 s[6:7], vcc
	s_cbranch_execz .LBB2284_79
; %bb.78:
	v_lshlrev_b32_e32 v23, 1, v25
	global_load_ubyte v23, v23, s[4:5]
	s_waitcnt vmcnt(0)
	v_xor_b32_e32 v23, -1, v23
	v_and_b32_e32 v23, 1, v23
.LBB2284_79:
	s_or_b64 exec, exec, s[6:7]
	v_or_b32_e32 v27, 0x1000, v0
	v_cmp_gt_u32_e32 vcc, s33, v27
	v_mov_b32_e32 v25, 0
	v_mov_b32_e32 v26, 0
	s_and_saveexec_b64 s[6:7], vcc
	s_cbranch_execz .LBB2284_81
; %bb.80:
	v_lshlrev_b32_e32 v26, 1, v27
	global_load_ubyte v26, v26, s[4:5]
	s_waitcnt vmcnt(0)
	v_xor_b32_e32 v26, -1, v26
	v_and_b32_e32 v26, 1, v26
.LBB2284_81:
	s_or_b64 exec, exec, s[6:7]
	v_or_b32_e32 v27, 0x1200, v0
	v_cmp_gt_u32_e32 vcc, s33, v27
	s_and_saveexec_b64 s[6:7], vcc
	s_cbranch_execz .LBB2284_83
; %bb.82:
	v_lshlrev_b32_e32 v25, 1, v27
	global_load_ubyte v25, v25, s[4:5]
	s_waitcnt vmcnt(0)
	v_xor_b32_e32 v25, -1, v25
	v_and_b32_e32 v25, 1, v25
.LBB2284_83:
	s_or_b64 exec, exec, s[6:7]
	v_or_b32_e32 v29, 0x1400, v0
	v_cmp_gt_u32_e32 vcc, s33, v29
	v_mov_b32_e32 v27, 0
	v_mov_b32_e32 v28, 0
	s_and_saveexec_b64 s[6:7], vcc
	s_cbranch_execz .LBB2284_85
; %bb.84:
	v_lshlrev_b32_e32 v28, 1, v29
	global_load_ubyte v28, v28, s[4:5]
	s_waitcnt vmcnt(0)
	v_xor_b32_e32 v28, -1, v28
	v_and_b32_e32 v28, 1, v28
.LBB2284_85:
	s_or_b64 exec, exec, s[6:7]
	v_or_b32_e32 v29, 0x1600, v0
	v_cmp_gt_u32_e32 vcc, s33, v29
	s_and_saveexec_b64 s[6:7], vcc
	s_cbranch_execz .LBB2284_87
; %bb.86:
	v_lshlrev_b32_e32 v27, 1, v29
	global_load_ubyte v27, v27, s[4:5]
	s_waitcnt vmcnt(0)
	v_xor_b32_e32 v27, -1, v27
	v_and_b32_e32 v27, 1, v27
.LBB2284_87:
	s_or_b64 exec, exec, s[6:7]
	v_or_b32_e32 v31, 0x1800, v0
	v_cmp_gt_u32_e32 vcc, s33, v31
	v_mov_b32_e32 v29, 0
	v_mov_b32_e32 v30, 0
	s_and_saveexec_b64 s[6:7], vcc
	s_cbranch_execz .LBB2284_89
; %bb.88:
	v_lshlrev_b32_e32 v30, 1, v31
	global_load_ubyte v30, v30, s[4:5]
	s_waitcnt vmcnt(0)
	v_xor_b32_e32 v30, -1, v30
	v_and_b32_e32 v30, 1, v30
.LBB2284_89:
	s_or_b64 exec, exec, s[6:7]
	v_or_b32_e32 v31, 0x1a00, v0
	v_cmp_gt_u32_e32 vcc, s33, v31
	s_and_saveexec_b64 s[6:7], vcc
	s_cbranch_execz .LBB2284_91
; %bb.90:
	v_lshlrev_b32_e32 v29, 1, v31
	global_load_ubyte v29, v29, s[4:5]
	s_waitcnt vmcnt(0)
	v_xor_b32_e32 v29, -1, v29
	v_and_b32_e32 v29, 1, v29
.LBB2284_91:
	s_or_b64 exec, exec, s[6:7]
	v_or_b32_e32 v33, 0x1c00, v0
	v_cmp_gt_u32_e32 vcc, s33, v33
	v_mov_b32_e32 v31, 0
	v_mov_b32_e32 v32, 0
	s_and_saveexec_b64 s[6:7], vcc
	s_cbranch_execz .LBB2284_93
; %bb.92:
	v_lshlrev_b32_e32 v32, 1, v33
	global_load_ubyte v32, v32, s[4:5]
	s_waitcnt vmcnt(0)
	v_xor_b32_e32 v32, -1, v32
	v_and_b32_e32 v32, 1, v32
.LBB2284_93:
	s_or_b64 exec, exec, s[6:7]
	v_or_b32_e32 v33, 0x1e00, v0
	v_cmp_gt_u32_e32 vcc, s33, v33
	s_and_saveexec_b64 s[6:7], vcc
	s_cbranch_execz .LBB2284_95
; %bb.94:
	v_lshlrev_b32_e32 v31, 1, v33
	global_load_ubyte v31, v31, s[4:5]
	s_waitcnt vmcnt(0)
	v_xor_b32_e32 v31, -1, v31
	v_and_b32_e32 v31, 1, v31
.LBB2284_95:
	s_or_b64 exec, exec, s[6:7]
	v_or_b32_e32 v35, 0x2000, v0
	v_cmp_gt_u32_e32 vcc, s33, v35
	v_mov_b32_e32 v33, 0
	v_mov_b32_e32 v34, 0
	s_and_saveexec_b64 s[6:7], vcc
	s_cbranch_execz .LBB2284_97
; %bb.96:
	v_lshlrev_b32_e32 v34, 1, v35
	global_load_ubyte v34, v34, s[4:5]
	s_waitcnt vmcnt(0)
	v_xor_b32_e32 v34, -1, v34
	v_and_b32_e32 v34, 1, v34
.LBB2284_97:
	s_or_b64 exec, exec, s[6:7]
	v_or_b32_e32 v35, 0x2200, v0
	v_cmp_gt_u32_e32 vcc, s33, v35
	s_and_saveexec_b64 s[6:7], vcc
	s_cbranch_execz .LBB2284_99
; %bb.98:
	v_lshlrev_b32_e32 v33, 1, v35
	global_load_ubyte v33, v33, s[4:5]
	s_waitcnt vmcnt(0)
	v_xor_b32_e32 v33, -1, v33
	v_and_b32_e32 v33, 1, v33
.LBB2284_99:
	s_or_b64 exec, exec, s[6:7]
	v_or_b32_e32 v37, 0x2400, v0
	v_cmp_gt_u32_e32 vcc, s33, v37
	v_mov_b32_e32 v35, 0
	v_mov_b32_e32 v36, 0
	s_and_saveexec_b64 s[6:7], vcc
	s_cbranch_execz .LBB2284_101
; %bb.100:
	v_lshlrev_b32_e32 v36, 1, v37
	global_load_ubyte v36, v36, s[4:5]
	s_waitcnt vmcnt(0)
	v_xor_b32_e32 v36, -1, v36
	v_and_b32_e32 v36, 1, v36
.LBB2284_101:
	s_or_b64 exec, exec, s[6:7]
	v_or_b32_e32 v37, 0x2600, v0
	v_cmp_gt_u32_e32 vcc, s33, v37
	s_and_saveexec_b64 s[6:7], vcc
	s_cbranch_execz .LBB2284_103
; %bb.102:
	v_lshlrev_b32_e32 v35, 1, v37
	global_load_ubyte v35, v35, s[4:5]
	s_waitcnt vmcnt(0)
	v_xor_b32_e32 v35, -1, v35
	v_and_b32_e32 v35, 1, v35
.LBB2284_103:
	s_or_b64 exec, exec, s[6:7]
	v_or_b32_e32 v39, 0x2800, v0
	v_cmp_gt_u32_e32 vcc, s33, v39
	v_mov_b32_e32 v37, 0
	v_mov_b32_e32 v38, 0
	s_and_saveexec_b64 s[6:7], vcc
	s_cbranch_execz .LBB2284_105
; %bb.104:
	v_lshlrev_b32_e32 v38, 1, v39
	global_load_ubyte v38, v38, s[4:5]
	s_waitcnt vmcnt(0)
	v_xor_b32_e32 v38, -1, v38
	v_and_b32_e32 v38, 1, v38
.LBB2284_105:
	s_or_b64 exec, exec, s[6:7]
	v_or_b32_e32 v39, 0x2a00, v0
	v_cmp_gt_u32_e32 vcc, s33, v39
	s_and_saveexec_b64 s[6:7], vcc
	s_cbranch_execz .LBB2284_107
; %bb.106:
	v_lshlrev_b32_e32 v37, 1, v39
	global_load_ubyte v37, v37, s[4:5]
	s_waitcnt vmcnt(0)
	v_xor_b32_e32 v37, -1, v37
	v_and_b32_e32 v37, 1, v37
.LBB2284_107:
	s_or_b64 exec, exec, s[6:7]
	v_or_b32_e32 v41, 0x2c00, v0
	v_cmp_gt_u32_e32 vcc, s33, v41
	v_mov_b32_e32 v39, 0
	v_mov_b32_e32 v40, 0
	s_and_saveexec_b64 s[6:7], vcc
	s_cbranch_execz .LBB2284_109
; %bb.108:
	v_lshlrev_b32_e32 v40, 1, v41
	global_load_ubyte v40, v40, s[4:5]
	s_waitcnt vmcnt(0)
	v_xor_b32_e32 v40, -1, v40
	v_and_b32_e32 v40, 1, v40
.LBB2284_109:
	s_or_b64 exec, exec, s[6:7]
	v_or_b32_e32 v41, 0x2e00, v0
	v_cmp_gt_u32_e32 vcc, s33, v41
	s_and_saveexec_b64 s[6:7], vcc
	s_cbranch_execz .LBB2284_111
; %bb.110:
	v_lshlrev_b32_e32 v39, 1, v41
	global_load_ubyte v39, v39, s[4:5]
	s_waitcnt vmcnt(0)
	v_xor_b32_e32 v39, -1, v39
	v_and_b32_e32 v39, 1, v39
.LBB2284_111:
	s_or_b64 exec, exec, s[6:7]
	v_or_b32_e32 v43, 0x3000, v0
	v_cmp_gt_u32_e32 vcc, s33, v43
	v_mov_b32_e32 v41, 0
	v_mov_b32_e32 v42, 0
	s_and_saveexec_b64 s[6:7], vcc
	s_cbranch_execz .LBB2284_113
; %bb.112:
	v_lshlrev_b32_e32 v42, 1, v43
	global_load_ubyte v42, v42, s[4:5]
	s_waitcnt vmcnt(0)
	v_xor_b32_e32 v42, -1, v42
	v_and_b32_e32 v42, 1, v42
.LBB2284_113:
	s_or_b64 exec, exec, s[6:7]
	v_or_b32_e32 v43, 0x3200, v0
	v_cmp_gt_u32_e32 vcc, s33, v43
	s_and_saveexec_b64 s[6:7], vcc
	s_cbranch_execz .LBB2284_115
; %bb.114:
	v_lshlrev_b32_e32 v41, 1, v43
	global_load_ubyte v41, v41, s[4:5]
	s_waitcnt vmcnt(0)
	v_xor_b32_e32 v41, -1, v41
	v_and_b32_e32 v41, 1, v41
.LBB2284_115:
	s_or_b64 exec, exec, s[6:7]
	v_or_b32_e32 v45, 0x3400, v0
	v_cmp_gt_u32_e32 vcc, s33, v45
	v_mov_b32_e32 v43, 0
	v_mov_b32_e32 v44, 0
	s_and_saveexec_b64 s[6:7], vcc
	s_cbranch_execz .LBB2284_117
; %bb.116:
	v_lshlrev_b32_e32 v44, 1, v45
	global_load_ubyte v44, v44, s[4:5]
	s_waitcnt vmcnt(0)
	v_xor_b32_e32 v44, -1, v44
	v_and_b32_e32 v44, 1, v44
.LBB2284_117:
	s_or_b64 exec, exec, s[6:7]
	v_or_b32_e32 v45, 0x3600, v0
	v_cmp_gt_u32_e32 vcc, s33, v45
	s_and_saveexec_b64 s[6:7], vcc
	s_cbranch_execz .LBB2284_119
; %bb.118:
	v_lshlrev_b32_e32 v43, 1, v45
	global_load_ubyte v43, v43, s[4:5]
	s_waitcnt vmcnt(0)
	v_xor_b32_e32 v43, -1, v43
	v_and_b32_e32 v43, 1, v43
.LBB2284_119:
	s_or_b64 exec, exec, s[6:7]
	ds_write_b8 v0, v18
	ds_write_b8 v0, v15 offset:512
	ds_write_b8 v0, v20 offset:1024
	;; [unrolled: 1-line block ×27, first 2 shown]
	s_waitcnt lgkmcnt(0)
	s_barrier
.LBB2284_120:
	s_waitcnt lgkmcnt(0)
	ds_read2_b32 v[24:25], v1 offset1:1
	ds_read2_b32 v[22:23], v1 offset0:2 offset1:3
	ds_read2_b32 v[20:21], v1 offset0:4 offset1:5
	ds_read_b32 v34, v1 offset:24
	s_cmp_lg_u32 s2, 0
	v_lshrrev_b32_e32 v61, 6, v0
	s_waitcnt lgkmcnt(2)
	v_and_b32_e32 v53, 0xff, v22
	v_lshrrev_b32_e32 v41, 24, v24
	v_bfe_u32 v59, v24, 16, 8
	v_add_u32_sdwa v18, v24, v24 dst_sel:DWORD dst_unused:UNUSED_PAD src0_sel:BYTE_1 src1_sel:BYTE_0
	v_and_b32_e32 v56, 0xff, v25
	v_bfe_u32 v57, v25, 8, 8
	v_add3_u32 v18, v18, v59, v41
	v_lshrrev_b32_e32 v40, 24, v25
	v_bfe_u32 v58, v25, 16, 8
	v_add3_u32 v18, v18, v56, v57
	v_bfe_u32 v54, v22, 8, 8
	v_add3_u32 v18, v18, v58, v40
	v_lshrrev_b32_e32 v39, 24, v22
	v_bfe_u32 v55, v22, 16, 8
	v_add3_u32 v18, v18, v53, v54
	v_and_b32_e32 v50, 0xff, v23
	v_bfe_u32 v51, v23, 8, 8
	v_add3_u32 v18, v18, v55, v39
	v_lshrrev_b32_e32 v38, 24, v23
	v_bfe_u32 v52, v23, 16, 8
	v_add3_u32 v18, v18, v50, v51
	s_waitcnt lgkmcnt(1)
	v_and_b32_e32 v47, 0xff, v20
	v_bfe_u32 v48, v20, 8, 8
	v_add3_u32 v18, v18, v52, v38
	v_lshrrev_b32_e32 v37, 24, v20
	v_bfe_u32 v49, v20, 16, 8
	v_add3_u32 v18, v18, v47, v48
	v_and_b32_e32 v44, 0xff, v21
	v_bfe_u32 v45, v21, 8, 8
	v_add3_u32 v18, v18, v49, v37
	v_lshrrev_b32_e32 v36, 24, v21
	v_bfe_u32 v46, v21, 16, 8
	v_add3_u32 v18, v18, v44, v45
	s_waitcnt lgkmcnt(0)
	v_and_b32_e32 v42, 0xff, v34
	v_bfe_u32 v43, v34, 8, 8
	v_add3_u32 v18, v18, v46, v36
	v_lshrrev_b32_e32 v15, 24, v34
	v_bfe_u32 v35, v34, 16, 8
	v_add3_u32 v18, v18, v42, v43
	v_add3_u32 v62, v18, v35, v15
	v_mbcnt_lo_u32_b32 v18, -1, 0
	v_mbcnt_hi_u32_b32 v60, -1, v18
	v_and_b32_e32 v18, 15, v60
	v_cmp_eq_u32_e64 s[14:15], 0, v18
	v_cmp_lt_u32_e64 s[12:13], 1, v18
	v_cmp_lt_u32_e64 s[10:11], 3, v18
	;; [unrolled: 1-line block ×3, first 2 shown]
	v_and_b32_e32 v18, 16, v60
	v_cmp_eq_u32_e64 s[6:7], 0, v18
	v_or_b32_e32 v18, 63, v0
	v_cmp_lt_u32_e64 s[18:19], 31, v60
	v_cmp_eq_u32_e64 s[4:5], v18, v0
	s_barrier
	s_cbranch_scc0 .LBB2284_151
; %bb.121:
	v_mov_b32_dpp v18, v62 row_shr:1 row_mask:0xf bank_mask:0xf
	v_cndmask_b32_e64 v18, v18, 0, s[14:15]
	v_add_u32_e32 v18, v18, v62
	s_nop 1
	v_mov_b32_dpp v19, v18 row_shr:2 row_mask:0xf bank_mask:0xf
	v_cndmask_b32_e64 v19, 0, v19, s[12:13]
	v_add_u32_e32 v18, v18, v19
	s_nop 1
	;; [unrolled: 4-line block ×4, first 2 shown]
	v_mov_b32_dpp v19, v18 row_bcast:15 row_mask:0xf bank_mask:0xf
	v_cndmask_b32_e64 v19, v19, 0, s[6:7]
	v_add_u32_e32 v18, v18, v19
	s_nop 1
	v_mov_b32_dpp v19, v18 row_bcast:31 row_mask:0xf bank_mask:0xf
	v_cndmask_b32_e64 v19, 0, v19, s[18:19]
	v_add_u32_e32 v18, v18, v19
	s_and_saveexec_b64 s[16:17], s[4:5]
	s_cbranch_execz .LBB2284_123
; %bb.122:
	v_lshlrev_b32_e32 v19, 2, v61
	ds_write_b32 v19, v18
.LBB2284_123:
	s_or_b64 exec, exec, s[16:17]
	v_cmp_gt_u32_e32 vcc, 8, v0
	s_waitcnt lgkmcnt(0)
	s_barrier
	s_and_saveexec_b64 s[16:17], vcc
	s_cbranch_execz .LBB2284_125
; %bb.124:
	v_lshlrev_b32_e32 v19, 2, v0
	ds_read_b32 v26, v19
	v_and_b32_e32 v27, 7, v60
	v_cmp_ne_u32_e32 vcc, 0, v27
	s_waitcnt lgkmcnt(0)
	v_mov_b32_dpp v28, v26 row_shr:1 row_mask:0xf bank_mask:0xf
	v_cndmask_b32_e32 v28, 0, v28, vcc
	v_add_u32_e32 v26, v28, v26
	v_cmp_lt_u32_e32 vcc, 1, v27
	s_nop 0
	v_mov_b32_dpp v28, v26 row_shr:2 row_mask:0xf bank_mask:0xf
	v_cndmask_b32_e32 v28, 0, v28, vcc
	v_add_u32_e32 v26, v26, v28
	v_cmp_lt_u32_e32 vcc, 3, v27
	s_nop 0
	v_mov_b32_dpp v28, v26 row_shr:4 row_mask:0xf bank_mask:0xf
	v_cndmask_b32_e32 v27, 0, v28, vcc
	v_add_u32_e32 v26, v26, v27
	ds_write_b32 v19, v26
.LBB2284_125:
	s_or_b64 exec, exec, s[16:17]
	v_cmp_gt_u32_e32 vcc, 64, v0
	v_cmp_lt_u32_e64 s[16:17], 63, v0
	s_waitcnt lgkmcnt(0)
	s_barrier
	s_waitcnt lgkmcnt(0)
                                        ; implicit-def: $vgpr63
	s_and_saveexec_b64 s[36:37], s[16:17]
	s_cbranch_execz .LBB2284_127
; %bb.126:
	v_lshl_add_u32 v19, v61, 2, -4
	ds_read_b32 v63, v19
	s_waitcnt lgkmcnt(0)
	v_add_u32_e32 v18, v63, v18
.LBB2284_127:
	s_or_b64 exec, exec, s[36:37]
	v_add_u32_e32 v19, -1, v60
	v_and_b32_e32 v26, 64, v60
	v_cmp_lt_i32_e64 s[16:17], v19, v26
	s_nop 1
	v_cndmask_b32_e64 v19, v19, v60, s[16:17]
	v_lshlrev_b32_e32 v19, 2, v19
	ds_bpermute_b32 v64, v19, v18
	v_cmp_eq_u32_e64 s[16:17], 0, v60
	s_and_saveexec_b64 s[36:37], vcc
	s_cbranch_execz .LBB2284_150
; %bb.128:
	v_mov_b32_e32 v33, 0
	ds_read_b32 v18, v33 offset:28
	s_and_saveexec_b64 s[38:39], s[16:17]
	s_cbranch_execz .LBB2284_130
; %bb.129:
	s_add_i32 s40, s2, 64
	s_mov_b32 s41, 0
	s_lshl_b64 s[40:41], s[40:41], 3
	s_add_u32 s40, s34, s40
	v_mov_b32_e32 v19, 1
	s_addc_u32 s41, s35, s41
	s_waitcnt lgkmcnt(0)
	global_store_dwordx2 v33, v[18:19], s[40:41] sc1
.LBB2284_130:
	s_or_b64 exec, exec, s[38:39]
	v_xad_u32 v26, v60, -1, s2
	v_add_u32_e32 v32, 64, v26
	v_lshl_add_u64 v[28:29], v[32:33], 3, s[34:35]
	global_load_dwordx2 v[30:31], v[28:29], off sc1
	s_waitcnt vmcnt(0)
	v_cmp_eq_u16_sdwa s[40:41], v31, v33 src0_sel:BYTE_0 src1_sel:DWORD
	s_and_saveexec_b64 s[38:39], s[40:41]
	s_cbranch_execz .LBB2284_136
; %bb.131:
	s_mov_b32 s3, 1
	s_mov_b64 s[40:41], 0
	v_mov_b32_e32 v19, 0
.LBB2284_132:                           ; =>This Loop Header: Depth=1
                                        ;     Child Loop BB2284_133 Depth 2
	s_max_u32 s42, s3, 1
.LBB2284_133:                           ;   Parent Loop BB2284_132 Depth=1
                                        ; =>  This Inner Loop Header: Depth=2
	s_add_i32 s42, s42, -1
	s_cmp_eq_u32 s42, 0
	s_sleep 1
	s_cbranch_scc0 .LBB2284_133
; %bb.134:                              ;   in Loop: Header=BB2284_132 Depth=1
	global_load_dwordx2 v[30:31], v[28:29], off sc1
	s_cmp_lt_u32 s3, 32
	s_cselect_b64 s[42:43], -1, 0
	s_cmp_lg_u64 s[42:43], 0
	s_addc_u32 s3, s3, 0
	s_waitcnt vmcnt(0)
	v_cmp_ne_u16_sdwa s[42:43], v31, v19 src0_sel:BYTE_0 src1_sel:DWORD
	s_or_b64 s[40:41], s[42:43], s[40:41]
	s_andn2_b64 exec, exec, s[40:41]
	s_cbranch_execnz .LBB2284_132
; %bb.135:
	s_or_b64 exec, exec, s[40:41]
.LBB2284_136:
	s_or_b64 exec, exec, s[38:39]
	v_and_b32_e32 v66, 63, v60
	v_mov_b32_e32 v65, 2
	v_cmp_ne_u32_e32 vcc, 63, v66
	v_cmp_eq_u16_sdwa s[38:39], v31, v65 src0_sel:BYTE_0 src1_sel:DWORD
	v_lshlrev_b64 v[28:29], v60, -1
	v_addc_co_u32_e32 v32, vcc, 0, v60, vcc
	v_and_b32_e32 v19, s39, v29
	v_lshlrev_b32_e32 v67, 2, v32
	v_or_b32_e32 v19, 0x80000000, v19
	ds_bpermute_b32 v32, v67, v30
	v_and_b32_e32 v27, s38, v28
	v_ffbl_b32_e32 v19, v19
	v_add_u32_e32 v19, 32, v19
	v_ffbl_b32_e32 v27, v27
	v_min_u32_e32 v19, v27, v19
	v_cmp_lt_u32_e32 vcc, v66, v19
	v_add_u32_e32 v69, 2, v66
	v_add_u32_e32 v71, 4, v66
	s_waitcnt lgkmcnt(0)
	v_cndmask_b32_e32 v27, 0, v32, vcc
	v_cmp_gt_u32_e32 vcc, 62, v66
	v_add_u32_e32 v27, v27, v30
	v_add_u32_e32 v73, 8, v66
	v_cndmask_b32_e64 v30, 0, 1, vcc
	v_lshlrev_b32_e32 v30, 1, v30
	v_add_lshl_u32 v68, v30, v60, 2
	ds_bpermute_b32 v30, v68, v27
	v_cmp_le_u32_e32 vcc, v69, v19
	v_add_u32_e32 v75, 16, v66
	v_add_u32_e32 v77, 32, v66
	s_waitcnt lgkmcnt(0)
	v_cndmask_b32_e32 v30, 0, v30, vcc
	v_cmp_gt_u32_e32 vcc, 60, v66
	v_add_u32_e32 v27, v27, v30
	s_nop 0
	v_cndmask_b32_e64 v30, 0, 1, vcc
	v_lshlrev_b32_e32 v30, 2, v30
	v_add_lshl_u32 v70, v30, v60, 2
	ds_bpermute_b32 v30, v70, v27
	v_cmp_le_u32_e32 vcc, v71, v19
	s_waitcnt lgkmcnt(0)
	s_nop 0
	v_cndmask_b32_e32 v30, 0, v30, vcc
	v_cmp_gt_u32_e32 vcc, 56, v66
	v_add_u32_e32 v27, v27, v30
	s_nop 0
	v_cndmask_b32_e64 v30, 0, 1, vcc
	v_lshlrev_b32_e32 v30, 3, v30
	v_add_lshl_u32 v72, v30, v60, 2
	ds_bpermute_b32 v30, v72, v27
	v_cmp_le_u32_e32 vcc, v73, v19
	s_waitcnt lgkmcnt(0)
	s_nop 0
	;; [unrolled: 11-line block ×4, first 2 shown]
	v_cndmask_b32_e32 v19, 0, v30, vcc
	v_add_u32_e32 v30, v27, v19
	v_mov_b32_e32 v27, 0
	s_branch .LBB2284_138
.LBB2284_137:                           ;   in Loop: Header=BB2284_138 Depth=1
	s_or_b64 exec, exec, s[38:39]
	v_cmp_eq_u16_sdwa s[38:39], v31, v65 src0_sel:BYTE_0 src1_sel:DWORD
	ds_bpermute_b32 v78, v67, v30
	v_subrev_u32_e32 v26, 64, v26
	v_and_b32_e32 v32, s39, v29
	v_or_b32_e32 v32, 0x80000000, v32
	v_and_b32_e32 v33, s38, v28
	v_ffbl_b32_e32 v32, v32
	v_add_u32_e32 v32, 32, v32
	v_ffbl_b32_e32 v33, v33
	v_min_u32_e32 v32, v33, v32
	v_cmp_lt_u32_e32 vcc, v66, v32
	s_waitcnt lgkmcnt(0)
	s_nop 0
	v_cndmask_b32_e32 v33, 0, v78, vcc
	v_add_u32_e32 v30, v33, v30
	ds_bpermute_b32 v33, v68, v30
	v_cmp_le_u32_e32 vcc, v69, v32
	s_waitcnt lgkmcnt(0)
	s_nop 0
	v_cndmask_b32_e32 v33, 0, v33, vcc
	v_add_u32_e32 v30, v30, v33
	ds_bpermute_b32 v33, v70, v30
	v_cmp_le_u32_e32 vcc, v71, v32
	;; [unrolled: 6-line block ×5, first 2 shown]
	s_waitcnt lgkmcnt(0)
	s_nop 0
	v_cndmask_b32_e32 v32, 0, v33, vcc
	v_add3_u32 v30, v32, v19, v30
.LBB2284_138:                           ; =>This Loop Header: Depth=1
                                        ;     Child Loop BB2284_141 Depth 2
                                        ;       Child Loop BB2284_142 Depth 3
	v_cmp_ne_u16_sdwa s[38:39], v31, v65 src0_sel:BYTE_0 src1_sel:DWORD
	s_nop 1
	v_cndmask_b32_e64 v19, 0, 1, s[38:39]
	;;#ASMSTART
	;;#ASMEND
	s_nop 0
	v_cmp_ne_u32_e32 vcc, 0, v19
	s_cmp_lg_u64 vcc, exec
	v_mov_b32_e32 v19, v30
	s_cbranch_scc1 .LBB2284_145
; %bb.139:                              ;   in Loop: Header=BB2284_138 Depth=1
	v_lshl_add_u64 v[32:33], v[26:27], 3, s[34:35]
	global_load_dwordx2 v[30:31], v[32:33], off sc1
	s_waitcnt vmcnt(0)
	v_cmp_eq_u16_sdwa s[40:41], v31, v27 src0_sel:BYTE_0 src1_sel:DWORD
	s_and_saveexec_b64 s[38:39], s[40:41]
	s_cbranch_execz .LBB2284_137
; %bb.140:                              ;   in Loop: Header=BB2284_138 Depth=1
	s_mov_b32 s3, 1
	s_mov_b64 s[40:41], 0
.LBB2284_141:                           ;   Parent Loop BB2284_138 Depth=1
                                        ; =>  This Loop Header: Depth=2
                                        ;       Child Loop BB2284_142 Depth 3
	s_max_u32 s42, s3, 1
.LBB2284_142:                           ;   Parent Loop BB2284_138 Depth=1
                                        ;     Parent Loop BB2284_141 Depth=2
                                        ; =>    This Inner Loop Header: Depth=3
	s_add_i32 s42, s42, -1
	s_cmp_eq_u32 s42, 0
	s_sleep 1
	s_cbranch_scc0 .LBB2284_142
; %bb.143:                              ;   in Loop: Header=BB2284_141 Depth=2
	global_load_dwordx2 v[30:31], v[32:33], off sc1
	s_cmp_lt_u32 s3, 32
	s_cselect_b64 s[42:43], -1, 0
	s_cmp_lg_u64 s[42:43], 0
	s_addc_u32 s3, s3, 0
	s_waitcnt vmcnt(0)
	v_cmp_ne_u16_sdwa s[42:43], v31, v27 src0_sel:BYTE_0 src1_sel:DWORD
	s_or_b64 s[40:41], s[42:43], s[40:41]
	s_andn2_b64 exec, exec, s[40:41]
	s_cbranch_execnz .LBB2284_141
; %bb.144:                              ;   in Loop: Header=BB2284_138 Depth=1
	s_or_b64 exec, exec, s[40:41]
	s_branch .LBB2284_137
.LBB2284_145:                           ;   in Loop: Header=BB2284_138 Depth=1
                                        ; implicit-def: $vgpr30
                                        ; implicit-def: $vgpr31
	s_cbranch_execz .LBB2284_138
; %bb.146:
	s_and_saveexec_b64 s[38:39], s[16:17]
	s_cbranch_execz .LBB2284_148
; %bb.147:
	s_add_i32 s2, s2, 64
	s_mov_b32 s3, 0
	s_lshl_b64 s[2:3], s[2:3], 3
	s_add_u32 s2, s34, s2
	v_add_u32_e32 v26, v19, v18
	v_mov_b32_e32 v27, 2
	s_addc_u32 s3, s35, s3
	v_mov_b32_e32 v28, 0
	global_store_dwordx2 v28, v[26:27], s[2:3] sc1
	ds_write_b64 v28, v[18:19] offset:28672
.LBB2284_148:
	s_or_b64 exec, exec, s[38:39]
	v_cmp_eq_u32_e32 vcc, 0, v0
	s_and_b64 exec, exec, vcc
	s_cbranch_execz .LBB2284_150
; %bb.149:
	v_mov_b32_e32 v18, 0
	ds_write_b32 v18, v19 offset:28
.LBB2284_150:
	s_or_b64 exec, exec, s[36:37]
	v_mov_b32_e32 v18, 0
	s_waitcnt lgkmcnt(0)
	s_barrier
	ds_read_b32 v27, v18 offset:28
	s_waitcnt lgkmcnt(0)
	s_barrier
	ds_read_b64 v[18:19], v18 offset:28672
	v_cndmask_b32_e64 v26, v64, v63, s[16:17]
	v_cmp_ne_u32_e32 vcc, 0, v0
	s_nop 1
	v_cndmask_b32_e32 v26, 0, v26, vcc
	v_add_u32_e32 v32, v27, v26
	s_waitcnt lgkmcnt(0)
	v_mov_b32_e32 v26, v19
	s_branch .LBB2284_161
.LBB2284_151:
                                        ; implicit-def: $vgpr26
                                        ; implicit-def: $vgpr18
                                        ; implicit-def: $vgpr32
	s_cbranch_execz .LBB2284_161
; %bb.152:
	s_nop 0
	v_mov_b32_dpp v18, v62 row_shr:1 row_mask:0xf bank_mask:0xf
	v_cndmask_b32_e64 v18, v18, 0, s[14:15]
	v_add_u32_e32 v18, v18, v62
	s_nop 1
	v_mov_b32_dpp v19, v18 row_shr:2 row_mask:0xf bank_mask:0xf
	v_cndmask_b32_e64 v19, 0, v19, s[12:13]
	v_add_u32_e32 v18, v18, v19
	;; [unrolled: 4-line block ×4, first 2 shown]
	s_nop 1
	v_mov_b32_dpp v19, v18 row_bcast:15 row_mask:0xf bank_mask:0xf
	v_cndmask_b32_e64 v19, v19, 0, s[6:7]
	v_add_u32_e32 v18, v18, v19
	s_nop 1
	v_mov_b32_dpp v19, v18 row_bcast:31 row_mask:0xf bank_mask:0xf
	v_cndmask_b32_e64 v19, 0, v19, s[18:19]
	v_add_u32_e32 v18, v18, v19
	s_and_saveexec_b64 s[2:3], s[4:5]
	s_cbranch_execz .LBB2284_154
; %bb.153:
	v_lshlrev_b32_e32 v19, 2, v61
	ds_write_b32 v19, v18
.LBB2284_154:
	s_or_b64 exec, exec, s[2:3]
	v_cmp_gt_u32_e32 vcc, 8, v0
	s_waitcnt lgkmcnt(0)
	s_barrier
	s_and_saveexec_b64 s[2:3], vcc
	s_cbranch_execz .LBB2284_156
; %bb.155:
	v_lshlrev_b32_e32 v19, 2, v0
	ds_read_b32 v26, v19
	v_and_b32_e32 v27, 7, v60
	v_cmp_ne_u32_e32 vcc, 0, v27
	s_waitcnt lgkmcnt(0)
	v_mov_b32_dpp v28, v26 row_shr:1 row_mask:0xf bank_mask:0xf
	v_cndmask_b32_e32 v28, 0, v28, vcc
	v_add_u32_e32 v26, v28, v26
	v_cmp_lt_u32_e32 vcc, 1, v27
	s_nop 0
	v_mov_b32_dpp v28, v26 row_shr:2 row_mask:0xf bank_mask:0xf
	v_cndmask_b32_e32 v28, 0, v28, vcc
	v_add_u32_e32 v26, v26, v28
	v_cmp_lt_u32_e32 vcc, 3, v27
	s_nop 0
	v_mov_b32_dpp v28, v26 row_shr:4 row_mask:0xf bank_mask:0xf
	v_cndmask_b32_e32 v27, 0, v28, vcc
	v_add_u32_e32 v26, v26, v27
	ds_write_b32 v19, v26
.LBB2284_156:
	s_or_b64 exec, exec, s[2:3]
	v_cmp_lt_u32_e32 vcc, 63, v0
	v_mov_b32_e32 v19, 0
	v_mov_b32_e32 v26, 0
	s_waitcnt lgkmcnt(0)
	s_barrier
	s_and_saveexec_b64 s[2:3], vcc
	s_cbranch_execz .LBB2284_158
; %bb.157:
	v_lshl_add_u32 v26, v61, 2, -4
	ds_read_b32 v26, v26
.LBB2284_158:
	s_or_b64 exec, exec, s[2:3]
	v_add_u32_e32 v27, -1, v60
	v_and_b32_e32 v28, 64, v60
	v_cmp_lt_i32_e32 vcc, v27, v28
	s_waitcnt lgkmcnt(0)
	v_add_u32_e32 v18, v26, v18
	v_cndmask_b32_e32 v27, v27, v60, vcc
	v_lshlrev_b32_e32 v27, 2, v27
	ds_bpermute_b32 v27, v27, v18
	ds_read_b32 v18, v19 offset:28
	v_cmp_eq_u32_e32 vcc, 0, v0
	s_and_saveexec_b64 s[2:3], vcc
	s_cbranch_execz .LBB2284_160
; %bb.159:
	v_mov_b32_e32 v28, 0
	v_mov_b32_e32 v19, 2
	s_waitcnt lgkmcnt(0)
	global_store_dwordx2 v28, v[18:19], s[34:35] offset:512 sc1
.LBB2284_160:
	s_or_b64 exec, exec, s[2:3]
	v_cmp_eq_u32_e64 s[2:3], 0, v60
	s_waitcnt lgkmcnt(0)
	s_barrier
	v_cndmask_b32_e64 v19, v27, v26, s[2:3]
	v_mov_b32_e32 v26, 0
	v_cndmask_b32_e64 v32, v19, 0, vcc
.LBB2284_161:
	v_add_u32_sdwa v60, v32, v24 dst_sel:DWORD dst_unused:UNUSED_PAD src0_sel:DWORD src1_sel:BYTE_0
	v_add_u32_e32 v1, v18, v1
	v_sub_u32_e32 v32, v32, v26
	v_and_b32_e32 v69, 1, v24
	v_sub_u32_e32 v68, v1, v32
	v_cmp_eq_u32_e32 vcc, 1, v69
	v_lshrrev_b32_e32 v33, 8, v24
	v_add_u32_sdwa v61, v60, v24 dst_sel:DWORD dst_unused:UNUSED_PAD src0_sel:DWORD src1_sel:BYTE_1
	v_cndmask_b32_e32 v32, v68, v32, vcc
	v_lshlrev_b32_e32 v32, 1, v32
	ds_write_b16 v32, v10
	v_sub_u32_e32 v32, v60, v26
	v_sub_u32_e32 v60, v1, v32
	v_and_b32_e32 v33, 1, v33
	v_add_u32_e32 v60, 1, v60
	v_cmp_eq_u32_e32 vcc, 1, v33
	v_mov_b32_e32 v33, 1
	v_and_b32_sdwa v24, v33, v24 dst_sel:DWORD dst_unused:UNUSED_PAD src0_sel:DWORD src1_sel:WORD_1
	v_cndmask_b32_e32 v32, v60, v32, vcc
	v_lshlrev_b32_e32 v32, 1, v32
	ds_write_b16_d16_hi v32, v10
	v_sub_u32_e32 v10, v61, v26
	v_sub_u32_e32 v32, v1, v10
	v_add_u32_e32 v32, 2, v32
	v_cmp_eq_u32_e32 vcc, 1, v24
	v_add_u32_e32 v59, v61, v59
	v_add_u32_e32 v62, v59, v41
	v_cndmask_b32_e32 v10, v32, v10, vcc
	v_lshlrev_b32_e32 v10, 1, v10
	ds_write_b16 v10, v11
	v_sub_u32_e32 v10, v59, v26
	v_sub_u32_e32 v24, v1, v10
	v_and_b32_e32 v32, 1, v41
	v_add_u32_e32 v24, 3, v24
	v_cmp_eq_u32_e32 vcc, 1, v32
	v_add_u32_e32 v56, v62, v56
	v_lshrrev_b32_e32 v31, 8, v25
	v_cndmask_b32_e32 v10, v24, v10, vcc
	v_lshlrev_b32_e32 v10, 1, v10
	ds_write_b16_d16_hi v10, v11
	v_sub_u32_e32 v10, v62, v26
	v_sub_u32_e32 v11, v1, v10
	v_and_b32_e32 v24, 1, v25
	v_add_u32_e32 v11, 4, v11
	v_cmp_eq_u32_e32 vcc, 1, v24
	v_and_b32_e32 v24, 1, v31
	v_add_u32_e32 v57, v56, v57
	v_cndmask_b32_e32 v10, v11, v10, vcc
	v_lshlrev_b32_e32 v10, 1, v10
	ds_write_b16 v10, v12
	v_sub_u32_e32 v10, v56, v26
	v_sub_u32_e32 v11, v1, v10
	v_add_u32_e32 v11, 5, v11
	v_cmp_eq_u32_e32 vcc, 1, v24
	v_add_u32_e32 v58, v57, v58
	v_add_u32_e32 v63, v58, v40
	v_cndmask_b32_e32 v10, v11, v10, vcc
	v_lshlrev_b32_e32 v10, 1, v10
	ds_write_b16_d16_hi v10, v12
	v_sub_u32_e32 v10, v57, v26
	v_sub_u32_e32 v11, v1, v10
	v_and_b32_sdwa v12, v33, v25 dst_sel:DWORD dst_unused:UNUSED_PAD src0_sel:DWORD src1_sel:WORD_1
	v_add_u32_e32 v11, 6, v11
	v_cmp_eq_u32_e32 vcc, 1, v12
	v_and_b32_e32 v12, 1, v40
	v_add_u32_e32 v53, v63, v53
	v_cndmask_b32_e32 v10, v11, v10, vcc
	v_lshlrev_b32_e32 v10, 1, v10
	ds_write_b16 v10, v13
	v_sub_u32_e32 v10, v58, v26
	v_sub_u32_e32 v11, v1, v10
	v_add_u32_e32 v11, 7, v11
	v_cmp_eq_u32_e32 vcc, 1, v12
	v_and_b32_e32 v12, 1, v22
	v_lshrrev_b32_e32 v30, 8, v22
	v_cndmask_b32_e32 v10, v11, v10, vcc
	v_lshlrev_b32_e32 v10, 1, v10
	ds_write_b16_d16_hi v10, v13
	v_sub_u32_e32 v10, v63, v26
	v_sub_u32_e32 v11, v1, v10
	v_add_u32_e32 v11, 8, v11
	v_cmp_eq_u32_e32 vcc, 1, v12
	v_and_b32_e32 v12, 1, v30
	v_add_u32_e32 v54, v53, v54
	v_cndmask_b32_e32 v10, v11, v10, vcc
	v_lshlrev_b32_e32 v10, 1, v10
	ds_write_b16 v10, v6
	v_sub_u32_e32 v10, v53, v26
	v_sub_u32_e32 v11, v1, v10
	v_add_u32_e32 v11, 9, v11
	v_cmp_eq_u32_e32 vcc, 1, v12
	v_add_u32_e32 v55, v54, v55
	v_add_u32_e32 v64, v55, v39
	v_cndmask_b32_e32 v10, v11, v10, vcc
	v_lshlrev_b32_e32 v10, 1, v10
	ds_write_b16_d16_hi v10, v6
	v_sub_u32_e32 v6, v54, v26
	v_sub_u32_e32 v10, v1, v6
	v_and_b32_sdwa v11, v33, v22 dst_sel:DWORD dst_unused:UNUSED_PAD src0_sel:DWORD src1_sel:WORD_1
	v_add_u32_e32 v10, 10, v10
	v_cmp_eq_u32_e32 vcc, 1, v11
	v_and_b32_e32 v11, 1, v39
	v_add_u32_e32 v50, v64, v50
	v_cndmask_b32_e32 v6, v10, v6, vcc
	v_lshlrev_b32_e32 v6, 1, v6
	ds_write_b16 v6, v7
	v_sub_u32_e32 v6, v55, v26
	v_sub_u32_e32 v10, v1, v6
	v_add_u32_e32 v10, 11, v10
	v_cmp_eq_u32_e32 vcc, 1, v11
	v_lshrrev_b32_e32 v29, 8, v23
	v_add_u32_e32 v51, v50, v51
	v_cndmask_b32_e32 v6, v10, v6, vcc
	v_lshlrev_b32_e32 v6, 1, v6
	ds_write_b16_d16_hi v6, v7
	v_sub_u32_e32 v6, v64, v26
	v_sub_u32_e32 v7, v1, v6
	v_and_b32_e32 v10, 1, v23
	v_add_u32_e32 v7, 12, v7
	v_cmp_eq_u32_e32 vcc, 1, v10
	v_and_b32_e32 v10, 1, v29
	v_add_u32_e32 v52, v51, v52
	v_cndmask_b32_e32 v6, v7, v6, vcc
	v_lshlrev_b32_e32 v6, 1, v6
	ds_write_b16 v6, v8
	v_sub_u32_e32 v6, v50, v26
	v_sub_u32_e32 v7, v1, v6
	v_add_u32_e32 v7, 13, v7
	v_cmp_eq_u32_e32 vcc, 1, v10
	v_add_u32_e32 v65, v52, v38
	v_add_u32_e32 v47, v65, v47
	v_cndmask_b32_e32 v6, v7, v6, vcc
	v_lshlrev_b32_e32 v6, 1, v6
	ds_write_b16_d16_hi v6, v8
	v_sub_u32_e32 v6, v51, v26
	v_sub_u32_e32 v7, v1, v6
	v_and_b32_sdwa v8, v33, v23 dst_sel:DWORD dst_unused:UNUSED_PAD src0_sel:DWORD src1_sel:WORD_1
	v_add_u32_e32 v7, 14, v7
	v_cmp_eq_u32_e32 vcc, 1, v8
	v_and_b32_e32 v8, 1, v38
	v_lshrrev_b32_e32 v28, 8, v20
	v_cndmask_b32_e32 v6, v7, v6, vcc
	v_lshlrev_b32_e32 v6, 1, v6
	ds_write_b16 v6, v9
	v_sub_u32_e32 v6, v52, v26
	v_sub_u32_e32 v7, v1, v6
	v_add_u32_e32 v7, 15, v7
	v_cmp_eq_u32_e32 vcc, 1, v8
	v_and_b32_e32 v8, 1, v20
	v_add_u32_e32 v48, v47, v48
	v_cndmask_b32_e32 v6, v7, v6, vcc
	v_lshlrev_b32_e32 v6, 1, v6
	ds_write_b16_d16_hi v6, v9
	v_sub_u32_e32 v6, v65, v26
	v_sub_u32_e32 v7, v1, v6
	v_add_u32_e32 v7, 16, v7
	v_cmp_eq_u32_e32 vcc, 1, v8
	v_and_b32_e32 v8, 1, v28
	v_add_u32_e32 v49, v48, v49
	v_cndmask_b32_e32 v6, v7, v6, vcc
	v_lshlrev_b32_e32 v6, 1, v6
	ds_write_b16 v6, v2
	v_sub_u32_e32 v6, v47, v26
	v_sub_u32_e32 v7, v1, v6
	v_add_u32_e32 v7, 17, v7
	v_cmp_eq_u32_e32 vcc, 1, v8
	v_add_u32_e32 v66, v49, v37
	v_add_u32_e32 v44, v66, v44
	v_cndmask_b32_e32 v6, v7, v6, vcc
	v_lshlrev_b32_e32 v6, 1, v6
	ds_write_b16_d16_hi v6, v2
	v_sub_u32_e32 v2, v48, v26
	v_sub_u32_e32 v6, v1, v2
	v_and_b32_sdwa v7, v33, v20 dst_sel:DWORD dst_unused:UNUSED_PAD src0_sel:DWORD src1_sel:WORD_1
	v_add_u32_e32 v6, 18, v6
	v_cmp_eq_u32_e32 vcc, 1, v7
	v_and_b32_e32 v7, 1, v37
	v_lshrrev_b32_e32 v27, 8, v21
	v_cndmask_b32_e32 v2, v6, v2, vcc
	v_lshlrev_b32_e32 v2, 1, v2
	ds_write_b16 v2, v3
	v_sub_u32_e32 v2, v49, v26
	v_sub_u32_e32 v6, v1, v2
	v_add_u32_e32 v6, 19, v6
	v_cmp_eq_u32_e32 vcc, 1, v7
	v_add_u32_e32 v45, v44, v45
	v_add_u32_e32 v46, v45, v46
	v_cndmask_b32_e32 v2, v6, v2, vcc
	v_lshlrev_b32_e32 v2, 1, v2
	ds_write_b16_d16_hi v2, v3
	v_sub_u32_e32 v2, v66, v26
	v_sub_u32_e32 v3, v1, v2
	v_and_b32_e32 v6, 1, v21
	v_add_u32_e32 v3, 20, v3
	v_cmp_eq_u32_e32 vcc, 1, v6
	v_and_b32_e32 v6, 1, v27
	v_add_u32_e32 v67, v46, v36
	v_cndmask_b32_e32 v2, v3, v2, vcc
	v_lshlrev_b32_e32 v2, 1, v2
	ds_write_b16 v2, v4
	v_sub_u32_e32 v2, v44, v26
	v_sub_u32_e32 v3, v1, v2
	v_add_u32_e32 v3, 21, v3
	v_cmp_eq_u32_e32 vcc, 1, v6
	v_add_u32_e32 v42, v67, v42
	v_lshrrev_b32_e32 v19, 8, v34
	v_cndmask_b32_e32 v2, v3, v2, vcc
	v_lshlrev_b32_e32 v2, 1, v2
	ds_write_b16_d16_hi v2, v4
	v_sub_u32_e32 v2, v45, v26
	v_sub_u32_e32 v3, v1, v2
	v_and_b32_sdwa v4, v33, v21 dst_sel:DWORD dst_unused:UNUSED_PAD src0_sel:DWORD src1_sel:WORD_1
	v_add_u32_e32 v3, 22, v3
	v_cmp_eq_u32_e32 vcc, 1, v4
	v_and_b32_e32 v4, 1, v36
	v_add_u32_e32 v43, v42, v43
	v_cndmask_b32_e32 v2, v3, v2, vcc
	v_lshlrev_b32_e32 v2, 1, v2
	ds_write_b16 v2, v5
	v_sub_u32_e32 v2, v46, v26
	v_sub_u32_e32 v3, v1, v2
	v_add_u32_e32 v3, 23, v3
	v_cmp_eq_u32_e32 vcc, 1, v4
	v_and_b32_e32 v4, 1, v34
	v_mov_b32_e32 v27, 0
	v_cndmask_b32_e32 v2, v3, v2, vcc
	v_lshlrev_b32_e32 v2, 1, v2
	ds_write_b16_d16_hi v2, v5
	v_sub_u32_e32 v2, v67, v26
	v_sub_u32_e32 v3, v1, v2
	v_add_u32_e32 v3, 24, v3
	v_cmp_eq_u32_e32 vcc, 1, v4
	v_and_b32_e32 v4, 1, v19
	s_load_dwordx4 s[0:3], s[0:1], 0x30
	v_cndmask_b32_e32 v2, v3, v2, vcc
	v_lshlrev_b32_e32 v2, 1, v2
	ds_write_b16 v2, v16
	v_sub_u32_e32 v2, v42, v26
	v_sub_u32_e32 v3, v1, v2
	v_add_u32_e32 v3, 25, v3
	v_cmp_eq_u32_e32 vcc, 1, v4
	v_and_b32_sdwa v4, v33, v34 dst_sel:DWORD dst_unused:UNUSED_PAD src0_sel:DWORD src1_sel:WORD_1
	v_lshl_add_u64 v[6:7], s[28:29], 0, v[26:27]
	v_cndmask_b32_e32 v2, v3, v2, vcc
	v_lshlrev_b32_e32 v2, 1, v2
	ds_write_b16_d16_hi v2, v16
	v_sub_u32_e32 v2, v43, v26
	v_sub_u32_e32 v3, v1, v2
	v_add_u32_e32 v3, 26, v3
	v_cmp_eq_u32_e32 vcc, 1, v4
	v_mov_b32_e32 v19, v27
	v_mov_b32_e32 v5, s27
	v_cndmask_b32_e32 v2, v3, v2, vcc
	v_lshlrev_b32_e32 v2, 1, v2
	ds_write_b16 v2, v17
	v_sub_u32_e32 v2, v35, v26
	v_add_u32_e32 v2, v43, v2
	v_sub_u32_e32 v1, v1, v2
	v_and_b32_e32 v3, 1, v15
	v_add_u32_e32 v1, 27, v1
	v_cmp_eq_u32_e32 vcc, 1, v3
	v_or_b32_e32 v65, 0x200, v0
	v_or_b32_e32 v63, 0x400, v0
	v_cndmask_b32_e32 v1, v1, v2, vcc
	v_lshlrev_b32_e32 v1, 1, v1
	ds_write_b16_d16_hi v1, v17
	s_waitcnt lgkmcnt(0)
	s_barrier
	ds_read_u16 v67, v14
	ds_read_u16 v66, v14 offset:1024
	ds_read_u16 v64, v14 offset:2048
	;; [unrolled: 1-line block ×27, first 2 shown]
	v_lshl_add_u64 v[2:3], v[6:7], 0, v[18:19]
	v_sub_co_u32_e32 v4, vcc, s26, v2
	v_lshlrev_b64 v[6:7], 1, v[6:7]
	s_nop 0
	v_subb_co_u32_e32 v5, vcc, v5, v3, vcc
	v_lshlrev_b64 v[4:5], 1, v[4:5]
	v_lshl_add_u64 v[4:5], s[2:3], 0, v[4:5]
	v_or_b32_e32 v61, 0x600, v0
	v_or_b32_e32 v59, 0x800, v0
	v_or_b32_e32 v57, 0xa00, v0
	v_or_b32_e32 v55, 0xc00, v0
	v_or_b32_e32 v53, 0xe00, v0
	v_or_b32_e32 v51, 0x1000, v0
	v_or_b32_e32 v49, 0x1200, v0
	v_or_b32_e32 v47, 0x1400, v0
	v_or_b32_e32 v45, 0x1600, v0
	v_or_b32_e32 v43, 0x1800, v0
	v_or_b32_e32 v41, 0x1a00, v0
	v_or_b32_e32 v39, 0x1c00, v0
	v_or_b32_e32 v37, 0x1e00, v0
	v_or_b32_e32 v35, 0x2000, v0
	v_or_b32_e32 v33, 0x2200, v0
	v_or_b32_e32 v31, 0x2400, v0
	v_or_b32_e32 v29, 0x2600, v0
	v_or_b32_e32 v25, 0x2800, v0
	v_or_b32_e32 v23, 0x2a00, v0
	v_or_b32_e32 v21, 0x2c00, v0
	v_or_b32_e32 v17, 0x2e00, v0
	v_or_b32_e32 v13, 0x3000, v0
	v_or_b32_e32 v11, 0x3200, v0
	v_or_b32_e32 v10, 0x3400, v0
	v_or_b32_e32 v8, 0x3600, v0
	v_lshl_add_u64 v[4:5], v[4:5], 0, s[30:31]
	s_andn2_b64 vcc, exec, s[24:25]
	v_lshl_add_u64 v[6:7], s[0:1], 0, v[6:7]
	s_cbranch_vccnz .LBB2284_163
; %bb.162:
	v_cmp_lt_u32_e32 vcc, v0, v18
	v_mov_b32_e32 v15, v27
	v_lshlrev_b32_e32 v26, 1, v59
	v_cndmask_b32_e32 v69, v5, v7, vcc
	v_cndmask_b32_e32 v68, v4, v6, vcc
	v_lshl_add_u64 v[68:69], v[68:69], 0, v[14:15]
	v_cmp_lt_u32_e32 vcc, v65, v18
	s_waitcnt lgkmcnt(14)
	global_store_short v[68:69], v67, off
	v_cndmask_b32_e32 v69, v5, v7, vcc
	v_cndmask_b32_e32 v68, v4, v6, vcc
	v_lshl_add_u64 v[68:69], v[68:69], 0, v[14:15]
	v_cmp_lt_u32_e32 vcc, v63, v18
	global_store_short v[68:69], v66, off offset:1024
	s_mov_b64 s[0:1], -1
	v_cndmask_b32_e32 v69, v5, v7, vcc
	v_cndmask_b32_e32 v68, v4, v6, vcc
	v_lshl_add_u64 v[68:69], v[68:69], 0, v[14:15]
	v_cmp_lt_u32_e32 vcc, v61, v18
	global_store_short v[68:69], v64, off offset:2048
	s_nop 0
	v_cndmask_b32_e32 v69, v5, v7, vcc
	v_cndmask_b32_e32 v68, v4, v6, vcc
	v_lshl_add_u64 v[68:69], v[68:69], 0, v[14:15]
	v_cmp_lt_u32_e32 vcc, v59, v18
	global_store_short v[68:69], v62, off offset:3072
	s_nop 0
	v_cndmask_b32_e32 v69, v5, v7, vcc
	v_cndmask_b32_e32 v68, v4, v6, vcc
	v_lshl_add_u64 v[68:69], v[68:69], 0, v[26:27]
	v_cmp_lt_u32_e32 vcc, v57, v18
	global_store_short v[68:69], v60, off
	v_lshlrev_b32_e32 v26, 1, v57
	v_cndmask_b32_e32 v69, v5, v7, vcc
	v_cndmask_b32_e32 v68, v4, v6, vcc
	v_lshl_add_u64 v[68:69], v[68:69], 0, v[26:27]
	v_cmp_lt_u32_e32 vcc, v55, v18
	global_store_short v[68:69], v58, off
	v_lshlrev_b32_e32 v26, 1, v55
	;; [unrolled: 6-line block ×10, first 2 shown]
	v_cndmask_b32_e32 v69, v5, v7, vcc
	v_cndmask_b32_e32 v68, v4, v6, vcc
	v_lshl_add_u64 v[68:69], v[68:69], 0, v[26:27]
	v_cmp_lt_u32_e32 vcc, v37, v18
	s_waitcnt lgkmcnt(13)
	global_store_short v[68:69], v40, off
	v_lshlrev_b32_e32 v26, 1, v37
	v_cndmask_b32_e32 v69, v5, v7, vcc
	v_cndmask_b32_e32 v68, v4, v6, vcc
	v_lshl_add_u64 v[68:69], v[68:69], 0, v[26:27]
	v_cmp_lt_u32_e32 vcc, v35, v18
	s_waitcnt lgkmcnt(12)
	global_store_short v[68:69], v38, off
	v_lshlrev_b32_e32 v26, 1, v35
	v_cndmask_b32_e32 v69, v5, v7, vcc
	v_cndmask_b32_e32 v68, v4, v6, vcc
	v_lshl_add_u64 v[68:69], v[68:69], 0, v[26:27]
	v_cmp_lt_u32_e32 vcc, v33, v18
	s_waitcnt lgkmcnt(11)
	global_store_short v[68:69], v36, off
	v_lshlrev_b32_e32 v26, 1, v33
	v_cndmask_b32_e32 v69, v5, v7, vcc
	v_cndmask_b32_e32 v68, v4, v6, vcc
	v_lshl_add_u64 v[68:69], v[68:69], 0, v[26:27]
	v_cmp_lt_u32_e32 vcc, v31, v18
	s_waitcnt lgkmcnt(10)
	global_store_short v[68:69], v34, off
	v_lshlrev_b32_e32 v26, 1, v31
	v_cndmask_b32_e32 v69, v5, v7, vcc
	v_cndmask_b32_e32 v68, v4, v6, vcc
	v_lshl_add_u64 v[68:69], v[68:69], 0, v[26:27]
	v_cmp_lt_u32_e32 vcc, v29, v18
	s_waitcnt lgkmcnt(9)
	global_store_short v[68:69], v32, off
	v_lshlrev_b32_e32 v26, 1, v29
	v_cndmask_b32_e32 v69, v5, v7, vcc
	v_cndmask_b32_e32 v68, v4, v6, vcc
	v_lshl_add_u64 v[68:69], v[68:69], 0, v[26:27]
	v_cmp_lt_u32_e32 vcc, v25, v18
	s_waitcnt lgkmcnt(8)
	global_store_short v[68:69], v30, off
	v_lshlrev_b32_e32 v26, 1, v25
	v_cndmask_b32_e32 v69, v5, v7, vcc
	v_cndmask_b32_e32 v68, v4, v6, vcc
	v_lshl_add_u64 v[68:69], v[68:69], 0, v[26:27]
	v_cmp_lt_u32_e32 vcc, v23, v18
	s_waitcnt lgkmcnt(7)
	global_store_short v[68:69], v28, off
	v_lshlrev_b32_e32 v26, 1, v23
	v_cndmask_b32_e32 v69, v5, v7, vcc
	v_cndmask_b32_e32 v68, v4, v6, vcc
	v_lshl_add_u64 v[68:69], v[68:69], 0, v[26:27]
	v_cmp_lt_u32_e32 vcc, v21, v18
	s_waitcnt lgkmcnt(6)
	global_store_short v[68:69], v24, off
	v_lshlrev_b32_e32 v26, 1, v21
	v_cndmask_b32_e32 v69, v5, v7, vcc
	v_cndmask_b32_e32 v68, v4, v6, vcc
	v_lshl_add_u64 v[68:69], v[68:69], 0, v[26:27]
	v_cmp_lt_u32_e32 vcc, v17, v18
	s_waitcnt lgkmcnt(5)
	global_store_short v[68:69], v22, off
	v_lshlrev_b32_e32 v26, 1, v17
	v_cndmask_b32_e32 v69, v5, v7, vcc
	v_cndmask_b32_e32 v68, v4, v6, vcc
	v_lshl_add_u64 v[68:69], v[68:69], 0, v[26:27]
	v_cmp_lt_u32_e32 vcc, v13, v18
	s_waitcnt lgkmcnt(4)
	global_store_short v[68:69], v20, off
	v_lshlrev_b32_e32 v26, 1, v13
	v_cndmask_b32_e32 v69, v5, v7, vcc
	v_cndmask_b32_e32 v68, v4, v6, vcc
	v_lshl_add_u64 v[68:69], v[68:69], 0, v[26:27]
	v_cmp_lt_u32_e32 vcc, v11, v18
	s_waitcnt lgkmcnt(3)
	global_store_short v[68:69], v16, off
	v_lshlrev_b32_e32 v26, 1, v11
	v_cndmask_b32_e32 v69, v5, v7, vcc
	v_cndmask_b32_e32 v68, v4, v6, vcc
	v_lshl_add_u64 v[68:69], v[68:69], 0, v[26:27]
	v_cmp_lt_u32_e32 vcc, v10, v18
	s_waitcnt lgkmcnt(2)
	global_store_short v[68:69], v12, off
	v_lshlrev_b32_e32 v26, 1, v10
	v_cndmask_b32_e32 v69, v5, v7, vcc
	v_cndmask_b32_e32 v68, v4, v6, vcc
	v_lshl_add_u64 v[26:27], v[68:69], 0, v[26:27]
	s_waitcnt lgkmcnt(1)
	global_store_short v[26:27], v9, off
	s_cbranch_execz .LBB2284_164
	s_branch .LBB2284_193
.LBB2284_163:
	s_mov_b64 s[0:1], 0
.LBB2284_164:
	v_cmp_gt_u32_e32 vcc, s33, v0
	s_and_saveexec_b64 s[0:1], vcc
	s_cbranch_execnz .LBB2284_198
; %bb.165:
	s_or_b64 exec, exec, s[0:1]
	v_cmp_gt_u32_e32 vcc, s33, v65
	s_and_saveexec_b64 s[0:1], vcc
	s_cbranch_execnz .LBB2284_199
.LBB2284_166:
	s_or_b64 exec, exec, s[0:1]
	v_cmp_gt_u32_e32 vcc, s33, v63
	s_and_saveexec_b64 s[0:1], vcc
	s_cbranch_execnz .LBB2284_200
.LBB2284_167:
	s_or_b64 exec, exec, s[0:1]
	v_cmp_gt_u32_e32 vcc, s33, v61
	s_and_saveexec_b64 s[0:1], vcc
	s_cbranch_execnz .LBB2284_201
.LBB2284_168:
	s_or_b64 exec, exec, s[0:1]
	v_cmp_gt_u32_e32 vcc, s33, v59
	s_and_saveexec_b64 s[0:1], vcc
	s_cbranch_execnz .LBB2284_202
.LBB2284_169:
	s_or_b64 exec, exec, s[0:1]
	v_cmp_gt_u32_e32 vcc, s33, v57
	s_and_saveexec_b64 s[0:1], vcc
	s_cbranch_execnz .LBB2284_203
.LBB2284_170:
	s_or_b64 exec, exec, s[0:1]
	v_cmp_gt_u32_e32 vcc, s33, v55
	s_and_saveexec_b64 s[0:1], vcc
	s_cbranch_execnz .LBB2284_204
.LBB2284_171:
	s_or_b64 exec, exec, s[0:1]
	v_cmp_gt_u32_e32 vcc, s33, v53
	s_and_saveexec_b64 s[0:1], vcc
	s_cbranch_execnz .LBB2284_205
.LBB2284_172:
	s_or_b64 exec, exec, s[0:1]
	v_cmp_gt_u32_e32 vcc, s33, v51
	s_and_saveexec_b64 s[0:1], vcc
	s_cbranch_execnz .LBB2284_206
.LBB2284_173:
	s_or_b64 exec, exec, s[0:1]
	v_cmp_gt_u32_e32 vcc, s33, v49
	s_and_saveexec_b64 s[0:1], vcc
	s_cbranch_execnz .LBB2284_207
.LBB2284_174:
	s_or_b64 exec, exec, s[0:1]
	v_cmp_gt_u32_e32 vcc, s33, v47
	s_and_saveexec_b64 s[0:1], vcc
	s_cbranch_execnz .LBB2284_208
.LBB2284_175:
	s_or_b64 exec, exec, s[0:1]
	v_cmp_gt_u32_e32 vcc, s33, v45
	s_and_saveexec_b64 s[0:1], vcc
	s_cbranch_execnz .LBB2284_209
.LBB2284_176:
	s_or_b64 exec, exec, s[0:1]
	v_cmp_gt_u32_e32 vcc, s33, v43
	s_and_saveexec_b64 s[0:1], vcc
	s_cbranch_execnz .LBB2284_210
.LBB2284_177:
	s_or_b64 exec, exec, s[0:1]
	v_cmp_gt_u32_e32 vcc, s33, v41
	s_and_saveexec_b64 s[0:1], vcc
	s_cbranch_execnz .LBB2284_211
.LBB2284_178:
	s_or_b64 exec, exec, s[0:1]
	v_cmp_gt_u32_e32 vcc, s33, v39
	s_and_saveexec_b64 s[0:1], vcc
	s_cbranch_execnz .LBB2284_212
.LBB2284_179:
	s_or_b64 exec, exec, s[0:1]
	v_cmp_gt_u32_e32 vcc, s33, v37
	s_and_saveexec_b64 s[0:1], vcc
	s_cbranch_execnz .LBB2284_213
.LBB2284_180:
	s_or_b64 exec, exec, s[0:1]
	v_cmp_gt_u32_e32 vcc, s33, v35
	s_and_saveexec_b64 s[0:1], vcc
	s_cbranch_execnz .LBB2284_214
.LBB2284_181:
	s_or_b64 exec, exec, s[0:1]
	v_cmp_gt_u32_e32 vcc, s33, v33
	s_and_saveexec_b64 s[0:1], vcc
	s_cbranch_execnz .LBB2284_215
.LBB2284_182:
	s_or_b64 exec, exec, s[0:1]
	v_cmp_gt_u32_e32 vcc, s33, v31
	s_and_saveexec_b64 s[0:1], vcc
	s_cbranch_execnz .LBB2284_216
.LBB2284_183:
	s_or_b64 exec, exec, s[0:1]
	v_cmp_gt_u32_e32 vcc, s33, v29
	s_and_saveexec_b64 s[0:1], vcc
	s_cbranch_execnz .LBB2284_217
.LBB2284_184:
	s_or_b64 exec, exec, s[0:1]
	v_cmp_gt_u32_e32 vcc, s33, v25
	s_and_saveexec_b64 s[0:1], vcc
	s_cbranch_execnz .LBB2284_218
.LBB2284_185:
	s_or_b64 exec, exec, s[0:1]
	v_cmp_gt_u32_e32 vcc, s33, v23
	s_and_saveexec_b64 s[0:1], vcc
	s_cbranch_execnz .LBB2284_219
.LBB2284_186:
	s_or_b64 exec, exec, s[0:1]
	v_cmp_gt_u32_e32 vcc, s33, v21
	s_and_saveexec_b64 s[0:1], vcc
	s_cbranch_execnz .LBB2284_220
.LBB2284_187:
	s_or_b64 exec, exec, s[0:1]
	v_cmp_gt_u32_e32 vcc, s33, v17
	s_and_saveexec_b64 s[0:1], vcc
	s_cbranch_execnz .LBB2284_221
.LBB2284_188:
	s_or_b64 exec, exec, s[0:1]
	v_cmp_gt_u32_e32 vcc, s33, v13
	s_and_saveexec_b64 s[0:1], vcc
	s_cbranch_execnz .LBB2284_222
.LBB2284_189:
	s_or_b64 exec, exec, s[0:1]
	v_cmp_gt_u32_e32 vcc, s33, v11
	s_and_saveexec_b64 s[0:1], vcc
	s_cbranch_execnz .LBB2284_223
.LBB2284_190:
	s_or_b64 exec, exec, s[0:1]
	v_cmp_gt_u32_e32 vcc, s33, v10
	s_and_saveexec_b64 s[0:1], vcc
	s_cbranch_execz .LBB2284_192
.LBB2284_191:
	v_cmp_lt_u32_e32 vcc, v10, v18
	v_lshlrev_b32_e32 v10, 1, v10
	v_mov_b32_e32 v11, 0
	v_cndmask_b32_e32 v13, v5, v7, vcc
	s_waitcnt lgkmcnt(2)
	v_cndmask_b32_e32 v12, v4, v6, vcc
	v_lshl_add_u64 v[10:11], v[12:13], 0, v[10:11]
	s_waitcnt lgkmcnt(1)
	global_store_short v[10:11], v9, off
.LBB2284_192:
	s_or_b64 exec, exec, s[0:1]
	v_cmp_gt_u32_e64 s[0:1], s33, v8
.LBB2284_193:
	s_and_saveexec_b64 s[2:3], s[0:1]
	s_cbranch_execz .LBB2284_195
; %bb.194:
	v_cmp_lt_u32_e32 vcc, v8, v18
	s_nop 1
	v_cndmask_b32_e32 v5, v5, v7, vcc
	v_cndmask_b32_e32 v4, v4, v6, vcc
	v_lshlrev_b32_e32 v6, 1, v8
	v_mov_b32_e32 v7, 0
	v_lshl_add_u64 v[4:5], v[4:5], 0, v[6:7]
	s_waitcnt lgkmcnt(0)
	global_store_short v[4:5], v1, off
.LBB2284_195:
	s_or_b64 exec, exec, s[2:3]
	v_cmp_eq_u32_e32 vcc, 0, v0
	s_and_b64 s[0:1], vcc, s[22:23]
	s_and_saveexec_b64 s[2:3], s[0:1]
	s_cbranch_execz .LBB2284_197
; %bb.196:
	v_mov_b32_e32 v0, 0
	global_store_dwordx2 v0, v[2:3], s[20:21]
.LBB2284_197:
	s_endpgm
.LBB2284_198:
	v_cmp_lt_u32_e32 vcc, v0, v18
	v_mov_b32_e32 v15, 0
	s_nop 0
	v_cndmask_b32_e32 v27, v5, v7, vcc
	v_cndmask_b32_e32 v26, v4, v6, vcc
	v_lshl_add_u64 v[26:27], v[26:27], 0, v[14:15]
	s_waitcnt lgkmcnt(14)
	global_store_short v[26:27], v67, off
	s_or_b64 exec, exec, s[0:1]
	v_cmp_gt_u32_e32 vcc, s33, v65
	s_and_saveexec_b64 s[0:1], vcc
	s_cbranch_execz .LBB2284_166
.LBB2284_199:
	v_cmp_lt_u32_e32 vcc, v65, v18
	v_mov_b32_e32 v15, 0
	s_nop 0
	v_cndmask_b32_e32 v27, v5, v7, vcc
	v_cndmask_b32_e32 v26, v4, v6, vcc
	v_lshl_add_u64 v[26:27], v[26:27], 0, v[14:15]
	s_waitcnt lgkmcnt(14)
	global_store_short v[26:27], v66, off offset:1024
	s_or_b64 exec, exec, s[0:1]
	v_cmp_gt_u32_e32 vcc, s33, v63
	s_and_saveexec_b64 s[0:1], vcc
	s_cbranch_execz .LBB2284_167
.LBB2284_200:
	v_cmp_lt_u32_e32 vcc, v63, v18
	v_mov_b32_e32 v15, 0
	s_nop 0
	v_cndmask_b32_e32 v27, v5, v7, vcc
	v_cndmask_b32_e32 v26, v4, v6, vcc
	v_lshl_add_u64 v[26:27], v[26:27], 0, v[14:15]
	s_waitcnt lgkmcnt(14)
	global_store_short v[26:27], v64, off offset:2048
	s_or_b64 exec, exec, s[0:1]
	v_cmp_gt_u32_e32 vcc, s33, v61
	s_and_saveexec_b64 s[0:1], vcc
	s_cbranch_execz .LBB2284_168
.LBB2284_201:
	v_cmp_lt_u32_e32 vcc, v61, v18
	v_mov_b32_e32 v15, 0
	s_nop 0
	v_cndmask_b32_e32 v27, v5, v7, vcc
	v_cndmask_b32_e32 v26, v4, v6, vcc
	v_lshl_add_u64 v[14:15], v[26:27], 0, v[14:15]
	s_waitcnt lgkmcnt(14)
	global_store_short v[14:15], v62, off offset:3072
	s_or_b64 exec, exec, s[0:1]
	v_cmp_gt_u32_e32 vcc, s33, v59
	s_and_saveexec_b64 s[0:1], vcc
	s_cbranch_execz .LBB2284_169
.LBB2284_202:
	v_cmp_lt_u32_e32 vcc, v59, v18
	v_lshlrev_b32_e32 v26, 1, v59
	v_mov_b32_e32 v27, 0
	v_cndmask_b32_e32 v15, v5, v7, vcc
	v_cndmask_b32_e32 v14, v4, v6, vcc
	v_lshl_add_u64 v[14:15], v[14:15], 0, v[26:27]
	s_waitcnt lgkmcnt(14)
	global_store_short v[14:15], v60, off
	s_or_b64 exec, exec, s[0:1]
	v_cmp_gt_u32_e32 vcc, s33, v57
	s_and_saveexec_b64 s[0:1], vcc
	s_cbranch_execz .LBB2284_170
.LBB2284_203:
	v_cmp_lt_u32_e32 vcc, v57, v18
	v_lshlrev_b32_e32 v26, 1, v57
	v_mov_b32_e32 v27, 0
	v_cndmask_b32_e32 v15, v5, v7, vcc
	v_cndmask_b32_e32 v14, v4, v6, vcc
	v_lshl_add_u64 v[14:15], v[14:15], 0, v[26:27]
	s_waitcnt lgkmcnt(14)
	global_store_short v[14:15], v58, off
	s_or_b64 exec, exec, s[0:1]
	v_cmp_gt_u32_e32 vcc, s33, v55
	s_and_saveexec_b64 s[0:1], vcc
	s_cbranch_execz .LBB2284_171
.LBB2284_204:
	v_cmp_lt_u32_e32 vcc, v55, v18
	v_lshlrev_b32_e32 v26, 1, v55
	v_mov_b32_e32 v27, 0
	v_cndmask_b32_e32 v15, v5, v7, vcc
	v_cndmask_b32_e32 v14, v4, v6, vcc
	v_lshl_add_u64 v[14:15], v[14:15], 0, v[26:27]
	s_waitcnt lgkmcnt(14)
	global_store_short v[14:15], v56, off
	s_or_b64 exec, exec, s[0:1]
	v_cmp_gt_u32_e32 vcc, s33, v53
	s_and_saveexec_b64 s[0:1], vcc
	s_cbranch_execz .LBB2284_172
.LBB2284_205:
	v_cmp_lt_u32_e32 vcc, v53, v18
	v_lshlrev_b32_e32 v26, 1, v53
	v_mov_b32_e32 v27, 0
	v_cndmask_b32_e32 v15, v5, v7, vcc
	v_cndmask_b32_e32 v14, v4, v6, vcc
	v_lshl_add_u64 v[14:15], v[14:15], 0, v[26:27]
	s_waitcnt lgkmcnt(14)
	global_store_short v[14:15], v54, off
	s_or_b64 exec, exec, s[0:1]
	v_cmp_gt_u32_e32 vcc, s33, v51
	s_and_saveexec_b64 s[0:1], vcc
	s_cbranch_execz .LBB2284_173
.LBB2284_206:
	v_cmp_lt_u32_e32 vcc, v51, v18
	v_lshlrev_b32_e32 v26, 1, v51
	v_mov_b32_e32 v27, 0
	v_cndmask_b32_e32 v15, v5, v7, vcc
	v_cndmask_b32_e32 v14, v4, v6, vcc
	v_lshl_add_u64 v[14:15], v[14:15], 0, v[26:27]
	s_waitcnt lgkmcnt(14)
	global_store_short v[14:15], v52, off
	s_or_b64 exec, exec, s[0:1]
	v_cmp_gt_u32_e32 vcc, s33, v49
	s_and_saveexec_b64 s[0:1], vcc
	s_cbranch_execz .LBB2284_174
.LBB2284_207:
	v_cmp_lt_u32_e32 vcc, v49, v18
	v_lshlrev_b32_e32 v26, 1, v49
	v_mov_b32_e32 v27, 0
	v_cndmask_b32_e32 v15, v5, v7, vcc
	v_cndmask_b32_e32 v14, v4, v6, vcc
	v_lshl_add_u64 v[14:15], v[14:15], 0, v[26:27]
	s_waitcnt lgkmcnt(14)
	global_store_short v[14:15], v50, off
	s_or_b64 exec, exec, s[0:1]
	v_cmp_gt_u32_e32 vcc, s33, v47
	s_and_saveexec_b64 s[0:1], vcc
	s_cbranch_execz .LBB2284_175
.LBB2284_208:
	v_cmp_lt_u32_e32 vcc, v47, v18
	v_lshlrev_b32_e32 v26, 1, v47
	v_mov_b32_e32 v27, 0
	v_cndmask_b32_e32 v15, v5, v7, vcc
	v_cndmask_b32_e32 v14, v4, v6, vcc
	v_lshl_add_u64 v[14:15], v[14:15], 0, v[26:27]
	s_waitcnt lgkmcnt(14)
	global_store_short v[14:15], v48, off
	s_or_b64 exec, exec, s[0:1]
	v_cmp_gt_u32_e32 vcc, s33, v45
	s_and_saveexec_b64 s[0:1], vcc
	s_cbranch_execz .LBB2284_176
.LBB2284_209:
	v_cmp_lt_u32_e32 vcc, v45, v18
	v_lshlrev_b32_e32 v26, 1, v45
	v_mov_b32_e32 v27, 0
	v_cndmask_b32_e32 v15, v5, v7, vcc
	v_cndmask_b32_e32 v14, v4, v6, vcc
	v_lshl_add_u64 v[14:15], v[14:15], 0, v[26:27]
	s_waitcnt lgkmcnt(14)
	global_store_short v[14:15], v46, off
	s_or_b64 exec, exec, s[0:1]
	v_cmp_gt_u32_e32 vcc, s33, v43
	s_and_saveexec_b64 s[0:1], vcc
	s_cbranch_execz .LBB2284_177
.LBB2284_210:
	v_cmp_lt_u32_e32 vcc, v43, v18
	v_lshlrev_b32_e32 v26, 1, v43
	v_mov_b32_e32 v27, 0
	v_cndmask_b32_e32 v15, v5, v7, vcc
	v_cndmask_b32_e32 v14, v4, v6, vcc
	v_lshl_add_u64 v[14:15], v[14:15], 0, v[26:27]
	s_waitcnt lgkmcnt(14)
	global_store_short v[14:15], v44, off
	s_or_b64 exec, exec, s[0:1]
	v_cmp_gt_u32_e32 vcc, s33, v41
	s_and_saveexec_b64 s[0:1], vcc
	s_cbranch_execz .LBB2284_178
.LBB2284_211:
	v_cmp_lt_u32_e32 vcc, v41, v18
	v_lshlrev_b32_e32 v26, 1, v41
	v_mov_b32_e32 v27, 0
	v_cndmask_b32_e32 v15, v5, v7, vcc
	v_cndmask_b32_e32 v14, v4, v6, vcc
	v_lshl_add_u64 v[14:15], v[14:15], 0, v[26:27]
	s_waitcnt lgkmcnt(14)
	global_store_short v[14:15], v42, off
	s_or_b64 exec, exec, s[0:1]
	v_cmp_gt_u32_e32 vcc, s33, v39
	s_and_saveexec_b64 s[0:1], vcc
	s_cbranch_execz .LBB2284_179
.LBB2284_212:
	v_cmp_lt_u32_e32 vcc, v39, v18
	v_lshlrev_b32_e32 v26, 1, v39
	v_mov_b32_e32 v27, 0
	v_cndmask_b32_e32 v15, v5, v7, vcc
	v_cndmask_b32_e32 v14, v4, v6, vcc
	v_lshl_add_u64 v[14:15], v[14:15], 0, v[26:27]
	s_waitcnt lgkmcnt(13)
	global_store_short v[14:15], v40, off
	s_or_b64 exec, exec, s[0:1]
	v_cmp_gt_u32_e32 vcc, s33, v37
	s_and_saveexec_b64 s[0:1], vcc
	s_cbranch_execz .LBB2284_180
.LBB2284_213:
	v_cmp_lt_u32_e32 vcc, v37, v18
	v_lshlrev_b32_e32 v26, 1, v37
	v_mov_b32_e32 v27, 0
	v_cndmask_b32_e32 v15, v5, v7, vcc
	v_cndmask_b32_e32 v14, v4, v6, vcc
	v_lshl_add_u64 v[14:15], v[14:15], 0, v[26:27]
	s_waitcnt lgkmcnt(12)
	global_store_short v[14:15], v38, off
	s_or_b64 exec, exec, s[0:1]
	v_cmp_gt_u32_e32 vcc, s33, v35
	s_and_saveexec_b64 s[0:1], vcc
	s_cbranch_execz .LBB2284_181
.LBB2284_214:
	v_cmp_lt_u32_e32 vcc, v35, v18
	v_lshlrev_b32_e32 v26, 1, v35
	v_mov_b32_e32 v27, 0
	v_cndmask_b32_e32 v15, v5, v7, vcc
	v_cndmask_b32_e32 v14, v4, v6, vcc
	v_lshl_add_u64 v[14:15], v[14:15], 0, v[26:27]
	s_waitcnt lgkmcnt(11)
	global_store_short v[14:15], v36, off
	s_or_b64 exec, exec, s[0:1]
	v_cmp_gt_u32_e32 vcc, s33, v33
	s_and_saveexec_b64 s[0:1], vcc
	s_cbranch_execz .LBB2284_182
.LBB2284_215:
	v_cmp_lt_u32_e32 vcc, v33, v18
	v_lshlrev_b32_e32 v26, 1, v33
	v_mov_b32_e32 v27, 0
	v_cndmask_b32_e32 v15, v5, v7, vcc
	v_cndmask_b32_e32 v14, v4, v6, vcc
	v_lshl_add_u64 v[14:15], v[14:15], 0, v[26:27]
	s_waitcnt lgkmcnt(10)
	global_store_short v[14:15], v34, off
	s_or_b64 exec, exec, s[0:1]
	v_cmp_gt_u32_e32 vcc, s33, v31
	s_and_saveexec_b64 s[0:1], vcc
	s_cbranch_execz .LBB2284_183
.LBB2284_216:
	v_cmp_lt_u32_e32 vcc, v31, v18
	v_lshlrev_b32_e32 v26, 1, v31
	v_mov_b32_e32 v27, 0
	v_cndmask_b32_e32 v15, v5, v7, vcc
	v_cndmask_b32_e32 v14, v4, v6, vcc
	v_lshl_add_u64 v[14:15], v[14:15], 0, v[26:27]
	s_waitcnt lgkmcnt(9)
	global_store_short v[14:15], v32, off
	s_or_b64 exec, exec, s[0:1]
	v_cmp_gt_u32_e32 vcc, s33, v29
	s_and_saveexec_b64 s[0:1], vcc
	s_cbranch_execz .LBB2284_184
.LBB2284_217:
	v_cmp_lt_u32_e32 vcc, v29, v18
	v_lshlrev_b32_e32 v26, 1, v29
	v_mov_b32_e32 v27, 0
	v_cndmask_b32_e32 v15, v5, v7, vcc
	v_cndmask_b32_e32 v14, v4, v6, vcc
	v_lshl_add_u64 v[14:15], v[14:15], 0, v[26:27]
	s_waitcnt lgkmcnt(8)
	global_store_short v[14:15], v30, off
	s_or_b64 exec, exec, s[0:1]
	v_cmp_gt_u32_e32 vcc, s33, v25
	s_and_saveexec_b64 s[0:1], vcc
	s_cbranch_execz .LBB2284_185
.LBB2284_218:
	v_cmp_lt_u32_e32 vcc, v25, v18
	v_lshlrev_b32_e32 v26, 1, v25
	v_mov_b32_e32 v27, 0
	v_cndmask_b32_e32 v15, v5, v7, vcc
	v_cndmask_b32_e32 v14, v4, v6, vcc
	v_lshl_add_u64 v[14:15], v[14:15], 0, v[26:27]
	s_waitcnt lgkmcnt(7)
	global_store_short v[14:15], v28, off
	s_or_b64 exec, exec, s[0:1]
	v_cmp_gt_u32_e32 vcc, s33, v23
	s_and_saveexec_b64 s[0:1], vcc
	s_cbranch_execz .LBB2284_186
.LBB2284_219:
	v_cmp_lt_u32_e32 vcc, v23, v18
	v_lshlrev_b32_e32 v26, 1, v23
	v_mov_b32_e32 v27, 0
	v_cndmask_b32_e32 v15, v5, v7, vcc
	v_cndmask_b32_e32 v14, v4, v6, vcc
	v_lshl_add_u64 v[14:15], v[14:15], 0, v[26:27]
	s_waitcnt lgkmcnt(6)
	global_store_short v[14:15], v24, off
	s_or_b64 exec, exec, s[0:1]
	v_cmp_gt_u32_e32 vcc, s33, v21
	s_and_saveexec_b64 s[0:1], vcc
	s_cbranch_execz .LBB2284_187
.LBB2284_220:
	v_cmp_lt_u32_e32 vcc, v21, v18
	s_waitcnt lgkmcnt(6)
	v_lshlrev_b32_e32 v24, 1, v21
	v_mov_b32_e32 v25, 0
	v_cndmask_b32_e32 v15, v5, v7, vcc
	v_cndmask_b32_e32 v14, v4, v6, vcc
	v_lshl_add_u64 v[14:15], v[14:15], 0, v[24:25]
	s_waitcnt lgkmcnt(5)
	global_store_short v[14:15], v22, off
	s_or_b64 exec, exec, s[0:1]
	v_cmp_gt_u32_e32 vcc, s33, v17
	s_and_saveexec_b64 s[0:1], vcc
	s_cbranch_execz .LBB2284_188
.LBB2284_221:
	v_cmp_lt_u32_e32 vcc, v17, v18
	s_waitcnt lgkmcnt(5)
	v_lshlrev_b32_e32 v22, 1, v17
	v_mov_b32_e32 v23, 0
	v_cndmask_b32_e32 v15, v5, v7, vcc
	v_cndmask_b32_e32 v14, v4, v6, vcc
	v_lshl_add_u64 v[14:15], v[14:15], 0, v[22:23]
	s_waitcnt lgkmcnt(4)
	global_store_short v[14:15], v20, off
	s_or_b64 exec, exec, s[0:1]
	v_cmp_gt_u32_e32 vcc, s33, v13
	s_and_saveexec_b64 s[0:1], vcc
	s_cbranch_execz .LBB2284_189
.LBB2284_222:
	v_cmp_lt_u32_e32 vcc, v13, v18
	s_waitcnt lgkmcnt(4)
	v_lshlrev_b32_e32 v20, 1, v13
	v_mov_b32_e32 v21, 0
	v_cndmask_b32_e32 v15, v5, v7, vcc
	v_cndmask_b32_e32 v14, v4, v6, vcc
	v_lshl_add_u64 v[14:15], v[14:15], 0, v[20:21]
	s_waitcnt lgkmcnt(3)
	global_store_short v[14:15], v16, off
	s_or_b64 exec, exec, s[0:1]
	v_cmp_gt_u32_e32 vcc, s33, v11
	s_and_saveexec_b64 s[0:1], vcc
	s_cbranch_execz .LBB2284_190
.LBB2284_223:
	v_cmp_lt_u32_e32 vcc, v11, v18
	s_waitcnt lgkmcnt(3)
	v_lshlrev_b32_e32 v16, 1, v11
	v_mov_b32_e32 v17, 0
	v_cndmask_b32_e32 v15, v5, v7, vcc
	v_cndmask_b32_e32 v14, v4, v6, vcc
	v_lshl_add_u64 v[14:15], v[14:15], 0, v[16:17]
	s_waitcnt lgkmcnt(2)
	global_store_short v[14:15], v12, off
	s_or_b64 exec, exec, s[0:1]
	v_cmp_gt_u32_e32 vcc, s33, v10
	s_and_saveexec_b64 s[0:1], vcc
	s_cbranch_execnz .LBB2284_191
	s_branch .LBB2284_192
	.section	.rodata,"a",@progbits
	.p2align	6, 0x0
	.amdhsa_kernel _ZN7rocprim17ROCPRIM_400000_NS6detail17trampoline_kernelINS0_14default_configENS1_25partition_config_selectorILNS1_17partition_subalgoE1EtNS0_10empty_typeEbEEZZNS1_14partition_implILS5_1ELb0ES3_jN6thrust23THRUST_200600_302600_NS6detail15normal_iteratorINSA_10device_ptrItEEEEPS6_NSA_18transform_iteratorI7is_evenItESF_NSA_11use_defaultESK_EENS0_5tupleIJSF_SF_EEENSM_IJSG_SG_EEES6_PlJS6_EEE10hipError_tPvRmT3_T4_T5_T6_T7_T9_mT8_P12ihipStream_tbDpT10_ENKUlT_T0_E_clISt17integral_constantIbLb1EES18_IbLb0EEEEDaS14_S15_EUlS14_E_NS1_11comp_targetILNS1_3genE5ELNS1_11target_archE942ELNS1_3gpuE9ELNS1_3repE0EEENS1_30default_config_static_selectorELNS0_4arch9wavefront6targetE1EEEvT1_
		.amdhsa_group_segment_fixed_size 28680
		.amdhsa_private_segment_fixed_size 0
		.amdhsa_kernarg_size 128
		.amdhsa_user_sgpr_count 2
		.amdhsa_user_sgpr_dispatch_ptr 0
		.amdhsa_user_sgpr_queue_ptr 0
		.amdhsa_user_sgpr_kernarg_segment_ptr 1
		.amdhsa_user_sgpr_dispatch_id 0
		.amdhsa_user_sgpr_kernarg_preload_length 0
		.amdhsa_user_sgpr_kernarg_preload_offset 0
		.amdhsa_user_sgpr_private_segment_size 0
		.amdhsa_uses_dynamic_stack 0
		.amdhsa_enable_private_segment 0
		.amdhsa_system_sgpr_workgroup_id_x 1
		.amdhsa_system_sgpr_workgroup_id_y 0
		.amdhsa_system_sgpr_workgroup_id_z 0
		.amdhsa_system_sgpr_workgroup_info 0
		.amdhsa_system_vgpr_workitem_id 0
		.amdhsa_next_free_vgpr 79
		.amdhsa_next_free_sgpr 44
		.amdhsa_accum_offset 80
		.amdhsa_reserve_vcc 1
		.amdhsa_float_round_mode_32 0
		.amdhsa_float_round_mode_16_64 0
		.amdhsa_float_denorm_mode_32 3
		.amdhsa_float_denorm_mode_16_64 3
		.amdhsa_dx10_clamp 1
		.amdhsa_ieee_mode 1
		.amdhsa_fp16_overflow 0
		.amdhsa_tg_split 0
		.amdhsa_exception_fp_ieee_invalid_op 0
		.amdhsa_exception_fp_denorm_src 0
		.amdhsa_exception_fp_ieee_div_zero 0
		.amdhsa_exception_fp_ieee_overflow 0
		.amdhsa_exception_fp_ieee_underflow 0
		.amdhsa_exception_fp_ieee_inexact 0
		.amdhsa_exception_int_div_zero 0
	.end_amdhsa_kernel
	.section	.text._ZN7rocprim17ROCPRIM_400000_NS6detail17trampoline_kernelINS0_14default_configENS1_25partition_config_selectorILNS1_17partition_subalgoE1EtNS0_10empty_typeEbEEZZNS1_14partition_implILS5_1ELb0ES3_jN6thrust23THRUST_200600_302600_NS6detail15normal_iteratorINSA_10device_ptrItEEEEPS6_NSA_18transform_iteratorI7is_evenItESF_NSA_11use_defaultESK_EENS0_5tupleIJSF_SF_EEENSM_IJSG_SG_EEES6_PlJS6_EEE10hipError_tPvRmT3_T4_T5_T6_T7_T9_mT8_P12ihipStream_tbDpT10_ENKUlT_T0_E_clISt17integral_constantIbLb1EES18_IbLb0EEEEDaS14_S15_EUlS14_E_NS1_11comp_targetILNS1_3genE5ELNS1_11target_archE942ELNS1_3gpuE9ELNS1_3repE0EEENS1_30default_config_static_selectorELNS0_4arch9wavefront6targetE1EEEvT1_,"axG",@progbits,_ZN7rocprim17ROCPRIM_400000_NS6detail17trampoline_kernelINS0_14default_configENS1_25partition_config_selectorILNS1_17partition_subalgoE1EtNS0_10empty_typeEbEEZZNS1_14partition_implILS5_1ELb0ES3_jN6thrust23THRUST_200600_302600_NS6detail15normal_iteratorINSA_10device_ptrItEEEEPS6_NSA_18transform_iteratorI7is_evenItESF_NSA_11use_defaultESK_EENS0_5tupleIJSF_SF_EEENSM_IJSG_SG_EEES6_PlJS6_EEE10hipError_tPvRmT3_T4_T5_T6_T7_T9_mT8_P12ihipStream_tbDpT10_ENKUlT_T0_E_clISt17integral_constantIbLb1EES18_IbLb0EEEEDaS14_S15_EUlS14_E_NS1_11comp_targetILNS1_3genE5ELNS1_11target_archE942ELNS1_3gpuE9ELNS1_3repE0EEENS1_30default_config_static_selectorELNS0_4arch9wavefront6targetE1EEEvT1_,comdat
.Lfunc_end2284:
	.size	_ZN7rocprim17ROCPRIM_400000_NS6detail17trampoline_kernelINS0_14default_configENS1_25partition_config_selectorILNS1_17partition_subalgoE1EtNS0_10empty_typeEbEEZZNS1_14partition_implILS5_1ELb0ES3_jN6thrust23THRUST_200600_302600_NS6detail15normal_iteratorINSA_10device_ptrItEEEEPS6_NSA_18transform_iteratorI7is_evenItESF_NSA_11use_defaultESK_EENS0_5tupleIJSF_SF_EEENSM_IJSG_SG_EEES6_PlJS6_EEE10hipError_tPvRmT3_T4_T5_T6_T7_T9_mT8_P12ihipStream_tbDpT10_ENKUlT_T0_E_clISt17integral_constantIbLb1EES18_IbLb0EEEEDaS14_S15_EUlS14_E_NS1_11comp_targetILNS1_3genE5ELNS1_11target_archE942ELNS1_3gpuE9ELNS1_3repE0EEENS1_30default_config_static_selectorELNS0_4arch9wavefront6targetE1EEEvT1_, .Lfunc_end2284-_ZN7rocprim17ROCPRIM_400000_NS6detail17trampoline_kernelINS0_14default_configENS1_25partition_config_selectorILNS1_17partition_subalgoE1EtNS0_10empty_typeEbEEZZNS1_14partition_implILS5_1ELb0ES3_jN6thrust23THRUST_200600_302600_NS6detail15normal_iteratorINSA_10device_ptrItEEEEPS6_NSA_18transform_iteratorI7is_evenItESF_NSA_11use_defaultESK_EENS0_5tupleIJSF_SF_EEENSM_IJSG_SG_EEES6_PlJS6_EEE10hipError_tPvRmT3_T4_T5_T6_T7_T9_mT8_P12ihipStream_tbDpT10_ENKUlT_T0_E_clISt17integral_constantIbLb1EES18_IbLb0EEEEDaS14_S15_EUlS14_E_NS1_11comp_targetILNS1_3genE5ELNS1_11target_archE942ELNS1_3gpuE9ELNS1_3repE0EEENS1_30default_config_static_selectorELNS0_4arch9wavefront6targetE1EEEvT1_
                                        ; -- End function
	.section	.AMDGPU.csdata,"",@progbits
; Kernel info:
; codeLenInByte = 12080
; NumSgprs: 50
; NumVgprs: 79
; NumAgprs: 0
; TotalNumVgprs: 79
; ScratchSize: 0
; MemoryBound: 0
; FloatMode: 240
; IeeeMode: 1
; LDSByteSize: 28680 bytes/workgroup (compile time only)
; SGPRBlocks: 6
; VGPRBlocks: 9
; NumSGPRsForWavesPerEU: 50
; NumVGPRsForWavesPerEU: 79
; AccumOffset: 80
; Occupancy: 4
; WaveLimiterHint : 1
; COMPUTE_PGM_RSRC2:SCRATCH_EN: 0
; COMPUTE_PGM_RSRC2:USER_SGPR: 2
; COMPUTE_PGM_RSRC2:TRAP_HANDLER: 0
; COMPUTE_PGM_RSRC2:TGID_X_EN: 1
; COMPUTE_PGM_RSRC2:TGID_Y_EN: 0
; COMPUTE_PGM_RSRC2:TGID_Z_EN: 0
; COMPUTE_PGM_RSRC2:TIDIG_COMP_CNT: 0
; COMPUTE_PGM_RSRC3_GFX90A:ACCUM_OFFSET: 19
; COMPUTE_PGM_RSRC3_GFX90A:TG_SPLIT: 0
	.section	.text._ZN7rocprim17ROCPRIM_400000_NS6detail17trampoline_kernelINS0_14default_configENS1_25partition_config_selectorILNS1_17partition_subalgoE1EtNS0_10empty_typeEbEEZZNS1_14partition_implILS5_1ELb0ES3_jN6thrust23THRUST_200600_302600_NS6detail15normal_iteratorINSA_10device_ptrItEEEEPS6_NSA_18transform_iteratorI7is_evenItESF_NSA_11use_defaultESK_EENS0_5tupleIJSF_SF_EEENSM_IJSG_SG_EEES6_PlJS6_EEE10hipError_tPvRmT3_T4_T5_T6_T7_T9_mT8_P12ihipStream_tbDpT10_ENKUlT_T0_E_clISt17integral_constantIbLb1EES18_IbLb0EEEEDaS14_S15_EUlS14_E_NS1_11comp_targetILNS1_3genE4ELNS1_11target_archE910ELNS1_3gpuE8ELNS1_3repE0EEENS1_30default_config_static_selectorELNS0_4arch9wavefront6targetE1EEEvT1_,"axG",@progbits,_ZN7rocprim17ROCPRIM_400000_NS6detail17trampoline_kernelINS0_14default_configENS1_25partition_config_selectorILNS1_17partition_subalgoE1EtNS0_10empty_typeEbEEZZNS1_14partition_implILS5_1ELb0ES3_jN6thrust23THRUST_200600_302600_NS6detail15normal_iteratorINSA_10device_ptrItEEEEPS6_NSA_18transform_iteratorI7is_evenItESF_NSA_11use_defaultESK_EENS0_5tupleIJSF_SF_EEENSM_IJSG_SG_EEES6_PlJS6_EEE10hipError_tPvRmT3_T4_T5_T6_T7_T9_mT8_P12ihipStream_tbDpT10_ENKUlT_T0_E_clISt17integral_constantIbLb1EES18_IbLb0EEEEDaS14_S15_EUlS14_E_NS1_11comp_targetILNS1_3genE4ELNS1_11target_archE910ELNS1_3gpuE8ELNS1_3repE0EEENS1_30default_config_static_selectorELNS0_4arch9wavefront6targetE1EEEvT1_,comdat
	.protected	_ZN7rocprim17ROCPRIM_400000_NS6detail17trampoline_kernelINS0_14default_configENS1_25partition_config_selectorILNS1_17partition_subalgoE1EtNS0_10empty_typeEbEEZZNS1_14partition_implILS5_1ELb0ES3_jN6thrust23THRUST_200600_302600_NS6detail15normal_iteratorINSA_10device_ptrItEEEEPS6_NSA_18transform_iteratorI7is_evenItESF_NSA_11use_defaultESK_EENS0_5tupleIJSF_SF_EEENSM_IJSG_SG_EEES6_PlJS6_EEE10hipError_tPvRmT3_T4_T5_T6_T7_T9_mT8_P12ihipStream_tbDpT10_ENKUlT_T0_E_clISt17integral_constantIbLb1EES18_IbLb0EEEEDaS14_S15_EUlS14_E_NS1_11comp_targetILNS1_3genE4ELNS1_11target_archE910ELNS1_3gpuE8ELNS1_3repE0EEENS1_30default_config_static_selectorELNS0_4arch9wavefront6targetE1EEEvT1_ ; -- Begin function _ZN7rocprim17ROCPRIM_400000_NS6detail17trampoline_kernelINS0_14default_configENS1_25partition_config_selectorILNS1_17partition_subalgoE1EtNS0_10empty_typeEbEEZZNS1_14partition_implILS5_1ELb0ES3_jN6thrust23THRUST_200600_302600_NS6detail15normal_iteratorINSA_10device_ptrItEEEEPS6_NSA_18transform_iteratorI7is_evenItESF_NSA_11use_defaultESK_EENS0_5tupleIJSF_SF_EEENSM_IJSG_SG_EEES6_PlJS6_EEE10hipError_tPvRmT3_T4_T5_T6_T7_T9_mT8_P12ihipStream_tbDpT10_ENKUlT_T0_E_clISt17integral_constantIbLb1EES18_IbLb0EEEEDaS14_S15_EUlS14_E_NS1_11comp_targetILNS1_3genE4ELNS1_11target_archE910ELNS1_3gpuE8ELNS1_3repE0EEENS1_30default_config_static_selectorELNS0_4arch9wavefront6targetE1EEEvT1_
	.globl	_ZN7rocprim17ROCPRIM_400000_NS6detail17trampoline_kernelINS0_14default_configENS1_25partition_config_selectorILNS1_17partition_subalgoE1EtNS0_10empty_typeEbEEZZNS1_14partition_implILS5_1ELb0ES3_jN6thrust23THRUST_200600_302600_NS6detail15normal_iteratorINSA_10device_ptrItEEEEPS6_NSA_18transform_iteratorI7is_evenItESF_NSA_11use_defaultESK_EENS0_5tupleIJSF_SF_EEENSM_IJSG_SG_EEES6_PlJS6_EEE10hipError_tPvRmT3_T4_T5_T6_T7_T9_mT8_P12ihipStream_tbDpT10_ENKUlT_T0_E_clISt17integral_constantIbLb1EES18_IbLb0EEEEDaS14_S15_EUlS14_E_NS1_11comp_targetILNS1_3genE4ELNS1_11target_archE910ELNS1_3gpuE8ELNS1_3repE0EEENS1_30default_config_static_selectorELNS0_4arch9wavefront6targetE1EEEvT1_
	.p2align	8
	.type	_ZN7rocprim17ROCPRIM_400000_NS6detail17trampoline_kernelINS0_14default_configENS1_25partition_config_selectorILNS1_17partition_subalgoE1EtNS0_10empty_typeEbEEZZNS1_14partition_implILS5_1ELb0ES3_jN6thrust23THRUST_200600_302600_NS6detail15normal_iteratorINSA_10device_ptrItEEEEPS6_NSA_18transform_iteratorI7is_evenItESF_NSA_11use_defaultESK_EENS0_5tupleIJSF_SF_EEENSM_IJSG_SG_EEES6_PlJS6_EEE10hipError_tPvRmT3_T4_T5_T6_T7_T9_mT8_P12ihipStream_tbDpT10_ENKUlT_T0_E_clISt17integral_constantIbLb1EES18_IbLb0EEEEDaS14_S15_EUlS14_E_NS1_11comp_targetILNS1_3genE4ELNS1_11target_archE910ELNS1_3gpuE8ELNS1_3repE0EEENS1_30default_config_static_selectorELNS0_4arch9wavefront6targetE1EEEvT1_,@function
_ZN7rocprim17ROCPRIM_400000_NS6detail17trampoline_kernelINS0_14default_configENS1_25partition_config_selectorILNS1_17partition_subalgoE1EtNS0_10empty_typeEbEEZZNS1_14partition_implILS5_1ELb0ES3_jN6thrust23THRUST_200600_302600_NS6detail15normal_iteratorINSA_10device_ptrItEEEEPS6_NSA_18transform_iteratorI7is_evenItESF_NSA_11use_defaultESK_EENS0_5tupleIJSF_SF_EEENSM_IJSG_SG_EEES6_PlJS6_EEE10hipError_tPvRmT3_T4_T5_T6_T7_T9_mT8_P12ihipStream_tbDpT10_ENKUlT_T0_E_clISt17integral_constantIbLb1EES18_IbLb0EEEEDaS14_S15_EUlS14_E_NS1_11comp_targetILNS1_3genE4ELNS1_11target_archE910ELNS1_3gpuE8ELNS1_3repE0EEENS1_30default_config_static_selectorELNS0_4arch9wavefront6targetE1EEEvT1_: ; @_ZN7rocprim17ROCPRIM_400000_NS6detail17trampoline_kernelINS0_14default_configENS1_25partition_config_selectorILNS1_17partition_subalgoE1EtNS0_10empty_typeEbEEZZNS1_14partition_implILS5_1ELb0ES3_jN6thrust23THRUST_200600_302600_NS6detail15normal_iteratorINSA_10device_ptrItEEEEPS6_NSA_18transform_iteratorI7is_evenItESF_NSA_11use_defaultESK_EENS0_5tupleIJSF_SF_EEENSM_IJSG_SG_EEES6_PlJS6_EEE10hipError_tPvRmT3_T4_T5_T6_T7_T9_mT8_P12ihipStream_tbDpT10_ENKUlT_T0_E_clISt17integral_constantIbLb1EES18_IbLb0EEEEDaS14_S15_EUlS14_E_NS1_11comp_targetILNS1_3genE4ELNS1_11target_archE910ELNS1_3gpuE8ELNS1_3repE0EEENS1_30default_config_static_selectorELNS0_4arch9wavefront6targetE1EEEvT1_
; %bb.0:
	.section	.rodata,"a",@progbits
	.p2align	6, 0x0
	.amdhsa_kernel _ZN7rocprim17ROCPRIM_400000_NS6detail17trampoline_kernelINS0_14default_configENS1_25partition_config_selectorILNS1_17partition_subalgoE1EtNS0_10empty_typeEbEEZZNS1_14partition_implILS5_1ELb0ES3_jN6thrust23THRUST_200600_302600_NS6detail15normal_iteratorINSA_10device_ptrItEEEEPS6_NSA_18transform_iteratorI7is_evenItESF_NSA_11use_defaultESK_EENS0_5tupleIJSF_SF_EEENSM_IJSG_SG_EEES6_PlJS6_EEE10hipError_tPvRmT3_T4_T5_T6_T7_T9_mT8_P12ihipStream_tbDpT10_ENKUlT_T0_E_clISt17integral_constantIbLb1EES18_IbLb0EEEEDaS14_S15_EUlS14_E_NS1_11comp_targetILNS1_3genE4ELNS1_11target_archE910ELNS1_3gpuE8ELNS1_3repE0EEENS1_30default_config_static_selectorELNS0_4arch9wavefront6targetE1EEEvT1_
		.amdhsa_group_segment_fixed_size 0
		.amdhsa_private_segment_fixed_size 0
		.amdhsa_kernarg_size 128
		.amdhsa_user_sgpr_count 2
		.amdhsa_user_sgpr_dispatch_ptr 0
		.amdhsa_user_sgpr_queue_ptr 0
		.amdhsa_user_sgpr_kernarg_segment_ptr 1
		.amdhsa_user_sgpr_dispatch_id 0
		.amdhsa_user_sgpr_kernarg_preload_length 0
		.amdhsa_user_sgpr_kernarg_preload_offset 0
		.amdhsa_user_sgpr_private_segment_size 0
		.amdhsa_uses_dynamic_stack 0
		.amdhsa_enable_private_segment 0
		.amdhsa_system_sgpr_workgroup_id_x 1
		.amdhsa_system_sgpr_workgroup_id_y 0
		.amdhsa_system_sgpr_workgroup_id_z 0
		.amdhsa_system_sgpr_workgroup_info 0
		.amdhsa_system_vgpr_workitem_id 0
		.amdhsa_next_free_vgpr 1
		.amdhsa_next_free_sgpr 0
		.amdhsa_accum_offset 4
		.amdhsa_reserve_vcc 0
		.amdhsa_float_round_mode_32 0
		.amdhsa_float_round_mode_16_64 0
		.amdhsa_float_denorm_mode_32 3
		.amdhsa_float_denorm_mode_16_64 3
		.amdhsa_dx10_clamp 1
		.amdhsa_ieee_mode 1
		.amdhsa_fp16_overflow 0
		.amdhsa_tg_split 0
		.amdhsa_exception_fp_ieee_invalid_op 0
		.amdhsa_exception_fp_denorm_src 0
		.amdhsa_exception_fp_ieee_div_zero 0
		.amdhsa_exception_fp_ieee_overflow 0
		.amdhsa_exception_fp_ieee_underflow 0
		.amdhsa_exception_fp_ieee_inexact 0
		.amdhsa_exception_int_div_zero 0
	.end_amdhsa_kernel
	.section	.text._ZN7rocprim17ROCPRIM_400000_NS6detail17trampoline_kernelINS0_14default_configENS1_25partition_config_selectorILNS1_17partition_subalgoE1EtNS0_10empty_typeEbEEZZNS1_14partition_implILS5_1ELb0ES3_jN6thrust23THRUST_200600_302600_NS6detail15normal_iteratorINSA_10device_ptrItEEEEPS6_NSA_18transform_iteratorI7is_evenItESF_NSA_11use_defaultESK_EENS0_5tupleIJSF_SF_EEENSM_IJSG_SG_EEES6_PlJS6_EEE10hipError_tPvRmT3_T4_T5_T6_T7_T9_mT8_P12ihipStream_tbDpT10_ENKUlT_T0_E_clISt17integral_constantIbLb1EES18_IbLb0EEEEDaS14_S15_EUlS14_E_NS1_11comp_targetILNS1_3genE4ELNS1_11target_archE910ELNS1_3gpuE8ELNS1_3repE0EEENS1_30default_config_static_selectorELNS0_4arch9wavefront6targetE1EEEvT1_,"axG",@progbits,_ZN7rocprim17ROCPRIM_400000_NS6detail17trampoline_kernelINS0_14default_configENS1_25partition_config_selectorILNS1_17partition_subalgoE1EtNS0_10empty_typeEbEEZZNS1_14partition_implILS5_1ELb0ES3_jN6thrust23THRUST_200600_302600_NS6detail15normal_iteratorINSA_10device_ptrItEEEEPS6_NSA_18transform_iteratorI7is_evenItESF_NSA_11use_defaultESK_EENS0_5tupleIJSF_SF_EEENSM_IJSG_SG_EEES6_PlJS6_EEE10hipError_tPvRmT3_T4_T5_T6_T7_T9_mT8_P12ihipStream_tbDpT10_ENKUlT_T0_E_clISt17integral_constantIbLb1EES18_IbLb0EEEEDaS14_S15_EUlS14_E_NS1_11comp_targetILNS1_3genE4ELNS1_11target_archE910ELNS1_3gpuE8ELNS1_3repE0EEENS1_30default_config_static_selectorELNS0_4arch9wavefront6targetE1EEEvT1_,comdat
.Lfunc_end2285:
	.size	_ZN7rocprim17ROCPRIM_400000_NS6detail17trampoline_kernelINS0_14default_configENS1_25partition_config_selectorILNS1_17partition_subalgoE1EtNS0_10empty_typeEbEEZZNS1_14partition_implILS5_1ELb0ES3_jN6thrust23THRUST_200600_302600_NS6detail15normal_iteratorINSA_10device_ptrItEEEEPS6_NSA_18transform_iteratorI7is_evenItESF_NSA_11use_defaultESK_EENS0_5tupleIJSF_SF_EEENSM_IJSG_SG_EEES6_PlJS6_EEE10hipError_tPvRmT3_T4_T5_T6_T7_T9_mT8_P12ihipStream_tbDpT10_ENKUlT_T0_E_clISt17integral_constantIbLb1EES18_IbLb0EEEEDaS14_S15_EUlS14_E_NS1_11comp_targetILNS1_3genE4ELNS1_11target_archE910ELNS1_3gpuE8ELNS1_3repE0EEENS1_30default_config_static_selectorELNS0_4arch9wavefront6targetE1EEEvT1_, .Lfunc_end2285-_ZN7rocprim17ROCPRIM_400000_NS6detail17trampoline_kernelINS0_14default_configENS1_25partition_config_selectorILNS1_17partition_subalgoE1EtNS0_10empty_typeEbEEZZNS1_14partition_implILS5_1ELb0ES3_jN6thrust23THRUST_200600_302600_NS6detail15normal_iteratorINSA_10device_ptrItEEEEPS6_NSA_18transform_iteratorI7is_evenItESF_NSA_11use_defaultESK_EENS0_5tupleIJSF_SF_EEENSM_IJSG_SG_EEES6_PlJS6_EEE10hipError_tPvRmT3_T4_T5_T6_T7_T9_mT8_P12ihipStream_tbDpT10_ENKUlT_T0_E_clISt17integral_constantIbLb1EES18_IbLb0EEEEDaS14_S15_EUlS14_E_NS1_11comp_targetILNS1_3genE4ELNS1_11target_archE910ELNS1_3gpuE8ELNS1_3repE0EEENS1_30default_config_static_selectorELNS0_4arch9wavefront6targetE1EEEvT1_
                                        ; -- End function
	.section	.AMDGPU.csdata,"",@progbits
; Kernel info:
; codeLenInByte = 0
; NumSgprs: 6
; NumVgprs: 0
; NumAgprs: 0
; TotalNumVgprs: 0
; ScratchSize: 0
; MemoryBound: 0
; FloatMode: 240
; IeeeMode: 1
; LDSByteSize: 0 bytes/workgroup (compile time only)
; SGPRBlocks: 0
; VGPRBlocks: 0
; NumSGPRsForWavesPerEU: 6
; NumVGPRsForWavesPerEU: 1
; AccumOffset: 4
; Occupancy: 8
; WaveLimiterHint : 0
; COMPUTE_PGM_RSRC2:SCRATCH_EN: 0
; COMPUTE_PGM_RSRC2:USER_SGPR: 2
; COMPUTE_PGM_RSRC2:TRAP_HANDLER: 0
; COMPUTE_PGM_RSRC2:TGID_X_EN: 1
; COMPUTE_PGM_RSRC2:TGID_Y_EN: 0
; COMPUTE_PGM_RSRC2:TGID_Z_EN: 0
; COMPUTE_PGM_RSRC2:TIDIG_COMP_CNT: 0
; COMPUTE_PGM_RSRC3_GFX90A:ACCUM_OFFSET: 0
; COMPUTE_PGM_RSRC3_GFX90A:TG_SPLIT: 0
	.section	.text._ZN7rocprim17ROCPRIM_400000_NS6detail17trampoline_kernelINS0_14default_configENS1_25partition_config_selectorILNS1_17partition_subalgoE1EtNS0_10empty_typeEbEEZZNS1_14partition_implILS5_1ELb0ES3_jN6thrust23THRUST_200600_302600_NS6detail15normal_iteratorINSA_10device_ptrItEEEEPS6_NSA_18transform_iteratorI7is_evenItESF_NSA_11use_defaultESK_EENS0_5tupleIJSF_SF_EEENSM_IJSG_SG_EEES6_PlJS6_EEE10hipError_tPvRmT3_T4_T5_T6_T7_T9_mT8_P12ihipStream_tbDpT10_ENKUlT_T0_E_clISt17integral_constantIbLb1EES18_IbLb0EEEEDaS14_S15_EUlS14_E_NS1_11comp_targetILNS1_3genE3ELNS1_11target_archE908ELNS1_3gpuE7ELNS1_3repE0EEENS1_30default_config_static_selectorELNS0_4arch9wavefront6targetE1EEEvT1_,"axG",@progbits,_ZN7rocprim17ROCPRIM_400000_NS6detail17trampoline_kernelINS0_14default_configENS1_25partition_config_selectorILNS1_17partition_subalgoE1EtNS0_10empty_typeEbEEZZNS1_14partition_implILS5_1ELb0ES3_jN6thrust23THRUST_200600_302600_NS6detail15normal_iteratorINSA_10device_ptrItEEEEPS6_NSA_18transform_iteratorI7is_evenItESF_NSA_11use_defaultESK_EENS0_5tupleIJSF_SF_EEENSM_IJSG_SG_EEES6_PlJS6_EEE10hipError_tPvRmT3_T4_T5_T6_T7_T9_mT8_P12ihipStream_tbDpT10_ENKUlT_T0_E_clISt17integral_constantIbLb1EES18_IbLb0EEEEDaS14_S15_EUlS14_E_NS1_11comp_targetILNS1_3genE3ELNS1_11target_archE908ELNS1_3gpuE7ELNS1_3repE0EEENS1_30default_config_static_selectorELNS0_4arch9wavefront6targetE1EEEvT1_,comdat
	.protected	_ZN7rocprim17ROCPRIM_400000_NS6detail17trampoline_kernelINS0_14default_configENS1_25partition_config_selectorILNS1_17partition_subalgoE1EtNS0_10empty_typeEbEEZZNS1_14partition_implILS5_1ELb0ES3_jN6thrust23THRUST_200600_302600_NS6detail15normal_iteratorINSA_10device_ptrItEEEEPS6_NSA_18transform_iteratorI7is_evenItESF_NSA_11use_defaultESK_EENS0_5tupleIJSF_SF_EEENSM_IJSG_SG_EEES6_PlJS6_EEE10hipError_tPvRmT3_T4_T5_T6_T7_T9_mT8_P12ihipStream_tbDpT10_ENKUlT_T0_E_clISt17integral_constantIbLb1EES18_IbLb0EEEEDaS14_S15_EUlS14_E_NS1_11comp_targetILNS1_3genE3ELNS1_11target_archE908ELNS1_3gpuE7ELNS1_3repE0EEENS1_30default_config_static_selectorELNS0_4arch9wavefront6targetE1EEEvT1_ ; -- Begin function _ZN7rocprim17ROCPRIM_400000_NS6detail17trampoline_kernelINS0_14default_configENS1_25partition_config_selectorILNS1_17partition_subalgoE1EtNS0_10empty_typeEbEEZZNS1_14partition_implILS5_1ELb0ES3_jN6thrust23THRUST_200600_302600_NS6detail15normal_iteratorINSA_10device_ptrItEEEEPS6_NSA_18transform_iteratorI7is_evenItESF_NSA_11use_defaultESK_EENS0_5tupleIJSF_SF_EEENSM_IJSG_SG_EEES6_PlJS6_EEE10hipError_tPvRmT3_T4_T5_T6_T7_T9_mT8_P12ihipStream_tbDpT10_ENKUlT_T0_E_clISt17integral_constantIbLb1EES18_IbLb0EEEEDaS14_S15_EUlS14_E_NS1_11comp_targetILNS1_3genE3ELNS1_11target_archE908ELNS1_3gpuE7ELNS1_3repE0EEENS1_30default_config_static_selectorELNS0_4arch9wavefront6targetE1EEEvT1_
	.globl	_ZN7rocprim17ROCPRIM_400000_NS6detail17trampoline_kernelINS0_14default_configENS1_25partition_config_selectorILNS1_17partition_subalgoE1EtNS0_10empty_typeEbEEZZNS1_14partition_implILS5_1ELb0ES3_jN6thrust23THRUST_200600_302600_NS6detail15normal_iteratorINSA_10device_ptrItEEEEPS6_NSA_18transform_iteratorI7is_evenItESF_NSA_11use_defaultESK_EENS0_5tupleIJSF_SF_EEENSM_IJSG_SG_EEES6_PlJS6_EEE10hipError_tPvRmT3_T4_T5_T6_T7_T9_mT8_P12ihipStream_tbDpT10_ENKUlT_T0_E_clISt17integral_constantIbLb1EES18_IbLb0EEEEDaS14_S15_EUlS14_E_NS1_11comp_targetILNS1_3genE3ELNS1_11target_archE908ELNS1_3gpuE7ELNS1_3repE0EEENS1_30default_config_static_selectorELNS0_4arch9wavefront6targetE1EEEvT1_
	.p2align	8
	.type	_ZN7rocprim17ROCPRIM_400000_NS6detail17trampoline_kernelINS0_14default_configENS1_25partition_config_selectorILNS1_17partition_subalgoE1EtNS0_10empty_typeEbEEZZNS1_14partition_implILS5_1ELb0ES3_jN6thrust23THRUST_200600_302600_NS6detail15normal_iteratorINSA_10device_ptrItEEEEPS6_NSA_18transform_iteratorI7is_evenItESF_NSA_11use_defaultESK_EENS0_5tupleIJSF_SF_EEENSM_IJSG_SG_EEES6_PlJS6_EEE10hipError_tPvRmT3_T4_T5_T6_T7_T9_mT8_P12ihipStream_tbDpT10_ENKUlT_T0_E_clISt17integral_constantIbLb1EES18_IbLb0EEEEDaS14_S15_EUlS14_E_NS1_11comp_targetILNS1_3genE3ELNS1_11target_archE908ELNS1_3gpuE7ELNS1_3repE0EEENS1_30default_config_static_selectorELNS0_4arch9wavefront6targetE1EEEvT1_,@function
_ZN7rocprim17ROCPRIM_400000_NS6detail17trampoline_kernelINS0_14default_configENS1_25partition_config_selectorILNS1_17partition_subalgoE1EtNS0_10empty_typeEbEEZZNS1_14partition_implILS5_1ELb0ES3_jN6thrust23THRUST_200600_302600_NS6detail15normal_iteratorINSA_10device_ptrItEEEEPS6_NSA_18transform_iteratorI7is_evenItESF_NSA_11use_defaultESK_EENS0_5tupleIJSF_SF_EEENSM_IJSG_SG_EEES6_PlJS6_EEE10hipError_tPvRmT3_T4_T5_T6_T7_T9_mT8_P12ihipStream_tbDpT10_ENKUlT_T0_E_clISt17integral_constantIbLb1EES18_IbLb0EEEEDaS14_S15_EUlS14_E_NS1_11comp_targetILNS1_3genE3ELNS1_11target_archE908ELNS1_3gpuE7ELNS1_3repE0EEENS1_30default_config_static_selectorELNS0_4arch9wavefront6targetE1EEEvT1_: ; @_ZN7rocprim17ROCPRIM_400000_NS6detail17trampoline_kernelINS0_14default_configENS1_25partition_config_selectorILNS1_17partition_subalgoE1EtNS0_10empty_typeEbEEZZNS1_14partition_implILS5_1ELb0ES3_jN6thrust23THRUST_200600_302600_NS6detail15normal_iteratorINSA_10device_ptrItEEEEPS6_NSA_18transform_iteratorI7is_evenItESF_NSA_11use_defaultESK_EENS0_5tupleIJSF_SF_EEENSM_IJSG_SG_EEES6_PlJS6_EEE10hipError_tPvRmT3_T4_T5_T6_T7_T9_mT8_P12ihipStream_tbDpT10_ENKUlT_T0_E_clISt17integral_constantIbLb1EES18_IbLb0EEEEDaS14_S15_EUlS14_E_NS1_11comp_targetILNS1_3genE3ELNS1_11target_archE908ELNS1_3gpuE7ELNS1_3repE0EEENS1_30default_config_static_selectorELNS0_4arch9wavefront6targetE1EEEvT1_
; %bb.0:
	.section	.rodata,"a",@progbits
	.p2align	6, 0x0
	.amdhsa_kernel _ZN7rocprim17ROCPRIM_400000_NS6detail17trampoline_kernelINS0_14default_configENS1_25partition_config_selectorILNS1_17partition_subalgoE1EtNS0_10empty_typeEbEEZZNS1_14partition_implILS5_1ELb0ES3_jN6thrust23THRUST_200600_302600_NS6detail15normal_iteratorINSA_10device_ptrItEEEEPS6_NSA_18transform_iteratorI7is_evenItESF_NSA_11use_defaultESK_EENS0_5tupleIJSF_SF_EEENSM_IJSG_SG_EEES6_PlJS6_EEE10hipError_tPvRmT3_T4_T5_T6_T7_T9_mT8_P12ihipStream_tbDpT10_ENKUlT_T0_E_clISt17integral_constantIbLb1EES18_IbLb0EEEEDaS14_S15_EUlS14_E_NS1_11comp_targetILNS1_3genE3ELNS1_11target_archE908ELNS1_3gpuE7ELNS1_3repE0EEENS1_30default_config_static_selectorELNS0_4arch9wavefront6targetE1EEEvT1_
		.amdhsa_group_segment_fixed_size 0
		.amdhsa_private_segment_fixed_size 0
		.amdhsa_kernarg_size 128
		.amdhsa_user_sgpr_count 2
		.amdhsa_user_sgpr_dispatch_ptr 0
		.amdhsa_user_sgpr_queue_ptr 0
		.amdhsa_user_sgpr_kernarg_segment_ptr 1
		.amdhsa_user_sgpr_dispatch_id 0
		.amdhsa_user_sgpr_kernarg_preload_length 0
		.amdhsa_user_sgpr_kernarg_preload_offset 0
		.amdhsa_user_sgpr_private_segment_size 0
		.amdhsa_uses_dynamic_stack 0
		.amdhsa_enable_private_segment 0
		.amdhsa_system_sgpr_workgroup_id_x 1
		.amdhsa_system_sgpr_workgroup_id_y 0
		.amdhsa_system_sgpr_workgroup_id_z 0
		.amdhsa_system_sgpr_workgroup_info 0
		.amdhsa_system_vgpr_workitem_id 0
		.amdhsa_next_free_vgpr 1
		.amdhsa_next_free_sgpr 0
		.amdhsa_accum_offset 4
		.amdhsa_reserve_vcc 0
		.amdhsa_float_round_mode_32 0
		.amdhsa_float_round_mode_16_64 0
		.amdhsa_float_denorm_mode_32 3
		.amdhsa_float_denorm_mode_16_64 3
		.amdhsa_dx10_clamp 1
		.amdhsa_ieee_mode 1
		.amdhsa_fp16_overflow 0
		.amdhsa_tg_split 0
		.amdhsa_exception_fp_ieee_invalid_op 0
		.amdhsa_exception_fp_denorm_src 0
		.amdhsa_exception_fp_ieee_div_zero 0
		.amdhsa_exception_fp_ieee_overflow 0
		.amdhsa_exception_fp_ieee_underflow 0
		.amdhsa_exception_fp_ieee_inexact 0
		.amdhsa_exception_int_div_zero 0
	.end_amdhsa_kernel
	.section	.text._ZN7rocprim17ROCPRIM_400000_NS6detail17trampoline_kernelINS0_14default_configENS1_25partition_config_selectorILNS1_17partition_subalgoE1EtNS0_10empty_typeEbEEZZNS1_14partition_implILS5_1ELb0ES3_jN6thrust23THRUST_200600_302600_NS6detail15normal_iteratorINSA_10device_ptrItEEEEPS6_NSA_18transform_iteratorI7is_evenItESF_NSA_11use_defaultESK_EENS0_5tupleIJSF_SF_EEENSM_IJSG_SG_EEES6_PlJS6_EEE10hipError_tPvRmT3_T4_T5_T6_T7_T9_mT8_P12ihipStream_tbDpT10_ENKUlT_T0_E_clISt17integral_constantIbLb1EES18_IbLb0EEEEDaS14_S15_EUlS14_E_NS1_11comp_targetILNS1_3genE3ELNS1_11target_archE908ELNS1_3gpuE7ELNS1_3repE0EEENS1_30default_config_static_selectorELNS0_4arch9wavefront6targetE1EEEvT1_,"axG",@progbits,_ZN7rocprim17ROCPRIM_400000_NS6detail17trampoline_kernelINS0_14default_configENS1_25partition_config_selectorILNS1_17partition_subalgoE1EtNS0_10empty_typeEbEEZZNS1_14partition_implILS5_1ELb0ES3_jN6thrust23THRUST_200600_302600_NS6detail15normal_iteratorINSA_10device_ptrItEEEEPS6_NSA_18transform_iteratorI7is_evenItESF_NSA_11use_defaultESK_EENS0_5tupleIJSF_SF_EEENSM_IJSG_SG_EEES6_PlJS6_EEE10hipError_tPvRmT3_T4_T5_T6_T7_T9_mT8_P12ihipStream_tbDpT10_ENKUlT_T0_E_clISt17integral_constantIbLb1EES18_IbLb0EEEEDaS14_S15_EUlS14_E_NS1_11comp_targetILNS1_3genE3ELNS1_11target_archE908ELNS1_3gpuE7ELNS1_3repE0EEENS1_30default_config_static_selectorELNS0_4arch9wavefront6targetE1EEEvT1_,comdat
.Lfunc_end2286:
	.size	_ZN7rocprim17ROCPRIM_400000_NS6detail17trampoline_kernelINS0_14default_configENS1_25partition_config_selectorILNS1_17partition_subalgoE1EtNS0_10empty_typeEbEEZZNS1_14partition_implILS5_1ELb0ES3_jN6thrust23THRUST_200600_302600_NS6detail15normal_iteratorINSA_10device_ptrItEEEEPS6_NSA_18transform_iteratorI7is_evenItESF_NSA_11use_defaultESK_EENS0_5tupleIJSF_SF_EEENSM_IJSG_SG_EEES6_PlJS6_EEE10hipError_tPvRmT3_T4_T5_T6_T7_T9_mT8_P12ihipStream_tbDpT10_ENKUlT_T0_E_clISt17integral_constantIbLb1EES18_IbLb0EEEEDaS14_S15_EUlS14_E_NS1_11comp_targetILNS1_3genE3ELNS1_11target_archE908ELNS1_3gpuE7ELNS1_3repE0EEENS1_30default_config_static_selectorELNS0_4arch9wavefront6targetE1EEEvT1_, .Lfunc_end2286-_ZN7rocprim17ROCPRIM_400000_NS6detail17trampoline_kernelINS0_14default_configENS1_25partition_config_selectorILNS1_17partition_subalgoE1EtNS0_10empty_typeEbEEZZNS1_14partition_implILS5_1ELb0ES3_jN6thrust23THRUST_200600_302600_NS6detail15normal_iteratorINSA_10device_ptrItEEEEPS6_NSA_18transform_iteratorI7is_evenItESF_NSA_11use_defaultESK_EENS0_5tupleIJSF_SF_EEENSM_IJSG_SG_EEES6_PlJS6_EEE10hipError_tPvRmT3_T4_T5_T6_T7_T9_mT8_P12ihipStream_tbDpT10_ENKUlT_T0_E_clISt17integral_constantIbLb1EES18_IbLb0EEEEDaS14_S15_EUlS14_E_NS1_11comp_targetILNS1_3genE3ELNS1_11target_archE908ELNS1_3gpuE7ELNS1_3repE0EEENS1_30default_config_static_selectorELNS0_4arch9wavefront6targetE1EEEvT1_
                                        ; -- End function
	.section	.AMDGPU.csdata,"",@progbits
; Kernel info:
; codeLenInByte = 0
; NumSgprs: 6
; NumVgprs: 0
; NumAgprs: 0
; TotalNumVgprs: 0
; ScratchSize: 0
; MemoryBound: 0
; FloatMode: 240
; IeeeMode: 1
; LDSByteSize: 0 bytes/workgroup (compile time only)
; SGPRBlocks: 0
; VGPRBlocks: 0
; NumSGPRsForWavesPerEU: 6
; NumVGPRsForWavesPerEU: 1
; AccumOffset: 4
; Occupancy: 8
; WaveLimiterHint : 0
; COMPUTE_PGM_RSRC2:SCRATCH_EN: 0
; COMPUTE_PGM_RSRC2:USER_SGPR: 2
; COMPUTE_PGM_RSRC2:TRAP_HANDLER: 0
; COMPUTE_PGM_RSRC2:TGID_X_EN: 1
; COMPUTE_PGM_RSRC2:TGID_Y_EN: 0
; COMPUTE_PGM_RSRC2:TGID_Z_EN: 0
; COMPUTE_PGM_RSRC2:TIDIG_COMP_CNT: 0
; COMPUTE_PGM_RSRC3_GFX90A:ACCUM_OFFSET: 0
; COMPUTE_PGM_RSRC3_GFX90A:TG_SPLIT: 0
	.section	.text._ZN7rocprim17ROCPRIM_400000_NS6detail17trampoline_kernelINS0_14default_configENS1_25partition_config_selectorILNS1_17partition_subalgoE1EtNS0_10empty_typeEbEEZZNS1_14partition_implILS5_1ELb0ES3_jN6thrust23THRUST_200600_302600_NS6detail15normal_iteratorINSA_10device_ptrItEEEEPS6_NSA_18transform_iteratorI7is_evenItESF_NSA_11use_defaultESK_EENS0_5tupleIJSF_SF_EEENSM_IJSG_SG_EEES6_PlJS6_EEE10hipError_tPvRmT3_T4_T5_T6_T7_T9_mT8_P12ihipStream_tbDpT10_ENKUlT_T0_E_clISt17integral_constantIbLb1EES18_IbLb0EEEEDaS14_S15_EUlS14_E_NS1_11comp_targetILNS1_3genE2ELNS1_11target_archE906ELNS1_3gpuE6ELNS1_3repE0EEENS1_30default_config_static_selectorELNS0_4arch9wavefront6targetE1EEEvT1_,"axG",@progbits,_ZN7rocprim17ROCPRIM_400000_NS6detail17trampoline_kernelINS0_14default_configENS1_25partition_config_selectorILNS1_17partition_subalgoE1EtNS0_10empty_typeEbEEZZNS1_14partition_implILS5_1ELb0ES3_jN6thrust23THRUST_200600_302600_NS6detail15normal_iteratorINSA_10device_ptrItEEEEPS6_NSA_18transform_iteratorI7is_evenItESF_NSA_11use_defaultESK_EENS0_5tupleIJSF_SF_EEENSM_IJSG_SG_EEES6_PlJS6_EEE10hipError_tPvRmT3_T4_T5_T6_T7_T9_mT8_P12ihipStream_tbDpT10_ENKUlT_T0_E_clISt17integral_constantIbLb1EES18_IbLb0EEEEDaS14_S15_EUlS14_E_NS1_11comp_targetILNS1_3genE2ELNS1_11target_archE906ELNS1_3gpuE6ELNS1_3repE0EEENS1_30default_config_static_selectorELNS0_4arch9wavefront6targetE1EEEvT1_,comdat
	.protected	_ZN7rocprim17ROCPRIM_400000_NS6detail17trampoline_kernelINS0_14default_configENS1_25partition_config_selectorILNS1_17partition_subalgoE1EtNS0_10empty_typeEbEEZZNS1_14partition_implILS5_1ELb0ES3_jN6thrust23THRUST_200600_302600_NS6detail15normal_iteratorINSA_10device_ptrItEEEEPS6_NSA_18transform_iteratorI7is_evenItESF_NSA_11use_defaultESK_EENS0_5tupleIJSF_SF_EEENSM_IJSG_SG_EEES6_PlJS6_EEE10hipError_tPvRmT3_T4_T5_T6_T7_T9_mT8_P12ihipStream_tbDpT10_ENKUlT_T0_E_clISt17integral_constantIbLb1EES18_IbLb0EEEEDaS14_S15_EUlS14_E_NS1_11comp_targetILNS1_3genE2ELNS1_11target_archE906ELNS1_3gpuE6ELNS1_3repE0EEENS1_30default_config_static_selectorELNS0_4arch9wavefront6targetE1EEEvT1_ ; -- Begin function _ZN7rocprim17ROCPRIM_400000_NS6detail17trampoline_kernelINS0_14default_configENS1_25partition_config_selectorILNS1_17partition_subalgoE1EtNS0_10empty_typeEbEEZZNS1_14partition_implILS5_1ELb0ES3_jN6thrust23THRUST_200600_302600_NS6detail15normal_iteratorINSA_10device_ptrItEEEEPS6_NSA_18transform_iteratorI7is_evenItESF_NSA_11use_defaultESK_EENS0_5tupleIJSF_SF_EEENSM_IJSG_SG_EEES6_PlJS6_EEE10hipError_tPvRmT3_T4_T5_T6_T7_T9_mT8_P12ihipStream_tbDpT10_ENKUlT_T0_E_clISt17integral_constantIbLb1EES18_IbLb0EEEEDaS14_S15_EUlS14_E_NS1_11comp_targetILNS1_3genE2ELNS1_11target_archE906ELNS1_3gpuE6ELNS1_3repE0EEENS1_30default_config_static_selectorELNS0_4arch9wavefront6targetE1EEEvT1_
	.globl	_ZN7rocprim17ROCPRIM_400000_NS6detail17trampoline_kernelINS0_14default_configENS1_25partition_config_selectorILNS1_17partition_subalgoE1EtNS0_10empty_typeEbEEZZNS1_14partition_implILS5_1ELb0ES3_jN6thrust23THRUST_200600_302600_NS6detail15normal_iteratorINSA_10device_ptrItEEEEPS6_NSA_18transform_iteratorI7is_evenItESF_NSA_11use_defaultESK_EENS0_5tupleIJSF_SF_EEENSM_IJSG_SG_EEES6_PlJS6_EEE10hipError_tPvRmT3_T4_T5_T6_T7_T9_mT8_P12ihipStream_tbDpT10_ENKUlT_T0_E_clISt17integral_constantIbLb1EES18_IbLb0EEEEDaS14_S15_EUlS14_E_NS1_11comp_targetILNS1_3genE2ELNS1_11target_archE906ELNS1_3gpuE6ELNS1_3repE0EEENS1_30default_config_static_selectorELNS0_4arch9wavefront6targetE1EEEvT1_
	.p2align	8
	.type	_ZN7rocprim17ROCPRIM_400000_NS6detail17trampoline_kernelINS0_14default_configENS1_25partition_config_selectorILNS1_17partition_subalgoE1EtNS0_10empty_typeEbEEZZNS1_14partition_implILS5_1ELb0ES3_jN6thrust23THRUST_200600_302600_NS6detail15normal_iteratorINSA_10device_ptrItEEEEPS6_NSA_18transform_iteratorI7is_evenItESF_NSA_11use_defaultESK_EENS0_5tupleIJSF_SF_EEENSM_IJSG_SG_EEES6_PlJS6_EEE10hipError_tPvRmT3_T4_T5_T6_T7_T9_mT8_P12ihipStream_tbDpT10_ENKUlT_T0_E_clISt17integral_constantIbLb1EES18_IbLb0EEEEDaS14_S15_EUlS14_E_NS1_11comp_targetILNS1_3genE2ELNS1_11target_archE906ELNS1_3gpuE6ELNS1_3repE0EEENS1_30default_config_static_selectorELNS0_4arch9wavefront6targetE1EEEvT1_,@function
_ZN7rocprim17ROCPRIM_400000_NS6detail17trampoline_kernelINS0_14default_configENS1_25partition_config_selectorILNS1_17partition_subalgoE1EtNS0_10empty_typeEbEEZZNS1_14partition_implILS5_1ELb0ES3_jN6thrust23THRUST_200600_302600_NS6detail15normal_iteratorINSA_10device_ptrItEEEEPS6_NSA_18transform_iteratorI7is_evenItESF_NSA_11use_defaultESK_EENS0_5tupleIJSF_SF_EEENSM_IJSG_SG_EEES6_PlJS6_EEE10hipError_tPvRmT3_T4_T5_T6_T7_T9_mT8_P12ihipStream_tbDpT10_ENKUlT_T0_E_clISt17integral_constantIbLb1EES18_IbLb0EEEEDaS14_S15_EUlS14_E_NS1_11comp_targetILNS1_3genE2ELNS1_11target_archE906ELNS1_3gpuE6ELNS1_3repE0EEENS1_30default_config_static_selectorELNS0_4arch9wavefront6targetE1EEEvT1_: ; @_ZN7rocprim17ROCPRIM_400000_NS6detail17trampoline_kernelINS0_14default_configENS1_25partition_config_selectorILNS1_17partition_subalgoE1EtNS0_10empty_typeEbEEZZNS1_14partition_implILS5_1ELb0ES3_jN6thrust23THRUST_200600_302600_NS6detail15normal_iteratorINSA_10device_ptrItEEEEPS6_NSA_18transform_iteratorI7is_evenItESF_NSA_11use_defaultESK_EENS0_5tupleIJSF_SF_EEENSM_IJSG_SG_EEES6_PlJS6_EEE10hipError_tPvRmT3_T4_T5_T6_T7_T9_mT8_P12ihipStream_tbDpT10_ENKUlT_T0_E_clISt17integral_constantIbLb1EES18_IbLb0EEEEDaS14_S15_EUlS14_E_NS1_11comp_targetILNS1_3genE2ELNS1_11target_archE906ELNS1_3gpuE6ELNS1_3repE0EEENS1_30default_config_static_selectorELNS0_4arch9wavefront6targetE1EEEvT1_
; %bb.0:
	.section	.rodata,"a",@progbits
	.p2align	6, 0x0
	.amdhsa_kernel _ZN7rocprim17ROCPRIM_400000_NS6detail17trampoline_kernelINS0_14default_configENS1_25partition_config_selectorILNS1_17partition_subalgoE1EtNS0_10empty_typeEbEEZZNS1_14partition_implILS5_1ELb0ES3_jN6thrust23THRUST_200600_302600_NS6detail15normal_iteratorINSA_10device_ptrItEEEEPS6_NSA_18transform_iteratorI7is_evenItESF_NSA_11use_defaultESK_EENS0_5tupleIJSF_SF_EEENSM_IJSG_SG_EEES6_PlJS6_EEE10hipError_tPvRmT3_T4_T5_T6_T7_T9_mT8_P12ihipStream_tbDpT10_ENKUlT_T0_E_clISt17integral_constantIbLb1EES18_IbLb0EEEEDaS14_S15_EUlS14_E_NS1_11comp_targetILNS1_3genE2ELNS1_11target_archE906ELNS1_3gpuE6ELNS1_3repE0EEENS1_30default_config_static_selectorELNS0_4arch9wavefront6targetE1EEEvT1_
		.amdhsa_group_segment_fixed_size 0
		.amdhsa_private_segment_fixed_size 0
		.amdhsa_kernarg_size 128
		.amdhsa_user_sgpr_count 2
		.amdhsa_user_sgpr_dispatch_ptr 0
		.amdhsa_user_sgpr_queue_ptr 0
		.amdhsa_user_sgpr_kernarg_segment_ptr 1
		.amdhsa_user_sgpr_dispatch_id 0
		.amdhsa_user_sgpr_kernarg_preload_length 0
		.amdhsa_user_sgpr_kernarg_preload_offset 0
		.amdhsa_user_sgpr_private_segment_size 0
		.amdhsa_uses_dynamic_stack 0
		.amdhsa_enable_private_segment 0
		.amdhsa_system_sgpr_workgroup_id_x 1
		.amdhsa_system_sgpr_workgroup_id_y 0
		.amdhsa_system_sgpr_workgroup_id_z 0
		.amdhsa_system_sgpr_workgroup_info 0
		.amdhsa_system_vgpr_workitem_id 0
		.amdhsa_next_free_vgpr 1
		.amdhsa_next_free_sgpr 0
		.amdhsa_accum_offset 4
		.amdhsa_reserve_vcc 0
		.amdhsa_float_round_mode_32 0
		.amdhsa_float_round_mode_16_64 0
		.amdhsa_float_denorm_mode_32 3
		.amdhsa_float_denorm_mode_16_64 3
		.amdhsa_dx10_clamp 1
		.amdhsa_ieee_mode 1
		.amdhsa_fp16_overflow 0
		.amdhsa_tg_split 0
		.amdhsa_exception_fp_ieee_invalid_op 0
		.amdhsa_exception_fp_denorm_src 0
		.amdhsa_exception_fp_ieee_div_zero 0
		.amdhsa_exception_fp_ieee_overflow 0
		.amdhsa_exception_fp_ieee_underflow 0
		.amdhsa_exception_fp_ieee_inexact 0
		.amdhsa_exception_int_div_zero 0
	.end_amdhsa_kernel
	.section	.text._ZN7rocprim17ROCPRIM_400000_NS6detail17trampoline_kernelINS0_14default_configENS1_25partition_config_selectorILNS1_17partition_subalgoE1EtNS0_10empty_typeEbEEZZNS1_14partition_implILS5_1ELb0ES3_jN6thrust23THRUST_200600_302600_NS6detail15normal_iteratorINSA_10device_ptrItEEEEPS6_NSA_18transform_iteratorI7is_evenItESF_NSA_11use_defaultESK_EENS0_5tupleIJSF_SF_EEENSM_IJSG_SG_EEES6_PlJS6_EEE10hipError_tPvRmT3_T4_T5_T6_T7_T9_mT8_P12ihipStream_tbDpT10_ENKUlT_T0_E_clISt17integral_constantIbLb1EES18_IbLb0EEEEDaS14_S15_EUlS14_E_NS1_11comp_targetILNS1_3genE2ELNS1_11target_archE906ELNS1_3gpuE6ELNS1_3repE0EEENS1_30default_config_static_selectorELNS0_4arch9wavefront6targetE1EEEvT1_,"axG",@progbits,_ZN7rocprim17ROCPRIM_400000_NS6detail17trampoline_kernelINS0_14default_configENS1_25partition_config_selectorILNS1_17partition_subalgoE1EtNS0_10empty_typeEbEEZZNS1_14partition_implILS5_1ELb0ES3_jN6thrust23THRUST_200600_302600_NS6detail15normal_iteratorINSA_10device_ptrItEEEEPS6_NSA_18transform_iteratorI7is_evenItESF_NSA_11use_defaultESK_EENS0_5tupleIJSF_SF_EEENSM_IJSG_SG_EEES6_PlJS6_EEE10hipError_tPvRmT3_T4_T5_T6_T7_T9_mT8_P12ihipStream_tbDpT10_ENKUlT_T0_E_clISt17integral_constantIbLb1EES18_IbLb0EEEEDaS14_S15_EUlS14_E_NS1_11comp_targetILNS1_3genE2ELNS1_11target_archE906ELNS1_3gpuE6ELNS1_3repE0EEENS1_30default_config_static_selectorELNS0_4arch9wavefront6targetE1EEEvT1_,comdat
.Lfunc_end2287:
	.size	_ZN7rocprim17ROCPRIM_400000_NS6detail17trampoline_kernelINS0_14default_configENS1_25partition_config_selectorILNS1_17partition_subalgoE1EtNS0_10empty_typeEbEEZZNS1_14partition_implILS5_1ELb0ES3_jN6thrust23THRUST_200600_302600_NS6detail15normal_iteratorINSA_10device_ptrItEEEEPS6_NSA_18transform_iteratorI7is_evenItESF_NSA_11use_defaultESK_EENS0_5tupleIJSF_SF_EEENSM_IJSG_SG_EEES6_PlJS6_EEE10hipError_tPvRmT3_T4_T5_T6_T7_T9_mT8_P12ihipStream_tbDpT10_ENKUlT_T0_E_clISt17integral_constantIbLb1EES18_IbLb0EEEEDaS14_S15_EUlS14_E_NS1_11comp_targetILNS1_3genE2ELNS1_11target_archE906ELNS1_3gpuE6ELNS1_3repE0EEENS1_30default_config_static_selectorELNS0_4arch9wavefront6targetE1EEEvT1_, .Lfunc_end2287-_ZN7rocprim17ROCPRIM_400000_NS6detail17trampoline_kernelINS0_14default_configENS1_25partition_config_selectorILNS1_17partition_subalgoE1EtNS0_10empty_typeEbEEZZNS1_14partition_implILS5_1ELb0ES3_jN6thrust23THRUST_200600_302600_NS6detail15normal_iteratorINSA_10device_ptrItEEEEPS6_NSA_18transform_iteratorI7is_evenItESF_NSA_11use_defaultESK_EENS0_5tupleIJSF_SF_EEENSM_IJSG_SG_EEES6_PlJS6_EEE10hipError_tPvRmT3_T4_T5_T6_T7_T9_mT8_P12ihipStream_tbDpT10_ENKUlT_T0_E_clISt17integral_constantIbLb1EES18_IbLb0EEEEDaS14_S15_EUlS14_E_NS1_11comp_targetILNS1_3genE2ELNS1_11target_archE906ELNS1_3gpuE6ELNS1_3repE0EEENS1_30default_config_static_selectorELNS0_4arch9wavefront6targetE1EEEvT1_
                                        ; -- End function
	.section	.AMDGPU.csdata,"",@progbits
; Kernel info:
; codeLenInByte = 0
; NumSgprs: 6
; NumVgprs: 0
; NumAgprs: 0
; TotalNumVgprs: 0
; ScratchSize: 0
; MemoryBound: 0
; FloatMode: 240
; IeeeMode: 1
; LDSByteSize: 0 bytes/workgroup (compile time only)
; SGPRBlocks: 0
; VGPRBlocks: 0
; NumSGPRsForWavesPerEU: 6
; NumVGPRsForWavesPerEU: 1
; AccumOffset: 4
; Occupancy: 8
; WaveLimiterHint : 0
; COMPUTE_PGM_RSRC2:SCRATCH_EN: 0
; COMPUTE_PGM_RSRC2:USER_SGPR: 2
; COMPUTE_PGM_RSRC2:TRAP_HANDLER: 0
; COMPUTE_PGM_RSRC2:TGID_X_EN: 1
; COMPUTE_PGM_RSRC2:TGID_Y_EN: 0
; COMPUTE_PGM_RSRC2:TGID_Z_EN: 0
; COMPUTE_PGM_RSRC2:TIDIG_COMP_CNT: 0
; COMPUTE_PGM_RSRC3_GFX90A:ACCUM_OFFSET: 0
; COMPUTE_PGM_RSRC3_GFX90A:TG_SPLIT: 0
	.section	.text._ZN7rocprim17ROCPRIM_400000_NS6detail17trampoline_kernelINS0_14default_configENS1_25partition_config_selectorILNS1_17partition_subalgoE1EtNS0_10empty_typeEbEEZZNS1_14partition_implILS5_1ELb0ES3_jN6thrust23THRUST_200600_302600_NS6detail15normal_iteratorINSA_10device_ptrItEEEEPS6_NSA_18transform_iteratorI7is_evenItESF_NSA_11use_defaultESK_EENS0_5tupleIJSF_SF_EEENSM_IJSG_SG_EEES6_PlJS6_EEE10hipError_tPvRmT3_T4_T5_T6_T7_T9_mT8_P12ihipStream_tbDpT10_ENKUlT_T0_E_clISt17integral_constantIbLb1EES18_IbLb0EEEEDaS14_S15_EUlS14_E_NS1_11comp_targetILNS1_3genE10ELNS1_11target_archE1200ELNS1_3gpuE4ELNS1_3repE0EEENS1_30default_config_static_selectorELNS0_4arch9wavefront6targetE1EEEvT1_,"axG",@progbits,_ZN7rocprim17ROCPRIM_400000_NS6detail17trampoline_kernelINS0_14default_configENS1_25partition_config_selectorILNS1_17partition_subalgoE1EtNS0_10empty_typeEbEEZZNS1_14partition_implILS5_1ELb0ES3_jN6thrust23THRUST_200600_302600_NS6detail15normal_iteratorINSA_10device_ptrItEEEEPS6_NSA_18transform_iteratorI7is_evenItESF_NSA_11use_defaultESK_EENS0_5tupleIJSF_SF_EEENSM_IJSG_SG_EEES6_PlJS6_EEE10hipError_tPvRmT3_T4_T5_T6_T7_T9_mT8_P12ihipStream_tbDpT10_ENKUlT_T0_E_clISt17integral_constantIbLb1EES18_IbLb0EEEEDaS14_S15_EUlS14_E_NS1_11comp_targetILNS1_3genE10ELNS1_11target_archE1200ELNS1_3gpuE4ELNS1_3repE0EEENS1_30default_config_static_selectorELNS0_4arch9wavefront6targetE1EEEvT1_,comdat
	.protected	_ZN7rocprim17ROCPRIM_400000_NS6detail17trampoline_kernelINS0_14default_configENS1_25partition_config_selectorILNS1_17partition_subalgoE1EtNS0_10empty_typeEbEEZZNS1_14partition_implILS5_1ELb0ES3_jN6thrust23THRUST_200600_302600_NS6detail15normal_iteratorINSA_10device_ptrItEEEEPS6_NSA_18transform_iteratorI7is_evenItESF_NSA_11use_defaultESK_EENS0_5tupleIJSF_SF_EEENSM_IJSG_SG_EEES6_PlJS6_EEE10hipError_tPvRmT3_T4_T5_T6_T7_T9_mT8_P12ihipStream_tbDpT10_ENKUlT_T0_E_clISt17integral_constantIbLb1EES18_IbLb0EEEEDaS14_S15_EUlS14_E_NS1_11comp_targetILNS1_3genE10ELNS1_11target_archE1200ELNS1_3gpuE4ELNS1_3repE0EEENS1_30default_config_static_selectorELNS0_4arch9wavefront6targetE1EEEvT1_ ; -- Begin function _ZN7rocprim17ROCPRIM_400000_NS6detail17trampoline_kernelINS0_14default_configENS1_25partition_config_selectorILNS1_17partition_subalgoE1EtNS0_10empty_typeEbEEZZNS1_14partition_implILS5_1ELb0ES3_jN6thrust23THRUST_200600_302600_NS6detail15normal_iteratorINSA_10device_ptrItEEEEPS6_NSA_18transform_iteratorI7is_evenItESF_NSA_11use_defaultESK_EENS0_5tupleIJSF_SF_EEENSM_IJSG_SG_EEES6_PlJS6_EEE10hipError_tPvRmT3_T4_T5_T6_T7_T9_mT8_P12ihipStream_tbDpT10_ENKUlT_T0_E_clISt17integral_constantIbLb1EES18_IbLb0EEEEDaS14_S15_EUlS14_E_NS1_11comp_targetILNS1_3genE10ELNS1_11target_archE1200ELNS1_3gpuE4ELNS1_3repE0EEENS1_30default_config_static_selectorELNS0_4arch9wavefront6targetE1EEEvT1_
	.globl	_ZN7rocprim17ROCPRIM_400000_NS6detail17trampoline_kernelINS0_14default_configENS1_25partition_config_selectorILNS1_17partition_subalgoE1EtNS0_10empty_typeEbEEZZNS1_14partition_implILS5_1ELb0ES3_jN6thrust23THRUST_200600_302600_NS6detail15normal_iteratorINSA_10device_ptrItEEEEPS6_NSA_18transform_iteratorI7is_evenItESF_NSA_11use_defaultESK_EENS0_5tupleIJSF_SF_EEENSM_IJSG_SG_EEES6_PlJS6_EEE10hipError_tPvRmT3_T4_T5_T6_T7_T9_mT8_P12ihipStream_tbDpT10_ENKUlT_T0_E_clISt17integral_constantIbLb1EES18_IbLb0EEEEDaS14_S15_EUlS14_E_NS1_11comp_targetILNS1_3genE10ELNS1_11target_archE1200ELNS1_3gpuE4ELNS1_3repE0EEENS1_30default_config_static_selectorELNS0_4arch9wavefront6targetE1EEEvT1_
	.p2align	8
	.type	_ZN7rocprim17ROCPRIM_400000_NS6detail17trampoline_kernelINS0_14default_configENS1_25partition_config_selectorILNS1_17partition_subalgoE1EtNS0_10empty_typeEbEEZZNS1_14partition_implILS5_1ELb0ES3_jN6thrust23THRUST_200600_302600_NS6detail15normal_iteratorINSA_10device_ptrItEEEEPS6_NSA_18transform_iteratorI7is_evenItESF_NSA_11use_defaultESK_EENS0_5tupleIJSF_SF_EEENSM_IJSG_SG_EEES6_PlJS6_EEE10hipError_tPvRmT3_T4_T5_T6_T7_T9_mT8_P12ihipStream_tbDpT10_ENKUlT_T0_E_clISt17integral_constantIbLb1EES18_IbLb0EEEEDaS14_S15_EUlS14_E_NS1_11comp_targetILNS1_3genE10ELNS1_11target_archE1200ELNS1_3gpuE4ELNS1_3repE0EEENS1_30default_config_static_selectorELNS0_4arch9wavefront6targetE1EEEvT1_,@function
_ZN7rocprim17ROCPRIM_400000_NS6detail17trampoline_kernelINS0_14default_configENS1_25partition_config_selectorILNS1_17partition_subalgoE1EtNS0_10empty_typeEbEEZZNS1_14partition_implILS5_1ELb0ES3_jN6thrust23THRUST_200600_302600_NS6detail15normal_iteratorINSA_10device_ptrItEEEEPS6_NSA_18transform_iteratorI7is_evenItESF_NSA_11use_defaultESK_EENS0_5tupleIJSF_SF_EEENSM_IJSG_SG_EEES6_PlJS6_EEE10hipError_tPvRmT3_T4_T5_T6_T7_T9_mT8_P12ihipStream_tbDpT10_ENKUlT_T0_E_clISt17integral_constantIbLb1EES18_IbLb0EEEEDaS14_S15_EUlS14_E_NS1_11comp_targetILNS1_3genE10ELNS1_11target_archE1200ELNS1_3gpuE4ELNS1_3repE0EEENS1_30default_config_static_selectorELNS0_4arch9wavefront6targetE1EEEvT1_: ; @_ZN7rocprim17ROCPRIM_400000_NS6detail17trampoline_kernelINS0_14default_configENS1_25partition_config_selectorILNS1_17partition_subalgoE1EtNS0_10empty_typeEbEEZZNS1_14partition_implILS5_1ELb0ES3_jN6thrust23THRUST_200600_302600_NS6detail15normal_iteratorINSA_10device_ptrItEEEEPS6_NSA_18transform_iteratorI7is_evenItESF_NSA_11use_defaultESK_EENS0_5tupleIJSF_SF_EEENSM_IJSG_SG_EEES6_PlJS6_EEE10hipError_tPvRmT3_T4_T5_T6_T7_T9_mT8_P12ihipStream_tbDpT10_ENKUlT_T0_E_clISt17integral_constantIbLb1EES18_IbLb0EEEEDaS14_S15_EUlS14_E_NS1_11comp_targetILNS1_3genE10ELNS1_11target_archE1200ELNS1_3gpuE4ELNS1_3repE0EEENS1_30default_config_static_selectorELNS0_4arch9wavefront6targetE1EEEvT1_
; %bb.0:
	.section	.rodata,"a",@progbits
	.p2align	6, 0x0
	.amdhsa_kernel _ZN7rocprim17ROCPRIM_400000_NS6detail17trampoline_kernelINS0_14default_configENS1_25partition_config_selectorILNS1_17partition_subalgoE1EtNS0_10empty_typeEbEEZZNS1_14partition_implILS5_1ELb0ES3_jN6thrust23THRUST_200600_302600_NS6detail15normal_iteratorINSA_10device_ptrItEEEEPS6_NSA_18transform_iteratorI7is_evenItESF_NSA_11use_defaultESK_EENS0_5tupleIJSF_SF_EEENSM_IJSG_SG_EEES6_PlJS6_EEE10hipError_tPvRmT3_T4_T5_T6_T7_T9_mT8_P12ihipStream_tbDpT10_ENKUlT_T0_E_clISt17integral_constantIbLb1EES18_IbLb0EEEEDaS14_S15_EUlS14_E_NS1_11comp_targetILNS1_3genE10ELNS1_11target_archE1200ELNS1_3gpuE4ELNS1_3repE0EEENS1_30default_config_static_selectorELNS0_4arch9wavefront6targetE1EEEvT1_
		.amdhsa_group_segment_fixed_size 0
		.amdhsa_private_segment_fixed_size 0
		.amdhsa_kernarg_size 128
		.amdhsa_user_sgpr_count 2
		.amdhsa_user_sgpr_dispatch_ptr 0
		.amdhsa_user_sgpr_queue_ptr 0
		.amdhsa_user_sgpr_kernarg_segment_ptr 1
		.amdhsa_user_sgpr_dispatch_id 0
		.amdhsa_user_sgpr_kernarg_preload_length 0
		.amdhsa_user_sgpr_kernarg_preload_offset 0
		.amdhsa_user_sgpr_private_segment_size 0
		.amdhsa_uses_dynamic_stack 0
		.amdhsa_enable_private_segment 0
		.amdhsa_system_sgpr_workgroup_id_x 1
		.amdhsa_system_sgpr_workgroup_id_y 0
		.amdhsa_system_sgpr_workgroup_id_z 0
		.amdhsa_system_sgpr_workgroup_info 0
		.amdhsa_system_vgpr_workitem_id 0
		.amdhsa_next_free_vgpr 1
		.amdhsa_next_free_sgpr 0
		.amdhsa_accum_offset 4
		.amdhsa_reserve_vcc 0
		.amdhsa_float_round_mode_32 0
		.amdhsa_float_round_mode_16_64 0
		.amdhsa_float_denorm_mode_32 3
		.amdhsa_float_denorm_mode_16_64 3
		.amdhsa_dx10_clamp 1
		.amdhsa_ieee_mode 1
		.amdhsa_fp16_overflow 0
		.amdhsa_tg_split 0
		.amdhsa_exception_fp_ieee_invalid_op 0
		.amdhsa_exception_fp_denorm_src 0
		.amdhsa_exception_fp_ieee_div_zero 0
		.amdhsa_exception_fp_ieee_overflow 0
		.amdhsa_exception_fp_ieee_underflow 0
		.amdhsa_exception_fp_ieee_inexact 0
		.amdhsa_exception_int_div_zero 0
	.end_amdhsa_kernel
	.section	.text._ZN7rocprim17ROCPRIM_400000_NS6detail17trampoline_kernelINS0_14default_configENS1_25partition_config_selectorILNS1_17partition_subalgoE1EtNS0_10empty_typeEbEEZZNS1_14partition_implILS5_1ELb0ES3_jN6thrust23THRUST_200600_302600_NS6detail15normal_iteratorINSA_10device_ptrItEEEEPS6_NSA_18transform_iteratorI7is_evenItESF_NSA_11use_defaultESK_EENS0_5tupleIJSF_SF_EEENSM_IJSG_SG_EEES6_PlJS6_EEE10hipError_tPvRmT3_T4_T5_T6_T7_T9_mT8_P12ihipStream_tbDpT10_ENKUlT_T0_E_clISt17integral_constantIbLb1EES18_IbLb0EEEEDaS14_S15_EUlS14_E_NS1_11comp_targetILNS1_3genE10ELNS1_11target_archE1200ELNS1_3gpuE4ELNS1_3repE0EEENS1_30default_config_static_selectorELNS0_4arch9wavefront6targetE1EEEvT1_,"axG",@progbits,_ZN7rocprim17ROCPRIM_400000_NS6detail17trampoline_kernelINS0_14default_configENS1_25partition_config_selectorILNS1_17partition_subalgoE1EtNS0_10empty_typeEbEEZZNS1_14partition_implILS5_1ELb0ES3_jN6thrust23THRUST_200600_302600_NS6detail15normal_iteratorINSA_10device_ptrItEEEEPS6_NSA_18transform_iteratorI7is_evenItESF_NSA_11use_defaultESK_EENS0_5tupleIJSF_SF_EEENSM_IJSG_SG_EEES6_PlJS6_EEE10hipError_tPvRmT3_T4_T5_T6_T7_T9_mT8_P12ihipStream_tbDpT10_ENKUlT_T0_E_clISt17integral_constantIbLb1EES18_IbLb0EEEEDaS14_S15_EUlS14_E_NS1_11comp_targetILNS1_3genE10ELNS1_11target_archE1200ELNS1_3gpuE4ELNS1_3repE0EEENS1_30default_config_static_selectorELNS0_4arch9wavefront6targetE1EEEvT1_,comdat
.Lfunc_end2288:
	.size	_ZN7rocprim17ROCPRIM_400000_NS6detail17trampoline_kernelINS0_14default_configENS1_25partition_config_selectorILNS1_17partition_subalgoE1EtNS0_10empty_typeEbEEZZNS1_14partition_implILS5_1ELb0ES3_jN6thrust23THRUST_200600_302600_NS6detail15normal_iteratorINSA_10device_ptrItEEEEPS6_NSA_18transform_iteratorI7is_evenItESF_NSA_11use_defaultESK_EENS0_5tupleIJSF_SF_EEENSM_IJSG_SG_EEES6_PlJS6_EEE10hipError_tPvRmT3_T4_T5_T6_T7_T9_mT8_P12ihipStream_tbDpT10_ENKUlT_T0_E_clISt17integral_constantIbLb1EES18_IbLb0EEEEDaS14_S15_EUlS14_E_NS1_11comp_targetILNS1_3genE10ELNS1_11target_archE1200ELNS1_3gpuE4ELNS1_3repE0EEENS1_30default_config_static_selectorELNS0_4arch9wavefront6targetE1EEEvT1_, .Lfunc_end2288-_ZN7rocprim17ROCPRIM_400000_NS6detail17trampoline_kernelINS0_14default_configENS1_25partition_config_selectorILNS1_17partition_subalgoE1EtNS0_10empty_typeEbEEZZNS1_14partition_implILS5_1ELb0ES3_jN6thrust23THRUST_200600_302600_NS6detail15normal_iteratorINSA_10device_ptrItEEEEPS6_NSA_18transform_iteratorI7is_evenItESF_NSA_11use_defaultESK_EENS0_5tupleIJSF_SF_EEENSM_IJSG_SG_EEES6_PlJS6_EEE10hipError_tPvRmT3_T4_T5_T6_T7_T9_mT8_P12ihipStream_tbDpT10_ENKUlT_T0_E_clISt17integral_constantIbLb1EES18_IbLb0EEEEDaS14_S15_EUlS14_E_NS1_11comp_targetILNS1_3genE10ELNS1_11target_archE1200ELNS1_3gpuE4ELNS1_3repE0EEENS1_30default_config_static_selectorELNS0_4arch9wavefront6targetE1EEEvT1_
                                        ; -- End function
	.section	.AMDGPU.csdata,"",@progbits
; Kernel info:
; codeLenInByte = 0
; NumSgprs: 6
; NumVgprs: 0
; NumAgprs: 0
; TotalNumVgprs: 0
; ScratchSize: 0
; MemoryBound: 0
; FloatMode: 240
; IeeeMode: 1
; LDSByteSize: 0 bytes/workgroup (compile time only)
; SGPRBlocks: 0
; VGPRBlocks: 0
; NumSGPRsForWavesPerEU: 6
; NumVGPRsForWavesPerEU: 1
; AccumOffset: 4
; Occupancy: 8
; WaveLimiterHint : 0
; COMPUTE_PGM_RSRC2:SCRATCH_EN: 0
; COMPUTE_PGM_RSRC2:USER_SGPR: 2
; COMPUTE_PGM_RSRC2:TRAP_HANDLER: 0
; COMPUTE_PGM_RSRC2:TGID_X_EN: 1
; COMPUTE_PGM_RSRC2:TGID_Y_EN: 0
; COMPUTE_PGM_RSRC2:TGID_Z_EN: 0
; COMPUTE_PGM_RSRC2:TIDIG_COMP_CNT: 0
; COMPUTE_PGM_RSRC3_GFX90A:ACCUM_OFFSET: 0
; COMPUTE_PGM_RSRC3_GFX90A:TG_SPLIT: 0
	.section	.text._ZN7rocprim17ROCPRIM_400000_NS6detail17trampoline_kernelINS0_14default_configENS1_25partition_config_selectorILNS1_17partition_subalgoE1EtNS0_10empty_typeEbEEZZNS1_14partition_implILS5_1ELb0ES3_jN6thrust23THRUST_200600_302600_NS6detail15normal_iteratorINSA_10device_ptrItEEEEPS6_NSA_18transform_iteratorI7is_evenItESF_NSA_11use_defaultESK_EENS0_5tupleIJSF_SF_EEENSM_IJSG_SG_EEES6_PlJS6_EEE10hipError_tPvRmT3_T4_T5_T6_T7_T9_mT8_P12ihipStream_tbDpT10_ENKUlT_T0_E_clISt17integral_constantIbLb1EES18_IbLb0EEEEDaS14_S15_EUlS14_E_NS1_11comp_targetILNS1_3genE9ELNS1_11target_archE1100ELNS1_3gpuE3ELNS1_3repE0EEENS1_30default_config_static_selectorELNS0_4arch9wavefront6targetE1EEEvT1_,"axG",@progbits,_ZN7rocprim17ROCPRIM_400000_NS6detail17trampoline_kernelINS0_14default_configENS1_25partition_config_selectorILNS1_17partition_subalgoE1EtNS0_10empty_typeEbEEZZNS1_14partition_implILS5_1ELb0ES3_jN6thrust23THRUST_200600_302600_NS6detail15normal_iteratorINSA_10device_ptrItEEEEPS6_NSA_18transform_iteratorI7is_evenItESF_NSA_11use_defaultESK_EENS0_5tupleIJSF_SF_EEENSM_IJSG_SG_EEES6_PlJS6_EEE10hipError_tPvRmT3_T4_T5_T6_T7_T9_mT8_P12ihipStream_tbDpT10_ENKUlT_T0_E_clISt17integral_constantIbLb1EES18_IbLb0EEEEDaS14_S15_EUlS14_E_NS1_11comp_targetILNS1_3genE9ELNS1_11target_archE1100ELNS1_3gpuE3ELNS1_3repE0EEENS1_30default_config_static_selectorELNS0_4arch9wavefront6targetE1EEEvT1_,comdat
	.protected	_ZN7rocprim17ROCPRIM_400000_NS6detail17trampoline_kernelINS0_14default_configENS1_25partition_config_selectorILNS1_17partition_subalgoE1EtNS0_10empty_typeEbEEZZNS1_14partition_implILS5_1ELb0ES3_jN6thrust23THRUST_200600_302600_NS6detail15normal_iteratorINSA_10device_ptrItEEEEPS6_NSA_18transform_iteratorI7is_evenItESF_NSA_11use_defaultESK_EENS0_5tupleIJSF_SF_EEENSM_IJSG_SG_EEES6_PlJS6_EEE10hipError_tPvRmT3_T4_T5_T6_T7_T9_mT8_P12ihipStream_tbDpT10_ENKUlT_T0_E_clISt17integral_constantIbLb1EES18_IbLb0EEEEDaS14_S15_EUlS14_E_NS1_11comp_targetILNS1_3genE9ELNS1_11target_archE1100ELNS1_3gpuE3ELNS1_3repE0EEENS1_30default_config_static_selectorELNS0_4arch9wavefront6targetE1EEEvT1_ ; -- Begin function _ZN7rocprim17ROCPRIM_400000_NS6detail17trampoline_kernelINS0_14default_configENS1_25partition_config_selectorILNS1_17partition_subalgoE1EtNS0_10empty_typeEbEEZZNS1_14partition_implILS5_1ELb0ES3_jN6thrust23THRUST_200600_302600_NS6detail15normal_iteratorINSA_10device_ptrItEEEEPS6_NSA_18transform_iteratorI7is_evenItESF_NSA_11use_defaultESK_EENS0_5tupleIJSF_SF_EEENSM_IJSG_SG_EEES6_PlJS6_EEE10hipError_tPvRmT3_T4_T5_T6_T7_T9_mT8_P12ihipStream_tbDpT10_ENKUlT_T0_E_clISt17integral_constantIbLb1EES18_IbLb0EEEEDaS14_S15_EUlS14_E_NS1_11comp_targetILNS1_3genE9ELNS1_11target_archE1100ELNS1_3gpuE3ELNS1_3repE0EEENS1_30default_config_static_selectorELNS0_4arch9wavefront6targetE1EEEvT1_
	.globl	_ZN7rocprim17ROCPRIM_400000_NS6detail17trampoline_kernelINS0_14default_configENS1_25partition_config_selectorILNS1_17partition_subalgoE1EtNS0_10empty_typeEbEEZZNS1_14partition_implILS5_1ELb0ES3_jN6thrust23THRUST_200600_302600_NS6detail15normal_iteratorINSA_10device_ptrItEEEEPS6_NSA_18transform_iteratorI7is_evenItESF_NSA_11use_defaultESK_EENS0_5tupleIJSF_SF_EEENSM_IJSG_SG_EEES6_PlJS6_EEE10hipError_tPvRmT3_T4_T5_T6_T7_T9_mT8_P12ihipStream_tbDpT10_ENKUlT_T0_E_clISt17integral_constantIbLb1EES18_IbLb0EEEEDaS14_S15_EUlS14_E_NS1_11comp_targetILNS1_3genE9ELNS1_11target_archE1100ELNS1_3gpuE3ELNS1_3repE0EEENS1_30default_config_static_selectorELNS0_4arch9wavefront6targetE1EEEvT1_
	.p2align	8
	.type	_ZN7rocprim17ROCPRIM_400000_NS6detail17trampoline_kernelINS0_14default_configENS1_25partition_config_selectorILNS1_17partition_subalgoE1EtNS0_10empty_typeEbEEZZNS1_14partition_implILS5_1ELb0ES3_jN6thrust23THRUST_200600_302600_NS6detail15normal_iteratorINSA_10device_ptrItEEEEPS6_NSA_18transform_iteratorI7is_evenItESF_NSA_11use_defaultESK_EENS0_5tupleIJSF_SF_EEENSM_IJSG_SG_EEES6_PlJS6_EEE10hipError_tPvRmT3_T4_T5_T6_T7_T9_mT8_P12ihipStream_tbDpT10_ENKUlT_T0_E_clISt17integral_constantIbLb1EES18_IbLb0EEEEDaS14_S15_EUlS14_E_NS1_11comp_targetILNS1_3genE9ELNS1_11target_archE1100ELNS1_3gpuE3ELNS1_3repE0EEENS1_30default_config_static_selectorELNS0_4arch9wavefront6targetE1EEEvT1_,@function
_ZN7rocprim17ROCPRIM_400000_NS6detail17trampoline_kernelINS0_14default_configENS1_25partition_config_selectorILNS1_17partition_subalgoE1EtNS0_10empty_typeEbEEZZNS1_14partition_implILS5_1ELb0ES3_jN6thrust23THRUST_200600_302600_NS6detail15normal_iteratorINSA_10device_ptrItEEEEPS6_NSA_18transform_iteratorI7is_evenItESF_NSA_11use_defaultESK_EENS0_5tupleIJSF_SF_EEENSM_IJSG_SG_EEES6_PlJS6_EEE10hipError_tPvRmT3_T4_T5_T6_T7_T9_mT8_P12ihipStream_tbDpT10_ENKUlT_T0_E_clISt17integral_constantIbLb1EES18_IbLb0EEEEDaS14_S15_EUlS14_E_NS1_11comp_targetILNS1_3genE9ELNS1_11target_archE1100ELNS1_3gpuE3ELNS1_3repE0EEENS1_30default_config_static_selectorELNS0_4arch9wavefront6targetE1EEEvT1_: ; @_ZN7rocprim17ROCPRIM_400000_NS6detail17trampoline_kernelINS0_14default_configENS1_25partition_config_selectorILNS1_17partition_subalgoE1EtNS0_10empty_typeEbEEZZNS1_14partition_implILS5_1ELb0ES3_jN6thrust23THRUST_200600_302600_NS6detail15normal_iteratorINSA_10device_ptrItEEEEPS6_NSA_18transform_iteratorI7is_evenItESF_NSA_11use_defaultESK_EENS0_5tupleIJSF_SF_EEENSM_IJSG_SG_EEES6_PlJS6_EEE10hipError_tPvRmT3_T4_T5_T6_T7_T9_mT8_P12ihipStream_tbDpT10_ENKUlT_T0_E_clISt17integral_constantIbLb1EES18_IbLb0EEEEDaS14_S15_EUlS14_E_NS1_11comp_targetILNS1_3genE9ELNS1_11target_archE1100ELNS1_3gpuE3ELNS1_3repE0EEENS1_30default_config_static_selectorELNS0_4arch9wavefront6targetE1EEEvT1_
; %bb.0:
	.section	.rodata,"a",@progbits
	.p2align	6, 0x0
	.amdhsa_kernel _ZN7rocprim17ROCPRIM_400000_NS6detail17trampoline_kernelINS0_14default_configENS1_25partition_config_selectorILNS1_17partition_subalgoE1EtNS0_10empty_typeEbEEZZNS1_14partition_implILS5_1ELb0ES3_jN6thrust23THRUST_200600_302600_NS6detail15normal_iteratorINSA_10device_ptrItEEEEPS6_NSA_18transform_iteratorI7is_evenItESF_NSA_11use_defaultESK_EENS0_5tupleIJSF_SF_EEENSM_IJSG_SG_EEES6_PlJS6_EEE10hipError_tPvRmT3_T4_T5_T6_T7_T9_mT8_P12ihipStream_tbDpT10_ENKUlT_T0_E_clISt17integral_constantIbLb1EES18_IbLb0EEEEDaS14_S15_EUlS14_E_NS1_11comp_targetILNS1_3genE9ELNS1_11target_archE1100ELNS1_3gpuE3ELNS1_3repE0EEENS1_30default_config_static_selectorELNS0_4arch9wavefront6targetE1EEEvT1_
		.amdhsa_group_segment_fixed_size 0
		.amdhsa_private_segment_fixed_size 0
		.amdhsa_kernarg_size 128
		.amdhsa_user_sgpr_count 2
		.amdhsa_user_sgpr_dispatch_ptr 0
		.amdhsa_user_sgpr_queue_ptr 0
		.amdhsa_user_sgpr_kernarg_segment_ptr 1
		.amdhsa_user_sgpr_dispatch_id 0
		.amdhsa_user_sgpr_kernarg_preload_length 0
		.amdhsa_user_sgpr_kernarg_preload_offset 0
		.amdhsa_user_sgpr_private_segment_size 0
		.amdhsa_uses_dynamic_stack 0
		.amdhsa_enable_private_segment 0
		.amdhsa_system_sgpr_workgroup_id_x 1
		.amdhsa_system_sgpr_workgroup_id_y 0
		.amdhsa_system_sgpr_workgroup_id_z 0
		.amdhsa_system_sgpr_workgroup_info 0
		.amdhsa_system_vgpr_workitem_id 0
		.amdhsa_next_free_vgpr 1
		.amdhsa_next_free_sgpr 0
		.amdhsa_accum_offset 4
		.amdhsa_reserve_vcc 0
		.amdhsa_float_round_mode_32 0
		.amdhsa_float_round_mode_16_64 0
		.amdhsa_float_denorm_mode_32 3
		.amdhsa_float_denorm_mode_16_64 3
		.amdhsa_dx10_clamp 1
		.amdhsa_ieee_mode 1
		.amdhsa_fp16_overflow 0
		.amdhsa_tg_split 0
		.amdhsa_exception_fp_ieee_invalid_op 0
		.amdhsa_exception_fp_denorm_src 0
		.amdhsa_exception_fp_ieee_div_zero 0
		.amdhsa_exception_fp_ieee_overflow 0
		.amdhsa_exception_fp_ieee_underflow 0
		.amdhsa_exception_fp_ieee_inexact 0
		.amdhsa_exception_int_div_zero 0
	.end_amdhsa_kernel
	.section	.text._ZN7rocprim17ROCPRIM_400000_NS6detail17trampoline_kernelINS0_14default_configENS1_25partition_config_selectorILNS1_17partition_subalgoE1EtNS0_10empty_typeEbEEZZNS1_14partition_implILS5_1ELb0ES3_jN6thrust23THRUST_200600_302600_NS6detail15normal_iteratorINSA_10device_ptrItEEEEPS6_NSA_18transform_iteratorI7is_evenItESF_NSA_11use_defaultESK_EENS0_5tupleIJSF_SF_EEENSM_IJSG_SG_EEES6_PlJS6_EEE10hipError_tPvRmT3_T4_T5_T6_T7_T9_mT8_P12ihipStream_tbDpT10_ENKUlT_T0_E_clISt17integral_constantIbLb1EES18_IbLb0EEEEDaS14_S15_EUlS14_E_NS1_11comp_targetILNS1_3genE9ELNS1_11target_archE1100ELNS1_3gpuE3ELNS1_3repE0EEENS1_30default_config_static_selectorELNS0_4arch9wavefront6targetE1EEEvT1_,"axG",@progbits,_ZN7rocprim17ROCPRIM_400000_NS6detail17trampoline_kernelINS0_14default_configENS1_25partition_config_selectorILNS1_17partition_subalgoE1EtNS0_10empty_typeEbEEZZNS1_14partition_implILS5_1ELb0ES3_jN6thrust23THRUST_200600_302600_NS6detail15normal_iteratorINSA_10device_ptrItEEEEPS6_NSA_18transform_iteratorI7is_evenItESF_NSA_11use_defaultESK_EENS0_5tupleIJSF_SF_EEENSM_IJSG_SG_EEES6_PlJS6_EEE10hipError_tPvRmT3_T4_T5_T6_T7_T9_mT8_P12ihipStream_tbDpT10_ENKUlT_T0_E_clISt17integral_constantIbLb1EES18_IbLb0EEEEDaS14_S15_EUlS14_E_NS1_11comp_targetILNS1_3genE9ELNS1_11target_archE1100ELNS1_3gpuE3ELNS1_3repE0EEENS1_30default_config_static_selectorELNS0_4arch9wavefront6targetE1EEEvT1_,comdat
.Lfunc_end2289:
	.size	_ZN7rocprim17ROCPRIM_400000_NS6detail17trampoline_kernelINS0_14default_configENS1_25partition_config_selectorILNS1_17partition_subalgoE1EtNS0_10empty_typeEbEEZZNS1_14partition_implILS5_1ELb0ES3_jN6thrust23THRUST_200600_302600_NS6detail15normal_iteratorINSA_10device_ptrItEEEEPS6_NSA_18transform_iteratorI7is_evenItESF_NSA_11use_defaultESK_EENS0_5tupleIJSF_SF_EEENSM_IJSG_SG_EEES6_PlJS6_EEE10hipError_tPvRmT3_T4_T5_T6_T7_T9_mT8_P12ihipStream_tbDpT10_ENKUlT_T0_E_clISt17integral_constantIbLb1EES18_IbLb0EEEEDaS14_S15_EUlS14_E_NS1_11comp_targetILNS1_3genE9ELNS1_11target_archE1100ELNS1_3gpuE3ELNS1_3repE0EEENS1_30default_config_static_selectorELNS0_4arch9wavefront6targetE1EEEvT1_, .Lfunc_end2289-_ZN7rocprim17ROCPRIM_400000_NS6detail17trampoline_kernelINS0_14default_configENS1_25partition_config_selectorILNS1_17partition_subalgoE1EtNS0_10empty_typeEbEEZZNS1_14partition_implILS5_1ELb0ES3_jN6thrust23THRUST_200600_302600_NS6detail15normal_iteratorINSA_10device_ptrItEEEEPS6_NSA_18transform_iteratorI7is_evenItESF_NSA_11use_defaultESK_EENS0_5tupleIJSF_SF_EEENSM_IJSG_SG_EEES6_PlJS6_EEE10hipError_tPvRmT3_T4_T5_T6_T7_T9_mT8_P12ihipStream_tbDpT10_ENKUlT_T0_E_clISt17integral_constantIbLb1EES18_IbLb0EEEEDaS14_S15_EUlS14_E_NS1_11comp_targetILNS1_3genE9ELNS1_11target_archE1100ELNS1_3gpuE3ELNS1_3repE0EEENS1_30default_config_static_selectorELNS0_4arch9wavefront6targetE1EEEvT1_
                                        ; -- End function
	.section	.AMDGPU.csdata,"",@progbits
; Kernel info:
; codeLenInByte = 0
; NumSgprs: 6
; NumVgprs: 0
; NumAgprs: 0
; TotalNumVgprs: 0
; ScratchSize: 0
; MemoryBound: 0
; FloatMode: 240
; IeeeMode: 1
; LDSByteSize: 0 bytes/workgroup (compile time only)
; SGPRBlocks: 0
; VGPRBlocks: 0
; NumSGPRsForWavesPerEU: 6
; NumVGPRsForWavesPerEU: 1
; AccumOffset: 4
; Occupancy: 8
; WaveLimiterHint : 0
; COMPUTE_PGM_RSRC2:SCRATCH_EN: 0
; COMPUTE_PGM_RSRC2:USER_SGPR: 2
; COMPUTE_PGM_RSRC2:TRAP_HANDLER: 0
; COMPUTE_PGM_RSRC2:TGID_X_EN: 1
; COMPUTE_PGM_RSRC2:TGID_Y_EN: 0
; COMPUTE_PGM_RSRC2:TGID_Z_EN: 0
; COMPUTE_PGM_RSRC2:TIDIG_COMP_CNT: 0
; COMPUTE_PGM_RSRC3_GFX90A:ACCUM_OFFSET: 0
; COMPUTE_PGM_RSRC3_GFX90A:TG_SPLIT: 0
	.section	.text._ZN7rocprim17ROCPRIM_400000_NS6detail17trampoline_kernelINS0_14default_configENS1_25partition_config_selectorILNS1_17partition_subalgoE1EtNS0_10empty_typeEbEEZZNS1_14partition_implILS5_1ELb0ES3_jN6thrust23THRUST_200600_302600_NS6detail15normal_iteratorINSA_10device_ptrItEEEEPS6_NSA_18transform_iteratorI7is_evenItESF_NSA_11use_defaultESK_EENS0_5tupleIJSF_SF_EEENSM_IJSG_SG_EEES6_PlJS6_EEE10hipError_tPvRmT3_T4_T5_T6_T7_T9_mT8_P12ihipStream_tbDpT10_ENKUlT_T0_E_clISt17integral_constantIbLb1EES18_IbLb0EEEEDaS14_S15_EUlS14_E_NS1_11comp_targetILNS1_3genE8ELNS1_11target_archE1030ELNS1_3gpuE2ELNS1_3repE0EEENS1_30default_config_static_selectorELNS0_4arch9wavefront6targetE1EEEvT1_,"axG",@progbits,_ZN7rocprim17ROCPRIM_400000_NS6detail17trampoline_kernelINS0_14default_configENS1_25partition_config_selectorILNS1_17partition_subalgoE1EtNS0_10empty_typeEbEEZZNS1_14partition_implILS5_1ELb0ES3_jN6thrust23THRUST_200600_302600_NS6detail15normal_iteratorINSA_10device_ptrItEEEEPS6_NSA_18transform_iteratorI7is_evenItESF_NSA_11use_defaultESK_EENS0_5tupleIJSF_SF_EEENSM_IJSG_SG_EEES6_PlJS6_EEE10hipError_tPvRmT3_T4_T5_T6_T7_T9_mT8_P12ihipStream_tbDpT10_ENKUlT_T0_E_clISt17integral_constantIbLb1EES18_IbLb0EEEEDaS14_S15_EUlS14_E_NS1_11comp_targetILNS1_3genE8ELNS1_11target_archE1030ELNS1_3gpuE2ELNS1_3repE0EEENS1_30default_config_static_selectorELNS0_4arch9wavefront6targetE1EEEvT1_,comdat
	.protected	_ZN7rocprim17ROCPRIM_400000_NS6detail17trampoline_kernelINS0_14default_configENS1_25partition_config_selectorILNS1_17partition_subalgoE1EtNS0_10empty_typeEbEEZZNS1_14partition_implILS5_1ELb0ES3_jN6thrust23THRUST_200600_302600_NS6detail15normal_iteratorINSA_10device_ptrItEEEEPS6_NSA_18transform_iteratorI7is_evenItESF_NSA_11use_defaultESK_EENS0_5tupleIJSF_SF_EEENSM_IJSG_SG_EEES6_PlJS6_EEE10hipError_tPvRmT3_T4_T5_T6_T7_T9_mT8_P12ihipStream_tbDpT10_ENKUlT_T0_E_clISt17integral_constantIbLb1EES18_IbLb0EEEEDaS14_S15_EUlS14_E_NS1_11comp_targetILNS1_3genE8ELNS1_11target_archE1030ELNS1_3gpuE2ELNS1_3repE0EEENS1_30default_config_static_selectorELNS0_4arch9wavefront6targetE1EEEvT1_ ; -- Begin function _ZN7rocprim17ROCPRIM_400000_NS6detail17trampoline_kernelINS0_14default_configENS1_25partition_config_selectorILNS1_17partition_subalgoE1EtNS0_10empty_typeEbEEZZNS1_14partition_implILS5_1ELb0ES3_jN6thrust23THRUST_200600_302600_NS6detail15normal_iteratorINSA_10device_ptrItEEEEPS6_NSA_18transform_iteratorI7is_evenItESF_NSA_11use_defaultESK_EENS0_5tupleIJSF_SF_EEENSM_IJSG_SG_EEES6_PlJS6_EEE10hipError_tPvRmT3_T4_T5_T6_T7_T9_mT8_P12ihipStream_tbDpT10_ENKUlT_T0_E_clISt17integral_constantIbLb1EES18_IbLb0EEEEDaS14_S15_EUlS14_E_NS1_11comp_targetILNS1_3genE8ELNS1_11target_archE1030ELNS1_3gpuE2ELNS1_3repE0EEENS1_30default_config_static_selectorELNS0_4arch9wavefront6targetE1EEEvT1_
	.globl	_ZN7rocprim17ROCPRIM_400000_NS6detail17trampoline_kernelINS0_14default_configENS1_25partition_config_selectorILNS1_17partition_subalgoE1EtNS0_10empty_typeEbEEZZNS1_14partition_implILS5_1ELb0ES3_jN6thrust23THRUST_200600_302600_NS6detail15normal_iteratorINSA_10device_ptrItEEEEPS6_NSA_18transform_iteratorI7is_evenItESF_NSA_11use_defaultESK_EENS0_5tupleIJSF_SF_EEENSM_IJSG_SG_EEES6_PlJS6_EEE10hipError_tPvRmT3_T4_T5_T6_T7_T9_mT8_P12ihipStream_tbDpT10_ENKUlT_T0_E_clISt17integral_constantIbLb1EES18_IbLb0EEEEDaS14_S15_EUlS14_E_NS1_11comp_targetILNS1_3genE8ELNS1_11target_archE1030ELNS1_3gpuE2ELNS1_3repE0EEENS1_30default_config_static_selectorELNS0_4arch9wavefront6targetE1EEEvT1_
	.p2align	8
	.type	_ZN7rocprim17ROCPRIM_400000_NS6detail17trampoline_kernelINS0_14default_configENS1_25partition_config_selectorILNS1_17partition_subalgoE1EtNS0_10empty_typeEbEEZZNS1_14partition_implILS5_1ELb0ES3_jN6thrust23THRUST_200600_302600_NS6detail15normal_iteratorINSA_10device_ptrItEEEEPS6_NSA_18transform_iteratorI7is_evenItESF_NSA_11use_defaultESK_EENS0_5tupleIJSF_SF_EEENSM_IJSG_SG_EEES6_PlJS6_EEE10hipError_tPvRmT3_T4_T5_T6_T7_T9_mT8_P12ihipStream_tbDpT10_ENKUlT_T0_E_clISt17integral_constantIbLb1EES18_IbLb0EEEEDaS14_S15_EUlS14_E_NS1_11comp_targetILNS1_3genE8ELNS1_11target_archE1030ELNS1_3gpuE2ELNS1_3repE0EEENS1_30default_config_static_selectorELNS0_4arch9wavefront6targetE1EEEvT1_,@function
_ZN7rocprim17ROCPRIM_400000_NS6detail17trampoline_kernelINS0_14default_configENS1_25partition_config_selectorILNS1_17partition_subalgoE1EtNS0_10empty_typeEbEEZZNS1_14partition_implILS5_1ELb0ES3_jN6thrust23THRUST_200600_302600_NS6detail15normal_iteratorINSA_10device_ptrItEEEEPS6_NSA_18transform_iteratorI7is_evenItESF_NSA_11use_defaultESK_EENS0_5tupleIJSF_SF_EEENSM_IJSG_SG_EEES6_PlJS6_EEE10hipError_tPvRmT3_T4_T5_T6_T7_T9_mT8_P12ihipStream_tbDpT10_ENKUlT_T0_E_clISt17integral_constantIbLb1EES18_IbLb0EEEEDaS14_S15_EUlS14_E_NS1_11comp_targetILNS1_3genE8ELNS1_11target_archE1030ELNS1_3gpuE2ELNS1_3repE0EEENS1_30default_config_static_selectorELNS0_4arch9wavefront6targetE1EEEvT1_: ; @_ZN7rocprim17ROCPRIM_400000_NS6detail17trampoline_kernelINS0_14default_configENS1_25partition_config_selectorILNS1_17partition_subalgoE1EtNS0_10empty_typeEbEEZZNS1_14partition_implILS5_1ELb0ES3_jN6thrust23THRUST_200600_302600_NS6detail15normal_iteratorINSA_10device_ptrItEEEEPS6_NSA_18transform_iteratorI7is_evenItESF_NSA_11use_defaultESK_EENS0_5tupleIJSF_SF_EEENSM_IJSG_SG_EEES6_PlJS6_EEE10hipError_tPvRmT3_T4_T5_T6_T7_T9_mT8_P12ihipStream_tbDpT10_ENKUlT_T0_E_clISt17integral_constantIbLb1EES18_IbLb0EEEEDaS14_S15_EUlS14_E_NS1_11comp_targetILNS1_3genE8ELNS1_11target_archE1030ELNS1_3gpuE2ELNS1_3repE0EEENS1_30default_config_static_selectorELNS0_4arch9wavefront6targetE1EEEvT1_
; %bb.0:
	.section	.rodata,"a",@progbits
	.p2align	6, 0x0
	.amdhsa_kernel _ZN7rocprim17ROCPRIM_400000_NS6detail17trampoline_kernelINS0_14default_configENS1_25partition_config_selectorILNS1_17partition_subalgoE1EtNS0_10empty_typeEbEEZZNS1_14partition_implILS5_1ELb0ES3_jN6thrust23THRUST_200600_302600_NS6detail15normal_iteratorINSA_10device_ptrItEEEEPS6_NSA_18transform_iteratorI7is_evenItESF_NSA_11use_defaultESK_EENS0_5tupleIJSF_SF_EEENSM_IJSG_SG_EEES6_PlJS6_EEE10hipError_tPvRmT3_T4_T5_T6_T7_T9_mT8_P12ihipStream_tbDpT10_ENKUlT_T0_E_clISt17integral_constantIbLb1EES18_IbLb0EEEEDaS14_S15_EUlS14_E_NS1_11comp_targetILNS1_3genE8ELNS1_11target_archE1030ELNS1_3gpuE2ELNS1_3repE0EEENS1_30default_config_static_selectorELNS0_4arch9wavefront6targetE1EEEvT1_
		.amdhsa_group_segment_fixed_size 0
		.amdhsa_private_segment_fixed_size 0
		.amdhsa_kernarg_size 128
		.amdhsa_user_sgpr_count 2
		.amdhsa_user_sgpr_dispatch_ptr 0
		.amdhsa_user_sgpr_queue_ptr 0
		.amdhsa_user_sgpr_kernarg_segment_ptr 1
		.amdhsa_user_sgpr_dispatch_id 0
		.amdhsa_user_sgpr_kernarg_preload_length 0
		.amdhsa_user_sgpr_kernarg_preload_offset 0
		.amdhsa_user_sgpr_private_segment_size 0
		.amdhsa_uses_dynamic_stack 0
		.amdhsa_enable_private_segment 0
		.amdhsa_system_sgpr_workgroup_id_x 1
		.amdhsa_system_sgpr_workgroup_id_y 0
		.amdhsa_system_sgpr_workgroup_id_z 0
		.amdhsa_system_sgpr_workgroup_info 0
		.amdhsa_system_vgpr_workitem_id 0
		.amdhsa_next_free_vgpr 1
		.amdhsa_next_free_sgpr 0
		.amdhsa_accum_offset 4
		.amdhsa_reserve_vcc 0
		.amdhsa_float_round_mode_32 0
		.amdhsa_float_round_mode_16_64 0
		.amdhsa_float_denorm_mode_32 3
		.amdhsa_float_denorm_mode_16_64 3
		.amdhsa_dx10_clamp 1
		.amdhsa_ieee_mode 1
		.amdhsa_fp16_overflow 0
		.amdhsa_tg_split 0
		.amdhsa_exception_fp_ieee_invalid_op 0
		.amdhsa_exception_fp_denorm_src 0
		.amdhsa_exception_fp_ieee_div_zero 0
		.amdhsa_exception_fp_ieee_overflow 0
		.amdhsa_exception_fp_ieee_underflow 0
		.amdhsa_exception_fp_ieee_inexact 0
		.amdhsa_exception_int_div_zero 0
	.end_amdhsa_kernel
	.section	.text._ZN7rocprim17ROCPRIM_400000_NS6detail17trampoline_kernelINS0_14default_configENS1_25partition_config_selectorILNS1_17partition_subalgoE1EtNS0_10empty_typeEbEEZZNS1_14partition_implILS5_1ELb0ES3_jN6thrust23THRUST_200600_302600_NS6detail15normal_iteratorINSA_10device_ptrItEEEEPS6_NSA_18transform_iteratorI7is_evenItESF_NSA_11use_defaultESK_EENS0_5tupleIJSF_SF_EEENSM_IJSG_SG_EEES6_PlJS6_EEE10hipError_tPvRmT3_T4_T5_T6_T7_T9_mT8_P12ihipStream_tbDpT10_ENKUlT_T0_E_clISt17integral_constantIbLb1EES18_IbLb0EEEEDaS14_S15_EUlS14_E_NS1_11comp_targetILNS1_3genE8ELNS1_11target_archE1030ELNS1_3gpuE2ELNS1_3repE0EEENS1_30default_config_static_selectorELNS0_4arch9wavefront6targetE1EEEvT1_,"axG",@progbits,_ZN7rocprim17ROCPRIM_400000_NS6detail17trampoline_kernelINS0_14default_configENS1_25partition_config_selectorILNS1_17partition_subalgoE1EtNS0_10empty_typeEbEEZZNS1_14partition_implILS5_1ELb0ES3_jN6thrust23THRUST_200600_302600_NS6detail15normal_iteratorINSA_10device_ptrItEEEEPS6_NSA_18transform_iteratorI7is_evenItESF_NSA_11use_defaultESK_EENS0_5tupleIJSF_SF_EEENSM_IJSG_SG_EEES6_PlJS6_EEE10hipError_tPvRmT3_T4_T5_T6_T7_T9_mT8_P12ihipStream_tbDpT10_ENKUlT_T0_E_clISt17integral_constantIbLb1EES18_IbLb0EEEEDaS14_S15_EUlS14_E_NS1_11comp_targetILNS1_3genE8ELNS1_11target_archE1030ELNS1_3gpuE2ELNS1_3repE0EEENS1_30default_config_static_selectorELNS0_4arch9wavefront6targetE1EEEvT1_,comdat
.Lfunc_end2290:
	.size	_ZN7rocprim17ROCPRIM_400000_NS6detail17trampoline_kernelINS0_14default_configENS1_25partition_config_selectorILNS1_17partition_subalgoE1EtNS0_10empty_typeEbEEZZNS1_14partition_implILS5_1ELb0ES3_jN6thrust23THRUST_200600_302600_NS6detail15normal_iteratorINSA_10device_ptrItEEEEPS6_NSA_18transform_iteratorI7is_evenItESF_NSA_11use_defaultESK_EENS0_5tupleIJSF_SF_EEENSM_IJSG_SG_EEES6_PlJS6_EEE10hipError_tPvRmT3_T4_T5_T6_T7_T9_mT8_P12ihipStream_tbDpT10_ENKUlT_T0_E_clISt17integral_constantIbLb1EES18_IbLb0EEEEDaS14_S15_EUlS14_E_NS1_11comp_targetILNS1_3genE8ELNS1_11target_archE1030ELNS1_3gpuE2ELNS1_3repE0EEENS1_30default_config_static_selectorELNS0_4arch9wavefront6targetE1EEEvT1_, .Lfunc_end2290-_ZN7rocprim17ROCPRIM_400000_NS6detail17trampoline_kernelINS0_14default_configENS1_25partition_config_selectorILNS1_17partition_subalgoE1EtNS0_10empty_typeEbEEZZNS1_14partition_implILS5_1ELb0ES3_jN6thrust23THRUST_200600_302600_NS6detail15normal_iteratorINSA_10device_ptrItEEEEPS6_NSA_18transform_iteratorI7is_evenItESF_NSA_11use_defaultESK_EENS0_5tupleIJSF_SF_EEENSM_IJSG_SG_EEES6_PlJS6_EEE10hipError_tPvRmT3_T4_T5_T6_T7_T9_mT8_P12ihipStream_tbDpT10_ENKUlT_T0_E_clISt17integral_constantIbLb1EES18_IbLb0EEEEDaS14_S15_EUlS14_E_NS1_11comp_targetILNS1_3genE8ELNS1_11target_archE1030ELNS1_3gpuE2ELNS1_3repE0EEENS1_30default_config_static_selectorELNS0_4arch9wavefront6targetE1EEEvT1_
                                        ; -- End function
	.section	.AMDGPU.csdata,"",@progbits
; Kernel info:
; codeLenInByte = 0
; NumSgprs: 6
; NumVgprs: 0
; NumAgprs: 0
; TotalNumVgprs: 0
; ScratchSize: 0
; MemoryBound: 0
; FloatMode: 240
; IeeeMode: 1
; LDSByteSize: 0 bytes/workgroup (compile time only)
; SGPRBlocks: 0
; VGPRBlocks: 0
; NumSGPRsForWavesPerEU: 6
; NumVGPRsForWavesPerEU: 1
; AccumOffset: 4
; Occupancy: 8
; WaveLimiterHint : 0
; COMPUTE_PGM_RSRC2:SCRATCH_EN: 0
; COMPUTE_PGM_RSRC2:USER_SGPR: 2
; COMPUTE_PGM_RSRC2:TRAP_HANDLER: 0
; COMPUTE_PGM_RSRC2:TGID_X_EN: 1
; COMPUTE_PGM_RSRC2:TGID_Y_EN: 0
; COMPUTE_PGM_RSRC2:TGID_Z_EN: 0
; COMPUTE_PGM_RSRC2:TIDIG_COMP_CNT: 0
; COMPUTE_PGM_RSRC3_GFX90A:ACCUM_OFFSET: 0
; COMPUTE_PGM_RSRC3_GFX90A:TG_SPLIT: 0
	.section	.text._ZN7rocprim17ROCPRIM_400000_NS6detail17trampoline_kernelINS0_14default_configENS1_25partition_config_selectorILNS1_17partition_subalgoE1EtNS0_10empty_typeEbEEZZNS1_14partition_implILS5_1ELb0ES3_jN6thrust23THRUST_200600_302600_NS6detail15normal_iteratorINSA_10device_ptrItEEEEPS6_NSA_18transform_iteratorI7is_evenItESF_NSA_11use_defaultESK_EENS0_5tupleIJSF_SF_EEENSM_IJSG_SG_EEES6_PlJS6_EEE10hipError_tPvRmT3_T4_T5_T6_T7_T9_mT8_P12ihipStream_tbDpT10_ENKUlT_T0_E_clISt17integral_constantIbLb0EES18_IbLb1EEEEDaS14_S15_EUlS14_E_NS1_11comp_targetILNS1_3genE0ELNS1_11target_archE4294967295ELNS1_3gpuE0ELNS1_3repE0EEENS1_30default_config_static_selectorELNS0_4arch9wavefront6targetE1EEEvT1_,"axG",@progbits,_ZN7rocprim17ROCPRIM_400000_NS6detail17trampoline_kernelINS0_14default_configENS1_25partition_config_selectorILNS1_17partition_subalgoE1EtNS0_10empty_typeEbEEZZNS1_14partition_implILS5_1ELb0ES3_jN6thrust23THRUST_200600_302600_NS6detail15normal_iteratorINSA_10device_ptrItEEEEPS6_NSA_18transform_iteratorI7is_evenItESF_NSA_11use_defaultESK_EENS0_5tupleIJSF_SF_EEENSM_IJSG_SG_EEES6_PlJS6_EEE10hipError_tPvRmT3_T4_T5_T6_T7_T9_mT8_P12ihipStream_tbDpT10_ENKUlT_T0_E_clISt17integral_constantIbLb0EES18_IbLb1EEEEDaS14_S15_EUlS14_E_NS1_11comp_targetILNS1_3genE0ELNS1_11target_archE4294967295ELNS1_3gpuE0ELNS1_3repE0EEENS1_30default_config_static_selectorELNS0_4arch9wavefront6targetE1EEEvT1_,comdat
	.protected	_ZN7rocprim17ROCPRIM_400000_NS6detail17trampoline_kernelINS0_14default_configENS1_25partition_config_selectorILNS1_17partition_subalgoE1EtNS0_10empty_typeEbEEZZNS1_14partition_implILS5_1ELb0ES3_jN6thrust23THRUST_200600_302600_NS6detail15normal_iteratorINSA_10device_ptrItEEEEPS6_NSA_18transform_iteratorI7is_evenItESF_NSA_11use_defaultESK_EENS0_5tupleIJSF_SF_EEENSM_IJSG_SG_EEES6_PlJS6_EEE10hipError_tPvRmT3_T4_T5_T6_T7_T9_mT8_P12ihipStream_tbDpT10_ENKUlT_T0_E_clISt17integral_constantIbLb0EES18_IbLb1EEEEDaS14_S15_EUlS14_E_NS1_11comp_targetILNS1_3genE0ELNS1_11target_archE4294967295ELNS1_3gpuE0ELNS1_3repE0EEENS1_30default_config_static_selectorELNS0_4arch9wavefront6targetE1EEEvT1_ ; -- Begin function _ZN7rocprim17ROCPRIM_400000_NS6detail17trampoline_kernelINS0_14default_configENS1_25partition_config_selectorILNS1_17partition_subalgoE1EtNS0_10empty_typeEbEEZZNS1_14partition_implILS5_1ELb0ES3_jN6thrust23THRUST_200600_302600_NS6detail15normal_iteratorINSA_10device_ptrItEEEEPS6_NSA_18transform_iteratorI7is_evenItESF_NSA_11use_defaultESK_EENS0_5tupleIJSF_SF_EEENSM_IJSG_SG_EEES6_PlJS6_EEE10hipError_tPvRmT3_T4_T5_T6_T7_T9_mT8_P12ihipStream_tbDpT10_ENKUlT_T0_E_clISt17integral_constantIbLb0EES18_IbLb1EEEEDaS14_S15_EUlS14_E_NS1_11comp_targetILNS1_3genE0ELNS1_11target_archE4294967295ELNS1_3gpuE0ELNS1_3repE0EEENS1_30default_config_static_selectorELNS0_4arch9wavefront6targetE1EEEvT1_
	.globl	_ZN7rocprim17ROCPRIM_400000_NS6detail17trampoline_kernelINS0_14default_configENS1_25partition_config_selectorILNS1_17partition_subalgoE1EtNS0_10empty_typeEbEEZZNS1_14partition_implILS5_1ELb0ES3_jN6thrust23THRUST_200600_302600_NS6detail15normal_iteratorINSA_10device_ptrItEEEEPS6_NSA_18transform_iteratorI7is_evenItESF_NSA_11use_defaultESK_EENS0_5tupleIJSF_SF_EEENSM_IJSG_SG_EEES6_PlJS6_EEE10hipError_tPvRmT3_T4_T5_T6_T7_T9_mT8_P12ihipStream_tbDpT10_ENKUlT_T0_E_clISt17integral_constantIbLb0EES18_IbLb1EEEEDaS14_S15_EUlS14_E_NS1_11comp_targetILNS1_3genE0ELNS1_11target_archE4294967295ELNS1_3gpuE0ELNS1_3repE0EEENS1_30default_config_static_selectorELNS0_4arch9wavefront6targetE1EEEvT1_
	.p2align	8
	.type	_ZN7rocprim17ROCPRIM_400000_NS6detail17trampoline_kernelINS0_14default_configENS1_25partition_config_selectorILNS1_17partition_subalgoE1EtNS0_10empty_typeEbEEZZNS1_14partition_implILS5_1ELb0ES3_jN6thrust23THRUST_200600_302600_NS6detail15normal_iteratorINSA_10device_ptrItEEEEPS6_NSA_18transform_iteratorI7is_evenItESF_NSA_11use_defaultESK_EENS0_5tupleIJSF_SF_EEENSM_IJSG_SG_EEES6_PlJS6_EEE10hipError_tPvRmT3_T4_T5_T6_T7_T9_mT8_P12ihipStream_tbDpT10_ENKUlT_T0_E_clISt17integral_constantIbLb0EES18_IbLb1EEEEDaS14_S15_EUlS14_E_NS1_11comp_targetILNS1_3genE0ELNS1_11target_archE4294967295ELNS1_3gpuE0ELNS1_3repE0EEENS1_30default_config_static_selectorELNS0_4arch9wavefront6targetE1EEEvT1_,@function
_ZN7rocprim17ROCPRIM_400000_NS6detail17trampoline_kernelINS0_14default_configENS1_25partition_config_selectorILNS1_17partition_subalgoE1EtNS0_10empty_typeEbEEZZNS1_14partition_implILS5_1ELb0ES3_jN6thrust23THRUST_200600_302600_NS6detail15normal_iteratorINSA_10device_ptrItEEEEPS6_NSA_18transform_iteratorI7is_evenItESF_NSA_11use_defaultESK_EENS0_5tupleIJSF_SF_EEENSM_IJSG_SG_EEES6_PlJS6_EEE10hipError_tPvRmT3_T4_T5_T6_T7_T9_mT8_P12ihipStream_tbDpT10_ENKUlT_T0_E_clISt17integral_constantIbLb0EES18_IbLb1EEEEDaS14_S15_EUlS14_E_NS1_11comp_targetILNS1_3genE0ELNS1_11target_archE4294967295ELNS1_3gpuE0ELNS1_3repE0EEENS1_30default_config_static_selectorELNS0_4arch9wavefront6targetE1EEEvT1_: ; @_ZN7rocprim17ROCPRIM_400000_NS6detail17trampoline_kernelINS0_14default_configENS1_25partition_config_selectorILNS1_17partition_subalgoE1EtNS0_10empty_typeEbEEZZNS1_14partition_implILS5_1ELb0ES3_jN6thrust23THRUST_200600_302600_NS6detail15normal_iteratorINSA_10device_ptrItEEEEPS6_NSA_18transform_iteratorI7is_evenItESF_NSA_11use_defaultESK_EENS0_5tupleIJSF_SF_EEENSM_IJSG_SG_EEES6_PlJS6_EEE10hipError_tPvRmT3_T4_T5_T6_T7_T9_mT8_P12ihipStream_tbDpT10_ENKUlT_T0_E_clISt17integral_constantIbLb0EES18_IbLb1EEEEDaS14_S15_EUlS14_E_NS1_11comp_targetILNS1_3genE0ELNS1_11target_archE4294967295ELNS1_3gpuE0ELNS1_3repE0EEENS1_30default_config_static_selectorELNS0_4arch9wavefront6targetE1EEEvT1_
; %bb.0:
	.section	.rodata,"a",@progbits
	.p2align	6, 0x0
	.amdhsa_kernel _ZN7rocprim17ROCPRIM_400000_NS6detail17trampoline_kernelINS0_14default_configENS1_25partition_config_selectorILNS1_17partition_subalgoE1EtNS0_10empty_typeEbEEZZNS1_14partition_implILS5_1ELb0ES3_jN6thrust23THRUST_200600_302600_NS6detail15normal_iteratorINSA_10device_ptrItEEEEPS6_NSA_18transform_iteratorI7is_evenItESF_NSA_11use_defaultESK_EENS0_5tupleIJSF_SF_EEENSM_IJSG_SG_EEES6_PlJS6_EEE10hipError_tPvRmT3_T4_T5_T6_T7_T9_mT8_P12ihipStream_tbDpT10_ENKUlT_T0_E_clISt17integral_constantIbLb0EES18_IbLb1EEEEDaS14_S15_EUlS14_E_NS1_11comp_targetILNS1_3genE0ELNS1_11target_archE4294967295ELNS1_3gpuE0ELNS1_3repE0EEENS1_30default_config_static_selectorELNS0_4arch9wavefront6targetE1EEEvT1_
		.amdhsa_group_segment_fixed_size 0
		.amdhsa_private_segment_fixed_size 0
		.amdhsa_kernarg_size 144
		.amdhsa_user_sgpr_count 2
		.amdhsa_user_sgpr_dispatch_ptr 0
		.amdhsa_user_sgpr_queue_ptr 0
		.amdhsa_user_sgpr_kernarg_segment_ptr 1
		.amdhsa_user_sgpr_dispatch_id 0
		.amdhsa_user_sgpr_kernarg_preload_length 0
		.amdhsa_user_sgpr_kernarg_preload_offset 0
		.amdhsa_user_sgpr_private_segment_size 0
		.amdhsa_uses_dynamic_stack 0
		.amdhsa_enable_private_segment 0
		.amdhsa_system_sgpr_workgroup_id_x 1
		.amdhsa_system_sgpr_workgroup_id_y 0
		.amdhsa_system_sgpr_workgroup_id_z 0
		.amdhsa_system_sgpr_workgroup_info 0
		.amdhsa_system_vgpr_workitem_id 0
		.amdhsa_next_free_vgpr 1
		.amdhsa_next_free_sgpr 0
		.amdhsa_accum_offset 4
		.amdhsa_reserve_vcc 0
		.amdhsa_float_round_mode_32 0
		.amdhsa_float_round_mode_16_64 0
		.amdhsa_float_denorm_mode_32 3
		.amdhsa_float_denorm_mode_16_64 3
		.amdhsa_dx10_clamp 1
		.amdhsa_ieee_mode 1
		.amdhsa_fp16_overflow 0
		.amdhsa_tg_split 0
		.amdhsa_exception_fp_ieee_invalid_op 0
		.amdhsa_exception_fp_denorm_src 0
		.amdhsa_exception_fp_ieee_div_zero 0
		.amdhsa_exception_fp_ieee_overflow 0
		.amdhsa_exception_fp_ieee_underflow 0
		.amdhsa_exception_fp_ieee_inexact 0
		.amdhsa_exception_int_div_zero 0
	.end_amdhsa_kernel
	.section	.text._ZN7rocprim17ROCPRIM_400000_NS6detail17trampoline_kernelINS0_14default_configENS1_25partition_config_selectorILNS1_17partition_subalgoE1EtNS0_10empty_typeEbEEZZNS1_14partition_implILS5_1ELb0ES3_jN6thrust23THRUST_200600_302600_NS6detail15normal_iteratorINSA_10device_ptrItEEEEPS6_NSA_18transform_iteratorI7is_evenItESF_NSA_11use_defaultESK_EENS0_5tupleIJSF_SF_EEENSM_IJSG_SG_EEES6_PlJS6_EEE10hipError_tPvRmT3_T4_T5_T6_T7_T9_mT8_P12ihipStream_tbDpT10_ENKUlT_T0_E_clISt17integral_constantIbLb0EES18_IbLb1EEEEDaS14_S15_EUlS14_E_NS1_11comp_targetILNS1_3genE0ELNS1_11target_archE4294967295ELNS1_3gpuE0ELNS1_3repE0EEENS1_30default_config_static_selectorELNS0_4arch9wavefront6targetE1EEEvT1_,"axG",@progbits,_ZN7rocprim17ROCPRIM_400000_NS6detail17trampoline_kernelINS0_14default_configENS1_25partition_config_selectorILNS1_17partition_subalgoE1EtNS0_10empty_typeEbEEZZNS1_14partition_implILS5_1ELb0ES3_jN6thrust23THRUST_200600_302600_NS6detail15normal_iteratorINSA_10device_ptrItEEEEPS6_NSA_18transform_iteratorI7is_evenItESF_NSA_11use_defaultESK_EENS0_5tupleIJSF_SF_EEENSM_IJSG_SG_EEES6_PlJS6_EEE10hipError_tPvRmT3_T4_T5_T6_T7_T9_mT8_P12ihipStream_tbDpT10_ENKUlT_T0_E_clISt17integral_constantIbLb0EES18_IbLb1EEEEDaS14_S15_EUlS14_E_NS1_11comp_targetILNS1_3genE0ELNS1_11target_archE4294967295ELNS1_3gpuE0ELNS1_3repE0EEENS1_30default_config_static_selectorELNS0_4arch9wavefront6targetE1EEEvT1_,comdat
.Lfunc_end2291:
	.size	_ZN7rocprim17ROCPRIM_400000_NS6detail17trampoline_kernelINS0_14default_configENS1_25partition_config_selectorILNS1_17partition_subalgoE1EtNS0_10empty_typeEbEEZZNS1_14partition_implILS5_1ELb0ES3_jN6thrust23THRUST_200600_302600_NS6detail15normal_iteratorINSA_10device_ptrItEEEEPS6_NSA_18transform_iteratorI7is_evenItESF_NSA_11use_defaultESK_EENS0_5tupleIJSF_SF_EEENSM_IJSG_SG_EEES6_PlJS6_EEE10hipError_tPvRmT3_T4_T5_T6_T7_T9_mT8_P12ihipStream_tbDpT10_ENKUlT_T0_E_clISt17integral_constantIbLb0EES18_IbLb1EEEEDaS14_S15_EUlS14_E_NS1_11comp_targetILNS1_3genE0ELNS1_11target_archE4294967295ELNS1_3gpuE0ELNS1_3repE0EEENS1_30default_config_static_selectorELNS0_4arch9wavefront6targetE1EEEvT1_, .Lfunc_end2291-_ZN7rocprim17ROCPRIM_400000_NS6detail17trampoline_kernelINS0_14default_configENS1_25partition_config_selectorILNS1_17partition_subalgoE1EtNS0_10empty_typeEbEEZZNS1_14partition_implILS5_1ELb0ES3_jN6thrust23THRUST_200600_302600_NS6detail15normal_iteratorINSA_10device_ptrItEEEEPS6_NSA_18transform_iteratorI7is_evenItESF_NSA_11use_defaultESK_EENS0_5tupleIJSF_SF_EEENSM_IJSG_SG_EEES6_PlJS6_EEE10hipError_tPvRmT3_T4_T5_T6_T7_T9_mT8_P12ihipStream_tbDpT10_ENKUlT_T0_E_clISt17integral_constantIbLb0EES18_IbLb1EEEEDaS14_S15_EUlS14_E_NS1_11comp_targetILNS1_3genE0ELNS1_11target_archE4294967295ELNS1_3gpuE0ELNS1_3repE0EEENS1_30default_config_static_selectorELNS0_4arch9wavefront6targetE1EEEvT1_
                                        ; -- End function
	.section	.AMDGPU.csdata,"",@progbits
; Kernel info:
; codeLenInByte = 0
; NumSgprs: 6
; NumVgprs: 0
; NumAgprs: 0
; TotalNumVgprs: 0
; ScratchSize: 0
; MemoryBound: 0
; FloatMode: 240
; IeeeMode: 1
; LDSByteSize: 0 bytes/workgroup (compile time only)
; SGPRBlocks: 0
; VGPRBlocks: 0
; NumSGPRsForWavesPerEU: 6
; NumVGPRsForWavesPerEU: 1
; AccumOffset: 4
; Occupancy: 8
; WaveLimiterHint : 0
; COMPUTE_PGM_RSRC2:SCRATCH_EN: 0
; COMPUTE_PGM_RSRC2:USER_SGPR: 2
; COMPUTE_PGM_RSRC2:TRAP_HANDLER: 0
; COMPUTE_PGM_RSRC2:TGID_X_EN: 1
; COMPUTE_PGM_RSRC2:TGID_Y_EN: 0
; COMPUTE_PGM_RSRC2:TGID_Z_EN: 0
; COMPUTE_PGM_RSRC2:TIDIG_COMP_CNT: 0
; COMPUTE_PGM_RSRC3_GFX90A:ACCUM_OFFSET: 0
; COMPUTE_PGM_RSRC3_GFX90A:TG_SPLIT: 0
	.section	.text._ZN7rocprim17ROCPRIM_400000_NS6detail17trampoline_kernelINS0_14default_configENS1_25partition_config_selectorILNS1_17partition_subalgoE1EtNS0_10empty_typeEbEEZZNS1_14partition_implILS5_1ELb0ES3_jN6thrust23THRUST_200600_302600_NS6detail15normal_iteratorINSA_10device_ptrItEEEEPS6_NSA_18transform_iteratorI7is_evenItESF_NSA_11use_defaultESK_EENS0_5tupleIJSF_SF_EEENSM_IJSG_SG_EEES6_PlJS6_EEE10hipError_tPvRmT3_T4_T5_T6_T7_T9_mT8_P12ihipStream_tbDpT10_ENKUlT_T0_E_clISt17integral_constantIbLb0EES18_IbLb1EEEEDaS14_S15_EUlS14_E_NS1_11comp_targetILNS1_3genE5ELNS1_11target_archE942ELNS1_3gpuE9ELNS1_3repE0EEENS1_30default_config_static_selectorELNS0_4arch9wavefront6targetE1EEEvT1_,"axG",@progbits,_ZN7rocprim17ROCPRIM_400000_NS6detail17trampoline_kernelINS0_14default_configENS1_25partition_config_selectorILNS1_17partition_subalgoE1EtNS0_10empty_typeEbEEZZNS1_14partition_implILS5_1ELb0ES3_jN6thrust23THRUST_200600_302600_NS6detail15normal_iteratorINSA_10device_ptrItEEEEPS6_NSA_18transform_iteratorI7is_evenItESF_NSA_11use_defaultESK_EENS0_5tupleIJSF_SF_EEENSM_IJSG_SG_EEES6_PlJS6_EEE10hipError_tPvRmT3_T4_T5_T6_T7_T9_mT8_P12ihipStream_tbDpT10_ENKUlT_T0_E_clISt17integral_constantIbLb0EES18_IbLb1EEEEDaS14_S15_EUlS14_E_NS1_11comp_targetILNS1_3genE5ELNS1_11target_archE942ELNS1_3gpuE9ELNS1_3repE0EEENS1_30default_config_static_selectorELNS0_4arch9wavefront6targetE1EEEvT1_,comdat
	.protected	_ZN7rocprim17ROCPRIM_400000_NS6detail17trampoline_kernelINS0_14default_configENS1_25partition_config_selectorILNS1_17partition_subalgoE1EtNS0_10empty_typeEbEEZZNS1_14partition_implILS5_1ELb0ES3_jN6thrust23THRUST_200600_302600_NS6detail15normal_iteratorINSA_10device_ptrItEEEEPS6_NSA_18transform_iteratorI7is_evenItESF_NSA_11use_defaultESK_EENS0_5tupleIJSF_SF_EEENSM_IJSG_SG_EEES6_PlJS6_EEE10hipError_tPvRmT3_T4_T5_T6_T7_T9_mT8_P12ihipStream_tbDpT10_ENKUlT_T0_E_clISt17integral_constantIbLb0EES18_IbLb1EEEEDaS14_S15_EUlS14_E_NS1_11comp_targetILNS1_3genE5ELNS1_11target_archE942ELNS1_3gpuE9ELNS1_3repE0EEENS1_30default_config_static_selectorELNS0_4arch9wavefront6targetE1EEEvT1_ ; -- Begin function _ZN7rocprim17ROCPRIM_400000_NS6detail17trampoline_kernelINS0_14default_configENS1_25partition_config_selectorILNS1_17partition_subalgoE1EtNS0_10empty_typeEbEEZZNS1_14partition_implILS5_1ELb0ES3_jN6thrust23THRUST_200600_302600_NS6detail15normal_iteratorINSA_10device_ptrItEEEEPS6_NSA_18transform_iteratorI7is_evenItESF_NSA_11use_defaultESK_EENS0_5tupleIJSF_SF_EEENSM_IJSG_SG_EEES6_PlJS6_EEE10hipError_tPvRmT3_T4_T5_T6_T7_T9_mT8_P12ihipStream_tbDpT10_ENKUlT_T0_E_clISt17integral_constantIbLb0EES18_IbLb1EEEEDaS14_S15_EUlS14_E_NS1_11comp_targetILNS1_3genE5ELNS1_11target_archE942ELNS1_3gpuE9ELNS1_3repE0EEENS1_30default_config_static_selectorELNS0_4arch9wavefront6targetE1EEEvT1_
	.globl	_ZN7rocprim17ROCPRIM_400000_NS6detail17trampoline_kernelINS0_14default_configENS1_25partition_config_selectorILNS1_17partition_subalgoE1EtNS0_10empty_typeEbEEZZNS1_14partition_implILS5_1ELb0ES3_jN6thrust23THRUST_200600_302600_NS6detail15normal_iteratorINSA_10device_ptrItEEEEPS6_NSA_18transform_iteratorI7is_evenItESF_NSA_11use_defaultESK_EENS0_5tupleIJSF_SF_EEENSM_IJSG_SG_EEES6_PlJS6_EEE10hipError_tPvRmT3_T4_T5_T6_T7_T9_mT8_P12ihipStream_tbDpT10_ENKUlT_T0_E_clISt17integral_constantIbLb0EES18_IbLb1EEEEDaS14_S15_EUlS14_E_NS1_11comp_targetILNS1_3genE5ELNS1_11target_archE942ELNS1_3gpuE9ELNS1_3repE0EEENS1_30default_config_static_selectorELNS0_4arch9wavefront6targetE1EEEvT1_
	.p2align	8
	.type	_ZN7rocprim17ROCPRIM_400000_NS6detail17trampoline_kernelINS0_14default_configENS1_25partition_config_selectorILNS1_17partition_subalgoE1EtNS0_10empty_typeEbEEZZNS1_14partition_implILS5_1ELb0ES3_jN6thrust23THRUST_200600_302600_NS6detail15normal_iteratorINSA_10device_ptrItEEEEPS6_NSA_18transform_iteratorI7is_evenItESF_NSA_11use_defaultESK_EENS0_5tupleIJSF_SF_EEENSM_IJSG_SG_EEES6_PlJS6_EEE10hipError_tPvRmT3_T4_T5_T6_T7_T9_mT8_P12ihipStream_tbDpT10_ENKUlT_T0_E_clISt17integral_constantIbLb0EES18_IbLb1EEEEDaS14_S15_EUlS14_E_NS1_11comp_targetILNS1_3genE5ELNS1_11target_archE942ELNS1_3gpuE9ELNS1_3repE0EEENS1_30default_config_static_selectorELNS0_4arch9wavefront6targetE1EEEvT1_,@function
_ZN7rocprim17ROCPRIM_400000_NS6detail17trampoline_kernelINS0_14default_configENS1_25partition_config_selectorILNS1_17partition_subalgoE1EtNS0_10empty_typeEbEEZZNS1_14partition_implILS5_1ELb0ES3_jN6thrust23THRUST_200600_302600_NS6detail15normal_iteratorINSA_10device_ptrItEEEEPS6_NSA_18transform_iteratorI7is_evenItESF_NSA_11use_defaultESK_EENS0_5tupleIJSF_SF_EEENSM_IJSG_SG_EEES6_PlJS6_EEE10hipError_tPvRmT3_T4_T5_T6_T7_T9_mT8_P12ihipStream_tbDpT10_ENKUlT_T0_E_clISt17integral_constantIbLb0EES18_IbLb1EEEEDaS14_S15_EUlS14_E_NS1_11comp_targetILNS1_3genE5ELNS1_11target_archE942ELNS1_3gpuE9ELNS1_3repE0EEENS1_30default_config_static_selectorELNS0_4arch9wavefront6targetE1EEEvT1_: ; @_ZN7rocprim17ROCPRIM_400000_NS6detail17trampoline_kernelINS0_14default_configENS1_25partition_config_selectorILNS1_17partition_subalgoE1EtNS0_10empty_typeEbEEZZNS1_14partition_implILS5_1ELb0ES3_jN6thrust23THRUST_200600_302600_NS6detail15normal_iteratorINSA_10device_ptrItEEEEPS6_NSA_18transform_iteratorI7is_evenItESF_NSA_11use_defaultESK_EENS0_5tupleIJSF_SF_EEENSM_IJSG_SG_EEES6_PlJS6_EEE10hipError_tPvRmT3_T4_T5_T6_T7_T9_mT8_P12ihipStream_tbDpT10_ENKUlT_T0_E_clISt17integral_constantIbLb0EES18_IbLb1EEEEDaS14_S15_EUlS14_E_NS1_11comp_targetILNS1_3genE5ELNS1_11target_archE942ELNS1_3gpuE9ELNS1_3repE0EEENS1_30default_config_static_selectorELNS0_4arch9wavefront6targetE1EEEvT1_
; %bb.0:
	s_load_dwordx2 s[2:3], s[0:1], 0x20
	s_load_dwordx4 s[20:23], s[0:1], 0x50
	s_load_dwordx2 s[6:7], s[0:1], 0x60
	s_load_dwordx2 s[34:35], s[0:1], 0x70
	v_cmp_eq_u32_e64 s[18:19], 0, v0
	s_and_saveexec_b64 s[4:5], s[18:19]
	s_cbranch_execz .LBB2292_4
; %bb.1:
	s_mov_b64 s[10:11], exec
	v_mbcnt_lo_u32_b32 v1, s10, 0
	v_mbcnt_hi_u32_b32 v1, s11, v1
	v_cmp_eq_u32_e32 vcc, 0, v1
                                        ; implicit-def: $vgpr2
	s_and_saveexec_b64 s[8:9], vcc
	s_cbranch_execz .LBB2292_3
; %bb.2:
	s_load_dwordx2 s[12:13], s[0:1], 0x80
	s_bcnt1_i32_b64 s10, s[10:11]
	v_mov_b32_e32 v2, 0
	v_mov_b32_e32 v3, s10
	s_waitcnt lgkmcnt(0)
	global_atomic_add v2, v2, v3, s[12:13] sc0
.LBB2292_3:
	s_or_b64 exec, exec, s[8:9]
	s_waitcnt vmcnt(0)
	v_readfirstlane_b32 s8, v2
	v_mov_b32_e32 v2, 0
	s_nop 0
	v_add_u32_e32 v1, s8, v1
	ds_write_b32 v2, v1
.LBB2292_4:
	s_or_b64 exec, exec, s[4:5]
	v_mov_b32_e32 v15, 0
	s_load_dwordx4 s[28:31], s[0:1], 0x8
	s_load_dwordx4 s[24:27], s[0:1], 0x30
	s_load_dword s8, s[0:1], 0x78
	s_waitcnt lgkmcnt(0)
	s_barrier
	ds_read_b32 v1, v15
	s_waitcnt lgkmcnt(0)
	s_barrier
	global_load_dwordx2 v[16:17], v15, s[22:23]
	v_mov_b32_e32 v3, s7
	s_lshl_b64 s[4:5], s[30:31], 1
	s_movk_i32 s7, 0x3800
	s_add_u32 s0, s28, s4
	v_mul_lo_u32 v14, v1, s7
	s_mul_i32 s7, s8, 0x3800
	s_addc_u32 s1, s29, s5
	s_add_i32 s9, s8, -1
	s_add_i32 s8, s7, s30
	s_sub_i32 s33, s6, s8
	s_addk_i32 s33, 0x3800
	v_mov_b32_e32 v2, s6
	s_add_u32 s6, s30, s7
	v_readfirstlane_b32 s40, v1
	s_addc_u32 s7, s31, 0
	s_cmp_eq_u32 s40, s9
	s_cselect_b64 s[22:23], -1, 0
	s_cmp_lg_u32 s40, s9
	v_cmp_lt_u64_e32 vcc, s[6:7], v[2:3]
	s_cselect_b64 s[6:7], -1, 0
	s_or_b64 s[28:29], vcc, s[6:7]
	v_lshlrev_b64 v[18:19], 1, v[14:15]
	v_lshl_add_u64 v[2:3], s[0:1], 0, v[18:19]
	s_mov_b64 s[0:1], -1
	s_and_b64 vcc, exec, s[28:29]
	v_lshlrev_b32_e32 v14, 1, v0
	s_cbranch_vccz .LBB2292_6
; %bb.5:
	v_lshl_add_u64 v[4:5], v[2:3], 0, v[14:15]
	v_add_co_u32_e32 v6, vcc, 0x1000, v4
	s_mov_b64 s[0:1], 0
	s_nop 0
	v_addc_co_u32_e32 v7, vcc, 0, v5, vcc
	flat_load_ushort v1, v[4:5]
	flat_load_ushort v10, v[4:5] offset:1024
	flat_load_ushort v11, v[4:5] offset:2048
	;; [unrolled: 1-line block ×3, first 2 shown]
	flat_load_ushort v13, v[6:7]
	flat_load_ushort v15, v[6:7] offset:1024
	flat_load_ushort v20, v[6:7] offset:2048
	;; [unrolled: 1-line block ×3, first 2 shown]
	v_add_co_u32_e32 v6, vcc, 0x2000, v4
	s_nop 1
	v_addc_co_u32_e32 v7, vcc, 0, v5, vcc
	v_add_co_u32_e32 v8, vcc, 0x3000, v4
	s_nop 1
	v_addc_co_u32_e32 v9, vcc, 0, v5, vcc
	flat_load_ushort v22, v[6:7]
	flat_load_ushort v23, v[6:7] offset:1024
	flat_load_ushort v24, v[6:7] offset:2048
	;; [unrolled: 1-line block ×3, first 2 shown]
	flat_load_ushort v26, v[8:9]
	flat_load_ushort v27, v[8:9] offset:1024
	flat_load_ushort v28, v[8:9] offset:2048
	;; [unrolled: 1-line block ×3, first 2 shown]
	v_add_co_u32_e32 v6, vcc, 0x4000, v4
	s_nop 1
	v_addc_co_u32_e32 v7, vcc, 0, v5, vcc
	v_add_co_u32_e32 v8, vcc, 0x5000, v4
	s_nop 1
	v_addc_co_u32_e32 v9, vcc, 0, v5, vcc
	v_add_co_u32_e32 v4, vcc, 0x6000, v4
	flat_load_ushort v30, v[6:7]
	flat_load_ushort v31, v[6:7] offset:1024
	flat_load_ushort v32, v[6:7] offset:2048
	;; [unrolled: 1-line block ×3, first 2 shown]
	flat_load_ushort v34, v[8:9]
	flat_load_ushort v35, v[8:9] offset:1024
	flat_load_ushort v36, v[8:9] offset:2048
	;; [unrolled: 1-line block ×3, first 2 shown]
	v_addc_co_u32_e32 v5, vcc, 0, v5, vcc
	flat_load_ushort v6, v[4:5]
	flat_load_ushort v7, v[4:5] offset:1024
	flat_load_ushort v8, v[4:5] offset:2048
	;; [unrolled: 1-line block ×3, first 2 shown]
	s_waitcnt vmcnt(0) lgkmcnt(0)
	ds_write_b16 v14, v1
	ds_write_b16 v14, v10 offset:1024
	ds_write_b16 v14, v11 offset:2048
	ds_write_b16 v14, v12 offset:3072
	ds_write_b16 v14, v13 offset:4096
	ds_write_b16 v14, v15 offset:5120
	ds_write_b16 v14, v20 offset:6144
	ds_write_b16 v14, v21 offset:7168
	ds_write_b16 v14, v22 offset:8192
	ds_write_b16 v14, v23 offset:9216
	ds_write_b16 v14, v24 offset:10240
	ds_write_b16 v14, v25 offset:11264
	ds_write_b16 v14, v26 offset:12288
	ds_write_b16 v14, v27 offset:13312
	ds_write_b16 v14, v28 offset:14336
	ds_write_b16 v14, v29 offset:15360
	ds_write_b16 v14, v30 offset:16384
	ds_write_b16 v14, v31 offset:17408
	ds_write_b16 v14, v32 offset:18432
	ds_write_b16 v14, v33 offset:19456
	ds_write_b16 v14, v34 offset:20480
	ds_write_b16 v14, v35 offset:21504
	ds_write_b16 v14, v36 offset:22528
	ds_write_b16 v14, v37 offset:23552
	ds_write_b16 v14, v6 offset:24576
	ds_write_b16 v14, v7 offset:25600
	ds_write_b16 v14, v8 offset:26624
	ds_write_b16 v14, v9 offset:27648
	s_waitcnt lgkmcnt(0)
	s_barrier
.LBB2292_6:
	s_andn2_b64 vcc, exec, s[0:1]
	v_cmp_gt_u32_e64 s[0:1], s33, v0
	s_cbranch_vccnz .LBB2292_64
; %bb.7:
                                        ; implicit-def: $vgpr1
	s_and_saveexec_b64 s[6:7], s[0:1]
	s_cbranch_execz .LBB2292_9
; %bb.8:
	v_mov_b32_e32 v15, 0
	v_lshl_add_u64 v[4:5], v[2:3], 0, v[14:15]
	flat_load_ushort v1, v[4:5]
.LBB2292_9:
	s_or_b64 exec, exec, s[6:7]
	v_or_b32_e32 v4, 0x200, v0
	v_cmp_gt_u32_e32 vcc, s33, v4
                                        ; implicit-def: $vgpr4
	s_and_saveexec_b64 s[0:1], vcc
	s_cbranch_execz .LBB2292_11
; %bb.10:
	v_mov_b32_e32 v15, 0
	v_lshl_add_u64 v[4:5], v[2:3], 0, v[14:15]
	flat_load_ushort v4, v[4:5] offset:1024
.LBB2292_11:
	s_or_b64 exec, exec, s[0:1]
	v_or_b32_e32 v5, 0x400, v0
	v_cmp_gt_u32_e32 vcc, s33, v5
                                        ; implicit-def: $vgpr5
	s_and_saveexec_b64 s[0:1], vcc
	s_cbranch_execz .LBB2292_13
; %bb.12:
	v_mov_b32_e32 v15, 0
	v_lshl_add_u64 v[6:7], v[2:3], 0, v[14:15]
	flat_load_ushort v5, v[6:7] offset:2048
.LBB2292_13:
	s_or_b64 exec, exec, s[0:1]
	v_or_b32_e32 v6, 0x600, v0
	v_cmp_gt_u32_e32 vcc, s33, v6
                                        ; implicit-def: $vgpr6
	s_and_saveexec_b64 s[0:1], vcc
	s_cbranch_execz .LBB2292_15
; %bb.14:
	v_mov_b32_e32 v15, 0
	v_lshl_add_u64 v[6:7], v[2:3], 0, v[14:15]
	flat_load_ushort v6, v[6:7] offset:3072
.LBB2292_15:
	s_or_b64 exec, exec, s[0:1]
	v_or_b32_e32 v8, 0x800, v0
	v_cmp_gt_u32_e32 vcc, s33, v8
                                        ; implicit-def: $vgpr7
	s_and_saveexec_b64 s[0:1], vcc
	s_cbranch_execz .LBB2292_17
; %bb.16:
	v_lshlrev_b32_e32 v8, 1, v8
	v_mov_b32_e32 v9, 0
	v_lshl_add_u64 v[8:9], v[2:3], 0, v[8:9]
	flat_load_ushort v7, v[8:9]
.LBB2292_17:
	s_or_b64 exec, exec, s[0:1]
	v_or_b32_e32 v9, 0xa00, v0
	v_cmp_gt_u32_e32 vcc, s33, v9
                                        ; implicit-def: $vgpr8
	s_and_saveexec_b64 s[0:1], vcc
	s_cbranch_execz .LBB2292_19
; %bb.18:
	v_lshlrev_b32_e32 v8, 1, v9
	v_mov_b32_e32 v9, 0
	v_lshl_add_u64 v[8:9], v[2:3], 0, v[8:9]
	flat_load_ushort v8, v[8:9]
.LBB2292_19:
	s_or_b64 exec, exec, s[0:1]
	v_or_b32_e32 v10, 0xc00, v0
	v_cmp_gt_u32_e32 vcc, s33, v10
                                        ; implicit-def: $vgpr9
	s_and_saveexec_b64 s[0:1], vcc
	s_cbranch_execz .LBB2292_21
; %bb.20:
	v_lshlrev_b32_e32 v10, 1, v10
	v_mov_b32_e32 v11, 0
	v_lshl_add_u64 v[10:11], v[2:3], 0, v[10:11]
	flat_load_ushort v9, v[10:11]
.LBB2292_21:
	s_or_b64 exec, exec, s[0:1]
	v_or_b32_e32 v11, 0xe00, v0
	v_cmp_gt_u32_e32 vcc, s33, v11
                                        ; implicit-def: $vgpr10
	s_and_saveexec_b64 s[0:1], vcc
	s_cbranch_execz .LBB2292_23
; %bb.22:
	v_lshlrev_b32_e32 v10, 1, v11
	v_mov_b32_e32 v11, 0
	v_lshl_add_u64 v[10:11], v[2:3], 0, v[10:11]
	flat_load_ushort v10, v[10:11]
.LBB2292_23:
	s_or_b64 exec, exec, s[0:1]
	v_or_b32_e32 v12, 0x1000, v0
	v_cmp_gt_u32_e32 vcc, s33, v12
                                        ; implicit-def: $vgpr11
	s_and_saveexec_b64 s[0:1], vcc
	s_cbranch_execz .LBB2292_25
; %bb.24:
	v_lshlrev_b32_e32 v12, 1, v12
	v_mov_b32_e32 v13, 0
	v_lshl_add_u64 v[12:13], v[2:3], 0, v[12:13]
	flat_load_ushort v11, v[12:13]
.LBB2292_25:
	s_or_b64 exec, exec, s[0:1]
	v_or_b32_e32 v13, 0x1200, v0
	v_cmp_gt_u32_e32 vcc, s33, v13
                                        ; implicit-def: $vgpr12
	s_and_saveexec_b64 s[0:1], vcc
	s_cbranch_execz .LBB2292_27
; %bb.26:
	v_lshlrev_b32_e32 v12, 1, v13
	v_mov_b32_e32 v13, 0
	v_lshl_add_u64 v[12:13], v[2:3], 0, v[12:13]
	flat_load_ushort v12, v[12:13]
.LBB2292_27:
	s_or_b64 exec, exec, s[0:1]
	v_or_b32_e32 v15, 0x1400, v0
	v_cmp_gt_u32_e32 vcc, s33, v15
                                        ; implicit-def: $vgpr13
	s_and_saveexec_b64 s[0:1], vcc
	s_cbranch_execz .LBB2292_29
; %bb.28:
	v_lshlrev_b32_e32 v20, 1, v15
	v_mov_b32_e32 v21, 0
	v_lshl_add_u64 v[20:21], v[2:3], 0, v[20:21]
	flat_load_ushort v13, v[20:21]
.LBB2292_29:
	s_or_b64 exec, exec, s[0:1]
	v_or_b32_e32 v20, 0x1600, v0
	v_cmp_gt_u32_e32 vcc, s33, v20
                                        ; implicit-def: $vgpr15
	s_and_saveexec_b64 s[0:1], vcc
	s_cbranch_execz .LBB2292_31
; %bb.30:
	v_lshlrev_b32_e32 v20, 1, v20
	v_mov_b32_e32 v21, 0
	v_lshl_add_u64 v[20:21], v[2:3], 0, v[20:21]
	flat_load_ushort v15, v[20:21]
.LBB2292_31:
	s_or_b64 exec, exec, s[0:1]
	v_or_b32_e32 v21, 0x1800, v0
	v_cmp_gt_u32_e32 vcc, s33, v21
                                        ; implicit-def: $vgpr20
	s_and_saveexec_b64 s[0:1], vcc
	s_cbranch_execz .LBB2292_33
; %bb.32:
	v_lshlrev_b32_e32 v20, 1, v21
	v_mov_b32_e32 v21, 0
	v_lshl_add_u64 v[20:21], v[2:3], 0, v[20:21]
	flat_load_ushort v20, v[20:21]
.LBB2292_33:
	s_or_b64 exec, exec, s[0:1]
	v_or_b32_e32 v22, 0x1a00, v0
	v_cmp_gt_u32_e32 vcc, s33, v22
                                        ; implicit-def: $vgpr21
	s_and_saveexec_b64 s[0:1], vcc
	s_cbranch_execz .LBB2292_35
; %bb.34:
	v_lshlrev_b32_e32 v22, 1, v22
	v_mov_b32_e32 v23, 0
	v_lshl_add_u64 v[22:23], v[2:3], 0, v[22:23]
	flat_load_ushort v21, v[22:23]
.LBB2292_35:
	s_or_b64 exec, exec, s[0:1]
	v_or_b32_e32 v23, 0x1c00, v0
	v_cmp_gt_u32_e32 vcc, s33, v23
                                        ; implicit-def: $vgpr22
	s_and_saveexec_b64 s[0:1], vcc
	s_cbranch_execz .LBB2292_37
; %bb.36:
	v_lshlrev_b32_e32 v22, 1, v23
	v_mov_b32_e32 v23, 0
	v_lshl_add_u64 v[22:23], v[2:3], 0, v[22:23]
	flat_load_ushort v22, v[22:23]
.LBB2292_37:
	s_or_b64 exec, exec, s[0:1]
	v_or_b32_e32 v24, 0x1e00, v0
	v_cmp_gt_u32_e32 vcc, s33, v24
                                        ; implicit-def: $vgpr23
	s_and_saveexec_b64 s[0:1], vcc
	s_cbranch_execz .LBB2292_39
; %bb.38:
	v_lshlrev_b32_e32 v24, 1, v24
	v_mov_b32_e32 v25, 0
	v_lshl_add_u64 v[24:25], v[2:3], 0, v[24:25]
	flat_load_ushort v23, v[24:25]
.LBB2292_39:
	s_or_b64 exec, exec, s[0:1]
	v_or_b32_e32 v25, 0x2000, v0
	v_cmp_gt_u32_e32 vcc, s33, v25
                                        ; implicit-def: $vgpr24
	s_and_saveexec_b64 s[0:1], vcc
	s_cbranch_execz .LBB2292_41
; %bb.40:
	v_lshlrev_b32_e32 v24, 1, v25
	v_mov_b32_e32 v25, 0
	v_lshl_add_u64 v[24:25], v[2:3], 0, v[24:25]
	flat_load_ushort v24, v[24:25]
.LBB2292_41:
	s_or_b64 exec, exec, s[0:1]
	v_or_b32_e32 v26, 0x2200, v0
	v_cmp_gt_u32_e32 vcc, s33, v26
                                        ; implicit-def: $vgpr25
	s_and_saveexec_b64 s[0:1], vcc
	s_cbranch_execz .LBB2292_43
; %bb.42:
	v_lshlrev_b32_e32 v26, 1, v26
	v_mov_b32_e32 v27, 0
	v_lshl_add_u64 v[26:27], v[2:3], 0, v[26:27]
	flat_load_ushort v25, v[26:27]
.LBB2292_43:
	s_or_b64 exec, exec, s[0:1]
	v_or_b32_e32 v27, 0x2400, v0
	v_cmp_gt_u32_e32 vcc, s33, v27
                                        ; implicit-def: $vgpr26
	s_and_saveexec_b64 s[0:1], vcc
	s_cbranch_execz .LBB2292_45
; %bb.44:
	v_lshlrev_b32_e32 v26, 1, v27
	v_mov_b32_e32 v27, 0
	v_lshl_add_u64 v[26:27], v[2:3], 0, v[26:27]
	flat_load_ushort v26, v[26:27]
.LBB2292_45:
	s_or_b64 exec, exec, s[0:1]
	v_or_b32_e32 v28, 0x2600, v0
	v_cmp_gt_u32_e32 vcc, s33, v28
                                        ; implicit-def: $vgpr27
	s_and_saveexec_b64 s[0:1], vcc
	s_cbranch_execz .LBB2292_47
; %bb.46:
	v_lshlrev_b32_e32 v28, 1, v28
	v_mov_b32_e32 v29, 0
	v_lshl_add_u64 v[28:29], v[2:3], 0, v[28:29]
	flat_load_ushort v27, v[28:29]
.LBB2292_47:
	s_or_b64 exec, exec, s[0:1]
	v_or_b32_e32 v29, 0x2800, v0
	v_cmp_gt_u32_e32 vcc, s33, v29
                                        ; implicit-def: $vgpr28
	s_and_saveexec_b64 s[0:1], vcc
	s_cbranch_execz .LBB2292_49
; %bb.48:
	v_lshlrev_b32_e32 v28, 1, v29
	v_mov_b32_e32 v29, 0
	v_lshl_add_u64 v[28:29], v[2:3], 0, v[28:29]
	flat_load_ushort v28, v[28:29]
.LBB2292_49:
	s_or_b64 exec, exec, s[0:1]
	v_or_b32_e32 v30, 0x2a00, v0
	v_cmp_gt_u32_e32 vcc, s33, v30
                                        ; implicit-def: $vgpr29
	s_and_saveexec_b64 s[0:1], vcc
	s_cbranch_execz .LBB2292_51
; %bb.50:
	v_lshlrev_b32_e32 v30, 1, v30
	v_mov_b32_e32 v31, 0
	v_lshl_add_u64 v[30:31], v[2:3], 0, v[30:31]
	flat_load_ushort v29, v[30:31]
.LBB2292_51:
	s_or_b64 exec, exec, s[0:1]
	v_or_b32_e32 v31, 0x2c00, v0
	v_cmp_gt_u32_e32 vcc, s33, v31
                                        ; implicit-def: $vgpr30
	s_and_saveexec_b64 s[0:1], vcc
	s_cbranch_execz .LBB2292_53
; %bb.52:
	v_lshlrev_b32_e32 v30, 1, v31
	v_mov_b32_e32 v31, 0
	v_lshl_add_u64 v[30:31], v[2:3], 0, v[30:31]
	flat_load_ushort v30, v[30:31]
.LBB2292_53:
	s_or_b64 exec, exec, s[0:1]
	v_or_b32_e32 v32, 0x2e00, v0
	v_cmp_gt_u32_e32 vcc, s33, v32
                                        ; implicit-def: $vgpr31
	s_and_saveexec_b64 s[0:1], vcc
	s_cbranch_execz .LBB2292_55
; %bb.54:
	v_lshlrev_b32_e32 v32, 1, v32
	v_mov_b32_e32 v33, 0
	v_lshl_add_u64 v[32:33], v[2:3], 0, v[32:33]
	flat_load_ushort v31, v[32:33]
.LBB2292_55:
	s_or_b64 exec, exec, s[0:1]
	v_or_b32_e32 v33, 0x3000, v0
	v_cmp_gt_u32_e32 vcc, s33, v33
                                        ; implicit-def: $vgpr32
	s_and_saveexec_b64 s[0:1], vcc
	s_cbranch_execz .LBB2292_57
; %bb.56:
	v_lshlrev_b32_e32 v32, 1, v33
	v_mov_b32_e32 v33, 0
	v_lshl_add_u64 v[32:33], v[2:3], 0, v[32:33]
	flat_load_ushort v32, v[32:33]
.LBB2292_57:
	s_or_b64 exec, exec, s[0:1]
	v_or_b32_e32 v34, 0x3200, v0
	v_cmp_gt_u32_e32 vcc, s33, v34
                                        ; implicit-def: $vgpr33
	s_and_saveexec_b64 s[0:1], vcc
	s_cbranch_execz .LBB2292_59
; %bb.58:
	v_lshlrev_b32_e32 v34, 1, v34
	v_mov_b32_e32 v35, 0
	v_lshl_add_u64 v[34:35], v[2:3], 0, v[34:35]
	flat_load_ushort v33, v[34:35]
.LBB2292_59:
	s_or_b64 exec, exec, s[0:1]
	v_or_b32_e32 v35, 0x3400, v0
	v_cmp_gt_u32_e32 vcc, s33, v35
                                        ; implicit-def: $vgpr34
	s_and_saveexec_b64 s[0:1], vcc
	s_cbranch_execz .LBB2292_61
; %bb.60:
	v_lshlrev_b32_e32 v34, 1, v35
	v_mov_b32_e32 v35, 0
	v_lshl_add_u64 v[34:35], v[2:3], 0, v[34:35]
	flat_load_ushort v34, v[34:35]
.LBB2292_61:
	s_or_b64 exec, exec, s[0:1]
	v_or_b32_e32 v36, 0x3600, v0
	v_cmp_gt_u32_e32 vcc, s33, v36
                                        ; implicit-def: $vgpr35
	s_and_saveexec_b64 s[0:1], vcc
	s_cbranch_execz .LBB2292_63
; %bb.62:
	v_lshlrev_b32_e32 v36, 1, v36
	v_mov_b32_e32 v37, 0
	v_lshl_add_u64 v[2:3], v[2:3], 0, v[36:37]
	flat_load_ushort v35, v[2:3]
.LBB2292_63:
	s_or_b64 exec, exec, s[0:1]
	s_waitcnt vmcnt(0) lgkmcnt(0)
	ds_write_b16 v14, v1
	ds_write_b16 v14, v4 offset:1024
	ds_write_b16 v14, v5 offset:2048
	;; [unrolled: 1-line block ×27, first 2 shown]
	s_waitcnt lgkmcnt(0)
	s_barrier
.LBB2292_64:
	v_mul_u32_u24_e32 v1, 28, v0
	v_lshlrev_b32_e32 v6, 1, v1
	ds_read_b64 v[20:21], v6 offset:48
	ds_read2_b64 v[2:5], v6 offset0:4 offset1:5
	ds_read2_b64 v[10:13], v6 offset1:1
	ds_read2_b64 v[6:9], v6 offset0:2 offset1:3
	s_add_u32 s0, s2, s4
	s_addc_u32 s1, s3, s5
	v_lshl_add_u64 v[22:23], s[0:1], 0, v[18:19]
	s_mov_b64 s[0:1], -1
	s_and_b64 vcc, exec, s[28:29]
	s_waitcnt lgkmcnt(0)
	s_barrier
	s_cbranch_vccz .LBB2292_66
; %bb.65:
	v_mov_b32_e32 v15, 0
	v_readfirstlane_b32 s0, v22
	v_readfirstlane_b32 s1, v23
	v_lshl_add_u64 v[24:25], v[22:23], 0, v[14:15]
	s_nop 3
	global_load_ubyte v15, v14, s[0:1]
	global_load_ubyte v30, v14, s[0:1] offset:1024
	global_load_ubyte v31, v14, s[0:1] offset:2048
	;; [unrolled: 1-line block ×3, first 2 shown]
	s_movk_i32 s0, 0x1000
	v_add_co_u32_e32 v26, vcc, s0, v24
	s_movk_i32 s0, 0x2000
	s_nop 0
	v_addc_co_u32_e32 v27, vcc, 0, v25, vcc
	v_add_co_u32_e32 v28, vcc, s0, v24
	s_movk_i32 s0, 0x3000
	s_nop 0
	v_addc_co_u32_e32 v29, vcc, 0, v25, vcc
	global_load_ubyte v33, v[26:27], off offset:1024
	global_load_ubyte v34, v[26:27], off offset:2048
	;; [unrolled: 1-line block ×3, first 2 shown]
	global_load_ubyte v36, v[28:29], off offset:-4096
	global_load_ubyte v37, v[28:29], off
	global_load_ubyte v38, v[28:29], off offset:1024
	global_load_ubyte v39, v[28:29], off offset:2048
	;; [unrolled: 1-line block ×3, first 2 shown]
	v_add_co_u32_e32 v26, vcc, s0, v24
	s_movk_i32 s0, 0x4000
	s_nop 0
	v_addc_co_u32_e32 v27, vcc, 0, v25, vcc
	v_add_co_u32_e32 v28, vcc, s0, v24
	s_movk_i32 s1, 0x6000
	s_nop 0
	v_addc_co_u32_e32 v29, vcc, 0, v25, vcc
	global_load_ubyte v41, v[28:29], off offset:-4096
	global_load_ubyte v42, v[26:27], off offset:1024
	global_load_ubyte v43, v[26:27], off offset:2048
	global_load_ubyte v44, v[26:27], off offset:3072
	global_load_ubyte v45, v[28:29], off
	v_add_co_u32_e32 v26, vcc, s1, v24
	s_movk_i32 s0, 0x5000
	s_nop 0
	v_addc_co_u32_e32 v27, vcc, 0, v25, vcc
	v_add_co_u32_e32 v24, vcc, s0, v24
	global_load_ubyte v46, v[28:29], off offset:1024
	global_load_ubyte v47, v[28:29], off offset:2048
	;; [unrolled: 1-line block ×3, first 2 shown]
	global_load_ubyte v49, v[26:27], off offset:-4096
	v_addc_co_u32_e32 v25, vcc, 0, v25, vcc
	global_load_ubyte v28, v[24:25], off offset:1024
	global_load_ubyte v29, v[24:25], off offset:2048
	;; [unrolled: 1-line block ×3, first 2 shown]
	global_load_ubyte v51, v[26:27], off
	global_load_ubyte v52, v[26:27], off offset:1024
	global_load_ubyte v53, v[26:27], off offset:2048
	;; [unrolled: 1-line block ×3, first 2 shown]
	s_mov_b64 s[0:1], 0
	s_waitcnt vmcnt(27)
	v_xor_b32_e32 v15, -1, v15
	s_waitcnt vmcnt(26)
	v_xor_b32_e32 v24, -1, v30
	;; [unrolled: 2-line block ×4, first 2 shown]
	v_and_b32_e32 v15, 1, v15
	v_and_b32_e32 v24, 1, v24
	;; [unrolled: 1-line block ×4, first 2 shown]
	s_waitcnt vmcnt(23)
	v_xor_b32_e32 v30, -1, v33
	s_waitcnt vmcnt(22)
	v_xor_b32_e32 v31, -1, v34
	;; [unrolled: 2-line block ×8, first 2 shown]
	v_and_b32_e32 v27, 1, v27
	v_and_b32_e32 v30, 1, v30
	v_and_b32_e32 v31, 1, v31
	v_and_b32_e32 v32, 1, v32
	v_and_b32_e32 v33, 1, v33
	v_and_b32_e32 v34, 1, v34
	s_waitcnt vmcnt(15)
	v_xor_b32_e32 v37, -1, v41
	s_waitcnt vmcnt(14)
	v_xor_b32_e32 v38, -1, v42
	;; [unrolled: 2-line block ×5, first 2 shown]
	v_and_b32_e32 v35, 1, v35
	v_and_b32_e32 v36, 1, v36
	;; [unrolled: 1-line block ×4, first 2 shown]
	s_waitcnt vmcnt(10)
	v_xor_b32_e32 v42, -1, v46
	s_waitcnt vmcnt(9)
	v_xor_b32_e32 v43, -1, v47
	;; [unrolled: 2-line block ×11, first 2 shown]
	v_and_b32_e32 v39, 1, v39
	v_and_b32_e32 v40, 1, v40
	v_and_b32_e32 v41, 1, v41
	v_and_b32_e32 v42, 1, v42
	v_and_b32_e32 v43, 1, v43
	v_and_b32_e32 v44, 1, v44
	v_and_b32_e32 v45, 1, v45
	v_and_b32_e32 v28, 1, v28
	v_and_b32_e32 v29, 1, v29
	v_and_b32_e32 v46, 1, v46
	v_and_b32_e32 v47, 1, v47
	v_and_b32_e32 v48, 1, v48
	v_and_b32_e32 v49, 1, v49
	v_and_b32_e32 v50, 1, v50
	ds_write_b8 v0, v15
	ds_write_b8 v0, v24 offset:512
	ds_write_b8 v0, v25 offset:1024
	;; [unrolled: 1-line block ×27, first 2 shown]
	s_waitcnt lgkmcnt(0)
	s_barrier
.LBB2292_66:
	s_andn2_b64 vcc, exec, s[0:1]
	s_cbranch_vccnz .LBB2292_124
; %bb.67:
	v_cmp_gt_u32_e32 vcc, s33, v0
	v_mov_b32_e32 v15, 0
	v_mov_b32_e32 v24, 0
	s_and_saveexec_b64 s[0:1], vcc
	s_cbranch_execz .LBB2292_69
; %bb.68:
	v_readfirstlane_b32 s2, v22
	v_readfirstlane_b32 s3, v23
	s_nop 4
	global_load_ubyte v24, v14, s[2:3]
	s_waitcnt vmcnt(0)
	v_xor_b32_e32 v24, -1, v24
	v_and_b32_e32 v24, 1, v24
.LBB2292_69:
	s_or_b64 exec, exec, s[0:1]
	v_or_b32_e32 v25, 0x200, v0
	v_cmp_gt_u32_e32 vcc, s33, v25
	s_and_saveexec_b64 s[0:1], vcc
	s_cbranch_execz .LBB2292_71
; %bb.70:
	v_readfirstlane_b32 s2, v22
	v_readfirstlane_b32 s3, v23
	s_nop 4
	global_load_ubyte v15, v14, s[2:3] offset:1024
	s_waitcnt vmcnt(0)
	v_xor_b32_e32 v15, -1, v15
	v_and_b32_e32 v15, 1, v15
.LBB2292_71:
	s_or_b64 exec, exec, s[0:1]
	v_or_b32_e32 v25, 0x400, v0
	v_cmp_gt_u32_e32 vcc, s33, v25
	v_mov_b32_e32 v25, 0
	v_mov_b32_e32 v26, 0
	s_and_saveexec_b64 s[0:1], vcc
	s_cbranch_execz .LBB2292_73
; %bb.72:
	v_readfirstlane_b32 s2, v22
	v_readfirstlane_b32 s3, v23
	s_nop 4
	global_load_ubyte v26, v14, s[2:3] offset:2048
	s_waitcnt vmcnt(0)
	v_xor_b32_e32 v26, -1, v26
	v_and_b32_e32 v26, 1, v26
.LBB2292_73:
	s_or_b64 exec, exec, s[0:1]
	v_or_b32_e32 v27, 0x600, v0
	v_cmp_gt_u32_e32 vcc, s33, v27
	s_and_saveexec_b64 s[0:1], vcc
	s_cbranch_execz .LBB2292_75
; %bb.74:
	v_readfirstlane_b32 s2, v22
	v_readfirstlane_b32 s3, v23
	s_nop 4
	global_load_ubyte v25, v14, s[2:3] offset:3072
	s_waitcnt vmcnt(0)
	v_xor_b32_e32 v25, -1, v25
	v_and_b32_e32 v25, 1, v25
.LBB2292_75:
	s_or_b64 exec, exec, s[0:1]
	v_or_b32_e32 v29, 0x800, v0
	v_cmp_gt_u32_e32 vcc, s33, v29
	v_mov_b32_e32 v27, 0
	v_mov_b32_e32 v28, 0
	s_and_saveexec_b64 s[0:1], vcc
	s_cbranch_execz .LBB2292_77
; %bb.76:
	v_lshlrev_b32_e32 v28, 1, v29
	v_readfirstlane_b32 s2, v22
	v_readfirstlane_b32 s3, v23
	s_nop 4
	global_load_ubyte v28, v28, s[2:3]
	s_waitcnt vmcnt(0)
	v_xor_b32_e32 v28, -1, v28
	v_and_b32_e32 v28, 1, v28
.LBB2292_77:
	s_or_b64 exec, exec, s[0:1]
	v_or_b32_e32 v29, 0xa00, v0
	v_cmp_gt_u32_e32 vcc, s33, v29
	s_and_saveexec_b64 s[0:1], vcc
	s_cbranch_execz .LBB2292_79
; %bb.78:
	v_lshlrev_b32_e32 v27, 1, v29
	v_readfirstlane_b32 s2, v22
	v_readfirstlane_b32 s3, v23
	s_nop 4
	global_load_ubyte v27, v27, s[2:3]
	s_waitcnt vmcnt(0)
	v_xor_b32_e32 v27, -1, v27
	v_and_b32_e32 v27, 1, v27
.LBB2292_79:
	s_or_b64 exec, exec, s[0:1]
	v_or_b32_e32 v31, 0xc00, v0
	v_cmp_gt_u32_e32 vcc, s33, v31
	v_mov_b32_e32 v29, 0
	v_mov_b32_e32 v30, 0
	s_and_saveexec_b64 s[0:1], vcc
	s_cbranch_execz .LBB2292_81
; %bb.80:
	v_lshlrev_b32_e32 v30, 1, v31
	v_readfirstlane_b32 s2, v22
	v_readfirstlane_b32 s3, v23
	s_nop 4
	global_load_ubyte v30, v30, s[2:3]
	s_waitcnt vmcnt(0)
	v_xor_b32_e32 v30, -1, v30
	v_and_b32_e32 v30, 1, v30
.LBB2292_81:
	s_or_b64 exec, exec, s[0:1]
	v_or_b32_e32 v31, 0xe00, v0
	v_cmp_gt_u32_e32 vcc, s33, v31
	s_and_saveexec_b64 s[0:1], vcc
	s_cbranch_execz .LBB2292_83
; %bb.82:
	v_lshlrev_b32_e32 v29, 1, v31
	v_readfirstlane_b32 s2, v22
	v_readfirstlane_b32 s3, v23
	s_nop 4
	global_load_ubyte v29, v29, s[2:3]
	s_waitcnt vmcnt(0)
	v_xor_b32_e32 v29, -1, v29
	v_and_b32_e32 v29, 1, v29
.LBB2292_83:
	;; [unrolled: 32-line block ×12, first 2 shown]
	s_or_b64 exec, exec, s[0:1]
	ds_write_b8 v0, v24
	ds_write_b8 v0, v15 offset:512
	ds_write_b8 v0, v26 offset:1024
	;; [unrolled: 1-line block ×27, first 2 shown]
	s_waitcnt lgkmcnt(0)
	s_barrier
.LBB2292_124:
	ds_read2_b32 v[28:29], v1 offset1:1
	ds_read2_b32 v[26:27], v1 offset0:2 offset1:3
	ds_read2_b32 v[24:25], v1 offset0:4 offset1:5
	ds_read_b32 v38, v1 offset:24
	s_cmp_lg_u32 s40, 0
	v_lshrrev_b32_e32 v65, 6, v0
	s_waitcnt lgkmcnt(2)
	v_and_b32_e32 v57, 0xff, v26
	v_lshrrev_b32_e32 v45, 24, v28
	v_bfe_u32 v63, v28, 16, 8
	v_add_u32_sdwa v22, v28, v28 dst_sel:DWORD dst_unused:UNUSED_PAD src0_sel:BYTE_1 src1_sel:BYTE_0
	v_and_b32_e32 v60, 0xff, v29
	v_bfe_u32 v61, v29, 8, 8
	v_add3_u32 v22, v22, v63, v45
	v_lshrrev_b32_e32 v44, 24, v29
	v_bfe_u32 v62, v29, 16, 8
	v_add3_u32 v22, v22, v60, v61
	v_bfe_u32 v58, v26, 8, 8
	v_add3_u32 v22, v22, v62, v44
	v_lshrrev_b32_e32 v43, 24, v26
	v_bfe_u32 v59, v26, 16, 8
	v_add3_u32 v22, v22, v57, v58
	v_and_b32_e32 v54, 0xff, v27
	v_bfe_u32 v55, v27, 8, 8
	v_add3_u32 v22, v22, v59, v43
	v_lshrrev_b32_e32 v42, 24, v27
	v_bfe_u32 v56, v27, 16, 8
	v_add3_u32 v22, v22, v54, v55
	s_waitcnt lgkmcnt(1)
	v_and_b32_e32 v51, 0xff, v24
	v_bfe_u32 v52, v24, 8, 8
	v_add3_u32 v22, v22, v56, v42
	v_lshrrev_b32_e32 v41, 24, v24
	v_bfe_u32 v53, v24, 16, 8
	v_add3_u32 v22, v22, v51, v52
	v_and_b32_e32 v48, 0xff, v25
	v_bfe_u32 v49, v25, 8, 8
	v_add3_u32 v22, v22, v53, v41
	v_lshrrev_b32_e32 v40, 24, v25
	v_bfe_u32 v50, v25, 16, 8
	v_add3_u32 v22, v22, v48, v49
	s_waitcnt lgkmcnt(0)
	v_and_b32_e32 v46, 0xff, v38
	v_bfe_u32 v47, v38, 8, 8
	v_add3_u32 v22, v22, v50, v40
	v_lshrrev_b32_e32 v15, 24, v38
	v_bfe_u32 v39, v38, 16, 8
	v_add3_u32 v22, v22, v46, v47
	v_add3_u32 v66, v22, v39, v15
	v_mbcnt_lo_u32_b32 v22, -1, 0
	v_mbcnt_hi_u32_b32 v64, -1, v22
	v_and_b32_e32 v22, 15, v64
	v_cmp_eq_u32_e64 s[14:15], 0, v22
	v_cmp_lt_u32_e64 s[12:13], 1, v22
	v_cmp_lt_u32_e64 s[10:11], 3, v22
	;; [unrolled: 1-line block ×3, first 2 shown]
	v_and_b32_e32 v22, 16, v64
	v_cmp_eq_u32_e64 s[6:7], 0, v22
	v_or_b32_e32 v22, 63, v0
	v_cmp_lt_u32_e64 s[2:3], 31, v64
	v_cmp_eq_u32_e64 s[4:5], v22, v0
	s_barrier
	s_cbranch_scc0 .LBB2292_151
; %bb.125:
	v_mov_b32_dpp v22, v66 row_shr:1 row_mask:0xf bank_mask:0xf
	v_cndmask_b32_e64 v22, v22, 0, s[14:15]
	v_add_u32_e32 v22, v22, v66
	s_nop 1
	v_mov_b32_dpp v23, v22 row_shr:2 row_mask:0xf bank_mask:0xf
	v_cndmask_b32_e64 v23, 0, v23, s[12:13]
	v_add_u32_e32 v22, v22, v23
	s_nop 1
	;; [unrolled: 4-line block ×4, first 2 shown]
	v_mov_b32_dpp v23, v22 row_bcast:15 row_mask:0xf bank_mask:0xf
	v_cndmask_b32_e64 v23, v23, 0, s[6:7]
	v_add_u32_e32 v22, v22, v23
	s_nop 1
	v_mov_b32_dpp v23, v22 row_bcast:31 row_mask:0xf bank_mask:0xf
	v_cndmask_b32_e64 v23, 0, v23, s[2:3]
	v_add_u32_e32 v22, v22, v23
	s_and_saveexec_b64 s[0:1], s[4:5]
	s_cbranch_execz .LBB2292_127
; %bb.126:
	v_lshlrev_b32_e32 v23, 2, v65
	ds_write_b32 v23, v22
.LBB2292_127:
	s_or_b64 exec, exec, s[0:1]
	v_cmp_gt_u32_e32 vcc, 8, v0
	s_waitcnt lgkmcnt(0)
	s_barrier
	s_and_saveexec_b64 s[0:1], vcc
	s_cbranch_execz .LBB2292_129
; %bb.128:
	v_lshlrev_b32_e32 v23, 2, v0
	ds_read_b32 v30, v23
	v_and_b32_e32 v31, 7, v64
	v_cmp_ne_u32_e32 vcc, 0, v31
	s_waitcnt lgkmcnt(0)
	v_mov_b32_dpp v32, v30 row_shr:1 row_mask:0xf bank_mask:0xf
	v_cndmask_b32_e32 v32, 0, v32, vcc
	v_add_u32_e32 v30, v32, v30
	v_cmp_lt_u32_e32 vcc, 1, v31
	s_nop 0
	v_mov_b32_dpp v32, v30 row_shr:2 row_mask:0xf bank_mask:0xf
	v_cndmask_b32_e32 v32, 0, v32, vcc
	v_add_u32_e32 v30, v30, v32
	v_cmp_lt_u32_e32 vcc, 3, v31
	s_nop 0
	v_mov_b32_dpp v32, v30 row_shr:4 row_mask:0xf bank_mask:0xf
	v_cndmask_b32_e32 v31, 0, v32, vcc
	v_add_u32_e32 v30, v30, v31
	ds_write_b32 v23, v30
.LBB2292_129:
	s_or_b64 exec, exec, s[0:1]
	v_cmp_gt_u32_e32 vcc, 64, v0
	v_cmp_lt_u32_e64 s[0:1], 63, v0
	s_waitcnt lgkmcnt(0)
	s_barrier
	s_waitcnt lgkmcnt(0)
                                        ; implicit-def: $vgpr67
	s_and_saveexec_b64 s[16:17], s[0:1]
	s_cbranch_execz .LBB2292_131
; %bb.130:
	v_lshl_add_u32 v23, v65, 2, -4
	ds_read_b32 v67, v23
	s_waitcnt lgkmcnt(0)
	v_add_u32_e32 v22, v67, v22
.LBB2292_131:
	s_or_b64 exec, exec, s[16:17]
	v_add_u32_e32 v23, -1, v64
	v_and_b32_e32 v30, 64, v64
	v_cmp_lt_i32_e64 s[0:1], v23, v30
	v_cmp_eq_u32_e64 s[16:17], 0, v64
	s_nop 0
	v_cndmask_b32_e64 v23, v23, v64, s[0:1]
	v_lshlrev_b32_e32 v23, 2, v23
	ds_bpermute_b32 v68, v23, v22
	s_and_saveexec_b64 s[0:1], vcc
	s_cbranch_execz .LBB2292_150
; %bb.132:
	v_mov_b32_e32 v35, 0
	ds_read_b32 v22, v35 offset:28
	s_and_saveexec_b64 s[36:37], s[16:17]
	s_cbranch_execz .LBB2292_134
; %bb.133:
	s_add_i32 s38, s40, 64
	s_mov_b32 s39, 0
	s_lshl_b64 s[38:39], s[38:39], 3
	s_add_u32 s38, s34, s38
	v_mov_b32_e32 v23, 1
	s_addc_u32 s39, s35, s39
	s_waitcnt lgkmcnt(0)
	global_store_dwordx2 v35, v[22:23], s[38:39] sc1
.LBB2292_134:
	s_or_b64 exec, exec, s[36:37]
	v_xad_u32 v30, v64, -1, s40
	v_add_u32_e32 v34, 64, v30
	v_lshl_add_u64 v[36:37], v[34:35], 3, s[34:35]
	global_load_dwordx2 v[32:33], v[36:37], off sc1
	s_waitcnt vmcnt(0)
	v_cmp_eq_u16_sdwa s[38:39], v33, v35 src0_sel:BYTE_0 src1_sel:DWORD
	s_and_saveexec_b64 s[36:37], s[38:39]
	s_cbranch_execz .LBB2292_138
; %bb.135:
	s_mov_b64 s[38:39], 0
	v_mov_b32_e32 v23, 0
.LBB2292_136:                           ; =>This Inner Loop Header: Depth=1
	global_load_dwordx2 v[32:33], v[36:37], off sc1
	s_waitcnt vmcnt(0)
	v_cmp_ne_u16_sdwa s[42:43], v33, v23 src0_sel:BYTE_0 src1_sel:DWORD
	s_or_b64 s[38:39], s[42:43], s[38:39]
	s_andn2_b64 exec, exec, s[38:39]
	s_cbranch_execnz .LBB2292_136
; %bb.137:
	s_or_b64 exec, exec, s[38:39]
.LBB2292_138:
	s_or_b64 exec, exec, s[36:37]
	v_and_b32_e32 v70, 63, v64
	v_mov_b32_e32 v69, 2
	v_cmp_ne_u32_e32 vcc, 63, v70
	v_cmp_eq_u16_sdwa s[36:37], v33, v69 src0_sel:BYTE_0 src1_sel:DWORD
	v_lshlrev_b64 v[34:35], v64, -1
	v_addc_co_u32_e32 v36, vcc, 0, v64, vcc
	v_and_b32_e32 v23, s37, v35
	v_lshlrev_b32_e32 v71, 2, v36
	v_or_b32_e32 v23, 0x80000000, v23
	ds_bpermute_b32 v36, v71, v32
	v_and_b32_e32 v31, s36, v34
	v_ffbl_b32_e32 v23, v23
	v_add_u32_e32 v23, 32, v23
	v_ffbl_b32_e32 v31, v31
	v_min_u32_e32 v23, v31, v23
	v_cmp_lt_u32_e32 vcc, v70, v23
	v_add_u32_e32 v73, 2, v70
	v_add_u32_e32 v75, 4, v70
	s_waitcnt lgkmcnt(0)
	v_cndmask_b32_e32 v31, 0, v36, vcc
	v_cmp_gt_u32_e32 vcc, 62, v70
	v_add_u32_e32 v31, v31, v32
	v_add_u32_e32 v77, 8, v70
	v_cndmask_b32_e64 v32, 0, 1, vcc
	v_lshlrev_b32_e32 v32, 1, v32
	v_add_lshl_u32 v72, v32, v64, 2
	ds_bpermute_b32 v32, v72, v31
	v_cmp_le_u32_e32 vcc, v73, v23
	v_add_u32_e32 v79, 16, v70
	v_add_u32_e32 v81, 32, v70
	s_waitcnt lgkmcnt(0)
	v_cndmask_b32_e32 v32, 0, v32, vcc
	v_cmp_gt_u32_e32 vcc, 60, v70
	v_add_u32_e32 v31, v31, v32
	s_nop 0
	v_cndmask_b32_e64 v32, 0, 1, vcc
	v_lshlrev_b32_e32 v32, 2, v32
	v_add_lshl_u32 v74, v32, v64, 2
	ds_bpermute_b32 v32, v74, v31
	v_cmp_le_u32_e32 vcc, v75, v23
	s_waitcnt lgkmcnt(0)
	s_nop 0
	v_cndmask_b32_e32 v32, 0, v32, vcc
	v_cmp_gt_u32_e32 vcc, 56, v70
	v_add_u32_e32 v31, v31, v32
	s_nop 0
	v_cndmask_b32_e64 v32, 0, 1, vcc
	v_lshlrev_b32_e32 v32, 3, v32
	v_add_lshl_u32 v76, v32, v64, 2
	ds_bpermute_b32 v32, v76, v31
	v_cmp_le_u32_e32 vcc, v77, v23
	s_waitcnt lgkmcnt(0)
	s_nop 0
	;; [unrolled: 11-line block ×4, first 2 shown]
	v_cndmask_b32_e32 v23, 0, v32, vcc
	v_add_u32_e32 v32, v31, v23
	v_mov_b32_e32 v31, 0
	s_branch .LBB2292_140
.LBB2292_139:                           ;   in Loop: Header=BB2292_140 Depth=1
	s_or_b64 exec, exec, s[36:37]
	v_cmp_eq_u16_sdwa s[36:37], v33, v69 src0_sel:BYTE_0 src1_sel:DWORD
	ds_bpermute_b32 v82, v71, v32
	v_subrev_u32_e32 v30, 64, v30
	v_and_b32_e32 v36, s37, v35
	v_or_b32_e32 v36, 0x80000000, v36
	v_and_b32_e32 v37, s36, v34
	v_ffbl_b32_e32 v36, v36
	v_add_u32_e32 v36, 32, v36
	v_ffbl_b32_e32 v37, v37
	v_min_u32_e32 v36, v37, v36
	v_cmp_lt_u32_e32 vcc, v70, v36
	s_waitcnt lgkmcnt(0)
	s_nop 0
	v_cndmask_b32_e32 v37, 0, v82, vcc
	v_add_u32_e32 v32, v37, v32
	ds_bpermute_b32 v37, v72, v32
	v_cmp_le_u32_e32 vcc, v73, v36
	s_waitcnt lgkmcnt(0)
	s_nop 0
	v_cndmask_b32_e32 v37, 0, v37, vcc
	v_add_u32_e32 v32, v32, v37
	ds_bpermute_b32 v37, v74, v32
	v_cmp_le_u32_e32 vcc, v75, v36
	;; [unrolled: 6-line block ×5, first 2 shown]
	s_waitcnt lgkmcnt(0)
	s_nop 0
	v_cndmask_b32_e32 v36, 0, v37, vcc
	v_add3_u32 v32, v36, v23, v32
.LBB2292_140:                           ; =>This Loop Header: Depth=1
                                        ;     Child Loop BB2292_143 Depth 2
	v_cmp_ne_u16_sdwa s[36:37], v33, v69 src0_sel:BYTE_0 src1_sel:DWORD
	s_nop 1
	v_cndmask_b32_e64 v23, 0, 1, s[36:37]
	;;#ASMSTART
	;;#ASMEND
	s_nop 0
	v_cmp_ne_u32_e32 vcc, 0, v23
	s_cmp_lg_u64 vcc, exec
	v_mov_b32_e32 v23, v32
	s_cbranch_scc1 .LBB2292_145
; %bb.141:                              ;   in Loop: Header=BB2292_140 Depth=1
	v_lshl_add_u64 v[36:37], v[30:31], 3, s[34:35]
	global_load_dwordx2 v[32:33], v[36:37], off sc1
	s_waitcnt vmcnt(0)
	v_cmp_eq_u16_sdwa s[38:39], v33, v31 src0_sel:BYTE_0 src1_sel:DWORD
	s_and_saveexec_b64 s[36:37], s[38:39]
	s_cbranch_execz .LBB2292_139
; %bb.142:                              ;   in Loop: Header=BB2292_140 Depth=1
	s_mov_b64 s[38:39], 0
.LBB2292_143:                           ;   Parent Loop BB2292_140 Depth=1
                                        ; =>  This Inner Loop Header: Depth=2
	global_load_dwordx2 v[32:33], v[36:37], off sc1
	s_waitcnt vmcnt(0)
	v_cmp_ne_u16_sdwa s[42:43], v33, v31 src0_sel:BYTE_0 src1_sel:DWORD
	s_or_b64 s[38:39], s[42:43], s[38:39]
	s_andn2_b64 exec, exec, s[38:39]
	s_cbranch_execnz .LBB2292_143
; %bb.144:                              ;   in Loop: Header=BB2292_140 Depth=1
	s_or_b64 exec, exec, s[38:39]
	s_branch .LBB2292_139
.LBB2292_145:                           ;   in Loop: Header=BB2292_140 Depth=1
                                        ; implicit-def: $vgpr32
                                        ; implicit-def: $vgpr33
	s_cbranch_execz .LBB2292_140
; %bb.146:
	s_and_saveexec_b64 s[36:37], s[16:17]
	s_cbranch_execz .LBB2292_148
; %bb.147:
	s_add_i32 s38, s40, 64
	s_mov_b32 s39, 0
	s_lshl_b64 s[38:39], s[38:39], 3
	s_add_u32 s38, s34, s38
	v_add_u32_e32 v30, v23, v22
	v_mov_b32_e32 v31, 2
	s_addc_u32 s39, s35, s39
	v_mov_b32_e32 v32, 0
	global_store_dwordx2 v32, v[30:31], s[38:39] sc1
	ds_write_b64 v32, v[22:23] offset:28672
.LBB2292_148:
	s_or_b64 exec, exec, s[36:37]
	s_and_b64 exec, exec, s[18:19]
	s_cbranch_execz .LBB2292_150
; %bb.149:
	v_mov_b32_e32 v22, 0
	ds_write_b32 v22, v23 offset:28
.LBB2292_150:
	s_or_b64 exec, exec, s[0:1]
	v_mov_b32_e32 v22, 0
	s_waitcnt lgkmcnt(0)
	s_barrier
	ds_read_b32 v30, v22 offset:28
	s_waitcnt lgkmcnt(0)
	s_barrier
	ds_read_b64 v[22:23], v22 offset:28672
	v_cndmask_b32_e64 v31, v68, v67, s[16:17]
	v_cndmask_b32_e64 v31, v31, 0, s[18:19]
	v_add_u32_e32 v36, v30, v31
	s_waitcnt lgkmcnt(0)
	v_mov_b32_e32 v30, v23
	s_branch .LBB2292_161
.LBB2292_151:
                                        ; implicit-def: $vgpr30
                                        ; implicit-def: $vgpr22
                                        ; implicit-def: $vgpr36
	s_cbranch_execz .LBB2292_161
; %bb.152:
	s_nop 0
	v_mov_b32_dpp v22, v66 row_shr:1 row_mask:0xf bank_mask:0xf
	v_cndmask_b32_e64 v22, v22, 0, s[14:15]
	v_add_u32_e32 v22, v22, v66
	s_nop 1
	v_mov_b32_dpp v23, v22 row_shr:2 row_mask:0xf bank_mask:0xf
	v_cndmask_b32_e64 v23, 0, v23, s[12:13]
	v_add_u32_e32 v22, v22, v23
	;; [unrolled: 4-line block ×4, first 2 shown]
	s_nop 1
	v_mov_b32_dpp v23, v22 row_bcast:15 row_mask:0xf bank_mask:0xf
	v_cndmask_b32_e64 v23, v23, 0, s[6:7]
	v_add_u32_e32 v22, v22, v23
	s_nop 1
	v_mov_b32_dpp v23, v22 row_bcast:31 row_mask:0xf bank_mask:0xf
	v_cndmask_b32_e64 v23, 0, v23, s[2:3]
	v_add_u32_e32 v22, v22, v23
	s_and_saveexec_b64 s[0:1], s[4:5]
	s_cbranch_execz .LBB2292_154
; %bb.153:
	v_lshlrev_b32_e32 v23, 2, v65
	ds_write_b32 v23, v22
.LBB2292_154:
	s_or_b64 exec, exec, s[0:1]
	v_cmp_gt_u32_e32 vcc, 8, v0
	s_waitcnt lgkmcnt(0)
	s_barrier
	s_and_saveexec_b64 s[0:1], vcc
	s_cbranch_execz .LBB2292_156
; %bb.155:
	v_lshlrev_b32_e32 v23, 2, v0
	ds_read_b32 v30, v23
	v_and_b32_e32 v31, 7, v64
	v_cmp_ne_u32_e32 vcc, 0, v31
	s_waitcnt lgkmcnt(0)
	v_mov_b32_dpp v32, v30 row_shr:1 row_mask:0xf bank_mask:0xf
	v_cndmask_b32_e32 v32, 0, v32, vcc
	v_add_u32_e32 v30, v32, v30
	v_cmp_lt_u32_e32 vcc, 1, v31
	s_nop 0
	v_mov_b32_dpp v32, v30 row_shr:2 row_mask:0xf bank_mask:0xf
	v_cndmask_b32_e32 v32, 0, v32, vcc
	v_add_u32_e32 v30, v30, v32
	v_cmp_lt_u32_e32 vcc, 3, v31
	s_nop 0
	v_mov_b32_dpp v32, v30 row_shr:4 row_mask:0xf bank_mask:0xf
	v_cndmask_b32_e32 v31, 0, v32, vcc
	v_add_u32_e32 v30, v30, v31
	ds_write_b32 v23, v30
.LBB2292_156:
	s_or_b64 exec, exec, s[0:1]
	v_cmp_lt_u32_e32 vcc, 63, v0
	v_mov_b32_e32 v23, 0
	v_mov_b32_e32 v30, 0
	s_waitcnt lgkmcnt(0)
	s_barrier
	s_and_saveexec_b64 s[0:1], vcc
	s_cbranch_execz .LBB2292_158
; %bb.157:
	v_lshl_add_u32 v30, v65, 2, -4
	ds_read_b32 v30, v30
.LBB2292_158:
	s_or_b64 exec, exec, s[0:1]
	v_add_u32_e32 v31, -1, v64
	v_and_b32_e32 v32, 64, v64
	v_cmp_lt_i32_e32 vcc, v31, v32
	s_waitcnt lgkmcnt(0)
	v_add_u32_e32 v22, v30, v22
	v_cndmask_b32_e32 v31, v31, v64, vcc
	v_lshlrev_b32_e32 v31, 2, v31
	ds_bpermute_b32 v31, v31, v22
	ds_read_b32 v22, v23 offset:28
	s_and_saveexec_b64 s[0:1], s[18:19]
	s_cbranch_execz .LBB2292_160
; %bb.159:
	v_mov_b32_e32 v32, 0
	v_mov_b32_e32 v23, 2
	s_waitcnt lgkmcnt(0)
	global_store_dwordx2 v32, v[22:23], s[34:35] offset:512 sc1
.LBB2292_160:
	s_or_b64 exec, exec, s[0:1]
	v_cmp_eq_u32_e32 vcc, 0, v64
	s_waitcnt lgkmcnt(0)
	s_barrier
	v_cndmask_b32_e32 v23, v31, v30, vcc
	v_mov_b32_e32 v30, 0
	v_cndmask_b32_e64 v36, v23, 0, s[18:19]
.LBB2292_161:
	v_add_u32_sdwa v64, v36, v28 dst_sel:DWORD dst_unused:UNUSED_PAD src0_sel:DWORD src1_sel:BYTE_0
	v_add_u32_e32 v1, v22, v1
	v_sub_u32_e32 v36, v36, v30
	v_and_b32_e32 v73, 1, v28
	v_sub_u32_e32 v72, v1, v36
	v_cmp_eq_u32_e32 vcc, 1, v73
	v_lshrrev_b32_e32 v37, 8, v28
	v_add_u32_sdwa v65, v64, v28 dst_sel:DWORD dst_unused:UNUSED_PAD src0_sel:DWORD src1_sel:BYTE_1
	v_cndmask_b32_e32 v36, v72, v36, vcc
	v_lshlrev_b32_e32 v36, 1, v36
	ds_write_b16 v36, v10
	v_sub_u32_e32 v36, v64, v30
	v_sub_u32_e32 v64, v1, v36
	v_and_b32_e32 v37, 1, v37
	v_add_u32_e32 v64, 1, v64
	v_cmp_eq_u32_e32 vcc, 1, v37
	v_mov_b32_e32 v37, 1
	v_and_b32_sdwa v28, v37, v28 dst_sel:DWORD dst_unused:UNUSED_PAD src0_sel:DWORD src1_sel:WORD_1
	v_cndmask_b32_e32 v36, v64, v36, vcc
	v_lshlrev_b32_e32 v36, 1, v36
	ds_write_b16_d16_hi v36, v10
	v_sub_u32_e32 v10, v65, v30
	v_sub_u32_e32 v36, v1, v10
	v_add_u32_e32 v36, 2, v36
	v_cmp_eq_u32_e32 vcc, 1, v28
	v_add_u32_e32 v63, v65, v63
	v_add_u32_e32 v66, v63, v45
	v_cndmask_b32_e32 v10, v36, v10, vcc
	v_lshlrev_b32_e32 v10, 1, v10
	ds_write_b16 v10, v11
	v_sub_u32_e32 v10, v63, v30
	v_sub_u32_e32 v28, v1, v10
	v_and_b32_e32 v36, 1, v45
	v_add_u32_e32 v28, 3, v28
	v_cmp_eq_u32_e32 vcc, 1, v36
	v_add_u32_e32 v60, v66, v60
	v_lshrrev_b32_e32 v35, 8, v29
	v_cndmask_b32_e32 v10, v28, v10, vcc
	v_lshlrev_b32_e32 v10, 1, v10
	ds_write_b16_d16_hi v10, v11
	v_sub_u32_e32 v10, v66, v30
	v_sub_u32_e32 v11, v1, v10
	v_and_b32_e32 v28, 1, v29
	v_add_u32_e32 v11, 4, v11
	v_cmp_eq_u32_e32 vcc, 1, v28
	v_and_b32_e32 v28, 1, v35
	v_add_u32_e32 v61, v60, v61
	v_cndmask_b32_e32 v10, v11, v10, vcc
	v_lshlrev_b32_e32 v10, 1, v10
	ds_write_b16 v10, v12
	v_sub_u32_e32 v10, v60, v30
	v_sub_u32_e32 v11, v1, v10
	v_add_u32_e32 v11, 5, v11
	v_cmp_eq_u32_e32 vcc, 1, v28
	v_add_u32_e32 v62, v61, v62
	v_add_u32_e32 v67, v62, v44
	v_cndmask_b32_e32 v10, v11, v10, vcc
	v_lshlrev_b32_e32 v10, 1, v10
	ds_write_b16_d16_hi v10, v12
	v_sub_u32_e32 v10, v61, v30
	v_sub_u32_e32 v11, v1, v10
	v_and_b32_sdwa v12, v37, v29 dst_sel:DWORD dst_unused:UNUSED_PAD src0_sel:DWORD src1_sel:WORD_1
	v_add_u32_e32 v11, 6, v11
	v_cmp_eq_u32_e32 vcc, 1, v12
	v_and_b32_e32 v12, 1, v44
	v_add_u32_e32 v57, v67, v57
	v_cndmask_b32_e32 v10, v11, v10, vcc
	v_lshlrev_b32_e32 v10, 1, v10
	ds_write_b16 v10, v13
	v_sub_u32_e32 v10, v62, v30
	v_sub_u32_e32 v11, v1, v10
	v_add_u32_e32 v11, 7, v11
	v_cmp_eq_u32_e32 vcc, 1, v12
	v_and_b32_e32 v12, 1, v26
	v_lshrrev_b32_e32 v34, 8, v26
	v_cndmask_b32_e32 v10, v11, v10, vcc
	v_lshlrev_b32_e32 v10, 1, v10
	ds_write_b16_d16_hi v10, v13
	v_sub_u32_e32 v10, v67, v30
	v_sub_u32_e32 v11, v1, v10
	v_add_u32_e32 v11, 8, v11
	v_cmp_eq_u32_e32 vcc, 1, v12
	v_and_b32_e32 v12, 1, v34
	v_add_u32_e32 v58, v57, v58
	v_cndmask_b32_e32 v10, v11, v10, vcc
	v_lshlrev_b32_e32 v10, 1, v10
	ds_write_b16 v10, v6
	v_sub_u32_e32 v10, v57, v30
	v_sub_u32_e32 v11, v1, v10
	v_add_u32_e32 v11, 9, v11
	v_cmp_eq_u32_e32 vcc, 1, v12
	v_add_u32_e32 v59, v58, v59
	v_add_u32_e32 v68, v59, v43
	v_cndmask_b32_e32 v10, v11, v10, vcc
	v_lshlrev_b32_e32 v10, 1, v10
	ds_write_b16_d16_hi v10, v6
	v_sub_u32_e32 v6, v58, v30
	v_sub_u32_e32 v10, v1, v6
	v_and_b32_sdwa v11, v37, v26 dst_sel:DWORD dst_unused:UNUSED_PAD src0_sel:DWORD src1_sel:WORD_1
	v_add_u32_e32 v10, 10, v10
	v_cmp_eq_u32_e32 vcc, 1, v11
	v_and_b32_e32 v11, 1, v43
	v_add_u32_e32 v54, v68, v54
	v_cndmask_b32_e32 v6, v10, v6, vcc
	v_lshlrev_b32_e32 v6, 1, v6
	ds_write_b16 v6, v7
	v_sub_u32_e32 v6, v59, v30
	v_sub_u32_e32 v10, v1, v6
	v_add_u32_e32 v10, 11, v10
	v_cmp_eq_u32_e32 vcc, 1, v11
	v_lshrrev_b32_e32 v33, 8, v27
	v_add_u32_e32 v55, v54, v55
	v_cndmask_b32_e32 v6, v10, v6, vcc
	v_lshlrev_b32_e32 v6, 1, v6
	ds_write_b16_d16_hi v6, v7
	v_sub_u32_e32 v6, v68, v30
	v_sub_u32_e32 v7, v1, v6
	v_and_b32_e32 v10, 1, v27
	v_add_u32_e32 v7, 12, v7
	v_cmp_eq_u32_e32 vcc, 1, v10
	v_and_b32_e32 v10, 1, v33
	v_add_u32_e32 v56, v55, v56
	v_cndmask_b32_e32 v6, v7, v6, vcc
	v_lshlrev_b32_e32 v6, 1, v6
	ds_write_b16 v6, v8
	v_sub_u32_e32 v6, v54, v30
	v_sub_u32_e32 v7, v1, v6
	v_add_u32_e32 v7, 13, v7
	v_cmp_eq_u32_e32 vcc, 1, v10
	v_add_u32_e32 v69, v56, v42
	v_add_u32_e32 v51, v69, v51
	v_cndmask_b32_e32 v6, v7, v6, vcc
	v_lshlrev_b32_e32 v6, 1, v6
	ds_write_b16_d16_hi v6, v8
	v_sub_u32_e32 v6, v55, v30
	v_sub_u32_e32 v7, v1, v6
	v_and_b32_sdwa v8, v37, v27 dst_sel:DWORD dst_unused:UNUSED_PAD src0_sel:DWORD src1_sel:WORD_1
	v_add_u32_e32 v7, 14, v7
	v_cmp_eq_u32_e32 vcc, 1, v8
	v_and_b32_e32 v8, 1, v42
	v_lshrrev_b32_e32 v32, 8, v24
	v_cndmask_b32_e32 v6, v7, v6, vcc
	v_lshlrev_b32_e32 v6, 1, v6
	ds_write_b16 v6, v9
	v_sub_u32_e32 v6, v56, v30
	v_sub_u32_e32 v7, v1, v6
	v_add_u32_e32 v7, 15, v7
	v_cmp_eq_u32_e32 vcc, 1, v8
	v_and_b32_e32 v8, 1, v24
	v_add_u32_e32 v52, v51, v52
	v_cndmask_b32_e32 v6, v7, v6, vcc
	v_lshlrev_b32_e32 v6, 1, v6
	ds_write_b16_d16_hi v6, v9
	v_sub_u32_e32 v6, v69, v30
	v_sub_u32_e32 v7, v1, v6
	v_add_u32_e32 v7, 16, v7
	v_cmp_eq_u32_e32 vcc, 1, v8
	v_and_b32_e32 v8, 1, v32
	v_add_u32_e32 v53, v52, v53
	v_cndmask_b32_e32 v6, v7, v6, vcc
	v_lshlrev_b32_e32 v6, 1, v6
	ds_write_b16 v6, v2
	v_sub_u32_e32 v6, v51, v30
	v_sub_u32_e32 v7, v1, v6
	v_add_u32_e32 v7, 17, v7
	v_cmp_eq_u32_e32 vcc, 1, v8
	v_add_u32_e32 v70, v53, v41
	v_add_u32_e32 v48, v70, v48
	v_cndmask_b32_e32 v6, v7, v6, vcc
	v_lshlrev_b32_e32 v6, 1, v6
	ds_write_b16_d16_hi v6, v2
	v_sub_u32_e32 v2, v52, v30
	v_sub_u32_e32 v6, v1, v2
	v_and_b32_sdwa v7, v37, v24 dst_sel:DWORD dst_unused:UNUSED_PAD src0_sel:DWORD src1_sel:WORD_1
	v_add_u32_e32 v6, 18, v6
	v_cmp_eq_u32_e32 vcc, 1, v7
	v_and_b32_e32 v7, 1, v41
	v_lshrrev_b32_e32 v31, 8, v25
	v_cndmask_b32_e32 v2, v6, v2, vcc
	v_lshlrev_b32_e32 v2, 1, v2
	ds_write_b16 v2, v3
	v_sub_u32_e32 v2, v53, v30
	v_sub_u32_e32 v6, v1, v2
	v_add_u32_e32 v6, 19, v6
	v_cmp_eq_u32_e32 vcc, 1, v7
	v_add_u32_e32 v49, v48, v49
	v_add_u32_e32 v50, v49, v50
	v_cndmask_b32_e32 v2, v6, v2, vcc
	v_lshlrev_b32_e32 v2, 1, v2
	ds_write_b16_d16_hi v2, v3
	v_sub_u32_e32 v2, v70, v30
	v_sub_u32_e32 v3, v1, v2
	v_and_b32_e32 v6, 1, v25
	v_add_u32_e32 v3, 20, v3
	v_cmp_eq_u32_e32 vcc, 1, v6
	v_and_b32_e32 v6, 1, v31
	v_add_u32_e32 v71, v50, v40
	v_cndmask_b32_e32 v2, v3, v2, vcc
	v_lshlrev_b32_e32 v2, 1, v2
	ds_write_b16 v2, v4
	v_sub_u32_e32 v2, v48, v30
	v_sub_u32_e32 v3, v1, v2
	v_add_u32_e32 v3, 21, v3
	v_cmp_eq_u32_e32 vcc, 1, v6
	v_add_u32_e32 v46, v71, v46
	v_lshrrev_b32_e32 v23, 8, v38
	v_cndmask_b32_e32 v2, v3, v2, vcc
	v_lshlrev_b32_e32 v2, 1, v2
	ds_write_b16_d16_hi v2, v4
	v_sub_u32_e32 v2, v49, v30
	v_sub_u32_e32 v3, v1, v2
	v_and_b32_sdwa v4, v37, v25 dst_sel:DWORD dst_unused:UNUSED_PAD src0_sel:DWORD src1_sel:WORD_1
	v_add_u32_e32 v3, 22, v3
	v_cmp_eq_u32_e32 vcc, 1, v4
	v_and_b32_e32 v4, 1, v40
	v_add_u32_e32 v47, v46, v47
	v_cndmask_b32_e32 v2, v3, v2, vcc
	v_lshlrev_b32_e32 v2, 1, v2
	ds_write_b16 v2, v5
	v_sub_u32_e32 v2, v50, v30
	v_sub_u32_e32 v3, v1, v2
	v_add_u32_e32 v3, 23, v3
	v_cmp_eq_u32_e32 vcc, 1, v4
	v_and_b32_e32 v4, 1, v38
	v_mov_b32_e32 v31, 0
	v_cndmask_b32_e32 v2, v3, v2, vcc
	v_lshlrev_b32_e32 v2, 1, v2
	ds_write_b16_d16_hi v2, v5
	v_sub_u32_e32 v2, v71, v30
	v_sub_u32_e32 v3, v1, v2
	v_add_u32_e32 v3, 24, v3
	v_cmp_eq_u32_e32 vcc, 1, v4
	v_and_b32_e32 v4, 1, v23
	s_waitcnt vmcnt(0)
	v_lshl_add_u64 v[6:7], v[16:17], 0, v[30:31]
	v_cndmask_b32_e32 v2, v3, v2, vcc
	v_lshlrev_b32_e32 v2, 1, v2
	ds_write_b16 v2, v20
	v_sub_u32_e32 v2, v46, v30
	v_sub_u32_e32 v3, v1, v2
	v_add_u32_e32 v3, 25, v3
	v_cmp_eq_u32_e32 vcc, 1, v4
	v_and_b32_sdwa v4, v37, v38 dst_sel:DWORD dst_unused:UNUSED_PAD src0_sel:DWORD src1_sel:WORD_1
	v_mov_b32_e32 v23, v31
	v_cndmask_b32_e32 v2, v3, v2, vcc
	v_lshlrev_b32_e32 v2, 1, v2
	ds_write_b16_d16_hi v2, v20
	v_sub_u32_e32 v2, v47, v30
	v_sub_u32_e32 v3, v1, v2
	v_add_u32_e32 v3, 26, v3
	v_cmp_eq_u32_e32 vcc, 1, v4
	v_mov_b32_e32 v5, s31
	v_or_b32_e32 v69, 0x200, v0
	v_cndmask_b32_e32 v2, v3, v2, vcc
	v_lshlrev_b32_e32 v2, 1, v2
	ds_write_b16 v2, v21
	v_sub_u32_e32 v2, v39, v30
	v_add_u32_e32 v2, v47, v2
	v_sub_u32_e32 v1, v1, v2
	v_and_b32_e32 v3, 1, v15
	v_add_u32_e32 v1, 27, v1
	v_cmp_eq_u32_e32 vcc, 1, v3
	v_or_b32_e32 v67, 0x400, v0
	v_or_b32_e32 v65, 0x600, v0
	v_cndmask_b32_e32 v1, v1, v2, vcc
	v_lshlrev_b32_e32 v1, 1, v1
	ds_write_b16_d16_hi v1, v21
	s_waitcnt lgkmcnt(0)
	s_barrier
	ds_read_u16 v71, v14
	ds_read_u16 v70, v14 offset:1024
	ds_read_u16 v68, v14 offset:2048
	;; [unrolled: 1-line block ×27, first 2 shown]
	v_lshl_add_u64 v[2:3], v[6:7], 0, v[22:23]
	v_sub_co_u32_e32 v4, vcc, s30, v2
	v_lshlrev_b64 v[6:7], 1, v[6:7]
	s_nop 0
	v_subb_co_u32_e32 v5, vcc, v5, v3, vcc
	v_lshlrev_b64 v[4:5], 1, v[4:5]
	v_lshl_add_u64 v[4:5], s[26:27], 0, v[4:5]
	v_or_b32_e32 v63, 0x800, v0
	v_or_b32_e32 v61, 0xa00, v0
	v_or_b32_e32 v59, 0xc00, v0
	v_or_b32_e32 v57, 0xe00, v0
	v_or_b32_e32 v55, 0x1000, v0
	v_or_b32_e32 v53, 0x1200, v0
	v_or_b32_e32 v51, 0x1400, v0
	v_or_b32_e32 v49, 0x1600, v0
	v_or_b32_e32 v47, 0x1800, v0
	v_or_b32_e32 v45, 0x1a00, v0
	v_or_b32_e32 v43, 0x1c00, v0
	v_or_b32_e32 v41, 0x1e00, v0
	v_or_b32_e32 v39, 0x2000, v0
	v_or_b32_e32 v37, 0x2200, v0
	v_or_b32_e32 v35, 0x2400, v0
	v_or_b32_e32 v33, 0x2600, v0
	v_or_b32_e32 v29, 0x2800, v0
	v_or_b32_e32 v27, 0x2a00, v0
	v_or_b32_e32 v25, 0x2c00, v0
	v_or_b32_e32 v21, 0x2e00, v0
	v_or_b32_e32 v13, 0x3000, v0
	v_or_b32_e32 v11, 0x3200, v0
	v_or_b32_e32 v10, 0x3400, v0
	v_or_b32_e32 v8, 0x3600, v0
	v_lshl_add_u64 v[4:5], v[4:5], 0, v[18:19]
	s_andn2_b64 vcc, exec, s[28:29]
	v_lshl_add_u64 v[6:7], s[24:25], 0, v[6:7]
	s_cbranch_vccnz .LBB2292_163
; %bb.162:
	v_cmp_lt_u32_e32 vcc, v0, v22
	v_mov_b32_e32 v15, v31
	v_lshlrev_b32_e32 v30, 1, v63
	v_cndmask_b32_e32 v17, v5, v7, vcc
	v_cndmask_b32_e32 v16, v4, v6, vcc
	v_lshl_add_u64 v[16:17], v[16:17], 0, v[14:15]
	v_cmp_lt_u32_e32 vcc, v69, v22
	s_waitcnt lgkmcnt(14)
	global_store_short v[16:17], v71, off
	v_cndmask_b32_e32 v17, v5, v7, vcc
	v_cndmask_b32_e32 v16, v4, v6, vcc
	v_lshl_add_u64 v[16:17], v[16:17], 0, v[14:15]
	v_cmp_lt_u32_e32 vcc, v67, v22
	global_store_short v[16:17], v70, off offset:1024
	s_mov_b64 s[0:1], -1
	v_cndmask_b32_e32 v17, v5, v7, vcc
	v_cndmask_b32_e32 v16, v4, v6, vcc
	v_lshl_add_u64 v[16:17], v[16:17], 0, v[14:15]
	v_cmp_lt_u32_e32 vcc, v65, v22
	global_store_short v[16:17], v68, off offset:2048
	s_nop 0
	v_cndmask_b32_e32 v17, v5, v7, vcc
	v_cndmask_b32_e32 v16, v4, v6, vcc
	v_lshl_add_u64 v[16:17], v[16:17], 0, v[14:15]
	v_cmp_lt_u32_e32 vcc, v63, v22
	global_store_short v[16:17], v66, off offset:3072
	s_nop 0
	v_cndmask_b32_e32 v17, v5, v7, vcc
	v_cndmask_b32_e32 v16, v4, v6, vcc
	v_lshl_add_u64 v[16:17], v[16:17], 0, v[30:31]
	v_cmp_lt_u32_e32 vcc, v61, v22
	global_store_short v[16:17], v64, off
	v_lshlrev_b32_e32 v30, 1, v61
	v_cndmask_b32_e32 v17, v5, v7, vcc
	v_cndmask_b32_e32 v16, v4, v6, vcc
	v_lshl_add_u64 v[16:17], v[16:17], 0, v[30:31]
	v_cmp_lt_u32_e32 vcc, v59, v22
	global_store_short v[16:17], v62, off
	v_lshlrev_b32_e32 v30, 1, v59
	;; [unrolled: 6-line block ×10, first 2 shown]
	v_cndmask_b32_e32 v17, v5, v7, vcc
	v_cndmask_b32_e32 v16, v4, v6, vcc
	v_lshl_add_u64 v[16:17], v[16:17], 0, v[30:31]
	v_cmp_lt_u32_e32 vcc, v41, v22
	s_waitcnt lgkmcnt(13)
	global_store_short v[16:17], v44, off
	v_lshlrev_b32_e32 v30, 1, v41
	v_cndmask_b32_e32 v17, v5, v7, vcc
	v_cndmask_b32_e32 v16, v4, v6, vcc
	v_lshl_add_u64 v[16:17], v[16:17], 0, v[30:31]
	v_cmp_lt_u32_e32 vcc, v39, v22
	s_waitcnt lgkmcnt(12)
	global_store_short v[16:17], v42, off
	v_lshlrev_b32_e32 v30, 1, v39
	;; [unrolled: 7-line block ×12, first 2 shown]
	v_cndmask_b32_e32 v17, v5, v7, vcc
	v_cndmask_b32_e32 v16, v4, v6, vcc
	v_lshl_add_u64 v[16:17], v[16:17], 0, v[30:31]
	s_waitcnt lgkmcnt(1)
	global_store_short v[16:17], v9, off
	s_cbranch_execz .LBB2292_164
	s_branch .LBB2292_193
.LBB2292_163:
	s_mov_b64 s[0:1], 0
.LBB2292_164:
	v_cmp_gt_u32_e32 vcc, s33, v0
	s_and_saveexec_b64 s[0:1], vcc
	s_cbranch_execnz .LBB2292_198
; %bb.165:
	s_or_b64 exec, exec, s[0:1]
	v_cmp_gt_u32_e32 vcc, s33, v69
	s_and_saveexec_b64 s[0:1], vcc
	s_cbranch_execnz .LBB2292_199
.LBB2292_166:
	s_or_b64 exec, exec, s[0:1]
	v_cmp_gt_u32_e32 vcc, s33, v67
	s_and_saveexec_b64 s[0:1], vcc
	s_cbranch_execnz .LBB2292_200
.LBB2292_167:
	s_or_b64 exec, exec, s[0:1]
	v_cmp_gt_u32_e32 vcc, s33, v65
	s_and_saveexec_b64 s[0:1], vcc
	s_cbranch_execnz .LBB2292_201
.LBB2292_168:
	s_or_b64 exec, exec, s[0:1]
	v_cmp_gt_u32_e32 vcc, s33, v63
	s_and_saveexec_b64 s[0:1], vcc
	s_cbranch_execnz .LBB2292_202
.LBB2292_169:
	s_or_b64 exec, exec, s[0:1]
	v_cmp_gt_u32_e32 vcc, s33, v61
	s_and_saveexec_b64 s[0:1], vcc
	s_cbranch_execnz .LBB2292_203
.LBB2292_170:
	s_or_b64 exec, exec, s[0:1]
	v_cmp_gt_u32_e32 vcc, s33, v59
	s_and_saveexec_b64 s[0:1], vcc
	s_cbranch_execnz .LBB2292_204
.LBB2292_171:
	s_or_b64 exec, exec, s[0:1]
	v_cmp_gt_u32_e32 vcc, s33, v57
	s_and_saveexec_b64 s[0:1], vcc
	s_cbranch_execnz .LBB2292_205
.LBB2292_172:
	s_or_b64 exec, exec, s[0:1]
	v_cmp_gt_u32_e32 vcc, s33, v55
	s_and_saveexec_b64 s[0:1], vcc
	s_cbranch_execnz .LBB2292_206
.LBB2292_173:
	s_or_b64 exec, exec, s[0:1]
	v_cmp_gt_u32_e32 vcc, s33, v53
	s_and_saveexec_b64 s[0:1], vcc
	s_cbranch_execnz .LBB2292_207
.LBB2292_174:
	s_or_b64 exec, exec, s[0:1]
	v_cmp_gt_u32_e32 vcc, s33, v51
	s_and_saveexec_b64 s[0:1], vcc
	s_cbranch_execnz .LBB2292_208
.LBB2292_175:
	s_or_b64 exec, exec, s[0:1]
	v_cmp_gt_u32_e32 vcc, s33, v49
	s_and_saveexec_b64 s[0:1], vcc
	s_cbranch_execnz .LBB2292_209
.LBB2292_176:
	s_or_b64 exec, exec, s[0:1]
	v_cmp_gt_u32_e32 vcc, s33, v47
	s_and_saveexec_b64 s[0:1], vcc
	s_cbranch_execnz .LBB2292_210
.LBB2292_177:
	s_or_b64 exec, exec, s[0:1]
	v_cmp_gt_u32_e32 vcc, s33, v45
	s_and_saveexec_b64 s[0:1], vcc
	s_cbranch_execnz .LBB2292_211
.LBB2292_178:
	s_or_b64 exec, exec, s[0:1]
	v_cmp_gt_u32_e32 vcc, s33, v43
	s_and_saveexec_b64 s[0:1], vcc
	s_cbranch_execnz .LBB2292_212
.LBB2292_179:
	s_or_b64 exec, exec, s[0:1]
	v_cmp_gt_u32_e32 vcc, s33, v41
	s_and_saveexec_b64 s[0:1], vcc
	s_cbranch_execnz .LBB2292_213
.LBB2292_180:
	s_or_b64 exec, exec, s[0:1]
	v_cmp_gt_u32_e32 vcc, s33, v39
	s_and_saveexec_b64 s[0:1], vcc
	s_cbranch_execnz .LBB2292_214
.LBB2292_181:
	s_or_b64 exec, exec, s[0:1]
	v_cmp_gt_u32_e32 vcc, s33, v37
	s_and_saveexec_b64 s[0:1], vcc
	s_cbranch_execnz .LBB2292_215
.LBB2292_182:
	s_or_b64 exec, exec, s[0:1]
	v_cmp_gt_u32_e32 vcc, s33, v35
	s_and_saveexec_b64 s[0:1], vcc
	s_cbranch_execnz .LBB2292_216
.LBB2292_183:
	s_or_b64 exec, exec, s[0:1]
	v_cmp_gt_u32_e32 vcc, s33, v33
	s_and_saveexec_b64 s[0:1], vcc
	s_cbranch_execnz .LBB2292_217
.LBB2292_184:
	s_or_b64 exec, exec, s[0:1]
	v_cmp_gt_u32_e32 vcc, s33, v29
	s_and_saveexec_b64 s[0:1], vcc
	s_cbranch_execnz .LBB2292_218
.LBB2292_185:
	s_or_b64 exec, exec, s[0:1]
	v_cmp_gt_u32_e32 vcc, s33, v27
	s_and_saveexec_b64 s[0:1], vcc
	s_cbranch_execnz .LBB2292_219
.LBB2292_186:
	s_or_b64 exec, exec, s[0:1]
	v_cmp_gt_u32_e32 vcc, s33, v25
	s_and_saveexec_b64 s[0:1], vcc
	s_cbranch_execnz .LBB2292_220
.LBB2292_187:
	s_or_b64 exec, exec, s[0:1]
	v_cmp_gt_u32_e32 vcc, s33, v21
	s_and_saveexec_b64 s[0:1], vcc
	s_cbranch_execnz .LBB2292_221
.LBB2292_188:
	s_or_b64 exec, exec, s[0:1]
	v_cmp_gt_u32_e32 vcc, s33, v13
	s_and_saveexec_b64 s[0:1], vcc
	s_cbranch_execnz .LBB2292_222
.LBB2292_189:
	s_or_b64 exec, exec, s[0:1]
	v_cmp_gt_u32_e32 vcc, s33, v11
	s_and_saveexec_b64 s[0:1], vcc
	s_cbranch_execnz .LBB2292_223
.LBB2292_190:
	s_or_b64 exec, exec, s[0:1]
	v_cmp_gt_u32_e32 vcc, s33, v10
	s_and_saveexec_b64 s[0:1], vcc
	s_cbranch_execz .LBB2292_192
.LBB2292_191:
	v_cmp_lt_u32_e32 vcc, v10, v22
	v_lshlrev_b32_e32 v10, 1, v10
	v_mov_b32_e32 v11, 0
	v_cndmask_b32_e32 v13, v5, v7, vcc
	s_waitcnt lgkmcnt(2)
	v_cndmask_b32_e32 v12, v4, v6, vcc
	v_lshl_add_u64 v[10:11], v[12:13], 0, v[10:11]
	s_waitcnt lgkmcnt(1)
	global_store_short v[10:11], v9, off
.LBB2292_192:
	s_or_b64 exec, exec, s[0:1]
	v_cmp_gt_u32_e64 s[0:1], s33, v8
.LBB2292_193:
	s_and_saveexec_b64 s[2:3], s[0:1]
	s_cbranch_execnz .LBB2292_196
; %bb.194:
	s_or_b64 exec, exec, s[2:3]
	s_and_b64 s[0:1], s[18:19], s[22:23]
	s_and_saveexec_b64 s[2:3], s[0:1]
	s_cbranch_execnz .LBB2292_197
.LBB2292_195:
	s_endpgm
.LBB2292_196:
	v_cmp_lt_u32_e32 vcc, v8, v22
	s_nop 1
	v_cndmask_b32_e32 v5, v5, v7, vcc
	v_cndmask_b32_e32 v4, v4, v6, vcc
	v_lshlrev_b32_e32 v6, 1, v8
	v_mov_b32_e32 v7, 0
	v_lshl_add_u64 v[4:5], v[4:5], 0, v[6:7]
	s_waitcnt lgkmcnt(0)
	global_store_short v[4:5], v1, off
	s_or_b64 exec, exec, s[2:3]
	s_and_b64 s[0:1], s[18:19], s[22:23]
	s_and_saveexec_b64 s[2:3], s[0:1]
	s_cbranch_execz .LBB2292_195
.LBB2292_197:
	v_mov_b32_e32 v0, 0
	global_store_dwordx2 v0, v[2:3], s[20:21]
	s_endpgm
.LBB2292_198:
	v_cmp_lt_u32_e32 vcc, v0, v22
	v_mov_b32_e32 v15, 0
	s_nop 0
	v_cndmask_b32_e32 v17, v5, v7, vcc
	v_cndmask_b32_e32 v16, v4, v6, vcc
	v_lshl_add_u64 v[16:17], v[16:17], 0, v[14:15]
	s_waitcnt lgkmcnt(14)
	global_store_short v[16:17], v71, off
	s_or_b64 exec, exec, s[0:1]
	v_cmp_gt_u32_e32 vcc, s33, v69
	s_and_saveexec_b64 s[0:1], vcc
	s_cbranch_execz .LBB2292_166
.LBB2292_199:
	v_cmp_lt_u32_e32 vcc, v69, v22
	v_mov_b32_e32 v15, 0
	s_nop 0
	v_cndmask_b32_e32 v17, v5, v7, vcc
	v_cndmask_b32_e32 v16, v4, v6, vcc
	v_lshl_add_u64 v[16:17], v[16:17], 0, v[14:15]
	s_waitcnt lgkmcnt(14)
	global_store_short v[16:17], v70, off offset:1024
	s_or_b64 exec, exec, s[0:1]
	v_cmp_gt_u32_e32 vcc, s33, v67
	s_and_saveexec_b64 s[0:1], vcc
	s_cbranch_execz .LBB2292_167
.LBB2292_200:
	v_cmp_lt_u32_e32 vcc, v67, v22
	v_mov_b32_e32 v15, 0
	s_nop 0
	v_cndmask_b32_e32 v17, v5, v7, vcc
	v_cndmask_b32_e32 v16, v4, v6, vcc
	v_lshl_add_u64 v[16:17], v[16:17], 0, v[14:15]
	s_waitcnt lgkmcnt(14)
	global_store_short v[16:17], v68, off offset:2048
	s_or_b64 exec, exec, s[0:1]
	v_cmp_gt_u32_e32 vcc, s33, v65
	s_and_saveexec_b64 s[0:1], vcc
	s_cbranch_execz .LBB2292_168
.LBB2292_201:
	v_cmp_lt_u32_e32 vcc, v65, v22
	v_mov_b32_e32 v15, 0
	s_nop 0
	v_cndmask_b32_e32 v17, v5, v7, vcc
	v_cndmask_b32_e32 v16, v4, v6, vcc
	v_lshl_add_u64 v[14:15], v[16:17], 0, v[14:15]
	s_waitcnt lgkmcnt(14)
	global_store_short v[14:15], v66, off offset:3072
	s_or_b64 exec, exec, s[0:1]
	v_cmp_gt_u32_e32 vcc, s33, v63
	s_and_saveexec_b64 s[0:1], vcc
	s_cbranch_execz .LBB2292_169
.LBB2292_202:
	v_cmp_lt_u32_e32 vcc, v63, v22
	v_lshlrev_b32_e32 v16, 1, v63
	v_mov_b32_e32 v17, 0
	v_cndmask_b32_e32 v15, v5, v7, vcc
	v_cndmask_b32_e32 v14, v4, v6, vcc
	v_lshl_add_u64 v[14:15], v[14:15], 0, v[16:17]
	s_waitcnt lgkmcnt(14)
	global_store_short v[14:15], v64, off
	s_or_b64 exec, exec, s[0:1]
	v_cmp_gt_u32_e32 vcc, s33, v61
	s_and_saveexec_b64 s[0:1], vcc
	s_cbranch_execz .LBB2292_170
.LBB2292_203:
	v_cmp_lt_u32_e32 vcc, v61, v22
	v_lshlrev_b32_e32 v16, 1, v61
	v_mov_b32_e32 v17, 0
	v_cndmask_b32_e32 v15, v5, v7, vcc
	v_cndmask_b32_e32 v14, v4, v6, vcc
	v_lshl_add_u64 v[14:15], v[14:15], 0, v[16:17]
	s_waitcnt lgkmcnt(14)
	global_store_short v[14:15], v62, off
	s_or_b64 exec, exec, s[0:1]
	v_cmp_gt_u32_e32 vcc, s33, v59
	s_and_saveexec_b64 s[0:1], vcc
	s_cbranch_execz .LBB2292_171
.LBB2292_204:
	v_cmp_lt_u32_e32 vcc, v59, v22
	v_lshlrev_b32_e32 v16, 1, v59
	v_mov_b32_e32 v17, 0
	v_cndmask_b32_e32 v15, v5, v7, vcc
	v_cndmask_b32_e32 v14, v4, v6, vcc
	v_lshl_add_u64 v[14:15], v[14:15], 0, v[16:17]
	s_waitcnt lgkmcnt(14)
	global_store_short v[14:15], v60, off
	s_or_b64 exec, exec, s[0:1]
	v_cmp_gt_u32_e32 vcc, s33, v57
	s_and_saveexec_b64 s[0:1], vcc
	s_cbranch_execz .LBB2292_172
.LBB2292_205:
	v_cmp_lt_u32_e32 vcc, v57, v22
	v_lshlrev_b32_e32 v16, 1, v57
	v_mov_b32_e32 v17, 0
	v_cndmask_b32_e32 v15, v5, v7, vcc
	v_cndmask_b32_e32 v14, v4, v6, vcc
	v_lshl_add_u64 v[14:15], v[14:15], 0, v[16:17]
	s_waitcnt lgkmcnt(14)
	global_store_short v[14:15], v58, off
	s_or_b64 exec, exec, s[0:1]
	v_cmp_gt_u32_e32 vcc, s33, v55
	s_and_saveexec_b64 s[0:1], vcc
	s_cbranch_execz .LBB2292_173
.LBB2292_206:
	v_cmp_lt_u32_e32 vcc, v55, v22
	v_lshlrev_b32_e32 v16, 1, v55
	v_mov_b32_e32 v17, 0
	v_cndmask_b32_e32 v15, v5, v7, vcc
	v_cndmask_b32_e32 v14, v4, v6, vcc
	v_lshl_add_u64 v[14:15], v[14:15], 0, v[16:17]
	s_waitcnt lgkmcnt(14)
	global_store_short v[14:15], v56, off
	s_or_b64 exec, exec, s[0:1]
	v_cmp_gt_u32_e32 vcc, s33, v53
	s_and_saveexec_b64 s[0:1], vcc
	s_cbranch_execz .LBB2292_174
.LBB2292_207:
	v_cmp_lt_u32_e32 vcc, v53, v22
	v_lshlrev_b32_e32 v16, 1, v53
	v_mov_b32_e32 v17, 0
	v_cndmask_b32_e32 v15, v5, v7, vcc
	v_cndmask_b32_e32 v14, v4, v6, vcc
	v_lshl_add_u64 v[14:15], v[14:15], 0, v[16:17]
	s_waitcnt lgkmcnt(14)
	global_store_short v[14:15], v54, off
	s_or_b64 exec, exec, s[0:1]
	v_cmp_gt_u32_e32 vcc, s33, v51
	s_and_saveexec_b64 s[0:1], vcc
	s_cbranch_execz .LBB2292_175
.LBB2292_208:
	v_cmp_lt_u32_e32 vcc, v51, v22
	v_lshlrev_b32_e32 v16, 1, v51
	v_mov_b32_e32 v17, 0
	v_cndmask_b32_e32 v15, v5, v7, vcc
	v_cndmask_b32_e32 v14, v4, v6, vcc
	v_lshl_add_u64 v[14:15], v[14:15], 0, v[16:17]
	s_waitcnt lgkmcnt(14)
	global_store_short v[14:15], v52, off
	s_or_b64 exec, exec, s[0:1]
	v_cmp_gt_u32_e32 vcc, s33, v49
	s_and_saveexec_b64 s[0:1], vcc
	s_cbranch_execz .LBB2292_176
.LBB2292_209:
	v_cmp_lt_u32_e32 vcc, v49, v22
	v_lshlrev_b32_e32 v16, 1, v49
	v_mov_b32_e32 v17, 0
	v_cndmask_b32_e32 v15, v5, v7, vcc
	v_cndmask_b32_e32 v14, v4, v6, vcc
	v_lshl_add_u64 v[14:15], v[14:15], 0, v[16:17]
	s_waitcnt lgkmcnt(14)
	global_store_short v[14:15], v50, off
	s_or_b64 exec, exec, s[0:1]
	v_cmp_gt_u32_e32 vcc, s33, v47
	s_and_saveexec_b64 s[0:1], vcc
	s_cbranch_execz .LBB2292_177
.LBB2292_210:
	v_cmp_lt_u32_e32 vcc, v47, v22
	v_lshlrev_b32_e32 v16, 1, v47
	v_mov_b32_e32 v17, 0
	v_cndmask_b32_e32 v15, v5, v7, vcc
	v_cndmask_b32_e32 v14, v4, v6, vcc
	v_lshl_add_u64 v[14:15], v[14:15], 0, v[16:17]
	s_waitcnt lgkmcnt(14)
	global_store_short v[14:15], v48, off
	s_or_b64 exec, exec, s[0:1]
	v_cmp_gt_u32_e32 vcc, s33, v45
	s_and_saveexec_b64 s[0:1], vcc
	s_cbranch_execz .LBB2292_178
.LBB2292_211:
	v_cmp_lt_u32_e32 vcc, v45, v22
	v_lshlrev_b32_e32 v16, 1, v45
	v_mov_b32_e32 v17, 0
	v_cndmask_b32_e32 v15, v5, v7, vcc
	v_cndmask_b32_e32 v14, v4, v6, vcc
	v_lshl_add_u64 v[14:15], v[14:15], 0, v[16:17]
	s_waitcnt lgkmcnt(14)
	global_store_short v[14:15], v46, off
	s_or_b64 exec, exec, s[0:1]
	v_cmp_gt_u32_e32 vcc, s33, v43
	s_and_saveexec_b64 s[0:1], vcc
	s_cbranch_execz .LBB2292_179
.LBB2292_212:
	v_cmp_lt_u32_e32 vcc, v43, v22
	v_lshlrev_b32_e32 v16, 1, v43
	v_mov_b32_e32 v17, 0
	v_cndmask_b32_e32 v15, v5, v7, vcc
	v_cndmask_b32_e32 v14, v4, v6, vcc
	v_lshl_add_u64 v[14:15], v[14:15], 0, v[16:17]
	s_waitcnt lgkmcnt(13)
	global_store_short v[14:15], v44, off
	s_or_b64 exec, exec, s[0:1]
	v_cmp_gt_u32_e32 vcc, s33, v41
	s_and_saveexec_b64 s[0:1], vcc
	s_cbranch_execz .LBB2292_180
.LBB2292_213:
	v_cmp_lt_u32_e32 vcc, v41, v22
	v_lshlrev_b32_e32 v16, 1, v41
	v_mov_b32_e32 v17, 0
	v_cndmask_b32_e32 v15, v5, v7, vcc
	v_cndmask_b32_e32 v14, v4, v6, vcc
	v_lshl_add_u64 v[14:15], v[14:15], 0, v[16:17]
	s_waitcnt lgkmcnt(12)
	global_store_short v[14:15], v42, off
	s_or_b64 exec, exec, s[0:1]
	v_cmp_gt_u32_e32 vcc, s33, v39
	s_and_saveexec_b64 s[0:1], vcc
	s_cbranch_execz .LBB2292_181
.LBB2292_214:
	v_cmp_lt_u32_e32 vcc, v39, v22
	v_lshlrev_b32_e32 v16, 1, v39
	v_mov_b32_e32 v17, 0
	v_cndmask_b32_e32 v15, v5, v7, vcc
	v_cndmask_b32_e32 v14, v4, v6, vcc
	v_lshl_add_u64 v[14:15], v[14:15], 0, v[16:17]
	s_waitcnt lgkmcnt(11)
	global_store_short v[14:15], v40, off
	s_or_b64 exec, exec, s[0:1]
	v_cmp_gt_u32_e32 vcc, s33, v37
	s_and_saveexec_b64 s[0:1], vcc
	s_cbranch_execz .LBB2292_182
.LBB2292_215:
	v_cmp_lt_u32_e32 vcc, v37, v22
	v_lshlrev_b32_e32 v16, 1, v37
	v_mov_b32_e32 v17, 0
	v_cndmask_b32_e32 v15, v5, v7, vcc
	v_cndmask_b32_e32 v14, v4, v6, vcc
	v_lshl_add_u64 v[14:15], v[14:15], 0, v[16:17]
	s_waitcnt lgkmcnt(10)
	global_store_short v[14:15], v38, off
	s_or_b64 exec, exec, s[0:1]
	v_cmp_gt_u32_e32 vcc, s33, v35
	s_and_saveexec_b64 s[0:1], vcc
	s_cbranch_execz .LBB2292_183
.LBB2292_216:
	v_cmp_lt_u32_e32 vcc, v35, v22
	v_lshlrev_b32_e32 v16, 1, v35
	v_mov_b32_e32 v17, 0
	v_cndmask_b32_e32 v15, v5, v7, vcc
	v_cndmask_b32_e32 v14, v4, v6, vcc
	v_lshl_add_u64 v[14:15], v[14:15], 0, v[16:17]
	s_waitcnt lgkmcnt(9)
	global_store_short v[14:15], v36, off
	s_or_b64 exec, exec, s[0:1]
	v_cmp_gt_u32_e32 vcc, s33, v33
	s_and_saveexec_b64 s[0:1], vcc
	s_cbranch_execz .LBB2292_184
.LBB2292_217:
	v_cmp_lt_u32_e32 vcc, v33, v22
	v_lshlrev_b32_e32 v16, 1, v33
	v_mov_b32_e32 v17, 0
	v_cndmask_b32_e32 v15, v5, v7, vcc
	v_cndmask_b32_e32 v14, v4, v6, vcc
	v_lshl_add_u64 v[14:15], v[14:15], 0, v[16:17]
	s_waitcnt lgkmcnt(8)
	global_store_short v[14:15], v34, off
	s_or_b64 exec, exec, s[0:1]
	v_cmp_gt_u32_e32 vcc, s33, v29
	s_and_saveexec_b64 s[0:1], vcc
	s_cbranch_execz .LBB2292_185
.LBB2292_218:
	v_cmp_lt_u32_e32 vcc, v29, v22
	v_lshlrev_b32_e32 v16, 1, v29
	v_mov_b32_e32 v17, 0
	v_cndmask_b32_e32 v15, v5, v7, vcc
	v_cndmask_b32_e32 v14, v4, v6, vcc
	v_lshl_add_u64 v[14:15], v[14:15], 0, v[16:17]
	s_waitcnt lgkmcnt(7)
	global_store_short v[14:15], v32, off
	s_or_b64 exec, exec, s[0:1]
	v_cmp_gt_u32_e32 vcc, s33, v27
	s_and_saveexec_b64 s[0:1], vcc
	s_cbranch_execz .LBB2292_186
.LBB2292_219:
	v_cmp_lt_u32_e32 vcc, v27, v22
	v_lshlrev_b32_e32 v16, 1, v27
	v_mov_b32_e32 v17, 0
	v_cndmask_b32_e32 v15, v5, v7, vcc
	v_cndmask_b32_e32 v14, v4, v6, vcc
	v_lshl_add_u64 v[14:15], v[14:15], 0, v[16:17]
	s_waitcnt lgkmcnt(6)
	global_store_short v[14:15], v28, off
	s_or_b64 exec, exec, s[0:1]
	v_cmp_gt_u32_e32 vcc, s33, v25
	s_and_saveexec_b64 s[0:1], vcc
	s_cbranch_execz .LBB2292_187
.LBB2292_220:
	v_cmp_lt_u32_e32 vcc, v25, v22
	v_lshlrev_b32_e32 v16, 1, v25
	v_mov_b32_e32 v17, 0
	v_cndmask_b32_e32 v15, v5, v7, vcc
	v_cndmask_b32_e32 v14, v4, v6, vcc
	v_lshl_add_u64 v[14:15], v[14:15], 0, v[16:17]
	s_waitcnt lgkmcnt(5)
	global_store_short v[14:15], v26, off
	s_or_b64 exec, exec, s[0:1]
	v_cmp_gt_u32_e32 vcc, s33, v21
	s_and_saveexec_b64 s[0:1], vcc
	s_cbranch_execz .LBB2292_188
.LBB2292_221:
	v_cmp_lt_u32_e32 vcc, v21, v22
	v_lshlrev_b32_e32 v16, 1, v21
	v_mov_b32_e32 v17, 0
	v_cndmask_b32_e32 v15, v5, v7, vcc
	v_cndmask_b32_e32 v14, v4, v6, vcc
	v_lshl_add_u64 v[14:15], v[14:15], 0, v[16:17]
	s_waitcnt lgkmcnt(4)
	global_store_short v[14:15], v24, off
	s_or_b64 exec, exec, s[0:1]
	v_cmp_gt_u32_e32 vcc, s33, v13
	s_and_saveexec_b64 s[0:1], vcc
	s_cbranch_execz .LBB2292_189
.LBB2292_222:
	v_cmp_lt_u32_e32 vcc, v13, v22
	v_lshlrev_b32_e32 v16, 1, v13
	v_mov_b32_e32 v17, 0
	v_cndmask_b32_e32 v15, v5, v7, vcc
	v_cndmask_b32_e32 v14, v4, v6, vcc
	v_lshl_add_u64 v[14:15], v[14:15], 0, v[16:17]
	s_waitcnt lgkmcnt(3)
	global_store_short v[14:15], v20, off
	s_or_b64 exec, exec, s[0:1]
	v_cmp_gt_u32_e32 vcc, s33, v11
	s_and_saveexec_b64 s[0:1], vcc
	s_cbranch_execz .LBB2292_190
.LBB2292_223:
	v_cmp_lt_u32_e32 vcc, v11, v22
	v_lshlrev_b32_e32 v16, 1, v11
	v_mov_b32_e32 v17, 0
	v_cndmask_b32_e32 v15, v5, v7, vcc
	v_cndmask_b32_e32 v14, v4, v6, vcc
	v_lshl_add_u64 v[14:15], v[14:15], 0, v[16:17]
	s_waitcnt lgkmcnt(2)
	global_store_short v[14:15], v12, off
	s_or_b64 exec, exec, s[0:1]
	v_cmp_gt_u32_e32 vcc, s33, v10
	s_and_saveexec_b64 s[0:1], vcc
	s_cbranch_execnz .LBB2292_191
	s_branch .LBB2292_192
	.section	.rodata,"a",@progbits
	.p2align	6, 0x0
	.amdhsa_kernel _ZN7rocprim17ROCPRIM_400000_NS6detail17trampoline_kernelINS0_14default_configENS1_25partition_config_selectorILNS1_17partition_subalgoE1EtNS0_10empty_typeEbEEZZNS1_14partition_implILS5_1ELb0ES3_jN6thrust23THRUST_200600_302600_NS6detail15normal_iteratorINSA_10device_ptrItEEEEPS6_NSA_18transform_iteratorI7is_evenItESF_NSA_11use_defaultESK_EENS0_5tupleIJSF_SF_EEENSM_IJSG_SG_EEES6_PlJS6_EEE10hipError_tPvRmT3_T4_T5_T6_T7_T9_mT8_P12ihipStream_tbDpT10_ENKUlT_T0_E_clISt17integral_constantIbLb0EES18_IbLb1EEEEDaS14_S15_EUlS14_E_NS1_11comp_targetILNS1_3genE5ELNS1_11target_archE942ELNS1_3gpuE9ELNS1_3repE0EEENS1_30default_config_static_selectorELNS0_4arch9wavefront6targetE1EEEvT1_
		.amdhsa_group_segment_fixed_size 28680
		.amdhsa_private_segment_fixed_size 0
		.amdhsa_kernarg_size 144
		.amdhsa_user_sgpr_count 2
		.amdhsa_user_sgpr_dispatch_ptr 0
		.amdhsa_user_sgpr_queue_ptr 0
		.amdhsa_user_sgpr_kernarg_segment_ptr 1
		.amdhsa_user_sgpr_dispatch_id 0
		.amdhsa_user_sgpr_kernarg_preload_length 0
		.amdhsa_user_sgpr_kernarg_preload_offset 0
		.amdhsa_user_sgpr_private_segment_size 0
		.amdhsa_uses_dynamic_stack 0
		.amdhsa_enable_private_segment 0
		.amdhsa_system_sgpr_workgroup_id_x 1
		.amdhsa_system_sgpr_workgroup_id_y 0
		.amdhsa_system_sgpr_workgroup_id_z 0
		.amdhsa_system_sgpr_workgroup_info 0
		.amdhsa_system_vgpr_workitem_id 0
		.amdhsa_next_free_vgpr 83
		.amdhsa_next_free_sgpr 44
		.amdhsa_accum_offset 84
		.amdhsa_reserve_vcc 1
		.amdhsa_float_round_mode_32 0
		.amdhsa_float_round_mode_16_64 0
		.amdhsa_float_denorm_mode_32 3
		.amdhsa_float_denorm_mode_16_64 3
		.amdhsa_dx10_clamp 1
		.amdhsa_ieee_mode 1
		.amdhsa_fp16_overflow 0
		.amdhsa_tg_split 0
		.amdhsa_exception_fp_ieee_invalid_op 0
		.amdhsa_exception_fp_denorm_src 0
		.amdhsa_exception_fp_ieee_div_zero 0
		.amdhsa_exception_fp_ieee_overflow 0
		.amdhsa_exception_fp_ieee_underflow 0
		.amdhsa_exception_fp_ieee_inexact 0
		.amdhsa_exception_int_div_zero 0
	.end_amdhsa_kernel
	.section	.text._ZN7rocprim17ROCPRIM_400000_NS6detail17trampoline_kernelINS0_14default_configENS1_25partition_config_selectorILNS1_17partition_subalgoE1EtNS0_10empty_typeEbEEZZNS1_14partition_implILS5_1ELb0ES3_jN6thrust23THRUST_200600_302600_NS6detail15normal_iteratorINSA_10device_ptrItEEEEPS6_NSA_18transform_iteratorI7is_evenItESF_NSA_11use_defaultESK_EENS0_5tupleIJSF_SF_EEENSM_IJSG_SG_EEES6_PlJS6_EEE10hipError_tPvRmT3_T4_T5_T6_T7_T9_mT8_P12ihipStream_tbDpT10_ENKUlT_T0_E_clISt17integral_constantIbLb0EES18_IbLb1EEEEDaS14_S15_EUlS14_E_NS1_11comp_targetILNS1_3genE5ELNS1_11target_archE942ELNS1_3gpuE9ELNS1_3repE0EEENS1_30default_config_static_selectorELNS0_4arch9wavefront6targetE1EEEvT1_,"axG",@progbits,_ZN7rocprim17ROCPRIM_400000_NS6detail17trampoline_kernelINS0_14default_configENS1_25partition_config_selectorILNS1_17partition_subalgoE1EtNS0_10empty_typeEbEEZZNS1_14partition_implILS5_1ELb0ES3_jN6thrust23THRUST_200600_302600_NS6detail15normal_iteratorINSA_10device_ptrItEEEEPS6_NSA_18transform_iteratorI7is_evenItESF_NSA_11use_defaultESK_EENS0_5tupleIJSF_SF_EEENSM_IJSG_SG_EEES6_PlJS6_EEE10hipError_tPvRmT3_T4_T5_T6_T7_T9_mT8_P12ihipStream_tbDpT10_ENKUlT_T0_E_clISt17integral_constantIbLb0EES18_IbLb1EEEEDaS14_S15_EUlS14_E_NS1_11comp_targetILNS1_3genE5ELNS1_11target_archE942ELNS1_3gpuE9ELNS1_3repE0EEENS1_30default_config_static_selectorELNS0_4arch9wavefront6targetE1EEEvT1_,comdat
.Lfunc_end2292:
	.size	_ZN7rocprim17ROCPRIM_400000_NS6detail17trampoline_kernelINS0_14default_configENS1_25partition_config_selectorILNS1_17partition_subalgoE1EtNS0_10empty_typeEbEEZZNS1_14partition_implILS5_1ELb0ES3_jN6thrust23THRUST_200600_302600_NS6detail15normal_iteratorINSA_10device_ptrItEEEEPS6_NSA_18transform_iteratorI7is_evenItESF_NSA_11use_defaultESK_EENS0_5tupleIJSF_SF_EEENSM_IJSG_SG_EEES6_PlJS6_EEE10hipError_tPvRmT3_T4_T5_T6_T7_T9_mT8_P12ihipStream_tbDpT10_ENKUlT_T0_E_clISt17integral_constantIbLb0EES18_IbLb1EEEEDaS14_S15_EUlS14_E_NS1_11comp_targetILNS1_3genE5ELNS1_11target_archE942ELNS1_3gpuE9ELNS1_3repE0EEENS1_30default_config_static_selectorELNS0_4arch9wavefront6targetE1EEEvT1_, .Lfunc_end2292-_ZN7rocprim17ROCPRIM_400000_NS6detail17trampoline_kernelINS0_14default_configENS1_25partition_config_selectorILNS1_17partition_subalgoE1EtNS0_10empty_typeEbEEZZNS1_14partition_implILS5_1ELb0ES3_jN6thrust23THRUST_200600_302600_NS6detail15normal_iteratorINSA_10device_ptrItEEEEPS6_NSA_18transform_iteratorI7is_evenItESF_NSA_11use_defaultESK_EENS0_5tupleIJSF_SF_EEENSM_IJSG_SG_EEES6_PlJS6_EEE10hipError_tPvRmT3_T4_T5_T6_T7_T9_mT8_P12ihipStream_tbDpT10_ENKUlT_T0_E_clISt17integral_constantIbLb0EES18_IbLb1EEEEDaS14_S15_EUlS14_E_NS1_11comp_targetILNS1_3genE5ELNS1_11target_archE942ELNS1_3gpuE9ELNS1_3repE0EEENS1_30default_config_static_selectorELNS0_4arch9wavefront6targetE1EEEvT1_
                                        ; -- End function
	.section	.AMDGPU.csdata,"",@progbits
; Kernel info:
; codeLenInByte = 12488
; NumSgprs: 50
; NumVgprs: 83
; NumAgprs: 0
; TotalNumVgprs: 83
; ScratchSize: 0
; MemoryBound: 0
; FloatMode: 240
; IeeeMode: 1
; LDSByteSize: 28680 bytes/workgroup (compile time only)
; SGPRBlocks: 6
; VGPRBlocks: 10
; NumSGPRsForWavesPerEU: 50
; NumVGPRsForWavesPerEU: 83
; AccumOffset: 84
; Occupancy: 4
; WaveLimiterHint : 1
; COMPUTE_PGM_RSRC2:SCRATCH_EN: 0
; COMPUTE_PGM_RSRC2:USER_SGPR: 2
; COMPUTE_PGM_RSRC2:TRAP_HANDLER: 0
; COMPUTE_PGM_RSRC2:TGID_X_EN: 1
; COMPUTE_PGM_RSRC2:TGID_Y_EN: 0
; COMPUTE_PGM_RSRC2:TGID_Z_EN: 0
; COMPUTE_PGM_RSRC2:TIDIG_COMP_CNT: 0
; COMPUTE_PGM_RSRC3_GFX90A:ACCUM_OFFSET: 20
; COMPUTE_PGM_RSRC3_GFX90A:TG_SPLIT: 0
	.section	.text._ZN7rocprim17ROCPRIM_400000_NS6detail17trampoline_kernelINS0_14default_configENS1_25partition_config_selectorILNS1_17partition_subalgoE1EtNS0_10empty_typeEbEEZZNS1_14partition_implILS5_1ELb0ES3_jN6thrust23THRUST_200600_302600_NS6detail15normal_iteratorINSA_10device_ptrItEEEEPS6_NSA_18transform_iteratorI7is_evenItESF_NSA_11use_defaultESK_EENS0_5tupleIJSF_SF_EEENSM_IJSG_SG_EEES6_PlJS6_EEE10hipError_tPvRmT3_T4_T5_T6_T7_T9_mT8_P12ihipStream_tbDpT10_ENKUlT_T0_E_clISt17integral_constantIbLb0EES18_IbLb1EEEEDaS14_S15_EUlS14_E_NS1_11comp_targetILNS1_3genE4ELNS1_11target_archE910ELNS1_3gpuE8ELNS1_3repE0EEENS1_30default_config_static_selectorELNS0_4arch9wavefront6targetE1EEEvT1_,"axG",@progbits,_ZN7rocprim17ROCPRIM_400000_NS6detail17trampoline_kernelINS0_14default_configENS1_25partition_config_selectorILNS1_17partition_subalgoE1EtNS0_10empty_typeEbEEZZNS1_14partition_implILS5_1ELb0ES3_jN6thrust23THRUST_200600_302600_NS6detail15normal_iteratorINSA_10device_ptrItEEEEPS6_NSA_18transform_iteratorI7is_evenItESF_NSA_11use_defaultESK_EENS0_5tupleIJSF_SF_EEENSM_IJSG_SG_EEES6_PlJS6_EEE10hipError_tPvRmT3_T4_T5_T6_T7_T9_mT8_P12ihipStream_tbDpT10_ENKUlT_T0_E_clISt17integral_constantIbLb0EES18_IbLb1EEEEDaS14_S15_EUlS14_E_NS1_11comp_targetILNS1_3genE4ELNS1_11target_archE910ELNS1_3gpuE8ELNS1_3repE0EEENS1_30default_config_static_selectorELNS0_4arch9wavefront6targetE1EEEvT1_,comdat
	.protected	_ZN7rocprim17ROCPRIM_400000_NS6detail17trampoline_kernelINS0_14default_configENS1_25partition_config_selectorILNS1_17partition_subalgoE1EtNS0_10empty_typeEbEEZZNS1_14partition_implILS5_1ELb0ES3_jN6thrust23THRUST_200600_302600_NS6detail15normal_iteratorINSA_10device_ptrItEEEEPS6_NSA_18transform_iteratorI7is_evenItESF_NSA_11use_defaultESK_EENS0_5tupleIJSF_SF_EEENSM_IJSG_SG_EEES6_PlJS6_EEE10hipError_tPvRmT3_T4_T5_T6_T7_T9_mT8_P12ihipStream_tbDpT10_ENKUlT_T0_E_clISt17integral_constantIbLb0EES18_IbLb1EEEEDaS14_S15_EUlS14_E_NS1_11comp_targetILNS1_3genE4ELNS1_11target_archE910ELNS1_3gpuE8ELNS1_3repE0EEENS1_30default_config_static_selectorELNS0_4arch9wavefront6targetE1EEEvT1_ ; -- Begin function _ZN7rocprim17ROCPRIM_400000_NS6detail17trampoline_kernelINS0_14default_configENS1_25partition_config_selectorILNS1_17partition_subalgoE1EtNS0_10empty_typeEbEEZZNS1_14partition_implILS5_1ELb0ES3_jN6thrust23THRUST_200600_302600_NS6detail15normal_iteratorINSA_10device_ptrItEEEEPS6_NSA_18transform_iteratorI7is_evenItESF_NSA_11use_defaultESK_EENS0_5tupleIJSF_SF_EEENSM_IJSG_SG_EEES6_PlJS6_EEE10hipError_tPvRmT3_T4_T5_T6_T7_T9_mT8_P12ihipStream_tbDpT10_ENKUlT_T0_E_clISt17integral_constantIbLb0EES18_IbLb1EEEEDaS14_S15_EUlS14_E_NS1_11comp_targetILNS1_3genE4ELNS1_11target_archE910ELNS1_3gpuE8ELNS1_3repE0EEENS1_30default_config_static_selectorELNS0_4arch9wavefront6targetE1EEEvT1_
	.globl	_ZN7rocprim17ROCPRIM_400000_NS6detail17trampoline_kernelINS0_14default_configENS1_25partition_config_selectorILNS1_17partition_subalgoE1EtNS0_10empty_typeEbEEZZNS1_14partition_implILS5_1ELb0ES3_jN6thrust23THRUST_200600_302600_NS6detail15normal_iteratorINSA_10device_ptrItEEEEPS6_NSA_18transform_iteratorI7is_evenItESF_NSA_11use_defaultESK_EENS0_5tupleIJSF_SF_EEENSM_IJSG_SG_EEES6_PlJS6_EEE10hipError_tPvRmT3_T4_T5_T6_T7_T9_mT8_P12ihipStream_tbDpT10_ENKUlT_T0_E_clISt17integral_constantIbLb0EES18_IbLb1EEEEDaS14_S15_EUlS14_E_NS1_11comp_targetILNS1_3genE4ELNS1_11target_archE910ELNS1_3gpuE8ELNS1_3repE0EEENS1_30default_config_static_selectorELNS0_4arch9wavefront6targetE1EEEvT1_
	.p2align	8
	.type	_ZN7rocprim17ROCPRIM_400000_NS6detail17trampoline_kernelINS0_14default_configENS1_25partition_config_selectorILNS1_17partition_subalgoE1EtNS0_10empty_typeEbEEZZNS1_14partition_implILS5_1ELb0ES3_jN6thrust23THRUST_200600_302600_NS6detail15normal_iteratorINSA_10device_ptrItEEEEPS6_NSA_18transform_iteratorI7is_evenItESF_NSA_11use_defaultESK_EENS0_5tupleIJSF_SF_EEENSM_IJSG_SG_EEES6_PlJS6_EEE10hipError_tPvRmT3_T4_T5_T6_T7_T9_mT8_P12ihipStream_tbDpT10_ENKUlT_T0_E_clISt17integral_constantIbLb0EES18_IbLb1EEEEDaS14_S15_EUlS14_E_NS1_11comp_targetILNS1_3genE4ELNS1_11target_archE910ELNS1_3gpuE8ELNS1_3repE0EEENS1_30default_config_static_selectorELNS0_4arch9wavefront6targetE1EEEvT1_,@function
_ZN7rocprim17ROCPRIM_400000_NS6detail17trampoline_kernelINS0_14default_configENS1_25partition_config_selectorILNS1_17partition_subalgoE1EtNS0_10empty_typeEbEEZZNS1_14partition_implILS5_1ELb0ES3_jN6thrust23THRUST_200600_302600_NS6detail15normal_iteratorINSA_10device_ptrItEEEEPS6_NSA_18transform_iteratorI7is_evenItESF_NSA_11use_defaultESK_EENS0_5tupleIJSF_SF_EEENSM_IJSG_SG_EEES6_PlJS6_EEE10hipError_tPvRmT3_T4_T5_T6_T7_T9_mT8_P12ihipStream_tbDpT10_ENKUlT_T0_E_clISt17integral_constantIbLb0EES18_IbLb1EEEEDaS14_S15_EUlS14_E_NS1_11comp_targetILNS1_3genE4ELNS1_11target_archE910ELNS1_3gpuE8ELNS1_3repE0EEENS1_30default_config_static_selectorELNS0_4arch9wavefront6targetE1EEEvT1_: ; @_ZN7rocprim17ROCPRIM_400000_NS6detail17trampoline_kernelINS0_14default_configENS1_25partition_config_selectorILNS1_17partition_subalgoE1EtNS0_10empty_typeEbEEZZNS1_14partition_implILS5_1ELb0ES3_jN6thrust23THRUST_200600_302600_NS6detail15normal_iteratorINSA_10device_ptrItEEEEPS6_NSA_18transform_iteratorI7is_evenItESF_NSA_11use_defaultESK_EENS0_5tupleIJSF_SF_EEENSM_IJSG_SG_EEES6_PlJS6_EEE10hipError_tPvRmT3_T4_T5_T6_T7_T9_mT8_P12ihipStream_tbDpT10_ENKUlT_T0_E_clISt17integral_constantIbLb0EES18_IbLb1EEEEDaS14_S15_EUlS14_E_NS1_11comp_targetILNS1_3genE4ELNS1_11target_archE910ELNS1_3gpuE8ELNS1_3repE0EEENS1_30default_config_static_selectorELNS0_4arch9wavefront6targetE1EEEvT1_
; %bb.0:
	.section	.rodata,"a",@progbits
	.p2align	6, 0x0
	.amdhsa_kernel _ZN7rocprim17ROCPRIM_400000_NS6detail17trampoline_kernelINS0_14default_configENS1_25partition_config_selectorILNS1_17partition_subalgoE1EtNS0_10empty_typeEbEEZZNS1_14partition_implILS5_1ELb0ES3_jN6thrust23THRUST_200600_302600_NS6detail15normal_iteratorINSA_10device_ptrItEEEEPS6_NSA_18transform_iteratorI7is_evenItESF_NSA_11use_defaultESK_EENS0_5tupleIJSF_SF_EEENSM_IJSG_SG_EEES6_PlJS6_EEE10hipError_tPvRmT3_T4_T5_T6_T7_T9_mT8_P12ihipStream_tbDpT10_ENKUlT_T0_E_clISt17integral_constantIbLb0EES18_IbLb1EEEEDaS14_S15_EUlS14_E_NS1_11comp_targetILNS1_3genE4ELNS1_11target_archE910ELNS1_3gpuE8ELNS1_3repE0EEENS1_30default_config_static_selectorELNS0_4arch9wavefront6targetE1EEEvT1_
		.amdhsa_group_segment_fixed_size 0
		.amdhsa_private_segment_fixed_size 0
		.amdhsa_kernarg_size 144
		.amdhsa_user_sgpr_count 2
		.amdhsa_user_sgpr_dispatch_ptr 0
		.amdhsa_user_sgpr_queue_ptr 0
		.amdhsa_user_sgpr_kernarg_segment_ptr 1
		.amdhsa_user_sgpr_dispatch_id 0
		.amdhsa_user_sgpr_kernarg_preload_length 0
		.amdhsa_user_sgpr_kernarg_preload_offset 0
		.amdhsa_user_sgpr_private_segment_size 0
		.amdhsa_uses_dynamic_stack 0
		.amdhsa_enable_private_segment 0
		.amdhsa_system_sgpr_workgroup_id_x 1
		.amdhsa_system_sgpr_workgroup_id_y 0
		.amdhsa_system_sgpr_workgroup_id_z 0
		.amdhsa_system_sgpr_workgroup_info 0
		.amdhsa_system_vgpr_workitem_id 0
		.amdhsa_next_free_vgpr 1
		.amdhsa_next_free_sgpr 0
		.amdhsa_accum_offset 4
		.amdhsa_reserve_vcc 0
		.amdhsa_float_round_mode_32 0
		.amdhsa_float_round_mode_16_64 0
		.amdhsa_float_denorm_mode_32 3
		.amdhsa_float_denorm_mode_16_64 3
		.amdhsa_dx10_clamp 1
		.amdhsa_ieee_mode 1
		.amdhsa_fp16_overflow 0
		.amdhsa_tg_split 0
		.amdhsa_exception_fp_ieee_invalid_op 0
		.amdhsa_exception_fp_denorm_src 0
		.amdhsa_exception_fp_ieee_div_zero 0
		.amdhsa_exception_fp_ieee_overflow 0
		.amdhsa_exception_fp_ieee_underflow 0
		.amdhsa_exception_fp_ieee_inexact 0
		.amdhsa_exception_int_div_zero 0
	.end_amdhsa_kernel
	.section	.text._ZN7rocprim17ROCPRIM_400000_NS6detail17trampoline_kernelINS0_14default_configENS1_25partition_config_selectorILNS1_17partition_subalgoE1EtNS0_10empty_typeEbEEZZNS1_14partition_implILS5_1ELb0ES3_jN6thrust23THRUST_200600_302600_NS6detail15normal_iteratorINSA_10device_ptrItEEEEPS6_NSA_18transform_iteratorI7is_evenItESF_NSA_11use_defaultESK_EENS0_5tupleIJSF_SF_EEENSM_IJSG_SG_EEES6_PlJS6_EEE10hipError_tPvRmT3_T4_T5_T6_T7_T9_mT8_P12ihipStream_tbDpT10_ENKUlT_T0_E_clISt17integral_constantIbLb0EES18_IbLb1EEEEDaS14_S15_EUlS14_E_NS1_11comp_targetILNS1_3genE4ELNS1_11target_archE910ELNS1_3gpuE8ELNS1_3repE0EEENS1_30default_config_static_selectorELNS0_4arch9wavefront6targetE1EEEvT1_,"axG",@progbits,_ZN7rocprim17ROCPRIM_400000_NS6detail17trampoline_kernelINS0_14default_configENS1_25partition_config_selectorILNS1_17partition_subalgoE1EtNS0_10empty_typeEbEEZZNS1_14partition_implILS5_1ELb0ES3_jN6thrust23THRUST_200600_302600_NS6detail15normal_iteratorINSA_10device_ptrItEEEEPS6_NSA_18transform_iteratorI7is_evenItESF_NSA_11use_defaultESK_EENS0_5tupleIJSF_SF_EEENSM_IJSG_SG_EEES6_PlJS6_EEE10hipError_tPvRmT3_T4_T5_T6_T7_T9_mT8_P12ihipStream_tbDpT10_ENKUlT_T0_E_clISt17integral_constantIbLb0EES18_IbLb1EEEEDaS14_S15_EUlS14_E_NS1_11comp_targetILNS1_3genE4ELNS1_11target_archE910ELNS1_3gpuE8ELNS1_3repE0EEENS1_30default_config_static_selectorELNS0_4arch9wavefront6targetE1EEEvT1_,comdat
.Lfunc_end2293:
	.size	_ZN7rocprim17ROCPRIM_400000_NS6detail17trampoline_kernelINS0_14default_configENS1_25partition_config_selectorILNS1_17partition_subalgoE1EtNS0_10empty_typeEbEEZZNS1_14partition_implILS5_1ELb0ES3_jN6thrust23THRUST_200600_302600_NS6detail15normal_iteratorINSA_10device_ptrItEEEEPS6_NSA_18transform_iteratorI7is_evenItESF_NSA_11use_defaultESK_EENS0_5tupleIJSF_SF_EEENSM_IJSG_SG_EEES6_PlJS6_EEE10hipError_tPvRmT3_T4_T5_T6_T7_T9_mT8_P12ihipStream_tbDpT10_ENKUlT_T0_E_clISt17integral_constantIbLb0EES18_IbLb1EEEEDaS14_S15_EUlS14_E_NS1_11comp_targetILNS1_3genE4ELNS1_11target_archE910ELNS1_3gpuE8ELNS1_3repE0EEENS1_30default_config_static_selectorELNS0_4arch9wavefront6targetE1EEEvT1_, .Lfunc_end2293-_ZN7rocprim17ROCPRIM_400000_NS6detail17trampoline_kernelINS0_14default_configENS1_25partition_config_selectorILNS1_17partition_subalgoE1EtNS0_10empty_typeEbEEZZNS1_14partition_implILS5_1ELb0ES3_jN6thrust23THRUST_200600_302600_NS6detail15normal_iteratorINSA_10device_ptrItEEEEPS6_NSA_18transform_iteratorI7is_evenItESF_NSA_11use_defaultESK_EENS0_5tupleIJSF_SF_EEENSM_IJSG_SG_EEES6_PlJS6_EEE10hipError_tPvRmT3_T4_T5_T6_T7_T9_mT8_P12ihipStream_tbDpT10_ENKUlT_T0_E_clISt17integral_constantIbLb0EES18_IbLb1EEEEDaS14_S15_EUlS14_E_NS1_11comp_targetILNS1_3genE4ELNS1_11target_archE910ELNS1_3gpuE8ELNS1_3repE0EEENS1_30default_config_static_selectorELNS0_4arch9wavefront6targetE1EEEvT1_
                                        ; -- End function
	.section	.AMDGPU.csdata,"",@progbits
; Kernel info:
; codeLenInByte = 0
; NumSgprs: 6
; NumVgprs: 0
; NumAgprs: 0
; TotalNumVgprs: 0
; ScratchSize: 0
; MemoryBound: 0
; FloatMode: 240
; IeeeMode: 1
; LDSByteSize: 0 bytes/workgroup (compile time only)
; SGPRBlocks: 0
; VGPRBlocks: 0
; NumSGPRsForWavesPerEU: 6
; NumVGPRsForWavesPerEU: 1
; AccumOffset: 4
; Occupancy: 8
; WaveLimiterHint : 0
; COMPUTE_PGM_RSRC2:SCRATCH_EN: 0
; COMPUTE_PGM_RSRC2:USER_SGPR: 2
; COMPUTE_PGM_RSRC2:TRAP_HANDLER: 0
; COMPUTE_PGM_RSRC2:TGID_X_EN: 1
; COMPUTE_PGM_RSRC2:TGID_Y_EN: 0
; COMPUTE_PGM_RSRC2:TGID_Z_EN: 0
; COMPUTE_PGM_RSRC2:TIDIG_COMP_CNT: 0
; COMPUTE_PGM_RSRC3_GFX90A:ACCUM_OFFSET: 0
; COMPUTE_PGM_RSRC3_GFX90A:TG_SPLIT: 0
	.section	.text._ZN7rocprim17ROCPRIM_400000_NS6detail17trampoline_kernelINS0_14default_configENS1_25partition_config_selectorILNS1_17partition_subalgoE1EtNS0_10empty_typeEbEEZZNS1_14partition_implILS5_1ELb0ES3_jN6thrust23THRUST_200600_302600_NS6detail15normal_iteratorINSA_10device_ptrItEEEEPS6_NSA_18transform_iteratorI7is_evenItESF_NSA_11use_defaultESK_EENS0_5tupleIJSF_SF_EEENSM_IJSG_SG_EEES6_PlJS6_EEE10hipError_tPvRmT3_T4_T5_T6_T7_T9_mT8_P12ihipStream_tbDpT10_ENKUlT_T0_E_clISt17integral_constantIbLb0EES18_IbLb1EEEEDaS14_S15_EUlS14_E_NS1_11comp_targetILNS1_3genE3ELNS1_11target_archE908ELNS1_3gpuE7ELNS1_3repE0EEENS1_30default_config_static_selectorELNS0_4arch9wavefront6targetE1EEEvT1_,"axG",@progbits,_ZN7rocprim17ROCPRIM_400000_NS6detail17trampoline_kernelINS0_14default_configENS1_25partition_config_selectorILNS1_17partition_subalgoE1EtNS0_10empty_typeEbEEZZNS1_14partition_implILS5_1ELb0ES3_jN6thrust23THRUST_200600_302600_NS6detail15normal_iteratorINSA_10device_ptrItEEEEPS6_NSA_18transform_iteratorI7is_evenItESF_NSA_11use_defaultESK_EENS0_5tupleIJSF_SF_EEENSM_IJSG_SG_EEES6_PlJS6_EEE10hipError_tPvRmT3_T4_T5_T6_T7_T9_mT8_P12ihipStream_tbDpT10_ENKUlT_T0_E_clISt17integral_constantIbLb0EES18_IbLb1EEEEDaS14_S15_EUlS14_E_NS1_11comp_targetILNS1_3genE3ELNS1_11target_archE908ELNS1_3gpuE7ELNS1_3repE0EEENS1_30default_config_static_selectorELNS0_4arch9wavefront6targetE1EEEvT1_,comdat
	.protected	_ZN7rocprim17ROCPRIM_400000_NS6detail17trampoline_kernelINS0_14default_configENS1_25partition_config_selectorILNS1_17partition_subalgoE1EtNS0_10empty_typeEbEEZZNS1_14partition_implILS5_1ELb0ES3_jN6thrust23THRUST_200600_302600_NS6detail15normal_iteratorINSA_10device_ptrItEEEEPS6_NSA_18transform_iteratorI7is_evenItESF_NSA_11use_defaultESK_EENS0_5tupleIJSF_SF_EEENSM_IJSG_SG_EEES6_PlJS6_EEE10hipError_tPvRmT3_T4_T5_T6_T7_T9_mT8_P12ihipStream_tbDpT10_ENKUlT_T0_E_clISt17integral_constantIbLb0EES18_IbLb1EEEEDaS14_S15_EUlS14_E_NS1_11comp_targetILNS1_3genE3ELNS1_11target_archE908ELNS1_3gpuE7ELNS1_3repE0EEENS1_30default_config_static_selectorELNS0_4arch9wavefront6targetE1EEEvT1_ ; -- Begin function _ZN7rocprim17ROCPRIM_400000_NS6detail17trampoline_kernelINS0_14default_configENS1_25partition_config_selectorILNS1_17partition_subalgoE1EtNS0_10empty_typeEbEEZZNS1_14partition_implILS5_1ELb0ES3_jN6thrust23THRUST_200600_302600_NS6detail15normal_iteratorINSA_10device_ptrItEEEEPS6_NSA_18transform_iteratorI7is_evenItESF_NSA_11use_defaultESK_EENS0_5tupleIJSF_SF_EEENSM_IJSG_SG_EEES6_PlJS6_EEE10hipError_tPvRmT3_T4_T5_T6_T7_T9_mT8_P12ihipStream_tbDpT10_ENKUlT_T0_E_clISt17integral_constantIbLb0EES18_IbLb1EEEEDaS14_S15_EUlS14_E_NS1_11comp_targetILNS1_3genE3ELNS1_11target_archE908ELNS1_3gpuE7ELNS1_3repE0EEENS1_30default_config_static_selectorELNS0_4arch9wavefront6targetE1EEEvT1_
	.globl	_ZN7rocprim17ROCPRIM_400000_NS6detail17trampoline_kernelINS0_14default_configENS1_25partition_config_selectorILNS1_17partition_subalgoE1EtNS0_10empty_typeEbEEZZNS1_14partition_implILS5_1ELb0ES3_jN6thrust23THRUST_200600_302600_NS6detail15normal_iteratorINSA_10device_ptrItEEEEPS6_NSA_18transform_iteratorI7is_evenItESF_NSA_11use_defaultESK_EENS0_5tupleIJSF_SF_EEENSM_IJSG_SG_EEES6_PlJS6_EEE10hipError_tPvRmT3_T4_T5_T6_T7_T9_mT8_P12ihipStream_tbDpT10_ENKUlT_T0_E_clISt17integral_constantIbLb0EES18_IbLb1EEEEDaS14_S15_EUlS14_E_NS1_11comp_targetILNS1_3genE3ELNS1_11target_archE908ELNS1_3gpuE7ELNS1_3repE0EEENS1_30default_config_static_selectorELNS0_4arch9wavefront6targetE1EEEvT1_
	.p2align	8
	.type	_ZN7rocprim17ROCPRIM_400000_NS6detail17trampoline_kernelINS0_14default_configENS1_25partition_config_selectorILNS1_17partition_subalgoE1EtNS0_10empty_typeEbEEZZNS1_14partition_implILS5_1ELb0ES3_jN6thrust23THRUST_200600_302600_NS6detail15normal_iteratorINSA_10device_ptrItEEEEPS6_NSA_18transform_iteratorI7is_evenItESF_NSA_11use_defaultESK_EENS0_5tupleIJSF_SF_EEENSM_IJSG_SG_EEES6_PlJS6_EEE10hipError_tPvRmT3_T4_T5_T6_T7_T9_mT8_P12ihipStream_tbDpT10_ENKUlT_T0_E_clISt17integral_constantIbLb0EES18_IbLb1EEEEDaS14_S15_EUlS14_E_NS1_11comp_targetILNS1_3genE3ELNS1_11target_archE908ELNS1_3gpuE7ELNS1_3repE0EEENS1_30default_config_static_selectorELNS0_4arch9wavefront6targetE1EEEvT1_,@function
_ZN7rocprim17ROCPRIM_400000_NS6detail17trampoline_kernelINS0_14default_configENS1_25partition_config_selectorILNS1_17partition_subalgoE1EtNS0_10empty_typeEbEEZZNS1_14partition_implILS5_1ELb0ES3_jN6thrust23THRUST_200600_302600_NS6detail15normal_iteratorINSA_10device_ptrItEEEEPS6_NSA_18transform_iteratorI7is_evenItESF_NSA_11use_defaultESK_EENS0_5tupleIJSF_SF_EEENSM_IJSG_SG_EEES6_PlJS6_EEE10hipError_tPvRmT3_T4_T5_T6_T7_T9_mT8_P12ihipStream_tbDpT10_ENKUlT_T0_E_clISt17integral_constantIbLb0EES18_IbLb1EEEEDaS14_S15_EUlS14_E_NS1_11comp_targetILNS1_3genE3ELNS1_11target_archE908ELNS1_3gpuE7ELNS1_3repE0EEENS1_30default_config_static_selectorELNS0_4arch9wavefront6targetE1EEEvT1_: ; @_ZN7rocprim17ROCPRIM_400000_NS6detail17trampoline_kernelINS0_14default_configENS1_25partition_config_selectorILNS1_17partition_subalgoE1EtNS0_10empty_typeEbEEZZNS1_14partition_implILS5_1ELb0ES3_jN6thrust23THRUST_200600_302600_NS6detail15normal_iteratorINSA_10device_ptrItEEEEPS6_NSA_18transform_iteratorI7is_evenItESF_NSA_11use_defaultESK_EENS0_5tupleIJSF_SF_EEENSM_IJSG_SG_EEES6_PlJS6_EEE10hipError_tPvRmT3_T4_T5_T6_T7_T9_mT8_P12ihipStream_tbDpT10_ENKUlT_T0_E_clISt17integral_constantIbLb0EES18_IbLb1EEEEDaS14_S15_EUlS14_E_NS1_11comp_targetILNS1_3genE3ELNS1_11target_archE908ELNS1_3gpuE7ELNS1_3repE0EEENS1_30default_config_static_selectorELNS0_4arch9wavefront6targetE1EEEvT1_
; %bb.0:
	.section	.rodata,"a",@progbits
	.p2align	6, 0x0
	.amdhsa_kernel _ZN7rocprim17ROCPRIM_400000_NS6detail17trampoline_kernelINS0_14default_configENS1_25partition_config_selectorILNS1_17partition_subalgoE1EtNS0_10empty_typeEbEEZZNS1_14partition_implILS5_1ELb0ES3_jN6thrust23THRUST_200600_302600_NS6detail15normal_iteratorINSA_10device_ptrItEEEEPS6_NSA_18transform_iteratorI7is_evenItESF_NSA_11use_defaultESK_EENS0_5tupleIJSF_SF_EEENSM_IJSG_SG_EEES6_PlJS6_EEE10hipError_tPvRmT3_T4_T5_T6_T7_T9_mT8_P12ihipStream_tbDpT10_ENKUlT_T0_E_clISt17integral_constantIbLb0EES18_IbLb1EEEEDaS14_S15_EUlS14_E_NS1_11comp_targetILNS1_3genE3ELNS1_11target_archE908ELNS1_3gpuE7ELNS1_3repE0EEENS1_30default_config_static_selectorELNS0_4arch9wavefront6targetE1EEEvT1_
		.amdhsa_group_segment_fixed_size 0
		.amdhsa_private_segment_fixed_size 0
		.amdhsa_kernarg_size 144
		.amdhsa_user_sgpr_count 2
		.amdhsa_user_sgpr_dispatch_ptr 0
		.amdhsa_user_sgpr_queue_ptr 0
		.amdhsa_user_sgpr_kernarg_segment_ptr 1
		.amdhsa_user_sgpr_dispatch_id 0
		.amdhsa_user_sgpr_kernarg_preload_length 0
		.amdhsa_user_sgpr_kernarg_preload_offset 0
		.amdhsa_user_sgpr_private_segment_size 0
		.amdhsa_uses_dynamic_stack 0
		.amdhsa_enable_private_segment 0
		.amdhsa_system_sgpr_workgroup_id_x 1
		.amdhsa_system_sgpr_workgroup_id_y 0
		.amdhsa_system_sgpr_workgroup_id_z 0
		.amdhsa_system_sgpr_workgroup_info 0
		.amdhsa_system_vgpr_workitem_id 0
		.amdhsa_next_free_vgpr 1
		.amdhsa_next_free_sgpr 0
		.amdhsa_accum_offset 4
		.amdhsa_reserve_vcc 0
		.amdhsa_float_round_mode_32 0
		.amdhsa_float_round_mode_16_64 0
		.amdhsa_float_denorm_mode_32 3
		.amdhsa_float_denorm_mode_16_64 3
		.amdhsa_dx10_clamp 1
		.amdhsa_ieee_mode 1
		.amdhsa_fp16_overflow 0
		.amdhsa_tg_split 0
		.amdhsa_exception_fp_ieee_invalid_op 0
		.amdhsa_exception_fp_denorm_src 0
		.amdhsa_exception_fp_ieee_div_zero 0
		.amdhsa_exception_fp_ieee_overflow 0
		.amdhsa_exception_fp_ieee_underflow 0
		.amdhsa_exception_fp_ieee_inexact 0
		.amdhsa_exception_int_div_zero 0
	.end_amdhsa_kernel
	.section	.text._ZN7rocprim17ROCPRIM_400000_NS6detail17trampoline_kernelINS0_14default_configENS1_25partition_config_selectorILNS1_17partition_subalgoE1EtNS0_10empty_typeEbEEZZNS1_14partition_implILS5_1ELb0ES3_jN6thrust23THRUST_200600_302600_NS6detail15normal_iteratorINSA_10device_ptrItEEEEPS6_NSA_18transform_iteratorI7is_evenItESF_NSA_11use_defaultESK_EENS0_5tupleIJSF_SF_EEENSM_IJSG_SG_EEES6_PlJS6_EEE10hipError_tPvRmT3_T4_T5_T6_T7_T9_mT8_P12ihipStream_tbDpT10_ENKUlT_T0_E_clISt17integral_constantIbLb0EES18_IbLb1EEEEDaS14_S15_EUlS14_E_NS1_11comp_targetILNS1_3genE3ELNS1_11target_archE908ELNS1_3gpuE7ELNS1_3repE0EEENS1_30default_config_static_selectorELNS0_4arch9wavefront6targetE1EEEvT1_,"axG",@progbits,_ZN7rocprim17ROCPRIM_400000_NS6detail17trampoline_kernelINS0_14default_configENS1_25partition_config_selectorILNS1_17partition_subalgoE1EtNS0_10empty_typeEbEEZZNS1_14partition_implILS5_1ELb0ES3_jN6thrust23THRUST_200600_302600_NS6detail15normal_iteratorINSA_10device_ptrItEEEEPS6_NSA_18transform_iteratorI7is_evenItESF_NSA_11use_defaultESK_EENS0_5tupleIJSF_SF_EEENSM_IJSG_SG_EEES6_PlJS6_EEE10hipError_tPvRmT3_T4_T5_T6_T7_T9_mT8_P12ihipStream_tbDpT10_ENKUlT_T0_E_clISt17integral_constantIbLb0EES18_IbLb1EEEEDaS14_S15_EUlS14_E_NS1_11comp_targetILNS1_3genE3ELNS1_11target_archE908ELNS1_3gpuE7ELNS1_3repE0EEENS1_30default_config_static_selectorELNS0_4arch9wavefront6targetE1EEEvT1_,comdat
.Lfunc_end2294:
	.size	_ZN7rocprim17ROCPRIM_400000_NS6detail17trampoline_kernelINS0_14default_configENS1_25partition_config_selectorILNS1_17partition_subalgoE1EtNS0_10empty_typeEbEEZZNS1_14partition_implILS5_1ELb0ES3_jN6thrust23THRUST_200600_302600_NS6detail15normal_iteratorINSA_10device_ptrItEEEEPS6_NSA_18transform_iteratorI7is_evenItESF_NSA_11use_defaultESK_EENS0_5tupleIJSF_SF_EEENSM_IJSG_SG_EEES6_PlJS6_EEE10hipError_tPvRmT3_T4_T5_T6_T7_T9_mT8_P12ihipStream_tbDpT10_ENKUlT_T0_E_clISt17integral_constantIbLb0EES18_IbLb1EEEEDaS14_S15_EUlS14_E_NS1_11comp_targetILNS1_3genE3ELNS1_11target_archE908ELNS1_3gpuE7ELNS1_3repE0EEENS1_30default_config_static_selectorELNS0_4arch9wavefront6targetE1EEEvT1_, .Lfunc_end2294-_ZN7rocprim17ROCPRIM_400000_NS6detail17trampoline_kernelINS0_14default_configENS1_25partition_config_selectorILNS1_17partition_subalgoE1EtNS0_10empty_typeEbEEZZNS1_14partition_implILS5_1ELb0ES3_jN6thrust23THRUST_200600_302600_NS6detail15normal_iteratorINSA_10device_ptrItEEEEPS6_NSA_18transform_iteratorI7is_evenItESF_NSA_11use_defaultESK_EENS0_5tupleIJSF_SF_EEENSM_IJSG_SG_EEES6_PlJS6_EEE10hipError_tPvRmT3_T4_T5_T6_T7_T9_mT8_P12ihipStream_tbDpT10_ENKUlT_T0_E_clISt17integral_constantIbLb0EES18_IbLb1EEEEDaS14_S15_EUlS14_E_NS1_11comp_targetILNS1_3genE3ELNS1_11target_archE908ELNS1_3gpuE7ELNS1_3repE0EEENS1_30default_config_static_selectorELNS0_4arch9wavefront6targetE1EEEvT1_
                                        ; -- End function
	.section	.AMDGPU.csdata,"",@progbits
; Kernel info:
; codeLenInByte = 0
; NumSgprs: 6
; NumVgprs: 0
; NumAgprs: 0
; TotalNumVgprs: 0
; ScratchSize: 0
; MemoryBound: 0
; FloatMode: 240
; IeeeMode: 1
; LDSByteSize: 0 bytes/workgroup (compile time only)
; SGPRBlocks: 0
; VGPRBlocks: 0
; NumSGPRsForWavesPerEU: 6
; NumVGPRsForWavesPerEU: 1
; AccumOffset: 4
; Occupancy: 8
; WaveLimiterHint : 0
; COMPUTE_PGM_RSRC2:SCRATCH_EN: 0
; COMPUTE_PGM_RSRC2:USER_SGPR: 2
; COMPUTE_PGM_RSRC2:TRAP_HANDLER: 0
; COMPUTE_PGM_RSRC2:TGID_X_EN: 1
; COMPUTE_PGM_RSRC2:TGID_Y_EN: 0
; COMPUTE_PGM_RSRC2:TGID_Z_EN: 0
; COMPUTE_PGM_RSRC2:TIDIG_COMP_CNT: 0
; COMPUTE_PGM_RSRC3_GFX90A:ACCUM_OFFSET: 0
; COMPUTE_PGM_RSRC3_GFX90A:TG_SPLIT: 0
	.section	.text._ZN7rocprim17ROCPRIM_400000_NS6detail17trampoline_kernelINS0_14default_configENS1_25partition_config_selectorILNS1_17partition_subalgoE1EtNS0_10empty_typeEbEEZZNS1_14partition_implILS5_1ELb0ES3_jN6thrust23THRUST_200600_302600_NS6detail15normal_iteratorINSA_10device_ptrItEEEEPS6_NSA_18transform_iteratorI7is_evenItESF_NSA_11use_defaultESK_EENS0_5tupleIJSF_SF_EEENSM_IJSG_SG_EEES6_PlJS6_EEE10hipError_tPvRmT3_T4_T5_T6_T7_T9_mT8_P12ihipStream_tbDpT10_ENKUlT_T0_E_clISt17integral_constantIbLb0EES18_IbLb1EEEEDaS14_S15_EUlS14_E_NS1_11comp_targetILNS1_3genE2ELNS1_11target_archE906ELNS1_3gpuE6ELNS1_3repE0EEENS1_30default_config_static_selectorELNS0_4arch9wavefront6targetE1EEEvT1_,"axG",@progbits,_ZN7rocprim17ROCPRIM_400000_NS6detail17trampoline_kernelINS0_14default_configENS1_25partition_config_selectorILNS1_17partition_subalgoE1EtNS0_10empty_typeEbEEZZNS1_14partition_implILS5_1ELb0ES3_jN6thrust23THRUST_200600_302600_NS6detail15normal_iteratorINSA_10device_ptrItEEEEPS6_NSA_18transform_iteratorI7is_evenItESF_NSA_11use_defaultESK_EENS0_5tupleIJSF_SF_EEENSM_IJSG_SG_EEES6_PlJS6_EEE10hipError_tPvRmT3_T4_T5_T6_T7_T9_mT8_P12ihipStream_tbDpT10_ENKUlT_T0_E_clISt17integral_constantIbLb0EES18_IbLb1EEEEDaS14_S15_EUlS14_E_NS1_11comp_targetILNS1_3genE2ELNS1_11target_archE906ELNS1_3gpuE6ELNS1_3repE0EEENS1_30default_config_static_selectorELNS0_4arch9wavefront6targetE1EEEvT1_,comdat
	.protected	_ZN7rocprim17ROCPRIM_400000_NS6detail17trampoline_kernelINS0_14default_configENS1_25partition_config_selectorILNS1_17partition_subalgoE1EtNS0_10empty_typeEbEEZZNS1_14partition_implILS5_1ELb0ES3_jN6thrust23THRUST_200600_302600_NS6detail15normal_iteratorINSA_10device_ptrItEEEEPS6_NSA_18transform_iteratorI7is_evenItESF_NSA_11use_defaultESK_EENS0_5tupleIJSF_SF_EEENSM_IJSG_SG_EEES6_PlJS6_EEE10hipError_tPvRmT3_T4_T5_T6_T7_T9_mT8_P12ihipStream_tbDpT10_ENKUlT_T0_E_clISt17integral_constantIbLb0EES18_IbLb1EEEEDaS14_S15_EUlS14_E_NS1_11comp_targetILNS1_3genE2ELNS1_11target_archE906ELNS1_3gpuE6ELNS1_3repE0EEENS1_30default_config_static_selectorELNS0_4arch9wavefront6targetE1EEEvT1_ ; -- Begin function _ZN7rocprim17ROCPRIM_400000_NS6detail17trampoline_kernelINS0_14default_configENS1_25partition_config_selectorILNS1_17partition_subalgoE1EtNS0_10empty_typeEbEEZZNS1_14partition_implILS5_1ELb0ES3_jN6thrust23THRUST_200600_302600_NS6detail15normal_iteratorINSA_10device_ptrItEEEEPS6_NSA_18transform_iteratorI7is_evenItESF_NSA_11use_defaultESK_EENS0_5tupleIJSF_SF_EEENSM_IJSG_SG_EEES6_PlJS6_EEE10hipError_tPvRmT3_T4_T5_T6_T7_T9_mT8_P12ihipStream_tbDpT10_ENKUlT_T0_E_clISt17integral_constantIbLb0EES18_IbLb1EEEEDaS14_S15_EUlS14_E_NS1_11comp_targetILNS1_3genE2ELNS1_11target_archE906ELNS1_3gpuE6ELNS1_3repE0EEENS1_30default_config_static_selectorELNS0_4arch9wavefront6targetE1EEEvT1_
	.globl	_ZN7rocprim17ROCPRIM_400000_NS6detail17trampoline_kernelINS0_14default_configENS1_25partition_config_selectorILNS1_17partition_subalgoE1EtNS0_10empty_typeEbEEZZNS1_14partition_implILS5_1ELb0ES3_jN6thrust23THRUST_200600_302600_NS6detail15normal_iteratorINSA_10device_ptrItEEEEPS6_NSA_18transform_iteratorI7is_evenItESF_NSA_11use_defaultESK_EENS0_5tupleIJSF_SF_EEENSM_IJSG_SG_EEES6_PlJS6_EEE10hipError_tPvRmT3_T4_T5_T6_T7_T9_mT8_P12ihipStream_tbDpT10_ENKUlT_T0_E_clISt17integral_constantIbLb0EES18_IbLb1EEEEDaS14_S15_EUlS14_E_NS1_11comp_targetILNS1_3genE2ELNS1_11target_archE906ELNS1_3gpuE6ELNS1_3repE0EEENS1_30default_config_static_selectorELNS0_4arch9wavefront6targetE1EEEvT1_
	.p2align	8
	.type	_ZN7rocprim17ROCPRIM_400000_NS6detail17trampoline_kernelINS0_14default_configENS1_25partition_config_selectorILNS1_17partition_subalgoE1EtNS0_10empty_typeEbEEZZNS1_14partition_implILS5_1ELb0ES3_jN6thrust23THRUST_200600_302600_NS6detail15normal_iteratorINSA_10device_ptrItEEEEPS6_NSA_18transform_iteratorI7is_evenItESF_NSA_11use_defaultESK_EENS0_5tupleIJSF_SF_EEENSM_IJSG_SG_EEES6_PlJS6_EEE10hipError_tPvRmT3_T4_T5_T6_T7_T9_mT8_P12ihipStream_tbDpT10_ENKUlT_T0_E_clISt17integral_constantIbLb0EES18_IbLb1EEEEDaS14_S15_EUlS14_E_NS1_11comp_targetILNS1_3genE2ELNS1_11target_archE906ELNS1_3gpuE6ELNS1_3repE0EEENS1_30default_config_static_selectorELNS0_4arch9wavefront6targetE1EEEvT1_,@function
_ZN7rocprim17ROCPRIM_400000_NS6detail17trampoline_kernelINS0_14default_configENS1_25partition_config_selectorILNS1_17partition_subalgoE1EtNS0_10empty_typeEbEEZZNS1_14partition_implILS5_1ELb0ES3_jN6thrust23THRUST_200600_302600_NS6detail15normal_iteratorINSA_10device_ptrItEEEEPS6_NSA_18transform_iteratorI7is_evenItESF_NSA_11use_defaultESK_EENS0_5tupleIJSF_SF_EEENSM_IJSG_SG_EEES6_PlJS6_EEE10hipError_tPvRmT3_T4_T5_T6_T7_T9_mT8_P12ihipStream_tbDpT10_ENKUlT_T0_E_clISt17integral_constantIbLb0EES18_IbLb1EEEEDaS14_S15_EUlS14_E_NS1_11comp_targetILNS1_3genE2ELNS1_11target_archE906ELNS1_3gpuE6ELNS1_3repE0EEENS1_30default_config_static_selectorELNS0_4arch9wavefront6targetE1EEEvT1_: ; @_ZN7rocprim17ROCPRIM_400000_NS6detail17trampoline_kernelINS0_14default_configENS1_25partition_config_selectorILNS1_17partition_subalgoE1EtNS0_10empty_typeEbEEZZNS1_14partition_implILS5_1ELb0ES3_jN6thrust23THRUST_200600_302600_NS6detail15normal_iteratorINSA_10device_ptrItEEEEPS6_NSA_18transform_iteratorI7is_evenItESF_NSA_11use_defaultESK_EENS0_5tupleIJSF_SF_EEENSM_IJSG_SG_EEES6_PlJS6_EEE10hipError_tPvRmT3_T4_T5_T6_T7_T9_mT8_P12ihipStream_tbDpT10_ENKUlT_T0_E_clISt17integral_constantIbLb0EES18_IbLb1EEEEDaS14_S15_EUlS14_E_NS1_11comp_targetILNS1_3genE2ELNS1_11target_archE906ELNS1_3gpuE6ELNS1_3repE0EEENS1_30default_config_static_selectorELNS0_4arch9wavefront6targetE1EEEvT1_
; %bb.0:
	.section	.rodata,"a",@progbits
	.p2align	6, 0x0
	.amdhsa_kernel _ZN7rocprim17ROCPRIM_400000_NS6detail17trampoline_kernelINS0_14default_configENS1_25partition_config_selectorILNS1_17partition_subalgoE1EtNS0_10empty_typeEbEEZZNS1_14partition_implILS5_1ELb0ES3_jN6thrust23THRUST_200600_302600_NS6detail15normal_iteratorINSA_10device_ptrItEEEEPS6_NSA_18transform_iteratorI7is_evenItESF_NSA_11use_defaultESK_EENS0_5tupleIJSF_SF_EEENSM_IJSG_SG_EEES6_PlJS6_EEE10hipError_tPvRmT3_T4_T5_T6_T7_T9_mT8_P12ihipStream_tbDpT10_ENKUlT_T0_E_clISt17integral_constantIbLb0EES18_IbLb1EEEEDaS14_S15_EUlS14_E_NS1_11comp_targetILNS1_3genE2ELNS1_11target_archE906ELNS1_3gpuE6ELNS1_3repE0EEENS1_30default_config_static_selectorELNS0_4arch9wavefront6targetE1EEEvT1_
		.amdhsa_group_segment_fixed_size 0
		.amdhsa_private_segment_fixed_size 0
		.amdhsa_kernarg_size 144
		.amdhsa_user_sgpr_count 2
		.amdhsa_user_sgpr_dispatch_ptr 0
		.amdhsa_user_sgpr_queue_ptr 0
		.amdhsa_user_sgpr_kernarg_segment_ptr 1
		.amdhsa_user_sgpr_dispatch_id 0
		.amdhsa_user_sgpr_kernarg_preload_length 0
		.amdhsa_user_sgpr_kernarg_preload_offset 0
		.amdhsa_user_sgpr_private_segment_size 0
		.amdhsa_uses_dynamic_stack 0
		.amdhsa_enable_private_segment 0
		.amdhsa_system_sgpr_workgroup_id_x 1
		.amdhsa_system_sgpr_workgroup_id_y 0
		.amdhsa_system_sgpr_workgroup_id_z 0
		.amdhsa_system_sgpr_workgroup_info 0
		.amdhsa_system_vgpr_workitem_id 0
		.amdhsa_next_free_vgpr 1
		.amdhsa_next_free_sgpr 0
		.amdhsa_accum_offset 4
		.amdhsa_reserve_vcc 0
		.amdhsa_float_round_mode_32 0
		.amdhsa_float_round_mode_16_64 0
		.amdhsa_float_denorm_mode_32 3
		.amdhsa_float_denorm_mode_16_64 3
		.amdhsa_dx10_clamp 1
		.amdhsa_ieee_mode 1
		.amdhsa_fp16_overflow 0
		.amdhsa_tg_split 0
		.amdhsa_exception_fp_ieee_invalid_op 0
		.amdhsa_exception_fp_denorm_src 0
		.amdhsa_exception_fp_ieee_div_zero 0
		.amdhsa_exception_fp_ieee_overflow 0
		.amdhsa_exception_fp_ieee_underflow 0
		.amdhsa_exception_fp_ieee_inexact 0
		.amdhsa_exception_int_div_zero 0
	.end_amdhsa_kernel
	.section	.text._ZN7rocprim17ROCPRIM_400000_NS6detail17trampoline_kernelINS0_14default_configENS1_25partition_config_selectorILNS1_17partition_subalgoE1EtNS0_10empty_typeEbEEZZNS1_14partition_implILS5_1ELb0ES3_jN6thrust23THRUST_200600_302600_NS6detail15normal_iteratorINSA_10device_ptrItEEEEPS6_NSA_18transform_iteratorI7is_evenItESF_NSA_11use_defaultESK_EENS0_5tupleIJSF_SF_EEENSM_IJSG_SG_EEES6_PlJS6_EEE10hipError_tPvRmT3_T4_T5_T6_T7_T9_mT8_P12ihipStream_tbDpT10_ENKUlT_T0_E_clISt17integral_constantIbLb0EES18_IbLb1EEEEDaS14_S15_EUlS14_E_NS1_11comp_targetILNS1_3genE2ELNS1_11target_archE906ELNS1_3gpuE6ELNS1_3repE0EEENS1_30default_config_static_selectorELNS0_4arch9wavefront6targetE1EEEvT1_,"axG",@progbits,_ZN7rocprim17ROCPRIM_400000_NS6detail17trampoline_kernelINS0_14default_configENS1_25partition_config_selectorILNS1_17partition_subalgoE1EtNS0_10empty_typeEbEEZZNS1_14partition_implILS5_1ELb0ES3_jN6thrust23THRUST_200600_302600_NS6detail15normal_iteratorINSA_10device_ptrItEEEEPS6_NSA_18transform_iteratorI7is_evenItESF_NSA_11use_defaultESK_EENS0_5tupleIJSF_SF_EEENSM_IJSG_SG_EEES6_PlJS6_EEE10hipError_tPvRmT3_T4_T5_T6_T7_T9_mT8_P12ihipStream_tbDpT10_ENKUlT_T0_E_clISt17integral_constantIbLb0EES18_IbLb1EEEEDaS14_S15_EUlS14_E_NS1_11comp_targetILNS1_3genE2ELNS1_11target_archE906ELNS1_3gpuE6ELNS1_3repE0EEENS1_30default_config_static_selectorELNS0_4arch9wavefront6targetE1EEEvT1_,comdat
.Lfunc_end2295:
	.size	_ZN7rocprim17ROCPRIM_400000_NS6detail17trampoline_kernelINS0_14default_configENS1_25partition_config_selectorILNS1_17partition_subalgoE1EtNS0_10empty_typeEbEEZZNS1_14partition_implILS5_1ELb0ES3_jN6thrust23THRUST_200600_302600_NS6detail15normal_iteratorINSA_10device_ptrItEEEEPS6_NSA_18transform_iteratorI7is_evenItESF_NSA_11use_defaultESK_EENS0_5tupleIJSF_SF_EEENSM_IJSG_SG_EEES6_PlJS6_EEE10hipError_tPvRmT3_T4_T5_T6_T7_T9_mT8_P12ihipStream_tbDpT10_ENKUlT_T0_E_clISt17integral_constantIbLb0EES18_IbLb1EEEEDaS14_S15_EUlS14_E_NS1_11comp_targetILNS1_3genE2ELNS1_11target_archE906ELNS1_3gpuE6ELNS1_3repE0EEENS1_30default_config_static_selectorELNS0_4arch9wavefront6targetE1EEEvT1_, .Lfunc_end2295-_ZN7rocprim17ROCPRIM_400000_NS6detail17trampoline_kernelINS0_14default_configENS1_25partition_config_selectorILNS1_17partition_subalgoE1EtNS0_10empty_typeEbEEZZNS1_14partition_implILS5_1ELb0ES3_jN6thrust23THRUST_200600_302600_NS6detail15normal_iteratorINSA_10device_ptrItEEEEPS6_NSA_18transform_iteratorI7is_evenItESF_NSA_11use_defaultESK_EENS0_5tupleIJSF_SF_EEENSM_IJSG_SG_EEES6_PlJS6_EEE10hipError_tPvRmT3_T4_T5_T6_T7_T9_mT8_P12ihipStream_tbDpT10_ENKUlT_T0_E_clISt17integral_constantIbLb0EES18_IbLb1EEEEDaS14_S15_EUlS14_E_NS1_11comp_targetILNS1_3genE2ELNS1_11target_archE906ELNS1_3gpuE6ELNS1_3repE0EEENS1_30default_config_static_selectorELNS0_4arch9wavefront6targetE1EEEvT1_
                                        ; -- End function
	.section	.AMDGPU.csdata,"",@progbits
; Kernel info:
; codeLenInByte = 0
; NumSgprs: 6
; NumVgprs: 0
; NumAgprs: 0
; TotalNumVgprs: 0
; ScratchSize: 0
; MemoryBound: 0
; FloatMode: 240
; IeeeMode: 1
; LDSByteSize: 0 bytes/workgroup (compile time only)
; SGPRBlocks: 0
; VGPRBlocks: 0
; NumSGPRsForWavesPerEU: 6
; NumVGPRsForWavesPerEU: 1
; AccumOffset: 4
; Occupancy: 8
; WaveLimiterHint : 0
; COMPUTE_PGM_RSRC2:SCRATCH_EN: 0
; COMPUTE_PGM_RSRC2:USER_SGPR: 2
; COMPUTE_PGM_RSRC2:TRAP_HANDLER: 0
; COMPUTE_PGM_RSRC2:TGID_X_EN: 1
; COMPUTE_PGM_RSRC2:TGID_Y_EN: 0
; COMPUTE_PGM_RSRC2:TGID_Z_EN: 0
; COMPUTE_PGM_RSRC2:TIDIG_COMP_CNT: 0
; COMPUTE_PGM_RSRC3_GFX90A:ACCUM_OFFSET: 0
; COMPUTE_PGM_RSRC3_GFX90A:TG_SPLIT: 0
	.section	.text._ZN7rocprim17ROCPRIM_400000_NS6detail17trampoline_kernelINS0_14default_configENS1_25partition_config_selectorILNS1_17partition_subalgoE1EtNS0_10empty_typeEbEEZZNS1_14partition_implILS5_1ELb0ES3_jN6thrust23THRUST_200600_302600_NS6detail15normal_iteratorINSA_10device_ptrItEEEEPS6_NSA_18transform_iteratorI7is_evenItESF_NSA_11use_defaultESK_EENS0_5tupleIJSF_SF_EEENSM_IJSG_SG_EEES6_PlJS6_EEE10hipError_tPvRmT3_T4_T5_T6_T7_T9_mT8_P12ihipStream_tbDpT10_ENKUlT_T0_E_clISt17integral_constantIbLb0EES18_IbLb1EEEEDaS14_S15_EUlS14_E_NS1_11comp_targetILNS1_3genE10ELNS1_11target_archE1200ELNS1_3gpuE4ELNS1_3repE0EEENS1_30default_config_static_selectorELNS0_4arch9wavefront6targetE1EEEvT1_,"axG",@progbits,_ZN7rocprim17ROCPRIM_400000_NS6detail17trampoline_kernelINS0_14default_configENS1_25partition_config_selectorILNS1_17partition_subalgoE1EtNS0_10empty_typeEbEEZZNS1_14partition_implILS5_1ELb0ES3_jN6thrust23THRUST_200600_302600_NS6detail15normal_iteratorINSA_10device_ptrItEEEEPS6_NSA_18transform_iteratorI7is_evenItESF_NSA_11use_defaultESK_EENS0_5tupleIJSF_SF_EEENSM_IJSG_SG_EEES6_PlJS6_EEE10hipError_tPvRmT3_T4_T5_T6_T7_T9_mT8_P12ihipStream_tbDpT10_ENKUlT_T0_E_clISt17integral_constantIbLb0EES18_IbLb1EEEEDaS14_S15_EUlS14_E_NS1_11comp_targetILNS1_3genE10ELNS1_11target_archE1200ELNS1_3gpuE4ELNS1_3repE0EEENS1_30default_config_static_selectorELNS0_4arch9wavefront6targetE1EEEvT1_,comdat
	.protected	_ZN7rocprim17ROCPRIM_400000_NS6detail17trampoline_kernelINS0_14default_configENS1_25partition_config_selectorILNS1_17partition_subalgoE1EtNS0_10empty_typeEbEEZZNS1_14partition_implILS5_1ELb0ES3_jN6thrust23THRUST_200600_302600_NS6detail15normal_iteratorINSA_10device_ptrItEEEEPS6_NSA_18transform_iteratorI7is_evenItESF_NSA_11use_defaultESK_EENS0_5tupleIJSF_SF_EEENSM_IJSG_SG_EEES6_PlJS6_EEE10hipError_tPvRmT3_T4_T5_T6_T7_T9_mT8_P12ihipStream_tbDpT10_ENKUlT_T0_E_clISt17integral_constantIbLb0EES18_IbLb1EEEEDaS14_S15_EUlS14_E_NS1_11comp_targetILNS1_3genE10ELNS1_11target_archE1200ELNS1_3gpuE4ELNS1_3repE0EEENS1_30default_config_static_selectorELNS0_4arch9wavefront6targetE1EEEvT1_ ; -- Begin function _ZN7rocprim17ROCPRIM_400000_NS6detail17trampoline_kernelINS0_14default_configENS1_25partition_config_selectorILNS1_17partition_subalgoE1EtNS0_10empty_typeEbEEZZNS1_14partition_implILS5_1ELb0ES3_jN6thrust23THRUST_200600_302600_NS6detail15normal_iteratorINSA_10device_ptrItEEEEPS6_NSA_18transform_iteratorI7is_evenItESF_NSA_11use_defaultESK_EENS0_5tupleIJSF_SF_EEENSM_IJSG_SG_EEES6_PlJS6_EEE10hipError_tPvRmT3_T4_T5_T6_T7_T9_mT8_P12ihipStream_tbDpT10_ENKUlT_T0_E_clISt17integral_constantIbLb0EES18_IbLb1EEEEDaS14_S15_EUlS14_E_NS1_11comp_targetILNS1_3genE10ELNS1_11target_archE1200ELNS1_3gpuE4ELNS1_3repE0EEENS1_30default_config_static_selectorELNS0_4arch9wavefront6targetE1EEEvT1_
	.globl	_ZN7rocprim17ROCPRIM_400000_NS6detail17trampoline_kernelINS0_14default_configENS1_25partition_config_selectorILNS1_17partition_subalgoE1EtNS0_10empty_typeEbEEZZNS1_14partition_implILS5_1ELb0ES3_jN6thrust23THRUST_200600_302600_NS6detail15normal_iteratorINSA_10device_ptrItEEEEPS6_NSA_18transform_iteratorI7is_evenItESF_NSA_11use_defaultESK_EENS0_5tupleIJSF_SF_EEENSM_IJSG_SG_EEES6_PlJS6_EEE10hipError_tPvRmT3_T4_T5_T6_T7_T9_mT8_P12ihipStream_tbDpT10_ENKUlT_T0_E_clISt17integral_constantIbLb0EES18_IbLb1EEEEDaS14_S15_EUlS14_E_NS1_11comp_targetILNS1_3genE10ELNS1_11target_archE1200ELNS1_3gpuE4ELNS1_3repE0EEENS1_30default_config_static_selectorELNS0_4arch9wavefront6targetE1EEEvT1_
	.p2align	8
	.type	_ZN7rocprim17ROCPRIM_400000_NS6detail17trampoline_kernelINS0_14default_configENS1_25partition_config_selectorILNS1_17partition_subalgoE1EtNS0_10empty_typeEbEEZZNS1_14partition_implILS5_1ELb0ES3_jN6thrust23THRUST_200600_302600_NS6detail15normal_iteratorINSA_10device_ptrItEEEEPS6_NSA_18transform_iteratorI7is_evenItESF_NSA_11use_defaultESK_EENS0_5tupleIJSF_SF_EEENSM_IJSG_SG_EEES6_PlJS6_EEE10hipError_tPvRmT3_T4_T5_T6_T7_T9_mT8_P12ihipStream_tbDpT10_ENKUlT_T0_E_clISt17integral_constantIbLb0EES18_IbLb1EEEEDaS14_S15_EUlS14_E_NS1_11comp_targetILNS1_3genE10ELNS1_11target_archE1200ELNS1_3gpuE4ELNS1_3repE0EEENS1_30default_config_static_selectorELNS0_4arch9wavefront6targetE1EEEvT1_,@function
_ZN7rocprim17ROCPRIM_400000_NS6detail17trampoline_kernelINS0_14default_configENS1_25partition_config_selectorILNS1_17partition_subalgoE1EtNS0_10empty_typeEbEEZZNS1_14partition_implILS5_1ELb0ES3_jN6thrust23THRUST_200600_302600_NS6detail15normal_iteratorINSA_10device_ptrItEEEEPS6_NSA_18transform_iteratorI7is_evenItESF_NSA_11use_defaultESK_EENS0_5tupleIJSF_SF_EEENSM_IJSG_SG_EEES6_PlJS6_EEE10hipError_tPvRmT3_T4_T5_T6_T7_T9_mT8_P12ihipStream_tbDpT10_ENKUlT_T0_E_clISt17integral_constantIbLb0EES18_IbLb1EEEEDaS14_S15_EUlS14_E_NS1_11comp_targetILNS1_3genE10ELNS1_11target_archE1200ELNS1_3gpuE4ELNS1_3repE0EEENS1_30default_config_static_selectorELNS0_4arch9wavefront6targetE1EEEvT1_: ; @_ZN7rocprim17ROCPRIM_400000_NS6detail17trampoline_kernelINS0_14default_configENS1_25partition_config_selectorILNS1_17partition_subalgoE1EtNS0_10empty_typeEbEEZZNS1_14partition_implILS5_1ELb0ES3_jN6thrust23THRUST_200600_302600_NS6detail15normal_iteratorINSA_10device_ptrItEEEEPS6_NSA_18transform_iteratorI7is_evenItESF_NSA_11use_defaultESK_EENS0_5tupleIJSF_SF_EEENSM_IJSG_SG_EEES6_PlJS6_EEE10hipError_tPvRmT3_T4_T5_T6_T7_T9_mT8_P12ihipStream_tbDpT10_ENKUlT_T0_E_clISt17integral_constantIbLb0EES18_IbLb1EEEEDaS14_S15_EUlS14_E_NS1_11comp_targetILNS1_3genE10ELNS1_11target_archE1200ELNS1_3gpuE4ELNS1_3repE0EEENS1_30default_config_static_selectorELNS0_4arch9wavefront6targetE1EEEvT1_
; %bb.0:
	.section	.rodata,"a",@progbits
	.p2align	6, 0x0
	.amdhsa_kernel _ZN7rocprim17ROCPRIM_400000_NS6detail17trampoline_kernelINS0_14default_configENS1_25partition_config_selectorILNS1_17partition_subalgoE1EtNS0_10empty_typeEbEEZZNS1_14partition_implILS5_1ELb0ES3_jN6thrust23THRUST_200600_302600_NS6detail15normal_iteratorINSA_10device_ptrItEEEEPS6_NSA_18transform_iteratorI7is_evenItESF_NSA_11use_defaultESK_EENS0_5tupleIJSF_SF_EEENSM_IJSG_SG_EEES6_PlJS6_EEE10hipError_tPvRmT3_T4_T5_T6_T7_T9_mT8_P12ihipStream_tbDpT10_ENKUlT_T0_E_clISt17integral_constantIbLb0EES18_IbLb1EEEEDaS14_S15_EUlS14_E_NS1_11comp_targetILNS1_3genE10ELNS1_11target_archE1200ELNS1_3gpuE4ELNS1_3repE0EEENS1_30default_config_static_selectorELNS0_4arch9wavefront6targetE1EEEvT1_
		.amdhsa_group_segment_fixed_size 0
		.amdhsa_private_segment_fixed_size 0
		.amdhsa_kernarg_size 144
		.amdhsa_user_sgpr_count 2
		.amdhsa_user_sgpr_dispatch_ptr 0
		.amdhsa_user_sgpr_queue_ptr 0
		.amdhsa_user_sgpr_kernarg_segment_ptr 1
		.amdhsa_user_sgpr_dispatch_id 0
		.amdhsa_user_sgpr_kernarg_preload_length 0
		.amdhsa_user_sgpr_kernarg_preload_offset 0
		.amdhsa_user_sgpr_private_segment_size 0
		.amdhsa_uses_dynamic_stack 0
		.amdhsa_enable_private_segment 0
		.amdhsa_system_sgpr_workgroup_id_x 1
		.amdhsa_system_sgpr_workgroup_id_y 0
		.amdhsa_system_sgpr_workgroup_id_z 0
		.amdhsa_system_sgpr_workgroup_info 0
		.amdhsa_system_vgpr_workitem_id 0
		.amdhsa_next_free_vgpr 1
		.amdhsa_next_free_sgpr 0
		.amdhsa_accum_offset 4
		.amdhsa_reserve_vcc 0
		.amdhsa_float_round_mode_32 0
		.amdhsa_float_round_mode_16_64 0
		.amdhsa_float_denorm_mode_32 3
		.amdhsa_float_denorm_mode_16_64 3
		.amdhsa_dx10_clamp 1
		.amdhsa_ieee_mode 1
		.amdhsa_fp16_overflow 0
		.amdhsa_tg_split 0
		.amdhsa_exception_fp_ieee_invalid_op 0
		.amdhsa_exception_fp_denorm_src 0
		.amdhsa_exception_fp_ieee_div_zero 0
		.amdhsa_exception_fp_ieee_overflow 0
		.amdhsa_exception_fp_ieee_underflow 0
		.amdhsa_exception_fp_ieee_inexact 0
		.amdhsa_exception_int_div_zero 0
	.end_amdhsa_kernel
	.section	.text._ZN7rocprim17ROCPRIM_400000_NS6detail17trampoline_kernelINS0_14default_configENS1_25partition_config_selectorILNS1_17partition_subalgoE1EtNS0_10empty_typeEbEEZZNS1_14partition_implILS5_1ELb0ES3_jN6thrust23THRUST_200600_302600_NS6detail15normal_iteratorINSA_10device_ptrItEEEEPS6_NSA_18transform_iteratorI7is_evenItESF_NSA_11use_defaultESK_EENS0_5tupleIJSF_SF_EEENSM_IJSG_SG_EEES6_PlJS6_EEE10hipError_tPvRmT3_T4_T5_T6_T7_T9_mT8_P12ihipStream_tbDpT10_ENKUlT_T0_E_clISt17integral_constantIbLb0EES18_IbLb1EEEEDaS14_S15_EUlS14_E_NS1_11comp_targetILNS1_3genE10ELNS1_11target_archE1200ELNS1_3gpuE4ELNS1_3repE0EEENS1_30default_config_static_selectorELNS0_4arch9wavefront6targetE1EEEvT1_,"axG",@progbits,_ZN7rocprim17ROCPRIM_400000_NS6detail17trampoline_kernelINS0_14default_configENS1_25partition_config_selectorILNS1_17partition_subalgoE1EtNS0_10empty_typeEbEEZZNS1_14partition_implILS5_1ELb0ES3_jN6thrust23THRUST_200600_302600_NS6detail15normal_iteratorINSA_10device_ptrItEEEEPS6_NSA_18transform_iteratorI7is_evenItESF_NSA_11use_defaultESK_EENS0_5tupleIJSF_SF_EEENSM_IJSG_SG_EEES6_PlJS6_EEE10hipError_tPvRmT3_T4_T5_T6_T7_T9_mT8_P12ihipStream_tbDpT10_ENKUlT_T0_E_clISt17integral_constantIbLb0EES18_IbLb1EEEEDaS14_S15_EUlS14_E_NS1_11comp_targetILNS1_3genE10ELNS1_11target_archE1200ELNS1_3gpuE4ELNS1_3repE0EEENS1_30default_config_static_selectorELNS0_4arch9wavefront6targetE1EEEvT1_,comdat
.Lfunc_end2296:
	.size	_ZN7rocprim17ROCPRIM_400000_NS6detail17trampoline_kernelINS0_14default_configENS1_25partition_config_selectorILNS1_17partition_subalgoE1EtNS0_10empty_typeEbEEZZNS1_14partition_implILS5_1ELb0ES3_jN6thrust23THRUST_200600_302600_NS6detail15normal_iteratorINSA_10device_ptrItEEEEPS6_NSA_18transform_iteratorI7is_evenItESF_NSA_11use_defaultESK_EENS0_5tupleIJSF_SF_EEENSM_IJSG_SG_EEES6_PlJS6_EEE10hipError_tPvRmT3_T4_T5_T6_T7_T9_mT8_P12ihipStream_tbDpT10_ENKUlT_T0_E_clISt17integral_constantIbLb0EES18_IbLb1EEEEDaS14_S15_EUlS14_E_NS1_11comp_targetILNS1_3genE10ELNS1_11target_archE1200ELNS1_3gpuE4ELNS1_3repE0EEENS1_30default_config_static_selectorELNS0_4arch9wavefront6targetE1EEEvT1_, .Lfunc_end2296-_ZN7rocprim17ROCPRIM_400000_NS6detail17trampoline_kernelINS0_14default_configENS1_25partition_config_selectorILNS1_17partition_subalgoE1EtNS0_10empty_typeEbEEZZNS1_14partition_implILS5_1ELb0ES3_jN6thrust23THRUST_200600_302600_NS6detail15normal_iteratorINSA_10device_ptrItEEEEPS6_NSA_18transform_iteratorI7is_evenItESF_NSA_11use_defaultESK_EENS0_5tupleIJSF_SF_EEENSM_IJSG_SG_EEES6_PlJS6_EEE10hipError_tPvRmT3_T4_T5_T6_T7_T9_mT8_P12ihipStream_tbDpT10_ENKUlT_T0_E_clISt17integral_constantIbLb0EES18_IbLb1EEEEDaS14_S15_EUlS14_E_NS1_11comp_targetILNS1_3genE10ELNS1_11target_archE1200ELNS1_3gpuE4ELNS1_3repE0EEENS1_30default_config_static_selectorELNS0_4arch9wavefront6targetE1EEEvT1_
                                        ; -- End function
	.section	.AMDGPU.csdata,"",@progbits
; Kernel info:
; codeLenInByte = 0
; NumSgprs: 6
; NumVgprs: 0
; NumAgprs: 0
; TotalNumVgprs: 0
; ScratchSize: 0
; MemoryBound: 0
; FloatMode: 240
; IeeeMode: 1
; LDSByteSize: 0 bytes/workgroup (compile time only)
; SGPRBlocks: 0
; VGPRBlocks: 0
; NumSGPRsForWavesPerEU: 6
; NumVGPRsForWavesPerEU: 1
; AccumOffset: 4
; Occupancy: 8
; WaveLimiterHint : 0
; COMPUTE_PGM_RSRC2:SCRATCH_EN: 0
; COMPUTE_PGM_RSRC2:USER_SGPR: 2
; COMPUTE_PGM_RSRC2:TRAP_HANDLER: 0
; COMPUTE_PGM_RSRC2:TGID_X_EN: 1
; COMPUTE_PGM_RSRC2:TGID_Y_EN: 0
; COMPUTE_PGM_RSRC2:TGID_Z_EN: 0
; COMPUTE_PGM_RSRC2:TIDIG_COMP_CNT: 0
; COMPUTE_PGM_RSRC3_GFX90A:ACCUM_OFFSET: 0
; COMPUTE_PGM_RSRC3_GFX90A:TG_SPLIT: 0
	.section	.text._ZN7rocprim17ROCPRIM_400000_NS6detail17trampoline_kernelINS0_14default_configENS1_25partition_config_selectorILNS1_17partition_subalgoE1EtNS0_10empty_typeEbEEZZNS1_14partition_implILS5_1ELb0ES3_jN6thrust23THRUST_200600_302600_NS6detail15normal_iteratorINSA_10device_ptrItEEEEPS6_NSA_18transform_iteratorI7is_evenItESF_NSA_11use_defaultESK_EENS0_5tupleIJSF_SF_EEENSM_IJSG_SG_EEES6_PlJS6_EEE10hipError_tPvRmT3_T4_T5_T6_T7_T9_mT8_P12ihipStream_tbDpT10_ENKUlT_T0_E_clISt17integral_constantIbLb0EES18_IbLb1EEEEDaS14_S15_EUlS14_E_NS1_11comp_targetILNS1_3genE9ELNS1_11target_archE1100ELNS1_3gpuE3ELNS1_3repE0EEENS1_30default_config_static_selectorELNS0_4arch9wavefront6targetE1EEEvT1_,"axG",@progbits,_ZN7rocprim17ROCPRIM_400000_NS6detail17trampoline_kernelINS0_14default_configENS1_25partition_config_selectorILNS1_17partition_subalgoE1EtNS0_10empty_typeEbEEZZNS1_14partition_implILS5_1ELb0ES3_jN6thrust23THRUST_200600_302600_NS6detail15normal_iteratorINSA_10device_ptrItEEEEPS6_NSA_18transform_iteratorI7is_evenItESF_NSA_11use_defaultESK_EENS0_5tupleIJSF_SF_EEENSM_IJSG_SG_EEES6_PlJS6_EEE10hipError_tPvRmT3_T4_T5_T6_T7_T9_mT8_P12ihipStream_tbDpT10_ENKUlT_T0_E_clISt17integral_constantIbLb0EES18_IbLb1EEEEDaS14_S15_EUlS14_E_NS1_11comp_targetILNS1_3genE9ELNS1_11target_archE1100ELNS1_3gpuE3ELNS1_3repE0EEENS1_30default_config_static_selectorELNS0_4arch9wavefront6targetE1EEEvT1_,comdat
	.protected	_ZN7rocprim17ROCPRIM_400000_NS6detail17trampoline_kernelINS0_14default_configENS1_25partition_config_selectorILNS1_17partition_subalgoE1EtNS0_10empty_typeEbEEZZNS1_14partition_implILS5_1ELb0ES3_jN6thrust23THRUST_200600_302600_NS6detail15normal_iteratorINSA_10device_ptrItEEEEPS6_NSA_18transform_iteratorI7is_evenItESF_NSA_11use_defaultESK_EENS0_5tupleIJSF_SF_EEENSM_IJSG_SG_EEES6_PlJS6_EEE10hipError_tPvRmT3_T4_T5_T6_T7_T9_mT8_P12ihipStream_tbDpT10_ENKUlT_T0_E_clISt17integral_constantIbLb0EES18_IbLb1EEEEDaS14_S15_EUlS14_E_NS1_11comp_targetILNS1_3genE9ELNS1_11target_archE1100ELNS1_3gpuE3ELNS1_3repE0EEENS1_30default_config_static_selectorELNS0_4arch9wavefront6targetE1EEEvT1_ ; -- Begin function _ZN7rocprim17ROCPRIM_400000_NS6detail17trampoline_kernelINS0_14default_configENS1_25partition_config_selectorILNS1_17partition_subalgoE1EtNS0_10empty_typeEbEEZZNS1_14partition_implILS5_1ELb0ES3_jN6thrust23THRUST_200600_302600_NS6detail15normal_iteratorINSA_10device_ptrItEEEEPS6_NSA_18transform_iteratorI7is_evenItESF_NSA_11use_defaultESK_EENS0_5tupleIJSF_SF_EEENSM_IJSG_SG_EEES6_PlJS6_EEE10hipError_tPvRmT3_T4_T5_T6_T7_T9_mT8_P12ihipStream_tbDpT10_ENKUlT_T0_E_clISt17integral_constantIbLb0EES18_IbLb1EEEEDaS14_S15_EUlS14_E_NS1_11comp_targetILNS1_3genE9ELNS1_11target_archE1100ELNS1_3gpuE3ELNS1_3repE0EEENS1_30default_config_static_selectorELNS0_4arch9wavefront6targetE1EEEvT1_
	.globl	_ZN7rocprim17ROCPRIM_400000_NS6detail17trampoline_kernelINS0_14default_configENS1_25partition_config_selectorILNS1_17partition_subalgoE1EtNS0_10empty_typeEbEEZZNS1_14partition_implILS5_1ELb0ES3_jN6thrust23THRUST_200600_302600_NS6detail15normal_iteratorINSA_10device_ptrItEEEEPS6_NSA_18transform_iteratorI7is_evenItESF_NSA_11use_defaultESK_EENS0_5tupleIJSF_SF_EEENSM_IJSG_SG_EEES6_PlJS6_EEE10hipError_tPvRmT3_T4_T5_T6_T7_T9_mT8_P12ihipStream_tbDpT10_ENKUlT_T0_E_clISt17integral_constantIbLb0EES18_IbLb1EEEEDaS14_S15_EUlS14_E_NS1_11comp_targetILNS1_3genE9ELNS1_11target_archE1100ELNS1_3gpuE3ELNS1_3repE0EEENS1_30default_config_static_selectorELNS0_4arch9wavefront6targetE1EEEvT1_
	.p2align	8
	.type	_ZN7rocprim17ROCPRIM_400000_NS6detail17trampoline_kernelINS0_14default_configENS1_25partition_config_selectorILNS1_17partition_subalgoE1EtNS0_10empty_typeEbEEZZNS1_14partition_implILS5_1ELb0ES3_jN6thrust23THRUST_200600_302600_NS6detail15normal_iteratorINSA_10device_ptrItEEEEPS6_NSA_18transform_iteratorI7is_evenItESF_NSA_11use_defaultESK_EENS0_5tupleIJSF_SF_EEENSM_IJSG_SG_EEES6_PlJS6_EEE10hipError_tPvRmT3_T4_T5_T6_T7_T9_mT8_P12ihipStream_tbDpT10_ENKUlT_T0_E_clISt17integral_constantIbLb0EES18_IbLb1EEEEDaS14_S15_EUlS14_E_NS1_11comp_targetILNS1_3genE9ELNS1_11target_archE1100ELNS1_3gpuE3ELNS1_3repE0EEENS1_30default_config_static_selectorELNS0_4arch9wavefront6targetE1EEEvT1_,@function
_ZN7rocprim17ROCPRIM_400000_NS6detail17trampoline_kernelINS0_14default_configENS1_25partition_config_selectorILNS1_17partition_subalgoE1EtNS0_10empty_typeEbEEZZNS1_14partition_implILS5_1ELb0ES3_jN6thrust23THRUST_200600_302600_NS6detail15normal_iteratorINSA_10device_ptrItEEEEPS6_NSA_18transform_iteratorI7is_evenItESF_NSA_11use_defaultESK_EENS0_5tupleIJSF_SF_EEENSM_IJSG_SG_EEES6_PlJS6_EEE10hipError_tPvRmT3_T4_T5_T6_T7_T9_mT8_P12ihipStream_tbDpT10_ENKUlT_T0_E_clISt17integral_constantIbLb0EES18_IbLb1EEEEDaS14_S15_EUlS14_E_NS1_11comp_targetILNS1_3genE9ELNS1_11target_archE1100ELNS1_3gpuE3ELNS1_3repE0EEENS1_30default_config_static_selectorELNS0_4arch9wavefront6targetE1EEEvT1_: ; @_ZN7rocprim17ROCPRIM_400000_NS6detail17trampoline_kernelINS0_14default_configENS1_25partition_config_selectorILNS1_17partition_subalgoE1EtNS0_10empty_typeEbEEZZNS1_14partition_implILS5_1ELb0ES3_jN6thrust23THRUST_200600_302600_NS6detail15normal_iteratorINSA_10device_ptrItEEEEPS6_NSA_18transform_iteratorI7is_evenItESF_NSA_11use_defaultESK_EENS0_5tupleIJSF_SF_EEENSM_IJSG_SG_EEES6_PlJS6_EEE10hipError_tPvRmT3_T4_T5_T6_T7_T9_mT8_P12ihipStream_tbDpT10_ENKUlT_T0_E_clISt17integral_constantIbLb0EES18_IbLb1EEEEDaS14_S15_EUlS14_E_NS1_11comp_targetILNS1_3genE9ELNS1_11target_archE1100ELNS1_3gpuE3ELNS1_3repE0EEENS1_30default_config_static_selectorELNS0_4arch9wavefront6targetE1EEEvT1_
; %bb.0:
	.section	.rodata,"a",@progbits
	.p2align	6, 0x0
	.amdhsa_kernel _ZN7rocprim17ROCPRIM_400000_NS6detail17trampoline_kernelINS0_14default_configENS1_25partition_config_selectorILNS1_17partition_subalgoE1EtNS0_10empty_typeEbEEZZNS1_14partition_implILS5_1ELb0ES3_jN6thrust23THRUST_200600_302600_NS6detail15normal_iteratorINSA_10device_ptrItEEEEPS6_NSA_18transform_iteratorI7is_evenItESF_NSA_11use_defaultESK_EENS0_5tupleIJSF_SF_EEENSM_IJSG_SG_EEES6_PlJS6_EEE10hipError_tPvRmT3_T4_T5_T6_T7_T9_mT8_P12ihipStream_tbDpT10_ENKUlT_T0_E_clISt17integral_constantIbLb0EES18_IbLb1EEEEDaS14_S15_EUlS14_E_NS1_11comp_targetILNS1_3genE9ELNS1_11target_archE1100ELNS1_3gpuE3ELNS1_3repE0EEENS1_30default_config_static_selectorELNS0_4arch9wavefront6targetE1EEEvT1_
		.amdhsa_group_segment_fixed_size 0
		.amdhsa_private_segment_fixed_size 0
		.amdhsa_kernarg_size 144
		.amdhsa_user_sgpr_count 2
		.amdhsa_user_sgpr_dispatch_ptr 0
		.amdhsa_user_sgpr_queue_ptr 0
		.amdhsa_user_sgpr_kernarg_segment_ptr 1
		.amdhsa_user_sgpr_dispatch_id 0
		.amdhsa_user_sgpr_kernarg_preload_length 0
		.amdhsa_user_sgpr_kernarg_preload_offset 0
		.amdhsa_user_sgpr_private_segment_size 0
		.amdhsa_uses_dynamic_stack 0
		.amdhsa_enable_private_segment 0
		.amdhsa_system_sgpr_workgroup_id_x 1
		.amdhsa_system_sgpr_workgroup_id_y 0
		.amdhsa_system_sgpr_workgroup_id_z 0
		.amdhsa_system_sgpr_workgroup_info 0
		.amdhsa_system_vgpr_workitem_id 0
		.amdhsa_next_free_vgpr 1
		.amdhsa_next_free_sgpr 0
		.amdhsa_accum_offset 4
		.amdhsa_reserve_vcc 0
		.amdhsa_float_round_mode_32 0
		.amdhsa_float_round_mode_16_64 0
		.amdhsa_float_denorm_mode_32 3
		.amdhsa_float_denorm_mode_16_64 3
		.amdhsa_dx10_clamp 1
		.amdhsa_ieee_mode 1
		.amdhsa_fp16_overflow 0
		.amdhsa_tg_split 0
		.amdhsa_exception_fp_ieee_invalid_op 0
		.amdhsa_exception_fp_denorm_src 0
		.amdhsa_exception_fp_ieee_div_zero 0
		.amdhsa_exception_fp_ieee_overflow 0
		.amdhsa_exception_fp_ieee_underflow 0
		.amdhsa_exception_fp_ieee_inexact 0
		.amdhsa_exception_int_div_zero 0
	.end_amdhsa_kernel
	.section	.text._ZN7rocprim17ROCPRIM_400000_NS6detail17trampoline_kernelINS0_14default_configENS1_25partition_config_selectorILNS1_17partition_subalgoE1EtNS0_10empty_typeEbEEZZNS1_14partition_implILS5_1ELb0ES3_jN6thrust23THRUST_200600_302600_NS6detail15normal_iteratorINSA_10device_ptrItEEEEPS6_NSA_18transform_iteratorI7is_evenItESF_NSA_11use_defaultESK_EENS0_5tupleIJSF_SF_EEENSM_IJSG_SG_EEES6_PlJS6_EEE10hipError_tPvRmT3_T4_T5_T6_T7_T9_mT8_P12ihipStream_tbDpT10_ENKUlT_T0_E_clISt17integral_constantIbLb0EES18_IbLb1EEEEDaS14_S15_EUlS14_E_NS1_11comp_targetILNS1_3genE9ELNS1_11target_archE1100ELNS1_3gpuE3ELNS1_3repE0EEENS1_30default_config_static_selectorELNS0_4arch9wavefront6targetE1EEEvT1_,"axG",@progbits,_ZN7rocprim17ROCPRIM_400000_NS6detail17trampoline_kernelINS0_14default_configENS1_25partition_config_selectorILNS1_17partition_subalgoE1EtNS0_10empty_typeEbEEZZNS1_14partition_implILS5_1ELb0ES3_jN6thrust23THRUST_200600_302600_NS6detail15normal_iteratorINSA_10device_ptrItEEEEPS6_NSA_18transform_iteratorI7is_evenItESF_NSA_11use_defaultESK_EENS0_5tupleIJSF_SF_EEENSM_IJSG_SG_EEES6_PlJS6_EEE10hipError_tPvRmT3_T4_T5_T6_T7_T9_mT8_P12ihipStream_tbDpT10_ENKUlT_T0_E_clISt17integral_constantIbLb0EES18_IbLb1EEEEDaS14_S15_EUlS14_E_NS1_11comp_targetILNS1_3genE9ELNS1_11target_archE1100ELNS1_3gpuE3ELNS1_3repE0EEENS1_30default_config_static_selectorELNS0_4arch9wavefront6targetE1EEEvT1_,comdat
.Lfunc_end2297:
	.size	_ZN7rocprim17ROCPRIM_400000_NS6detail17trampoline_kernelINS0_14default_configENS1_25partition_config_selectorILNS1_17partition_subalgoE1EtNS0_10empty_typeEbEEZZNS1_14partition_implILS5_1ELb0ES3_jN6thrust23THRUST_200600_302600_NS6detail15normal_iteratorINSA_10device_ptrItEEEEPS6_NSA_18transform_iteratorI7is_evenItESF_NSA_11use_defaultESK_EENS0_5tupleIJSF_SF_EEENSM_IJSG_SG_EEES6_PlJS6_EEE10hipError_tPvRmT3_T4_T5_T6_T7_T9_mT8_P12ihipStream_tbDpT10_ENKUlT_T0_E_clISt17integral_constantIbLb0EES18_IbLb1EEEEDaS14_S15_EUlS14_E_NS1_11comp_targetILNS1_3genE9ELNS1_11target_archE1100ELNS1_3gpuE3ELNS1_3repE0EEENS1_30default_config_static_selectorELNS0_4arch9wavefront6targetE1EEEvT1_, .Lfunc_end2297-_ZN7rocprim17ROCPRIM_400000_NS6detail17trampoline_kernelINS0_14default_configENS1_25partition_config_selectorILNS1_17partition_subalgoE1EtNS0_10empty_typeEbEEZZNS1_14partition_implILS5_1ELb0ES3_jN6thrust23THRUST_200600_302600_NS6detail15normal_iteratorINSA_10device_ptrItEEEEPS6_NSA_18transform_iteratorI7is_evenItESF_NSA_11use_defaultESK_EENS0_5tupleIJSF_SF_EEENSM_IJSG_SG_EEES6_PlJS6_EEE10hipError_tPvRmT3_T4_T5_T6_T7_T9_mT8_P12ihipStream_tbDpT10_ENKUlT_T0_E_clISt17integral_constantIbLb0EES18_IbLb1EEEEDaS14_S15_EUlS14_E_NS1_11comp_targetILNS1_3genE9ELNS1_11target_archE1100ELNS1_3gpuE3ELNS1_3repE0EEENS1_30default_config_static_selectorELNS0_4arch9wavefront6targetE1EEEvT1_
                                        ; -- End function
	.section	.AMDGPU.csdata,"",@progbits
; Kernel info:
; codeLenInByte = 0
; NumSgprs: 6
; NumVgprs: 0
; NumAgprs: 0
; TotalNumVgprs: 0
; ScratchSize: 0
; MemoryBound: 0
; FloatMode: 240
; IeeeMode: 1
; LDSByteSize: 0 bytes/workgroup (compile time only)
; SGPRBlocks: 0
; VGPRBlocks: 0
; NumSGPRsForWavesPerEU: 6
; NumVGPRsForWavesPerEU: 1
; AccumOffset: 4
; Occupancy: 8
; WaveLimiterHint : 0
; COMPUTE_PGM_RSRC2:SCRATCH_EN: 0
; COMPUTE_PGM_RSRC2:USER_SGPR: 2
; COMPUTE_PGM_RSRC2:TRAP_HANDLER: 0
; COMPUTE_PGM_RSRC2:TGID_X_EN: 1
; COMPUTE_PGM_RSRC2:TGID_Y_EN: 0
; COMPUTE_PGM_RSRC2:TGID_Z_EN: 0
; COMPUTE_PGM_RSRC2:TIDIG_COMP_CNT: 0
; COMPUTE_PGM_RSRC3_GFX90A:ACCUM_OFFSET: 0
; COMPUTE_PGM_RSRC3_GFX90A:TG_SPLIT: 0
	.section	.text._ZN7rocprim17ROCPRIM_400000_NS6detail17trampoline_kernelINS0_14default_configENS1_25partition_config_selectorILNS1_17partition_subalgoE1EtNS0_10empty_typeEbEEZZNS1_14partition_implILS5_1ELb0ES3_jN6thrust23THRUST_200600_302600_NS6detail15normal_iteratorINSA_10device_ptrItEEEEPS6_NSA_18transform_iteratorI7is_evenItESF_NSA_11use_defaultESK_EENS0_5tupleIJSF_SF_EEENSM_IJSG_SG_EEES6_PlJS6_EEE10hipError_tPvRmT3_T4_T5_T6_T7_T9_mT8_P12ihipStream_tbDpT10_ENKUlT_T0_E_clISt17integral_constantIbLb0EES18_IbLb1EEEEDaS14_S15_EUlS14_E_NS1_11comp_targetILNS1_3genE8ELNS1_11target_archE1030ELNS1_3gpuE2ELNS1_3repE0EEENS1_30default_config_static_selectorELNS0_4arch9wavefront6targetE1EEEvT1_,"axG",@progbits,_ZN7rocprim17ROCPRIM_400000_NS6detail17trampoline_kernelINS0_14default_configENS1_25partition_config_selectorILNS1_17partition_subalgoE1EtNS0_10empty_typeEbEEZZNS1_14partition_implILS5_1ELb0ES3_jN6thrust23THRUST_200600_302600_NS6detail15normal_iteratorINSA_10device_ptrItEEEEPS6_NSA_18transform_iteratorI7is_evenItESF_NSA_11use_defaultESK_EENS0_5tupleIJSF_SF_EEENSM_IJSG_SG_EEES6_PlJS6_EEE10hipError_tPvRmT3_T4_T5_T6_T7_T9_mT8_P12ihipStream_tbDpT10_ENKUlT_T0_E_clISt17integral_constantIbLb0EES18_IbLb1EEEEDaS14_S15_EUlS14_E_NS1_11comp_targetILNS1_3genE8ELNS1_11target_archE1030ELNS1_3gpuE2ELNS1_3repE0EEENS1_30default_config_static_selectorELNS0_4arch9wavefront6targetE1EEEvT1_,comdat
	.protected	_ZN7rocprim17ROCPRIM_400000_NS6detail17trampoline_kernelINS0_14default_configENS1_25partition_config_selectorILNS1_17partition_subalgoE1EtNS0_10empty_typeEbEEZZNS1_14partition_implILS5_1ELb0ES3_jN6thrust23THRUST_200600_302600_NS6detail15normal_iteratorINSA_10device_ptrItEEEEPS6_NSA_18transform_iteratorI7is_evenItESF_NSA_11use_defaultESK_EENS0_5tupleIJSF_SF_EEENSM_IJSG_SG_EEES6_PlJS6_EEE10hipError_tPvRmT3_T4_T5_T6_T7_T9_mT8_P12ihipStream_tbDpT10_ENKUlT_T0_E_clISt17integral_constantIbLb0EES18_IbLb1EEEEDaS14_S15_EUlS14_E_NS1_11comp_targetILNS1_3genE8ELNS1_11target_archE1030ELNS1_3gpuE2ELNS1_3repE0EEENS1_30default_config_static_selectorELNS0_4arch9wavefront6targetE1EEEvT1_ ; -- Begin function _ZN7rocprim17ROCPRIM_400000_NS6detail17trampoline_kernelINS0_14default_configENS1_25partition_config_selectorILNS1_17partition_subalgoE1EtNS0_10empty_typeEbEEZZNS1_14partition_implILS5_1ELb0ES3_jN6thrust23THRUST_200600_302600_NS6detail15normal_iteratorINSA_10device_ptrItEEEEPS6_NSA_18transform_iteratorI7is_evenItESF_NSA_11use_defaultESK_EENS0_5tupleIJSF_SF_EEENSM_IJSG_SG_EEES6_PlJS6_EEE10hipError_tPvRmT3_T4_T5_T6_T7_T9_mT8_P12ihipStream_tbDpT10_ENKUlT_T0_E_clISt17integral_constantIbLb0EES18_IbLb1EEEEDaS14_S15_EUlS14_E_NS1_11comp_targetILNS1_3genE8ELNS1_11target_archE1030ELNS1_3gpuE2ELNS1_3repE0EEENS1_30default_config_static_selectorELNS0_4arch9wavefront6targetE1EEEvT1_
	.globl	_ZN7rocprim17ROCPRIM_400000_NS6detail17trampoline_kernelINS0_14default_configENS1_25partition_config_selectorILNS1_17partition_subalgoE1EtNS0_10empty_typeEbEEZZNS1_14partition_implILS5_1ELb0ES3_jN6thrust23THRUST_200600_302600_NS6detail15normal_iteratorINSA_10device_ptrItEEEEPS6_NSA_18transform_iteratorI7is_evenItESF_NSA_11use_defaultESK_EENS0_5tupleIJSF_SF_EEENSM_IJSG_SG_EEES6_PlJS6_EEE10hipError_tPvRmT3_T4_T5_T6_T7_T9_mT8_P12ihipStream_tbDpT10_ENKUlT_T0_E_clISt17integral_constantIbLb0EES18_IbLb1EEEEDaS14_S15_EUlS14_E_NS1_11comp_targetILNS1_3genE8ELNS1_11target_archE1030ELNS1_3gpuE2ELNS1_3repE0EEENS1_30default_config_static_selectorELNS0_4arch9wavefront6targetE1EEEvT1_
	.p2align	8
	.type	_ZN7rocprim17ROCPRIM_400000_NS6detail17trampoline_kernelINS0_14default_configENS1_25partition_config_selectorILNS1_17partition_subalgoE1EtNS0_10empty_typeEbEEZZNS1_14partition_implILS5_1ELb0ES3_jN6thrust23THRUST_200600_302600_NS6detail15normal_iteratorINSA_10device_ptrItEEEEPS6_NSA_18transform_iteratorI7is_evenItESF_NSA_11use_defaultESK_EENS0_5tupleIJSF_SF_EEENSM_IJSG_SG_EEES6_PlJS6_EEE10hipError_tPvRmT3_T4_T5_T6_T7_T9_mT8_P12ihipStream_tbDpT10_ENKUlT_T0_E_clISt17integral_constantIbLb0EES18_IbLb1EEEEDaS14_S15_EUlS14_E_NS1_11comp_targetILNS1_3genE8ELNS1_11target_archE1030ELNS1_3gpuE2ELNS1_3repE0EEENS1_30default_config_static_selectorELNS0_4arch9wavefront6targetE1EEEvT1_,@function
_ZN7rocprim17ROCPRIM_400000_NS6detail17trampoline_kernelINS0_14default_configENS1_25partition_config_selectorILNS1_17partition_subalgoE1EtNS0_10empty_typeEbEEZZNS1_14partition_implILS5_1ELb0ES3_jN6thrust23THRUST_200600_302600_NS6detail15normal_iteratorINSA_10device_ptrItEEEEPS6_NSA_18transform_iteratorI7is_evenItESF_NSA_11use_defaultESK_EENS0_5tupleIJSF_SF_EEENSM_IJSG_SG_EEES6_PlJS6_EEE10hipError_tPvRmT3_T4_T5_T6_T7_T9_mT8_P12ihipStream_tbDpT10_ENKUlT_T0_E_clISt17integral_constantIbLb0EES18_IbLb1EEEEDaS14_S15_EUlS14_E_NS1_11comp_targetILNS1_3genE8ELNS1_11target_archE1030ELNS1_3gpuE2ELNS1_3repE0EEENS1_30default_config_static_selectorELNS0_4arch9wavefront6targetE1EEEvT1_: ; @_ZN7rocprim17ROCPRIM_400000_NS6detail17trampoline_kernelINS0_14default_configENS1_25partition_config_selectorILNS1_17partition_subalgoE1EtNS0_10empty_typeEbEEZZNS1_14partition_implILS5_1ELb0ES3_jN6thrust23THRUST_200600_302600_NS6detail15normal_iteratorINSA_10device_ptrItEEEEPS6_NSA_18transform_iteratorI7is_evenItESF_NSA_11use_defaultESK_EENS0_5tupleIJSF_SF_EEENSM_IJSG_SG_EEES6_PlJS6_EEE10hipError_tPvRmT3_T4_T5_T6_T7_T9_mT8_P12ihipStream_tbDpT10_ENKUlT_T0_E_clISt17integral_constantIbLb0EES18_IbLb1EEEEDaS14_S15_EUlS14_E_NS1_11comp_targetILNS1_3genE8ELNS1_11target_archE1030ELNS1_3gpuE2ELNS1_3repE0EEENS1_30default_config_static_selectorELNS0_4arch9wavefront6targetE1EEEvT1_
; %bb.0:
	.section	.rodata,"a",@progbits
	.p2align	6, 0x0
	.amdhsa_kernel _ZN7rocprim17ROCPRIM_400000_NS6detail17trampoline_kernelINS0_14default_configENS1_25partition_config_selectorILNS1_17partition_subalgoE1EtNS0_10empty_typeEbEEZZNS1_14partition_implILS5_1ELb0ES3_jN6thrust23THRUST_200600_302600_NS6detail15normal_iteratorINSA_10device_ptrItEEEEPS6_NSA_18transform_iteratorI7is_evenItESF_NSA_11use_defaultESK_EENS0_5tupleIJSF_SF_EEENSM_IJSG_SG_EEES6_PlJS6_EEE10hipError_tPvRmT3_T4_T5_T6_T7_T9_mT8_P12ihipStream_tbDpT10_ENKUlT_T0_E_clISt17integral_constantIbLb0EES18_IbLb1EEEEDaS14_S15_EUlS14_E_NS1_11comp_targetILNS1_3genE8ELNS1_11target_archE1030ELNS1_3gpuE2ELNS1_3repE0EEENS1_30default_config_static_selectorELNS0_4arch9wavefront6targetE1EEEvT1_
		.amdhsa_group_segment_fixed_size 0
		.amdhsa_private_segment_fixed_size 0
		.amdhsa_kernarg_size 144
		.amdhsa_user_sgpr_count 2
		.amdhsa_user_sgpr_dispatch_ptr 0
		.amdhsa_user_sgpr_queue_ptr 0
		.amdhsa_user_sgpr_kernarg_segment_ptr 1
		.amdhsa_user_sgpr_dispatch_id 0
		.amdhsa_user_sgpr_kernarg_preload_length 0
		.amdhsa_user_sgpr_kernarg_preload_offset 0
		.amdhsa_user_sgpr_private_segment_size 0
		.amdhsa_uses_dynamic_stack 0
		.amdhsa_enable_private_segment 0
		.amdhsa_system_sgpr_workgroup_id_x 1
		.amdhsa_system_sgpr_workgroup_id_y 0
		.amdhsa_system_sgpr_workgroup_id_z 0
		.amdhsa_system_sgpr_workgroup_info 0
		.amdhsa_system_vgpr_workitem_id 0
		.amdhsa_next_free_vgpr 1
		.amdhsa_next_free_sgpr 0
		.amdhsa_accum_offset 4
		.amdhsa_reserve_vcc 0
		.amdhsa_float_round_mode_32 0
		.amdhsa_float_round_mode_16_64 0
		.amdhsa_float_denorm_mode_32 3
		.amdhsa_float_denorm_mode_16_64 3
		.amdhsa_dx10_clamp 1
		.amdhsa_ieee_mode 1
		.amdhsa_fp16_overflow 0
		.amdhsa_tg_split 0
		.amdhsa_exception_fp_ieee_invalid_op 0
		.amdhsa_exception_fp_denorm_src 0
		.amdhsa_exception_fp_ieee_div_zero 0
		.amdhsa_exception_fp_ieee_overflow 0
		.amdhsa_exception_fp_ieee_underflow 0
		.amdhsa_exception_fp_ieee_inexact 0
		.amdhsa_exception_int_div_zero 0
	.end_amdhsa_kernel
	.section	.text._ZN7rocprim17ROCPRIM_400000_NS6detail17trampoline_kernelINS0_14default_configENS1_25partition_config_selectorILNS1_17partition_subalgoE1EtNS0_10empty_typeEbEEZZNS1_14partition_implILS5_1ELb0ES3_jN6thrust23THRUST_200600_302600_NS6detail15normal_iteratorINSA_10device_ptrItEEEEPS6_NSA_18transform_iteratorI7is_evenItESF_NSA_11use_defaultESK_EENS0_5tupleIJSF_SF_EEENSM_IJSG_SG_EEES6_PlJS6_EEE10hipError_tPvRmT3_T4_T5_T6_T7_T9_mT8_P12ihipStream_tbDpT10_ENKUlT_T0_E_clISt17integral_constantIbLb0EES18_IbLb1EEEEDaS14_S15_EUlS14_E_NS1_11comp_targetILNS1_3genE8ELNS1_11target_archE1030ELNS1_3gpuE2ELNS1_3repE0EEENS1_30default_config_static_selectorELNS0_4arch9wavefront6targetE1EEEvT1_,"axG",@progbits,_ZN7rocprim17ROCPRIM_400000_NS6detail17trampoline_kernelINS0_14default_configENS1_25partition_config_selectorILNS1_17partition_subalgoE1EtNS0_10empty_typeEbEEZZNS1_14partition_implILS5_1ELb0ES3_jN6thrust23THRUST_200600_302600_NS6detail15normal_iteratorINSA_10device_ptrItEEEEPS6_NSA_18transform_iteratorI7is_evenItESF_NSA_11use_defaultESK_EENS0_5tupleIJSF_SF_EEENSM_IJSG_SG_EEES6_PlJS6_EEE10hipError_tPvRmT3_T4_T5_T6_T7_T9_mT8_P12ihipStream_tbDpT10_ENKUlT_T0_E_clISt17integral_constantIbLb0EES18_IbLb1EEEEDaS14_S15_EUlS14_E_NS1_11comp_targetILNS1_3genE8ELNS1_11target_archE1030ELNS1_3gpuE2ELNS1_3repE0EEENS1_30default_config_static_selectorELNS0_4arch9wavefront6targetE1EEEvT1_,comdat
.Lfunc_end2298:
	.size	_ZN7rocprim17ROCPRIM_400000_NS6detail17trampoline_kernelINS0_14default_configENS1_25partition_config_selectorILNS1_17partition_subalgoE1EtNS0_10empty_typeEbEEZZNS1_14partition_implILS5_1ELb0ES3_jN6thrust23THRUST_200600_302600_NS6detail15normal_iteratorINSA_10device_ptrItEEEEPS6_NSA_18transform_iteratorI7is_evenItESF_NSA_11use_defaultESK_EENS0_5tupleIJSF_SF_EEENSM_IJSG_SG_EEES6_PlJS6_EEE10hipError_tPvRmT3_T4_T5_T6_T7_T9_mT8_P12ihipStream_tbDpT10_ENKUlT_T0_E_clISt17integral_constantIbLb0EES18_IbLb1EEEEDaS14_S15_EUlS14_E_NS1_11comp_targetILNS1_3genE8ELNS1_11target_archE1030ELNS1_3gpuE2ELNS1_3repE0EEENS1_30default_config_static_selectorELNS0_4arch9wavefront6targetE1EEEvT1_, .Lfunc_end2298-_ZN7rocprim17ROCPRIM_400000_NS6detail17trampoline_kernelINS0_14default_configENS1_25partition_config_selectorILNS1_17partition_subalgoE1EtNS0_10empty_typeEbEEZZNS1_14partition_implILS5_1ELb0ES3_jN6thrust23THRUST_200600_302600_NS6detail15normal_iteratorINSA_10device_ptrItEEEEPS6_NSA_18transform_iteratorI7is_evenItESF_NSA_11use_defaultESK_EENS0_5tupleIJSF_SF_EEENSM_IJSG_SG_EEES6_PlJS6_EEE10hipError_tPvRmT3_T4_T5_T6_T7_T9_mT8_P12ihipStream_tbDpT10_ENKUlT_T0_E_clISt17integral_constantIbLb0EES18_IbLb1EEEEDaS14_S15_EUlS14_E_NS1_11comp_targetILNS1_3genE8ELNS1_11target_archE1030ELNS1_3gpuE2ELNS1_3repE0EEENS1_30default_config_static_selectorELNS0_4arch9wavefront6targetE1EEEvT1_
                                        ; -- End function
	.section	.AMDGPU.csdata,"",@progbits
; Kernel info:
; codeLenInByte = 0
; NumSgprs: 6
; NumVgprs: 0
; NumAgprs: 0
; TotalNumVgprs: 0
; ScratchSize: 0
; MemoryBound: 0
; FloatMode: 240
; IeeeMode: 1
; LDSByteSize: 0 bytes/workgroup (compile time only)
; SGPRBlocks: 0
; VGPRBlocks: 0
; NumSGPRsForWavesPerEU: 6
; NumVGPRsForWavesPerEU: 1
; AccumOffset: 4
; Occupancy: 8
; WaveLimiterHint : 0
; COMPUTE_PGM_RSRC2:SCRATCH_EN: 0
; COMPUTE_PGM_RSRC2:USER_SGPR: 2
; COMPUTE_PGM_RSRC2:TRAP_HANDLER: 0
; COMPUTE_PGM_RSRC2:TGID_X_EN: 1
; COMPUTE_PGM_RSRC2:TGID_Y_EN: 0
; COMPUTE_PGM_RSRC2:TGID_Z_EN: 0
; COMPUTE_PGM_RSRC2:TIDIG_COMP_CNT: 0
; COMPUTE_PGM_RSRC3_GFX90A:ACCUM_OFFSET: 0
; COMPUTE_PGM_RSRC3_GFX90A:TG_SPLIT: 0
	.section	.text._ZN7rocprim17ROCPRIM_400000_NS6detail17trampoline_kernelINS0_14default_configENS1_25partition_config_selectorILNS1_17partition_subalgoE0EyNS0_10empty_typeEbEEZZNS1_14partition_implILS5_0ELb0ES3_jN6thrust23THRUST_200600_302600_NS6detail15normal_iteratorINSA_10device_ptrIyEEEEPS6_SG_NS0_5tupleIJNSA_16discard_iteratorINSA_11use_defaultEEESK_EEENSH_IJSG_SG_EEES6_PlJ7is_evenIyEEEE10hipError_tPvRmT3_T4_T5_T6_T7_T9_mT8_P12ihipStream_tbDpT10_ENKUlT_T0_E_clISt17integral_constantIbLb0EES19_EEDaS14_S15_EUlS14_E_NS1_11comp_targetILNS1_3genE0ELNS1_11target_archE4294967295ELNS1_3gpuE0ELNS1_3repE0EEENS1_30default_config_static_selectorELNS0_4arch9wavefront6targetE1EEEvT1_,"axG",@progbits,_ZN7rocprim17ROCPRIM_400000_NS6detail17trampoline_kernelINS0_14default_configENS1_25partition_config_selectorILNS1_17partition_subalgoE0EyNS0_10empty_typeEbEEZZNS1_14partition_implILS5_0ELb0ES3_jN6thrust23THRUST_200600_302600_NS6detail15normal_iteratorINSA_10device_ptrIyEEEEPS6_SG_NS0_5tupleIJNSA_16discard_iteratorINSA_11use_defaultEEESK_EEENSH_IJSG_SG_EEES6_PlJ7is_evenIyEEEE10hipError_tPvRmT3_T4_T5_T6_T7_T9_mT8_P12ihipStream_tbDpT10_ENKUlT_T0_E_clISt17integral_constantIbLb0EES19_EEDaS14_S15_EUlS14_E_NS1_11comp_targetILNS1_3genE0ELNS1_11target_archE4294967295ELNS1_3gpuE0ELNS1_3repE0EEENS1_30default_config_static_selectorELNS0_4arch9wavefront6targetE1EEEvT1_,comdat
	.protected	_ZN7rocprim17ROCPRIM_400000_NS6detail17trampoline_kernelINS0_14default_configENS1_25partition_config_selectorILNS1_17partition_subalgoE0EyNS0_10empty_typeEbEEZZNS1_14partition_implILS5_0ELb0ES3_jN6thrust23THRUST_200600_302600_NS6detail15normal_iteratorINSA_10device_ptrIyEEEEPS6_SG_NS0_5tupleIJNSA_16discard_iteratorINSA_11use_defaultEEESK_EEENSH_IJSG_SG_EEES6_PlJ7is_evenIyEEEE10hipError_tPvRmT3_T4_T5_T6_T7_T9_mT8_P12ihipStream_tbDpT10_ENKUlT_T0_E_clISt17integral_constantIbLb0EES19_EEDaS14_S15_EUlS14_E_NS1_11comp_targetILNS1_3genE0ELNS1_11target_archE4294967295ELNS1_3gpuE0ELNS1_3repE0EEENS1_30default_config_static_selectorELNS0_4arch9wavefront6targetE1EEEvT1_ ; -- Begin function _ZN7rocprim17ROCPRIM_400000_NS6detail17trampoline_kernelINS0_14default_configENS1_25partition_config_selectorILNS1_17partition_subalgoE0EyNS0_10empty_typeEbEEZZNS1_14partition_implILS5_0ELb0ES3_jN6thrust23THRUST_200600_302600_NS6detail15normal_iteratorINSA_10device_ptrIyEEEEPS6_SG_NS0_5tupleIJNSA_16discard_iteratorINSA_11use_defaultEEESK_EEENSH_IJSG_SG_EEES6_PlJ7is_evenIyEEEE10hipError_tPvRmT3_T4_T5_T6_T7_T9_mT8_P12ihipStream_tbDpT10_ENKUlT_T0_E_clISt17integral_constantIbLb0EES19_EEDaS14_S15_EUlS14_E_NS1_11comp_targetILNS1_3genE0ELNS1_11target_archE4294967295ELNS1_3gpuE0ELNS1_3repE0EEENS1_30default_config_static_selectorELNS0_4arch9wavefront6targetE1EEEvT1_
	.globl	_ZN7rocprim17ROCPRIM_400000_NS6detail17trampoline_kernelINS0_14default_configENS1_25partition_config_selectorILNS1_17partition_subalgoE0EyNS0_10empty_typeEbEEZZNS1_14partition_implILS5_0ELb0ES3_jN6thrust23THRUST_200600_302600_NS6detail15normal_iteratorINSA_10device_ptrIyEEEEPS6_SG_NS0_5tupleIJNSA_16discard_iteratorINSA_11use_defaultEEESK_EEENSH_IJSG_SG_EEES6_PlJ7is_evenIyEEEE10hipError_tPvRmT3_T4_T5_T6_T7_T9_mT8_P12ihipStream_tbDpT10_ENKUlT_T0_E_clISt17integral_constantIbLb0EES19_EEDaS14_S15_EUlS14_E_NS1_11comp_targetILNS1_3genE0ELNS1_11target_archE4294967295ELNS1_3gpuE0ELNS1_3repE0EEENS1_30default_config_static_selectorELNS0_4arch9wavefront6targetE1EEEvT1_
	.p2align	8
	.type	_ZN7rocprim17ROCPRIM_400000_NS6detail17trampoline_kernelINS0_14default_configENS1_25partition_config_selectorILNS1_17partition_subalgoE0EyNS0_10empty_typeEbEEZZNS1_14partition_implILS5_0ELb0ES3_jN6thrust23THRUST_200600_302600_NS6detail15normal_iteratorINSA_10device_ptrIyEEEEPS6_SG_NS0_5tupleIJNSA_16discard_iteratorINSA_11use_defaultEEESK_EEENSH_IJSG_SG_EEES6_PlJ7is_evenIyEEEE10hipError_tPvRmT3_T4_T5_T6_T7_T9_mT8_P12ihipStream_tbDpT10_ENKUlT_T0_E_clISt17integral_constantIbLb0EES19_EEDaS14_S15_EUlS14_E_NS1_11comp_targetILNS1_3genE0ELNS1_11target_archE4294967295ELNS1_3gpuE0ELNS1_3repE0EEENS1_30default_config_static_selectorELNS0_4arch9wavefront6targetE1EEEvT1_,@function
_ZN7rocprim17ROCPRIM_400000_NS6detail17trampoline_kernelINS0_14default_configENS1_25partition_config_selectorILNS1_17partition_subalgoE0EyNS0_10empty_typeEbEEZZNS1_14partition_implILS5_0ELb0ES3_jN6thrust23THRUST_200600_302600_NS6detail15normal_iteratorINSA_10device_ptrIyEEEEPS6_SG_NS0_5tupleIJNSA_16discard_iteratorINSA_11use_defaultEEESK_EEENSH_IJSG_SG_EEES6_PlJ7is_evenIyEEEE10hipError_tPvRmT3_T4_T5_T6_T7_T9_mT8_P12ihipStream_tbDpT10_ENKUlT_T0_E_clISt17integral_constantIbLb0EES19_EEDaS14_S15_EUlS14_E_NS1_11comp_targetILNS1_3genE0ELNS1_11target_archE4294967295ELNS1_3gpuE0ELNS1_3repE0EEENS1_30default_config_static_selectorELNS0_4arch9wavefront6targetE1EEEvT1_: ; @_ZN7rocprim17ROCPRIM_400000_NS6detail17trampoline_kernelINS0_14default_configENS1_25partition_config_selectorILNS1_17partition_subalgoE0EyNS0_10empty_typeEbEEZZNS1_14partition_implILS5_0ELb0ES3_jN6thrust23THRUST_200600_302600_NS6detail15normal_iteratorINSA_10device_ptrIyEEEEPS6_SG_NS0_5tupleIJNSA_16discard_iteratorINSA_11use_defaultEEESK_EEENSH_IJSG_SG_EEES6_PlJ7is_evenIyEEEE10hipError_tPvRmT3_T4_T5_T6_T7_T9_mT8_P12ihipStream_tbDpT10_ENKUlT_T0_E_clISt17integral_constantIbLb0EES19_EEDaS14_S15_EUlS14_E_NS1_11comp_targetILNS1_3genE0ELNS1_11target_archE4294967295ELNS1_3gpuE0ELNS1_3repE0EEENS1_30default_config_static_selectorELNS0_4arch9wavefront6targetE1EEEvT1_
; %bb.0:
	.section	.rodata,"a",@progbits
	.p2align	6, 0x0
	.amdhsa_kernel _ZN7rocprim17ROCPRIM_400000_NS6detail17trampoline_kernelINS0_14default_configENS1_25partition_config_selectorILNS1_17partition_subalgoE0EyNS0_10empty_typeEbEEZZNS1_14partition_implILS5_0ELb0ES3_jN6thrust23THRUST_200600_302600_NS6detail15normal_iteratorINSA_10device_ptrIyEEEEPS6_SG_NS0_5tupleIJNSA_16discard_iteratorINSA_11use_defaultEEESK_EEENSH_IJSG_SG_EEES6_PlJ7is_evenIyEEEE10hipError_tPvRmT3_T4_T5_T6_T7_T9_mT8_P12ihipStream_tbDpT10_ENKUlT_T0_E_clISt17integral_constantIbLb0EES19_EEDaS14_S15_EUlS14_E_NS1_11comp_targetILNS1_3genE0ELNS1_11target_archE4294967295ELNS1_3gpuE0ELNS1_3repE0EEENS1_30default_config_static_selectorELNS0_4arch9wavefront6targetE1EEEvT1_
		.amdhsa_group_segment_fixed_size 0
		.amdhsa_private_segment_fixed_size 0
		.amdhsa_kernarg_size 136
		.amdhsa_user_sgpr_count 2
		.amdhsa_user_sgpr_dispatch_ptr 0
		.amdhsa_user_sgpr_queue_ptr 0
		.amdhsa_user_sgpr_kernarg_segment_ptr 1
		.amdhsa_user_sgpr_dispatch_id 0
		.amdhsa_user_sgpr_kernarg_preload_length 0
		.amdhsa_user_sgpr_kernarg_preload_offset 0
		.amdhsa_user_sgpr_private_segment_size 0
		.amdhsa_uses_dynamic_stack 0
		.amdhsa_enable_private_segment 0
		.amdhsa_system_sgpr_workgroup_id_x 1
		.amdhsa_system_sgpr_workgroup_id_y 0
		.amdhsa_system_sgpr_workgroup_id_z 0
		.amdhsa_system_sgpr_workgroup_info 0
		.amdhsa_system_vgpr_workitem_id 0
		.amdhsa_next_free_vgpr 1
		.amdhsa_next_free_sgpr 0
		.amdhsa_accum_offset 4
		.amdhsa_reserve_vcc 0
		.amdhsa_float_round_mode_32 0
		.amdhsa_float_round_mode_16_64 0
		.amdhsa_float_denorm_mode_32 3
		.amdhsa_float_denorm_mode_16_64 3
		.amdhsa_dx10_clamp 1
		.amdhsa_ieee_mode 1
		.amdhsa_fp16_overflow 0
		.amdhsa_tg_split 0
		.amdhsa_exception_fp_ieee_invalid_op 0
		.amdhsa_exception_fp_denorm_src 0
		.amdhsa_exception_fp_ieee_div_zero 0
		.amdhsa_exception_fp_ieee_overflow 0
		.amdhsa_exception_fp_ieee_underflow 0
		.amdhsa_exception_fp_ieee_inexact 0
		.amdhsa_exception_int_div_zero 0
	.end_amdhsa_kernel
	.section	.text._ZN7rocprim17ROCPRIM_400000_NS6detail17trampoline_kernelINS0_14default_configENS1_25partition_config_selectorILNS1_17partition_subalgoE0EyNS0_10empty_typeEbEEZZNS1_14partition_implILS5_0ELb0ES3_jN6thrust23THRUST_200600_302600_NS6detail15normal_iteratorINSA_10device_ptrIyEEEEPS6_SG_NS0_5tupleIJNSA_16discard_iteratorINSA_11use_defaultEEESK_EEENSH_IJSG_SG_EEES6_PlJ7is_evenIyEEEE10hipError_tPvRmT3_T4_T5_T6_T7_T9_mT8_P12ihipStream_tbDpT10_ENKUlT_T0_E_clISt17integral_constantIbLb0EES19_EEDaS14_S15_EUlS14_E_NS1_11comp_targetILNS1_3genE0ELNS1_11target_archE4294967295ELNS1_3gpuE0ELNS1_3repE0EEENS1_30default_config_static_selectorELNS0_4arch9wavefront6targetE1EEEvT1_,"axG",@progbits,_ZN7rocprim17ROCPRIM_400000_NS6detail17trampoline_kernelINS0_14default_configENS1_25partition_config_selectorILNS1_17partition_subalgoE0EyNS0_10empty_typeEbEEZZNS1_14partition_implILS5_0ELb0ES3_jN6thrust23THRUST_200600_302600_NS6detail15normal_iteratorINSA_10device_ptrIyEEEEPS6_SG_NS0_5tupleIJNSA_16discard_iteratorINSA_11use_defaultEEESK_EEENSH_IJSG_SG_EEES6_PlJ7is_evenIyEEEE10hipError_tPvRmT3_T4_T5_T6_T7_T9_mT8_P12ihipStream_tbDpT10_ENKUlT_T0_E_clISt17integral_constantIbLb0EES19_EEDaS14_S15_EUlS14_E_NS1_11comp_targetILNS1_3genE0ELNS1_11target_archE4294967295ELNS1_3gpuE0ELNS1_3repE0EEENS1_30default_config_static_selectorELNS0_4arch9wavefront6targetE1EEEvT1_,comdat
.Lfunc_end2299:
	.size	_ZN7rocprim17ROCPRIM_400000_NS6detail17trampoline_kernelINS0_14default_configENS1_25partition_config_selectorILNS1_17partition_subalgoE0EyNS0_10empty_typeEbEEZZNS1_14partition_implILS5_0ELb0ES3_jN6thrust23THRUST_200600_302600_NS6detail15normal_iteratorINSA_10device_ptrIyEEEEPS6_SG_NS0_5tupleIJNSA_16discard_iteratorINSA_11use_defaultEEESK_EEENSH_IJSG_SG_EEES6_PlJ7is_evenIyEEEE10hipError_tPvRmT3_T4_T5_T6_T7_T9_mT8_P12ihipStream_tbDpT10_ENKUlT_T0_E_clISt17integral_constantIbLb0EES19_EEDaS14_S15_EUlS14_E_NS1_11comp_targetILNS1_3genE0ELNS1_11target_archE4294967295ELNS1_3gpuE0ELNS1_3repE0EEENS1_30default_config_static_selectorELNS0_4arch9wavefront6targetE1EEEvT1_, .Lfunc_end2299-_ZN7rocprim17ROCPRIM_400000_NS6detail17trampoline_kernelINS0_14default_configENS1_25partition_config_selectorILNS1_17partition_subalgoE0EyNS0_10empty_typeEbEEZZNS1_14partition_implILS5_0ELb0ES3_jN6thrust23THRUST_200600_302600_NS6detail15normal_iteratorINSA_10device_ptrIyEEEEPS6_SG_NS0_5tupleIJNSA_16discard_iteratorINSA_11use_defaultEEESK_EEENSH_IJSG_SG_EEES6_PlJ7is_evenIyEEEE10hipError_tPvRmT3_T4_T5_T6_T7_T9_mT8_P12ihipStream_tbDpT10_ENKUlT_T0_E_clISt17integral_constantIbLb0EES19_EEDaS14_S15_EUlS14_E_NS1_11comp_targetILNS1_3genE0ELNS1_11target_archE4294967295ELNS1_3gpuE0ELNS1_3repE0EEENS1_30default_config_static_selectorELNS0_4arch9wavefront6targetE1EEEvT1_
                                        ; -- End function
	.section	.AMDGPU.csdata,"",@progbits
; Kernel info:
; codeLenInByte = 0
; NumSgprs: 6
; NumVgprs: 0
; NumAgprs: 0
; TotalNumVgprs: 0
; ScratchSize: 0
; MemoryBound: 0
; FloatMode: 240
; IeeeMode: 1
; LDSByteSize: 0 bytes/workgroup (compile time only)
; SGPRBlocks: 0
; VGPRBlocks: 0
; NumSGPRsForWavesPerEU: 6
; NumVGPRsForWavesPerEU: 1
; AccumOffset: 4
; Occupancy: 8
; WaveLimiterHint : 0
; COMPUTE_PGM_RSRC2:SCRATCH_EN: 0
; COMPUTE_PGM_RSRC2:USER_SGPR: 2
; COMPUTE_PGM_RSRC2:TRAP_HANDLER: 0
; COMPUTE_PGM_RSRC2:TGID_X_EN: 1
; COMPUTE_PGM_RSRC2:TGID_Y_EN: 0
; COMPUTE_PGM_RSRC2:TGID_Z_EN: 0
; COMPUTE_PGM_RSRC2:TIDIG_COMP_CNT: 0
; COMPUTE_PGM_RSRC3_GFX90A:ACCUM_OFFSET: 0
; COMPUTE_PGM_RSRC3_GFX90A:TG_SPLIT: 0
	.section	.text._ZN7rocprim17ROCPRIM_400000_NS6detail17trampoline_kernelINS0_14default_configENS1_25partition_config_selectorILNS1_17partition_subalgoE0EyNS0_10empty_typeEbEEZZNS1_14partition_implILS5_0ELb0ES3_jN6thrust23THRUST_200600_302600_NS6detail15normal_iteratorINSA_10device_ptrIyEEEEPS6_SG_NS0_5tupleIJNSA_16discard_iteratorINSA_11use_defaultEEESK_EEENSH_IJSG_SG_EEES6_PlJ7is_evenIyEEEE10hipError_tPvRmT3_T4_T5_T6_T7_T9_mT8_P12ihipStream_tbDpT10_ENKUlT_T0_E_clISt17integral_constantIbLb0EES19_EEDaS14_S15_EUlS14_E_NS1_11comp_targetILNS1_3genE5ELNS1_11target_archE942ELNS1_3gpuE9ELNS1_3repE0EEENS1_30default_config_static_selectorELNS0_4arch9wavefront6targetE1EEEvT1_,"axG",@progbits,_ZN7rocprim17ROCPRIM_400000_NS6detail17trampoline_kernelINS0_14default_configENS1_25partition_config_selectorILNS1_17partition_subalgoE0EyNS0_10empty_typeEbEEZZNS1_14partition_implILS5_0ELb0ES3_jN6thrust23THRUST_200600_302600_NS6detail15normal_iteratorINSA_10device_ptrIyEEEEPS6_SG_NS0_5tupleIJNSA_16discard_iteratorINSA_11use_defaultEEESK_EEENSH_IJSG_SG_EEES6_PlJ7is_evenIyEEEE10hipError_tPvRmT3_T4_T5_T6_T7_T9_mT8_P12ihipStream_tbDpT10_ENKUlT_T0_E_clISt17integral_constantIbLb0EES19_EEDaS14_S15_EUlS14_E_NS1_11comp_targetILNS1_3genE5ELNS1_11target_archE942ELNS1_3gpuE9ELNS1_3repE0EEENS1_30default_config_static_selectorELNS0_4arch9wavefront6targetE1EEEvT1_,comdat
	.protected	_ZN7rocprim17ROCPRIM_400000_NS6detail17trampoline_kernelINS0_14default_configENS1_25partition_config_selectorILNS1_17partition_subalgoE0EyNS0_10empty_typeEbEEZZNS1_14partition_implILS5_0ELb0ES3_jN6thrust23THRUST_200600_302600_NS6detail15normal_iteratorINSA_10device_ptrIyEEEEPS6_SG_NS0_5tupleIJNSA_16discard_iteratorINSA_11use_defaultEEESK_EEENSH_IJSG_SG_EEES6_PlJ7is_evenIyEEEE10hipError_tPvRmT3_T4_T5_T6_T7_T9_mT8_P12ihipStream_tbDpT10_ENKUlT_T0_E_clISt17integral_constantIbLb0EES19_EEDaS14_S15_EUlS14_E_NS1_11comp_targetILNS1_3genE5ELNS1_11target_archE942ELNS1_3gpuE9ELNS1_3repE0EEENS1_30default_config_static_selectorELNS0_4arch9wavefront6targetE1EEEvT1_ ; -- Begin function _ZN7rocprim17ROCPRIM_400000_NS6detail17trampoline_kernelINS0_14default_configENS1_25partition_config_selectorILNS1_17partition_subalgoE0EyNS0_10empty_typeEbEEZZNS1_14partition_implILS5_0ELb0ES3_jN6thrust23THRUST_200600_302600_NS6detail15normal_iteratorINSA_10device_ptrIyEEEEPS6_SG_NS0_5tupleIJNSA_16discard_iteratorINSA_11use_defaultEEESK_EEENSH_IJSG_SG_EEES6_PlJ7is_evenIyEEEE10hipError_tPvRmT3_T4_T5_T6_T7_T9_mT8_P12ihipStream_tbDpT10_ENKUlT_T0_E_clISt17integral_constantIbLb0EES19_EEDaS14_S15_EUlS14_E_NS1_11comp_targetILNS1_3genE5ELNS1_11target_archE942ELNS1_3gpuE9ELNS1_3repE0EEENS1_30default_config_static_selectorELNS0_4arch9wavefront6targetE1EEEvT1_
	.globl	_ZN7rocprim17ROCPRIM_400000_NS6detail17trampoline_kernelINS0_14default_configENS1_25partition_config_selectorILNS1_17partition_subalgoE0EyNS0_10empty_typeEbEEZZNS1_14partition_implILS5_0ELb0ES3_jN6thrust23THRUST_200600_302600_NS6detail15normal_iteratorINSA_10device_ptrIyEEEEPS6_SG_NS0_5tupleIJNSA_16discard_iteratorINSA_11use_defaultEEESK_EEENSH_IJSG_SG_EEES6_PlJ7is_evenIyEEEE10hipError_tPvRmT3_T4_T5_T6_T7_T9_mT8_P12ihipStream_tbDpT10_ENKUlT_T0_E_clISt17integral_constantIbLb0EES19_EEDaS14_S15_EUlS14_E_NS1_11comp_targetILNS1_3genE5ELNS1_11target_archE942ELNS1_3gpuE9ELNS1_3repE0EEENS1_30default_config_static_selectorELNS0_4arch9wavefront6targetE1EEEvT1_
	.p2align	8
	.type	_ZN7rocprim17ROCPRIM_400000_NS6detail17trampoline_kernelINS0_14default_configENS1_25partition_config_selectorILNS1_17partition_subalgoE0EyNS0_10empty_typeEbEEZZNS1_14partition_implILS5_0ELb0ES3_jN6thrust23THRUST_200600_302600_NS6detail15normal_iteratorINSA_10device_ptrIyEEEEPS6_SG_NS0_5tupleIJNSA_16discard_iteratorINSA_11use_defaultEEESK_EEENSH_IJSG_SG_EEES6_PlJ7is_evenIyEEEE10hipError_tPvRmT3_T4_T5_T6_T7_T9_mT8_P12ihipStream_tbDpT10_ENKUlT_T0_E_clISt17integral_constantIbLb0EES19_EEDaS14_S15_EUlS14_E_NS1_11comp_targetILNS1_3genE5ELNS1_11target_archE942ELNS1_3gpuE9ELNS1_3repE0EEENS1_30default_config_static_selectorELNS0_4arch9wavefront6targetE1EEEvT1_,@function
_ZN7rocprim17ROCPRIM_400000_NS6detail17trampoline_kernelINS0_14default_configENS1_25partition_config_selectorILNS1_17partition_subalgoE0EyNS0_10empty_typeEbEEZZNS1_14partition_implILS5_0ELb0ES3_jN6thrust23THRUST_200600_302600_NS6detail15normal_iteratorINSA_10device_ptrIyEEEEPS6_SG_NS0_5tupleIJNSA_16discard_iteratorINSA_11use_defaultEEESK_EEENSH_IJSG_SG_EEES6_PlJ7is_evenIyEEEE10hipError_tPvRmT3_T4_T5_T6_T7_T9_mT8_P12ihipStream_tbDpT10_ENKUlT_T0_E_clISt17integral_constantIbLb0EES19_EEDaS14_S15_EUlS14_E_NS1_11comp_targetILNS1_3genE5ELNS1_11target_archE942ELNS1_3gpuE9ELNS1_3repE0EEENS1_30default_config_static_selectorELNS0_4arch9wavefront6targetE1EEEvT1_: ; @_ZN7rocprim17ROCPRIM_400000_NS6detail17trampoline_kernelINS0_14default_configENS1_25partition_config_selectorILNS1_17partition_subalgoE0EyNS0_10empty_typeEbEEZZNS1_14partition_implILS5_0ELb0ES3_jN6thrust23THRUST_200600_302600_NS6detail15normal_iteratorINSA_10device_ptrIyEEEEPS6_SG_NS0_5tupleIJNSA_16discard_iteratorINSA_11use_defaultEEESK_EEENSH_IJSG_SG_EEES6_PlJ7is_evenIyEEEE10hipError_tPvRmT3_T4_T5_T6_T7_T9_mT8_P12ihipStream_tbDpT10_ENKUlT_T0_E_clISt17integral_constantIbLb0EES19_EEDaS14_S15_EUlS14_E_NS1_11comp_targetILNS1_3genE5ELNS1_11target_archE942ELNS1_3gpuE9ELNS1_3repE0EEENS1_30default_config_static_selectorELNS0_4arch9wavefront6targetE1EEEvT1_
; %bb.0:
	s_load_dwordx2 s[8:9], s[0:1], 0x68
	s_load_dwordx4 s[4:7], s[0:1], 0x8
	s_load_dwordx4 s[20:23], s[0:1], 0x58
	s_load_dword s3, s[0:1], 0x80
	v_lshlrev_b32_e32 v18, 3, v0
	s_waitcnt lgkmcnt(0)
	v_mov_b32_e32 v3, s9
	s_lshl_b64 s[10:11], s[6:7], 3
	s_add_u32 s9, s4, s10
	s_mul_i32 s4, s3, 0xe00
	s_addc_u32 s12, s5, s11
	s_add_i32 s13, s3, -1
	s_add_i32 s3, s4, s6
	s_sub_i32 s3, s8, s3
	s_add_u32 s4, s6, s4
	s_addc_u32 s5, s7, 0
	s_cmp_eq_u32 s2, s13
	v_mov_b32_e32 v2, s8
	s_load_dwordx2 s[18:19], s[22:23], 0x0
	s_cselect_b64 s[22:23], -1, 0
	s_cmp_lg_u32 s2, s13
	s_mul_i32 s10, s2, 0xe00
	s_mov_b32 s11, 0
	v_cmp_lt_u64_e32 vcc, s[4:5], v[2:3]
	s_cselect_b64 s[4:5], -1, 0
	s_or_b64 s[4:5], s[4:5], vcc
	s_lshl_b64 s[6:7], s[10:11], 3
	s_add_u32 s6, s9, s6
	s_addc_u32 s7, s12, s7
	s_mov_b64 s[8:9], -1
	s_and_b64 vcc, exec, s[4:5]
	s_cbranch_vccz .LBB2300_2
; %bb.1:
	v_mov_b32_e32 v19, 0
	v_lshl_add_u64 v[2:3], s[6:7], 0, v[18:19]
	v_add_co_u32_e32 v4, vcc, 0x1000, v2
	s_mov_b64 s[8:9], 0
	s_nop 0
	v_addc_co_u32_e32 v5, vcc, 0, v3, vcc
	v_add_co_u32_e32 v6, vcc, 0x2000, v2
	s_nop 1
	v_addc_co_u32_e32 v7, vcc, 0, v3, vcc
	v_add_co_u32_e32 v8, vcc, 0x3000, v2
	s_nop 1
	v_addc_co_u32_e32 v9, vcc, 0, v3, vcc
	flat_load_dwordx2 v[10:11], v[2:3]
	flat_load_dwordx2 v[12:13], v[4:5]
	;; [unrolled: 1-line block ×4, first 2 shown]
	v_add_co_u32_e32 v4, vcc, 0x4000, v2
	s_nop 1
	v_addc_co_u32_e32 v5, vcc, 0, v3, vcc
	v_add_co_u32_e32 v6, vcc, 0x5000, v2
	s_nop 1
	v_addc_co_u32_e32 v7, vcc, 0, v3, vcc
	;; [unrolled: 3-line block ×3, first 2 shown]
	flat_load_dwordx2 v[8:9], v[4:5]
	flat_load_dwordx2 v[20:21], v[6:7]
	;; [unrolled: 1-line block ×3, first 2 shown]
	s_waitcnt vmcnt(0) lgkmcnt(0)
	ds_write2st64_b64 v18, v[10:11], v[12:13] offset1:8
	ds_write2st64_b64 v18, v[14:15], v[16:17] offset0:16 offset1:24
	ds_write2st64_b64 v18, v[8:9], v[20:21] offset0:32 offset1:40
	ds_write_b64 v18, v[22:23] offset:24576
	s_waitcnt lgkmcnt(0)
	s_barrier
.LBB2300_2:
	s_andn2_b64 vcc, exec, s[8:9]
	s_addk_i32 s3, 0xe00
	s_cbranch_vccnz .LBB2300_18
; %bb.3:
	v_cmp_gt_u32_e32 vcc, s3, v0
                                        ; implicit-def: $vgpr2_vgpr3_vgpr4_vgpr5_vgpr6_vgpr7_vgpr8_vgpr9_vgpr10_vgpr11_vgpr12_vgpr13_vgpr14_vgpr15_vgpr16_vgpr17
	s_and_saveexec_b64 s[8:9], vcc
	s_cbranch_execz .LBB2300_5
; %bb.4:
	v_mov_b32_e32 v19, 0
	v_lshl_add_u64 v[2:3], s[6:7], 0, v[18:19]
	flat_load_dwordx2 v[2:3], v[2:3]
.LBB2300_5:
	s_or_b64 exec, exec, s[8:9]
	v_or_b32_e32 v1, 0x200, v0
	v_cmp_gt_u32_e32 vcc, s3, v1
	s_and_saveexec_b64 s[8:9], vcc
	s_cbranch_execz .LBB2300_7
; %bb.6:
	v_lshlrev_b32_e32 v4, 3, v1
	v_mov_b32_e32 v5, 0
	v_lshl_add_u64 v[4:5], s[6:7], 0, v[4:5]
	flat_load_dwordx2 v[4:5], v[4:5]
.LBB2300_7:
	s_or_b64 exec, exec, s[8:9]
	v_or_b32_e32 v1, 0x400, v0
	v_cmp_gt_u32_e32 vcc, s3, v1
	s_and_saveexec_b64 s[8:9], vcc
	s_cbranch_execz .LBB2300_9
; %bb.8:
	v_lshlrev_b32_e32 v6, 3, v1
	v_mov_b32_e32 v7, 0
	v_lshl_add_u64 v[6:7], s[6:7], 0, v[6:7]
	flat_load_dwordx2 v[6:7], v[6:7]
.LBB2300_9:
	;; [unrolled: 11-line block ×6, first 2 shown]
	s_or_b64 exec, exec, s[8:9]
	s_waitcnt vmcnt(0) lgkmcnt(0)
	ds_write2st64_b64 v18, v[2:3], v[4:5] offset1:8
	ds_write2st64_b64 v18, v[6:7], v[8:9] offset0:16 offset1:24
	ds_write2st64_b64 v18, v[10:11], v[12:13] offset0:32 offset1:40
	ds_write_b64 v18, v[14:15] offset:24576
	s_waitcnt lgkmcnt(0)
	s_barrier
.LBB2300_18:
	v_mul_u32_u24_e32 v1, 7, v0
	v_lshlrev_b32_e32 v31, 3, v1
	s_waitcnt lgkmcnt(0)
	ds_read2_b64 v[10:13], v31 offset1:1
	ds_read2_b64 v[6:9], v31 offset0:2 offset1:3
	ds_read2_b64 v[2:5], v31 offset0:4 offset1:5
	ds_read_b64 v[14:15], v31 offset:48
	s_andn2_b64 vcc, exec, s[4:5]
	s_waitcnt lgkmcnt(3)
	v_xor_b32_e32 v22, -1, v10
	v_xor_b32_e32 v21, -1, v12
	s_waitcnt lgkmcnt(2)
	v_xor_b32_e32 v20, -1, v6
	v_xor_b32_e32 v19, -1, v8
	;; [unrolled: 3-line block ×3, first 2 shown]
	s_waitcnt lgkmcnt(0)
	v_xor_b32_e32 v16, -1, v14
	s_barrier
	s_cbranch_vccnz .LBB2300_20
; %bb.19:
	v_mov_b32_e32 v24, 1
	v_and_b32_e32 v23, 1, v22
	v_and_b32_sdwa v25, v21, v24 dst_sel:BYTE_1 dst_unused:UNUSED_PAD src0_sel:DWORD src1_sel:DWORD
	v_and_b32_e32 v29, 1, v20
	v_and_b32_sdwa v24, v19, v24 dst_sel:BYTE_1 dst_unused:UNUSED_PAD src0_sel:DWORD src1_sel:DWORD
	v_or_b32_e32 v23, v23, v25
	v_or_b32_sdwa v24, v29, v24 dst_sel:WORD_1 dst_unused:UNUSED_PAD src0_sel:DWORD src1_sel:DWORD
	v_and_b32_e32 v28, 1, v18
	v_and_b32_e32 v27, 1, v17
	;; [unrolled: 1-line block ×3, first 2 shown]
	v_or_b32_sdwa v29, v23, v24 dst_sel:DWORD dst_unused:UNUSED_PAD src0_sel:WORD_0 src1_sel:DWORD
	s_load_dwordx2 s[24:25], s[0:1], 0x78
	s_cbranch_execz .LBB2300_21
	s_branch .LBB2300_22
.LBB2300_20:
                                        ; implicit-def: $vgpr26
                                        ; implicit-def: $vgpr27
                                        ; implicit-def: $vgpr28
                                        ; implicit-def: $vgpr29
	s_load_dwordx2 s[24:25], s[0:1], 0x78
.LBB2300_21:
	v_add_u32_e32 v23, 1, v1
	v_cmp_gt_u32_e32 vcc, s3, v1
	v_add_u32_e32 v24, 2, v1
	v_add_u32_e32 v25, 3, v1
	v_cndmask_b32_e64 v28, 0, 1, vcc
	v_cmp_gt_u32_e32 vcc, s3, v23
	v_add_u32_e32 v26, 4, v1
	v_add_u32_e32 v27, 5, v1
	v_cndmask_b32_e64 v23, 0, 1, vcc
	v_cmp_gt_u32_e32 vcc, s3, v24
	v_and_b32_sdwa v21, v23, v21 dst_sel:BYTE_1 dst_unused:UNUSED_PAD src0_sel:DWORD src1_sel:DWORD
	v_add_u32_e32 v29, 6, v1
	v_cndmask_b32_e64 v23, 0, 1, vcc
	v_cmp_gt_u32_e32 vcc, s3, v25
	v_and_b32_e32 v20, v23, v20
	v_and_b32_e32 v22, v28, v22
	v_cndmask_b32_e64 v23, 0, 1, vcc
	v_cmp_gt_u32_e32 vcc, s3, v26
	v_and_b32_sdwa v19, v23, v19 dst_sel:BYTE_1 dst_unused:UNUSED_PAD src0_sel:DWORD src1_sel:DWORD
	s_nop 0
	v_cndmask_b32_e64 v23, 0, 1, vcc
	v_cmp_gt_u32_e32 vcc, s3, v27
	v_and_b32_e32 v28, v23, v18
	s_nop 0
	v_cndmask_b32_e64 v18, 0, 1, vcc
	v_cmp_gt_u32_e32 vcc, s3, v29
	v_and_b32_e32 v27, v18, v17
	s_nop 0
	v_cndmask_b32_e64 v17, 0, 1, vcc
	v_and_b32_e32 v26, v17, v16
	v_or_b32_e32 v16, v22, v21
	v_or_b32_sdwa v17, v20, v19 dst_sel:WORD_1 dst_unused:UNUSED_PAD src0_sel:DWORD src1_sel:DWORD
	s_nop 0
	v_or_b32_sdwa v29, v16, v17 dst_sel:DWORD dst_unused:UNUSED_PAD src0_sel:WORD_0 src1_sel:DWORD
.LBB2300_22:
	v_and_b32_e32 v32, 0xff, v29
	v_bfe_u32 v33, v29, 8, 8
	v_bfe_u32 v34, v29, 16, 8
	v_lshrrev_b32_e32 v30, 24, v29
	v_and_b32_e32 v35, 0xff, v28
	v_add3_u32 v17, v33, v32, v34
	v_and_b32_e32 v36, 0xff, v27
	v_and_b32_e32 v16, 0xff, v26
	v_add3_u32 v17, v17, v30, v35
	v_add3_u32 v39, v17, v36, v16
	v_mbcnt_lo_u32_b32 v16, -1, 0
	v_mbcnt_hi_u32_b32 v37, -1, v16
	v_and_b32_e32 v16, 15, v37
	v_cmp_eq_u32_e64 s[12:13], 0, v16
	v_cmp_lt_u32_e64 s[10:11], 1, v16
	v_cmp_lt_u32_e64 s[8:9], 3, v16
	;; [unrolled: 1-line block ×3, first 2 shown]
	v_and_b32_e32 v16, 16, v37
	v_cmp_eq_u32_e64 s[4:5], 0, v16
	v_or_b32_e32 v16, 63, v0
	s_cmp_lg_u32 s2, 0
	v_cmp_lt_u32_e64 s[0:1], 31, v37
	v_lshrrev_b32_e32 v38, 6, v0
	v_cmp_eq_u32_e64 s[16:17], v16, v0
	s_cbranch_scc0 .LBB2300_49
; %bb.23:
	v_mov_b32_dpp v16, v39 row_shr:1 row_mask:0xf bank_mask:0xf
	v_cndmask_b32_e64 v16, v16, 0, s[12:13]
	v_add_u32_e32 v16, v16, v39
	s_nop 1
	v_mov_b32_dpp v17, v16 row_shr:2 row_mask:0xf bank_mask:0xf
	v_cndmask_b32_e64 v17, 0, v17, s[10:11]
	v_add_u32_e32 v16, v16, v17
	s_nop 1
	;; [unrolled: 4-line block ×4, first 2 shown]
	v_mov_b32_dpp v17, v16 row_bcast:15 row_mask:0xf bank_mask:0xf
	v_cndmask_b32_e64 v17, v17, 0, s[4:5]
	v_add_u32_e32 v16, v16, v17
	s_nop 1
	v_mov_b32_dpp v17, v16 row_bcast:31 row_mask:0xf bank_mask:0xf
	v_cndmask_b32_e64 v17, 0, v17, s[0:1]
	v_add_u32_e32 v16, v16, v17
	s_and_saveexec_b64 s[14:15], s[16:17]
	s_cbranch_execz .LBB2300_25
; %bb.24:
	v_lshlrev_b32_e32 v17, 2, v38
	ds_write_b32 v17, v16
.LBB2300_25:
	s_or_b64 exec, exec, s[14:15]
	v_cmp_gt_u32_e32 vcc, 8, v0
	s_waitcnt lgkmcnt(0)
	s_barrier
	s_and_saveexec_b64 s[14:15], vcc
	s_cbranch_execz .LBB2300_27
; %bb.26:
	v_lshlrev_b32_e32 v17, 2, v0
	ds_read_b32 v18, v17
	v_and_b32_e32 v19, 7, v37
	v_cmp_ne_u32_e32 vcc, 0, v19
	s_waitcnt lgkmcnt(0)
	v_mov_b32_dpp v20, v18 row_shr:1 row_mask:0xf bank_mask:0xf
	v_cndmask_b32_e32 v20, 0, v20, vcc
	v_add_u32_e32 v18, v20, v18
	v_cmp_lt_u32_e32 vcc, 1, v19
	s_nop 0
	v_mov_b32_dpp v20, v18 row_shr:2 row_mask:0xf bank_mask:0xf
	v_cndmask_b32_e32 v20, 0, v20, vcc
	v_add_u32_e32 v18, v18, v20
	v_cmp_lt_u32_e32 vcc, 3, v19
	s_nop 0
	v_mov_b32_dpp v20, v18 row_shr:4 row_mask:0xf bank_mask:0xf
	v_cndmask_b32_e32 v19, 0, v20, vcc
	v_add_u32_e32 v18, v18, v19
	ds_write_b32 v17, v18
.LBB2300_27:
	s_or_b64 exec, exec, s[14:15]
	v_cmp_gt_u32_e32 vcc, 64, v0
	v_cmp_lt_u32_e64 s[14:15], 63, v0
	s_waitcnt lgkmcnt(0)
	s_barrier
	s_waitcnt lgkmcnt(0)
                                        ; implicit-def: $vgpr40
	s_and_saveexec_b64 s[26:27], s[14:15]
	s_cbranch_execz .LBB2300_29
; %bb.28:
	v_lshl_add_u32 v17, v38, 2, -4
	ds_read_b32 v40, v17
	s_waitcnt lgkmcnt(0)
	v_add_u32_e32 v16, v40, v16
.LBB2300_29:
	s_or_b64 exec, exec, s[26:27]
	v_add_u32_e32 v17, -1, v37
	v_and_b32_e32 v18, 64, v37
	v_cmp_lt_i32_e64 s[14:15], v17, v18
	s_nop 1
	v_cndmask_b32_e64 v17, v17, v37, s[14:15]
	v_lshlrev_b32_e32 v17, 2, v17
	ds_bpermute_b32 v41, v17, v16
	v_cmp_eq_u32_e64 s[14:15], 0, v37
	s_and_saveexec_b64 s[26:27], vcc
	s_cbranch_execz .LBB2300_48
; %bb.30:
	v_mov_b32_e32 v23, 0
	ds_read_b32 v16, v23 offset:28
	s_and_saveexec_b64 s[28:29], s[14:15]
	s_cbranch_execz .LBB2300_32
; %bb.31:
	s_add_i32 s30, s2, 64
	s_mov_b32 s31, 0
	s_lshl_b64 s[30:31], s[30:31], 3
	s_add_u32 s30, s24, s30
	v_mov_b32_e32 v17, 1
	s_addc_u32 s31, s25, s31
	s_waitcnt lgkmcnt(0)
	global_store_dwordx2 v23, v[16:17], s[30:31] sc1
.LBB2300_32:
	s_or_b64 exec, exec, s[28:29]
	v_xad_u32 v18, v37, -1, s2
	v_add_u32_e32 v22, 64, v18
	v_lshl_add_u64 v[24:25], v[22:23], 3, s[24:25]
	global_load_dwordx2 v[20:21], v[24:25], off sc1
	s_waitcnt vmcnt(0)
	v_cmp_eq_u16_sdwa s[30:31], v21, v23 src0_sel:BYTE_0 src1_sel:DWORD
	s_and_saveexec_b64 s[28:29], s[30:31]
	s_cbranch_execz .LBB2300_36
; %bb.33:
	s_mov_b64 s[30:31], 0
	v_mov_b32_e32 v17, 0
.LBB2300_34:                            ; =>This Inner Loop Header: Depth=1
	global_load_dwordx2 v[20:21], v[24:25], off sc1
	s_waitcnt vmcnt(0)
	v_cmp_ne_u16_sdwa s[34:35], v21, v17 src0_sel:BYTE_0 src1_sel:DWORD
	s_or_b64 s[30:31], s[34:35], s[30:31]
	s_andn2_b64 exec, exec, s[30:31]
	s_cbranch_execnz .LBB2300_34
; %bb.35:
	s_or_b64 exec, exec, s[30:31]
.LBB2300_36:
	s_or_b64 exec, exec, s[28:29]
	v_and_b32_e32 v43, 63, v37
	v_mov_b32_e32 v42, 2
	v_cmp_ne_u32_e32 vcc, 63, v43
	v_cmp_eq_u16_sdwa s[28:29], v21, v42 src0_sel:BYTE_0 src1_sel:DWORD
	v_lshlrev_b64 v[22:23], v37, -1
	v_addc_co_u32_e32 v24, vcc, 0, v37, vcc
	v_and_b32_e32 v17, s29, v23
	v_lshlrev_b32_e32 v44, 2, v24
	v_or_b32_e32 v17, 0x80000000, v17
	ds_bpermute_b32 v24, v44, v20
	v_and_b32_e32 v19, s28, v22
	v_ffbl_b32_e32 v17, v17
	v_add_u32_e32 v17, 32, v17
	v_ffbl_b32_e32 v19, v19
	v_min_u32_e32 v17, v19, v17
	v_cmp_lt_u32_e32 vcc, v43, v17
	v_add_u32_e32 v46, 2, v43
	v_add_u32_e32 v48, 4, v43
	s_waitcnt lgkmcnt(0)
	v_cndmask_b32_e32 v19, 0, v24, vcc
	v_cmp_gt_u32_e32 vcc, 62, v43
	v_add_u32_e32 v19, v19, v20
	v_add_u32_e32 v50, 8, v43
	v_cndmask_b32_e64 v20, 0, 1, vcc
	v_lshlrev_b32_e32 v20, 1, v20
	v_add_lshl_u32 v45, v20, v37, 2
	ds_bpermute_b32 v20, v45, v19
	v_cmp_le_u32_e32 vcc, v46, v17
	v_add_u32_e32 v52, 16, v43
	v_add_u32_e32 v54, 32, v43
	s_waitcnt lgkmcnt(0)
	v_cndmask_b32_e32 v20, 0, v20, vcc
	v_cmp_gt_u32_e32 vcc, 60, v43
	v_add_u32_e32 v19, v19, v20
	s_nop 0
	v_cndmask_b32_e64 v20, 0, 1, vcc
	v_lshlrev_b32_e32 v20, 2, v20
	v_add_lshl_u32 v47, v20, v37, 2
	ds_bpermute_b32 v20, v47, v19
	v_cmp_le_u32_e32 vcc, v48, v17
	s_waitcnt lgkmcnt(0)
	s_nop 0
	v_cndmask_b32_e32 v20, 0, v20, vcc
	v_cmp_gt_u32_e32 vcc, 56, v43
	v_add_u32_e32 v19, v19, v20
	s_nop 0
	v_cndmask_b32_e64 v20, 0, 1, vcc
	v_lshlrev_b32_e32 v20, 3, v20
	v_add_lshl_u32 v49, v20, v37, 2
	ds_bpermute_b32 v20, v49, v19
	v_cmp_le_u32_e32 vcc, v50, v17
	s_waitcnt lgkmcnt(0)
	s_nop 0
	;; [unrolled: 11-line block ×4, first 2 shown]
	v_cndmask_b32_e32 v17, 0, v20, vcc
	v_add_u32_e32 v20, v19, v17
	v_mov_b32_e32 v19, 0
	s_branch .LBB2300_38
.LBB2300_37:                            ;   in Loop: Header=BB2300_38 Depth=1
	s_or_b64 exec, exec, s[28:29]
	v_cmp_eq_u16_sdwa s[28:29], v21, v42 src0_sel:BYTE_0 src1_sel:DWORD
	ds_bpermute_b32 v55, v44, v20
	v_subrev_u32_e32 v18, 64, v18
	v_and_b32_e32 v24, s29, v23
	v_or_b32_e32 v24, 0x80000000, v24
	v_and_b32_e32 v25, s28, v22
	v_ffbl_b32_e32 v24, v24
	v_add_u32_e32 v24, 32, v24
	v_ffbl_b32_e32 v25, v25
	v_min_u32_e32 v24, v25, v24
	v_cmp_lt_u32_e32 vcc, v43, v24
	s_waitcnt lgkmcnt(0)
	s_nop 0
	v_cndmask_b32_e32 v25, 0, v55, vcc
	v_add_u32_e32 v20, v25, v20
	ds_bpermute_b32 v25, v45, v20
	v_cmp_le_u32_e32 vcc, v46, v24
	s_waitcnt lgkmcnt(0)
	s_nop 0
	v_cndmask_b32_e32 v25, 0, v25, vcc
	v_add_u32_e32 v20, v20, v25
	ds_bpermute_b32 v25, v47, v20
	v_cmp_le_u32_e32 vcc, v48, v24
	;; [unrolled: 6-line block ×5, first 2 shown]
	s_waitcnt lgkmcnt(0)
	s_nop 0
	v_cndmask_b32_e32 v24, 0, v25, vcc
	v_add3_u32 v20, v24, v17, v20
.LBB2300_38:                            ; =>This Loop Header: Depth=1
                                        ;     Child Loop BB2300_41 Depth 2
	v_cmp_ne_u16_sdwa s[28:29], v21, v42 src0_sel:BYTE_0 src1_sel:DWORD
	s_nop 1
	v_cndmask_b32_e64 v17, 0, 1, s[28:29]
	;;#ASMSTART
	;;#ASMEND
	s_nop 0
	v_cmp_ne_u32_e32 vcc, 0, v17
	s_cmp_lg_u64 vcc, exec
	v_mov_b32_e32 v17, v20
	s_cbranch_scc1 .LBB2300_43
; %bb.39:                               ;   in Loop: Header=BB2300_38 Depth=1
	v_lshl_add_u64 v[24:25], v[18:19], 3, s[24:25]
	global_load_dwordx2 v[20:21], v[24:25], off sc1
	s_waitcnt vmcnt(0)
	v_cmp_eq_u16_sdwa s[30:31], v21, v19 src0_sel:BYTE_0 src1_sel:DWORD
	s_and_saveexec_b64 s[28:29], s[30:31]
	s_cbranch_execz .LBB2300_37
; %bb.40:                               ;   in Loop: Header=BB2300_38 Depth=1
	s_mov_b64 s[30:31], 0
.LBB2300_41:                            ;   Parent Loop BB2300_38 Depth=1
                                        ; =>  This Inner Loop Header: Depth=2
	global_load_dwordx2 v[20:21], v[24:25], off sc1
	s_waitcnt vmcnt(0)
	v_cmp_ne_u16_sdwa s[34:35], v21, v19 src0_sel:BYTE_0 src1_sel:DWORD
	s_or_b64 s[30:31], s[34:35], s[30:31]
	s_andn2_b64 exec, exec, s[30:31]
	s_cbranch_execnz .LBB2300_41
; %bb.42:                               ;   in Loop: Header=BB2300_38 Depth=1
	s_or_b64 exec, exec, s[30:31]
	s_branch .LBB2300_37
.LBB2300_43:                            ;   in Loop: Header=BB2300_38 Depth=1
                                        ; implicit-def: $vgpr20
                                        ; implicit-def: $vgpr21
	s_cbranch_execz .LBB2300_38
; %bb.44:
	s_and_saveexec_b64 s[28:29], s[14:15]
	s_cbranch_execz .LBB2300_46
; %bb.45:
	s_add_i32 s2, s2, 64
	s_mov_b32 s3, 0
	s_lshl_b64 s[2:3], s[2:3], 3
	s_add_u32 s2, s24, s2
	v_add_u32_e32 v18, v17, v16
	v_mov_b32_e32 v19, 2
	s_addc_u32 s3, s25, s3
	v_mov_b32_e32 v20, 0
	global_store_dwordx2 v20, v[18:19], s[2:3] sc1
	ds_write_b64 v20, v[16:17] offset:28672
.LBB2300_46:
	s_or_b64 exec, exec, s[28:29]
	v_cmp_eq_u32_e32 vcc, 0, v0
	s_and_b64 exec, exec, vcc
	s_cbranch_execz .LBB2300_48
; %bb.47:
	v_mov_b32_e32 v16, 0
	ds_write_b32 v16, v17 offset:28
.LBB2300_48:
	s_or_b64 exec, exec, s[26:27]
	v_mov_b32_e32 v16, 0
	s_waitcnt lgkmcnt(0)
	s_barrier
	ds_read_b32 v17, v16 offset:28
	v_cndmask_b32_e64 v18, v41, v40, s[14:15]
	v_cmp_ne_u32_e32 vcc, 0, v0
	s_waitcnt lgkmcnt(0)
	s_barrier
	v_cndmask_b32_e32 v18, 0, v18, vcc
	v_add_u32_e32 v24, v17, v18
	v_add_u32_e32 v23, v24, v32
	;; [unrolled: 1-line block ×3, first 2 shown]
	ds_read_b64 v[16:17], v16 offset:28672
	v_add_u32_e32 v21, v22, v34
	v_add_u32_e32 v20, v21, v30
	;; [unrolled: 1-line block ×4, first 2 shown]
	s_branch .LBB2300_59
.LBB2300_49:
                                        ; implicit-def: $vgpr17
                                        ; implicit-def: $vgpr18
                                        ; implicit-def: $vgpr19
                                        ; implicit-def: $vgpr20
                                        ; implicit-def: $vgpr21
                                        ; implicit-def: $vgpr22
                                        ; implicit-def: $vgpr23
                                        ; implicit-def: $vgpr24
	s_cbranch_execz .LBB2300_59
; %bb.50:
	s_waitcnt lgkmcnt(0)
	v_mov_b32_dpp v16, v39 row_shr:1 row_mask:0xf bank_mask:0xf
	v_cndmask_b32_e64 v16, v16, 0, s[12:13]
	v_add_u32_e32 v16, v16, v39
	s_nop 1
	v_mov_b32_dpp v17, v16 row_shr:2 row_mask:0xf bank_mask:0xf
	v_cndmask_b32_e64 v17, 0, v17, s[10:11]
	v_add_u32_e32 v16, v16, v17
	s_nop 1
	v_mov_b32_dpp v17, v16 row_shr:4 row_mask:0xf bank_mask:0xf
	v_cndmask_b32_e64 v17, 0, v17, s[8:9]
	v_add_u32_e32 v16, v16, v17
	s_nop 1
	v_mov_b32_dpp v17, v16 row_shr:8 row_mask:0xf bank_mask:0xf
	v_cndmask_b32_e64 v17, 0, v17, s[6:7]
	v_add_u32_e32 v16, v16, v17
	s_nop 1
	v_mov_b32_dpp v17, v16 row_bcast:15 row_mask:0xf bank_mask:0xf
	v_cndmask_b32_e64 v17, v17, 0, s[4:5]
	v_add_u32_e32 v16, v16, v17
	s_nop 1
	v_mov_b32_dpp v17, v16 row_bcast:31 row_mask:0xf bank_mask:0xf
	v_cndmask_b32_e64 v17, 0, v17, s[0:1]
	v_add_u32_e32 v16, v16, v17
	s_and_saveexec_b64 s[0:1], s[16:17]
	s_cbranch_execz .LBB2300_52
; %bb.51:
	v_lshlrev_b32_e32 v17, 2, v38
	ds_write_b32 v17, v16
.LBB2300_52:
	s_or_b64 exec, exec, s[0:1]
	v_cmp_gt_u32_e32 vcc, 8, v0
	s_waitcnt lgkmcnt(0)
	s_barrier
	s_and_saveexec_b64 s[0:1], vcc
	s_cbranch_execz .LBB2300_54
; %bb.53:
	s_movk_i32 s2, 0xffcc
	v_mad_i32_i24 v17, v0, s2, v31
	ds_read_b32 v18, v17
	v_and_b32_e32 v19, 7, v37
	v_cmp_ne_u32_e32 vcc, 0, v19
	s_waitcnt lgkmcnt(0)
	v_mov_b32_dpp v20, v18 row_shr:1 row_mask:0xf bank_mask:0xf
	v_cndmask_b32_e32 v20, 0, v20, vcc
	v_add_u32_e32 v18, v20, v18
	v_cmp_lt_u32_e32 vcc, 1, v19
	s_nop 0
	v_mov_b32_dpp v20, v18 row_shr:2 row_mask:0xf bank_mask:0xf
	v_cndmask_b32_e32 v20, 0, v20, vcc
	v_add_u32_e32 v18, v18, v20
	v_cmp_lt_u32_e32 vcc, 3, v19
	s_nop 0
	v_mov_b32_dpp v20, v18 row_shr:4 row_mask:0xf bank_mask:0xf
	v_cndmask_b32_e32 v19, 0, v20, vcc
	v_add_u32_e32 v18, v18, v19
	ds_write_b32 v17, v18
.LBB2300_54:
	s_or_b64 exec, exec, s[0:1]
	v_cmp_lt_u32_e32 vcc, 63, v0
	v_mov_b32_e32 v17, 0
	v_mov_b32_e32 v18, 0
	s_waitcnt lgkmcnt(0)
	s_barrier
	s_and_saveexec_b64 s[0:1], vcc
	s_cbranch_execz .LBB2300_56
; %bb.55:
	v_lshl_add_u32 v18, v38, 2, -4
	ds_read_b32 v18, v18
.LBB2300_56:
	s_or_b64 exec, exec, s[0:1]
	v_add_u32_e32 v19, -1, v37
	v_and_b32_e32 v20, 64, v37
	v_cmp_lt_i32_e32 vcc, v19, v20
	s_waitcnt lgkmcnt(0)
	v_add_u32_e32 v16, v18, v16
	v_cndmask_b32_e32 v19, v19, v37, vcc
	v_lshlrev_b32_e32 v19, 2, v19
	ds_bpermute_b32 v19, v19, v16
	ds_read_b32 v16, v17 offset:28
	v_cmp_eq_u32_e32 vcc, 0, v0
	s_and_saveexec_b64 s[0:1], vcc
	s_cbranch_execz .LBB2300_58
; %bb.57:
	v_mov_b32_e32 v20, 0
	v_mov_b32_e32 v17, 2
	s_waitcnt lgkmcnt(0)
	global_store_dwordx2 v20, v[16:17], s[24:25] offset:512 sc1
.LBB2300_58:
	s_or_b64 exec, exec, s[0:1]
	v_cmp_eq_u32_e64 s[0:1], 0, v37
	v_mov_b32_e32 v17, 0
	s_waitcnt lgkmcnt(0)
	v_cndmask_b32_e64 v18, v19, v18, s[0:1]
	v_cndmask_b32_e64 v24, v18, 0, vcc
	v_add_u32_e32 v23, v24, v32
	v_add_u32_e32 v22, v23, v33
	;; [unrolled: 1-line block ×6, first 2 shown]
	s_barrier
.LBB2300_59:
	s_waitcnt lgkmcnt(0)
	v_add_u32_e32 v1, v16, v1
	v_sub_u32_e32 v24, v24, v17
	v_and_b32_e32 v32, 1, v29
	v_sub_u32_e32 v31, v1, v24
	v_cmp_eq_u32_e32 vcc, 1, v32
	v_lshrrev_b32_e32 v25, 8, v29
	s_nop 0
	v_cndmask_b32_e32 v24, v31, v24, vcc
	v_lshlrev_b32_e32 v24, 3, v24
	ds_write_b64 v24, v[10:11]
	v_sub_u32_e32 v10, v23, v17
	v_sub_u32_e32 v11, v1, v10
	v_and_b32_e32 v23, 1, v25
	v_add_u32_e32 v11, 1, v11
	v_cmp_eq_u32_e32 vcc, 1, v23
	s_nop 1
	v_cndmask_b32_e32 v10, v11, v10, vcc
	v_lshlrev_b32_e32 v10, 3, v10
	ds_write_b64 v10, v[12:13]
	v_sub_u32_e32 v10, v22, v17
	v_mov_b32_e32 v12, 1
	v_sub_u32_e32 v11, v1, v10
	v_and_b32_sdwa v12, v12, v29 dst_sel:DWORD dst_unused:UNUSED_PAD src0_sel:DWORD src1_sel:WORD_1
	v_add_u32_e32 v11, 2, v11
	v_cmp_eq_u32_e32 vcc, 1, v12
	s_nop 1
	v_cndmask_b32_e32 v10, v11, v10, vcc
	v_lshlrev_b32_e32 v10, 3, v10
	ds_write_b64 v10, v[6:7]
	v_sub_u32_e32 v6, v21, v17
	v_sub_u32_e32 v7, v1, v6
	v_and_b32_e32 v10, 1, v30
	v_add_u32_e32 v7, 3, v7
	v_cmp_eq_u32_e32 vcc, 1, v10
	s_nop 1
	v_cndmask_b32_e32 v6, v7, v6, vcc
	v_lshlrev_b32_e32 v6, 3, v6
	ds_write_b64 v6, v[8:9]
	v_sub_u32_e32 v6, v20, v17
	v_sub_u32_e32 v7, v1, v6
	v_and_b32_e32 v8, 1, v28
	;; [unrolled: 9-line block ×4, first 2 shown]
	v_add_u32_e32 v1, 6, v1
	v_cmp_eq_u32_e32 vcc, 1, v3
	s_nop 1
	v_cndmask_b32_e32 v1, v1, v2, vcc
	v_cmp_eq_u32_e32 vcc, 0, v0
	v_lshlrev_b32_e32 v1, 3, v1
	s_and_b64 s[0:1], vcc, s[22:23]
	ds_write_b64 v1, v[14:15]
	s_waitcnt lgkmcnt(0)
	s_barrier
	s_and_saveexec_b64 s[2:3], s[0:1]
	s_cbranch_execz .LBB2300_61
; %bb.60:
	v_mov_b32_e32 v1, 0
	v_mov_b32_e32 v0, v16
	v_lshl_add_u64 v[2:3], s[18:19], 0, v[0:1]
	v_mov_b32_e32 v0, v17
	v_lshl_add_u64 v[2:3], v[2:3], 0, v[0:1]
	global_store_dwordx2 v1, v[2:3], s[20:21]
.LBB2300_61:
	s_endpgm
	.section	.rodata,"a",@progbits
	.p2align	6, 0x0
	.amdhsa_kernel _ZN7rocprim17ROCPRIM_400000_NS6detail17trampoline_kernelINS0_14default_configENS1_25partition_config_selectorILNS1_17partition_subalgoE0EyNS0_10empty_typeEbEEZZNS1_14partition_implILS5_0ELb0ES3_jN6thrust23THRUST_200600_302600_NS6detail15normal_iteratorINSA_10device_ptrIyEEEEPS6_SG_NS0_5tupleIJNSA_16discard_iteratorINSA_11use_defaultEEESK_EEENSH_IJSG_SG_EEES6_PlJ7is_evenIyEEEE10hipError_tPvRmT3_T4_T5_T6_T7_T9_mT8_P12ihipStream_tbDpT10_ENKUlT_T0_E_clISt17integral_constantIbLb0EES19_EEDaS14_S15_EUlS14_E_NS1_11comp_targetILNS1_3genE5ELNS1_11target_archE942ELNS1_3gpuE9ELNS1_3repE0EEENS1_30default_config_static_selectorELNS0_4arch9wavefront6targetE1EEEvT1_
		.amdhsa_group_segment_fixed_size 28680
		.amdhsa_private_segment_fixed_size 0
		.amdhsa_kernarg_size 136
		.amdhsa_user_sgpr_count 2
		.amdhsa_user_sgpr_dispatch_ptr 0
		.amdhsa_user_sgpr_queue_ptr 0
		.amdhsa_user_sgpr_kernarg_segment_ptr 1
		.amdhsa_user_sgpr_dispatch_id 0
		.amdhsa_user_sgpr_kernarg_preload_length 0
		.amdhsa_user_sgpr_kernarg_preload_offset 0
		.amdhsa_user_sgpr_private_segment_size 0
		.amdhsa_uses_dynamic_stack 0
		.amdhsa_enable_private_segment 0
		.amdhsa_system_sgpr_workgroup_id_x 1
		.amdhsa_system_sgpr_workgroup_id_y 0
		.amdhsa_system_sgpr_workgroup_id_z 0
		.amdhsa_system_sgpr_workgroup_info 0
		.amdhsa_system_vgpr_workitem_id 0
		.amdhsa_next_free_vgpr 56
		.amdhsa_next_free_sgpr 36
		.amdhsa_accum_offset 56
		.amdhsa_reserve_vcc 1
		.amdhsa_float_round_mode_32 0
		.amdhsa_float_round_mode_16_64 0
		.amdhsa_float_denorm_mode_32 3
		.amdhsa_float_denorm_mode_16_64 3
		.amdhsa_dx10_clamp 1
		.amdhsa_ieee_mode 1
		.amdhsa_fp16_overflow 0
		.amdhsa_tg_split 0
		.amdhsa_exception_fp_ieee_invalid_op 0
		.amdhsa_exception_fp_denorm_src 0
		.amdhsa_exception_fp_ieee_div_zero 0
		.amdhsa_exception_fp_ieee_overflow 0
		.amdhsa_exception_fp_ieee_underflow 0
		.amdhsa_exception_fp_ieee_inexact 0
		.amdhsa_exception_int_div_zero 0
	.end_amdhsa_kernel
	.section	.text._ZN7rocprim17ROCPRIM_400000_NS6detail17trampoline_kernelINS0_14default_configENS1_25partition_config_selectorILNS1_17partition_subalgoE0EyNS0_10empty_typeEbEEZZNS1_14partition_implILS5_0ELb0ES3_jN6thrust23THRUST_200600_302600_NS6detail15normal_iteratorINSA_10device_ptrIyEEEEPS6_SG_NS0_5tupleIJNSA_16discard_iteratorINSA_11use_defaultEEESK_EEENSH_IJSG_SG_EEES6_PlJ7is_evenIyEEEE10hipError_tPvRmT3_T4_T5_T6_T7_T9_mT8_P12ihipStream_tbDpT10_ENKUlT_T0_E_clISt17integral_constantIbLb0EES19_EEDaS14_S15_EUlS14_E_NS1_11comp_targetILNS1_3genE5ELNS1_11target_archE942ELNS1_3gpuE9ELNS1_3repE0EEENS1_30default_config_static_selectorELNS0_4arch9wavefront6targetE1EEEvT1_,"axG",@progbits,_ZN7rocprim17ROCPRIM_400000_NS6detail17trampoline_kernelINS0_14default_configENS1_25partition_config_selectorILNS1_17partition_subalgoE0EyNS0_10empty_typeEbEEZZNS1_14partition_implILS5_0ELb0ES3_jN6thrust23THRUST_200600_302600_NS6detail15normal_iteratorINSA_10device_ptrIyEEEEPS6_SG_NS0_5tupleIJNSA_16discard_iteratorINSA_11use_defaultEEESK_EEENSH_IJSG_SG_EEES6_PlJ7is_evenIyEEEE10hipError_tPvRmT3_T4_T5_T6_T7_T9_mT8_P12ihipStream_tbDpT10_ENKUlT_T0_E_clISt17integral_constantIbLb0EES19_EEDaS14_S15_EUlS14_E_NS1_11comp_targetILNS1_3genE5ELNS1_11target_archE942ELNS1_3gpuE9ELNS1_3repE0EEENS1_30default_config_static_selectorELNS0_4arch9wavefront6targetE1EEEvT1_,comdat
.Lfunc_end2300:
	.size	_ZN7rocprim17ROCPRIM_400000_NS6detail17trampoline_kernelINS0_14default_configENS1_25partition_config_selectorILNS1_17partition_subalgoE0EyNS0_10empty_typeEbEEZZNS1_14partition_implILS5_0ELb0ES3_jN6thrust23THRUST_200600_302600_NS6detail15normal_iteratorINSA_10device_ptrIyEEEEPS6_SG_NS0_5tupleIJNSA_16discard_iteratorINSA_11use_defaultEEESK_EEENSH_IJSG_SG_EEES6_PlJ7is_evenIyEEEE10hipError_tPvRmT3_T4_T5_T6_T7_T9_mT8_P12ihipStream_tbDpT10_ENKUlT_T0_E_clISt17integral_constantIbLb0EES19_EEDaS14_S15_EUlS14_E_NS1_11comp_targetILNS1_3genE5ELNS1_11target_archE942ELNS1_3gpuE9ELNS1_3repE0EEENS1_30default_config_static_selectorELNS0_4arch9wavefront6targetE1EEEvT1_, .Lfunc_end2300-_ZN7rocprim17ROCPRIM_400000_NS6detail17trampoline_kernelINS0_14default_configENS1_25partition_config_selectorILNS1_17partition_subalgoE0EyNS0_10empty_typeEbEEZZNS1_14partition_implILS5_0ELb0ES3_jN6thrust23THRUST_200600_302600_NS6detail15normal_iteratorINSA_10device_ptrIyEEEEPS6_SG_NS0_5tupleIJNSA_16discard_iteratorINSA_11use_defaultEEESK_EEENSH_IJSG_SG_EEES6_PlJ7is_evenIyEEEE10hipError_tPvRmT3_T4_T5_T6_T7_T9_mT8_P12ihipStream_tbDpT10_ENKUlT_T0_E_clISt17integral_constantIbLb0EES19_EEDaS14_S15_EUlS14_E_NS1_11comp_targetILNS1_3genE5ELNS1_11target_archE942ELNS1_3gpuE9ELNS1_3repE0EEENS1_30default_config_static_selectorELNS0_4arch9wavefront6targetE1EEEvT1_
                                        ; -- End function
	.section	.AMDGPU.csdata,"",@progbits
; Kernel info:
; codeLenInByte = 3596
; NumSgprs: 42
; NumVgprs: 56
; NumAgprs: 0
; TotalNumVgprs: 56
; ScratchSize: 0
; MemoryBound: 0
; FloatMode: 240
; IeeeMode: 1
; LDSByteSize: 28680 bytes/workgroup (compile time only)
; SGPRBlocks: 5
; VGPRBlocks: 6
; NumSGPRsForWavesPerEU: 42
; NumVGPRsForWavesPerEU: 56
; AccumOffset: 56
; Occupancy: 4
; WaveLimiterHint : 1
; COMPUTE_PGM_RSRC2:SCRATCH_EN: 0
; COMPUTE_PGM_RSRC2:USER_SGPR: 2
; COMPUTE_PGM_RSRC2:TRAP_HANDLER: 0
; COMPUTE_PGM_RSRC2:TGID_X_EN: 1
; COMPUTE_PGM_RSRC2:TGID_Y_EN: 0
; COMPUTE_PGM_RSRC2:TGID_Z_EN: 0
; COMPUTE_PGM_RSRC2:TIDIG_COMP_CNT: 0
; COMPUTE_PGM_RSRC3_GFX90A:ACCUM_OFFSET: 13
; COMPUTE_PGM_RSRC3_GFX90A:TG_SPLIT: 0
	.section	.text._ZN7rocprim17ROCPRIM_400000_NS6detail17trampoline_kernelINS0_14default_configENS1_25partition_config_selectorILNS1_17partition_subalgoE0EyNS0_10empty_typeEbEEZZNS1_14partition_implILS5_0ELb0ES3_jN6thrust23THRUST_200600_302600_NS6detail15normal_iteratorINSA_10device_ptrIyEEEEPS6_SG_NS0_5tupleIJNSA_16discard_iteratorINSA_11use_defaultEEESK_EEENSH_IJSG_SG_EEES6_PlJ7is_evenIyEEEE10hipError_tPvRmT3_T4_T5_T6_T7_T9_mT8_P12ihipStream_tbDpT10_ENKUlT_T0_E_clISt17integral_constantIbLb0EES19_EEDaS14_S15_EUlS14_E_NS1_11comp_targetILNS1_3genE4ELNS1_11target_archE910ELNS1_3gpuE8ELNS1_3repE0EEENS1_30default_config_static_selectorELNS0_4arch9wavefront6targetE1EEEvT1_,"axG",@progbits,_ZN7rocprim17ROCPRIM_400000_NS6detail17trampoline_kernelINS0_14default_configENS1_25partition_config_selectorILNS1_17partition_subalgoE0EyNS0_10empty_typeEbEEZZNS1_14partition_implILS5_0ELb0ES3_jN6thrust23THRUST_200600_302600_NS6detail15normal_iteratorINSA_10device_ptrIyEEEEPS6_SG_NS0_5tupleIJNSA_16discard_iteratorINSA_11use_defaultEEESK_EEENSH_IJSG_SG_EEES6_PlJ7is_evenIyEEEE10hipError_tPvRmT3_T4_T5_T6_T7_T9_mT8_P12ihipStream_tbDpT10_ENKUlT_T0_E_clISt17integral_constantIbLb0EES19_EEDaS14_S15_EUlS14_E_NS1_11comp_targetILNS1_3genE4ELNS1_11target_archE910ELNS1_3gpuE8ELNS1_3repE0EEENS1_30default_config_static_selectorELNS0_4arch9wavefront6targetE1EEEvT1_,comdat
	.protected	_ZN7rocprim17ROCPRIM_400000_NS6detail17trampoline_kernelINS0_14default_configENS1_25partition_config_selectorILNS1_17partition_subalgoE0EyNS0_10empty_typeEbEEZZNS1_14partition_implILS5_0ELb0ES3_jN6thrust23THRUST_200600_302600_NS6detail15normal_iteratorINSA_10device_ptrIyEEEEPS6_SG_NS0_5tupleIJNSA_16discard_iteratorINSA_11use_defaultEEESK_EEENSH_IJSG_SG_EEES6_PlJ7is_evenIyEEEE10hipError_tPvRmT3_T4_T5_T6_T7_T9_mT8_P12ihipStream_tbDpT10_ENKUlT_T0_E_clISt17integral_constantIbLb0EES19_EEDaS14_S15_EUlS14_E_NS1_11comp_targetILNS1_3genE4ELNS1_11target_archE910ELNS1_3gpuE8ELNS1_3repE0EEENS1_30default_config_static_selectorELNS0_4arch9wavefront6targetE1EEEvT1_ ; -- Begin function _ZN7rocprim17ROCPRIM_400000_NS6detail17trampoline_kernelINS0_14default_configENS1_25partition_config_selectorILNS1_17partition_subalgoE0EyNS0_10empty_typeEbEEZZNS1_14partition_implILS5_0ELb0ES3_jN6thrust23THRUST_200600_302600_NS6detail15normal_iteratorINSA_10device_ptrIyEEEEPS6_SG_NS0_5tupleIJNSA_16discard_iteratorINSA_11use_defaultEEESK_EEENSH_IJSG_SG_EEES6_PlJ7is_evenIyEEEE10hipError_tPvRmT3_T4_T5_T6_T7_T9_mT8_P12ihipStream_tbDpT10_ENKUlT_T0_E_clISt17integral_constantIbLb0EES19_EEDaS14_S15_EUlS14_E_NS1_11comp_targetILNS1_3genE4ELNS1_11target_archE910ELNS1_3gpuE8ELNS1_3repE0EEENS1_30default_config_static_selectorELNS0_4arch9wavefront6targetE1EEEvT1_
	.globl	_ZN7rocprim17ROCPRIM_400000_NS6detail17trampoline_kernelINS0_14default_configENS1_25partition_config_selectorILNS1_17partition_subalgoE0EyNS0_10empty_typeEbEEZZNS1_14partition_implILS5_0ELb0ES3_jN6thrust23THRUST_200600_302600_NS6detail15normal_iteratorINSA_10device_ptrIyEEEEPS6_SG_NS0_5tupleIJNSA_16discard_iteratorINSA_11use_defaultEEESK_EEENSH_IJSG_SG_EEES6_PlJ7is_evenIyEEEE10hipError_tPvRmT3_T4_T5_T6_T7_T9_mT8_P12ihipStream_tbDpT10_ENKUlT_T0_E_clISt17integral_constantIbLb0EES19_EEDaS14_S15_EUlS14_E_NS1_11comp_targetILNS1_3genE4ELNS1_11target_archE910ELNS1_3gpuE8ELNS1_3repE0EEENS1_30default_config_static_selectorELNS0_4arch9wavefront6targetE1EEEvT1_
	.p2align	8
	.type	_ZN7rocprim17ROCPRIM_400000_NS6detail17trampoline_kernelINS0_14default_configENS1_25partition_config_selectorILNS1_17partition_subalgoE0EyNS0_10empty_typeEbEEZZNS1_14partition_implILS5_0ELb0ES3_jN6thrust23THRUST_200600_302600_NS6detail15normal_iteratorINSA_10device_ptrIyEEEEPS6_SG_NS0_5tupleIJNSA_16discard_iteratorINSA_11use_defaultEEESK_EEENSH_IJSG_SG_EEES6_PlJ7is_evenIyEEEE10hipError_tPvRmT3_T4_T5_T6_T7_T9_mT8_P12ihipStream_tbDpT10_ENKUlT_T0_E_clISt17integral_constantIbLb0EES19_EEDaS14_S15_EUlS14_E_NS1_11comp_targetILNS1_3genE4ELNS1_11target_archE910ELNS1_3gpuE8ELNS1_3repE0EEENS1_30default_config_static_selectorELNS0_4arch9wavefront6targetE1EEEvT1_,@function
_ZN7rocprim17ROCPRIM_400000_NS6detail17trampoline_kernelINS0_14default_configENS1_25partition_config_selectorILNS1_17partition_subalgoE0EyNS0_10empty_typeEbEEZZNS1_14partition_implILS5_0ELb0ES3_jN6thrust23THRUST_200600_302600_NS6detail15normal_iteratorINSA_10device_ptrIyEEEEPS6_SG_NS0_5tupleIJNSA_16discard_iteratorINSA_11use_defaultEEESK_EEENSH_IJSG_SG_EEES6_PlJ7is_evenIyEEEE10hipError_tPvRmT3_T4_T5_T6_T7_T9_mT8_P12ihipStream_tbDpT10_ENKUlT_T0_E_clISt17integral_constantIbLb0EES19_EEDaS14_S15_EUlS14_E_NS1_11comp_targetILNS1_3genE4ELNS1_11target_archE910ELNS1_3gpuE8ELNS1_3repE0EEENS1_30default_config_static_selectorELNS0_4arch9wavefront6targetE1EEEvT1_: ; @_ZN7rocprim17ROCPRIM_400000_NS6detail17trampoline_kernelINS0_14default_configENS1_25partition_config_selectorILNS1_17partition_subalgoE0EyNS0_10empty_typeEbEEZZNS1_14partition_implILS5_0ELb0ES3_jN6thrust23THRUST_200600_302600_NS6detail15normal_iteratorINSA_10device_ptrIyEEEEPS6_SG_NS0_5tupleIJNSA_16discard_iteratorINSA_11use_defaultEEESK_EEENSH_IJSG_SG_EEES6_PlJ7is_evenIyEEEE10hipError_tPvRmT3_T4_T5_T6_T7_T9_mT8_P12ihipStream_tbDpT10_ENKUlT_T0_E_clISt17integral_constantIbLb0EES19_EEDaS14_S15_EUlS14_E_NS1_11comp_targetILNS1_3genE4ELNS1_11target_archE910ELNS1_3gpuE8ELNS1_3repE0EEENS1_30default_config_static_selectorELNS0_4arch9wavefront6targetE1EEEvT1_
; %bb.0:
	.section	.rodata,"a",@progbits
	.p2align	6, 0x0
	.amdhsa_kernel _ZN7rocprim17ROCPRIM_400000_NS6detail17trampoline_kernelINS0_14default_configENS1_25partition_config_selectorILNS1_17partition_subalgoE0EyNS0_10empty_typeEbEEZZNS1_14partition_implILS5_0ELb0ES3_jN6thrust23THRUST_200600_302600_NS6detail15normal_iteratorINSA_10device_ptrIyEEEEPS6_SG_NS0_5tupleIJNSA_16discard_iteratorINSA_11use_defaultEEESK_EEENSH_IJSG_SG_EEES6_PlJ7is_evenIyEEEE10hipError_tPvRmT3_T4_T5_T6_T7_T9_mT8_P12ihipStream_tbDpT10_ENKUlT_T0_E_clISt17integral_constantIbLb0EES19_EEDaS14_S15_EUlS14_E_NS1_11comp_targetILNS1_3genE4ELNS1_11target_archE910ELNS1_3gpuE8ELNS1_3repE0EEENS1_30default_config_static_selectorELNS0_4arch9wavefront6targetE1EEEvT1_
		.amdhsa_group_segment_fixed_size 0
		.amdhsa_private_segment_fixed_size 0
		.amdhsa_kernarg_size 136
		.amdhsa_user_sgpr_count 2
		.amdhsa_user_sgpr_dispatch_ptr 0
		.amdhsa_user_sgpr_queue_ptr 0
		.amdhsa_user_sgpr_kernarg_segment_ptr 1
		.amdhsa_user_sgpr_dispatch_id 0
		.amdhsa_user_sgpr_kernarg_preload_length 0
		.amdhsa_user_sgpr_kernarg_preload_offset 0
		.amdhsa_user_sgpr_private_segment_size 0
		.amdhsa_uses_dynamic_stack 0
		.amdhsa_enable_private_segment 0
		.amdhsa_system_sgpr_workgroup_id_x 1
		.amdhsa_system_sgpr_workgroup_id_y 0
		.amdhsa_system_sgpr_workgroup_id_z 0
		.amdhsa_system_sgpr_workgroup_info 0
		.amdhsa_system_vgpr_workitem_id 0
		.amdhsa_next_free_vgpr 1
		.amdhsa_next_free_sgpr 0
		.amdhsa_accum_offset 4
		.amdhsa_reserve_vcc 0
		.amdhsa_float_round_mode_32 0
		.amdhsa_float_round_mode_16_64 0
		.amdhsa_float_denorm_mode_32 3
		.amdhsa_float_denorm_mode_16_64 3
		.amdhsa_dx10_clamp 1
		.amdhsa_ieee_mode 1
		.amdhsa_fp16_overflow 0
		.amdhsa_tg_split 0
		.amdhsa_exception_fp_ieee_invalid_op 0
		.amdhsa_exception_fp_denorm_src 0
		.amdhsa_exception_fp_ieee_div_zero 0
		.amdhsa_exception_fp_ieee_overflow 0
		.amdhsa_exception_fp_ieee_underflow 0
		.amdhsa_exception_fp_ieee_inexact 0
		.amdhsa_exception_int_div_zero 0
	.end_amdhsa_kernel
	.section	.text._ZN7rocprim17ROCPRIM_400000_NS6detail17trampoline_kernelINS0_14default_configENS1_25partition_config_selectorILNS1_17partition_subalgoE0EyNS0_10empty_typeEbEEZZNS1_14partition_implILS5_0ELb0ES3_jN6thrust23THRUST_200600_302600_NS6detail15normal_iteratorINSA_10device_ptrIyEEEEPS6_SG_NS0_5tupleIJNSA_16discard_iteratorINSA_11use_defaultEEESK_EEENSH_IJSG_SG_EEES6_PlJ7is_evenIyEEEE10hipError_tPvRmT3_T4_T5_T6_T7_T9_mT8_P12ihipStream_tbDpT10_ENKUlT_T0_E_clISt17integral_constantIbLb0EES19_EEDaS14_S15_EUlS14_E_NS1_11comp_targetILNS1_3genE4ELNS1_11target_archE910ELNS1_3gpuE8ELNS1_3repE0EEENS1_30default_config_static_selectorELNS0_4arch9wavefront6targetE1EEEvT1_,"axG",@progbits,_ZN7rocprim17ROCPRIM_400000_NS6detail17trampoline_kernelINS0_14default_configENS1_25partition_config_selectorILNS1_17partition_subalgoE0EyNS0_10empty_typeEbEEZZNS1_14partition_implILS5_0ELb0ES3_jN6thrust23THRUST_200600_302600_NS6detail15normal_iteratorINSA_10device_ptrIyEEEEPS6_SG_NS0_5tupleIJNSA_16discard_iteratorINSA_11use_defaultEEESK_EEENSH_IJSG_SG_EEES6_PlJ7is_evenIyEEEE10hipError_tPvRmT3_T4_T5_T6_T7_T9_mT8_P12ihipStream_tbDpT10_ENKUlT_T0_E_clISt17integral_constantIbLb0EES19_EEDaS14_S15_EUlS14_E_NS1_11comp_targetILNS1_3genE4ELNS1_11target_archE910ELNS1_3gpuE8ELNS1_3repE0EEENS1_30default_config_static_selectorELNS0_4arch9wavefront6targetE1EEEvT1_,comdat
.Lfunc_end2301:
	.size	_ZN7rocprim17ROCPRIM_400000_NS6detail17trampoline_kernelINS0_14default_configENS1_25partition_config_selectorILNS1_17partition_subalgoE0EyNS0_10empty_typeEbEEZZNS1_14partition_implILS5_0ELb0ES3_jN6thrust23THRUST_200600_302600_NS6detail15normal_iteratorINSA_10device_ptrIyEEEEPS6_SG_NS0_5tupleIJNSA_16discard_iteratorINSA_11use_defaultEEESK_EEENSH_IJSG_SG_EEES6_PlJ7is_evenIyEEEE10hipError_tPvRmT3_T4_T5_T6_T7_T9_mT8_P12ihipStream_tbDpT10_ENKUlT_T0_E_clISt17integral_constantIbLb0EES19_EEDaS14_S15_EUlS14_E_NS1_11comp_targetILNS1_3genE4ELNS1_11target_archE910ELNS1_3gpuE8ELNS1_3repE0EEENS1_30default_config_static_selectorELNS0_4arch9wavefront6targetE1EEEvT1_, .Lfunc_end2301-_ZN7rocprim17ROCPRIM_400000_NS6detail17trampoline_kernelINS0_14default_configENS1_25partition_config_selectorILNS1_17partition_subalgoE0EyNS0_10empty_typeEbEEZZNS1_14partition_implILS5_0ELb0ES3_jN6thrust23THRUST_200600_302600_NS6detail15normal_iteratorINSA_10device_ptrIyEEEEPS6_SG_NS0_5tupleIJNSA_16discard_iteratorINSA_11use_defaultEEESK_EEENSH_IJSG_SG_EEES6_PlJ7is_evenIyEEEE10hipError_tPvRmT3_T4_T5_T6_T7_T9_mT8_P12ihipStream_tbDpT10_ENKUlT_T0_E_clISt17integral_constantIbLb0EES19_EEDaS14_S15_EUlS14_E_NS1_11comp_targetILNS1_3genE4ELNS1_11target_archE910ELNS1_3gpuE8ELNS1_3repE0EEENS1_30default_config_static_selectorELNS0_4arch9wavefront6targetE1EEEvT1_
                                        ; -- End function
	.section	.AMDGPU.csdata,"",@progbits
; Kernel info:
; codeLenInByte = 0
; NumSgprs: 6
; NumVgprs: 0
; NumAgprs: 0
; TotalNumVgprs: 0
; ScratchSize: 0
; MemoryBound: 0
; FloatMode: 240
; IeeeMode: 1
; LDSByteSize: 0 bytes/workgroup (compile time only)
; SGPRBlocks: 0
; VGPRBlocks: 0
; NumSGPRsForWavesPerEU: 6
; NumVGPRsForWavesPerEU: 1
; AccumOffset: 4
; Occupancy: 8
; WaveLimiterHint : 0
; COMPUTE_PGM_RSRC2:SCRATCH_EN: 0
; COMPUTE_PGM_RSRC2:USER_SGPR: 2
; COMPUTE_PGM_RSRC2:TRAP_HANDLER: 0
; COMPUTE_PGM_RSRC2:TGID_X_EN: 1
; COMPUTE_PGM_RSRC2:TGID_Y_EN: 0
; COMPUTE_PGM_RSRC2:TGID_Z_EN: 0
; COMPUTE_PGM_RSRC2:TIDIG_COMP_CNT: 0
; COMPUTE_PGM_RSRC3_GFX90A:ACCUM_OFFSET: 0
; COMPUTE_PGM_RSRC3_GFX90A:TG_SPLIT: 0
	.section	.text._ZN7rocprim17ROCPRIM_400000_NS6detail17trampoline_kernelINS0_14default_configENS1_25partition_config_selectorILNS1_17partition_subalgoE0EyNS0_10empty_typeEbEEZZNS1_14partition_implILS5_0ELb0ES3_jN6thrust23THRUST_200600_302600_NS6detail15normal_iteratorINSA_10device_ptrIyEEEEPS6_SG_NS0_5tupleIJNSA_16discard_iteratorINSA_11use_defaultEEESK_EEENSH_IJSG_SG_EEES6_PlJ7is_evenIyEEEE10hipError_tPvRmT3_T4_T5_T6_T7_T9_mT8_P12ihipStream_tbDpT10_ENKUlT_T0_E_clISt17integral_constantIbLb0EES19_EEDaS14_S15_EUlS14_E_NS1_11comp_targetILNS1_3genE3ELNS1_11target_archE908ELNS1_3gpuE7ELNS1_3repE0EEENS1_30default_config_static_selectorELNS0_4arch9wavefront6targetE1EEEvT1_,"axG",@progbits,_ZN7rocprim17ROCPRIM_400000_NS6detail17trampoline_kernelINS0_14default_configENS1_25partition_config_selectorILNS1_17partition_subalgoE0EyNS0_10empty_typeEbEEZZNS1_14partition_implILS5_0ELb0ES3_jN6thrust23THRUST_200600_302600_NS6detail15normal_iteratorINSA_10device_ptrIyEEEEPS6_SG_NS0_5tupleIJNSA_16discard_iteratorINSA_11use_defaultEEESK_EEENSH_IJSG_SG_EEES6_PlJ7is_evenIyEEEE10hipError_tPvRmT3_T4_T5_T6_T7_T9_mT8_P12ihipStream_tbDpT10_ENKUlT_T0_E_clISt17integral_constantIbLb0EES19_EEDaS14_S15_EUlS14_E_NS1_11comp_targetILNS1_3genE3ELNS1_11target_archE908ELNS1_3gpuE7ELNS1_3repE0EEENS1_30default_config_static_selectorELNS0_4arch9wavefront6targetE1EEEvT1_,comdat
	.protected	_ZN7rocprim17ROCPRIM_400000_NS6detail17trampoline_kernelINS0_14default_configENS1_25partition_config_selectorILNS1_17partition_subalgoE0EyNS0_10empty_typeEbEEZZNS1_14partition_implILS5_0ELb0ES3_jN6thrust23THRUST_200600_302600_NS6detail15normal_iteratorINSA_10device_ptrIyEEEEPS6_SG_NS0_5tupleIJNSA_16discard_iteratorINSA_11use_defaultEEESK_EEENSH_IJSG_SG_EEES6_PlJ7is_evenIyEEEE10hipError_tPvRmT3_T4_T5_T6_T7_T9_mT8_P12ihipStream_tbDpT10_ENKUlT_T0_E_clISt17integral_constantIbLb0EES19_EEDaS14_S15_EUlS14_E_NS1_11comp_targetILNS1_3genE3ELNS1_11target_archE908ELNS1_3gpuE7ELNS1_3repE0EEENS1_30default_config_static_selectorELNS0_4arch9wavefront6targetE1EEEvT1_ ; -- Begin function _ZN7rocprim17ROCPRIM_400000_NS6detail17trampoline_kernelINS0_14default_configENS1_25partition_config_selectorILNS1_17partition_subalgoE0EyNS0_10empty_typeEbEEZZNS1_14partition_implILS5_0ELb0ES3_jN6thrust23THRUST_200600_302600_NS6detail15normal_iteratorINSA_10device_ptrIyEEEEPS6_SG_NS0_5tupleIJNSA_16discard_iteratorINSA_11use_defaultEEESK_EEENSH_IJSG_SG_EEES6_PlJ7is_evenIyEEEE10hipError_tPvRmT3_T4_T5_T6_T7_T9_mT8_P12ihipStream_tbDpT10_ENKUlT_T0_E_clISt17integral_constantIbLb0EES19_EEDaS14_S15_EUlS14_E_NS1_11comp_targetILNS1_3genE3ELNS1_11target_archE908ELNS1_3gpuE7ELNS1_3repE0EEENS1_30default_config_static_selectorELNS0_4arch9wavefront6targetE1EEEvT1_
	.globl	_ZN7rocprim17ROCPRIM_400000_NS6detail17trampoline_kernelINS0_14default_configENS1_25partition_config_selectorILNS1_17partition_subalgoE0EyNS0_10empty_typeEbEEZZNS1_14partition_implILS5_0ELb0ES3_jN6thrust23THRUST_200600_302600_NS6detail15normal_iteratorINSA_10device_ptrIyEEEEPS6_SG_NS0_5tupleIJNSA_16discard_iteratorINSA_11use_defaultEEESK_EEENSH_IJSG_SG_EEES6_PlJ7is_evenIyEEEE10hipError_tPvRmT3_T4_T5_T6_T7_T9_mT8_P12ihipStream_tbDpT10_ENKUlT_T0_E_clISt17integral_constantIbLb0EES19_EEDaS14_S15_EUlS14_E_NS1_11comp_targetILNS1_3genE3ELNS1_11target_archE908ELNS1_3gpuE7ELNS1_3repE0EEENS1_30default_config_static_selectorELNS0_4arch9wavefront6targetE1EEEvT1_
	.p2align	8
	.type	_ZN7rocprim17ROCPRIM_400000_NS6detail17trampoline_kernelINS0_14default_configENS1_25partition_config_selectorILNS1_17partition_subalgoE0EyNS0_10empty_typeEbEEZZNS1_14partition_implILS5_0ELb0ES3_jN6thrust23THRUST_200600_302600_NS6detail15normal_iteratorINSA_10device_ptrIyEEEEPS6_SG_NS0_5tupleIJNSA_16discard_iteratorINSA_11use_defaultEEESK_EEENSH_IJSG_SG_EEES6_PlJ7is_evenIyEEEE10hipError_tPvRmT3_T4_T5_T6_T7_T9_mT8_P12ihipStream_tbDpT10_ENKUlT_T0_E_clISt17integral_constantIbLb0EES19_EEDaS14_S15_EUlS14_E_NS1_11comp_targetILNS1_3genE3ELNS1_11target_archE908ELNS1_3gpuE7ELNS1_3repE0EEENS1_30default_config_static_selectorELNS0_4arch9wavefront6targetE1EEEvT1_,@function
_ZN7rocprim17ROCPRIM_400000_NS6detail17trampoline_kernelINS0_14default_configENS1_25partition_config_selectorILNS1_17partition_subalgoE0EyNS0_10empty_typeEbEEZZNS1_14partition_implILS5_0ELb0ES3_jN6thrust23THRUST_200600_302600_NS6detail15normal_iteratorINSA_10device_ptrIyEEEEPS6_SG_NS0_5tupleIJNSA_16discard_iteratorINSA_11use_defaultEEESK_EEENSH_IJSG_SG_EEES6_PlJ7is_evenIyEEEE10hipError_tPvRmT3_T4_T5_T6_T7_T9_mT8_P12ihipStream_tbDpT10_ENKUlT_T0_E_clISt17integral_constantIbLb0EES19_EEDaS14_S15_EUlS14_E_NS1_11comp_targetILNS1_3genE3ELNS1_11target_archE908ELNS1_3gpuE7ELNS1_3repE0EEENS1_30default_config_static_selectorELNS0_4arch9wavefront6targetE1EEEvT1_: ; @_ZN7rocprim17ROCPRIM_400000_NS6detail17trampoline_kernelINS0_14default_configENS1_25partition_config_selectorILNS1_17partition_subalgoE0EyNS0_10empty_typeEbEEZZNS1_14partition_implILS5_0ELb0ES3_jN6thrust23THRUST_200600_302600_NS6detail15normal_iteratorINSA_10device_ptrIyEEEEPS6_SG_NS0_5tupleIJNSA_16discard_iteratorINSA_11use_defaultEEESK_EEENSH_IJSG_SG_EEES6_PlJ7is_evenIyEEEE10hipError_tPvRmT3_T4_T5_T6_T7_T9_mT8_P12ihipStream_tbDpT10_ENKUlT_T0_E_clISt17integral_constantIbLb0EES19_EEDaS14_S15_EUlS14_E_NS1_11comp_targetILNS1_3genE3ELNS1_11target_archE908ELNS1_3gpuE7ELNS1_3repE0EEENS1_30default_config_static_selectorELNS0_4arch9wavefront6targetE1EEEvT1_
; %bb.0:
	.section	.rodata,"a",@progbits
	.p2align	6, 0x0
	.amdhsa_kernel _ZN7rocprim17ROCPRIM_400000_NS6detail17trampoline_kernelINS0_14default_configENS1_25partition_config_selectorILNS1_17partition_subalgoE0EyNS0_10empty_typeEbEEZZNS1_14partition_implILS5_0ELb0ES3_jN6thrust23THRUST_200600_302600_NS6detail15normal_iteratorINSA_10device_ptrIyEEEEPS6_SG_NS0_5tupleIJNSA_16discard_iteratorINSA_11use_defaultEEESK_EEENSH_IJSG_SG_EEES6_PlJ7is_evenIyEEEE10hipError_tPvRmT3_T4_T5_T6_T7_T9_mT8_P12ihipStream_tbDpT10_ENKUlT_T0_E_clISt17integral_constantIbLb0EES19_EEDaS14_S15_EUlS14_E_NS1_11comp_targetILNS1_3genE3ELNS1_11target_archE908ELNS1_3gpuE7ELNS1_3repE0EEENS1_30default_config_static_selectorELNS0_4arch9wavefront6targetE1EEEvT1_
		.amdhsa_group_segment_fixed_size 0
		.amdhsa_private_segment_fixed_size 0
		.amdhsa_kernarg_size 136
		.amdhsa_user_sgpr_count 2
		.amdhsa_user_sgpr_dispatch_ptr 0
		.amdhsa_user_sgpr_queue_ptr 0
		.amdhsa_user_sgpr_kernarg_segment_ptr 1
		.amdhsa_user_sgpr_dispatch_id 0
		.amdhsa_user_sgpr_kernarg_preload_length 0
		.amdhsa_user_sgpr_kernarg_preload_offset 0
		.amdhsa_user_sgpr_private_segment_size 0
		.amdhsa_uses_dynamic_stack 0
		.amdhsa_enable_private_segment 0
		.amdhsa_system_sgpr_workgroup_id_x 1
		.amdhsa_system_sgpr_workgroup_id_y 0
		.amdhsa_system_sgpr_workgroup_id_z 0
		.amdhsa_system_sgpr_workgroup_info 0
		.amdhsa_system_vgpr_workitem_id 0
		.amdhsa_next_free_vgpr 1
		.amdhsa_next_free_sgpr 0
		.amdhsa_accum_offset 4
		.amdhsa_reserve_vcc 0
		.amdhsa_float_round_mode_32 0
		.amdhsa_float_round_mode_16_64 0
		.amdhsa_float_denorm_mode_32 3
		.amdhsa_float_denorm_mode_16_64 3
		.amdhsa_dx10_clamp 1
		.amdhsa_ieee_mode 1
		.amdhsa_fp16_overflow 0
		.amdhsa_tg_split 0
		.amdhsa_exception_fp_ieee_invalid_op 0
		.amdhsa_exception_fp_denorm_src 0
		.amdhsa_exception_fp_ieee_div_zero 0
		.amdhsa_exception_fp_ieee_overflow 0
		.amdhsa_exception_fp_ieee_underflow 0
		.amdhsa_exception_fp_ieee_inexact 0
		.amdhsa_exception_int_div_zero 0
	.end_amdhsa_kernel
	.section	.text._ZN7rocprim17ROCPRIM_400000_NS6detail17trampoline_kernelINS0_14default_configENS1_25partition_config_selectorILNS1_17partition_subalgoE0EyNS0_10empty_typeEbEEZZNS1_14partition_implILS5_0ELb0ES3_jN6thrust23THRUST_200600_302600_NS6detail15normal_iteratorINSA_10device_ptrIyEEEEPS6_SG_NS0_5tupleIJNSA_16discard_iteratorINSA_11use_defaultEEESK_EEENSH_IJSG_SG_EEES6_PlJ7is_evenIyEEEE10hipError_tPvRmT3_T4_T5_T6_T7_T9_mT8_P12ihipStream_tbDpT10_ENKUlT_T0_E_clISt17integral_constantIbLb0EES19_EEDaS14_S15_EUlS14_E_NS1_11comp_targetILNS1_3genE3ELNS1_11target_archE908ELNS1_3gpuE7ELNS1_3repE0EEENS1_30default_config_static_selectorELNS0_4arch9wavefront6targetE1EEEvT1_,"axG",@progbits,_ZN7rocprim17ROCPRIM_400000_NS6detail17trampoline_kernelINS0_14default_configENS1_25partition_config_selectorILNS1_17partition_subalgoE0EyNS0_10empty_typeEbEEZZNS1_14partition_implILS5_0ELb0ES3_jN6thrust23THRUST_200600_302600_NS6detail15normal_iteratorINSA_10device_ptrIyEEEEPS6_SG_NS0_5tupleIJNSA_16discard_iteratorINSA_11use_defaultEEESK_EEENSH_IJSG_SG_EEES6_PlJ7is_evenIyEEEE10hipError_tPvRmT3_T4_T5_T6_T7_T9_mT8_P12ihipStream_tbDpT10_ENKUlT_T0_E_clISt17integral_constantIbLb0EES19_EEDaS14_S15_EUlS14_E_NS1_11comp_targetILNS1_3genE3ELNS1_11target_archE908ELNS1_3gpuE7ELNS1_3repE0EEENS1_30default_config_static_selectorELNS0_4arch9wavefront6targetE1EEEvT1_,comdat
.Lfunc_end2302:
	.size	_ZN7rocprim17ROCPRIM_400000_NS6detail17trampoline_kernelINS0_14default_configENS1_25partition_config_selectorILNS1_17partition_subalgoE0EyNS0_10empty_typeEbEEZZNS1_14partition_implILS5_0ELb0ES3_jN6thrust23THRUST_200600_302600_NS6detail15normal_iteratorINSA_10device_ptrIyEEEEPS6_SG_NS0_5tupleIJNSA_16discard_iteratorINSA_11use_defaultEEESK_EEENSH_IJSG_SG_EEES6_PlJ7is_evenIyEEEE10hipError_tPvRmT3_T4_T5_T6_T7_T9_mT8_P12ihipStream_tbDpT10_ENKUlT_T0_E_clISt17integral_constantIbLb0EES19_EEDaS14_S15_EUlS14_E_NS1_11comp_targetILNS1_3genE3ELNS1_11target_archE908ELNS1_3gpuE7ELNS1_3repE0EEENS1_30default_config_static_selectorELNS0_4arch9wavefront6targetE1EEEvT1_, .Lfunc_end2302-_ZN7rocprim17ROCPRIM_400000_NS6detail17trampoline_kernelINS0_14default_configENS1_25partition_config_selectorILNS1_17partition_subalgoE0EyNS0_10empty_typeEbEEZZNS1_14partition_implILS5_0ELb0ES3_jN6thrust23THRUST_200600_302600_NS6detail15normal_iteratorINSA_10device_ptrIyEEEEPS6_SG_NS0_5tupleIJNSA_16discard_iteratorINSA_11use_defaultEEESK_EEENSH_IJSG_SG_EEES6_PlJ7is_evenIyEEEE10hipError_tPvRmT3_T4_T5_T6_T7_T9_mT8_P12ihipStream_tbDpT10_ENKUlT_T0_E_clISt17integral_constantIbLb0EES19_EEDaS14_S15_EUlS14_E_NS1_11comp_targetILNS1_3genE3ELNS1_11target_archE908ELNS1_3gpuE7ELNS1_3repE0EEENS1_30default_config_static_selectorELNS0_4arch9wavefront6targetE1EEEvT1_
                                        ; -- End function
	.section	.AMDGPU.csdata,"",@progbits
; Kernel info:
; codeLenInByte = 0
; NumSgprs: 6
; NumVgprs: 0
; NumAgprs: 0
; TotalNumVgprs: 0
; ScratchSize: 0
; MemoryBound: 0
; FloatMode: 240
; IeeeMode: 1
; LDSByteSize: 0 bytes/workgroup (compile time only)
; SGPRBlocks: 0
; VGPRBlocks: 0
; NumSGPRsForWavesPerEU: 6
; NumVGPRsForWavesPerEU: 1
; AccumOffset: 4
; Occupancy: 8
; WaveLimiterHint : 0
; COMPUTE_PGM_RSRC2:SCRATCH_EN: 0
; COMPUTE_PGM_RSRC2:USER_SGPR: 2
; COMPUTE_PGM_RSRC2:TRAP_HANDLER: 0
; COMPUTE_PGM_RSRC2:TGID_X_EN: 1
; COMPUTE_PGM_RSRC2:TGID_Y_EN: 0
; COMPUTE_PGM_RSRC2:TGID_Z_EN: 0
; COMPUTE_PGM_RSRC2:TIDIG_COMP_CNT: 0
; COMPUTE_PGM_RSRC3_GFX90A:ACCUM_OFFSET: 0
; COMPUTE_PGM_RSRC3_GFX90A:TG_SPLIT: 0
	.section	.text._ZN7rocprim17ROCPRIM_400000_NS6detail17trampoline_kernelINS0_14default_configENS1_25partition_config_selectorILNS1_17partition_subalgoE0EyNS0_10empty_typeEbEEZZNS1_14partition_implILS5_0ELb0ES3_jN6thrust23THRUST_200600_302600_NS6detail15normal_iteratorINSA_10device_ptrIyEEEEPS6_SG_NS0_5tupleIJNSA_16discard_iteratorINSA_11use_defaultEEESK_EEENSH_IJSG_SG_EEES6_PlJ7is_evenIyEEEE10hipError_tPvRmT3_T4_T5_T6_T7_T9_mT8_P12ihipStream_tbDpT10_ENKUlT_T0_E_clISt17integral_constantIbLb0EES19_EEDaS14_S15_EUlS14_E_NS1_11comp_targetILNS1_3genE2ELNS1_11target_archE906ELNS1_3gpuE6ELNS1_3repE0EEENS1_30default_config_static_selectorELNS0_4arch9wavefront6targetE1EEEvT1_,"axG",@progbits,_ZN7rocprim17ROCPRIM_400000_NS6detail17trampoline_kernelINS0_14default_configENS1_25partition_config_selectorILNS1_17partition_subalgoE0EyNS0_10empty_typeEbEEZZNS1_14partition_implILS5_0ELb0ES3_jN6thrust23THRUST_200600_302600_NS6detail15normal_iteratorINSA_10device_ptrIyEEEEPS6_SG_NS0_5tupleIJNSA_16discard_iteratorINSA_11use_defaultEEESK_EEENSH_IJSG_SG_EEES6_PlJ7is_evenIyEEEE10hipError_tPvRmT3_T4_T5_T6_T7_T9_mT8_P12ihipStream_tbDpT10_ENKUlT_T0_E_clISt17integral_constantIbLb0EES19_EEDaS14_S15_EUlS14_E_NS1_11comp_targetILNS1_3genE2ELNS1_11target_archE906ELNS1_3gpuE6ELNS1_3repE0EEENS1_30default_config_static_selectorELNS0_4arch9wavefront6targetE1EEEvT1_,comdat
	.protected	_ZN7rocprim17ROCPRIM_400000_NS6detail17trampoline_kernelINS0_14default_configENS1_25partition_config_selectorILNS1_17partition_subalgoE0EyNS0_10empty_typeEbEEZZNS1_14partition_implILS5_0ELb0ES3_jN6thrust23THRUST_200600_302600_NS6detail15normal_iteratorINSA_10device_ptrIyEEEEPS6_SG_NS0_5tupleIJNSA_16discard_iteratorINSA_11use_defaultEEESK_EEENSH_IJSG_SG_EEES6_PlJ7is_evenIyEEEE10hipError_tPvRmT3_T4_T5_T6_T7_T9_mT8_P12ihipStream_tbDpT10_ENKUlT_T0_E_clISt17integral_constantIbLb0EES19_EEDaS14_S15_EUlS14_E_NS1_11comp_targetILNS1_3genE2ELNS1_11target_archE906ELNS1_3gpuE6ELNS1_3repE0EEENS1_30default_config_static_selectorELNS0_4arch9wavefront6targetE1EEEvT1_ ; -- Begin function _ZN7rocprim17ROCPRIM_400000_NS6detail17trampoline_kernelINS0_14default_configENS1_25partition_config_selectorILNS1_17partition_subalgoE0EyNS0_10empty_typeEbEEZZNS1_14partition_implILS5_0ELb0ES3_jN6thrust23THRUST_200600_302600_NS6detail15normal_iteratorINSA_10device_ptrIyEEEEPS6_SG_NS0_5tupleIJNSA_16discard_iteratorINSA_11use_defaultEEESK_EEENSH_IJSG_SG_EEES6_PlJ7is_evenIyEEEE10hipError_tPvRmT3_T4_T5_T6_T7_T9_mT8_P12ihipStream_tbDpT10_ENKUlT_T0_E_clISt17integral_constantIbLb0EES19_EEDaS14_S15_EUlS14_E_NS1_11comp_targetILNS1_3genE2ELNS1_11target_archE906ELNS1_3gpuE6ELNS1_3repE0EEENS1_30default_config_static_selectorELNS0_4arch9wavefront6targetE1EEEvT1_
	.globl	_ZN7rocprim17ROCPRIM_400000_NS6detail17trampoline_kernelINS0_14default_configENS1_25partition_config_selectorILNS1_17partition_subalgoE0EyNS0_10empty_typeEbEEZZNS1_14partition_implILS5_0ELb0ES3_jN6thrust23THRUST_200600_302600_NS6detail15normal_iteratorINSA_10device_ptrIyEEEEPS6_SG_NS0_5tupleIJNSA_16discard_iteratorINSA_11use_defaultEEESK_EEENSH_IJSG_SG_EEES6_PlJ7is_evenIyEEEE10hipError_tPvRmT3_T4_T5_T6_T7_T9_mT8_P12ihipStream_tbDpT10_ENKUlT_T0_E_clISt17integral_constantIbLb0EES19_EEDaS14_S15_EUlS14_E_NS1_11comp_targetILNS1_3genE2ELNS1_11target_archE906ELNS1_3gpuE6ELNS1_3repE0EEENS1_30default_config_static_selectorELNS0_4arch9wavefront6targetE1EEEvT1_
	.p2align	8
	.type	_ZN7rocprim17ROCPRIM_400000_NS6detail17trampoline_kernelINS0_14default_configENS1_25partition_config_selectorILNS1_17partition_subalgoE0EyNS0_10empty_typeEbEEZZNS1_14partition_implILS5_0ELb0ES3_jN6thrust23THRUST_200600_302600_NS6detail15normal_iteratorINSA_10device_ptrIyEEEEPS6_SG_NS0_5tupleIJNSA_16discard_iteratorINSA_11use_defaultEEESK_EEENSH_IJSG_SG_EEES6_PlJ7is_evenIyEEEE10hipError_tPvRmT3_T4_T5_T6_T7_T9_mT8_P12ihipStream_tbDpT10_ENKUlT_T0_E_clISt17integral_constantIbLb0EES19_EEDaS14_S15_EUlS14_E_NS1_11comp_targetILNS1_3genE2ELNS1_11target_archE906ELNS1_3gpuE6ELNS1_3repE0EEENS1_30default_config_static_selectorELNS0_4arch9wavefront6targetE1EEEvT1_,@function
_ZN7rocprim17ROCPRIM_400000_NS6detail17trampoline_kernelINS0_14default_configENS1_25partition_config_selectorILNS1_17partition_subalgoE0EyNS0_10empty_typeEbEEZZNS1_14partition_implILS5_0ELb0ES3_jN6thrust23THRUST_200600_302600_NS6detail15normal_iteratorINSA_10device_ptrIyEEEEPS6_SG_NS0_5tupleIJNSA_16discard_iteratorINSA_11use_defaultEEESK_EEENSH_IJSG_SG_EEES6_PlJ7is_evenIyEEEE10hipError_tPvRmT3_T4_T5_T6_T7_T9_mT8_P12ihipStream_tbDpT10_ENKUlT_T0_E_clISt17integral_constantIbLb0EES19_EEDaS14_S15_EUlS14_E_NS1_11comp_targetILNS1_3genE2ELNS1_11target_archE906ELNS1_3gpuE6ELNS1_3repE0EEENS1_30default_config_static_selectorELNS0_4arch9wavefront6targetE1EEEvT1_: ; @_ZN7rocprim17ROCPRIM_400000_NS6detail17trampoline_kernelINS0_14default_configENS1_25partition_config_selectorILNS1_17partition_subalgoE0EyNS0_10empty_typeEbEEZZNS1_14partition_implILS5_0ELb0ES3_jN6thrust23THRUST_200600_302600_NS6detail15normal_iteratorINSA_10device_ptrIyEEEEPS6_SG_NS0_5tupleIJNSA_16discard_iteratorINSA_11use_defaultEEESK_EEENSH_IJSG_SG_EEES6_PlJ7is_evenIyEEEE10hipError_tPvRmT3_T4_T5_T6_T7_T9_mT8_P12ihipStream_tbDpT10_ENKUlT_T0_E_clISt17integral_constantIbLb0EES19_EEDaS14_S15_EUlS14_E_NS1_11comp_targetILNS1_3genE2ELNS1_11target_archE906ELNS1_3gpuE6ELNS1_3repE0EEENS1_30default_config_static_selectorELNS0_4arch9wavefront6targetE1EEEvT1_
; %bb.0:
	.section	.rodata,"a",@progbits
	.p2align	6, 0x0
	.amdhsa_kernel _ZN7rocprim17ROCPRIM_400000_NS6detail17trampoline_kernelINS0_14default_configENS1_25partition_config_selectorILNS1_17partition_subalgoE0EyNS0_10empty_typeEbEEZZNS1_14partition_implILS5_0ELb0ES3_jN6thrust23THRUST_200600_302600_NS6detail15normal_iteratorINSA_10device_ptrIyEEEEPS6_SG_NS0_5tupleIJNSA_16discard_iteratorINSA_11use_defaultEEESK_EEENSH_IJSG_SG_EEES6_PlJ7is_evenIyEEEE10hipError_tPvRmT3_T4_T5_T6_T7_T9_mT8_P12ihipStream_tbDpT10_ENKUlT_T0_E_clISt17integral_constantIbLb0EES19_EEDaS14_S15_EUlS14_E_NS1_11comp_targetILNS1_3genE2ELNS1_11target_archE906ELNS1_3gpuE6ELNS1_3repE0EEENS1_30default_config_static_selectorELNS0_4arch9wavefront6targetE1EEEvT1_
		.amdhsa_group_segment_fixed_size 0
		.amdhsa_private_segment_fixed_size 0
		.amdhsa_kernarg_size 136
		.amdhsa_user_sgpr_count 2
		.amdhsa_user_sgpr_dispatch_ptr 0
		.amdhsa_user_sgpr_queue_ptr 0
		.amdhsa_user_sgpr_kernarg_segment_ptr 1
		.amdhsa_user_sgpr_dispatch_id 0
		.amdhsa_user_sgpr_kernarg_preload_length 0
		.amdhsa_user_sgpr_kernarg_preload_offset 0
		.amdhsa_user_sgpr_private_segment_size 0
		.amdhsa_uses_dynamic_stack 0
		.amdhsa_enable_private_segment 0
		.amdhsa_system_sgpr_workgroup_id_x 1
		.amdhsa_system_sgpr_workgroup_id_y 0
		.amdhsa_system_sgpr_workgroup_id_z 0
		.amdhsa_system_sgpr_workgroup_info 0
		.amdhsa_system_vgpr_workitem_id 0
		.amdhsa_next_free_vgpr 1
		.amdhsa_next_free_sgpr 0
		.amdhsa_accum_offset 4
		.amdhsa_reserve_vcc 0
		.amdhsa_float_round_mode_32 0
		.amdhsa_float_round_mode_16_64 0
		.amdhsa_float_denorm_mode_32 3
		.amdhsa_float_denorm_mode_16_64 3
		.amdhsa_dx10_clamp 1
		.amdhsa_ieee_mode 1
		.amdhsa_fp16_overflow 0
		.amdhsa_tg_split 0
		.amdhsa_exception_fp_ieee_invalid_op 0
		.amdhsa_exception_fp_denorm_src 0
		.amdhsa_exception_fp_ieee_div_zero 0
		.amdhsa_exception_fp_ieee_overflow 0
		.amdhsa_exception_fp_ieee_underflow 0
		.amdhsa_exception_fp_ieee_inexact 0
		.amdhsa_exception_int_div_zero 0
	.end_amdhsa_kernel
	.section	.text._ZN7rocprim17ROCPRIM_400000_NS6detail17trampoline_kernelINS0_14default_configENS1_25partition_config_selectorILNS1_17partition_subalgoE0EyNS0_10empty_typeEbEEZZNS1_14partition_implILS5_0ELb0ES3_jN6thrust23THRUST_200600_302600_NS6detail15normal_iteratorINSA_10device_ptrIyEEEEPS6_SG_NS0_5tupleIJNSA_16discard_iteratorINSA_11use_defaultEEESK_EEENSH_IJSG_SG_EEES6_PlJ7is_evenIyEEEE10hipError_tPvRmT3_T4_T5_T6_T7_T9_mT8_P12ihipStream_tbDpT10_ENKUlT_T0_E_clISt17integral_constantIbLb0EES19_EEDaS14_S15_EUlS14_E_NS1_11comp_targetILNS1_3genE2ELNS1_11target_archE906ELNS1_3gpuE6ELNS1_3repE0EEENS1_30default_config_static_selectorELNS0_4arch9wavefront6targetE1EEEvT1_,"axG",@progbits,_ZN7rocprim17ROCPRIM_400000_NS6detail17trampoline_kernelINS0_14default_configENS1_25partition_config_selectorILNS1_17partition_subalgoE0EyNS0_10empty_typeEbEEZZNS1_14partition_implILS5_0ELb0ES3_jN6thrust23THRUST_200600_302600_NS6detail15normal_iteratorINSA_10device_ptrIyEEEEPS6_SG_NS0_5tupleIJNSA_16discard_iteratorINSA_11use_defaultEEESK_EEENSH_IJSG_SG_EEES6_PlJ7is_evenIyEEEE10hipError_tPvRmT3_T4_T5_T6_T7_T9_mT8_P12ihipStream_tbDpT10_ENKUlT_T0_E_clISt17integral_constantIbLb0EES19_EEDaS14_S15_EUlS14_E_NS1_11comp_targetILNS1_3genE2ELNS1_11target_archE906ELNS1_3gpuE6ELNS1_3repE0EEENS1_30default_config_static_selectorELNS0_4arch9wavefront6targetE1EEEvT1_,comdat
.Lfunc_end2303:
	.size	_ZN7rocprim17ROCPRIM_400000_NS6detail17trampoline_kernelINS0_14default_configENS1_25partition_config_selectorILNS1_17partition_subalgoE0EyNS0_10empty_typeEbEEZZNS1_14partition_implILS5_0ELb0ES3_jN6thrust23THRUST_200600_302600_NS6detail15normal_iteratorINSA_10device_ptrIyEEEEPS6_SG_NS0_5tupleIJNSA_16discard_iteratorINSA_11use_defaultEEESK_EEENSH_IJSG_SG_EEES6_PlJ7is_evenIyEEEE10hipError_tPvRmT3_T4_T5_T6_T7_T9_mT8_P12ihipStream_tbDpT10_ENKUlT_T0_E_clISt17integral_constantIbLb0EES19_EEDaS14_S15_EUlS14_E_NS1_11comp_targetILNS1_3genE2ELNS1_11target_archE906ELNS1_3gpuE6ELNS1_3repE0EEENS1_30default_config_static_selectorELNS0_4arch9wavefront6targetE1EEEvT1_, .Lfunc_end2303-_ZN7rocprim17ROCPRIM_400000_NS6detail17trampoline_kernelINS0_14default_configENS1_25partition_config_selectorILNS1_17partition_subalgoE0EyNS0_10empty_typeEbEEZZNS1_14partition_implILS5_0ELb0ES3_jN6thrust23THRUST_200600_302600_NS6detail15normal_iteratorINSA_10device_ptrIyEEEEPS6_SG_NS0_5tupleIJNSA_16discard_iteratorINSA_11use_defaultEEESK_EEENSH_IJSG_SG_EEES6_PlJ7is_evenIyEEEE10hipError_tPvRmT3_T4_T5_T6_T7_T9_mT8_P12ihipStream_tbDpT10_ENKUlT_T0_E_clISt17integral_constantIbLb0EES19_EEDaS14_S15_EUlS14_E_NS1_11comp_targetILNS1_3genE2ELNS1_11target_archE906ELNS1_3gpuE6ELNS1_3repE0EEENS1_30default_config_static_selectorELNS0_4arch9wavefront6targetE1EEEvT1_
                                        ; -- End function
	.section	.AMDGPU.csdata,"",@progbits
; Kernel info:
; codeLenInByte = 0
; NumSgprs: 6
; NumVgprs: 0
; NumAgprs: 0
; TotalNumVgprs: 0
; ScratchSize: 0
; MemoryBound: 0
; FloatMode: 240
; IeeeMode: 1
; LDSByteSize: 0 bytes/workgroup (compile time only)
; SGPRBlocks: 0
; VGPRBlocks: 0
; NumSGPRsForWavesPerEU: 6
; NumVGPRsForWavesPerEU: 1
; AccumOffset: 4
; Occupancy: 8
; WaveLimiterHint : 0
; COMPUTE_PGM_RSRC2:SCRATCH_EN: 0
; COMPUTE_PGM_RSRC2:USER_SGPR: 2
; COMPUTE_PGM_RSRC2:TRAP_HANDLER: 0
; COMPUTE_PGM_RSRC2:TGID_X_EN: 1
; COMPUTE_PGM_RSRC2:TGID_Y_EN: 0
; COMPUTE_PGM_RSRC2:TGID_Z_EN: 0
; COMPUTE_PGM_RSRC2:TIDIG_COMP_CNT: 0
; COMPUTE_PGM_RSRC3_GFX90A:ACCUM_OFFSET: 0
; COMPUTE_PGM_RSRC3_GFX90A:TG_SPLIT: 0
	.section	.text._ZN7rocprim17ROCPRIM_400000_NS6detail17trampoline_kernelINS0_14default_configENS1_25partition_config_selectorILNS1_17partition_subalgoE0EyNS0_10empty_typeEbEEZZNS1_14partition_implILS5_0ELb0ES3_jN6thrust23THRUST_200600_302600_NS6detail15normal_iteratorINSA_10device_ptrIyEEEEPS6_SG_NS0_5tupleIJNSA_16discard_iteratorINSA_11use_defaultEEESK_EEENSH_IJSG_SG_EEES6_PlJ7is_evenIyEEEE10hipError_tPvRmT3_T4_T5_T6_T7_T9_mT8_P12ihipStream_tbDpT10_ENKUlT_T0_E_clISt17integral_constantIbLb0EES19_EEDaS14_S15_EUlS14_E_NS1_11comp_targetILNS1_3genE10ELNS1_11target_archE1200ELNS1_3gpuE4ELNS1_3repE0EEENS1_30default_config_static_selectorELNS0_4arch9wavefront6targetE1EEEvT1_,"axG",@progbits,_ZN7rocprim17ROCPRIM_400000_NS6detail17trampoline_kernelINS0_14default_configENS1_25partition_config_selectorILNS1_17partition_subalgoE0EyNS0_10empty_typeEbEEZZNS1_14partition_implILS5_0ELb0ES3_jN6thrust23THRUST_200600_302600_NS6detail15normal_iteratorINSA_10device_ptrIyEEEEPS6_SG_NS0_5tupleIJNSA_16discard_iteratorINSA_11use_defaultEEESK_EEENSH_IJSG_SG_EEES6_PlJ7is_evenIyEEEE10hipError_tPvRmT3_T4_T5_T6_T7_T9_mT8_P12ihipStream_tbDpT10_ENKUlT_T0_E_clISt17integral_constantIbLb0EES19_EEDaS14_S15_EUlS14_E_NS1_11comp_targetILNS1_3genE10ELNS1_11target_archE1200ELNS1_3gpuE4ELNS1_3repE0EEENS1_30default_config_static_selectorELNS0_4arch9wavefront6targetE1EEEvT1_,comdat
	.protected	_ZN7rocprim17ROCPRIM_400000_NS6detail17trampoline_kernelINS0_14default_configENS1_25partition_config_selectorILNS1_17partition_subalgoE0EyNS0_10empty_typeEbEEZZNS1_14partition_implILS5_0ELb0ES3_jN6thrust23THRUST_200600_302600_NS6detail15normal_iteratorINSA_10device_ptrIyEEEEPS6_SG_NS0_5tupleIJNSA_16discard_iteratorINSA_11use_defaultEEESK_EEENSH_IJSG_SG_EEES6_PlJ7is_evenIyEEEE10hipError_tPvRmT3_T4_T5_T6_T7_T9_mT8_P12ihipStream_tbDpT10_ENKUlT_T0_E_clISt17integral_constantIbLb0EES19_EEDaS14_S15_EUlS14_E_NS1_11comp_targetILNS1_3genE10ELNS1_11target_archE1200ELNS1_3gpuE4ELNS1_3repE0EEENS1_30default_config_static_selectorELNS0_4arch9wavefront6targetE1EEEvT1_ ; -- Begin function _ZN7rocprim17ROCPRIM_400000_NS6detail17trampoline_kernelINS0_14default_configENS1_25partition_config_selectorILNS1_17partition_subalgoE0EyNS0_10empty_typeEbEEZZNS1_14partition_implILS5_0ELb0ES3_jN6thrust23THRUST_200600_302600_NS6detail15normal_iteratorINSA_10device_ptrIyEEEEPS6_SG_NS0_5tupleIJNSA_16discard_iteratorINSA_11use_defaultEEESK_EEENSH_IJSG_SG_EEES6_PlJ7is_evenIyEEEE10hipError_tPvRmT3_T4_T5_T6_T7_T9_mT8_P12ihipStream_tbDpT10_ENKUlT_T0_E_clISt17integral_constantIbLb0EES19_EEDaS14_S15_EUlS14_E_NS1_11comp_targetILNS1_3genE10ELNS1_11target_archE1200ELNS1_3gpuE4ELNS1_3repE0EEENS1_30default_config_static_selectorELNS0_4arch9wavefront6targetE1EEEvT1_
	.globl	_ZN7rocprim17ROCPRIM_400000_NS6detail17trampoline_kernelINS0_14default_configENS1_25partition_config_selectorILNS1_17partition_subalgoE0EyNS0_10empty_typeEbEEZZNS1_14partition_implILS5_0ELb0ES3_jN6thrust23THRUST_200600_302600_NS6detail15normal_iteratorINSA_10device_ptrIyEEEEPS6_SG_NS0_5tupleIJNSA_16discard_iteratorINSA_11use_defaultEEESK_EEENSH_IJSG_SG_EEES6_PlJ7is_evenIyEEEE10hipError_tPvRmT3_T4_T5_T6_T7_T9_mT8_P12ihipStream_tbDpT10_ENKUlT_T0_E_clISt17integral_constantIbLb0EES19_EEDaS14_S15_EUlS14_E_NS1_11comp_targetILNS1_3genE10ELNS1_11target_archE1200ELNS1_3gpuE4ELNS1_3repE0EEENS1_30default_config_static_selectorELNS0_4arch9wavefront6targetE1EEEvT1_
	.p2align	8
	.type	_ZN7rocprim17ROCPRIM_400000_NS6detail17trampoline_kernelINS0_14default_configENS1_25partition_config_selectorILNS1_17partition_subalgoE0EyNS0_10empty_typeEbEEZZNS1_14partition_implILS5_0ELb0ES3_jN6thrust23THRUST_200600_302600_NS6detail15normal_iteratorINSA_10device_ptrIyEEEEPS6_SG_NS0_5tupleIJNSA_16discard_iteratorINSA_11use_defaultEEESK_EEENSH_IJSG_SG_EEES6_PlJ7is_evenIyEEEE10hipError_tPvRmT3_T4_T5_T6_T7_T9_mT8_P12ihipStream_tbDpT10_ENKUlT_T0_E_clISt17integral_constantIbLb0EES19_EEDaS14_S15_EUlS14_E_NS1_11comp_targetILNS1_3genE10ELNS1_11target_archE1200ELNS1_3gpuE4ELNS1_3repE0EEENS1_30default_config_static_selectorELNS0_4arch9wavefront6targetE1EEEvT1_,@function
_ZN7rocprim17ROCPRIM_400000_NS6detail17trampoline_kernelINS0_14default_configENS1_25partition_config_selectorILNS1_17partition_subalgoE0EyNS0_10empty_typeEbEEZZNS1_14partition_implILS5_0ELb0ES3_jN6thrust23THRUST_200600_302600_NS6detail15normal_iteratorINSA_10device_ptrIyEEEEPS6_SG_NS0_5tupleIJNSA_16discard_iteratorINSA_11use_defaultEEESK_EEENSH_IJSG_SG_EEES6_PlJ7is_evenIyEEEE10hipError_tPvRmT3_T4_T5_T6_T7_T9_mT8_P12ihipStream_tbDpT10_ENKUlT_T0_E_clISt17integral_constantIbLb0EES19_EEDaS14_S15_EUlS14_E_NS1_11comp_targetILNS1_3genE10ELNS1_11target_archE1200ELNS1_3gpuE4ELNS1_3repE0EEENS1_30default_config_static_selectorELNS0_4arch9wavefront6targetE1EEEvT1_: ; @_ZN7rocprim17ROCPRIM_400000_NS6detail17trampoline_kernelINS0_14default_configENS1_25partition_config_selectorILNS1_17partition_subalgoE0EyNS0_10empty_typeEbEEZZNS1_14partition_implILS5_0ELb0ES3_jN6thrust23THRUST_200600_302600_NS6detail15normal_iteratorINSA_10device_ptrIyEEEEPS6_SG_NS0_5tupleIJNSA_16discard_iteratorINSA_11use_defaultEEESK_EEENSH_IJSG_SG_EEES6_PlJ7is_evenIyEEEE10hipError_tPvRmT3_T4_T5_T6_T7_T9_mT8_P12ihipStream_tbDpT10_ENKUlT_T0_E_clISt17integral_constantIbLb0EES19_EEDaS14_S15_EUlS14_E_NS1_11comp_targetILNS1_3genE10ELNS1_11target_archE1200ELNS1_3gpuE4ELNS1_3repE0EEENS1_30default_config_static_selectorELNS0_4arch9wavefront6targetE1EEEvT1_
; %bb.0:
	.section	.rodata,"a",@progbits
	.p2align	6, 0x0
	.amdhsa_kernel _ZN7rocprim17ROCPRIM_400000_NS6detail17trampoline_kernelINS0_14default_configENS1_25partition_config_selectorILNS1_17partition_subalgoE0EyNS0_10empty_typeEbEEZZNS1_14partition_implILS5_0ELb0ES3_jN6thrust23THRUST_200600_302600_NS6detail15normal_iteratorINSA_10device_ptrIyEEEEPS6_SG_NS0_5tupleIJNSA_16discard_iteratorINSA_11use_defaultEEESK_EEENSH_IJSG_SG_EEES6_PlJ7is_evenIyEEEE10hipError_tPvRmT3_T4_T5_T6_T7_T9_mT8_P12ihipStream_tbDpT10_ENKUlT_T0_E_clISt17integral_constantIbLb0EES19_EEDaS14_S15_EUlS14_E_NS1_11comp_targetILNS1_3genE10ELNS1_11target_archE1200ELNS1_3gpuE4ELNS1_3repE0EEENS1_30default_config_static_selectorELNS0_4arch9wavefront6targetE1EEEvT1_
		.amdhsa_group_segment_fixed_size 0
		.amdhsa_private_segment_fixed_size 0
		.amdhsa_kernarg_size 136
		.amdhsa_user_sgpr_count 2
		.amdhsa_user_sgpr_dispatch_ptr 0
		.amdhsa_user_sgpr_queue_ptr 0
		.amdhsa_user_sgpr_kernarg_segment_ptr 1
		.amdhsa_user_sgpr_dispatch_id 0
		.amdhsa_user_sgpr_kernarg_preload_length 0
		.amdhsa_user_sgpr_kernarg_preload_offset 0
		.amdhsa_user_sgpr_private_segment_size 0
		.amdhsa_uses_dynamic_stack 0
		.amdhsa_enable_private_segment 0
		.amdhsa_system_sgpr_workgroup_id_x 1
		.amdhsa_system_sgpr_workgroup_id_y 0
		.amdhsa_system_sgpr_workgroup_id_z 0
		.amdhsa_system_sgpr_workgroup_info 0
		.amdhsa_system_vgpr_workitem_id 0
		.amdhsa_next_free_vgpr 1
		.amdhsa_next_free_sgpr 0
		.amdhsa_accum_offset 4
		.amdhsa_reserve_vcc 0
		.amdhsa_float_round_mode_32 0
		.amdhsa_float_round_mode_16_64 0
		.amdhsa_float_denorm_mode_32 3
		.amdhsa_float_denorm_mode_16_64 3
		.amdhsa_dx10_clamp 1
		.amdhsa_ieee_mode 1
		.amdhsa_fp16_overflow 0
		.amdhsa_tg_split 0
		.amdhsa_exception_fp_ieee_invalid_op 0
		.amdhsa_exception_fp_denorm_src 0
		.amdhsa_exception_fp_ieee_div_zero 0
		.amdhsa_exception_fp_ieee_overflow 0
		.amdhsa_exception_fp_ieee_underflow 0
		.amdhsa_exception_fp_ieee_inexact 0
		.amdhsa_exception_int_div_zero 0
	.end_amdhsa_kernel
	.section	.text._ZN7rocprim17ROCPRIM_400000_NS6detail17trampoline_kernelINS0_14default_configENS1_25partition_config_selectorILNS1_17partition_subalgoE0EyNS0_10empty_typeEbEEZZNS1_14partition_implILS5_0ELb0ES3_jN6thrust23THRUST_200600_302600_NS6detail15normal_iteratorINSA_10device_ptrIyEEEEPS6_SG_NS0_5tupleIJNSA_16discard_iteratorINSA_11use_defaultEEESK_EEENSH_IJSG_SG_EEES6_PlJ7is_evenIyEEEE10hipError_tPvRmT3_T4_T5_T6_T7_T9_mT8_P12ihipStream_tbDpT10_ENKUlT_T0_E_clISt17integral_constantIbLb0EES19_EEDaS14_S15_EUlS14_E_NS1_11comp_targetILNS1_3genE10ELNS1_11target_archE1200ELNS1_3gpuE4ELNS1_3repE0EEENS1_30default_config_static_selectorELNS0_4arch9wavefront6targetE1EEEvT1_,"axG",@progbits,_ZN7rocprim17ROCPRIM_400000_NS6detail17trampoline_kernelINS0_14default_configENS1_25partition_config_selectorILNS1_17partition_subalgoE0EyNS0_10empty_typeEbEEZZNS1_14partition_implILS5_0ELb0ES3_jN6thrust23THRUST_200600_302600_NS6detail15normal_iteratorINSA_10device_ptrIyEEEEPS6_SG_NS0_5tupleIJNSA_16discard_iteratorINSA_11use_defaultEEESK_EEENSH_IJSG_SG_EEES6_PlJ7is_evenIyEEEE10hipError_tPvRmT3_T4_T5_T6_T7_T9_mT8_P12ihipStream_tbDpT10_ENKUlT_T0_E_clISt17integral_constantIbLb0EES19_EEDaS14_S15_EUlS14_E_NS1_11comp_targetILNS1_3genE10ELNS1_11target_archE1200ELNS1_3gpuE4ELNS1_3repE0EEENS1_30default_config_static_selectorELNS0_4arch9wavefront6targetE1EEEvT1_,comdat
.Lfunc_end2304:
	.size	_ZN7rocprim17ROCPRIM_400000_NS6detail17trampoline_kernelINS0_14default_configENS1_25partition_config_selectorILNS1_17partition_subalgoE0EyNS0_10empty_typeEbEEZZNS1_14partition_implILS5_0ELb0ES3_jN6thrust23THRUST_200600_302600_NS6detail15normal_iteratorINSA_10device_ptrIyEEEEPS6_SG_NS0_5tupleIJNSA_16discard_iteratorINSA_11use_defaultEEESK_EEENSH_IJSG_SG_EEES6_PlJ7is_evenIyEEEE10hipError_tPvRmT3_T4_T5_T6_T7_T9_mT8_P12ihipStream_tbDpT10_ENKUlT_T0_E_clISt17integral_constantIbLb0EES19_EEDaS14_S15_EUlS14_E_NS1_11comp_targetILNS1_3genE10ELNS1_11target_archE1200ELNS1_3gpuE4ELNS1_3repE0EEENS1_30default_config_static_selectorELNS0_4arch9wavefront6targetE1EEEvT1_, .Lfunc_end2304-_ZN7rocprim17ROCPRIM_400000_NS6detail17trampoline_kernelINS0_14default_configENS1_25partition_config_selectorILNS1_17partition_subalgoE0EyNS0_10empty_typeEbEEZZNS1_14partition_implILS5_0ELb0ES3_jN6thrust23THRUST_200600_302600_NS6detail15normal_iteratorINSA_10device_ptrIyEEEEPS6_SG_NS0_5tupleIJNSA_16discard_iteratorINSA_11use_defaultEEESK_EEENSH_IJSG_SG_EEES6_PlJ7is_evenIyEEEE10hipError_tPvRmT3_T4_T5_T6_T7_T9_mT8_P12ihipStream_tbDpT10_ENKUlT_T0_E_clISt17integral_constantIbLb0EES19_EEDaS14_S15_EUlS14_E_NS1_11comp_targetILNS1_3genE10ELNS1_11target_archE1200ELNS1_3gpuE4ELNS1_3repE0EEENS1_30default_config_static_selectorELNS0_4arch9wavefront6targetE1EEEvT1_
                                        ; -- End function
	.section	.AMDGPU.csdata,"",@progbits
; Kernel info:
; codeLenInByte = 0
; NumSgprs: 6
; NumVgprs: 0
; NumAgprs: 0
; TotalNumVgprs: 0
; ScratchSize: 0
; MemoryBound: 0
; FloatMode: 240
; IeeeMode: 1
; LDSByteSize: 0 bytes/workgroup (compile time only)
; SGPRBlocks: 0
; VGPRBlocks: 0
; NumSGPRsForWavesPerEU: 6
; NumVGPRsForWavesPerEU: 1
; AccumOffset: 4
; Occupancy: 8
; WaveLimiterHint : 0
; COMPUTE_PGM_RSRC2:SCRATCH_EN: 0
; COMPUTE_PGM_RSRC2:USER_SGPR: 2
; COMPUTE_PGM_RSRC2:TRAP_HANDLER: 0
; COMPUTE_PGM_RSRC2:TGID_X_EN: 1
; COMPUTE_PGM_RSRC2:TGID_Y_EN: 0
; COMPUTE_PGM_RSRC2:TGID_Z_EN: 0
; COMPUTE_PGM_RSRC2:TIDIG_COMP_CNT: 0
; COMPUTE_PGM_RSRC3_GFX90A:ACCUM_OFFSET: 0
; COMPUTE_PGM_RSRC3_GFX90A:TG_SPLIT: 0
	.section	.text._ZN7rocprim17ROCPRIM_400000_NS6detail17trampoline_kernelINS0_14default_configENS1_25partition_config_selectorILNS1_17partition_subalgoE0EyNS0_10empty_typeEbEEZZNS1_14partition_implILS5_0ELb0ES3_jN6thrust23THRUST_200600_302600_NS6detail15normal_iteratorINSA_10device_ptrIyEEEEPS6_SG_NS0_5tupleIJNSA_16discard_iteratorINSA_11use_defaultEEESK_EEENSH_IJSG_SG_EEES6_PlJ7is_evenIyEEEE10hipError_tPvRmT3_T4_T5_T6_T7_T9_mT8_P12ihipStream_tbDpT10_ENKUlT_T0_E_clISt17integral_constantIbLb0EES19_EEDaS14_S15_EUlS14_E_NS1_11comp_targetILNS1_3genE9ELNS1_11target_archE1100ELNS1_3gpuE3ELNS1_3repE0EEENS1_30default_config_static_selectorELNS0_4arch9wavefront6targetE1EEEvT1_,"axG",@progbits,_ZN7rocprim17ROCPRIM_400000_NS6detail17trampoline_kernelINS0_14default_configENS1_25partition_config_selectorILNS1_17partition_subalgoE0EyNS0_10empty_typeEbEEZZNS1_14partition_implILS5_0ELb0ES3_jN6thrust23THRUST_200600_302600_NS6detail15normal_iteratorINSA_10device_ptrIyEEEEPS6_SG_NS0_5tupleIJNSA_16discard_iteratorINSA_11use_defaultEEESK_EEENSH_IJSG_SG_EEES6_PlJ7is_evenIyEEEE10hipError_tPvRmT3_T4_T5_T6_T7_T9_mT8_P12ihipStream_tbDpT10_ENKUlT_T0_E_clISt17integral_constantIbLb0EES19_EEDaS14_S15_EUlS14_E_NS1_11comp_targetILNS1_3genE9ELNS1_11target_archE1100ELNS1_3gpuE3ELNS1_3repE0EEENS1_30default_config_static_selectorELNS0_4arch9wavefront6targetE1EEEvT1_,comdat
	.protected	_ZN7rocprim17ROCPRIM_400000_NS6detail17trampoline_kernelINS0_14default_configENS1_25partition_config_selectorILNS1_17partition_subalgoE0EyNS0_10empty_typeEbEEZZNS1_14partition_implILS5_0ELb0ES3_jN6thrust23THRUST_200600_302600_NS6detail15normal_iteratorINSA_10device_ptrIyEEEEPS6_SG_NS0_5tupleIJNSA_16discard_iteratorINSA_11use_defaultEEESK_EEENSH_IJSG_SG_EEES6_PlJ7is_evenIyEEEE10hipError_tPvRmT3_T4_T5_T6_T7_T9_mT8_P12ihipStream_tbDpT10_ENKUlT_T0_E_clISt17integral_constantIbLb0EES19_EEDaS14_S15_EUlS14_E_NS1_11comp_targetILNS1_3genE9ELNS1_11target_archE1100ELNS1_3gpuE3ELNS1_3repE0EEENS1_30default_config_static_selectorELNS0_4arch9wavefront6targetE1EEEvT1_ ; -- Begin function _ZN7rocprim17ROCPRIM_400000_NS6detail17trampoline_kernelINS0_14default_configENS1_25partition_config_selectorILNS1_17partition_subalgoE0EyNS0_10empty_typeEbEEZZNS1_14partition_implILS5_0ELb0ES3_jN6thrust23THRUST_200600_302600_NS6detail15normal_iteratorINSA_10device_ptrIyEEEEPS6_SG_NS0_5tupleIJNSA_16discard_iteratorINSA_11use_defaultEEESK_EEENSH_IJSG_SG_EEES6_PlJ7is_evenIyEEEE10hipError_tPvRmT3_T4_T5_T6_T7_T9_mT8_P12ihipStream_tbDpT10_ENKUlT_T0_E_clISt17integral_constantIbLb0EES19_EEDaS14_S15_EUlS14_E_NS1_11comp_targetILNS1_3genE9ELNS1_11target_archE1100ELNS1_3gpuE3ELNS1_3repE0EEENS1_30default_config_static_selectorELNS0_4arch9wavefront6targetE1EEEvT1_
	.globl	_ZN7rocprim17ROCPRIM_400000_NS6detail17trampoline_kernelINS0_14default_configENS1_25partition_config_selectorILNS1_17partition_subalgoE0EyNS0_10empty_typeEbEEZZNS1_14partition_implILS5_0ELb0ES3_jN6thrust23THRUST_200600_302600_NS6detail15normal_iteratorINSA_10device_ptrIyEEEEPS6_SG_NS0_5tupleIJNSA_16discard_iteratorINSA_11use_defaultEEESK_EEENSH_IJSG_SG_EEES6_PlJ7is_evenIyEEEE10hipError_tPvRmT3_T4_T5_T6_T7_T9_mT8_P12ihipStream_tbDpT10_ENKUlT_T0_E_clISt17integral_constantIbLb0EES19_EEDaS14_S15_EUlS14_E_NS1_11comp_targetILNS1_3genE9ELNS1_11target_archE1100ELNS1_3gpuE3ELNS1_3repE0EEENS1_30default_config_static_selectorELNS0_4arch9wavefront6targetE1EEEvT1_
	.p2align	8
	.type	_ZN7rocprim17ROCPRIM_400000_NS6detail17trampoline_kernelINS0_14default_configENS1_25partition_config_selectorILNS1_17partition_subalgoE0EyNS0_10empty_typeEbEEZZNS1_14partition_implILS5_0ELb0ES3_jN6thrust23THRUST_200600_302600_NS6detail15normal_iteratorINSA_10device_ptrIyEEEEPS6_SG_NS0_5tupleIJNSA_16discard_iteratorINSA_11use_defaultEEESK_EEENSH_IJSG_SG_EEES6_PlJ7is_evenIyEEEE10hipError_tPvRmT3_T4_T5_T6_T7_T9_mT8_P12ihipStream_tbDpT10_ENKUlT_T0_E_clISt17integral_constantIbLb0EES19_EEDaS14_S15_EUlS14_E_NS1_11comp_targetILNS1_3genE9ELNS1_11target_archE1100ELNS1_3gpuE3ELNS1_3repE0EEENS1_30default_config_static_selectorELNS0_4arch9wavefront6targetE1EEEvT1_,@function
_ZN7rocprim17ROCPRIM_400000_NS6detail17trampoline_kernelINS0_14default_configENS1_25partition_config_selectorILNS1_17partition_subalgoE0EyNS0_10empty_typeEbEEZZNS1_14partition_implILS5_0ELb0ES3_jN6thrust23THRUST_200600_302600_NS6detail15normal_iteratorINSA_10device_ptrIyEEEEPS6_SG_NS0_5tupleIJNSA_16discard_iteratorINSA_11use_defaultEEESK_EEENSH_IJSG_SG_EEES6_PlJ7is_evenIyEEEE10hipError_tPvRmT3_T4_T5_T6_T7_T9_mT8_P12ihipStream_tbDpT10_ENKUlT_T0_E_clISt17integral_constantIbLb0EES19_EEDaS14_S15_EUlS14_E_NS1_11comp_targetILNS1_3genE9ELNS1_11target_archE1100ELNS1_3gpuE3ELNS1_3repE0EEENS1_30default_config_static_selectorELNS0_4arch9wavefront6targetE1EEEvT1_: ; @_ZN7rocprim17ROCPRIM_400000_NS6detail17trampoline_kernelINS0_14default_configENS1_25partition_config_selectorILNS1_17partition_subalgoE0EyNS0_10empty_typeEbEEZZNS1_14partition_implILS5_0ELb0ES3_jN6thrust23THRUST_200600_302600_NS6detail15normal_iteratorINSA_10device_ptrIyEEEEPS6_SG_NS0_5tupleIJNSA_16discard_iteratorINSA_11use_defaultEEESK_EEENSH_IJSG_SG_EEES6_PlJ7is_evenIyEEEE10hipError_tPvRmT3_T4_T5_T6_T7_T9_mT8_P12ihipStream_tbDpT10_ENKUlT_T0_E_clISt17integral_constantIbLb0EES19_EEDaS14_S15_EUlS14_E_NS1_11comp_targetILNS1_3genE9ELNS1_11target_archE1100ELNS1_3gpuE3ELNS1_3repE0EEENS1_30default_config_static_selectorELNS0_4arch9wavefront6targetE1EEEvT1_
; %bb.0:
	.section	.rodata,"a",@progbits
	.p2align	6, 0x0
	.amdhsa_kernel _ZN7rocprim17ROCPRIM_400000_NS6detail17trampoline_kernelINS0_14default_configENS1_25partition_config_selectorILNS1_17partition_subalgoE0EyNS0_10empty_typeEbEEZZNS1_14partition_implILS5_0ELb0ES3_jN6thrust23THRUST_200600_302600_NS6detail15normal_iteratorINSA_10device_ptrIyEEEEPS6_SG_NS0_5tupleIJNSA_16discard_iteratorINSA_11use_defaultEEESK_EEENSH_IJSG_SG_EEES6_PlJ7is_evenIyEEEE10hipError_tPvRmT3_T4_T5_T6_T7_T9_mT8_P12ihipStream_tbDpT10_ENKUlT_T0_E_clISt17integral_constantIbLb0EES19_EEDaS14_S15_EUlS14_E_NS1_11comp_targetILNS1_3genE9ELNS1_11target_archE1100ELNS1_3gpuE3ELNS1_3repE0EEENS1_30default_config_static_selectorELNS0_4arch9wavefront6targetE1EEEvT1_
		.amdhsa_group_segment_fixed_size 0
		.amdhsa_private_segment_fixed_size 0
		.amdhsa_kernarg_size 136
		.amdhsa_user_sgpr_count 2
		.amdhsa_user_sgpr_dispatch_ptr 0
		.amdhsa_user_sgpr_queue_ptr 0
		.amdhsa_user_sgpr_kernarg_segment_ptr 1
		.amdhsa_user_sgpr_dispatch_id 0
		.amdhsa_user_sgpr_kernarg_preload_length 0
		.amdhsa_user_sgpr_kernarg_preload_offset 0
		.amdhsa_user_sgpr_private_segment_size 0
		.amdhsa_uses_dynamic_stack 0
		.amdhsa_enable_private_segment 0
		.amdhsa_system_sgpr_workgroup_id_x 1
		.amdhsa_system_sgpr_workgroup_id_y 0
		.amdhsa_system_sgpr_workgroup_id_z 0
		.amdhsa_system_sgpr_workgroup_info 0
		.amdhsa_system_vgpr_workitem_id 0
		.amdhsa_next_free_vgpr 1
		.amdhsa_next_free_sgpr 0
		.amdhsa_accum_offset 4
		.amdhsa_reserve_vcc 0
		.amdhsa_float_round_mode_32 0
		.amdhsa_float_round_mode_16_64 0
		.amdhsa_float_denorm_mode_32 3
		.amdhsa_float_denorm_mode_16_64 3
		.amdhsa_dx10_clamp 1
		.amdhsa_ieee_mode 1
		.amdhsa_fp16_overflow 0
		.amdhsa_tg_split 0
		.amdhsa_exception_fp_ieee_invalid_op 0
		.amdhsa_exception_fp_denorm_src 0
		.amdhsa_exception_fp_ieee_div_zero 0
		.amdhsa_exception_fp_ieee_overflow 0
		.amdhsa_exception_fp_ieee_underflow 0
		.amdhsa_exception_fp_ieee_inexact 0
		.amdhsa_exception_int_div_zero 0
	.end_amdhsa_kernel
	.section	.text._ZN7rocprim17ROCPRIM_400000_NS6detail17trampoline_kernelINS0_14default_configENS1_25partition_config_selectorILNS1_17partition_subalgoE0EyNS0_10empty_typeEbEEZZNS1_14partition_implILS5_0ELb0ES3_jN6thrust23THRUST_200600_302600_NS6detail15normal_iteratorINSA_10device_ptrIyEEEEPS6_SG_NS0_5tupleIJNSA_16discard_iteratorINSA_11use_defaultEEESK_EEENSH_IJSG_SG_EEES6_PlJ7is_evenIyEEEE10hipError_tPvRmT3_T4_T5_T6_T7_T9_mT8_P12ihipStream_tbDpT10_ENKUlT_T0_E_clISt17integral_constantIbLb0EES19_EEDaS14_S15_EUlS14_E_NS1_11comp_targetILNS1_3genE9ELNS1_11target_archE1100ELNS1_3gpuE3ELNS1_3repE0EEENS1_30default_config_static_selectorELNS0_4arch9wavefront6targetE1EEEvT1_,"axG",@progbits,_ZN7rocprim17ROCPRIM_400000_NS6detail17trampoline_kernelINS0_14default_configENS1_25partition_config_selectorILNS1_17partition_subalgoE0EyNS0_10empty_typeEbEEZZNS1_14partition_implILS5_0ELb0ES3_jN6thrust23THRUST_200600_302600_NS6detail15normal_iteratorINSA_10device_ptrIyEEEEPS6_SG_NS0_5tupleIJNSA_16discard_iteratorINSA_11use_defaultEEESK_EEENSH_IJSG_SG_EEES6_PlJ7is_evenIyEEEE10hipError_tPvRmT3_T4_T5_T6_T7_T9_mT8_P12ihipStream_tbDpT10_ENKUlT_T0_E_clISt17integral_constantIbLb0EES19_EEDaS14_S15_EUlS14_E_NS1_11comp_targetILNS1_3genE9ELNS1_11target_archE1100ELNS1_3gpuE3ELNS1_3repE0EEENS1_30default_config_static_selectorELNS0_4arch9wavefront6targetE1EEEvT1_,comdat
.Lfunc_end2305:
	.size	_ZN7rocprim17ROCPRIM_400000_NS6detail17trampoline_kernelINS0_14default_configENS1_25partition_config_selectorILNS1_17partition_subalgoE0EyNS0_10empty_typeEbEEZZNS1_14partition_implILS5_0ELb0ES3_jN6thrust23THRUST_200600_302600_NS6detail15normal_iteratorINSA_10device_ptrIyEEEEPS6_SG_NS0_5tupleIJNSA_16discard_iteratorINSA_11use_defaultEEESK_EEENSH_IJSG_SG_EEES6_PlJ7is_evenIyEEEE10hipError_tPvRmT3_T4_T5_T6_T7_T9_mT8_P12ihipStream_tbDpT10_ENKUlT_T0_E_clISt17integral_constantIbLb0EES19_EEDaS14_S15_EUlS14_E_NS1_11comp_targetILNS1_3genE9ELNS1_11target_archE1100ELNS1_3gpuE3ELNS1_3repE0EEENS1_30default_config_static_selectorELNS0_4arch9wavefront6targetE1EEEvT1_, .Lfunc_end2305-_ZN7rocprim17ROCPRIM_400000_NS6detail17trampoline_kernelINS0_14default_configENS1_25partition_config_selectorILNS1_17partition_subalgoE0EyNS0_10empty_typeEbEEZZNS1_14partition_implILS5_0ELb0ES3_jN6thrust23THRUST_200600_302600_NS6detail15normal_iteratorINSA_10device_ptrIyEEEEPS6_SG_NS0_5tupleIJNSA_16discard_iteratorINSA_11use_defaultEEESK_EEENSH_IJSG_SG_EEES6_PlJ7is_evenIyEEEE10hipError_tPvRmT3_T4_T5_T6_T7_T9_mT8_P12ihipStream_tbDpT10_ENKUlT_T0_E_clISt17integral_constantIbLb0EES19_EEDaS14_S15_EUlS14_E_NS1_11comp_targetILNS1_3genE9ELNS1_11target_archE1100ELNS1_3gpuE3ELNS1_3repE0EEENS1_30default_config_static_selectorELNS0_4arch9wavefront6targetE1EEEvT1_
                                        ; -- End function
	.section	.AMDGPU.csdata,"",@progbits
; Kernel info:
; codeLenInByte = 0
; NumSgprs: 6
; NumVgprs: 0
; NumAgprs: 0
; TotalNumVgprs: 0
; ScratchSize: 0
; MemoryBound: 0
; FloatMode: 240
; IeeeMode: 1
; LDSByteSize: 0 bytes/workgroup (compile time only)
; SGPRBlocks: 0
; VGPRBlocks: 0
; NumSGPRsForWavesPerEU: 6
; NumVGPRsForWavesPerEU: 1
; AccumOffset: 4
; Occupancy: 8
; WaveLimiterHint : 0
; COMPUTE_PGM_RSRC2:SCRATCH_EN: 0
; COMPUTE_PGM_RSRC2:USER_SGPR: 2
; COMPUTE_PGM_RSRC2:TRAP_HANDLER: 0
; COMPUTE_PGM_RSRC2:TGID_X_EN: 1
; COMPUTE_PGM_RSRC2:TGID_Y_EN: 0
; COMPUTE_PGM_RSRC2:TGID_Z_EN: 0
; COMPUTE_PGM_RSRC2:TIDIG_COMP_CNT: 0
; COMPUTE_PGM_RSRC3_GFX90A:ACCUM_OFFSET: 0
; COMPUTE_PGM_RSRC3_GFX90A:TG_SPLIT: 0
	.section	.text._ZN7rocprim17ROCPRIM_400000_NS6detail17trampoline_kernelINS0_14default_configENS1_25partition_config_selectorILNS1_17partition_subalgoE0EyNS0_10empty_typeEbEEZZNS1_14partition_implILS5_0ELb0ES3_jN6thrust23THRUST_200600_302600_NS6detail15normal_iteratorINSA_10device_ptrIyEEEEPS6_SG_NS0_5tupleIJNSA_16discard_iteratorINSA_11use_defaultEEESK_EEENSH_IJSG_SG_EEES6_PlJ7is_evenIyEEEE10hipError_tPvRmT3_T4_T5_T6_T7_T9_mT8_P12ihipStream_tbDpT10_ENKUlT_T0_E_clISt17integral_constantIbLb0EES19_EEDaS14_S15_EUlS14_E_NS1_11comp_targetILNS1_3genE8ELNS1_11target_archE1030ELNS1_3gpuE2ELNS1_3repE0EEENS1_30default_config_static_selectorELNS0_4arch9wavefront6targetE1EEEvT1_,"axG",@progbits,_ZN7rocprim17ROCPRIM_400000_NS6detail17trampoline_kernelINS0_14default_configENS1_25partition_config_selectorILNS1_17partition_subalgoE0EyNS0_10empty_typeEbEEZZNS1_14partition_implILS5_0ELb0ES3_jN6thrust23THRUST_200600_302600_NS6detail15normal_iteratorINSA_10device_ptrIyEEEEPS6_SG_NS0_5tupleIJNSA_16discard_iteratorINSA_11use_defaultEEESK_EEENSH_IJSG_SG_EEES6_PlJ7is_evenIyEEEE10hipError_tPvRmT3_T4_T5_T6_T7_T9_mT8_P12ihipStream_tbDpT10_ENKUlT_T0_E_clISt17integral_constantIbLb0EES19_EEDaS14_S15_EUlS14_E_NS1_11comp_targetILNS1_3genE8ELNS1_11target_archE1030ELNS1_3gpuE2ELNS1_3repE0EEENS1_30default_config_static_selectorELNS0_4arch9wavefront6targetE1EEEvT1_,comdat
	.protected	_ZN7rocprim17ROCPRIM_400000_NS6detail17trampoline_kernelINS0_14default_configENS1_25partition_config_selectorILNS1_17partition_subalgoE0EyNS0_10empty_typeEbEEZZNS1_14partition_implILS5_0ELb0ES3_jN6thrust23THRUST_200600_302600_NS6detail15normal_iteratorINSA_10device_ptrIyEEEEPS6_SG_NS0_5tupleIJNSA_16discard_iteratorINSA_11use_defaultEEESK_EEENSH_IJSG_SG_EEES6_PlJ7is_evenIyEEEE10hipError_tPvRmT3_T4_T5_T6_T7_T9_mT8_P12ihipStream_tbDpT10_ENKUlT_T0_E_clISt17integral_constantIbLb0EES19_EEDaS14_S15_EUlS14_E_NS1_11comp_targetILNS1_3genE8ELNS1_11target_archE1030ELNS1_3gpuE2ELNS1_3repE0EEENS1_30default_config_static_selectorELNS0_4arch9wavefront6targetE1EEEvT1_ ; -- Begin function _ZN7rocprim17ROCPRIM_400000_NS6detail17trampoline_kernelINS0_14default_configENS1_25partition_config_selectorILNS1_17partition_subalgoE0EyNS0_10empty_typeEbEEZZNS1_14partition_implILS5_0ELb0ES3_jN6thrust23THRUST_200600_302600_NS6detail15normal_iteratorINSA_10device_ptrIyEEEEPS6_SG_NS0_5tupleIJNSA_16discard_iteratorINSA_11use_defaultEEESK_EEENSH_IJSG_SG_EEES6_PlJ7is_evenIyEEEE10hipError_tPvRmT3_T4_T5_T6_T7_T9_mT8_P12ihipStream_tbDpT10_ENKUlT_T0_E_clISt17integral_constantIbLb0EES19_EEDaS14_S15_EUlS14_E_NS1_11comp_targetILNS1_3genE8ELNS1_11target_archE1030ELNS1_3gpuE2ELNS1_3repE0EEENS1_30default_config_static_selectorELNS0_4arch9wavefront6targetE1EEEvT1_
	.globl	_ZN7rocprim17ROCPRIM_400000_NS6detail17trampoline_kernelINS0_14default_configENS1_25partition_config_selectorILNS1_17partition_subalgoE0EyNS0_10empty_typeEbEEZZNS1_14partition_implILS5_0ELb0ES3_jN6thrust23THRUST_200600_302600_NS6detail15normal_iteratorINSA_10device_ptrIyEEEEPS6_SG_NS0_5tupleIJNSA_16discard_iteratorINSA_11use_defaultEEESK_EEENSH_IJSG_SG_EEES6_PlJ7is_evenIyEEEE10hipError_tPvRmT3_T4_T5_T6_T7_T9_mT8_P12ihipStream_tbDpT10_ENKUlT_T0_E_clISt17integral_constantIbLb0EES19_EEDaS14_S15_EUlS14_E_NS1_11comp_targetILNS1_3genE8ELNS1_11target_archE1030ELNS1_3gpuE2ELNS1_3repE0EEENS1_30default_config_static_selectorELNS0_4arch9wavefront6targetE1EEEvT1_
	.p2align	8
	.type	_ZN7rocprim17ROCPRIM_400000_NS6detail17trampoline_kernelINS0_14default_configENS1_25partition_config_selectorILNS1_17partition_subalgoE0EyNS0_10empty_typeEbEEZZNS1_14partition_implILS5_0ELb0ES3_jN6thrust23THRUST_200600_302600_NS6detail15normal_iteratorINSA_10device_ptrIyEEEEPS6_SG_NS0_5tupleIJNSA_16discard_iteratorINSA_11use_defaultEEESK_EEENSH_IJSG_SG_EEES6_PlJ7is_evenIyEEEE10hipError_tPvRmT3_T4_T5_T6_T7_T9_mT8_P12ihipStream_tbDpT10_ENKUlT_T0_E_clISt17integral_constantIbLb0EES19_EEDaS14_S15_EUlS14_E_NS1_11comp_targetILNS1_3genE8ELNS1_11target_archE1030ELNS1_3gpuE2ELNS1_3repE0EEENS1_30default_config_static_selectorELNS0_4arch9wavefront6targetE1EEEvT1_,@function
_ZN7rocprim17ROCPRIM_400000_NS6detail17trampoline_kernelINS0_14default_configENS1_25partition_config_selectorILNS1_17partition_subalgoE0EyNS0_10empty_typeEbEEZZNS1_14partition_implILS5_0ELb0ES3_jN6thrust23THRUST_200600_302600_NS6detail15normal_iteratorINSA_10device_ptrIyEEEEPS6_SG_NS0_5tupleIJNSA_16discard_iteratorINSA_11use_defaultEEESK_EEENSH_IJSG_SG_EEES6_PlJ7is_evenIyEEEE10hipError_tPvRmT3_T4_T5_T6_T7_T9_mT8_P12ihipStream_tbDpT10_ENKUlT_T0_E_clISt17integral_constantIbLb0EES19_EEDaS14_S15_EUlS14_E_NS1_11comp_targetILNS1_3genE8ELNS1_11target_archE1030ELNS1_3gpuE2ELNS1_3repE0EEENS1_30default_config_static_selectorELNS0_4arch9wavefront6targetE1EEEvT1_: ; @_ZN7rocprim17ROCPRIM_400000_NS6detail17trampoline_kernelINS0_14default_configENS1_25partition_config_selectorILNS1_17partition_subalgoE0EyNS0_10empty_typeEbEEZZNS1_14partition_implILS5_0ELb0ES3_jN6thrust23THRUST_200600_302600_NS6detail15normal_iteratorINSA_10device_ptrIyEEEEPS6_SG_NS0_5tupleIJNSA_16discard_iteratorINSA_11use_defaultEEESK_EEENSH_IJSG_SG_EEES6_PlJ7is_evenIyEEEE10hipError_tPvRmT3_T4_T5_T6_T7_T9_mT8_P12ihipStream_tbDpT10_ENKUlT_T0_E_clISt17integral_constantIbLb0EES19_EEDaS14_S15_EUlS14_E_NS1_11comp_targetILNS1_3genE8ELNS1_11target_archE1030ELNS1_3gpuE2ELNS1_3repE0EEENS1_30default_config_static_selectorELNS0_4arch9wavefront6targetE1EEEvT1_
; %bb.0:
	.section	.rodata,"a",@progbits
	.p2align	6, 0x0
	.amdhsa_kernel _ZN7rocprim17ROCPRIM_400000_NS6detail17trampoline_kernelINS0_14default_configENS1_25partition_config_selectorILNS1_17partition_subalgoE0EyNS0_10empty_typeEbEEZZNS1_14partition_implILS5_0ELb0ES3_jN6thrust23THRUST_200600_302600_NS6detail15normal_iteratorINSA_10device_ptrIyEEEEPS6_SG_NS0_5tupleIJNSA_16discard_iteratorINSA_11use_defaultEEESK_EEENSH_IJSG_SG_EEES6_PlJ7is_evenIyEEEE10hipError_tPvRmT3_T4_T5_T6_T7_T9_mT8_P12ihipStream_tbDpT10_ENKUlT_T0_E_clISt17integral_constantIbLb0EES19_EEDaS14_S15_EUlS14_E_NS1_11comp_targetILNS1_3genE8ELNS1_11target_archE1030ELNS1_3gpuE2ELNS1_3repE0EEENS1_30default_config_static_selectorELNS0_4arch9wavefront6targetE1EEEvT1_
		.amdhsa_group_segment_fixed_size 0
		.amdhsa_private_segment_fixed_size 0
		.amdhsa_kernarg_size 136
		.amdhsa_user_sgpr_count 2
		.amdhsa_user_sgpr_dispatch_ptr 0
		.amdhsa_user_sgpr_queue_ptr 0
		.amdhsa_user_sgpr_kernarg_segment_ptr 1
		.amdhsa_user_sgpr_dispatch_id 0
		.amdhsa_user_sgpr_kernarg_preload_length 0
		.amdhsa_user_sgpr_kernarg_preload_offset 0
		.amdhsa_user_sgpr_private_segment_size 0
		.amdhsa_uses_dynamic_stack 0
		.amdhsa_enable_private_segment 0
		.amdhsa_system_sgpr_workgroup_id_x 1
		.amdhsa_system_sgpr_workgroup_id_y 0
		.amdhsa_system_sgpr_workgroup_id_z 0
		.amdhsa_system_sgpr_workgroup_info 0
		.amdhsa_system_vgpr_workitem_id 0
		.amdhsa_next_free_vgpr 1
		.amdhsa_next_free_sgpr 0
		.amdhsa_accum_offset 4
		.amdhsa_reserve_vcc 0
		.amdhsa_float_round_mode_32 0
		.amdhsa_float_round_mode_16_64 0
		.amdhsa_float_denorm_mode_32 3
		.amdhsa_float_denorm_mode_16_64 3
		.amdhsa_dx10_clamp 1
		.amdhsa_ieee_mode 1
		.amdhsa_fp16_overflow 0
		.amdhsa_tg_split 0
		.amdhsa_exception_fp_ieee_invalid_op 0
		.amdhsa_exception_fp_denorm_src 0
		.amdhsa_exception_fp_ieee_div_zero 0
		.amdhsa_exception_fp_ieee_overflow 0
		.amdhsa_exception_fp_ieee_underflow 0
		.amdhsa_exception_fp_ieee_inexact 0
		.amdhsa_exception_int_div_zero 0
	.end_amdhsa_kernel
	.section	.text._ZN7rocprim17ROCPRIM_400000_NS6detail17trampoline_kernelINS0_14default_configENS1_25partition_config_selectorILNS1_17partition_subalgoE0EyNS0_10empty_typeEbEEZZNS1_14partition_implILS5_0ELb0ES3_jN6thrust23THRUST_200600_302600_NS6detail15normal_iteratorINSA_10device_ptrIyEEEEPS6_SG_NS0_5tupleIJNSA_16discard_iteratorINSA_11use_defaultEEESK_EEENSH_IJSG_SG_EEES6_PlJ7is_evenIyEEEE10hipError_tPvRmT3_T4_T5_T6_T7_T9_mT8_P12ihipStream_tbDpT10_ENKUlT_T0_E_clISt17integral_constantIbLb0EES19_EEDaS14_S15_EUlS14_E_NS1_11comp_targetILNS1_3genE8ELNS1_11target_archE1030ELNS1_3gpuE2ELNS1_3repE0EEENS1_30default_config_static_selectorELNS0_4arch9wavefront6targetE1EEEvT1_,"axG",@progbits,_ZN7rocprim17ROCPRIM_400000_NS6detail17trampoline_kernelINS0_14default_configENS1_25partition_config_selectorILNS1_17partition_subalgoE0EyNS0_10empty_typeEbEEZZNS1_14partition_implILS5_0ELb0ES3_jN6thrust23THRUST_200600_302600_NS6detail15normal_iteratorINSA_10device_ptrIyEEEEPS6_SG_NS0_5tupleIJNSA_16discard_iteratorINSA_11use_defaultEEESK_EEENSH_IJSG_SG_EEES6_PlJ7is_evenIyEEEE10hipError_tPvRmT3_T4_T5_T6_T7_T9_mT8_P12ihipStream_tbDpT10_ENKUlT_T0_E_clISt17integral_constantIbLb0EES19_EEDaS14_S15_EUlS14_E_NS1_11comp_targetILNS1_3genE8ELNS1_11target_archE1030ELNS1_3gpuE2ELNS1_3repE0EEENS1_30default_config_static_selectorELNS0_4arch9wavefront6targetE1EEEvT1_,comdat
.Lfunc_end2306:
	.size	_ZN7rocprim17ROCPRIM_400000_NS6detail17trampoline_kernelINS0_14default_configENS1_25partition_config_selectorILNS1_17partition_subalgoE0EyNS0_10empty_typeEbEEZZNS1_14partition_implILS5_0ELb0ES3_jN6thrust23THRUST_200600_302600_NS6detail15normal_iteratorINSA_10device_ptrIyEEEEPS6_SG_NS0_5tupleIJNSA_16discard_iteratorINSA_11use_defaultEEESK_EEENSH_IJSG_SG_EEES6_PlJ7is_evenIyEEEE10hipError_tPvRmT3_T4_T5_T6_T7_T9_mT8_P12ihipStream_tbDpT10_ENKUlT_T0_E_clISt17integral_constantIbLb0EES19_EEDaS14_S15_EUlS14_E_NS1_11comp_targetILNS1_3genE8ELNS1_11target_archE1030ELNS1_3gpuE2ELNS1_3repE0EEENS1_30default_config_static_selectorELNS0_4arch9wavefront6targetE1EEEvT1_, .Lfunc_end2306-_ZN7rocprim17ROCPRIM_400000_NS6detail17trampoline_kernelINS0_14default_configENS1_25partition_config_selectorILNS1_17partition_subalgoE0EyNS0_10empty_typeEbEEZZNS1_14partition_implILS5_0ELb0ES3_jN6thrust23THRUST_200600_302600_NS6detail15normal_iteratorINSA_10device_ptrIyEEEEPS6_SG_NS0_5tupleIJNSA_16discard_iteratorINSA_11use_defaultEEESK_EEENSH_IJSG_SG_EEES6_PlJ7is_evenIyEEEE10hipError_tPvRmT3_T4_T5_T6_T7_T9_mT8_P12ihipStream_tbDpT10_ENKUlT_T0_E_clISt17integral_constantIbLb0EES19_EEDaS14_S15_EUlS14_E_NS1_11comp_targetILNS1_3genE8ELNS1_11target_archE1030ELNS1_3gpuE2ELNS1_3repE0EEENS1_30default_config_static_selectorELNS0_4arch9wavefront6targetE1EEEvT1_
                                        ; -- End function
	.section	.AMDGPU.csdata,"",@progbits
; Kernel info:
; codeLenInByte = 0
; NumSgprs: 6
; NumVgprs: 0
; NumAgprs: 0
; TotalNumVgprs: 0
; ScratchSize: 0
; MemoryBound: 0
; FloatMode: 240
; IeeeMode: 1
; LDSByteSize: 0 bytes/workgroup (compile time only)
; SGPRBlocks: 0
; VGPRBlocks: 0
; NumSGPRsForWavesPerEU: 6
; NumVGPRsForWavesPerEU: 1
; AccumOffset: 4
; Occupancy: 8
; WaveLimiterHint : 0
; COMPUTE_PGM_RSRC2:SCRATCH_EN: 0
; COMPUTE_PGM_RSRC2:USER_SGPR: 2
; COMPUTE_PGM_RSRC2:TRAP_HANDLER: 0
; COMPUTE_PGM_RSRC2:TGID_X_EN: 1
; COMPUTE_PGM_RSRC2:TGID_Y_EN: 0
; COMPUTE_PGM_RSRC2:TGID_Z_EN: 0
; COMPUTE_PGM_RSRC2:TIDIG_COMP_CNT: 0
; COMPUTE_PGM_RSRC3_GFX90A:ACCUM_OFFSET: 0
; COMPUTE_PGM_RSRC3_GFX90A:TG_SPLIT: 0
	.section	.text._ZN7rocprim17ROCPRIM_400000_NS6detail17trampoline_kernelINS0_14default_configENS1_25partition_config_selectorILNS1_17partition_subalgoE0EyNS0_10empty_typeEbEEZZNS1_14partition_implILS5_0ELb0ES3_jN6thrust23THRUST_200600_302600_NS6detail15normal_iteratorINSA_10device_ptrIyEEEEPS6_SG_NS0_5tupleIJNSA_16discard_iteratorINSA_11use_defaultEEESK_EEENSH_IJSG_SG_EEES6_PlJ7is_evenIyEEEE10hipError_tPvRmT3_T4_T5_T6_T7_T9_mT8_P12ihipStream_tbDpT10_ENKUlT_T0_E_clISt17integral_constantIbLb1EES19_EEDaS14_S15_EUlS14_E_NS1_11comp_targetILNS1_3genE0ELNS1_11target_archE4294967295ELNS1_3gpuE0ELNS1_3repE0EEENS1_30default_config_static_selectorELNS0_4arch9wavefront6targetE1EEEvT1_,"axG",@progbits,_ZN7rocprim17ROCPRIM_400000_NS6detail17trampoline_kernelINS0_14default_configENS1_25partition_config_selectorILNS1_17partition_subalgoE0EyNS0_10empty_typeEbEEZZNS1_14partition_implILS5_0ELb0ES3_jN6thrust23THRUST_200600_302600_NS6detail15normal_iteratorINSA_10device_ptrIyEEEEPS6_SG_NS0_5tupleIJNSA_16discard_iteratorINSA_11use_defaultEEESK_EEENSH_IJSG_SG_EEES6_PlJ7is_evenIyEEEE10hipError_tPvRmT3_T4_T5_T6_T7_T9_mT8_P12ihipStream_tbDpT10_ENKUlT_T0_E_clISt17integral_constantIbLb1EES19_EEDaS14_S15_EUlS14_E_NS1_11comp_targetILNS1_3genE0ELNS1_11target_archE4294967295ELNS1_3gpuE0ELNS1_3repE0EEENS1_30default_config_static_selectorELNS0_4arch9wavefront6targetE1EEEvT1_,comdat
	.protected	_ZN7rocprim17ROCPRIM_400000_NS6detail17trampoline_kernelINS0_14default_configENS1_25partition_config_selectorILNS1_17partition_subalgoE0EyNS0_10empty_typeEbEEZZNS1_14partition_implILS5_0ELb0ES3_jN6thrust23THRUST_200600_302600_NS6detail15normal_iteratorINSA_10device_ptrIyEEEEPS6_SG_NS0_5tupleIJNSA_16discard_iteratorINSA_11use_defaultEEESK_EEENSH_IJSG_SG_EEES6_PlJ7is_evenIyEEEE10hipError_tPvRmT3_T4_T5_T6_T7_T9_mT8_P12ihipStream_tbDpT10_ENKUlT_T0_E_clISt17integral_constantIbLb1EES19_EEDaS14_S15_EUlS14_E_NS1_11comp_targetILNS1_3genE0ELNS1_11target_archE4294967295ELNS1_3gpuE0ELNS1_3repE0EEENS1_30default_config_static_selectorELNS0_4arch9wavefront6targetE1EEEvT1_ ; -- Begin function _ZN7rocprim17ROCPRIM_400000_NS6detail17trampoline_kernelINS0_14default_configENS1_25partition_config_selectorILNS1_17partition_subalgoE0EyNS0_10empty_typeEbEEZZNS1_14partition_implILS5_0ELb0ES3_jN6thrust23THRUST_200600_302600_NS6detail15normal_iteratorINSA_10device_ptrIyEEEEPS6_SG_NS0_5tupleIJNSA_16discard_iteratorINSA_11use_defaultEEESK_EEENSH_IJSG_SG_EEES6_PlJ7is_evenIyEEEE10hipError_tPvRmT3_T4_T5_T6_T7_T9_mT8_P12ihipStream_tbDpT10_ENKUlT_T0_E_clISt17integral_constantIbLb1EES19_EEDaS14_S15_EUlS14_E_NS1_11comp_targetILNS1_3genE0ELNS1_11target_archE4294967295ELNS1_3gpuE0ELNS1_3repE0EEENS1_30default_config_static_selectorELNS0_4arch9wavefront6targetE1EEEvT1_
	.globl	_ZN7rocprim17ROCPRIM_400000_NS6detail17trampoline_kernelINS0_14default_configENS1_25partition_config_selectorILNS1_17partition_subalgoE0EyNS0_10empty_typeEbEEZZNS1_14partition_implILS5_0ELb0ES3_jN6thrust23THRUST_200600_302600_NS6detail15normal_iteratorINSA_10device_ptrIyEEEEPS6_SG_NS0_5tupleIJNSA_16discard_iteratorINSA_11use_defaultEEESK_EEENSH_IJSG_SG_EEES6_PlJ7is_evenIyEEEE10hipError_tPvRmT3_T4_T5_T6_T7_T9_mT8_P12ihipStream_tbDpT10_ENKUlT_T0_E_clISt17integral_constantIbLb1EES19_EEDaS14_S15_EUlS14_E_NS1_11comp_targetILNS1_3genE0ELNS1_11target_archE4294967295ELNS1_3gpuE0ELNS1_3repE0EEENS1_30default_config_static_selectorELNS0_4arch9wavefront6targetE1EEEvT1_
	.p2align	8
	.type	_ZN7rocprim17ROCPRIM_400000_NS6detail17trampoline_kernelINS0_14default_configENS1_25partition_config_selectorILNS1_17partition_subalgoE0EyNS0_10empty_typeEbEEZZNS1_14partition_implILS5_0ELb0ES3_jN6thrust23THRUST_200600_302600_NS6detail15normal_iteratorINSA_10device_ptrIyEEEEPS6_SG_NS0_5tupleIJNSA_16discard_iteratorINSA_11use_defaultEEESK_EEENSH_IJSG_SG_EEES6_PlJ7is_evenIyEEEE10hipError_tPvRmT3_T4_T5_T6_T7_T9_mT8_P12ihipStream_tbDpT10_ENKUlT_T0_E_clISt17integral_constantIbLb1EES19_EEDaS14_S15_EUlS14_E_NS1_11comp_targetILNS1_3genE0ELNS1_11target_archE4294967295ELNS1_3gpuE0ELNS1_3repE0EEENS1_30default_config_static_selectorELNS0_4arch9wavefront6targetE1EEEvT1_,@function
_ZN7rocprim17ROCPRIM_400000_NS6detail17trampoline_kernelINS0_14default_configENS1_25partition_config_selectorILNS1_17partition_subalgoE0EyNS0_10empty_typeEbEEZZNS1_14partition_implILS5_0ELb0ES3_jN6thrust23THRUST_200600_302600_NS6detail15normal_iteratorINSA_10device_ptrIyEEEEPS6_SG_NS0_5tupleIJNSA_16discard_iteratorINSA_11use_defaultEEESK_EEENSH_IJSG_SG_EEES6_PlJ7is_evenIyEEEE10hipError_tPvRmT3_T4_T5_T6_T7_T9_mT8_P12ihipStream_tbDpT10_ENKUlT_T0_E_clISt17integral_constantIbLb1EES19_EEDaS14_S15_EUlS14_E_NS1_11comp_targetILNS1_3genE0ELNS1_11target_archE4294967295ELNS1_3gpuE0ELNS1_3repE0EEENS1_30default_config_static_selectorELNS0_4arch9wavefront6targetE1EEEvT1_: ; @_ZN7rocprim17ROCPRIM_400000_NS6detail17trampoline_kernelINS0_14default_configENS1_25partition_config_selectorILNS1_17partition_subalgoE0EyNS0_10empty_typeEbEEZZNS1_14partition_implILS5_0ELb0ES3_jN6thrust23THRUST_200600_302600_NS6detail15normal_iteratorINSA_10device_ptrIyEEEEPS6_SG_NS0_5tupleIJNSA_16discard_iteratorINSA_11use_defaultEEESK_EEENSH_IJSG_SG_EEES6_PlJ7is_evenIyEEEE10hipError_tPvRmT3_T4_T5_T6_T7_T9_mT8_P12ihipStream_tbDpT10_ENKUlT_T0_E_clISt17integral_constantIbLb1EES19_EEDaS14_S15_EUlS14_E_NS1_11comp_targetILNS1_3genE0ELNS1_11target_archE4294967295ELNS1_3gpuE0ELNS1_3repE0EEENS1_30default_config_static_selectorELNS0_4arch9wavefront6targetE1EEEvT1_
; %bb.0:
	.section	.rodata,"a",@progbits
	.p2align	6, 0x0
	.amdhsa_kernel _ZN7rocprim17ROCPRIM_400000_NS6detail17trampoline_kernelINS0_14default_configENS1_25partition_config_selectorILNS1_17partition_subalgoE0EyNS0_10empty_typeEbEEZZNS1_14partition_implILS5_0ELb0ES3_jN6thrust23THRUST_200600_302600_NS6detail15normal_iteratorINSA_10device_ptrIyEEEEPS6_SG_NS0_5tupleIJNSA_16discard_iteratorINSA_11use_defaultEEESK_EEENSH_IJSG_SG_EEES6_PlJ7is_evenIyEEEE10hipError_tPvRmT3_T4_T5_T6_T7_T9_mT8_P12ihipStream_tbDpT10_ENKUlT_T0_E_clISt17integral_constantIbLb1EES19_EEDaS14_S15_EUlS14_E_NS1_11comp_targetILNS1_3genE0ELNS1_11target_archE4294967295ELNS1_3gpuE0ELNS1_3repE0EEENS1_30default_config_static_selectorELNS0_4arch9wavefront6targetE1EEEvT1_
		.amdhsa_group_segment_fixed_size 0
		.amdhsa_private_segment_fixed_size 0
		.amdhsa_kernarg_size 152
		.amdhsa_user_sgpr_count 2
		.amdhsa_user_sgpr_dispatch_ptr 0
		.amdhsa_user_sgpr_queue_ptr 0
		.amdhsa_user_sgpr_kernarg_segment_ptr 1
		.amdhsa_user_sgpr_dispatch_id 0
		.amdhsa_user_sgpr_kernarg_preload_length 0
		.amdhsa_user_sgpr_kernarg_preload_offset 0
		.amdhsa_user_sgpr_private_segment_size 0
		.amdhsa_uses_dynamic_stack 0
		.amdhsa_enable_private_segment 0
		.amdhsa_system_sgpr_workgroup_id_x 1
		.amdhsa_system_sgpr_workgroup_id_y 0
		.amdhsa_system_sgpr_workgroup_id_z 0
		.amdhsa_system_sgpr_workgroup_info 0
		.amdhsa_system_vgpr_workitem_id 0
		.amdhsa_next_free_vgpr 1
		.amdhsa_next_free_sgpr 0
		.amdhsa_accum_offset 4
		.amdhsa_reserve_vcc 0
		.amdhsa_float_round_mode_32 0
		.amdhsa_float_round_mode_16_64 0
		.amdhsa_float_denorm_mode_32 3
		.amdhsa_float_denorm_mode_16_64 3
		.amdhsa_dx10_clamp 1
		.amdhsa_ieee_mode 1
		.amdhsa_fp16_overflow 0
		.amdhsa_tg_split 0
		.amdhsa_exception_fp_ieee_invalid_op 0
		.amdhsa_exception_fp_denorm_src 0
		.amdhsa_exception_fp_ieee_div_zero 0
		.amdhsa_exception_fp_ieee_overflow 0
		.amdhsa_exception_fp_ieee_underflow 0
		.amdhsa_exception_fp_ieee_inexact 0
		.amdhsa_exception_int_div_zero 0
	.end_amdhsa_kernel
	.section	.text._ZN7rocprim17ROCPRIM_400000_NS6detail17trampoline_kernelINS0_14default_configENS1_25partition_config_selectorILNS1_17partition_subalgoE0EyNS0_10empty_typeEbEEZZNS1_14partition_implILS5_0ELb0ES3_jN6thrust23THRUST_200600_302600_NS6detail15normal_iteratorINSA_10device_ptrIyEEEEPS6_SG_NS0_5tupleIJNSA_16discard_iteratorINSA_11use_defaultEEESK_EEENSH_IJSG_SG_EEES6_PlJ7is_evenIyEEEE10hipError_tPvRmT3_T4_T5_T6_T7_T9_mT8_P12ihipStream_tbDpT10_ENKUlT_T0_E_clISt17integral_constantIbLb1EES19_EEDaS14_S15_EUlS14_E_NS1_11comp_targetILNS1_3genE0ELNS1_11target_archE4294967295ELNS1_3gpuE0ELNS1_3repE0EEENS1_30default_config_static_selectorELNS0_4arch9wavefront6targetE1EEEvT1_,"axG",@progbits,_ZN7rocprim17ROCPRIM_400000_NS6detail17trampoline_kernelINS0_14default_configENS1_25partition_config_selectorILNS1_17partition_subalgoE0EyNS0_10empty_typeEbEEZZNS1_14partition_implILS5_0ELb0ES3_jN6thrust23THRUST_200600_302600_NS6detail15normal_iteratorINSA_10device_ptrIyEEEEPS6_SG_NS0_5tupleIJNSA_16discard_iteratorINSA_11use_defaultEEESK_EEENSH_IJSG_SG_EEES6_PlJ7is_evenIyEEEE10hipError_tPvRmT3_T4_T5_T6_T7_T9_mT8_P12ihipStream_tbDpT10_ENKUlT_T0_E_clISt17integral_constantIbLb1EES19_EEDaS14_S15_EUlS14_E_NS1_11comp_targetILNS1_3genE0ELNS1_11target_archE4294967295ELNS1_3gpuE0ELNS1_3repE0EEENS1_30default_config_static_selectorELNS0_4arch9wavefront6targetE1EEEvT1_,comdat
.Lfunc_end2307:
	.size	_ZN7rocprim17ROCPRIM_400000_NS6detail17trampoline_kernelINS0_14default_configENS1_25partition_config_selectorILNS1_17partition_subalgoE0EyNS0_10empty_typeEbEEZZNS1_14partition_implILS5_0ELb0ES3_jN6thrust23THRUST_200600_302600_NS6detail15normal_iteratorINSA_10device_ptrIyEEEEPS6_SG_NS0_5tupleIJNSA_16discard_iteratorINSA_11use_defaultEEESK_EEENSH_IJSG_SG_EEES6_PlJ7is_evenIyEEEE10hipError_tPvRmT3_T4_T5_T6_T7_T9_mT8_P12ihipStream_tbDpT10_ENKUlT_T0_E_clISt17integral_constantIbLb1EES19_EEDaS14_S15_EUlS14_E_NS1_11comp_targetILNS1_3genE0ELNS1_11target_archE4294967295ELNS1_3gpuE0ELNS1_3repE0EEENS1_30default_config_static_selectorELNS0_4arch9wavefront6targetE1EEEvT1_, .Lfunc_end2307-_ZN7rocprim17ROCPRIM_400000_NS6detail17trampoline_kernelINS0_14default_configENS1_25partition_config_selectorILNS1_17partition_subalgoE0EyNS0_10empty_typeEbEEZZNS1_14partition_implILS5_0ELb0ES3_jN6thrust23THRUST_200600_302600_NS6detail15normal_iteratorINSA_10device_ptrIyEEEEPS6_SG_NS0_5tupleIJNSA_16discard_iteratorINSA_11use_defaultEEESK_EEENSH_IJSG_SG_EEES6_PlJ7is_evenIyEEEE10hipError_tPvRmT3_T4_T5_T6_T7_T9_mT8_P12ihipStream_tbDpT10_ENKUlT_T0_E_clISt17integral_constantIbLb1EES19_EEDaS14_S15_EUlS14_E_NS1_11comp_targetILNS1_3genE0ELNS1_11target_archE4294967295ELNS1_3gpuE0ELNS1_3repE0EEENS1_30default_config_static_selectorELNS0_4arch9wavefront6targetE1EEEvT1_
                                        ; -- End function
	.section	.AMDGPU.csdata,"",@progbits
; Kernel info:
; codeLenInByte = 0
; NumSgprs: 6
; NumVgprs: 0
; NumAgprs: 0
; TotalNumVgprs: 0
; ScratchSize: 0
; MemoryBound: 0
; FloatMode: 240
; IeeeMode: 1
; LDSByteSize: 0 bytes/workgroup (compile time only)
; SGPRBlocks: 0
; VGPRBlocks: 0
; NumSGPRsForWavesPerEU: 6
; NumVGPRsForWavesPerEU: 1
; AccumOffset: 4
; Occupancy: 8
; WaveLimiterHint : 0
; COMPUTE_PGM_RSRC2:SCRATCH_EN: 0
; COMPUTE_PGM_RSRC2:USER_SGPR: 2
; COMPUTE_PGM_RSRC2:TRAP_HANDLER: 0
; COMPUTE_PGM_RSRC2:TGID_X_EN: 1
; COMPUTE_PGM_RSRC2:TGID_Y_EN: 0
; COMPUTE_PGM_RSRC2:TGID_Z_EN: 0
; COMPUTE_PGM_RSRC2:TIDIG_COMP_CNT: 0
; COMPUTE_PGM_RSRC3_GFX90A:ACCUM_OFFSET: 0
; COMPUTE_PGM_RSRC3_GFX90A:TG_SPLIT: 0
	.section	.text._ZN7rocprim17ROCPRIM_400000_NS6detail17trampoline_kernelINS0_14default_configENS1_25partition_config_selectorILNS1_17partition_subalgoE0EyNS0_10empty_typeEbEEZZNS1_14partition_implILS5_0ELb0ES3_jN6thrust23THRUST_200600_302600_NS6detail15normal_iteratorINSA_10device_ptrIyEEEEPS6_SG_NS0_5tupleIJNSA_16discard_iteratorINSA_11use_defaultEEESK_EEENSH_IJSG_SG_EEES6_PlJ7is_evenIyEEEE10hipError_tPvRmT3_T4_T5_T6_T7_T9_mT8_P12ihipStream_tbDpT10_ENKUlT_T0_E_clISt17integral_constantIbLb1EES19_EEDaS14_S15_EUlS14_E_NS1_11comp_targetILNS1_3genE5ELNS1_11target_archE942ELNS1_3gpuE9ELNS1_3repE0EEENS1_30default_config_static_selectorELNS0_4arch9wavefront6targetE1EEEvT1_,"axG",@progbits,_ZN7rocprim17ROCPRIM_400000_NS6detail17trampoline_kernelINS0_14default_configENS1_25partition_config_selectorILNS1_17partition_subalgoE0EyNS0_10empty_typeEbEEZZNS1_14partition_implILS5_0ELb0ES3_jN6thrust23THRUST_200600_302600_NS6detail15normal_iteratorINSA_10device_ptrIyEEEEPS6_SG_NS0_5tupleIJNSA_16discard_iteratorINSA_11use_defaultEEESK_EEENSH_IJSG_SG_EEES6_PlJ7is_evenIyEEEE10hipError_tPvRmT3_T4_T5_T6_T7_T9_mT8_P12ihipStream_tbDpT10_ENKUlT_T0_E_clISt17integral_constantIbLb1EES19_EEDaS14_S15_EUlS14_E_NS1_11comp_targetILNS1_3genE5ELNS1_11target_archE942ELNS1_3gpuE9ELNS1_3repE0EEENS1_30default_config_static_selectorELNS0_4arch9wavefront6targetE1EEEvT1_,comdat
	.protected	_ZN7rocprim17ROCPRIM_400000_NS6detail17trampoline_kernelINS0_14default_configENS1_25partition_config_selectorILNS1_17partition_subalgoE0EyNS0_10empty_typeEbEEZZNS1_14partition_implILS5_0ELb0ES3_jN6thrust23THRUST_200600_302600_NS6detail15normal_iteratorINSA_10device_ptrIyEEEEPS6_SG_NS0_5tupleIJNSA_16discard_iteratorINSA_11use_defaultEEESK_EEENSH_IJSG_SG_EEES6_PlJ7is_evenIyEEEE10hipError_tPvRmT3_T4_T5_T6_T7_T9_mT8_P12ihipStream_tbDpT10_ENKUlT_T0_E_clISt17integral_constantIbLb1EES19_EEDaS14_S15_EUlS14_E_NS1_11comp_targetILNS1_3genE5ELNS1_11target_archE942ELNS1_3gpuE9ELNS1_3repE0EEENS1_30default_config_static_selectorELNS0_4arch9wavefront6targetE1EEEvT1_ ; -- Begin function _ZN7rocprim17ROCPRIM_400000_NS6detail17trampoline_kernelINS0_14default_configENS1_25partition_config_selectorILNS1_17partition_subalgoE0EyNS0_10empty_typeEbEEZZNS1_14partition_implILS5_0ELb0ES3_jN6thrust23THRUST_200600_302600_NS6detail15normal_iteratorINSA_10device_ptrIyEEEEPS6_SG_NS0_5tupleIJNSA_16discard_iteratorINSA_11use_defaultEEESK_EEENSH_IJSG_SG_EEES6_PlJ7is_evenIyEEEE10hipError_tPvRmT3_T4_T5_T6_T7_T9_mT8_P12ihipStream_tbDpT10_ENKUlT_T0_E_clISt17integral_constantIbLb1EES19_EEDaS14_S15_EUlS14_E_NS1_11comp_targetILNS1_3genE5ELNS1_11target_archE942ELNS1_3gpuE9ELNS1_3repE0EEENS1_30default_config_static_selectorELNS0_4arch9wavefront6targetE1EEEvT1_
	.globl	_ZN7rocprim17ROCPRIM_400000_NS6detail17trampoline_kernelINS0_14default_configENS1_25partition_config_selectorILNS1_17partition_subalgoE0EyNS0_10empty_typeEbEEZZNS1_14partition_implILS5_0ELb0ES3_jN6thrust23THRUST_200600_302600_NS6detail15normal_iteratorINSA_10device_ptrIyEEEEPS6_SG_NS0_5tupleIJNSA_16discard_iteratorINSA_11use_defaultEEESK_EEENSH_IJSG_SG_EEES6_PlJ7is_evenIyEEEE10hipError_tPvRmT3_T4_T5_T6_T7_T9_mT8_P12ihipStream_tbDpT10_ENKUlT_T0_E_clISt17integral_constantIbLb1EES19_EEDaS14_S15_EUlS14_E_NS1_11comp_targetILNS1_3genE5ELNS1_11target_archE942ELNS1_3gpuE9ELNS1_3repE0EEENS1_30default_config_static_selectorELNS0_4arch9wavefront6targetE1EEEvT1_
	.p2align	8
	.type	_ZN7rocprim17ROCPRIM_400000_NS6detail17trampoline_kernelINS0_14default_configENS1_25partition_config_selectorILNS1_17partition_subalgoE0EyNS0_10empty_typeEbEEZZNS1_14partition_implILS5_0ELb0ES3_jN6thrust23THRUST_200600_302600_NS6detail15normal_iteratorINSA_10device_ptrIyEEEEPS6_SG_NS0_5tupleIJNSA_16discard_iteratorINSA_11use_defaultEEESK_EEENSH_IJSG_SG_EEES6_PlJ7is_evenIyEEEE10hipError_tPvRmT3_T4_T5_T6_T7_T9_mT8_P12ihipStream_tbDpT10_ENKUlT_T0_E_clISt17integral_constantIbLb1EES19_EEDaS14_S15_EUlS14_E_NS1_11comp_targetILNS1_3genE5ELNS1_11target_archE942ELNS1_3gpuE9ELNS1_3repE0EEENS1_30default_config_static_selectorELNS0_4arch9wavefront6targetE1EEEvT1_,@function
_ZN7rocprim17ROCPRIM_400000_NS6detail17trampoline_kernelINS0_14default_configENS1_25partition_config_selectorILNS1_17partition_subalgoE0EyNS0_10empty_typeEbEEZZNS1_14partition_implILS5_0ELb0ES3_jN6thrust23THRUST_200600_302600_NS6detail15normal_iteratorINSA_10device_ptrIyEEEEPS6_SG_NS0_5tupleIJNSA_16discard_iteratorINSA_11use_defaultEEESK_EEENSH_IJSG_SG_EEES6_PlJ7is_evenIyEEEE10hipError_tPvRmT3_T4_T5_T6_T7_T9_mT8_P12ihipStream_tbDpT10_ENKUlT_T0_E_clISt17integral_constantIbLb1EES19_EEDaS14_S15_EUlS14_E_NS1_11comp_targetILNS1_3genE5ELNS1_11target_archE942ELNS1_3gpuE9ELNS1_3repE0EEENS1_30default_config_static_selectorELNS0_4arch9wavefront6targetE1EEEvT1_: ; @_ZN7rocprim17ROCPRIM_400000_NS6detail17trampoline_kernelINS0_14default_configENS1_25partition_config_selectorILNS1_17partition_subalgoE0EyNS0_10empty_typeEbEEZZNS1_14partition_implILS5_0ELb0ES3_jN6thrust23THRUST_200600_302600_NS6detail15normal_iteratorINSA_10device_ptrIyEEEEPS6_SG_NS0_5tupleIJNSA_16discard_iteratorINSA_11use_defaultEEESK_EEENSH_IJSG_SG_EEES6_PlJ7is_evenIyEEEE10hipError_tPvRmT3_T4_T5_T6_T7_T9_mT8_P12ihipStream_tbDpT10_ENKUlT_T0_E_clISt17integral_constantIbLb1EES19_EEDaS14_S15_EUlS14_E_NS1_11comp_targetILNS1_3genE5ELNS1_11target_archE942ELNS1_3gpuE9ELNS1_3repE0EEENS1_30default_config_static_selectorELNS0_4arch9wavefront6targetE1EEEvT1_
; %bb.0:
	s_load_dwordx2 s[2:3], s[0:1], 0x68
	s_load_dwordx4 s[20:23], s[0:1], 0x58
	s_load_dwordx2 s[24:25], s[0:1], 0x78
	v_cmp_eq_u32_e64 s[18:19], 0, v0
	s_and_saveexec_b64 s[4:5], s[18:19]
	s_cbranch_execz .LBB2308_4
; %bb.1:
	s_mov_b64 s[8:9], exec
	v_mbcnt_lo_u32_b32 v1, s8, 0
	v_mbcnt_hi_u32_b32 v1, s9, v1
	v_cmp_eq_u32_e32 vcc, 0, v1
                                        ; implicit-def: $vgpr2
	s_and_saveexec_b64 s[6:7], vcc
	s_cbranch_execz .LBB2308_3
; %bb.2:
	s_load_dwordx2 s[10:11], s[0:1], 0x88
	s_bcnt1_i32_b64 s8, s[8:9]
	v_mov_b32_e32 v2, 0
	v_mov_b32_e32 v3, s8
	s_waitcnt lgkmcnt(0)
	global_atomic_add v2, v2, v3, s[10:11] sc0
.LBB2308_3:
	s_or_b64 exec, exec, s[6:7]
	s_waitcnt vmcnt(0)
	v_readfirstlane_b32 s6, v2
	v_mov_b32_e32 v2, 0
	s_nop 0
	v_add_u32_e32 v1, s6, v1
	ds_write_b32 v2, v1
.LBB2308_4:
	s_or_b64 exec, exec, s[4:5]
	v_mov_b32_e32 v21, 0
	s_load_dwordx4 s[4:7], s[0:1], 0x8
	s_load_dword s8, s[0:1], 0x80
	s_waitcnt lgkmcnt(0)
	s_barrier
	ds_read_b32 v1, v21
	s_waitcnt lgkmcnt(0)
	s_barrier
	global_load_dwordx2 v[18:19], v21, s[22:23]
	s_lshl_b64 s[0:1], s[6:7], 3
	s_add_u32 s10, s4, s0
	s_movk_i32 s0, 0xe00
	v_mul_lo_u32 v20, v1, s0
	s_mul_i32 s0, s8, 0xe00
	s_addc_u32 s11, s5, s1
	s_add_i32 s1, s0, s6
	v_mov_b32_e32 v3, s3
	s_add_i32 s3, s8, -1
	s_sub_i32 s4, s2, s1
	s_add_u32 s0, s6, s0
	v_readfirstlane_b32 s30, v1
	s_addc_u32 s1, s7, 0
	s_cmp_eq_u32 s30, s3
	v_mov_b32_e32 v2, s2
	s_cselect_b64 s[22:23], -1, 0
	s_cmp_lg_u32 s30, s3
	v_cmp_lt_u64_e32 vcc, s[0:1], v[2:3]
	s_cselect_b64 s[0:1], -1, 0
	s_or_b64 s[0:1], vcc, s[0:1]
	v_lshlrev_b64 v[2:3], 3, v[20:21]
	v_lshl_add_u64 v[22:23], s[10:11], 0, v[2:3]
	s_mov_b64 s[2:3], -1
	s_and_b64 vcc, exec, s[0:1]
	v_lshlrev_b32_e32 v20, 3, v0
	s_cbranch_vccz .LBB2308_6
; %bb.5:
	v_lshl_add_u64 v[2:3], v[22:23], 0, v[20:21]
	v_add_co_u32_e32 v4, vcc, 0x1000, v2
	s_mov_b64 s[2:3], 0
	s_nop 0
	v_addc_co_u32_e32 v5, vcc, 0, v3, vcc
	v_add_co_u32_e32 v6, vcc, 0x2000, v2
	s_nop 1
	v_addc_co_u32_e32 v7, vcc, 0, v3, vcc
	v_add_co_u32_e32 v8, vcc, 0x3000, v2
	s_nop 1
	v_addc_co_u32_e32 v9, vcc, 0, v3, vcc
	flat_load_dwordx2 v[10:11], v[2:3]
	flat_load_dwordx2 v[12:13], v[4:5]
	;; [unrolled: 1-line block ×4, first 2 shown]
	v_add_co_u32_e32 v4, vcc, 0x4000, v2
	s_nop 1
	v_addc_co_u32_e32 v5, vcc, 0, v3, vcc
	v_add_co_u32_e32 v6, vcc, 0x5000, v2
	s_nop 1
	v_addc_co_u32_e32 v7, vcc, 0, v3, vcc
	;; [unrolled: 3-line block ×3, first 2 shown]
	flat_load_dwordx2 v[8:9], v[4:5]
	flat_load_dwordx2 v[24:25], v[6:7]
	;; [unrolled: 1-line block ×3, first 2 shown]
	s_waitcnt vmcnt(0) lgkmcnt(0)
	ds_write2st64_b64 v20, v[10:11], v[12:13] offset1:8
	ds_write2st64_b64 v20, v[14:15], v[16:17] offset0:16 offset1:24
	ds_write2st64_b64 v20, v[8:9], v[24:25] offset0:32 offset1:40
	ds_write_b64 v20, v[26:27] offset:24576
	s_waitcnt lgkmcnt(0)
	s_barrier
.LBB2308_6:
	s_andn2_b64 vcc, exec, s[2:3]
	s_addk_i32 s4, 0xe00
	s_cbranch_vccnz .LBB2308_22
; %bb.7:
	v_cmp_gt_u32_e32 vcc, s4, v0
                                        ; implicit-def: $vgpr2_vgpr3_vgpr4_vgpr5_vgpr6_vgpr7_vgpr8_vgpr9_vgpr10_vgpr11_vgpr12_vgpr13_vgpr14_vgpr15_vgpr16_vgpr17
	s_and_saveexec_b64 s[2:3], vcc
	s_cbranch_execz .LBB2308_9
; %bb.8:
	v_mov_b32_e32 v21, 0
	v_lshl_add_u64 v[2:3], v[22:23], 0, v[20:21]
	flat_load_dwordx2 v[2:3], v[2:3]
.LBB2308_9:
	s_or_b64 exec, exec, s[2:3]
	v_or_b32_e32 v1, 0x200, v0
	v_cmp_gt_u32_e32 vcc, s4, v1
	s_and_saveexec_b64 s[2:3], vcc
	s_cbranch_execz .LBB2308_11
; %bb.10:
	v_lshlrev_b32_e32 v4, 3, v1
	v_mov_b32_e32 v5, 0
	v_lshl_add_u64 v[4:5], v[22:23], 0, v[4:5]
	flat_load_dwordx2 v[4:5], v[4:5]
.LBB2308_11:
	s_or_b64 exec, exec, s[2:3]
	v_or_b32_e32 v1, 0x400, v0
	v_cmp_gt_u32_e32 vcc, s4, v1
	s_and_saveexec_b64 s[2:3], vcc
	s_cbranch_execz .LBB2308_13
; %bb.12:
	v_lshlrev_b32_e32 v6, 3, v1
	v_mov_b32_e32 v7, 0
	v_lshl_add_u64 v[6:7], v[22:23], 0, v[6:7]
	flat_load_dwordx2 v[6:7], v[6:7]
.LBB2308_13:
	;; [unrolled: 11-line block ×6, first 2 shown]
	s_or_b64 exec, exec, s[2:3]
	s_waitcnt vmcnt(0) lgkmcnt(0)
	ds_write2st64_b64 v20, v[2:3], v[4:5] offset1:8
	ds_write2st64_b64 v20, v[6:7], v[8:9] offset0:16 offset1:24
	ds_write2st64_b64 v20, v[10:11], v[12:13] offset0:32 offset1:40
	ds_write_b64 v20, v[14:15] offset:24576
	s_waitcnt lgkmcnt(0)
	s_barrier
.LBB2308_22:
	v_mul_u32_u24_e32 v1, 7, v0
	v_lshlrev_b32_e32 v33, 3, v1
	ds_read2_b64 v[10:13], v33 offset1:1
	ds_read2_b64 v[6:9], v33 offset0:2 offset1:3
	ds_read2_b64 v[2:5], v33 offset0:4 offset1:5
	ds_read_b64 v[14:15], v33 offset:48
	s_andn2_b64 vcc, exec, s[0:1]
	s_waitcnt lgkmcnt(3)
	v_xor_b32_e32 v24, -1, v10
	v_xor_b32_e32 v23, -1, v12
	s_waitcnt lgkmcnt(2)
	v_xor_b32_e32 v22, -1, v6
	v_xor_b32_e32 v21, -1, v8
	;; [unrolled: 3-line block ×3, first 2 shown]
	s_waitcnt lgkmcnt(0)
	v_xor_b32_e32 v16, -1, v14
	s_barrier
	s_cbranch_vccnz .LBB2308_24
; %bb.23:
	v_mov_b32_e32 v26, 1
	v_and_b32_e32 v25, 1, v24
	v_and_b32_sdwa v27, v23, v26 dst_sel:BYTE_1 dst_unused:UNUSED_PAD src0_sel:DWORD src1_sel:DWORD
	v_and_b32_e32 v31, 1, v22
	v_and_b32_sdwa v26, v21, v26 dst_sel:BYTE_1 dst_unused:UNUSED_PAD src0_sel:DWORD src1_sel:DWORD
	v_or_b32_e32 v25, v25, v27
	v_or_b32_sdwa v26, v31, v26 dst_sel:WORD_1 dst_unused:UNUSED_PAD src0_sel:DWORD src1_sel:DWORD
	v_and_b32_e32 v30, 1, v20
	v_and_b32_e32 v29, 1, v17
	;; [unrolled: 1-line block ×3, first 2 shown]
	v_or_b32_sdwa v31, v25, v26 dst_sel:DWORD dst_unused:UNUSED_PAD src0_sel:WORD_0 src1_sel:DWORD
	s_cbranch_execz .LBB2308_25
	s_branch .LBB2308_26
.LBB2308_24:
                                        ; implicit-def: $vgpr28
                                        ; implicit-def: $vgpr29
                                        ; implicit-def: $vgpr30
                                        ; implicit-def: $vgpr31
.LBB2308_25:
	v_add_u32_e32 v25, 1, v1
	v_cmp_gt_u32_e32 vcc, s4, v1
	v_add_u32_e32 v26, 2, v1
	v_add_u32_e32 v27, 3, v1
	v_cndmask_b32_e64 v30, 0, 1, vcc
	v_cmp_gt_u32_e32 vcc, s4, v25
	v_add_u32_e32 v28, 4, v1
	v_add_u32_e32 v29, 5, v1
	v_cndmask_b32_e64 v25, 0, 1, vcc
	v_cmp_gt_u32_e32 vcc, s4, v26
	v_and_b32_sdwa v23, v25, v23 dst_sel:BYTE_1 dst_unused:UNUSED_PAD src0_sel:DWORD src1_sel:DWORD
	v_add_u32_e32 v31, 6, v1
	v_cndmask_b32_e64 v25, 0, 1, vcc
	v_cmp_gt_u32_e32 vcc, s4, v27
	v_and_b32_e32 v22, v25, v22
	v_and_b32_e32 v24, v30, v24
	v_cndmask_b32_e64 v25, 0, 1, vcc
	v_cmp_gt_u32_e32 vcc, s4, v28
	v_and_b32_sdwa v21, v25, v21 dst_sel:BYTE_1 dst_unused:UNUSED_PAD src0_sel:DWORD src1_sel:DWORD
	s_nop 0
	v_cndmask_b32_e64 v25, 0, 1, vcc
	v_cmp_gt_u32_e32 vcc, s4, v29
	v_and_b32_e32 v30, v25, v20
	s_nop 0
	v_cndmask_b32_e64 v20, 0, 1, vcc
	v_cmp_gt_u32_e32 vcc, s4, v31
	v_and_b32_e32 v29, v20, v17
	s_nop 0
	v_cndmask_b32_e64 v17, 0, 1, vcc
	v_and_b32_e32 v28, v17, v16
	v_or_b32_e32 v16, v24, v23
	v_or_b32_sdwa v17, v22, v21 dst_sel:WORD_1 dst_unused:UNUSED_PAD src0_sel:DWORD src1_sel:DWORD
	s_nop 0
	v_or_b32_sdwa v31, v16, v17 dst_sel:DWORD dst_unused:UNUSED_PAD src0_sel:WORD_0 src1_sel:DWORD
.LBB2308_26:
	v_and_b32_e32 v34, 0xff, v31
	v_bfe_u32 v35, v31, 8, 8
	v_bfe_u32 v36, v31, 16, 8
	v_lshrrev_b32_e32 v32, 24, v31
	v_and_b32_e32 v37, 0xff, v30
	v_add3_u32 v17, v35, v34, v36
	v_and_b32_e32 v38, 0xff, v29
	v_and_b32_e32 v16, 0xff, v28
	v_add3_u32 v17, v17, v32, v37
	v_add3_u32 v41, v17, v38, v16
	v_mbcnt_lo_u32_b32 v16, -1, 0
	v_mbcnt_hi_u32_b32 v39, -1, v16
	v_and_b32_e32 v16, 15, v39
	v_cmp_eq_u32_e64 s[14:15], 0, v16
	v_cmp_lt_u32_e64 s[12:13], 1, v16
	v_cmp_lt_u32_e64 s[10:11], 3, v16
	;; [unrolled: 1-line block ×3, first 2 shown]
	v_and_b32_e32 v16, 16, v39
	v_cmp_eq_u32_e64 s[6:7], 0, v16
	v_or_b32_e32 v16, 63, v0
	s_cmp_lg_u32 s30, 0
	v_cmp_lt_u32_e64 s[2:3], 31, v39
	v_lshrrev_b32_e32 v40, 6, v0
	v_cmp_eq_u32_e64 s[4:5], v16, v0
	s_cbranch_scc0 .LBB2308_57
; %bb.27:
	v_mov_b32_dpp v16, v41 row_shr:1 row_mask:0xf bank_mask:0xf
	v_cndmask_b32_e64 v16, v16, 0, s[14:15]
	v_add_u32_e32 v16, v16, v41
	s_nop 1
	v_mov_b32_dpp v17, v16 row_shr:2 row_mask:0xf bank_mask:0xf
	v_cndmask_b32_e64 v17, 0, v17, s[12:13]
	v_add_u32_e32 v16, v16, v17
	s_nop 1
	;; [unrolled: 4-line block ×4, first 2 shown]
	v_mov_b32_dpp v17, v16 row_bcast:15 row_mask:0xf bank_mask:0xf
	v_cndmask_b32_e64 v17, v17, 0, s[6:7]
	v_add_u32_e32 v16, v16, v17
	s_nop 1
	v_mov_b32_dpp v17, v16 row_bcast:31 row_mask:0xf bank_mask:0xf
	v_cndmask_b32_e64 v17, 0, v17, s[2:3]
	v_add_u32_e32 v16, v16, v17
	s_and_saveexec_b64 s[0:1], s[4:5]
	s_cbranch_execz .LBB2308_29
; %bb.28:
	v_lshlrev_b32_e32 v17, 2, v40
	ds_write_b32 v17, v16
.LBB2308_29:
	s_or_b64 exec, exec, s[0:1]
	v_cmp_gt_u32_e32 vcc, 8, v0
	s_waitcnt lgkmcnt(0)
	s_barrier
	s_and_saveexec_b64 s[0:1], vcc
	s_cbranch_execz .LBB2308_31
; %bb.30:
	v_lshlrev_b32_e32 v17, 2, v0
	ds_read_b32 v20, v17
	v_and_b32_e32 v21, 7, v39
	v_cmp_ne_u32_e32 vcc, 0, v21
	s_waitcnt lgkmcnt(0)
	v_mov_b32_dpp v22, v20 row_shr:1 row_mask:0xf bank_mask:0xf
	v_cndmask_b32_e32 v22, 0, v22, vcc
	v_add_u32_e32 v20, v22, v20
	v_cmp_lt_u32_e32 vcc, 1, v21
	s_nop 0
	v_mov_b32_dpp v22, v20 row_shr:2 row_mask:0xf bank_mask:0xf
	v_cndmask_b32_e32 v22, 0, v22, vcc
	v_add_u32_e32 v20, v20, v22
	v_cmp_lt_u32_e32 vcc, 3, v21
	s_nop 0
	v_mov_b32_dpp v22, v20 row_shr:4 row_mask:0xf bank_mask:0xf
	v_cndmask_b32_e32 v21, 0, v22, vcc
	v_add_u32_e32 v20, v20, v21
	ds_write_b32 v17, v20
.LBB2308_31:
	s_or_b64 exec, exec, s[0:1]
	v_cmp_gt_u32_e32 vcc, 64, v0
	v_cmp_lt_u32_e64 s[0:1], 63, v0
	s_waitcnt lgkmcnt(0)
	s_barrier
	s_waitcnt lgkmcnt(0)
                                        ; implicit-def: $vgpr42
	s_and_saveexec_b64 s[16:17], s[0:1]
	s_cbranch_execz .LBB2308_33
; %bb.32:
	v_lshl_add_u32 v17, v40, 2, -4
	ds_read_b32 v42, v17
	s_waitcnt lgkmcnt(0)
	v_add_u32_e32 v16, v42, v16
.LBB2308_33:
	s_or_b64 exec, exec, s[16:17]
	v_add_u32_e32 v17, -1, v39
	v_and_b32_e32 v20, 64, v39
	v_cmp_lt_i32_e64 s[0:1], v17, v20
	v_cmp_eq_u32_e64 s[16:17], 0, v39
	s_nop 0
	v_cndmask_b32_e64 v17, v17, v39, s[0:1]
	v_lshlrev_b32_e32 v17, 2, v17
	ds_bpermute_b32 v43, v17, v16
	s_and_saveexec_b64 s[0:1], vcc
	s_cbranch_execz .LBB2308_56
; %bb.34:
	v_mov_b32_e32 v27, 0
	ds_read_b32 v16, v27 offset:28
	s_and_saveexec_b64 s[26:27], s[16:17]
	s_cbranch_execz .LBB2308_36
; %bb.35:
	s_add_i32 s28, s30, 64
	s_mov_b32 s29, 0
	s_lshl_b64 s[28:29], s[28:29], 3
	s_add_u32 s28, s24, s28
	v_mov_b32_e32 v17, 1
	s_addc_u32 s29, s25, s29
	s_waitcnt lgkmcnt(0)
	global_store_dwordx2 v27, v[16:17], s[28:29] sc1
.LBB2308_36:
	s_or_b64 exec, exec, s[26:27]
	v_xad_u32 v20, v39, -1, s30
	v_add_u32_e32 v26, 64, v20
	v_lshl_add_u64 v[22:23], v[26:27], 3, s[24:25]
	global_load_dwordx2 v[24:25], v[22:23], off sc1
	s_waitcnt vmcnt(0)
	v_cmp_eq_u16_sdwa s[28:29], v25, v27 src0_sel:BYTE_0 src1_sel:DWORD
	s_and_saveexec_b64 s[26:27], s[28:29]
	s_cbranch_execz .LBB2308_42
; %bb.37:
	s_mov_b32 s31, 1
	s_mov_b64 s[28:29], 0
	v_mov_b32_e32 v17, 0
.LBB2308_38:                            ; =>This Loop Header: Depth=1
                                        ;     Child Loop BB2308_39 Depth 2
	s_max_u32 s33, s31, 1
.LBB2308_39:                            ;   Parent Loop BB2308_38 Depth=1
                                        ; =>  This Inner Loop Header: Depth=2
	s_add_i32 s33, s33, -1
	s_cmp_eq_u32 s33, 0
	s_sleep 1
	s_cbranch_scc0 .LBB2308_39
; %bb.40:                               ;   in Loop: Header=BB2308_38 Depth=1
	global_load_dwordx2 v[24:25], v[22:23], off sc1
	s_cmp_lt_u32 s31, 32
	s_cselect_b64 s[34:35], -1, 0
	s_cmp_lg_u64 s[34:35], 0
	s_addc_u32 s31, s31, 0
	s_waitcnt vmcnt(0)
	v_cmp_ne_u16_sdwa s[34:35], v25, v17 src0_sel:BYTE_0 src1_sel:DWORD
	s_or_b64 s[28:29], s[34:35], s[28:29]
	s_andn2_b64 exec, exec, s[28:29]
	s_cbranch_execnz .LBB2308_38
; %bb.41:
	s_or_b64 exec, exec, s[28:29]
.LBB2308_42:
	s_or_b64 exec, exec, s[26:27]
	v_and_b32_e32 v45, 63, v39
	v_mov_b32_e32 v44, 2
	v_cmp_ne_u32_e32 vcc, 63, v45
	v_cmp_eq_u16_sdwa s[26:27], v25, v44 src0_sel:BYTE_0 src1_sel:DWORD
	v_lshlrev_b64 v[22:23], v39, -1
	v_addc_co_u32_e32 v26, vcc, 0, v39, vcc
	v_and_b32_e32 v17, s27, v23
	v_lshlrev_b32_e32 v46, 2, v26
	v_or_b32_e32 v17, 0x80000000, v17
	ds_bpermute_b32 v26, v46, v24
	v_and_b32_e32 v21, s26, v22
	v_ffbl_b32_e32 v17, v17
	v_add_u32_e32 v17, 32, v17
	v_ffbl_b32_e32 v21, v21
	v_min_u32_e32 v17, v21, v17
	v_cmp_lt_u32_e32 vcc, v45, v17
	v_add_u32_e32 v48, 2, v45
	v_add_u32_e32 v50, 4, v45
	s_waitcnt lgkmcnt(0)
	v_cndmask_b32_e32 v21, 0, v26, vcc
	v_cmp_gt_u32_e32 vcc, 62, v45
	v_add_u32_e32 v21, v21, v24
	v_add_u32_e32 v52, 8, v45
	v_cndmask_b32_e64 v24, 0, 1, vcc
	v_lshlrev_b32_e32 v24, 1, v24
	v_add_lshl_u32 v47, v24, v39, 2
	ds_bpermute_b32 v24, v47, v21
	v_cmp_le_u32_e32 vcc, v48, v17
	v_add_u32_e32 v54, 16, v45
	v_add_u32_e32 v56, 32, v45
	s_waitcnt lgkmcnt(0)
	v_cndmask_b32_e32 v24, 0, v24, vcc
	v_cmp_gt_u32_e32 vcc, 60, v45
	v_add_u32_e32 v21, v21, v24
	s_nop 0
	v_cndmask_b32_e64 v24, 0, 1, vcc
	v_lshlrev_b32_e32 v24, 2, v24
	v_add_lshl_u32 v49, v24, v39, 2
	ds_bpermute_b32 v24, v49, v21
	v_cmp_le_u32_e32 vcc, v50, v17
	s_waitcnt lgkmcnt(0)
	s_nop 0
	v_cndmask_b32_e32 v24, 0, v24, vcc
	v_cmp_gt_u32_e32 vcc, 56, v45
	v_add_u32_e32 v21, v21, v24
	s_nop 0
	v_cndmask_b32_e64 v24, 0, 1, vcc
	v_lshlrev_b32_e32 v24, 3, v24
	v_add_lshl_u32 v51, v24, v39, 2
	ds_bpermute_b32 v24, v51, v21
	v_cmp_le_u32_e32 vcc, v52, v17
	s_waitcnt lgkmcnt(0)
	s_nop 0
	;; [unrolled: 11-line block ×4, first 2 shown]
	v_cndmask_b32_e32 v17, 0, v24, vcc
	v_add_u32_e32 v24, v21, v17
	v_mov_b32_e32 v21, 0
	s_branch .LBB2308_44
.LBB2308_43:                            ;   in Loop: Header=BB2308_44 Depth=1
	s_or_b64 exec, exec, s[26:27]
	v_cmp_eq_u16_sdwa s[26:27], v25, v44 src0_sel:BYTE_0 src1_sel:DWORD
	ds_bpermute_b32 v57, v46, v24
	v_subrev_u32_e32 v20, 64, v20
	v_and_b32_e32 v26, s27, v23
	v_or_b32_e32 v26, 0x80000000, v26
	v_and_b32_e32 v27, s26, v22
	v_ffbl_b32_e32 v26, v26
	v_add_u32_e32 v26, 32, v26
	v_ffbl_b32_e32 v27, v27
	v_min_u32_e32 v26, v27, v26
	v_cmp_lt_u32_e32 vcc, v45, v26
	s_waitcnt lgkmcnt(0)
	s_nop 0
	v_cndmask_b32_e32 v27, 0, v57, vcc
	v_add_u32_e32 v24, v27, v24
	ds_bpermute_b32 v27, v47, v24
	v_cmp_le_u32_e32 vcc, v48, v26
	s_waitcnt lgkmcnt(0)
	s_nop 0
	v_cndmask_b32_e32 v27, 0, v27, vcc
	v_add_u32_e32 v24, v24, v27
	ds_bpermute_b32 v27, v49, v24
	v_cmp_le_u32_e32 vcc, v50, v26
	;; [unrolled: 6-line block ×5, first 2 shown]
	s_waitcnt lgkmcnt(0)
	s_nop 0
	v_cndmask_b32_e32 v26, 0, v27, vcc
	v_add3_u32 v24, v26, v17, v24
.LBB2308_44:                            ; =>This Loop Header: Depth=1
                                        ;     Child Loop BB2308_47 Depth 2
                                        ;       Child Loop BB2308_48 Depth 3
	v_cmp_ne_u16_sdwa s[26:27], v25, v44 src0_sel:BYTE_0 src1_sel:DWORD
	s_nop 1
	v_cndmask_b32_e64 v17, 0, 1, s[26:27]
	;;#ASMSTART
	;;#ASMEND
	s_nop 0
	v_cmp_ne_u32_e32 vcc, 0, v17
	s_cmp_lg_u64 vcc, exec
	v_mov_b32_e32 v17, v24
	s_cbranch_scc1 .LBB2308_51
; %bb.45:                               ;   in Loop: Header=BB2308_44 Depth=1
	v_lshl_add_u64 v[26:27], v[20:21], 3, s[24:25]
	global_load_dwordx2 v[24:25], v[26:27], off sc1
	s_waitcnt vmcnt(0)
	v_cmp_eq_u16_sdwa s[28:29], v25, v21 src0_sel:BYTE_0 src1_sel:DWORD
	s_and_saveexec_b64 s[26:27], s[28:29]
	s_cbranch_execz .LBB2308_43
; %bb.46:                               ;   in Loop: Header=BB2308_44 Depth=1
	s_mov_b32 s31, 1
	s_mov_b64 s[28:29], 0
.LBB2308_47:                            ;   Parent Loop BB2308_44 Depth=1
                                        ; =>  This Loop Header: Depth=2
                                        ;       Child Loop BB2308_48 Depth 3
	s_max_u32 s33, s31, 1
.LBB2308_48:                            ;   Parent Loop BB2308_44 Depth=1
                                        ;     Parent Loop BB2308_47 Depth=2
                                        ; =>    This Inner Loop Header: Depth=3
	s_add_i32 s33, s33, -1
	s_cmp_eq_u32 s33, 0
	s_sleep 1
	s_cbranch_scc0 .LBB2308_48
; %bb.49:                               ;   in Loop: Header=BB2308_47 Depth=2
	global_load_dwordx2 v[24:25], v[26:27], off sc1
	s_cmp_lt_u32 s31, 32
	s_cselect_b64 s[34:35], -1, 0
	s_cmp_lg_u64 s[34:35], 0
	s_addc_u32 s31, s31, 0
	s_waitcnt vmcnt(0)
	v_cmp_ne_u16_sdwa s[34:35], v25, v21 src0_sel:BYTE_0 src1_sel:DWORD
	s_or_b64 s[28:29], s[34:35], s[28:29]
	s_andn2_b64 exec, exec, s[28:29]
	s_cbranch_execnz .LBB2308_47
; %bb.50:                               ;   in Loop: Header=BB2308_44 Depth=1
	s_or_b64 exec, exec, s[28:29]
	s_branch .LBB2308_43
.LBB2308_51:                            ;   in Loop: Header=BB2308_44 Depth=1
                                        ; implicit-def: $vgpr24
                                        ; implicit-def: $vgpr25
	s_cbranch_execz .LBB2308_44
; %bb.52:
	s_and_saveexec_b64 s[26:27], s[16:17]
	s_cbranch_execz .LBB2308_54
; %bb.53:
	s_add_i32 s28, s30, 64
	s_mov_b32 s29, 0
	s_lshl_b64 s[28:29], s[28:29], 3
	s_add_u32 s28, s24, s28
	v_add_u32_e32 v20, v17, v16
	v_mov_b32_e32 v21, 2
	s_addc_u32 s29, s25, s29
	v_mov_b32_e32 v22, 0
	global_store_dwordx2 v22, v[20:21], s[28:29] sc1
	ds_write_b64 v22, v[16:17] offset:28672
.LBB2308_54:
	s_or_b64 exec, exec, s[26:27]
	s_and_b64 exec, exec, s[18:19]
	s_cbranch_execz .LBB2308_56
; %bb.55:
	v_mov_b32_e32 v16, 0
	ds_write_b32 v16, v17 offset:28
.LBB2308_56:
	s_or_b64 exec, exec, s[0:1]
	v_mov_b32_e32 v16, 0
	s_waitcnt lgkmcnt(0)
	s_barrier
	ds_read_b32 v17, v16 offset:28
	v_cndmask_b32_e64 v20, v43, v42, s[16:17]
	v_cndmask_b32_e64 v20, v20, 0, s[18:19]
	s_waitcnt lgkmcnt(0)
	s_barrier
	v_add_u32_e32 v26, v17, v20
	v_add_u32_e32 v25, v26, v34
	;; [unrolled: 1-line block ×3, first 2 shown]
	ds_read_b64 v[16:17], v16 offset:28672
	v_add_u32_e32 v23, v24, v36
	v_add_u32_e32 v22, v23, v32
	;; [unrolled: 1-line block ×4, first 2 shown]
	s_branch .LBB2308_67
.LBB2308_57:
                                        ; implicit-def: $vgpr17
                                        ; implicit-def: $vgpr20
                                        ; implicit-def: $vgpr21
                                        ; implicit-def: $vgpr22
                                        ; implicit-def: $vgpr23
                                        ; implicit-def: $vgpr24
                                        ; implicit-def: $vgpr25
                                        ; implicit-def: $vgpr26
	s_cbranch_execz .LBB2308_67
; %bb.58:
	s_waitcnt lgkmcnt(0)
	v_mov_b32_dpp v16, v41 row_shr:1 row_mask:0xf bank_mask:0xf
	v_cndmask_b32_e64 v16, v16, 0, s[14:15]
	v_add_u32_e32 v16, v16, v41
	s_nop 1
	v_mov_b32_dpp v17, v16 row_shr:2 row_mask:0xf bank_mask:0xf
	v_cndmask_b32_e64 v17, 0, v17, s[12:13]
	v_add_u32_e32 v16, v16, v17
	s_nop 1
	;; [unrolled: 4-line block ×4, first 2 shown]
	v_mov_b32_dpp v17, v16 row_bcast:15 row_mask:0xf bank_mask:0xf
	v_cndmask_b32_e64 v17, v17, 0, s[6:7]
	v_add_u32_e32 v16, v16, v17
	s_nop 1
	v_mov_b32_dpp v17, v16 row_bcast:31 row_mask:0xf bank_mask:0xf
	v_cndmask_b32_e64 v17, 0, v17, s[2:3]
	v_add_u32_e32 v16, v16, v17
	s_and_saveexec_b64 s[0:1], s[4:5]
	s_cbranch_execz .LBB2308_60
; %bb.59:
	v_lshlrev_b32_e32 v17, 2, v40
	ds_write_b32 v17, v16
.LBB2308_60:
	s_or_b64 exec, exec, s[0:1]
	v_cmp_gt_u32_e32 vcc, 8, v0
	s_waitcnt lgkmcnt(0)
	s_barrier
	s_and_saveexec_b64 s[0:1], vcc
	s_cbranch_execz .LBB2308_62
; %bb.61:
	s_movk_i32 s2, 0xffcc
	v_mad_i32_i24 v17, v0, s2, v33
	ds_read_b32 v20, v17
	v_and_b32_e32 v21, 7, v39
	v_cmp_ne_u32_e32 vcc, 0, v21
	s_waitcnt lgkmcnt(0)
	v_mov_b32_dpp v22, v20 row_shr:1 row_mask:0xf bank_mask:0xf
	v_cndmask_b32_e32 v22, 0, v22, vcc
	v_add_u32_e32 v20, v22, v20
	v_cmp_lt_u32_e32 vcc, 1, v21
	s_nop 0
	v_mov_b32_dpp v22, v20 row_shr:2 row_mask:0xf bank_mask:0xf
	v_cndmask_b32_e32 v22, 0, v22, vcc
	v_add_u32_e32 v20, v20, v22
	v_cmp_lt_u32_e32 vcc, 3, v21
	s_nop 0
	v_mov_b32_dpp v22, v20 row_shr:4 row_mask:0xf bank_mask:0xf
	v_cndmask_b32_e32 v21, 0, v22, vcc
	v_add_u32_e32 v20, v20, v21
	ds_write_b32 v17, v20
.LBB2308_62:
	s_or_b64 exec, exec, s[0:1]
	v_cmp_lt_u32_e32 vcc, 63, v0
	v_mov_b32_e32 v17, 0
	v_mov_b32_e32 v0, 0
	s_waitcnt lgkmcnt(0)
	s_barrier
	s_and_saveexec_b64 s[0:1], vcc
	s_cbranch_execz .LBB2308_64
; %bb.63:
	v_lshl_add_u32 v0, v40, 2, -4
	ds_read_b32 v0, v0
.LBB2308_64:
	s_or_b64 exec, exec, s[0:1]
	v_add_u32_e32 v20, -1, v39
	v_and_b32_e32 v21, 64, v39
	v_cmp_lt_i32_e32 vcc, v20, v21
	s_waitcnt lgkmcnt(0)
	v_add_u32_e32 v16, v0, v16
	v_cndmask_b32_e32 v20, v20, v39, vcc
	v_lshlrev_b32_e32 v20, 2, v20
	ds_bpermute_b32 v20, v20, v16
	ds_read_b32 v16, v17 offset:28
	s_and_saveexec_b64 s[0:1], s[18:19]
	s_cbranch_execz .LBB2308_66
; %bb.65:
	v_mov_b32_e32 v21, 0
	v_mov_b32_e32 v17, 2
	s_waitcnt lgkmcnt(0)
	global_store_dwordx2 v21, v[16:17], s[24:25] offset:512 sc1
.LBB2308_66:
	s_or_b64 exec, exec, s[0:1]
	v_cmp_eq_u32_e32 vcc, 0, v39
	v_mov_b32_e32 v17, 0
	s_waitcnt lgkmcnt(0)
	v_cndmask_b32_e32 v0, v20, v0, vcc
	v_cndmask_b32_e64 v26, v0, 0, s[18:19]
	v_add_u32_e32 v25, v26, v34
	v_add_u32_e32 v24, v25, v35
	;; [unrolled: 1-line block ×6, first 2 shown]
	s_barrier
.LBB2308_67:
	s_waitcnt lgkmcnt(0)
	v_add_u32_e32 v1, v16, v1
	v_sub_u32_e32 v26, v26, v17
	v_and_b32_e32 v33, 1, v31
	v_sub_u32_e32 v27, v1, v26
	v_cmp_eq_u32_e32 vcc, 1, v33
	v_lshrrev_b32_e32 v0, 8, v31
	v_and_b32_e32 v0, 1, v0
	v_cndmask_b32_e32 v26, v27, v26, vcc
	v_lshlrev_b32_e32 v26, 3, v26
	ds_write_b64 v26, v[10:11]
	v_sub_u32_e32 v10, v25, v17
	v_sub_u32_e32 v11, v1, v10
	v_add_u32_e32 v11, 1, v11
	v_cmp_eq_u32_e32 vcc, 1, v0
	s_and_b64 s[0:1], s[18:19], s[22:23]
	s_nop 0
	v_cndmask_b32_e32 v0, v11, v10, vcc
	v_lshlrev_b32_e32 v0, 3, v0
	ds_write_b64 v0, v[12:13]
	v_sub_u32_e32 v0, v24, v17
	v_mov_b32_e32 v11, 1
	v_sub_u32_e32 v10, v1, v0
	v_and_b32_sdwa v11, v11, v31 dst_sel:DWORD dst_unused:UNUSED_PAD src0_sel:DWORD src1_sel:WORD_1
	v_add_u32_e32 v10, 2, v10
	v_cmp_eq_u32_e32 vcc, 1, v11
	s_nop 1
	v_cndmask_b32_e32 v0, v10, v0, vcc
	v_lshlrev_b32_e32 v0, 3, v0
	ds_write_b64 v0, v[6:7]
	v_sub_u32_e32 v0, v23, v17
	v_sub_u32_e32 v6, v1, v0
	v_and_b32_e32 v7, 1, v32
	v_add_u32_e32 v6, 3, v6
	v_cmp_eq_u32_e32 vcc, 1, v7
	v_and_b32_e32 v7, 1, v30
	s_nop 0
	v_cndmask_b32_e32 v0, v6, v0, vcc
	v_lshlrev_b32_e32 v0, 3, v0
	ds_write_b64 v0, v[8:9]
	v_sub_u32_e32 v0, v22, v17
	v_sub_u32_e32 v6, v1, v0
	v_add_u32_e32 v6, 4, v6
	v_cmp_eq_u32_e32 vcc, 1, v7
	s_nop 1
	v_cndmask_b32_e32 v0, v6, v0, vcc
	v_lshlrev_b32_e32 v0, 3, v0
	ds_write_b64 v0, v[2:3]
	v_sub_u32_e32 v0, v21, v17
	v_sub_u32_e32 v2, v1, v0
	v_and_b32_e32 v3, 1, v29
	v_add_u32_e32 v2, 5, v2
	v_cmp_eq_u32_e32 vcc, 1, v3
	s_nop 1
	v_cndmask_b32_e32 v0, v2, v0, vcc
	v_lshlrev_b32_e32 v0, 3, v0
	ds_write_b64 v0, v[4:5]
	v_sub_u32_e32 v0, v20, v17
	v_sub_u32_e32 v1, v1, v0
	v_and_b32_e32 v2, 1, v28
	v_add_u32_e32 v1, 6, v1
	v_cmp_eq_u32_e32 vcc, 1, v2
	s_nop 1
	v_cndmask_b32_e32 v0, v1, v0, vcc
	v_lshlrev_b32_e32 v0, 3, v0
	ds_write_b64 v0, v[14:15]
	s_waitcnt lgkmcnt(0)
	s_barrier
	s_and_saveexec_b64 s[2:3], s[0:1]
	s_cbranch_execz .LBB2308_69
; %bb.68:
	v_mov_b32_e32 v1, 0
	v_mov_b32_e32 v0, v16
	s_waitcnt vmcnt(0)
	v_lshl_add_u64 v[2:3], v[18:19], 0, v[0:1]
	v_mov_b32_e32 v0, v17
	v_lshl_add_u64 v[2:3], v[2:3], 0, v[0:1]
	global_store_dwordx2 v1, v[2:3], s[20:21]
.LBB2308_69:
	s_endpgm
	.section	.rodata,"a",@progbits
	.p2align	6, 0x0
	.amdhsa_kernel _ZN7rocprim17ROCPRIM_400000_NS6detail17trampoline_kernelINS0_14default_configENS1_25partition_config_selectorILNS1_17partition_subalgoE0EyNS0_10empty_typeEbEEZZNS1_14partition_implILS5_0ELb0ES3_jN6thrust23THRUST_200600_302600_NS6detail15normal_iteratorINSA_10device_ptrIyEEEEPS6_SG_NS0_5tupleIJNSA_16discard_iteratorINSA_11use_defaultEEESK_EEENSH_IJSG_SG_EEES6_PlJ7is_evenIyEEEE10hipError_tPvRmT3_T4_T5_T6_T7_T9_mT8_P12ihipStream_tbDpT10_ENKUlT_T0_E_clISt17integral_constantIbLb1EES19_EEDaS14_S15_EUlS14_E_NS1_11comp_targetILNS1_3genE5ELNS1_11target_archE942ELNS1_3gpuE9ELNS1_3repE0EEENS1_30default_config_static_selectorELNS0_4arch9wavefront6targetE1EEEvT1_
		.amdhsa_group_segment_fixed_size 28680
		.amdhsa_private_segment_fixed_size 0
		.amdhsa_kernarg_size 152
		.amdhsa_user_sgpr_count 2
		.amdhsa_user_sgpr_dispatch_ptr 0
		.amdhsa_user_sgpr_queue_ptr 0
		.amdhsa_user_sgpr_kernarg_segment_ptr 1
		.amdhsa_user_sgpr_dispatch_id 0
		.amdhsa_user_sgpr_kernarg_preload_length 0
		.amdhsa_user_sgpr_kernarg_preload_offset 0
		.amdhsa_user_sgpr_private_segment_size 0
		.amdhsa_uses_dynamic_stack 0
		.amdhsa_enable_private_segment 0
		.amdhsa_system_sgpr_workgroup_id_x 1
		.amdhsa_system_sgpr_workgroup_id_y 0
		.amdhsa_system_sgpr_workgroup_id_z 0
		.amdhsa_system_sgpr_workgroup_info 0
		.amdhsa_system_vgpr_workitem_id 0
		.amdhsa_next_free_vgpr 58
		.amdhsa_next_free_sgpr 36
		.amdhsa_accum_offset 60
		.amdhsa_reserve_vcc 1
		.amdhsa_float_round_mode_32 0
		.amdhsa_float_round_mode_16_64 0
		.amdhsa_float_denorm_mode_32 3
		.amdhsa_float_denorm_mode_16_64 3
		.amdhsa_dx10_clamp 1
		.amdhsa_ieee_mode 1
		.amdhsa_fp16_overflow 0
		.amdhsa_tg_split 0
		.amdhsa_exception_fp_ieee_invalid_op 0
		.amdhsa_exception_fp_denorm_src 0
		.amdhsa_exception_fp_ieee_div_zero 0
		.amdhsa_exception_fp_ieee_overflow 0
		.amdhsa_exception_fp_ieee_underflow 0
		.amdhsa_exception_fp_ieee_inexact 0
		.amdhsa_exception_int_div_zero 0
	.end_amdhsa_kernel
	.section	.text._ZN7rocprim17ROCPRIM_400000_NS6detail17trampoline_kernelINS0_14default_configENS1_25partition_config_selectorILNS1_17partition_subalgoE0EyNS0_10empty_typeEbEEZZNS1_14partition_implILS5_0ELb0ES3_jN6thrust23THRUST_200600_302600_NS6detail15normal_iteratorINSA_10device_ptrIyEEEEPS6_SG_NS0_5tupleIJNSA_16discard_iteratorINSA_11use_defaultEEESK_EEENSH_IJSG_SG_EEES6_PlJ7is_evenIyEEEE10hipError_tPvRmT3_T4_T5_T6_T7_T9_mT8_P12ihipStream_tbDpT10_ENKUlT_T0_E_clISt17integral_constantIbLb1EES19_EEDaS14_S15_EUlS14_E_NS1_11comp_targetILNS1_3genE5ELNS1_11target_archE942ELNS1_3gpuE9ELNS1_3repE0EEENS1_30default_config_static_selectorELNS0_4arch9wavefront6targetE1EEEvT1_,"axG",@progbits,_ZN7rocprim17ROCPRIM_400000_NS6detail17trampoline_kernelINS0_14default_configENS1_25partition_config_selectorILNS1_17partition_subalgoE0EyNS0_10empty_typeEbEEZZNS1_14partition_implILS5_0ELb0ES3_jN6thrust23THRUST_200600_302600_NS6detail15normal_iteratorINSA_10device_ptrIyEEEEPS6_SG_NS0_5tupleIJNSA_16discard_iteratorINSA_11use_defaultEEESK_EEENSH_IJSG_SG_EEES6_PlJ7is_evenIyEEEE10hipError_tPvRmT3_T4_T5_T6_T7_T9_mT8_P12ihipStream_tbDpT10_ENKUlT_T0_E_clISt17integral_constantIbLb1EES19_EEDaS14_S15_EUlS14_E_NS1_11comp_targetILNS1_3genE5ELNS1_11target_archE942ELNS1_3gpuE9ELNS1_3repE0EEENS1_30default_config_static_selectorELNS0_4arch9wavefront6targetE1EEEvT1_,comdat
.Lfunc_end2308:
	.size	_ZN7rocprim17ROCPRIM_400000_NS6detail17trampoline_kernelINS0_14default_configENS1_25partition_config_selectorILNS1_17partition_subalgoE0EyNS0_10empty_typeEbEEZZNS1_14partition_implILS5_0ELb0ES3_jN6thrust23THRUST_200600_302600_NS6detail15normal_iteratorINSA_10device_ptrIyEEEEPS6_SG_NS0_5tupleIJNSA_16discard_iteratorINSA_11use_defaultEEESK_EEENSH_IJSG_SG_EEES6_PlJ7is_evenIyEEEE10hipError_tPvRmT3_T4_T5_T6_T7_T9_mT8_P12ihipStream_tbDpT10_ENKUlT_T0_E_clISt17integral_constantIbLb1EES19_EEDaS14_S15_EUlS14_E_NS1_11comp_targetILNS1_3genE5ELNS1_11target_archE942ELNS1_3gpuE9ELNS1_3repE0EEENS1_30default_config_static_selectorELNS0_4arch9wavefront6targetE1EEEvT1_, .Lfunc_end2308-_ZN7rocprim17ROCPRIM_400000_NS6detail17trampoline_kernelINS0_14default_configENS1_25partition_config_selectorILNS1_17partition_subalgoE0EyNS0_10empty_typeEbEEZZNS1_14partition_implILS5_0ELb0ES3_jN6thrust23THRUST_200600_302600_NS6detail15normal_iteratorINSA_10device_ptrIyEEEEPS6_SG_NS0_5tupleIJNSA_16discard_iteratorINSA_11use_defaultEEESK_EEENSH_IJSG_SG_EEES6_PlJ7is_evenIyEEEE10hipError_tPvRmT3_T4_T5_T6_T7_T9_mT8_P12ihipStream_tbDpT10_ENKUlT_T0_E_clISt17integral_constantIbLb1EES19_EEDaS14_S15_EUlS14_E_NS1_11comp_targetILNS1_3genE5ELNS1_11target_archE942ELNS1_3gpuE9ELNS1_3repE0EEENS1_30default_config_static_selectorELNS0_4arch9wavefront6targetE1EEEvT1_
                                        ; -- End function
	.section	.AMDGPU.csdata,"",@progbits
; Kernel info:
; codeLenInByte = 3788
; NumSgprs: 42
; NumVgprs: 58
; NumAgprs: 0
; TotalNumVgprs: 58
; ScratchSize: 0
; MemoryBound: 0
; FloatMode: 240
; IeeeMode: 1
; LDSByteSize: 28680 bytes/workgroup (compile time only)
; SGPRBlocks: 5
; VGPRBlocks: 7
; NumSGPRsForWavesPerEU: 42
; NumVGPRsForWavesPerEU: 58
; AccumOffset: 60
; Occupancy: 4
; WaveLimiterHint : 1
; COMPUTE_PGM_RSRC2:SCRATCH_EN: 0
; COMPUTE_PGM_RSRC2:USER_SGPR: 2
; COMPUTE_PGM_RSRC2:TRAP_HANDLER: 0
; COMPUTE_PGM_RSRC2:TGID_X_EN: 1
; COMPUTE_PGM_RSRC2:TGID_Y_EN: 0
; COMPUTE_PGM_RSRC2:TGID_Z_EN: 0
; COMPUTE_PGM_RSRC2:TIDIG_COMP_CNT: 0
; COMPUTE_PGM_RSRC3_GFX90A:ACCUM_OFFSET: 14
; COMPUTE_PGM_RSRC3_GFX90A:TG_SPLIT: 0
	.section	.text._ZN7rocprim17ROCPRIM_400000_NS6detail17trampoline_kernelINS0_14default_configENS1_25partition_config_selectorILNS1_17partition_subalgoE0EyNS0_10empty_typeEbEEZZNS1_14partition_implILS5_0ELb0ES3_jN6thrust23THRUST_200600_302600_NS6detail15normal_iteratorINSA_10device_ptrIyEEEEPS6_SG_NS0_5tupleIJNSA_16discard_iteratorINSA_11use_defaultEEESK_EEENSH_IJSG_SG_EEES6_PlJ7is_evenIyEEEE10hipError_tPvRmT3_T4_T5_T6_T7_T9_mT8_P12ihipStream_tbDpT10_ENKUlT_T0_E_clISt17integral_constantIbLb1EES19_EEDaS14_S15_EUlS14_E_NS1_11comp_targetILNS1_3genE4ELNS1_11target_archE910ELNS1_3gpuE8ELNS1_3repE0EEENS1_30default_config_static_selectorELNS0_4arch9wavefront6targetE1EEEvT1_,"axG",@progbits,_ZN7rocprim17ROCPRIM_400000_NS6detail17trampoline_kernelINS0_14default_configENS1_25partition_config_selectorILNS1_17partition_subalgoE0EyNS0_10empty_typeEbEEZZNS1_14partition_implILS5_0ELb0ES3_jN6thrust23THRUST_200600_302600_NS6detail15normal_iteratorINSA_10device_ptrIyEEEEPS6_SG_NS0_5tupleIJNSA_16discard_iteratorINSA_11use_defaultEEESK_EEENSH_IJSG_SG_EEES6_PlJ7is_evenIyEEEE10hipError_tPvRmT3_T4_T5_T6_T7_T9_mT8_P12ihipStream_tbDpT10_ENKUlT_T0_E_clISt17integral_constantIbLb1EES19_EEDaS14_S15_EUlS14_E_NS1_11comp_targetILNS1_3genE4ELNS1_11target_archE910ELNS1_3gpuE8ELNS1_3repE0EEENS1_30default_config_static_selectorELNS0_4arch9wavefront6targetE1EEEvT1_,comdat
	.protected	_ZN7rocprim17ROCPRIM_400000_NS6detail17trampoline_kernelINS0_14default_configENS1_25partition_config_selectorILNS1_17partition_subalgoE0EyNS0_10empty_typeEbEEZZNS1_14partition_implILS5_0ELb0ES3_jN6thrust23THRUST_200600_302600_NS6detail15normal_iteratorINSA_10device_ptrIyEEEEPS6_SG_NS0_5tupleIJNSA_16discard_iteratorINSA_11use_defaultEEESK_EEENSH_IJSG_SG_EEES6_PlJ7is_evenIyEEEE10hipError_tPvRmT3_T4_T5_T6_T7_T9_mT8_P12ihipStream_tbDpT10_ENKUlT_T0_E_clISt17integral_constantIbLb1EES19_EEDaS14_S15_EUlS14_E_NS1_11comp_targetILNS1_3genE4ELNS1_11target_archE910ELNS1_3gpuE8ELNS1_3repE0EEENS1_30default_config_static_selectorELNS0_4arch9wavefront6targetE1EEEvT1_ ; -- Begin function _ZN7rocprim17ROCPRIM_400000_NS6detail17trampoline_kernelINS0_14default_configENS1_25partition_config_selectorILNS1_17partition_subalgoE0EyNS0_10empty_typeEbEEZZNS1_14partition_implILS5_0ELb0ES3_jN6thrust23THRUST_200600_302600_NS6detail15normal_iteratorINSA_10device_ptrIyEEEEPS6_SG_NS0_5tupleIJNSA_16discard_iteratorINSA_11use_defaultEEESK_EEENSH_IJSG_SG_EEES6_PlJ7is_evenIyEEEE10hipError_tPvRmT3_T4_T5_T6_T7_T9_mT8_P12ihipStream_tbDpT10_ENKUlT_T0_E_clISt17integral_constantIbLb1EES19_EEDaS14_S15_EUlS14_E_NS1_11comp_targetILNS1_3genE4ELNS1_11target_archE910ELNS1_3gpuE8ELNS1_3repE0EEENS1_30default_config_static_selectorELNS0_4arch9wavefront6targetE1EEEvT1_
	.globl	_ZN7rocprim17ROCPRIM_400000_NS6detail17trampoline_kernelINS0_14default_configENS1_25partition_config_selectorILNS1_17partition_subalgoE0EyNS0_10empty_typeEbEEZZNS1_14partition_implILS5_0ELb0ES3_jN6thrust23THRUST_200600_302600_NS6detail15normal_iteratorINSA_10device_ptrIyEEEEPS6_SG_NS0_5tupleIJNSA_16discard_iteratorINSA_11use_defaultEEESK_EEENSH_IJSG_SG_EEES6_PlJ7is_evenIyEEEE10hipError_tPvRmT3_T4_T5_T6_T7_T9_mT8_P12ihipStream_tbDpT10_ENKUlT_T0_E_clISt17integral_constantIbLb1EES19_EEDaS14_S15_EUlS14_E_NS1_11comp_targetILNS1_3genE4ELNS1_11target_archE910ELNS1_3gpuE8ELNS1_3repE0EEENS1_30default_config_static_selectorELNS0_4arch9wavefront6targetE1EEEvT1_
	.p2align	8
	.type	_ZN7rocprim17ROCPRIM_400000_NS6detail17trampoline_kernelINS0_14default_configENS1_25partition_config_selectorILNS1_17partition_subalgoE0EyNS0_10empty_typeEbEEZZNS1_14partition_implILS5_0ELb0ES3_jN6thrust23THRUST_200600_302600_NS6detail15normal_iteratorINSA_10device_ptrIyEEEEPS6_SG_NS0_5tupleIJNSA_16discard_iteratorINSA_11use_defaultEEESK_EEENSH_IJSG_SG_EEES6_PlJ7is_evenIyEEEE10hipError_tPvRmT3_T4_T5_T6_T7_T9_mT8_P12ihipStream_tbDpT10_ENKUlT_T0_E_clISt17integral_constantIbLb1EES19_EEDaS14_S15_EUlS14_E_NS1_11comp_targetILNS1_3genE4ELNS1_11target_archE910ELNS1_3gpuE8ELNS1_3repE0EEENS1_30default_config_static_selectorELNS0_4arch9wavefront6targetE1EEEvT1_,@function
_ZN7rocprim17ROCPRIM_400000_NS6detail17trampoline_kernelINS0_14default_configENS1_25partition_config_selectorILNS1_17partition_subalgoE0EyNS0_10empty_typeEbEEZZNS1_14partition_implILS5_0ELb0ES3_jN6thrust23THRUST_200600_302600_NS6detail15normal_iteratorINSA_10device_ptrIyEEEEPS6_SG_NS0_5tupleIJNSA_16discard_iteratorINSA_11use_defaultEEESK_EEENSH_IJSG_SG_EEES6_PlJ7is_evenIyEEEE10hipError_tPvRmT3_T4_T5_T6_T7_T9_mT8_P12ihipStream_tbDpT10_ENKUlT_T0_E_clISt17integral_constantIbLb1EES19_EEDaS14_S15_EUlS14_E_NS1_11comp_targetILNS1_3genE4ELNS1_11target_archE910ELNS1_3gpuE8ELNS1_3repE0EEENS1_30default_config_static_selectorELNS0_4arch9wavefront6targetE1EEEvT1_: ; @_ZN7rocprim17ROCPRIM_400000_NS6detail17trampoline_kernelINS0_14default_configENS1_25partition_config_selectorILNS1_17partition_subalgoE0EyNS0_10empty_typeEbEEZZNS1_14partition_implILS5_0ELb0ES3_jN6thrust23THRUST_200600_302600_NS6detail15normal_iteratorINSA_10device_ptrIyEEEEPS6_SG_NS0_5tupleIJNSA_16discard_iteratorINSA_11use_defaultEEESK_EEENSH_IJSG_SG_EEES6_PlJ7is_evenIyEEEE10hipError_tPvRmT3_T4_T5_T6_T7_T9_mT8_P12ihipStream_tbDpT10_ENKUlT_T0_E_clISt17integral_constantIbLb1EES19_EEDaS14_S15_EUlS14_E_NS1_11comp_targetILNS1_3genE4ELNS1_11target_archE910ELNS1_3gpuE8ELNS1_3repE0EEENS1_30default_config_static_selectorELNS0_4arch9wavefront6targetE1EEEvT1_
; %bb.0:
	.section	.rodata,"a",@progbits
	.p2align	6, 0x0
	.amdhsa_kernel _ZN7rocprim17ROCPRIM_400000_NS6detail17trampoline_kernelINS0_14default_configENS1_25partition_config_selectorILNS1_17partition_subalgoE0EyNS0_10empty_typeEbEEZZNS1_14partition_implILS5_0ELb0ES3_jN6thrust23THRUST_200600_302600_NS6detail15normal_iteratorINSA_10device_ptrIyEEEEPS6_SG_NS0_5tupleIJNSA_16discard_iteratorINSA_11use_defaultEEESK_EEENSH_IJSG_SG_EEES6_PlJ7is_evenIyEEEE10hipError_tPvRmT3_T4_T5_T6_T7_T9_mT8_P12ihipStream_tbDpT10_ENKUlT_T0_E_clISt17integral_constantIbLb1EES19_EEDaS14_S15_EUlS14_E_NS1_11comp_targetILNS1_3genE4ELNS1_11target_archE910ELNS1_3gpuE8ELNS1_3repE0EEENS1_30default_config_static_selectorELNS0_4arch9wavefront6targetE1EEEvT1_
		.amdhsa_group_segment_fixed_size 0
		.amdhsa_private_segment_fixed_size 0
		.amdhsa_kernarg_size 152
		.amdhsa_user_sgpr_count 2
		.amdhsa_user_sgpr_dispatch_ptr 0
		.amdhsa_user_sgpr_queue_ptr 0
		.amdhsa_user_sgpr_kernarg_segment_ptr 1
		.amdhsa_user_sgpr_dispatch_id 0
		.amdhsa_user_sgpr_kernarg_preload_length 0
		.amdhsa_user_sgpr_kernarg_preload_offset 0
		.amdhsa_user_sgpr_private_segment_size 0
		.amdhsa_uses_dynamic_stack 0
		.amdhsa_enable_private_segment 0
		.amdhsa_system_sgpr_workgroup_id_x 1
		.amdhsa_system_sgpr_workgroup_id_y 0
		.amdhsa_system_sgpr_workgroup_id_z 0
		.amdhsa_system_sgpr_workgroup_info 0
		.amdhsa_system_vgpr_workitem_id 0
		.amdhsa_next_free_vgpr 1
		.amdhsa_next_free_sgpr 0
		.amdhsa_accum_offset 4
		.amdhsa_reserve_vcc 0
		.amdhsa_float_round_mode_32 0
		.amdhsa_float_round_mode_16_64 0
		.amdhsa_float_denorm_mode_32 3
		.amdhsa_float_denorm_mode_16_64 3
		.amdhsa_dx10_clamp 1
		.amdhsa_ieee_mode 1
		.amdhsa_fp16_overflow 0
		.amdhsa_tg_split 0
		.amdhsa_exception_fp_ieee_invalid_op 0
		.amdhsa_exception_fp_denorm_src 0
		.amdhsa_exception_fp_ieee_div_zero 0
		.amdhsa_exception_fp_ieee_overflow 0
		.amdhsa_exception_fp_ieee_underflow 0
		.amdhsa_exception_fp_ieee_inexact 0
		.amdhsa_exception_int_div_zero 0
	.end_amdhsa_kernel
	.section	.text._ZN7rocprim17ROCPRIM_400000_NS6detail17trampoline_kernelINS0_14default_configENS1_25partition_config_selectorILNS1_17partition_subalgoE0EyNS0_10empty_typeEbEEZZNS1_14partition_implILS5_0ELb0ES3_jN6thrust23THRUST_200600_302600_NS6detail15normal_iteratorINSA_10device_ptrIyEEEEPS6_SG_NS0_5tupleIJNSA_16discard_iteratorINSA_11use_defaultEEESK_EEENSH_IJSG_SG_EEES6_PlJ7is_evenIyEEEE10hipError_tPvRmT3_T4_T5_T6_T7_T9_mT8_P12ihipStream_tbDpT10_ENKUlT_T0_E_clISt17integral_constantIbLb1EES19_EEDaS14_S15_EUlS14_E_NS1_11comp_targetILNS1_3genE4ELNS1_11target_archE910ELNS1_3gpuE8ELNS1_3repE0EEENS1_30default_config_static_selectorELNS0_4arch9wavefront6targetE1EEEvT1_,"axG",@progbits,_ZN7rocprim17ROCPRIM_400000_NS6detail17trampoline_kernelINS0_14default_configENS1_25partition_config_selectorILNS1_17partition_subalgoE0EyNS0_10empty_typeEbEEZZNS1_14partition_implILS5_0ELb0ES3_jN6thrust23THRUST_200600_302600_NS6detail15normal_iteratorINSA_10device_ptrIyEEEEPS6_SG_NS0_5tupleIJNSA_16discard_iteratorINSA_11use_defaultEEESK_EEENSH_IJSG_SG_EEES6_PlJ7is_evenIyEEEE10hipError_tPvRmT3_T4_T5_T6_T7_T9_mT8_P12ihipStream_tbDpT10_ENKUlT_T0_E_clISt17integral_constantIbLb1EES19_EEDaS14_S15_EUlS14_E_NS1_11comp_targetILNS1_3genE4ELNS1_11target_archE910ELNS1_3gpuE8ELNS1_3repE0EEENS1_30default_config_static_selectorELNS0_4arch9wavefront6targetE1EEEvT1_,comdat
.Lfunc_end2309:
	.size	_ZN7rocprim17ROCPRIM_400000_NS6detail17trampoline_kernelINS0_14default_configENS1_25partition_config_selectorILNS1_17partition_subalgoE0EyNS0_10empty_typeEbEEZZNS1_14partition_implILS5_0ELb0ES3_jN6thrust23THRUST_200600_302600_NS6detail15normal_iteratorINSA_10device_ptrIyEEEEPS6_SG_NS0_5tupleIJNSA_16discard_iteratorINSA_11use_defaultEEESK_EEENSH_IJSG_SG_EEES6_PlJ7is_evenIyEEEE10hipError_tPvRmT3_T4_T5_T6_T7_T9_mT8_P12ihipStream_tbDpT10_ENKUlT_T0_E_clISt17integral_constantIbLb1EES19_EEDaS14_S15_EUlS14_E_NS1_11comp_targetILNS1_3genE4ELNS1_11target_archE910ELNS1_3gpuE8ELNS1_3repE0EEENS1_30default_config_static_selectorELNS0_4arch9wavefront6targetE1EEEvT1_, .Lfunc_end2309-_ZN7rocprim17ROCPRIM_400000_NS6detail17trampoline_kernelINS0_14default_configENS1_25partition_config_selectorILNS1_17partition_subalgoE0EyNS0_10empty_typeEbEEZZNS1_14partition_implILS5_0ELb0ES3_jN6thrust23THRUST_200600_302600_NS6detail15normal_iteratorINSA_10device_ptrIyEEEEPS6_SG_NS0_5tupleIJNSA_16discard_iteratorINSA_11use_defaultEEESK_EEENSH_IJSG_SG_EEES6_PlJ7is_evenIyEEEE10hipError_tPvRmT3_T4_T5_T6_T7_T9_mT8_P12ihipStream_tbDpT10_ENKUlT_T0_E_clISt17integral_constantIbLb1EES19_EEDaS14_S15_EUlS14_E_NS1_11comp_targetILNS1_3genE4ELNS1_11target_archE910ELNS1_3gpuE8ELNS1_3repE0EEENS1_30default_config_static_selectorELNS0_4arch9wavefront6targetE1EEEvT1_
                                        ; -- End function
	.section	.AMDGPU.csdata,"",@progbits
; Kernel info:
; codeLenInByte = 0
; NumSgprs: 6
; NumVgprs: 0
; NumAgprs: 0
; TotalNumVgprs: 0
; ScratchSize: 0
; MemoryBound: 0
; FloatMode: 240
; IeeeMode: 1
; LDSByteSize: 0 bytes/workgroup (compile time only)
; SGPRBlocks: 0
; VGPRBlocks: 0
; NumSGPRsForWavesPerEU: 6
; NumVGPRsForWavesPerEU: 1
; AccumOffset: 4
; Occupancy: 8
; WaveLimiterHint : 0
; COMPUTE_PGM_RSRC2:SCRATCH_EN: 0
; COMPUTE_PGM_RSRC2:USER_SGPR: 2
; COMPUTE_PGM_RSRC2:TRAP_HANDLER: 0
; COMPUTE_PGM_RSRC2:TGID_X_EN: 1
; COMPUTE_PGM_RSRC2:TGID_Y_EN: 0
; COMPUTE_PGM_RSRC2:TGID_Z_EN: 0
; COMPUTE_PGM_RSRC2:TIDIG_COMP_CNT: 0
; COMPUTE_PGM_RSRC3_GFX90A:ACCUM_OFFSET: 0
; COMPUTE_PGM_RSRC3_GFX90A:TG_SPLIT: 0
	.section	.text._ZN7rocprim17ROCPRIM_400000_NS6detail17trampoline_kernelINS0_14default_configENS1_25partition_config_selectorILNS1_17partition_subalgoE0EyNS0_10empty_typeEbEEZZNS1_14partition_implILS5_0ELb0ES3_jN6thrust23THRUST_200600_302600_NS6detail15normal_iteratorINSA_10device_ptrIyEEEEPS6_SG_NS0_5tupleIJNSA_16discard_iteratorINSA_11use_defaultEEESK_EEENSH_IJSG_SG_EEES6_PlJ7is_evenIyEEEE10hipError_tPvRmT3_T4_T5_T6_T7_T9_mT8_P12ihipStream_tbDpT10_ENKUlT_T0_E_clISt17integral_constantIbLb1EES19_EEDaS14_S15_EUlS14_E_NS1_11comp_targetILNS1_3genE3ELNS1_11target_archE908ELNS1_3gpuE7ELNS1_3repE0EEENS1_30default_config_static_selectorELNS0_4arch9wavefront6targetE1EEEvT1_,"axG",@progbits,_ZN7rocprim17ROCPRIM_400000_NS6detail17trampoline_kernelINS0_14default_configENS1_25partition_config_selectorILNS1_17partition_subalgoE0EyNS0_10empty_typeEbEEZZNS1_14partition_implILS5_0ELb0ES3_jN6thrust23THRUST_200600_302600_NS6detail15normal_iteratorINSA_10device_ptrIyEEEEPS6_SG_NS0_5tupleIJNSA_16discard_iteratorINSA_11use_defaultEEESK_EEENSH_IJSG_SG_EEES6_PlJ7is_evenIyEEEE10hipError_tPvRmT3_T4_T5_T6_T7_T9_mT8_P12ihipStream_tbDpT10_ENKUlT_T0_E_clISt17integral_constantIbLb1EES19_EEDaS14_S15_EUlS14_E_NS1_11comp_targetILNS1_3genE3ELNS1_11target_archE908ELNS1_3gpuE7ELNS1_3repE0EEENS1_30default_config_static_selectorELNS0_4arch9wavefront6targetE1EEEvT1_,comdat
	.protected	_ZN7rocprim17ROCPRIM_400000_NS6detail17trampoline_kernelINS0_14default_configENS1_25partition_config_selectorILNS1_17partition_subalgoE0EyNS0_10empty_typeEbEEZZNS1_14partition_implILS5_0ELb0ES3_jN6thrust23THRUST_200600_302600_NS6detail15normal_iteratorINSA_10device_ptrIyEEEEPS6_SG_NS0_5tupleIJNSA_16discard_iteratorINSA_11use_defaultEEESK_EEENSH_IJSG_SG_EEES6_PlJ7is_evenIyEEEE10hipError_tPvRmT3_T4_T5_T6_T7_T9_mT8_P12ihipStream_tbDpT10_ENKUlT_T0_E_clISt17integral_constantIbLb1EES19_EEDaS14_S15_EUlS14_E_NS1_11comp_targetILNS1_3genE3ELNS1_11target_archE908ELNS1_3gpuE7ELNS1_3repE0EEENS1_30default_config_static_selectorELNS0_4arch9wavefront6targetE1EEEvT1_ ; -- Begin function _ZN7rocprim17ROCPRIM_400000_NS6detail17trampoline_kernelINS0_14default_configENS1_25partition_config_selectorILNS1_17partition_subalgoE0EyNS0_10empty_typeEbEEZZNS1_14partition_implILS5_0ELb0ES3_jN6thrust23THRUST_200600_302600_NS6detail15normal_iteratorINSA_10device_ptrIyEEEEPS6_SG_NS0_5tupleIJNSA_16discard_iteratorINSA_11use_defaultEEESK_EEENSH_IJSG_SG_EEES6_PlJ7is_evenIyEEEE10hipError_tPvRmT3_T4_T5_T6_T7_T9_mT8_P12ihipStream_tbDpT10_ENKUlT_T0_E_clISt17integral_constantIbLb1EES19_EEDaS14_S15_EUlS14_E_NS1_11comp_targetILNS1_3genE3ELNS1_11target_archE908ELNS1_3gpuE7ELNS1_3repE0EEENS1_30default_config_static_selectorELNS0_4arch9wavefront6targetE1EEEvT1_
	.globl	_ZN7rocprim17ROCPRIM_400000_NS6detail17trampoline_kernelINS0_14default_configENS1_25partition_config_selectorILNS1_17partition_subalgoE0EyNS0_10empty_typeEbEEZZNS1_14partition_implILS5_0ELb0ES3_jN6thrust23THRUST_200600_302600_NS6detail15normal_iteratorINSA_10device_ptrIyEEEEPS6_SG_NS0_5tupleIJNSA_16discard_iteratorINSA_11use_defaultEEESK_EEENSH_IJSG_SG_EEES6_PlJ7is_evenIyEEEE10hipError_tPvRmT3_T4_T5_T6_T7_T9_mT8_P12ihipStream_tbDpT10_ENKUlT_T0_E_clISt17integral_constantIbLb1EES19_EEDaS14_S15_EUlS14_E_NS1_11comp_targetILNS1_3genE3ELNS1_11target_archE908ELNS1_3gpuE7ELNS1_3repE0EEENS1_30default_config_static_selectorELNS0_4arch9wavefront6targetE1EEEvT1_
	.p2align	8
	.type	_ZN7rocprim17ROCPRIM_400000_NS6detail17trampoline_kernelINS0_14default_configENS1_25partition_config_selectorILNS1_17partition_subalgoE0EyNS0_10empty_typeEbEEZZNS1_14partition_implILS5_0ELb0ES3_jN6thrust23THRUST_200600_302600_NS6detail15normal_iteratorINSA_10device_ptrIyEEEEPS6_SG_NS0_5tupleIJNSA_16discard_iteratorINSA_11use_defaultEEESK_EEENSH_IJSG_SG_EEES6_PlJ7is_evenIyEEEE10hipError_tPvRmT3_T4_T5_T6_T7_T9_mT8_P12ihipStream_tbDpT10_ENKUlT_T0_E_clISt17integral_constantIbLb1EES19_EEDaS14_S15_EUlS14_E_NS1_11comp_targetILNS1_3genE3ELNS1_11target_archE908ELNS1_3gpuE7ELNS1_3repE0EEENS1_30default_config_static_selectorELNS0_4arch9wavefront6targetE1EEEvT1_,@function
_ZN7rocprim17ROCPRIM_400000_NS6detail17trampoline_kernelINS0_14default_configENS1_25partition_config_selectorILNS1_17partition_subalgoE0EyNS0_10empty_typeEbEEZZNS1_14partition_implILS5_0ELb0ES3_jN6thrust23THRUST_200600_302600_NS6detail15normal_iteratorINSA_10device_ptrIyEEEEPS6_SG_NS0_5tupleIJNSA_16discard_iteratorINSA_11use_defaultEEESK_EEENSH_IJSG_SG_EEES6_PlJ7is_evenIyEEEE10hipError_tPvRmT3_T4_T5_T6_T7_T9_mT8_P12ihipStream_tbDpT10_ENKUlT_T0_E_clISt17integral_constantIbLb1EES19_EEDaS14_S15_EUlS14_E_NS1_11comp_targetILNS1_3genE3ELNS1_11target_archE908ELNS1_3gpuE7ELNS1_3repE0EEENS1_30default_config_static_selectorELNS0_4arch9wavefront6targetE1EEEvT1_: ; @_ZN7rocprim17ROCPRIM_400000_NS6detail17trampoline_kernelINS0_14default_configENS1_25partition_config_selectorILNS1_17partition_subalgoE0EyNS0_10empty_typeEbEEZZNS1_14partition_implILS5_0ELb0ES3_jN6thrust23THRUST_200600_302600_NS6detail15normal_iteratorINSA_10device_ptrIyEEEEPS6_SG_NS0_5tupleIJNSA_16discard_iteratorINSA_11use_defaultEEESK_EEENSH_IJSG_SG_EEES6_PlJ7is_evenIyEEEE10hipError_tPvRmT3_T4_T5_T6_T7_T9_mT8_P12ihipStream_tbDpT10_ENKUlT_T0_E_clISt17integral_constantIbLb1EES19_EEDaS14_S15_EUlS14_E_NS1_11comp_targetILNS1_3genE3ELNS1_11target_archE908ELNS1_3gpuE7ELNS1_3repE0EEENS1_30default_config_static_selectorELNS0_4arch9wavefront6targetE1EEEvT1_
; %bb.0:
	.section	.rodata,"a",@progbits
	.p2align	6, 0x0
	.amdhsa_kernel _ZN7rocprim17ROCPRIM_400000_NS6detail17trampoline_kernelINS0_14default_configENS1_25partition_config_selectorILNS1_17partition_subalgoE0EyNS0_10empty_typeEbEEZZNS1_14partition_implILS5_0ELb0ES3_jN6thrust23THRUST_200600_302600_NS6detail15normal_iteratorINSA_10device_ptrIyEEEEPS6_SG_NS0_5tupleIJNSA_16discard_iteratorINSA_11use_defaultEEESK_EEENSH_IJSG_SG_EEES6_PlJ7is_evenIyEEEE10hipError_tPvRmT3_T4_T5_T6_T7_T9_mT8_P12ihipStream_tbDpT10_ENKUlT_T0_E_clISt17integral_constantIbLb1EES19_EEDaS14_S15_EUlS14_E_NS1_11comp_targetILNS1_3genE3ELNS1_11target_archE908ELNS1_3gpuE7ELNS1_3repE0EEENS1_30default_config_static_selectorELNS0_4arch9wavefront6targetE1EEEvT1_
		.amdhsa_group_segment_fixed_size 0
		.amdhsa_private_segment_fixed_size 0
		.amdhsa_kernarg_size 152
		.amdhsa_user_sgpr_count 2
		.amdhsa_user_sgpr_dispatch_ptr 0
		.amdhsa_user_sgpr_queue_ptr 0
		.amdhsa_user_sgpr_kernarg_segment_ptr 1
		.amdhsa_user_sgpr_dispatch_id 0
		.amdhsa_user_sgpr_kernarg_preload_length 0
		.amdhsa_user_sgpr_kernarg_preload_offset 0
		.amdhsa_user_sgpr_private_segment_size 0
		.amdhsa_uses_dynamic_stack 0
		.amdhsa_enable_private_segment 0
		.amdhsa_system_sgpr_workgroup_id_x 1
		.amdhsa_system_sgpr_workgroup_id_y 0
		.amdhsa_system_sgpr_workgroup_id_z 0
		.amdhsa_system_sgpr_workgroup_info 0
		.amdhsa_system_vgpr_workitem_id 0
		.amdhsa_next_free_vgpr 1
		.amdhsa_next_free_sgpr 0
		.amdhsa_accum_offset 4
		.amdhsa_reserve_vcc 0
		.amdhsa_float_round_mode_32 0
		.amdhsa_float_round_mode_16_64 0
		.amdhsa_float_denorm_mode_32 3
		.amdhsa_float_denorm_mode_16_64 3
		.amdhsa_dx10_clamp 1
		.amdhsa_ieee_mode 1
		.amdhsa_fp16_overflow 0
		.amdhsa_tg_split 0
		.amdhsa_exception_fp_ieee_invalid_op 0
		.amdhsa_exception_fp_denorm_src 0
		.amdhsa_exception_fp_ieee_div_zero 0
		.amdhsa_exception_fp_ieee_overflow 0
		.amdhsa_exception_fp_ieee_underflow 0
		.amdhsa_exception_fp_ieee_inexact 0
		.amdhsa_exception_int_div_zero 0
	.end_amdhsa_kernel
	.section	.text._ZN7rocprim17ROCPRIM_400000_NS6detail17trampoline_kernelINS0_14default_configENS1_25partition_config_selectorILNS1_17partition_subalgoE0EyNS0_10empty_typeEbEEZZNS1_14partition_implILS5_0ELb0ES3_jN6thrust23THRUST_200600_302600_NS6detail15normal_iteratorINSA_10device_ptrIyEEEEPS6_SG_NS0_5tupleIJNSA_16discard_iteratorINSA_11use_defaultEEESK_EEENSH_IJSG_SG_EEES6_PlJ7is_evenIyEEEE10hipError_tPvRmT3_T4_T5_T6_T7_T9_mT8_P12ihipStream_tbDpT10_ENKUlT_T0_E_clISt17integral_constantIbLb1EES19_EEDaS14_S15_EUlS14_E_NS1_11comp_targetILNS1_3genE3ELNS1_11target_archE908ELNS1_3gpuE7ELNS1_3repE0EEENS1_30default_config_static_selectorELNS0_4arch9wavefront6targetE1EEEvT1_,"axG",@progbits,_ZN7rocprim17ROCPRIM_400000_NS6detail17trampoline_kernelINS0_14default_configENS1_25partition_config_selectorILNS1_17partition_subalgoE0EyNS0_10empty_typeEbEEZZNS1_14partition_implILS5_0ELb0ES3_jN6thrust23THRUST_200600_302600_NS6detail15normal_iteratorINSA_10device_ptrIyEEEEPS6_SG_NS0_5tupleIJNSA_16discard_iteratorINSA_11use_defaultEEESK_EEENSH_IJSG_SG_EEES6_PlJ7is_evenIyEEEE10hipError_tPvRmT3_T4_T5_T6_T7_T9_mT8_P12ihipStream_tbDpT10_ENKUlT_T0_E_clISt17integral_constantIbLb1EES19_EEDaS14_S15_EUlS14_E_NS1_11comp_targetILNS1_3genE3ELNS1_11target_archE908ELNS1_3gpuE7ELNS1_3repE0EEENS1_30default_config_static_selectorELNS0_4arch9wavefront6targetE1EEEvT1_,comdat
.Lfunc_end2310:
	.size	_ZN7rocprim17ROCPRIM_400000_NS6detail17trampoline_kernelINS0_14default_configENS1_25partition_config_selectorILNS1_17partition_subalgoE0EyNS0_10empty_typeEbEEZZNS1_14partition_implILS5_0ELb0ES3_jN6thrust23THRUST_200600_302600_NS6detail15normal_iteratorINSA_10device_ptrIyEEEEPS6_SG_NS0_5tupleIJNSA_16discard_iteratorINSA_11use_defaultEEESK_EEENSH_IJSG_SG_EEES6_PlJ7is_evenIyEEEE10hipError_tPvRmT3_T4_T5_T6_T7_T9_mT8_P12ihipStream_tbDpT10_ENKUlT_T0_E_clISt17integral_constantIbLb1EES19_EEDaS14_S15_EUlS14_E_NS1_11comp_targetILNS1_3genE3ELNS1_11target_archE908ELNS1_3gpuE7ELNS1_3repE0EEENS1_30default_config_static_selectorELNS0_4arch9wavefront6targetE1EEEvT1_, .Lfunc_end2310-_ZN7rocprim17ROCPRIM_400000_NS6detail17trampoline_kernelINS0_14default_configENS1_25partition_config_selectorILNS1_17partition_subalgoE0EyNS0_10empty_typeEbEEZZNS1_14partition_implILS5_0ELb0ES3_jN6thrust23THRUST_200600_302600_NS6detail15normal_iteratorINSA_10device_ptrIyEEEEPS6_SG_NS0_5tupleIJNSA_16discard_iteratorINSA_11use_defaultEEESK_EEENSH_IJSG_SG_EEES6_PlJ7is_evenIyEEEE10hipError_tPvRmT3_T4_T5_T6_T7_T9_mT8_P12ihipStream_tbDpT10_ENKUlT_T0_E_clISt17integral_constantIbLb1EES19_EEDaS14_S15_EUlS14_E_NS1_11comp_targetILNS1_3genE3ELNS1_11target_archE908ELNS1_3gpuE7ELNS1_3repE0EEENS1_30default_config_static_selectorELNS0_4arch9wavefront6targetE1EEEvT1_
                                        ; -- End function
	.section	.AMDGPU.csdata,"",@progbits
; Kernel info:
; codeLenInByte = 0
; NumSgprs: 6
; NumVgprs: 0
; NumAgprs: 0
; TotalNumVgprs: 0
; ScratchSize: 0
; MemoryBound: 0
; FloatMode: 240
; IeeeMode: 1
; LDSByteSize: 0 bytes/workgroup (compile time only)
; SGPRBlocks: 0
; VGPRBlocks: 0
; NumSGPRsForWavesPerEU: 6
; NumVGPRsForWavesPerEU: 1
; AccumOffset: 4
; Occupancy: 8
; WaveLimiterHint : 0
; COMPUTE_PGM_RSRC2:SCRATCH_EN: 0
; COMPUTE_PGM_RSRC2:USER_SGPR: 2
; COMPUTE_PGM_RSRC2:TRAP_HANDLER: 0
; COMPUTE_PGM_RSRC2:TGID_X_EN: 1
; COMPUTE_PGM_RSRC2:TGID_Y_EN: 0
; COMPUTE_PGM_RSRC2:TGID_Z_EN: 0
; COMPUTE_PGM_RSRC2:TIDIG_COMP_CNT: 0
; COMPUTE_PGM_RSRC3_GFX90A:ACCUM_OFFSET: 0
; COMPUTE_PGM_RSRC3_GFX90A:TG_SPLIT: 0
	.section	.text._ZN7rocprim17ROCPRIM_400000_NS6detail17trampoline_kernelINS0_14default_configENS1_25partition_config_selectorILNS1_17partition_subalgoE0EyNS0_10empty_typeEbEEZZNS1_14partition_implILS5_0ELb0ES3_jN6thrust23THRUST_200600_302600_NS6detail15normal_iteratorINSA_10device_ptrIyEEEEPS6_SG_NS0_5tupleIJNSA_16discard_iteratorINSA_11use_defaultEEESK_EEENSH_IJSG_SG_EEES6_PlJ7is_evenIyEEEE10hipError_tPvRmT3_T4_T5_T6_T7_T9_mT8_P12ihipStream_tbDpT10_ENKUlT_T0_E_clISt17integral_constantIbLb1EES19_EEDaS14_S15_EUlS14_E_NS1_11comp_targetILNS1_3genE2ELNS1_11target_archE906ELNS1_3gpuE6ELNS1_3repE0EEENS1_30default_config_static_selectorELNS0_4arch9wavefront6targetE1EEEvT1_,"axG",@progbits,_ZN7rocprim17ROCPRIM_400000_NS6detail17trampoline_kernelINS0_14default_configENS1_25partition_config_selectorILNS1_17partition_subalgoE0EyNS0_10empty_typeEbEEZZNS1_14partition_implILS5_0ELb0ES3_jN6thrust23THRUST_200600_302600_NS6detail15normal_iteratorINSA_10device_ptrIyEEEEPS6_SG_NS0_5tupleIJNSA_16discard_iteratorINSA_11use_defaultEEESK_EEENSH_IJSG_SG_EEES6_PlJ7is_evenIyEEEE10hipError_tPvRmT3_T4_T5_T6_T7_T9_mT8_P12ihipStream_tbDpT10_ENKUlT_T0_E_clISt17integral_constantIbLb1EES19_EEDaS14_S15_EUlS14_E_NS1_11comp_targetILNS1_3genE2ELNS1_11target_archE906ELNS1_3gpuE6ELNS1_3repE0EEENS1_30default_config_static_selectorELNS0_4arch9wavefront6targetE1EEEvT1_,comdat
	.protected	_ZN7rocprim17ROCPRIM_400000_NS6detail17trampoline_kernelINS0_14default_configENS1_25partition_config_selectorILNS1_17partition_subalgoE0EyNS0_10empty_typeEbEEZZNS1_14partition_implILS5_0ELb0ES3_jN6thrust23THRUST_200600_302600_NS6detail15normal_iteratorINSA_10device_ptrIyEEEEPS6_SG_NS0_5tupleIJNSA_16discard_iteratorINSA_11use_defaultEEESK_EEENSH_IJSG_SG_EEES6_PlJ7is_evenIyEEEE10hipError_tPvRmT3_T4_T5_T6_T7_T9_mT8_P12ihipStream_tbDpT10_ENKUlT_T0_E_clISt17integral_constantIbLb1EES19_EEDaS14_S15_EUlS14_E_NS1_11comp_targetILNS1_3genE2ELNS1_11target_archE906ELNS1_3gpuE6ELNS1_3repE0EEENS1_30default_config_static_selectorELNS0_4arch9wavefront6targetE1EEEvT1_ ; -- Begin function _ZN7rocprim17ROCPRIM_400000_NS6detail17trampoline_kernelINS0_14default_configENS1_25partition_config_selectorILNS1_17partition_subalgoE0EyNS0_10empty_typeEbEEZZNS1_14partition_implILS5_0ELb0ES3_jN6thrust23THRUST_200600_302600_NS6detail15normal_iteratorINSA_10device_ptrIyEEEEPS6_SG_NS0_5tupleIJNSA_16discard_iteratorINSA_11use_defaultEEESK_EEENSH_IJSG_SG_EEES6_PlJ7is_evenIyEEEE10hipError_tPvRmT3_T4_T5_T6_T7_T9_mT8_P12ihipStream_tbDpT10_ENKUlT_T0_E_clISt17integral_constantIbLb1EES19_EEDaS14_S15_EUlS14_E_NS1_11comp_targetILNS1_3genE2ELNS1_11target_archE906ELNS1_3gpuE6ELNS1_3repE0EEENS1_30default_config_static_selectorELNS0_4arch9wavefront6targetE1EEEvT1_
	.globl	_ZN7rocprim17ROCPRIM_400000_NS6detail17trampoline_kernelINS0_14default_configENS1_25partition_config_selectorILNS1_17partition_subalgoE0EyNS0_10empty_typeEbEEZZNS1_14partition_implILS5_0ELb0ES3_jN6thrust23THRUST_200600_302600_NS6detail15normal_iteratorINSA_10device_ptrIyEEEEPS6_SG_NS0_5tupleIJNSA_16discard_iteratorINSA_11use_defaultEEESK_EEENSH_IJSG_SG_EEES6_PlJ7is_evenIyEEEE10hipError_tPvRmT3_T4_T5_T6_T7_T9_mT8_P12ihipStream_tbDpT10_ENKUlT_T0_E_clISt17integral_constantIbLb1EES19_EEDaS14_S15_EUlS14_E_NS1_11comp_targetILNS1_3genE2ELNS1_11target_archE906ELNS1_3gpuE6ELNS1_3repE0EEENS1_30default_config_static_selectorELNS0_4arch9wavefront6targetE1EEEvT1_
	.p2align	8
	.type	_ZN7rocprim17ROCPRIM_400000_NS6detail17trampoline_kernelINS0_14default_configENS1_25partition_config_selectorILNS1_17partition_subalgoE0EyNS0_10empty_typeEbEEZZNS1_14partition_implILS5_0ELb0ES3_jN6thrust23THRUST_200600_302600_NS6detail15normal_iteratorINSA_10device_ptrIyEEEEPS6_SG_NS0_5tupleIJNSA_16discard_iteratorINSA_11use_defaultEEESK_EEENSH_IJSG_SG_EEES6_PlJ7is_evenIyEEEE10hipError_tPvRmT3_T4_T5_T6_T7_T9_mT8_P12ihipStream_tbDpT10_ENKUlT_T0_E_clISt17integral_constantIbLb1EES19_EEDaS14_S15_EUlS14_E_NS1_11comp_targetILNS1_3genE2ELNS1_11target_archE906ELNS1_3gpuE6ELNS1_3repE0EEENS1_30default_config_static_selectorELNS0_4arch9wavefront6targetE1EEEvT1_,@function
_ZN7rocprim17ROCPRIM_400000_NS6detail17trampoline_kernelINS0_14default_configENS1_25partition_config_selectorILNS1_17partition_subalgoE0EyNS0_10empty_typeEbEEZZNS1_14partition_implILS5_0ELb0ES3_jN6thrust23THRUST_200600_302600_NS6detail15normal_iteratorINSA_10device_ptrIyEEEEPS6_SG_NS0_5tupleIJNSA_16discard_iteratorINSA_11use_defaultEEESK_EEENSH_IJSG_SG_EEES6_PlJ7is_evenIyEEEE10hipError_tPvRmT3_T4_T5_T6_T7_T9_mT8_P12ihipStream_tbDpT10_ENKUlT_T0_E_clISt17integral_constantIbLb1EES19_EEDaS14_S15_EUlS14_E_NS1_11comp_targetILNS1_3genE2ELNS1_11target_archE906ELNS1_3gpuE6ELNS1_3repE0EEENS1_30default_config_static_selectorELNS0_4arch9wavefront6targetE1EEEvT1_: ; @_ZN7rocprim17ROCPRIM_400000_NS6detail17trampoline_kernelINS0_14default_configENS1_25partition_config_selectorILNS1_17partition_subalgoE0EyNS0_10empty_typeEbEEZZNS1_14partition_implILS5_0ELb0ES3_jN6thrust23THRUST_200600_302600_NS6detail15normal_iteratorINSA_10device_ptrIyEEEEPS6_SG_NS0_5tupleIJNSA_16discard_iteratorINSA_11use_defaultEEESK_EEENSH_IJSG_SG_EEES6_PlJ7is_evenIyEEEE10hipError_tPvRmT3_T4_T5_T6_T7_T9_mT8_P12ihipStream_tbDpT10_ENKUlT_T0_E_clISt17integral_constantIbLb1EES19_EEDaS14_S15_EUlS14_E_NS1_11comp_targetILNS1_3genE2ELNS1_11target_archE906ELNS1_3gpuE6ELNS1_3repE0EEENS1_30default_config_static_selectorELNS0_4arch9wavefront6targetE1EEEvT1_
; %bb.0:
	.section	.rodata,"a",@progbits
	.p2align	6, 0x0
	.amdhsa_kernel _ZN7rocprim17ROCPRIM_400000_NS6detail17trampoline_kernelINS0_14default_configENS1_25partition_config_selectorILNS1_17partition_subalgoE0EyNS0_10empty_typeEbEEZZNS1_14partition_implILS5_0ELb0ES3_jN6thrust23THRUST_200600_302600_NS6detail15normal_iteratorINSA_10device_ptrIyEEEEPS6_SG_NS0_5tupleIJNSA_16discard_iteratorINSA_11use_defaultEEESK_EEENSH_IJSG_SG_EEES6_PlJ7is_evenIyEEEE10hipError_tPvRmT3_T4_T5_T6_T7_T9_mT8_P12ihipStream_tbDpT10_ENKUlT_T0_E_clISt17integral_constantIbLb1EES19_EEDaS14_S15_EUlS14_E_NS1_11comp_targetILNS1_3genE2ELNS1_11target_archE906ELNS1_3gpuE6ELNS1_3repE0EEENS1_30default_config_static_selectorELNS0_4arch9wavefront6targetE1EEEvT1_
		.amdhsa_group_segment_fixed_size 0
		.amdhsa_private_segment_fixed_size 0
		.amdhsa_kernarg_size 152
		.amdhsa_user_sgpr_count 2
		.amdhsa_user_sgpr_dispatch_ptr 0
		.amdhsa_user_sgpr_queue_ptr 0
		.amdhsa_user_sgpr_kernarg_segment_ptr 1
		.amdhsa_user_sgpr_dispatch_id 0
		.amdhsa_user_sgpr_kernarg_preload_length 0
		.amdhsa_user_sgpr_kernarg_preload_offset 0
		.amdhsa_user_sgpr_private_segment_size 0
		.amdhsa_uses_dynamic_stack 0
		.amdhsa_enable_private_segment 0
		.amdhsa_system_sgpr_workgroup_id_x 1
		.amdhsa_system_sgpr_workgroup_id_y 0
		.amdhsa_system_sgpr_workgroup_id_z 0
		.amdhsa_system_sgpr_workgroup_info 0
		.amdhsa_system_vgpr_workitem_id 0
		.amdhsa_next_free_vgpr 1
		.amdhsa_next_free_sgpr 0
		.amdhsa_accum_offset 4
		.amdhsa_reserve_vcc 0
		.amdhsa_float_round_mode_32 0
		.amdhsa_float_round_mode_16_64 0
		.amdhsa_float_denorm_mode_32 3
		.amdhsa_float_denorm_mode_16_64 3
		.amdhsa_dx10_clamp 1
		.amdhsa_ieee_mode 1
		.amdhsa_fp16_overflow 0
		.amdhsa_tg_split 0
		.amdhsa_exception_fp_ieee_invalid_op 0
		.amdhsa_exception_fp_denorm_src 0
		.amdhsa_exception_fp_ieee_div_zero 0
		.amdhsa_exception_fp_ieee_overflow 0
		.amdhsa_exception_fp_ieee_underflow 0
		.amdhsa_exception_fp_ieee_inexact 0
		.amdhsa_exception_int_div_zero 0
	.end_amdhsa_kernel
	.section	.text._ZN7rocprim17ROCPRIM_400000_NS6detail17trampoline_kernelINS0_14default_configENS1_25partition_config_selectorILNS1_17partition_subalgoE0EyNS0_10empty_typeEbEEZZNS1_14partition_implILS5_0ELb0ES3_jN6thrust23THRUST_200600_302600_NS6detail15normal_iteratorINSA_10device_ptrIyEEEEPS6_SG_NS0_5tupleIJNSA_16discard_iteratorINSA_11use_defaultEEESK_EEENSH_IJSG_SG_EEES6_PlJ7is_evenIyEEEE10hipError_tPvRmT3_T4_T5_T6_T7_T9_mT8_P12ihipStream_tbDpT10_ENKUlT_T0_E_clISt17integral_constantIbLb1EES19_EEDaS14_S15_EUlS14_E_NS1_11comp_targetILNS1_3genE2ELNS1_11target_archE906ELNS1_3gpuE6ELNS1_3repE0EEENS1_30default_config_static_selectorELNS0_4arch9wavefront6targetE1EEEvT1_,"axG",@progbits,_ZN7rocprim17ROCPRIM_400000_NS6detail17trampoline_kernelINS0_14default_configENS1_25partition_config_selectorILNS1_17partition_subalgoE0EyNS0_10empty_typeEbEEZZNS1_14partition_implILS5_0ELb0ES3_jN6thrust23THRUST_200600_302600_NS6detail15normal_iteratorINSA_10device_ptrIyEEEEPS6_SG_NS0_5tupleIJNSA_16discard_iteratorINSA_11use_defaultEEESK_EEENSH_IJSG_SG_EEES6_PlJ7is_evenIyEEEE10hipError_tPvRmT3_T4_T5_T6_T7_T9_mT8_P12ihipStream_tbDpT10_ENKUlT_T0_E_clISt17integral_constantIbLb1EES19_EEDaS14_S15_EUlS14_E_NS1_11comp_targetILNS1_3genE2ELNS1_11target_archE906ELNS1_3gpuE6ELNS1_3repE0EEENS1_30default_config_static_selectorELNS0_4arch9wavefront6targetE1EEEvT1_,comdat
.Lfunc_end2311:
	.size	_ZN7rocprim17ROCPRIM_400000_NS6detail17trampoline_kernelINS0_14default_configENS1_25partition_config_selectorILNS1_17partition_subalgoE0EyNS0_10empty_typeEbEEZZNS1_14partition_implILS5_0ELb0ES3_jN6thrust23THRUST_200600_302600_NS6detail15normal_iteratorINSA_10device_ptrIyEEEEPS6_SG_NS0_5tupleIJNSA_16discard_iteratorINSA_11use_defaultEEESK_EEENSH_IJSG_SG_EEES6_PlJ7is_evenIyEEEE10hipError_tPvRmT3_T4_T5_T6_T7_T9_mT8_P12ihipStream_tbDpT10_ENKUlT_T0_E_clISt17integral_constantIbLb1EES19_EEDaS14_S15_EUlS14_E_NS1_11comp_targetILNS1_3genE2ELNS1_11target_archE906ELNS1_3gpuE6ELNS1_3repE0EEENS1_30default_config_static_selectorELNS0_4arch9wavefront6targetE1EEEvT1_, .Lfunc_end2311-_ZN7rocprim17ROCPRIM_400000_NS6detail17trampoline_kernelINS0_14default_configENS1_25partition_config_selectorILNS1_17partition_subalgoE0EyNS0_10empty_typeEbEEZZNS1_14partition_implILS5_0ELb0ES3_jN6thrust23THRUST_200600_302600_NS6detail15normal_iteratorINSA_10device_ptrIyEEEEPS6_SG_NS0_5tupleIJNSA_16discard_iteratorINSA_11use_defaultEEESK_EEENSH_IJSG_SG_EEES6_PlJ7is_evenIyEEEE10hipError_tPvRmT3_T4_T5_T6_T7_T9_mT8_P12ihipStream_tbDpT10_ENKUlT_T0_E_clISt17integral_constantIbLb1EES19_EEDaS14_S15_EUlS14_E_NS1_11comp_targetILNS1_3genE2ELNS1_11target_archE906ELNS1_3gpuE6ELNS1_3repE0EEENS1_30default_config_static_selectorELNS0_4arch9wavefront6targetE1EEEvT1_
                                        ; -- End function
	.section	.AMDGPU.csdata,"",@progbits
; Kernel info:
; codeLenInByte = 0
; NumSgprs: 6
; NumVgprs: 0
; NumAgprs: 0
; TotalNumVgprs: 0
; ScratchSize: 0
; MemoryBound: 0
; FloatMode: 240
; IeeeMode: 1
; LDSByteSize: 0 bytes/workgroup (compile time only)
; SGPRBlocks: 0
; VGPRBlocks: 0
; NumSGPRsForWavesPerEU: 6
; NumVGPRsForWavesPerEU: 1
; AccumOffset: 4
; Occupancy: 8
; WaveLimiterHint : 0
; COMPUTE_PGM_RSRC2:SCRATCH_EN: 0
; COMPUTE_PGM_RSRC2:USER_SGPR: 2
; COMPUTE_PGM_RSRC2:TRAP_HANDLER: 0
; COMPUTE_PGM_RSRC2:TGID_X_EN: 1
; COMPUTE_PGM_RSRC2:TGID_Y_EN: 0
; COMPUTE_PGM_RSRC2:TGID_Z_EN: 0
; COMPUTE_PGM_RSRC2:TIDIG_COMP_CNT: 0
; COMPUTE_PGM_RSRC3_GFX90A:ACCUM_OFFSET: 0
; COMPUTE_PGM_RSRC3_GFX90A:TG_SPLIT: 0
	.section	.text._ZN7rocprim17ROCPRIM_400000_NS6detail17trampoline_kernelINS0_14default_configENS1_25partition_config_selectorILNS1_17partition_subalgoE0EyNS0_10empty_typeEbEEZZNS1_14partition_implILS5_0ELb0ES3_jN6thrust23THRUST_200600_302600_NS6detail15normal_iteratorINSA_10device_ptrIyEEEEPS6_SG_NS0_5tupleIJNSA_16discard_iteratorINSA_11use_defaultEEESK_EEENSH_IJSG_SG_EEES6_PlJ7is_evenIyEEEE10hipError_tPvRmT3_T4_T5_T6_T7_T9_mT8_P12ihipStream_tbDpT10_ENKUlT_T0_E_clISt17integral_constantIbLb1EES19_EEDaS14_S15_EUlS14_E_NS1_11comp_targetILNS1_3genE10ELNS1_11target_archE1200ELNS1_3gpuE4ELNS1_3repE0EEENS1_30default_config_static_selectorELNS0_4arch9wavefront6targetE1EEEvT1_,"axG",@progbits,_ZN7rocprim17ROCPRIM_400000_NS6detail17trampoline_kernelINS0_14default_configENS1_25partition_config_selectorILNS1_17partition_subalgoE0EyNS0_10empty_typeEbEEZZNS1_14partition_implILS5_0ELb0ES3_jN6thrust23THRUST_200600_302600_NS6detail15normal_iteratorINSA_10device_ptrIyEEEEPS6_SG_NS0_5tupleIJNSA_16discard_iteratorINSA_11use_defaultEEESK_EEENSH_IJSG_SG_EEES6_PlJ7is_evenIyEEEE10hipError_tPvRmT3_T4_T5_T6_T7_T9_mT8_P12ihipStream_tbDpT10_ENKUlT_T0_E_clISt17integral_constantIbLb1EES19_EEDaS14_S15_EUlS14_E_NS1_11comp_targetILNS1_3genE10ELNS1_11target_archE1200ELNS1_3gpuE4ELNS1_3repE0EEENS1_30default_config_static_selectorELNS0_4arch9wavefront6targetE1EEEvT1_,comdat
	.protected	_ZN7rocprim17ROCPRIM_400000_NS6detail17trampoline_kernelINS0_14default_configENS1_25partition_config_selectorILNS1_17partition_subalgoE0EyNS0_10empty_typeEbEEZZNS1_14partition_implILS5_0ELb0ES3_jN6thrust23THRUST_200600_302600_NS6detail15normal_iteratorINSA_10device_ptrIyEEEEPS6_SG_NS0_5tupleIJNSA_16discard_iteratorINSA_11use_defaultEEESK_EEENSH_IJSG_SG_EEES6_PlJ7is_evenIyEEEE10hipError_tPvRmT3_T4_T5_T6_T7_T9_mT8_P12ihipStream_tbDpT10_ENKUlT_T0_E_clISt17integral_constantIbLb1EES19_EEDaS14_S15_EUlS14_E_NS1_11comp_targetILNS1_3genE10ELNS1_11target_archE1200ELNS1_3gpuE4ELNS1_3repE0EEENS1_30default_config_static_selectorELNS0_4arch9wavefront6targetE1EEEvT1_ ; -- Begin function _ZN7rocprim17ROCPRIM_400000_NS6detail17trampoline_kernelINS0_14default_configENS1_25partition_config_selectorILNS1_17partition_subalgoE0EyNS0_10empty_typeEbEEZZNS1_14partition_implILS5_0ELb0ES3_jN6thrust23THRUST_200600_302600_NS6detail15normal_iteratorINSA_10device_ptrIyEEEEPS6_SG_NS0_5tupleIJNSA_16discard_iteratorINSA_11use_defaultEEESK_EEENSH_IJSG_SG_EEES6_PlJ7is_evenIyEEEE10hipError_tPvRmT3_T4_T5_T6_T7_T9_mT8_P12ihipStream_tbDpT10_ENKUlT_T0_E_clISt17integral_constantIbLb1EES19_EEDaS14_S15_EUlS14_E_NS1_11comp_targetILNS1_3genE10ELNS1_11target_archE1200ELNS1_3gpuE4ELNS1_3repE0EEENS1_30default_config_static_selectorELNS0_4arch9wavefront6targetE1EEEvT1_
	.globl	_ZN7rocprim17ROCPRIM_400000_NS6detail17trampoline_kernelINS0_14default_configENS1_25partition_config_selectorILNS1_17partition_subalgoE0EyNS0_10empty_typeEbEEZZNS1_14partition_implILS5_0ELb0ES3_jN6thrust23THRUST_200600_302600_NS6detail15normal_iteratorINSA_10device_ptrIyEEEEPS6_SG_NS0_5tupleIJNSA_16discard_iteratorINSA_11use_defaultEEESK_EEENSH_IJSG_SG_EEES6_PlJ7is_evenIyEEEE10hipError_tPvRmT3_T4_T5_T6_T7_T9_mT8_P12ihipStream_tbDpT10_ENKUlT_T0_E_clISt17integral_constantIbLb1EES19_EEDaS14_S15_EUlS14_E_NS1_11comp_targetILNS1_3genE10ELNS1_11target_archE1200ELNS1_3gpuE4ELNS1_3repE0EEENS1_30default_config_static_selectorELNS0_4arch9wavefront6targetE1EEEvT1_
	.p2align	8
	.type	_ZN7rocprim17ROCPRIM_400000_NS6detail17trampoline_kernelINS0_14default_configENS1_25partition_config_selectorILNS1_17partition_subalgoE0EyNS0_10empty_typeEbEEZZNS1_14partition_implILS5_0ELb0ES3_jN6thrust23THRUST_200600_302600_NS6detail15normal_iteratorINSA_10device_ptrIyEEEEPS6_SG_NS0_5tupleIJNSA_16discard_iteratorINSA_11use_defaultEEESK_EEENSH_IJSG_SG_EEES6_PlJ7is_evenIyEEEE10hipError_tPvRmT3_T4_T5_T6_T7_T9_mT8_P12ihipStream_tbDpT10_ENKUlT_T0_E_clISt17integral_constantIbLb1EES19_EEDaS14_S15_EUlS14_E_NS1_11comp_targetILNS1_3genE10ELNS1_11target_archE1200ELNS1_3gpuE4ELNS1_3repE0EEENS1_30default_config_static_selectorELNS0_4arch9wavefront6targetE1EEEvT1_,@function
_ZN7rocprim17ROCPRIM_400000_NS6detail17trampoline_kernelINS0_14default_configENS1_25partition_config_selectorILNS1_17partition_subalgoE0EyNS0_10empty_typeEbEEZZNS1_14partition_implILS5_0ELb0ES3_jN6thrust23THRUST_200600_302600_NS6detail15normal_iteratorINSA_10device_ptrIyEEEEPS6_SG_NS0_5tupleIJNSA_16discard_iteratorINSA_11use_defaultEEESK_EEENSH_IJSG_SG_EEES6_PlJ7is_evenIyEEEE10hipError_tPvRmT3_T4_T5_T6_T7_T9_mT8_P12ihipStream_tbDpT10_ENKUlT_T0_E_clISt17integral_constantIbLb1EES19_EEDaS14_S15_EUlS14_E_NS1_11comp_targetILNS1_3genE10ELNS1_11target_archE1200ELNS1_3gpuE4ELNS1_3repE0EEENS1_30default_config_static_selectorELNS0_4arch9wavefront6targetE1EEEvT1_: ; @_ZN7rocprim17ROCPRIM_400000_NS6detail17trampoline_kernelINS0_14default_configENS1_25partition_config_selectorILNS1_17partition_subalgoE0EyNS0_10empty_typeEbEEZZNS1_14partition_implILS5_0ELb0ES3_jN6thrust23THRUST_200600_302600_NS6detail15normal_iteratorINSA_10device_ptrIyEEEEPS6_SG_NS0_5tupleIJNSA_16discard_iteratorINSA_11use_defaultEEESK_EEENSH_IJSG_SG_EEES6_PlJ7is_evenIyEEEE10hipError_tPvRmT3_T4_T5_T6_T7_T9_mT8_P12ihipStream_tbDpT10_ENKUlT_T0_E_clISt17integral_constantIbLb1EES19_EEDaS14_S15_EUlS14_E_NS1_11comp_targetILNS1_3genE10ELNS1_11target_archE1200ELNS1_3gpuE4ELNS1_3repE0EEENS1_30default_config_static_selectorELNS0_4arch9wavefront6targetE1EEEvT1_
; %bb.0:
	.section	.rodata,"a",@progbits
	.p2align	6, 0x0
	.amdhsa_kernel _ZN7rocprim17ROCPRIM_400000_NS6detail17trampoline_kernelINS0_14default_configENS1_25partition_config_selectorILNS1_17partition_subalgoE0EyNS0_10empty_typeEbEEZZNS1_14partition_implILS5_0ELb0ES3_jN6thrust23THRUST_200600_302600_NS6detail15normal_iteratorINSA_10device_ptrIyEEEEPS6_SG_NS0_5tupleIJNSA_16discard_iteratorINSA_11use_defaultEEESK_EEENSH_IJSG_SG_EEES6_PlJ7is_evenIyEEEE10hipError_tPvRmT3_T4_T5_T6_T7_T9_mT8_P12ihipStream_tbDpT10_ENKUlT_T0_E_clISt17integral_constantIbLb1EES19_EEDaS14_S15_EUlS14_E_NS1_11comp_targetILNS1_3genE10ELNS1_11target_archE1200ELNS1_3gpuE4ELNS1_3repE0EEENS1_30default_config_static_selectorELNS0_4arch9wavefront6targetE1EEEvT1_
		.amdhsa_group_segment_fixed_size 0
		.amdhsa_private_segment_fixed_size 0
		.amdhsa_kernarg_size 152
		.amdhsa_user_sgpr_count 2
		.amdhsa_user_sgpr_dispatch_ptr 0
		.amdhsa_user_sgpr_queue_ptr 0
		.amdhsa_user_sgpr_kernarg_segment_ptr 1
		.amdhsa_user_sgpr_dispatch_id 0
		.amdhsa_user_sgpr_kernarg_preload_length 0
		.amdhsa_user_sgpr_kernarg_preload_offset 0
		.amdhsa_user_sgpr_private_segment_size 0
		.amdhsa_uses_dynamic_stack 0
		.amdhsa_enable_private_segment 0
		.amdhsa_system_sgpr_workgroup_id_x 1
		.amdhsa_system_sgpr_workgroup_id_y 0
		.amdhsa_system_sgpr_workgroup_id_z 0
		.amdhsa_system_sgpr_workgroup_info 0
		.amdhsa_system_vgpr_workitem_id 0
		.amdhsa_next_free_vgpr 1
		.amdhsa_next_free_sgpr 0
		.amdhsa_accum_offset 4
		.amdhsa_reserve_vcc 0
		.amdhsa_float_round_mode_32 0
		.amdhsa_float_round_mode_16_64 0
		.amdhsa_float_denorm_mode_32 3
		.amdhsa_float_denorm_mode_16_64 3
		.amdhsa_dx10_clamp 1
		.amdhsa_ieee_mode 1
		.amdhsa_fp16_overflow 0
		.amdhsa_tg_split 0
		.amdhsa_exception_fp_ieee_invalid_op 0
		.amdhsa_exception_fp_denorm_src 0
		.amdhsa_exception_fp_ieee_div_zero 0
		.amdhsa_exception_fp_ieee_overflow 0
		.amdhsa_exception_fp_ieee_underflow 0
		.amdhsa_exception_fp_ieee_inexact 0
		.amdhsa_exception_int_div_zero 0
	.end_amdhsa_kernel
	.section	.text._ZN7rocprim17ROCPRIM_400000_NS6detail17trampoline_kernelINS0_14default_configENS1_25partition_config_selectorILNS1_17partition_subalgoE0EyNS0_10empty_typeEbEEZZNS1_14partition_implILS5_0ELb0ES3_jN6thrust23THRUST_200600_302600_NS6detail15normal_iteratorINSA_10device_ptrIyEEEEPS6_SG_NS0_5tupleIJNSA_16discard_iteratorINSA_11use_defaultEEESK_EEENSH_IJSG_SG_EEES6_PlJ7is_evenIyEEEE10hipError_tPvRmT3_T4_T5_T6_T7_T9_mT8_P12ihipStream_tbDpT10_ENKUlT_T0_E_clISt17integral_constantIbLb1EES19_EEDaS14_S15_EUlS14_E_NS1_11comp_targetILNS1_3genE10ELNS1_11target_archE1200ELNS1_3gpuE4ELNS1_3repE0EEENS1_30default_config_static_selectorELNS0_4arch9wavefront6targetE1EEEvT1_,"axG",@progbits,_ZN7rocprim17ROCPRIM_400000_NS6detail17trampoline_kernelINS0_14default_configENS1_25partition_config_selectorILNS1_17partition_subalgoE0EyNS0_10empty_typeEbEEZZNS1_14partition_implILS5_0ELb0ES3_jN6thrust23THRUST_200600_302600_NS6detail15normal_iteratorINSA_10device_ptrIyEEEEPS6_SG_NS0_5tupleIJNSA_16discard_iteratorINSA_11use_defaultEEESK_EEENSH_IJSG_SG_EEES6_PlJ7is_evenIyEEEE10hipError_tPvRmT3_T4_T5_T6_T7_T9_mT8_P12ihipStream_tbDpT10_ENKUlT_T0_E_clISt17integral_constantIbLb1EES19_EEDaS14_S15_EUlS14_E_NS1_11comp_targetILNS1_3genE10ELNS1_11target_archE1200ELNS1_3gpuE4ELNS1_3repE0EEENS1_30default_config_static_selectorELNS0_4arch9wavefront6targetE1EEEvT1_,comdat
.Lfunc_end2312:
	.size	_ZN7rocprim17ROCPRIM_400000_NS6detail17trampoline_kernelINS0_14default_configENS1_25partition_config_selectorILNS1_17partition_subalgoE0EyNS0_10empty_typeEbEEZZNS1_14partition_implILS5_0ELb0ES3_jN6thrust23THRUST_200600_302600_NS6detail15normal_iteratorINSA_10device_ptrIyEEEEPS6_SG_NS0_5tupleIJNSA_16discard_iteratorINSA_11use_defaultEEESK_EEENSH_IJSG_SG_EEES6_PlJ7is_evenIyEEEE10hipError_tPvRmT3_T4_T5_T6_T7_T9_mT8_P12ihipStream_tbDpT10_ENKUlT_T0_E_clISt17integral_constantIbLb1EES19_EEDaS14_S15_EUlS14_E_NS1_11comp_targetILNS1_3genE10ELNS1_11target_archE1200ELNS1_3gpuE4ELNS1_3repE0EEENS1_30default_config_static_selectorELNS0_4arch9wavefront6targetE1EEEvT1_, .Lfunc_end2312-_ZN7rocprim17ROCPRIM_400000_NS6detail17trampoline_kernelINS0_14default_configENS1_25partition_config_selectorILNS1_17partition_subalgoE0EyNS0_10empty_typeEbEEZZNS1_14partition_implILS5_0ELb0ES3_jN6thrust23THRUST_200600_302600_NS6detail15normal_iteratorINSA_10device_ptrIyEEEEPS6_SG_NS0_5tupleIJNSA_16discard_iteratorINSA_11use_defaultEEESK_EEENSH_IJSG_SG_EEES6_PlJ7is_evenIyEEEE10hipError_tPvRmT3_T4_T5_T6_T7_T9_mT8_P12ihipStream_tbDpT10_ENKUlT_T0_E_clISt17integral_constantIbLb1EES19_EEDaS14_S15_EUlS14_E_NS1_11comp_targetILNS1_3genE10ELNS1_11target_archE1200ELNS1_3gpuE4ELNS1_3repE0EEENS1_30default_config_static_selectorELNS0_4arch9wavefront6targetE1EEEvT1_
                                        ; -- End function
	.section	.AMDGPU.csdata,"",@progbits
; Kernel info:
; codeLenInByte = 0
; NumSgprs: 6
; NumVgprs: 0
; NumAgprs: 0
; TotalNumVgprs: 0
; ScratchSize: 0
; MemoryBound: 0
; FloatMode: 240
; IeeeMode: 1
; LDSByteSize: 0 bytes/workgroup (compile time only)
; SGPRBlocks: 0
; VGPRBlocks: 0
; NumSGPRsForWavesPerEU: 6
; NumVGPRsForWavesPerEU: 1
; AccumOffset: 4
; Occupancy: 8
; WaveLimiterHint : 0
; COMPUTE_PGM_RSRC2:SCRATCH_EN: 0
; COMPUTE_PGM_RSRC2:USER_SGPR: 2
; COMPUTE_PGM_RSRC2:TRAP_HANDLER: 0
; COMPUTE_PGM_RSRC2:TGID_X_EN: 1
; COMPUTE_PGM_RSRC2:TGID_Y_EN: 0
; COMPUTE_PGM_RSRC2:TGID_Z_EN: 0
; COMPUTE_PGM_RSRC2:TIDIG_COMP_CNT: 0
; COMPUTE_PGM_RSRC3_GFX90A:ACCUM_OFFSET: 0
; COMPUTE_PGM_RSRC3_GFX90A:TG_SPLIT: 0
	.section	.text._ZN7rocprim17ROCPRIM_400000_NS6detail17trampoline_kernelINS0_14default_configENS1_25partition_config_selectorILNS1_17partition_subalgoE0EyNS0_10empty_typeEbEEZZNS1_14partition_implILS5_0ELb0ES3_jN6thrust23THRUST_200600_302600_NS6detail15normal_iteratorINSA_10device_ptrIyEEEEPS6_SG_NS0_5tupleIJNSA_16discard_iteratorINSA_11use_defaultEEESK_EEENSH_IJSG_SG_EEES6_PlJ7is_evenIyEEEE10hipError_tPvRmT3_T4_T5_T6_T7_T9_mT8_P12ihipStream_tbDpT10_ENKUlT_T0_E_clISt17integral_constantIbLb1EES19_EEDaS14_S15_EUlS14_E_NS1_11comp_targetILNS1_3genE9ELNS1_11target_archE1100ELNS1_3gpuE3ELNS1_3repE0EEENS1_30default_config_static_selectorELNS0_4arch9wavefront6targetE1EEEvT1_,"axG",@progbits,_ZN7rocprim17ROCPRIM_400000_NS6detail17trampoline_kernelINS0_14default_configENS1_25partition_config_selectorILNS1_17partition_subalgoE0EyNS0_10empty_typeEbEEZZNS1_14partition_implILS5_0ELb0ES3_jN6thrust23THRUST_200600_302600_NS6detail15normal_iteratorINSA_10device_ptrIyEEEEPS6_SG_NS0_5tupleIJNSA_16discard_iteratorINSA_11use_defaultEEESK_EEENSH_IJSG_SG_EEES6_PlJ7is_evenIyEEEE10hipError_tPvRmT3_T4_T5_T6_T7_T9_mT8_P12ihipStream_tbDpT10_ENKUlT_T0_E_clISt17integral_constantIbLb1EES19_EEDaS14_S15_EUlS14_E_NS1_11comp_targetILNS1_3genE9ELNS1_11target_archE1100ELNS1_3gpuE3ELNS1_3repE0EEENS1_30default_config_static_selectorELNS0_4arch9wavefront6targetE1EEEvT1_,comdat
	.protected	_ZN7rocprim17ROCPRIM_400000_NS6detail17trampoline_kernelINS0_14default_configENS1_25partition_config_selectorILNS1_17partition_subalgoE0EyNS0_10empty_typeEbEEZZNS1_14partition_implILS5_0ELb0ES3_jN6thrust23THRUST_200600_302600_NS6detail15normal_iteratorINSA_10device_ptrIyEEEEPS6_SG_NS0_5tupleIJNSA_16discard_iteratorINSA_11use_defaultEEESK_EEENSH_IJSG_SG_EEES6_PlJ7is_evenIyEEEE10hipError_tPvRmT3_T4_T5_T6_T7_T9_mT8_P12ihipStream_tbDpT10_ENKUlT_T0_E_clISt17integral_constantIbLb1EES19_EEDaS14_S15_EUlS14_E_NS1_11comp_targetILNS1_3genE9ELNS1_11target_archE1100ELNS1_3gpuE3ELNS1_3repE0EEENS1_30default_config_static_selectorELNS0_4arch9wavefront6targetE1EEEvT1_ ; -- Begin function _ZN7rocprim17ROCPRIM_400000_NS6detail17trampoline_kernelINS0_14default_configENS1_25partition_config_selectorILNS1_17partition_subalgoE0EyNS0_10empty_typeEbEEZZNS1_14partition_implILS5_0ELb0ES3_jN6thrust23THRUST_200600_302600_NS6detail15normal_iteratorINSA_10device_ptrIyEEEEPS6_SG_NS0_5tupleIJNSA_16discard_iteratorINSA_11use_defaultEEESK_EEENSH_IJSG_SG_EEES6_PlJ7is_evenIyEEEE10hipError_tPvRmT3_T4_T5_T6_T7_T9_mT8_P12ihipStream_tbDpT10_ENKUlT_T0_E_clISt17integral_constantIbLb1EES19_EEDaS14_S15_EUlS14_E_NS1_11comp_targetILNS1_3genE9ELNS1_11target_archE1100ELNS1_3gpuE3ELNS1_3repE0EEENS1_30default_config_static_selectorELNS0_4arch9wavefront6targetE1EEEvT1_
	.globl	_ZN7rocprim17ROCPRIM_400000_NS6detail17trampoline_kernelINS0_14default_configENS1_25partition_config_selectorILNS1_17partition_subalgoE0EyNS0_10empty_typeEbEEZZNS1_14partition_implILS5_0ELb0ES3_jN6thrust23THRUST_200600_302600_NS6detail15normal_iteratorINSA_10device_ptrIyEEEEPS6_SG_NS0_5tupleIJNSA_16discard_iteratorINSA_11use_defaultEEESK_EEENSH_IJSG_SG_EEES6_PlJ7is_evenIyEEEE10hipError_tPvRmT3_T4_T5_T6_T7_T9_mT8_P12ihipStream_tbDpT10_ENKUlT_T0_E_clISt17integral_constantIbLb1EES19_EEDaS14_S15_EUlS14_E_NS1_11comp_targetILNS1_3genE9ELNS1_11target_archE1100ELNS1_3gpuE3ELNS1_3repE0EEENS1_30default_config_static_selectorELNS0_4arch9wavefront6targetE1EEEvT1_
	.p2align	8
	.type	_ZN7rocprim17ROCPRIM_400000_NS6detail17trampoline_kernelINS0_14default_configENS1_25partition_config_selectorILNS1_17partition_subalgoE0EyNS0_10empty_typeEbEEZZNS1_14partition_implILS5_0ELb0ES3_jN6thrust23THRUST_200600_302600_NS6detail15normal_iteratorINSA_10device_ptrIyEEEEPS6_SG_NS0_5tupleIJNSA_16discard_iteratorINSA_11use_defaultEEESK_EEENSH_IJSG_SG_EEES6_PlJ7is_evenIyEEEE10hipError_tPvRmT3_T4_T5_T6_T7_T9_mT8_P12ihipStream_tbDpT10_ENKUlT_T0_E_clISt17integral_constantIbLb1EES19_EEDaS14_S15_EUlS14_E_NS1_11comp_targetILNS1_3genE9ELNS1_11target_archE1100ELNS1_3gpuE3ELNS1_3repE0EEENS1_30default_config_static_selectorELNS0_4arch9wavefront6targetE1EEEvT1_,@function
_ZN7rocprim17ROCPRIM_400000_NS6detail17trampoline_kernelINS0_14default_configENS1_25partition_config_selectorILNS1_17partition_subalgoE0EyNS0_10empty_typeEbEEZZNS1_14partition_implILS5_0ELb0ES3_jN6thrust23THRUST_200600_302600_NS6detail15normal_iteratorINSA_10device_ptrIyEEEEPS6_SG_NS0_5tupleIJNSA_16discard_iteratorINSA_11use_defaultEEESK_EEENSH_IJSG_SG_EEES6_PlJ7is_evenIyEEEE10hipError_tPvRmT3_T4_T5_T6_T7_T9_mT8_P12ihipStream_tbDpT10_ENKUlT_T0_E_clISt17integral_constantIbLb1EES19_EEDaS14_S15_EUlS14_E_NS1_11comp_targetILNS1_3genE9ELNS1_11target_archE1100ELNS1_3gpuE3ELNS1_3repE0EEENS1_30default_config_static_selectorELNS0_4arch9wavefront6targetE1EEEvT1_: ; @_ZN7rocprim17ROCPRIM_400000_NS6detail17trampoline_kernelINS0_14default_configENS1_25partition_config_selectorILNS1_17partition_subalgoE0EyNS0_10empty_typeEbEEZZNS1_14partition_implILS5_0ELb0ES3_jN6thrust23THRUST_200600_302600_NS6detail15normal_iteratorINSA_10device_ptrIyEEEEPS6_SG_NS0_5tupleIJNSA_16discard_iteratorINSA_11use_defaultEEESK_EEENSH_IJSG_SG_EEES6_PlJ7is_evenIyEEEE10hipError_tPvRmT3_T4_T5_T6_T7_T9_mT8_P12ihipStream_tbDpT10_ENKUlT_T0_E_clISt17integral_constantIbLb1EES19_EEDaS14_S15_EUlS14_E_NS1_11comp_targetILNS1_3genE9ELNS1_11target_archE1100ELNS1_3gpuE3ELNS1_3repE0EEENS1_30default_config_static_selectorELNS0_4arch9wavefront6targetE1EEEvT1_
; %bb.0:
	.section	.rodata,"a",@progbits
	.p2align	6, 0x0
	.amdhsa_kernel _ZN7rocprim17ROCPRIM_400000_NS6detail17trampoline_kernelINS0_14default_configENS1_25partition_config_selectorILNS1_17partition_subalgoE0EyNS0_10empty_typeEbEEZZNS1_14partition_implILS5_0ELb0ES3_jN6thrust23THRUST_200600_302600_NS6detail15normal_iteratorINSA_10device_ptrIyEEEEPS6_SG_NS0_5tupleIJNSA_16discard_iteratorINSA_11use_defaultEEESK_EEENSH_IJSG_SG_EEES6_PlJ7is_evenIyEEEE10hipError_tPvRmT3_T4_T5_T6_T7_T9_mT8_P12ihipStream_tbDpT10_ENKUlT_T0_E_clISt17integral_constantIbLb1EES19_EEDaS14_S15_EUlS14_E_NS1_11comp_targetILNS1_3genE9ELNS1_11target_archE1100ELNS1_3gpuE3ELNS1_3repE0EEENS1_30default_config_static_selectorELNS0_4arch9wavefront6targetE1EEEvT1_
		.amdhsa_group_segment_fixed_size 0
		.amdhsa_private_segment_fixed_size 0
		.amdhsa_kernarg_size 152
		.amdhsa_user_sgpr_count 2
		.amdhsa_user_sgpr_dispatch_ptr 0
		.amdhsa_user_sgpr_queue_ptr 0
		.amdhsa_user_sgpr_kernarg_segment_ptr 1
		.amdhsa_user_sgpr_dispatch_id 0
		.amdhsa_user_sgpr_kernarg_preload_length 0
		.amdhsa_user_sgpr_kernarg_preload_offset 0
		.amdhsa_user_sgpr_private_segment_size 0
		.amdhsa_uses_dynamic_stack 0
		.amdhsa_enable_private_segment 0
		.amdhsa_system_sgpr_workgroup_id_x 1
		.amdhsa_system_sgpr_workgroup_id_y 0
		.amdhsa_system_sgpr_workgroup_id_z 0
		.amdhsa_system_sgpr_workgroup_info 0
		.amdhsa_system_vgpr_workitem_id 0
		.amdhsa_next_free_vgpr 1
		.amdhsa_next_free_sgpr 0
		.amdhsa_accum_offset 4
		.amdhsa_reserve_vcc 0
		.amdhsa_float_round_mode_32 0
		.amdhsa_float_round_mode_16_64 0
		.amdhsa_float_denorm_mode_32 3
		.amdhsa_float_denorm_mode_16_64 3
		.amdhsa_dx10_clamp 1
		.amdhsa_ieee_mode 1
		.amdhsa_fp16_overflow 0
		.amdhsa_tg_split 0
		.amdhsa_exception_fp_ieee_invalid_op 0
		.amdhsa_exception_fp_denorm_src 0
		.amdhsa_exception_fp_ieee_div_zero 0
		.amdhsa_exception_fp_ieee_overflow 0
		.amdhsa_exception_fp_ieee_underflow 0
		.amdhsa_exception_fp_ieee_inexact 0
		.amdhsa_exception_int_div_zero 0
	.end_amdhsa_kernel
	.section	.text._ZN7rocprim17ROCPRIM_400000_NS6detail17trampoline_kernelINS0_14default_configENS1_25partition_config_selectorILNS1_17partition_subalgoE0EyNS0_10empty_typeEbEEZZNS1_14partition_implILS5_0ELb0ES3_jN6thrust23THRUST_200600_302600_NS6detail15normal_iteratorINSA_10device_ptrIyEEEEPS6_SG_NS0_5tupleIJNSA_16discard_iteratorINSA_11use_defaultEEESK_EEENSH_IJSG_SG_EEES6_PlJ7is_evenIyEEEE10hipError_tPvRmT3_T4_T5_T6_T7_T9_mT8_P12ihipStream_tbDpT10_ENKUlT_T0_E_clISt17integral_constantIbLb1EES19_EEDaS14_S15_EUlS14_E_NS1_11comp_targetILNS1_3genE9ELNS1_11target_archE1100ELNS1_3gpuE3ELNS1_3repE0EEENS1_30default_config_static_selectorELNS0_4arch9wavefront6targetE1EEEvT1_,"axG",@progbits,_ZN7rocprim17ROCPRIM_400000_NS6detail17trampoline_kernelINS0_14default_configENS1_25partition_config_selectorILNS1_17partition_subalgoE0EyNS0_10empty_typeEbEEZZNS1_14partition_implILS5_0ELb0ES3_jN6thrust23THRUST_200600_302600_NS6detail15normal_iteratorINSA_10device_ptrIyEEEEPS6_SG_NS0_5tupleIJNSA_16discard_iteratorINSA_11use_defaultEEESK_EEENSH_IJSG_SG_EEES6_PlJ7is_evenIyEEEE10hipError_tPvRmT3_T4_T5_T6_T7_T9_mT8_P12ihipStream_tbDpT10_ENKUlT_T0_E_clISt17integral_constantIbLb1EES19_EEDaS14_S15_EUlS14_E_NS1_11comp_targetILNS1_3genE9ELNS1_11target_archE1100ELNS1_3gpuE3ELNS1_3repE0EEENS1_30default_config_static_selectorELNS0_4arch9wavefront6targetE1EEEvT1_,comdat
.Lfunc_end2313:
	.size	_ZN7rocprim17ROCPRIM_400000_NS6detail17trampoline_kernelINS0_14default_configENS1_25partition_config_selectorILNS1_17partition_subalgoE0EyNS0_10empty_typeEbEEZZNS1_14partition_implILS5_0ELb0ES3_jN6thrust23THRUST_200600_302600_NS6detail15normal_iteratorINSA_10device_ptrIyEEEEPS6_SG_NS0_5tupleIJNSA_16discard_iteratorINSA_11use_defaultEEESK_EEENSH_IJSG_SG_EEES6_PlJ7is_evenIyEEEE10hipError_tPvRmT3_T4_T5_T6_T7_T9_mT8_P12ihipStream_tbDpT10_ENKUlT_T0_E_clISt17integral_constantIbLb1EES19_EEDaS14_S15_EUlS14_E_NS1_11comp_targetILNS1_3genE9ELNS1_11target_archE1100ELNS1_3gpuE3ELNS1_3repE0EEENS1_30default_config_static_selectorELNS0_4arch9wavefront6targetE1EEEvT1_, .Lfunc_end2313-_ZN7rocprim17ROCPRIM_400000_NS6detail17trampoline_kernelINS0_14default_configENS1_25partition_config_selectorILNS1_17partition_subalgoE0EyNS0_10empty_typeEbEEZZNS1_14partition_implILS5_0ELb0ES3_jN6thrust23THRUST_200600_302600_NS6detail15normal_iteratorINSA_10device_ptrIyEEEEPS6_SG_NS0_5tupleIJNSA_16discard_iteratorINSA_11use_defaultEEESK_EEENSH_IJSG_SG_EEES6_PlJ7is_evenIyEEEE10hipError_tPvRmT3_T4_T5_T6_T7_T9_mT8_P12ihipStream_tbDpT10_ENKUlT_T0_E_clISt17integral_constantIbLb1EES19_EEDaS14_S15_EUlS14_E_NS1_11comp_targetILNS1_3genE9ELNS1_11target_archE1100ELNS1_3gpuE3ELNS1_3repE0EEENS1_30default_config_static_selectorELNS0_4arch9wavefront6targetE1EEEvT1_
                                        ; -- End function
	.section	.AMDGPU.csdata,"",@progbits
; Kernel info:
; codeLenInByte = 0
; NumSgprs: 6
; NumVgprs: 0
; NumAgprs: 0
; TotalNumVgprs: 0
; ScratchSize: 0
; MemoryBound: 0
; FloatMode: 240
; IeeeMode: 1
; LDSByteSize: 0 bytes/workgroup (compile time only)
; SGPRBlocks: 0
; VGPRBlocks: 0
; NumSGPRsForWavesPerEU: 6
; NumVGPRsForWavesPerEU: 1
; AccumOffset: 4
; Occupancy: 8
; WaveLimiterHint : 0
; COMPUTE_PGM_RSRC2:SCRATCH_EN: 0
; COMPUTE_PGM_RSRC2:USER_SGPR: 2
; COMPUTE_PGM_RSRC2:TRAP_HANDLER: 0
; COMPUTE_PGM_RSRC2:TGID_X_EN: 1
; COMPUTE_PGM_RSRC2:TGID_Y_EN: 0
; COMPUTE_PGM_RSRC2:TGID_Z_EN: 0
; COMPUTE_PGM_RSRC2:TIDIG_COMP_CNT: 0
; COMPUTE_PGM_RSRC3_GFX90A:ACCUM_OFFSET: 0
; COMPUTE_PGM_RSRC3_GFX90A:TG_SPLIT: 0
	.section	.text._ZN7rocprim17ROCPRIM_400000_NS6detail17trampoline_kernelINS0_14default_configENS1_25partition_config_selectorILNS1_17partition_subalgoE0EyNS0_10empty_typeEbEEZZNS1_14partition_implILS5_0ELb0ES3_jN6thrust23THRUST_200600_302600_NS6detail15normal_iteratorINSA_10device_ptrIyEEEEPS6_SG_NS0_5tupleIJNSA_16discard_iteratorINSA_11use_defaultEEESK_EEENSH_IJSG_SG_EEES6_PlJ7is_evenIyEEEE10hipError_tPvRmT3_T4_T5_T6_T7_T9_mT8_P12ihipStream_tbDpT10_ENKUlT_T0_E_clISt17integral_constantIbLb1EES19_EEDaS14_S15_EUlS14_E_NS1_11comp_targetILNS1_3genE8ELNS1_11target_archE1030ELNS1_3gpuE2ELNS1_3repE0EEENS1_30default_config_static_selectorELNS0_4arch9wavefront6targetE1EEEvT1_,"axG",@progbits,_ZN7rocprim17ROCPRIM_400000_NS6detail17trampoline_kernelINS0_14default_configENS1_25partition_config_selectorILNS1_17partition_subalgoE0EyNS0_10empty_typeEbEEZZNS1_14partition_implILS5_0ELb0ES3_jN6thrust23THRUST_200600_302600_NS6detail15normal_iteratorINSA_10device_ptrIyEEEEPS6_SG_NS0_5tupleIJNSA_16discard_iteratorINSA_11use_defaultEEESK_EEENSH_IJSG_SG_EEES6_PlJ7is_evenIyEEEE10hipError_tPvRmT3_T4_T5_T6_T7_T9_mT8_P12ihipStream_tbDpT10_ENKUlT_T0_E_clISt17integral_constantIbLb1EES19_EEDaS14_S15_EUlS14_E_NS1_11comp_targetILNS1_3genE8ELNS1_11target_archE1030ELNS1_3gpuE2ELNS1_3repE0EEENS1_30default_config_static_selectorELNS0_4arch9wavefront6targetE1EEEvT1_,comdat
	.protected	_ZN7rocprim17ROCPRIM_400000_NS6detail17trampoline_kernelINS0_14default_configENS1_25partition_config_selectorILNS1_17partition_subalgoE0EyNS0_10empty_typeEbEEZZNS1_14partition_implILS5_0ELb0ES3_jN6thrust23THRUST_200600_302600_NS6detail15normal_iteratorINSA_10device_ptrIyEEEEPS6_SG_NS0_5tupleIJNSA_16discard_iteratorINSA_11use_defaultEEESK_EEENSH_IJSG_SG_EEES6_PlJ7is_evenIyEEEE10hipError_tPvRmT3_T4_T5_T6_T7_T9_mT8_P12ihipStream_tbDpT10_ENKUlT_T0_E_clISt17integral_constantIbLb1EES19_EEDaS14_S15_EUlS14_E_NS1_11comp_targetILNS1_3genE8ELNS1_11target_archE1030ELNS1_3gpuE2ELNS1_3repE0EEENS1_30default_config_static_selectorELNS0_4arch9wavefront6targetE1EEEvT1_ ; -- Begin function _ZN7rocprim17ROCPRIM_400000_NS6detail17trampoline_kernelINS0_14default_configENS1_25partition_config_selectorILNS1_17partition_subalgoE0EyNS0_10empty_typeEbEEZZNS1_14partition_implILS5_0ELb0ES3_jN6thrust23THRUST_200600_302600_NS6detail15normal_iteratorINSA_10device_ptrIyEEEEPS6_SG_NS0_5tupleIJNSA_16discard_iteratorINSA_11use_defaultEEESK_EEENSH_IJSG_SG_EEES6_PlJ7is_evenIyEEEE10hipError_tPvRmT3_T4_T5_T6_T7_T9_mT8_P12ihipStream_tbDpT10_ENKUlT_T0_E_clISt17integral_constantIbLb1EES19_EEDaS14_S15_EUlS14_E_NS1_11comp_targetILNS1_3genE8ELNS1_11target_archE1030ELNS1_3gpuE2ELNS1_3repE0EEENS1_30default_config_static_selectorELNS0_4arch9wavefront6targetE1EEEvT1_
	.globl	_ZN7rocprim17ROCPRIM_400000_NS6detail17trampoline_kernelINS0_14default_configENS1_25partition_config_selectorILNS1_17partition_subalgoE0EyNS0_10empty_typeEbEEZZNS1_14partition_implILS5_0ELb0ES3_jN6thrust23THRUST_200600_302600_NS6detail15normal_iteratorINSA_10device_ptrIyEEEEPS6_SG_NS0_5tupleIJNSA_16discard_iteratorINSA_11use_defaultEEESK_EEENSH_IJSG_SG_EEES6_PlJ7is_evenIyEEEE10hipError_tPvRmT3_T4_T5_T6_T7_T9_mT8_P12ihipStream_tbDpT10_ENKUlT_T0_E_clISt17integral_constantIbLb1EES19_EEDaS14_S15_EUlS14_E_NS1_11comp_targetILNS1_3genE8ELNS1_11target_archE1030ELNS1_3gpuE2ELNS1_3repE0EEENS1_30default_config_static_selectorELNS0_4arch9wavefront6targetE1EEEvT1_
	.p2align	8
	.type	_ZN7rocprim17ROCPRIM_400000_NS6detail17trampoline_kernelINS0_14default_configENS1_25partition_config_selectorILNS1_17partition_subalgoE0EyNS0_10empty_typeEbEEZZNS1_14partition_implILS5_0ELb0ES3_jN6thrust23THRUST_200600_302600_NS6detail15normal_iteratorINSA_10device_ptrIyEEEEPS6_SG_NS0_5tupleIJNSA_16discard_iteratorINSA_11use_defaultEEESK_EEENSH_IJSG_SG_EEES6_PlJ7is_evenIyEEEE10hipError_tPvRmT3_T4_T5_T6_T7_T9_mT8_P12ihipStream_tbDpT10_ENKUlT_T0_E_clISt17integral_constantIbLb1EES19_EEDaS14_S15_EUlS14_E_NS1_11comp_targetILNS1_3genE8ELNS1_11target_archE1030ELNS1_3gpuE2ELNS1_3repE0EEENS1_30default_config_static_selectorELNS0_4arch9wavefront6targetE1EEEvT1_,@function
_ZN7rocprim17ROCPRIM_400000_NS6detail17trampoline_kernelINS0_14default_configENS1_25partition_config_selectorILNS1_17partition_subalgoE0EyNS0_10empty_typeEbEEZZNS1_14partition_implILS5_0ELb0ES3_jN6thrust23THRUST_200600_302600_NS6detail15normal_iteratorINSA_10device_ptrIyEEEEPS6_SG_NS0_5tupleIJNSA_16discard_iteratorINSA_11use_defaultEEESK_EEENSH_IJSG_SG_EEES6_PlJ7is_evenIyEEEE10hipError_tPvRmT3_T4_T5_T6_T7_T9_mT8_P12ihipStream_tbDpT10_ENKUlT_T0_E_clISt17integral_constantIbLb1EES19_EEDaS14_S15_EUlS14_E_NS1_11comp_targetILNS1_3genE8ELNS1_11target_archE1030ELNS1_3gpuE2ELNS1_3repE0EEENS1_30default_config_static_selectorELNS0_4arch9wavefront6targetE1EEEvT1_: ; @_ZN7rocprim17ROCPRIM_400000_NS6detail17trampoline_kernelINS0_14default_configENS1_25partition_config_selectorILNS1_17partition_subalgoE0EyNS0_10empty_typeEbEEZZNS1_14partition_implILS5_0ELb0ES3_jN6thrust23THRUST_200600_302600_NS6detail15normal_iteratorINSA_10device_ptrIyEEEEPS6_SG_NS0_5tupleIJNSA_16discard_iteratorINSA_11use_defaultEEESK_EEENSH_IJSG_SG_EEES6_PlJ7is_evenIyEEEE10hipError_tPvRmT3_T4_T5_T6_T7_T9_mT8_P12ihipStream_tbDpT10_ENKUlT_T0_E_clISt17integral_constantIbLb1EES19_EEDaS14_S15_EUlS14_E_NS1_11comp_targetILNS1_3genE8ELNS1_11target_archE1030ELNS1_3gpuE2ELNS1_3repE0EEENS1_30default_config_static_selectorELNS0_4arch9wavefront6targetE1EEEvT1_
; %bb.0:
	.section	.rodata,"a",@progbits
	.p2align	6, 0x0
	.amdhsa_kernel _ZN7rocprim17ROCPRIM_400000_NS6detail17trampoline_kernelINS0_14default_configENS1_25partition_config_selectorILNS1_17partition_subalgoE0EyNS0_10empty_typeEbEEZZNS1_14partition_implILS5_0ELb0ES3_jN6thrust23THRUST_200600_302600_NS6detail15normal_iteratorINSA_10device_ptrIyEEEEPS6_SG_NS0_5tupleIJNSA_16discard_iteratorINSA_11use_defaultEEESK_EEENSH_IJSG_SG_EEES6_PlJ7is_evenIyEEEE10hipError_tPvRmT3_T4_T5_T6_T7_T9_mT8_P12ihipStream_tbDpT10_ENKUlT_T0_E_clISt17integral_constantIbLb1EES19_EEDaS14_S15_EUlS14_E_NS1_11comp_targetILNS1_3genE8ELNS1_11target_archE1030ELNS1_3gpuE2ELNS1_3repE0EEENS1_30default_config_static_selectorELNS0_4arch9wavefront6targetE1EEEvT1_
		.amdhsa_group_segment_fixed_size 0
		.amdhsa_private_segment_fixed_size 0
		.amdhsa_kernarg_size 152
		.amdhsa_user_sgpr_count 2
		.amdhsa_user_sgpr_dispatch_ptr 0
		.amdhsa_user_sgpr_queue_ptr 0
		.amdhsa_user_sgpr_kernarg_segment_ptr 1
		.amdhsa_user_sgpr_dispatch_id 0
		.amdhsa_user_sgpr_kernarg_preload_length 0
		.amdhsa_user_sgpr_kernarg_preload_offset 0
		.amdhsa_user_sgpr_private_segment_size 0
		.amdhsa_uses_dynamic_stack 0
		.amdhsa_enable_private_segment 0
		.amdhsa_system_sgpr_workgroup_id_x 1
		.amdhsa_system_sgpr_workgroup_id_y 0
		.amdhsa_system_sgpr_workgroup_id_z 0
		.amdhsa_system_sgpr_workgroup_info 0
		.amdhsa_system_vgpr_workitem_id 0
		.amdhsa_next_free_vgpr 1
		.amdhsa_next_free_sgpr 0
		.amdhsa_accum_offset 4
		.amdhsa_reserve_vcc 0
		.amdhsa_float_round_mode_32 0
		.amdhsa_float_round_mode_16_64 0
		.amdhsa_float_denorm_mode_32 3
		.amdhsa_float_denorm_mode_16_64 3
		.amdhsa_dx10_clamp 1
		.amdhsa_ieee_mode 1
		.amdhsa_fp16_overflow 0
		.amdhsa_tg_split 0
		.amdhsa_exception_fp_ieee_invalid_op 0
		.amdhsa_exception_fp_denorm_src 0
		.amdhsa_exception_fp_ieee_div_zero 0
		.amdhsa_exception_fp_ieee_overflow 0
		.amdhsa_exception_fp_ieee_underflow 0
		.amdhsa_exception_fp_ieee_inexact 0
		.amdhsa_exception_int_div_zero 0
	.end_amdhsa_kernel
	.section	.text._ZN7rocprim17ROCPRIM_400000_NS6detail17trampoline_kernelINS0_14default_configENS1_25partition_config_selectorILNS1_17partition_subalgoE0EyNS0_10empty_typeEbEEZZNS1_14partition_implILS5_0ELb0ES3_jN6thrust23THRUST_200600_302600_NS6detail15normal_iteratorINSA_10device_ptrIyEEEEPS6_SG_NS0_5tupleIJNSA_16discard_iteratorINSA_11use_defaultEEESK_EEENSH_IJSG_SG_EEES6_PlJ7is_evenIyEEEE10hipError_tPvRmT3_T4_T5_T6_T7_T9_mT8_P12ihipStream_tbDpT10_ENKUlT_T0_E_clISt17integral_constantIbLb1EES19_EEDaS14_S15_EUlS14_E_NS1_11comp_targetILNS1_3genE8ELNS1_11target_archE1030ELNS1_3gpuE2ELNS1_3repE0EEENS1_30default_config_static_selectorELNS0_4arch9wavefront6targetE1EEEvT1_,"axG",@progbits,_ZN7rocprim17ROCPRIM_400000_NS6detail17trampoline_kernelINS0_14default_configENS1_25partition_config_selectorILNS1_17partition_subalgoE0EyNS0_10empty_typeEbEEZZNS1_14partition_implILS5_0ELb0ES3_jN6thrust23THRUST_200600_302600_NS6detail15normal_iteratorINSA_10device_ptrIyEEEEPS6_SG_NS0_5tupleIJNSA_16discard_iteratorINSA_11use_defaultEEESK_EEENSH_IJSG_SG_EEES6_PlJ7is_evenIyEEEE10hipError_tPvRmT3_T4_T5_T6_T7_T9_mT8_P12ihipStream_tbDpT10_ENKUlT_T0_E_clISt17integral_constantIbLb1EES19_EEDaS14_S15_EUlS14_E_NS1_11comp_targetILNS1_3genE8ELNS1_11target_archE1030ELNS1_3gpuE2ELNS1_3repE0EEENS1_30default_config_static_selectorELNS0_4arch9wavefront6targetE1EEEvT1_,comdat
.Lfunc_end2314:
	.size	_ZN7rocprim17ROCPRIM_400000_NS6detail17trampoline_kernelINS0_14default_configENS1_25partition_config_selectorILNS1_17partition_subalgoE0EyNS0_10empty_typeEbEEZZNS1_14partition_implILS5_0ELb0ES3_jN6thrust23THRUST_200600_302600_NS6detail15normal_iteratorINSA_10device_ptrIyEEEEPS6_SG_NS0_5tupleIJNSA_16discard_iteratorINSA_11use_defaultEEESK_EEENSH_IJSG_SG_EEES6_PlJ7is_evenIyEEEE10hipError_tPvRmT3_T4_T5_T6_T7_T9_mT8_P12ihipStream_tbDpT10_ENKUlT_T0_E_clISt17integral_constantIbLb1EES19_EEDaS14_S15_EUlS14_E_NS1_11comp_targetILNS1_3genE8ELNS1_11target_archE1030ELNS1_3gpuE2ELNS1_3repE0EEENS1_30default_config_static_selectorELNS0_4arch9wavefront6targetE1EEEvT1_, .Lfunc_end2314-_ZN7rocprim17ROCPRIM_400000_NS6detail17trampoline_kernelINS0_14default_configENS1_25partition_config_selectorILNS1_17partition_subalgoE0EyNS0_10empty_typeEbEEZZNS1_14partition_implILS5_0ELb0ES3_jN6thrust23THRUST_200600_302600_NS6detail15normal_iteratorINSA_10device_ptrIyEEEEPS6_SG_NS0_5tupleIJNSA_16discard_iteratorINSA_11use_defaultEEESK_EEENSH_IJSG_SG_EEES6_PlJ7is_evenIyEEEE10hipError_tPvRmT3_T4_T5_T6_T7_T9_mT8_P12ihipStream_tbDpT10_ENKUlT_T0_E_clISt17integral_constantIbLb1EES19_EEDaS14_S15_EUlS14_E_NS1_11comp_targetILNS1_3genE8ELNS1_11target_archE1030ELNS1_3gpuE2ELNS1_3repE0EEENS1_30default_config_static_selectorELNS0_4arch9wavefront6targetE1EEEvT1_
                                        ; -- End function
	.section	.AMDGPU.csdata,"",@progbits
; Kernel info:
; codeLenInByte = 0
; NumSgprs: 6
; NumVgprs: 0
; NumAgprs: 0
; TotalNumVgprs: 0
; ScratchSize: 0
; MemoryBound: 0
; FloatMode: 240
; IeeeMode: 1
; LDSByteSize: 0 bytes/workgroup (compile time only)
; SGPRBlocks: 0
; VGPRBlocks: 0
; NumSGPRsForWavesPerEU: 6
; NumVGPRsForWavesPerEU: 1
; AccumOffset: 4
; Occupancy: 8
; WaveLimiterHint : 0
; COMPUTE_PGM_RSRC2:SCRATCH_EN: 0
; COMPUTE_PGM_RSRC2:USER_SGPR: 2
; COMPUTE_PGM_RSRC2:TRAP_HANDLER: 0
; COMPUTE_PGM_RSRC2:TGID_X_EN: 1
; COMPUTE_PGM_RSRC2:TGID_Y_EN: 0
; COMPUTE_PGM_RSRC2:TGID_Z_EN: 0
; COMPUTE_PGM_RSRC2:TIDIG_COMP_CNT: 0
; COMPUTE_PGM_RSRC3_GFX90A:ACCUM_OFFSET: 0
; COMPUTE_PGM_RSRC3_GFX90A:TG_SPLIT: 0
	.section	.text._ZN7rocprim17ROCPRIM_400000_NS6detail17trampoline_kernelINS0_14default_configENS1_25partition_config_selectorILNS1_17partition_subalgoE0EyNS0_10empty_typeEbEEZZNS1_14partition_implILS5_0ELb0ES3_jN6thrust23THRUST_200600_302600_NS6detail15normal_iteratorINSA_10device_ptrIyEEEEPS6_SG_NS0_5tupleIJNSA_16discard_iteratorINSA_11use_defaultEEESK_EEENSH_IJSG_SG_EEES6_PlJ7is_evenIyEEEE10hipError_tPvRmT3_T4_T5_T6_T7_T9_mT8_P12ihipStream_tbDpT10_ENKUlT_T0_E_clISt17integral_constantIbLb1EES18_IbLb0EEEEDaS14_S15_EUlS14_E_NS1_11comp_targetILNS1_3genE0ELNS1_11target_archE4294967295ELNS1_3gpuE0ELNS1_3repE0EEENS1_30default_config_static_selectorELNS0_4arch9wavefront6targetE1EEEvT1_,"axG",@progbits,_ZN7rocprim17ROCPRIM_400000_NS6detail17trampoline_kernelINS0_14default_configENS1_25partition_config_selectorILNS1_17partition_subalgoE0EyNS0_10empty_typeEbEEZZNS1_14partition_implILS5_0ELb0ES3_jN6thrust23THRUST_200600_302600_NS6detail15normal_iteratorINSA_10device_ptrIyEEEEPS6_SG_NS0_5tupleIJNSA_16discard_iteratorINSA_11use_defaultEEESK_EEENSH_IJSG_SG_EEES6_PlJ7is_evenIyEEEE10hipError_tPvRmT3_T4_T5_T6_T7_T9_mT8_P12ihipStream_tbDpT10_ENKUlT_T0_E_clISt17integral_constantIbLb1EES18_IbLb0EEEEDaS14_S15_EUlS14_E_NS1_11comp_targetILNS1_3genE0ELNS1_11target_archE4294967295ELNS1_3gpuE0ELNS1_3repE0EEENS1_30default_config_static_selectorELNS0_4arch9wavefront6targetE1EEEvT1_,comdat
	.protected	_ZN7rocprim17ROCPRIM_400000_NS6detail17trampoline_kernelINS0_14default_configENS1_25partition_config_selectorILNS1_17partition_subalgoE0EyNS0_10empty_typeEbEEZZNS1_14partition_implILS5_0ELb0ES3_jN6thrust23THRUST_200600_302600_NS6detail15normal_iteratorINSA_10device_ptrIyEEEEPS6_SG_NS0_5tupleIJNSA_16discard_iteratorINSA_11use_defaultEEESK_EEENSH_IJSG_SG_EEES6_PlJ7is_evenIyEEEE10hipError_tPvRmT3_T4_T5_T6_T7_T9_mT8_P12ihipStream_tbDpT10_ENKUlT_T0_E_clISt17integral_constantIbLb1EES18_IbLb0EEEEDaS14_S15_EUlS14_E_NS1_11comp_targetILNS1_3genE0ELNS1_11target_archE4294967295ELNS1_3gpuE0ELNS1_3repE0EEENS1_30default_config_static_selectorELNS0_4arch9wavefront6targetE1EEEvT1_ ; -- Begin function _ZN7rocprim17ROCPRIM_400000_NS6detail17trampoline_kernelINS0_14default_configENS1_25partition_config_selectorILNS1_17partition_subalgoE0EyNS0_10empty_typeEbEEZZNS1_14partition_implILS5_0ELb0ES3_jN6thrust23THRUST_200600_302600_NS6detail15normal_iteratorINSA_10device_ptrIyEEEEPS6_SG_NS0_5tupleIJNSA_16discard_iteratorINSA_11use_defaultEEESK_EEENSH_IJSG_SG_EEES6_PlJ7is_evenIyEEEE10hipError_tPvRmT3_T4_T5_T6_T7_T9_mT8_P12ihipStream_tbDpT10_ENKUlT_T0_E_clISt17integral_constantIbLb1EES18_IbLb0EEEEDaS14_S15_EUlS14_E_NS1_11comp_targetILNS1_3genE0ELNS1_11target_archE4294967295ELNS1_3gpuE0ELNS1_3repE0EEENS1_30default_config_static_selectorELNS0_4arch9wavefront6targetE1EEEvT1_
	.globl	_ZN7rocprim17ROCPRIM_400000_NS6detail17trampoline_kernelINS0_14default_configENS1_25partition_config_selectorILNS1_17partition_subalgoE0EyNS0_10empty_typeEbEEZZNS1_14partition_implILS5_0ELb0ES3_jN6thrust23THRUST_200600_302600_NS6detail15normal_iteratorINSA_10device_ptrIyEEEEPS6_SG_NS0_5tupleIJNSA_16discard_iteratorINSA_11use_defaultEEESK_EEENSH_IJSG_SG_EEES6_PlJ7is_evenIyEEEE10hipError_tPvRmT3_T4_T5_T6_T7_T9_mT8_P12ihipStream_tbDpT10_ENKUlT_T0_E_clISt17integral_constantIbLb1EES18_IbLb0EEEEDaS14_S15_EUlS14_E_NS1_11comp_targetILNS1_3genE0ELNS1_11target_archE4294967295ELNS1_3gpuE0ELNS1_3repE0EEENS1_30default_config_static_selectorELNS0_4arch9wavefront6targetE1EEEvT1_
	.p2align	8
	.type	_ZN7rocprim17ROCPRIM_400000_NS6detail17trampoline_kernelINS0_14default_configENS1_25partition_config_selectorILNS1_17partition_subalgoE0EyNS0_10empty_typeEbEEZZNS1_14partition_implILS5_0ELb0ES3_jN6thrust23THRUST_200600_302600_NS6detail15normal_iteratorINSA_10device_ptrIyEEEEPS6_SG_NS0_5tupleIJNSA_16discard_iteratorINSA_11use_defaultEEESK_EEENSH_IJSG_SG_EEES6_PlJ7is_evenIyEEEE10hipError_tPvRmT3_T4_T5_T6_T7_T9_mT8_P12ihipStream_tbDpT10_ENKUlT_T0_E_clISt17integral_constantIbLb1EES18_IbLb0EEEEDaS14_S15_EUlS14_E_NS1_11comp_targetILNS1_3genE0ELNS1_11target_archE4294967295ELNS1_3gpuE0ELNS1_3repE0EEENS1_30default_config_static_selectorELNS0_4arch9wavefront6targetE1EEEvT1_,@function
_ZN7rocprim17ROCPRIM_400000_NS6detail17trampoline_kernelINS0_14default_configENS1_25partition_config_selectorILNS1_17partition_subalgoE0EyNS0_10empty_typeEbEEZZNS1_14partition_implILS5_0ELb0ES3_jN6thrust23THRUST_200600_302600_NS6detail15normal_iteratorINSA_10device_ptrIyEEEEPS6_SG_NS0_5tupleIJNSA_16discard_iteratorINSA_11use_defaultEEESK_EEENSH_IJSG_SG_EEES6_PlJ7is_evenIyEEEE10hipError_tPvRmT3_T4_T5_T6_T7_T9_mT8_P12ihipStream_tbDpT10_ENKUlT_T0_E_clISt17integral_constantIbLb1EES18_IbLb0EEEEDaS14_S15_EUlS14_E_NS1_11comp_targetILNS1_3genE0ELNS1_11target_archE4294967295ELNS1_3gpuE0ELNS1_3repE0EEENS1_30default_config_static_selectorELNS0_4arch9wavefront6targetE1EEEvT1_: ; @_ZN7rocprim17ROCPRIM_400000_NS6detail17trampoline_kernelINS0_14default_configENS1_25partition_config_selectorILNS1_17partition_subalgoE0EyNS0_10empty_typeEbEEZZNS1_14partition_implILS5_0ELb0ES3_jN6thrust23THRUST_200600_302600_NS6detail15normal_iteratorINSA_10device_ptrIyEEEEPS6_SG_NS0_5tupleIJNSA_16discard_iteratorINSA_11use_defaultEEESK_EEENSH_IJSG_SG_EEES6_PlJ7is_evenIyEEEE10hipError_tPvRmT3_T4_T5_T6_T7_T9_mT8_P12ihipStream_tbDpT10_ENKUlT_T0_E_clISt17integral_constantIbLb1EES18_IbLb0EEEEDaS14_S15_EUlS14_E_NS1_11comp_targetILNS1_3genE0ELNS1_11target_archE4294967295ELNS1_3gpuE0ELNS1_3repE0EEENS1_30default_config_static_selectorELNS0_4arch9wavefront6targetE1EEEvT1_
; %bb.0:
	.section	.rodata,"a",@progbits
	.p2align	6, 0x0
	.amdhsa_kernel _ZN7rocprim17ROCPRIM_400000_NS6detail17trampoline_kernelINS0_14default_configENS1_25partition_config_selectorILNS1_17partition_subalgoE0EyNS0_10empty_typeEbEEZZNS1_14partition_implILS5_0ELb0ES3_jN6thrust23THRUST_200600_302600_NS6detail15normal_iteratorINSA_10device_ptrIyEEEEPS6_SG_NS0_5tupleIJNSA_16discard_iteratorINSA_11use_defaultEEESK_EEENSH_IJSG_SG_EEES6_PlJ7is_evenIyEEEE10hipError_tPvRmT3_T4_T5_T6_T7_T9_mT8_P12ihipStream_tbDpT10_ENKUlT_T0_E_clISt17integral_constantIbLb1EES18_IbLb0EEEEDaS14_S15_EUlS14_E_NS1_11comp_targetILNS1_3genE0ELNS1_11target_archE4294967295ELNS1_3gpuE0ELNS1_3repE0EEENS1_30default_config_static_selectorELNS0_4arch9wavefront6targetE1EEEvT1_
		.amdhsa_group_segment_fixed_size 0
		.amdhsa_private_segment_fixed_size 0
		.amdhsa_kernarg_size 136
		.amdhsa_user_sgpr_count 2
		.amdhsa_user_sgpr_dispatch_ptr 0
		.amdhsa_user_sgpr_queue_ptr 0
		.amdhsa_user_sgpr_kernarg_segment_ptr 1
		.amdhsa_user_sgpr_dispatch_id 0
		.amdhsa_user_sgpr_kernarg_preload_length 0
		.amdhsa_user_sgpr_kernarg_preload_offset 0
		.amdhsa_user_sgpr_private_segment_size 0
		.amdhsa_uses_dynamic_stack 0
		.amdhsa_enable_private_segment 0
		.amdhsa_system_sgpr_workgroup_id_x 1
		.amdhsa_system_sgpr_workgroup_id_y 0
		.amdhsa_system_sgpr_workgroup_id_z 0
		.amdhsa_system_sgpr_workgroup_info 0
		.amdhsa_system_vgpr_workitem_id 0
		.amdhsa_next_free_vgpr 1
		.amdhsa_next_free_sgpr 0
		.amdhsa_accum_offset 4
		.amdhsa_reserve_vcc 0
		.amdhsa_float_round_mode_32 0
		.amdhsa_float_round_mode_16_64 0
		.amdhsa_float_denorm_mode_32 3
		.amdhsa_float_denorm_mode_16_64 3
		.amdhsa_dx10_clamp 1
		.amdhsa_ieee_mode 1
		.amdhsa_fp16_overflow 0
		.amdhsa_tg_split 0
		.amdhsa_exception_fp_ieee_invalid_op 0
		.amdhsa_exception_fp_denorm_src 0
		.amdhsa_exception_fp_ieee_div_zero 0
		.amdhsa_exception_fp_ieee_overflow 0
		.amdhsa_exception_fp_ieee_underflow 0
		.amdhsa_exception_fp_ieee_inexact 0
		.amdhsa_exception_int_div_zero 0
	.end_amdhsa_kernel
	.section	.text._ZN7rocprim17ROCPRIM_400000_NS6detail17trampoline_kernelINS0_14default_configENS1_25partition_config_selectorILNS1_17partition_subalgoE0EyNS0_10empty_typeEbEEZZNS1_14partition_implILS5_0ELb0ES3_jN6thrust23THRUST_200600_302600_NS6detail15normal_iteratorINSA_10device_ptrIyEEEEPS6_SG_NS0_5tupleIJNSA_16discard_iteratorINSA_11use_defaultEEESK_EEENSH_IJSG_SG_EEES6_PlJ7is_evenIyEEEE10hipError_tPvRmT3_T4_T5_T6_T7_T9_mT8_P12ihipStream_tbDpT10_ENKUlT_T0_E_clISt17integral_constantIbLb1EES18_IbLb0EEEEDaS14_S15_EUlS14_E_NS1_11comp_targetILNS1_3genE0ELNS1_11target_archE4294967295ELNS1_3gpuE0ELNS1_3repE0EEENS1_30default_config_static_selectorELNS0_4arch9wavefront6targetE1EEEvT1_,"axG",@progbits,_ZN7rocprim17ROCPRIM_400000_NS6detail17trampoline_kernelINS0_14default_configENS1_25partition_config_selectorILNS1_17partition_subalgoE0EyNS0_10empty_typeEbEEZZNS1_14partition_implILS5_0ELb0ES3_jN6thrust23THRUST_200600_302600_NS6detail15normal_iteratorINSA_10device_ptrIyEEEEPS6_SG_NS0_5tupleIJNSA_16discard_iteratorINSA_11use_defaultEEESK_EEENSH_IJSG_SG_EEES6_PlJ7is_evenIyEEEE10hipError_tPvRmT3_T4_T5_T6_T7_T9_mT8_P12ihipStream_tbDpT10_ENKUlT_T0_E_clISt17integral_constantIbLb1EES18_IbLb0EEEEDaS14_S15_EUlS14_E_NS1_11comp_targetILNS1_3genE0ELNS1_11target_archE4294967295ELNS1_3gpuE0ELNS1_3repE0EEENS1_30default_config_static_selectorELNS0_4arch9wavefront6targetE1EEEvT1_,comdat
.Lfunc_end2315:
	.size	_ZN7rocprim17ROCPRIM_400000_NS6detail17trampoline_kernelINS0_14default_configENS1_25partition_config_selectorILNS1_17partition_subalgoE0EyNS0_10empty_typeEbEEZZNS1_14partition_implILS5_0ELb0ES3_jN6thrust23THRUST_200600_302600_NS6detail15normal_iteratorINSA_10device_ptrIyEEEEPS6_SG_NS0_5tupleIJNSA_16discard_iteratorINSA_11use_defaultEEESK_EEENSH_IJSG_SG_EEES6_PlJ7is_evenIyEEEE10hipError_tPvRmT3_T4_T5_T6_T7_T9_mT8_P12ihipStream_tbDpT10_ENKUlT_T0_E_clISt17integral_constantIbLb1EES18_IbLb0EEEEDaS14_S15_EUlS14_E_NS1_11comp_targetILNS1_3genE0ELNS1_11target_archE4294967295ELNS1_3gpuE0ELNS1_3repE0EEENS1_30default_config_static_selectorELNS0_4arch9wavefront6targetE1EEEvT1_, .Lfunc_end2315-_ZN7rocprim17ROCPRIM_400000_NS6detail17trampoline_kernelINS0_14default_configENS1_25partition_config_selectorILNS1_17partition_subalgoE0EyNS0_10empty_typeEbEEZZNS1_14partition_implILS5_0ELb0ES3_jN6thrust23THRUST_200600_302600_NS6detail15normal_iteratorINSA_10device_ptrIyEEEEPS6_SG_NS0_5tupleIJNSA_16discard_iteratorINSA_11use_defaultEEESK_EEENSH_IJSG_SG_EEES6_PlJ7is_evenIyEEEE10hipError_tPvRmT3_T4_T5_T6_T7_T9_mT8_P12ihipStream_tbDpT10_ENKUlT_T0_E_clISt17integral_constantIbLb1EES18_IbLb0EEEEDaS14_S15_EUlS14_E_NS1_11comp_targetILNS1_3genE0ELNS1_11target_archE4294967295ELNS1_3gpuE0ELNS1_3repE0EEENS1_30default_config_static_selectorELNS0_4arch9wavefront6targetE1EEEvT1_
                                        ; -- End function
	.section	.AMDGPU.csdata,"",@progbits
; Kernel info:
; codeLenInByte = 0
; NumSgprs: 6
; NumVgprs: 0
; NumAgprs: 0
; TotalNumVgprs: 0
; ScratchSize: 0
; MemoryBound: 0
; FloatMode: 240
; IeeeMode: 1
; LDSByteSize: 0 bytes/workgroup (compile time only)
; SGPRBlocks: 0
; VGPRBlocks: 0
; NumSGPRsForWavesPerEU: 6
; NumVGPRsForWavesPerEU: 1
; AccumOffset: 4
; Occupancy: 8
; WaveLimiterHint : 0
; COMPUTE_PGM_RSRC2:SCRATCH_EN: 0
; COMPUTE_PGM_RSRC2:USER_SGPR: 2
; COMPUTE_PGM_RSRC2:TRAP_HANDLER: 0
; COMPUTE_PGM_RSRC2:TGID_X_EN: 1
; COMPUTE_PGM_RSRC2:TGID_Y_EN: 0
; COMPUTE_PGM_RSRC2:TGID_Z_EN: 0
; COMPUTE_PGM_RSRC2:TIDIG_COMP_CNT: 0
; COMPUTE_PGM_RSRC3_GFX90A:ACCUM_OFFSET: 0
; COMPUTE_PGM_RSRC3_GFX90A:TG_SPLIT: 0
	.section	.text._ZN7rocprim17ROCPRIM_400000_NS6detail17trampoline_kernelINS0_14default_configENS1_25partition_config_selectorILNS1_17partition_subalgoE0EyNS0_10empty_typeEbEEZZNS1_14partition_implILS5_0ELb0ES3_jN6thrust23THRUST_200600_302600_NS6detail15normal_iteratorINSA_10device_ptrIyEEEEPS6_SG_NS0_5tupleIJNSA_16discard_iteratorINSA_11use_defaultEEESK_EEENSH_IJSG_SG_EEES6_PlJ7is_evenIyEEEE10hipError_tPvRmT3_T4_T5_T6_T7_T9_mT8_P12ihipStream_tbDpT10_ENKUlT_T0_E_clISt17integral_constantIbLb1EES18_IbLb0EEEEDaS14_S15_EUlS14_E_NS1_11comp_targetILNS1_3genE5ELNS1_11target_archE942ELNS1_3gpuE9ELNS1_3repE0EEENS1_30default_config_static_selectorELNS0_4arch9wavefront6targetE1EEEvT1_,"axG",@progbits,_ZN7rocprim17ROCPRIM_400000_NS6detail17trampoline_kernelINS0_14default_configENS1_25partition_config_selectorILNS1_17partition_subalgoE0EyNS0_10empty_typeEbEEZZNS1_14partition_implILS5_0ELb0ES3_jN6thrust23THRUST_200600_302600_NS6detail15normal_iteratorINSA_10device_ptrIyEEEEPS6_SG_NS0_5tupleIJNSA_16discard_iteratorINSA_11use_defaultEEESK_EEENSH_IJSG_SG_EEES6_PlJ7is_evenIyEEEE10hipError_tPvRmT3_T4_T5_T6_T7_T9_mT8_P12ihipStream_tbDpT10_ENKUlT_T0_E_clISt17integral_constantIbLb1EES18_IbLb0EEEEDaS14_S15_EUlS14_E_NS1_11comp_targetILNS1_3genE5ELNS1_11target_archE942ELNS1_3gpuE9ELNS1_3repE0EEENS1_30default_config_static_selectorELNS0_4arch9wavefront6targetE1EEEvT1_,comdat
	.protected	_ZN7rocprim17ROCPRIM_400000_NS6detail17trampoline_kernelINS0_14default_configENS1_25partition_config_selectorILNS1_17partition_subalgoE0EyNS0_10empty_typeEbEEZZNS1_14partition_implILS5_0ELb0ES3_jN6thrust23THRUST_200600_302600_NS6detail15normal_iteratorINSA_10device_ptrIyEEEEPS6_SG_NS0_5tupleIJNSA_16discard_iteratorINSA_11use_defaultEEESK_EEENSH_IJSG_SG_EEES6_PlJ7is_evenIyEEEE10hipError_tPvRmT3_T4_T5_T6_T7_T9_mT8_P12ihipStream_tbDpT10_ENKUlT_T0_E_clISt17integral_constantIbLb1EES18_IbLb0EEEEDaS14_S15_EUlS14_E_NS1_11comp_targetILNS1_3genE5ELNS1_11target_archE942ELNS1_3gpuE9ELNS1_3repE0EEENS1_30default_config_static_selectorELNS0_4arch9wavefront6targetE1EEEvT1_ ; -- Begin function _ZN7rocprim17ROCPRIM_400000_NS6detail17trampoline_kernelINS0_14default_configENS1_25partition_config_selectorILNS1_17partition_subalgoE0EyNS0_10empty_typeEbEEZZNS1_14partition_implILS5_0ELb0ES3_jN6thrust23THRUST_200600_302600_NS6detail15normal_iteratorINSA_10device_ptrIyEEEEPS6_SG_NS0_5tupleIJNSA_16discard_iteratorINSA_11use_defaultEEESK_EEENSH_IJSG_SG_EEES6_PlJ7is_evenIyEEEE10hipError_tPvRmT3_T4_T5_T6_T7_T9_mT8_P12ihipStream_tbDpT10_ENKUlT_T0_E_clISt17integral_constantIbLb1EES18_IbLb0EEEEDaS14_S15_EUlS14_E_NS1_11comp_targetILNS1_3genE5ELNS1_11target_archE942ELNS1_3gpuE9ELNS1_3repE0EEENS1_30default_config_static_selectorELNS0_4arch9wavefront6targetE1EEEvT1_
	.globl	_ZN7rocprim17ROCPRIM_400000_NS6detail17trampoline_kernelINS0_14default_configENS1_25partition_config_selectorILNS1_17partition_subalgoE0EyNS0_10empty_typeEbEEZZNS1_14partition_implILS5_0ELb0ES3_jN6thrust23THRUST_200600_302600_NS6detail15normal_iteratorINSA_10device_ptrIyEEEEPS6_SG_NS0_5tupleIJNSA_16discard_iteratorINSA_11use_defaultEEESK_EEENSH_IJSG_SG_EEES6_PlJ7is_evenIyEEEE10hipError_tPvRmT3_T4_T5_T6_T7_T9_mT8_P12ihipStream_tbDpT10_ENKUlT_T0_E_clISt17integral_constantIbLb1EES18_IbLb0EEEEDaS14_S15_EUlS14_E_NS1_11comp_targetILNS1_3genE5ELNS1_11target_archE942ELNS1_3gpuE9ELNS1_3repE0EEENS1_30default_config_static_selectorELNS0_4arch9wavefront6targetE1EEEvT1_
	.p2align	8
	.type	_ZN7rocprim17ROCPRIM_400000_NS6detail17trampoline_kernelINS0_14default_configENS1_25partition_config_selectorILNS1_17partition_subalgoE0EyNS0_10empty_typeEbEEZZNS1_14partition_implILS5_0ELb0ES3_jN6thrust23THRUST_200600_302600_NS6detail15normal_iteratorINSA_10device_ptrIyEEEEPS6_SG_NS0_5tupleIJNSA_16discard_iteratorINSA_11use_defaultEEESK_EEENSH_IJSG_SG_EEES6_PlJ7is_evenIyEEEE10hipError_tPvRmT3_T4_T5_T6_T7_T9_mT8_P12ihipStream_tbDpT10_ENKUlT_T0_E_clISt17integral_constantIbLb1EES18_IbLb0EEEEDaS14_S15_EUlS14_E_NS1_11comp_targetILNS1_3genE5ELNS1_11target_archE942ELNS1_3gpuE9ELNS1_3repE0EEENS1_30default_config_static_selectorELNS0_4arch9wavefront6targetE1EEEvT1_,@function
_ZN7rocprim17ROCPRIM_400000_NS6detail17trampoline_kernelINS0_14default_configENS1_25partition_config_selectorILNS1_17partition_subalgoE0EyNS0_10empty_typeEbEEZZNS1_14partition_implILS5_0ELb0ES3_jN6thrust23THRUST_200600_302600_NS6detail15normal_iteratorINSA_10device_ptrIyEEEEPS6_SG_NS0_5tupleIJNSA_16discard_iteratorINSA_11use_defaultEEESK_EEENSH_IJSG_SG_EEES6_PlJ7is_evenIyEEEE10hipError_tPvRmT3_T4_T5_T6_T7_T9_mT8_P12ihipStream_tbDpT10_ENKUlT_T0_E_clISt17integral_constantIbLb1EES18_IbLb0EEEEDaS14_S15_EUlS14_E_NS1_11comp_targetILNS1_3genE5ELNS1_11target_archE942ELNS1_3gpuE9ELNS1_3repE0EEENS1_30default_config_static_selectorELNS0_4arch9wavefront6targetE1EEEvT1_: ; @_ZN7rocprim17ROCPRIM_400000_NS6detail17trampoline_kernelINS0_14default_configENS1_25partition_config_selectorILNS1_17partition_subalgoE0EyNS0_10empty_typeEbEEZZNS1_14partition_implILS5_0ELb0ES3_jN6thrust23THRUST_200600_302600_NS6detail15normal_iteratorINSA_10device_ptrIyEEEEPS6_SG_NS0_5tupleIJNSA_16discard_iteratorINSA_11use_defaultEEESK_EEENSH_IJSG_SG_EEES6_PlJ7is_evenIyEEEE10hipError_tPvRmT3_T4_T5_T6_T7_T9_mT8_P12ihipStream_tbDpT10_ENKUlT_T0_E_clISt17integral_constantIbLb1EES18_IbLb0EEEEDaS14_S15_EUlS14_E_NS1_11comp_targetILNS1_3genE5ELNS1_11target_archE942ELNS1_3gpuE9ELNS1_3repE0EEENS1_30default_config_static_selectorELNS0_4arch9wavefront6targetE1EEEvT1_
; %bb.0:
	s_load_dwordx2 s[8:9], s[0:1], 0x68
	s_load_dwordx4 s[4:7], s[0:1], 0x8
	s_load_dwordx4 s[20:23], s[0:1], 0x58
	s_load_dword s3, s[0:1], 0x80
	v_lshlrev_b32_e32 v18, 3, v0
	s_waitcnt lgkmcnt(0)
	v_mov_b32_e32 v3, s9
	s_lshl_b64 s[10:11], s[6:7], 3
	s_add_u32 s9, s4, s10
	s_mul_i32 s4, s3, 0xe00
	s_addc_u32 s12, s5, s11
	s_add_i32 s13, s3, -1
	s_add_i32 s3, s4, s6
	s_sub_i32 s3, s8, s3
	s_add_u32 s4, s6, s4
	s_addc_u32 s5, s7, 0
	s_cmp_eq_u32 s2, s13
	v_mov_b32_e32 v2, s8
	s_load_dwordx2 s[18:19], s[22:23], 0x0
	s_cselect_b64 s[22:23], -1, 0
	s_cmp_lg_u32 s2, s13
	s_mul_i32 s10, s2, 0xe00
	s_mov_b32 s11, 0
	v_cmp_lt_u64_e32 vcc, s[4:5], v[2:3]
	s_cselect_b64 s[4:5], -1, 0
	s_or_b64 s[4:5], s[4:5], vcc
	s_lshl_b64 s[6:7], s[10:11], 3
	s_add_u32 s6, s9, s6
	s_addc_u32 s7, s12, s7
	s_mov_b64 s[8:9], -1
	s_and_b64 vcc, exec, s[4:5]
	s_cbranch_vccz .LBB2316_2
; %bb.1:
	v_mov_b32_e32 v19, 0
	v_lshl_add_u64 v[2:3], s[6:7], 0, v[18:19]
	v_add_co_u32_e32 v4, vcc, 0x1000, v2
	s_mov_b64 s[8:9], 0
	s_nop 0
	v_addc_co_u32_e32 v5, vcc, 0, v3, vcc
	v_add_co_u32_e32 v6, vcc, 0x2000, v2
	s_nop 1
	v_addc_co_u32_e32 v7, vcc, 0, v3, vcc
	v_add_co_u32_e32 v8, vcc, 0x3000, v2
	s_nop 1
	v_addc_co_u32_e32 v9, vcc, 0, v3, vcc
	flat_load_dwordx2 v[10:11], v[2:3]
	flat_load_dwordx2 v[12:13], v[4:5]
	;; [unrolled: 1-line block ×4, first 2 shown]
	v_add_co_u32_e32 v4, vcc, 0x4000, v2
	s_nop 1
	v_addc_co_u32_e32 v5, vcc, 0, v3, vcc
	v_add_co_u32_e32 v6, vcc, 0x5000, v2
	s_nop 1
	v_addc_co_u32_e32 v7, vcc, 0, v3, vcc
	;; [unrolled: 3-line block ×3, first 2 shown]
	flat_load_dwordx2 v[8:9], v[4:5]
	flat_load_dwordx2 v[20:21], v[6:7]
	;; [unrolled: 1-line block ×3, first 2 shown]
	s_waitcnt vmcnt(0) lgkmcnt(0)
	ds_write2st64_b64 v18, v[10:11], v[12:13] offset1:8
	ds_write2st64_b64 v18, v[14:15], v[16:17] offset0:16 offset1:24
	ds_write2st64_b64 v18, v[8:9], v[20:21] offset0:32 offset1:40
	ds_write_b64 v18, v[22:23] offset:24576
	s_waitcnt lgkmcnt(0)
	s_barrier
.LBB2316_2:
	s_andn2_b64 vcc, exec, s[8:9]
	s_addk_i32 s3, 0xe00
	s_cbranch_vccnz .LBB2316_18
; %bb.3:
	v_cmp_gt_u32_e32 vcc, s3, v0
                                        ; implicit-def: $vgpr2_vgpr3_vgpr4_vgpr5_vgpr6_vgpr7_vgpr8_vgpr9_vgpr10_vgpr11_vgpr12_vgpr13_vgpr14_vgpr15_vgpr16_vgpr17
	s_and_saveexec_b64 s[8:9], vcc
	s_cbranch_execz .LBB2316_5
; %bb.4:
	v_mov_b32_e32 v19, 0
	v_lshl_add_u64 v[2:3], s[6:7], 0, v[18:19]
	flat_load_dwordx2 v[2:3], v[2:3]
.LBB2316_5:
	s_or_b64 exec, exec, s[8:9]
	v_or_b32_e32 v1, 0x200, v0
	v_cmp_gt_u32_e32 vcc, s3, v1
	s_and_saveexec_b64 s[8:9], vcc
	s_cbranch_execz .LBB2316_7
; %bb.6:
	v_lshlrev_b32_e32 v4, 3, v1
	v_mov_b32_e32 v5, 0
	v_lshl_add_u64 v[4:5], s[6:7], 0, v[4:5]
	flat_load_dwordx2 v[4:5], v[4:5]
.LBB2316_7:
	s_or_b64 exec, exec, s[8:9]
	v_or_b32_e32 v1, 0x400, v0
	v_cmp_gt_u32_e32 vcc, s3, v1
	s_and_saveexec_b64 s[8:9], vcc
	s_cbranch_execz .LBB2316_9
; %bb.8:
	v_lshlrev_b32_e32 v6, 3, v1
	v_mov_b32_e32 v7, 0
	v_lshl_add_u64 v[6:7], s[6:7], 0, v[6:7]
	flat_load_dwordx2 v[6:7], v[6:7]
.LBB2316_9:
	;; [unrolled: 11-line block ×6, first 2 shown]
	s_or_b64 exec, exec, s[8:9]
	s_waitcnt vmcnt(0) lgkmcnt(0)
	ds_write2st64_b64 v18, v[2:3], v[4:5] offset1:8
	ds_write2st64_b64 v18, v[6:7], v[8:9] offset0:16 offset1:24
	ds_write2st64_b64 v18, v[10:11], v[12:13] offset0:32 offset1:40
	ds_write_b64 v18, v[14:15] offset:24576
	s_waitcnt lgkmcnt(0)
	s_barrier
.LBB2316_18:
	v_mul_u32_u24_e32 v1, 7, v0
	v_lshlrev_b32_e32 v31, 3, v1
	s_waitcnt lgkmcnt(0)
	ds_read2_b64 v[10:13], v31 offset1:1
	ds_read2_b64 v[6:9], v31 offset0:2 offset1:3
	ds_read2_b64 v[2:5], v31 offset0:4 offset1:5
	ds_read_b64 v[14:15], v31 offset:48
	s_andn2_b64 vcc, exec, s[4:5]
	s_waitcnt lgkmcnt(3)
	v_xor_b32_e32 v22, -1, v10
	v_xor_b32_e32 v21, -1, v12
	s_waitcnt lgkmcnt(2)
	v_xor_b32_e32 v20, -1, v6
	v_xor_b32_e32 v19, -1, v8
	;; [unrolled: 3-line block ×3, first 2 shown]
	s_waitcnt lgkmcnt(0)
	v_xor_b32_e32 v16, -1, v14
	s_barrier
	s_cbranch_vccnz .LBB2316_20
; %bb.19:
	v_mov_b32_e32 v24, 1
	v_and_b32_e32 v23, 1, v22
	v_and_b32_sdwa v25, v21, v24 dst_sel:BYTE_1 dst_unused:UNUSED_PAD src0_sel:DWORD src1_sel:DWORD
	v_and_b32_e32 v29, 1, v20
	v_and_b32_sdwa v24, v19, v24 dst_sel:BYTE_1 dst_unused:UNUSED_PAD src0_sel:DWORD src1_sel:DWORD
	v_or_b32_e32 v23, v23, v25
	v_or_b32_sdwa v24, v29, v24 dst_sel:WORD_1 dst_unused:UNUSED_PAD src0_sel:DWORD src1_sel:DWORD
	v_and_b32_e32 v28, 1, v18
	v_and_b32_e32 v27, 1, v17
	;; [unrolled: 1-line block ×3, first 2 shown]
	v_or_b32_sdwa v29, v23, v24 dst_sel:DWORD dst_unused:UNUSED_PAD src0_sel:WORD_0 src1_sel:DWORD
	s_load_dwordx2 s[24:25], s[0:1], 0x78
	s_cbranch_execz .LBB2316_21
	s_branch .LBB2316_22
.LBB2316_20:
                                        ; implicit-def: $vgpr26
                                        ; implicit-def: $vgpr27
                                        ; implicit-def: $vgpr28
                                        ; implicit-def: $vgpr29
	s_load_dwordx2 s[24:25], s[0:1], 0x78
.LBB2316_21:
	v_add_u32_e32 v23, 1, v1
	v_cmp_gt_u32_e32 vcc, s3, v1
	v_add_u32_e32 v24, 2, v1
	v_add_u32_e32 v25, 3, v1
	v_cndmask_b32_e64 v28, 0, 1, vcc
	v_cmp_gt_u32_e32 vcc, s3, v23
	v_add_u32_e32 v26, 4, v1
	v_add_u32_e32 v27, 5, v1
	v_cndmask_b32_e64 v23, 0, 1, vcc
	v_cmp_gt_u32_e32 vcc, s3, v24
	v_and_b32_sdwa v21, v23, v21 dst_sel:BYTE_1 dst_unused:UNUSED_PAD src0_sel:DWORD src1_sel:DWORD
	v_add_u32_e32 v29, 6, v1
	v_cndmask_b32_e64 v23, 0, 1, vcc
	v_cmp_gt_u32_e32 vcc, s3, v25
	v_and_b32_e32 v20, v23, v20
	v_and_b32_e32 v22, v28, v22
	v_cndmask_b32_e64 v23, 0, 1, vcc
	v_cmp_gt_u32_e32 vcc, s3, v26
	v_and_b32_sdwa v19, v23, v19 dst_sel:BYTE_1 dst_unused:UNUSED_PAD src0_sel:DWORD src1_sel:DWORD
	s_nop 0
	v_cndmask_b32_e64 v23, 0, 1, vcc
	v_cmp_gt_u32_e32 vcc, s3, v27
	v_and_b32_e32 v28, v23, v18
	s_nop 0
	v_cndmask_b32_e64 v18, 0, 1, vcc
	v_cmp_gt_u32_e32 vcc, s3, v29
	v_and_b32_e32 v27, v18, v17
	s_nop 0
	v_cndmask_b32_e64 v17, 0, 1, vcc
	v_and_b32_e32 v26, v17, v16
	v_or_b32_e32 v16, v22, v21
	v_or_b32_sdwa v17, v20, v19 dst_sel:WORD_1 dst_unused:UNUSED_PAD src0_sel:DWORD src1_sel:DWORD
	s_nop 0
	v_or_b32_sdwa v29, v16, v17 dst_sel:DWORD dst_unused:UNUSED_PAD src0_sel:WORD_0 src1_sel:DWORD
.LBB2316_22:
	v_and_b32_e32 v32, 0xff, v29
	v_bfe_u32 v33, v29, 8, 8
	v_bfe_u32 v34, v29, 16, 8
	v_lshrrev_b32_e32 v30, 24, v29
	v_and_b32_e32 v35, 0xff, v28
	v_add3_u32 v17, v33, v32, v34
	v_and_b32_e32 v36, 0xff, v27
	v_and_b32_e32 v16, 0xff, v26
	v_add3_u32 v17, v17, v30, v35
	v_add3_u32 v39, v17, v36, v16
	v_mbcnt_lo_u32_b32 v16, -1, 0
	v_mbcnt_hi_u32_b32 v37, -1, v16
	v_and_b32_e32 v16, 15, v37
	v_cmp_eq_u32_e64 s[12:13], 0, v16
	v_cmp_lt_u32_e64 s[10:11], 1, v16
	v_cmp_lt_u32_e64 s[8:9], 3, v16
	;; [unrolled: 1-line block ×3, first 2 shown]
	v_and_b32_e32 v16, 16, v37
	v_cmp_eq_u32_e64 s[4:5], 0, v16
	v_or_b32_e32 v16, 63, v0
	s_cmp_lg_u32 s2, 0
	v_cmp_lt_u32_e64 s[0:1], 31, v37
	v_lshrrev_b32_e32 v38, 6, v0
	v_cmp_eq_u32_e64 s[16:17], v16, v0
	s_cbranch_scc0 .LBB2316_53
; %bb.23:
	v_mov_b32_dpp v16, v39 row_shr:1 row_mask:0xf bank_mask:0xf
	v_cndmask_b32_e64 v16, v16, 0, s[12:13]
	v_add_u32_e32 v16, v16, v39
	s_nop 1
	v_mov_b32_dpp v17, v16 row_shr:2 row_mask:0xf bank_mask:0xf
	v_cndmask_b32_e64 v17, 0, v17, s[10:11]
	v_add_u32_e32 v16, v16, v17
	s_nop 1
	;; [unrolled: 4-line block ×4, first 2 shown]
	v_mov_b32_dpp v17, v16 row_bcast:15 row_mask:0xf bank_mask:0xf
	v_cndmask_b32_e64 v17, v17, 0, s[4:5]
	v_add_u32_e32 v16, v16, v17
	s_nop 1
	v_mov_b32_dpp v17, v16 row_bcast:31 row_mask:0xf bank_mask:0xf
	v_cndmask_b32_e64 v17, 0, v17, s[0:1]
	v_add_u32_e32 v16, v16, v17
	s_and_saveexec_b64 s[14:15], s[16:17]
	s_cbranch_execz .LBB2316_25
; %bb.24:
	v_lshlrev_b32_e32 v17, 2, v38
	ds_write_b32 v17, v16
.LBB2316_25:
	s_or_b64 exec, exec, s[14:15]
	v_cmp_gt_u32_e32 vcc, 8, v0
	s_waitcnt lgkmcnt(0)
	s_barrier
	s_and_saveexec_b64 s[14:15], vcc
	s_cbranch_execz .LBB2316_27
; %bb.26:
	v_lshlrev_b32_e32 v17, 2, v0
	ds_read_b32 v18, v17
	v_and_b32_e32 v19, 7, v37
	v_cmp_ne_u32_e32 vcc, 0, v19
	s_waitcnt lgkmcnt(0)
	v_mov_b32_dpp v20, v18 row_shr:1 row_mask:0xf bank_mask:0xf
	v_cndmask_b32_e32 v20, 0, v20, vcc
	v_add_u32_e32 v18, v20, v18
	v_cmp_lt_u32_e32 vcc, 1, v19
	s_nop 0
	v_mov_b32_dpp v20, v18 row_shr:2 row_mask:0xf bank_mask:0xf
	v_cndmask_b32_e32 v20, 0, v20, vcc
	v_add_u32_e32 v18, v18, v20
	v_cmp_lt_u32_e32 vcc, 3, v19
	s_nop 0
	v_mov_b32_dpp v20, v18 row_shr:4 row_mask:0xf bank_mask:0xf
	v_cndmask_b32_e32 v19, 0, v20, vcc
	v_add_u32_e32 v18, v18, v19
	ds_write_b32 v17, v18
.LBB2316_27:
	s_or_b64 exec, exec, s[14:15]
	v_cmp_gt_u32_e32 vcc, 64, v0
	v_cmp_lt_u32_e64 s[14:15], 63, v0
	s_waitcnt lgkmcnt(0)
	s_barrier
	s_waitcnt lgkmcnt(0)
                                        ; implicit-def: $vgpr40
	s_and_saveexec_b64 s[26:27], s[14:15]
	s_cbranch_execz .LBB2316_29
; %bb.28:
	v_lshl_add_u32 v17, v38, 2, -4
	ds_read_b32 v40, v17
	s_waitcnt lgkmcnt(0)
	v_add_u32_e32 v16, v40, v16
.LBB2316_29:
	s_or_b64 exec, exec, s[26:27]
	v_add_u32_e32 v17, -1, v37
	v_and_b32_e32 v18, 64, v37
	v_cmp_lt_i32_e64 s[14:15], v17, v18
	s_nop 1
	v_cndmask_b32_e64 v17, v17, v37, s[14:15]
	v_lshlrev_b32_e32 v17, 2, v17
	ds_bpermute_b32 v41, v17, v16
	v_cmp_eq_u32_e64 s[14:15], 0, v37
	s_and_saveexec_b64 s[26:27], vcc
	s_cbranch_execz .LBB2316_52
; %bb.30:
	v_mov_b32_e32 v25, 0
	ds_read_b32 v16, v25 offset:28
	s_and_saveexec_b64 s[28:29], s[14:15]
	s_cbranch_execz .LBB2316_32
; %bb.31:
	s_add_i32 s30, s2, 64
	s_mov_b32 s31, 0
	s_lshl_b64 s[30:31], s[30:31], 3
	s_add_u32 s30, s24, s30
	v_mov_b32_e32 v17, 1
	s_addc_u32 s31, s25, s31
	s_waitcnt lgkmcnt(0)
	global_store_dwordx2 v25, v[16:17], s[30:31] sc1
.LBB2316_32:
	s_or_b64 exec, exec, s[28:29]
	v_xad_u32 v18, v37, -1, s2
	v_add_u32_e32 v24, 64, v18
	v_lshl_add_u64 v[20:21], v[24:25], 3, s[24:25]
	global_load_dwordx2 v[22:23], v[20:21], off sc1
	s_waitcnt vmcnt(0)
	v_cmp_eq_u16_sdwa s[30:31], v23, v25 src0_sel:BYTE_0 src1_sel:DWORD
	s_and_saveexec_b64 s[28:29], s[30:31]
	s_cbranch_execz .LBB2316_38
; %bb.33:
	s_mov_b32 s3, 1
	s_mov_b64 s[30:31], 0
	v_mov_b32_e32 v17, 0
.LBB2316_34:                            ; =>This Loop Header: Depth=1
                                        ;     Child Loop BB2316_35 Depth 2
	s_max_u32 s33, s3, 1
.LBB2316_35:                            ;   Parent Loop BB2316_34 Depth=1
                                        ; =>  This Inner Loop Header: Depth=2
	s_add_i32 s33, s33, -1
	s_cmp_eq_u32 s33, 0
	s_sleep 1
	s_cbranch_scc0 .LBB2316_35
; %bb.36:                               ;   in Loop: Header=BB2316_34 Depth=1
	global_load_dwordx2 v[22:23], v[20:21], off sc1
	s_cmp_lt_u32 s3, 32
	s_cselect_b64 s[34:35], -1, 0
	s_cmp_lg_u64 s[34:35], 0
	s_addc_u32 s3, s3, 0
	s_waitcnt vmcnt(0)
	v_cmp_ne_u16_sdwa s[34:35], v23, v17 src0_sel:BYTE_0 src1_sel:DWORD
	s_or_b64 s[30:31], s[34:35], s[30:31]
	s_andn2_b64 exec, exec, s[30:31]
	s_cbranch_execnz .LBB2316_34
; %bb.37:
	s_or_b64 exec, exec, s[30:31]
.LBB2316_38:
	s_or_b64 exec, exec, s[28:29]
	v_and_b32_e32 v43, 63, v37
	v_mov_b32_e32 v42, 2
	v_cmp_ne_u32_e32 vcc, 63, v43
	v_cmp_eq_u16_sdwa s[28:29], v23, v42 src0_sel:BYTE_0 src1_sel:DWORD
	v_lshlrev_b64 v[20:21], v37, -1
	v_addc_co_u32_e32 v24, vcc, 0, v37, vcc
	v_and_b32_e32 v17, s29, v21
	v_lshlrev_b32_e32 v44, 2, v24
	v_or_b32_e32 v17, 0x80000000, v17
	ds_bpermute_b32 v24, v44, v22
	v_and_b32_e32 v19, s28, v20
	v_ffbl_b32_e32 v17, v17
	v_add_u32_e32 v17, 32, v17
	v_ffbl_b32_e32 v19, v19
	v_min_u32_e32 v17, v19, v17
	v_cmp_lt_u32_e32 vcc, v43, v17
	v_add_u32_e32 v46, 2, v43
	v_add_u32_e32 v48, 4, v43
	s_waitcnt lgkmcnt(0)
	v_cndmask_b32_e32 v19, 0, v24, vcc
	v_cmp_gt_u32_e32 vcc, 62, v43
	v_add_u32_e32 v19, v19, v22
	v_add_u32_e32 v50, 8, v43
	v_cndmask_b32_e64 v22, 0, 1, vcc
	v_lshlrev_b32_e32 v22, 1, v22
	v_add_lshl_u32 v45, v22, v37, 2
	ds_bpermute_b32 v22, v45, v19
	v_cmp_le_u32_e32 vcc, v46, v17
	v_add_u32_e32 v52, 16, v43
	v_add_u32_e32 v54, 32, v43
	s_waitcnt lgkmcnt(0)
	v_cndmask_b32_e32 v22, 0, v22, vcc
	v_cmp_gt_u32_e32 vcc, 60, v43
	v_add_u32_e32 v19, v19, v22
	s_nop 0
	v_cndmask_b32_e64 v22, 0, 1, vcc
	v_lshlrev_b32_e32 v22, 2, v22
	v_add_lshl_u32 v47, v22, v37, 2
	ds_bpermute_b32 v22, v47, v19
	v_cmp_le_u32_e32 vcc, v48, v17
	s_waitcnt lgkmcnt(0)
	s_nop 0
	v_cndmask_b32_e32 v22, 0, v22, vcc
	v_cmp_gt_u32_e32 vcc, 56, v43
	v_add_u32_e32 v19, v19, v22
	s_nop 0
	v_cndmask_b32_e64 v22, 0, 1, vcc
	v_lshlrev_b32_e32 v22, 3, v22
	v_add_lshl_u32 v49, v22, v37, 2
	ds_bpermute_b32 v22, v49, v19
	v_cmp_le_u32_e32 vcc, v50, v17
	s_waitcnt lgkmcnt(0)
	s_nop 0
	;; [unrolled: 11-line block ×4, first 2 shown]
	v_cndmask_b32_e32 v17, 0, v22, vcc
	v_add_u32_e32 v22, v19, v17
	v_mov_b32_e32 v19, 0
	s_branch .LBB2316_40
.LBB2316_39:                            ;   in Loop: Header=BB2316_40 Depth=1
	s_or_b64 exec, exec, s[28:29]
	v_cmp_eq_u16_sdwa s[28:29], v23, v42 src0_sel:BYTE_0 src1_sel:DWORD
	ds_bpermute_b32 v55, v44, v22
	v_subrev_u32_e32 v18, 64, v18
	v_and_b32_e32 v24, s29, v21
	v_or_b32_e32 v24, 0x80000000, v24
	v_and_b32_e32 v25, s28, v20
	v_ffbl_b32_e32 v24, v24
	v_add_u32_e32 v24, 32, v24
	v_ffbl_b32_e32 v25, v25
	v_min_u32_e32 v24, v25, v24
	v_cmp_lt_u32_e32 vcc, v43, v24
	s_waitcnt lgkmcnt(0)
	s_nop 0
	v_cndmask_b32_e32 v25, 0, v55, vcc
	v_add_u32_e32 v22, v25, v22
	ds_bpermute_b32 v25, v45, v22
	v_cmp_le_u32_e32 vcc, v46, v24
	s_waitcnt lgkmcnt(0)
	s_nop 0
	v_cndmask_b32_e32 v25, 0, v25, vcc
	v_add_u32_e32 v22, v22, v25
	ds_bpermute_b32 v25, v47, v22
	v_cmp_le_u32_e32 vcc, v48, v24
	;; [unrolled: 6-line block ×5, first 2 shown]
	s_waitcnt lgkmcnt(0)
	s_nop 0
	v_cndmask_b32_e32 v24, 0, v25, vcc
	v_add3_u32 v22, v24, v17, v22
.LBB2316_40:                            ; =>This Loop Header: Depth=1
                                        ;     Child Loop BB2316_43 Depth 2
                                        ;       Child Loop BB2316_44 Depth 3
	v_cmp_ne_u16_sdwa s[28:29], v23, v42 src0_sel:BYTE_0 src1_sel:DWORD
	s_nop 1
	v_cndmask_b32_e64 v17, 0, 1, s[28:29]
	;;#ASMSTART
	;;#ASMEND
	s_nop 0
	v_cmp_ne_u32_e32 vcc, 0, v17
	s_cmp_lg_u64 vcc, exec
	v_mov_b32_e32 v17, v22
	s_cbranch_scc1 .LBB2316_47
; %bb.41:                               ;   in Loop: Header=BB2316_40 Depth=1
	v_lshl_add_u64 v[24:25], v[18:19], 3, s[24:25]
	global_load_dwordx2 v[22:23], v[24:25], off sc1
	s_waitcnt vmcnt(0)
	v_cmp_eq_u16_sdwa s[30:31], v23, v19 src0_sel:BYTE_0 src1_sel:DWORD
	s_and_saveexec_b64 s[28:29], s[30:31]
	s_cbranch_execz .LBB2316_39
; %bb.42:                               ;   in Loop: Header=BB2316_40 Depth=1
	s_mov_b32 s3, 1
	s_mov_b64 s[30:31], 0
.LBB2316_43:                            ;   Parent Loop BB2316_40 Depth=1
                                        ; =>  This Loop Header: Depth=2
                                        ;       Child Loop BB2316_44 Depth 3
	s_max_u32 s33, s3, 1
.LBB2316_44:                            ;   Parent Loop BB2316_40 Depth=1
                                        ;     Parent Loop BB2316_43 Depth=2
                                        ; =>    This Inner Loop Header: Depth=3
	s_add_i32 s33, s33, -1
	s_cmp_eq_u32 s33, 0
	s_sleep 1
	s_cbranch_scc0 .LBB2316_44
; %bb.45:                               ;   in Loop: Header=BB2316_43 Depth=2
	global_load_dwordx2 v[22:23], v[24:25], off sc1
	s_cmp_lt_u32 s3, 32
	s_cselect_b64 s[34:35], -1, 0
	s_cmp_lg_u64 s[34:35], 0
	s_addc_u32 s3, s3, 0
	s_waitcnt vmcnt(0)
	v_cmp_ne_u16_sdwa s[34:35], v23, v19 src0_sel:BYTE_0 src1_sel:DWORD
	s_or_b64 s[30:31], s[34:35], s[30:31]
	s_andn2_b64 exec, exec, s[30:31]
	s_cbranch_execnz .LBB2316_43
; %bb.46:                               ;   in Loop: Header=BB2316_40 Depth=1
	s_or_b64 exec, exec, s[30:31]
	s_branch .LBB2316_39
.LBB2316_47:                            ;   in Loop: Header=BB2316_40 Depth=1
                                        ; implicit-def: $vgpr22
                                        ; implicit-def: $vgpr23
	s_cbranch_execz .LBB2316_40
; %bb.48:
	s_and_saveexec_b64 s[28:29], s[14:15]
	s_cbranch_execz .LBB2316_50
; %bb.49:
	s_add_i32 s2, s2, 64
	s_mov_b32 s3, 0
	s_lshl_b64 s[2:3], s[2:3], 3
	s_add_u32 s2, s24, s2
	v_add_u32_e32 v18, v17, v16
	v_mov_b32_e32 v19, 2
	s_addc_u32 s3, s25, s3
	v_mov_b32_e32 v20, 0
	global_store_dwordx2 v20, v[18:19], s[2:3] sc1
	ds_write_b64 v20, v[16:17] offset:28672
.LBB2316_50:
	s_or_b64 exec, exec, s[28:29]
	v_cmp_eq_u32_e32 vcc, 0, v0
	s_and_b64 exec, exec, vcc
	s_cbranch_execz .LBB2316_52
; %bb.51:
	v_mov_b32_e32 v16, 0
	ds_write_b32 v16, v17 offset:28
.LBB2316_52:
	s_or_b64 exec, exec, s[26:27]
	v_mov_b32_e32 v16, 0
	s_waitcnt lgkmcnt(0)
	s_barrier
	ds_read_b32 v17, v16 offset:28
	v_cndmask_b32_e64 v18, v41, v40, s[14:15]
	v_cmp_ne_u32_e32 vcc, 0, v0
	s_waitcnt lgkmcnt(0)
	s_barrier
	v_cndmask_b32_e32 v18, 0, v18, vcc
	v_add_u32_e32 v24, v17, v18
	v_add_u32_e32 v23, v24, v32
	;; [unrolled: 1-line block ×3, first 2 shown]
	ds_read_b64 v[16:17], v16 offset:28672
	v_add_u32_e32 v21, v22, v34
	v_add_u32_e32 v20, v21, v30
	v_add_u32_e32 v19, v20, v35
	v_add_u32_e32 v18, v19, v36
	s_branch .LBB2316_63
.LBB2316_53:
                                        ; implicit-def: $vgpr17
                                        ; implicit-def: $vgpr18
                                        ; implicit-def: $vgpr19
                                        ; implicit-def: $vgpr20
                                        ; implicit-def: $vgpr21
                                        ; implicit-def: $vgpr22
                                        ; implicit-def: $vgpr23
                                        ; implicit-def: $vgpr24
	s_cbranch_execz .LBB2316_63
; %bb.54:
	s_waitcnt lgkmcnt(0)
	v_mov_b32_dpp v16, v39 row_shr:1 row_mask:0xf bank_mask:0xf
	v_cndmask_b32_e64 v16, v16, 0, s[12:13]
	v_add_u32_e32 v16, v16, v39
	s_nop 1
	v_mov_b32_dpp v17, v16 row_shr:2 row_mask:0xf bank_mask:0xf
	v_cndmask_b32_e64 v17, 0, v17, s[10:11]
	v_add_u32_e32 v16, v16, v17
	s_nop 1
	;; [unrolled: 4-line block ×4, first 2 shown]
	v_mov_b32_dpp v17, v16 row_bcast:15 row_mask:0xf bank_mask:0xf
	v_cndmask_b32_e64 v17, v17, 0, s[4:5]
	v_add_u32_e32 v16, v16, v17
	s_nop 1
	v_mov_b32_dpp v17, v16 row_bcast:31 row_mask:0xf bank_mask:0xf
	v_cndmask_b32_e64 v17, 0, v17, s[0:1]
	v_add_u32_e32 v16, v16, v17
	s_and_saveexec_b64 s[0:1], s[16:17]
	s_cbranch_execz .LBB2316_56
; %bb.55:
	v_lshlrev_b32_e32 v17, 2, v38
	ds_write_b32 v17, v16
.LBB2316_56:
	s_or_b64 exec, exec, s[0:1]
	v_cmp_gt_u32_e32 vcc, 8, v0
	s_waitcnt lgkmcnt(0)
	s_barrier
	s_and_saveexec_b64 s[0:1], vcc
	s_cbranch_execz .LBB2316_58
; %bb.57:
	s_movk_i32 s2, 0xffcc
	v_mad_i32_i24 v17, v0, s2, v31
	ds_read_b32 v18, v17
	v_and_b32_e32 v19, 7, v37
	v_cmp_ne_u32_e32 vcc, 0, v19
	s_waitcnt lgkmcnt(0)
	v_mov_b32_dpp v20, v18 row_shr:1 row_mask:0xf bank_mask:0xf
	v_cndmask_b32_e32 v20, 0, v20, vcc
	v_add_u32_e32 v18, v20, v18
	v_cmp_lt_u32_e32 vcc, 1, v19
	s_nop 0
	v_mov_b32_dpp v20, v18 row_shr:2 row_mask:0xf bank_mask:0xf
	v_cndmask_b32_e32 v20, 0, v20, vcc
	v_add_u32_e32 v18, v18, v20
	v_cmp_lt_u32_e32 vcc, 3, v19
	s_nop 0
	v_mov_b32_dpp v20, v18 row_shr:4 row_mask:0xf bank_mask:0xf
	v_cndmask_b32_e32 v19, 0, v20, vcc
	v_add_u32_e32 v18, v18, v19
	ds_write_b32 v17, v18
.LBB2316_58:
	s_or_b64 exec, exec, s[0:1]
	v_cmp_lt_u32_e32 vcc, 63, v0
	v_mov_b32_e32 v17, 0
	v_mov_b32_e32 v18, 0
	s_waitcnt lgkmcnt(0)
	s_barrier
	s_and_saveexec_b64 s[0:1], vcc
	s_cbranch_execz .LBB2316_60
; %bb.59:
	v_lshl_add_u32 v18, v38, 2, -4
	ds_read_b32 v18, v18
.LBB2316_60:
	s_or_b64 exec, exec, s[0:1]
	v_add_u32_e32 v19, -1, v37
	v_and_b32_e32 v20, 64, v37
	v_cmp_lt_i32_e32 vcc, v19, v20
	s_waitcnt lgkmcnt(0)
	v_add_u32_e32 v16, v18, v16
	v_cndmask_b32_e32 v19, v19, v37, vcc
	v_lshlrev_b32_e32 v19, 2, v19
	ds_bpermute_b32 v19, v19, v16
	ds_read_b32 v16, v17 offset:28
	v_cmp_eq_u32_e32 vcc, 0, v0
	s_and_saveexec_b64 s[0:1], vcc
	s_cbranch_execz .LBB2316_62
; %bb.61:
	v_mov_b32_e32 v20, 0
	v_mov_b32_e32 v17, 2
	s_waitcnt lgkmcnt(0)
	global_store_dwordx2 v20, v[16:17], s[24:25] offset:512 sc1
.LBB2316_62:
	s_or_b64 exec, exec, s[0:1]
	v_cmp_eq_u32_e64 s[0:1], 0, v37
	v_mov_b32_e32 v17, 0
	s_waitcnt lgkmcnt(0)
	v_cndmask_b32_e64 v18, v19, v18, s[0:1]
	v_cndmask_b32_e64 v24, v18, 0, vcc
	v_add_u32_e32 v23, v24, v32
	v_add_u32_e32 v22, v23, v33
	;; [unrolled: 1-line block ×6, first 2 shown]
	s_barrier
.LBB2316_63:
	s_waitcnt lgkmcnt(0)
	v_add_u32_e32 v1, v16, v1
	v_sub_u32_e32 v24, v24, v17
	v_and_b32_e32 v32, 1, v29
	v_sub_u32_e32 v31, v1, v24
	v_cmp_eq_u32_e32 vcc, 1, v32
	v_lshrrev_b32_e32 v25, 8, v29
	s_nop 0
	v_cndmask_b32_e32 v24, v31, v24, vcc
	v_lshlrev_b32_e32 v24, 3, v24
	ds_write_b64 v24, v[10:11]
	v_sub_u32_e32 v10, v23, v17
	v_sub_u32_e32 v11, v1, v10
	v_and_b32_e32 v23, 1, v25
	v_add_u32_e32 v11, 1, v11
	v_cmp_eq_u32_e32 vcc, 1, v23
	s_nop 1
	v_cndmask_b32_e32 v10, v11, v10, vcc
	v_lshlrev_b32_e32 v10, 3, v10
	ds_write_b64 v10, v[12:13]
	v_sub_u32_e32 v10, v22, v17
	v_mov_b32_e32 v12, 1
	v_sub_u32_e32 v11, v1, v10
	v_and_b32_sdwa v12, v12, v29 dst_sel:DWORD dst_unused:UNUSED_PAD src0_sel:DWORD src1_sel:WORD_1
	v_add_u32_e32 v11, 2, v11
	v_cmp_eq_u32_e32 vcc, 1, v12
	s_nop 1
	v_cndmask_b32_e32 v10, v11, v10, vcc
	v_lshlrev_b32_e32 v10, 3, v10
	ds_write_b64 v10, v[6:7]
	v_sub_u32_e32 v6, v21, v17
	v_sub_u32_e32 v7, v1, v6
	v_and_b32_e32 v10, 1, v30
	v_add_u32_e32 v7, 3, v7
	v_cmp_eq_u32_e32 vcc, 1, v10
	s_nop 1
	v_cndmask_b32_e32 v6, v7, v6, vcc
	v_lshlrev_b32_e32 v6, 3, v6
	ds_write_b64 v6, v[8:9]
	v_sub_u32_e32 v6, v20, v17
	v_sub_u32_e32 v7, v1, v6
	v_and_b32_e32 v8, 1, v28
	;; [unrolled: 9-line block ×4, first 2 shown]
	v_add_u32_e32 v1, 6, v1
	v_cmp_eq_u32_e32 vcc, 1, v3
	s_nop 1
	v_cndmask_b32_e32 v1, v1, v2, vcc
	v_cmp_eq_u32_e32 vcc, 0, v0
	v_lshlrev_b32_e32 v1, 3, v1
	s_and_b64 s[0:1], vcc, s[22:23]
	ds_write_b64 v1, v[14:15]
	s_waitcnt lgkmcnt(0)
	s_barrier
	s_and_saveexec_b64 s[2:3], s[0:1]
	s_cbranch_execz .LBB2316_65
; %bb.64:
	v_mov_b32_e32 v1, 0
	v_mov_b32_e32 v0, v16
	v_lshl_add_u64 v[2:3], s[18:19], 0, v[0:1]
	v_mov_b32_e32 v0, v17
	v_lshl_add_u64 v[2:3], v[2:3], 0, v[0:1]
	global_store_dwordx2 v1, v[2:3], s[20:21]
.LBB2316_65:
	s_endpgm
	.section	.rodata,"a",@progbits
	.p2align	6, 0x0
	.amdhsa_kernel _ZN7rocprim17ROCPRIM_400000_NS6detail17trampoline_kernelINS0_14default_configENS1_25partition_config_selectorILNS1_17partition_subalgoE0EyNS0_10empty_typeEbEEZZNS1_14partition_implILS5_0ELb0ES3_jN6thrust23THRUST_200600_302600_NS6detail15normal_iteratorINSA_10device_ptrIyEEEEPS6_SG_NS0_5tupleIJNSA_16discard_iteratorINSA_11use_defaultEEESK_EEENSH_IJSG_SG_EEES6_PlJ7is_evenIyEEEE10hipError_tPvRmT3_T4_T5_T6_T7_T9_mT8_P12ihipStream_tbDpT10_ENKUlT_T0_E_clISt17integral_constantIbLb1EES18_IbLb0EEEEDaS14_S15_EUlS14_E_NS1_11comp_targetILNS1_3genE5ELNS1_11target_archE942ELNS1_3gpuE9ELNS1_3repE0EEENS1_30default_config_static_selectorELNS0_4arch9wavefront6targetE1EEEvT1_
		.amdhsa_group_segment_fixed_size 28680
		.amdhsa_private_segment_fixed_size 0
		.amdhsa_kernarg_size 136
		.amdhsa_user_sgpr_count 2
		.amdhsa_user_sgpr_dispatch_ptr 0
		.amdhsa_user_sgpr_queue_ptr 0
		.amdhsa_user_sgpr_kernarg_segment_ptr 1
		.amdhsa_user_sgpr_dispatch_id 0
		.amdhsa_user_sgpr_kernarg_preload_length 0
		.amdhsa_user_sgpr_kernarg_preload_offset 0
		.amdhsa_user_sgpr_private_segment_size 0
		.amdhsa_uses_dynamic_stack 0
		.amdhsa_enable_private_segment 0
		.amdhsa_system_sgpr_workgroup_id_x 1
		.amdhsa_system_sgpr_workgroup_id_y 0
		.amdhsa_system_sgpr_workgroup_id_z 0
		.amdhsa_system_sgpr_workgroup_info 0
		.amdhsa_system_vgpr_workitem_id 0
		.amdhsa_next_free_vgpr 56
		.amdhsa_next_free_sgpr 36
		.amdhsa_accum_offset 56
		.amdhsa_reserve_vcc 1
		.amdhsa_float_round_mode_32 0
		.amdhsa_float_round_mode_16_64 0
		.amdhsa_float_denorm_mode_32 3
		.amdhsa_float_denorm_mode_16_64 3
		.amdhsa_dx10_clamp 1
		.amdhsa_ieee_mode 1
		.amdhsa_fp16_overflow 0
		.amdhsa_tg_split 0
		.amdhsa_exception_fp_ieee_invalid_op 0
		.amdhsa_exception_fp_denorm_src 0
		.amdhsa_exception_fp_ieee_div_zero 0
		.amdhsa_exception_fp_ieee_overflow 0
		.amdhsa_exception_fp_ieee_underflow 0
		.amdhsa_exception_fp_ieee_inexact 0
		.amdhsa_exception_int_div_zero 0
	.end_amdhsa_kernel
	.section	.text._ZN7rocprim17ROCPRIM_400000_NS6detail17trampoline_kernelINS0_14default_configENS1_25partition_config_selectorILNS1_17partition_subalgoE0EyNS0_10empty_typeEbEEZZNS1_14partition_implILS5_0ELb0ES3_jN6thrust23THRUST_200600_302600_NS6detail15normal_iteratorINSA_10device_ptrIyEEEEPS6_SG_NS0_5tupleIJNSA_16discard_iteratorINSA_11use_defaultEEESK_EEENSH_IJSG_SG_EEES6_PlJ7is_evenIyEEEE10hipError_tPvRmT3_T4_T5_T6_T7_T9_mT8_P12ihipStream_tbDpT10_ENKUlT_T0_E_clISt17integral_constantIbLb1EES18_IbLb0EEEEDaS14_S15_EUlS14_E_NS1_11comp_targetILNS1_3genE5ELNS1_11target_archE942ELNS1_3gpuE9ELNS1_3repE0EEENS1_30default_config_static_selectorELNS0_4arch9wavefront6targetE1EEEvT1_,"axG",@progbits,_ZN7rocprim17ROCPRIM_400000_NS6detail17trampoline_kernelINS0_14default_configENS1_25partition_config_selectorILNS1_17partition_subalgoE0EyNS0_10empty_typeEbEEZZNS1_14partition_implILS5_0ELb0ES3_jN6thrust23THRUST_200600_302600_NS6detail15normal_iteratorINSA_10device_ptrIyEEEEPS6_SG_NS0_5tupleIJNSA_16discard_iteratorINSA_11use_defaultEEESK_EEENSH_IJSG_SG_EEES6_PlJ7is_evenIyEEEE10hipError_tPvRmT3_T4_T5_T6_T7_T9_mT8_P12ihipStream_tbDpT10_ENKUlT_T0_E_clISt17integral_constantIbLb1EES18_IbLb0EEEEDaS14_S15_EUlS14_E_NS1_11comp_targetILNS1_3genE5ELNS1_11target_archE942ELNS1_3gpuE9ELNS1_3repE0EEENS1_30default_config_static_selectorELNS0_4arch9wavefront6targetE1EEEvT1_,comdat
.Lfunc_end2316:
	.size	_ZN7rocprim17ROCPRIM_400000_NS6detail17trampoline_kernelINS0_14default_configENS1_25partition_config_selectorILNS1_17partition_subalgoE0EyNS0_10empty_typeEbEEZZNS1_14partition_implILS5_0ELb0ES3_jN6thrust23THRUST_200600_302600_NS6detail15normal_iteratorINSA_10device_ptrIyEEEEPS6_SG_NS0_5tupleIJNSA_16discard_iteratorINSA_11use_defaultEEESK_EEENSH_IJSG_SG_EEES6_PlJ7is_evenIyEEEE10hipError_tPvRmT3_T4_T5_T6_T7_T9_mT8_P12ihipStream_tbDpT10_ENKUlT_T0_E_clISt17integral_constantIbLb1EES18_IbLb0EEEEDaS14_S15_EUlS14_E_NS1_11comp_targetILNS1_3genE5ELNS1_11target_archE942ELNS1_3gpuE9ELNS1_3repE0EEENS1_30default_config_static_selectorELNS0_4arch9wavefront6targetE1EEEvT1_, .Lfunc_end2316-_ZN7rocprim17ROCPRIM_400000_NS6detail17trampoline_kernelINS0_14default_configENS1_25partition_config_selectorILNS1_17partition_subalgoE0EyNS0_10empty_typeEbEEZZNS1_14partition_implILS5_0ELb0ES3_jN6thrust23THRUST_200600_302600_NS6detail15normal_iteratorINSA_10device_ptrIyEEEEPS6_SG_NS0_5tupleIJNSA_16discard_iteratorINSA_11use_defaultEEESK_EEENSH_IJSG_SG_EEES6_PlJ7is_evenIyEEEE10hipError_tPvRmT3_T4_T5_T6_T7_T9_mT8_P12ihipStream_tbDpT10_ENKUlT_T0_E_clISt17integral_constantIbLb1EES18_IbLb0EEEEDaS14_S15_EUlS14_E_NS1_11comp_targetILNS1_3genE5ELNS1_11target_archE942ELNS1_3gpuE9ELNS1_3repE0EEENS1_30default_config_static_selectorELNS0_4arch9wavefront6targetE1EEEvT1_
                                        ; -- End function
	.section	.AMDGPU.csdata,"",@progbits
; Kernel info:
; codeLenInByte = 3676
; NumSgprs: 42
; NumVgprs: 56
; NumAgprs: 0
; TotalNumVgprs: 56
; ScratchSize: 0
; MemoryBound: 0
; FloatMode: 240
; IeeeMode: 1
; LDSByteSize: 28680 bytes/workgroup (compile time only)
; SGPRBlocks: 5
; VGPRBlocks: 6
; NumSGPRsForWavesPerEU: 42
; NumVGPRsForWavesPerEU: 56
; AccumOffset: 56
; Occupancy: 4
; WaveLimiterHint : 1
; COMPUTE_PGM_RSRC2:SCRATCH_EN: 0
; COMPUTE_PGM_RSRC2:USER_SGPR: 2
; COMPUTE_PGM_RSRC2:TRAP_HANDLER: 0
; COMPUTE_PGM_RSRC2:TGID_X_EN: 1
; COMPUTE_PGM_RSRC2:TGID_Y_EN: 0
; COMPUTE_PGM_RSRC2:TGID_Z_EN: 0
; COMPUTE_PGM_RSRC2:TIDIG_COMP_CNT: 0
; COMPUTE_PGM_RSRC3_GFX90A:ACCUM_OFFSET: 13
; COMPUTE_PGM_RSRC3_GFX90A:TG_SPLIT: 0
	.section	.text._ZN7rocprim17ROCPRIM_400000_NS6detail17trampoline_kernelINS0_14default_configENS1_25partition_config_selectorILNS1_17partition_subalgoE0EyNS0_10empty_typeEbEEZZNS1_14partition_implILS5_0ELb0ES3_jN6thrust23THRUST_200600_302600_NS6detail15normal_iteratorINSA_10device_ptrIyEEEEPS6_SG_NS0_5tupleIJNSA_16discard_iteratorINSA_11use_defaultEEESK_EEENSH_IJSG_SG_EEES6_PlJ7is_evenIyEEEE10hipError_tPvRmT3_T4_T5_T6_T7_T9_mT8_P12ihipStream_tbDpT10_ENKUlT_T0_E_clISt17integral_constantIbLb1EES18_IbLb0EEEEDaS14_S15_EUlS14_E_NS1_11comp_targetILNS1_3genE4ELNS1_11target_archE910ELNS1_3gpuE8ELNS1_3repE0EEENS1_30default_config_static_selectorELNS0_4arch9wavefront6targetE1EEEvT1_,"axG",@progbits,_ZN7rocprim17ROCPRIM_400000_NS6detail17trampoline_kernelINS0_14default_configENS1_25partition_config_selectorILNS1_17partition_subalgoE0EyNS0_10empty_typeEbEEZZNS1_14partition_implILS5_0ELb0ES3_jN6thrust23THRUST_200600_302600_NS6detail15normal_iteratorINSA_10device_ptrIyEEEEPS6_SG_NS0_5tupleIJNSA_16discard_iteratorINSA_11use_defaultEEESK_EEENSH_IJSG_SG_EEES6_PlJ7is_evenIyEEEE10hipError_tPvRmT3_T4_T5_T6_T7_T9_mT8_P12ihipStream_tbDpT10_ENKUlT_T0_E_clISt17integral_constantIbLb1EES18_IbLb0EEEEDaS14_S15_EUlS14_E_NS1_11comp_targetILNS1_3genE4ELNS1_11target_archE910ELNS1_3gpuE8ELNS1_3repE0EEENS1_30default_config_static_selectorELNS0_4arch9wavefront6targetE1EEEvT1_,comdat
	.protected	_ZN7rocprim17ROCPRIM_400000_NS6detail17trampoline_kernelINS0_14default_configENS1_25partition_config_selectorILNS1_17partition_subalgoE0EyNS0_10empty_typeEbEEZZNS1_14partition_implILS5_0ELb0ES3_jN6thrust23THRUST_200600_302600_NS6detail15normal_iteratorINSA_10device_ptrIyEEEEPS6_SG_NS0_5tupleIJNSA_16discard_iteratorINSA_11use_defaultEEESK_EEENSH_IJSG_SG_EEES6_PlJ7is_evenIyEEEE10hipError_tPvRmT3_T4_T5_T6_T7_T9_mT8_P12ihipStream_tbDpT10_ENKUlT_T0_E_clISt17integral_constantIbLb1EES18_IbLb0EEEEDaS14_S15_EUlS14_E_NS1_11comp_targetILNS1_3genE4ELNS1_11target_archE910ELNS1_3gpuE8ELNS1_3repE0EEENS1_30default_config_static_selectorELNS0_4arch9wavefront6targetE1EEEvT1_ ; -- Begin function _ZN7rocprim17ROCPRIM_400000_NS6detail17trampoline_kernelINS0_14default_configENS1_25partition_config_selectorILNS1_17partition_subalgoE0EyNS0_10empty_typeEbEEZZNS1_14partition_implILS5_0ELb0ES3_jN6thrust23THRUST_200600_302600_NS6detail15normal_iteratorINSA_10device_ptrIyEEEEPS6_SG_NS0_5tupleIJNSA_16discard_iteratorINSA_11use_defaultEEESK_EEENSH_IJSG_SG_EEES6_PlJ7is_evenIyEEEE10hipError_tPvRmT3_T4_T5_T6_T7_T9_mT8_P12ihipStream_tbDpT10_ENKUlT_T0_E_clISt17integral_constantIbLb1EES18_IbLb0EEEEDaS14_S15_EUlS14_E_NS1_11comp_targetILNS1_3genE4ELNS1_11target_archE910ELNS1_3gpuE8ELNS1_3repE0EEENS1_30default_config_static_selectorELNS0_4arch9wavefront6targetE1EEEvT1_
	.globl	_ZN7rocprim17ROCPRIM_400000_NS6detail17trampoline_kernelINS0_14default_configENS1_25partition_config_selectorILNS1_17partition_subalgoE0EyNS0_10empty_typeEbEEZZNS1_14partition_implILS5_0ELb0ES3_jN6thrust23THRUST_200600_302600_NS6detail15normal_iteratorINSA_10device_ptrIyEEEEPS6_SG_NS0_5tupleIJNSA_16discard_iteratorINSA_11use_defaultEEESK_EEENSH_IJSG_SG_EEES6_PlJ7is_evenIyEEEE10hipError_tPvRmT3_T4_T5_T6_T7_T9_mT8_P12ihipStream_tbDpT10_ENKUlT_T0_E_clISt17integral_constantIbLb1EES18_IbLb0EEEEDaS14_S15_EUlS14_E_NS1_11comp_targetILNS1_3genE4ELNS1_11target_archE910ELNS1_3gpuE8ELNS1_3repE0EEENS1_30default_config_static_selectorELNS0_4arch9wavefront6targetE1EEEvT1_
	.p2align	8
	.type	_ZN7rocprim17ROCPRIM_400000_NS6detail17trampoline_kernelINS0_14default_configENS1_25partition_config_selectorILNS1_17partition_subalgoE0EyNS0_10empty_typeEbEEZZNS1_14partition_implILS5_0ELb0ES3_jN6thrust23THRUST_200600_302600_NS6detail15normal_iteratorINSA_10device_ptrIyEEEEPS6_SG_NS0_5tupleIJNSA_16discard_iteratorINSA_11use_defaultEEESK_EEENSH_IJSG_SG_EEES6_PlJ7is_evenIyEEEE10hipError_tPvRmT3_T4_T5_T6_T7_T9_mT8_P12ihipStream_tbDpT10_ENKUlT_T0_E_clISt17integral_constantIbLb1EES18_IbLb0EEEEDaS14_S15_EUlS14_E_NS1_11comp_targetILNS1_3genE4ELNS1_11target_archE910ELNS1_3gpuE8ELNS1_3repE0EEENS1_30default_config_static_selectorELNS0_4arch9wavefront6targetE1EEEvT1_,@function
_ZN7rocprim17ROCPRIM_400000_NS6detail17trampoline_kernelINS0_14default_configENS1_25partition_config_selectorILNS1_17partition_subalgoE0EyNS0_10empty_typeEbEEZZNS1_14partition_implILS5_0ELb0ES3_jN6thrust23THRUST_200600_302600_NS6detail15normal_iteratorINSA_10device_ptrIyEEEEPS6_SG_NS0_5tupleIJNSA_16discard_iteratorINSA_11use_defaultEEESK_EEENSH_IJSG_SG_EEES6_PlJ7is_evenIyEEEE10hipError_tPvRmT3_T4_T5_T6_T7_T9_mT8_P12ihipStream_tbDpT10_ENKUlT_T0_E_clISt17integral_constantIbLb1EES18_IbLb0EEEEDaS14_S15_EUlS14_E_NS1_11comp_targetILNS1_3genE4ELNS1_11target_archE910ELNS1_3gpuE8ELNS1_3repE0EEENS1_30default_config_static_selectorELNS0_4arch9wavefront6targetE1EEEvT1_: ; @_ZN7rocprim17ROCPRIM_400000_NS6detail17trampoline_kernelINS0_14default_configENS1_25partition_config_selectorILNS1_17partition_subalgoE0EyNS0_10empty_typeEbEEZZNS1_14partition_implILS5_0ELb0ES3_jN6thrust23THRUST_200600_302600_NS6detail15normal_iteratorINSA_10device_ptrIyEEEEPS6_SG_NS0_5tupleIJNSA_16discard_iteratorINSA_11use_defaultEEESK_EEENSH_IJSG_SG_EEES6_PlJ7is_evenIyEEEE10hipError_tPvRmT3_T4_T5_T6_T7_T9_mT8_P12ihipStream_tbDpT10_ENKUlT_T0_E_clISt17integral_constantIbLb1EES18_IbLb0EEEEDaS14_S15_EUlS14_E_NS1_11comp_targetILNS1_3genE4ELNS1_11target_archE910ELNS1_3gpuE8ELNS1_3repE0EEENS1_30default_config_static_selectorELNS0_4arch9wavefront6targetE1EEEvT1_
; %bb.0:
	.section	.rodata,"a",@progbits
	.p2align	6, 0x0
	.amdhsa_kernel _ZN7rocprim17ROCPRIM_400000_NS6detail17trampoline_kernelINS0_14default_configENS1_25partition_config_selectorILNS1_17partition_subalgoE0EyNS0_10empty_typeEbEEZZNS1_14partition_implILS5_0ELb0ES3_jN6thrust23THRUST_200600_302600_NS6detail15normal_iteratorINSA_10device_ptrIyEEEEPS6_SG_NS0_5tupleIJNSA_16discard_iteratorINSA_11use_defaultEEESK_EEENSH_IJSG_SG_EEES6_PlJ7is_evenIyEEEE10hipError_tPvRmT3_T4_T5_T6_T7_T9_mT8_P12ihipStream_tbDpT10_ENKUlT_T0_E_clISt17integral_constantIbLb1EES18_IbLb0EEEEDaS14_S15_EUlS14_E_NS1_11comp_targetILNS1_3genE4ELNS1_11target_archE910ELNS1_3gpuE8ELNS1_3repE0EEENS1_30default_config_static_selectorELNS0_4arch9wavefront6targetE1EEEvT1_
		.amdhsa_group_segment_fixed_size 0
		.amdhsa_private_segment_fixed_size 0
		.amdhsa_kernarg_size 136
		.amdhsa_user_sgpr_count 2
		.amdhsa_user_sgpr_dispatch_ptr 0
		.amdhsa_user_sgpr_queue_ptr 0
		.amdhsa_user_sgpr_kernarg_segment_ptr 1
		.amdhsa_user_sgpr_dispatch_id 0
		.amdhsa_user_sgpr_kernarg_preload_length 0
		.amdhsa_user_sgpr_kernarg_preload_offset 0
		.amdhsa_user_sgpr_private_segment_size 0
		.amdhsa_uses_dynamic_stack 0
		.amdhsa_enable_private_segment 0
		.amdhsa_system_sgpr_workgroup_id_x 1
		.amdhsa_system_sgpr_workgroup_id_y 0
		.amdhsa_system_sgpr_workgroup_id_z 0
		.amdhsa_system_sgpr_workgroup_info 0
		.amdhsa_system_vgpr_workitem_id 0
		.amdhsa_next_free_vgpr 1
		.amdhsa_next_free_sgpr 0
		.amdhsa_accum_offset 4
		.amdhsa_reserve_vcc 0
		.amdhsa_float_round_mode_32 0
		.amdhsa_float_round_mode_16_64 0
		.amdhsa_float_denorm_mode_32 3
		.amdhsa_float_denorm_mode_16_64 3
		.amdhsa_dx10_clamp 1
		.amdhsa_ieee_mode 1
		.amdhsa_fp16_overflow 0
		.amdhsa_tg_split 0
		.amdhsa_exception_fp_ieee_invalid_op 0
		.amdhsa_exception_fp_denorm_src 0
		.amdhsa_exception_fp_ieee_div_zero 0
		.amdhsa_exception_fp_ieee_overflow 0
		.amdhsa_exception_fp_ieee_underflow 0
		.amdhsa_exception_fp_ieee_inexact 0
		.amdhsa_exception_int_div_zero 0
	.end_amdhsa_kernel
	.section	.text._ZN7rocprim17ROCPRIM_400000_NS6detail17trampoline_kernelINS0_14default_configENS1_25partition_config_selectorILNS1_17partition_subalgoE0EyNS0_10empty_typeEbEEZZNS1_14partition_implILS5_0ELb0ES3_jN6thrust23THRUST_200600_302600_NS6detail15normal_iteratorINSA_10device_ptrIyEEEEPS6_SG_NS0_5tupleIJNSA_16discard_iteratorINSA_11use_defaultEEESK_EEENSH_IJSG_SG_EEES6_PlJ7is_evenIyEEEE10hipError_tPvRmT3_T4_T5_T6_T7_T9_mT8_P12ihipStream_tbDpT10_ENKUlT_T0_E_clISt17integral_constantIbLb1EES18_IbLb0EEEEDaS14_S15_EUlS14_E_NS1_11comp_targetILNS1_3genE4ELNS1_11target_archE910ELNS1_3gpuE8ELNS1_3repE0EEENS1_30default_config_static_selectorELNS0_4arch9wavefront6targetE1EEEvT1_,"axG",@progbits,_ZN7rocprim17ROCPRIM_400000_NS6detail17trampoline_kernelINS0_14default_configENS1_25partition_config_selectorILNS1_17partition_subalgoE0EyNS0_10empty_typeEbEEZZNS1_14partition_implILS5_0ELb0ES3_jN6thrust23THRUST_200600_302600_NS6detail15normal_iteratorINSA_10device_ptrIyEEEEPS6_SG_NS0_5tupleIJNSA_16discard_iteratorINSA_11use_defaultEEESK_EEENSH_IJSG_SG_EEES6_PlJ7is_evenIyEEEE10hipError_tPvRmT3_T4_T5_T6_T7_T9_mT8_P12ihipStream_tbDpT10_ENKUlT_T0_E_clISt17integral_constantIbLb1EES18_IbLb0EEEEDaS14_S15_EUlS14_E_NS1_11comp_targetILNS1_3genE4ELNS1_11target_archE910ELNS1_3gpuE8ELNS1_3repE0EEENS1_30default_config_static_selectorELNS0_4arch9wavefront6targetE1EEEvT1_,comdat
.Lfunc_end2317:
	.size	_ZN7rocprim17ROCPRIM_400000_NS6detail17trampoline_kernelINS0_14default_configENS1_25partition_config_selectorILNS1_17partition_subalgoE0EyNS0_10empty_typeEbEEZZNS1_14partition_implILS5_0ELb0ES3_jN6thrust23THRUST_200600_302600_NS6detail15normal_iteratorINSA_10device_ptrIyEEEEPS6_SG_NS0_5tupleIJNSA_16discard_iteratorINSA_11use_defaultEEESK_EEENSH_IJSG_SG_EEES6_PlJ7is_evenIyEEEE10hipError_tPvRmT3_T4_T5_T6_T7_T9_mT8_P12ihipStream_tbDpT10_ENKUlT_T0_E_clISt17integral_constantIbLb1EES18_IbLb0EEEEDaS14_S15_EUlS14_E_NS1_11comp_targetILNS1_3genE4ELNS1_11target_archE910ELNS1_3gpuE8ELNS1_3repE0EEENS1_30default_config_static_selectorELNS0_4arch9wavefront6targetE1EEEvT1_, .Lfunc_end2317-_ZN7rocprim17ROCPRIM_400000_NS6detail17trampoline_kernelINS0_14default_configENS1_25partition_config_selectorILNS1_17partition_subalgoE0EyNS0_10empty_typeEbEEZZNS1_14partition_implILS5_0ELb0ES3_jN6thrust23THRUST_200600_302600_NS6detail15normal_iteratorINSA_10device_ptrIyEEEEPS6_SG_NS0_5tupleIJNSA_16discard_iteratorINSA_11use_defaultEEESK_EEENSH_IJSG_SG_EEES6_PlJ7is_evenIyEEEE10hipError_tPvRmT3_T4_T5_T6_T7_T9_mT8_P12ihipStream_tbDpT10_ENKUlT_T0_E_clISt17integral_constantIbLb1EES18_IbLb0EEEEDaS14_S15_EUlS14_E_NS1_11comp_targetILNS1_3genE4ELNS1_11target_archE910ELNS1_3gpuE8ELNS1_3repE0EEENS1_30default_config_static_selectorELNS0_4arch9wavefront6targetE1EEEvT1_
                                        ; -- End function
	.section	.AMDGPU.csdata,"",@progbits
; Kernel info:
; codeLenInByte = 0
; NumSgprs: 6
; NumVgprs: 0
; NumAgprs: 0
; TotalNumVgprs: 0
; ScratchSize: 0
; MemoryBound: 0
; FloatMode: 240
; IeeeMode: 1
; LDSByteSize: 0 bytes/workgroup (compile time only)
; SGPRBlocks: 0
; VGPRBlocks: 0
; NumSGPRsForWavesPerEU: 6
; NumVGPRsForWavesPerEU: 1
; AccumOffset: 4
; Occupancy: 8
; WaveLimiterHint : 0
; COMPUTE_PGM_RSRC2:SCRATCH_EN: 0
; COMPUTE_PGM_RSRC2:USER_SGPR: 2
; COMPUTE_PGM_RSRC2:TRAP_HANDLER: 0
; COMPUTE_PGM_RSRC2:TGID_X_EN: 1
; COMPUTE_PGM_RSRC2:TGID_Y_EN: 0
; COMPUTE_PGM_RSRC2:TGID_Z_EN: 0
; COMPUTE_PGM_RSRC2:TIDIG_COMP_CNT: 0
; COMPUTE_PGM_RSRC3_GFX90A:ACCUM_OFFSET: 0
; COMPUTE_PGM_RSRC3_GFX90A:TG_SPLIT: 0
	.section	.text._ZN7rocprim17ROCPRIM_400000_NS6detail17trampoline_kernelINS0_14default_configENS1_25partition_config_selectorILNS1_17partition_subalgoE0EyNS0_10empty_typeEbEEZZNS1_14partition_implILS5_0ELb0ES3_jN6thrust23THRUST_200600_302600_NS6detail15normal_iteratorINSA_10device_ptrIyEEEEPS6_SG_NS0_5tupleIJNSA_16discard_iteratorINSA_11use_defaultEEESK_EEENSH_IJSG_SG_EEES6_PlJ7is_evenIyEEEE10hipError_tPvRmT3_T4_T5_T6_T7_T9_mT8_P12ihipStream_tbDpT10_ENKUlT_T0_E_clISt17integral_constantIbLb1EES18_IbLb0EEEEDaS14_S15_EUlS14_E_NS1_11comp_targetILNS1_3genE3ELNS1_11target_archE908ELNS1_3gpuE7ELNS1_3repE0EEENS1_30default_config_static_selectorELNS0_4arch9wavefront6targetE1EEEvT1_,"axG",@progbits,_ZN7rocprim17ROCPRIM_400000_NS6detail17trampoline_kernelINS0_14default_configENS1_25partition_config_selectorILNS1_17partition_subalgoE0EyNS0_10empty_typeEbEEZZNS1_14partition_implILS5_0ELb0ES3_jN6thrust23THRUST_200600_302600_NS6detail15normal_iteratorINSA_10device_ptrIyEEEEPS6_SG_NS0_5tupleIJNSA_16discard_iteratorINSA_11use_defaultEEESK_EEENSH_IJSG_SG_EEES6_PlJ7is_evenIyEEEE10hipError_tPvRmT3_T4_T5_T6_T7_T9_mT8_P12ihipStream_tbDpT10_ENKUlT_T0_E_clISt17integral_constantIbLb1EES18_IbLb0EEEEDaS14_S15_EUlS14_E_NS1_11comp_targetILNS1_3genE3ELNS1_11target_archE908ELNS1_3gpuE7ELNS1_3repE0EEENS1_30default_config_static_selectorELNS0_4arch9wavefront6targetE1EEEvT1_,comdat
	.protected	_ZN7rocprim17ROCPRIM_400000_NS6detail17trampoline_kernelINS0_14default_configENS1_25partition_config_selectorILNS1_17partition_subalgoE0EyNS0_10empty_typeEbEEZZNS1_14partition_implILS5_0ELb0ES3_jN6thrust23THRUST_200600_302600_NS6detail15normal_iteratorINSA_10device_ptrIyEEEEPS6_SG_NS0_5tupleIJNSA_16discard_iteratorINSA_11use_defaultEEESK_EEENSH_IJSG_SG_EEES6_PlJ7is_evenIyEEEE10hipError_tPvRmT3_T4_T5_T6_T7_T9_mT8_P12ihipStream_tbDpT10_ENKUlT_T0_E_clISt17integral_constantIbLb1EES18_IbLb0EEEEDaS14_S15_EUlS14_E_NS1_11comp_targetILNS1_3genE3ELNS1_11target_archE908ELNS1_3gpuE7ELNS1_3repE0EEENS1_30default_config_static_selectorELNS0_4arch9wavefront6targetE1EEEvT1_ ; -- Begin function _ZN7rocprim17ROCPRIM_400000_NS6detail17trampoline_kernelINS0_14default_configENS1_25partition_config_selectorILNS1_17partition_subalgoE0EyNS0_10empty_typeEbEEZZNS1_14partition_implILS5_0ELb0ES3_jN6thrust23THRUST_200600_302600_NS6detail15normal_iteratorINSA_10device_ptrIyEEEEPS6_SG_NS0_5tupleIJNSA_16discard_iteratorINSA_11use_defaultEEESK_EEENSH_IJSG_SG_EEES6_PlJ7is_evenIyEEEE10hipError_tPvRmT3_T4_T5_T6_T7_T9_mT8_P12ihipStream_tbDpT10_ENKUlT_T0_E_clISt17integral_constantIbLb1EES18_IbLb0EEEEDaS14_S15_EUlS14_E_NS1_11comp_targetILNS1_3genE3ELNS1_11target_archE908ELNS1_3gpuE7ELNS1_3repE0EEENS1_30default_config_static_selectorELNS0_4arch9wavefront6targetE1EEEvT1_
	.globl	_ZN7rocprim17ROCPRIM_400000_NS6detail17trampoline_kernelINS0_14default_configENS1_25partition_config_selectorILNS1_17partition_subalgoE0EyNS0_10empty_typeEbEEZZNS1_14partition_implILS5_0ELb0ES3_jN6thrust23THRUST_200600_302600_NS6detail15normal_iteratorINSA_10device_ptrIyEEEEPS6_SG_NS0_5tupleIJNSA_16discard_iteratorINSA_11use_defaultEEESK_EEENSH_IJSG_SG_EEES6_PlJ7is_evenIyEEEE10hipError_tPvRmT3_T4_T5_T6_T7_T9_mT8_P12ihipStream_tbDpT10_ENKUlT_T0_E_clISt17integral_constantIbLb1EES18_IbLb0EEEEDaS14_S15_EUlS14_E_NS1_11comp_targetILNS1_3genE3ELNS1_11target_archE908ELNS1_3gpuE7ELNS1_3repE0EEENS1_30default_config_static_selectorELNS0_4arch9wavefront6targetE1EEEvT1_
	.p2align	8
	.type	_ZN7rocprim17ROCPRIM_400000_NS6detail17trampoline_kernelINS0_14default_configENS1_25partition_config_selectorILNS1_17partition_subalgoE0EyNS0_10empty_typeEbEEZZNS1_14partition_implILS5_0ELb0ES3_jN6thrust23THRUST_200600_302600_NS6detail15normal_iteratorINSA_10device_ptrIyEEEEPS6_SG_NS0_5tupleIJNSA_16discard_iteratorINSA_11use_defaultEEESK_EEENSH_IJSG_SG_EEES6_PlJ7is_evenIyEEEE10hipError_tPvRmT3_T4_T5_T6_T7_T9_mT8_P12ihipStream_tbDpT10_ENKUlT_T0_E_clISt17integral_constantIbLb1EES18_IbLb0EEEEDaS14_S15_EUlS14_E_NS1_11comp_targetILNS1_3genE3ELNS1_11target_archE908ELNS1_3gpuE7ELNS1_3repE0EEENS1_30default_config_static_selectorELNS0_4arch9wavefront6targetE1EEEvT1_,@function
_ZN7rocprim17ROCPRIM_400000_NS6detail17trampoline_kernelINS0_14default_configENS1_25partition_config_selectorILNS1_17partition_subalgoE0EyNS0_10empty_typeEbEEZZNS1_14partition_implILS5_0ELb0ES3_jN6thrust23THRUST_200600_302600_NS6detail15normal_iteratorINSA_10device_ptrIyEEEEPS6_SG_NS0_5tupleIJNSA_16discard_iteratorINSA_11use_defaultEEESK_EEENSH_IJSG_SG_EEES6_PlJ7is_evenIyEEEE10hipError_tPvRmT3_T4_T5_T6_T7_T9_mT8_P12ihipStream_tbDpT10_ENKUlT_T0_E_clISt17integral_constantIbLb1EES18_IbLb0EEEEDaS14_S15_EUlS14_E_NS1_11comp_targetILNS1_3genE3ELNS1_11target_archE908ELNS1_3gpuE7ELNS1_3repE0EEENS1_30default_config_static_selectorELNS0_4arch9wavefront6targetE1EEEvT1_: ; @_ZN7rocprim17ROCPRIM_400000_NS6detail17trampoline_kernelINS0_14default_configENS1_25partition_config_selectorILNS1_17partition_subalgoE0EyNS0_10empty_typeEbEEZZNS1_14partition_implILS5_0ELb0ES3_jN6thrust23THRUST_200600_302600_NS6detail15normal_iteratorINSA_10device_ptrIyEEEEPS6_SG_NS0_5tupleIJNSA_16discard_iteratorINSA_11use_defaultEEESK_EEENSH_IJSG_SG_EEES6_PlJ7is_evenIyEEEE10hipError_tPvRmT3_T4_T5_T6_T7_T9_mT8_P12ihipStream_tbDpT10_ENKUlT_T0_E_clISt17integral_constantIbLb1EES18_IbLb0EEEEDaS14_S15_EUlS14_E_NS1_11comp_targetILNS1_3genE3ELNS1_11target_archE908ELNS1_3gpuE7ELNS1_3repE0EEENS1_30default_config_static_selectorELNS0_4arch9wavefront6targetE1EEEvT1_
; %bb.0:
	.section	.rodata,"a",@progbits
	.p2align	6, 0x0
	.amdhsa_kernel _ZN7rocprim17ROCPRIM_400000_NS6detail17trampoline_kernelINS0_14default_configENS1_25partition_config_selectorILNS1_17partition_subalgoE0EyNS0_10empty_typeEbEEZZNS1_14partition_implILS5_0ELb0ES3_jN6thrust23THRUST_200600_302600_NS6detail15normal_iteratorINSA_10device_ptrIyEEEEPS6_SG_NS0_5tupleIJNSA_16discard_iteratorINSA_11use_defaultEEESK_EEENSH_IJSG_SG_EEES6_PlJ7is_evenIyEEEE10hipError_tPvRmT3_T4_T5_T6_T7_T9_mT8_P12ihipStream_tbDpT10_ENKUlT_T0_E_clISt17integral_constantIbLb1EES18_IbLb0EEEEDaS14_S15_EUlS14_E_NS1_11comp_targetILNS1_3genE3ELNS1_11target_archE908ELNS1_3gpuE7ELNS1_3repE0EEENS1_30default_config_static_selectorELNS0_4arch9wavefront6targetE1EEEvT1_
		.amdhsa_group_segment_fixed_size 0
		.amdhsa_private_segment_fixed_size 0
		.amdhsa_kernarg_size 136
		.amdhsa_user_sgpr_count 2
		.amdhsa_user_sgpr_dispatch_ptr 0
		.amdhsa_user_sgpr_queue_ptr 0
		.amdhsa_user_sgpr_kernarg_segment_ptr 1
		.amdhsa_user_sgpr_dispatch_id 0
		.amdhsa_user_sgpr_kernarg_preload_length 0
		.amdhsa_user_sgpr_kernarg_preload_offset 0
		.amdhsa_user_sgpr_private_segment_size 0
		.amdhsa_uses_dynamic_stack 0
		.amdhsa_enable_private_segment 0
		.amdhsa_system_sgpr_workgroup_id_x 1
		.amdhsa_system_sgpr_workgroup_id_y 0
		.amdhsa_system_sgpr_workgroup_id_z 0
		.amdhsa_system_sgpr_workgroup_info 0
		.amdhsa_system_vgpr_workitem_id 0
		.amdhsa_next_free_vgpr 1
		.amdhsa_next_free_sgpr 0
		.amdhsa_accum_offset 4
		.amdhsa_reserve_vcc 0
		.amdhsa_float_round_mode_32 0
		.amdhsa_float_round_mode_16_64 0
		.amdhsa_float_denorm_mode_32 3
		.amdhsa_float_denorm_mode_16_64 3
		.amdhsa_dx10_clamp 1
		.amdhsa_ieee_mode 1
		.amdhsa_fp16_overflow 0
		.amdhsa_tg_split 0
		.amdhsa_exception_fp_ieee_invalid_op 0
		.amdhsa_exception_fp_denorm_src 0
		.amdhsa_exception_fp_ieee_div_zero 0
		.amdhsa_exception_fp_ieee_overflow 0
		.amdhsa_exception_fp_ieee_underflow 0
		.amdhsa_exception_fp_ieee_inexact 0
		.amdhsa_exception_int_div_zero 0
	.end_amdhsa_kernel
	.section	.text._ZN7rocprim17ROCPRIM_400000_NS6detail17trampoline_kernelINS0_14default_configENS1_25partition_config_selectorILNS1_17partition_subalgoE0EyNS0_10empty_typeEbEEZZNS1_14partition_implILS5_0ELb0ES3_jN6thrust23THRUST_200600_302600_NS6detail15normal_iteratorINSA_10device_ptrIyEEEEPS6_SG_NS0_5tupleIJNSA_16discard_iteratorINSA_11use_defaultEEESK_EEENSH_IJSG_SG_EEES6_PlJ7is_evenIyEEEE10hipError_tPvRmT3_T4_T5_T6_T7_T9_mT8_P12ihipStream_tbDpT10_ENKUlT_T0_E_clISt17integral_constantIbLb1EES18_IbLb0EEEEDaS14_S15_EUlS14_E_NS1_11comp_targetILNS1_3genE3ELNS1_11target_archE908ELNS1_3gpuE7ELNS1_3repE0EEENS1_30default_config_static_selectorELNS0_4arch9wavefront6targetE1EEEvT1_,"axG",@progbits,_ZN7rocprim17ROCPRIM_400000_NS6detail17trampoline_kernelINS0_14default_configENS1_25partition_config_selectorILNS1_17partition_subalgoE0EyNS0_10empty_typeEbEEZZNS1_14partition_implILS5_0ELb0ES3_jN6thrust23THRUST_200600_302600_NS6detail15normal_iteratorINSA_10device_ptrIyEEEEPS6_SG_NS0_5tupleIJNSA_16discard_iteratorINSA_11use_defaultEEESK_EEENSH_IJSG_SG_EEES6_PlJ7is_evenIyEEEE10hipError_tPvRmT3_T4_T5_T6_T7_T9_mT8_P12ihipStream_tbDpT10_ENKUlT_T0_E_clISt17integral_constantIbLb1EES18_IbLb0EEEEDaS14_S15_EUlS14_E_NS1_11comp_targetILNS1_3genE3ELNS1_11target_archE908ELNS1_3gpuE7ELNS1_3repE0EEENS1_30default_config_static_selectorELNS0_4arch9wavefront6targetE1EEEvT1_,comdat
.Lfunc_end2318:
	.size	_ZN7rocprim17ROCPRIM_400000_NS6detail17trampoline_kernelINS0_14default_configENS1_25partition_config_selectorILNS1_17partition_subalgoE0EyNS0_10empty_typeEbEEZZNS1_14partition_implILS5_0ELb0ES3_jN6thrust23THRUST_200600_302600_NS6detail15normal_iteratorINSA_10device_ptrIyEEEEPS6_SG_NS0_5tupleIJNSA_16discard_iteratorINSA_11use_defaultEEESK_EEENSH_IJSG_SG_EEES6_PlJ7is_evenIyEEEE10hipError_tPvRmT3_T4_T5_T6_T7_T9_mT8_P12ihipStream_tbDpT10_ENKUlT_T0_E_clISt17integral_constantIbLb1EES18_IbLb0EEEEDaS14_S15_EUlS14_E_NS1_11comp_targetILNS1_3genE3ELNS1_11target_archE908ELNS1_3gpuE7ELNS1_3repE0EEENS1_30default_config_static_selectorELNS0_4arch9wavefront6targetE1EEEvT1_, .Lfunc_end2318-_ZN7rocprim17ROCPRIM_400000_NS6detail17trampoline_kernelINS0_14default_configENS1_25partition_config_selectorILNS1_17partition_subalgoE0EyNS0_10empty_typeEbEEZZNS1_14partition_implILS5_0ELb0ES3_jN6thrust23THRUST_200600_302600_NS6detail15normal_iteratorINSA_10device_ptrIyEEEEPS6_SG_NS0_5tupleIJNSA_16discard_iteratorINSA_11use_defaultEEESK_EEENSH_IJSG_SG_EEES6_PlJ7is_evenIyEEEE10hipError_tPvRmT3_T4_T5_T6_T7_T9_mT8_P12ihipStream_tbDpT10_ENKUlT_T0_E_clISt17integral_constantIbLb1EES18_IbLb0EEEEDaS14_S15_EUlS14_E_NS1_11comp_targetILNS1_3genE3ELNS1_11target_archE908ELNS1_3gpuE7ELNS1_3repE0EEENS1_30default_config_static_selectorELNS0_4arch9wavefront6targetE1EEEvT1_
                                        ; -- End function
	.section	.AMDGPU.csdata,"",@progbits
; Kernel info:
; codeLenInByte = 0
; NumSgprs: 6
; NumVgprs: 0
; NumAgprs: 0
; TotalNumVgprs: 0
; ScratchSize: 0
; MemoryBound: 0
; FloatMode: 240
; IeeeMode: 1
; LDSByteSize: 0 bytes/workgroup (compile time only)
; SGPRBlocks: 0
; VGPRBlocks: 0
; NumSGPRsForWavesPerEU: 6
; NumVGPRsForWavesPerEU: 1
; AccumOffset: 4
; Occupancy: 8
; WaveLimiterHint : 0
; COMPUTE_PGM_RSRC2:SCRATCH_EN: 0
; COMPUTE_PGM_RSRC2:USER_SGPR: 2
; COMPUTE_PGM_RSRC2:TRAP_HANDLER: 0
; COMPUTE_PGM_RSRC2:TGID_X_EN: 1
; COMPUTE_PGM_RSRC2:TGID_Y_EN: 0
; COMPUTE_PGM_RSRC2:TGID_Z_EN: 0
; COMPUTE_PGM_RSRC2:TIDIG_COMP_CNT: 0
; COMPUTE_PGM_RSRC3_GFX90A:ACCUM_OFFSET: 0
; COMPUTE_PGM_RSRC3_GFX90A:TG_SPLIT: 0
	.section	.text._ZN7rocprim17ROCPRIM_400000_NS6detail17trampoline_kernelINS0_14default_configENS1_25partition_config_selectorILNS1_17partition_subalgoE0EyNS0_10empty_typeEbEEZZNS1_14partition_implILS5_0ELb0ES3_jN6thrust23THRUST_200600_302600_NS6detail15normal_iteratorINSA_10device_ptrIyEEEEPS6_SG_NS0_5tupleIJNSA_16discard_iteratorINSA_11use_defaultEEESK_EEENSH_IJSG_SG_EEES6_PlJ7is_evenIyEEEE10hipError_tPvRmT3_T4_T5_T6_T7_T9_mT8_P12ihipStream_tbDpT10_ENKUlT_T0_E_clISt17integral_constantIbLb1EES18_IbLb0EEEEDaS14_S15_EUlS14_E_NS1_11comp_targetILNS1_3genE2ELNS1_11target_archE906ELNS1_3gpuE6ELNS1_3repE0EEENS1_30default_config_static_selectorELNS0_4arch9wavefront6targetE1EEEvT1_,"axG",@progbits,_ZN7rocprim17ROCPRIM_400000_NS6detail17trampoline_kernelINS0_14default_configENS1_25partition_config_selectorILNS1_17partition_subalgoE0EyNS0_10empty_typeEbEEZZNS1_14partition_implILS5_0ELb0ES3_jN6thrust23THRUST_200600_302600_NS6detail15normal_iteratorINSA_10device_ptrIyEEEEPS6_SG_NS0_5tupleIJNSA_16discard_iteratorINSA_11use_defaultEEESK_EEENSH_IJSG_SG_EEES6_PlJ7is_evenIyEEEE10hipError_tPvRmT3_T4_T5_T6_T7_T9_mT8_P12ihipStream_tbDpT10_ENKUlT_T0_E_clISt17integral_constantIbLb1EES18_IbLb0EEEEDaS14_S15_EUlS14_E_NS1_11comp_targetILNS1_3genE2ELNS1_11target_archE906ELNS1_3gpuE6ELNS1_3repE0EEENS1_30default_config_static_selectorELNS0_4arch9wavefront6targetE1EEEvT1_,comdat
	.protected	_ZN7rocprim17ROCPRIM_400000_NS6detail17trampoline_kernelINS0_14default_configENS1_25partition_config_selectorILNS1_17partition_subalgoE0EyNS0_10empty_typeEbEEZZNS1_14partition_implILS5_0ELb0ES3_jN6thrust23THRUST_200600_302600_NS6detail15normal_iteratorINSA_10device_ptrIyEEEEPS6_SG_NS0_5tupleIJNSA_16discard_iteratorINSA_11use_defaultEEESK_EEENSH_IJSG_SG_EEES6_PlJ7is_evenIyEEEE10hipError_tPvRmT3_T4_T5_T6_T7_T9_mT8_P12ihipStream_tbDpT10_ENKUlT_T0_E_clISt17integral_constantIbLb1EES18_IbLb0EEEEDaS14_S15_EUlS14_E_NS1_11comp_targetILNS1_3genE2ELNS1_11target_archE906ELNS1_3gpuE6ELNS1_3repE0EEENS1_30default_config_static_selectorELNS0_4arch9wavefront6targetE1EEEvT1_ ; -- Begin function _ZN7rocprim17ROCPRIM_400000_NS6detail17trampoline_kernelINS0_14default_configENS1_25partition_config_selectorILNS1_17partition_subalgoE0EyNS0_10empty_typeEbEEZZNS1_14partition_implILS5_0ELb0ES3_jN6thrust23THRUST_200600_302600_NS6detail15normal_iteratorINSA_10device_ptrIyEEEEPS6_SG_NS0_5tupleIJNSA_16discard_iteratorINSA_11use_defaultEEESK_EEENSH_IJSG_SG_EEES6_PlJ7is_evenIyEEEE10hipError_tPvRmT3_T4_T5_T6_T7_T9_mT8_P12ihipStream_tbDpT10_ENKUlT_T0_E_clISt17integral_constantIbLb1EES18_IbLb0EEEEDaS14_S15_EUlS14_E_NS1_11comp_targetILNS1_3genE2ELNS1_11target_archE906ELNS1_3gpuE6ELNS1_3repE0EEENS1_30default_config_static_selectorELNS0_4arch9wavefront6targetE1EEEvT1_
	.globl	_ZN7rocprim17ROCPRIM_400000_NS6detail17trampoline_kernelINS0_14default_configENS1_25partition_config_selectorILNS1_17partition_subalgoE0EyNS0_10empty_typeEbEEZZNS1_14partition_implILS5_0ELb0ES3_jN6thrust23THRUST_200600_302600_NS6detail15normal_iteratorINSA_10device_ptrIyEEEEPS6_SG_NS0_5tupleIJNSA_16discard_iteratorINSA_11use_defaultEEESK_EEENSH_IJSG_SG_EEES6_PlJ7is_evenIyEEEE10hipError_tPvRmT3_T4_T5_T6_T7_T9_mT8_P12ihipStream_tbDpT10_ENKUlT_T0_E_clISt17integral_constantIbLb1EES18_IbLb0EEEEDaS14_S15_EUlS14_E_NS1_11comp_targetILNS1_3genE2ELNS1_11target_archE906ELNS1_3gpuE6ELNS1_3repE0EEENS1_30default_config_static_selectorELNS0_4arch9wavefront6targetE1EEEvT1_
	.p2align	8
	.type	_ZN7rocprim17ROCPRIM_400000_NS6detail17trampoline_kernelINS0_14default_configENS1_25partition_config_selectorILNS1_17partition_subalgoE0EyNS0_10empty_typeEbEEZZNS1_14partition_implILS5_0ELb0ES3_jN6thrust23THRUST_200600_302600_NS6detail15normal_iteratorINSA_10device_ptrIyEEEEPS6_SG_NS0_5tupleIJNSA_16discard_iteratorINSA_11use_defaultEEESK_EEENSH_IJSG_SG_EEES6_PlJ7is_evenIyEEEE10hipError_tPvRmT3_T4_T5_T6_T7_T9_mT8_P12ihipStream_tbDpT10_ENKUlT_T0_E_clISt17integral_constantIbLb1EES18_IbLb0EEEEDaS14_S15_EUlS14_E_NS1_11comp_targetILNS1_3genE2ELNS1_11target_archE906ELNS1_3gpuE6ELNS1_3repE0EEENS1_30default_config_static_selectorELNS0_4arch9wavefront6targetE1EEEvT1_,@function
_ZN7rocprim17ROCPRIM_400000_NS6detail17trampoline_kernelINS0_14default_configENS1_25partition_config_selectorILNS1_17partition_subalgoE0EyNS0_10empty_typeEbEEZZNS1_14partition_implILS5_0ELb0ES3_jN6thrust23THRUST_200600_302600_NS6detail15normal_iteratorINSA_10device_ptrIyEEEEPS6_SG_NS0_5tupleIJNSA_16discard_iteratorINSA_11use_defaultEEESK_EEENSH_IJSG_SG_EEES6_PlJ7is_evenIyEEEE10hipError_tPvRmT3_T4_T5_T6_T7_T9_mT8_P12ihipStream_tbDpT10_ENKUlT_T0_E_clISt17integral_constantIbLb1EES18_IbLb0EEEEDaS14_S15_EUlS14_E_NS1_11comp_targetILNS1_3genE2ELNS1_11target_archE906ELNS1_3gpuE6ELNS1_3repE0EEENS1_30default_config_static_selectorELNS0_4arch9wavefront6targetE1EEEvT1_: ; @_ZN7rocprim17ROCPRIM_400000_NS6detail17trampoline_kernelINS0_14default_configENS1_25partition_config_selectorILNS1_17partition_subalgoE0EyNS0_10empty_typeEbEEZZNS1_14partition_implILS5_0ELb0ES3_jN6thrust23THRUST_200600_302600_NS6detail15normal_iteratorINSA_10device_ptrIyEEEEPS6_SG_NS0_5tupleIJNSA_16discard_iteratorINSA_11use_defaultEEESK_EEENSH_IJSG_SG_EEES6_PlJ7is_evenIyEEEE10hipError_tPvRmT3_T4_T5_T6_T7_T9_mT8_P12ihipStream_tbDpT10_ENKUlT_T0_E_clISt17integral_constantIbLb1EES18_IbLb0EEEEDaS14_S15_EUlS14_E_NS1_11comp_targetILNS1_3genE2ELNS1_11target_archE906ELNS1_3gpuE6ELNS1_3repE0EEENS1_30default_config_static_selectorELNS0_4arch9wavefront6targetE1EEEvT1_
; %bb.0:
	.section	.rodata,"a",@progbits
	.p2align	6, 0x0
	.amdhsa_kernel _ZN7rocprim17ROCPRIM_400000_NS6detail17trampoline_kernelINS0_14default_configENS1_25partition_config_selectorILNS1_17partition_subalgoE0EyNS0_10empty_typeEbEEZZNS1_14partition_implILS5_0ELb0ES3_jN6thrust23THRUST_200600_302600_NS6detail15normal_iteratorINSA_10device_ptrIyEEEEPS6_SG_NS0_5tupleIJNSA_16discard_iteratorINSA_11use_defaultEEESK_EEENSH_IJSG_SG_EEES6_PlJ7is_evenIyEEEE10hipError_tPvRmT3_T4_T5_T6_T7_T9_mT8_P12ihipStream_tbDpT10_ENKUlT_T0_E_clISt17integral_constantIbLb1EES18_IbLb0EEEEDaS14_S15_EUlS14_E_NS1_11comp_targetILNS1_3genE2ELNS1_11target_archE906ELNS1_3gpuE6ELNS1_3repE0EEENS1_30default_config_static_selectorELNS0_4arch9wavefront6targetE1EEEvT1_
		.amdhsa_group_segment_fixed_size 0
		.amdhsa_private_segment_fixed_size 0
		.amdhsa_kernarg_size 136
		.amdhsa_user_sgpr_count 2
		.amdhsa_user_sgpr_dispatch_ptr 0
		.amdhsa_user_sgpr_queue_ptr 0
		.amdhsa_user_sgpr_kernarg_segment_ptr 1
		.amdhsa_user_sgpr_dispatch_id 0
		.amdhsa_user_sgpr_kernarg_preload_length 0
		.amdhsa_user_sgpr_kernarg_preload_offset 0
		.amdhsa_user_sgpr_private_segment_size 0
		.amdhsa_uses_dynamic_stack 0
		.amdhsa_enable_private_segment 0
		.amdhsa_system_sgpr_workgroup_id_x 1
		.amdhsa_system_sgpr_workgroup_id_y 0
		.amdhsa_system_sgpr_workgroup_id_z 0
		.amdhsa_system_sgpr_workgroup_info 0
		.amdhsa_system_vgpr_workitem_id 0
		.amdhsa_next_free_vgpr 1
		.amdhsa_next_free_sgpr 0
		.amdhsa_accum_offset 4
		.amdhsa_reserve_vcc 0
		.amdhsa_float_round_mode_32 0
		.amdhsa_float_round_mode_16_64 0
		.amdhsa_float_denorm_mode_32 3
		.amdhsa_float_denorm_mode_16_64 3
		.amdhsa_dx10_clamp 1
		.amdhsa_ieee_mode 1
		.amdhsa_fp16_overflow 0
		.amdhsa_tg_split 0
		.amdhsa_exception_fp_ieee_invalid_op 0
		.amdhsa_exception_fp_denorm_src 0
		.amdhsa_exception_fp_ieee_div_zero 0
		.amdhsa_exception_fp_ieee_overflow 0
		.amdhsa_exception_fp_ieee_underflow 0
		.amdhsa_exception_fp_ieee_inexact 0
		.amdhsa_exception_int_div_zero 0
	.end_amdhsa_kernel
	.section	.text._ZN7rocprim17ROCPRIM_400000_NS6detail17trampoline_kernelINS0_14default_configENS1_25partition_config_selectorILNS1_17partition_subalgoE0EyNS0_10empty_typeEbEEZZNS1_14partition_implILS5_0ELb0ES3_jN6thrust23THRUST_200600_302600_NS6detail15normal_iteratorINSA_10device_ptrIyEEEEPS6_SG_NS0_5tupleIJNSA_16discard_iteratorINSA_11use_defaultEEESK_EEENSH_IJSG_SG_EEES6_PlJ7is_evenIyEEEE10hipError_tPvRmT3_T4_T5_T6_T7_T9_mT8_P12ihipStream_tbDpT10_ENKUlT_T0_E_clISt17integral_constantIbLb1EES18_IbLb0EEEEDaS14_S15_EUlS14_E_NS1_11comp_targetILNS1_3genE2ELNS1_11target_archE906ELNS1_3gpuE6ELNS1_3repE0EEENS1_30default_config_static_selectorELNS0_4arch9wavefront6targetE1EEEvT1_,"axG",@progbits,_ZN7rocprim17ROCPRIM_400000_NS6detail17trampoline_kernelINS0_14default_configENS1_25partition_config_selectorILNS1_17partition_subalgoE0EyNS0_10empty_typeEbEEZZNS1_14partition_implILS5_0ELb0ES3_jN6thrust23THRUST_200600_302600_NS6detail15normal_iteratorINSA_10device_ptrIyEEEEPS6_SG_NS0_5tupleIJNSA_16discard_iteratorINSA_11use_defaultEEESK_EEENSH_IJSG_SG_EEES6_PlJ7is_evenIyEEEE10hipError_tPvRmT3_T4_T5_T6_T7_T9_mT8_P12ihipStream_tbDpT10_ENKUlT_T0_E_clISt17integral_constantIbLb1EES18_IbLb0EEEEDaS14_S15_EUlS14_E_NS1_11comp_targetILNS1_3genE2ELNS1_11target_archE906ELNS1_3gpuE6ELNS1_3repE0EEENS1_30default_config_static_selectorELNS0_4arch9wavefront6targetE1EEEvT1_,comdat
.Lfunc_end2319:
	.size	_ZN7rocprim17ROCPRIM_400000_NS6detail17trampoline_kernelINS0_14default_configENS1_25partition_config_selectorILNS1_17partition_subalgoE0EyNS0_10empty_typeEbEEZZNS1_14partition_implILS5_0ELb0ES3_jN6thrust23THRUST_200600_302600_NS6detail15normal_iteratorINSA_10device_ptrIyEEEEPS6_SG_NS0_5tupleIJNSA_16discard_iteratorINSA_11use_defaultEEESK_EEENSH_IJSG_SG_EEES6_PlJ7is_evenIyEEEE10hipError_tPvRmT3_T4_T5_T6_T7_T9_mT8_P12ihipStream_tbDpT10_ENKUlT_T0_E_clISt17integral_constantIbLb1EES18_IbLb0EEEEDaS14_S15_EUlS14_E_NS1_11comp_targetILNS1_3genE2ELNS1_11target_archE906ELNS1_3gpuE6ELNS1_3repE0EEENS1_30default_config_static_selectorELNS0_4arch9wavefront6targetE1EEEvT1_, .Lfunc_end2319-_ZN7rocprim17ROCPRIM_400000_NS6detail17trampoline_kernelINS0_14default_configENS1_25partition_config_selectorILNS1_17partition_subalgoE0EyNS0_10empty_typeEbEEZZNS1_14partition_implILS5_0ELb0ES3_jN6thrust23THRUST_200600_302600_NS6detail15normal_iteratorINSA_10device_ptrIyEEEEPS6_SG_NS0_5tupleIJNSA_16discard_iteratorINSA_11use_defaultEEESK_EEENSH_IJSG_SG_EEES6_PlJ7is_evenIyEEEE10hipError_tPvRmT3_T4_T5_T6_T7_T9_mT8_P12ihipStream_tbDpT10_ENKUlT_T0_E_clISt17integral_constantIbLb1EES18_IbLb0EEEEDaS14_S15_EUlS14_E_NS1_11comp_targetILNS1_3genE2ELNS1_11target_archE906ELNS1_3gpuE6ELNS1_3repE0EEENS1_30default_config_static_selectorELNS0_4arch9wavefront6targetE1EEEvT1_
                                        ; -- End function
	.section	.AMDGPU.csdata,"",@progbits
; Kernel info:
; codeLenInByte = 0
; NumSgprs: 6
; NumVgprs: 0
; NumAgprs: 0
; TotalNumVgprs: 0
; ScratchSize: 0
; MemoryBound: 0
; FloatMode: 240
; IeeeMode: 1
; LDSByteSize: 0 bytes/workgroup (compile time only)
; SGPRBlocks: 0
; VGPRBlocks: 0
; NumSGPRsForWavesPerEU: 6
; NumVGPRsForWavesPerEU: 1
; AccumOffset: 4
; Occupancy: 8
; WaveLimiterHint : 0
; COMPUTE_PGM_RSRC2:SCRATCH_EN: 0
; COMPUTE_PGM_RSRC2:USER_SGPR: 2
; COMPUTE_PGM_RSRC2:TRAP_HANDLER: 0
; COMPUTE_PGM_RSRC2:TGID_X_EN: 1
; COMPUTE_PGM_RSRC2:TGID_Y_EN: 0
; COMPUTE_PGM_RSRC2:TGID_Z_EN: 0
; COMPUTE_PGM_RSRC2:TIDIG_COMP_CNT: 0
; COMPUTE_PGM_RSRC3_GFX90A:ACCUM_OFFSET: 0
; COMPUTE_PGM_RSRC3_GFX90A:TG_SPLIT: 0
	.section	.text._ZN7rocprim17ROCPRIM_400000_NS6detail17trampoline_kernelINS0_14default_configENS1_25partition_config_selectorILNS1_17partition_subalgoE0EyNS0_10empty_typeEbEEZZNS1_14partition_implILS5_0ELb0ES3_jN6thrust23THRUST_200600_302600_NS6detail15normal_iteratorINSA_10device_ptrIyEEEEPS6_SG_NS0_5tupleIJNSA_16discard_iteratorINSA_11use_defaultEEESK_EEENSH_IJSG_SG_EEES6_PlJ7is_evenIyEEEE10hipError_tPvRmT3_T4_T5_T6_T7_T9_mT8_P12ihipStream_tbDpT10_ENKUlT_T0_E_clISt17integral_constantIbLb1EES18_IbLb0EEEEDaS14_S15_EUlS14_E_NS1_11comp_targetILNS1_3genE10ELNS1_11target_archE1200ELNS1_3gpuE4ELNS1_3repE0EEENS1_30default_config_static_selectorELNS0_4arch9wavefront6targetE1EEEvT1_,"axG",@progbits,_ZN7rocprim17ROCPRIM_400000_NS6detail17trampoline_kernelINS0_14default_configENS1_25partition_config_selectorILNS1_17partition_subalgoE0EyNS0_10empty_typeEbEEZZNS1_14partition_implILS5_0ELb0ES3_jN6thrust23THRUST_200600_302600_NS6detail15normal_iteratorINSA_10device_ptrIyEEEEPS6_SG_NS0_5tupleIJNSA_16discard_iteratorINSA_11use_defaultEEESK_EEENSH_IJSG_SG_EEES6_PlJ7is_evenIyEEEE10hipError_tPvRmT3_T4_T5_T6_T7_T9_mT8_P12ihipStream_tbDpT10_ENKUlT_T0_E_clISt17integral_constantIbLb1EES18_IbLb0EEEEDaS14_S15_EUlS14_E_NS1_11comp_targetILNS1_3genE10ELNS1_11target_archE1200ELNS1_3gpuE4ELNS1_3repE0EEENS1_30default_config_static_selectorELNS0_4arch9wavefront6targetE1EEEvT1_,comdat
	.protected	_ZN7rocprim17ROCPRIM_400000_NS6detail17trampoline_kernelINS0_14default_configENS1_25partition_config_selectorILNS1_17partition_subalgoE0EyNS0_10empty_typeEbEEZZNS1_14partition_implILS5_0ELb0ES3_jN6thrust23THRUST_200600_302600_NS6detail15normal_iteratorINSA_10device_ptrIyEEEEPS6_SG_NS0_5tupleIJNSA_16discard_iteratorINSA_11use_defaultEEESK_EEENSH_IJSG_SG_EEES6_PlJ7is_evenIyEEEE10hipError_tPvRmT3_T4_T5_T6_T7_T9_mT8_P12ihipStream_tbDpT10_ENKUlT_T0_E_clISt17integral_constantIbLb1EES18_IbLb0EEEEDaS14_S15_EUlS14_E_NS1_11comp_targetILNS1_3genE10ELNS1_11target_archE1200ELNS1_3gpuE4ELNS1_3repE0EEENS1_30default_config_static_selectorELNS0_4arch9wavefront6targetE1EEEvT1_ ; -- Begin function _ZN7rocprim17ROCPRIM_400000_NS6detail17trampoline_kernelINS0_14default_configENS1_25partition_config_selectorILNS1_17partition_subalgoE0EyNS0_10empty_typeEbEEZZNS1_14partition_implILS5_0ELb0ES3_jN6thrust23THRUST_200600_302600_NS6detail15normal_iteratorINSA_10device_ptrIyEEEEPS6_SG_NS0_5tupleIJNSA_16discard_iteratorINSA_11use_defaultEEESK_EEENSH_IJSG_SG_EEES6_PlJ7is_evenIyEEEE10hipError_tPvRmT3_T4_T5_T6_T7_T9_mT8_P12ihipStream_tbDpT10_ENKUlT_T0_E_clISt17integral_constantIbLb1EES18_IbLb0EEEEDaS14_S15_EUlS14_E_NS1_11comp_targetILNS1_3genE10ELNS1_11target_archE1200ELNS1_3gpuE4ELNS1_3repE0EEENS1_30default_config_static_selectorELNS0_4arch9wavefront6targetE1EEEvT1_
	.globl	_ZN7rocprim17ROCPRIM_400000_NS6detail17trampoline_kernelINS0_14default_configENS1_25partition_config_selectorILNS1_17partition_subalgoE0EyNS0_10empty_typeEbEEZZNS1_14partition_implILS5_0ELb0ES3_jN6thrust23THRUST_200600_302600_NS6detail15normal_iteratorINSA_10device_ptrIyEEEEPS6_SG_NS0_5tupleIJNSA_16discard_iteratorINSA_11use_defaultEEESK_EEENSH_IJSG_SG_EEES6_PlJ7is_evenIyEEEE10hipError_tPvRmT3_T4_T5_T6_T7_T9_mT8_P12ihipStream_tbDpT10_ENKUlT_T0_E_clISt17integral_constantIbLb1EES18_IbLb0EEEEDaS14_S15_EUlS14_E_NS1_11comp_targetILNS1_3genE10ELNS1_11target_archE1200ELNS1_3gpuE4ELNS1_3repE0EEENS1_30default_config_static_selectorELNS0_4arch9wavefront6targetE1EEEvT1_
	.p2align	8
	.type	_ZN7rocprim17ROCPRIM_400000_NS6detail17trampoline_kernelINS0_14default_configENS1_25partition_config_selectorILNS1_17partition_subalgoE0EyNS0_10empty_typeEbEEZZNS1_14partition_implILS5_0ELb0ES3_jN6thrust23THRUST_200600_302600_NS6detail15normal_iteratorINSA_10device_ptrIyEEEEPS6_SG_NS0_5tupleIJNSA_16discard_iteratorINSA_11use_defaultEEESK_EEENSH_IJSG_SG_EEES6_PlJ7is_evenIyEEEE10hipError_tPvRmT3_T4_T5_T6_T7_T9_mT8_P12ihipStream_tbDpT10_ENKUlT_T0_E_clISt17integral_constantIbLb1EES18_IbLb0EEEEDaS14_S15_EUlS14_E_NS1_11comp_targetILNS1_3genE10ELNS1_11target_archE1200ELNS1_3gpuE4ELNS1_3repE0EEENS1_30default_config_static_selectorELNS0_4arch9wavefront6targetE1EEEvT1_,@function
_ZN7rocprim17ROCPRIM_400000_NS6detail17trampoline_kernelINS0_14default_configENS1_25partition_config_selectorILNS1_17partition_subalgoE0EyNS0_10empty_typeEbEEZZNS1_14partition_implILS5_0ELb0ES3_jN6thrust23THRUST_200600_302600_NS6detail15normal_iteratorINSA_10device_ptrIyEEEEPS6_SG_NS0_5tupleIJNSA_16discard_iteratorINSA_11use_defaultEEESK_EEENSH_IJSG_SG_EEES6_PlJ7is_evenIyEEEE10hipError_tPvRmT3_T4_T5_T6_T7_T9_mT8_P12ihipStream_tbDpT10_ENKUlT_T0_E_clISt17integral_constantIbLb1EES18_IbLb0EEEEDaS14_S15_EUlS14_E_NS1_11comp_targetILNS1_3genE10ELNS1_11target_archE1200ELNS1_3gpuE4ELNS1_3repE0EEENS1_30default_config_static_selectorELNS0_4arch9wavefront6targetE1EEEvT1_: ; @_ZN7rocprim17ROCPRIM_400000_NS6detail17trampoline_kernelINS0_14default_configENS1_25partition_config_selectorILNS1_17partition_subalgoE0EyNS0_10empty_typeEbEEZZNS1_14partition_implILS5_0ELb0ES3_jN6thrust23THRUST_200600_302600_NS6detail15normal_iteratorINSA_10device_ptrIyEEEEPS6_SG_NS0_5tupleIJNSA_16discard_iteratorINSA_11use_defaultEEESK_EEENSH_IJSG_SG_EEES6_PlJ7is_evenIyEEEE10hipError_tPvRmT3_T4_T5_T6_T7_T9_mT8_P12ihipStream_tbDpT10_ENKUlT_T0_E_clISt17integral_constantIbLb1EES18_IbLb0EEEEDaS14_S15_EUlS14_E_NS1_11comp_targetILNS1_3genE10ELNS1_11target_archE1200ELNS1_3gpuE4ELNS1_3repE0EEENS1_30default_config_static_selectorELNS0_4arch9wavefront6targetE1EEEvT1_
; %bb.0:
	.section	.rodata,"a",@progbits
	.p2align	6, 0x0
	.amdhsa_kernel _ZN7rocprim17ROCPRIM_400000_NS6detail17trampoline_kernelINS0_14default_configENS1_25partition_config_selectorILNS1_17partition_subalgoE0EyNS0_10empty_typeEbEEZZNS1_14partition_implILS5_0ELb0ES3_jN6thrust23THRUST_200600_302600_NS6detail15normal_iteratorINSA_10device_ptrIyEEEEPS6_SG_NS0_5tupleIJNSA_16discard_iteratorINSA_11use_defaultEEESK_EEENSH_IJSG_SG_EEES6_PlJ7is_evenIyEEEE10hipError_tPvRmT3_T4_T5_T6_T7_T9_mT8_P12ihipStream_tbDpT10_ENKUlT_T0_E_clISt17integral_constantIbLb1EES18_IbLb0EEEEDaS14_S15_EUlS14_E_NS1_11comp_targetILNS1_3genE10ELNS1_11target_archE1200ELNS1_3gpuE4ELNS1_3repE0EEENS1_30default_config_static_selectorELNS0_4arch9wavefront6targetE1EEEvT1_
		.amdhsa_group_segment_fixed_size 0
		.amdhsa_private_segment_fixed_size 0
		.amdhsa_kernarg_size 136
		.amdhsa_user_sgpr_count 2
		.amdhsa_user_sgpr_dispatch_ptr 0
		.amdhsa_user_sgpr_queue_ptr 0
		.amdhsa_user_sgpr_kernarg_segment_ptr 1
		.amdhsa_user_sgpr_dispatch_id 0
		.amdhsa_user_sgpr_kernarg_preload_length 0
		.amdhsa_user_sgpr_kernarg_preload_offset 0
		.amdhsa_user_sgpr_private_segment_size 0
		.amdhsa_uses_dynamic_stack 0
		.amdhsa_enable_private_segment 0
		.amdhsa_system_sgpr_workgroup_id_x 1
		.amdhsa_system_sgpr_workgroup_id_y 0
		.amdhsa_system_sgpr_workgroup_id_z 0
		.amdhsa_system_sgpr_workgroup_info 0
		.amdhsa_system_vgpr_workitem_id 0
		.amdhsa_next_free_vgpr 1
		.amdhsa_next_free_sgpr 0
		.amdhsa_accum_offset 4
		.amdhsa_reserve_vcc 0
		.amdhsa_float_round_mode_32 0
		.amdhsa_float_round_mode_16_64 0
		.amdhsa_float_denorm_mode_32 3
		.amdhsa_float_denorm_mode_16_64 3
		.amdhsa_dx10_clamp 1
		.amdhsa_ieee_mode 1
		.amdhsa_fp16_overflow 0
		.amdhsa_tg_split 0
		.amdhsa_exception_fp_ieee_invalid_op 0
		.amdhsa_exception_fp_denorm_src 0
		.amdhsa_exception_fp_ieee_div_zero 0
		.amdhsa_exception_fp_ieee_overflow 0
		.amdhsa_exception_fp_ieee_underflow 0
		.amdhsa_exception_fp_ieee_inexact 0
		.amdhsa_exception_int_div_zero 0
	.end_amdhsa_kernel
	.section	.text._ZN7rocprim17ROCPRIM_400000_NS6detail17trampoline_kernelINS0_14default_configENS1_25partition_config_selectorILNS1_17partition_subalgoE0EyNS0_10empty_typeEbEEZZNS1_14partition_implILS5_0ELb0ES3_jN6thrust23THRUST_200600_302600_NS6detail15normal_iteratorINSA_10device_ptrIyEEEEPS6_SG_NS0_5tupleIJNSA_16discard_iteratorINSA_11use_defaultEEESK_EEENSH_IJSG_SG_EEES6_PlJ7is_evenIyEEEE10hipError_tPvRmT3_T4_T5_T6_T7_T9_mT8_P12ihipStream_tbDpT10_ENKUlT_T0_E_clISt17integral_constantIbLb1EES18_IbLb0EEEEDaS14_S15_EUlS14_E_NS1_11comp_targetILNS1_3genE10ELNS1_11target_archE1200ELNS1_3gpuE4ELNS1_3repE0EEENS1_30default_config_static_selectorELNS0_4arch9wavefront6targetE1EEEvT1_,"axG",@progbits,_ZN7rocprim17ROCPRIM_400000_NS6detail17trampoline_kernelINS0_14default_configENS1_25partition_config_selectorILNS1_17partition_subalgoE0EyNS0_10empty_typeEbEEZZNS1_14partition_implILS5_0ELb0ES3_jN6thrust23THRUST_200600_302600_NS6detail15normal_iteratorINSA_10device_ptrIyEEEEPS6_SG_NS0_5tupleIJNSA_16discard_iteratorINSA_11use_defaultEEESK_EEENSH_IJSG_SG_EEES6_PlJ7is_evenIyEEEE10hipError_tPvRmT3_T4_T5_T6_T7_T9_mT8_P12ihipStream_tbDpT10_ENKUlT_T0_E_clISt17integral_constantIbLb1EES18_IbLb0EEEEDaS14_S15_EUlS14_E_NS1_11comp_targetILNS1_3genE10ELNS1_11target_archE1200ELNS1_3gpuE4ELNS1_3repE0EEENS1_30default_config_static_selectorELNS0_4arch9wavefront6targetE1EEEvT1_,comdat
.Lfunc_end2320:
	.size	_ZN7rocprim17ROCPRIM_400000_NS6detail17trampoline_kernelINS0_14default_configENS1_25partition_config_selectorILNS1_17partition_subalgoE0EyNS0_10empty_typeEbEEZZNS1_14partition_implILS5_0ELb0ES3_jN6thrust23THRUST_200600_302600_NS6detail15normal_iteratorINSA_10device_ptrIyEEEEPS6_SG_NS0_5tupleIJNSA_16discard_iteratorINSA_11use_defaultEEESK_EEENSH_IJSG_SG_EEES6_PlJ7is_evenIyEEEE10hipError_tPvRmT3_T4_T5_T6_T7_T9_mT8_P12ihipStream_tbDpT10_ENKUlT_T0_E_clISt17integral_constantIbLb1EES18_IbLb0EEEEDaS14_S15_EUlS14_E_NS1_11comp_targetILNS1_3genE10ELNS1_11target_archE1200ELNS1_3gpuE4ELNS1_3repE0EEENS1_30default_config_static_selectorELNS0_4arch9wavefront6targetE1EEEvT1_, .Lfunc_end2320-_ZN7rocprim17ROCPRIM_400000_NS6detail17trampoline_kernelINS0_14default_configENS1_25partition_config_selectorILNS1_17partition_subalgoE0EyNS0_10empty_typeEbEEZZNS1_14partition_implILS5_0ELb0ES3_jN6thrust23THRUST_200600_302600_NS6detail15normal_iteratorINSA_10device_ptrIyEEEEPS6_SG_NS0_5tupleIJNSA_16discard_iteratorINSA_11use_defaultEEESK_EEENSH_IJSG_SG_EEES6_PlJ7is_evenIyEEEE10hipError_tPvRmT3_T4_T5_T6_T7_T9_mT8_P12ihipStream_tbDpT10_ENKUlT_T0_E_clISt17integral_constantIbLb1EES18_IbLb0EEEEDaS14_S15_EUlS14_E_NS1_11comp_targetILNS1_3genE10ELNS1_11target_archE1200ELNS1_3gpuE4ELNS1_3repE0EEENS1_30default_config_static_selectorELNS0_4arch9wavefront6targetE1EEEvT1_
                                        ; -- End function
	.section	.AMDGPU.csdata,"",@progbits
; Kernel info:
; codeLenInByte = 0
; NumSgprs: 6
; NumVgprs: 0
; NumAgprs: 0
; TotalNumVgprs: 0
; ScratchSize: 0
; MemoryBound: 0
; FloatMode: 240
; IeeeMode: 1
; LDSByteSize: 0 bytes/workgroup (compile time only)
; SGPRBlocks: 0
; VGPRBlocks: 0
; NumSGPRsForWavesPerEU: 6
; NumVGPRsForWavesPerEU: 1
; AccumOffset: 4
; Occupancy: 8
; WaveLimiterHint : 0
; COMPUTE_PGM_RSRC2:SCRATCH_EN: 0
; COMPUTE_PGM_RSRC2:USER_SGPR: 2
; COMPUTE_PGM_RSRC2:TRAP_HANDLER: 0
; COMPUTE_PGM_RSRC2:TGID_X_EN: 1
; COMPUTE_PGM_RSRC2:TGID_Y_EN: 0
; COMPUTE_PGM_RSRC2:TGID_Z_EN: 0
; COMPUTE_PGM_RSRC2:TIDIG_COMP_CNT: 0
; COMPUTE_PGM_RSRC3_GFX90A:ACCUM_OFFSET: 0
; COMPUTE_PGM_RSRC3_GFX90A:TG_SPLIT: 0
	.section	.text._ZN7rocprim17ROCPRIM_400000_NS6detail17trampoline_kernelINS0_14default_configENS1_25partition_config_selectorILNS1_17partition_subalgoE0EyNS0_10empty_typeEbEEZZNS1_14partition_implILS5_0ELb0ES3_jN6thrust23THRUST_200600_302600_NS6detail15normal_iteratorINSA_10device_ptrIyEEEEPS6_SG_NS0_5tupleIJNSA_16discard_iteratorINSA_11use_defaultEEESK_EEENSH_IJSG_SG_EEES6_PlJ7is_evenIyEEEE10hipError_tPvRmT3_T4_T5_T6_T7_T9_mT8_P12ihipStream_tbDpT10_ENKUlT_T0_E_clISt17integral_constantIbLb1EES18_IbLb0EEEEDaS14_S15_EUlS14_E_NS1_11comp_targetILNS1_3genE9ELNS1_11target_archE1100ELNS1_3gpuE3ELNS1_3repE0EEENS1_30default_config_static_selectorELNS0_4arch9wavefront6targetE1EEEvT1_,"axG",@progbits,_ZN7rocprim17ROCPRIM_400000_NS6detail17trampoline_kernelINS0_14default_configENS1_25partition_config_selectorILNS1_17partition_subalgoE0EyNS0_10empty_typeEbEEZZNS1_14partition_implILS5_0ELb0ES3_jN6thrust23THRUST_200600_302600_NS6detail15normal_iteratorINSA_10device_ptrIyEEEEPS6_SG_NS0_5tupleIJNSA_16discard_iteratorINSA_11use_defaultEEESK_EEENSH_IJSG_SG_EEES6_PlJ7is_evenIyEEEE10hipError_tPvRmT3_T4_T5_T6_T7_T9_mT8_P12ihipStream_tbDpT10_ENKUlT_T0_E_clISt17integral_constantIbLb1EES18_IbLb0EEEEDaS14_S15_EUlS14_E_NS1_11comp_targetILNS1_3genE9ELNS1_11target_archE1100ELNS1_3gpuE3ELNS1_3repE0EEENS1_30default_config_static_selectorELNS0_4arch9wavefront6targetE1EEEvT1_,comdat
	.protected	_ZN7rocprim17ROCPRIM_400000_NS6detail17trampoline_kernelINS0_14default_configENS1_25partition_config_selectorILNS1_17partition_subalgoE0EyNS0_10empty_typeEbEEZZNS1_14partition_implILS5_0ELb0ES3_jN6thrust23THRUST_200600_302600_NS6detail15normal_iteratorINSA_10device_ptrIyEEEEPS6_SG_NS0_5tupleIJNSA_16discard_iteratorINSA_11use_defaultEEESK_EEENSH_IJSG_SG_EEES6_PlJ7is_evenIyEEEE10hipError_tPvRmT3_T4_T5_T6_T7_T9_mT8_P12ihipStream_tbDpT10_ENKUlT_T0_E_clISt17integral_constantIbLb1EES18_IbLb0EEEEDaS14_S15_EUlS14_E_NS1_11comp_targetILNS1_3genE9ELNS1_11target_archE1100ELNS1_3gpuE3ELNS1_3repE0EEENS1_30default_config_static_selectorELNS0_4arch9wavefront6targetE1EEEvT1_ ; -- Begin function _ZN7rocprim17ROCPRIM_400000_NS6detail17trampoline_kernelINS0_14default_configENS1_25partition_config_selectorILNS1_17partition_subalgoE0EyNS0_10empty_typeEbEEZZNS1_14partition_implILS5_0ELb0ES3_jN6thrust23THRUST_200600_302600_NS6detail15normal_iteratorINSA_10device_ptrIyEEEEPS6_SG_NS0_5tupleIJNSA_16discard_iteratorINSA_11use_defaultEEESK_EEENSH_IJSG_SG_EEES6_PlJ7is_evenIyEEEE10hipError_tPvRmT3_T4_T5_T6_T7_T9_mT8_P12ihipStream_tbDpT10_ENKUlT_T0_E_clISt17integral_constantIbLb1EES18_IbLb0EEEEDaS14_S15_EUlS14_E_NS1_11comp_targetILNS1_3genE9ELNS1_11target_archE1100ELNS1_3gpuE3ELNS1_3repE0EEENS1_30default_config_static_selectorELNS0_4arch9wavefront6targetE1EEEvT1_
	.globl	_ZN7rocprim17ROCPRIM_400000_NS6detail17trampoline_kernelINS0_14default_configENS1_25partition_config_selectorILNS1_17partition_subalgoE0EyNS0_10empty_typeEbEEZZNS1_14partition_implILS5_0ELb0ES3_jN6thrust23THRUST_200600_302600_NS6detail15normal_iteratorINSA_10device_ptrIyEEEEPS6_SG_NS0_5tupleIJNSA_16discard_iteratorINSA_11use_defaultEEESK_EEENSH_IJSG_SG_EEES6_PlJ7is_evenIyEEEE10hipError_tPvRmT3_T4_T5_T6_T7_T9_mT8_P12ihipStream_tbDpT10_ENKUlT_T0_E_clISt17integral_constantIbLb1EES18_IbLb0EEEEDaS14_S15_EUlS14_E_NS1_11comp_targetILNS1_3genE9ELNS1_11target_archE1100ELNS1_3gpuE3ELNS1_3repE0EEENS1_30default_config_static_selectorELNS0_4arch9wavefront6targetE1EEEvT1_
	.p2align	8
	.type	_ZN7rocprim17ROCPRIM_400000_NS6detail17trampoline_kernelINS0_14default_configENS1_25partition_config_selectorILNS1_17partition_subalgoE0EyNS0_10empty_typeEbEEZZNS1_14partition_implILS5_0ELb0ES3_jN6thrust23THRUST_200600_302600_NS6detail15normal_iteratorINSA_10device_ptrIyEEEEPS6_SG_NS0_5tupleIJNSA_16discard_iteratorINSA_11use_defaultEEESK_EEENSH_IJSG_SG_EEES6_PlJ7is_evenIyEEEE10hipError_tPvRmT3_T4_T5_T6_T7_T9_mT8_P12ihipStream_tbDpT10_ENKUlT_T0_E_clISt17integral_constantIbLb1EES18_IbLb0EEEEDaS14_S15_EUlS14_E_NS1_11comp_targetILNS1_3genE9ELNS1_11target_archE1100ELNS1_3gpuE3ELNS1_3repE0EEENS1_30default_config_static_selectorELNS0_4arch9wavefront6targetE1EEEvT1_,@function
_ZN7rocprim17ROCPRIM_400000_NS6detail17trampoline_kernelINS0_14default_configENS1_25partition_config_selectorILNS1_17partition_subalgoE0EyNS0_10empty_typeEbEEZZNS1_14partition_implILS5_0ELb0ES3_jN6thrust23THRUST_200600_302600_NS6detail15normal_iteratorINSA_10device_ptrIyEEEEPS6_SG_NS0_5tupleIJNSA_16discard_iteratorINSA_11use_defaultEEESK_EEENSH_IJSG_SG_EEES6_PlJ7is_evenIyEEEE10hipError_tPvRmT3_T4_T5_T6_T7_T9_mT8_P12ihipStream_tbDpT10_ENKUlT_T0_E_clISt17integral_constantIbLb1EES18_IbLb0EEEEDaS14_S15_EUlS14_E_NS1_11comp_targetILNS1_3genE9ELNS1_11target_archE1100ELNS1_3gpuE3ELNS1_3repE0EEENS1_30default_config_static_selectorELNS0_4arch9wavefront6targetE1EEEvT1_: ; @_ZN7rocprim17ROCPRIM_400000_NS6detail17trampoline_kernelINS0_14default_configENS1_25partition_config_selectorILNS1_17partition_subalgoE0EyNS0_10empty_typeEbEEZZNS1_14partition_implILS5_0ELb0ES3_jN6thrust23THRUST_200600_302600_NS6detail15normal_iteratorINSA_10device_ptrIyEEEEPS6_SG_NS0_5tupleIJNSA_16discard_iteratorINSA_11use_defaultEEESK_EEENSH_IJSG_SG_EEES6_PlJ7is_evenIyEEEE10hipError_tPvRmT3_T4_T5_T6_T7_T9_mT8_P12ihipStream_tbDpT10_ENKUlT_T0_E_clISt17integral_constantIbLb1EES18_IbLb0EEEEDaS14_S15_EUlS14_E_NS1_11comp_targetILNS1_3genE9ELNS1_11target_archE1100ELNS1_3gpuE3ELNS1_3repE0EEENS1_30default_config_static_selectorELNS0_4arch9wavefront6targetE1EEEvT1_
; %bb.0:
	.section	.rodata,"a",@progbits
	.p2align	6, 0x0
	.amdhsa_kernel _ZN7rocprim17ROCPRIM_400000_NS6detail17trampoline_kernelINS0_14default_configENS1_25partition_config_selectorILNS1_17partition_subalgoE0EyNS0_10empty_typeEbEEZZNS1_14partition_implILS5_0ELb0ES3_jN6thrust23THRUST_200600_302600_NS6detail15normal_iteratorINSA_10device_ptrIyEEEEPS6_SG_NS0_5tupleIJNSA_16discard_iteratorINSA_11use_defaultEEESK_EEENSH_IJSG_SG_EEES6_PlJ7is_evenIyEEEE10hipError_tPvRmT3_T4_T5_T6_T7_T9_mT8_P12ihipStream_tbDpT10_ENKUlT_T0_E_clISt17integral_constantIbLb1EES18_IbLb0EEEEDaS14_S15_EUlS14_E_NS1_11comp_targetILNS1_3genE9ELNS1_11target_archE1100ELNS1_3gpuE3ELNS1_3repE0EEENS1_30default_config_static_selectorELNS0_4arch9wavefront6targetE1EEEvT1_
		.amdhsa_group_segment_fixed_size 0
		.amdhsa_private_segment_fixed_size 0
		.amdhsa_kernarg_size 136
		.amdhsa_user_sgpr_count 2
		.amdhsa_user_sgpr_dispatch_ptr 0
		.amdhsa_user_sgpr_queue_ptr 0
		.amdhsa_user_sgpr_kernarg_segment_ptr 1
		.amdhsa_user_sgpr_dispatch_id 0
		.amdhsa_user_sgpr_kernarg_preload_length 0
		.amdhsa_user_sgpr_kernarg_preload_offset 0
		.amdhsa_user_sgpr_private_segment_size 0
		.amdhsa_uses_dynamic_stack 0
		.amdhsa_enable_private_segment 0
		.amdhsa_system_sgpr_workgroup_id_x 1
		.amdhsa_system_sgpr_workgroup_id_y 0
		.amdhsa_system_sgpr_workgroup_id_z 0
		.amdhsa_system_sgpr_workgroup_info 0
		.amdhsa_system_vgpr_workitem_id 0
		.amdhsa_next_free_vgpr 1
		.amdhsa_next_free_sgpr 0
		.amdhsa_accum_offset 4
		.amdhsa_reserve_vcc 0
		.amdhsa_float_round_mode_32 0
		.amdhsa_float_round_mode_16_64 0
		.amdhsa_float_denorm_mode_32 3
		.amdhsa_float_denorm_mode_16_64 3
		.amdhsa_dx10_clamp 1
		.amdhsa_ieee_mode 1
		.amdhsa_fp16_overflow 0
		.amdhsa_tg_split 0
		.amdhsa_exception_fp_ieee_invalid_op 0
		.amdhsa_exception_fp_denorm_src 0
		.amdhsa_exception_fp_ieee_div_zero 0
		.amdhsa_exception_fp_ieee_overflow 0
		.amdhsa_exception_fp_ieee_underflow 0
		.amdhsa_exception_fp_ieee_inexact 0
		.amdhsa_exception_int_div_zero 0
	.end_amdhsa_kernel
	.section	.text._ZN7rocprim17ROCPRIM_400000_NS6detail17trampoline_kernelINS0_14default_configENS1_25partition_config_selectorILNS1_17partition_subalgoE0EyNS0_10empty_typeEbEEZZNS1_14partition_implILS5_0ELb0ES3_jN6thrust23THRUST_200600_302600_NS6detail15normal_iteratorINSA_10device_ptrIyEEEEPS6_SG_NS0_5tupleIJNSA_16discard_iteratorINSA_11use_defaultEEESK_EEENSH_IJSG_SG_EEES6_PlJ7is_evenIyEEEE10hipError_tPvRmT3_T4_T5_T6_T7_T9_mT8_P12ihipStream_tbDpT10_ENKUlT_T0_E_clISt17integral_constantIbLb1EES18_IbLb0EEEEDaS14_S15_EUlS14_E_NS1_11comp_targetILNS1_3genE9ELNS1_11target_archE1100ELNS1_3gpuE3ELNS1_3repE0EEENS1_30default_config_static_selectorELNS0_4arch9wavefront6targetE1EEEvT1_,"axG",@progbits,_ZN7rocprim17ROCPRIM_400000_NS6detail17trampoline_kernelINS0_14default_configENS1_25partition_config_selectorILNS1_17partition_subalgoE0EyNS0_10empty_typeEbEEZZNS1_14partition_implILS5_0ELb0ES3_jN6thrust23THRUST_200600_302600_NS6detail15normal_iteratorINSA_10device_ptrIyEEEEPS6_SG_NS0_5tupleIJNSA_16discard_iteratorINSA_11use_defaultEEESK_EEENSH_IJSG_SG_EEES6_PlJ7is_evenIyEEEE10hipError_tPvRmT3_T4_T5_T6_T7_T9_mT8_P12ihipStream_tbDpT10_ENKUlT_T0_E_clISt17integral_constantIbLb1EES18_IbLb0EEEEDaS14_S15_EUlS14_E_NS1_11comp_targetILNS1_3genE9ELNS1_11target_archE1100ELNS1_3gpuE3ELNS1_3repE0EEENS1_30default_config_static_selectorELNS0_4arch9wavefront6targetE1EEEvT1_,comdat
.Lfunc_end2321:
	.size	_ZN7rocprim17ROCPRIM_400000_NS6detail17trampoline_kernelINS0_14default_configENS1_25partition_config_selectorILNS1_17partition_subalgoE0EyNS0_10empty_typeEbEEZZNS1_14partition_implILS5_0ELb0ES3_jN6thrust23THRUST_200600_302600_NS6detail15normal_iteratorINSA_10device_ptrIyEEEEPS6_SG_NS0_5tupleIJNSA_16discard_iteratorINSA_11use_defaultEEESK_EEENSH_IJSG_SG_EEES6_PlJ7is_evenIyEEEE10hipError_tPvRmT3_T4_T5_T6_T7_T9_mT8_P12ihipStream_tbDpT10_ENKUlT_T0_E_clISt17integral_constantIbLb1EES18_IbLb0EEEEDaS14_S15_EUlS14_E_NS1_11comp_targetILNS1_3genE9ELNS1_11target_archE1100ELNS1_3gpuE3ELNS1_3repE0EEENS1_30default_config_static_selectorELNS0_4arch9wavefront6targetE1EEEvT1_, .Lfunc_end2321-_ZN7rocprim17ROCPRIM_400000_NS6detail17trampoline_kernelINS0_14default_configENS1_25partition_config_selectorILNS1_17partition_subalgoE0EyNS0_10empty_typeEbEEZZNS1_14partition_implILS5_0ELb0ES3_jN6thrust23THRUST_200600_302600_NS6detail15normal_iteratorINSA_10device_ptrIyEEEEPS6_SG_NS0_5tupleIJNSA_16discard_iteratorINSA_11use_defaultEEESK_EEENSH_IJSG_SG_EEES6_PlJ7is_evenIyEEEE10hipError_tPvRmT3_T4_T5_T6_T7_T9_mT8_P12ihipStream_tbDpT10_ENKUlT_T0_E_clISt17integral_constantIbLb1EES18_IbLb0EEEEDaS14_S15_EUlS14_E_NS1_11comp_targetILNS1_3genE9ELNS1_11target_archE1100ELNS1_3gpuE3ELNS1_3repE0EEENS1_30default_config_static_selectorELNS0_4arch9wavefront6targetE1EEEvT1_
                                        ; -- End function
	.section	.AMDGPU.csdata,"",@progbits
; Kernel info:
; codeLenInByte = 0
; NumSgprs: 6
; NumVgprs: 0
; NumAgprs: 0
; TotalNumVgprs: 0
; ScratchSize: 0
; MemoryBound: 0
; FloatMode: 240
; IeeeMode: 1
; LDSByteSize: 0 bytes/workgroup (compile time only)
; SGPRBlocks: 0
; VGPRBlocks: 0
; NumSGPRsForWavesPerEU: 6
; NumVGPRsForWavesPerEU: 1
; AccumOffset: 4
; Occupancy: 8
; WaveLimiterHint : 0
; COMPUTE_PGM_RSRC2:SCRATCH_EN: 0
; COMPUTE_PGM_RSRC2:USER_SGPR: 2
; COMPUTE_PGM_RSRC2:TRAP_HANDLER: 0
; COMPUTE_PGM_RSRC2:TGID_X_EN: 1
; COMPUTE_PGM_RSRC2:TGID_Y_EN: 0
; COMPUTE_PGM_RSRC2:TGID_Z_EN: 0
; COMPUTE_PGM_RSRC2:TIDIG_COMP_CNT: 0
; COMPUTE_PGM_RSRC3_GFX90A:ACCUM_OFFSET: 0
; COMPUTE_PGM_RSRC3_GFX90A:TG_SPLIT: 0
	.section	.text._ZN7rocprim17ROCPRIM_400000_NS6detail17trampoline_kernelINS0_14default_configENS1_25partition_config_selectorILNS1_17partition_subalgoE0EyNS0_10empty_typeEbEEZZNS1_14partition_implILS5_0ELb0ES3_jN6thrust23THRUST_200600_302600_NS6detail15normal_iteratorINSA_10device_ptrIyEEEEPS6_SG_NS0_5tupleIJNSA_16discard_iteratorINSA_11use_defaultEEESK_EEENSH_IJSG_SG_EEES6_PlJ7is_evenIyEEEE10hipError_tPvRmT3_T4_T5_T6_T7_T9_mT8_P12ihipStream_tbDpT10_ENKUlT_T0_E_clISt17integral_constantIbLb1EES18_IbLb0EEEEDaS14_S15_EUlS14_E_NS1_11comp_targetILNS1_3genE8ELNS1_11target_archE1030ELNS1_3gpuE2ELNS1_3repE0EEENS1_30default_config_static_selectorELNS0_4arch9wavefront6targetE1EEEvT1_,"axG",@progbits,_ZN7rocprim17ROCPRIM_400000_NS6detail17trampoline_kernelINS0_14default_configENS1_25partition_config_selectorILNS1_17partition_subalgoE0EyNS0_10empty_typeEbEEZZNS1_14partition_implILS5_0ELb0ES3_jN6thrust23THRUST_200600_302600_NS6detail15normal_iteratorINSA_10device_ptrIyEEEEPS6_SG_NS0_5tupleIJNSA_16discard_iteratorINSA_11use_defaultEEESK_EEENSH_IJSG_SG_EEES6_PlJ7is_evenIyEEEE10hipError_tPvRmT3_T4_T5_T6_T7_T9_mT8_P12ihipStream_tbDpT10_ENKUlT_T0_E_clISt17integral_constantIbLb1EES18_IbLb0EEEEDaS14_S15_EUlS14_E_NS1_11comp_targetILNS1_3genE8ELNS1_11target_archE1030ELNS1_3gpuE2ELNS1_3repE0EEENS1_30default_config_static_selectorELNS0_4arch9wavefront6targetE1EEEvT1_,comdat
	.protected	_ZN7rocprim17ROCPRIM_400000_NS6detail17trampoline_kernelINS0_14default_configENS1_25partition_config_selectorILNS1_17partition_subalgoE0EyNS0_10empty_typeEbEEZZNS1_14partition_implILS5_0ELb0ES3_jN6thrust23THRUST_200600_302600_NS6detail15normal_iteratorINSA_10device_ptrIyEEEEPS6_SG_NS0_5tupleIJNSA_16discard_iteratorINSA_11use_defaultEEESK_EEENSH_IJSG_SG_EEES6_PlJ7is_evenIyEEEE10hipError_tPvRmT3_T4_T5_T6_T7_T9_mT8_P12ihipStream_tbDpT10_ENKUlT_T0_E_clISt17integral_constantIbLb1EES18_IbLb0EEEEDaS14_S15_EUlS14_E_NS1_11comp_targetILNS1_3genE8ELNS1_11target_archE1030ELNS1_3gpuE2ELNS1_3repE0EEENS1_30default_config_static_selectorELNS0_4arch9wavefront6targetE1EEEvT1_ ; -- Begin function _ZN7rocprim17ROCPRIM_400000_NS6detail17trampoline_kernelINS0_14default_configENS1_25partition_config_selectorILNS1_17partition_subalgoE0EyNS0_10empty_typeEbEEZZNS1_14partition_implILS5_0ELb0ES3_jN6thrust23THRUST_200600_302600_NS6detail15normal_iteratorINSA_10device_ptrIyEEEEPS6_SG_NS0_5tupleIJNSA_16discard_iteratorINSA_11use_defaultEEESK_EEENSH_IJSG_SG_EEES6_PlJ7is_evenIyEEEE10hipError_tPvRmT3_T4_T5_T6_T7_T9_mT8_P12ihipStream_tbDpT10_ENKUlT_T0_E_clISt17integral_constantIbLb1EES18_IbLb0EEEEDaS14_S15_EUlS14_E_NS1_11comp_targetILNS1_3genE8ELNS1_11target_archE1030ELNS1_3gpuE2ELNS1_3repE0EEENS1_30default_config_static_selectorELNS0_4arch9wavefront6targetE1EEEvT1_
	.globl	_ZN7rocprim17ROCPRIM_400000_NS6detail17trampoline_kernelINS0_14default_configENS1_25partition_config_selectorILNS1_17partition_subalgoE0EyNS0_10empty_typeEbEEZZNS1_14partition_implILS5_0ELb0ES3_jN6thrust23THRUST_200600_302600_NS6detail15normal_iteratorINSA_10device_ptrIyEEEEPS6_SG_NS0_5tupleIJNSA_16discard_iteratorINSA_11use_defaultEEESK_EEENSH_IJSG_SG_EEES6_PlJ7is_evenIyEEEE10hipError_tPvRmT3_T4_T5_T6_T7_T9_mT8_P12ihipStream_tbDpT10_ENKUlT_T0_E_clISt17integral_constantIbLb1EES18_IbLb0EEEEDaS14_S15_EUlS14_E_NS1_11comp_targetILNS1_3genE8ELNS1_11target_archE1030ELNS1_3gpuE2ELNS1_3repE0EEENS1_30default_config_static_selectorELNS0_4arch9wavefront6targetE1EEEvT1_
	.p2align	8
	.type	_ZN7rocprim17ROCPRIM_400000_NS6detail17trampoline_kernelINS0_14default_configENS1_25partition_config_selectorILNS1_17partition_subalgoE0EyNS0_10empty_typeEbEEZZNS1_14partition_implILS5_0ELb0ES3_jN6thrust23THRUST_200600_302600_NS6detail15normal_iteratorINSA_10device_ptrIyEEEEPS6_SG_NS0_5tupleIJNSA_16discard_iteratorINSA_11use_defaultEEESK_EEENSH_IJSG_SG_EEES6_PlJ7is_evenIyEEEE10hipError_tPvRmT3_T4_T5_T6_T7_T9_mT8_P12ihipStream_tbDpT10_ENKUlT_T0_E_clISt17integral_constantIbLb1EES18_IbLb0EEEEDaS14_S15_EUlS14_E_NS1_11comp_targetILNS1_3genE8ELNS1_11target_archE1030ELNS1_3gpuE2ELNS1_3repE0EEENS1_30default_config_static_selectorELNS0_4arch9wavefront6targetE1EEEvT1_,@function
_ZN7rocprim17ROCPRIM_400000_NS6detail17trampoline_kernelINS0_14default_configENS1_25partition_config_selectorILNS1_17partition_subalgoE0EyNS0_10empty_typeEbEEZZNS1_14partition_implILS5_0ELb0ES3_jN6thrust23THRUST_200600_302600_NS6detail15normal_iteratorINSA_10device_ptrIyEEEEPS6_SG_NS0_5tupleIJNSA_16discard_iteratorINSA_11use_defaultEEESK_EEENSH_IJSG_SG_EEES6_PlJ7is_evenIyEEEE10hipError_tPvRmT3_T4_T5_T6_T7_T9_mT8_P12ihipStream_tbDpT10_ENKUlT_T0_E_clISt17integral_constantIbLb1EES18_IbLb0EEEEDaS14_S15_EUlS14_E_NS1_11comp_targetILNS1_3genE8ELNS1_11target_archE1030ELNS1_3gpuE2ELNS1_3repE0EEENS1_30default_config_static_selectorELNS0_4arch9wavefront6targetE1EEEvT1_: ; @_ZN7rocprim17ROCPRIM_400000_NS6detail17trampoline_kernelINS0_14default_configENS1_25partition_config_selectorILNS1_17partition_subalgoE0EyNS0_10empty_typeEbEEZZNS1_14partition_implILS5_0ELb0ES3_jN6thrust23THRUST_200600_302600_NS6detail15normal_iteratorINSA_10device_ptrIyEEEEPS6_SG_NS0_5tupleIJNSA_16discard_iteratorINSA_11use_defaultEEESK_EEENSH_IJSG_SG_EEES6_PlJ7is_evenIyEEEE10hipError_tPvRmT3_T4_T5_T6_T7_T9_mT8_P12ihipStream_tbDpT10_ENKUlT_T0_E_clISt17integral_constantIbLb1EES18_IbLb0EEEEDaS14_S15_EUlS14_E_NS1_11comp_targetILNS1_3genE8ELNS1_11target_archE1030ELNS1_3gpuE2ELNS1_3repE0EEENS1_30default_config_static_selectorELNS0_4arch9wavefront6targetE1EEEvT1_
; %bb.0:
	.section	.rodata,"a",@progbits
	.p2align	6, 0x0
	.amdhsa_kernel _ZN7rocprim17ROCPRIM_400000_NS6detail17trampoline_kernelINS0_14default_configENS1_25partition_config_selectorILNS1_17partition_subalgoE0EyNS0_10empty_typeEbEEZZNS1_14partition_implILS5_0ELb0ES3_jN6thrust23THRUST_200600_302600_NS6detail15normal_iteratorINSA_10device_ptrIyEEEEPS6_SG_NS0_5tupleIJNSA_16discard_iteratorINSA_11use_defaultEEESK_EEENSH_IJSG_SG_EEES6_PlJ7is_evenIyEEEE10hipError_tPvRmT3_T4_T5_T6_T7_T9_mT8_P12ihipStream_tbDpT10_ENKUlT_T0_E_clISt17integral_constantIbLb1EES18_IbLb0EEEEDaS14_S15_EUlS14_E_NS1_11comp_targetILNS1_3genE8ELNS1_11target_archE1030ELNS1_3gpuE2ELNS1_3repE0EEENS1_30default_config_static_selectorELNS0_4arch9wavefront6targetE1EEEvT1_
		.amdhsa_group_segment_fixed_size 0
		.amdhsa_private_segment_fixed_size 0
		.amdhsa_kernarg_size 136
		.amdhsa_user_sgpr_count 2
		.amdhsa_user_sgpr_dispatch_ptr 0
		.amdhsa_user_sgpr_queue_ptr 0
		.amdhsa_user_sgpr_kernarg_segment_ptr 1
		.amdhsa_user_sgpr_dispatch_id 0
		.amdhsa_user_sgpr_kernarg_preload_length 0
		.amdhsa_user_sgpr_kernarg_preload_offset 0
		.amdhsa_user_sgpr_private_segment_size 0
		.amdhsa_uses_dynamic_stack 0
		.amdhsa_enable_private_segment 0
		.amdhsa_system_sgpr_workgroup_id_x 1
		.amdhsa_system_sgpr_workgroup_id_y 0
		.amdhsa_system_sgpr_workgroup_id_z 0
		.amdhsa_system_sgpr_workgroup_info 0
		.amdhsa_system_vgpr_workitem_id 0
		.amdhsa_next_free_vgpr 1
		.amdhsa_next_free_sgpr 0
		.amdhsa_accum_offset 4
		.amdhsa_reserve_vcc 0
		.amdhsa_float_round_mode_32 0
		.amdhsa_float_round_mode_16_64 0
		.amdhsa_float_denorm_mode_32 3
		.amdhsa_float_denorm_mode_16_64 3
		.amdhsa_dx10_clamp 1
		.amdhsa_ieee_mode 1
		.amdhsa_fp16_overflow 0
		.amdhsa_tg_split 0
		.amdhsa_exception_fp_ieee_invalid_op 0
		.amdhsa_exception_fp_denorm_src 0
		.amdhsa_exception_fp_ieee_div_zero 0
		.amdhsa_exception_fp_ieee_overflow 0
		.amdhsa_exception_fp_ieee_underflow 0
		.amdhsa_exception_fp_ieee_inexact 0
		.amdhsa_exception_int_div_zero 0
	.end_amdhsa_kernel
	.section	.text._ZN7rocprim17ROCPRIM_400000_NS6detail17trampoline_kernelINS0_14default_configENS1_25partition_config_selectorILNS1_17partition_subalgoE0EyNS0_10empty_typeEbEEZZNS1_14partition_implILS5_0ELb0ES3_jN6thrust23THRUST_200600_302600_NS6detail15normal_iteratorINSA_10device_ptrIyEEEEPS6_SG_NS0_5tupleIJNSA_16discard_iteratorINSA_11use_defaultEEESK_EEENSH_IJSG_SG_EEES6_PlJ7is_evenIyEEEE10hipError_tPvRmT3_T4_T5_T6_T7_T9_mT8_P12ihipStream_tbDpT10_ENKUlT_T0_E_clISt17integral_constantIbLb1EES18_IbLb0EEEEDaS14_S15_EUlS14_E_NS1_11comp_targetILNS1_3genE8ELNS1_11target_archE1030ELNS1_3gpuE2ELNS1_3repE0EEENS1_30default_config_static_selectorELNS0_4arch9wavefront6targetE1EEEvT1_,"axG",@progbits,_ZN7rocprim17ROCPRIM_400000_NS6detail17trampoline_kernelINS0_14default_configENS1_25partition_config_selectorILNS1_17partition_subalgoE0EyNS0_10empty_typeEbEEZZNS1_14partition_implILS5_0ELb0ES3_jN6thrust23THRUST_200600_302600_NS6detail15normal_iteratorINSA_10device_ptrIyEEEEPS6_SG_NS0_5tupleIJNSA_16discard_iteratorINSA_11use_defaultEEESK_EEENSH_IJSG_SG_EEES6_PlJ7is_evenIyEEEE10hipError_tPvRmT3_T4_T5_T6_T7_T9_mT8_P12ihipStream_tbDpT10_ENKUlT_T0_E_clISt17integral_constantIbLb1EES18_IbLb0EEEEDaS14_S15_EUlS14_E_NS1_11comp_targetILNS1_3genE8ELNS1_11target_archE1030ELNS1_3gpuE2ELNS1_3repE0EEENS1_30default_config_static_selectorELNS0_4arch9wavefront6targetE1EEEvT1_,comdat
.Lfunc_end2322:
	.size	_ZN7rocprim17ROCPRIM_400000_NS6detail17trampoline_kernelINS0_14default_configENS1_25partition_config_selectorILNS1_17partition_subalgoE0EyNS0_10empty_typeEbEEZZNS1_14partition_implILS5_0ELb0ES3_jN6thrust23THRUST_200600_302600_NS6detail15normal_iteratorINSA_10device_ptrIyEEEEPS6_SG_NS0_5tupleIJNSA_16discard_iteratorINSA_11use_defaultEEESK_EEENSH_IJSG_SG_EEES6_PlJ7is_evenIyEEEE10hipError_tPvRmT3_T4_T5_T6_T7_T9_mT8_P12ihipStream_tbDpT10_ENKUlT_T0_E_clISt17integral_constantIbLb1EES18_IbLb0EEEEDaS14_S15_EUlS14_E_NS1_11comp_targetILNS1_3genE8ELNS1_11target_archE1030ELNS1_3gpuE2ELNS1_3repE0EEENS1_30default_config_static_selectorELNS0_4arch9wavefront6targetE1EEEvT1_, .Lfunc_end2322-_ZN7rocprim17ROCPRIM_400000_NS6detail17trampoline_kernelINS0_14default_configENS1_25partition_config_selectorILNS1_17partition_subalgoE0EyNS0_10empty_typeEbEEZZNS1_14partition_implILS5_0ELb0ES3_jN6thrust23THRUST_200600_302600_NS6detail15normal_iteratorINSA_10device_ptrIyEEEEPS6_SG_NS0_5tupleIJNSA_16discard_iteratorINSA_11use_defaultEEESK_EEENSH_IJSG_SG_EEES6_PlJ7is_evenIyEEEE10hipError_tPvRmT3_T4_T5_T6_T7_T9_mT8_P12ihipStream_tbDpT10_ENKUlT_T0_E_clISt17integral_constantIbLb1EES18_IbLb0EEEEDaS14_S15_EUlS14_E_NS1_11comp_targetILNS1_3genE8ELNS1_11target_archE1030ELNS1_3gpuE2ELNS1_3repE0EEENS1_30default_config_static_selectorELNS0_4arch9wavefront6targetE1EEEvT1_
                                        ; -- End function
	.section	.AMDGPU.csdata,"",@progbits
; Kernel info:
; codeLenInByte = 0
; NumSgprs: 6
; NumVgprs: 0
; NumAgprs: 0
; TotalNumVgprs: 0
; ScratchSize: 0
; MemoryBound: 0
; FloatMode: 240
; IeeeMode: 1
; LDSByteSize: 0 bytes/workgroup (compile time only)
; SGPRBlocks: 0
; VGPRBlocks: 0
; NumSGPRsForWavesPerEU: 6
; NumVGPRsForWavesPerEU: 1
; AccumOffset: 4
; Occupancy: 8
; WaveLimiterHint : 0
; COMPUTE_PGM_RSRC2:SCRATCH_EN: 0
; COMPUTE_PGM_RSRC2:USER_SGPR: 2
; COMPUTE_PGM_RSRC2:TRAP_HANDLER: 0
; COMPUTE_PGM_RSRC2:TGID_X_EN: 1
; COMPUTE_PGM_RSRC2:TGID_Y_EN: 0
; COMPUTE_PGM_RSRC2:TGID_Z_EN: 0
; COMPUTE_PGM_RSRC2:TIDIG_COMP_CNT: 0
; COMPUTE_PGM_RSRC3_GFX90A:ACCUM_OFFSET: 0
; COMPUTE_PGM_RSRC3_GFX90A:TG_SPLIT: 0
	.section	.text._ZN7rocprim17ROCPRIM_400000_NS6detail17trampoline_kernelINS0_14default_configENS1_25partition_config_selectorILNS1_17partition_subalgoE0EyNS0_10empty_typeEbEEZZNS1_14partition_implILS5_0ELb0ES3_jN6thrust23THRUST_200600_302600_NS6detail15normal_iteratorINSA_10device_ptrIyEEEEPS6_SG_NS0_5tupleIJNSA_16discard_iteratorINSA_11use_defaultEEESK_EEENSH_IJSG_SG_EEES6_PlJ7is_evenIyEEEE10hipError_tPvRmT3_T4_T5_T6_T7_T9_mT8_P12ihipStream_tbDpT10_ENKUlT_T0_E_clISt17integral_constantIbLb0EES18_IbLb1EEEEDaS14_S15_EUlS14_E_NS1_11comp_targetILNS1_3genE0ELNS1_11target_archE4294967295ELNS1_3gpuE0ELNS1_3repE0EEENS1_30default_config_static_selectorELNS0_4arch9wavefront6targetE1EEEvT1_,"axG",@progbits,_ZN7rocprim17ROCPRIM_400000_NS6detail17trampoline_kernelINS0_14default_configENS1_25partition_config_selectorILNS1_17partition_subalgoE0EyNS0_10empty_typeEbEEZZNS1_14partition_implILS5_0ELb0ES3_jN6thrust23THRUST_200600_302600_NS6detail15normal_iteratorINSA_10device_ptrIyEEEEPS6_SG_NS0_5tupleIJNSA_16discard_iteratorINSA_11use_defaultEEESK_EEENSH_IJSG_SG_EEES6_PlJ7is_evenIyEEEE10hipError_tPvRmT3_T4_T5_T6_T7_T9_mT8_P12ihipStream_tbDpT10_ENKUlT_T0_E_clISt17integral_constantIbLb0EES18_IbLb1EEEEDaS14_S15_EUlS14_E_NS1_11comp_targetILNS1_3genE0ELNS1_11target_archE4294967295ELNS1_3gpuE0ELNS1_3repE0EEENS1_30default_config_static_selectorELNS0_4arch9wavefront6targetE1EEEvT1_,comdat
	.protected	_ZN7rocprim17ROCPRIM_400000_NS6detail17trampoline_kernelINS0_14default_configENS1_25partition_config_selectorILNS1_17partition_subalgoE0EyNS0_10empty_typeEbEEZZNS1_14partition_implILS5_0ELb0ES3_jN6thrust23THRUST_200600_302600_NS6detail15normal_iteratorINSA_10device_ptrIyEEEEPS6_SG_NS0_5tupleIJNSA_16discard_iteratorINSA_11use_defaultEEESK_EEENSH_IJSG_SG_EEES6_PlJ7is_evenIyEEEE10hipError_tPvRmT3_T4_T5_T6_T7_T9_mT8_P12ihipStream_tbDpT10_ENKUlT_T0_E_clISt17integral_constantIbLb0EES18_IbLb1EEEEDaS14_S15_EUlS14_E_NS1_11comp_targetILNS1_3genE0ELNS1_11target_archE4294967295ELNS1_3gpuE0ELNS1_3repE0EEENS1_30default_config_static_selectorELNS0_4arch9wavefront6targetE1EEEvT1_ ; -- Begin function _ZN7rocprim17ROCPRIM_400000_NS6detail17trampoline_kernelINS0_14default_configENS1_25partition_config_selectorILNS1_17partition_subalgoE0EyNS0_10empty_typeEbEEZZNS1_14partition_implILS5_0ELb0ES3_jN6thrust23THRUST_200600_302600_NS6detail15normal_iteratorINSA_10device_ptrIyEEEEPS6_SG_NS0_5tupleIJNSA_16discard_iteratorINSA_11use_defaultEEESK_EEENSH_IJSG_SG_EEES6_PlJ7is_evenIyEEEE10hipError_tPvRmT3_T4_T5_T6_T7_T9_mT8_P12ihipStream_tbDpT10_ENKUlT_T0_E_clISt17integral_constantIbLb0EES18_IbLb1EEEEDaS14_S15_EUlS14_E_NS1_11comp_targetILNS1_3genE0ELNS1_11target_archE4294967295ELNS1_3gpuE0ELNS1_3repE0EEENS1_30default_config_static_selectorELNS0_4arch9wavefront6targetE1EEEvT1_
	.globl	_ZN7rocprim17ROCPRIM_400000_NS6detail17trampoline_kernelINS0_14default_configENS1_25partition_config_selectorILNS1_17partition_subalgoE0EyNS0_10empty_typeEbEEZZNS1_14partition_implILS5_0ELb0ES3_jN6thrust23THRUST_200600_302600_NS6detail15normal_iteratorINSA_10device_ptrIyEEEEPS6_SG_NS0_5tupleIJNSA_16discard_iteratorINSA_11use_defaultEEESK_EEENSH_IJSG_SG_EEES6_PlJ7is_evenIyEEEE10hipError_tPvRmT3_T4_T5_T6_T7_T9_mT8_P12ihipStream_tbDpT10_ENKUlT_T0_E_clISt17integral_constantIbLb0EES18_IbLb1EEEEDaS14_S15_EUlS14_E_NS1_11comp_targetILNS1_3genE0ELNS1_11target_archE4294967295ELNS1_3gpuE0ELNS1_3repE0EEENS1_30default_config_static_selectorELNS0_4arch9wavefront6targetE1EEEvT1_
	.p2align	8
	.type	_ZN7rocprim17ROCPRIM_400000_NS6detail17trampoline_kernelINS0_14default_configENS1_25partition_config_selectorILNS1_17partition_subalgoE0EyNS0_10empty_typeEbEEZZNS1_14partition_implILS5_0ELb0ES3_jN6thrust23THRUST_200600_302600_NS6detail15normal_iteratorINSA_10device_ptrIyEEEEPS6_SG_NS0_5tupleIJNSA_16discard_iteratorINSA_11use_defaultEEESK_EEENSH_IJSG_SG_EEES6_PlJ7is_evenIyEEEE10hipError_tPvRmT3_T4_T5_T6_T7_T9_mT8_P12ihipStream_tbDpT10_ENKUlT_T0_E_clISt17integral_constantIbLb0EES18_IbLb1EEEEDaS14_S15_EUlS14_E_NS1_11comp_targetILNS1_3genE0ELNS1_11target_archE4294967295ELNS1_3gpuE0ELNS1_3repE0EEENS1_30default_config_static_selectorELNS0_4arch9wavefront6targetE1EEEvT1_,@function
_ZN7rocprim17ROCPRIM_400000_NS6detail17trampoline_kernelINS0_14default_configENS1_25partition_config_selectorILNS1_17partition_subalgoE0EyNS0_10empty_typeEbEEZZNS1_14partition_implILS5_0ELb0ES3_jN6thrust23THRUST_200600_302600_NS6detail15normal_iteratorINSA_10device_ptrIyEEEEPS6_SG_NS0_5tupleIJNSA_16discard_iteratorINSA_11use_defaultEEESK_EEENSH_IJSG_SG_EEES6_PlJ7is_evenIyEEEE10hipError_tPvRmT3_T4_T5_T6_T7_T9_mT8_P12ihipStream_tbDpT10_ENKUlT_T0_E_clISt17integral_constantIbLb0EES18_IbLb1EEEEDaS14_S15_EUlS14_E_NS1_11comp_targetILNS1_3genE0ELNS1_11target_archE4294967295ELNS1_3gpuE0ELNS1_3repE0EEENS1_30default_config_static_selectorELNS0_4arch9wavefront6targetE1EEEvT1_: ; @_ZN7rocprim17ROCPRIM_400000_NS6detail17trampoline_kernelINS0_14default_configENS1_25partition_config_selectorILNS1_17partition_subalgoE0EyNS0_10empty_typeEbEEZZNS1_14partition_implILS5_0ELb0ES3_jN6thrust23THRUST_200600_302600_NS6detail15normal_iteratorINSA_10device_ptrIyEEEEPS6_SG_NS0_5tupleIJNSA_16discard_iteratorINSA_11use_defaultEEESK_EEENSH_IJSG_SG_EEES6_PlJ7is_evenIyEEEE10hipError_tPvRmT3_T4_T5_T6_T7_T9_mT8_P12ihipStream_tbDpT10_ENKUlT_T0_E_clISt17integral_constantIbLb0EES18_IbLb1EEEEDaS14_S15_EUlS14_E_NS1_11comp_targetILNS1_3genE0ELNS1_11target_archE4294967295ELNS1_3gpuE0ELNS1_3repE0EEENS1_30default_config_static_selectorELNS0_4arch9wavefront6targetE1EEEvT1_
; %bb.0:
	.section	.rodata,"a",@progbits
	.p2align	6, 0x0
	.amdhsa_kernel _ZN7rocprim17ROCPRIM_400000_NS6detail17trampoline_kernelINS0_14default_configENS1_25partition_config_selectorILNS1_17partition_subalgoE0EyNS0_10empty_typeEbEEZZNS1_14partition_implILS5_0ELb0ES3_jN6thrust23THRUST_200600_302600_NS6detail15normal_iteratorINSA_10device_ptrIyEEEEPS6_SG_NS0_5tupleIJNSA_16discard_iteratorINSA_11use_defaultEEESK_EEENSH_IJSG_SG_EEES6_PlJ7is_evenIyEEEE10hipError_tPvRmT3_T4_T5_T6_T7_T9_mT8_P12ihipStream_tbDpT10_ENKUlT_T0_E_clISt17integral_constantIbLb0EES18_IbLb1EEEEDaS14_S15_EUlS14_E_NS1_11comp_targetILNS1_3genE0ELNS1_11target_archE4294967295ELNS1_3gpuE0ELNS1_3repE0EEENS1_30default_config_static_selectorELNS0_4arch9wavefront6targetE1EEEvT1_
		.amdhsa_group_segment_fixed_size 0
		.amdhsa_private_segment_fixed_size 0
		.amdhsa_kernarg_size 152
		.amdhsa_user_sgpr_count 2
		.amdhsa_user_sgpr_dispatch_ptr 0
		.amdhsa_user_sgpr_queue_ptr 0
		.amdhsa_user_sgpr_kernarg_segment_ptr 1
		.amdhsa_user_sgpr_dispatch_id 0
		.amdhsa_user_sgpr_kernarg_preload_length 0
		.amdhsa_user_sgpr_kernarg_preload_offset 0
		.amdhsa_user_sgpr_private_segment_size 0
		.amdhsa_uses_dynamic_stack 0
		.amdhsa_enable_private_segment 0
		.amdhsa_system_sgpr_workgroup_id_x 1
		.amdhsa_system_sgpr_workgroup_id_y 0
		.amdhsa_system_sgpr_workgroup_id_z 0
		.amdhsa_system_sgpr_workgroup_info 0
		.amdhsa_system_vgpr_workitem_id 0
		.amdhsa_next_free_vgpr 1
		.amdhsa_next_free_sgpr 0
		.amdhsa_accum_offset 4
		.amdhsa_reserve_vcc 0
		.amdhsa_float_round_mode_32 0
		.amdhsa_float_round_mode_16_64 0
		.amdhsa_float_denorm_mode_32 3
		.amdhsa_float_denorm_mode_16_64 3
		.amdhsa_dx10_clamp 1
		.amdhsa_ieee_mode 1
		.amdhsa_fp16_overflow 0
		.amdhsa_tg_split 0
		.amdhsa_exception_fp_ieee_invalid_op 0
		.amdhsa_exception_fp_denorm_src 0
		.amdhsa_exception_fp_ieee_div_zero 0
		.amdhsa_exception_fp_ieee_overflow 0
		.amdhsa_exception_fp_ieee_underflow 0
		.amdhsa_exception_fp_ieee_inexact 0
		.amdhsa_exception_int_div_zero 0
	.end_amdhsa_kernel
	.section	.text._ZN7rocprim17ROCPRIM_400000_NS6detail17trampoline_kernelINS0_14default_configENS1_25partition_config_selectorILNS1_17partition_subalgoE0EyNS0_10empty_typeEbEEZZNS1_14partition_implILS5_0ELb0ES3_jN6thrust23THRUST_200600_302600_NS6detail15normal_iteratorINSA_10device_ptrIyEEEEPS6_SG_NS0_5tupleIJNSA_16discard_iteratorINSA_11use_defaultEEESK_EEENSH_IJSG_SG_EEES6_PlJ7is_evenIyEEEE10hipError_tPvRmT3_T4_T5_T6_T7_T9_mT8_P12ihipStream_tbDpT10_ENKUlT_T0_E_clISt17integral_constantIbLb0EES18_IbLb1EEEEDaS14_S15_EUlS14_E_NS1_11comp_targetILNS1_3genE0ELNS1_11target_archE4294967295ELNS1_3gpuE0ELNS1_3repE0EEENS1_30default_config_static_selectorELNS0_4arch9wavefront6targetE1EEEvT1_,"axG",@progbits,_ZN7rocprim17ROCPRIM_400000_NS6detail17trampoline_kernelINS0_14default_configENS1_25partition_config_selectorILNS1_17partition_subalgoE0EyNS0_10empty_typeEbEEZZNS1_14partition_implILS5_0ELb0ES3_jN6thrust23THRUST_200600_302600_NS6detail15normal_iteratorINSA_10device_ptrIyEEEEPS6_SG_NS0_5tupleIJNSA_16discard_iteratorINSA_11use_defaultEEESK_EEENSH_IJSG_SG_EEES6_PlJ7is_evenIyEEEE10hipError_tPvRmT3_T4_T5_T6_T7_T9_mT8_P12ihipStream_tbDpT10_ENKUlT_T0_E_clISt17integral_constantIbLb0EES18_IbLb1EEEEDaS14_S15_EUlS14_E_NS1_11comp_targetILNS1_3genE0ELNS1_11target_archE4294967295ELNS1_3gpuE0ELNS1_3repE0EEENS1_30default_config_static_selectorELNS0_4arch9wavefront6targetE1EEEvT1_,comdat
.Lfunc_end2323:
	.size	_ZN7rocprim17ROCPRIM_400000_NS6detail17trampoline_kernelINS0_14default_configENS1_25partition_config_selectorILNS1_17partition_subalgoE0EyNS0_10empty_typeEbEEZZNS1_14partition_implILS5_0ELb0ES3_jN6thrust23THRUST_200600_302600_NS6detail15normal_iteratorINSA_10device_ptrIyEEEEPS6_SG_NS0_5tupleIJNSA_16discard_iteratorINSA_11use_defaultEEESK_EEENSH_IJSG_SG_EEES6_PlJ7is_evenIyEEEE10hipError_tPvRmT3_T4_T5_T6_T7_T9_mT8_P12ihipStream_tbDpT10_ENKUlT_T0_E_clISt17integral_constantIbLb0EES18_IbLb1EEEEDaS14_S15_EUlS14_E_NS1_11comp_targetILNS1_3genE0ELNS1_11target_archE4294967295ELNS1_3gpuE0ELNS1_3repE0EEENS1_30default_config_static_selectorELNS0_4arch9wavefront6targetE1EEEvT1_, .Lfunc_end2323-_ZN7rocprim17ROCPRIM_400000_NS6detail17trampoline_kernelINS0_14default_configENS1_25partition_config_selectorILNS1_17partition_subalgoE0EyNS0_10empty_typeEbEEZZNS1_14partition_implILS5_0ELb0ES3_jN6thrust23THRUST_200600_302600_NS6detail15normal_iteratorINSA_10device_ptrIyEEEEPS6_SG_NS0_5tupleIJNSA_16discard_iteratorINSA_11use_defaultEEESK_EEENSH_IJSG_SG_EEES6_PlJ7is_evenIyEEEE10hipError_tPvRmT3_T4_T5_T6_T7_T9_mT8_P12ihipStream_tbDpT10_ENKUlT_T0_E_clISt17integral_constantIbLb0EES18_IbLb1EEEEDaS14_S15_EUlS14_E_NS1_11comp_targetILNS1_3genE0ELNS1_11target_archE4294967295ELNS1_3gpuE0ELNS1_3repE0EEENS1_30default_config_static_selectorELNS0_4arch9wavefront6targetE1EEEvT1_
                                        ; -- End function
	.section	.AMDGPU.csdata,"",@progbits
; Kernel info:
; codeLenInByte = 0
; NumSgprs: 6
; NumVgprs: 0
; NumAgprs: 0
; TotalNumVgprs: 0
; ScratchSize: 0
; MemoryBound: 0
; FloatMode: 240
; IeeeMode: 1
; LDSByteSize: 0 bytes/workgroup (compile time only)
; SGPRBlocks: 0
; VGPRBlocks: 0
; NumSGPRsForWavesPerEU: 6
; NumVGPRsForWavesPerEU: 1
; AccumOffset: 4
; Occupancy: 8
; WaveLimiterHint : 0
; COMPUTE_PGM_RSRC2:SCRATCH_EN: 0
; COMPUTE_PGM_RSRC2:USER_SGPR: 2
; COMPUTE_PGM_RSRC2:TRAP_HANDLER: 0
; COMPUTE_PGM_RSRC2:TGID_X_EN: 1
; COMPUTE_PGM_RSRC2:TGID_Y_EN: 0
; COMPUTE_PGM_RSRC2:TGID_Z_EN: 0
; COMPUTE_PGM_RSRC2:TIDIG_COMP_CNT: 0
; COMPUTE_PGM_RSRC3_GFX90A:ACCUM_OFFSET: 0
; COMPUTE_PGM_RSRC3_GFX90A:TG_SPLIT: 0
	.section	.text._ZN7rocprim17ROCPRIM_400000_NS6detail17trampoline_kernelINS0_14default_configENS1_25partition_config_selectorILNS1_17partition_subalgoE0EyNS0_10empty_typeEbEEZZNS1_14partition_implILS5_0ELb0ES3_jN6thrust23THRUST_200600_302600_NS6detail15normal_iteratorINSA_10device_ptrIyEEEEPS6_SG_NS0_5tupleIJNSA_16discard_iteratorINSA_11use_defaultEEESK_EEENSH_IJSG_SG_EEES6_PlJ7is_evenIyEEEE10hipError_tPvRmT3_T4_T5_T6_T7_T9_mT8_P12ihipStream_tbDpT10_ENKUlT_T0_E_clISt17integral_constantIbLb0EES18_IbLb1EEEEDaS14_S15_EUlS14_E_NS1_11comp_targetILNS1_3genE5ELNS1_11target_archE942ELNS1_3gpuE9ELNS1_3repE0EEENS1_30default_config_static_selectorELNS0_4arch9wavefront6targetE1EEEvT1_,"axG",@progbits,_ZN7rocprim17ROCPRIM_400000_NS6detail17trampoline_kernelINS0_14default_configENS1_25partition_config_selectorILNS1_17partition_subalgoE0EyNS0_10empty_typeEbEEZZNS1_14partition_implILS5_0ELb0ES3_jN6thrust23THRUST_200600_302600_NS6detail15normal_iteratorINSA_10device_ptrIyEEEEPS6_SG_NS0_5tupleIJNSA_16discard_iteratorINSA_11use_defaultEEESK_EEENSH_IJSG_SG_EEES6_PlJ7is_evenIyEEEE10hipError_tPvRmT3_T4_T5_T6_T7_T9_mT8_P12ihipStream_tbDpT10_ENKUlT_T0_E_clISt17integral_constantIbLb0EES18_IbLb1EEEEDaS14_S15_EUlS14_E_NS1_11comp_targetILNS1_3genE5ELNS1_11target_archE942ELNS1_3gpuE9ELNS1_3repE0EEENS1_30default_config_static_selectorELNS0_4arch9wavefront6targetE1EEEvT1_,comdat
	.protected	_ZN7rocprim17ROCPRIM_400000_NS6detail17trampoline_kernelINS0_14default_configENS1_25partition_config_selectorILNS1_17partition_subalgoE0EyNS0_10empty_typeEbEEZZNS1_14partition_implILS5_0ELb0ES3_jN6thrust23THRUST_200600_302600_NS6detail15normal_iteratorINSA_10device_ptrIyEEEEPS6_SG_NS0_5tupleIJNSA_16discard_iteratorINSA_11use_defaultEEESK_EEENSH_IJSG_SG_EEES6_PlJ7is_evenIyEEEE10hipError_tPvRmT3_T4_T5_T6_T7_T9_mT8_P12ihipStream_tbDpT10_ENKUlT_T0_E_clISt17integral_constantIbLb0EES18_IbLb1EEEEDaS14_S15_EUlS14_E_NS1_11comp_targetILNS1_3genE5ELNS1_11target_archE942ELNS1_3gpuE9ELNS1_3repE0EEENS1_30default_config_static_selectorELNS0_4arch9wavefront6targetE1EEEvT1_ ; -- Begin function _ZN7rocprim17ROCPRIM_400000_NS6detail17trampoline_kernelINS0_14default_configENS1_25partition_config_selectorILNS1_17partition_subalgoE0EyNS0_10empty_typeEbEEZZNS1_14partition_implILS5_0ELb0ES3_jN6thrust23THRUST_200600_302600_NS6detail15normal_iteratorINSA_10device_ptrIyEEEEPS6_SG_NS0_5tupleIJNSA_16discard_iteratorINSA_11use_defaultEEESK_EEENSH_IJSG_SG_EEES6_PlJ7is_evenIyEEEE10hipError_tPvRmT3_T4_T5_T6_T7_T9_mT8_P12ihipStream_tbDpT10_ENKUlT_T0_E_clISt17integral_constantIbLb0EES18_IbLb1EEEEDaS14_S15_EUlS14_E_NS1_11comp_targetILNS1_3genE5ELNS1_11target_archE942ELNS1_3gpuE9ELNS1_3repE0EEENS1_30default_config_static_selectorELNS0_4arch9wavefront6targetE1EEEvT1_
	.globl	_ZN7rocprim17ROCPRIM_400000_NS6detail17trampoline_kernelINS0_14default_configENS1_25partition_config_selectorILNS1_17partition_subalgoE0EyNS0_10empty_typeEbEEZZNS1_14partition_implILS5_0ELb0ES3_jN6thrust23THRUST_200600_302600_NS6detail15normal_iteratorINSA_10device_ptrIyEEEEPS6_SG_NS0_5tupleIJNSA_16discard_iteratorINSA_11use_defaultEEESK_EEENSH_IJSG_SG_EEES6_PlJ7is_evenIyEEEE10hipError_tPvRmT3_T4_T5_T6_T7_T9_mT8_P12ihipStream_tbDpT10_ENKUlT_T0_E_clISt17integral_constantIbLb0EES18_IbLb1EEEEDaS14_S15_EUlS14_E_NS1_11comp_targetILNS1_3genE5ELNS1_11target_archE942ELNS1_3gpuE9ELNS1_3repE0EEENS1_30default_config_static_selectorELNS0_4arch9wavefront6targetE1EEEvT1_
	.p2align	8
	.type	_ZN7rocprim17ROCPRIM_400000_NS6detail17trampoline_kernelINS0_14default_configENS1_25partition_config_selectorILNS1_17partition_subalgoE0EyNS0_10empty_typeEbEEZZNS1_14partition_implILS5_0ELb0ES3_jN6thrust23THRUST_200600_302600_NS6detail15normal_iteratorINSA_10device_ptrIyEEEEPS6_SG_NS0_5tupleIJNSA_16discard_iteratorINSA_11use_defaultEEESK_EEENSH_IJSG_SG_EEES6_PlJ7is_evenIyEEEE10hipError_tPvRmT3_T4_T5_T6_T7_T9_mT8_P12ihipStream_tbDpT10_ENKUlT_T0_E_clISt17integral_constantIbLb0EES18_IbLb1EEEEDaS14_S15_EUlS14_E_NS1_11comp_targetILNS1_3genE5ELNS1_11target_archE942ELNS1_3gpuE9ELNS1_3repE0EEENS1_30default_config_static_selectorELNS0_4arch9wavefront6targetE1EEEvT1_,@function
_ZN7rocprim17ROCPRIM_400000_NS6detail17trampoline_kernelINS0_14default_configENS1_25partition_config_selectorILNS1_17partition_subalgoE0EyNS0_10empty_typeEbEEZZNS1_14partition_implILS5_0ELb0ES3_jN6thrust23THRUST_200600_302600_NS6detail15normal_iteratorINSA_10device_ptrIyEEEEPS6_SG_NS0_5tupleIJNSA_16discard_iteratorINSA_11use_defaultEEESK_EEENSH_IJSG_SG_EEES6_PlJ7is_evenIyEEEE10hipError_tPvRmT3_T4_T5_T6_T7_T9_mT8_P12ihipStream_tbDpT10_ENKUlT_T0_E_clISt17integral_constantIbLb0EES18_IbLb1EEEEDaS14_S15_EUlS14_E_NS1_11comp_targetILNS1_3genE5ELNS1_11target_archE942ELNS1_3gpuE9ELNS1_3repE0EEENS1_30default_config_static_selectorELNS0_4arch9wavefront6targetE1EEEvT1_: ; @_ZN7rocprim17ROCPRIM_400000_NS6detail17trampoline_kernelINS0_14default_configENS1_25partition_config_selectorILNS1_17partition_subalgoE0EyNS0_10empty_typeEbEEZZNS1_14partition_implILS5_0ELb0ES3_jN6thrust23THRUST_200600_302600_NS6detail15normal_iteratorINSA_10device_ptrIyEEEEPS6_SG_NS0_5tupleIJNSA_16discard_iteratorINSA_11use_defaultEEESK_EEENSH_IJSG_SG_EEES6_PlJ7is_evenIyEEEE10hipError_tPvRmT3_T4_T5_T6_T7_T9_mT8_P12ihipStream_tbDpT10_ENKUlT_T0_E_clISt17integral_constantIbLb0EES18_IbLb1EEEEDaS14_S15_EUlS14_E_NS1_11comp_targetILNS1_3genE5ELNS1_11target_archE942ELNS1_3gpuE9ELNS1_3repE0EEENS1_30default_config_static_selectorELNS0_4arch9wavefront6targetE1EEEvT1_
; %bb.0:
	s_load_dwordx2 s[2:3], s[0:1], 0x68
	s_load_dwordx4 s[20:23], s[0:1], 0x58
	s_load_dwordx2 s[24:25], s[0:1], 0x78
	v_cmp_eq_u32_e64 s[18:19], 0, v0
	s_and_saveexec_b64 s[4:5], s[18:19]
	s_cbranch_execz .LBB2324_4
; %bb.1:
	s_mov_b64 s[8:9], exec
	v_mbcnt_lo_u32_b32 v1, s8, 0
	v_mbcnt_hi_u32_b32 v1, s9, v1
	v_cmp_eq_u32_e32 vcc, 0, v1
                                        ; implicit-def: $vgpr2
	s_and_saveexec_b64 s[6:7], vcc
	s_cbranch_execz .LBB2324_3
; %bb.2:
	s_load_dwordx2 s[10:11], s[0:1], 0x88
	s_bcnt1_i32_b64 s8, s[8:9]
	v_mov_b32_e32 v2, 0
	v_mov_b32_e32 v3, s8
	s_waitcnt lgkmcnt(0)
	global_atomic_add v2, v2, v3, s[10:11] sc0
.LBB2324_3:
	s_or_b64 exec, exec, s[6:7]
	s_waitcnt vmcnt(0)
	v_readfirstlane_b32 s6, v2
	v_mov_b32_e32 v2, 0
	s_nop 0
	v_add_u32_e32 v1, s6, v1
	ds_write_b32 v2, v1
.LBB2324_4:
	s_or_b64 exec, exec, s[4:5]
	v_mov_b32_e32 v21, 0
	s_load_dwordx4 s[4:7], s[0:1], 0x8
	s_load_dword s8, s[0:1], 0x80
	s_waitcnt lgkmcnt(0)
	s_barrier
	ds_read_b32 v1, v21
	s_waitcnt lgkmcnt(0)
	s_barrier
	global_load_dwordx2 v[18:19], v21, s[22:23]
	s_lshl_b64 s[0:1], s[6:7], 3
	s_add_u32 s10, s4, s0
	s_movk_i32 s0, 0xe00
	v_mul_lo_u32 v20, v1, s0
	s_mul_i32 s0, s8, 0xe00
	s_addc_u32 s11, s5, s1
	s_add_i32 s1, s0, s6
	v_mov_b32_e32 v3, s3
	s_add_i32 s3, s8, -1
	s_sub_i32 s4, s2, s1
	s_add_u32 s0, s6, s0
	v_readfirstlane_b32 s30, v1
	s_addc_u32 s1, s7, 0
	s_cmp_eq_u32 s30, s3
	v_mov_b32_e32 v2, s2
	s_cselect_b64 s[22:23], -1, 0
	s_cmp_lg_u32 s30, s3
	v_cmp_lt_u64_e32 vcc, s[0:1], v[2:3]
	s_cselect_b64 s[0:1], -1, 0
	s_or_b64 s[0:1], vcc, s[0:1]
	v_lshlrev_b64 v[2:3], 3, v[20:21]
	v_lshl_add_u64 v[22:23], s[10:11], 0, v[2:3]
	s_mov_b64 s[2:3], -1
	s_and_b64 vcc, exec, s[0:1]
	v_lshlrev_b32_e32 v20, 3, v0
	s_cbranch_vccz .LBB2324_6
; %bb.5:
	v_lshl_add_u64 v[2:3], v[22:23], 0, v[20:21]
	v_add_co_u32_e32 v4, vcc, 0x1000, v2
	s_mov_b64 s[2:3], 0
	s_nop 0
	v_addc_co_u32_e32 v5, vcc, 0, v3, vcc
	v_add_co_u32_e32 v6, vcc, 0x2000, v2
	s_nop 1
	v_addc_co_u32_e32 v7, vcc, 0, v3, vcc
	v_add_co_u32_e32 v8, vcc, 0x3000, v2
	s_nop 1
	v_addc_co_u32_e32 v9, vcc, 0, v3, vcc
	flat_load_dwordx2 v[10:11], v[2:3]
	flat_load_dwordx2 v[12:13], v[4:5]
	;; [unrolled: 1-line block ×4, first 2 shown]
	v_add_co_u32_e32 v4, vcc, 0x4000, v2
	s_nop 1
	v_addc_co_u32_e32 v5, vcc, 0, v3, vcc
	v_add_co_u32_e32 v6, vcc, 0x5000, v2
	s_nop 1
	v_addc_co_u32_e32 v7, vcc, 0, v3, vcc
	;; [unrolled: 3-line block ×3, first 2 shown]
	flat_load_dwordx2 v[8:9], v[4:5]
	flat_load_dwordx2 v[24:25], v[6:7]
	flat_load_dwordx2 v[26:27], v[2:3]
	s_waitcnt vmcnt(0) lgkmcnt(0)
	ds_write2st64_b64 v20, v[10:11], v[12:13] offset1:8
	ds_write2st64_b64 v20, v[14:15], v[16:17] offset0:16 offset1:24
	ds_write2st64_b64 v20, v[8:9], v[24:25] offset0:32 offset1:40
	ds_write_b64 v20, v[26:27] offset:24576
	s_waitcnt lgkmcnt(0)
	s_barrier
.LBB2324_6:
	s_andn2_b64 vcc, exec, s[2:3]
	s_addk_i32 s4, 0xe00
	s_cbranch_vccnz .LBB2324_22
; %bb.7:
	v_cmp_gt_u32_e32 vcc, s4, v0
                                        ; implicit-def: $vgpr2_vgpr3_vgpr4_vgpr5_vgpr6_vgpr7_vgpr8_vgpr9_vgpr10_vgpr11_vgpr12_vgpr13_vgpr14_vgpr15_vgpr16_vgpr17
	s_and_saveexec_b64 s[2:3], vcc
	s_cbranch_execz .LBB2324_9
; %bb.8:
	v_mov_b32_e32 v21, 0
	v_lshl_add_u64 v[2:3], v[22:23], 0, v[20:21]
	flat_load_dwordx2 v[2:3], v[2:3]
.LBB2324_9:
	s_or_b64 exec, exec, s[2:3]
	v_or_b32_e32 v1, 0x200, v0
	v_cmp_gt_u32_e32 vcc, s4, v1
	s_and_saveexec_b64 s[2:3], vcc
	s_cbranch_execz .LBB2324_11
; %bb.10:
	v_lshlrev_b32_e32 v4, 3, v1
	v_mov_b32_e32 v5, 0
	v_lshl_add_u64 v[4:5], v[22:23], 0, v[4:5]
	flat_load_dwordx2 v[4:5], v[4:5]
.LBB2324_11:
	s_or_b64 exec, exec, s[2:3]
	v_or_b32_e32 v1, 0x400, v0
	v_cmp_gt_u32_e32 vcc, s4, v1
	s_and_saveexec_b64 s[2:3], vcc
	s_cbranch_execz .LBB2324_13
; %bb.12:
	v_lshlrev_b32_e32 v6, 3, v1
	v_mov_b32_e32 v7, 0
	v_lshl_add_u64 v[6:7], v[22:23], 0, v[6:7]
	flat_load_dwordx2 v[6:7], v[6:7]
.LBB2324_13:
	;; [unrolled: 11-line block ×6, first 2 shown]
	s_or_b64 exec, exec, s[2:3]
	s_waitcnt vmcnt(0) lgkmcnt(0)
	ds_write2st64_b64 v20, v[2:3], v[4:5] offset1:8
	ds_write2st64_b64 v20, v[6:7], v[8:9] offset0:16 offset1:24
	ds_write2st64_b64 v20, v[10:11], v[12:13] offset0:32 offset1:40
	ds_write_b64 v20, v[14:15] offset:24576
	s_waitcnt lgkmcnt(0)
	s_barrier
.LBB2324_22:
	v_mul_u32_u24_e32 v1, 7, v0
	v_lshlrev_b32_e32 v33, 3, v1
	ds_read2_b64 v[10:13], v33 offset1:1
	ds_read2_b64 v[6:9], v33 offset0:2 offset1:3
	ds_read2_b64 v[2:5], v33 offset0:4 offset1:5
	ds_read_b64 v[14:15], v33 offset:48
	s_andn2_b64 vcc, exec, s[0:1]
	s_waitcnt lgkmcnt(3)
	v_xor_b32_e32 v24, -1, v10
	v_xor_b32_e32 v23, -1, v12
	s_waitcnt lgkmcnt(2)
	v_xor_b32_e32 v22, -1, v6
	v_xor_b32_e32 v21, -1, v8
	;; [unrolled: 3-line block ×3, first 2 shown]
	s_waitcnt lgkmcnt(0)
	v_xor_b32_e32 v16, -1, v14
	s_barrier
	s_cbranch_vccnz .LBB2324_24
; %bb.23:
	v_mov_b32_e32 v26, 1
	v_and_b32_e32 v25, 1, v24
	v_and_b32_sdwa v27, v23, v26 dst_sel:BYTE_1 dst_unused:UNUSED_PAD src0_sel:DWORD src1_sel:DWORD
	v_and_b32_e32 v31, 1, v22
	v_and_b32_sdwa v26, v21, v26 dst_sel:BYTE_1 dst_unused:UNUSED_PAD src0_sel:DWORD src1_sel:DWORD
	v_or_b32_e32 v25, v25, v27
	v_or_b32_sdwa v26, v31, v26 dst_sel:WORD_1 dst_unused:UNUSED_PAD src0_sel:DWORD src1_sel:DWORD
	v_and_b32_e32 v30, 1, v20
	v_and_b32_e32 v29, 1, v17
	;; [unrolled: 1-line block ×3, first 2 shown]
	v_or_b32_sdwa v31, v25, v26 dst_sel:DWORD dst_unused:UNUSED_PAD src0_sel:WORD_0 src1_sel:DWORD
	s_cbranch_execz .LBB2324_25
	s_branch .LBB2324_26
.LBB2324_24:
                                        ; implicit-def: $vgpr28
                                        ; implicit-def: $vgpr29
                                        ; implicit-def: $vgpr30
                                        ; implicit-def: $vgpr31
.LBB2324_25:
	v_add_u32_e32 v25, 1, v1
	v_cmp_gt_u32_e32 vcc, s4, v1
	v_add_u32_e32 v26, 2, v1
	v_add_u32_e32 v27, 3, v1
	v_cndmask_b32_e64 v30, 0, 1, vcc
	v_cmp_gt_u32_e32 vcc, s4, v25
	v_add_u32_e32 v28, 4, v1
	v_add_u32_e32 v29, 5, v1
	v_cndmask_b32_e64 v25, 0, 1, vcc
	v_cmp_gt_u32_e32 vcc, s4, v26
	v_and_b32_sdwa v23, v25, v23 dst_sel:BYTE_1 dst_unused:UNUSED_PAD src0_sel:DWORD src1_sel:DWORD
	v_add_u32_e32 v31, 6, v1
	v_cndmask_b32_e64 v25, 0, 1, vcc
	v_cmp_gt_u32_e32 vcc, s4, v27
	v_and_b32_e32 v22, v25, v22
	v_and_b32_e32 v24, v30, v24
	v_cndmask_b32_e64 v25, 0, 1, vcc
	v_cmp_gt_u32_e32 vcc, s4, v28
	v_and_b32_sdwa v21, v25, v21 dst_sel:BYTE_1 dst_unused:UNUSED_PAD src0_sel:DWORD src1_sel:DWORD
	s_nop 0
	v_cndmask_b32_e64 v25, 0, 1, vcc
	v_cmp_gt_u32_e32 vcc, s4, v29
	v_and_b32_e32 v30, v25, v20
	s_nop 0
	v_cndmask_b32_e64 v20, 0, 1, vcc
	v_cmp_gt_u32_e32 vcc, s4, v31
	v_and_b32_e32 v29, v20, v17
	s_nop 0
	v_cndmask_b32_e64 v17, 0, 1, vcc
	v_and_b32_e32 v28, v17, v16
	v_or_b32_e32 v16, v24, v23
	v_or_b32_sdwa v17, v22, v21 dst_sel:WORD_1 dst_unused:UNUSED_PAD src0_sel:DWORD src1_sel:DWORD
	s_nop 0
	v_or_b32_sdwa v31, v16, v17 dst_sel:DWORD dst_unused:UNUSED_PAD src0_sel:WORD_0 src1_sel:DWORD
.LBB2324_26:
	v_and_b32_e32 v34, 0xff, v31
	v_bfe_u32 v35, v31, 8, 8
	v_bfe_u32 v36, v31, 16, 8
	v_lshrrev_b32_e32 v32, 24, v31
	v_and_b32_e32 v37, 0xff, v30
	v_add3_u32 v17, v35, v34, v36
	v_and_b32_e32 v38, 0xff, v29
	v_and_b32_e32 v16, 0xff, v28
	v_add3_u32 v17, v17, v32, v37
	v_add3_u32 v41, v17, v38, v16
	v_mbcnt_lo_u32_b32 v16, -1, 0
	v_mbcnt_hi_u32_b32 v39, -1, v16
	v_and_b32_e32 v16, 15, v39
	v_cmp_eq_u32_e64 s[14:15], 0, v16
	v_cmp_lt_u32_e64 s[12:13], 1, v16
	v_cmp_lt_u32_e64 s[10:11], 3, v16
	;; [unrolled: 1-line block ×3, first 2 shown]
	v_and_b32_e32 v16, 16, v39
	v_cmp_eq_u32_e64 s[6:7], 0, v16
	v_or_b32_e32 v16, 63, v0
	s_cmp_lg_u32 s30, 0
	v_cmp_lt_u32_e64 s[2:3], 31, v39
	v_lshrrev_b32_e32 v40, 6, v0
	v_cmp_eq_u32_e64 s[4:5], v16, v0
	s_cbranch_scc0 .LBB2324_53
; %bb.27:
	v_mov_b32_dpp v16, v41 row_shr:1 row_mask:0xf bank_mask:0xf
	v_cndmask_b32_e64 v16, v16, 0, s[14:15]
	v_add_u32_e32 v16, v16, v41
	s_nop 1
	v_mov_b32_dpp v17, v16 row_shr:2 row_mask:0xf bank_mask:0xf
	v_cndmask_b32_e64 v17, 0, v17, s[12:13]
	v_add_u32_e32 v16, v16, v17
	s_nop 1
	;; [unrolled: 4-line block ×4, first 2 shown]
	v_mov_b32_dpp v17, v16 row_bcast:15 row_mask:0xf bank_mask:0xf
	v_cndmask_b32_e64 v17, v17, 0, s[6:7]
	v_add_u32_e32 v16, v16, v17
	s_nop 1
	v_mov_b32_dpp v17, v16 row_bcast:31 row_mask:0xf bank_mask:0xf
	v_cndmask_b32_e64 v17, 0, v17, s[2:3]
	v_add_u32_e32 v16, v16, v17
	s_and_saveexec_b64 s[0:1], s[4:5]
	s_cbranch_execz .LBB2324_29
; %bb.28:
	v_lshlrev_b32_e32 v17, 2, v40
	ds_write_b32 v17, v16
.LBB2324_29:
	s_or_b64 exec, exec, s[0:1]
	v_cmp_gt_u32_e32 vcc, 8, v0
	s_waitcnt lgkmcnt(0)
	s_barrier
	s_and_saveexec_b64 s[0:1], vcc
	s_cbranch_execz .LBB2324_31
; %bb.30:
	v_lshlrev_b32_e32 v17, 2, v0
	ds_read_b32 v20, v17
	v_and_b32_e32 v21, 7, v39
	v_cmp_ne_u32_e32 vcc, 0, v21
	s_waitcnt lgkmcnt(0)
	v_mov_b32_dpp v22, v20 row_shr:1 row_mask:0xf bank_mask:0xf
	v_cndmask_b32_e32 v22, 0, v22, vcc
	v_add_u32_e32 v20, v22, v20
	v_cmp_lt_u32_e32 vcc, 1, v21
	s_nop 0
	v_mov_b32_dpp v22, v20 row_shr:2 row_mask:0xf bank_mask:0xf
	v_cndmask_b32_e32 v22, 0, v22, vcc
	v_add_u32_e32 v20, v20, v22
	v_cmp_lt_u32_e32 vcc, 3, v21
	s_nop 0
	v_mov_b32_dpp v22, v20 row_shr:4 row_mask:0xf bank_mask:0xf
	v_cndmask_b32_e32 v21, 0, v22, vcc
	v_add_u32_e32 v20, v20, v21
	ds_write_b32 v17, v20
.LBB2324_31:
	s_or_b64 exec, exec, s[0:1]
	v_cmp_gt_u32_e32 vcc, 64, v0
	v_cmp_lt_u32_e64 s[0:1], 63, v0
	s_waitcnt lgkmcnt(0)
	s_barrier
	s_waitcnt lgkmcnt(0)
                                        ; implicit-def: $vgpr42
	s_and_saveexec_b64 s[16:17], s[0:1]
	s_cbranch_execz .LBB2324_33
; %bb.32:
	v_lshl_add_u32 v17, v40, 2, -4
	ds_read_b32 v42, v17
	s_waitcnt lgkmcnt(0)
	v_add_u32_e32 v16, v42, v16
.LBB2324_33:
	s_or_b64 exec, exec, s[16:17]
	v_add_u32_e32 v17, -1, v39
	v_and_b32_e32 v20, 64, v39
	v_cmp_lt_i32_e64 s[0:1], v17, v20
	v_cmp_eq_u32_e64 s[16:17], 0, v39
	s_nop 0
	v_cndmask_b32_e64 v17, v17, v39, s[0:1]
	v_lshlrev_b32_e32 v17, 2, v17
	ds_bpermute_b32 v43, v17, v16
	s_and_saveexec_b64 s[0:1], vcc
	s_cbranch_execz .LBB2324_52
; %bb.34:
	v_mov_b32_e32 v25, 0
	ds_read_b32 v16, v25 offset:28
	s_and_saveexec_b64 s[26:27], s[16:17]
	s_cbranch_execz .LBB2324_36
; %bb.35:
	s_add_i32 s28, s30, 64
	s_mov_b32 s29, 0
	s_lshl_b64 s[28:29], s[28:29], 3
	s_add_u32 s28, s24, s28
	v_mov_b32_e32 v17, 1
	s_addc_u32 s29, s25, s29
	s_waitcnt lgkmcnt(0)
	global_store_dwordx2 v25, v[16:17], s[28:29] sc1
.LBB2324_36:
	s_or_b64 exec, exec, s[26:27]
	v_xad_u32 v20, v39, -1, s30
	v_add_u32_e32 v24, 64, v20
	v_lshl_add_u64 v[26:27], v[24:25], 3, s[24:25]
	global_load_dwordx2 v[22:23], v[26:27], off sc1
	s_waitcnt vmcnt(0)
	v_cmp_eq_u16_sdwa s[28:29], v23, v25 src0_sel:BYTE_0 src1_sel:DWORD
	s_and_saveexec_b64 s[26:27], s[28:29]
	s_cbranch_execz .LBB2324_40
; %bb.37:
	s_mov_b64 s[28:29], 0
	v_mov_b32_e32 v17, 0
.LBB2324_38:                            ; =>This Inner Loop Header: Depth=1
	global_load_dwordx2 v[22:23], v[26:27], off sc1
	s_waitcnt vmcnt(0)
	v_cmp_ne_u16_sdwa s[34:35], v23, v17 src0_sel:BYTE_0 src1_sel:DWORD
	s_or_b64 s[28:29], s[34:35], s[28:29]
	s_andn2_b64 exec, exec, s[28:29]
	s_cbranch_execnz .LBB2324_38
; %bb.39:
	s_or_b64 exec, exec, s[28:29]
.LBB2324_40:
	s_or_b64 exec, exec, s[26:27]
	v_and_b32_e32 v45, 63, v39
	v_mov_b32_e32 v44, 2
	v_cmp_ne_u32_e32 vcc, 63, v45
	v_cmp_eq_u16_sdwa s[26:27], v23, v44 src0_sel:BYTE_0 src1_sel:DWORD
	v_lshlrev_b64 v[24:25], v39, -1
	v_addc_co_u32_e32 v26, vcc, 0, v39, vcc
	v_and_b32_e32 v17, s27, v25
	v_lshlrev_b32_e32 v46, 2, v26
	v_or_b32_e32 v17, 0x80000000, v17
	ds_bpermute_b32 v26, v46, v22
	v_and_b32_e32 v21, s26, v24
	v_ffbl_b32_e32 v17, v17
	v_add_u32_e32 v17, 32, v17
	v_ffbl_b32_e32 v21, v21
	v_min_u32_e32 v17, v21, v17
	v_cmp_lt_u32_e32 vcc, v45, v17
	v_add_u32_e32 v48, 2, v45
	v_add_u32_e32 v50, 4, v45
	s_waitcnt lgkmcnt(0)
	v_cndmask_b32_e32 v21, 0, v26, vcc
	v_cmp_gt_u32_e32 vcc, 62, v45
	v_add_u32_e32 v21, v21, v22
	v_add_u32_e32 v52, 8, v45
	v_cndmask_b32_e64 v22, 0, 1, vcc
	v_lshlrev_b32_e32 v22, 1, v22
	v_add_lshl_u32 v47, v22, v39, 2
	ds_bpermute_b32 v22, v47, v21
	v_cmp_le_u32_e32 vcc, v48, v17
	v_add_u32_e32 v54, 16, v45
	v_add_u32_e32 v56, 32, v45
	s_waitcnt lgkmcnt(0)
	v_cndmask_b32_e32 v22, 0, v22, vcc
	v_cmp_gt_u32_e32 vcc, 60, v45
	v_add_u32_e32 v21, v21, v22
	s_nop 0
	v_cndmask_b32_e64 v22, 0, 1, vcc
	v_lshlrev_b32_e32 v22, 2, v22
	v_add_lshl_u32 v49, v22, v39, 2
	ds_bpermute_b32 v22, v49, v21
	v_cmp_le_u32_e32 vcc, v50, v17
	s_waitcnt lgkmcnt(0)
	s_nop 0
	v_cndmask_b32_e32 v22, 0, v22, vcc
	v_cmp_gt_u32_e32 vcc, 56, v45
	v_add_u32_e32 v21, v21, v22
	s_nop 0
	v_cndmask_b32_e64 v22, 0, 1, vcc
	v_lshlrev_b32_e32 v22, 3, v22
	v_add_lshl_u32 v51, v22, v39, 2
	ds_bpermute_b32 v22, v51, v21
	v_cmp_le_u32_e32 vcc, v52, v17
	s_waitcnt lgkmcnt(0)
	s_nop 0
	;; [unrolled: 11-line block ×4, first 2 shown]
	v_cndmask_b32_e32 v17, 0, v22, vcc
	v_add_u32_e32 v22, v21, v17
	v_mov_b32_e32 v21, 0
	s_branch .LBB2324_42
.LBB2324_41:                            ;   in Loop: Header=BB2324_42 Depth=1
	s_or_b64 exec, exec, s[26:27]
	v_cmp_eq_u16_sdwa s[26:27], v23, v44 src0_sel:BYTE_0 src1_sel:DWORD
	ds_bpermute_b32 v57, v46, v22
	v_subrev_u32_e32 v20, 64, v20
	v_and_b32_e32 v26, s27, v25
	v_or_b32_e32 v26, 0x80000000, v26
	v_and_b32_e32 v27, s26, v24
	v_ffbl_b32_e32 v26, v26
	v_add_u32_e32 v26, 32, v26
	v_ffbl_b32_e32 v27, v27
	v_min_u32_e32 v26, v27, v26
	v_cmp_lt_u32_e32 vcc, v45, v26
	s_waitcnt lgkmcnt(0)
	s_nop 0
	v_cndmask_b32_e32 v27, 0, v57, vcc
	v_add_u32_e32 v22, v27, v22
	ds_bpermute_b32 v27, v47, v22
	v_cmp_le_u32_e32 vcc, v48, v26
	s_waitcnt lgkmcnt(0)
	s_nop 0
	v_cndmask_b32_e32 v27, 0, v27, vcc
	v_add_u32_e32 v22, v22, v27
	ds_bpermute_b32 v27, v49, v22
	v_cmp_le_u32_e32 vcc, v50, v26
	s_waitcnt lgkmcnt(0)
	s_nop 0
	v_cndmask_b32_e32 v27, 0, v27, vcc
	v_add_u32_e32 v22, v22, v27
	ds_bpermute_b32 v27, v51, v22
	v_cmp_le_u32_e32 vcc, v52, v26
	s_waitcnt lgkmcnt(0)
	s_nop 0
	v_cndmask_b32_e32 v27, 0, v27, vcc
	v_add_u32_e32 v22, v22, v27
	ds_bpermute_b32 v27, v53, v22
	v_cmp_le_u32_e32 vcc, v54, v26
	s_waitcnt lgkmcnt(0)
	s_nop 0
	v_cndmask_b32_e32 v27, 0, v27, vcc
	v_add_u32_e32 v22, v22, v27
	ds_bpermute_b32 v27, v55, v22
	v_cmp_le_u32_e32 vcc, v56, v26
	s_waitcnt lgkmcnt(0)
	s_nop 0
	v_cndmask_b32_e32 v26, 0, v27, vcc
	v_add3_u32 v22, v26, v17, v22
.LBB2324_42:                            ; =>This Loop Header: Depth=1
                                        ;     Child Loop BB2324_45 Depth 2
	v_cmp_ne_u16_sdwa s[26:27], v23, v44 src0_sel:BYTE_0 src1_sel:DWORD
	s_nop 1
	v_cndmask_b32_e64 v17, 0, 1, s[26:27]
	;;#ASMSTART
	;;#ASMEND
	s_nop 0
	v_cmp_ne_u32_e32 vcc, 0, v17
	s_cmp_lg_u64 vcc, exec
	v_mov_b32_e32 v17, v22
	s_cbranch_scc1 .LBB2324_47
; %bb.43:                               ;   in Loop: Header=BB2324_42 Depth=1
	v_lshl_add_u64 v[26:27], v[20:21], 3, s[24:25]
	global_load_dwordx2 v[22:23], v[26:27], off sc1
	s_waitcnt vmcnt(0)
	v_cmp_eq_u16_sdwa s[28:29], v23, v21 src0_sel:BYTE_0 src1_sel:DWORD
	s_and_saveexec_b64 s[26:27], s[28:29]
	s_cbranch_execz .LBB2324_41
; %bb.44:                               ;   in Loop: Header=BB2324_42 Depth=1
	s_mov_b64 s[28:29], 0
.LBB2324_45:                            ;   Parent Loop BB2324_42 Depth=1
                                        ; =>  This Inner Loop Header: Depth=2
	global_load_dwordx2 v[22:23], v[26:27], off sc1
	s_waitcnt vmcnt(0)
	v_cmp_ne_u16_sdwa s[34:35], v23, v21 src0_sel:BYTE_0 src1_sel:DWORD
	s_or_b64 s[28:29], s[34:35], s[28:29]
	s_andn2_b64 exec, exec, s[28:29]
	s_cbranch_execnz .LBB2324_45
; %bb.46:                               ;   in Loop: Header=BB2324_42 Depth=1
	s_or_b64 exec, exec, s[28:29]
	s_branch .LBB2324_41
.LBB2324_47:                            ;   in Loop: Header=BB2324_42 Depth=1
                                        ; implicit-def: $vgpr22
                                        ; implicit-def: $vgpr23
	s_cbranch_execz .LBB2324_42
; %bb.48:
	s_and_saveexec_b64 s[26:27], s[16:17]
	s_cbranch_execz .LBB2324_50
; %bb.49:
	s_add_i32 s28, s30, 64
	s_mov_b32 s29, 0
	s_lshl_b64 s[28:29], s[28:29], 3
	s_add_u32 s28, s24, s28
	v_add_u32_e32 v20, v17, v16
	v_mov_b32_e32 v21, 2
	s_addc_u32 s29, s25, s29
	v_mov_b32_e32 v22, 0
	global_store_dwordx2 v22, v[20:21], s[28:29] sc1
	ds_write_b64 v22, v[16:17] offset:28672
.LBB2324_50:
	s_or_b64 exec, exec, s[26:27]
	s_and_b64 exec, exec, s[18:19]
	s_cbranch_execz .LBB2324_52
; %bb.51:
	v_mov_b32_e32 v16, 0
	ds_write_b32 v16, v17 offset:28
.LBB2324_52:
	s_or_b64 exec, exec, s[0:1]
	v_mov_b32_e32 v16, 0
	s_waitcnt lgkmcnt(0)
	s_barrier
	ds_read_b32 v17, v16 offset:28
	v_cndmask_b32_e64 v20, v43, v42, s[16:17]
	v_cndmask_b32_e64 v20, v20, 0, s[18:19]
	s_waitcnt lgkmcnt(0)
	s_barrier
	v_add_u32_e32 v26, v17, v20
	v_add_u32_e32 v25, v26, v34
	;; [unrolled: 1-line block ×3, first 2 shown]
	ds_read_b64 v[16:17], v16 offset:28672
	v_add_u32_e32 v23, v24, v36
	v_add_u32_e32 v22, v23, v32
	;; [unrolled: 1-line block ×4, first 2 shown]
	s_branch .LBB2324_63
.LBB2324_53:
                                        ; implicit-def: $vgpr17
                                        ; implicit-def: $vgpr20
                                        ; implicit-def: $vgpr21
                                        ; implicit-def: $vgpr22
                                        ; implicit-def: $vgpr23
                                        ; implicit-def: $vgpr24
                                        ; implicit-def: $vgpr25
                                        ; implicit-def: $vgpr26
	s_cbranch_execz .LBB2324_63
; %bb.54:
	s_waitcnt lgkmcnt(0)
	v_mov_b32_dpp v16, v41 row_shr:1 row_mask:0xf bank_mask:0xf
	v_cndmask_b32_e64 v16, v16, 0, s[14:15]
	v_add_u32_e32 v16, v16, v41
	s_nop 1
	v_mov_b32_dpp v17, v16 row_shr:2 row_mask:0xf bank_mask:0xf
	v_cndmask_b32_e64 v17, 0, v17, s[12:13]
	v_add_u32_e32 v16, v16, v17
	s_nop 1
	;; [unrolled: 4-line block ×4, first 2 shown]
	v_mov_b32_dpp v17, v16 row_bcast:15 row_mask:0xf bank_mask:0xf
	v_cndmask_b32_e64 v17, v17, 0, s[6:7]
	v_add_u32_e32 v16, v16, v17
	s_nop 1
	v_mov_b32_dpp v17, v16 row_bcast:31 row_mask:0xf bank_mask:0xf
	v_cndmask_b32_e64 v17, 0, v17, s[2:3]
	v_add_u32_e32 v16, v16, v17
	s_and_saveexec_b64 s[0:1], s[4:5]
	s_cbranch_execz .LBB2324_56
; %bb.55:
	v_lshlrev_b32_e32 v17, 2, v40
	ds_write_b32 v17, v16
.LBB2324_56:
	s_or_b64 exec, exec, s[0:1]
	v_cmp_gt_u32_e32 vcc, 8, v0
	s_waitcnt lgkmcnt(0)
	s_barrier
	s_and_saveexec_b64 s[0:1], vcc
	s_cbranch_execz .LBB2324_58
; %bb.57:
	s_movk_i32 s2, 0xffcc
	v_mad_i32_i24 v17, v0, s2, v33
	ds_read_b32 v20, v17
	v_and_b32_e32 v21, 7, v39
	v_cmp_ne_u32_e32 vcc, 0, v21
	s_waitcnt lgkmcnt(0)
	v_mov_b32_dpp v22, v20 row_shr:1 row_mask:0xf bank_mask:0xf
	v_cndmask_b32_e32 v22, 0, v22, vcc
	v_add_u32_e32 v20, v22, v20
	v_cmp_lt_u32_e32 vcc, 1, v21
	s_nop 0
	v_mov_b32_dpp v22, v20 row_shr:2 row_mask:0xf bank_mask:0xf
	v_cndmask_b32_e32 v22, 0, v22, vcc
	v_add_u32_e32 v20, v20, v22
	v_cmp_lt_u32_e32 vcc, 3, v21
	s_nop 0
	v_mov_b32_dpp v22, v20 row_shr:4 row_mask:0xf bank_mask:0xf
	v_cndmask_b32_e32 v21, 0, v22, vcc
	v_add_u32_e32 v20, v20, v21
	ds_write_b32 v17, v20
.LBB2324_58:
	s_or_b64 exec, exec, s[0:1]
	v_cmp_lt_u32_e32 vcc, 63, v0
	v_mov_b32_e32 v17, 0
	v_mov_b32_e32 v0, 0
	s_waitcnt lgkmcnt(0)
	s_barrier
	s_and_saveexec_b64 s[0:1], vcc
	s_cbranch_execz .LBB2324_60
; %bb.59:
	v_lshl_add_u32 v0, v40, 2, -4
	ds_read_b32 v0, v0
.LBB2324_60:
	s_or_b64 exec, exec, s[0:1]
	v_add_u32_e32 v20, -1, v39
	v_and_b32_e32 v21, 64, v39
	v_cmp_lt_i32_e32 vcc, v20, v21
	s_waitcnt lgkmcnt(0)
	v_add_u32_e32 v16, v0, v16
	v_cndmask_b32_e32 v20, v20, v39, vcc
	v_lshlrev_b32_e32 v20, 2, v20
	ds_bpermute_b32 v20, v20, v16
	ds_read_b32 v16, v17 offset:28
	s_and_saveexec_b64 s[0:1], s[18:19]
	s_cbranch_execz .LBB2324_62
; %bb.61:
	v_mov_b32_e32 v21, 0
	v_mov_b32_e32 v17, 2
	s_waitcnt lgkmcnt(0)
	global_store_dwordx2 v21, v[16:17], s[24:25] offset:512 sc1
.LBB2324_62:
	s_or_b64 exec, exec, s[0:1]
	v_cmp_eq_u32_e32 vcc, 0, v39
	v_mov_b32_e32 v17, 0
	s_waitcnt lgkmcnt(0)
	v_cndmask_b32_e32 v0, v20, v0, vcc
	v_cndmask_b32_e64 v26, v0, 0, s[18:19]
	v_add_u32_e32 v25, v26, v34
	v_add_u32_e32 v24, v25, v35
	;; [unrolled: 1-line block ×6, first 2 shown]
	s_barrier
.LBB2324_63:
	s_waitcnt lgkmcnt(0)
	v_add_u32_e32 v1, v16, v1
	v_sub_u32_e32 v26, v26, v17
	v_and_b32_e32 v33, 1, v31
	v_sub_u32_e32 v27, v1, v26
	v_cmp_eq_u32_e32 vcc, 1, v33
	v_lshrrev_b32_e32 v0, 8, v31
	v_and_b32_e32 v0, 1, v0
	v_cndmask_b32_e32 v26, v27, v26, vcc
	v_lshlrev_b32_e32 v26, 3, v26
	ds_write_b64 v26, v[10:11]
	v_sub_u32_e32 v10, v25, v17
	v_sub_u32_e32 v11, v1, v10
	v_add_u32_e32 v11, 1, v11
	v_cmp_eq_u32_e32 vcc, 1, v0
	s_and_b64 s[0:1], s[18:19], s[22:23]
	s_nop 0
	v_cndmask_b32_e32 v0, v11, v10, vcc
	v_lshlrev_b32_e32 v0, 3, v0
	ds_write_b64 v0, v[12:13]
	v_sub_u32_e32 v0, v24, v17
	v_mov_b32_e32 v11, 1
	v_sub_u32_e32 v10, v1, v0
	v_and_b32_sdwa v11, v11, v31 dst_sel:DWORD dst_unused:UNUSED_PAD src0_sel:DWORD src1_sel:WORD_1
	v_add_u32_e32 v10, 2, v10
	v_cmp_eq_u32_e32 vcc, 1, v11
	s_nop 1
	v_cndmask_b32_e32 v0, v10, v0, vcc
	v_lshlrev_b32_e32 v0, 3, v0
	ds_write_b64 v0, v[6:7]
	v_sub_u32_e32 v0, v23, v17
	v_sub_u32_e32 v6, v1, v0
	v_and_b32_e32 v7, 1, v32
	v_add_u32_e32 v6, 3, v6
	v_cmp_eq_u32_e32 vcc, 1, v7
	v_and_b32_e32 v7, 1, v30
	s_nop 0
	v_cndmask_b32_e32 v0, v6, v0, vcc
	v_lshlrev_b32_e32 v0, 3, v0
	ds_write_b64 v0, v[8:9]
	v_sub_u32_e32 v0, v22, v17
	v_sub_u32_e32 v6, v1, v0
	v_add_u32_e32 v6, 4, v6
	v_cmp_eq_u32_e32 vcc, 1, v7
	s_nop 1
	v_cndmask_b32_e32 v0, v6, v0, vcc
	v_lshlrev_b32_e32 v0, 3, v0
	ds_write_b64 v0, v[2:3]
	v_sub_u32_e32 v0, v21, v17
	v_sub_u32_e32 v2, v1, v0
	v_and_b32_e32 v3, 1, v29
	v_add_u32_e32 v2, 5, v2
	v_cmp_eq_u32_e32 vcc, 1, v3
	s_nop 1
	v_cndmask_b32_e32 v0, v2, v0, vcc
	v_lshlrev_b32_e32 v0, 3, v0
	ds_write_b64 v0, v[4:5]
	v_sub_u32_e32 v0, v20, v17
	v_sub_u32_e32 v1, v1, v0
	v_and_b32_e32 v2, 1, v28
	v_add_u32_e32 v1, 6, v1
	v_cmp_eq_u32_e32 vcc, 1, v2
	s_nop 1
	v_cndmask_b32_e32 v0, v1, v0, vcc
	v_lshlrev_b32_e32 v0, 3, v0
	ds_write_b64 v0, v[14:15]
	s_waitcnt lgkmcnt(0)
	s_barrier
	s_and_saveexec_b64 s[2:3], s[0:1]
	s_cbranch_execz .LBB2324_65
; %bb.64:
	v_mov_b32_e32 v1, 0
	v_mov_b32_e32 v0, v16
	s_waitcnt vmcnt(0)
	v_lshl_add_u64 v[2:3], v[18:19], 0, v[0:1]
	v_mov_b32_e32 v0, v17
	v_lshl_add_u64 v[2:3], v[2:3], 0, v[0:1]
	global_store_dwordx2 v1, v[2:3], s[20:21]
.LBB2324_65:
	s_endpgm
	.section	.rodata,"a",@progbits
	.p2align	6, 0x0
	.amdhsa_kernel _ZN7rocprim17ROCPRIM_400000_NS6detail17trampoline_kernelINS0_14default_configENS1_25partition_config_selectorILNS1_17partition_subalgoE0EyNS0_10empty_typeEbEEZZNS1_14partition_implILS5_0ELb0ES3_jN6thrust23THRUST_200600_302600_NS6detail15normal_iteratorINSA_10device_ptrIyEEEEPS6_SG_NS0_5tupleIJNSA_16discard_iteratorINSA_11use_defaultEEESK_EEENSH_IJSG_SG_EEES6_PlJ7is_evenIyEEEE10hipError_tPvRmT3_T4_T5_T6_T7_T9_mT8_P12ihipStream_tbDpT10_ENKUlT_T0_E_clISt17integral_constantIbLb0EES18_IbLb1EEEEDaS14_S15_EUlS14_E_NS1_11comp_targetILNS1_3genE5ELNS1_11target_archE942ELNS1_3gpuE9ELNS1_3repE0EEENS1_30default_config_static_selectorELNS0_4arch9wavefront6targetE1EEEvT1_
		.amdhsa_group_segment_fixed_size 28680
		.amdhsa_private_segment_fixed_size 0
		.amdhsa_kernarg_size 152
		.amdhsa_user_sgpr_count 2
		.amdhsa_user_sgpr_dispatch_ptr 0
		.amdhsa_user_sgpr_queue_ptr 0
		.amdhsa_user_sgpr_kernarg_segment_ptr 1
		.amdhsa_user_sgpr_dispatch_id 0
		.amdhsa_user_sgpr_kernarg_preload_length 0
		.amdhsa_user_sgpr_kernarg_preload_offset 0
		.amdhsa_user_sgpr_private_segment_size 0
		.amdhsa_uses_dynamic_stack 0
		.amdhsa_enable_private_segment 0
		.amdhsa_system_sgpr_workgroup_id_x 1
		.amdhsa_system_sgpr_workgroup_id_y 0
		.amdhsa_system_sgpr_workgroup_id_z 0
		.amdhsa_system_sgpr_workgroup_info 0
		.amdhsa_system_vgpr_workitem_id 0
		.amdhsa_next_free_vgpr 58
		.amdhsa_next_free_sgpr 36
		.amdhsa_accum_offset 60
		.amdhsa_reserve_vcc 1
		.amdhsa_float_round_mode_32 0
		.amdhsa_float_round_mode_16_64 0
		.amdhsa_float_denorm_mode_32 3
		.amdhsa_float_denorm_mode_16_64 3
		.amdhsa_dx10_clamp 1
		.amdhsa_ieee_mode 1
		.amdhsa_fp16_overflow 0
		.amdhsa_tg_split 0
		.amdhsa_exception_fp_ieee_invalid_op 0
		.amdhsa_exception_fp_denorm_src 0
		.amdhsa_exception_fp_ieee_div_zero 0
		.amdhsa_exception_fp_ieee_overflow 0
		.amdhsa_exception_fp_ieee_underflow 0
		.amdhsa_exception_fp_ieee_inexact 0
		.amdhsa_exception_int_div_zero 0
	.end_amdhsa_kernel
	.section	.text._ZN7rocprim17ROCPRIM_400000_NS6detail17trampoline_kernelINS0_14default_configENS1_25partition_config_selectorILNS1_17partition_subalgoE0EyNS0_10empty_typeEbEEZZNS1_14partition_implILS5_0ELb0ES3_jN6thrust23THRUST_200600_302600_NS6detail15normal_iteratorINSA_10device_ptrIyEEEEPS6_SG_NS0_5tupleIJNSA_16discard_iteratorINSA_11use_defaultEEESK_EEENSH_IJSG_SG_EEES6_PlJ7is_evenIyEEEE10hipError_tPvRmT3_T4_T5_T6_T7_T9_mT8_P12ihipStream_tbDpT10_ENKUlT_T0_E_clISt17integral_constantIbLb0EES18_IbLb1EEEEDaS14_S15_EUlS14_E_NS1_11comp_targetILNS1_3genE5ELNS1_11target_archE942ELNS1_3gpuE9ELNS1_3repE0EEENS1_30default_config_static_selectorELNS0_4arch9wavefront6targetE1EEEvT1_,"axG",@progbits,_ZN7rocprim17ROCPRIM_400000_NS6detail17trampoline_kernelINS0_14default_configENS1_25partition_config_selectorILNS1_17partition_subalgoE0EyNS0_10empty_typeEbEEZZNS1_14partition_implILS5_0ELb0ES3_jN6thrust23THRUST_200600_302600_NS6detail15normal_iteratorINSA_10device_ptrIyEEEEPS6_SG_NS0_5tupleIJNSA_16discard_iteratorINSA_11use_defaultEEESK_EEENSH_IJSG_SG_EEES6_PlJ7is_evenIyEEEE10hipError_tPvRmT3_T4_T5_T6_T7_T9_mT8_P12ihipStream_tbDpT10_ENKUlT_T0_E_clISt17integral_constantIbLb0EES18_IbLb1EEEEDaS14_S15_EUlS14_E_NS1_11comp_targetILNS1_3genE5ELNS1_11target_archE942ELNS1_3gpuE9ELNS1_3repE0EEENS1_30default_config_static_selectorELNS0_4arch9wavefront6targetE1EEEvT1_,comdat
.Lfunc_end2324:
	.size	_ZN7rocprim17ROCPRIM_400000_NS6detail17trampoline_kernelINS0_14default_configENS1_25partition_config_selectorILNS1_17partition_subalgoE0EyNS0_10empty_typeEbEEZZNS1_14partition_implILS5_0ELb0ES3_jN6thrust23THRUST_200600_302600_NS6detail15normal_iteratorINSA_10device_ptrIyEEEEPS6_SG_NS0_5tupleIJNSA_16discard_iteratorINSA_11use_defaultEEESK_EEENSH_IJSG_SG_EEES6_PlJ7is_evenIyEEEE10hipError_tPvRmT3_T4_T5_T6_T7_T9_mT8_P12ihipStream_tbDpT10_ENKUlT_T0_E_clISt17integral_constantIbLb0EES18_IbLb1EEEEDaS14_S15_EUlS14_E_NS1_11comp_targetILNS1_3genE5ELNS1_11target_archE942ELNS1_3gpuE9ELNS1_3repE0EEENS1_30default_config_static_selectorELNS0_4arch9wavefront6targetE1EEEvT1_, .Lfunc_end2324-_ZN7rocprim17ROCPRIM_400000_NS6detail17trampoline_kernelINS0_14default_configENS1_25partition_config_selectorILNS1_17partition_subalgoE0EyNS0_10empty_typeEbEEZZNS1_14partition_implILS5_0ELb0ES3_jN6thrust23THRUST_200600_302600_NS6detail15normal_iteratorINSA_10device_ptrIyEEEEPS6_SG_NS0_5tupleIJNSA_16discard_iteratorINSA_11use_defaultEEESK_EEENSH_IJSG_SG_EEES6_PlJ7is_evenIyEEEE10hipError_tPvRmT3_T4_T5_T6_T7_T9_mT8_P12ihipStream_tbDpT10_ENKUlT_T0_E_clISt17integral_constantIbLb0EES18_IbLb1EEEEDaS14_S15_EUlS14_E_NS1_11comp_targetILNS1_3genE5ELNS1_11target_archE942ELNS1_3gpuE9ELNS1_3repE0EEENS1_30default_config_static_selectorELNS0_4arch9wavefront6targetE1EEEvT1_
                                        ; -- End function
	.section	.AMDGPU.csdata,"",@progbits
; Kernel info:
; codeLenInByte = 3708
; NumSgprs: 42
; NumVgprs: 58
; NumAgprs: 0
; TotalNumVgprs: 58
; ScratchSize: 0
; MemoryBound: 0
; FloatMode: 240
; IeeeMode: 1
; LDSByteSize: 28680 bytes/workgroup (compile time only)
; SGPRBlocks: 5
; VGPRBlocks: 7
; NumSGPRsForWavesPerEU: 42
; NumVGPRsForWavesPerEU: 58
; AccumOffset: 60
; Occupancy: 4
; WaveLimiterHint : 1
; COMPUTE_PGM_RSRC2:SCRATCH_EN: 0
; COMPUTE_PGM_RSRC2:USER_SGPR: 2
; COMPUTE_PGM_RSRC2:TRAP_HANDLER: 0
; COMPUTE_PGM_RSRC2:TGID_X_EN: 1
; COMPUTE_PGM_RSRC2:TGID_Y_EN: 0
; COMPUTE_PGM_RSRC2:TGID_Z_EN: 0
; COMPUTE_PGM_RSRC2:TIDIG_COMP_CNT: 0
; COMPUTE_PGM_RSRC3_GFX90A:ACCUM_OFFSET: 14
; COMPUTE_PGM_RSRC3_GFX90A:TG_SPLIT: 0
	.section	.text._ZN7rocprim17ROCPRIM_400000_NS6detail17trampoline_kernelINS0_14default_configENS1_25partition_config_selectorILNS1_17partition_subalgoE0EyNS0_10empty_typeEbEEZZNS1_14partition_implILS5_0ELb0ES3_jN6thrust23THRUST_200600_302600_NS6detail15normal_iteratorINSA_10device_ptrIyEEEEPS6_SG_NS0_5tupleIJNSA_16discard_iteratorINSA_11use_defaultEEESK_EEENSH_IJSG_SG_EEES6_PlJ7is_evenIyEEEE10hipError_tPvRmT3_T4_T5_T6_T7_T9_mT8_P12ihipStream_tbDpT10_ENKUlT_T0_E_clISt17integral_constantIbLb0EES18_IbLb1EEEEDaS14_S15_EUlS14_E_NS1_11comp_targetILNS1_3genE4ELNS1_11target_archE910ELNS1_3gpuE8ELNS1_3repE0EEENS1_30default_config_static_selectorELNS0_4arch9wavefront6targetE1EEEvT1_,"axG",@progbits,_ZN7rocprim17ROCPRIM_400000_NS6detail17trampoline_kernelINS0_14default_configENS1_25partition_config_selectorILNS1_17partition_subalgoE0EyNS0_10empty_typeEbEEZZNS1_14partition_implILS5_0ELb0ES3_jN6thrust23THRUST_200600_302600_NS6detail15normal_iteratorINSA_10device_ptrIyEEEEPS6_SG_NS0_5tupleIJNSA_16discard_iteratorINSA_11use_defaultEEESK_EEENSH_IJSG_SG_EEES6_PlJ7is_evenIyEEEE10hipError_tPvRmT3_T4_T5_T6_T7_T9_mT8_P12ihipStream_tbDpT10_ENKUlT_T0_E_clISt17integral_constantIbLb0EES18_IbLb1EEEEDaS14_S15_EUlS14_E_NS1_11comp_targetILNS1_3genE4ELNS1_11target_archE910ELNS1_3gpuE8ELNS1_3repE0EEENS1_30default_config_static_selectorELNS0_4arch9wavefront6targetE1EEEvT1_,comdat
	.protected	_ZN7rocprim17ROCPRIM_400000_NS6detail17trampoline_kernelINS0_14default_configENS1_25partition_config_selectorILNS1_17partition_subalgoE0EyNS0_10empty_typeEbEEZZNS1_14partition_implILS5_0ELb0ES3_jN6thrust23THRUST_200600_302600_NS6detail15normal_iteratorINSA_10device_ptrIyEEEEPS6_SG_NS0_5tupleIJNSA_16discard_iteratorINSA_11use_defaultEEESK_EEENSH_IJSG_SG_EEES6_PlJ7is_evenIyEEEE10hipError_tPvRmT3_T4_T5_T6_T7_T9_mT8_P12ihipStream_tbDpT10_ENKUlT_T0_E_clISt17integral_constantIbLb0EES18_IbLb1EEEEDaS14_S15_EUlS14_E_NS1_11comp_targetILNS1_3genE4ELNS1_11target_archE910ELNS1_3gpuE8ELNS1_3repE0EEENS1_30default_config_static_selectorELNS0_4arch9wavefront6targetE1EEEvT1_ ; -- Begin function _ZN7rocprim17ROCPRIM_400000_NS6detail17trampoline_kernelINS0_14default_configENS1_25partition_config_selectorILNS1_17partition_subalgoE0EyNS0_10empty_typeEbEEZZNS1_14partition_implILS5_0ELb0ES3_jN6thrust23THRUST_200600_302600_NS6detail15normal_iteratorINSA_10device_ptrIyEEEEPS6_SG_NS0_5tupleIJNSA_16discard_iteratorINSA_11use_defaultEEESK_EEENSH_IJSG_SG_EEES6_PlJ7is_evenIyEEEE10hipError_tPvRmT3_T4_T5_T6_T7_T9_mT8_P12ihipStream_tbDpT10_ENKUlT_T0_E_clISt17integral_constantIbLb0EES18_IbLb1EEEEDaS14_S15_EUlS14_E_NS1_11comp_targetILNS1_3genE4ELNS1_11target_archE910ELNS1_3gpuE8ELNS1_3repE0EEENS1_30default_config_static_selectorELNS0_4arch9wavefront6targetE1EEEvT1_
	.globl	_ZN7rocprim17ROCPRIM_400000_NS6detail17trampoline_kernelINS0_14default_configENS1_25partition_config_selectorILNS1_17partition_subalgoE0EyNS0_10empty_typeEbEEZZNS1_14partition_implILS5_0ELb0ES3_jN6thrust23THRUST_200600_302600_NS6detail15normal_iteratorINSA_10device_ptrIyEEEEPS6_SG_NS0_5tupleIJNSA_16discard_iteratorINSA_11use_defaultEEESK_EEENSH_IJSG_SG_EEES6_PlJ7is_evenIyEEEE10hipError_tPvRmT3_T4_T5_T6_T7_T9_mT8_P12ihipStream_tbDpT10_ENKUlT_T0_E_clISt17integral_constantIbLb0EES18_IbLb1EEEEDaS14_S15_EUlS14_E_NS1_11comp_targetILNS1_3genE4ELNS1_11target_archE910ELNS1_3gpuE8ELNS1_3repE0EEENS1_30default_config_static_selectorELNS0_4arch9wavefront6targetE1EEEvT1_
	.p2align	8
	.type	_ZN7rocprim17ROCPRIM_400000_NS6detail17trampoline_kernelINS0_14default_configENS1_25partition_config_selectorILNS1_17partition_subalgoE0EyNS0_10empty_typeEbEEZZNS1_14partition_implILS5_0ELb0ES3_jN6thrust23THRUST_200600_302600_NS6detail15normal_iteratorINSA_10device_ptrIyEEEEPS6_SG_NS0_5tupleIJNSA_16discard_iteratorINSA_11use_defaultEEESK_EEENSH_IJSG_SG_EEES6_PlJ7is_evenIyEEEE10hipError_tPvRmT3_T4_T5_T6_T7_T9_mT8_P12ihipStream_tbDpT10_ENKUlT_T0_E_clISt17integral_constantIbLb0EES18_IbLb1EEEEDaS14_S15_EUlS14_E_NS1_11comp_targetILNS1_3genE4ELNS1_11target_archE910ELNS1_3gpuE8ELNS1_3repE0EEENS1_30default_config_static_selectorELNS0_4arch9wavefront6targetE1EEEvT1_,@function
_ZN7rocprim17ROCPRIM_400000_NS6detail17trampoline_kernelINS0_14default_configENS1_25partition_config_selectorILNS1_17partition_subalgoE0EyNS0_10empty_typeEbEEZZNS1_14partition_implILS5_0ELb0ES3_jN6thrust23THRUST_200600_302600_NS6detail15normal_iteratorINSA_10device_ptrIyEEEEPS6_SG_NS0_5tupleIJNSA_16discard_iteratorINSA_11use_defaultEEESK_EEENSH_IJSG_SG_EEES6_PlJ7is_evenIyEEEE10hipError_tPvRmT3_T4_T5_T6_T7_T9_mT8_P12ihipStream_tbDpT10_ENKUlT_T0_E_clISt17integral_constantIbLb0EES18_IbLb1EEEEDaS14_S15_EUlS14_E_NS1_11comp_targetILNS1_3genE4ELNS1_11target_archE910ELNS1_3gpuE8ELNS1_3repE0EEENS1_30default_config_static_selectorELNS0_4arch9wavefront6targetE1EEEvT1_: ; @_ZN7rocprim17ROCPRIM_400000_NS6detail17trampoline_kernelINS0_14default_configENS1_25partition_config_selectorILNS1_17partition_subalgoE0EyNS0_10empty_typeEbEEZZNS1_14partition_implILS5_0ELb0ES3_jN6thrust23THRUST_200600_302600_NS6detail15normal_iteratorINSA_10device_ptrIyEEEEPS6_SG_NS0_5tupleIJNSA_16discard_iteratorINSA_11use_defaultEEESK_EEENSH_IJSG_SG_EEES6_PlJ7is_evenIyEEEE10hipError_tPvRmT3_T4_T5_T6_T7_T9_mT8_P12ihipStream_tbDpT10_ENKUlT_T0_E_clISt17integral_constantIbLb0EES18_IbLb1EEEEDaS14_S15_EUlS14_E_NS1_11comp_targetILNS1_3genE4ELNS1_11target_archE910ELNS1_3gpuE8ELNS1_3repE0EEENS1_30default_config_static_selectorELNS0_4arch9wavefront6targetE1EEEvT1_
; %bb.0:
	.section	.rodata,"a",@progbits
	.p2align	6, 0x0
	.amdhsa_kernel _ZN7rocprim17ROCPRIM_400000_NS6detail17trampoline_kernelINS0_14default_configENS1_25partition_config_selectorILNS1_17partition_subalgoE0EyNS0_10empty_typeEbEEZZNS1_14partition_implILS5_0ELb0ES3_jN6thrust23THRUST_200600_302600_NS6detail15normal_iteratorINSA_10device_ptrIyEEEEPS6_SG_NS0_5tupleIJNSA_16discard_iteratorINSA_11use_defaultEEESK_EEENSH_IJSG_SG_EEES6_PlJ7is_evenIyEEEE10hipError_tPvRmT3_T4_T5_T6_T7_T9_mT8_P12ihipStream_tbDpT10_ENKUlT_T0_E_clISt17integral_constantIbLb0EES18_IbLb1EEEEDaS14_S15_EUlS14_E_NS1_11comp_targetILNS1_3genE4ELNS1_11target_archE910ELNS1_3gpuE8ELNS1_3repE0EEENS1_30default_config_static_selectorELNS0_4arch9wavefront6targetE1EEEvT1_
		.amdhsa_group_segment_fixed_size 0
		.amdhsa_private_segment_fixed_size 0
		.amdhsa_kernarg_size 152
		.amdhsa_user_sgpr_count 2
		.amdhsa_user_sgpr_dispatch_ptr 0
		.amdhsa_user_sgpr_queue_ptr 0
		.amdhsa_user_sgpr_kernarg_segment_ptr 1
		.amdhsa_user_sgpr_dispatch_id 0
		.amdhsa_user_sgpr_kernarg_preload_length 0
		.amdhsa_user_sgpr_kernarg_preload_offset 0
		.amdhsa_user_sgpr_private_segment_size 0
		.amdhsa_uses_dynamic_stack 0
		.amdhsa_enable_private_segment 0
		.amdhsa_system_sgpr_workgroup_id_x 1
		.amdhsa_system_sgpr_workgroup_id_y 0
		.amdhsa_system_sgpr_workgroup_id_z 0
		.amdhsa_system_sgpr_workgroup_info 0
		.amdhsa_system_vgpr_workitem_id 0
		.amdhsa_next_free_vgpr 1
		.amdhsa_next_free_sgpr 0
		.amdhsa_accum_offset 4
		.amdhsa_reserve_vcc 0
		.amdhsa_float_round_mode_32 0
		.amdhsa_float_round_mode_16_64 0
		.amdhsa_float_denorm_mode_32 3
		.amdhsa_float_denorm_mode_16_64 3
		.amdhsa_dx10_clamp 1
		.amdhsa_ieee_mode 1
		.amdhsa_fp16_overflow 0
		.amdhsa_tg_split 0
		.amdhsa_exception_fp_ieee_invalid_op 0
		.amdhsa_exception_fp_denorm_src 0
		.amdhsa_exception_fp_ieee_div_zero 0
		.amdhsa_exception_fp_ieee_overflow 0
		.amdhsa_exception_fp_ieee_underflow 0
		.amdhsa_exception_fp_ieee_inexact 0
		.amdhsa_exception_int_div_zero 0
	.end_amdhsa_kernel
	.section	.text._ZN7rocprim17ROCPRIM_400000_NS6detail17trampoline_kernelINS0_14default_configENS1_25partition_config_selectorILNS1_17partition_subalgoE0EyNS0_10empty_typeEbEEZZNS1_14partition_implILS5_0ELb0ES3_jN6thrust23THRUST_200600_302600_NS6detail15normal_iteratorINSA_10device_ptrIyEEEEPS6_SG_NS0_5tupleIJNSA_16discard_iteratorINSA_11use_defaultEEESK_EEENSH_IJSG_SG_EEES6_PlJ7is_evenIyEEEE10hipError_tPvRmT3_T4_T5_T6_T7_T9_mT8_P12ihipStream_tbDpT10_ENKUlT_T0_E_clISt17integral_constantIbLb0EES18_IbLb1EEEEDaS14_S15_EUlS14_E_NS1_11comp_targetILNS1_3genE4ELNS1_11target_archE910ELNS1_3gpuE8ELNS1_3repE0EEENS1_30default_config_static_selectorELNS0_4arch9wavefront6targetE1EEEvT1_,"axG",@progbits,_ZN7rocprim17ROCPRIM_400000_NS6detail17trampoline_kernelINS0_14default_configENS1_25partition_config_selectorILNS1_17partition_subalgoE0EyNS0_10empty_typeEbEEZZNS1_14partition_implILS5_0ELb0ES3_jN6thrust23THRUST_200600_302600_NS6detail15normal_iteratorINSA_10device_ptrIyEEEEPS6_SG_NS0_5tupleIJNSA_16discard_iteratorINSA_11use_defaultEEESK_EEENSH_IJSG_SG_EEES6_PlJ7is_evenIyEEEE10hipError_tPvRmT3_T4_T5_T6_T7_T9_mT8_P12ihipStream_tbDpT10_ENKUlT_T0_E_clISt17integral_constantIbLb0EES18_IbLb1EEEEDaS14_S15_EUlS14_E_NS1_11comp_targetILNS1_3genE4ELNS1_11target_archE910ELNS1_3gpuE8ELNS1_3repE0EEENS1_30default_config_static_selectorELNS0_4arch9wavefront6targetE1EEEvT1_,comdat
.Lfunc_end2325:
	.size	_ZN7rocprim17ROCPRIM_400000_NS6detail17trampoline_kernelINS0_14default_configENS1_25partition_config_selectorILNS1_17partition_subalgoE0EyNS0_10empty_typeEbEEZZNS1_14partition_implILS5_0ELb0ES3_jN6thrust23THRUST_200600_302600_NS6detail15normal_iteratorINSA_10device_ptrIyEEEEPS6_SG_NS0_5tupleIJNSA_16discard_iteratorINSA_11use_defaultEEESK_EEENSH_IJSG_SG_EEES6_PlJ7is_evenIyEEEE10hipError_tPvRmT3_T4_T5_T6_T7_T9_mT8_P12ihipStream_tbDpT10_ENKUlT_T0_E_clISt17integral_constantIbLb0EES18_IbLb1EEEEDaS14_S15_EUlS14_E_NS1_11comp_targetILNS1_3genE4ELNS1_11target_archE910ELNS1_3gpuE8ELNS1_3repE0EEENS1_30default_config_static_selectorELNS0_4arch9wavefront6targetE1EEEvT1_, .Lfunc_end2325-_ZN7rocprim17ROCPRIM_400000_NS6detail17trampoline_kernelINS0_14default_configENS1_25partition_config_selectorILNS1_17partition_subalgoE0EyNS0_10empty_typeEbEEZZNS1_14partition_implILS5_0ELb0ES3_jN6thrust23THRUST_200600_302600_NS6detail15normal_iteratorINSA_10device_ptrIyEEEEPS6_SG_NS0_5tupleIJNSA_16discard_iteratorINSA_11use_defaultEEESK_EEENSH_IJSG_SG_EEES6_PlJ7is_evenIyEEEE10hipError_tPvRmT3_T4_T5_T6_T7_T9_mT8_P12ihipStream_tbDpT10_ENKUlT_T0_E_clISt17integral_constantIbLb0EES18_IbLb1EEEEDaS14_S15_EUlS14_E_NS1_11comp_targetILNS1_3genE4ELNS1_11target_archE910ELNS1_3gpuE8ELNS1_3repE0EEENS1_30default_config_static_selectorELNS0_4arch9wavefront6targetE1EEEvT1_
                                        ; -- End function
	.section	.AMDGPU.csdata,"",@progbits
; Kernel info:
; codeLenInByte = 0
; NumSgprs: 6
; NumVgprs: 0
; NumAgprs: 0
; TotalNumVgprs: 0
; ScratchSize: 0
; MemoryBound: 0
; FloatMode: 240
; IeeeMode: 1
; LDSByteSize: 0 bytes/workgroup (compile time only)
; SGPRBlocks: 0
; VGPRBlocks: 0
; NumSGPRsForWavesPerEU: 6
; NumVGPRsForWavesPerEU: 1
; AccumOffset: 4
; Occupancy: 8
; WaveLimiterHint : 0
; COMPUTE_PGM_RSRC2:SCRATCH_EN: 0
; COMPUTE_PGM_RSRC2:USER_SGPR: 2
; COMPUTE_PGM_RSRC2:TRAP_HANDLER: 0
; COMPUTE_PGM_RSRC2:TGID_X_EN: 1
; COMPUTE_PGM_RSRC2:TGID_Y_EN: 0
; COMPUTE_PGM_RSRC2:TGID_Z_EN: 0
; COMPUTE_PGM_RSRC2:TIDIG_COMP_CNT: 0
; COMPUTE_PGM_RSRC3_GFX90A:ACCUM_OFFSET: 0
; COMPUTE_PGM_RSRC3_GFX90A:TG_SPLIT: 0
	.section	.text._ZN7rocprim17ROCPRIM_400000_NS6detail17trampoline_kernelINS0_14default_configENS1_25partition_config_selectorILNS1_17partition_subalgoE0EyNS0_10empty_typeEbEEZZNS1_14partition_implILS5_0ELb0ES3_jN6thrust23THRUST_200600_302600_NS6detail15normal_iteratorINSA_10device_ptrIyEEEEPS6_SG_NS0_5tupleIJNSA_16discard_iteratorINSA_11use_defaultEEESK_EEENSH_IJSG_SG_EEES6_PlJ7is_evenIyEEEE10hipError_tPvRmT3_T4_T5_T6_T7_T9_mT8_P12ihipStream_tbDpT10_ENKUlT_T0_E_clISt17integral_constantIbLb0EES18_IbLb1EEEEDaS14_S15_EUlS14_E_NS1_11comp_targetILNS1_3genE3ELNS1_11target_archE908ELNS1_3gpuE7ELNS1_3repE0EEENS1_30default_config_static_selectorELNS0_4arch9wavefront6targetE1EEEvT1_,"axG",@progbits,_ZN7rocprim17ROCPRIM_400000_NS6detail17trampoline_kernelINS0_14default_configENS1_25partition_config_selectorILNS1_17partition_subalgoE0EyNS0_10empty_typeEbEEZZNS1_14partition_implILS5_0ELb0ES3_jN6thrust23THRUST_200600_302600_NS6detail15normal_iteratorINSA_10device_ptrIyEEEEPS6_SG_NS0_5tupleIJNSA_16discard_iteratorINSA_11use_defaultEEESK_EEENSH_IJSG_SG_EEES6_PlJ7is_evenIyEEEE10hipError_tPvRmT3_T4_T5_T6_T7_T9_mT8_P12ihipStream_tbDpT10_ENKUlT_T0_E_clISt17integral_constantIbLb0EES18_IbLb1EEEEDaS14_S15_EUlS14_E_NS1_11comp_targetILNS1_3genE3ELNS1_11target_archE908ELNS1_3gpuE7ELNS1_3repE0EEENS1_30default_config_static_selectorELNS0_4arch9wavefront6targetE1EEEvT1_,comdat
	.protected	_ZN7rocprim17ROCPRIM_400000_NS6detail17trampoline_kernelINS0_14default_configENS1_25partition_config_selectorILNS1_17partition_subalgoE0EyNS0_10empty_typeEbEEZZNS1_14partition_implILS5_0ELb0ES3_jN6thrust23THRUST_200600_302600_NS6detail15normal_iteratorINSA_10device_ptrIyEEEEPS6_SG_NS0_5tupleIJNSA_16discard_iteratorINSA_11use_defaultEEESK_EEENSH_IJSG_SG_EEES6_PlJ7is_evenIyEEEE10hipError_tPvRmT3_T4_T5_T6_T7_T9_mT8_P12ihipStream_tbDpT10_ENKUlT_T0_E_clISt17integral_constantIbLb0EES18_IbLb1EEEEDaS14_S15_EUlS14_E_NS1_11comp_targetILNS1_3genE3ELNS1_11target_archE908ELNS1_3gpuE7ELNS1_3repE0EEENS1_30default_config_static_selectorELNS0_4arch9wavefront6targetE1EEEvT1_ ; -- Begin function _ZN7rocprim17ROCPRIM_400000_NS6detail17trampoline_kernelINS0_14default_configENS1_25partition_config_selectorILNS1_17partition_subalgoE0EyNS0_10empty_typeEbEEZZNS1_14partition_implILS5_0ELb0ES3_jN6thrust23THRUST_200600_302600_NS6detail15normal_iteratorINSA_10device_ptrIyEEEEPS6_SG_NS0_5tupleIJNSA_16discard_iteratorINSA_11use_defaultEEESK_EEENSH_IJSG_SG_EEES6_PlJ7is_evenIyEEEE10hipError_tPvRmT3_T4_T5_T6_T7_T9_mT8_P12ihipStream_tbDpT10_ENKUlT_T0_E_clISt17integral_constantIbLb0EES18_IbLb1EEEEDaS14_S15_EUlS14_E_NS1_11comp_targetILNS1_3genE3ELNS1_11target_archE908ELNS1_3gpuE7ELNS1_3repE0EEENS1_30default_config_static_selectorELNS0_4arch9wavefront6targetE1EEEvT1_
	.globl	_ZN7rocprim17ROCPRIM_400000_NS6detail17trampoline_kernelINS0_14default_configENS1_25partition_config_selectorILNS1_17partition_subalgoE0EyNS0_10empty_typeEbEEZZNS1_14partition_implILS5_0ELb0ES3_jN6thrust23THRUST_200600_302600_NS6detail15normal_iteratorINSA_10device_ptrIyEEEEPS6_SG_NS0_5tupleIJNSA_16discard_iteratorINSA_11use_defaultEEESK_EEENSH_IJSG_SG_EEES6_PlJ7is_evenIyEEEE10hipError_tPvRmT3_T4_T5_T6_T7_T9_mT8_P12ihipStream_tbDpT10_ENKUlT_T0_E_clISt17integral_constantIbLb0EES18_IbLb1EEEEDaS14_S15_EUlS14_E_NS1_11comp_targetILNS1_3genE3ELNS1_11target_archE908ELNS1_3gpuE7ELNS1_3repE0EEENS1_30default_config_static_selectorELNS0_4arch9wavefront6targetE1EEEvT1_
	.p2align	8
	.type	_ZN7rocprim17ROCPRIM_400000_NS6detail17trampoline_kernelINS0_14default_configENS1_25partition_config_selectorILNS1_17partition_subalgoE0EyNS0_10empty_typeEbEEZZNS1_14partition_implILS5_0ELb0ES3_jN6thrust23THRUST_200600_302600_NS6detail15normal_iteratorINSA_10device_ptrIyEEEEPS6_SG_NS0_5tupleIJNSA_16discard_iteratorINSA_11use_defaultEEESK_EEENSH_IJSG_SG_EEES6_PlJ7is_evenIyEEEE10hipError_tPvRmT3_T4_T5_T6_T7_T9_mT8_P12ihipStream_tbDpT10_ENKUlT_T0_E_clISt17integral_constantIbLb0EES18_IbLb1EEEEDaS14_S15_EUlS14_E_NS1_11comp_targetILNS1_3genE3ELNS1_11target_archE908ELNS1_3gpuE7ELNS1_3repE0EEENS1_30default_config_static_selectorELNS0_4arch9wavefront6targetE1EEEvT1_,@function
_ZN7rocprim17ROCPRIM_400000_NS6detail17trampoline_kernelINS0_14default_configENS1_25partition_config_selectorILNS1_17partition_subalgoE0EyNS0_10empty_typeEbEEZZNS1_14partition_implILS5_0ELb0ES3_jN6thrust23THRUST_200600_302600_NS6detail15normal_iteratorINSA_10device_ptrIyEEEEPS6_SG_NS0_5tupleIJNSA_16discard_iteratorINSA_11use_defaultEEESK_EEENSH_IJSG_SG_EEES6_PlJ7is_evenIyEEEE10hipError_tPvRmT3_T4_T5_T6_T7_T9_mT8_P12ihipStream_tbDpT10_ENKUlT_T0_E_clISt17integral_constantIbLb0EES18_IbLb1EEEEDaS14_S15_EUlS14_E_NS1_11comp_targetILNS1_3genE3ELNS1_11target_archE908ELNS1_3gpuE7ELNS1_3repE0EEENS1_30default_config_static_selectorELNS0_4arch9wavefront6targetE1EEEvT1_: ; @_ZN7rocprim17ROCPRIM_400000_NS6detail17trampoline_kernelINS0_14default_configENS1_25partition_config_selectorILNS1_17partition_subalgoE0EyNS0_10empty_typeEbEEZZNS1_14partition_implILS5_0ELb0ES3_jN6thrust23THRUST_200600_302600_NS6detail15normal_iteratorINSA_10device_ptrIyEEEEPS6_SG_NS0_5tupleIJNSA_16discard_iteratorINSA_11use_defaultEEESK_EEENSH_IJSG_SG_EEES6_PlJ7is_evenIyEEEE10hipError_tPvRmT3_T4_T5_T6_T7_T9_mT8_P12ihipStream_tbDpT10_ENKUlT_T0_E_clISt17integral_constantIbLb0EES18_IbLb1EEEEDaS14_S15_EUlS14_E_NS1_11comp_targetILNS1_3genE3ELNS1_11target_archE908ELNS1_3gpuE7ELNS1_3repE0EEENS1_30default_config_static_selectorELNS0_4arch9wavefront6targetE1EEEvT1_
; %bb.0:
	.section	.rodata,"a",@progbits
	.p2align	6, 0x0
	.amdhsa_kernel _ZN7rocprim17ROCPRIM_400000_NS6detail17trampoline_kernelINS0_14default_configENS1_25partition_config_selectorILNS1_17partition_subalgoE0EyNS0_10empty_typeEbEEZZNS1_14partition_implILS5_0ELb0ES3_jN6thrust23THRUST_200600_302600_NS6detail15normal_iteratorINSA_10device_ptrIyEEEEPS6_SG_NS0_5tupleIJNSA_16discard_iteratorINSA_11use_defaultEEESK_EEENSH_IJSG_SG_EEES6_PlJ7is_evenIyEEEE10hipError_tPvRmT3_T4_T5_T6_T7_T9_mT8_P12ihipStream_tbDpT10_ENKUlT_T0_E_clISt17integral_constantIbLb0EES18_IbLb1EEEEDaS14_S15_EUlS14_E_NS1_11comp_targetILNS1_3genE3ELNS1_11target_archE908ELNS1_3gpuE7ELNS1_3repE0EEENS1_30default_config_static_selectorELNS0_4arch9wavefront6targetE1EEEvT1_
		.amdhsa_group_segment_fixed_size 0
		.amdhsa_private_segment_fixed_size 0
		.amdhsa_kernarg_size 152
		.amdhsa_user_sgpr_count 2
		.amdhsa_user_sgpr_dispatch_ptr 0
		.amdhsa_user_sgpr_queue_ptr 0
		.amdhsa_user_sgpr_kernarg_segment_ptr 1
		.amdhsa_user_sgpr_dispatch_id 0
		.amdhsa_user_sgpr_kernarg_preload_length 0
		.amdhsa_user_sgpr_kernarg_preload_offset 0
		.amdhsa_user_sgpr_private_segment_size 0
		.amdhsa_uses_dynamic_stack 0
		.amdhsa_enable_private_segment 0
		.amdhsa_system_sgpr_workgroup_id_x 1
		.amdhsa_system_sgpr_workgroup_id_y 0
		.amdhsa_system_sgpr_workgroup_id_z 0
		.amdhsa_system_sgpr_workgroup_info 0
		.amdhsa_system_vgpr_workitem_id 0
		.amdhsa_next_free_vgpr 1
		.amdhsa_next_free_sgpr 0
		.amdhsa_accum_offset 4
		.amdhsa_reserve_vcc 0
		.amdhsa_float_round_mode_32 0
		.amdhsa_float_round_mode_16_64 0
		.amdhsa_float_denorm_mode_32 3
		.amdhsa_float_denorm_mode_16_64 3
		.amdhsa_dx10_clamp 1
		.amdhsa_ieee_mode 1
		.amdhsa_fp16_overflow 0
		.amdhsa_tg_split 0
		.amdhsa_exception_fp_ieee_invalid_op 0
		.amdhsa_exception_fp_denorm_src 0
		.amdhsa_exception_fp_ieee_div_zero 0
		.amdhsa_exception_fp_ieee_overflow 0
		.amdhsa_exception_fp_ieee_underflow 0
		.amdhsa_exception_fp_ieee_inexact 0
		.amdhsa_exception_int_div_zero 0
	.end_amdhsa_kernel
	.section	.text._ZN7rocprim17ROCPRIM_400000_NS6detail17trampoline_kernelINS0_14default_configENS1_25partition_config_selectorILNS1_17partition_subalgoE0EyNS0_10empty_typeEbEEZZNS1_14partition_implILS5_0ELb0ES3_jN6thrust23THRUST_200600_302600_NS6detail15normal_iteratorINSA_10device_ptrIyEEEEPS6_SG_NS0_5tupleIJNSA_16discard_iteratorINSA_11use_defaultEEESK_EEENSH_IJSG_SG_EEES6_PlJ7is_evenIyEEEE10hipError_tPvRmT3_T4_T5_T6_T7_T9_mT8_P12ihipStream_tbDpT10_ENKUlT_T0_E_clISt17integral_constantIbLb0EES18_IbLb1EEEEDaS14_S15_EUlS14_E_NS1_11comp_targetILNS1_3genE3ELNS1_11target_archE908ELNS1_3gpuE7ELNS1_3repE0EEENS1_30default_config_static_selectorELNS0_4arch9wavefront6targetE1EEEvT1_,"axG",@progbits,_ZN7rocprim17ROCPRIM_400000_NS6detail17trampoline_kernelINS0_14default_configENS1_25partition_config_selectorILNS1_17partition_subalgoE0EyNS0_10empty_typeEbEEZZNS1_14partition_implILS5_0ELb0ES3_jN6thrust23THRUST_200600_302600_NS6detail15normal_iteratorINSA_10device_ptrIyEEEEPS6_SG_NS0_5tupleIJNSA_16discard_iteratorINSA_11use_defaultEEESK_EEENSH_IJSG_SG_EEES6_PlJ7is_evenIyEEEE10hipError_tPvRmT3_T4_T5_T6_T7_T9_mT8_P12ihipStream_tbDpT10_ENKUlT_T0_E_clISt17integral_constantIbLb0EES18_IbLb1EEEEDaS14_S15_EUlS14_E_NS1_11comp_targetILNS1_3genE3ELNS1_11target_archE908ELNS1_3gpuE7ELNS1_3repE0EEENS1_30default_config_static_selectorELNS0_4arch9wavefront6targetE1EEEvT1_,comdat
.Lfunc_end2326:
	.size	_ZN7rocprim17ROCPRIM_400000_NS6detail17trampoline_kernelINS0_14default_configENS1_25partition_config_selectorILNS1_17partition_subalgoE0EyNS0_10empty_typeEbEEZZNS1_14partition_implILS5_0ELb0ES3_jN6thrust23THRUST_200600_302600_NS6detail15normal_iteratorINSA_10device_ptrIyEEEEPS6_SG_NS0_5tupleIJNSA_16discard_iteratorINSA_11use_defaultEEESK_EEENSH_IJSG_SG_EEES6_PlJ7is_evenIyEEEE10hipError_tPvRmT3_T4_T5_T6_T7_T9_mT8_P12ihipStream_tbDpT10_ENKUlT_T0_E_clISt17integral_constantIbLb0EES18_IbLb1EEEEDaS14_S15_EUlS14_E_NS1_11comp_targetILNS1_3genE3ELNS1_11target_archE908ELNS1_3gpuE7ELNS1_3repE0EEENS1_30default_config_static_selectorELNS0_4arch9wavefront6targetE1EEEvT1_, .Lfunc_end2326-_ZN7rocprim17ROCPRIM_400000_NS6detail17trampoline_kernelINS0_14default_configENS1_25partition_config_selectorILNS1_17partition_subalgoE0EyNS0_10empty_typeEbEEZZNS1_14partition_implILS5_0ELb0ES3_jN6thrust23THRUST_200600_302600_NS6detail15normal_iteratorINSA_10device_ptrIyEEEEPS6_SG_NS0_5tupleIJNSA_16discard_iteratorINSA_11use_defaultEEESK_EEENSH_IJSG_SG_EEES6_PlJ7is_evenIyEEEE10hipError_tPvRmT3_T4_T5_T6_T7_T9_mT8_P12ihipStream_tbDpT10_ENKUlT_T0_E_clISt17integral_constantIbLb0EES18_IbLb1EEEEDaS14_S15_EUlS14_E_NS1_11comp_targetILNS1_3genE3ELNS1_11target_archE908ELNS1_3gpuE7ELNS1_3repE0EEENS1_30default_config_static_selectorELNS0_4arch9wavefront6targetE1EEEvT1_
                                        ; -- End function
	.section	.AMDGPU.csdata,"",@progbits
; Kernel info:
; codeLenInByte = 0
; NumSgprs: 6
; NumVgprs: 0
; NumAgprs: 0
; TotalNumVgprs: 0
; ScratchSize: 0
; MemoryBound: 0
; FloatMode: 240
; IeeeMode: 1
; LDSByteSize: 0 bytes/workgroup (compile time only)
; SGPRBlocks: 0
; VGPRBlocks: 0
; NumSGPRsForWavesPerEU: 6
; NumVGPRsForWavesPerEU: 1
; AccumOffset: 4
; Occupancy: 8
; WaveLimiterHint : 0
; COMPUTE_PGM_RSRC2:SCRATCH_EN: 0
; COMPUTE_PGM_RSRC2:USER_SGPR: 2
; COMPUTE_PGM_RSRC2:TRAP_HANDLER: 0
; COMPUTE_PGM_RSRC2:TGID_X_EN: 1
; COMPUTE_PGM_RSRC2:TGID_Y_EN: 0
; COMPUTE_PGM_RSRC2:TGID_Z_EN: 0
; COMPUTE_PGM_RSRC2:TIDIG_COMP_CNT: 0
; COMPUTE_PGM_RSRC3_GFX90A:ACCUM_OFFSET: 0
; COMPUTE_PGM_RSRC3_GFX90A:TG_SPLIT: 0
	.section	.text._ZN7rocprim17ROCPRIM_400000_NS6detail17trampoline_kernelINS0_14default_configENS1_25partition_config_selectorILNS1_17partition_subalgoE0EyNS0_10empty_typeEbEEZZNS1_14partition_implILS5_0ELb0ES3_jN6thrust23THRUST_200600_302600_NS6detail15normal_iteratorINSA_10device_ptrIyEEEEPS6_SG_NS0_5tupleIJNSA_16discard_iteratorINSA_11use_defaultEEESK_EEENSH_IJSG_SG_EEES6_PlJ7is_evenIyEEEE10hipError_tPvRmT3_T4_T5_T6_T7_T9_mT8_P12ihipStream_tbDpT10_ENKUlT_T0_E_clISt17integral_constantIbLb0EES18_IbLb1EEEEDaS14_S15_EUlS14_E_NS1_11comp_targetILNS1_3genE2ELNS1_11target_archE906ELNS1_3gpuE6ELNS1_3repE0EEENS1_30default_config_static_selectorELNS0_4arch9wavefront6targetE1EEEvT1_,"axG",@progbits,_ZN7rocprim17ROCPRIM_400000_NS6detail17trampoline_kernelINS0_14default_configENS1_25partition_config_selectorILNS1_17partition_subalgoE0EyNS0_10empty_typeEbEEZZNS1_14partition_implILS5_0ELb0ES3_jN6thrust23THRUST_200600_302600_NS6detail15normal_iteratorINSA_10device_ptrIyEEEEPS6_SG_NS0_5tupleIJNSA_16discard_iteratorINSA_11use_defaultEEESK_EEENSH_IJSG_SG_EEES6_PlJ7is_evenIyEEEE10hipError_tPvRmT3_T4_T5_T6_T7_T9_mT8_P12ihipStream_tbDpT10_ENKUlT_T0_E_clISt17integral_constantIbLb0EES18_IbLb1EEEEDaS14_S15_EUlS14_E_NS1_11comp_targetILNS1_3genE2ELNS1_11target_archE906ELNS1_3gpuE6ELNS1_3repE0EEENS1_30default_config_static_selectorELNS0_4arch9wavefront6targetE1EEEvT1_,comdat
	.protected	_ZN7rocprim17ROCPRIM_400000_NS6detail17trampoline_kernelINS0_14default_configENS1_25partition_config_selectorILNS1_17partition_subalgoE0EyNS0_10empty_typeEbEEZZNS1_14partition_implILS5_0ELb0ES3_jN6thrust23THRUST_200600_302600_NS6detail15normal_iteratorINSA_10device_ptrIyEEEEPS6_SG_NS0_5tupleIJNSA_16discard_iteratorINSA_11use_defaultEEESK_EEENSH_IJSG_SG_EEES6_PlJ7is_evenIyEEEE10hipError_tPvRmT3_T4_T5_T6_T7_T9_mT8_P12ihipStream_tbDpT10_ENKUlT_T0_E_clISt17integral_constantIbLb0EES18_IbLb1EEEEDaS14_S15_EUlS14_E_NS1_11comp_targetILNS1_3genE2ELNS1_11target_archE906ELNS1_3gpuE6ELNS1_3repE0EEENS1_30default_config_static_selectorELNS0_4arch9wavefront6targetE1EEEvT1_ ; -- Begin function _ZN7rocprim17ROCPRIM_400000_NS6detail17trampoline_kernelINS0_14default_configENS1_25partition_config_selectorILNS1_17partition_subalgoE0EyNS0_10empty_typeEbEEZZNS1_14partition_implILS5_0ELb0ES3_jN6thrust23THRUST_200600_302600_NS6detail15normal_iteratorINSA_10device_ptrIyEEEEPS6_SG_NS0_5tupleIJNSA_16discard_iteratorINSA_11use_defaultEEESK_EEENSH_IJSG_SG_EEES6_PlJ7is_evenIyEEEE10hipError_tPvRmT3_T4_T5_T6_T7_T9_mT8_P12ihipStream_tbDpT10_ENKUlT_T0_E_clISt17integral_constantIbLb0EES18_IbLb1EEEEDaS14_S15_EUlS14_E_NS1_11comp_targetILNS1_3genE2ELNS1_11target_archE906ELNS1_3gpuE6ELNS1_3repE0EEENS1_30default_config_static_selectorELNS0_4arch9wavefront6targetE1EEEvT1_
	.globl	_ZN7rocprim17ROCPRIM_400000_NS6detail17trampoline_kernelINS0_14default_configENS1_25partition_config_selectorILNS1_17partition_subalgoE0EyNS0_10empty_typeEbEEZZNS1_14partition_implILS5_0ELb0ES3_jN6thrust23THRUST_200600_302600_NS6detail15normal_iteratorINSA_10device_ptrIyEEEEPS6_SG_NS0_5tupleIJNSA_16discard_iteratorINSA_11use_defaultEEESK_EEENSH_IJSG_SG_EEES6_PlJ7is_evenIyEEEE10hipError_tPvRmT3_T4_T5_T6_T7_T9_mT8_P12ihipStream_tbDpT10_ENKUlT_T0_E_clISt17integral_constantIbLb0EES18_IbLb1EEEEDaS14_S15_EUlS14_E_NS1_11comp_targetILNS1_3genE2ELNS1_11target_archE906ELNS1_3gpuE6ELNS1_3repE0EEENS1_30default_config_static_selectorELNS0_4arch9wavefront6targetE1EEEvT1_
	.p2align	8
	.type	_ZN7rocprim17ROCPRIM_400000_NS6detail17trampoline_kernelINS0_14default_configENS1_25partition_config_selectorILNS1_17partition_subalgoE0EyNS0_10empty_typeEbEEZZNS1_14partition_implILS5_0ELb0ES3_jN6thrust23THRUST_200600_302600_NS6detail15normal_iteratorINSA_10device_ptrIyEEEEPS6_SG_NS0_5tupleIJNSA_16discard_iteratorINSA_11use_defaultEEESK_EEENSH_IJSG_SG_EEES6_PlJ7is_evenIyEEEE10hipError_tPvRmT3_T4_T5_T6_T7_T9_mT8_P12ihipStream_tbDpT10_ENKUlT_T0_E_clISt17integral_constantIbLb0EES18_IbLb1EEEEDaS14_S15_EUlS14_E_NS1_11comp_targetILNS1_3genE2ELNS1_11target_archE906ELNS1_3gpuE6ELNS1_3repE0EEENS1_30default_config_static_selectorELNS0_4arch9wavefront6targetE1EEEvT1_,@function
_ZN7rocprim17ROCPRIM_400000_NS6detail17trampoline_kernelINS0_14default_configENS1_25partition_config_selectorILNS1_17partition_subalgoE0EyNS0_10empty_typeEbEEZZNS1_14partition_implILS5_0ELb0ES3_jN6thrust23THRUST_200600_302600_NS6detail15normal_iteratorINSA_10device_ptrIyEEEEPS6_SG_NS0_5tupleIJNSA_16discard_iteratorINSA_11use_defaultEEESK_EEENSH_IJSG_SG_EEES6_PlJ7is_evenIyEEEE10hipError_tPvRmT3_T4_T5_T6_T7_T9_mT8_P12ihipStream_tbDpT10_ENKUlT_T0_E_clISt17integral_constantIbLb0EES18_IbLb1EEEEDaS14_S15_EUlS14_E_NS1_11comp_targetILNS1_3genE2ELNS1_11target_archE906ELNS1_3gpuE6ELNS1_3repE0EEENS1_30default_config_static_selectorELNS0_4arch9wavefront6targetE1EEEvT1_: ; @_ZN7rocprim17ROCPRIM_400000_NS6detail17trampoline_kernelINS0_14default_configENS1_25partition_config_selectorILNS1_17partition_subalgoE0EyNS0_10empty_typeEbEEZZNS1_14partition_implILS5_0ELb0ES3_jN6thrust23THRUST_200600_302600_NS6detail15normal_iteratorINSA_10device_ptrIyEEEEPS6_SG_NS0_5tupleIJNSA_16discard_iteratorINSA_11use_defaultEEESK_EEENSH_IJSG_SG_EEES6_PlJ7is_evenIyEEEE10hipError_tPvRmT3_T4_T5_T6_T7_T9_mT8_P12ihipStream_tbDpT10_ENKUlT_T0_E_clISt17integral_constantIbLb0EES18_IbLb1EEEEDaS14_S15_EUlS14_E_NS1_11comp_targetILNS1_3genE2ELNS1_11target_archE906ELNS1_3gpuE6ELNS1_3repE0EEENS1_30default_config_static_selectorELNS0_4arch9wavefront6targetE1EEEvT1_
; %bb.0:
	.section	.rodata,"a",@progbits
	.p2align	6, 0x0
	.amdhsa_kernel _ZN7rocprim17ROCPRIM_400000_NS6detail17trampoline_kernelINS0_14default_configENS1_25partition_config_selectorILNS1_17partition_subalgoE0EyNS0_10empty_typeEbEEZZNS1_14partition_implILS5_0ELb0ES3_jN6thrust23THRUST_200600_302600_NS6detail15normal_iteratorINSA_10device_ptrIyEEEEPS6_SG_NS0_5tupleIJNSA_16discard_iteratorINSA_11use_defaultEEESK_EEENSH_IJSG_SG_EEES6_PlJ7is_evenIyEEEE10hipError_tPvRmT3_T4_T5_T6_T7_T9_mT8_P12ihipStream_tbDpT10_ENKUlT_T0_E_clISt17integral_constantIbLb0EES18_IbLb1EEEEDaS14_S15_EUlS14_E_NS1_11comp_targetILNS1_3genE2ELNS1_11target_archE906ELNS1_3gpuE6ELNS1_3repE0EEENS1_30default_config_static_selectorELNS0_4arch9wavefront6targetE1EEEvT1_
		.amdhsa_group_segment_fixed_size 0
		.amdhsa_private_segment_fixed_size 0
		.amdhsa_kernarg_size 152
		.amdhsa_user_sgpr_count 2
		.amdhsa_user_sgpr_dispatch_ptr 0
		.amdhsa_user_sgpr_queue_ptr 0
		.amdhsa_user_sgpr_kernarg_segment_ptr 1
		.amdhsa_user_sgpr_dispatch_id 0
		.amdhsa_user_sgpr_kernarg_preload_length 0
		.amdhsa_user_sgpr_kernarg_preload_offset 0
		.amdhsa_user_sgpr_private_segment_size 0
		.amdhsa_uses_dynamic_stack 0
		.amdhsa_enable_private_segment 0
		.amdhsa_system_sgpr_workgroup_id_x 1
		.amdhsa_system_sgpr_workgroup_id_y 0
		.amdhsa_system_sgpr_workgroup_id_z 0
		.amdhsa_system_sgpr_workgroup_info 0
		.amdhsa_system_vgpr_workitem_id 0
		.amdhsa_next_free_vgpr 1
		.amdhsa_next_free_sgpr 0
		.amdhsa_accum_offset 4
		.amdhsa_reserve_vcc 0
		.amdhsa_float_round_mode_32 0
		.amdhsa_float_round_mode_16_64 0
		.amdhsa_float_denorm_mode_32 3
		.amdhsa_float_denorm_mode_16_64 3
		.amdhsa_dx10_clamp 1
		.amdhsa_ieee_mode 1
		.amdhsa_fp16_overflow 0
		.amdhsa_tg_split 0
		.amdhsa_exception_fp_ieee_invalid_op 0
		.amdhsa_exception_fp_denorm_src 0
		.amdhsa_exception_fp_ieee_div_zero 0
		.amdhsa_exception_fp_ieee_overflow 0
		.amdhsa_exception_fp_ieee_underflow 0
		.amdhsa_exception_fp_ieee_inexact 0
		.amdhsa_exception_int_div_zero 0
	.end_amdhsa_kernel
	.section	.text._ZN7rocprim17ROCPRIM_400000_NS6detail17trampoline_kernelINS0_14default_configENS1_25partition_config_selectorILNS1_17partition_subalgoE0EyNS0_10empty_typeEbEEZZNS1_14partition_implILS5_0ELb0ES3_jN6thrust23THRUST_200600_302600_NS6detail15normal_iteratorINSA_10device_ptrIyEEEEPS6_SG_NS0_5tupleIJNSA_16discard_iteratorINSA_11use_defaultEEESK_EEENSH_IJSG_SG_EEES6_PlJ7is_evenIyEEEE10hipError_tPvRmT3_T4_T5_T6_T7_T9_mT8_P12ihipStream_tbDpT10_ENKUlT_T0_E_clISt17integral_constantIbLb0EES18_IbLb1EEEEDaS14_S15_EUlS14_E_NS1_11comp_targetILNS1_3genE2ELNS1_11target_archE906ELNS1_3gpuE6ELNS1_3repE0EEENS1_30default_config_static_selectorELNS0_4arch9wavefront6targetE1EEEvT1_,"axG",@progbits,_ZN7rocprim17ROCPRIM_400000_NS6detail17trampoline_kernelINS0_14default_configENS1_25partition_config_selectorILNS1_17partition_subalgoE0EyNS0_10empty_typeEbEEZZNS1_14partition_implILS5_0ELb0ES3_jN6thrust23THRUST_200600_302600_NS6detail15normal_iteratorINSA_10device_ptrIyEEEEPS6_SG_NS0_5tupleIJNSA_16discard_iteratorINSA_11use_defaultEEESK_EEENSH_IJSG_SG_EEES6_PlJ7is_evenIyEEEE10hipError_tPvRmT3_T4_T5_T6_T7_T9_mT8_P12ihipStream_tbDpT10_ENKUlT_T0_E_clISt17integral_constantIbLb0EES18_IbLb1EEEEDaS14_S15_EUlS14_E_NS1_11comp_targetILNS1_3genE2ELNS1_11target_archE906ELNS1_3gpuE6ELNS1_3repE0EEENS1_30default_config_static_selectorELNS0_4arch9wavefront6targetE1EEEvT1_,comdat
.Lfunc_end2327:
	.size	_ZN7rocprim17ROCPRIM_400000_NS6detail17trampoline_kernelINS0_14default_configENS1_25partition_config_selectorILNS1_17partition_subalgoE0EyNS0_10empty_typeEbEEZZNS1_14partition_implILS5_0ELb0ES3_jN6thrust23THRUST_200600_302600_NS6detail15normal_iteratorINSA_10device_ptrIyEEEEPS6_SG_NS0_5tupleIJNSA_16discard_iteratorINSA_11use_defaultEEESK_EEENSH_IJSG_SG_EEES6_PlJ7is_evenIyEEEE10hipError_tPvRmT3_T4_T5_T6_T7_T9_mT8_P12ihipStream_tbDpT10_ENKUlT_T0_E_clISt17integral_constantIbLb0EES18_IbLb1EEEEDaS14_S15_EUlS14_E_NS1_11comp_targetILNS1_3genE2ELNS1_11target_archE906ELNS1_3gpuE6ELNS1_3repE0EEENS1_30default_config_static_selectorELNS0_4arch9wavefront6targetE1EEEvT1_, .Lfunc_end2327-_ZN7rocprim17ROCPRIM_400000_NS6detail17trampoline_kernelINS0_14default_configENS1_25partition_config_selectorILNS1_17partition_subalgoE0EyNS0_10empty_typeEbEEZZNS1_14partition_implILS5_0ELb0ES3_jN6thrust23THRUST_200600_302600_NS6detail15normal_iteratorINSA_10device_ptrIyEEEEPS6_SG_NS0_5tupleIJNSA_16discard_iteratorINSA_11use_defaultEEESK_EEENSH_IJSG_SG_EEES6_PlJ7is_evenIyEEEE10hipError_tPvRmT3_T4_T5_T6_T7_T9_mT8_P12ihipStream_tbDpT10_ENKUlT_T0_E_clISt17integral_constantIbLb0EES18_IbLb1EEEEDaS14_S15_EUlS14_E_NS1_11comp_targetILNS1_3genE2ELNS1_11target_archE906ELNS1_3gpuE6ELNS1_3repE0EEENS1_30default_config_static_selectorELNS0_4arch9wavefront6targetE1EEEvT1_
                                        ; -- End function
	.section	.AMDGPU.csdata,"",@progbits
; Kernel info:
; codeLenInByte = 0
; NumSgprs: 6
; NumVgprs: 0
; NumAgprs: 0
; TotalNumVgprs: 0
; ScratchSize: 0
; MemoryBound: 0
; FloatMode: 240
; IeeeMode: 1
; LDSByteSize: 0 bytes/workgroup (compile time only)
; SGPRBlocks: 0
; VGPRBlocks: 0
; NumSGPRsForWavesPerEU: 6
; NumVGPRsForWavesPerEU: 1
; AccumOffset: 4
; Occupancy: 8
; WaveLimiterHint : 0
; COMPUTE_PGM_RSRC2:SCRATCH_EN: 0
; COMPUTE_PGM_RSRC2:USER_SGPR: 2
; COMPUTE_PGM_RSRC2:TRAP_HANDLER: 0
; COMPUTE_PGM_RSRC2:TGID_X_EN: 1
; COMPUTE_PGM_RSRC2:TGID_Y_EN: 0
; COMPUTE_PGM_RSRC2:TGID_Z_EN: 0
; COMPUTE_PGM_RSRC2:TIDIG_COMP_CNT: 0
; COMPUTE_PGM_RSRC3_GFX90A:ACCUM_OFFSET: 0
; COMPUTE_PGM_RSRC3_GFX90A:TG_SPLIT: 0
	.section	.text._ZN7rocprim17ROCPRIM_400000_NS6detail17trampoline_kernelINS0_14default_configENS1_25partition_config_selectorILNS1_17partition_subalgoE0EyNS0_10empty_typeEbEEZZNS1_14partition_implILS5_0ELb0ES3_jN6thrust23THRUST_200600_302600_NS6detail15normal_iteratorINSA_10device_ptrIyEEEEPS6_SG_NS0_5tupleIJNSA_16discard_iteratorINSA_11use_defaultEEESK_EEENSH_IJSG_SG_EEES6_PlJ7is_evenIyEEEE10hipError_tPvRmT3_T4_T5_T6_T7_T9_mT8_P12ihipStream_tbDpT10_ENKUlT_T0_E_clISt17integral_constantIbLb0EES18_IbLb1EEEEDaS14_S15_EUlS14_E_NS1_11comp_targetILNS1_3genE10ELNS1_11target_archE1200ELNS1_3gpuE4ELNS1_3repE0EEENS1_30default_config_static_selectorELNS0_4arch9wavefront6targetE1EEEvT1_,"axG",@progbits,_ZN7rocprim17ROCPRIM_400000_NS6detail17trampoline_kernelINS0_14default_configENS1_25partition_config_selectorILNS1_17partition_subalgoE0EyNS0_10empty_typeEbEEZZNS1_14partition_implILS5_0ELb0ES3_jN6thrust23THRUST_200600_302600_NS6detail15normal_iteratorINSA_10device_ptrIyEEEEPS6_SG_NS0_5tupleIJNSA_16discard_iteratorINSA_11use_defaultEEESK_EEENSH_IJSG_SG_EEES6_PlJ7is_evenIyEEEE10hipError_tPvRmT3_T4_T5_T6_T7_T9_mT8_P12ihipStream_tbDpT10_ENKUlT_T0_E_clISt17integral_constantIbLb0EES18_IbLb1EEEEDaS14_S15_EUlS14_E_NS1_11comp_targetILNS1_3genE10ELNS1_11target_archE1200ELNS1_3gpuE4ELNS1_3repE0EEENS1_30default_config_static_selectorELNS0_4arch9wavefront6targetE1EEEvT1_,comdat
	.protected	_ZN7rocprim17ROCPRIM_400000_NS6detail17trampoline_kernelINS0_14default_configENS1_25partition_config_selectorILNS1_17partition_subalgoE0EyNS0_10empty_typeEbEEZZNS1_14partition_implILS5_0ELb0ES3_jN6thrust23THRUST_200600_302600_NS6detail15normal_iteratorINSA_10device_ptrIyEEEEPS6_SG_NS0_5tupleIJNSA_16discard_iteratorINSA_11use_defaultEEESK_EEENSH_IJSG_SG_EEES6_PlJ7is_evenIyEEEE10hipError_tPvRmT3_T4_T5_T6_T7_T9_mT8_P12ihipStream_tbDpT10_ENKUlT_T0_E_clISt17integral_constantIbLb0EES18_IbLb1EEEEDaS14_S15_EUlS14_E_NS1_11comp_targetILNS1_3genE10ELNS1_11target_archE1200ELNS1_3gpuE4ELNS1_3repE0EEENS1_30default_config_static_selectorELNS0_4arch9wavefront6targetE1EEEvT1_ ; -- Begin function _ZN7rocprim17ROCPRIM_400000_NS6detail17trampoline_kernelINS0_14default_configENS1_25partition_config_selectorILNS1_17partition_subalgoE0EyNS0_10empty_typeEbEEZZNS1_14partition_implILS5_0ELb0ES3_jN6thrust23THRUST_200600_302600_NS6detail15normal_iteratorINSA_10device_ptrIyEEEEPS6_SG_NS0_5tupleIJNSA_16discard_iteratorINSA_11use_defaultEEESK_EEENSH_IJSG_SG_EEES6_PlJ7is_evenIyEEEE10hipError_tPvRmT3_T4_T5_T6_T7_T9_mT8_P12ihipStream_tbDpT10_ENKUlT_T0_E_clISt17integral_constantIbLb0EES18_IbLb1EEEEDaS14_S15_EUlS14_E_NS1_11comp_targetILNS1_3genE10ELNS1_11target_archE1200ELNS1_3gpuE4ELNS1_3repE0EEENS1_30default_config_static_selectorELNS0_4arch9wavefront6targetE1EEEvT1_
	.globl	_ZN7rocprim17ROCPRIM_400000_NS6detail17trampoline_kernelINS0_14default_configENS1_25partition_config_selectorILNS1_17partition_subalgoE0EyNS0_10empty_typeEbEEZZNS1_14partition_implILS5_0ELb0ES3_jN6thrust23THRUST_200600_302600_NS6detail15normal_iteratorINSA_10device_ptrIyEEEEPS6_SG_NS0_5tupleIJNSA_16discard_iteratorINSA_11use_defaultEEESK_EEENSH_IJSG_SG_EEES6_PlJ7is_evenIyEEEE10hipError_tPvRmT3_T4_T5_T6_T7_T9_mT8_P12ihipStream_tbDpT10_ENKUlT_T0_E_clISt17integral_constantIbLb0EES18_IbLb1EEEEDaS14_S15_EUlS14_E_NS1_11comp_targetILNS1_3genE10ELNS1_11target_archE1200ELNS1_3gpuE4ELNS1_3repE0EEENS1_30default_config_static_selectorELNS0_4arch9wavefront6targetE1EEEvT1_
	.p2align	8
	.type	_ZN7rocprim17ROCPRIM_400000_NS6detail17trampoline_kernelINS0_14default_configENS1_25partition_config_selectorILNS1_17partition_subalgoE0EyNS0_10empty_typeEbEEZZNS1_14partition_implILS5_0ELb0ES3_jN6thrust23THRUST_200600_302600_NS6detail15normal_iteratorINSA_10device_ptrIyEEEEPS6_SG_NS0_5tupleIJNSA_16discard_iteratorINSA_11use_defaultEEESK_EEENSH_IJSG_SG_EEES6_PlJ7is_evenIyEEEE10hipError_tPvRmT3_T4_T5_T6_T7_T9_mT8_P12ihipStream_tbDpT10_ENKUlT_T0_E_clISt17integral_constantIbLb0EES18_IbLb1EEEEDaS14_S15_EUlS14_E_NS1_11comp_targetILNS1_3genE10ELNS1_11target_archE1200ELNS1_3gpuE4ELNS1_3repE0EEENS1_30default_config_static_selectorELNS0_4arch9wavefront6targetE1EEEvT1_,@function
_ZN7rocprim17ROCPRIM_400000_NS6detail17trampoline_kernelINS0_14default_configENS1_25partition_config_selectorILNS1_17partition_subalgoE0EyNS0_10empty_typeEbEEZZNS1_14partition_implILS5_0ELb0ES3_jN6thrust23THRUST_200600_302600_NS6detail15normal_iteratorINSA_10device_ptrIyEEEEPS6_SG_NS0_5tupleIJNSA_16discard_iteratorINSA_11use_defaultEEESK_EEENSH_IJSG_SG_EEES6_PlJ7is_evenIyEEEE10hipError_tPvRmT3_T4_T5_T6_T7_T9_mT8_P12ihipStream_tbDpT10_ENKUlT_T0_E_clISt17integral_constantIbLb0EES18_IbLb1EEEEDaS14_S15_EUlS14_E_NS1_11comp_targetILNS1_3genE10ELNS1_11target_archE1200ELNS1_3gpuE4ELNS1_3repE0EEENS1_30default_config_static_selectorELNS0_4arch9wavefront6targetE1EEEvT1_: ; @_ZN7rocprim17ROCPRIM_400000_NS6detail17trampoline_kernelINS0_14default_configENS1_25partition_config_selectorILNS1_17partition_subalgoE0EyNS0_10empty_typeEbEEZZNS1_14partition_implILS5_0ELb0ES3_jN6thrust23THRUST_200600_302600_NS6detail15normal_iteratorINSA_10device_ptrIyEEEEPS6_SG_NS0_5tupleIJNSA_16discard_iteratorINSA_11use_defaultEEESK_EEENSH_IJSG_SG_EEES6_PlJ7is_evenIyEEEE10hipError_tPvRmT3_T4_T5_T6_T7_T9_mT8_P12ihipStream_tbDpT10_ENKUlT_T0_E_clISt17integral_constantIbLb0EES18_IbLb1EEEEDaS14_S15_EUlS14_E_NS1_11comp_targetILNS1_3genE10ELNS1_11target_archE1200ELNS1_3gpuE4ELNS1_3repE0EEENS1_30default_config_static_selectorELNS0_4arch9wavefront6targetE1EEEvT1_
; %bb.0:
	.section	.rodata,"a",@progbits
	.p2align	6, 0x0
	.amdhsa_kernel _ZN7rocprim17ROCPRIM_400000_NS6detail17trampoline_kernelINS0_14default_configENS1_25partition_config_selectorILNS1_17partition_subalgoE0EyNS0_10empty_typeEbEEZZNS1_14partition_implILS5_0ELb0ES3_jN6thrust23THRUST_200600_302600_NS6detail15normal_iteratorINSA_10device_ptrIyEEEEPS6_SG_NS0_5tupleIJNSA_16discard_iteratorINSA_11use_defaultEEESK_EEENSH_IJSG_SG_EEES6_PlJ7is_evenIyEEEE10hipError_tPvRmT3_T4_T5_T6_T7_T9_mT8_P12ihipStream_tbDpT10_ENKUlT_T0_E_clISt17integral_constantIbLb0EES18_IbLb1EEEEDaS14_S15_EUlS14_E_NS1_11comp_targetILNS1_3genE10ELNS1_11target_archE1200ELNS1_3gpuE4ELNS1_3repE0EEENS1_30default_config_static_selectorELNS0_4arch9wavefront6targetE1EEEvT1_
		.amdhsa_group_segment_fixed_size 0
		.amdhsa_private_segment_fixed_size 0
		.amdhsa_kernarg_size 152
		.amdhsa_user_sgpr_count 2
		.amdhsa_user_sgpr_dispatch_ptr 0
		.amdhsa_user_sgpr_queue_ptr 0
		.amdhsa_user_sgpr_kernarg_segment_ptr 1
		.amdhsa_user_sgpr_dispatch_id 0
		.amdhsa_user_sgpr_kernarg_preload_length 0
		.amdhsa_user_sgpr_kernarg_preload_offset 0
		.amdhsa_user_sgpr_private_segment_size 0
		.amdhsa_uses_dynamic_stack 0
		.amdhsa_enable_private_segment 0
		.amdhsa_system_sgpr_workgroup_id_x 1
		.amdhsa_system_sgpr_workgroup_id_y 0
		.amdhsa_system_sgpr_workgroup_id_z 0
		.amdhsa_system_sgpr_workgroup_info 0
		.amdhsa_system_vgpr_workitem_id 0
		.amdhsa_next_free_vgpr 1
		.amdhsa_next_free_sgpr 0
		.amdhsa_accum_offset 4
		.amdhsa_reserve_vcc 0
		.amdhsa_float_round_mode_32 0
		.amdhsa_float_round_mode_16_64 0
		.amdhsa_float_denorm_mode_32 3
		.amdhsa_float_denorm_mode_16_64 3
		.amdhsa_dx10_clamp 1
		.amdhsa_ieee_mode 1
		.amdhsa_fp16_overflow 0
		.amdhsa_tg_split 0
		.amdhsa_exception_fp_ieee_invalid_op 0
		.amdhsa_exception_fp_denorm_src 0
		.amdhsa_exception_fp_ieee_div_zero 0
		.amdhsa_exception_fp_ieee_overflow 0
		.amdhsa_exception_fp_ieee_underflow 0
		.amdhsa_exception_fp_ieee_inexact 0
		.amdhsa_exception_int_div_zero 0
	.end_amdhsa_kernel
	.section	.text._ZN7rocprim17ROCPRIM_400000_NS6detail17trampoline_kernelINS0_14default_configENS1_25partition_config_selectorILNS1_17partition_subalgoE0EyNS0_10empty_typeEbEEZZNS1_14partition_implILS5_0ELb0ES3_jN6thrust23THRUST_200600_302600_NS6detail15normal_iteratorINSA_10device_ptrIyEEEEPS6_SG_NS0_5tupleIJNSA_16discard_iteratorINSA_11use_defaultEEESK_EEENSH_IJSG_SG_EEES6_PlJ7is_evenIyEEEE10hipError_tPvRmT3_T4_T5_T6_T7_T9_mT8_P12ihipStream_tbDpT10_ENKUlT_T0_E_clISt17integral_constantIbLb0EES18_IbLb1EEEEDaS14_S15_EUlS14_E_NS1_11comp_targetILNS1_3genE10ELNS1_11target_archE1200ELNS1_3gpuE4ELNS1_3repE0EEENS1_30default_config_static_selectorELNS0_4arch9wavefront6targetE1EEEvT1_,"axG",@progbits,_ZN7rocprim17ROCPRIM_400000_NS6detail17trampoline_kernelINS0_14default_configENS1_25partition_config_selectorILNS1_17partition_subalgoE0EyNS0_10empty_typeEbEEZZNS1_14partition_implILS5_0ELb0ES3_jN6thrust23THRUST_200600_302600_NS6detail15normal_iteratorINSA_10device_ptrIyEEEEPS6_SG_NS0_5tupleIJNSA_16discard_iteratorINSA_11use_defaultEEESK_EEENSH_IJSG_SG_EEES6_PlJ7is_evenIyEEEE10hipError_tPvRmT3_T4_T5_T6_T7_T9_mT8_P12ihipStream_tbDpT10_ENKUlT_T0_E_clISt17integral_constantIbLb0EES18_IbLb1EEEEDaS14_S15_EUlS14_E_NS1_11comp_targetILNS1_3genE10ELNS1_11target_archE1200ELNS1_3gpuE4ELNS1_3repE0EEENS1_30default_config_static_selectorELNS0_4arch9wavefront6targetE1EEEvT1_,comdat
.Lfunc_end2328:
	.size	_ZN7rocprim17ROCPRIM_400000_NS6detail17trampoline_kernelINS0_14default_configENS1_25partition_config_selectorILNS1_17partition_subalgoE0EyNS0_10empty_typeEbEEZZNS1_14partition_implILS5_0ELb0ES3_jN6thrust23THRUST_200600_302600_NS6detail15normal_iteratorINSA_10device_ptrIyEEEEPS6_SG_NS0_5tupleIJNSA_16discard_iteratorINSA_11use_defaultEEESK_EEENSH_IJSG_SG_EEES6_PlJ7is_evenIyEEEE10hipError_tPvRmT3_T4_T5_T6_T7_T9_mT8_P12ihipStream_tbDpT10_ENKUlT_T0_E_clISt17integral_constantIbLb0EES18_IbLb1EEEEDaS14_S15_EUlS14_E_NS1_11comp_targetILNS1_3genE10ELNS1_11target_archE1200ELNS1_3gpuE4ELNS1_3repE0EEENS1_30default_config_static_selectorELNS0_4arch9wavefront6targetE1EEEvT1_, .Lfunc_end2328-_ZN7rocprim17ROCPRIM_400000_NS6detail17trampoline_kernelINS0_14default_configENS1_25partition_config_selectorILNS1_17partition_subalgoE0EyNS0_10empty_typeEbEEZZNS1_14partition_implILS5_0ELb0ES3_jN6thrust23THRUST_200600_302600_NS6detail15normal_iteratorINSA_10device_ptrIyEEEEPS6_SG_NS0_5tupleIJNSA_16discard_iteratorINSA_11use_defaultEEESK_EEENSH_IJSG_SG_EEES6_PlJ7is_evenIyEEEE10hipError_tPvRmT3_T4_T5_T6_T7_T9_mT8_P12ihipStream_tbDpT10_ENKUlT_T0_E_clISt17integral_constantIbLb0EES18_IbLb1EEEEDaS14_S15_EUlS14_E_NS1_11comp_targetILNS1_3genE10ELNS1_11target_archE1200ELNS1_3gpuE4ELNS1_3repE0EEENS1_30default_config_static_selectorELNS0_4arch9wavefront6targetE1EEEvT1_
                                        ; -- End function
	.section	.AMDGPU.csdata,"",@progbits
; Kernel info:
; codeLenInByte = 0
; NumSgprs: 6
; NumVgprs: 0
; NumAgprs: 0
; TotalNumVgprs: 0
; ScratchSize: 0
; MemoryBound: 0
; FloatMode: 240
; IeeeMode: 1
; LDSByteSize: 0 bytes/workgroup (compile time only)
; SGPRBlocks: 0
; VGPRBlocks: 0
; NumSGPRsForWavesPerEU: 6
; NumVGPRsForWavesPerEU: 1
; AccumOffset: 4
; Occupancy: 8
; WaveLimiterHint : 0
; COMPUTE_PGM_RSRC2:SCRATCH_EN: 0
; COMPUTE_PGM_RSRC2:USER_SGPR: 2
; COMPUTE_PGM_RSRC2:TRAP_HANDLER: 0
; COMPUTE_PGM_RSRC2:TGID_X_EN: 1
; COMPUTE_PGM_RSRC2:TGID_Y_EN: 0
; COMPUTE_PGM_RSRC2:TGID_Z_EN: 0
; COMPUTE_PGM_RSRC2:TIDIG_COMP_CNT: 0
; COMPUTE_PGM_RSRC3_GFX90A:ACCUM_OFFSET: 0
; COMPUTE_PGM_RSRC3_GFX90A:TG_SPLIT: 0
	.section	.text._ZN7rocprim17ROCPRIM_400000_NS6detail17trampoline_kernelINS0_14default_configENS1_25partition_config_selectorILNS1_17partition_subalgoE0EyNS0_10empty_typeEbEEZZNS1_14partition_implILS5_0ELb0ES3_jN6thrust23THRUST_200600_302600_NS6detail15normal_iteratorINSA_10device_ptrIyEEEEPS6_SG_NS0_5tupleIJNSA_16discard_iteratorINSA_11use_defaultEEESK_EEENSH_IJSG_SG_EEES6_PlJ7is_evenIyEEEE10hipError_tPvRmT3_T4_T5_T6_T7_T9_mT8_P12ihipStream_tbDpT10_ENKUlT_T0_E_clISt17integral_constantIbLb0EES18_IbLb1EEEEDaS14_S15_EUlS14_E_NS1_11comp_targetILNS1_3genE9ELNS1_11target_archE1100ELNS1_3gpuE3ELNS1_3repE0EEENS1_30default_config_static_selectorELNS0_4arch9wavefront6targetE1EEEvT1_,"axG",@progbits,_ZN7rocprim17ROCPRIM_400000_NS6detail17trampoline_kernelINS0_14default_configENS1_25partition_config_selectorILNS1_17partition_subalgoE0EyNS0_10empty_typeEbEEZZNS1_14partition_implILS5_0ELb0ES3_jN6thrust23THRUST_200600_302600_NS6detail15normal_iteratorINSA_10device_ptrIyEEEEPS6_SG_NS0_5tupleIJNSA_16discard_iteratorINSA_11use_defaultEEESK_EEENSH_IJSG_SG_EEES6_PlJ7is_evenIyEEEE10hipError_tPvRmT3_T4_T5_T6_T7_T9_mT8_P12ihipStream_tbDpT10_ENKUlT_T0_E_clISt17integral_constantIbLb0EES18_IbLb1EEEEDaS14_S15_EUlS14_E_NS1_11comp_targetILNS1_3genE9ELNS1_11target_archE1100ELNS1_3gpuE3ELNS1_3repE0EEENS1_30default_config_static_selectorELNS0_4arch9wavefront6targetE1EEEvT1_,comdat
	.protected	_ZN7rocprim17ROCPRIM_400000_NS6detail17trampoline_kernelINS0_14default_configENS1_25partition_config_selectorILNS1_17partition_subalgoE0EyNS0_10empty_typeEbEEZZNS1_14partition_implILS5_0ELb0ES3_jN6thrust23THRUST_200600_302600_NS6detail15normal_iteratorINSA_10device_ptrIyEEEEPS6_SG_NS0_5tupleIJNSA_16discard_iteratorINSA_11use_defaultEEESK_EEENSH_IJSG_SG_EEES6_PlJ7is_evenIyEEEE10hipError_tPvRmT3_T4_T5_T6_T7_T9_mT8_P12ihipStream_tbDpT10_ENKUlT_T0_E_clISt17integral_constantIbLb0EES18_IbLb1EEEEDaS14_S15_EUlS14_E_NS1_11comp_targetILNS1_3genE9ELNS1_11target_archE1100ELNS1_3gpuE3ELNS1_3repE0EEENS1_30default_config_static_selectorELNS0_4arch9wavefront6targetE1EEEvT1_ ; -- Begin function _ZN7rocprim17ROCPRIM_400000_NS6detail17trampoline_kernelINS0_14default_configENS1_25partition_config_selectorILNS1_17partition_subalgoE0EyNS0_10empty_typeEbEEZZNS1_14partition_implILS5_0ELb0ES3_jN6thrust23THRUST_200600_302600_NS6detail15normal_iteratorINSA_10device_ptrIyEEEEPS6_SG_NS0_5tupleIJNSA_16discard_iteratorINSA_11use_defaultEEESK_EEENSH_IJSG_SG_EEES6_PlJ7is_evenIyEEEE10hipError_tPvRmT3_T4_T5_T6_T7_T9_mT8_P12ihipStream_tbDpT10_ENKUlT_T0_E_clISt17integral_constantIbLb0EES18_IbLb1EEEEDaS14_S15_EUlS14_E_NS1_11comp_targetILNS1_3genE9ELNS1_11target_archE1100ELNS1_3gpuE3ELNS1_3repE0EEENS1_30default_config_static_selectorELNS0_4arch9wavefront6targetE1EEEvT1_
	.globl	_ZN7rocprim17ROCPRIM_400000_NS6detail17trampoline_kernelINS0_14default_configENS1_25partition_config_selectorILNS1_17partition_subalgoE0EyNS0_10empty_typeEbEEZZNS1_14partition_implILS5_0ELb0ES3_jN6thrust23THRUST_200600_302600_NS6detail15normal_iteratorINSA_10device_ptrIyEEEEPS6_SG_NS0_5tupleIJNSA_16discard_iteratorINSA_11use_defaultEEESK_EEENSH_IJSG_SG_EEES6_PlJ7is_evenIyEEEE10hipError_tPvRmT3_T4_T5_T6_T7_T9_mT8_P12ihipStream_tbDpT10_ENKUlT_T0_E_clISt17integral_constantIbLb0EES18_IbLb1EEEEDaS14_S15_EUlS14_E_NS1_11comp_targetILNS1_3genE9ELNS1_11target_archE1100ELNS1_3gpuE3ELNS1_3repE0EEENS1_30default_config_static_selectorELNS0_4arch9wavefront6targetE1EEEvT1_
	.p2align	8
	.type	_ZN7rocprim17ROCPRIM_400000_NS6detail17trampoline_kernelINS0_14default_configENS1_25partition_config_selectorILNS1_17partition_subalgoE0EyNS0_10empty_typeEbEEZZNS1_14partition_implILS5_0ELb0ES3_jN6thrust23THRUST_200600_302600_NS6detail15normal_iteratorINSA_10device_ptrIyEEEEPS6_SG_NS0_5tupleIJNSA_16discard_iteratorINSA_11use_defaultEEESK_EEENSH_IJSG_SG_EEES6_PlJ7is_evenIyEEEE10hipError_tPvRmT3_T4_T5_T6_T7_T9_mT8_P12ihipStream_tbDpT10_ENKUlT_T0_E_clISt17integral_constantIbLb0EES18_IbLb1EEEEDaS14_S15_EUlS14_E_NS1_11comp_targetILNS1_3genE9ELNS1_11target_archE1100ELNS1_3gpuE3ELNS1_3repE0EEENS1_30default_config_static_selectorELNS0_4arch9wavefront6targetE1EEEvT1_,@function
_ZN7rocprim17ROCPRIM_400000_NS6detail17trampoline_kernelINS0_14default_configENS1_25partition_config_selectorILNS1_17partition_subalgoE0EyNS0_10empty_typeEbEEZZNS1_14partition_implILS5_0ELb0ES3_jN6thrust23THRUST_200600_302600_NS6detail15normal_iteratorINSA_10device_ptrIyEEEEPS6_SG_NS0_5tupleIJNSA_16discard_iteratorINSA_11use_defaultEEESK_EEENSH_IJSG_SG_EEES6_PlJ7is_evenIyEEEE10hipError_tPvRmT3_T4_T5_T6_T7_T9_mT8_P12ihipStream_tbDpT10_ENKUlT_T0_E_clISt17integral_constantIbLb0EES18_IbLb1EEEEDaS14_S15_EUlS14_E_NS1_11comp_targetILNS1_3genE9ELNS1_11target_archE1100ELNS1_3gpuE3ELNS1_3repE0EEENS1_30default_config_static_selectorELNS0_4arch9wavefront6targetE1EEEvT1_: ; @_ZN7rocprim17ROCPRIM_400000_NS6detail17trampoline_kernelINS0_14default_configENS1_25partition_config_selectorILNS1_17partition_subalgoE0EyNS0_10empty_typeEbEEZZNS1_14partition_implILS5_0ELb0ES3_jN6thrust23THRUST_200600_302600_NS6detail15normal_iteratorINSA_10device_ptrIyEEEEPS6_SG_NS0_5tupleIJNSA_16discard_iteratorINSA_11use_defaultEEESK_EEENSH_IJSG_SG_EEES6_PlJ7is_evenIyEEEE10hipError_tPvRmT3_T4_T5_T6_T7_T9_mT8_P12ihipStream_tbDpT10_ENKUlT_T0_E_clISt17integral_constantIbLb0EES18_IbLb1EEEEDaS14_S15_EUlS14_E_NS1_11comp_targetILNS1_3genE9ELNS1_11target_archE1100ELNS1_3gpuE3ELNS1_3repE0EEENS1_30default_config_static_selectorELNS0_4arch9wavefront6targetE1EEEvT1_
; %bb.0:
	.section	.rodata,"a",@progbits
	.p2align	6, 0x0
	.amdhsa_kernel _ZN7rocprim17ROCPRIM_400000_NS6detail17trampoline_kernelINS0_14default_configENS1_25partition_config_selectorILNS1_17partition_subalgoE0EyNS0_10empty_typeEbEEZZNS1_14partition_implILS5_0ELb0ES3_jN6thrust23THRUST_200600_302600_NS6detail15normal_iteratorINSA_10device_ptrIyEEEEPS6_SG_NS0_5tupleIJNSA_16discard_iteratorINSA_11use_defaultEEESK_EEENSH_IJSG_SG_EEES6_PlJ7is_evenIyEEEE10hipError_tPvRmT3_T4_T5_T6_T7_T9_mT8_P12ihipStream_tbDpT10_ENKUlT_T0_E_clISt17integral_constantIbLb0EES18_IbLb1EEEEDaS14_S15_EUlS14_E_NS1_11comp_targetILNS1_3genE9ELNS1_11target_archE1100ELNS1_3gpuE3ELNS1_3repE0EEENS1_30default_config_static_selectorELNS0_4arch9wavefront6targetE1EEEvT1_
		.amdhsa_group_segment_fixed_size 0
		.amdhsa_private_segment_fixed_size 0
		.amdhsa_kernarg_size 152
		.amdhsa_user_sgpr_count 2
		.amdhsa_user_sgpr_dispatch_ptr 0
		.amdhsa_user_sgpr_queue_ptr 0
		.amdhsa_user_sgpr_kernarg_segment_ptr 1
		.amdhsa_user_sgpr_dispatch_id 0
		.amdhsa_user_sgpr_kernarg_preload_length 0
		.amdhsa_user_sgpr_kernarg_preload_offset 0
		.amdhsa_user_sgpr_private_segment_size 0
		.amdhsa_uses_dynamic_stack 0
		.amdhsa_enable_private_segment 0
		.amdhsa_system_sgpr_workgroup_id_x 1
		.amdhsa_system_sgpr_workgroup_id_y 0
		.amdhsa_system_sgpr_workgroup_id_z 0
		.amdhsa_system_sgpr_workgroup_info 0
		.amdhsa_system_vgpr_workitem_id 0
		.amdhsa_next_free_vgpr 1
		.amdhsa_next_free_sgpr 0
		.amdhsa_accum_offset 4
		.amdhsa_reserve_vcc 0
		.amdhsa_float_round_mode_32 0
		.amdhsa_float_round_mode_16_64 0
		.amdhsa_float_denorm_mode_32 3
		.amdhsa_float_denorm_mode_16_64 3
		.amdhsa_dx10_clamp 1
		.amdhsa_ieee_mode 1
		.amdhsa_fp16_overflow 0
		.amdhsa_tg_split 0
		.amdhsa_exception_fp_ieee_invalid_op 0
		.amdhsa_exception_fp_denorm_src 0
		.amdhsa_exception_fp_ieee_div_zero 0
		.amdhsa_exception_fp_ieee_overflow 0
		.amdhsa_exception_fp_ieee_underflow 0
		.amdhsa_exception_fp_ieee_inexact 0
		.amdhsa_exception_int_div_zero 0
	.end_amdhsa_kernel
	.section	.text._ZN7rocprim17ROCPRIM_400000_NS6detail17trampoline_kernelINS0_14default_configENS1_25partition_config_selectorILNS1_17partition_subalgoE0EyNS0_10empty_typeEbEEZZNS1_14partition_implILS5_0ELb0ES3_jN6thrust23THRUST_200600_302600_NS6detail15normal_iteratorINSA_10device_ptrIyEEEEPS6_SG_NS0_5tupleIJNSA_16discard_iteratorINSA_11use_defaultEEESK_EEENSH_IJSG_SG_EEES6_PlJ7is_evenIyEEEE10hipError_tPvRmT3_T4_T5_T6_T7_T9_mT8_P12ihipStream_tbDpT10_ENKUlT_T0_E_clISt17integral_constantIbLb0EES18_IbLb1EEEEDaS14_S15_EUlS14_E_NS1_11comp_targetILNS1_3genE9ELNS1_11target_archE1100ELNS1_3gpuE3ELNS1_3repE0EEENS1_30default_config_static_selectorELNS0_4arch9wavefront6targetE1EEEvT1_,"axG",@progbits,_ZN7rocprim17ROCPRIM_400000_NS6detail17trampoline_kernelINS0_14default_configENS1_25partition_config_selectorILNS1_17partition_subalgoE0EyNS0_10empty_typeEbEEZZNS1_14partition_implILS5_0ELb0ES3_jN6thrust23THRUST_200600_302600_NS6detail15normal_iteratorINSA_10device_ptrIyEEEEPS6_SG_NS0_5tupleIJNSA_16discard_iteratorINSA_11use_defaultEEESK_EEENSH_IJSG_SG_EEES6_PlJ7is_evenIyEEEE10hipError_tPvRmT3_T4_T5_T6_T7_T9_mT8_P12ihipStream_tbDpT10_ENKUlT_T0_E_clISt17integral_constantIbLb0EES18_IbLb1EEEEDaS14_S15_EUlS14_E_NS1_11comp_targetILNS1_3genE9ELNS1_11target_archE1100ELNS1_3gpuE3ELNS1_3repE0EEENS1_30default_config_static_selectorELNS0_4arch9wavefront6targetE1EEEvT1_,comdat
.Lfunc_end2329:
	.size	_ZN7rocprim17ROCPRIM_400000_NS6detail17trampoline_kernelINS0_14default_configENS1_25partition_config_selectorILNS1_17partition_subalgoE0EyNS0_10empty_typeEbEEZZNS1_14partition_implILS5_0ELb0ES3_jN6thrust23THRUST_200600_302600_NS6detail15normal_iteratorINSA_10device_ptrIyEEEEPS6_SG_NS0_5tupleIJNSA_16discard_iteratorINSA_11use_defaultEEESK_EEENSH_IJSG_SG_EEES6_PlJ7is_evenIyEEEE10hipError_tPvRmT3_T4_T5_T6_T7_T9_mT8_P12ihipStream_tbDpT10_ENKUlT_T0_E_clISt17integral_constantIbLb0EES18_IbLb1EEEEDaS14_S15_EUlS14_E_NS1_11comp_targetILNS1_3genE9ELNS1_11target_archE1100ELNS1_3gpuE3ELNS1_3repE0EEENS1_30default_config_static_selectorELNS0_4arch9wavefront6targetE1EEEvT1_, .Lfunc_end2329-_ZN7rocprim17ROCPRIM_400000_NS6detail17trampoline_kernelINS0_14default_configENS1_25partition_config_selectorILNS1_17partition_subalgoE0EyNS0_10empty_typeEbEEZZNS1_14partition_implILS5_0ELb0ES3_jN6thrust23THRUST_200600_302600_NS6detail15normal_iteratorINSA_10device_ptrIyEEEEPS6_SG_NS0_5tupleIJNSA_16discard_iteratorINSA_11use_defaultEEESK_EEENSH_IJSG_SG_EEES6_PlJ7is_evenIyEEEE10hipError_tPvRmT3_T4_T5_T6_T7_T9_mT8_P12ihipStream_tbDpT10_ENKUlT_T0_E_clISt17integral_constantIbLb0EES18_IbLb1EEEEDaS14_S15_EUlS14_E_NS1_11comp_targetILNS1_3genE9ELNS1_11target_archE1100ELNS1_3gpuE3ELNS1_3repE0EEENS1_30default_config_static_selectorELNS0_4arch9wavefront6targetE1EEEvT1_
                                        ; -- End function
	.section	.AMDGPU.csdata,"",@progbits
; Kernel info:
; codeLenInByte = 0
; NumSgprs: 6
; NumVgprs: 0
; NumAgprs: 0
; TotalNumVgprs: 0
; ScratchSize: 0
; MemoryBound: 0
; FloatMode: 240
; IeeeMode: 1
; LDSByteSize: 0 bytes/workgroup (compile time only)
; SGPRBlocks: 0
; VGPRBlocks: 0
; NumSGPRsForWavesPerEU: 6
; NumVGPRsForWavesPerEU: 1
; AccumOffset: 4
; Occupancy: 8
; WaveLimiterHint : 0
; COMPUTE_PGM_RSRC2:SCRATCH_EN: 0
; COMPUTE_PGM_RSRC2:USER_SGPR: 2
; COMPUTE_PGM_RSRC2:TRAP_HANDLER: 0
; COMPUTE_PGM_RSRC2:TGID_X_EN: 1
; COMPUTE_PGM_RSRC2:TGID_Y_EN: 0
; COMPUTE_PGM_RSRC2:TGID_Z_EN: 0
; COMPUTE_PGM_RSRC2:TIDIG_COMP_CNT: 0
; COMPUTE_PGM_RSRC3_GFX90A:ACCUM_OFFSET: 0
; COMPUTE_PGM_RSRC3_GFX90A:TG_SPLIT: 0
	.section	.text._ZN7rocprim17ROCPRIM_400000_NS6detail17trampoline_kernelINS0_14default_configENS1_25partition_config_selectorILNS1_17partition_subalgoE0EyNS0_10empty_typeEbEEZZNS1_14partition_implILS5_0ELb0ES3_jN6thrust23THRUST_200600_302600_NS6detail15normal_iteratorINSA_10device_ptrIyEEEEPS6_SG_NS0_5tupleIJNSA_16discard_iteratorINSA_11use_defaultEEESK_EEENSH_IJSG_SG_EEES6_PlJ7is_evenIyEEEE10hipError_tPvRmT3_T4_T5_T6_T7_T9_mT8_P12ihipStream_tbDpT10_ENKUlT_T0_E_clISt17integral_constantIbLb0EES18_IbLb1EEEEDaS14_S15_EUlS14_E_NS1_11comp_targetILNS1_3genE8ELNS1_11target_archE1030ELNS1_3gpuE2ELNS1_3repE0EEENS1_30default_config_static_selectorELNS0_4arch9wavefront6targetE1EEEvT1_,"axG",@progbits,_ZN7rocprim17ROCPRIM_400000_NS6detail17trampoline_kernelINS0_14default_configENS1_25partition_config_selectorILNS1_17partition_subalgoE0EyNS0_10empty_typeEbEEZZNS1_14partition_implILS5_0ELb0ES3_jN6thrust23THRUST_200600_302600_NS6detail15normal_iteratorINSA_10device_ptrIyEEEEPS6_SG_NS0_5tupleIJNSA_16discard_iteratorINSA_11use_defaultEEESK_EEENSH_IJSG_SG_EEES6_PlJ7is_evenIyEEEE10hipError_tPvRmT3_T4_T5_T6_T7_T9_mT8_P12ihipStream_tbDpT10_ENKUlT_T0_E_clISt17integral_constantIbLb0EES18_IbLb1EEEEDaS14_S15_EUlS14_E_NS1_11comp_targetILNS1_3genE8ELNS1_11target_archE1030ELNS1_3gpuE2ELNS1_3repE0EEENS1_30default_config_static_selectorELNS0_4arch9wavefront6targetE1EEEvT1_,comdat
	.protected	_ZN7rocprim17ROCPRIM_400000_NS6detail17trampoline_kernelINS0_14default_configENS1_25partition_config_selectorILNS1_17partition_subalgoE0EyNS0_10empty_typeEbEEZZNS1_14partition_implILS5_0ELb0ES3_jN6thrust23THRUST_200600_302600_NS6detail15normal_iteratorINSA_10device_ptrIyEEEEPS6_SG_NS0_5tupleIJNSA_16discard_iteratorINSA_11use_defaultEEESK_EEENSH_IJSG_SG_EEES6_PlJ7is_evenIyEEEE10hipError_tPvRmT3_T4_T5_T6_T7_T9_mT8_P12ihipStream_tbDpT10_ENKUlT_T0_E_clISt17integral_constantIbLb0EES18_IbLb1EEEEDaS14_S15_EUlS14_E_NS1_11comp_targetILNS1_3genE8ELNS1_11target_archE1030ELNS1_3gpuE2ELNS1_3repE0EEENS1_30default_config_static_selectorELNS0_4arch9wavefront6targetE1EEEvT1_ ; -- Begin function _ZN7rocprim17ROCPRIM_400000_NS6detail17trampoline_kernelINS0_14default_configENS1_25partition_config_selectorILNS1_17partition_subalgoE0EyNS0_10empty_typeEbEEZZNS1_14partition_implILS5_0ELb0ES3_jN6thrust23THRUST_200600_302600_NS6detail15normal_iteratorINSA_10device_ptrIyEEEEPS6_SG_NS0_5tupleIJNSA_16discard_iteratorINSA_11use_defaultEEESK_EEENSH_IJSG_SG_EEES6_PlJ7is_evenIyEEEE10hipError_tPvRmT3_T4_T5_T6_T7_T9_mT8_P12ihipStream_tbDpT10_ENKUlT_T0_E_clISt17integral_constantIbLb0EES18_IbLb1EEEEDaS14_S15_EUlS14_E_NS1_11comp_targetILNS1_3genE8ELNS1_11target_archE1030ELNS1_3gpuE2ELNS1_3repE0EEENS1_30default_config_static_selectorELNS0_4arch9wavefront6targetE1EEEvT1_
	.globl	_ZN7rocprim17ROCPRIM_400000_NS6detail17trampoline_kernelINS0_14default_configENS1_25partition_config_selectorILNS1_17partition_subalgoE0EyNS0_10empty_typeEbEEZZNS1_14partition_implILS5_0ELb0ES3_jN6thrust23THRUST_200600_302600_NS6detail15normal_iteratorINSA_10device_ptrIyEEEEPS6_SG_NS0_5tupleIJNSA_16discard_iteratorINSA_11use_defaultEEESK_EEENSH_IJSG_SG_EEES6_PlJ7is_evenIyEEEE10hipError_tPvRmT3_T4_T5_T6_T7_T9_mT8_P12ihipStream_tbDpT10_ENKUlT_T0_E_clISt17integral_constantIbLb0EES18_IbLb1EEEEDaS14_S15_EUlS14_E_NS1_11comp_targetILNS1_3genE8ELNS1_11target_archE1030ELNS1_3gpuE2ELNS1_3repE0EEENS1_30default_config_static_selectorELNS0_4arch9wavefront6targetE1EEEvT1_
	.p2align	8
	.type	_ZN7rocprim17ROCPRIM_400000_NS6detail17trampoline_kernelINS0_14default_configENS1_25partition_config_selectorILNS1_17partition_subalgoE0EyNS0_10empty_typeEbEEZZNS1_14partition_implILS5_0ELb0ES3_jN6thrust23THRUST_200600_302600_NS6detail15normal_iteratorINSA_10device_ptrIyEEEEPS6_SG_NS0_5tupleIJNSA_16discard_iteratorINSA_11use_defaultEEESK_EEENSH_IJSG_SG_EEES6_PlJ7is_evenIyEEEE10hipError_tPvRmT3_T4_T5_T6_T7_T9_mT8_P12ihipStream_tbDpT10_ENKUlT_T0_E_clISt17integral_constantIbLb0EES18_IbLb1EEEEDaS14_S15_EUlS14_E_NS1_11comp_targetILNS1_3genE8ELNS1_11target_archE1030ELNS1_3gpuE2ELNS1_3repE0EEENS1_30default_config_static_selectorELNS0_4arch9wavefront6targetE1EEEvT1_,@function
_ZN7rocprim17ROCPRIM_400000_NS6detail17trampoline_kernelINS0_14default_configENS1_25partition_config_selectorILNS1_17partition_subalgoE0EyNS0_10empty_typeEbEEZZNS1_14partition_implILS5_0ELb0ES3_jN6thrust23THRUST_200600_302600_NS6detail15normal_iteratorINSA_10device_ptrIyEEEEPS6_SG_NS0_5tupleIJNSA_16discard_iteratorINSA_11use_defaultEEESK_EEENSH_IJSG_SG_EEES6_PlJ7is_evenIyEEEE10hipError_tPvRmT3_T4_T5_T6_T7_T9_mT8_P12ihipStream_tbDpT10_ENKUlT_T0_E_clISt17integral_constantIbLb0EES18_IbLb1EEEEDaS14_S15_EUlS14_E_NS1_11comp_targetILNS1_3genE8ELNS1_11target_archE1030ELNS1_3gpuE2ELNS1_3repE0EEENS1_30default_config_static_selectorELNS0_4arch9wavefront6targetE1EEEvT1_: ; @_ZN7rocprim17ROCPRIM_400000_NS6detail17trampoline_kernelINS0_14default_configENS1_25partition_config_selectorILNS1_17partition_subalgoE0EyNS0_10empty_typeEbEEZZNS1_14partition_implILS5_0ELb0ES3_jN6thrust23THRUST_200600_302600_NS6detail15normal_iteratorINSA_10device_ptrIyEEEEPS6_SG_NS0_5tupleIJNSA_16discard_iteratorINSA_11use_defaultEEESK_EEENSH_IJSG_SG_EEES6_PlJ7is_evenIyEEEE10hipError_tPvRmT3_T4_T5_T6_T7_T9_mT8_P12ihipStream_tbDpT10_ENKUlT_T0_E_clISt17integral_constantIbLb0EES18_IbLb1EEEEDaS14_S15_EUlS14_E_NS1_11comp_targetILNS1_3genE8ELNS1_11target_archE1030ELNS1_3gpuE2ELNS1_3repE0EEENS1_30default_config_static_selectorELNS0_4arch9wavefront6targetE1EEEvT1_
; %bb.0:
	.section	.rodata,"a",@progbits
	.p2align	6, 0x0
	.amdhsa_kernel _ZN7rocprim17ROCPRIM_400000_NS6detail17trampoline_kernelINS0_14default_configENS1_25partition_config_selectorILNS1_17partition_subalgoE0EyNS0_10empty_typeEbEEZZNS1_14partition_implILS5_0ELb0ES3_jN6thrust23THRUST_200600_302600_NS6detail15normal_iteratorINSA_10device_ptrIyEEEEPS6_SG_NS0_5tupleIJNSA_16discard_iteratorINSA_11use_defaultEEESK_EEENSH_IJSG_SG_EEES6_PlJ7is_evenIyEEEE10hipError_tPvRmT3_T4_T5_T6_T7_T9_mT8_P12ihipStream_tbDpT10_ENKUlT_T0_E_clISt17integral_constantIbLb0EES18_IbLb1EEEEDaS14_S15_EUlS14_E_NS1_11comp_targetILNS1_3genE8ELNS1_11target_archE1030ELNS1_3gpuE2ELNS1_3repE0EEENS1_30default_config_static_selectorELNS0_4arch9wavefront6targetE1EEEvT1_
		.amdhsa_group_segment_fixed_size 0
		.amdhsa_private_segment_fixed_size 0
		.amdhsa_kernarg_size 152
		.amdhsa_user_sgpr_count 2
		.amdhsa_user_sgpr_dispatch_ptr 0
		.amdhsa_user_sgpr_queue_ptr 0
		.amdhsa_user_sgpr_kernarg_segment_ptr 1
		.amdhsa_user_sgpr_dispatch_id 0
		.amdhsa_user_sgpr_kernarg_preload_length 0
		.amdhsa_user_sgpr_kernarg_preload_offset 0
		.amdhsa_user_sgpr_private_segment_size 0
		.amdhsa_uses_dynamic_stack 0
		.amdhsa_enable_private_segment 0
		.amdhsa_system_sgpr_workgroup_id_x 1
		.amdhsa_system_sgpr_workgroup_id_y 0
		.amdhsa_system_sgpr_workgroup_id_z 0
		.amdhsa_system_sgpr_workgroup_info 0
		.amdhsa_system_vgpr_workitem_id 0
		.amdhsa_next_free_vgpr 1
		.amdhsa_next_free_sgpr 0
		.amdhsa_accum_offset 4
		.amdhsa_reserve_vcc 0
		.amdhsa_float_round_mode_32 0
		.amdhsa_float_round_mode_16_64 0
		.amdhsa_float_denorm_mode_32 3
		.amdhsa_float_denorm_mode_16_64 3
		.amdhsa_dx10_clamp 1
		.amdhsa_ieee_mode 1
		.amdhsa_fp16_overflow 0
		.amdhsa_tg_split 0
		.amdhsa_exception_fp_ieee_invalid_op 0
		.amdhsa_exception_fp_denorm_src 0
		.amdhsa_exception_fp_ieee_div_zero 0
		.amdhsa_exception_fp_ieee_overflow 0
		.amdhsa_exception_fp_ieee_underflow 0
		.amdhsa_exception_fp_ieee_inexact 0
		.amdhsa_exception_int_div_zero 0
	.end_amdhsa_kernel
	.section	.text._ZN7rocprim17ROCPRIM_400000_NS6detail17trampoline_kernelINS0_14default_configENS1_25partition_config_selectorILNS1_17partition_subalgoE0EyNS0_10empty_typeEbEEZZNS1_14partition_implILS5_0ELb0ES3_jN6thrust23THRUST_200600_302600_NS6detail15normal_iteratorINSA_10device_ptrIyEEEEPS6_SG_NS0_5tupleIJNSA_16discard_iteratorINSA_11use_defaultEEESK_EEENSH_IJSG_SG_EEES6_PlJ7is_evenIyEEEE10hipError_tPvRmT3_T4_T5_T6_T7_T9_mT8_P12ihipStream_tbDpT10_ENKUlT_T0_E_clISt17integral_constantIbLb0EES18_IbLb1EEEEDaS14_S15_EUlS14_E_NS1_11comp_targetILNS1_3genE8ELNS1_11target_archE1030ELNS1_3gpuE2ELNS1_3repE0EEENS1_30default_config_static_selectorELNS0_4arch9wavefront6targetE1EEEvT1_,"axG",@progbits,_ZN7rocprim17ROCPRIM_400000_NS6detail17trampoline_kernelINS0_14default_configENS1_25partition_config_selectorILNS1_17partition_subalgoE0EyNS0_10empty_typeEbEEZZNS1_14partition_implILS5_0ELb0ES3_jN6thrust23THRUST_200600_302600_NS6detail15normal_iteratorINSA_10device_ptrIyEEEEPS6_SG_NS0_5tupleIJNSA_16discard_iteratorINSA_11use_defaultEEESK_EEENSH_IJSG_SG_EEES6_PlJ7is_evenIyEEEE10hipError_tPvRmT3_T4_T5_T6_T7_T9_mT8_P12ihipStream_tbDpT10_ENKUlT_T0_E_clISt17integral_constantIbLb0EES18_IbLb1EEEEDaS14_S15_EUlS14_E_NS1_11comp_targetILNS1_3genE8ELNS1_11target_archE1030ELNS1_3gpuE2ELNS1_3repE0EEENS1_30default_config_static_selectorELNS0_4arch9wavefront6targetE1EEEvT1_,comdat
.Lfunc_end2330:
	.size	_ZN7rocprim17ROCPRIM_400000_NS6detail17trampoline_kernelINS0_14default_configENS1_25partition_config_selectorILNS1_17partition_subalgoE0EyNS0_10empty_typeEbEEZZNS1_14partition_implILS5_0ELb0ES3_jN6thrust23THRUST_200600_302600_NS6detail15normal_iteratorINSA_10device_ptrIyEEEEPS6_SG_NS0_5tupleIJNSA_16discard_iteratorINSA_11use_defaultEEESK_EEENSH_IJSG_SG_EEES6_PlJ7is_evenIyEEEE10hipError_tPvRmT3_T4_T5_T6_T7_T9_mT8_P12ihipStream_tbDpT10_ENKUlT_T0_E_clISt17integral_constantIbLb0EES18_IbLb1EEEEDaS14_S15_EUlS14_E_NS1_11comp_targetILNS1_3genE8ELNS1_11target_archE1030ELNS1_3gpuE2ELNS1_3repE0EEENS1_30default_config_static_selectorELNS0_4arch9wavefront6targetE1EEEvT1_, .Lfunc_end2330-_ZN7rocprim17ROCPRIM_400000_NS6detail17trampoline_kernelINS0_14default_configENS1_25partition_config_selectorILNS1_17partition_subalgoE0EyNS0_10empty_typeEbEEZZNS1_14partition_implILS5_0ELb0ES3_jN6thrust23THRUST_200600_302600_NS6detail15normal_iteratorINSA_10device_ptrIyEEEEPS6_SG_NS0_5tupleIJNSA_16discard_iteratorINSA_11use_defaultEEESK_EEENSH_IJSG_SG_EEES6_PlJ7is_evenIyEEEE10hipError_tPvRmT3_T4_T5_T6_T7_T9_mT8_P12ihipStream_tbDpT10_ENKUlT_T0_E_clISt17integral_constantIbLb0EES18_IbLb1EEEEDaS14_S15_EUlS14_E_NS1_11comp_targetILNS1_3genE8ELNS1_11target_archE1030ELNS1_3gpuE2ELNS1_3repE0EEENS1_30default_config_static_selectorELNS0_4arch9wavefront6targetE1EEEvT1_
                                        ; -- End function
	.section	.AMDGPU.csdata,"",@progbits
; Kernel info:
; codeLenInByte = 0
; NumSgprs: 6
; NumVgprs: 0
; NumAgprs: 0
; TotalNumVgprs: 0
; ScratchSize: 0
; MemoryBound: 0
; FloatMode: 240
; IeeeMode: 1
; LDSByteSize: 0 bytes/workgroup (compile time only)
; SGPRBlocks: 0
; VGPRBlocks: 0
; NumSGPRsForWavesPerEU: 6
; NumVGPRsForWavesPerEU: 1
; AccumOffset: 4
; Occupancy: 8
; WaveLimiterHint : 0
; COMPUTE_PGM_RSRC2:SCRATCH_EN: 0
; COMPUTE_PGM_RSRC2:USER_SGPR: 2
; COMPUTE_PGM_RSRC2:TRAP_HANDLER: 0
; COMPUTE_PGM_RSRC2:TGID_X_EN: 1
; COMPUTE_PGM_RSRC2:TGID_Y_EN: 0
; COMPUTE_PGM_RSRC2:TGID_Z_EN: 0
; COMPUTE_PGM_RSRC2:TIDIG_COMP_CNT: 0
; COMPUTE_PGM_RSRC3_GFX90A:ACCUM_OFFSET: 0
; COMPUTE_PGM_RSRC3_GFX90A:TG_SPLIT: 0
	.section	.text._ZN7rocprim17ROCPRIM_400000_NS6detail17trampoline_kernelINS0_14default_configENS1_25partition_config_selectorILNS1_17partition_subalgoE0EyNS0_10empty_typeEbEEZZNS1_14partition_implILS5_0ELb0ES3_jN6thrust23THRUST_200600_302600_NS6detail15normal_iteratorINSA_10device_ptrIyEEEEPS6_SG_NS0_5tupleIJSF_NSA_16discard_iteratorINSA_11use_defaultEEEEEENSH_IJSG_SG_EEES6_PlJ7is_evenIyEEEE10hipError_tPvRmT3_T4_T5_T6_T7_T9_mT8_P12ihipStream_tbDpT10_ENKUlT_T0_E_clISt17integral_constantIbLb0EES19_EEDaS14_S15_EUlS14_E_NS1_11comp_targetILNS1_3genE0ELNS1_11target_archE4294967295ELNS1_3gpuE0ELNS1_3repE0EEENS1_30default_config_static_selectorELNS0_4arch9wavefront6targetE1EEEvT1_,"axG",@progbits,_ZN7rocprim17ROCPRIM_400000_NS6detail17trampoline_kernelINS0_14default_configENS1_25partition_config_selectorILNS1_17partition_subalgoE0EyNS0_10empty_typeEbEEZZNS1_14partition_implILS5_0ELb0ES3_jN6thrust23THRUST_200600_302600_NS6detail15normal_iteratorINSA_10device_ptrIyEEEEPS6_SG_NS0_5tupleIJSF_NSA_16discard_iteratorINSA_11use_defaultEEEEEENSH_IJSG_SG_EEES6_PlJ7is_evenIyEEEE10hipError_tPvRmT3_T4_T5_T6_T7_T9_mT8_P12ihipStream_tbDpT10_ENKUlT_T0_E_clISt17integral_constantIbLb0EES19_EEDaS14_S15_EUlS14_E_NS1_11comp_targetILNS1_3genE0ELNS1_11target_archE4294967295ELNS1_3gpuE0ELNS1_3repE0EEENS1_30default_config_static_selectorELNS0_4arch9wavefront6targetE1EEEvT1_,comdat
	.protected	_ZN7rocprim17ROCPRIM_400000_NS6detail17trampoline_kernelINS0_14default_configENS1_25partition_config_selectorILNS1_17partition_subalgoE0EyNS0_10empty_typeEbEEZZNS1_14partition_implILS5_0ELb0ES3_jN6thrust23THRUST_200600_302600_NS6detail15normal_iteratorINSA_10device_ptrIyEEEEPS6_SG_NS0_5tupleIJSF_NSA_16discard_iteratorINSA_11use_defaultEEEEEENSH_IJSG_SG_EEES6_PlJ7is_evenIyEEEE10hipError_tPvRmT3_T4_T5_T6_T7_T9_mT8_P12ihipStream_tbDpT10_ENKUlT_T0_E_clISt17integral_constantIbLb0EES19_EEDaS14_S15_EUlS14_E_NS1_11comp_targetILNS1_3genE0ELNS1_11target_archE4294967295ELNS1_3gpuE0ELNS1_3repE0EEENS1_30default_config_static_selectorELNS0_4arch9wavefront6targetE1EEEvT1_ ; -- Begin function _ZN7rocprim17ROCPRIM_400000_NS6detail17trampoline_kernelINS0_14default_configENS1_25partition_config_selectorILNS1_17partition_subalgoE0EyNS0_10empty_typeEbEEZZNS1_14partition_implILS5_0ELb0ES3_jN6thrust23THRUST_200600_302600_NS6detail15normal_iteratorINSA_10device_ptrIyEEEEPS6_SG_NS0_5tupleIJSF_NSA_16discard_iteratorINSA_11use_defaultEEEEEENSH_IJSG_SG_EEES6_PlJ7is_evenIyEEEE10hipError_tPvRmT3_T4_T5_T6_T7_T9_mT8_P12ihipStream_tbDpT10_ENKUlT_T0_E_clISt17integral_constantIbLb0EES19_EEDaS14_S15_EUlS14_E_NS1_11comp_targetILNS1_3genE0ELNS1_11target_archE4294967295ELNS1_3gpuE0ELNS1_3repE0EEENS1_30default_config_static_selectorELNS0_4arch9wavefront6targetE1EEEvT1_
	.globl	_ZN7rocprim17ROCPRIM_400000_NS6detail17trampoline_kernelINS0_14default_configENS1_25partition_config_selectorILNS1_17partition_subalgoE0EyNS0_10empty_typeEbEEZZNS1_14partition_implILS5_0ELb0ES3_jN6thrust23THRUST_200600_302600_NS6detail15normal_iteratorINSA_10device_ptrIyEEEEPS6_SG_NS0_5tupleIJSF_NSA_16discard_iteratorINSA_11use_defaultEEEEEENSH_IJSG_SG_EEES6_PlJ7is_evenIyEEEE10hipError_tPvRmT3_T4_T5_T6_T7_T9_mT8_P12ihipStream_tbDpT10_ENKUlT_T0_E_clISt17integral_constantIbLb0EES19_EEDaS14_S15_EUlS14_E_NS1_11comp_targetILNS1_3genE0ELNS1_11target_archE4294967295ELNS1_3gpuE0ELNS1_3repE0EEENS1_30default_config_static_selectorELNS0_4arch9wavefront6targetE1EEEvT1_
	.p2align	8
	.type	_ZN7rocprim17ROCPRIM_400000_NS6detail17trampoline_kernelINS0_14default_configENS1_25partition_config_selectorILNS1_17partition_subalgoE0EyNS0_10empty_typeEbEEZZNS1_14partition_implILS5_0ELb0ES3_jN6thrust23THRUST_200600_302600_NS6detail15normal_iteratorINSA_10device_ptrIyEEEEPS6_SG_NS0_5tupleIJSF_NSA_16discard_iteratorINSA_11use_defaultEEEEEENSH_IJSG_SG_EEES6_PlJ7is_evenIyEEEE10hipError_tPvRmT3_T4_T5_T6_T7_T9_mT8_P12ihipStream_tbDpT10_ENKUlT_T0_E_clISt17integral_constantIbLb0EES19_EEDaS14_S15_EUlS14_E_NS1_11comp_targetILNS1_3genE0ELNS1_11target_archE4294967295ELNS1_3gpuE0ELNS1_3repE0EEENS1_30default_config_static_selectorELNS0_4arch9wavefront6targetE1EEEvT1_,@function
_ZN7rocprim17ROCPRIM_400000_NS6detail17trampoline_kernelINS0_14default_configENS1_25partition_config_selectorILNS1_17partition_subalgoE0EyNS0_10empty_typeEbEEZZNS1_14partition_implILS5_0ELb0ES3_jN6thrust23THRUST_200600_302600_NS6detail15normal_iteratorINSA_10device_ptrIyEEEEPS6_SG_NS0_5tupleIJSF_NSA_16discard_iteratorINSA_11use_defaultEEEEEENSH_IJSG_SG_EEES6_PlJ7is_evenIyEEEE10hipError_tPvRmT3_T4_T5_T6_T7_T9_mT8_P12ihipStream_tbDpT10_ENKUlT_T0_E_clISt17integral_constantIbLb0EES19_EEDaS14_S15_EUlS14_E_NS1_11comp_targetILNS1_3genE0ELNS1_11target_archE4294967295ELNS1_3gpuE0ELNS1_3repE0EEENS1_30default_config_static_selectorELNS0_4arch9wavefront6targetE1EEEvT1_: ; @_ZN7rocprim17ROCPRIM_400000_NS6detail17trampoline_kernelINS0_14default_configENS1_25partition_config_selectorILNS1_17partition_subalgoE0EyNS0_10empty_typeEbEEZZNS1_14partition_implILS5_0ELb0ES3_jN6thrust23THRUST_200600_302600_NS6detail15normal_iteratorINSA_10device_ptrIyEEEEPS6_SG_NS0_5tupleIJSF_NSA_16discard_iteratorINSA_11use_defaultEEEEEENSH_IJSG_SG_EEES6_PlJ7is_evenIyEEEE10hipError_tPvRmT3_T4_T5_T6_T7_T9_mT8_P12ihipStream_tbDpT10_ENKUlT_T0_E_clISt17integral_constantIbLb0EES19_EEDaS14_S15_EUlS14_E_NS1_11comp_targetILNS1_3genE0ELNS1_11target_archE4294967295ELNS1_3gpuE0ELNS1_3repE0EEENS1_30default_config_static_selectorELNS0_4arch9wavefront6targetE1EEEvT1_
; %bb.0:
	.section	.rodata,"a",@progbits
	.p2align	6, 0x0
	.amdhsa_kernel _ZN7rocprim17ROCPRIM_400000_NS6detail17trampoline_kernelINS0_14default_configENS1_25partition_config_selectorILNS1_17partition_subalgoE0EyNS0_10empty_typeEbEEZZNS1_14partition_implILS5_0ELb0ES3_jN6thrust23THRUST_200600_302600_NS6detail15normal_iteratorINSA_10device_ptrIyEEEEPS6_SG_NS0_5tupleIJSF_NSA_16discard_iteratorINSA_11use_defaultEEEEEENSH_IJSG_SG_EEES6_PlJ7is_evenIyEEEE10hipError_tPvRmT3_T4_T5_T6_T7_T9_mT8_P12ihipStream_tbDpT10_ENKUlT_T0_E_clISt17integral_constantIbLb0EES19_EEDaS14_S15_EUlS14_E_NS1_11comp_targetILNS1_3genE0ELNS1_11target_archE4294967295ELNS1_3gpuE0ELNS1_3repE0EEENS1_30default_config_static_selectorELNS0_4arch9wavefront6targetE1EEEvT1_
		.amdhsa_group_segment_fixed_size 0
		.amdhsa_private_segment_fixed_size 0
		.amdhsa_kernarg_size 128
		.amdhsa_user_sgpr_count 2
		.amdhsa_user_sgpr_dispatch_ptr 0
		.amdhsa_user_sgpr_queue_ptr 0
		.amdhsa_user_sgpr_kernarg_segment_ptr 1
		.amdhsa_user_sgpr_dispatch_id 0
		.amdhsa_user_sgpr_kernarg_preload_length 0
		.amdhsa_user_sgpr_kernarg_preload_offset 0
		.amdhsa_user_sgpr_private_segment_size 0
		.amdhsa_uses_dynamic_stack 0
		.amdhsa_enable_private_segment 0
		.amdhsa_system_sgpr_workgroup_id_x 1
		.amdhsa_system_sgpr_workgroup_id_y 0
		.amdhsa_system_sgpr_workgroup_id_z 0
		.amdhsa_system_sgpr_workgroup_info 0
		.amdhsa_system_vgpr_workitem_id 0
		.amdhsa_next_free_vgpr 1
		.amdhsa_next_free_sgpr 0
		.amdhsa_accum_offset 4
		.amdhsa_reserve_vcc 0
		.amdhsa_float_round_mode_32 0
		.amdhsa_float_round_mode_16_64 0
		.amdhsa_float_denorm_mode_32 3
		.amdhsa_float_denorm_mode_16_64 3
		.amdhsa_dx10_clamp 1
		.amdhsa_ieee_mode 1
		.amdhsa_fp16_overflow 0
		.amdhsa_tg_split 0
		.amdhsa_exception_fp_ieee_invalid_op 0
		.amdhsa_exception_fp_denorm_src 0
		.amdhsa_exception_fp_ieee_div_zero 0
		.amdhsa_exception_fp_ieee_overflow 0
		.amdhsa_exception_fp_ieee_underflow 0
		.amdhsa_exception_fp_ieee_inexact 0
		.amdhsa_exception_int_div_zero 0
	.end_amdhsa_kernel
	.section	.text._ZN7rocprim17ROCPRIM_400000_NS6detail17trampoline_kernelINS0_14default_configENS1_25partition_config_selectorILNS1_17partition_subalgoE0EyNS0_10empty_typeEbEEZZNS1_14partition_implILS5_0ELb0ES3_jN6thrust23THRUST_200600_302600_NS6detail15normal_iteratorINSA_10device_ptrIyEEEEPS6_SG_NS0_5tupleIJSF_NSA_16discard_iteratorINSA_11use_defaultEEEEEENSH_IJSG_SG_EEES6_PlJ7is_evenIyEEEE10hipError_tPvRmT3_T4_T5_T6_T7_T9_mT8_P12ihipStream_tbDpT10_ENKUlT_T0_E_clISt17integral_constantIbLb0EES19_EEDaS14_S15_EUlS14_E_NS1_11comp_targetILNS1_3genE0ELNS1_11target_archE4294967295ELNS1_3gpuE0ELNS1_3repE0EEENS1_30default_config_static_selectorELNS0_4arch9wavefront6targetE1EEEvT1_,"axG",@progbits,_ZN7rocprim17ROCPRIM_400000_NS6detail17trampoline_kernelINS0_14default_configENS1_25partition_config_selectorILNS1_17partition_subalgoE0EyNS0_10empty_typeEbEEZZNS1_14partition_implILS5_0ELb0ES3_jN6thrust23THRUST_200600_302600_NS6detail15normal_iteratorINSA_10device_ptrIyEEEEPS6_SG_NS0_5tupleIJSF_NSA_16discard_iteratorINSA_11use_defaultEEEEEENSH_IJSG_SG_EEES6_PlJ7is_evenIyEEEE10hipError_tPvRmT3_T4_T5_T6_T7_T9_mT8_P12ihipStream_tbDpT10_ENKUlT_T0_E_clISt17integral_constantIbLb0EES19_EEDaS14_S15_EUlS14_E_NS1_11comp_targetILNS1_3genE0ELNS1_11target_archE4294967295ELNS1_3gpuE0ELNS1_3repE0EEENS1_30default_config_static_selectorELNS0_4arch9wavefront6targetE1EEEvT1_,comdat
.Lfunc_end2331:
	.size	_ZN7rocprim17ROCPRIM_400000_NS6detail17trampoline_kernelINS0_14default_configENS1_25partition_config_selectorILNS1_17partition_subalgoE0EyNS0_10empty_typeEbEEZZNS1_14partition_implILS5_0ELb0ES3_jN6thrust23THRUST_200600_302600_NS6detail15normal_iteratorINSA_10device_ptrIyEEEEPS6_SG_NS0_5tupleIJSF_NSA_16discard_iteratorINSA_11use_defaultEEEEEENSH_IJSG_SG_EEES6_PlJ7is_evenIyEEEE10hipError_tPvRmT3_T4_T5_T6_T7_T9_mT8_P12ihipStream_tbDpT10_ENKUlT_T0_E_clISt17integral_constantIbLb0EES19_EEDaS14_S15_EUlS14_E_NS1_11comp_targetILNS1_3genE0ELNS1_11target_archE4294967295ELNS1_3gpuE0ELNS1_3repE0EEENS1_30default_config_static_selectorELNS0_4arch9wavefront6targetE1EEEvT1_, .Lfunc_end2331-_ZN7rocprim17ROCPRIM_400000_NS6detail17trampoline_kernelINS0_14default_configENS1_25partition_config_selectorILNS1_17partition_subalgoE0EyNS0_10empty_typeEbEEZZNS1_14partition_implILS5_0ELb0ES3_jN6thrust23THRUST_200600_302600_NS6detail15normal_iteratorINSA_10device_ptrIyEEEEPS6_SG_NS0_5tupleIJSF_NSA_16discard_iteratorINSA_11use_defaultEEEEEENSH_IJSG_SG_EEES6_PlJ7is_evenIyEEEE10hipError_tPvRmT3_T4_T5_T6_T7_T9_mT8_P12ihipStream_tbDpT10_ENKUlT_T0_E_clISt17integral_constantIbLb0EES19_EEDaS14_S15_EUlS14_E_NS1_11comp_targetILNS1_3genE0ELNS1_11target_archE4294967295ELNS1_3gpuE0ELNS1_3repE0EEENS1_30default_config_static_selectorELNS0_4arch9wavefront6targetE1EEEvT1_
                                        ; -- End function
	.section	.AMDGPU.csdata,"",@progbits
; Kernel info:
; codeLenInByte = 0
; NumSgprs: 6
; NumVgprs: 0
; NumAgprs: 0
; TotalNumVgprs: 0
; ScratchSize: 0
; MemoryBound: 0
; FloatMode: 240
; IeeeMode: 1
; LDSByteSize: 0 bytes/workgroup (compile time only)
; SGPRBlocks: 0
; VGPRBlocks: 0
; NumSGPRsForWavesPerEU: 6
; NumVGPRsForWavesPerEU: 1
; AccumOffset: 4
; Occupancy: 8
; WaveLimiterHint : 0
; COMPUTE_PGM_RSRC2:SCRATCH_EN: 0
; COMPUTE_PGM_RSRC2:USER_SGPR: 2
; COMPUTE_PGM_RSRC2:TRAP_HANDLER: 0
; COMPUTE_PGM_RSRC2:TGID_X_EN: 1
; COMPUTE_PGM_RSRC2:TGID_Y_EN: 0
; COMPUTE_PGM_RSRC2:TGID_Z_EN: 0
; COMPUTE_PGM_RSRC2:TIDIG_COMP_CNT: 0
; COMPUTE_PGM_RSRC3_GFX90A:ACCUM_OFFSET: 0
; COMPUTE_PGM_RSRC3_GFX90A:TG_SPLIT: 0
	.section	.text._ZN7rocprim17ROCPRIM_400000_NS6detail17trampoline_kernelINS0_14default_configENS1_25partition_config_selectorILNS1_17partition_subalgoE0EyNS0_10empty_typeEbEEZZNS1_14partition_implILS5_0ELb0ES3_jN6thrust23THRUST_200600_302600_NS6detail15normal_iteratorINSA_10device_ptrIyEEEEPS6_SG_NS0_5tupleIJSF_NSA_16discard_iteratorINSA_11use_defaultEEEEEENSH_IJSG_SG_EEES6_PlJ7is_evenIyEEEE10hipError_tPvRmT3_T4_T5_T6_T7_T9_mT8_P12ihipStream_tbDpT10_ENKUlT_T0_E_clISt17integral_constantIbLb0EES19_EEDaS14_S15_EUlS14_E_NS1_11comp_targetILNS1_3genE5ELNS1_11target_archE942ELNS1_3gpuE9ELNS1_3repE0EEENS1_30default_config_static_selectorELNS0_4arch9wavefront6targetE1EEEvT1_,"axG",@progbits,_ZN7rocprim17ROCPRIM_400000_NS6detail17trampoline_kernelINS0_14default_configENS1_25partition_config_selectorILNS1_17partition_subalgoE0EyNS0_10empty_typeEbEEZZNS1_14partition_implILS5_0ELb0ES3_jN6thrust23THRUST_200600_302600_NS6detail15normal_iteratorINSA_10device_ptrIyEEEEPS6_SG_NS0_5tupleIJSF_NSA_16discard_iteratorINSA_11use_defaultEEEEEENSH_IJSG_SG_EEES6_PlJ7is_evenIyEEEE10hipError_tPvRmT3_T4_T5_T6_T7_T9_mT8_P12ihipStream_tbDpT10_ENKUlT_T0_E_clISt17integral_constantIbLb0EES19_EEDaS14_S15_EUlS14_E_NS1_11comp_targetILNS1_3genE5ELNS1_11target_archE942ELNS1_3gpuE9ELNS1_3repE0EEENS1_30default_config_static_selectorELNS0_4arch9wavefront6targetE1EEEvT1_,comdat
	.protected	_ZN7rocprim17ROCPRIM_400000_NS6detail17trampoline_kernelINS0_14default_configENS1_25partition_config_selectorILNS1_17partition_subalgoE0EyNS0_10empty_typeEbEEZZNS1_14partition_implILS5_0ELb0ES3_jN6thrust23THRUST_200600_302600_NS6detail15normal_iteratorINSA_10device_ptrIyEEEEPS6_SG_NS0_5tupleIJSF_NSA_16discard_iteratorINSA_11use_defaultEEEEEENSH_IJSG_SG_EEES6_PlJ7is_evenIyEEEE10hipError_tPvRmT3_T4_T5_T6_T7_T9_mT8_P12ihipStream_tbDpT10_ENKUlT_T0_E_clISt17integral_constantIbLb0EES19_EEDaS14_S15_EUlS14_E_NS1_11comp_targetILNS1_3genE5ELNS1_11target_archE942ELNS1_3gpuE9ELNS1_3repE0EEENS1_30default_config_static_selectorELNS0_4arch9wavefront6targetE1EEEvT1_ ; -- Begin function _ZN7rocprim17ROCPRIM_400000_NS6detail17trampoline_kernelINS0_14default_configENS1_25partition_config_selectorILNS1_17partition_subalgoE0EyNS0_10empty_typeEbEEZZNS1_14partition_implILS5_0ELb0ES3_jN6thrust23THRUST_200600_302600_NS6detail15normal_iteratorINSA_10device_ptrIyEEEEPS6_SG_NS0_5tupleIJSF_NSA_16discard_iteratorINSA_11use_defaultEEEEEENSH_IJSG_SG_EEES6_PlJ7is_evenIyEEEE10hipError_tPvRmT3_T4_T5_T6_T7_T9_mT8_P12ihipStream_tbDpT10_ENKUlT_T0_E_clISt17integral_constantIbLb0EES19_EEDaS14_S15_EUlS14_E_NS1_11comp_targetILNS1_3genE5ELNS1_11target_archE942ELNS1_3gpuE9ELNS1_3repE0EEENS1_30default_config_static_selectorELNS0_4arch9wavefront6targetE1EEEvT1_
	.globl	_ZN7rocprim17ROCPRIM_400000_NS6detail17trampoline_kernelINS0_14default_configENS1_25partition_config_selectorILNS1_17partition_subalgoE0EyNS0_10empty_typeEbEEZZNS1_14partition_implILS5_0ELb0ES3_jN6thrust23THRUST_200600_302600_NS6detail15normal_iteratorINSA_10device_ptrIyEEEEPS6_SG_NS0_5tupleIJSF_NSA_16discard_iteratorINSA_11use_defaultEEEEEENSH_IJSG_SG_EEES6_PlJ7is_evenIyEEEE10hipError_tPvRmT3_T4_T5_T6_T7_T9_mT8_P12ihipStream_tbDpT10_ENKUlT_T0_E_clISt17integral_constantIbLb0EES19_EEDaS14_S15_EUlS14_E_NS1_11comp_targetILNS1_3genE5ELNS1_11target_archE942ELNS1_3gpuE9ELNS1_3repE0EEENS1_30default_config_static_selectorELNS0_4arch9wavefront6targetE1EEEvT1_
	.p2align	8
	.type	_ZN7rocprim17ROCPRIM_400000_NS6detail17trampoline_kernelINS0_14default_configENS1_25partition_config_selectorILNS1_17partition_subalgoE0EyNS0_10empty_typeEbEEZZNS1_14partition_implILS5_0ELb0ES3_jN6thrust23THRUST_200600_302600_NS6detail15normal_iteratorINSA_10device_ptrIyEEEEPS6_SG_NS0_5tupleIJSF_NSA_16discard_iteratorINSA_11use_defaultEEEEEENSH_IJSG_SG_EEES6_PlJ7is_evenIyEEEE10hipError_tPvRmT3_T4_T5_T6_T7_T9_mT8_P12ihipStream_tbDpT10_ENKUlT_T0_E_clISt17integral_constantIbLb0EES19_EEDaS14_S15_EUlS14_E_NS1_11comp_targetILNS1_3genE5ELNS1_11target_archE942ELNS1_3gpuE9ELNS1_3repE0EEENS1_30default_config_static_selectorELNS0_4arch9wavefront6targetE1EEEvT1_,@function
_ZN7rocprim17ROCPRIM_400000_NS6detail17trampoline_kernelINS0_14default_configENS1_25partition_config_selectorILNS1_17partition_subalgoE0EyNS0_10empty_typeEbEEZZNS1_14partition_implILS5_0ELb0ES3_jN6thrust23THRUST_200600_302600_NS6detail15normal_iteratorINSA_10device_ptrIyEEEEPS6_SG_NS0_5tupleIJSF_NSA_16discard_iteratorINSA_11use_defaultEEEEEENSH_IJSG_SG_EEES6_PlJ7is_evenIyEEEE10hipError_tPvRmT3_T4_T5_T6_T7_T9_mT8_P12ihipStream_tbDpT10_ENKUlT_T0_E_clISt17integral_constantIbLb0EES19_EEDaS14_S15_EUlS14_E_NS1_11comp_targetILNS1_3genE5ELNS1_11target_archE942ELNS1_3gpuE9ELNS1_3repE0EEENS1_30default_config_static_selectorELNS0_4arch9wavefront6targetE1EEEvT1_: ; @_ZN7rocprim17ROCPRIM_400000_NS6detail17trampoline_kernelINS0_14default_configENS1_25partition_config_selectorILNS1_17partition_subalgoE0EyNS0_10empty_typeEbEEZZNS1_14partition_implILS5_0ELb0ES3_jN6thrust23THRUST_200600_302600_NS6detail15normal_iteratorINSA_10device_ptrIyEEEEPS6_SG_NS0_5tupleIJSF_NSA_16discard_iteratorINSA_11use_defaultEEEEEENSH_IJSG_SG_EEES6_PlJ7is_evenIyEEEE10hipError_tPvRmT3_T4_T5_T6_T7_T9_mT8_P12ihipStream_tbDpT10_ENKUlT_T0_E_clISt17integral_constantIbLb0EES19_EEDaS14_S15_EUlS14_E_NS1_11comp_targetILNS1_3genE5ELNS1_11target_archE942ELNS1_3gpuE9ELNS1_3repE0EEENS1_30default_config_static_selectorELNS0_4arch9wavefront6targetE1EEEvT1_
; %bb.0:
	s_load_dwordx2 s[8:9], s[0:1], 0x60
	s_load_dwordx4 s[4:7], s[0:1], 0x8
	s_load_dwordx4 s[24:27], s[0:1], 0x50
	s_load_dword s3, s[0:1], 0x78
	v_lshlrev_b32_e32 v18, 3, v0
	s_waitcnt lgkmcnt(0)
	v_mov_b32_e32 v3, s9
	s_lshl_b64 s[10:11], s[6:7], 3
	s_add_u32 s9, s4, s10
	s_addc_u32 s12, s5, s11
	s_add_i32 s13, s3, -1
	s_mulk_i32 s3, 0xe00
	s_add_i32 s4, s3, s6
	s_sub_i32 s33, s8, s4
	s_add_u32 s4, s6, s3
	s_addc_u32 s5, s7, 0
	s_cmp_eq_u32 s2, s13
	v_mov_b32_e32 v2, s8
	s_load_dwordx2 s[22:23], s[26:27], 0x0
	s_cselect_b64 s[26:27], -1, 0
	s_cmp_lg_u32 s2, s13
	s_mul_i32 s10, s2, 0xe00
	s_mov_b32 s11, 0
	v_cmp_lt_u64_e32 vcc, s[4:5], v[2:3]
	s_cselect_b64 s[4:5], -1, 0
	s_or_b64 s[4:5], s[4:5], vcc
	s_lshl_b64 s[6:7], s[10:11], 3
	s_add_u32 s6, s9, s6
	s_addc_u32 s7, s12, s7
	s_mov_b64 s[8:9], -1
	s_and_b64 vcc, exec, s[4:5]
	s_cbranch_vccz .LBB2332_2
; %bb.1:
	v_mov_b32_e32 v19, 0
	v_lshl_add_u64 v[2:3], s[6:7], 0, v[18:19]
	v_add_co_u32_e32 v4, vcc, 0x1000, v2
	s_mov_b64 s[8:9], 0
	s_nop 0
	v_addc_co_u32_e32 v5, vcc, 0, v3, vcc
	v_add_co_u32_e32 v6, vcc, 0x2000, v2
	s_nop 1
	v_addc_co_u32_e32 v7, vcc, 0, v3, vcc
	v_add_co_u32_e32 v8, vcc, 0x3000, v2
	s_nop 1
	v_addc_co_u32_e32 v9, vcc, 0, v3, vcc
	flat_load_dwordx2 v[10:11], v[2:3]
	flat_load_dwordx2 v[12:13], v[4:5]
	flat_load_dwordx2 v[14:15], v[6:7]
	flat_load_dwordx2 v[16:17], v[8:9]
	v_add_co_u32_e32 v4, vcc, 0x4000, v2
	s_nop 1
	v_addc_co_u32_e32 v5, vcc, 0, v3, vcc
	v_add_co_u32_e32 v6, vcc, 0x5000, v2
	s_nop 1
	v_addc_co_u32_e32 v7, vcc, 0, v3, vcc
	v_add_co_u32_e32 v2, vcc, 0x6000, v2
	s_nop 1
	v_addc_co_u32_e32 v3, vcc, 0, v3, vcc
	flat_load_dwordx2 v[8:9], v[4:5]
	flat_load_dwordx2 v[20:21], v[6:7]
	flat_load_dwordx2 v[22:23], v[2:3]
	s_waitcnt vmcnt(0) lgkmcnt(0)
	ds_write2st64_b64 v18, v[10:11], v[12:13] offset1:8
	ds_write2st64_b64 v18, v[14:15], v[16:17] offset0:16 offset1:24
	ds_write2st64_b64 v18, v[8:9], v[20:21] offset0:32 offset1:40
	ds_write_b64 v18, v[22:23] offset:24576
	s_waitcnt lgkmcnt(0)
	s_barrier
.LBB2332_2:
	s_andn2_b64 vcc, exec, s[8:9]
	s_addk_i32 s33, 0xe00
	s_cbranch_vccnz .LBB2332_18
; %bb.3:
	v_cmp_gt_u32_e32 vcc, s33, v0
                                        ; implicit-def: $vgpr2_vgpr3_vgpr4_vgpr5_vgpr6_vgpr7_vgpr8_vgpr9_vgpr10_vgpr11_vgpr12_vgpr13_vgpr14_vgpr15_vgpr16_vgpr17
	s_and_saveexec_b64 s[8:9], vcc
	s_cbranch_execz .LBB2332_5
; %bb.4:
	v_mov_b32_e32 v19, 0
	v_lshl_add_u64 v[2:3], s[6:7], 0, v[18:19]
	flat_load_dwordx2 v[2:3], v[2:3]
.LBB2332_5:
	s_or_b64 exec, exec, s[8:9]
	v_or_b32_e32 v1, 0x200, v0
	v_cmp_gt_u32_e32 vcc, s33, v1
	s_and_saveexec_b64 s[8:9], vcc
	s_cbranch_execz .LBB2332_7
; %bb.6:
	v_lshlrev_b32_e32 v4, 3, v1
	v_mov_b32_e32 v5, 0
	v_lshl_add_u64 v[4:5], s[6:7], 0, v[4:5]
	flat_load_dwordx2 v[4:5], v[4:5]
.LBB2332_7:
	s_or_b64 exec, exec, s[8:9]
	v_or_b32_e32 v1, 0x400, v0
	v_cmp_gt_u32_e32 vcc, s33, v1
	s_and_saveexec_b64 s[8:9], vcc
	s_cbranch_execz .LBB2332_9
; %bb.8:
	v_lshlrev_b32_e32 v6, 3, v1
	v_mov_b32_e32 v7, 0
	v_lshl_add_u64 v[6:7], s[6:7], 0, v[6:7]
	flat_load_dwordx2 v[6:7], v[6:7]
.LBB2332_9:
	;; [unrolled: 11-line block ×6, first 2 shown]
	s_or_b64 exec, exec, s[8:9]
	s_waitcnt vmcnt(0) lgkmcnt(0)
	ds_write2st64_b64 v18, v[2:3], v[4:5] offset1:8
	ds_write2st64_b64 v18, v[6:7], v[8:9] offset0:16 offset1:24
	ds_write2st64_b64 v18, v[10:11], v[12:13] offset0:32 offset1:40
	ds_write_b64 v18, v[14:15] offset:24576
	s_waitcnt lgkmcnt(0)
	s_barrier
.LBB2332_18:
	v_mul_u32_u24_e32 v1, 7, v0
	v_lshlrev_b32_e32 v32, 3, v1
	s_waitcnt lgkmcnt(0)
	ds_read2_b64 v[10:13], v32 offset1:1
	ds_read2_b64 v[6:9], v32 offset0:2 offset1:3
	ds_read2_b64 v[2:5], v32 offset0:4 offset1:5
	ds_read_b64 v[14:15], v32 offset:48
	v_cndmask_b32_e64 v16, 0, 1, s[4:5]
	v_cmp_ne_u32_e64 s[20:21], 1, v16
	s_andn2_b64 vcc, exec, s[4:5]
	s_waitcnt lgkmcnt(3)
	v_xor_b32_e32 v24, -1, v10
	v_xor_b32_e32 v23, -1, v12
	s_waitcnt lgkmcnt(2)
	v_xor_b32_e32 v22, -1, v6
	v_xor_b32_e32 v21, -1, v8
	;; [unrolled: 3-line block ×3, first 2 shown]
	s_waitcnt lgkmcnt(0)
	v_xor_b32_e32 v16, -1, v14
	s_barrier
	s_cbranch_vccnz .LBB2332_20
; %bb.19:
	v_mov_b32_e32 v19, 1
	v_and_b32_e32 v25, 1, v24
	v_and_b32_sdwa v26, v23, v19 dst_sel:BYTE_1 dst_unused:UNUSED_PAD src0_sel:DWORD src1_sel:DWORD
	v_and_b32_e32 v27, 1, v22
	v_and_b32_sdwa v30, v21, v19 dst_sel:BYTE_1 dst_unused:UNUSED_PAD src0_sel:DWORD src1_sel:DWORD
	v_or_b32_e32 v25, v25, v26
	v_or_b32_sdwa v26, v27, v30 dst_sel:WORD_1 dst_unused:UNUSED_PAD src0_sel:DWORD src1_sel:DWORD
	v_and_b32_e32 v29, 1, v20
	v_and_b32_e32 v28, 1, v17
	v_and_b32_e32 v19, 1, v16
	v_or_b32_sdwa v30, v25, v26 dst_sel:DWORD dst_unused:UNUSED_PAD src0_sel:WORD_0 src1_sel:DWORD
	s_load_dwordx2 s[28:29], s[0:1], 0x70
	s_cbranch_execz .LBB2332_21
	s_branch .LBB2332_22
.LBB2332_20:
                                        ; implicit-def: $vgpr19
                                        ; implicit-def: $vgpr28
                                        ; implicit-def: $vgpr29
                                        ; implicit-def: $vgpr30
	s_load_dwordx2 s[28:29], s[0:1], 0x70
.LBB2332_21:
	v_add_u32_e32 v19, 1, v1
	v_cmp_gt_u32_e32 vcc, s33, v1
	v_add_u32_e32 v25, 2, v1
	v_add_u32_e32 v26, 3, v1
	v_cndmask_b32_e64 v29, 0, 1, vcc
	v_cmp_gt_u32_e32 vcc, s33, v19
	v_add_u32_e32 v27, 4, v1
	v_add_u32_e32 v28, 5, v1
	v_cndmask_b32_e64 v19, 0, 1, vcc
	v_cmp_gt_u32_e32 vcc, s33, v25
	v_and_b32_sdwa v23, v19, v23 dst_sel:BYTE_1 dst_unused:UNUSED_PAD src0_sel:DWORD src1_sel:DWORD
	v_add_u32_e32 v30, 6, v1
	v_cndmask_b32_e64 v19, 0, 1, vcc
	v_cmp_gt_u32_e32 vcc, s33, v26
	v_and_b32_e32 v22, v19, v22
	v_and_b32_e32 v24, v29, v24
	v_cndmask_b32_e64 v19, 0, 1, vcc
	v_cmp_gt_u32_e32 vcc, s33, v27
	v_and_b32_sdwa v21, v19, v21 dst_sel:BYTE_1 dst_unused:UNUSED_PAD src0_sel:DWORD src1_sel:DWORD
	s_nop 0
	v_cndmask_b32_e64 v19, 0, 1, vcc
	v_cmp_gt_u32_e32 vcc, s33, v28
	v_and_b32_e32 v29, v19, v20
	s_nop 0
	v_cndmask_b32_e64 v19, 0, 1, vcc
	v_cmp_gt_u32_e32 vcc, s33, v30
	v_and_b32_e32 v28, v19, v17
	s_nop 0
	v_cndmask_b32_e64 v17, 0, 1, vcc
	v_and_b32_e32 v19, v17, v16
	v_or_b32_e32 v16, v24, v23
	v_or_b32_sdwa v17, v22, v21 dst_sel:WORD_1 dst_unused:UNUSED_PAD src0_sel:DWORD src1_sel:DWORD
	s_nop 0
	v_or_b32_sdwa v30, v16, v17 dst_sel:DWORD dst_unused:UNUSED_PAD src0_sel:WORD_0 src1_sel:DWORD
.LBB2332_22:
	v_and_b32_e32 v33, 0xff, v30
	v_bfe_u32 v34, v30, 8, 8
	v_bfe_u32 v35, v30, 16, 8
	v_lshrrev_b32_e32 v31, 24, v30
	v_and_b32_e32 v36, 0xff, v29
	v_add3_u32 v17, v34, v33, v35
	v_and_b32_e32 v37, 0xff, v28
	v_and_b32_e32 v16, 0xff, v19
	v_add3_u32 v17, v17, v31, v36
	v_add3_u32 v40, v17, v37, v16
	v_mbcnt_lo_u32_b32 v16, -1, 0
	v_mbcnt_hi_u32_b32 v38, -1, v16
	v_and_b32_e32 v16, 15, v38
	v_cmp_eq_u32_e64 s[16:17], 0, v16
	v_cmp_lt_u32_e64 s[14:15], 1, v16
	v_cmp_lt_u32_e64 s[12:13], 3, v16
	v_cmp_lt_u32_e64 s[10:11], 7, v16
	v_and_b32_e32 v16, 16, v38
	v_cmp_eq_u32_e64 s[8:9], 0, v16
	v_or_b32_e32 v16, 63, v0
	s_cmp_lg_u32 s2, 0
	v_cmp_lt_u32_e64 s[4:5], 31, v38
	v_lshrrev_b32_e32 v39, 6, v0
	v_cmp_eq_u32_e64 s[6:7], v16, v0
	s_cbranch_scc0 .LBB2332_49
; %bb.23:
	v_mov_b32_dpp v16, v40 row_shr:1 row_mask:0xf bank_mask:0xf
	v_cndmask_b32_e64 v16, v16, 0, s[16:17]
	v_add_u32_e32 v16, v16, v40
	s_nop 1
	v_mov_b32_dpp v17, v16 row_shr:2 row_mask:0xf bank_mask:0xf
	v_cndmask_b32_e64 v17, 0, v17, s[14:15]
	v_add_u32_e32 v16, v16, v17
	s_nop 1
	;; [unrolled: 4-line block ×4, first 2 shown]
	v_mov_b32_dpp v17, v16 row_bcast:15 row_mask:0xf bank_mask:0xf
	v_cndmask_b32_e64 v17, v17, 0, s[8:9]
	v_add_u32_e32 v16, v16, v17
	s_nop 1
	v_mov_b32_dpp v17, v16 row_bcast:31 row_mask:0xf bank_mask:0xf
	v_cndmask_b32_e64 v17, 0, v17, s[4:5]
	v_add_u32_e32 v16, v16, v17
	s_and_saveexec_b64 s[18:19], s[6:7]
	s_cbranch_execz .LBB2332_25
; %bb.24:
	v_lshlrev_b32_e32 v17, 2, v39
	ds_write_b32 v17, v16
.LBB2332_25:
	s_or_b64 exec, exec, s[18:19]
	v_cmp_gt_u32_e32 vcc, 8, v0
	s_waitcnt lgkmcnt(0)
	s_barrier
	s_and_saveexec_b64 s[18:19], vcc
	s_cbranch_execz .LBB2332_27
; %bb.26:
	v_lshlrev_b32_e32 v17, 2, v0
	ds_read_b32 v20, v17
	v_and_b32_e32 v21, 7, v38
	v_cmp_ne_u32_e32 vcc, 0, v21
	s_waitcnt lgkmcnt(0)
	v_mov_b32_dpp v22, v20 row_shr:1 row_mask:0xf bank_mask:0xf
	v_cndmask_b32_e32 v22, 0, v22, vcc
	v_add_u32_e32 v20, v22, v20
	v_cmp_lt_u32_e32 vcc, 1, v21
	s_nop 0
	v_mov_b32_dpp v22, v20 row_shr:2 row_mask:0xf bank_mask:0xf
	v_cndmask_b32_e32 v22, 0, v22, vcc
	v_add_u32_e32 v20, v20, v22
	v_cmp_lt_u32_e32 vcc, 3, v21
	s_nop 0
	v_mov_b32_dpp v22, v20 row_shr:4 row_mask:0xf bank_mask:0xf
	v_cndmask_b32_e32 v21, 0, v22, vcc
	v_add_u32_e32 v20, v20, v21
	ds_write_b32 v17, v20
.LBB2332_27:
	s_or_b64 exec, exec, s[18:19]
	v_cmp_gt_u32_e32 vcc, 64, v0
	v_cmp_lt_u32_e64 s[18:19], 63, v0
	s_waitcnt lgkmcnt(0)
	s_barrier
	s_waitcnt lgkmcnt(0)
                                        ; implicit-def: $vgpr41
	s_and_saveexec_b64 s[30:31], s[18:19]
	s_cbranch_execz .LBB2332_29
; %bb.28:
	v_lshl_add_u32 v17, v39, 2, -4
	ds_read_b32 v41, v17
	s_waitcnt lgkmcnt(0)
	v_add_u32_e32 v16, v41, v16
.LBB2332_29:
	s_or_b64 exec, exec, s[30:31]
	v_add_u32_e32 v17, -1, v38
	v_and_b32_e32 v20, 64, v38
	v_cmp_lt_i32_e64 s[18:19], v17, v20
	s_nop 1
	v_cndmask_b32_e64 v17, v17, v38, s[18:19]
	v_lshlrev_b32_e32 v17, 2, v17
	ds_bpermute_b32 v42, v17, v16
	v_cmp_eq_u32_e64 s[18:19], 0, v38
	s_and_saveexec_b64 s[30:31], vcc
	s_cbranch_execz .LBB2332_48
; %bb.30:
	v_mov_b32_e32 v25, 0
	ds_read_b32 v16, v25 offset:28
	s_and_saveexec_b64 s[34:35], s[18:19]
	s_cbranch_execz .LBB2332_32
; %bb.31:
	s_add_i32 s36, s2, 64
	s_mov_b32 s37, 0
	s_lshl_b64 s[36:37], s[36:37], 3
	s_add_u32 s36, s28, s36
	v_mov_b32_e32 v17, 1
	s_addc_u32 s37, s29, s37
	s_waitcnt lgkmcnt(0)
	global_store_dwordx2 v25, v[16:17], s[36:37] sc1
.LBB2332_32:
	s_or_b64 exec, exec, s[34:35]
	v_xad_u32 v20, v38, -1, s2
	v_add_u32_e32 v24, 64, v20
	v_lshl_add_u64 v[26:27], v[24:25], 3, s[28:29]
	global_load_dwordx2 v[22:23], v[26:27], off sc1
	s_waitcnt vmcnt(0)
	v_cmp_eq_u16_sdwa s[36:37], v23, v25 src0_sel:BYTE_0 src1_sel:DWORD
	s_and_saveexec_b64 s[34:35], s[36:37]
	s_cbranch_execz .LBB2332_36
; %bb.33:
	s_mov_b64 s[36:37], 0
	v_mov_b32_e32 v17, 0
.LBB2332_34:                            ; =>This Inner Loop Header: Depth=1
	global_load_dwordx2 v[22:23], v[26:27], off sc1
	s_waitcnt vmcnt(0)
	v_cmp_ne_u16_sdwa s[38:39], v23, v17 src0_sel:BYTE_0 src1_sel:DWORD
	s_or_b64 s[36:37], s[38:39], s[36:37]
	s_andn2_b64 exec, exec, s[36:37]
	s_cbranch_execnz .LBB2332_34
; %bb.35:
	s_or_b64 exec, exec, s[36:37]
.LBB2332_36:
	s_or_b64 exec, exec, s[34:35]
	v_and_b32_e32 v44, 63, v38
	v_mov_b32_e32 v43, 2
	v_cmp_ne_u32_e32 vcc, 63, v44
	v_cmp_eq_u16_sdwa s[34:35], v23, v43 src0_sel:BYTE_0 src1_sel:DWORD
	v_lshlrev_b64 v[24:25], v38, -1
	v_addc_co_u32_e32 v26, vcc, 0, v38, vcc
	v_and_b32_e32 v17, s35, v25
	v_lshlrev_b32_e32 v45, 2, v26
	v_or_b32_e32 v17, 0x80000000, v17
	ds_bpermute_b32 v26, v45, v22
	v_and_b32_e32 v21, s34, v24
	v_ffbl_b32_e32 v17, v17
	v_add_u32_e32 v17, 32, v17
	v_ffbl_b32_e32 v21, v21
	v_min_u32_e32 v17, v21, v17
	v_cmp_lt_u32_e32 vcc, v44, v17
	v_add_u32_e32 v47, 2, v44
	v_add_u32_e32 v49, 4, v44
	s_waitcnt lgkmcnt(0)
	v_cndmask_b32_e32 v21, 0, v26, vcc
	v_cmp_gt_u32_e32 vcc, 62, v44
	v_add_u32_e32 v21, v21, v22
	v_add_u32_e32 v51, 8, v44
	v_cndmask_b32_e64 v22, 0, 1, vcc
	v_lshlrev_b32_e32 v22, 1, v22
	v_add_lshl_u32 v46, v22, v38, 2
	ds_bpermute_b32 v22, v46, v21
	v_cmp_le_u32_e32 vcc, v47, v17
	v_add_u32_e32 v53, 16, v44
	v_add_u32_e32 v55, 32, v44
	s_waitcnt lgkmcnt(0)
	v_cndmask_b32_e32 v22, 0, v22, vcc
	v_cmp_gt_u32_e32 vcc, 60, v44
	v_add_u32_e32 v21, v21, v22
	s_nop 0
	v_cndmask_b32_e64 v22, 0, 1, vcc
	v_lshlrev_b32_e32 v22, 2, v22
	v_add_lshl_u32 v48, v22, v38, 2
	ds_bpermute_b32 v22, v48, v21
	v_cmp_le_u32_e32 vcc, v49, v17
	s_waitcnt lgkmcnt(0)
	s_nop 0
	v_cndmask_b32_e32 v22, 0, v22, vcc
	v_cmp_gt_u32_e32 vcc, 56, v44
	v_add_u32_e32 v21, v21, v22
	s_nop 0
	v_cndmask_b32_e64 v22, 0, 1, vcc
	v_lshlrev_b32_e32 v22, 3, v22
	v_add_lshl_u32 v50, v22, v38, 2
	ds_bpermute_b32 v22, v50, v21
	v_cmp_le_u32_e32 vcc, v51, v17
	s_waitcnt lgkmcnt(0)
	s_nop 0
	;; [unrolled: 11-line block ×4, first 2 shown]
	v_cndmask_b32_e32 v17, 0, v22, vcc
	v_add_u32_e32 v22, v21, v17
	v_mov_b32_e32 v21, 0
	s_branch .LBB2332_38
.LBB2332_37:                            ;   in Loop: Header=BB2332_38 Depth=1
	s_or_b64 exec, exec, s[34:35]
	v_cmp_eq_u16_sdwa s[34:35], v23, v43 src0_sel:BYTE_0 src1_sel:DWORD
	ds_bpermute_b32 v56, v45, v22
	v_subrev_u32_e32 v20, 64, v20
	v_and_b32_e32 v26, s35, v25
	v_or_b32_e32 v26, 0x80000000, v26
	v_and_b32_e32 v27, s34, v24
	v_ffbl_b32_e32 v26, v26
	v_add_u32_e32 v26, 32, v26
	v_ffbl_b32_e32 v27, v27
	v_min_u32_e32 v26, v27, v26
	v_cmp_lt_u32_e32 vcc, v44, v26
	s_waitcnt lgkmcnt(0)
	s_nop 0
	v_cndmask_b32_e32 v27, 0, v56, vcc
	v_add_u32_e32 v22, v27, v22
	ds_bpermute_b32 v27, v46, v22
	v_cmp_le_u32_e32 vcc, v47, v26
	s_waitcnt lgkmcnt(0)
	s_nop 0
	v_cndmask_b32_e32 v27, 0, v27, vcc
	v_add_u32_e32 v22, v22, v27
	ds_bpermute_b32 v27, v48, v22
	v_cmp_le_u32_e32 vcc, v49, v26
	;; [unrolled: 6-line block ×5, first 2 shown]
	s_waitcnt lgkmcnt(0)
	s_nop 0
	v_cndmask_b32_e32 v26, 0, v27, vcc
	v_add3_u32 v22, v26, v17, v22
.LBB2332_38:                            ; =>This Loop Header: Depth=1
                                        ;     Child Loop BB2332_41 Depth 2
	v_cmp_ne_u16_sdwa s[34:35], v23, v43 src0_sel:BYTE_0 src1_sel:DWORD
	s_nop 1
	v_cndmask_b32_e64 v17, 0, 1, s[34:35]
	;;#ASMSTART
	;;#ASMEND
	s_nop 0
	v_cmp_ne_u32_e32 vcc, 0, v17
	s_cmp_lg_u64 vcc, exec
	v_mov_b32_e32 v17, v22
	s_cbranch_scc1 .LBB2332_43
; %bb.39:                               ;   in Loop: Header=BB2332_38 Depth=1
	v_lshl_add_u64 v[26:27], v[20:21], 3, s[28:29]
	global_load_dwordx2 v[22:23], v[26:27], off sc1
	s_waitcnt vmcnt(0)
	v_cmp_eq_u16_sdwa s[36:37], v23, v21 src0_sel:BYTE_0 src1_sel:DWORD
	s_and_saveexec_b64 s[34:35], s[36:37]
	s_cbranch_execz .LBB2332_37
; %bb.40:                               ;   in Loop: Header=BB2332_38 Depth=1
	s_mov_b64 s[36:37], 0
.LBB2332_41:                            ;   Parent Loop BB2332_38 Depth=1
                                        ; =>  This Inner Loop Header: Depth=2
	global_load_dwordx2 v[22:23], v[26:27], off sc1
	s_waitcnt vmcnt(0)
	v_cmp_ne_u16_sdwa s[38:39], v23, v21 src0_sel:BYTE_0 src1_sel:DWORD
	s_or_b64 s[36:37], s[38:39], s[36:37]
	s_andn2_b64 exec, exec, s[36:37]
	s_cbranch_execnz .LBB2332_41
; %bb.42:                               ;   in Loop: Header=BB2332_38 Depth=1
	s_or_b64 exec, exec, s[36:37]
	s_branch .LBB2332_37
.LBB2332_43:                            ;   in Loop: Header=BB2332_38 Depth=1
                                        ; implicit-def: $vgpr22
                                        ; implicit-def: $vgpr23
	s_cbranch_execz .LBB2332_38
; %bb.44:
	s_and_saveexec_b64 s[34:35], s[18:19]
	s_cbranch_execz .LBB2332_46
; %bb.45:
	s_add_i32 s2, s2, 64
	s_mov_b32 s3, 0
	s_lshl_b64 s[2:3], s[2:3], 3
	s_add_u32 s2, s28, s2
	v_add_u32_e32 v20, v17, v16
	v_mov_b32_e32 v21, 2
	s_addc_u32 s3, s29, s3
	v_mov_b32_e32 v22, 0
	global_store_dwordx2 v22, v[20:21], s[2:3] sc1
	ds_write_b64 v22, v[16:17] offset:28672
.LBB2332_46:
	s_or_b64 exec, exec, s[34:35]
	v_cmp_eq_u32_e32 vcc, 0, v0
	s_and_b64 exec, exec, vcc
	s_cbranch_execz .LBB2332_48
; %bb.47:
	v_mov_b32_e32 v16, 0
	ds_write_b32 v16, v17 offset:28
.LBB2332_48:
	s_or_b64 exec, exec, s[30:31]
	v_mov_b32_e32 v16, 0
	s_waitcnt lgkmcnt(0)
	s_barrier
	ds_read_b32 v17, v16 offset:28
	v_cndmask_b32_e64 v20, v42, v41, s[18:19]
	v_cmp_ne_u32_e32 vcc, 0, v0
	s_waitcnt lgkmcnt(0)
	s_barrier
	v_cndmask_b32_e32 v20, 0, v20, vcc
	v_add_u32_e32 v27, v17, v20
	v_add_u32_e32 v26, v27, v33
	ds_read_b64 v[16:17], v16 offset:28672
	v_add_u32_e32 v25, v26, v34
	v_add_u32_e32 v24, v25, v35
	;; [unrolled: 1-line block ×5, first 2 shown]
	s_waitcnt lgkmcnt(0)
	v_mov_b32_e32 v20, v17
	s_load_dwordx2 s[2:3], s[0:1], 0x28
	s_branch .LBB2332_59
.LBB2332_49:
                                        ; implicit-def: $vgpr20
                                        ; implicit-def: $vgpr16
                                        ; implicit-def: $vgpr21
                                        ; implicit-def: $vgpr22
                                        ; implicit-def: $vgpr23
                                        ; implicit-def: $vgpr24
                                        ; implicit-def: $vgpr25
                                        ; implicit-def: $vgpr26
                                        ; implicit-def: $vgpr27
	s_load_dwordx2 s[2:3], s[0:1], 0x28
	s_cbranch_execz .LBB2332_59
; %bb.50:
	v_mov_b32_dpp v16, v40 row_shr:1 row_mask:0xf bank_mask:0xf
	v_cndmask_b32_e64 v16, v16, 0, s[16:17]
	v_add_u32_e32 v16, v16, v40
	s_nop 1
	v_mov_b32_dpp v17, v16 row_shr:2 row_mask:0xf bank_mask:0xf
	v_cndmask_b32_e64 v17, 0, v17, s[14:15]
	v_add_u32_e32 v16, v16, v17
	s_nop 1
	;; [unrolled: 4-line block ×4, first 2 shown]
	v_mov_b32_dpp v17, v16 row_bcast:15 row_mask:0xf bank_mask:0xf
	v_cndmask_b32_e64 v17, v17, 0, s[8:9]
	v_add_u32_e32 v16, v16, v17
	s_nop 1
	v_mov_b32_dpp v17, v16 row_bcast:31 row_mask:0xf bank_mask:0xf
	v_cndmask_b32_e64 v17, 0, v17, s[4:5]
	v_add_u32_e32 v16, v16, v17
	s_and_saveexec_b64 s[0:1], s[6:7]
	s_cbranch_execz .LBB2332_52
; %bb.51:
	v_lshlrev_b32_e32 v17, 2, v39
	ds_write_b32 v17, v16
.LBB2332_52:
	s_or_b64 exec, exec, s[0:1]
	v_cmp_gt_u32_e32 vcc, 8, v0
	s_waitcnt lgkmcnt(0)
	s_barrier
	s_and_saveexec_b64 s[0:1], vcc
	s_cbranch_execz .LBB2332_54
; %bb.53:
	s_movk_i32 s4, 0xffcc
	v_mad_i32_i24 v17, v0, s4, v32
	ds_read_b32 v20, v17
	v_and_b32_e32 v21, 7, v38
	v_cmp_ne_u32_e32 vcc, 0, v21
	s_waitcnt lgkmcnt(0)
	v_mov_b32_dpp v22, v20 row_shr:1 row_mask:0xf bank_mask:0xf
	v_cndmask_b32_e32 v22, 0, v22, vcc
	v_add_u32_e32 v20, v22, v20
	v_cmp_lt_u32_e32 vcc, 1, v21
	s_nop 0
	v_mov_b32_dpp v22, v20 row_shr:2 row_mask:0xf bank_mask:0xf
	v_cndmask_b32_e32 v22, 0, v22, vcc
	v_add_u32_e32 v20, v20, v22
	v_cmp_lt_u32_e32 vcc, 3, v21
	s_nop 0
	v_mov_b32_dpp v22, v20 row_shr:4 row_mask:0xf bank_mask:0xf
	v_cndmask_b32_e32 v21, 0, v22, vcc
	v_add_u32_e32 v20, v20, v21
	ds_write_b32 v17, v20
.LBB2332_54:
	s_or_b64 exec, exec, s[0:1]
	v_cmp_lt_u32_e32 vcc, 63, v0
	v_mov_b32_e32 v17, 0
	v_mov_b32_e32 v20, 0
	s_waitcnt lgkmcnt(0)
	s_barrier
	s_and_saveexec_b64 s[0:1], vcc
	s_cbranch_execz .LBB2332_56
; %bb.55:
	v_lshl_add_u32 v20, v39, 2, -4
	ds_read_b32 v20, v20
.LBB2332_56:
	s_or_b64 exec, exec, s[0:1]
	v_add_u32_e32 v21, -1, v38
	v_and_b32_e32 v22, 64, v38
	v_cmp_lt_i32_e32 vcc, v21, v22
	s_waitcnt lgkmcnt(0)
	v_add_u32_e32 v16, v20, v16
	v_cndmask_b32_e32 v21, v21, v38, vcc
	v_lshlrev_b32_e32 v21, 2, v21
	ds_bpermute_b32 v21, v21, v16
	ds_read_b32 v16, v17 offset:28
	v_cmp_eq_u32_e32 vcc, 0, v0
	s_and_saveexec_b64 s[0:1], vcc
	s_cbranch_execz .LBB2332_58
; %bb.57:
	v_mov_b32_e32 v22, 0
	v_mov_b32_e32 v17, 2
	s_waitcnt lgkmcnt(0)
	global_store_dwordx2 v22, v[16:17], s[28:29] offset:512 sc1
.LBB2332_58:
	s_or_b64 exec, exec, s[0:1]
	v_cmp_eq_u32_e64 s[0:1], 0, v38
	s_waitcnt lgkmcnt(0)
	s_barrier
	v_cndmask_b32_e64 v17, v21, v20, s[0:1]
	v_cndmask_b32_e64 v27, v17, 0, vcc
	v_add_u32_e32 v26, v27, v33
	v_add_u32_e32 v25, v26, v34
	;; [unrolled: 1-line block ×5, first 2 shown]
	v_mov_b32_e32 v20, 0
	v_add_u32_e32 v21, v22, v37
.LBB2332_59:
	v_add_u32_e32 v1, v16, v1
	v_sub_u32_e32 v27, v27, v20
	v_and_b32_e32 v33, 1, v30
	v_sub_u32_e32 v32, v1, v27
	v_cmp_eq_u32_e32 vcc, 1, v33
	v_lshrrev_b32_e32 v17, 8, v30
	v_and_b32_e32 v17, 1, v17
	v_cndmask_b32_e32 v27, v32, v27, vcc
	v_lshlrev_b32_e32 v27, 3, v27
	ds_write_b64 v27, v[10:11]
	v_sub_u32_e32 v10, v26, v20
	v_sub_u32_e32 v11, v1, v10
	v_add_u32_e32 v11, 1, v11
	v_cmp_eq_u32_e32 vcc, 1, v17
	v_or_b32_e32 v26, 0x200, v0
	v_or_b32_e32 v17, 0xa00, v0
	v_cndmask_b32_e32 v10, v11, v10, vcc
	v_lshlrev_b32_e32 v10, 3, v10
	ds_write_b64 v10, v[12:13]
	v_sub_u32_e32 v10, v25, v20
	v_mov_b32_e32 v12, 1
	v_sub_u32_e32 v11, v1, v10
	v_and_b32_sdwa v12, v12, v30 dst_sel:DWORD dst_unused:UNUSED_PAD src0_sel:DWORD src1_sel:WORD_1
	v_add_u32_e32 v11, 2, v11
	v_cmp_eq_u32_e32 vcc, 1, v12
	v_or_b32_e32 v25, 0x400, v0
	s_nop 0
	v_cndmask_b32_e32 v10, v11, v10, vcc
	v_lshlrev_b32_e32 v10, 3, v10
	ds_write_b64 v10, v[6:7]
	v_sub_u32_e32 v6, v24, v20
	v_sub_u32_e32 v7, v1, v6
	v_and_b32_e32 v10, 1, v31
	v_add_u32_e32 v7, 3, v7
	v_cmp_eq_u32_e32 vcc, 1, v10
	v_or_b32_e32 v24, 0x600, v0
	s_nop 0
	v_cndmask_b32_e32 v6, v7, v6, vcc
	v_lshlrev_b32_e32 v6, 3, v6
	ds_write_b64 v6, v[8:9]
	v_sub_u32_e32 v6, v23, v20
	v_sub_u32_e32 v7, v1, v6
	v_and_b32_e32 v8, 1, v29
	v_add_u32_e32 v7, 4, v7
	v_cmp_eq_u32_e32 vcc, 1, v8
	s_nop 1
	v_cndmask_b32_e32 v6, v7, v6, vcc
	v_lshlrev_b32_e32 v6, 3, v6
	ds_write_b64 v6, v[2:3]
	v_sub_u32_e32 v2, v22, v20
	v_sub_u32_e32 v3, v1, v2
	v_and_b32_e32 v6, 1, v28
	v_add_u32_e32 v3, 5, v3
	v_cmp_eq_u32_e32 vcc, 1, v6
	;; [unrolled: 9-line block ×3, first 2 shown]
	v_or_b32_e32 v19, 0x800, v0
	s_nop 0
	v_cndmask_b32_e32 v1, v1, v2, vcc
	v_lshlrev_b32_e32 v1, 3, v1
	ds_write_b64 v1, v[14:15]
	s_waitcnt lgkmcnt(0)
	s_barrier
	ds_read2st64_b64 v[10:13], v18 offset1:8
	ds_read2st64_b64 v[6:9], v18 offset0:16 offset1:24
	ds_read2st64_b64 v[2:5], v18 offset0:32 offset1:40
	ds_read_b64 v[14:15], v18 offset:24576
	s_and_b64 vcc, exec, s[20:21]
	v_or_b32_e32 v1, 0xc00, v0
	s_cbranch_vccnz .LBB2332_68
; %bb.60:
	s_lshl_b64 s[0:1], s[22:23], 3
	v_mov_b32_e32 v21, 0
	s_add_u32 s0, s2, s0
	s_addc_u32 s1, s3, s1
	v_lshlrev_b64 v[22:23], 3, v[20:21]
	v_lshl_add_u64 v[22:23], s[0:1], 0, v[22:23]
	v_cmp_lt_u32_e32 vcc, v0, v16
	s_and_saveexec_b64 s[0:1], vcc
	s_cbranch_execnz .LBB2332_82
; %bb.61:
	s_or_b64 exec, exec, s[0:1]
	v_cmp_lt_u32_e32 vcc, v26, v16
	s_and_saveexec_b64 s[0:1], vcc
	s_cbranch_execnz .LBB2332_83
.LBB2332_62:
	s_or_b64 exec, exec, s[0:1]
	v_cmp_lt_u32_e32 vcc, v25, v16
	s_and_saveexec_b64 s[0:1], vcc
	s_cbranch_execnz .LBB2332_84
.LBB2332_63:
	s_or_b64 exec, exec, s[0:1]
	v_cmp_lt_u32_e32 vcc, v24, v16
	s_and_saveexec_b64 s[0:1], vcc
	s_cbranch_execnz .LBB2332_85
.LBB2332_64:
	s_or_b64 exec, exec, s[0:1]
	v_cmp_lt_u32_e32 vcc, v19, v16
	s_and_saveexec_b64 s[0:1], vcc
	s_cbranch_execnz .LBB2332_86
.LBB2332_65:
	s_or_b64 exec, exec, s[0:1]
	v_cmp_lt_u32_e32 vcc, v17, v16
	s_and_saveexec_b64 s[0:1], vcc
	s_cbranch_execz .LBB2332_67
.LBB2332_66:
	v_lshlrev_b32_e32 v21, 3, v17
	v_readfirstlane_b32 s4, v22
	v_readfirstlane_b32 s5, v23
	s_waitcnt lgkmcnt(1)
	s_nop 3
	global_store_dwordx2 v21, v[4:5], s[4:5]
.LBB2332_67:
	s_or_b64 exec, exec, s[0:1]
	v_cmp_lt_u32_e64 s[0:1], v1, v16
	s_branch .LBB2332_77
.LBB2332_68:
	s_mov_b64 s[0:1], 0
                                        ; implicit-def: $vgpr22_vgpr23
	s_cbranch_execz .LBB2332_77
; %bb.69:
	s_lshl_b64 s[0:1], s[22:23], 3
	v_mov_b32_e32 v21, 0
	s_add_u32 s0, s2, s0
	v_min_u32_e32 v27, s33, v16
	s_addc_u32 s1, s3, s1
	v_lshlrev_b64 v[22:23], 3, v[20:21]
	v_lshl_add_u64 v[22:23], s[0:1], 0, v[22:23]
	v_cmp_gt_u32_e32 vcc, v27, v0
	s_and_saveexec_b64 s[0:1], vcc
	s_cbranch_execnz .LBB2332_87
; %bb.70:
	s_or_b64 exec, exec, s[0:1]
	v_cmp_lt_u32_e32 vcc, v26, v27
	s_and_saveexec_b64 s[0:1], vcc
	s_cbranch_execnz .LBB2332_88
.LBB2332_71:
	s_or_b64 exec, exec, s[0:1]
	v_cmp_lt_u32_e32 vcc, v25, v27
	s_and_saveexec_b64 s[0:1], vcc
	s_cbranch_execnz .LBB2332_89
.LBB2332_72:
	s_or_b64 exec, exec, s[0:1]
	v_cmp_lt_u32_e32 vcc, v24, v27
	s_and_saveexec_b64 s[0:1], vcc
	s_cbranch_execnz .LBB2332_90
.LBB2332_73:
	s_or_b64 exec, exec, s[0:1]
	v_cmp_lt_u32_e32 vcc, v19, v27
	s_and_saveexec_b64 s[0:1], vcc
	s_cbranch_execnz .LBB2332_91
.LBB2332_74:
	s_or_b64 exec, exec, s[0:1]
	v_cmp_lt_u32_e32 vcc, v17, v27
	s_and_saveexec_b64 s[0:1], vcc
	s_cbranch_execz .LBB2332_76
.LBB2332_75:
	s_waitcnt lgkmcnt(1)
	v_lshlrev_b32_e32 v2, 3, v17
	v_readfirstlane_b32 s2, v22
	v_readfirstlane_b32 s3, v23
	s_nop 4
	global_store_dwordx2 v2, v[4:5], s[2:3]
.LBB2332_76:
	s_or_b64 exec, exec, s[0:1]
	v_cmp_lt_u32_e64 s[0:1], v1, v27
.LBB2332_77:
	s_and_saveexec_b64 s[2:3], s[0:1]
	s_cbranch_execz .LBB2332_79
; %bb.78:
	v_lshlrev_b32_e32 v1, 3, v1
	v_readfirstlane_b32 s0, v22
	v_readfirstlane_b32 s1, v23
	s_waitcnt lgkmcnt(0)
	s_nop 3
	global_store_dwordx2 v1, v[14:15], s[0:1]
.LBB2332_79:
	s_or_b64 exec, exec, s[2:3]
	v_cmp_eq_u32_e32 vcc, 0, v0
	s_and_b64 s[0:1], vcc, s[26:27]
	s_and_saveexec_b64 s[2:3], s[0:1]
	s_cbranch_execz .LBB2332_81
; %bb.80:
	v_mov_b32_e32 v17, 0
	v_lshl_add_u64 v[0:1], s[22:23], 0, v[16:17]
	v_mov_b32_e32 v21, v17
	v_lshl_add_u64 v[0:1], v[0:1], 0, v[20:21]
	global_store_dwordx2 v17, v[0:1], s[24:25]
.LBB2332_81:
	s_endpgm
.LBB2332_82:
	v_readfirstlane_b32 s4, v22
	v_readfirstlane_b32 s5, v23
	s_waitcnt lgkmcnt(3)
	s_nop 3
	global_store_dwordx2 v18, v[10:11], s[4:5]
	s_or_b64 exec, exec, s[0:1]
	v_cmp_lt_u32_e32 vcc, v26, v16
	s_and_saveexec_b64 s[0:1], vcc
	s_cbranch_execz .LBB2332_62
.LBB2332_83:
	v_lshlrev_b32_e32 v21, 3, v26
	v_readfirstlane_b32 s4, v22
	v_readfirstlane_b32 s5, v23
	s_waitcnt lgkmcnt(3)
	s_nop 3
	global_store_dwordx2 v21, v[12:13], s[4:5]
	s_or_b64 exec, exec, s[0:1]
	v_cmp_lt_u32_e32 vcc, v25, v16
	s_and_saveexec_b64 s[0:1], vcc
	s_cbranch_execz .LBB2332_63
.LBB2332_84:
	v_lshlrev_b32_e32 v21, 3, v25
	v_readfirstlane_b32 s4, v22
	v_readfirstlane_b32 s5, v23
	s_waitcnt lgkmcnt(2)
	s_nop 3
	global_store_dwordx2 v21, v[6:7], s[4:5]
	s_or_b64 exec, exec, s[0:1]
	v_cmp_lt_u32_e32 vcc, v24, v16
	s_and_saveexec_b64 s[0:1], vcc
	s_cbranch_execz .LBB2332_64
.LBB2332_85:
	v_lshlrev_b32_e32 v21, 3, v24
	v_readfirstlane_b32 s4, v22
	v_readfirstlane_b32 s5, v23
	s_waitcnt lgkmcnt(2)
	s_nop 3
	global_store_dwordx2 v21, v[8:9], s[4:5]
	s_or_b64 exec, exec, s[0:1]
	v_cmp_lt_u32_e32 vcc, v19, v16
	s_and_saveexec_b64 s[0:1], vcc
	s_cbranch_execz .LBB2332_65
.LBB2332_86:
	v_lshlrev_b32_e32 v21, 3, v19
	v_readfirstlane_b32 s4, v22
	v_readfirstlane_b32 s5, v23
	s_waitcnt lgkmcnt(1)
	s_nop 3
	global_store_dwordx2 v21, v[2:3], s[4:5]
	s_or_b64 exec, exec, s[0:1]
	v_cmp_lt_u32_e32 vcc, v17, v16
	s_and_saveexec_b64 s[0:1], vcc
	s_cbranch_execnz .LBB2332_66
	s_branch .LBB2332_67
.LBB2332_87:
	v_readfirstlane_b32 s2, v22
	v_readfirstlane_b32 s3, v23
	s_waitcnt lgkmcnt(3)
	s_nop 3
	global_store_dwordx2 v18, v[10:11], s[2:3]
	s_or_b64 exec, exec, s[0:1]
	v_cmp_lt_u32_e32 vcc, v26, v27
	s_and_saveexec_b64 s[0:1], vcc
	s_cbranch_execz .LBB2332_71
.LBB2332_88:
	s_waitcnt lgkmcnt(3)
	v_lshlrev_b32_e32 v10, 3, v26
	v_readfirstlane_b32 s2, v22
	v_readfirstlane_b32 s3, v23
	s_nop 4
	global_store_dwordx2 v10, v[12:13], s[2:3]
	s_or_b64 exec, exec, s[0:1]
	v_cmp_lt_u32_e32 vcc, v25, v27
	s_and_saveexec_b64 s[0:1], vcc
	s_cbranch_execz .LBB2332_72
.LBB2332_89:
	s_waitcnt lgkmcnt(3)
	v_lshlrev_b32_e32 v10, 3, v25
	v_readfirstlane_b32 s2, v22
	v_readfirstlane_b32 s3, v23
	s_waitcnt lgkmcnt(2)
	s_nop 3
	global_store_dwordx2 v10, v[6:7], s[2:3]
	s_or_b64 exec, exec, s[0:1]
	v_cmp_lt_u32_e32 vcc, v24, v27
	s_and_saveexec_b64 s[0:1], vcc
	s_cbranch_execz .LBB2332_73
.LBB2332_90:
	s_waitcnt lgkmcnt(2)
	v_lshlrev_b32_e32 v6, 3, v24
	v_readfirstlane_b32 s2, v22
	v_readfirstlane_b32 s3, v23
	s_nop 4
	global_store_dwordx2 v6, v[8:9], s[2:3]
	s_or_b64 exec, exec, s[0:1]
	v_cmp_lt_u32_e32 vcc, v19, v27
	s_and_saveexec_b64 s[0:1], vcc
	s_cbranch_execz .LBB2332_74
.LBB2332_91:
	s_waitcnt lgkmcnt(2)
	v_lshlrev_b32_e32 v6, 3, v19
	v_readfirstlane_b32 s2, v22
	v_readfirstlane_b32 s3, v23
	s_waitcnt lgkmcnt(1)
	s_nop 3
	global_store_dwordx2 v6, v[2:3], s[2:3]
	s_or_b64 exec, exec, s[0:1]
	v_cmp_lt_u32_e32 vcc, v17, v27
	s_and_saveexec_b64 s[0:1], vcc
	s_cbranch_execnz .LBB2332_75
	s_branch .LBB2332_76
	.section	.rodata,"a",@progbits
	.p2align	6, 0x0
	.amdhsa_kernel _ZN7rocprim17ROCPRIM_400000_NS6detail17trampoline_kernelINS0_14default_configENS1_25partition_config_selectorILNS1_17partition_subalgoE0EyNS0_10empty_typeEbEEZZNS1_14partition_implILS5_0ELb0ES3_jN6thrust23THRUST_200600_302600_NS6detail15normal_iteratorINSA_10device_ptrIyEEEEPS6_SG_NS0_5tupleIJSF_NSA_16discard_iteratorINSA_11use_defaultEEEEEENSH_IJSG_SG_EEES6_PlJ7is_evenIyEEEE10hipError_tPvRmT3_T4_T5_T6_T7_T9_mT8_P12ihipStream_tbDpT10_ENKUlT_T0_E_clISt17integral_constantIbLb0EES19_EEDaS14_S15_EUlS14_E_NS1_11comp_targetILNS1_3genE5ELNS1_11target_archE942ELNS1_3gpuE9ELNS1_3repE0EEENS1_30default_config_static_selectorELNS0_4arch9wavefront6targetE1EEEvT1_
		.amdhsa_group_segment_fixed_size 28680
		.amdhsa_private_segment_fixed_size 0
		.amdhsa_kernarg_size 128
		.amdhsa_user_sgpr_count 2
		.amdhsa_user_sgpr_dispatch_ptr 0
		.amdhsa_user_sgpr_queue_ptr 0
		.amdhsa_user_sgpr_kernarg_segment_ptr 1
		.amdhsa_user_sgpr_dispatch_id 0
		.amdhsa_user_sgpr_kernarg_preload_length 0
		.amdhsa_user_sgpr_kernarg_preload_offset 0
		.amdhsa_user_sgpr_private_segment_size 0
		.amdhsa_uses_dynamic_stack 0
		.amdhsa_enable_private_segment 0
		.amdhsa_system_sgpr_workgroup_id_x 1
		.amdhsa_system_sgpr_workgroup_id_y 0
		.amdhsa_system_sgpr_workgroup_id_z 0
		.amdhsa_system_sgpr_workgroup_info 0
		.amdhsa_system_vgpr_workitem_id 0
		.amdhsa_next_free_vgpr 57
		.amdhsa_next_free_sgpr 40
		.amdhsa_accum_offset 60
		.amdhsa_reserve_vcc 1
		.amdhsa_float_round_mode_32 0
		.amdhsa_float_round_mode_16_64 0
		.amdhsa_float_denorm_mode_32 3
		.amdhsa_float_denorm_mode_16_64 3
		.amdhsa_dx10_clamp 1
		.amdhsa_ieee_mode 1
		.amdhsa_fp16_overflow 0
		.amdhsa_tg_split 0
		.amdhsa_exception_fp_ieee_invalid_op 0
		.amdhsa_exception_fp_denorm_src 0
		.amdhsa_exception_fp_ieee_div_zero 0
		.amdhsa_exception_fp_ieee_overflow 0
		.amdhsa_exception_fp_ieee_underflow 0
		.amdhsa_exception_fp_ieee_inexact 0
		.amdhsa_exception_int_div_zero 0
	.end_amdhsa_kernel
	.section	.text._ZN7rocprim17ROCPRIM_400000_NS6detail17trampoline_kernelINS0_14default_configENS1_25partition_config_selectorILNS1_17partition_subalgoE0EyNS0_10empty_typeEbEEZZNS1_14partition_implILS5_0ELb0ES3_jN6thrust23THRUST_200600_302600_NS6detail15normal_iteratorINSA_10device_ptrIyEEEEPS6_SG_NS0_5tupleIJSF_NSA_16discard_iteratorINSA_11use_defaultEEEEEENSH_IJSG_SG_EEES6_PlJ7is_evenIyEEEE10hipError_tPvRmT3_T4_T5_T6_T7_T9_mT8_P12ihipStream_tbDpT10_ENKUlT_T0_E_clISt17integral_constantIbLb0EES19_EEDaS14_S15_EUlS14_E_NS1_11comp_targetILNS1_3genE5ELNS1_11target_archE942ELNS1_3gpuE9ELNS1_3repE0EEENS1_30default_config_static_selectorELNS0_4arch9wavefront6targetE1EEEvT1_,"axG",@progbits,_ZN7rocprim17ROCPRIM_400000_NS6detail17trampoline_kernelINS0_14default_configENS1_25partition_config_selectorILNS1_17partition_subalgoE0EyNS0_10empty_typeEbEEZZNS1_14partition_implILS5_0ELb0ES3_jN6thrust23THRUST_200600_302600_NS6detail15normal_iteratorINSA_10device_ptrIyEEEEPS6_SG_NS0_5tupleIJSF_NSA_16discard_iteratorINSA_11use_defaultEEEEEENSH_IJSG_SG_EEES6_PlJ7is_evenIyEEEE10hipError_tPvRmT3_T4_T5_T6_T7_T9_mT8_P12ihipStream_tbDpT10_ENKUlT_T0_E_clISt17integral_constantIbLb0EES19_EEDaS14_S15_EUlS14_E_NS1_11comp_targetILNS1_3genE5ELNS1_11target_archE942ELNS1_3gpuE9ELNS1_3repE0EEENS1_30default_config_static_selectorELNS0_4arch9wavefront6targetE1EEEvT1_,comdat
.Lfunc_end2332:
	.size	_ZN7rocprim17ROCPRIM_400000_NS6detail17trampoline_kernelINS0_14default_configENS1_25partition_config_selectorILNS1_17partition_subalgoE0EyNS0_10empty_typeEbEEZZNS1_14partition_implILS5_0ELb0ES3_jN6thrust23THRUST_200600_302600_NS6detail15normal_iteratorINSA_10device_ptrIyEEEEPS6_SG_NS0_5tupleIJSF_NSA_16discard_iteratorINSA_11use_defaultEEEEEENSH_IJSG_SG_EEES6_PlJ7is_evenIyEEEE10hipError_tPvRmT3_T4_T5_T6_T7_T9_mT8_P12ihipStream_tbDpT10_ENKUlT_T0_E_clISt17integral_constantIbLb0EES19_EEDaS14_S15_EUlS14_E_NS1_11comp_targetILNS1_3genE5ELNS1_11target_archE942ELNS1_3gpuE9ELNS1_3repE0EEENS1_30default_config_static_selectorELNS0_4arch9wavefront6targetE1EEEvT1_, .Lfunc_end2332-_ZN7rocprim17ROCPRIM_400000_NS6detail17trampoline_kernelINS0_14default_configENS1_25partition_config_selectorILNS1_17partition_subalgoE0EyNS0_10empty_typeEbEEZZNS1_14partition_implILS5_0ELb0ES3_jN6thrust23THRUST_200600_302600_NS6detail15normal_iteratorINSA_10device_ptrIyEEEEPS6_SG_NS0_5tupleIJSF_NSA_16discard_iteratorINSA_11use_defaultEEEEEENSH_IJSG_SG_EEES6_PlJ7is_evenIyEEEE10hipError_tPvRmT3_T4_T5_T6_T7_T9_mT8_P12ihipStream_tbDpT10_ENKUlT_T0_E_clISt17integral_constantIbLb0EES19_EEDaS14_S15_EUlS14_E_NS1_11comp_targetILNS1_3genE5ELNS1_11target_archE942ELNS1_3gpuE9ELNS1_3repE0EEENS1_30default_config_static_selectorELNS0_4arch9wavefront6targetE1EEEvT1_
                                        ; -- End function
	.section	.AMDGPU.csdata,"",@progbits
; Kernel info:
; codeLenInByte = 4532
; NumSgprs: 46
; NumVgprs: 57
; NumAgprs: 0
; TotalNumVgprs: 57
; ScratchSize: 0
; MemoryBound: 0
; FloatMode: 240
; IeeeMode: 1
; LDSByteSize: 28680 bytes/workgroup (compile time only)
; SGPRBlocks: 5
; VGPRBlocks: 7
; NumSGPRsForWavesPerEU: 46
; NumVGPRsForWavesPerEU: 57
; AccumOffset: 60
; Occupancy: 4
; WaveLimiterHint : 1
; COMPUTE_PGM_RSRC2:SCRATCH_EN: 0
; COMPUTE_PGM_RSRC2:USER_SGPR: 2
; COMPUTE_PGM_RSRC2:TRAP_HANDLER: 0
; COMPUTE_PGM_RSRC2:TGID_X_EN: 1
; COMPUTE_PGM_RSRC2:TGID_Y_EN: 0
; COMPUTE_PGM_RSRC2:TGID_Z_EN: 0
; COMPUTE_PGM_RSRC2:TIDIG_COMP_CNT: 0
; COMPUTE_PGM_RSRC3_GFX90A:ACCUM_OFFSET: 14
; COMPUTE_PGM_RSRC3_GFX90A:TG_SPLIT: 0
	.section	.text._ZN7rocprim17ROCPRIM_400000_NS6detail17trampoline_kernelINS0_14default_configENS1_25partition_config_selectorILNS1_17partition_subalgoE0EyNS0_10empty_typeEbEEZZNS1_14partition_implILS5_0ELb0ES3_jN6thrust23THRUST_200600_302600_NS6detail15normal_iteratorINSA_10device_ptrIyEEEEPS6_SG_NS0_5tupleIJSF_NSA_16discard_iteratorINSA_11use_defaultEEEEEENSH_IJSG_SG_EEES6_PlJ7is_evenIyEEEE10hipError_tPvRmT3_T4_T5_T6_T7_T9_mT8_P12ihipStream_tbDpT10_ENKUlT_T0_E_clISt17integral_constantIbLb0EES19_EEDaS14_S15_EUlS14_E_NS1_11comp_targetILNS1_3genE4ELNS1_11target_archE910ELNS1_3gpuE8ELNS1_3repE0EEENS1_30default_config_static_selectorELNS0_4arch9wavefront6targetE1EEEvT1_,"axG",@progbits,_ZN7rocprim17ROCPRIM_400000_NS6detail17trampoline_kernelINS0_14default_configENS1_25partition_config_selectorILNS1_17partition_subalgoE0EyNS0_10empty_typeEbEEZZNS1_14partition_implILS5_0ELb0ES3_jN6thrust23THRUST_200600_302600_NS6detail15normal_iteratorINSA_10device_ptrIyEEEEPS6_SG_NS0_5tupleIJSF_NSA_16discard_iteratorINSA_11use_defaultEEEEEENSH_IJSG_SG_EEES6_PlJ7is_evenIyEEEE10hipError_tPvRmT3_T4_T5_T6_T7_T9_mT8_P12ihipStream_tbDpT10_ENKUlT_T0_E_clISt17integral_constantIbLb0EES19_EEDaS14_S15_EUlS14_E_NS1_11comp_targetILNS1_3genE4ELNS1_11target_archE910ELNS1_3gpuE8ELNS1_3repE0EEENS1_30default_config_static_selectorELNS0_4arch9wavefront6targetE1EEEvT1_,comdat
	.protected	_ZN7rocprim17ROCPRIM_400000_NS6detail17trampoline_kernelINS0_14default_configENS1_25partition_config_selectorILNS1_17partition_subalgoE0EyNS0_10empty_typeEbEEZZNS1_14partition_implILS5_0ELb0ES3_jN6thrust23THRUST_200600_302600_NS6detail15normal_iteratorINSA_10device_ptrIyEEEEPS6_SG_NS0_5tupleIJSF_NSA_16discard_iteratorINSA_11use_defaultEEEEEENSH_IJSG_SG_EEES6_PlJ7is_evenIyEEEE10hipError_tPvRmT3_T4_T5_T6_T7_T9_mT8_P12ihipStream_tbDpT10_ENKUlT_T0_E_clISt17integral_constantIbLb0EES19_EEDaS14_S15_EUlS14_E_NS1_11comp_targetILNS1_3genE4ELNS1_11target_archE910ELNS1_3gpuE8ELNS1_3repE0EEENS1_30default_config_static_selectorELNS0_4arch9wavefront6targetE1EEEvT1_ ; -- Begin function _ZN7rocprim17ROCPRIM_400000_NS6detail17trampoline_kernelINS0_14default_configENS1_25partition_config_selectorILNS1_17partition_subalgoE0EyNS0_10empty_typeEbEEZZNS1_14partition_implILS5_0ELb0ES3_jN6thrust23THRUST_200600_302600_NS6detail15normal_iteratorINSA_10device_ptrIyEEEEPS6_SG_NS0_5tupleIJSF_NSA_16discard_iteratorINSA_11use_defaultEEEEEENSH_IJSG_SG_EEES6_PlJ7is_evenIyEEEE10hipError_tPvRmT3_T4_T5_T6_T7_T9_mT8_P12ihipStream_tbDpT10_ENKUlT_T0_E_clISt17integral_constantIbLb0EES19_EEDaS14_S15_EUlS14_E_NS1_11comp_targetILNS1_3genE4ELNS1_11target_archE910ELNS1_3gpuE8ELNS1_3repE0EEENS1_30default_config_static_selectorELNS0_4arch9wavefront6targetE1EEEvT1_
	.globl	_ZN7rocprim17ROCPRIM_400000_NS6detail17trampoline_kernelINS0_14default_configENS1_25partition_config_selectorILNS1_17partition_subalgoE0EyNS0_10empty_typeEbEEZZNS1_14partition_implILS5_0ELb0ES3_jN6thrust23THRUST_200600_302600_NS6detail15normal_iteratorINSA_10device_ptrIyEEEEPS6_SG_NS0_5tupleIJSF_NSA_16discard_iteratorINSA_11use_defaultEEEEEENSH_IJSG_SG_EEES6_PlJ7is_evenIyEEEE10hipError_tPvRmT3_T4_T5_T6_T7_T9_mT8_P12ihipStream_tbDpT10_ENKUlT_T0_E_clISt17integral_constantIbLb0EES19_EEDaS14_S15_EUlS14_E_NS1_11comp_targetILNS1_3genE4ELNS1_11target_archE910ELNS1_3gpuE8ELNS1_3repE0EEENS1_30default_config_static_selectorELNS0_4arch9wavefront6targetE1EEEvT1_
	.p2align	8
	.type	_ZN7rocprim17ROCPRIM_400000_NS6detail17trampoline_kernelINS0_14default_configENS1_25partition_config_selectorILNS1_17partition_subalgoE0EyNS0_10empty_typeEbEEZZNS1_14partition_implILS5_0ELb0ES3_jN6thrust23THRUST_200600_302600_NS6detail15normal_iteratorINSA_10device_ptrIyEEEEPS6_SG_NS0_5tupleIJSF_NSA_16discard_iteratorINSA_11use_defaultEEEEEENSH_IJSG_SG_EEES6_PlJ7is_evenIyEEEE10hipError_tPvRmT3_T4_T5_T6_T7_T9_mT8_P12ihipStream_tbDpT10_ENKUlT_T0_E_clISt17integral_constantIbLb0EES19_EEDaS14_S15_EUlS14_E_NS1_11comp_targetILNS1_3genE4ELNS1_11target_archE910ELNS1_3gpuE8ELNS1_3repE0EEENS1_30default_config_static_selectorELNS0_4arch9wavefront6targetE1EEEvT1_,@function
_ZN7rocprim17ROCPRIM_400000_NS6detail17trampoline_kernelINS0_14default_configENS1_25partition_config_selectorILNS1_17partition_subalgoE0EyNS0_10empty_typeEbEEZZNS1_14partition_implILS5_0ELb0ES3_jN6thrust23THRUST_200600_302600_NS6detail15normal_iteratorINSA_10device_ptrIyEEEEPS6_SG_NS0_5tupleIJSF_NSA_16discard_iteratorINSA_11use_defaultEEEEEENSH_IJSG_SG_EEES6_PlJ7is_evenIyEEEE10hipError_tPvRmT3_T4_T5_T6_T7_T9_mT8_P12ihipStream_tbDpT10_ENKUlT_T0_E_clISt17integral_constantIbLb0EES19_EEDaS14_S15_EUlS14_E_NS1_11comp_targetILNS1_3genE4ELNS1_11target_archE910ELNS1_3gpuE8ELNS1_3repE0EEENS1_30default_config_static_selectorELNS0_4arch9wavefront6targetE1EEEvT1_: ; @_ZN7rocprim17ROCPRIM_400000_NS6detail17trampoline_kernelINS0_14default_configENS1_25partition_config_selectorILNS1_17partition_subalgoE0EyNS0_10empty_typeEbEEZZNS1_14partition_implILS5_0ELb0ES3_jN6thrust23THRUST_200600_302600_NS6detail15normal_iteratorINSA_10device_ptrIyEEEEPS6_SG_NS0_5tupleIJSF_NSA_16discard_iteratorINSA_11use_defaultEEEEEENSH_IJSG_SG_EEES6_PlJ7is_evenIyEEEE10hipError_tPvRmT3_T4_T5_T6_T7_T9_mT8_P12ihipStream_tbDpT10_ENKUlT_T0_E_clISt17integral_constantIbLb0EES19_EEDaS14_S15_EUlS14_E_NS1_11comp_targetILNS1_3genE4ELNS1_11target_archE910ELNS1_3gpuE8ELNS1_3repE0EEENS1_30default_config_static_selectorELNS0_4arch9wavefront6targetE1EEEvT1_
; %bb.0:
	.section	.rodata,"a",@progbits
	.p2align	6, 0x0
	.amdhsa_kernel _ZN7rocprim17ROCPRIM_400000_NS6detail17trampoline_kernelINS0_14default_configENS1_25partition_config_selectorILNS1_17partition_subalgoE0EyNS0_10empty_typeEbEEZZNS1_14partition_implILS5_0ELb0ES3_jN6thrust23THRUST_200600_302600_NS6detail15normal_iteratorINSA_10device_ptrIyEEEEPS6_SG_NS0_5tupleIJSF_NSA_16discard_iteratorINSA_11use_defaultEEEEEENSH_IJSG_SG_EEES6_PlJ7is_evenIyEEEE10hipError_tPvRmT3_T4_T5_T6_T7_T9_mT8_P12ihipStream_tbDpT10_ENKUlT_T0_E_clISt17integral_constantIbLb0EES19_EEDaS14_S15_EUlS14_E_NS1_11comp_targetILNS1_3genE4ELNS1_11target_archE910ELNS1_3gpuE8ELNS1_3repE0EEENS1_30default_config_static_selectorELNS0_4arch9wavefront6targetE1EEEvT1_
		.amdhsa_group_segment_fixed_size 0
		.amdhsa_private_segment_fixed_size 0
		.amdhsa_kernarg_size 128
		.amdhsa_user_sgpr_count 2
		.amdhsa_user_sgpr_dispatch_ptr 0
		.amdhsa_user_sgpr_queue_ptr 0
		.amdhsa_user_sgpr_kernarg_segment_ptr 1
		.amdhsa_user_sgpr_dispatch_id 0
		.amdhsa_user_sgpr_kernarg_preload_length 0
		.amdhsa_user_sgpr_kernarg_preload_offset 0
		.amdhsa_user_sgpr_private_segment_size 0
		.amdhsa_uses_dynamic_stack 0
		.amdhsa_enable_private_segment 0
		.amdhsa_system_sgpr_workgroup_id_x 1
		.amdhsa_system_sgpr_workgroup_id_y 0
		.amdhsa_system_sgpr_workgroup_id_z 0
		.amdhsa_system_sgpr_workgroup_info 0
		.amdhsa_system_vgpr_workitem_id 0
		.amdhsa_next_free_vgpr 1
		.amdhsa_next_free_sgpr 0
		.amdhsa_accum_offset 4
		.amdhsa_reserve_vcc 0
		.amdhsa_float_round_mode_32 0
		.amdhsa_float_round_mode_16_64 0
		.amdhsa_float_denorm_mode_32 3
		.amdhsa_float_denorm_mode_16_64 3
		.amdhsa_dx10_clamp 1
		.amdhsa_ieee_mode 1
		.amdhsa_fp16_overflow 0
		.amdhsa_tg_split 0
		.amdhsa_exception_fp_ieee_invalid_op 0
		.amdhsa_exception_fp_denorm_src 0
		.amdhsa_exception_fp_ieee_div_zero 0
		.amdhsa_exception_fp_ieee_overflow 0
		.amdhsa_exception_fp_ieee_underflow 0
		.amdhsa_exception_fp_ieee_inexact 0
		.amdhsa_exception_int_div_zero 0
	.end_amdhsa_kernel
	.section	.text._ZN7rocprim17ROCPRIM_400000_NS6detail17trampoline_kernelINS0_14default_configENS1_25partition_config_selectorILNS1_17partition_subalgoE0EyNS0_10empty_typeEbEEZZNS1_14partition_implILS5_0ELb0ES3_jN6thrust23THRUST_200600_302600_NS6detail15normal_iteratorINSA_10device_ptrIyEEEEPS6_SG_NS0_5tupleIJSF_NSA_16discard_iteratorINSA_11use_defaultEEEEEENSH_IJSG_SG_EEES6_PlJ7is_evenIyEEEE10hipError_tPvRmT3_T4_T5_T6_T7_T9_mT8_P12ihipStream_tbDpT10_ENKUlT_T0_E_clISt17integral_constantIbLb0EES19_EEDaS14_S15_EUlS14_E_NS1_11comp_targetILNS1_3genE4ELNS1_11target_archE910ELNS1_3gpuE8ELNS1_3repE0EEENS1_30default_config_static_selectorELNS0_4arch9wavefront6targetE1EEEvT1_,"axG",@progbits,_ZN7rocprim17ROCPRIM_400000_NS6detail17trampoline_kernelINS0_14default_configENS1_25partition_config_selectorILNS1_17partition_subalgoE0EyNS0_10empty_typeEbEEZZNS1_14partition_implILS5_0ELb0ES3_jN6thrust23THRUST_200600_302600_NS6detail15normal_iteratorINSA_10device_ptrIyEEEEPS6_SG_NS0_5tupleIJSF_NSA_16discard_iteratorINSA_11use_defaultEEEEEENSH_IJSG_SG_EEES6_PlJ7is_evenIyEEEE10hipError_tPvRmT3_T4_T5_T6_T7_T9_mT8_P12ihipStream_tbDpT10_ENKUlT_T0_E_clISt17integral_constantIbLb0EES19_EEDaS14_S15_EUlS14_E_NS1_11comp_targetILNS1_3genE4ELNS1_11target_archE910ELNS1_3gpuE8ELNS1_3repE0EEENS1_30default_config_static_selectorELNS0_4arch9wavefront6targetE1EEEvT1_,comdat
.Lfunc_end2333:
	.size	_ZN7rocprim17ROCPRIM_400000_NS6detail17trampoline_kernelINS0_14default_configENS1_25partition_config_selectorILNS1_17partition_subalgoE0EyNS0_10empty_typeEbEEZZNS1_14partition_implILS5_0ELb0ES3_jN6thrust23THRUST_200600_302600_NS6detail15normal_iteratorINSA_10device_ptrIyEEEEPS6_SG_NS0_5tupleIJSF_NSA_16discard_iteratorINSA_11use_defaultEEEEEENSH_IJSG_SG_EEES6_PlJ7is_evenIyEEEE10hipError_tPvRmT3_T4_T5_T6_T7_T9_mT8_P12ihipStream_tbDpT10_ENKUlT_T0_E_clISt17integral_constantIbLb0EES19_EEDaS14_S15_EUlS14_E_NS1_11comp_targetILNS1_3genE4ELNS1_11target_archE910ELNS1_3gpuE8ELNS1_3repE0EEENS1_30default_config_static_selectorELNS0_4arch9wavefront6targetE1EEEvT1_, .Lfunc_end2333-_ZN7rocprim17ROCPRIM_400000_NS6detail17trampoline_kernelINS0_14default_configENS1_25partition_config_selectorILNS1_17partition_subalgoE0EyNS0_10empty_typeEbEEZZNS1_14partition_implILS5_0ELb0ES3_jN6thrust23THRUST_200600_302600_NS6detail15normal_iteratorINSA_10device_ptrIyEEEEPS6_SG_NS0_5tupleIJSF_NSA_16discard_iteratorINSA_11use_defaultEEEEEENSH_IJSG_SG_EEES6_PlJ7is_evenIyEEEE10hipError_tPvRmT3_T4_T5_T6_T7_T9_mT8_P12ihipStream_tbDpT10_ENKUlT_T0_E_clISt17integral_constantIbLb0EES19_EEDaS14_S15_EUlS14_E_NS1_11comp_targetILNS1_3genE4ELNS1_11target_archE910ELNS1_3gpuE8ELNS1_3repE0EEENS1_30default_config_static_selectorELNS0_4arch9wavefront6targetE1EEEvT1_
                                        ; -- End function
	.section	.AMDGPU.csdata,"",@progbits
; Kernel info:
; codeLenInByte = 0
; NumSgprs: 6
; NumVgprs: 0
; NumAgprs: 0
; TotalNumVgprs: 0
; ScratchSize: 0
; MemoryBound: 0
; FloatMode: 240
; IeeeMode: 1
; LDSByteSize: 0 bytes/workgroup (compile time only)
; SGPRBlocks: 0
; VGPRBlocks: 0
; NumSGPRsForWavesPerEU: 6
; NumVGPRsForWavesPerEU: 1
; AccumOffset: 4
; Occupancy: 8
; WaveLimiterHint : 0
; COMPUTE_PGM_RSRC2:SCRATCH_EN: 0
; COMPUTE_PGM_RSRC2:USER_SGPR: 2
; COMPUTE_PGM_RSRC2:TRAP_HANDLER: 0
; COMPUTE_PGM_RSRC2:TGID_X_EN: 1
; COMPUTE_PGM_RSRC2:TGID_Y_EN: 0
; COMPUTE_PGM_RSRC2:TGID_Z_EN: 0
; COMPUTE_PGM_RSRC2:TIDIG_COMP_CNT: 0
; COMPUTE_PGM_RSRC3_GFX90A:ACCUM_OFFSET: 0
; COMPUTE_PGM_RSRC3_GFX90A:TG_SPLIT: 0
	.section	.text._ZN7rocprim17ROCPRIM_400000_NS6detail17trampoline_kernelINS0_14default_configENS1_25partition_config_selectorILNS1_17partition_subalgoE0EyNS0_10empty_typeEbEEZZNS1_14partition_implILS5_0ELb0ES3_jN6thrust23THRUST_200600_302600_NS6detail15normal_iteratorINSA_10device_ptrIyEEEEPS6_SG_NS0_5tupleIJSF_NSA_16discard_iteratorINSA_11use_defaultEEEEEENSH_IJSG_SG_EEES6_PlJ7is_evenIyEEEE10hipError_tPvRmT3_T4_T5_T6_T7_T9_mT8_P12ihipStream_tbDpT10_ENKUlT_T0_E_clISt17integral_constantIbLb0EES19_EEDaS14_S15_EUlS14_E_NS1_11comp_targetILNS1_3genE3ELNS1_11target_archE908ELNS1_3gpuE7ELNS1_3repE0EEENS1_30default_config_static_selectorELNS0_4arch9wavefront6targetE1EEEvT1_,"axG",@progbits,_ZN7rocprim17ROCPRIM_400000_NS6detail17trampoline_kernelINS0_14default_configENS1_25partition_config_selectorILNS1_17partition_subalgoE0EyNS0_10empty_typeEbEEZZNS1_14partition_implILS5_0ELb0ES3_jN6thrust23THRUST_200600_302600_NS6detail15normal_iteratorINSA_10device_ptrIyEEEEPS6_SG_NS0_5tupleIJSF_NSA_16discard_iteratorINSA_11use_defaultEEEEEENSH_IJSG_SG_EEES6_PlJ7is_evenIyEEEE10hipError_tPvRmT3_T4_T5_T6_T7_T9_mT8_P12ihipStream_tbDpT10_ENKUlT_T0_E_clISt17integral_constantIbLb0EES19_EEDaS14_S15_EUlS14_E_NS1_11comp_targetILNS1_3genE3ELNS1_11target_archE908ELNS1_3gpuE7ELNS1_3repE0EEENS1_30default_config_static_selectorELNS0_4arch9wavefront6targetE1EEEvT1_,comdat
	.protected	_ZN7rocprim17ROCPRIM_400000_NS6detail17trampoline_kernelINS0_14default_configENS1_25partition_config_selectorILNS1_17partition_subalgoE0EyNS0_10empty_typeEbEEZZNS1_14partition_implILS5_0ELb0ES3_jN6thrust23THRUST_200600_302600_NS6detail15normal_iteratorINSA_10device_ptrIyEEEEPS6_SG_NS0_5tupleIJSF_NSA_16discard_iteratorINSA_11use_defaultEEEEEENSH_IJSG_SG_EEES6_PlJ7is_evenIyEEEE10hipError_tPvRmT3_T4_T5_T6_T7_T9_mT8_P12ihipStream_tbDpT10_ENKUlT_T0_E_clISt17integral_constantIbLb0EES19_EEDaS14_S15_EUlS14_E_NS1_11comp_targetILNS1_3genE3ELNS1_11target_archE908ELNS1_3gpuE7ELNS1_3repE0EEENS1_30default_config_static_selectorELNS0_4arch9wavefront6targetE1EEEvT1_ ; -- Begin function _ZN7rocprim17ROCPRIM_400000_NS6detail17trampoline_kernelINS0_14default_configENS1_25partition_config_selectorILNS1_17partition_subalgoE0EyNS0_10empty_typeEbEEZZNS1_14partition_implILS5_0ELb0ES3_jN6thrust23THRUST_200600_302600_NS6detail15normal_iteratorINSA_10device_ptrIyEEEEPS6_SG_NS0_5tupleIJSF_NSA_16discard_iteratorINSA_11use_defaultEEEEEENSH_IJSG_SG_EEES6_PlJ7is_evenIyEEEE10hipError_tPvRmT3_T4_T5_T6_T7_T9_mT8_P12ihipStream_tbDpT10_ENKUlT_T0_E_clISt17integral_constantIbLb0EES19_EEDaS14_S15_EUlS14_E_NS1_11comp_targetILNS1_3genE3ELNS1_11target_archE908ELNS1_3gpuE7ELNS1_3repE0EEENS1_30default_config_static_selectorELNS0_4arch9wavefront6targetE1EEEvT1_
	.globl	_ZN7rocprim17ROCPRIM_400000_NS6detail17trampoline_kernelINS0_14default_configENS1_25partition_config_selectorILNS1_17partition_subalgoE0EyNS0_10empty_typeEbEEZZNS1_14partition_implILS5_0ELb0ES3_jN6thrust23THRUST_200600_302600_NS6detail15normal_iteratorINSA_10device_ptrIyEEEEPS6_SG_NS0_5tupleIJSF_NSA_16discard_iteratorINSA_11use_defaultEEEEEENSH_IJSG_SG_EEES6_PlJ7is_evenIyEEEE10hipError_tPvRmT3_T4_T5_T6_T7_T9_mT8_P12ihipStream_tbDpT10_ENKUlT_T0_E_clISt17integral_constantIbLb0EES19_EEDaS14_S15_EUlS14_E_NS1_11comp_targetILNS1_3genE3ELNS1_11target_archE908ELNS1_3gpuE7ELNS1_3repE0EEENS1_30default_config_static_selectorELNS0_4arch9wavefront6targetE1EEEvT1_
	.p2align	8
	.type	_ZN7rocprim17ROCPRIM_400000_NS6detail17trampoline_kernelINS0_14default_configENS1_25partition_config_selectorILNS1_17partition_subalgoE0EyNS0_10empty_typeEbEEZZNS1_14partition_implILS5_0ELb0ES3_jN6thrust23THRUST_200600_302600_NS6detail15normal_iteratorINSA_10device_ptrIyEEEEPS6_SG_NS0_5tupleIJSF_NSA_16discard_iteratorINSA_11use_defaultEEEEEENSH_IJSG_SG_EEES6_PlJ7is_evenIyEEEE10hipError_tPvRmT3_T4_T5_T6_T7_T9_mT8_P12ihipStream_tbDpT10_ENKUlT_T0_E_clISt17integral_constantIbLb0EES19_EEDaS14_S15_EUlS14_E_NS1_11comp_targetILNS1_3genE3ELNS1_11target_archE908ELNS1_3gpuE7ELNS1_3repE0EEENS1_30default_config_static_selectorELNS0_4arch9wavefront6targetE1EEEvT1_,@function
_ZN7rocprim17ROCPRIM_400000_NS6detail17trampoline_kernelINS0_14default_configENS1_25partition_config_selectorILNS1_17partition_subalgoE0EyNS0_10empty_typeEbEEZZNS1_14partition_implILS5_0ELb0ES3_jN6thrust23THRUST_200600_302600_NS6detail15normal_iteratorINSA_10device_ptrIyEEEEPS6_SG_NS0_5tupleIJSF_NSA_16discard_iteratorINSA_11use_defaultEEEEEENSH_IJSG_SG_EEES6_PlJ7is_evenIyEEEE10hipError_tPvRmT3_T4_T5_T6_T7_T9_mT8_P12ihipStream_tbDpT10_ENKUlT_T0_E_clISt17integral_constantIbLb0EES19_EEDaS14_S15_EUlS14_E_NS1_11comp_targetILNS1_3genE3ELNS1_11target_archE908ELNS1_3gpuE7ELNS1_3repE0EEENS1_30default_config_static_selectorELNS0_4arch9wavefront6targetE1EEEvT1_: ; @_ZN7rocprim17ROCPRIM_400000_NS6detail17trampoline_kernelINS0_14default_configENS1_25partition_config_selectorILNS1_17partition_subalgoE0EyNS0_10empty_typeEbEEZZNS1_14partition_implILS5_0ELb0ES3_jN6thrust23THRUST_200600_302600_NS6detail15normal_iteratorINSA_10device_ptrIyEEEEPS6_SG_NS0_5tupleIJSF_NSA_16discard_iteratorINSA_11use_defaultEEEEEENSH_IJSG_SG_EEES6_PlJ7is_evenIyEEEE10hipError_tPvRmT3_T4_T5_T6_T7_T9_mT8_P12ihipStream_tbDpT10_ENKUlT_T0_E_clISt17integral_constantIbLb0EES19_EEDaS14_S15_EUlS14_E_NS1_11comp_targetILNS1_3genE3ELNS1_11target_archE908ELNS1_3gpuE7ELNS1_3repE0EEENS1_30default_config_static_selectorELNS0_4arch9wavefront6targetE1EEEvT1_
; %bb.0:
	.section	.rodata,"a",@progbits
	.p2align	6, 0x0
	.amdhsa_kernel _ZN7rocprim17ROCPRIM_400000_NS6detail17trampoline_kernelINS0_14default_configENS1_25partition_config_selectorILNS1_17partition_subalgoE0EyNS0_10empty_typeEbEEZZNS1_14partition_implILS5_0ELb0ES3_jN6thrust23THRUST_200600_302600_NS6detail15normal_iteratorINSA_10device_ptrIyEEEEPS6_SG_NS0_5tupleIJSF_NSA_16discard_iteratorINSA_11use_defaultEEEEEENSH_IJSG_SG_EEES6_PlJ7is_evenIyEEEE10hipError_tPvRmT3_T4_T5_T6_T7_T9_mT8_P12ihipStream_tbDpT10_ENKUlT_T0_E_clISt17integral_constantIbLb0EES19_EEDaS14_S15_EUlS14_E_NS1_11comp_targetILNS1_3genE3ELNS1_11target_archE908ELNS1_3gpuE7ELNS1_3repE0EEENS1_30default_config_static_selectorELNS0_4arch9wavefront6targetE1EEEvT1_
		.amdhsa_group_segment_fixed_size 0
		.amdhsa_private_segment_fixed_size 0
		.amdhsa_kernarg_size 128
		.amdhsa_user_sgpr_count 2
		.amdhsa_user_sgpr_dispatch_ptr 0
		.amdhsa_user_sgpr_queue_ptr 0
		.amdhsa_user_sgpr_kernarg_segment_ptr 1
		.amdhsa_user_sgpr_dispatch_id 0
		.amdhsa_user_sgpr_kernarg_preload_length 0
		.amdhsa_user_sgpr_kernarg_preload_offset 0
		.amdhsa_user_sgpr_private_segment_size 0
		.amdhsa_uses_dynamic_stack 0
		.amdhsa_enable_private_segment 0
		.amdhsa_system_sgpr_workgroup_id_x 1
		.amdhsa_system_sgpr_workgroup_id_y 0
		.amdhsa_system_sgpr_workgroup_id_z 0
		.amdhsa_system_sgpr_workgroup_info 0
		.amdhsa_system_vgpr_workitem_id 0
		.amdhsa_next_free_vgpr 1
		.amdhsa_next_free_sgpr 0
		.amdhsa_accum_offset 4
		.amdhsa_reserve_vcc 0
		.amdhsa_float_round_mode_32 0
		.amdhsa_float_round_mode_16_64 0
		.amdhsa_float_denorm_mode_32 3
		.amdhsa_float_denorm_mode_16_64 3
		.amdhsa_dx10_clamp 1
		.amdhsa_ieee_mode 1
		.amdhsa_fp16_overflow 0
		.amdhsa_tg_split 0
		.amdhsa_exception_fp_ieee_invalid_op 0
		.amdhsa_exception_fp_denorm_src 0
		.amdhsa_exception_fp_ieee_div_zero 0
		.amdhsa_exception_fp_ieee_overflow 0
		.amdhsa_exception_fp_ieee_underflow 0
		.amdhsa_exception_fp_ieee_inexact 0
		.amdhsa_exception_int_div_zero 0
	.end_amdhsa_kernel
	.section	.text._ZN7rocprim17ROCPRIM_400000_NS6detail17trampoline_kernelINS0_14default_configENS1_25partition_config_selectorILNS1_17partition_subalgoE0EyNS0_10empty_typeEbEEZZNS1_14partition_implILS5_0ELb0ES3_jN6thrust23THRUST_200600_302600_NS6detail15normal_iteratorINSA_10device_ptrIyEEEEPS6_SG_NS0_5tupleIJSF_NSA_16discard_iteratorINSA_11use_defaultEEEEEENSH_IJSG_SG_EEES6_PlJ7is_evenIyEEEE10hipError_tPvRmT3_T4_T5_T6_T7_T9_mT8_P12ihipStream_tbDpT10_ENKUlT_T0_E_clISt17integral_constantIbLb0EES19_EEDaS14_S15_EUlS14_E_NS1_11comp_targetILNS1_3genE3ELNS1_11target_archE908ELNS1_3gpuE7ELNS1_3repE0EEENS1_30default_config_static_selectorELNS0_4arch9wavefront6targetE1EEEvT1_,"axG",@progbits,_ZN7rocprim17ROCPRIM_400000_NS6detail17trampoline_kernelINS0_14default_configENS1_25partition_config_selectorILNS1_17partition_subalgoE0EyNS0_10empty_typeEbEEZZNS1_14partition_implILS5_0ELb0ES3_jN6thrust23THRUST_200600_302600_NS6detail15normal_iteratorINSA_10device_ptrIyEEEEPS6_SG_NS0_5tupleIJSF_NSA_16discard_iteratorINSA_11use_defaultEEEEEENSH_IJSG_SG_EEES6_PlJ7is_evenIyEEEE10hipError_tPvRmT3_T4_T5_T6_T7_T9_mT8_P12ihipStream_tbDpT10_ENKUlT_T0_E_clISt17integral_constantIbLb0EES19_EEDaS14_S15_EUlS14_E_NS1_11comp_targetILNS1_3genE3ELNS1_11target_archE908ELNS1_3gpuE7ELNS1_3repE0EEENS1_30default_config_static_selectorELNS0_4arch9wavefront6targetE1EEEvT1_,comdat
.Lfunc_end2334:
	.size	_ZN7rocprim17ROCPRIM_400000_NS6detail17trampoline_kernelINS0_14default_configENS1_25partition_config_selectorILNS1_17partition_subalgoE0EyNS0_10empty_typeEbEEZZNS1_14partition_implILS5_0ELb0ES3_jN6thrust23THRUST_200600_302600_NS6detail15normal_iteratorINSA_10device_ptrIyEEEEPS6_SG_NS0_5tupleIJSF_NSA_16discard_iteratorINSA_11use_defaultEEEEEENSH_IJSG_SG_EEES6_PlJ7is_evenIyEEEE10hipError_tPvRmT3_T4_T5_T6_T7_T9_mT8_P12ihipStream_tbDpT10_ENKUlT_T0_E_clISt17integral_constantIbLb0EES19_EEDaS14_S15_EUlS14_E_NS1_11comp_targetILNS1_3genE3ELNS1_11target_archE908ELNS1_3gpuE7ELNS1_3repE0EEENS1_30default_config_static_selectorELNS0_4arch9wavefront6targetE1EEEvT1_, .Lfunc_end2334-_ZN7rocprim17ROCPRIM_400000_NS6detail17trampoline_kernelINS0_14default_configENS1_25partition_config_selectorILNS1_17partition_subalgoE0EyNS0_10empty_typeEbEEZZNS1_14partition_implILS5_0ELb0ES3_jN6thrust23THRUST_200600_302600_NS6detail15normal_iteratorINSA_10device_ptrIyEEEEPS6_SG_NS0_5tupleIJSF_NSA_16discard_iteratorINSA_11use_defaultEEEEEENSH_IJSG_SG_EEES6_PlJ7is_evenIyEEEE10hipError_tPvRmT3_T4_T5_T6_T7_T9_mT8_P12ihipStream_tbDpT10_ENKUlT_T0_E_clISt17integral_constantIbLb0EES19_EEDaS14_S15_EUlS14_E_NS1_11comp_targetILNS1_3genE3ELNS1_11target_archE908ELNS1_3gpuE7ELNS1_3repE0EEENS1_30default_config_static_selectorELNS0_4arch9wavefront6targetE1EEEvT1_
                                        ; -- End function
	.section	.AMDGPU.csdata,"",@progbits
; Kernel info:
; codeLenInByte = 0
; NumSgprs: 6
; NumVgprs: 0
; NumAgprs: 0
; TotalNumVgprs: 0
; ScratchSize: 0
; MemoryBound: 0
; FloatMode: 240
; IeeeMode: 1
; LDSByteSize: 0 bytes/workgroup (compile time only)
; SGPRBlocks: 0
; VGPRBlocks: 0
; NumSGPRsForWavesPerEU: 6
; NumVGPRsForWavesPerEU: 1
; AccumOffset: 4
; Occupancy: 8
; WaveLimiterHint : 0
; COMPUTE_PGM_RSRC2:SCRATCH_EN: 0
; COMPUTE_PGM_RSRC2:USER_SGPR: 2
; COMPUTE_PGM_RSRC2:TRAP_HANDLER: 0
; COMPUTE_PGM_RSRC2:TGID_X_EN: 1
; COMPUTE_PGM_RSRC2:TGID_Y_EN: 0
; COMPUTE_PGM_RSRC2:TGID_Z_EN: 0
; COMPUTE_PGM_RSRC2:TIDIG_COMP_CNT: 0
; COMPUTE_PGM_RSRC3_GFX90A:ACCUM_OFFSET: 0
; COMPUTE_PGM_RSRC3_GFX90A:TG_SPLIT: 0
	.section	.text._ZN7rocprim17ROCPRIM_400000_NS6detail17trampoline_kernelINS0_14default_configENS1_25partition_config_selectorILNS1_17partition_subalgoE0EyNS0_10empty_typeEbEEZZNS1_14partition_implILS5_0ELb0ES3_jN6thrust23THRUST_200600_302600_NS6detail15normal_iteratorINSA_10device_ptrIyEEEEPS6_SG_NS0_5tupleIJSF_NSA_16discard_iteratorINSA_11use_defaultEEEEEENSH_IJSG_SG_EEES6_PlJ7is_evenIyEEEE10hipError_tPvRmT3_T4_T5_T6_T7_T9_mT8_P12ihipStream_tbDpT10_ENKUlT_T0_E_clISt17integral_constantIbLb0EES19_EEDaS14_S15_EUlS14_E_NS1_11comp_targetILNS1_3genE2ELNS1_11target_archE906ELNS1_3gpuE6ELNS1_3repE0EEENS1_30default_config_static_selectorELNS0_4arch9wavefront6targetE1EEEvT1_,"axG",@progbits,_ZN7rocprim17ROCPRIM_400000_NS6detail17trampoline_kernelINS0_14default_configENS1_25partition_config_selectorILNS1_17partition_subalgoE0EyNS0_10empty_typeEbEEZZNS1_14partition_implILS5_0ELb0ES3_jN6thrust23THRUST_200600_302600_NS6detail15normal_iteratorINSA_10device_ptrIyEEEEPS6_SG_NS0_5tupleIJSF_NSA_16discard_iteratorINSA_11use_defaultEEEEEENSH_IJSG_SG_EEES6_PlJ7is_evenIyEEEE10hipError_tPvRmT3_T4_T5_T6_T7_T9_mT8_P12ihipStream_tbDpT10_ENKUlT_T0_E_clISt17integral_constantIbLb0EES19_EEDaS14_S15_EUlS14_E_NS1_11comp_targetILNS1_3genE2ELNS1_11target_archE906ELNS1_3gpuE6ELNS1_3repE0EEENS1_30default_config_static_selectorELNS0_4arch9wavefront6targetE1EEEvT1_,comdat
	.protected	_ZN7rocprim17ROCPRIM_400000_NS6detail17trampoline_kernelINS0_14default_configENS1_25partition_config_selectorILNS1_17partition_subalgoE0EyNS0_10empty_typeEbEEZZNS1_14partition_implILS5_0ELb0ES3_jN6thrust23THRUST_200600_302600_NS6detail15normal_iteratorINSA_10device_ptrIyEEEEPS6_SG_NS0_5tupleIJSF_NSA_16discard_iteratorINSA_11use_defaultEEEEEENSH_IJSG_SG_EEES6_PlJ7is_evenIyEEEE10hipError_tPvRmT3_T4_T5_T6_T7_T9_mT8_P12ihipStream_tbDpT10_ENKUlT_T0_E_clISt17integral_constantIbLb0EES19_EEDaS14_S15_EUlS14_E_NS1_11comp_targetILNS1_3genE2ELNS1_11target_archE906ELNS1_3gpuE6ELNS1_3repE0EEENS1_30default_config_static_selectorELNS0_4arch9wavefront6targetE1EEEvT1_ ; -- Begin function _ZN7rocprim17ROCPRIM_400000_NS6detail17trampoline_kernelINS0_14default_configENS1_25partition_config_selectorILNS1_17partition_subalgoE0EyNS0_10empty_typeEbEEZZNS1_14partition_implILS5_0ELb0ES3_jN6thrust23THRUST_200600_302600_NS6detail15normal_iteratorINSA_10device_ptrIyEEEEPS6_SG_NS0_5tupleIJSF_NSA_16discard_iteratorINSA_11use_defaultEEEEEENSH_IJSG_SG_EEES6_PlJ7is_evenIyEEEE10hipError_tPvRmT3_T4_T5_T6_T7_T9_mT8_P12ihipStream_tbDpT10_ENKUlT_T0_E_clISt17integral_constantIbLb0EES19_EEDaS14_S15_EUlS14_E_NS1_11comp_targetILNS1_3genE2ELNS1_11target_archE906ELNS1_3gpuE6ELNS1_3repE0EEENS1_30default_config_static_selectorELNS0_4arch9wavefront6targetE1EEEvT1_
	.globl	_ZN7rocprim17ROCPRIM_400000_NS6detail17trampoline_kernelINS0_14default_configENS1_25partition_config_selectorILNS1_17partition_subalgoE0EyNS0_10empty_typeEbEEZZNS1_14partition_implILS5_0ELb0ES3_jN6thrust23THRUST_200600_302600_NS6detail15normal_iteratorINSA_10device_ptrIyEEEEPS6_SG_NS0_5tupleIJSF_NSA_16discard_iteratorINSA_11use_defaultEEEEEENSH_IJSG_SG_EEES6_PlJ7is_evenIyEEEE10hipError_tPvRmT3_T4_T5_T6_T7_T9_mT8_P12ihipStream_tbDpT10_ENKUlT_T0_E_clISt17integral_constantIbLb0EES19_EEDaS14_S15_EUlS14_E_NS1_11comp_targetILNS1_3genE2ELNS1_11target_archE906ELNS1_3gpuE6ELNS1_3repE0EEENS1_30default_config_static_selectorELNS0_4arch9wavefront6targetE1EEEvT1_
	.p2align	8
	.type	_ZN7rocprim17ROCPRIM_400000_NS6detail17trampoline_kernelINS0_14default_configENS1_25partition_config_selectorILNS1_17partition_subalgoE0EyNS0_10empty_typeEbEEZZNS1_14partition_implILS5_0ELb0ES3_jN6thrust23THRUST_200600_302600_NS6detail15normal_iteratorINSA_10device_ptrIyEEEEPS6_SG_NS0_5tupleIJSF_NSA_16discard_iteratorINSA_11use_defaultEEEEEENSH_IJSG_SG_EEES6_PlJ7is_evenIyEEEE10hipError_tPvRmT3_T4_T5_T6_T7_T9_mT8_P12ihipStream_tbDpT10_ENKUlT_T0_E_clISt17integral_constantIbLb0EES19_EEDaS14_S15_EUlS14_E_NS1_11comp_targetILNS1_3genE2ELNS1_11target_archE906ELNS1_3gpuE6ELNS1_3repE0EEENS1_30default_config_static_selectorELNS0_4arch9wavefront6targetE1EEEvT1_,@function
_ZN7rocprim17ROCPRIM_400000_NS6detail17trampoline_kernelINS0_14default_configENS1_25partition_config_selectorILNS1_17partition_subalgoE0EyNS0_10empty_typeEbEEZZNS1_14partition_implILS5_0ELb0ES3_jN6thrust23THRUST_200600_302600_NS6detail15normal_iteratorINSA_10device_ptrIyEEEEPS6_SG_NS0_5tupleIJSF_NSA_16discard_iteratorINSA_11use_defaultEEEEEENSH_IJSG_SG_EEES6_PlJ7is_evenIyEEEE10hipError_tPvRmT3_T4_T5_T6_T7_T9_mT8_P12ihipStream_tbDpT10_ENKUlT_T0_E_clISt17integral_constantIbLb0EES19_EEDaS14_S15_EUlS14_E_NS1_11comp_targetILNS1_3genE2ELNS1_11target_archE906ELNS1_3gpuE6ELNS1_3repE0EEENS1_30default_config_static_selectorELNS0_4arch9wavefront6targetE1EEEvT1_: ; @_ZN7rocprim17ROCPRIM_400000_NS6detail17trampoline_kernelINS0_14default_configENS1_25partition_config_selectorILNS1_17partition_subalgoE0EyNS0_10empty_typeEbEEZZNS1_14partition_implILS5_0ELb0ES3_jN6thrust23THRUST_200600_302600_NS6detail15normal_iteratorINSA_10device_ptrIyEEEEPS6_SG_NS0_5tupleIJSF_NSA_16discard_iteratorINSA_11use_defaultEEEEEENSH_IJSG_SG_EEES6_PlJ7is_evenIyEEEE10hipError_tPvRmT3_T4_T5_T6_T7_T9_mT8_P12ihipStream_tbDpT10_ENKUlT_T0_E_clISt17integral_constantIbLb0EES19_EEDaS14_S15_EUlS14_E_NS1_11comp_targetILNS1_3genE2ELNS1_11target_archE906ELNS1_3gpuE6ELNS1_3repE0EEENS1_30default_config_static_selectorELNS0_4arch9wavefront6targetE1EEEvT1_
; %bb.0:
	.section	.rodata,"a",@progbits
	.p2align	6, 0x0
	.amdhsa_kernel _ZN7rocprim17ROCPRIM_400000_NS6detail17trampoline_kernelINS0_14default_configENS1_25partition_config_selectorILNS1_17partition_subalgoE0EyNS0_10empty_typeEbEEZZNS1_14partition_implILS5_0ELb0ES3_jN6thrust23THRUST_200600_302600_NS6detail15normal_iteratorINSA_10device_ptrIyEEEEPS6_SG_NS0_5tupleIJSF_NSA_16discard_iteratorINSA_11use_defaultEEEEEENSH_IJSG_SG_EEES6_PlJ7is_evenIyEEEE10hipError_tPvRmT3_T4_T5_T6_T7_T9_mT8_P12ihipStream_tbDpT10_ENKUlT_T0_E_clISt17integral_constantIbLb0EES19_EEDaS14_S15_EUlS14_E_NS1_11comp_targetILNS1_3genE2ELNS1_11target_archE906ELNS1_3gpuE6ELNS1_3repE0EEENS1_30default_config_static_selectorELNS0_4arch9wavefront6targetE1EEEvT1_
		.amdhsa_group_segment_fixed_size 0
		.amdhsa_private_segment_fixed_size 0
		.amdhsa_kernarg_size 128
		.amdhsa_user_sgpr_count 2
		.amdhsa_user_sgpr_dispatch_ptr 0
		.amdhsa_user_sgpr_queue_ptr 0
		.amdhsa_user_sgpr_kernarg_segment_ptr 1
		.amdhsa_user_sgpr_dispatch_id 0
		.amdhsa_user_sgpr_kernarg_preload_length 0
		.amdhsa_user_sgpr_kernarg_preload_offset 0
		.amdhsa_user_sgpr_private_segment_size 0
		.amdhsa_uses_dynamic_stack 0
		.amdhsa_enable_private_segment 0
		.amdhsa_system_sgpr_workgroup_id_x 1
		.amdhsa_system_sgpr_workgroup_id_y 0
		.amdhsa_system_sgpr_workgroup_id_z 0
		.amdhsa_system_sgpr_workgroup_info 0
		.amdhsa_system_vgpr_workitem_id 0
		.amdhsa_next_free_vgpr 1
		.amdhsa_next_free_sgpr 0
		.amdhsa_accum_offset 4
		.amdhsa_reserve_vcc 0
		.amdhsa_float_round_mode_32 0
		.amdhsa_float_round_mode_16_64 0
		.amdhsa_float_denorm_mode_32 3
		.amdhsa_float_denorm_mode_16_64 3
		.amdhsa_dx10_clamp 1
		.amdhsa_ieee_mode 1
		.amdhsa_fp16_overflow 0
		.amdhsa_tg_split 0
		.amdhsa_exception_fp_ieee_invalid_op 0
		.amdhsa_exception_fp_denorm_src 0
		.amdhsa_exception_fp_ieee_div_zero 0
		.amdhsa_exception_fp_ieee_overflow 0
		.amdhsa_exception_fp_ieee_underflow 0
		.amdhsa_exception_fp_ieee_inexact 0
		.amdhsa_exception_int_div_zero 0
	.end_amdhsa_kernel
	.section	.text._ZN7rocprim17ROCPRIM_400000_NS6detail17trampoline_kernelINS0_14default_configENS1_25partition_config_selectorILNS1_17partition_subalgoE0EyNS0_10empty_typeEbEEZZNS1_14partition_implILS5_0ELb0ES3_jN6thrust23THRUST_200600_302600_NS6detail15normal_iteratorINSA_10device_ptrIyEEEEPS6_SG_NS0_5tupleIJSF_NSA_16discard_iteratorINSA_11use_defaultEEEEEENSH_IJSG_SG_EEES6_PlJ7is_evenIyEEEE10hipError_tPvRmT3_T4_T5_T6_T7_T9_mT8_P12ihipStream_tbDpT10_ENKUlT_T0_E_clISt17integral_constantIbLb0EES19_EEDaS14_S15_EUlS14_E_NS1_11comp_targetILNS1_3genE2ELNS1_11target_archE906ELNS1_3gpuE6ELNS1_3repE0EEENS1_30default_config_static_selectorELNS0_4arch9wavefront6targetE1EEEvT1_,"axG",@progbits,_ZN7rocprim17ROCPRIM_400000_NS6detail17trampoline_kernelINS0_14default_configENS1_25partition_config_selectorILNS1_17partition_subalgoE0EyNS0_10empty_typeEbEEZZNS1_14partition_implILS5_0ELb0ES3_jN6thrust23THRUST_200600_302600_NS6detail15normal_iteratorINSA_10device_ptrIyEEEEPS6_SG_NS0_5tupleIJSF_NSA_16discard_iteratorINSA_11use_defaultEEEEEENSH_IJSG_SG_EEES6_PlJ7is_evenIyEEEE10hipError_tPvRmT3_T4_T5_T6_T7_T9_mT8_P12ihipStream_tbDpT10_ENKUlT_T0_E_clISt17integral_constantIbLb0EES19_EEDaS14_S15_EUlS14_E_NS1_11comp_targetILNS1_3genE2ELNS1_11target_archE906ELNS1_3gpuE6ELNS1_3repE0EEENS1_30default_config_static_selectorELNS0_4arch9wavefront6targetE1EEEvT1_,comdat
.Lfunc_end2335:
	.size	_ZN7rocprim17ROCPRIM_400000_NS6detail17trampoline_kernelINS0_14default_configENS1_25partition_config_selectorILNS1_17partition_subalgoE0EyNS0_10empty_typeEbEEZZNS1_14partition_implILS5_0ELb0ES3_jN6thrust23THRUST_200600_302600_NS6detail15normal_iteratorINSA_10device_ptrIyEEEEPS6_SG_NS0_5tupleIJSF_NSA_16discard_iteratorINSA_11use_defaultEEEEEENSH_IJSG_SG_EEES6_PlJ7is_evenIyEEEE10hipError_tPvRmT3_T4_T5_T6_T7_T9_mT8_P12ihipStream_tbDpT10_ENKUlT_T0_E_clISt17integral_constantIbLb0EES19_EEDaS14_S15_EUlS14_E_NS1_11comp_targetILNS1_3genE2ELNS1_11target_archE906ELNS1_3gpuE6ELNS1_3repE0EEENS1_30default_config_static_selectorELNS0_4arch9wavefront6targetE1EEEvT1_, .Lfunc_end2335-_ZN7rocprim17ROCPRIM_400000_NS6detail17trampoline_kernelINS0_14default_configENS1_25partition_config_selectorILNS1_17partition_subalgoE0EyNS0_10empty_typeEbEEZZNS1_14partition_implILS5_0ELb0ES3_jN6thrust23THRUST_200600_302600_NS6detail15normal_iteratorINSA_10device_ptrIyEEEEPS6_SG_NS0_5tupleIJSF_NSA_16discard_iteratorINSA_11use_defaultEEEEEENSH_IJSG_SG_EEES6_PlJ7is_evenIyEEEE10hipError_tPvRmT3_T4_T5_T6_T7_T9_mT8_P12ihipStream_tbDpT10_ENKUlT_T0_E_clISt17integral_constantIbLb0EES19_EEDaS14_S15_EUlS14_E_NS1_11comp_targetILNS1_3genE2ELNS1_11target_archE906ELNS1_3gpuE6ELNS1_3repE0EEENS1_30default_config_static_selectorELNS0_4arch9wavefront6targetE1EEEvT1_
                                        ; -- End function
	.section	.AMDGPU.csdata,"",@progbits
; Kernel info:
; codeLenInByte = 0
; NumSgprs: 6
; NumVgprs: 0
; NumAgprs: 0
; TotalNumVgprs: 0
; ScratchSize: 0
; MemoryBound: 0
; FloatMode: 240
; IeeeMode: 1
; LDSByteSize: 0 bytes/workgroup (compile time only)
; SGPRBlocks: 0
; VGPRBlocks: 0
; NumSGPRsForWavesPerEU: 6
; NumVGPRsForWavesPerEU: 1
; AccumOffset: 4
; Occupancy: 8
; WaveLimiterHint : 0
; COMPUTE_PGM_RSRC2:SCRATCH_EN: 0
; COMPUTE_PGM_RSRC2:USER_SGPR: 2
; COMPUTE_PGM_RSRC2:TRAP_HANDLER: 0
; COMPUTE_PGM_RSRC2:TGID_X_EN: 1
; COMPUTE_PGM_RSRC2:TGID_Y_EN: 0
; COMPUTE_PGM_RSRC2:TGID_Z_EN: 0
; COMPUTE_PGM_RSRC2:TIDIG_COMP_CNT: 0
; COMPUTE_PGM_RSRC3_GFX90A:ACCUM_OFFSET: 0
; COMPUTE_PGM_RSRC3_GFX90A:TG_SPLIT: 0
	.section	.text._ZN7rocprim17ROCPRIM_400000_NS6detail17trampoline_kernelINS0_14default_configENS1_25partition_config_selectorILNS1_17partition_subalgoE0EyNS0_10empty_typeEbEEZZNS1_14partition_implILS5_0ELb0ES3_jN6thrust23THRUST_200600_302600_NS6detail15normal_iteratorINSA_10device_ptrIyEEEEPS6_SG_NS0_5tupleIJSF_NSA_16discard_iteratorINSA_11use_defaultEEEEEENSH_IJSG_SG_EEES6_PlJ7is_evenIyEEEE10hipError_tPvRmT3_T4_T5_T6_T7_T9_mT8_P12ihipStream_tbDpT10_ENKUlT_T0_E_clISt17integral_constantIbLb0EES19_EEDaS14_S15_EUlS14_E_NS1_11comp_targetILNS1_3genE10ELNS1_11target_archE1200ELNS1_3gpuE4ELNS1_3repE0EEENS1_30default_config_static_selectorELNS0_4arch9wavefront6targetE1EEEvT1_,"axG",@progbits,_ZN7rocprim17ROCPRIM_400000_NS6detail17trampoline_kernelINS0_14default_configENS1_25partition_config_selectorILNS1_17partition_subalgoE0EyNS0_10empty_typeEbEEZZNS1_14partition_implILS5_0ELb0ES3_jN6thrust23THRUST_200600_302600_NS6detail15normal_iteratorINSA_10device_ptrIyEEEEPS6_SG_NS0_5tupleIJSF_NSA_16discard_iteratorINSA_11use_defaultEEEEEENSH_IJSG_SG_EEES6_PlJ7is_evenIyEEEE10hipError_tPvRmT3_T4_T5_T6_T7_T9_mT8_P12ihipStream_tbDpT10_ENKUlT_T0_E_clISt17integral_constantIbLb0EES19_EEDaS14_S15_EUlS14_E_NS1_11comp_targetILNS1_3genE10ELNS1_11target_archE1200ELNS1_3gpuE4ELNS1_3repE0EEENS1_30default_config_static_selectorELNS0_4arch9wavefront6targetE1EEEvT1_,comdat
	.protected	_ZN7rocprim17ROCPRIM_400000_NS6detail17trampoline_kernelINS0_14default_configENS1_25partition_config_selectorILNS1_17partition_subalgoE0EyNS0_10empty_typeEbEEZZNS1_14partition_implILS5_0ELb0ES3_jN6thrust23THRUST_200600_302600_NS6detail15normal_iteratorINSA_10device_ptrIyEEEEPS6_SG_NS0_5tupleIJSF_NSA_16discard_iteratorINSA_11use_defaultEEEEEENSH_IJSG_SG_EEES6_PlJ7is_evenIyEEEE10hipError_tPvRmT3_T4_T5_T6_T7_T9_mT8_P12ihipStream_tbDpT10_ENKUlT_T0_E_clISt17integral_constantIbLb0EES19_EEDaS14_S15_EUlS14_E_NS1_11comp_targetILNS1_3genE10ELNS1_11target_archE1200ELNS1_3gpuE4ELNS1_3repE0EEENS1_30default_config_static_selectorELNS0_4arch9wavefront6targetE1EEEvT1_ ; -- Begin function _ZN7rocprim17ROCPRIM_400000_NS6detail17trampoline_kernelINS0_14default_configENS1_25partition_config_selectorILNS1_17partition_subalgoE0EyNS0_10empty_typeEbEEZZNS1_14partition_implILS5_0ELb0ES3_jN6thrust23THRUST_200600_302600_NS6detail15normal_iteratorINSA_10device_ptrIyEEEEPS6_SG_NS0_5tupleIJSF_NSA_16discard_iteratorINSA_11use_defaultEEEEEENSH_IJSG_SG_EEES6_PlJ7is_evenIyEEEE10hipError_tPvRmT3_T4_T5_T6_T7_T9_mT8_P12ihipStream_tbDpT10_ENKUlT_T0_E_clISt17integral_constantIbLb0EES19_EEDaS14_S15_EUlS14_E_NS1_11comp_targetILNS1_3genE10ELNS1_11target_archE1200ELNS1_3gpuE4ELNS1_3repE0EEENS1_30default_config_static_selectorELNS0_4arch9wavefront6targetE1EEEvT1_
	.globl	_ZN7rocprim17ROCPRIM_400000_NS6detail17trampoline_kernelINS0_14default_configENS1_25partition_config_selectorILNS1_17partition_subalgoE0EyNS0_10empty_typeEbEEZZNS1_14partition_implILS5_0ELb0ES3_jN6thrust23THRUST_200600_302600_NS6detail15normal_iteratorINSA_10device_ptrIyEEEEPS6_SG_NS0_5tupleIJSF_NSA_16discard_iteratorINSA_11use_defaultEEEEEENSH_IJSG_SG_EEES6_PlJ7is_evenIyEEEE10hipError_tPvRmT3_T4_T5_T6_T7_T9_mT8_P12ihipStream_tbDpT10_ENKUlT_T0_E_clISt17integral_constantIbLb0EES19_EEDaS14_S15_EUlS14_E_NS1_11comp_targetILNS1_3genE10ELNS1_11target_archE1200ELNS1_3gpuE4ELNS1_3repE0EEENS1_30default_config_static_selectorELNS0_4arch9wavefront6targetE1EEEvT1_
	.p2align	8
	.type	_ZN7rocprim17ROCPRIM_400000_NS6detail17trampoline_kernelINS0_14default_configENS1_25partition_config_selectorILNS1_17partition_subalgoE0EyNS0_10empty_typeEbEEZZNS1_14partition_implILS5_0ELb0ES3_jN6thrust23THRUST_200600_302600_NS6detail15normal_iteratorINSA_10device_ptrIyEEEEPS6_SG_NS0_5tupleIJSF_NSA_16discard_iteratorINSA_11use_defaultEEEEEENSH_IJSG_SG_EEES6_PlJ7is_evenIyEEEE10hipError_tPvRmT3_T4_T5_T6_T7_T9_mT8_P12ihipStream_tbDpT10_ENKUlT_T0_E_clISt17integral_constantIbLb0EES19_EEDaS14_S15_EUlS14_E_NS1_11comp_targetILNS1_3genE10ELNS1_11target_archE1200ELNS1_3gpuE4ELNS1_3repE0EEENS1_30default_config_static_selectorELNS0_4arch9wavefront6targetE1EEEvT1_,@function
_ZN7rocprim17ROCPRIM_400000_NS6detail17trampoline_kernelINS0_14default_configENS1_25partition_config_selectorILNS1_17partition_subalgoE0EyNS0_10empty_typeEbEEZZNS1_14partition_implILS5_0ELb0ES3_jN6thrust23THRUST_200600_302600_NS6detail15normal_iteratorINSA_10device_ptrIyEEEEPS6_SG_NS0_5tupleIJSF_NSA_16discard_iteratorINSA_11use_defaultEEEEEENSH_IJSG_SG_EEES6_PlJ7is_evenIyEEEE10hipError_tPvRmT3_T4_T5_T6_T7_T9_mT8_P12ihipStream_tbDpT10_ENKUlT_T0_E_clISt17integral_constantIbLb0EES19_EEDaS14_S15_EUlS14_E_NS1_11comp_targetILNS1_3genE10ELNS1_11target_archE1200ELNS1_3gpuE4ELNS1_3repE0EEENS1_30default_config_static_selectorELNS0_4arch9wavefront6targetE1EEEvT1_: ; @_ZN7rocprim17ROCPRIM_400000_NS6detail17trampoline_kernelINS0_14default_configENS1_25partition_config_selectorILNS1_17partition_subalgoE0EyNS0_10empty_typeEbEEZZNS1_14partition_implILS5_0ELb0ES3_jN6thrust23THRUST_200600_302600_NS6detail15normal_iteratorINSA_10device_ptrIyEEEEPS6_SG_NS0_5tupleIJSF_NSA_16discard_iteratorINSA_11use_defaultEEEEEENSH_IJSG_SG_EEES6_PlJ7is_evenIyEEEE10hipError_tPvRmT3_T4_T5_T6_T7_T9_mT8_P12ihipStream_tbDpT10_ENKUlT_T0_E_clISt17integral_constantIbLb0EES19_EEDaS14_S15_EUlS14_E_NS1_11comp_targetILNS1_3genE10ELNS1_11target_archE1200ELNS1_3gpuE4ELNS1_3repE0EEENS1_30default_config_static_selectorELNS0_4arch9wavefront6targetE1EEEvT1_
; %bb.0:
	.section	.rodata,"a",@progbits
	.p2align	6, 0x0
	.amdhsa_kernel _ZN7rocprim17ROCPRIM_400000_NS6detail17trampoline_kernelINS0_14default_configENS1_25partition_config_selectorILNS1_17partition_subalgoE0EyNS0_10empty_typeEbEEZZNS1_14partition_implILS5_0ELb0ES3_jN6thrust23THRUST_200600_302600_NS6detail15normal_iteratorINSA_10device_ptrIyEEEEPS6_SG_NS0_5tupleIJSF_NSA_16discard_iteratorINSA_11use_defaultEEEEEENSH_IJSG_SG_EEES6_PlJ7is_evenIyEEEE10hipError_tPvRmT3_T4_T5_T6_T7_T9_mT8_P12ihipStream_tbDpT10_ENKUlT_T0_E_clISt17integral_constantIbLb0EES19_EEDaS14_S15_EUlS14_E_NS1_11comp_targetILNS1_3genE10ELNS1_11target_archE1200ELNS1_3gpuE4ELNS1_3repE0EEENS1_30default_config_static_selectorELNS0_4arch9wavefront6targetE1EEEvT1_
		.amdhsa_group_segment_fixed_size 0
		.amdhsa_private_segment_fixed_size 0
		.amdhsa_kernarg_size 128
		.amdhsa_user_sgpr_count 2
		.amdhsa_user_sgpr_dispatch_ptr 0
		.amdhsa_user_sgpr_queue_ptr 0
		.amdhsa_user_sgpr_kernarg_segment_ptr 1
		.amdhsa_user_sgpr_dispatch_id 0
		.amdhsa_user_sgpr_kernarg_preload_length 0
		.amdhsa_user_sgpr_kernarg_preload_offset 0
		.amdhsa_user_sgpr_private_segment_size 0
		.amdhsa_uses_dynamic_stack 0
		.amdhsa_enable_private_segment 0
		.amdhsa_system_sgpr_workgroup_id_x 1
		.amdhsa_system_sgpr_workgroup_id_y 0
		.amdhsa_system_sgpr_workgroup_id_z 0
		.amdhsa_system_sgpr_workgroup_info 0
		.amdhsa_system_vgpr_workitem_id 0
		.amdhsa_next_free_vgpr 1
		.amdhsa_next_free_sgpr 0
		.amdhsa_accum_offset 4
		.amdhsa_reserve_vcc 0
		.amdhsa_float_round_mode_32 0
		.amdhsa_float_round_mode_16_64 0
		.amdhsa_float_denorm_mode_32 3
		.amdhsa_float_denorm_mode_16_64 3
		.amdhsa_dx10_clamp 1
		.amdhsa_ieee_mode 1
		.amdhsa_fp16_overflow 0
		.amdhsa_tg_split 0
		.amdhsa_exception_fp_ieee_invalid_op 0
		.amdhsa_exception_fp_denorm_src 0
		.amdhsa_exception_fp_ieee_div_zero 0
		.amdhsa_exception_fp_ieee_overflow 0
		.amdhsa_exception_fp_ieee_underflow 0
		.amdhsa_exception_fp_ieee_inexact 0
		.amdhsa_exception_int_div_zero 0
	.end_amdhsa_kernel
	.section	.text._ZN7rocprim17ROCPRIM_400000_NS6detail17trampoline_kernelINS0_14default_configENS1_25partition_config_selectorILNS1_17partition_subalgoE0EyNS0_10empty_typeEbEEZZNS1_14partition_implILS5_0ELb0ES3_jN6thrust23THRUST_200600_302600_NS6detail15normal_iteratorINSA_10device_ptrIyEEEEPS6_SG_NS0_5tupleIJSF_NSA_16discard_iteratorINSA_11use_defaultEEEEEENSH_IJSG_SG_EEES6_PlJ7is_evenIyEEEE10hipError_tPvRmT3_T4_T5_T6_T7_T9_mT8_P12ihipStream_tbDpT10_ENKUlT_T0_E_clISt17integral_constantIbLb0EES19_EEDaS14_S15_EUlS14_E_NS1_11comp_targetILNS1_3genE10ELNS1_11target_archE1200ELNS1_3gpuE4ELNS1_3repE0EEENS1_30default_config_static_selectorELNS0_4arch9wavefront6targetE1EEEvT1_,"axG",@progbits,_ZN7rocprim17ROCPRIM_400000_NS6detail17trampoline_kernelINS0_14default_configENS1_25partition_config_selectorILNS1_17partition_subalgoE0EyNS0_10empty_typeEbEEZZNS1_14partition_implILS5_0ELb0ES3_jN6thrust23THRUST_200600_302600_NS6detail15normal_iteratorINSA_10device_ptrIyEEEEPS6_SG_NS0_5tupleIJSF_NSA_16discard_iteratorINSA_11use_defaultEEEEEENSH_IJSG_SG_EEES6_PlJ7is_evenIyEEEE10hipError_tPvRmT3_T4_T5_T6_T7_T9_mT8_P12ihipStream_tbDpT10_ENKUlT_T0_E_clISt17integral_constantIbLb0EES19_EEDaS14_S15_EUlS14_E_NS1_11comp_targetILNS1_3genE10ELNS1_11target_archE1200ELNS1_3gpuE4ELNS1_3repE0EEENS1_30default_config_static_selectorELNS0_4arch9wavefront6targetE1EEEvT1_,comdat
.Lfunc_end2336:
	.size	_ZN7rocprim17ROCPRIM_400000_NS6detail17trampoline_kernelINS0_14default_configENS1_25partition_config_selectorILNS1_17partition_subalgoE0EyNS0_10empty_typeEbEEZZNS1_14partition_implILS5_0ELb0ES3_jN6thrust23THRUST_200600_302600_NS6detail15normal_iteratorINSA_10device_ptrIyEEEEPS6_SG_NS0_5tupleIJSF_NSA_16discard_iteratorINSA_11use_defaultEEEEEENSH_IJSG_SG_EEES6_PlJ7is_evenIyEEEE10hipError_tPvRmT3_T4_T5_T6_T7_T9_mT8_P12ihipStream_tbDpT10_ENKUlT_T0_E_clISt17integral_constantIbLb0EES19_EEDaS14_S15_EUlS14_E_NS1_11comp_targetILNS1_3genE10ELNS1_11target_archE1200ELNS1_3gpuE4ELNS1_3repE0EEENS1_30default_config_static_selectorELNS0_4arch9wavefront6targetE1EEEvT1_, .Lfunc_end2336-_ZN7rocprim17ROCPRIM_400000_NS6detail17trampoline_kernelINS0_14default_configENS1_25partition_config_selectorILNS1_17partition_subalgoE0EyNS0_10empty_typeEbEEZZNS1_14partition_implILS5_0ELb0ES3_jN6thrust23THRUST_200600_302600_NS6detail15normal_iteratorINSA_10device_ptrIyEEEEPS6_SG_NS0_5tupleIJSF_NSA_16discard_iteratorINSA_11use_defaultEEEEEENSH_IJSG_SG_EEES6_PlJ7is_evenIyEEEE10hipError_tPvRmT3_T4_T5_T6_T7_T9_mT8_P12ihipStream_tbDpT10_ENKUlT_T0_E_clISt17integral_constantIbLb0EES19_EEDaS14_S15_EUlS14_E_NS1_11comp_targetILNS1_3genE10ELNS1_11target_archE1200ELNS1_3gpuE4ELNS1_3repE0EEENS1_30default_config_static_selectorELNS0_4arch9wavefront6targetE1EEEvT1_
                                        ; -- End function
	.section	.AMDGPU.csdata,"",@progbits
; Kernel info:
; codeLenInByte = 0
; NumSgprs: 6
; NumVgprs: 0
; NumAgprs: 0
; TotalNumVgprs: 0
; ScratchSize: 0
; MemoryBound: 0
; FloatMode: 240
; IeeeMode: 1
; LDSByteSize: 0 bytes/workgroup (compile time only)
; SGPRBlocks: 0
; VGPRBlocks: 0
; NumSGPRsForWavesPerEU: 6
; NumVGPRsForWavesPerEU: 1
; AccumOffset: 4
; Occupancy: 8
; WaveLimiterHint : 0
; COMPUTE_PGM_RSRC2:SCRATCH_EN: 0
; COMPUTE_PGM_RSRC2:USER_SGPR: 2
; COMPUTE_PGM_RSRC2:TRAP_HANDLER: 0
; COMPUTE_PGM_RSRC2:TGID_X_EN: 1
; COMPUTE_PGM_RSRC2:TGID_Y_EN: 0
; COMPUTE_PGM_RSRC2:TGID_Z_EN: 0
; COMPUTE_PGM_RSRC2:TIDIG_COMP_CNT: 0
; COMPUTE_PGM_RSRC3_GFX90A:ACCUM_OFFSET: 0
; COMPUTE_PGM_RSRC3_GFX90A:TG_SPLIT: 0
	.section	.text._ZN7rocprim17ROCPRIM_400000_NS6detail17trampoline_kernelINS0_14default_configENS1_25partition_config_selectorILNS1_17partition_subalgoE0EyNS0_10empty_typeEbEEZZNS1_14partition_implILS5_0ELb0ES3_jN6thrust23THRUST_200600_302600_NS6detail15normal_iteratorINSA_10device_ptrIyEEEEPS6_SG_NS0_5tupleIJSF_NSA_16discard_iteratorINSA_11use_defaultEEEEEENSH_IJSG_SG_EEES6_PlJ7is_evenIyEEEE10hipError_tPvRmT3_T4_T5_T6_T7_T9_mT8_P12ihipStream_tbDpT10_ENKUlT_T0_E_clISt17integral_constantIbLb0EES19_EEDaS14_S15_EUlS14_E_NS1_11comp_targetILNS1_3genE9ELNS1_11target_archE1100ELNS1_3gpuE3ELNS1_3repE0EEENS1_30default_config_static_selectorELNS0_4arch9wavefront6targetE1EEEvT1_,"axG",@progbits,_ZN7rocprim17ROCPRIM_400000_NS6detail17trampoline_kernelINS0_14default_configENS1_25partition_config_selectorILNS1_17partition_subalgoE0EyNS0_10empty_typeEbEEZZNS1_14partition_implILS5_0ELb0ES3_jN6thrust23THRUST_200600_302600_NS6detail15normal_iteratorINSA_10device_ptrIyEEEEPS6_SG_NS0_5tupleIJSF_NSA_16discard_iteratorINSA_11use_defaultEEEEEENSH_IJSG_SG_EEES6_PlJ7is_evenIyEEEE10hipError_tPvRmT3_T4_T5_T6_T7_T9_mT8_P12ihipStream_tbDpT10_ENKUlT_T0_E_clISt17integral_constantIbLb0EES19_EEDaS14_S15_EUlS14_E_NS1_11comp_targetILNS1_3genE9ELNS1_11target_archE1100ELNS1_3gpuE3ELNS1_3repE0EEENS1_30default_config_static_selectorELNS0_4arch9wavefront6targetE1EEEvT1_,comdat
	.protected	_ZN7rocprim17ROCPRIM_400000_NS6detail17trampoline_kernelINS0_14default_configENS1_25partition_config_selectorILNS1_17partition_subalgoE0EyNS0_10empty_typeEbEEZZNS1_14partition_implILS5_0ELb0ES3_jN6thrust23THRUST_200600_302600_NS6detail15normal_iteratorINSA_10device_ptrIyEEEEPS6_SG_NS0_5tupleIJSF_NSA_16discard_iteratorINSA_11use_defaultEEEEEENSH_IJSG_SG_EEES6_PlJ7is_evenIyEEEE10hipError_tPvRmT3_T4_T5_T6_T7_T9_mT8_P12ihipStream_tbDpT10_ENKUlT_T0_E_clISt17integral_constantIbLb0EES19_EEDaS14_S15_EUlS14_E_NS1_11comp_targetILNS1_3genE9ELNS1_11target_archE1100ELNS1_3gpuE3ELNS1_3repE0EEENS1_30default_config_static_selectorELNS0_4arch9wavefront6targetE1EEEvT1_ ; -- Begin function _ZN7rocprim17ROCPRIM_400000_NS6detail17trampoline_kernelINS0_14default_configENS1_25partition_config_selectorILNS1_17partition_subalgoE0EyNS0_10empty_typeEbEEZZNS1_14partition_implILS5_0ELb0ES3_jN6thrust23THRUST_200600_302600_NS6detail15normal_iteratorINSA_10device_ptrIyEEEEPS6_SG_NS0_5tupleIJSF_NSA_16discard_iteratorINSA_11use_defaultEEEEEENSH_IJSG_SG_EEES6_PlJ7is_evenIyEEEE10hipError_tPvRmT3_T4_T5_T6_T7_T9_mT8_P12ihipStream_tbDpT10_ENKUlT_T0_E_clISt17integral_constantIbLb0EES19_EEDaS14_S15_EUlS14_E_NS1_11comp_targetILNS1_3genE9ELNS1_11target_archE1100ELNS1_3gpuE3ELNS1_3repE0EEENS1_30default_config_static_selectorELNS0_4arch9wavefront6targetE1EEEvT1_
	.globl	_ZN7rocprim17ROCPRIM_400000_NS6detail17trampoline_kernelINS0_14default_configENS1_25partition_config_selectorILNS1_17partition_subalgoE0EyNS0_10empty_typeEbEEZZNS1_14partition_implILS5_0ELb0ES3_jN6thrust23THRUST_200600_302600_NS6detail15normal_iteratorINSA_10device_ptrIyEEEEPS6_SG_NS0_5tupleIJSF_NSA_16discard_iteratorINSA_11use_defaultEEEEEENSH_IJSG_SG_EEES6_PlJ7is_evenIyEEEE10hipError_tPvRmT3_T4_T5_T6_T7_T9_mT8_P12ihipStream_tbDpT10_ENKUlT_T0_E_clISt17integral_constantIbLb0EES19_EEDaS14_S15_EUlS14_E_NS1_11comp_targetILNS1_3genE9ELNS1_11target_archE1100ELNS1_3gpuE3ELNS1_3repE0EEENS1_30default_config_static_selectorELNS0_4arch9wavefront6targetE1EEEvT1_
	.p2align	8
	.type	_ZN7rocprim17ROCPRIM_400000_NS6detail17trampoline_kernelINS0_14default_configENS1_25partition_config_selectorILNS1_17partition_subalgoE0EyNS0_10empty_typeEbEEZZNS1_14partition_implILS5_0ELb0ES3_jN6thrust23THRUST_200600_302600_NS6detail15normal_iteratorINSA_10device_ptrIyEEEEPS6_SG_NS0_5tupleIJSF_NSA_16discard_iteratorINSA_11use_defaultEEEEEENSH_IJSG_SG_EEES6_PlJ7is_evenIyEEEE10hipError_tPvRmT3_T4_T5_T6_T7_T9_mT8_P12ihipStream_tbDpT10_ENKUlT_T0_E_clISt17integral_constantIbLb0EES19_EEDaS14_S15_EUlS14_E_NS1_11comp_targetILNS1_3genE9ELNS1_11target_archE1100ELNS1_3gpuE3ELNS1_3repE0EEENS1_30default_config_static_selectorELNS0_4arch9wavefront6targetE1EEEvT1_,@function
_ZN7rocprim17ROCPRIM_400000_NS6detail17trampoline_kernelINS0_14default_configENS1_25partition_config_selectorILNS1_17partition_subalgoE0EyNS0_10empty_typeEbEEZZNS1_14partition_implILS5_0ELb0ES3_jN6thrust23THRUST_200600_302600_NS6detail15normal_iteratorINSA_10device_ptrIyEEEEPS6_SG_NS0_5tupleIJSF_NSA_16discard_iteratorINSA_11use_defaultEEEEEENSH_IJSG_SG_EEES6_PlJ7is_evenIyEEEE10hipError_tPvRmT3_T4_T5_T6_T7_T9_mT8_P12ihipStream_tbDpT10_ENKUlT_T0_E_clISt17integral_constantIbLb0EES19_EEDaS14_S15_EUlS14_E_NS1_11comp_targetILNS1_3genE9ELNS1_11target_archE1100ELNS1_3gpuE3ELNS1_3repE0EEENS1_30default_config_static_selectorELNS0_4arch9wavefront6targetE1EEEvT1_: ; @_ZN7rocprim17ROCPRIM_400000_NS6detail17trampoline_kernelINS0_14default_configENS1_25partition_config_selectorILNS1_17partition_subalgoE0EyNS0_10empty_typeEbEEZZNS1_14partition_implILS5_0ELb0ES3_jN6thrust23THRUST_200600_302600_NS6detail15normal_iteratorINSA_10device_ptrIyEEEEPS6_SG_NS0_5tupleIJSF_NSA_16discard_iteratorINSA_11use_defaultEEEEEENSH_IJSG_SG_EEES6_PlJ7is_evenIyEEEE10hipError_tPvRmT3_T4_T5_T6_T7_T9_mT8_P12ihipStream_tbDpT10_ENKUlT_T0_E_clISt17integral_constantIbLb0EES19_EEDaS14_S15_EUlS14_E_NS1_11comp_targetILNS1_3genE9ELNS1_11target_archE1100ELNS1_3gpuE3ELNS1_3repE0EEENS1_30default_config_static_selectorELNS0_4arch9wavefront6targetE1EEEvT1_
; %bb.0:
	.section	.rodata,"a",@progbits
	.p2align	6, 0x0
	.amdhsa_kernel _ZN7rocprim17ROCPRIM_400000_NS6detail17trampoline_kernelINS0_14default_configENS1_25partition_config_selectorILNS1_17partition_subalgoE0EyNS0_10empty_typeEbEEZZNS1_14partition_implILS5_0ELb0ES3_jN6thrust23THRUST_200600_302600_NS6detail15normal_iteratorINSA_10device_ptrIyEEEEPS6_SG_NS0_5tupleIJSF_NSA_16discard_iteratorINSA_11use_defaultEEEEEENSH_IJSG_SG_EEES6_PlJ7is_evenIyEEEE10hipError_tPvRmT3_T4_T5_T6_T7_T9_mT8_P12ihipStream_tbDpT10_ENKUlT_T0_E_clISt17integral_constantIbLb0EES19_EEDaS14_S15_EUlS14_E_NS1_11comp_targetILNS1_3genE9ELNS1_11target_archE1100ELNS1_3gpuE3ELNS1_3repE0EEENS1_30default_config_static_selectorELNS0_4arch9wavefront6targetE1EEEvT1_
		.amdhsa_group_segment_fixed_size 0
		.amdhsa_private_segment_fixed_size 0
		.amdhsa_kernarg_size 128
		.amdhsa_user_sgpr_count 2
		.amdhsa_user_sgpr_dispatch_ptr 0
		.amdhsa_user_sgpr_queue_ptr 0
		.amdhsa_user_sgpr_kernarg_segment_ptr 1
		.amdhsa_user_sgpr_dispatch_id 0
		.amdhsa_user_sgpr_kernarg_preload_length 0
		.amdhsa_user_sgpr_kernarg_preload_offset 0
		.amdhsa_user_sgpr_private_segment_size 0
		.amdhsa_uses_dynamic_stack 0
		.amdhsa_enable_private_segment 0
		.amdhsa_system_sgpr_workgroup_id_x 1
		.amdhsa_system_sgpr_workgroup_id_y 0
		.amdhsa_system_sgpr_workgroup_id_z 0
		.amdhsa_system_sgpr_workgroup_info 0
		.amdhsa_system_vgpr_workitem_id 0
		.amdhsa_next_free_vgpr 1
		.amdhsa_next_free_sgpr 0
		.amdhsa_accum_offset 4
		.amdhsa_reserve_vcc 0
		.amdhsa_float_round_mode_32 0
		.amdhsa_float_round_mode_16_64 0
		.amdhsa_float_denorm_mode_32 3
		.amdhsa_float_denorm_mode_16_64 3
		.amdhsa_dx10_clamp 1
		.amdhsa_ieee_mode 1
		.amdhsa_fp16_overflow 0
		.amdhsa_tg_split 0
		.amdhsa_exception_fp_ieee_invalid_op 0
		.amdhsa_exception_fp_denorm_src 0
		.amdhsa_exception_fp_ieee_div_zero 0
		.amdhsa_exception_fp_ieee_overflow 0
		.amdhsa_exception_fp_ieee_underflow 0
		.amdhsa_exception_fp_ieee_inexact 0
		.amdhsa_exception_int_div_zero 0
	.end_amdhsa_kernel
	.section	.text._ZN7rocprim17ROCPRIM_400000_NS6detail17trampoline_kernelINS0_14default_configENS1_25partition_config_selectorILNS1_17partition_subalgoE0EyNS0_10empty_typeEbEEZZNS1_14partition_implILS5_0ELb0ES3_jN6thrust23THRUST_200600_302600_NS6detail15normal_iteratorINSA_10device_ptrIyEEEEPS6_SG_NS0_5tupleIJSF_NSA_16discard_iteratorINSA_11use_defaultEEEEEENSH_IJSG_SG_EEES6_PlJ7is_evenIyEEEE10hipError_tPvRmT3_T4_T5_T6_T7_T9_mT8_P12ihipStream_tbDpT10_ENKUlT_T0_E_clISt17integral_constantIbLb0EES19_EEDaS14_S15_EUlS14_E_NS1_11comp_targetILNS1_3genE9ELNS1_11target_archE1100ELNS1_3gpuE3ELNS1_3repE0EEENS1_30default_config_static_selectorELNS0_4arch9wavefront6targetE1EEEvT1_,"axG",@progbits,_ZN7rocprim17ROCPRIM_400000_NS6detail17trampoline_kernelINS0_14default_configENS1_25partition_config_selectorILNS1_17partition_subalgoE0EyNS0_10empty_typeEbEEZZNS1_14partition_implILS5_0ELb0ES3_jN6thrust23THRUST_200600_302600_NS6detail15normal_iteratorINSA_10device_ptrIyEEEEPS6_SG_NS0_5tupleIJSF_NSA_16discard_iteratorINSA_11use_defaultEEEEEENSH_IJSG_SG_EEES6_PlJ7is_evenIyEEEE10hipError_tPvRmT3_T4_T5_T6_T7_T9_mT8_P12ihipStream_tbDpT10_ENKUlT_T0_E_clISt17integral_constantIbLb0EES19_EEDaS14_S15_EUlS14_E_NS1_11comp_targetILNS1_3genE9ELNS1_11target_archE1100ELNS1_3gpuE3ELNS1_3repE0EEENS1_30default_config_static_selectorELNS0_4arch9wavefront6targetE1EEEvT1_,comdat
.Lfunc_end2337:
	.size	_ZN7rocprim17ROCPRIM_400000_NS6detail17trampoline_kernelINS0_14default_configENS1_25partition_config_selectorILNS1_17partition_subalgoE0EyNS0_10empty_typeEbEEZZNS1_14partition_implILS5_0ELb0ES3_jN6thrust23THRUST_200600_302600_NS6detail15normal_iteratorINSA_10device_ptrIyEEEEPS6_SG_NS0_5tupleIJSF_NSA_16discard_iteratorINSA_11use_defaultEEEEEENSH_IJSG_SG_EEES6_PlJ7is_evenIyEEEE10hipError_tPvRmT3_T4_T5_T6_T7_T9_mT8_P12ihipStream_tbDpT10_ENKUlT_T0_E_clISt17integral_constantIbLb0EES19_EEDaS14_S15_EUlS14_E_NS1_11comp_targetILNS1_3genE9ELNS1_11target_archE1100ELNS1_3gpuE3ELNS1_3repE0EEENS1_30default_config_static_selectorELNS0_4arch9wavefront6targetE1EEEvT1_, .Lfunc_end2337-_ZN7rocprim17ROCPRIM_400000_NS6detail17trampoline_kernelINS0_14default_configENS1_25partition_config_selectorILNS1_17partition_subalgoE0EyNS0_10empty_typeEbEEZZNS1_14partition_implILS5_0ELb0ES3_jN6thrust23THRUST_200600_302600_NS6detail15normal_iteratorINSA_10device_ptrIyEEEEPS6_SG_NS0_5tupleIJSF_NSA_16discard_iteratorINSA_11use_defaultEEEEEENSH_IJSG_SG_EEES6_PlJ7is_evenIyEEEE10hipError_tPvRmT3_T4_T5_T6_T7_T9_mT8_P12ihipStream_tbDpT10_ENKUlT_T0_E_clISt17integral_constantIbLb0EES19_EEDaS14_S15_EUlS14_E_NS1_11comp_targetILNS1_3genE9ELNS1_11target_archE1100ELNS1_3gpuE3ELNS1_3repE0EEENS1_30default_config_static_selectorELNS0_4arch9wavefront6targetE1EEEvT1_
                                        ; -- End function
	.section	.AMDGPU.csdata,"",@progbits
; Kernel info:
; codeLenInByte = 0
; NumSgprs: 6
; NumVgprs: 0
; NumAgprs: 0
; TotalNumVgprs: 0
; ScratchSize: 0
; MemoryBound: 0
; FloatMode: 240
; IeeeMode: 1
; LDSByteSize: 0 bytes/workgroup (compile time only)
; SGPRBlocks: 0
; VGPRBlocks: 0
; NumSGPRsForWavesPerEU: 6
; NumVGPRsForWavesPerEU: 1
; AccumOffset: 4
; Occupancy: 8
; WaveLimiterHint : 0
; COMPUTE_PGM_RSRC2:SCRATCH_EN: 0
; COMPUTE_PGM_RSRC2:USER_SGPR: 2
; COMPUTE_PGM_RSRC2:TRAP_HANDLER: 0
; COMPUTE_PGM_RSRC2:TGID_X_EN: 1
; COMPUTE_PGM_RSRC2:TGID_Y_EN: 0
; COMPUTE_PGM_RSRC2:TGID_Z_EN: 0
; COMPUTE_PGM_RSRC2:TIDIG_COMP_CNT: 0
; COMPUTE_PGM_RSRC3_GFX90A:ACCUM_OFFSET: 0
; COMPUTE_PGM_RSRC3_GFX90A:TG_SPLIT: 0
	.section	.text._ZN7rocprim17ROCPRIM_400000_NS6detail17trampoline_kernelINS0_14default_configENS1_25partition_config_selectorILNS1_17partition_subalgoE0EyNS0_10empty_typeEbEEZZNS1_14partition_implILS5_0ELb0ES3_jN6thrust23THRUST_200600_302600_NS6detail15normal_iteratorINSA_10device_ptrIyEEEEPS6_SG_NS0_5tupleIJSF_NSA_16discard_iteratorINSA_11use_defaultEEEEEENSH_IJSG_SG_EEES6_PlJ7is_evenIyEEEE10hipError_tPvRmT3_T4_T5_T6_T7_T9_mT8_P12ihipStream_tbDpT10_ENKUlT_T0_E_clISt17integral_constantIbLb0EES19_EEDaS14_S15_EUlS14_E_NS1_11comp_targetILNS1_3genE8ELNS1_11target_archE1030ELNS1_3gpuE2ELNS1_3repE0EEENS1_30default_config_static_selectorELNS0_4arch9wavefront6targetE1EEEvT1_,"axG",@progbits,_ZN7rocprim17ROCPRIM_400000_NS6detail17trampoline_kernelINS0_14default_configENS1_25partition_config_selectorILNS1_17partition_subalgoE0EyNS0_10empty_typeEbEEZZNS1_14partition_implILS5_0ELb0ES3_jN6thrust23THRUST_200600_302600_NS6detail15normal_iteratorINSA_10device_ptrIyEEEEPS6_SG_NS0_5tupleIJSF_NSA_16discard_iteratorINSA_11use_defaultEEEEEENSH_IJSG_SG_EEES6_PlJ7is_evenIyEEEE10hipError_tPvRmT3_T4_T5_T6_T7_T9_mT8_P12ihipStream_tbDpT10_ENKUlT_T0_E_clISt17integral_constantIbLb0EES19_EEDaS14_S15_EUlS14_E_NS1_11comp_targetILNS1_3genE8ELNS1_11target_archE1030ELNS1_3gpuE2ELNS1_3repE0EEENS1_30default_config_static_selectorELNS0_4arch9wavefront6targetE1EEEvT1_,comdat
	.protected	_ZN7rocprim17ROCPRIM_400000_NS6detail17trampoline_kernelINS0_14default_configENS1_25partition_config_selectorILNS1_17partition_subalgoE0EyNS0_10empty_typeEbEEZZNS1_14partition_implILS5_0ELb0ES3_jN6thrust23THRUST_200600_302600_NS6detail15normal_iteratorINSA_10device_ptrIyEEEEPS6_SG_NS0_5tupleIJSF_NSA_16discard_iteratorINSA_11use_defaultEEEEEENSH_IJSG_SG_EEES6_PlJ7is_evenIyEEEE10hipError_tPvRmT3_T4_T5_T6_T7_T9_mT8_P12ihipStream_tbDpT10_ENKUlT_T0_E_clISt17integral_constantIbLb0EES19_EEDaS14_S15_EUlS14_E_NS1_11comp_targetILNS1_3genE8ELNS1_11target_archE1030ELNS1_3gpuE2ELNS1_3repE0EEENS1_30default_config_static_selectorELNS0_4arch9wavefront6targetE1EEEvT1_ ; -- Begin function _ZN7rocprim17ROCPRIM_400000_NS6detail17trampoline_kernelINS0_14default_configENS1_25partition_config_selectorILNS1_17partition_subalgoE0EyNS0_10empty_typeEbEEZZNS1_14partition_implILS5_0ELb0ES3_jN6thrust23THRUST_200600_302600_NS6detail15normal_iteratorINSA_10device_ptrIyEEEEPS6_SG_NS0_5tupleIJSF_NSA_16discard_iteratorINSA_11use_defaultEEEEEENSH_IJSG_SG_EEES6_PlJ7is_evenIyEEEE10hipError_tPvRmT3_T4_T5_T6_T7_T9_mT8_P12ihipStream_tbDpT10_ENKUlT_T0_E_clISt17integral_constantIbLb0EES19_EEDaS14_S15_EUlS14_E_NS1_11comp_targetILNS1_3genE8ELNS1_11target_archE1030ELNS1_3gpuE2ELNS1_3repE0EEENS1_30default_config_static_selectorELNS0_4arch9wavefront6targetE1EEEvT1_
	.globl	_ZN7rocprim17ROCPRIM_400000_NS6detail17trampoline_kernelINS0_14default_configENS1_25partition_config_selectorILNS1_17partition_subalgoE0EyNS0_10empty_typeEbEEZZNS1_14partition_implILS5_0ELb0ES3_jN6thrust23THRUST_200600_302600_NS6detail15normal_iteratorINSA_10device_ptrIyEEEEPS6_SG_NS0_5tupleIJSF_NSA_16discard_iteratorINSA_11use_defaultEEEEEENSH_IJSG_SG_EEES6_PlJ7is_evenIyEEEE10hipError_tPvRmT3_T4_T5_T6_T7_T9_mT8_P12ihipStream_tbDpT10_ENKUlT_T0_E_clISt17integral_constantIbLb0EES19_EEDaS14_S15_EUlS14_E_NS1_11comp_targetILNS1_3genE8ELNS1_11target_archE1030ELNS1_3gpuE2ELNS1_3repE0EEENS1_30default_config_static_selectorELNS0_4arch9wavefront6targetE1EEEvT1_
	.p2align	8
	.type	_ZN7rocprim17ROCPRIM_400000_NS6detail17trampoline_kernelINS0_14default_configENS1_25partition_config_selectorILNS1_17partition_subalgoE0EyNS0_10empty_typeEbEEZZNS1_14partition_implILS5_0ELb0ES3_jN6thrust23THRUST_200600_302600_NS6detail15normal_iteratorINSA_10device_ptrIyEEEEPS6_SG_NS0_5tupleIJSF_NSA_16discard_iteratorINSA_11use_defaultEEEEEENSH_IJSG_SG_EEES6_PlJ7is_evenIyEEEE10hipError_tPvRmT3_T4_T5_T6_T7_T9_mT8_P12ihipStream_tbDpT10_ENKUlT_T0_E_clISt17integral_constantIbLb0EES19_EEDaS14_S15_EUlS14_E_NS1_11comp_targetILNS1_3genE8ELNS1_11target_archE1030ELNS1_3gpuE2ELNS1_3repE0EEENS1_30default_config_static_selectorELNS0_4arch9wavefront6targetE1EEEvT1_,@function
_ZN7rocprim17ROCPRIM_400000_NS6detail17trampoline_kernelINS0_14default_configENS1_25partition_config_selectorILNS1_17partition_subalgoE0EyNS0_10empty_typeEbEEZZNS1_14partition_implILS5_0ELb0ES3_jN6thrust23THRUST_200600_302600_NS6detail15normal_iteratorINSA_10device_ptrIyEEEEPS6_SG_NS0_5tupleIJSF_NSA_16discard_iteratorINSA_11use_defaultEEEEEENSH_IJSG_SG_EEES6_PlJ7is_evenIyEEEE10hipError_tPvRmT3_T4_T5_T6_T7_T9_mT8_P12ihipStream_tbDpT10_ENKUlT_T0_E_clISt17integral_constantIbLb0EES19_EEDaS14_S15_EUlS14_E_NS1_11comp_targetILNS1_3genE8ELNS1_11target_archE1030ELNS1_3gpuE2ELNS1_3repE0EEENS1_30default_config_static_selectorELNS0_4arch9wavefront6targetE1EEEvT1_: ; @_ZN7rocprim17ROCPRIM_400000_NS6detail17trampoline_kernelINS0_14default_configENS1_25partition_config_selectorILNS1_17partition_subalgoE0EyNS0_10empty_typeEbEEZZNS1_14partition_implILS5_0ELb0ES3_jN6thrust23THRUST_200600_302600_NS6detail15normal_iteratorINSA_10device_ptrIyEEEEPS6_SG_NS0_5tupleIJSF_NSA_16discard_iteratorINSA_11use_defaultEEEEEENSH_IJSG_SG_EEES6_PlJ7is_evenIyEEEE10hipError_tPvRmT3_T4_T5_T6_T7_T9_mT8_P12ihipStream_tbDpT10_ENKUlT_T0_E_clISt17integral_constantIbLb0EES19_EEDaS14_S15_EUlS14_E_NS1_11comp_targetILNS1_3genE8ELNS1_11target_archE1030ELNS1_3gpuE2ELNS1_3repE0EEENS1_30default_config_static_selectorELNS0_4arch9wavefront6targetE1EEEvT1_
; %bb.0:
	.section	.rodata,"a",@progbits
	.p2align	6, 0x0
	.amdhsa_kernel _ZN7rocprim17ROCPRIM_400000_NS6detail17trampoline_kernelINS0_14default_configENS1_25partition_config_selectorILNS1_17partition_subalgoE0EyNS0_10empty_typeEbEEZZNS1_14partition_implILS5_0ELb0ES3_jN6thrust23THRUST_200600_302600_NS6detail15normal_iteratorINSA_10device_ptrIyEEEEPS6_SG_NS0_5tupleIJSF_NSA_16discard_iteratorINSA_11use_defaultEEEEEENSH_IJSG_SG_EEES6_PlJ7is_evenIyEEEE10hipError_tPvRmT3_T4_T5_T6_T7_T9_mT8_P12ihipStream_tbDpT10_ENKUlT_T0_E_clISt17integral_constantIbLb0EES19_EEDaS14_S15_EUlS14_E_NS1_11comp_targetILNS1_3genE8ELNS1_11target_archE1030ELNS1_3gpuE2ELNS1_3repE0EEENS1_30default_config_static_selectorELNS0_4arch9wavefront6targetE1EEEvT1_
		.amdhsa_group_segment_fixed_size 0
		.amdhsa_private_segment_fixed_size 0
		.amdhsa_kernarg_size 128
		.amdhsa_user_sgpr_count 2
		.amdhsa_user_sgpr_dispatch_ptr 0
		.amdhsa_user_sgpr_queue_ptr 0
		.amdhsa_user_sgpr_kernarg_segment_ptr 1
		.amdhsa_user_sgpr_dispatch_id 0
		.amdhsa_user_sgpr_kernarg_preload_length 0
		.amdhsa_user_sgpr_kernarg_preload_offset 0
		.amdhsa_user_sgpr_private_segment_size 0
		.amdhsa_uses_dynamic_stack 0
		.amdhsa_enable_private_segment 0
		.amdhsa_system_sgpr_workgroup_id_x 1
		.amdhsa_system_sgpr_workgroup_id_y 0
		.amdhsa_system_sgpr_workgroup_id_z 0
		.amdhsa_system_sgpr_workgroup_info 0
		.amdhsa_system_vgpr_workitem_id 0
		.amdhsa_next_free_vgpr 1
		.amdhsa_next_free_sgpr 0
		.amdhsa_accum_offset 4
		.amdhsa_reserve_vcc 0
		.amdhsa_float_round_mode_32 0
		.amdhsa_float_round_mode_16_64 0
		.amdhsa_float_denorm_mode_32 3
		.amdhsa_float_denorm_mode_16_64 3
		.amdhsa_dx10_clamp 1
		.amdhsa_ieee_mode 1
		.amdhsa_fp16_overflow 0
		.amdhsa_tg_split 0
		.amdhsa_exception_fp_ieee_invalid_op 0
		.amdhsa_exception_fp_denorm_src 0
		.amdhsa_exception_fp_ieee_div_zero 0
		.amdhsa_exception_fp_ieee_overflow 0
		.amdhsa_exception_fp_ieee_underflow 0
		.amdhsa_exception_fp_ieee_inexact 0
		.amdhsa_exception_int_div_zero 0
	.end_amdhsa_kernel
	.section	.text._ZN7rocprim17ROCPRIM_400000_NS6detail17trampoline_kernelINS0_14default_configENS1_25partition_config_selectorILNS1_17partition_subalgoE0EyNS0_10empty_typeEbEEZZNS1_14partition_implILS5_0ELb0ES3_jN6thrust23THRUST_200600_302600_NS6detail15normal_iteratorINSA_10device_ptrIyEEEEPS6_SG_NS0_5tupleIJSF_NSA_16discard_iteratorINSA_11use_defaultEEEEEENSH_IJSG_SG_EEES6_PlJ7is_evenIyEEEE10hipError_tPvRmT3_T4_T5_T6_T7_T9_mT8_P12ihipStream_tbDpT10_ENKUlT_T0_E_clISt17integral_constantIbLb0EES19_EEDaS14_S15_EUlS14_E_NS1_11comp_targetILNS1_3genE8ELNS1_11target_archE1030ELNS1_3gpuE2ELNS1_3repE0EEENS1_30default_config_static_selectorELNS0_4arch9wavefront6targetE1EEEvT1_,"axG",@progbits,_ZN7rocprim17ROCPRIM_400000_NS6detail17trampoline_kernelINS0_14default_configENS1_25partition_config_selectorILNS1_17partition_subalgoE0EyNS0_10empty_typeEbEEZZNS1_14partition_implILS5_0ELb0ES3_jN6thrust23THRUST_200600_302600_NS6detail15normal_iteratorINSA_10device_ptrIyEEEEPS6_SG_NS0_5tupleIJSF_NSA_16discard_iteratorINSA_11use_defaultEEEEEENSH_IJSG_SG_EEES6_PlJ7is_evenIyEEEE10hipError_tPvRmT3_T4_T5_T6_T7_T9_mT8_P12ihipStream_tbDpT10_ENKUlT_T0_E_clISt17integral_constantIbLb0EES19_EEDaS14_S15_EUlS14_E_NS1_11comp_targetILNS1_3genE8ELNS1_11target_archE1030ELNS1_3gpuE2ELNS1_3repE0EEENS1_30default_config_static_selectorELNS0_4arch9wavefront6targetE1EEEvT1_,comdat
.Lfunc_end2338:
	.size	_ZN7rocprim17ROCPRIM_400000_NS6detail17trampoline_kernelINS0_14default_configENS1_25partition_config_selectorILNS1_17partition_subalgoE0EyNS0_10empty_typeEbEEZZNS1_14partition_implILS5_0ELb0ES3_jN6thrust23THRUST_200600_302600_NS6detail15normal_iteratorINSA_10device_ptrIyEEEEPS6_SG_NS0_5tupleIJSF_NSA_16discard_iteratorINSA_11use_defaultEEEEEENSH_IJSG_SG_EEES6_PlJ7is_evenIyEEEE10hipError_tPvRmT3_T4_T5_T6_T7_T9_mT8_P12ihipStream_tbDpT10_ENKUlT_T0_E_clISt17integral_constantIbLb0EES19_EEDaS14_S15_EUlS14_E_NS1_11comp_targetILNS1_3genE8ELNS1_11target_archE1030ELNS1_3gpuE2ELNS1_3repE0EEENS1_30default_config_static_selectorELNS0_4arch9wavefront6targetE1EEEvT1_, .Lfunc_end2338-_ZN7rocprim17ROCPRIM_400000_NS6detail17trampoline_kernelINS0_14default_configENS1_25partition_config_selectorILNS1_17partition_subalgoE0EyNS0_10empty_typeEbEEZZNS1_14partition_implILS5_0ELb0ES3_jN6thrust23THRUST_200600_302600_NS6detail15normal_iteratorINSA_10device_ptrIyEEEEPS6_SG_NS0_5tupleIJSF_NSA_16discard_iteratorINSA_11use_defaultEEEEEENSH_IJSG_SG_EEES6_PlJ7is_evenIyEEEE10hipError_tPvRmT3_T4_T5_T6_T7_T9_mT8_P12ihipStream_tbDpT10_ENKUlT_T0_E_clISt17integral_constantIbLb0EES19_EEDaS14_S15_EUlS14_E_NS1_11comp_targetILNS1_3genE8ELNS1_11target_archE1030ELNS1_3gpuE2ELNS1_3repE0EEENS1_30default_config_static_selectorELNS0_4arch9wavefront6targetE1EEEvT1_
                                        ; -- End function
	.section	.AMDGPU.csdata,"",@progbits
; Kernel info:
; codeLenInByte = 0
; NumSgprs: 6
; NumVgprs: 0
; NumAgprs: 0
; TotalNumVgprs: 0
; ScratchSize: 0
; MemoryBound: 0
; FloatMode: 240
; IeeeMode: 1
; LDSByteSize: 0 bytes/workgroup (compile time only)
; SGPRBlocks: 0
; VGPRBlocks: 0
; NumSGPRsForWavesPerEU: 6
; NumVGPRsForWavesPerEU: 1
; AccumOffset: 4
; Occupancy: 8
; WaveLimiterHint : 0
; COMPUTE_PGM_RSRC2:SCRATCH_EN: 0
; COMPUTE_PGM_RSRC2:USER_SGPR: 2
; COMPUTE_PGM_RSRC2:TRAP_HANDLER: 0
; COMPUTE_PGM_RSRC2:TGID_X_EN: 1
; COMPUTE_PGM_RSRC2:TGID_Y_EN: 0
; COMPUTE_PGM_RSRC2:TGID_Z_EN: 0
; COMPUTE_PGM_RSRC2:TIDIG_COMP_CNT: 0
; COMPUTE_PGM_RSRC3_GFX90A:ACCUM_OFFSET: 0
; COMPUTE_PGM_RSRC3_GFX90A:TG_SPLIT: 0
	.section	.text._ZN7rocprim17ROCPRIM_400000_NS6detail17trampoline_kernelINS0_14default_configENS1_25partition_config_selectorILNS1_17partition_subalgoE0EyNS0_10empty_typeEbEEZZNS1_14partition_implILS5_0ELb0ES3_jN6thrust23THRUST_200600_302600_NS6detail15normal_iteratorINSA_10device_ptrIyEEEEPS6_SG_NS0_5tupleIJSF_NSA_16discard_iteratorINSA_11use_defaultEEEEEENSH_IJSG_SG_EEES6_PlJ7is_evenIyEEEE10hipError_tPvRmT3_T4_T5_T6_T7_T9_mT8_P12ihipStream_tbDpT10_ENKUlT_T0_E_clISt17integral_constantIbLb1EES19_EEDaS14_S15_EUlS14_E_NS1_11comp_targetILNS1_3genE0ELNS1_11target_archE4294967295ELNS1_3gpuE0ELNS1_3repE0EEENS1_30default_config_static_selectorELNS0_4arch9wavefront6targetE1EEEvT1_,"axG",@progbits,_ZN7rocprim17ROCPRIM_400000_NS6detail17trampoline_kernelINS0_14default_configENS1_25partition_config_selectorILNS1_17partition_subalgoE0EyNS0_10empty_typeEbEEZZNS1_14partition_implILS5_0ELb0ES3_jN6thrust23THRUST_200600_302600_NS6detail15normal_iteratorINSA_10device_ptrIyEEEEPS6_SG_NS0_5tupleIJSF_NSA_16discard_iteratorINSA_11use_defaultEEEEEENSH_IJSG_SG_EEES6_PlJ7is_evenIyEEEE10hipError_tPvRmT3_T4_T5_T6_T7_T9_mT8_P12ihipStream_tbDpT10_ENKUlT_T0_E_clISt17integral_constantIbLb1EES19_EEDaS14_S15_EUlS14_E_NS1_11comp_targetILNS1_3genE0ELNS1_11target_archE4294967295ELNS1_3gpuE0ELNS1_3repE0EEENS1_30default_config_static_selectorELNS0_4arch9wavefront6targetE1EEEvT1_,comdat
	.protected	_ZN7rocprim17ROCPRIM_400000_NS6detail17trampoline_kernelINS0_14default_configENS1_25partition_config_selectorILNS1_17partition_subalgoE0EyNS0_10empty_typeEbEEZZNS1_14partition_implILS5_0ELb0ES3_jN6thrust23THRUST_200600_302600_NS6detail15normal_iteratorINSA_10device_ptrIyEEEEPS6_SG_NS0_5tupleIJSF_NSA_16discard_iteratorINSA_11use_defaultEEEEEENSH_IJSG_SG_EEES6_PlJ7is_evenIyEEEE10hipError_tPvRmT3_T4_T5_T6_T7_T9_mT8_P12ihipStream_tbDpT10_ENKUlT_T0_E_clISt17integral_constantIbLb1EES19_EEDaS14_S15_EUlS14_E_NS1_11comp_targetILNS1_3genE0ELNS1_11target_archE4294967295ELNS1_3gpuE0ELNS1_3repE0EEENS1_30default_config_static_selectorELNS0_4arch9wavefront6targetE1EEEvT1_ ; -- Begin function _ZN7rocprim17ROCPRIM_400000_NS6detail17trampoline_kernelINS0_14default_configENS1_25partition_config_selectorILNS1_17partition_subalgoE0EyNS0_10empty_typeEbEEZZNS1_14partition_implILS5_0ELb0ES3_jN6thrust23THRUST_200600_302600_NS6detail15normal_iteratorINSA_10device_ptrIyEEEEPS6_SG_NS0_5tupleIJSF_NSA_16discard_iteratorINSA_11use_defaultEEEEEENSH_IJSG_SG_EEES6_PlJ7is_evenIyEEEE10hipError_tPvRmT3_T4_T5_T6_T7_T9_mT8_P12ihipStream_tbDpT10_ENKUlT_T0_E_clISt17integral_constantIbLb1EES19_EEDaS14_S15_EUlS14_E_NS1_11comp_targetILNS1_3genE0ELNS1_11target_archE4294967295ELNS1_3gpuE0ELNS1_3repE0EEENS1_30default_config_static_selectorELNS0_4arch9wavefront6targetE1EEEvT1_
	.globl	_ZN7rocprim17ROCPRIM_400000_NS6detail17trampoline_kernelINS0_14default_configENS1_25partition_config_selectorILNS1_17partition_subalgoE0EyNS0_10empty_typeEbEEZZNS1_14partition_implILS5_0ELb0ES3_jN6thrust23THRUST_200600_302600_NS6detail15normal_iteratorINSA_10device_ptrIyEEEEPS6_SG_NS0_5tupleIJSF_NSA_16discard_iteratorINSA_11use_defaultEEEEEENSH_IJSG_SG_EEES6_PlJ7is_evenIyEEEE10hipError_tPvRmT3_T4_T5_T6_T7_T9_mT8_P12ihipStream_tbDpT10_ENKUlT_T0_E_clISt17integral_constantIbLb1EES19_EEDaS14_S15_EUlS14_E_NS1_11comp_targetILNS1_3genE0ELNS1_11target_archE4294967295ELNS1_3gpuE0ELNS1_3repE0EEENS1_30default_config_static_selectorELNS0_4arch9wavefront6targetE1EEEvT1_
	.p2align	8
	.type	_ZN7rocprim17ROCPRIM_400000_NS6detail17trampoline_kernelINS0_14default_configENS1_25partition_config_selectorILNS1_17partition_subalgoE0EyNS0_10empty_typeEbEEZZNS1_14partition_implILS5_0ELb0ES3_jN6thrust23THRUST_200600_302600_NS6detail15normal_iteratorINSA_10device_ptrIyEEEEPS6_SG_NS0_5tupleIJSF_NSA_16discard_iteratorINSA_11use_defaultEEEEEENSH_IJSG_SG_EEES6_PlJ7is_evenIyEEEE10hipError_tPvRmT3_T4_T5_T6_T7_T9_mT8_P12ihipStream_tbDpT10_ENKUlT_T0_E_clISt17integral_constantIbLb1EES19_EEDaS14_S15_EUlS14_E_NS1_11comp_targetILNS1_3genE0ELNS1_11target_archE4294967295ELNS1_3gpuE0ELNS1_3repE0EEENS1_30default_config_static_selectorELNS0_4arch9wavefront6targetE1EEEvT1_,@function
_ZN7rocprim17ROCPRIM_400000_NS6detail17trampoline_kernelINS0_14default_configENS1_25partition_config_selectorILNS1_17partition_subalgoE0EyNS0_10empty_typeEbEEZZNS1_14partition_implILS5_0ELb0ES3_jN6thrust23THRUST_200600_302600_NS6detail15normal_iteratorINSA_10device_ptrIyEEEEPS6_SG_NS0_5tupleIJSF_NSA_16discard_iteratorINSA_11use_defaultEEEEEENSH_IJSG_SG_EEES6_PlJ7is_evenIyEEEE10hipError_tPvRmT3_T4_T5_T6_T7_T9_mT8_P12ihipStream_tbDpT10_ENKUlT_T0_E_clISt17integral_constantIbLb1EES19_EEDaS14_S15_EUlS14_E_NS1_11comp_targetILNS1_3genE0ELNS1_11target_archE4294967295ELNS1_3gpuE0ELNS1_3repE0EEENS1_30default_config_static_selectorELNS0_4arch9wavefront6targetE1EEEvT1_: ; @_ZN7rocprim17ROCPRIM_400000_NS6detail17trampoline_kernelINS0_14default_configENS1_25partition_config_selectorILNS1_17partition_subalgoE0EyNS0_10empty_typeEbEEZZNS1_14partition_implILS5_0ELb0ES3_jN6thrust23THRUST_200600_302600_NS6detail15normal_iteratorINSA_10device_ptrIyEEEEPS6_SG_NS0_5tupleIJSF_NSA_16discard_iteratorINSA_11use_defaultEEEEEENSH_IJSG_SG_EEES6_PlJ7is_evenIyEEEE10hipError_tPvRmT3_T4_T5_T6_T7_T9_mT8_P12ihipStream_tbDpT10_ENKUlT_T0_E_clISt17integral_constantIbLb1EES19_EEDaS14_S15_EUlS14_E_NS1_11comp_targetILNS1_3genE0ELNS1_11target_archE4294967295ELNS1_3gpuE0ELNS1_3repE0EEENS1_30default_config_static_selectorELNS0_4arch9wavefront6targetE1EEEvT1_
; %bb.0:
	.section	.rodata,"a",@progbits
	.p2align	6, 0x0
	.amdhsa_kernel _ZN7rocprim17ROCPRIM_400000_NS6detail17trampoline_kernelINS0_14default_configENS1_25partition_config_selectorILNS1_17partition_subalgoE0EyNS0_10empty_typeEbEEZZNS1_14partition_implILS5_0ELb0ES3_jN6thrust23THRUST_200600_302600_NS6detail15normal_iteratorINSA_10device_ptrIyEEEEPS6_SG_NS0_5tupleIJSF_NSA_16discard_iteratorINSA_11use_defaultEEEEEENSH_IJSG_SG_EEES6_PlJ7is_evenIyEEEE10hipError_tPvRmT3_T4_T5_T6_T7_T9_mT8_P12ihipStream_tbDpT10_ENKUlT_T0_E_clISt17integral_constantIbLb1EES19_EEDaS14_S15_EUlS14_E_NS1_11comp_targetILNS1_3genE0ELNS1_11target_archE4294967295ELNS1_3gpuE0ELNS1_3repE0EEENS1_30default_config_static_selectorELNS0_4arch9wavefront6targetE1EEEvT1_
		.amdhsa_group_segment_fixed_size 0
		.amdhsa_private_segment_fixed_size 0
		.amdhsa_kernarg_size 144
		.amdhsa_user_sgpr_count 2
		.amdhsa_user_sgpr_dispatch_ptr 0
		.amdhsa_user_sgpr_queue_ptr 0
		.amdhsa_user_sgpr_kernarg_segment_ptr 1
		.amdhsa_user_sgpr_dispatch_id 0
		.amdhsa_user_sgpr_kernarg_preload_length 0
		.amdhsa_user_sgpr_kernarg_preload_offset 0
		.amdhsa_user_sgpr_private_segment_size 0
		.amdhsa_uses_dynamic_stack 0
		.amdhsa_enable_private_segment 0
		.amdhsa_system_sgpr_workgroup_id_x 1
		.amdhsa_system_sgpr_workgroup_id_y 0
		.amdhsa_system_sgpr_workgroup_id_z 0
		.amdhsa_system_sgpr_workgroup_info 0
		.amdhsa_system_vgpr_workitem_id 0
		.amdhsa_next_free_vgpr 1
		.amdhsa_next_free_sgpr 0
		.amdhsa_accum_offset 4
		.amdhsa_reserve_vcc 0
		.amdhsa_float_round_mode_32 0
		.amdhsa_float_round_mode_16_64 0
		.amdhsa_float_denorm_mode_32 3
		.amdhsa_float_denorm_mode_16_64 3
		.amdhsa_dx10_clamp 1
		.amdhsa_ieee_mode 1
		.amdhsa_fp16_overflow 0
		.amdhsa_tg_split 0
		.amdhsa_exception_fp_ieee_invalid_op 0
		.amdhsa_exception_fp_denorm_src 0
		.amdhsa_exception_fp_ieee_div_zero 0
		.amdhsa_exception_fp_ieee_overflow 0
		.amdhsa_exception_fp_ieee_underflow 0
		.amdhsa_exception_fp_ieee_inexact 0
		.amdhsa_exception_int_div_zero 0
	.end_amdhsa_kernel
	.section	.text._ZN7rocprim17ROCPRIM_400000_NS6detail17trampoline_kernelINS0_14default_configENS1_25partition_config_selectorILNS1_17partition_subalgoE0EyNS0_10empty_typeEbEEZZNS1_14partition_implILS5_0ELb0ES3_jN6thrust23THRUST_200600_302600_NS6detail15normal_iteratorINSA_10device_ptrIyEEEEPS6_SG_NS0_5tupleIJSF_NSA_16discard_iteratorINSA_11use_defaultEEEEEENSH_IJSG_SG_EEES6_PlJ7is_evenIyEEEE10hipError_tPvRmT3_T4_T5_T6_T7_T9_mT8_P12ihipStream_tbDpT10_ENKUlT_T0_E_clISt17integral_constantIbLb1EES19_EEDaS14_S15_EUlS14_E_NS1_11comp_targetILNS1_3genE0ELNS1_11target_archE4294967295ELNS1_3gpuE0ELNS1_3repE0EEENS1_30default_config_static_selectorELNS0_4arch9wavefront6targetE1EEEvT1_,"axG",@progbits,_ZN7rocprim17ROCPRIM_400000_NS6detail17trampoline_kernelINS0_14default_configENS1_25partition_config_selectorILNS1_17partition_subalgoE0EyNS0_10empty_typeEbEEZZNS1_14partition_implILS5_0ELb0ES3_jN6thrust23THRUST_200600_302600_NS6detail15normal_iteratorINSA_10device_ptrIyEEEEPS6_SG_NS0_5tupleIJSF_NSA_16discard_iteratorINSA_11use_defaultEEEEEENSH_IJSG_SG_EEES6_PlJ7is_evenIyEEEE10hipError_tPvRmT3_T4_T5_T6_T7_T9_mT8_P12ihipStream_tbDpT10_ENKUlT_T0_E_clISt17integral_constantIbLb1EES19_EEDaS14_S15_EUlS14_E_NS1_11comp_targetILNS1_3genE0ELNS1_11target_archE4294967295ELNS1_3gpuE0ELNS1_3repE0EEENS1_30default_config_static_selectorELNS0_4arch9wavefront6targetE1EEEvT1_,comdat
.Lfunc_end2339:
	.size	_ZN7rocprim17ROCPRIM_400000_NS6detail17trampoline_kernelINS0_14default_configENS1_25partition_config_selectorILNS1_17partition_subalgoE0EyNS0_10empty_typeEbEEZZNS1_14partition_implILS5_0ELb0ES3_jN6thrust23THRUST_200600_302600_NS6detail15normal_iteratorINSA_10device_ptrIyEEEEPS6_SG_NS0_5tupleIJSF_NSA_16discard_iteratorINSA_11use_defaultEEEEEENSH_IJSG_SG_EEES6_PlJ7is_evenIyEEEE10hipError_tPvRmT3_T4_T5_T6_T7_T9_mT8_P12ihipStream_tbDpT10_ENKUlT_T0_E_clISt17integral_constantIbLb1EES19_EEDaS14_S15_EUlS14_E_NS1_11comp_targetILNS1_3genE0ELNS1_11target_archE4294967295ELNS1_3gpuE0ELNS1_3repE0EEENS1_30default_config_static_selectorELNS0_4arch9wavefront6targetE1EEEvT1_, .Lfunc_end2339-_ZN7rocprim17ROCPRIM_400000_NS6detail17trampoline_kernelINS0_14default_configENS1_25partition_config_selectorILNS1_17partition_subalgoE0EyNS0_10empty_typeEbEEZZNS1_14partition_implILS5_0ELb0ES3_jN6thrust23THRUST_200600_302600_NS6detail15normal_iteratorINSA_10device_ptrIyEEEEPS6_SG_NS0_5tupleIJSF_NSA_16discard_iteratorINSA_11use_defaultEEEEEENSH_IJSG_SG_EEES6_PlJ7is_evenIyEEEE10hipError_tPvRmT3_T4_T5_T6_T7_T9_mT8_P12ihipStream_tbDpT10_ENKUlT_T0_E_clISt17integral_constantIbLb1EES19_EEDaS14_S15_EUlS14_E_NS1_11comp_targetILNS1_3genE0ELNS1_11target_archE4294967295ELNS1_3gpuE0ELNS1_3repE0EEENS1_30default_config_static_selectorELNS0_4arch9wavefront6targetE1EEEvT1_
                                        ; -- End function
	.section	.AMDGPU.csdata,"",@progbits
; Kernel info:
; codeLenInByte = 0
; NumSgprs: 6
; NumVgprs: 0
; NumAgprs: 0
; TotalNumVgprs: 0
; ScratchSize: 0
; MemoryBound: 0
; FloatMode: 240
; IeeeMode: 1
; LDSByteSize: 0 bytes/workgroup (compile time only)
; SGPRBlocks: 0
; VGPRBlocks: 0
; NumSGPRsForWavesPerEU: 6
; NumVGPRsForWavesPerEU: 1
; AccumOffset: 4
; Occupancy: 8
; WaveLimiterHint : 0
; COMPUTE_PGM_RSRC2:SCRATCH_EN: 0
; COMPUTE_PGM_RSRC2:USER_SGPR: 2
; COMPUTE_PGM_RSRC2:TRAP_HANDLER: 0
; COMPUTE_PGM_RSRC2:TGID_X_EN: 1
; COMPUTE_PGM_RSRC2:TGID_Y_EN: 0
; COMPUTE_PGM_RSRC2:TGID_Z_EN: 0
; COMPUTE_PGM_RSRC2:TIDIG_COMP_CNT: 0
; COMPUTE_PGM_RSRC3_GFX90A:ACCUM_OFFSET: 0
; COMPUTE_PGM_RSRC3_GFX90A:TG_SPLIT: 0
	.section	.text._ZN7rocprim17ROCPRIM_400000_NS6detail17trampoline_kernelINS0_14default_configENS1_25partition_config_selectorILNS1_17partition_subalgoE0EyNS0_10empty_typeEbEEZZNS1_14partition_implILS5_0ELb0ES3_jN6thrust23THRUST_200600_302600_NS6detail15normal_iteratorINSA_10device_ptrIyEEEEPS6_SG_NS0_5tupleIJSF_NSA_16discard_iteratorINSA_11use_defaultEEEEEENSH_IJSG_SG_EEES6_PlJ7is_evenIyEEEE10hipError_tPvRmT3_T4_T5_T6_T7_T9_mT8_P12ihipStream_tbDpT10_ENKUlT_T0_E_clISt17integral_constantIbLb1EES19_EEDaS14_S15_EUlS14_E_NS1_11comp_targetILNS1_3genE5ELNS1_11target_archE942ELNS1_3gpuE9ELNS1_3repE0EEENS1_30default_config_static_selectorELNS0_4arch9wavefront6targetE1EEEvT1_,"axG",@progbits,_ZN7rocprim17ROCPRIM_400000_NS6detail17trampoline_kernelINS0_14default_configENS1_25partition_config_selectorILNS1_17partition_subalgoE0EyNS0_10empty_typeEbEEZZNS1_14partition_implILS5_0ELb0ES3_jN6thrust23THRUST_200600_302600_NS6detail15normal_iteratorINSA_10device_ptrIyEEEEPS6_SG_NS0_5tupleIJSF_NSA_16discard_iteratorINSA_11use_defaultEEEEEENSH_IJSG_SG_EEES6_PlJ7is_evenIyEEEE10hipError_tPvRmT3_T4_T5_T6_T7_T9_mT8_P12ihipStream_tbDpT10_ENKUlT_T0_E_clISt17integral_constantIbLb1EES19_EEDaS14_S15_EUlS14_E_NS1_11comp_targetILNS1_3genE5ELNS1_11target_archE942ELNS1_3gpuE9ELNS1_3repE0EEENS1_30default_config_static_selectorELNS0_4arch9wavefront6targetE1EEEvT1_,comdat
	.protected	_ZN7rocprim17ROCPRIM_400000_NS6detail17trampoline_kernelINS0_14default_configENS1_25partition_config_selectorILNS1_17partition_subalgoE0EyNS0_10empty_typeEbEEZZNS1_14partition_implILS5_0ELb0ES3_jN6thrust23THRUST_200600_302600_NS6detail15normal_iteratorINSA_10device_ptrIyEEEEPS6_SG_NS0_5tupleIJSF_NSA_16discard_iteratorINSA_11use_defaultEEEEEENSH_IJSG_SG_EEES6_PlJ7is_evenIyEEEE10hipError_tPvRmT3_T4_T5_T6_T7_T9_mT8_P12ihipStream_tbDpT10_ENKUlT_T0_E_clISt17integral_constantIbLb1EES19_EEDaS14_S15_EUlS14_E_NS1_11comp_targetILNS1_3genE5ELNS1_11target_archE942ELNS1_3gpuE9ELNS1_3repE0EEENS1_30default_config_static_selectorELNS0_4arch9wavefront6targetE1EEEvT1_ ; -- Begin function _ZN7rocprim17ROCPRIM_400000_NS6detail17trampoline_kernelINS0_14default_configENS1_25partition_config_selectorILNS1_17partition_subalgoE0EyNS0_10empty_typeEbEEZZNS1_14partition_implILS5_0ELb0ES3_jN6thrust23THRUST_200600_302600_NS6detail15normal_iteratorINSA_10device_ptrIyEEEEPS6_SG_NS0_5tupleIJSF_NSA_16discard_iteratorINSA_11use_defaultEEEEEENSH_IJSG_SG_EEES6_PlJ7is_evenIyEEEE10hipError_tPvRmT3_T4_T5_T6_T7_T9_mT8_P12ihipStream_tbDpT10_ENKUlT_T0_E_clISt17integral_constantIbLb1EES19_EEDaS14_S15_EUlS14_E_NS1_11comp_targetILNS1_3genE5ELNS1_11target_archE942ELNS1_3gpuE9ELNS1_3repE0EEENS1_30default_config_static_selectorELNS0_4arch9wavefront6targetE1EEEvT1_
	.globl	_ZN7rocprim17ROCPRIM_400000_NS6detail17trampoline_kernelINS0_14default_configENS1_25partition_config_selectorILNS1_17partition_subalgoE0EyNS0_10empty_typeEbEEZZNS1_14partition_implILS5_0ELb0ES3_jN6thrust23THRUST_200600_302600_NS6detail15normal_iteratorINSA_10device_ptrIyEEEEPS6_SG_NS0_5tupleIJSF_NSA_16discard_iteratorINSA_11use_defaultEEEEEENSH_IJSG_SG_EEES6_PlJ7is_evenIyEEEE10hipError_tPvRmT3_T4_T5_T6_T7_T9_mT8_P12ihipStream_tbDpT10_ENKUlT_T0_E_clISt17integral_constantIbLb1EES19_EEDaS14_S15_EUlS14_E_NS1_11comp_targetILNS1_3genE5ELNS1_11target_archE942ELNS1_3gpuE9ELNS1_3repE0EEENS1_30default_config_static_selectorELNS0_4arch9wavefront6targetE1EEEvT1_
	.p2align	8
	.type	_ZN7rocprim17ROCPRIM_400000_NS6detail17trampoline_kernelINS0_14default_configENS1_25partition_config_selectorILNS1_17partition_subalgoE0EyNS0_10empty_typeEbEEZZNS1_14partition_implILS5_0ELb0ES3_jN6thrust23THRUST_200600_302600_NS6detail15normal_iteratorINSA_10device_ptrIyEEEEPS6_SG_NS0_5tupleIJSF_NSA_16discard_iteratorINSA_11use_defaultEEEEEENSH_IJSG_SG_EEES6_PlJ7is_evenIyEEEE10hipError_tPvRmT3_T4_T5_T6_T7_T9_mT8_P12ihipStream_tbDpT10_ENKUlT_T0_E_clISt17integral_constantIbLb1EES19_EEDaS14_S15_EUlS14_E_NS1_11comp_targetILNS1_3genE5ELNS1_11target_archE942ELNS1_3gpuE9ELNS1_3repE0EEENS1_30default_config_static_selectorELNS0_4arch9wavefront6targetE1EEEvT1_,@function
_ZN7rocprim17ROCPRIM_400000_NS6detail17trampoline_kernelINS0_14default_configENS1_25partition_config_selectorILNS1_17partition_subalgoE0EyNS0_10empty_typeEbEEZZNS1_14partition_implILS5_0ELb0ES3_jN6thrust23THRUST_200600_302600_NS6detail15normal_iteratorINSA_10device_ptrIyEEEEPS6_SG_NS0_5tupleIJSF_NSA_16discard_iteratorINSA_11use_defaultEEEEEENSH_IJSG_SG_EEES6_PlJ7is_evenIyEEEE10hipError_tPvRmT3_T4_T5_T6_T7_T9_mT8_P12ihipStream_tbDpT10_ENKUlT_T0_E_clISt17integral_constantIbLb1EES19_EEDaS14_S15_EUlS14_E_NS1_11comp_targetILNS1_3genE5ELNS1_11target_archE942ELNS1_3gpuE9ELNS1_3repE0EEENS1_30default_config_static_selectorELNS0_4arch9wavefront6targetE1EEEvT1_: ; @_ZN7rocprim17ROCPRIM_400000_NS6detail17trampoline_kernelINS0_14default_configENS1_25partition_config_selectorILNS1_17partition_subalgoE0EyNS0_10empty_typeEbEEZZNS1_14partition_implILS5_0ELb0ES3_jN6thrust23THRUST_200600_302600_NS6detail15normal_iteratorINSA_10device_ptrIyEEEEPS6_SG_NS0_5tupleIJSF_NSA_16discard_iteratorINSA_11use_defaultEEEEEENSH_IJSG_SG_EEES6_PlJ7is_evenIyEEEE10hipError_tPvRmT3_T4_T5_T6_T7_T9_mT8_P12ihipStream_tbDpT10_ENKUlT_T0_E_clISt17integral_constantIbLb1EES19_EEDaS14_S15_EUlS14_E_NS1_11comp_targetILNS1_3genE5ELNS1_11target_archE942ELNS1_3gpuE9ELNS1_3repE0EEENS1_30default_config_static_selectorELNS0_4arch9wavefront6targetE1EEEvT1_
; %bb.0:
	s_load_dwordx2 s[2:3], s[0:1], 0x60
	s_load_dwordx4 s[24:27], s[0:1], 0x50
	s_load_dwordx2 s[30:31], s[0:1], 0x70
	v_cmp_eq_u32_e64 s[20:21], 0, v0
	s_and_saveexec_b64 s[4:5], s[20:21]
	s_cbranch_execz .LBB2340_4
; %bb.1:
	s_mov_b64 s[8:9], exec
	v_mbcnt_lo_u32_b32 v1, s8, 0
	v_mbcnt_hi_u32_b32 v1, s9, v1
	v_cmp_eq_u32_e32 vcc, 0, v1
                                        ; implicit-def: $vgpr2
	s_and_saveexec_b64 s[6:7], vcc
	s_cbranch_execz .LBB2340_3
; %bb.2:
	s_load_dwordx2 s[10:11], s[0:1], 0x80
	s_bcnt1_i32_b64 s8, s[8:9]
	v_mov_b32_e32 v2, 0
	v_mov_b32_e32 v3, s8
	s_waitcnt lgkmcnt(0)
	global_atomic_add v2, v2, v3, s[10:11] sc0
.LBB2340_3:
	s_or_b64 exec, exec, s[6:7]
	s_waitcnt vmcnt(0)
	v_readfirstlane_b32 s6, v2
	v_mov_b32_e32 v2, 0
	s_nop 0
	v_add_u32_e32 v1, s6, v1
	ds_write_b32 v2, v1
.LBB2340_4:
	s_or_b64 exec, exec, s[4:5]
	v_mov_b32_e32 v21, 0
	s_load_dwordx4 s[4:7], s[0:1], 0x8
	s_load_dwordx2 s[28:29], s[0:1], 0x28
	s_load_dword s8, s[0:1], 0x78
	s_waitcnt lgkmcnt(0)
	s_barrier
	ds_read_b32 v1, v21
	s_waitcnt lgkmcnt(0)
	s_barrier
	global_load_dwordx2 v[18:19], v21, s[26:27]
	s_lshl_b64 s[0:1], s[6:7], 3
	s_add_u32 s4, s4, s0
	s_movk_i32 s0, 0xe00
	v_mul_lo_u32 v20, v1, s0
	s_mul_i32 s0, s8, 0xe00
	s_addc_u32 s5, s5, s1
	s_add_i32 s1, s0, s6
	v_mov_b32_e32 v3, s3
	s_add_i32 s3, s8, -1
	s_sub_i32 s33, s2, s1
	s_add_u32 s0, s6, s0
	v_readfirstlane_b32 s36, v1
	s_addc_u32 s1, s7, 0
	s_cmp_eq_u32 s36, s3
	v_mov_b32_e32 v2, s2
	s_cselect_b64 s[22:23], -1, 0
	s_cmp_lg_u32 s36, s3
	v_cmp_lt_u64_e32 vcc, s[0:1], v[2:3]
	s_cselect_b64 s[0:1], -1, 0
	s_or_b64 s[0:1], vcc, s[0:1]
	v_lshlrev_b64 v[2:3], 3, v[20:21]
	v_lshl_add_u64 v[22:23], s[4:5], 0, v[2:3]
	s_mov_b64 s[2:3], -1
	s_and_b64 vcc, exec, s[0:1]
	v_lshlrev_b32_e32 v20, 3, v0
	s_cbranch_vccz .LBB2340_6
; %bb.5:
	v_lshl_add_u64 v[2:3], v[22:23], 0, v[20:21]
	v_add_co_u32_e32 v4, vcc, 0x1000, v2
	s_mov_b64 s[2:3], 0
	s_nop 0
	v_addc_co_u32_e32 v5, vcc, 0, v3, vcc
	v_add_co_u32_e32 v6, vcc, 0x2000, v2
	s_nop 1
	v_addc_co_u32_e32 v7, vcc, 0, v3, vcc
	v_add_co_u32_e32 v8, vcc, 0x3000, v2
	s_nop 1
	v_addc_co_u32_e32 v9, vcc, 0, v3, vcc
	flat_load_dwordx2 v[10:11], v[2:3]
	flat_load_dwordx2 v[12:13], v[4:5]
	;; [unrolled: 1-line block ×4, first 2 shown]
	v_add_co_u32_e32 v4, vcc, 0x4000, v2
	s_nop 1
	v_addc_co_u32_e32 v5, vcc, 0, v3, vcc
	v_add_co_u32_e32 v6, vcc, 0x5000, v2
	s_nop 1
	v_addc_co_u32_e32 v7, vcc, 0, v3, vcc
	;; [unrolled: 3-line block ×3, first 2 shown]
	flat_load_dwordx2 v[8:9], v[4:5]
	flat_load_dwordx2 v[24:25], v[6:7]
	;; [unrolled: 1-line block ×3, first 2 shown]
	s_waitcnt vmcnt(0) lgkmcnt(0)
	ds_write2st64_b64 v20, v[10:11], v[12:13] offset1:8
	ds_write2st64_b64 v20, v[14:15], v[16:17] offset0:16 offset1:24
	ds_write2st64_b64 v20, v[8:9], v[24:25] offset0:32 offset1:40
	ds_write_b64 v20, v[26:27] offset:24576
	s_waitcnt lgkmcnt(0)
	s_barrier
.LBB2340_6:
	s_andn2_b64 vcc, exec, s[2:3]
	s_addk_i32 s33, 0xe00
	s_cbranch_vccnz .LBB2340_22
; %bb.7:
	v_cmp_gt_u32_e32 vcc, s33, v0
                                        ; implicit-def: $vgpr2_vgpr3_vgpr4_vgpr5_vgpr6_vgpr7_vgpr8_vgpr9_vgpr10_vgpr11_vgpr12_vgpr13_vgpr14_vgpr15_vgpr16_vgpr17
	s_and_saveexec_b64 s[2:3], vcc
	s_cbranch_execz .LBB2340_9
; %bb.8:
	v_mov_b32_e32 v21, 0
	v_lshl_add_u64 v[2:3], v[22:23], 0, v[20:21]
	flat_load_dwordx2 v[2:3], v[2:3]
.LBB2340_9:
	s_or_b64 exec, exec, s[2:3]
	v_or_b32_e32 v1, 0x200, v0
	v_cmp_gt_u32_e32 vcc, s33, v1
	s_and_saveexec_b64 s[2:3], vcc
	s_cbranch_execz .LBB2340_11
; %bb.10:
	v_lshlrev_b32_e32 v4, 3, v1
	v_mov_b32_e32 v5, 0
	v_lshl_add_u64 v[4:5], v[22:23], 0, v[4:5]
	flat_load_dwordx2 v[4:5], v[4:5]
.LBB2340_11:
	s_or_b64 exec, exec, s[2:3]
	v_or_b32_e32 v1, 0x400, v0
	v_cmp_gt_u32_e32 vcc, s33, v1
	s_and_saveexec_b64 s[2:3], vcc
	s_cbranch_execz .LBB2340_13
; %bb.12:
	v_lshlrev_b32_e32 v6, 3, v1
	v_mov_b32_e32 v7, 0
	v_lshl_add_u64 v[6:7], v[22:23], 0, v[6:7]
	flat_load_dwordx2 v[6:7], v[6:7]
.LBB2340_13:
	;; [unrolled: 11-line block ×6, first 2 shown]
	s_or_b64 exec, exec, s[2:3]
	s_waitcnt vmcnt(0) lgkmcnt(0)
	ds_write2st64_b64 v20, v[2:3], v[4:5] offset1:8
	ds_write2st64_b64 v20, v[6:7], v[8:9] offset0:16 offset1:24
	ds_write2st64_b64 v20, v[10:11], v[12:13] offset0:32 offset1:40
	ds_write_b64 v20, v[14:15] offset:24576
	s_waitcnt lgkmcnt(0)
	s_barrier
.LBB2340_22:
	v_mul_u32_u24_e32 v1, 7, v0
	v_lshlrev_b32_e32 v34, 3, v1
	ds_read2_b64 v[10:13], v34 offset1:1
	ds_read2_b64 v[6:9], v34 offset0:2 offset1:3
	ds_read2_b64 v[2:5], v34 offset0:4 offset1:5
	ds_read_b64 v[14:15], v34 offset:48
	v_cndmask_b32_e64 v16, 0, 1, s[0:1]
	v_cmp_ne_u32_e64 s[2:3], 1, v16
	s_andn2_b64 vcc, exec, s[0:1]
	s_waitcnt lgkmcnt(3)
	v_xor_b32_e32 v26, -1, v10
	v_xor_b32_e32 v25, -1, v12
	s_waitcnt lgkmcnt(2)
	v_xor_b32_e32 v24, -1, v6
	v_xor_b32_e32 v23, -1, v8
	;; [unrolled: 3-line block ×3, first 2 shown]
	s_waitcnt lgkmcnt(0)
	v_xor_b32_e32 v16, -1, v14
	s_barrier
	s_cbranch_vccnz .LBB2340_24
; %bb.23:
	v_mov_b32_e32 v21, 1
	v_and_b32_e32 v27, 1, v26
	v_and_b32_sdwa v28, v25, v21 dst_sel:BYTE_1 dst_unused:UNUSED_PAD src0_sel:DWORD src1_sel:DWORD
	v_and_b32_e32 v29, 1, v24
	v_and_b32_sdwa v32, v23, v21 dst_sel:BYTE_1 dst_unused:UNUSED_PAD src0_sel:DWORD src1_sel:DWORD
	v_or_b32_e32 v27, v27, v28
	v_or_b32_sdwa v28, v29, v32 dst_sel:WORD_1 dst_unused:UNUSED_PAD src0_sel:DWORD src1_sel:DWORD
	v_and_b32_e32 v31, 1, v22
	v_and_b32_e32 v30, 1, v17
	v_and_b32_e32 v21, 1, v16
	v_or_b32_sdwa v32, v27, v28 dst_sel:DWORD dst_unused:UNUSED_PAD src0_sel:WORD_0 src1_sel:DWORD
	s_cbranch_execz .LBB2340_25
	s_branch .LBB2340_26
.LBB2340_24:
                                        ; implicit-def: $vgpr21
                                        ; implicit-def: $vgpr30
                                        ; implicit-def: $vgpr31
                                        ; implicit-def: $vgpr32
.LBB2340_25:
	v_add_u32_e32 v21, 1, v1
	v_cmp_gt_u32_e32 vcc, s33, v1
	v_add_u32_e32 v27, 2, v1
	v_add_u32_e32 v28, 3, v1
	v_cndmask_b32_e64 v31, 0, 1, vcc
	v_cmp_gt_u32_e32 vcc, s33, v21
	v_add_u32_e32 v29, 4, v1
	v_add_u32_e32 v30, 5, v1
	v_cndmask_b32_e64 v21, 0, 1, vcc
	v_cmp_gt_u32_e32 vcc, s33, v27
	v_and_b32_sdwa v25, v21, v25 dst_sel:BYTE_1 dst_unused:UNUSED_PAD src0_sel:DWORD src1_sel:DWORD
	v_add_u32_e32 v32, 6, v1
	v_cndmask_b32_e64 v21, 0, 1, vcc
	v_cmp_gt_u32_e32 vcc, s33, v28
	v_and_b32_e32 v24, v21, v24
	v_and_b32_e32 v26, v31, v26
	v_cndmask_b32_e64 v21, 0, 1, vcc
	v_cmp_gt_u32_e32 vcc, s33, v29
	v_and_b32_sdwa v23, v21, v23 dst_sel:BYTE_1 dst_unused:UNUSED_PAD src0_sel:DWORD src1_sel:DWORD
	s_nop 0
	v_cndmask_b32_e64 v21, 0, 1, vcc
	v_cmp_gt_u32_e32 vcc, s33, v30
	v_and_b32_e32 v31, v21, v22
	s_nop 0
	v_cndmask_b32_e64 v21, 0, 1, vcc
	v_cmp_gt_u32_e32 vcc, s33, v32
	v_and_b32_e32 v30, v21, v17
	s_nop 0
	v_cndmask_b32_e64 v17, 0, 1, vcc
	v_and_b32_e32 v21, v17, v16
	v_or_b32_e32 v16, v26, v25
	v_or_b32_sdwa v17, v24, v23 dst_sel:WORD_1 dst_unused:UNUSED_PAD src0_sel:DWORD src1_sel:DWORD
	s_nop 0
	v_or_b32_sdwa v32, v16, v17 dst_sel:DWORD dst_unused:UNUSED_PAD src0_sel:WORD_0 src1_sel:DWORD
.LBB2340_26:
	v_and_b32_e32 v35, 0xff, v32
	v_bfe_u32 v36, v32, 8, 8
	v_bfe_u32 v37, v32, 16, 8
	v_lshrrev_b32_e32 v33, 24, v32
	v_and_b32_e32 v38, 0xff, v31
	v_add3_u32 v17, v36, v35, v37
	v_and_b32_e32 v39, 0xff, v30
	v_and_b32_e32 v16, 0xff, v21
	v_add3_u32 v17, v17, v33, v38
	v_add3_u32 v42, v17, v39, v16
	v_mbcnt_lo_u32_b32 v16, -1, 0
	v_mbcnt_hi_u32_b32 v40, -1, v16
	v_and_b32_e32 v16, 15, v40
	v_cmp_eq_u32_e64 s[16:17], 0, v16
	v_cmp_lt_u32_e64 s[14:15], 1, v16
	v_cmp_lt_u32_e64 s[12:13], 3, v16
	;; [unrolled: 1-line block ×3, first 2 shown]
	v_and_b32_e32 v16, 16, v40
	v_cmp_eq_u32_e64 s[8:9], 0, v16
	v_or_b32_e32 v16, 63, v0
	s_cmp_lg_u32 s36, 0
	v_cmp_lt_u32_e64 s[4:5], 31, v40
	v_lshrrev_b32_e32 v41, 6, v0
	v_cmp_eq_u32_e64 s[6:7], v16, v0
	s_cbranch_scc0 .LBB2340_57
; %bb.27:
	v_mov_b32_dpp v16, v42 row_shr:1 row_mask:0xf bank_mask:0xf
	v_cndmask_b32_e64 v16, v16, 0, s[16:17]
	v_add_u32_e32 v16, v16, v42
	s_nop 1
	v_mov_b32_dpp v17, v16 row_shr:2 row_mask:0xf bank_mask:0xf
	v_cndmask_b32_e64 v17, 0, v17, s[14:15]
	v_add_u32_e32 v16, v16, v17
	s_nop 1
	;; [unrolled: 4-line block ×4, first 2 shown]
	v_mov_b32_dpp v17, v16 row_bcast:15 row_mask:0xf bank_mask:0xf
	v_cndmask_b32_e64 v17, v17, 0, s[8:9]
	v_add_u32_e32 v16, v16, v17
	s_nop 1
	v_mov_b32_dpp v17, v16 row_bcast:31 row_mask:0xf bank_mask:0xf
	v_cndmask_b32_e64 v17, 0, v17, s[4:5]
	v_add_u32_e32 v16, v16, v17
	s_and_saveexec_b64 s[0:1], s[6:7]
	s_cbranch_execz .LBB2340_29
; %bb.28:
	v_lshlrev_b32_e32 v17, 2, v41
	ds_write_b32 v17, v16
.LBB2340_29:
	s_or_b64 exec, exec, s[0:1]
	v_cmp_gt_u32_e32 vcc, 8, v0
	s_waitcnt lgkmcnt(0)
	s_barrier
	s_and_saveexec_b64 s[0:1], vcc
	s_cbranch_execz .LBB2340_31
; %bb.30:
	v_lshlrev_b32_e32 v17, 2, v0
	ds_read_b32 v22, v17
	v_and_b32_e32 v23, 7, v40
	v_cmp_ne_u32_e32 vcc, 0, v23
	s_waitcnt lgkmcnt(0)
	v_mov_b32_dpp v24, v22 row_shr:1 row_mask:0xf bank_mask:0xf
	v_cndmask_b32_e32 v24, 0, v24, vcc
	v_add_u32_e32 v22, v24, v22
	v_cmp_lt_u32_e32 vcc, 1, v23
	s_nop 0
	v_mov_b32_dpp v24, v22 row_shr:2 row_mask:0xf bank_mask:0xf
	v_cndmask_b32_e32 v24, 0, v24, vcc
	v_add_u32_e32 v22, v22, v24
	v_cmp_lt_u32_e32 vcc, 3, v23
	s_nop 0
	v_mov_b32_dpp v24, v22 row_shr:4 row_mask:0xf bank_mask:0xf
	v_cndmask_b32_e32 v23, 0, v24, vcc
	v_add_u32_e32 v22, v22, v23
	ds_write_b32 v17, v22
.LBB2340_31:
	s_or_b64 exec, exec, s[0:1]
	v_cmp_gt_u32_e32 vcc, 64, v0
	v_cmp_lt_u32_e64 s[0:1], 63, v0
	s_waitcnt lgkmcnt(0)
	s_barrier
	s_waitcnt lgkmcnt(0)
                                        ; implicit-def: $vgpr43
	s_and_saveexec_b64 s[18:19], s[0:1]
	s_cbranch_execz .LBB2340_33
; %bb.32:
	v_lshl_add_u32 v17, v41, 2, -4
	ds_read_b32 v43, v17
	s_waitcnt lgkmcnt(0)
	v_add_u32_e32 v16, v43, v16
.LBB2340_33:
	s_or_b64 exec, exec, s[18:19]
	v_add_u32_e32 v17, -1, v40
	v_and_b32_e32 v22, 64, v40
	v_cmp_lt_i32_e64 s[0:1], v17, v22
	v_cmp_eq_u32_e64 s[18:19], 0, v40
	s_nop 0
	v_cndmask_b32_e64 v17, v17, v40, s[0:1]
	v_lshlrev_b32_e32 v17, 2, v17
	ds_bpermute_b32 v44, v17, v16
	s_and_saveexec_b64 s[0:1], vcc
	s_cbranch_execz .LBB2340_56
; %bb.34:
	v_mov_b32_e32 v29, 0
	ds_read_b32 v16, v29 offset:28
	s_and_saveexec_b64 s[26:27], s[18:19]
	s_cbranch_execz .LBB2340_36
; %bb.35:
	s_add_i32 s34, s36, 64
	s_mov_b32 s35, 0
	s_lshl_b64 s[34:35], s[34:35], 3
	s_add_u32 s34, s30, s34
	v_mov_b32_e32 v17, 1
	s_addc_u32 s35, s31, s35
	s_waitcnt lgkmcnt(0)
	global_store_dwordx2 v29, v[16:17], s[34:35] sc1
.LBB2340_36:
	s_or_b64 exec, exec, s[26:27]
	v_xad_u32 v22, v40, -1, s36
	v_add_u32_e32 v28, 64, v22
	v_lshl_add_u64 v[24:25], v[28:29], 3, s[30:31]
	global_load_dwordx2 v[26:27], v[24:25], off sc1
	s_waitcnt vmcnt(0)
	v_cmp_eq_u16_sdwa s[34:35], v27, v29 src0_sel:BYTE_0 src1_sel:DWORD
	s_and_saveexec_b64 s[26:27], s[34:35]
	s_cbranch_execz .LBB2340_42
; %bb.37:
	s_mov_b32 s37, 1
	s_mov_b64 s[34:35], 0
	v_mov_b32_e32 v17, 0
.LBB2340_38:                            ; =>This Loop Header: Depth=1
                                        ;     Child Loop BB2340_39 Depth 2
	s_max_u32 s38, s37, 1
.LBB2340_39:                            ;   Parent Loop BB2340_38 Depth=1
                                        ; =>  This Inner Loop Header: Depth=2
	s_add_i32 s38, s38, -1
	s_cmp_eq_u32 s38, 0
	s_sleep 1
	s_cbranch_scc0 .LBB2340_39
; %bb.40:                               ;   in Loop: Header=BB2340_38 Depth=1
	global_load_dwordx2 v[26:27], v[24:25], off sc1
	s_cmp_lt_u32 s37, 32
	s_cselect_b64 s[38:39], -1, 0
	s_cmp_lg_u64 s[38:39], 0
	s_addc_u32 s37, s37, 0
	s_waitcnt vmcnt(0)
	v_cmp_ne_u16_sdwa s[38:39], v27, v17 src0_sel:BYTE_0 src1_sel:DWORD
	s_or_b64 s[34:35], s[38:39], s[34:35]
	s_andn2_b64 exec, exec, s[34:35]
	s_cbranch_execnz .LBB2340_38
; %bb.41:
	s_or_b64 exec, exec, s[34:35]
.LBB2340_42:
	s_or_b64 exec, exec, s[26:27]
	v_and_b32_e32 v46, 63, v40
	v_mov_b32_e32 v45, 2
	v_cmp_ne_u32_e32 vcc, 63, v46
	v_cmp_eq_u16_sdwa s[26:27], v27, v45 src0_sel:BYTE_0 src1_sel:DWORD
	v_lshlrev_b64 v[24:25], v40, -1
	v_addc_co_u32_e32 v28, vcc, 0, v40, vcc
	v_and_b32_e32 v17, s27, v25
	v_lshlrev_b32_e32 v47, 2, v28
	v_or_b32_e32 v17, 0x80000000, v17
	ds_bpermute_b32 v28, v47, v26
	v_and_b32_e32 v23, s26, v24
	v_ffbl_b32_e32 v17, v17
	v_add_u32_e32 v17, 32, v17
	v_ffbl_b32_e32 v23, v23
	v_min_u32_e32 v17, v23, v17
	v_cmp_lt_u32_e32 vcc, v46, v17
	v_add_u32_e32 v49, 2, v46
	v_add_u32_e32 v51, 4, v46
	s_waitcnt lgkmcnt(0)
	v_cndmask_b32_e32 v23, 0, v28, vcc
	v_cmp_gt_u32_e32 vcc, 62, v46
	v_add_u32_e32 v23, v23, v26
	v_add_u32_e32 v53, 8, v46
	v_cndmask_b32_e64 v26, 0, 1, vcc
	v_lshlrev_b32_e32 v26, 1, v26
	v_add_lshl_u32 v48, v26, v40, 2
	ds_bpermute_b32 v26, v48, v23
	v_cmp_le_u32_e32 vcc, v49, v17
	v_add_u32_e32 v55, 16, v46
	v_add_u32_e32 v57, 32, v46
	s_waitcnt lgkmcnt(0)
	v_cndmask_b32_e32 v26, 0, v26, vcc
	v_cmp_gt_u32_e32 vcc, 60, v46
	v_add_u32_e32 v23, v23, v26
	s_nop 0
	v_cndmask_b32_e64 v26, 0, 1, vcc
	v_lshlrev_b32_e32 v26, 2, v26
	v_add_lshl_u32 v50, v26, v40, 2
	ds_bpermute_b32 v26, v50, v23
	v_cmp_le_u32_e32 vcc, v51, v17
	s_waitcnt lgkmcnt(0)
	s_nop 0
	v_cndmask_b32_e32 v26, 0, v26, vcc
	v_cmp_gt_u32_e32 vcc, 56, v46
	v_add_u32_e32 v23, v23, v26
	s_nop 0
	v_cndmask_b32_e64 v26, 0, 1, vcc
	v_lshlrev_b32_e32 v26, 3, v26
	v_add_lshl_u32 v52, v26, v40, 2
	ds_bpermute_b32 v26, v52, v23
	v_cmp_le_u32_e32 vcc, v53, v17
	s_waitcnt lgkmcnt(0)
	s_nop 0
	;; [unrolled: 11-line block ×4, first 2 shown]
	v_cndmask_b32_e32 v17, 0, v26, vcc
	v_add_u32_e32 v26, v23, v17
	v_mov_b32_e32 v23, 0
	s_branch .LBB2340_44
.LBB2340_43:                            ;   in Loop: Header=BB2340_44 Depth=1
	s_or_b64 exec, exec, s[26:27]
	v_cmp_eq_u16_sdwa s[26:27], v27, v45 src0_sel:BYTE_0 src1_sel:DWORD
	ds_bpermute_b32 v58, v47, v26
	v_subrev_u32_e32 v22, 64, v22
	v_and_b32_e32 v28, s27, v25
	v_or_b32_e32 v28, 0x80000000, v28
	v_and_b32_e32 v29, s26, v24
	v_ffbl_b32_e32 v28, v28
	v_add_u32_e32 v28, 32, v28
	v_ffbl_b32_e32 v29, v29
	v_min_u32_e32 v28, v29, v28
	v_cmp_lt_u32_e32 vcc, v46, v28
	s_waitcnt lgkmcnt(0)
	s_nop 0
	v_cndmask_b32_e32 v29, 0, v58, vcc
	v_add_u32_e32 v26, v29, v26
	ds_bpermute_b32 v29, v48, v26
	v_cmp_le_u32_e32 vcc, v49, v28
	s_waitcnt lgkmcnt(0)
	s_nop 0
	v_cndmask_b32_e32 v29, 0, v29, vcc
	v_add_u32_e32 v26, v26, v29
	ds_bpermute_b32 v29, v50, v26
	v_cmp_le_u32_e32 vcc, v51, v28
	s_waitcnt lgkmcnt(0)
	s_nop 0
	v_cndmask_b32_e32 v29, 0, v29, vcc
	v_add_u32_e32 v26, v26, v29
	ds_bpermute_b32 v29, v52, v26
	v_cmp_le_u32_e32 vcc, v53, v28
	s_waitcnt lgkmcnt(0)
	s_nop 0
	v_cndmask_b32_e32 v29, 0, v29, vcc
	v_add_u32_e32 v26, v26, v29
	ds_bpermute_b32 v29, v54, v26
	v_cmp_le_u32_e32 vcc, v55, v28
	s_waitcnt lgkmcnt(0)
	s_nop 0
	v_cndmask_b32_e32 v29, 0, v29, vcc
	v_add_u32_e32 v26, v26, v29
	ds_bpermute_b32 v29, v56, v26
	v_cmp_le_u32_e32 vcc, v57, v28
	s_waitcnt lgkmcnt(0)
	s_nop 0
	v_cndmask_b32_e32 v28, 0, v29, vcc
	v_add3_u32 v26, v28, v17, v26
.LBB2340_44:                            ; =>This Loop Header: Depth=1
                                        ;     Child Loop BB2340_47 Depth 2
                                        ;       Child Loop BB2340_48 Depth 3
	v_cmp_ne_u16_sdwa s[26:27], v27, v45 src0_sel:BYTE_0 src1_sel:DWORD
	s_nop 1
	v_cndmask_b32_e64 v17, 0, 1, s[26:27]
	;;#ASMSTART
	;;#ASMEND
	s_nop 0
	v_cmp_ne_u32_e32 vcc, 0, v17
	s_cmp_lg_u64 vcc, exec
	v_mov_b32_e32 v17, v26
	s_cbranch_scc1 .LBB2340_51
; %bb.45:                               ;   in Loop: Header=BB2340_44 Depth=1
	v_lshl_add_u64 v[28:29], v[22:23], 3, s[30:31]
	global_load_dwordx2 v[26:27], v[28:29], off sc1
	s_waitcnt vmcnt(0)
	v_cmp_eq_u16_sdwa s[34:35], v27, v23 src0_sel:BYTE_0 src1_sel:DWORD
	s_and_saveexec_b64 s[26:27], s[34:35]
	s_cbranch_execz .LBB2340_43
; %bb.46:                               ;   in Loop: Header=BB2340_44 Depth=1
	s_mov_b32 s37, 1
	s_mov_b64 s[34:35], 0
.LBB2340_47:                            ;   Parent Loop BB2340_44 Depth=1
                                        ; =>  This Loop Header: Depth=2
                                        ;       Child Loop BB2340_48 Depth 3
	s_max_u32 s38, s37, 1
.LBB2340_48:                            ;   Parent Loop BB2340_44 Depth=1
                                        ;     Parent Loop BB2340_47 Depth=2
                                        ; =>    This Inner Loop Header: Depth=3
	s_add_i32 s38, s38, -1
	s_cmp_eq_u32 s38, 0
	s_sleep 1
	s_cbranch_scc0 .LBB2340_48
; %bb.49:                               ;   in Loop: Header=BB2340_47 Depth=2
	global_load_dwordx2 v[26:27], v[28:29], off sc1
	s_cmp_lt_u32 s37, 32
	s_cselect_b64 s[38:39], -1, 0
	s_cmp_lg_u64 s[38:39], 0
	s_addc_u32 s37, s37, 0
	s_waitcnt vmcnt(0)
	v_cmp_ne_u16_sdwa s[38:39], v27, v23 src0_sel:BYTE_0 src1_sel:DWORD
	s_or_b64 s[34:35], s[38:39], s[34:35]
	s_andn2_b64 exec, exec, s[34:35]
	s_cbranch_execnz .LBB2340_47
; %bb.50:                               ;   in Loop: Header=BB2340_44 Depth=1
	s_or_b64 exec, exec, s[34:35]
	s_branch .LBB2340_43
.LBB2340_51:                            ;   in Loop: Header=BB2340_44 Depth=1
                                        ; implicit-def: $vgpr26
                                        ; implicit-def: $vgpr27
	s_cbranch_execz .LBB2340_44
; %bb.52:
	s_and_saveexec_b64 s[26:27], s[18:19]
	s_cbranch_execz .LBB2340_54
; %bb.53:
	s_add_i32 s34, s36, 64
	s_mov_b32 s35, 0
	s_lshl_b64 s[34:35], s[34:35], 3
	s_add_u32 s34, s30, s34
	v_add_u32_e32 v22, v17, v16
	v_mov_b32_e32 v23, 2
	s_addc_u32 s35, s31, s35
	v_mov_b32_e32 v24, 0
	global_store_dwordx2 v24, v[22:23], s[34:35] sc1
	ds_write_b64 v24, v[16:17] offset:28672
.LBB2340_54:
	s_or_b64 exec, exec, s[26:27]
	s_and_b64 exec, exec, s[20:21]
	s_cbranch_execz .LBB2340_56
; %bb.55:
	v_mov_b32_e32 v16, 0
	ds_write_b32 v16, v17 offset:28
.LBB2340_56:
	s_or_b64 exec, exec, s[0:1]
	v_mov_b32_e32 v16, 0
	s_waitcnt lgkmcnt(0)
	s_barrier
	ds_read_b32 v17, v16 offset:28
	v_cndmask_b32_e64 v22, v44, v43, s[18:19]
	v_cndmask_b32_e64 v22, v22, 0, s[20:21]
	s_waitcnt lgkmcnt(0)
	s_barrier
	v_add_u32_e32 v29, v17, v22
	v_add_u32_e32 v28, v29, v35
	ds_read_b64 v[16:17], v16 offset:28672
	v_add_u32_e32 v27, v28, v36
	v_add_u32_e32 v26, v27, v37
	;; [unrolled: 1-line block ×5, first 2 shown]
	s_waitcnt lgkmcnt(0)
	v_mov_b32_e32 v22, v17
	s_branch .LBB2340_67
.LBB2340_57:
                                        ; implicit-def: $vgpr22
                                        ; implicit-def: $vgpr16
                                        ; implicit-def: $vgpr23
                                        ; implicit-def: $vgpr24
                                        ; implicit-def: $vgpr25
                                        ; implicit-def: $vgpr26
                                        ; implicit-def: $vgpr27
                                        ; implicit-def: $vgpr28
                                        ; implicit-def: $vgpr29
	s_cbranch_execz .LBB2340_67
; %bb.58:
	s_nop 0
	v_mov_b32_dpp v16, v42 row_shr:1 row_mask:0xf bank_mask:0xf
	v_cndmask_b32_e64 v16, v16, 0, s[16:17]
	v_add_u32_e32 v16, v16, v42
	s_nop 1
	v_mov_b32_dpp v17, v16 row_shr:2 row_mask:0xf bank_mask:0xf
	v_cndmask_b32_e64 v17, 0, v17, s[14:15]
	v_add_u32_e32 v16, v16, v17
	;; [unrolled: 4-line block ×4, first 2 shown]
	s_nop 1
	v_mov_b32_dpp v17, v16 row_bcast:15 row_mask:0xf bank_mask:0xf
	v_cndmask_b32_e64 v17, v17, 0, s[8:9]
	v_add_u32_e32 v16, v16, v17
	s_nop 1
	v_mov_b32_dpp v17, v16 row_bcast:31 row_mask:0xf bank_mask:0xf
	v_cndmask_b32_e64 v17, 0, v17, s[4:5]
	v_add_u32_e32 v16, v16, v17
	s_and_saveexec_b64 s[0:1], s[6:7]
	s_cbranch_execz .LBB2340_60
; %bb.59:
	v_lshlrev_b32_e32 v17, 2, v41
	ds_write_b32 v17, v16
.LBB2340_60:
	s_or_b64 exec, exec, s[0:1]
	v_cmp_gt_u32_e32 vcc, 8, v0
	s_waitcnt lgkmcnt(0)
	s_barrier
	s_and_saveexec_b64 s[0:1], vcc
	s_cbranch_execz .LBB2340_62
; %bb.61:
	s_movk_i32 s4, 0xffcc
	v_mad_i32_i24 v17, v0, s4, v34
	ds_read_b32 v22, v17
	v_and_b32_e32 v23, 7, v40
	v_cmp_ne_u32_e32 vcc, 0, v23
	s_waitcnt lgkmcnt(0)
	v_mov_b32_dpp v24, v22 row_shr:1 row_mask:0xf bank_mask:0xf
	v_cndmask_b32_e32 v24, 0, v24, vcc
	v_add_u32_e32 v22, v24, v22
	v_cmp_lt_u32_e32 vcc, 1, v23
	s_nop 0
	v_mov_b32_dpp v24, v22 row_shr:2 row_mask:0xf bank_mask:0xf
	v_cndmask_b32_e32 v24, 0, v24, vcc
	v_add_u32_e32 v22, v22, v24
	v_cmp_lt_u32_e32 vcc, 3, v23
	s_nop 0
	v_mov_b32_dpp v24, v22 row_shr:4 row_mask:0xf bank_mask:0xf
	v_cndmask_b32_e32 v23, 0, v24, vcc
	v_add_u32_e32 v22, v22, v23
	ds_write_b32 v17, v22
.LBB2340_62:
	s_or_b64 exec, exec, s[0:1]
	v_cmp_lt_u32_e32 vcc, 63, v0
	v_mov_b32_e32 v17, 0
	v_mov_b32_e32 v22, 0
	s_waitcnt lgkmcnt(0)
	s_barrier
	s_and_saveexec_b64 s[0:1], vcc
	s_cbranch_execz .LBB2340_64
; %bb.63:
	v_lshl_add_u32 v22, v41, 2, -4
	ds_read_b32 v22, v22
.LBB2340_64:
	s_or_b64 exec, exec, s[0:1]
	v_add_u32_e32 v23, -1, v40
	v_and_b32_e32 v24, 64, v40
	v_cmp_lt_i32_e32 vcc, v23, v24
	s_waitcnt lgkmcnt(0)
	v_add_u32_e32 v16, v22, v16
	v_cndmask_b32_e32 v23, v23, v40, vcc
	v_lshlrev_b32_e32 v23, 2, v23
	ds_bpermute_b32 v23, v23, v16
	ds_read_b32 v16, v17 offset:28
	s_and_saveexec_b64 s[0:1], s[20:21]
	s_cbranch_execz .LBB2340_66
; %bb.65:
	v_mov_b32_e32 v24, 0
	v_mov_b32_e32 v17, 2
	s_waitcnt lgkmcnt(0)
	global_store_dwordx2 v24, v[16:17], s[30:31] offset:512 sc1
.LBB2340_66:
	s_or_b64 exec, exec, s[0:1]
	v_cmp_eq_u32_e32 vcc, 0, v40
	s_waitcnt lgkmcnt(0)
	s_barrier
	v_cndmask_b32_e32 v17, v23, v22, vcc
	v_cndmask_b32_e64 v29, v17, 0, s[20:21]
	v_add_u32_e32 v28, v29, v35
	v_add_u32_e32 v27, v28, v36
	;; [unrolled: 1-line block ×5, first 2 shown]
	v_mov_b32_e32 v22, 0
	v_add_u32_e32 v23, v24, v39
.LBB2340_67:
	v_add_u32_e32 v1, v16, v1
	v_sub_u32_e32 v29, v29, v22
	v_and_b32_e32 v35, 1, v32
	v_sub_u32_e32 v34, v1, v29
	v_cmp_eq_u32_e32 vcc, 1, v35
	v_lshrrev_b32_e32 v17, 8, v32
	v_and_b32_e32 v17, 1, v17
	v_cndmask_b32_e32 v29, v34, v29, vcc
	v_lshlrev_b32_e32 v29, 3, v29
	ds_write_b64 v29, v[10:11]
	v_sub_u32_e32 v10, v28, v22
	v_sub_u32_e32 v11, v1, v10
	v_add_u32_e32 v11, 1, v11
	v_cmp_eq_u32_e32 vcc, 1, v17
	v_or_b32_e32 v29, 0x400, v0
	v_or_b32_e32 v28, 0x600, v0
	v_cndmask_b32_e32 v10, v11, v10, vcc
	v_lshlrev_b32_e32 v10, 3, v10
	ds_write_b64 v10, v[12:13]
	v_sub_u32_e32 v10, v27, v22
	v_mov_b32_e32 v12, 1
	v_sub_u32_e32 v11, v1, v10
	v_and_b32_sdwa v12, v12, v32 dst_sel:DWORD dst_unused:UNUSED_PAD src0_sel:DWORD src1_sel:WORD_1
	v_add_u32_e32 v11, 2, v11
	v_cmp_eq_u32_e32 vcc, 1, v12
	v_or_b32_e32 v17, 0xa00, v0
	s_nop 0
	v_cndmask_b32_e32 v10, v11, v10, vcc
	v_lshlrev_b32_e32 v10, 3, v10
	ds_write_b64 v10, v[6:7]
	v_sub_u32_e32 v6, v26, v22
	v_sub_u32_e32 v7, v1, v6
	v_and_b32_e32 v10, 1, v33
	v_add_u32_e32 v7, 3, v7
	v_cmp_eq_u32_e32 vcc, 1, v10
	s_waitcnt vmcnt(0)
	v_lshlrev_b64 v[26:27], 3, v[18:19]
	v_cndmask_b32_e32 v6, v7, v6, vcc
	v_lshlrev_b32_e32 v6, 3, v6
	ds_write_b64 v6, v[8:9]
	v_sub_u32_e32 v6, v25, v22
	v_sub_u32_e32 v7, v1, v6
	v_and_b32_e32 v8, 1, v31
	v_add_u32_e32 v7, 4, v7
	v_cmp_eq_u32_e32 vcc, 1, v8
	s_nop 1
	v_cndmask_b32_e32 v6, v7, v6, vcc
	v_lshlrev_b32_e32 v6, 3, v6
	ds_write_b64 v6, v[2:3]
	v_sub_u32_e32 v2, v24, v22
	v_sub_u32_e32 v3, v1, v2
	v_and_b32_e32 v6, 1, v30
	v_add_u32_e32 v3, 5, v3
	v_cmp_eq_u32_e32 vcc, 1, v6
	v_or_b32_e32 v30, 0x200, v0
	s_nop 0
	v_cndmask_b32_e32 v2, v3, v2, vcc
	v_lshlrev_b32_e32 v2, 3, v2
	ds_write_b64 v2, v[4:5]
	v_sub_u32_e32 v2, v23, v22
	v_sub_u32_e32 v1, v1, v2
	v_and_b32_e32 v3, 1, v21
	v_add_u32_e32 v1, 6, v1
	v_cmp_eq_u32_e32 vcc, 1, v3
	v_or_b32_e32 v21, 0x800, v0
	s_nop 0
	v_cndmask_b32_e32 v1, v1, v2, vcc
	v_lshlrev_b32_e32 v1, 3, v1
	ds_write_b64 v1, v[14:15]
	s_waitcnt lgkmcnt(0)
	s_barrier
	ds_read2st64_b64 v[10:13], v20 offset1:8
	ds_read2st64_b64 v[6:9], v20 offset0:16 offset1:24
	ds_read2st64_b64 v[2:5], v20 offset0:32 offset1:40
	ds_read_b64 v[14:15], v20 offset:24576
	v_or_b32_e32 v1, 0xc00, v0
	s_and_b64 vcc, exec, s[2:3]
	s_cbranch_vccnz .LBB2340_76
; %bb.68:
	v_mov_b32_e32 v23, 0
	v_lshl_add_u64 v[24:25], s[28:29], 0, v[26:27]
	v_lshlrev_b64 v[32:33], 3, v[22:23]
	v_lshl_add_u64 v[24:25], v[24:25], 0, v[32:33]
	v_cmp_lt_u32_e32 vcc, v0, v16
	s_and_saveexec_b64 s[0:1], vcc
	s_cbranch_execnz .LBB2340_90
; %bb.69:
	s_or_b64 exec, exec, s[0:1]
	v_cmp_lt_u32_e32 vcc, v30, v16
	s_and_saveexec_b64 s[0:1], vcc
	s_cbranch_execnz .LBB2340_91
.LBB2340_70:
	s_or_b64 exec, exec, s[0:1]
	v_cmp_lt_u32_e32 vcc, v29, v16
	s_and_saveexec_b64 s[0:1], vcc
	s_cbranch_execnz .LBB2340_92
.LBB2340_71:
	s_or_b64 exec, exec, s[0:1]
	v_cmp_lt_u32_e32 vcc, v28, v16
	s_and_saveexec_b64 s[0:1], vcc
	s_cbranch_execnz .LBB2340_93
.LBB2340_72:
	s_or_b64 exec, exec, s[0:1]
	v_cmp_lt_u32_e32 vcc, v21, v16
	s_and_saveexec_b64 s[0:1], vcc
	s_cbranch_execnz .LBB2340_94
.LBB2340_73:
	s_or_b64 exec, exec, s[0:1]
	v_cmp_lt_u32_e32 vcc, v17, v16
	s_and_saveexec_b64 s[0:1], vcc
	s_cbranch_execz .LBB2340_75
.LBB2340_74:
	v_lshlrev_b32_e32 v23, 3, v17
	v_readfirstlane_b32 s2, v24
	v_readfirstlane_b32 s3, v25
	s_waitcnt lgkmcnt(1)
	s_nop 3
	global_store_dwordx2 v23, v[4:5], s[2:3]
.LBB2340_75:
	s_or_b64 exec, exec, s[0:1]
	v_cmp_lt_u32_e64 s[0:1], v1, v16
	s_branch .LBB2340_85
.LBB2340_76:
	s_mov_b64 s[0:1], 0
                                        ; implicit-def: $vgpr24_vgpr25
	s_cbranch_execz .LBB2340_85
; %bb.77:
	v_mov_b32_e32 v23, 0
	v_min_u32_e32 v31, s33, v16
	v_lshl_add_u64 v[24:25], s[28:29], 0, v[26:27]
	v_lshlrev_b64 v[26:27], 3, v[22:23]
	v_lshl_add_u64 v[24:25], v[24:25], 0, v[26:27]
	v_cmp_gt_u32_e32 vcc, v31, v0
	s_and_saveexec_b64 s[0:1], vcc
	s_cbranch_execnz .LBB2340_95
; %bb.78:
	s_or_b64 exec, exec, s[0:1]
	v_cmp_lt_u32_e32 vcc, v30, v31
	s_and_saveexec_b64 s[0:1], vcc
	s_cbranch_execnz .LBB2340_96
.LBB2340_79:
	s_or_b64 exec, exec, s[0:1]
	v_cmp_lt_u32_e32 vcc, v29, v31
	s_and_saveexec_b64 s[0:1], vcc
	s_cbranch_execnz .LBB2340_97
.LBB2340_80:
	s_or_b64 exec, exec, s[0:1]
	v_cmp_lt_u32_e32 vcc, v28, v31
	s_and_saveexec_b64 s[0:1], vcc
	s_cbranch_execnz .LBB2340_98
.LBB2340_81:
	s_or_b64 exec, exec, s[0:1]
	v_cmp_lt_u32_e32 vcc, v21, v31
	s_and_saveexec_b64 s[0:1], vcc
	s_cbranch_execnz .LBB2340_99
.LBB2340_82:
	s_or_b64 exec, exec, s[0:1]
	v_cmp_lt_u32_e32 vcc, v17, v31
	s_and_saveexec_b64 s[0:1], vcc
	s_cbranch_execz .LBB2340_84
.LBB2340_83:
	v_lshlrev_b32_e32 v0, 3, v17
	v_readfirstlane_b32 s2, v24
	v_readfirstlane_b32 s3, v25
	s_waitcnt lgkmcnt(1)
	s_nop 3
	global_store_dwordx2 v0, v[4:5], s[2:3]
.LBB2340_84:
	s_or_b64 exec, exec, s[0:1]
	v_cmp_lt_u32_e64 s[0:1], v1, v31
.LBB2340_85:
	s_and_saveexec_b64 s[2:3], s[0:1]
	s_cbranch_execnz .LBB2340_88
; %bb.86:
	s_or_b64 exec, exec, s[2:3]
	s_and_b64 s[0:1], s[20:21], s[22:23]
	s_and_saveexec_b64 s[2:3], s[0:1]
	s_cbranch_execnz .LBB2340_89
.LBB2340_87:
	s_endpgm
.LBB2340_88:
	v_lshlrev_b32_e32 v0, 3, v1
	v_readfirstlane_b32 s0, v24
	v_readfirstlane_b32 s1, v25
	s_waitcnt lgkmcnt(0)
	s_nop 3
	global_store_dwordx2 v0, v[14:15], s[0:1]
	s_or_b64 exec, exec, s[2:3]
	s_and_b64 s[0:1], s[20:21], s[22:23]
	s_and_saveexec_b64 s[2:3], s[0:1]
	s_cbranch_execz .LBB2340_87
.LBB2340_89:
	v_mov_b32_e32 v17, 0
	v_lshl_add_u64 v[0:1], v[18:19], 0, v[16:17]
	v_mov_b32_e32 v23, v17
	v_lshl_add_u64 v[0:1], v[0:1], 0, v[22:23]
	global_store_dwordx2 v17, v[0:1], s[24:25]
	s_endpgm
.LBB2340_90:
	v_readfirstlane_b32 s2, v24
	v_readfirstlane_b32 s3, v25
	s_waitcnt lgkmcnt(3)
	s_nop 3
	global_store_dwordx2 v20, v[10:11], s[2:3]
	s_or_b64 exec, exec, s[0:1]
	v_cmp_lt_u32_e32 vcc, v30, v16
	s_and_saveexec_b64 s[0:1], vcc
	s_cbranch_execz .LBB2340_70
.LBB2340_91:
	v_lshlrev_b32_e32 v23, 3, v30
	v_readfirstlane_b32 s2, v24
	v_readfirstlane_b32 s3, v25
	s_waitcnt lgkmcnt(3)
	s_nop 3
	global_store_dwordx2 v23, v[12:13], s[2:3]
	s_or_b64 exec, exec, s[0:1]
	v_cmp_lt_u32_e32 vcc, v29, v16
	s_and_saveexec_b64 s[0:1], vcc
	s_cbranch_execz .LBB2340_71
.LBB2340_92:
	v_lshlrev_b32_e32 v23, 3, v29
	v_readfirstlane_b32 s2, v24
	v_readfirstlane_b32 s3, v25
	s_waitcnt lgkmcnt(2)
	s_nop 3
	global_store_dwordx2 v23, v[6:7], s[2:3]
	s_or_b64 exec, exec, s[0:1]
	v_cmp_lt_u32_e32 vcc, v28, v16
	s_and_saveexec_b64 s[0:1], vcc
	s_cbranch_execz .LBB2340_72
.LBB2340_93:
	v_lshlrev_b32_e32 v23, 3, v28
	v_readfirstlane_b32 s2, v24
	v_readfirstlane_b32 s3, v25
	s_waitcnt lgkmcnt(2)
	s_nop 3
	global_store_dwordx2 v23, v[8:9], s[2:3]
	s_or_b64 exec, exec, s[0:1]
	v_cmp_lt_u32_e32 vcc, v21, v16
	s_and_saveexec_b64 s[0:1], vcc
	s_cbranch_execz .LBB2340_73
.LBB2340_94:
	v_lshlrev_b32_e32 v23, 3, v21
	v_readfirstlane_b32 s2, v24
	v_readfirstlane_b32 s3, v25
	s_waitcnt lgkmcnt(1)
	s_nop 3
	global_store_dwordx2 v23, v[2:3], s[2:3]
	s_or_b64 exec, exec, s[0:1]
	v_cmp_lt_u32_e32 vcc, v17, v16
	s_and_saveexec_b64 s[0:1], vcc
	s_cbranch_execnz .LBB2340_74
	s_branch .LBB2340_75
.LBB2340_95:
	v_readfirstlane_b32 s2, v24
	v_readfirstlane_b32 s3, v25
	s_waitcnt lgkmcnt(3)
	s_nop 3
	global_store_dwordx2 v20, v[10:11], s[2:3]
	s_or_b64 exec, exec, s[0:1]
	v_cmp_lt_u32_e32 vcc, v30, v31
	s_and_saveexec_b64 s[0:1], vcc
	s_cbranch_execz .LBB2340_79
.LBB2340_96:
	v_lshlrev_b32_e32 v0, 3, v30
	v_readfirstlane_b32 s2, v24
	v_readfirstlane_b32 s3, v25
	s_waitcnt lgkmcnt(3)
	s_nop 3
	global_store_dwordx2 v0, v[12:13], s[2:3]
	s_or_b64 exec, exec, s[0:1]
	v_cmp_lt_u32_e32 vcc, v29, v31
	s_and_saveexec_b64 s[0:1], vcc
	s_cbranch_execz .LBB2340_80
.LBB2340_97:
	v_lshlrev_b32_e32 v0, 3, v29
	v_readfirstlane_b32 s2, v24
	v_readfirstlane_b32 s3, v25
	s_waitcnt lgkmcnt(2)
	s_nop 3
	global_store_dwordx2 v0, v[6:7], s[2:3]
	s_or_b64 exec, exec, s[0:1]
	v_cmp_lt_u32_e32 vcc, v28, v31
	s_and_saveexec_b64 s[0:1], vcc
	s_cbranch_execz .LBB2340_81
.LBB2340_98:
	v_lshlrev_b32_e32 v0, 3, v28
	v_readfirstlane_b32 s2, v24
	v_readfirstlane_b32 s3, v25
	s_waitcnt lgkmcnt(2)
	s_nop 3
	global_store_dwordx2 v0, v[8:9], s[2:3]
	s_or_b64 exec, exec, s[0:1]
	v_cmp_lt_u32_e32 vcc, v21, v31
	s_and_saveexec_b64 s[0:1], vcc
	s_cbranch_execz .LBB2340_82
.LBB2340_99:
	v_lshlrev_b32_e32 v0, 3, v21
	v_readfirstlane_b32 s2, v24
	v_readfirstlane_b32 s3, v25
	s_waitcnt lgkmcnt(1)
	s_nop 3
	global_store_dwordx2 v0, v[2:3], s[2:3]
	s_or_b64 exec, exec, s[0:1]
	v_cmp_lt_u32_e32 vcc, v17, v31
	s_and_saveexec_b64 s[0:1], vcc
	s_cbranch_execnz .LBB2340_83
	s_branch .LBB2340_84
	.section	.rodata,"a",@progbits
	.p2align	6, 0x0
	.amdhsa_kernel _ZN7rocprim17ROCPRIM_400000_NS6detail17trampoline_kernelINS0_14default_configENS1_25partition_config_selectorILNS1_17partition_subalgoE0EyNS0_10empty_typeEbEEZZNS1_14partition_implILS5_0ELb0ES3_jN6thrust23THRUST_200600_302600_NS6detail15normal_iteratorINSA_10device_ptrIyEEEEPS6_SG_NS0_5tupleIJSF_NSA_16discard_iteratorINSA_11use_defaultEEEEEENSH_IJSG_SG_EEES6_PlJ7is_evenIyEEEE10hipError_tPvRmT3_T4_T5_T6_T7_T9_mT8_P12ihipStream_tbDpT10_ENKUlT_T0_E_clISt17integral_constantIbLb1EES19_EEDaS14_S15_EUlS14_E_NS1_11comp_targetILNS1_3genE5ELNS1_11target_archE942ELNS1_3gpuE9ELNS1_3repE0EEENS1_30default_config_static_selectorELNS0_4arch9wavefront6targetE1EEEvT1_
		.amdhsa_group_segment_fixed_size 28680
		.amdhsa_private_segment_fixed_size 0
		.amdhsa_kernarg_size 144
		.amdhsa_user_sgpr_count 2
		.amdhsa_user_sgpr_dispatch_ptr 0
		.amdhsa_user_sgpr_queue_ptr 0
		.amdhsa_user_sgpr_kernarg_segment_ptr 1
		.amdhsa_user_sgpr_dispatch_id 0
		.amdhsa_user_sgpr_kernarg_preload_length 0
		.amdhsa_user_sgpr_kernarg_preload_offset 0
		.amdhsa_user_sgpr_private_segment_size 0
		.amdhsa_uses_dynamic_stack 0
		.amdhsa_enable_private_segment 0
		.amdhsa_system_sgpr_workgroup_id_x 1
		.amdhsa_system_sgpr_workgroup_id_y 0
		.amdhsa_system_sgpr_workgroup_id_z 0
		.amdhsa_system_sgpr_workgroup_info 0
		.amdhsa_system_vgpr_workitem_id 0
		.amdhsa_next_free_vgpr 59
		.amdhsa_next_free_sgpr 40
		.amdhsa_accum_offset 60
		.amdhsa_reserve_vcc 1
		.amdhsa_float_round_mode_32 0
		.amdhsa_float_round_mode_16_64 0
		.amdhsa_float_denorm_mode_32 3
		.amdhsa_float_denorm_mode_16_64 3
		.amdhsa_dx10_clamp 1
		.amdhsa_ieee_mode 1
		.amdhsa_fp16_overflow 0
		.amdhsa_tg_split 0
		.amdhsa_exception_fp_ieee_invalid_op 0
		.amdhsa_exception_fp_denorm_src 0
		.amdhsa_exception_fp_ieee_div_zero 0
		.amdhsa_exception_fp_ieee_overflow 0
		.amdhsa_exception_fp_ieee_underflow 0
		.amdhsa_exception_fp_ieee_inexact 0
		.amdhsa_exception_int_div_zero 0
	.end_amdhsa_kernel
	.section	.text._ZN7rocprim17ROCPRIM_400000_NS6detail17trampoline_kernelINS0_14default_configENS1_25partition_config_selectorILNS1_17partition_subalgoE0EyNS0_10empty_typeEbEEZZNS1_14partition_implILS5_0ELb0ES3_jN6thrust23THRUST_200600_302600_NS6detail15normal_iteratorINSA_10device_ptrIyEEEEPS6_SG_NS0_5tupleIJSF_NSA_16discard_iteratorINSA_11use_defaultEEEEEENSH_IJSG_SG_EEES6_PlJ7is_evenIyEEEE10hipError_tPvRmT3_T4_T5_T6_T7_T9_mT8_P12ihipStream_tbDpT10_ENKUlT_T0_E_clISt17integral_constantIbLb1EES19_EEDaS14_S15_EUlS14_E_NS1_11comp_targetILNS1_3genE5ELNS1_11target_archE942ELNS1_3gpuE9ELNS1_3repE0EEENS1_30default_config_static_selectorELNS0_4arch9wavefront6targetE1EEEvT1_,"axG",@progbits,_ZN7rocprim17ROCPRIM_400000_NS6detail17trampoline_kernelINS0_14default_configENS1_25partition_config_selectorILNS1_17partition_subalgoE0EyNS0_10empty_typeEbEEZZNS1_14partition_implILS5_0ELb0ES3_jN6thrust23THRUST_200600_302600_NS6detail15normal_iteratorINSA_10device_ptrIyEEEEPS6_SG_NS0_5tupleIJSF_NSA_16discard_iteratorINSA_11use_defaultEEEEEENSH_IJSG_SG_EEES6_PlJ7is_evenIyEEEE10hipError_tPvRmT3_T4_T5_T6_T7_T9_mT8_P12ihipStream_tbDpT10_ENKUlT_T0_E_clISt17integral_constantIbLb1EES19_EEDaS14_S15_EUlS14_E_NS1_11comp_targetILNS1_3genE5ELNS1_11target_archE942ELNS1_3gpuE9ELNS1_3repE0EEENS1_30default_config_static_selectorELNS0_4arch9wavefront6targetE1EEEvT1_,comdat
.Lfunc_end2340:
	.size	_ZN7rocprim17ROCPRIM_400000_NS6detail17trampoline_kernelINS0_14default_configENS1_25partition_config_selectorILNS1_17partition_subalgoE0EyNS0_10empty_typeEbEEZZNS1_14partition_implILS5_0ELb0ES3_jN6thrust23THRUST_200600_302600_NS6detail15normal_iteratorINSA_10device_ptrIyEEEEPS6_SG_NS0_5tupleIJSF_NSA_16discard_iteratorINSA_11use_defaultEEEEEENSH_IJSG_SG_EEES6_PlJ7is_evenIyEEEE10hipError_tPvRmT3_T4_T5_T6_T7_T9_mT8_P12ihipStream_tbDpT10_ENKUlT_T0_E_clISt17integral_constantIbLb1EES19_EEDaS14_S15_EUlS14_E_NS1_11comp_targetILNS1_3genE5ELNS1_11target_archE942ELNS1_3gpuE9ELNS1_3repE0EEENS1_30default_config_static_selectorELNS0_4arch9wavefront6targetE1EEEvT1_, .Lfunc_end2340-_ZN7rocprim17ROCPRIM_400000_NS6detail17trampoline_kernelINS0_14default_configENS1_25partition_config_selectorILNS1_17partition_subalgoE0EyNS0_10empty_typeEbEEZZNS1_14partition_implILS5_0ELb0ES3_jN6thrust23THRUST_200600_302600_NS6detail15normal_iteratorINSA_10device_ptrIyEEEEPS6_SG_NS0_5tupleIJSF_NSA_16discard_iteratorINSA_11use_defaultEEEEEENSH_IJSG_SG_EEES6_PlJ7is_evenIyEEEE10hipError_tPvRmT3_T4_T5_T6_T7_T9_mT8_P12ihipStream_tbDpT10_ENKUlT_T0_E_clISt17integral_constantIbLb1EES19_EEDaS14_S15_EUlS14_E_NS1_11comp_targetILNS1_3genE5ELNS1_11target_archE942ELNS1_3gpuE9ELNS1_3repE0EEENS1_30default_config_static_selectorELNS0_4arch9wavefront6targetE1EEEvT1_
                                        ; -- End function
	.section	.AMDGPU.csdata,"",@progbits
; Kernel info:
; codeLenInByte = 4736
; NumSgprs: 46
; NumVgprs: 59
; NumAgprs: 0
; TotalNumVgprs: 59
; ScratchSize: 0
; MemoryBound: 0
; FloatMode: 240
; IeeeMode: 1
; LDSByteSize: 28680 bytes/workgroup (compile time only)
; SGPRBlocks: 5
; VGPRBlocks: 7
; NumSGPRsForWavesPerEU: 46
; NumVGPRsForWavesPerEU: 59
; AccumOffset: 60
; Occupancy: 4
; WaveLimiterHint : 1
; COMPUTE_PGM_RSRC2:SCRATCH_EN: 0
; COMPUTE_PGM_RSRC2:USER_SGPR: 2
; COMPUTE_PGM_RSRC2:TRAP_HANDLER: 0
; COMPUTE_PGM_RSRC2:TGID_X_EN: 1
; COMPUTE_PGM_RSRC2:TGID_Y_EN: 0
; COMPUTE_PGM_RSRC2:TGID_Z_EN: 0
; COMPUTE_PGM_RSRC2:TIDIG_COMP_CNT: 0
; COMPUTE_PGM_RSRC3_GFX90A:ACCUM_OFFSET: 14
; COMPUTE_PGM_RSRC3_GFX90A:TG_SPLIT: 0
	.section	.text._ZN7rocprim17ROCPRIM_400000_NS6detail17trampoline_kernelINS0_14default_configENS1_25partition_config_selectorILNS1_17partition_subalgoE0EyNS0_10empty_typeEbEEZZNS1_14partition_implILS5_0ELb0ES3_jN6thrust23THRUST_200600_302600_NS6detail15normal_iteratorINSA_10device_ptrIyEEEEPS6_SG_NS0_5tupleIJSF_NSA_16discard_iteratorINSA_11use_defaultEEEEEENSH_IJSG_SG_EEES6_PlJ7is_evenIyEEEE10hipError_tPvRmT3_T4_T5_T6_T7_T9_mT8_P12ihipStream_tbDpT10_ENKUlT_T0_E_clISt17integral_constantIbLb1EES19_EEDaS14_S15_EUlS14_E_NS1_11comp_targetILNS1_3genE4ELNS1_11target_archE910ELNS1_3gpuE8ELNS1_3repE0EEENS1_30default_config_static_selectorELNS0_4arch9wavefront6targetE1EEEvT1_,"axG",@progbits,_ZN7rocprim17ROCPRIM_400000_NS6detail17trampoline_kernelINS0_14default_configENS1_25partition_config_selectorILNS1_17partition_subalgoE0EyNS0_10empty_typeEbEEZZNS1_14partition_implILS5_0ELb0ES3_jN6thrust23THRUST_200600_302600_NS6detail15normal_iteratorINSA_10device_ptrIyEEEEPS6_SG_NS0_5tupleIJSF_NSA_16discard_iteratorINSA_11use_defaultEEEEEENSH_IJSG_SG_EEES6_PlJ7is_evenIyEEEE10hipError_tPvRmT3_T4_T5_T6_T7_T9_mT8_P12ihipStream_tbDpT10_ENKUlT_T0_E_clISt17integral_constantIbLb1EES19_EEDaS14_S15_EUlS14_E_NS1_11comp_targetILNS1_3genE4ELNS1_11target_archE910ELNS1_3gpuE8ELNS1_3repE0EEENS1_30default_config_static_selectorELNS0_4arch9wavefront6targetE1EEEvT1_,comdat
	.protected	_ZN7rocprim17ROCPRIM_400000_NS6detail17trampoline_kernelINS0_14default_configENS1_25partition_config_selectorILNS1_17partition_subalgoE0EyNS0_10empty_typeEbEEZZNS1_14partition_implILS5_0ELb0ES3_jN6thrust23THRUST_200600_302600_NS6detail15normal_iteratorINSA_10device_ptrIyEEEEPS6_SG_NS0_5tupleIJSF_NSA_16discard_iteratorINSA_11use_defaultEEEEEENSH_IJSG_SG_EEES6_PlJ7is_evenIyEEEE10hipError_tPvRmT3_T4_T5_T6_T7_T9_mT8_P12ihipStream_tbDpT10_ENKUlT_T0_E_clISt17integral_constantIbLb1EES19_EEDaS14_S15_EUlS14_E_NS1_11comp_targetILNS1_3genE4ELNS1_11target_archE910ELNS1_3gpuE8ELNS1_3repE0EEENS1_30default_config_static_selectorELNS0_4arch9wavefront6targetE1EEEvT1_ ; -- Begin function _ZN7rocprim17ROCPRIM_400000_NS6detail17trampoline_kernelINS0_14default_configENS1_25partition_config_selectorILNS1_17partition_subalgoE0EyNS0_10empty_typeEbEEZZNS1_14partition_implILS5_0ELb0ES3_jN6thrust23THRUST_200600_302600_NS6detail15normal_iteratorINSA_10device_ptrIyEEEEPS6_SG_NS0_5tupleIJSF_NSA_16discard_iteratorINSA_11use_defaultEEEEEENSH_IJSG_SG_EEES6_PlJ7is_evenIyEEEE10hipError_tPvRmT3_T4_T5_T6_T7_T9_mT8_P12ihipStream_tbDpT10_ENKUlT_T0_E_clISt17integral_constantIbLb1EES19_EEDaS14_S15_EUlS14_E_NS1_11comp_targetILNS1_3genE4ELNS1_11target_archE910ELNS1_3gpuE8ELNS1_3repE0EEENS1_30default_config_static_selectorELNS0_4arch9wavefront6targetE1EEEvT1_
	.globl	_ZN7rocprim17ROCPRIM_400000_NS6detail17trampoline_kernelINS0_14default_configENS1_25partition_config_selectorILNS1_17partition_subalgoE0EyNS0_10empty_typeEbEEZZNS1_14partition_implILS5_0ELb0ES3_jN6thrust23THRUST_200600_302600_NS6detail15normal_iteratorINSA_10device_ptrIyEEEEPS6_SG_NS0_5tupleIJSF_NSA_16discard_iteratorINSA_11use_defaultEEEEEENSH_IJSG_SG_EEES6_PlJ7is_evenIyEEEE10hipError_tPvRmT3_T4_T5_T6_T7_T9_mT8_P12ihipStream_tbDpT10_ENKUlT_T0_E_clISt17integral_constantIbLb1EES19_EEDaS14_S15_EUlS14_E_NS1_11comp_targetILNS1_3genE4ELNS1_11target_archE910ELNS1_3gpuE8ELNS1_3repE0EEENS1_30default_config_static_selectorELNS0_4arch9wavefront6targetE1EEEvT1_
	.p2align	8
	.type	_ZN7rocprim17ROCPRIM_400000_NS6detail17trampoline_kernelINS0_14default_configENS1_25partition_config_selectorILNS1_17partition_subalgoE0EyNS0_10empty_typeEbEEZZNS1_14partition_implILS5_0ELb0ES3_jN6thrust23THRUST_200600_302600_NS6detail15normal_iteratorINSA_10device_ptrIyEEEEPS6_SG_NS0_5tupleIJSF_NSA_16discard_iteratorINSA_11use_defaultEEEEEENSH_IJSG_SG_EEES6_PlJ7is_evenIyEEEE10hipError_tPvRmT3_T4_T5_T6_T7_T9_mT8_P12ihipStream_tbDpT10_ENKUlT_T0_E_clISt17integral_constantIbLb1EES19_EEDaS14_S15_EUlS14_E_NS1_11comp_targetILNS1_3genE4ELNS1_11target_archE910ELNS1_3gpuE8ELNS1_3repE0EEENS1_30default_config_static_selectorELNS0_4arch9wavefront6targetE1EEEvT1_,@function
_ZN7rocprim17ROCPRIM_400000_NS6detail17trampoline_kernelINS0_14default_configENS1_25partition_config_selectorILNS1_17partition_subalgoE0EyNS0_10empty_typeEbEEZZNS1_14partition_implILS5_0ELb0ES3_jN6thrust23THRUST_200600_302600_NS6detail15normal_iteratorINSA_10device_ptrIyEEEEPS6_SG_NS0_5tupleIJSF_NSA_16discard_iteratorINSA_11use_defaultEEEEEENSH_IJSG_SG_EEES6_PlJ7is_evenIyEEEE10hipError_tPvRmT3_T4_T5_T6_T7_T9_mT8_P12ihipStream_tbDpT10_ENKUlT_T0_E_clISt17integral_constantIbLb1EES19_EEDaS14_S15_EUlS14_E_NS1_11comp_targetILNS1_3genE4ELNS1_11target_archE910ELNS1_3gpuE8ELNS1_3repE0EEENS1_30default_config_static_selectorELNS0_4arch9wavefront6targetE1EEEvT1_: ; @_ZN7rocprim17ROCPRIM_400000_NS6detail17trampoline_kernelINS0_14default_configENS1_25partition_config_selectorILNS1_17partition_subalgoE0EyNS0_10empty_typeEbEEZZNS1_14partition_implILS5_0ELb0ES3_jN6thrust23THRUST_200600_302600_NS6detail15normal_iteratorINSA_10device_ptrIyEEEEPS6_SG_NS0_5tupleIJSF_NSA_16discard_iteratorINSA_11use_defaultEEEEEENSH_IJSG_SG_EEES6_PlJ7is_evenIyEEEE10hipError_tPvRmT3_T4_T5_T6_T7_T9_mT8_P12ihipStream_tbDpT10_ENKUlT_T0_E_clISt17integral_constantIbLb1EES19_EEDaS14_S15_EUlS14_E_NS1_11comp_targetILNS1_3genE4ELNS1_11target_archE910ELNS1_3gpuE8ELNS1_3repE0EEENS1_30default_config_static_selectorELNS0_4arch9wavefront6targetE1EEEvT1_
; %bb.0:
	.section	.rodata,"a",@progbits
	.p2align	6, 0x0
	.amdhsa_kernel _ZN7rocprim17ROCPRIM_400000_NS6detail17trampoline_kernelINS0_14default_configENS1_25partition_config_selectorILNS1_17partition_subalgoE0EyNS0_10empty_typeEbEEZZNS1_14partition_implILS5_0ELb0ES3_jN6thrust23THRUST_200600_302600_NS6detail15normal_iteratorINSA_10device_ptrIyEEEEPS6_SG_NS0_5tupleIJSF_NSA_16discard_iteratorINSA_11use_defaultEEEEEENSH_IJSG_SG_EEES6_PlJ7is_evenIyEEEE10hipError_tPvRmT3_T4_T5_T6_T7_T9_mT8_P12ihipStream_tbDpT10_ENKUlT_T0_E_clISt17integral_constantIbLb1EES19_EEDaS14_S15_EUlS14_E_NS1_11comp_targetILNS1_3genE4ELNS1_11target_archE910ELNS1_3gpuE8ELNS1_3repE0EEENS1_30default_config_static_selectorELNS0_4arch9wavefront6targetE1EEEvT1_
		.amdhsa_group_segment_fixed_size 0
		.amdhsa_private_segment_fixed_size 0
		.amdhsa_kernarg_size 144
		.amdhsa_user_sgpr_count 2
		.amdhsa_user_sgpr_dispatch_ptr 0
		.amdhsa_user_sgpr_queue_ptr 0
		.amdhsa_user_sgpr_kernarg_segment_ptr 1
		.amdhsa_user_sgpr_dispatch_id 0
		.amdhsa_user_sgpr_kernarg_preload_length 0
		.amdhsa_user_sgpr_kernarg_preload_offset 0
		.amdhsa_user_sgpr_private_segment_size 0
		.amdhsa_uses_dynamic_stack 0
		.amdhsa_enable_private_segment 0
		.amdhsa_system_sgpr_workgroup_id_x 1
		.amdhsa_system_sgpr_workgroup_id_y 0
		.amdhsa_system_sgpr_workgroup_id_z 0
		.amdhsa_system_sgpr_workgroup_info 0
		.amdhsa_system_vgpr_workitem_id 0
		.amdhsa_next_free_vgpr 1
		.amdhsa_next_free_sgpr 0
		.amdhsa_accum_offset 4
		.amdhsa_reserve_vcc 0
		.amdhsa_float_round_mode_32 0
		.amdhsa_float_round_mode_16_64 0
		.amdhsa_float_denorm_mode_32 3
		.amdhsa_float_denorm_mode_16_64 3
		.amdhsa_dx10_clamp 1
		.amdhsa_ieee_mode 1
		.amdhsa_fp16_overflow 0
		.amdhsa_tg_split 0
		.amdhsa_exception_fp_ieee_invalid_op 0
		.amdhsa_exception_fp_denorm_src 0
		.amdhsa_exception_fp_ieee_div_zero 0
		.amdhsa_exception_fp_ieee_overflow 0
		.amdhsa_exception_fp_ieee_underflow 0
		.amdhsa_exception_fp_ieee_inexact 0
		.amdhsa_exception_int_div_zero 0
	.end_amdhsa_kernel
	.section	.text._ZN7rocprim17ROCPRIM_400000_NS6detail17trampoline_kernelINS0_14default_configENS1_25partition_config_selectorILNS1_17partition_subalgoE0EyNS0_10empty_typeEbEEZZNS1_14partition_implILS5_0ELb0ES3_jN6thrust23THRUST_200600_302600_NS6detail15normal_iteratorINSA_10device_ptrIyEEEEPS6_SG_NS0_5tupleIJSF_NSA_16discard_iteratorINSA_11use_defaultEEEEEENSH_IJSG_SG_EEES6_PlJ7is_evenIyEEEE10hipError_tPvRmT3_T4_T5_T6_T7_T9_mT8_P12ihipStream_tbDpT10_ENKUlT_T0_E_clISt17integral_constantIbLb1EES19_EEDaS14_S15_EUlS14_E_NS1_11comp_targetILNS1_3genE4ELNS1_11target_archE910ELNS1_3gpuE8ELNS1_3repE0EEENS1_30default_config_static_selectorELNS0_4arch9wavefront6targetE1EEEvT1_,"axG",@progbits,_ZN7rocprim17ROCPRIM_400000_NS6detail17trampoline_kernelINS0_14default_configENS1_25partition_config_selectorILNS1_17partition_subalgoE0EyNS0_10empty_typeEbEEZZNS1_14partition_implILS5_0ELb0ES3_jN6thrust23THRUST_200600_302600_NS6detail15normal_iteratorINSA_10device_ptrIyEEEEPS6_SG_NS0_5tupleIJSF_NSA_16discard_iteratorINSA_11use_defaultEEEEEENSH_IJSG_SG_EEES6_PlJ7is_evenIyEEEE10hipError_tPvRmT3_T4_T5_T6_T7_T9_mT8_P12ihipStream_tbDpT10_ENKUlT_T0_E_clISt17integral_constantIbLb1EES19_EEDaS14_S15_EUlS14_E_NS1_11comp_targetILNS1_3genE4ELNS1_11target_archE910ELNS1_3gpuE8ELNS1_3repE0EEENS1_30default_config_static_selectorELNS0_4arch9wavefront6targetE1EEEvT1_,comdat
.Lfunc_end2341:
	.size	_ZN7rocprim17ROCPRIM_400000_NS6detail17trampoline_kernelINS0_14default_configENS1_25partition_config_selectorILNS1_17partition_subalgoE0EyNS0_10empty_typeEbEEZZNS1_14partition_implILS5_0ELb0ES3_jN6thrust23THRUST_200600_302600_NS6detail15normal_iteratorINSA_10device_ptrIyEEEEPS6_SG_NS0_5tupleIJSF_NSA_16discard_iteratorINSA_11use_defaultEEEEEENSH_IJSG_SG_EEES6_PlJ7is_evenIyEEEE10hipError_tPvRmT3_T4_T5_T6_T7_T9_mT8_P12ihipStream_tbDpT10_ENKUlT_T0_E_clISt17integral_constantIbLb1EES19_EEDaS14_S15_EUlS14_E_NS1_11comp_targetILNS1_3genE4ELNS1_11target_archE910ELNS1_3gpuE8ELNS1_3repE0EEENS1_30default_config_static_selectorELNS0_4arch9wavefront6targetE1EEEvT1_, .Lfunc_end2341-_ZN7rocprim17ROCPRIM_400000_NS6detail17trampoline_kernelINS0_14default_configENS1_25partition_config_selectorILNS1_17partition_subalgoE0EyNS0_10empty_typeEbEEZZNS1_14partition_implILS5_0ELb0ES3_jN6thrust23THRUST_200600_302600_NS6detail15normal_iteratorINSA_10device_ptrIyEEEEPS6_SG_NS0_5tupleIJSF_NSA_16discard_iteratorINSA_11use_defaultEEEEEENSH_IJSG_SG_EEES6_PlJ7is_evenIyEEEE10hipError_tPvRmT3_T4_T5_T6_T7_T9_mT8_P12ihipStream_tbDpT10_ENKUlT_T0_E_clISt17integral_constantIbLb1EES19_EEDaS14_S15_EUlS14_E_NS1_11comp_targetILNS1_3genE4ELNS1_11target_archE910ELNS1_3gpuE8ELNS1_3repE0EEENS1_30default_config_static_selectorELNS0_4arch9wavefront6targetE1EEEvT1_
                                        ; -- End function
	.section	.AMDGPU.csdata,"",@progbits
; Kernel info:
; codeLenInByte = 0
; NumSgprs: 6
; NumVgprs: 0
; NumAgprs: 0
; TotalNumVgprs: 0
; ScratchSize: 0
; MemoryBound: 0
; FloatMode: 240
; IeeeMode: 1
; LDSByteSize: 0 bytes/workgroup (compile time only)
; SGPRBlocks: 0
; VGPRBlocks: 0
; NumSGPRsForWavesPerEU: 6
; NumVGPRsForWavesPerEU: 1
; AccumOffset: 4
; Occupancy: 8
; WaveLimiterHint : 0
; COMPUTE_PGM_RSRC2:SCRATCH_EN: 0
; COMPUTE_PGM_RSRC2:USER_SGPR: 2
; COMPUTE_PGM_RSRC2:TRAP_HANDLER: 0
; COMPUTE_PGM_RSRC2:TGID_X_EN: 1
; COMPUTE_PGM_RSRC2:TGID_Y_EN: 0
; COMPUTE_PGM_RSRC2:TGID_Z_EN: 0
; COMPUTE_PGM_RSRC2:TIDIG_COMP_CNT: 0
; COMPUTE_PGM_RSRC3_GFX90A:ACCUM_OFFSET: 0
; COMPUTE_PGM_RSRC3_GFX90A:TG_SPLIT: 0
	.section	.text._ZN7rocprim17ROCPRIM_400000_NS6detail17trampoline_kernelINS0_14default_configENS1_25partition_config_selectorILNS1_17partition_subalgoE0EyNS0_10empty_typeEbEEZZNS1_14partition_implILS5_0ELb0ES3_jN6thrust23THRUST_200600_302600_NS6detail15normal_iteratorINSA_10device_ptrIyEEEEPS6_SG_NS0_5tupleIJSF_NSA_16discard_iteratorINSA_11use_defaultEEEEEENSH_IJSG_SG_EEES6_PlJ7is_evenIyEEEE10hipError_tPvRmT3_T4_T5_T6_T7_T9_mT8_P12ihipStream_tbDpT10_ENKUlT_T0_E_clISt17integral_constantIbLb1EES19_EEDaS14_S15_EUlS14_E_NS1_11comp_targetILNS1_3genE3ELNS1_11target_archE908ELNS1_3gpuE7ELNS1_3repE0EEENS1_30default_config_static_selectorELNS0_4arch9wavefront6targetE1EEEvT1_,"axG",@progbits,_ZN7rocprim17ROCPRIM_400000_NS6detail17trampoline_kernelINS0_14default_configENS1_25partition_config_selectorILNS1_17partition_subalgoE0EyNS0_10empty_typeEbEEZZNS1_14partition_implILS5_0ELb0ES3_jN6thrust23THRUST_200600_302600_NS6detail15normal_iteratorINSA_10device_ptrIyEEEEPS6_SG_NS0_5tupleIJSF_NSA_16discard_iteratorINSA_11use_defaultEEEEEENSH_IJSG_SG_EEES6_PlJ7is_evenIyEEEE10hipError_tPvRmT3_T4_T5_T6_T7_T9_mT8_P12ihipStream_tbDpT10_ENKUlT_T0_E_clISt17integral_constantIbLb1EES19_EEDaS14_S15_EUlS14_E_NS1_11comp_targetILNS1_3genE3ELNS1_11target_archE908ELNS1_3gpuE7ELNS1_3repE0EEENS1_30default_config_static_selectorELNS0_4arch9wavefront6targetE1EEEvT1_,comdat
	.protected	_ZN7rocprim17ROCPRIM_400000_NS6detail17trampoline_kernelINS0_14default_configENS1_25partition_config_selectorILNS1_17partition_subalgoE0EyNS0_10empty_typeEbEEZZNS1_14partition_implILS5_0ELb0ES3_jN6thrust23THRUST_200600_302600_NS6detail15normal_iteratorINSA_10device_ptrIyEEEEPS6_SG_NS0_5tupleIJSF_NSA_16discard_iteratorINSA_11use_defaultEEEEEENSH_IJSG_SG_EEES6_PlJ7is_evenIyEEEE10hipError_tPvRmT3_T4_T5_T6_T7_T9_mT8_P12ihipStream_tbDpT10_ENKUlT_T0_E_clISt17integral_constantIbLb1EES19_EEDaS14_S15_EUlS14_E_NS1_11comp_targetILNS1_3genE3ELNS1_11target_archE908ELNS1_3gpuE7ELNS1_3repE0EEENS1_30default_config_static_selectorELNS0_4arch9wavefront6targetE1EEEvT1_ ; -- Begin function _ZN7rocprim17ROCPRIM_400000_NS6detail17trampoline_kernelINS0_14default_configENS1_25partition_config_selectorILNS1_17partition_subalgoE0EyNS0_10empty_typeEbEEZZNS1_14partition_implILS5_0ELb0ES3_jN6thrust23THRUST_200600_302600_NS6detail15normal_iteratorINSA_10device_ptrIyEEEEPS6_SG_NS0_5tupleIJSF_NSA_16discard_iteratorINSA_11use_defaultEEEEEENSH_IJSG_SG_EEES6_PlJ7is_evenIyEEEE10hipError_tPvRmT3_T4_T5_T6_T7_T9_mT8_P12ihipStream_tbDpT10_ENKUlT_T0_E_clISt17integral_constantIbLb1EES19_EEDaS14_S15_EUlS14_E_NS1_11comp_targetILNS1_3genE3ELNS1_11target_archE908ELNS1_3gpuE7ELNS1_3repE0EEENS1_30default_config_static_selectorELNS0_4arch9wavefront6targetE1EEEvT1_
	.globl	_ZN7rocprim17ROCPRIM_400000_NS6detail17trampoline_kernelINS0_14default_configENS1_25partition_config_selectorILNS1_17partition_subalgoE0EyNS0_10empty_typeEbEEZZNS1_14partition_implILS5_0ELb0ES3_jN6thrust23THRUST_200600_302600_NS6detail15normal_iteratorINSA_10device_ptrIyEEEEPS6_SG_NS0_5tupleIJSF_NSA_16discard_iteratorINSA_11use_defaultEEEEEENSH_IJSG_SG_EEES6_PlJ7is_evenIyEEEE10hipError_tPvRmT3_T4_T5_T6_T7_T9_mT8_P12ihipStream_tbDpT10_ENKUlT_T0_E_clISt17integral_constantIbLb1EES19_EEDaS14_S15_EUlS14_E_NS1_11comp_targetILNS1_3genE3ELNS1_11target_archE908ELNS1_3gpuE7ELNS1_3repE0EEENS1_30default_config_static_selectorELNS0_4arch9wavefront6targetE1EEEvT1_
	.p2align	8
	.type	_ZN7rocprim17ROCPRIM_400000_NS6detail17trampoline_kernelINS0_14default_configENS1_25partition_config_selectorILNS1_17partition_subalgoE0EyNS0_10empty_typeEbEEZZNS1_14partition_implILS5_0ELb0ES3_jN6thrust23THRUST_200600_302600_NS6detail15normal_iteratorINSA_10device_ptrIyEEEEPS6_SG_NS0_5tupleIJSF_NSA_16discard_iteratorINSA_11use_defaultEEEEEENSH_IJSG_SG_EEES6_PlJ7is_evenIyEEEE10hipError_tPvRmT3_T4_T5_T6_T7_T9_mT8_P12ihipStream_tbDpT10_ENKUlT_T0_E_clISt17integral_constantIbLb1EES19_EEDaS14_S15_EUlS14_E_NS1_11comp_targetILNS1_3genE3ELNS1_11target_archE908ELNS1_3gpuE7ELNS1_3repE0EEENS1_30default_config_static_selectorELNS0_4arch9wavefront6targetE1EEEvT1_,@function
_ZN7rocprim17ROCPRIM_400000_NS6detail17trampoline_kernelINS0_14default_configENS1_25partition_config_selectorILNS1_17partition_subalgoE0EyNS0_10empty_typeEbEEZZNS1_14partition_implILS5_0ELb0ES3_jN6thrust23THRUST_200600_302600_NS6detail15normal_iteratorINSA_10device_ptrIyEEEEPS6_SG_NS0_5tupleIJSF_NSA_16discard_iteratorINSA_11use_defaultEEEEEENSH_IJSG_SG_EEES6_PlJ7is_evenIyEEEE10hipError_tPvRmT3_T4_T5_T6_T7_T9_mT8_P12ihipStream_tbDpT10_ENKUlT_T0_E_clISt17integral_constantIbLb1EES19_EEDaS14_S15_EUlS14_E_NS1_11comp_targetILNS1_3genE3ELNS1_11target_archE908ELNS1_3gpuE7ELNS1_3repE0EEENS1_30default_config_static_selectorELNS0_4arch9wavefront6targetE1EEEvT1_: ; @_ZN7rocprim17ROCPRIM_400000_NS6detail17trampoline_kernelINS0_14default_configENS1_25partition_config_selectorILNS1_17partition_subalgoE0EyNS0_10empty_typeEbEEZZNS1_14partition_implILS5_0ELb0ES3_jN6thrust23THRUST_200600_302600_NS6detail15normal_iteratorINSA_10device_ptrIyEEEEPS6_SG_NS0_5tupleIJSF_NSA_16discard_iteratorINSA_11use_defaultEEEEEENSH_IJSG_SG_EEES6_PlJ7is_evenIyEEEE10hipError_tPvRmT3_T4_T5_T6_T7_T9_mT8_P12ihipStream_tbDpT10_ENKUlT_T0_E_clISt17integral_constantIbLb1EES19_EEDaS14_S15_EUlS14_E_NS1_11comp_targetILNS1_3genE3ELNS1_11target_archE908ELNS1_3gpuE7ELNS1_3repE0EEENS1_30default_config_static_selectorELNS0_4arch9wavefront6targetE1EEEvT1_
; %bb.0:
	.section	.rodata,"a",@progbits
	.p2align	6, 0x0
	.amdhsa_kernel _ZN7rocprim17ROCPRIM_400000_NS6detail17trampoline_kernelINS0_14default_configENS1_25partition_config_selectorILNS1_17partition_subalgoE0EyNS0_10empty_typeEbEEZZNS1_14partition_implILS5_0ELb0ES3_jN6thrust23THRUST_200600_302600_NS6detail15normal_iteratorINSA_10device_ptrIyEEEEPS6_SG_NS0_5tupleIJSF_NSA_16discard_iteratorINSA_11use_defaultEEEEEENSH_IJSG_SG_EEES6_PlJ7is_evenIyEEEE10hipError_tPvRmT3_T4_T5_T6_T7_T9_mT8_P12ihipStream_tbDpT10_ENKUlT_T0_E_clISt17integral_constantIbLb1EES19_EEDaS14_S15_EUlS14_E_NS1_11comp_targetILNS1_3genE3ELNS1_11target_archE908ELNS1_3gpuE7ELNS1_3repE0EEENS1_30default_config_static_selectorELNS0_4arch9wavefront6targetE1EEEvT1_
		.amdhsa_group_segment_fixed_size 0
		.amdhsa_private_segment_fixed_size 0
		.amdhsa_kernarg_size 144
		.amdhsa_user_sgpr_count 2
		.amdhsa_user_sgpr_dispatch_ptr 0
		.amdhsa_user_sgpr_queue_ptr 0
		.amdhsa_user_sgpr_kernarg_segment_ptr 1
		.amdhsa_user_sgpr_dispatch_id 0
		.amdhsa_user_sgpr_kernarg_preload_length 0
		.amdhsa_user_sgpr_kernarg_preload_offset 0
		.amdhsa_user_sgpr_private_segment_size 0
		.amdhsa_uses_dynamic_stack 0
		.amdhsa_enable_private_segment 0
		.amdhsa_system_sgpr_workgroup_id_x 1
		.amdhsa_system_sgpr_workgroup_id_y 0
		.amdhsa_system_sgpr_workgroup_id_z 0
		.amdhsa_system_sgpr_workgroup_info 0
		.amdhsa_system_vgpr_workitem_id 0
		.amdhsa_next_free_vgpr 1
		.amdhsa_next_free_sgpr 0
		.amdhsa_accum_offset 4
		.amdhsa_reserve_vcc 0
		.amdhsa_float_round_mode_32 0
		.amdhsa_float_round_mode_16_64 0
		.amdhsa_float_denorm_mode_32 3
		.amdhsa_float_denorm_mode_16_64 3
		.amdhsa_dx10_clamp 1
		.amdhsa_ieee_mode 1
		.amdhsa_fp16_overflow 0
		.amdhsa_tg_split 0
		.amdhsa_exception_fp_ieee_invalid_op 0
		.amdhsa_exception_fp_denorm_src 0
		.amdhsa_exception_fp_ieee_div_zero 0
		.amdhsa_exception_fp_ieee_overflow 0
		.amdhsa_exception_fp_ieee_underflow 0
		.amdhsa_exception_fp_ieee_inexact 0
		.amdhsa_exception_int_div_zero 0
	.end_amdhsa_kernel
	.section	.text._ZN7rocprim17ROCPRIM_400000_NS6detail17trampoline_kernelINS0_14default_configENS1_25partition_config_selectorILNS1_17partition_subalgoE0EyNS0_10empty_typeEbEEZZNS1_14partition_implILS5_0ELb0ES3_jN6thrust23THRUST_200600_302600_NS6detail15normal_iteratorINSA_10device_ptrIyEEEEPS6_SG_NS0_5tupleIJSF_NSA_16discard_iteratorINSA_11use_defaultEEEEEENSH_IJSG_SG_EEES6_PlJ7is_evenIyEEEE10hipError_tPvRmT3_T4_T5_T6_T7_T9_mT8_P12ihipStream_tbDpT10_ENKUlT_T0_E_clISt17integral_constantIbLb1EES19_EEDaS14_S15_EUlS14_E_NS1_11comp_targetILNS1_3genE3ELNS1_11target_archE908ELNS1_3gpuE7ELNS1_3repE0EEENS1_30default_config_static_selectorELNS0_4arch9wavefront6targetE1EEEvT1_,"axG",@progbits,_ZN7rocprim17ROCPRIM_400000_NS6detail17trampoline_kernelINS0_14default_configENS1_25partition_config_selectorILNS1_17partition_subalgoE0EyNS0_10empty_typeEbEEZZNS1_14partition_implILS5_0ELb0ES3_jN6thrust23THRUST_200600_302600_NS6detail15normal_iteratorINSA_10device_ptrIyEEEEPS6_SG_NS0_5tupleIJSF_NSA_16discard_iteratorINSA_11use_defaultEEEEEENSH_IJSG_SG_EEES6_PlJ7is_evenIyEEEE10hipError_tPvRmT3_T4_T5_T6_T7_T9_mT8_P12ihipStream_tbDpT10_ENKUlT_T0_E_clISt17integral_constantIbLb1EES19_EEDaS14_S15_EUlS14_E_NS1_11comp_targetILNS1_3genE3ELNS1_11target_archE908ELNS1_3gpuE7ELNS1_3repE0EEENS1_30default_config_static_selectorELNS0_4arch9wavefront6targetE1EEEvT1_,comdat
.Lfunc_end2342:
	.size	_ZN7rocprim17ROCPRIM_400000_NS6detail17trampoline_kernelINS0_14default_configENS1_25partition_config_selectorILNS1_17partition_subalgoE0EyNS0_10empty_typeEbEEZZNS1_14partition_implILS5_0ELb0ES3_jN6thrust23THRUST_200600_302600_NS6detail15normal_iteratorINSA_10device_ptrIyEEEEPS6_SG_NS0_5tupleIJSF_NSA_16discard_iteratorINSA_11use_defaultEEEEEENSH_IJSG_SG_EEES6_PlJ7is_evenIyEEEE10hipError_tPvRmT3_T4_T5_T6_T7_T9_mT8_P12ihipStream_tbDpT10_ENKUlT_T0_E_clISt17integral_constantIbLb1EES19_EEDaS14_S15_EUlS14_E_NS1_11comp_targetILNS1_3genE3ELNS1_11target_archE908ELNS1_3gpuE7ELNS1_3repE0EEENS1_30default_config_static_selectorELNS0_4arch9wavefront6targetE1EEEvT1_, .Lfunc_end2342-_ZN7rocprim17ROCPRIM_400000_NS6detail17trampoline_kernelINS0_14default_configENS1_25partition_config_selectorILNS1_17partition_subalgoE0EyNS0_10empty_typeEbEEZZNS1_14partition_implILS5_0ELb0ES3_jN6thrust23THRUST_200600_302600_NS6detail15normal_iteratorINSA_10device_ptrIyEEEEPS6_SG_NS0_5tupleIJSF_NSA_16discard_iteratorINSA_11use_defaultEEEEEENSH_IJSG_SG_EEES6_PlJ7is_evenIyEEEE10hipError_tPvRmT3_T4_T5_T6_T7_T9_mT8_P12ihipStream_tbDpT10_ENKUlT_T0_E_clISt17integral_constantIbLb1EES19_EEDaS14_S15_EUlS14_E_NS1_11comp_targetILNS1_3genE3ELNS1_11target_archE908ELNS1_3gpuE7ELNS1_3repE0EEENS1_30default_config_static_selectorELNS0_4arch9wavefront6targetE1EEEvT1_
                                        ; -- End function
	.section	.AMDGPU.csdata,"",@progbits
; Kernel info:
; codeLenInByte = 0
; NumSgprs: 6
; NumVgprs: 0
; NumAgprs: 0
; TotalNumVgprs: 0
; ScratchSize: 0
; MemoryBound: 0
; FloatMode: 240
; IeeeMode: 1
; LDSByteSize: 0 bytes/workgroup (compile time only)
; SGPRBlocks: 0
; VGPRBlocks: 0
; NumSGPRsForWavesPerEU: 6
; NumVGPRsForWavesPerEU: 1
; AccumOffset: 4
; Occupancy: 8
; WaveLimiterHint : 0
; COMPUTE_PGM_RSRC2:SCRATCH_EN: 0
; COMPUTE_PGM_RSRC2:USER_SGPR: 2
; COMPUTE_PGM_RSRC2:TRAP_HANDLER: 0
; COMPUTE_PGM_RSRC2:TGID_X_EN: 1
; COMPUTE_PGM_RSRC2:TGID_Y_EN: 0
; COMPUTE_PGM_RSRC2:TGID_Z_EN: 0
; COMPUTE_PGM_RSRC2:TIDIG_COMP_CNT: 0
; COMPUTE_PGM_RSRC3_GFX90A:ACCUM_OFFSET: 0
; COMPUTE_PGM_RSRC3_GFX90A:TG_SPLIT: 0
	.section	.text._ZN7rocprim17ROCPRIM_400000_NS6detail17trampoline_kernelINS0_14default_configENS1_25partition_config_selectorILNS1_17partition_subalgoE0EyNS0_10empty_typeEbEEZZNS1_14partition_implILS5_0ELb0ES3_jN6thrust23THRUST_200600_302600_NS6detail15normal_iteratorINSA_10device_ptrIyEEEEPS6_SG_NS0_5tupleIJSF_NSA_16discard_iteratorINSA_11use_defaultEEEEEENSH_IJSG_SG_EEES6_PlJ7is_evenIyEEEE10hipError_tPvRmT3_T4_T5_T6_T7_T9_mT8_P12ihipStream_tbDpT10_ENKUlT_T0_E_clISt17integral_constantIbLb1EES19_EEDaS14_S15_EUlS14_E_NS1_11comp_targetILNS1_3genE2ELNS1_11target_archE906ELNS1_3gpuE6ELNS1_3repE0EEENS1_30default_config_static_selectorELNS0_4arch9wavefront6targetE1EEEvT1_,"axG",@progbits,_ZN7rocprim17ROCPRIM_400000_NS6detail17trampoline_kernelINS0_14default_configENS1_25partition_config_selectorILNS1_17partition_subalgoE0EyNS0_10empty_typeEbEEZZNS1_14partition_implILS5_0ELb0ES3_jN6thrust23THRUST_200600_302600_NS6detail15normal_iteratorINSA_10device_ptrIyEEEEPS6_SG_NS0_5tupleIJSF_NSA_16discard_iteratorINSA_11use_defaultEEEEEENSH_IJSG_SG_EEES6_PlJ7is_evenIyEEEE10hipError_tPvRmT3_T4_T5_T6_T7_T9_mT8_P12ihipStream_tbDpT10_ENKUlT_T0_E_clISt17integral_constantIbLb1EES19_EEDaS14_S15_EUlS14_E_NS1_11comp_targetILNS1_3genE2ELNS1_11target_archE906ELNS1_3gpuE6ELNS1_3repE0EEENS1_30default_config_static_selectorELNS0_4arch9wavefront6targetE1EEEvT1_,comdat
	.protected	_ZN7rocprim17ROCPRIM_400000_NS6detail17trampoline_kernelINS0_14default_configENS1_25partition_config_selectorILNS1_17partition_subalgoE0EyNS0_10empty_typeEbEEZZNS1_14partition_implILS5_0ELb0ES3_jN6thrust23THRUST_200600_302600_NS6detail15normal_iteratorINSA_10device_ptrIyEEEEPS6_SG_NS0_5tupleIJSF_NSA_16discard_iteratorINSA_11use_defaultEEEEEENSH_IJSG_SG_EEES6_PlJ7is_evenIyEEEE10hipError_tPvRmT3_T4_T5_T6_T7_T9_mT8_P12ihipStream_tbDpT10_ENKUlT_T0_E_clISt17integral_constantIbLb1EES19_EEDaS14_S15_EUlS14_E_NS1_11comp_targetILNS1_3genE2ELNS1_11target_archE906ELNS1_3gpuE6ELNS1_3repE0EEENS1_30default_config_static_selectorELNS0_4arch9wavefront6targetE1EEEvT1_ ; -- Begin function _ZN7rocprim17ROCPRIM_400000_NS6detail17trampoline_kernelINS0_14default_configENS1_25partition_config_selectorILNS1_17partition_subalgoE0EyNS0_10empty_typeEbEEZZNS1_14partition_implILS5_0ELb0ES3_jN6thrust23THRUST_200600_302600_NS6detail15normal_iteratorINSA_10device_ptrIyEEEEPS6_SG_NS0_5tupleIJSF_NSA_16discard_iteratorINSA_11use_defaultEEEEEENSH_IJSG_SG_EEES6_PlJ7is_evenIyEEEE10hipError_tPvRmT3_T4_T5_T6_T7_T9_mT8_P12ihipStream_tbDpT10_ENKUlT_T0_E_clISt17integral_constantIbLb1EES19_EEDaS14_S15_EUlS14_E_NS1_11comp_targetILNS1_3genE2ELNS1_11target_archE906ELNS1_3gpuE6ELNS1_3repE0EEENS1_30default_config_static_selectorELNS0_4arch9wavefront6targetE1EEEvT1_
	.globl	_ZN7rocprim17ROCPRIM_400000_NS6detail17trampoline_kernelINS0_14default_configENS1_25partition_config_selectorILNS1_17partition_subalgoE0EyNS0_10empty_typeEbEEZZNS1_14partition_implILS5_0ELb0ES3_jN6thrust23THRUST_200600_302600_NS6detail15normal_iteratorINSA_10device_ptrIyEEEEPS6_SG_NS0_5tupleIJSF_NSA_16discard_iteratorINSA_11use_defaultEEEEEENSH_IJSG_SG_EEES6_PlJ7is_evenIyEEEE10hipError_tPvRmT3_T4_T5_T6_T7_T9_mT8_P12ihipStream_tbDpT10_ENKUlT_T0_E_clISt17integral_constantIbLb1EES19_EEDaS14_S15_EUlS14_E_NS1_11comp_targetILNS1_3genE2ELNS1_11target_archE906ELNS1_3gpuE6ELNS1_3repE0EEENS1_30default_config_static_selectorELNS0_4arch9wavefront6targetE1EEEvT1_
	.p2align	8
	.type	_ZN7rocprim17ROCPRIM_400000_NS6detail17trampoline_kernelINS0_14default_configENS1_25partition_config_selectorILNS1_17partition_subalgoE0EyNS0_10empty_typeEbEEZZNS1_14partition_implILS5_0ELb0ES3_jN6thrust23THRUST_200600_302600_NS6detail15normal_iteratorINSA_10device_ptrIyEEEEPS6_SG_NS0_5tupleIJSF_NSA_16discard_iteratorINSA_11use_defaultEEEEEENSH_IJSG_SG_EEES6_PlJ7is_evenIyEEEE10hipError_tPvRmT3_T4_T5_T6_T7_T9_mT8_P12ihipStream_tbDpT10_ENKUlT_T0_E_clISt17integral_constantIbLb1EES19_EEDaS14_S15_EUlS14_E_NS1_11comp_targetILNS1_3genE2ELNS1_11target_archE906ELNS1_3gpuE6ELNS1_3repE0EEENS1_30default_config_static_selectorELNS0_4arch9wavefront6targetE1EEEvT1_,@function
_ZN7rocprim17ROCPRIM_400000_NS6detail17trampoline_kernelINS0_14default_configENS1_25partition_config_selectorILNS1_17partition_subalgoE0EyNS0_10empty_typeEbEEZZNS1_14partition_implILS5_0ELb0ES3_jN6thrust23THRUST_200600_302600_NS6detail15normal_iteratorINSA_10device_ptrIyEEEEPS6_SG_NS0_5tupleIJSF_NSA_16discard_iteratorINSA_11use_defaultEEEEEENSH_IJSG_SG_EEES6_PlJ7is_evenIyEEEE10hipError_tPvRmT3_T4_T5_T6_T7_T9_mT8_P12ihipStream_tbDpT10_ENKUlT_T0_E_clISt17integral_constantIbLb1EES19_EEDaS14_S15_EUlS14_E_NS1_11comp_targetILNS1_3genE2ELNS1_11target_archE906ELNS1_3gpuE6ELNS1_3repE0EEENS1_30default_config_static_selectorELNS0_4arch9wavefront6targetE1EEEvT1_: ; @_ZN7rocprim17ROCPRIM_400000_NS6detail17trampoline_kernelINS0_14default_configENS1_25partition_config_selectorILNS1_17partition_subalgoE0EyNS0_10empty_typeEbEEZZNS1_14partition_implILS5_0ELb0ES3_jN6thrust23THRUST_200600_302600_NS6detail15normal_iteratorINSA_10device_ptrIyEEEEPS6_SG_NS0_5tupleIJSF_NSA_16discard_iteratorINSA_11use_defaultEEEEEENSH_IJSG_SG_EEES6_PlJ7is_evenIyEEEE10hipError_tPvRmT3_T4_T5_T6_T7_T9_mT8_P12ihipStream_tbDpT10_ENKUlT_T0_E_clISt17integral_constantIbLb1EES19_EEDaS14_S15_EUlS14_E_NS1_11comp_targetILNS1_3genE2ELNS1_11target_archE906ELNS1_3gpuE6ELNS1_3repE0EEENS1_30default_config_static_selectorELNS0_4arch9wavefront6targetE1EEEvT1_
; %bb.0:
	.section	.rodata,"a",@progbits
	.p2align	6, 0x0
	.amdhsa_kernel _ZN7rocprim17ROCPRIM_400000_NS6detail17trampoline_kernelINS0_14default_configENS1_25partition_config_selectorILNS1_17partition_subalgoE0EyNS0_10empty_typeEbEEZZNS1_14partition_implILS5_0ELb0ES3_jN6thrust23THRUST_200600_302600_NS6detail15normal_iteratorINSA_10device_ptrIyEEEEPS6_SG_NS0_5tupleIJSF_NSA_16discard_iteratorINSA_11use_defaultEEEEEENSH_IJSG_SG_EEES6_PlJ7is_evenIyEEEE10hipError_tPvRmT3_T4_T5_T6_T7_T9_mT8_P12ihipStream_tbDpT10_ENKUlT_T0_E_clISt17integral_constantIbLb1EES19_EEDaS14_S15_EUlS14_E_NS1_11comp_targetILNS1_3genE2ELNS1_11target_archE906ELNS1_3gpuE6ELNS1_3repE0EEENS1_30default_config_static_selectorELNS0_4arch9wavefront6targetE1EEEvT1_
		.amdhsa_group_segment_fixed_size 0
		.amdhsa_private_segment_fixed_size 0
		.amdhsa_kernarg_size 144
		.amdhsa_user_sgpr_count 2
		.amdhsa_user_sgpr_dispatch_ptr 0
		.amdhsa_user_sgpr_queue_ptr 0
		.amdhsa_user_sgpr_kernarg_segment_ptr 1
		.amdhsa_user_sgpr_dispatch_id 0
		.amdhsa_user_sgpr_kernarg_preload_length 0
		.amdhsa_user_sgpr_kernarg_preload_offset 0
		.amdhsa_user_sgpr_private_segment_size 0
		.amdhsa_uses_dynamic_stack 0
		.amdhsa_enable_private_segment 0
		.amdhsa_system_sgpr_workgroup_id_x 1
		.amdhsa_system_sgpr_workgroup_id_y 0
		.amdhsa_system_sgpr_workgroup_id_z 0
		.amdhsa_system_sgpr_workgroup_info 0
		.amdhsa_system_vgpr_workitem_id 0
		.amdhsa_next_free_vgpr 1
		.amdhsa_next_free_sgpr 0
		.amdhsa_accum_offset 4
		.amdhsa_reserve_vcc 0
		.amdhsa_float_round_mode_32 0
		.amdhsa_float_round_mode_16_64 0
		.amdhsa_float_denorm_mode_32 3
		.amdhsa_float_denorm_mode_16_64 3
		.amdhsa_dx10_clamp 1
		.amdhsa_ieee_mode 1
		.amdhsa_fp16_overflow 0
		.amdhsa_tg_split 0
		.amdhsa_exception_fp_ieee_invalid_op 0
		.amdhsa_exception_fp_denorm_src 0
		.amdhsa_exception_fp_ieee_div_zero 0
		.amdhsa_exception_fp_ieee_overflow 0
		.amdhsa_exception_fp_ieee_underflow 0
		.amdhsa_exception_fp_ieee_inexact 0
		.amdhsa_exception_int_div_zero 0
	.end_amdhsa_kernel
	.section	.text._ZN7rocprim17ROCPRIM_400000_NS6detail17trampoline_kernelINS0_14default_configENS1_25partition_config_selectorILNS1_17partition_subalgoE0EyNS0_10empty_typeEbEEZZNS1_14partition_implILS5_0ELb0ES3_jN6thrust23THRUST_200600_302600_NS6detail15normal_iteratorINSA_10device_ptrIyEEEEPS6_SG_NS0_5tupleIJSF_NSA_16discard_iteratorINSA_11use_defaultEEEEEENSH_IJSG_SG_EEES6_PlJ7is_evenIyEEEE10hipError_tPvRmT3_T4_T5_T6_T7_T9_mT8_P12ihipStream_tbDpT10_ENKUlT_T0_E_clISt17integral_constantIbLb1EES19_EEDaS14_S15_EUlS14_E_NS1_11comp_targetILNS1_3genE2ELNS1_11target_archE906ELNS1_3gpuE6ELNS1_3repE0EEENS1_30default_config_static_selectorELNS0_4arch9wavefront6targetE1EEEvT1_,"axG",@progbits,_ZN7rocprim17ROCPRIM_400000_NS6detail17trampoline_kernelINS0_14default_configENS1_25partition_config_selectorILNS1_17partition_subalgoE0EyNS0_10empty_typeEbEEZZNS1_14partition_implILS5_0ELb0ES3_jN6thrust23THRUST_200600_302600_NS6detail15normal_iteratorINSA_10device_ptrIyEEEEPS6_SG_NS0_5tupleIJSF_NSA_16discard_iteratorINSA_11use_defaultEEEEEENSH_IJSG_SG_EEES6_PlJ7is_evenIyEEEE10hipError_tPvRmT3_T4_T5_T6_T7_T9_mT8_P12ihipStream_tbDpT10_ENKUlT_T0_E_clISt17integral_constantIbLb1EES19_EEDaS14_S15_EUlS14_E_NS1_11comp_targetILNS1_3genE2ELNS1_11target_archE906ELNS1_3gpuE6ELNS1_3repE0EEENS1_30default_config_static_selectorELNS0_4arch9wavefront6targetE1EEEvT1_,comdat
.Lfunc_end2343:
	.size	_ZN7rocprim17ROCPRIM_400000_NS6detail17trampoline_kernelINS0_14default_configENS1_25partition_config_selectorILNS1_17partition_subalgoE0EyNS0_10empty_typeEbEEZZNS1_14partition_implILS5_0ELb0ES3_jN6thrust23THRUST_200600_302600_NS6detail15normal_iteratorINSA_10device_ptrIyEEEEPS6_SG_NS0_5tupleIJSF_NSA_16discard_iteratorINSA_11use_defaultEEEEEENSH_IJSG_SG_EEES6_PlJ7is_evenIyEEEE10hipError_tPvRmT3_T4_T5_T6_T7_T9_mT8_P12ihipStream_tbDpT10_ENKUlT_T0_E_clISt17integral_constantIbLb1EES19_EEDaS14_S15_EUlS14_E_NS1_11comp_targetILNS1_3genE2ELNS1_11target_archE906ELNS1_3gpuE6ELNS1_3repE0EEENS1_30default_config_static_selectorELNS0_4arch9wavefront6targetE1EEEvT1_, .Lfunc_end2343-_ZN7rocprim17ROCPRIM_400000_NS6detail17trampoline_kernelINS0_14default_configENS1_25partition_config_selectorILNS1_17partition_subalgoE0EyNS0_10empty_typeEbEEZZNS1_14partition_implILS5_0ELb0ES3_jN6thrust23THRUST_200600_302600_NS6detail15normal_iteratorINSA_10device_ptrIyEEEEPS6_SG_NS0_5tupleIJSF_NSA_16discard_iteratorINSA_11use_defaultEEEEEENSH_IJSG_SG_EEES6_PlJ7is_evenIyEEEE10hipError_tPvRmT3_T4_T5_T6_T7_T9_mT8_P12ihipStream_tbDpT10_ENKUlT_T0_E_clISt17integral_constantIbLb1EES19_EEDaS14_S15_EUlS14_E_NS1_11comp_targetILNS1_3genE2ELNS1_11target_archE906ELNS1_3gpuE6ELNS1_3repE0EEENS1_30default_config_static_selectorELNS0_4arch9wavefront6targetE1EEEvT1_
                                        ; -- End function
	.section	.AMDGPU.csdata,"",@progbits
; Kernel info:
; codeLenInByte = 0
; NumSgprs: 6
; NumVgprs: 0
; NumAgprs: 0
; TotalNumVgprs: 0
; ScratchSize: 0
; MemoryBound: 0
; FloatMode: 240
; IeeeMode: 1
; LDSByteSize: 0 bytes/workgroup (compile time only)
; SGPRBlocks: 0
; VGPRBlocks: 0
; NumSGPRsForWavesPerEU: 6
; NumVGPRsForWavesPerEU: 1
; AccumOffset: 4
; Occupancy: 8
; WaveLimiterHint : 0
; COMPUTE_PGM_RSRC2:SCRATCH_EN: 0
; COMPUTE_PGM_RSRC2:USER_SGPR: 2
; COMPUTE_PGM_RSRC2:TRAP_HANDLER: 0
; COMPUTE_PGM_RSRC2:TGID_X_EN: 1
; COMPUTE_PGM_RSRC2:TGID_Y_EN: 0
; COMPUTE_PGM_RSRC2:TGID_Z_EN: 0
; COMPUTE_PGM_RSRC2:TIDIG_COMP_CNT: 0
; COMPUTE_PGM_RSRC3_GFX90A:ACCUM_OFFSET: 0
; COMPUTE_PGM_RSRC3_GFX90A:TG_SPLIT: 0
	.section	.text._ZN7rocprim17ROCPRIM_400000_NS6detail17trampoline_kernelINS0_14default_configENS1_25partition_config_selectorILNS1_17partition_subalgoE0EyNS0_10empty_typeEbEEZZNS1_14partition_implILS5_0ELb0ES3_jN6thrust23THRUST_200600_302600_NS6detail15normal_iteratorINSA_10device_ptrIyEEEEPS6_SG_NS0_5tupleIJSF_NSA_16discard_iteratorINSA_11use_defaultEEEEEENSH_IJSG_SG_EEES6_PlJ7is_evenIyEEEE10hipError_tPvRmT3_T4_T5_T6_T7_T9_mT8_P12ihipStream_tbDpT10_ENKUlT_T0_E_clISt17integral_constantIbLb1EES19_EEDaS14_S15_EUlS14_E_NS1_11comp_targetILNS1_3genE10ELNS1_11target_archE1200ELNS1_3gpuE4ELNS1_3repE0EEENS1_30default_config_static_selectorELNS0_4arch9wavefront6targetE1EEEvT1_,"axG",@progbits,_ZN7rocprim17ROCPRIM_400000_NS6detail17trampoline_kernelINS0_14default_configENS1_25partition_config_selectorILNS1_17partition_subalgoE0EyNS0_10empty_typeEbEEZZNS1_14partition_implILS5_0ELb0ES3_jN6thrust23THRUST_200600_302600_NS6detail15normal_iteratorINSA_10device_ptrIyEEEEPS6_SG_NS0_5tupleIJSF_NSA_16discard_iteratorINSA_11use_defaultEEEEEENSH_IJSG_SG_EEES6_PlJ7is_evenIyEEEE10hipError_tPvRmT3_T4_T5_T6_T7_T9_mT8_P12ihipStream_tbDpT10_ENKUlT_T0_E_clISt17integral_constantIbLb1EES19_EEDaS14_S15_EUlS14_E_NS1_11comp_targetILNS1_3genE10ELNS1_11target_archE1200ELNS1_3gpuE4ELNS1_3repE0EEENS1_30default_config_static_selectorELNS0_4arch9wavefront6targetE1EEEvT1_,comdat
	.protected	_ZN7rocprim17ROCPRIM_400000_NS6detail17trampoline_kernelINS0_14default_configENS1_25partition_config_selectorILNS1_17partition_subalgoE0EyNS0_10empty_typeEbEEZZNS1_14partition_implILS5_0ELb0ES3_jN6thrust23THRUST_200600_302600_NS6detail15normal_iteratorINSA_10device_ptrIyEEEEPS6_SG_NS0_5tupleIJSF_NSA_16discard_iteratorINSA_11use_defaultEEEEEENSH_IJSG_SG_EEES6_PlJ7is_evenIyEEEE10hipError_tPvRmT3_T4_T5_T6_T7_T9_mT8_P12ihipStream_tbDpT10_ENKUlT_T0_E_clISt17integral_constantIbLb1EES19_EEDaS14_S15_EUlS14_E_NS1_11comp_targetILNS1_3genE10ELNS1_11target_archE1200ELNS1_3gpuE4ELNS1_3repE0EEENS1_30default_config_static_selectorELNS0_4arch9wavefront6targetE1EEEvT1_ ; -- Begin function _ZN7rocprim17ROCPRIM_400000_NS6detail17trampoline_kernelINS0_14default_configENS1_25partition_config_selectorILNS1_17partition_subalgoE0EyNS0_10empty_typeEbEEZZNS1_14partition_implILS5_0ELb0ES3_jN6thrust23THRUST_200600_302600_NS6detail15normal_iteratorINSA_10device_ptrIyEEEEPS6_SG_NS0_5tupleIJSF_NSA_16discard_iteratorINSA_11use_defaultEEEEEENSH_IJSG_SG_EEES6_PlJ7is_evenIyEEEE10hipError_tPvRmT3_T4_T5_T6_T7_T9_mT8_P12ihipStream_tbDpT10_ENKUlT_T0_E_clISt17integral_constantIbLb1EES19_EEDaS14_S15_EUlS14_E_NS1_11comp_targetILNS1_3genE10ELNS1_11target_archE1200ELNS1_3gpuE4ELNS1_3repE0EEENS1_30default_config_static_selectorELNS0_4arch9wavefront6targetE1EEEvT1_
	.globl	_ZN7rocprim17ROCPRIM_400000_NS6detail17trampoline_kernelINS0_14default_configENS1_25partition_config_selectorILNS1_17partition_subalgoE0EyNS0_10empty_typeEbEEZZNS1_14partition_implILS5_0ELb0ES3_jN6thrust23THRUST_200600_302600_NS6detail15normal_iteratorINSA_10device_ptrIyEEEEPS6_SG_NS0_5tupleIJSF_NSA_16discard_iteratorINSA_11use_defaultEEEEEENSH_IJSG_SG_EEES6_PlJ7is_evenIyEEEE10hipError_tPvRmT3_T4_T5_T6_T7_T9_mT8_P12ihipStream_tbDpT10_ENKUlT_T0_E_clISt17integral_constantIbLb1EES19_EEDaS14_S15_EUlS14_E_NS1_11comp_targetILNS1_3genE10ELNS1_11target_archE1200ELNS1_3gpuE4ELNS1_3repE0EEENS1_30default_config_static_selectorELNS0_4arch9wavefront6targetE1EEEvT1_
	.p2align	8
	.type	_ZN7rocprim17ROCPRIM_400000_NS6detail17trampoline_kernelINS0_14default_configENS1_25partition_config_selectorILNS1_17partition_subalgoE0EyNS0_10empty_typeEbEEZZNS1_14partition_implILS5_0ELb0ES3_jN6thrust23THRUST_200600_302600_NS6detail15normal_iteratorINSA_10device_ptrIyEEEEPS6_SG_NS0_5tupleIJSF_NSA_16discard_iteratorINSA_11use_defaultEEEEEENSH_IJSG_SG_EEES6_PlJ7is_evenIyEEEE10hipError_tPvRmT3_T4_T5_T6_T7_T9_mT8_P12ihipStream_tbDpT10_ENKUlT_T0_E_clISt17integral_constantIbLb1EES19_EEDaS14_S15_EUlS14_E_NS1_11comp_targetILNS1_3genE10ELNS1_11target_archE1200ELNS1_3gpuE4ELNS1_3repE0EEENS1_30default_config_static_selectorELNS0_4arch9wavefront6targetE1EEEvT1_,@function
_ZN7rocprim17ROCPRIM_400000_NS6detail17trampoline_kernelINS0_14default_configENS1_25partition_config_selectorILNS1_17partition_subalgoE0EyNS0_10empty_typeEbEEZZNS1_14partition_implILS5_0ELb0ES3_jN6thrust23THRUST_200600_302600_NS6detail15normal_iteratorINSA_10device_ptrIyEEEEPS6_SG_NS0_5tupleIJSF_NSA_16discard_iteratorINSA_11use_defaultEEEEEENSH_IJSG_SG_EEES6_PlJ7is_evenIyEEEE10hipError_tPvRmT3_T4_T5_T6_T7_T9_mT8_P12ihipStream_tbDpT10_ENKUlT_T0_E_clISt17integral_constantIbLb1EES19_EEDaS14_S15_EUlS14_E_NS1_11comp_targetILNS1_3genE10ELNS1_11target_archE1200ELNS1_3gpuE4ELNS1_3repE0EEENS1_30default_config_static_selectorELNS0_4arch9wavefront6targetE1EEEvT1_: ; @_ZN7rocprim17ROCPRIM_400000_NS6detail17trampoline_kernelINS0_14default_configENS1_25partition_config_selectorILNS1_17partition_subalgoE0EyNS0_10empty_typeEbEEZZNS1_14partition_implILS5_0ELb0ES3_jN6thrust23THRUST_200600_302600_NS6detail15normal_iteratorINSA_10device_ptrIyEEEEPS6_SG_NS0_5tupleIJSF_NSA_16discard_iteratorINSA_11use_defaultEEEEEENSH_IJSG_SG_EEES6_PlJ7is_evenIyEEEE10hipError_tPvRmT3_T4_T5_T6_T7_T9_mT8_P12ihipStream_tbDpT10_ENKUlT_T0_E_clISt17integral_constantIbLb1EES19_EEDaS14_S15_EUlS14_E_NS1_11comp_targetILNS1_3genE10ELNS1_11target_archE1200ELNS1_3gpuE4ELNS1_3repE0EEENS1_30default_config_static_selectorELNS0_4arch9wavefront6targetE1EEEvT1_
; %bb.0:
	.section	.rodata,"a",@progbits
	.p2align	6, 0x0
	.amdhsa_kernel _ZN7rocprim17ROCPRIM_400000_NS6detail17trampoline_kernelINS0_14default_configENS1_25partition_config_selectorILNS1_17partition_subalgoE0EyNS0_10empty_typeEbEEZZNS1_14partition_implILS5_0ELb0ES3_jN6thrust23THRUST_200600_302600_NS6detail15normal_iteratorINSA_10device_ptrIyEEEEPS6_SG_NS0_5tupleIJSF_NSA_16discard_iteratorINSA_11use_defaultEEEEEENSH_IJSG_SG_EEES6_PlJ7is_evenIyEEEE10hipError_tPvRmT3_T4_T5_T6_T7_T9_mT8_P12ihipStream_tbDpT10_ENKUlT_T0_E_clISt17integral_constantIbLb1EES19_EEDaS14_S15_EUlS14_E_NS1_11comp_targetILNS1_3genE10ELNS1_11target_archE1200ELNS1_3gpuE4ELNS1_3repE0EEENS1_30default_config_static_selectorELNS0_4arch9wavefront6targetE1EEEvT1_
		.amdhsa_group_segment_fixed_size 0
		.amdhsa_private_segment_fixed_size 0
		.amdhsa_kernarg_size 144
		.amdhsa_user_sgpr_count 2
		.amdhsa_user_sgpr_dispatch_ptr 0
		.amdhsa_user_sgpr_queue_ptr 0
		.amdhsa_user_sgpr_kernarg_segment_ptr 1
		.amdhsa_user_sgpr_dispatch_id 0
		.amdhsa_user_sgpr_kernarg_preload_length 0
		.amdhsa_user_sgpr_kernarg_preload_offset 0
		.amdhsa_user_sgpr_private_segment_size 0
		.amdhsa_uses_dynamic_stack 0
		.amdhsa_enable_private_segment 0
		.amdhsa_system_sgpr_workgroup_id_x 1
		.amdhsa_system_sgpr_workgroup_id_y 0
		.amdhsa_system_sgpr_workgroup_id_z 0
		.amdhsa_system_sgpr_workgroup_info 0
		.amdhsa_system_vgpr_workitem_id 0
		.amdhsa_next_free_vgpr 1
		.amdhsa_next_free_sgpr 0
		.amdhsa_accum_offset 4
		.amdhsa_reserve_vcc 0
		.amdhsa_float_round_mode_32 0
		.amdhsa_float_round_mode_16_64 0
		.amdhsa_float_denorm_mode_32 3
		.amdhsa_float_denorm_mode_16_64 3
		.amdhsa_dx10_clamp 1
		.amdhsa_ieee_mode 1
		.amdhsa_fp16_overflow 0
		.amdhsa_tg_split 0
		.amdhsa_exception_fp_ieee_invalid_op 0
		.amdhsa_exception_fp_denorm_src 0
		.amdhsa_exception_fp_ieee_div_zero 0
		.amdhsa_exception_fp_ieee_overflow 0
		.amdhsa_exception_fp_ieee_underflow 0
		.amdhsa_exception_fp_ieee_inexact 0
		.amdhsa_exception_int_div_zero 0
	.end_amdhsa_kernel
	.section	.text._ZN7rocprim17ROCPRIM_400000_NS6detail17trampoline_kernelINS0_14default_configENS1_25partition_config_selectorILNS1_17partition_subalgoE0EyNS0_10empty_typeEbEEZZNS1_14partition_implILS5_0ELb0ES3_jN6thrust23THRUST_200600_302600_NS6detail15normal_iteratorINSA_10device_ptrIyEEEEPS6_SG_NS0_5tupleIJSF_NSA_16discard_iteratorINSA_11use_defaultEEEEEENSH_IJSG_SG_EEES6_PlJ7is_evenIyEEEE10hipError_tPvRmT3_T4_T5_T6_T7_T9_mT8_P12ihipStream_tbDpT10_ENKUlT_T0_E_clISt17integral_constantIbLb1EES19_EEDaS14_S15_EUlS14_E_NS1_11comp_targetILNS1_3genE10ELNS1_11target_archE1200ELNS1_3gpuE4ELNS1_3repE0EEENS1_30default_config_static_selectorELNS0_4arch9wavefront6targetE1EEEvT1_,"axG",@progbits,_ZN7rocprim17ROCPRIM_400000_NS6detail17trampoline_kernelINS0_14default_configENS1_25partition_config_selectorILNS1_17partition_subalgoE0EyNS0_10empty_typeEbEEZZNS1_14partition_implILS5_0ELb0ES3_jN6thrust23THRUST_200600_302600_NS6detail15normal_iteratorINSA_10device_ptrIyEEEEPS6_SG_NS0_5tupleIJSF_NSA_16discard_iteratorINSA_11use_defaultEEEEEENSH_IJSG_SG_EEES6_PlJ7is_evenIyEEEE10hipError_tPvRmT3_T4_T5_T6_T7_T9_mT8_P12ihipStream_tbDpT10_ENKUlT_T0_E_clISt17integral_constantIbLb1EES19_EEDaS14_S15_EUlS14_E_NS1_11comp_targetILNS1_3genE10ELNS1_11target_archE1200ELNS1_3gpuE4ELNS1_3repE0EEENS1_30default_config_static_selectorELNS0_4arch9wavefront6targetE1EEEvT1_,comdat
.Lfunc_end2344:
	.size	_ZN7rocprim17ROCPRIM_400000_NS6detail17trampoline_kernelINS0_14default_configENS1_25partition_config_selectorILNS1_17partition_subalgoE0EyNS0_10empty_typeEbEEZZNS1_14partition_implILS5_0ELb0ES3_jN6thrust23THRUST_200600_302600_NS6detail15normal_iteratorINSA_10device_ptrIyEEEEPS6_SG_NS0_5tupleIJSF_NSA_16discard_iteratorINSA_11use_defaultEEEEEENSH_IJSG_SG_EEES6_PlJ7is_evenIyEEEE10hipError_tPvRmT3_T4_T5_T6_T7_T9_mT8_P12ihipStream_tbDpT10_ENKUlT_T0_E_clISt17integral_constantIbLb1EES19_EEDaS14_S15_EUlS14_E_NS1_11comp_targetILNS1_3genE10ELNS1_11target_archE1200ELNS1_3gpuE4ELNS1_3repE0EEENS1_30default_config_static_selectorELNS0_4arch9wavefront6targetE1EEEvT1_, .Lfunc_end2344-_ZN7rocprim17ROCPRIM_400000_NS6detail17trampoline_kernelINS0_14default_configENS1_25partition_config_selectorILNS1_17partition_subalgoE0EyNS0_10empty_typeEbEEZZNS1_14partition_implILS5_0ELb0ES3_jN6thrust23THRUST_200600_302600_NS6detail15normal_iteratorINSA_10device_ptrIyEEEEPS6_SG_NS0_5tupleIJSF_NSA_16discard_iteratorINSA_11use_defaultEEEEEENSH_IJSG_SG_EEES6_PlJ7is_evenIyEEEE10hipError_tPvRmT3_T4_T5_T6_T7_T9_mT8_P12ihipStream_tbDpT10_ENKUlT_T0_E_clISt17integral_constantIbLb1EES19_EEDaS14_S15_EUlS14_E_NS1_11comp_targetILNS1_3genE10ELNS1_11target_archE1200ELNS1_3gpuE4ELNS1_3repE0EEENS1_30default_config_static_selectorELNS0_4arch9wavefront6targetE1EEEvT1_
                                        ; -- End function
	.section	.AMDGPU.csdata,"",@progbits
; Kernel info:
; codeLenInByte = 0
; NumSgprs: 6
; NumVgprs: 0
; NumAgprs: 0
; TotalNumVgprs: 0
; ScratchSize: 0
; MemoryBound: 0
; FloatMode: 240
; IeeeMode: 1
; LDSByteSize: 0 bytes/workgroup (compile time only)
; SGPRBlocks: 0
; VGPRBlocks: 0
; NumSGPRsForWavesPerEU: 6
; NumVGPRsForWavesPerEU: 1
; AccumOffset: 4
; Occupancy: 8
; WaveLimiterHint : 0
; COMPUTE_PGM_RSRC2:SCRATCH_EN: 0
; COMPUTE_PGM_RSRC2:USER_SGPR: 2
; COMPUTE_PGM_RSRC2:TRAP_HANDLER: 0
; COMPUTE_PGM_RSRC2:TGID_X_EN: 1
; COMPUTE_PGM_RSRC2:TGID_Y_EN: 0
; COMPUTE_PGM_RSRC2:TGID_Z_EN: 0
; COMPUTE_PGM_RSRC2:TIDIG_COMP_CNT: 0
; COMPUTE_PGM_RSRC3_GFX90A:ACCUM_OFFSET: 0
; COMPUTE_PGM_RSRC3_GFX90A:TG_SPLIT: 0
	.section	.text._ZN7rocprim17ROCPRIM_400000_NS6detail17trampoline_kernelINS0_14default_configENS1_25partition_config_selectorILNS1_17partition_subalgoE0EyNS0_10empty_typeEbEEZZNS1_14partition_implILS5_0ELb0ES3_jN6thrust23THRUST_200600_302600_NS6detail15normal_iteratorINSA_10device_ptrIyEEEEPS6_SG_NS0_5tupleIJSF_NSA_16discard_iteratorINSA_11use_defaultEEEEEENSH_IJSG_SG_EEES6_PlJ7is_evenIyEEEE10hipError_tPvRmT3_T4_T5_T6_T7_T9_mT8_P12ihipStream_tbDpT10_ENKUlT_T0_E_clISt17integral_constantIbLb1EES19_EEDaS14_S15_EUlS14_E_NS1_11comp_targetILNS1_3genE9ELNS1_11target_archE1100ELNS1_3gpuE3ELNS1_3repE0EEENS1_30default_config_static_selectorELNS0_4arch9wavefront6targetE1EEEvT1_,"axG",@progbits,_ZN7rocprim17ROCPRIM_400000_NS6detail17trampoline_kernelINS0_14default_configENS1_25partition_config_selectorILNS1_17partition_subalgoE0EyNS0_10empty_typeEbEEZZNS1_14partition_implILS5_0ELb0ES3_jN6thrust23THRUST_200600_302600_NS6detail15normal_iteratorINSA_10device_ptrIyEEEEPS6_SG_NS0_5tupleIJSF_NSA_16discard_iteratorINSA_11use_defaultEEEEEENSH_IJSG_SG_EEES6_PlJ7is_evenIyEEEE10hipError_tPvRmT3_T4_T5_T6_T7_T9_mT8_P12ihipStream_tbDpT10_ENKUlT_T0_E_clISt17integral_constantIbLb1EES19_EEDaS14_S15_EUlS14_E_NS1_11comp_targetILNS1_3genE9ELNS1_11target_archE1100ELNS1_3gpuE3ELNS1_3repE0EEENS1_30default_config_static_selectorELNS0_4arch9wavefront6targetE1EEEvT1_,comdat
	.protected	_ZN7rocprim17ROCPRIM_400000_NS6detail17trampoline_kernelINS0_14default_configENS1_25partition_config_selectorILNS1_17partition_subalgoE0EyNS0_10empty_typeEbEEZZNS1_14partition_implILS5_0ELb0ES3_jN6thrust23THRUST_200600_302600_NS6detail15normal_iteratorINSA_10device_ptrIyEEEEPS6_SG_NS0_5tupleIJSF_NSA_16discard_iteratorINSA_11use_defaultEEEEEENSH_IJSG_SG_EEES6_PlJ7is_evenIyEEEE10hipError_tPvRmT3_T4_T5_T6_T7_T9_mT8_P12ihipStream_tbDpT10_ENKUlT_T0_E_clISt17integral_constantIbLb1EES19_EEDaS14_S15_EUlS14_E_NS1_11comp_targetILNS1_3genE9ELNS1_11target_archE1100ELNS1_3gpuE3ELNS1_3repE0EEENS1_30default_config_static_selectorELNS0_4arch9wavefront6targetE1EEEvT1_ ; -- Begin function _ZN7rocprim17ROCPRIM_400000_NS6detail17trampoline_kernelINS0_14default_configENS1_25partition_config_selectorILNS1_17partition_subalgoE0EyNS0_10empty_typeEbEEZZNS1_14partition_implILS5_0ELb0ES3_jN6thrust23THRUST_200600_302600_NS6detail15normal_iteratorINSA_10device_ptrIyEEEEPS6_SG_NS0_5tupleIJSF_NSA_16discard_iteratorINSA_11use_defaultEEEEEENSH_IJSG_SG_EEES6_PlJ7is_evenIyEEEE10hipError_tPvRmT3_T4_T5_T6_T7_T9_mT8_P12ihipStream_tbDpT10_ENKUlT_T0_E_clISt17integral_constantIbLb1EES19_EEDaS14_S15_EUlS14_E_NS1_11comp_targetILNS1_3genE9ELNS1_11target_archE1100ELNS1_3gpuE3ELNS1_3repE0EEENS1_30default_config_static_selectorELNS0_4arch9wavefront6targetE1EEEvT1_
	.globl	_ZN7rocprim17ROCPRIM_400000_NS6detail17trampoline_kernelINS0_14default_configENS1_25partition_config_selectorILNS1_17partition_subalgoE0EyNS0_10empty_typeEbEEZZNS1_14partition_implILS5_0ELb0ES3_jN6thrust23THRUST_200600_302600_NS6detail15normal_iteratorINSA_10device_ptrIyEEEEPS6_SG_NS0_5tupleIJSF_NSA_16discard_iteratorINSA_11use_defaultEEEEEENSH_IJSG_SG_EEES6_PlJ7is_evenIyEEEE10hipError_tPvRmT3_T4_T5_T6_T7_T9_mT8_P12ihipStream_tbDpT10_ENKUlT_T0_E_clISt17integral_constantIbLb1EES19_EEDaS14_S15_EUlS14_E_NS1_11comp_targetILNS1_3genE9ELNS1_11target_archE1100ELNS1_3gpuE3ELNS1_3repE0EEENS1_30default_config_static_selectorELNS0_4arch9wavefront6targetE1EEEvT1_
	.p2align	8
	.type	_ZN7rocprim17ROCPRIM_400000_NS6detail17trampoline_kernelINS0_14default_configENS1_25partition_config_selectorILNS1_17partition_subalgoE0EyNS0_10empty_typeEbEEZZNS1_14partition_implILS5_0ELb0ES3_jN6thrust23THRUST_200600_302600_NS6detail15normal_iteratorINSA_10device_ptrIyEEEEPS6_SG_NS0_5tupleIJSF_NSA_16discard_iteratorINSA_11use_defaultEEEEEENSH_IJSG_SG_EEES6_PlJ7is_evenIyEEEE10hipError_tPvRmT3_T4_T5_T6_T7_T9_mT8_P12ihipStream_tbDpT10_ENKUlT_T0_E_clISt17integral_constantIbLb1EES19_EEDaS14_S15_EUlS14_E_NS1_11comp_targetILNS1_3genE9ELNS1_11target_archE1100ELNS1_3gpuE3ELNS1_3repE0EEENS1_30default_config_static_selectorELNS0_4arch9wavefront6targetE1EEEvT1_,@function
_ZN7rocprim17ROCPRIM_400000_NS6detail17trampoline_kernelINS0_14default_configENS1_25partition_config_selectorILNS1_17partition_subalgoE0EyNS0_10empty_typeEbEEZZNS1_14partition_implILS5_0ELb0ES3_jN6thrust23THRUST_200600_302600_NS6detail15normal_iteratorINSA_10device_ptrIyEEEEPS6_SG_NS0_5tupleIJSF_NSA_16discard_iteratorINSA_11use_defaultEEEEEENSH_IJSG_SG_EEES6_PlJ7is_evenIyEEEE10hipError_tPvRmT3_T4_T5_T6_T7_T9_mT8_P12ihipStream_tbDpT10_ENKUlT_T0_E_clISt17integral_constantIbLb1EES19_EEDaS14_S15_EUlS14_E_NS1_11comp_targetILNS1_3genE9ELNS1_11target_archE1100ELNS1_3gpuE3ELNS1_3repE0EEENS1_30default_config_static_selectorELNS0_4arch9wavefront6targetE1EEEvT1_: ; @_ZN7rocprim17ROCPRIM_400000_NS6detail17trampoline_kernelINS0_14default_configENS1_25partition_config_selectorILNS1_17partition_subalgoE0EyNS0_10empty_typeEbEEZZNS1_14partition_implILS5_0ELb0ES3_jN6thrust23THRUST_200600_302600_NS6detail15normal_iteratorINSA_10device_ptrIyEEEEPS6_SG_NS0_5tupleIJSF_NSA_16discard_iteratorINSA_11use_defaultEEEEEENSH_IJSG_SG_EEES6_PlJ7is_evenIyEEEE10hipError_tPvRmT3_T4_T5_T6_T7_T9_mT8_P12ihipStream_tbDpT10_ENKUlT_T0_E_clISt17integral_constantIbLb1EES19_EEDaS14_S15_EUlS14_E_NS1_11comp_targetILNS1_3genE9ELNS1_11target_archE1100ELNS1_3gpuE3ELNS1_3repE0EEENS1_30default_config_static_selectorELNS0_4arch9wavefront6targetE1EEEvT1_
; %bb.0:
	.section	.rodata,"a",@progbits
	.p2align	6, 0x0
	.amdhsa_kernel _ZN7rocprim17ROCPRIM_400000_NS6detail17trampoline_kernelINS0_14default_configENS1_25partition_config_selectorILNS1_17partition_subalgoE0EyNS0_10empty_typeEbEEZZNS1_14partition_implILS5_0ELb0ES3_jN6thrust23THRUST_200600_302600_NS6detail15normal_iteratorINSA_10device_ptrIyEEEEPS6_SG_NS0_5tupleIJSF_NSA_16discard_iteratorINSA_11use_defaultEEEEEENSH_IJSG_SG_EEES6_PlJ7is_evenIyEEEE10hipError_tPvRmT3_T4_T5_T6_T7_T9_mT8_P12ihipStream_tbDpT10_ENKUlT_T0_E_clISt17integral_constantIbLb1EES19_EEDaS14_S15_EUlS14_E_NS1_11comp_targetILNS1_3genE9ELNS1_11target_archE1100ELNS1_3gpuE3ELNS1_3repE0EEENS1_30default_config_static_selectorELNS0_4arch9wavefront6targetE1EEEvT1_
		.amdhsa_group_segment_fixed_size 0
		.amdhsa_private_segment_fixed_size 0
		.amdhsa_kernarg_size 144
		.amdhsa_user_sgpr_count 2
		.amdhsa_user_sgpr_dispatch_ptr 0
		.amdhsa_user_sgpr_queue_ptr 0
		.amdhsa_user_sgpr_kernarg_segment_ptr 1
		.amdhsa_user_sgpr_dispatch_id 0
		.amdhsa_user_sgpr_kernarg_preload_length 0
		.amdhsa_user_sgpr_kernarg_preload_offset 0
		.amdhsa_user_sgpr_private_segment_size 0
		.amdhsa_uses_dynamic_stack 0
		.amdhsa_enable_private_segment 0
		.amdhsa_system_sgpr_workgroup_id_x 1
		.amdhsa_system_sgpr_workgroup_id_y 0
		.amdhsa_system_sgpr_workgroup_id_z 0
		.amdhsa_system_sgpr_workgroup_info 0
		.amdhsa_system_vgpr_workitem_id 0
		.amdhsa_next_free_vgpr 1
		.amdhsa_next_free_sgpr 0
		.amdhsa_accum_offset 4
		.amdhsa_reserve_vcc 0
		.amdhsa_float_round_mode_32 0
		.amdhsa_float_round_mode_16_64 0
		.amdhsa_float_denorm_mode_32 3
		.amdhsa_float_denorm_mode_16_64 3
		.amdhsa_dx10_clamp 1
		.amdhsa_ieee_mode 1
		.amdhsa_fp16_overflow 0
		.amdhsa_tg_split 0
		.amdhsa_exception_fp_ieee_invalid_op 0
		.amdhsa_exception_fp_denorm_src 0
		.amdhsa_exception_fp_ieee_div_zero 0
		.amdhsa_exception_fp_ieee_overflow 0
		.amdhsa_exception_fp_ieee_underflow 0
		.amdhsa_exception_fp_ieee_inexact 0
		.amdhsa_exception_int_div_zero 0
	.end_amdhsa_kernel
	.section	.text._ZN7rocprim17ROCPRIM_400000_NS6detail17trampoline_kernelINS0_14default_configENS1_25partition_config_selectorILNS1_17partition_subalgoE0EyNS0_10empty_typeEbEEZZNS1_14partition_implILS5_0ELb0ES3_jN6thrust23THRUST_200600_302600_NS6detail15normal_iteratorINSA_10device_ptrIyEEEEPS6_SG_NS0_5tupleIJSF_NSA_16discard_iteratorINSA_11use_defaultEEEEEENSH_IJSG_SG_EEES6_PlJ7is_evenIyEEEE10hipError_tPvRmT3_T4_T5_T6_T7_T9_mT8_P12ihipStream_tbDpT10_ENKUlT_T0_E_clISt17integral_constantIbLb1EES19_EEDaS14_S15_EUlS14_E_NS1_11comp_targetILNS1_3genE9ELNS1_11target_archE1100ELNS1_3gpuE3ELNS1_3repE0EEENS1_30default_config_static_selectorELNS0_4arch9wavefront6targetE1EEEvT1_,"axG",@progbits,_ZN7rocprim17ROCPRIM_400000_NS6detail17trampoline_kernelINS0_14default_configENS1_25partition_config_selectorILNS1_17partition_subalgoE0EyNS0_10empty_typeEbEEZZNS1_14partition_implILS5_0ELb0ES3_jN6thrust23THRUST_200600_302600_NS6detail15normal_iteratorINSA_10device_ptrIyEEEEPS6_SG_NS0_5tupleIJSF_NSA_16discard_iteratorINSA_11use_defaultEEEEEENSH_IJSG_SG_EEES6_PlJ7is_evenIyEEEE10hipError_tPvRmT3_T4_T5_T6_T7_T9_mT8_P12ihipStream_tbDpT10_ENKUlT_T0_E_clISt17integral_constantIbLb1EES19_EEDaS14_S15_EUlS14_E_NS1_11comp_targetILNS1_3genE9ELNS1_11target_archE1100ELNS1_3gpuE3ELNS1_3repE0EEENS1_30default_config_static_selectorELNS0_4arch9wavefront6targetE1EEEvT1_,comdat
.Lfunc_end2345:
	.size	_ZN7rocprim17ROCPRIM_400000_NS6detail17trampoline_kernelINS0_14default_configENS1_25partition_config_selectorILNS1_17partition_subalgoE0EyNS0_10empty_typeEbEEZZNS1_14partition_implILS5_0ELb0ES3_jN6thrust23THRUST_200600_302600_NS6detail15normal_iteratorINSA_10device_ptrIyEEEEPS6_SG_NS0_5tupleIJSF_NSA_16discard_iteratorINSA_11use_defaultEEEEEENSH_IJSG_SG_EEES6_PlJ7is_evenIyEEEE10hipError_tPvRmT3_T4_T5_T6_T7_T9_mT8_P12ihipStream_tbDpT10_ENKUlT_T0_E_clISt17integral_constantIbLb1EES19_EEDaS14_S15_EUlS14_E_NS1_11comp_targetILNS1_3genE9ELNS1_11target_archE1100ELNS1_3gpuE3ELNS1_3repE0EEENS1_30default_config_static_selectorELNS0_4arch9wavefront6targetE1EEEvT1_, .Lfunc_end2345-_ZN7rocprim17ROCPRIM_400000_NS6detail17trampoline_kernelINS0_14default_configENS1_25partition_config_selectorILNS1_17partition_subalgoE0EyNS0_10empty_typeEbEEZZNS1_14partition_implILS5_0ELb0ES3_jN6thrust23THRUST_200600_302600_NS6detail15normal_iteratorINSA_10device_ptrIyEEEEPS6_SG_NS0_5tupleIJSF_NSA_16discard_iteratorINSA_11use_defaultEEEEEENSH_IJSG_SG_EEES6_PlJ7is_evenIyEEEE10hipError_tPvRmT3_T4_T5_T6_T7_T9_mT8_P12ihipStream_tbDpT10_ENKUlT_T0_E_clISt17integral_constantIbLb1EES19_EEDaS14_S15_EUlS14_E_NS1_11comp_targetILNS1_3genE9ELNS1_11target_archE1100ELNS1_3gpuE3ELNS1_3repE0EEENS1_30default_config_static_selectorELNS0_4arch9wavefront6targetE1EEEvT1_
                                        ; -- End function
	.section	.AMDGPU.csdata,"",@progbits
; Kernel info:
; codeLenInByte = 0
; NumSgprs: 6
; NumVgprs: 0
; NumAgprs: 0
; TotalNumVgprs: 0
; ScratchSize: 0
; MemoryBound: 0
; FloatMode: 240
; IeeeMode: 1
; LDSByteSize: 0 bytes/workgroup (compile time only)
; SGPRBlocks: 0
; VGPRBlocks: 0
; NumSGPRsForWavesPerEU: 6
; NumVGPRsForWavesPerEU: 1
; AccumOffset: 4
; Occupancy: 8
; WaveLimiterHint : 0
; COMPUTE_PGM_RSRC2:SCRATCH_EN: 0
; COMPUTE_PGM_RSRC2:USER_SGPR: 2
; COMPUTE_PGM_RSRC2:TRAP_HANDLER: 0
; COMPUTE_PGM_RSRC2:TGID_X_EN: 1
; COMPUTE_PGM_RSRC2:TGID_Y_EN: 0
; COMPUTE_PGM_RSRC2:TGID_Z_EN: 0
; COMPUTE_PGM_RSRC2:TIDIG_COMP_CNT: 0
; COMPUTE_PGM_RSRC3_GFX90A:ACCUM_OFFSET: 0
; COMPUTE_PGM_RSRC3_GFX90A:TG_SPLIT: 0
	.section	.text._ZN7rocprim17ROCPRIM_400000_NS6detail17trampoline_kernelINS0_14default_configENS1_25partition_config_selectorILNS1_17partition_subalgoE0EyNS0_10empty_typeEbEEZZNS1_14partition_implILS5_0ELb0ES3_jN6thrust23THRUST_200600_302600_NS6detail15normal_iteratorINSA_10device_ptrIyEEEEPS6_SG_NS0_5tupleIJSF_NSA_16discard_iteratorINSA_11use_defaultEEEEEENSH_IJSG_SG_EEES6_PlJ7is_evenIyEEEE10hipError_tPvRmT3_T4_T5_T6_T7_T9_mT8_P12ihipStream_tbDpT10_ENKUlT_T0_E_clISt17integral_constantIbLb1EES19_EEDaS14_S15_EUlS14_E_NS1_11comp_targetILNS1_3genE8ELNS1_11target_archE1030ELNS1_3gpuE2ELNS1_3repE0EEENS1_30default_config_static_selectorELNS0_4arch9wavefront6targetE1EEEvT1_,"axG",@progbits,_ZN7rocprim17ROCPRIM_400000_NS6detail17trampoline_kernelINS0_14default_configENS1_25partition_config_selectorILNS1_17partition_subalgoE0EyNS0_10empty_typeEbEEZZNS1_14partition_implILS5_0ELb0ES3_jN6thrust23THRUST_200600_302600_NS6detail15normal_iteratorINSA_10device_ptrIyEEEEPS6_SG_NS0_5tupleIJSF_NSA_16discard_iteratorINSA_11use_defaultEEEEEENSH_IJSG_SG_EEES6_PlJ7is_evenIyEEEE10hipError_tPvRmT3_T4_T5_T6_T7_T9_mT8_P12ihipStream_tbDpT10_ENKUlT_T0_E_clISt17integral_constantIbLb1EES19_EEDaS14_S15_EUlS14_E_NS1_11comp_targetILNS1_3genE8ELNS1_11target_archE1030ELNS1_3gpuE2ELNS1_3repE0EEENS1_30default_config_static_selectorELNS0_4arch9wavefront6targetE1EEEvT1_,comdat
	.protected	_ZN7rocprim17ROCPRIM_400000_NS6detail17trampoline_kernelINS0_14default_configENS1_25partition_config_selectorILNS1_17partition_subalgoE0EyNS0_10empty_typeEbEEZZNS1_14partition_implILS5_0ELb0ES3_jN6thrust23THRUST_200600_302600_NS6detail15normal_iteratorINSA_10device_ptrIyEEEEPS6_SG_NS0_5tupleIJSF_NSA_16discard_iteratorINSA_11use_defaultEEEEEENSH_IJSG_SG_EEES6_PlJ7is_evenIyEEEE10hipError_tPvRmT3_T4_T5_T6_T7_T9_mT8_P12ihipStream_tbDpT10_ENKUlT_T0_E_clISt17integral_constantIbLb1EES19_EEDaS14_S15_EUlS14_E_NS1_11comp_targetILNS1_3genE8ELNS1_11target_archE1030ELNS1_3gpuE2ELNS1_3repE0EEENS1_30default_config_static_selectorELNS0_4arch9wavefront6targetE1EEEvT1_ ; -- Begin function _ZN7rocprim17ROCPRIM_400000_NS6detail17trampoline_kernelINS0_14default_configENS1_25partition_config_selectorILNS1_17partition_subalgoE0EyNS0_10empty_typeEbEEZZNS1_14partition_implILS5_0ELb0ES3_jN6thrust23THRUST_200600_302600_NS6detail15normal_iteratorINSA_10device_ptrIyEEEEPS6_SG_NS0_5tupleIJSF_NSA_16discard_iteratorINSA_11use_defaultEEEEEENSH_IJSG_SG_EEES6_PlJ7is_evenIyEEEE10hipError_tPvRmT3_T4_T5_T6_T7_T9_mT8_P12ihipStream_tbDpT10_ENKUlT_T0_E_clISt17integral_constantIbLb1EES19_EEDaS14_S15_EUlS14_E_NS1_11comp_targetILNS1_3genE8ELNS1_11target_archE1030ELNS1_3gpuE2ELNS1_3repE0EEENS1_30default_config_static_selectorELNS0_4arch9wavefront6targetE1EEEvT1_
	.globl	_ZN7rocprim17ROCPRIM_400000_NS6detail17trampoline_kernelINS0_14default_configENS1_25partition_config_selectorILNS1_17partition_subalgoE0EyNS0_10empty_typeEbEEZZNS1_14partition_implILS5_0ELb0ES3_jN6thrust23THRUST_200600_302600_NS6detail15normal_iteratorINSA_10device_ptrIyEEEEPS6_SG_NS0_5tupleIJSF_NSA_16discard_iteratorINSA_11use_defaultEEEEEENSH_IJSG_SG_EEES6_PlJ7is_evenIyEEEE10hipError_tPvRmT3_T4_T5_T6_T7_T9_mT8_P12ihipStream_tbDpT10_ENKUlT_T0_E_clISt17integral_constantIbLb1EES19_EEDaS14_S15_EUlS14_E_NS1_11comp_targetILNS1_3genE8ELNS1_11target_archE1030ELNS1_3gpuE2ELNS1_3repE0EEENS1_30default_config_static_selectorELNS0_4arch9wavefront6targetE1EEEvT1_
	.p2align	8
	.type	_ZN7rocprim17ROCPRIM_400000_NS6detail17trampoline_kernelINS0_14default_configENS1_25partition_config_selectorILNS1_17partition_subalgoE0EyNS0_10empty_typeEbEEZZNS1_14partition_implILS5_0ELb0ES3_jN6thrust23THRUST_200600_302600_NS6detail15normal_iteratorINSA_10device_ptrIyEEEEPS6_SG_NS0_5tupleIJSF_NSA_16discard_iteratorINSA_11use_defaultEEEEEENSH_IJSG_SG_EEES6_PlJ7is_evenIyEEEE10hipError_tPvRmT3_T4_T5_T6_T7_T9_mT8_P12ihipStream_tbDpT10_ENKUlT_T0_E_clISt17integral_constantIbLb1EES19_EEDaS14_S15_EUlS14_E_NS1_11comp_targetILNS1_3genE8ELNS1_11target_archE1030ELNS1_3gpuE2ELNS1_3repE0EEENS1_30default_config_static_selectorELNS0_4arch9wavefront6targetE1EEEvT1_,@function
_ZN7rocprim17ROCPRIM_400000_NS6detail17trampoline_kernelINS0_14default_configENS1_25partition_config_selectorILNS1_17partition_subalgoE0EyNS0_10empty_typeEbEEZZNS1_14partition_implILS5_0ELb0ES3_jN6thrust23THRUST_200600_302600_NS6detail15normal_iteratorINSA_10device_ptrIyEEEEPS6_SG_NS0_5tupleIJSF_NSA_16discard_iteratorINSA_11use_defaultEEEEEENSH_IJSG_SG_EEES6_PlJ7is_evenIyEEEE10hipError_tPvRmT3_T4_T5_T6_T7_T9_mT8_P12ihipStream_tbDpT10_ENKUlT_T0_E_clISt17integral_constantIbLb1EES19_EEDaS14_S15_EUlS14_E_NS1_11comp_targetILNS1_3genE8ELNS1_11target_archE1030ELNS1_3gpuE2ELNS1_3repE0EEENS1_30default_config_static_selectorELNS0_4arch9wavefront6targetE1EEEvT1_: ; @_ZN7rocprim17ROCPRIM_400000_NS6detail17trampoline_kernelINS0_14default_configENS1_25partition_config_selectorILNS1_17partition_subalgoE0EyNS0_10empty_typeEbEEZZNS1_14partition_implILS5_0ELb0ES3_jN6thrust23THRUST_200600_302600_NS6detail15normal_iteratorINSA_10device_ptrIyEEEEPS6_SG_NS0_5tupleIJSF_NSA_16discard_iteratorINSA_11use_defaultEEEEEENSH_IJSG_SG_EEES6_PlJ7is_evenIyEEEE10hipError_tPvRmT3_T4_T5_T6_T7_T9_mT8_P12ihipStream_tbDpT10_ENKUlT_T0_E_clISt17integral_constantIbLb1EES19_EEDaS14_S15_EUlS14_E_NS1_11comp_targetILNS1_3genE8ELNS1_11target_archE1030ELNS1_3gpuE2ELNS1_3repE0EEENS1_30default_config_static_selectorELNS0_4arch9wavefront6targetE1EEEvT1_
; %bb.0:
	.section	.rodata,"a",@progbits
	.p2align	6, 0x0
	.amdhsa_kernel _ZN7rocprim17ROCPRIM_400000_NS6detail17trampoline_kernelINS0_14default_configENS1_25partition_config_selectorILNS1_17partition_subalgoE0EyNS0_10empty_typeEbEEZZNS1_14partition_implILS5_0ELb0ES3_jN6thrust23THRUST_200600_302600_NS6detail15normal_iteratorINSA_10device_ptrIyEEEEPS6_SG_NS0_5tupleIJSF_NSA_16discard_iteratorINSA_11use_defaultEEEEEENSH_IJSG_SG_EEES6_PlJ7is_evenIyEEEE10hipError_tPvRmT3_T4_T5_T6_T7_T9_mT8_P12ihipStream_tbDpT10_ENKUlT_T0_E_clISt17integral_constantIbLb1EES19_EEDaS14_S15_EUlS14_E_NS1_11comp_targetILNS1_3genE8ELNS1_11target_archE1030ELNS1_3gpuE2ELNS1_3repE0EEENS1_30default_config_static_selectorELNS0_4arch9wavefront6targetE1EEEvT1_
		.amdhsa_group_segment_fixed_size 0
		.amdhsa_private_segment_fixed_size 0
		.amdhsa_kernarg_size 144
		.amdhsa_user_sgpr_count 2
		.amdhsa_user_sgpr_dispatch_ptr 0
		.amdhsa_user_sgpr_queue_ptr 0
		.amdhsa_user_sgpr_kernarg_segment_ptr 1
		.amdhsa_user_sgpr_dispatch_id 0
		.amdhsa_user_sgpr_kernarg_preload_length 0
		.amdhsa_user_sgpr_kernarg_preload_offset 0
		.amdhsa_user_sgpr_private_segment_size 0
		.amdhsa_uses_dynamic_stack 0
		.amdhsa_enable_private_segment 0
		.amdhsa_system_sgpr_workgroup_id_x 1
		.amdhsa_system_sgpr_workgroup_id_y 0
		.amdhsa_system_sgpr_workgroup_id_z 0
		.amdhsa_system_sgpr_workgroup_info 0
		.amdhsa_system_vgpr_workitem_id 0
		.amdhsa_next_free_vgpr 1
		.amdhsa_next_free_sgpr 0
		.amdhsa_accum_offset 4
		.amdhsa_reserve_vcc 0
		.amdhsa_float_round_mode_32 0
		.amdhsa_float_round_mode_16_64 0
		.amdhsa_float_denorm_mode_32 3
		.amdhsa_float_denorm_mode_16_64 3
		.amdhsa_dx10_clamp 1
		.amdhsa_ieee_mode 1
		.amdhsa_fp16_overflow 0
		.amdhsa_tg_split 0
		.amdhsa_exception_fp_ieee_invalid_op 0
		.amdhsa_exception_fp_denorm_src 0
		.amdhsa_exception_fp_ieee_div_zero 0
		.amdhsa_exception_fp_ieee_overflow 0
		.amdhsa_exception_fp_ieee_underflow 0
		.amdhsa_exception_fp_ieee_inexact 0
		.amdhsa_exception_int_div_zero 0
	.end_amdhsa_kernel
	.section	.text._ZN7rocprim17ROCPRIM_400000_NS6detail17trampoline_kernelINS0_14default_configENS1_25partition_config_selectorILNS1_17partition_subalgoE0EyNS0_10empty_typeEbEEZZNS1_14partition_implILS5_0ELb0ES3_jN6thrust23THRUST_200600_302600_NS6detail15normal_iteratorINSA_10device_ptrIyEEEEPS6_SG_NS0_5tupleIJSF_NSA_16discard_iteratorINSA_11use_defaultEEEEEENSH_IJSG_SG_EEES6_PlJ7is_evenIyEEEE10hipError_tPvRmT3_T4_T5_T6_T7_T9_mT8_P12ihipStream_tbDpT10_ENKUlT_T0_E_clISt17integral_constantIbLb1EES19_EEDaS14_S15_EUlS14_E_NS1_11comp_targetILNS1_3genE8ELNS1_11target_archE1030ELNS1_3gpuE2ELNS1_3repE0EEENS1_30default_config_static_selectorELNS0_4arch9wavefront6targetE1EEEvT1_,"axG",@progbits,_ZN7rocprim17ROCPRIM_400000_NS6detail17trampoline_kernelINS0_14default_configENS1_25partition_config_selectorILNS1_17partition_subalgoE0EyNS0_10empty_typeEbEEZZNS1_14partition_implILS5_0ELb0ES3_jN6thrust23THRUST_200600_302600_NS6detail15normal_iteratorINSA_10device_ptrIyEEEEPS6_SG_NS0_5tupleIJSF_NSA_16discard_iteratorINSA_11use_defaultEEEEEENSH_IJSG_SG_EEES6_PlJ7is_evenIyEEEE10hipError_tPvRmT3_T4_T5_T6_T7_T9_mT8_P12ihipStream_tbDpT10_ENKUlT_T0_E_clISt17integral_constantIbLb1EES19_EEDaS14_S15_EUlS14_E_NS1_11comp_targetILNS1_3genE8ELNS1_11target_archE1030ELNS1_3gpuE2ELNS1_3repE0EEENS1_30default_config_static_selectorELNS0_4arch9wavefront6targetE1EEEvT1_,comdat
.Lfunc_end2346:
	.size	_ZN7rocprim17ROCPRIM_400000_NS6detail17trampoline_kernelINS0_14default_configENS1_25partition_config_selectorILNS1_17partition_subalgoE0EyNS0_10empty_typeEbEEZZNS1_14partition_implILS5_0ELb0ES3_jN6thrust23THRUST_200600_302600_NS6detail15normal_iteratorINSA_10device_ptrIyEEEEPS6_SG_NS0_5tupleIJSF_NSA_16discard_iteratorINSA_11use_defaultEEEEEENSH_IJSG_SG_EEES6_PlJ7is_evenIyEEEE10hipError_tPvRmT3_T4_T5_T6_T7_T9_mT8_P12ihipStream_tbDpT10_ENKUlT_T0_E_clISt17integral_constantIbLb1EES19_EEDaS14_S15_EUlS14_E_NS1_11comp_targetILNS1_3genE8ELNS1_11target_archE1030ELNS1_3gpuE2ELNS1_3repE0EEENS1_30default_config_static_selectorELNS0_4arch9wavefront6targetE1EEEvT1_, .Lfunc_end2346-_ZN7rocprim17ROCPRIM_400000_NS6detail17trampoline_kernelINS0_14default_configENS1_25partition_config_selectorILNS1_17partition_subalgoE0EyNS0_10empty_typeEbEEZZNS1_14partition_implILS5_0ELb0ES3_jN6thrust23THRUST_200600_302600_NS6detail15normal_iteratorINSA_10device_ptrIyEEEEPS6_SG_NS0_5tupleIJSF_NSA_16discard_iteratorINSA_11use_defaultEEEEEENSH_IJSG_SG_EEES6_PlJ7is_evenIyEEEE10hipError_tPvRmT3_T4_T5_T6_T7_T9_mT8_P12ihipStream_tbDpT10_ENKUlT_T0_E_clISt17integral_constantIbLb1EES19_EEDaS14_S15_EUlS14_E_NS1_11comp_targetILNS1_3genE8ELNS1_11target_archE1030ELNS1_3gpuE2ELNS1_3repE0EEENS1_30default_config_static_selectorELNS0_4arch9wavefront6targetE1EEEvT1_
                                        ; -- End function
	.section	.AMDGPU.csdata,"",@progbits
; Kernel info:
; codeLenInByte = 0
; NumSgprs: 6
; NumVgprs: 0
; NumAgprs: 0
; TotalNumVgprs: 0
; ScratchSize: 0
; MemoryBound: 0
; FloatMode: 240
; IeeeMode: 1
; LDSByteSize: 0 bytes/workgroup (compile time only)
; SGPRBlocks: 0
; VGPRBlocks: 0
; NumSGPRsForWavesPerEU: 6
; NumVGPRsForWavesPerEU: 1
; AccumOffset: 4
; Occupancy: 8
; WaveLimiterHint : 0
; COMPUTE_PGM_RSRC2:SCRATCH_EN: 0
; COMPUTE_PGM_RSRC2:USER_SGPR: 2
; COMPUTE_PGM_RSRC2:TRAP_HANDLER: 0
; COMPUTE_PGM_RSRC2:TGID_X_EN: 1
; COMPUTE_PGM_RSRC2:TGID_Y_EN: 0
; COMPUTE_PGM_RSRC2:TGID_Z_EN: 0
; COMPUTE_PGM_RSRC2:TIDIG_COMP_CNT: 0
; COMPUTE_PGM_RSRC3_GFX90A:ACCUM_OFFSET: 0
; COMPUTE_PGM_RSRC3_GFX90A:TG_SPLIT: 0
	.section	.text._ZN7rocprim17ROCPRIM_400000_NS6detail17trampoline_kernelINS0_14default_configENS1_25partition_config_selectorILNS1_17partition_subalgoE0EyNS0_10empty_typeEbEEZZNS1_14partition_implILS5_0ELb0ES3_jN6thrust23THRUST_200600_302600_NS6detail15normal_iteratorINSA_10device_ptrIyEEEEPS6_SG_NS0_5tupleIJSF_NSA_16discard_iteratorINSA_11use_defaultEEEEEENSH_IJSG_SG_EEES6_PlJ7is_evenIyEEEE10hipError_tPvRmT3_T4_T5_T6_T7_T9_mT8_P12ihipStream_tbDpT10_ENKUlT_T0_E_clISt17integral_constantIbLb1EES18_IbLb0EEEEDaS14_S15_EUlS14_E_NS1_11comp_targetILNS1_3genE0ELNS1_11target_archE4294967295ELNS1_3gpuE0ELNS1_3repE0EEENS1_30default_config_static_selectorELNS0_4arch9wavefront6targetE1EEEvT1_,"axG",@progbits,_ZN7rocprim17ROCPRIM_400000_NS6detail17trampoline_kernelINS0_14default_configENS1_25partition_config_selectorILNS1_17partition_subalgoE0EyNS0_10empty_typeEbEEZZNS1_14partition_implILS5_0ELb0ES3_jN6thrust23THRUST_200600_302600_NS6detail15normal_iteratorINSA_10device_ptrIyEEEEPS6_SG_NS0_5tupleIJSF_NSA_16discard_iteratorINSA_11use_defaultEEEEEENSH_IJSG_SG_EEES6_PlJ7is_evenIyEEEE10hipError_tPvRmT3_T4_T5_T6_T7_T9_mT8_P12ihipStream_tbDpT10_ENKUlT_T0_E_clISt17integral_constantIbLb1EES18_IbLb0EEEEDaS14_S15_EUlS14_E_NS1_11comp_targetILNS1_3genE0ELNS1_11target_archE4294967295ELNS1_3gpuE0ELNS1_3repE0EEENS1_30default_config_static_selectorELNS0_4arch9wavefront6targetE1EEEvT1_,comdat
	.protected	_ZN7rocprim17ROCPRIM_400000_NS6detail17trampoline_kernelINS0_14default_configENS1_25partition_config_selectorILNS1_17partition_subalgoE0EyNS0_10empty_typeEbEEZZNS1_14partition_implILS5_0ELb0ES3_jN6thrust23THRUST_200600_302600_NS6detail15normal_iteratorINSA_10device_ptrIyEEEEPS6_SG_NS0_5tupleIJSF_NSA_16discard_iteratorINSA_11use_defaultEEEEEENSH_IJSG_SG_EEES6_PlJ7is_evenIyEEEE10hipError_tPvRmT3_T4_T5_T6_T7_T9_mT8_P12ihipStream_tbDpT10_ENKUlT_T0_E_clISt17integral_constantIbLb1EES18_IbLb0EEEEDaS14_S15_EUlS14_E_NS1_11comp_targetILNS1_3genE0ELNS1_11target_archE4294967295ELNS1_3gpuE0ELNS1_3repE0EEENS1_30default_config_static_selectorELNS0_4arch9wavefront6targetE1EEEvT1_ ; -- Begin function _ZN7rocprim17ROCPRIM_400000_NS6detail17trampoline_kernelINS0_14default_configENS1_25partition_config_selectorILNS1_17partition_subalgoE0EyNS0_10empty_typeEbEEZZNS1_14partition_implILS5_0ELb0ES3_jN6thrust23THRUST_200600_302600_NS6detail15normal_iteratorINSA_10device_ptrIyEEEEPS6_SG_NS0_5tupleIJSF_NSA_16discard_iteratorINSA_11use_defaultEEEEEENSH_IJSG_SG_EEES6_PlJ7is_evenIyEEEE10hipError_tPvRmT3_T4_T5_T6_T7_T9_mT8_P12ihipStream_tbDpT10_ENKUlT_T0_E_clISt17integral_constantIbLb1EES18_IbLb0EEEEDaS14_S15_EUlS14_E_NS1_11comp_targetILNS1_3genE0ELNS1_11target_archE4294967295ELNS1_3gpuE0ELNS1_3repE0EEENS1_30default_config_static_selectorELNS0_4arch9wavefront6targetE1EEEvT1_
	.globl	_ZN7rocprim17ROCPRIM_400000_NS6detail17trampoline_kernelINS0_14default_configENS1_25partition_config_selectorILNS1_17partition_subalgoE0EyNS0_10empty_typeEbEEZZNS1_14partition_implILS5_0ELb0ES3_jN6thrust23THRUST_200600_302600_NS6detail15normal_iteratorINSA_10device_ptrIyEEEEPS6_SG_NS0_5tupleIJSF_NSA_16discard_iteratorINSA_11use_defaultEEEEEENSH_IJSG_SG_EEES6_PlJ7is_evenIyEEEE10hipError_tPvRmT3_T4_T5_T6_T7_T9_mT8_P12ihipStream_tbDpT10_ENKUlT_T0_E_clISt17integral_constantIbLb1EES18_IbLb0EEEEDaS14_S15_EUlS14_E_NS1_11comp_targetILNS1_3genE0ELNS1_11target_archE4294967295ELNS1_3gpuE0ELNS1_3repE0EEENS1_30default_config_static_selectorELNS0_4arch9wavefront6targetE1EEEvT1_
	.p2align	8
	.type	_ZN7rocprim17ROCPRIM_400000_NS6detail17trampoline_kernelINS0_14default_configENS1_25partition_config_selectorILNS1_17partition_subalgoE0EyNS0_10empty_typeEbEEZZNS1_14partition_implILS5_0ELb0ES3_jN6thrust23THRUST_200600_302600_NS6detail15normal_iteratorINSA_10device_ptrIyEEEEPS6_SG_NS0_5tupleIJSF_NSA_16discard_iteratorINSA_11use_defaultEEEEEENSH_IJSG_SG_EEES6_PlJ7is_evenIyEEEE10hipError_tPvRmT3_T4_T5_T6_T7_T9_mT8_P12ihipStream_tbDpT10_ENKUlT_T0_E_clISt17integral_constantIbLb1EES18_IbLb0EEEEDaS14_S15_EUlS14_E_NS1_11comp_targetILNS1_3genE0ELNS1_11target_archE4294967295ELNS1_3gpuE0ELNS1_3repE0EEENS1_30default_config_static_selectorELNS0_4arch9wavefront6targetE1EEEvT1_,@function
_ZN7rocprim17ROCPRIM_400000_NS6detail17trampoline_kernelINS0_14default_configENS1_25partition_config_selectorILNS1_17partition_subalgoE0EyNS0_10empty_typeEbEEZZNS1_14partition_implILS5_0ELb0ES3_jN6thrust23THRUST_200600_302600_NS6detail15normal_iteratorINSA_10device_ptrIyEEEEPS6_SG_NS0_5tupleIJSF_NSA_16discard_iteratorINSA_11use_defaultEEEEEENSH_IJSG_SG_EEES6_PlJ7is_evenIyEEEE10hipError_tPvRmT3_T4_T5_T6_T7_T9_mT8_P12ihipStream_tbDpT10_ENKUlT_T0_E_clISt17integral_constantIbLb1EES18_IbLb0EEEEDaS14_S15_EUlS14_E_NS1_11comp_targetILNS1_3genE0ELNS1_11target_archE4294967295ELNS1_3gpuE0ELNS1_3repE0EEENS1_30default_config_static_selectorELNS0_4arch9wavefront6targetE1EEEvT1_: ; @_ZN7rocprim17ROCPRIM_400000_NS6detail17trampoline_kernelINS0_14default_configENS1_25partition_config_selectorILNS1_17partition_subalgoE0EyNS0_10empty_typeEbEEZZNS1_14partition_implILS5_0ELb0ES3_jN6thrust23THRUST_200600_302600_NS6detail15normal_iteratorINSA_10device_ptrIyEEEEPS6_SG_NS0_5tupleIJSF_NSA_16discard_iteratorINSA_11use_defaultEEEEEENSH_IJSG_SG_EEES6_PlJ7is_evenIyEEEE10hipError_tPvRmT3_T4_T5_T6_T7_T9_mT8_P12ihipStream_tbDpT10_ENKUlT_T0_E_clISt17integral_constantIbLb1EES18_IbLb0EEEEDaS14_S15_EUlS14_E_NS1_11comp_targetILNS1_3genE0ELNS1_11target_archE4294967295ELNS1_3gpuE0ELNS1_3repE0EEENS1_30default_config_static_selectorELNS0_4arch9wavefront6targetE1EEEvT1_
; %bb.0:
	.section	.rodata,"a",@progbits
	.p2align	6, 0x0
	.amdhsa_kernel _ZN7rocprim17ROCPRIM_400000_NS6detail17trampoline_kernelINS0_14default_configENS1_25partition_config_selectorILNS1_17partition_subalgoE0EyNS0_10empty_typeEbEEZZNS1_14partition_implILS5_0ELb0ES3_jN6thrust23THRUST_200600_302600_NS6detail15normal_iteratorINSA_10device_ptrIyEEEEPS6_SG_NS0_5tupleIJSF_NSA_16discard_iteratorINSA_11use_defaultEEEEEENSH_IJSG_SG_EEES6_PlJ7is_evenIyEEEE10hipError_tPvRmT3_T4_T5_T6_T7_T9_mT8_P12ihipStream_tbDpT10_ENKUlT_T0_E_clISt17integral_constantIbLb1EES18_IbLb0EEEEDaS14_S15_EUlS14_E_NS1_11comp_targetILNS1_3genE0ELNS1_11target_archE4294967295ELNS1_3gpuE0ELNS1_3repE0EEENS1_30default_config_static_selectorELNS0_4arch9wavefront6targetE1EEEvT1_
		.amdhsa_group_segment_fixed_size 0
		.amdhsa_private_segment_fixed_size 0
		.amdhsa_kernarg_size 128
		.amdhsa_user_sgpr_count 2
		.amdhsa_user_sgpr_dispatch_ptr 0
		.amdhsa_user_sgpr_queue_ptr 0
		.amdhsa_user_sgpr_kernarg_segment_ptr 1
		.amdhsa_user_sgpr_dispatch_id 0
		.amdhsa_user_sgpr_kernarg_preload_length 0
		.amdhsa_user_sgpr_kernarg_preload_offset 0
		.amdhsa_user_sgpr_private_segment_size 0
		.amdhsa_uses_dynamic_stack 0
		.amdhsa_enable_private_segment 0
		.amdhsa_system_sgpr_workgroup_id_x 1
		.amdhsa_system_sgpr_workgroup_id_y 0
		.amdhsa_system_sgpr_workgroup_id_z 0
		.amdhsa_system_sgpr_workgroup_info 0
		.amdhsa_system_vgpr_workitem_id 0
		.amdhsa_next_free_vgpr 1
		.amdhsa_next_free_sgpr 0
		.amdhsa_accum_offset 4
		.amdhsa_reserve_vcc 0
		.amdhsa_float_round_mode_32 0
		.amdhsa_float_round_mode_16_64 0
		.amdhsa_float_denorm_mode_32 3
		.amdhsa_float_denorm_mode_16_64 3
		.amdhsa_dx10_clamp 1
		.amdhsa_ieee_mode 1
		.amdhsa_fp16_overflow 0
		.amdhsa_tg_split 0
		.amdhsa_exception_fp_ieee_invalid_op 0
		.amdhsa_exception_fp_denorm_src 0
		.amdhsa_exception_fp_ieee_div_zero 0
		.amdhsa_exception_fp_ieee_overflow 0
		.amdhsa_exception_fp_ieee_underflow 0
		.amdhsa_exception_fp_ieee_inexact 0
		.amdhsa_exception_int_div_zero 0
	.end_amdhsa_kernel
	.section	.text._ZN7rocprim17ROCPRIM_400000_NS6detail17trampoline_kernelINS0_14default_configENS1_25partition_config_selectorILNS1_17partition_subalgoE0EyNS0_10empty_typeEbEEZZNS1_14partition_implILS5_0ELb0ES3_jN6thrust23THRUST_200600_302600_NS6detail15normal_iteratorINSA_10device_ptrIyEEEEPS6_SG_NS0_5tupleIJSF_NSA_16discard_iteratorINSA_11use_defaultEEEEEENSH_IJSG_SG_EEES6_PlJ7is_evenIyEEEE10hipError_tPvRmT3_T4_T5_T6_T7_T9_mT8_P12ihipStream_tbDpT10_ENKUlT_T0_E_clISt17integral_constantIbLb1EES18_IbLb0EEEEDaS14_S15_EUlS14_E_NS1_11comp_targetILNS1_3genE0ELNS1_11target_archE4294967295ELNS1_3gpuE0ELNS1_3repE0EEENS1_30default_config_static_selectorELNS0_4arch9wavefront6targetE1EEEvT1_,"axG",@progbits,_ZN7rocprim17ROCPRIM_400000_NS6detail17trampoline_kernelINS0_14default_configENS1_25partition_config_selectorILNS1_17partition_subalgoE0EyNS0_10empty_typeEbEEZZNS1_14partition_implILS5_0ELb0ES3_jN6thrust23THRUST_200600_302600_NS6detail15normal_iteratorINSA_10device_ptrIyEEEEPS6_SG_NS0_5tupleIJSF_NSA_16discard_iteratorINSA_11use_defaultEEEEEENSH_IJSG_SG_EEES6_PlJ7is_evenIyEEEE10hipError_tPvRmT3_T4_T5_T6_T7_T9_mT8_P12ihipStream_tbDpT10_ENKUlT_T0_E_clISt17integral_constantIbLb1EES18_IbLb0EEEEDaS14_S15_EUlS14_E_NS1_11comp_targetILNS1_3genE0ELNS1_11target_archE4294967295ELNS1_3gpuE0ELNS1_3repE0EEENS1_30default_config_static_selectorELNS0_4arch9wavefront6targetE1EEEvT1_,comdat
.Lfunc_end2347:
	.size	_ZN7rocprim17ROCPRIM_400000_NS6detail17trampoline_kernelINS0_14default_configENS1_25partition_config_selectorILNS1_17partition_subalgoE0EyNS0_10empty_typeEbEEZZNS1_14partition_implILS5_0ELb0ES3_jN6thrust23THRUST_200600_302600_NS6detail15normal_iteratorINSA_10device_ptrIyEEEEPS6_SG_NS0_5tupleIJSF_NSA_16discard_iteratorINSA_11use_defaultEEEEEENSH_IJSG_SG_EEES6_PlJ7is_evenIyEEEE10hipError_tPvRmT3_T4_T5_T6_T7_T9_mT8_P12ihipStream_tbDpT10_ENKUlT_T0_E_clISt17integral_constantIbLb1EES18_IbLb0EEEEDaS14_S15_EUlS14_E_NS1_11comp_targetILNS1_3genE0ELNS1_11target_archE4294967295ELNS1_3gpuE0ELNS1_3repE0EEENS1_30default_config_static_selectorELNS0_4arch9wavefront6targetE1EEEvT1_, .Lfunc_end2347-_ZN7rocprim17ROCPRIM_400000_NS6detail17trampoline_kernelINS0_14default_configENS1_25partition_config_selectorILNS1_17partition_subalgoE0EyNS0_10empty_typeEbEEZZNS1_14partition_implILS5_0ELb0ES3_jN6thrust23THRUST_200600_302600_NS6detail15normal_iteratorINSA_10device_ptrIyEEEEPS6_SG_NS0_5tupleIJSF_NSA_16discard_iteratorINSA_11use_defaultEEEEEENSH_IJSG_SG_EEES6_PlJ7is_evenIyEEEE10hipError_tPvRmT3_T4_T5_T6_T7_T9_mT8_P12ihipStream_tbDpT10_ENKUlT_T0_E_clISt17integral_constantIbLb1EES18_IbLb0EEEEDaS14_S15_EUlS14_E_NS1_11comp_targetILNS1_3genE0ELNS1_11target_archE4294967295ELNS1_3gpuE0ELNS1_3repE0EEENS1_30default_config_static_selectorELNS0_4arch9wavefront6targetE1EEEvT1_
                                        ; -- End function
	.section	.AMDGPU.csdata,"",@progbits
; Kernel info:
; codeLenInByte = 0
; NumSgprs: 6
; NumVgprs: 0
; NumAgprs: 0
; TotalNumVgprs: 0
; ScratchSize: 0
; MemoryBound: 0
; FloatMode: 240
; IeeeMode: 1
; LDSByteSize: 0 bytes/workgroup (compile time only)
; SGPRBlocks: 0
; VGPRBlocks: 0
; NumSGPRsForWavesPerEU: 6
; NumVGPRsForWavesPerEU: 1
; AccumOffset: 4
; Occupancy: 8
; WaveLimiterHint : 0
; COMPUTE_PGM_RSRC2:SCRATCH_EN: 0
; COMPUTE_PGM_RSRC2:USER_SGPR: 2
; COMPUTE_PGM_RSRC2:TRAP_HANDLER: 0
; COMPUTE_PGM_RSRC2:TGID_X_EN: 1
; COMPUTE_PGM_RSRC2:TGID_Y_EN: 0
; COMPUTE_PGM_RSRC2:TGID_Z_EN: 0
; COMPUTE_PGM_RSRC2:TIDIG_COMP_CNT: 0
; COMPUTE_PGM_RSRC3_GFX90A:ACCUM_OFFSET: 0
; COMPUTE_PGM_RSRC3_GFX90A:TG_SPLIT: 0
	.section	.text._ZN7rocprim17ROCPRIM_400000_NS6detail17trampoline_kernelINS0_14default_configENS1_25partition_config_selectorILNS1_17partition_subalgoE0EyNS0_10empty_typeEbEEZZNS1_14partition_implILS5_0ELb0ES3_jN6thrust23THRUST_200600_302600_NS6detail15normal_iteratorINSA_10device_ptrIyEEEEPS6_SG_NS0_5tupleIJSF_NSA_16discard_iteratorINSA_11use_defaultEEEEEENSH_IJSG_SG_EEES6_PlJ7is_evenIyEEEE10hipError_tPvRmT3_T4_T5_T6_T7_T9_mT8_P12ihipStream_tbDpT10_ENKUlT_T0_E_clISt17integral_constantIbLb1EES18_IbLb0EEEEDaS14_S15_EUlS14_E_NS1_11comp_targetILNS1_3genE5ELNS1_11target_archE942ELNS1_3gpuE9ELNS1_3repE0EEENS1_30default_config_static_selectorELNS0_4arch9wavefront6targetE1EEEvT1_,"axG",@progbits,_ZN7rocprim17ROCPRIM_400000_NS6detail17trampoline_kernelINS0_14default_configENS1_25partition_config_selectorILNS1_17partition_subalgoE0EyNS0_10empty_typeEbEEZZNS1_14partition_implILS5_0ELb0ES3_jN6thrust23THRUST_200600_302600_NS6detail15normal_iteratorINSA_10device_ptrIyEEEEPS6_SG_NS0_5tupleIJSF_NSA_16discard_iteratorINSA_11use_defaultEEEEEENSH_IJSG_SG_EEES6_PlJ7is_evenIyEEEE10hipError_tPvRmT3_T4_T5_T6_T7_T9_mT8_P12ihipStream_tbDpT10_ENKUlT_T0_E_clISt17integral_constantIbLb1EES18_IbLb0EEEEDaS14_S15_EUlS14_E_NS1_11comp_targetILNS1_3genE5ELNS1_11target_archE942ELNS1_3gpuE9ELNS1_3repE0EEENS1_30default_config_static_selectorELNS0_4arch9wavefront6targetE1EEEvT1_,comdat
	.protected	_ZN7rocprim17ROCPRIM_400000_NS6detail17trampoline_kernelINS0_14default_configENS1_25partition_config_selectorILNS1_17partition_subalgoE0EyNS0_10empty_typeEbEEZZNS1_14partition_implILS5_0ELb0ES3_jN6thrust23THRUST_200600_302600_NS6detail15normal_iteratorINSA_10device_ptrIyEEEEPS6_SG_NS0_5tupleIJSF_NSA_16discard_iteratorINSA_11use_defaultEEEEEENSH_IJSG_SG_EEES6_PlJ7is_evenIyEEEE10hipError_tPvRmT3_T4_T5_T6_T7_T9_mT8_P12ihipStream_tbDpT10_ENKUlT_T0_E_clISt17integral_constantIbLb1EES18_IbLb0EEEEDaS14_S15_EUlS14_E_NS1_11comp_targetILNS1_3genE5ELNS1_11target_archE942ELNS1_3gpuE9ELNS1_3repE0EEENS1_30default_config_static_selectorELNS0_4arch9wavefront6targetE1EEEvT1_ ; -- Begin function _ZN7rocprim17ROCPRIM_400000_NS6detail17trampoline_kernelINS0_14default_configENS1_25partition_config_selectorILNS1_17partition_subalgoE0EyNS0_10empty_typeEbEEZZNS1_14partition_implILS5_0ELb0ES3_jN6thrust23THRUST_200600_302600_NS6detail15normal_iteratorINSA_10device_ptrIyEEEEPS6_SG_NS0_5tupleIJSF_NSA_16discard_iteratorINSA_11use_defaultEEEEEENSH_IJSG_SG_EEES6_PlJ7is_evenIyEEEE10hipError_tPvRmT3_T4_T5_T6_T7_T9_mT8_P12ihipStream_tbDpT10_ENKUlT_T0_E_clISt17integral_constantIbLb1EES18_IbLb0EEEEDaS14_S15_EUlS14_E_NS1_11comp_targetILNS1_3genE5ELNS1_11target_archE942ELNS1_3gpuE9ELNS1_3repE0EEENS1_30default_config_static_selectorELNS0_4arch9wavefront6targetE1EEEvT1_
	.globl	_ZN7rocprim17ROCPRIM_400000_NS6detail17trampoline_kernelINS0_14default_configENS1_25partition_config_selectorILNS1_17partition_subalgoE0EyNS0_10empty_typeEbEEZZNS1_14partition_implILS5_0ELb0ES3_jN6thrust23THRUST_200600_302600_NS6detail15normal_iteratorINSA_10device_ptrIyEEEEPS6_SG_NS0_5tupleIJSF_NSA_16discard_iteratorINSA_11use_defaultEEEEEENSH_IJSG_SG_EEES6_PlJ7is_evenIyEEEE10hipError_tPvRmT3_T4_T5_T6_T7_T9_mT8_P12ihipStream_tbDpT10_ENKUlT_T0_E_clISt17integral_constantIbLb1EES18_IbLb0EEEEDaS14_S15_EUlS14_E_NS1_11comp_targetILNS1_3genE5ELNS1_11target_archE942ELNS1_3gpuE9ELNS1_3repE0EEENS1_30default_config_static_selectorELNS0_4arch9wavefront6targetE1EEEvT1_
	.p2align	8
	.type	_ZN7rocprim17ROCPRIM_400000_NS6detail17trampoline_kernelINS0_14default_configENS1_25partition_config_selectorILNS1_17partition_subalgoE0EyNS0_10empty_typeEbEEZZNS1_14partition_implILS5_0ELb0ES3_jN6thrust23THRUST_200600_302600_NS6detail15normal_iteratorINSA_10device_ptrIyEEEEPS6_SG_NS0_5tupleIJSF_NSA_16discard_iteratorINSA_11use_defaultEEEEEENSH_IJSG_SG_EEES6_PlJ7is_evenIyEEEE10hipError_tPvRmT3_T4_T5_T6_T7_T9_mT8_P12ihipStream_tbDpT10_ENKUlT_T0_E_clISt17integral_constantIbLb1EES18_IbLb0EEEEDaS14_S15_EUlS14_E_NS1_11comp_targetILNS1_3genE5ELNS1_11target_archE942ELNS1_3gpuE9ELNS1_3repE0EEENS1_30default_config_static_selectorELNS0_4arch9wavefront6targetE1EEEvT1_,@function
_ZN7rocprim17ROCPRIM_400000_NS6detail17trampoline_kernelINS0_14default_configENS1_25partition_config_selectorILNS1_17partition_subalgoE0EyNS0_10empty_typeEbEEZZNS1_14partition_implILS5_0ELb0ES3_jN6thrust23THRUST_200600_302600_NS6detail15normal_iteratorINSA_10device_ptrIyEEEEPS6_SG_NS0_5tupleIJSF_NSA_16discard_iteratorINSA_11use_defaultEEEEEENSH_IJSG_SG_EEES6_PlJ7is_evenIyEEEE10hipError_tPvRmT3_T4_T5_T6_T7_T9_mT8_P12ihipStream_tbDpT10_ENKUlT_T0_E_clISt17integral_constantIbLb1EES18_IbLb0EEEEDaS14_S15_EUlS14_E_NS1_11comp_targetILNS1_3genE5ELNS1_11target_archE942ELNS1_3gpuE9ELNS1_3repE0EEENS1_30default_config_static_selectorELNS0_4arch9wavefront6targetE1EEEvT1_: ; @_ZN7rocprim17ROCPRIM_400000_NS6detail17trampoline_kernelINS0_14default_configENS1_25partition_config_selectorILNS1_17partition_subalgoE0EyNS0_10empty_typeEbEEZZNS1_14partition_implILS5_0ELb0ES3_jN6thrust23THRUST_200600_302600_NS6detail15normal_iteratorINSA_10device_ptrIyEEEEPS6_SG_NS0_5tupleIJSF_NSA_16discard_iteratorINSA_11use_defaultEEEEEENSH_IJSG_SG_EEES6_PlJ7is_evenIyEEEE10hipError_tPvRmT3_T4_T5_T6_T7_T9_mT8_P12ihipStream_tbDpT10_ENKUlT_T0_E_clISt17integral_constantIbLb1EES18_IbLb0EEEEDaS14_S15_EUlS14_E_NS1_11comp_targetILNS1_3genE5ELNS1_11target_archE942ELNS1_3gpuE9ELNS1_3repE0EEENS1_30default_config_static_selectorELNS0_4arch9wavefront6targetE1EEEvT1_
; %bb.0:
	s_load_dwordx2 s[8:9], s[0:1], 0x60
	s_load_dwordx4 s[4:7], s[0:1], 0x8
	s_load_dwordx4 s[24:27], s[0:1], 0x50
	s_load_dword s3, s[0:1], 0x78
	v_lshlrev_b32_e32 v18, 3, v0
	s_waitcnt lgkmcnt(0)
	v_mov_b32_e32 v3, s9
	s_lshl_b64 s[10:11], s[6:7], 3
	s_add_u32 s9, s4, s10
	s_addc_u32 s12, s5, s11
	s_add_i32 s13, s3, -1
	s_mulk_i32 s3, 0xe00
	s_add_i32 s4, s3, s6
	s_sub_i32 s33, s8, s4
	s_add_u32 s4, s6, s3
	s_addc_u32 s5, s7, 0
	s_cmp_eq_u32 s2, s13
	v_mov_b32_e32 v2, s8
	s_load_dwordx2 s[22:23], s[26:27], 0x0
	s_cselect_b64 s[26:27], -1, 0
	s_cmp_lg_u32 s2, s13
	s_mul_i32 s10, s2, 0xe00
	s_mov_b32 s11, 0
	v_cmp_lt_u64_e32 vcc, s[4:5], v[2:3]
	s_cselect_b64 s[4:5], -1, 0
	s_or_b64 s[4:5], s[4:5], vcc
	s_lshl_b64 s[6:7], s[10:11], 3
	s_add_u32 s6, s9, s6
	s_addc_u32 s7, s12, s7
	s_mov_b64 s[8:9], -1
	s_and_b64 vcc, exec, s[4:5]
	s_cbranch_vccz .LBB2348_2
; %bb.1:
	v_mov_b32_e32 v19, 0
	v_lshl_add_u64 v[2:3], s[6:7], 0, v[18:19]
	v_add_co_u32_e32 v4, vcc, 0x1000, v2
	s_mov_b64 s[8:9], 0
	s_nop 0
	v_addc_co_u32_e32 v5, vcc, 0, v3, vcc
	v_add_co_u32_e32 v6, vcc, 0x2000, v2
	s_nop 1
	v_addc_co_u32_e32 v7, vcc, 0, v3, vcc
	v_add_co_u32_e32 v8, vcc, 0x3000, v2
	s_nop 1
	v_addc_co_u32_e32 v9, vcc, 0, v3, vcc
	flat_load_dwordx2 v[10:11], v[2:3]
	flat_load_dwordx2 v[12:13], v[4:5]
	flat_load_dwordx2 v[14:15], v[6:7]
	flat_load_dwordx2 v[16:17], v[8:9]
	v_add_co_u32_e32 v4, vcc, 0x4000, v2
	s_nop 1
	v_addc_co_u32_e32 v5, vcc, 0, v3, vcc
	v_add_co_u32_e32 v6, vcc, 0x5000, v2
	s_nop 1
	v_addc_co_u32_e32 v7, vcc, 0, v3, vcc
	;; [unrolled: 3-line block ×3, first 2 shown]
	flat_load_dwordx2 v[8:9], v[4:5]
	flat_load_dwordx2 v[20:21], v[6:7]
	;; [unrolled: 1-line block ×3, first 2 shown]
	s_waitcnt vmcnt(0) lgkmcnt(0)
	ds_write2st64_b64 v18, v[10:11], v[12:13] offset1:8
	ds_write2st64_b64 v18, v[14:15], v[16:17] offset0:16 offset1:24
	ds_write2st64_b64 v18, v[8:9], v[20:21] offset0:32 offset1:40
	ds_write_b64 v18, v[22:23] offset:24576
	s_waitcnt lgkmcnt(0)
	s_barrier
.LBB2348_2:
	s_andn2_b64 vcc, exec, s[8:9]
	s_addk_i32 s33, 0xe00
	s_cbranch_vccnz .LBB2348_18
; %bb.3:
	v_cmp_gt_u32_e32 vcc, s33, v0
                                        ; implicit-def: $vgpr2_vgpr3_vgpr4_vgpr5_vgpr6_vgpr7_vgpr8_vgpr9_vgpr10_vgpr11_vgpr12_vgpr13_vgpr14_vgpr15_vgpr16_vgpr17
	s_and_saveexec_b64 s[8:9], vcc
	s_cbranch_execz .LBB2348_5
; %bb.4:
	v_mov_b32_e32 v19, 0
	v_lshl_add_u64 v[2:3], s[6:7], 0, v[18:19]
	flat_load_dwordx2 v[2:3], v[2:3]
.LBB2348_5:
	s_or_b64 exec, exec, s[8:9]
	v_or_b32_e32 v1, 0x200, v0
	v_cmp_gt_u32_e32 vcc, s33, v1
	s_and_saveexec_b64 s[8:9], vcc
	s_cbranch_execz .LBB2348_7
; %bb.6:
	v_lshlrev_b32_e32 v4, 3, v1
	v_mov_b32_e32 v5, 0
	v_lshl_add_u64 v[4:5], s[6:7], 0, v[4:5]
	flat_load_dwordx2 v[4:5], v[4:5]
.LBB2348_7:
	s_or_b64 exec, exec, s[8:9]
	v_or_b32_e32 v1, 0x400, v0
	v_cmp_gt_u32_e32 vcc, s33, v1
	s_and_saveexec_b64 s[8:9], vcc
	s_cbranch_execz .LBB2348_9
; %bb.8:
	v_lshlrev_b32_e32 v6, 3, v1
	v_mov_b32_e32 v7, 0
	v_lshl_add_u64 v[6:7], s[6:7], 0, v[6:7]
	flat_load_dwordx2 v[6:7], v[6:7]
.LBB2348_9:
	;; [unrolled: 11-line block ×6, first 2 shown]
	s_or_b64 exec, exec, s[8:9]
	s_waitcnt vmcnt(0) lgkmcnt(0)
	ds_write2st64_b64 v18, v[2:3], v[4:5] offset1:8
	ds_write2st64_b64 v18, v[6:7], v[8:9] offset0:16 offset1:24
	ds_write2st64_b64 v18, v[10:11], v[12:13] offset0:32 offset1:40
	ds_write_b64 v18, v[14:15] offset:24576
	s_waitcnt lgkmcnt(0)
	s_barrier
.LBB2348_18:
	v_mul_u32_u24_e32 v1, 7, v0
	v_lshlrev_b32_e32 v32, 3, v1
	s_waitcnt lgkmcnt(0)
	ds_read2_b64 v[10:13], v32 offset1:1
	ds_read2_b64 v[6:9], v32 offset0:2 offset1:3
	ds_read2_b64 v[2:5], v32 offset0:4 offset1:5
	ds_read_b64 v[14:15], v32 offset:48
	v_cndmask_b32_e64 v16, 0, 1, s[4:5]
	v_cmp_ne_u32_e64 s[20:21], 1, v16
	s_andn2_b64 vcc, exec, s[4:5]
	s_waitcnt lgkmcnt(3)
	v_xor_b32_e32 v24, -1, v10
	v_xor_b32_e32 v23, -1, v12
	s_waitcnt lgkmcnt(2)
	v_xor_b32_e32 v22, -1, v6
	v_xor_b32_e32 v21, -1, v8
	;; [unrolled: 3-line block ×3, first 2 shown]
	s_waitcnt lgkmcnt(0)
	v_xor_b32_e32 v16, -1, v14
	s_barrier
	s_cbranch_vccnz .LBB2348_20
; %bb.19:
	v_mov_b32_e32 v19, 1
	v_and_b32_e32 v25, 1, v24
	v_and_b32_sdwa v26, v23, v19 dst_sel:BYTE_1 dst_unused:UNUSED_PAD src0_sel:DWORD src1_sel:DWORD
	v_and_b32_e32 v27, 1, v22
	v_and_b32_sdwa v30, v21, v19 dst_sel:BYTE_1 dst_unused:UNUSED_PAD src0_sel:DWORD src1_sel:DWORD
	v_or_b32_e32 v25, v25, v26
	v_or_b32_sdwa v26, v27, v30 dst_sel:WORD_1 dst_unused:UNUSED_PAD src0_sel:DWORD src1_sel:DWORD
	v_and_b32_e32 v29, 1, v20
	v_and_b32_e32 v28, 1, v17
	;; [unrolled: 1-line block ×3, first 2 shown]
	v_or_b32_sdwa v30, v25, v26 dst_sel:DWORD dst_unused:UNUSED_PAD src0_sel:WORD_0 src1_sel:DWORD
	s_load_dwordx2 s[28:29], s[0:1], 0x70
	s_cbranch_execz .LBB2348_21
	s_branch .LBB2348_22
.LBB2348_20:
                                        ; implicit-def: $vgpr19
                                        ; implicit-def: $vgpr28
                                        ; implicit-def: $vgpr29
                                        ; implicit-def: $vgpr30
	s_load_dwordx2 s[28:29], s[0:1], 0x70
.LBB2348_21:
	v_add_u32_e32 v19, 1, v1
	v_cmp_gt_u32_e32 vcc, s33, v1
	v_add_u32_e32 v25, 2, v1
	v_add_u32_e32 v26, 3, v1
	v_cndmask_b32_e64 v29, 0, 1, vcc
	v_cmp_gt_u32_e32 vcc, s33, v19
	v_add_u32_e32 v27, 4, v1
	v_add_u32_e32 v28, 5, v1
	v_cndmask_b32_e64 v19, 0, 1, vcc
	v_cmp_gt_u32_e32 vcc, s33, v25
	v_and_b32_sdwa v23, v19, v23 dst_sel:BYTE_1 dst_unused:UNUSED_PAD src0_sel:DWORD src1_sel:DWORD
	v_add_u32_e32 v30, 6, v1
	v_cndmask_b32_e64 v19, 0, 1, vcc
	v_cmp_gt_u32_e32 vcc, s33, v26
	v_and_b32_e32 v22, v19, v22
	v_and_b32_e32 v24, v29, v24
	v_cndmask_b32_e64 v19, 0, 1, vcc
	v_cmp_gt_u32_e32 vcc, s33, v27
	v_and_b32_sdwa v21, v19, v21 dst_sel:BYTE_1 dst_unused:UNUSED_PAD src0_sel:DWORD src1_sel:DWORD
	s_nop 0
	v_cndmask_b32_e64 v19, 0, 1, vcc
	v_cmp_gt_u32_e32 vcc, s33, v28
	v_and_b32_e32 v29, v19, v20
	s_nop 0
	v_cndmask_b32_e64 v19, 0, 1, vcc
	v_cmp_gt_u32_e32 vcc, s33, v30
	v_and_b32_e32 v28, v19, v17
	s_nop 0
	v_cndmask_b32_e64 v17, 0, 1, vcc
	v_and_b32_e32 v19, v17, v16
	v_or_b32_e32 v16, v24, v23
	v_or_b32_sdwa v17, v22, v21 dst_sel:WORD_1 dst_unused:UNUSED_PAD src0_sel:DWORD src1_sel:DWORD
	s_nop 0
	v_or_b32_sdwa v30, v16, v17 dst_sel:DWORD dst_unused:UNUSED_PAD src0_sel:WORD_0 src1_sel:DWORD
.LBB2348_22:
	v_and_b32_e32 v33, 0xff, v30
	v_bfe_u32 v34, v30, 8, 8
	v_bfe_u32 v35, v30, 16, 8
	v_lshrrev_b32_e32 v31, 24, v30
	v_and_b32_e32 v36, 0xff, v29
	v_add3_u32 v17, v34, v33, v35
	v_and_b32_e32 v37, 0xff, v28
	v_and_b32_e32 v16, 0xff, v19
	v_add3_u32 v17, v17, v31, v36
	v_add3_u32 v40, v17, v37, v16
	v_mbcnt_lo_u32_b32 v16, -1, 0
	v_mbcnt_hi_u32_b32 v38, -1, v16
	v_and_b32_e32 v16, 15, v38
	v_cmp_eq_u32_e64 s[16:17], 0, v16
	v_cmp_lt_u32_e64 s[14:15], 1, v16
	v_cmp_lt_u32_e64 s[12:13], 3, v16
	;; [unrolled: 1-line block ×3, first 2 shown]
	v_and_b32_e32 v16, 16, v38
	v_cmp_eq_u32_e64 s[8:9], 0, v16
	v_or_b32_e32 v16, 63, v0
	s_cmp_lg_u32 s2, 0
	v_cmp_lt_u32_e64 s[4:5], 31, v38
	v_lshrrev_b32_e32 v39, 6, v0
	v_cmp_eq_u32_e64 s[6:7], v16, v0
	s_cbranch_scc0 .LBB2348_53
; %bb.23:
	v_mov_b32_dpp v16, v40 row_shr:1 row_mask:0xf bank_mask:0xf
	v_cndmask_b32_e64 v16, v16, 0, s[16:17]
	v_add_u32_e32 v16, v16, v40
	s_nop 1
	v_mov_b32_dpp v17, v16 row_shr:2 row_mask:0xf bank_mask:0xf
	v_cndmask_b32_e64 v17, 0, v17, s[14:15]
	v_add_u32_e32 v16, v16, v17
	s_nop 1
	;; [unrolled: 4-line block ×4, first 2 shown]
	v_mov_b32_dpp v17, v16 row_bcast:15 row_mask:0xf bank_mask:0xf
	v_cndmask_b32_e64 v17, v17, 0, s[8:9]
	v_add_u32_e32 v16, v16, v17
	s_nop 1
	v_mov_b32_dpp v17, v16 row_bcast:31 row_mask:0xf bank_mask:0xf
	v_cndmask_b32_e64 v17, 0, v17, s[4:5]
	v_add_u32_e32 v16, v16, v17
	s_and_saveexec_b64 s[18:19], s[6:7]
	s_cbranch_execz .LBB2348_25
; %bb.24:
	v_lshlrev_b32_e32 v17, 2, v39
	ds_write_b32 v17, v16
.LBB2348_25:
	s_or_b64 exec, exec, s[18:19]
	v_cmp_gt_u32_e32 vcc, 8, v0
	s_waitcnt lgkmcnt(0)
	s_barrier
	s_and_saveexec_b64 s[18:19], vcc
	s_cbranch_execz .LBB2348_27
; %bb.26:
	v_lshlrev_b32_e32 v17, 2, v0
	ds_read_b32 v20, v17
	v_and_b32_e32 v21, 7, v38
	v_cmp_ne_u32_e32 vcc, 0, v21
	s_waitcnt lgkmcnt(0)
	v_mov_b32_dpp v22, v20 row_shr:1 row_mask:0xf bank_mask:0xf
	v_cndmask_b32_e32 v22, 0, v22, vcc
	v_add_u32_e32 v20, v22, v20
	v_cmp_lt_u32_e32 vcc, 1, v21
	s_nop 0
	v_mov_b32_dpp v22, v20 row_shr:2 row_mask:0xf bank_mask:0xf
	v_cndmask_b32_e32 v22, 0, v22, vcc
	v_add_u32_e32 v20, v20, v22
	v_cmp_lt_u32_e32 vcc, 3, v21
	s_nop 0
	v_mov_b32_dpp v22, v20 row_shr:4 row_mask:0xf bank_mask:0xf
	v_cndmask_b32_e32 v21, 0, v22, vcc
	v_add_u32_e32 v20, v20, v21
	ds_write_b32 v17, v20
.LBB2348_27:
	s_or_b64 exec, exec, s[18:19]
	v_cmp_gt_u32_e32 vcc, 64, v0
	v_cmp_lt_u32_e64 s[18:19], 63, v0
	s_waitcnt lgkmcnt(0)
	s_barrier
	s_waitcnt lgkmcnt(0)
                                        ; implicit-def: $vgpr41
	s_and_saveexec_b64 s[30:31], s[18:19]
	s_cbranch_execz .LBB2348_29
; %bb.28:
	v_lshl_add_u32 v17, v39, 2, -4
	ds_read_b32 v41, v17
	s_waitcnt lgkmcnt(0)
	v_add_u32_e32 v16, v41, v16
.LBB2348_29:
	s_or_b64 exec, exec, s[30:31]
	v_add_u32_e32 v17, -1, v38
	v_and_b32_e32 v20, 64, v38
	v_cmp_lt_i32_e64 s[18:19], v17, v20
	s_nop 1
	v_cndmask_b32_e64 v17, v17, v38, s[18:19]
	v_lshlrev_b32_e32 v17, 2, v17
	ds_bpermute_b32 v42, v17, v16
	v_cmp_eq_u32_e64 s[18:19], 0, v38
	s_and_saveexec_b64 s[30:31], vcc
	s_cbranch_execz .LBB2348_52
; %bb.30:
	v_mov_b32_e32 v27, 0
	ds_read_b32 v16, v27 offset:28
	s_and_saveexec_b64 s[34:35], s[18:19]
	s_cbranch_execz .LBB2348_32
; %bb.31:
	s_add_i32 s36, s2, 64
	s_mov_b32 s37, 0
	s_lshl_b64 s[36:37], s[36:37], 3
	s_add_u32 s36, s28, s36
	v_mov_b32_e32 v17, 1
	s_addc_u32 s37, s29, s37
	s_waitcnt lgkmcnt(0)
	global_store_dwordx2 v27, v[16:17], s[36:37] sc1
.LBB2348_32:
	s_or_b64 exec, exec, s[34:35]
	v_xad_u32 v20, v38, -1, s2
	v_add_u32_e32 v26, 64, v20
	v_lshl_add_u64 v[22:23], v[26:27], 3, s[28:29]
	global_load_dwordx2 v[24:25], v[22:23], off sc1
	s_waitcnt vmcnt(0)
	v_cmp_eq_u16_sdwa s[36:37], v25, v27 src0_sel:BYTE_0 src1_sel:DWORD
	s_and_saveexec_b64 s[34:35], s[36:37]
	s_cbranch_execz .LBB2348_38
; %bb.33:
	s_mov_b32 s3, 1
	s_mov_b64 s[36:37], 0
	v_mov_b32_e32 v17, 0
.LBB2348_34:                            ; =>This Loop Header: Depth=1
                                        ;     Child Loop BB2348_35 Depth 2
	s_max_u32 s38, s3, 1
.LBB2348_35:                            ;   Parent Loop BB2348_34 Depth=1
                                        ; =>  This Inner Loop Header: Depth=2
	s_add_i32 s38, s38, -1
	s_cmp_eq_u32 s38, 0
	s_sleep 1
	s_cbranch_scc0 .LBB2348_35
; %bb.36:                               ;   in Loop: Header=BB2348_34 Depth=1
	global_load_dwordx2 v[24:25], v[22:23], off sc1
	s_cmp_lt_u32 s3, 32
	s_cselect_b64 s[38:39], -1, 0
	s_cmp_lg_u64 s[38:39], 0
	s_addc_u32 s3, s3, 0
	s_waitcnt vmcnt(0)
	v_cmp_ne_u16_sdwa s[38:39], v25, v17 src0_sel:BYTE_0 src1_sel:DWORD
	s_or_b64 s[36:37], s[38:39], s[36:37]
	s_andn2_b64 exec, exec, s[36:37]
	s_cbranch_execnz .LBB2348_34
; %bb.37:
	s_or_b64 exec, exec, s[36:37]
.LBB2348_38:
	s_or_b64 exec, exec, s[34:35]
	v_and_b32_e32 v44, 63, v38
	v_mov_b32_e32 v43, 2
	v_cmp_ne_u32_e32 vcc, 63, v44
	v_cmp_eq_u16_sdwa s[34:35], v25, v43 src0_sel:BYTE_0 src1_sel:DWORD
	v_lshlrev_b64 v[22:23], v38, -1
	v_addc_co_u32_e32 v26, vcc, 0, v38, vcc
	v_and_b32_e32 v17, s35, v23
	v_lshlrev_b32_e32 v45, 2, v26
	v_or_b32_e32 v17, 0x80000000, v17
	ds_bpermute_b32 v26, v45, v24
	v_and_b32_e32 v21, s34, v22
	v_ffbl_b32_e32 v17, v17
	v_add_u32_e32 v17, 32, v17
	v_ffbl_b32_e32 v21, v21
	v_min_u32_e32 v17, v21, v17
	v_cmp_lt_u32_e32 vcc, v44, v17
	v_add_u32_e32 v47, 2, v44
	v_add_u32_e32 v49, 4, v44
	s_waitcnt lgkmcnt(0)
	v_cndmask_b32_e32 v21, 0, v26, vcc
	v_cmp_gt_u32_e32 vcc, 62, v44
	v_add_u32_e32 v21, v21, v24
	v_add_u32_e32 v51, 8, v44
	v_cndmask_b32_e64 v24, 0, 1, vcc
	v_lshlrev_b32_e32 v24, 1, v24
	v_add_lshl_u32 v46, v24, v38, 2
	ds_bpermute_b32 v24, v46, v21
	v_cmp_le_u32_e32 vcc, v47, v17
	v_add_u32_e32 v53, 16, v44
	v_add_u32_e32 v55, 32, v44
	s_waitcnt lgkmcnt(0)
	v_cndmask_b32_e32 v24, 0, v24, vcc
	v_cmp_gt_u32_e32 vcc, 60, v44
	v_add_u32_e32 v21, v21, v24
	s_nop 0
	v_cndmask_b32_e64 v24, 0, 1, vcc
	v_lshlrev_b32_e32 v24, 2, v24
	v_add_lshl_u32 v48, v24, v38, 2
	ds_bpermute_b32 v24, v48, v21
	v_cmp_le_u32_e32 vcc, v49, v17
	s_waitcnt lgkmcnt(0)
	s_nop 0
	v_cndmask_b32_e32 v24, 0, v24, vcc
	v_cmp_gt_u32_e32 vcc, 56, v44
	v_add_u32_e32 v21, v21, v24
	s_nop 0
	v_cndmask_b32_e64 v24, 0, 1, vcc
	v_lshlrev_b32_e32 v24, 3, v24
	v_add_lshl_u32 v50, v24, v38, 2
	ds_bpermute_b32 v24, v50, v21
	v_cmp_le_u32_e32 vcc, v51, v17
	s_waitcnt lgkmcnt(0)
	s_nop 0
	;; [unrolled: 11-line block ×4, first 2 shown]
	v_cndmask_b32_e32 v17, 0, v24, vcc
	v_add_u32_e32 v24, v21, v17
	v_mov_b32_e32 v21, 0
	s_branch .LBB2348_40
.LBB2348_39:                            ;   in Loop: Header=BB2348_40 Depth=1
	s_or_b64 exec, exec, s[34:35]
	v_cmp_eq_u16_sdwa s[34:35], v25, v43 src0_sel:BYTE_0 src1_sel:DWORD
	ds_bpermute_b32 v56, v45, v24
	v_subrev_u32_e32 v20, 64, v20
	v_and_b32_e32 v26, s35, v23
	v_or_b32_e32 v26, 0x80000000, v26
	v_and_b32_e32 v27, s34, v22
	v_ffbl_b32_e32 v26, v26
	v_add_u32_e32 v26, 32, v26
	v_ffbl_b32_e32 v27, v27
	v_min_u32_e32 v26, v27, v26
	v_cmp_lt_u32_e32 vcc, v44, v26
	s_waitcnt lgkmcnt(0)
	s_nop 0
	v_cndmask_b32_e32 v27, 0, v56, vcc
	v_add_u32_e32 v24, v27, v24
	ds_bpermute_b32 v27, v46, v24
	v_cmp_le_u32_e32 vcc, v47, v26
	s_waitcnt lgkmcnt(0)
	s_nop 0
	v_cndmask_b32_e32 v27, 0, v27, vcc
	v_add_u32_e32 v24, v24, v27
	ds_bpermute_b32 v27, v48, v24
	v_cmp_le_u32_e32 vcc, v49, v26
	;; [unrolled: 6-line block ×5, first 2 shown]
	s_waitcnt lgkmcnt(0)
	s_nop 0
	v_cndmask_b32_e32 v26, 0, v27, vcc
	v_add3_u32 v24, v26, v17, v24
.LBB2348_40:                            ; =>This Loop Header: Depth=1
                                        ;     Child Loop BB2348_43 Depth 2
                                        ;       Child Loop BB2348_44 Depth 3
	v_cmp_ne_u16_sdwa s[34:35], v25, v43 src0_sel:BYTE_0 src1_sel:DWORD
	s_nop 1
	v_cndmask_b32_e64 v17, 0, 1, s[34:35]
	;;#ASMSTART
	;;#ASMEND
	s_nop 0
	v_cmp_ne_u32_e32 vcc, 0, v17
	s_cmp_lg_u64 vcc, exec
	v_mov_b32_e32 v17, v24
	s_cbranch_scc1 .LBB2348_47
; %bb.41:                               ;   in Loop: Header=BB2348_40 Depth=1
	v_lshl_add_u64 v[26:27], v[20:21], 3, s[28:29]
	global_load_dwordx2 v[24:25], v[26:27], off sc1
	s_waitcnt vmcnt(0)
	v_cmp_eq_u16_sdwa s[36:37], v25, v21 src0_sel:BYTE_0 src1_sel:DWORD
	s_and_saveexec_b64 s[34:35], s[36:37]
	s_cbranch_execz .LBB2348_39
; %bb.42:                               ;   in Loop: Header=BB2348_40 Depth=1
	s_mov_b32 s3, 1
	s_mov_b64 s[36:37], 0
.LBB2348_43:                            ;   Parent Loop BB2348_40 Depth=1
                                        ; =>  This Loop Header: Depth=2
                                        ;       Child Loop BB2348_44 Depth 3
	s_max_u32 s38, s3, 1
.LBB2348_44:                            ;   Parent Loop BB2348_40 Depth=1
                                        ;     Parent Loop BB2348_43 Depth=2
                                        ; =>    This Inner Loop Header: Depth=3
	s_add_i32 s38, s38, -1
	s_cmp_eq_u32 s38, 0
	s_sleep 1
	s_cbranch_scc0 .LBB2348_44
; %bb.45:                               ;   in Loop: Header=BB2348_43 Depth=2
	global_load_dwordx2 v[24:25], v[26:27], off sc1
	s_cmp_lt_u32 s3, 32
	s_cselect_b64 s[38:39], -1, 0
	s_cmp_lg_u64 s[38:39], 0
	s_addc_u32 s3, s3, 0
	s_waitcnt vmcnt(0)
	v_cmp_ne_u16_sdwa s[38:39], v25, v21 src0_sel:BYTE_0 src1_sel:DWORD
	s_or_b64 s[36:37], s[38:39], s[36:37]
	s_andn2_b64 exec, exec, s[36:37]
	s_cbranch_execnz .LBB2348_43
; %bb.46:                               ;   in Loop: Header=BB2348_40 Depth=1
	s_or_b64 exec, exec, s[36:37]
	s_branch .LBB2348_39
.LBB2348_47:                            ;   in Loop: Header=BB2348_40 Depth=1
                                        ; implicit-def: $vgpr24
                                        ; implicit-def: $vgpr25
	s_cbranch_execz .LBB2348_40
; %bb.48:
	s_and_saveexec_b64 s[34:35], s[18:19]
	s_cbranch_execz .LBB2348_50
; %bb.49:
	s_add_i32 s2, s2, 64
	s_mov_b32 s3, 0
	s_lshl_b64 s[2:3], s[2:3], 3
	s_add_u32 s2, s28, s2
	v_add_u32_e32 v20, v17, v16
	v_mov_b32_e32 v21, 2
	s_addc_u32 s3, s29, s3
	v_mov_b32_e32 v22, 0
	global_store_dwordx2 v22, v[20:21], s[2:3] sc1
	ds_write_b64 v22, v[16:17] offset:28672
.LBB2348_50:
	s_or_b64 exec, exec, s[34:35]
	v_cmp_eq_u32_e32 vcc, 0, v0
	s_and_b64 exec, exec, vcc
	s_cbranch_execz .LBB2348_52
; %bb.51:
	v_mov_b32_e32 v16, 0
	ds_write_b32 v16, v17 offset:28
.LBB2348_52:
	s_or_b64 exec, exec, s[30:31]
	v_mov_b32_e32 v16, 0
	s_waitcnt lgkmcnt(0)
	s_barrier
	ds_read_b32 v17, v16 offset:28
	v_cndmask_b32_e64 v20, v42, v41, s[18:19]
	v_cmp_ne_u32_e32 vcc, 0, v0
	s_waitcnt lgkmcnt(0)
	s_barrier
	v_cndmask_b32_e32 v20, 0, v20, vcc
	v_add_u32_e32 v27, v17, v20
	v_add_u32_e32 v26, v27, v33
	ds_read_b64 v[16:17], v16 offset:28672
	v_add_u32_e32 v25, v26, v34
	v_add_u32_e32 v24, v25, v35
	;; [unrolled: 1-line block ×5, first 2 shown]
	s_waitcnt lgkmcnt(0)
	v_mov_b32_e32 v20, v17
	s_load_dwordx2 s[2:3], s[0:1], 0x28
	s_branch .LBB2348_63
.LBB2348_53:
                                        ; implicit-def: $vgpr20
                                        ; implicit-def: $vgpr16
                                        ; implicit-def: $vgpr21
                                        ; implicit-def: $vgpr22
                                        ; implicit-def: $vgpr23
                                        ; implicit-def: $vgpr24
                                        ; implicit-def: $vgpr25
                                        ; implicit-def: $vgpr26
                                        ; implicit-def: $vgpr27
	s_load_dwordx2 s[2:3], s[0:1], 0x28
	s_cbranch_execz .LBB2348_63
; %bb.54:
	v_mov_b32_dpp v16, v40 row_shr:1 row_mask:0xf bank_mask:0xf
	v_cndmask_b32_e64 v16, v16, 0, s[16:17]
	v_add_u32_e32 v16, v16, v40
	s_nop 1
	v_mov_b32_dpp v17, v16 row_shr:2 row_mask:0xf bank_mask:0xf
	v_cndmask_b32_e64 v17, 0, v17, s[14:15]
	v_add_u32_e32 v16, v16, v17
	s_nop 1
	;; [unrolled: 4-line block ×4, first 2 shown]
	v_mov_b32_dpp v17, v16 row_bcast:15 row_mask:0xf bank_mask:0xf
	v_cndmask_b32_e64 v17, v17, 0, s[8:9]
	v_add_u32_e32 v16, v16, v17
	s_nop 1
	v_mov_b32_dpp v17, v16 row_bcast:31 row_mask:0xf bank_mask:0xf
	v_cndmask_b32_e64 v17, 0, v17, s[4:5]
	v_add_u32_e32 v16, v16, v17
	s_and_saveexec_b64 s[0:1], s[6:7]
	s_cbranch_execz .LBB2348_56
; %bb.55:
	v_lshlrev_b32_e32 v17, 2, v39
	ds_write_b32 v17, v16
.LBB2348_56:
	s_or_b64 exec, exec, s[0:1]
	v_cmp_gt_u32_e32 vcc, 8, v0
	s_waitcnt lgkmcnt(0)
	s_barrier
	s_and_saveexec_b64 s[0:1], vcc
	s_cbranch_execz .LBB2348_58
; %bb.57:
	s_movk_i32 s4, 0xffcc
	v_mad_i32_i24 v17, v0, s4, v32
	ds_read_b32 v20, v17
	v_and_b32_e32 v21, 7, v38
	v_cmp_ne_u32_e32 vcc, 0, v21
	s_waitcnt lgkmcnt(0)
	v_mov_b32_dpp v22, v20 row_shr:1 row_mask:0xf bank_mask:0xf
	v_cndmask_b32_e32 v22, 0, v22, vcc
	v_add_u32_e32 v20, v22, v20
	v_cmp_lt_u32_e32 vcc, 1, v21
	s_nop 0
	v_mov_b32_dpp v22, v20 row_shr:2 row_mask:0xf bank_mask:0xf
	v_cndmask_b32_e32 v22, 0, v22, vcc
	v_add_u32_e32 v20, v20, v22
	v_cmp_lt_u32_e32 vcc, 3, v21
	s_nop 0
	v_mov_b32_dpp v22, v20 row_shr:4 row_mask:0xf bank_mask:0xf
	v_cndmask_b32_e32 v21, 0, v22, vcc
	v_add_u32_e32 v20, v20, v21
	ds_write_b32 v17, v20
.LBB2348_58:
	s_or_b64 exec, exec, s[0:1]
	v_cmp_lt_u32_e32 vcc, 63, v0
	v_mov_b32_e32 v17, 0
	v_mov_b32_e32 v20, 0
	s_waitcnt lgkmcnt(0)
	s_barrier
	s_and_saveexec_b64 s[0:1], vcc
	s_cbranch_execz .LBB2348_60
; %bb.59:
	v_lshl_add_u32 v20, v39, 2, -4
	ds_read_b32 v20, v20
.LBB2348_60:
	s_or_b64 exec, exec, s[0:1]
	v_add_u32_e32 v21, -1, v38
	v_and_b32_e32 v22, 64, v38
	v_cmp_lt_i32_e32 vcc, v21, v22
	s_waitcnt lgkmcnt(0)
	v_add_u32_e32 v16, v20, v16
	v_cndmask_b32_e32 v21, v21, v38, vcc
	v_lshlrev_b32_e32 v21, 2, v21
	ds_bpermute_b32 v21, v21, v16
	ds_read_b32 v16, v17 offset:28
	v_cmp_eq_u32_e32 vcc, 0, v0
	s_and_saveexec_b64 s[0:1], vcc
	s_cbranch_execz .LBB2348_62
; %bb.61:
	v_mov_b32_e32 v22, 0
	v_mov_b32_e32 v17, 2
	s_waitcnt lgkmcnt(0)
	global_store_dwordx2 v22, v[16:17], s[28:29] offset:512 sc1
.LBB2348_62:
	s_or_b64 exec, exec, s[0:1]
	v_cmp_eq_u32_e64 s[0:1], 0, v38
	s_waitcnt lgkmcnt(0)
	s_barrier
	v_cndmask_b32_e64 v17, v21, v20, s[0:1]
	v_cndmask_b32_e64 v27, v17, 0, vcc
	v_add_u32_e32 v26, v27, v33
	v_add_u32_e32 v25, v26, v34
	;; [unrolled: 1-line block ×5, first 2 shown]
	v_mov_b32_e32 v20, 0
	v_add_u32_e32 v21, v22, v37
.LBB2348_63:
	v_add_u32_e32 v1, v16, v1
	v_sub_u32_e32 v27, v27, v20
	v_and_b32_e32 v33, 1, v30
	v_sub_u32_e32 v32, v1, v27
	v_cmp_eq_u32_e32 vcc, 1, v33
	v_lshrrev_b32_e32 v17, 8, v30
	v_and_b32_e32 v17, 1, v17
	v_cndmask_b32_e32 v27, v32, v27, vcc
	v_lshlrev_b32_e32 v27, 3, v27
	ds_write_b64 v27, v[10:11]
	v_sub_u32_e32 v10, v26, v20
	v_sub_u32_e32 v11, v1, v10
	v_add_u32_e32 v11, 1, v11
	v_cmp_eq_u32_e32 vcc, 1, v17
	v_or_b32_e32 v26, 0x200, v0
	v_or_b32_e32 v17, 0xa00, v0
	v_cndmask_b32_e32 v10, v11, v10, vcc
	v_lshlrev_b32_e32 v10, 3, v10
	ds_write_b64 v10, v[12:13]
	v_sub_u32_e32 v10, v25, v20
	v_mov_b32_e32 v12, 1
	v_sub_u32_e32 v11, v1, v10
	v_and_b32_sdwa v12, v12, v30 dst_sel:DWORD dst_unused:UNUSED_PAD src0_sel:DWORD src1_sel:WORD_1
	v_add_u32_e32 v11, 2, v11
	v_cmp_eq_u32_e32 vcc, 1, v12
	v_or_b32_e32 v25, 0x400, v0
	s_nop 0
	v_cndmask_b32_e32 v10, v11, v10, vcc
	v_lshlrev_b32_e32 v10, 3, v10
	ds_write_b64 v10, v[6:7]
	v_sub_u32_e32 v6, v24, v20
	v_sub_u32_e32 v7, v1, v6
	v_and_b32_e32 v10, 1, v31
	v_add_u32_e32 v7, 3, v7
	v_cmp_eq_u32_e32 vcc, 1, v10
	v_or_b32_e32 v24, 0x600, v0
	s_nop 0
	v_cndmask_b32_e32 v6, v7, v6, vcc
	v_lshlrev_b32_e32 v6, 3, v6
	ds_write_b64 v6, v[8:9]
	v_sub_u32_e32 v6, v23, v20
	v_sub_u32_e32 v7, v1, v6
	v_and_b32_e32 v8, 1, v29
	v_add_u32_e32 v7, 4, v7
	v_cmp_eq_u32_e32 vcc, 1, v8
	s_nop 1
	v_cndmask_b32_e32 v6, v7, v6, vcc
	v_lshlrev_b32_e32 v6, 3, v6
	ds_write_b64 v6, v[2:3]
	v_sub_u32_e32 v2, v22, v20
	v_sub_u32_e32 v3, v1, v2
	v_and_b32_e32 v6, 1, v28
	v_add_u32_e32 v3, 5, v3
	v_cmp_eq_u32_e32 vcc, 1, v6
	;; [unrolled: 9-line block ×3, first 2 shown]
	v_or_b32_e32 v19, 0x800, v0
	s_nop 0
	v_cndmask_b32_e32 v1, v1, v2, vcc
	v_lshlrev_b32_e32 v1, 3, v1
	ds_write_b64 v1, v[14:15]
	s_waitcnt lgkmcnt(0)
	s_barrier
	ds_read2st64_b64 v[10:13], v18 offset1:8
	ds_read2st64_b64 v[6:9], v18 offset0:16 offset1:24
	ds_read2st64_b64 v[2:5], v18 offset0:32 offset1:40
	ds_read_b64 v[14:15], v18 offset:24576
	s_and_b64 vcc, exec, s[20:21]
	v_or_b32_e32 v1, 0xc00, v0
	s_cbranch_vccnz .LBB2348_72
; %bb.64:
	s_lshl_b64 s[0:1], s[22:23], 3
	v_mov_b32_e32 v21, 0
	s_add_u32 s0, s2, s0
	s_addc_u32 s1, s3, s1
	v_lshlrev_b64 v[22:23], 3, v[20:21]
	v_lshl_add_u64 v[22:23], s[0:1], 0, v[22:23]
	v_cmp_lt_u32_e32 vcc, v0, v16
	s_and_saveexec_b64 s[0:1], vcc
	s_cbranch_execnz .LBB2348_86
; %bb.65:
	s_or_b64 exec, exec, s[0:1]
	v_cmp_lt_u32_e32 vcc, v26, v16
	s_and_saveexec_b64 s[0:1], vcc
	s_cbranch_execnz .LBB2348_87
.LBB2348_66:
	s_or_b64 exec, exec, s[0:1]
	v_cmp_lt_u32_e32 vcc, v25, v16
	s_and_saveexec_b64 s[0:1], vcc
	s_cbranch_execnz .LBB2348_88
.LBB2348_67:
	s_or_b64 exec, exec, s[0:1]
	v_cmp_lt_u32_e32 vcc, v24, v16
	s_and_saveexec_b64 s[0:1], vcc
	s_cbranch_execnz .LBB2348_89
.LBB2348_68:
	s_or_b64 exec, exec, s[0:1]
	v_cmp_lt_u32_e32 vcc, v19, v16
	s_and_saveexec_b64 s[0:1], vcc
	s_cbranch_execnz .LBB2348_90
.LBB2348_69:
	s_or_b64 exec, exec, s[0:1]
	v_cmp_lt_u32_e32 vcc, v17, v16
	s_and_saveexec_b64 s[0:1], vcc
	s_cbranch_execz .LBB2348_71
.LBB2348_70:
	v_lshlrev_b32_e32 v21, 3, v17
	v_readfirstlane_b32 s4, v22
	v_readfirstlane_b32 s5, v23
	s_waitcnt lgkmcnt(1)
	s_nop 3
	global_store_dwordx2 v21, v[4:5], s[4:5]
.LBB2348_71:
	s_or_b64 exec, exec, s[0:1]
	v_cmp_lt_u32_e64 s[0:1], v1, v16
	s_branch .LBB2348_81
.LBB2348_72:
	s_mov_b64 s[0:1], 0
                                        ; implicit-def: $vgpr22_vgpr23
	s_cbranch_execz .LBB2348_81
; %bb.73:
	s_lshl_b64 s[0:1], s[22:23], 3
	v_mov_b32_e32 v21, 0
	s_add_u32 s0, s2, s0
	v_min_u32_e32 v27, s33, v16
	s_addc_u32 s1, s3, s1
	v_lshlrev_b64 v[22:23], 3, v[20:21]
	v_lshl_add_u64 v[22:23], s[0:1], 0, v[22:23]
	v_cmp_gt_u32_e32 vcc, v27, v0
	s_and_saveexec_b64 s[0:1], vcc
	s_cbranch_execnz .LBB2348_91
; %bb.74:
	s_or_b64 exec, exec, s[0:1]
	v_cmp_lt_u32_e32 vcc, v26, v27
	s_and_saveexec_b64 s[0:1], vcc
	s_cbranch_execnz .LBB2348_92
.LBB2348_75:
	s_or_b64 exec, exec, s[0:1]
	v_cmp_lt_u32_e32 vcc, v25, v27
	s_and_saveexec_b64 s[0:1], vcc
	s_cbranch_execnz .LBB2348_93
.LBB2348_76:
	s_or_b64 exec, exec, s[0:1]
	v_cmp_lt_u32_e32 vcc, v24, v27
	s_and_saveexec_b64 s[0:1], vcc
	s_cbranch_execnz .LBB2348_94
.LBB2348_77:
	s_or_b64 exec, exec, s[0:1]
	v_cmp_lt_u32_e32 vcc, v19, v27
	s_and_saveexec_b64 s[0:1], vcc
	s_cbranch_execnz .LBB2348_95
.LBB2348_78:
	s_or_b64 exec, exec, s[0:1]
	v_cmp_lt_u32_e32 vcc, v17, v27
	s_and_saveexec_b64 s[0:1], vcc
	s_cbranch_execz .LBB2348_80
.LBB2348_79:
	s_waitcnt lgkmcnt(1)
	v_lshlrev_b32_e32 v2, 3, v17
	v_readfirstlane_b32 s2, v22
	v_readfirstlane_b32 s3, v23
	s_nop 4
	global_store_dwordx2 v2, v[4:5], s[2:3]
.LBB2348_80:
	s_or_b64 exec, exec, s[0:1]
	v_cmp_lt_u32_e64 s[0:1], v1, v27
.LBB2348_81:
	s_and_saveexec_b64 s[2:3], s[0:1]
	s_cbranch_execz .LBB2348_83
; %bb.82:
	v_lshlrev_b32_e32 v1, 3, v1
	v_readfirstlane_b32 s0, v22
	v_readfirstlane_b32 s1, v23
	s_waitcnt lgkmcnt(0)
	s_nop 3
	global_store_dwordx2 v1, v[14:15], s[0:1]
.LBB2348_83:
	s_or_b64 exec, exec, s[2:3]
	v_cmp_eq_u32_e32 vcc, 0, v0
	s_and_b64 s[0:1], vcc, s[26:27]
	s_and_saveexec_b64 s[2:3], s[0:1]
	s_cbranch_execz .LBB2348_85
; %bb.84:
	v_mov_b32_e32 v17, 0
	v_lshl_add_u64 v[0:1], s[22:23], 0, v[16:17]
	v_mov_b32_e32 v21, v17
	v_lshl_add_u64 v[0:1], v[0:1], 0, v[20:21]
	global_store_dwordx2 v17, v[0:1], s[24:25]
.LBB2348_85:
	s_endpgm
.LBB2348_86:
	v_readfirstlane_b32 s4, v22
	v_readfirstlane_b32 s5, v23
	s_waitcnt lgkmcnt(3)
	s_nop 3
	global_store_dwordx2 v18, v[10:11], s[4:5]
	s_or_b64 exec, exec, s[0:1]
	v_cmp_lt_u32_e32 vcc, v26, v16
	s_and_saveexec_b64 s[0:1], vcc
	s_cbranch_execz .LBB2348_66
.LBB2348_87:
	v_lshlrev_b32_e32 v21, 3, v26
	v_readfirstlane_b32 s4, v22
	v_readfirstlane_b32 s5, v23
	s_waitcnt lgkmcnt(3)
	s_nop 3
	global_store_dwordx2 v21, v[12:13], s[4:5]
	s_or_b64 exec, exec, s[0:1]
	v_cmp_lt_u32_e32 vcc, v25, v16
	s_and_saveexec_b64 s[0:1], vcc
	s_cbranch_execz .LBB2348_67
.LBB2348_88:
	v_lshlrev_b32_e32 v21, 3, v25
	v_readfirstlane_b32 s4, v22
	v_readfirstlane_b32 s5, v23
	s_waitcnt lgkmcnt(2)
	s_nop 3
	global_store_dwordx2 v21, v[6:7], s[4:5]
	s_or_b64 exec, exec, s[0:1]
	v_cmp_lt_u32_e32 vcc, v24, v16
	s_and_saveexec_b64 s[0:1], vcc
	s_cbranch_execz .LBB2348_68
.LBB2348_89:
	v_lshlrev_b32_e32 v21, 3, v24
	v_readfirstlane_b32 s4, v22
	v_readfirstlane_b32 s5, v23
	s_waitcnt lgkmcnt(2)
	s_nop 3
	global_store_dwordx2 v21, v[8:9], s[4:5]
	s_or_b64 exec, exec, s[0:1]
	v_cmp_lt_u32_e32 vcc, v19, v16
	s_and_saveexec_b64 s[0:1], vcc
	s_cbranch_execz .LBB2348_69
.LBB2348_90:
	v_lshlrev_b32_e32 v21, 3, v19
	v_readfirstlane_b32 s4, v22
	v_readfirstlane_b32 s5, v23
	s_waitcnt lgkmcnt(1)
	s_nop 3
	global_store_dwordx2 v21, v[2:3], s[4:5]
	s_or_b64 exec, exec, s[0:1]
	v_cmp_lt_u32_e32 vcc, v17, v16
	s_and_saveexec_b64 s[0:1], vcc
	s_cbranch_execnz .LBB2348_70
	s_branch .LBB2348_71
.LBB2348_91:
	v_readfirstlane_b32 s2, v22
	v_readfirstlane_b32 s3, v23
	s_waitcnt lgkmcnt(3)
	s_nop 3
	global_store_dwordx2 v18, v[10:11], s[2:3]
	s_or_b64 exec, exec, s[0:1]
	v_cmp_lt_u32_e32 vcc, v26, v27
	s_and_saveexec_b64 s[0:1], vcc
	s_cbranch_execz .LBB2348_75
.LBB2348_92:
	s_waitcnt lgkmcnt(3)
	v_lshlrev_b32_e32 v10, 3, v26
	v_readfirstlane_b32 s2, v22
	v_readfirstlane_b32 s3, v23
	s_nop 4
	global_store_dwordx2 v10, v[12:13], s[2:3]
	s_or_b64 exec, exec, s[0:1]
	v_cmp_lt_u32_e32 vcc, v25, v27
	s_and_saveexec_b64 s[0:1], vcc
	s_cbranch_execz .LBB2348_76
.LBB2348_93:
	s_waitcnt lgkmcnt(3)
	v_lshlrev_b32_e32 v10, 3, v25
	v_readfirstlane_b32 s2, v22
	v_readfirstlane_b32 s3, v23
	s_waitcnt lgkmcnt(2)
	s_nop 3
	global_store_dwordx2 v10, v[6:7], s[2:3]
	s_or_b64 exec, exec, s[0:1]
	v_cmp_lt_u32_e32 vcc, v24, v27
	s_and_saveexec_b64 s[0:1], vcc
	s_cbranch_execz .LBB2348_77
.LBB2348_94:
	s_waitcnt lgkmcnt(2)
	v_lshlrev_b32_e32 v6, 3, v24
	v_readfirstlane_b32 s2, v22
	v_readfirstlane_b32 s3, v23
	s_nop 4
	global_store_dwordx2 v6, v[8:9], s[2:3]
	s_or_b64 exec, exec, s[0:1]
	v_cmp_lt_u32_e32 vcc, v19, v27
	s_and_saveexec_b64 s[0:1], vcc
	s_cbranch_execz .LBB2348_78
.LBB2348_95:
	s_waitcnt lgkmcnt(2)
	v_lshlrev_b32_e32 v6, 3, v19
	v_readfirstlane_b32 s2, v22
	v_readfirstlane_b32 s3, v23
	s_waitcnt lgkmcnt(1)
	s_nop 3
	global_store_dwordx2 v6, v[2:3], s[2:3]
	s_or_b64 exec, exec, s[0:1]
	v_cmp_lt_u32_e32 vcc, v17, v27
	s_and_saveexec_b64 s[0:1], vcc
	s_cbranch_execnz .LBB2348_79
	s_branch .LBB2348_80
	.section	.rodata,"a",@progbits
	.p2align	6, 0x0
	.amdhsa_kernel _ZN7rocprim17ROCPRIM_400000_NS6detail17trampoline_kernelINS0_14default_configENS1_25partition_config_selectorILNS1_17partition_subalgoE0EyNS0_10empty_typeEbEEZZNS1_14partition_implILS5_0ELb0ES3_jN6thrust23THRUST_200600_302600_NS6detail15normal_iteratorINSA_10device_ptrIyEEEEPS6_SG_NS0_5tupleIJSF_NSA_16discard_iteratorINSA_11use_defaultEEEEEENSH_IJSG_SG_EEES6_PlJ7is_evenIyEEEE10hipError_tPvRmT3_T4_T5_T6_T7_T9_mT8_P12ihipStream_tbDpT10_ENKUlT_T0_E_clISt17integral_constantIbLb1EES18_IbLb0EEEEDaS14_S15_EUlS14_E_NS1_11comp_targetILNS1_3genE5ELNS1_11target_archE942ELNS1_3gpuE9ELNS1_3repE0EEENS1_30default_config_static_selectorELNS0_4arch9wavefront6targetE1EEEvT1_
		.amdhsa_group_segment_fixed_size 28680
		.amdhsa_private_segment_fixed_size 0
		.amdhsa_kernarg_size 128
		.amdhsa_user_sgpr_count 2
		.amdhsa_user_sgpr_dispatch_ptr 0
		.amdhsa_user_sgpr_queue_ptr 0
		.amdhsa_user_sgpr_kernarg_segment_ptr 1
		.amdhsa_user_sgpr_dispatch_id 0
		.amdhsa_user_sgpr_kernarg_preload_length 0
		.amdhsa_user_sgpr_kernarg_preload_offset 0
		.amdhsa_user_sgpr_private_segment_size 0
		.amdhsa_uses_dynamic_stack 0
		.amdhsa_enable_private_segment 0
		.amdhsa_system_sgpr_workgroup_id_x 1
		.amdhsa_system_sgpr_workgroup_id_y 0
		.amdhsa_system_sgpr_workgroup_id_z 0
		.amdhsa_system_sgpr_workgroup_info 0
		.amdhsa_system_vgpr_workitem_id 0
		.amdhsa_next_free_vgpr 57
		.amdhsa_next_free_sgpr 40
		.amdhsa_accum_offset 60
		.amdhsa_reserve_vcc 1
		.amdhsa_float_round_mode_32 0
		.amdhsa_float_round_mode_16_64 0
		.amdhsa_float_denorm_mode_32 3
		.amdhsa_float_denorm_mode_16_64 3
		.amdhsa_dx10_clamp 1
		.amdhsa_ieee_mode 1
		.amdhsa_fp16_overflow 0
		.amdhsa_tg_split 0
		.amdhsa_exception_fp_ieee_invalid_op 0
		.amdhsa_exception_fp_denorm_src 0
		.amdhsa_exception_fp_ieee_div_zero 0
		.amdhsa_exception_fp_ieee_overflow 0
		.amdhsa_exception_fp_ieee_underflow 0
		.amdhsa_exception_fp_ieee_inexact 0
		.amdhsa_exception_int_div_zero 0
	.end_amdhsa_kernel
	.section	.text._ZN7rocprim17ROCPRIM_400000_NS6detail17trampoline_kernelINS0_14default_configENS1_25partition_config_selectorILNS1_17partition_subalgoE0EyNS0_10empty_typeEbEEZZNS1_14partition_implILS5_0ELb0ES3_jN6thrust23THRUST_200600_302600_NS6detail15normal_iteratorINSA_10device_ptrIyEEEEPS6_SG_NS0_5tupleIJSF_NSA_16discard_iteratorINSA_11use_defaultEEEEEENSH_IJSG_SG_EEES6_PlJ7is_evenIyEEEE10hipError_tPvRmT3_T4_T5_T6_T7_T9_mT8_P12ihipStream_tbDpT10_ENKUlT_T0_E_clISt17integral_constantIbLb1EES18_IbLb0EEEEDaS14_S15_EUlS14_E_NS1_11comp_targetILNS1_3genE5ELNS1_11target_archE942ELNS1_3gpuE9ELNS1_3repE0EEENS1_30default_config_static_selectorELNS0_4arch9wavefront6targetE1EEEvT1_,"axG",@progbits,_ZN7rocprim17ROCPRIM_400000_NS6detail17trampoline_kernelINS0_14default_configENS1_25partition_config_selectorILNS1_17partition_subalgoE0EyNS0_10empty_typeEbEEZZNS1_14partition_implILS5_0ELb0ES3_jN6thrust23THRUST_200600_302600_NS6detail15normal_iteratorINSA_10device_ptrIyEEEEPS6_SG_NS0_5tupleIJSF_NSA_16discard_iteratorINSA_11use_defaultEEEEEENSH_IJSG_SG_EEES6_PlJ7is_evenIyEEEE10hipError_tPvRmT3_T4_T5_T6_T7_T9_mT8_P12ihipStream_tbDpT10_ENKUlT_T0_E_clISt17integral_constantIbLb1EES18_IbLb0EEEEDaS14_S15_EUlS14_E_NS1_11comp_targetILNS1_3genE5ELNS1_11target_archE942ELNS1_3gpuE9ELNS1_3repE0EEENS1_30default_config_static_selectorELNS0_4arch9wavefront6targetE1EEEvT1_,comdat
.Lfunc_end2348:
	.size	_ZN7rocprim17ROCPRIM_400000_NS6detail17trampoline_kernelINS0_14default_configENS1_25partition_config_selectorILNS1_17partition_subalgoE0EyNS0_10empty_typeEbEEZZNS1_14partition_implILS5_0ELb0ES3_jN6thrust23THRUST_200600_302600_NS6detail15normal_iteratorINSA_10device_ptrIyEEEEPS6_SG_NS0_5tupleIJSF_NSA_16discard_iteratorINSA_11use_defaultEEEEEENSH_IJSG_SG_EEES6_PlJ7is_evenIyEEEE10hipError_tPvRmT3_T4_T5_T6_T7_T9_mT8_P12ihipStream_tbDpT10_ENKUlT_T0_E_clISt17integral_constantIbLb1EES18_IbLb0EEEEDaS14_S15_EUlS14_E_NS1_11comp_targetILNS1_3genE5ELNS1_11target_archE942ELNS1_3gpuE9ELNS1_3repE0EEENS1_30default_config_static_selectorELNS0_4arch9wavefront6targetE1EEEvT1_, .Lfunc_end2348-_ZN7rocprim17ROCPRIM_400000_NS6detail17trampoline_kernelINS0_14default_configENS1_25partition_config_selectorILNS1_17partition_subalgoE0EyNS0_10empty_typeEbEEZZNS1_14partition_implILS5_0ELb0ES3_jN6thrust23THRUST_200600_302600_NS6detail15normal_iteratorINSA_10device_ptrIyEEEEPS6_SG_NS0_5tupleIJSF_NSA_16discard_iteratorINSA_11use_defaultEEEEEENSH_IJSG_SG_EEES6_PlJ7is_evenIyEEEE10hipError_tPvRmT3_T4_T5_T6_T7_T9_mT8_P12ihipStream_tbDpT10_ENKUlT_T0_E_clISt17integral_constantIbLb1EES18_IbLb0EEEEDaS14_S15_EUlS14_E_NS1_11comp_targetILNS1_3genE5ELNS1_11target_archE942ELNS1_3gpuE9ELNS1_3repE0EEENS1_30default_config_static_selectorELNS0_4arch9wavefront6targetE1EEEvT1_
                                        ; -- End function
	.section	.AMDGPU.csdata,"",@progbits
; Kernel info:
; codeLenInByte = 4612
; NumSgprs: 46
; NumVgprs: 57
; NumAgprs: 0
; TotalNumVgprs: 57
; ScratchSize: 0
; MemoryBound: 0
; FloatMode: 240
; IeeeMode: 1
; LDSByteSize: 28680 bytes/workgroup (compile time only)
; SGPRBlocks: 5
; VGPRBlocks: 7
; NumSGPRsForWavesPerEU: 46
; NumVGPRsForWavesPerEU: 57
; AccumOffset: 60
; Occupancy: 4
; WaveLimiterHint : 1
; COMPUTE_PGM_RSRC2:SCRATCH_EN: 0
; COMPUTE_PGM_RSRC2:USER_SGPR: 2
; COMPUTE_PGM_RSRC2:TRAP_HANDLER: 0
; COMPUTE_PGM_RSRC2:TGID_X_EN: 1
; COMPUTE_PGM_RSRC2:TGID_Y_EN: 0
; COMPUTE_PGM_RSRC2:TGID_Z_EN: 0
; COMPUTE_PGM_RSRC2:TIDIG_COMP_CNT: 0
; COMPUTE_PGM_RSRC3_GFX90A:ACCUM_OFFSET: 14
; COMPUTE_PGM_RSRC3_GFX90A:TG_SPLIT: 0
	.section	.text._ZN7rocprim17ROCPRIM_400000_NS6detail17trampoline_kernelINS0_14default_configENS1_25partition_config_selectorILNS1_17partition_subalgoE0EyNS0_10empty_typeEbEEZZNS1_14partition_implILS5_0ELb0ES3_jN6thrust23THRUST_200600_302600_NS6detail15normal_iteratorINSA_10device_ptrIyEEEEPS6_SG_NS0_5tupleIJSF_NSA_16discard_iteratorINSA_11use_defaultEEEEEENSH_IJSG_SG_EEES6_PlJ7is_evenIyEEEE10hipError_tPvRmT3_T4_T5_T6_T7_T9_mT8_P12ihipStream_tbDpT10_ENKUlT_T0_E_clISt17integral_constantIbLb1EES18_IbLb0EEEEDaS14_S15_EUlS14_E_NS1_11comp_targetILNS1_3genE4ELNS1_11target_archE910ELNS1_3gpuE8ELNS1_3repE0EEENS1_30default_config_static_selectorELNS0_4arch9wavefront6targetE1EEEvT1_,"axG",@progbits,_ZN7rocprim17ROCPRIM_400000_NS6detail17trampoline_kernelINS0_14default_configENS1_25partition_config_selectorILNS1_17partition_subalgoE0EyNS0_10empty_typeEbEEZZNS1_14partition_implILS5_0ELb0ES3_jN6thrust23THRUST_200600_302600_NS6detail15normal_iteratorINSA_10device_ptrIyEEEEPS6_SG_NS0_5tupleIJSF_NSA_16discard_iteratorINSA_11use_defaultEEEEEENSH_IJSG_SG_EEES6_PlJ7is_evenIyEEEE10hipError_tPvRmT3_T4_T5_T6_T7_T9_mT8_P12ihipStream_tbDpT10_ENKUlT_T0_E_clISt17integral_constantIbLb1EES18_IbLb0EEEEDaS14_S15_EUlS14_E_NS1_11comp_targetILNS1_3genE4ELNS1_11target_archE910ELNS1_3gpuE8ELNS1_3repE0EEENS1_30default_config_static_selectorELNS0_4arch9wavefront6targetE1EEEvT1_,comdat
	.protected	_ZN7rocprim17ROCPRIM_400000_NS6detail17trampoline_kernelINS0_14default_configENS1_25partition_config_selectorILNS1_17partition_subalgoE0EyNS0_10empty_typeEbEEZZNS1_14partition_implILS5_0ELb0ES3_jN6thrust23THRUST_200600_302600_NS6detail15normal_iteratorINSA_10device_ptrIyEEEEPS6_SG_NS0_5tupleIJSF_NSA_16discard_iteratorINSA_11use_defaultEEEEEENSH_IJSG_SG_EEES6_PlJ7is_evenIyEEEE10hipError_tPvRmT3_T4_T5_T6_T7_T9_mT8_P12ihipStream_tbDpT10_ENKUlT_T0_E_clISt17integral_constantIbLb1EES18_IbLb0EEEEDaS14_S15_EUlS14_E_NS1_11comp_targetILNS1_3genE4ELNS1_11target_archE910ELNS1_3gpuE8ELNS1_3repE0EEENS1_30default_config_static_selectorELNS0_4arch9wavefront6targetE1EEEvT1_ ; -- Begin function _ZN7rocprim17ROCPRIM_400000_NS6detail17trampoline_kernelINS0_14default_configENS1_25partition_config_selectorILNS1_17partition_subalgoE0EyNS0_10empty_typeEbEEZZNS1_14partition_implILS5_0ELb0ES3_jN6thrust23THRUST_200600_302600_NS6detail15normal_iteratorINSA_10device_ptrIyEEEEPS6_SG_NS0_5tupleIJSF_NSA_16discard_iteratorINSA_11use_defaultEEEEEENSH_IJSG_SG_EEES6_PlJ7is_evenIyEEEE10hipError_tPvRmT3_T4_T5_T6_T7_T9_mT8_P12ihipStream_tbDpT10_ENKUlT_T0_E_clISt17integral_constantIbLb1EES18_IbLb0EEEEDaS14_S15_EUlS14_E_NS1_11comp_targetILNS1_3genE4ELNS1_11target_archE910ELNS1_3gpuE8ELNS1_3repE0EEENS1_30default_config_static_selectorELNS0_4arch9wavefront6targetE1EEEvT1_
	.globl	_ZN7rocprim17ROCPRIM_400000_NS6detail17trampoline_kernelINS0_14default_configENS1_25partition_config_selectorILNS1_17partition_subalgoE0EyNS0_10empty_typeEbEEZZNS1_14partition_implILS5_0ELb0ES3_jN6thrust23THRUST_200600_302600_NS6detail15normal_iteratorINSA_10device_ptrIyEEEEPS6_SG_NS0_5tupleIJSF_NSA_16discard_iteratorINSA_11use_defaultEEEEEENSH_IJSG_SG_EEES6_PlJ7is_evenIyEEEE10hipError_tPvRmT3_T4_T5_T6_T7_T9_mT8_P12ihipStream_tbDpT10_ENKUlT_T0_E_clISt17integral_constantIbLb1EES18_IbLb0EEEEDaS14_S15_EUlS14_E_NS1_11comp_targetILNS1_3genE4ELNS1_11target_archE910ELNS1_3gpuE8ELNS1_3repE0EEENS1_30default_config_static_selectorELNS0_4arch9wavefront6targetE1EEEvT1_
	.p2align	8
	.type	_ZN7rocprim17ROCPRIM_400000_NS6detail17trampoline_kernelINS0_14default_configENS1_25partition_config_selectorILNS1_17partition_subalgoE0EyNS0_10empty_typeEbEEZZNS1_14partition_implILS5_0ELb0ES3_jN6thrust23THRUST_200600_302600_NS6detail15normal_iteratorINSA_10device_ptrIyEEEEPS6_SG_NS0_5tupleIJSF_NSA_16discard_iteratorINSA_11use_defaultEEEEEENSH_IJSG_SG_EEES6_PlJ7is_evenIyEEEE10hipError_tPvRmT3_T4_T5_T6_T7_T9_mT8_P12ihipStream_tbDpT10_ENKUlT_T0_E_clISt17integral_constantIbLb1EES18_IbLb0EEEEDaS14_S15_EUlS14_E_NS1_11comp_targetILNS1_3genE4ELNS1_11target_archE910ELNS1_3gpuE8ELNS1_3repE0EEENS1_30default_config_static_selectorELNS0_4arch9wavefront6targetE1EEEvT1_,@function
_ZN7rocprim17ROCPRIM_400000_NS6detail17trampoline_kernelINS0_14default_configENS1_25partition_config_selectorILNS1_17partition_subalgoE0EyNS0_10empty_typeEbEEZZNS1_14partition_implILS5_0ELb0ES3_jN6thrust23THRUST_200600_302600_NS6detail15normal_iteratorINSA_10device_ptrIyEEEEPS6_SG_NS0_5tupleIJSF_NSA_16discard_iteratorINSA_11use_defaultEEEEEENSH_IJSG_SG_EEES6_PlJ7is_evenIyEEEE10hipError_tPvRmT3_T4_T5_T6_T7_T9_mT8_P12ihipStream_tbDpT10_ENKUlT_T0_E_clISt17integral_constantIbLb1EES18_IbLb0EEEEDaS14_S15_EUlS14_E_NS1_11comp_targetILNS1_3genE4ELNS1_11target_archE910ELNS1_3gpuE8ELNS1_3repE0EEENS1_30default_config_static_selectorELNS0_4arch9wavefront6targetE1EEEvT1_: ; @_ZN7rocprim17ROCPRIM_400000_NS6detail17trampoline_kernelINS0_14default_configENS1_25partition_config_selectorILNS1_17partition_subalgoE0EyNS0_10empty_typeEbEEZZNS1_14partition_implILS5_0ELb0ES3_jN6thrust23THRUST_200600_302600_NS6detail15normal_iteratorINSA_10device_ptrIyEEEEPS6_SG_NS0_5tupleIJSF_NSA_16discard_iteratorINSA_11use_defaultEEEEEENSH_IJSG_SG_EEES6_PlJ7is_evenIyEEEE10hipError_tPvRmT3_T4_T5_T6_T7_T9_mT8_P12ihipStream_tbDpT10_ENKUlT_T0_E_clISt17integral_constantIbLb1EES18_IbLb0EEEEDaS14_S15_EUlS14_E_NS1_11comp_targetILNS1_3genE4ELNS1_11target_archE910ELNS1_3gpuE8ELNS1_3repE0EEENS1_30default_config_static_selectorELNS0_4arch9wavefront6targetE1EEEvT1_
; %bb.0:
	.section	.rodata,"a",@progbits
	.p2align	6, 0x0
	.amdhsa_kernel _ZN7rocprim17ROCPRIM_400000_NS6detail17trampoline_kernelINS0_14default_configENS1_25partition_config_selectorILNS1_17partition_subalgoE0EyNS0_10empty_typeEbEEZZNS1_14partition_implILS5_0ELb0ES3_jN6thrust23THRUST_200600_302600_NS6detail15normal_iteratorINSA_10device_ptrIyEEEEPS6_SG_NS0_5tupleIJSF_NSA_16discard_iteratorINSA_11use_defaultEEEEEENSH_IJSG_SG_EEES6_PlJ7is_evenIyEEEE10hipError_tPvRmT3_T4_T5_T6_T7_T9_mT8_P12ihipStream_tbDpT10_ENKUlT_T0_E_clISt17integral_constantIbLb1EES18_IbLb0EEEEDaS14_S15_EUlS14_E_NS1_11comp_targetILNS1_3genE4ELNS1_11target_archE910ELNS1_3gpuE8ELNS1_3repE0EEENS1_30default_config_static_selectorELNS0_4arch9wavefront6targetE1EEEvT1_
		.amdhsa_group_segment_fixed_size 0
		.amdhsa_private_segment_fixed_size 0
		.amdhsa_kernarg_size 128
		.amdhsa_user_sgpr_count 2
		.amdhsa_user_sgpr_dispatch_ptr 0
		.amdhsa_user_sgpr_queue_ptr 0
		.amdhsa_user_sgpr_kernarg_segment_ptr 1
		.amdhsa_user_sgpr_dispatch_id 0
		.amdhsa_user_sgpr_kernarg_preload_length 0
		.amdhsa_user_sgpr_kernarg_preload_offset 0
		.amdhsa_user_sgpr_private_segment_size 0
		.amdhsa_uses_dynamic_stack 0
		.amdhsa_enable_private_segment 0
		.amdhsa_system_sgpr_workgroup_id_x 1
		.amdhsa_system_sgpr_workgroup_id_y 0
		.amdhsa_system_sgpr_workgroup_id_z 0
		.amdhsa_system_sgpr_workgroup_info 0
		.amdhsa_system_vgpr_workitem_id 0
		.amdhsa_next_free_vgpr 1
		.amdhsa_next_free_sgpr 0
		.amdhsa_accum_offset 4
		.amdhsa_reserve_vcc 0
		.amdhsa_float_round_mode_32 0
		.amdhsa_float_round_mode_16_64 0
		.amdhsa_float_denorm_mode_32 3
		.amdhsa_float_denorm_mode_16_64 3
		.amdhsa_dx10_clamp 1
		.amdhsa_ieee_mode 1
		.amdhsa_fp16_overflow 0
		.amdhsa_tg_split 0
		.amdhsa_exception_fp_ieee_invalid_op 0
		.amdhsa_exception_fp_denorm_src 0
		.amdhsa_exception_fp_ieee_div_zero 0
		.amdhsa_exception_fp_ieee_overflow 0
		.amdhsa_exception_fp_ieee_underflow 0
		.amdhsa_exception_fp_ieee_inexact 0
		.amdhsa_exception_int_div_zero 0
	.end_amdhsa_kernel
	.section	.text._ZN7rocprim17ROCPRIM_400000_NS6detail17trampoline_kernelINS0_14default_configENS1_25partition_config_selectorILNS1_17partition_subalgoE0EyNS0_10empty_typeEbEEZZNS1_14partition_implILS5_0ELb0ES3_jN6thrust23THRUST_200600_302600_NS6detail15normal_iteratorINSA_10device_ptrIyEEEEPS6_SG_NS0_5tupleIJSF_NSA_16discard_iteratorINSA_11use_defaultEEEEEENSH_IJSG_SG_EEES6_PlJ7is_evenIyEEEE10hipError_tPvRmT3_T4_T5_T6_T7_T9_mT8_P12ihipStream_tbDpT10_ENKUlT_T0_E_clISt17integral_constantIbLb1EES18_IbLb0EEEEDaS14_S15_EUlS14_E_NS1_11comp_targetILNS1_3genE4ELNS1_11target_archE910ELNS1_3gpuE8ELNS1_3repE0EEENS1_30default_config_static_selectorELNS0_4arch9wavefront6targetE1EEEvT1_,"axG",@progbits,_ZN7rocprim17ROCPRIM_400000_NS6detail17trampoline_kernelINS0_14default_configENS1_25partition_config_selectorILNS1_17partition_subalgoE0EyNS0_10empty_typeEbEEZZNS1_14partition_implILS5_0ELb0ES3_jN6thrust23THRUST_200600_302600_NS6detail15normal_iteratorINSA_10device_ptrIyEEEEPS6_SG_NS0_5tupleIJSF_NSA_16discard_iteratorINSA_11use_defaultEEEEEENSH_IJSG_SG_EEES6_PlJ7is_evenIyEEEE10hipError_tPvRmT3_T4_T5_T6_T7_T9_mT8_P12ihipStream_tbDpT10_ENKUlT_T0_E_clISt17integral_constantIbLb1EES18_IbLb0EEEEDaS14_S15_EUlS14_E_NS1_11comp_targetILNS1_3genE4ELNS1_11target_archE910ELNS1_3gpuE8ELNS1_3repE0EEENS1_30default_config_static_selectorELNS0_4arch9wavefront6targetE1EEEvT1_,comdat
.Lfunc_end2349:
	.size	_ZN7rocprim17ROCPRIM_400000_NS6detail17trampoline_kernelINS0_14default_configENS1_25partition_config_selectorILNS1_17partition_subalgoE0EyNS0_10empty_typeEbEEZZNS1_14partition_implILS5_0ELb0ES3_jN6thrust23THRUST_200600_302600_NS6detail15normal_iteratorINSA_10device_ptrIyEEEEPS6_SG_NS0_5tupleIJSF_NSA_16discard_iteratorINSA_11use_defaultEEEEEENSH_IJSG_SG_EEES6_PlJ7is_evenIyEEEE10hipError_tPvRmT3_T4_T5_T6_T7_T9_mT8_P12ihipStream_tbDpT10_ENKUlT_T0_E_clISt17integral_constantIbLb1EES18_IbLb0EEEEDaS14_S15_EUlS14_E_NS1_11comp_targetILNS1_3genE4ELNS1_11target_archE910ELNS1_3gpuE8ELNS1_3repE0EEENS1_30default_config_static_selectorELNS0_4arch9wavefront6targetE1EEEvT1_, .Lfunc_end2349-_ZN7rocprim17ROCPRIM_400000_NS6detail17trampoline_kernelINS0_14default_configENS1_25partition_config_selectorILNS1_17partition_subalgoE0EyNS0_10empty_typeEbEEZZNS1_14partition_implILS5_0ELb0ES3_jN6thrust23THRUST_200600_302600_NS6detail15normal_iteratorINSA_10device_ptrIyEEEEPS6_SG_NS0_5tupleIJSF_NSA_16discard_iteratorINSA_11use_defaultEEEEEENSH_IJSG_SG_EEES6_PlJ7is_evenIyEEEE10hipError_tPvRmT3_T4_T5_T6_T7_T9_mT8_P12ihipStream_tbDpT10_ENKUlT_T0_E_clISt17integral_constantIbLb1EES18_IbLb0EEEEDaS14_S15_EUlS14_E_NS1_11comp_targetILNS1_3genE4ELNS1_11target_archE910ELNS1_3gpuE8ELNS1_3repE0EEENS1_30default_config_static_selectorELNS0_4arch9wavefront6targetE1EEEvT1_
                                        ; -- End function
	.section	.AMDGPU.csdata,"",@progbits
; Kernel info:
; codeLenInByte = 0
; NumSgprs: 6
; NumVgprs: 0
; NumAgprs: 0
; TotalNumVgprs: 0
; ScratchSize: 0
; MemoryBound: 0
; FloatMode: 240
; IeeeMode: 1
; LDSByteSize: 0 bytes/workgroup (compile time only)
; SGPRBlocks: 0
; VGPRBlocks: 0
; NumSGPRsForWavesPerEU: 6
; NumVGPRsForWavesPerEU: 1
; AccumOffset: 4
; Occupancy: 8
; WaveLimiterHint : 0
; COMPUTE_PGM_RSRC2:SCRATCH_EN: 0
; COMPUTE_PGM_RSRC2:USER_SGPR: 2
; COMPUTE_PGM_RSRC2:TRAP_HANDLER: 0
; COMPUTE_PGM_RSRC2:TGID_X_EN: 1
; COMPUTE_PGM_RSRC2:TGID_Y_EN: 0
; COMPUTE_PGM_RSRC2:TGID_Z_EN: 0
; COMPUTE_PGM_RSRC2:TIDIG_COMP_CNT: 0
; COMPUTE_PGM_RSRC3_GFX90A:ACCUM_OFFSET: 0
; COMPUTE_PGM_RSRC3_GFX90A:TG_SPLIT: 0
	.section	.text._ZN7rocprim17ROCPRIM_400000_NS6detail17trampoline_kernelINS0_14default_configENS1_25partition_config_selectorILNS1_17partition_subalgoE0EyNS0_10empty_typeEbEEZZNS1_14partition_implILS5_0ELb0ES3_jN6thrust23THRUST_200600_302600_NS6detail15normal_iteratorINSA_10device_ptrIyEEEEPS6_SG_NS0_5tupleIJSF_NSA_16discard_iteratorINSA_11use_defaultEEEEEENSH_IJSG_SG_EEES6_PlJ7is_evenIyEEEE10hipError_tPvRmT3_T4_T5_T6_T7_T9_mT8_P12ihipStream_tbDpT10_ENKUlT_T0_E_clISt17integral_constantIbLb1EES18_IbLb0EEEEDaS14_S15_EUlS14_E_NS1_11comp_targetILNS1_3genE3ELNS1_11target_archE908ELNS1_3gpuE7ELNS1_3repE0EEENS1_30default_config_static_selectorELNS0_4arch9wavefront6targetE1EEEvT1_,"axG",@progbits,_ZN7rocprim17ROCPRIM_400000_NS6detail17trampoline_kernelINS0_14default_configENS1_25partition_config_selectorILNS1_17partition_subalgoE0EyNS0_10empty_typeEbEEZZNS1_14partition_implILS5_0ELb0ES3_jN6thrust23THRUST_200600_302600_NS6detail15normal_iteratorINSA_10device_ptrIyEEEEPS6_SG_NS0_5tupleIJSF_NSA_16discard_iteratorINSA_11use_defaultEEEEEENSH_IJSG_SG_EEES6_PlJ7is_evenIyEEEE10hipError_tPvRmT3_T4_T5_T6_T7_T9_mT8_P12ihipStream_tbDpT10_ENKUlT_T0_E_clISt17integral_constantIbLb1EES18_IbLb0EEEEDaS14_S15_EUlS14_E_NS1_11comp_targetILNS1_3genE3ELNS1_11target_archE908ELNS1_3gpuE7ELNS1_3repE0EEENS1_30default_config_static_selectorELNS0_4arch9wavefront6targetE1EEEvT1_,comdat
	.protected	_ZN7rocprim17ROCPRIM_400000_NS6detail17trampoline_kernelINS0_14default_configENS1_25partition_config_selectorILNS1_17partition_subalgoE0EyNS0_10empty_typeEbEEZZNS1_14partition_implILS5_0ELb0ES3_jN6thrust23THRUST_200600_302600_NS6detail15normal_iteratorINSA_10device_ptrIyEEEEPS6_SG_NS0_5tupleIJSF_NSA_16discard_iteratorINSA_11use_defaultEEEEEENSH_IJSG_SG_EEES6_PlJ7is_evenIyEEEE10hipError_tPvRmT3_T4_T5_T6_T7_T9_mT8_P12ihipStream_tbDpT10_ENKUlT_T0_E_clISt17integral_constantIbLb1EES18_IbLb0EEEEDaS14_S15_EUlS14_E_NS1_11comp_targetILNS1_3genE3ELNS1_11target_archE908ELNS1_3gpuE7ELNS1_3repE0EEENS1_30default_config_static_selectorELNS0_4arch9wavefront6targetE1EEEvT1_ ; -- Begin function _ZN7rocprim17ROCPRIM_400000_NS6detail17trampoline_kernelINS0_14default_configENS1_25partition_config_selectorILNS1_17partition_subalgoE0EyNS0_10empty_typeEbEEZZNS1_14partition_implILS5_0ELb0ES3_jN6thrust23THRUST_200600_302600_NS6detail15normal_iteratorINSA_10device_ptrIyEEEEPS6_SG_NS0_5tupleIJSF_NSA_16discard_iteratorINSA_11use_defaultEEEEEENSH_IJSG_SG_EEES6_PlJ7is_evenIyEEEE10hipError_tPvRmT3_T4_T5_T6_T7_T9_mT8_P12ihipStream_tbDpT10_ENKUlT_T0_E_clISt17integral_constantIbLb1EES18_IbLb0EEEEDaS14_S15_EUlS14_E_NS1_11comp_targetILNS1_3genE3ELNS1_11target_archE908ELNS1_3gpuE7ELNS1_3repE0EEENS1_30default_config_static_selectorELNS0_4arch9wavefront6targetE1EEEvT1_
	.globl	_ZN7rocprim17ROCPRIM_400000_NS6detail17trampoline_kernelINS0_14default_configENS1_25partition_config_selectorILNS1_17partition_subalgoE0EyNS0_10empty_typeEbEEZZNS1_14partition_implILS5_0ELb0ES3_jN6thrust23THRUST_200600_302600_NS6detail15normal_iteratorINSA_10device_ptrIyEEEEPS6_SG_NS0_5tupleIJSF_NSA_16discard_iteratorINSA_11use_defaultEEEEEENSH_IJSG_SG_EEES6_PlJ7is_evenIyEEEE10hipError_tPvRmT3_T4_T5_T6_T7_T9_mT8_P12ihipStream_tbDpT10_ENKUlT_T0_E_clISt17integral_constantIbLb1EES18_IbLb0EEEEDaS14_S15_EUlS14_E_NS1_11comp_targetILNS1_3genE3ELNS1_11target_archE908ELNS1_3gpuE7ELNS1_3repE0EEENS1_30default_config_static_selectorELNS0_4arch9wavefront6targetE1EEEvT1_
	.p2align	8
	.type	_ZN7rocprim17ROCPRIM_400000_NS6detail17trampoline_kernelINS0_14default_configENS1_25partition_config_selectorILNS1_17partition_subalgoE0EyNS0_10empty_typeEbEEZZNS1_14partition_implILS5_0ELb0ES3_jN6thrust23THRUST_200600_302600_NS6detail15normal_iteratorINSA_10device_ptrIyEEEEPS6_SG_NS0_5tupleIJSF_NSA_16discard_iteratorINSA_11use_defaultEEEEEENSH_IJSG_SG_EEES6_PlJ7is_evenIyEEEE10hipError_tPvRmT3_T4_T5_T6_T7_T9_mT8_P12ihipStream_tbDpT10_ENKUlT_T0_E_clISt17integral_constantIbLb1EES18_IbLb0EEEEDaS14_S15_EUlS14_E_NS1_11comp_targetILNS1_3genE3ELNS1_11target_archE908ELNS1_3gpuE7ELNS1_3repE0EEENS1_30default_config_static_selectorELNS0_4arch9wavefront6targetE1EEEvT1_,@function
_ZN7rocprim17ROCPRIM_400000_NS6detail17trampoline_kernelINS0_14default_configENS1_25partition_config_selectorILNS1_17partition_subalgoE0EyNS0_10empty_typeEbEEZZNS1_14partition_implILS5_0ELb0ES3_jN6thrust23THRUST_200600_302600_NS6detail15normal_iteratorINSA_10device_ptrIyEEEEPS6_SG_NS0_5tupleIJSF_NSA_16discard_iteratorINSA_11use_defaultEEEEEENSH_IJSG_SG_EEES6_PlJ7is_evenIyEEEE10hipError_tPvRmT3_T4_T5_T6_T7_T9_mT8_P12ihipStream_tbDpT10_ENKUlT_T0_E_clISt17integral_constantIbLb1EES18_IbLb0EEEEDaS14_S15_EUlS14_E_NS1_11comp_targetILNS1_3genE3ELNS1_11target_archE908ELNS1_3gpuE7ELNS1_3repE0EEENS1_30default_config_static_selectorELNS0_4arch9wavefront6targetE1EEEvT1_: ; @_ZN7rocprim17ROCPRIM_400000_NS6detail17trampoline_kernelINS0_14default_configENS1_25partition_config_selectorILNS1_17partition_subalgoE0EyNS0_10empty_typeEbEEZZNS1_14partition_implILS5_0ELb0ES3_jN6thrust23THRUST_200600_302600_NS6detail15normal_iteratorINSA_10device_ptrIyEEEEPS6_SG_NS0_5tupleIJSF_NSA_16discard_iteratorINSA_11use_defaultEEEEEENSH_IJSG_SG_EEES6_PlJ7is_evenIyEEEE10hipError_tPvRmT3_T4_T5_T6_T7_T9_mT8_P12ihipStream_tbDpT10_ENKUlT_T0_E_clISt17integral_constantIbLb1EES18_IbLb0EEEEDaS14_S15_EUlS14_E_NS1_11comp_targetILNS1_3genE3ELNS1_11target_archE908ELNS1_3gpuE7ELNS1_3repE0EEENS1_30default_config_static_selectorELNS0_4arch9wavefront6targetE1EEEvT1_
; %bb.0:
	.section	.rodata,"a",@progbits
	.p2align	6, 0x0
	.amdhsa_kernel _ZN7rocprim17ROCPRIM_400000_NS6detail17trampoline_kernelINS0_14default_configENS1_25partition_config_selectorILNS1_17partition_subalgoE0EyNS0_10empty_typeEbEEZZNS1_14partition_implILS5_0ELb0ES3_jN6thrust23THRUST_200600_302600_NS6detail15normal_iteratorINSA_10device_ptrIyEEEEPS6_SG_NS0_5tupleIJSF_NSA_16discard_iteratorINSA_11use_defaultEEEEEENSH_IJSG_SG_EEES6_PlJ7is_evenIyEEEE10hipError_tPvRmT3_T4_T5_T6_T7_T9_mT8_P12ihipStream_tbDpT10_ENKUlT_T0_E_clISt17integral_constantIbLb1EES18_IbLb0EEEEDaS14_S15_EUlS14_E_NS1_11comp_targetILNS1_3genE3ELNS1_11target_archE908ELNS1_3gpuE7ELNS1_3repE0EEENS1_30default_config_static_selectorELNS0_4arch9wavefront6targetE1EEEvT1_
		.amdhsa_group_segment_fixed_size 0
		.amdhsa_private_segment_fixed_size 0
		.amdhsa_kernarg_size 128
		.amdhsa_user_sgpr_count 2
		.amdhsa_user_sgpr_dispatch_ptr 0
		.amdhsa_user_sgpr_queue_ptr 0
		.amdhsa_user_sgpr_kernarg_segment_ptr 1
		.amdhsa_user_sgpr_dispatch_id 0
		.amdhsa_user_sgpr_kernarg_preload_length 0
		.amdhsa_user_sgpr_kernarg_preload_offset 0
		.amdhsa_user_sgpr_private_segment_size 0
		.amdhsa_uses_dynamic_stack 0
		.amdhsa_enable_private_segment 0
		.amdhsa_system_sgpr_workgroup_id_x 1
		.amdhsa_system_sgpr_workgroup_id_y 0
		.amdhsa_system_sgpr_workgroup_id_z 0
		.amdhsa_system_sgpr_workgroup_info 0
		.amdhsa_system_vgpr_workitem_id 0
		.amdhsa_next_free_vgpr 1
		.amdhsa_next_free_sgpr 0
		.amdhsa_accum_offset 4
		.amdhsa_reserve_vcc 0
		.amdhsa_float_round_mode_32 0
		.amdhsa_float_round_mode_16_64 0
		.amdhsa_float_denorm_mode_32 3
		.amdhsa_float_denorm_mode_16_64 3
		.amdhsa_dx10_clamp 1
		.amdhsa_ieee_mode 1
		.amdhsa_fp16_overflow 0
		.amdhsa_tg_split 0
		.amdhsa_exception_fp_ieee_invalid_op 0
		.amdhsa_exception_fp_denorm_src 0
		.amdhsa_exception_fp_ieee_div_zero 0
		.amdhsa_exception_fp_ieee_overflow 0
		.amdhsa_exception_fp_ieee_underflow 0
		.amdhsa_exception_fp_ieee_inexact 0
		.amdhsa_exception_int_div_zero 0
	.end_amdhsa_kernel
	.section	.text._ZN7rocprim17ROCPRIM_400000_NS6detail17trampoline_kernelINS0_14default_configENS1_25partition_config_selectorILNS1_17partition_subalgoE0EyNS0_10empty_typeEbEEZZNS1_14partition_implILS5_0ELb0ES3_jN6thrust23THRUST_200600_302600_NS6detail15normal_iteratorINSA_10device_ptrIyEEEEPS6_SG_NS0_5tupleIJSF_NSA_16discard_iteratorINSA_11use_defaultEEEEEENSH_IJSG_SG_EEES6_PlJ7is_evenIyEEEE10hipError_tPvRmT3_T4_T5_T6_T7_T9_mT8_P12ihipStream_tbDpT10_ENKUlT_T0_E_clISt17integral_constantIbLb1EES18_IbLb0EEEEDaS14_S15_EUlS14_E_NS1_11comp_targetILNS1_3genE3ELNS1_11target_archE908ELNS1_3gpuE7ELNS1_3repE0EEENS1_30default_config_static_selectorELNS0_4arch9wavefront6targetE1EEEvT1_,"axG",@progbits,_ZN7rocprim17ROCPRIM_400000_NS6detail17trampoline_kernelINS0_14default_configENS1_25partition_config_selectorILNS1_17partition_subalgoE0EyNS0_10empty_typeEbEEZZNS1_14partition_implILS5_0ELb0ES3_jN6thrust23THRUST_200600_302600_NS6detail15normal_iteratorINSA_10device_ptrIyEEEEPS6_SG_NS0_5tupleIJSF_NSA_16discard_iteratorINSA_11use_defaultEEEEEENSH_IJSG_SG_EEES6_PlJ7is_evenIyEEEE10hipError_tPvRmT3_T4_T5_T6_T7_T9_mT8_P12ihipStream_tbDpT10_ENKUlT_T0_E_clISt17integral_constantIbLb1EES18_IbLb0EEEEDaS14_S15_EUlS14_E_NS1_11comp_targetILNS1_3genE3ELNS1_11target_archE908ELNS1_3gpuE7ELNS1_3repE0EEENS1_30default_config_static_selectorELNS0_4arch9wavefront6targetE1EEEvT1_,comdat
.Lfunc_end2350:
	.size	_ZN7rocprim17ROCPRIM_400000_NS6detail17trampoline_kernelINS0_14default_configENS1_25partition_config_selectorILNS1_17partition_subalgoE0EyNS0_10empty_typeEbEEZZNS1_14partition_implILS5_0ELb0ES3_jN6thrust23THRUST_200600_302600_NS6detail15normal_iteratorINSA_10device_ptrIyEEEEPS6_SG_NS0_5tupleIJSF_NSA_16discard_iteratorINSA_11use_defaultEEEEEENSH_IJSG_SG_EEES6_PlJ7is_evenIyEEEE10hipError_tPvRmT3_T4_T5_T6_T7_T9_mT8_P12ihipStream_tbDpT10_ENKUlT_T0_E_clISt17integral_constantIbLb1EES18_IbLb0EEEEDaS14_S15_EUlS14_E_NS1_11comp_targetILNS1_3genE3ELNS1_11target_archE908ELNS1_3gpuE7ELNS1_3repE0EEENS1_30default_config_static_selectorELNS0_4arch9wavefront6targetE1EEEvT1_, .Lfunc_end2350-_ZN7rocprim17ROCPRIM_400000_NS6detail17trampoline_kernelINS0_14default_configENS1_25partition_config_selectorILNS1_17partition_subalgoE0EyNS0_10empty_typeEbEEZZNS1_14partition_implILS5_0ELb0ES3_jN6thrust23THRUST_200600_302600_NS6detail15normal_iteratorINSA_10device_ptrIyEEEEPS6_SG_NS0_5tupleIJSF_NSA_16discard_iteratorINSA_11use_defaultEEEEEENSH_IJSG_SG_EEES6_PlJ7is_evenIyEEEE10hipError_tPvRmT3_T4_T5_T6_T7_T9_mT8_P12ihipStream_tbDpT10_ENKUlT_T0_E_clISt17integral_constantIbLb1EES18_IbLb0EEEEDaS14_S15_EUlS14_E_NS1_11comp_targetILNS1_3genE3ELNS1_11target_archE908ELNS1_3gpuE7ELNS1_3repE0EEENS1_30default_config_static_selectorELNS0_4arch9wavefront6targetE1EEEvT1_
                                        ; -- End function
	.section	.AMDGPU.csdata,"",@progbits
; Kernel info:
; codeLenInByte = 0
; NumSgprs: 6
; NumVgprs: 0
; NumAgprs: 0
; TotalNumVgprs: 0
; ScratchSize: 0
; MemoryBound: 0
; FloatMode: 240
; IeeeMode: 1
; LDSByteSize: 0 bytes/workgroup (compile time only)
; SGPRBlocks: 0
; VGPRBlocks: 0
; NumSGPRsForWavesPerEU: 6
; NumVGPRsForWavesPerEU: 1
; AccumOffset: 4
; Occupancy: 8
; WaveLimiterHint : 0
; COMPUTE_PGM_RSRC2:SCRATCH_EN: 0
; COMPUTE_PGM_RSRC2:USER_SGPR: 2
; COMPUTE_PGM_RSRC2:TRAP_HANDLER: 0
; COMPUTE_PGM_RSRC2:TGID_X_EN: 1
; COMPUTE_PGM_RSRC2:TGID_Y_EN: 0
; COMPUTE_PGM_RSRC2:TGID_Z_EN: 0
; COMPUTE_PGM_RSRC2:TIDIG_COMP_CNT: 0
; COMPUTE_PGM_RSRC3_GFX90A:ACCUM_OFFSET: 0
; COMPUTE_PGM_RSRC3_GFX90A:TG_SPLIT: 0
	.section	.text._ZN7rocprim17ROCPRIM_400000_NS6detail17trampoline_kernelINS0_14default_configENS1_25partition_config_selectorILNS1_17partition_subalgoE0EyNS0_10empty_typeEbEEZZNS1_14partition_implILS5_0ELb0ES3_jN6thrust23THRUST_200600_302600_NS6detail15normal_iteratorINSA_10device_ptrIyEEEEPS6_SG_NS0_5tupleIJSF_NSA_16discard_iteratorINSA_11use_defaultEEEEEENSH_IJSG_SG_EEES6_PlJ7is_evenIyEEEE10hipError_tPvRmT3_T4_T5_T6_T7_T9_mT8_P12ihipStream_tbDpT10_ENKUlT_T0_E_clISt17integral_constantIbLb1EES18_IbLb0EEEEDaS14_S15_EUlS14_E_NS1_11comp_targetILNS1_3genE2ELNS1_11target_archE906ELNS1_3gpuE6ELNS1_3repE0EEENS1_30default_config_static_selectorELNS0_4arch9wavefront6targetE1EEEvT1_,"axG",@progbits,_ZN7rocprim17ROCPRIM_400000_NS6detail17trampoline_kernelINS0_14default_configENS1_25partition_config_selectorILNS1_17partition_subalgoE0EyNS0_10empty_typeEbEEZZNS1_14partition_implILS5_0ELb0ES3_jN6thrust23THRUST_200600_302600_NS6detail15normal_iteratorINSA_10device_ptrIyEEEEPS6_SG_NS0_5tupleIJSF_NSA_16discard_iteratorINSA_11use_defaultEEEEEENSH_IJSG_SG_EEES6_PlJ7is_evenIyEEEE10hipError_tPvRmT3_T4_T5_T6_T7_T9_mT8_P12ihipStream_tbDpT10_ENKUlT_T0_E_clISt17integral_constantIbLb1EES18_IbLb0EEEEDaS14_S15_EUlS14_E_NS1_11comp_targetILNS1_3genE2ELNS1_11target_archE906ELNS1_3gpuE6ELNS1_3repE0EEENS1_30default_config_static_selectorELNS0_4arch9wavefront6targetE1EEEvT1_,comdat
	.protected	_ZN7rocprim17ROCPRIM_400000_NS6detail17trampoline_kernelINS0_14default_configENS1_25partition_config_selectorILNS1_17partition_subalgoE0EyNS0_10empty_typeEbEEZZNS1_14partition_implILS5_0ELb0ES3_jN6thrust23THRUST_200600_302600_NS6detail15normal_iteratorINSA_10device_ptrIyEEEEPS6_SG_NS0_5tupleIJSF_NSA_16discard_iteratorINSA_11use_defaultEEEEEENSH_IJSG_SG_EEES6_PlJ7is_evenIyEEEE10hipError_tPvRmT3_T4_T5_T6_T7_T9_mT8_P12ihipStream_tbDpT10_ENKUlT_T0_E_clISt17integral_constantIbLb1EES18_IbLb0EEEEDaS14_S15_EUlS14_E_NS1_11comp_targetILNS1_3genE2ELNS1_11target_archE906ELNS1_3gpuE6ELNS1_3repE0EEENS1_30default_config_static_selectorELNS0_4arch9wavefront6targetE1EEEvT1_ ; -- Begin function _ZN7rocprim17ROCPRIM_400000_NS6detail17trampoline_kernelINS0_14default_configENS1_25partition_config_selectorILNS1_17partition_subalgoE0EyNS0_10empty_typeEbEEZZNS1_14partition_implILS5_0ELb0ES3_jN6thrust23THRUST_200600_302600_NS6detail15normal_iteratorINSA_10device_ptrIyEEEEPS6_SG_NS0_5tupleIJSF_NSA_16discard_iteratorINSA_11use_defaultEEEEEENSH_IJSG_SG_EEES6_PlJ7is_evenIyEEEE10hipError_tPvRmT3_T4_T5_T6_T7_T9_mT8_P12ihipStream_tbDpT10_ENKUlT_T0_E_clISt17integral_constantIbLb1EES18_IbLb0EEEEDaS14_S15_EUlS14_E_NS1_11comp_targetILNS1_3genE2ELNS1_11target_archE906ELNS1_3gpuE6ELNS1_3repE0EEENS1_30default_config_static_selectorELNS0_4arch9wavefront6targetE1EEEvT1_
	.globl	_ZN7rocprim17ROCPRIM_400000_NS6detail17trampoline_kernelINS0_14default_configENS1_25partition_config_selectorILNS1_17partition_subalgoE0EyNS0_10empty_typeEbEEZZNS1_14partition_implILS5_0ELb0ES3_jN6thrust23THRUST_200600_302600_NS6detail15normal_iteratorINSA_10device_ptrIyEEEEPS6_SG_NS0_5tupleIJSF_NSA_16discard_iteratorINSA_11use_defaultEEEEEENSH_IJSG_SG_EEES6_PlJ7is_evenIyEEEE10hipError_tPvRmT3_T4_T5_T6_T7_T9_mT8_P12ihipStream_tbDpT10_ENKUlT_T0_E_clISt17integral_constantIbLb1EES18_IbLb0EEEEDaS14_S15_EUlS14_E_NS1_11comp_targetILNS1_3genE2ELNS1_11target_archE906ELNS1_3gpuE6ELNS1_3repE0EEENS1_30default_config_static_selectorELNS0_4arch9wavefront6targetE1EEEvT1_
	.p2align	8
	.type	_ZN7rocprim17ROCPRIM_400000_NS6detail17trampoline_kernelINS0_14default_configENS1_25partition_config_selectorILNS1_17partition_subalgoE0EyNS0_10empty_typeEbEEZZNS1_14partition_implILS5_0ELb0ES3_jN6thrust23THRUST_200600_302600_NS6detail15normal_iteratorINSA_10device_ptrIyEEEEPS6_SG_NS0_5tupleIJSF_NSA_16discard_iteratorINSA_11use_defaultEEEEEENSH_IJSG_SG_EEES6_PlJ7is_evenIyEEEE10hipError_tPvRmT3_T4_T5_T6_T7_T9_mT8_P12ihipStream_tbDpT10_ENKUlT_T0_E_clISt17integral_constantIbLb1EES18_IbLb0EEEEDaS14_S15_EUlS14_E_NS1_11comp_targetILNS1_3genE2ELNS1_11target_archE906ELNS1_3gpuE6ELNS1_3repE0EEENS1_30default_config_static_selectorELNS0_4arch9wavefront6targetE1EEEvT1_,@function
_ZN7rocprim17ROCPRIM_400000_NS6detail17trampoline_kernelINS0_14default_configENS1_25partition_config_selectorILNS1_17partition_subalgoE0EyNS0_10empty_typeEbEEZZNS1_14partition_implILS5_0ELb0ES3_jN6thrust23THRUST_200600_302600_NS6detail15normal_iteratorINSA_10device_ptrIyEEEEPS6_SG_NS0_5tupleIJSF_NSA_16discard_iteratorINSA_11use_defaultEEEEEENSH_IJSG_SG_EEES6_PlJ7is_evenIyEEEE10hipError_tPvRmT3_T4_T5_T6_T7_T9_mT8_P12ihipStream_tbDpT10_ENKUlT_T0_E_clISt17integral_constantIbLb1EES18_IbLb0EEEEDaS14_S15_EUlS14_E_NS1_11comp_targetILNS1_3genE2ELNS1_11target_archE906ELNS1_3gpuE6ELNS1_3repE0EEENS1_30default_config_static_selectorELNS0_4arch9wavefront6targetE1EEEvT1_: ; @_ZN7rocprim17ROCPRIM_400000_NS6detail17trampoline_kernelINS0_14default_configENS1_25partition_config_selectorILNS1_17partition_subalgoE0EyNS0_10empty_typeEbEEZZNS1_14partition_implILS5_0ELb0ES3_jN6thrust23THRUST_200600_302600_NS6detail15normal_iteratorINSA_10device_ptrIyEEEEPS6_SG_NS0_5tupleIJSF_NSA_16discard_iteratorINSA_11use_defaultEEEEEENSH_IJSG_SG_EEES6_PlJ7is_evenIyEEEE10hipError_tPvRmT3_T4_T5_T6_T7_T9_mT8_P12ihipStream_tbDpT10_ENKUlT_T0_E_clISt17integral_constantIbLb1EES18_IbLb0EEEEDaS14_S15_EUlS14_E_NS1_11comp_targetILNS1_3genE2ELNS1_11target_archE906ELNS1_3gpuE6ELNS1_3repE0EEENS1_30default_config_static_selectorELNS0_4arch9wavefront6targetE1EEEvT1_
; %bb.0:
	.section	.rodata,"a",@progbits
	.p2align	6, 0x0
	.amdhsa_kernel _ZN7rocprim17ROCPRIM_400000_NS6detail17trampoline_kernelINS0_14default_configENS1_25partition_config_selectorILNS1_17partition_subalgoE0EyNS0_10empty_typeEbEEZZNS1_14partition_implILS5_0ELb0ES3_jN6thrust23THRUST_200600_302600_NS6detail15normal_iteratorINSA_10device_ptrIyEEEEPS6_SG_NS0_5tupleIJSF_NSA_16discard_iteratorINSA_11use_defaultEEEEEENSH_IJSG_SG_EEES6_PlJ7is_evenIyEEEE10hipError_tPvRmT3_T4_T5_T6_T7_T9_mT8_P12ihipStream_tbDpT10_ENKUlT_T0_E_clISt17integral_constantIbLb1EES18_IbLb0EEEEDaS14_S15_EUlS14_E_NS1_11comp_targetILNS1_3genE2ELNS1_11target_archE906ELNS1_3gpuE6ELNS1_3repE0EEENS1_30default_config_static_selectorELNS0_4arch9wavefront6targetE1EEEvT1_
		.amdhsa_group_segment_fixed_size 0
		.amdhsa_private_segment_fixed_size 0
		.amdhsa_kernarg_size 128
		.amdhsa_user_sgpr_count 2
		.amdhsa_user_sgpr_dispatch_ptr 0
		.amdhsa_user_sgpr_queue_ptr 0
		.amdhsa_user_sgpr_kernarg_segment_ptr 1
		.amdhsa_user_sgpr_dispatch_id 0
		.amdhsa_user_sgpr_kernarg_preload_length 0
		.amdhsa_user_sgpr_kernarg_preload_offset 0
		.amdhsa_user_sgpr_private_segment_size 0
		.amdhsa_uses_dynamic_stack 0
		.amdhsa_enable_private_segment 0
		.amdhsa_system_sgpr_workgroup_id_x 1
		.amdhsa_system_sgpr_workgroup_id_y 0
		.amdhsa_system_sgpr_workgroup_id_z 0
		.amdhsa_system_sgpr_workgroup_info 0
		.amdhsa_system_vgpr_workitem_id 0
		.amdhsa_next_free_vgpr 1
		.amdhsa_next_free_sgpr 0
		.amdhsa_accum_offset 4
		.amdhsa_reserve_vcc 0
		.amdhsa_float_round_mode_32 0
		.amdhsa_float_round_mode_16_64 0
		.amdhsa_float_denorm_mode_32 3
		.amdhsa_float_denorm_mode_16_64 3
		.amdhsa_dx10_clamp 1
		.amdhsa_ieee_mode 1
		.amdhsa_fp16_overflow 0
		.amdhsa_tg_split 0
		.amdhsa_exception_fp_ieee_invalid_op 0
		.amdhsa_exception_fp_denorm_src 0
		.amdhsa_exception_fp_ieee_div_zero 0
		.amdhsa_exception_fp_ieee_overflow 0
		.amdhsa_exception_fp_ieee_underflow 0
		.amdhsa_exception_fp_ieee_inexact 0
		.amdhsa_exception_int_div_zero 0
	.end_amdhsa_kernel
	.section	.text._ZN7rocprim17ROCPRIM_400000_NS6detail17trampoline_kernelINS0_14default_configENS1_25partition_config_selectorILNS1_17partition_subalgoE0EyNS0_10empty_typeEbEEZZNS1_14partition_implILS5_0ELb0ES3_jN6thrust23THRUST_200600_302600_NS6detail15normal_iteratorINSA_10device_ptrIyEEEEPS6_SG_NS0_5tupleIJSF_NSA_16discard_iteratorINSA_11use_defaultEEEEEENSH_IJSG_SG_EEES6_PlJ7is_evenIyEEEE10hipError_tPvRmT3_T4_T5_T6_T7_T9_mT8_P12ihipStream_tbDpT10_ENKUlT_T0_E_clISt17integral_constantIbLb1EES18_IbLb0EEEEDaS14_S15_EUlS14_E_NS1_11comp_targetILNS1_3genE2ELNS1_11target_archE906ELNS1_3gpuE6ELNS1_3repE0EEENS1_30default_config_static_selectorELNS0_4arch9wavefront6targetE1EEEvT1_,"axG",@progbits,_ZN7rocprim17ROCPRIM_400000_NS6detail17trampoline_kernelINS0_14default_configENS1_25partition_config_selectorILNS1_17partition_subalgoE0EyNS0_10empty_typeEbEEZZNS1_14partition_implILS5_0ELb0ES3_jN6thrust23THRUST_200600_302600_NS6detail15normal_iteratorINSA_10device_ptrIyEEEEPS6_SG_NS0_5tupleIJSF_NSA_16discard_iteratorINSA_11use_defaultEEEEEENSH_IJSG_SG_EEES6_PlJ7is_evenIyEEEE10hipError_tPvRmT3_T4_T5_T6_T7_T9_mT8_P12ihipStream_tbDpT10_ENKUlT_T0_E_clISt17integral_constantIbLb1EES18_IbLb0EEEEDaS14_S15_EUlS14_E_NS1_11comp_targetILNS1_3genE2ELNS1_11target_archE906ELNS1_3gpuE6ELNS1_3repE0EEENS1_30default_config_static_selectorELNS0_4arch9wavefront6targetE1EEEvT1_,comdat
.Lfunc_end2351:
	.size	_ZN7rocprim17ROCPRIM_400000_NS6detail17trampoline_kernelINS0_14default_configENS1_25partition_config_selectorILNS1_17partition_subalgoE0EyNS0_10empty_typeEbEEZZNS1_14partition_implILS5_0ELb0ES3_jN6thrust23THRUST_200600_302600_NS6detail15normal_iteratorINSA_10device_ptrIyEEEEPS6_SG_NS0_5tupleIJSF_NSA_16discard_iteratorINSA_11use_defaultEEEEEENSH_IJSG_SG_EEES6_PlJ7is_evenIyEEEE10hipError_tPvRmT3_T4_T5_T6_T7_T9_mT8_P12ihipStream_tbDpT10_ENKUlT_T0_E_clISt17integral_constantIbLb1EES18_IbLb0EEEEDaS14_S15_EUlS14_E_NS1_11comp_targetILNS1_3genE2ELNS1_11target_archE906ELNS1_3gpuE6ELNS1_3repE0EEENS1_30default_config_static_selectorELNS0_4arch9wavefront6targetE1EEEvT1_, .Lfunc_end2351-_ZN7rocprim17ROCPRIM_400000_NS6detail17trampoline_kernelINS0_14default_configENS1_25partition_config_selectorILNS1_17partition_subalgoE0EyNS0_10empty_typeEbEEZZNS1_14partition_implILS5_0ELb0ES3_jN6thrust23THRUST_200600_302600_NS6detail15normal_iteratorINSA_10device_ptrIyEEEEPS6_SG_NS0_5tupleIJSF_NSA_16discard_iteratorINSA_11use_defaultEEEEEENSH_IJSG_SG_EEES6_PlJ7is_evenIyEEEE10hipError_tPvRmT3_T4_T5_T6_T7_T9_mT8_P12ihipStream_tbDpT10_ENKUlT_T0_E_clISt17integral_constantIbLb1EES18_IbLb0EEEEDaS14_S15_EUlS14_E_NS1_11comp_targetILNS1_3genE2ELNS1_11target_archE906ELNS1_3gpuE6ELNS1_3repE0EEENS1_30default_config_static_selectorELNS0_4arch9wavefront6targetE1EEEvT1_
                                        ; -- End function
	.section	.AMDGPU.csdata,"",@progbits
; Kernel info:
; codeLenInByte = 0
; NumSgprs: 6
; NumVgprs: 0
; NumAgprs: 0
; TotalNumVgprs: 0
; ScratchSize: 0
; MemoryBound: 0
; FloatMode: 240
; IeeeMode: 1
; LDSByteSize: 0 bytes/workgroup (compile time only)
; SGPRBlocks: 0
; VGPRBlocks: 0
; NumSGPRsForWavesPerEU: 6
; NumVGPRsForWavesPerEU: 1
; AccumOffset: 4
; Occupancy: 8
; WaveLimiterHint : 0
; COMPUTE_PGM_RSRC2:SCRATCH_EN: 0
; COMPUTE_PGM_RSRC2:USER_SGPR: 2
; COMPUTE_PGM_RSRC2:TRAP_HANDLER: 0
; COMPUTE_PGM_RSRC2:TGID_X_EN: 1
; COMPUTE_PGM_RSRC2:TGID_Y_EN: 0
; COMPUTE_PGM_RSRC2:TGID_Z_EN: 0
; COMPUTE_PGM_RSRC2:TIDIG_COMP_CNT: 0
; COMPUTE_PGM_RSRC3_GFX90A:ACCUM_OFFSET: 0
; COMPUTE_PGM_RSRC3_GFX90A:TG_SPLIT: 0
	.section	.text._ZN7rocprim17ROCPRIM_400000_NS6detail17trampoline_kernelINS0_14default_configENS1_25partition_config_selectorILNS1_17partition_subalgoE0EyNS0_10empty_typeEbEEZZNS1_14partition_implILS5_0ELb0ES3_jN6thrust23THRUST_200600_302600_NS6detail15normal_iteratorINSA_10device_ptrIyEEEEPS6_SG_NS0_5tupleIJSF_NSA_16discard_iteratorINSA_11use_defaultEEEEEENSH_IJSG_SG_EEES6_PlJ7is_evenIyEEEE10hipError_tPvRmT3_T4_T5_T6_T7_T9_mT8_P12ihipStream_tbDpT10_ENKUlT_T0_E_clISt17integral_constantIbLb1EES18_IbLb0EEEEDaS14_S15_EUlS14_E_NS1_11comp_targetILNS1_3genE10ELNS1_11target_archE1200ELNS1_3gpuE4ELNS1_3repE0EEENS1_30default_config_static_selectorELNS0_4arch9wavefront6targetE1EEEvT1_,"axG",@progbits,_ZN7rocprim17ROCPRIM_400000_NS6detail17trampoline_kernelINS0_14default_configENS1_25partition_config_selectorILNS1_17partition_subalgoE0EyNS0_10empty_typeEbEEZZNS1_14partition_implILS5_0ELb0ES3_jN6thrust23THRUST_200600_302600_NS6detail15normal_iteratorINSA_10device_ptrIyEEEEPS6_SG_NS0_5tupleIJSF_NSA_16discard_iteratorINSA_11use_defaultEEEEEENSH_IJSG_SG_EEES6_PlJ7is_evenIyEEEE10hipError_tPvRmT3_T4_T5_T6_T7_T9_mT8_P12ihipStream_tbDpT10_ENKUlT_T0_E_clISt17integral_constantIbLb1EES18_IbLb0EEEEDaS14_S15_EUlS14_E_NS1_11comp_targetILNS1_3genE10ELNS1_11target_archE1200ELNS1_3gpuE4ELNS1_3repE0EEENS1_30default_config_static_selectorELNS0_4arch9wavefront6targetE1EEEvT1_,comdat
	.protected	_ZN7rocprim17ROCPRIM_400000_NS6detail17trampoline_kernelINS0_14default_configENS1_25partition_config_selectorILNS1_17partition_subalgoE0EyNS0_10empty_typeEbEEZZNS1_14partition_implILS5_0ELb0ES3_jN6thrust23THRUST_200600_302600_NS6detail15normal_iteratorINSA_10device_ptrIyEEEEPS6_SG_NS0_5tupleIJSF_NSA_16discard_iteratorINSA_11use_defaultEEEEEENSH_IJSG_SG_EEES6_PlJ7is_evenIyEEEE10hipError_tPvRmT3_T4_T5_T6_T7_T9_mT8_P12ihipStream_tbDpT10_ENKUlT_T0_E_clISt17integral_constantIbLb1EES18_IbLb0EEEEDaS14_S15_EUlS14_E_NS1_11comp_targetILNS1_3genE10ELNS1_11target_archE1200ELNS1_3gpuE4ELNS1_3repE0EEENS1_30default_config_static_selectorELNS0_4arch9wavefront6targetE1EEEvT1_ ; -- Begin function _ZN7rocprim17ROCPRIM_400000_NS6detail17trampoline_kernelINS0_14default_configENS1_25partition_config_selectorILNS1_17partition_subalgoE0EyNS0_10empty_typeEbEEZZNS1_14partition_implILS5_0ELb0ES3_jN6thrust23THRUST_200600_302600_NS6detail15normal_iteratorINSA_10device_ptrIyEEEEPS6_SG_NS0_5tupleIJSF_NSA_16discard_iteratorINSA_11use_defaultEEEEEENSH_IJSG_SG_EEES6_PlJ7is_evenIyEEEE10hipError_tPvRmT3_T4_T5_T6_T7_T9_mT8_P12ihipStream_tbDpT10_ENKUlT_T0_E_clISt17integral_constantIbLb1EES18_IbLb0EEEEDaS14_S15_EUlS14_E_NS1_11comp_targetILNS1_3genE10ELNS1_11target_archE1200ELNS1_3gpuE4ELNS1_3repE0EEENS1_30default_config_static_selectorELNS0_4arch9wavefront6targetE1EEEvT1_
	.globl	_ZN7rocprim17ROCPRIM_400000_NS6detail17trampoline_kernelINS0_14default_configENS1_25partition_config_selectorILNS1_17partition_subalgoE0EyNS0_10empty_typeEbEEZZNS1_14partition_implILS5_0ELb0ES3_jN6thrust23THRUST_200600_302600_NS6detail15normal_iteratorINSA_10device_ptrIyEEEEPS6_SG_NS0_5tupleIJSF_NSA_16discard_iteratorINSA_11use_defaultEEEEEENSH_IJSG_SG_EEES6_PlJ7is_evenIyEEEE10hipError_tPvRmT3_T4_T5_T6_T7_T9_mT8_P12ihipStream_tbDpT10_ENKUlT_T0_E_clISt17integral_constantIbLb1EES18_IbLb0EEEEDaS14_S15_EUlS14_E_NS1_11comp_targetILNS1_3genE10ELNS1_11target_archE1200ELNS1_3gpuE4ELNS1_3repE0EEENS1_30default_config_static_selectorELNS0_4arch9wavefront6targetE1EEEvT1_
	.p2align	8
	.type	_ZN7rocprim17ROCPRIM_400000_NS6detail17trampoline_kernelINS0_14default_configENS1_25partition_config_selectorILNS1_17partition_subalgoE0EyNS0_10empty_typeEbEEZZNS1_14partition_implILS5_0ELb0ES3_jN6thrust23THRUST_200600_302600_NS6detail15normal_iteratorINSA_10device_ptrIyEEEEPS6_SG_NS0_5tupleIJSF_NSA_16discard_iteratorINSA_11use_defaultEEEEEENSH_IJSG_SG_EEES6_PlJ7is_evenIyEEEE10hipError_tPvRmT3_T4_T5_T6_T7_T9_mT8_P12ihipStream_tbDpT10_ENKUlT_T0_E_clISt17integral_constantIbLb1EES18_IbLb0EEEEDaS14_S15_EUlS14_E_NS1_11comp_targetILNS1_3genE10ELNS1_11target_archE1200ELNS1_3gpuE4ELNS1_3repE0EEENS1_30default_config_static_selectorELNS0_4arch9wavefront6targetE1EEEvT1_,@function
_ZN7rocprim17ROCPRIM_400000_NS6detail17trampoline_kernelINS0_14default_configENS1_25partition_config_selectorILNS1_17partition_subalgoE0EyNS0_10empty_typeEbEEZZNS1_14partition_implILS5_0ELb0ES3_jN6thrust23THRUST_200600_302600_NS6detail15normal_iteratorINSA_10device_ptrIyEEEEPS6_SG_NS0_5tupleIJSF_NSA_16discard_iteratorINSA_11use_defaultEEEEEENSH_IJSG_SG_EEES6_PlJ7is_evenIyEEEE10hipError_tPvRmT3_T4_T5_T6_T7_T9_mT8_P12ihipStream_tbDpT10_ENKUlT_T0_E_clISt17integral_constantIbLb1EES18_IbLb0EEEEDaS14_S15_EUlS14_E_NS1_11comp_targetILNS1_3genE10ELNS1_11target_archE1200ELNS1_3gpuE4ELNS1_3repE0EEENS1_30default_config_static_selectorELNS0_4arch9wavefront6targetE1EEEvT1_: ; @_ZN7rocprim17ROCPRIM_400000_NS6detail17trampoline_kernelINS0_14default_configENS1_25partition_config_selectorILNS1_17partition_subalgoE0EyNS0_10empty_typeEbEEZZNS1_14partition_implILS5_0ELb0ES3_jN6thrust23THRUST_200600_302600_NS6detail15normal_iteratorINSA_10device_ptrIyEEEEPS6_SG_NS0_5tupleIJSF_NSA_16discard_iteratorINSA_11use_defaultEEEEEENSH_IJSG_SG_EEES6_PlJ7is_evenIyEEEE10hipError_tPvRmT3_T4_T5_T6_T7_T9_mT8_P12ihipStream_tbDpT10_ENKUlT_T0_E_clISt17integral_constantIbLb1EES18_IbLb0EEEEDaS14_S15_EUlS14_E_NS1_11comp_targetILNS1_3genE10ELNS1_11target_archE1200ELNS1_3gpuE4ELNS1_3repE0EEENS1_30default_config_static_selectorELNS0_4arch9wavefront6targetE1EEEvT1_
; %bb.0:
	.section	.rodata,"a",@progbits
	.p2align	6, 0x0
	.amdhsa_kernel _ZN7rocprim17ROCPRIM_400000_NS6detail17trampoline_kernelINS0_14default_configENS1_25partition_config_selectorILNS1_17partition_subalgoE0EyNS0_10empty_typeEbEEZZNS1_14partition_implILS5_0ELb0ES3_jN6thrust23THRUST_200600_302600_NS6detail15normal_iteratorINSA_10device_ptrIyEEEEPS6_SG_NS0_5tupleIJSF_NSA_16discard_iteratorINSA_11use_defaultEEEEEENSH_IJSG_SG_EEES6_PlJ7is_evenIyEEEE10hipError_tPvRmT3_T4_T5_T6_T7_T9_mT8_P12ihipStream_tbDpT10_ENKUlT_T0_E_clISt17integral_constantIbLb1EES18_IbLb0EEEEDaS14_S15_EUlS14_E_NS1_11comp_targetILNS1_3genE10ELNS1_11target_archE1200ELNS1_3gpuE4ELNS1_3repE0EEENS1_30default_config_static_selectorELNS0_4arch9wavefront6targetE1EEEvT1_
		.amdhsa_group_segment_fixed_size 0
		.amdhsa_private_segment_fixed_size 0
		.amdhsa_kernarg_size 128
		.amdhsa_user_sgpr_count 2
		.amdhsa_user_sgpr_dispatch_ptr 0
		.amdhsa_user_sgpr_queue_ptr 0
		.amdhsa_user_sgpr_kernarg_segment_ptr 1
		.amdhsa_user_sgpr_dispatch_id 0
		.amdhsa_user_sgpr_kernarg_preload_length 0
		.amdhsa_user_sgpr_kernarg_preload_offset 0
		.amdhsa_user_sgpr_private_segment_size 0
		.amdhsa_uses_dynamic_stack 0
		.amdhsa_enable_private_segment 0
		.amdhsa_system_sgpr_workgroup_id_x 1
		.amdhsa_system_sgpr_workgroup_id_y 0
		.amdhsa_system_sgpr_workgroup_id_z 0
		.amdhsa_system_sgpr_workgroup_info 0
		.amdhsa_system_vgpr_workitem_id 0
		.amdhsa_next_free_vgpr 1
		.amdhsa_next_free_sgpr 0
		.amdhsa_accum_offset 4
		.amdhsa_reserve_vcc 0
		.amdhsa_float_round_mode_32 0
		.amdhsa_float_round_mode_16_64 0
		.amdhsa_float_denorm_mode_32 3
		.amdhsa_float_denorm_mode_16_64 3
		.amdhsa_dx10_clamp 1
		.amdhsa_ieee_mode 1
		.amdhsa_fp16_overflow 0
		.amdhsa_tg_split 0
		.amdhsa_exception_fp_ieee_invalid_op 0
		.amdhsa_exception_fp_denorm_src 0
		.amdhsa_exception_fp_ieee_div_zero 0
		.amdhsa_exception_fp_ieee_overflow 0
		.amdhsa_exception_fp_ieee_underflow 0
		.amdhsa_exception_fp_ieee_inexact 0
		.amdhsa_exception_int_div_zero 0
	.end_amdhsa_kernel
	.section	.text._ZN7rocprim17ROCPRIM_400000_NS6detail17trampoline_kernelINS0_14default_configENS1_25partition_config_selectorILNS1_17partition_subalgoE0EyNS0_10empty_typeEbEEZZNS1_14partition_implILS5_0ELb0ES3_jN6thrust23THRUST_200600_302600_NS6detail15normal_iteratorINSA_10device_ptrIyEEEEPS6_SG_NS0_5tupleIJSF_NSA_16discard_iteratorINSA_11use_defaultEEEEEENSH_IJSG_SG_EEES6_PlJ7is_evenIyEEEE10hipError_tPvRmT3_T4_T5_T6_T7_T9_mT8_P12ihipStream_tbDpT10_ENKUlT_T0_E_clISt17integral_constantIbLb1EES18_IbLb0EEEEDaS14_S15_EUlS14_E_NS1_11comp_targetILNS1_3genE10ELNS1_11target_archE1200ELNS1_3gpuE4ELNS1_3repE0EEENS1_30default_config_static_selectorELNS0_4arch9wavefront6targetE1EEEvT1_,"axG",@progbits,_ZN7rocprim17ROCPRIM_400000_NS6detail17trampoline_kernelINS0_14default_configENS1_25partition_config_selectorILNS1_17partition_subalgoE0EyNS0_10empty_typeEbEEZZNS1_14partition_implILS5_0ELb0ES3_jN6thrust23THRUST_200600_302600_NS6detail15normal_iteratorINSA_10device_ptrIyEEEEPS6_SG_NS0_5tupleIJSF_NSA_16discard_iteratorINSA_11use_defaultEEEEEENSH_IJSG_SG_EEES6_PlJ7is_evenIyEEEE10hipError_tPvRmT3_T4_T5_T6_T7_T9_mT8_P12ihipStream_tbDpT10_ENKUlT_T0_E_clISt17integral_constantIbLb1EES18_IbLb0EEEEDaS14_S15_EUlS14_E_NS1_11comp_targetILNS1_3genE10ELNS1_11target_archE1200ELNS1_3gpuE4ELNS1_3repE0EEENS1_30default_config_static_selectorELNS0_4arch9wavefront6targetE1EEEvT1_,comdat
.Lfunc_end2352:
	.size	_ZN7rocprim17ROCPRIM_400000_NS6detail17trampoline_kernelINS0_14default_configENS1_25partition_config_selectorILNS1_17partition_subalgoE0EyNS0_10empty_typeEbEEZZNS1_14partition_implILS5_0ELb0ES3_jN6thrust23THRUST_200600_302600_NS6detail15normal_iteratorINSA_10device_ptrIyEEEEPS6_SG_NS0_5tupleIJSF_NSA_16discard_iteratorINSA_11use_defaultEEEEEENSH_IJSG_SG_EEES6_PlJ7is_evenIyEEEE10hipError_tPvRmT3_T4_T5_T6_T7_T9_mT8_P12ihipStream_tbDpT10_ENKUlT_T0_E_clISt17integral_constantIbLb1EES18_IbLb0EEEEDaS14_S15_EUlS14_E_NS1_11comp_targetILNS1_3genE10ELNS1_11target_archE1200ELNS1_3gpuE4ELNS1_3repE0EEENS1_30default_config_static_selectorELNS0_4arch9wavefront6targetE1EEEvT1_, .Lfunc_end2352-_ZN7rocprim17ROCPRIM_400000_NS6detail17trampoline_kernelINS0_14default_configENS1_25partition_config_selectorILNS1_17partition_subalgoE0EyNS0_10empty_typeEbEEZZNS1_14partition_implILS5_0ELb0ES3_jN6thrust23THRUST_200600_302600_NS6detail15normal_iteratorINSA_10device_ptrIyEEEEPS6_SG_NS0_5tupleIJSF_NSA_16discard_iteratorINSA_11use_defaultEEEEEENSH_IJSG_SG_EEES6_PlJ7is_evenIyEEEE10hipError_tPvRmT3_T4_T5_T6_T7_T9_mT8_P12ihipStream_tbDpT10_ENKUlT_T0_E_clISt17integral_constantIbLb1EES18_IbLb0EEEEDaS14_S15_EUlS14_E_NS1_11comp_targetILNS1_3genE10ELNS1_11target_archE1200ELNS1_3gpuE4ELNS1_3repE0EEENS1_30default_config_static_selectorELNS0_4arch9wavefront6targetE1EEEvT1_
                                        ; -- End function
	.section	.AMDGPU.csdata,"",@progbits
; Kernel info:
; codeLenInByte = 0
; NumSgprs: 6
; NumVgprs: 0
; NumAgprs: 0
; TotalNumVgprs: 0
; ScratchSize: 0
; MemoryBound: 0
; FloatMode: 240
; IeeeMode: 1
; LDSByteSize: 0 bytes/workgroup (compile time only)
; SGPRBlocks: 0
; VGPRBlocks: 0
; NumSGPRsForWavesPerEU: 6
; NumVGPRsForWavesPerEU: 1
; AccumOffset: 4
; Occupancy: 8
; WaveLimiterHint : 0
; COMPUTE_PGM_RSRC2:SCRATCH_EN: 0
; COMPUTE_PGM_RSRC2:USER_SGPR: 2
; COMPUTE_PGM_RSRC2:TRAP_HANDLER: 0
; COMPUTE_PGM_RSRC2:TGID_X_EN: 1
; COMPUTE_PGM_RSRC2:TGID_Y_EN: 0
; COMPUTE_PGM_RSRC2:TGID_Z_EN: 0
; COMPUTE_PGM_RSRC2:TIDIG_COMP_CNT: 0
; COMPUTE_PGM_RSRC3_GFX90A:ACCUM_OFFSET: 0
; COMPUTE_PGM_RSRC3_GFX90A:TG_SPLIT: 0
	.section	.text._ZN7rocprim17ROCPRIM_400000_NS6detail17trampoline_kernelINS0_14default_configENS1_25partition_config_selectorILNS1_17partition_subalgoE0EyNS0_10empty_typeEbEEZZNS1_14partition_implILS5_0ELb0ES3_jN6thrust23THRUST_200600_302600_NS6detail15normal_iteratorINSA_10device_ptrIyEEEEPS6_SG_NS0_5tupleIJSF_NSA_16discard_iteratorINSA_11use_defaultEEEEEENSH_IJSG_SG_EEES6_PlJ7is_evenIyEEEE10hipError_tPvRmT3_T4_T5_T6_T7_T9_mT8_P12ihipStream_tbDpT10_ENKUlT_T0_E_clISt17integral_constantIbLb1EES18_IbLb0EEEEDaS14_S15_EUlS14_E_NS1_11comp_targetILNS1_3genE9ELNS1_11target_archE1100ELNS1_3gpuE3ELNS1_3repE0EEENS1_30default_config_static_selectorELNS0_4arch9wavefront6targetE1EEEvT1_,"axG",@progbits,_ZN7rocprim17ROCPRIM_400000_NS6detail17trampoline_kernelINS0_14default_configENS1_25partition_config_selectorILNS1_17partition_subalgoE0EyNS0_10empty_typeEbEEZZNS1_14partition_implILS5_0ELb0ES3_jN6thrust23THRUST_200600_302600_NS6detail15normal_iteratorINSA_10device_ptrIyEEEEPS6_SG_NS0_5tupleIJSF_NSA_16discard_iteratorINSA_11use_defaultEEEEEENSH_IJSG_SG_EEES6_PlJ7is_evenIyEEEE10hipError_tPvRmT3_T4_T5_T6_T7_T9_mT8_P12ihipStream_tbDpT10_ENKUlT_T0_E_clISt17integral_constantIbLb1EES18_IbLb0EEEEDaS14_S15_EUlS14_E_NS1_11comp_targetILNS1_3genE9ELNS1_11target_archE1100ELNS1_3gpuE3ELNS1_3repE0EEENS1_30default_config_static_selectorELNS0_4arch9wavefront6targetE1EEEvT1_,comdat
	.protected	_ZN7rocprim17ROCPRIM_400000_NS6detail17trampoline_kernelINS0_14default_configENS1_25partition_config_selectorILNS1_17partition_subalgoE0EyNS0_10empty_typeEbEEZZNS1_14partition_implILS5_0ELb0ES3_jN6thrust23THRUST_200600_302600_NS6detail15normal_iteratorINSA_10device_ptrIyEEEEPS6_SG_NS0_5tupleIJSF_NSA_16discard_iteratorINSA_11use_defaultEEEEEENSH_IJSG_SG_EEES6_PlJ7is_evenIyEEEE10hipError_tPvRmT3_T4_T5_T6_T7_T9_mT8_P12ihipStream_tbDpT10_ENKUlT_T0_E_clISt17integral_constantIbLb1EES18_IbLb0EEEEDaS14_S15_EUlS14_E_NS1_11comp_targetILNS1_3genE9ELNS1_11target_archE1100ELNS1_3gpuE3ELNS1_3repE0EEENS1_30default_config_static_selectorELNS0_4arch9wavefront6targetE1EEEvT1_ ; -- Begin function _ZN7rocprim17ROCPRIM_400000_NS6detail17trampoline_kernelINS0_14default_configENS1_25partition_config_selectorILNS1_17partition_subalgoE0EyNS0_10empty_typeEbEEZZNS1_14partition_implILS5_0ELb0ES3_jN6thrust23THRUST_200600_302600_NS6detail15normal_iteratorINSA_10device_ptrIyEEEEPS6_SG_NS0_5tupleIJSF_NSA_16discard_iteratorINSA_11use_defaultEEEEEENSH_IJSG_SG_EEES6_PlJ7is_evenIyEEEE10hipError_tPvRmT3_T4_T5_T6_T7_T9_mT8_P12ihipStream_tbDpT10_ENKUlT_T0_E_clISt17integral_constantIbLb1EES18_IbLb0EEEEDaS14_S15_EUlS14_E_NS1_11comp_targetILNS1_3genE9ELNS1_11target_archE1100ELNS1_3gpuE3ELNS1_3repE0EEENS1_30default_config_static_selectorELNS0_4arch9wavefront6targetE1EEEvT1_
	.globl	_ZN7rocprim17ROCPRIM_400000_NS6detail17trampoline_kernelINS0_14default_configENS1_25partition_config_selectorILNS1_17partition_subalgoE0EyNS0_10empty_typeEbEEZZNS1_14partition_implILS5_0ELb0ES3_jN6thrust23THRUST_200600_302600_NS6detail15normal_iteratorINSA_10device_ptrIyEEEEPS6_SG_NS0_5tupleIJSF_NSA_16discard_iteratorINSA_11use_defaultEEEEEENSH_IJSG_SG_EEES6_PlJ7is_evenIyEEEE10hipError_tPvRmT3_T4_T5_T6_T7_T9_mT8_P12ihipStream_tbDpT10_ENKUlT_T0_E_clISt17integral_constantIbLb1EES18_IbLb0EEEEDaS14_S15_EUlS14_E_NS1_11comp_targetILNS1_3genE9ELNS1_11target_archE1100ELNS1_3gpuE3ELNS1_3repE0EEENS1_30default_config_static_selectorELNS0_4arch9wavefront6targetE1EEEvT1_
	.p2align	8
	.type	_ZN7rocprim17ROCPRIM_400000_NS6detail17trampoline_kernelINS0_14default_configENS1_25partition_config_selectorILNS1_17partition_subalgoE0EyNS0_10empty_typeEbEEZZNS1_14partition_implILS5_0ELb0ES3_jN6thrust23THRUST_200600_302600_NS6detail15normal_iteratorINSA_10device_ptrIyEEEEPS6_SG_NS0_5tupleIJSF_NSA_16discard_iteratorINSA_11use_defaultEEEEEENSH_IJSG_SG_EEES6_PlJ7is_evenIyEEEE10hipError_tPvRmT3_T4_T5_T6_T7_T9_mT8_P12ihipStream_tbDpT10_ENKUlT_T0_E_clISt17integral_constantIbLb1EES18_IbLb0EEEEDaS14_S15_EUlS14_E_NS1_11comp_targetILNS1_3genE9ELNS1_11target_archE1100ELNS1_3gpuE3ELNS1_3repE0EEENS1_30default_config_static_selectorELNS0_4arch9wavefront6targetE1EEEvT1_,@function
_ZN7rocprim17ROCPRIM_400000_NS6detail17trampoline_kernelINS0_14default_configENS1_25partition_config_selectorILNS1_17partition_subalgoE0EyNS0_10empty_typeEbEEZZNS1_14partition_implILS5_0ELb0ES3_jN6thrust23THRUST_200600_302600_NS6detail15normal_iteratorINSA_10device_ptrIyEEEEPS6_SG_NS0_5tupleIJSF_NSA_16discard_iteratorINSA_11use_defaultEEEEEENSH_IJSG_SG_EEES6_PlJ7is_evenIyEEEE10hipError_tPvRmT3_T4_T5_T6_T7_T9_mT8_P12ihipStream_tbDpT10_ENKUlT_T0_E_clISt17integral_constantIbLb1EES18_IbLb0EEEEDaS14_S15_EUlS14_E_NS1_11comp_targetILNS1_3genE9ELNS1_11target_archE1100ELNS1_3gpuE3ELNS1_3repE0EEENS1_30default_config_static_selectorELNS0_4arch9wavefront6targetE1EEEvT1_: ; @_ZN7rocprim17ROCPRIM_400000_NS6detail17trampoline_kernelINS0_14default_configENS1_25partition_config_selectorILNS1_17partition_subalgoE0EyNS0_10empty_typeEbEEZZNS1_14partition_implILS5_0ELb0ES3_jN6thrust23THRUST_200600_302600_NS6detail15normal_iteratorINSA_10device_ptrIyEEEEPS6_SG_NS0_5tupleIJSF_NSA_16discard_iteratorINSA_11use_defaultEEEEEENSH_IJSG_SG_EEES6_PlJ7is_evenIyEEEE10hipError_tPvRmT3_T4_T5_T6_T7_T9_mT8_P12ihipStream_tbDpT10_ENKUlT_T0_E_clISt17integral_constantIbLb1EES18_IbLb0EEEEDaS14_S15_EUlS14_E_NS1_11comp_targetILNS1_3genE9ELNS1_11target_archE1100ELNS1_3gpuE3ELNS1_3repE0EEENS1_30default_config_static_selectorELNS0_4arch9wavefront6targetE1EEEvT1_
; %bb.0:
	.section	.rodata,"a",@progbits
	.p2align	6, 0x0
	.amdhsa_kernel _ZN7rocprim17ROCPRIM_400000_NS6detail17trampoline_kernelINS0_14default_configENS1_25partition_config_selectorILNS1_17partition_subalgoE0EyNS0_10empty_typeEbEEZZNS1_14partition_implILS5_0ELb0ES3_jN6thrust23THRUST_200600_302600_NS6detail15normal_iteratorINSA_10device_ptrIyEEEEPS6_SG_NS0_5tupleIJSF_NSA_16discard_iteratorINSA_11use_defaultEEEEEENSH_IJSG_SG_EEES6_PlJ7is_evenIyEEEE10hipError_tPvRmT3_T4_T5_T6_T7_T9_mT8_P12ihipStream_tbDpT10_ENKUlT_T0_E_clISt17integral_constantIbLb1EES18_IbLb0EEEEDaS14_S15_EUlS14_E_NS1_11comp_targetILNS1_3genE9ELNS1_11target_archE1100ELNS1_3gpuE3ELNS1_3repE0EEENS1_30default_config_static_selectorELNS0_4arch9wavefront6targetE1EEEvT1_
		.amdhsa_group_segment_fixed_size 0
		.amdhsa_private_segment_fixed_size 0
		.amdhsa_kernarg_size 128
		.amdhsa_user_sgpr_count 2
		.amdhsa_user_sgpr_dispatch_ptr 0
		.amdhsa_user_sgpr_queue_ptr 0
		.amdhsa_user_sgpr_kernarg_segment_ptr 1
		.amdhsa_user_sgpr_dispatch_id 0
		.amdhsa_user_sgpr_kernarg_preload_length 0
		.amdhsa_user_sgpr_kernarg_preload_offset 0
		.amdhsa_user_sgpr_private_segment_size 0
		.amdhsa_uses_dynamic_stack 0
		.amdhsa_enable_private_segment 0
		.amdhsa_system_sgpr_workgroup_id_x 1
		.amdhsa_system_sgpr_workgroup_id_y 0
		.amdhsa_system_sgpr_workgroup_id_z 0
		.amdhsa_system_sgpr_workgroup_info 0
		.amdhsa_system_vgpr_workitem_id 0
		.amdhsa_next_free_vgpr 1
		.amdhsa_next_free_sgpr 0
		.amdhsa_accum_offset 4
		.amdhsa_reserve_vcc 0
		.amdhsa_float_round_mode_32 0
		.amdhsa_float_round_mode_16_64 0
		.amdhsa_float_denorm_mode_32 3
		.amdhsa_float_denorm_mode_16_64 3
		.amdhsa_dx10_clamp 1
		.amdhsa_ieee_mode 1
		.amdhsa_fp16_overflow 0
		.amdhsa_tg_split 0
		.amdhsa_exception_fp_ieee_invalid_op 0
		.amdhsa_exception_fp_denorm_src 0
		.amdhsa_exception_fp_ieee_div_zero 0
		.amdhsa_exception_fp_ieee_overflow 0
		.amdhsa_exception_fp_ieee_underflow 0
		.amdhsa_exception_fp_ieee_inexact 0
		.amdhsa_exception_int_div_zero 0
	.end_amdhsa_kernel
	.section	.text._ZN7rocprim17ROCPRIM_400000_NS6detail17trampoline_kernelINS0_14default_configENS1_25partition_config_selectorILNS1_17partition_subalgoE0EyNS0_10empty_typeEbEEZZNS1_14partition_implILS5_0ELb0ES3_jN6thrust23THRUST_200600_302600_NS6detail15normal_iteratorINSA_10device_ptrIyEEEEPS6_SG_NS0_5tupleIJSF_NSA_16discard_iteratorINSA_11use_defaultEEEEEENSH_IJSG_SG_EEES6_PlJ7is_evenIyEEEE10hipError_tPvRmT3_T4_T5_T6_T7_T9_mT8_P12ihipStream_tbDpT10_ENKUlT_T0_E_clISt17integral_constantIbLb1EES18_IbLb0EEEEDaS14_S15_EUlS14_E_NS1_11comp_targetILNS1_3genE9ELNS1_11target_archE1100ELNS1_3gpuE3ELNS1_3repE0EEENS1_30default_config_static_selectorELNS0_4arch9wavefront6targetE1EEEvT1_,"axG",@progbits,_ZN7rocprim17ROCPRIM_400000_NS6detail17trampoline_kernelINS0_14default_configENS1_25partition_config_selectorILNS1_17partition_subalgoE0EyNS0_10empty_typeEbEEZZNS1_14partition_implILS5_0ELb0ES3_jN6thrust23THRUST_200600_302600_NS6detail15normal_iteratorINSA_10device_ptrIyEEEEPS6_SG_NS0_5tupleIJSF_NSA_16discard_iteratorINSA_11use_defaultEEEEEENSH_IJSG_SG_EEES6_PlJ7is_evenIyEEEE10hipError_tPvRmT3_T4_T5_T6_T7_T9_mT8_P12ihipStream_tbDpT10_ENKUlT_T0_E_clISt17integral_constantIbLb1EES18_IbLb0EEEEDaS14_S15_EUlS14_E_NS1_11comp_targetILNS1_3genE9ELNS1_11target_archE1100ELNS1_3gpuE3ELNS1_3repE0EEENS1_30default_config_static_selectorELNS0_4arch9wavefront6targetE1EEEvT1_,comdat
.Lfunc_end2353:
	.size	_ZN7rocprim17ROCPRIM_400000_NS6detail17trampoline_kernelINS0_14default_configENS1_25partition_config_selectorILNS1_17partition_subalgoE0EyNS0_10empty_typeEbEEZZNS1_14partition_implILS5_0ELb0ES3_jN6thrust23THRUST_200600_302600_NS6detail15normal_iteratorINSA_10device_ptrIyEEEEPS6_SG_NS0_5tupleIJSF_NSA_16discard_iteratorINSA_11use_defaultEEEEEENSH_IJSG_SG_EEES6_PlJ7is_evenIyEEEE10hipError_tPvRmT3_T4_T5_T6_T7_T9_mT8_P12ihipStream_tbDpT10_ENKUlT_T0_E_clISt17integral_constantIbLb1EES18_IbLb0EEEEDaS14_S15_EUlS14_E_NS1_11comp_targetILNS1_3genE9ELNS1_11target_archE1100ELNS1_3gpuE3ELNS1_3repE0EEENS1_30default_config_static_selectorELNS0_4arch9wavefront6targetE1EEEvT1_, .Lfunc_end2353-_ZN7rocprim17ROCPRIM_400000_NS6detail17trampoline_kernelINS0_14default_configENS1_25partition_config_selectorILNS1_17partition_subalgoE0EyNS0_10empty_typeEbEEZZNS1_14partition_implILS5_0ELb0ES3_jN6thrust23THRUST_200600_302600_NS6detail15normal_iteratorINSA_10device_ptrIyEEEEPS6_SG_NS0_5tupleIJSF_NSA_16discard_iteratorINSA_11use_defaultEEEEEENSH_IJSG_SG_EEES6_PlJ7is_evenIyEEEE10hipError_tPvRmT3_T4_T5_T6_T7_T9_mT8_P12ihipStream_tbDpT10_ENKUlT_T0_E_clISt17integral_constantIbLb1EES18_IbLb0EEEEDaS14_S15_EUlS14_E_NS1_11comp_targetILNS1_3genE9ELNS1_11target_archE1100ELNS1_3gpuE3ELNS1_3repE0EEENS1_30default_config_static_selectorELNS0_4arch9wavefront6targetE1EEEvT1_
                                        ; -- End function
	.section	.AMDGPU.csdata,"",@progbits
; Kernel info:
; codeLenInByte = 0
; NumSgprs: 6
; NumVgprs: 0
; NumAgprs: 0
; TotalNumVgprs: 0
; ScratchSize: 0
; MemoryBound: 0
; FloatMode: 240
; IeeeMode: 1
; LDSByteSize: 0 bytes/workgroup (compile time only)
; SGPRBlocks: 0
; VGPRBlocks: 0
; NumSGPRsForWavesPerEU: 6
; NumVGPRsForWavesPerEU: 1
; AccumOffset: 4
; Occupancy: 8
; WaveLimiterHint : 0
; COMPUTE_PGM_RSRC2:SCRATCH_EN: 0
; COMPUTE_PGM_RSRC2:USER_SGPR: 2
; COMPUTE_PGM_RSRC2:TRAP_HANDLER: 0
; COMPUTE_PGM_RSRC2:TGID_X_EN: 1
; COMPUTE_PGM_RSRC2:TGID_Y_EN: 0
; COMPUTE_PGM_RSRC2:TGID_Z_EN: 0
; COMPUTE_PGM_RSRC2:TIDIG_COMP_CNT: 0
; COMPUTE_PGM_RSRC3_GFX90A:ACCUM_OFFSET: 0
; COMPUTE_PGM_RSRC3_GFX90A:TG_SPLIT: 0
	.section	.text._ZN7rocprim17ROCPRIM_400000_NS6detail17trampoline_kernelINS0_14default_configENS1_25partition_config_selectorILNS1_17partition_subalgoE0EyNS0_10empty_typeEbEEZZNS1_14partition_implILS5_0ELb0ES3_jN6thrust23THRUST_200600_302600_NS6detail15normal_iteratorINSA_10device_ptrIyEEEEPS6_SG_NS0_5tupleIJSF_NSA_16discard_iteratorINSA_11use_defaultEEEEEENSH_IJSG_SG_EEES6_PlJ7is_evenIyEEEE10hipError_tPvRmT3_T4_T5_T6_T7_T9_mT8_P12ihipStream_tbDpT10_ENKUlT_T0_E_clISt17integral_constantIbLb1EES18_IbLb0EEEEDaS14_S15_EUlS14_E_NS1_11comp_targetILNS1_3genE8ELNS1_11target_archE1030ELNS1_3gpuE2ELNS1_3repE0EEENS1_30default_config_static_selectorELNS0_4arch9wavefront6targetE1EEEvT1_,"axG",@progbits,_ZN7rocprim17ROCPRIM_400000_NS6detail17trampoline_kernelINS0_14default_configENS1_25partition_config_selectorILNS1_17partition_subalgoE0EyNS0_10empty_typeEbEEZZNS1_14partition_implILS5_0ELb0ES3_jN6thrust23THRUST_200600_302600_NS6detail15normal_iteratorINSA_10device_ptrIyEEEEPS6_SG_NS0_5tupleIJSF_NSA_16discard_iteratorINSA_11use_defaultEEEEEENSH_IJSG_SG_EEES6_PlJ7is_evenIyEEEE10hipError_tPvRmT3_T4_T5_T6_T7_T9_mT8_P12ihipStream_tbDpT10_ENKUlT_T0_E_clISt17integral_constantIbLb1EES18_IbLb0EEEEDaS14_S15_EUlS14_E_NS1_11comp_targetILNS1_3genE8ELNS1_11target_archE1030ELNS1_3gpuE2ELNS1_3repE0EEENS1_30default_config_static_selectorELNS0_4arch9wavefront6targetE1EEEvT1_,comdat
	.protected	_ZN7rocprim17ROCPRIM_400000_NS6detail17trampoline_kernelINS0_14default_configENS1_25partition_config_selectorILNS1_17partition_subalgoE0EyNS0_10empty_typeEbEEZZNS1_14partition_implILS5_0ELb0ES3_jN6thrust23THRUST_200600_302600_NS6detail15normal_iteratorINSA_10device_ptrIyEEEEPS6_SG_NS0_5tupleIJSF_NSA_16discard_iteratorINSA_11use_defaultEEEEEENSH_IJSG_SG_EEES6_PlJ7is_evenIyEEEE10hipError_tPvRmT3_T4_T5_T6_T7_T9_mT8_P12ihipStream_tbDpT10_ENKUlT_T0_E_clISt17integral_constantIbLb1EES18_IbLb0EEEEDaS14_S15_EUlS14_E_NS1_11comp_targetILNS1_3genE8ELNS1_11target_archE1030ELNS1_3gpuE2ELNS1_3repE0EEENS1_30default_config_static_selectorELNS0_4arch9wavefront6targetE1EEEvT1_ ; -- Begin function _ZN7rocprim17ROCPRIM_400000_NS6detail17trampoline_kernelINS0_14default_configENS1_25partition_config_selectorILNS1_17partition_subalgoE0EyNS0_10empty_typeEbEEZZNS1_14partition_implILS5_0ELb0ES3_jN6thrust23THRUST_200600_302600_NS6detail15normal_iteratorINSA_10device_ptrIyEEEEPS6_SG_NS0_5tupleIJSF_NSA_16discard_iteratorINSA_11use_defaultEEEEEENSH_IJSG_SG_EEES6_PlJ7is_evenIyEEEE10hipError_tPvRmT3_T4_T5_T6_T7_T9_mT8_P12ihipStream_tbDpT10_ENKUlT_T0_E_clISt17integral_constantIbLb1EES18_IbLb0EEEEDaS14_S15_EUlS14_E_NS1_11comp_targetILNS1_3genE8ELNS1_11target_archE1030ELNS1_3gpuE2ELNS1_3repE0EEENS1_30default_config_static_selectorELNS0_4arch9wavefront6targetE1EEEvT1_
	.globl	_ZN7rocprim17ROCPRIM_400000_NS6detail17trampoline_kernelINS0_14default_configENS1_25partition_config_selectorILNS1_17partition_subalgoE0EyNS0_10empty_typeEbEEZZNS1_14partition_implILS5_0ELb0ES3_jN6thrust23THRUST_200600_302600_NS6detail15normal_iteratorINSA_10device_ptrIyEEEEPS6_SG_NS0_5tupleIJSF_NSA_16discard_iteratorINSA_11use_defaultEEEEEENSH_IJSG_SG_EEES6_PlJ7is_evenIyEEEE10hipError_tPvRmT3_T4_T5_T6_T7_T9_mT8_P12ihipStream_tbDpT10_ENKUlT_T0_E_clISt17integral_constantIbLb1EES18_IbLb0EEEEDaS14_S15_EUlS14_E_NS1_11comp_targetILNS1_3genE8ELNS1_11target_archE1030ELNS1_3gpuE2ELNS1_3repE0EEENS1_30default_config_static_selectorELNS0_4arch9wavefront6targetE1EEEvT1_
	.p2align	8
	.type	_ZN7rocprim17ROCPRIM_400000_NS6detail17trampoline_kernelINS0_14default_configENS1_25partition_config_selectorILNS1_17partition_subalgoE0EyNS0_10empty_typeEbEEZZNS1_14partition_implILS5_0ELb0ES3_jN6thrust23THRUST_200600_302600_NS6detail15normal_iteratorINSA_10device_ptrIyEEEEPS6_SG_NS0_5tupleIJSF_NSA_16discard_iteratorINSA_11use_defaultEEEEEENSH_IJSG_SG_EEES6_PlJ7is_evenIyEEEE10hipError_tPvRmT3_T4_T5_T6_T7_T9_mT8_P12ihipStream_tbDpT10_ENKUlT_T0_E_clISt17integral_constantIbLb1EES18_IbLb0EEEEDaS14_S15_EUlS14_E_NS1_11comp_targetILNS1_3genE8ELNS1_11target_archE1030ELNS1_3gpuE2ELNS1_3repE0EEENS1_30default_config_static_selectorELNS0_4arch9wavefront6targetE1EEEvT1_,@function
_ZN7rocprim17ROCPRIM_400000_NS6detail17trampoline_kernelINS0_14default_configENS1_25partition_config_selectorILNS1_17partition_subalgoE0EyNS0_10empty_typeEbEEZZNS1_14partition_implILS5_0ELb0ES3_jN6thrust23THRUST_200600_302600_NS6detail15normal_iteratorINSA_10device_ptrIyEEEEPS6_SG_NS0_5tupleIJSF_NSA_16discard_iteratorINSA_11use_defaultEEEEEENSH_IJSG_SG_EEES6_PlJ7is_evenIyEEEE10hipError_tPvRmT3_T4_T5_T6_T7_T9_mT8_P12ihipStream_tbDpT10_ENKUlT_T0_E_clISt17integral_constantIbLb1EES18_IbLb0EEEEDaS14_S15_EUlS14_E_NS1_11comp_targetILNS1_3genE8ELNS1_11target_archE1030ELNS1_3gpuE2ELNS1_3repE0EEENS1_30default_config_static_selectorELNS0_4arch9wavefront6targetE1EEEvT1_: ; @_ZN7rocprim17ROCPRIM_400000_NS6detail17trampoline_kernelINS0_14default_configENS1_25partition_config_selectorILNS1_17partition_subalgoE0EyNS0_10empty_typeEbEEZZNS1_14partition_implILS5_0ELb0ES3_jN6thrust23THRUST_200600_302600_NS6detail15normal_iteratorINSA_10device_ptrIyEEEEPS6_SG_NS0_5tupleIJSF_NSA_16discard_iteratorINSA_11use_defaultEEEEEENSH_IJSG_SG_EEES6_PlJ7is_evenIyEEEE10hipError_tPvRmT3_T4_T5_T6_T7_T9_mT8_P12ihipStream_tbDpT10_ENKUlT_T0_E_clISt17integral_constantIbLb1EES18_IbLb0EEEEDaS14_S15_EUlS14_E_NS1_11comp_targetILNS1_3genE8ELNS1_11target_archE1030ELNS1_3gpuE2ELNS1_3repE0EEENS1_30default_config_static_selectorELNS0_4arch9wavefront6targetE1EEEvT1_
; %bb.0:
	.section	.rodata,"a",@progbits
	.p2align	6, 0x0
	.amdhsa_kernel _ZN7rocprim17ROCPRIM_400000_NS6detail17trampoline_kernelINS0_14default_configENS1_25partition_config_selectorILNS1_17partition_subalgoE0EyNS0_10empty_typeEbEEZZNS1_14partition_implILS5_0ELb0ES3_jN6thrust23THRUST_200600_302600_NS6detail15normal_iteratorINSA_10device_ptrIyEEEEPS6_SG_NS0_5tupleIJSF_NSA_16discard_iteratorINSA_11use_defaultEEEEEENSH_IJSG_SG_EEES6_PlJ7is_evenIyEEEE10hipError_tPvRmT3_T4_T5_T6_T7_T9_mT8_P12ihipStream_tbDpT10_ENKUlT_T0_E_clISt17integral_constantIbLb1EES18_IbLb0EEEEDaS14_S15_EUlS14_E_NS1_11comp_targetILNS1_3genE8ELNS1_11target_archE1030ELNS1_3gpuE2ELNS1_3repE0EEENS1_30default_config_static_selectorELNS0_4arch9wavefront6targetE1EEEvT1_
		.amdhsa_group_segment_fixed_size 0
		.amdhsa_private_segment_fixed_size 0
		.amdhsa_kernarg_size 128
		.amdhsa_user_sgpr_count 2
		.amdhsa_user_sgpr_dispatch_ptr 0
		.amdhsa_user_sgpr_queue_ptr 0
		.amdhsa_user_sgpr_kernarg_segment_ptr 1
		.amdhsa_user_sgpr_dispatch_id 0
		.amdhsa_user_sgpr_kernarg_preload_length 0
		.amdhsa_user_sgpr_kernarg_preload_offset 0
		.amdhsa_user_sgpr_private_segment_size 0
		.amdhsa_uses_dynamic_stack 0
		.amdhsa_enable_private_segment 0
		.amdhsa_system_sgpr_workgroup_id_x 1
		.amdhsa_system_sgpr_workgroup_id_y 0
		.amdhsa_system_sgpr_workgroup_id_z 0
		.amdhsa_system_sgpr_workgroup_info 0
		.amdhsa_system_vgpr_workitem_id 0
		.amdhsa_next_free_vgpr 1
		.amdhsa_next_free_sgpr 0
		.amdhsa_accum_offset 4
		.amdhsa_reserve_vcc 0
		.amdhsa_float_round_mode_32 0
		.amdhsa_float_round_mode_16_64 0
		.amdhsa_float_denorm_mode_32 3
		.amdhsa_float_denorm_mode_16_64 3
		.amdhsa_dx10_clamp 1
		.amdhsa_ieee_mode 1
		.amdhsa_fp16_overflow 0
		.amdhsa_tg_split 0
		.amdhsa_exception_fp_ieee_invalid_op 0
		.amdhsa_exception_fp_denorm_src 0
		.amdhsa_exception_fp_ieee_div_zero 0
		.amdhsa_exception_fp_ieee_overflow 0
		.amdhsa_exception_fp_ieee_underflow 0
		.amdhsa_exception_fp_ieee_inexact 0
		.amdhsa_exception_int_div_zero 0
	.end_amdhsa_kernel
	.section	.text._ZN7rocprim17ROCPRIM_400000_NS6detail17trampoline_kernelINS0_14default_configENS1_25partition_config_selectorILNS1_17partition_subalgoE0EyNS0_10empty_typeEbEEZZNS1_14partition_implILS5_0ELb0ES3_jN6thrust23THRUST_200600_302600_NS6detail15normal_iteratorINSA_10device_ptrIyEEEEPS6_SG_NS0_5tupleIJSF_NSA_16discard_iteratorINSA_11use_defaultEEEEEENSH_IJSG_SG_EEES6_PlJ7is_evenIyEEEE10hipError_tPvRmT3_T4_T5_T6_T7_T9_mT8_P12ihipStream_tbDpT10_ENKUlT_T0_E_clISt17integral_constantIbLb1EES18_IbLb0EEEEDaS14_S15_EUlS14_E_NS1_11comp_targetILNS1_3genE8ELNS1_11target_archE1030ELNS1_3gpuE2ELNS1_3repE0EEENS1_30default_config_static_selectorELNS0_4arch9wavefront6targetE1EEEvT1_,"axG",@progbits,_ZN7rocprim17ROCPRIM_400000_NS6detail17trampoline_kernelINS0_14default_configENS1_25partition_config_selectorILNS1_17partition_subalgoE0EyNS0_10empty_typeEbEEZZNS1_14partition_implILS5_0ELb0ES3_jN6thrust23THRUST_200600_302600_NS6detail15normal_iteratorINSA_10device_ptrIyEEEEPS6_SG_NS0_5tupleIJSF_NSA_16discard_iteratorINSA_11use_defaultEEEEEENSH_IJSG_SG_EEES6_PlJ7is_evenIyEEEE10hipError_tPvRmT3_T4_T5_T6_T7_T9_mT8_P12ihipStream_tbDpT10_ENKUlT_T0_E_clISt17integral_constantIbLb1EES18_IbLb0EEEEDaS14_S15_EUlS14_E_NS1_11comp_targetILNS1_3genE8ELNS1_11target_archE1030ELNS1_3gpuE2ELNS1_3repE0EEENS1_30default_config_static_selectorELNS0_4arch9wavefront6targetE1EEEvT1_,comdat
.Lfunc_end2354:
	.size	_ZN7rocprim17ROCPRIM_400000_NS6detail17trampoline_kernelINS0_14default_configENS1_25partition_config_selectorILNS1_17partition_subalgoE0EyNS0_10empty_typeEbEEZZNS1_14partition_implILS5_0ELb0ES3_jN6thrust23THRUST_200600_302600_NS6detail15normal_iteratorINSA_10device_ptrIyEEEEPS6_SG_NS0_5tupleIJSF_NSA_16discard_iteratorINSA_11use_defaultEEEEEENSH_IJSG_SG_EEES6_PlJ7is_evenIyEEEE10hipError_tPvRmT3_T4_T5_T6_T7_T9_mT8_P12ihipStream_tbDpT10_ENKUlT_T0_E_clISt17integral_constantIbLb1EES18_IbLb0EEEEDaS14_S15_EUlS14_E_NS1_11comp_targetILNS1_3genE8ELNS1_11target_archE1030ELNS1_3gpuE2ELNS1_3repE0EEENS1_30default_config_static_selectorELNS0_4arch9wavefront6targetE1EEEvT1_, .Lfunc_end2354-_ZN7rocprim17ROCPRIM_400000_NS6detail17trampoline_kernelINS0_14default_configENS1_25partition_config_selectorILNS1_17partition_subalgoE0EyNS0_10empty_typeEbEEZZNS1_14partition_implILS5_0ELb0ES3_jN6thrust23THRUST_200600_302600_NS6detail15normal_iteratorINSA_10device_ptrIyEEEEPS6_SG_NS0_5tupleIJSF_NSA_16discard_iteratorINSA_11use_defaultEEEEEENSH_IJSG_SG_EEES6_PlJ7is_evenIyEEEE10hipError_tPvRmT3_T4_T5_T6_T7_T9_mT8_P12ihipStream_tbDpT10_ENKUlT_T0_E_clISt17integral_constantIbLb1EES18_IbLb0EEEEDaS14_S15_EUlS14_E_NS1_11comp_targetILNS1_3genE8ELNS1_11target_archE1030ELNS1_3gpuE2ELNS1_3repE0EEENS1_30default_config_static_selectorELNS0_4arch9wavefront6targetE1EEEvT1_
                                        ; -- End function
	.section	.AMDGPU.csdata,"",@progbits
; Kernel info:
; codeLenInByte = 0
; NumSgprs: 6
; NumVgprs: 0
; NumAgprs: 0
; TotalNumVgprs: 0
; ScratchSize: 0
; MemoryBound: 0
; FloatMode: 240
; IeeeMode: 1
; LDSByteSize: 0 bytes/workgroup (compile time only)
; SGPRBlocks: 0
; VGPRBlocks: 0
; NumSGPRsForWavesPerEU: 6
; NumVGPRsForWavesPerEU: 1
; AccumOffset: 4
; Occupancy: 8
; WaveLimiterHint : 0
; COMPUTE_PGM_RSRC2:SCRATCH_EN: 0
; COMPUTE_PGM_RSRC2:USER_SGPR: 2
; COMPUTE_PGM_RSRC2:TRAP_HANDLER: 0
; COMPUTE_PGM_RSRC2:TGID_X_EN: 1
; COMPUTE_PGM_RSRC2:TGID_Y_EN: 0
; COMPUTE_PGM_RSRC2:TGID_Z_EN: 0
; COMPUTE_PGM_RSRC2:TIDIG_COMP_CNT: 0
; COMPUTE_PGM_RSRC3_GFX90A:ACCUM_OFFSET: 0
; COMPUTE_PGM_RSRC3_GFX90A:TG_SPLIT: 0
	.section	.text._ZN7rocprim17ROCPRIM_400000_NS6detail17trampoline_kernelINS0_14default_configENS1_25partition_config_selectorILNS1_17partition_subalgoE0EyNS0_10empty_typeEbEEZZNS1_14partition_implILS5_0ELb0ES3_jN6thrust23THRUST_200600_302600_NS6detail15normal_iteratorINSA_10device_ptrIyEEEEPS6_SG_NS0_5tupleIJSF_NSA_16discard_iteratorINSA_11use_defaultEEEEEENSH_IJSG_SG_EEES6_PlJ7is_evenIyEEEE10hipError_tPvRmT3_T4_T5_T6_T7_T9_mT8_P12ihipStream_tbDpT10_ENKUlT_T0_E_clISt17integral_constantIbLb0EES18_IbLb1EEEEDaS14_S15_EUlS14_E_NS1_11comp_targetILNS1_3genE0ELNS1_11target_archE4294967295ELNS1_3gpuE0ELNS1_3repE0EEENS1_30default_config_static_selectorELNS0_4arch9wavefront6targetE1EEEvT1_,"axG",@progbits,_ZN7rocprim17ROCPRIM_400000_NS6detail17trampoline_kernelINS0_14default_configENS1_25partition_config_selectorILNS1_17partition_subalgoE0EyNS0_10empty_typeEbEEZZNS1_14partition_implILS5_0ELb0ES3_jN6thrust23THRUST_200600_302600_NS6detail15normal_iteratorINSA_10device_ptrIyEEEEPS6_SG_NS0_5tupleIJSF_NSA_16discard_iteratorINSA_11use_defaultEEEEEENSH_IJSG_SG_EEES6_PlJ7is_evenIyEEEE10hipError_tPvRmT3_T4_T5_T6_T7_T9_mT8_P12ihipStream_tbDpT10_ENKUlT_T0_E_clISt17integral_constantIbLb0EES18_IbLb1EEEEDaS14_S15_EUlS14_E_NS1_11comp_targetILNS1_3genE0ELNS1_11target_archE4294967295ELNS1_3gpuE0ELNS1_3repE0EEENS1_30default_config_static_selectorELNS0_4arch9wavefront6targetE1EEEvT1_,comdat
	.protected	_ZN7rocprim17ROCPRIM_400000_NS6detail17trampoline_kernelINS0_14default_configENS1_25partition_config_selectorILNS1_17partition_subalgoE0EyNS0_10empty_typeEbEEZZNS1_14partition_implILS5_0ELb0ES3_jN6thrust23THRUST_200600_302600_NS6detail15normal_iteratorINSA_10device_ptrIyEEEEPS6_SG_NS0_5tupleIJSF_NSA_16discard_iteratorINSA_11use_defaultEEEEEENSH_IJSG_SG_EEES6_PlJ7is_evenIyEEEE10hipError_tPvRmT3_T4_T5_T6_T7_T9_mT8_P12ihipStream_tbDpT10_ENKUlT_T0_E_clISt17integral_constantIbLb0EES18_IbLb1EEEEDaS14_S15_EUlS14_E_NS1_11comp_targetILNS1_3genE0ELNS1_11target_archE4294967295ELNS1_3gpuE0ELNS1_3repE0EEENS1_30default_config_static_selectorELNS0_4arch9wavefront6targetE1EEEvT1_ ; -- Begin function _ZN7rocprim17ROCPRIM_400000_NS6detail17trampoline_kernelINS0_14default_configENS1_25partition_config_selectorILNS1_17partition_subalgoE0EyNS0_10empty_typeEbEEZZNS1_14partition_implILS5_0ELb0ES3_jN6thrust23THRUST_200600_302600_NS6detail15normal_iteratorINSA_10device_ptrIyEEEEPS6_SG_NS0_5tupleIJSF_NSA_16discard_iteratorINSA_11use_defaultEEEEEENSH_IJSG_SG_EEES6_PlJ7is_evenIyEEEE10hipError_tPvRmT3_T4_T5_T6_T7_T9_mT8_P12ihipStream_tbDpT10_ENKUlT_T0_E_clISt17integral_constantIbLb0EES18_IbLb1EEEEDaS14_S15_EUlS14_E_NS1_11comp_targetILNS1_3genE0ELNS1_11target_archE4294967295ELNS1_3gpuE0ELNS1_3repE0EEENS1_30default_config_static_selectorELNS0_4arch9wavefront6targetE1EEEvT1_
	.globl	_ZN7rocprim17ROCPRIM_400000_NS6detail17trampoline_kernelINS0_14default_configENS1_25partition_config_selectorILNS1_17partition_subalgoE0EyNS0_10empty_typeEbEEZZNS1_14partition_implILS5_0ELb0ES3_jN6thrust23THRUST_200600_302600_NS6detail15normal_iteratorINSA_10device_ptrIyEEEEPS6_SG_NS0_5tupleIJSF_NSA_16discard_iteratorINSA_11use_defaultEEEEEENSH_IJSG_SG_EEES6_PlJ7is_evenIyEEEE10hipError_tPvRmT3_T4_T5_T6_T7_T9_mT8_P12ihipStream_tbDpT10_ENKUlT_T0_E_clISt17integral_constantIbLb0EES18_IbLb1EEEEDaS14_S15_EUlS14_E_NS1_11comp_targetILNS1_3genE0ELNS1_11target_archE4294967295ELNS1_3gpuE0ELNS1_3repE0EEENS1_30default_config_static_selectorELNS0_4arch9wavefront6targetE1EEEvT1_
	.p2align	8
	.type	_ZN7rocprim17ROCPRIM_400000_NS6detail17trampoline_kernelINS0_14default_configENS1_25partition_config_selectorILNS1_17partition_subalgoE0EyNS0_10empty_typeEbEEZZNS1_14partition_implILS5_0ELb0ES3_jN6thrust23THRUST_200600_302600_NS6detail15normal_iteratorINSA_10device_ptrIyEEEEPS6_SG_NS0_5tupleIJSF_NSA_16discard_iteratorINSA_11use_defaultEEEEEENSH_IJSG_SG_EEES6_PlJ7is_evenIyEEEE10hipError_tPvRmT3_T4_T5_T6_T7_T9_mT8_P12ihipStream_tbDpT10_ENKUlT_T0_E_clISt17integral_constantIbLb0EES18_IbLb1EEEEDaS14_S15_EUlS14_E_NS1_11comp_targetILNS1_3genE0ELNS1_11target_archE4294967295ELNS1_3gpuE0ELNS1_3repE0EEENS1_30default_config_static_selectorELNS0_4arch9wavefront6targetE1EEEvT1_,@function
_ZN7rocprim17ROCPRIM_400000_NS6detail17trampoline_kernelINS0_14default_configENS1_25partition_config_selectorILNS1_17partition_subalgoE0EyNS0_10empty_typeEbEEZZNS1_14partition_implILS5_0ELb0ES3_jN6thrust23THRUST_200600_302600_NS6detail15normal_iteratorINSA_10device_ptrIyEEEEPS6_SG_NS0_5tupleIJSF_NSA_16discard_iteratorINSA_11use_defaultEEEEEENSH_IJSG_SG_EEES6_PlJ7is_evenIyEEEE10hipError_tPvRmT3_T4_T5_T6_T7_T9_mT8_P12ihipStream_tbDpT10_ENKUlT_T0_E_clISt17integral_constantIbLb0EES18_IbLb1EEEEDaS14_S15_EUlS14_E_NS1_11comp_targetILNS1_3genE0ELNS1_11target_archE4294967295ELNS1_3gpuE0ELNS1_3repE0EEENS1_30default_config_static_selectorELNS0_4arch9wavefront6targetE1EEEvT1_: ; @_ZN7rocprim17ROCPRIM_400000_NS6detail17trampoline_kernelINS0_14default_configENS1_25partition_config_selectorILNS1_17partition_subalgoE0EyNS0_10empty_typeEbEEZZNS1_14partition_implILS5_0ELb0ES3_jN6thrust23THRUST_200600_302600_NS6detail15normal_iteratorINSA_10device_ptrIyEEEEPS6_SG_NS0_5tupleIJSF_NSA_16discard_iteratorINSA_11use_defaultEEEEEENSH_IJSG_SG_EEES6_PlJ7is_evenIyEEEE10hipError_tPvRmT3_T4_T5_T6_T7_T9_mT8_P12ihipStream_tbDpT10_ENKUlT_T0_E_clISt17integral_constantIbLb0EES18_IbLb1EEEEDaS14_S15_EUlS14_E_NS1_11comp_targetILNS1_3genE0ELNS1_11target_archE4294967295ELNS1_3gpuE0ELNS1_3repE0EEENS1_30default_config_static_selectorELNS0_4arch9wavefront6targetE1EEEvT1_
; %bb.0:
	.section	.rodata,"a",@progbits
	.p2align	6, 0x0
	.amdhsa_kernel _ZN7rocprim17ROCPRIM_400000_NS6detail17trampoline_kernelINS0_14default_configENS1_25partition_config_selectorILNS1_17partition_subalgoE0EyNS0_10empty_typeEbEEZZNS1_14partition_implILS5_0ELb0ES3_jN6thrust23THRUST_200600_302600_NS6detail15normal_iteratorINSA_10device_ptrIyEEEEPS6_SG_NS0_5tupleIJSF_NSA_16discard_iteratorINSA_11use_defaultEEEEEENSH_IJSG_SG_EEES6_PlJ7is_evenIyEEEE10hipError_tPvRmT3_T4_T5_T6_T7_T9_mT8_P12ihipStream_tbDpT10_ENKUlT_T0_E_clISt17integral_constantIbLb0EES18_IbLb1EEEEDaS14_S15_EUlS14_E_NS1_11comp_targetILNS1_3genE0ELNS1_11target_archE4294967295ELNS1_3gpuE0ELNS1_3repE0EEENS1_30default_config_static_selectorELNS0_4arch9wavefront6targetE1EEEvT1_
		.amdhsa_group_segment_fixed_size 0
		.amdhsa_private_segment_fixed_size 0
		.amdhsa_kernarg_size 144
		.amdhsa_user_sgpr_count 2
		.amdhsa_user_sgpr_dispatch_ptr 0
		.amdhsa_user_sgpr_queue_ptr 0
		.amdhsa_user_sgpr_kernarg_segment_ptr 1
		.amdhsa_user_sgpr_dispatch_id 0
		.amdhsa_user_sgpr_kernarg_preload_length 0
		.amdhsa_user_sgpr_kernarg_preload_offset 0
		.amdhsa_user_sgpr_private_segment_size 0
		.amdhsa_uses_dynamic_stack 0
		.amdhsa_enable_private_segment 0
		.amdhsa_system_sgpr_workgroup_id_x 1
		.amdhsa_system_sgpr_workgroup_id_y 0
		.amdhsa_system_sgpr_workgroup_id_z 0
		.amdhsa_system_sgpr_workgroup_info 0
		.amdhsa_system_vgpr_workitem_id 0
		.amdhsa_next_free_vgpr 1
		.amdhsa_next_free_sgpr 0
		.amdhsa_accum_offset 4
		.amdhsa_reserve_vcc 0
		.amdhsa_float_round_mode_32 0
		.amdhsa_float_round_mode_16_64 0
		.amdhsa_float_denorm_mode_32 3
		.amdhsa_float_denorm_mode_16_64 3
		.amdhsa_dx10_clamp 1
		.amdhsa_ieee_mode 1
		.amdhsa_fp16_overflow 0
		.amdhsa_tg_split 0
		.amdhsa_exception_fp_ieee_invalid_op 0
		.amdhsa_exception_fp_denorm_src 0
		.amdhsa_exception_fp_ieee_div_zero 0
		.amdhsa_exception_fp_ieee_overflow 0
		.amdhsa_exception_fp_ieee_underflow 0
		.amdhsa_exception_fp_ieee_inexact 0
		.amdhsa_exception_int_div_zero 0
	.end_amdhsa_kernel
	.section	.text._ZN7rocprim17ROCPRIM_400000_NS6detail17trampoline_kernelINS0_14default_configENS1_25partition_config_selectorILNS1_17partition_subalgoE0EyNS0_10empty_typeEbEEZZNS1_14partition_implILS5_0ELb0ES3_jN6thrust23THRUST_200600_302600_NS6detail15normal_iteratorINSA_10device_ptrIyEEEEPS6_SG_NS0_5tupleIJSF_NSA_16discard_iteratorINSA_11use_defaultEEEEEENSH_IJSG_SG_EEES6_PlJ7is_evenIyEEEE10hipError_tPvRmT3_T4_T5_T6_T7_T9_mT8_P12ihipStream_tbDpT10_ENKUlT_T0_E_clISt17integral_constantIbLb0EES18_IbLb1EEEEDaS14_S15_EUlS14_E_NS1_11comp_targetILNS1_3genE0ELNS1_11target_archE4294967295ELNS1_3gpuE0ELNS1_3repE0EEENS1_30default_config_static_selectorELNS0_4arch9wavefront6targetE1EEEvT1_,"axG",@progbits,_ZN7rocprim17ROCPRIM_400000_NS6detail17trampoline_kernelINS0_14default_configENS1_25partition_config_selectorILNS1_17partition_subalgoE0EyNS0_10empty_typeEbEEZZNS1_14partition_implILS5_0ELb0ES3_jN6thrust23THRUST_200600_302600_NS6detail15normal_iteratorINSA_10device_ptrIyEEEEPS6_SG_NS0_5tupleIJSF_NSA_16discard_iteratorINSA_11use_defaultEEEEEENSH_IJSG_SG_EEES6_PlJ7is_evenIyEEEE10hipError_tPvRmT3_T4_T5_T6_T7_T9_mT8_P12ihipStream_tbDpT10_ENKUlT_T0_E_clISt17integral_constantIbLb0EES18_IbLb1EEEEDaS14_S15_EUlS14_E_NS1_11comp_targetILNS1_3genE0ELNS1_11target_archE4294967295ELNS1_3gpuE0ELNS1_3repE0EEENS1_30default_config_static_selectorELNS0_4arch9wavefront6targetE1EEEvT1_,comdat
.Lfunc_end2355:
	.size	_ZN7rocprim17ROCPRIM_400000_NS6detail17trampoline_kernelINS0_14default_configENS1_25partition_config_selectorILNS1_17partition_subalgoE0EyNS0_10empty_typeEbEEZZNS1_14partition_implILS5_0ELb0ES3_jN6thrust23THRUST_200600_302600_NS6detail15normal_iteratorINSA_10device_ptrIyEEEEPS6_SG_NS0_5tupleIJSF_NSA_16discard_iteratorINSA_11use_defaultEEEEEENSH_IJSG_SG_EEES6_PlJ7is_evenIyEEEE10hipError_tPvRmT3_T4_T5_T6_T7_T9_mT8_P12ihipStream_tbDpT10_ENKUlT_T0_E_clISt17integral_constantIbLb0EES18_IbLb1EEEEDaS14_S15_EUlS14_E_NS1_11comp_targetILNS1_3genE0ELNS1_11target_archE4294967295ELNS1_3gpuE0ELNS1_3repE0EEENS1_30default_config_static_selectorELNS0_4arch9wavefront6targetE1EEEvT1_, .Lfunc_end2355-_ZN7rocprim17ROCPRIM_400000_NS6detail17trampoline_kernelINS0_14default_configENS1_25partition_config_selectorILNS1_17partition_subalgoE0EyNS0_10empty_typeEbEEZZNS1_14partition_implILS5_0ELb0ES3_jN6thrust23THRUST_200600_302600_NS6detail15normal_iteratorINSA_10device_ptrIyEEEEPS6_SG_NS0_5tupleIJSF_NSA_16discard_iteratorINSA_11use_defaultEEEEEENSH_IJSG_SG_EEES6_PlJ7is_evenIyEEEE10hipError_tPvRmT3_T4_T5_T6_T7_T9_mT8_P12ihipStream_tbDpT10_ENKUlT_T0_E_clISt17integral_constantIbLb0EES18_IbLb1EEEEDaS14_S15_EUlS14_E_NS1_11comp_targetILNS1_3genE0ELNS1_11target_archE4294967295ELNS1_3gpuE0ELNS1_3repE0EEENS1_30default_config_static_selectorELNS0_4arch9wavefront6targetE1EEEvT1_
                                        ; -- End function
	.section	.AMDGPU.csdata,"",@progbits
; Kernel info:
; codeLenInByte = 0
; NumSgprs: 6
; NumVgprs: 0
; NumAgprs: 0
; TotalNumVgprs: 0
; ScratchSize: 0
; MemoryBound: 0
; FloatMode: 240
; IeeeMode: 1
; LDSByteSize: 0 bytes/workgroup (compile time only)
; SGPRBlocks: 0
; VGPRBlocks: 0
; NumSGPRsForWavesPerEU: 6
; NumVGPRsForWavesPerEU: 1
; AccumOffset: 4
; Occupancy: 8
; WaveLimiterHint : 0
; COMPUTE_PGM_RSRC2:SCRATCH_EN: 0
; COMPUTE_PGM_RSRC2:USER_SGPR: 2
; COMPUTE_PGM_RSRC2:TRAP_HANDLER: 0
; COMPUTE_PGM_RSRC2:TGID_X_EN: 1
; COMPUTE_PGM_RSRC2:TGID_Y_EN: 0
; COMPUTE_PGM_RSRC2:TGID_Z_EN: 0
; COMPUTE_PGM_RSRC2:TIDIG_COMP_CNT: 0
; COMPUTE_PGM_RSRC3_GFX90A:ACCUM_OFFSET: 0
; COMPUTE_PGM_RSRC3_GFX90A:TG_SPLIT: 0
	.section	.text._ZN7rocprim17ROCPRIM_400000_NS6detail17trampoline_kernelINS0_14default_configENS1_25partition_config_selectorILNS1_17partition_subalgoE0EyNS0_10empty_typeEbEEZZNS1_14partition_implILS5_0ELb0ES3_jN6thrust23THRUST_200600_302600_NS6detail15normal_iteratorINSA_10device_ptrIyEEEEPS6_SG_NS0_5tupleIJSF_NSA_16discard_iteratorINSA_11use_defaultEEEEEENSH_IJSG_SG_EEES6_PlJ7is_evenIyEEEE10hipError_tPvRmT3_T4_T5_T6_T7_T9_mT8_P12ihipStream_tbDpT10_ENKUlT_T0_E_clISt17integral_constantIbLb0EES18_IbLb1EEEEDaS14_S15_EUlS14_E_NS1_11comp_targetILNS1_3genE5ELNS1_11target_archE942ELNS1_3gpuE9ELNS1_3repE0EEENS1_30default_config_static_selectorELNS0_4arch9wavefront6targetE1EEEvT1_,"axG",@progbits,_ZN7rocprim17ROCPRIM_400000_NS6detail17trampoline_kernelINS0_14default_configENS1_25partition_config_selectorILNS1_17partition_subalgoE0EyNS0_10empty_typeEbEEZZNS1_14partition_implILS5_0ELb0ES3_jN6thrust23THRUST_200600_302600_NS6detail15normal_iteratorINSA_10device_ptrIyEEEEPS6_SG_NS0_5tupleIJSF_NSA_16discard_iteratorINSA_11use_defaultEEEEEENSH_IJSG_SG_EEES6_PlJ7is_evenIyEEEE10hipError_tPvRmT3_T4_T5_T6_T7_T9_mT8_P12ihipStream_tbDpT10_ENKUlT_T0_E_clISt17integral_constantIbLb0EES18_IbLb1EEEEDaS14_S15_EUlS14_E_NS1_11comp_targetILNS1_3genE5ELNS1_11target_archE942ELNS1_3gpuE9ELNS1_3repE0EEENS1_30default_config_static_selectorELNS0_4arch9wavefront6targetE1EEEvT1_,comdat
	.protected	_ZN7rocprim17ROCPRIM_400000_NS6detail17trampoline_kernelINS0_14default_configENS1_25partition_config_selectorILNS1_17partition_subalgoE0EyNS0_10empty_typeEbEEZZNS1_14partition_implILS5_0ELb0ES3_jN6thrust23THRUST_200600_302600_NS6detail15normal_iteratorINSA_10device_ptrIyEEEEPS6_SG_NS0_5tupleIJSF_NSA_16discard_iteratorINSA_11use_defaultEEEEEENSH_IJSG_SG_EEES6_PlJ7is_evenIyEEEE10hipError_tPvRmT3_T4_T5_T6_T7_T9_mT8_P12ihipStream_tbDpT10_ENKUlT_T0_E_clISt17integral_constantIbLb0EES18_IbLb1EEEEDaS14_S15_EUlS14_E_NS1_11comp_targetILNS1_3genE5ELNS1_11target_archE942ELNS1_3gpuE9ELNS1_3repE0EEENS1_30default_config_static_selectorELNS0_4arch9wavefront6targetE1EEEvT1_ ; -- Begin function _ZN7rocprim17ROCPRIM_400000_NS6detail17trampoline_kernelINS0_14default_configENS1_25partition_config_selectorILNS1_17partition_subalgoE0EyNS0_10empty_typeEbEEZZNS1_14partition_implILS5_0ELb0ES3_jN6thrust23THRUST_200600_302600_NS6detail15normal_iteratorINSA_10device_ptrIyEEEEPS6_SG_NS0_5tupleIJSF_NSA_16discard_iteratorINSA_11use_defaultEEEEEENSH_IJSG_SG_EEES6_PlJ7is_evenIyEEEE10hipError_tPvRmT3_T4_T5_T6_T7_T9_mT8_P12ihipStream_tbDpT10_ENKUlT_T0_E_clISt17integral_constantIbLb0EES18_IbLb1EEEEDaS14_S15_EUlS14_E_NS1_11comp_targetILNS1_3genE5ELNS1_11target_archE942ELNS1_3gpuE9ELNS1_3repE0EEENS1_30default_config_static_selectorELNS0_4arch9wavefront6targetE1EEEvT1_
	.globl	_ZN7rocprim17ROCPRIM_400000_NS6detail17trampoline_kernelINS0_14default_configENS1_25partition_config_selectorILNS1_17partition_subalgoE0EyNS0_10empty_typeEbEEZZNS1_14partition_implILS5_0ELb0ES3_jN6thrust23THRUST_200600_302600_NS6detail15normal_iteratorINSA_10device_ptrIyEEEEPS6_SG_NS0_5tupleIJSF_NSA_16discard_iteratorINSA_11use_defaultEEEEEENSH_IJSG_SG_EEES6_PlJ7is_evenIyEEEE10hipError_tPvRmT3_T4_T5_T6_T7_T9_mT8_P12ihipStream_tbDpT10_ENKUlT_T0_E_clISt17integral_constantIbLb0EES18_IbLb1EEEEDaS14_S15_EUlS14_E_NS1_11comp_targetILNS1_3genE5ELNS1_11target_archE942ELNS1_3gpuE9ELNS1_3repE0EEENS1_30default_config_static_selectorELNS0_4arch9wavefront6targetE1EEEvT1_
	.p2align	8
	.type	_ZN7rocprim17ROCPRIM_400000_NS6detail17trampoline_kernelINS0_14default_configENS1_25partition_config_selectorILNS1_17partition_subalgoE0EyNS0_10empty_typeEbEEZZNS1_14partition_implILS5_0ELb0ES3_jN6thrust23THRUST_200600_302600_NS6detail15normal_iteratorINSA_10device_ptrIyEEEEPS6_SG_NS0_5tupleIJSF_NSA_16discard_iteratorINSA_11use_defaultEEEEEENSH_IJSG_SG_EEES6_PlJ7is_evenIyEEEE10hipError_tPvRmT3_T4_T5_T6_T7_T9_mT8_P12ihipStream_tbDpT10_ENKUlT_T0_E_clISt17integral_constantIbLb0EES18_IbLb1EEEEDaS14_S15_EUlS14_E_NS1_11comp_targetILNS1_3genE5ELNS1_11target_archE942ELNS1_3gpuE9ELNS1_3repE0EEENS1_30default_config_static_selectorELNS0_4arch9wavefront6targetE1EEEvT1_,@function
_ZN7rocprim17ROCPRIM_400000_NS6detail17trampoline_kernelINS0_14default_configENS1_25partition_config_selectorILNS1_17partition_subalgoE0EyNS0_10empty_typeEbEEZZNS1_14partition_implILS5_0ELb0ES3_jN6thrust23THRUST_200600_302600_NS6detail15normal_iteratorINSA_10device_ptrIyEEEEPS6_SG_NS0_5tupleIJSF_NSA_16discard_iteratorINSA_11use_defaultEEEEEENSH_IJSG_SG_EEES6_PlJ7is_evenIyEEEE10hipError_tPvRmT3_T4_T5_T6_T7_T9_mT8_P12ihipStream_tbDpT10_ENKUlT_T0_E_clISt17integral_constantIbLb0EES18_IbLb1EEEEDaS14_S15_EUlS14_E_NS1_11comp_targetILNS1_3genE5ELNS1_11target_archE942ELNS1_3gpuE9ELNS1_3repE0EEENS1_30default_config_static_selectorELNS0_4arch9wavefront6targetE1EEEvT1_: ; @_ZN7rocprim17ROCPRIM_400000_NS6detail17trampoline_kernelINS0_14default_configENS1_25partition_config_selectorILNS1_17partition_subalgoE0EyNS0_10empty_typeEbEEZZNS1_14partition_implILS5_0ELb0ES3_jN6thrust23THRUST_200600_302600_NS6detail15normal_iteratorINSA_10device_ptrIyEEEEPS6_SG_NS0_5tupleIJSF_NSA_16discard_iteratorINSA_11use_defaultEEEEEENSH_IJSG_SG_EEES6_PlJ7is_evenIyEEEE10hipError_tPvRmT3_T4_T5_T6_T7_T9_mT8_P12ihipStream_tbDpT10_ENKUlT_T0_E_clISt17integral_constantIbLb0EES18_IbLb1EEEEDaS14_S15_EUlS14_E_NS1_11comp_targetILNS1_3genE5ELNS1_11target_archE942ELNS1_3gpuE9ELNS1_3repE0EEENS1_30default_config_static_selectorELNS0_4arch9wavefront6targetE1EEEvT1_
; %bb.0:
	s_load_dwordx2 s[2:3], s[0:1], 0x60
	s_load_dwordx4 s[24:27], s[0:1], 0x50
	s_load_dwordx2 s[30:31], s[0:1], 0x70
	v_cmp_eq_u32_e64 s[20:21], 0, v0
	s_and_saveexec_b64 s[4:5], s[20:21]
	s_cbranch_execz .LBB2356_4
; %bb.1:
	s_mov_b64 s[8:9], exec
	v_mbcnt_lo_u32_b32 v1, s8, 0
	v_mbcnt_hi_u32_b32 v1, s9, v1
	v_cmp_eq_u32_e32 vcc, 0, v1
                                        ; implicit-def: $vgpr2
	s_and_saveexec_b64 s[6:7], vcc
	s_cbranch_execz .LBB2356_3
; %bb.2:
	s_load_dwordx2 s[10:11], s[0:1], 0x80
	s_bcnt1_i32_b64 s8, s[8:9]
	v_mov_b32_e32 v2, 0
	v_mov_b32_e32 v3, s8
	s_waitcnt lgkmcnt(0)
	global_atomic_add v2, v2, v3, s[10:11] sc0
.LBB2356_3:
	s_or_b64 exec, exec, s[6:7]
	s_waitcnt vmcnt(0)
	v_readfirstlane_b32 s6, v2
	v_mov_b32_e32 v2, 0
	s_nop 0
	v_add_u32_e32 v1, s6, v1
	ds_write_b32 v2, v1
.LBB2356_4:
	s_or_b64 exec, exec, s[4:5]
	v_mov_b32_e32 v21, 0
	s_load_dwordx4 s[4:7], s[0:1], 0x8
	s_load_dwordx2 s[28:29], s[0:1], 0x28
	s_load_dword s8, s[0:1], 0x78
	s_waitcnt lgkmcnt(0)
	s_barrier
	ds_read_b32 v1, v21
	s_waitcnt lgkmcnt(0)
	s_barrier
	global_load_dwordx2 v[18:19], v21, s[26:27]
	s_lshl_b64 s[0:1], s[6:7], 3
	s_add_u32 s4, s4, s0
	s_movk_i32 s0, 0xe00
	v_mul_lo_u32 v20, v1, s0
	s_mul_i32 s0, s8, 0xe00
	s_addc_u32 s5, s5, s1
	s_add_i32 s1, s0, s6
	v_mov_b32_e32 v3, s3
	s_add_i32 s3, s8, -1
	s_sub_i32 s33, s2, s1
	s_add_u32 s0, s6, s0
	v_readfirstlane_b32 s36, v1
	s_addc_u32 s1, s7, 0
	s_cmp_eq_u32 s36, s3
	v_mov_b32_e32 v2, s2
	s_cselect_b64 s[22:23], -1, 0
	s_cmp_lg_u32 s36, s3
	v_cmp_lt_u64_e32 vcc, s[0:1], v[2:3]
	s_cselect_b64 s[0:1], -1, 0
	s_or_b64 s[0:1], vcc, s[0:1]
	v_lshlrev_b64 v[2:3], 3, v[20:21]
	v_lshl_add_u64 v[22:23], s[4:5], 0, v[2:3]
	s_mov_b64 s[2:3], -1
	s_and_b64 vcc, exec, s[0:1]
	v_lshlrev_b32_e32 v20, 3, v0
	s_cbranch_vccz .LBB2356_6
; %bb.5:
	v_lshl_add_u64 v[2:3], v[22:23], 0, v[20:21]
	v_add_co_u32_e32 v4, vcc, 0x1000, v2
	s_mov_b64 s[2:3], 0
	s_nop 0
	v_addc_co_u32_e32 v5, vcc, 0, v3, vcc
	v_add_co_u32_e32 v6, vcc, 0x2000, v2
	s_nop 1
	v_addc_co_u32_e32 v7, vcc, 0, v3, vcc
	v_add_co_u32_e32 v8, vcc, 0x3000, v2
	s_nop 1
	v_addc_co_u32_e32 v9, vcc, 0, v3, vcc
	flat_load_dwordx2 v[10:11], v[2:3]
	flat_load_dwordx2 v[12:13], v[4:5]
	;; [unrolled: 1-line block ×4, first 2 shown]
	v_add_co_u32_e32 v4, vcc, 0x4000, v2
	s_nop 1
	v_addc_co_u32_e32 v5, vcc, 0, v3, vcc
	v_add_co_u32_e32 v6, vcc, 0x5000, v2
	s_nop 1
	v_addc_co_u32_e32 v7, vcc, 0, v3, vcc
	;; [unrolled: 3-line block ×3, first 2 shown]
	flat_load_dwordx2 v[8:9], v[4:5]
	flat_load_dwordx2 v[24:25], v[6:7]
	;; [unrolled: 1-line block ×3, first 2 shown]
	s_waitcnt vmcnt(0) lgkmcnt(0)
	ds_write2st64_b64 v20, v[10:11], v[12:13] offset1:8
	ds_write2st64_b64 v20, v[14:15], v[16:17] offset0:16 offset1:24
	ds_write2st64_b64 v20, v[8:9], v[24:25] offset0:32 offset1:40
	ds_write_b64 v20, v[26:27] offset:24576
	s_waitcnt lgkmcnt(0)
	s_barrier
.LBB2356_6:
	s_andn2_b64 vcc, exec, s[2:3]
	s_addk_i32 s33, 0xe00
	s_cbranch_vccnz .LBB2356_22
; %bb.7:
	v_cmp_gt_u32_e32 vcc, s33, v0
                                        ; implicit-def: $vgpr2_vgpr3_vgpr4_vgpr5_vgpr6_vgpr7_vgpr8_vgpr9_vgpr10_vgpr11_vgpr12_vgpr13_vgpr14_vgpr15_vgpr16_vgpr17
	s_and_saveexec_b64 s[2:3], vcc
	s_cbranch_execz .LBB2356_9
; %bb.8:
	v_mov_b32_e32 v21, 0
	v_lshl_add_u64 v[2:3], v[22:23], 0, v[20:21]
	flat_load_dwordx2 v[2:3], v[2:3]
.LBB2356_9:
	s_or_b64 exec, exec, s[2:3]
	v_or_b32_e32 v1, 0x200, v0
	v_cmp_gt_u32_e32 vcc, s33, v1
	s_and_saveexec_b64 s[2:3], vcc
	s_cbranch_execz .LBB2356_11
; %bb.10:
	v_lshlrev_b32_e32 v4, 3, v1
	v_mov_b32_e32 v5, 0
	v_lshl_add_u64 v[4:5], v[22:23], 0, v[4:5]
	flat_load_dwordx2 v[4:5], v[4:5]
.LBB2356_11:
	s_or_b64 exec, exec, s[2:3]
	v_or_b32_e32 v1, 0x400, v0
	v_cmp_gt_u32_e32 vcc, s33, v1
	s_and_saveexec_b64 s[2:3], vcc
	s_cbranch_execz .LBB2356_13
; %bb.12:
	v_lshlrev_b32_e32 v6, 3, v1
	v_mov_b32_e32 v7, 0
	v_lshl_add_u64 v[6:7], v[22:23], 0, v[6:7]
	flat_load_dwordx2 v[6:7], v[6:7]
.LBB2356_13:
	;; [unrolled: 11-line block ×6, first 2 shown]
	s_or_b64 exec, exec, s[2:3]
	s_waitcnt vmcnt(0) lgkmcnt(0)
	ds_write2st64_b64 v20, v[2:3], v[4:5] offset1:8
	ds_write2st64_b64 v20, v[6:7], v[8:9] offset0:16 offset1:24
	ds_write2st64_b64 v20, v[10:11], v[12:13] offset0:32 offset1:40
	ds_write_b64 v20, v[14:15] offset:24576
	s_waitcnt lgkmcnt(0)
	s_barrier
.LBB2356_22:
	v_mul_u32_u24_e32 v1, 7, v0
	v_lshlrev_b32_e32 v34, 3, v1
	ds_read2_b64 v[10:13], v34 offset1:1
	ds_read2_b64 v[6:9], v34 offset0:2 offset1:3
	ds_read2_b64 v[2:5], v34 offset0:4 offset1:5
	ds_read_b64 v[14:15], v34 offset:48
	v_cndmask_b32_e64 v16, 0, 1, s[0:1]
	v_cmp_ne_u32_e64 s[2:3], 1, v16
	s_andn2_b64 vcc, exec, s[0:1]
	s_waitcnt lgkmcnt(3)
	v_xor_b32_e32 v26, -1, v10
	v_xor_b32_e32 v25, -1, v12
	s_waitcnt lgkmcnt(2)
	v_xor_b32_e32 v24, -1, v6
	v_xor_b32_e32 v23, -1, v8
	;; [unrolled: 3-line block ×3, first 2 shown]
	s_waitcnt lgkmcnt(0)
	v_xor_b32_e32 v16, -1, v14
	s_barrier
	s_cbranch_vccnz .LBB2356_24
; %bb.23:
	v_mov_b32_e32 v21, 1
	v_and_b32_e32 v27, 1, v26
	v_and_b32_sdwa v28, v25, v21 dst_sel:BYTE_1 dst_unused:UNUSED_PAD src0_sel:DWORD src1_sel:DWORD
	v_and_b32_e32 v29, 1, v24
	v_and_b32_sdwa v32, v23, v21 dst_sel:BYTE_1 dst_unused:UNUSED_PAD src0_sel:DWORD src1_sel:DWORD
	v_or_b32_e32 v27, v27, v28
	v_or_b32_sdwa v28, v29, v32 dst_sel:WORD_1 dst_unused:UNUSED_PAD src0_sel:DWORD src1_sel:DWORD
	v_and_b32_e32 v31, 1, v22
	v_and_b32_e32 v30, 1, v17
	;; [unrolled: 1-line block ×3, first 2 shown]
	v_or_b32_sdwa v32, v27, v28 dst_sel:DWORD dst_unused:UNUSED_PAD src0_sel:WORD_0 src1_sel:DWORD
	s_cbranch_execz .LBB2356_25
	s_branch .LBB2356_26
.LBB2356_24:
                                        ; implicit-def: $vgpr21
                                        ; implicit-def: $vgpr30
                                        ; implicit-def: $vgpr31
                                        ; implicit-def: $vgpr32
.LBB2356_25:
	v_add_u32_e32 v21, 1, v1
	v_cmp_gt_u32_e32 vcc, s33, v1
	v_add_u32_e32 v27, 2, v1
	v_add_u32_e32 v28, 3, v1
	v_cndmask_b32_e64 v31, 0, 1, vcc
	v_cmp_gt_u32_e32 vcc, s33, v21
	v_add_u32_e32 v29, 4, v1
	v_add_u32_e32 v30, 5, v1
	v_cndmask_b32_e64 v21, 0, 1, vcc
	v_cmp_gt_u32_e32 vcc, s33, v27
	v_and_b32_sdwa v25, v21, v25 dst_sel:BYTE_1 dst_unused:UNUSED_PAD src0_sel:DWORD src1_sel:DWORD
	v_add_u32_e32 v32, 6, v1
	v_cndmask_b32_e64 v21, 0, 1, vcc
	v_cmp_gt_u32_e32 vcc, s33, v28
	v_and_b32_e32 v24, v21, v24
	v_and_b32_e32 v26, v31, v26
	v_cndmask_b32_e64 v21, 0, 1, vcc
	v_cmp_gt_u32_e32 vcc, s33, v29
	v_and_b32_sdwa v23, v21, v23 dst_sel:BYTE_1 dst_unused:UNUSED_PAD src0_sel:DWORD src1_sel:DWORD
	s_nop 0
	v_cndmask_b32_e64 v21, 0, 1, vcc
	v_cmp_gt_u32_e32 vcc, s33, v30
	v_and_b32_e32 v31, v21, v22
	s_nop 0
	v_cndmask_b32_e64 v21, 0, 1, vcc
	v_cmp_gt_u32_e32 vcc, s33, v32
	v_and_b32_e32 v30, v21, v17
	s_nop 0
	v_cndmask_b32_e64 v17, 0, 1, vcc
	v_and_b32_e32 v21, v17, v16
	v_or_b32_e32 v16, v26, v25
	v_or_b32_sdwa v17, v24, v23 dst_sel:WORD_1 dst_unused:UNUSED_PAD src0_sel:DWORD src1_sel:DWORD
	s_nop 0
	v_or_b32_sdwa v32, v16, v17 dst_sel:DWORD dst_unused:UNUSED_PAD src0_sel:WORD_0 src1_sel:DWORD
.LBB2356_26:
	v_and_b32_e32 v35, 0xff, v32
	v_bfe_u32 v36, v32, 8, 8
	v_bfe_u32 v37, v32, 16, 8
	v_lshrrev_b32_e32 v33, 24, v32
	v_and_b32_e32 v38, 0xff, v31
	v_add3_u32 v17, v36, v35, v37
	v_and_b32_e32 v39, 0xff, v30
	v_and_b32_e32 v16, 0xff, v21
	v_add3_u32 v17, v17, v33, v38
	v_add3_u32 v42, v17, v39, v16
	v_mbcnt_lo_u32_b32 v16, -1, 0
	v_mbcnt_hi_u32_b32 v40, -1, v16
	v_and_b32_e32 v16, 15, v40
	v_cmp_eq_u32_e64 s[16:17], 0, v16
	v_cmp_lt_u32_e64 s[14:15], 1, v16
	v_cmp_lt_u32_e64 s[12:13], 3, v16
	;; [unrolled: 1-line block ×3, first 2 shown]
	v_and_b32_e32 v16, 16, v40
	v_cmp_eq_u32_e64 s[8:9], 0, v16
	v_or_b32_e32 v16, 63, v0
	s_cmp_lg_u32 s36, 0
	v_cmp_lt_u32_e64 s[4:5], 31, v40
	v_lshrrev_b32_e32 v41, 6, v0
	v_cmp_eq_u32_e64 s[6:7], v16, v0
	s_cbranch_scc0 .LBB2356_53
; %bb.27:
	v_mov_b32_dpp v16, v42 row_shr:1 row_mask:0xf bank_mask:0xf
	v_cndmask_b32_e64 v16, v16, 0, s[16:17]
	v_add_u32_e32 v16, v16, v42
	s_nop 1
	v_mov_b32_dpp v17, v16 row_shr:2 row_mask:0xf bank_mask:0xf
	v_cndmask_b32_e64 v17, 0, v17, s[14:15]
	v_add_u32_e32 v16, v16, v17
	s_nop 1
	v_mov_b32_dpp v17, v16 row_shr:4 row_mask:0xf bank_mask:0xf
	v_cndmask_b32_e64 v17, 0, v17, s[12:13]
	v_add_u32_e32 v16, v16, v17
	s_nop 1
	v_mov_b32_dpp v17, v16 row_shr:8 row_mask:0xf bank_mask:0xf
	v_cndmask_b32_e64 v17, 0, v17, s[10:11]
	v_add_u32_e32 v16, v16, v17
	s_nop 1
	v_mov_b32_dpp v17, v16 row_bcast:15 row_mask:0xf bank_mask:0xf
	v_cndmask_b32_e64 v17, v17, 0, s[8:9]
	v_add_u32_e32 v16, v16, v17
	s_nop 1
	v_mov_b32_dpp v17, v16 row_bcast:31 row_mask:0xf bank_mask:0xf
	v_cndmask_b32_e64 v17, 0, v17, s[4:5]
	v_add_u32_e32 v16, v16, v17
	s_and_saveexec_b64 s[0:1], s[6:7]
	s_cbranch_execz .LBB2356_29
; %bb.28:
	v_lshlrev_b32_e32 v17, 2, v41
	ds_write_b32 v17, v16
.LBB2356_29:
	s_or_b64 exec, exec, s[0:1]
	v_cmp_gt_u32_e32 vcc, 8, v0
	s_waitcnt lgkmcnt(0)
	s_barrier
	s_and_saveexec_b64 s[0:1], vcc
	s_cbranch_execz .LBB2356_31
; %bb.30:
	v_lshlrev_b32_e32 v17, 2, v0
	ds_read_b32 v22, v17
	v_and_b32_e32 v23, 7, v40
	v_cmp_ne_u32_e32 vcc, 0, v23
	s_waitcnt lgkmcnt(0)
	v_mov_b32_dpp v24, v22 row_shr:1 row_mask:0xf bank_mask:0xf
	v_cndmask_b32_e32 v24, 0, v24, vcc
	v_add_u32_e32 v22, v24, v22
	v_cmp_lt_u32_e32 vcc, 1, v23
	s_nop 0
	v_mov_b32_dpp v24, v22 row_shr:2 row_mask:0xf bank_mask:0xf
	v_cndmask_b32_e32 v24, 0, v24, vcc
	v_add_u32_e32 v22, v22, v24
	v_cmp_lt_u32_e32 vcc, 3, v23
	s_nop 0
	v_mov_b32_dpp v24, v22 row_shr:4 row_mask:0xf bank_mask:0xf
	v_cndmask_b32_e32 v23, 0, v24, vcc
	v_add_u32_e32 v22, v22, v23
	ds_write_b32 v17, v22
.LBB2356_31:
	s_or_b64 exec, exec, s[0:1]
	v_cmp_gt_u32_e32 vcc, 64, v0
	v_cmp_lt_u32_e64 s[0:1], 63, v0
	s_waitcnt lgkmcnt(0)
	s_barrier
	s_waitcnt lgkmcnt(0)
                                        ; implicit-def: $vgpr43
	s_and_saveexec_b64 s[18:19], s[0:1]
	s_cbranch_execz .LBB2356_33
; %bb.32:
	v_lshl_add_u32 v17, v41, 2, -4
	ds_read_b32 v43, v17
	s_waitcnt lgkmcnt(0)
	v_add_u32_e32 v16, v43, v16
.LBB2356_33:
	s_or_b64 exec, exec, s[18:19]
	v_add_u32_e32 v17, -1, v40
	v_and_b32_e32 v22, 64, v40
	v_cmp_lt_i32_e64 s[0:1], v17, v22
	v_cmp_eq_u32_e64 s[18:19], 0, v40
	s_nop 0
	v_cndmask_b32_e64 v17, v17, v40, s[0:1]
	v_lshlrev_b32_e32 v17, 2, v17
	ds_bpermute_b32 v44, v17, v16
	s_and_saveexec_b64 s[0:1], vcc
	s_cbranch_execz .LBB2356_52
; %bb.34:
	v_mov_b32_e32 v27, 0
	ds_read_b32 v16, v27 offset:28
	s_and_saveexec_b64 s[26:27], s[18:19]
	s_cbranch_execz .LBB2356_36
; %bb.35:
	s_add_i32 s34, s36, 64
	s_mov_b32 s35, 0
	s_lshl_b64 s[34:35], s[34:35], 3
	s_add_u32 s34, s30, s34
	v_mov_b32_e32 v17, 1
	s_addc_u32 s35, s31, s35
	s_waitcnt lgkmcnt(0)
	global_store_dwordx2 v27, v[16:17], s[34:35] sc1
.LBB2356_36:
	s_or_b64 exec, exec, s[26:27]
	v_xad_u32 v22, v40, -1, s36
	v_add_u32_e32 v26, 64, v22
	v_lshl_add_u64 v[28:29], v[26:27], 3, s[30:31]
	global_load_dwordx2 v[24:25], v[28:29], off sc1
	s_waitcnt vmcnt(0)
	v_cmp_eq_u16_sdwa s[34:35], v25, v27 src0_sel:BYTE_0 src1_sel:DWORD
	s_and_saveexec_b64 s[26:27], s[34:35]
	s_cbranch_execz .LBB2356_40
; %bb.37:
	s_mov_b64 s[34:35], 0
	v_mov_b32_e32 v17, 0
.LBB2356_38:                            ; =>This Inner Loop Header: Depth=1
	global_load_dwordx2 v[24:25], v[28:29], off sc1
	s_waitcnt vmcnt(0)
	v_cmp_ne_u16_sdwa s[38:39], v25, v17 src0_sel:BYTE_0 src1_sel:DWORD
	s_or_b64 s[34:35], s[38:39], s[34:35]
	s_andn2_b64 exec, exec, s[34:35]
	s_cbranch_execnz .LBB2356_38
; %bb.39:
	s_or_b64 exec, exec, s[34:35]
.LBB2356_40:
	s_or_b64 exec, exec, s[26:27]
	v_and_b32_e32 v46, 63, v40
	v_mov_b32_e32 v45, 2
	v_cmp_ne_u32_e32 vcc, 63, v46
	v_cmp_eq_u16_sdwa s[26:27], v25, v45 src0_sel:BYTE_0 src1_sel:DWORD
	v_lshlrev_b64 v[26:27], v40, -1
	v_addc_co_u32_e32 v28, vcc, 0, v40, vcc
	v_and_b32_e32 v17, s27, v27
	v_lshlrev_b32_e32 v47, 2, v28
	v_or_b32_e32 v17, 0x80000000, v17
	ds_bpermute_b32 v28, v47, v24
	v_and_b32_e32 v23, s26, v26
	v_ffbl_b32_e32 v17, v17
	v_add_u32_e32 v17, 32, v17
	v_ffbl_b32_e32 v23, v23
	v_min_u32_e32 v17, v23, v17
	v_cmp_lt_u32_e32 vcc, v46, v17
	v_add_u32_e32 v49, 2, v46
	v_add_u32_e32 v51, 4, v46
	s_waitcnt lgkmcnt(0)
	v_cndmask_b32_e32 v23, 0, v28, vcc
	v_cmp_gt_u32_e32 vcc, 62, v46
	v_add_u32_e32 v23, v23, v24
	v_add_u32_e32 v53, 8, v46
	v_cndmask_b32_e64 v24, 0, 1, vcc
	v_lshlrev_b32_e32 v24, 1, v24
	v_add_lshl_u32 v48, v24, v40, 2
	ds_bpermute_b32 v24, v48, v23
	v_cmp_le_u32_e32 vcc, v49, v17
	v_add_u32_e32 v55, 16, v46
	v_add_u32_e32 v57, 32, v46
	s_waitcnt lgkmcnt(0)
	v_cndmask_b32_e32 v24, 0, v24, vcc
	v_cmp_gt_u32_e32 vcc, 60, v46
	v_add_u32_e32 v23, v23, v24
	s_nop 0
	v_cndmask_b32_e64 v24, 0, 1, vcc
	v_lshlrev_b32_e32 v24, 2, v24
	v_add_lshl_u32 v50, v24, v40, 2
	ds_bpermute_b32 v24, v50, v23
	v_cmp_le_u32_e32 vcc, v51, v17
	s_waitcnt lgkmcnt(0)
	s_nop 0
	v_cndmask_b32_e32 v24, 0, v24, vcc
	v_cmp_gt_u32_e32 vcc, 56, v46
	v_add_u32_e32 v23, v23, v24
	s_nop 0
	v_cndmask_b32_e64 v24, 0, 1, vcc
	v_lshlrev_b32_e32 v24, 3, v24
	v_add_lshl_u32 v52, v24, v40, 2
	ds_bpermute_b32 v24, v52, v23
	v_cmp_le_u32_e32 vcc, v53, v17
	s_waitcnt lgkmcnt(0)
	s_nop 0
	;; [unrolled: 11-line block ×4, first 2 shown]
	v_cndmask_b32_e32 v17, 0, v24, vcc
	v_add_u32_e32 v24, v23, v17
	v_mov_b32_e32 v23, 0
	s_branch .LBB2356_42
.LBB2356_41:                            ;   in Loop: Header=BB2356_42 Depth=1
	s_or_b64 exec, exec, s[26:27]
	v_cmp_eq_u16_sdwa s[26:27], v25, v45 src0_sel:BYTE_0 src1_sel:DWORD
	ds_bpermute_b32 v58, v47, v24
	v_subrev_u32_e32 v22, 64, v22
	v_and_b32_e32 v28, s27, v27
	v_or_b32_e32 v28, 0x80000000, v28
	v_and_b32_e32 v29, s26, v26
	v_ffbl_b32_e32 v28, v28
	v_add_u32_e32 v28, 32, v28
	v_ffbl_b32_e32 v29, v29
	v_min_u32_e32 v28, v29, v28
	v_cmp_lt_u32_e32 vcc, v46, v28
	s_waitcnt lgkmcnt(0)
	s_nop 0
	v_cndmask_b32_e32 v29, 0, v58, vcc
	v_add_u32_e32 v24, v29, v24
	ds_bpermute_b32 v29, v48, v24
	v_cmp_le_u32_e32 vcc, v49, v28
	s_waitcnt lgkmcnt(0)
	s_nop 0
	v_cndmask_b32_e32 v29, 0, v29, vcc
	v_add_u32_e32 v24, v24, v29
	ds_bpermute_b32 v29, v50, v24
	v_cmp_le_u32_e32 vcc, v51, v28
	;; [unrolled: 6-line block ×5, first 2 shown]
	s_waitcnt lgkmcnt(0)
	s_nop 0
	v_cndmask_b32_e32 v28, 0, v29, vcc
	v_add3_u32 v24, v28, v17, v24
.LBB2356_42:                            ; =>This Loop Header: Depth=1
                                        ;     Child Loop BB2356_45 Depth 2
	v_cmp_ne_u16_sdwa s[26:27], v25, v45 src0_sel:BYTE_0 src1_sel:DWORD
	s_nop 1
	v_cndmask_b32_e64 v17, 0, 1, s[26:27]
	;;#ASMSTART
	;;#ASMEND
	s_nop 0
	v_cmp_ne_u32_e32 vcc, 0, v17
	s_cmp_lg_u64 vcc, exec
	v_mov_b32_e32 v17, v24
	s_cbranch_scc1 .LBB2356_47
; %bb.43:                               ;   in Loop: Header=BB2356_42 Depth=1
	v_lshl_add_u64 v[28:29], v[22:23], 3, s[30:31]
	global_load_dwordx2 v[24:25], v[28:29], off sc1
	s_waitcnt vmcnt(0)
	v_cmp_eq_u16_sdwa s[34:35], v25, v23 src0_sel:BYTE_0 src1_sel:DWORD
	s_and_saveexec_b64 s[26:27], s[34:35]
	s_cbranch_execz .LBB2356_41
; %bb.44:                               ;   in Loop: Header=BB2356_42 Depth=1
	s_mov_b64 s[34:35], 0
.LBB2356_45:                            ;   Parent Loop BB2356_42 Depth=1
                                        ; =>  This Inner Loop Header: Depth=2
	global_load_dwordx2 v[24:25], v[28:29], off sc1
	s_waitcnt vmcnt(0)
	v_cmp_ne_u16_sdwa s[38:39], v25, v23 src0_sel:BYTE_0 src1_sel:DWORD
	s_or_b64 s[34:35], s[38:39], s[34:35]
	s_andn2_b64 exec, exec, s[34:35]
	s_cbranch_execnz .LBB2356_45
; %bb.46:                               ;   in Loop: Header=BB2356_42 Depth=1
	s_or_b64 exec, exec, s[34:35]
	s_branch .LBB2356_41
.LBB2356_47:                            ;   in Loop: Header=BB2356_42 Depth=1
                                        ; implicit-def: $vgpr24
                                        ; implicit-def: $vgpr25
	s_cbranch_execz .LBB2356_42
; %bb.48:
	s_and_saveexec_b64 s[26:27], s[18:19]
	s_cbranch_execz .LBB2356_50
; %bb.49:
	s_add_i32 s34, s36, 64
	s_mov_b32 s35, 0
	s_lshl_b64 s[34:35], s[34:35], 3
	s_add_u32 s34, s30, s34
	v_add_u32_e32 v22, v17, v16
	v_mov_b32_e32 v23, 2
	s_addc_u32 s35, s31, s35
	v_mov_b32_e32 v24, 0
	global_store_dwordx2 v24, v[22:23], s[34:35] sc1
	ds_write_b64 v24, v[16:17] offset:28672
.LBB2356_50:
	s_or_b64 exec, exec, s[26:27]
	s_and_b64 exec, exec, s[20:21]
	s_cbranch_execz .LBB2356_52
; %bb.51:
	v_mov_b32_e32 v16, 0
	ds_write_b32 v16, v17 offset:28
.LBB2356_52:
	s_or_b64 exec, exec, s[0:1]
	v_mov_b32_e32 v16, 0
	s_waitcnt lgkmcnt(0)
	s_barrier
	ds_read_b32 v17, v16 offset:28
	v_cndmask_b32_e64 v22, v44, v43, s[18:19]
	v_cndmask_b32_e64 v22, v22, 0, s[20:21]
	s_waitcnt lgkmcnt(0)
	s_barrier
	v_add_u32_e32 v29, v17, v22
	v_add_u32_e32 v28, v29, v35
	ds_read_b64 v[16:17], v16 offset:28672
	v_add_u32_e32 v27, v28, v36
	v_add_u32_e32 v26, v27, v37
	;; [unrolled: 1-line block ×5, first 2 shown]
	s_waitcnt lgkmcnt(0)
	v_mov_b32_e32 v22, v17
	s_branch .LBB2356_63
.LBB2356_53:
                                        ; implicit-def: $vgpr22
                                        ; implicit-def: $vgpr16
                                        ; implicit-def: $vgpr23
                                        ; implicit-def: $vgpr24
                                        ; implicit-def: $vgpr25
                                        ; implicit-def: $vgpr26
                                        ; implicit-def: $vgpr27
                                        ; implicit-def: $vgpr28
                                        ; implicit-def: $vgpr29
	s_cbranch_execz .LBB2356_63
; %bb.54:
	s_nop 0
	v_mov_b32_dpp v16, v42 row_shr:1 row_mask:0xf bank_mask:0xf
	v_cndmask_b32_e64 v16, v16, 0, s[16:17]
	v_add_u32_e32 v16, v16, v42
	s_nop 1
	v_mov_b32_dpp v17, v16 row_shr:2 row_mask:0xf bank_mask:0xf
	v_cndmask_b32_e64 v17, 0, v17, s[14:15]
	v_add_u32_e32 v16, v16, v17
	;; [unrolled: 4-line block ×4, first 2 shown]
	s_nop 1
	v_mov_b32_dpp v17, v16 row_bcast:15 row_mask:0xf bank_mask:0xf
	v_cndmask_b32_e64 v17, v17, 0, s[8:9]
	v_add_u32_e32 v16, v16, v17
	s_nop 1
	v_mov_b32_dpp v17, v16 row_bcast:31 row_mask:0xf bank_mask:0xf
	v_cndmask_b32_e64 v17, 0, v17, s[4:5]
	v_add_u32_e32 v16, v16, v17
	s_and_saveexec_b64 s[0:1], s[6:7]
	s_cbranch_execz .LBB2356_56
; %bb.55:
	v_lshlrev_b32_e32 v17, 2, v41
	ds_write_b32 v17, v16
.LBB2356_56:
	s_or_b64 exec, exec, s[0:1]
	v_cmp_gt_u32_e32 vcc, 8, v0
	s_waitcnt lgkmcnt(0)
	s_barrier
	s_and_saveexec_b64 s[0:1], vcc
	s_cbranch_execz .LBB2356_58
; %bb.57:
	s_movk_i32 s4, 0xffcc
	v_mad_i32_i24 v17, v0, s4, v34
	ds_read_b32 v22, v17
	v_and_b32_e32 v23, 7, v40
	v_cmp_ne_u32_e32 vcc, 0, v23
	s_waitcnt lgkmcnt(0)
	v_mov_b32_dpp v24, v22 row_shr:1 row_mask:0xf bank_mask:0xf
	v_cndmask_b32_e32 v24, 0, v24, vcc
	v_add_u32_e32 v22, v24, v22
	v_cmp_lt_u32_e32 vcc, 1, v23
	s_nop 0
	v_mov_b32_dpp v24, v22 row_shr:2 row_mask:0xf bank_mask:0xf
	v_cndmask_b32_e32 v24, 0, v24, vcc
	v_add_u32_e32 v22, v22, v24
	v_cmp_lt_u32_e32 vcc, 3, v23
	s_nop 0
	v_mov_b32_dpp v24, v22 row_shr:4 row_mask:0xf bank_mask:0xf
	v_cndmask_b32_e32 v23, 0, v24, vcc
	v_add_u32_e32 v22, v22, v23
	ds_write_b32 v17, v22
.LBB2356_58:
	s_or_b64 exec, exec, s[0:1]
	v_cmp_lt_u32_e32 vcc, 63, v0
	v_mov_b32_e32 v17, 0
	v_mov_b32_e32 v22, 0
	s_waitcnt lgkmcnt(0)
	s_barrier
	s_and_saveexec_b64 s[0:1], vcc
	s_cbranch_execz .LBB2356_60
; %bb.59:
	v_lshl_add_u32 v22, v41, 2, -4
	ds_read_b32 v22, v22
.LBB2356_60:
	s_or_b64 exec, exec, s[0:1]
	v_add_u32_e32 v23, -1, v40
	v_and_b32_e32 v24, 64, v40
	v_cmp_lt_i32_e32 vcc, v23, v24
	s_waitcnt lgkmcnt(0)
	v_add_u32_e32 v16, v22, v16
	v_cndmask_b32_e32 v23, v23, v40, vcc
	v_lshlrev_b32_e32 v23, 2, v23
	ds_bpermute_b32 v23, v23, v16
	ds_read_b32 v16, v17 offset:28
	s_and_saveexec_b64 s[0:1], s[20:21]
	s_cbranch_execz .LBB2356_62
; %bb.61:
	v_mov_b32_e32 v24, 0
	v_mov_b32_e32 v17, 2
	s_waitcnt lgkmcnt(0)
	global_store_dwordx2 v24, v[16:17], s[30:31] offset:512 sc1
.LBB2356_62:
	s_or_b64 exec, exec, s[0:1]
	v_cmp_eq_u32_e32 vcc, 0, v40
	s_waitcnt lgkmcnt(0)
	s_barrier
	v_cndmask_b32_e32 v17, v23, v22, vcc
	v_cndmask_b32_e64 v29, v17, 0, s[20:21]
	v_add_u32_e32 v28, v29, v35
	v_add_u32_e32 v27, v28, v36
	;; [unrolled: 1-line block ×5, first 2 shown]
	v_mov_b32_e32 v22, 0
	v_add_u32_e32 v23, v24, v39
.LBB2356_63:
	v_add_u32_e32 v1, v16, v1
	v_sub_u32_e32 v29, v29, v22
	v_and_b32_e32 v35, 1, v32
	v_sub_u32_e32 v34, v1, v29
	v_cmp_eq_u32_e32 vcc, 1, v35
	v_lshrrev_b32_e32 v17, 8, v32
	v_and_b32_e32 v17, 1, v17
	v_cndmask_b32_e32 v29, v34, v29, vcc
	v_lshlrev_b32_e32 v29, 3, v29
	ds_write_b64 v29, v[10:11]
	v_sub_u32_e32 v10, v28, v22
	v_sub_u32_e32 v11, v1, v10
	v_add_u32_e32 v11, 1, v11
	v_cmp_eq_u32_e32 vcc, 1, v17
	v_or_b32_e32 v29, 0x400, v0
	v_or_b32_e32 v28, 0x600, v0
	v_cndmask_b32_e32 v10, v11, v10, vcc
	v_lshlrev_b32_e32 v10, 3, v10
	ds_write_b64 v10, v[12:13]
	v_sub_u32_e32 v10, v27, v22
	v_mov_b32_e32 v12, 1
	v_sub_u32_e32 v11, v1, v10
	v_and_b32_sdwa v12, v12, v32 dst_sel:DWORD dst_unused:UNUSED_PAD src0_sel:DWORD src1_sel:WORD_1
	v_add_u32_e32 v11, 2, v11
	v_cmp_eq_u32_e32 vcc, 1, v12
	v_or_b32_e32 v17, 0xa00, v0
	s_nop 0
	v_cndmask_b32_e32 v10, v11, v10, vcc
	v_lshlrev_b32_e32 v10, 3, v10
	ds_write_b64 v10, v[6:7]
	v_sub_u32_e32 v6, v26, v22
	v_sub_u32_e32 v7, v1, v6
	v_and_b32_e32 v10, 1, v33
	v_add_u32_e32 v7, 3, v7
	v_cmp_eq_u32_e32 vcc, 1, v10
	s_waitcnt vmcnt(0)
	v_lshlrev_b64 v[26:27], 3, v[18:19]
	v_cndmask_b32_e32 v6, v7, v6, vcc
	v_lshlrev_b32_e32 v6, 3, v6
	ds_write_b64 v6, v[8:9]
	v_sub_u32_e32 v6, v25, v22
	v_sub_u32_e32 v7, v1, v6
	v_and_b32_e32 v8, 1, v31
	v_add_u32_e32 v7, 4, v7
	v_cmp_eq_u32_e32 vcc, 1, v8
	s_nop 1
	v_cndmask_b32_e32 v6, v7, v6, vcc
	v_lshlrev_b32_e32 v6, 3, v6
	ds_write_b64 v6, v[2:3]
	v_sub_u32_e32 v2, v24, v22
	v_sub_u32_e32 v3, v1, v2
	v_and_b32_e32 v6, 1, v30
	v_add_u32_e32 v3, 5, v3
	v_cmp_eq_u32_e32 vcc, 1, v6
	v_or_b32_e32 v30, 0x200, v0
	s_nop 0
	v_cndmask_b32_e32 v2, v3, v2, vcc
	v_lshlrev_b32_e32 v2, 3, v2
	ds_write_b64 v2, v[4:5]
	v_sub_u32_e32 v2, v23, v22
	v_sub_u32_e32 v1, v1, v2
	v_and_b32_e32 v3, 1, v21
	v_add_u32_e32 v1, 6, v1
	v_cmp_eq_u32_e32 vcc, 1, v3
	v_or_b32_e32 v21, 0x800, v0
	s_nop 0
	v_cndmask_b32_e32 v1, v1, v2, vcc
	v_lshlrev_b32_e32 v1, 3, v1
	ds_write_b64 v1, v[14:15]
	s_waitcnt lgkmcnt(0)
	s_barrier
	ds_read2st64_b64 v[10:13], v20 offset1:8
	ds_read2st64_b64 v[6:9], v20 offset0:16 offset1:24
	ds_read2st64_b64 v[2:5], v20 offset0:32 offset1:40
	ds_read_b64 v[14:15], v20 offset:24576
	v_or_b32_e32 v1, 0xc00, v0
	s_and_b64 vcc, exec, s[2:3]
	s_cbranch_vccnz .LBB2356_72
; %bb.64:
	v_mov_b32_e32 v23, 0
	v_lshl_add_u64 v[24:25], s[28:29], 0, v[26:27]
	v_lshlrev_b64 v[32:33], 3, v[22:23]
	v_lshl_add_u64 v[24:25], v[24:25], 0, v[32:33]
	v_cmp_lt_u32_e32 vcc, v0, v16
	s_and_saveexec_b64 s[0:1], vcc
	s_cbranch_execnz .LBB2356_86
; %bb.65:
	s_or_b64 exec, exec, s[0:1]
	v_cmp_lt_u32_e32 vcc, v30, v16
	s_and_saveexec_b64 s[0:1], vcc
	s_cbranch_execnz .LBB2356_87
.LBB2356_66:
	s_or_b64 exec, exec, s[0:1]
	v_cmp_lt_u32_e32 vcc, v29, v16
	s_and_saveexec_b64 s[0:1], vcc
	s_cbranch_execnz .LBB2356_88
.LBB2356_67:
	s_or_b64 exec, exec, s[0:1]
	v_cmp_lt_u32_e32 vcc, v28, v16
	s_and_saveexec_b64 s[0:1], vcc
	s_cbranch_execnz .LBB2356_89
.LBB2356_68:
	s_or_b64 exec, exec, s[0:1]
	v_cmp_lt_u32_e32 vcc, v21, v16
	s_and_saveexec_b64 s[0:1], vcc
	s_cbranch_execnz .LBB2356_90
.LBB2356_69:
	s_or_b64 exec, exec, s[0:1]
	v_cmp_lt_u32_e32 vcc, v17, v16
	s_and_saveexec_b64 s[0:1], vcc
	s_cbranch_execz .LBB2356_71
.LBB2356_70:
	v_lshlrev_b32_e32 v23, 3, v17
	v_readfirstlane_b32 s2, v24
	v_readfirstlane_b32 s3, v25
	s_waitcnt lgkmcnt(1)
	s_nop 3
	global_store_dwordx2 v23, v[4:5], s[2:3]
.LBB2356_71:
	s_or_b64 exec, exec, s[0:1]
	v_cmp_lt_u32_e64 s[0:1], v1, v16
	s_branch .LBB2356_81
.LBB2356_72:
	s_mov_b64 s[0:1], 0
                                        ; implicit-def: $vgpr24_vgpr25
	s_cbranch_execz .LBB2356_81
; %bb.73:
	v_mov_b32_e32 v23, 0
	v_min_u32_e32 v31, s33, v16
	v_lshl_add_u64 v[24:25], s[28:29], 0, v[26:27]
	v_lshlrev_b64 v[26:27], 3, v[22:23]
	v_lshl_add_u64 v[24:25], v[24:25], 0, v[26:27]
	v_cmp_gt_u32_e32 vcc, v31, v0
	s_and_saveexec_b64 s[0:1], vcc
	s_cbranch_execnz .LBB2356_91
; %bb.74:
	s_or_b64 exec, exec, s[0:1]
	v_cmp_lt_u32_e32 vcc, v30, v31
	s_and_saveexec_b64 s[0:1], vcc
	s_cbranch_execnz .LBB2356_92
.LBB2356_75:
	s_or_b64 exec, exec, s[0:1]
	v_cmp_lt_u32_e32 vcc, v29, v31
	s_and_saveexec_b64 s[0:1], vcc
	s_cbranch_execnz .LBB2356_93
.LBB2356_76:
	s_or_b64 exec, exec, s[0:1]
	v_cmp_lt_u32_e32 vcc, v28, v31
	s_and_saveexec_b64 s[0:1], vcc
	s_cbranch_execnz .LBB2356_94
.LBB2356_77:
	s_or_b64 exec, exec, s[0:1]
	v_cmp_lt_u32_e32 vcc, v21, v31
	s_and_saveexec_b64 s[0:1], vcc
	s_cbranch_execnz .LBB2356_95
.LBB2356_78:
	s_or_b64 exec, exec, s[0:1]
	v_cmp_lt_u32_e32 vcc, v17, v31
	s_and_saveexec_b64 s[0:1], vcc
	s_cbranch_execz .LBB2356_80
.LBB2356_79:
	v_lshlrev_b32_e32 v0, 3, v17
	v_readfirstlane_b32 s2, v24
	v_readfirstlane_b32 s3, v25
	s_waitcnt lgkmcnt(1)
	s_nop 3
	global_store_dwordx2 v0, v[4:5], s[2:3]
.LBB2356_80:
	s_or_b64 exec, exec, s[0:1]
	v_cmp_lt_u32_e64 s[0:1], v1, v31
.LBB2356_81:
	s_and_saveexec_b64 s[2:3], s[0:1]
	s_cbranch_execnz .LBB2356_84
; %bb.82:
	s_or_b64 exec, exec, s[2:3]
	s_and_b64 s[0:1], s[20:21], s[22:23]
	s_and_saveexec_b64 s[2:3], s[0:1]
	s_cbranch_execnz .LBB2356_85
.LBB2356_83:
	s_endpgm
.LBB2356_84:
	v_lshlrev_b32_e32 v0, 3, v1
	v_readfirstlane_b32 s0, v24
	v_readfirstlane_b32 s1, v25
	s_waitcnt lgkmcnt(0)
	s_nop 3
	global_store_dwordx2 v0, v[14:15], s[0:1]
	s_or_b64 exec, exec, s[2:3]
	s_and_b64 s[0:1], s[20:21], s[22:23]
	s_and_saveexec_b64 s[2:3], s[0:1]
	s_cbranch_execz .LBB2356_83
.LBB2356_85:
	v_mov_b32_e32 v17, 0
	v_lshl_add_u64 v[0:1], v[18:19], 0, v[16:17]
	v_mov_b32_e32 v23, v17
	v_lshl_add_u64 v[0:1], v[0:1], 0, v[22:23]
	global_store_dwordx2 v17, v[0:1], s[24:25]
	s_endpgm
.LBB2356_86:
	v_readfirstlane_b32 s2, v24
	v_readfirstlane_b32 s3, v25
	s_waitcnt lgkmcnt(3)
	s_nop 3
	global_store_dwordx2 v20, v[10:11], s[2:3]
	s_or_b64 exec, exec, s[0:1]
	v_cmp_lt_u32_e32 vcc, v30, v16
	s_and_saveexec_b64 s[0:1], vcc
	s_cbranch_execz .LBB2356_66
.LBB2356_87:
	v_lshlrev_b32_e32 v23, 3, v30
	v_readfirstlane_b32 s2, v24
	v_readfirstlane_b32 s3, v25
	s_waitcnt lgkmcnt(3)
	s_nop 3
	global_store_dwordx2 v23, v[12:13], s[2:3]
	s_or_b64 exec, exec, s[0:1]
	v_cmp_lt_u32_e32 vcc, v29, v16
	s_and_saveexec_b64 s[0:1], vcc
	s_cbranch_execz .LBB2356_67
.LBB2356_88:
	v_lshlrev_b32_e32 v23, 3, v29
	v_readfirstlane_b32 s2, v24
	v_readfirstlane_b32 s3, v25
	s_waitcnt lgkmcnt(2)
	s_nop 3
	global_store_dwordx2 v23, v[6:7], s[2:3]
	s_or_b64 exec, exec, s[0:1]
	v_cmp_lt_u32_e32 vcc, v28, v16
	s_and_saveexec_b64 s[0:1], vcc
	s_cbranch_execz .LBB2356_68
.LBB2356_89:
	v_lshlrev_b32_e32 v23, 3, v28
	v_readfirstlane_b32 s2, v24
	v_readfirstlane_b32 s3, v25
	s_waitcnt lgkmcnt(2)
	s_nop 3
	global_store_dwordx2 v23, v[8:9], s[2:3]
	s_or_b64 exec, exec, s[0:1]
	v_cmp_lt_u32_e32 vcc, v21, v16
	s_and_saveexec_b64 s[0:1], vcc
	s_cbranch_execz .LBB2356_69
.LBB2356_90:
	v_lshlrev_b32_e32 v23, 3, v21
	v_readfirstlane_b32 s2, v24
	v_readfirstlane_b32 s3, v25
	s_waitcnt lgkmcnt(1)
	s_nop 3
	global_store_dwordx2 v23, v[2:3], s[2:3]
	s_or_b64 exec, exec, s[0:1]
	v_cmp_lt_u32_e32 vcc, v17, v16
	s_and_saveexec_b64 s[0:1], vcc
	s_cbranch_execnz .LBB2356_70
	s_branch .LBB2356_71
.LBB2356_91:
	v_readfirstlane_b32 s2, v24
	v_readfirstlane_b32 s3, v25
	s_waitcnt lgkmcnt(3)
	s_nop 3
	global_store_dwordx2 v20, v[10:11], s[2:3]
	s_or_b64 exec, exec, s[0:1]
	v_cmp_lt_u32_e32 vcc, v30, v31
	s_and_saveexec_b64 s[0:1], vcc
	s_cbranch_execz .LBB2356_75
.LBB2356_92:
	v_lshlrev_b32_e32 v0, 3, v30
	v_readfirstlane_b32 s2, v24
	v_readfirstlane_b32 s3, v25
	s_waitcnt lgkmcnt(3)
	s_nop 3
	global_store_dwordx2 v0, v[12:13], s[2:3]
	s_or_b64 exec, exec, s[0:1]
	v_cmp_lt_u32_e32 vcc, v29, v31
	s_and_saveexec_b64 s[0:1], vcc
	s_cbranch_execz .LBB2356_76
.LBB2356_93:
	v_lshlrev_b32_e32 v0, 3, v29
	v_readfirstlane_b32 s2, v24
	v_readfirstlane_b32 s3, v25
	s_waitcnt lgkmcnt(2)
	s_nop 3
	global_store_dwordx2 v0, v[6:7], s[2:3]
	s_or_b64 exec, exec, s[0:1]
	v_cmp_lt_u32_e32 vcc, v28, v31
	s_and_saveexec_b64 s[0:1], vcc
	s_cbranch_execz .LBB2356_77
.LBB2356_94:
	v_lshlrev_b32_e32 v0, 3, v28
	v_readfirstlane_b32 s2, v24
	v_readfirstlane_b32 s3, v25
	s_waitcnt lgkmcnt(2)
	s_nop 3
	global_store_dwordx2 v0, v[8:9], s[2:3]
	s_or_b64 exec, exec, s[0:1]
	v_cmp_lt_u32_e32 vcc, v21, v31
	s_and_saveexec_b64 s[0:1], vcc
	s_cbranch_execz .LBB2356_78
.LBB2356_95:
	v_lshlrev_b32_e32 v0, 3, v21
	v_readfirstlane_b32 s2, v24
	v_readfirstlane_b32 s3, v25
	s_waitcnt lgkmcnt(1)
	s_nop 3
	global_store_dwordx2 v0, v[2:3], s[2:3]
	s_or_b64 exec, exec, s[0:1]
	v_cmp_lt_u32_e32 vcc, v17, v31
	s_and_saveexec_b64 s[0:1], vcc
	s_cbranch_execnz .LBB2356_79
	s_branch .LBB2356_80
	.section	.rodata,"a",@progbits
	.p2align	6, 0x0
	.amdhsa_kernel _ZN7rocprim17ROCPRIM_400000_NS6detail17trampoline_kernelINS0_14default_configENS1_25partition_config_selectorILNS1_17partition_subalgoE0EyNS0_10empty_typeEbEEZZNS1_14partition_implILS5_0ELb0ES3_jN6thrust23THRUST_200600_302600_NS6detail15normal_iteratorINSA_10device_ptrIyEEEEPS6_SG_NS0_5tupleIJSF_NSA_16discard_iteratorINSA_11use_defaultEEEEEENSH_IJSG_SG_EEES6_PlJ7is_evenIyEEEE10hipError_tPvRmT3_T4_T5_T6_T7_T9_mT8_P12ihipStream_tbDpT10_ENKUlT_T0_E_clISt17integral_constantIbLb0EES18_IbLb1EEEEDaS14_S15_EUlS14_E_NS1_11comp_targetILNS1_3genE5ELNS1_11target_archE942ELNS1_3gpuE9ELNS1_3repE0EEENS1_30default_config_static_selectorELNS0_4arch9wavefront6targetE1EEEvT1_
		.amdhsa_group_segment_fixed_size 28680
		.amdhsa_private_segment_fixed_size 0
		.amdhsa_kernarg_size 144
		.amdhsa_user_sgpr_count 2
		.amdhsa_user_sgpr_dispatch_ptr 0
		.amdhsa_user_sgpr_queue_ptr 0
		.amdhsa_user_sgpr_kernarg_segment_ptr 1
		.amdhsa_user_sgpr_dispatch_id 0
		.amdhsa_user_sgpr_kernarg_preload_length 0
		.amdhsa_user_sgpr_kernarg_preload_offset 0
		.amdhsa_user_sgpr_private_segment_size 0
		.amdhsa_uses_dynamic_stack 0
		.amdhsa_enable_private_segment 0
		.amdhsa_system_sgpr_workgroup_id_x 1
		.amdhsa_system_sgpr_workgroup_id_y 0
		.amdhsa_system_sgpr_workgroup_id_z 0
		.amdhsa_system_sgpr_workgroup_info 0
		.amdhsa_system_vgpr_workitem_id 0
		.amdhsa_next_free_vgpr 59
		.amdhsa_next_free_sgpr 40
		.amdhsa_accum_offset 60
		.amdhsa_reserve_vcc 1
		.amdhsa_float_round_mode_32 0
		.amdhsa_float_round_mode_16_64 0
		.amdhsa_float_denorm_mode_32 3
		.amdhsa_float_denorm_mode_16_64 3
		.amdhsa_dx10_clamp 1
		.amdhsa_ieee_mode 1
		.amdhsa_fp16_overflow 0
		.amdhsa_tg_split 0
		.amdhsa_exception_fp_ieee_invalid_op 0
		.amdhsa_exception_fp_denorm_src 0
		.amdhsa_exception_fp_ieee_div_zero 0
		.amdhsa_exception_fp_ieee_overflow 0
		.amdhsa_exception_fp_ieee_underflow 0
		.amdhsa_exception_fp_ieee_inexact 0
		.amdhsa_exception_int_div_zero 0
	.end_amdhsa_kernel
	.section	.text._ZN7rocprim17ROCPRIM_400000_NS6detail17trampoline_kernelINS0_14default_configENS1_25partition_config_selectorILNS1_17partition_subalgoE0EyNS0_10empty_typeEbEEZZNS1_14partition_implILS5_0ELb0ES3_jN6thrust23THRUST_200600_302600_NS6detail15normal_iteratorINSA_10device_ptrIyEEEEPS6_SG_NS0_5tupleIJSF_NSA_16discard_iteratorINSA_11use_defaultEEEEEENSH_IJSG_SG_EEES6_PlJ7is_evenIyEEEE10hipError_tPvRmT3_T4_T5_T6_T7_T9_mT8_P12ihipStream_tbDpT10_ENKUlT_T0_E_clISt17integral_constantIbLb0EES18_IbLb1EEEEDaS14_S15_EUlS14_E_NS1_11comp_targetILNS1_3genE5ELNS1_11target_archE942ELNS1_3gpuE9ELNS1_3repE0EEENS1_30default_config_static_selectorELNS0_4arch9wavefront6targetE1EEEvT1_,"axG",@progbits,_ZN7rocprim17ROCPRIM_400000_NS6detail17trampoline_kernelINS0_14default_configENS1_25partition_config_selectorILNS1_17partition_subalgoE0EyNS0_10empty_typeEbEEZZNS1_14partition_implILS5_0ELb0ES3_jN6thrust23THRUST_200600_302600_NS6detail15normal_iteratorINSA_10device_ptrIyEEEEPS6_SG_NS0_5tupleIJSF_NSA_16discard_iteratorINSA_11use_defaultEEEEEENSH_IJSG_SG_EEES6_PlJ7is_evenIyEEEE10hipError_tPvRmT3_T4_T5_T6_T7_T9_mT8_P12ihipStream_tbDpT10_ENKUlT_T0_E_clISt17integral_constantIbLb0EES18_IbLb1EEEEDaS14_S15_EUlS14_E_NS1_11comp_targetILNS1_3genE5ELNS1_11target_archE942ELNS1_3gpuE9ELNS1_3repE0EEENS1_30default_config_static_selectorELNS0_4arch9wavefront6targetE1EEEvT1_,comdat
.Lfunc_end2356:
	.size	_ZN7rocprim17ROCPRIM_400000_NS6detail17trampoline_kernelINS0_14default_configENS1_25partition_config_selectorILNS1_17partition_subalgoE0EyNS0_10empty_typeEbEEZZNS1_14partition_implILS5_0ELb0ES3_jN6thrust23THRUST_200600_302600_NS6detail15normal_iteratorINSA_10device_ptrIyEEEEPS6_SG_NS0_5tupleIJSF_NSA_16discard_iteratorINSA_11use_defaultEEEEEENSH_IJSG_SG_EEES6_PlJ7is_evenIyEEEE10hipError_tPvRmT3_T4_T5_T6_T7_T9_mT8_P12ihipStream_tbDpT10_ENKUlT_T0_E_clISt17integral_constantIbLb0EES18_IbLb1EEEEDaS14_S15_EUlS14_E_NS1_11comp_targetILNS1_3genE5ELNS1_11target_archE942ELNS1_3gpuE9ELNS1_3repE0EEENS1_30default_config_static_selectorELNS0_4arch9wavefront6targetE1EEEvT1_, .Lfunc_end2356-_ZN7rocprim17ROCPRIM_400000_NS6detail17trampoline_kernelINS0_14default_configENS1_25partition_config_selectorILNS1_17partition_subalgoE0EyNS0_10empty_typeEbEEZZNS1_14partition_implILS5_0ELb0ES3_jN6thrust23THRUST_200600_302600_NS6detail15normal_iteratorINSA_10device_ptrIyEEEEPS6_SG_NS0_5tupleIJSF_NSA_16discard_iteratorINSA_11use_defaultEEEEEENSH_IJSG_SG_EEES6_PlJ7is_evenIyEEEE10hipError_tPvRmT3_T4_T5_T6_T7_T9_mT8_P12ihipStream_tbDpT10_ENKUlT_T0_E_clISt17integral_constantIbLb0EES18_IbLb1EEEEDaS14_S15_EUlS14_E_NS1_11comp_targetILNS1_3genE5ELNS1_11target_archE942ELNS1_3gpuE9ELNS1_3repE0EEENS1_30default_config_static_selectorELNS0_4arch9wavefront6targetE1EEEvT1_
                                        ; -- End function
	.section	.AMDGPU.csdata,"",@progbits
; Kernel info:
; codeLenInByte = 4656
; NumSgprs: 46
; NumVgprs: 59
; NumAgprs: 0
; TotalNumVgprs: 59
; ScratchSize: 0
; MemoryBound: 0
; FloatMode: 240
; IeeeMode: 1
; LDSByteSize: 28680 bytes/workgroup (compile time only)
; SGPRBlocks: 5
; VGPRBlocks: 7
; NumSGPRsForWavesPerEU: 46
; NumVGPRsForWavesPerEU: 59
; AccumOffset: 60
; Occupancy: 4
; WaveLimiterHint : 1
; COMPUTE_PGM_RSRC2:SCRATCH_EN: 0
; COMPUTE_PGM_RSRC2:USER_SGPR: 2
; COMPUTE_PGM_RSRC2:TRAP_HANDLER: 0
; COMPUTE_PGM_RSRC2:TGID_X_EN: 1
; COMPUTE_PGM_RSRC2:TGID_Y_EN: 0
; COMPUTE_PGM_RSRC2:TGID_Z_EN: 0
; COMPUTE_PGM_RSRC2:TIDIG_COMP_CNT: 0
; COMPUTE_PGM_RSRC3_GFX90A:ACCUM_OFFSET: 14
; COMPUTE_PGM_RSRC3_GFX90A:TG_SPLIT: 0
	.section	.text._ZN7rocprim17ROCPRIM_400000_NS6detail17trampoline_kernelINS0_14default_configENS1_25partition_config_selectorILNS1_17partition_subalgoE0EyNS0_10empty_typeEbEEZZNS1_14partition_implILS5_0ELb0ES3_jN6thrust23THRUST_200600_302600_NS6detail15normal_iteratorINSA_10device_ptrIyEEEEPS6_SG_NS0_5tupleIJSF_NSA_16discard_iteratorINSA_11use_defaultEEEEEENSH_IJSG_SG_EEES6_PlJ7is_evenIyEEEE10hipError_tPvRmT3_T4_T5_T6_T7_T9_mT8_P12ihipStream_tbDpT10_ENKUlT_T0_E_clISt17integral_constantIbLb0EES18_IbLb1EEEEDaS14_S15_EUlS14_E_NS1_11comp_targetILNS1_3genE4ELNS1_11target_archE910ELNS1_3gpuE8ELNS1_3repE0EEENS1_30default_config_static_selectorELNS0_4arch9wavefront6targetE1EEEvT1_,"axG",@progbits,_ZN7rocprim17ROCPRIM_400000_NS6detail17trampoline_kernelINS0_14default_configENS1_25partition_config_selectorILNS1_17partition_subalgoE0EyNS0_10empty_typeEbEEZZNS1_14partition_implILS5_0ELb0ES3_jN6thrust23THRUST_200600_302600_NS6detail15normal_iteratorINSA_10device_ptrIyEEEEPS6_SG_NS0_5tupleIJSF_NSA_16discard_iteratorINSA_11use_defaultEEEEEENSH_IJSG_SG_EEES6_PlJ7is_evenIyEEEE10hipError_tPvRmT3_T4_T5_T6_T7_T9_mT8_P12ihipStream_tbDpT10_ENKUlT_T0_E_clISt17integral_constantIbLb0EES18_IbLb1EEEEDaS14_S15_EUlS14_E_NS1_11comp_targetILNS1_3genE4ELNS1_11target_archE910ELNS1_3gpuE8ELNS1_3repE0EEENS1_30default_config_static_selectorELNS0_4arch9wavefront6targetE1EEEvT1_,comdat
	.protected	_ZN7rocprim17ROCPRIM_400000_NS6detail17trampoline_kernelINS0_14default_configENS1_25partition_config_selectorILNS1_17partition_subalgoE0EyNS0_10empty_typeEbEEZZNS1_14partition_implILS5_0ELb0ES3_jN6thrust23THRUST_200600_302600_NS6detail15normal_iteratorINSA_10device_ptrIyEEEEPS6_SG_NS0_5tupleIJSF_NSA_16discard_iteratorINSA_11use_defaultEEEEEENSH_IJSG_SG_EEES6_PlJ7is_evenIyEEEE10hipError_tPvRmT3_T4_T5_T6_T7_T9_mT8_P12ihipStream_tbDpT10_ENKUlT_T0_E_clISt17integral_constantIbLb0EES18_IbLb1EEEEDaS14_S15_EUlS14_E_NS1_11comp_targetILNS1_3genE4ELNS1_11target_archE910ELNS1_3gpuE8ELNS1_3repE0EEENS1_30default_config_static_selectorELNS0_4arch9wavefront6targetE1EEEvT1_ ; -- Begin function _ZN7rocprim17ROCPRIM_400000_NS6detail17trampoline_kernelINS0_14default_configENS1_25partition_config_selectorILNS1_17partition_subalgoE0EyNS0_10empty_typeEbEEZZNS1_14partition_implILS5_0ELb0ES3_jN6thrust23THRUST_200600_302600_NS6detail15normal_iteratorINSA_10device_ptrIyEEEEPS6_SG_NS0_5tupleIJSF_NSA_16discard_iteratorINSA_11use_defaultEEEEEENSH_IJSG_SG_EEES6_PlJ7is_evenIyEEEE10hipError_tPvRmT3_T4_T5_T6_T7_T9_mT8_P12ihipStream_tbDpT10_ENKUlT_T0_E_clISt17integral_constantIbLb0EES18_IbLb1EEEEDaS14_S15_EUlS14_E_NS1_11comp_targetILNS1_3genE4ELNS1_11target_archE910ELNS1_3gpuE8ELNS1_3repE0EEENS1_30default_config_static_selectorELNS0_4arch9wavefront6targetE1EEEvT1_
	.globl	_ZN7rocprim17ROCPRIM_400000_NS6detail17trampoline_kernelINS0_14default_configENS1_25partition_config_selectorILNS1_17partition_subalgoE0EyNS0_10empty_typeEbEEZZNS1_14partition_implILS5_0ELb0ES3_jN6thrust23THRUST_200600_302600_NS6detail15normal_iteratorINSA_10device_ptrIyEEEEPS6_SG_NS0_5tupleIJSF_NSA_16discard_iteratorINSA_11use_defaultEEEEEENSH_IJSG_SG_EEES6_PlJ7is_evenIyEEEE10hipError_tPvRmT3_T4_T5_T6_T7_T9_mT8_P12ihipStream_tbDpT10_ENKUlT_T0_E_clISt17integral_constantIbLb0EES18_IbLb1EEEEDaS14_S15_EUlS14_E_NS1_11comp_targetILNS1_3genE4ELNS1_11target_archE910ELNS1_3gpuE8ELNS1_3repE0EEENS1_30default_config_static_selectorELNS0_4arch9wavefront6targetE1EEEvT1_
	.p2align	8
	.type	_ZN7rocprim17ROCPRIM_400000_NS6detail17trampoline_kernelINS0_14default_configENS1_25partition_config_selectorILNS1_17partition_subalgoE0EyNS0_10empty_typeEbEEZZNS1_14partition_implILS5_0ELb0ES3_jN6thrust23THRUST_200600_302600_NS6detail15normal_iteratorINSA_10device_ptrIyEEEEPS6_SG_NS0_5tupleIJSF_NSA_16discard_iteratorINSA_11use_defaultEEEEEENSH_IJSG_SG_EEES6_PlJ7is_evenIyEEEE10hipError_tPvRmT3_T4_T5_T6_T7_T9_mT8_P12ihipStream_tbDpT10_ENKUlT_T0_E_clISt17integral_constantIbLb0EES18_IbLb1EEEEDaS14_S15_EUlS14_E_NS1_11comp_targetILNS1_3genE4ELNS1_11target_archE910ELNS1_3gpuE8ELNS1_3repE0EEENS1_30default_config_static_selectorELNS0_4arch9wavefront6targetE1EEEvT1_,@function
_ZN7rocprim17ROCPRIM_400000_NS6detail17trampoline_kernelINS0_14default_configENS1_25partition_config_selectorILNS1_17partition_subalgoE0EyNS0_10empty_typeEbEEZZNS1_14partition_implILS5_0ELb0ES3_jN6thrust23THRUST_200600_302600_NS6detail15normal_iteratorINSA_10device_ptrIyEEEEPS6_SG_NS0_5tupleIJSF_NSA_16discard_iteratorINSA_11use_defaultEEEEEENSH_IJSG_SG_EEES6_PlJ7is_evenIyEEEE10hipError_tPvRmT3_T4_T5_T6_T7_T9_mT8_P12ihipStream_tbDpT10_ENKUlT_T0_E_clISt17integral_constantIbLb0EES18_IbLb1EEEEDaS14_S15_EUlS14_E_NS1_11comp_targetILNS1_3genE4ELNS1_11target_archE910ELNS1_3gpuE8ELNS1_3repE0EEENS1_30default_config_static_selectorELNS0_4arch9wavefront6targetE1EEEvT1_: ; @_ZN7rocprim17ROCPRIM_400000_NS6detail17trampoline_kernelINS0_14default_configENS1_25partition_config_selectorILNS1_17partition_subalgoE0EyNS0_10empty_typeEbEEZZNS1_14partition_implILS5_0ELb0ES3_jN6thrust23THRUST_200600_302600_NS6detail15normal_iteratorINSA_10device_ptrIyEEEEPS6_SG_NS0_5tupleIJSF_NSA_16discard_iteratorINSA_11use_defaultEEEEEENSH_IJSG_SG_EEES6_PlJ7is_evenIyEEEE10hipError_tPvRmT3_T4_T5_T6_T7_T9_mT8_P12ihipStream_tbDpT10_ENKUlT_T0_E_clISt17integral_constantIbLb0EES18_IbLb1EEEEDaS14_S15_EUlS14_E_NS1_11comp_targetILNS1_3genE4ELNS1_11target_archE910ELNS1_3gpuE8ELNS1_3repE0EEENS1_30default_config_static_selectorELNS0_4arch9wavefront6targetE1EEEvT1_
; %bb.0:
	.section	.rodata,"a",@progbits
	.p2align	6, 0x0
	.amdhsa_kernel _ZN7rocprim17ROCPRIM_400000_NS6detail17trampoline_kernelINS0_14default_configENS1_25partition_config_selectorILNS1_17partition_subalgoE0EyNS0_10empty_typeEbEEZZNS1_14partition_implILS5_0ELb0ES3_jN6thrust23THRUST_200600_302600_NS6detail15normal_iteratorINSA_10device_ptrIyEEEEPS6_SG_NS0_5tupleIJSF_NSA_16discard_iteratorINSA_11use_defaultEEEEEENSH_IJSG_SG_EEES6_PlJ7is_evenIyEEEE10hipError_tPvRmT3_T4_T5_T6_T7_T9_mT8_P12ihipStream_tbDpT10_ENKUlT_T0_E_clISt17integral_constantIbLb0EES18_IbLb1EEEEDaS14_S15_EUlS14_E_NS1_11comp_targetILNS1_3genE4ELNS1_11target_archE910ELNS1_3gpuE8ELNS1_3repE0EEENS1_30default_config_static_selectorELNS0_4arch9wavefront6targetE1EEEvT1_
		.amdhsa_group_segment_fixed_size 0
		.amdhsa_private_segment_fixed_size 0
		.amdhsa_kernarg_size 144
		.amdhsa_user_sgpr_count 2
		.amdhsa_user_sgpr_dispatch_ptr 0
		.amdhsa_user_sgpr_queue_ptr 0
		.amdhsa_user_sgpr_kernarg_segment_ptr 1
		.amdhsa_user_sgpr_dispatch_id 0
		.amdhsa_user_sgpr_kernarg_preload_length 0
		.amdhsa_user_sgpr_kernarg_preload_offset 0
		.amdhsa_user_sgpr_private_segment_size 0
		.amdhsa_uses_dynamic_stack 0
		.amdhsa_enable_private_segment 0
		.amdhsa_system_sgpr_workgroup_id_x 1
		.amdhsa_system_sgpr_workgroup_id_y 0
		.amdhsa_system_sgpr_workgroup_id_z 0
		.amdhsa_system_sgpr_workgroup_info 0
		.amdhsa_system_vgpr_workitem_id 0
		.amdhsa_next_free_vgpr 1
		.amdhsa_next_free_sgpr 0
		.amdhsa_accum_offset 4
		.amdhsa_reserve_vcc 0
		.amdhsa_float_round_mode_32 0
		.amdhsa_float_round_mode_16_64 0
		.amdhsa_float_denorm_mode_32 3
		.amdhsa_float_denorm_mode_16_64 3
		.amdhsa_dx10_clamp 1
		.amdhsa_ieee_mode 1
		.amdhsa_fp16_overflow 0
		.amdhsa_tg_split 0
		.amdhsa_exception_fp_ieee_invalid_op 0
		.amdhsa_exception_fp_denorm_src 0
		.amdhsa_exception_fp_ieee_div_zero 0
		.amdhsa_exception_fp_ieee_overflow 0
		.amdhsa_exception_fp_ieee_underflow 0
		.amdhsa_exception_fp_ieee_inexact 0
		.amdhsa_exception_int_div_zero 0
	.end_amdhsa_kernel
	.section	.text._ZN7rocprim17ROCPRIM_400000_NS6detail17trampoline_kernelINS0_14default_configENS1_25partition_config_selectorILNS1_17partition_subalgoE0EyNS0_10empty_typeEbEEZZNS1_14partition_implILS5_0ELb0ES3_jN6thrust23THRUST_200600_302600_NS6detail15normal_iteratorINSA_10device_ptrIyEEEEPS6_SG_NS0_5tupleIJSF_NSA_16discard_iteratorINSA_11use_defaultEEEEEENSH_IJSG_SG_EEES6_PlJ7is_evenIyEEEE10hipError_tPvRmT3_T4_T5_T6_T7_T9_mT8_P12ihipStream_tbDpT10_ENKUlT_T0_E_clISt17integral_constantIbLb0EES18_IbLb1EEEEDaS14_S15_EUlS14_E_NS1_11comp_targetILNS1_3genE4ELNS1_11target_archE910ELNS1_3gpuE8ELNS1_3repE0EEENS1_30default_config_static_selectorELNS0_4arch9wavefront6targetE1EEEvT1_,"axG",@progbits,_ZN7rocprim17ROCPRIM_400000_NS6detail17trampoline_kernelINS0_14default_configENS1_25partition_config_selectorILNS1_17partition_subalgoE0EyNS0_10empty_typeEbEEZZNS1_14partition_implILS5_0ELb0ES3_jN6thrust23THRUST_200600_302600_NS6detail15normal_iteratorINSA_10device_ptrIyEEEEPS6_SG_NS0_5tupleIJSF_NSA_16discard_iteratorINSA_11use_defaultEEEEEENSH_IJSG_SG_EEES6_PlJ7is_evenIyEEEE10hipError_tPvRmT3_T4_T5_T6_T7_T9_mT8_P12ihipStream_tbDpT10_ENKUlT_T0_E_clISt17integral_constantIbLb0EES18_IbLb1EEEEDaS14_S15_EUlS14_E_NS1_11comp_targetILNS1_3genE4ELNS1_11target_archE910ELNS1_3gpuE8ELNS1_3repE0EEENS1_30default_config_static_selectorELNS0_4arch9wavefront6targetE1EEEvT1_,comdat
.Lfunc_end2357:
	.size	_ZN7rocprim17ROCPRIM_400000_NS6detail17trampoline_kernelINS0_14default_configENS1_25partition_config_selectorILNS1_17partition_subalgoE0EyNS0_10empty_typeEbEEZZNS1_14partition_implILS5_0ELb0ES3_jN6thrust23THRUST_200600_302600_NS6detail15normal_iteratorINSA_10device_ptrIyEEEEPS6_SG_NS0_5tupleIJSF_NSA_16discard_iteratorINSA_11use_defaultEEEEEENSH_IJSG_SG_EEES6_PlJ7is_evenIyEEEE10hipError_tPvRmT3_T4_T5_T6_T7_T9_mT8_P12ihipStream_tbDpT10_ENKUlT_T0_E_clISt17integral_constantIbLb0EES18_IbLb1EEEEDaS14_S15_EUlS14_E_NS1_11comp_targetILNS1_3genE4ELNS1_11target_archE910ELNS1_3gpuE8ELNS1_3repE0EEENS1_30default_config_static_selectorELNS0_4arch9wavefront6targetE1EEEvT1_, .Lfunc_end2357-_ZN7rocprim17ROCPRIM_400000_NS6detail17trampoline_kernelINS0_14default_configENS1_25partition_config_selectorILNS1_17partition_subalgoE0EyNS0_10empty_typeEbEEZZNS1_14partition_implILS5_0ELb0ES3_jN6thrust23THRUST_200600_302600_NS6detail15normal_iteratorINSA_10device_ptrIyEEEEPS6_SG_NS0_5tupleIJSF_NSA_16discard_iteratorINSA_11use_defaultEEEEEENSH_IJSG_SG_EEES6_PlJ7is_evenIyEEEE10hipError_tPvRmT3_T4_T5_T6_T7_T9_mT8_P12ihipStream_tbDpT10_ENKUlT_T0_E_clISt17integral_constantIbLb0EES18_IbLb1EEEEDaS14_S15_EUlS14_E_NS1_11comp_targetILNS1_3genE4ELNS1_11target_archE910ELNS1_3gpuE8ELNS1_3repE0EEENS1_30default_config_static_selectorELNS0_4arch9wavefront6targetE1EEEvT1_
                                        ; -- End function
	.section	.AMDGPU.csdata,"",@progbits
; Kernel info:
; codeLenInByte = 0
; NumSgprs: 6
; NumVgprs: 0
; NumAgprs: 0
; TotalNumVgprs: 0
; ScratchSize: 0
; MemoryBound: 0
; FloatMode: 240
; IeeeMode: 1
; LDSByteSize: 0 bytes/workgroup (compile time only)
; SGPRBlocks: 0
; VGPRBlocks: 0
; NumSGPRsForWavesPerEU: 6
; NumVGPRsForWavesPerEU: 1
; AccumOffset: 4
; Occupancy: 8
; WaveLimiterHint : 0
; COMPUTE_PGM_RSRC2:SCRATCH_EN: 0
; COMPUTE_PGM_RSRC2:USER_SGPR: 2
; COMPUTE_PGM_RSRC2:TRAP_HANDLER: 0
; COMPUTE_PGM_RSRC2:TGID_X_EN: 1
; COMPUTE_PGM_RSRC2:TGID_Y_EN: 0
; COMPUTE_PGM_RSRC2:TGID_Z_EN: 0
; COMPUTE_PGM_RSRC2:TIDIG_COMP_CNT: 0
; COMPUTE_PGM_RSRC3_GFX90A:ACCUM_OFFSET: 0
; COMPUTE_PGM_RSRC3_GFX90A:TG_SPLIT: 0
	.section	.text._ZN7rocprim17ROCPRIM_400000_NS6detail17trampoline_kernelINS0_14default_configENS1_25partition_config_selectorILNS1_17partition_subalgoE0EyNS0_10empty_typeEbEEZZNS1_14partition_implILS5_0ELb0ES3_jN6thrust23THRUST_200600_302600_NS6detail15normal_iteratorINSA_10device_ptrIyEEEEPS6_SG_NS0_5tupleIJSF_NSA_16discard_iteratorINSA_11use_defaultEEEEEENSH_IJSG_SG_EEES6_PlJ7is_evenIyEEEE10hipError_tPvRmT3_T4_T5_T6_T7_T9_mT8_P12ihipStream_tbDpT10_ENKUlT_T0_E_clISt17integral_constantIbLb0EES18_IbLb1EEEEDaS14_S15_EUlS14_E_NS1_11comp_targetILNS1_3genE3ELNS1_11target_archE908ELNS1_3gpuE7ELNS1_3repE0EEENS1_30default_config_static_selectorELNS0_4arch9wavefront6targetE1EEEvT1_,"axG",@progbits,_ZN7rocprim17ROCPRIM_400000_NS6detail17trampoline_kernelINS0_14default_configENS1_25partition_config_selectorILNS1_17partition_subalgoE0EyNS0_10empty_typeEbEEZZNS1_14partition_implILS5_0ELb0ES3_jN6thrust23THRUST_200600_302600_NS6detail15normal_iteratorINSA_10device_ptrIyEEEEPS6_SG_NS0_5tupleIJSF_NSA_16discard_iteratorINSA_11use_defaultEEEEEENSH_IJSG_SG_EEES6_PlJ7is_evenIyEEEE10hipError_tPvRmT3_T4_T5_T6_T7_T9_mT8_P12ihipStream_tbDpT10_ENKUlT_T0_E_clISt17integral_constantIbLb0EES18_IbLb1EEEEDaS14_S15_EUlS14_E_NS1_11comp_targetILNS1_3genE3ELNS1_11target_archE908ELNS1_3gpuE7ELNS1_3repE0EEENS1_30default_config_static_selectorELNS0_4arch9wavefront6targetE1EEEvT1_,comdat
	.protected	_ZN7rocprim17ROCPRIM_400000_NS6detail17trampoline_kernelINS0_14default_configENS1_25partition_config_selectorILNS1_17partition_subalgoE0EyNS0_10empty_typeEbEEZZNS1_14partition_implILS5_0ELb0ES3_jN6thrust23THRUST_200600_302600_NS6detail15normal_iteratorINSA_10device_ptrIyEEEEPS6_SG_NS0_5tupleIJSF_NSA_16discard_iteratorINSA_11use_defaultEEEEEENSH_IJSG_SG_EEES6_PlJ7is_evenIyEEEE10hipError_tPvRmT3_T4_T5_T6_T7_T9_mT8_P12ihipStream_tbDpT10_ENKUlT_T0_E_clISt17integral_constantIbLb0EES18_IbLb1EEEEDaS14_S15_EUlS14_E_NS1_11comp_targetILNS1_3genE3ELNS1_11target_archE908ELNS1_3gpuE7ELNS1_3repE0EEENS1_30default_config_static_selectorELNS0_4arch9wavefront6targetE1EEEvT1_ ; -- Begin function _ZN7rocprim17ROCPRIM_400000_NS6detail17trampoline_kernelINS0_14default_configENS1_25partition_config_selectorILNS1_17partition_subalgoE0EyNS0_10empty_typeEbEEZZNS1_14partition_implILS5_0ELb0ES3_jN6thrust23THRUST_200600_302600_NS6detail15normal_iteratorINSA_10device_ptrIyEEEEPS6_SG_NS0_5tupleIJSF_NSA_16discard_iteratorINSA_11use_defaultEEEEEENSH_IJSG_SG_EEES6_PlJ7is_evenIyEEEE10hipError_tPvRmT3_T4_T5_T6_T7_T9_mT8_P12ihipStream_tbDpT10_ENKUlT_T0_E_clISt17integral_constantIbLb0EES18_IbLb1EEEEDaS14_S15_EUlS14_E_NS1_11comp_targetILNS1_3genE3ELNS1_11target_archE908ELNS1_3gpuE7ELNS1_3repE0EEENS1_30default_config_static_selectorELNS0_4arch9wavefront6targetE1EEEvT1_
	.globl	_ZN7rocprim17ROCPRIM_400000_NS6detail17trampoline_kernelINS0_14default_configENS1_25partition_config_selectorILNS1_17partition_subalgoE0EyNS0_10empty_typeEbEEZZNS1_14partition_implILS5_0ELb0ES3_jN6thrust23THRUST_200600_302600_NS6detail15normal_iteratorINSA_10device_ptrIyEEEEPS6_SG_NS0_5tupleIJSF_NSA_16discard_iteratorINSA_11use_defaultEEEEEENSH_IJSG_SG_EEES6_PlJ7is_evenIyEEEE10hipError_tPvRmT3_T4_T5_T6_T7_T9_mT8_P12ihipStream_tbDpT10_ENKUlT_T0_E_clISt17integral_constantIbLb0EES18_IbLb1EEEEDaS14_S15_EUlS14_E_NS1_11comp_targetILNS1_3genE3ELNS1_11target_archE908ELNS1_3gpuE7ELNS1_3repE0EEENS1_30default_config_static_selectorELNS0_4arch9wavefront6targetE1EEEvT1_
	.p2align	8
	.type	_ZN7rocprim17ROCPRIM_400000_NS6detail17trampoline_kernelINS0_14default_configENS1_25partition_config_selectorILNS1_17partition_subalgoE0EyNS0_10empty_typeEbEEZZNS1_14partition_implILS5_0ELb0ES3_jN6thrust23THRUST_200600_302600_NS6detail15normal_iteratorINSA_10device_ptrIyEEEEPS6_SG_NS0_5tupleIJSF_NSA_16discard_iteratorINSA_11use_defaultEEEEEENSH_IJSG_SG_EEES6_PlJ7is_evenIyEEEE10hipError_tPvRmT3_T4_T5_T6_T7_T9_mT8_P12ihipStream_tbDpT10_ENKUlT_T0_E_clISt17integral_constantIbLb0EES18_IbLb1EEEEDaS14_S15_EUlS14_E_NS1_11comp_targetILNS1_3genE3ELNS1_11target_archE908ELNS1_3gpuE7ELNS1_3repE0EEENS1_30default_config_static_selectorELNS0_4arch9wavefront6targetE1EEEvT1_,@function
_ZN7rocprim17ROCPRIM_400000_NS6detail17trampoline_kernelINS0_14default_configENS1_25partition_config_selectorILNS1_17partition_subalgoE0EyNS0_10empty_typeEbEEZZNS1_14partition_implILS5_0ELb0ES3_jN6thrust23THRUST_200600_302600_NS6detail15normal_iteratorINSA_10device_ptrIyEEEEPS6_SG_NS0_5tupleIJSF_NSA_16discard_iteratorINSA_11use_defaultEEEEEENSH_IJSG_SG_EEES6_PlJ7is_evenIyEEEE10hipError_tPvRmT3_T4_T5_T6_T7_T9_mT8_P12ihipStream_tbDpT10_ENKUlT_T0_E_clISt17integral_constantIbLb0EES18_IbLb1EEEEDaS14_S15_EUlS14_E_NS1_11comp_targetILNS1_3genE3ELNS1_11target_archE908ELNS1_3gpuE7ELNS1_3repE0EEENS1_30default_config_static_selectorELNS0_4arch9wavefront6targetE1EEEvT1_: ; @_ZN7rocprim17ROCPRIM_400000_NS6detail17trampoline_kernelINS0_14default_configENS1_25partition_config_selectorILNS1_17partition_subalgoE0EyNS0_10empty_typeEbEEZZNS1_14partition_implILS5_0ELb0ES3_jN6thrust23THRUST_200600_302600_NS6detail15normal_iteratorINSA_10device_ptrIyEEEEPS6_SG_NS0_5tupleIJSF_NSA_16discard_iteratorINSA_11use_defaultEEEEEENSH_IJSG_SG_EEES6_PlJ7is_evenIyEEEE10hipError_tPvRmT3_T4_T5_T6_T7_T9_mT8_P12ihipStream_tbDpT10_ENKUlT_T0_E_clISt17integral_constantIbLb0EES18_IbLb1EEEEDaS14_S15_EUlS14_E_NS1_11comp_targetILNS1_3genE3ELNS1_11target_archE908ELNS1_3gpuE7ELNS1_3repE0EEENS1_30default_config_static_selectorELNS0_4arch9wavefront6targetE1EEEvT1_
; %bb.0:
	.section	.rodata,"a",@progbits
	.p2align	6, 0x0
	.amdhsa_kernel _ZN7rocprim17ROCPRIM_400000_NS6detail17trampoline_kernelINS0_14default_configENS1_25partition_config_selectorILNS1_17partition_subalgoE0EyNS0_10empty_typeEbEEZZNS1_14partition_implILS5_0ELb0ES3_jN6thrust23THRUST_200600_302600_NS6detail15normal_iteratorINSA_10device_ptrIyEEEEPS6_SG_NS0_5tupleIJSF_NSA_16discard_iteratorINSA_11use_defaultEEEEEENSH_IJSG_SG_EEES6_PlJ7is_evenIyEEEE10hipError_tPvRmT3_T4_T5_T6_T7_T9_mT8_P12ihipStream_tbDpT10_ENKUlT_T0_E_clISt17integral_constantIbLb0EES18_IbLb1EEEEDaS14_S15_EUlS14_E_NS1_11comp_targetILNS1_3genE3ELNS1_11target_archE908ELNS1_3gpuE7ELNS1_3repE0EEENS1_30default_config_static_selectorELNS0_4arch9wavefront6targetE1EEEvT1_
		.amdhsa_group_segment_fixed_size 0
		.amdhsa_private_segment_fixed_size 0
		.amdhsa_kernarg_size 144
		.amdhsa_user_sgpr_count 2
		.amdhsa_user_sgpr_dispatch_ptr 0
		.amdhsa_user_sgpr_queue_ptr 0
		.amdhsa_user_sgpr_kernarg_segment_ptr 1
		.amdhsa_user_sgpr_dispatch_id 0
		.amdhsa_user_sgpr_kernarg_preload_length 0
		.amdhsa_user_sgpr_kernarg_preload_offset 0
		.amdhsa_user_sgpr_private_segment_size 0
		.amdhsa_uses_dynamic_stack 0
		.amdhsa_enable_private_segment 0
		.amdhsa_system_sgpr_workgroup_id_x 1
		.amdhsa_system_sgpr_workgroup_id_y 0
		.amdhsa_system_sgpr_workgroup_id_z 0
		.amdhsa_system_sgpr_workgroup_info 0
		.amdhsa_system_vgpr_workitem_id 0
		.amdhsa_next_free_vgpr 1
		.amdhsa_next_free_sgpr 0
		.amdhsa_accum_offset 4
		.amdhsa_reserve_vcc 0
		.amdhsa_float_round_mode_32 0
		.amdhsa_float_round_mode_16_64 0
		.amdhsa_float_denorm_mode_32 3
		.amdhsa_float_denorm_mode_16_64 3
		.amdhsa_dx10_clamp 1
		.amdhsa_ieee_mode 1
		.amdhsa_fp16_overflow 0
		.amdhsa_tg_split 0
		.amdhsa_exception_fp_ieee_invalid_op 0
		.amdhsa_exception_fp_denorm_src 0
		.amdhsa_exception_fp_ieee_div_zero 0
		.amdhsa_exception_fp_ieee_overflow 0
		.amdhsa_exception_fp_ieee_underflow 0
		.amdhsa_exception_fp_ieee_inexact 0
		.amdhsa_exception_int_div_zero 0
	.end_amdhsa_kernel
	.section	.text._ZN7rocprim17ROCPRIM_400000_NS6detail17trampoline_kernelINS0_14default_configENS1_25partition_config_selectorILNS1_17partition_subalgoE0EyNS0_10empty_typeEbEEZZNS1_14partition_implILS5_0ELb0ES3_jN6thrust23THRUST_200600_302600_NS6detail15normal_iteratorINSA_10device_ptrIyEEEEPS6_SG_NS0_5tupleIJSF_NSA_16discard_iteratorINSA_11use_defaultEEEEEENSH_IJSG_SG_EEES6_PlJ7is_evenIyEEEE10hipError_tPvRmT3_T4_T5_T6_T7_T9_mT8_P12ihipStream_tbDpT10_ENKUlT_T0_E_clISt17integral_constantIbLb0EES18_IbLb1EEEEDaS14_S15_EUlS14_E_NS1_11comp_targetILNS1_3genE3ELNS1_11target_archE908ELNS1_3gpuE7ELNS1_3repE0EEENS1_30default_config_static_selectorELNS0_4arch9wavefront6targetE1EEEvT1_,"axG",@progbits,_ZN7rocprim17ROCPRIM_400000_NS6detail17trampoline_kernelINS0_14default_configENS1_25partition_config_selectorILNS1_17partition_subalgoE0EyNS0_10empty_typeEbEEZZNS1_14partition_implILS5_0ELb0ES3_jN6thrust23THRUST_200600_302600_NS6detail15normal_iteratorINSA_10device_ptrIyEEEEPS6_SG_NS0_5tupleIJSF_NSA_16discard_iteratorINSA_11use_defaultEEEEEENSH_IJSG_SG_EEES6_PlJ7is_evenIyEEEE10hipError_tPvRmT3_T4_T5_T6_T7_T9_mT8_P12ihipStream_tbDpT10_ENKUlT_T0_E_clISt17integral_constantIbLb0EES18_IbLb1EEEEDaS14_S15_EUlS14_E_NS1_11comp_targetILNS1_3genE3ELNS1_11target_archE908ELNS1_3gpuE7ELNS1_3repE0EEENS1_30default_config_static_selectorELNS0_4arch9wavefront6targetE1EEEvT1_,comdat
.Lfunc_end2358:
	.size	_ZN7rocprim17ROCPRIM_400000_NS6detail17trampoline_kernelINS0_14default_configENS1_25partition_config_selectorILNS1_17partition_subalgoE0EyNS0_10empty_typeEbEEZZNS1_14partition_implILS5_0ELb0ES3_jN6thrust23THRUST_200600_302600_NS6detail15normal_iteratorINSA_10device_ptrIyEEEEPS6_SG_NS0_5tupleIJSF_NSA_16discard_iteratorINSA_11use_defaultEEEEEENSH_IJSG_SG_EEES6_PlJ7is_evenIyEEEE10hipError_tPvRmT3_T4_T5_T6_T7_T9_mT8_P12ihipStream_tbDpT10_ENKUlT_T0_E_clISt17integral_constantIbLb0EES18_IbLb1EEEEDaS14_S15_EUlS14_E_NS1_11comp_targetILNS1_3genE3ELNS1_11target_archE908ELNS1_3gpuE7ELNS1_3repE0EEENS1_30default_config_static_selectorELNS0_4arch9wavefront6targetE1EEEvT1_, .Lfunc_end2358-_ZN7rocprim17ROCPRIM_400000_NS6detail17trampoline_kernelINS0_14default_configENS1_25partition_config_selectorILNS1_17partition_subalgoE0EyNS0_10empty_typeEbEEZZNS1_14partition_implILS5_0ELb0ES3_jN6thrust23THRUST_200600_302600_NS6detail15normal_iteratorINSA_10device_ptrIyEEEEPS6_SG_NS0_5tupleIJSF_NSA_16discard_iteratorINSA_11use_defaultEEEEEENSH_IJSG_SG_EEES6_PlJ7is_evenIyEEEE10hipError_tPvRmT3_T4_T5_T6_T7_T9_mT8_P12ihipStream_tbDpT10_ENKUlT_T0_E_clISt17integral_constantIbLb0EES18_IbLb1EEEEDaS14_S15_EUlS14_E_NS1_11comp_targetILNS1_3genE3ELNS1_11target_archE908ELNS1_3gpuE7ELNS1_3repE0EEENS1_30default_config_static_selectorELNS0_4arch9wavefront6targetE1EEEvT1_
                                        ; -- End function
	.section	.AMDGPU.csdata,"",@progbits
; Kernel info:
; codeLenInByte = 0
; NumSgprs: 6
; NumVgprs: 0
; NumAgprs: 0
; TotalNumVgprs: 0
; ScratchSize: 0
; MemoryBound: 0
; FloatMode: 240
; IeeeMode: 1
; LDSByteSize: 0 bytes/workgroup (compile time only)
; SGPRBlocks: 0
; VGPRBlocks: 0
; NumSGPRsForWavesPerEU: 6
; NumVGPRsForWavesPerEU: 1
; AccumOffset: 4
; Occupancy: 8
; WaveLimiterHint : 0
; COMPUTE_PGM_RSRC2:SCRATCH_EN: 0
; COMPUTE_PGM_RSRC2:USER_SGPR: 2
; COMPUTE_PGM_RSRC2:TRAP_HANDLER: 0
; COMPUTE_PGM_RSRC2:TGID_X_EN: 1
; COMPUTE_PGM_RSRC2:TGID_Y_EN: 0
; COMPUTE_PGM_RSRC2:TGID_Z_EN: 0
; COMPUTE_PGM_RSRC2:TIDIG_COMP_CNT: 0
; COMPUTE_PGM_RSRC3_GFX90A:ACCUM_OFFSET: 0
; COMPUTE_PGM_RSRC3_GFX90A:TG_SPLIT: 0
	.section	.text._ZN7rocprim17ROCPRIM_400000_NS6detail17trampoline_kernelINS0_14default_configENS1_25partition_config_selectorILNS1_17partition_subalgoE0EyNS0_10empty_typeEbEEZZNS1_14partition_implILS5_0ELb0ES3_jN6thrust23THRUST_200600_302600_NS6detail15normal_iteratorINSA_10device_ptrIyEEEEPS6_SG_NS0_5tupleIJSF_NSA_16discard_iteratorINSA_11use_defaultEEEEEENSH_IJSG_SG_EEES6_PlJ7is_evenIyEEEE10hipError_tPvRmT3_T4_T5_T6_T7_T9_mT8_P12ihipStream_tbDpT10_ENKUlT_T0_E_clISt17integral_constantIbLb0EES18_IbLb1EEEEDaS14_S15_EUlS14_E_NS1_11comp_targetILNS1_3genE2ELNS1_11target_archE906ELNS1_3gpuE6ELNS1_3repE0EEENS1_30default_config_static_selectorELNS0_4arch9wavefront6targetE1EEEvT1_,"axG",@progbits,_ZN7rocprim17ROCPRIM_400000_NS6detail17trampoline_kernelINS0_14default_configENS1_25partition_config_selectorILNS1_17partition_subalgoE0EyNS0_10empty_typeEbEEZZNS1_14partition_implILS5_0ELb0ES3_jN6thrust23THRUST_200600_302600_NS6detail15normal_iteratorINSA_10device_ptrIyEEEEPS6_SG_NS0_5tupleIJSF_NSA_16discard_iteratorINSA_11use_defaultEEEEEENSH_IJSG_SG_EEES6_PlJ7is_evenIyEEEE10hipError_tPvRmT3_T4_T5_T6_T7_T9_mT8_P12ihipStream_tbDpT10_ENKUlT_T0_E_clISt17integral_constantIbLb0EES18_IbLb1EEEEDaS14_S15_EUlS14_E_NS1_11comp_targetILNS1_3genE2ELNS1_11target_archE906ELNS1_3gpuE6ELNS1_3repE0EEENS1_30default_config_static_selectorELNS0_4arch9wavefront6targetE1EEEvT1_,comdat
	.protected	_ZN7rocprim17ROCPRIM_400000_NS6detail17trampoline_kernelINS0_14default_configENS1_25partition_config_selectorILNS1_17partition_subalgoE0EyNS0_10empty_typeEbEEZZNS1_14partition_implILS5_0ELb0ES3_jN6thrust23THRUST_200600_302600_NS6detail15normal_iteratorINSA_10device_ptrIyEEEEPS6_SG_NS0_5tupleIJSF_NSA_16discard_iteratorINSA_11use_defaultEEEEEENSH_IJSG_SG_EEES6_PlJ7is_evenIyEEEE10hipError_tPvRmT3_T4_T5_T6_T7_T9_mT8_P12ihipStream_tbDpT10_ENKUlT_T0_E_clISt17integral_constantIbLb0EES18_IbLb1EEEEDaS14_S15_EUlS14_E_NS1_11comp_targetILNS1_3genE2ELNS1_11target_archE906ELNS1_3gpuE6ELNS1_3repE0EEENS1_30default_config_static_selectorELNS0_4arch9wavefront6targetE1EEEvT1_ ; -- Begin function _ZN7rocprim17ROCPRIM_400000_NS6detail17trampoline_kernelINS0_14default_configENS1_25partition_config_selectorILNS1_17partition_subalgoE0EyNS0_10empty_typeEbEEZZNS1_14partition_implILS5_0ELb0ES3_jN6thrust23THRUST_200600_302600_NS6detail15normal_iteratorINSA_10device_ptrIyEEEEPS6_SG_NS0_5tupleIJSF_NSA_16discard_iteratorINSA_11use_defaultEEEEEENSH_IJSG_SG_EEES6_PlJ7is_evenIyEEEE10hipError_tPvRmT3_T4_T5_T6_T7_T9_mT8_P12ihipStream_tbDpT10_ENKUlT_T0_E_clISt17integral_constantIbLb0EES18_IbLb1EEEEDaS14_S15_EUlS14_E_NS1_11comp_targetILNS1_3genE2ELNS1_11target_archE906ELNS1_3gpuE6ELNS1_3repE0EEENS1_30default_config_static_selectorELNS0_4arch9wavefront6targetE1EEEvT1_
	.globl	_ZN7rocprim17ROCPRIM_400000_NS6detail17trampoline_kernelINS0_14default_configENS1_25partition_config_selectorILNS1_17partition_subalgoE0EyNS0_10empty_typeEbEEZZNS1_14partition_implILS5_0ELb0ES3_jN6thrust23THRUST_200600_302600_NS6detail15normal_iteratorINSA_10device_ptrIyEEEEPS6_SG_NS0_5tupleIJSF_NSA_16discard_iteratorINSA_11use_defaultEEEEEENSH_IJSG_SG_EEES6_PlJ7is_evenIyEEEE10hipError_tPvRmT3_T4_T5_T6_T7_T9_mT8_P12ihipStream_tbDpT10_ENKUlT_T0_E_clISt17integral_constantIbLb0EES18_IbLb1EEEEDaS14_S15_EUlS14_E_NS1_11comp_targetILNS1_3genE2ELNS1_11target_archE906ELNS1_3gpuE6ELNS1_3repE0EEENS1_30default_config_static_selectorELNS0_4arch9wavefront6targetE1EEEvT1_
	.p2align	8
	.type	_ZN7rocprim17ROCPRIM_400000_NS6detail17trampoline_kernelINS0_14default_configENS1_25partition_config_selectorILNS1_17partition_subalgoE0EyNS0_10empty_typeEbEEZZNS1_14partition_implILS5_0ELb0ES3_jN6thrust23THRUST_200600_302600_NS6detail15normal_iteratorINSA_10device_ptrIyEEEEPS6_SG_NS0_5tupleIJSF_NSA_16discard_iteratorINSA_11use_defaultEEEEEENSH_IJSG_SG_EEES6_PlJ7is_evenIyEEEE10hipError_tPvRmT3_T4_T5_T6_T7_T9_mT8_P12ihipStream_tbDpT10_ENKUlT_T0_E_clISt17integral_constantIbLb0EES18_IbLb1EEEEDaS14_S15_EUlS14_E_NS1_11comp_targetILNS1_3genE2ELNS1_11target_archE906ELNS1_3gpuE6ELNS1_3repE0EEENS1_30default_config_static_selectorELNS0_4arch9wavefront6targetE1EEEvT1_,@function
_ZN7rocprim17ROCPRIM_400000_NS6detail17trampoline_kernelINS0_14default_configENS1_25partition_config_selectorILNS1_17partition_subalgoE0EyNS0_10empty_typeEbEEZZNS1_14partition_implILS5_0ELb0ES3_jN6thrust23THRUST_200600_302600_NS6detail15normal_iteratorINSA_10device_ptrIyEEEEPS6_SG_NS0_5tupleIJSF_NSA_16discard_iteratorINSA_11use_defaultEEEEEENSH_IJSG_SG_EEES6_PlJ7is_evenIyEEEE10hipError_tPvRmT3_T4_T5_T6_T7_T9_mT8_P12ihipStream_tbDpT10_ENKUlT_T0_E_clISt17integral_constantIbLb0EES18_IbLb1EEEEDaS14_S15_EUlS14_E_NS1_11comp_targetILNS1_3genE2ELNS1_11target_archE906ELNS1_3gpuE6ELNS1_3repE0EEENS1_30default_config_static_selectorELNS0_4arch9wavefront6targetE1EEEvT1_: ; @_ZN7rocprim17ROCPRIM_400000_NS6detail17trampoline_kernelINS0_14default_configENS1_25partition_config_selectorILNS1_17partition_subalgoE0EyNS0_10empty_typeEbEEZZNS1_14partition_implILS5_0ELb0ES3_jN6thrust23THRUST_200600_302600_NS6detail15normal_iteratorINSA_10device_ptrIyEEEEPS6_SG_NS0_5tupleIJSF_NSA_16discard_iteratorINSA_11use_defaultEEEEEENSH_IJSG_SG_EEES6_PlJ7is_evenIyEEEE10hipError_tPvRmT3_T4_T5_T6_T7_T9_mT8_P12ihipStream_tbDpT10_ENKUlT_T0_E_clISt17integral_constantIbLb0EES18_IbLb1EEEEDaS14_S15_EUlS14_E_NS1_11comp_targetILNS1_3genE2ELNS1_11target_archE906ELNS1_3gpuE6ELNS1_3repE0EEENS1_30default_config_static_selectorELNS0_4arch9wavefront6targetE1EEEvT1_
; %bb.0:
	.section	.rodata,"a",@progbits
	.p2align	6, 0x0
	.amdhsa_kernel _ZN7rocprim17ROCPRIM_400000_NS6detail17trampoline_kernelINS0_14default_configENS1_25partition_config_selectorILNS1_17partition_subalgoE0EyNS0_10empty_typeEbEEZZNS1_14partition_implILS5_0ELb0ES3_jN6thrust23THRUST_200600_302600_NS6detail15normal_iteratorINSA_10device_ptrIyEEEEPS6_SG_NS0_5tupleIJSF_NSA_16discard_iteratorINSA_11use_defaultEEEEEENSH_IJSG_SG_EEES6_PlJ7is_evenIyEEEE10hipError_tPvRmT3_T4_T5_T6_T7_T9_mT8_P12ihipStream_tbDpT10_ENKUlT_T0_E_clISt17integral_constantIbLb0EES18_IbLb1EEEEDaS14_S15_EUlS14_E_NS1_11comp_targetILNS1_3genE2ELNS1_11target_archE906ELNS1_3gpuE6ELNS1_3repE0EEENS1_30default_config_static_selectorELNS0_4arch9wavefront6targetE1EEEvT1_
		.amdhsa_group_segment_fixed_size 0
		.amdhsa_private_segment_fixed_size 0
		.amdhsa_kernarg_size 144
		.amdhsa_user_sgpr_count 2
		.amdhsa_user_sgpr_dispatch_ptr 0
		.amdhsa_user_sgpr_queue_ptr 0
		.amdhsa_user_sgpr_kernarg_segment_ptr 1
		.amdhsa_user_sgpr_dispatch_id 0
		.amdhsa_user_sgpr_kernarg_preload_length 0
		.amdhsa_user_sgpr_kernarg_preload_offset 0
		.amdhsa_user_sgpr_private_segment_size 0
		.amdhsa_uses_dynamic_stack 0
		.amdhsa_enable_private_segment 0
		.amdhsa_system_sgpr_workgroup_id_x 1
		.amdhsa_system_sgpr_workgroup_id_y 0
		.amdhsa_system_sgpr_workgroup_id_z 0
		.amdhsa_system_sgpr_workgroup_info 0
		.amdhsa_system_vgpr_workitem_id 0
		.amdhsa_next_free_vgpr 1
		.amdhsa_next_free_sgpr 0
		.amdhsa_accum_offset 4
		.amdhsa_reserve_vcc 0
		.amdhsa_float_round_mode_32 0
		.amdhsa_float_round_mode_16_64 0
		.amdhsa_float_denorm_mode_32 3
		.amdhsa_float_denorm_mode_16_64 3
		.amdhsa_dx10_clamp 1
		.amdhsa_ieee_mode 1
		.amdhsa_fp16_overflow 0
		.amdhsa_tg_split 0
		.amdhsa_exception_fp_ieee_invalid_op 0
		.amdhsa_exception_fp_denorm_src 0
		.amdhsa_exception_fp_ieee_div_zero 0
		.amdhsa_exception_fp_ieee_overflow 0
		.amdhsa_exception_fp_ieee_underflow 0
		.amdhsa_exception_fp_ieee_inexact 0
		.amdhsa_exception_int_div_zero 0
	.end_amdhsa_kernel
	.section	.text._ZN7rocprim17ROCPRIM_400000_NS6detail17trampoline_kernelINS0_14default_configENS1_25partition_config_selectorILNS1_17partition_subalgoE0EyNS0_10empty_typeEbEEZZNS1_14partition_implILS5_0ELb0ES3_jN6thrust23THRUST_200600_302600_NS6detail15normal_iteratorINSA_10device_ptrIyEEEEPS6_SG_NS0_5tupleIJSF_NSA_16discard_iteratorINSA_11use_defaultEEEEEENSH_IJSG_SG_EEES6_PlJ7is_evenIyEEEE10hipError_tPvRmT3_T4_T5_T6_T7_T9_mT8_P12ihipStream_tbDpT10_ENKUlT_T0_E_clISt17integral_constantIbLb0EES18_IbLb1EEEEDaS14_S15_EUlS14_E_NS1_11comp_targetILNS1_3genE2ELNS1_11target_archE906ELNS1_3gpuE6ELNS1_3repE0EEENS1_30default_config_static_selectorELNS0_4arch9wavefront6targetE1EEEvT1_,"axG",@progbits,_ZN7rocprim17ROCPRIM_400000_NS6detail17trampoline_kernelINS0_14default_configENS1_25partition_config_selectorILNS1_17partition_subalgoE0EyNS0_10empty_typeEbEEZZNS1_14partition_implILS5_0ELb0ES3_jN6thrust23THRUST_200600_302600_NS6detail15normal_iteratorINSA_10device_ptrIyEEEEPS6_SG_NS0_5tupleIJSF_NSA_16discard_iteratorINSA_11use_defaultEEEEEENSH_IJSG_SG_EEES6_PlJ7is_evenIyEEEE10hipError_tPvRmT3_T4_T5_T6_T7_T9_mT8_P12ihipStream_tbDpT10_ENKUlT_T0_E_clISt17integral_constantIbLb0EES18_IbLb1EEEEDaS14_S15_EUlS14_E_NS1_11comp_targetILNS1_3genE2ELNS1_11target_archE906ELNS1_3gpuE6ELNS1_3repE0EEENS1_30default_config_static_selectorELNS0_4arch9wavefront6targetE1EEEvT1_,comdat
.Lfunc_end2359:
	.size	_ZN7rocprim17ROCPRIM_400000_NS6detail17trampoline_kernelINS0_14default_configENS1_25partition_config_selectorILNS1_17partition_subalgoE0EyNS0_10empty_typeEbEEZZNS1_14partition_implILS5_0ELb0ES3_jN6thrust23THRUST_200600_302600_NS6detail15normal_iteratorINSA_10device_ptrIyEEEEPS6_SG_NS0_5tupleIJSF_NSA_16discard_iteratorINSA_11use_defaultEEEEEENSH_IJSG_SG_EEES6_PlJ7is_evenIyEEEE10hipError_tPvRmT3_T4_T5_T6_T7_T9_mT8_P12ihipStream_tbDpT10_ENKUlT_T0_E_clISt17integral_constantIbLb0EES18_IbLb1EEEEDaS14_S15_EUlS14_E_NS1_11comp_targetILNS1_3genE2ELNS1_11target_archE906ELNS1_3gpuE6ELNS1_3repE0EEENS1_30default_config_static_selectorELNS0_4arch9wavefront6targetE1EEEvT1_, .Lfunc_end2359-_ZN7rocprim17ROCPRIM_400000_NS6detail17trampoline_kernelINS0_14default_configENS1_25partition_config_selectorILNS1_17partition_subalgoE0EyNS0_10empty_typeEbEEZZNS1_14partition_implILS5_0ELb0ES3_jN6thrust23THRUST_200600_302600_NS6detail15normal_iteratorINSA_10device_ptrIyEEEEPS6_SG_NS0_5tupleIJSF_NSA_16discard_iteratorINSA_11use_defaultEEEEEENSH_IJSG_SG_EEES6_PlJ7is_evenIyEEEE10hipError_tPvRmT3_T4_T5_T6_T7_T9_mT8_P12ihipStream_tbDpT10_ENKUlT_T0_E_clISt17integral_constantIbLb0EES18_IbLb1EEEEDaS14_S15_EUlS14_E_NS1_11comp_targetILNS1_3genE2ELNS1_11target_archE906ELNS1_3gpuE6ELNS1_3repE0EEENS1_30default_config_static_selectorELNS0_4arch9wavefront6targetE1EEEvT1_
                                        ; -- End function
	.section	.AMDGPU.csdata,"",@progbits
; Kernel info:
; codeLenInByte = 0
; NumSgprs: 6
; NumVgprs: 0
; NumAgprs: 0
; TotalNumVgprs: 0
; ScratchSize: 0
; MemoryBound: 0
; FloatMode: 240
; IeeeMode: 1
; LDSByteSize: 0 bytes/workgroup (compile time only)
; SGPRBlocks: 0
; VGPRBlocks: 0
; NumSGPRsForWavesPerEU: 6
; NumVGPRsForWavesPerEU: 1
; AccumOffset: 4
; Occupancy: 8
; WaveLimiterHint : 0
; COMPUTE_PGM_RSRC2:SCRATCH_EN: 0
; COMPUTE_PGM_RSRC2:USER_SGPR: 2
; COMPUTE_PGM_RSRC2:TRAP_HANDLER: 0
; COMPUTE_PGM_RSRC2:TGID_X_EN: 1
; COMPUTE_PGM_RSRC2:TGID_Y_EN: 0
; COMPUTE_PGM_RSRC2:TGID_Z_EN: 0
; COMPUTE_PGM_RSRC2:TIDIG_COMP_CNT: 0
; COMPUTE_PGM_RSRC3_GFX90A:ACCUM_OFFSET: 0
; COMPUTE_PGM_RSRC3_GFX90A:TG_SPLIT: 0
	.section	.text._ZN7rocprim17ROCPRIM_400000_NS6detail17trampoline_kernelINS0_14default_configENS1_25partition_config_selectorILNS1_17partition_subalgoE0EyNS0_10empty_typeEbEEZZNS1_14partition_implILS5_0ELb0ES3_jN6thrust23THRUST_200600_302600_NS6detail15normal_iteratorINSA_10device_ptrIyEEEEPS6_SG_NS0_5tupleIJSF_NSA_16discard_iteratorINSA_11use_defaultEEEEEENSH_IJSG_SG_EEES6_PlJ7is_evenIyEEEE10hipError_tPvRmT3_T4_T5_T6_T7_T9_mT8_P12ihipStream_tbDpT10_ENKUlT_T0_E_clISt17integral_constantIbLb0EES18_IbLb1EEEEDaS14_S15_EUlS14_E_NS1_11comp_targetILNS1_3genE10ELNS1_11target_archE1200ELNS1_3gpuE4ELNS1_3repE0EEENS1_30default_config_static_selectorELNS0_4arch9wavefront6targetE1EEEvT1_,"axG",@progbits,_ZN7rocprim17ROCPRIM_400000_NS6detail17trampoline_kernelINS0_14default_configENS1_25partition_config_selectorILNS1_17partition_subalgoE0EyNS0_10empty_typeEbEEZZNS1_14partition_implILS5_0ELb0ES3_jN6thrust23THRUST_200600_302600_NS6detail15normal_iteratorINSA_10device_ptrIyEEEEPS6_SG_NS0_5tupleIJSF_NSA_16discard_iteratorINSA_11use_defaultEEEEEENSH_IJSG_SG_EEES6_PlJ7is_evenIyEEEE10hipError_tPvRmT3_T4_T5_T6_T7_T9_mT8_P12ihipStream_tbDpT10_ENKUlT_T0_E_clISt17integral_constantIbLb0EES18_IbLb1EEEEDaS14_S15_EUlS14_E_NS1_11comp_targetILNS1_3genE10ELNS1_11target_archE1200ELNS1_3gpuE4ELNS1_3repE0EEENS1_30default_config_static_selectorELNS0_4arch9wavefront6targetE1EEEvT1_,comdat
	.protected	_ZN7rocprim17ROCPRIM_400000_NS6detail17trampoline_kernelINS0_14default_configENS1_25partition_config_selectorILNS1_17partition_subalgoE0EyNS0_10empty_typeEbEEZZNS1_14partition_implILS5_0ELb0ES3_jN6thrust23THRUST_200600_302600_NS6detail15normal_iteratorINSA_10device_ptrIyEEEEPS6_SG_NS0_5tupleIJSF_NSA_16discard_iteratorINSA_11use_defaultEEEEEENSH_IJSG_SG_EEES6_PlJ7is_evenIyEEEE10hipError_tPvRmT3_T4_T5_T6_T7_T9_mT8_P12ihipStream_tbDpT10_ENKUlT_T0_E_clISt17integral_constantIbLb0EES18_IbLb1EEEEDaS14_S15_EUlS14_E_NS1_11comp_targetILNS1_3genE10ELNS1_11target_archE1200ELNS1_3gpuE4ELNS1_3repE0EEENS1_30default_config_static_selectorELNS0_4arch9wavefront6targetE1EEEvT1_ ; -- Begin function _ZN7rocprim17ROCPRIM_400000_NS6detail17trampoline_kernelINS0_14default_configENS1_25partition_config_selectorILNS1_17partition_subalgoE0EyNS0_10empty_typeEbEEZZNS1_14partition_implILS5_0ELb0ES3_jN6thrust23THRUST_200600_302600_NS6detail15normal_iteratorINSA_10device_ptrIyEEEEPS6_SG_NS0_5tupleIJSF_NSA_16discard_iteratorINSA_11use_defaultEEEEEENSH_IJSG_SG_EEES6_PlJ7is_evenIyEEEE10hipError_tPvRmT3_T4_T5_T6_T7_T9_mT8_P12ihipStream_tbDpT10_ENKUlT_T0_E_clISt17integral_constantIbLb0EES18_IbLb1EEEEDaS14_S15_EUlS14_E_NS1_11comp_targetILNS1_3genE10ELNS1_11target_archE1200ELNS1_3gpuE4ELNS1_3repE0EEENS1_30default_config_static_selectorELNS0_4arch9wavefront6targetE1EEEvT1_
	.globl	_ZN7rocprim17ROCPRIM_400000_NS6detail17trampoline_kernelINS0_14default_configENS1_25partition_config_selectorILNS1_17partition_subalgoE0EyNS0_10empty_typeEbEEZZNS1_14partition_implILS5_0ELb0ES3_jN6thrust23THRUST_200600_302600_NS6detail15normal_iteratorINSA_10device_ptrIyEEEEPS6_SG_NS0_5tupleIJSF_NSA_16discard_iteratorINSA_11use_defaultEEEEEENSH_IJSG_SG_EEES6_PlJ7is_evenIyEEEE10hipError_tPvRmT3_T4_T5_T6_T7_T9_mT8_P12ihipStream_tbDpT10_ENKUlT_T0_E_clISt17integral_constantIbLb0EES18_IbLb1EEEEDaS14_S15_EUlS14_E_NS1_11comp_targetILNS1_3genE10ELNS1_11target_archE1200ELNS1_3gpuE4ELNS1_3repE0EEENS1_30default_config_static_selectorELNS0_4arch9wavefront6targetE1EEEvT1_
	.p2align	8
	.type	_ZN7rocprim17ROCPRIM_400000_NS6detail17trampoline_kernelINS0_14default_configENS1_25partition_config_selectorILNS1_17partition_subalgoE0EyNS0_10empty_typeEbEEZZNS1_14partition_implILS5_0ELb0ES3_jN6thrust23THRUST_200600_302600_NS6detail15normal_iteratorINSA_10device_ptrIyEEEEPS6_SG_NS0_5tupleIJSF_NSA_16discard_iteratorINSA_11use_defaultEEEEEENSH_IJSG_SG_EEES6_PlJ7is_evenIyEEEE10hipError_tPvRmT3_T4_T5_T6_T7_T9_mT8_P12ihipStream_tbDpT10_ENKUlT_T0_E_clISt17integral_constantIbLb0EES18_IbLb1EEEEDaS14_S15_EUlS14_E_NS1_11comp_targetILNS1_3genE10ELNS1_11target_archE1200ELNS1_3gpuE4ELNS1_3repE0EEENS1_30default_config_static_selectorELNS0_4arch9wavefront6targetE1EEEvT1_,@function
_ZN7rocprim17ROCPRIM_400000_NS6detail17trampoline_kernelINS0_14default_configENS1_25partition_config_selectorILNS1_17partition_subalgoE0EyNS0_10empty_typeEbEEZZNS1_14partition_implILS5_0ELb0ES3_jN6thrust23THRUST_200600_302600_NS6detail15normal_iteratorINSA_10device_ptrIyEEEEPS6_SG_NS0_5tupleIJSF_NSA_16discard_iteratorINSA_11use_defaultEEEEEENSH_IJSG_SG_EEES6_PlJ7is_evenIyEEEE10hipError_tPvRmT3_T4_T5_T6_T7_T9_mT8_P12ihipStream_tbDpT10_ENKUlT_T0_E_clISt17integral_constantIbLb0EES18_IbLb1EEEEDaS14_S15_EUlS14_E_NS1_11comp_targetILNS1_3genE10ELNS1_11target_archE1200ELNS1_3gpuE4ELNS1_3repE0EEENS1_30default_config_static_selectorELNS0_4arch9wavefront6targetE1EEEvT1_: ; @_ZN7rocprim17ROCPRIM_400000_NS6detail17trampoline_kernelINS0_14default_configENS1_25partition_config_selectorILNS1_17partition_subalgoE0EyNS0_10empty_typeEbEEZZNS1_14partition_implILS5_0ELb0ES3_jN6thrust23THRUST_200600_302600_NS6detail15normal_iteratorINSA_10device_ptrIyEEEEPS6_SG_NS0_5tupleIJSF_NSA_16discard_iteratorINSA_11use_defaultEEEEEENSH_IJSG_SG_EEES6_PlJ7is_evenIyEEEE10hipError_tPvRmT3_T4_T5_T6_T7_T9_mT8_P12ihipStream_tbDpT10_ENKUlT_T0_E_clISt17integral_constantIbLb0EES18_IbLb1EEEEDaS14_S15_EUlS14_E_NS1_11comp_targetILNS1_3genE10ELNS1_11target_archE1200ELNS1_3gpuE4ELNS1_3repE0EEENS1_30default_config_static_selectorELNS0_4arch9wavefront6targetE1EEEvT1_
; %bb.0:
	.section	.rodata,"a",@progbits
	.p2align	6, 0x0
	.amdhsa_kernel _ZN7rocprim17ROCPRIM_400000_NS6detail17trampoline_kernelINS0_14default_configENS1_25partition_config_selectorILNS1_17partition_subalgoE0EyNS0_10empty_typeEbEEZZNS1_14partition_implILS5_0ELb0ES3_jN6thrust23THRUST_200600_302600_NS6detail15normal_iteratorINSA_10device_ptrIyEEEEPS6_SG_NS0_5tupleIJSF_NSA_16discard_iteratorINSA_11use_defaultEEEEEENSH_IJSG_SG_EEES6_PlJ7is_evenIyEEEE10hipError_tPvRmT3_T4_T5_T6_T7_T9_mT8_P12ihipStream_tbDpT10_ENKUlT_T0_E_clISt17integral_constantIbLb0EES18_IbLb1EEEEDaS14_S15_EUlS14_E_NS1_11comp_targetILNS1_3genE10ELNS1_11target_archE1200ELNS1_3gpuE4ELNS1_3repE0EEENS1_30default_config_static_selectorELNS0_4arch9wavefront6targetE1EEEvT1_
		.amdhsa_group_segment_fixed_size 0
		.amdhsa_private_segment_fixed_size 0
		.amdhsa_kernarg_size 144
		.amdhsa_user_sgpr_count 2
		.amdhsa_user_sgpr_dispatch_ptr 0
		.amdhsa_user_sgpr_queue_ptr 0
		.amdhsa_user_sgpr_kernarg_segment_ptr 1
		.amdhsa_user_sgpr_dispatch_id 0
		.amdhsa_user_sgpr_kernarg_preload_length 0
		.amdhsa_user_sgpr_kernarg_preload_offset 0
		.amdhsa_user_sgpr_private_segment_size 0
		.amdhsa_uses_dynamic_stack 0
		.amdhsa_enable_private_segment 0
		.amdhsa_system_sgpr_workgroup_id_x 1
		.amdhsa_system_sgpr_workgroup_id_y 0
		.amdhsa_system_sgpr_workgroup_id_z 0
		.amdhsa_system_sgpr_workgroup_info 0
		.amdhsa_system_vgpr_workitem_id 0
		.amdhsa_next_free_vgpr 1
		.amdhsa_next_free_sgpr 0
		.amdhsa_accum_offset 4
		.amdhsa_reserve_vcc 0
		.amdhsa_float_round_mode_32 0
		.amdhsa_float_round_mode_16_64 0
		.amdhsa_float_denorm_mode_32 3
		.amdhsa_float_denorm_mode_16_64 3
		.amdhsa_dx10_clamp 1
		.amdhsa_ieee_mode 1
		.amdhsa_fp16_overflow 0
		.amdhsa_tg_split 0
		.amdhsa_exception_fp_ieee_invalid_op 0
		.amdhsa_exception_fp_denorm_src 0
		.amdhsa_exception_fp_ieee_div_zero 0
		.amdhsa_exception_fp_ieee_overflow 0
		.amdhsa_exception_fp_ieee_underflow 0
		.amdhsa_exception_fp_ieee_inexact 0
		.amdhsa_exception_int_div_zero 0
	.end_amdhsa_kernel
	.section	.text._ZN7rocprim17ROCPRIM_400000_NS6detail17trampoline_kernelINS0_14default_configENS1_25partition_config_selectorILNS1_17partition_subalgoE0EyNS0_10empty_typeEbEEZZNS1_14partition_implILS5_0ELb0ES3_jN6thrust23THRUST_200600_302600_NS6detail15normal_iteratorINSA_10device_ptrIyEEEEPS6_SG_NS0_5tupleIJSF_NSA_16discard_iteratorINSA_11use_defaultEEEEEENSH_IJSG_SG_EEES6_PlJ7is_evenIyEEEE10hipError_tPvRmT3_T4_T5_T6_T7_T9_mT8_P12ihipStream_tbDpT10_ENKUlT_T0_E_clISt17integral_constantIbLb0EES18_IbLb1EEEEDaS14_S15_EUlS14_E_NS1_11comp_targetILNS1_3genE10ELNS1_11target_archE1200ELNS1_3gpuE4ELNS1_3repE0EEENS1_30default_config_static_selectorELNS0_4arch9wavefront6targetE1EEEvT1_,"axG",@progbits,_ZN7rocprim17ROCPRIM_400000_NS6detail17trampoline_kernelINS0_14default_configENS1_25partition_config_selectorILNS1_17partition_subalgoE0EyNS0_10empty_typeEbEEZZNS1_14partition_implILS5_0ELb0ES3_jN6thrust23THRUST_200600_302600_NS6detail15normal_iteratorINSA_10device_ptrIyEEEEPS6_SG_NS0_5tupleIJSF_NSA_16discard_iteratorINSA_11use_defaultEEEEEENSH_IJSG_SG_EEES6_PlJ7is_evenIyEEEE10hipError_tPvRmT3_T4_T5_T6_T7_T9_mT8_P12ihipStream_tbDpT10_ENKUlT_T0_E_clISt17integral_constantIbLb0EES18_IbLb1EEEEDaS14_S15_EUlS14_E_NS1_11comp_targetILNS1_3genE10ELNS1_11target_archE1200ELNS1_3gpuE4ELNS1_3repE0EEENS1_30default_config_static_selectorELNS0_4arch9wavefront6targetE1EEEvT1_,comdat
.Lfunc_end2360:
	.size	_ZN7rocprim17ROCPRIM_400000_NS6detail17trampoline_kernelINS0_14default_configENS1_25partition_config_selectorILNS1_17partition_subalgoE0EyNS0_10empty_typeEbEEZZNS1_14partition_implILS5_0ELb0ES3_jN6thrust23THRUST_200600_302600_NS6detail15normal_iteratorINSA_10device_ptrIyEEEEPS6_SG_NS0_5tupleIJSF_NSA_16discard_iteratorINSA_11use_defaultEEEEEENSH_IJSG_SG_EEES6_PlJ7is_evenIyEEEE10hipError_tPvRmT3_T4_T5_T6_T7_T9_mT8_P12ihipStream_tbDpT10_ENKUlT_T0_E_clISt17integral_constantIbLb0EES18_IbLb1EEEEDaS14_S15_EUlS14_E_NS1_11comp_targetILNS1_3genE10ELNS1_11target_archE1200ELNS1_3gpuE4ELNS1_3repE0EEENS1_30default_config_static_selectorELNS0_4arch9wavefront6targetE1EEEvT1_, .Lfunc_end2360-_ZN7rocprim17ROCPRIM_400000_NS6detail17trampoline_kernelINS0_14default_configENS1_25partition_config_selectorILNS1_17partition_subalgoE0EyNS0_10empty_typeEbEEZZNS1_14partition_implILS5_0ELb0ES3_jN6thrust23THRUST_200600_302600_NS6detail15normal_iteratorINSA_10device_ptrIyEEEEPS6_SG_NS0_5tupleIJSF_NSA_16discard_iteratorINSA_11use_defaultEEEEEENSH_IJSG_SG_EEES6_PlJ7is_evenIyEEEE10hipError_tPvRmT3_T4_T5_T6_T7_T9_mT8_P12ihipStream_tbDpT10_ENKUlT_T0_E_clISt17integral_constantIbLb0EES18_IbLb1EEEEDaS14_S15_EUlS14_E_NS1_11comp_targetILNS1_3genE10ELNS1_11target_archE1200ELNS1_3gpuE4ELNS1_3repE0EEENS1_30default_config_static_selectorELNS0_4arch9wavefront6targetE1EEEvT1_
                                        ; -- End function
	.section	.AMDGPU.csdata,"",@progbits
; Kernel info:
; codeLenInByte = 0
; NumSgprs: 6
; NumVgprs: 0
; NumAgprs: 0
; TotalNumVgprs: 0
; ScratchSize: 0
; MemoryBound: 0
; FloatMode: 240
; IeeeMode: 1
; LDSByteSize: 0 bytes/workgroup (compile time only)
; SGPRBlocks: 0
; VGPRBlocks: 0
; NumSGPRsForWavesPerEU: 6
; NumVGPRsForWavesPerEU: 1
; AccumOffset: 4
; Occupancy: 8
; WaveLimiterHint : 0
; COMPUTE_PGM_RSRC2:SCRATCH_EN: 0
; COMPUTE_PGM_RSRC2:USER_SGPR: 2
; COMPUTE_PGM_RSRC2:TRAP_HANDLER: 0
; COMPUTE_PGM_RSRC2:TGID_X_EN: 1
; COMPUTE_PGM_RSRC2:TGID_Y_EN: 0
; COMPUTE_PGM_RSRC2:TGID_Z_EN: 0
; COMPUTE_PGM_RSRC2:TIDIG_COMP_CNT: 0
; COMPUTE_PGM_RSRC3_GFX90A:ACCUM_OFFSET: 0
; COMPUTE_PGM_RSRC3_GFX90A:TG_SPLIT: 0
	.section	.text._ZN7rocprim17ROCPRIM_400000_NS6detail17trampoline_kernelINS0_14default_configENS1_25partition_config_selectorILNS1_17partition_subalgoE0EyNS0_10empty_typeEbEEZZNS1_14partition_implILS5_0ELb0ES3_jN6thrust23THRUST_200600_302600_NS6detail15normal_iteratorINSA_10device_ptrIyEEEEPS6_SG_NS0_5tupleIJSF_NSA_16discard_iteratorINSA_11use_defaultEEEEEENSH_IJSG_SG_EEES6_PlJ7is_evenIyEEEE10hipError_tPvRmT3_T4_T5_T6_T7_T9_mT8_P12ihipStream_tbDpT10_ENKUlT_T0_E_clISt17integral_constantIbLb0EES18_IbLb1EEEEDaS14_S15_EUlS14_E_NS1_11comp_targetILNS1_3genE9ELNS1_11target_archE1100ELNS1_3gpuE3ELNS1_3repE0EEENS1_30default_config_static_selectorELNS0_4arch9wavefront6targetE1EEEvT1_,"axG",@progbits,_ZN7rocprim17ROCPRIM_400000_NS6detail17trampoline_kernelINS0_14default_configENS1_25partition_config_selectorILNS1_17partition_subalgoE0EyNS0_10empty_typeEbEEZZNS1_14partition_implILS5_0ELb0ES3_jN6thrust23THRUST_200600_302600_NS6detail15normal_iteratorINSA_10device_ptrIyEEEEPS6_SG_NS0_5tupleIJSF_NSA_16discard_iteratorINSA_11use_defaultEEEEEENSH_IJSG_SG_EEES6_PlJ7is_evenIyEEEE10hipError_tPvRmT3_T4_T5_T6_T7_T9_mT8_P12ihipStream_tbDpT10_ENKUlT_T0_E_clISt17integral_constantIbLb0EES18_IbLb1EEEEDaS14_S15_EUlS14_E_NS1_11comp_targetILNS1_3genE9ELNS1_11target_archE1100ELNS1_3gpuE3ELNS1_3repE0EEENS1_30default_config_static_selectorELNS0_4arch9wavefront6targetE1EEEvT1_,comdat
	.protected	_ZN7rocprim17ROCPRIM_400000_NS6detail17trampoline_kernelINS0_14default_configENS1_25partition_config_selectorILNS1_17partition_subalgoE0EyNS0_10empty_typeEbEEZZNS1_14partition_implILS5_0ELb0ES3_jN6thrust23THRUST_200600_302600_NS6detail15normal_iteratorINSA_10device_ptrIyEEEEPS6_SG_NS0_5tupleIJSF_NSA_16discard_iteratorINSA_11use_defaultEEEEEENSH_IJSG_SG_EEES6_PlJ7is_evenIyEEEE10hipError_tPvRmT3_T4_T5_T6_T7_T9_mT8_P12ihipStream_tbDpT10_ENKUlT_T0_E_clISt17integral_constantIbLb0EES18_IbLb1EEEEDaS14_S15_EUlS14_E_NS1_11comp_targetILNS1_3genE9ELNS1_11target_archE1100ELNS1_3gpuE3ELNS1_3repE0EEENS1_30default_config_static_selectorELNS0_4arch9wavefront6targetE1EEEvT1_ ; -- Begin function _ZN7rocprim17ROCPRIM_400000_NS6detail17trampoline_kernelINS0_14default_configENS1_25partition_config_selectorILNS1_17partition_subalgoE0EyNS0_10empty_typeEbEEZZNS1_14partition_implILS5_0ELb0ES3_jN6thrust23THRUST_200600_302600_NS6detail15normal_iteratorINSA_10device_ptrIyEEEEPS6_SG_NS0_5tupleIJSF_NSA_16discard_iteratorINSA_11use_defaultEEEEEENSH_IJSG_SG_EEES6_PlJ7is_evenIyEEEE10hipError_tPvRmT3_T4_T5_T6_T7_T9_mT8_P12ihipStream_tbDpT10_ENKUlT_T0_E_clISt17integral_constantIbLb0EES18_IbLb1EEEEDaS14_S15_EUlS14_E_NS1_11comp_targetILNS1_3genE9ELNS1_11target_archE1100ELNS1_3gpuE3ELNS1_3repE0EEENS1_30default_config_static_selectorELNS0_4arch9wavefront6targetE1EEEvT1_
	.globl	_ZN7rocprim17ROCPRIM_400000_NS6detail17trampoline_kernelINS0_14default_configENS1_25partition_config_selectorILNS1_17partition_subalgoE0EyNS0_10empty_typeEbEEZZNS1_14partition_implILS5_0ELb0ES3_jN6thrust23THRUST_200600_302600_NS6detail15normal_iteratorINSA_10device_ptrIyEEEEPS6_SG_NS0_5tupleIJSF_NSA_16discard_iteratorINSA_11use_defaultEEEEEENSH_IJSG_SG_EEES6_PlJ7is_evenIyEEEE10hipError_tPvRmT3_T4_T5_T6_T7_T9_mT8_P12ihipStream_tbDpT10_ENKUlT_T0_E_clISt17integral_constantIbLb0EES18_IbLb1EEEEDaS14_S15_EUlS14_E_NS1_11comp_targetILNS1_3genE9ELNS1_11target_archE1100ELNS1_3gpuE3ELNS1_3repE0EEENS1_30default_config_static_selectorELNS0_4arch9wavefront6targetE1EEEvT1_
	.p2align	8
	.type	_ZN7rocprim17ROCPRIM_400000_NS6detail17trampoline_kernelINS0_14default_configENS1_25partition_config_selectorILNS1_17partition_subalgoE0EyNS0_10empty_typeEbEEZZNS1_14partition_implILS5_0ELb0ES3_jN6thrust23THRUST_200600_302600_NS6detail15normal_iteratorINSA_10device_ptrIyEEEEPS6_SG_NS0_5tupleIJSF_NSA_16discard_iteratorINSA_11use_defaultEEEEEENSH_IJSG_SG_EEES6_PlJ7is_evenIyEEEE10hipError_tPvRmT3_T4_T5_T6_T7_T9_mT8_P12ihipStream_tbDpT10_ENKUlT_T0_E_clISt17integral_constantIbLb0EES18_IbLb1EEEEDaS14_S15_EUlS14_E_NS1_11comp_targetILNS1_3genE9ELNS1_11target_archE1100ELNS1_3gpuE3ELNS1_3repE0EEENS1_30default_config_static_selectorELNS0_4arch9wavefront6targetE1EEEvT1_,@function
_ZN7rocprim17ROCPRIM_400000_NS6detail17trampoline_kernelINS0_14default_configENS1_25partition_config_selectorILNS1_17partition_subalgoE0EyNS0_10empty_typeEbEEZZNS1_14partition_implILS5_0ELb0ES3_jN6thrust23THRUST_200600_302600_NS6detail15normal_iteratorINSA_10device_ptrIyEEEEPS6_SG_NS0_5tupleIJSF_NSA_16discard_iteratorINSA_11use_defaultEEEEEENSH_IJSG_SG_EEES6_PlJ7is_evenIyEEEE10hipError_tPvRmT3_T4_T5_T6_T7_T9_mT8_P12ihipStream_tbDpT10_ENKUlT_T0_E_clISt17integral_constantIbLb0EES18_IbLb1EEEEDaS14_S15_EUlS14_E_NS1_11comp_targetILNS1_3genE9ELNS1_11target_archE1100ELNS1_3gpuE3ELNS1_3repE0EEENS1_30default_config_static_selectorELNS0_4arch9wavefront6targetE1EEEvT1_: ; @_ZN7rocprim17ROCPRIM_400000_NS6detail17trampoline_kernelINS0_14default_configENS1_25partition_config_selectorILNS1_17partition_subalgoE0EyNS0_10empty_typeEbEEZZNS1_14partition_implILS5_0ELb0ES3_jN6thrust23THRUST_200600_302600_NS6detail15normal_iteratorINSA_10device_ptrIyEEEEPS6_SG_NS0_5tupleIJSF_NSA_16discard_iteratorINSA_11use_defaultEEEEEENSH_IJSG_SG_EEES6_PlJ7is_evenIyEEEE10hipError_tPvRmT3_T4_T5_T6_T7_T9_mT8_P12ihipStream_tbDpT10_ENKUlT_T0_E_clISt17integral_constantIbLb0EES18_IbLb1EEEEDaS14_S15_EUlS14_E_NS1_11comp_targetILNS1_3genE9ELNS1_11target_archE1100ELNS1_3gpuE3ELNS1_3repE0EEENS1_30default_config_static_selectorELNS0_4arch9wavefront6targetE1EEEvT1_
; %bb.0:
	.section	.rodata,"a",@progbits
	.p2align	6, 0x0
	.amdhsa_kernel _ZN7rocprim17ROCPRIM_400000_NS6detail17trampoline_kernelINS0_14default_configENS1_25partition_config_selectorILNS1_17partition_subalgoE0EyNS0_10empty_typeEbEEZZNS1_14partition_implILS5_0ELb0ES3_jN6thrust23THRUST_200600_302600_NS6detail15normal_iteratorINSA_10device_ptrIyEEEEPS6_SG_NS0_5tupleIJSF_NSA_16discard_iteratorINSA_11use_defaultEEEEEENSH_IJSG_SG_EEES6_PlJ7is_evenIyEEEE10hipError_tPvRmT3_T4_T5_T6_T7_T9_mT8_P12ihipStream_tbDpT10_ENKUlT_T0_E_clISt17integral_constantIbLb0EES18_IbLb1EEEEDaS14_S15_EUlS14_E_NS1_11comp_targetILNS1_3genE9ELNS1_11target_archE1100ELNS1_3gpuE3ELNS1_3repE0EEENS1_30default_config_static_selectorELNS0_4arch9wavefront6targetE1EEEvT1_
		.amdhsa_group_segment_fixed_size 0
		.amdhsa_private_segment_fixed_size 0
		.amdhsa_kernarg_size 144
		.amdhsa_user_sgpr_count 2
		.amdhsa_user_sgpr_dispatch_ptr 0
		.amdhsa_user_sgpr_queue_ptr 0
		.amdhsa_user_sgpr_kernarg_segment_ptr 1
		.amdhsa_user_sgpr_dispatch_id 0
		.amdhsa_user_sgpr_kernarg_preload_length 0
		.amdhsa_user_sgpr_kernarg_preload_offset 0
		.amdhsa_user_sgpr_private_segment_size 0
		.amdhsa_uses_dynamic_stack 0
		.amdhsa_enable_private_segment 0
		.amdhsa_system_sgpr_workgroup_id_x 1
		.amdhsa_system_sgpr_workgroup_id_y 0
		.amdhsa_system_sgpr_workgroup_id_z 0
		.amdhsa_system_sgpr_workgroup_info 0
		.amdhsa_system_vgpr_workitem_id 0
		.amdhsa_next_free_vgpr 1
		.amdhsa_next_free_sgpr 0
		.amdhsa_accum_offset 4
		.amdhsa_reserve_vcc 0
		.amdhsa_float_round_mode_32 0
		.amdhsa_float_round_mode_16_64 0
		.amdhsa_float_denorm_mode_32 3
		.amdhsa_float_denorm_mode_16_64 3
		.amdhsa_dx10_clamp 1
		.amdhsa_ieee_mode 1
		.amdhsa_fp16_overflow 0
		.amdhsa_tg_split 0
		.amdhsa_exception_fp_ieee_invalid_op 0
		.amdhsa_exception_fp_denorm_src 0
		.amdhsa_exception_fp_ieee_div_zero 0
		.amdhsa_exception_fp_ieee_overflow 0
		.amdhsa_exception_fp_ieee_underflow 0
		.amdhsa_exception_fp_ieee_inexact 0
		.amdhsa_exception_int_div_zero 0
	.end_amdhsa_kernel
	.section	.text._ZN7rocprim17ROCPRIM_400000_NS6detail17trampoline_kernelINS0_14default_configENS1_25partition_config_selectorILNS1_17partition_subalgoE0EyNS0_10empty_typeEbEEZZNS1_14partition_implILS5_0ELb0ES3_jN6thrust23THRUST_200600_302600_NS6detail15normal_iteratorINSA_10device_ptrIyEEEEPS6_SG_NS0_5tupleIJSF_NSA_16discard_iteratorINSA_11use_defaultEEEEEENSH_IJSG_SG_EEES6_PlJ7is_evenIyEEEE10hipError_tPvRmT3_T4_T5_T6_T7_T9_mT8_P12ihipStream_tbDpT10_ENKUlT_T0_E_clISt17integral_constantIbLb0EES18_IbLb1EEEEDaS14_S15_EUlS14_E_NS1_11comp_targetILNS1_3genE9ELNS1_11target_archE1100ELNS1_3gpuE3ELNS1_3repE0EEENS1_30default_config_static_selectorELNS0_4arch9wavefront6targetE1EEEvT1_,"axG",@progbits,_ZN7rocprim17ROCPRIM_400000_NS6detail17trampoline_kernelINS0_14default_configENS1_25partition_config_selectorILNS1_17partition_subalgoE0EyNS0_10empty_typeEbEEZZNS1_14partition_implILS5_0ELb0ES3_jN6thrust23THRUST_200600_302600_NS6detail15normal_iteratorINSA_10device_ptrIyEEEEPS6_SG_NS0_5tupleIJSF_NSA_16discard_iteratorINSA_11use_defaultEEEEEENSH_IJSG_SG_EEES6_PlJ7is_evenIyEEEE10hipError_tPvRmT3_T4_T5_T6_T7_T9_mT8_P12ihipStream_tbDpT10_ENKUlT_T0_E_clISt17integral_constantIbLb0EES18_IbLb1EEEEDaS14_S15_EUlS14_E_NS1_11comp_targetILNS1_3genE9ELNS1_11target_archE1100ELNS1_3gpuE3ELNS1_3repE0EEENS1_30default_config_static_selectorELNS0_4arch9wavefront6targetE1EEEvT1_,comdat
.Lfunc_end2361:
	.size	_ZN7rocprim17ROCPRIM_400000_NS6detail17trampoline_kernelINS0_14default_configENS1_25partition_config_selectorILNS1_17partition_subalgoE0EyNS0_10empty_typeEbEEZZNS1_14partition_implILS5_0ELb0ES3_jN6thrust23THRUST_200600_302600_NS6detail15normal_iteratorINSA_10device_ptrIyEEEEPS6_SG_NS0_5tupleIJSF_NSA_16discard_iteratorINSA_11use_defaultEEEEEENSH_IJSG_SG_EEES6_PlJ7is_evenIyEEEE10hipError_tPvRmT3_T4_T5_T6_T7_T9_mT8_P12ihipStream_tbDpT10_ENKUlT_T0_E_clISt17integral_constantIbLb0EES18_IbLb1EEEEDaS14_S15_EUlS14_E_NS1_11comp_targetILNS1_3genE9ELNS1_11target_archE1100ELNS1_3gpuE3ELNS1_3repE0EEENS1_30default_config_static_selectorELNS0_4arch9wavefront6targetE1EEEvT1_, .Lfunc_end2361-_ZN7rocprim17ROCPRIM_400000_NS6detail17trampoline_kernelINS0_14default_configENS1_25partition_config_selectorILNS1_17partition_subalgoE0EyNS0_10empty_typeEbEEZZNS1_14partition_implILS5_0ELb0ES3_jN6thrust23THRUST_200600_302600_NS6detail15normal_iteratorINSA_10device_ptrIyEEEEPS6_SG_NS0_5tupleIJSF_NSA_16discard_iteratorINSA_11use_defaultEEEEEENSH_IJSG_SG_EEES6_PlJ7is_evenIyEEEE10hipError_tPvRmT3_T4_T5_T6_T7_T9_mT8_P12ihipStream_tbDpT10_ENKUlT_T0_E_clISt17integral_constantIbLb0EES18_IbLb1EEEEDaS14_S15_EUlS14_E_NS1_11comp_targetILNS1_3genE9ELNS1_11target_archE1100ELNS1_3gpuE3ELNS1_3repE0EEENS1_30default_config_static_selectorELNS0_4arch9wavefront6targetE1EEEvT1_
                                        ; -- End function
	.section	.AMDGPU.csdata,"",@progbits
; Kernel info:
; codeLenInByte = 0
; NumSgprs: 6
; NumVgprs: 0
; NumAgprs: 0
; TotalNumVgprs: 0
; ScratchSize: 0
; MemoryBound: 0
; FloatMode: 240
; IeeeMode: 1
; LDSByteSize: 0 bytes/workgroup (compile time only)
; SGPRBlocks: 0
; VGPRBlocks: 0
; NumSGPRsForWavesPerEU: 6
; NumVGPRsForWavesPerEU: 1
; AccumOffset: 4
; Occupancy: 8
; WaveLimiterHint : 0
; COMPUTE_PGM_RSRC2:SCRATCH_EN: 0
; COMPUTE_PGM_RSRC2:USER_SGPR: 2
; COMPUTE_PGM_RSRC2:TRAP_HANDLER: 0
; COMPUTE_PGM_RSRC2:TGID_X_EN: 1
; COMPUTE_PGM_RSRC2:TGID_Y_EN: 0
; COMPUTE_PGM_RSRC2:TGID_Z_EN: 0
; COMPUTE_PGM_RSRC2:TIDIG_COMP_CNT: 0
; COMPUTE_PGM_RSRC3_GFX90A:ACCUM_OFFSET: 0
; COMPUTE_PGM_RSRC3_GFX90A:TG_SPLIT: 0
	.section	.text._ZN7rocprim17ROCPRIM_400000_NS6detail17trampoline_kernelINS0_14default_configENS1_25partition_config_selectorILNS1_17partition_subalgoE0EyNS0_10empty_typeEbEEZZNS1_14partition_implILS5_0ELb0ES3_jN6thrust23THRUST_200600_302600_NS6detail15normal_iteratorINSA_10device_ptrIyEEEEPS6_SG_NS0_5tupleIJSF_NSA_16discard_iteratorINSA_11use_defaultEEEEEENSH_IJSG_SG_EEES6_PlJ7is_evenIyEEEE10hipError_tPvRmT3_T4_T5_T6_T7_T9_mT8_P12ihipStream_tbDpT10_ENKUlT_T0_E_clISt17integral_constantIbLb0EES18_IbLb1EEEEDaS14_S15_EUlS14_E_NS1_11comp_targetILNS1_3genE8ELNS1_11target_archE1030ELNS1_3gpuE2ELNS1_3repE0EEENS1_30default_config_static_selectorELNS0_4arch9wavefront6targetE1EEEvT1_,"axG",@progbits,_ZN7rocprim17ROCPRIM_400000_NS6detail17trampoline_kernelINS0_14default_configENS1_25partition_config_selectorILNS1_17partition_subalgoE0EyNS0_10empty_typeEbEEZZNS1_14partition_implILS5_0ELb0ES3_jN6thrust23THRUST_200600_302600_NS6detail15normal_iteratorINSA_10device_ptrIyEEEEPS6_SG_NS0_5tupleIJSF_NSA_16discard_iteratorINSA_11use_defaultEEEEEENSH_IJSG_SG_EEES6_PlJ7is_evenIyEEEE10hipError_tPvRmT3_T4_T5_T6_T7_T9_mT8_P12ihipStream_tbDpT10_ENKUlT_T0_E_clISt17integral_constantIbLb0EES18_IbLb1EEEEDaS14_S15_EUlS14_E_NS1_11comp_targetILNS1_3genE8ELNS1_11target_archE1030ELNS1_3gpuE2ELNS1_3repE0EEENS1_30default_config_static_selectorELNS0_4arch9wavefront6targetE1EEEvT1_,comdat
	.protected	_ZN7rocprim17ROCPRIM_400000_NS6detail17trampoline_kernelINS0_14default_configENS1_25partition_config_selectorILNS1_17partition_subalgoE0EyNS0_10empty_typeEbEEZZNS1_14partition_implILS5_0ELb0ES3_jN6thrust23THRUST_200600_302600_NS6detail15normal_iteratorINSA_10device_ptrIyEEEEPS6_SG_NS0_5tupleIJSF_NSA_16discard_iteratorINSA_11use_defaultEEEEEENSH_IJSG_SG_EEES6_PlJ7is_evenIyEEEE10hipError_tPvRmT3_T4_T5_T6_T7_T9_mT8_P12ihipStream_tbDpT10_ENKUlT_T0_E_clISt17integral_constantIbLb0EES18_IbLb1EEEEDaS14_S15_EUlS14_E_NS1_11comp_targetILNS1_3genE8ELNS1_11target_archE1030ELNS1_3gpuE2ELNS1_3repE0EEENS1_30default_config_static_selectorELNS0_4arch9wavefront6targetE1EEEvT1_ ; -- Begin function _ZN7rocprim17ROCPRIM_400000_NS6detail17trampoline_kernelINS0_14default_configENS1_25partition_config_selectorILNS1_17partition_subalgoE0EyNS0_10empty_typeEbEEZZNS1_14partition_implILS5_0ELb0ES3_jN6thrust23THRUST_200600_302600_NS6detail15normal_iteratorINSA_10device_ptrIyEEEEPS6_SG_NS0_5tupleIJSF_NSA_16discard_iteratorINSA_11use_defaultEEEEEENSH_IJSG_SG_EEES6_PlJ7is_evenIyEEEE10hipError_tPvRmT3_T4_T5_T6_T7_T9_mT8_P12ihipStream_tbDpT10_ENKUlT_T0_E_clISt17integral_constantIbLb0EES18_IbLb1EEEEDaS14_S15_EUlS14_E_NS1_11comp_targetILNS1_3genE8ELNS1_11target_archE1030ELNS1_3gpuE2ELNS1_3repE0EEENS1_30default_config_static_selectorELNS0_4arch9wavefront6targetE1EEEvT1_
	.globl	_ZN7rocprim17ROCPRIM_400000_NS6detail17trampoline_kernelINS0_14default_configENS1_25partition_config_selectorILNS1_17partition_subalgoE0EyNS0_10empty_typeEbEEZZNS1_14partition_implILS5_0ELb0ES3_jN6thrust23THRUST_200600_302600_NS6detail15normal_iteratorINSA_10device_ptrIyEEEEPS6_SG_NS0_5tupleIJSF_NSA_16discard_iteratorINSA_11use_defaultEEEEEENSH_IJSG_SG_EEES6_PlJ7is_evenIyEEEE10hipError_tPvRmT3_T4_T5_T6_T7_T9_mT8_P12ihipStream_tbDpT10_ENKUlT_T0_E_clISt17integral_constantIbLb0EES18_IbLb1EEEEDaS14_S15_EUlS14_E_NS1_11comp_targetILNS1_3genE8ELNS1_11target_archE1030ELNS1_3gpuE2ELNS1_3repE0EEENS1_30default_config_static_selectorELNS0_4arch9wavefront6targetE1EEEvT1_
	.p2align	8
	.type	_ZN7rocprim17ROCPRIM_400000_NS6detail17trampoline_kernelINS0_14default_configENS1_25partition_config_selectorILNS1_17partition_subalgoE0EyNS0_10empty_typeEbEEZZNS1_14partition_implILS5_0ELb0ES3_jN6thrust23THRUST_200600_302600_NS6detail15normal_iteratorINSA_10device_ptrIyEEEEPS6_SG_NS0_5tupleIJSF_NSA_16discard_iteratorINSA_11use_defaultEEEEEENSH_IJSG_SG_EEES6_PlJ7is_evenIyEEEE10hipError_tPvRmT3_T4_T5_T6_T7_T9_mT8_P12ihipStream_tbDpT10_ENKUlT_T0_E_clISt17integral_constantIbLb0EES18_IbLb1EEEEDaS14_S15_EUlS14_E_NS1_11comp_targetILNS1_3genE8ELNS1_11target_archE1030ELNS1_3gpuE2ELNS1_3repE0EEENS1_30default_config_static_selectorELNS0_4arch9wavefront6targetE1EEEvT1_,@function
_ZN7rocprim17ROCPRIM_400000_NS6detail17trampoline_kernelINS0_14default_configENS1_25partition_config_selectorILNS1_17partition_subalgoE0EyNS0_10empty_typeEbEEZZNS1_14partition_implILS5_0ELb0ES3_jN6thrust23THRUST_200600_302600_NS6detail15normal_iteratorINSA_10device_ptrIyEEEEPS6_SG_NS0_5tupleIJSF_NSA_16discard_iteratorINSA_11use_defaultEEEEEENSH_IJSG_SG_EEES6_PlJ7is_evenIyEEEE10hipError_tPvRmT3_T4_T5_T6_T7_T9_mT8_P12ihipStream_tbDpT10_ENKUlT_T0_E_clISt17integral_constantIbLb0EES18_IbLb1EEEEDaS14_S15_EUlS14_E_NS1_11comp_targetILNS1_3genE8ELNS1_11target_archE1030ELNS1_3gpuE2ELNS1_3repE0EEENS1_30default_config_static_selectorELNS0_4arch9wavefront6targetE1EEEvT1_: ; @_ZN7rocprim17ROCPRIM_400000_NS6detail17trampoline_kernelINS0_14default_configENS1_25partition_config_selectorILNS1_17partition_subalgoE0EyNS0_10empty_typeEbEEZZNS1_14partition_implILS5_0ELb0ES3_jN6thrust23THRUST_200600_302600_NS6detail15normal_iteratorINSA_10device_ptrIyEEEEPS6_SG_NS0_5tupleIJSF_NSA_16discard_iteratorINSA_11use_defaultEEEEEENSH_IJSG_SG_EEES6_PlJ7is_evenIyEEEE10hipError_tPvRmT3_T4_T5_T6_T7_T9_mT8_P12ihipStream_tbDpT10_ENKUlT_T0_E_clISt17integral_constantIbLb0EES18_IbLb1EEEEDaS14_S15_EUlS14_E_NS1_11comp_targetILNS1_3genE8ELNS1_11target_archE1030ELNS1_3gpuE2ELNS1_3repE0EEENS1_30default_config_static_selectorELNS0_4arch9wavefront6targetE1EEEvT1_
; %bb.0:
	.section	.rodata,"a",@progbits
	.p2align	6, 0x0
	.amdhsa_kernel _ZN7rocprim17ROCPRIM_400000_NS6detail17trampoline_kernelINS0_14default_configENS1_25partition_config_selectorILNS1_17partition_subalgoE0EyNS0_10empty_typeEbEEZZNS1_14partition_implILS5_0ELb0ES3_jN6thrust23THRUST_200600_302600_NS6detail15normal_iteratorINSA_10device_ptrIyEEEEPS6_SG_NS0_5tupleIJSF_NSA_16discard_iteratorINSA_11use_defaultEEEEEENSH_IJSG_SG_EEES6_PlJ7is_evenIyEEEE10hipError_tPvRmT3_T4_T5_T6_T7_T9_mT8_P12ihipStream_tbDpT10_ENKUlT_T0_E_clISt17integral_constantIbLb0EES18_IbLb1EEEEDaS14_S15_EUlS14_E_NS1_11comp_targetILNS1_3genE8ELNS1_11target_archE1030ELNS1_3gpuE2ELNS1_3repE0EEENS1_30default_config_static_selectorELNS0_4arch9wavefront6targetE1EEEvT1_
		.amdhsa_group_segment_fixed_size 0
		.amdhsa_private_segment_fixed_size 0
		.amdhsa_kernarg_size 144
		.amdhsa_user_sgpr_count 2
		.amdhsa_user_sgpr_dispatch_ptr 0
		.amdhsa_user_sgpr_queue_ptr 0
		.amdhsa_user_sgpr_kernarg_segment_ptr 1
		.amdhsa_user_sgpr_dispatch_id 0
		.amdhsa_user_sgpr_kernarg_preload_length 0
		.amdhsa_user_sgpr_kernarg_preload_offset 0
		.amdhsa_user_sgpr_private_segment_size 0
		.amdhsa_uses_dynamic_stack 0
		.amdhsa_enable_private_segment 0
		.amdhsa_system_sgpr_workgroup_id_x 1
		.amdhsa_system_sgpr_workgroup_id_y 0
		.amdhsa_system_sgpr_workgroup_id_z 0
		.amdhsa_system_sgpr_workgroup_info 0
		.amdhsa_system_vgpr_workitem_id 0
		.amdhsa_next_free_vgpr 1
		.amdhsa_next_free_sgpr 0
		.amdhsa_accum_offset 4
		.amdhsa_reserve_vcc 0
		.amdhsa_float_round_mode_32 0
		.amdhsa_float_round_mode_16_64 0
		.amdhsa_float_denorm_mode_32 3
		.amdhsa_float_denorm_mode_16_64 3
		.amdhsa_dx10_clamp 1
		.amdhsa_ieee_mode 1
		.amdhsa_fp16_overflow 0
		.amdhsa_tg_split 0
		.amdhsa_exception_fp_ieee_invalid_op 0
		.amdhsa_exception_fp_denorm_src 0
		.amdhsa_exception_fp_ieee_div_zero 0
		.amdhsa_exception_fp_ieee_overflow 0
		.amdhsa_exception_fp_ieee_underflow 0
		.amdhsa_exception_fp_ieee_inexact 0
		.amdhsa_exception_int_div_zero 0
	.end_amdhsa_kernel
	.section	.text._ZN7rocprim17ROCPRIM_400000_NS6detail17trampoline_kernelINS0_14default_configENS1_25partition_config_selectorILNS1_17partition_subalgoE0EyNS0_10empty_typeEbEEZZNS1_14partition_implILS5_0ELb0ES3_jN6thrust23THRUST_200600_302600_NS6detail15normal_iteratorINSA_10device_ptrIyEEEEPS6_SG_NS0_5tupleIJSF_NSA_16discard_iteratorINSA_11use_defaultEEEEEENSH_IJSG_SG_EEES6_PlJ7is_evenIyEEEE10hipError_tPvRmT3_T4_T5_T6_T7_T9_mT8_P12ihipStream_tbDpT10_ENKUlT_T0_E_clISt17integral_constantIbLb0EES18_IbLb1EEEEDaS14_S15_EUlS14_E_NS1_11comp_targetILNS1_3genE8ELNS1_11target_archE1030ELNS1_3gpuE2ELNS1_3repE0EEENS1_30default_config_static_selectorELNS0_4arch9wavefront6targetE1EEEvT1_,"axG",@progbits,_ZN7rocprim17ROCPRIM_400000_NS6detail17trampoline_kernelINS0_14default_configENS1_25partition_config_selectorILNS1_17partition_subalgoE0EyNS0_10empty_typeEbEEZZNS1_14partition_implILS5_0ELb0ES3_jN6thrust23THRUST_200600_302600_NS6detail15normal_iteratorINSA_10device_ptrIyEEEEPS6_SG_NS0_5tupleIJSF_NSA_16discard_iteratorINSA_11use_defaultEEEEEENSH_IJSG_SG_EEES6_PlJ7is_evenIyEEEE10hipError_tPvRmT3_T4_T5_T6_T7_T9_mT8_P12ihipStream_tbDpT10_ENKUlT_T0_E_clISt17integral_constantIbLb0EES18_IbLb1EEEEDaS14_S15_EUlS14_E_NS1_11comp_targetILNS1_3genE8ELNS1_11target_archE1030ELNS1_3gpuE2ELNS1_3repE0EEENS1_30default_config_static_selectorELNS0_4arch9wavefront6targetE1EEEvT1_,comdat
.Lfunc_end2362:
	.size	_ZN7rocprim17ROCPRIM_400000_NS6detail17trampoline_kernelINS0_14default_configENS1_25partition_config_selectorILNS1_17partition_subalgoE0EyNS0_10empty_typeEbEEZZNS1_14partition_implILS5_0ELb0ES3_jN6thrust23THRUST_200600_302600_NS6detail15normal_iteratorINSA_10device_ptrIyEEEEPS6_SG_NS0_5tupleIJSF_NSA_16discard_iteratorINSA_11use_defaultEEEEEENSH_IJSG_SG_EEES6_PlJ7is_evenIyEEEE10hipError_tPvRmT3_T4_T5_T6_T7_T9_mT8_P12ihipStream_tbDpT10_ENKUlT_T0_E_clISt17integral_constantIbLb0EES18_IbLb1EEEEDaS14_S15_EUlS14_E_NS1_11comp_targetILNS1_3genE8ELNS1_11target_archE1030ELNS1_3gpuE2ELNS1_3repE0EEENS1_30default_config_static_selectorELNS0_4arch9wavefront6targetE1EEEvT1_, .Lfunc_end2362-_ZN7rocprim17ROCPRIM_400000_NS6detail17trampoline_kernelINS0_14default_configENS1_25partition_config_selectorILNS1_17partition_subalgoE0EyNS0_10empty_typeEbEEZZNS1_14partition_implILS5_0ELb0ES3_jN6thrust23THRUST_200600_302600_NS6detail15normal_iteratorINSA_10device_ptrIyEEEEPS6_SG_NS0_5tupleIJSF_NSA_16discard_iteratorINSA_11use_defaultEEEEEENSH_IJSG_SG_EEES6_PlJ7is_evenIyEEEE10hipError_tPvRmT3_T4_T5_T6_T7_T9_mT8_P12ihipStream_tbDpT10_ENKUlT_T0_E_clISt17integral_constantIbLb0EES18_IbLb1EEEEDaS14_S15_EUlS14_E_NS1_11comp_targetILNS1_3genE8ELNS1_11target_archE1030ELNS1_3gpuE2ELNS1_3repE0EEENS1_30default_config_static_selectorELNS0_4arch9wavefront6targetE1EEEvT1_
                                        ; -- End function
	.section	.AMDGPU.csdata,"",@progbits
; Kernel info:
; codeLenInByte = 0
; NumSgprs: 6
; NumVgprs: 0
; NumAgprs: 0
; TotalNumVgprs: 0
; ScratchSize: 0
; MemoryBound: 0
; FloatMode: 240
; IeeeMode: 1
; LDSByteSize: 0 bytes/workgroup (compile time only)
; SGPRBlocks: 0
; VGPRBlocks: 0
; NumSGPRsForWavesPerEU: 6
; NumVGPRsForWavesPerEU: 1
; AccumOffset: 4
; Occupancy: 8
; WaveLimiterHint : 0
; COMPUTE_PGM_RSRC2:SCRATCH_EN: 0
; COMPUTE_PGM_RSRC2:USER_SGPR: 2
; COMPUTE_PGM_RSRC2:TRAP_HANDLER: 0
; COMPUTE_PGM_RSRC2:TGID_X_EN: 1
; COMPUTE_PGM_RSRC2:TGID_Y_EN: 0
; COMPUTE_PGM_RSRC2:TGID_Z_EN: 0
; COMPUTE_PGM_RSRC2:TIDIG_COMP_CNT: 0
; COMPUTE_PGM_RSRC3_GFX90A:ACCUM_OFFSET: 0
; COMPUTE_PGM_RSRC3_GFX90A:TG_SPLIT: 0
	.section	.text._ZN7rocprim17ROCPRIM_400000_NS6detail17trampoline_kernelINS0_14default_configENS1_25partition_config_selectorILNS1_17partition_subalgoE0EyNS0_10empty_typeEbEEZZNS1_14partition_implILS5_0ELb0ES3_jN6thrust23THRUST_200600_302600_NS6detail15normal_iteratorINSA_10device_ptrIyEEEEPS6_SG_NS0_5tupleIJNSA_16discard_iteratorINSA_11use_defaultEEESF_EEENSH_IJSG_SG_EEES6_PlJ7is_evenIyEEEE10hipError_tPvRmT3_T4_T5_T6_T7_T9_mT8_P12ihipStream_tbDpT10_ENKUlT_T0_E_clISt17integral_constantIbLb0EES19_EEDaS14_S15_EUlS14_E_NS1_11comp_targetILNS1_3genE0ELNS1_11target_archE4294967295ELNS1_3gpuE0ELNS1_3repE0EEENS1_30default_config_static_selectorELNS0_4arch9wavefront6targetE1EEEvT1_,"axG",@progbits,_ZN7rocprim17ROCPRIM_400000_NS6detail17trampoline_kernelINS0_14default_configENS1_25partition_config_selectorILNS1_17partition_subalgoE0EyNS0_10empty_typeEbEEZZNS1_14partition_implILS5_0ELb0ES3_jN6thrust23THRUST_200600_302600_NS6detail15normal_iteratorINSA_10device_ptrIyEEEEPS6_SG_NS0_5tupleIJNSA_16discard_iteratorINSA_11use_defaultEEESF_EEENSH_IJSG_SG_EEES6_PlJ7is_evenIyEEEE10hipError_tPvRmT3_T4_T5_T6_T7_T9_mT8_P12ihipStream_tbDpT10_ENKUlT_T0_E_clISt17integral_constantIbLb0EES19_EEDaS14_S15_EUlS14_E_NS1_11comp_targetILNS1_3genE0ELNS1_11target_archE4294967295ELNS1_3gpuE0ELNS1_3repE0EEENS1_30default_config_static_selectorELNS0_4arch9wavefront6targetE1EEEvT1_,comdat
	.protected	_ZN7rocprim17ROCPRIM_400000_NS6detail17trampoline_kernelINS0_14default_configENS1_25partition_config_selectorILNS1_17partition_subalgoE0EyNS0_10empty_typeEbEEZZNS1_14partition_implILS5_0ELb0ES3_jN6thrust23THRUST_200600_302600_NS6detail15normal_iteratorINSA_10device_ptrIyEEEEPS6_SG_NS0_5tupleIJNSA_16discard_iteratorINSA_11use_defaultEEESF_EEENSH_IJSG_SG_EEES6_PlJ7is_evenIyEEEE10hipError_tPvRmT3_T4_T5_T6_T7_T9_mT8_P12ihipStream_tbDpT10_ENKUlT_T0_E_clISt17integral_constantIbLb0EES19_EEDaS14_S15_EUlS14_E_NS1_11comp_targetILNS1_3genE0ELNS1_11target_archE4294967295ELNS1_3gpuE0ELNS1_3repE0EEENS1_30default_config_static_selectorELNS0_4arch9wavefront6targetE1EEEvT1_ ; -- Begin function _ZN7rocprim17ROCPRIM_400000_NS6detail17trampoline_kernelINS0_14default_configENS1_25partition_config_selectorILNS1_17partition_subalgoE0EyNS0_10empty_typeEbEEZZNS1_14partition_implILS5_0ELb0ES3_jN6thrust23THRUST_200600_302600_NS6detail15normal_iteratorINSA_10device_ptrIyEEEEPS6_SG_NS0_5tupleIJNSA_16discard_iteratorINSA_11use_defaultEEESF_EEENSH_IJSG_SG_EEES6_PlJ7is_evenIyEEEE10hipError_tPvRmT3_T4_T5_T6_T7_T9_mT8_P12ihipStream_tbDpT10_ENKUlT_T0_E_clISt17integral_constantIbLb0EES19_EEDaS14_S15_EUlS14_E_NS1_11comp_targetILNS1_3genE0ELNS1_11target_archE4294967295ELNS1_3gpuE0ELNS1_3repE0EEENS1_30default_config_static_selectorELNS0_4arch9wavefront6targetE1EEEvT1_
	.globl	_ZN7rocprim17ROCPRIM_400000_NS6detail17trampoline_kernelINS0_14default_configENS1_25partition_config_selectorILNS1_17partition_subalgoE0EyNS0_10empty_typeEbEEZZNS1_14partition_implILS5_0ELb0ES3_jN6thrust23THRUST_200600_302600_NS6detail15normal_iteratorINSA_10device_ptrIyEEEEPS6_SG_NS0_5tupleIJNSA_16discard_iteratorINSA_11use_defaultEEESF_EEENSH_IJSG_SG_EEES6_PlJ7is_evenIyEEEE10hipError_tPvRmT3_T4_T5_T6_T7_T9_mT8_P12ihipStream_tbDpT10_ENKUlT_T0_E_clISt17integral_constantIbLb0EES19_EEDaS14_S15_EUlS14_E_NS1_11comp_targetILNS1_3genE0ELNS1_11target_archE4294967295ELNS1_3gpuE0ELNS1_3repE0EEENS1_30default_config_static_selectorELNS0_4arch9wavefront6targetE1EEEvT1_
	.p2align	8
	.type	_ZN7rocprim17ROCPRIM_400000_NS6detail17trampoline_kernelINS0_14default_configENS1_25partition_config_selectorILNS1_17partition_subalgoE0EyNS0_10empty_typeEbEEZZNS1_14partition_implILS5_0ELb0ES3_jN6thrust23THRUST_200600_302600_NS6detail15normal_iteratorINSA_10device_ptrIyEEEEPS6_SG_NS0_5tupleIJNSA_16discard_iteratorINSA_11use_defaultEEESF_EEENSH_IJSG_SG_EEES6_PlJ7is_evenIyEEEE10hipError_tPvRmT3_T4_T5_T6_T7_T9_mT8_P12ihipStream_tbDpT10_ENKUlT_T0_E_clISt17integral_constantIbLb0EES19_EEDaS14_S15_EUlS14_E_NS1_11comp_targetILNS1_3genE0ELNS1_11target_archE4294967295ELNS1_3gpuE0ELNS1_3repE0EEENS1_30default_config_static_selectorELNS0_4arch9wavefront6targetE1EEEvT1_,@function
_ZN7rocprim17ROCPRIM_400000_NS6detail17trampoline_kernelINS0_14default_configENS1_25partition_config_selectorILNS1_17partition_subalgoE0EyNS0_10empty_typeEbEEZZNS1_14partition_implILS5_0ELb0ES3_jN6thrust23THRUST_200600_302600_NS6detail15normal_iteratorINSA_10device_ptrIyEEEEPS6_SG_NS0_5tupleIJNSA_16discard_iteratorINSA_11use_defaultEEESF_EEENSH_IJSG_SG_EEES6_PlJ7is_evenIyEEEE10hipError_tPvRmT3_T4_T5_T6_T7_T9_mT8_P12ihipStream_tbDpT10_ENKUlT_T0_E_clISt17integral_constantIbLb0EES19_EEDaS14_S15_EUlS14_E_NS1_11comp_targetILNS1_3genE0ELNS1_11target_archE4294967295ELNS1_3gpuE0ELNS1_3repE0EEENS1_30default_config_static_selectorELNS0_4arch9wavefront6targetE1EEEvT1_: ; @_ZN7rocprim17ROCPRIM_400000_NS6detail17trampoline_kernelINS0_14default_configENS1_25partition_config_selectorILNS1_17partition_subalgoE0EyNS0_10empty_typeEbEEZZNS1_14partition_implILS5_0ELb0ES3_jN6thrust23THRUST_200600_302600_NS6detail15normal_iteratorINSA_10device_ptrIyEEEEPS6_SG_NS0_5tupleIJNSA_16discard_iteratorINSA_11use_defaultEEESF_EEENSH_IJSG_SG_EEES6_PlJ7is_evenIyEEEE10hipError_tPvRmT3_T4_T5_T6_T7_T9_mT8_P12ihipStream_tbDpT10_ENKUlT_T0_E_clISt17integral_constantIbLb0EES19_EEDaS14_S15_EUlS14_E_NS1_11comp_targetILNS1_3genE0ELNS1_11target_archE4294967295ELNS1_3gpuE0ELNS1_3repE0EEENS1_30default_config_static_selectorELNS0_4arch9wavefront6targetE1EEEvT1_
; %bb.0:
	.section	.rodata,"a",@progbits
	.p2align	6, 0x0
	.amdhsa_kernel _ZN7rocprim17ROCPRIM_400000_NS6detail17trampoline_kernelINS0_14default_configENS1_25partition_config_selectorILNS1_17partition_subalgoE0EyNS0_10empty_typeEbEEZZNS1_14partition_implILS5_0ELb0ES3_jN6thrust23THRUST_200600_302600_NS6detail15normal_iteratorINSA_10device_ptrIyEEEEPS6_SG_NS0_5tupleIJNSA_16discard_iteratorINSA_11use_defaultEEESF_EEENSH_IJSG_SG_EEES6_PlJ7is_evenIyEEEE10hipError_tPvRmT3_T4_T5_T6_T7_T9_mT8_P12ihipStream_tbDpT10_ENKUlT_T0_E_clISt17integral_constantIbLb0EES19_EEDaS14_S15_EUlS14_E_NS1_11comp_targetILNS1_3genE0ELNS1_11target_archE4294967295ELNS1_3gpuE0ELNS1_3repE0EEENS1_30default_config_static_selectorELNS0_4arch9wavefront6targetE1EEEvT1_
		.amdhsa_group_segment_fixed_size 0
		.amdhsa_private_segment_fixed_size 0
		.amdhsa_kernarg_size 128
		.amdhsa_user_sgpr_count 2
		.amdhsa_user_sgpr_dispatch_ptr 0
		.amdhsa_user_sgpr_queue_ptr 0
		.amdhsa_user_sgpr_kernarg_segment_ptr 1
		.amdhsa_user_sgpr_dispatch_id 0
		.amdhsa_user_sgpr_kernarg_preload_length 0
		.amdhsa_user_sgpr_kernarg_preload_offset 0
		.amdhsa_user_sgpr_private_segment_size 0
		.amdhsa_uses_dynamic_stack 0
		.amdhsa_enable_private_segment 0
		.amdhsa_system_sgpr_workgroup_id_x 1
		.amdhsa_system_sgpr_workgroup_id_y 0
		.amdhsa_system_sgpr_workgroup_id_z 0
		.amdhsa_system_sgpr_workgroup_info 0
		.amdhsa_system_vgpr_workitem_id 0
		.amdhsa_next_free_vgpr 1
		.amdhsa_next_free_sgpr 0
		.amdhsa_accum_offset 4
		.amdhsa_reserve_vcc 0
		.amdhsa_float_round_mode_32 0
		.amdhsa_float_round_mode_16_64 0
		.amdhsa_float_denorm_mode_32 3
		.amdhsa_float_denorm_mode_16_64 3
		.amdhsa_dx10_clamp 1
		.amdhsa_ieee_mode 1
		.amdhsa_fp16_overflow 0
		.amdhsa_tg_split 0
		.amdhsa_exception_fp_ieee_invalid_op 0
		.amdhsa_exception_fp_denorm_src 0
		.amdhsa_exception_fp_ieee_div_zero 0
		.amdhsa_exception_fp_ieee_overflow 0
		.amdhsa_exception_fp_ieee_underflow 0
		.amdhsa_exception_fp_ieee_inexact 0
		.amdhsa_exception_int_div_zero 0
	.end_amdhsa_kernel
	.section	.text._ZN7rocprim17ROCPRIM_400000_NS6detail17trampoline_kernelINS0_14default_configENS1_25partition_config_selectorILNS1_17partition_subalgoE0EyNS0_10empty_typeEbEEZZNS1_14partition_implILS5_0ELb0ES3_jN6thrust23THRUST_200600_302600_NS6detail15normal_iteratorINSA_10device_ptrIyEEEEPS6_SG_NS0_5tupleIJNSA_16discard_iteratorINSA_11use_defaultEEESF_EEENSH_IJSG_SG_EEES6_PlJ7is_evenIyEEEE10hipError_tPvRmT3_T4_T5_T6_T7_T9_mT8_P12ihipStream_tbDpT10_ENKUlT_T0_E_clISt17integral_constantIbLb0EES19_EEDaS14_S15_EUlS14_E_NS1_11comp_targetILNS1_3genE0ELNS1_11target_archE4294967295ELNS1_3gpuE0ELNS1_3repE0EEENS1_30default_config_static_selectorELNS0_4arch9wavefront6targetE1EEEvT1_,"axG",@progbits,_ZN7rocprim17ROCPRIM_400000_NS6detail17trampoline_kernelINS0_14default_configENS1_25partition_config_selectorILNS1_17partition_subalgoE0EyNS0_10empty_typeEbEEZZNS1_14partition_implILS5_0ELb0ES3_jN6thrust23THRUST_200600_302600_NS6detail15normal_iteratorINSA_10device_ptrIyEEEEPS6_SG_NS0_5tupleIJNSA_16discard_iteratorINSA_11use_defaultEEESF_EEENSH_IJSG_SG_EEES6_PlJ7is_evenIyEEEE10hipError_tPvRmT3_T4_T5_T6_T7_T9_mT8_P12ihipStream_tbDpT10_ENKUlT_T0_E_clISt17integral_constantIbLb0EES19_EEDaS14_S15_EUlS14_E_NS1_11comp_targetILNS1_3genE0ELNS1_11target_archE4294967295ELNS1_3gpuE0ELNS1_3repE0EEENS1_30default_config_static_selectorELNS0_4arch9wavefront6targetE1EEEvT1_,comdat
.Lfunc_end2363:
	.size	_ZN7rocprim17ROCPRIM_400000_NS6detail17trampoline_kernelINS0_14default_configENS1_25partition_config_selectorILNS1_17partition_subalgoE0EyNS0_10empty_typeEbEEZZNS1_14partition_implILS5_0ELb0ES3_jN6thrust23THRUST_200600_302600_NS6detail15normal_iteratorINSA_10device_ptrIyEEEEPS6_SG_NS0_5tupleIJNSA_16discard_iteratorINSA_11use_defaultEEESF_EEENSH_IJSG_SG_EEES6_PlJ7is_evenIyEEEE10hipError_tPvRmT3_T4_T5_T6_T7_T9_mT8_P12ihipStream_tbDpT10_ENKUlT_T0_E_clISt17integral_constantIbLb0EES19_EEDaS14_S15_EUlS14_E_NS1_11comp_targetILNS1_3genE0ELNS1_11target_archE4294967295ELNS1_3gpuE0ELNS1_3repE0EEENS1_30default_config_static_selectorELNS0_4arch9wavefront6targetE1EEEvT1_, .Lfunc_end2363-_ZN7rocprim17ROCPRIM_400000_NS6detail17trampoline_kernelINS0_14default_configENS1_25partition_config_selectorILNS1_17partition_subalgoE0EyNS0_10empty_typeEbEEZZNS1_14partition_implILS5_0ELb0ES3_jN6thrust23THRUST_200600_302600_NS6detail15normal_iteratorINSA_10device_ptrIyEEEEPS6_SG_NS0_5tupleIJNSA_16discard_iteratorINSA_11use_defaultEEESF_EEENSH_IJSG_SG_EEES6_PlJ7is_evenIyEEEE10hipError_tPvRmT3_T4_T5_T6_T7_T9_mT8_P12ihipStream_tbDpT10_ENKUlT_T0_E_clISt17integral_constantIbLb0EES19_EEDaS14_S15_EUlS14_E_NS1_11comp_targetILNS1_3genE0ELNS1_11target_archE4294967295ELNS1_3gpuE0ELNS1_3repE0EEENS1_30default_config_static_selectorELNS0_4arch9wavefront6targetE1EEEvT1_
                                        ; -- End function
	.section	.AMDGPU.csdata,"",@progbits
; Kernel info:
; codeLenInByte = 0
; NumSgprs: 6
; NumVgprs: 0
; NumAgprs: 0
; TotalNumVgprs: 0
; ScratchSize: 0
; MemoryBound: 0
; FloatMode: 240
; IeeeMode: 1
; LDSByteSize: 0 bytes/workgroup (compile time only)
; SGPRBlocks: 0
; VGPRBlocks: 0
; NumSGPRsForWavesPerEU: 6
; NumVGPRsForWavesPerEU: 1
; AccumOffset: 4
; Occupancy: 8
; WaveLimiterHint : 0
; COMPUTE_PGM_RSRC2:SCRATCH_EN: 0
; COMPUTE_PGM_RSRC2:USER_SGPR: 2
; COMPUTE_PGM_RSRC2:TRAP_HANDLER: 0
; COMPUTE_PGM_RSRC2:TGID_X_EN: 1
; COMPUTE_PGM_RSRC2:TGID_Y_EN: 0
; COMPUTE_PGM_RSRC2:TGID_Z_EN: 0
; COMPUTE_PGM_RSRC2:TIDIG_COMP_CNT: 0
; COMPUTE_PGM_RSRC3_GFX90A:ACCUM_OFFSET: 0
; COMPUTE_PGM_RSRC3_GFX90A:TG_SPLIT: 0
	.section	.text._ZN7rocprim17ROCPRIM_400000_NS6detail17trampoline_kernelINS0_14default_configENS1_25partition_config_selectorILNS1_17partition_subalgoE0EyNS0_10empty_typeEbEEZZNS1_14partition_implILS5_0ELb0ES3_jN6thrust23THRUST_200600_302600_NS6detail15normal_iteratorINSA_10device_ptrIyEEEEPS6_SG_NS0_5tupleIJNSA_16discard_iteratorINSA_11use_defaultEEESF_EEENSH_IJSG_SG_EEES6_PlJ7is_evenIyEEEE10hipError_tPvRmT3_T4_T5_T6_T7_T9_mT8_P12ihipStream_tbDpT10_ENKUlT_T0_E_clISt17integral_constantIbLb0EES19_EEDaS14_S15_EUlS14_E_NS1_11comp_targetILNS1_3genE5ELNS1_11target_archE942ELNS1_3gpuE9ELNS1_3repE0EEENS1_30default_config_static_selectorELNS0_4arch9wavefront6targetE1EEEvT1_,"axG",@progbits,_ZN7rocprim17ROCPRIM_400000_NS6detail17trampoline_kernelINS0_14default_configENS1_25partition_config_selectorILNS1_17partition_subalgoE0EyNS0_10empty_typeEbEEZZNS1_14partition_implILS5_0ELb0ES3_jN6thrust23THRUST_200600_302600_NS6detail15normal_iteratorINSA_10device_ptrIyEEEEPS6_SG_NS0_5tupleIJNSA_16discard_iteratorINSA_11use_defaultEEESF_EEENSH_IJSG_SG_EEES6_PlJ7is_evenIyEEEE10hipError_tPvRmT3_T4_T5_T6_T7_T9_mT8_P12ihipStream_tbDpT10_ENKUlT_T0_E_clISt17integral_constantIbLb0EES19_EEDaS14_S15_EUlS14_E_NS1_11comp_targetILNS1_3genE5ELNS1_11target_archE942ELNS1_3gpuE9ELNS1_3repE0EEENS1_30default_config_static_selectorELNS0_4arch9wavefront6targetE1EEEvT1_,comdat
	.protected	_ZN7rocprim17ROCPRIM_400000_NS6detail17trampoline_kernelINS0_14default_configENS1_25partition_config_selectorILNS1_17partition_subalgoE0EyNS0_10empty_typeEbEEZZNS1_14partition_implILS5_0ELb0ES3_jN6thrust23THRUST_200600_302600_NS6detail15normal_iteratorINSA_10device_ptrIyEEEEPS6_SG_NS0_5tupleIJNSA_16discard_iteratorINSA_11use_defaultEEESF_EEENSH_IJSG_SG_EEES6_PlJ7is_evenIyEEEE10hipError_tPvRmT3_T4_T5_T6_T7_T9_mT8_P12ihipStream_tbDpT10_ENKUlT_T0_E_clISt17integral_constantIbLb0EES19_EEDaS14_S15_EUlS14_E_NS1_11comp_targetILNS1_3genE5ELNS1_11target_archE942ELNS1_3gpuE9ELNS1_3repE0EEENS1_30default_config_static_selectorELNS0_4arch9wavefront6targetE1EEEvT1_ ; -- Begin function _ZN7rocprim17ROCPRIM_400000_NS6detail17trampoline_kernelINS0_14default_configENS1_25partition_config_selectorILNS1_17partition_subalgoE0EyNS0_10empty_typeEbEEZZNS1_14partition_implILS5_0ELb0ES3_jN6thrust23THRUST_200600_302600_NS6detail15normal_iteratorINSA_10device_ptrIyEEEEPS6_SG_NS0_5tupleIJNSA_16discard_iteratorINSA_11use_defaultEEESF_EEENSH_IJSG_SG_EEES6_PlJ7is_evenIyEEEE10hipError_tPvRmT3_T4_T5_T6_T7_T9_mT8_P12ihipStream_tbDpT10_ENKUlT_T0_E_clISt17integral_constantIbLb0EES19_EEDaS14_S15_EUlS14_E_NS1_11comp_targetILNS1_3genE5ELNS1_11target_archE942ELNS1_3gpuE9ELNS1_3repE0EEENS1_30default_config_static_selectorELNS0_4arch9wavefront6targetE1EEEvT1_
	.globl	_ZN7rocprim17ROCPRIM_400000_NS6detail17trampoline_kernelINS0_14default_configENS1_25partition_config_selectorILNS1_17partition_subalgoE0EyNS0_10empty_typeEbEEZZNS1_14partition_implILS5_0ELb0ES3_jN6thrust23THRUST_200600_302600_NS6detail15normal_iteratorINSA_10device_ptrIyEEEEPS6_SG_NS0_5tupleIJNSA_16discard_iteratorINSA_11use_defaultEEESF_EEENSH_IJSG_SG_EEES6_PlJ7is_evenIyEEEE10hipError_tPvRmT3_T4_T5_T6_T7_T9_mT8_P12ihipStream_tbDpT10_ENKUlT_T0_E_clISt17integral_constantIbLb0EES19_EEDaS14_S15_EUlS14_E_NS1_11comp_targetILNS1_3genE5ELNS1_11target_archE942ELNS1_3gpuE9ELNS1_3repE0EEENS1_30default_config_static_selectorELNS0_4arch9wavefront6targetE1EEEvT1_
	.p2align	8
	.type	_ZN7rocprim17ROCPRIM_400000_NS6detail17trampoline_kernelINS0_14default_configENS1_25partition_config_selectorILNS1_17partition_subalgoE0EyNS0_10empty_typeEbEEZZNS1_14partition_implILS5_0ELb0ES3_jN6thrust23THRUST_200600_302600_NS6detail15normal_iteratorINSA_10device_ptrIyEEEEPS6_SG_NS0_5tupleIJNSA_16discard_iteratorINSA_11use_defaultEEESF_EEENSH_IJSG_SG_EEES6_PlJ7is_evenIyEEEE10hipError_tPvRmT3_T4_T5_T6_T7_T9_mT8_P12ihipStream_tbDpT10_ENKUlT_T0_E_clISt17integral_constantIbLb0EES19_EEDaS14_S15_EUlS14_E_NS1_11comp_targetILNS1_3genE5ELNS1_11target_archE942ELNS1_3gpuE9ELNS1_3repE0EEENS1_30default_config_static_selectorELNS0_4arch9wavefront6targetE1EEEvT1_,@function
_ZN7rocprim17ROCPRIM_400000_NS6detail17trampoline_kernelINS0_14default_configENS1_25partition_config_selectorILNS1_17partition_subalgoE0EyNS0_10empty_typeEbEEZZNS1_14partition_implILS5_0ELb0ES3_jN6thrust23THRUST_200600_302600_NS6detail15normal_iteratorINSA_10device_ptrIyEEEEPS6_SG_NS0_5tupleIJNSA_16discard_iteratorINSA_11use_defaultEEESF_EEENSH_IJSG_SG_EEES6_PlJ7is_evenIyEEEE10hipError_tPvRmT3_T4_T5_T6_T7_T9_mT8_P12ihipStream_tbDpT10_ENKUlT_T0_E_clISt17integral_constantIbLb0EES19_EEDaS14_S15_EUlS14_E_NS1_11comp_targetILNS1_3genE5ELNS1_11target_archE942ELNS1_3gpuE9ELNS1_3repE0EEENS1_30default_config_static_selectorELNS0_4arch9wavefront6targetE1EEEvT1_: ; @_ZN7rocprim17ROCPRIM_400000_NS6detail17trampoline_kernelINS0_14default_configENS1_25partition_config_selectorILNS1_17partition_subalgoE0EyNS0_10empty_typeEbEEZZNS1_14partition_implILS5_0ELb0ES3_jN6thrust23THRUST_200600_302600_NS6detail15normal_iteratorINSA_10device_ptrIyEEEEPS6_SG_NS0_5tupleIJNSA_16discard_iteratorINSA_11use_defaultEEESF_EEENSH_IJSG_SG_EEES6_PlJ7is_evenIyEEEE10hipError_tPvRmT3_T4_T5_T6_T7_T9_mT8_P12ihipStream_tbDpT10_ENKUlT_T0_E_clISt17integral_constantIbLb0EES19_EEDaS14_S15_EUlS14_E_NS1_11comp_targetILNS1_3genE5ELNS1_11target_archE942ELNS1_3gpuE9ELNS1_3repE0EEENS1_30default_config_static_selectorELNS0_4arch9wavefront6targetE1EEEvT1_
; %bb.0:
	s_load_dwordx2 s[4:5], s[0:1], 0x60
	s_load_dwordx4 s[20:23], s[0:1], 0x8
	s_load_dwordx4 s[24:27], s[0:1], 0x50
	s_load_dword s3, s[0:1], 0x78
	s_mul_i32 s8, s2, 0xe00
	s_waitcnt lgkmcnt(0)
	v_mov_b32_e32 v3, s5
	s_lshl_b64 s[6:7], s[22:23], 3
	s_add_u32 s10, s20, s6
	s_addc_u32 s11, s21, s7
	s_add_i32 s6, s3, -1
	s_mulk_i32 s3, 0xe00
	s_add_i32 s5, s3, s22
	s_sub_i32 s33, s4, s5
	s_addk_i32 s33, 0xe00
	v_mov_b32_e32 v2, s4
	s_add_u32 s4, s22, s3
	s_addc_u32 s5, s23, 0
	s_cmp_eq_u32 s2, s6
	s_load_dwordx2 s[28:29], s[26:27], 0x0
	s_cselect_b64 s[26:27], -1, 0
	s_cmp_lg_u32 s2, s6
	s_mov_b32 s9, 0
	v_cmp_lt_u64_e32 vcc, s[4:5], v[2:3]
	s_cselect_b64 s[4:5], -1, 0
	s_or_b64 s[6:7], s[4:5], vcc
	s_lshl_b64 s[30:31], s[8:9], 3
	s_add_u32 s8, s10, s30
	s_addc_u32 s9, s11, s31
	s_mov_b64 s[4:5], -1
	s_and_b64 vcc, exec, s[6:7]
	v_lshlrev_b32_e32 v18, 3, v0
	s_cbranch_vccz .LBB2364_2
; %bb.1:
	v_mov_b32_e32 v19, 0
	v_lshl_add_u64 v[2:3], s[8:9], 0, v[18:19]
	v_add_co_u32_e32 v4, vcc, 0x1000, v2
	s_mov_b64 s[4:5], 0
	s_nop 0
	v_addc_co_u32_e32 v5, vcc, 0, v3, vcc
	v_add_co_u32_e32 v6, vcc, 0x2000, v2
	s_nop 1
	v_addc_co_u32_e32 v7, vcc, 0, v3, vcc
	v_add_co_u32_e32 v8, vcc, 0x3000, v2
	s_nop 1
	v_addc_co_u32_e32 v9, vcc, 0, v3, vcc
	flat_load_dwordx2 v[10:11], v[2:3]
	flat_load_dwordx2 v[12:13], v[4:5]
	;; [unrolled: 1-line block ×4, first 2 shown]
	v_add_co_u32_e32 v4, vcc, 0x4000, v2
	s_nop 1
	v_addc_co_u32_e32 v5, vcc, 0, v3, vcc
	v_add_co_u32_e32 v6, vcc, 0x5000, v2
	s_nop 1
	v_addc_co_u32_e32 v7, vcc, 0, v3, vcc
	;; [unrolled: 3-line block ×3, first 2 shown]
	flat_load_dwordx2 v[8:9], v[4:5]
	flat_load_dwordx2 v[20:21], v[6:7]
	;; [unrolled: 1-line block ×3, first 2 shown]
	s_waitcnt vmcnt(0) lgkmcnt(0)
	ds_write2st64_b64 v18, v[10:11], v[12:13] offset1:8
	ds_write2st64_b64 v18, v[14:15], v[16:17] offset0:16 offset1:24
	ds_write2st64_b64 v18, v[8:9], v[20:21] offset0:32 offset1:40
	ds_write_b64 v18, v[22:23] offset:24576
	s_waitcnt lgkmcnt(0)
	s_barrier
.LBB2364_2:
	s_andn2_b64 vcc, exec, s[4:5]
	v_cmp_gt_u32_e64 s[4:5], s33, v0
	s_cbranch_vccnz .LBB2364_18
; %bb.3:
                                        ; implicit-def: $vgpr2_vgpr3_vgpr4_vgpr5_vgpr6_vgpr7_vgpr8_vgpr9_vgpr10_vgpr11_vgpr12_vgpr13_vgpr14_vgpr15_vgpr16_vgpr17
	s_and_saveexec_b64 s[10:11], s[4:5]
	s_cbranch_execz .LBB2364_5
; %bb.4:
	v_mov_b32_e32 v19, 0
	v_lshl_add_u64 v[2:3], s[8:9], 0, v[18:19]
	flat_load_dwordx2 v[2:3], v[2:3]
.LBB2364_5:
	s_or_b64 exec, exec, s[10:11]
	v_or_b32_e32 v1, 0x200, v0
	v_cmp_gt_u32_e32 vcc, s33, v1
	s_and_saveexec_b64 s[4:5], vcc
	s_cbranch_execz .LBB2364_7
; %bb.6:
	v_lshlrev_b32_e32 v4, 3, v1
	v_mov_b32_e32 v5, 0
	v_lshl_add_u64 v[4:5], s[8:9], 0, v[4:5]
	flat_load_dwordx2 v[4:5], v[4:5]
.LBB2364_7:
	s_or_b64 exec, exec, s[4:5]
	v_or_b32_e32 v1, 0x400, v0
	v_cmp_gt_u32_e32 vcc, s33, v1
	s_and_saveexec_b64 s[4:5], vcc
	s_cbranch_execz .LBB2364_9
; %bb.8:
	v_lshlrev_b32_e32 v6, 3, v1
	v_mov_b32_e32 v7, 0
	v_lshl_add_u64 v[6:7], s[8:9], 0, v[6:7]
	flat_load_dwordx2 v[6:7], v[6:7]
.LBB2364_9:
	;; [unrolled: 11-line block ×6, first 2 shown]
	s_or_b64 exec, exec, s[4:5]
	s_waitcnt vmcnt(0) lgkmcnt(0)
	ds_write2st64_b64 v18, v[2:3], v[4:5] offset1:8
	ds_write2st64_b64 v18, v[6:7], v[8:9] offset0:16 offset1:24
	ds_write2st64_b64 v18, v[10:11], v[12:13] offset0:32 offset1:40
	ds_write_b64 v18, v[14:15] offset:24576
	s_waitcnt lgkmcnt(0)
	s_barrier
.LBB2364_18:
	v_mul_u32_u24_e32 v1, 7, v0
	v_lshlrev_b32_e32 v32, 3, v1
	s_waitcnt lgkmcnt(0)
	ds_read2_b64 v[10:13], v32 offset1:1
	ds_read2_b64 v[6:9], v32 offset0:2 offset1:3
	ds_read2_b64 v[2:5], v32 offset0:4 offset1:5
	ds_read_b64 v[14:15], v32 offset:48
	v_cndmask_b32_e64 v16, 0, 1, s[6:7]
	v_cmp_ne_u32_e64 s[20:21], 1, v16
	s_andn2_b64 vcc, exec, s[6:7]
	s_waitcnt lgkmcnt(3)
	v_xor_b32_e32 v24, -1, v10
	v_xor_b32_e32 v23, -1, v12
	s_waitcnt lgkmcnt(2)
	v_xor_b32_e32 v22, -1, v6
	v_xor_b32_e32 v21, -1, v8
	s_waitcnt lgkmcnt(1)
	v_xor_b32_e32 v20, -1, v2
	v_xor_b32_e32 v17, -1, v4
	s_waitcnt lgkmcnt(0)
	v_xor_b32_e32 v16, -1, v14
	s_barrier
	s_cbranch_vccnz .LBB2364_20
; %bb.19:
	v_mov_b32_e32 v19, 1
	v_and_b32_e32 v25, 1, v24
	v_and_b32_sdwa v26, v23, v19 dst_sel:BYTE_1 dst_unused:UNUSED_PAD src0_sel:DWORD src1_sel:DWORD
	v_and_b32_e32 v27, 1, v22
	v_and_b32_sdwa v30, v21, v19 dst_sel:BYTE_1 dst_unused:UNUSED_PAD src0_sel:DWORD src1_sel:DWORD
	v_or_b32_e32 v25, v25, v26
	v_or_b32_sdwa v26, v27, v30 dst_sel:WORD_1 dst_unused:UNUSED_PAD src0_sel:DWORD src1_sel:DWORD
	v_and_b32_e32 v29, 1, v20
	v_and_b32_e32 v28, 1, v17
	;; [unrolled: 1-line block ×3, first 2 shown]
	v_or_b32_sdwa v30, v25, v26 dst_sel:DWORD dst_unused:UNUSED_PAD src0_sel:WORD_0 src1_sel:DWORD
	s_load_dwordx2 s[34:35], s[0:1], 0x70
	s_cbranch_execz .LBB2364_21
	s_branch .LBB2364_22
.LBB2364_20:
                                        ; implicit-def: $vgpr19
                                        ; implicit-def: $vgpr28
                                        ; implicit-def: $vgpr29
                                        ; implicit-def: $vgpr30
	s_load_dwordx2 s[34:35], s[0:1], 0x70
.LBB2364_21:
	v_add_u32_e32 v19, 1, v1
	v_cmp_gt_u32_e32 vcc, s33, v1
	v_add_u32_e32 v25, 2, v1
	v_add_u32_e32 v26, 3, v1
	v_cndmask_b32_e64 v29, 0, 1, vcc
	v_cmp_gt_u32_e32 vcc, s33, v19
	v_add_u32_e32 v27, 4, v1
	v_add_u32_e32 v28, 5, v1
	v_cndmask_b32_e64 v19, 0, 1, vcc
	v_cmp_gt_u32_e32 vcc, s33, v25
	v_and_b32_sdwa v23, v19, v23 dst_sel:BYTE_1 dst_unused:UNUSED_PAD src0_sel:DWORD src1_sel:DWORD
	v_add_u32_e32 v30, 6, v1
	v_cndmask_b32_e64 v19, 0, 1, vcc
	v_cmp_gt_u32_e32 vcc, s33, v26
	v_and_b32_e32 v22, v19, v22
	v_and_b32_e32 v24, v29, v24
	v_cndmask_b32_e64 v19, 0, 1, vcc
	v_cmp_gt_u32_e32 vcc, s33, v27
	v_and_b32_sdwa v21, v19, v21 dst_sel:BYTE_1 dst_unused:UNUSED_PAD src0_sel:DWORD src1_sel:DWORD
	s_nop 0
	v_cndmask_b32_e64 v19, 0, 1, vcc
	v_cmp_gt_u32_e32 vcc, s33, v28
	v_and_b32_e32 v29, v19, v20
	s_nop 0
	v_cndmask_b32_e64 v19, 0, 1, vcc
	v_cmp_gt_u32_e32 vcc, s33, v30
	v_and_b32_e32 v28, v19, v17
	s_nop 0
	v_cndmask_b32_e64 v17, 0, 1, vcc
	v_and_b32_e32 v19, v17, v16
	v_or_b32_e32 v16, v24, v23
	v_or_b32_sdwa v17, v22, v21 dst_sel:WORD_1 dst_unused:UNUSED_PAD src0_sel:DWORD src1_sel:DWORD
	s_nop 0
	v_or_b32_sdwa v30, v16, v17 dst_sel:DWORD dst_unused:UNUSED_PAD src0_sel:WORD_0 src1_sel:DWORD
.LBB2364_22:
	v_and_b32_e32 v33, 0xff, v30
	v_bfe_u32 v34, v30, 8, 8
	v_bfe_u32 v35, v30, 16, 8
	v_lshrrev_b32_e32 v31, 24, v30
	v_and_b32_e32 v36, 0xff, v29
	v_add3_u32 v17, v34, v33, v35
	v_and_b32_e32 v37, 0xff, v28
	v_and_b32_e32 v16, 0xff, v19
	v_add3_u32 v17, v17, v31, v36
	v_add3_u32 v40, v17, v37, v16
	v_mbcnt_lo_u32_b32 v16, -1, 0
	v_mbcnt_hi_u32_b32 v38, -1, v16
	v_and_b32_e32 v16, 15, v38
	v_cmp_eq_u32_e64 s[16:17], 0, v16
	v_cmp_lt_u32_e64 s[14:15], 1, v16
	v_cmp_lt_u32_e64 s[12:13], 3, v16
	;; [unrolled: 1-line block ×3, first 2 shown]
	v_and_b32_e32 v16, 16, v38
	v_cmp_eq_u32_e64 s[8:9], 0, v16
	v_or_b32_e32 v16, 63, v0
	s_cmp_lg_u32 s2, 0
	v_cmp_lt_u32_e64 s[4:5], 31, v38
	v_lshrrev_b32_e32 v39, 6, v0
	v_cmp_eq_u32_e64 s[6:7], v16, v0
	s_cbranch_scc0 .LBB2364_49
; %bb.23:
	v_mov_b32_dpp v16, v40 row_shr:1 row_mask:0xf bank_mask:0xf
	v_cndmask_b32_e64 v16, v16, 0, s[16:17]
	v_add_u32_e32 v16, v16, v40
	s_nop 1
	v_mov_b32_dpp v17, v16 row_shr:2 row_mask:0xf bank_mask:0xf
	v_cndmask_b32_e64 v17, 0, v17, s[14:15]
	v_add_u32_e32 v16, v16, v17
	s_nop 1
	;; [unrolled: 4-line block ×4, first 2 shown]
	v_mov_b32_dpp v17, v16 row_bcast:15 row_mask:0xf bank_mask:0xf
	v_cndmask_b32_e64 v17, v17, 0, s[8:9]
	v_add_u32_e32 v16, v16, v17
	s_nop 1
	v_mov_b32_dpp v17, v16 row_bcast:31 row_mask:0xf bank_mask:0xf
	v_cndmask_b32_e64 v17, 0, v17, s[4:5]
	v_add_u32_e32 v16, v16, v17
	s_and_saveexec_b64 s[18:19], s[6:7]
	s_cbranch_execz .LBB2364_25
; %bb.24:
	v_lshlrev_b32_e32 v17, 2, v39
	ds_write_b32 v17, v16
.LBB2364_25:
	s_or_b64 exec, exec, s[18:19]
	v_cmp_gt_u32_e32 vcc, 8, v0
	s_waitcnt lgkmcnt(0)
	s_barrier
	s_and_saveexec_b64 s[18:19], vcc
	s_cbranch_execz .LBB2364_27
; %bb.26:
	v_lshlrev_b32_e32 v17, 2, v0
	ds_read_b32 v20, v17
	v_and_b32_e32 v21, 7, v38
	v_cmp_ne_u32_e32 vcc, 0, v21
	s_waitcnt lgkmcnt(0)
	v_mov_b32_dpp v22, v20 row_shr:1 row_mask:0xf bank_mask:0xf
	v_cndmask_b32_e32 v22, 0, v22, vcc
	v_add_u32_e32 v20, v22, v20
	v_cmp_lt_u32_e32 vcc, 1, v21
	s_nop 0
	v_mov_b32_dpp v22, v20 row_shr:2 row_mask:0xf bank_mask:0xf
	v_cndmask_b32_e32 v22, 0, v22, vcc
	v_add_u32_e32 v20, v20, v22
	v_cmp_lt_u32_e32 vcc, 3, v21
	s_nop 0
	v_mov_b32_dpp v22, v20 row_shr:4 row_mask:0xf bank_mask:0xf
	v_cndmask_b32_e32 v21, 0, v22, vcc
	v_add_u32_e32 v20, v20, v21
	ds_write_b32 v17, v20
.LBB2364_27:
	s_or_b64 exec, exec, s[18:19]
	v_cmp_gt_u32_e32 vcc, 64, v0
	v_cmp_lt_u32_e64 s[18:19], 63, v0
	s_waitcnt lgkmcnt(0)
	s_barrier
	s_waitcnt lgkmcnt(0)
                                        ; implicit-def: $vgpr41
	s_and_saveexec_b64 s[36:37], s[18:19]
	s_cbranch_execz .LBB2364_29
; %bb.28:
	v_lshl_add_u32 v17, v39, 2, -4
	ds_read_b32 v41, v17
	s_waitcnt lgkmcnt(0)
	v_add_u32_e32 v16, v41, v16
.LBB2364_29:
	s_or_b64 exec, exec, s[36:37]
	v_add_u32_e32 v17, -1, v38
	v_and_b32_e32 v20, 64, v38
	v_cmp_lt_i32_e64 s[18:19], v17, v20
	s_nop 1
	v_cndmask_b32_e64 v17, v17, v38, s[18:19]
	v_lshlrev_b32_e32 v17, 2, v17
	ds_bpermute_b32 v42, v17, v16
	v_cmp_eq_u32_e64 s[18:19], 0, v38
	s_and_saveexec_b64 s[36:37], vcc
	s_cbranch_execz .LBB2364_48
; %bb.30:
	v_mov_b32_e32 v25, 0
	ds_read_b32 v16, v25 offset:28
	s_and_saveexec_b64 s[38:39], s[18:19]
	s_cbranch_execz .LBB2364_32
; %bb.31:
	s_add_i32 s40, s2, 64
	s_mov_b32 s41, 0
	s_lshl_b64 s[40:41], s[40:41], 3
	s_add_u32 s40, s34, s40
	v_mov_b32_e32 v17, 1
	s_addc_u32 s41, s35, s41
	s_waitcnt lgkmcnt(0)
	global_store_dwordx2 v25, v[16:17], s[40:41] sc1
.LBB2364_32:
	s_or_b64 exec, exec, s[38:39]
	v_xad_u32 v20, v38, -1, s2
	v_add_u32_e32 v24, 64, v20
	v_lshl_add_u64 v[26:27], v[24:25], 3, s[34:35]
	global_load_dwordx2 v[22:23], v[26:27], off sc1
	s_waitcnt vmcnt(0)
	v_cmp_eq_u16_sdwa s[40:41], v23, v25 src0_sel:BYTE_0 src1_sel:DWORD
	s_and_saveexec_b64 s[38:39], s[40:41]
	s_cbranch_execz .LBB2364_36
; %bb.33:
	s_mov_b64 s[40:41], 0
	v_mov_b32_e32 v17, 0
.LBB2364_34:                            ; =>This Inner Loop Header: Depth=1
	global_load_dwordx2 v[22:23], v[26:27], off sc1
	s_waitcnt vmcnt(0)
	v_cmp_ne_u16_sdwa s[42:43], v23, v17 src0_sel:BYTE_0 src1_sel:DWORD
	s_or_b64 s[40:41], s[42:43], s[40:41]
	s_andn2_b64 exec, exec, s[40:41]
	s_cbranch_execnz .LBB2364_34
; %bb.35:
	s_or_b64 exec, exec, s[40:41]
.LBB2364_36:
	s_or_b64 exec, exec, s[38:39]
	v_and_b32_e32 v44, 63, v38
	v_mov_b32_e32 v43, 2
	v_cmp_ne_u32_e32 vcc, 63, v44
	v_cmp_eq_u16_sdwa s[38:39], v23, v43 src0_sel:BYTE_0 src1_sel:DWORD
	v_lshlrev_b64 v[24:25], v38, -1
	v_addc_co_u32_e32 v26, vcc, 0, v38, vcc
	v_and_b32_e32 v17, s39, v25
	v_lshlrev_b32_e32 v45, 2, v26
	v_or_b32_e32 v17, 0x80000000, v17
	ds_bpermute_b32 v26, v45, v22
	v_and_b32_e32 v21, s38, v24
	v_ffbl_b32_e32 v17, v17
	v_add_u32_e32 v17, 32, v17
	v_ffbl_b32_e32 v21, v21
	v_min_u32_e32 v17, v21, v17
	v_cmp_lt_u32_e32 vcc, v44, v17
	v_add_u32_e32 v47, 2, v44
	v_add_u32_e32 v49, 4, v44
	s_waitcnt lgkmcnt(0)
	v_cndmask_b32_e32 v21, 0, v26, vcc
	v_cmp_gt_u32_e32 vcc, 62, v44
	v_add_u32_e32 v21, v21, v22
	v_add_u32_e32 v51, 8, v44
	v_cndmask_b32_e64 v22, 0, 1, vcc
	v_lshlrev_b32_e32 v22, 1, v22
	v_add_lshl_u32 v46, v22, v38, 2
	ds_bpermute_b32 v22, v46, v21
	v_cmp_le_u32_e32 vcc, v47, v17
	v_add_u32_e32 v53, 16, v44
	v_add_u32_e32 v55, 32, v44
	s_waitcnt lgkmcnt(0)
	v_cndmask_b32_e32 v22, 0, v22, vcc
	v_cmp_gt_u32_e32 vcc, 60, v44
	v_add_u32_e32 v21, v21, v22
	s_nop 0
	v_cndmask_b32_e64 v22, 0, 1, vcc
	v_lshlrev_b32_e32 v22, 2, v22
	v_add_lshl_u32 v48, v22, v38, 2
	ds_bpermute_b32 v22, v48, v21
	v_cmp_le_u32_e32 vcc, v49, v17
	s_waitcnt lgkmcnt(0)
	s_nop 0
	v_cndmask_b32_e32 v22, 0, v22, vcc
	v_cmp_gt_u32_e32 vcc, 56, v44
	v_add_u32_e32 v21, v21, v22
	s_nop 0
	v_cndmask_b32_e64 v22, 0, 1, vcc
	v_lshlrev_b32_e32 v22, 3, v22
	v_add_lshl_u32 v50, v22, v38, 2
	ds_bpermute_b32 v22, v50, v21
	v_cmp_le_u32_e32 vcc, v51, v17
	s_waitcnt lgkmcnt(0)
	s_nop 0
	;; [unrolled: 11-line block ×4, first 2 shown]
	v_cndmask_b32_e32 v17, 0, v22, vcc
	v_add_u32_e32 v22, v21, v17
	v_mov_b32_e32 v21, 0
	s_branch .LBB2364_38
.LBB2364_37:                            ;   in Loop: Header=BB2364_38 Depth=1
	s_or_b64 exec, exec, s[38:39]
	v_cmp_eq_u16_sdwa s[38:39], v23, v43 src0_sel:BYTE_0 src1_sel:DWORD
	ds_bpermute_b32 v56, v45, v22
	v_subrev_u32_e32 v20, 64, v20
	v_and_b32_e32 v26, s39, v25
	v_or_b32_e32 v26, 0x80000000, v26
	v_and_b32_e32 v27, s38, v24
	v_ffbl_b32_e32 v26, v26
	v_add_u32_e32 v26, 32, v26
	v_ffbl_b32_e32 v27, v27
	v_min_u32_e32 v26, v27, v26
	v_cmp_lt_u32_e32 vcc, v44, v26
	s_waitcnt lgkmcnt(0)
	s_nop 0
	v_cndmask_b32_e32 v27, 0, v56, vcc
	v_add_u32_e32 v22, v27, v22
	ds_bpermute_b32 v27, v46, v22
	v_cmp_le_u32_e32 vcc, v47, v26
	s_waitcnt lgkmcnt(0)
	s_nop 0
	v_cndmask_b32_e32 v27, 0, v27, vcc
	v_add_u32_e32 v22, v22, v27
	ds_bpermute_b32 v27, v48, v22
	v_cmp_le_u32_e32 vcc, v49, v26
	;; [unrolled: 6-line block ×5, first 2 shown]
	s_waitcnt lgkmcnt(0)
	s_nop 0
	v_cndmask_b32_e32 v26, 0, v27, vcc
	v_add3_u32 v22, v26, v17, v22
.LBB2364_38:                            ; =>This Loop Header: Depth=1
                                        ;     Child Loop BB2364_41 Depth 2
	v_cmp_ne_u16_sdwa s[38:39], v23, v43 src0_sel:BYTE_0 src1_sel:DWORD
	s_nop 1
	v_cndmask_b32_e64 v17, 0, 1, s[38:39]
	;;#ASMSTART
	;;#ASMEND
	s_nop 0
	v_cmp_ne_u32_e32 vcc, 0, v17
	s_cmp_lg_u64 vcc, exec
	v_mov_b32_e32 v17, v22
	s_cbranch_scc1 .LBB2364_43
; %bb.39:                               ;   in Loop: Header=BB2364_38 Depth=1
	v_lshl_add_u64 v[26:27], v[20:21], 3, s[34:35]
	global_load_dwordx2 v[22:23], v[26:27], off sc1
	s_waitcnt vmcnt(0)
	v_cmp_eq_u16_sdwa s[40:41], v23, v21 src0_sel:BYTE_0 src1_sel:DWORD
	s_and_saveexec_b64 s[38:39], s[40:41]
	s_cbranch_execz .LBB2364_37
; %bb.40:                               ;   in Loop: Header=BB2364_38 Depth=1
	s_mov_b64 s[40:41], 0
.LBB2364_41:                            ;   Parent Loop BB2364_38 Depth=1
                                        ; =>  This Inner Loop Header: Depth=2
	global_load_dwordx2 v[22:23], v[26:27], off sc1
	s_waitcnt vmcnt(0)
	v_cmp_ne_u16_sdwa s[42:43], v23, v21 src0_sel:BYTE_0 src1_sel:DWORD
	s_or_b64 s[40:41], s[42:43], s[40:41]
	s_andn2_b64 exec, exec, s[40:41]
	s_cbranch_execnz .LBB2364_41
; %bb.42:                               ;   in Loop: Header=BB2364_38 Depth=1
	s_or_b64 exec, exec, s[40:41]
	s_branch .LBB2364_37
.LBB2364_43:                            ;   in Loop: Header=BB2364_38 Depth=1
                                        ; implicit-def: $vgpr22
                                        ; implicit-def: $vgpr23
	s_cbranch_execz .LBB2364_38
; %bb.44:
	s_and_saveexec_b64 s[38:39], s[18:19]
	s_cbranch_execz .LBB2364_46
; %bb.45:
	s_add_i32 s2, s2, 64
	s_mov_b32 s3, 0
	s_lshl_b64 s[2:3], s[2:3], 3
	s_add_u32 s2, s34, s2
	v_add_u32_e32 v20, v17, v16
	v_mov_b32_e32 v21, 2
	s_addc_u32 s3, s35, s3
	v_mov_b32_e32 v22, 0
	global_store_dwordx2 v22, v[20:21], s[2:3] sc1
	ds_write_b64 v22, v[16:17] offset:28672
.LBB2364_46:
	s_or_b64 exec, exec, s[38:39]
	v_cmp_eq_u32_e32 vcc, 0, v0
	s_and_b64 exec, exec, vcc
	s_cbranch_execz .LBB2364_48
; %bb.47:
	v_mov_b32_e32 v16, 0
	ds_write_b32 v16, v17 offset:28
.LBB2364_48:
	s_or_b64 exec, exec, s[36:37]
	v_mov_b32_e32 v16, 0
	s_waitcnt lgkmcnt(0)
	s_barrier
	ds_read_b32 v17, v16 offset:28
	v_cndmask_b32_e64 v20, v42, v41, s[18:19]
	v_cmp_ne_u32_e32 vcc, 0, v0
	s_waitcnt lgkmcnt(0)
	s_barrier
	v_cndmask_b32_e32 v20, 0, v20, vcc
	v_add_u32_e32 v27, v17, v20
	v_add_u32_e32 v26, v27, v33
	ds_read_b64 v[16:17], v16 offset:28672
	v_add_u32_e32 v25, v26, v34
	v_add_u32_e32 v24, v25, v35
	;; [unrolled: 1-line block ×5, first 2 shown]
	s_waitcnt lgkmcnt(0)
	v_mov_b32_e32 v22, v17
	s_branch .LBB2364_59
.LBB2364_49:
                                        ; implicit-def: $vgpr22
                                        ; implicit-def: $vgpr16
                                        ; implicit-def: $vgpr20
                                        ; implicit-def: $vgpr21
                                        ; implicit-def: $vgpr23
                                        ; implicit-def: $vgpr24
                                        ; implicit-def: $vgpr25
                                        ; implicit-def: $vgpr26
                                        ; implicit-def: $vgpr27
	s_cbranch_execz .LBB2364_59
; %bb.50:
	s_nop 0
	v_mov_b32_dpp v16, v40 row_shr:1 row_mask:0xf bank_mask:0xf
	v_cndmask_b32_e64 v16, v16, 0, s[16:17]
	v_add_u32_e32 v16, v16, v40
	s_nop 1
	v_mov_b32_dpp v17, v16 row_shr:2 row_mask:0xf bank_mask:0xf
	v_cndmask_b32_e64 v17, 0, v17, s[14:15]
	v_add_u32_e32 v16, v16, v17
	;; [unrolled: 4-line block ×4, first 2 shown]
	s_nop 1
	v_mov_b32_dpp v17, v16 row_bcast:15 row_mask:0xf bank_mask:0xf
	v_cndmask_b32_e64 v17, v17, 0, s[8:9]
	v_add_u32_e32 v16, v16, v17
	s_nop 1
	v_mov_b32_dpp v17, v16 row_bcast:31 row_mask:0xf bank_mask:0xf
	v_cndmask_b32_e64 v17, 0, v17, s[4:5]
	v_add_u32_e32 v16, v16, v17
	s_and_saveexec_b64 s[2:3], s[6:7]
	s_cbranch_execz .LBB2364_52
; %bb.51:
	v_lshlrev_b32_e32 v17, 2, v39
	ds_write_b32 v17, v16
.LBB2364_52:
	s_or_b64 exec, exec, s[2:3]
	v_cmp_gt_u32_e32 vcc, 8, v0
	s_waitcnt lgkmcnt(0)
	s_barrier
	s_and_saveexec_b64 s[2:3], vcc
	s_cbranch_execz .LBB2364_54
; %bb.53:
	s_movk_i32 s4, 0xffcc
	v_mad_i32_i24 v17, v0, s4, v32
	ds_read_b32 v20, v17
	v_and_b32_e32 v21, 7, v38
	v_cmp_ne_u32_e32 vcc, 0, v21
	s_waitcnt lgkmcnt(0)
	v_mov_b32_dpp v22, v20 row_shr:1 row_mask:0xf bank_mask:0xf
	v_cndmask_b32_e32 v22, 0, v22, vcc
	v_add_u32_e32 v20, v22, v20
	v_cmp_lt_u32_e32 vcc, 1, v21
	s_nop 0
	v_mov_b32_dpp v22, v20 row_shr:2 row_mask:0xf bank_mask:0xf
	v_cndmask_b32_e32 v22, 0, v22, vcc
	v_add_u32_e32 v20, v20, v22
	v_cmp_lt_u32_e32 vcc, 3, v21
	s_nop 0
	v_mov_b32_dpp v22, v20 row_shr:4 row_mask:0xf bank_mask:0xf
	v_cndmask_b32_e32 v21, 0, v22, vcc
	v_add_u32_e32 v20, v20, v21
	ds_write_b32 v17, v20
.LBB2364_54:
	s_or_b64 exec, exec, s[2:3]
	v_cmp_lt_u32_e32 vcc, 63, v0
	v_mov_b32_e32 v17, 0
	v_mov_b32_e32 v20, 0
	s_waitcnt lgkmcnt(0)
	s_barrier
	s_and_saveexec_b64 s[2:3], vcc
	s_cbranch_execz .LBB2364_56
; %bb.55:
	v_lshl_add_u32 v20, v39, 2, -4
	ds_read_b32 v20, v20
.LBB2364_56:
	s_or_b64 exec, exec, s[2:3]
	v_add_u32_e32 v21, -1, v38
	v_and_b32_e32 v22, 64, v38
	v_cmp_lt_i32_e32 vcc, v21, v22
	s_waitcnt lgkmcnt(0)
	v_add_u32_e32 v16, v20, v16
	v_cndmask_b32_e32 v21, v21, v38, vcc
	v_lshlrev_b32_e32 v21, 2, v21
	ds_bpermute_b32 v21, v21, v16
	ds_read_b32 v16, v17 offset:28
	v_cmp_eq_u32_e32 vcc, 0, v0
	s_and_saveexec_b64 s[2:3], vcc
	s_cbranch_execz .LBB2364_58
; %bb.57:
	v_mov_b32_e32 v22, 0
	v_mov_b32_e32 v17, 2
	s_waitcnt lgkmcnt(0)
	global_store_dwordx2 v22, v[16:17], s[34:35] offset:512 sc1
.LBB2364_58:
	s_or_b64 exec, exec, s[2:3]
	v_cmp_eq_u32_e64 s[2:3], 0, v38
	v_mov_b32_e32 v22, 0
	s_waitcnt lgkmcnt(0)
	v_cndmask_b32_e64 v17, v21, v20, s[2:3]
	v_cndmask_b32_e64 v27, v17, 0, vcc
	v_add_u32_e32 v26, v27, v33
	v_add_u32_e32 v25, v26, v34
	;; [unrolled: 1-line block ×6, first 2 shown]
	s_barrier
.LBB2364_59:
	v_add_u32_e32 v1, v16, v1
	v_sub_u32_e32 v27, v27, v22
	v_and_b32_e32 v33, 1, v30
	v_sub_u32_e32 v32, v1, v27
	v_cmp_eq_u32_e32 vcc, 1, v33
	v_lshrrev_b32_e32 v17, 8, v30
	v_and_b32_e32 v17, 1, v17
	v_cndmask_b32_e32 v27, v32, v27, vcc
	v_lshlrev_b32_e32 v27, 3, v27
	ds_write_b64 v27, v[10:11]
	v_sub_u32_e32 v10, v26, v22
	v_sub_u32_e32 v11, v1, v10
	v_add_u32_e32 v11, 1, v11
	v_cmp_eq_u32_e32 vcc, 1, v17
	s_load_dwordx2 s[0:1], s[0:1], 0x38
	v_or_b32_e32 v27, 0x200, v0
	v_cndmask_b32_e32 v10, v11, v10, vcc
	v_lshlrev_b32_e32 v10, 3, v10
	ds_write_b64 v10, v[12:13]
	v_sub_u32_e32 v10, v25, v22
	v_mov_b32_e32 v12, 1
	v_sub_u32_e32 v11, v1, v10
	v_and_b32_sdwa v12, v12, v30 dst_sel:DWORD dst_unused:UNUSED_PAD src0_sel:DWORD src1_sel:WORD_1
	v_add_u32_e32 v11, 2, v11
	v_cmp_eq_u32_e32 vcc, 1, v12
	v_or_b32_e32 v26, 0x400, v0
	v_or_b32_e32 v25, 0x600, v0
	v_cndmask_b32_e32 v10, v11, v10, vcc
	v_lshlrev_b32_e32 v10, 3, v10
	ds_write_b64 v10, v[6:7]
	v_sub_u32_e32 v6, v24, v22
	v_sub_u32_e32 v7, v1, v6
	v_and_b32_e32 v10, 1, v31
	v_add_u32_e32 v7, 3, v7
	v_cmp_eq_u32_e32 vcc, 1, v10
	v_or_b32_e32 v24, 0x800, v0
	s_nop 0
	v_cndmask_b32_e32 v6, v7, v6, vcc
	v_lshlrev_b32_e32 v6, 3, v6
	ds_write_b64 v6, v[8:9]
	v_sub_u32_e32 v6, v23, v22
	v_sub_u32_e32 v7, v1, v6
	v_and_b32_e32 v8, 1, v29
	v_add_u32_e32 v7, 4, v7
	v_cmp_eq_u32_e32 vcc, 1, v8
	v_mov_b32_e32 v23, 0
	v_mov_b32_e32 v17, v23
	v_cndmask_b32_e32 v6, v7, v6, vcc
	v_lshlrev_b32_e32 v6, 3, v6
	ds_write_b64 v6, v[2:3]
	v_sub_u32_e32 v2, v21, v22
	v_sub_u32_e32 v3, v1, v2
	v_and_b32_e32 v6, 1, v28
	v_add_u32_e32 v3, 5, v3
	v_cmp_eq_u32_e32 vcc, 1, v6
	s_nop 1
	v_cndmask_b32_e32 v2, v3, v2, vcc
	v_lshlrev_b32_e32 v2, 3, v2
	ds_write_b64 v2, v[4:5]
	v_sub_u32_e32 v2, v20, v22
	v_sub_u32_e32 v1, v1, v2
	v_and_b32_e32 v3, 1, v19
	v_add_u32_e32 v1, 6, v1
	v_cmp_eq_u32_e32 vcc, 1, v3
	v_or_b32_e32 v19, 0xa00, v0
	s_nop 0
	v_cndmask_b32_e32 v1, v1, v2, vcc
	v_lshlrev_b32_e32 v1, 3, v1
	ds_write_b64 v1, v[14:15]
	v_lshl_add_u64 v[14:15], s[28:29], 0, v[16:17]
	v_lshl_add_u64 v[14:15], v[14:15], 0, v[22:23]
	s_waitcnt lgkmcnt(0)
	s_barrier
	ds_read2st64_b64 v[10:13], v18 offset1:8
	ds_read2st64_b64 v[6:9], v18 offset0:16 offset1:24
	ds_read2st64_b64 v[2:5], v18 offset0:32 offset1:40
	ds_read_b64 v[20:21], v18 offset:24576
	v_mov_b32_e32 v17, s23
	v_sub_co_u32_e32 v22, vcc, s22, v14
	v_or_b32_e32 v1, 0xc00, v0
	s_nop 0
	v_subb_co_u32_e32 v23, vcc, v17, v15, vcc
	v_lshlrev_b64 v[22:23], 3, v[22:23]
	v_lshl_add_u64 v[22:23], s[0:1], 0, v[22:23]
	v_lshl_add_u64 v[22:23], v[22:23], 0, s[30:31]
	s_and_b64 vcc, exec, s[20:21]
	v_cmp_ge_u32_e64 s[0:1], v0, v16
	s_cbranch_vccnz .LBB2364_68
; %bb.60:
	s_and_saveexec_b64 s[2:3], s[0:1]
	s_cbranch_execnz .LBB2364_87
; %bb.61:
	s_or_b64 exec, exec, s[2:3]
	v_cmp_ge_u32_e32 vcc, v27, v16
	s_and_saveexec_b64 s[0:1], vcc
	s_cbranch_execnz .LBB2364_88
.LBB2364_62:
	s_or_b64 exec, exec, s[0:1]
	v_cmp_ge_u32_e32 vcc, v26, v16
	s_and_saveexec_b64 s[0:1], vcc
	s_cbranch_execnz .LBB2364_89
.LBB2364_63:
	s_or_b64 exec, exec, s[0:1]
	v_cmp_ge_u32_e32 vcc, v25, v16
	s_and_saveexec_b64 s[0:1], vcc
	s_cbranch_execnz .LBB2364_90
.LBB2364_64:
	s_or_b64 exec, exec, s[0:1]
	v_cmp_ge_u32_e32 vcc, v24, v16
	s_and_saveexec_b64 s[0:1], vcc
	s_cbranch_execnz .LBB2364_91
.LBB2364_65:
	s_or_b64 exec, exec, s[0:1]
	v_cmp_ge_u32_e32 vcc, v19, v16
	s_and_saveexec_b64 s[0:1], vcc
	s_cbranch_execz .LBB2364_67
.LBB2364_66:
	v_lshlrev_b32_e32 v17, 3, v19
	v_readfirstlane_b32 s2, v22
	v_readfirstlane_b32 s3, v23
	s_waitcnt lgkmcnt(1)
	s_nop 3
	global_store_dwordx2 v17, v[4:5], s[2:3]
.LBB2364_67:
	s_or_b64 exec, exec, s[0:1]
	v_cmp_ge_u32_e64 s[0:1], v1, v16
	s_branch .LBB2364_82
.LBB2364_68:
	s_mov_b64 s[0:1], 0
	s_cbranch_execz .LBB2364_82
; %bb.69:
	v_cmp_gt_u32_e32 vcc, s33, v0
	v_cmp_ge_u32_e64 s[0:1], v0, v16
	s_and_b64 s[2:3], vcc, s[0:1]
	s_and_saveexec_b64 s[0:1], s[2:3]
	s_cbranch_execz .LBB2364_71
; %bb.70:
	v_readfirstlane_b32 s2, v22
	v_readfirstlane_b32 s3, v23
	s_waitcnt lgkmcnt(3)
	s_nop 3
	global_store_dwordx2 v18, v[10:11], s[2:3]
.LBB2364_71:
	s_or_b64 exec, exec, s[0:1]
	v_cmp_gt_u32_e32 vcc, s33, v27
	v_cmp_ge_u32_e64 s[0:1], v27, v16
	s_and_b64 s[2:3], vcc, s[0:1]
	s_and_saveexec_b64 s[0:1], s[2:3]
	s_cbranch_execz .LBB2364_73
; %bb.72:
	s_waitcnt lgkmcnt(3)
	v_lshlrev_b32_e32 v10, 3, v27
	v_readfirstlane_b32 s2, v22
	v_readfirstlane_b32 s3, v23
	s_nop 4
	global_store_dwordx2 v10, v[12:13], s[2:3]
.LBB2364_73:
	s_or_b64 exec, exec, s[0:1]
	v_cmp_gt_u32_e32 vcc, s33, v26
	v_cmp_ge_u32_e64 s[0:1], v26, v16
	s_and_b64 s[2:3], vcc, s[0:1]
	s_and_saveexec_b64 s[0:1], s[2:3]
	s_cbranch_execz .LBB2364_75
; %bb.74:
	s_waitcnt lgkmcnt(3)
	v_lshlrev_b32_e32 v10, 3, v26
	v_readfirstlane_b32 s2, v22
	v_readfirstlane_b32 s3, v23
	s_waitcnt lgkmcnt(2)
	s_nop 3
	global_store_dwordx2 v10, v[6:7], s[2:3]
.LBB2364_75:
	s_or_b64 exec, exec, s[0:1]
	v_cmp_gt_u32_e32 vcc, s33, v25
	v_cmp_ge_u32_e64 s[0:1], v25, v16
	s_and_b64 s[2:3], vcc, s[0:1]
	s_and_saveexec_b64 s[0:1], s[2:3]
	s_cbranch_execz .LBB2364_77
; %bb.76:
	s_waitcnt lgkmcnt(2)
	v_lshlrev_b32_e32 v6, 3, v25
	v_readfirstlane_b32 s2, v22
	v_readfirstlane_b32 s3, v23
	s_nop 4
	global_store_dwordx2 v6, v[8:9], s[2:3]
.LBB2364_77:
	s_or_b64 exec, exec, s[0:1]
	v_cmp_gt_u32_e32 vcc, s33, v24
	v_cmp_ge_u32_e64 s[0:1], v24, v16
	s_and_b64 s[2:3], vcc, s[0:1]
	s_and_saveexec_b64 s[0:1], s[2:3]
	s_cbranch_execz .LBB2364_79
; %bb.78:
	s_waitcnt lgkmcnt(2)
	v_lshlrev_b32_e32 v6, 3, v24
	v_readfirstlane_b32 s2, v22
	v_readfirstlane_b32 s3, v23
	s_waitcnt lgkmcnt(1)
	s_nop 3
	global_store_dwordx2 v6, v[2:3], s[2:3]
.LBB2364_79:
	s_or_b64 exec, exec, s[0:1]
	v_cmp_gt_u32_e32 vcc, s33, v19
	v_cmp_ge_u32_e64 s[0:1], v19, v16
	s_and_b64 s[2:3], vcc, s[0:1]
	s_and_saveexec_b64 s[0:1], s[2:3]
	s_cbranch_execz .LBB2364_81
; %bb.80:
	s_waitcnt lgkmcnt(1)
	v_lshlrev_b32_e32 v2, 3, v19
	v_readfirstlane_b32 s2, v22
	v_readfirstlane_b32 s3, v23
	s_nop 4
	global_store_dwordx2 v2, v[4:5], s[2:3]
.LBB2364_81:
	s_or_b64 exec, exec, s[0:1]
	v_cmp_gt_u32_e32 vcc, s33, v1
	v_cmp_ge_u32_e64 s[0:1], v1, v16
	s_and_b64 s[0:1], vcc, s[0:1]
.LBB2364_82:
	s_and_saveexec_b64 s[2:3], s[0:1]
	s_cbranch_execz .LBB2364_84
; %bb.83:
	v_lshlrev_b32_e32 v1, 3, v1
	v_readfirstlane_b32 s0, v22
	v_readfirstlane_b32 s1, v23
	s_waitcnt lgkmcnt(0)
	s_nop 3
	global_store_dwordx2 v1, v[20:21], s[0:1]
.LBB2364_84:
	s_or_b64 exec, exec, s[2:3]
	v_cmp_eq_u32_e32 vcc, 0, v0
	s_and_b64 s[0:1], vcc, s[26:27]
	s_and_saveexec_b64 s[2:3], s[0:1]
	s_cbranch_execz .LBB2364_86
; %bb.85:
	v_mov_b32_e32 v0, 0
	global_store_dwordx2 v0, v[14:15], s[24:25]
.LBB2364_86:
	s_endpgm
.LBB2364_87:
	v_readfirstlane_b32 s0, v22
	v_readfirstlane_b32 s1, v23
	s_waitcnt lgkmcnt(3)
	s_nop 3
	global_store_dwordx2 v18, v[10:11], s[0:1]
	s_or_b64 exec, exec, s[2:3]
	v_cmp_ge_u32_e32 vcc, v27, v16
	s_and_saveexec_b64 s[0:1], vcc
	s_cbranch_execz .LBB2364_62
.LBB2364_88:
	v_lshlrev_b32_e32 v17, 3, v27
	v_readfirstlane_b32 s2, v22
	v_readfirstlane_b32 s3, v23
	s_waitcnt lgkmcnt(3)
	s_nop 3
	global_store_dwordx2 v17, v[12:13], s[2:3]
	s_or_b64 exec, exec, s[0:1]
	v_cmp_ge_u32_e32 vcc, v26, v16
	s_and_saveexec_b64 s[0:1], vcc
	s_cbranch_execz .LBB2364_63
.LBB2364_89:
	v_lshlrev_b32_e32 v17, 3, v26
	v_readfirstlane_b32 s2, v22
	v_readfirstlane_b32 s3, v23
	s_waitcnt lgkmcnt(2)
	s_nop 3
	global_store_dwordx2 v17, v[6:7], s[2:3]
	s_or_b64 exec, exec, s[0:1]
	v_cmp_ge_u32_e32 vcc, v25, v16
	s_and_saveexec_b64 s[0:1], vcc
	s_cbranch_execz .LBB2364_64
.LBB2364_90:
	v_lshlrev_b32_e32 v17, 3, v25
	v_readfirstlane_b32 s2, v22
	v_readfirstlane_b32 s3, v23
	s_waitcnt lgkmcnt(2)
	s_nop 3
	global_store_dwordx2 v17, v[8:9], s[2:3]
	s_or_b64 exec, exec, s[0:1]
	v_cmp_ge_u32_e32 vcc, v24, v16
	s_and_saveexec_b64 s[0:1], vcc
	s_cbranch_execz .LBB2364_65
.LBB2364_91:
	v_lshlrev_b32_e32 v17, 3, v24
	v_readfirstlane_b32 s2, v22
	v_readfirstlane_b32 s3, v23
	s_waitcnt lgkmcnt(1)
	s_nop 3
	global_store_dwordx2 v17, v[2:3], s[2:3]
	s_or_b64 exec, exec, s[0:1]
	v_cmp_ge_u32_e32 vcc, v19, v16
	s_and_saveexec_b64 s[0:1], vcc
	s_cbranch_execnz .LBB2364_66
	s_branch .LBB2364_67
	.section	.rodata,"a",@progbits
	.p2align	6, 0x0
	.amdhsa_kernel _ZN7rocprim17ROCPRIM_400000_NS6detail17trampoline_kernelINS0_14default_configENS1_25partition_config_selectorILNS1_17partition_subalgoE0EyNS0_10empty_typeEbEEZZNS1_14partition_implILS5_0ELb0ES3_jN6thrust23THRUST_200600_302600_NS6detail15normal_iteratorINSA_10device_ptrIyEEEEPS6_SG_NS0_5tupleIJNSA_16discard_iteratorINSA_11use_defaultEEESF_EEENSH_IJSG_SG_EEES6_PlJ7is_evenIyEEEE10hipError_tPvRmT3_T4_T5_T6_T7_T9_mT8_P12ihipStream_tbDpT10_ENKUlT_T0_E_clISt17integral_constantIbLb0EES19_EEDaS14_S15_EUlS14_E_NS1_11comp_targetILNS1_3genE5ELNS1_11target_archE942ELNS1_3gpuE9ELNS1_3repE0EEENS1_30default_config_static_selectorELNS0_4arch9wavefront6targetE1EEEvT1_
		.amdhsa_group_segment_fixed_size 28680
		.amdhsa_private_segment_fixed_size 0
		.amdhsa_kernarg_size 128
		.amdhsa_user_sgpr_count 2
		.amdhsa_user_sgpr_dispatch_ptr 0
		.amdhsa_user_sgpr_queue_ptr 0
		.amdhsa_user_sgpr_kernarg_segment_ptr 1
		.amdhsa_user_sgpr_dispatch_id 0
		.amdhsa_user_sgpr_kernarg_preload_length 0
		.amdhsa_user_sgpr_kernarg_preload_offset 0
		.amdhsa_user_sgpr_private_segment_size 0
		.amdhsa_uses_dynamic_stack 0
		.amdhsa_enable_private_segment 0
		.amdhsa_system_sgpr_workgroup_id_x 1
		.amdhsa_system_sgpr_workgroup_id_y 0
		.amdhsa_system_sgpr_workgroup_id_z 0
		.amdhsa_system_sgpr_workgroup_info 0
		.amdhsa_system_vgpr_workitem_id 0
		.amdhsa_next_free_vgpr 57
		.amdhsa_next_free_sgpr 44
		.amdhsa_accum_offset 60
		.amdhsa_reserve_vcc 1
		.amdhsa_float_round_mode_32 0
		.amdhsa_float_round_mode_16_64 0
		.amdhsa_float_denorm_mode_32 3
		.amdhsa_float_denorm_mode_16_64 3
		.amdhsa_dx10_clamp 1
		.amdhsa_ieee_mode 1
		.amdhsa_fp16_overflow 0
		.amdhsa_tg_split 0
		.amdhsa_exception_fp_ieee_invalid_op 0
		.amdhsa_exception_fp_denorm_src 0
		.amdhsa_exception_fp_ieee_div_zero 0
		.amdhsa_exception_fp_ieee_overflow 0
		.amdhsa_exception_fp_ieee_underflow 0
		.amdhsa_exception_fp_ieee_inexact 0
		.amdhsa_exception_int_div_zero 0
	.end_amdhsa_kernel
	.section	.text._ZN7rocprim17ROCPRIM_400000_NS6detail17trampoline_kernelINS0_14default_configENS1_25partition_config_selectorILNS1_17partition_subalgoE0EyNS0_10empty_typeEbEEZZNS1_14partition_implILS5_0ELb0ES3_jN6thrust23THRUST_200600_302600_NS6detail15normal_iteratorINSA_10device_ptrIyEEEEPS6_SG_NS0_5tupleIJNSA_16discard_iteratorINSA_11use_defaultEEESF_EEENSH_IJSG_SG_EEES6_PlJ7is_evenIyEEEE10hipError_tPvRmT3_T4_T5_T6_T7_T9_mT8_P12ihipStream_tbDpT10_ENKUlT_T0_E_clISt17integral_constantIbLb0EES19_EEDaS14_S15_EUlS14_E_NS1_11comp_targetILNS1_3genE5ELNS1_11target_archE942ELNS1_3gpuE9ELNS1_3repE0EEENS1_30default_config_static_selectorELNS0_4arch9wavefront6targetE1EEEvT1_,"axG",@progbits,_ZN7rocprim17ROCPRIM_400000_NS6detail17trampoline_kernelINS0_14default_configENS1_25partition_config_selectorILNS1_17partition_subalgoE0EyNS0_10empty_typeEbEEZZNS1_14partition_implILS5_0ELb0ES3_jN6thrust23THRUST_200600_302600_NS6detail15normal_iteratorINSA_10device_ptrIyEEEEPS6_SG_NS0_5tupleIJNSA_16discard_iteratorINSA_11use_defaultEEESF_EEENSH_IJSG_SG_EEES6_PlJ7is_evenIyEEEE10hipError_tPvRmT3_T4_T5_T6_T7_T9_mT8_P12ihipStream_tbDpT10_ENKUlT_T0_E_clISt17integral_constantIbLb0EES19_EEDaS14_S15_EUlS14_E_NS1_11comp_targetILNS1_3genE5ELNS1_11target_archE942ELNS1_3gpuE9ELNS1_3repE0EEENS1_30default_config_static_selectorELNS0_4arch9wavefront6targetE1EEEvT1_,comdat
.Lfunc_end2364:
	.size	_ZN7rocprim17ROCPRIM_400000_NS6detail17trampoline_kernelINS0_14default_configENS1_25partition_config_selectorILNS1_17partition_subalgoE0EyNS0_10empty_typeEbEEZZNS1_14partition_implILS5_0ELb0ES3_jN6thrust23THRUST_200600_302600_NS6detail15normal_iteratorINSA_10device_ptrIyEEEEPS6_SG_NS0_5tupleIJNSA_16discard_iteratorINSA_11use_defaultEEESF_EEENSH_IJSG_SG_EEES6_PlJ7is_evenIyEEEE10hipError_tPvRmT3_T4_T5_T6_T7_T9_mT8_P12ihipStream_tbDpT10_ENKUlT_T0_E_clISt17integral_constantIbLb0EES19_EEDaS14_S15_EUlS14_E_NS1_11comp_targetILNS1_3genE5ELNS1_11target_archE942ELNS1_3gpuE9ELNS1_3repE0EEENS1_30default_config_static_selectorELNS0_4arch9wavefront6targetE1EEEvT1_, .Lfunc_end2364-_ZN7rocprim17ROCPRIM_400000_NS6detail17trampoline_kernelINS0_14default_configENS1_25partition_config_selectorILNS1_17partition_subalgoE0EyNS0_10empty_typeEbEEZZNS1_14partition_implILS5_0ELb0ES3_jN6thrust23THRUST_200600_302600_NS6detail15normal_iteratorINSA_10device_ptrIyEEEEPS6_SG_NS0_5tupleIJNSA_16discard_iteratorINSA_11use_defaultEEESF_EEENSH_IJSG_SG_EEES6_PlJ7is_evenIyEEEE10hipError_tPvRmT3_T4_T5_T6_T7_T9_mT8_P12ihipStream_tbDpT10_ENKUlT_T0_E_clISt17integral_constantIbLb0EES19_EEDaS14_S15_EUlS14_E_NS1_11comp_targetILNS1_3genE5ELNS1_11target_archE942ELNS1_3gpuE9ELNS1_3repE0EEENS1_30default_config_static_selectorELNS0_4arch9wavefront6targetE1EEEvT1_
                                        ; -- End function
	.section	.AMDGPU.csdata,"",@progbits
; Kernel info:
; codeLenInByte = 4500
; NumSgprs: 50
; NumVgprs: 57
; NumAgprs: 0
; TotalNumVgprs: 57
; ScratchSize: 0
; MemoryBound: 0
; FloatMode: 240
; IeeeMode: 1
; LDSByteSize: 28680 bytes/workgroup (compile time only)
; SGPRBlocks: 6
; VGPRBlocks: 7
; NumSGPRsForWavesPerEU: 50
; NumVGPRsForWavesPerEU: 57
; AccumOffset: 60
; Occupancy: 4
; WaveLimiterHint : 1
; COMPUTE_PGM_RSRC2:SCRATCH_EN: 0
; COMPUTE_PGM_RSRC2:USER_SGPR: 2
; COMPUTE_PGM_RSRC2:TRAP_HANDLER: 0
; COMPUTE_PGM_RSRC2:TGID_X_EN: 1
; COMPUTE_PGM_RSRC2:TGID_Y_EN: 0
; COMPUTE_PGM_RSRC2:TGID_Z_EN: 0
; COMPUTE_PGM_RSRC2:TIDIG_COMP_CNT: 0
; COMPUTE_PGM_RSRC3_GFX90A:ACCUM_OFFSET: 14
; COMPUTE_PGM_RSRC3_GFX90A:TG_SPLIT: 0
	.section	.text._ZN7rocprim17ROCPRIM_400000_NS6detail17trampoline_kernelINS0_14default_configENS1_25partition_config_selectorILNS1_17partition_subalgoE0EyNS0_10empty_typeEbEEZZNS1_14partition_implILS5_0ELb0ES3_jN6thrust23THRUST_200600_302600_NS6detail15normal_iteratorINSA_10device_ptrIyEEEEPS6_SG_NS0_5tupleIJNSA_16discard_iteratorINSA_11use_defaultEEESF_EEENSH_IJSG_SG_EEES6_PlJ7is_evenIyEEEE10hipError_tPvRmT3_T4_T5_T6_T7_T9_mT8_P12ihipStream_tbDpT10_ENKUlT_T0_E_clISt17integral_constantIbLb0EES19_EEDaS14_S15_EUlS14_E_NS1_11comp_targetILNS1_3genE4ELNS1_11target_archE910ELNS1_3gpuE8ELNS1_3repE0EEENS1_30default_config_static_selectorELNS0_4arch9wavefront6targetE1EEEvT1_,"axG",@progbits,_ZN7rocprim17ROCPRIM_400000_NS6detail17trampoline_kernelINS0_14default_configENS1_25partition_config_selectorILNS1_17partition_subalgoE0EyNS0_10empty_typeEbEEZZNS1_14partition_implILS5_0ELb0ES3_jN6thrust23THRUST_200600_302600_NS6detail15normal_iteratorINSA_10device_ptrIyEEEEPS6_SG_NS0_5tupleIJNSA_16discard_iteratorINSA_11use_defaultEEESF_EEENSH_IJSG_SG_EEES6_PlJ7is_evenIyEEEE10hipError_tPvRmT3_T4_T5_T6_T7_T9_mT8_P12ihipStream_tbDpT10_ENKUlT_T0_E_clISt17integral_constantIbLb0EES19_EEDaS14_S15_EUlS14_E_NS1_11comp_targetILNS1_3genE4ELNS1_11target_archE910ELNS1_3gpuE8ELNS1_3repE0EEENS1_30default_config_static_selectorELNS0_4arch9wavefront6targetE1EEEvT1_,comdat
	.protected	_ZN7rocprim17ROCPRIM_400000_NS6detail17trampoline_kernelINS0_14default_configENS1_25partition_config_selectorILNS1_17partition_subalgoE0EyNS0_10empty_typeEbEEZZNS1_14partition_implILS5_0ELb0ES3_jN6thrust23THRUST_200600_302600_NS6detail15normal_iteratorINSA_10device_ptrIyEEEEPS6_SG_NS0_5tupleIJNSA_16discard_iteratorINSA_11use_defaultEEESF_EEENSH_IJSG_SG_EEES6_PlJ7is_evenIyEEEE10hipError_tPvRmT3_T4_T5_T6_T7_T9_mT8_P12ihipStream_tbDpT10_ENKUlT_T0_E_clISt17integral_constantIbLb0EES19_EEDaS14_S15_EUlS14_E_NS1_11comp_targetILNS1_3genE4ELNS1_11target_archE910ELNS1_3gpuE8ELNS1_3repE0EEENS1_30default_config_static_selectorELNS0_4arch9wavefront6targetE1EEEvT1_ ; -- Begin function _ZN7rocprim17ROCPRIM_400000_NS6detail17trampoline_kernelINS0_14default_configENS1_25partition_config_selectorILNS1_17partition_subalgoE0EyNS0_10empty_typeEbEEZZNS1_14partition_implILS5_0ELb0ES3_jN6thrust23THRUST_200600_302600_NS6detail15normal_iteratorINSA_10device_ptrIyEEEEPS6_SG_NS0_5tupleIJNSA_16discard_iteratorINSA_11use_defaultEEESF_EEENSH_IJSG_SG_EEES6_PlJ7is_evenIyEEEE10hipError_tPvRmT3_T4_T5_T6_T7_T9_mT8_P12ihipStream_tbDpT10_ENKUlT_T0_E_clISt17integral_constantIbLb0EES19_EEDaS14_S15_EUlS14_E_NS1_11comp_targetILNS1_3genE4ELNS1_11target_archE910ELNS1_3gpuE8ELNS1_3repE0EEENS1_30default_config_static_selectorELNS0_4arch9wavefront6targetE1EEEvT1_
	.globl	_ZN7rocprim17ROCPRIM_400000_NS6detail17trampoline_kernelINS0_14default_configENS1_25partition_config_selectorILNS1_17partition_subalgoE0EyNS0_10empty_typeEbEEZZNS1_14partition_implILS5_0ELb0ES3_jN6thrust23THRUST_200600_302600_NS6detail15normal_iteratorINSA_10device_ptrIyEEEEPS6_SG_NS0_5tupleIJNSA_16discard_iteratorINSA_11use_defaultEEESF_EEENSH_IJSG_SG_EEES6_PlJ7is_evenIyEEEE10hipError_tPvRmT3_T4_T5_T6_T7_T9_mT8_P12ihipStream_tbDpT10_ENKUlT_T0_E_clISt17integral_constantIbLb0EES19_EEDaS14_S15_EUlS14_E_NS1_11comp_targetILNS1_3genE4ELNS1_11target_archE910ELNS1_3gpuE8ELNS1_3repE0EEENS1_30default_config_static_selectorELNS0_4arch9wavefront6targetE1EEEvT1_
	.p2align	8
	.type	_ZN7rocprim17ROCPRIM_400000_NS6detail17trampoline_kernelINS0_14default_configENS1_25partition_config_selectorILNS1_17partition_subalgoE0EyNS0_10empty_typeEbEEZZNS1_14partition_implILS5_0ELb0ES3_jN6thrust23THRUST_200600_302600_NS6detail15normal_iteratorINSA_10device_ptrIyEEEEPS6_SG_NS0_5tupleIJNSA_16discard_iteratorINSA_11use_defaultEEESF_EEENSH_IJSG_SG_EEES6_PlJ7is_evenIyEEEE10hipError_tPvRmT3_T4_T5_T6_T7_T9_mT8_P12ihipStream_tbDpT10_ENKUlT_T0_E_clISt17integral_constantIbLb0EES19_EEDaS14_S15_EUlS14_E_NS1_11comp_targetILNS1_3genE4ELNS1_11target_archE910ELNS1_3gpuE8ELNS1_3repE0EEENS1_30default_config_static_selectorELNS0_4arch9wavefront6targetE1EEEvT1_,@function
_ZN7rocprim17ROCPRIM_400000_NS6detail17trampoline_kernelINS0_14default_configENS1_25partition_config_selectorILNS1_17partition_subalgoE0EyNS0_10empty_typeEbEEZZNS1_14partition_implILS5_0ELb0ES3_jN6thrust23THRUST_200600_302600_NS6detail15normal_iteratorINSA_10device_ptrIyEEEEPS6_SG_NS0_5tupleIJNSA_16discard_iteratorINSA_11use_defaultEEESF_EEENSH_IJSG_SG_EEES6_PlJ7is_evenIyEEEE10hipError_tPvRmT3_T4_T5_T6_T7_T9_mT8_P12ihipStream_tbDpT10_ENKUlT_T0_E_clISt17integral_constantIbLb0EES19_EEDaS14_S15_EUlS14_E_NS1_11comp_targetILNS1_3genE4ELNS1_11target_archE910ELNS1_3gpuE8ELNS1_3repE0EEENS1_30default_config_static_selectorELNS0_4arch9wavefront6targetE1EEEvT1_: ; @_ZN7rocprim17ROCPRIM_400000_NS6detail17trampoline_kernelINS0_14default_configENS1_25partition_config_selectorILNS1_17partition_subalgoE0EyNS0_10empty_typeEbEEZZNS1_14partition_implILS5_0ELb0ES3_jN6thrust23THRUST_200600_302600_NS6detail15normal_iteratorINSA_10device_ptrIyEEEEPS6_SG_NS0_5tupleIJNSA_16discard_iteratorINSA_11use_defaultEEESF_EEENSH_IJSG_SG_EEES6_PlJ7is_evenIyEEEE10hipError_tPvRmT3_T4_T5_T6_T7_T9_mT8_P12ihipStream_tbDpT10_ENKUlT_T0_E_clISt17integral_constantIbLb0EES19_EEDaS14_S15_EUlS14_E_NS1_11comp_targetILNS1_3genE4ELNS1_11target_archE910ELNS1_3gpuE8ELNS1_3repE0EEENS1_30default_config_static_selectorELNS0_4arch9wavefront6targetE1EEEvT1_
; %bb.0:
	.section	.rodata,"a",@progbits
	.p2align	6, 0x0
	.amdhsa_kernel _ZN7rocprim17ROCPRIM_400000_NS6detail17trampoline_kernelINS0_14default_configENS1_25partition_config_selectorILNS1_17partition_subalgoE0EyNS0_10empty_typeEbEEZZNS1_14partition_implILS5_0ELb0ES3_jN6thrust23THRUST_200600_302600_NS6detail15normal_iteratorINSA_10device_ptrIyEEEEPS6_SG_NS0_5tupleIJNSA_16discard_iteratorINSA_11use_defaultEEESF_EEENSH_IJSG_SG_EEES6_PlJ7is_evenIyEEEE10hipError_tPvRmT3_T4_T5_T6_T7_T9_mT8_P12ihipStream_tbDpT10_ENKUlT_T0_E_clISt17integral_constantIbLb0EES19_EEDaS14_S15_EUlS14_E_NS1_11comp_targetILNS1_3genE4ELNS1_11target_archE910ELNS1_3gpuE8ELNS1_3repE0EEENS1_30default_config_static_selectorELNS0_4arch9wavefront6targetE1EEEvT1_
		.amdhsa_group_segment_fixed_size 0
		.amdhsa_private_segment_fixed_size 0
		.amdhsa_kernarg_size 128
		.amdhsa_user_sgpr_count 2
		.amdhsa_user_sgpr_dispatch_ptr 0
		.amdhsa_user_sgpr_queue_ptr 0
		.amdhsa_user_sgpr_kernarg_segment_ptr 1
		.amdhsa_user_sgpr_dispatch_id 0
		.amdhsa_user_sgpr_kernarg_preload_length 0
		.amdhsa_user_sgpr_kernarg_preload_offset 0
		.amdhsa_user_sgpr_private_segment_size 0
		.amdhsa_uses_dynamic_stack 0
		.amdhsa_enable_private_segment 0
		.amdhsa_system_sgpr_workgroup_id_x 1
		.amdhsa_system_sgpr_workgroup_id_y 0
		.amdhsa_system_sgpr_workgroup_id_z 0
		.amdhsa_system_sgpr_workgroup_info 0
		.amdhsa_system_vgpr_workitem_id 0
		.amdhsa_next_free_vgpr 1
		.amdhsa_next_free_sgpr 0
		.amdhsa_accum_offset 4
		.amdhsa_reserve_vcc 0
		.amdhsa_float_round_mode_32 0
		.amdhsa_float_round_mode_16_64 0
		.amdhsa_float_denorm_mode_32 3
		.amdhsa_float_denorm_mode_16_64 3
		.amdhsa_dx10_clamp 1
		.amdhsa_ieee_mode 1
		.amdhsa_fp16_overflow 0
		.amdhsa_tg_split 0
		.amdhsa_exception_fp_ieee_invalid_op 0
		.amdhsa_exception_fp_denorm_src 0
		.amdhsa_exception_fp_ieee_div_zero 0
		.amdhsa_exception_fp_ieee_overflow 0
		.amdhsa_exception_fp_ieee_underflow 0
		.amdhsa_exception_fp_ieee_inexact 0
		.amdhsa_exception_int_div_zero 0
	.end_amdhsa_kernel
	.section	.text._ZN7rocprim17ROCPRIM_400000_NS6detail17trampoline_kernelINS0_14default_configENS1_25partition_config_selectorILNS1_17partition_subalgoE0EyNS0_10empty_typeEbEEZZNS1_14partition_implILS5_0ELb0ES3_jN6thrust23THRUST_200600_302600_NS6detail15normal_iteratorINSA_10device_ptrIyEEEEPS6_SG_NS0_5tupleIJNSA_16discard_iteratorINSA_11use_defaultEEESF_EEENSH_IJSG_SG_EEES6_PlJ7is_evenIyEEEE10hipError_tPvRmT3_T4_T5_T6_T7_T9_mT8_P12ihipStream_tbDpT10_ENKUlT_T0_E_clISt17integral_constantIbLb0EES19_EEDaS14_S15_EUlS14_E_NS1_11comp_targetILNS1_3genE4ELNS1_11target_archE910ELNS1_3gpuE8ELNS1_3repE0EEENS1_30default_config_static_selectorELNS0_4arch9wavefront6targetE1EEEvT1_,"axG",@progbits,_ZN7rocprim17ROCPRIM_400000_NS6detail17trampoline_kernelINS0_14default_configENS1_25partition_config_selectorILNS1_17partition_subalgoE0EyNS0_10empty_typeEbEEZZNS1_14partition_implILS5_0ELb0ES3_jN6thrust23THRUST_200600_302600_NS6detail15normal_iteratorINSA_10device_ptrIyEEEEPS6_SG_NS0_5tupleIJNSA_16discard_iteratorINSA_11use_defaultEEESF_EEENSH_IJSG_SG_EEES6_PlJ7is_evenIyEEEE10hipError_tPvRmT3_T4_T5_T6_T7_T9_mT8_P12ihipStream_tbDpT10_ENKUlT_T0_E_clISt17integral_constantIbLb0EES19_EEDaS14_S15_EUlS14_E_NS1_11comp_targetILNS1_3genE4ELNS1_11target_archE910ELNS1_3gpuE8ELNS1_3repE0EEENS1_30default_config_static_selectorELNS0_4arch9wavefront6targetE1EEEvT1_,comdat
.Lfunc_end2365:
	.size	_ZN7rocprim17ROCPRIM_400000_NS6detail17trampoline_kernelINS0_14default_configENS1_25partition_config_selectorILNS1_17partition_subalgoE0EyNS0_10empty_typeEbEEZZNS1_14partition_implILS5_0ELb0ES3_jN6thrust23THRUST_200600_302600_NS6detail15normal_iteratorINSA_10device_ptrIyEEEEPS6_SG_NS0_5tupleIJNSA_16discard_iteratorINSA_11use_defaultEEESF_EEENSH_IJSG_SG_EEES6_PlJ7is_evenIyEEEE10hipError_tPvRmT3_T4_T5_T6_T7_T9_mT8_P12ihipStream_tbDpT10_ENKUlT_T0_E_clISt17integral_constantIbLb0EES19_EEDaS14_S15_EUlS14_E_NS1_11comp_targetILNS1_3genE4ELNS1_11target_archE910ELNS1_3gpuE8ELNS1_3repE0EEENS1_30default_config_static_selectorELNS0_4arch9wavefront6targetE1EEEvT1_, .Lfunc_end2365-_ZN7rocprim17ROCPRIM_400000_NS6detail17trampoline_kernelINS0_14default_configENS1_25partition_config_selectorILNS1_17partition_subalgoE0EyNS0_10empty_typeEbEEZZNS1_14partition_implILS5_0ELb0ES3_jN6thrust23THRUST_200600_302600_NS6detail15normal_iteratorINSA_10device_ptrIyEEEEPS6_SG_NS0_5tupleIJNSA_16discard_iteratorINSA_11use_defaultEEESF_EEENSH_IJSG_SG_EEES6_PlJ7is_evenIyEEEE10hipError_tPvRmT3_T4_T5_T6_T7_T9_mT8_P12ihipStream_tbDpT10_ENKUlT_T0_E_clISt17integral_constantIbLb0EES19_EEDaS14_S15_EUlS14_E_NS1_11comp_targetILNS1_3genE4ELNS1_11target_archE910ELNS1_3gpuE8ELNS1_3repE0EEENS1_30default_config_static_selectorELNS0_4arch9wavefront6targetE1EEEvT1_
                                        ; -- End function
	.section	.AMDGPU.csdata,"",@progbits
; Kernel info:
; codeLenInByte = 0
; NumSgprs: 6
; NumVgprs: 0
; NumAgprs: 0
; TotalNumVgprs: 0
; ScratchSize: 0
; MemoryBound: 0
; FloatMode: 240
; IeeeMode: 1
; LDSByteSize: 0 bytes/workgroup (compile time only)
; SGPRBlocks: 0
; VGPRBlocks: 0
; NumSGPRsForWavesPerEU: 6
; NumVGPRsForWavesPerEU: 1
; AccumOffset: 4
; Occupancy: 8
; WaveLimiterHint : 0
; COMPUTE_PGM_RSRC2:SCRATCH_EN: 0
; COMPUTE_PGM_RSRC2:USER_SGPR: 2
; COMPUTE_PGM_RSRC2:TRAP_HANDLER: 0
; COMPUTE_PGM_RSRC2:TGID_X_EN: 1
; COMPUTE_PGM_RSRC2:TGID_Y_EN: 0
; COMPUTE_PGM_RSRC2:TGID_Z_EN: 0
; COMPUTE_PGM_RSRC2:TIDIG_COMP_CNT: 0
; COMPUTE_PGM_RSRC3_GFX90A:ACCUM_OFFSET: 0
; COMPUTE_PGM_RSRC3_GFX90A:TG_SPLIT: 0
	.section	.text._ZN7rocprim17ROCPRIM_400000_NS6detail17trampoline_kernelINS0_14default_configENS1_25partition_config_selectorILNS1_17partition_subalgoE0EyNS0_10empty_typeEbEEZZNS1_14partition_implILS5_0ELb0ES3_jN6thrust23THRUST_200600_302600_NS6detail15normal_iteratorINSA_10device_ptrIyEEEEPS6_SG_NS0_5tupleIJNSA_16discard_iteratorINSA_11use_defaultEEESF_EEENSH_IJSG_SG_EEES6_PlJ7is_evenIyEEEE10hipError_tPvRmT3_T4_T5_T6_T7_T9_mT8_P12ihipStream_tbDpT10_ENKUlT_T0_E_clISt17integral_constantIbLb0EES19_EEDaS14_S15_EUlS14_E_NS1_11comp_targetILNS1_3genE3ELNS1_11target_archE908ELNS1_3gpuE7ELNS1_3repE0EEENS1_30default_config_static_selectorELNS0_4arch9wavefront6targetE1EEEvT1_,"axG",@progbits,_ZN7rocprim17ROCPRIM_400000_NS6detail17trampoline_kernelINS0_14default_configENS1_25partition_config_selectorILNS1_17partition_subalgoE0EyNS0_10empty_typeEbEEZZNS1_14partition_implILS5_0ELb0ES3_jN6thrust23THRUST_200600_302600_NS6detail15normal_iteratorINSA_10device_ptrIyEEEEPS6_SG_NS0_5tupleIJNSA_16discard_iteratorINSA_11use_defaultEEESF_EEENSH_IJSG_SG_EEES6_PlJ7is_evenIyEEEE10hipError_tPvRmT3_T4_T5_T6_T7_T9_mT8_P12ihipStream_tbDpT10_ENKUlT_T0_E_clISt17integral_constantIbLb0EES19_EEDaS14_S15_EUlS14_E_NS1_11comp_targetILNS1_3genE3ELNS1_11target_archE908ELNS1_3gpuE7ELNS1_3repE0EEENS1_30default_config_static_selectorELNS0_4arch9wavefront6targetE1EEEvT1_,comdat
	.protected	_ZN7rocprim17ROCPRIM_400000_NS6detail17trampoline_kernelINS0_14default_configENS1_25partition_config_selectorILNS1_17partition_subalgoE0EyNS0_10empty_typeEbEEZZNS1_14partition_implILS5_0ELb0ES3_jN6thrust23THRUST_200600_302600_NS6detail15normal_iteratorINSA_10device_ptrIyEEEEPS6_SG_NS0_5tupleIJNSA_16discard_iteratorINSA_11use_defaultEEESF_EEENSH_IJSG_SG_EEES6_PlJ7is_evenIyEEEE10hipError_tPvRmT3_T4_T5_T6_T7_T9_mT8_P12ihipStream_tbDpT10_ENKUlT_T0_E_clISt17integral_constantIbLb0EES19_EEDaS14_S15_EUlS14_E_NS1_11comp_targetILNS1_3genE3ELNS1_11target_archE908ELNS1_3gpuE7ELNS1_3repE0EEENS1_30default_config_static_selectorELNS0_4arch9wavefront6targetE1EEEvT1_ ; -- Begin function _ZN7rocprim17ROCPRIM_400000_NS6detail17trampoline_kernelINS0_14default_configENS1_25partition_config_selectorILNS1_17partition_subalgoE0EyNS0_10empty_typeEbEEZZNS1_14partition_implILS5_0ELb0ES3_jN6thrust23THRUST_200600_302600_NS6detail15normal_iteratorINSA_10device_ptrIyEEEEPS6_SG_NS0_5tupleIJNSA_16discard_iteratorINSA_11use_defaultEEESF_EEENSH_IJSG_SG_EEES6_PlJ7is_evenIyEEEE10hipError_tPvRmT3_T4_T5_T6_T7_T9_mT8_P12ihipStream_tbDpT10_ENKUlT_T0_E_clISt17integral_constantIbLb0EES19_EEDaS14_S15_EUlS14_E_NS1_11comp_targetILNS1_3genE3ELNS1_11target_archE908ELNS1_3gpuE7ELNS1_3repE0EEENS1_30default_config_static_selectorELNS0_4arch9wavefront6targetE1EEEvT1_
	.globl	_ZN7rocprim17ROCPRIM_400000_NS6detail17trampoline_kernelINS0_14default_configENS1_25partition_config_selectorILNS1_17partition_subalgoE0EyNS0_10empty_typeEbEEZZNS1_14partition_implILS5_0ELb0ES3_jN6thrust23THRUST_200600_302600_NS6detail15normal_iteratorINSA_10device_ptrIyEEEEPS6_SG_NS0_5tupleIJNSA_16discard_iteratorINSA_11use_defaultEEESF_EEENSH_IJSG_SG_EEES6_PlJ7is_evenIyEEEE10hipError_tPvRmT3_T4_T5_T6_T7_T9_mT8_P12ihipStream_tbDpT10_ENKUlT_T0_E_clISt17integral_constantIbLb0EES19_EEDaS14_S15_EUlS14_E_NS1_11comp_targetILNS1_3genE3ELNS1_11target_archE908ELNS1_3gpuE7ELNS1_3repE0EEENS1_30default_config_static_selectorELNS0_4arch9wavefront6targetE1EEEvT1_
	.p2align	8
	.type	_ZN7rocprim17ROCPRIM_400000_NS6detail17trampoline_kernelINS0_14default_configENS1_25partition_config_selectorILNS1_17partition_subalgoE0EyNS0_10empty_typeEbEEZZNS1_14partition_implILS5_0ELb0ES3_jN6thrust23THRUST_200600_302600_NS6detail15normal_iteratorINSA_10device_ptrIyEEEEPS6_SG_NS0_5tupleIJNSA_16discard_iteratorINSA_11use_defaultEEESF_EEENSH_IJSG_SG_EEES6_PlJ7is_evenIyEEEE10hipError_tPvRmT3_T4_T5_T6_T7_T9_mT8_P12ihipStream_tbDpT10_ENKUlT_T0_E_clISt17integral_constantIbLb0EES19_EEDaS14_S15_EUlS14_E_NS1_11comp_targetILNS1_3genE3ELNS1_11target_archE908ELNS1_3gpuE7ELNS1_3repE0EEENS1_30default_config_static_selectorELNS0_4arch9wavefront6targetE1EEEvT1_,@function
_ZN7rocprim17ROCPRIM_400000_NS6detail17trampoline_kernelINS0_14default_configENS1_25partition_config_selectorILNS1_17partition_subalgoE0EyNS0_10empty_typeEbEEZZNS1_14partition_implILS5_0ELb0ES3_jN6thrust23THRUST_200600_302600_NS6detail15normal_iteratorINSA_10device_ptrIyEEEEPS6_SG_NS0_5tupleIJNSA_16discard_iteratorINSA_11use_defaultEEESF_EEENSH_IJSG_SG_EEES6_PlJ7is_evenIyEEEE10hipError_tPvRmT3_T4_T5_T6_T7_T9_mT8_P12ihipStream_tbDpT10_ENKUlT_T0_E_clISt17integral_constantIbLb0EES19_EEDaS14_S15_EUlS14_E_NS1_11comp_targetILNS1_3genE3ELNS1_11target_archE908ELNS1_3gpuE7ELNS1_3repE0EEENS1_30default_config_static_selectorELNS0_4arch9wavefront6targetE1EEEvT1_: ; @_ZN7rocprim17ROCPRIM_400000_NS6detail17trampoline_kernelINS0_14default_configENS1_25partition_config_selectorILNS1_17partition_subalgoE0EyNS0_10empty_typeEbEEZZNS1_14partition_implILS5_0ELb0ES3_jN6thrust23THRUST_200600_302600_NS6detail15normal_iteratorINSA_10device_ptrIyEEEEPS6_SG_NS0_5tupleIJNSA_16discard_iteratorINSA_11use_defaultEEESF_EEENSH_IJSG_SG_EEES6_PlJ7is_evenIyEEEE10hipError_tPvRmT3_T4_T5_T6_T7_T9_mT8_P12ihipStream_tbDpT10_ENKUlT_T0_E_clISt17integral_constantIbLb0EES19_EEDaS14_S15_EUlS14_E_NS1_11comp_targetILNS1_3genE3ELNS1_11target_archE908ELNS1_3gpuE7ELNS1_3repE0EEENS1_30default_config_static_selectorELNS0_4arch9wavefront6targetE1EEEvT1_
; %bb.0:
	.section	.rodata,"a",@progbits
	.p2align	6, 0x0
	.amdhsa_kernel _ZN7rocprim17ROCPRIM_400000_NS6detail17trampoline_kernelINS0_14default_configENS1_25partition_config_selectorILNS1_17partition_subalgoE0EyNS0_10empty_typeEbEEZZNS1_14partition_implILS5_0ELb0ES3_jN6thrust23THRUST_200600_302600_NS6detail15normal_iteratorINSA_10device_ptrIyEEEEPS6_SG_NS0_5tupleIJNSA_16discard_iteratorINSA_11use_defaultEEESF_EEENSH_IJSG_SG_EEES6_PlJ7is_evenIyEEEE10hipError_tPvRmT3_T4_T5_T6_T7_T9_mT8_P12ihipStream_tbDpT10_ENKUlT_T0_E_clISt17integral_constantIbLb0EES19_EEDaS14_S15_EUlS14_E_NS1_11comp_targetILNS1_3genE3ELNS1_11target_archE908ELNS1_3gpuE7ELNS1_3repE0EEENS1_30default_config_static_selectorELNS0_4arch9wavefront6targetE1EEEvT1_
		.amdhsa_group_segment_fixed_size 0
		.amdhsa_private_segment_fixed_size 0
		.amdhsa_kernarg_size 128
		.amdhsa_user_sgpr_count 2
		.amdhsa_user_sgpr_dispatch_ptr 0
		.amdhsa_user_sgpr_queue_ptr 0
		.amdhsa_user_sgpr_kernarg_segment_ptr 1
		.amdhsa_user_sgpr_dispatch_id 0
		.amdhsa_user_sgpr_kernarg_preload_length 0
		.amdhsa_user_sgpr_kernarg_preload_offset 0
		.amdhsa_user_sgpr_private_segment_size 0
		.amdhsa_uses_dynamic_stack 0
		.amdhsa_enable_private_segment 0
		.amdhsa_system_sgpr_workgroup_id_x 1
		.amdhsa_system_sgpr_workgroup_id_y 0
		.amdhsa_system_sgpr_workgroup_id_z 0
		.amdhsa_system_sgpr_workgroup_info 0
		.amdhsa_system_vgpr_workitem_id 0
		.amdhsa_next_free_vgpr 1
		.amdhsa_next_free_sgpr 0
		.amdhsa_accum_offset 4
		.amdhsa_reserve_vcc 0
		.amdhsa_float_round_mode_32 0
		.amdhsa_float_round_mode_16_64 0
		.amdhsa_float_denorm_mode_32 3
		.amdhsa_float_denorm_mode_16_64 3
		.amdhsa_dx10_clamp 1
		.amdhsa_ieee_mode 1
		.amdhsa_fp16_overflow 0
		.amdhsa_tg_split 0
		.amdhsa_exception_fp_ieee_invalid_op 0
		.amdhsa_exception_fp_denorm_src 0
		.amdhsa_exception_fp_ieee_div_zero 0
		.amdhsa_exception_fp_ieee_overflow 0
		.amdhsa_exception_fp_ieee_underflow 0
		.amdhsa_exception_fp_ieee_inexact 0
		.amdhsa_exception_int_div_zero 0
	.end_amdhsa_kernel
	.section	.text._ZN7rocprim17ROCPRIM_400000_NS6detail17trampoline_kernelINS0_14default_configENS1_25partition_config_selectorILNS1_17partition_subalgoE0EyNS0_10empty_typeEbEEZZNS1_14partition_implILS5_0ELb0ES3_jN6thrust23THRUST_200600_302600_NS6detail15normal_iteratorINSA_10device_ptrIyEEEEPS6_SG_NS0_5tupleIJNSA_16discard_iteratorINSA_11use_defaultEEESF_EEENSH_IJSG_SG_EEES6_PlJ7is_evenIyEEEE10hipError_tPvRmT3_T4_T5_T6_T7_T9_mT8_P12ihipStream_tbDpT10_ENKUlT_T0_E_clISt17integral_constantIbLb0EES19_EEDaS14_S15_EUlS14_E_NS1_11comp_targetILNS1_3genE3ELNS1_11target_archE908ELNS1_3gpuE7ELNS1_3repE0EEENS1_30default_config_static_selectorELNS0_4arch9wavefront6targetE1EEEvT1_,"axG",@progbits,_ZN7rocprim17ROCPRIM_400000_NS6detail17trampoline_kernelINS0_14default_configENS1_25partition_config_selectorILNS1_17partition_subalgoE0EyNS0_10empty_typeEbEEZZNS1_14partition_implILS5_0ELb0ES3_jN6thrust23THRUST_200600_302600_NS6detail15normal_iteratorINSA_10device_ptrIyEEEEPS6_SG_NS0_5tupleIJNSA_16discard_iteratorINSA_11use_defaultEEESF_EEENSH_IJSG_SG_EEES6_PlJ7is_evenIyEEEE10hipError_tPvRmT3_T4_T5_T6_T7_T9_mT8_P12ihipStream_tbDpT10_ENKUlT_T0_E_clISt17integral_constantIbLb0EES19_EEDaS14_S15_EUlS14_E_NS1_11comp_targetILNS1_3genE3ELNS1_11target_archE908ELNS1_3gpuE7ELNS1_3repE0EEENS1_30default_config_static_selectorELNS0_4arch9wavefront6targetE1EEEvT1_,comdat
.Lfunc_end2366:
	.size	_ZN7rocprim17ROCPRIM_400000_NS6detail17trampoline_kernelINS0_14default_configENS1_25partition_config_selectorILNS1_17partition_subalgoE0EyNS0_10empty_typeEbEEZZNS1_14partition_implILS5_0ELb0ES3_jN6thrust23THRUST_200600_302600_NS6detail15normal_iteratorINSA_10device_ptrIyEEEEPS6_SG_NS0_5tupleIJNSA_16discard_iteratorINSA_11use_defaultEEESF_EEENSH_IJSG_SG_EEES6_PlJ7is_evenIyEEEE10hipError_tPvRmT3_T4_T5_T6_T7_T9_mT8_P12ihipStream_tbDpT10_ENKUlT_T0_E_clISt17integral_constantIbLb0EES19_EEDaS14_S15_EUlS14_E_NS1_11comp_targetILNS1_3genE3ELNS1_11target_archE908ELNS1_3gpuE7ELNS1_3repE0EEENS1_30default_config_static_selectorELNS0_4arch9wavefront6targetE1EEEvT1_, .Lfunc_end2366-_ZN7rocprim17ROCPRIM_400000_NS6detail17trampoline_kernelINS0_14default_configENS1_25partition_config_selectorILNS1_17partition_subalgoE0EyNS0_10empty_typeEbEEZZNS1_14partition_implILS5_0ELb0ES3_jN6thrust23THRUST_200600_302600_NS6detail15normal_iteratorINSA_10device_ptrIyEEEEPS6_SG_NS0_5tupleIJNSA_16discard_iteratorINSA_11use_defaultEEESF_EEENSH_IJSG_SG_EEES6_PlJ7is_evenIyEEEE10hipError_tPvRmT3_T4_T5_T6_T7_T9_mT8_P12ihipStream_tbDpT10_ENKUlT_T0_E_clISt17integral_constantIbLb0EES19_EEDaS14_S15_EUlS14_E_NS1_11comp_targetILNS1_3genE3ELNS1_11target_archE908ELNS1_3gpuE7ELNS1_3repE0EEENS1_30default_config_static_selectorELNS0_4arch9wavefront6targetE1EEEvT1_
                                        ; -- End function
	.section	.AMDGPU.csdata,"",@progbits
; Kernel info:
; codeLenInByte = 0
; NumSgprs: 6
; NumVgprs: 0
; NumAgprs: 0
; TotalNumVgprs: 0
; ScratchSize: 0
; MemoryBound: 0
; FloatMode: 240
; IeeeMode: 1
; LDSByteSize: 0 bytes/workgroup (compile time only)
; SGPRBlocks: 0
; VGPRBlocks: 0
; NumSGPRsForWavesPerEU: 6
; NumVGPRsForWavesPerEU: 1
; AccumOffset: 4
; Occupancy: 8
; WaveLimiterHint : 0
; COMPUTE_PGM_RSRC2:SCRATCH_EN: 0
; COMPUTE_PGM_RSRC2:USER_SGPR: 2
; COMPUTE_PGM_RSRC2:TRAP_HANDLER: 0
; COMPUTE_PGM_RSRC2:TGID_X_EN: 1
; COMPUTE_PGM_RSRC2:TGID_Y_EN: 0
; COMPUTE_PGM_RSRC2:TGID_Z_EN: 0
; COMPUTE_PGM_RSRC2:TIDIG_COMP_CNT: 0
; COMPUTE_PGM_RSRC3_GFX90A:ACCUM_OFFSET: 0
; COMPUTE_PGM_RSRC3_GFX90A:TG_SPLIT: 0
	.section	.text._ZN7rocprim17ROCPRIM_400000_NS6detail17trampoline_kernelINS0_14default_configENS1_25partition_config_selectorILNS1_17partition_subalgoE0EyNS0_10empty_typeEbEEZZNS1_14partition_implILS5_0ELb0ES3_jN6thrust23THRUST_200600_302600_NS6detail15normal_iteratorINSA_10device_ptrIyEEEEPS6_SG_NS0_5tupleIJNSA_16discard_iteratorINSA_11use_defaultEEESF_EEENSH_IJSG_SG_EEES6_PlJ7is_evenIyEEEE10hipError_tPvRmT3_T4_T5_T6_T7_T9_mT8_P12ihipStream_tbDpT10_ENKUlT_T0_E_clISt17integral_constantIbLb0EES19_EEDaS14_S15_EUlS14_E_NS1_11comp_targetILNS1_3genE2ELNS1_11target_archE906ELNS1_3gpuE6ELNS1_3repE0EEENS1_30default_config_static_selectorELNS0_4arch9wavefront6targetE1EEEvT1_,"axG",@progbits,_ZN7rocprim17ROCPRIM_400000_NS6detail17trampoline_kernelINS0_14default_configENS1_25partition_config_selectorILNS1_17partition_subalgoE0EyNS0_10empty_typeEbEEZZNS1_14partition_implILS5_0ELb0ES3_jN6thrust23THRUST_200600_302600_NS6detail15normal_iteratorINSA_10device_ptrIyEEEEPS6_SG_NS0_5tupleIJNSA_16discard_iteratorINSA_11use_defaultEEESF_EEENSH_IJSG_SG_EEES6_PlJ7is_evenIyEEEE10hipError_tPvRmT3_T4_T5_T6_T7_T9_mT8_P12ihipStream_tbDpT10_ENKUlT_T0_E_clISt17integral_constantIbLb0EES19_EEDaS14_S15_EUlS14_E_NS1_11comp_targetILNS1_3genE2ELNS1_11target_archE906ELNS1_3gpuE6ELNS1_3repE0EEENS1_30default_config_static_selectorELNS0_4arch9wavefront6targetE1EEEvT1_,comdat
	.protected	_ZN7rocprim17ROCPRIM_400000_NS6detail17trampoline_kernelINS0_14default_configENS1_25partition_config_selectorILNS1_17partition_subalgoE0EyNS0_10empty_typeEbEEZZNS1_14partition_implILS5_0ELb0ES3_jN6thrust23THRUST_200600_302600_NS6detail15normal_iteratorINSA_10device_ptrIyEEEEPS6_SG_NS0_5tupleIJNSA_16discard_iteratorINSA_11use_defaultEEESF_EEENSH_IJSG_SG_EEES6_PlJ7is_evenIyEEEE10hipError_tPvRmT3_T4_T5_T6_T7_T9_mT8_P12ihipStream_tbDpT10_ENKUlT_T0_E_clISt17integral_constantIbLb0EES19_EEDaS14_S15_EUlS14_E_NS1_11comp_targetILNS1_3genE2ELNS1_11target_archE906ELNS1_3gpuE6ELNS1_3repE0EEENS1_30default_config_static_selectorELNS0_4arch9wavefront6targetE1EEEvT1_ ; -- Begin function _ZN7rocprim17ROCPRIM_400000_NS6detail17trampoline_kernelINS0_14default_configENS1_25partition_config_selectorILNS1_17partition_subalgoE0EyNS0_10empty_typeEbEEZZNS1_14partition_implILS5_0ELb0ES3_jN6thrust23THRUST_200600_302600_NS6detail15normal_iteratorINSA_10device_ptrIyEEEEPS6_SG_NS0_5tupleIJNSA_16discard_iteratorINSA_11use_defaultEEESF_EEENSH_IJSG_SG_EEES6_PlJ7is_evenIyEEEE10hipError_tPvRmT3_T4_T5_T6_T7_T9_mT8_P12ihipStream_tbDpT10_ENKUlT_T0_E_clISt17integral_constantIbLb0EES19_EEDaS14_S15_EUlS14_E_NS1_11comp_targetILNS1_3genE2ELNS1_11target_archE906ELNS1_3gpuE6ELNS1_3repE0EEENS1_30default_config_static_selectorELNS0_4arch9wavefront6targetE1EEEvT1_
	.globl	_ZN7rocprim17ROCPRIM_400000_NS6detail17trampoline_kernelINS0_14default_configENS1_25partition_config_selectorILNS1_17partition_subalgoE0EyNS0_10empty_typeEbEEZZNS1_14partition_implILS5_0ELb0ES3_jN6thrust23THRUST_200600_302600_NS6detail15normal_iteratorINSA_10device_ptrIyEEEEPS6_SG_NS0_5tupleIJNSA_16discard_iteratorINSA_11use_defaultEEESF_EEENSH_IJSG_SG_EEES6_PlJ7is_evenIyEEEE10hipError_tPvRmT3_T4_T5_T6_T7_T9_mT8_P12ihipStream_tbDpT10_ENKUlT_T0_E_clISt17integral_constantIbLb0EES19_EEDaS14_S15_EUlS14_E_NS1_11comp_targetILNS1_3genE2ELNS1_11target_archE906ELNS1_3gpuE6ELNS1_3repE0EEENS1_30default_config_static_selectorELNS0_4arch9wavefront6targetE1EEEvT1_
	.p2align	8
	.type	_ZN7rocprim17ROCPRIM_400000_NS6detail17trampoline_kernelINS0_14default_configENS1_25partition_config_selectorILNS1_17partition_subalgoE0EyNS0_10empty_typeEbEEZZNS1_14partition_implILS5_0ELb0ES3_jN6thrust23THRUST_200600_302600_NS6detail15normal_iteratorINSA_10device_ptrIyEEEEPS6_SG_NS0_5tupleIJNSA_16discard_iteratorINSA_11use_defaultEEESF_EEENSH_IJSG_SG_EEES6_PlJ7is_evenIyEEEE10hipError_tPvRmT3_T4_T5_T6_T7_T9_mT8_P12ihipStream_tbDpT10_ENKUlT_T0_E_clISt17integral_constantIbLb0EES19_EEDaS14_S15_EUlS14_E_NS1_11comp_targetILNS1_3genE2ELNS1_11target_archE906ELNS1_3gpuE6ELNS1_3repE0EEENS1_30default_config_static_selectorELNS0_4arch9wavefront6targetE1EEEvT1_,@function
_ZN7rocprim17ROCPRIM_400000_NS6detail17trampoline_kernelINS0_14default_configENS1_25partition_config_selectorILNS1_17partition_subalgoE0EyNS0_10empty_typeEbEEZZNS1_14partition_implILS5_0ELb0ES3_jN6thrust23THRUST_200600_302600_NS6detail15normal_iteratorINSA_10device_ptrIyEEEEPS6_SG_NS0_5tupleIJNSA_16discard_iteratorINSA_11use_defaultEEESF_EEENSH_IJSG_SG_EEES6_PlJ7is_evenIyEEEE10hipError_tPvRmT3_T4_T5_T6_T7_T9_mT8_P12ihipStream_tbDpT10_ENKUlT_T0_E_clISt17integral_constantIbLb0EES19_EEDaS14_S15_EUlS14_E_NS1_11comp_targetILNS1_3genE2ELNS1_11target_archE906ELNS1_3gpuE6ELNS1_3repE0EEENS1_30default_config_static_selectorELNS0_4arch9wavefront6targetE1EEEvT1_: ; @_ZN7rocprim17ROCPRIM_400000_NS6detail17trampoline_kernelINS0_14default_configENS1_25partition_config_selectorILNS1_17partition_subalgoE0EyNS0_10empty_typeEbEEZZNS1_14partition_implILS5_0ELb0ES3_jN6thrust23THRUST_200600_302600_NS6detail15normal_iteratorINSA_10device_ptrIyEEEEPS6_SG_NS0_5tupleIJNSA_16discard_iteratorINSA_11use_defaultEEESF_EEENSH_IJSG_SG_EEES6_PlJ7is_evenIyEEEE10hipError_tPvRmT3_T4_T5_T6_T7_T9_mT8_P12ihipStream_tbDpT10_ENKUlT_T0_E_clISt17integral_constantIbLb0EES19_EEDaS14_S15_EUlS14_E_NS1_11comp_targetILNS1_3genE2ELNS1_11target_archE906ELNS1_3gpuE6ELNS1_3repE0EEENS1_30default_config_static_selectorELNS0_4arch9wavefront6targetE1EEEvT1_
; %bb.0:
	.section	.rodata,"a",@progbits
	.p2align	6, 0x0
	.amdhsa_kernel _ZN7rocprim17ROCPRIM_400000_NS6detail17trampoline_kernelINS0_14default_configENS1_25partition_config_selectorILNS1_17partition_subalgoE0EyNS0_10empty_typeEbEEZZNS1_14partition_implILS5_0ELb0ES3_jN6thrust23THRUST_200600_302600_NS6detail15normal_iteratorINSA_10device_ptrIyEEEEPS6_SG_NS0_5tupleIJNSA_16discard_iteratorINSA_11use_defaultEEESF_EEENSH_IJSG_SG_EEES6_PlJ7is_evenIyEEEE10hipError_tPvRmT3_T4_T5_T6_T7_T9_mT8_P12ihipStream_tbDpT10_ENKUlT_T0_E_clISt17integral_constantIbLb0EES19_EEDaS14_S15_EUlS14_E_NS1_11comp_targetILNS1_3genE2ELNS1_11target_archE906ELNS1_3gpuE6ELNS1_3repE0EEENS1_30default_config_static_selectorELNS0_4arch9wavefront6targetE1EEEvT1_
		.amdhsa_group_segment_fixed_size 0
		.amdhsa_private_segment_fixed_size 0
		.amdhsa_kernarg_size 128
		.amdhsa_user_sgpr_count 2
		.amdhsa_user_sgpr_dispatch_ptr 0
		.amdhsa_user_sgpr_queue_ptr 0
		.amdhsa_user_sgpr_kernarg_segment_ptr 1
		.amdhsa_user_sgpr_dispatch_id 0
		.amdhsa_user_sgpr_kernarg_preload_length 0
		.amdhsa_user_sgpr_kernarg_preload_offset 0
		.amdhsa_user_sgpr_private_segment_size 0
		.amdhsa_uses_dynamic_stack 0
		.amdhsa_enable_private_segment 0
		.amdhsa_system_sgpr_workgroup_id_x 1
		.amdhsa_system_sgpr_workgroup_id_y 0
		.amdhsa_system_sgpr_workgroup_id_z 0
		.amdhsa_system_sgpr_workgroup_info 0
		.amdhsa_system_vgpr_workitem_id 0
		.amdhsa_next_free_vgpr 1
		.amdhsa_next_free_sgpr 0
		.amdhsa_accum_offset 4
		.amdhsa_reserve_vcc 0
		.amdhsa_float_round_mode_32 0
		.amdhsa_float_round_mode_16_64 0
		.amdhsa_float_denorm_mode_32 3
		.amdhsa_float_denorm_mode_16_64 3
		.amdhsa_dx10_clamp 1
		.amdhsa_ieee_mode 1
		.amdhsa_fp16_overflow 0
		.amdhsa_tg_split 0
		.amdhsa_exception_fp_ieee_invalid_op 0
		.amdhsa_exception_fp_denorm_src 0
		.amdhsa_exception_fp_ieee_div_zero 0
		.amdhsa_exception_fp_ieee_overflow 0
		.amdhsa_exception_fp_ieee_underflow 0
		.amdhsa_exception_fp_ieee_inexact 0
		.amdhsa_exception_int_div_zero 0
	.end_amdhsa_kernel
	.section	.text._ZN7rocprim17ROCPRIM_400000_NS6detail17trampoline_kernelINS0_14default_configENS1_25partition_config_selectorILNS1_17partition_subalgoE0EyNS0_10empty_typeEbEEZZNS1_14partition_implILS5_0ELb0ES3_jN6thrust23THRUST_200600_302600_NS6detail15normal_iteratorINSA_10device_ptrIyEEEEPS6_SG_NS0_5tupleIJNSA_16discard_iteratorINSA_11use_defaultEEESF_EEENSH_IJSG_SG_EEES6_PlJ7is_evenIyEEEE10hipError_tPvRmT3_T4_T5_T6_T7_T9_mT8_P12ihipStream_tbDpT10_ENKUlT_T0_E_clISt17integral_constantIbLb0EES19_EEDaS14_S15_EUlS14_E_NS1_11comp_targetILNS1_3genE2ELNS1_11target_archE906ELNS1_3gpuE6ELNS1_3repE0EEENS1_30default_config_static_selectorELNS0_4arch9wavefront6targetE1EEEvT1_,"axG",@progbits,_ZN7rocprim17ROCPRIM_400000_NS6detail17trampoline_kernelINS0_14default_configENS1_25partition_config_selectorILNS1_17partition_subalgoE0EyNS0_10empty_typeEbEEZZNS1_14partition_implILS5_0ELb0ES3_jN6thrust23THRUST_200600_302600_NS6detail15normal_iteratorINSA_10device_ptrIyEEEEPS6_SG_NS0_5tupleIJNSA_16discard_iteratorINSA_11use_defaultEEESF_EEENSH_IJSG_SG_EEES6_PlJ7is_evenIyEEEE10hipError_tPvRmT3_T4_T5_T6_T7_T9_mT8_P12ihipStream_tbDpT10_ENKUlT_T0_E_clISt17integral_constantIbLb0EES19_EEDaS14_S15_EUlS14_E_NS1_11comp_targetILNS1_3genE2ELNS1_11target_archE906ELNS1_3gpuE6ELNS1_3repE0EEENS1_30default_config_static_selectorELNS0_4arch9wavefront6targetE1EEEvT1_,comdat
.Lfunc_end2367:
	.size	_ZN7rocprim17ROCPRIM_400000_NS6detail17trampoline_kernelINS0_14default_configENS1_25partition_config_selectorILNS1_17partition_subalgoE0EyNS0_10empty_typeEbEEZZNS1_14partition_implILS5_0ELb0ES3_jN6thrust23THRUST_200600_302600_NS6detail15normal_iteratorINSA_10device_ptrIyEEEEPS6_SG_NS0_5tupleIJNSA_16discard_iteratorINSA_11use_defaultEEESF_EEENSH_IJSG_SG_EEES6_PlJ7is_evenIyEEEE10hipError_tPvRmT3_T4_T5_T6_T7_T9_mT8_P12ihipStream_tbDpT10_ENKUlT_T0_E_clISt17integral_constantIbLb0EES19_EEDaS14_S15_EUlS14_E_NS1_11comp_targetILNS1_3genE2ELNS1_11target_archE906ELNS1_3gpuE6ELNS1_3repE0EEENS1_30default_config_static_selectorELNS0_4arch9wavefront6targetE1EEEvT1_, .Lfunc_end2367-_ZN7rocprim17ROCPRIM_400000_NS6detail17trampoline_kernelINS0_14default_configENS1_25partition_config_selectorILNS1_17partition_subalgoE0EyNS0_10empty_typeEbEEZZNS1_14partition_implILS5_0ELb0ES3_jN6thrust23THRUST_200600_302600_NS6detail15normal_iteratorINSA_10device_ptrIyEEEEPS6_SG_NS0_5tupleIJNSA_16discard_iteratorINSA_11use_defaultEEESF_EEENSH_IJSG_SG_EEES6_PlJ7is_evenIyEEEE10hipError_tPvRmT3_T4_T5_T6_T7_T9_mT8_P12ihipStream_tbDpT10_ENKUlT_T0_E_clISt17integral_constantIbLb0EES19_EEDaS14_S15_EUlS14_E_NS1_11comp_targetILNS1_3genE2ELNS1_11target_archE906ELNS1_3gpuE6ELNS1_3repE0EEENS1_30default_config_static_selectorELNS0_4arch9wavefront6targetE1EEEvT1_
                                        ; -- End function
	.section	.AMDGPU.csdata,"",@progbits
; Kernel info:
; codeLenInByte = 0
; NumSgprs: 6
; NumVgprs: 0
; NumAgprs: 0
; TotalNumVgprs: 0
; ScratchSize: 0
; MemoryBound: 0
; FloatMode: 240
; IeeeMode: 1
; LDSByteSize: 0 bytes/workgroup (compile time only)
; SGPRBlocks: 0
; VGPRBlocks: 0
; NumSGPRsForWavesPerEU: 6
; NumVGPRsForWavesPerEU: 1
; AccumOffset: 4
; Occupancy: 8
; WaveLimiterHint : 0
; COMPUTE_PGM_RSRC2:SCRATCH_EN: 0
; COMPUTE_PGM_RSRC2:USER_SGPR: 2
; COMPUTE_PGM_RSRC2:TRAP_HANDLER: 0
; COMPUTE_PGM_RSRC2:TGID_X_EN: 1
; COMPUTE_PGM_RSRC2:TGID_Y_EN: 0
; COMPUTE_PGM_RSRC2:TGID_Z_EN: 0
; COMPUTE_PGM_RSRC2:TIDIG_COMP_CNT: 0
; COMPUTE_PGM_RSRC3_GFX90A:ACCUM_OFFSET: 0
; COMPUTE_PGM_RSRC3_GFX90A:TG_SPLIT: 0
	.section	.text._ZN7rocprim17ROCPRIM_400000_NS6detail17trampoline_kernelINS0_14default_configENS1_25partition_config_selectorILNS1_17partition_subalgoE0EyNS0_10empty_typeEbEEZZNS1_14partition_implILS5_0ELb0ES3_jN6thrust23THRUST_200600_302600_NS6detail15normal_iteratorINSA_10device_ptrIyEEEEPS6_SG_NS0_5tupleIJNSA_16discard_iteratorINSA_11use_defaultEEESF_EEENSH_IJSG_SG_EEES6_PlJ7is_evenIyEEEE10hipError_tPvRmT3_T4_T5_T6_T7_T9_mT8_P12ihipStream_tbDpT10_ENKUlT_T0_E_clISt17integral_constantIbLb0EES19_EEDaS14_S15_EUlS14_E_NS1_11comp_targetILNS1_3genE10ELNS1_11target_archE1200ELNS1_3gpuE4ELNS1_3repE0EEENS1_30default_config_static_selectorELNS0_4arch9wavefront6targetE1EEEvT1_,"axG",@progbits,_ZN7rocprim17ROCPRIM_400000_NS6detail17trampoline_kernelINS0_14default_configENS1_25partition_config_selectorILNS1_17partition_subalgoE0EyNS0_10empty_typeEbEEZZNS1_14partition_implILS5_0ELb0ES3_jN6thrust23THRUST_200600_302600_NS6detail15normal_iteratorINSA_10device_ptrIyEEEEPS6_SG_NS0_5tupleIJNSA_16discard_iteratorINSA_11use_defaultEEESF_EEENSH_IJSG_SG_EEES6_PlJ7is_evenIyEEEE10hipError_tPvRmT3_T4_T5_T6_T7_T9_mT8_P12ihipStream_tbDpT10_ENKUlT_T0_E_clISt17integral_constantIbLb0EES19_EEDaS14_S15_EUlS14_E_NS1_11comp_targetILNS1_3genE10ELNS1_11target_archE1200ELNS1_3gpuE4ELNS1_3repE0EEENS1_30default_config_static_selectorELNS0_4arch9wavefront6targetE1EEEvT1_,comdat
	.protected	_ZN7rocprim17ROCPRIM_400000_NS6detail17trampoline_kernelINS0_14default_configENS1_25partition_config_selectorILNS1_17partition_subalgoE0EyNS0_10empty_typeEbEEZZNS1_14partition_implILS5_0ELb0ES3_jN6thrust23THRUST_200600_302600_NS6detail15normal_iteratorINSA_10device_ptrIyEEEEPS6_SG_NS0_5tupleIJNSA_16discard_iteratorINSA_11use_defaultEEESF_EEENSH_IJSG_SG_EEES6_PlJ7is_evenIyEEEE10hipError_tPvRmT3_T4_T5_T6_T7_T9_mT8_P12ihipStream_tbDpT10_ENKUlT_T0_E_clISt17integral_constantIbLb0EES19_EEDaS14_S15_EUlS14_E_NS1_11comp_targetILNS1_3genE10ELNS1_11target_archE1200ELNS1_3gpuE4ELNS1_3repE0EEENS1_30default_config_static_selectorELNS0_4arch9wavefront6targetE1EEEvT1_ ; -- Begin function _ZN7rocprim17ROCPRIM_400000_NS6detail17trampoline_kernelINS0_14default_configENS1_25partition_config_selectorILNS1_17partition_subalgoE0EyNS0_10empty_typeEbEEZZNS1_14partition_implILS5_0ELb0ES3_jN6thrust23THRUST_200600_302600_NS6detail15normal_iteratorINSA_10device_ptrIyEEEEPS6_SG_NS0_5tupleIJNSA_16discard_iteratorINSA_11use_defaultEEESF_EEENSH_IJSG_SG_EEES6_PlJ7is_evenIyEEEE10hipError_tPvRmT3_T4_T5_T6_T7_T9_mT8_P12ihipStream_tbDpT10_ENKUlT_T0_E_clISt17integral_constantIbLb0EES19_EEDaS14_S15_EUlS14_E_NS1_11comp_targetILNS1_3genE10ELNS1_11target_archE1200ELNS1_3gpuE4ELNS1_3repE0EEENS1_30default_config_static_selectorELNS0_4arch9wavefront6targetE1EEEvT1_
	.globl	_ZN7rocprim17ROCPRIM_400000_NS6detail17trampoline_kernelINS0_14default_configENS1_25partition_config_selectorILNS1_17partition_subalgoE0EyNS0_10empty_typeEbEEZZNS1_14partition_implILS5_0ELb0ES3_jN6thrust23THRUST_200600_302600_NS6detail15normal_iteratorINSA_10device_ptrIyEEEEPS6_SG_NS0_5tupleIJNSA_16discard_iteratorINSA_11use_defaultEEESF_EEENSH_IJSG_SG_EEES6_PlJ7is_evenIyEEEE10hipError_tPvRmT3_T4_T5_T6_T7_T9_mT8_P12ihipStream_tbDpT10_ENKUlT_T0_E_clISt17integral_constantIbLb0EES19_EEDaS14_S15_EUlS14_E_NS1_11comp_targetILNS1_3genE10ELNS1_11target_archE1200ELNS1_3gpuE4ELNS1_3repE0EEENS1_30default_config_static_selectorELNS0_4arch9wavefront6targetE1EEEvT1_
	.p2align	8
	.type	_ZN7rocprim17ROCPRIM_400000_NS6detail17trampoline_kernelINS0_14default_configENS1_25partition_config_selectorILNS1_17partition_subalgoE0EyNS0_10empty_typeEbEEZZNS1_14partition_implILS5_0ELb0ES3_jN6thrust23THRUST_200600_302600_NS6detail15normal_iteratorINSA_10device_ptrIyEEEEPS6_SG_NS0_5tupleIJNSA_16discard_iteratorINSA_11use_defaultEEESF_EEENSH_IJSG_SG_EEES6_PlJ7is_evenIyEEEE10hipError_tPvRmT3_T4_T5_T6_T7_T9_mT8_P12ihipStream_tbDpT10_ENKUlT_T0_E_clISt17integral_constantIbLb0EES19_EEDaS14_S15_EUlS14_E_NS1_11comp_targetILNS1_3genE10ELNS1_11target_archE1200ELNS1_3gpuE4ELNS1_3repE0EEENS1_30default_config_static_selectorELNS0_4arch9wavefront6targetE1EEEvT1_,@function
_ZN7rocprim17ROCPRIM_400000_NS6detail17trampoline_kernelINS0_14default_configENS1_25partition_config_selectorILNS1_17partition_subalgoE0EyNS0_10empty_typeEbEEZZNS1_14partition_implILS5_0ELb0ES3_jN6thrust23THRUST_200600_302600_NS6detail15normal_iteratorINSA_10device_ptrIyEEEEPS6_SG_NS0_5tupleIJNSA_16discard_iteratorINSA_11use_defaultEEESF_EEENSH_IJSG_SG_EEES6_PlJ7is_evenIyEEEE10hipError_tPvRmT3_T4_T5_T6_T7_T9_mT8_P12ihipStream_tbDpT10_ENKUlT_T0_E_clISt17integral_constantIbLb0EES19_EEDaS14_S15_EUlS14_E_NS1_11comp_targetILNS1_3genE10ELNS1_11target_archE1200ELNS1_3gpuE4ELNS1_3repE0EEENS1_30default_config_static_selectorELNS0_4arch9wavefront6targetE1EEEvT1_: ; @_ZN7rocprim17ROCPRIM_400000_NS6detail17trampoline_kernelINS0_14default_configENS1_25partition_config_selectorILNS1_17partition_subalgoE0EyNS0_10empty_typeEbEEZZNS1_14partition_implILS5_0ELb0ES3_jN6thrust23THRUST_200600_302600_NS6detail15normal_iteratorINSA_10device_ptrIyEEEEPS6_SG_NS0_5tupleIJNSA_16discard_iteratorINSA_11use_defaultEEESF_EEENSH_IJSG_SG_EEES6_PlJ7is_evenIyEEEE10hipError_tPvRmT3_T4_T5_T6_T7_T9_mT8_P12ihipStream_tbDpT10_ENKUlT_T0_E_clISt17integral_constantIbLb0EES19_EEDaS14_S15_EUlS14_E_NS1_11comp_targetILNS1_3genE10ELNS1_11target_archE1200ELNS1_3gpuE4ELNS1_3repE0EEENS1_30default_config_static_selectorELNS0_4arch9wavefront6targetE1EEEvT1_
; %bb.0:
	.section	.rodata,"a",@progbits
	.p2align	6, 0x0
	.amdhsa_kernel _ZN7rocprim17ROCPRIM_400000_NS6detail17trampoline_kernelINS0_14default_configENS1_25partition_config_selectorILNS1_17partition_subalgoE0EyNS0_10empty_typeEbEEZZNS1_14partition_implILS5_0ELb0ES3_jN6thrust23THRUST_200600_302600_NS6detail15normal_iteratorINSA_10device_ptrIyEEEEPS6_SG_NS0_5tupleIJNSA_16discard_iteratorINSA_11use_defaultEEESF_EEENSH_IJSG_SG_EEES6_PlJ7is_evenIyEEEE10hipError_tPvRmT3_T4_T5_T6_T7_T9_mT8_P12ihipStream_tbDpT10_ENKUlT_T0_E_clISt17integral_constantIbLb0EES19_EEDaS14_S15_EUlS14_E_NS1_11comp_targetILNS1_3genE10ELNS1_11target_archE1200ELNS1_3gpuE4ELNS1_3repE0EEENS1_30default_config_static_selectorELNS0_4arch9wavefront6targetE1EEEvT1_
		.amdhsa_group_segment_fixed_size 0
		.amdhsa_private_segment_fixed_size 0
		.amdhsa_kernarg_size 128
		.amdhsa_user_sgpr_count 2
		.amdhsa_user_sgpr_dispatch_ptr 0
		.amdhsa_user_sgpr_queue_ptr 0
		.amdhsa_user_sgpr_kernarg_segment_ptr 1
		.amdhsa_user_sgpr_dispatch_id 0
		.amdhsa_user_sgpr_kernarg_preload_length 0
		.amdhsa_user_sgpr_kernarg_preload_offset 0
		.amdhsa_user_sgpr_private_segment_size 0
		.amdhsa_uses_dynamic_stack 0
		.amdhsa_enable_private_segment 0
		.amdhsa_system_sgpr_workgroup_id_x 1
		.amdhsa_system_sgpr_workgroup_id_y 0
		.amdhsa_system_sgpr_workgroup_id_z 0
		.amdhsa_system_sgpr_workgroup_info 0
		.amdhsa_system_vgpr_workitem_id 0
		.amdhsa_next_free_vgpr 1
		.amdhsa_next_free_sgpr 0
		.amdhsa_accum_offset 4
		.amdhsa_reserve_vcc 0
		.amdhsa_float_round_mode_32 0
		.amdhsa_float_round_mode_16_64 0
		.amdhsa_float_denorm_mode_32 3
		.amdhsa_float_denorm_mode_16_64 3
		.amdhsa_dx10_clamp 1
		.amdhsa_ieee_mode 1
		.amdhsa_fp16_overflow 0
		.amdhsa_tg_split 0
		.amdhsa_exception_fp_ieee_invalid_op 0
		.amdhsa_exception_fp_denorm_src 0
		.amdhsa_exception_fp_ieee_div_zero 0
		.amdhsa_exception_fp_ieee_overflow 0
		.amdhsa_exception_fp_ieee_underflow 0
		.amdhsa_exception_fp_ieee_inexact 0
		.amdhsa_exception_int_div_zero 0
	.end_amdhsa_kernel
	.section	.text._ZN7rocprim17ROCPRIM_400000_NS6detail17trampoline_kernelINS0_14default_configENS1_25partition_config_selectorILNS1_17partition_subalgoE0EyNS0_10empty_typeEbEEZZNS1_14partition_implILS5_0ELb0ES3_jN6thrust23THRUST_200600_302600_NS6detail15normal_iteratorINSA_10device_ptrIyEEEEPS6_SG_NS0_5tupleIJNSA_16discard_iteratorINSA_11use_defaultEEESF_EEENSH_IJSG_SG_EEES6_PlJ7is_evenIyEEEE10hipError_tPvRmT3_T4_T5_T6_T7_T9_mT8_P12ihipStream_tbDpT10_ENKUlT_T0_E_clISt17integral_constantIbLb0EES19_EEDaS14_S15_EUlS14_E_NS1_11comp_targetILNS1_3genE10ELNS1_11target_archE1200ELNS1_3gpuE4ELNS1_3repE0EEENS1_30default_config_static_selectorELNS0_4arch9wavefront6targetE1EEEvT1_,"axG",@progbits,_ZN7rocprim17ROCPRIM_400000_NS6detail17trampoline_kernelINS0_14default_configENS1_25partition_config_selectorILNS1_17partition_subalgoE0EyNS0_10empty_typeEbEEZZNS1_14partition_implILS5_0ELb0ES3_jN6thrust23THRUST_200600_302600_NS6detail15normal_iteratorINSA_10device_ptrIyEEEEPS6_SG_NS0_5tupleIJNSA_16discard_iteratorINSA_11use_defaultEEESF_EEENSH_IJSG_SG_EEES6_PlJ7is_evenIyEEEE10hipError_tPvRmT3_T4_T5_T6_T7_T9_mT8_P12ihipStream_tbDpT10_ENKUlT_T0_E_clISt17integral_constantIbLb0EES19_EEDaS14_S15_EUlS14_E_NS1_11comp_targetILNS1_3genE10ELNS1_11target_archE1200ELNS1_3gpuE4ELNS1_3repE0EEENS1_30default_config_static_selectorELNS0_4arch9wavefront6targetE1EEEvT1_,comdat
.Lfunc_end2368:
	.size	_ZN7rocprim17ROCPRIM_400000_NS6detail17trampoline_kernelINS0_14default_configENS1_25partition_config_selectorILNS1_17partition_subalgoE0EyNS0_10empty_typeEbEEZZNS1_14partition_implILS5_0ELb0ES3_jN6thrust23THRUST_200600_302600_NS6detail15normal_iteratorINSA_10device_ptrIyEEEEPS6_SG_NS0_5tupleIJNSA_16discard_iteratorINSA_11use_defaultEEESF_EEENSH_IJSG_SG_EEES6_PlJ7is_evenIyEEEE10hipError_tPvRmT3_T4_T5_T6_T7_T9_mT8_P12ihipStream_tbDpT10_ENKUlT_T0_E_clISt17integral_constantIbLb0EES19_EEDaS14_S15_EUlS14_E_NS1_11comp_targetILNS1_3genE10ELNS1_11target_archE1200ELNS1_3gpuE4ELNS1_3repE0EEENS1_30default_config_static_selectorELNS0_4arch9wavefront6targetE1EEEvT1_, .Lfunc_end2368-_ZN7rocprim17ROCPRIM_400000_NS6detail17trampoline_kernelINS0_14default_configENS1_25partition_config_selectorILNS1_17partition_subalgoE0EyNS0_10empty_typeEbEEZZNS1_14partition_implILS5_0ELb0ES3_jN6thrust23THRUST_200600_302600_NS6detail15normal_iteratorINSA_10device_ptrIyEEEEPS6_SG_NS0_5tupleIJNSA_16discard_iteratorINSA_11use_defaultEEESF_EEENSH_IJSG_SG_EEES6_PlJ7is_evenIyEEEE10hipError_tPvRmT3_T4_T5_T6_T7_T9_mT8_P12ihipStream_tbDpT10_ENKUlT_T0_E_clISt17integral_constantIbLb0EES19_EEDaS14_S15_EUlS14_E_NS1_11comp_targetILNS1_3genE10ELNS1_11target_archE1200ELNS1_3gpuE4ELNS1_3repE0EEENS1_30default_config_static_selectorELNS0_4arch9wavefront6targetE1EEEvT1_
                                        ; -- End function
	.section	.AMDGPU.csdata,"",@progbits
; Kernel info:
; codeLenInByte = 0
; NumSgprs: 6
; NumVgprs: 0
; NumAgprs: 0
; TotalNumVgprs: 0
; ScratchSize: 0
; MemoryBound: 0
; FloatMode: 240
; IeeeMode: 1
; LDSByteSize: 0 bytes/workgroup (compile time only)
; SGPRBlocks: 0
; VGPRBlocks: 0
; NumSGPRsForWavesPerEU: 6
; NumVGPRsForWavesPerEU: 1
; AccumOffset: 4
; Occupancy: 8
; WaveLimiterHint : 0
; COMPUTE_PGM_RSRC2:SCRATCH_EN: 0
; COMPUTE_PGM_RSRC2:USER_SGPR: 2
; COMPUTE_PGM_RSRC2:TRAP_HANDLER: 0
; COMPUTE_PGM_RSRC2:TGID_X_EN: 1
; COMPUTE_PGM_RSRC2:TGID_Y_EN: 0
; COMPUTE_PGM_RSRC2:TGID_Z_EN: 0
; COMPUTE_PGM_RSRC2:TIDIG_COMP_CNT: 0
; COMPUTE_PGM_RSRC3_GFX90A:ACCUM_OFFSET: 0
; COMPUTE_PGM_RSRC3_GFX90A:TG_SPLIT: 0
	.section	.text._ZN7rocprim17ROCPRIM_400000_NS6detail17trampoline_kernelINS0_14default_configENS1_25partition_config_selectorILNS1_17partition_subalgoE0EyNS0_10empty_typeEbEEZZNS1_14partition_implILS5_0ELb0ES3_jN6thrust23THRUST_200600_302600_NS6detail15normal_iteratorINSA_10device_ptrIyEEEEPS6_SG_NS0_5tupleIJNSA_16discard_iteratorINSA_11use_defaultEEESF_EEENSH_IJSG_SG_EEES6_PlJ7is_evenIyEEEE10hipError_tPvRmT3_T4_T5_T6_T7_T9_mT8_P12ihipStream_tbDpT10_ENKUlT_T0_E_clISt17integral_constantIbLb0EES19_EEDaS14_S15_EUlS14_E_NS1_11comp_targetILNS1_3genE9ELNS1_11target_archE1100ELNS1_3gpuE3ELNS1_3repE0EEENS1_30default_config_static_selectorELNS0_4arch9wavefront6targetE1EEEvT1_,"axG",@progbits,_ZN7rocprim17ROCPRIM_400000_NS6detail17trampoline_kernelINS0_14default_configENS1_25partition_config_selectorILNS1_17partition_subalgoE0EyNS0_10empty_typeEbEEZZNS1_14partition_implILS5_0ELb0ES3_jN6thrust23THRUST_200600_302600_NS6detail15normal_iteratorINSA_10device_ptrIyEEEEPS6_SG_NS0_5tupleIJNSA_16discard_iteratorINSA_11use_defaultEEESF_EEENSH_IJSG_SG_EEES6_PlJ7is_evenIyEEEE10hipError_tPvRmT3_T4_T5_T6_T7_T9_mT8_P12ihipStream_tbDpT10_ENKUlT_T0_E_clISt17integral_constantIbLb0EES19_EEDaS14_S15_EUlS14_E_NS1_11comp_targetILNS1_3genE9ELNS1_11target_archE1100ELNS1_3gpuE3ELNS1_3repE0EEENS1_30default_config_static_selectorELNS0_4arch9wavefront6targetE1EEEvT1_,comdat
	.protected	_ZN7rocprim17ROCPRIM_400000_NS6detail17trampoline_kernelINS0_14default_configENS1_25partition_config_selectorILNS1_17partition_subalgoE0EyNS0_10empty_typeEbEEZZNS1_14partition_implILS5_0ELb0ES3_jN6thrust23THRUST_200600_302600_NS6detail15normal_iteratorINSA_10device_ptrIyEEEEPS6_SG_NS0_5tupleIJNSA_16discard_iteratorINSA_11use_defaultEEESF_EEENSH_IJSG_SG_EEES6_PlJ7is_evenIyEEEE10hipError_tPvRmT3_T4_T5_T6_T7_T9_mT8_P12ihipStream_tbDpT10_ENKUlT_T0_E_clISt17integral_constantIbLb0EES19_EEDaS14_S15_EUlS14_E_NS1_11comp_targetILNS1_3genE9ELNS1_11target_archE1100ELNS1_3gpuE3ELNS1_3repE0EEENS1_30default_config_static_selectorELNS0_4arch9wavefront6targetE1EEEvT1_ ; -- Begin function _ZN7rocprim17ROCPRIM_400000_NS6detail17trampoline_kernelINS0_14default_configENS1_25partition_config_selectorILNS1_17partition_subalgoE0EyNS0_10empty_typeEbEEZZNS1_14partition_implILS5_0ELb0ES3_jN6thrust23THRUST_200600_302600_NS6detail15normal_iteratorINSA_10device_ptrIyEEEEPS6_SG_NS0_5tupleIJNSA_16discard_iteratorINSA_11use_defaultEEESF_EEENSH_IJSG_SG_EEES6_PlJ7is_evenIyEEEE10hipError_tPvRmT3_T4_T5_T6_T7_T9_mT8_P12ihipStream_tbDpT10_ENKUlT_T0_E_clISt17integral_constantIbLb0EES19_EEDaS14_S15_EUlS14_E_NS1_11comp_targetILNS1_3genE9ELNS1_11target_archE1100ELNS1_3gpuE3ELNS1_3repE0EEENS1_30default_config_static_selectorELNS0_4arch9wavefront6targetE1EEEvT1_
	.globl	_ZN7rocprim17ROCPRIM_400000_NS6detail17trampoline_kernelINS0_14default_configENS1_25partition_config_selectorILNS1_17partition_subalgoE0EyNS0_10empty_typeEbEEZZNS1_14partition_implILS5_0ELb0ES3_jN6thrust23THRUST_200600_302600_NS6detail15normal_iteratorINSA_10device_ptrIyEEEEPS6_SG_NS0_5tupleIJNSA_16discard_iteratorINSA_11use_defaultEEESF_EEENSH_IJSG_SG_EEES6_PlJ7is_evenIyEEEE10hipError_tPvRmT3_T4_T5_T6_T7_T9_mT8_P12ihipStream_tbDpT10_ENKUlT_T0_E_clISt17integral_constantIbLb0EES19_EEDaS14_S15_EUlS14_E_NS1_11comp_targetILNS1_3genE9ELNS1_11target_archE1100ELNS1_3gpuE3ELNS1_3repE0EEENS1_30default_config_static_selectorELNS0_4arch9wavefront6targetE1EEEvT1_
	.p2align	8
	.type	_ZN7rocprim17ROCPRIM_400000_NS6detail17trampoline_kernelINS0_14default_configENS1_25partition_config_selectorILNS1_17partition_subalgoE0EyNS0_10empty_typeEbEEZZNS1_14partition_implILS5_0ELb0ES3_jN6thrust23THRUST_200600_302600_NS6detail15normal_iteratorINSA_10device_ptrIyEEEEPS6_SG_NS0_5tupleIJNSA_16discard_iteratorINSA_11use_defaultEEESF_EEENSH_IJSG_SG_EEES6_PlJ7is_evenIyEEEE10hipError_tPvRmT3_T4_T5_T6_T7_T9_mT8_P12ihipStream_tbDpT10_ENKUlT_T0_E_clISt17integral_constantIbLb0EES19_EEDaS14_S15_EUlS14_E_NS1_11comp_targetILNS1_3genE9ELNS1_11target_archE1100ELNS1_3gpuE3ELNS1_3repE0EEENS1_30default_config_static_selectorELNS0_4arch9wavefront6targetE1EEEvT1_,@function
_ZN7rocprim17ROCPRIM_400000_NS6detail17trampoline_kernelINS0_14default_configENS1_25partition_config_selectorILNS1_17partition_subalgoE0EyNS0_10empty_typeEbEEZZNS1_14partition_implILS5_0ELb0ES3_jN6thrust23THRUST_200600_302600_NS6detail15normal_iteratorINSA_10device_ptrIyEEEEPS6_SG_NS0_5tupleIJNSA_16discard_iteratorINSA_11use_defaultEEESF_EEENSH_IJSG_SG_EEES6_PlJ7is_evenIyEEEE10hipError_tPvRmT3_T4_T5_T6_T7_T9_mT8_P12ihipStream_tbDpT10_ENKUlT_T0_E_clISt17integral_constantIbLb0EES19_EEDaS14_S15_EUlS14_E_NS1_11comp_targetILNS1_3genE9ELNS1_11target_archE1100ELNS1_3gpuE3ELNS1_3repE0EEENS1_30default_config_static_selectorELNS0_4arch9wavefront6targetE1EEEvT1_: ; @_ZN7rocprim17ROCPRIM_400000_NS6detail17trampoline_kernelINS0_14default_configENS1_25partition_config_selectorILNS1_17partition_subalgoE0EyNS0_10empty_typeEbEEZZNS1_14partition_implILS5_0ELb0ES3_jN6thrust23THRUST_200600_302600_NS6detail15normal_iteratorINSA_10device_ptrIyEEEEPS6_SG_NS0_5tupleIJNSA_16discard_iteratorINSA_11use_defaultEEESF_EEENSH_IJSG_SG_EEES6_PlJ7is_evenIyEEEE10hipError_tPvRmT3_T4_T5_T6_T7_T9_mT8_P12ihipStream_tbDpT10_ENKUlT_T0_E_clISt17integral_constantIbLb0EES19_EEDaS14_S15_EUlS14_E_NS1_11comp_targetILNS1_3genE9ELNS1_11target_archE1100ELNS1_3gpuE3ELNS1_3repE0EEENS1_30default_config_static_selectorELNS0_4arch9wavefront6targetE1EEEvT1_
; %bb.0:
	.section	.rodata,"a",@progbits
	.p2align	6, 0x0
	.amdhsa_kernel _ZN7rocprim17ROCPRIM_400000_NS6detail17trampoline_kernelINS0_14default_configENS1_25partition_config_selectorILNS1_17partition_subalgoE0EyNS0_10empty_typeEbEEZZNS1_14partition_implILS5_0ELb0ES3_jN6thrust23THRUST_200600_302600_NS6detail15normal_iteratorINSA_10device_ptrIyEEEEPS6_SG_NS0_5tupleIJNSA_16discard_iteratorINSA_11use_defaultEEESF_EEENSH_IJSG_SG_EEES6_PlJ7is_evenIyEEEE10hipError_tPvRmT3_T4_T5_T6_T7_T9_mT8_P12ihipStream_tbDpT10_ENKUlT_T0_E_clISt17integral_constantIbLb0EES19_EEDaS14_S15_EUlS14_E_NS1_11comp_targetILNS1_3genE9ELNS1_11target_archE1100ELNS1_3gpuE3ELNS1_3repE0EEENS1_30default_config_static_selectorELNS0_4arch9wavefront6targetE1EEEvT1_
		.amdhsa_group_segment_fixed_size 0
		.amdhsa_private_segment_fixed_size 0
		.amdhsa_kernarg_size 128
		.amdhsa_user_sgpr_count 2
		.amdhsa_user_sgpr_dispatch_ptr 0
		.amdhsa_user_sgpr_queue_ptr 0
		.amdhsa_user_sgpr_kernarg_segment_ptr 1
		.amdhsa_user_sgpr_dispatch_id 0
		.amdhsa_user_sgpr_kernarg_preload_length 0
		.amdhsa_user_sgpr_kernarg_preload_offset 0
		.amdhsa_user_sgpr_private_segment_size 0
		.amdhsa_uses_dynamic_stack 0
		.amdhsa_enable_private_segment 0
		.amdhsa_system_sgpr_workgroup_id_x 1
		.amdhsa_system_sgpr_workgroup_id_y 0
		.amdhsa_system_sgpr_workgroup_id_z 0
		.amdhsa_system_sgpr_workgroup_info 0
		.amdhsa_system_vgpr_workitem_id 0
		.amdhsa_next_free_vgpr 1
		.amdhsa_next_free_sgpr 0
		.amdhsa_accum_offset 4
		.amdhsa_reserve_vcc 0
		.amdhsa_float_round_mode_32 0
		.amdhsa_float_round_mode_16_64 0
		.amdhsa_float_denorm_mode_32 3
		.amdhsa_float_denorm_mode_16_64 3
		.amdhsa_dx10_clamp 1
		.amdhsa_ieee_mode 1
		.amdhsa_fp16_overflow 0
		.amdhsa_tg_split 0
		.amdhsa_exception_fp_ieee_invalid_op 0
		.amdhsa_exception_fp_denorm_src 0
		.amdhsa_exception_fp_ieee_div_zero 0
		.amdhsa_exception_fp_ieee_overflow 0
		.amdhsa_exception_fp_ieee_underflow 0
		.amdhsa_exception_fp_ieee_inexact 0
		.amdhsa_exception_int_div_zero 0
	.end_amdhsa_kernel
	.section	.text._ZN7rocprim17ROCPRIM_400000_NS6detail17trampoline_kernelINS0_14default_configENS1_25partition_config_selectorILNS1_17partition_subalgoE0EyNS0_10empty_typeEbEEZZNS1_14partition_implILS5_0ELb0ES3_jN6thrust23THRUST_200600_302600_NS6detail15normal_iteratorINSA_10device_ptrIyEEEEPS6_SG_NS0_5tupleIJNSA_16discard_iteratorINSA_11use_defaultEEESF_EEENSH_IJSG_SG_EEES6_PlJ7is_evenIyEEEE10hipError_tPvRmT3_T4_T5_T6_T7_T9_mT8_P12ihipStream_tbDpT10_ENKUlT_T0_E_clISt17integral_constantIbLb0EES19_EEDaS14_S15_EUlS14_E_NS1_11comp_targetILNS1_3genE9ELNS1_11target_archE1100ELNS1_3gpuE3ELNS1_3repE0EEENS1_30default_config_static_selectorELNS0_4arch9wavefront6targetE1EEEvT1_,"axG",@progbits,_ZN7rocprim17ROCPRIM_400000_NS6detail17trampoline_kernelINS0_14default_configENS1_25partition_config_selectorILNS1_17partition_subalgoE0EyNS0_10empty_typeEbEEZZNS1_14partition_implILS5_0ELb0ES3_jN6thrust23THRUST_200600_302600_NS6detail15normal_iteratorINSA_10device_ptrIyEEEEPS6_SG_NS0_5tupleIJNSA_16discard_iteratorINSA_11use_defaultEEESF_EEENSH_IJSG_SG_EEES6_PlJ7is_evenIyEEEE10hipError_tPvRmT3_T4_T5_T6_T7_T9_mT8_P12ihipStream_tbDpT10_ENKUlT_T0_E_clISt17integral_constantIbLb0EES19_EEDaS14_S15_EUlS14_E_NS1_11comp_targetILNS1_3genE9ELNS1_11target_archE1100ELNS1_3gpuE3ELNS1_3repE0EEENS1_30default_config_static_selectorELNS0_4arch9wavefront6targetE1EEEvT1_,comdat
.Lfunc_end2369:
	.size	_ZN7rocprim17ROCPRIM_400000_NS6detail17trampoline_kernelINS0_14default_configENS1_25partition_config_selectorILNS1_17partition_subalgoE0EyNS0_10empty_typeEbEEZZNS1_14partition_implILS5_0ELb0ES3_jN6thrust23THRUST_200600_302600_NS6detail15normal_iteratorINSA_10device_ptrIyEEEEPS6_SG_NS0_5tupleIJNSA_16discard_iteratorINSA_11use_defaultEEESF_EEENSH_IJSG_SG_EEES6_PlJ7is_evenIyEEEE10hipError_tPvRmT3_T4_T5_T6_T7_T9_mT8_P12ihipStream_tbDpT10_ENKUlT_T0_E_clISt17integral_constantIbLb0EES19_EEDaS14_S15_EUlS14_E_NS1_11comp_targetILNS1_3genE9ELNS1_11target_archE1100ELNS1_3gpuE3ELNS1_3repE0EEENS1_30default_config_static_selectorELNS0_4arch9wavefront6targetE1EEEvT1_, .Lfunc_end2369-_ZN7rocprim17ROCPRIM_400000_NS6detail17trampoline_kernelINS0_14default_configENS1_25partition_config_selectorILNS1_17partition_subalgoE0EyNS0_10empty_typeEbEEZZNS1_14partition_implILS5_0ELb0ES3_jN6thrust23THRUST_200600_302600_NS6detail15normal_iteratorINSA_10device_ptrIyEEEEPS6_SG_NS0_5tupleIJNSA_16discard_iteratorINSA_11use_defaultEEESF_EEENSH_IJSG_SG_EEES6_PlJ7is_evenIyEEEE10hipError_tPvRmT3_T4_T5_T6_T7_T9_mT8_P12ihipStream_tbDpT10_ENKUlT_T0_E_clISt17integral_constantIbLb0EES19_EEDaS14_S15_EUlS14_E_NS1_11comp_targetILNS1_3genE9ELNS1_11target_archE1100ELNS1_3gpuE3ELNS1_3repE0EEENS1_30default_config_static_selectorELNS0_4arch9wavefront6targetE1EEEvT1_
                                        ; -- End function
	.section	.AMDGPU.csdata,"",@progbits
; Kernel info:
; codeLenInByte = 0
; NumSgprs: 6
; NumVgprs: 0
; NumAgprs: 0
; TotalNumVgprs: 0
; ScratchSize: 0
; MemoryBound: 0
; FloatMode: 240
; IeeeMode: 1
; LDSByteSize: 0 bytes/workgroup (compile time only)
; SGPRBlocks: 0
; VGPRBlocks: 0
; NumSGPRsForWavesPerEU: 6
; NumVGPRsForWavesPerEU: 1
; AccumOffset: 4
; Occupancy: 8
; WaveLimiterHint : 0
; COMPUTE_PGM_RSRC2:SCRATCH_EN: 0
; COMPUTE_PGM_RSRC2:USER_SGPR: 2
; COMPUTE_PGM_RSRC2:TRAP_HANDLER: 0
; COMPUTE_PGM_RSRC2:TGID_X_EN: 1
; COMPUTE_PGM_RSRC2:TGID_Y_EN: 0
; COMPUTE_PGM_RSRC2:TGID_Z_EN: 0
; COMPUTE_PGM_RSRC2:TIDIG_COMP_CNT: 0
; COMPUTE_PGM_RSRC3_GFX90A:ACCUM_OFFSET: 0
; COMPUTE_PGM_RSRC3_GFX90A:TG_SPLIT: 0
	.section	.text._ZN7rocprim17ROCPRIM_400000_NS6detail17trampoline_kernelINS0_14default_configENS1_25partition_config_selectorILNS1_17partition_subalgoE0EyNS0_10empty_typeEbEEZZNS1_14partition_implILS5_0ELb0ES3_jN6thrust23THRUST_200600_302600_NS6detail15normal_iteratorINSA_10device_ptrIyEEEEPS6_SG_NS0_5tupleIJNSA_16discard_iteratorINSA_11use_defaultEEESF_EEENSH_IJSG_SG_EEES6_PlJ7is_evenIyEEEE10hipError_tPvRmT3_T4_T5_T6_T7_T9_mT8_P12ihipStream_tbDpT10_ENKUlT_T0_E_clISt17integral_constantIbLb0EES19_EEDaS14_S15_EUlS14_E_NS1_11comp_targetILNS1_3genE8ELNS1_11target_archE1030ELNS1_3gpuE2ELNS1_3repE0EEENS1_30default_config_static_selectorELNS0_4arch9wavefront6targetE1EEEvT1_,"axG",@progbits,_ZN7rocprim17ROCPRIM_400000_NS6detail17trampoline_kernelINS0_14default_configENS1_25partition_config_selectorILNS1_17partition_subalgoE0EyNS0_10empty_typeEbEEZZNS1_14partition_implILS5_0ELb0ES3_jN6thrust23THRUST_200600_302600_NS6detail15normal_iteratorINSA_10device_ptrIyEEEEPS6_SG_NS0_5tupleIJNSA_16discard_iteratorINSA_11use_defaultEEESF_EEENSH_IJSG_SG_EEES6_PlJ7is_evenIyEEEE10hipError_tPvRmT3_T4_T5_T6_T7_T9_mT8_P12ihipStream_tbDpT10_ENKUlT_T0_E_clISt17integral_constantIbLb0EES19_EEDaS14_S15_EUlS14_E_NS1_11comp_targetILNS1_3genE8ELNS1_11target_archE1030ELNS1_3gpuE2ELNS1_3repE0EEENS1_30default_config_static_selectorELNS0_4arch9wavefront6targetE1EEEvT1_,comdat
	.protected	_ZN7rocprim17ROCPRIM_400000_NS6detail17trampoline_kernelINS0_14default_configENS1_25partition_config_selectorILNS1_17partition_subalgoE0EyNS0_10empty_typeEbEEZZNS1_14partition_implILS5_0ELb0ES3_jN6thrust23THRUST_200600_302600_NS6detail15normal_iteratorINSA_10device_ptrIyEEEEPS6_SG_NS0_5tupleIJNSA_16discard_iteratorINSA_11use_defaultEEESF_EEENSH_IJSG_SG_EEES6_PlJ7is_evenIyEEEE10hipError_tPvRmT3_T4_T5_T6_T7_T9_mT8_P12ihipStream_tbDpT10_ENKUlT_T0_E_clISt17integral_constantIbLb0EES19_EEDaS14_S15_EUlS14_E_NS1_11comp_targetILNS1_3genE8ELNS1_11target_archE1030ELNS1_3gpuE2ELNS1_3repE0EEENS1_30default_config_static_selectorELNS0_4arch9wavefront6targetE1EEEvT1_ ; -- Begin function _ZN7rocprim17ROCPRIM_400000_NS6detail17trampoline_kernelINS0_14default_configENS1_25partition_config_selectorILNS1_17partition_subalgoE0EyNS0_10empty_typeEbEEZZNS1_14partition_implILS5_0ELb0ES3_jN6thrust23THRUST_200600_302600_NS6detail15normal_iteratorINSA_10device_ptrIyEEEEPS6_SG_NS0_5tupleIJNSA_16discard_iteratorINSA_11use_defaultEEESF_EEENSH_IJSG_SG_EEES6_PlJ7is_evenIyEEEE10hipError_tPvRmT3_T4_T5_T6_T7_T9_mT8_P12ihipStream_tbDpT10_ENKUlT_T0_E_clISt17integral_constantIbLb0EES19_EEDaS14_S15_EUlS14_E_NS1_11comp_targetILNS1_3genE8ELNS1_11target_archE1030ELNS1_3gpuE2ELNS1_3repE0EEENS1_30default_config_static_selectorELNS0_4arch9wavefront6targetE1EEEvT1_
	.globl	_ZN7rocprim17ROCPRIM_400000_NS6detail17trampoline_kernelINS0_14default_configENS1_25partition_config_selectorILNS1_17partition_subalgoE0EyNS0_10empty_typeEbEEZZNS1_14partition_implILS5_0ELb0ES3_jN6thrust23THRUST_200600_302600_NS6detail15normal_iteratorINSA_10device_ptrIyEEEEPS6_SG_NS0_5tupleIJNSA_16discard_iteratorINSA_11use_defaultEEESF_EEENSH_IJSG_SG_EEES6_PlJ7is_evenIyEEEE10hipError_tPvRmT3_T4_T5_T6_T7_T9_mT8_P12ihipStream_tbDpT10_ENKUlT_T0_E_clISt17integral_constantIbLb0EES19_EEDaS14_S15_EUlS14_E_NS1_11comp_targetILNS1_3genE8ELNS1_11target_archE1030ELNS1_3gpuE2ELNS1_3repE0EEENS1_30default_config_static_selectorELNS0_4arch9wavefront6targetE1EEEvT1_
	.p2align	8
	.type	_ZN7rocprim17ROCPRIM_400000_NS6detail17trampoline_kernelINS0_14default_configENS1_25partition_config_selectorILNS1_17partition_subalgoE0EyNS0_10empty_typeEbEEZZNS1_14partition_implILS5_0ELb0ES3_jN6thrust23THRUST_200600_302600_NS6detail15normal_iteratorINSA_10device_ptrIyEEEEPS6_SG_NS0_5tupleIJNSA_16discard_iteratorINSA_11use_defaultEEESF_EEENSH_IJSG_SG_EEES6_PlJ7is_evenIyEEEE10hipError_tPvRmT3_T4_T5_T6_T7_T9_mT8_P12ihipStream_tbDpT10_ENKUlT_T0_E_clISt17integral_constantIbLb0EES19_EEDaS14_S15_EUlS14_E_NS1_11comp_targetILNS1_3genE8ELNS1_11target_archE1030ELNS1_3gpuE2ELNS1_3repE0EEENS1_30default_config_static_selectorELNS0_4arch9wavefront6targetE1EEEvT1_,@function
_ZN7rocprim17ROCPRIM_400000_NS6detail17trampoline_kernelINS0_14default_configENS1_25partition_config_selectorILNS1_17partition_subalgoE0EyNS0_10empty_typeEbEEZZNS1_14partition_implILS5_0ELb0ES3_jN6thrust23THRUST_200600_302600_NS6detail15normal_iteratorINSA_10device_ptrIyEEEEPS6_SG_NS0_5tupleIJNSA_16discard_iteratorINSA_11use_defaultEEESF_EEENSH_IJSG_SG_EEES6_PlJ7is_evenIyEEEE10hipError_tPvRmT3_T4_T5_T6_T7_T9_mT8_P12ihipStream_tbDpT10_ENKUlT_T0_E_clISt17integral_constantIbLb0EES19_EEDaS14_S15_EUlS14_E_NS1_11comp_targetILNS1_3genE8ELNS1_11target_archE1030ELNS1_3gpuE2ELNS1_3repE0EEENS1_30default_config_static_selectorELNS0_4arch9wavefront6targetE1EEEvT1_: ; @_ZN7rocprim17ROCPRIM_400000_NS6detail17trampoline_kernelINS0_14default_configENS1_25partition_config_selectorILNS1_17partition_subalgoE0EyNS0_10empty_typeEbEEZZNS1_14partition_implILS5_0ELb0ES3_jN6thrust23THRUST_200600_302600_NS6detail15normal_iteratorINSA_10device_ptrIyEEEEPS6_SG_NS0_5tupleIJNSA_16discard_iteratorINSA_11use_defaultEEESF_EEENSH_IJSG_SG_EEES6_PlJ7is_evenIyEEEE10hipError_tPvRmT3_T4_T5_T6_T7_T9_mT8_P12ihipStream_tbDpT10_ENKUlT_T0_E_clISt17integral_constantIbLb0EES19_EEDaS14_S15_EUlS14_E_NS1_11comp_targetILNS1_3genE8ELNS1_11target_archE1030ELNS1_3gpuE2ELNS1_3repE0EEENS1_30default_config_static_selectorELNS0_4arch9wavefront6targetE1EEEvT1_
; %bb.0:
	.section	.rodata,"a",@progbits
	.p2align	6, 0x0
	.amdhsa_kernel _ZN7rocprim17ROCPRIM_400000_NS6detail17trampoline_kernelINS0_14default_configENS1_25partition_config_selectorILNS1_17partition_subalgoE0EyNS0_10empty_typeEbEEZZNS1_14partition_implILS5_0ELb0ES3_jN6thrust23THRUST_200600_302600_NS6detail15normal_iteratorINSA_10device_ptrIyEEEEPS6_SG_NS0_5tupleIJNSA_16discard_iteratorINSA_11use_defaultEEESF_EEENSH_IJSG_SG_EEES6_PlJ7is_evenIyEEEE10hipError_tPvRmT3_T4_T5_T6_T7_T9_mT8_P12ihipStream_tbDpT10_ENKUlT_T0_E_clISt17integral_constantIbLb0EES19_EEDaS14_S15_EUlS14_E_NS1_11comp_targetILNS1_3genE8ELNS1_11target_archE1030ELNS1_3gpuE2ELNS1_3repE0EEENS1_30default_config_static_selectorELNS0_4arch9wavefront6targetE1EEEvT1_
		.amdhsa_group_segment_fixed_size 0
		.amdhsa_private_segment_fixed_size 0
		.amdhsa_kernarg_size 128
		.amdhsa_user_sgpr_count 2
		.amdhsa_user_sgpr_dispatch_ptr 0
		.amdhsa_user_sgpr_queue_ptr 0
		.amdhsa_user_sgpr_kernarg_segment_ptr 1
		.amdhsa_user_sgpr_dispatch_id 0
		.amdhsa_user_sgpr_kernarg_preload_length 0
		.amdhsa_user_sgpr_kernarg_preload_offset 0
		.amdhsa_user_sgpr_private_segment_size 0
		.amdhsa_uses_dynamic_stack 0
		.amdhsa_enable_private_segment 0
		.amdhsa_system_sgpr_workgroup_id_x 1
		.amdhsa_system_sgpr_workgroup_id_y 0
		.amdhsa_system_sgpr_workgroup_id_z 0
		.amdhsa_system_sgpr_workgroup_info 0
		.amdhsa_system_vgpr_workitem_id 0
		.amdhsa_next_free_vgpr 1
		.amdhsa_next_free_sgpr 0
		.amdhsa_accum_offset 4
		.amdhsa_reserve_vcc 0
		.amdhsa_float_round_mode_32 0
		.amdhsa_float_round_mode_16_64 0
		.amdhsa_float_denorm_mode_32 3
		.amdhsa_float_denorm_mode_16_64 3
		.amdhsa_dx10_clamp 1
		.amdhsa_ieee_mode 1
		.amdhsa_fp16_overflow 0
		.amdhsa_tg_split 0
		.amdhsa_exception_fp_ieee_invalid_op 0
		.amdhsa_exception_fp_denorm_src 0
		.amdhsa_exception_fp_ieee_div_zero 0
		.amdhsa_exception_fp_ieee_overflow 0
		.amdhsa_exception_fp_ieee_underflow 0
		.amdhsa_exception_fp_ieee_inexact 0
		.amdhsa_exception_int_div_zero 0
	.end_amdhsa_kernel
	.section	.text._ZN7rocprim17ROCPRIM_400000_NS6detail17trampoline_kernelINS0_14default_configENS1_25partition_config_selectorILNS1_17partition_subalgoE0EyNS0_10empty_typeEbEEZZNS1_14partition_implILS5_0ELb0ES3_jN6thrust23THRUST_200600_302600_NS6detail15normal_iteratorINSA_10device_ptrIyEEEEPS6_SG_NS0_5tupleIJNSA_16discard_iteratorINSA_11use_defaultEEESF_EEENSH_IJSG_SG_EEES6_PlJ7is_evenIyEEEE10hipError_tPvRmT3_T4_T5_T6_T7_T9_mT8_P12ihipStream_tbDpT10_ENKUlT_T0_E_clISt17integral_constantIbLb0EES19_EEDaS14_S15_EUlS14_E_NS1_11comp_targetILNS1_3genE8ELNS1_11target_archE1030ELNS1_3gpuE2ELNS1_3repE0EEENS1_30default_config_static_selectorELNS0_4arch9wavefront6targetE1EEEvT1_,"axG",@progbits,_ZN7rocprim17ROCPRIM_400000_NS6detail17trampoline_kernelINS0_14default_configENS1_25partition_config_selectorILNS1_17partition_subalgoE0EyNS0_10empty_typeEbEEZZNS1_14partition_implILS5_0ELb0ES3_jN6thrust23THRUST_200600_302600_NS6detail15normal_iteratorINSA_10device_ptrIyEEEEPS6_SG_NS0_5tupleIJNSA_16discard_iteratorINSA_11use_defaultEEESF_EEENSH_IJSG_SG_EEES6_PlJ7is_evenIyEEEE10hipError_tPvRmT3_T4_T5_T6_T7_T9_mT8_P12ihipStream_tbDpT10_ENKUlT_T0_E_clISt17integral_constantIbLb0EES19_EEDaS14_S15_EUlS14_E_NS1_11comp_targetILNS1_3genE8ELNS1_11target_archE1030ELNS1_3gpuE2ELNS1_3repE0EEENS1_30default_config_static_selectorELNS0_4arch9wavefront6targetE1EEEvT1_,comdat
.Lfunc_end2370:
	.size	_ZN7rocprim17ROCPRIM_400000_NS6detail17trampoline_kernelINS0_14default_configENS1_25partition_config_selectorILNS1_17partition_subalgoE0EyNS0_10empty_typeEbEEZZNS1_14partition_implILS5_0ELb0ES3_jN6thrust23THRUST_200600_302600_NS6detail15normal_iteratorINSA_10device_ptrIyEEEEPS6_SG_NS0_5tupleIJNSA_16discard_iteratorINSA_11use_defaultEEESF_EEENSH_IJSG_SG_EEES6_PlJ7is_evenIyEEEE10hipError_tPvRmT3_T4_T5_T6_T7_T9_mT8_P12ihipStream_tbDpT10_ENKUlT_T0_E_clISt17integral_constantIbLb0EES19_EEDaS14_S15_EUlS14_E_NS1_11comp_targetILNS1_3genE8ELNS1_11target_archE1030ELNS1_3gpuE2ELNS1_3repE0EEENS1_30default_config_static_selectorELNS0_4arch9wavefront6targetE1EEEvT1_, .Lfunc_end2370-_ZN7rocprim17ROCPRIM_400000_NS6detail17trampoline_kernelINS0_14default_configENS1_25partition_config_selectorILNS1_17partition_subalgoE0EyNS0_10empty_typeEbEEZZNS1_14partition_implILS5_0ELb0ES3_jN6thrust23THRUST_200600_302600_NS6detail15normal_iteratorINSA_10device_ptrIyEEEEPS6_SG_NS0_5tupleIJNSA_16discard_iteratorINSA_11use_defaultEEESF_EEENSH_IJSG_SG_EEES6_PlJ7is_evenIyEEEE10hipError_tPvRmT3_T4_T5_T6_T7_T9_mT8_P12ihipStream_tbDpT10_ENKUlT_T0_E_clISt17integral_constantIbLb0EES19_EEDaS14_S15_EUlS14_E_NS1_11comp_targetILNS1_3genE8ELNS1_11target_archE1030ELNS1_3gpuE2ELNS1_3repE0EEENS1_30default_config_static_selectorELNS0_4arch9wavefront6targetE1EEEvT1_
                                        ; -- End function
	.section	.AMDGPU.csdata,"",@progbits
; Kernel info:
; codeLenInByte = 0
; NumSgprs: 6
; NumVgprs: 0
; NumAgprs: 0
; TotalNumVgprs: 0
; ScratchSize: 0
; MemoryBound: 0
; FloatMode: 240
; IeeeMode: 1
; LDSByteSize: 0 bytes/workgroup (compile time only)
; SGPRBlocks: 0
; VGPRBlocks: 0
; NumSGPRsForWavesPerEU: 6
; NumVGPRsForWavesPerEU: 1
; AccumOffset: 4
; Occupancy: 8
; WaveLimiterHint : 0
; COMPUTE_PGM_RSRC2:SCRATCH_EN: 0
; COMPUTE_PGM_RSRC2:USER_SGPR: 2
; COMPUTE_PGM_RSRC2:TRAP_HANDLER: 0
; COMPUTE_PGM_RSRC2:TGID_X_EN: 1
; COMPUTE_PGM_RSRC2:TGID_Y_EN: 0
; COMPUTE_PGM_RSRC2:TGID_Z_EN: 0
; COMPUTE_PGM_RSRC2:TIDIG_COMP_CNT: 0
; COMPUTE_PGM_RSRC3_GFX90A:ACCUM_OFFSET: 0
; COMPUTE_PGM_RSRC3_GFX90A:TG_SPLIT: 0
	.section	.text._ZN7rocprim17ROCPRIM_400000_NS6detail17trampoline_kernelINS0_14default_configENS1_25partition_config_selectorILNS1_17partition_subalgoE0EyNS0_10empty_typeEbEEZZNS1_14partition_implILS5_0ELb0ES3_jN6thrust23THRUST_200600_302600_NS6detail15normal_iteratorINSA_10device_ptrIyEEEEPS6_SG_NS0_5tupleIJNSA_16discard_iteratorINSA_11use_defaultEEESF_EEENSH_IJSG_SG_EEES6_PlJ7is_evenIyEEEE10hipError_tPvRmT3_T4_T5_T6_T7_T9_mT8_P12ihipStream_tbDpT10_ENKUlT_T0_E_clISt17integral_constantIbLb1EES19_EEDaS14_S15_EUlS14_E_NS1_11comp_targetILNS1_3genE0ELNS1_11target_archE4294967295ELNS1_3gpuE0ELNS1_3repE0EEENS1_30default_config_static_selectorELNS0_4arch9wavefront6targetE1EEEvT1_,"axG",@progbits,_ZN7rocprim17ROCPRIM_400000_NS6detail17trampoline_kernelINS0_14default_configENS1_25partition_config_selectorILNS1_17partition_subalgoE0EyNS0_10empty_typeEbEEZZNS1_14partition_implILS5_0ELb0ES3_jN6thrust23THRUST_200600_302600_NS6detail15normal_iteratorINSA_10device_ptrIyEEEEPS6_SG_NS0_5tupleIJNSA_16discard_iteratorINSA_11use_defaultEEESF_EEENSH_IJSG_SG_EEES6_PlJ7is_evenIyEEEE10hipError_tPvRmT3_T4_T5_T6_T7_T9_mT8_P12ihipStream_tbDpT10_ENKUlT_T0_E_clISt17integral_constantIbLb1EES19_EEDaS14_S15_EUlS14_E_NS1_11comp_targetILNS1_3genE0ELNS1_11target_archE4294967295ELNS1_3gpuE0ELNS1_3repE0EEENS1_30default_config_static_selectorELNS0_4arch9wavefront6targetE1EEEvT1_,comdat
	.protected	_ZN7rocprim17ROCPRIM_400000_NS6detail17trampoline_kernelINS0_14default_configENS1_25partition_config_selectorILNS1_17partition_subalgoE0EyNS0_10empty_typeEbEEZZNS1_14partition_implILS5_0ELb0ES3_jN6thrust23THRUST_200600_302600_NS6detail15normal_iteratorINSA_10device_ptrIyEEEEPS6_SG_NS0_5tupleIJNSA_16discard_iteratorINSA_11use_defaultEEESF_EEENSH_IJSG_SG_EEES6_PlJ7is_evenIyEEEE10hipError_tPvRmT3_T4_T5_T6_T7_T9_mT8_P12ihipStream_tbDpT10_ENKUlT_T0_E_clISt17integral_constantIbLb1EES19_EEDaS14_S15_EUlS14_E_NS1_11comp_targetILNS1_3genE0ELNS1_11target_archE4294967295ELNS1_3gpuE0ELNS1_3repE0EEENS1_30default_config_static_selectorELNS0_4arch9wavefront6targetE1EEEvT1_ ; -- Begin function _ZN7rocprim17ROCPRIM_400000_NS6detail17trampoline_kernelINS0_14default_configENS1_25partition_config_selectorILNS1_17partition_subalgoE0EyNS0_10empty_typeEbEEZZNS1_14partition_implILS5_0ELb0ES3_jN6thrust23THRUST_200600_302600_NS6detail15normal_iteratorINSA_10device_ptrIyEEEEPS6_SG_NS0_5tupleIJNSA_16discard_iteratorINSA_11use_defaultEEESF_EEENSH_IJSG_SG_EEES6_PlJ7is_evenIyEEEE10hipError_tPvRmT3_T4_T5_T6_T7_T9_mT8_P12ihipStream_tbDpT10_ENKUlT_T0_E_clISt17integral_constantIbLb1EES19_EEDaS14_S15_EUlS14_E_NS1_11comp_targetILNS1_3genE0ELNS1_11target_archE4294967295ELNS1_3gpuE0ELNS1_3repE0EEENS1_30default_config_static_selectorELNS0_4arch9wavefront6targetE1EEEvT1_
	.globl	_ZN7rocprim17ROCPRIM_400000_NS6detail17trampoline_kernelINS0_14default_configENS1_25partition_config_selectorILNS1_17partition_subalgoE0EyNS0_10empty_typeEbEEZZNS1_14partition_implILS5_0ELb0ES3_jN6thrust23THRUST_200600_302600_NS6detail15normal_iteratorINSA_10device_ptrIyEEEEPS6_SG_NS0_5tupleIJNSA_16discard_iteratorINSA_11use_defaultEEESF_EEENSH_IJSG_SG_EEES6_PlJ7is_evenIyEEEE10hipError_tPvRmT3_T4_T5_T6_T7_T9_mT8_P12ihipStream_tbDpT10_ENKUlT_T0_E_clISt17integral_constantIbLb1EES19_EEDaS14_S15_EUlS14_E_NS1_11comp_targetILNS1_3genE0ELNS1_11target_archE4294967295ELNS1_3gpuE0ELNS1_3repE0EEENS1_30default_config_static_selectorELNS0_4arch9wavefront6targetE1EEEvT1_
	.p2align	8
	.type	_ZN7rocprim17ROCPRIM_400000_NS6detail17trampoline_kernelINS0_14default_configENS1_25partition_config_selectorILNS1_17partition_subalgoE0EyNS0_10empty_typeEbEEZZNS1_14partition_implILS5_0ELb0ES3_jN6thrust23THRUST_200600_302600_NS6detail15normal_iteratorINSA_10device_ptrIyEEEEPS6_SG_NS0_5tupleIJNSA_16discard_iteratorINSA_11use_defaultEEESF_EEENSH_IJSG_SG_EEES6_PlJ7is_evenIyEEEE10hipError_tPvRmT3_T4_T5_T6_T7_T9_mT8_P12ihipStream_tbDpT10_ENKUlT_T0_E_clISt17integral_constantIbLb1EES19_EEDaS14_S15_EUlS14_E_NS1_11comp_targetILNS1_3genE0ELNS1_11target_archE4294967295ELNS1_3gpuE0ELNS1_3repE0EEENS1_30default_config_static_selectorELNS0_4arch9wavefront6targetE1EEEvT1_,@function
_ZN7rocprim17ROCPRIM_400000_NS6detail17trampoline_kernelINS0_14default_configENS1_25partition_config_selectorILNS1_17partition_subalgoE0EyNS0_10empty_typeEbEEZZNS1_14partition_implILS5_0ELb0ES3_jN6thrust23THRUST_200600_302600_NS6detail15normal_iteratorINSA_10device_ptrIyEEEEPS6_SG_NS0_5tupleIJNSA_16discard_iteratorINSA_11use_defaultEEESF_EEENSH_IJSG_SG_EEES6_PlJ7is_evenIyEEEE10hipError_tPvRmT3_T4_T5_T6_T7_T9_mT8_P12ihipStream_tbDpT10_ENKUlT_T0_E_clISt17integral_constantIbLb1EES19_EEDaS14_S15_EUlS14_E_NS1_11comp_targetILNS1_3genE0ELNS1_11target_archE4294967295ELNS1_3gpuE0ELNS1_3repE0EEENS1_30default_config_static_selectorELNS0_4arch9wavefront6targetE1EEEvT1_: ; @_ZN7rocprim17ROCPRIM_400000_NS6detail17trampoline_kernelINS0_14default_configENS1_25partition_config_selectorILNS1_17partition_subalgoE0EyNS0_10empty_typeEbEEZZNS1_14partition_implILS5_0ELb0ES3_jN6thrust23THRUST_200600_302600_NS6detail15normal_iteratorINSA_10device_ptrIyEEEEPS6_SG_NS0_5tupleIJNSA_16discard_iteratorINSA_11use_defaultEEESF_EEENSH_IJSG_SG_EEES6_PlJ7is_evenIyEEEE10hipError_tPvRmT3_T4_T5_T6_T7_T9_mT8_P12ihipStream_tbDpT10_ENKUlT_T0_E_clISt17integral_constantIbLb1EES19_EEDaS14_S15_EUlS14_E_NS1_11comp_targetILNS1_3genE0ELNS1_11target_archE4294967295ELNS1_3gpuE0ELNS1_3repE0EEENS1_30default_config_static_selectorELNS0_4arch9wavefront6targetE1EEEvT1_
; %bb.0:
	.section	.rodata,"a",@progbits
	.p2align	6, 0x0
	.amdhsa_kernel _ZN7rocprim17ROCPRIM_400000_NS6detail17trampoline_kernelINS0_14default_configENS1_25partition_config_selectorILNS1_17partition_subalgoE0EyNS0_10empty_typeEbEEZZNS1_14partition_implILS5_0ELb0ES3_jN6thrust23THRUST_200600_302600_NS6detail15normal_iteratorINSA_10device_ptrIyEEEEPS6_SG_NS0_5tupleIJNSA_16discard_iteratorINSA_11use_defaultEEESF_EEENSH_IJSG_SG_EEES6_PlJ7is_evenIyEEEE10hipError_tPvRmT3_T4_T5_T6_T7_T9_mT8_P12ihipStream_tbDpT10_ENKUlT_T0_E_clISt17integral_constantIbLb1EES19_EEDaS14_S15_EUlS14_E_NS1_11comp_targetILNS1_3genE0ELNS1_11target_archE4294967295ELNS1_3gpuE0ELNS1_3repE0EEENS1_30default_config_static_selectorELNS0_4arch9wavefront6targetE1EEEvT1_
		.amdhsa_group_segment_fixed_size 0
		.amdhsa_private_segment_fixed_size 0
		.amdhsa_kernarg_size 144
		.amdhsa_user_sgpr_count 2
		.amdhsa_user_sgpr_dispatch_ptr 0
		.amdhsa_user_sgpr_queue_ptr 0
		.amdhsa_user_sgpr_kernarg_segment_ptr 1
		.amdhsa_user_sgpr_dispatch_id 0
		.amdhsa_user_sgpr_kernarg_preload_length 0
		.amdhsa_user_sgpr_kernarg_preload_offset 0
		.amdhsa_user_sgpr_private_segment_size 0
		.amdhsa_uses_dynamic_stack 0
		.amdhsa_enable_private_segment 0
		.amdhsa_system_sgpr_workgroup_id_x 1
		.amdhsa_system_sgpr_workgroup_id_y 0
		.amdhsa_system_sgpr_workgroup_id_z 0
		.amdhsa_system_sgpr_workgroup_info 0
		.amdhsa_system_vgpr_workitem_id 0
		.amdhsa_next_free_vgpr 1
		.amdhsa_next_free_sgpr 0
		.amdhsa_accum_offset 4
		.amdhsa_reserve_vcc 0
		.amdhsa_float_round_mode_32 0
		.amdhsa_float_round_mode_16_64 0
		.amdhsa_float_denorm_mode_32 3
		.amdhsa_float_denorm_mode_16_64 3
		.amdhsa_dx10_clamp 1
		.amdhsa_ieee_mode 1
		.amdhsa_fp16_overflow 0
		.amdhsa_tg_split 0
		.amdhsa_exception_fp_ieee_invalid_op 0
		.amdhsa_exception_fp_denorm_src 0
		.amdhsa_exception_fp_ieee_div_zero 0
		.amdhsa_exception_fp_ieee_overflow 0
		.amdhsa_exception_fp_ieee_underflow 0
		.amdhsa_exception_fp_ieee_inexact 0
		.amdhsa_exception_int_div_zero 0
	.end_amdhsa_kernel
	.section	.text._ZN7rocprim17ROCPRIM_400000_NS6detail17trampoline_kernelINS0_14default_configENS1_25partition_config_selectorILNS1_17partition_subalgoE0EyNS0_10empty_typeEbEEZZNS1_14partition_implILS5_0ELb0ES3_jN6thrust23THRUST_200600_302600_NS6detail15normal_iteratorINSA_10device_ptrIyEEEEPS6_SG_NS0_5tupleIJNSA_16discard_iteratorINSA_11use_defaultEEESF_EEENSH_IJSG_SG_EEES6_PlJ7is_evenIyEEEE10hipError_tPvRmT3_T4_T5_T6_T7_T9_mT8_P12ihipStream_tbDpT10_ENKUlT_T0_E_clISt17integral_constantIbLb1EES19_EEDaS14_S15_EUlS14_E_NS1_11comp_targetILNS1_3genE0ELNS1_11target_archE4294967295ELNS1_3gpuE0ELNS1_3repE0EEENS1_30default_config_static_selectorELNS0_4arch9wavefront6targetE1EEEvT1_,"axG",@progbits,_ZN7rocprim17ROCPRIM_400000_NS6detail17trampoline_kernelINS0_14default_configENS1_25partition_config_selectorILNS1_17partition_subalgoE0EyNS0_10empty_typeEbEEZZNS1_14partition_implILS5_0ELb0ES3_jN6thrust23THRUST_200600_302600_NS6detail15normal_iteratorINSA_10device_ptrIyEEEEPS6_SG_NS0_5tupleIJNSA_16discard_iteratorINSA_11use_defaultEEESF_EEENSH_IJSG_SG_EEES6_PlJ7is_evenIyEEEE10hipError_tPvRmT3_T4_T5_T6_T7_T9_mT8_P12ihipStream_tbDpT10_ENKUlT_T0_E_clISt17integral_constantIbLb1EES19_EEDaS14_S15_EUlS14_E_NS1_11comp_targetILNS1_3genE0ELNS1_11target_archE4294967295ELNS1_3gpuE0ELNS1_3repE0EEENS1_30default_config_static_selectorELNS0_4arch9wavefront6targetE1EEEvT1_,comdat
.Lfunc_end2371:
	.size	_ZN7rocprim17ROCPRIM_400000_NS6detail17trampoline_kernelINS0_14default_configENS1_25partition_config_selectorILNS1_17partition_subalgoE0EyNS0_10empty_typeEbEEZZNS1_14partition_implILS5_0ELb0ES3_jN6thrust23THRUST_200600_302600_NS6detail15normal_iteratorINSA_10device_ptrIyEEEEPS6_SG_NS0_5tupleIJNSA_16discard_iteratorINSA_11use_defaultEEESF_EEENSH_IJSG_SG_EEES6_PlJ7is_evenIyEEEE10hipError_tPvRmT3_T4_T5_T6_T7_T9_mT8_P12ihipStream_tbDpT10_ENKUlT_T0_E_clISt17integral_constantIbLb1EES19_EEDaS14_S15_EUlS14_E_NS1_11comp_targetILNS1_3genE0ELNS1_11target_archE4294967295ELNS1_3gpuE0ELNS1_3repE0EEENS1_30default_config_static_selectorELNS0_4arch9wavefront6targetE1EEEvT1_, .Lfunc_end2371-_ZN7rocprim17ROCPRIM_400000_NS6detail17trampoline_kernelINS0_14default_configENS1_25partition_config_selectorILNS1_17partition_subalgoE0EyNS0_10empty_typeEbEEZZNS1_14partition_implILS5_0ELb0ES3_jN6thrust23THRUST_200600_302600_NS6detail15normal_iteratorINSA_10device_ptrIyEEEEPS6_SG_NS0_5tupleIJNSA_16discard_iteratorINSA_11use_defaultEEESF_EEENSH_IJSG_SG_EEES6_PlJ7is_evenIyEEEE10hipError_tPvRmT3_T4_T5_T6_T7_T9_mT8_P12ihipStream_tbDpT10_ENKUlT_T0_E_clISt17integral_constantIbLb1EES19_EEDaS14_S15_EUlS14_E_NS1_11comp_targetILNS1_3genE0ELNS1_11target_archE4294967295ELNS1_3gpuE0ELNS1_3repE0EEENS1_30default_config_static_selectorELNS0_4arch9wavefront6targetE1EEEvT1_
                                        ; -- End function
	.section	.AMDGPU.csdata,"",@progbits
; Kernel info:
; codeLenInByte = 0
; NumSgprs: 6
; NumVgprs: 0
; NumAgprs: 0
; TotalNumVgprs: 0
; ScratchSize: 0
; MemoryBound: 0
; FloatMode: 240
; IeeeMode: 1
; LDSByteSize: 0 bytes/workgroup (compile time only)
; SGPRBlocks: 0
; VGPRBlocks: 0
; NumSGPRsForWavesPerEU: 6
; NumVGPRsForWavesPerEU: 1
; AccumOffset: 4
; Occupancy: 8
; WaveLimiterHint : 0
; COMPUTE_PGM_RSRC2:SCRATCH_EN: 0
; COMPUTE_PGM_RSRC2:USER_SGPR: 2
; COMPUTE_PGM_RSRC2:TRAP_HANDLER: 0
; COMPUTE_PGM_RSRC2:TGID_X_EN: 1
; COMPUTE_PGM_RSRC2:TGID_Y_EN: 0
; COMPUTE_PGM_RSRC2:TGID_Z_EN: 0
; COMPUTE_PGM_RSRC2:TIDIG_COMP_CNT: 0
; COMPUTE_PGM_RSRC3_GFX90A:ACCUM_OFFSET: 0
; COMPUTE_PGM_RSRC3_GFX90A:TG_SPLIT: 0
	.section	.text._ZN7rocprim17ROCPRIM_400000_NS6detail17trampoline_kernelINS0_14default_configENS1_25partition_config_selectorILNS1_17partition_subalgoE0EyNS0_10empty_typeEbEEZZNS1_14partition_implILS5_0ELb0ES3_jN6thrust23THRUST_200600_302600_NS6detail15normal_iteratorINSA_10device_ptrIyEEEEPS6_SG_NS0_5tupleIJNSA_16discard_iteratorINSA_11use_defaultEEESF_EEENSH_IJSG_SG_EEES6_PlJ7is_evenIyEEEE10hipError_tPvRmT3_T4_T5_T6_T7_T9_mT8_P12ihipStream_tbDpT10_ENKUlT_T0_E_clISt17integral_constantIbLb1EES19_EEDaS14_S15_EUlS14_E_NS1_11comp_targetILNS1_3genE5ELNS1_11target_archE942ELNS1_3gpuE9ELNS1_3repE0EEENS1_30default_config_static_selectorELNS0_4arch9wavefront6targetE1EEEvT1_,"axG",@progbits,_ZN7rocprim17ROCPRIM_400000_NS6detail17trampoline_kernelINS0_14default_configENS1_25partition_config_selectorILNS1_17partition_subalgoE0EyNS0_10empty_typeEbEEZZNS1_14partition_implILS5_0ELb0ES3_jN6thrust23THRUST_200600_302600_NS6detail15normal_iteratorINSA_10device_ptrIyEEEEPS6_SG_NS0_5tupleIJNSA_16discard_iteratorINSA_11use_defaultEEESF_EEENSH_IJSG_SG_EEES6_PlJ7is_evenIyEEEE10hipError_tPvRmT3_T4_T5_T6_T7_T9_mT8_P12ihipStream_tbDpT10_ENKUlT_T0_E_clISt17integral_constantIbLb1EES19_EEDaS14_S15_EUlS14_E_NS1_11comp_targetILNS1_3genE5ELNS1_11target_archE942ELNS1_3gpuE9ELNS1_3repE0EEENS1_30default_config_static_selectorELNS0_4arch9wavefront6targetE1EEEvT1_,comdat
	.protected	_ZN7rocprim17ROCPRIM_400000_NS6detail17trampoline_kernelINS0_14default_configENS1_25partition_config_selectorILNS1_17partition_subalgoE0EyNS0_10empty_typeEbEEZZNS1_14partition_implILS5_0ELb0ES3_jN6thrust23THRUST_200600_302600_NS6detail15normal_iteratorINSA_10device_ptrIyEEEEPS6_SG_NS0_5tupleIJNSA_16discard_iteratorINSA_11use_defaultEEESF_EEENSH_IJSG_SG_EEES6_PlJ7is_evenIyEEEE10hipError_tPvRmT3_T4_T5_T6_T7_T9_mT8_P12ihipStream_tbDpT10_ENKUlT_T0_E_clISt17integral_constantIbLb1EES19_EEDaS14_S15_EUlS14_E_NS1_11comp_targetILNS1_3genE5ELNS1_11target_archE942ELNS1_3gpuE9ELNS1_3repE0EEENS1_30default_config_static_selectorELNS0_4arch9wavefront6targetE1EEEvT1_ ; -- Begin function _ZN7rocprim17ROCPRIM_400000_NS6detail17trampoline_kernelINS0_14default_configENS1_25partition_config_selectorILNS1_17partition_subalgoE0EyNS0_10empty_typeEbEEZZNS1_14partition_implILS5_0ELb0ES3_jN6thrust23THRUST_200600_302600_NS6detail15normal_iteratorINSA_10device_ptrIyEEEEPS6_SG_NS0_5tupleIJNSA_16discard_iteratorINSA_11use_defaultEEESF_EEENSH_IJSG_SG_EEES6_PlJ7is_evenIyEEEE10hipError_tPvRmT3_T4_T5_T6_T7_T9_mT8_P12ihipStream_tbDpT10_ENKUlT_T0_E_clISt17integral_constantIbLb1EES19_EEDaS14_S15_EUlS14_E_NS1_11comp_targetILNS1_3genE5ELNS1_11target_archE942ELNS1_3gpuE9ELNS1_3repE0EEENS1_30default_config_static_selectorELNS0_4arch9wavefront6targetE1EEEvT1_
	.globl	_ZN7rocprim17ROCPRIM_400000_NS6detail17trampoline_kernelINS0_14default_configENS1_25partition_config_selectorILNS1_17partition_subalgoE0EyNS0_10empty_typeEbEEZZNS1_14partition_implILS5_0ELb0ES3_jN6thrust23THRUST_200600_302600_NS6detail15normal_iteratorINSA_10device_ptrIyEEEEPS6_SG_NS0_5tupleIJNSA_16discard_iteratorINSA_11use_defaultEEESF_EEENSH_IJSG_SG_EEES6_PlJ7is_evenIyEEEE10hipError_tPvRmT3_T4_T5_T6_T7_T9_mT8_P12ihipStream_tbDpT10_ENKUlT_T0_E_clISt17integral_constantIbLb1EES19_EEDaS14_S15_EUlS14_E_NS1_11comp_targetILNS1_3genE5ELNS1_11target_archE942ELNS1_3gpuE9ELNS1_3repE0EEENS1_30default_config_static_selectorELNS0_4arch9wavefront6targetE1EEEvT1_
	.p2align	8
	.type	_ZN7rocprim17ROCPRIM_400000_NS6detail17trampoline_kernelINS0_14default_configENS1_25partition_config_selectorILNS1_17partition_subalgoE0EyNS0_10empty_typeEbEEZZNS1_14partition_implILS5_0ELb0ES3_jN6thrust23THRUST_200600_302600_NS6detail15normal_iteratorINSA_10device_ptrIyEEEEPS6_SG_NS0_5tupleIJNSA_16discard_iteratorINSA_11use_defaultEEESF_EEENSH_IJSG_SG_EEES6_PlJ7is_evenIyEEEE10hipError_tPvRmT3_T4_T5_T6_T7_T9_mT8_P12ihipStream_tbDpT10_ENKUlT_T0_E_clISt17integral_constantIbLb1EES19_EEDaS14_S15_EUlS14_E_NS1_11comp_targetILNS1_3genE5ELNS1_11target_archE942ELNS1_3gpuE9ELNS1_3repE0EEENS1_30default_config_static_selectorELNS0_4arch9wavefront6targetE1EEEvT1_,@function
_ZN7rocprim17ROCPRIM_400000_NS6detail17trampoline_kernelINS0_14default_configENS1_25partition_config_selectorILNS1_17partition_subalgoE0EyNS0_10empty_typeEbEEZZNS1_14partition_implILS5_0ELb0ES3_jN6thrust23THRUST_200600_302600_NS6detail15normal_iteratorINSA_10device_ptrIyEEEEPS6_SG_NS0_5tupleIJNSA_16discard_iteratorINSA_11use_defaultEEESF_EEENSH_IJSG_SG_EEES6_PlJ7is_evenIyEEEE10hipError_tPvRmT3_T4_T5_T6_T7_T9_mT8_P12ihipStream_tbDpT10_ENKUlT_T0_E_clISt17integral_constantIbLb1EES19_EEDaS14_S15_EUlS14_E_NS1_11comp_targetILNS1_3genE5ELNS1_11target_archE942ELNS1_3gpuE9ELNS1_3repE0EEENS1_30default_config_static_selectorELNS0_4arch9wavefront6targetE1EEEvT1_: ; @_ZN7rocprim17ROCPRIM_400000_NS6detail17trampoline_kernelINS0_14default_configENS1_25partition_config_selectorILNS1_17partition_subalgoE0EyNS0_10empty_typeEbEEZZNS1_14partition_implILS5_0ELb0ES3_jN6thrust23THRUST_200600_302600_NS6detail15normal_iteratorINSA_10device_ptrIyEEEEPS6_SG_NS0_5tupleIJNSA_16discard_iteratorINSA_11use_defaultEEESF_EEENSH_IJSG_SG_EEES6_PlJ7is_evenIyEEEE10hipError_tPvRmT3_T4_T5_T6_T7_T9_mT8_P12ihipStream_tbDpT10_ENKUlT_T0_E_clISt17integral_constantIbLb1EES19_EEDaS14_S15_EUlS14_E_NS1_11comp_targetILNS1_3genE5ELNS1_11target_archE942ELNS1_3gpuE9ELNS1_3repE0EEENS1_30default_config_static_selectorELNS0_4arch9wavefront6targetE1EEEvT1_
; %bb.0:
	s_load_dwordx2 s[2:3], s[0:1], 0x60
	s_load_dwordx4 s[24:27], s[0:1], 0x50
	s_load_dwordx2 s[36:37], s[0:1], 0x70
	v_cmp_eq_u32_e64 s[20:21], 0, v0
	s_and_saveexec_b64 s[4:5], s[20:21]
	s_cbranch_execz .LBB2372_4
; %bb.1:
	s_mov_b64 s[8:9], exec
	v_mbcnt_lo_u32_b32 v1, s8, 0
	v_mbcnt_hi_u32_b32 v1, s9, v1
	v_cmp_eq_u32_e32 vcc, 0, v1
                                        ; implicit-def: $vgpr2
	s_and_saveexec_b64 s[6:7], vcc
	s_cbranch_execz .LBB2372_3
; %bb.2:
	s_load_dwordx2 s[10:11], s[0:1], 0x80
	s_bcnt1_i32_b64 s8, s[8:9]
	v_mov_b32_e32 v2, 0
	v_mov_b32_e32 v3, s8
	s_waitcnt lgkmcnt(0)
	global_atomic_add v2, v2, v3, s[10:11] sc0
.LBB2372_3:
	s_or_b64 exec, exec, s[6:7]
	s_waitcnt vmcnt(0)
	v_readfirstlane_b32 s6, v2
	v_mov_b32_e32 v2, 0
	s_nop 0
	v_add_u32_e32 v1, s6, v1
	ds_write_b32 v2, v1
.LBB2372_4:
	s_or_b64 exec, exec, s[4:5]
	v_mov_b32_e32 v19, 0
	s_load_dwordx4 s[28:31], s[0:1], 0x8
	s_load_dwordx2 s[34:35], s[0:1], 0x38
	s_load_dword s4, s[0:1], 0x78
	s_waitcnt lgkmcnt(0)
	s_barrier
	ds_read_b32 v1, v19
	s_waitcnt lgkmcnt(0)
	s_barrier
	global_load_dwordx2 v[20:21], v19, s[26:27]
	v_mov_b32_e32 v3, s3
	s_lshl_b64 s[0:1], s[30:31], 3
	s_movk_i32 s3, 0xe00
	s_add_u32 s0, s28, s0
	v_mul_lo_u32 v18, v1, s3
	s_mul_i32 s3, s4, 0xe00
	s_addc_u32 s1, s29, s1
	s_add_i32 s5, s4, -1
	s_add_i32 s4, s3, s30
	s_sub_i32 s33, s2, s4
	s_addk_i32 s33, 0xe00
	v_mov_b32_e32 v2, s2
	s_add_u32 s2, s30, s3
	v_readfirstlane_b32 s38, v1
	s_addc_u32 s3, s31, 0
	s_cmp_eq_u32 s38, s5
	s_cselect_b64 s[22:23], -1, 0
	s_cmp_lg_u32 s38, s5
	v_cmp_lt_u64_e32 vcc, s[2:3], v[2:3]
	s_cselect_b64 s[2:3], -1, 0
	s_or_b64 s[4:5], vcc, s[2:3]
	v_lshlrev_b64 v[22:23], 3, v[18:19]
	v_lshl_add_u64 v[24:25], s[0:1], 0, v[22:23]
	s_mov_b64 s[0:1], -1
	s_and_b64 vcc, exec, s[4:5]
	v_lshlrev_b32_e32 v18, 3, v0
	s_cbranch_vccz .LBB2372_6
; %bb.5:
	v_lshl_add_u64 v[2:3], v[24:25], 0, v[18:19]
	v_add_co_u32_e32 v4, vcc, 0x1000, v2
	s_mov_b64 s[0:1], 0
	s_nop 0
	v_addc_co_u32_e32 v5, vcc, 0, v3, vcc
	v_add_co_u32_e32 v6, vcc, 0x2000, v2
	s_nop 1
	v_addc_co_u32_e32 v7, vcc, 0, v3, vcc
	v_add_co_u32_e32 v8, vcc, 0x3000, v2
	s_nop 1
	v_addc_co_u32_e32 v9, vcc, 0, v3, vcc
	flat_load_dwordx2 v[10:11], v[2:3]
	flat_load_dwordx2 v[12:13], v[4:5]
	;; [unrolled: 1-line block ×4, first 2 shown]
	v_add_co_u32_e32 v4, vcc, 0x4000, v2
	s_nop 1
	v_addc_co_u32_e32 v5, vcc, 0, v3, vcc
	v_add_co_u32_e32 v6, vcc, 0x5000, v2
	s_nop 1
	v_addc_co_u32_e32 v7, vcc, 0, v3, vcc
	;; [unrolled: 3-line block ×3, first 2 shown]
	flat_load_dwordx2 v[8:9], v[4:5]
	flat_load_dwordx2 v[26:27], v[6:7]
	;; [unrolled: 1-line block ×3, first 2 shown]
	s_waitcnt vmcnt(0) lgkmcnt(0)
	ds_write2st64_b64 v18, v[10:11], v[12:13] offset1:8
	ds_write2st64_b64 v18, v[14:15], v[16:17] offset0:16 offset1:24
	ds_write2st64_b64 v18, v[8:9], v[26:27] offset0:32 offset1:40
	ds_write_b64 v18, v[28:29] offset:24576
	s_waitcnt lgkmcnt(0)
	s_barrier
.LBB2372_6:
	s_andn2_b64 vcc, exec, s[0:1]
	v_cmp_gt_u32_e64 s[0:1], s33, v0
	s_cbranch_vccnz .LBB2372_22
; %bb.7:
                                        ; implicit-def: $vgpr2_vgpr3_vgpr4_vgpr5_vgpr6_vgpr7_vgpr8_vgpr9_vgpr10_vgpr11_vgpr12_vgpr13_vgpr14_vgpr15_vgpr16_vgpr17
	s_and_saveexec_b64 s[2:3], s[0:1]
	s_cbranch_execz .LBB2372_9
; %bb.8:
	v_mov_b32_e32 v19, 0
	v_lshl_add_u64 v[2:3], v[24:25], 0, v[18:19]
	flat_load_dwordx2 v[2:3], v[2:3]
.LBB2372_9:
	s_or_b64 exec, exec, s[2:3]
	v_or_b32_e32 v1, 0x200, v0
	v_cmp_gt_u32_e32 vcc, s33, v1
	s_and_saveexec_b64 s[0:1], vcc
	s_cbranch_execz .LBB2372_11
; %bb.10:
	v_lshlrev_b32_e32 v4, 3, v1
	v_mov_b32_e32 v5, 0
	v_lshl_add_u64 v[4:5], v[24:25], 0, v[4:5]
	flat_load_dwordx2 v[4:5], v[4:5]
.LBB2372_11:
	s_or_b64 exec, exec, s[0:1]
	v_or_b32_e32 v1, 0x400, v0
	v_cmp_gt_u32_e32 vcc, s33, v1
	s_and_saveexec_b64 s[0:1], vcc
	s_cbranch_execz .LBB2372_13
; %bb.12:
	v_lshlrev_b32_e32 v6, 3, v1
	v_mov_b32_e32 v7, 0
	v_lshl_add_u64 v[6:7], v[24:25], 0, v[6:7]
	flat_load_dwordx2 v[6:7], v[6:7]
.LBB2372_13:
	;; [unrolled: 11-line block ×6, first 2 shown]
	s_or_b64 exec, exec, s[0:1]
	s_waitcnt vmcnt(0) lgkmcnt(0)
	ds_write2st64_b64 v18, v[2:3], v[4:5] offset1:8
	ds_write2st64_b64 v18, v[6:7], v[8:9] offset0:16 offset1:24
	ds_write2st64_b64 v18, v[10:11], v[12:13] offset0:32 offset1:40
	ds_write_b64 v18, v[14:15] offset:24576
	s_waitcnt lgkmcnt(0)
	s_barrier
.LBB2372_22:
	v_mul_u32_u24_e32 v1, 7, v0
	v_lshlrev_b32_e32 v36, 3, v1
	ds_read2_b64 v[10:13], v36 offset1:1
	ds_read2_b64 v[6:9], v36 offset0:2 offset1:3
	ds_read2_b64 v[2:5], v36 offset0:4 offset1:5
	ds_read_b64 v[14:15], v36 offset:48
	v_cndmask_b32_e64 v16, 0, 1, s[4:5]
	v_cmp_ne_u32_e64 s[2:3], 1, v16
	s_andn2_b64 vcc, exec, s[4:5]
	s_waitcnt lgkmcnt(3)
	v_xor_b32_e32 v28, -1, v10
	v_xor_b32_e32 v27, -1, v12
	s_waitcnt lgkmcnt(2)
	v_xor_b32_e32 v26, -1, v6
	v_xor_b32_e32 v25, -1, v8
	;; [unrolled: 3-line block ×3, first 2 shown]
	s_waitcnt lgkmcnt(0)
	v_xor_b32_e32 v16, -1, v14
	s_barrier
	s_cbranch_vccnz .LBB2372_24
; %bb.23:
	v_mov_b32_e32 v19, 1
	v_and_b32_e32 v29, 1, v28
	v_and_b32_sdwa v30, v27, v19 dst_sel:BYTE_1 dst_unused:UNUSED_PAD src0_sel:DWORD src1_sel:DWORD
	v_and_b32_e32 v31, 1, v26
	v_and_b32_sdwa v34, v25, v19 dst_sel:BYTE_1 dst_unused:UNUSED_PAD src0_sel:DWORD src1_sel:DWORD
	v_or_b32_e32 v29, v29, v30
	v_or_b32_sdwa v30, v31, v34 dst_sel:WORD_1 dst_unused:UNUSED_PAD src0_sel:DWORD src1_sel:DWORD
	v_and_b32_e32 v33, 1, v24
	v_and_b32_e32 v32, 1, v17
	;; [unrolled: 1-line block ×3, first 2 shown]
	v_or_b32_sdwa v34, v29, v30 dst_sel:DWORD dst_unused:UNUSED_PAD src0_sel:WORD_0 src1_sel:DWORD
	s_cbranch_execz .LBB2372_25
	s_branch .LBB2372_26
.LBB2372_24:
                                        ; implicit-def: $vgpr19
                                        ; implicit-def: $vgpr32
                                        ; implicit-def: $vgpr33
                                        ; implicit-def: $vgpr34
.LBB2372_25:
	v_add_u32_e32 v19, 1, v1
	v_cmp_gt_u32_e32 vcc, s33, v1
	v_add_u32_e32 v29, 2, v1
	v_add_u32_e32 v30, 3, v1
	v_cndmask_b32_e64 v33, 0, 1, vcc
	v_cmp_gt_u32_e32 vcc, s33, v19
	v_add_u32_e32 v31, 4, v1
	v_add_u32_e32 v32, 5, v1
	v_cndmask_b32_e64 v19, 0, 1, vcc
	v_cmp_gt_u32_e32 vcc, s33, v29
	v_and_b32_sdwa v27, v19, v27 dst_sel:BYTE_1 dst_unused:UNUSED_PAD src0_sel:DWORD src1_sel:DWORD
	v_add_u32_e32 v34, 6, v1
	v_cndmask_b32_e64 v19, 0, 1, vcc
	v_cmp_gt_u32_e32 vcc, s33, v30
	v_and_b32_e32 v26, v19, v26
	v_and_b32_e32 v28, v33, v28
	v_cndmask_b32_e64 v19, 0, 1, vcc
	v_cmp_gt_u32_e32 vcc, s33, v31
	v_and_b32_sdwa v25, v19, v25 dst_sel:BYTE_1 dst_unused:UNUSED_PAD src0_sel:DWORD src1_sel:DWORD
	s_nop 0
	v_cndmask_b32_e64 v19, 0, 1, vcc
	v_cmp_gt_u32_e32 vcc, s33, v32
	v_and_b32_e32 v33, v19, v24
	s_nop 0
	v_cndmask_b32_e64 v19, 0, 1, vcc
	v_cmp_gt_u32_e32 vcc, s33, v34
	v_and_b32_e32 v32, v19, v17
	s_nop 0
	v_cndmask_b32_e64 v17, 0, 1, vcc
	v_and_b32_e32 v19, v17, v16
	v_or_b32_e32 v16, v28, v27
	v_or_b32_sdwa v17, v26, v25 dst_sel:WORD_1 dst_unused:UNUSED_PAD src0_sel:DWORD src1_sel:DWORD
	s_nop 0
	v_or_b32_sdwa v34, v16, v17 dst_sel:DWORD dst_unused:UNUSED_PAD src0_sel:WORD_0 src1_sel:DWORD
.LBB2372_26:
	v_and_b32_e32 v37, 0xff, v34
	v_bfe_u32 v38, v34, 8, 8
	v_bfe_u32 v39, v34, 16, 8
	v_lshrrev_b32_e32 v35, 24, v34
	v_and_b32_e32 v40, 0xff, v33
	v_add3_u32 v17, v38, v37, v39
	v_and_b32_e32 v41, 0xff, v32
	v_and_b32_e32 v16, 0xff, v19
	v_add3_u32 v17, v17, v35, v40
	v_add3_u32 v44, v17, v41, v16
	v_mbcnt_lo_u32_b32 v16, -1, 0
	v_mbcnt_hi_u32_b32 v42, -1, v16
	v_and_b32_e32 v16, 15, v42
	v_cmp_eq_u32_e64 s[16:17], 0, v16
	v_cmp_lt_u32_e64 s[14:15], 1, v16
	v_cmp_lt_u32_e64 s[12:13], 3, v16
	v_cmp_lt_u32_e64 s[10:11], 7, v16
	v_and_b32_e32 v16, 16, v42
	v_cmp_eq_u32_e64 s[8:9], 0, v16
	v_or_b32_e32 v16, 63, v0
	s_cmp_lg_u32 s38, 0
	v_cmp_lt_u32_e64 s[4:5], 31, v42
	v_lshrrev_b32_e32 v43, 6, v0
	v_cmp_eq_u32_e64 s[6:7], v16, v0
	s_cbranch_scc0 .LBB2372_57
; %bb.27:
	v_mov_b32_dpp v16, v44 row_shr:1 row_mask:0xf bank_mask:0xf
	v_cndmask_b32_e64 v16, v16, 0, s[16:17]
	v_add_u32_e32 v16, v16, v44
	s_nop 1
	v_mov_b32_dpp v17, v16 row_shr:2 row_mask:0xf bank_mask:0xf
	v_cndmask_b32_e64 v17, 0, v17, s[14:15]
	v_add_u32_e32 v16, v16, v17
	s_nop 1
	;; [unrolled: 4-line block ×4, first 2 shown]
	v_mov_b32_dpp v17, v16 row_bcast:15 row_mask:0xf bank_mask:0xf
	v_cndmask_b32_e64 v17, v17, 0, s[8:9]
	v_add_u32_e32 v16, v16, v17
	s_nop 1
	v_mov_b32_dpp v17, v16 row_bcast:31 row_mask:0xf bank_mask:0xf
	v_cndmask_b32_e64 v17, 0, v17, s[4:5]
	v_add_u32_e32 v16, v16, v17
	s_and_saveexec_b64 s[0:1], s[6:7]
	s_cbranch_execz .LBB2372_29
; %bb.28:
	v_lshlrev_b32_e32 v17, 2, v43
	ds_write_b32 v17, v16
.LBB2372_29:
	s_or_b64 exec, exec, s[0:1]
	v_cmp_gt_u32_e32 vcc, 8, v0
	s_waitcnt lgkmcnt(0)
	s_barrier
	s_and_saveexec_b64 s[0:1], vcc
	s_cbranch_execz .LBB2372_31
; %bb.30:
	v_lshlrev_b32_e32 v17, 2, v0
	ds_read_b32 v24, v17
	v_and_b32_e32 v25, 7, v42
	v_cmp_ne_u32_e32 vcc, 0, v25
	s_waitcnt lgkmcnt(0)
	v_mov_b32_dpp v26, v24 row_shr:1 row_mask:0xf bank_mask:0xf
	v_cndmask_b32_e32 v26, 0, v26, vcc
	v_add_u32_e32 v24, v26, v24
	v_cmp_lt_u32_e32 vcc, 1, v25
	s_nop 0
	v_mov_b32_dpp v26, v24 row_shr:2 row_mask:0xf bank_mask:0xf
	v_cndmask_b32_e32 v26, 0, v26, vcc
	v_add_u32_e32 v24, v24, v26
	v_cmp_lt_u32_e32 vcc, 3, v25
	s_nop 0
	v_mov_b32_dpp v26, v24 row_shr:4 row_mask:0xf bank_mask:0xf
	v_cndmask_b32_e32 v25, 0, v26, vcc
	v_add_u32_e32 v24, v24, v25
	ds_write_b32 v17, v24
.LBB2372_31:
	s_or_b64 exec, exec, s[0:1]
	v_cmp_gt_u32_e32 vcc, 64, v0
	v_cmp_lt_u32_e64 s[0:1], 63, v0
	s_waitcnt lgkmcnt(0)
	s_barrier
	s_waitcnt lgkmcnt(0)
                                        ; implicit-def: $vgpr45
	s_and_saveexec_b64 s[18:19], s[0:1]
	s_cbranch_execz .LBB2372_33
; %bb.32:
	v_lshl_add_u32 v17, v43, 2, -4
	ds_read_b32 v45, v17
	s_waitcnt lgkmcnt(0)
	v_add_u32_e32 v16, v45, v16
.LBB2372_33:
	s_or_b64 exec, exec, s[18:19]
	v_add_u32_e32 v17, -1, v42
	v_and_b32_e32 v24, 64, v42
	v_cmp_lt_i32_e64 s[0:1], v17, v24
	v_cmp_eq_u32_e64 s[18:19], 0, v42
	s_nop 0
	v_cndmask_b32_e64 v17, v17, v42, s[0:1]
	v_lshlrev_b32_e32 v17, 2, v17
	ds_bpermute_b32 v46, v17, v16
	s_and_saveexec_b64 s[0:1], vcc
	s_cbranch_execz .LBB2372_56
; %bb.34:
	v_mov_b32_e32 v31, 0
	ds_read_b32 v16, v31 offset:28
	s_and_saveexec_b64 s[26:27], s[18:19]
	s_cbranch_execz .LBB2372_36
; %bb.35:
	s_add_i32 s28, s38, 64
	s_mov_b32 s29, 0
	s_lshl_b64 s[28:29], s[28:29], 3
	s_add_u32 s28, s36, s28
	v_mov_b32_e32 v17, 1
	s_addc_u32 s29, s37, s29
	s_waitcnt lgkmcnt(0)
	global_store_dwordx2 v31, v[16:17], s[28:29] sc1
.LBB2372_36:
	s_or_b64 exec, exec, s[26:27]
	v_xad_u32 v24, v42, -1, s38
	v_add_u32_e32 v30, 64, v24
	v_lshl_add_u64 v[26:27], v[30:31], 3, s[36:37]
	global_load_dwordx2 v[28:29], v[26:27], off sc1
	s_waitcnt vmcnt(0)
	v_cmp_eq_u16_sdwa s[28:29], v29, v31 src0_sel:BYTE_0 src1_sel:DWORD
	s_and_saveexec_b64 s[26:27], s[28:29]
	s_cbranch_execz .LBB2372_42
; %bb.37:
	s_mov_b32 s39, 1
	s_mov_b64 s[28:29], 0
	v_mov_b32_e32 v17, 0
.LBB2372_38:                            ; =>This Loop Header: Depth=1
                                        ;     Child Loop BB2372_39 Depth 2
	s_max_u32 s40, s39, 1
.LBB2372_39:                            ;   Parent Loop BB2372_38 Depth=1
                                        ; =>  This Inner Loop Header: Depth=2
	s_add_i32 s40, s40, -1
	s_cmp_eq_u32 s40, 0
	s_sleep 1
	s_cbranch_scc0 .LBB2372_39
; %bb.40:                               ;   in Loop: Header=BB2372_38 Depth=1
	global_load_dwordx2 v[28:29], v[26:27], off sc1
	s_cmp_lt_u32 s39, 32
	s_cselect_b64 s[40:41], -1, 0
	s_cmp_lg_u64 s[40:41], 0
	s_addc_u32 s39, s39, 0
	s_waitcnt vmcnt(0)
	v_cmp_ne_u16_sdwa s[40:41], v29, v17 src0_sel:BYTE_0 src1_sel:DWORD
	s_or_b64 s[28:29], s[40:41], s[28:29]
	s_andn2_b64 exec, exec, s[28:29]
	s_cbranch_execnz .LBB2372_38
; %bb.41:
	s_or_b64 exec, exec, s[28:29]
.LBB2372_42:
	s_or_b64 exec, exec, s[26:27]
	v_and_b32_e32 v48, 63, v42
	v_mov_b32_e32 v47, 2
	v_cmp_ne_u32_e32 vcc, 63, v48
	v_cmp_eq_u16_sdwa s[26:27], v29, v47 src0_sel:BYTE_0 src1_sel:DWORD
	v_lshlrev_b64 v[26:27], v42, -1
	v_addc_co_u32_e32 v30, vcc, 0, v42, vcc
	v_and_b32_e32 v17, s27, v27
	v_lshlrev_b32_e32 v49, 2, v30
	v_or_b32_e32 v17, 0x80000000, v17
	ds_bpermute_b32 v30, v49, v28
	v_and_b32_e32 v25, s26, v26
	v_ffbl_b32_e32 v17, v17
	v_add_u32_e32 v17, 32, v17
	v_ffbl_b32_e32 v25, v25
	v_min_u32_e32 v17, v25, v17
	v_cmp_lt_u32_e32 vcc, v48, v17
	v_add_u32_e32 v51, 2, v48
	v_add_u32_e32 v53, 4, v48
	s_waitcnt lgkmcnt(0)
	v_cndmask_b32_e32 v25, 0, v30, vcc
	v_cmp_gt_u32_e32 vcc, 62, v48
	v_add_u32_e32 v25, v25, v28
	v_add_u32_e32 v55, 8, v48
	v_cndmask_b32_e64 v28, 0, 1, vcc
	v_lshlrev_b32_e32 v28, 1, v28
	v_add_lshl_u32 v50, v28, v42, 2
	ds_bpermute_b32 v28, v50, v25
	v_cmp_le_u32_e32 vcc, v51, v17
	v_add_u32_e32 v57, 16, v48
	v_add_u32_e32 v59, 32, v48
	s_waitcnt lgkmcnt(0)
	v_cndmask_b32_e32 v28, 0, v28, vcc
	v_cmp_gt_u32_e32 vcc, 60, v48
	v_add_u32_e32 v25, v25, v28
	s_nop 0
	v_cndmask_b32_e64 v28, 0, 1, vcc
	v_lshlrev_b32_e32 v28, 2, v28
	v_add_lshl_u32 v52, v28, v42, 2
	ds_bpermute_b32 v28, v52, v25
	v_cmp_le_u32_e32 vcc, v53, v17
	s_waitcnt lgkmcnt(0)
	s_nop 0
	v_cndmask_b32_e32 v28, 0, v28, vcc
	v_cmp_gt_u32_e32 vcc, 56, v48
	v_add_u32_e32 v25, v25, v28
	s_nop 0
	v_cndmask_b32_e64 v28, 0, 1, vcc
	v_lshlrev_b32_e32 v28, 3, v28
	v_add_lshl_u32 v54, v28, v42, 2
	ds_bpermute_b32 v28, v54, v25
	v_cmp_le_u32_e32 vcc, v55, v17
	s_waitcnt lgkmcnt(0)
	s_nop 0
	;; [unrolled: 11-line block ×4, first 2 shown]
	v_cndmask_b32_e32 v17, 0, v28, vcc
	v_add_u32_e32 v28, v25, v17
	v_mov_b32_e32 v25, 0
	s_branch .LBB2372_44
.LBB2372_43:                            ;   in Loop: Header=BB2372_44 Depth=1
	s_or_b64 exec, exec, s[26:27]
	v_cmp_eq_u16_sdwa s[26:27], v29, v47 src0_sel:BYTE_0 src1_sel:DWORD
	ds_bpermute_b32 v60, v49, v28
	v_subrev_u32_e32 v24, 64, v24
	v_and_b32_e32 v30, s27, v27
	v_or_b32_e32 v30, 0x80000000, v30
	v_and_b32_e32 v31, s26, v26
	v_ffbl_b32_e32 v30, v30
	v_add_u32_e32 v30, 32, v30
	v_ffbl_b32_e32 v31, v31
	v_min_u32_e32 v30, v31, v30
	v_cmp_lt_u32_e32 vcc, v48, v30
	s_waitcnt lgkmcnt(0)
	s_nop 0
	v_cndmask_b32_e32 v31, 0, v60, vcc
	v_add_u32_e32 v28, v31, v28
	ds_bpermute_b32 v31, v50, v28
	v_cmp_le_u32_e32 vcc, v51, v30
	s_waitcnt lgkmcnt(0)
	s_nop 0
	v_cndmask_b32_e32 v31, 0, v31, vcc
	v_add_u32_e32 v28, v28, v31
	ds_bpermute_b32 v31, v52, v28
	v_cmp_le_u32_e32 vcc, v53, v30
	;; [unrolled: 6-line block ×5, first 2 shown]
	s_waitcnt lgkmcnt(0)
	s_nop 0
	v_cndmask_b32_e32 v30, 0, v31, vcc
	v_add3_u32 v28, v30, v17, v28
.LBB2372_44:                            ; =>This Loop Header: Depth=1
                                        ;     Child Loop BB2372_47 Depth 2
                                        ;       Child Loop BB2372_48 Depth 3
	v_cmp_ne_u16_sdwa s[26:27], v29, v47 src0_sel:BYTE_0 src1_sel:DWORD
	s_nop 1
	v_cndmask_b32_e64 v17, 0, 1, s[26:27]
	;;#ASMSTART
	;;#ASMEND
	s_nop 0
	v_cmp_ne_u32_e32 vcc, 0, v17
	s_cmp_lg_u64 vcc, exec
	v_mov_b32_e32 v17, v28
	s_cbranch_scc1 .LBB2372_51
; %bb.45:                               ;   in Loop: Header=BB2372_44 Depth=1
	v_lshl_add_u64 v[30:31], v[24:25], 3, s[36:37]
	global_load_dwordx2 v[28:29], v[30:31], off sc1
	s_waitcnt vmcnt(0)
	v_cmp_eq_u16_sdwa s[28:29], v29, v25 src0_sel:BYTE_0 src1_sel:DWORD
	s_and_saveexec_b64 s[26:27], s[28:29]
	s_cbranch_execz .LBB2372_43
; %bb.46:                               ;   in Loop: Header=BB2372_44 Depth=1
	s_mov_b32 s39, 1
	s_mov_b64 s[28:29], 0
.LBB2372_47:                            ;   Parent Loop BB2372_44 Depth=1
                                        ; =>  This Loop Header: Depth=2
                                        ;       Child Loop BB2372_48 Depth 3
	s_max_u32 s40, s39, 1
.LBB2372_48:                            ;   Parent Loop BB2372_44 Depth=1
                                        ;     Parent Loop BB2372_47 Depth=2
                                        ; =>    This Inner Loop Header: Depth=3
	s_add_i32 s40, s40, -1
	s_cmp_eq_u32 s40, 0
	s_sleep 1
	s_cbranch_scc0 .LBB2372_48
; %bb.49:                               ;   in Loop: Header=BB2372_47 Depth=2
	global_load_dwordx2 v[28:29], v[30:31], off sc1
	s_cmp_lt_u32 s39, 32
	s_cselect_b64 s[40:41], -1, 0
	s_cmp_lg_u64 s[40:41], 0
	s_addc_u32 s39, s39, 0
	s_waitcnt vmcnt(0)
	v_cmp_ne_u16_sdwa s[40:41], v29, v25 src0_sel:BYTE_0 src1_sel:DWORD
	s_or_b64 s[28:29], s[40:41], s[28:29]
	s_andn2_b64 exec, exec, s[28:29]
	s_cbranch_execnz .LBB2372_47
; %bb.50:                               ;   in Loop: Header=BB2372_44 Depth=1
	s_or_b64 exec, exec, s[28:29]
	s_branch .LBB2372_43
.LBB2372_51:                            ;   in Loop: Header=BB2372_44 Depth=1
                                        ; implicit-def: $vgpr28
                                        ; implicit-def: $vgpr29
	s_cbranch_execz .LBB2372_44
; %bb.52:
	s_and_saveexec_b64 s[26:27], s[18:19]
	s_cbranch_execz .LBB2372_54
; %bb.53:
	s_add_i32 s28, s38, 64
	s_mov_b32 s29, 0
	s_lshl_b64 s[28:29], s[28:29], 3
	s_add_u32 s28, s36, s28
	v_add_u32_e32 v24, v17, v16
	v_mov_b32_e32 v25, 2
	s_addc_u32 s29, s37, s29
	v_mov_b32_e32 v26, 0
	global_store_dwordx2 v26, v[24:25], s[28:29] sc1
	ds_write_b64 v26, v[16:17] offset:28672
.LBB2372_54:
	s_or_b64 exec, exec, s[26:27]
	s_and_b64 exec, exec, s[20:21]
	s_cbranch_execz .LBB2372_56
; %bb.55:
	v_mov_b32_e32 v16, 0
	ds_write_b32 v16, v17 offset:28
.LBB2372_56:
	s_or_b64 exec, exec, s[0:1]
	v_mov_b32_e32 v16, 0
	s_waitcnt lgkmcnt(0)
	s_barrier
	ds_read_b32 v17, v16 offset:28
	v_cndmask_b32_e64 v24, v46, v45, s[18:19]
	v_cndmask_b32_e64 v24, v24, 0, s[20:21]
	s_waitcnt lgkmcnt(0)
	s_barrier
	v_add_u32_e32 v31, v17, v24
	v_add_u32_e32 v30, v31, v37
	ds_read_b64 v[16:17], v16 offset:28672
	v_add_u32_e32 v29, v30, v38
	v_add_u32_e32 v28, v29, v39
	;; [unrolled: 1-line block ×5, first 2 shown]
	s_waitcnt lgkmcnt(0)
	v_mov_b32_e32 v26, v17
	s_branch .LBB2372_67
.LBB2372_57:
                                        ; implicit-def: $vgpr26
                                        ; implicit-def: $vgpr16
                                        ; implicit-def: $vgpr24
                                        ; implicit-def: $vgpr25
                                        ; implicit-def: $vgpr27
                                        ; implicit-def: $vgpr28
                                        ; implicit-def: $vgpr29
                                        ; implicit-def: $vgpr30
                                        ; implicit-def: $vgpr31
	s_cbranch_execz .LBB2372_67
; %bb.58:
	s_nop 0
	v_mov_b32_dpp v16, v44 row_shr:1 row_mask:0xf bank_mask:0xf
	v_cndmask_b32_e64 v16, v16, 0, s[16:17]
	v_add_u32_e32 v16, v16, v44
	s_nop 1
	v_mov_b32_dpp v17, v16 row_shr:2 row_mask:0xf bank_mask:0xf
	v_cndmask_b32_e64 v17, 0, v17, s[14:15]
	v_add_u32_e32 v16, v16, v17
	;; [unrolled: 4-line block ×4, first 2 shown]
	s_nop 1
	v_mov_b32_dpp v17, v16 row_bcast:15 row_mask:0xf bank_mask:0xf
	v_cndmask_b32_e64 v17, v17, 0, s[8:9]
	v_add_u32_e32 v16, v16, v17
	s_nop 1
	v_mov_b32_dpp v17, v16 row_bcast:31 row_mask:0xf bank_mask:0xf
	v_cndmask_b32_e64 v17, 0, v17, s[4:5]
	v_add_u32_e32 v16, v16, v17
	s_and_saveexec_b64 s[0:1], s[6:7]
	s_cbranch_execz .LBB2372_60
; %bb.59:
	v_lshlrev_b32_e32 v17, 2, v43
	ds_write_b32 v17, v16
.LBB2372_60:
	s_or_b64 exec, exec, s[0:1]
	v_cmp_gt_u32_e32 vcc, 8, v0
	s_waitcnt lgkmcnt(0)
	s_barrier
	s_and_saveexec_b64 s[0:1], vcc
	s_cbranch_execz .LBB2372_62
; %bb.61:
	s_movk_i32 s4, 0xffcc
	v_mad_i32_i24 v17, v0, s4, v36
	ds_read_b32 v24, v17
	v_and_b32_e32 v25, 7, v42
	v_cmp_ne_u32_e32 vcc, 0, v25
	s_waitcnt lgkmcnt(0)
	v_mov_b32_dpp v26, v24 row_shr:1 row_mask:0xf bank_mask:0xf
	v_cndmask_b32_e32 v26, 0, v26, vcc
	v_add_u32_e32 v24, v26, v24
	v_cmp_lt_u32_e32 vcc, 1, v25
	s_nop 0
	v_mov_b32_dpp v26, v24 row_shr:2 row_mask:0xf bank_mask:0xf
	v_cndmask_b32_e32 v26, 0, v26, vcc
	v_add_u32_e32 v24, v24, v26
	v_cmp_lt_u32_e32 vcc, 3, v25
	s_nop 0
	v_mov_b32_dpp v26, v24 row_shr:4 row_mask:0xf bank_mask:0xf
	v_cndmask_b32_e32 v25, 0, v26, vcc
	v_add_u32_e32 v24, v24, v25
	ds_write_b32 v17, v24
.LBB2372_62:
	s_or_b64 exec, exec, s[0:1]
	v_cmp_lt_u32_e32 vcc, 63, v0
	v_mov_b32_e32 v17, 0
	v_mov_b32_e32 v24, 0
	s_waitcnt lgkmcnt(0)
	s_barrier
	s_and_saveexec_b64 s[0:1], vcc
	s_cbranch_execz .LBB2372_64
; %bb.63:
	v_lshl_add_u32 v24, v43, 2, -4
	ds_read_b32 v24, v24
.LBB2372_64:
	s_or_b64 exec, exec, s[0:1]
	v_add_u32_e32 v25, -1, v42
	v_and_b32_e32 v26, 64, v42
	v_cmp_lt_i32_e32 vcc, v25, v26
	s_waitcnt lgkmcnt(0)
	v_add_u32_e32 v16, v24, v16
	v_cndmask_b32_e32 v25, v25, v42, vcc
	v_lshlrev_b32_e32 v25, 2, v25
	ds_bpermute_b32 v25, v25, v16
	ds_read_b32 v16, v17 offset:28
	s_and_saveexec_b64 s[0:1], s[20:21]
	s_cbranch_execz .LBB2372_66
; %bb.65:
	v_mov_b32_e32 v26, 0
	v_mov_b32_e32 v17, 2
	s_waitcnt lgkmcnt(0)
	global_store_dwordx2 v26, v[16:17], s[36:37] offset:512 sc1
.LBB2372_66:
	s_or_b64 exec, exec, s[0:1]
	v_cmp_eq_u32_e32 vcc, 0, v42
	v_mov_b32_e32 v26, 0
	s_waitcnt lgkmcnt(0)
	v_cndmask_b32_e32 v17, v25, v24, vcc
	v_cndmask_b32_e64 v31, v17, 0, s[20:21]
	v_add_u32_e32 v30, v31, v37
	v_add_u32_e32 v29, v30, v38
	;; [unrolled: 1-line block ×6, first 2 shown]
	s_barrier
.LBB2372_67:
	v_add_u32_e32 v1, v16, v1
	v_sub_u32_e32 v31, v31, v26
	v_and_b32_e32 v37, 1, v34
	v_sub_u32_e32 v36, v1, v31
	v_cmp_eq_u32_e32 vcc, 1, v37
	v_lshrrev_b32_e32 v17, 8, v34
	v_and_b32_e32 v17, 1, v17
	v_cndmask_b32_e32 v31, v36, v31, vcc
	v_lshlrev_b32_e32 v31, 3, v31
	ds_write_b64 v31, v[10:11]
	v_sub_u32_e32 v10, v30, v26
	v_sub_u32_e32 v11, v1, v10
	v_add_u32_e32 v11, 1, v11
	v_cmp_eq_u32_e32 vcc, 1, v17
	v_or_b32_e32 v31, 0x200, v0
	v_or_b32_e32 v30, 0x400, v0
	v_cndmask_b32_e32 v10, v11, v10, vcc
	v_lshlrev_b32_e32 v10, 3, v10
	ds_write_b64 v10, v[12:13]
	v_sub_u32_e32 v10, v29, v26
	v_mov_b32_e32 v12, 1
	v_sub_u32_e32 v11, v1, v10
	v_and_b32_sdwa v12, v12, v34 dst_sel:DWORD dst_unused:UNUSED_PAD src0_sel:DWORD src1_sel:WORD_1
	v_add_u32_e32 v11, 2, v11
	v_cmp_eq_u32_e32 vcc, 1, v12
	v_or_b32_e32 v29, 0x600, v0
	v_cmp_ge_u32_e64 s[0:1], v0, v16
	v_cndmask_b32_e32 v10, v11, v10, vcc
	v_lshlrev_b32_e32 v10, 3, v10
	ds_write_b64 v10, v[6:7]
	v_sub_u32_e32 v6, v28, v26
	v_sub_u32_e32 v7, v1, v6
	v_and_b32_e32 v10, 1, v35
	v_add_u32_e32 v7, 3, v7
	v_cmp_eq_u32_e32 vcc, 1, v10
	v_or_b32_e32 v28, 0x800, v0
	s_nop 0
	v_cndmask_b32_e32 v6, v7, v6, vcc
	v_lshlrev_b32_e32 v6, 3, v6
	ds_write_b64 v6, v[8:9]
	v_sub_u32_e32 v6, v27, v26
	v_sub_u32_e32 v7, v1, v6
	v_and_b32_e32 v8, 1, v33
	v_add_u32_e32 v7, 4, v7
	v_cmp_eq_u32_e32 vcc, 1, v8
	v_mov_b32_e32 v27, 0
	v_mov_b32_e32 v17, v27
	v_cndmask_b32_e32 v6, v7, v6, vcc
	v_lshlrev_b32_e32 v6, 3, v6
	ds_write_b64 v6, v[2:3]
	v_sub_u32_e32 v2, v25, v26
	v_sub_u32_e32 v3, v1, v2
	v_and_b32_e32 v6, 1, v32
	v_add_u32_e32 v3, 5, v3
	v_cmp_eq_u32_e32 vcc, 1, v6
	s_nop 1
	v_cndmask_b32_e32 v2, v3, v2, vcc
	v_lshlrev_b32_e32 v2, 3, v2
	ds_write_b64 v2, v[4:5]
	v_sub_u32_e32 v2, v24, v26
	v_sub_u32_e32 v1, v1, v2
	v_and_b32_e32 v3, 1, v19
	v_add_u32_e32 v1, 6, v1
	v_cmp_eq_u32_e32 vcc, 1, v3
	v_or_b32_e32 v19, 0xa00, v0
	s_nop 0
	v_cndmask_b32_e32 v1, v1, v2, vcc
	v_lshlrev_b32_e32 v1, 3, v1
	ds_write_b64 v1, v[14:15]
	s_waitcnt vmcnt(0)
	v_lshl_add_u64 v[14:15], v[20:21], 0, v[16:17]
	v_lshl_add_u64 v[14:15], v[14:15], 0, v[26:27]
	s_waitcnt lgkmcnt(0)
	s_barrier
	ds_read2st64_b64 v[10:13], v18 offset1:8
	ds_read2st64_b64 v[6:9], v18 offset0:16 offset1:24
	ds_read2st64_b64 v[2:5], v18 offset0:32 offset1:40
	ds_read_b64 v[24:25], v18 offset:24576
	v_mov_b32_e32 v17, s31
	v_sub_co_u32_e32 v20, vcc, s30, v14
	v_or_b32_e32 v1, 0xc00, v0
	s_nop 0
	v_subb_co_u32_e32 v21, vcc, v17, v15, vcc
	v_lshlrev_b64 v[20:21], 3, v[20:21]
	v_lshl_add_u64 v[20:21], s[34:35], 0, v[20:21]
	v_lshl_add_u64 v[20:21], v[20:21], 0, v[22:23]
	s_and_b64 vcc, exec, s[2:3]
	s_cbranch_vccnz .LBB2372_76
; %bb.68:
	s_and_saveexec_b64 s[2:3], s[0:1]
	s_cbranch_execnz .LBB2372_95
; %bb.69:
	s_or_b64 exec, exec, s[2:3]
	v_cmp_ge_u32_e32 vcc, v31, v16
	s_and_saveexec_b64 s[0:1], vcc
	s_cbranch_execnz .LBB2372_96
.LBB2372_70:
	s_or_b64 exec, exec, s[0:1]
	v_cmp_ge_u32_e32 vcc, v30, v16
	s_and_saveexec_b64 s[0:1], vcc
	s_cbranch_execnz .LBB2372_97
.LBB2372_71:
	s_or_b64 exec, exec, s[0:1]
	v_cmp_ge_u32_e32 vcc, v29, v16
	s_and_saveexec_b64 s[0:1], vcc
	s_cbranch_execnz .LBB2372_98
.LBB2372_72:
	s_or_b64 exec, exec, s[0:1]
	v_cmp_ge_u32_e32 vcc, v28, v16
	s_and_saveexec_b64 s[0:1], vcc
	s_cbranch_execnz .LBB2372_99
.LBB2372_73:
	s_or_b64 exec, exec, s[0:1]
	v_cmp_ge_u32_e32 vcc, v19, v16
	s_and_saveexec_b64 s[0:1], vcc
	s_cbranch_execz .LBB2372_75
.LBB2372_74:
	v_lshlrev_b32_e32 v17, 3, v19
	v_readfirstlane_b32 s2, v20
	v_readfirstlane_b32 s3, v21
	s_waitcnt lgkmcnt(1)
	s_nop 3
	global_store_dwordx2 v17, v[4:5], s[2:3]
.LBB2372_75:
	s_or_b64 exec, exec, s[0:1]
	v_cmp_ge_u32_e64 s[0:1], v1, v16
	s_branch .LBB2372_90
.LBB2372_76:
	s_mov_b64 s[0:1], 0
	s_cbranch_execz .LBB2372_90
; %bb.77:
	v_cmp_gt_u32_e32 vcc, s33, v0
	v_cmp_ge_u32_e64 s[0:1], v0, v16
	s_and_b64 s[2:3], vcc, s[0:1]
	s_and_saveexec_b64 s[0:1], s[2:3]
	s_cbranch_execz .LBB2372_79
; %bb.78:
	v_readfirstlane_b32 s2, v20
	v_readfirstlane_b32 s3, v21
	s_waitcnt lgkmcnt(3)
	s_nop 3
	global_store_dwordx2 v18, v[10:11], s[2:3]
.LBB2372_79:
	s_or_b64 exec, exec, s[0:1]
	v_cmp_gt_u32_e32 vcc, s33, v31
	v_cmp_ge_u32_e64 s[0:1], v31, v16
	s_and_b64 s[2:3], vcc, s[0:1]
	s_and_saveexec_b64 s[0:1], s[2:3]
	s_cbranch_execz .LBB2372_81
; %bb.80:
	v_lshlrev_b32_e32 v0, 3, v31
	v_readfirstlane_b32 s2, v20
	v_readfirstlane_b32 s3, v21
	s_waitcnt lgkmcnt(3)
	s_nop 3
	global_store_dwordx2 v0, v[12:13], s[2:3]
.LBB2372_81:
	s_or_b64 exec, exec, s[0:1]
	v_cmp_gt_u32_e32 vcc, s33, v30
	v_cmp_ge_u32_e64 s[0:1], v30, v16
	s_and_b64 s[2:3], vcc, s[0:1]
	s_and_saveexec_b64 s[0:1], s[2:3]
	s_cbranch_execz .LBB2372_83
; %bb.82:
	v_lshlrev_b32_e32 v0, 3, v30
	v_readfirstlane_b32 s2, v20
	v_readfirstlane_b32 s3, v21
	s_waitcnt lgkmcnt(2)
	s_nop 3
	global_store_dwordx2 v0, v[6:7], s[2:3]
.LBB2372_83:
	;; [unrolled: 14-line block ×5, first 2 shown]
	s_or_b64 exec, exec, s[0:1]
	v_cmp_gt_u32_e32 vcc, s33, v1
	v_cmp_ge_u32_e64 s[0:1], v1, v16
	s_and_b64 s[0:1], vcc, s[0:1]
.LBB2372_90:
	s_and_saveexec_b64 s[2:3], s[0:1]
	s_cbranch_execnz .LBB2372_93
; %bb.91:
	s_or_b64 exec, exec, s[2:3]
	s_and_b64 s[0:1], s[20:21], s[22:23]
	s_and_saveexec_b64 s[2:3], s[0:1]
	s_cbranch_execnz .LBB2372_94
.LBB2372_92:
	s_endpgm
.LBB2372_93:
	v_lshlrev_b32_e32 v0, 3, v1
	v_readfirstlane_b32 s0, v20
	v_readfirstlane_b32 s1, v21
	s_waitcnt lgkmcnt(0)
	s_nop 3
	global_store_dwordx2 v0, v[24:25], s[0:1]
	s_or_b64 exec, exec, s[2:3]
	s_and_b64 s[0:1], s[20:21], s[22:23]
	s_and_saveexec_b64 s[2:3], s[0:1]
	s_cbranch_execz .LBB2372_92
.LBB2372_94:
	v_mov_b32_e32 v0, 0
	global_store_dwordx2 v0, v[14:15], s[24:25]
	s_endpgm
.LBB2372_95:
	v_readfirstlane_b32 s0, v20
	v_readfirstlane_b32 s1, v21
	s_waitcnt lgkmcnt(3)
	s_nop 3
	global_store_dwordx2 v18, v[10:11], s[0:1]
	s_or_b64 exec, exec, s[2:3]
	v_cmp_ge_u32_e32 vcc, v31, v16
	s_and_saveexec_b64 s[0:1], vcc
	s_cbranch_execz .LBB2372_70
.LBB2372_96:
	v_lshlrev_b32_e32 v17, 3, v31
	v_readfirstlane_b32 s2, v20
	v_readfirstlane_b32 s3, v21
	s_waitcnt lgkmcnt(3)
	s_nop 3
	global_store_dwordx2 v17, v[12:13], s[2:3]
	s_or_b64 exec, exec, s[0:1]
	v_cmp_ge_u32_e32 vcc, v30, v16
	s_and_saveexec_b64 s[0:1], vcc
	s_cbranch_execz .LBB2372_71
.LBB2372_97:
	v_lshlrev_b32_e32 v17, 3, v30
	v_readfirstlane_b32 s2, v20
	v_readfirstlane_b32 s3, v21
	s_waitcnt lgkmcnt(2)
	s_nop 3
	global_store_dwordx2 v17, v[6:7], s[2:3]
	s_or_b64 exec, exec, s[0:1]
	v_cmp_ge_u32_e32 vcc, v29, v16
	s_and_saveexec_b64 s[0:1], vcc
	s_cbranch_execz .LBB2372_72
.LBB2372_98:
	v_lshlrev_b32_e32 v17, 3, v29
	v_readfirstlane_b32 s2, v20
	v_readfirstlane_b32 s3, v21
	s_waitcnt lgkmcnt(2)
	s_nop 3
	global_store_dwordx2 v17, v[8:9], s[2:3]
	s_or_b64 exec, exec, s[0:1]
	v_cmp_ge_u32_e32 vcc, v28, v16
	s_and_saveexec_b64 s[0:1], vcc
	s_cbranch_execz .LBB2372_73
.LBB2372_99:
	v_lshlrev_b32_e32 v17, 3, v28
	v_readfirstlane_b32 s2, v20
	v_readfirstlane_b32 s3, v21
	s_waitcnt lgkmcnt(1)
	s_nop 3
	global_store_dwordx2 v17, v[2:3], s[2:3]
	s_or_b64 exec, exec, s[0:1]
	v_cmp_ge_u32_e32 vcc, v19, v16
	s_and_saveexec_b64 s[0:1], vcc
	s_cbranch_execnz .LBB2372_74
	s_branch .LBB2372_75
	.section	.rodata,"a",@progbits
	.p2align	6, 0x0
	.amdhsa_kernel _ZN7rocprim17ROCPRIM_400000_NS6detail17trampoline_kernelINS0_14default_configENS1_25partition_config_selectorILNS1_17partition_subalgoE0EyNS0_10empty_typeEbEEZZNS1_14partition_implILS5_0ELb0ES3_jN6thrust23THRUST_200600_302600_NS6detail15normal_iteratorINSA_10device_ptrIyEEEEPS6_SG_NS0_5tupleIJNSA_16discard_iteratorINSA_11use_defaultEEESF_EEENSH_IJSG_SG_EEES6_PlJ7is_evenIyEEEE10hipError_tPvRmT3_T4_T5_T6_T7_T9_mT8_P12ihipStream_tbDpT10_ENKUlT_T0_E_clISt17integral_constantIbLb1EES19_EEDaS14_S15_EUlS14_E_NS1_11comp_targetILNS1_3genE5ELNS1_11target_archE942ELNS1_3gpuE9ELNS1_3repE0EEENS1_30default_config_static_selectorELNS0_4arch9wavefront6targetE1EEEvT1_
		.amdhsa_group_segment_fixed_size 28680
		.amdhsa_private_segment_fixed_size 0
		.amdhsa_kernarg_size 144
		.amdhsa_user_sgpr_count 2
		.amdhsa_user_sgpr_dispatch_ptr 0
		.amdhsa_user_sgpr_queue_ptr 0
		.amdhsa_user_sgpr_kernarg_segment_ptr 1
		.amdhsa_user_sgpr_dispatch_id 0
		.amdhsa_user_sgpr_kernarg_preload_length 0
		.amdhsa_user_sgpr_kernarg_preload_offset 0
		.amdhsa_user_sgpr_private_segment_size 0
		.amdhsa_uses_dynamic_stack 0
		.amdhsa_enable_private_segment 0
		.amdhsa_system_sgpr_workgroup_id_x 1
		.amdhsa_system_sgpr_workgroup_id_y 0
		.amdhsa_system_sgpr_workgroup_id_z 0
		.amdhsa_system_sgpr_workgroup_info 0
		.amdhsa_system_vgpr_workitem_id 0
		.amdhsa_next_free_vgpr 61
		.amdhsa_next_free_sgpr 42
		.amdhsa_accum_offset 64
		.amdhsa_reserve_vcc 1
		.amdhsa_float_round_mode_32 0
		.amdhsa_float_round_mode_16_64 0
		.amdhsa_float_denorm_mode_32 3
		.amdhsa_float_denorm_mode_16_64 3
		.amdhsa_dx10_clamp 1
		.amdhsa_ieee_mode 1
		.amdhsa_fp16_overflow 0
		.amdhsa_tg_split 0
		.amdhsa_exception_fp_ieee_invalid_op 0
		.amdhsa_exception_fp_denorm_src 0
		.amdhsa_exception_fp_ieee_div_zero 0
		.amdhsa_exception_fp_ieee_overflow 0
		.amdhsa_exception_fp_ieee_underflow 0
		.amdhsa_exception_fp_ieee_inexact 0
		.amdhsa_exception_int_div_zero 0
	.end_amdhsa_kernel
	.section	.text._ZN7rocprim17ROCPRIM_400000_NS6detail17trampoline_kernelINS0_14default_configENS1_25partition_config_selectorILNS1_17partition_subalgoE0EyNS0_10empty_typeEbEEZZNS1_14partition_implILS5_0ELb0ES3_jN6thrust23THRUST_200600_302600_NS6detail15normal_iteratorINSA_10device_ptrIyEEEEPS6_SG_NS0_5tupleIJNSA_16discard_iteratorINSA_11use_defaultEEESF_EEENSH_IJSG_SG_EEES6_PlJ7is_evenIyEEEE10hipError_tPvRmT3_T4_T5_T6_T7_T9_mT8_P12ihipStream_tbDpT10_ENKUlT_T0_E_clISt17integral_constantIbLb1EES19_EEDaS14_S15_EUlS14_E_NS1_11comp_targetILNS1_3genE5ELNS1_11target_archE942ELNS1_3gpuE9ELNS1_3repE0EEENS1_30default_config_static_selectorELNS0_4arch9wavefront6targetE1EEEvT1_,"axG",@progbits,_ZN7rocprim17ROCPRIM_400000_NS6detail17trampoline_kernelINS0_14default_configENS1_25partition_config_selectorILNS1_17partition_subalgoE0EyNS0_10empty_typeEbEEZZNS1_14partition_implILS5_0ELb0ES3_jN6thrust23THRUST_200600_302600_NS6detail15normal_iteratorINSA_10device_ptrIyEEEEPS6_SG_NS0_5tupleIJNSA_16discard_iteratorINSA_11use_defaultEEESF_EEENSH_IJSG_SG_EEES6_PlJ7is_evenIyEEEE10hipError_tPvRmT3_T4_T5_T6_T7_T9_mT8_P12ihipStream_tbDpT10_ENKUlT_T0_E_clISt17integral_constantIbLb1EES19_EEDaS14_S15_EUlS14_E_NS1_11comp_targetILNS1_3genE5ELNS1_11target_archE942ELNS1_3gpuE9ELNS1_3repE0EEENS1_30default_config_static_selectorELNS0_4arch9wavefront6targetE1EEEvT1_,comdat
.Lfunc_end2372:
	.size	_ZN7rocprim17ROCPRIM_400000_NS6detail17trampoline_kernelINS0_14default_configENS1_25partition_config_selectorILNS1_17partition_subalgoE0EyNS0_10empty_typeEbEEZZNS1_14partition_implILS5_0ELb0ES3_jN6thrust23THRUST_200600_302600_NS6detail15normal_iteratorINSA_10device_ptrIyEEEEPS6_SG_NS0_5tupleIJNSA_16discard_iteratorINSA_11use_defaultEEESF_EEENSH_IJSG_SG_EEES6_PlJ7is_evenIyEEEE10hipError_tPvRmT3_T4_T5_T6_T7_T9_mT8_P12ihipStream_tbDpT10_ENKUlT_T0_E_clISt17integral_constantIbLb1EES19_EEDaS14_S15_EUlS14_E_NS1_11comp_targetILNS1_3genE5ELNS1_11target_archE942ELNS1_3gpuE9ELNS1_3repE0EEENS1_30default_config_static_selectorELNS0_4arch9wavefront6targetE1EEEvT1_, .Lfunc_end2372-_ZN7rocprim17ROCPRIM_400000_NS6detail17trampoline_kernelINS0_14default_configENS1_25partition_config_selectorILNS1_17partition_subalgoE0EyNS0_10empty_typeEbEEZZNS1_14partition_implILS5_0ELb0ES3_jN6thrust23THRUST_200600_302600_NS6detail15normal_iteratorINSA_10device_ptrIyEEEEPS6_SG_NS0_5tupleIJNSA_16discard_iteratorINSA_11use_defaultEEESF_EEENSH_IJSG_SG_EEES6_PlJ7is_evenIyEEEE10hipError_tPvRmT3_T4_T5_T6_T7_T9_mT8_P12ihipStream_tbDpT10_ENKUlT_T0_E_clISt17integral_constantIbLb1EES19_EEDaS14_S15_EUlS14_E_NS1_11comp_targetILNS1_3genE5ELNS1_11target_archE942ELNS1_3gpuE9ELNS1_3repE0EEENS1_30default_config_static_selectorELNS0_4arch9wavefront6targetE1EEEvT1_
                                        ; -- End function
	.section	.AMDGPU.csdata,"",@progbits
; Kernel info:
; codeLenInByte = 4712
; NumSgprs: 48
; NumVgprs: 61
; NumAgprs: 0
; TotalNumVgprs: 61
; ScratchSize: 0
; MemoryBound: 0
; FloatMode: 240
; IeeeMode: 1
; LDSByteSize: 28680 bytes/workgroup (compile time only)
; SGPRBlocks: 5
; VGPRBlocks: 7
; NumSGPRsForWavesPerEU: 48
; NumVGPRsForWavesPerEU: 61
; AccumOffset: 64
; Occupancy: 4
; WaveLimiterHint : 1
; COMPUTE_PGM_RSRC2:SCRATCH_EN: 0
; COMPUTE_PGM_RSRC2:USER_SGPR: 2
; COMPUTE_PGM_RSRC2:TRAP_HANDLER: 0
; COMPUTE_PGM_RSRC2:TGID_X_EN: 1
; COMPUTE_PGM_RSRC2:TGID_Y_EN: 0
; COMPUTE_PGM_RSRC2:TGID_Z_EN: 0
; COMPUTE_PGM_RSRC2:TIDIG_COMP_CNT: 0
; COMPUTE_PGM_RSRC3_GFX90A:ACCUM_OFFSET: 15
; COMPUTE_PGM_RSRC3_GFX90A:TG_SPLIT: 0
	.section	.text._ZN7rocprim17ROCPRIM_400000_NS6detail17trampoline_kernelINS0_14default_configENS1_25partition_config_selectorILNS1_17partition_subalgoE0EyNS0_10empty_typeEbEEZZNS1_14partition_implILS5_0ELb0ES3_jN6thrust23THRUST_200600_302600_NS6detail15normal_iteratorINSA_10device_ptrIyEEEEPS6_SG_NS0_5tupleIJNSA_16discard_iteratorINSA_11use_defaultEEESF_EEENSH_IJSG_SG_EEES6_PlJ7is_evenIyEEEE10hipError_tPvRmT3_T4_T5_T6_T7_T9_mT8_P12ihipStream_tbDpT10_ENKUlT_T0_E_clISt17integral_constantIbLb1EES19_EEDaS14_S15_EUlS14_E_NS1_11comp_targetILNS1_3genE4ELNS1_11target_archE910ELNS1_3gpuE8ELNS1_3repE0EEENS1_30default_config_static_selectorELNS0_4arch9wavefront6targetE1EEEvT1_,"axG",@progbits,_ZN7rocprim17ROCPRIM_400000_NS6detail17trampoline_kernelINS0_14default_configENS1_25partition_config_selectorILNS1_17partition_subalgoE0EyNS0_10empty_typeEbEEZZNS1_14partition_implILS5_0ELb0ES3_jN6thrust23THRUST_200600_302600_NS6detail15normal_iteratorINSA_10device_ptrIyEEEEPS6_SG_NS0_5tupleIJNSA_16discard_iteratorINSA_11use_defaultEEESF_EEENSH_IJSG_SG_EEES6_PlJ7is_evenIyEEEE10hipError_tPvRmT3_T4_T5_T6_T7_T9_mT8_P12ihipStream_tbDpT10_ENKUlT_T0_E_clISt17integral_constantIbLb1EES19_EEDaS14_S15_EUlS14_E_NS1_11comp_targetILNS1_3genE4ELNS1_11target_archE910ELNS1_3gpuE8ELNS1_3repE0EEENS1_30default_config_static_selectorELNS0_4arch9wavefront6targetE1EEEvT1_,comdat
	.protected	_ZN7rocprim17ROCPRIM_400000_NS6detail17trampoline_kernelINS0_14default_configENS1_25partition_config_selectorILNS1_17partition_subalgoE0EyNS0_10empty_typeEbEEZZNS1_14partition_implILS5_0ELb0ES3_jN6thrust23THRUST_200600_302600_NS6detail15normal_iteratorINSA_10device_ptrIyEEEEPS6_SG_NS0_5tupleIJNSA_16discard_iteratorINSA_11use_defaultEEESF_EEENSH_IJSG_SG_EEES6_PlJ7is_evenIyEEEE10hipError_tPvRmT3_T4_T5_T6_T7_T9_mT8_P12ihipStream_tbDpT10_ENKUlT_T0_E_clISt17integral_constantIbLb1EES19_EEDaS14_S15_EUlS14_E_NS1_11comp_targetILNS1_3genE4ELNS1_11target_archE910ELNS1_3gpuE8ELNS1_3repE0EEENS1_30default_config_static_selectorELNS0_4arch9wavefront6targetE1EEEvT1_ ; -- Begin function _ZN7rocprim17ROCPRIM_400000_NS6detail17trampoline_kernelINS0_14default_configENS1_25partition_config_selectorILNS1_17partition_subalgoE0EyNS0_10empty_typeEbEEZZNS1_14partition_implILS5_0ELb0ES3_jN6thrust23THRUST_200600_302600_NS6detail15normal_iteratorINSA_10device_ptrIyEEEEPS6_SG_NS0_5tupleIJNSA_16discard_iteratorINSA_11use_defaultEEESF_EEENSH_IJSG_SG_EEES6_PlJ7is_evenIyEEEE10hipError_tPvRmT3_T4_T5_T6_T7_T9_mT8_P12ihipStream_tbDpT10_ENKUlT_T0_E_clISt17integral_constantIbLb1EES19_EEDaS14_S15_EUlS14_E_NS1_11comp_targetILNS1_3genE4ELNS1_11target_archE910ELNS1_3gpuE8ELNS1_3repE0EEENS1_30default_config_static_selectorELNS0_4arch9wavefront6targetE1EEEvT1_
	.globl	_ZN7rocprim17ROCPRIM_400000_NS6detail17trampoline_kernelINS0_14default_configENS1_25partition_config_selectorILNS1_17partition_subalgoE0EyNS0_10empty_typeEbEEZZNS1_14partition_implILS5_0ELb0ES3_jN6thrust23THRUST_200600_302600_NS6detail15normal_iteratorINSA_10device_ptrIyEEEEPS6_SG_NS0_5tupleIJNSA_16discard_iteratorINSA_11use_defaultEEESF_EEENSH_IJSG_SG_EEES6_PlJ7is_evenIyEEEE10hipError_tPvRmT3_T4_T5_T6_T7_T9_mT8_P12ihipStream_tbDpT10_ENKUlT_T0_E_clISt17integral_constantIbLb1EES19_EEDaS14_S15_EUlS14_E_NS1_11comp_targetILNS1_3genE4ELNS1_11target_archE910ELNS1_3gpuE8ELNS1_3repE0EEENS1_30default_config_static_selectorELNS0_4arch9wavefront6targetE1EEEvT1_
	.p2align	8
	.type	_ZN7rocprim17ROCPRIM_400000_NS6detail17trampoline_kernelINS0_14default_configENS1_25partition_config_selectorILNS1_17partition_subalgoE0EyNS0_10empty_typeEbEEZZNS1_14partition_implILS5_0ELb0ES3_jN6thrust23THRUST_200600_302600_NS6detail15normal_iteratorINSA_10device_ptrIyEEEEPS6_SG_NS0_5tupleIJNSA_16discard_iteratorINSA_11use_defaultEEESF_EEENSH_IJSG_SG_EEES6_PlJ7is_evenIyEEEE10hipError_tPvRmT3_T4_T5_T6_T7_T9_mT8_P12ihipStream_tbDpT10_ENKUlT_T0_E_clISt17integral_constantIbLb1EES19_EEDaS14_S15_EUlS14_E_NS1_11comp_targetILNS1_3genE4ELNS1_11target_archE910ELNS1_3gpuE8ELNS1_3repE0EEENS1_30default_config_static_selectorELNS0_4arch9wavefront6targetE1EEEvT1_,@function
_ZN7rocprim17ROCPRIM_400000_NS6detail17trampoline_kernelINS0_14default_configENS1_25partition_config_selectorILNS1_17partition_subalgoE0EyNS0_10empty_typeEbEEZZNS1_14partition_implILS5_0ELb0ES3_jN6thrust23THRUST_200600_302600_NS6detail15normal_iteratorINSA_10device_ptrIyEEEEPS6_SG_NS0_5tupleIJNSA_16discard_iteratorINSA_11use_defaultEEESF_EEENSH_IJSG_SG_EEES6_PlJ7is_evenIyEEEE10hipError_tPvRmT3_T4_T5_T6_T7_T9_mT8_P12ihipStream_tbDpT10_ENKUlT_T0_E_clISt17integral_constantIbLb1EES19_EEDaS14_S15_EUlS14_E_NS1_11comp_targetILNS1_3genE4ELNS1_11target_archE910ELNS1_3gpuE8ELNS1_3repE0EEENS1_30default_config_static_selectorELNS0_4arch9wavefront6targetE1EEEvT1_: ; @_ZN7rocprim17ROCPRIM_400000_NS6detail17trampoline_kernelINS0_14default_configENS1_25partition_config_selectorILNS1_17partition_subalgoE0EyNS0_10empty_typeEbEEZZNS1_14partition_implILS5_0ELb0ES3_jN6thrust23THRUST_200600_302600_NS6detail15normal_iteratorINSA_10device_ptrIyEEEEPS6_SG_NS0_5tupleIJNSA_16discard_iteratorINSA_11use_defaultEEESF_EEENSH_IJSG_SG_EEES6_PlJ7is_evenIyEEEE10hipError_tPvRmT3_T4_T5_T6_T7_T9_mT8_P12ihipStream_tbDpT10_ENKUlT_T0_E_clISt17integral_constantIbLb1EES19_EEDaS14_S15_EUlS14_E_NS1_11comp_targetILNS1_3genE4ELNS1_11target_archE910ELNS1_3gpuE8ELNS1_3repE0EEENS1_30default_config_static_selectorELNS0_4arch9wavefront6targetE1EEEvT1_
; %bb.0:
	.section	.rodata,"a",@progbits
	.p2align	6, 0x0
	.amdhsa_kernel _ZN7rocprim17ROCPRIM_400000_NS6detail17trampoline_kernelINS0_14default_configENS1_25partition_config_selectorILNS1_17partition_subalgoE0EyNS0_10empty_typeEbEEZZNS1_14partition_implILS5_0ELb0ES3_jN6thrust23THRUST_200600_302600_NS6detail15normal_iteratorINSA_10device_ptrIyEEEEPS6_SG_NS0_5tupleIJNSA_16discard_iteratorINSA_11use_defaultEEESF_EEENSH_IJSG_SG_EEES6_PlJ7is_evenIyEEEE10hipError_tPvRmT3_T4_T5_T6_T7_T9_mT8_P12ihipStream_tbDpT10_ENKUlT_T0_E_clISt17integral_constantIbLb1EES19_EEDaS14_S15_EUlS14_E_NS1_11comp_targetILNS1_3genE4ELNS1_11target_archE910ELNS1_3gpuE8ELNS1_3repE0EEENS1_30default_config_static_selectorELNS0_4arch9wavefront6targetE1EEEvT1_
		.amdhsa_group_segment_fixed_size 0
		.amdhsa_private_segment_fixed_size 0
		.amdhsa_kernarg_size 144
		.amdhsa_user_sgpr_count 2
		.amdhsa_user_sgpr_dispatch_ptr 0
		.amdhsa_user_sgpr_queue_ptr 0
		.amdhsa_user_sgpr_kernarg_segment_ptr 1
		.amdhsa_user_sgpr_dispatch_id 0
		.amdhsa_user_sgpr_kernarg_preload_length 0
		.amdhsa_user_sgpr_kernarg_preload_offset 0
		.amdhsa_user_sgpr_private_segment_size 0
		.amdhsa_uses_dynamic_stack 0
		.amdhsa_enable_private_segment 0
		.amdhsa_system_sgpr_workgroup_id_x 1
		.amdhsa_system_sgpr_workgroup_id_y 0
		.amdhsa_system_sgpr_workgroup_id_z 0
		.amdhsa_system_sgpr_workgroup_info 0
		.amdhsa_system_vgpr_workitem_id 0
		.amdhsa_next_free_vgpr 1
		.amdhsa_next_free_sgpr 0
		.amdhsa_accum_offset 4
		.amdhsa_reserve_vcc 0
		.amdhsa_float_round_mode_32 0
		.amdhsa_float_round_mode_16_64 0
		.amdhsa_float_denorm_mode_32 3
		.amdhsa_float_denorm_mode_16_64 3
		.amdhsa_dx10_clamp 1
		.amdhsa_ieee_mode 1
		.amdhsa_fp16_overflow 0
		.amdhsa_tg_split 0
		.amdhsa_exception_fp_ieee_invalid_op 0
		.amdhsa_exception_fp_denorm_src 0
		.amdhsa_exception_fp_ieee_div_zero 0
		.amdhsa_exception_fp_ieee_overflow 0
		.amdhsa_exception_fp_ieee_underflow 0
		.amdhsa_exception_fp_ieee_inexact 0
		.amdhsa_exception_int_div_zero 0
	.end_amdhsa_kernel
	.section	.text._ZN7rocprim17ROCPRIM_400000_NS6detail17trampoline_kernelINS0_14default_configENS1_25partition_config_selectorILNS1_17partition_subalgoE0EyNS0_10empty_typeEbEEZZNS1_14partition_implILS5_0ELb0ES3_jN6thrust23THRUST_200600_302600_NS6detail15normal_iteratorINSA_10device_ptrIyEEEEPS6_SG_NS0_5tupleIJNSA_16discard_iteratorINSA_11use_defaultEEESF_EEENSH_IJSG_SG_EEES6_PlJ7is_evenIyEEEE10hipError_tPvRmT3_T4_T5_T6_T7_T9_mT8_P12ihipStream_tbDpT10_ENKUlT_T0_E_clISt17integral_constantIbLb1EES19_EEDaS14_S15_EUlS14_E_NS1_11comp_targetILNS1_3genE4ELNS1_11target_archE910ELNS1_3gpuE8ELNS1_3repE0EEENS1_30default_config_static_selectorELNS0_4arch9wavefront6targetE1EEEvT1_,"axG",@progbits,_ZN7rocprim17ROCPRIM_400000_NS6detail17trampoline_kernelINS0_14default_configENS1_25partition_config_selectorILNS1_17partition_subalgoE0EyNS0_10empty_typeEbEEZZNS1_14partition_implILS5_0ELb0ES3_jN6thrust23THRUST_200600_302600_NS6detail15normal_iteratorINSA_10device_ptrIyEEEEPS6_SG_NS0_5tupleIJNSA_16discard_iteratorINSA_11use_defaultEEESF_EEENSH_IJSG_SG_EEES6_PlJ7is_evenIyEEEE10hipError_tPvRmT3_T4_T5_T6_T7_T9_mT8_P12ihipStream_tbDpT10_ENKUlT_T0_E_clISt17integral_constantIbLb1EES19_EEDaS14_S15_EUlS14_E_NS1_11comp_targetILNS1_3genE4ELNS1_11target_archE910ELNS1_3gpuE8ELNS1_3repE0EEENS1_30default_config_static_selectorELNS0_4arch9wavefront6targetE1EEEvT1_,comdat
.Lfunc_end2373:
	.size	_ZN7rocprim17ROCPRIM_400000_NS6detail17trampoline_kernelINS0_14default_configENS1_25partition_config_selectorILNS1_17partition_subalgoE0EyNS0_10empty_typeEbEEZZNS1_14partition_implILS5_0ELb0ES3_jN6thrust23THRUST_200600_302600_NS6detail15normal_iteratorINSA_10device_ptrIyEEEEPS6_SG_NS0_5tupleIJNSA_16discard_iteratorINSA_11use_defaultEEESF_EEENSH_IJSG_SG_EEES6_PlJ7is_evenIyEEEE10hipError_tPvRmT3_T4_T5_T6_T7_T9_mT8_P12ihipStream_tbDpT10_ENKUlT_T0_E_clISt17integral_constantIbLb1EES19_EEDaS14_S15_EUlS14_E_NS1_11comp_targetILNS1_3genE4ELNS1_11target_archE910ELNS1_3gpuE8ELNS1_3repE0EEENS1_30default_config_static_selectorELNS0_4arch9wavefront6targetE1EEEvT1_, .Lfunc_end2373-_ZN7rocprim17ROCPRIM_400000_NS6detail17trampoline_kernelINS0_14default_configENS1_25partition_config_selectorILNS1_17partition_subalgoE0EyNS0_10empty_typeEbEEZZNS1_14partition_implILS5_0ELb0ES3_jN6thrust23THRUST_200600_302600_NS6detail15normal_iteratorINSA_10device_ptrIyEEEEPS6_SG_NS0_5tupleIJNSA_16discard_iteratorINSA_11use_defaultEEESF_EEENSH_IJSG_SG_EEES6_PlJ7is_evenIyEEEE10hipError_tPvRmT3_T4_T5_T6_T7_T9_mT8_P12ihipStream_tbDpT10_ENKUlT_T0_E_clISt17integral_constantIbLb1EES19_EEDaS14_S15_EUlS14_E_NS1_11comp_targetILNS1_3genE4ELNS1_11target_archE910ELNS1_3gpuE8ELNS1_3repE0EEENS1_30default_config_static_selectorELNS0_4arch9wavefront6targetE1EEEvT1_
                                        ; -- End function
	.section	.AMDGPU.csdata,"",@progbits
; Kernel info:
; codeLenInByte = 0
; NumSgprs: 6
; NumVgprs: 0
; NumAgprs: 0
; TotalNumVgprs: 0
; ScratchSize: 0
; MemoryBound: 0
; FloatMode: 240
; IeeeMode: 1
; LDSByteSize: 0 bytes/workgroup (compile time only)
; SGPRBlocks: 0
; VGPRBlocks: 0
; NumSGPRsForWavesPerEU: 6
; NumVGPRsForWavesPerEU: 1
; AccumOffset: 4
; Occupancy: 8
; WaveLimiterHint : 0
; COMPUTE_PGM_RSRC2:SCRATCH_EN: 0
; COMPUTE_PGM_RSRC2:USER_SGPR: 2
; COMPUTE_PGM_RSRC2:TRAP_HANDLER: 0
; COMPUTE_PGM_RSRC2:TGID_X_EN: 1
; COMPUTE_PGM_RSRC2:TGID_Y_EN: 0
; COMPUTE_PGM_RSRC2:TGID_Z_EN: 0
; COMPUTE_PGM_RSRC2:TIDIG_COMP_CNT: 0
; COMPUTE_PGM_RSRC3_GFX90A:ACCUM_OFFSET: 0
; COMPUTE_PGM_RSRC3_GFX90A:TG_SPLIT: 0
	.section	.text._ZN7rocprim17ROCPRIM_400000_NS6detail17trampoline_kernelINS0_14default_configENS1_25partition_config_selectorILNS1_17partition_subalgoE0EyNS0_10empty_typeEbEEZZNS1_14partition_implILS5_0ELb0ES3_jN6thrust23THRUST_200600_302600_NS6detail15normal_iteratorINSA_10device_ptrIyEEEEPS6_SG_NS0_5tupleIJNSA_16discard_iteratorINSA_11use_defaultEEESF_EEENSH_IJSG_SG_EEES6_PlJ7is_evenIyEEEE10hipError_tPvRmT3_T4_T5_T6_T7_T9_mT8_P12ihipStream_tbDpT10_ENKUlT_T0_E_clISt17integral_constantIbLb1EES19_EEDaS14_S15_EUlS14_E_NS1_11comp_targetILNS1_3genE3ELNS1_11target_archE908ELNS1_3gpuE7ELNS1_3repE0EEENS1_30default_config_static_selectorELNS0_4arch9wavefront6targetE1EEEvT1_,"axG",@progbits,_ZN7rocprim17ROCPRIM_400000_NS6detail17trampoline_kernelINS0_14default_configENS1_25partition_config_selectorILNS1_17partition_subalgoE0EyNS0_10empty_typeEbEEZZNS1_14partition_implILS5_0ELb0ES3_jN6thrust23THRUST_200600_302600_NS6detail15normal_iteratorINSA_10device_ptrIyEEEEPS6_SG_NS0_5tupleIJNSA_16discard_iteratorINSA_11use_defaultEEESF_EEENSH_IJSG_SG_EEES6_PlJ7is_evenIyEEEE10hipError_tPvRmT3_T4_T5_T6_T7_T9_mT8_P12ihipStream_tbDpT10_ENKUlT_T0_E_clISt17integral_constantIbLb1EES19_EEDaS14_S15_EUlS14_E_NS1_11comp_targetILNS1_3genE3ELNS1_11target_archE908ELNS1_3gpuE7ELNS1_3repE0EEENS1_30default_config_static_selectorELNS0_4arch9wavefront6targetE1EEEvT1_,comdat
	.protected	_ZN7rocprim17ROCPRIM_400000_NS6detail17trampoline_kernelINS0_14default_configENS1_25partition_config_selectorILNS1_17partition_subalgoE0EyNS0_10empty_typeEbEEZZNS1_14partition_implILS5_0ELb0ES3_jN6thrust23THRUST_200600_302600_NS6detail15normal_iteratorINSA_10device_ptrIyEEEEPS6_SG_NS0_5tupleIJNSA_16discard_iteratorINSA_11use_defaultEEESF_EEENSH_IJSG_SG_EEES6_PlJ7is_evenIyEEEE10hipError_tPvRmT3_T4_T5_T6_T7_T9_mT8_P12ihipStream_tbDpT10_ENKUlT_T0_E_clISt17integral_constantIbLb1EES19_EEDaS14_S15_EUlS14_E_NS1_11comp_targetILNS1_3genE3ELNS1_11target_archE908ELNS1_3gpuE7ELNS1_3repE0EEENS1_30default_config_static_selectorELNS0_4arch9wavefront6targetE1EEEvT1_ ; -- Begin function _ZN7rocprim17ROCPRIM_400000_NS6detail17trampoline_kernelINS0_14default_configENS1_25partition_config_selectorILNS1_17partition_subalgoE0EyNS0_10empty_typeEbEEZZNS1_14partition_implILS5_0ELb0ES3_jN6thrust23THRUST_200600_302600_NS6detail15normal_iteratorINSA_10device_ptrIyEEEEPS6_SG_NS0_5tupleIJNSA_16discard_iteratorINSA_11use_defaultEEESF_EEENSH_IJSG_SG_EEES6_PlJ7is_evenIyEEEE10hipError_tPvRmT3_T4_T5_T6_T7_T9_mT8_P12ihipStream_tbDpT10_ENKUlT_T0_E_clISt17integral_constantIbLb1EES19_EEDaS14_S15_EUlS14_E_NS1_11comp_targetILNS1_3genE3ELNS1_11target_archE908ELNS1_3gpuE7ELNS1_3repE0EEENS1_30default_config_static_selectorELNS0_4arch9wavefront6targetE1EEEvT1_
	.globl	_ZN7rocprim17ROCPRIM_400000_NS6detail17trampoline_kernelINS0_14default_configENS1_25partition_config_selectorILNS1_17partition_subalgoE0EyNS0_10empty_typeEbEEZZNS1_14partition_implILS5_0ELb0ES3_jN6thrust23THRUST_200600_302600_NS6detail15normal_iteratorINSA_10device_ptrIyEEEEPS6_SG_NS0_5tupleIJNSA_16discard_iteratorINSA_11use_defaultEEESF_EEENSH_IJSG_SG_EEES6_PlJ7is_evenIyEEEE10hipError_tPvRmT3_T4_T5_T6_T7_T9_mT8_P12ihipStream_tbDpT10_ENKUlT_T0_E_clISt17integral_constantIbLb1EES19_EEDaS14_S15_EUlS14_E_NS1_11comp_targetILNS1_3genE3ELNS1_11target_archE908ELNS1_3gpuE7ELNS1_3repE0EEENS1_30default_config_static_selectorELNS0_4arch9wavefront6targetE1EEEvT1_
	.p2align	8
	.type	_ZN7rocprim17ROCPRIM_400000_NS6detail17trampoline_kernelINS0_14default_configENS1_25partition_config_selectorILNS1_17partition_subalgoE0EyNS0_10empty_typeEbEEZZNS1_14partition_implILS5_0ELb0ES3_jN6thrust23THRUST_200600_302600_NS6detail15normal_iteratorINSA_10device_ptrIyEEEEPS6_SG_NS0_5tupleIJNSA_16discard_iteratorINSA_11use_defaultEEESF_EEENSH_IJSG_SG_EEES6_PlJ7is_evenIyEEEE10hipError_tPvRmT3_T4_T5_T6_T7_T9_mT8_P12ihipStream_tbDpT10_ENKUlT_T0_E_clISt17integral_constantIbLb1EES19_EEDaS14_S15_EUlS14_E_NS1_11comp_targetILNS1_3genE3ELNS1_11target_archE908ELNS1_3gpuE7ELNS1_3repE0EEENS1_30default_config_static_selectorELNS0_4arch9wavefront6targetE1EEEvT1_,@function
_ZN7rocprim17ROCPRIM_400000_NS6detail17trampoline_kernelINS0_14default_configENS1_25partition_config_selectorILNS1_17partition_subalgoE0EyNS0_10empty_typeEbEEZZNS1_14partition_implILS5_0ELb0ES3_jN6thrust23THRUST_200600_302600_NS6detail15normal_iteratorINSA_10device_ptrIyEEEEPS6_SG_NS0_5tupleIJNSA_16discard_iteratorINSA_11use_defaultEEESF_EEENSH_IJSG_SG_EEES6_PlJ7is_evenIyEEEE10hipError_tPvRmT3_T4_T5_T6_T7_T9_mT8_P12ihipStream_tbDpT10_ENKUlT_T0_E_clISt17integral_constantIbLb1EES19_EEDaS14_S15_EUlS14_E_NS1_11comp_targetILNS1_3genE3ELNS1_11target_archE908ELNS1_3gpuE7ELNS1_3repE0EEENS1_30default_config_static_selectorELNS0_4arch9wavefront6targetE1EEEvT1_: ; @_ZN7rocprim17ROCPRIM_400000_NS6detail17trampoline_kernelINS0_14default_configENS1_25partition_config_selectorILNS1_17partition_subalgoE0EyNS0_10empty_typeEbEEZZNS1_14partition_implILS5_0ELb0ES3_jN6thrust23THRUST_200600_302600_NS6detail15normal_iteratorINSA_10device_ptrIyEEEEPS6_SG_NS0_5tupleIJNSA_16discard_iteratorINSA_11use_defaultEEESF_EEENSH_IJSG_SG_EEES6_PlJ7is_evenIyEEEE10hipError_tPvRmT3_T4_T5_T6_T7_T9_mT8_P12ihipStream_tbDpT10_ENKUlT_T0_E_clISt17integral_constantIbLb1EES19_EEDaS14_S15_EUlS14_E_NS1_11comp_targetILNS1_3genE3ELNS1_11target_archE908ELNS1_3gpuE7ELNS1_3repE0EEENS1_30default_config_static_selectorELNS0_4arch9wavefront6targetE1EEEvT1_
; %bb.0:
	.section	.rodata,"a",@progbits
	.p2align	6, 0x0
	.amdhsa_kernel _ZN7rocprim17ROCPRIM_400000_NS6detail17trampoline_kernelINS0_14default_configENS1_25partition_config_selectorILNS1_17partition_subalgoE0EyNS0_10empty_typeEbEEZZNS1_14partition_implILS5_0ELb0ES3_jN6thrust23THRUST_200600_302600_NS6detail15normal_iteratorINSA_10device_ptrIyEEEEPS6_SG_NS0_5tupleIJNSA_16discard_iteratorINSA_11use_defaultEEESF_EEENSH_IJSG_SG_EEES6_PlJ7is_evenIyEEEE10hipError_tPvRmT3_T4_T5_T6_T7_T9_mT8_P12ihipStream_tbDpT10_ENKUlT_T0_E_clISt17integral_constantIbLb1EES19_EEDaS14_S15_EUlS14_E_NS1_11comp_targetILNS1_3genE3ELNS1_11target_archE908ELNS1_3gpuE7ELNS1_3repE0EEENS1_30default_config_static_selectorELNS0_4arch9wavefront6targetE1EEEvT1_
		.amdhsa_group_segment_fixed_size 0
		.amdhsa_private_segment_fixed_size 0
		.amdhsa_kernarg_size 144
		.amdhsa_user_sgpr_count 2
		.amdhsa_user_sgpr_dispatch_ptr 0
		.amdhsa_user_sgpr_queue_ptr 0
		.amdhsa_user_sgpr_kernarg_segment_ptr 1
		.amdhsa_user_sgpr_dispatch_id 0
		.amdhsa_user_sgpr_kernarg_preload_length 0
		.amdhsa_user_sgpr_kernarg_preload_offset 0
		.amdhsa_user_sgpr_private_segment_size 0
		.amdhsa_uses_dynamic_stack 0
		.amdhsa_enable_private_segment 0
		.amdhsa_system_sgpr_workgroup_id_x 1
		.amdhsa_system_sgpr_workgroup_id_y 0
		.amdhsa_system_sgpr_workgroup_id_z 0
		.amdhsa_system_sgpr_workgroup_info 0
		.amdhsa_system_vgpr_workitem_id 0
		.amdhsa_next_free_vgpr 1
		.amdhsa_next_free_sgpr 0
		.amdhsa_accum_offset 4
		.amdhsa_reserve_vcc 0
		.amdhsa_float_round_mode_32 0
		.amdhsa_float_round_mode_16_64 0
		.amdhsa_float_denorm_mode_32 3
		.amdhsa_float_denorm_mode_16_64 3
		.amdhsa_dx10_clamp 1
		.amdhsa_ieee_mode 1
		.amdhsa_fp16_overflow 0
		.amdhsa_tg_split 0
		.amdhsa_exception_fp_ieee_invalid_op 0
		.amdhsa_exception_fp_denorm_src 0
		.amdhsa_exception_fp_ieee_div_zero 0
		.amdhsa_exception_fp_ieee_overflow 0
		.amdhsa_exception_fp_ieee_underflow 0
		.amdhsa_exception_fp_ieee_inexact 0
		.amdhsa_exception_int_div_zero 0
	.end_amdhsa_kernel
	.section	.text._ZN7rocprim17ROCPRIM_400000_NS6detail17trampoline_kernelINS0_14default_configENS1_25partition_config_selectorILNS1_17partition_subalgoE0EyNS0_10empty_typeEbEEZZNS1_14partition_implILS5_0ELb0ES3_jN6thrust23THRUST_200600_302600_NS6detail15normal_iteratorINSA_10device_ptrIyEEEEPS6_SG_NS0_5tupleIJNSA_16discard_iteratorINSA_11use_defaultEEESF_EEENSH_IJSG_SG_EEES6_PlJ7is_evenIyEEEE10hipError_tPvRmT3_T4_T5_T6_T7_T9_mT8_P12ihipStream_tbDpT10_ENKUlT_T0_E_clISt17integral_constantIbLb1EES19_EEDaS14_S15_EUlS14_E_NS1_11comp_targetILNS1_3genE3ELNS1_11target_archE908ELNS1_3gpuE7ELNS1_3repE0EEENS1_30default_config_static_selectorELNS0_4arch9wavefront6targetE1EEEvT1_,"axG",@progbits,_ZN7rocprim17ROCPRIM_400000_NS6detail17trampoline_kernelINS0_14default_configENS1_25partition_config_selectorILNS1_17partition_subalgoE0EyNS0_10empty_typeEbEEZZNS1_14partition_implILS5_0ELb0ES3_jN6thrust23THRUST_200600_302600_NS6detail15normal_iteratorINSA_10device_ptrIyEEEEPS6_SG_NS0_5tupleIJNSA_16discard_iteratorINSA_11use_defaultEEESF_EEENSH_IJSG_SG_EEES6_PlJ7is_evenIyEEEE10hipError_tPvRmT3_T4_T5_T6_T7_T9_mT8_P12ihipStream_tbDpT10_ENKUlT_T0_E_clISt17integral_constantIbLb1EES19_EEDaS14_S15_EUlS14_E_NS1_11comp_targetILNS1_3genE3ELNS1_11target_archE908ELNS1_3gpuE7ELNS1_3repE0EEENS1_30default_config_static_selectorELNS0_4arch9wavefront6targetE1EEEvT1_,comdat
.Lfunc_end2374:
	.size	_ZN7rocprim17ROCPRIM_400000_NS6detail17trampoline_kernelINS0_14default_configENS1_25partition_config_selectorILNS1_17partition_subalgoE0EyNS0_10empty_typeEbEEZZNS1_14partition_implILS5_0ELb0ES3_jN6thrust23THRUST_200600_302600_NS6detail15normal_iteratorINSA_10device_ptrIyEEEEPS6_SG_NS0_5tupleIJNSA_16discard_iteratorINSA_11use_defaultEEESF_EEENSH_IJSG_SG_EEES6_PlJ7is_evenIyEEEE10hipError_tPvRmT3_T4_T5_T6_T7_T9_mT8_P12ihipStream_tbDpT10_ENKUlT_T0_E_clISt17integral_constantIbLb1EES19_EEDaS14_S15_EUlS14_E_NS1_11comp_targetILNS1_3genE3ELNS1_11target_archE908ELNS1_3gpuE7ELNS1_3repE0EEENS1_30default_config_static_selectorELNS0_4arch9wavefront6targetE1EEEvT1_, .Lfunc_end2374-_ZN7rocprim17ROCPRIM_400000_NS6detail17trampoline_kernelINS0_14default_configENS1_25partition_config_selectorILNS1_17partition_subalgoE0EyNS0_10empty_typeEbEEZZNS1_14partition_implILS5_0ELb0ES3_jN6thrust23THRUST_200600_302600_NS6detail15normal_iteratorINSA_10device_ptrIyEEEEPS6_SG_NS0_5tupleIJNSA_16discard_iteratorINSA_11use_defaultEEESF_EEENSH_IJSG_SG_EEES6_PlJ7is_evenIyEEEE10hipError_tPvRmT3_T4_T5_T6_T7_T9_mT8_P12ihipStream_tbDpT10_ENKUlT_T0_E_clISt17integral_constantIbLb1EES19_EEDaS14_S15_EUlS14_E_NS1_11comp_targetILNS1_3genE3ELNS1_11target_archE908ELNS1_3gpuE7ELNS1_3repE0EEENS1_30default_config_static_selectorELNS0_4arch9wavefront6targetE1EEEvT1_
                                        ; -- End function
	.section	.AMDGPU.csdata,"",@progbits
; Kernel info:
; codeLenInByte = 0
; NumSgprs: 6
; NumVgprs: 0
; NumAgprs: 0
; TotalNumVgprs: 0
; ScratchSize: 0
; MemoryBound: 0
; FloatMode: 240
; IeeeMode: 1
; LDSByteSize: 0 bytes/workgroup (compile time only)
; SGPRBlocks: 0
; VGPRBlocks: 0
; NumSGPRsForWavesPerEU: 6
; NumVGPRsForWavesPerEU: 1
; AccumOffset: 4
; Occupancy: 8
; WaveLimiterHint : 0
; COMPUTE_PGM_RSRC2:SCRATCH_EN: 0
; COMPUTE_PGM_RSRC2:USER_SGPR: 2
; COMPUTE_PGM_RSRC2:TRAP_HANDLER: 0
; COMPUTE_PGM_RSRC2:TGID_X_EN: 1
; COMPUTE_PGM_RSRC2:TGID_Y_EN: 0
; COMPUTE_PGM_RSRC2:TGID_Z_EN: 0
; COMPUTE_PGM_RSRC2:TIDIG_COMP_CNT: 0
; COMPUTE_PGM_RSRC3_GFX90A:ACCUM_OFFSET: 0
; COMPUTE_PGM_RSRC3_GFX90A:TG_SPLIT: 0
	.section	.text._ZN7rocprim17ROCPRIM_400000_NS6detail17trampoline_kernelINS0_14default_configENS1_25partition_config_selectorILNS1_17partition_subalgoE0EyNS0_10empty_typeEbEEZZNS1_14partition_implILS5_0ELb0ES3_jN6thrust23THRUST_200600_302600_NS6detail15normal_iteratorINSA_10device_ptrIyEEEEPS6_SG_NS0_5tupleIJNSA_16discard_iteratorINSA_11use_defaultEEESF_EEENSH_IJSG_SG_EEES6_PlJ7is_evenIyEEEE10hipError_tPvRmT3_T4_T5_T6_T7_T9_mT8_P12ihipStream_tbDpT10_ENKUlT_T0_E_clISt17integral_constantIbLb1EES19_EEDaS14_S15_EUlS14_E_NS1_11comp_targetILNS1_3genE2ELNS1_11target_archE906ELNS1_3gpuE6ELNS1_3repE0EEENS1_30default_config_static_selectorELNS0_4arch9wavefront6targetE1EEEvT1_,"axG",@progbits,_ZN7rocprim17ROCPRIM_400000_NS6detail17trampoline_kernelINS0_14default_configENS1_25partition_config_selectorILNS1_17partition_subalgoE0EyNS0_10empty_typeEbEEZZNS1_14partition_implILS5_0ELb0ES3_jN6thrust23THRUST_200600_302600_NS6detail15normal_iteratorINSA_10device_ptrIyEEEEPS6_SG_NS0_5tupleIJNSA_16discard_iteratorINSA_11use_defaultEEESF_EEENSH_IJSG_SG_EEES6_PlJ7is_evenIyEEEE10hipError_tPvRmT3_T4_T5_T6_T7_T9_mT8_P12ihipStream_tbDpT10_ENKUlT_T0_E_clISt17integral_constantIbLb1EES19_EEDaS14_S15_EUlS14_E_NS1_11comp_targetILNS1_3genE2ELNS1_11target_archE906ELNS1_3gpuE6ELNS1_3repE0EEENS1_30default_config_static_selectorELNS0_4arch9wavefront6targetE1EEEvT1_,comdat
	.protected	_ZN7rocprim17ROCPRIM_400000_NS6detail17trampoline_kernelINS0_14default_configENS1_25partition_config_selectorILNS1_17partition_subalgoE0EyNS0_10empty_typeEbEEZZNS1_14partition_implILS5_0ELb0ES3_jN6thrust23THRUST_200600_302600_NS6detail15normal_iteratorINSA_10device_ptrIyEEEEPS6_SG_NS0_5tupleIJNSA_16discard_iteratorINSA_11use_defaultEEESF_EEENSH_IJSG_SG_EEES6_PlJ7is_evenIyEEEE10hipError_tPvRmT3_T4_T5_T6_T7_T9_mT8_P12ihipStream_tbDpT10_ENKUlT_T0_E_clISt17integral_constantIbLb1EES19_EEDaS14_S15_EUlS14_E_NS1_11comp_targetILNS1_3genE2ELNS1_11target_archE906ELNS1_3gpuE6ELNS1_3repE0EEENS1_30default_config_static_selectorELNS0_4arch9wavefront6targetE1EEEvT1_ ; -- Begin function _ZN7rocprim17ROCPRIM_400000_NS6detail17trampoline_kernelINS0_14default_configENS1_25partition_config_selectorILNS1_17partition_subalgoE0EyNS0_10empty_typeEbEEZZNS1_14partition_implILS5_0ELb0ES3_jN6thrust23THRUST_200600_302600_NS6detail15normal_iteratorINSA_10device_ptrIyEEEEPS6_SG_NS0_5tupleIJNSA_16discard_iteratorINSA_11use_defaultEEESF_EEENSH_IJSG_SG_EEES6_PlJ7is_evenIyEEEE10hipError_tPvRmT3_T4_T5_T6_T7_T9_mT8_P12ihipStream_tbDpT10_ENKUlT_T0_E_clISt17integral_constantIbLb1EES19_EEDaS14_S15_EUlS14_E_NS1_11comp_targetILNS1_3genE2ELNS1_11target_archE906ELNS1_3gpuE6ELNS1_3repE0EEENS1_30default_config_static_selectorELNS0_4arch9wavefront6targetE1EEEvT1_
	.globl	_ZN7rocprim17ROCPRIM_400000_NS6detail17trampoline_kernelINS0_14default_configENS1_25partition_config_selectorILNS1_17partition_subalgoE0EyNS0_10empty_typeEbEEZZNS1_14partition_implILS5_0ELb0ES3_jN6thrust23THRUST_200600_302600_NS6detail15normal_iteratorINSA_10device_ptrIyEEEEPS6_SG_NS0_5tupleIJNSA_16discard_iteratorINSA_11use_defaultEEESF_EEENSH_IJSG_SG_EEES6_PlJ7is_evenIyEEEE10hipError_tPvRmT3_T4_T5_T6_T7_T9_mT8_P12ihipStream_tbDpT10_ENKUlT_T0_E_clISt17integral_constantIbLb1EES19_EEDaS14_S15_EUlS14_E_NS1_11comp_targetILNS1_3genE2ELNS1_11target_archE906ELNS1_3gpuE6ELNS1_3repE0EEENS1_30default_config_static_selectorELNS0_4arch9wavefront6targetE1EEEvT1_
	.p2align	8
	.type	_ZN7rocprim17ROCPRIM_400000_NS6detail17trampoline_kernelINS0_14default_configENS1_25partition_config_selectorILNS1_17partition_subalgoE0EyNS0_10empty_typeEbEEZZNS1_14partition_implILS5_0ELb0ES3_jN6thrust23THRUST_200600_302600_NS6detail15normal_iteratorINSA_10device_ptrIyEEEEPS6_SG_NS0_5tupleIJNSA_16discard_iteratorINSA_11use_defaultEEESF_EEENSH_IJSG_SG_EEES6_PlJ7is_evenIyEEEE10hipError_tPvRmT3_T4_T5_T6_T7_T9_mT8_P12ihipStream_tbDpT10_ENKUlT_T0_E_clISt17integral_constantIbLb1EES19_EEDaS14_S15_EUlS14_E_NS1_11comp_targetILNS1_3genE2ELNS1_11target_archE906ELNS1_3gpuE6ELNS1_3repE0EEENS1_30default_config_static_selectorELNS0_4arch9wavefront6targetE1EEEvT1_,@function
_ZN7rocprim17ROCPRIM_400000_NS6detail17trampoline_kernelINS0_14default_configENS1_25partition_config_selectorILNS1_17partition_subalgoE0EyNS0_10empty_typeEbEEZZNS1_14partition_implILS5_0ELb0ES3_jN6thrust23THRUST_200600_302600_NS6detail15normal_iteratorINSA_10device_ptrIyEEEEPS6_SG_NS0_5tupleIJNSA_16discard_iteratorINSA_11use_defaultEEESF_EEENSH_IJSG_SG_EEES6_PlJ7is_evenIyEEEE10hipError_tPvRmT3_T4_T5_T6_T7_T9_mT8_P12ihipStream_tbDpT10_ENKUlT_T0_E_clISt17integral_constantIbLb1EES19_EEDaS14_S15_EUlS14_E_NS1_11comp_targetILNS1_3genE2ELNS1_11target_archE906ELNS1_3gpuE6ELNS1_3repE0EEENS1_30default_config_static_selectorELNS0_4arch9wavefront6targetE1EEEvT1_: ; @_ZN7rocprim17ROCPRIM_400000_NS6detail17trampoline_kernelINS0_14default_configENS1_25partition_config_selectorILNS1_17partition_subalgoE0EyNS0_10empty_typeEbEEZZNS1_14partition_implILS5_0ELb0ES3_jN6thrust23THRUST_200600_302600_NS6detail15normal_iteratorINSA_10device_ptrIyEEEEPS6_SG_NS0_5tupleIJNSA_16discard_iteratorINSA_11use_defaultEEESF_EEENSH_IJSG_SG_EEES6_PlJ7is_evenIyEEEE10hipError_tPvRmT3_T4_T5_T6_T7_T9_mT8_P12ihipStream_tbDpT10_ENKUlT_T0_E_clISt17integral_constantIbLb1EES19_EEDaS14_S15_EUlS14_E_NS1_11comp_targetILNS1_3genE2ELNS1_11target_archE906ELNS1_3gpuE6ELNS1_3repE0EEENS1_30default_config_static_selectorELNS0_4arch9wavefront6targetE1EEEvT1_
; %bb.0:
	.section	.rodata,"a",@progbits
	.p2align	6, 0x0
	.amdhsa_kernel _ZN7rocprim17ROCPRIM_400000_NS6detail17trampoline_kernelINS0_14default_configENS1_25partition_config_selectorILNS1_17partition_subalgoE0EyNS0_10empty_typeEbEEZZNS1_14partition_implILS5_0ELb0ES3_jN6thrust23THRUST_200600_302600_NS6detail15normal_iteratorINSA_10device_ptrIyEEEEPS6_SG_NS0_5tupleIJNSA_16discard_iteratorINSA_11use_defaultEEESF_EEENSH_IJSG_SG_EEES6_PlJ7is_evenIyEEEE10hipError_tPvRmT3_T4_T5_T6_T7_T9_mT8_P12ihipStream_tbDpT10_ENKUlT_T0_E_clISt17integral_constantIbLb1EES19_EEDaS14_S15_EUlS14_E_NS1_11comp_targetILNS1_3genE2ELNS1_11target_archE906ELNS1_3gpuE6ELNS1_3repE0EEENS1_30default_config_static_selectorELNS0_4arch9wavefront6targetE1EEEvT1_
		.amdhsa_group_segment_fixed_size 0
		.amdhsa_private_segment_fixed_size 0
		.amdhsa_kernarg_size 144
		.amdhsa_user_sgpr_count 2
		.amdhsa_user_sgpr_dispatch_ptr 0
		.amdhsa_user_sgpr_queue_ptr 0
		.amdhsa_user_sgpr_kernarg_segment_ptr 1
		.amdhsa_user_sgpr_dispatch_id 0
		.amdhsa_user_sgpr_kernarg_preload_length 0
		.amdhsa_user_sgpr_kernarg_preload_offset 0
		.amdhsa_user_sgpr_private_segment_size 0
		.amdhsa_uses_dynamic_stack 0
		.amdhsa_enable_private_segment 0
		.amdhsa_system_sgpr_workgroup_id_x 1
		.amdhsa_system_sgpr_workgroup_id_y 0
		.amdhsa_system_sgpr_workgroup_id_z 0
		.amdhsa_system_sgpr_workgroup_info 0
		.amdhsa_system_vgpr_workitem_id 0
		.amdhsa_next_free_vgpr 1
		.amdhsa_next_free_sgpr 0
		.amdhsa_accum_offset 4
		.amdhsa_reserve_vcc 0
		.amdhsa_float_round_mode_32 0
		.amdhsa_float_round_mode_16_64 0
		.amdhsa_float_denorm_mode_32 3
		.amdhsa_float_denorm_mode_16_64 3
		.amdhsa_dx10_clamp 1
		.amdhsa_ieee_mode 1
		.amdhsa_fp16_overflow 0
		.amdhsa_tg_split 0
		.amdhsa_exception_fp_ieee_invalid_op 0
		.amdhsa_exception_fp_denorm_src 0
		.amdhsa_exception_fp_ieee_div_zero 0
		.amdhsa_exception_fp_ieee_overflow 0
		.amdhsa_exception_fp_ieee_underflow 0
		.amdhsa_exception_fp_ieee_inexact 0
		.amdhsa_exception_int_div_zero 0
	.end_amdhsa_kernel
	.section	.text._ZN7rocprim17ROCPRIM_400000_NS6detail17trampoline_kernelINS0_14default_configENS1_25partition_config_selectorILNS1_17partition_subalgoE0EyNS0_10empty_typeEbEEZZNS1_14partition_implILS5_0ELb0ES3_jN6thrust23THRUST_200600_302600_NS6detail15normal_iteratorINSA_10device_ptrIyEEEEPS6_SG_NS0_5tupleIJNSA_16discard_iteratorINSA_11use_defaultEEESF_EEENSH_IJSG_SG_EEES6_PlJ7is_evenIyEEEE10hipError_tPvRmT3_T4_T5_T6_T7_T9_mT8_P12ihipStream_tbDpT10_ENKUlT_T0_E_clISt17integral_constantIbLb1EES19_EEDaS14_S15_EUlS14_E_NS1_11comp_targetILNS1_3genE2ELNS1_11target_archE906ELNS1_3gpuE6ELNS1_3repE0EEENS1_30default_config_static_selectorELNS0_4arch9wavefront6targetE1EEEvT1_,"axG",@progbits,_ZN7rocprim17ROCPRIM_400000_NS6detail17trampoline_kernelINS0_14default_configENS1_25partition_config_selectorILNS1_17partition_subalgoE0EyNS0_10empty_typeEbEEZZNS1_14partition_implILS5_0ELb0ES3_jN6thrust23THRUST_200600_302600_NS6detail15normal_iteratorINSA_10device_ptrIyEEEEPS6_SG_NS0_5tupleIJNSA_16discard_iteratorINSA_11use_defaultEEESF_EEENSH_IJSG_SG_EEES6_PlJ7is_evenIyEEEE10hipError_tPvRmT3_T4_T5_T6_T7_T9_mT8_P12ihipStream_tbDpT10_ENKUlT_T0_E_clISt17integral_constantIbLb1EES19_EEDaS14_S15_EUlS14_E_NS1_11comp_targetILNS1_3genE2ELNS1_11target_archE906ELNS1_3gpuE6ELNS1_3repE0EEENS1_30default_config_static_selectorELNS0_4arch9wavefront6targetE1EEEvT1_,comdat
.Lfunc_end2375:
	.size	_ZN7rocprim17ROCPRIM_400000_NS6detail17trampoline_kernelINS0_14default_configENS1_25partition_config_selectorILNS1_17partition_subalgoE0EyNS0_10empty_typeEbEEZZNS1_14partition_implILS5_0ELb0ES3_jN6thrust23THRUST_200600_302600_NS6detail15normal_iteratorINSA_10device_ptrIyEEEEPS6_SG_NS0_5tupleIJNSA_16discard_iteratorINSA_11use_defaultEEESF_EEENSH_IJSG_SG_EEES6_PlJ7is_evenIyEEEE10hipError_tPvRmT3_T4_T5_T6_T7_T9_mT8_P12ihipStream_tbDpT10_ENKUlT_T0_E_clISt17integral_constantIbLb1EES19_EEDaS14_S15_EUlS14_E_NS1_11comp_targetILNS1_3genE2ELNS1_11target_archE906ELNS1_3gpuE6ELNS1_3repE0EEENS1_30default_config_static_selectorELNS0_4arch9wavefront6targetE1EEEvT1_, .Lfunc_end2375-_ZN7rocprim17ROCPRIM_400000_NS6detail17trampoline_kernelINS0_14default_configENS1_25partition_config_selectorILNS1_17partition_subalgoE0EyNS0_10empty_typeEbEEZZNS1_14partition_implILS5_0ELb0ES3_jN6thrust23THRUST_200600_302600_NS6detail15normal_iteratorINSA_10device_ptrIyEEEEPS6_SG_NS0_5tupleIJNSA_16discard_iteratorINSA_11use_defaultEEESF_EEENSH_IJSG_SG_EEES6_PlJ7is_evenIyEEEE10hipError_tPvRmT3_T4_T5_T6_T7_T9_mT8_P12ihipStream_tbDpT10_ENKUlT_T0_E_clISt17integral_constantIbLb1EES19_EEDaS14_S15_EUlS14_E_NS1_11comp_targetILNS1_3genE2ELNS1_11target_archE906ELNS1_3gpuE6ELNS1_3repE0EEENS1_30default_config_static_selectorELNS0_4arch9wavefront6targetE1EEEvT1_
                                        ; -- End function
	.section	.AMDGPU.csdata,"",@progbits
; Kernel info:
; codeLenInByte = 0
; NumSgprs: 6
; NumVgprs: 0
; NumAgprs: 0
; TotalNumVgprs: 0
; ScratchSize: 0
; MemoryBound: 0
; FloatMode: 240
; IeeeMode: 1
; LDSByteSize: 0 bytes/workgroup (compile time only)
; SGPRBlocks: 0
; VGPRBlocks: 0
; NumSGPRsForWavesPerEU: 6
; NumVGPRsForWavesPerEU: 1
; AccumOffset: 4
; Occupancy: 8
; WaveLimiterHint : 0
; COMPUTE_PGM_RSRC2:SCRATCH_EN: 0
; COMPUTE_PGM_RSRC2:USER_SGPR: 2
; COMPUTE_PGM_RSRC2:TRAP_HANDLER: 0
; COMPUTE_PGM_RSRC2:TGID_X_EN: 1
; COMPUTE_PGM_RSRC2:TGID_Y_EN: 0
; COMPUTE_PGM_RSRC2:TGID_Z_EN: 0
; COMPUTE_PGM_RSRC2:TIDIG_COMP_CNT: 0
; COMPUTE_PGM_RSRC3_GFX90A:ACCUM_OFFSET: 0
; COMPUTE_PGM_RSRC3_GFX90A:TG_SPLIT: 0
	.section	.text._ZN7rocprim17ROCPRIM_400000_NS6detail17trampoline_kernelINS0_14default_configENS1_25partition_config_selectorILNS1_17partition_subalgoE0EyNS0_10empty_typeEbEEZZNS1_14partition_implILS5_0ELb0ES3_jN6thrust23THRUST_200600_302600_NS6detail15normal_iteratorINSA_10device_ptrIyEEEEPS6_SG_NS0_5tupleIJNSA_16discard_iteratorINSA_11use_defaultEEESF_EEENSH_IJSG_SG_EEES6_PlJ7is_evenIyEEEE10hipError_tPvRmT3_T4_T5_T6_T7_T9_mT8_P12ihipStream_tbDpT10_ENKUlT_T0_E_clISt17integral_constantIbLb1EES19_EEDaS14_S15_EUlS14_E_NS1_11comp_targetILNS1_3genE10ELNS1_11target_archE1200ELNS1_3gpuE4ELNS1_3repE0EEENS1_30default_config_static_selectorELNS0_4arch9wavefront6targetE1EEEvT1_,"axG",@progbits,_ZN7rocprim17ROCPRIM_400000_NS6detail17trampoline_kernelINS0_14default_configENS1_25partition_config_selectorILNS1_17partition_subalgoE0EyNS0_10empty_typeEbEEZZNS1_14partition_implILS5_0ELb0ES3_jN6thrust23THRUST_200600_302600_NS6detail15normal_iteratorINSA_10device_ptrIyEEEEPS6_SG_NS0_5tupleIJNSA_16discard_iteratorINSA_11use_defaultEEESF_EEENSH_IJSG_SG_EEES6_PlJ7is_evenIyEEEE10hipError_tPvRmT3_T4_T5_T6_T7_T9_mT8_P12ihipStream_tbDpT10_ENKUlT_T0_E_clISt17integral_constantIbLb1EES19_EEDaS14_S15_EUlS14_E_NS1_11comp_targetILNS1_3genE10ELNS1_11target_archE1200ELNS1_3gpuE4ELNS1_3repE0EEENS1_30default_config_static_selectorELNS0_4arch9wavefront6targetE1EEEvT1_,comdat
	.protected	_ZN7rocprim17ROCPRIM_400000_NS6detail17trampoline_kernelINS0_14default_configENS1_25partition_config_selectorILNS1_17partition_subalgoE0EyNS0_10empty_typeEbEEZZNS1_14partition_implILS5_0ELb0ES3_jN6thrust23THRUST_200600_302600_NS6detail15normal_iteratorINSA_10device_ptrIyEEEEPS6_SG_NS0_5tupleIJNSA_16discard_iteratorINSA_11use_defaultEEESF_EEENSH_IJSG_SG_EEES6_PlJ7is_evenIyEEEE10hipError_tPvRmT3_T4_T5_T6_T7_T9_mT8_P12ihipStream_tbDpT10_ENKUlT_T0_E_clISt17integral_constantIbLb1EES19_EEDaS14_S15_EUlS14_E_NS1_11comp_targetILNS1_3genE10ELNS1_11target_archE1200ELNS1_3gpuE4ELNS1_3repE0EEENS1_30default_config_static_selectorELNS0_4arch9wavefront6targetE1EEEvT1_ ; -- Begin function _ZN7rocprim17ROCPRIM_400000_NS6detail17trampoline_kernelINS0_14default_configENS1_25partition_config_selectorILNS1_17partition_subalgoE0EyNS0_10empty_typeEbEEZZNS1_14partition_implILS5_0ELb0ES3_jN6thrust23THRUST_200600_302600_NS6detail15normal_iteratorINSA_10device_ptrIyEEEEPS6_SG_NS0_5tupleIJNSA_16discard_iteratorINSA_11use_defaultEEESF_EEENSH_IJSG_SG_EEES6_PlJ7is_evenIyEEEE10hipError_tPvRmT3_T4_T5_T6_T7_T9_mT8_P12ihipStream_tbDpT10_ENKUlT_T0_E_clISt17integral_constantIbLb1EES19_EEDaS14_S15_EUlS14_E_NS1_11comp_targetILNS1_3genE10ELNS1_11target_archE1200ELNS1_3gpuE4ELNS1_3repE0EEENS1_30default_config_static_selectorELNS0_4arch9wavefront6targetE1EEEvT1_
	.globl	_ZN7rocprim17ROCPRIM_400000_NS6detail17trampoline_kernelINS0_14default_configENS1_25partition_config_selectorILNS1_17partition_subalgoE0EyNS0_10empty_typeEbEEZZNS1_14partition_implILS5_0ELb0ES3_jN6thrust23THRUST_200600_302600_NS6detail15normal_iteratorINSA_10device_ptrIyEEEEPS6_SG_NS0_5tupleIJNSA_16discard_iteratorINSA_11use_defaultEEESF_EEENSH_IJSG_SG_EEES6_PlJ7is_evenIyEEEE10hipError_tPvRmT3_T4_T5_T6_T7_T9_mT8_P12ihipStream_tbDpT10_ENKUlT_T0_E_clISt17integral_constantIbLb1EES19_EEDaS14_S15_EUlS14_E_NS1_11comp_targetILNS1_3genE10ELNS1_11target_archE1200ELNS1_3gpuE4ELNS1_3repE0EEENS1_30default_config_static_selectorELNS0_4arch9wavefront6targetE1EEEvT1_
	.p2align	8
	.type	_ZN7rocprim17ROCPRIM_400000_NS6detail17trampoline_kernelINS0_14default_configENS1_25partition_config_selectorILNS1_17partition_subalgoE0EyNS0_10empty_typeEbEEZZNS1_14partition_implILS5_0ELb0ES3_jN6thrust23THRUST_200600_302600_NS6detail15normal_iteratorINSA_10device_ptrIyEEEEPS6_SG_NS0_5tupleIJNSA_16discard_iteratorINSA_11use_defaultEEESF_EEENSH_IJSG_SG_EEES6_PlJ7is_evenIyEEEE10hipError_tPvRmT3_T4_T5_T6_T7_T9_mT8_P12ihipStream_tbDpT10_ENKUlT_T0_E_clISt17integral_constantIbLb1EES19_EEDaS14_S15_EUlS14_E_NS1_11comp_targetILNS1_3genE10ELNS1_11target_archE1200ELNS1_3gpuE4ELNS1_3repE0EEENS1_30default_config_static_selectorELNS0_4arch9wavefront6targetE1EEEvT1_,@function
_ZN7rocprim17ROCPRIM_400000_NS6detail17trampoline_kernelINS0_14default_configENS1_25partition_config_selectorILNS1_17partition_subalgoE0EyNS0_10empty_typeEbEEZZNS1_14partition_implILS5_0ELb0ES3_jN6thrust23THRUST_200600_302600_NS6detail15normal_iteratorINSA_10device_ptrIyEEEEPS6_SG_NS0_5tupleIJNSA_16discard_iteratorINSA_11use_defaultEEESF_EEENSH_IJSG_SG_EEES6_PlJ7is_evenIyEEEE10hipError_tPvRmT3_T4_T5_T6_T7_T9_mT8_P12ihipStream_tbDpT10_ENKUlT_T0_E_clISt17integral_constantIbLb1EES19_EEDaS14_S15_EUlS14_E_NS1_11comp_targetILNS1_3genE10ELNS1_11target_archE1200ELNS1_3gpuE4ELNS1_3repE0EEENS1_30default_config_static_selectorELNS0_4arch9wavefront6targetE1EEEvT1_: ; @_ZN7rocprim17ROCPRIM_400000_NS6detail17trampoline_kernelINS0_14default_configENS1_25partition_config_selectorILNS1_17partition_subalgoE0EyNS0_10empty_typeEbEEZZNS1_14partition_implILS5_0ELb0ES3_jN6thrust23THRUST_200600_302600_NS6detail15normal_iteratorINSA_10device_ptrIyEEEEPS6_SG_NS0_5tupleIJNSA_16discard_iteratorINSA_11use_defaultEEESF_EEENSH_IJSG_SG_EEES6_PlJ7is_evenIyEEEE10hipError_tPvRmT3_T4_T5_T6_T7_T9_mT8_P12ihipStream_tbDpT10_ENKUlT_T0_E_clISt17integral_constantIbLb1EES19_EEDaS14_S15_EUlS14_E_NS1_11comp_targetILNS1_3genE10ELNS1_11target_archE1200ELNS1_3gpuE4ELNS1_3repE0EEENS1_30default_config_static_selectorELNS0_4arch9wavefront6targetE1EEEvT1_
; %bb.0:
	.section	.rodata,"a",@progbits
	.p2align	6, 0x0
	.amdhsa_kernel _ZN7rocprim17ROCPRIM_400000_NS6detail17trampoline_kernelINS0_14default_configENS1_25partition_config_selectorILNS1_17partition_subalgoE0EyNS0_10empty_typeEbEEZZNS1_14partition_implILS5_0ELb0ES3_jN6thrust23THRUST_200600_302600_NS6detail15normal_iteratorINSA_10device_ptrIyEEEEPS6_SG_NS0_5tupleIJNSA_16discard_iteratorINSA_11use_defaultEEESF_EEENSH_IJSG_SG_EEES6_PlJ7is_evenIyEEEE10hipError_tPvRmT3_T4_T5_T6_T7_T9_mT8_P12ihipStream_tbDpT10_ENKUlT_T0_E_clISt17integral_constantIbLb1EES19_EEDaS14_S15_EUlS14_E_NS1_11comp_targetILNS1_3genE10ELNS1_11target_archE1200ELNS1_3gpuE4ELNS1_3repE0EEENS1_30default_config_static_selectorELNS0_4arch9wavefront6targetE1EEEvT1_
		.amdhsa_group_segment_fixed_size 0
		.amdhsa_private_segment_fixed_size 0
		.amdhsa_kernarg_size 144
		.amdhsa_user_sgpr_count 2
		.amdhsa_user_sgpr_dispatch_ptr 0
		.amdhsa_user_sgpr_queue_ptr 0
		.amdhsa_user_sgpr_kernarg_segment_ptr 1
		.amdhsa_user_sgpr_dispatch_id 0
		.amdhsa_user_sgpr_kernarg_preload_length 0
		.amdhsa_user_sgpr_kernarg_preload_offset 0
		.amdhsa_user_sgpr_private_segment_size 0
		.amdhsa_uses_dynamic_stack 0
		.amdhsa_enable_private_segment 0
		.amdhsa_system_sgpr_workgroup_id_x 1
		.amdhsa_system_sgpr_workgroup_id_y 0
		.amdhsa_system_sgpr_workgroup_id_z 0
		.amdhsa_system_sgpr_workgroup_info 0
		.amdhsa_system_vgpr_workitem_id 0
		.amdhsa_next_free_vgpr 1
		.amdhsa_next_free_sgpr 0
		.amdhsa_accum_offset 4
		.amdhsa_reserve_vcc 0
		.amdhsa_float_round_mode_32 0
		.amdhsa_float_round_mode_16_64 0
		.amdhsa_float_denorm_mode_32 3
		.amdhsa_float_denorm_mode_16_64 3
		.amdhsa_dx10_clamp 1
		.amdhsa_ieee_mode 1
		.amdhsa_fp16_overflow 0
		.amdhsa_tg_split 0
		.amdhsa_exception_fp_ieee_invalid_op 0
		.amdhsa_exception_fp_denorm_src 0
		.amdhsa_exception_fp_ieee_div_zero 0
		.amdhsa_exception_fp_ieee_overflow 0
		.amdhsa_exception_fp_ieee_underflow 0
		.amdhsa_exception_fp_ieee_inexact 0
		.amdhsa_exception_int_div_zero 0
	.end_amdhsa_kernel
	.section	.text._ZN7rocprim17ROCPRIM_400000_NS6detail17trampoline_kernelINS0_14default_configENS1_25partition_config_selectorILNS1_17partition_subalgoE0EyNS0_10empty_typeEbEEZZNS1_14partition_implILS5_0ELb0ES3_jN6thrust23THRUST_200600_302600_NS6detail15normal_iteratorINSA_10device_ptrIyEEEEPS6_SG_NS0_5tupleIJNSA_16discard_iteratorINSA_11use_defaultEEESF_EEENSH_IJSG_SG_EEES6_PlJ7is_evenIyEEEE10hipError_tPvRmT3_T4_T5_T6_T7_T9_mT8_P12ihipStream_tbDpT10_ENKUlT_T0_E_clISt17integral_constantIbLb1EES19_EEDaS14_S15_EUlS14_E_NS1_11comp_targetILNS1_3genE10ELNS1_11target_archE1200ELNS1_3gpuE4ELNS1_3repE0EEENS1_30default_config_static_selectorELNS0_4arch9wavefront6targetE1EEEvT1_,"axG",@progbits,_ZN7rocprim17ROCPRIM_400000_NS6detail17trampoline_kernelINS0_14default_configENS1_25partition_config_selectorILNS1_17partition_subalgoE0EyNS0_10empty_typeEbEEZZNS1_14partition_implILS5_0ELb0ES3_jN6thrust23THRUST_200600_302600_NS6detail15normal_iteratorINSA_10device_ptrIyEEEEPS6_SG_NS0_5tupleIJNSA_16discard_iteratorINSA_11use_defaultEEESF_EEENSH_IJSG_SG_EEES6_PlJ7is_evenIyEEEE10hipError_tPvRmT3_T4_T5_T6_T7_T9_mT8_P12ihipStream_tbDpT10_ENKUlT_T0_E_clISt17integral_constantIbLb1EES19_EEDaS14_S15_EUlS14_E_NS1_11comp_targetILNS1_3genE10ELNS1_11target_archE1200ELNS1_3gpuE4ELNS1_3repE0EEENS1_30default_config_static_selectorELNS0_4arch9wavefront6targetE1EEEvT1_,comdat
.Lfunc_end2376:
	.size	_ZN7rocprim17ROCPRIM_400000_NS6detail17trampoline_kernelINS0_14default_configENS1_25partition_config_selectorILNS1_17partition_subalgoE0EyNS0_10empty_typeEbEEZZNS1_14partition_implILS5_0ELb0ES3_jN6thrust23THRUST_200600_302600_NS6detail15normal_iteratorINSA_10device_ptrIyEEEEPS6_SG_NS0_5tupleIJNSA_16discard_iteratorINSA_11use_defaultEEESF_EEENSH_IJSG_SG_EEES6_PlJ7is_evenIyEEEE10hipError_tPvRmT3_T4_T5_T6_T7_T9_mT8_P12ihipStream_tbDpT10_ENKUlT_T0_E_clISt17integral_constantIbLb1EES19_EEDaS14_S15_EUlS14_E_NS1_11comp_targetILNS1_3genE10ELNS1_11target_archE1200ELNS1_3gpuE4ELNS1_3repE0EEENS1_30default_config_static_selectorELNS0_4arch9wavefront6targetE1EEEvT1_, .Lfunc_end2376-_ZN7rocprim17ROCPRIM_400000_NS6detail17trampoline_kernelINS0_14default_configENS1_25partition_config_selectorILNS1_17partition_subalgoE0EyNS0_10empty_typeEbEEZZNS1_14partition_implILS5_0ELb0ES3_jN6thrust23THRUST_200600_302600_NS6detail15normal_iteratorINSA_10device_ptrIyEEEEPS6_SG_NS0_5tupleIJNSA_16discard_iteratorINSA_11use_defaultEEESF_EEENSH_IJSG_SG_EEES6_PlJ7is_evenIyEEEE10hipError_tPvRmT3_T4_T5_T6_T7_T9_mT8_P12ihipStream_tbDpT10_ENKUlT_T0_E_clISt17integral_constantIbLb1EES19_EEDaS14_S15_EUlS14_E_NS1_11comp_targetILNS1_3genE10ELNS1_11target_archE1200ELNS1_3gpuE4ELNS1_3repE0EEENS1_30default_config_static_selectorELNS0_4arch9wavefront6targetE1EEEvT1_
                                        ; -- End function
	.section	.AMDGPU.csdata,"",@progbits
; Kernel info:
; codeLenInByte = 0
; NumSgprs: 6
; NumVgprs: 0
; NumAgprs: 0
; TotalNumVgprs: 0
; ScratchSize: 0
; MemoryBound: 0
; FloatMode: 240
; IeeeMode: 1
; LDSByteSize: 0 bytes/workgroup (compile time only)
; SGPRBlocks: 0
; VGPRBlocks: 0
; NumSGPRsForWavesPerEU: 6
; NumVGPRsForWavesPerEU: 1
; AccumOffset: 4
; Occupancy: 8
; WaveLimiterHint : 0
; COMPUTE_PGM_RSRC2:SCRATCH_EN: 0
; COMPUTE_PGM_RSRC2:USER_SGPR: 2
; COMPUTE_PGM_RSRC2:TRAP_HANDLER: 0
; COMPUTE_PGM_RSRC2:TGID_X_EN: 1
; COMPUTE_PGM_RSRC2:TGID_Y_EN: 0
; COMPUTE_PGM_RSRC2:TGID_Z_EN: 0
; COMPUTE_PGM_RSRC2:TIDIG_COMP_CNT: 0
; COMPUTE_PGM_RSRC3_GFX90A:ACCUM_OFFSET: 0
; COMPUTE_PGM_RSRC3_GFX90A:TG_SPLIT: 0
	.section	.text._ZN7rocprim17ROCPRIM_400000_NS6detail17trampoline_kernelINS0_14default_configENS1_25partition_config_selectorILNS1_17partition_subalgoE0EyNS0_10empty_typeEbEEZZNS1_14partition_implILS5_0ELb0ES3_jN6thrust23THRUST_200600_302600_NS6detail15normal_iteratorINSA_10device_ptrIyEEEEPS6_SG_NS0_5tupleIJNSA_16discard_iteratorINSA_11use_defaultEEESF_EEENSH_IJSG_SG_EEES6_PlJ7is_evenIyEEEE10hipError_tPvRmT3_T4_T5_T6_T7_T9_mT8_P12ihipStream_tbDpT10_ENKUlT_T0_E_clISt17integral_constantIbLb1EES19_EEDaS14_S15_EUlS14_E_NS1_11comp_targetILNS1_3genE9ELNS1_11target_archE1100ELNS1_3gpuE3ELNS1_3repE0EEENS1_30default_config_static_selectorELNS0_4arch9wavefront6targetE1EEEvT1_,"axG",@progbits,_ZN7rocprim17ROCPRIM_400000_NS6detail17trampoline_kernelINS0_14default_configENS1_25partition_config_selectorILNS1_17partition_subalgoE0EyNS0_10empty_typeEbEEZZNS1_14partition_implILS5_0ELb0ES3_jN6thrust23THRUST_200600_302600_NS6detail15normal_iteratorINSA_10device_ptrIyEEEEPS6_SG_NS0_5tupleIJNSA_16discard_iteratorINSA_11use_defaultEEESF_EEENSH_IJSG_SG_EEES6_PlJ7is_evenIyEEEE10hipError_tPvRmT3_T4_T5_T6_T7_T9_mT8_P12ihipStream_tbDpT10_ENKUlT_T0_E_clISt17integral_constantIbLb1EES19_EEDaS14_S15_EUlS14_E_NS1_11comp_targetILNS1_3genE9ELNS1_11target_archE1100ELNS1_3gpuE3ELNS1_3repE0EEENS1_30default_config_static_selectorELNS0_4arch9wavefront6targetE1EEEvT1_,comdat
	.protected	_ZN7rocprim17ROCPRIM_400000_NS6detail17trampoline_kernelINS0_14default_configENS1_25partition_config_selectorILNS1_17partition_subalgoE0EyNS0_10empty_typeEbEEZZNS1_14partition_implILS5_0ELb0ES3_jN6thrust23THRUST_200600_302600_NS6detail15normal_iteratorINSA_10device_ptrIyEEEEPS6_SG_NS0_5tupleIJNSA_16discard_iteratorINSA_11use_defaultEEESF_EEENSH_IJSG_SG_EEES6_PlJ7is_evenIyEEEE10hipError_tPvRmT3_T4_T5_T6_T7_T9_mT8_P12ihipStream_tbDpT10_ENKUlT_T0_E_clISt17integral_constantIbLb1EES19_EEDaS14_S15_EUlS14_E_NS1_11comp_targetILNS1_3genE9ELNS1_11target_archE1100ELNS1_3gpuE3ELNS1_3repE0EEENS1_30default_config_static_selectorELNS0_4arch9wavefront6targetE1EEEvT1_ ; -- Begin function _ZN7rocprim17ROCPRIM_400000_NS6detail17trampoline_kernelINS0_14default_configENS1_25partition_config_selectorILNS1_17partition_subalgoE0EyNS0_10empty_typeEbEEZZNS1_14partition_implILS5_0ELb0ES3_jN6thrust23THRUST_200600_302600_NS6detail15normal_iteratorINSA_10device_ptrIyEEEEPS6_SG_NS0_5tupleIJNSA_16discard_iteratorINSA_11use_defaultEEESF_EEENSH_IJSG_SG_EEES6_PlJ7is_evenIyEEEE10hipError_tPvRmT3_T4_T5_T6_T7_T9_mT8_P12ihipStream_tbDpT10_ENKUlT_T0_E_clISt17integral_constantIbLb1EES19_EEDaS14_S15_EUlS14_E_NS1_11comp_targetILNS1_3genE9ELNS1_11target_archE1100ELNS1_3gpuE3ELNS1_3repE0EEENS1_30default_config_static_selectorELNS0_4arch9wavefront6targetE1EEEvT1_
	.globl	_ZN7rocprim17ROCPRIM_400000_NS6detail17trampoline_kernelINS0_14default_configENS1_25partition_config_selectorILNS1_17partition_subalgoE0EyNS0_10empty_typeEbEEZZNS1_14partition_implILS5_0ELb0ES3_jN6thrust23THRUST_200600_302600_NS6detail15normal_iteratorINSA_10device_ptrIyEEEEPS6_SG_NS0_5tupleIJNSA_16discard_iteratorINSA_11use_defaultEEESF_EEENSH_IJSG_SG_EEES6_PlJ7is_evenIyEEEE10hipError_tPvRmT3_T4_T5_T6_T7_T9_mT8_P12ihipStream_tbDpT10_ENKUlT_T0_E_clISt17integral_constantIbLb1EES19_EEDaS14_S15_EUlS14_E_NS1_11comp_targetILNS1_3genE9ELNS1_11target_archE1100ELNS1_3gpuE3ELNS1_3repE0EEENS1_30default_config_static_selectorELNS0_4arch9wavefront6targetE1EEEvT1_
	.p2align	8
	.type	_ZN7rocprim17ROCPRIM_400000_NS6detail17trampoline_kernelINS0_14default_configENS1_25partition_config_selectorILNS1_17partition_subalgoE0EyNS0_10empty_typeEbEEZZNS1_14partition_implILS5_0ELb0ES3_jN6thrust23THRUST_200600_302600_NS6detail15normal_iteratorINSA_10device_ptrIyEEEEPS6_SG_NS0_5tupleIJNSA_16discard_iteratorINSA_11use_defaultEEESF_EEENSH_IJSG_SG_EEES6_PlJ7is_evenIyEEEE10hipError_tPvRmT3_T4_T5_T6_T7_T9_mT8_P12ihipStream_tbDpT10_ENKUlT_T0_E_clISt17integral_constantIbLb1EES19_EEDaS14_S15_EUlS14_E_NS1_11comp_targetILNS1_3genE9ELNS1_11target_archE1100ELNS1_3gpuE3ELNS1_3repE0EEENS1_30default_config_static_selectorELNS0_4arch9wavefront6targetE1EEEvT1_,@function
_ZN7rocprim17ROCPRIM_400000_NS6detail17trampoline_kernelINS0_14default_configENS1_25partition_config_selectorILNS1_17partition_subalgoE0EyNS0_10empty_typeEbEEZZNS1_14partition_implILS5_0ELb0ES3_jN6thrust23THRUST_200600_302600_NS6detail15normal_iteratorINSA_10device_ptrIyEEEEPS6_SG_NS0_5tupleIJNSA_16discard_iteratorINSA_11use_defaultEEESF_EEENSH_IJSG_SG_EEES6_PlJ7is_evenIyEEEE10hipError_tPvRmT3_T4_T5_T6_T7_T9_mT8_P12ihipStream_tbDpT10_ENKUlT_T0_E_clISt17integral_constantIbLb1EES19_EEDaS14_S15_EUlS14_E_NS1_11comp_targetILNS1_3genE9ELNS1_11target_archE1100ELNS1_3gpuE3ELNS1_3repE0EEENS1_30default_config_static_selectorELNS0_4arch9wavefront6targetE1EEEvT1_: ; @_ZN7rocprim17ROCPRIM_400000_NS6detail17trampoline_kernelINS0_14default_configENS1_25partition_config_selectorILNS1_17partition_subalgoE0EyNS0_10empty_typeEbEEZZNS1_14partition_implILS5_0ELb0ES3_jN6thrust23THRUST_200600_302600_NS6detail15normal_iteratorINSA_10device_ptrIyEEEEPS6_SG_NS0_5tupleIJNSA_16discard_iteratorINSA_11use_defaultEEESF_EEENSH_IJSG_SG_EEES6_PlJ7is_evenIyEEEE10hipError_tPvRmT3_T4_T5_T6_T7_T9_mT8_P12ihipStream_tbDpT10_ENKUlT_T0_E_clISt17integral_constantIbLb1EES19_EEDaS14_S15_EUlS14_E_NS1_11comp_targetILNS1_3genE9ELNS1_11target_archE1100ELNS1_3gpuE3ELNS1_3repE0EEENS1_30default_config_static_selectorELNS0_4arch9wavefront6targetE1EEEvT1_
; %bb.0:
	.section	.rodata,"a",@progbits
	.p2align	6, 0x0
	.amdhsa_kernel _ZN7rocprim17ROCPRIM_400000_NS6detail17trampoline_kernelINS0_14default_configENS1_25partition_config_selectorILNS1_17partition_subalgoE0EyNS0_10empty_typeEbEEZZNS1_14partition_implILS5_0ELb0ES3_jN6thrust23THRUST_200600_302600_NS6detail15normal_iteratorINSA_10device_ptrIyEEEEPS6_SG_NS0_5tupleIJNSA_16discard_iteratorINSA_11use_defaultEEESF_EEENSH_IJSG_SG_EEES6_PlJ7is_evenIyEEEE10hipError_tPvRmT3_T4_T5_T6_T7_T9_mT8_P12ihipStream_tbDpT10_ENKUlT_T0_E_clISt17integral_constantIbLb1EES19_EEDaS14_S15_EUlS14_E_NS1_11comp_targetILNS1_3genE9ELNS1_11target_archE1100ELNS1_3gpuE3ELNS1_3repE0EEENS1_30default_config_static_selectorELNS0_4arch9wavefront6targetE1EEEvT1_
		.amdhsa_group_segment_fixed_size 0
		.amdhsa_private_segment_fixed_size 0
		.amdhsa_kernarg_size 144
		.amdhsa_user_sgpr_count 2
		.amdhsa_user_sgpr_dispatch_ptr 0
		.amdhsa_user_sgpr_queue_ptr 0
		.amdhsa_user_sgpr_kernarg_segment_ptr 1
		.amdhsa_user_sgpr_dispatch_id 0
		.amdhsa_user_sgpr_kernarg_preload_length 0
		.amdhsa_user_sgpr_kernarg_preload_offset 0
		.amdhsa_user_sgpr_private_segment_size 0
		.amdhsa_uses_dynamic_stack 0
		.amdhsa_enable_private_segment 0
		.amdhsa_system_sgpr_workgroup_id_x 1
		.amdhsa_system_sgpr_workgroup_id_y 0
		.amdhsa_system_sgpr_workgroup_id_z 0
		.amdhsa_system_sgpr_workgroup_info 0
		.amdhsa_system_vgpr_workitem_id 0
		.amdhsa_next_free_vgpr 1
		.amdhsa_next_free_sgpr 0
		.amdhsa_accum_offset 4
		.amdhsa_reserve_vcc 0
		.amdhsa_float_round_mode_32 0
		.amdhsa_float_round_mode_16_64 0
		.amdhsa_float_denorm_mode_32 3
		.amdhsa_float_denorm_mode_16_64 3
		.amdhsa_dx10_clamp 1
		.amdhsa_ieee_mode 1
		.amdhsa_fp16_overflow 0
		.amdhsa_tg_split 0
		.amdhsa_exception_fp_ieee_invalid_op 0
		.amdhsa_exception_fp_denorm_src 0
		.amdhsa_exception_fp_ieee_div_zero 0
		.amdhsa_exception_fp_ieee_overflow 0
		.amdhsa_exception_fp_ieee_underflow 0
		.amdhsa_exception_fp_ieee_inexact 0
		.amdhsa_exception_int_div_zero 0
	.end_amdhsa_kernel
	.section	.text._ZN7rocprim17ROCPRIM_400000_NS6detail17trampoline_kernelINS0_14default_configENS1_25partition_config_selectorILNS1_17partition_subalgoE0EyNS0_10empty_typeEbEEZZNS1_14partition_implILS5_0ELb0ES3_jN6thrust23THRUST_200600_302600_NS6detail15normal_iteratorINSA_10device_ptrIyEEEEPS6_SG_NS0_5tupleIJNSA_16discard_iteratorINSA_11use_defaultEEESF_EEENSH_IJSG_SG_EEES6_PlJ7is_evenIyEEEE10hipError_tPvRmT3_T4_T5_T6_T7_T9_mT8_P12ihipStream_tbDpT10_ENKUlT_T0_E_clISt17integral_constantIbLb1EES19_EEDaS14_S15_EUlS14_E_NS1_11comp_targetILNS1_3genE9ELNS1_11target_archE1100ELNS1_3gpuE3ELNS1_3repE0EEENS1_30default_config_static_selectorELNS0_4arch9wavefront6targetE1EEEvT1_,"axG",@progbits,_ZN7rocprim17ROCPRIM_400000_NS6detail17trampoline_kernelINS0_14default_configENS1_25partition_config_selectorILNS1_17partition_subalgoE0EyNS0_10empty_typeEbEEZZNS1_14partition_implILS5_0ELb0ES3_jN6thrust23THRUST_200600_302600_NS6detail15normal_iteratorINSA_10device_ptrIyEEEEPS6_SG_NS0_5tupleIJNSA_16discard_iteratorINSA_11use_defaultEEESF_EEENSH_IJSG_SG_EEES6_PlJ7is_evenIyEEEE10hipError_tPvRmT3_T4_T5_T6_T7_T9_mT8_P12ihipStream_tbDpT10_ENKUlT_T0_E_clISt17integral_constantIbLb1EES19_EEDaS14_S15_EUlS14_E_NS1_11comp_targetILNS1_3genE9ELNS1_11target_archE1100ELNS1_3gpuE3ELNS1_3repE0EEENS1_30default_config_static_selectorELNS0_4arch9wavefront6targetE1EEEvT1_,comdat
.Lfunc_end2377:
	.size	_ZN7rocprim17ROCPRIM_400000_NS6detail17trampoline_kernelINS0_14default_configENS1_25partition_config_selectorILNS1_17partition_subalgoE0EyNS0_10empty_typeEbEEZZNS1_14partition_implILS5_0ELb0ES3_jN6thrust23THRUST_200600_302600_NS6detail15normal_iteratorINSA_10device_ptrIyEEEEPS6_SG_NS0_5tupleIJNSA_16discard_iteratorINSA_11use_defaultEEESF_EEENSH_IJSG_SG_EEES6_PlJ7is_evenIyEEEE10hipError_tPvRmT3_T4_T5_T6_T7_T9_mT8_P12ihipStream_tbDpT10_ENKUlT_T0_E_clISt17integral_constantIbLb1EES19_EEDaS14_S15_EUlS14_E_NS1_11comp_targetILNS1_3genE9ELNS1_11target_archE1100ELNS1_3gpuE3ELNS1_3repE0EEENS1_30default_config_static_selectorELNS0_4arch9wavefront6targetE1EEEvT1_, .Lfunc_end2377-_ZN7rocprim17ROCPRIM_400000_NS6detail17trampoline_kernelINS0_14default_configENS1_25partition_config_selectorILNS1_17partition_subalgoE0EyNS0_10empty_typeEbEEZZNS1_14partition_implILS5_0ELb0ES3_jN6thrust23THRUST_200600_302600_NS6detail15normal_iteratorINSA_10device_ptrIyEEEEPS6_SG_NS0_5tupleIJNSA_16discard_iteratorINSA_11use_defaultEEESF_EEENSH_IJSG_SG_EEES6_PlJ7is_evenIyEEEE10hipError_tPvRmT3_T4_T5_T6_T7_T9_mT8_P12ihipStream_tbDpT10_ENKUlT_T0_E_clISt17integral_constantIbLb1EES19_EEDaS14_S15_EUlS14_E_NS1_11comp_targetILNS1_3genE9ELNS1_11target_archE1100ELNS1_3gpuE3ELNS1_3repE0EEENS1_30default_config_static_selectorELNS0_4arch9wavefront6targetE1EEEvT1_
                                        ; -- End function
	.section	.AMDGPU.csdata,"",@progbits
; Kernel info:
; codeLenInByte = 0
; NumSgprs: 6
; NumVgprs: 0
; NumAgprs: 0
; TotalNumVgprs: 0
; ScratchSize: 0
; MemoryBound: 0
; FloatMode: 240
; IeeeMode: 1
; LDSByteSize: 0 bytes/workgroup (compile time only)
; SGPRBlocks: 0
; VGPRBlocks: 0
; NumSGPRsForWavesPerEU: 6
; NumVGPRsForWavesPerEU: 1
; AccumOffset: 4
; Occupancy: 8
; WaveLimiterHint : 0
; COMPUTE_PGM_RSRC2:SCRATCH_EN: 0
; COMPUTE_PGM_RSRC2:USER_SGPR: 2
; COMPUTE_PGM_RSRC2:TRAP_HANDLER: 0
; COMPUTE_PGM_RSRC2:TGID_X_EN: 1
; COMPUTE_PGM_RSRC2:TGID_Y_EN: 0
; COMPUTE_PGM_RSRC2:TGID_Z_EN: 0
; COMPUTE_PGM_RSRC2:TIDIG_COMP_CNT: 0
; COMPUTE_PGM_RSRC3_GFX90A:ACCUM_OFFSET: 0
; COMPUTE_PGM_RSRC3_GFX90A:TG_SPLIT: 0
	.section	.text._ZN7rocprim17ROCPRIM_400000_NS6detail17trampoline_kernelINS0_14default_configENS1_25partition_config_selectorILNS1_17partition_subalgoE0EyNS0_10empty_typeEbEEZZNS1_14partition_implILS5_0ELb0ES3_jN6thrust23THRUST_200600_302600_NS6detail15normal_iteratorINSA_10device_ptrIyEEEEPS6_SG_NS0_5tupleIJNSA_16discard_iteratorINSA_11use_defaultEEESF_EEENSH_IJSG_SG_EEES6_PlJ7is_evenIyEEEE10hipError_tPvRmT3_T4_T5_T6_T7_T9_mT8_P12ihipStream_tbDpT10_ENKUlT_T0_E_clISt17integral_constantIbLb1EES19_EEDaS14_S15_EUlS14_E_NS1_11comp_targetILNS1_3genE8ELNS1_11target_archE1030ELNS1_3gpuE2ELNS1_3repE0EEENS1_30default_config_static_selectorELNS0_4arch9wavefront6targetE1EEEvT1_,"axG",@progbits,_ZN7rocprim17ROCPRIM_400000_NS6detail17trampoline_kernelINS0_14default_configENS1_25partition_config_selectorILNS1_17partition_subalgoE0EyNS0_10empty_typeEbEEZZNS1_14partition_implILS5_0ELb0ES3_jN6thrust23THRUST_200600_302600_NS6detail15normal_iteratorINSA_10device_ptrIyEEEEPS6_SG_NS0_5tupleIJNSA_16discard_iteratorINSA_11use_defaultEEESF_EEENSH_IJSG_SG_EEES6_PlJ7is_evenIyEEEE10hipError_tPvRmT3_T4_T5_T6_T7_T9_mT8_P12ihipStream_tbDpT10_ENKUlT_T0_E_clISt17integral_constantIbLb1EES19_EEDaS14_S15_EUlS14_E_NS1_11comp_targetILNS1_3genE8ELNS1_11target_archE1030ELNS1_3gpuE2ELNS1_3repE0EEENS1_30default_config_static_selectorELNS0_4arch9wavefront6targetE1EEEvT1_,comdat
	.protected	_ZN7rocprim17ROCPRIM_400000_NS6detail17trampoline_kernelINS0_14default_configENS1_25partition_config_selectorILNS1_17partition_subalgoE0EyNS0_10empty_typeEbEEZZNS1_14partition_implILS5_0ELb0ES3_jN6thrust23THRUST_200600_302600_NS6detail15normal_iteratorINSA_10device_ptrIyEEEEPS6_SG_NS0_5tupleIJNSA_16discard_iteratorINSA_11use_defaultEEESF_EEENSH_IJSG_SG_EEES6_PlJ7is_evenIyEEEE10hipError_tPvRmT3_T4_T5_T6_T7_T9_mT8_P12ihipStream_tbDpT10_ENKUlT_T0_E_clISt17integral_constantIbLb1EES19_EEDaS14_S15_EUlS14_E_NS1_11comp_targetILNS1_3genE8ELNS1_11target_archE1030ELNS1_3gpuE2ELNS1_3repE0EEENS1_30default_config_static_selectorELNS0_4arch9wavefront6targetE1EEEvT1_ ; -- Begin function _ZN7rocprim17ROCPRIM_400000_NS6detail17trampoline_kernelINS0_14default_configENS1_25partition_config_selectorILNS1_17partition_subalgoE0EyNS0_10empty_typeEbEEZZNS1_14partition_implILS5_0ELb0ES3_jN6thrust23THRUST_200600_302600_NS6detail15normal_iteratorINSA_10device_ptrIyEEEEPS6_SG_NS0_5tupleIJNSA_16discard_iteratorINSA_11use_defaultEEESF_EEENSH_IJSG_SG_EEES6_PlJ7is_evenIyEEEE10hipError_tPvRmT3_T4_T5_T6_T7_T9_mT8_P12ihipStream_tbDpT10_ENKUlT_T0_E_clISt17integral_constantIbLb1EES19_EEDaS14_S15_EUlS14_E_NS1_11comp_targetILNS1_3genE8ELNS1_11target_archE1030ELNS1_3gpuE2ELNS1_3repE0EEENS1_30default_config_static_selectorELNS0_4arch9wavefront6targetE1EEEvT1_
	.globl	_ZN7rocprim17ROCPRIM_400000_NS6detail17trampoline_kernelINS0_14default_configENS1_25partition_config_selectorILNS1_17partition_subalgoE0EyNS0_10empty_typeEbEEZZNS1_14partition_implILS5_0ELb0ES3_jN6thrust23THRUST_200600_302600_NS6detail15normal_iteratorINSA_10device_ptrIyEEEEPS6_SG_NS0_5tupleIJNSA_16discard_iteratorINSA_11use_defaultEEESF_EEENSH_IJSG_SG_EEES6_PlJ7is_evenIyEEEE10hipError_tPvRmT3_T4_T5_T6_T7_T9_mT8_P12ihipStream_tbDpT10_ENKUlT_T0_E_clISt17integral_constantIbLb1EES19_EEDaS14_S15_EUlS14_E_NS1_11comp_targetILNS1_3genE8ELNS1_11target_archE1030ELNS1_3gpuE2ELNS1_3repE0EEENS1_30default_config_static_selectorELNS0_4arch9wavefront6targetE1EEEvT1_
	.p2align	8
	.type	_ZN7rocprim17ROCPRIM_400000_NS6detail17trampoline_kernelINS0_14default_configENS1_25partition_config_selectorILNS1_17partition_subalgoE0EyNS0_10empty_typeEbEEZZNS1_14partition_implILS5_0ELb0ES3_jN6thrust23THRUST_200600_302600_NS6detail15normal_iteratorINSA_10device_ptrIyEEEEPS6_SG_NS0_5tupleIJNSA_16discard_iteratorINSA_11use_defaultEEESF_EEENSH_IJSG_SG_EEES6_PlJ7is_evenIyEEEE10hipError_tPvRmT3_T4_T5_T6_T7_T9_mT8_P12ihipStream_tbDpT10_ENKUlT_T0_E_clISt17integral_constantIbLb1EES19_EEDaS14_S15_EUlS14_E_NS1_11comp_targetILNS1_3genE8ELNS1_11target_archE1030ELNS1_3gpuE2ELNS1_3repE0EEENS1_30default_config_static_selectorELNS0_4arch9wavefront6targetE1EEEvT1_,@function
_ZN7rocprim17ROCPRIM_400000_NS6detail17trampoline_kernelINS0_14default_configENS1_25partition_config_selectorILNS1_17partition_subalgoE0EyNS0_10empty_typeEbEEZZNS1_14partition_implILS5_0ELb0ES3_jN6thrust23THRUST_200600_302600_NS6detail15normal_iteratorINSA_10device_ptrIyEEEEPS6_SG_NS0_5tupleIJNSA_16discard_iteratorINSA_11use_defaultEEESF_EEENSH_IJSG_SG_EEES6_PlJ7is_evenIyEEEE10hipError_tPvRmT3_T4_T5_T6_T7_T9_mT8_P12ihipStream_tbDpT10_ENKUlT_T0_E_clISt17integral_constantIbLb1EES19_EEDaS14_S15_EUlS14_E_NS1_11comp_targetILNS1_3genE8ELNS1_11target_archE1030ELNS1_3gpuE2ELNS1_3repE0EEENS1_30default_config_static_selectorELNS0_4arch9wavefront6targetE1EEEvT1_: ; @_ZN7rocprim17ROCPRIM_400000_NS6detail17trampoline_kernelINS0_14default_configENS1_25partition_config_selectorILNS1_17partition_subalgoE0EyNS0_10empty_typeEbEEZZNS1_14partition_implILS5_0ELb0ES3_jN6thrust23THRUST_200600_302600_NS6detail15normal_iteratorINSA_10device_ptrIyEEEEPS6_SG_NS0_5tupleIJNSA_16discard_iteratorINSA_11use_defaultEEESF_EEENSH_IJSG_SG_EEES6_PlJ7is_evenIyEEEE10hipError_tPvRmT3_T4_T5_T6_T7_T9_mT8_P12ihipStream_tbDpT10_ENKUlT_T0_E_clISt17integral_constantIbLb1EES19_EEDaS14_S15_EUlS14_E_NS1_11comp_targetILNS1_3genE8ELNS1_11target_archE1030ELNS1_3gpuE2ELNS1_3repE0EEENS1_30default_config_static_selectorELNS0_4arch9wavefront6targetE1EEEvT1_
; %bb.0:
	.section	.rodata,"a",@progbits
	.p2align	6, 0x0
	.amdhsa_kernel _ZN7rocprim17ROCPRIM_400000_NS6detail17trampoline_kernelINS0_14default_configENS1_25partition_config_selectorILNS1_17partition_subalgoE0EyNS0_10empty_typeEbEEZZNS1_14partition_implILS5_0ELb0ES3_jN6thrust23THRUST_200600_302600_NS6detail15normal_iteratorINSA_10device_ptrIyEEEEPS6_SG_NS0_5tupleIJNSA_16discard_iteratorINSA_11use_defaultEEESF_EEENSH_IJSG_SG_EEES6_PlJ7is_evenIyEEEE10hipError_tPvRmT3_T4_T5_T6_T7_T9_mT8_P12ihipStream_tbDpT10_ENKUlT_T0_E_clISt17integral_constantIbLb1EES19_EEDaS14_S15_EUlS14_E_NS1_11comp_targetILNS1_3genE8ELNS1_11target_archE1030ELNS1_3gpuE2ELNS1_3repE0EEENS1_30default_config_static_selectorELNS0_4arch9wavefront6targetE1EEEvT1_
		.amdhsa_group_segment_fixed_size 0
		.amdhsa_private_segment_fixed_size 0
		.amdhsa_kernarg_size 144
		.amdhsa_user_sgpr_count 2
		.amdhsa_user_sgpr_dispatch_ptr 0
		.amdhsa_user_sgpr_queue_ptr 0
		.amdhsa_user_sgpr_kernarg_segment_ptr 1
		.amdhsa_user_sgpr_dispatch_id 0
		.amdhsa_user_sgpr_kernarg_preload_length 0
		.amdhsa_user_sgpr_kernarg_preload_offset 0
		.amdhsa_user_sgpr_private_segment_size 0
		.amdhsa_uses_dynamic_stack 0
		.amdhsa_enable_private_segment 0
		.amdhsa_system_sgpr_workgroup_id_x 1
		.amdhsa_system_sgpr_workgroup_id_y 0
		.amdhsa_system_sgpr_workgroup_id_z 0
		.amdhsa_system_sgpr_workgroup_info 0
		.amdhsa_system_vgpr_workitem_id 0
		.amdhsa_next_free_vgpr 1
		.amdhsa_next_free_sgpr 0
		.amdhsa_accum_offset 4
		.amdhsa_reserve_vcc 0
		.amdhsa_float_round_mode_32 0
		.amdhsa_float_round_mode_16_64 0
		.amdhsa_float_denorm_mode_32 3
		.amdhsa_float_denorm_mode_16_64 3
		.amdhsa_dx10_clamp 1
		.amdhsa_ieee_mode 1
		.amdhsa_fp16_overflow 0
		.amdhsa_tg_split 0
		.amdhsa_exception_fp_ieee_invalid_op 0
		.amdhsa_exception_fp_denorm_src 0
		.amdhsa_exception_fp_ieee_div_zero 0
		.amdhsa_exception_fp_ieee_overflow 0
		.amdhsa_exception_fp_ieee_underflow 0
		.amdhsa_exception_fp_ieee_inexact 0
		.amdhsa_exception_int_div_zero 0
	.end_amdhsa_kernel
	.section	.text._ZN7rocprim17ROCPRIM_400000_NS6detail17trampoline_kernelINS0_14default_configENS1_25partition_config_selectorILNS1_17partition_subalgoE0EyNS0_10empty_typeEbEEZZNS1_14partition_implILS5_0ELb0ES3_jN6thrust23THRUST_200600_302600_NS6detail15normal_iteratorINSA_10device_ptrIyEEEEPS6_SG_NS0_5tupleIJNSA_16discard_iteratorINSA_11use_defaultEEESF_EEENSH_IJSG_SG_EEES6_PlJ7is_evenIyEEEE10hipError_tPvRmT3_T4_T5_T6_T7_T9_mT8_P12ihipStream_tbDpT10_ENKUlT_T0_E_clISt17integral_constantIbLb1EES19_EEDaS14_S15_EUlS14_E_NS1_11comp_targetILNS1_3genE8ELNS1_11target_archE1030ELNS1_3gpuE2ELNS1_3repE0EEENS1_30default_config_static_selectorELNS0_4arch9wavefront6targetE1EEEvT1_,"axG",@progbits,_ZN7rocprim17ROCPRIM_400000_NS6detail17trampoline_kernelINS0_14default_configENS1_25partition_config_selectorILNS1_17partition_subalgoE0EyNS0_10empty_typeEbEEZZNS1_14partition_implILS5_0ELb0ES3_jN6thrust23THRUST_200600_302600_NS6detail15normal_iteratorINSA_10device_ptrIyEEEEPS6_SG_NS0_5tupleIJNSA_16discard_iteratorINSA_11use_defaultEEESF_EEENSH_IJSG_SG_EEES6_PlJ7is_evenIyEEEE10hipError_tPvRmT3_T4_T5_T6_T7_T9_mT8_P12ihipStream_tbDpT10_ENKUlT_T0_E_clISt17integral_constantIbLb1EES19_EEDaS14_S15_EUlS14_E_NS1_11comp_targetILNS1_3genE8ELNS1_11target_archE1030ELNS1_3gpuE2ELNS1_3repE0EEENS1_30default_config_static_selectorELNS0_4arch9wavefront6targetE1EEEvT1_,comdat
.Lfunc_end2378:
	.size	_ZN7rocprim17ROCPRIM_400000_NS6detail17trampoline_kernelINS0_14default_configENS1_25partition_config_selectorILNS1_17partition_subalgoE0EyNS0_10empty_typeEbEEZZNS1_14partition_implILS5_0ELb0ES3_jN6thrust23THRUST_200600_302600_NS6detail15normal_iteratorINSA_10device_ptrIyEEEEPS6_SG_NS0_5tupleIJNSA_16discard_iteratorINSA_11use_defaultEEESF_EEENSH_IJSG_SG_EEES6_PlJ7is_evenIyEEEE10hipError_tPvRmT3_T4_T5_T6_T7_T9_mT8_P12ihipStream_tbDpT10_ENKUlT_T0_E_clISt17integral_constantIbLb1EES19_EEDaS14_S15_EUlS14_E_NS1_11comp_targetILNS1_3genE8ELNS1_11target_archE1030ELNS1_3gpuE2ELNS1_3repE0EEENS1_30default_config_static_selectorELNS0_4arch9wavefront6targetE1EEEvT1_, .Lfunc_end2378-_ZN7rocprim17ROCPRIM_400000_NS6detail17trampoline_kernelINS0_14default_configENS1_25partition_config_selectorILNS1_17partition_subalgoE0EyNS0_10empty_typeEbEEZZNS1_14partition_implILS5_0ELb0ES3_jN6thrust23THRUST_200600_302600_NS6detail15normal_iteratorINSA_10device_ptrIyEEEEPS6_SG_NS0_5tupleIJNSA_16discard_iteratorINSA_11use_defaultEEESF_EEENSH_IJSG_SG_EEES6_PlJ7is_evenIyEEEE10hipError_tPvRmT3_T4_T5_T6_T7_T9_mT8_P12ihipStream_tbDpT10_ENKUlT_T0_E_clISt17integral_constantIbLb1EES19_EEDaS14_S15_EUlS14_E_NS1_11comp_targetILNS1_3genE8ELNS1_11target_archE1030ELNS1_3gpuE2ELNS1_3repE0EEENS1_30default_config_static_selectorELNS0_4arch9wavefront6targetE1EEEvT1_
                                        ; -- End function
	.section	.AMDGPU.csdata,"",@progbits
; Kernel info:
; codeLenInByte = 0
; NumSgprs: 6
; NumVgprs: 0
; NumAgprs: 0
; TotalNumVgprs: 0
; ScratchSize: 0
; MemoryBound: 0
; FloatMode: 240
; IeeeMode: 1
; LDSByteSize: 0 bytes/workgroup (compile time only)
; SGPRBlocks: 0
; VGPRBlocks: 0
; NumSGPRsForWavesPerEU: 6
; NumVGPRsForWavesPerEU: 1
; AccumOffset: 4
; Occupancy: 8
; WaveLimiterHint : 0
; COMPUTE_PGM_RSRC2:SCRATCH_EN: 0
; COMPUTE_PGM_RSRC2:USER_SGPR: 2
; COMPUTE_PGM_RSRC2:TRAP_HANDLER: 0
; COMPUTE_PGM_RSRC2:TGID_X_EN: 1
; COMPUTE_PGM_RSRC2:TGID_Y_EN: 0
; COMPUTE_PGM_RSRC2:TGID_Z_EN: 0
; COMPUTE_PGM_RSRC2:TIDIG_COMP_CNT: 0
; COMPUTE_PGM_RSRC3_GFX90A:ACCUM_OFFSET: 0
; COMPUTE_PGM_RSRC3_GFX90A:TG_SPLIT: 0
	.section	.text._ZN7rocprim17ROCPRIM_400000_NS6detail17trampoline_kernelINS0_14default_configENS1_25partition_config_selectorILNS1_17partition_subalgoE0EyNS0_10empty_typeEbEEZZNS1_14partition_implILS5_0ELb0ES3_jN6thrust23THRUST_200600_302600_NS6detail15normal_iteratorINSA_10device_ptrIyEEEEPS6_SG_NS0_5tupleIJNSA_16discard_iteratorINSA_11use_defaultEEESF_EEENSH_IJSG_SG_EEES6_PlJ7is_evenIyEEEE10hipError_tPvRmT3_T4_T5_T6_T7_T9_mT8_P12ihipStream_tbDpT10_ENKUlT_T0_E_clISt17integral_constantIbLb1EES18_IbLb0EEEEDaS14_S15_EUlS14_E_NS1_11comp_targetILNS1_3genE0ELNS1_11target_archE4294967295ELNS1_3gpuE0ELNS1_3repE0EEENS1_30default_config_static_selectorELNS0_4arch9wavefront6targetE1EEEvT1_,"axG",@progbits,_ZN7rocprim17ROCPRIM_400000_NS6detail17trampoline_kernelINS0_14default_configENS1_25partition_config_selectorILNS1_17partition_subalgoE0EyNS0_10empty_typeEbEEZZNS1_14partition_implILS5_0ELb0ES3_jN6thrust23THRUST_200600_302600_NS6detail15normal_iteratorINSA_10device_ptrIyEEEEPS6_SG_NS0_5tupleIJNSA_16discard_iteratorINSA_11use_defaultEEESF_EEENSH_IJSG_SG_EEES6_PlJ7is_evenIyEEEE10hipError_tPvRmT3_T4_T5_T6_T7_T9_mT8_P12ihipStream_tbDpT10_ENKUlT_T0_E_clISt17integral_constantIbLb1EES18_IbLb0EEEEDaS14_S15_EUlS14_E_NS1_11comp_targetILNS1_3genE0ELNS1_11target_archE4294967295ELNS1_3gpuE0ELNS1_3repE0EEENS1_30default_config_static_selectorELNS0_4arch9wavefront6targetE1EEEvT1_,comdat
	.protected	_ZN7rocprim17ROCPRIM_400000_NS6detail17trampoline_kernelINS0_14default_configENS1_25partition_config_selectorILNS1_17partition_subalgoE0EyNS0_10empty_typeEbEEZZNS1_14partition_implILS5_0ELb0ES3_jN6thrust23THRUST_200600_302600_NS6detail15normal_iteratorINSA_10device_ptrIyEEEEPS6_SG_NS0_5tupleIJNSA_16discard_iteratorINSA_11use_defaultEEESF_EEENSH_IJSG_SG_EEES6_PlJ7is_evenIyEEEE10hipError_tPvRmT3_T4_T5_T6_T7_T9_mT8_P12ihipStream_tbDpT10_ENKUlT_T0_E_clISt17integral_constantIbLb1EES18_IbLb0EEEEDaS14_S15_EUlS14_E_NS1_11comp_targetILNS1_3genE0ELNS1_11target_archE4294967295ELNS1_3gpuE0ELNS1_3repE0EEENS1_30default_config_static_selectorELNS0_4arch9wavefront6targetE1EEEvT1_ ; -- Begin function _ZN7rocprim17ROCPRIM_400000_NS6detail17trampoline_kernelINS0_14default_configENS1_25partition_config_selectorILNS1_17partition_subalgoE0EyNS0_10empty_typeEbEEZZNS1_14partition_implILS5_0ELb0ES3_jN6thrust23THRUST_200600_302600_NS6detail15normal_iteratorINSA_10device_ptrIyEEEEPS6_SG_NS0_5tupleIJNSA_16discard_iteratorINSA_11use_defaultEEESF_EEENSH_IJSG_SG_EEES6_PlJ7is_evenIyEEEE10hipError_tPvRmT3_T4_T5_T6_T7_T9_mT8_P12ihipStream_tbDpT10_ENKUlT_T0_E_clISt17integral_constantIbLb1EES18_IbLb0EEEEDaS14_S15_EUlS14_E_NS1_11comp_targetILNS1_3genE0ELNS1_11target_archE4294967295ELNS1_3gpuE0ELNS1_3repE0EEENS1_30default_config_static_selectorELNS0_4arch9wavefront6targetE1EEEvT1_
	.globl	_ZN7rocprim17ROCPRIM_400000_NS6detail17trampoline_kernelINS0_14default_configENS1_25partition_config_selectorILNS1_17partition_subalgoE0EyNS0_10empty_typeEbEEZZNS1_14partition_implILS5_0ELb0ES3_jN6thrust23THRUST_200600_302600_NS6detail15normal_iteratorINSA_10device_ptrIyEEEEPS6_SG_NS0_5tupleIJNSA_16discard_iteratorINSA_11use_defaultEEESF_EEENSH_IJSG_SG_EEES6_PlJ7is_evenIyEEEE10hipError_tPvRmT3_T4_T5_T6_T7_T9_mT8_P12ihipStream_tbDpT10_ENKUlT_T0_E_clISt17integral_constantIbLb1EES18_IbLb0EEEEDaS14_S15_EUlS14_E_NS1_11comp_targetILNS1_3genE0ELNS1_11target_archE4294967295ELNS1_3gpuE0ELNS1_3repE0EEENS1_30default_config_static_selectorELNS0_4arch9wavefront6targetE1EEEvT1_
	.p2align	8
	.type	_ZN7rocprim17ROCPRIM_400000_NS6detail17trampoline_kernelINS0_14default_configENS1_25partition_config_selectorILNS1_17partition_subalgoE0EyNS0_10empty_typeEbEEZZNS1_14partition_implILS5_0ELb0ES3_jN6thrust23THRUST_200600_302600_NS6detail15normal_iteratorINSA_10device_ptrIyEEEEPS6_SG_NS0_5tupleIJNSA_16discard_iteratorINSA_11use_defaultEEESF_EEENSH_IJSG_SG_EEES6_PlJ7is_evenIyEEEE10hipError_tPvRmT3_T4_T5_T6_T7_T9_mT8_P12ihipStream_tbDpT10_ENKUlT_T0_E_clISt17integral_constantIbLb1EES18_IbLb0EEEEDaS14_S15_EUlS14_E_NS1_11comp_targetILNS1_3genE0ELNS1_11target_archE4294967295ELNS1_3gpuE0ELNS1_3repE0EEENS1_30default_config_static_selectorELNS0_4arch9wavefront6targetE1EEEvT1_,@function
_ZN7rocprim17ROCPRIM_400000_NS6detail17trampoline_kernelINS0_14default_configENS1_25partition_config_selectorILNS1_17partition_subalgoE0EyNS0_10empty_typeEbEEZZNS1_14partition_implILS5_0ELb0ES3_jN6thrust23THRUST_200600_302600_NS6detail15normal_iteratorINSA_10device_ptrIyEEEEPS6_SG_NS0_5tupleIJNSA_16discard_iteratorINSA_11use_defaultEEESF_EEENSH_IJSG_SG_EEES6_PlJ7is_evenIyEEEE10hipError_tPvRmT3_T4_T5_T6_T7_T9_mT8_P12ihipStream_tbDpT10_ENKUlT_T0_E_clISt17integral_constantIbLb1EES18_IbLb0EEEEDaS14_S15_EUlS14_E_NS1_11comp_targetILNS1_3genE0ELNS1_11target_archE4294967295ELNS1_3gpuE0ELNS1_3repE0EEENS1_30default_config_static_selectorELNS0_4arch9wavefront6targetE1EEEvT1_: ; @_ZN7rocprim17ROCPRIM_400000_NS6detail17trampoline_kernelINS0_14default_configENS1_25partition_config_selectorILNS1_17partition_subalgoE0EyNS0_10empty_typeEbEEZZNS1_14partition_implILS5_0ELb0ES3_jN6thrust23THRUST_200600_302600_NS6detail15normal_iteratorINSA_10device_ptrIyEEEEPS6_SG_NS0_5tupleIJNSA_16discard_iteratorINSA_11use_defaultEEESF_EEENSH_IJSG_SG_EEES6_PlJ7is_evenIyEEEE10hipError_tPvRmT3_T4_T5_T6_T7_T9_mT8_P12ihipStream_tbDpT10_ENKUlT_T0_E_clISt17integral_constantIbLb1EES18_IbLb0EEEEDaS14_S15_EUlS14_E_NS1_11comp_targetILNS1_3genE0ELNS1_11target_archE4294967295ELNS1_3gpuE0ELNS1_3repE0EEENS1_30default_config_static_selectorELNS0_4arch9wavefront6targetE1EEEvT1_
; %bb.0:
	.section	.rodata,"a",@progbits
	.p2align	6, 0x0
	.amdhsa_kernel _ZN7rocprim17ROCPRIM_400000_NS6detail17trampoline_kernelINS0_14default_configENS1_25partition_config_selectorILNS1_17partition_subalgoE0EyNS0_10empty_typeEbEEZZNS1_14partition_implILS5_0ELb0ES3_jN6thrust23THRUST_200600_302600_NS6detail15normal_iteratorINSA_10device_ptrIyEEEEPS6_SG_NS0_5tupleIJNSA_16discard_iteratorINSA_11use_defaultEEESF_EEENSH_IJSG_SG_EEES6_PlJ7is_evenIyEEEE10hipError_tPvRmT3_T4_T5_T6_T7_T9_mT8_P12ihipStream_tbDpT10_ENKUlT_T0_E_clISt17integral_constantIbLb1EES18_IbLb0EEEEDaS14_S15_EUlS14_E_NS1_11comp_targetILNS1_3genE0ELNS1_11target_archE4294967295ELNS1_3gpuE0ELNS1_3repE0EEENS1_30default_config_static_selectorELNS0_4arch9wavefront6targetE1EEEvT1_
		.amdhsa_group_segment_fixed_size 0
		.amdhsa_private_segment_fixed_size 0
		.amdhsa_kernarg_size 128
		.amdhsa_user_sgpr_count 2
		.amdhsa_user_sgpr_dispatch_ptr 0
		.amdhsa_user_sgpr_queue_ptr 0
		.amdhsa_user_sgpr_kernarg_segment_ptr 1
		.amdhsa_user_sgpr_dispatch_id 0
		.amdhsa_user_sgpr_kernarg_preload_length 0
		.amdhsa_user_sgpr_kernarg_preload_offset 0
		.amdhsa_user_sgpr_private_segment_size 0
		.amdhsa_uses_dynamic_stack 0
		.amdhsa_enable_private_segment 0
		.amdhsa_system_sgpr_workgroup_id_x 1
		.amdhsa_system_sgpr_workgroup_id_y 0
		.amdhsa_system_sgpr_workgroup_id_z 0
		.amdhsa_system_sgpr_workgroup_info 0
		.amdhsa_system_vgpr_workitem_id 0
		.amdhsa_next_free_vgpr 1
		.amdhsa_next_free_sgpr 0
		.amdhsa_accum_offset 4
		.amdhsa_reserve_vcc 0
		.amdhsa_float_round_mode_32 0
		.amdhsa_float_round_mode_16_64 0
		.amdhsa_float_denorm_mode_32 3
		.amdhsa_float_denorm_mode_16_64 3
		.amdhsa_dx10_clamp 1
		.amdhsa_ieee_mode 1
		.amdhsa_fp16_overflow 0
		.amdhsa_tg_split 0
		.amdhsa_exception_fp_ieee_invalid_op 0
		.amdhsa_exception_fp_denorm_src 0
		.amdhsa_exception_fp_ieee_div_zero 0
		.amdhsa_exception_fp_ieee_overflow 0
		.amdhsa_exception_fp_ieee_underflow 0
		.amdhsa_exception_fp_ieee_inexact 0
		.amdhsa_exception_int_div_zero 0
	.end_amdhsa_kernel
	.section	.text._ZN7rocprim17ROCPRIM_400000_NS6detail17trampoline_kernelINS0_14default_configENS1_25partition_config_selectorILNS1_17partition_subalgoE0EyNS0_10empty_typeEbEEZZNS1_14partition_implILS5_0ELb0ES3_jN6thrust23THRUST_200600_302600_NS6detail15normal_iteratorINSA_10device_ptrIyEEEEPS6_SG_NS0_5tupleIJNSA_16discard_iteratorINSA_11use_defaultEEESF_EEENSH_IJSG_SG_EEES6_PlJ7is_evenIyEEEE10hipError_tPvRmT3_T4_T5_T6_T7_T9_mT8_P12ihipStream_tbDpT10_ENKUlT_T0_E_clISt17integral_constantIbLb1EES18_IbLb0EEEEDaS14_S15_EUlS14_E_NS1_11comp_targetILNS1_3genE0ELNS1_11target_archE4294967295ELNS1_3gpuE0ELNS1_3repE0EEENS1_30default_config_static_selectorELNS0_4arch9wavefront6targetE1EEEvT1_,"axG",@progbits,_ZN7rocprim17ROCPRIM_400000_NS6detail17trampoline_kernelINS0_14default_configENS1_25partition_config_selectorILNS1_17partition_subalgoE0EyNS0_10empty_typeEbEEZZNS1_14partition_implILS5_0ELb0ES3_jN6thrust23THRUST_200600_302600_NS6detail15normal_iteratorINSA_10device_ptrIyEEEEPS6_SG_NS0_5tupleIJNSA_16discard_iteratorINSA_11use_defaultEEESF_EEENSH_IJSG_SG_EEES6_PlJ7is_evenIyEEEE10hipError_tPvRmT3_T4_T5_T6_T7_T9_mT8_P12ihipStream_tbDpT10_ENKUlT_T0_E_clISt17integral_constantIbLb1EES18_IbLb0EEEEDaS14_S15_EUlS14_E_NS1_11comp_targetILNS1_3genE0ELNS1_11target_archE4294967295ELNS1_3gpuE0ELNS1_3repE0EEENS1_30default_config_static_selectorELNS0_4arch9wavefront6targetE1EEEvT1_,comdat
.Lfunc_end2379:
	.size	_ZN7rocprim17ROCPRIM_400000_NS6detail17trampoline_kernelINS0_14default_configENS1_25partition_config_selectorILNS1_17partition_subalgoE0EyNS0_10empty_typeEbEEZZNS1_14partition_implILS5_0ELb0ES3_jN6thrust23THRUST_200600_302600_NS6detail15normal_iteratorINSA_10device_ptrIyEEEEPS6_SG_NS0_5tupleIJNSA_16discard_iteratorINSA_11use_defaultEEESF_EEENSH_IJSG_SG_EEES6_PlJ7is_evenIyEEEE10hipError_tPvRmT3_T4_T5_T6_T7_T9_mT8_P12ihipStream_tbDpT10_ENKUlT_T0_E_clISt17integral_constantIbLb1EES18_IbLb0EEEEDaS14_S15_EUlS14_E_NS1_11comp_targetILNS1_3genE0ELNS1_11target_archE4294967295ELNS1_3gpuE0ELNS1_3repE0EEENS1_30default_config_static_selectorELNS0_4arch9wavefront6targetE1EEEvT1_, .Lfunc_end2379-_ZN7rocprim17ROCPRIM_400000_NS6detail17trampoline_kernelINS0_14default_configENS1_25partition_config_selectorILNS1_17partition_subalgoE0EyNS0_10empty_typeEbEEZZNS1_14partition_implILS5_0ELb0ES3_jN6thrust23THRUST_200600_302600_NS6detail15normal_iteratorINSA_10device_ptrIyEEEEPS6_SG_NS0_5tupleIJNSA_16discard_iteratorINSA_11use_defaultEEESF_EEENSH_IJSG_SG_EEES6_PlJ7is_evenIyEEEE10hipError_tPvRmT3_T4_T5_T6_T7_T9_mT8_P12ihipStream_tbDpT10_ENKUlT_T0_E_clISt17integral_constantIbLb1EES18_IbLb0EEEEDaS14_S15_EUlS14_E_NS1_11comp_targetILNS1_3genE0ELNS1_11target_archE4294967295ELNS1_3gpuE0ELNS1_3repE0EEENS1_30default_config_static_selectorELNS0_4arch9wavefront6targetE1EEEvT1_
                                        ; -- End function
	.section	.AMDGPU.csdata,"",@progbits
; Kernel info:
; codeLenInByte = 0
; NumSgprs: 6
; NumVgprs: 0
; NumAgprs: 0
; TotalNumVgprs: 0
; ScratchSize: 0
; MemoryBound: 0
; FloatMode: 240
; IeeeMode: 1
; LDSByteSize: 0 bytes/workgroup (compile time only)
; SGPRBlocks: 0
; VGPRBlocks: 0
; NumSGPRsForWavesPerEU: 6
; NumVGPRsForWavesPerEU: 1
; AccumOffset: 4
; Occupancy: 8
; WaveLimiterHint : 0
; COMPUTE_PGM_RSRC2:SCRATCH_EN: 0
; COMPUTE_PGM_RSRC2:USER_SGPR: 2
; COMPUTE_PGM_RSRC2:TRAP_HANDLER: 0
; COMPUTE_PGM_RSRC2:TGID_X_EN: 1
; COMPUTE_PGM_RSRC2:TGID_Y_EN: 0
; COMPUTE_PGM_RSRC2:TGID_Z_EN: 0
; COMPUTE_PGM_RSRC2:TIDIG_COMP_CNT: 0
; COMPUTE_PGM_RSRC3_GFX90A:ACCUM_OFFSET: 0
; COMPUTE_PGM_RSRC3_GFX90A:TG_SPLIT: 0
	.section	.text._ZN7rocprim17ROCPRIM_400000_NS6detail17trampoline_kernelINS0_14default_configENS1_25partition_config_selectorILNS1_17partition_subalgoE0EyNS0_10empty_typeEbEEZZNS1_14partition_implILS5_0ELb0ES3_jN6thrust23THRUST_200600_302600_NS6detail15normal_iteratorINSA_10device_ptrIyEEEEPS6_SG_NS0_5tupleIJNSA_16discard_iteratorINSA_11use_defaultEEESF_EEENSH_IJSG_SG_EEES6_PlJ7is_evenIyEEEE10hipError_tPvRmT3_T4_T5_T6_T7_T9_mT8_P12ihipStream_tbDpT10_ENKUlT_T0_E_clISt17integral_constantIbLb1EES18_IbLb0EEEEDaS14_S15_EUlS14_E_NS1_11comp_targetILNS1_3genE5ELNS1_11target_archE942ELNS1_3gpuE9ELNS1_3repE0EEENS1_30default_config_static_selectorELNS0_4arch9wavefront6targetE1EEEvT1_,"axG",@progbits,_ZN7rocprim17ROCPRIM_400000_NS6detail17trampoline_kernelINS0_14default_configENS1_25partition_config_selectorILNS1_17partition_subalgoE0EyNS0_10empty_typeEbEEZZNS1_14partition_implILS5_0ELb0ES3_jN6thrust23THRUST_200600_302600_NS6detail15normal_iteratorINSA_10device_ptrIyEEEEPS6_SG_NS0_5tupleIJNSA_16discard_iteratorINSA_11use_defaultEEESF_EEENSH_IJSG_SG_EEES6_PlJ7is_evenIyEEEE10hipError_tPvRmT3_T4_T5_T6_T7_T9_mT8_P12ihipStream_tbDpT10_ENKUlT_T0_E_clISt17integral_constantIbLb1EES18_IbLb0EEEEDaS14_S15_EUlS14_E_NS1_11comp_targetILNS1_3genE5ELNS1_11target_archE942ELNS1_3gpuE9ELNS1_3repE0EEENS1_30default_config_static_selectorELNS0_4arch9wavefront6targetE1EEEvT1_,comdat
	.protected	_ZN7rocprim17ROCPRIM_400000_NS6detail17trampoline_kernelINS0_14default_configENS1_25partition_config_selectorILNS1_17partition_subalgoE0EyNS0_10empty_typeEbEEZZNS1_14partition_implILS5_0ELb0ES3_jN6thrust23THRUST_200600_302600_NS6detail15normal_iteratorINSA_10device_ptrIyEEEEPS6_SG_NS0_5tupleIJNSA_16discard_iteratorINSA_11use_defaultEEESF_EEENSH_IJSG_SG_EEES6_PlJ7is_evenIyEEEE10hipError_tPvRmT3_T4_T5_T6_T7_T9_mT8_P12ihipStream_tbDpT10_ENKUlT_T0_E_clISt17integral_constantIbLb1EES18_IbLb0EEEEDaS14_S15_EUlS14_E_NS1_11comp_targetILNS1_3genE5ELNS1_11target_archE942ELNS1_3gpuE9ELNS1_3repE0EEENS1_30default_config_static_selectorELNS0_4arch9wavefront6targetE1EEEvT1_ ; -- Begin function _ZN7rocprim17ROCPRIM_400000_NS6detail17trampoline_kernelINS0_14default_configENS1_25partition_config_selectorILNS1_17partition_subalgoE0EyNS0_10empty_typeEbEEZZNS1_14partition_implILS5_0ELb0ES3_jN6thrust23THRUST_200600_302600_NS6detail15normal_iteratorINSA_10device_ptrIyEEEEPS6_SG_NS0_5tupleIJNSA_16discard_iteratorINSA_11use_defaultEEESF_EEENSH_IJSG_SG_EEES6_PlJ7is_evenIyEEEE10hipError_tPvRmT3_T4_T5_T6_T7_T9_mT8_P12ihipStream_tbDpT10_ENKUlT_T0_E_clISt17integral_constantIbLb1EES18_IbLb0EEEEDaS14_S15_EUlS14_E_NS1_11comp_targetILNS1_3genE5ELNS1_11target_archE942ELNS1_3gpuE9ELNS1_3repE0EEENS1_30default_config_static_selectorELNS0_4arch9wavefront6targetE1EEEvT1_
	.globl	_ZN7rocprim17ROCPRIM_400000_NS6detail17trampoline_kernelINS0_14default_configENS1_25partition_config_selectorILNS1_17partition_subalgoE0EyNS0_10empty_typeEbEEZZNS1_14partition_implILS5_0ELb0ES3_jN6thrust23THRUST_200600_302600_NS6detail15normal_iteratorINSA_10device_ptrIyEEEEPS6_SG_NS0_5tupleIJNSA_16discard_iteratorINSA_11use_defaultEEESF_EEENSH_IJSG_SG_EEES6_PlJ7is_evenIyEEEE10hipError_tPvRmT3_T4_T5_T6_T7_T9_mT8_P12ihipStream_tbDpT10_ENKUlT_T0_E_clISt17integral_constantIbLb1EES18_IbLb0EEEEDaS14_S15_EUlS14_E_NS1_11comp_targetILNS1_3genE5ELNS1_11target_archE942ELNS1_3gpuE9ELNS1_3repE0EEENS1_30default_config_static_selectorELNS0_4arch9wavefront6targetE1EEEvT1_
	.p2align	8
	.type	_ZN7rocprim17ROCPRIM_400000_NS6detail17trampoline_kernelINS0_14default_configENS1_25partition_config_selectorILNS1_17partition_subalgoE0EyNS0_10empty_typeEbEEZZNS1_14partition_implILS5_0ELb0ES3_jN6thrust23THRUST_200600_302600_NS6detail15normal_iteratorINSA_10device_ptrIyEEEEPS6_SG_NS0_5tupleIJNSA_16discard_iteratorINSA_11use_defaultEEESF_EEENSH_IJSG_SG_EEES6_PlJ7is_evenIyEEEE10hipError_tPvRmT3_T4_T5_T6_T7_T9_mT8_P12ihipStream_tbDpT10_ENKUlT_T0_E_clISt17integral_constantIbLb1EES18_IbLb0EEEEDaS14_S15_EUlS14_E_NS1_11comp_targetILNS1_3genE5ELNS1_11target_archE942ELNS1_3gpuE9ELNS1_3repE0EEENS1_30default_config_static_selectorELNS0_4arch9wavefront6targetE1EEEvT1_,@function
_ZN7rocprim17ROCPRIM_400000_NS6detail17trampoline_kernelINS0_14default_configENS1_25partition_config_selectorILNS1_17partition_subalgoE0EyNS0_10empty_typeEbEEZZNS1_14partition_implILS5_0ELb0ES3_jN6thrust23THRUST_200600_302600_NS6detail15normal_iteratorINSA_10device_ptrIyEEEEPS6_SG_NS0_5tupleIJNSA_16discard_iteratorINSA_11use_defaultEEESF_EEENSH_IJSG_SG_EEES6_PlJ7is_evenIyEEEE10hipError_tPvRmT3_T4_T5_T6_T7_T9_mT8_P12ihipStream_tbDpT10_ENKUlT_T0_E_clISt17integral_constantIbLb1EES18_IbLb0EEEEDaS14_S15_EUlS14_E_NS1_11comp_targetILNS1_3genE5ELNS1_11target_archE942ELNS1_3gpuE9ELNS1_3repE0EEENS1_30default_config_static_selectorELNS0_4arch9wavefront6targetE1EEEvT1_: ; @_ZN7rocprim17ROCPRIM_400000_NS6detail17trampoline_kernelINS0_14default_configENS1_25partition_config_selectorILNS1_17partition_subalgoE0EyNS0_10empty_typeEbEEZZNS1_14partition_implILS5_0ELb0ES3_jN6thrust23THRUST_200600_302600_NS6detail15normal_iteratorINSA_10device_ptrIyEEEEPS6_SG_NS0_5tupleIJNSA_16discard_iteratorINSA_11use_defaultEEESF_EEENSH_IJSG_SG_EEES6_PlJ7is_evenIyEEEE10hipError_tPvRmT3_T4_T5_T6_T7_T9_mT8_P12ihipStream_tbDpT10_ENKUlT_T0_E_clISt17integral_constantIbLb1EES18_IbLb0EEEEDaS14_S15_EUlS14_E_NS1_11comp_targetILNS1_3genE5ELNS1_11target_archE942ELNS1_3gpuE9ELNS1_3repE0EEENS1_30default_config_static_selectorELNS0_4arch9wavefront6targetE1EEEvT1_
; %bb.0:
	s_load_dwordx2 s[4:5], s[0:1], 0x60
	s_load_dwordx4 s[20:23], s[0:1], 0x8
	s_load_dwordx4 s[24:27], s[0:1], 0x50
	s_load_dword s3, s[0:1], 0x78
	s_mul_i32 s8, s2, 0xe00
	s_waitcnt lgkmcnt(0)
	v_mov_b32_e32 v3, s5
	s_lshl_b64 s[6:7], s[22:23], 3
	s_add_u32 s10, s20, s6
	s_addc_u32 s11, s21, s7
	s_add_i32 s6, s3, -1
	s_mulk_i32 s3, 0xe00
	s_add_i32 s5, s3, s22
	s_sub_i32 s33, s4, s5
	s_addk_i32 s33, 0xe00
	v_mov_b32_e32 v2, s4
	s_add_u32 s4, s22, s3
	s_addc_u32 s5, s23, 0
	s_cmp_eq_u32 s2, s6
	s_load_dwordx2 s[28:29], s[26:27], 0x0
	s_cselect_b64 s[26:27], -1, 0
	s_cmp_lg_u32 s2, s6
	s_mov_b32 s9, 0
	v_cmp_lt_u64_e32 vcc, s[4:5], v[2:3]
	s_cselect_b64 s[4:5], -1, 0
	s_or_b64 s[6:7], s[4:5], vcc
	s_lshl_b64 s[30:31], s[8:9], 3
	s_add_u32 s8, s10, s30
	s_addc_u32 s9, s11, s31
	s_mov_b64 s[4:5], -1
	s_and_b64 vcc, exec, s[6:7]
	v_lshlrev_b32_e32 v18, 3, v0
	s_cbranch_vccz .LBB2380_2
; %bb.1:
	v_mov_b32_e32 v19, 0
	v_lshl_add_u64 v[2:3], s[8:9], 0, v[18:19]
	v_add_co_u32_e32 v4, vcc, 0x1000, v2
	s_mov_b64 s[4:5], 0
	s_nop 0
	v_addc_co_u32_e32 v5, vcc, 0, v3, vcc
	v_add_co_u32_e32 v6, vcc, 0x2000, v2
	s_nop 1
	v_addc_co_u32_e32 v7, vcc, 0, v3, vcc
	v_add_co_u32_e32 v8, vcc, 0x3000, v2
	s_nop 1
	v_addc_co_u32_e32 v9, vcc, 0, v3, vcc
	flat_load_dwordx2 v[10:11], v[2:3]
	flat_load_dwordx2 v[12:13], v[4:5]
	;; [unrolled: 1-line block ×4, first 2 shown]
	v_add_co_u32_e32 v4, vcc, 0x4000, v2
	s_nop 1
	v_addc_co_u32_e32 v5, vcc, 0, v3, vcc
	v_add_co_u32_e32 v6, vcc, 0x5000, v2
	s_nop 1
	v_addc_co_u32_e32 v7, vcc, 0, v3, vcc
	;; [unrolled: 3-line block ×3, first 2 shown]
	flat_load_dwordx2 v[8:9], v[4:5]
	flat_load_dwordx2 v[20:21], v[6:7]
	flat_load_dwordx2 v[22:23], v[2:3]
	s_waitcnt vmcnt(0) lgkmcnt(0)
	ds_write2st64_b64 v18, v[10:11], v[12:13] offset1:8
	ds_write2st64_b64 v18, v[14:15], v[16:17] offset0:16 offset1:24
	ds_write2st64_b64 v18, v[8:9], v[20:21] offset0:32 offset1:40
	ds_write_b64 v18, v[22:23] offset:24576
	s_waitcnt lgkmcnt(0)
	s_barrier
.LBB2380_2:
	s_andn2_b64 vcc, exec, s[4:5]
	v_cmp_gt_u32_e64 s[4:5], s33, v0
	s_cbranch_vccnz .LBB2380_18
; %bb.3:
                                        ; implicit-def: $vgpr2_vgpr3_vgpr4_vgpr5_vgpr6_vgpr7_vgpr8_vgpr9_vgpr10_vgpr11_vgpr12_vgpr13_vgpr14_vgpr15_vgpr16_vgpr17
	s_and_saveexec_b64 s[10:11], s[4:5]
	s_cbranch_execz .LBB2380_5
; %bb.4:
	v_mov_b32_e32 v19, 0
	v_lshl_add_u64 v[2:3], s[8:9], 0, v[18:19]
	flat_load_dwordx2 v[2:3], v[2:3]
.LBB2380_5:
	s_or_b64 exec, exec, s[10:11]
	v_or_b32_e32 v1, 0x200, v0
	v_cmp_gt_u32_e32 vcc, s33, v1
	s_and_saveexec_b64 s[4:5], vcc
	s_cbranch_execz .LBB2380_7
; %bb.6:
	v_lshlrev_b32_e32 v4, 3, v1
	v_mov_b32_e32 v5, 0
	v_lshl_add_u64 v[4:5], s[8:9], 0, v[4:5]
	flat_load_dwordx2 v[4:5], v[4:5]
.LBB2380_7:
	s_or_b64 exec, exec, s[4:5]
	v_or_b32_e32 v1, 0x400, v0
	v_cmp_gt_u32_e32 vcc, s33, v1
	s_and_saveexec_b64 s[4:5], vcc
	s_cbranch_execz .LBB2380_9
; %bb.8:
	v_lshlrev_b32_e32 v6, 3, v1
	v_mov_b32_e32 v7, 0
	v_lshl_add_u64 v[6:7], s[8:9], 0, v[6:7]
	flat_load_dwordx2 v[6:7], v[6:7]
.LBB2380_9:
	;; [unrolled: 11-line block ×6, first 2 shown]
	s_or_b64 exec, exec, s[4:5]
	s_waitcnt vmcnt(0) lgkmcnt(0)
	ds_write2st64_b64 v18, v[2:3], v[4:5] offset1:8
	ds_write2st64_b64 v18, v[6:7], v[8:9] offset0:16 offset1:24
	ds_write2st64_b64 v18, v[10:11], v[12:13] offset0:32 offset1:40
	ds_write_b64 v18, v[14:15] offset:24576
	s_waitcnt lgkmcnt(0)
	s_barrier
.LBB2380_18:
	v_mul_u32_u24_e32 v1, 7, v0
	v_lshlrev_b32_e32 v32, 3, v1
	s_waitcnt lgkmcnt(0)
	ds_read2_b64 v[10:13], v32 offset1:1
	ds_read2_b64 v[6:9], v32 offset0:2 offset1:3
	ds_read2_b64 v[2:5], v32 offset0:4 offset1:5
	ds_read_b64 v[14:15], v32 offset:48
	v_cndmask_b32_e64 v16, 0, 1, s[6:7]
	v_cmp_ne_u32_e64 s[20:21], 1, v16
	s_andn2_b64 vcc, exec, s[6:7]
	s_waitcnt lgkmcnt(3)
	v_xor_b32_e32 v24, -1, v10
	v_xor_b32_e32 v23, -1, v12
	s_waitcnt lgkmcnt(2)
	v_xor_b32_e32 v22, -1, v6
	v_xor_b32_e32 v21, -1, v8
	;; [unrolled: 3-line block ×3, first 2 shown]
	s_waitcnt lgkmcnt(0)
	v_xor_b32_e32 v16, -1, v14
	s_barrier
	s_cbranch_vccnz .LBB2380_20
; %bb.19:
	v_mov_b32_e32 v19, 1
	v_and_b32_e32 v25, 1, v24
	v_and_b32_sdwa v26, v23, v19 dst_sel:BYTE_1 dst_unused:UNUSED_PAD src0_sel:DWORD src1_sel:DWORD
	v_and_b32_e32 v27, 1, v22
	v_and_b32_sdwa v30, v21, v19 dst_sel:BYTE_1 dst_unused:UNUSED_PAD src0_sel:DWORD src1_sel:DWORD
	v_or_b32_e32 v25, v25, v26
	v_or_b32_sdwa v26, v27, v30 dst_sel:WORD_1 dst_unused:UNUSED_PAD src0_sel:DWORD src1_sel:DWORD
	v_and_b32_e32 v29, 1, v20
	v_and_b32_e32 v28, 1, v17
	;; [unrolled: 1-line block ×3, first 2 shown]
	v_or_b32_sdwa v30, v25, v26 dst_sel:DWORD dst_unused:UNUSED_PAD src0_sel:WORD_0 src1_sel:DWORD
	s_load_dwordx2 s[34:35], s[0:1], 0x70
	s_cbranch_execz .LBB2380_21
	s_branch .LBB2380_22
.LBB2380_20:
                                        ; implicit-def: $vgpr19
                                        ; implicit-def: $vgpr28
                                        ; implicit-def: $vgpr29
                                        ; implicit-def: $vgpr30
	s_load_dwordx2 s[34:35], s[0:1], 0x70
.LBB2380_21:
	v_add_u32_e32 v19, 1, v1
	v_cmp_gt_u32_e32 vcc, s33, v1
	v_add_u32_e32 v25, 2, v1
	v_add_u32_e32 v26, 3, v1
	v_cndmask_b32_e64 v29, 0, 1, vcc
	v_cmp_gt_u32_e32 vcc, s33, v19
	v_add_u32_e32 v27, 4, v1
	v_add_u32_e32 v28, 5, v1
	v_cndmask_b32_e64 v19, 0, 1, vcc
	v_cmp_gt_u32_e32 vcc, s33, v25
	v_and_b32_sdwa v23, v19, v23 dst_sel:BYTE_1 dst_unused:UNUSED_PAD src0_sel:DWORD src1_sel:DWORD
	v_add_u32_e32 v30, 6, v1
	v_cndmask_b32_e64 v19, 0, 1, vcc
	v_cmp_gt_u32_e32 vcc, s33, v26
	v_and_b32_e32 v22, v19, v22
	v_and_b32_e32 v24, v29, v24
	v_cndmask_b32_e64 v19, 0, 1, vcc
	v_cmp_gt_u32_e32 vcc, s33, v27
	v_and_b32_sdwa v21, v19, v21 dst_sel:BYTE_1 dst_unused:UNUSED_PAD src0_sel:DWORD src1_sel:DWORD
	s_nop 0
	v_cndmask_b32_e64 v19, 0, 1, vcc
	v_cmp_gt_u32_e32 vcc, s33, v28
	v_and_b32_e32 v29, v19, v20
	s_nop 0
	v_cndmask_b32_e64 v19, 0, 1, vcc
	v_cmp_gt_u32_e32 vcc, s33, v30
	v_and_b32_e32 v28, v19, v17
	s_nop 0
	v_cndmask_b32_e64 v17, 0, 1, vcc
	v_and_b32_e32 v19, v17, v16
	v_or_b32_e32 v16, v24, v23
	v_or_b32_sdwa v17, v22, v21 dst_sel:WORD_1 dst_unused:UNUSED_PAD src0_sel:DWORD src1_sel:DWORD
	s_nop 0
	v_or_b32_sdwa v30, v16, v17 dst_sel:DWORD dst_unused:UNUSED_PAD src0_sel:WORD_0 src1_sel:DWORD
.LBB2380_22:
	v_and_b32_e32 v33, 0xff, v30
	v_bfe_u32 v34, v30, 8, 8
	v_bfe_u32 v35, v30, 16, 8
	v_lshrrev_b32_e32 v31, 24, v30
	v_and_b32_e32 v36, 0xff, v29
	v_add3_u32 v17, v34, v33, v35
	v_and_b32_e32 v37, 0xff, v28
	v_and_b32_e32 v16, 0xff, v19
	v_add3_u32 v17, v17, v31, v36
	v_add3_u32 v40, v17, v37, v16
	v_mbcnt_lo_u32_b32 v16, -1, 0
	v_mbcnt_hi_u32_b32 v38, -1, v16
	v_and_b32_e32 v16, 15, v38
	v_cmp_eq_u32_e64 s[16:17], 0, v16
	v_cmp_lt_u32_e64 s[14:15], 1, v16
	v_cmp_lt_u32_e64 s[12:13], 3, v16
	;; [unrolled: 1-line block ×3, first 2 shown]
	v_and_b32_e32 v16, 16, v38
	v_cmp_eq_u32_e64 s[8:9], 0, v16
	v_or_b32_e32 v16, 63, v0
	s_cmp_lg_u32 s2, 0
	v_cmp_lt_u32_e64 s[4:5], 31, v38
	v_lshrrev_b32_e32 v39, 6, v0
	v_cmp_eq_u32_e64 s[6:7], v16, v0
	s_cbranch_scc0 .LBB2380_53
; %bb.23:
	v_mov_b32_dpp v16, v40 row_shr:1 row_mask:0xf bank_mask:0xf
	v_cndmask_b32_e64 v16, v16, 0, s[16:17]
	v_add_u32_e32 v16, v16, v40
	s_nop 1
	v_mov_b32_dpp v17, v16 row_shr:2 row_mask:0xf bank_mask:0xf
	v_cndmask_b32_e64 v17, 0, v17, s[14:15]
	v_add_u32_e32 v16, v16, v17
	s_nop 1
	v_mov_b32_dpp v17, v16 row_shr:4 row_mask:0xf bank_mask:0xf
	v_cndmask_b32_e64 v17, 0, v17, s[12:13]
	v_add_u32_e32 v16, v16, v17
	s_nop 1
	v_mov_b32_dpp v17, v16 row_shr:8 row_mask:0xf bank_mask:0xf
	v_cndmask_b32_e64 v17, 0, v17, s[10:11]
	v_add_u32_e32 v16, v16, v17
	s_nop 1
	v_mov_b32_dpp v17, v16 row_bcast:15 row_mask:0xf bank_mask:0xf
	v_cndmask_b32_e64 v17, v17, 0, s[8:9]
	v_add_u32_e32 v16, v16, v17
	s_nop 1
	v_mov_b32_dpp v17, v16 row_bcast:31 row_mask:0xf bank_mask:0xf
	v_cndmask_b32_e64 v17, 0, v17, s[4:5]
	v_add_u32_e32 v16, v16, v17
	s_and_saveexec_b64 s[18:19], s[6:7]
	s_cbranch_execz .LBB2380_25
; %bb.24:
	v_lshlrev_b32_e32 v17, 2, v39
	ds_write_b32 v17, v16
.LBB2380_25:
	s_or_b64 exec, exec, s[18:19]
	v_cmp_gt_u32_e32 vcc, 8, v0
	s_waitcnt lgkmcnt(0)
	s_barrier
	s_and_saveexec_b64 s[18:19], vcc
	s_cbranch_execz .LBB2380_27
; %bb.26:
	v_lshlrev_b32_e32 v17, 2, v0
	ds_read_b32 v20, v17
	v_and_b32_e32 v21, 7, v38
	v_cmp_ne_u32_e32 vcc, 0, v21
	s_waitcnt lgkmcnt(0)
	v_mov_b32_dpp v22, v20 row_shr:1 row_mask:0xf bank_mask:0xf
	v_cndmask_b32_e32 v22, 0, v22, vcc
	v_add_u32_e32 v20, v22, v20
	v_cmp_lt_u32_e32 vcc, 1, v21
	s_nop 0
	v_mov_b32_dpp v22, v20 row_shr:2 row_mask:0xf bank_mask:0xf
	v_cndmask_b32_e32 v22, 0, v22, vcc
	v_add_u32_e32 v20, v20, v22
	v_cmp_lt_u32_e32 vcc, 3, v21
	s_nop 0
	v_mov_b32_dpp v22, v20 row_shr:4 row_mask:0xf bank_mask:0xf
	v_cndmask_b32_e32 v21, 0, v22, vcc
	v_add_u32_e32 v20, v20, v21
	ds_write_b32 v17, v20
.LBB2380_27:
	s_or_b64 exec, exec, s[18:19]
	v_cmp_gt_u32_e32 vcc, 64, v0
	v_cmp_lt_u32_e64 s[18:19], 63, v0
	s_waitcnt lgkmcnt(0)
	s_barrier
	s_waitcnt lgkmcnt(0)
                                        ; implicit-def: $vgpr41
	s_and_saveexec_b64 s[36:37], s[18:19]
	s_cbranch_execz .LBB2380_29
; %bb.28:
	v_lshl_add_u32 v17, v39, 2, -4
	ds_read_b32 v41, v17
	s_waitcnt lgkmcnt(0)
	v_add_u32_e32 v16, v41, v16
.LBB2380_29:
	s_or_b64 exec, exec, s[36:37]
	v_add_u32_e32 v17, -1, v38
	v_and_b32_e32 v20, 64, v38
	v_cmp_lt_i32_e64 s[18:19], v17, v20
	s_nop 1
	v_cndmask_b32_e64 v17, v17, v38, s[18:19]
	v_lshlrev_b32_e32 v17, 2, v17
	ds_bpermute_b32 v42, v17, v16
	v_cmp_eq_u32_e64 s[18:19], 0, v38
	s_and_saveexec_b64 s[36:37], vcc
	s_cbranch_execz .LBB2380_52
; %bb.30:
	v_mov_b32_e32 v27, 0
	ds_read_b32 v16, v27 offset:28
	s_and_saveexec_b64 s[38:39], s[18:19]
	s_cbranch_execz .LBB2380_32
; %bb.31:
	s_add_i32 s40, s2, 64
	s_mov_b32 s41, 0
	s_lshl_b64 s[40:41], s[40:41], 3
	s_add_u32 s40, s34, s40
	v_mov_b32_e32 v17, 1
	s_addc_u32 s41, s35, s41
	s_waitcnt lgkmcnt(0)
	global_store_dwordx2 v27, v[16:17], s[40:41] sc1
.LBB2380_32:
	s_or_b64 exec, exec, s[38:39]
	v_xad_u32 v20, v38, -1, s2
	v_add_u32_e32 v26, 64, v20
	v_lshl_add_u64 v[22:23], v[26:27], 3, s[34:35]
	global_load_dwordx2 v[24:25], v[22:23], off sc1
	s_waitcnt vmcnt(0)
	v_cmp_eq_u16_sdwa s[40:41], v25, v27 src0_sel:BYTE_0 src1_sel:DWORD
	s_and_saveexec_b64 s[38:39], s[40:41]
	s_cbranch_execz .LBB2380_38
; %bb.33:
	s_mov_b32 s3, 1
	s_mov_b64 s[40:41], 0
	v_mov_b32_e32 v17, 0
.LBB2380_34:                            ; =>This Loop Header: Depth=1
                                        ;     Child Loop BB2380_35 Depth 2
	s_max_u32 s42, s3, 1
.LBB2380_35:                            ;   Parent Loop BB2380_34 Depth=1
                                        ; =>  This Inner Loop Header: Depth=2
	s_add_i32 s42, s42, -1
	s_cmp_eq_u32 s42, 0
	s_sleep 1
	s_cbranch_scc0 .LBB2380_35
; %bb.36:                               ;   in Loop: Header=BB2380_34 Depth=1
	global_load_dwordx2 v[24:25], v[22:23], off sc1
	s_cmp_lt_u32 s3, 32
	s_cselect_b64 s[42:43], -1, 0
	s_cmp_lg_u64 s[42:43], 0
	s_addc_u32 s3, s3, 0
	s_waitcnt vmcnt(0)
	v_cmp_ne_u16_sdwa s[42:43], v25, v17 src0_sel:BYTE_0 src1_sel:DWORD
	s_or_b64 s[40:41], s[42:43], s[40:41]
	s_andn2_b64 exec, exec, s[40:41]
	s_cbranch_execnz .LBB2380_34
; %bb.37:
	s_or_b64 exec, exec, s[40:41]
.LBB2380_38:
	s_or_b64 exec, exec, s[38:39]
	v_and_b32_e32 v44, 63, v38
	v_mov_b32_e32 v43, 2
	v_cmp_ne_u32_e32 vcc, 63, v44
	v_cmp_eq_u16_sdwa s[38:39], v25, v43 src0_sel:BYTE_0 src1_sel:DWORD
	v_lshlrev_b64 v[22:23], v38, -1
	v_addc_co_u32_e32 v26, vcc, 0, v38, vcc
	v_and_b32_e32 v17, s39, v23
	v_lshlrev_b32_e32 v45, 2, v26
	v_or_b32_e32 v17, 0x80000000, v17
	ds_bpermute_b32 v26, v45, v24
	v_and_b32_e32 v21, s38, v22
	v_ffbl_b32_e32 v17, v17
	v_add_u32_e32 v17, 32, v17
	v_ffbl_b32_e32 v21, v21
	v_min_u32_e32 v17, v21, v17
	v_cmp_lt_u32_e32 vcc, v44, v17
	v_add_u32_e32 v47, 2, v44
	v_add_u32_e32 v49, 4, v44
	s_waitcnt lgkmcnt(0)
	v_cndmask_b32_e32 v21, 0, v26, vcc
	v_cmp_gt_u32_e32 vcc, 62, v44
	v_add_u32_e32 v21, v21, v24
	v_add_u32_e32 v51, 8, v44
	v_cndmask_b32_e64 v24, 0, 1, vcc
	v_lshlrev_b32_e32 v24, 1, v24
	v_add_lshl_u32 v46, v24, v38, 2
	ds_bpermute_b32 v24, v46, v21
	v_cmp_le_u32_e32 vcc, v47, v17
	v_add_u32_e32 v53, 16, v44
	v_add_u32_e32 v55, 32, v44
	s_waitcnt lgkmcnt(0)
	v_cndmask_b32_e32 v24, 0, v24, vcc
	v_cmp_gt_u32_e32 vcc, 60, v44
	v_add_u32_e32 v21, v21, v24
	s_nop 0
	v_cndmask_b32_e64 v24, 0, 1, vcc
	v_lshlrev_b32_e32 v24, 2, v24
	v_add_lshl_u32 v48, v24, v38, 2
	ds_bpermute_b32 v24, v48, v21
	v_cmp_le_u32_e32 vcc, v49, v17
	s_waitcnt lgkmcnt(0)
	s_nop 0
	v_cndmask_b32_e32 v24, 0, v24, vcc
	v_cmp_gt_u32_e32 vcc, 56, v44
	v_add_u32_e32 v21, v21, v24
	s_nop 0
	v_cndmask_b32_e64 v24, 0, 1, vcc
	v_lshlrev_b32_e32 v24, 3, v24
	v_add_lshl_u32 v50, v24, v38, 2
	ds_bpermute_b32 v24, v50, v21
	v_cmp_le_u32_e32 vcc, v51, v17
	s_waitcnt lgkmcnt(0)
	s_nop 0
	v_cndmask_b32_e32 v24, 0, v24, vcc
	v_cmp_gt_u32_e32 vcc, 48, v44
	v_add_u32_e32 v21, v21, v24
	s_nop 0
	v_cndmask_b32_e64 v24, 0, 1, vcc
	v_lshlrev_b32_e32 v24, 4, v24
	v_add_lshl_u32 v52, v24, v38, 2
	ds_bpermute_b32 v24, v52, v21
	v_cmp_le_u32_e32 vcc, v53, v17
	s_waitcnt lgkmcnt(0)
	s_nop 0
	v_cndmask_b32_e32 v24, 0, v24, vcc
	v_cmp_gt_u32_e32 vcc, 32, v44
	v_add_u32_e32 v21, v21, v24
	s_nop 0
	v_cndmask_b32_e64 v24, 0, 1, vcc
	v_lshlrev_b32_e32 v24, 5, v24
	v_add_lshl_u32 v54, v24, v38, 2
	ds_bpermute_b32 v24, v54, v21
	v_cmp_le_u32_e32 vcc, v55, v17
	s_waitcnt lgkmcnt(0)
	s_nop 0
	v_cndmask_b32_e32 v17, 0, v24, vcc
	v_add_u32_e32 v24, v21, v17
	v_mov_b32_e32 v21, 0
	s_branch .LBB2380_40
.LBB2380_39:                            ;   in Loop: Header=BB2380_40 Depth=1
	s_or_b64 exec, exec, s[38:39]
	v_cmp_eq_u16_sdwa s[38:39], v25, v43 src0_sel:BYTE_0 src1_sel:DWORD
	ds_bpermute_b32 v56, v45, v24
	v_subrev_u32_e32 v20, 64, v20
	v_and_b32_e32 v26, s39, v23
	v_or_b32_e32 v26, 0x80000000, v26
	v_and_b32_e32 v27, s38, v22
	v_ffbl_b32_e32 v26, v26
	v_add_u32_e32 v26, 32, v26
	v_ffbl_b32_e32 v27, v27
	v_min_u32_e32 v26, v27, v26
	v_cmp_lt_u32_e32 vcc, v44, v26
	s_waitcnt lgkmcnt(0)
	s_nop 0
	v_cndmask_b32_e32 v27, 0, v56, vcc
	v_add_u32_e32 v24, v27, v24
	ds_bpermute_b32 v27, v46, v24
	v_cmp_le_u32_e32 vcc, v47, v26
	s_waitcnt lgkmcnt(0)
	s_nop 0
	v_cndmask_b32_e32 v27, 0, v27, vcc
	v_add_u32_e32 v24, v24, v27
	ds_bpermute_b32 v27, v48, v24
	v_cmp_le_u32_e32 vcc, v49, v26
	;; [unrolled: 6-line block ×5, first 2 shown]
	s_waitcnt lgkmcnt(0)
	s_nop 0
	v_cndmask_b32_e32 v26, 0, v27, vcc
	v_add3_u32 v24, v26, v17, v24
.LBB2380_40:                            ; =>This Loop Header: Depth=1
                                        ;     Child Loop BB2380_43 Depth 2
                                        ;       Child Loop BB2380_44 Depth 3
	v_cmp_ne_u16_sdwa s[38:39], v25, v43 src0_sel:BYTE_0 src1_sel:DWORD
	s_nop 1
	v_cndmask_b32_e64 v17, 0, 1, s[38:39]
	;;#ASMSTART
	;;#ASMEND
	s_nop 0
	v_cmp_ne_u32_e32 vcc, 0, v17
	s_cmp_lg_u64 vcc, exec
	v_mov_b32_e32 v17, v24
	s_cbranch_scc1 .LBB2380_47
; %bb.41:                               ;   in Loop: Header=BB2380_40 Depth=1
	v_lshl_add_u64 v[26:27], v[20:21], 3, s[34:35]
	global_load_dwordx2 v[24:25], v[26:27], off sc1
	s_waitcnt vmcnt(0)
	v_cmp_eq_u16_sdwa s[40:41], v25, v21 src0_sel:BYTE_0 src1_sel:DWORD
	s_and_saveexec_b64 s[38:39], s[40:41]
	s_cbranch_execz .LBB2380_39
; %bb.42:                               ;   in Loop: Header=BB2380_40 Depth=1
	s_mov_b32 s3, 1
	s_mov_b64 s[40:41], 0
.LBB2380_43:                            ;   Parent Loop BB2380_40 Depth=1
                                        ; =>  This Loop Header: Depth=2
                                        ;       Child Loop BB2380_44 Depth 3
	s_max_u32 s42, s3, 1
.LBB2380_44:                            ;   Parent Loop BB2380_40 Depth=1
                                        ;     Parent Loop BB2380_43 Depth=2
                                        ; =>    This Inner Loop Header: Depth=3
	s_add_i32 s42, s42, -1
	s_cmp_eq_u32 s42, 0
	s_sleep 1
	s_cbranch_scc0 .LBB2380_44
; %bb.45:                               ;   in Loop: Header=BB2380_43 Depth=2
	global_load_dwordx2 v[24:25], v[26:27], off sc1
	s_cmp_lt_u32 s3, 32
	s_cselect_b64 s[42:43], -1, 0
	s_cmp_lg_u64 s[42:43], 0
	s_addc_u32 s3, s3, 0
	s_waitcnt vmcnt(0)
	v_cmp_ne_u16_sdwa s[42:43], v25, v21 src0_sel:BYTE_0 src1_sel:DWORD
	s_or_b64 s[40:41], s[42:43], s[40:41]
	s_andn2_b64 exec, exec, s[40:41]
	s_cbranch_execnz .LBB2380_43
; %bb.46:                               ;   in Loop: Header=BB2380_40 Depth=1
	s_or_b64 exec, exec, s[40:41]
	s_branch .LBB2380_39
.LBB2380_47:                            ;   in Loop: Header=BB2380_40 Depth=1
                                        ; implicit-def: $vgpr24
                                        ; implicit-def: $vgpr25
	s_cbranch_execz .LBB2380_40
; %bb.48:
	s_and_saveexec_b64 s[38:39], s[18:19]
	s_cbranch_execz .LBB2380_50
; %bb.49:
	s_add_i32 s2, s2, 64
	s_mov_b32 s3, 0
	s_lshl_b64 s[2:3], s[2:3], 3
	s_add_u32 s2, s34, s2
	v_add_u32_e32 v20, v17, v16
	v_mov_b32_e32 v21, 2
	s_addc_u32 s3, s35, s3
	v_mov_b32_e32 v22, 0
	global_store_dwordx2 v22, v[20:21], s[2:3] sc1
	ds_write_b64 v22, v[16:17] offset:28672
.LBB2380_50:
	s_or_b64 exec, exec, s[38:39]
	v_cmp_eq_u32_e32 vcc, 0, v0
	s_and_b64 exec, exec, vcc
	s_cbranch_execz .LBB2380_52
; %bb.51:
	v_mov_b32_e32 v16, 0
	ds_write_b32 v16, v17 offset:28
.LBB2380_52:
	s_or_b64 exec, exec, s[36:37]
	v_mov_b32_e32 v16, 0
	s_waitcnt lgkmcnt(0)
	s_barrier
	ds_read_b32 v17, v16 offset:28
	v_cndmask_b32_e64 v20, v42, v41, s[18:19]
	v_cmp_ne_u32_e32 vcc, 0, v0
	s_waitcnt lgkmcnt(0)
	s_barrier
	v_cndmask_b32_e32 v20, 0, v20, vcc
	v_add_u32_e32 v27, v17, v20
	v_add_u32_e32 v26, v27, v33
	ds_read_b64 v[16:17], v16 offset:28672
	v_add_u32_e32 v25, v26, v34
	v_add_u32_e32 v24, v25, v35
	;; [unrolled: 1-line block ×5, first 2 shown]
	s_waitcnt lgkmcnt(0)
	v_mov_b32_e32 v22, v17
	s_branch .LBB2380_63
.LBB2380_53:
                                        ; implicit-def: $vgpr22
                                        ; implicit-def: $vgpr16
                                        ; implicit-def: $vgpr20
                                        ; implicit-def: $vgpr21
                                        ; implicit-def: $vgpr23
                                        ; implicit-def: $vgpr24
                                        ; implicit-def: $vgpr25
                                        ; implicit-def: $vgpr26
                                        ; implicit-def: $vgpr27
	s_cbranch_execz .LBB2380_63
; %bb.54:
	s_nop 0
	v_mov_b32_dpp v16, v40 row_shr:1 row_mask:0xf bank_mask:0xf
	v_cndmask_b32_e64 v16, v16, 0, s[16:17]
	v_add_u32_e32 v16, v16, v40
	s_nop 1
	v_mov_b32_dpp v17, v16 row_shr:2 row_mask:0xf bank_mask:0xf
	v_cndmask_b32_e64 v17, 0, v17, s[14:15]
	v_add_u32_e32 v16, v16, v17
	;; [unrolled: 4-line block ×4, first 2 shown]
	s_nop 1
	v_mov_b32_dpp v17, v16 row_bcast:15 row_mask:0xf bank_mask:0xf
	v_cndmask_b32_e64 v17, v17, 0, s[8:9]
	v_add_u32_e32 v16, v16, v17
	s_nop 1
	v_mov_b32_dpp v17, v16 row_bcast:31 row_mask:0xf bank_mask:0xf
	v_cndmask_b32_e64 v17, 0, v17, s[4:5]
	v_add_u32_e32 v16, v16, v17
	s_and_saveexec_b64 s[2:3], s[6:7]
	s_cbranch_execz .LBB2380_56
; %bb.55:
	v_lshlrev_b32_e32 v17, 2, v39
	ds_write_b32 v17, v16
.LBB2380_56:
	s_or_b64 exec, exec, s[2:3]
	v_cmp_gt_u32_e32 vcc, 8, v0
	s_waitcnt lgkmcnt(0)
	s_barrier
	s_and_saveexec_b64 s[2:3], vcc
	s_cbranch_execz .LBB2380_58
; %bb.57:
	s_movk_i32 s4, 0xffcc
	v_mad_i32_i24 v17, v0, s4, v32
	ds_read_b32 v20, v17
	v_and_b32_e32 v21, 7, v38
	v_cmp_ne_u32_e32 vcc, 0, v21
	s_waitcnt lgkmcnt(0)
	v_mov_b32_dpp v22, v20 row_shr:1 row_mask:0xf bank_mask:0xf
	v_cndmask_b32_e32 v22, 0, v22, vcc
	v_add_u32_e32 v20, v22, v20
	v_cmp_lt_u32_e32 vcc, 1, v21
	s_nop 0
	v_mov_b32_dpp v22, v20 row_shr:2 row_mask:0xf bank_mask:0xf
	v_cndmask_b32_e32 v22, 0, v22, vcc
	v_add_u32_e32 v20, v20, v22
	v_cmp_lt_u32_e32 vcc, 3, v21
	s_nop 0
	v_mov_b32_dpp v22, v20 row_shr:4 row_mask:0xf bank_mask:0xf
	v_cndmask_b32_e32 v21, 0, v22, vcc
	v_add_u32_e32 v20, v20, v21
	ds_write_b32 v17, v20
.LBB2380_58:
	s_or_b64 exec, exec, s[2:3]
	v_cmp_lt_u32_e32 vcc, 63, v0
	v_mov_b32_e32 v17, 0
	v_mov_b32_e32 v20, 0
	s_waitcnt lgkmcnt(0)
	s_barrier
	s_and_saveexec_b64 s[2:3], vcc
	s_cbranch_execz .LBB2380_60
; %bb.59:
	v_lshl_add_u32 v20, v39, 2, -4
	ds_read_b32 v20, v20
.LBB2380_60:
	s_or_b64 exec, exec, s[2:3]
	v_add_u32_e32 v21, -1, v38
	v_and_b32_e32 v22, 64, v38
	v_cmp_lt_i32_e32 vcc, v21, v22
	s_waitcnt lgkmcnt(0)
	v_add_u32_e32 v16, v20, v16
	v_cndmask_b32_e32 v21, v21, v38, vcc
	v_lshlrev_b32_e32 v21, 2, v21
	ds_bpermute_b32 v21, v21, v16
	ds_read_b32 v16, v17 offset:28
	v_cmp_eq_u32_e32 vcc, 0, v0
	s_and_saveexec_b64 s[2:3], vcc
	s_cbranch_execz .LBB2380_62
; %bb.61:
	v_mov_b32_e32 v22, 0
	v_mov_b32_e32 v17, 2
	s_waitcnt lgkmcnt(0)
	global_store_dwordx2 v22, v[16:17], s[34:35] offset:512 sc1
.LBB2380_62:
	s_or_b64 exec, exec, s[2:3]
	v_cmp_eq_u32_e64 s[2:3], 0, v38
	v_mov_b32_e32 v22, 0
	s_waitcnt lgkmcnt(0)
	v_cndmask_b32_e64 v17, v21, v20, s[2:3]
	v_cndmask_b32_e64 v27, v17, 0, vcc
	v_add_u32_e32 v26, v27, v33
	v_add_u32_e32 v25, v26, v34
	;; [unrolled: 1-line block ×6, first 2 shown]
	s_barrier
.LBB2380_63:
	v_add_u32_e32 v1, v16, v1
	v_sub_u32_e32 v27, v27, v22
	v_and_b32_e32 v33, 1, v30
	v_sub_u32_e32 v32, v1, v27
	v_cmp_eq_u32_e32 vcc, 1, v33
	v_lshrrev_b32_e32 v17, 8, v30
	v_and_b32_e32 v17, 1, v17
	v_cndmask_b32_e32 v27, v32, v27, vcc
	v_lshlrev_b32_e32 v27, 3, v27
	ds_write_b64 v27, v[10:11]
	v_sub_u32_e32 v10, v26, v22
	v_sub_u32_e32 v11, v1, v10
	v_add_u32_e32 v11, 1, v11
	v_cmp_eq_u32_e32 vcc, 1, v17
	s_load_dwordx2 s[0:1], s[0:1], 0x38
	v_or_b32_e32 v27, 0x200, v0
	v_cndmask_b32_e32 v10, v11, v10, vcc
	v_lshlrev_b32_e32 v10, 3, v10
	ds_write_b64 v10, v[12:13]
	v_sub_u32_e32 v10, v25, v22
	v_mov_b32_e32 v12, 1
	v_sub_u32_e32 v11, v1, v10
	v_and_b32_sdwa v12, v12, v30 dst_sel:DWORD dst_unused:UNUSED_PAD src0_sel:DWORD src1_sel:WORD_1
	v_add_u32_e32 v11, 2, v11
	v_cmp_eq_u32_e32 vcc, 1, v12
	v_or_b32_e32 v26, 0x400, v0
	v_or_b32_e32 v25, 0x600, v0
	v_cndmask_b32_e32 v10, v11, v10, vcc
	v_lshlrev_b32_e32 v10, 3, v10
	ds_write_b64 v10, v[6:7]
	v_sub_u32_e32 v6, v24, v22
	v_sub_u32_e32 v7, v1, v6
	v_and_b32_e32 v10, 1, v31
	v_add_u32_e32 v7, 3, v7
	v_cmp_eq_u32_e32 vcc, 1, v10
	v_or_b32_e32 v24, 0x800, v0
	s_nop 0
	v_cndmask_b32_e32 v6, v7, v6, vcc
	v_lshlrev_b32_e32 v6, 3, v6
	ds_write_b64 v6, v[8:9]
	v_sub_u32_e32 v6, v23, v22
	v_sub_u32_e32 v7, v1, v6
	v_and_b32_e32 v8, 1, v29
	v_add_u32_e32 v7, 4, v7
	v_cmp_eq_u32_e32 vcc, 1, v8
	v_mov_b32_e32 v23, 0
	v_mov_b32_e32 v17, v23
	v_cndmask_b32_e32 v6, v7, v6, vcc
	v_lshlrev_b32_e32 v6, 3, v6
	ds_write_b64 v6, v[2:3]
	v_sub_u32_e32 v2, v21, v22
	v_sub_u32_e32 v3, v1, v2
	v_and_b32_e32 v6, 1, v28
	v_add_u32_e32 v3, 5, v3
	v_cmp_eq_u32_e32 vcc, 1, v6
	s_nop 1
	v_cndmask_b32_e32 v2, v3, v2, vcc
	v_lshlrev_b32_e32 v2, 3, v2
	ds_write_b64 v2, v[4:5]
	v_sub_u32_e32 v2, v20, v22
	v_sub_u32_e32 v1, v1, v2
	v_and_b32_e32 v3, 1, v19
	v_add_u32_e32 v1, 6, v1
	v_cmp_eq_u32_e32 vcc, 1, v3
	v_or_b32_e32 v19, 0xa00, v0
	s_nop 0
	v_cndmask_b32_e32 v1, v1, v2, vcc
	v_lshlrev_b32_e32 v1, 3, v1
	ds_write_b64 v1, v[14:15]
	v_lshl_add_u64 v[14:15], s[28:29], 0, v[16:17]
	v_lshl_add_u64 v[14:15], v[14:15], 0, v[22:23]
	s_waitcnt lgkmcnt(0)
	s_barrier
	ds_read2st64_b64 v[10:13], v18 offset1:8
	ds_read2st64_b64 v[6:9], v18 offset0:16 offset1:24
	ds_read2st64_b64 v[2:5], v18 offset0:32 offset1:40
	ds_read_b64 v[20:21], v18 offset:24576
	v_mov_b32_e32 v17, s23
	v_sub_co_u32_e32 v22, vcc, s22, v14
	v_or_b32_e32 v1, 0xc00, v0
	s_nop 0
	v_subb_co_u32_e32 v23, vcc, v17, v15, vcc
	v_lshlrev_b64 v[22:23], 3, v[22:23]
	v_lshl_add_u64 v[22:23], s[0:1], 0, v[22:23]
	v_lshl_add_u64 v[22:23], v[22:23], 0, s[30:31]
	s_and_b64 vcc, exec, s[20:21]
	v_cmp_ge_u32_e64 s[0:1], v0, v16
	s_cbranch_vccnz .LBB2380_72
; %bb.64:
	s_and_saveexec_b64 s[2:3], s[0:1]
	s_cbranch_execnz .LBB2380_91
; %bb.65:
	s_or_b64 exec, exec, s[2:3]
	v_cmp_ge_u32_e32 vcc, v27, v16
	s_and_saveexec_b64 s[0:1], vcc
	s_cbranch_execnz .LBB2380_92
.LBB2380_66:
	s_or_b64 exec, exec, s[0:1]
	v_cmp_ge_u32_e32 vcc, v26, v16
	s_and_saveexec_b64 s[0:1], vcc
	s_cbranch_execnz .LBB2380_93
.LBB2380_67:
	s_or_b64 exec, exec, s[0:1]
	v_cmp_ge_u32_e32 vcc, v25, v16
	s_and_saveexec_b64 s[0:1], vcc
	s_cbranch_execnz .LBB2380_94
.LBB2380_68:
	s_or_b64 exec, exec, s[0:1]
	v_cmp_ge_u32_e32 vcc, v24, v16
	s_and_saveexec_b64 s[0:1], vcc
	s_cbranch_execnz .LBB2380_95
.LBB2380_69:
	s_or_b64 exec, exec, s[0:1]
	v_cmp_ge_u32_e32 vcc, v19, v16
	s_and_saveexec_b64 s[0:1], vcc
	s_cbranch_execz .LBB2380_71
.LBB2380_70:
	v_lshlrev_b32_e32 v17, 3, v19
	v_readfirstlane_b32 s2, v22
	v_readfirstlane_b32 s3, v23
	s_waitcnt lgkmcnt(1)
	s_nop 3
	global_store_dwordx2 v17, v[4:5], s[2:3]
.LBB2380_71:
	s_or_b64 exec, exec, s[0:1]
	v_cmp_ge_u32_e64 s[0:1], v1, v16
	s_branch .LBB2380_86
.LBB2380_72:
	s_mov_b64 s[0:1], 0
	s_cbranch_execz .LBB2380_86
; %bb.73:
	v_cmp_gt_u32_e32 vcc, s33, v0
	v_cmp_ge_u32_e64 s[0:1], v0, v16
	s_and_b64 s[2:3], vcc, s[0:1]
	s_and_saveexec_b64 s[0:1], s[2:3]
	s_cbranch_execz .LBB2380_75
; %bb.74:
	v_readfirstlane_b32 s2, v22
	v_readfirstlane_b32 s3, v23
	s_waitcnt lgkmcnt(3)
	s_nop 3
	global_store_dwordx2 v18, v[10:11], s[2:3]
.LBB2380_75:
	s_or_b64 exec, exec, s[0:1]
	v_cmp_gt_u32_e32 vcc, s33, v27
	v_cmp_ge_u32_e64 s[0:1], v27, v16
	s_and_b64 s[2:3], vcc, s[0:1]
	s_and_saveexec_b64 s[0:1], s[2:3]
	s_cbranch_execz .LBB2380_77
; %bb.76:
	s_waitcnt lgkmcnt(3)
	v_lshlrev_b32_e32 v10, 3, v27
	v_readfirstlane_b32 s2, v22
	v_readfirstlane_b32 s3, v23
	s_nop 4
	global_store_dwordx2 v10, v[12:13], s[2:3]
.LBB2380_77:
	s_or_b64 exec, exec, s[0:1]
	v_cmp_gt_u32_e32 vcc, s33, v26
	v_cmp_ge_u32_e64 s[0:1], v26, v16
	s_and_b64 s[2:3], vcc, s[0:1]
	s_and_saveexec_b64 s[0:1], s[2:3]
	s_cbranch_execz .LBB2380_79
; %bb.78:
	s_waitcnt lgkmcnt(3)
	v_lshlrev_b32_e32 v10, 3, v26
	v_readfirstlane_b32 s2, v22
	v_readfirstlane_b32 s3, v23
	s_waitcnt lgkmcnt(2)
	s_nop 3
	global_store_dwordx2 v10, v[6:7], s[2:3]
.LBB2380_79:
	s_or_b64 exec, exec, s[0:1]
	v_cmp_gt_u32_e32 vcc, s33, v25
	v_cmp_ge_u32_e64 s[0:1], v25, v16
	s_and_b64 s[2:3], vcc, s[0:1]
	s_and_saveexec_b64 s[0:1], s[2:3]
	s_cbranch_execz .LBB2380_81
; %bb.80:
	s_waitcnt lgkmcnt(2)
	v_lshlrev_b32_e32 v6, 3, v25
	v_readfirstlane_b32 s2, v22
	v_readfirstlane_b32 s3, v23
	s_nop 4
	global_store_dwordx2 v6, v[8:9], s[2:3]
.LBB2380_81:
	s_or_b64 exec, exec, s[0:1]
	v_cmp_gt_u32_e32 vcc, s33, v24
	v_cmp_ge_u32_e64 s[0:1], v24, v16
	s_and_b64 s[2:3], vcc, s[0:1]
	s_and_saveexec_b64 s[0:1], s[2:3]
	s_cbranch_execz .LBB2380_83
; %bb.82:
	s_waitcnt lgkmcnt(2)
	v_lshlrev_b32_e32 v6, 3, v24
	v_readfirstlane_b32 s2, v22
	v_readfirstlane_b32 s3, v23
	s_waitcnt lgkmcnt(1)
	s_nop 3
	global_store_dwordx2 v6, v[2:3], s[2:3]
.LBB2380_83:
	s_or_b64 exec, exec, s[0:1]
	v_cmp_gt_u32_e32 vcc, s33, v19
	v_cmp_ge_u32_e64 s[0:1], v19, v16
	s_and_b64 s[2:3], vcc, s[0:1]
	s_and_saveexec_b64 s[0:1], s[2:3]
	s_cbranch_execz .LBB2380_85
; %bb.84:
	s_waitcnt lgkmcnt(1)
	v_lshlrev_b32_e32 v2, 3, v19
	v_readfirstlane_b32 s2, v22
	v_readfirstlane_b32 s3, v23
	s_nop 4
	global_store_dwordx2 v2, v[4:5], s[2:3]
.LBB2380_85:
	s_or_b64 exec, exec, s[0:1]
	v_cmp_gt_u32_e32 vcc, s33, v1
	v_cmp_ge_u32_e64 s[0:1], v1, v16
	s_and_b64 s[0:1], vcc, s[0:1]
.LBB2380_86:
	s_and_saveexec_b64 s[2:3], s[0:1]
	s_cbranch_execz .LBB2380_88
; %bb.87:
	v_lshlrev_b32_e32 v1, 3, v1
	v_readfirstlane_b32 s0, v22
	v_readfirstlane_b32 s1, v23
	s_waitcnt lgkmcnt(0)
	s_nop 3
	global_store_dwordx2 v1, v[20:21], s[0:1]
.LBB2380_88:
	s_or_b64 exec, exec, s[2:3]
	v_cmp_eq_u32_e32 vcc, 0, v0
	s_and_b64 s[0:1], vcc, s[26:27]
	s_and_saveexec_b64 s[2:3], s[0:1]
	s_cbranch_execz .LBB2380_90
; %bb.89:
	v_mov_b32_e32 v0, 0
	global_store_dwordx2 v0, v[14:15], s[24:25]
.LBB2380_90:
	s_endpgm
.LBB2380_91:
	v_readfirstlane_b32 s0, v22
	v_readfirstlane_b32 s1, v23
	s_waitcnt lgkmcnt(3)
	s_nop 3
	global_store_dwordx2 v18, v[10:11], s[0:1]
	s_or_b64 exec, exec, s[2:3]
	v_cmp_ge_u32_e32 vcc, v27, v16
	s_and_saveexec_b64 s[0:1], vcc
	s_cbranch_execz .LBB2380_66
.LBB2380_92:
	v_lshlrev_b32_e32 v17, 3, v27
	v_readfirstlane_b32 s2, v22
	v_readfirstlane_b32 s3, v23
	s_waitcnt lgkmcnt(3)
	s_nop 3
	global_store_dwordx2 v17, v[12:13], s[2:3]
	s_or_b64 exec, exec, s[0:1]
	v_cmp_ge_u32_e32 vcc, v26, v16
	s_and_saveexec_b64 s[0:1], vcc
	s_cbranch_execz .LBB2380_67
.LBB2380_93:
	v_lshlrev_b32_e32 v17, 3, v26
	v_readfirstlane_b32 s2, v22
	v_readfirstlane_b32 s3, v23
	s_waitcnt lgkmcnt(2)
	s_nop 3
	global_store_dwordx2 v17, v[6:7], s[2:3]
	s_or_b64 exec, exec, s[0:1]
	v_cmp_ge_u32_e32 vcc, v25, v16
	s_and_saveexec_b64 s[0:1], vcc
	s_cbranch_execz .LBB2380_68
.LBB2380_94:
	v_lshlrev_b32_e32 v17, 3, v25
	v_readfirstlane_b32 s2, v22
	v_readfirstlane_b32 s3, v23
	s_waitcnt lgkmcnt(2)
	s_nop 3
	global_store_dwordx2 v17, v[8:9], s[2:3]
	s_or_b64 exec, exec, s[0:1]
	v_cmp_ge_u32_e32 vcc, v24, v16
	s_and_saveexec_b64 s[0:1], vcc
	s_cbranch_execz .LBB2380_69
.LBB2380_95:
	v_lshlrev_b32_e32 v17, 3, v24
	v_readfirstlane_b32 s2, v22
	v_readfirstlane_b32 s3, v23
	s_waitcnt lgkmcnt(1)
	s_nop 3
	global_store_dwordx2 v17, v[2:3], s[2:3]
	s_or_b64 exec, exec, s[0:1]
	v_cmp_ge_u32_e32 vcc, v19, v16
	s_and_saveexec_b64 s[0:1], vcc
	s_cbranch_execnz .LBB2380_70
	s_branch .LBB2380_71
	.section	.rodata,"a",@progbits
	.p2align	6, 0x0
	.amdhsa_kernel _ZN7rocprim17ROCPRIM_400000_NS6detail17trampoline_kernelINS0_14default_configENS1_25partition_config_selectorILNS1_17partition_subalgoE0EyNS0_10empty_typeEbEEZZNS1_14partition_implILS5_0ELb0ES3_jN6thrust23THRUST_200600_302600_NS6detail15normal_iteratorINSA_10device_ptrIyEEEEPS6_SG_NS0_5tupleIJNSA_16discard_iteratorINSA_11use_defaultEEESF_EEENSH_IJSG_SG_EEES6_PlJ7is_evenIyEEEE10hipError_tPvRmT3_T4_T5_T6_T7_T9_mT8_P12ihipStream_tbDpT10_ENKUlT_T0_E_clISt17integral_constantIbLb1EES18_IbLb0EEEEDaS14_S15_EUlS14_E_NS1_11comp_targetILNS1_3genE5ELNS1_11target_archE942ELNS1_3gpuE9ELNS1_3repE0EEENS1_30default_config_static_selectorELNS0_4arch9wavefront6targetE1EEEvT1_
		.amdhsa_group_segment_fixed_size 28680
		.amdhsa_private_segment_fixed_size 0
		.amdhsa_kernarg_size 128
		.amdhsa_user_sgpr_count 2
		.amdhsa_user_sgpr_dispatch_ptr 0
		.amdhsa_user_sgpr_queue_ptr 0
		.amdhsa_user_sgpr_kernarg_segment_ptr 1
		.amdhsa_user_sgpr_dispatch_id 0
		.amdhsa_user_sgpr_kernarg_preload_length 0
		.amdhsa_user_sgpr_kernarg_preload_offset 0
		.amdhsa_user_sgpr_private_segment_size 0
		.amdhsa_uses_dynamic_stack 0
		.amdhsa_enable_private_segment 0
		.amdhsa_system_sgpr_workgroup_id_x 1
		.amdhsa_system_sgpr_workgroup_id_y 0
		.amdhsa_system_sgpr_workgroup_id_z 0
		.amdhsa_system_sgpr_workgroup_info 0
		.amdhsa_system_vgpr_workitem_id 0
		.amdhsa_next_free_vgpr 57
		.amdhsa_next_free_sgpr 44
		.amdhsa_accum_offset 60
		.amdhsa_reserve_vcc 1
		.amdhsa_float_round_mode_32 0
		.amdhsa_float_round_mode_16_64 0
		.amdhsa_float_denorm_mode_32 3
		.amdhsa_float_denorm_mode_16_64 3
		.amdhsa_dx10_clamp 1
		.amdhsa_ieee_mode 1
		.amdhsa_fp16_overflow 0
		.amdhsa_tg_split 0
		.amdhsa_exception_fp_ieee_invalid_op 0
		.amdhsa_exception_fp_denorm_src 0
		.amdhsa_exception_fp_ieee_div_zero 0
		.amdhsa_exception_fp_ieee_overflow 0
		.amdhsa_exception_fp_ieee_underflow 0
		.amdhsa_exception_fp_ieee_inexact 0
		.amdhsa_exception_int_div_zero 0
	.end_amdhsa_kernel
	.section	.text._ZN7rocprim17ROCPRIM_400000_NS6detail17trampoline_kernelINS0_14default_configENS1_25partition_config_selectorILNS1_17partition_subalgoE0EyNS0_10empty_typeEbEEZZNS1_14partition_implILS5_0ELb0ES3_jN6thrust23THRUST_200600_302600_NS6detail15normal_iteratorINSA_10device_ptrIyEEEEPS6_SG_NS0_5tupleIJNSA_16discard_iteratorINSA_11use_defaultEEESF_EEENSH_IJSG_SG_EEES6_PlJ7is_evenIyEEEE10hipError_tPvRmT3_T4_T5_T6_T7_T9_mT8_P12ihipStream_tbDpT10_ENKUlT_T0_E_clISt17integral_constantIbLb1EES18_IbLb0EEEEDaS14_S15_EUlS14_E_NS1_11comp_targetILNS1_3genE5ELNS1_11target_archE942ELNS1_3gpuE9ELNS1_3repE0EEENS1_30default_config_static_selectorELNS0_4arch9wavefront6targetE1EEEvT1_,"axG",@progbits,_ZN7rocprim17ROCPRIM_400000_NS6detail17trampoline_kernelINS0_14default_configENS1_25partition_config_selectorILNS1_17partition_subalgoE0EyNS0_10empty_typeEbEEZZNS1_14partition_implILS5_0ELb0ES3_jN6thrust23THRUST_200600_302600_NS6detail15normal_iteratorINSA_10device_ptrIyEEEEPS6_SG_NS0_5tupleIJNSA_16discard_iteratorINSA_11use_defaultEEESF_EEENSH_IJSG_SG_EEES6_PlJ7is_evenIyEEEE10hipError_tPvRmT3_T4_T5_T6_T7_T9_mT8_P12ihipStream_tbDpT10_ENKUlT_T0_E_clISt17integral_constantIbLb1EES18_IbLb0EEEEDaS14_S15_EUlS14_E_NS1_11comp_targetILNS1_3genE5ELNS1_11target_archE942ELNS1_3gpuE9ELNS1_3repE0EEENS1_30default_config_static_selectorELNS0_4arch9wavefront6targetE1EEEvT1_,comdat
.Lfunc_end2380:
	.size	_ZN7rocprim17ROCPRIM_400000_NS6detail17trampoline_kernelINS0_14default_configENS1_25partition_config_selectorILNS1_17partition_subalgoE0EyNS0_10empty_typeEbEEZZNS1_14partition_implILS5_0ELb0ES3_jN6thrust23THRUST_200600_302600_NS6detail15normal_iteratorINSA_10device_ptrIyEEEEPS6_SG_NS0_5tupleIJNSA_16discard_iteratorINSA_11use_defaultEEESF_EEENSH_IJSG_SG_EEES6_PlJ7is_evenIyEEEE10hipError_tPvRmT3_T4_T5_T6_T7_T9_mT8_P12ihipStream_tbDpT10_ENKUlT_T0_E_clISt17integral_constantIbLb1EES18_IbLb0EEEEDaS14_S15_EUlS14_E_NS1_11comp_targetILNS1_3genE5ELNS1_11target_archE942ELNS1_3gpuE9ELNS1_3repE0EEENS1_30default_config_static_selectorELNS0_4arch9wavefront6targetE1EEEvT1_, .Lfunc_end2380-_ZN7rocprim17ROCPRIM_400000_NS6detail17trampoline_kernelINS0_14default_configENS1_25partition_config_selectorILNS1_17partition_subalgoE0EyNS0_10empty_typeEbEEZZNS1_14partition_implILS5_0ELb0ES3_jN6thrust23THRUST_200600_302600_NS6detail15normal_iteratorINSA_10device_ptrIyEEEEPS6_SG_NS0_5tupleIJNSA_16discard_iteratorINSA_11use_defaultEEESF_EEENSH_IJSG_SG_EEES6_PlJ7is_evenIyEEEE10hipError_tPvRmT3_T4_T5_T6_T7_T9_mT8_P12ihipStream_tbDpT10_ENKUlT_T0_E_clISt17integral_constantIbLb1EES18_IbLb0EEEEDaS14_S15_EUlS14_E_NS1_11comp_targetILNS1_3genE5ELNS1_11target_archE942ELNS1_3gpuE9ELNS1_3repE0EEENS1_30default_config_static_selectorELNS0_4arch9wavefront6targetE1EEEvT1_
                                        ; -- End function
	.section	.AMDGPU.csdata,"",@progbits
; Kernel info:
; codeLenInByte = 4580
; NumSgprs: 50
; NumVgprs: 57
; NumAgprs: 0
; TotalNumVgprs: 57
; ScratchSize: 0
; MemoryBound: 0
; FloatMode: 240
; IeeeMode: 1
; LDSByteSize: 28680 bytes/workgroup (compile time only)
; SGPRBlocks: 6
; VGPRBlocks: 7
; NumSGPRsForWavesPerEU: 50
; NumVGPRsForWavesPerEU: 57
; AccumOffset: 60
; Occupancy: 4
; WaveLimiterHint : 1
; COMPUTE_PGM_RSRC2:SCRATCH_EN: 0
; COMPUTE_PGM_RSRC2:USER_SGPR: 2
; COMPUTE_PGM_RSRC2:TRAP_HANDLER: 0
; COMPUTE_PGM_RSRC2:TGID_X_EN: 1
; COMPUTE_PGM_RSRC2:TGID_Y_EN: 0
; COMPUTE_PGM_RSRC2:TGID_Z_EN: 0
; COMPUTE_PGM_RSRC2:TIDIG_COMP_CNT: 0
; COMPUTE_PGM_RSRC3_GFX90A:ACCUM_OFFSET: 14
; COMPUTE_PGM_RSRC3_GFX90A:TG_SPLIT: 0
	.section	.text._ZN7rocprim17ROCPRIM_400000_NS6detail17trampoline_kernelINS0_14default_configENS1_25partition_config_selectorILNS1_17partition_subalgoE0EyNS0_10empty_typeEbEEZZNS1_14partition_implILS5_0ELb0ES3_jN6thrust23THRUST_200600_302600_NS6detail15normal_iteratorINSA_10device_ptrIyEEEEPS6_SG_NS0_5tupleIJNSA_16discard_iteratorINSA_11use_defaultEEESF_EEENSH_IJSG_SG_EEES6_PlJ7is_evenIyEEEE10hipError_tPvRmT3_T4_T5_T6_T7_T9_mT8_P12ihipStream_tbDpT10_ENKUlT_T0_E_clISt17integral_constantIbLb1EES18_IbLb0EEEEDaS14_S15_EUlS14_E_NS1_11comp_targetILNS1_3genE4ELNS1_11target_archE910ELNS1_3gpuE8ELNS1_3repE0EEENS1_30default_config_static_selectorELNS0_4arch9wavefront6targetE1EEEvT1_,"axG",@progbits,_ZN7rocprim17ROCPRIM_400000_NS6detail17trampoline_kernelINS0_14default_configENS1_25partition_config_selectorILNS1_17partition_subalgoE0EyNS0_10empty_typeEbEEZZNS1_14partition_implILS5_0ELb0ES3_jN6thrust23THRUST_200600_302600_NS6detail15normal_iteratorINSA_10device_ptrIyEEEEPS6_SG_NS0_5tupleIJNSA_16discard_iteratorINSA_11use_defaultEEESF_EEENSH_IJSG_SG_EEES6_PlJ7is_evenIyEEEE10hipError_tPvRmT3_T4_T5_T6_T7_T9_mT8_P12ihipStream_tbDpT10_ENKUlT_T0_E_clISt17integral_constantIbLb1EES18_IbLb0EEEEDaS14_S15_EUlS14_E_NS1_11comp_targetILNS1_3genE4ELNS1_11target_archE910ELNS1_3gpuE8ELNS1_3repE0EEENS1_30default_config_static_selectorELNS0_4arch9wavefront6targetE1EEEvT1_,comdat
	.protected	_ZN7rocprim17ROCPRIM_400000_NS6detail17trampoline_kernelINS0_14default_configENS1_25partition_config_selectorILNS1_17partition_subalgoE0EyNS0_10empty_typeEbEEZZNS1_14partition_implILS5_0ELb0ES3_jN6thrust23THRUST_200600_302600_NS6detail15normal_iteratorINSA_10device_ptrIyEEEEPS6_SG_NS0_5tupleIJNSA_16discard_iteratorINSA_11use_defaultEEESF_EEENSH_IJSG_SG_EEES6_PlJ7is_evenIyEEEE10hipError_tPvRmT3_T4_T5_T6_T7_T9_mT8_P12ihipStream_tbDpT10_ENKUlT_T0_E_clISt17integral_constantIbLb1EES18_IbLb0EEEEDaS14_S15_EUlS14_E_NS1_11comp_targetILNS1_3genE4ELNS1_11target_archE910ELNS1_3gpuE8ELNS1_3repE0EEENS1_30default_config_static_selectorELNS0_4arch9wavefront6targetE1EEEvT1_ ; -- Begin function _ZN7rocprim17ROCPRIM_400000_NS6detail17trampoline_kernelINS0_14default_configENS1_25partition_config_selectorILNS1_17partition_subalgoE0EyNS0_10empty_typeEbEEZZNS1_14partition_implILS5_0ELb0ES3_jN6thrust23THRUST_200600_302600_NS6detail15normal_iteratorINSA_10device_ptrIyEEEEPS6_SG_NS0_5tupleIJNSA_16discard_iteratorINSA_11use_defaultEEESF_EEENSH_IJSG_SG_EEES6_PlJ7is_evenIyEEEE10hipError_tPvRmT3_T4_T5_T6_T7_T9_mT8_P12ihipStream_tbDpT10_ENKUlT_T0_E_clISt17integral_constantIbLb1EES18_IbLb0EEEEDaS14_S15_EUlS14_E_NS1_11comp_targetILNS1_3genE4ELNS1_11target_archE910ELNS1_3gpuE8ELNS1_3repE0EEENS1_30default_config_static_selectorELNS0_4arch9wavefront6targetE1EEEvT1_
	.globl	_ZN7rocprim17ROCPRIM_400000_NS6detail17trampoline_kernelINS0_14default_configENS1_25partition_config_selectorILNS1_17partition_subalgoE0EyNS0_10empty_typeEbEEZZNS1_14partition_implILS5_0ELb0ES3_jN6thrust23THRUST_200600_302600_NS6detail15normal_iteratorINSA_10device_ptrIyEEEEPS6_SG_NS0_5tupleIJNSA_16discard_iteratorINSA_11use_defaultEEESF_EEENSH_IJSG_SG_EEES6_PlJ7is_evenIyEEEE10hipError_tPvRmT3_T4_T5_T6_T7_T9_mT8_P12ihipStream_tbDpT10_ENKUlT_T0_E_clISt17integral_constantIbLb1EES18_IbLb0EEEEDaS14_S15_EUlS14_E_NS1_11comp_targetILNS1_3genE4ELNS1_11target_archE910ELNS1_3gpuE8ELNS1_3repE0EEENS1_30default_config_static_selectorELNS0_4arch9wavefront6targetE1EEEvT1_
	.p2align	8
	.type	_ZN7rocprim17ROCPRIM_400000_NS6detail17trampoline_kernelINS0_14default_configENS1_25partition_config_selectorILNS1_17partition_subalgoE0EyNS0_10empty_typeEbEEZZNS1_14partition_implILS5_0ELb0ES3_jN6thrust23THRUST_200600_302600_NS6detail15normal_iteratorINSA_10device_ptrIyEEEEPS6_SG_NS0_5tupleIJNSA_16discard_iteratorINSA_11use_defaultEEESF_EEENSH_IJSG_SG_EEES6_PlJ7is_evenIyEEEE10hipError_tPvRmT3_T4_T5_T6_T7_T9_mT8_P12ihipStream_tbDpT10_ENKUlT_T0_E_clISt17integral_constantIbLb1EES18_IbLb0EEEEDaS14_S15_EUlS14_E_NS1_11comp_targetILNS1_3genE4ELNS1_11target_archE910ELNS1_3gpuE8ELNS1_3repE0EEENS1_30default_config_static_selectorELNS0_4arch9wavefront6targetE1EEEvT1_,@function
_ZN7rocprim17ROCPRIM_400000_NS6detail17trampoline_kernelINS0_14default_configENS1_25partition_config_selectorILNS1_17partition_subalgoE0EyNS0_10empty_typeEbEEZZNS1_14partition_implILS5_0ELb0ES3_jN6thrust23THRUST_200600_302600_NS6detail15normal_iteratorINSA_10device_ptrIyEEEEPS6_SG_NS0_5tupleIJNSA_16discard_iteratorINSA_11use_defaultEEESF_EEENSH_IJSG_SG_EEES6_PlJ7is_evenIyEEEE10hipError_tPvRmT3_T4_T5_T6_T7_T9_mT8_P12ihipStream_tbDpT10_ENKUlT_T0_E_clISt17integral_constantIbLb1EES18_IbLb0EEEEDaS14_S15_EUlS14_E_NS1_11comp_targetILNS1_3genE4ELNS1_11target_archE910ELNS1_3gpuE8ELNS1_3repE0EEENS1_30default_config_static_selectorELNS0_4arch9wavefront6targetE1EEEvT1_: ; @_ZN7rocprim17ROCPRIM_400000_NS6detail17trampoline_kernelINS0_14default_configENS1_25partition_config_selectorILNS1_17partition_subalgoE0EyNS0_10empty_typeEbEEZZNS1_14partition_implILS5_0ELb0ES3_jN6thrust23THRUST_200600_302600_NS6detail15normal_iteratorINSA_10device_ptrIyEEEEPS6_SG_NS0_5tupleIJNSA_16discard_iteratorINSA_11use_defaultEEESF_EEENSH_IJSG_SG_EEES6_PlJ7is_evenIyEEEE10hipError_tPvRmT3_T4_T5_T6_T7_T9_mT8_P12ihipStream_tbDpT10_ENKUlT_T0_E_clISt17integral_constantIbLb1EES18_IbLb0EEEEDaS14_S15_EUlS14_E_NS1_11comp_targetILNS1_3genE4ELNS1_11target_archE910ELNS1_3gpuE8ELNS1_3repE0EEENS1_30default_config_static_selectorELNS0_4arch9wavefront6targetE1EEEvT1_
; %bb.0:
	.section	.rodata,"a",@progbits
	.p2align	6, 0x0
	.amdhsa_kernel _ZN7rocprim17ROCPRIM_400000_NS6detail17trampoline_kernelINS0_14default_configENS1_25partition_config_selectorILNS1_17partition_subalgoE0EyNS0_10empty_typeEbEEZZNS1_14partition_implILS5_0ELb0ES3_jN6thrust23THRUST_200600_302600_NS6detail15normal_iteratorINSA_10device_ptrIyEEEEPS6_SG_NS0_5tupleIJNSA_16discard_iteratorINSA_11use_defaultEEESF_EEENSH_IJSG_SG_EEES6_PlJ7is_evenIyEEEE10hipError_tPvRmT3_T4_T5_T6_T7_T9_mT8_P12ihipStream_tbDpT10_ENKUlT_T0_E_clISt17integral_constantIbLb1EES18_IbLb0EEEEDaS14_S15_EUlS14_E_NS1_11comp_targetILNS1_3genE4ELNS1_11target_archE910ELNS1_3gpuE8ELNS1_3repE0EEENS1_30default_config_static_selectorELNS0_4arch9wavefront6targetE1EEEvT1_
		.amdhsa_group_segment_fixed_size 0
		.amdhsa_private_segment_fixed_size 0
		.amdhsa_kernarg_size 128
		.amdhsa_user_sgpr_count 2
		.amdhsa_user_sgpr_dispatch_ptr 0
		.amdhsa_user_sgpr_queue_ptr 0
		.amdhsa_user_sgpr_kernarg_segment_ptr 1
		.amdhsa_user_sgpr_dispatch_id 0
		.amdhsa_user_sgpr_kernarg_preload_length 0
		.amdhsa_user_sgpr_kernarg_preload_offset 0
		.amdhsa_user_sgpr_private_segment_size 0
		.amdhsa_uses_dynamic_stack 0
		.amdhsa_enable_private_segment 0
		.amdhsa_system_sgpr_workgroup_id_x 1
		.amdhsa_system_sgpr_workgroup_id_y 0
		.amdhsa_system_sgpr_workgroup_id_z 0
		.amdhsa_system_sgpr_workgroup_info 0
		.amdhsa_system_vgpr_workitem_id 0
		.amdhsa_next_free_vgpr 1
		.amdhsa_next_free_sgpr 0
		.amdhsa_accum_offset 4
		.amdhsa_reserve_vcc 0
		.amdhsa_float_round_mode_32 0
		.amdhsa_float_round_mode_16_64 0
		.amdhsa_float_denorm_mode_32 3
		.amdhsa_float_denorm_mode_16_64 3
		.amdhsa_dx10_clamp 1
		.amdhsa_ieee_mode 1
		.amdhsa_fp16_overflow 0
		.amdhsa_tg_split 0
		.amdhsa_exception_fp_ieee_invalid_op 0
		.amdhsa_exception_fp_denorm_src 0
		.amdhsa_exception_fp_ieee_div_zero 0
		.amdhsa_exception_fp_ieee_overflow 0
		.amdhsa_exception_fp_ieee_underflow 0
		.amdhsa_exception_fp_ieee_inexact 0
		.amdhsa_exception_int_div_zero 0
	.end_amdhsa_kernel
	.section	.text._ZN7rocprim17ROCPRIM_400000_NS6detail17trampoline_kernelINS0_14default_configENS1_25partition_config_selectorILNS1_17partition_subalgoE0EyNS0_10empty_typeEbEEZZNS1_14partition_implILS5_0ELb0ES3_jN6thrust23THRUST_200600_302600_NS6detail15normal_iteratorINSA_10device_ptrIyEEEEPS6_SG_NS0_5tupleIJNSA_16discard_iteratorINSA_11use_defaultEEESF_EEENSH_IJSG_SG_EEES6_PlJ7is_evenIyEEEE10hipError_tPvRmT3_T4_T5_T6_T7_T9_mT8_P12ihipStream_tbDpT10_ENKUlT_T0_E_clISt17integral_constantIbLb1EES18_IbLb0EEEEDaS14_S15_EUlS14_E_NS1_11comp_targetILNS1_3genE4ELNS1_11target_archE910ELNS1_3gpuE8ELNS1_3repE0EEENS1_30default_config_static_selectorELNS0_4arch9wavefront6targetE1EEEvT1_,"axG",@progbits,_ZN7rocprim17ROCPRIM_400000_NS6detail17trampoline_kernelINS0_14default_configENS1_25partition_config_selectorILNS1_17partition_subalgoE0EyNS0_10empty_typeEbEEZZNS1_14partition_implILS5_0ELb0ES3_jN6thrust23THRUST_200600_302600_NS6detail15normal_iteratorINSA_10device_ptrIyEEEEPS6_SG_NS0_5tupleIJNSA_16discard_iteratorINSA_11use_defaultEEESF_EEENSH_IJSG_SG_EEES6_PlJ7is_evenIyEEEE10hipError_tPvRmT3_T4_T5_T6_T7_T9_mT8_P12ihipStream_tbDpT10_ENKUlT_T0_E_clISt17integral_constantIbLb1EES18_IbLb0EEEEDaS14_S15_EUlS14_E_NS1_11comp_targetILNS1_3genE4ELNS1_11target_archE910ELNS1_3gpuE8ELNS1_3repE0EEENS1_30default_config_static_selectorELNS0_4arch9wavefront6targetE1EEEvT1_,comdat
.Lfunc_end2381:
	.size	_ZN7rocprim17ROCPRIM_400000_NS6detail17trampoline_kernelINS0_14default_configENS1_25partition_config_selectorILNS1_17partition_subalgoE0EyNS0_10empty_typeEbEEZZNS1_14partition_implILS5_0ELb0ES3_jN6thrust23THRUST_200600_302600_NS6detail15normal_iteratorINSA_10device_ptrIyEEEEPS6_SG_NS0_5tupleIJNSA_16discard_iteratorINSA_11use_defaultEEESF_EEENSH_IJSG_SG_EEES6_PlJ7is_evenIyEEEE10hipError_tPvRmT3_T4_T5_T6_T7_T9_mT8_P12ihipStream_tbDpT10_ENKUlT_T0_E_clISt17integral_constantIbLb1EES18_IbLb0EEEEDaS14_S15_EUlS14_E_NS1_11comp_targetILNS1_3genE4ELNS1_11target_archE910ELNS1_3gpuE8ELNS1_3repE0EEENS1_30default_config_static_selectorELNS0_4arch9wavefront6targetE1EEEvT1_, .Lfunc_end2381-_ZN7rocprim17ROCPRIM_400000_NS6detail17trampoline_kernelINS0_14default_configENS1_25partition_config_selectorILNS1_17partition_subalgoE0EyNS0_10empty_typeEbEEZZNS1_14partition_implILS5_0ELb0ES3_jN6thrust23THRUST_200600_302600_NS6detail15normal_iteratorINSA_10device_ptrIyEEEEPS6_SG_NS0_5tupleIJNSA_16discard_iteratorINSA_11use_defaultEEESF_EEENSH_IJSG_SG_EEES6_PlJ7is_evenIyEEEE10hipError_tPvRmT3_T4_T5_T6_T7_T9_mT8_P12ihipStream_tbDpT10_ENKUlT_T0_E_clISt17integral_constantIbLb1EES18_IbLb0EEEEDaS14_S15_EUlS14_E_NS1_11comp_targetILNS1_3genE4ELNS1_11target_archE910ELNS1_3gpuE8ELNS1_3repE0EEENS1_30default_config_static_selectorELNS0_4arch9wavefront6targetE1EEEvT1_
                                        ; -- End function
	.section	.AMDGPU.csdata,"",@progbits
; Kernel info:
; codeLenInByte = 0
; NumSgprs: 6
; NumVgprs: 0
; NumAgprs: 0
; TotalNumVgprs: 0
; ScratchSize: 0
; MemoryBound: 0
; FloatMode: 240
; IeeeMode: 1
; LDSByteSize: 0 bytes/workgroup (compile time only)
; SGPRBlocks: 0
; VGPRBlocks: 0
; NumSGPRsForWavesPerEU: 6
; NumVGPRsForWavesPerEU: 1
; AccumOffset: 4
; Occupancy: 8
; WaveLimiterHint : 0
; COMPUTE_PGM_RSRC2:SCRATCH_EN: 0
; COMPUTE_PGM_RSRC2:USER_SGPR: 2
; COMPUTE_PGM_RSRC2:TRAP_HANDLER: 0
; COMPUTE_PGM_RSRC2:TGID_X_EN: 1
; COMPUTE_PGM_RSRC2:TGID_Y_EN: 0
; COMPUTE_PGM_RSRC2:TGID_Z_EN: 0
; COMPUTE_PGM_RSRC2:TIDIG_COMP_CNT: 0
; COMPUTE_PGM_RSRC3_GFX90A:ACCUM_OFFSET: 0
; COMPUTE_PGM_RSRC3_GFX90A:TG_SPLIT: 0
	.section	.text._ZN7rocprim17ROCPRIM_400000_NS6detail17trampoline_kernelINS0_14default_configENS1_25partition_config_selectorILNS1_17partition_subalgoE0EyNS0_10empty_typeEbEEZZNS1_14partition_implILS5_0ELb0ES3_jN6thrust23THRUST_200600_302600_NS6detail15normal_iteratorINSA_10device_ptrIyEEEEPS6_SG_NS0_5tupleIJNSA_16discard_iteratorINSA_11use_defaultEEESF_EEENSH_IJSG_SG_EEES6_PlJ7is_evenIyEEEE10hipError_tPvRmT3_T4_T5_T6_T7_T9_mT8_P12ihipStream_tbDpT10_ENKUlT_T0_E_clISt17integral_constantIbLb1EES18_IbLb0EEEEDaS14_S15_EUlS14_E_NS1_11comp_targetILNS1_3genE3ELNS1_11target_archE908ELNS1_3gpuE7ELNS1_3repE0EEENS1_30default_config_static_selectorELNS0_4arch9wavefront6targetE1EEEvT1_,"axG",@progbits,_ZN7rocprim17ROCPRIM_400000_NS6detail17trampoline_kernelINS0_14default_configENS1_25partition_config_selectorILNS1_17partition_subalgoE0EyNS0_10empty_typeEbEEZZNS1_14partition_implILS5_0ELb0ES3_jN6thrust23THRUST_200600_302600_NS6detail15normal_iteratorINSA_10device_ptrIyEEEEPS6_SG_NS0_5tupleIJNSA_16discard_iteratorINSA_11use_defaultEEESF_EEENSH_IJSG_SG_EEES6_PlJ7is_evenIyEEEE10hipError_tPvRmT3_T4_T5_T6_T7_T9_mT8_P12ihipStream_tbDpT10_ENKUlT_T0_E_clISt17integral_constantIbLb1EES18_IbLb0EEEEDaS14_S15_EUlS14_E_NS1_11comp_targetILNS1_3genE3ELNS1_11target_archE908ELNS1_3gpuE7ELNS1_3repE0EEENS1_30default_config_static_selectorELNS0_4arch9wavefront6targetE1EEEvT1_,comdat
	.protected	_ZN7rocprim17ROCPRIM_400000_NS6detail17trampoline_kernelINS0_14default_configENS1_25partition_config_selectorILNS1_17partition_subalgoE0EyNS0_10empty_typeEbEEZZNS1_14partition_implILS5_0ELb0ES3_jN6thrust23THRUST_200600_302600_NS6detail15normal_iteratorINSA_10device_ptrIyEEEEPS6_SG_NS0_5tupleIJNSA_16discard_iteratorINSA_11use_defaultEEESF_EEENSH_IJSG_SG_EEES6_PlJ7is_evenIyEEEE10hipError_tPvRmT3_T4_T5_T6_T7_T9_mT8_P12ihipStream_tbDpT10_ENKUlT_T0_E_clISt17integral_constantIbLb1EES18_IbLb0EEEEDaS14_S15_EUlS14_E_NS1_11comp_targetILNS1_3genE3ELNS1_11target_archE908ELNS1_3gpuE7ELNS1_3repE0EEENS1_30default_config_static_selectorELNS0_4arch9wavefront6targetE1EEEvT1_ ; -- Begin function _ZN7rocprim17ROCPRIM_400000_NS6detail17trampoline_kernelINS0_14default_configENS1_25partition_config_selectorILNS1_17partition_subalgoE0EyNS0_10empty_typeEbEEZZNS1_14partition_implILS5_0ELb0ES3_jN6thrust23THRUST_200600_302600_NS6detail15normal_iteratorINSA_10device_ptrIyEEEEPS6_SG_NS0_5tupleIJNSA_16discard_iteratorINSA_11use_defaultEEESF_EEENSH_IJSG_SG_EEES6_PlJ7is_evenIyEEEE10hipError_tPvRmT3_T4_T5_T6_T7_T9_mT8_P12ihipStream_tbDpT10_ENKUlT_T0_E_clISt17integral_constantIbLb1EES18_IbLb0EEEEDaS14_S15_EUlS14_E_NS1_11comp_targetILNS1_3genE3ELNS1_11target_archE908ELNS1_3gpuE7ELNS1_3repE0EEENS1_30default_config_static_selectorELNS0_4arch9wavefront6targetE1EEEvT1_
	.globl	_ZN7rocprim17ROCPRIM_400000_NS6detail17trampoline_kernelINS0_14default_configENS1_25partition_config_selectorILNS1_17partition_subalgoE0EyNS0_10empty_typeEbEEZZNS1_14partition_implILS5_0ELb0ES3_jN6thrust23THRUST_200600_302600_NS6detail15normal_iteratorINSA_10device_ptrIyEEEEPS6_SG_NS0_5tupleIJNSA_16discard_iteratorINSA_11use_defaultEEESF_EEENSH_IJSG_SG_EEES6_PlJ7is_evenIyEEEE10hipError_tPvRmT3_T4_T5_T6_T7_T9_mT8_P12ihipStream_tbDpT10_ENKUlT_T0_E_clISt17integral_constantIbLb1EES18_IbLb0EEEEDaS14_S15_EUlS14_E_NS1_11comp_targetILNS1_3genE3ELNS1_11target_archE908ELNS1_3gpuE7ELNS1_3repE0EEENS1_30default_config_static_selectorELNS0_4arch9wavefront6targetE1EEEvT1_
	.p2align	8
	.type	_ZN7rocprim17ROCPRIM_400000_NS6detail17trampoline_kernelINS0_14default_configENS1_25partition_config_selectorILNS1_17partition_subalgoE0EyNS0_10empty_typeEbEEZZNS1_14partition_implILS5_0ELb0ES3_jN6thrust23THRUST_200600_302600_NS6detail15normal_iteratorINSA_10device_ptrIyEEEEPS6_SG_NS0_5tupleIJNSA_16discard_iteratorINSA_11use_defaultEEESF_EEENSH_IJSG_SG_EEES6_PlJ7is_evenIyEEEE10hipError_tPvRmT3_T4_T5_T6_T7_T9_mT8_P12ihipStream_tbDpT10_ENKUlT_T0_E_clISt17integral_constantIbLb1EES18_IbLb0EEEEDaS14_S15_EUlS14_E_NS1_11comp_targetILNS1_3genE3ELNS1_11target_archE908ELNS1_3gpuE7ELNS1_3repE0EEENS1_30default_config_static_selectorELNS0_4arch9wavefront6targetE1EEEvT1_,@function
_ZN7rocprim17ROCPRIM_400000_NS6detail17trampoline_kernelINS0_14default_configENS1_25partition_config_selectorILNS1_17partition_subalgoE0EyNS0_10empty_typeEbEEZZNS1_14partition_implILS5_0ELb0ES3_jN6thrust23THRUST_200600_302600_NS6detail15normal_iteratorINSA_10device_ptrIyEEEEPS6_SG_NS0_5tupleIJNSA_16discard_iteratorINSA_11use_defaultEEESF_EEENSH_IJSG_SG_EEES6_PlJ7is_evenIyEEEE10hipError_tPvRmT3_T4_T5_T6_T7_T9_mT8_P12ihipStream_tbDpT10_ENKUlT_T0_E_clISt17integral_constantIbLb1EES18_IbLb0EEEEDaS14_S15_EUlS14_E_NS1_11comp_targetILNS1_3genE3ELNS1_11target_archE908ELNS1_3gpuE7ELNS1_3repE0EEENS1_30default_config_static_selectorELNS0_4arch9wavefront6targetE1EEEvT1_: ; @_ZN7rocprim17ROCPRIM_400000_NS6detail17trampoline_kernelINS0_14default_configENS1_25partition_config_selectorILNS1_17partition_subalgoE0EyNS0_10empty_typeEbEEZZNS1_14partition_implILS5_0ELb0ES3_jN6thrust23THRUST_200600_302600_NS6detail15normal_iteratorINSA_10device_ptrIyEEEEPS6_SG_NS0_5tupleIJNSA_16discard_iteratorINSA_11use_defaultEEESF_EEENSH_IJSG_SG_EEES6_PlJ7is_evenIyEEEE10hipError_tPvRmT3_T4_T5_T6_T7_T9_mT8_P12ihipStream_tbDpT10_ENKUlT_T0_E_clISt17integral_constantIbLb1EES18_IbLb0EEEEDaS14_S15_EUlS14_E_NS1_11comp_targetILNS1_3genE3ELNS1_11target_archE908ELNS1_3gpuE7ELNS1_3repE0EEENS1_30default_config_static_selectorELNS0_4arch9wavefront6targetE1EEEvT1_
; %bb.0:
	.section	.rodata,"a",@progbits
	.p2align	6, 0x0
	.amdhsa_kernel _ZN7rocprim17ROCPRIM_400000_NS6detail17trampoline_kernelINS0_14default_configENS1_25partition_config_selectorILNS1_17partition_subalgoE0EyNS0_10empty_typeEbEEZZNS1_14partition_implILS5_0ELb0ES3_jN6thrust23THRUST_200600_302600_NS6detail15normal_iteratorINSA_10device_ptrIyEEEEPS6_SG_NS0_5tupleIJNSA_16discard_iteratorINSA_11use_defaultEEESF_EEENSH_IJSG_SG_EEES6_PlJ7is_evenIyEEEE10hipError_tPvRmT3_T4_T5_T6_T7_T9_mT8_P12ihipStream_tbDpT10_ENKUlT_T0_E_clISt17integral_constantIbLb1EES18_IbLb0EEEEDaS14_S15_EUlS14_E_NS1_11comp_targetILNS1_3genE3ELNS1_11target_archE908ELNS1_3gpuE7ELNS1_3repE0EEENS1_30default_config_static_selectorELNS0_4arch9wavefront6targetE1EEEvT1_
		.amdhsa_group_segment_fixed_size 0
		.amdhsa_private_segment_fixed_size 0
		.amdhsa_kernarg_size 128
		.amdhsa_user_sgpr_count 2
		.amdhsa_user_sgpr_dispatch_ptr 0
		.amdhsa_user_sgpr_queue_ptr 0
		.amdhsa_user_sgpr_kernarg_segment_ptr 1
		.amdhsa_user_sgpr_dispatch_id 0
		.amdhsa_user_sgpr_kernarg_preload_length 0
		.amdhsa_user_sgpr_kernarg_preload_offset 0
		.amdhsa_user_sgpr_private_segment_size 0
		.amdhsa_uses_dynamic_stack 0
		.amdhsa_enable_private_segment 0
		.amdhsa_system_sgpr_workgroup_id_x 1
		.amdhsa_system_sgpr_workgroup_id_y 0
		.amdhsa_system_sgpr_workgroup_id_z 0
		.amdhsa_system_sgpr_workgroup_info 0
		.amdhsa_system_vgpr_workitem_id 0
		.amdhsa_next_free_vgpr 1
		.amdhsa_next_free_sgpr 0
		.amdhsa_accum_offset 4
		.amdhsa_reserve_vcc 0
		.amdhsa_float_round_mode_32 0
		.amdhsa_float_round_mode_16_64 0
		.amdhsa_float_denorm_mode_32 3
		.amdhsa_float_denorm_mode_16_64 3
		.amdhsa_dx10_clamp 1
		.amdhsa_ieee_mode 1
		.amdhsa_fp16_overflow 0
		.amdhsa_tg_split 0
		.amdhsa_exception_fp_ieee_invalid_op 0
		.amdhsa_exception_fp_denorm_src 0
		.amdhsa_exception_fp_ieee_div_zero 0
		.amdhsa_exception_fp_ieee_overflow 0
		.amdhsa_exception_fp_ieee_underflow 0
		.amdhsa_exception_fp_ieee_inexact 0
		.amdhsa_exception_int_div_zero 0
	.end_amdhsa_kernel
	.section	.text._ZN7rocprim17ROCPRIM_400000_NS6detail17trampoline_kernelINS0_14default_configENS1_25partition_config_selectorILNS1_17partition_subalgoE0EyNS0_10empty_typeEbEEZZNS1_14partition_implILS5_0ELb0ES3_jN6thrust23THRUST_200600_302600_NS6detail15normal_iteratorINSA_10device_ptrIyEEEEPS6_SG_NS0_5tupleIJNSA_16discard_iteratorINSA_11use_defaultEEESF_EEENSH_IJSG_SG_EEES6_PlJ7is_evenIyEEEE10hipError_tPvRmT3_T4_T5_T6_T7_T9_mT8_P12ihipStream_tbDpT10_ENKUlT_T0_E_clISt17integral_constantIbLb1EES18_IbLb0EEEEDaS14_S15_EUlS14_E_NS1_11comp_targetILNS1_3genE3ELNS1_11target_archE908ELNS1_3gpuE7ELNS1_3repE0EEENS1_30default_config_static_selectorELNS0_4arch9wavefront6targetE1EEEvT1_,"axG",@progbits,_ZN7rocprim17ROCPRIM_400000_NS6detail17trampoline_kernelINS0_14default_configENS1_25partition_config_selectorILNS1_17partition_subalgoE0EyNS0_10empty_typeEbEEZZNS1_14partition_implILS5_0ELb0ES3_jN6thrust23THRUST_200600_302600_NS6detail15normal_iteratorINSA_10device_ptrIyEEEEPS6_SG_NS0_5tupleIJNSA_16discard_iteratorINSA_11use_defaultEEESF_EEENSH_IJSG_SG_EEES6_PlJ7is_evenIyEEEE10hipError_tPvRmT3_T4_T5_T6_T7_T9_mT8_P12ihipStream_tbDpT10_ENKUlT_T0_E_clISt17integral_constantIbLb1EES18_IbLb0EEEEDaS14_S15_EUlS14_E_NS1_11comp_targetILNS1_3genE3ELNS1_11target_archE908ELNS1_3gpuE7ELNS1_3repE0EEENS1_30default_config_static_selectorELNS0_4arch9wavefront6targetE1EEEvT1_,comdat
.Lfunc_end2382:
	.size	_ZN7rocprim17ROCPRIM_400000_NS6detail17trampoline_kernelINS0_14default_configENS1_25partition_config_selectorILNS1_17partition_subalgoE0EyNS0_10empty_typeEbEEZZNS1_14partition_implILS5_0ELb0ES3_jN6thrust23THRUST_200600_302600_NS6detail15normal_iteratorINSA_10device_ptrIyEEEEPS6_SG_NS0_5tupleIJNSA_16discard_iteratorINSA_11use_defaultEEESF_EEENSH_IJSG_SG_EEES6_PlJ7is_evenIyEEEE10hipError_tPvRmT3_T4_T5_T6_T7_T9_mT8_P12ihipStream_tbDpT10_ENKUlT_T0_E_clISt17integral_constantIbLb1EES18_IbLb0EEEEDaS14_S15_EUlS14_E_NS1_11comp_targetILNS1_3genE3ELNS1_11target_archE908ELNS1_3gpuE7ELNS1_3repE0EEENS1_30default_config_static_selectorELNS0_4arch9wavefront6targetE1EEEvT1_, .Lfunc_end2382-_ZN7rocprim17ROCPRIM_400000_NS6detail17trampoline_kernelINS0_14default_configENS1_25partition_config_selectorILNS1_17partition_subalgoE0EyNS0_10empty_typeEbEEZZNS1_14partition_implILS5_0ELb0ES3_jN6thrust23THRUST_200600_302600_NS6detail15normal_iteratorINSA_10device_ptrIyEEEEPS6_SG_NS0_5tupleIJNSA_16discard_iteratorINSA_11use_defaultEEESF_EEENSH_IJSG_SG_EEES6_PlJ7is_evenIyEEEE10hipError_tPvRmT3_T4_T5_T6_T7_T9_mT8_P12ihipStream_tbDpT10_ENKUlT_T0_E_clISt17integral_constantIbLb1EES18_IbLb0EEEEDaS14_S15_EUlS14_E_NS1_11comp_targetILNS1_3genE3ELNS1_11target_archE908ELNS1_3gpuE7ELNS1_3repE0EEENS1_30default_config_static_selectorELNS0_4arch9wavefront6targetE1EEEvT1_
                                        ; -- End function
	.section	.AMDGPU.csdata,"",@progbits
; Kernel info:
; codeLenInByte = 0
; NumSgprs: 6
; NumVgprs: 0
; NumAgprs: 0
; TotalNumVgprs: 0
; ScratchSize: 0
; MemoryBound: 0
; FloatMode: 240
; IeeeMode: 1
; LDSByteSize: 0 bytes/workgroup (compile time only)
; SGPRBlocks: 0
; VGPRBlocks: 0
; NumSGPRsForWavesPerEU: 6
; NumVGPRsForWavesPerEU: 1
; AccumOffset: 4
; Occupancy: 8
; WaveLimiterHint : 0
; COMPUTE_PGM_RSRC2:SCRATCH_EN: 0
; COMPUTE_PGM_RSRC2:USER_SGPR: 2
; COMPUTE_PGM_RSRC2:TRAP_HANDLER: 0
; COMPUTE_PGM_RSRC2:TGID_X_EN: 1
; COMPUTE_PGM_RSRC2:TGID_Y_EN: 0
; COMPUTE_PGM_RSRC2:TGID_Z_EN: 0
; COMPUTE_PGM_RSRC2:TIDIG_COMP_CNT: 0
; COMPUTE_PGM_RSRC3_GFX90A:ACCUM_OFFSET: 0
; COMPUTE_PGM_RSRC3_GFX90A:TG_SPLIT: 0
	.section	.text._ZN7rocprim17ROCPRIM_400000_NS6detail17trampoline_kernelINS0_14default_configENS1_25partition_config_selectorILNS1_17partition_subalgoE0EyNS0_10empty_typeEbEEZZNS1_14partition_implILS5_0ELb0ES3_jN6thrust23THRUST_200600_302600_NS6detail15normal_iteratorINSA_10device_ptrIyEEEEPS6_SG_NS0_5tupleIJNSA_16discard_iteratorINSA_11use_defaultEEESF_EEENSH_IJSG_SG_EEES6_PlJ7is_evenIyEEEE10hipError_tPvRmT3_T4_T5_T6_T7_T9_mT8_P12ihipStream_tbDpT10_ENKUlT_T0_E_clISt17integral_constantIbLb1EES18_IbLb0EEEEDaS14_S15_EUlS14_E_NS1_11comp_targetILNS1_3genE2ELNS1_11target_archE906ELNS1_3gpuE6ELNS1_3repE0EEENS1_30default_config_static_selectorELNS0_4arch9wavefront6targetE1EEEvT1_,"axG",@progbits,_ZN7rocprim17ROCPRIM_400000_NS6detail17trampoline_kernelINS0_14default_configENS1_25partition_config_selectorILNS1_17partition_subalgoE0EyNS0_10empty_typeEbEEZZNS1_14partition_implILS5_0ELb0ES3_jN6thrust23THRUST_200600_302600_NS6detail15normal_iteratorINSA_10device_ptrIyEEEEPS6_SG_NS0_5tupleIJNSA_16discard_iteratorINSA_11use_defaultEEESF_EEENSH_IJSG_SG_EEES6_PlJ7is_evenIyEEEE10hipError_tPvRmT3_T4_T5_T6_T7_T9_mT8_P12ihipStream_tbDpT10_ENKUlT_T0_E_clISt17integral_constantIbLb1EES18_IbLb0EEEEDaS14_S15_EUlS14_E_NS1_11comp_targetILNS1_3genE2ELNS1_11target_archE906ELNS1_3gpuE6ELNS1_3repE0EEENS1_30default_config_static_selectorELNS0_4arch9wavefront6targetE1EEEvT1_,comdat
	.protected	_ZN7rocprim17ROCPRIM_400000_NS6detail17trampoline_kernelINS0_14default_configENS1_25partition_config_selectorILNS1_17partition_subalgoE0EyNS0_10empty_typeEbEEZZNS1_14partition_implILS5_0ELb0ES3_jN6thrust23THRUST_200600_302600_NS6detail15normal_iteratorINSA_10device_ptrIyEEEEPS6_SG_NS0_5tupleIJNSA_16discard_iteratorINSA_11use_defaultEEESF_EEENSH_IJSG_SG_EEES6_PlJ7is_evenIyEEEE10hipError_tPvRmT3_T4_T5_T6_T7_T9_mT8_P12ihipStream_tbDpT10_ENKUlT_T0_E_clISt17integral_constantIbLb1EES18_IbLb0EEEEDaS14_S15_EUlS14_E_NS1_11comp_targetILNS1_3genE2ELNS1_11target_archE906ELNS1_3gpuE6ELNS1_3repE0EEENS1_30default_config_static_selectorELNS0_4arch9wavefront6targetE1EEEvT1_ ; -- Begin function _ZN7rocprim17ROCPRIM_400000_NS6detail17trampoline_kernelINS0_14default_configENS1_25partition_config_selectorILNS1_17partition_subalgoE0EyNS0_10empty_typeEbEEZZNS1_14partition_implILS5_0ELb0ES3_jN6thrust23THRUST_200600_302600_NS6detail15normal_iteratorINSA_10device_ptrIyEEEEPS6_SG_NS0_5tupleIJNSA_16discard_iteratorINSA_11use_defaultEEESF_EEENSH_IJSG_SG_EEES6_PlJ7is_evenIyEEEE10hipError_tPvRmT3_T4_T5_T6_T7_T9_mT8_P12ihipStream_tbDpT10_ENKUlT_T0_E_clISt17integral_constantIbLb1EES18_IbLb0EEEEDaS14_S15_EUlS14_E_NS1_11comp_targetILNS1_3genE2ELNS1_11target_archE906ELNS1_3gpuE6ELNS1_3repE0EEENS1_30default_config_static_selectorELNS0_4arch9wavefront6targetE1EEEvT1_
	.globl	_ZN7rocprim17ROCPRIM_400000_NS6detail17trampoline_kernelINS0_14default_configENS1_25partition_config_selectorILNS1_17partition_subalgoE0EyNS0_10empty_typeEbEEZZNS1_14partition_implILS5_0ELb0ES3_jN6thrust23THRUST_200600_302600_NS6detail15normal_iteratorINSA_10device_ptrIyEEEEPS6_SG_NS0_5tupleIJNSA_16discard_iteratorINSA_11use_defaultEEESF_EEENSH_IJSG_SG_EEES6_PlJ7is_evenIyEEEE10hipError_tPvRmT3_T4_T5_T6_T7_T9_mT8_P12ihipStream_tbDpT10_ENKUlT_T0_E_clISt17integral_constantIbLb1EES18_IbLb0EEEEDaS14_S15_EUlS14_E_NS1_11comp_targetILNS1_3genE2ELNS1_11target_archE906ELNS1_3gpuE6ELNS1_3repE0EEENS1_30default_config_static_selectorELNS0_4arch9wavefront6targetE1EEEvT1_
	.p2align	8
	.type	_ZN7rocprim17ROCPRIM_400000_NS6detail17trampoline_kernelINS0_14default_configENS1_25partition_config_selectorILNS1_17partition_subalgoE0EyNS0_10empty_typeEbEEZZNS1_14partition_implILS5_0ELb0ES3_jN6thrust23THRUST_200600_302600_NS6detail15normal_iteratorINSA_10device_ptrIyEEEEPS6_SG_NS0_5tupleIJNSA_16discard_iteratorINSA_11use_defaultEEESF_EEENSH_IJSG_SG_EEES6_PlJ7is_evenIyEEEE10hipError_tPvRmT3_T4_T5_T6_T7_T9_mT8_P12ihipStream_tbDpT10_ENKUlT_T0_E_clISt17integral_constantIbLb1EES18_IbLb0EEEEDaS14_S15_EUlS14_E_NS1_11comp_targetILNS1_3genE2ELNS1_11target_archE906ELNS1_3gpuE6ELNS1_3repE0EEENS1_30default_config_static_selectorELNS0_4arch9wavefront6targetE1EEEvT1_,@function
_ZN7rocprim17ROCPRIM_400000_NS6detail17trampoline_kernelINS0_14default_configENS1_25partition_config_selectorILNS1_17partition_subalgoE0EyNS0_10empty_typeEbEEZZNS1_14partition_implILS5_0ELb0ES3_jN6thrust23THRUST_200600_302600_NS6detail15normal_iteratorINSA_10device_ptrIyEEEEPS6_SG_NS0_5tupleIJNSA_16discard_iteratorINSA_11use_defaultEEESF_EEENSH_IJSG_SG_EEES6_PlJ7is_evenIyEEEE10hipError_tPvRmT3_T4_T5_T6_T7_T9_mT8_P12ihipStream_tbDpT10_ENKUlT_T0_E_clISt17integral_constantIbLb1EES18_IbLb0EEEEDaS14_S15_EUlS14_E_NS1_11comp_targetILNS1_3genE2ELNS1_11target_archE906ELNS1_3gpuE6ELNS1_3repE0EEENS1_30default_config_static_selectorELNS0_4arch9wavefront6targetE1EEEvT1_: ; @_ZN7rocprim17ROCPRIM_400000_NS6detail17trampoline_kernelINS0_14default_configENS1_25partition_config_selectorILNS1_17partition_subalgoE0EyNS0_10empty_typeEbEEZZNS1_14partition_implILS5_0ELb0ES3_jN6thrust23THRUST_200600_302600_NS6detail15normal_iteratorINSA_10device_ptrIyEEEEPS6_SG_NS0_5tupleIJNSA_16discard_iteratorINSA_11use_defaultEEESF_EEENSH_IJSG_SG_EEES6_PlJ7is_evenIyEEEE10hipError_tPvRmT3_T4_T5_T6_T7_T9_mT8_P12ihipStream_tbDpT10_ENKUlT_T0_E_clISt17integral_constantIbLb1EES18_IbLb0EEEEDaS14_S15_EUlS14_E_NS1_11comp_targetILNS1_3genE2ELNS1_11target_archE906ELNS1_3gpuE6ELNS1_3repE0EEENS1_30default_config_static_selectorELNS0_4arch9wavefront6targetE1EEEvT1_
; %bb.0:
	.section	.rodata,"a",@progbits
	.p2align	6, 0x0
	.amdhsa_kernel _ZN7rocprim17ROCPRIM_400000_NS6detail17trampoline_kernelINS0_14default_configENS1_25partition_config_selectorILNS1_17partition_subalgoE0EyNS0_10empty_typeEbEEZZNS1_14partition_implILS5_0ELb0ES3_jN6thrust23THRUST_200600_302600_NS6detail15normal_iteratorINSA_10device_ptrIyEEEEPS6_SG_NS0_5tupleIJNSA_16discard_iteratorINSA_11use_defaultEEESF_EEENSH_IJSG_SG_EEES6_PlJ7is_evenIyEEEE10hipError_tPvRmT3_T4_T5_T6_T7_T9_mT8_P12ihipStream_tbDpT10_ENKUlT_T0_E_clISt17integral_constantIbLb1EES18_IbLb0EEEEDaS14_S15_EUlS14_E_NS1_11comp_targetILNS1_3genE2ELNS1_11target_archE906ELNS1_3gpuE6ELNS1_3repE0EEENS1_30default_config_static_selectorELNS0_4arch9wavefront6targetE1EEEvT1_
		.amdhsa_group_segment_fixed_size 0
		.amdhsa_private_segment_fixed_size 0
		.amdhsa_kernarg_size 128
		.amdhsa_user_sgpr_count 2
		.amdhsa_user_sgpr_dispatch_ptr 0
		.amdhsa_user_sgpr_queue_ptr 0
		.amdhsa_user_sgpr_kernarg_segment_ptr 1
		.amdhsa_user_sgpr_dispatch_id 0
		.amdhsa_user_sgpr_kernarg_preload_length 0
		.amdhsa_user_sgpr_kernarg_preload_offset 0
		.amdhsa_user_sgpr_private_segment_size 0
		.amdhsa_uses_dynamic_stack 0
		.amdhsa_enable_private_segment 0
		.amdhsa_system_sgpr_workgroup_id_x 1
		.amdhsa_system_sgpr_workgroup_id_y 0
		.amdhsa_system_sgpr_workgroup_id_z 0
		.amdhsa_system_sgpr_workgroup_info 0
		.amdhsa_system_vgpr_workitem_id 0
		.amdhsa_next_free_vgpr 1
		.amdhsa_next_free_sgpr 0
		.amdhsa_accum_offset 4
		.amdhsa_reserve_vcc 0
		.amdhsa_float_round_mode_32 0
		.amdhsa_float_round_mode_16_64 0
		.amdhsa_float_denorm_mode_32 3
		.amdhsa_float_denorm_mode_16_64 3
		.amdhsa_dx10_clamp 1
		.amdhsa_ieee_mode 1
		.amdhsa_fp16_overflow 0
		.amdhsa_tg_split 0
		.amdhsa_exception_fp_ieee_invalid_op 0
		.amdhsa_exception_fp_denorm_src 0
		.amdhsa_exception_fp_ieee_div_zero 0
		.amdhsa_exception_fp_ieee_overflow 0
		.amdhsa_exception_fp_ieee_underflow 0
		.amdhsa_exception_fp_ieee_inexact 0
		.amdhsa_exception_int_div_zero 0
	.end_amdhsa_kernel
	.section	.text._ZN7rocprim17ROCPRIM_400000_NS6detail17trampoline_kernelINS0_14default_configENS1_25partition_config_selectorILNS1_17partition_subalgoE0EyNS0_10empty_typeEbEEZZNS1_14partition_implILS5_0ELb0ES3_jN6thrust23THRUST_200600_302600_NS6detail15normal_iteratorINSA_10device_ptrIyEEEEPS6_SG_NS0_5tupleIJNSA_16discard_iteratorINSA_11use_defaultEEESF_EEENSH_IJSG_SG_EEES6_PlJ7is_evenIyEEEE10hipError_tPvRmT3_T4_T5_T6_T7_T9_mT8_P12ihipStream_tbDpT10_ENKUlT_T0_E_clISt17integral_constantIbLb1EES18_IbLb0EEEEDaS14_S15_EUlS14_E_NS1_11comp_targetILNS1_3genE2ELNS1_11target_archE906ELNS1_3gpuE6ELNS1_3repE0EEENS1_30default_config_static_selectorELNS0_4arch9wavefront6targetE1EEEvT1_,"axG",@progbits,_ZN7rocprim17ROCPRIM_400000_NS6detail17trampoline_kernelINS0_14default_configENS1_25partition_config_selectorILNS1_17partition_subalgoE0EyNS0_10empty_typeEbEEZZNS1_14partition_implILS5_0ELb0ES3_jN6thrust23THRUST_200600_302600_NS6detail15normal_iteratorINSA_10device_ptrIyEEEEPS6_SG_NS0_5tupleIJNSA_16discard_iteratorINSA_11use_defaultEEESF_EEENSH_IJSG_SG_EEES6_PlJ7is_evenIyEEEE10hipError_tPvRmT3_T4_T5_T6_T7_T9_mT8_P12ihipStream_tbDpT10_ENKUlT_T0_E_clISt17integral_constantIbLb1EES18_IbLb0EEEEDaS14_S15_EUlS14_E_NS1_11comp_targetILNS1_3genE2ELNS1_11target_archE906ELNS1_3gpuE6ELNS1_3repE0EEENS1_30default_config_static_selectorELNS0_4arch9wavefront6targetE1EEEvT1_,comdat
.Lfunc_end2383:
	.size	_ZN7rocprim17ROCPRIM_400000_NS6detail17trampoline_kernelINS0_14default_configENS1_25partition_config_selectorILNS1_17partition_subalgoE0EyNS0_10empty_typeEbEEZZNS1_14partition_implILS5_0ELb0ES3_jN6thrust23THRUST_200600_302600_NS6detail15normal_iteratorINSA_10device_ptrIyEEEEPS6_SG_NS0_5tupleIJNSA_16discard_iteratorINSA_11use_defaultEEESF_EEENSH_IJSG_SG_EEES6_PlJ7is_evenIyEEEE10hipError_tPvRmT3_T4_T5_T6_T7_T9_mT8_P12ihipStream_tbDpT10_ENKUlT_T0_E_clISt17integral_constantIbLb1EES18_IbLb0EEEEDaS14_S15_EUlS14_E_NS1_11comp_targetILNS1_3genE2ELNS1_11target_archE906ELNS1_3gpuE6ELNS1_3repE0EEENS1_30default_config_static_selectorELNS0_4arch9wavefront6targetE1EEEvT1_, .Lfunc_end2383-_ZN7rocprim17ROCPRIM_400000_NS6detail17trampoline_kernelINS0_14default_configENS1_25partition_config_selectorILNS1_17partition_subalgoE0EyNS0_10empty_typeEbEEZZNS1_14partition_implILS5_0ELb0ES3_jN6thrust23THRUST_200600_302600_NS6detail15normal_iteratorINSA_10device_ptrIyEEEEPS6_SG_NS0_5tupleIJNSA_16discard_iteratorINSA_11use_defaultEEESF_EEENSH_IJSG_SG_EEES6_PlJ7is_evenIyEEEE10hipError_tPvRmT3_T4_T5_T6_T7_T9_mT8_P12ihipStream_tbDpT10_ENKUlT_T0_E_clISt17integral_constantIbLb1EES18_IbLb0EEEEDaS14_S15_EUlS14_E_NS1_11comp_targetILNS1_3genE2ELNS1_11target_archE906ELNS1_3gpuE6ELNS1_3repE0EEENS1_30default_config_static_selectorELNS0_4arch9wavefront6targetE1EEEvT1_
                                        ; -- End function
	.section	.AMDGPU.csdata,"",@progbits
; Kernel info:
; codeLenInByte = 0
; NumSgprs: 6
; NumVgprs: 0
; NumAgprs: 0
; TotalNumVgprs: 0
; ScratchSize: 0
; MemoryBound: 0
; FloatMode: 240
; IeeeMode: 1
; LDSByteSize: 0 bytes/workgroup (compile time only)
; SGPRBlocks: 0
; VGPRBlocks: 0
; NumSGPRsForWavesPerEU: 6
; NumVGPRsForWavesPerEU: 1
; AccumOffset: 4
; Occupancy: 8
; WaveLimiterHint : 0
; COMPUTE_PGM_RSRC2:SCRATCH_EN: 0
; COMPUTE_PGM_RSRC2:USER_SGPR: 2
; COMPUTE_PGM_RSRC2:TRAP_HANDLER: 0
; COMPUTE_PGM_RSRC2:TGID_X_EN: 1
; COMPUTE_PGM_RSRC2:TGID_Y_EN: 0
; COMPUTE_PGM_RSRC2:TGID_Z_EN: 0
; COMPUTE_PGM_RSRC2:TIDIG_COMP_CNT: 0
; COMPUTE_PGM_RSRC3_GFX90A:ACCUM_OFFSET: 0
; COMPUTE_PGM_RSRC3_GFX90A:TG_SPLIT: 0
	.section	.text._ZN7rocprim17ROCPRIM_400000_NS6detail17trampoline_kernelINS0_14default_configENS1_25partition_config_selectorILNS1_17partition_subalgoE0EyNS0_10empty_typeEbEEZZNS1_14partition_implILS5_0ELb0ES3_jN6thrust23THRUST_200600_302600_NS6detail15normal_iteratorINSA_10device_ptrIyEEEEPS6_SG_NS0_5tupleIJNSA_16discard_iteratorINSA_11use_defaultEEESF_EEENSH_IJSG_SG_EEES6_PlJ7is_evenIyEEEE10hipError_tPvRmT3_T4_T5_T6_T7_T9_mT8_P12ihipStream_tbDpT10_ENKUlT_T0_E_clISt17integral_constantIbLb1EES18_IbLb0EEEEDaS14_S15_EUlS14_E_NS1_11comp_targetILNS1_3genE10ELNS1_11target_archE1200ELNS1_3gpuE4ELNS1_3repE0EEENS1_30default_config_static_selectorELNS0_4arch9wavefront6targetE1EEEvT1_,"axG",@progbits,_ZN7rocprim17ROCPRIM_400000_NS6detail17trampoline_kernelINS0_14default_configENS1_25partition_config_selectorILNS1_17partition_subalgoE0EyNS0_10empty_typeEbEEZZNS1_14partition_implILS5_0ELb0ES3_jN6thrust23THRUST_200600_302600_NS6detail15normal_iteratorINSA_10device_ptrIyEEEEPS6_SG_NS0_5tupleIJNSA_16discard_iteratorINSA_11use_defaultEEESF_EEENSH_IJSG_SG_EEES6_PlJ7is_evenIyEEEE10hipError_tPvRmT3_T4_T5_T6_T7_T9_mT8_P12ihipStream_tbDpT10_ENKUlT_T0_E_clISt17integral_constantIbLb1EES18_IbLb0EEEEDaS14_S15_EUlS14_E_NS1_11comp_targetILNS1_3genE10ELNS1_11target_archE1200ELNS1_3gpuE4ELNS1_3repE0EEENS1_30default_config_static_selectorELNS0_4arch9wavefront6targetE1EEEvT1_,comdat
	.protected	_ZN7rocprim17ROCPRIM_400000_NS6detail17trampoline_kernelINS0_14default_configENS1_25partition_config_selectorILNS1_17partition_subalgoE0EyNS0_10empty_typeEbEEZZNS1_14partition_implILS5_0ELb0ES3_jN6thrust23THRUST_200600_302600_NS6detail15normal_iteratorINSA_10device_ptrIyEEEEPS6_SG_NS0_5tupleIJNSA_16discard_iteratorINSA_11use_defaultEEESF_EEENSH_IJSG_SG_EEES6_PlJ7is_evenIyEEEE10hipError_tPvRmT3_T4_T5_T6_T7_T9_mT8_P12ihipStream_tbDpT10_ENKUlT_T0_E_clISt17integral_constantIbLb1EES18_IbLb0EEEEDaS14_S15_EUlS14_E_NS1_11comp_targetILNS1_3genE10ELNS1_11target_archE1200ELNS1_3gpuE4ELNS1_3repE0EEENS1_30default_config_static_selectorELNS0_4arch9wavefront6targetE1EEEvT1_ ; -- Begin function _ZN7rocprim17ROCPRIM_400000_NS6detail17trampoline_kernelINS0_14default_configENS1_25partition_config_selectorILNS1_17partition_subalgoE0EyNS0_10empty_typeEbEEZZNS1_14partition_implILS5_0ELb0ES3_jN6thrust23THRUST_200600_302600_NS6detail15normal_iteratorINSA_10device_ptrIyEEEEPS6_SG_NS0_5tupleIJNSA_16discard_iteratorINSA_11use_defaultEEESF_EEENSH_IJSG_SG_EEES6_PlJ7is_evenIyEEEE10hipError_tPvRmT3_T4_T5_T6_T7_T9_mT8_P12ihipStream_tbDpT10_ENKUlT_T0_E_clISt17integral_constantIbLb1EES18_IbLb0EEEEDaS14_S15_EUlS14_E_NS1_11comp_targetILNS1_3genE10ELNS1_11target_archE1200ELNS1_3gpuE4ELNS1_3repE0EEENS1_30default_config_static_selectorELNS0_4arch9wavefront6targetE1EEEvT1_
	.globl	_ZN7rocprim17ROCPRIM_400000_NS6detail17trampoline_kernelINS0_14default_configENS1_25partition_config_selectorILNS1_17partition_subalgoE0EyNS0_10empty_typeEbEEZZNS1_14partition_implILS5_0ELb0ES3_jN6thrust23THRUST_200600_302600_NS6detail15normal_iteratorINSA_10device_ptrIyEEEEPS6_SG_NS0_5tupleIJNSA_16discard_iteratorINSA_11use_defaultEEESF_EEENSH_IJSG_SG_EEES6_PlJ7is_evenIyEEEE10hipError_tPvRmT3_T4_T5_T6_T7_T9_mT8_P12ihipStream_tbDpT10_ENKUlT_T0_E_clISt17integral_constantIbLb1EES18_IbLb0EEEEDaS14_S15_EUlS14_E_NS1_11comp_targetILNS1_3genE10ELNS1_11target_archE1200ELNS1_3gpuE4ELNS1_3repE0EEENS1_30default_config_static_selectorELNS0_4arch9wavefront6targetE1EEEvT1_
	.p2align	8
	.type	_ZN7rocprim17ROCPRIM_400000_NS6detail17trampoline_kernelINS0_14default_configENS1_25partition_config_selectorILNS1_17partition_subalgoE0EyNS0_10empty_typeEbEEZZNS1_14partition_implILS5_0ELb0ES3_jN6thrust23THRUST_200600_302600_NS6detail15normal_iteratorINSA_10device_ptrIyEEEEPS6_SG_NS0_5tupleIJNSA_16discard_iteratorINSA_11use_defaultEEESF_EEENSH_IJSG_SG_EEES6_PlJ7is_evenIyEEEE10hipError_tPvRmT3_T4_T5_T6_T7_T9_mT8_P12ihipStream_tbDpT10_ENKUlT_T0_E_clISt17integral_constantIbLb1EES18_IbLb0EEEEDaS14_S15_EUlS14_E_NS1_11comp_targetILNS1_3genE10ELNS1_11target_archE1200ELNS1_3gpuE4ELNS1_3repE0EEENS1_30default_config_static_selectorELNS0_4arch9wavefront6targetE1EEEvT1_,@function
_ZN7rocprim17ROCPRIM_400000_NS6detail17trampoline_kernelINS0_14default_configENS1_25partition_config_selectorILNS1_17partition_subalgoE0EyNS0_10empty_typeEbEEZZNS1_14partition_implILS5_0ELb0ES3_jN6thrust23THRUST_200600_302600_NS6detail15normal_iteratorINSA_10device_ptrIyEEEEPS6_SG_NS0_5tupleIJNSA_16discard_iteratorINSA_11use_defaultEEESF_EEENSH_IJSG_SG_EEES6_PlJ7is_evenIyEEEE10hipError_tPvRmT3_T4_T5_T6_T7_T9_mT8_P12ihipStream_tbDpT10_ENKUlT_T0_E_clISt17integral_constantIbLb1EES18_IbLb0EEEEDaS14_S15_EUlS14_E_NS1_11comp_targetILNS1_3genE10ELNS1_11target_archE1200ELNS1_3gpuE4ELNS1_3repE0EEENS1_30default_config_static_selectorELNS0_4arch9wavefront6targetE1EEEvT1_: ; @_ZN7rocprim17ROCPRIM_400000_NS6detail17trampoline_kernelINS0_14default_configENS1_25partition_config_selectorILNS1_17partition_subalgoE0EyNS0_10empty_typeEbEEZZNS1_14partition_implILS5_0ELb0ES3_jN6thrust23THRUST_200600_302600_NS6detail15normal_iteratorINSA_10device_ptrIyEEEEPS6_SG_NS0_5tupleIJNSA_16discard_iteratorINSA_11use_defaultEEESF_EEENSH_IJSG_SG_EEES6_PlJ7is_evenIyEEEE10hipError_tPvRmT3_T4_T5_T6_T7_T9_mT8_P12ihipStream_tbDpT10_ENKUlT_T0_E_clISt17integral_constantIbLb1EES18_IbLb0EEEEDaS14_S15_EUlS14_E_NS1_11comp_targetILNS1_3genE10ELNS1_11target_archE1200ELNS1_3gpuE4ELNS1_3repE0EEENS1_30default_config_static_selectorELNS0_4arch9wavefront6targetE1EEEvT1_
; %bb.0:
	.section	.rodata,"a",@progbits
	.p2align	6, 0x0
	.amdhsa_kernel _ZN7rocprim17ROCPRIM_400000_NS6detail17trampoline_kernelINS0_14default_configENS1_25partition_config_selectorILNS1_17partition_subalgoE0EyNS0_10empty_typeEbEEZZNS1_14partition_implILS5_0ELb0ES3_jN6thrust23THRUST_200600_302600_NS6detail15normal_iteratorINSA_10device_ptrIyEEEEPS6_SG_NS0_5tupleIJNSA_16discard_iteratorINSA_11use_defaultEEESF_EEENSH_IJSG_SG_EEES6_PlJ7is_evenIyEEEE10hipError_tPvRmT3_T4_T5_T6_T7_T9_mT8_P12ihipStream_tbDpT10_ENKUlT_T0_E_clISt17integral_constantIbLb1EES18_IbLb0EEEEDaS14_S15_EUlS14_E_NS1_11comp_targetILNS1_3genE10ELNS1_11target_archE1200ELNS1_3gpuE4ELNS1_3repE0EEENS1_30default_config_static_selectorELNS0_4arch9wavefront6targetE1EEEvT1_
		.amdhsa_group_segment_fixed_size 0
		.amdhsa_private_segment_fixed_size 0
		.amdhsa_kernarg_size 128
		.amdhsa_user_sgpr_count 2
		.amdhsa_user_sgpr_dispatch_ptr 0
		.amdhsa_user_sgpr_queue_ptr 0
		.amdhsa_user_sgpr_kernarg_segment_ptr 1
		.amdhsa_user_sgpr_dispatch_id 0
		.amdhsa_user_sgpr_kernarg_preload_length 0
		.amdhsa_user_sgpr_kernarg_preload_offset 0
		.amdhsa_user_sgpr_private_segment_size 0
		.amdhsa_uses_dynamic_stack 0
		.amdhsa_enable_private_segment 0
		.amdhsa_system_sgpr_workgroup_id_x 1
		.amdhsa_system_sgpr_workgroup_id_y 0
		.amdhsa_system_sgpr_workgroup_id_z 0
		.amdhsa_system_sgpr_workgroup_info 0
		.amdhsa_system_vgpr_workitem_id 0
		.amdhsa_next_free_vgpr 1
		.amdhsa_next_free_sgpr 0
		.amdhsa_accum_offset 4
		.amdhsa_reserve_vcc 0
		.amdhsa_float_round_mode_32 0
		.amdhsa_float_round_mode_16_64 0
		.amdhsa_float_denorm_mode_32 3
		.amdhsa_float_denorm_mode_16_64 3
		.amdhsa_dx10_clamp 1
		.amdhsa_ieee_mode 1
		.amdhsa_fp16_overflow 0
		.amdhsa_tg_split 0
		.amdhsa_exception_fp_ieee_invalid_op 0
		.amdhsa_exception_fp_denorm_src 0
		.amdhsa_exception_fp_ieee_div_zero 0
		.amdhsa_exception_fp_ieee_overflow 0
		.amdhsa_exception_fp_ieee_underflow 0
		.amdhsa_exception_fp_ieee_inexact 0
		.amdhsa_exception_int_div_zero 0
	.end_amdhsa_kernel
	.section	.text._ZN7rocprim17ROCPRIM_400000_NS6detail17trampoline_kernelINS0_14default_configENS1_25partition_config_selectorILNS1_17partition_subalgoE0EyNS0_10empty_typeEbEEZZNS1_14partition_implILS5_0ELb0ES3_jN6thrust23THRUST_200600_302600_NS6detail15normal_iteratorINSA_10device_ptrIyEEEEPS6_SG_NS0_5tupleIJNSA_16discard_iteratorINSA_11use_defaultEEESF_EEENSH_IJSG_SG_EEES6_PlJ7is_evenIyEEEE10hipError_tPvRmT3_T4_T5_T6_T7_T9_mT8_P12ihipStream_tbDpT10_ENKUlT_T0_E_clISt17integral_constantIbLb1EES18_IbLb0EEEEDaS14_S15_EUlS14_E_NS1_11comp_targetILNS1_3genE10ELNS1_11target_archE1200ELNS1_3gpuE4ELNS1_3repE0EEENS1_30default_config_static_selectorELNS0_4arch9wavefront6targetE1EEEvT1_,"axG",@progbits,_ZN7rocprim17ROCPRIM_400000_NS6detail17trampoline_kernelINS0_14default_configENS1_25partition_config_selectorILNS1_17partition_subalgoE0EyNS0_10empty_typeEbEEZZNS1_14partition_implILS5_0ELb0ES3_jN6thrust23THRUST_200600_302600_NS6detail15normal_iteratorINSA_10device_ptrIyEEEEPS6_SG_NS0_5tupleIJNSA_16discard_iteratorINSA_11use_defaultEEESF_EEENSH_IJSG_SG_EEES6_PlJ7is_evenIyEEEE10hipError_tPvRmT3_T4_T5_T6_T7_T9_mT8_P12ihipStream_tbDpT10_ENKUlT_T0_E_clISt17integral_constantIbLb1EES18_IbLb0EEEEDaS14_S15_EUlS14_E_NS1_11comp_targetILNS1_3genE10ELNS1_11target_archE1200ELNS1_3gpuE4ELNS1_3repE0EEENS1_30default_config_static_selectorELNS0_4arch9wavefront6targetE1EEEvT1_,comdat
.Lfunc_end2384:
	.size	_ZN7rocprim17ROCPRIM_400000_NS6detail17trampoline_kernelINS0_14default_configENS1_25partition_config_selectorILNS1_17partition_subalgoE0EyNS0_10empty_typeEbEEZZNS1_14partition_implILS5_0ELb0ES3_jN6thrust23THRUST_200600_302600_NS6detail15normal_iteratorINSA_10device_ptrIyEEEEPS6_SG_NS0_5tupleIJNSA_16discard_iteratorINSA_11use_defaultEEESF_EEENSH_IJSG_SG_EEES6_PlJ7is_evenIyEEEE10hipError_tPvRmT3_T4_T5_T6_T7_T9_mT8_P12ihipStream_tbDpT10_ENKUlT_T0_E_clISt17integral_constantIbLb1EES18_IbLb0EEEEDaS14_S15_EUlS14_E_NS1_11comp_targetILNS1_3genE10ELNS1_11target_archE1200ELNS1_3gpuE4ELNS1_3repE0EEENS1_30default_config_static_selectorELNS0_4arch9wavefront6targetE1EEEvT1_, .Lfunc_end2384-_ZN7rocprim17ROCPRIM_400000_NS6detail17trampoline_kernelINS0_14default_configENS1_25partition_config_selectorILNS1_17partition_subalgoE0EyNS0_10empty_typeEbEEZZNS1_14partition_implILS5_0ELb0ES3_jN6thrust23THRUST_200600_302600_NS6detail15normal_iteratorINSA_10device_ptrIyEEEEPS6_SG_NS0_5tupleIJNSA_16discard_iteratorINSA_11use_defaultEEESF_EEENSH_IJSG_SG_EEES6_PlJ7is_evenIyEEEE10hipError_tPvRmT3_T4_T5_T6_T7_T9_mT8_P12ihipStream_tbDpT10_ENKUlT_T0_E_clISt17integral_constantIbLb1EES18_IbLb0EEEEDaS14_S15_EUlS14_E_NS1_11comp_targetILNS1_3genE10ELNS1_11target_archE1200ELNS1_3gpuE4ELNS1_3repE0EEENS1_30default_config_static_selectorELNS0_4arch9wavefront6targetE1EEEvT1_
                                        ; -- End function
	.section	.AMDGPU.csdata,"",@progbits
; Kernel info:
; codeLenInByte = 0
; NumSgprs: 6
; NumVgprs: 0
; NumAgprs: 0
; TotalNumVgprs: 0
; ScratchSize: 0
; MemoryBound: 0
; FloatMode: 240
; IeeeMode: 1
; LDSByteSize: 0 bytes/workgroup (compile time only)
; SGPRBlocks: 0
; VGPRBlocks: 0
; NumSGPRsForWavesPerEU: 6
; NumVGPRsForWavesPerEU: 1
; AccumOffset: 4
; Occupancy: 8
; WaveLimiterHint : 0
; COMPUTE_PGM_RSRC2:SCRATCH_EN: 0
; COMPUTE_PGM_RSRC2:USER_SGPR: 2
; COMPUTE_PGM_RSRC2:TRAP_HANDLER: 0
; COMPUTE_PGM_RSRC2:TGID_X_EN: 1
; COMPUTE_PGM_RSRC2:TGID_Y_EN: 0
; COMPUTE_PGM_RSRC2:TGID_Z_EN: 0
; COMPUTE_PGM_RSRC2:TIDIG_COMP_CNT: 0
; COMPUTE_PGM_RSRC3_GFX90A:ACCUM_OFFSET: 0
; COMPUTE_PGM_RSRC3_GFX90A:TG_SPLIT: 0
	.section	.text._ZN7rocprim17ROCPRIM_400000_NS6detail17trampoline_kernelINS0_14default_configENS1_25partition_config_selectorILNS1_17partition_subalgoE0EyNS0_10empty_typeEbEEZZNS1_14partition_implILS5_0ELb0ES3_jN6thrust23THRUST_200600_302600_NS6detail15normal_iteratorINSA_10device_ptrIyEEEEPS6_SG_NS0_5tupleIJNSA_16discard_iteratorINSA_11use_defaultEEESF_EEENSH_IJSG_SG_EEES6_PlJ7is_evenIyEEEE10hipError_tPvRmT3_T4_T5_T6_T7_T9_mT8_P12ihipStream_tbDpT10_ENKUlT_T0_E_clISt17integral_constantIbLb1EES18_IbLb0EEEEDaS14_S15_EUlS14_E_NS1_11comp_targetILNS1_3genE9ELNS1_11target_archE1100ELNS1_3gpuE3ELNS1_3repE0EEENS1_30default_config_static_selectorELNS0_4arch9wavefront6targetE1EEEvT1_,"axG",@progbits,_ZN7rocprim17ROCPRIM_400000_NS6detail17trampoline_kernelINS0_14default_configENS1_25partition_config_selectorILNS1_17partition_subalgoE0EyNS0_10empty_typeEbEEZZNS1_14partition_implILS5_0ELb0ES3_jN6thrust23THRUST_200600_302600_NS6detail15normal_iteratorINSA_10device_ptrIyEEEEPS6_SG_NS0_5tupleIJNSA_16discard_iteratorINSA_11use_defaultEEESF_EEENSH_IJSG_SG_EEES6_PlJ7is_evenIyEEEE10hipError_tPvRmT3_T4_T5_T6_T7_T9_mT8_P12ihipStream_tbDpT10_ENKUlT_T0_E_clISt17integral_constantIbLb1EES18_IbLb0EEEEDaS14_S15_EUlS14_E_NS1_11comp_targetILNS1_3genE9ELNS1_11target_archE1100ELNS1_3gpuE3ELNS1_3repE0EEENS1_30default_config_static_selectorELNS0_4arch9wavefront6targetE1EEEvT1_,comdat
	.protected	_ZN7rocprim17ROCPRIM_400000_NS6detail17trampoline_kernelINS0_14default_configENS1_25partition_config_selectorILNS1_17partition_subalgoE0EyNS0_10empty_typeEbEEZZNS1_14partition_implILS5_0ELb0ES3_jN6thrust23THRUST_200600_302600_NS6detail15normal_iteratorINSA_10device_ptrIyEEEEPS6_SG_NS0_5tupleIJNSA_16discard_iteratorINSA_11use_defaultEEESF_EEENSH_IJSG_SG_EEES6_PlJ7is_evenIyEEEE10hipError_tPvRmT3_T4_T5_T6_T7_T9_mT8_P12ihipStream_tbDpT10_ENKUlT_T0_E_clISt17integral_constantIbLb1EES18_IbLb0EEEEDaS14_S15_EUlS14_E_NS1_11comp_targetILNS1_3genE9ELNS1_11target_archE1100ELNS1_3gpuE3ELNS1_3repE0EEENS1_30default_config_static_selectorELNS0_4arch9wavefront6targetE1EEEvT1_ ; -- Begin function _ZN7rocprim17ROCPRIM_400000_NS6detail17trampoline_kernelINS0_14default_configENS1_25partition_config_selectorILNS1_17partition_subalgoE0EyNS0_10empty_typeEbEEZZNS1_14partition_implILS5_0ELb0ES3_jN6thrust23THRUST_200600_302600_NS6detail15normal_iteratorINSA_10device_ptrIyEEEEPS6_SG_NS0_5tupleIJNSA_16discard_iteratorINSA_11use_defaultEEESF_EEENSH_IJSG_SG_EEES6_PlJ7is_evenIyEEEE10hipError_tPvRmT3_T4_T5_T6_T7_T9_mT8_P12ihipStream_tbDpT10_ENKUlT_T0_E_clISt17integral_constantIbLb1EES18_IbLb0EEEEDaS14_S15_EUlS14_E_NS1_11comp_targetILNS1_3genE9ELNS1_11target_archE1100ELNS1_3gpuE3ELNS1_3repE0EEENS1_30default_config_static_selectorELNS0_4arch9wavefront6targetE1EEEvT1_
	.globl	_ZN7rocprim17ROCPRIM_400000_NS6detail17trampoline_kernelINS0_14default_configENS1_25partition_config_selectorILNS1_17partition_subalgoE0EyNS0_10empty_typeEbEEZZNS1_14partition_implILS5_0ELb0ES3_jN6thrust23THRUST_200600_302600_NS6detail15normal_iteratorINSA_10device_ptrIyEEEEPS6_SG_NS0_5tupleIJNSA_16discard_iteratorINSA_11use_defaultEEESF_EEENSH_IJSG_SG_EEES6_PlJ7is_evenIyEEEE10hipError_tPvRmT3_T4_T5_T6_T7_T9_mT8_P12ihipStream_tbDpT10_ENKUlT_T0_E_clISt17integral_constantIbLb1EES18_IbLb0EEEEDaS14_S15_EUlS14_E_NS1_11comp_targetILNS1_3genE9ELNS1_11target_archE1100ELNS1_3gpuE3ELNS1_3repE0EEENS1_30default_config_static_selectorELNS0_4arch9wavefront6targetE1EEEvT1_
	.p2align	8
	.type	_ZN7rocprim17ROCPRIM_400000_NS6detail17trampoline_kernelINS0_14default_configENS1_25partition_config_selectorILNS1_17partition_subalgoE0EyNS0_10empty_typeEbEEZZNS1_14partition_implILS5_0ELb0ES3_jN6thrust23THRUST_200600_302600_NS6detail15normal_iteratorINSA_10device_ptrIyEEEEPS6_SG_NS0_5tupleIJNSA_16discard_iteratorINSA_11use_defaultEEESF_EEENSH_IJSG_SG_EEES6_PlJ7is_evenIyEEEE10hipError_tPvRmT3_T4_T5_T6_T7_T9_mT8_P12ihipStream_tbDpT10_ENKUlT_T0_E_clISt17integral_constantIbLb1EES18_IbLb0EEEEDaS14_S15_EUlS14_E_NS1_11comp_targetILNS1_3genE9ELNS1_11target_archE1100ELNS1_3gpuE3ELNS1_3repE0EEENS1_30default_config_static_selectorELNS0_4arch9wavefront6targetE1EEEvT1_,@function
_ZN7rocprim17ROCPRIM_400000_NS6detail17trampoline_kernelINS0_14default_configENS1_25partition_config_selectorILNS1_17partition_subalgoE0EyNS0_10empty_typeEbEEZZNS1_14partition_implILS5_0ELb0ES3_jN6thrust23THRUST_200600_302600_NS6detail15normal_iteratorINSA_10device_ptrIyEEEEPS6_SG_NS0_5tupleIJNSA_16discard_iteratorINSA_11use_defaultEEESF_EEENSH_IJSG_SG_EEES6_PlJ7is_evenIyEEEE10hipError_tPvRmT3_T4_T5_T6_T7_T9_mT8_P12ihipStream_tbDpT10_ENKUlT_T0_E_clISt17integral_constantIbLb1EES18_IbLb0EEEEDaS14_S15_EUlS14_E_NS1_11comp_targetILNS1_3genE9ELNS1_11target_archE1100ELNS1_3gpuE3ELNS1_3repE0EEENS1_30default_config_static_selectorELNS0_4arch9wavefront6targetE1EEEvT1_: ; @_ZN7rocprim17ROCPRIM_400000_NS6detail17trampoline_kernelINS0_14default_configENS1_25partition_config_selectorILNS1_17partition_subalgoE0EyNS0_10empty_typeEbEEZZNS1_14partition_implILS5_0ELb0ES3_jN6thrust23THRUST_200600_302600_NS6detail15normal_iteratorINSA_10device_ptrIyEEEEPS6_SG_NS0_5tupleIJNSA_16discard_iteratorINSA_11use_defaultEEESF_EEENSH_IJSG_SG_EEES6_PlJ7is_evenIyEEEE10hipError_tPvRmT3_T4_T5_T6_T7_T9_mT8_P12ihipStream_tbDpT10_ENKUlT_T0_E_clISt17integral_constantIbLb1EES18_IbLb0EEEEDaS14_S15_EUlS14_E_NS1_11comp_targetILNS1_3genE9ELNS1_11target_archE1100ELNS1_3gpuE3ELNS1_3repE0EEENS1_30default_config_static_selectorELNS0_4arch9wavefront6targetE1EEEvT1_
; %bb.0:
	.section	.rodata,"a",@progbits
	.p2align	6, 0x0
	.amdhsa_kernel _ZN7rocprim17ROCPRIM_400000_NS6detail17trampoline_kernelINS0_14default_configENS1_25partition_config_selectorILNS1_17partition_subalgoE0EyNS0_10empty_typeEbEEZZNS1_14partition_implILS5_0ELb0ES3_jN6thrust23THRUST_200600_302600_NS6detail15normal_iteratorINSA_10device_ptrIyEEEEPS6_SG_NS0_5tupleIJNSA_16discard_iteratorINSA_11use_defaultEEESF_EEENSH_IJSG_SG_EEES6_PlJ7is_evenIyEEEE10hipError_tPvRmT3_T4_T5_T6_T7_T9_mT8_P12ihipStream_tbDpT10_ENKUlT_T0_E_clISt17integral_constantIbLb1EES18_IbLb0EEEEDaS14_S15_EUlS14_E_NS1_11comp_targetILNS1_3genE9ELNS1_11target_archE1100ELNS1_3gpuE3ELNS1_3repE0EEENS1_30default_config_static_selectorELNS0_4arch9wavefront6targetE1EEEvT1_
		.amdhsa_group_segment_fixed_size 0
		.amdhsa_private_segment_fixed_size 0
		.amdhsa_kernarg_size 128
		.amdhsa_user_sgpr_count 2
		.amdhsa_user_sgpr_dispatch_ptr 0
		.amdhsa_user_sgpr_queue_ptr 0
		.amdhsa_user_sgpr_kernarg_segment_ptr 1
		.amdhsa_user_sgpr_dispatch_id 0
		.amdhsa_user_sgpr_kernarg_preload_length 0
		.amdhsa_user_sgpr_kernarg_preload_offset 0
		.amdhsa_user_sgpr_private_segment_size 0
		.amdhsa_uses_dynamic_stack 0
		.amdhsa_enable_private_segment 0
		.amdhsa_system_sgpr_workgroup_id_x 1
		.amdhsa_system_sgpr_workgroup_id_y 0
		.amdhsa_system_sgpr_workgroup_id_z 0
		.amdhsa_system_sgpr_workgroup_info 0
		.amdhsa_system_vgpr_workitem_id 0
		.amdhsa_next_free_vgpr 1
		.amdhsa_next_free_sgpr 0
		.amdhsa_accum_offset 4
		.amdhsa_reserve_vcc 0
		.amdhsa_float_round_mode_32 0
		.amdhsa_float_round_mode_16_64 0
		.amdhsa_float_denorm_mode_32 3
		.amdhsa_float_denorm_mode_16_64 3
		.amdhsa_dx10_clamp 1
		.amdhsa_ieee_mode 1
		.amdhsa_fp16_overflow 0
		.amdhsa_tg_split 0
		.amdhsa_exception_fp_ieee_invalid_op 0
		.amdhsa_exception_fp_denorm_src 0
		.amdhsa_exception_fp_ieee_div_zero 0
		.amdhsa_exception_fp_ieee_overflow 0
		.amdhsa_exception_fp_ieee_underflow 0
		.amdhsa_exception_fp_ieee_inexact 0
		.amdhsa_exception_int_div_zero 0
	.end_amdhsa_kernel
	.section	.text._ZN7rocprim17ROCPRIM_400000_NS6detail17trampoline_kernelINS0_14default_configENS1_25partition_config_selectorILNS1_17partition_subalgoE0EyNS0_10empty_typeEbEEZZNS1_14partition_implILS5_0ELb0ES3_jN6thrust23THRUST_200600_302600_NS6detail15normal_iteratorINSA_10device_ptrIyEEEEPS6_SG_NS0_5tupleIJNSA_16discard_iteratorINSA_11use_defaultEEESF_EEENSH_IJSG_SG_EEES6_PlJ7is_evenIyEEEE10hipError_tPvRmT3_T4_T5_T6_T7_T9_mT8_P12ihipStream_tbDpT10_ENKUlT_T0_E_clISt17integral_constantIbLb1EES18_IbLb0EEEEDaS14_S15_EUlS14_E_NS1_11comp_targetILNS1_3genE9ELNS1_11target_archE1100ELNS1_3gpuE3ELNS1_3repE0EEENS1_30default_config_static_selectorELNS0_4arch9wavefront6targetE1EEEvT1_,"axG",@progbits,_ZN7rocprim17ROCPRIM_400000_NS6detail17trampoline_kernelINS0_14default_configENS1_25partition_config_selectorILNS1_17partition_subalgoE0EyNS0_10empty_typeEbEEZZNS1_14partition_implILS5_0ELb0ES3_jN6thrust23THRUST_200600_302600_NS6detail15normal_iteratorINSA_10device_ptrIyEEEEPS6_SG_NS0_5tupleIJNSA_16discard_iteratorINSA_11use_defaultEEESF_EEENSH_IJSG_SG_EEES6_PlJ7is_evenIyEEEE10hipError_tPvRmT3_T4_T5_T6_T7_T9_mT8_P12ihipStream_tbDpT10_ENKUlT_T0_E_clISt17integral_constantIbLb1EES18_IbLb0EEEEDaS14_S15_EUlS14_E_NS1_11comp_targetILNS1_3genE9ELNS1_11target_archE1100ELNS1_3gpuE3ELNS1_3repE0EEENS1_30default_config_static_selectorELNS0_4arch9wavefront6targetE1EEEvT1_,comdat
.Lfunc_end2385:
	.size	_ZN7rocprim17ROCPRIM_400000_NS6detail17trampoline_kernelINS0_14default_configENS1_25partition_config_selectorILNS1_17partition_subalgoE0EyNS0_10empty_typeEbEEZZNS1_14partition_implILS5_0ELb0ES3_jN6thrust23THRUST_200600_302600_NS6detail15normal_iteratorINSA_10device_ptrIyEEEEPS6_SG_NS0_5tupleIJNSA_16discard_iteratorINSA_11use_defaultEEESF_EEENSH_IJSG_SG_EEES6_PlJ7is_evenIyEEEE10hipError_tPvRmT3_T4_T5_T6_T7_T9_mT8_P12ihipStream_tbDpT10_ENKUlT_T0_E_clISt17integral_constantIbLb1EES18_IbLb0EEEEDaS14_S15_EUlS14_E_NS1_11comp_targetILNS1_3genE9ELNS1_11target_archE1100ELNS1_3gpuE3ELNS1_3repE0EEENS1_30default_config_static_selectorELNS0_4arch9wavefront6targetE1EEEvT1_, .Lfunc_end2385-_ZN7rocprim17ROCPRIM_400000_NS6detail17trampoline_kernelINS0_14default_configENS1_25partition_config_selectorILNS1_17partition_subalgoE0EyNS0_10empty_typeEbEEZZNS1_14partition_implILS5_0ELb0ES3_jN6thrust23THRUST_200600_302600_NS6detail15normal_iteratorINSA_10device_ptrIyEEEEPS6_SG_NS0_5tupleIJNSA_16discard_iteratorINSA_11use_defaultEEESF_EEENSH_IJSG_SG_EEES6_PlJ7is_evenIyEEEE10hipError_tPvRmT3_T4_T5_T6_T7_T9_mT8_P12ihipStream_tbDpT10_ENKUlT_T0_E_clISt17integral_constantIbLb1EES18_IbLb0EEEEDaS14_S15_EUlS14_E_NS1_11comp_targetILNS1_3genE9ELNS1_11target_archE1100ELNS1_3gpuE3ELNS1_3repE0EEENS1_30default_config_static_selectorELNS0_4arch9wavefront6targetE1EEEvT1_
                                        ; -- End function
	.section	.AMDGPU.csdata,"",@progbits
; Kernel info:
; codeLenInByte = 0
; NumSgprs: 6
; NumVgprs: 0
; NumAgprs: 0
; TotalNumVgprs: 0
; ScratchSize: 0
; MemoryBound: 0
; FloatMode: 240
; IeeeMode: 1
; LDSByteSize: 0 bytes/workgroup (compile time only)
; SGPRBlocks: 0
; VGPRBlocks: 0
; NumSGPRsForWavesPerEU: 6
; NumVGPRsForWavesPerEU: 1
; AccumOffset: 4
; Occupancy: 8
; WaveLimiterHint : 0
; COMPUTE_PGM_RSRC2:SCRATCH_EN: 0
; COMPUTE_PGM_RSRC2:USER_SGPR: 2
; COMPUTE_PGM_RSRC2:TRAP_HANDLER: 0
; COMPUTE_PGM_RSRC2:TGID_X_EN: 1
; COMPUTE_PGM_RSRC2:TGID_Y_EN: 0
; COMPUTE_PGM_RSRC2:TGID_Z_EN: 0
; COMPUTE_PGM_RSRC2:TIDIG_COMP_CNT: 0
; COMPUTE_PGM_RSRC3_GFX90A:ACCUM_OFFSET: 0
; COMPUTE_PGM_RSRC3_GFX90A:TG_SPLIT: 0
	.section	.text._ZN7rocprim17ROCPRIM_400000_NS6detail17trampoline_kernelINS0_14default_configENS1_25partition_config_selectorILNS1_17partition_subalgoE0EyNS0_10empty_typeEbEEZZNS1_14partition_implILS5_0ELb0ES3_jN6thrust23THRUST_200600_302600_NS6detail15normal_iteratorINSA_10device_ptrIyEEEEPS6_SG_NS0_5tupleIJNSA_16discard_iteratorINSA_11use_defaultEEESF_EEENSH_IJSG_SG_EEES6_PlJ7is_evenIyEEEE10hipError_tPvRmT3_T4_T5_T6_T7_T9_mT8_P12ihipStream_tbDpT10_ENKUlT_T0_E_clISt17integral_constantIbLb1EES18_IbLb0EEEEDaS14_S15_EUlS14_E_NS1_11comp_targetILNS1_3genE8ELNS1_11target_archE1030ELNS1_3gpuE2ELNS1_3repE0EEENS1_30default_config_static_selectorELNS0_4arch9wavefront6targetE1EEEvT1_,"axG",@progbits,_ZN7rocprim17ROCPRIM_400000_NS6detail17trampoline_kernelINS0_14default_configENS1_25partition_config_selectorILNS1_17partition_subalgoE0EyNS0_10empty_typeEbEEZZNS1_14partition_implILS5_0ELb0ES3_jN6thrust23THRUST_200600_302600_NS6detail15normal_iteratorINSA_10device_ptrIyEEEEPS6_SG_NS0_5tupleIJNSA_16discard_iteratorINSA_11use_defaultEEESF_EEENSH_IJSG_SG_EEES6_PlJ7is_evenIyEEEE10hipError_tPvRmT3_T4_T5_T6_T7_T9_mT8_P12ihipStream_tbDpT10_ENKUlT_T0_E_clISt17integral_constantIbLb1EES18_IbLb0EEEEDaS14_S15_EUlS14_E_NS1_11comp_targetILNS1_3genE8ELNS1_11target_archE1030ELNS1_3gpuE2ELNS1_3repE0EEENS1_30default_config_static_selectorELNS0_4arch9wavefront6targetE1EEEvT1_,comdat
	.protected	_ZN7rocprim17ROCPRIM_400000_NS6detail17trampoline_kernelINS0_14default_configENS1_25partition_config_selectorILNS1_17partition_subalgoE0EyNS0_10empty_typeEbEEZZNS1_14partition_implILS5_0ELb0ES3_jN6thrust23THRUST_200600_302600_NS6detail15normal_iteratorINSA_10device_ptrIyEEEEPS6_SG_NS0_5tupleIJNSA_16discard_iteratorINSA_11use_defaultEEESF_EEENSH_IJSG_SG_EEES6_PlJ7is_evenIyEEEE10hipError_tPvRmT3_T4_T5_T6_T7_T9_mT8_P12ihipStream_tbDpT10_ENKUlT_T0_E_clISt17integral_constantIbLb1EES18_IbLb0EEEEDaS14_S15_EUlS14_E_NS1_11comp_targetILNS1_3genE8ELNS1_11target_archE1030ELNS1_3gpuE2ELNS1_3repE0EEENS1_30default_config_static_selectorELNS0_4arch9wavefront6targetE1EEEvT1_ ; -- Begin function _ZN7rocprim17ROCPRIM_400000_NS6detail17trampoline_kernelINS0_14default_configENS1_25partition_config_selectorILNS1_17partition_subalgoE0EyNS0_10empty_typeEbEEZZNS1_14partition_implILS5_0ELb0ES3_jN6thrust23THRUST_200600_302600_NS6detail15normal_iteratorINSA_10device_ptrIyEEEEPS6_SG_NS0_5tupleIJNSA_16discard_iteratorINSA_11use_defaultEEESF_EEENSH_IJSG_SG_EEES6_PlJ7is_evenIyEEEE10hipError_tPvRmT3_T4_T5_T6_T7_T9_mT8_P12ihipStream_tbDpT10_ENKUlT_T0_E_clISt17integral_constantIbLb1EES18_IbLb0EEEEDaS14_S15_EUlS14_E_NS1_11comp_targetILNS1_3genE8ELNS1_11target_archE1030ELNS1_3gpuE2ELNS1_3repE0EEENS1_30default_config_static_selectorELNS0_4arch9wavefront6targetE1EEEvT1_
	.globl	_ZN7rocprim17ROCPRIM_400000_NS6detail17trampoline_kernelINS0_14default_configENS1_25partition_config_selectorILNS1_17partition_subalgoE0EyNS0_10empty_typeEbEEZZNS1_14partition_implILS5_0ELb0ES3_jN6thrust23THRUST_200600_302600_NS6detail15normal_iteratorINSA_10device_ptrIyEEEEPS6_SG_NS0_5tupleIJNSA_16discard_iteratorINSA_11use_defaultEEESF_EEENSH_IJSG_SG_EEES6_PlJ7is_evenIyEEEE10hipError_tPvRmT3_T4_T5_T6_T7_T9_mT8_P12ihipStream_tbDpT10_ENKUlT_T0_E_clISt17integral_constantIbLb1EES18_IbLb0EEEEDaS14_S15_EUlS14_E_NS1_11comp_targetILNS1_3genE8ELNS1_11target_archE1030ELNS1_3gpuE2ELNS1_3repE0EEENS1_30default_config_static_selectorELNS0_4arch9wavefront6targetE1EEEvT1_
	.p2align	8
	.type	_ZN7rocprim17ROCPRIM_400000_NS6detail17trampoline_kernelINS0_14default_configENS1_25partition_config_selectorILNS1_17partition_subalgoE0EyNS0_10empty_typeEbEEZZNS1_14partition_implILS5_0ELb0ES3_jN6thrust23THRUST_200600_302600_NS6detail15normal_iteratorINSA_10device_ptrIyEEEEPS6_SG_NS0_5tupleIJNSA_16discard_iteratorINSA_11use_defaultEEESF_EEENSH_IJSG_SG_EEES6_PlJ7is_evenIyEEEE10hipError_tPvRmT3_T4_T5_T6_T7_T9_mT8_P12ihipStream_tbDpT10_ENKUlT_T0_E_clISt17integral_constantIbLb1EES18_IbLb0EEEEDaS14_S15_EUlS14_E_NS1_11comp_targetILNS1_3genE8ELNS1_11target_archE1030ELNS1_3gpuE2ELNS1_3repE0EEENS1_30default_config_static_selectorELNS0_4arch9wavefront6targetE1EEEvT1_,@function
_ZN7rocprim17ROCPRIM_400000_NS6detail17trampoline_kernelINS0_14default_configENS1_25partition_config_selectorILNS1_17partition_subalgoE0EyNS0_10empty_typeEbEEZZNS1_14partition_implILS5_0ELb0ES3_jN6thrust23THRUST_200600_302600_NS6detail15normal_iteratorINSA_10device_ptrIyEEEEPS6_SG_NS0_5tupleIJNSA_16discard_iteratorINSA_11use_defaultEEESF_EEENSH_IJSG_SG_EEES6_PlJ7is_evenIyEEEE10hipError_tPvRmT3_T4_T5_T6_T7_T9_mT8_P12ihipStream_tbDpT10_ENKUlT_T0_E_clISt17integral_constantIbLb1EES18_IbLb0EEEEDaS14_S15_EUlS14_E_NS1_11comp_targetILNS1_3genE8ELNS1_11target_archE1030ELNS1_3gpuE2ELNS1_3repE0EEENS1_30default_config_static_selectorELNS0_4arch9wavefront6targetE1EEEvT1_: ; @_ZN7rocprim17ROCPRIM_400000_NS6detail17trampoline_kernelINS0_14default_configENS1_25partition_config_selectorILNS1_17partition_subalgoE0EyNS0_10empty_typeEbEEZZNS1_14partition_implILS5_0ELb0ES3_jN6thrust23THRUST_200600_302600_NS6detail15normal_iteratorINSA_10device_ptrIyEEEEPS6_SG_NS0_5tupleIJNSA_16discard_iteratorINSA_11use_defaultEEESF_EEENSH_IJSG_SG_EEES6_PlJ7is_evenIyEEEE10hipError_tPvRmT3_T4_T5_T6_T7_T9_mT8_P12ihipStream_tbDpT10_ENKUlT_T0_E_clISt17integral_constantIbLb1EES18_IbLb0EEEEDaS14_S15_EUlS14_E_NS1_11comp_targetILNS1_3genE8ELNS1_11target_archE1030ELNS1_3gpuE2ELNS1_3repE0EEENS1_30default_config_static_selectorELNS0_4arch9wavefront6targetE1EEEvT1_
; %bb.0:
	.section	.rodata,"a",@progbits
	.p2align	6, 0x0
	.amdhsa_kernel _ZN7rocprim17ROCPRIM_400000_NS6detail17trampoline_kernelINS0_14default_configENS1_25partition_config_selectorILNS1_17partition_subalgoE0EyNS0_10empty_typeEbEEZZNS1_14partition_implILS5_0ELb0ES3_jN6thrust23THRUST_200600_302600_NS6detail15normal_iteratorINSA_10device_ptrIyEEEEPS6_SG_NS0_5tupleIJNSA_16discard_iteratorINSA_11use_defaultEEESF_EEENSH_IJSG_SG_EEES6_PlJ7is_evenIyEEEE10hipError_tPvRmT3_T4_T5_T6_T7_T9_mT8_P12ihipStream_tbDpT10_ENKUlT_T0_E_clISt17integral_constantIbLb1EES18_IbLb0EEEEDaS14_S15_EUlS14_E_NS1_11comp_targetILNS1_3genE8ELNS1_11target_archE1030ELNS1_3gpuE2ELNS1_3repE0EEENS1_30default_config_static_selectorELNS0_4arch9wavefront6targetE1EEEvT1_
		.amdhsa_group_segment_fixed_size 0
		.amdhsa_private_segment_fixed_size 0
		.amdhsa_kernarg_size 128
		.amdhsa_user_sgpr_count 2
		.amdhsa_user_sgpr_dispatch_ptr 0
		.amdhsa_user_sgpr_queue_ptr 0
		.amdhsa_user_sgpr_kernarg_segment_ptr 1
		.amdhsa_user_sgpr_dispatch_id 0
		.amdhsa_user_sgpr_kernarg_preload_length 0
		.amdhsa_user_sgpr_kernarg_preload_offset 0
		.amdhsa_user_sgpr_private_segment_size 0
		.amdhsa_uses_dynamic_stack 0
		.amdhsa_enable_private_segment 0
		.amdhsa_system_sgpr_workgroup_id_x 1
		.amdhsa_system_sgpr_workgroup_id_y 0
		.amdhsa_system_sgpr_workgroup_id_z 0
		.amdhsa_system_sgpr_workgroup_info 0
		.amdhsa_system_vgpr_workitem_id 0
		.amdhsa_next_free_vgpr 1
		.amdhsa_next_free_sgpr 0
		.amdhsa_accum_offset 4
		.amdhsa_reserve_vcc 0
		.amdhsa_float_round_mode_32 0
		.amdhsa_float_round_mode_16_64 0
		.amdhsa_float_denorm_mode_32 3
		.amdhsa_float_denorm_mode_16_64 3
		.amdhsa_dx10_clamp 1
		.amdhsa_ieee_mode 1
		.amdhsa_fp16_overflow 0
		.amdhsa_tg_split 0
		.amdhsa_exception_fp_ieee_invalid_op 0
		.amdhsa_exception_fp_denorm_src 0
		.amdhsa_exception_fp_ieee_div_zero 0
		.amdhsa_exception_fp_ieee_overflow 0
		.amdhsa_exception_fp_ieee_underflow 0
		.amdhsa_exception_fp_ieee_inexact 0
		.amdhsa_exception_int_div_zero 0
	.end_amdhsa_kernel
	.section	.text._ZN7rocprim17ROCPRIM_400000_NS6detail17trampoline_kernelINS0_14default_configENS1_25partition_config_selectorILNS1_17partition_subalgoE0EyNS0_10empty_typeEbEEZZNS1_14partition_implILS5_0ELb0ES3_jN6thrust23THRUST_200600_302600_NS6detail15normal_iteratorINSA_10device_ptrIyEEEEPS6_SG_NS0_5tupleIJNSA_16discard_iteratorINSA_11use_defaultEEESF_EEENSH_IJSG_SG_EEES6_PlJ7is_evenIyEEEE10hipError_tPvRmT3_T4_T5_T6_T7_T9_mT8_P12ihipStream_tbDpT10_ENKUlT_T0_E_clISt17integral_constantIbLb1EES18_IbLb0EEEEDaS14_S15_EUlS14_E_NS1_11comp_targetILNS1_3genE8ELNS1_11target_archE1030ELNS1_3gpuE2ELNS1_3repE0EEENS1_30default_config_static_selectorELNS0_4arch9wavefront6targetE1EEEvT1_,"axG",@progbits,_ZN7rocprim17ROCPRIM_400000_NS6detail17trampoline_kernelINS0_14default_configENS1_25partition_config_selectorILNS1_17partition_subalgoE0EyNS0_10empty_typeEbEEZZNS1_14partition_implILS5_0ELb0ES3_jN6thrust23THRUST_200600_302600_NS6detail15normal_iteratorINSA_10device_ptrIyEEEEPS6_SG_NS0_5tupleIJNSA_16discard_iteratorINSA_11use_defaultEEESF_EEENSH_IJSG_SG_EEES6_PlJ7is_evenIyEEEE10hipError_tPvRmT3_T4_T5_T6_T7_T9_mT8_P12ihipStream_tbDpT10_ENKUlT_T0_E_clISt17integral_constantIbLb1EES18_IbLb0EEEEDaS14_S15_EUlS14_E_NS1_11comp_targetILNS1_3genE8ELNS1_11target_archE1030ELNS1_3gpuE2ELNS1_3repE0EEENS1_30default_config_static_selectorELNS0_4arch9wavefront6targetE1EEEvT1_,comdat
.Lfunc_end2386:
	.size	_ZN7rocprim17ROCPRIM_400000_NS6detail17trampoline_kernelINS0_14default_configENS1_25partition_config_selectorILNS1_17partition_subalgoE0EyNS0_10empty_typeEbEEZZNS1_14partition_implILS5_0ELb0ES3_jN6thrust23THRUST_200600_302600_NS6detail15normal_iteratorINSA_10device_ptrIyEEEEPS6_SG_NS0_5tupleIJNSA_16discard_iteratorINSA_11use_defaultEEESF_EEENSH_IJSG_SG_EEES6_PlJ7is_evenIyEEEE10hipError_tPvRmT3_T4_T5_T6_T7_T9_mT8_P12ihipStream_tbDpT10_ENKUlT_T0_E_clISt17integral_constantIbLb1EES18_IbLb0EEEEDaS14_S15_EUlS14_E_NS1_11comp_targetILNS1_3genE8ELNS1_11target_archE1030ELNS1_3gpuE2ELNS1_3repE0EEENS1_30default_config_static_selectorELNS0_4arch9wavefront6targetE1EEEvT1_, .Lfunc_end2386-_ZN7rocprim17ROCPRIM_400000_NS6detail17trampoline_kernelINS0_14default_configENS1_25partition_config_selectorILNS1_17partition_subalgoE0EyNS0_10empty_typeEbEEZZNS1_14partition_implILS5_0ELb0ES3_jN6thrust23THRUST_200600_302600_NS6detail15normal_iteratorINSA_10device_ptrIyEEEEPS6_SG_NS0_5tupleIJNSA_16discard_iteratorINSA_11use_defaultEEESF_EEENSH_IJSG_SG_EEES6_PlJ7is_evenIyEEEE10hipError_tPvRmT3_T4_T5_T6_T7_T9_mT8_P12ihipStream_tbDpT10_ENKUlT_T0_E_clISt17integral_constantIbLb1EES18_IbLb0EEEEDaS14_S15_EUlS14_E_NS1_11comp_targetILNS1_3genE8ELNS1_11target_archE1030ELNS1_3gpuE2ELNS1_3repE0EEENS1_30default_config_static_selectorELNS0_4arch9wavefront6targetE1EEEvT1_
                                        ; -- End function
	.section	.AMDGPU.csdata,"",@progbits
; Kernel info:
; codeLenInByte = 0
; NumSgprs: 6
; NumVgprs: 0
; NumAgprs: 0
; TotalNumVgprs: 0
; ScratchSize: 0
; MemoryBound: 0
; FloatMode: 240
; IeeeMode: 1
; LDSByteSize: 0 bytes/workgroup (compile time only)
; SGPRBlocks: 0
; VGPRBlocks: 0
; NumSGPRsForWavesPerEU: 6
; NumVGPRsForWavesPerEU: 1
; AccumOffset: 4
; Occupancy: 8
; WaveLimiterHint : 0
; COMPUTE_PGM_RSRC2:SCRATCH_EN: 0
; COMPUTE_PGM_RSRC2:USER_SGPR: 2
; COMPUTE_PGM_RSRC2:TRAP_HANDLER: 0
; COMPUTE_PGM_RSRC2:TGID_X_EN: 1
; COMPUTE_PGM_RSRC2:TGID_Y_EN: 0
; COMPUTE_PGM_RSRC2:TGID_Z_EN: 0
; COMPUTE_PGM_RSRC2:TIDIG_COMP_CNT: 0
; COMPUTE_PGM_RSRC3_GFX90A:ACCUM_OFFSET: 0
; COMPUTE_PGM_RSRC3_GFX90A:TG_SPLIT: 0
	.section	.text._ZN7rocprim17ROCPRIM_400000_NS6detail17trampoline_kernelINS0_14default_configENS1_25partition_config_selectorILNS1_17partition_subalgoE0EyNS0_10empty_typeEbEEZZNS1_14partition_implILS5_0ELb0ES3_jN6thrust23THRUST_200600_302600_NS6detail15normal_iteratorINSA_10device_ptrIyEEEEPS6_SG_NS0_5tupleIJNSA_16discard_iteratorINSA_11use_defaultEEESF_EEENSH_IJSG_SG_EEES6_PlJ7is_evenIyEEEE10hipError_tPvRmT3_T4_T5_T6_T7_T9_mT8_P12ihipStream_tbDpT10_ENKUlT_T0_E_clISt17integral_constantIbLb0EES18_IbLb1EEEEDaS14_S15_EUlS14_E_NS1_11comp_targetILNS1_3genE0ELNS1_11target_archE4294967295ELNS1_3gpuE0ELNS1_3repE0EEENS1_30default_config_static_selectorELNS0_4arch9wavefront6targetE1EEEvT1_,"axG",@progbits,_ZN7rocprim17ROCPRIM_400000_NS6detail17trampoline_kernelINS0_14default_configENS1_25partition_config_selectorILNS1_17partition_subalgoE0EyNS0_10empty_typeEbEEZZNS1_14partition_implILS5_0ELb0ES3_jN6thrust23THRUST_200600_302600_NS6detail15normal_iteratorINSA_10device_ptrIyEEEEPS6_SG_NS0_5tupleIJNSA_16discard_iteratorINSA_11use_defaultEEESF_EEENSH_IJSG_SG_EEES6_PlJ7is_evenIyEEEE10hipError_tPvRmT3_T4_T5_T6_T7_T9_mT8_P12ihipStream_tbDpT10_ENKUlT_T0_E_clISt17integral_constantIbLb0EES18_IbLb1EEEEDaS14_S15_EUlS14_E_NS1_11comp_targetILNS1_3genE0ELNS1_11target_archE4294967295ELNS1_3gpuE0ELNS1_3repE0EEENS1_30default_config_static_selectorELNS0_4arch9wavefront6targetE1EEEvT1_,comdat
	.protected	_ZN7rocprim17ROCPRIM_400000_NS6detail17trampoline_kernelINS0_14default_configENS1_25partition_config_selectorILNS1_17partition_subalgoE0EyNS0_10empty_typeEbEEZZNS1_14partition_implILS5_0ELb0ES3_jN6thrust23THRUST_200600_302600_NS6detail15normal_iteratorINSA_10device_ptrIyEEEEPS6_SG_NS0_5tupleIJNSA_16discard_iteratorINSA_11use_defaultEEESF_EEENSH_IJSG_SG_EEES6_PlJ7is_evenIyEEEE10hipError_tPvRmT3_T4_T5_T6_T7_T9_mT8_P12ihipStream_tbDpT10_ENKUlT_T0_E_clISt17integral_constantIbLb0EES18_IbLb1EEEEDaS14_S15_EUlS14_E_NS1_11comp_targetILNS1_3genE0ELNS1_11target_archE4294967295ELNS1_3gpuE0ELNS1_3repE0EEENS1_30default_config_static_selectorELNS0_4arch9wavefront6targetE1EEEvT1_ ; -- Begin function _ZN7rocprim17ROCPRIM_400000_NS6detail17trampoline_kernelINS0_14default_configENS1_25partition_config_selectorILNS1_17partition_subalgoE0EyNS0_10empty_typeEbEEZZNS1_14partition_implILS5_0ELb0ES3_jN6thrust23THRUST_200600_302600_NS6detail15normal_iteratorINSA_10device_ptrIyEEEEPS6_SG_NS0_5tupleIJNSA_16discard_iteratorINSA_11use_defaultEEESF_EEENSH_IJSG_SG_EEES6_PlJ7is_evenIyEEEE10hipError_tPvRmT3_T4_T5_T6_T7_T9_mT8_P12ihipStream_tbDpT10_ENKUlT_T0_E_clISt17integral_constantIbLb0EES18_IbLb1EEEEDaS14_S15_EUlS14_E_NS1_11comp_targetILNS1_3genE0ELNS1_11target_archE4294967295ELNS1_3gpuE0ELNS1_3repE0EEENS1_30default_config_static_selectorELNS0_4arch9wavefront6targetE1EEEvT1_
	.globl	_ZN7rocprim17ROCPRIM_400000_NS6detail17trampoline_kernelINS0_14default_configENS1_25partition_config_selectorILNS1_17partition_subalgoE0EyNS0_10empty_typeEbEEZZNS1_14partition_implILS5_0ELb0ES3_jN6thrust23THRUST_200600_302600_NS6detail15normal_iteratorINSA_10device_ptrIyEEEEPS6_SG_NS0_5tupleIJNSA_16discard_iteratorINSA_11use_defaultEEESF_EEENSH_IJSG_SG_EEES6_PlJ7is_evenIyEEEE10hipError_tPvRmT3_T4_T5_T6_T7_T9_mT8_P12ihipStream_tbDpT10_ENKUlT_T0_E_clISt17integral_constantIbLb0EES18_IbLb1EEEEDaS14_S15_EUlS14_E_NS1_11comp_targetILNS1_3genE0ELNS1_11target_archE4294967295ELNS1_3gpuE0ELNS1_3repE0EEENS1_30default_config_static_selectorELNS0_4arch9wavefront6targetE1EEEvT1_
	.p2align	8
	.type	_ZN7rocprim17ROCPRIM_400000_NS6detail17trampoline_kernelINS0_14default_configENS1_25partition_config_selectorILNS1_17partition_subalgoE0EyNS0_10empty_typeEbEEZZNS1_14partition_implILS5_0ELb0ES3_jN6thrust23THRUST_200600_302600_NS6detail15normal_iteratorINSA_10device_ptrIyEEEEPS6_SG_NS0_5tupleIJNSA_16discard_iteratorINSA_11use_defaultEEESF_EEENSH_IJSG_SG_EEES6_PlJ7is_evenIyEEEE10hipError_tPvRmT3_T4_T5_T6_T7_T9_mT8_P12ihipStream_tbDpT10_ENKUlT_T0_E_clISt17integral_constantIbLb0EES18_IbLb1EEEEDaS14_S15_EUlS14_E_NS1_11comp_targetILNS1_3genE0ELNS1_11target_archE4294967295ELNS1_3gpuE0ELNS1_3repE0EEENS1_30default_config_static_selectorELNS0_4arch9wavefront6targetE1EEEvT1_,@function
_ZN7rocprim17ROCPRIM_400000_NS6detail17trampoline_kernelINS0_14default_configENS1_25partition_config_selectorILNS1_17partition_subalgoE0EyNS0_10empty_typeEbEEZZNS1_14partition_implILS5_0ELb0ES3_jN6thrust23THRUST_200600_302600_NS6detail15normal_iteratorINSA_10device_ptrIyEEEEPS6_SG_NS0_5tupleIJNSA_16discard_iteratorINSA_11use_defaultEEESF_EEENSH_IJSG_SG_EEES6_PlJ7is_evenIyEEEE10hipError_tPvRmT3_T4_T5_T6_T7_T9_mT8_P12ihipStream_tbDpT10_ENKUlT_T0_E_clISt17integral_constantIbLb0EES18_IbLb1EEEEDaS14_S15_EUlS14_E_NS1_11comp_targetILNS1_3genE0ELNS1_11target_archE4294967295ELNS1_3gpuE0ELNS1_3repE0EEENS1_30default_config_static_selectorELNS0_4arch9wavefront6targetE1EEEvT1_: ; @_ZN7rocprim17ROCPRIM_400000_NS6detail17trampoline_kernelINS0_14default_configENS1_25partition_config_selectorILNS1_17partition_subalgoE0EyNS0_10empty_typeEbEEZZNS1_14partition_implILS5_0ELb0ES3_jN6thrust23THRUST_200600_302600_NS6detail15normal_iteratorINSA_10device_ptrIyEEEEPS6_SG_NS0_5tupleIJNSA_16discard_iteratorINSA_11use_defaultEEESF_EEENSH_IJSG_SG_EEES6_PlJ7is_evenIyEEEE10hipError_tPvRmT3_T4_T5_T6_T7_T9_mT8_P12ihipStream_tbDpT10_ENKUlT_T0_E_clISt17integral_constantIbLb0EES18_IbLb1EEEEDaS14_S15_EUlS14_E_NS1_11comp_targetILNS1_3genE0ELNS1_11target_archE4294967295ELNS1_3gpuE0ELNS1_3repE0EEENS1_30default_config_static_selectorELNS0_4arch9wavefront6targetE1EEEvT1_
; %bb.0:
	.section	.rodata,"a",@progbits
	.p2align	6, 0x0
	.amdhsa_kernel _ZN7rocprim17ROCPRIM_400000_NS6detail17trampoline_kernelINS0_14default_configENS1_25partition_config_selectorILNS1_17partition_subalgoE0EyNS0_10empty_typeEbEEZZNS1_14partition_implILS5_0ELb0ES3_jN6thrust23THRUST_200600_302600_NS6detail15normal_iteratorINSA_10device_ptrIyEEEEPS6_SG_NS0_5tupleIJNSA_16discard_iteratorINSA_11use_defaultEEESF_EEENSH_IJSG_SG_EEES6_PlJ7is_evenIyEEEE10hipError_tPvRmT3_T4_T5_T6_T7_T9_mT8_P12ihipStream_tbDpT10_ENKUlT_T0_E_clISt17integral_constantIbLb0EES18_IbLb1EEEEDaS14_S15_EUlS14_E_NS1_11comp_targetILNS1_3genE0ELNS1_11target_archE4294967295ELNS1_3gpuE0ELNS1_3repE0EEENS1_30default_config_static_selectorELNS0_4arch9wavefront6targetE1EEEvT1_
		.amdhsa_group_segment_fixed_size 0
		.amdhsa_private_segment_fixed_size 0
		.amdhsa_kernarg_size 144
		.amdhsa_user_sgpr_count 2
		.amdhsa_user_sgpr_dispatch_ptr 0
		.amdhsa_user_sgpr_queue_ptr 0
		.amdhsa_user_sgpr_kernarg_segment_ptr 1
		.amdhsa_user_sgpr_dispatch_id 0
		.amdhsa_user_sgpr_kernarg_preload_length 0
		.amdhsa_user_sgpr_kernarg_preload_offset 0
		.amdhsa_user_sgpr_private_segment_size 0
		.amdhsa_uses_dynamic_stack 0
		.amdhsa_enable_private_segment 0
		.amdhsa_system_sgpr_workgroup_id_x 1
		.amdhsa_system_sgpr_workgroup_id_y 0
		.amdhsa_system_sgpr_workgroup_id_z 0
		.amdhsa_system_sgpr_workgroup_info 0
		.amdhsa_system_vgpr_workitem_id 0
		.amdhsa_next_free_vgpr 1
		.amdhsa_next_free_sgpr 0
		.amdhsa_accum_offset 4
		.amdhsa_reserve_vcc 0
		.amdhsa_float_round_mode_32 0
		.amdhsa_float_round_mode_16_64 0
		.amdhsa_float_denorm_mode_32 3
		.amdhsa_float_denorm_mode_16_64 3
		.amdhsa_dx10_clamp 1
		.amdhsa_ieee_mode 1
		.amdhsa_fp16_overflow 0
		.amdhsa_tg_split 0
		.amdhsa_exception_fp_ieee_invalid_op 0
		.amdhsa_exception_fp_denorm_src 0
		.amdhsa_exception_fp_ieee_div_zero 0
		.amdhsa_exception_fp_ieee_overflow 0
		.amdhsa_exception_fp_ieee_underflow 0
		.amdhsa_exception_fp_ieee_inexact 0
		.amdhsa_exception_int_div_zero 0
	.end_amdhsa_kernel
	.section	.text._ZN7rocprim17ROCPRIM_400000_NS6detail17trampoline_kernelINS0_14default_configENS1_25partition_config_selectorILNS1_17partition_subalgoE0EyNS0_10empty_typeEbEEZZNS1_14partition_implILS5_0ELb0ES3_jN6thrust23THRUST_200600_302600_NS6detail15normal_iteratorINSA_10device_ptrIyEEEEPS6_SG_NS0_5tupleIJNSA_16discard_iteratorINSA_11use_defaultEEESF_EEENSH_IJSG_SG_EEES6_PlJ7is_evenIyEEEE10hipError_tPvRmT3_T4_T5_T6_T7_T9_mT8_P12ihipStream_tbDpT10_ENKUlT_T0_E_clISt17integral_constantIbLb0EES18_IbLb1EEEEDaS14_S15_EUlS14_E_NS1_11comp_targetILNS1_3genE0ELNS1_11target_archE4294967295ELNS1_3gpuE0ELNS1_3repE0EEENS1_30default_config_static_selectorELNS0_4arch9wavefront6targetE1EEEvT1_,"axG",@progbits,_ZN7rocprim17ROCPRIM_400000_NS6detail17trampoline_kernelINS0_14default_configENS1_25partition_config_selectorILNS1_17partition_subalgoE0EyNS0_10empty_typeEbEEZZNS1_14partition_implILS5_0ELb0ES3_jN6thrust23THRUST_200600_302600_NS6detail15normal_iteratorINSA_10device_ptrIyEEEEPS6_SG_NS0_5tupleIJNSA_16discard_iteratorINSA_11use_defaultEEESF_EEENSH_IJSG_SG_EEES6_PlJ7is_evenIyEEEE10hipError_tPvRmT3_T4_T5_T6_T7_T9_mT8_P12ihipStream_tbDpT10_ENKUlT_T0_E_clISt17integral_constantIbLb0EES18_IbLb1EEEEDaS14_S15_EUlS14_E_NS1_11comp_targetILNS1_3genE0ELNS1_11target_archE4294967295ELNS1_3gpuE0ELNS1_3repE0EEENS1_30default_config_static_selectorELNS0_4arch9wavefront6targetE1EEEvT1_,comdat
.Lfunc_end2387:
	.size	_ZN7rocprim17ROCPRIM_400000_NS6detail17trampoline_kernelINS0_14default_configENS1_25partition_config_selectorILNS1_17partition_subalgoE0EyNS0_10empty_typeEbEEZZNS1_14partition_implILS5_0ELb0ES3_jN6thrust23THRUST_200600_302600_NS6detail15normal_iteratorINSA_10device_ptrIyEEEEPS6_SG_NS0_5tupleIJNSA_16discard_iteratorINSA_11use_defaultEEESF_EEENSH_IJSG_SG_EEES6_PlJ7is_evenIyEEEE10hipError_tPvRmT3_T4_T5_T6_T7_T9_mT8_P12ihipStream_tbDpT10_ENKUlT_T0_E_clISt17integral_constantIbLb0EES18_IbLb1EEEEDaS14_S15_EUlS14_E_NS1_11comp_targetILNS1_3genE0ELNS1_11target_archE4294967295ELNS1_3gpuE0ELNS1_3repE0EEENS1_30default_config_static_selectorELNS0_4arch9wavefront6targetE1EEEvT1_, .Lfunc_end2387-_ZN7rocprim17ROCPRIM_400000_NS6detail17trampoline_kernelINS0_14default_configENS1_25partition_config_selectorILNS1_17partition_subalgoE0EyNS0_10empty_typeEbEEZZNS1_14partition_implILS5_0ELb0ES3_jN6thrust23THRUST_200600_302600_NS6detail15normal_iteratorINSA_10device_ptrIyEEEEPS6_SG_NS0_5tupleIJNSA_16discard_iteratorINSA_11use_defaultEEESF_EEENSH_IJSG_SG_EEES6_PlJ7is_evenIyEEEE10hipError_tPvRmT3_T4_T5_T6_T7_T9_mT8_P12ihipStream_tbDpT10_ENKUlT_T0_E_clISt17integral_constantIbLb0EES18_IbLb1EEEEDaS14_S15_EUlS14_E_NS1_11comp_targetILNS1_3genE0ELNS1_11target_archE4294967295ELNS1_3gpuE0ELNS1_3repE0EEENS1_30default_config_static_selectorELNS0_4arch9wavefront6targetE1EEEvT1_
                                        ; -- End function
	.section	.AMDGPU.csdata,"",@progbits
; Kernel info:
; codeLenInByte = 0
; NumSgprs: 6
; NumVgprs: 0
; NumAgprs: 0
; TotalNumVgprs: 0
; ScratchSize: 0
; MemoryBound: 0
; FloatMode: 240
; IeeeMode: 1
; LDSByteSize: 0 bytes/workgroup (compile time only)
; SGPRBlocks: 0
; VGPRBlocks: 0
; NumSGPRsForWavesPerEU: 6
; NumVGPRsForWavesPerEU: 1
; AccumOffset: 4
; Occupancy: 8
; WaveLimiterHint : 0
; COMPUTE_PGM_RSRC2:SCRATCH_EN: 0
; COMPUTE_PGM_RSRC2:USER_SGPR: 2
; COMPUTE_PGM_RSRC2:TRAP_HANDLER: 0
; COMPUTE_PGM_RSRC2:TGID_X_EN: 1
; COMPUTE_PGM_RSRC2:TGID_Y_EN: 0
; COMPUTE_PGM_RSRC2:TGID_Z_EN: 0
; COMPUTE_PGM_RSRC2:TIDIG_COMP_CNT: 0
; COMPUTE_PGM_RSRC3_GFX90A:ACCUM_OFFSET: 0
; COMPUTE_PGM_RSRC3_GFX90A:TG_SPLIT: 0
	.section	.text._ZN7rocprim17ROCPRIM_400000_NS6detail17trampoline_kernelINS0_14default_configENS1_25partition_config_selectorILNS1_17partition_subalgoE0EyNS0_10empty_typeEbEEZZNS1_14partition_implILS5_0ELb0ES3_jN6thrust23THRUST_200600_302600_NS6detail15normal_iteratorINSA_10device_ptrIyEEEEPS6_SG_NS0_5tupleIJNSA_16discard_iteratorINSA_11use_defaultEEESF_EEENSH_IJSG_SG_EEES6_PlJ7is_evenIyEEEE10hipError_tPvRmT3_T4_T5_T6_T7_T9_mT8_P12ihipStream_tbDpT10_ENKUlT_T0_E_clISt17integral_constantIbLb0EES18_IbLb1EEEEDaS14_S15_EUlS14_E_NS1_11comp_targetILNS1_3genE5ELNS1_11target_archE942ELNS1_3gpuE9ELNS1_3repE0EEENS1_30default_config_static_selectorELNS0_4arch9wavefront6targetE1EEEvT1_,"axG",@progbits,_ZN7rocprim17ROCPRIM_400000_NS6detail17trampoline_kernelINS0_14default_configENS1_25partition_config_selectorILNS1_17partition_subalgoE0EyNS0_10empty_typeEbEEZZNS1_14partition_implILS5_0ELb0ES3_jN6thrust23THRUST_200600_302600_NS6detail15normal_iteratorINSA_10device_ptrIyEEEEPS6_SG_NS0_5tupleIJNSA_16discard_iteratorINSA_11use_defaultEEESF_EEENSH_IJSG_SG_EEES6_PlJ7is_evenIyEEEE10hipError_tPvRmT3_T4_T5_T6_T7_T9_mT8_P12ihipStream_tbDpT10_ENKUlT_T0_E_clISt17integral_constantIbLb0EES18_IbLb1EEEEDaS14_S15_EUlS14_E_NS1_11comp_targetILNS1_3genE5ELNS1_11target_archE942ELNS1_3gpuE9ELNS1_3repE0EEENS1_30default_config_static_selectorELNS0_4arch9wavefront6targetE1EEEvT1_,comdat
	.protected	_ZN7rocprim17ROCPRIM_400000_NS6detail17trampoline_kernelINS0_14default_configENS1_25partition_config_selectorILNS1_17partition_subalgoE0EyNS0_10empty_typeEbEEZZNS1_14partition_implILS5_0ELb0ES3_jN6thrust23THRUST_200600_302600_NS6detail15normal_iteratorINSA_10device_ptrIyEEEEPS6_SG_NS0_5tupleIJNSA_16discard_iteratorINSA_11use_defaultEEESF_EEENSH_IJSG_SG_EEES6_PlJ7is_evenIyEEEE10hipError_tPvRmT3_T4_T5_T6_T7_T9_mT8_P12ihipStream_tbDpT10_ENKUlT_T0_E_clISt17integral_constantIbLb0EES18_IbLb1EEEEDaS14_S15_EUlS14_E_NS1_11comp_targetILNS1_3genE5ELNS1_11target_archE942ELNS1_3gpuE9ELNS1_3repE0EEENS1_30default_config_static_selectorELNS0_4arch9wavefront6targetE1EEEvT1_ ; -- Begin function _ZN7rocprim17ROCPRIM_400000_NS6detail17trampoline_kernelINS0_14default_configENS1_25partition_config_selectorILNS1_17partition_subalgoE0EyNS0_10empty_typeEbEEZZNS1_14partition_implILS5_0ELb0ES3_jN6thrust23THRUST_200600_302600_NS6detail15normal_iteratorINSA_10device_ptrIyEEEEPS6_SG_NS0_5tupleIJNSA_16discard_iteratorINSA_11use_defaultEEESF_EEENSH_IJSG_SG_EEES6_PlJ7is_evenIyEEEE10hipError_tPvRmT3_T4_T5_T6_T7_T9_mT8_P12ihipStream_tbDpT10_ENKUlT_T0_E_clISt17integral_constantIbLb0EES18_IbLb1EEEEDaS14_S15_EUlS14_E_NS1_11comp_targetILNS1_3genE5ELNS1_11target_archE942ELNS1_3gpuE9ELNS1_3repE0EEENS1_30default_config_static_selectorELNS0_4arch9wavefront6targetE1EEEvT1_
	.globl	_ZN7rocprim17ROCPRIM_400000_NS6detail17trampoline_kernelINS0_14default_configENS1_25partition_config_selectorILNS1_17partition_subalgoE0EyNS0_10empty_typeEbEEZZNS1_14partition_implILS5_0ELb0ES3_jN6thrust23THRUST_200600_302600_NS6detail15normal_iteratorINSA_10device_ptrIyEEEEPS6_SG_NS0_5tupleIJNSA_16discard_iteratorINSA_11use_defaultEEESF_EEENSH_IJSG_SG_EEES6_PlJ7is_evenIyEEEE10hipError_tPvRmT3_T4_T5_T6_T7_T9_mT8_P12ihipStream_tbDpT10_ENKUlT_T0_E_clISt17integral_constantIbLb0EES18_IbLb1EEEEDaS14_S15_EUlS14_E_NS1_11comp_targetILNS1_3genE5ELNS1_11target_archE942ELNS1_3gpuE9ELNS1_3repE0EEENS1_30default_config_static_selectorELNS0_4arch9wavefront6targetE1EEEvT1_
	.p2align	8
	.type	_ZN7rocprim17ROCPRIM_400000_NS6detail17trampoline_kernelINS0_14default_configENS1_25partition_config_selectorILNS1_17partition_subalgoE0EyNS0_10empty_typeEbEEZZNS1_14partition_implILS5_0ELb0ES3_jN6thrust23THRUST_200600_302600_NS6detail15normal_iteratorINSA_10device_ptrIyEEEEPS6_SG_NS0_5tupleIJNSA_16discard_iteratorINSA_11use_defaultEEESF_EEENSH_IJSG_SG_EEES6_PlJ7is_evenIyEEEE10hipError_tPvRmT3_T4_T5_T6_T7_T9_mT8_P12ihipStream_tbDpT10_ENKUlT_T0_E_clISt17integral_constantIbLb0EES18_IbLb1EEEEDaS14_S15_EUlS14_E_NS1_11comp_targetILNS1_3genE5ELNS1_11target_archE942ELNS1_3gpuE9ELNS1_3repE0EEENS1_30default_config_static_selectorELNS0_4arch9wavefront6targetE1EEEvT1_,@function
_ZN7rocprim17ROCPRIM_400000_NS6detail17trampoline_kernelINS0_14default_configENS1_25partition_config_selectorILNS1_17partition_subalgoE0EyNS0_10empty_typeEbEEZZNS1_14partition_implILS5_0ELb0ES3_jN6thrust23THRUST_200600_302600_NS6detail15normal_iteratorINSA_10device_ptrIyEEEEPS6_SG_NS0_5tupleIJNSA_16discard_iteratorINSA_11use_defaultEEESF_EEENSH_IJSG_SG_EEES6_PlJ7is_evenIyEEEE10hipError_tPvRmT3_T4_T5_T6_T7_T9_mT8_P12ihipStream_tbDpT10_ENKUlT_T0_E_clISt17integral_constantIbLb0EES18_IbLb1EEEEDaS14_S15_EUlS14_E_NS1_11comp_targetILNS1_3genE5ELNS1_11target_archE942ELNS1_3gpuE9ELNS1_3repE0EEENS1_30default_config_static_selectorELNS0_4arch9wavefront6targetE1EEEvT1_: ; @_ZN7rocprim17ROCPRIM_400000_NS6detail17trampoline_kernelINS0_14default_configENS1_25partition_config_selectorILNS1_17partition_subalgoE0EyNS0_10empty_typeEbEEZZNS1_14partition_implILS5_0ELb0ES3_jN6thrust23THRUST_200600_302600_NS6detail15normal_iteratorINSA_10device_ptrIyEEEEPS6_SG_NS0_5tupleIJNSA_16discard_iteratorINSA_11use_defaultEEESF_EEENSH_IJSG_SG_EEES6_PlJ7is_evenIyEEEE10hipError_tPvRmT3_T4_T5_T6_T7_T9_mT8_P12ihipStream_tbDpT10_ENKUlT_T0_E_clISt17integral_constantIbLb0EES18_IbLb1EEEEDaS14_S15_EUlS14_E_NS1_11comp_targetILNS1_3genE5ELNS1_11target_archE942ELNS1_3gpuE9ELNS1_3repE0EEENS1_30default_config_static_selectorELNS0_4arch9wavefront6targetE1EEEvT1_
; %bb.0:
	s_load_dwordx2 s[2:3], s[0:1], 0x60
	s_load_dwordx4 s[24:27], s[0:1], 0x50
	s_load_dwordx2 s[36:37], s[0:1], 0x70
	v_cmp_eq_u32_e64 s[20:21], 0, v0
	s_and_saveexec_b64 s[4:5], s[20:21]
	s_cbranch_execz .LBB2388_4
; %bb.1:
	s_mov_b64 s[8:9], exec
	v_mbcnt_lo_u32_b32 v1, s8, 0
	v_mbcnt_hi_u32_b32 v1, s9, v1
	v_cmp_eq_u32_e32 vcc, 0, v1
                                        ; implicit-def: $vgpr2
	s_and_saveexec_b64 s[6:7], vcc
	s_cbranch_execz .LBB2388_3
; %bb.2:
	s_load_dwordx2 s[10:11], s[0:1], 0x80
	s_bcnt1_i32_b64 s8, s[8:9]
	v_mov_b32_e32 v2, 0
	v_mov_b32_e32 v3, s8
	s_waitcnt lgkmcnt(0)
	global_atomic_add v2, v2, v3, s[10:11] sc0
.LBB2388_3:
	s_or_b64 exec, exec, s[6:7]
	s_waitcnt vmcnt(0)
	v_readfirstlane_b32 s6, v2
	v_mov_b32_e32 v2, 0
	s_nop 0
	v_add_u32_e32 v1, s6, v1
	ds_write_b32 v2, v1
.LBB2388_4:
	s_or_b64 exec, exec, s[4:5]
	v_mov_b32_e32 v19, 0
	s_load_dwordx4 s[28:31], s[0:1], 0x8
	s_load_dwordx2 s[34:35], s[0:1], 0x38
	s_load_dword s4, s[0:1], 0x78
	s_waitcnt lgkmcnt(0)
	s_barrier
	ds_read_b32 v1, v19
	s_waitcnt lgkmcnt(0)
	s_barrier
	global_load_dwordx2 v[20:21], v19, s[26:27]
	v_mov_b32_e32 v3, s3
	s_lshl_b64 s[0:1], s[30:31], 3
	s_movk_i32 s3, 0xe00
	s_add_u32 s0, s28, s0
	v_mul_lo_u32 v18, v1, s3
	s_mul_i32 s3, s4, 0xe00
	s_addc_u32 s1, s29, s1
	s_add_i32 s5, s4, -1
	s_add_i32 s4, s3, s30
	s_sub_i32 s33, s2, s4
	s_addk_i32 s33, 0xe00
	v_mov_b32_e32 v2, s2
	s_add_u32 s2, s30, s3
	v_readfirstlane_b32 s38, v1
	s_addc_u32 s3, s31, 0
	s_cmp_eq_u32 s38, s5
	s_cselect_b64 s[22:23], -1, 0
	s_cmp_lg_u32 s38, s5
	v_cmp_lt_u64_e32 vcc, s[2:3], v[2:3]
	s_cselect_b64 s[2:3], -1, 0
	s_or_b64 s[4:5], vcc, s[2:3]
	v_lshlrev_b64 v[22:23], 3, v[18:19]
	v_lshl_add_u64 v[24:25], s[0:1], 0, v[22:23]
	s_mov_b64 s[0:1], -1
	s_and_b64 vcc, exec, s[4:5]
	v_lshlrev_b32_e32 v18, 3, v0
	s_cbranch_vccz .LBB2388_6
; %bb.5:
	v_lshl_add_u64 v[2:3], v[24:25], 0, v[18:19]
	v_add_co_u32_e32 v4, vcc, 0x1000, v2
	s_mov_b64 s[0:1], 0
	s_nop 0
	v_addc_co_u32_e32 v5, vcc, 0, v3, vcc
	v_add_co_u32_e32 v6, vcc, 0x2000, v2
	s_nop 1
	v_addc_co_u32_e32 v7, vcc, 0, v3, vcc
	v_add_co_u32_e32 v8, vcc, 0x3000, v2
	s_nop 1
	v_addc_co_u32_e32 v9, vcc, 0, v3, vcc
	flat_load_dwordx2 v[10:11], v[2:3]
	flat_load_dwordx2 v[12:13], v[4:5]
	;; [unrolled: 1-line block ×4, first 2 shown]
	v_add_co_u32_e32 v4, vcc, 0x4000, v2
	s_nop 1
	v_addc_co_u32_e32 v5, vcc, 0, v3, vcc
	v_add_co_u32_e32 v6, vcc, 0x5000, v2
	s_nop 1
	v_addc_co_u32_e32 v7, vcc, 0, v3, vcc
	;; [unrolled: 3-line block ×3, first 2 shown]
	flat_load_dwordx2 v[8:9], v[4:5]
	flat_load_dwordx2 v[26:27], v[6:7]
	;; [unrolled: 1-line block ×3, first 2 shown]
	s_waitcnt vmcnt(0) lgkmcnt(0)
	ds_write2st64_b64 v18, v[10:11], v[12:13] offset1:8
	ds_write2st64_b64 v18, v[14:15], v[16:17] offset0:16 offset1:24
	ds_write2st64_b64 v18, v[8:9], v[26:27] offset0:32 offset1:40
	ds_write_b64 v18, v[28:29] offset:24576
	s_waitcnt lgkmcnt(0)
	s_barrier
.LBB2388_6:
	s_andn2_b64 vcc, exec, s[0:1]
	v_cmp_gt_u32_e64 s[0:1], s33, v0
	s_cbranch_vccnz .LBB2388_22
; %bb.7:
                                        ; implicit-def: $vgpr2_vgpr3_vgpr4_vgpr5_vgpr6_vgpr7_vgpr8_vgpr9_vgpr10_vgpr11_vgpr12_vgpr13_vgpr14_vgpr15_vgpr16_vgpr17
	s_and_saveexec_b64 s[2:3], s[0:1]
	s_cbranch_execz .LBB2388_9
; %bb.8:
	v_mov_b32_e32 v19, 0
	v_lshl_add_u64 v[2:3], v[24:25], 0, v[18:19]
	flat_load_dwordx2 v[2:3], v[2:3]
.LBB2388_9:
	s_or_b64 exec, exec, s[2:3]
	v_or_b32_e32 v1, 0x200, v0
	v_cmp_gt_u32_e32 vcc, s33, v1
	s_and_saveexec_b64 s[0:1], vcc
	s_cbranch_execz .LBB2388_11
; %bb.10:
	v_lshlrev_b32_e32 v4, 3, v1
	v_mov_b32_e32 v5, 0
	v_lshl_add_u64 v[4:5], v[24:25], 0, v[4:5]
	flat_load_dwordx2 v[4:5], v[4:5]
.LBB2388_11:
	s_or_b64 exec, exec, s[0:1]
	v_or_b32_e32 v1, 0x400, v0
	v_cmp_gt_u32_e32 vcc, s33, v1
	s_and_saveexec_b64 s[0:1], vcc
	s_cbranch_execz .LBB2388_13
; %bb.12:
	v_lshlrev_b32_e32 v6, 3, v1
	v_mov_b32_e32 v7, 0
	v_lshl_add_u64 v[6:7], v[24:25], 0, v[6:7]
	flat_load_dwordx2 v[6:7], v[6:7]
.LBB2388_13:
	;; [unrolled: 11-line block ×6, first 2 shown]
	s_or_b64 exec, exec, s[0:1]
	s_waitcnt vmcnt(0) lgkmcnt(0)
	ds_write2st64_b64 v18, v[2:3], v[4:5] offset1:8
	ds_write2st64_b64 v18, v[6:7], v[8:9] offset0:16 offset1:24
	ds_write2st64_b64 v18, v[10:11], v[12:13] offset0:32 offset1:40
	ds_write_b64 v18, v[14:15] offset:24576
	s_waitcnt lgkmcnt(0)
	s_barrier
.LBB2388_22:
	v_mul_u32_u24_e32 v1, 7, v0
	v_lshlrev_b32_e32 v36, 3, v1
	ds_read2_b64 v[10:13], v36 offset1:1
	ds_read2_b64 v[6:9], v36 offset0:2 offset1:3
	ds_read2_b64 v[2:5], v36 offset0:4 offset1:5
	ds_read_b64 v[14:15], v36 offset:48
	v_cndmask_b32_e64 v16, 0, 1, s[4:5]
	v_cmp_ne_u32_e64 s[2:3], 1, v16
	s_andn2_b64 vcc, exec, s[4:5]
	s_waitcnt lgkmcnt(3)
	v_xor_b32_e32 v28, -1, v10
	v_xor_b32_e32 v27, -1, v12
	s_waitcnt lgkmcnt(2)
	v_xor_b32_e32 v26, -1, v6
	v_xor_b32_e32 v25, -1, v8
	;; [unrolled: 3-line block ×3, first 2 shown]
	s_waitcnt lgkmcnt(0)
	v_xor_b32_e32 v16, -1, v14
	s_barrier
	s_cbranch_vccnz .LBB2388_24
; %bb.23:
	v_mov_b32_e32 v19, 1
	v_and_b32_e32 v29, 1, v28
	v_and_b32_sdwa v30, v27, v19 dst_sel:BYTE_1 dst_unused:UNUSED_PAD src0_sel:DWORD src1_sel:DWORD
	v_and_b32_e32 v31, 1, v26
	v_and_b32_sdwa v34, v25, v19 dst_sel:BYTE_1 dst_unused:UNUSED_PAD src0_sel:DWORD src1_sel:DWORD
	v_or_b32_e32 v29, v29, v30
	v_or_b32_sdwa v30, v31, v34 dst_sel:WORD_1 dst_unused:UNUSED_PAD src0_sel:DWORD src1_sel:DWORD
	v_and_b32_e32 v33, 1, v24
	v_and_b32_e32 v32, 1, v17
	;; [unrolled: 1-line block ×3, first 2 shown]
	v_or_b32_sdwa v34, v29, v30 dst_sel:DWORD dst_unused:UNUSED_PAD src0_sel:WORD_0 src1_sel:DWORD
	s_cbranch_execz .LBB2388_25
	s_branch .LBB2388_26
.LBB2388_24:
                                        ; implicit-def: $vgpr19
                                        ; implicit-def: $vgpr32
                                        ; implicit-def: $vgpr33
                                        ; implicit-def: $vgpr34
.LBB2388_25:
	v_add_u32_e32 v19, 1, v1
	v_cmp_gt_u32_e32 vcc, s33, v1
	v_add_u32_e32 v29, 2, v1
	v_add_u32_e32 v30, 3, v1
	v_cndmask_b32_e64 v33, 0, 1, vcc
	v_cmp_gt_u32_e32 vcc, s33, v19
	v_add_u32_e32 v31, 4, v1
	v_add_u32_e32 v32, 5, v1
	v_cndmask_b32_e64 v19, 0, 1, vcc
	v_cmp_gt_u32_e32 vcc, s33, v29
	v_and_b32_sdwa v27, v19, v27 dst_sel:BYTE_1 dst_unused:UNUSED_PAD src0_sel:DWORD src1_sel:DWORD
	v_add_u32_e32 v34, 6, v1
	v_cndmask_b32_e64 v19, 0, 1, vcc
	v_cmp_gt_u32_e32 vcc, s33, v30
	v_and_b32_e32 v26, v19, v26
	v_and_b32_e32 v28, v33, v28
	v_cndmask_b32_e64 v19, 0, 1, vcc
	v_cmp_gt_u32_e32 vcc, s33, v31
	v_and_b32_sdwa v25, v19, v25 dst_sel:BYTE_1 dst_unused:UNUSED_PAD src0_sel:DWORD src1_sel:DWORD
	s_nop 0
	v_cndmask_b32_e64 v19, 0, 1, vcc
	v_cmp_gt_u32_e32 vcc, s33, v32
	v_and_b32_e32 v33, v19, v24
	s_nop 0
	v_cndmask_b32_e64 v19, 0, 1, vcc
	v_cmp_gt_u32_e32 vcc, s33, v34
	v_and_b32_e32 v32, v19, v17
	s_nop 0
	v_cndmask_b32_e64 v17, 0, 1, vcc
	v_and_b32_e32 v19, v17, v16
	v_or_b32_e32 v16, v28, v27
	v_or_b32_sdwa v17, v26, v25 dst_sel:WORD_1 dst_unused:UNUSED_PAD src0_sel:DWORD src1_sel:DWORD
	s_nop 0
	v_or_b32_sdwa v34, v16, v17 dst_sel:DWORD dst_unused:UNUSED_PAD src0_sel:WORD_0 src1_sel:DWORD
.LBB2388_26:
	v_and_b32_e32 v37, 0xff, v34
	v_bfe_u32 v38, v34, 8, 8
	v_bfe_u32 v39, v34, 16, 8
	v_lshrrev_b32_e32 v35, 24, v34
	v_and_b32_e32 v40, 0xff, v33
	v_add3_u32 v17, v38, v37, v39
	v_and_b32_e32 v41, 0xff, v32
	v_and_b32_e32 v16, 0xff, v19
	v_add3_u32 v17, v17, v35, v40
	v_add3_u32 v44, v17, v41, v16
	v_mbcnt_lo_u32_b32 v16, -1, 0
	v_mbcnt_hi_u32_b32 v42, -1, v16
	v_and_b32_e32 v16, 15, v42
	v_cmp_eq_u32_e64 s[16:17], 0, v16
	v_cmp_lt_u32_e64 s[14:15], 1, v16
	v_cmp_lt_u32_e64 s[12:13], 3, v16
	;; [unrolled: 1-line block ×3, first 2 shown]
	v_and_b32_e32 v16, 16, v42
	v_cmp_eq_u32_e64 s[8:9], 0, v16
	v_or_b32_e32 v16, 63, v0
	s_cmp_lg_u32 s38, 0
	v_cmp_lt_u32_e64 s[4:5], 31, v42
	v_lshrrev_b32_e32 v43, 6, v0
	v_cmp_eq_u32_e64 s[6:7], v16, v0
	s_cbranch_scc0 .LBB2388_53
; %bb.27:
	v_mov_b32_dpp v16, v44 row_shr:1 row_mask:0xf bank_mask:0xf
	v_cndmask_b32_e64 v16, v16, 0, s[16:17]
	v_add_u32_e32 v16, v16, v44
	s_nop 1
	v_mov_b32_dpp v17, v16 row_shr:2 row_mask:0xf bank_mask:0xf
	v_cndmask_b32_e64 v17, 0, v17, s[14:15]
	v_add_u32_e32 v16, v16, v17
	s_nop 1
	v_mov_b32_dpp v17, v16 row_shr:4 row_mask:0xf bank_mask:0xf
	v_cndmask_b32_e64 v17, 0, v17, s[12:13]
	v_add_u32_e32 v16, v16, v17
	s_nop 1
	v_mov_b32_dpp v17, v16 row_shr:8 row_mask:0xf bank_mask:0xf
	v_cndmask_b32_e64 v17, 0, v17, s[10:11]
	v_add_u32_e32 v16, v16, v17
	s_nop 1
	v_mov_b32_dpp v17, v16 row_bcast:15 row_mask:0xf bank_mask:0xf
	v_cndmask_b32_e64 v17, v17, 0, s[8:9]
	v_add_u32_e32 v16, v16, v17
	s_nop 1
	v_mov_b32_dpp v17, v16 row_bcast:31 row_mask:0xf bank_mask:0xf
	v_cndmask_b32_e64 v17, 0, v17, s[4:5]
	v_add_u32_e32 v16, v16, v17
	s_and_saveexec_b64 s[0:1], s[6:7]
	s_cbranch_execz .LBB2388_29
; %bb.28:
	v_lshlrev_b32_e32 v17, 2, v43
	ds_write_b32 v17, v16
.LBB2388_29:
	s_or_b64 exec, exec, s[0:1]
	v_cmp_gt_u32_e32 vcc, 8, v0
	s_waitcnt lgkmcnt(0)
	s_barrier
	s_and_saveexec_b64 s[0:1], vcc
	s_cbranch_execz .LBB2388_31
; %bb.30:
	v_lshlrev_b32_e32 v17, 2, v0
	ds_read_b32 v24, v17
	v_and_b32_e32 v25, 7, v42
	v_cmp_ne_u32_e32 vcc, 0, v25
	s_waitcnt lgkmcnt(0)
	v_mov_b32_dpp v26, v24 row_shr:1 row_mask:0xf bank_mask:0xf
	v_cndmask_b32_e32 v26, 0, v26, vcc
	v_add_u32_e32 v24, v26, v24
	v_cmp_lt_u32_e32 vcc, 1, v25
	s_nop 0
	v_mov_b32_dpp v26, v24 row_shr:2 row_mask:0xf bank_mask:0xf
	v_cndmask_b32_e32 v26, 0, v26, vcc
	v_add_u32_e32 v24, v24, v26
	v_cmp_lt_u32_e32 vcc, 3, v25
	s_nop 0
	v_mov_b32_dpp v26, v24 row_shr:4 row_mask:0xf bank_mask:0xf
	v_cndmask_b32_e32 v25, 0, v26, vcc
	v_add_u32_e32 v24, v24, v25
	ds_write_b32 v17, v24
.LBB2388_31:
	s_or_b64 exec, exec, s[0:1]
	v_cmp_gt_u32_e32 vcc, 64, v0
	v_cmp_lt_u32_e64 s[0:1], 63, v0
	s_waitcnt lgkmcnt(0)
	s_barrier
	s_waitcnt lgkmcnt(0)
                                        ; implicit-def: $vgpr45
	s_and_saveexec_b64 s[18:19], s[0:1]
	s_cbranch_execz .LBB2388_33
; %bb.32:
	v_lshl_add_u32 v17, v43, 2, -4
	ds_read_b32 v45, v17
	s_waitcnt lgkmcnt(0)
	v_add_u32_e32 v16, v45, v16
.LBB2388_33:
	s_or_b64 exec, exec, s[18:19]
	v_add_u32_e32 v17, -1, v42
	v_and_b32_e32 v24, 64, v42
	v_cmp_lt_i32_e64 s[0:1], v17, v24
	v_cmp_eq_u32_e64 s[18:19], 0, v42
	s_nop 0
	v_cndmask_b32_e64 v17, v17, v42, s[0:1]
	v_lshlrev_b32_e32 v17, 2, v17
	ds_bpermute_b32 v46, v17, v16
	s_and_saveexec_b64 s[0:1], vcc
	s_cbranch_execz .LBB2388_52
; %bb.34:
	v_mov_b32_e32 v29, 0
	ds_read_b32 v16, v29 offset:28
	s_and_saveexec_b64 s[26:27], s[18:19]
	s_cbranch_execz .LBB2388_36
; %bb.35:
	s_add_i32 s28, s38, 64
	s_mov_b32 s29, 0
	s_lshl_b64 s[28:29], s[28:29], 3
	s_add_u32 s28, s36, s28
	v_mov_b32_e32 v17, 1
	s_addc_u32 s29, s37, s29
	s_waitcnt lgkmcnt(0)
	global_store_dwordx2 v29, v[16:17], s[28:29] sc1
.LBB2388_36:
	s_or_b64 exec, exec, s[26:27]
	v_xad_u32 v24, v42, -1, s38
	v_add_u32_e32 v28, 64, v24
	v_lshl_add_u64 v[30:31], v[28:29], 3, s[36:37]
	global_load_dwordx2 v[26:27], v[30:31], off sc1
	s_waitcnt vmcnt(0)
	v_cmp_eq_u16_sdwa s[28:29], v27, v29 src0_sel:BYTE_0 src1_sel:DWORD
	s_and_saveexec_b64 s[26:27], s[28:29]
	s_cbranch_execz .LBB2388_40
; %bb.37:
	s_mov_b64 s[28:29], 0
	v_mov_b32_e32 v17, 0
.LBB2388_38:                            ; =>This Inner Loop Header: Depth=1
	global_load_dwordx2 v[26:27], v[30:31], off sc1
	s_waitcnt vmcnt(0)
	v_cmp_ne_u16_sdwa s[40:41], v27, v17 src0_sel:BYTE_0 src1_sel:DWORD
	s_or_b64 s[28:29], s[40:41], s[28:29]
	s_andn2_b64 exec, exec, s[28:29]
	s_cbranch_execnz .LBB2388_38
; %bb.39:
	s_or_b64 exec, exec, s[28:29]
.LBB2388_40:
	s_or_b64 exec, exec, s[26:27]
	v_and_b32_e32 v48, 63, v42
	v_mov_b32_e32 v47, 2
	v_cmp_ne_u32_e32 vcc, 63, v48
	v_cmp_eq_u16_sdwa s[26:27], v27, v47 src0_sel:BYTE_0 src1_sel:DWORD
	v_lshlrev_b64 v[28:29], v42, -1
	v_addc_co_u32_e32 v30, vcc, 0, v42, vcc
	v_and_b32_e32 v17, s27, v29
	v_lshlrev_b32_e32 v49, 2, v30
	v_or_b32_e32 v17, 0x80000000, v17
	ds_bpermute_b32 v30, v49, v26
	v_and_b32_e32 v25, s26, v28
	v_ffbl_b32_e32 v17, v17
	v_add_u32_e32 v17, 32, v17
	v_ffbl_b32_e32 v25, v25
	v_min_u32_e32 v17, v25, v17
	v_cmp_lt_u32_e32 vcc, v48, v17
	v_add_u32_e32 v51, 2, v48
	v_add_u32_e32 v53, 4, v48
	s_waitcnt lgkmcnt(0)
	v_cndmask_b32_e32 v25, 0, v30, vcc
	v_cmp_gt_u32_e32 vcc, 62, v48
	v_add_u32_e32 v25, v25, v26
	v_add_u32_e32 v55, 8, v48
	v_cndmask_b32_e64 v26, 0, 1, vcc
	v_lshlrev_b32_e32 v26, 1, v26
	v_add_lshl_u32 v50, v26, v42, 2
	ds_bpermute_b32 v26, v50, v25
	v_cmp_le_u32_e32 vcc, v51, v17
	v_add_u32_e32 v57, 16, v48
	v_add_u32_e32 v59, 32, v48
	s_waitcnt lgkmcnt(0)
	v_cndmask_b32_e32 v26, 0, v26, vcc
	v_cmp_gt_u32_e32 vcc, 60, v48
	v_add_u32_e32 v25, v25, v26
	s_nop 0
	v_cndmask_b32_e64 v26, 0, 1, vcc
	v_lshlrev_b32_e32 v26, 2, v26
	v_add_lshl_u32 v52, v26, v42, 2
	ds_bpermute_b32 v26, v52, v25
	v_cmp_le_u32_e32 vcc, v53, v17
	s_waitcnt lgkmcnt(0)
	s_nop 0
	v_cndmask_b32_e32 v26, 0, v26, vcc
	v_cmp_gt_u32_e32 vcc, 56, v48
	v_add_u32_e32 v25, v25, v26
	s_nop 0
	v_cndmask_b32_e64 v26, 0, 1, vcc
	v_lshlrev_b32_e32 v26, 3, v26
	v_add_lshl_u32 v54, v26, v42, 2
	ds_bpermute_b32 v26, v54, v25
	v_cmp_le_u32_e32 vcc, v55, v17
	s_waitcnt lgkmcnt(0)
	s_nop 0
	;; [unrolled: 11-line block ×4, first 2 shown]
	v_cndmask_b32_e32 v17, 0, v26, vcc
	v_add_u32_e32 v26, v25, v17
	v_mov_b32_e32 v25, 0
	s_branch .LBB2388_42
.LBB2388_41:                            ;   in Loop: Header=BB2388_42 Depth=1
	s_or_b64 exec, exec, s[26:27]
	v_cmp_eq_u16_sdwa s[26:27], v27, v47 src0_sel:BYTE_0 src1_sel:DWORD
	ds_bpermute_b32 v60, v49, v26
	v_subrev_u32_e32 v24, 64, v24
	v_and_b32_e32 v30, s27, v29
	v_or_b32_e32 v30, 0x80000000, v30
	v_and_b32_e32 v31, s26, v28
	v_ffbl_b32_e32 v30, v30
	v_add_u32_e32 v30, 32, v30
	v_ffbl_b32_e32 v31, v31
	v_min_u32_e32 v30, v31, v30
	v_cmp_lt_u32_e32 vcc, v48, v30
	s_waitcnt lgkmcnt(0)
	s_nop 0
	v_cndmask_b32_e32 v31, 0, v60, vcc
	v_add_u32_e32 v26, v31, v26
	ds_bpermute_b32 v31, v50, v26
	v_cmp_le_u32_e32 vcc, v51, v30
	s_waitcnt lgkmcnt(0)
	s_nop 0
	v_cndmask_b32_e32 v31, 0, v31, vcc
	v_add_u32_e32 v26, v26, v31
	ds_bpermute_b32 v31, v52, v26
	v_cmp_le_u32_e32 vcc, v53, v30
	;; [unrolled: 6-line block ×5, first 2 shown]
	s_waitcnt lgkmcnt(0)
	s_nop 0
	v_cndmask_b32_e32 v30, 0, v31, vcc
	v_add3_u32 v26, v30, v17, v26
.LBB2388_42:                            ; =>This Loop Header: Depth=1
                                        ;     Child Loop BB2388_45 Depth 2
	v_cmp_ne_u16_sdwa s[26:27], v27, v47 src0_sel:BYTE_0 src1_sel:DWORD
	s_nop 1
	v_cndmask_b32_e64 v17, 0, 1, s[26:27]
	;;#ASMSTART
	;;#ASMEND
	s_nop 0
	v_cmp_ne_u32_e32 vcc, 0, v17
	s_cmp_lg_u64 vcc, exec
	v_mov_b32_e32 v17, v26
	s_cbranch_scc1 .LBB2388_47
; %bb.43:                               ;   in Loop: Header=BB2388_42 Depth=1
	v_lshl_add_u64 v[30:31], v[24:25], 3, s[36:37]
	global_load_dwordx2 v[26:27], v[30:31], off sc1
	s_waitcnt vmcnt(0)
	v_cmp_eq_u16_sdwa s[28:29], v27, v25 src0_sel:BYTE_0 src1_sel:DWORD
	s_and_saveexec_b64 s[26:27], s[28:29]
	s_cbranch_execz .LBB2388_41
; %bb.44:                               ;   in Loop: Header=BB2388_42 Depth=1
	s_mov_b64 s[28:29], 0
.LBB2388_45:                            ;   Parent Loop BB2388_42 Depth=1
                                        ; =>  This Inner Loop Header: Depth=2
	global_load_dwordx2 v[26:27], v[30:31], off sc1
	s_waitcnt vmcnt(0)
	v_cmp_ne_u16_sdwa s[40:41], v27, v25 src0_sel:BYTE_0 src1_sel:DWORD
	s_or_b64 s[28:29], s[40:41], s[28:29]
	s_andn2_b64 exec, exec, s[28:29]
	s_cbranch_execnz .LBB2388_45
; %bb.46:                               ;   in Loop: Header=BB2388_42 Depth=1
	s_or_b64 exec, exec, s[28:29]
	s_branch .LBB2388_41
.LBB2388_47:                            ;   in Loop: Header=BB2388_42 Depth=1
                                        ; implicit-def: $vgpr26
                                        ; implicit-def: $vgpr27
	s_cbranch_execz .LBB2388_42
; %bb.48:
	s_and_saveexec_b64 s[26:27], s[18:19]
	s_cbranch_execz .LBB2388_50
; %bb.49:
	s_add_i32 s28, s38, 64
	s_mov_b32 s29, 0
	s_lshl_b64 s[28:29], s[28:29], 3
	s_add_u32 s28, s36, s28
	v_add_u32_e32 v24, v17, v16
	v_mov_b32_e32 v25, 2
	s_addc_u32 s29, s37, s29
	v_mov_b32_e32 v26, 0
	global_store_dwordx2 v26, v[24:25], s[28:29] sc1
	ds_write_b64 v26, v[16:17] offset:28672
.LBB2388_50:
	s_or_b64 exec, exec, s[26:27]
	s_and_b64 exec, exec, s[20:21]
	s_cbranch_execz .LBB2388_52
; %bb.51:
	v_mov_b32_e32 v16, 0
	ds_write_b32 v16, v17 offset:28
.LBB2388_52:
	s_or_b64 exec, exec, s[0:1]
	v_mov_b32_e32 v16, 0
	s_waitcnt lgkmcnt(0)
	s_barrier
	ds_read_b32 v17, v16 offset:28
	v_cndmask_b32_e64 v24, v46, v45, s[18:19]
	v_cndmask_b32_e64 v24, v24, 0, s[20:21]
	s_waitcnt lgkmcnt(0)
	s_barrier
	v_add_u32_e32 v31, v17, v24
	v_add_u32_e32 v30, v31, v37
	ds_read_b64 v[16:17], v16 offset:28672
	v_add_u32_e32 v29, v30, v38
	v_add_u32_e32 v28, v29, v39
	;; [unrolled: 1-line block ×5, first 2 shown]
	s_waitcnt lgkmcnt(0)
	v_mov_b32_e32 v26, v17
	s_branch .LBB2388_63
.LBB2388_53:
                                        ; implicit-def: $vgpr26
                                        ; implicit-def: $vgpr16
                                        ; implicit-def: $vgpr24
                                        ; implicit-def: $vgpr25
                                        ; implicit-def: $vgpr27
                                        ; implicit-def: $vgpr28
                                        ; implicit-def: $vgpr29
                                        ; implicit-def: $vgpr30
                                        ; implicit-def: $vgpr31
	s_cbranch_execz .LBB2388_63
; %bb.54:
	s_nop 0
	v_mov_b32_dpp v16, v44 row_shr:1 row_mask:0xf bank_mask:0xf
	v_cndmask_b32_e64 v16, v16, 0, s[16:17]
	v_add_u32_e32 v16, v16, v44
	s_nop 1
	v_mov_b32_dpp v17, v16 row_shr:2 row_mask:0xf bank_mask:0xf
	v_cndmask_b32_e64 v17, 0, v17, s[14:15]
	v_add_u32_e32 v16, v16, v17
	;; [unrolled: 4-line block ×4, first 2 shown]
	s_nop 1
	v_mov_b32_dpp v17, v16 row_bcast:15 row_mask:0xf bank_mask:0xf
	v_cndmask_b32_e64 v17, v17, 0, s[8:9]
	v_add_u32_e32 v16, v16, v17
	s_nop 1
	v_mov_b32_dpp v17, v16 row_bcast:31 row_mask:0xf bank_mask:0xf
	v_cndmask_b32_e64 v17, 0, v17, s[4:5]
	v_add_u32_e32 v16, v16, v17
	s_and_saveexec_b64 s[0:1], s[6:7]
	s_cbranch_execz .LBB2388_56
; %bb.55:
	v_lshlrev_b32_e32 v17, 2, v43
	ds_write_b32 v17, v16
.LBB2388_56:
	s_or_b64 exec, exec, s[0:1]
	v_cmp_gt_u32_e32 vcc, 8, v0
	s_waitcnt lgkmcnt(0)
	s_barrier
	s_and_saveexec_b64 s[0:1], vcc
	s_cbranch_execz .LBB2388_58
; %bb.57:
	s_movk_i32 s4, 0xffcc
	v_mad_i32_i24 v17, v0, s4, v36
	ds_read_b32 v24, v17
	v_and_b32_e32 v25, 7, v42
	v_cmp_ne_u32_e32 vcc, 0, v25
	s_waitcnt lgkmcnt(0)
	v_mov_b32_dpp v26, v24 row_shr:1 row_mask:0xf bank_mask:0xf
	v_cndmask_b32_e32 v26, 0, v26, vcc
	v_add_u32_e32 v24, v26, v24
	v_cmp_lt_u32_e32 vcc, 1, v25
	s_nop 0
	v_mov_b32_dpp v26, v24 row_shr:2 row_mask:0xf bank_mask:0xf
	v_cndmask_b32_e32 v26, 0, v26, vcc
	v_add_u32_e32 v24, v24, v26
	v_cmp_lt_u32_e32 vcc, 3, v25
	s_nop 0
	v_mov_b32_dpp v26, v24 row_shr:4 row_mask:0xf bank_mask:0xf
	v_cndmask_b32_e32 v25, 0, v26, vcc
	v_add_u32_e32 v24, v24, v25
	ds_write_b32 v17, v24
.LBB2388_58:
	s_or_b64 exec, exec, s[0:1]
	v_cmp_lt_u32_e32 vcc, 63, v0
	v_mov_b32_e32 v17, 0
	v_mov_b32_e32 v24, 0
	s_waitcnt lgkmcnt(0)
	s_barrier
	s_and_saveexec_b64 s[0:1], vcc
	s_cbranch_execz .LBB2388_60
; %bb.59:
	v_lshl_add_u32 v24, v43, 2, -4
	ds_read_b32 v24, v24
.LBB2388_60:
	s_or_b64 exec, exec, s[0:1]
	v_add_u32_e32 v25, -1, v42
	v_and_b32_e32 v26, 64, v42
	v_cmp_lt_i32_e32 vcc, v25, v26
	s_waitcnt lgkmcnt(0)
	v_add_u32_e32 v16, v24, v16
	v_cndmask_b32_e32 v25, v25, v42, vcc
	v_lshlrev_b32_e32 v25, 2, v25
	ds_bpermute_b32 v25, v25, v16
	ds_read_b32 v16, v17 offset:28
	s_and_saveexec_b64 s[0:1], s[20:21]
	s_cbranch_execz .LBB2388_62
; %bb.61:
	v_mov_b32_e32 v26, 0
	v_mov_b32_e32 v17, 2
	s_waitcnt lgkmcnt(0)
	global_store_dwordx2 v26, v[16:17], s[36:37] offset:512 sc1
.LBB2388_62:
	s_or_b64 exec, exec, s[0:1]
	v_cmp_eq_u32_e32 vcc, 0, v42
	v_mov_b32_e32 v26, 0
	s_waitcnt lgkmcnt(0)
	v_cndmask_b32_e32 v17, v25, v24, vcc
	v_cndmask_b32_e64 v31, v17, 0, s[20:21]
	v_add_u32_e32 v30, v31, v37
	v_add_u32_e32 v29, v30, v38
	;; [unrolled: 1-line block ×6, first 2 shown]
	s_barrier
.LBB2388_63:
	v_add_u32_e32 v1, v16, v1
	v_sub_u32_e32 v31, v31, v26
	v_and_b32_e32 v37, 1, v34
	v_sub_u32_e32 v36, v1, v31
	v_cmp_eq_u32_e32 vcc, 1, v37
	v_lshrrev_b32_e32 v17, 8, v34
	v_and_b32_e32 v17, 1, v17
	v_cndmask_b32_e32 v31, v36, v31, vcc
	v_lshlrev_b32_e32 v31, 3, v31
	ds_write_b64 v31, v[10:11]
	v_sub_u32_e32 v10, v30, v26
	v_sub_u32_e32 v11, v1, v10
	v_add_u32_e32 v11, 1, v11
	v_cmp_eq_u32_e32 vcc, 1, v17
	v_or_b32_e32 v31, 0x200, v0
	v_or_b32_e32 v30, 0x400, v0
	v_cndmask_b32_e32 v10, v11, v10, vcc
	v_lshlrev_b32_e32 v10, 3, v10
	ds_write_b64 v10, v[12:13]
	v_sub_u32_e32 v10, v29, v26
	v_mov_b32_e32 v12, 1
	v_sub_u32_e32 v11, v1, v10
	v_and_b32_sdwa v12, v12, v34 dst_sel:DWORD dst_unused:UNUSED_PAD src0_sel:DWORD src1_sel:WORD_1
	v_add_u32_e32 v11, 2, v11
	v_cmp_eq_u32_e32 vcc, 1, v12
	v_or_b32_e32 v29, 0x600, v0
	v_cmp_ge_u32_e64 s[0:1], v0, v16
	v_cndmask_b32_e32 v10, v11, v10, vcc
	v_lshlrev_b32_e32 v10, 3, v10
	ds_write_b64 v10, v[6:7]
	v_sub_u32_e32 v6, v28, v26
	v_sub_u32_e32 v7, v1, v6
	v_and_b32_e32 v10, 1, v35
	v_add_u32_e32 v7, 3, v7
	v_cmp_eq_u32_e32 vcc, 1, v10
	v_or_b32_e32 v28, 0x800, v0
	s_nop 0
	v_cndmask_b32_e32 v6, v7, v6, vcc
	v_lshlrev_b32_e32 v6, 3, v6
	ds_write_b64 v6, v[8:9]
	v_sub_u32_e32 v6, v27, v26
	v_sub_u32_e32 v7, v1, v6
	v_and_b32_e32 v8, 1, v33
	v_add_u32_e32 v7, 4, v7
	v_cmp_eq_u32_e32 vcc, 1, v8
	v_mov_b32_e32 v27, 0
	v_mov_b32_e32 v17, v27
	v_cndmask_b32_e32 v6, v7, v6, vcc
	v_lshlrev_b32_e32 v6, 3, v6
	ds_write_b64 v6, v[2:3]
	v_sub_u32_e32 v2, v25, v26
	v_sub_u32_e32 v3, v1, v2
	v_and_b32_e32 v6, 1, v32
	v_add_u32_e32 v3, 5, v3
	v_cmp_eq_u32_e32 vcc, 1, v6
	s_nop 1
	v_cndmask_b32_e32 v2, v3, v2, vcc
	v_lshlrev_b32_e32 v2, 3, v2
	ds_write_b64 v2, v[4:5]
	v_sub_u32_e32 v2, v24, v26
	v_sub_u32_e32 v1, v1, v2
	v_and_b32_e32 v3, 1, v19
	v_add_u32_e32 v1, 6, v1
	v_cmp_eq_u32_e32 vcc, 1, v3
	v_or_b32_e32 v19, 0xa00, v0
	s_nop 0
	v_cndmask_b32_e32 v1, v1, v2, vcc
	v_lshlrev_b32_e32 v1, 3, v1
	ds_write_b64 v1, v[14:15]
	s_waitcnt vmcnt(0)
	v_lshl_add_u64 v[14:15], v[20:21], 0, v[16:17]
	v_lshl_add_u64 v[14:15], v[14:15], 0, v[26:27]
	s_waitcnt lgkmcnt(0)
	s_barrier
	ds_read2st64_b64 v[10:13], v18 offset1:8
	ds_read2st64_b64 v[6:9], v18 offset0:16 offset1:24
	ds_read2st64_b64 v[2:5], v18 offset0:32 offset1:40
	ds_read_b64 v[24:25], v18 offset:24576
	v_mov_b32_e32 v17, s31
	v_sub_co_u32_e32 v20, vcc, s30, v14
	v_or_b32_e32 v1, 0xc00, v0
	s_nop 0
	v_subb_co_u32_e32 v21, vcc, v17, v15, vcc
	v_lshlrev_b64 v[20:21], 3, v[20:21]
	v_lshl_add_u64 v[20:21], s[34:35], 0, v[20:21]
	v_lshl_add_u64 v[20:21], v[20:21], 0, v[22:23]
	s_and_b64 vcc, exec, s[2:3]
	s_cbranch_vccnz .LBB2388_72
; %bb.64:
	s_and_saveexec_b64 s[2:3], s[0:1]
	s_cbranch_execnz .LBB2388_91
; %bb.65:
	s_or_b64 exec, exec, s[2:3]
	v_cmp_ge_u32_e32 vcc, v31, v16
	s_and_saveexec_b64 s[0:1], vcc
	s_cbranch_execnz .LBB2388_92
.LBB2388_66:
	s_or_b64 exec, exec, s[0:1]
	v_cmp_ge_u32_e32 vcc, v30, v16
	s_and_saveexec_b64 s[0:1], vcc
	s_cbranch_execnz .LBB2388_93
.LBB2388_67:
	s_or_b64 exec, exec, s[0:1]
	v_cmp_ge_u32_e32 vcc, v29, v16
	s_and_saveexec_b64 s[0:1], vcc
	s_cbranch_execnz .LBB2388_94
.LBB2388_68:
	s_or_b64 exec, exec, s[0:1]
	v_cmp_ge_u32_e32 vcc, v28, v16
	s_and_saveexec_b64 s[0:1], vcc
	s_cbranch_execnz .LBB2388_95
.LBB2388_69:
	s_or_b64 exec, exec, s[0:1]
	v_cmp_ge_u32_e32 vcc, v19, v16
	s_and_saveexec_b64 s[0:1], vcc
	s_cbranch_execz .LBB2388_71
.LBB2388_70:
	v_lshlrev_b32_e32 v17, 3, v19
	v_readfirstlane_b32 s2, v20
	v_readfirstlane_b32 s3, v21
	s_waitcnt lgkmcnt(1)
	s_nop 3
	global_store_dwordx2 v17, v[4:5], s[2:3]
.LBB2388_71:
	s_or_b64 exec, exec, s[0:1]
	v_cmp_ge_u32_e64 s[0:1], v1, v16
	s_branch .LBB2388_86
.LBB2388_72:
	s_mov_b64 s[0:1], 0
	s_cbranch_execz .LBB2388_86
; %bb.73:
	v_cmp_gt_u32_e32 vcc, s33, v0
	v_cmp_ge_u32_e64 s[0:1], v0, v16
	s_and_b64 s[2:3], vcc, s[0:1]
	s_and_saveexec_b64 s[0:1], s[2:3]
	s_cbranch_execz .LBB2388_75
; %bb.74:
	v_readfirstlane_b32 s2, v20
	v_readfirstlane_b32 s3, v21
	s_waitcnt lgkmcnt(3)
	s_nop 3
	global_store_dwordx2 v18, v[10:11], s[2:3]
.LBB2388_75:
	s_or_b64 exec, exec, s[0:1]
	v_cmp_gt_u32_e32 vcc, s33, v31
	v_cmp_ge_u32_e64 s[0:1], v31, v16
	s_and_b64 s[2:3], vcc, s[0:1]
	s_and_saveexec_b64 s[0:1], s[2:3]
	s_cbranch_execz .LBB2388_77
; %bb.76:
	v_lshlrev_b32_e32 v0, 3, v31
	v_readfirstlane_b32 s2, v20
	v_readfirstlane_b32 s3, v21
	s_waitcnt lgkmcnt(3)
	s_nop 3
	global_store_dwordx2 v0, v[12:13], s[2:3]
.LBB2388_77:
	s_or_b64 exec, exec, s[0:1]
	v_cmp_gt_u32_e32 vcc, s33, v30
	v_cmp_ge_u32_e64 s[0:1], v30, v16
	s_and_b64 s[2:3], vcc, s[0:1]
	s_and_saveexec_b64 s[0:1], s[2:3]
	s_cbranch_execz .LBB2388_79
; %bb.78:
	v_lshlrev_b32_e32 v0, 3, v30
	v_readfirstlane_b32 s2, v20
	v_readfirstlane_b32 s3, v21
	s_waitcnt lgkmcnt(2)
	s_nop 3
	global_store_dwordx2 v0, v[6:7], s[2:3]
.LBB2388_79:
	;; [unrolled: 14-line block ×5, first 2 shown]
	s_or_b64 exec, exec, s[0:1]
	v_cmp_gt_u32_e32 vcc, s33, v1
	v_cmp_ge_u32_e64 s[0:1], v1, v16
	s_and_b64 s[0:1], vcc, s[0:1]
.LBB2388_86:
	s_and_saveexec_b64 s[2:3], s[0:1]
	s_cbranch_execnz .LBB2388_89
; %bb.87:
	s_or_b64 exec, exec, s[2:3]
	s_and_b64 s[0:1], s[20:21], s[22:23]
	s_and_saveexec_b64 s[2:3], s[0:1]
	s_cbranch_execnz .LBB2388_90
.LBB2388_88:
	s_endpgm
.LBB2388_89:
	v_lshlrev_b32_e32 v0, 3, v1
	v_readfirstlane_b32 s0, v20
	v_readfirstlane_b32 s1, v21
	s_waitcnt lgkmcnt(0)
	s_nop 3
	global_store_dwordx2 v0, v[24:25], s[0:1]
	s_or_b64 exec, exec, s[2:3]
	s_and_b64 s[0:1], s[20:21], s[22:23]
	s_and_saveexec_b64 s[2:3], s[0:1]
	s_cbranch_execz .LBB2388_88
.LBB2388_90:
	v_mov_b32_e32 v0, 0
	global_store_dwordx2 v0, v[14:15], s[24:25]
	s_endpgm
.LBB2388_91:
	v_readfirstlane_b32 s0, v20
	v_readfirstlane_b32 s1, v21
	s_waitcnt lgkmcnt(3)
	s_nop 3
	global_store_dwordx2 v18, v[10:11], s[0:1]
	s_or_b64 exec, exec, s[2:3]
	v_cmp_ge_u32_e32 vcc, v31, v16
	s_and_saveexec_b64 s[0:1], vcc
	s_cbranch_execz .LBB2388_66
.LBB2388_92:
	v_lshlrev_b32_e32 v17, 3, v31
	v_readfirstlane_b32 s2, v20
	v_readfirstlane_b32 s3, v21
	s_waitcnt lgkmcnt(3)
	s_nop 3
	global_store_dwordx2 v17, v[12:13], s[2:3]
	s_or_b64 exec, exec, s[0:1]
	v_cmp_ge_u32_e32 vcc, v30, v16
	s_and_saveexec_b64 s[0:1], vcc
	s_cbranch_execz .LBB2388_67
.LBB2388_93:
	v_lshlrev_b32_e32 v17, 3, v30
	v_readfirstlane_b32 s2, v20
	v_readfirstlane_b32 s3, v21
	s_waitcnt lgkmcnt(2)
	s_nop 3
	global_store_dwordx2 v17, v[6:7], s[2:3]
	s_or_b64 exec, exec, s[0:1]
	v_cmp_ge_u32_e32 vcc, v29, v16
	s_and_saveexec_b64 s[0:1], vcc
	s_cbranch_execz .LBB2388_68
.LBB2388_94:
	v_lshlrev_b32_e32 v17, 3, v29
	v_readfirstlane_b32 s2, v20
	v_readfirstlane_b32 s3, v21
	s_waitcnt lgkmcnt(2)
	s_nop 3
	global_store_dwordx2 v17, v[8:9], s[2:3]
	s_or_b64 exec, exec, s[0:1]
	v_cmp_ge_u32_e32 vcc, v28, v16
	s_and_saveexec_b64 s[0:1], vcc
	s_cbranch_execz .LBB2388_69
.LBB2388_95:
	v_lshlrev_b32_e32 v17, 3, v28
	v_readfirstlane_b32 s2, v20
	v_readfirstlane_b32 s3, v21
	s_waitcnt lgkmcnt(1)
	s_nop 3
	global_store_dwordx2 v17, v[2:3], s[2:3]
	s_or_b64 exec, exec, s[0:1]
	v_cmp_ge_u32_e32 vcc, v19, v16
	s_and_saveexec_b64 s[0:1], vcc
	s_cbranch_execnz .LBB2388_70
	s_branch .LBB2388_71
	.section	.rodata,"a",@progbits
	.p2align	6, 0x0
	.amdhsa_kernel _ZN7rocprim17ROCPRIM_400000_NS6detail17trampoline_kernelINS0_14default_configENS1_25partition_config_selectorILNS1_17partition_subalgoE0EyNS0_10empty_typeEbEEZZNS1_14partition_implILS5_0ELb0ES3_jN6thrust23THRUST_200600_302600_NS6detail15normal_iteratorINSA_10device_ptrIyEEEEPS6_SG_NS0_5tupleIJNSA_16discard_iteratorINSA_11use_defaultEEESF_EEENSH_IJSG_SG_EEES6_PlJ7is_evenIyEEEE10hipError_tPvRmT3_T4_T5_T6_T7_T9_mT8_P12ihipStream_tbDpT10_ENKUlT_T0_E_clISt17integral_constantIbLb0EES18_IbLb1EEEEDaS14_S15_EUlS14_E_NS1_11comp_targetILNS1_3genE5ELNS1_11target_archE942ELNS1_3gpuE9ELNS1_3repE0EEENS1_30default_config_static_selectorELNS0_4arch9wavefront6targetE1EEEvT1_
		.amdhsa_group_segment_fixed_size 28680
		.amdhsa_private_segment_fixed_size 0
		.amdhsa_kernarg_size 144
		.amdhsa_user_sgpr_count 2
		.amdhsa_user_sgpr_dispatch_ptr 0
		.amdhsa_user_sgpr_queue_ptr 0
		.amdhsa_user_sgpr_kernarg_segment_ptr 1
		.amdhsa_user_sgpr_dispatch_id 0
		.amdhsa_user_sgpr_kernarg_preload_length 0
		.amdhsa_user_sgpr_kernarg_preload_offset 0
		.amdhsa_user_sgpr_private_segment_size 0
		.amdhsa_uses_dynamic_stack 0
		.amdhsa_enable_private_segment 0
		.amdhsa_system_sgpr_workgroup_id_x 1
		.amdhsa_system_sgpr_workgroup_id_y 0
		.amdhsa_system_sgpr_workgroup_id_z 0
		.amdhsa_system_sgpr_workgroup_info 0
		.amdhsa_system_vgpr_workitem_id 0
		.amdhsa_next_free_vgpr 61
		.amdhsa_next_free_sgpr 42
		.amdhsa_accum_offset 64
		.amdhsa_reserve_vcc 1
		.amdhsa_float_round_mode_32 0
		.amdhsa_float_round_mode_16_64 0
		.amdhsa_float_denorm_mode_32 3
		.amdhsa_float_denorm_mode_16_64 3
		.amdhsa_dx10_clamp 1
		.amdhsa_ieee_mode 1
		.amdhsa_fp16_overflow 0
		.amdhsa_tg_split 0
		.amdhsa_exception_fp_ieee_invalid_op 0
		.amdhsa_exception_fp_denorm_src 0
		.amdhsa_exception_fp_ieee_div_zero 0
		.amdhsa_exception_fp_ieee_overflow 0
		.amdhsa_exception_fp_ieee_underflow 0
		.amdhsa_exception_fp_ieee_inexact 0
		.amdhsa_exception_int_div_zero 0
	.end_amdhsa_kernel
	.section	.text._ZN7rocprim17ROCPRIM_400000_NS6detail17trampoline_kernelINS0_14default_configENS1_25partition_config_selectorILNS1_17partition_subalgoE0EyNS0_10empty_typeEbEEZZNS1_14partition_implILS5_0ELb0ES3_jN6thrust23THRUST_200600_302600_NS6detail15normal_iteratorINSA_10device_ptrIyEEEEPS6_SG_NS0_5tupleIJNSA_16discard_iteratorINSA_11use_defaultEEESF_EEENSH_IJSG_SG_EEES6_PlJ7is_evenIyEEEE10hipError_tPvRmT3_T4_T5_T6_T7_T9_mT8_P12ihipStream_tbDpT10_ENKUlT_T0_E_clISt17integral_constantIbLb0EES18_IbLb1EEEEDaS14_S15_EUlS14_E_NS1_11comp_targetILNS1_3genE5ELNS1_11target_archE942ELNS1_3gpuE9ELNS1_3repE0EEENS1_30default_config_static_selectorELNS0_4arch9wavefront6targetE1EEEvT1_,"axG",@progbits,_ZN7rocprim17ROCPRIM_400000_NS6detail17trampoline_kernelINS0_14default_configENS1_25partition_config_selectorILNS1_17partition_subalgoE0EyNS0_10empty_typeEbEEZZNS1_14partition_implILS5_0ELb0ES3_jN6thrust23THRUST_200600_302600_NS6detail15normal_iteratorINSA_10device_ptrIyEEEEPS6_SG_NS0_5tupleIJNSA_16discard_iteratorINSA_11use_defaultEEESF_EEENSH_IJSG_SG_EEES6_PlJ7is_evenIyEEEE10hipError_tPvRmT3_T4_T5_T6_T7_T9_mT8_P12ihipStream_tbDpT10_ENKUlT_T0_E_clISt17integral_constantIbLb0EES18_IbLb1EEEEDaS14_S15_EUlS14_E_NS1_11comp_targetILNS1_3genE5ELNS1_11target_archE942ELNS1_3gpuE9ELNS1_3repE0EEENS1_30default_config_static_selectorELNS0_4arch9wavefront6targetE1EEEvT1_,comdat
.Lfunc_end2388:
	.size	_ZN7rocprim17ROCPRIM_400000_NS6detail17trampoline_kernelINS0_14default_configENS1_25partition_config_selectorILNS1_17partition_subalgoE0EyNS0_10empty_typeEbEEZZNS1_14partition_implILS5_0ELb0ES3_jN6thrust23THRUST_200600_302600_NS6detail15normal_iteratorINSA_10device_ptrIyEEEEPS6_SG_NS0_5tupleIJNSA_16discard_iteratorINSA_11use_defaultEEESF_EEENSH_IJSG_SG_EEES6_PlJ7is_evenIyEEEE10hipError_tPvRmT3_T4_T5_T6_T7_T9_mT8_P12ihipStream_tbDpT10_ENKUlT_T0_E_clISt17integral_constantIbLb0EES18_IbLb1EEEEDaS14_S15_EUlS14_E_NS1_11comp_targetILNS1_3genE5ELNS1_11target_archE942ELNS1_3gpuE9ELNS1_3repE0EEENS1_30default_config_static_selectorELNS0_4arch9wavefront6targetE1EEEvT1_, .Lfunc_end2388-_ZN7rocprim17ROCPRIM_400000_NS6detail17trampoline_kernelINS0_14default_configENS1_25partition_config_selectorILNS1_17partition_subalgoE0EyNS0_10empty_typeEbEEZZNS1_14partition_implILS5_0ELb0ES3_jN6thrust23THRUST_200600_302600_NS6detail15normal_iteratorINSA_10device_ptrIyEEEEPS6_SG_NS0_5tupleIJNSA_16discard_iteratorINSA_11use_defaultEEESF_EEENSH_IJSG_SG_EEES6_PlJ7is_evenIyEEEE10hipError_tPvRmT3_T4_T5_T6_T7_T9_mT8_P12ihipStream_tbDpT10_ENKUlT_T0_E_clISt17integral_constantIbLb0EES18_IbLb1EEEEDaS14_S15_EUlS14_E_NS1_11comp_targetILNS1_3genE5ELNS1_11target_archE942ELNS1_3gpuE9ELNS1_3repE0EEENS1_30default_config_static_selectorELNS0_4arch9wavefront6targetE1EEEvT1_
                                        ; -- End function
	.section	.AMDGPU.csdata,"",@progbits
; Kernel info:
; codeLenInByte = 4632
; NumSgprs: 48
; NumVgprs: 61
; NumAgprs: 0
; TotalNumVgprs: 61
; ScratchSize: 0
; MemoryBound: 0
; FloatMode: 240
; IeeeMode: 1
; LDSByteSize: 28680 bytes/workgroup (compile time only)
; SGPRBlocks: 5
; VGPRBlocks: 7
; NumSGPRsForWavesPerEU: 48
; NumVGPRsForWavesPerEU: 61
; AccumOffset: 64
; Occupancy: 4
; WaveLimiterHint : 1
; COMPUTE_PGM_RSRC2:SCRATCH_EN: 0
; COMPUTE_PGM_RSRC2:USER_SGPR: 2
; COMPUTE_PGM_RSRC2:TRAP_HANDLER: 0
; COMPUTE_PGM_RSRC2:TGID_X_EN: 1
; COMPUTE_PGM_RSRC2:TGID_Y_EN: 0
; COMPUTE_PGM_RSRC2:TGID_Z_EN: 0
; COMPUTE_PGM_RSRC2:TIDIG_COMP_CNT: 0
; COMPUTE_PGM_RSRC3_GFX90A:ACCUM_OFFSET: 15
; COMPUTE_PGM_RSRC3_GFX90A:TG_SPLIT: 0
	.section	.text._ZN7rocprim17ROCPRIM_400000_NS6detail17trampoline_kernelINS0_14default_configENS1_25partition_config_selectorILNS1_17partition_subalgoE0EyNS0_10empty_typeEbEEZZNS1_14partition_implILS5_0ELb0ES3_jN6thrust23THRUST_200600_302600_NS6detail15normal_iteratorINSA_10device_ptrIyEEEEPS6_SG_NS0_5tupleIJNSA_16discard_iteratorINSA_11use_defaultEEESF_EEENSH_IJSG_SG_EEES6_PlJ7is_evenIyEEEE10hipError_tPvRmT3_T4_T5_T6_T7_T9_mT8_P12ihipStream_tbDpT10_ENKUlT_T0_E_clISt17integral_constantIbLb0EES18_IbLb1EEEEDaS14_S15_EUlS14_E_NS1_11comp_targetILNS1_3genE4ELNS1_11target_archE910ELNS1_3gpuE8ELNS1_3repE0EEENS1_30default_config_static_selectorELNS0_4arch9wavefront6targetE1EEEvT1_,"axG",@progbits,_ZN7rocprim17ROCPRIM_400000_NS6detail17trampoline_kernelINS0_14default_configENS1_25partition_config_selectorILNS1_17partition_subalgoE0EyNS0_10empty_typeEbEEZZNS1_14partition_implILS5_0ELb0ES3_jN6thrust23THRUST_200600_302600_NS6detail15normal_iteratorINSA_10device_ptrIyEEEEPS6_SG_NS0_5tupleIJNSA_16discard_iteratorINSA_11use_defaultEEESF_EEENSH_IJSG_SG_EEES6_PlJ7is_evenIyEEEE10hipError_tPvRmT3_T4_T5_T6_T7_T9_mT8_P12ihipStream_tbDpT10_ENKUlT_T0_E_clISt17integral_constantIbLb0EES18_IbLb1EEEEDaS14_S15_EUlS14_E_NS1_11comp_targetILNS1_3genE4ELNS1_11target_archE910ELNS1_3gpuE8ELNS1_3repE0EEENS1_30default_config_static_selectorELNS0_4arch9wavefront6targetE1EEEvT1_,comdat
	.protected	_ZN7rocprim17ROCPRIM_400000_NS6detail17trampoline_kernelINS0_14default_configENS1_25partition_config_selectorILNS1_17partition_subalgoE0EyNS0_10empty_typeEbEEZZNS1_14partition_implILS5_0ELb0ES3_jN6thrust23THRUST_200600_302600_NS6detail15normal_iteratorINSA_10device_ptrIyEEEEPS6_SG_NS0_5tupleIJNSA_16discard_iteratorINSA_11use_defaultEEESF_EEENSH_IJSG_SG_EEES6_PlJ7is_evenIyEEEE10hipError_tPvRmT3_T4_T5_T6_T7_T9_mT8_P12ihipStream_tbDpT10_ENKUlT_T0_E_clISt17integral_constantIbLb0EES18_IbLb1EEEEDaS14_S15_EUlS14_E_NS1_11comp_targetILNS1_3genE4ELNS1_11target_archE910ELNS1_3gpuE8ELNS1_3repE0EEENS1_30default_config_static_selectorELNS0_4arch9wavefront6targetE1EEEvT1_ ; -- Begin function _ZN7rocprim17ROCPRIM_400000_NS6detail17trampoline_kernelINS0_14default_configENS1_25partition_config_selectorILNS1_17partition_subalgoE0EyNS0_10empty_typeEbEEZZNS1_14partition_implILS5_0ELb0ES3_jN6thrust23THRUST_200600_302600_NS6detail15normal_iteratorINSA_10device_ptrIyEEEEPS6_SG_NS0_5tupleIJNSA_16discard_iteratorINSA_11use_defaultEEESF_EEENSH_IJSG_SG_EEES6_PlJ7is_evenIyEEEE10hipError_tPvRmT3_T4_T5_T6_T7_T9_mT8_P12ihipStream_tbDpT10_ENKUlT_T0_E_clISt17integral_constantIbLb0EES18_IbLb1EEEEDaS14_S15_EUlS14_E_NS1_11comp_targetILNS1_3genE4ELNS1_11target_archE910ELNS1_3gpuE8ELNS1_3repE0EEENS1_30default_config_static_selectorELNS0_4arch9wavefront6targetE1EEEvT1_
	.globl	_ZN7rocprim17ROCPRIM_400000_NS6detail17trampoline_kernelINS0_14default_configENS1_25partition_config_selectorILNS1_17partition_subalgoE0EyNS0_10empty_typeEbEEZZNS1_14partition_implILS5_0ELb0ES3_jN6thrust23THRUST_200600_302600_NS6detail15normal_iteratorINSA_10device_ptrIyEEEEPS6_SG_NS0_5tupleIJNSA_16discard_iteratorINSA_11use_defaultEEESF_EEENSH_IJSG_SG_EEES6_PlJ7is_evenIyEEEE10hipError_tPvRmT3_T4_T5_T6_T7_T9_mT8_P12ihipStream_tbDpT10_ENKUlT_T0_E_clISt17integral_constantIbLb0EES18_IbLb1EEEEDaS14_S15_EUlS14_E_NS1_11comp_targetILNS1_3genE4ELNS1_11target_archE910ELNS1_3gpuE8ELNS1_3repE0EEENS1_30default_config_static_selectorELNS0_4arch9wavefront6targetE1EEEvT1_
	.p2align	8
	.type	_ZN7rocprim17ROCPRIM_400000_NS6detail17trampoline_kernelINS0_14default_configENS1_25partition_config_selectorILNS1_17partition_subalgoE0EyNS0_10empty_typeEbEEZZNS1_14partition_implILS5_0ELb0ES3_jN6thrust23THRUST_200600_302600_NS6detail15normal_iteratorINSA_10device_ptrIyEEEEPS6_SG_NS0_5tupleIJNSA_16discard_iteratorINSA_11use_defaultEEESF_EEENSH_IJSG_SG_EEES6_PlJ7is_evenIyEEEE10hipError_tPvRmT3_T4_T5_T6_T7_T9_mT8_P12ihipStream_tbDpT10_ENKUlT_T0_E_clISt17integral_constantIbLb0EES18_IbLb1EEEEDaS14_S15_EUlS14_E_NS1_11comp_targetILNS1_3genE4ELNS1_11target_archE910ELNS1_3gpuE8ELNS1_3repE0EEENS1_30default_config_static_selectorELNS0_4arch9wavefront6targetE1EEEvT1_,@function
_ZN7rocprim17ROCPRIM_400000_NS6detail17trampoline_kernelINS0_14default_configENS1_25partition_config_selectorILNS1_17partition_subalgoE0EyNS0_10empty_typeEbEEZZNS1_14partition_implILS5_0ELb0ES3_jN6thrust23THRUST_200600_302600_NS6detail15normal_iteratorINSA_10device_ptrIyEEEEPS6_SG_NS0_5tupleIJNSA_16discard_iteratorINSA_11use_defaultEEESF_EEENSH_IJSG_SG_EEES6_PlJ7is_evenIyEEEE10hipError_tPvRmT3_T4_T5_T6_T7_T9_mT8_P12ihipStream_tbDpT10_ENKUlT_T0_E_clISt17integral_constantIbLb0EES18_IbLb1EEEEDaS14_S15_EUlS14_E_NS1_11comp_targetILNS1_3genE4ELNS1_11target_archE910ELNS1_3gpuE8ELNS1_3repE0EEENS1_30default_config_static_selectorELNS0_4arch9wavefront6targetE1EEEvT1_: ; @_ZN7rocprim17ROCPRIM_400000_NS6detail17trampoline_kernelINS0_14default_configENS1_25partition_config_selectorILNS1_17partition_subalgoE0EyNS0_10empty_typeEbEEZZNS1_14partition_implILS5_0ELb0ES3_jN6thrust23THRUST_200600_302600_NS6detail15normal_iteratorINSA_10device_ptrIyEEEEPS6_SG_NS0_5tupleIJNSA_16discard_iteratorINSA_11use_defaultEEESF_EEENSH_IJSG_SG_EEES6_PlJ7is_evenIyEEEE10hipError_tPvRmT3_T4_T5_T6_T7_T9_mT8_P12ihipStream_tbDpT10_ENKUlT_T0_E_clISt17integral_constantIbLb0EES18_IbLb1EEEEDaS14_S15_EUlS14_E_NS1_11comp_targetILNS1_3genE4ELNS1_11target_archE910ELNS1_3gpuE8ELNS1_3repE0EEENS1_30default_config_static_selectorELNS0_4arch9wavefront6targetE1EEEvT1_
; %bb.0:
	.section	.rodata,"a",@progbits
	.p2align	6, 0x0
	.amdhsa_kernel _ZN7rocprim17ROCPRIM_400000_NS6detail17trampoline_kernelINS0_14default_configENS1_25partition_config_selectorILNS1_17partition_subalgoE0EyNS0_10empty_typeEbEEZZNS1_14partition_implILS5_0ELb0ES3_jN6thrust23THRUST_200600_302600_NS6detail15normal_iteratorINSA_10device_ptrIyEEEEPS6_SG_NS0_5tupleIJNSA_16discard_iteratorINSA_11use_defaultEEESF_EEENSH_IJSG_SG_EEES6_PlJ7is_evenIyEEEE10hipError_tPvRmT3_T4_T5_T6_T7_T9_mT8_P12ihipStream_tbDpT10_ENKUlT_T0_E_clISt17integral_constantIbLb0EES18_IbLb1EEEEDaS14_S15_EUlS14_E_NS1_11comp_targetILNS1_3genE4ELNS1_11target_archE910ELNS1_3gpuE8ELNS1_3repE0EEENS1_30default_config_static_selectorELNS0_4arch9wavefront6targetE1EEEvT1_
		.amdhsa_group_segment_fixed_size 0
		.amdhsa_private_segment_fixed_size 0
		.amdhsa_kernarg_size 144
		.amdhsa_user_sgpr_count 2
		.amdhsa_user_sgpr_dispatch_ptr 0
		.amdhsa_user_sgpr_queue_ptr 0
		.amdhsa_user_sgpr_kernarg_segment_ptr 1
		.amdhsa_user_sgpr_dispatch_id 0
		.amdhsa_user_sgpr_kernarg_preload_length 0
		.amdhsa_user_sgpr_kernarg_preload_offset 0
		.amdhsa_user_sgpr_private_segment_size 0
		.amdhsa_uses_dynamic_stack 0
		.amdhsa_enable_private_segment 0
		.amdhsa_system_sgpr_workgroup_id_x 1
		.amdhsa_system_sgpr_workgroup_id_y 0
		.amdhsa_system_sgpr_workgroup_id_z 0
		.amdhsa_system_sgpr_workgroup_info 0
		.amdhsa_system_vgpr_workitem_id 0
		.amdhsa_next_free_vgpr 1
		.amdhsa_next_free_sgpr 0
		.amdhsa_accum_offset 4
		.amdhsa_reserve_vcc 0
		.amdhsa_float_round_mode_32 0
		.amdhsa_float_round_mode_16_64 0
		.amdhsa_float_denorm_mode_32 3
		.amdhsa_float_denorm_mode_16_64 3
		.amdhsa_dx10_clamp 1
		.amdhsa_ieee_mode 1
		.amdhsa_fp16_overflow 0
		.amdhsa_tg_split 0
		.amdhsa_exception_fp_ieee_invalid_op 0
		.amdhsa_exception_fp_denorm_src 0
		.amdhsa_exception_fp_ieee_div_zero 0
		.amdhsa_exception_fp_ieee_overflow 0
		.amdhsa_exception_fp_ieee_underflow 0
		.amdhsa_exception_fp_ieee_inexact 0
		.amdhsa_exception_int_div_zero 0
	.end_amdhsa_kernel
	.section	.text._ZN7rocprim17ROCPRIM_400000_NS6detail17trampoline_kernelINS0_14default_configENS1_25partition_config_selectorILNS1_17partition_subalgoE0EyNS0_10empty_typeEbEEZZNS1_14partition_implILS5_0ELb0ES3_jN6thrust23THRUST_200600_302600_NS6detail15normal_iteratorINSA_10device_ptrIyEEEEPS6_SG_NS0_5tupleIJNSA_16discard_iteratorINSA_11use_defaultEEESF_EEENSH_IJSG_SG_EEES6_PlJ7is_evenIyEEEE10hipError_tPvRmT3_T4_T5_T6_T7_T9_mT8_P12ihipStream_tbDpT10_ENKUlT_T0_E_clISt17integral_constantIbLb0EES18_IbLb1EEEEDaS14_S15_EUlS14_E_NS1_11comp_targetILNS1_3genE4ELNS1_11target_archE910ELNS1_3gpuE8ELNS1_3repE0EEENS1_30default_config_static_selectorELNS0_4arch9wavefront6targetE1EEEvT1_,"axG",@progbits,_ZN7rocprim17ROCPRIM_400000_NS6detail17trampoline_kernelINS0_14default_configENS1_25partition_config_selectorILNS1_17partition_subalgoE0EyNS0_10empty_typeEbEEZZNS1_14partition_implILS5_0ELb0ES3_jN6thrust23THRUST_200600_302600_NS6detail15normal_iteratorINSA_10device_ptrIyEEEEPS6_SG_NS0_5tupleIJNSA_16discard_iteratorINSA_11use_defaultEEESF_EEENSH_IJSG_SG_EEES6_PlJ7is_evenIyEEEE10hipError_tPvRmT3_T4_T5_T6_T7_T9_mT8_P12ihipStream_tbDpT10_ENKUlT_T0_E_clISt17integral_constantIbLb0EES18_IbLb1EEEEDaS14_S15_EUlS14_E_NS1_11comp_targetILNS1_3genE4ELNS1_11target_archE910ELNS1_3gpuE8ELNS1_3repE0EEENS1_30default_config_static_selectorELNS0_4arch9wavefront6targetE1EEEvT1_,comdat
.Lfunc_end2389:
	.size	_ZN7rocprim17ROCPRIM_400000_NS6detail17trampoline_kernelINS0_14default_configENS1_25partition_config_selectorILNS1_17partition_subalgoE0EyNS0_10empty_typeEbEEZZNS1_14partition_implILS5_0ELb0ES3_jN6thrust23THRUST_200600_302600_NS6detail15normal_iteratorINSA_10device_ptrIyEEEEPS6_SG_NS0_5tupleIJNSA_16discard_iteratorINSA_11use_defaultEEESF_EEENSH_IJSG_SG_EEES6_PlJ7is_evenIyEEEE10hipError_tPvRmT3_T4_T5_T6_T7_T9_mT8_P12ihipStream_tbDpT10_ENKUlT_T0_E_clISt17integral_constantIbLb0EES18_IbLb1EEEEDaS14_S15_EUlS14_E_NS1_11comp_targetILNS1_3genE4ELNS1_11target_archE910ELNS1_3gpuE8ELNS1_3repE0EEENS1_30default_config_static_selectorELNS0_4arch9wavefront6targetE1EEEvT1_, .Lfunc_end2389-_ZN7rocprim17ROCPRIM_400000_NS6detail17trampoline_kernelINS0_14default_configENS1_25partition_config_selectorILNS1_17partition_subalgoE0EyNS0_10empty_typeEbEEZZNS1_14partition_implILS5_0ELb0ES3_jN6thrust23THRUST_200600_302600_NS6detail15normal_iteratorINSA_10device_ptrIyEEEEPS6_SG_NS0_5tupleIJNSA_16discard_iteratorINSA_11use_defaultEEESF_EEENSH_IJSG_SG_EEES6_PlJ7is_evenIyEEEE10hipError_tPvRmT3_T4_T5_T6_T7_T9_mT8_P12ihipStream_tbDpT10_ENKUlT_T0_E_clISt17integral_constantIbLb0EES18_IbLb1EEEEDaS14_S15_EUlS14_E_NS1_11comp_targetILNS1_3genE4ELNS1_11target_archE910ELNS1_3gpuE8ELNS1_3repE0EEENS1_30default_config_static_selectorELNS0_4arch9wavefront6targetE1EEEvT1_
                                        ; -- End function
	.section	.AMDGPU.csdata,"",@progbits
; Kernel info:
; codeLenInByte = 0
; NumSgprs: 6
; NumVgprs: 0
; NumAgprs: 0
; TotalNumVgprs: 0
; ScratchSize: 0
; MemoryBound: 0
; FloatMode: 240
; IeeeMode: 1
; LDSByteSize: 0 bytes/workgroup (compile time only)
; SGPRBlocks: 0
; VGPRBlocks: 0
; NumSGPRsForWavesPerEU: 6
; NumVGPRsForWavesPerEU: 1
; AccumOffset: 4
; Occupancy: 8
; WaveLimiterHint : 0
; COMPUTE_PGM_RSRC2:SCRATCH_EN: 0
; COMPUTE_PGM_RSRC2:USER_SGPR: 2
; COMPUTE_PGM_RSRC2:TRAP_HANDLER: 0
; COMPUTE_PGM_RSRC2:TGID_X_EN: 1
; COMPUTE_PGM_RSRC2:TGID_Y_EN: 0
; COMPUTE_PGM_RSRC2:TGID_Z_EN: 0
; COMPUTE_PGM_RSRC2:TIDIG_COMP_CNT: 0
; COMPUTE_PGM_RSRC3_GFX90A:ACCUM_OFFSET: 0
; COMPUTE_PGM_RSRC3_GFX90A:TG_SPLIT: 0
	.section	.text._ZN7rocprim17ROCPRIM_400000_NS6detail17trampoline_kernelINS0_14default_configENS1_25partition_config_selectorILNS1_17partition_subalgoE0EyNS0_10empty_typeEbEEZZNS1_14partition_implILS5_0ELb0ES3_jN6thrust23THRUST_200600_302600_NS6detail15normal_iteratorINSA_10device_ptrIyEEEEPS6_SG_NS0_5tupleIJNSA_16discard_iteratorINSA_11use_defaultEEESF_EEENSH_IJSG_SG_EEES6_PlJ7is_evenIyEEEE10hipError_tPvRmT3_T4_T5_T6_T7_T9_mT8_P12ihipStream_tbDpT10_ENKUlT_T0_E_clISt17integral_constantIbLb0EES18_IbLb1EEEEDaS14_S15_EUlS14_E_NS1_11comp_targetILNS1_3genE3ELNS1_11target_archE908ELNS1_3gpuE7ELNS1_3repE0EEENS1_30default_config_static_selectorELNS0_4arch9wavefront6targetE1EEEvT1_,"axG",@progbits,_ZN7rocprim17ROCPRIM_400000_NS6detail17trampoline_kernelINS0_14default_configENS1_25partition_config_selectorILNS1_17partition_subalgoE0EyNS0_10empty_typeEbEEZZNS1_14partition_implILS5_0ELb0ES3_jN6thrust23THRUST_200600_302600_NS6detail15normal_iteratorINSA_10device_ptrIyEEEEPS6_SG_NS0_5tupleIJNSA_16discard_iteratorINSA_11use_defaultEEESF_EEENSH_IJSG_SG_EEES6_PlJ7is_evenIyEEEE10hipError_tPvRmT3_T4_T5_T6_T7_T9_mT8_P12ihipStream_tbDpT10_ENKUlT_T0_E_clISt17integral_constantIbLb0EES18_IbLb1EEEEDaS14_S15_EUlS14_E_NS1_11comp_targetILNS1_3genE3ELNS1_11target_archE908ELNS1_3gpuE7ELNS1_3repE0EEENS1_30default_config_static_selectorELNS0_4arch9wavefront6targetE1EEEvT1_,comdat
	.protected	_ZN7rocprim17ROCPRIM_400000_NS6detail17trampoline_kernelINS0_14default_configENS1_25partition_config_selectorILNS1_17partition_subalgoE0EyNS0_10empty_typeEbEEZZNS1_14partition_implILS5_0ELb0ES3_jN6thrust23THRUST_200600_302600_NS6detail15normal_iteratorINSA_10device_ptrIyEEEEPS6_SG_NS0_5tupleIJNSA_16discard_iteratorINSA_11use_defaultEEESF_EEENSH_IJSG_SG_EEES6_PlJ7is_evenIyEEEE10hipError_tPvRmT3_T4_T5_T6_T7_T9_mT8_P12ihipStream_tbDpT10_ENKUlT_T0_E_clISt17integral_constantIbLb0EES18_IbLb1EEEEDaS14_S15_EUlS14_E_NS1_11comp_targetILNS1_3genE3ELNS1_11target_archE908ELNS1_3gpuE7ELNS1_3repE0EEENS1_30default_config_static_selectorELNS0_4arch9wavefront6targetE1EEEvT1_ ; -- Begin function _ZN7rocprim17ROCPRIM_400000_NS6detail17trampoline_kernelINS0_14default_configENS1_25partition_config_selectorILNS1_17partition_subalgoE0EyNS0_10empty_typeEbEEZZNS1_14partition_implILS5_0ELb0ES3_jN6thrust23THRUST_200600_302600_NS6detail15normal_iteratorINSA_10device_ptrIyEEEEPS6_SG_NS0_5tupleIJNSA_16discard_iteratorINSA_11use_defaultEEESF_EEENSH_IJSG_SG_EEES6_PlJ7is_evenIyEEEE10hipError_tPvRmT3_T4_T5_T6_T7_T9_mT8_P12ihipStream_tbDpT10_ENKUlT_T0_E_clISt17integral_constantIbLb0EES18_IbLb1EEEEDaS14_S15_EUlS14_E_NS1_11comp_targetILNS1_3genE3ELNS1_11target_archE908ELNS1_3gpuE7ELNS1_3repE0EEENS1_30default_config_static_selectorELNS0_4arch9wavefront6targetE1EEEvT1_
	.globl	_ZN7rocprim17ROCPRIM_400000_NS6detail17trampoline_kernelINS0_14default_configENS1_25partition_config_selectorILNS1_17partition_subalgoE0EyNS0_10empty_typeEbEEZZNS1_14partition_implILS5_0ELb0ES3_jN6thrust23THRUST_200600_302600_NS6detail15normal_iteratorINSA_10device_ptrIyEEEEPS6_SG_NS0_5tupleIJNSA_16discard_iteratorINSA_11use_defaultEEESF_EEENSH_IJSG_SG_EEES6_PlJ7is_evenIyEEEE10hipError_tPvRmT3_T4_T5_T6_T7_T9_mT8_P12ihipStream_tbDpT10_ENKUlT_T0_E_clISt17integral_constantIbLb0EES18_IbLb1EEEEDaS14_S15_EUlS14_E_NS1_11comp_targetILNS1_3genE3ELNS1_11target_archE908ELNS1_3gpuE7ELNS1_3repE0EEENS1_30default_config_static_selectorELNS0_4arch9wavefront6targetE1EEEvT1_
	.p2align	8
	.type	_ZN7rocprim17ROCPRIM_400000_NS6detail17trampoline_kernelINS0_14default_configENS1_25partition_config_selectorILNS1_17partition_subalgoE0EyNS0_10empty_typeEbEEZZNS1_14partition_implILS5_0ELb0ES3_jN6thrust23THRUST_200600_302600_NS6detail15normal_iteratorINSA_10device_ptrIyEEEEPS6_SG_NS0_5tupleIJNSA_16discard_iteratorINSA_11use_defaultEEESF_EEENSH_IJSG_SG_EEES6_PlJ7is_evenIyEEEE10hipError_tPvRmT3_T4_T5_T6_T7_T9_mT8_P12ihipStream_tbDpT10_ENKUlT_T0_E_clISt17integral_constantIbLb0EES18_IbLb1EEEEDaS14_S15_EUlS14_E_NS1_11comp_targetILNS1_3genE3ELNS1_11target_archE908ELNS1_3gpuE7ELNS1_3repE0EEENS1_30default_config_static_selectorELNS0_4arch9wavefront6targetE1EEEvT1_,@function
_ZN7rocprim17ROCPRIM_400000_NS6detail17trampoline_kernelINS0_14default_configENS1_25partition_config_selectorILNS1_17partition_subalgoE0EyNS0_10empty_typeEbEEZZNS1_14partition_implILS5_0ELb0ES3_jN6thrust23THRUST_200600_302600_NS6detail15normal_iteratorINSA_10device_ptrIyEEEEPS6_SG_NS0_5tupleIJNSA_16discard_iteratorINSA_11use_defaultEEESF_EEENSH_IJSG_SG_EEES6_PlJ7is_evenIyEEEE10hipError_tPvRmT3_T4_T5_T6_T7_T9_mT8_P12ihipStream_tbDpT10_ENKUlT_T0_E_clISt17integral_constantIbLb0EES18_IbLb1EEEEDaS14_S15_EUlS14_E_NS1_11comp_targetILNS1_3genE3ELNS1_11target_archE908ELNS1_3gpuE7ELNS1_3repE0EEENS1_30default_config_static_selectorELNS0_4arch9wavefront6targetE1EEEvT1_: ; @_ZN7rocprim17ROCPRIM_400000_NS6detail17trampoline_kernelINS0_14default_configENS1_25partition_config_selectorILNS1_17partition_subalgoE0EyNS0_10empty_typeEbEEZZNS1_14partition_implILS5_0ELb0ES3_jN6thrust23THRUST_200600_302600_NS6detail15normal_iteratorINSA_10device_ptrIyEEEEPS6_SG_NS0_5tupleIJNSA_16discard_iteratorINSA_11use_defaultEEESF_EEENSH_IJSG_SG_EEES6_PlJ7is_evenIyEEEE10hipError_tPvRmT3_T4_T5_T6_T7_T9_mT8_P12ihipStream_tbDpT10_ENKUlT_T0_E_clISt17integral_constantIbLb0EES18_IbLb1EEEEDaS14_S15_EUlS14_E_NS1_11comp_targetILNS1_3genE3ELNS1_11target_archE908ELNS1_3gpuE7ELNS1_3repE0EEENS1_30default_config_static_selectorELNS0_4arch9wavefront6targetE1EEEvT1_
; %bb.0:
	.section	.rodata,"a",@progbits
	.p2align	6, 0x0
	.amdhsa_kernel _ZN7rocprim17ROCPRIM_400000_NS6detail17trampoline_kernelINS0_14default_configENS1_25partition_config_selectorILNS1_17partition_subalgoE0EyNS0_10empty_typeEbEEZZNS1_14partition_implILS5_0ELb0ES3_jN6thrust23THRUST_200600_302600_NS6detail15normal_iteratorINSA_10device_ptrIyEEEEPS6_SG_NS0_5tupleIJNSA_16discard_iteratorINSA_11use_defaultEEESF_EEENSH_IJSG_SG_EEES6_PlJ7is_evenIyEEEE10hipError_tPvRmT3_T4_T5_T6_T7_T9_mT8_P12ihipStream_tbDpT10_ENKUlT_T0_E_clISt17integral_constantIbLb0EES18_IbLb1EEEEDaS14_S15_EUlS14_E_NS1_11comp_targetILNS1_3genE3ELNS1_11target_archE908ELNS1_3gpuE7ELNS1_3repE0EEENS1_30default_config_static_selectorELNS0_4arch9wavefront6targetE1EEEvT1_
		.amdhsa_group_segment_fixed_size 0
		.amdhsa_private_segment_fixed_size 0
		.amdhsa_kernarg_size 144
		.amdhsa_user_sgpr_count 2
		.amdhsa_user_sgpr_dispatch_ptr 0
		.amdhsa_user_sgpr_queue_ptr 0
		.amdhsa_user_sgpr_kernarg_segment_ptr 1
		.amdhsa_user_sgpr_dispatch_id 0
		.amdhsa_user_sgpr_kernarg_preload_length 0
		.amdhsa_user_sgpr_kernarg_preload_offset 0
		.amdhsa_user_sgpr_private_segment_size 0
		.amdhsa_uses_dynamic_stack 0
		.amdhsa_enable_private_segment 0
		.amdhsa_system_sgpr_workgroup_id_x 1
		.amdhsa_system_sgpr_workgroup_id_y 0
		.amdhsa_system_sgpr_workgroup_id_z 0
		.amdhsa_system_sgpr_workgroup_info 0
		.amdhsa_system_vgpr_workitem_id 0
		.amdhsa_next_free_vgpr 1
		.amdhsa_next_free_sgpr 0
		.amdhsa_accum_offset 4
		.amdhsa_reserve_vcc 0
		.amdhsa_float_round_mode_32 0
		.amdhsa_float_round_mode_16_64 0
		.amdhsa_float_denorm_mode_32 3
		.amdhsa_float_denorm_mode_16_64 3
		.amdhsa_dx10_clamp 1
		.amdhsa_ieee_mode 1
		.amdhsa_fp16_overflow 0
		.amdhsa_tg_split 0
		.amdhsa_exception_fp_ieee_invalid_op 0
		.amdhsa_exception_fp_denorm_src 0
		.amdhsa_exception_fp_ieee_div_zero 0
		.amdhsa_exception_fp_ieee_overflow 0
		.amdhsa_exception_fp_ieee_underflow 0
		.amdhsa_exception_fp_ieee_inexact 0
		.amdhsa_exception_int_div_zero 0
	.end_amdhsa_kernel
	.section	.text._ZN7rocprim17ROCPRIM_400000_NS6detail17trampoline_kernelINS0_14default_configENS1_25partition_config_selectorILNS1_17partition_subalgoE0EyNS0_10empty_typeEbEEZZNS1_14partition_implILS5_0ELb0ES3_jN6thrust23THRUST_200600_302600_NS6detail15normal_iteratorINSA_10device_ptrIyEEEEPS6_SG_NS0_5tupleIJNSA_16discard_iteratorINSA_11use_defaultEEESF_EEENSH_IJSG_SG_EEES6_PlJ7is_evenIyEEEE10hipError_tPvRmT3_T4_T5_T6_T7_T9_mT8_P12ihipStream_tbDpT10_ENKUlT_T0_E_clISt17integral_constantIbLb0EES18_IbLb1EEEEDaS14_S15_EUlS14_E_NS1_11comp_targetILNS1_3genE3ELNS1_11target_archE908ELNS1_3gpuE7ELNS1_3repE0EEENS1_30default_config_static_selectorELNS0_4arch9wavefront6targetE1EEEvT1_,"axG",@progbits,_ZN7rocprim17ROCPRIM_400000_NS6detail17trampoline_kernelINS0_14default_configENS1_25partition_config_selectorILNS1_17partition_subalgoE0EyNS0_10empty_typeEbEEZZNS1_14partition_implILS5_0ELb0ES3_jN6thrust23THRUST_200600_302600_NS6detail15normal_iteratorINSA_10device_ptrIyEEEEPS6_SG_NS0_5tupleIJNSA_16discard_iteratorINSA_11use_defaultEEESF_EEENSH_IJSG_SG_EEES6_PlJ7is_evenIyEEEE10hipError_tPvRmT3_T4_T5_T6_T7_T9_mT8_P12ihipStream_tbDpT10_ENKUlT_T0_E_clISt17integral_constantIbLb0EES18_IbLb1EEEEDaS14_S15_EUlS14_E_NS1_11comp_targetILNS1_3genE3ELNS1_11target_archE908ELNS1_3gpuE7ELNS1_3repE0EEENS1_30default_config_static_selectorELNS0_4arch9wavefront6targetE1EEEvT1_,comdat
.Lfunc_end2390:
	.size	_ZN7rocprim17ROCPRIM_400000_NS6detail17trampoline_kernelINS0_14default_configENS1_25partition_config_selectorILNS1_17partition_subalgoE0EyNS0_10empty_typeEbEEZZNS1_14partition_implILS5_0ELb0ES3_jN6thrust23THRUST_200600_302600_NS6detail15normal_iteratorINSA_10device_ptrIyEEEEPS6_SG_NS0_5tupleIJNSA_16discard_iteratorINSA_11use_defaultEEESF_EEENSH_IJSG_SG_EEES6_PlJ7is_evenIyEEEE10hipError_tPvRmT3_T4_T5_T6_T7_T9_mT8_P12ihipStream_tbDpT10_ENKUlT_T0_E_clISt17integral_constantIbLb0EES18_IbLb1EEEEDaS14_S15_EUlS14_E_NS1_11comp_targetILNS1_3genE3ELNS1_11target_archE908ELNS1_3gpuE7ELNS1_3repE0EEENS1_30default_config_static_selectorELNS0_4arch9wavefront6targetE1EEEvT1_, .Lfunc_end2390-_ZN7rocprim17ROCPRIM_400000_NS6detail17trampoline_kernelINS0_14default_configENS1_25partition_config_selectorILNS1_17partition_subalgoE0EyNS0_10empty_typeEbEEZZNS1_14partition_implILS5_0ELb0ES3_jN6thrust23THRUST_200600_302600_NS6detail15normal_iteratorINSA_10device_ptrIyEEEEPS6_SG_NS0_5tupleIJNSA_16discard_iteratorINSA_11use_defaultEEESF_EEENSH_IJSG_SG_EEES6_PlJ7is_evenIyEEEE10hipError_tPvRmT3_T4_T5_T6_T7_T9_mT8_P12ihipStream_tbDpT10_ENKUlT_T0_E_clISt17integral_constantIbLb0EES18_IbLb1EEEEDaS14_S15_EUlS14_E_NS1_11comp_targetILNS1_3genE3ELNS1_11target_archE908ELNS1_3gpuE7ELNS1_3repE0EEENS1_30default_config_static_selectorELNS0_4arch9wavefront6targetE1EEEvT1_
                                        ; -- End function
	.section	.AMDGPU.csdata,"",@progbits
; Kernel info:
; codeLenInByte = 0
; NumSgprs: 6
; NumVgprs: 0
; NumAgprs: 0
; TotalNumVgprs: 0
; ScratchSize: 0
; MemoryBound: 0
; FloatMode: 240
; IeeeMode: 1
; LDSByteSize: 0 bytes/workgroup (compile time only)
; SGPRBlocks: 0
; VGPRBlocks: 0
; NumSGPRsForWavesPerEU: 6
; NumVGPRsForWavesPerEU: 1
; AccumOffset: 4
; Occupancy: 8
; WaveLimiterHint : 0
; COMPUTE_PGM_RSRC2:SCRATCH_EN: 0
; COMPUTE_PGM_RSRC2:USER_SGPR: 2
; COMPUTE_PGM_RSRC2:TRAP_HANDLER: 0
; COMPUTE_PGM_RSRC2:TGID_X_EN: 1
; COMPUTE_PGM_RSRC2:TGID_Y_EN: 0
; COMPUTE_PGM_RSRC2:TGID_Z_EN: 0
; COMPUTE_PGM_RSRC2:TIDIG_COMP_CNT: 0
; COMPUTE_PGM_RSRC3_GFX90A:ACCUM_OFFSET: 0
; COMPUTE_PGM_RSRC3_GFX90A:TG_SPLIT: 0
	.section	.text._ZN7rocprim17ROCPRIM_400000_NS6detail17trampoline_kernelINS0_14default_configENS1_25partition_config_selectorILNS1_17partition_subalgoE0EyNS0_10empty_typeEbEEZZNS1_14partition_implILS5_0ELb0ES3_jN6thrust23THRUST_200600_302600_NS6detail15normal_iteratorINSA_10device_ptrIyEEEEPS6_SG_NS0_5tupleIJNSA_16discard_iteratorINSA_11use_defaultEEESF_EEENSH_IJSG_SG_EEES6_PlJ7is_evenIyEEEE10hipError_tPvRmT3_T4_T5_T6_T7_T9_mT8_P12ihipStream_tbDpT10_ENKUlT_T0_E_clISt17integral_constantIbLb0EES18_IbLb1EEEEDaS14_S15_EUlS14_E_NS1_11comp_targetILNS1_3genE2ELNS1_11target_archE906ELNS1_3gpuE6ELNS1_3repE0EEENS1_30default_config_static_selectorELNS0_4arch9wavefront6targetE1EEEvT1_,"axG",@progbits,_ZN7rocprim17ROCPRIM_400000_NS6detail17trampoline_kernelINS0_14default_configENS1_25partition_config_selectorILNS1_17partition_subalgoE0EyNS0_10empty_typeEbEEZZNS1_14partition_implILS5_0ELb0ES3_jN6thrust23THRUST_200600_302600_NS6detail15normal_iteratorINSA_10device_ptrIyEEEEPS6_SG_NS0_5tupleIJNSA_16discard_iteratorINSA_11use_defaultEEESF_EEENSH_IJSG_SG_EEES6_PlJ7is_evenIyEEEE10hipError_tPvRmT3_T4_T5_T6_T7_T9_mT8_P12ihipStream_tbDpT10_ENKUlT_T0_E_clISt17integral_constantIbLb0EES18_IbLb1EEEEDaS14_S15_EUlS14_E_NS1_11comp_targetILNS1_3genE2ELNS1_11target_archE906ELNS1_3gpuE6ELNS1_3repE0EEENS1_30default_config_static_selectorELNS0_4arch9wavefront6targetE1EEEvT1_,comdat
	.protected	_ZN7rocprim17ROCPRIM_400000_NS6detail17trampoline_kernelINS0_14default_configENS1_25partition_config_selectorILNS1_17partition_subalgoE0EyNS0_10empty_typeEbEEZZNS1_14partition_implILS5_0ELb0ES3_jN6thrust23THRUST_200600_302600_NS6detail15normal_iteratorINSA_10device_ptrIyEEEEPS6_SG_NS0_5tupleIJNSA_16discard_iteratorINSA_11use_defaultEEESF_EEENSH_IJSG_SG_EEES6_PlJ7is_evenIyEEEE10hipError_tPvRmT3_T4_T5_T6_T7_T9_mT8_P12ihipStream_tbDpT10_ENKUlT_T0_E_clISt17integral_constantIbLb0EES18_IbLb1EEEEDaS14_S15_EUlS14_E_NS1_11comp_targetILNS1_3genE2ELNS1_11target_archE906ELNS1_3gpuE6ELNS1_3repE0EEENS1_30default_config_static_selectorELNS0_4arch9wavefront6targetE1EEEvT1_ ; -- Begin function _ZN7rocprim17ROCPRIM_400000_NS6detail17trampoline_kernelINS0_14default_configENS1_25partition_config_selectorILNS1_17partition_subalgoE0EyNS0_10empty_typeEbEEZZNS1_14partition_implILS5_0ELb0ES3_jN6thrust23THRUST_200600_302600_NS6detail15normal_iteratorINSA_10device_ptrIyEEEEPS6_SG_NS0_5tupleIJNSA_16discard_iteratorINSA_11use_defaultEEESF_EEENSH_IJSG_SG_EEES6_PlJ7is_evenIyEEEE10hipError_tPvRmT3_T4_T5_T6_T7_T9_mT8_P12ihipStream_tbDpT10_ENKUlT_T0_E_clISt17integral_constantIbLb0EES18_IbLb1EEEEDaS14_S15_EUlS14_E_NS1_11comp_targetILNS1_3genE2ELNS1_11target_archE906ELNS1_3gpuE6ELNS1_3repE0EEENS1_30default_config_static_selectorELNS0_4arch9wavefront6targetE1EEEvT1_
	.globl	_ZN7rocprim17ROCPRIM_400000_NS6detail17trampoline_kernelINS0_14default_configENS1_25partition_config_selectorILNS1_17partition_subalgoE0EyNS0_10empty_typeEbEEZZNS1_14partition_implILS5_0ELb0ES3_jN6thrust23THRUST_200600_302600_NS6detail15normal_iteratorINSA_10device_ptrIyEEEEPS6_SG_NS0_5tupleIJNSA_16discard_iteratorINSA_11use_defaultEEESF_EEENSH_IJSG_SG_EEES6_PlJ7is_evenIyEEEE10hipError_tPvRmT3_T4_T5_T6_T7_T9_mT8_P12ihipStream_tbDpT10_ENKUlT_T0_E_clISt17integral_constantIbLb0EES18_IbLb1EEEEDaS14_S15_EUlS14_E_NS1_11comp_targetILNS1_3genE2ELNS1_11target_archE906ELNS1_3gpuE6ELNS1_3repE0EEENS1_30default_config_static_selectorELNS0_4arch9wavefront6targetE1EEEvT1_
	.p2align	8
	.type	_ZN7rocprim17ROCPRIM_400000_NS6detail17trampoline_kernelINS0_14default_configENS1_25partition_config_selectorILNS1_17partition_subalgoE0EyNS0_10empty_typeEbEEZZNS1_14partition_implILS5_0ELb0ES3_jN6thrust23THRUST_200600_302600_NS6detail15normal_iteratorINSA_10device_ptrIyEEEEPS6_SG_NS0_5tupleIJNSA_16discard_iteratorINSA_11use_defaultEEESF_EEENSH_IJSG_SG_EEES6_PlJ7is_evenIyEEEE10hipError_tPvRmT3_T4_T5_T6_T7_T9_mT8_P12ihipStream_tbDpT10_ENKUlT_T0_E_clISt17integral_constantIbLb0EES18_IbLb1EEEEDaS14_S15_EUlS14_E_NS1_11comp_targetILNS1_3genE2ELNS1_11target_archE906ELNS1_3gpuE6ELNS1_3repE0EEENS1_30default_config_static_selectorELNS0_4arch9wavefront6targetE1EEEvT1_,@function
_ZN7rocprim17ROCPRIM_400000_NS6detail17trampoline_kernelINS0_14default_configENS1_25partition_config_selectorILNS1_17partition_subalgoE0EyNS0_10empty_typeEbEEZZNS1_14partition_implILS5_0ELb0ES3_jN6thrust23THRUST_200600_302600_NS6detail15normal_iteratorINSA_10device_ptrIyEEEEPS6_SG_NS0_5tupleIJNSA_16discard_iteratorINSA_11use_defaultEEESF_EEENSH_IJSG_SG_EEES6_PlJ7is_evenIyEEEE10hipError_tPvRmT3_T4_T5_T6_T7_T9_mT8_P12ihipStream_tbDpT10_ENKUlT_T0_E_clISt17integral_constantIbLb0EES18_IbLb1EEEEDaS14_S15_EUlS14_E_NS1_11comp_targetILNS1_3genE2ELNS1_11target_archE906ELNS1_3gpuE6ELNS1_3repE0EEENS1_30default_config_static_selectorELNS0_4arch9wavefront6targetE1EEEvT1_: ; @_ZN7rocprim17ROCPRIM_400000_NS6detail17trampoline_kernelINS0_14default_configENS1_25partition_config_selectorILNS1_17partition_subalgoE0EyNS0_10empty_typeEbEEZZNS1_14partition_implILS5_0ELb0ES3_jN6thrust23THRUST_200600_302600_NS6detail15normal_iteratorINSA_10device_ptrIyEEEEPS6_SG_NS0_5tupleIJNSA_16discard_iteratorINSA_11use_defaultEEESF_EEENSH_IJSG_SG_EEES6_PlJ7is_evenIyEEEE10hipError_tPvRmT3_T4_T5_T6_T7_T9_mT8_P12ihipStream_tbDpT10_ENKUlT_T0_E_clISt17integral_constantIbLb0EES18_IbLb1EEEEDaS14_S15_EUlS14_E_NS1_11comp_targetILNS1_3genE2ELNS1_11target_archE906ELNS1_3gpuE6ELNS1_3repE0EEENS1_30default_config_static_selectorELNS0_4arch9wavefront6targetE1EEEvT1_
; %bb.0:
	.section	.rodata,"a",@progbits
	.p2align	6, 0x0
	.amdhsa_kernel _ZN7rocprim17ROCPRIM_400000_NS6detail17trampoline_kernelINS0_14default_configENS1_25partition_config_selectorILNS1_17partition_subalgoE0EyNS0_10empty_typeEbEEZZNS1_14partition_implILS5_0ELb0ES3_jN6thrust23THRUST_200600_302600_NS6detail15normal_iteratorINSA_10device_ptrIyEEEEPS6_SG_NS0_5tupleIJNSA_16discard_iteratorINSA_11use_defaultEEESF_EEENSH_IJSG_SG_EEES6_PlJ7is_evenIyEEEE10hipError_tPvRmT3_T4_T5_T6_T7_T9_mT8_P12ihipStream_tbDpT10_ENKUlT_T0_E_clISt17integral_constantIbLb0EES18_IbLb1EEEEDaS14_S15_EUlS14_E_NS1_11comp_targetILNS1_3genE2ELNS1_11target_archE906ELNS1_3gpuE6ELNS1_3repE0EEENS1_30default_config_static_selectorELNS0_4arch9wavefront6targetE1EEEvT1_
		.amdhsa_group_segment_fixed_size 0
		.amdhsa_private_segment_fixed_size 0
		.amdhsa_kernarg_size 144
		.amdhsa_user_sgpr_count 2
		.amdhsa_user_sgpr_dispatch_ptr 0
		.amdhsa_user_sgpr_queue_ptr 0
		.amdhsa_user_sgpr_kernarg_segment_ptr 1
		.amdhsa_user_sgpr_dispatch_id 0
		.amdhsa_user_sgpr_kernarg_preload_length 0
		.amdhsa_user_sgpr_kernarg_preload_offset 0
		.amdhsa_user_sgpr_private_segment_size 0
		.amdhsa_uses_dynamic_stack 0
		.amdhsa_enable_private_segment 0
		.amdhsa_system_sgpr_workgroup_id_x 1
		.amdhsa_system_sgpr_workgroup_id_y 0
		.amdhsa_system_sgpr_workgroup_id_z 0
		.amdhsa_system_sgpr_workgroup_info 0
		.amdhsa_system_vgpr_workitem_id 0
		.amdhsa_next_free_vgpr 1
		.amdhsa_next_free_sgpr 0
		.amdhsa_accum_offset 4
		.amdhsa_reserve_vcc 0
		.amdhsa_float_round_mode_32 0
		.amdhsa_float_round_mode_16_64 0
		.amdhsa_float_denorm_mode_32 3
		.amdhsa_float_denorm_mode_16_64 3
		.amdhsa_dx10_clamp 1
		.amdhsa_ieee_mode 1
		.amdhsa_fp16_overflow 0
		.amdhsa_tg_split 0
		.amdhsa_exception_fp_ieee_invalid_op 0
		.amdhsa_exception_fp_denorm_src 0
		.amdhsa_exception_fp_ieee_div_zero 0
		.amdhsa_exception_fp_ieee_overflow 0
		.amdhsa_exception_fp_ieee_underflow 0
		.amdhsa_exception_fp_ieee_inexact 0
		.amdhsa_exception_int_div_zero 0
	.end_amdhsa_kernel
	.section	.text._ZN7rocprim17ROCPRIM_400000_NS6detail17trampoline_kernelINS0_14default_configENS1_25partition_config_selectorILNS1_17partition_subalgoE0EyNS0_10empty_typeEbEEZZNS1_14partition_implILS5_0ELb0ES3_jN6thrust23THRUST_200600_302600_NS6detail15normal_iteratorINSA_10device_ptrIyEEEEPS6_SG_NS0_5tupleIJNSA_16discard_iteratorINSA_11use_defaultEEESF_EEENSH_IJSG_SG_EEES6_PlJ7is_evenIyEEEE10hipError_tPvRmT3_T4_T5_T6_T7_T9_mT8_P12ihipStream_tbDpT10_ENKUlT_T0_E_clISt17integral_constantIbLb0EES18_IbLb1EEEEDaS14_S15_EUlS14_E_NS1_11comp_targetILNS1_3genE2ELNS1_11target_archE906ELNS1_3gpuE6ELNS1_3repE0EEENS1_30default_config_static_selectorELNS0_4arch9wavefront6targetE1EEEvT1_,"axG",@progbits,_ZN7rocprim17ROCPRIM_400000_NS6detail17trampoline_kernelINS0_14default_configENS1_25partition_config_selectorILNS1_17partition_subalgoE0EyNS0_10empty_typeEbEEZZNS1_14partition_implILS5_0ELb0ES3_jN6thrust23THRUST_200600_302600_NS6detail15normal_iteratorINSA_10device_ptrIyEEEEPS6_SG_NS0_5tupleIJNSA_16discard_iteratorINSA_11use_defaultEEESF_EEENSH_IJSG_SG_EEES6_PlJ7is_evenIyEEEE10hipError_tPvRmT3_T4_T5_T6_T7_T9_mT8_P12ihipStream_tbDpT10_ENKUlT_T0_E_clISt17integral_constantIbLb0EES18_IbLb1EEEEDaS14_S15_EUlS14_E_NS1_11comp_targetILNS1_3genE2ELNS1_11target_archE906ELNS1_3gpuE6ELNS1_3repE0EEENS1_30default_config_static_selectorELNS0_4arch9wavefront6targetE1EEEvT1_,comdat
.Lfunc_end2391:
	.size	_ZN7rocprim17ROCPRIM_400000_NS6detail17trampoline_kernelINS0_14default_configENS1_25partition_config_selectorILNS1_17partition_subalgoE0EyNS0_10empty_typeEbEEZZNS1_14partition_implILS5_0ELb0ES3_jN6thrust23THRUST_200600_302600_NS6detail15normal_iteratorINSA_10device_ptrIyEEEEPS6_SG_NS0_5tupleIJNSA_16discard_iteratorINSA_11use_defaultEEESF_EEENSH_IJSG_SG_EEES6_PlJ7is_evenIyEEEE10hipError_tPvRmT3_T4_T5_T6_T7_T9_mT8_P12ihipStream_tbDpT10_ENKUlT_T0_E_clISt17integral_constantIbLb0EES18_IbLb1EEEEDaS14_S15_EUlS14_E_NS1_11comp_targetILNS1_3genE2ELNS1_11target_archE906ELNS1_3gpuE6ELNS1_3repE0EEENS1_30default_config_static_selectorELNS0_4arch9wavefront6targetE1EEEvT1_, .Lfunc_end2391-_ZN7rocprim17ROCPRIM_400000_NS6detail17trampoline_kernelINS0_14default_configENS1_25partition_config_selectorILNS1_17partition_subalgoE0EyNS0_10empty_typeEbEEZZNS1_14partition_implILS5_0ELb0ES3_jN6thrust23THRUST_200600_302600_NS6detail15normal_iteratorINSA_10device_ptrIyEEEEPS6_SG_NS0_5tupleIJNSA_16discard_iteratorINSA_11use_defaultEEESF_EEENSH_IJSG_SG_EEES6_PlJ7is_evenIyEEEE10hipError_tPvRmT3_T4_T5_T6_T7_T9_mT8_P12ihipStream_tbDpT10_ENKUlT_T0_E_clISt17integral_constantIbLb0EES18_IbLb1EEEEDaS14_S15_EUlS14_E_NS1_11comp_targetILNS1_3genE2ELNS1_11target_archE906ELNS1_3gpuE6ELNS1_3repE0EEENS1_30default_config_static_selectorELNS0_4arch9wavefront6targetE1EEEvT1_
                                        ; -- End function
	.section	.AMDGPU.csdata,"",@progbits
; Kernel info:
; codeLenInByte = 0
; NumSgprs: 6
; NumVgprs: 0
; NumAgprs: 0
; TotalNumVgprs: 0
; ScratchSize: 0
; MemoryBound: 0
; FloatMode: 240
; IeeeMode: 1
; LDSByteSize: 0 bytes/workgroup (compile time only)
; SGPRBlocks: 0
; VGPRBlocks: 0
; NumSGPRsForWavesPerEU: 6
; NumVGPRsForWavesPerEU: 1
; AccumOffset: 4
; Occupancy: 8
; WaveLimiterHint : 0
; COMPUTE_PGM_RSRC2:SCRATCH_EN: 0
; COMPUTE_PGM_RSRC2:USER_SGPR: 2
; COMPUTE_PGM_RSRC2:TRAP_HANDLER: 0
; COMPUTE_PGM_RSRC2:TGID_X_EN: 1
; COMPUTE_PGM_RSRC2:TGID_Y_EN: 0
; COMPUTE_PGM_RSRC2:TGID_Z_EN: 0
; COMPUTE_PGM_RSRC2:TIDIG_COMP_CNT: 0
; COMPUTE_PGM_RSRC3_GFX90A:ACCUM_OFFSET: 0
; COMPUTE_PGM_RSRC3_GFX90A:TG_SPLIT: 0
	.section	.text._ZN7rocprim17ROCPRIM_400000_NS6detail17trampoline_kernelINS0_14default_configENS1_25partition_config_selectorILNS1_17partition_subalgoE0EyNS0_10empty_typeEbEEZZNS1_14partition_implILS5_0ELb0ES3_jN6thrust23THRUST_200600_302600_NS6detail15normal_iteratorINSA_10device_ptrIyEEEEPS6_SG_NS0_5tupleIJNSA_16discard_iteratorINSA_11use_defaultEEESF_EEENSH_IJSG_SG_EEES6_PlJ7is_evenIyEEEE10hipError_tPvRmT3_T4_T5_T6_T7_T9_mT8_P12ihipStream_tbDpT10_ENKUlT_T0_E_clISt17integral_constantIbLb0EES18_IbLb1EEEEDaS14_S15_EUlS14_E_NS1_11comp_targetILNS1_3genE10ELNS1_11target_archE1200ELNS1_3gpuE4ELNS1_3repE0EEENS1_30default_config_static_selectorELNS0_4arch9wavefront6targetE1EEEvT1_,"axG",@progbits,_ZN7rocprim17ROCPRIM_400000_NS6detail17trampoline_kernelINS0_14default_configENS1_25partition_config_selectorILNS1_17partition_subalgoE0EyNS0_10empty_typeEbEEZZNS1_14partition_implILS5_0ELb0ES3_jN6thrust23THRUST_200600_302600_NS6detail15normal_iteratorINSA_10device_ptrIyEEEEPS6_SG_NS0_5tupleIJNSA_16discard_iteratorINSA_11use_defaultEEESF_EEENSH_IJSG_SG_EEES6_PlJ7is_evenIyEEEE10hipError_tPvRmT3_T4_T5_T6_T7_T9_mT8_P12ihipStream_tbDpT10_ENKUlT_T0_E_clISt17integral_constantIbLb0EES18_IbLb1EEEEDaS14_S15_EUlS14_E_NS1_11comp_targetILNS1_3genE10ELNS1_11target_archE1200ELNS1_3gpuE4ELNS1_3repE0EEENS1_30default_config_static_selectorELNS0_4arch9wavefront6targetE1EEEvT1_,comdat
	.protected	_ZN7rocprim17ROCPRIM_400000_NS6detail17trampoline_kernelINS0_14default_configENS1_25partition_config_selectorILNS1_17partition_subalgoE0EyNS0_10empty_typeEbEEZZNS1_14partition_implILS5_0ELb0ES3_jN6thrust23THRUST_200600_302600_NS6detail15normal_iteratorINSA_10device_ptrIyEEEEPS6_SG_NS0_5tupleIJNSA_16discard_iteratorINSA_11use_defaultEEESF_EEENSH_IJSG_SG_EEES6_PlJ7is_evenIyEEEE10hipError_tPvRmT3_T4_T5_T6_T7_T9_mT8_P12ihipStream_tbDpT10_ENKUlT_T0_E_clISt17integral_constantIbLb0EES18_IbLb1EEEEDaS14_S15_EUlS14_E_NS1_11comp_targetILNS1_3genE10ELNS1_11target_archE1200ELNS1_3gpuE4ELNS1_3repE0EEENS1_30default_config_static_selectorELNS0_4arch9wavefront6targetE1EEEvT1_ ; -- Begin function _ZN7rocprim17ROCPRIM_400000_NS6detail17trampoline_kernelINS0_14default_configENS1_25partition_config_selectorILNS1_17partition_subalgoE0EyNS0_10empty_typeEbEEZZNS1_14partition_implILS5_0ELb0ES3_jN6thrust23THRUST_200600_302600_NS6detail15normal_iteratorINSA_10device_ptrIyEEEEPS6_SG_NS0_5tupleIJNSA_16discard_iteratorINSA_11use_defaultEEESF_EEENSH_IJSG_SG_EEES6_PlJ7is_evenIyEEEE10hipError_tPvRmT3_T4_T5_T6_T7_T9_mT8_P12ihipStream_tbDpT10_ENKUlT_T0_E_clISt17integral_constantIbLb0EES18_IbLb1EEEEDaS14_S15_EUlS14_E_NS1_11comp_targetILNS1_3genE10ELNS1_11target_archE1200ELNS1_3gpuE4ELNS1_3repE0EEENS1_30default_config_static_selectorELNS0_4arch9wavefront6targetE1EEEvT1_
	.globl	_ZN7rocprim17ROCPRIM_400000_NS6detail17trampoline_kernelINS0_14default_configENS1_25partition_config_selectorILNS1_17partition_subalgoE0EyNS0_10empty_typeEbEEZZNS1_14partition_implILS5_0ELb0ES3_jN6thrust23THRUST_200600_302600_NS6detail15normal_iteratorINSA_10device_ptrIyEEEEPS6_SG_NS0_5tupleIJNSA_16discard_iteratorINSA_11use_defaultEEESF_EEENSH_IJSG_SG_EEES6_PlJ7is_evenIyEEEE10hipError_tPvRmT3_T4_T5_T6_T7_T9_mT8_P12ihipStream_tbDpT10_ENKUlT_T0_E_clISt17integral_constantIbLb0EES18_IbLb1EEEEDaS14_S15_EUlS14_E_NS1_11comp_targetILNS1_3genE10ELNS1_11target_archE1200ELNS1_3gpuE4ELNS1_3repE0EEENS1_30default_config_static_selectorELNS0_4arch9wavefront6targetE1EEEvT1_
	.p2align	8
	.type	_ZN7rocprim17ROCPRIM_400000_NS6detail17trampoline_kernelINS0_14default_configENS1_25partition_config_selectorILNS1_17partition_subalgoE0EyNS0_10empty_typeEbEEZZNS1_14partition_implILS5_0ELb0ES3_jN6thrust23THRUST_200600_302600_NS6detail15normal_iteratorINSA_10device_ptrIyEEEEPS6_SG_NS0_5tupleIJNSA_16discard_iteratorINSA_11use_defaultEEESF_EEENSH_IJSG_SG_EEES6_PlJ7is_evenIyEEEE10hipError_tPvRmT3_T4_T5_T6_T7_T9_mT8_P12ihipStream_tbDpT10_ENKUlT_T0_E_clISt17integral_constantIbLb0EES18_IbLb1EEEEDaS14_S15_EUlS14_E_NS1_11comp_targetILNS1_3genE10ELNS1_11target_archE1200ELNS1_3gpuE4ELNS1_3repE0EEENS1_30default_config_static_selectorELNS0_4arch9wavefront6targetE1EEEvT1_,@function
_ZN7rocprim17ROCPRIM_400000_NS6detail17trampoline_kernelINS0_14default_configENS1_25partition_config_selectorILNS1_17partition_subalgoE0EyNS0_10empty_typeEbEEZZNS1_14partition_implILS5_0ELb0ES3_jN6thrust23THRUST_200600_302600_NS6detail15normal_iteratorINSA_10device_ptrIyEEEEPS6_SG_NS0_5tupleIJNSA_16discard_iteratorINSA_11use_defaultEEESF_EEENSH_IJSG_SG_EEES6_PlJ7is_evenIyEEEE10hipError_tPvRmT3_T4_T5_T6_T7_T9_mT8_P12ihipStream_tbDpT10_ENKUlT_T0_E_clISt17integral_constantIbLb0EES18_IbLb1EEEEDaS14_S15_EUlS14_E_NS1_11comp_targetILNS1_3genE10ELNS1_11target_archE1200ELNS1_3gpuE4ELNS1_3repE0EEENS1_30default_config_static_selectorELNS0_4arch9wavefront6targetE1EEEvT1_: ; @_ZN7rocprim17ROCPRIM_400000_NS6detail17trampoline_kernelINS0_14default_configENS1_25partition_config_selectorILNS1_17partition_subalgoE0EyNS0_10empty_typeEbEEZZNS1_14partition_implILS5_0ELb0ES3_jN6thrust23THRUST_200600_302600_NS6detail15normal_iteratorINSA_10device_ptrIyEEEEPS6_SG_NS0_5tupleIJNSA_16discard_iteratorINSA_11use_defaultEEESF_EEENSH_IJSG_SG_EEES6_PlJ7is_evenIyEEEE10hipError_tPvRmT3_T4_T5_T6_T7_T9_mT8_P12ihipStream_tbDpT10_ENKUlT_T0_E_clISt17integral_constantIbLb0EES18_IbLb1EEEEDaS14_S15_EUlS14_E_NS1_11comp_targetILNS1_3genE10ELNS1_11target_archE1200ELNS1_3gpuE4ELNS1_3repE0EEENS1_30default_config_static_selectorELNS0_4arch9wavefront6targetE1EEEvT1_
; %bb.0:
	.section	.rodata,"a",@progbits
	.p2align	6, 0x0
	.amdhsa_kernel _ZN7rocprim17ROCPRIM_400000_NS6detail17trampoline_kernelINS0_14default_configENS1_25partition_config_selectorILNS1_17partition_subalgoE0EyNS0_10empty_typeEbEEZZNS1_14partition_implILS5_0ELb0ES3_jN6thrust23THRUST_200600_302600_NS6detail15normal_iteratorINSA_10device_ptrIyEEEEPS6_SG_NS0_5tupleIJNSA_16discard_iteratorINSA_11use_defaultEEESF_EEENSH_IJSG_SG_EEES6_PlJ7is_evenIyEEEE10hipError_tPvRmT3_T4_T5_T6_T7_T9_mT8_P12ihipStream_tbDpT10_ENKUlT_T0_E_clISt17integral_constantIbLb0EES18_IbLb1EEEEDaS14_S15_EUlS14_E_NS1_11comp_targetILNS1_3genE10ELNS1_11target_archE1200ELNS1_3gpuE4ELNS1_3repE0EEENS1_30default_config_static_selectorELNS0_4arch9wavefront6targetE1EEEvT1_
		.amdhsa_group_segment_fixed_size 0
		.amdhsa_private_segment_fixed_size 0
		.amdhsa_kernarg_size 144
		.amdhsa_user_sgpr_count 2
		.amdhsa_user_sgpr_dispatch_ptr 0
		.amdhsa_user_sgpr_queue_ptr 0
		.amdhsa_user_sgpr_kernarg_segment_ptr 1
		.amdhsa_user_sgpr_dispatch_id 0
		.amdhsa_user_sgpr_kernarg_preload_length 0
		.amdhsa_user_sgpr_kernarg_preload_offset 0
		.amdhsa_user_sgpr_private_segment_size 0
		.amdhsa_uses_dynamic_stack 0
		.amdhsa_enable_private_segment 0
		.amdhsa_system_sgpr_workgroup_id_x 1
		.amdhsa_system_sgpr_workgroup_id_y 0
		.amdhsa_system_sgpr_workgroup_id_z 0
		.amdhsa_system_sgpr_workgroup_info 0
		.amdhsa_system_vgpr_workitem_id 0
		.amdhsa_next_free_vgpr 1
		.amdhsa_next_free_sgpr 0
		.amdhsa_accum_offset 4
		.amdhsa_reserve_vcc 0
		.amdhsa_float_round_mode_32 0
		.amdhsa_float_round_mode_16_64 0
		.amdhsa_float_denorm_mode_32 3
		.amdhsa_float_denorm_mode_16_64 3
		.amdhsa_dx10_clamp 1
		.amdhsa_ieee_mode 1
		.amdhsa_fp16_overflow 0
		.amdhsa_tg_split 0
		.amdhsa_exception_fp_ieee_invalid_op 0
		.amdhsa_exception_fp_denorm_src 0
		.amdhsa_exception_fp_ieee_div_zero 0
		.amdhsa_exception_fp_ieee_overflow 0
		.amdhsa_exception_fp_ieee_underflow 0
		.amdhsa_exception_fp_ieee_inexact 0
		.amdhsa_exception_int_div_zero 0
	.end_amdhsa_kernel
	.section	.text._ZN7rocprim17ROCPRIM_400000_NS6detail17trampoline_kernelINS0_14default_configENS1_25partition_config_selectorILNS1_17partition_subalgoE0EyNS0_10empty_typeEbEEZZNS1_14partition_implILS5_0ELb0ES3_jN6thrust23THRUST_200600_302600_NS6detail15normal_iteratorINSA_10device_ptrIyEEEEPS6_SG_NS0_5tupleIJNSA_16discard_iteratorINSA_11use_defaultEEESF_EEENSH_IJSG_SG_EEES6_PlJ7is_evenIyEEEE10hipError_tPvRmT3_T4_T5_T6_T7_T9_mT8_P12ihipStream_tbDpT10_ENKUlT_T0_E_clISt17integral_constantIbLb0EES18_IbLb1EEEEDaS14_S15_EUlS14_E_NS1_11comp_targetILNS1_3genE10ELNS1_11target_archE1200ELNS1_3gpuE4ELNS1_3repE0EEENS1_30default_config_static_selectorELNS0_4arch9wavefront6targetE1EEEvT1_,"axG",@progbits,_ZN7rocprim17ROCPRIM_400000_NS6detail17trampoline_kernelINS0_14default_configENS1_25partition_config_selectorILNS1_17partition_subalgoE0EyNS0_10empty_typeEbEEZZNS1_14partition_implILS5_0ELb0ES3_jN6thrust23THRUST_200600_302600_NS6detail15normal_iteratorINSA_10device_ptrIyEEEEPS6_SG_NS0_5tupleIJNSA_16discard_iteratorINSA_11use_defaultEEESF_EEENSH_IJSG_SG_EEES6_PlJ7is_evenIyEEEE10hipError_tPvRmT3_T4_T5_T6_T7_T9_mT8_P12ihipStream_tbDpT10_ENKUlT_T0_E_clISt17integral_constantIbLb0EES18_IbLb1EEEEDaS14_S15_EUlS14_E_NS1_11comp_targetILNS1_3genE10ELNS1_11target_archE1200ELNS1_3gpuE4ELNS1_3repE0EEENS1_30default_config_static_selectorELNS0_4arch9wavefront6targetE1EEEvT1_,comdat
.Lfunc_end2392:
	.size	_ZN7rocprim17ROCPRIM_400000_NS6detail17trampoline_kernelINS0_14default_configENS1_25partition_config_selectorILNS1_17partition_subalgoE0EyNS0_10empty_typeEbEEZZNS1_14partition_implILS5_0ELb0ES3_jN6thrust23THRUST_200600_302600_NS6detail15normal_iteratorINSA_10device_ptrIyEEEEPS6_SG_NS0_5tupleIJNSA_16discard_iteratorINSA_11use_defaultEEESF_EEENSH_IJSG_SG_EEES6_PlJ7is_evenIyEEEE10hipError_tPvRmT3_T4_T5_T6_T7_T9_mT8_P12ihipStream_tbDpT10_ENKUlT_T0_E_clISt17integral_constantIbLb0EES18_IbLb1EEEEDaS14_S15_EUlS14_E_NS1_11comp_targetILNS1_3genE10ELNS1_11target_archE1200ELNS1_3gpuE4ELNS1_3repE0EEENS1_30default_config_static_selectorELNS0_4arch9wavefront6targetE1EEEvT1_, .Lfunc_end2392-_ZN7rocprim17ROCPRIM_400000_NS6detail17trampoline_kernelINS0_14default_configENS1_25partition_config_selectorILNS1_17partition_subalgoE0EyNS0_10empty_typeEbEEZZNS1_14partition_implILS5_0ELb0ES3_jN6thrust23THRUST_200600_302600_NS6detail15normal_iteratorINSA_10device_ptrIyEEEEPS6_SG_NS0_5tupleIJNSA_16discard_iteratorINSA_11use_defaultEEESF_EEENSH_IJSG_SG_EEES6_PlJ7is_evenIyEEEE10hipError_tPvRmT3_T4_T5_T6_T7_T9_mT8_P12ihipStream_tbDpT10_ENKUlT_T0_E_clISt17integral_constantIbLb0EES18_IbLb1EEEEDaS14_S15_EUlS14_E_NS1_11comp_targetILNS1_3genE10ELNS1_11target_archE1200ELNS1_3gpuE4ELNS1_3repE0EEENS1_30default_config_static_selectorELNS0_4arch9wavefront6targetE1EEEvT1_
                                        ; -- End function
	.section	.AMDGPU.csdata,"",@progbits
; Kernel info:
; codeLenInByte = 0
; NumSgprs: 6
; NumVgprs: 0
; NumAgprs: 0
; TotalNumVgprs: 0
; ScratchSize: 0
; MemoryBound: 0
; FloatMode: 240
; IeeeMode: 1
; LDSByteSize: 0 bytes/workgroup (compile time only)
; SGPRBlocks: 0
; VGPRBlocks: 0
; NumSGPRsForWavesPerEU: 6
; NumVGPRsForWavesPerEU: 1
; AccumOffset: 4
; Occupancy: 8
; WaveLimiterHint : 0
; COMPUTE_PGM_RSRC2:SCRATCH_EN: 0
; COMPUTE_PGM_RSRC2:USER_SGPR: 2
; COMPUTE_PGM_RSRC2:TRAP_HANDLER: 0
; COMPUTE_PGM_RSRC2:TGID_X_EN: 1
; COMPUTE_PGM_RSRC2:TGID_Y_EN: 0
; COMPUTE_PGM_RSRC2:TGID_Z_EN: 0
; COMPUTE_PGM_RSRC2:TIDIG_COMP_CNT: 0
; COMPUTE_PGM_RSRC3_GFX90A:ACCUM_OFFSET: 0
; COMPUTE_PGM_RSRC3_GFX90A:TG_SPLIT: 0
	.section	.text._ZN7rocprim17ROCPRIM_400000_NS6detail17trampoline_kernelINS0_14default_configENS1_25partition_config_selectorILNS1_17partition_subalgoE0EyNS0_10empty_typeEbEEZZNS1_14partition_implILS5_0ELb0ES3_jN6thrust23THRUST_200600_302600_NS6detail15normal_iteratorINSA_10device_ptrIyEEEEPS6_SG_NS0_5tupleIJNSA_16discard_iteratorINSA_11use_defaultEEESF_EEENSH_IJSG_SG_EEES6_PlJ7is_evenIyEEEE10hipError_tPvRmT3_T4_T5_T6_T7_T9_mT8_P12ihipStream_tbDpT10_ENKUlT_T0_E_clISt17integral_constantIbLb0EES18_IbLb1EEEEDaS14_S15_EUlS14_E_NS1_11comp_targetILNS1_3genE9ELNS1_11target_archE1100ELNS1_3gpuE3ELNS1_3repE0EEENS1_30default_config_static_selectorELNS0_4arch9wavefront6targetE1EEEvT1_,"axG",@progbits,_ZN7rocprim17ROCPRIM_400000_NS6detail17trampoline_kernelINS0_14default_configENS1_25partition_config_selectorILNS1_17partition_subalgoE0EyNS0_10empty_typeEbEEZZNS1_14partition_implILS5_0ELb0ES3_jN6thrust23THRUST_200600_302600_NS6detail15normal_iteratorINSA_10device_ptrIyEEEEPS6_SG_NS0_5tupleIJNSA_16discard_iteratorINSA_11use_defaultEEESF_EEENSH_IJSG_SG_EEES6_PlJ7is_evenIyEEEE10hipError_tPvRmT3_T4_T5_T6_T7_T9_mT8_P12ihipStream_tbDpT10_ENKUlT_T0_E_clISt17integral_constantIbLb0EES18_IbLb1EEEEDaS14_S15_EUlS14_E_NS1_11comp_targetILNS1_3genE9ELNS1_11target_archE1100ELNS1_3gpuE3ELNS1_3repE0EEENS1_30default_config_static_selectorELNS0_4arch9wavefront6targetE1EEEvT1_,comdat
	.protected	_ZN7rocprim17ROCPRIM_400000_NS6detail17trampoline_kernelINS0_14default_configENS1_25partition_config_selectorILNS1_17partition_subalgoE0EyNS0_10empty_typeEbEEZZNS1_14partition_implILS5_0ELb0ES3_jN6thrust23THRUST_200600_302600_NS6detail15normal_iteratorINSA_10device_ptrIyEEEEPS6_SG_NS0_5tupleIJNSA_16discard_iteratorINSA_11use_defaultEEESF_EEENSH_IJSG_SG_EEES6_PlJ7is_evenIyEEEE10hipError_tPvRmT3_T4_T5_T6_T7_T9_mT8_P12ihipStream_tbDpT10_ENKUlT_T0_E_clISt17integral_constantIbLb0EES18_IbLb1EEEEDaS14_S15_EUlS14_E_NS1_11comp_targetILNS1_3genE9ELNS1_11target_archE1100ELNS1_3gpuE3ELNS1_3repE0EEENS1_30default_config_static_selectorELNS0_4arch9wavefront6targetE1EEEvT1_ ; -- Begin function _ZN7rocprim17ROCPRIM_400000_NS6detail17trampoline_kernelINS0_14default_configENS1_25partition_config_selectorILNS1_17partition_subalgoE0EyNS0_10empty_typeEbEEZZNS1_14partition_implILS5_0ELb0ES3_jN6thrust23THRUST_200600_302600_NS6detail15normal_iteratorINSA_10device_ptrIyEEEEPS6_SG_NS0_5tupleIJNSA_16discard_iteratorINSA_11use_defaultEEESF_EEENSH_IJSG_SG_EEES6_PlJ7is_evenIyEEEE10hipError_tPvRmT3_T4_T5_T6_T7_T9_mT8_P12ihipStream_tbDpT10_ENKUlT_T0_E_clISt17integral_constantIbLb0EES18_IbLb1EEEEDaS14_S15_EUlS14_E_NS1_11comp_targetILNS1_3genE9ELNS1_11target_archE1100ELNS1_3gpuE3ELNS1_3repE0EEENS1_30default_config_static_selectorELNS0_4arch9wavefront6targetE1EEEvT1_
	.globl	_ZN7rocprim17ROCPRIM_400000_NS6detail17trampoline_kernelINS0_14default_configENS1_25partition_config_selectorILNS1_17partition_subalgoE0EyNS0_10empty_typeEbEEZZNS1_14partition_implILS5_0ELb0ES3_jN6thrust23THRUST_200600_302600_NS6detail15normal_iteratorINSA_10device_ptrIyEEEEPS6_SG_NS0_5tupleIJNSA_16discard_iteratorINSA_11use_defaultEEESF_EEENSH_IJSG_SG_EEES6_PlJ7is_evenIyEEEE10hipError_tPvRmT3_T4_T5_T6_T7_T9_mT8_P12ihipStream_tbDpT10_ENKUlT_T0_E_clISt17integral_constantIbLb0EES18_IbLb1EEEEDaS14_S15_EUlS14_E_NS1_11comp_targetILNS1_3genE9ELNS1_11target_archE1100ELNS1_3gpuE3ELNS1_3repE0EEENS1_30default_config_static_selectorELNS0_4arch9wavefront6targetE1EEEvT1_
	.p2align	8
	.type	_ZN7rocprim17ROCPRIM_400000_NS6detail17trampoline_kernelINS0_14default_configENS1_25partition_config_selectorILNS1_17partition_subalgoE0EyNS0_10empty_typeEbEEZZNS1_14partition_implILS5_0ELb0ES3_jN6thrust23THRUST_200600_302600_NS6detail15normal_iteratorINSA_10device_ptrIyEEEEPS6_SG_NS0_5tupleIJNSA_16discard_iteratorINSA_11use_defaultEEESF_EEENSH_IJSG_SG_EEES6_PlJ7is_evenIyEEEE10hipError_tPvRmT3_T4_T5_T6_T7_T9_mT8_P12ihipStream_tbDpT10_ENKUlT_T0_E_clISt17integral_constantIbLb0EES18_IbLb1EEEEDaS14_S15_EUlS14_E_NS1_11comp_targetILNS1_3genE9ELNS1_11target_archE1100ELNS1_3gpuE3ELNS1_3repE0EEENS1_30default_config_static_selectorELNS0_4arch9wavefront6targetE1EEEvT1_,@function
_ZN7rocprim17ROCPRIM_400000_NS6detail17trampoline_kernelINS0_14default_configENS1_25partition_config_selectorILNS1_17partition_subalgoE0EyNS0_10empty_typeEbEEZZNS1_14partition_implILS5_0ELb0ES3_jN6thrust23THRUST_200600_302600_NS6detail15normal_iteratorINSA_10device_ptrIyEEEEPS6_SG_NS0_5tupleIJNSA_16discard_iteratorINSA_11use_defaultEEESF_EEENSH_IJSG_SG_EEES6_PlJ7is_evenIyEEEE10hipError_tPvRmT3_T4_T5_T6_T7_T9_mT8_P12ihipStream_tbDpT10_ENKUlT_T0_E_clISt17integral_constantIbLb0EES18_IbLb1EEEEDaS14_S15_EUlS14_E_NS1_11comp_targetILNS1_3genE9ELNS1_11target_archE1100ELNS1_3gpuE3ELNS1_3repE0EEENS1_30default_config_static_selectorELNS0_4arch9wavefront6targetE1EEEvT1_: ; @_ZN7rocprim17ROCPRIM_400000_NS6detail17trampoline_kernelINS0_14default_configENS1_25partition_config_selectorILNS1_17partition_subalgoE0EyNS0_10empty_typeEbEEZZNS1_14partition_implILS5_0ELb0ES3_jN6thrust23THRUST_200600_302600_NS6detail15normal_iteratorINSA_10device_ptrIyEEEEPS6_SG_NS0_5tupleIJNSA_16discard_iteratorINSA_11use_defaultEEESF_EEENSH_IJSG_SG_EEES6_PlJ7is_evenIyEEEE10hipError_tPvRmT3_T4_T5_T6_T7_T9_mT8_P12ihipStream_tbDpT10_ENKUlT_T0_E_clISt17integral_constantIbLb0EES18_IbLb1EEEEDaS14_S15_EUlS14_E_NS1_11comp_targetILNS1_3genE9ELNS1_11target_archE1100ELNS1_3gpuE3ELNS1_3repE0EEENS1_30default_config_static_selectorELNS0_4arch9wavefront6targetE1EEEvT1_
; %bb.0:
	.section	.rodata,"a",@progbits
	.p2align	6, 0x0
	.amdhsa_kernel _ZN7rocprim17ROCPRIM_400000_NS6detail17trampoline_kernelINS0_14default_configENS1_25partition_config_selectorILNS1_17partition_subalgoE0EyNS0_10empty_typeEbEEZZNS1_14partition_implILS5_0ELb0ES3_jN6thrust23THRUST_200600_302600_NS6detail15normal_iteratorINSA_10device_ptrIyEEEEPS6_SG_NS0_5tupleIJNSA_16discard_iteratorINSA_11use_defaultEEESF_EEENSH_IJSG_SG_EEES6_PlJ7is_evenIyEEEE10hipError_tPvRmT3_T4_T5_T6_T7_T9_mT8_P12ihipStream_tbDpT10_ENKUlT_T0_E_clISt17integral_constantIbLb0EES18_IbLb1EEEEDaS14_S15_EUlS14_E_NS1_11comp_targetILNS1_3genE9ELNS1_11target_archE1100ELNS1_3gpuE3ELNS1_3repE0EEENS1_30default_config_static_selectorELNS0_4arch9wavefront6targetE1EEEvT1_
		.amdhsa_group_segment_fixed_size 0
		.amdhsa_private_segment_fixed_size 0
		.amdhsa_kernarg_size 144
		.amdhsa_user_sgpr_count 2
		.amdhsa_user_sgpr_dispatch_ptr 0
		.amdhsa_user_sgpr_queue_ptr 0
		.amdhsa_user_sgpr_kernarg_segment_ptr 1
		.amdhsa_user_sgpr_dispatch_id 0
		.amdhsa_user_sgpr_kernarg_preload_length 0
		.amdhsa_user_sgpr_kernarg_preload_offset 0
		.amdhsa_user_sgpr_private_segment_size 0
		.amdhsa_uses_dynamic_stack 0
		.amdhsa_enable_private_segment 0
		.amdhsa_system_sgpr_workgroup_id_x 1
		.amdhsa_system_sgpr_workgroup_id_y 0
		.amdhsa_system_sgpr_workgroup_id_z 0
		.amdhsa_system_sgpr_workgroup_info 0
		.amdhsa_system_vgpr_workitem_id 0
		.amdhsa_next_free_vgpr 1
		.amdhsa_next_free_sgpr 0
		.amdhsa_accum_offset 4
		.amdhsa_reserve_vcc 0
		.amdhsa_float_round_mode_32 0
		.amdhsa_float_round_mode_16_64 0
		.amdhsa_float_denorm_mode_32 3
		.amdhsa_float_denorm_mode_16_64 3
		.amdhsa_dx10_clamp 1
		.amdhsa_ieee_mode 1
		.amdhsa_fp16_overflow 0
		.amdhsa_tg_split 0
		.amdhsa_exception_fp_ieee_invalid_op 0
		.amdhsa_exception_fp_denorm_src 0
		.amdhsa_exception_fp_ieee_div_zero 0
		.amdhsa_exception_fp_ieee_overflow 0
		.amdhsa_exception_fp_ieee_underflow 0
		.amdhsa_exception_fp_ieee_inexact 0
		.amdhsa_exception_int_div_zero 0
	.end_amdhsa_kernel
	.section	.text._ZN7rocprim17ROCPRIM_400000_NS6detail17trampoline_kernelINS0_14default_configENS1_25partition_config_selectorILNS1_17partition_subalgoE0EyNS0_10empty_typeEbEEZZNS1_14partition_implILS5_0ELb0ES3_jN6thrust23THRUST_200600_302600_NS6detail15normal_iteratorINSA_10device_ptrIyEEEEPS6_SG_NS0_5tupleIJNSA_16discard_iteratorINSA_11use_defaultEEESF_EEENSH_IJSG_SG_EEES6_PlJ7is_evenIyEEEE10hipError_tPvRmT3_T4_T5_T6_T7_T9_mT8_P12ihipStream_tbDpT10_ENKUlT_T0_E_clISt17integral_constantIbLb0EES18_IbLb1EEEEDaS14_S15_EUlS14_E_NS1_11comp_targetILNS1_3genE9ELNS1_11target_archE1100ELNS1_3gpuE3ELNS1_3repE0EEENS1_30default_config_static_selectorELNS0_4arch9wavefront6targetE1EEEvT1_,"axG",@progbits,_ZN7rocprim17ROCPRIM_400000_NS6detail17trampoline_kernelINS0_14default_configENS1_25partition_config_selectorILNS1_17partition_subalgoE0EyNS0_10empty_typeEbEEZZNS1_14partition_implILS5_0ELb0ES3_jN6thrust23THRUST_200600_302600_NS6detail15normal_iteratorINSA_10device_ptrIyEEEEPS6_SG_NS0_5tupleIJNSA_16discard_iteratorINSA_11use_defaultEEESF_EEENSH_IJSG_SG_EEES6_PlJ7is_evenIyEEEE10hipError_tPvRmT3_T4_T5_T6_T7_T9_mT8_P12ihipStream_tbDpT10_ENKUlT_T0_E_clISt17integral_constantIbLb0EES18_IbLb1EEEEDaS14_S15_EUlS14_E_NS1_11comp_targetILNS1_3genE9ELNS1_11target_archE1100ELNS1_3gpuE3ELNS1_3repE0EEENS1_30default_config_static_selectorELNS0_4arch9wavefront6targetE1EEEvT1_,comdat
.Lfunc_end2393:
	.size	_ZN7rocprim17ROCPRIM_400000_NS6detail17trampoline_kernelINS0_14default_configENS1_25partition_config_selectorILNS1_17partition_subalgoE0EyNS0_10empty_typeEbEEZZNS1_14partition_implILS5_0ELb0ES3_jN6thrust23THRUST_200600_302600_NS6detail15normal_iteratorINSA_10device_ptrIyEEEEPS6_SG_NS0_5tupleIJNSA_16discard_iteratorINSA_11use_defaultEEESF_EEENSH_IJSG_SG_EEES6_PlJ7is_evenIyEEEE10hipError_tPvRmT3_T4_T5_T6_T7_T9_mT8_P12ihipStream_tbDpT10_ENKUlT_T0_E_clISt17integral_constantIbLb0EES18_IbLb1EEEEDaS14_S15_EUlS14_E_NS1_11comp_targetILNS1_3genE9ELNS1_11target_archE1100ELNS1_3gpuE3ELNS1_3repE0EEENS1_30default_config_static_selectorELNS0_4arch9wavefront6targetE1EEEvT1_, .Lfunc_end2393-_ZN7rocprim17ROCPRIM_400000_NS6detail17trampoline_kernelINS0_14default_configENS1_25partition_config_selectorILNS1_17partition_subalgoE0EyNS0_10empty_typeEbEEZZNS1_14partition_implILS5_0ELb0ES3_jN6thrust23THRUST_200600_302600_NS6detail15normal_iteratorINSA_10device_ptrIyEEEEPS6_SG_NS0_5tupleIJNSA_16discard_iteratorINSA_11use_defaultEEESF_EEENSH_IJSG_SG_EEES6_PlJ7is_evenIyEEEE10hipError_tPvRmT3_T4_T5_T6_T7_T9_mT8_P12ihipStream_tbDpT10_ENKUlT_T0_E_clISt17integral_constantIbLb0EES18_IbLb1EEEEDaS14_S15_EUlS14_E_NS1_11comp_targetILNS1_3genE9ELNS1_11target_archE1100ELNS1_3gpuE3ELNS1_3repE0EEENS1_30default_config_static_selectorELNS0_4arch9wavefront6targetE1EEEvT1_
                                        ; -- End function
	.section	.AMDGPU.csdata,"",@progbits
; Kernel info:
; codeLenInByte = 0
; NumSgprs: 6
; NumVgprs: 0
; NumAgprs: 0
; TotalNumVgprs: 0
; ScratchSize: 0
; MemoryBound: 0
; FloatMode: 240
; IeeeMode: 1
; LDSByteSize: 0 bytes/workgroup (compile time only)
; SGPRBlocks: 0
; VGPRBlocks: 0
; NumSGPRsForWavesPerEU: 6
; NumVGPRsForWavesPerEU: 1
; AccumOffset: 4
; Occupancy: 8
; WaveLimiterHint : 0
; COMPUTE_PGM_RSRC2:SCRATCH_EN: 0
; COMPUTE_PGM_RSRC2:USER_SGPR: 2
; COMPUTE_PGM_RSRC2:TRAP_HANDLER: 0
; COMPUTE_PGM_RSRC2:TGID_X_EN: 1
; COMPUTE_PGM_RSRC2:TGID_Y_EN: 0
; COMPUTE_PGM_RSRC2:TGID_Z_EN: 0
; COMPUTE_PGM_RSRC2:TIDIG_COMP_CNT: 0
; COMPUTE_PGM_RSRC3_GFX90A:ACCUM_OFFSET: 0
; COMPUTE_PGM_RSRC3_GFX90A:TG_SPLIT: 0
	.section	.text._ZN7rocprim17ROCPRIM_400000_NS6detail17trampoline_kernelINS0_14default_configENS1_25partition_config_selectorILNS1_17partition_subalgoE0EyNS0_10empty_typeEbEEZZNS1_14partition_implILS5_0ELb0ES3_jN6thrust23THRUST_200600_302600_NS6detail15normal_iteratorINSA_10device_ptrIyEEEEPS6_SG_NS0_5tupleIJNSA_16discard_iteratorINSA_11use_defaultEEESF_EEENSH_IJSG_SG_EEES6_PlJ7is_evenIyEEEE10hipError_tPvRmT3_T4_T5_T6_T7_T9_mT8_P12ihipStream_tbDpT10_ENKUlT_T0_E_clISt17integral_constantIbLb0EES18_IbLb1EEEEDaS14_S15_EUlS14_E_NS1_11comp_targetILNS1_3genE8ELNS1_11target_archE1030ELNS1_3gpuE2ELNS1_3repE0EEENS1_30default_config_static_selectorELNS0_4arch9wavefront6targetE1EEEvT1_,"axG",@progbits,_ZN7rocprim17ROCPRIM_400000_NS6detail17trampoline_kernelINS0_14default_configENS1_25partition_config_selectorILNS1_17partition_subalgoE0EyNS0_10empty_typeEbEEZZNS1_14partition_implILS5_0ELb0ES3_jN6thrust23THRUST_200600_302600_NS6detail15normal_iteratorINSA_10device_ptrIyEEEEPS6_SG_NS0_5tupleIJNSA_16discard_iteratorINSA_11use_defaultEEESF_EEENSH_IJSG_SG_EEES6_PlJ7is_evenIyEEEE10hipError_tPvRmT3_T4_T5_T6_T7_T9_mT8_P12ihipStream_tbDpT10_ENKUlT_T0_E_clISt17integral_constantIbLb0EES18_IbLb1EEEEDaS14_S15_EUlS14_E_NS1_11comp_targetILNS1_3genE8ELNS1_11target_archE1030ELNS1_3gpuE2ELNS1_3repE0EEENS1_30default_config_static_selectorELNS0_4arch9wavefront6targetE1EEEvT1_,comdat
	.protected	_ZN7rocprim17ROCPRIM_400000_NS6detail17trampoline_kernelINS0_14default_configENS1_25partition_config_selectorILNS1_17partition_subalgoE0EyNS0_10empty_typeEbEEZZNS1_14partition_implILS5_0ELb0ES3_jN6thrust23THRUST_200600_302600_NS6detail15normal_iteratorINSA_10device_ptrIyEEEEPS6_SG_NS0_5tupleIJNSA_16discard_iteratorINSA_11use_defaultEEESF_EEENSH_IJSG_SG_EEES6_PlJ7is_evenIyEEEE10hipError_tPvRmT3_T4_T5_T6_T7_T9_mT8_P12ihipStream_tbDpT10_ENKUlT_T0_E_clISt17integral_constantIbLb0EES18_IbLb1EEEEDaS14_S15_EUlS14_E_NS1_11comp_targetILNS1_3genE8ELNS1_11target_archE1030ELNS1_3gpuE2ELNS1_3repE0EEENS1_30default_config_static_selectorELNS0_4arch9wavefront6targetE1EEEvT1_ ; -- Begin function _ZN7rocprim17ROCPRIM_400000_NS6detail17trampoline_kernelINS0_14default_configENS1_25partition_config_selectorILNS1_17partition_subalgoE0EyNS0_10empty_typeEbEEZZNS1_14partition_implILS5_0ELb0ES3_jN6thrust23THRUST_200600_302600_NS6detail15normal_iteratorINSA_10device_ptrIyEEEEPS6_SG_NS0_5tupleIJNSA_16discard_iteratorINSA_11use_defaultEEESF_EEENSH_IJSG_SG_EEES6_PlJ7is_evenIyEEEE10hipError_tPvRmT3_T4_T5_T6_T7_T9_mT8_P12ihipStream_tbDpT10_ENKUlT_T0_E_clISt17integral_constantIbLb0EES18_IbLb1EEEEDaS14_S15_EUlS14_E_NS1_11comp_targetILNS1_3genE8ELNS1_11target_archE1030ELNS1_3gpuE2ELNS1_3repE0EEENS1_30default_config_static_selectorELNS0_4arch9wavefront6targetE1EEEvT1_
	.globl	_ZN7rocprim17ROCPRIM_400000_NS6detail17trampoline_kernelINS0_14default_configENS1_25partition_config_selectorILNS1_17partition_subalgoE0EyNS0_10empty_typeEbEEZZNS1_14partition_implILS5_0ELb0ES3_jN6thrust23THRUST_200600_302600_NS6detail15normal_iteratorINSA_10device_ptrIyEEEEPS6_SG_NS0_5tupleIJNSA_16discard_iteratorINSA_11use_defaultEEESF_EEENSH_IJSG_SG_EEES6_PlJ7is_evenIyEEEE10hipError_tPvRmT3_T4_T5_T6_T7_T9_mT8_P12ihipStream_tbDpT10_ENKUlT_T0_E_clISt17integral_constantIbLb0EES18_IbLb1EEEEDaS14_S15_EUlS14_E_NS1_11comp_targetILNS1_3genE8ELNS1_11target_archE1030ELNS1_3gpuE2ELNS1_3repE0EEENS1_30default_config_static_selectorELNS0_4arch9wavefront6targetE1EEEvT1_
	.p2align	8
	.type	_ZN7rocprim17ROCPRIM_400000_NS6detail17trampoline_kernelINS0_14default_configENS1_25partition_config_selectorILNS1_17partition_subalgoE0EyNS0_10empty_typeEbEEZZNS1_14partition_implILS5_0ELb0ES3_jN6thrust23THRUST_200600_302600_NS6detail15normal_iteratorINSA_10device_ptrIyEEEEPS6_SG_NS0_5tupleIJNSA_16discard_iteratorINSA_11use_defaultEEESF_EEENSH_IJSG_SG_EEES6_PlJ7is_evenIyEEEE10hipError_tPvRmT3_T4_T5_T6_T7_T9_mT8_P12ihipStream_tbDpT10_ENKUlT_T0_E_clISt17integral_constantIbLb0EES18_IbLb1EEEEDaS14_S15_EUlS14_E_NS1_11comp_targetILNS1_3genE8ELNS1_11target_archE1030ELNS1_3gpuE2ELNS1_3repE0EEENS1_30default_config_static_selectorELNS0_4arch9wavefront6targetE1EEEvT1_,@function
_ZN7rocprim17ROCPRIM_400000_NS6detail17trampoline_kernelINS0_14default_configENS1_25partition_config_selectorILNS1_17partition_subalgoE0EyNS0_10empty_typeEbEEZZNS1_14partition_implILS5_0ELb0ES3_jN6thrust23THRUST_200600_302600_NS6detail15normal_iteratorINSA_10device_ptrIyEEEEPS6_SG_NS0_5tupleIJNSA_16discard_iteratorINSA_11use_defaultEEESF_EEENSH_IJSG_SG_EEES6_PlJ7is_evenIyEEEE10hipError_tPvRmT3_T4_T5_T6_T7_T9_mT8_P12ihipStream_tbDpT10_ENKUlT_T0_E_clISt17integral_constantIbLb0EES18_IbLb1EEEEDaS14_S15_EUlS14_E_NS1_11comp_targetILNS1_3genE8ELNS1_11target_archE1030ELNS1_3gpuE2ELNS1_3repE0EEENS1_30default_config_static_selectorELNS0_4arch9wavefront6targetE1EEEvT1_: ; @_ZN7rocprim17ROCPRIM_400000_NS6detail17trampoline_kernelINS0_14default_configENS1_25partition_config_selectorILNS1_17partition_subalgoE0EyNS0_10empty_typeEbEEZZNS1_14partition_implILS5_0ELb0ES3_jN6thrust23THRUST_200600_302600_NS6detail15normal_iteratorINSA_10device_ptrIyEEEEPS6_SG_NS0_5tupleIJNSA_16discard_iteratorINSA_11use_defaultEEESF_EEENSH_IJSG_SG_EEES6_PlJ7is_evenIyEEEE10hipError_tPvRmT3_T4_T5_T6_T7_T9_mT8_P12ihipStream_tbDpT10_ENKUlT_T0_E_clISt17integral_constantIbLb0EES18_IbLb1EEEEDaS14_S15_EUlS14_E_NS1_11comp_targetILNS1_3genE8ELNS1_11target_archE1030ELNS1_3gpuE2ELNS1_3repE0EEENS1_30default_config_static_selectorELNS0_4arch9wavefront6targetE1EEEvT1_
; %bb.0:
	.section	.rodata,"a",@progbits
	.p2align	6, 0x0
	.amdhsa_kernel _ZN7rocprim17ROCPRIM_400000_NS6detail17trampoline_kernelINS0_14default_configENS1_25partition_config_selectorILNS1_17partition_subalgoE0EyNS0_10empty_typeEbEEZZNS1_14partition_implILS5_0ELb0ES3_jN6thrust23THRUST_200600_302600_NS6detail15normal_iteratorINSA_10device_ptrIyEEEEPS6_SG_NS0_5tupleIJNSA_16discard_iteratorINSA_11use_defaultEEESF_EEENSH_IJSG_SG_EEES6_PlJ7is_evenIyEEEE10hipError_tPvRmT3_T4_T5_T6_T7_T9_mT8_P12ihipStream_tbDpT10_ENKUlT_T0_E_clISt17integral_constantIbLb0EES18_IbLb1EEEEDaS14_S15_EUlS14_E_NS1_11comp_targetILNS1_3genE8ELNS1_11target_archE1030ELNS1_3gpuE2ELNS1_3repE0EEENS1_30default_config_static_selectorELNS0_4arch9wavefront6targetE1EEEvT1_
		.amdhsa_group_segment_fixed_size 0
		.amdhsa_private_segment_fixed_size 0
		.amdhsa_kernarg_size 144
		.amdhsa_user_sgpr_count 2
		.amdhsa_user_sgpr_dispatch_ptr 0
		.amdhsa_user_sgpr_queue_ptr 0
		.amdhsa_user_sgpr_kernarg_segment_ptr 1
		.amdhsa_user_sgpr_dispatch_id 0
		.amdhsa_user_sgpr_kernarg_preload_length 0
		.amdhsa_user_sgpr_kernarg_preload_offset 0
		.amdhsa_user_sgpr_private_segment_size 0
		.amdhsa_uses_dynamic_stack 0
		.amdhsa_enable_private_segment 0
		.amdhsa_system_sgpr_workgroup_id_x 1
		.amdhsa_system_sgpr_workgroup_id_y 0
		.amdhsa_system_sgpr_workgroup_id_z 0
		.amdhsa_system_sgpr_workgroup_info 0
		.amdhsa_system_vgpr_workitem_id 0
		.amdhsa_next_free_vgpr 1
		.amdhsa_next_free_sgpr 0
		.amdhsa_accum_offset 4
		.amdhsa_reserve_vcc 0
		.amdhsa_float_round_mode_32 0
		.amdhsa_float_round_mode_16_64 0
		.amdhsa_float_denorm_mode_32 3
		.amdhsa_float_denorm_mode_16_64 3
		.amdhsa_dx10_clamp 1
		.amdhsa_ieee_mode 1
		.amdhsa_fp16_overflow 0
		.amdhsa_tg_split 0
		.amdhsa_exception_fp_ieee_invalid_op 0
		.amdhsa_exception_fp_denorm_src 0
		.amdhsa_exception_fp_ieee_div_zero 0
		.amdhsa_exception_fp_ieee_overflow 0
		.amdhsa_exception_fp_ieee_underflow 0
		.amdhsa_exception_fp_ieee_inexact 0
		.amdhsa_exception_int_div_zero 0
	.end_amdhsa_kernel
	.section	.text._ZN7rocprim17ROCPRIM_400000_NS6detail17trampoline_kernelINS0_14default_configENS1_25partition_config_selectorILNS1_17partition_subalgoE0EyNS0_10empty_typeEbEEZZNS1_14partition_implILS5_0ELb0ES3_jN6thrust23THRUST_200600_302600_NS6detail15normal_iteratorINSA_10device_ptrIyEEEEPS6_SG_NS0_5tupleIJNSA_16discard_iteratorINSA_11use_defaultEEESF_EEENSH_IJSG_SG_EEES6_PlJ7is_evenIyEEEE10hipError_tPvRmT3_T4_T5_T6_T7_T9_mT8_P12ihipStream_tbDpT10_ENKUlT_T0_E_clISt17integral_constantIbLb0EES18_IbLb1EEEEDaS14_S15_EUlS14_E_NS1_11comp_targetILNS1_3genE8ELNS1_11target_archE1030ELNS1_3gpuE2ELNS1_3repE0EEENS1_30default_config_static_selectorELNS0_4arch9wavefront6targetE1EEEvT1_,"axG",@progbits,_ZN7rocprim17ROCPRIM_400000_NS6detail17trampoline_kernelINS0_14default_configENS1_25partition_config_selectorILNS1_17partition_subalgoE0EyNS0_10empty_typeEbEEZZNS1_14partition_implILS5_0ELb0ES3_jN6thrust23THRUST_200600_302600_NS6detail15normal_iteratorINSA_10device_ptrIyEEEEPS6_SG_NS0_5tupleIJNSA_16discard_iteratorINSA_11use_defaultEEESF_EEENSH_IJSG_SG_EEES6_PlJ7is_evenIyEEEE10hipError_tPvRmT3_T4_T5_T6_T7_T9_mT8_P12ihipStream_tbDpT10_ENKUlT_T0_E_clISt17integral_constantIbLb0EES18_IbLb1EEEEDaS14_S15_EUlS14_E_NS1_11comp_targetILNS1_3genE8ELNS1_11target_archE1030ELNS1_3gpuE2ELNS1_3repE0EEENS1_30default_config_static_selectorELNS0_4arch9wavefront6targetE1EEEvT1_,comdat
.Lfunc_end2394:
	.size	_ZN7rocprim17ROCPRIM_400000_NS6detail17trampoline_kernelINS0_14default_configENS1_25partition_config_selectorILNS1_17partition_subalgoE0EyNS0_10empty_typeEbEEZZNS1_14partition_implILS5_0ELb0ES3_jN6thrust23THRUST_200600_302600_NS6detail15normal_iteratorINSA_10device_ptrIyEEEEPS6_SG_NS0_5tupleIJNSA_16discard_iteratorINSA_11use_defaultEEESF_EEENSH_IJSG_SG_EEES6_PlJ7is_evenIyEEEE10hipError_tPvRmT3_T4_T5_T6_T7_T9_mT8_P12ihipStream_tbDpT10_ENKUlT_T0_E_clISt17integral_constantIbLb0EES18_IbLb1EEEEDaS14_S15_EUlS14_E_NS1_11comp_targetILNS1_3genE8ELNS1_11target_archE1030ELNS1_3gpuE2ELNS1_3repE0EEENS1_30default_config_static_selectorELNS0_4arch9wavefront6targetE1EEEvT1_, .Lfunc_end2394-_ZN7rocprim17ROCPRIM_400000_NS6detail17trampoline_kernelINS0_14default_configENS1_25partition_config_selectorILNS1_17partition_subalgoE0EyNS0_10empty_typeEbEEZZNS1_14partition_implILS5_0ELb0ES3_jN6thrust23THRUST_200600_302600_NS6detail15normal_iteratorINSA_10device_ptrIyEEEEPS6_SG_NS0_5tupleIJNSA_16discard_iteratorINSA_11use_defaultEEESF_EEENSH_IJSG_SG_EEES6_PlJ7is_evenIyEEEE10hipError_tPvRmT3_T4_T5_T6_T7_T9_mT8_P12ihipStream_tbDpT10_ENKUlT_T0_E_clISt17integral_constantIbLb0EES18_IbLb1EEEEDaS14_S15_EUlS14_E_NS1_11comp_targetILNS1_3genE8ELNS1_11target_archE1030ELNS1_3gpuE2ELNS1_3repE0EEENS1_30default_config_static_selectorELNS0_4arch9wavefront6targetE1EEEvT1_
                                        ; -- End function
	.section	.AMDGPU.csdata,"",@progbits
; Kernel info:
; codeLenInByte = 0
; NumSgprs: 6
; NumVgprs: 0
; NumAgprs: 0
; TotalNumVgprs: 0
; ScratchSize: 0
; MemoryBound: 0
; FloatMode: 240
; IeeeMode: 1
; LDSByteSize: 0 bytes/workgroup (compile time only)
; SGPRBlocks: 0
; VGPRBlocks: 0
; NumSGPRsForWavesPerEU: 6
; NumVGPRsForWavesPerEU: 1
; AccumOffset: 4
; Occupancy: 8
; WaveLimiterHint : 0
; COMPUTE_PGM_RSRC2:SCRATCH_EN: 0
; COMPUTE_PGM_RSRC2:USER_SGPR: 2
; COMPUTE_PGM_RSRC2:TRAP_HANDLER: 0
; COMPUTE_PGM_RSRC2:TGID_X_EN: 1
; COMPUTE_PGM_RSRC2:TGID_Y_EN: 0
; COMPUTE_PGM_RSRC2:TGID_Z_EN: 0
; COMPUTE_PGM_RSRC2:TIDIG_COMP_CNT: 0
; COMPUTE_PGM_RSRC3_GFX90A:ACCUM_OFFSET: 0
; COMPUTE_PGM_RSRC3_GFX90A:TG_SPLIT: 0
	.section	.text._ZN7rocprim17ROCPRIM_400000_NS6detail17trampoline_kernelINS0_14default_configENS1_25partition_config_selectorILNS1_17partition_subalgoE0EjNS0_10empty_typeEbEEZZNS1_14partition_implILS5_0ELb0ES3_jN6thrust23THRUST_200600_302600_NS6detail15normal_iteratorINSA_10device_ptrIjEEEEPS6_SG_NS0_5tupleIJNSA_16discard_iteratorINSA_11use_defaultEEESK_EEENSH_IJSG_SG_EEES6_PlJ7is_evenIjEEEE10hipError_tPvRmT3_T4_T5_T6_T7_T9_mT8_P12ihipStream_tbDpT10_ENKUlT_T0_E_clISt17integral_constantIbLb0EES19_EEDaS14_S15_EUlS14_E_NS1_11comp_targetILNS1_3genE0ELNS1_11target_archE4294967295ELNS1_3gpuE0ELNS1_3repE0EEENS1_30default_config_static_selectorELNS0_4arch9wavefront6targetE1EEEvT1_,"axG",@progbits,_ZN7rocprim17ROCPRIM_400000_NS6detail17trampoline_kernelINS0_14default_configENS1_25partition_config_selectorILNS1_17partition_subalgoE0EjNS0_10empty_typeEbEEZZNS1_14partition_implILS5_0ELb0ES3_jN6thrust23THRUST_200600_302600_NS6detail15normal_iteratorINSA_10device_ptrIjEEEEPS6_SG_NS0_5tupleIJNSA_16discard_iteratorINSA_11use_defaultEEESK_EEENSH_IJSG_SG_EEES6_PlJ7is_evenIjEEEE10hipError_tPvRmT3_T4_T5_T6_T7_T9_mT8_P12ihipStream_tbDpT10_ENKUlT_T0_E_clISt17integral_constantIbLb0EES19_EEDaS14_S15_EUlS14_E_NS1_11comp_targetILNS1_3genE0ELNS1_11target_archE4294967295ELNS1_3gpuE0ELNS1_3repE0EEENS1_30default_config_static_selectorELNS0_4arch9wavefront6targetE1EEEvT1_,comdat
	.protected	_ZN7rocprim17ROCPRIM_400000_NS6detail17trampoline_kernelINS0_14default_configENS1_25partition_config_selectorILNS1_17partition_subalgoE0EjNS0_10empty_typeEbEEZZNS1_14partition_implILS5_0ELb0ES3_jN6thrust23THRUST_200600_302600_NS6detail15normal_iteratorINSA_10device_ptrIjEEEEPS6_SG_NS0_5tupleIJNSA_16discard_iteratorINSA_11use_defaultEEESK_EEENSH_IJSG_SG_EEES6_PlJ7is_evenIjEEEE10hipError_tPvRmT3_T4_T5_T6_T7_T9_mT8_P12ihipStream_tbDpT10_ENKUlT_T0_E_clISt17integral_constantIbLb0EES19_EEDaS14_S15_EUlS14_E_NS1_11comp_targetILNS1_3genE0ELNS1_11target_archE4294967295ELNS1_3gpuE0ELNS1_3repE0EEENS1_30default_config_static_selectorELNS0_4arch9wavefront6targetE1EEEvT1_ ; -- Begin function _ZN7rocprim17ROCPRIM_400000_NS6detail17trampoline_kernelINS0_14default_configENS1_25partition_config_selectorILNS1_17partition_subalgoE0EjNS0_10empty_typeEbEEZZNS1_14partition_implILS5_0ELb0ES3_jN6thrust23THRUST_200600_302600_NS6detail15normal_iteratorINSA_10device_ptrIjEEEEPS6_SG_NS0_5tupleIJNSA_16discard_iteratorINSA_11use_defaultEEESK_EEENSH_IJSG_SG_EEES6_PlJ7is_evenIjEEEE10hipError_tPvRmT3_T4_T5_T6_T7_T9_mT8_P12ihipStream_tbDpT10_ENKUlT_T0_E_clISt17integral_constantIbLb0EES19_EEDaS14_S15_EUlS14_E_NS1_11comp_targetILNS1_3genE0ELNS1_11target_archE4294967295ELNS1_3gpuE0ELNS1_3repE0EEENS1_30default_config_static_selectorELNS0_4arch9wavefront6targetE1EEEvT1_
	.globl	_ZN7rocprim17ROCPRIM_400000_NS6detail17trampoline_kernelINS0_14default_configENS1_25partition_config_selectorILNS1_17partition_subalgoE0EjNS0_10empty_typeEbEEZZNS1_14partition_implILS5_0ELb0ES3_jN6thrust23THRUST_200600_302600_NS6detail15normal_iteratorINSA_10device_ptrIjEEEEPS6_SG_NS0_5tupleIJNSA_16discard_iteratorINSA_11use_defaultEEESK_EEENSH_IJSG_SG_EEES6_PlJ7is_evenIjEEEE10hipError_tPvRmT3_T4_T5_T6_T7_T9_mT8_P12ihipStream_tbDpT10_ENKUlT_T0_E_clISt17integral_constantIbLb0EES19_EEDaS14_S15_EUlS14_E_NS1_11comp_targetILNS1_3genE0ELNS1_11target_archE4294967295ELNS1_3gpuE0ELNS1_3repE0EEENS1_30default_config_static_selectorELNS0_4arch9wavefront6targetE1EEEvT1_
	.p2align	8
	.type	_ZN7rocprim17ROCPRIM_400000_NS6detail17trampoline_kernelINS0_14default_configENS1_25partition_config_selectorILNS1_17partition_subalgoE0EjNS0_10empty_typeEbEEZZNS1_14partition_implILS5_0ELb0ES3_jN6thrust23THRUST_200600_302600_NS6detail15normal_iteratorINSA_10device_ptrIjEEEEPS6_SG_NS0_5tupleIJNSA_16discard_iteratorINSA_11use_defaultEEESK_EEENSH_IJSG_SG_EEES6_PlJ7is_evenIjEEEE10hipError_tPvRmT3_T4_T5_T6_T7_T9_mT8_P12ihipStream_tbDpT10_ENKUlT_T0_E_clISt17integral_constantIbLb0EES19_EEDaS14_S15_EUlS14_E_NS1_11comp_targetILNS1_3genE0ELNS1_11target_archE4294967295ELNS1_3gpuE0ELNS1_3repE0EEENS1_30default_config_static_selectorELNS0_4arch9wavefront6targetE1EEEvT1_,@function
_ZN7rocprim17ROCPRIM_400000_NS6detail17trampoline_kernelINS0_14default_configENS1_25partition_config_selectorILNS1_17partition_subalgoE0EjNS0_10empty_typeEbEEZZNS1_14partition_implILS5_0ELb0ES3_jN6thrust23THRUST_200600_302600_NS6detail15normal_iteratorINSA_10device_ptrIjEEEEPS6_SG_NS0_5tupleIJNSA_16discard_iteratorINSA_11use_defaultEEESK_EEENSH_IJSG_SG_EEES6_PlJ7is_evenIjEEEE10hipError_tPvRmT3_T4_T5_T6_T7_T9_mT8_P12ihipStream_tbDpT10_ENKUlT_T0_E_clISt17integral_constantIbLb0EES19_EEDaS14_S15_EUlS14_E_NS1_11comp_targetILNS1_3genE0ELNS1_11target_archE4294967295ELNS1_3gpuE0ELNS1_3repE0EEENS1_30default_config_static_selectorELNS0_4arch9wavefront6targetE1EEEvT1_: ; @_ZN7rocprim17ROCPRIM_400000_NS6detail17trampoline_kernelINS0_14default_configENS1_25partition_config_selectorILNS1_17partition_subalgoE0EjNS0_10empty_typeEbEEZZNS1_14partition_implILS5_0ELb0ES3_jN6thrust23THRUST_200600_302600_NS6detail15normal_iteratorINSA_10device_ptrIjEEEEPS6_SG_NS0_5tupleIJNSA_16discard_iteratorINSA_11use_defaultEEESK_EEENSH_IJSG_SG_EEES6_PlJ7is_evenIjEEEE10hipError_tPvRmT3_T4_T5_T6_T7_T9_mT8_P12ihipStream_tbDpT10_ENKUlT_T0_E_clISt17integral_constantIbLb0EES19_EEDaS14_S15_EUlS14_E_NS1_11comp_targetILNS1_3genE0ELNS1_11target_archE4294967295ELNS1_3gpuE0ELNS1_3repE0EEENS1_30default_config_static_selectorELNS0_4arch9wavefront6targetE1EEEvT1_
; %bb.0:
	.section	.rodata,"a",@progbits
	.p2align	6, 0x0
	.amdhsa_kernel _ZN7rocprim17ROCPRIM_400000_NS6detail17trampoline_kernelINS0_14default_configENS1_25partition_config_selectorILNS1_17partition_subalgoE0EjNS0_10empty_typeEbEEZZNS1_14partition_implILS5_0ELb0ES3_jN6thrust23THRUST_200600_302600_NS6detail15normal_iteratorINSA_10device_ptrIjEEEEPS6_SG_NS0_5tupleIJNSA_16discard_iteratorINSA_11use_defaultEEESK_EEENSH_IJSG_SG_EEES6_PlJ7is_evenIjEEEE10hipError_tPvRmT3_T4_T5_T6_T7_T9_mT8_P12ihipStream_tbDpT10_ENKUlT_T0_E_clISt17integral_constantIbLb0EES19_EEDaS14_S15_EUlS14_E_NS1_11comp_targetILNS1_3genE0ELNS1_11target_archE4294967295ELNS1_3gpuE0ELNS1_3repE0EEENS1_30default_config_static_selectorELNS0_4arch9wavefront6targetE1EEEvT1_
		.amdhsa_group_segment_fixed_size 0
		.amdhsa_private_segment_fixed_size 0
		.amdhsa_kernarg_size 136
		.amdhsa_user_sgpr_count 2
		.amdhsa_user_sgpr_dispatch_ptr 0
		.amdhsa_user_sgpr_queue_ptr 0
		.amdhsa_user_sgpr_kernarg_segment_ptr 1
		.amdhsa_user_sgpr_dispatch_id 0
		.amdhsa_user_sgpr_kernarg_preload_length 0
		.amdhsa_user_sgpr_kernarg_preload_offset 0
		.amdhsa_user_sgpr_private_segment_size 0
		.amdhsa_uses_dynamic_stack 0
		.amdhsa_enable_private_segment 0
		.amdhsa_system_sgpr_workgroup_id_x 1
		.amdhsa_system_sgpr_workgroup_id_y 0
		.amdhsa_system_sgpr_workgroup_id_z 0
		.amdhsa_system_sgpr_workgroup_info 0
		.amdhsa_system_vgpr_workitem_id 0
		.amdhsa_next_free_vgpr 1
		.amdhsa_next_free_sgpr 0
		.amdhsa_accum_offset 4
		.amdhsa_reserve_vcc 0
		.amdhsa_float_round_mode_32 0
		.amdhsa_float_round_mode_16_64 0
		.amdhsa_float_denorm_mode_32 3
		.amdhsa_float_denorm_mode_16_64 3
		.amdhsa_dx10_clamp 1
		.amdhsa_ieee_mode 1
		.amdhsa_fp16_overflow 0
		.amdhsa_tg_split 0
		.amdhsa_exception_fp_ieee_invalid_op 0
		.amdhsa_exception_fp_denorm_src 0
		.amdhsa_exception_fp_ieee_div_zero 0
		.amdhsa_exception_fp_ieee_overflow 0
		.amdhsa_exception_fp_ieee_underflow 0
		.amdhsa_exception_fp_ieee_inexact 0
		.amdhsa_exception_int_div_zero 0
	.end_amdhsa_kernel
	.section	.text._ZN7rocprim17ROCPRIM_400000_NS6detail17trampoline_kernelINS0_14default_configENS1_25partition_config_selectorILNS1_17partition_subalgoE0EjNS0_10empty_typeEbEEZZNS1_14partition_implILS5_0ELb0ES3_jN6thrust23THRUST_200600_302600_NS6detail15normal_iteratorINSA_10device_ptrIjEEEEPS6_SG_NS0_5tupleIJNSA_16discard_iteratorINSA_11use_defaultEEESK_EEENSH_IJSG_SG_EEES6_PlJ7is_evenIjEEEE10hipError_tPvRmT3_T4_T5_T6_T7_T9_mT8_P12ihipStream_tbDpT10_ENKUlT_T0_E_clISt17integral_constantIbLb0EES19_EEDaS14_S15_EUlS14_E_NS1_11comp_targetILNS1_3genE0ELNS1_11target_archE4294967295ELNS1_3gpuE0ELNS1_3repE0EEENS1_30default_config_static_selectorELNS0_4arch9wavefront6targetE1EEEvT1_,"axG",@progbits,_ZN7rocprim17ROCPRIM_400000_NS6detail17trampoline_kernelINS0_14default_configENS1_25partition_config_selectorILNS1_17partition_subalgoE0EjNS0_10empty_typeEbEEZZNS1_14partition_implILS5_0ELb0ES3_jN6thrust23THRUST_200600_302600_NS6detail15normal_iteratorINSA_10device_ptrIjEEEEPS6_SG_NS0_5tupleIJNSA_16discard_iteratorINSA_11use_defaultEEESK_EEENSH_IJSG_SG_EEES6_PlJ7is_evenIjEEEE10hipError_tPvRmT3_T4_T5_T6_T7_T9_mT8_P12ihipStream_tbDpT10_ENKUlT_T0_E_clISt17integral_constantIbLb0EES19_EEDaS14_S15_EUlS14_E_NS1_11comp_targetILNS1_3genE0ELNS1_11target_archE4294967295ELNS1_3gpuE0ELNS1_3repE0EEENS1_30default_config_static_selectorELNS0_4arch9wavefront6targetE1EEEvT1_,comdat
.Lfunc_end2395:
	.size	_ZN7rocprim17ROCPRIM_400000_NS6detail17trampoline_kernelINS0_14default_configENS1_25partition_config_selectorILNS1_17partition_subalgoE0EjNS0_10empty_typeEbEEZZNS1_14partition_implILS5_0ELb0ES3_jN6thrust23THRUST_200600_302600_NS6detail15normal_iteratorINSA_10device_ptrIjEEEEPS6_SG_NS0_5tupleIJNSA_16discard_iteratorINSA_11use_defaultEEESK_EEENSH_IJSG_SG_EEES6_PlJ7is_evenIjEEEE10hipError_tPvRmT3_T4_T5_T6_T7_T9_mT8_P12ihipStream_tbDpT10_ENKUlT_T0_E_clISt17integral_constantIbLb0EES19_EEDaS14_S15_EUlS14_E_NS1_11comp_targetILNS1_3genE0ELNS1_11target_archE4294967295ELNS1_3gpuE0ELNS1_3repE0EEENS1_30default_config_static_selectorELNS0_4arch9wavefront6targetE1EEEvT1_, .Lfunc_end2395-_ZN7rocprim17ROCPRIM_400000_NS6detail17trampoline_kernelINS0_14default_configENS1_25partition_config_selectorILNS1_17partition_subalgoE0EjNS0_10empty_typeEbEEZZNS1_14partition_implILS5_0ELb0ES3_jN6thrust23THRUST_200600_302600_NS6detail15normal_iteratorINSA_10device_ptrIjEEEEPS6_SG_NS0_5tupleIJNSA_16discard_iteratorINSA_11use_defaultEEESK_EEENSH_IJSG_SG_EEES6_PlJ7is_evenIjEEEE10hipError_tPvRmT3_T4_T5_T6_T7_T9_mT8_P12ihipStream_tbDpT10_ENKUlT_T0_E_clISt17integral_constantIbLb0EES19_EEDaS14_S15_EUlS14_E_NS1_11comp_targetILNS1_3genE0ELNS1_11target_archE4294967295ELNS1_3gpuE0ELNS1_3repE0EEENS1_30default_config_static_selectorELNS0_4arch9wavefront6targetE1EEEvT1_
                                        ; -- End function
	.section	.AMDGPU.csdata,"",@progbits
; Kernel info:
; codeLenInByte = 0
; NumSgprs: 6
; NumVgprs: 0
; NumAgprs: 0
; TotalNumVgprs: 0
; ScratchSize: 0
; MemoryBound: 0
; FloatMode: 240
; IeeeMode: 1
; LDSByteSize: 0 bytes/workgroup (compile time only)
; SGPRBlocks: 0
; VGPRBlocks: 0
; NumSGPRsForWavesPerEU: 6
; NumVGPRsForWavesPerEU: 1
; AccumOffset: 4
; Occupancy: 8
; WaveLimiterHint : 0
; COMPUTE_PGM_RSRC2:SCRATCH_EN: 0
; COMPUTE_PGM_RSRC2:USER_SGPR: 2
; COMPUTE_PGM_RSRC2:TRAP_HANDLER: 0
; COMPUTE_PGM_RSRC2:TGID_X_EN: 1
; COMPUTE_PGM_RSRC2:TGID_Y_EN: 0
; COMPUTE_PGM_RSRC2:TGID_Z_EN: 0
; COMPUTE_PGM_RSRC2:TIDIG_COMP_CNT: 0
; COMPUTE_PGM_RSRC3_GFX90A:ACCUM_OFFSET: 0
; COMPUTE_PGM_RSRC3_GFX90A:TG_SPLIT: 0
	.section	.text._ZN7rocprim17ROCPRIM_400000_NS6detail17trampoline_kernelINS0_14default_configENS1_25partition_config_selectorILNS1_17partition_subalgoE0EjNS0_10empty_typeEbEEZZNS1_14partition_implILS5_0ELb0ES3_jN6thrust23THRUST_200600_302600_NS6detail15normal_iteratorINSA_10device_ptrIjEEEEPS6_SG_NS0_5tupleIJNSA_16discard_iteratorINSA_11use_defaultEEESK_EEENSH_IJSG_SG_EEES6_PlJ7is_evenIjEEEE10hipError_tPvRmT3_T4_T5_T6_T7_T9_mT8_P12ihipStream_tbDpT10_ENKUlT_T0_E_clISt17integral_constantIbLb0EES19_EEDaS14_S15_EUlS14_E_NS1_11comp_targetILNS1_3genE5ELNS1_11target_archE942ELNS1_3gpuE9ELNS1_3repE0EEENS1_30default_config_static_selectorELNS0_4arch9wavefront6targetE1EEEvT1_,"axG",@progbits,_ZN7rocprim17ROCPRIM_400000_NS6detail17trampoline_kernelINS0_14default_configENS1_25partition_config_selectorILNS1_17partition_subalgoE0EjNS0_10empty_typeEbEEZZNS1_14partition_implILS5_0ELb0ES3_jN6thrust23THRUST_200600_302600_NS6detail15normal_iteratorINSA_10device_ptrIjEEEEPS6_SG_NS0_5tupleIJNSA_16discard_iteratorINSA_11use_defaultEEESK_EEENSH_IJSG_SG_EEES6_PlJ7is_evenIjEEEE10hipError_tPvRmT3_T4_T5_T6_T7_T9_mT8_P12ihipStream_tbDpT10_ENKUlT_T0_E_clISt17integral_constantIbLb0EES19_EEDaS14_S15_EUlS14_E_NS1_11comp_targetILNS1_3genE5ELNS1_11target_archE942ELNS1_3gpuE9ELNS1_3repE0EEENS1_30default_config_static_selectorELNS0_4arch9wavefront6targetE1EEEvT1_,comdat
	.protected	_ZN7rocprim17ROCPRIM_400000_NS6detail17trampoline_kernelINS0_14default_configENS1_25partition_config_selectorILNS1_17partition_subalgoE0EjNS0_10empty_typeEbEEZZNS1_14partition_implILS5_0ELb0ES3_jN6thrust23THRUST_200600_302600_NS6detail15normal_iteratorINSA_10device_ptrIjEEEEPS6_SG_NS0_5tupleIJNSA_16discard_iteratorINSA_11use_defaultEEESK_EEENSH_IJSG_SG_EEES6_PlJ7is_evenIjEEEE10hipError_tPvRmT3_T4_T5_T6_T7_T9_mT8_P12ihipStream_tbDpT10_ENKUlT_T0_E_clISt17integral_constantIbLb0EES19_EEDaS14_S15_EUlS14_E_NS1_11comp_targetILNS1_3genE5ELNS1_11target_archE942ELNS1_3gpuE9ELNS1_3repE0EEENS1_30default_config_static_selectorELNS0_4arch9wavefront6targetE1EEEvT1_ ; -- Begin function _ZN7rocprim17ROCPRIM_400000_NS6detail17trampoline_kernelINS0_14default_configENS1_25partition_config_selectorILNS1_17partition_subalgoE0EjNS0_10empty_typeEbEEZZNS1_14partition_implILS5_0ELb0ES3_jN6thrust23THRUST_200600_302600_NS6detail15normal_iteratorINSA_10device_ptrIjEEEEPS6_SG_NS0_5tupleIJNSA_16discard_iteratorINSA_11use_defaultEEESK_EEENSH_IJSG_SG_EEES6_PlJ7is_evenIjEEEE10hipError_tPvRmT3_T4_T5_T6_T7_T9_mT8_P12ihipStream_tbDpT10_ENKUlT_T0_E_clISt17integral_constantIbLb0EES19_EEDaS14_S15_EUlS14_E_NS1_11comp_targetILNS1_3genE5ELNS1_11target_archE942ELNS1_3gpuE9ELNS1_3repE0EEENS1_30default_config_static_selectorELNS0_4arch9wavefront6targetE1EEEvT1_
	.globl	_ZN7rocprim17ROCPRIM_400000_NS6detail17trampoline_kernelINS0_14default_configENS1_25partition_config_selectorILNS1_17partition_subalgoE0EjNS0_10empty_typeEbEEZZNS1_14partition_implILS5_0ELb0ES3_jN6thrust23THRUST_200600_302600_NS6detail15normal_iteratorINSA_10device_ptrIjEEEEPS6_SG_NS0_5tupleIJNSA_16discard_iteratorINSA_11use_defaultEEESK_EEENSH_IJSG_SG_EEES6_PlJ7is_evenIjEEEE10hipError_tPvRmT3_T4_T5_T6_T7_T9_mT8_P12ihipStream_tbDpT10_ENKUlT_T0_E_clISt17integral_constantIbLb0EES19_EEDaS14_S15_EUlS14_E_NS1_11comp_targetILNS1_3genE5ELNS1_11target_archE942ELNS1_3gpuE9ELNS1_3repE0EEENS1_30default_config_static_selectorELNS0_4arch9wavefront6targetE1EEEvT1_
	.p2align	8
	.type	_ZN7rocprim17ROCPRIM_400000_NS6detail17trampoline_kernelINS0_14default_configENS1_25partition_config_selectorILNS1_17partition_subalgoE0EjNS0_10empty_typeEbEEZZNS1_14partition_implILS5_0ELb0ES3_jN6thrust23THRUST_200600_302600_NS6detail15normal_iteratorINSA_10device_ptrIjEEEEPS6_SG_NS0_5tupleIJNSA_16discard_iteratorINSA_11use_defaultEEESK_EEENSH_IJSG_SG_EEES6_PlJ7is_evenIjEEEE10hipError_tPvRmT3_T4_T5_T6_T7_T9_mT8_P12ihipStream_tbDpT10_ENKUlT_T0_E_clISt17integral_constantIbLb0EES19_EEDaS14_S15_EUlS14_E_NS1_11comp_targetILNS1_3genE5ELNS1_11target_archE942ELNS1_3gpuE9ELNS1_3repE0EEENS1_30default_config_static_selectorELNS0_4arch9wavefront6targetE1EEEvT1_,@function
_ZN7rocprim17ROCPRIM_400000_NS6detail17trampoline_kernelINS0_14default_configENS1_25partition_config_selectorILNS1_17partition_subalgoE0EjNS0_10empty_typeEbEEZZNS1_14partition_implILS5_0ELb0ES3_jN6thrust23THRUST_200600_302600_NS6detail15normal_iteratorINSA_10device_ptrIjEEEEPS6_SG_NS0_5tupleIJNSA_16discard_iteratorINSA_11use_defaultEEESK_EEENSH_IJSG_SG_EEES6_PlJ7is_evenIjEEEE10hipError_tPvRmT3_T4_T5_T6_T7_T9_mT8_P12ihipStream_tbDpT10_ENKUlT_T0_E_clISt17integral_constantIbLb0EES19_EEDaS14_S15_EUlS14_E_NS1_11comp_targetILNS1_3genE5ELNS1_11target_archE942ELNS1_3gpuE9ELNS1_3repE0EEENS1_30default_config_static_selectorELNS0_4arch9wavefront6targetE1EEEvT1_: ; @_ZN7rocprim17ROCPRIM_400000_NS6detail17trampoline_kernelINS0_14default_configENS1_25partition_config_selectorILNS1_17partition_subalgoE0EjNS0_10empty_typeEbEEZZNS1_14partition_implILS5_0ELb0ES3_jN6thrust23THRUST_200600_302600_NS6detail15normal_iteratorINSA_10device_ptrIjEEEEPS6_SG_NS0_5tupleIJNSA_16discard_iteratorINSA_11use_defaultEEESK_EEENSH_IJSG_SG_EEES6_PlJ7is_evenIjEEEE10hipError_tPvRmT3_T4_T5_T6_T7_T9_mT8_P12ihipStream_tbDpT10_ENKUlT_T0_E_clISt17integral_constantIbLb0EES19_EEDaS14_S15_EUlS14_E_NS1_11comp_targetILNS1_3genE5ELNS1_11target_archE942ELNS1_3gpuE9ELNS1_3repE0EEENS1_30default_config_static_selectorELNS0_4arch9wavefront6targetE1EEEvT1_
; %bb.0:
	s_load_dwordx2 s[8:9], s[0:1], 0x68
	s_load_dwordx4 s[4:7], s[0:1], 0x8
	s_load_dwordx4 s[20:23], s[0:1], 0x58
	s_load_dword s3, s[0:1], 0x80
	s_waitcnt lgkmcnt(0)
	v_mov_b32_e32 v3, s9
	s_lshl_b64 s[10:11], s[6:7], 2
	s_add_u32 s9, s4, s10
	s_mul_i32 s4, s3, 0x1e00
	s_addc_u32 s12, s5, s11
	s_add_i32 s13, s3, -1
	s_add_i32 s3, s4, s6
	s_sub_i32 s3, s8, s3
	s_add_u32 s4, s6, s4
	s_addc_u32 s5, s7, 0
	s_cmp_eq_u32 s2, s13
	v_mov_b32_e32 v2, s8
	s_load_dwordx2 s[18:19], s[22:23], 0x0
	s_cselect_b64 s[22:23], -1, 0
	s_cmp_lg_u32 s2, s13
	s_mul_i32 s10, s2, 0x1e00
	s_mov_b32 s11, 0
	v_cmp_lt_u64_e32 vcc, s[4:5], v[2:3]
	s_cselect_b64 s[4:5], -1, 0
	s_or_b64 s[4:5], s[4:5], vcc
	s_lshl_b64 s[6:7], s[10:11], 2
	s_add_u32 s6, s9, s6
	s_addc_u32 s7, s12, s7
	s_mov_b64 s[8:9], -1
	s_and_b64 vcc, exec, s[4:5]
	s_cbranch_vccz .LBB2396_2
; %bb.1:
	v_lshlrev_b32_e32 v2, 2, v0
	v_mov_b32_e32 v3, 0
	v_lshl_add_u64 v[4:5], s[6:7], 0, v[2:3]
	v_add_co_u32_e32 v6, vcc, 0x1000, v4
	s_mov_b64 s[8:9], 0
	s_nop 0
	v_addc_co_u32_e32 v7, vcc, 0, v5, vcc
	v_add_co_u32_e32 v8, vcc, 0x2000, v4
	s_nop 1
	v_addc_co_u32_e32 v9, vcc, 0, v5, vcc
	v_add_co_u32_e32 v10, vcc, 0x3000, v4
	s_nop 1
	v_addc_co_u32_e32 v11, vcc, 0, v5, vcc
	flat_load_dword v1, v[4:5]
	flat_load_dword v3, v[4:5] offset:2048
	flat_load_dword v12, v[6:7]
	flat_load_dword v13, v[6:7] offset:2048
	;; [unrolled: 2-line block ×4, first 2 shown]
	v_add_co_u32_e32 v6, vcc, 0x4000, v4
	s_nop 1
	v_addc_co_u32_e32 v7, vcc, 0, v5, vcc
	v_add_co_u32_e32 v8, vcc, 0x5000, v4
	s_nop 1
	v_addc_co_u32_e32 v9, vcc, 0, v5, vcc
	v_add_co_u32_e32 v10, vcc, 0x6000, v4
	s_nop 1
	v_addc_co_u32_e32 v11, vcc, 0, v5, vcc
	v_add_co_u32_e32 v4, vcc, 0x7000, v4
	s_nop 1
	v_addc_co_u32_e32 v5, vcc, 0, v5, vcc
	flat_load_dword v18, v[6:7]
	flat_load_dword v19, v[6:7] offset:2048
	flat_load_dword v20, v[8:9]
	flat_load_dword v21, v[8:9] offset:2048
	;; [unrolled: 2-line block ×3, first 2 shown]
	flat_load_dword v24, v[4:5]
	s_waitcnt vmcnt(0) lgkmcnt(0)
	ds_write2st64_b32 v2, v1, v3 offset1:8
	ds_write2st64_b32 v2, v12, v13 offset0:16 offset1:24
	ds_write2st64_b32 v2, v14, v15 offset0:32 offset1:40
	ds_write2st64_b32 v2, v16, v17 offset0:48 offset1:56
	ds_write2st64_b32 v2, v18, v19 offset0:64 offset1:72
	ds_write2st64_b32 v2, v20, v21 offset0:80 offset1:88
	ds_write2st64_b32 v2, v22, v23 offset0:96 offset1:104
	ds_write_b32 v2, v24 offset:28672
	s_waitcnt lgkmcnt(0)
	s_barrier
.LBB2396_2:
	s_andn2_b64 vcc, exec, s[8:9]
	s_addk_i32 s3, 0x1e00
	s_cbranch_vccnz .LBB2396_34
; %bb.3:
	v_cmp_gt_u32_e32 vcc, s3, v0
                                        ; implicit-def: $vgpr2_vgpr3_vgpr4_vgpr5_vgpr6_vgpr7_vgpr8_vgpr9_vgpr10_vgpr11_vgpr12_vgpr13_vgpr14_vgpr15_vgpr16_vgpr17
	s_and_saveexec_b64 s[8:9], vcc
	s_cbranch_execz .LBB2396_5
; %bb.4:
	v_lshlrev_b32_e32 v2, 2, v0
	v_mov_b32_e32 v3, 0
	v_lshl_add_u64 v[2:3], s[6:7], 0, v[2:3]
	flat_load_dword v2, v[2:3]
.LBB2396_5:
	s_or_b64 exec, exec, s[8:9]
	v_or_b32_e32 v1, 0x200, v0
	v_cmp_gt_u32_e32 vcc, s3, v1
	s_and_saveexec_b64 s[8:9], vcc
	s_cbranch_execz .LBB2396_7
; %bb.6:
	v_lshlrev_b32_e32 v18, 2, v0
	v_mov_b32_e32 v19, 0
	v_lshl_add_u64 v[18:19], s[6:7], 0, v[18:19]
	flat_load_dword v3, v[18:19] offset:2048
.LBB2396_7:
	s_or_b64 exec, exec, s[8:9]
	v_or_b32_e32 v1, 0x400, v0
	v_cmp_gt_u32_e32 vcc, s3, v1
	s_and_saveexec_b64 s[8:9], vcc
	s_cbranch_execz .LBB2396_9
; %bb.8:
	v_lshlrev_b32_e32 v18, 2, v1
	v_mov_b32_e32 v19, 0
	v_lshl_add_u64 v[18:19], s[6:7], 0, v[18:19]
	flat_load_dword v4, v[18:19]
.LBB2396_9:
	s_or_b64 exec, exec, s[8:9]
	v_or_b32_e32 v1, 0x600, v0
	v_cmp_gt_u32_e32 vcc, s3, v1
	s_and_saveexec_b64 s[8:9], vcc
	s_cbranch_execz .LBB2396_11
; %bb.10:
	v_lshlrev_b32_e32 v18, 2, v1
	v_mov_b32_e32 v19, 0
	v_lshl_add_u64 v[18:19], s[6:7], 0, v[18:19]
	flat_load_dword v5, v[18:19]
.LBB2396_11:
	;; [unrolled: 11-line block ×13, first 2 shown]
	s_or_b64 exec, exec, s[8:9]
	v_lshlrev_b32_e32 v1, 2, v0
	s_waitcnt vmcnt(0) lgkmcnt(0)
	ds_write2st64_b32 v1, v2, v3 offset1:8
	ds_write2st64_b32 v1, v4, v5 offset0:16 offset1:24
	ds_write2st64_b32 v1, v6, v7 offset0:32 offset1:40
	;; [unrolled: 1-line block ×6, first 2 shown]
	ds_write_b32 v1, v16 offset:28672
	s_waitcnt lgkmcnt(0)
	s_barrier
.LBB2396_34:
	v_mul_u32_u24_e32 v36, 15, v0
	v_lshlrev_b32_e32 v1, 2, v36
	s_waitcnt lgkmcnt(0)
	ds_read2_b32 v[30:31], v1 offset1:1
	ds_read2_b32 v[28:29], v1 offset0:2 offset1:3
	ds_read2_b32 v[26:27], v1 offset0:4 offset1:5
	;; [unrolled: 1-line block ×6, first 2 shown]
	ds_read_b32 v1, v1 offset:56
	s_andn2_b64 vcc, exec, s[4:5]
	s_waitcnt lgkmcnt(7)
	v_xor_b32_e32 v16, -1, v30
	v_xor_b32_e32 v15, -1, v31
	s_waitcnt lgkmcnt(6)
	v_xor_b32_e32 v14, -1, v28
	v_xor_b32_e32 v13, -1, v29
	;; [unrolled: 3-line block ×7, first 2 shown]
	s_waitcnt lgkmcnt(0)
	v_xor_b32_e32 v2, -1, v1
	s_barrier
	s_cbranch_vccnz .LBB2396_36
; %bb.35:
	v_and_b32_e32 v49, 1, v16
	v_and_b32_e32 v48, 1, v15
	;; [unrolled: 1-line block ×15, first 2 shown]
	s_load_dwordx2 s[24:25], s[0:1], 0x78
	s_cbranch_execz .LBB2396_37
	s_branch .LBB2396_38
.LBB2396_36:
                                        ; implicit-def: $vgpr34
                                        ; implicit-def: $vgpr35
                                        ; implicit-def: $vgpr37
                                        ; implicit-def: $vgpr38
                                        ; implicit-def: $vgpr39
                                        ; implicit-def: $vgpr40
                                        ; implicit-def: $vgpr41
                                        ; implicit-def: $vgpr42
                                        ; implicit-def: $vgpr43
                                        ; implicit-def: $vgpr49
                                        ; implicit-def: $vgpr48
                                        ; implicit-def: $vgpr47
                                        ; implicit-def: $vgpr46
                                        ; implicit-def: $vgpr45
                                        ; implicit-def: $vgpr44
	s_load_dwordx2 s[24:25], s[0:1], 0x78
.LBB2396_37:
	v_add_u32_e32 v43, 1, v36
	v_cmp_gt_u32_e32 vcc, s3, v36
	v_add_u32_e32 v17, 2, v36
	v_add_u32_e32 v42, 3, v36
	v_cndmask_b32_e64 v44, 0, 1, vcc
	v_cmp_gt_u32_e32 vcc, s3, v43
	v_and_b32_e32 v49, v44, v16
	v_add_u32_e32 v32, 4, v36
	v_cndmask_b32_e64 v16, 0, 1, vcc
	v_cmp_gt_u32_e32 vcc, s3, v17
	v_and_b32_e32 v48, v16, v15
	;; [unrolled: 4-line block ×12, first 2 shown]
	s_nop 0
	v_cndmask_b32_e64 v5, 0, 1, vcc
	v_cmp_gt_u32_e32 vcc, s3, v51
	v_and_b32_e32 v37, v5, v4
	s_nop 0
	v_cndmask_b32_e64 v4, 0, 1, vcc
	v_cmp_gt_u32_e32 vcc, s3, v50
	v_and_b32_e32 v35, v4, v3
	s_nop 0
	v_cndmask_b32_e64 v3, 0, 1, vcc
	v_and_b32_e32 v34, v3, v2
.LBB2396_38:
	v_and_b32_e32 v53, 0xff, v46
	v_and_b32_e32 v54, 0xff, v45
	;; [unrolled: 1-line block ×5, first 2 shown]
	v_add3_u32 v3, v54, v55, v53
	v_and_b32_e32 v50, 0xff, v49
	v_and_b32_e32 v56, 0xff, v43
	v_add3_u32 v3, v3, v52, v51
	v_and_b32_e32 v57, 0xff, v42
	v_and_b32_e32 v58, 0xff, v41
	;; [unrolled: 3-line block ×5, first 2 shown]
	v_add3_u32 v3, v3, v61, v62
	v_add3_u32 v66, v3, v63, v2
	v_mbcnt_lo_u32_b32 v2, -1, 0
	v_mbcnt_hi_u32_b32 v64, -1, v2
	v_and_b32_e32 v2, 15, v64
	v_cmp_eq_u32_e64 s[12:13], 0, v2
	v_cmp_lt_u32_e64 s[10:11], 1, v2
	v_cmp_lt_u32_e64 s[8:9], 3, v2
	;; [unrolled: 1-line block ×3, first 2 shown]
	v_and_b32_e32 v2, 16, v64
	v_cmp_eq_u32_e64 s[4:5], 0, v2
	v_or_b32_e32 v2, 63, v0
	s_cmp_lg_u32 s2, 0
	v_cmp_lt_u32_e64 s[0:1], 31, v64
	v_lshrrev_b32_e32 v65, 6, v0
	v_cmp_eq_u32_e64 s[16:17], v2, v0
	s_cbranch_scc0 .LBB2396_65
; %bb.39:
	v_mov_b32_dpp v2, v66 row_shr:1 row_mask:0xf bank_mask:0xf
	v_cndmask_b32_e64 v2, v2, 0, s[12:13]
	v_add_u32_e32 v2, v2, v66
	s_nop 1
	v_mov_b32_dpp v3, v2 row_shr:2 row_mask:0xf bank_mask:0xf
	v_cndmask_b32_e64 v3, 0, v3, s[10:11]
	v_add_u32_e32 v2, v2, v3
	s_nop 1
	;; [unrolled: 4-line block ×4, first 2 shown]
	v_mov_b32_dpp v3, v2 row_bcast:15 row_mask:0xf bank_mask:0xf
	v_cndmask_b32_e64 v3, v3, 0, s[4:5]
	v_add_u32_e32 v2, v2, v3
	s_nop 1
	v_mov_b32_dpp v3, v2 row_bcast:31 row_mask:0xf bank_mask:0xf
	v_cndmask_b32_e64 v3, 0, v3, s[0:1]
	v_add_u32_e32 v2, v2, v3
	s_and_saveexec_b64 s[14:15], s[16:17]
	s_cbranch_execz .LBB2396_41
; %bb.40:
	v_lshlrev_b32_e32 v3, 2, v65
	ds_write_b32 v3, v2
.LBB2396_41:
	s_or_b64 exec, exec, s[14:15]
	v_cmp_gt_u32_e32 vcc, 8, v0
	s_waitcnt lgkmcnt(0)
	s_barrier
	s_and_saveexec_b64 s[14:15], vcc
	s_cbranch_execz .LBB2396_43
; %bb.42:
	v_lshlrev_b32_e32 v3, 2, v0
	ds_read_b32 v4, v3
	v_and_b32_e32 v5, 7, v64
	v_cmp_ne_u32_e32 vcc, 0, v5
	s_waitcnt lgkmcnt(0)
	v_mov_b32_dpp v6, v4 row_shr:1 row_mask:0xf bank_mask:0xf
	v_cndmask_b32_e32 v6, 0, v6, vcc
	v_add_u32_e32 v4, v6, v4
	v_cmp_lt_u32_e32 vcc, 1, v5
	s_nop 0
	v_mov_b32_dpp v6, v4 row_shr:2 row_mask:0xf bank_mask:0xf
	v_cndmask_b32_e32 v6, 0, v6, vcc
	v_add_u32_e32 v4, v4, v6
	v_cmp_lt_u32_e32 vcc, 3, v5
	s_nop 0
	v_mov_b32_dpp v6, v4 row_shr:4 row_mask:0xf bank_mask:0xf
	v_cndmask_b32_e32 v5, 0, v6, vcc
	v_add_u32_e32 v4, v4, v5
	ds_write_b32 v3, v4
.LBB2396_43:
	s_or_b64 exec, exec, s[14:15]
	v_cmp_gt_u32_e32 vcc, 64, v0
	v_cmp_lt_u32_e64 s[14:15], 63, v0
	s_waitcnt lgkmcnt(0)
	s_barrier
	s_waitcnt lgkmcnt(0)
                                        ; implicit-def: $vgpr12
	s_and_saveexec_b64 s[26:27], s[14:15]
	s_cbranch_execz .LBB2396_45
; %bb.44:
	v_lshl_add_u32 v3, v65, 2, -4
	ds_read_b32 v12, v3
	s_waitcnt lgkmcnt(0)
	v_add_u32_e32 v2, v12, v2
.LBB2396_45:
	s_or_b64 exec, exec, s[26:27]
	v_add_u32_e32 v3, -1, v64
	v_and_b32_e32 v4, 64, v64
	v_cmp_lt_i32_e64 s[14:15], v3, v4
	s_nop 1
	v_cndmask_b32_e64 v3, v3, v64, s[14:15]
	v_lshlrev_b32_e32 v3, 2, v3
	ds_bpermute_b32 v13, v3, v2
	v_cmp_eq_u32_e64 s[14:15], 0, v64
	s_and_saveexec_b64 s[26:27], vcc
	s_cbranch_execz .LBB2396_64
; %bb.46:
	v_mov_b32_e32 v9, 0
	ds_read_b32 v2, v9 offset:28
	s_and_saveexec_b64 s[28:29], s[14:15]
	s_cbranch_execz .LBB2396_48
; %bb.47:
	s_add_i32 s30, s2, 64
	s_mov_b32 s31, 0
	s_lshl_b64 s[30:31], s[30:31], 3
	s_add_u32 s30, s24, s30
	v_mov_b32_e32 v3, 1
	s_addc_u32 s31, s25, s31
	s_waitcnt lgkmcnt(0)
	global_store_dwordx2 v9, v[2:3], s[30:31] sc1
.LBB2396_48:
	s_or_b64 exec, exec, s[28:29]
	v_xad_u32 v4, v64, -1, s2
	v_add_u32_e32 v8, 64, v4
	v_lshl_add_u64 v[10:11], v[8:9], 3, s[24:25]
	global_load_dwordx2 v[6:7], v[10:11], off sc1
	s_waitcnt vmcnt(0)
	v_cmp_eq_u16_sdwa s[30:31], v7, v9 src0_sel:BYTE_0 src1_sel:DWORD
	s_and_saveexec_b64 s[28:29], s[30:31]
	s_cbranch_execz .LBB2396_52
; %bb.49:
	s_mov_b64 s[30:31], 0
	v_mov_b32_e32 v3, 0
.LBB2396_50:                            ; =>This Inner Loop Header: Depth=1
	global_load_dwordx2 v[6:7], v[10:11], off sc1
	s_waitcnt vmcnt(0)
	v_cmp_ne_u16_sdwa s[34:35], v7, v3 src0_sel:BYTE_0 src1_sel:DWORD
	s_or_b64 s[30:31], s[34:35], s[30:31]
	s_andn2_b64 exec, exec, s[30:31]
	s_cbranch_execnz .LBB2396_50
; %bb.51:
	s_or_b64 exec, exec, s[30:31]
.LBB2396_52:
	s_or_b64 exec, exec, s[28:29]
	v_and_b32_e32 v15, 63, v64
	v_mov_b32_e32 v14, 2
	v_cmp_ne_u32_e32 vcc, 63, v15
	v_cmp_eq_u16_sdwa s[28:29], v7, v14 src0_sel:BYTE_0 src1_sel:DWORD
	v_lshlrev_b64 v[8:9], v64, -1
	v_addc_co_u32_e32 v10, vcc, 0, v64, vcc
	v_and_b32_e32 v3, s29, v9
	v_lshlrev_b32_e32 v16, 2, v10
	v_or_b32_e32 v3, 0x80000000, v3
	ds_bpermute_b32 v10, v16, v6
	v_and_b32_e32 v5, s28, v8
	v_ffbl_b32_e32 v3, v3
	v_add_u32_e32 v3, 32, v3
	v_ffbl_b32_e32 v5, v5
	v_min_u32_e32 v3, v5, v3
	v_cmp_lt_u32_e32 vcc, v15, v3
	v_add_u32_e32 v32, 2, v15
	v_add_u32_e32 v67, 4, v15
	s_waitcnt lgkmcnt(0)
	v_cndmask_b32_e32 v5, 0, v10, vcc
	v_cmp_gt_u32_e32 vcc, 62, v15
	v_add_u32_e32 v5, v5, v6
	v_add_u32_e32 v69, 8, v15
	v_cndmask_b32_e64 v6, 0, 1, vcc
	v_lshlrev_b32_e32 v6, 1, v6
	v_add_lshl_u32 v17, v6, v64, 2
	ds_bpermute_b32 v6, v17, v5
	v_cmp_le_u32_e32 vcc, v32, v3
	v_add_u32_e32 v71, 16, v15
	v_add_u32_e32 v73, 32, v15
	s_waitcnt lgkmcnt(0)
	v_cndmask_b32_e32 v6, 0, v6, vcc
	v_cmp_gt_u32_e32 vcc, 60, v15
	v_add_u32_e32 v5, v5, v6
	s_nop 0
	v_cndmask_b32_e64 v6, 0, 1, vcc
	v_lshlrev_b32_e32 v6, 2, v6
	v_add_lshl_u32 v33, v6, v64, 2
	ds_bpermute_b32 v6, v33, v5
	v_cmp_le_u32_e32 vcc, v67, v3
	s_waitcnt lgkmcnt(0)
	s_nop 0
	v_cndmask_b32_e32 v6, 0, v6, vcc
	v_cmp_gt_u32_e32 vcc, 56, v15
	v_add_u32_e32 v5, v5, v6
	s_nop 0
	v_cndmask_b32_e64 v6, 0, 1, vcc
	v_lshlrev_b32_e32 v6, 3, v6
	v_add_lshl_u32 v68, v6, v64, 2
	ds_bpermute_b32 v6, v68, v5
	v_cmp_le_u32_e32 vcc, v69, v3
	s_waitcnt lgkmcnt(0)
	s_nop 0
	;; [unrolled: 11-line block ×4, first 2 shown]
	v_cndmask_b32_e32 v3, 0, v6, vcc
	v_add_u32_e32 v6, v5, v3
	v_mov_b32_e32 v5, 0
	s_branch .LBB2396_54
.LBB2396_53:                            ;   in Loop: Header=BB2396_54 Depth=1
	s_or_b64 exec, exec, s[28:29]
	v_cmp_eq_u16_sdwa s[28:29], v7, v14 src0_sel:BYTE_0 src1_sel:DWORD
	ds_bpermute_b32 v74, v16, v6
	v_subrev_u32_e32 v4, 64, v4
	v_and_b32_e32 v10, s29, v9
	v_or_b32_e32 v10, 0x80000000, v10
	v_and_b32_e32 v11, s28, v8
	v_ffbl_b32_e32 v10, v10
	v_add_u32_e32 v10, 32, v10
	v_ffbl_b32_e32 v11, v11
	v_min_u32_e32 v10, v11, v10
	v_cmp_lt_u32_e32 vcc, v15, v10
	s_waitcnt lgkmcnt(0)
	s_nop 0
	v_cndmask_b32_e32 v11, 0, v74, vcc
	v_add_u32_e32 v6, v11, v6
	ds_bpermute_b32 v11, v17, v6
	v_cmp_le_u32_e32 vcc, v32, v10
	s_waitcnt lgkmcnt(0)
	s_nop 0
	v_cndmask_b32_e32 v11, 0, v11, vcc
	v_add_u32_e32 v6, v6, v11
	ds_bpermute_b32 v11, v33, v6
	v_cmp_le_u32_e32 vcc, v67, v10
	;; [unrolled: 6-line block ×5, first 2 shown]
	s_waitcnt lgkmcnt(0)
	s_nop 0
	v_cndmask_b32_e32 v10, 0, v11, vcc
	v_add3_u32 v6, v10, v3, v6
.LBB2396_54:                            ; =>This Loop Header: Depth=1
                                        ;     Child Loop BB2396_57 Depth 2
	v_cmp_ne_u16_sdwa s[28:29], v7, v14 src0_sel:BYTE_0 src1_sel:DWORD
	s_nop 1
	v_cndmask_b32_e64 v3, 0, 1, s[28:29]
	;;#ASMSTART
	;;#ASMEND
	s_nop 0
	v_cmp_ne_u32_e32 vcc, 0, v3
	s_cmp_lg_u64 vcc, exec
	v_mov_b32_e32 v3, v6
	s_cbranch_scc1 .LBB2396_59
; %bb.55:                               ;   in Loop: Header=BB2396_54 Depth=1
	v_lshl_add_u64 v[10:11], v[4:5], 3, s[24:25]
	global_load_dwordx2 v[6:7], v[10:11], off sc1
	s_waitcnt vmcnt(0)
	v_cmp_eq_u16_sdwa s[30:31], v7, v5 src0_sel:BYTE_0 src1_sel:DWORD
	s_and_saveexec_b64 s[28:29], s[30:31]
	s_cbranch_execz .LBB2396_53
; %bb.56:                               ;   in Loop: Header=BB2396_54 Depth=1
	s_mov_b64 s[30:31], 0
.LBB2396_57:                            ;   Parent Loop BB2396_54 Depth=1
                                        ; =>  This Inner Loop Header: Depth=2
	global_load_dwordx2 v[6:7], v[10:11], off sc1
	s_waitcnt vmcnt(0)
	v_cmp_ne_u16_sdwa s[34:35], v7, v5 src0_sel:BYTE_0 src1_sel:DWORD
	s_or_b64 s[30:31], s[34:35], s[30:31]
	s_andn2_b64 exec, exec, s[30:31]
	s_cbranch_execnz .LBB2396_57
; %bb.58:                               ;   in Loop: Header=BB2396_54 Depth=1
	s_or_b64 exec, exec, s[30:31]
	s_branch .LBB2396_53
.LBB2396_59:                            ;   in Loop: Header=BB2396_54 Depth=1
                                        ; implicit-def: $vgpr6
                                        ; implicit-def: $vgpr7
	s_cbranch_execz .LBB2396_54
; %bb.60:
	s_and_saveexec_b64 s[28:29], s[14:15]
	s_cbranch_execz .LBB2396_62
; %bb.61:
	s_add_i32 s2, s2, 64
	s_mov_b32 s3, 0
	s_lshl_b64 s[2:3], s[2:3], 3
	s_add_u32 s2, s24, s2
	v_add_u32_e32 v4, v3, v2
	v_mov_b32_e32 v5, 2
	s_addc_u32 s3, s25, s3
	v_mov_b32_e32 v6, 0
	global_store_dwordx2 v6, v[4:5], s[2:3] sc1
	ds_write_b64 v6, v[2:3] offset:30720
.LBB2396_62:
	s_or_b64 exec, exec, s[28:29]
	v_cmp_eq_u32_e32 vcc, 0, v0
	s_and_b64 exec, exec, vcc
	s_cbranch_execz .LBB2396_64
; %bb.63:
	v_mov_b32_e32 v2, 0
	ds_write_b32 v2, v3 offset:28
.LBB2396_64:
	s_or_b64 exec, exec, s[26:27]
	v_mov_b32_e32 v14, 0
	s_waitcnt lgkmcnt(0)
	s_barrier
	ds_read_b32 v2, v14 offset:28
	v_cndmask_b32_e64 v3, v13, v12, s[14:15]
	v_cmp_ne_u32_e32 vcc, 0, v0
	s_waitcnt lgkmcnt(0)
	s_barrier
	v_cndmask_b32_e32 v3, 0, v3, vcc
	v_add_u32_e32 v2, v2, v3
	v_add_u32_e32 v3, v2, v50
	;; [unrolled: 1-line block ×11, first 2 shown]
	ds_read_b64 v[32:33], v14 offset:30720
	v_add_u32_e32 v13, v12, v60
	v_add_u32_e32 v14, v13, v61
	;; [unrolled: 1-line block ×4, first 2 shown]
	s_branch .LBB2396_75
.LBB2396_65:
                                        ; implicit-def: $vgpr33
                                        ; implicit-def: $vgpr2_vgpr3_vgpr4_vgpr5_vgpr6_vgpr7_vgpr8_vgpr9_vgpr10_vgpr11_vgpr12_vgpr13_vgpr14_vgpr15_vgpr16_vgpr17
	s_cbranch_execz .LBB2396_75
; %bb.66:
	s_nop 0
	v_mov_b32_dpp v2, v66 row_shr:1 row_mask:0xf bank_mask:0xf
	v_cndmask_b32_e64 v2, v2, 0, s[12:13]
	v_add_u32_e32 v2, v2, v66
	s_nop 1
	v_mov_b32_dpp v3, v2 row_shr:2 row_mask:0xf bank_mask:0xf
	v_cndmask_b32_e64 v3, 0, v3, s[10:11]
	v_add_u32_e32 v2, v2, v3
	;; [unrolled: 4-line block ×4, first 2 shown]
	s_nop 1
	v_mov_b32_dpp v3, v2 row_bcast:15 row_mask:0xf bank_mask:0xf
	v_cndmask_b32_e64 v3, v3, 0, s[4:5]
	v_add_u32_e32 v2, v2, v3
	s_nop 1
	v_mov_b32_dpp v3, v2 row_bcast:31 row_mask:0xf bank_mask:0xf
	v_cndmask_b32_e64 v3, 0, v3, s[0:1]
	v_add_u32_e32 v2, v2, v3
	s_and_saveexec_b64 s[0:1], s[16:17]
	s_cbranch_execz .LBB2396_68
; %bb.67:
	v_lshlrev_b32_e32 v3, 2, v65
	ds_write_b32 v3, v2
.LBB2396_68:
	s_or_b64 exec, exec, s[0:1]
	v_cmp_gt_u32_e32 vcc, 8, v0
	s_waitcnt lgkmcnt(0)
	s_barrier
	s_and_saveexec_b64 s[0:1], vcc
	s_cbranch_execz .LBB2396_70
; %bb.69:
	v_lshlrev_b32_e32 v3, 2, v0
	ds_read_b32 v4, v3
	v_and_b32_e32 v5, 7, v64
	v_cmp_ne_u32_e32 vcc, 0, v5
	s_waitcnt lgkmcnt(0)
	v_mov_b32_dpp v6, v4 row_shr:1 row_mask:0xf bank_mask:0xf
	v_cndmask_b32_e32 v6, 0, v6, vcc
	v_add_u32_e32 v4, v6, v4
	v_cmp_lt_u32_e32 vcc, 1, v5
	s_nop 0
	v_mov_b32_dpp v6, v4 row_shr:2 row_mask:0xf bank_mask:0xf
	v_cndmask_b32_e32 v6, 0, v6, vcc
	v_add_u32_e32 v4, v4, v6
	v_cmp_lt_u32_e32 vcc, 3, v5
	s_nop 0
	v_mov_b32_dpp v6, v4 row_shr:4 row_mask:0xf bank_mask:0xf
	v_cndmask_b32_e32 v5, 0, v6, vcc
	v_add_u32_e32 v4, v4, v5
	ds_write_b32 v3, v4
.LBB2396_70:
	s_or_b64 exec, exec, s[0:1]
	v_cmp_lt_u32_e32 vcc, 63, v0
	v_mov_b32_e32 v4, 0
	v_mov_b32_e32 v3, 0
	s_waitcnt lgkmcnt(0)
	s_barrier
	s_and_saveexec_b64 s[0:1], vcc
	s_cbranch_execz .LBB2396_72
; %bb.71:
	v_lshl_add_u32 v3, v65, 2, -4
	ds_read_b32 v3, v3
.LBB2396_72:
	s_or_b64 exec, exec, s[0:1]
	v_add_u32_e32 v5, -1, v64
	v_and_b32_e32 v6, 64, v64
	v_cmp_lt_i32_e32 vcc, v5, v6
	s_waitcnt lgkmcnt(0)
	v_add_u32_e32 v2, v3, v2
	ds_read_b32 v32, v4 offset:28
	v_cndmask_b32_e32 v5, v5, v64, vcc
	v_lshlrev_b32_e32 v5, 2, v5
	ds_bpermute_b32 v2, v5, v2
	v_cmp_eq_u32_e32 vcc, 0, v0
	s_and_saveexec_b64 s[0:1], vcc
	s_cbranch_execz .LBB2396_74
; %bb.73:
	v_mov_b32_e32 v4, 0
	v_mov_b32_e32 v33, 2
	s_waitcnt lgkmcnt(1)
	global_store_dwordx2 v4, v[32:33], s[24:25] offset:512 sc1
.LBB2396_74:
	s_or_b64 exec, exec, s[0:1]
	v_cmp_eq_u32_e64 s[0:1], 0, v64
	v_mov_b32_e32 v33, 0
	s_waitcnt lgkmcnt(0)
	v_cndmask_b32_e64 v2, v2, v3, s[0:1]
	v_cndmask_b32_e64 v2, v2, 0, vcc
	v_add_u32_e32 v3, v2, v50
	v_add_u32_e32 v4, v3, v51
	;; [unrolled: 1-line block ×14, first 2 shown]
	s_barrier
.LBB2396_75:
	s_waitcnt lgkmcnt(0)
	v_add_u32_e32 v17, v32, v36
	v_sub_u32_e32 v2, v2, v33
	v_and_b32_e32 v49, 1, v49
	v_sub_u32_e32 v36, v17, v2
	v_cmp_eq_u32_e32 vcc, 1, v49
	s_nop 1
	v_cndmask_b32_e32 v2, v36, v2, vcc
	v_lshlrev_b32_e32 v2, 2, v2
	ds_write_b32 v2, v30
	v_sub_u32_e32 v2, v3, v33
	v_sub_u32_e32 v3, v17, v2
	v_and_b32_e32 v30, 1, v48
	v_add_u32_e32 v3, 1, v3
	v_cmp_eq_u32_e32 vcc, 1, v30
	s_nop 1
	v_cndmask_b32_e32 v2, v3, v2, vcc
	v_lshlrev_b32_e32 v2, 2, v2
	ds_write_b32 v2, v31
	v_sub_u32_e32 v2, v4, v33
	v_sub_u32_e32 v3, v17, v2
	v_and_b32_e32 v4, 1, v47
	v_add_u32_e32 v3, 2, v3
	v_cmp_eq_u32_e32 vcc, 1, v4
	v_and_b32_e32 v4, 1, v46
	s_nop 0
	v_cndmask_b32_e32 v2, v3, v2, vcc
	v_lshlrev_b32_e32 v2, 2, v2
	ds_write_b32 v2, v28
	v_sub_u32_e32 v2, v5, v33
	v_sub_u32_e32 v3, v17, v2
	v_add_u32_e32 v3, 3, v3
	v_cmp_eq_u32_e32 vcc, 1, v4
	v_and_b32_e32 v4, 1, v45
	s_nop 0
	v_cndmask_b32_e32 v2, v3, v2, vcc
	v_lshlrev_b32_e32 v2, 2, v2
	ds_write_b32 v2, v29
	v_sub_u32_e32 v2, v6, v33
	v_sub_u32_e32 v3, v17, v2
	;; [unrolled: 9-line block ×12, first 2 shown]
	v_add_u32_e32 v3, 14, v3
	v_cmp_eq_u32_e32 vcc, 1, v4
	s_nop 1
	v_cndmask_b32_e32 v2, v3, v2, vcc
	v_cmp_eq_u32_e32 vcc, 0, v0
	v_lshlrev_b32_e32 v2, 2, v2
	s_and_b64 s[0:1], vcc, s[22:23]
	ds_write_b32 v2, v1
	s_waitcnt lgkmcnt(0)
	s_barrier
	s_and_saveexec_b64 s[2:3], s[0:1]
	s_cbranch_execz .LBB2396_77
; %bb.76:
	v_mov_b32_e32 v1, 0
	v_mov_b32_e32 v0, v32
	v_lshl_add_u64 v[2:3], s[18:19], 0, v[0:1]
	v_mov_b32_e32 v0, v33
	v_lshl_add_u64 v[2:3], v[2:3], 0, v[0:1]
	global_store_dwordx2 v1, v[2:3], s[20:21]
.LBB2396_77:
	s_endpgm
	.section	.rodata,"a",@progbits
	.p2align	6, 0x0
	.amdhsa_kernel _ZN7rocprim17ROCPRIM_400000_NS6detail17trampoline_kernelINS0_14default_configENS1_25partition_config_selectorILNS1_17partition_subalgoE0EjNS0_10empty_typeEbEEZZNS1_14partition_implILS5_0ELb0ES3_jN6thrust23THRUST_200600_302600_NS6detail15normal_iteratorINSA_10device_ptrIjEEEEPS6_SG_NS0_5tupleIJNSA_16discard_iteratorINSA_11use_defaultEEESK_EEENSH_IJSG_SG_EEES6_PlJ7is_evenIjEEEE10hipError_tPvRmT3_T4_T5_T6_T7_T9_mT8_P12ihipStream_tbDpT10_ENKUlT_T0_E_clISt17integral_constantIbLb0EES19_EEDaS14_S15_EUlS14_E_NS1_11comp_targetILNS1_3genE5ELNS1_11target_archE942ELNS1_3gpuE9ELNS1_3repE0EEENS1_30default_config_static_selectorELNS0_4arch9wavefront6targetE1EEEvT1_
		.amdhsa_group_segment_fixed_size 30728
		.amdhsa_private_segment_fixed_size 0
		.amdhsa_kernarg_size 136
		.amdhsa_user_sgpr_count 2
		.amdhsa_user_sgpr_dispatch_ptr 0
		.amdhsa_user_sgpr_queue_ptr 0
		.amdhsa_user_sgpr_kernarg_segment_ptr 1
		.amdhsa_user_sgpr_dispatch_id 0
		.amdhsa_user_sgpr_kernarg_preload_length 0
		.amdhsa_user_sgpr_kernarg_preload_offset 0
		.amdhsa_user_sgpr_private_segment_size 0
		.amdhsa_uses_dynamic_stack 0
		.amdhsa_enable_private_segment 0
		.amdhsa_system_sgpr_workgroup_id_x 1
		.amdhsa_system_sgpr_workgroup_id_y 0
		.amdhsa_system_sgpr_workgroup_id_z 0
		.amdhsa_system_sgpr_workgroup_info 0
		.amdhsa_system_vgpr_workitem_id 0
		.amdhsa_next_free_vgpr 75
		.amdhsa_next_free_sgpr 36
		.amdhsa_accum_offset 76
		.amdhsa_reserve_vcc 1
		.amdhsa_float_round_mode_32 0
		.amdhsa_float_round_mode_16_64 0
		.amdhsa_float_denorm_mode_32 3
		.amdhsa_float_denorm_mode_16_64 3
		.amdhsa_dx10_clamp 1
		.amdhsa_ieee_mode 1
		.amdhsa_fp16_overflow 0
		.amdhsa_tg_split 0
		.amdhsa_exception_fp_ieee_invalid_op 0
		.amdhsa_exception_fp_denorm_src 0
		.amdhsa_exception_fp_ieee_div_zero 0
		.amdhsa_exception_fp_ieee_overflow 0
		.amdhsa_exception_fp_ieee_underflow 0
		.amdhsa_exception_fp_ieee_inexact 0
		.amdhsa_exception_int_div_zero 0
	.end_amdhsa_kernel
	.section	.text._ZN7rocprim17ROCPRIM_400000_NS6detail17trampoline_kernelINS0_14default_configENS1_25partition_config_selectorILNS1_17partition_subalgoE0EjNS0_10empty_typeEbEEZZNS1_14partition_implILS5_0ELb0ES3_jN6thrust23THRUST_200600_302600_NS6detail15normal_iteratorINSA_10device_ptrIjEEEEPS6_SG_NS0_5tupleIJNSA_16discard_iteratorINSA_11use_defaultEEESK_EEENSH_IJSG_SG_EEES6_PlJ7is_evenIjEEEE10hipError_tPvRmT3_T4_T5_T6_T7_T9_mT8_P12ihipStream_tbDpT10_ENKUlT_T0_E_clISt17integral_constantIbLb0EES19_EEDaS14_S15_EUlS14_E_NS1_11comp_targetILNS1_3genE5ELNS1_11target_archE942ELNS1_3gpuE9ELNS1_3repE0EEENS1_30default_config_static_selectorELNS0_4arch9wavefront6targetE1EEEvT1_,"axG",@progbits,_ZN7rocprim17ROCPRIM_400000_NS6detail17trampoline_kernelINS0_14default_configENS1_25partition_config_selectorILNS1_17partition_subalgoE0EjNS0_10empty_typeEbEEZZNS1_14partition_implILS5_0ELb0ES3_jN6thrust23THRUST_200600_302600_NS6detail15normal_iteratorINSA_10device_ptrIjEEEEPS6_SG_NS0_5tupleIJNSA_16discard_iteratorINSA_11use_defaultEEESK_EEENSH_IJSG_SG_EEES6_PlJ7is_evenIjEEEE10hipError_tPvRmT3_T4_T5_T6_T7_T9_mT8_P12ihipStream_tbDpT10_ENKUlT_T0_E_clISt17integral_constantIbLb0EES19_EEDaS14_S15_EUlS14_E_NS1_11comp_targetILNS1_3genE5ELNS1_11target_archE942ELNS1_3gpuE9ELNS1_3repE0EEENS1_30default_config_static_selectorELNS0_4arch9wavefront6targetE1EEEvT1_,comdat
.Lfunc_end2396:
	.size	_ZN7rocprim17ROCPRIM_400000_NS6detail17trampoline_kernelINS0_14default_configENS1_25partition_config_selectorILNS1_17partition_subalgoE0EjNS0_10empty_typeEbEEZZNS1_14partition_implILS5_0ELb0ES3_jN6thrust23THRUST_200600_302600_NS6detail15normal_iteratorINSA_10device_ptrIjEEEEPS6_SG_NS0_5tupleIJNSA_16discard_iteratorINSA_11use_defaultEEESK_EEENSH_IJSG_SG_EEES6_PlJ7is_evenIjEEEE10hipError_tPvRmT3_T4_T5_T6_T7_T9_mT8_P12ihipStream_tbDpT10_ENKUlT_T0_E_clISt17integral_constantIbLb0EES19_EEDaS14_S15_EUlS14_E_NS1_11comp_targetILNS1_3genE5ELNS1_11target_archE942ELNS1_3gpuE9ELNS1_3repE0EEENS1_30default_config_static_selectorELNS0_4arch9wavefront6targetE1EEEvT1_, .Lfunc_end2396-_ZN7rocprim17ROCPRIM_400000_NS6detail17trampoline_kernelINS0_14default_configENS1_25partition_config_selectorILNS1_17partition_subalgoE0EjNS0_10empty_typeEbEEZZNS1_14partition_implILS5_0ELb0ES3_jN6thrust23THRUST_200600_302600_NS6detail15normal_iteratorINSA_10device_ptrIjEEEEPS6_SG_NS0_5tupleIJNSA_16discard_iteratorINSA_11use_defaultEEESK_EEENSH_IJSG_SG_EEES6_PlJ7is_evenIjEEEE10hipError_tPvRmT3_T4_T5_T6_T7_T9_mT8_P12ihipStream_tbDpT10_ENKUlT_T0_E_clISt17integral_constantIbLb0EES19_EEDaS14_S15_EUlS14_E_NS1_11comp_targetILNS1_3genE5ELNS1_11target_archE942ELNS1_3gpuE9ELNS1_3repE0EEENS1_30default_config_static_selectorELNS0_4arch9wavefront6targetE1EEEvT1_
                                        ; -- End function
	.section	.AMDGPU.csdata,"",@progbits
; Kernel info:
; codeLenInByte = 4804
; NumSgprs: 42
; NumVgprs: 75
; NumAgprs: 0
; TotalNumVgprs: 75
; ScratchSize: 0
; MemoryBound: 0
; FloatMode: 240
; IeeeMode: 1
; LDSByteSize: 30728 bytes/workgroup (compile time only)
; SGPRBlocks: 5
; VGPRBlocks: 9
; NumSGPRsForWavesPerEU: 42
; NumVGPRsForWavesPerEU: 75
; AccumOffset: 76
; Occupancy: 4
; WaveLimiterHint : 1
; COMPUTE_PGM_RSRC2:SCRATCH_EN: 0
; COMPUTE_PGM_RSRC2:USER_SGPR: 2
; COMPUTE_PGM_RSRC2:TRAP_HANDLER: 0
; COMPUTE_PGM_RSRC2:TGID_X_EN: 1
; COMPUTE_PGM_RSRC2:TGID_Y_EN: 0
; COMPUTE_PGM_RSRC2:TGID_Z_EN: 0
; COMPUTE_PGM_RSRC2:TIDIG_COMP_CNT: 0
; COMPUTE_PGM_RSRC3_GFX90A:ACCUM_OFFSET: 18
; COMPUTE_PGM_RSRC3_GFX90A:TG_SPLIT: 0
	.section	.text._ZN7rocprim17ROCPRIM_400000_NS6detail17trampoline_kernelINS0_14default_configENS1_25partition_config_selectorILNS1_17partition_subalgoE0EjNS0_10empty_typeEbEEZZNS1_14partition_implILS5_0ELb0ES3_jN6thrust23THRUST_200600_302600_NS6detail15normal_iteratorINSA_10device_ptrIjEEEEPS6_SG_NS0_5tupleIJNSA_16discard_iteratorINSA_11use_defaultEEESK_EEENSH_IJSG_SG_EEES6_PlJ7is_evenIjEEEE10hipError_tPvRmT3_T4_T5_T6_T7_T9_mT8_P12ihipStream_tbDpT10_ENKUlT_T0_E_clISt17integral_constantIbLb0EES19_EEDaS14_S15_EUlS14_E_NS1_11comp_targetILNS1_3genE4ELNS1_11target_archE910ELNS1_3gpuE8ELNS1_3repE0EEENS1_30default_config_static_selectorELNS0_4arch9wavefront6targetE1EEEvT1_,"axG",@progbits,_ZN7rocprim17ROCPRIM_400000_NS6detail17trampoline_kernelINS0_14default_configENS1_25partition_config_selectorILNS1_17partition_subalgoE0EjNS0_10empty_typeEbEEZZNS1_14partition_implILS5_0ELb0ES3_jN6thrust23THRUST_200600_302600_NS6detail15normal_iteratorINSA_10device_ptrIjEEEEPS6_SG_NS0_5tupleIJNSA_16discard_iteratorINSA_11use_defaultEEESK_EEENSH_IJSG_SG_EEES6_PlJ7is_evenIjEEEE10hipError_tPvRmT3_T4_T5_T6_T7_T9_mT8_P12ihipStream_tbDpT10_ENKUlT_T0_E_clISt17integral_constantIbLb0EES19_EEDaS14_S15_EUlS14_E_NS1_11comp_targetILNS1_3genE4ELNS1_11target_archE910ELNS1_3gpuE8ELNS1_3repE0EEENS1_30default_config_static_selectorELNS0_4arch9wavefront6targetE1EEEvT1_,comdat
	.protected	_ZN7rocprim17ROCPRIM_400000_NS6detail17trampoline_kernelINS0_14default_configENS1_25partition_config_selectorILNS1_17partition_subalgoE0EjNS0_10empty_typeEbEEZZNS1_14partition_implILS5_0ELb0ES3_jN6thrust23THRUST_200600_302600_NS6detail15normal_iteratorINSA_10device_ptrIjEEEEPS6_SG_NS0_5tupleIJNSA_16discard_iteratorINSA_11use_defaultEEESK_EEENSH_IJSG_SG_EEES6_PlJ7is_evenIjEEEE10hipError_tPvRmT3_T4_T5_T6_T7_T9_mT8_P12ihipStream_tbDpT10_ENKUlT_T0_E_clISt17integral_constantIbLb0EES19_EEDaS14_S15_EUlS14_E_NS1_11comp_targetILNS1_3genE4ELNS1_11target_archE910ELNS1_3gpuE8ELNS1_3repE0EEENS1_30default_config_static_selectorELNS0_4arch9wavefront6targetE1EEEvT1_ ; -- Begin function _ZN7rocprim17ROCPRIM_400000_NS6detail17trampoline_kernelINS0_14default_configENS1_25partition_config_selectorILNS1_17partition_subalgoE0EjNS0_10empty_typeEbEEZZNS1_14partition_implILS5_0ELb0ES3_jN6thrust23THRUST_200600_302600_NS6detail15normal_iteratorINSA_10device_ptrIjEEEEPS6_SG_NS0_5tupleIJNSA_16discard_iteratorINSA_11use_defaultEEESK_EEENSH_IJSG_SG_EEES6_PlJ7is_evenIjEEEE10hipError_tPvRmT3_T4_T5_T6_T7_T9_mT8_P12ihipStream_tbDpT10_ENKUlT_T0_E_clISt17integral_constantIbLb0EES19_EEDaS14_S15_EUlS14_E_NS1_11comp_targetILNS1_3genE4ELNS1_11target_archE910ELNS1_3gpuE8ELNS1_3repE0EEENS1_30default_config_static_selectorELNS0_4arch9wavefront6targetE1EEEvT1_
	.globl	_ZN7rocprim17ROCPRIM_400000_NS6detail17trampoline_kernelINS0_14default_configENS1_25partition_config_selectorILNS1_17partition_subalgoE0EjNS0_10empty_typeEbEEZZNS1_14partition_implILS5_0ELb0ES3_jN6thrust23THRUST_200600_302600_NS6detail15normal_iteratorINSA_10device_ptrIjEEEEPS6_SG_NS0_5tupleIJNSA_16discard_iteratorINSA_11use_defaultEEESK_EEENSH_IJSG_SG_EEES6_PlJ7is_evenIjEEEE10hipError_tPvRmT3_T4_T5_T6_T7_T9_mT8_P12ihipStream_tbDpT10_ENKUlT_T0_E_clISt17integral_constantIbLb0EES19_EEDaS14_S15_EUlS14_E_NS1_11comp_targetILNS1_3genE4ELNS1_11target_archE910ELNS1_3gpuE8ELNS1_3repE0EEENS1_30default_config_static_selectorELNS0_4arch9wavefront6targetE1EEEvT1_
	.p2align	8
	.type	_ZN7rocprim17ROCPRIM_400000_NS6detail17trampoline_kernelINS0_14default_configENS1_25partition_config_selectorILNS1_17partition_subalgoE0EjNS0_10empty_typeEbEEZZNS1_14partition_implILS5_0ELb0ES3_jN6thrust23THRUST_200600_302600_NS6detail15normal_iteratorINSA_10device_ptrIjEEEEPS6_SG_NS0_5tupleIJNSA_16discard_iteratorINSA_11use_defaultEEESK_EEENSH_IJSG_SG_EEES6_PlJ7is_evenIjEEEE10hipError_tPvRmT3_T4_T5_T6_T7_T9_mT8_P12ihipStream_tbDpT10_ENKUlT_T0_E_clISt17integral_constantIbLb0EES19_EEDaS14_S15_EUlS14_E_NS1_11comp_targetILNS1_3genE4ELNS1_11target_archE910ELNS1_3gpuE8ELNS1_3repE0EEENS1_30default_config_static_selectorELNS0_4arch9wavefront6targetE1EEEvT1_,@function
_ZN7rocprim17ROCPRIM_400000_NS6detail17trampoline_kernelINS0_14default_configENS1_25partition_config_selectorILNS1_17partition_subalgoE0EjNS0_10empty_typeEbEEZZNS1_14partition_implILS5_0ELb0ES3_jN6thrust23THRUST_200600_302600_NS6detail15normal_iteratorINSA_10device_ptrIjEEEEPS6_SG_NS0_5tupleIJNSA_16discard_iteratorINSA_11use_defaultEEESK_EEENSH_IJSG_SG_EEES6_PlJ7is_evenIjEEEE10hipError_tPvRmT3_T4_T5_T6_T7_T9_mT8_P12ihipStream_tbDpT10_ENKUlT_T0_E_clISt17integral_constantIbLb0EES19_EEDaS14_S15_EUlS14_E_NS1_11comp_targetILNS1_3genE4ELNS1_11target_archE910ELNS1_3gpuE8ELNS1_3repE0EEENS1_30default_config_static_selectorELNS0_4arch9wavefront6targetE1EEEvT1_: ; @_ZN7rocprim17ROCPRIM_400000_NS6detail17trampoline_kernelINS0_14default_configENS1_25partition_config_selectorILNS1_17partition_subalgoE0EjNS0_10empty_typeEbEEZZNS1_14partition_implILS5_0ELb0ES3_jN6thrust23THRUST_200600_302600_NS6detail15normal_iteratorINSA_10device_ptrIjEEEEPS6_SG_NS0_5tupleIJNSA_16discard_iteratorINSA_11use_defaultEEESK_EEENSH_IJSG_SG_EEES6_PlJ7is_evenIjEEEE10hipError_tPvRmT3_T4_T5_T6_T7_T9_mT8_P12ihipStream_tbDpT10_ENKUlT_T0_E_clISt17integral_constantIbLb0EES19_EEDaS14_S15_EUlS14_E_NS1_11comp_targetILNS1_3genE4ELNS1_11target_archE910ELNS1_3gpuE8ELNS1_3repE0EEENS1_30default_config_static_selectorELNS0_4arch9wavefront6targetE1EEEvT1_
; %bb.0:
	.section	.rodata,"a",@progbits
	.p2align	6, 0x0
	.amdhsa_kernel _ZN7rocprim17ROCPRIM_400000_NS6detail17trampoline_kernelINS0_14default_configENS1_25partition_config_selectorILNS1_17partition_subalgoE0EjNS0_10empty_typeEbEEZZNS1_14partition_implILS5_0ELb0ES3_jN6thrust23THRUST_200600_302600_NS6detail15normal_iteratorINSA_10device_ptrIjEEEEPS6_SG_NS0_5tupleIJNSA_16discard_iteratorINSA_11use_defaultEEESK_EEENSH_IJSG_SG_EEES6_PlJ7is_evenIjEEEE10hipError_tPvRmT3_T4_T5_T6_T7_T9_mT8_P12ihipStream_tbDpT10_ENKUlT_T0_E_clISt17integral_constantIbLb0EES19_EEDaS14_S15_EUlS14_E_NS1_11comp_targetILNS1_3genE4ELNS1_11target_archE910ELNS1_3gpuE8ELNS1_3repE0EEENS1_30default_config_static_selectorELNS0_4arch9wavefront6targetE1EEEvT1_
		.amdhsa_group_segment_fixed_size 0
		.amdhsa_private_segment_fixed_size 0
		.amdhsa_kernarg_size 136
		.amdhsa_user_sgpr_count 2
		.amdhsa_user_sgpr_dispatch_ptr 0
		.amdhsa_user_sgpr_queue_ptr 0
		.amdhsa_user_sgpr_kernarg_segment_ptr 1
		.amdhsa_user_sgpr_dispatch_id 0
		.amdhsa_user_sgpr_kernarg_preload_length 0
		.amdhsa_user_sgpr_kernarg_preload_offset 0
		.amdhsa_user_sgpr_private_segment_size 0
		.amdhsa_uses_dynamic_stack 0
		.amdhsa_enable_private_segment 0
		.amdhsa_system_sgpr_workgroup_id_x 1
		.amdhsa_system_sgpr_workgroup_id_y 0
		.amdhsa_system_sgpr_workgroup_id_z 0
		.amdhsa_system_sgpr_workgroup_info 0
		.amdhsa_system_vgpr_workitem_id 0
		.amdhsa_next_free_vgpr 1
		.amdhsa_next_free_sgpr 0
		.amdhsa_accum_offset 4
		.amdhsa_reserve_vcc 0
		.amdhsa_float_round_mode_32 0
		.amdhsa_float_round_mode_16_64 0
		.amdhsa_float_denorm_mode_32 3
		.amdhsa_float_denorm_mode_16_64 3
		.amdhsa_dx10_clamp 1
		.amdhsa_ieee_mode 1
		.amdhsa_fp16_overflow 0
		.amdhsa_tg_split 0
		.amdhsa_exception_fp_ieee_invalid_op 0
		.amdhsa_exception_fp_denorm_src 0
		.amdhsa_exception_fp_ieee_div_zero 0
		.amdhsa_exception_fp_ieee_overflow 0
		.amdhsa_exception_fp_ieee_underflow 0
		.amdhsa_exception_fp_ieee_inexact 0
		.amdhsa_exception_int_div_zero 0
	.end_amdhsa_kernel
	.section	.text._ZN7rocprim17ROCPRIM_400000_NS6detail17trampoline_kernelINS0_14default_configENS1_25partition_config_selectorILNS1_17partition_subalgoE0EjNS0_10empty_typeEbEEZZNS1_14partition_implILS5_0ELb0ES3_jN6thrust23THRUST_200600_302600_NS6detail15normal_iteratorINSA_10device_ptrIjEEEEPS6_SG_NS0_5tupleIJNSA_16discard_iteratorINSA_11use_defaultEEESK_EEENSH_IJSG_SG_EEES6_PlJ7is_evenIjEEEE10hipError_tPvRmT3_T4_T5_T6_T7_T9_mT8_P12ihipStream_tbDpT10_ENKUlT_T0_E_clISt17integral_constantIbLb0EES19_EEDaS14_S15_EUlS14_E_NS1_11comp_targetILNS1_3genE4ELNS1_11target_archE910ELNS1_3gpuE8ELNS1_3repE0EEENS1_30default_config_static_selectorELNS0_4arch9wavefront6targetE1EEEvT1_,"axG",@progbits,_ZN7rocprim17ROCPRIM_400000_NS6detail17trampoline_kernelINS0_14default_configENS1_25partition_config_selectorILNS1_17partition_subalgoE0EjNS0_10empty_typeEbEEZZNS1_14partition_implILS5_0ELb0ES3_jN6thrust23THRUST_200600_302600_NS6detail15normal_iteratorINSA_10device_ptrIjEEEEPS6_SG_NS0_5tupleIJNSA_16discard_iteratorINSA_11use_defaultEEESK_EEENSH_IJSG_SG_EEES6_PlJ7is_evenIjEEEE10hipError_tPvRmT3_T4_T5_T6_T7_T9_mT8_P12ihipStream_tbDpT10_ENKUlT_T0_E_clISt17integral_constantIbLb0EES19_EEDaS14_S15_EUlS14_E_NS1_11comp_targetILNS1_3genE4ELNS1_11target_archE910ELNS1_3gpuE8ELNS1_3repE0EEENS1_30default_config_static_selectorELNS0_4arch9wavefront6targetE1EEEvT1_,comdat
.Lfunc_end2397:
	.size	_ZN7rocprim17ROCPRIM_400000_NS6detail17trampoline_kernelINS0_14default_configENS1_25partition_config_selectorILNS1_17partition_subalgoE0EjNS0_10empty_typeEbEEZZNS1_14partition_implILS5_0ELb0ES3_jN6thrust23THRUST_200600_302600_NS6detail15normal_iteratorINSA_10device_ptrIjEEEEPS6_SG_NS0_5tupleIJNSA_16discard_iteratorINSA_11use_defaultEEESK_EEENSH_IJSG_SG_EEES6_PlJ7is_evenIjEEEE10hipError_tPvRmT3_T4_T5_T6_T7_T9_mT8_P12ihipStream_tbDpT10_ENKUlT_T0_E_clISt17integral_constantIbLb0EES19_EEDaS14_S15_EUlS14_E_NS1_11comp_targetILNS1_3genE4ELNS1_11target_archE910ELNS1_3gpuE8ELNS1_3repE0EEENS1_30default_config_static_selectorELNS0_4arch9wavefront6targetE1EEEvT1_, .Lfunc_end2397-_ZN7rocprim17ROCPRIM_400000_NS6detail17trampoline_kernelINS0_14default_configENS1_25partition_config_selectorILNS1_17partition_subalgoE0EjNS0_10empty_typeEbEEZZNS1_14partition_implILS5_0ELb0ES3_jN6thrust23THRUST_200600_302600_NS6detail15normal_iteratorINSA_10device_ptrIjEEEEPS6_SG_NS0_5tupleIJNSA_16discard_iteratorINSA_11use_defaultEEESK_EEENSH_IJSG_SG_EEES6_PlJ7is_evenIjEEEE10hipError_tPvRmT3_T4_T5_T6_T7_T9_mT8_P12ihipStream_tbDpT10_ENKUlT_T0_E_clISt17integral_constantIbLb0EES19_EEDaS14_S15_EUlS14_E_NS1_11comp_targetILNS1_3genE4ELNS1_11target_archE910ELNS1_3gpuE8ELNS1_3repE0EEENS1_30default_config_static_selectorELNS0_4arch9wavefront6targetE1EEEvT1_
                                        ; -- End function
	.section	.AMDGPU.csdata,"",@progbits
; Kernel info:
; codeLenInByte = 0
; NumSgprs: 6
; NumVgprs: 0
; NumAgprs: 0
; TotalNumVgprs: 0
; ScratchSize: 0
; MemoryBound: 0
; FloatMode: 240
; IeeeMode: 1
; LDSByteSize: 0 bytes/workgroup (compile time only)
; SGPRBlocks: 0
; VGPRBlocks: 0
; NumSGPRsForWavesPerEU: 6
; NumVGPRsForWavesPerEU: 1
; AccumOffset: 4
; Occupancy: 8
; WaveLimiterHint : 0
; COMPUTE_PGM_RSRC2:SCRATCH_EN: 0
; COMPUTE_PGM_RSRC2:USER_SGPR: 2
; COMPUTE_PGM_RSRC2:TRAP_HANDLER: 0
; COMPUTE_PGM_RSRC2:TGID_X_EN: 1
; COMPUTE_PGM_RSRC2:TGID_Y_EN: 0
; COMPUTE_PGM_RSRC2:TGID_Z_EN: 0
; COMPUTE_PGM_RSRC2:TIDIG_COMP_CNT: 0
; COMPUTE_PGM_RSRC3_GFX90A:ACCUM_OFFSET: 0
; COMPUTE_PGM_RSRC3_GFX90A:TG_SPLIT: 0
	.section	.text._ZN7rocprim17ROCPRIM_400000_NS6detail17trampoline_kernelINS0_14default_configENS1_25partition_config_selectorILNS1_17partition_subalgoE0EjNS0_10empty_typeEbEEZZNS1_14partition_implILS5_0ELb0ES3_jN6thrust23THRUST_200600_302600_NS6detail15normal_iteratorINSA_10device_ptrIjEEEEPS6_SG_NS0_5tupleIJNSA_16discard_iteratorINSA_11use_defaultEEESK_EEENSH_IJSG_SG_EEES6_PlJ7is_evenIjEEEE10hipError_tPvRmT3_T4_T5_T6_T7_T9_mT8_P12ihipStream_tbDpT10_ENKUlT_T0_E_clISt17integral_constantIbLb0EES19_EEDaS14_S15_EUlS14_E_NS1_11comp_targetILNS1_3genE3ELNS1_11target_archE908ELNS1_3gpuE7ELNS1_3repE0EEENS1_30default_config_static_selectorELNS0_4arch9wavefront6targetE1EEEvT1_,"axG",@progbits,_ZN7rocprim17ROCPRIM_400000_NS6detail17trampoline_kernelINS0_14default_configENS1_25partition_config_selectorILNS1_17partition_subalgoE0EjNS0_10empty_typeEbEEZZNS1_14partition_implILS5_0ELb0ES3_jN6thrust23THRUST_200600_302600_NS6detail15normal_iteratorINSA_10device_ptrIjEEEEPS6_SG_NS0_5tupleIJNSA_16discard_iteratorINSA_11use_defaultEEESK_EEENSH_IJSG_SG_EEES6_PlJ7is_evenIjEEEE10hipError_tPvRmT3_T4_T5_T6_T7_T9_mT8_P12ihipStream_tbDpT10_ENKUlT_T0_E_clISt17integral_constantIbLb0EES19_EEDaS14_S15_EUlS14_E_NS1_11comp_targetILNS1_3genE3ELNS1_11target_archE908ELNS1_3gpuE7ELNS1_3repE0EEENS1_30default_config_static_selectorELNS0_4arch9wavefront6targetE1EEEvT1_,comdat
	.protected	_ZN7rocprim17ROCPRIM_400000_NS6detail17trampoline_kernelINS0_14default_configENS1_25partition_config_selectorILNS1_17partition_subalgoE0EjNS0_10empty_typeEbEEZZNS1_14partition_implILS5_0ELb0ES3_jN6thrust23THRUST_200600_302600_NS6detail15normal_iteratorINSA_10device_ptrIjEEEEPS6_SG_NS0_5tupleIJNSA_16discard_iteratorINSA_11use_defaultEEESK_EEENSH_IJSG_SG_EEES6_PlJ7is_evenIjEEEE10hipError_tPvRmT3_T4_T5_T6_T7_T9_mT8_P12ihipStream_tbDpT10_ENKUlT_T0_E_clISt17integral_constantIbLb0EES19_EEDaS14_S15_EUlS14_E_NS1_11comp_targetILNS1_3genE3ELNS1_11target_archE908ELNS1_3gpuE7ELNS1_3repE0EEENS1_30default_config_static_selectorELNS0_4arch9wavefront6targetE1EEEvT1_ ; -- Begin function _ZN7rocprim17ROCPRIM_400000_NS6detail17trampoline_kernelINS0_14default_configENS1_25partition_config_selectorILNS1_17partition_subalgoE0EjNS0_10empty_typeEbEEZZNS1_14partition_implILS5_0ELb0ES3_jN6thrust23THRUST_200600_302600_NS6detail15normal_iteratorINSA_10device_ptrIjEEEEPS6_SG_NS0_5tupleIJNSA_16discard_iteratorINSA_11use_defaultEEESK_EEENSH_IJSG_SG_EEES6_PlJ7is_evenIjEEEE10hipError_tPvRmT3_T4_T5_T6_T7_T9_mT8_P12ihipStream_tbDpT10_ENKUlT_T0_E_clISt17integral_constantIbLb0EES19_EEDaS14_S15_EUlS14_E_NS1_11comp_targetILNS1_3genE3ELNS1_11target_archE908ELNS1_3gpuE7ELNS1_3repE0EEENS1_30default_config_static_selectorELNS0_4arch9wavefront6targetE1EEEvT1_
	.globl	_ZN7rocprim17ROCPRIM_400000_NS6detail17trampoline_kernelINS0_14default_configENS1_25partition_config_selectorILNS1_17partition_subalgoE0EjNS0_10empty_typeEbEEZZNS1_14partition_implILS5_0ELb0ES3_jN6thrust23THRUST_200600_302600_NS6detail15normal_iteratorINSA_10device_ptrIjEEEEPS6_SG_NS0_5tupleIJNSA_16discard_iteratorINSA_11use_defaultEEESK_EEENSH_IJSG_SG_EEES6_PlJ7is_evenIjEEEE10hipError_tPvRmT3_T4_T5_T6_T7_T9_mT8_P12ihipStream_tbDpT10_ENKUlT_T0_E_clISt17integral_constantIbLb0EES19_EEDaS14_S15_EUlS14_E_NS1_11comp_targetILNS1_3genE3ELNS1_11target_archE908ELNS1_3gpuE7ELNS1_3repE0EEENS1_30default_config_static_selectorELNS0_4arch9wavefront6targetE1EEEvT1_
	.p2align	8
	.type	_ZN7rocprim17ROCPRIM_400000_NS6detail17trampoline_kernelINS0_14default_configENS1_25partition_config_selectorILNS1_17partition_subalgoE0EjNS0_10empty_typeEbEEZZNS1_14partition_implILS5_0ELb0ES3_jN6thrust23THRUST_200600_302600_NS6detail15normal_iteratorINSA_10device_ptrIjEEEEPS6_SG_NS0_5tupleIJNSA_16discard_iteratorINSA_11use_defaultEEESK_EEENSH_IJSG_SG_EEES6_PlJ7is_evenIjEEEE10hipError_tPvRmT3_T4_T5_T6_T7_T9_mT8_P12ihipStream_tbDpT10_ENKUlT_T0_E_clISt17integral_constantIbLb0EES19_EEDaS14_S15_EUlS14_E_NS1_11comp_targetILNS1_3genE3ELNS1_11target_archE908ELNS1_3gpuE7ELNS1_3repE0EEENS1_30default_config_static_selectorELNS0_4arch9wavefront6targetE1EEEvT1_,@function
_ZN7rocprim17ROCPRIM_400000_NS6detail17trampoline_kernelINS0_14default_configENS1_25partition_config_selectorILNS1_17partition_subalgoE0EjNS0_10empty_typeEbEEZZNS1_14partition_implILS5_0ELb0ES3_jN6thrust23THRUST_200600_302600_NS6detail15normal_iteratorINSA_10device_ptrIjEEEEPS6_SG_NS0_5tupleIJNSA_16discard_iteratorINSA_11use_defaultEEESK_EEENSH_IJSG_SG_EEES6_PlJ7is_evenIjEEEE10hipError_tPvRmT3_T4_T5_T6_T7_T9_mT8_P12ihipStream_tbDpT10_ENKUlT_T0_E_clISt17integral_constantIbLb0EES19_EEDaS14_S15_EUlS14_E_NS1_11comp_targetILNS1_3genE3ELNS1_11target_archE908ELNS1_3gpuE7ELNS1_3repE0EEENS1_30default_config_static_selectorELNS0_4arch9wavefront6targetE1EEEvT1_: ; @_ZN7rocprim17ROCPRIM_400000_NS6detail17trampoline_kernelINS0_14default_configENS1_25partition_config_selectorILNS1_17partition_subalgoE0EjNS0_10empty_typeEbEEZZNS1_14partition_implILS5_0ELb0ES3_jN6thrust23THRUST_200600_302600_NS6detail15normal_iteratorINSA_10device_ptrIjEEEEPS6_SG_NS0_5tupleIJNSA_16discard_iteratorINSA_11use_defaultEEESK_EEENSH_IJSG_SG_EEES6_PlJ7is_evenIjEEEE10hipError_tPvRmT3_T4_T5_T6_T7_T9_mT8_P12ihipStream_tbDpT10_ENKUlT_T0_E_clISt17integral_constantIbLb0EES19_EEDaS14_S15_EUlS14_E_NS1_11comp_targetILNS1_3genE3ELNS1_11target_archE908ELNS1_3gpuE7ELNS1_3repE0EEENS1_30default_config_static_selectorELNS0_4arch9wavefront6targetE1EEEvT1_
; %bb.0:
	.section	.rodata,"a",@progbits
	.p2align	6, 0x0
	.amdhsa_kernel _ZN7rocprim17ROCPRIM_400000_NS6detail17trampoline_kernelINS0_14default_configENS1_25partition_config_selectorILNS1_17partition_subalgoE0EjNS0_10empty_typeEbEEZZNS1_14partition_implILS5_0ELb0ES3_jN6thrust23THRUST_200600_302600_NS6detail15normal_iteratorINSA_10device_ptrIjEEEEPS6_SG_NS0_5tupleIJNSA_16discard_iteratorINSA_11use_defaultEEESK_EEENSH_IJSG_SG_EEES6_PlJ7is_evenIjEEEE10hipError_tPvRmT3_T4_T5_T6_T7_T9_mT8_P12ihipStream_tbDpT10_ENKUlT_T0_E_clISt17integral_constantIbLb0EES19_EEDaS14_S15_EUlS14_E_NS1_11comp_targetILNS1_3genE3ELNS1_11target_archE908ELNS1_3gpuE7ELNS1_3repE0EEENS1_30default_config_static_selectorELNS0_4arch9wavefront6targetE1EEEvT1_
		.amdhsa_group_segment_fixed_size 0
		.amdhsa_private_segment_fixed_size 0
		.amdhsa_kernarg_size 136
		.amdhsa_user_sgpr_count 2
		.amdhsa_user_sgpr_dispatch_ptr 0
		.amdhsa_user_sgpr_queue_ptr 0
		.amdhsa_user_sgpr_kernarg_segment_ptr 1
		.amdhsa_user_sgpr_dispatch_id 0
		.amdhsa_user_sgpr_kernarg_preload_length 0
		.amdhsa_user_sgpr_kernarg_preload_offset 0
		.amdhsa_user_sgpr_private_segment_size 0
		.amdhsa_uses_dynamic_stack 0
		.amdhsa_enable_private_segment 0
		.amdhsa_system_sgpr_workgroup_id_x 1
		.amdhsa_system_sgpr_workgroup_id_y 0
		.amdhsa_system_sgpr_workgroup_id_z 0
		.amdhsa_system_sgpr_workgroup_info 0
		.amdhsa_system_vgpr_workitem_id 0
		.amdhsa_next_free_vgpr 1
		.amdhsa_next_free_sgpr 0
		.amdhsa_accum_offset 4
		.amdhsa_reserve_vcc 0
		.amdhsa_float_round_mode_32 0
		.amdhsa_float_round_mode_16_64 0
		.amdhsa_float_denorm_mode_32 3
		.amdhsa_float_denorm_mode_16_64 3
		.amdhsa_dx10_clamp 1
		.amdhsa_ieee_mode 1
		.amdhsa_fp16_overflow 0
		.amdhsa_tg_split 0
		.amdhsa_exception_fp_ieee_invalid_op 0
		.amdhsa_exception_fp_denorm_src 0
		.amdhsa_exception_fp_ieee_div_zero 0
		.amdhsa_exception_fp_ieee_overflow 0
		.amdhsa_exception_fp_ieee_underflow 0
		.amdhsa_exception_fp_ieee_inexact 0
		.amdhsa_exception_int_div_zero 0
	.end_amdhsa_kernel
	.section	.text._ZN7rocprim17ROCPRIM_400000_NS6detail17trampoline_kernelINS0_14default_configENS1_25partition_config_selectorILNS1_17partition_subalgoE0EjNS0_10empty_typeEbEEZZNS1_14partition_implILS5_0ELb0ES3_jN6thrust23THRUST_200600_302600_NS6detail15normal_iteratorINSA_10device_ptrIjEEEEPS6_SG_NS0_5tupleIJNSA_16discard_iteratorINSA_11use_defaultEEESK_EEENSH_IJSG_SG_EEES6_PlJ7is_evenIjEEEE10hipError_tPvRmT3_T4_T5_T6_T7_T9_mT8_P12ihipStream_tbDpT10_ENKUlT_T0_E_clISt17integral_constantIbLb0EES19_EEDaS14_S15_EUlS14_E_NS1_11comp_targetILNS1_3genE3ELNS1_11target_archE908ELNS1_3gpuE7ELNS1_3repE0EEENS1_30default_config_static_selectorELNS0_4arch9wavefront6targetE1EEEvT1_,"axG",@progbits,_ZN7rocprim17ROCPRIM_400000_NS6detail17trampoline_kernelINS0_14default_configENS1_25partition_config_selectorILNS1_17partition_subalgoE0EjNS0_10empty_typeEbEEZZNS1_14partition_implILS5_0ELb0ES3_jN6thrust23THRUST_200600_302600_NS6detail15normal_iteratorINSA_10device_ptrIjEEEEPS6_SG_NS0_5tupleIJNSA_16discard_iteratorINSA_11use_defaultEEESK_EEENSH_IJSG_SG_EEES6_PlJ7is_evenIjEEEE10hipError_tPvRmT3_T4_T5_T6_T7_T9_mT8_P12ihipStream_tbDpT10_ENKUlT_T0_E_clISt17integral_constantIbLb0EES19_EEDaS14_S15_EUlS14_E_NS1_11comp_targetILNS1_3genE3ELNS1_11target_archE908ELNS1_3gpuE7ELNS1_3repE0EEENS1_30default_config_static_selectorELNS0_4arch9wavefront6targetE1EEEvT1_,comdat
.Lfunc_end2398:
	.size	_ZN7rocprim17ROCPRIM_400000_NS6detail17trampoline_kernelINS0_14default_configENS1_25partition_config_selectorILNS1_17partition_subalgoE0EjNS0_10empty_typeEbEEZZNS1_14partition_implILS5_0ELb0ES3_jN6thrust23THRUST_200600_302600_NS6detail15normal_iteratorINSA_10device_ptrIjEEEEPS6_SG_NS0_5tupleIJNSA_16discard_iteratorINSA_11use_defaultEEESK_EEENSH_IJSG_SG_EEES6_PlJ7is_evenIjEEEE10hipError_tPvRmT3_T4_T5_T6_T7_T9_mT8_P12ihipStream_tbDpT10_ENKUlT_T0_E_clISt17integral_constantIbLb0EES19_EEDaS14_S15_EUlS14_E_NS1_11comp_targetILNS1_3genE3ELNS1_11target_archE908ELNS1_3gpuE7ELNS1_3repE0EEENS1_30default_config_static_selectorELNS0_4arch9wavefront6targetE1EEEvT1_, .Lfunc_end2398-_ZN7rocprim17ROCPRIM_400000_NS6detail17trampoline_kernelINS0_14default_configENS1_25partition_config_selectorILNS1_17partition_subalgoE0EjNS0_10empty_typeEbEEZZNS1_14partition_implILS5_0ELb0ES3_jN6thrust23THRUST_200600_302600_NS6detail15normal_iteratorINSA_10device_ptrIjEEEEPS6_SG_NS0_5tupleIJNSA_16discard_iteratorINSA_11use_defaultEEESK_EEENSH_IJSG_SG_EEES6_PlJ7is_evenIjEEEE10hipError_tPvRmT3_T4_T5_T6_T7_T9_mT8_P12ihipStream_tbDpT10_ENKUlT_T0_E_clISt17integral_constantIbLb0EES19_EEDaS14_S15_EUlS14_E_NS1_11comp_targetILNS1_3genE3ELNS1_11target_archE908ELNS1_3gpuE7ELNS1_3repE0EEENS1_30default_config_static_selectorELNS0_4arch9wavefront6targetE1EEEvT1_
                                        ; -- End function
	.section	.AMDGPU.csdata,"",@progbits
; Kernel info:
; codeLenInByte = 0
; NumSgprs: 6
; NumVgprs: 0
; NumAgprs: 0
; TotalNumVgprs: 0
; ScratchSize: 0
; MemoryBound: 0
; FloatMode: 240
; IeeeMode: 1
; LDSByteSize: 0 bytes/workgroup (compile time only)
; SGPRBlocks: 0
; VGPRBlocks: 0
; NumSGPRsForWavesPerEU: 6
; NumVGPRsForWavesPerEU: 1
; AccumOffset: 4
; Occupancy: 8
; WaveLimiterHint : 0
; COMPUTE_PGM_RSRC2:SCRATCH_EN: 0
; COMPUTE_PGM_RSRC2:USER_SGPR: 2
; COMPUTE_PGM_RSRC2:TRAP_HANDLER: 0
; COMPUTE_PGM_RSRC2:TGID_X_EN: 1
; COMPUTE_PGM_RSRC2:TGID_Y_EN: 0
; COMPUTE_PGM_RSRC2:TGID_Z_EN: 0
; COMPUTE_PGM_RSRC2:TIDIG_COMP_CNT: 0
; COMPUTE_PGM_RSRC3_GFX90A:ACCUM_OFFSET: 0
; COMPUTE_PGM_RSRC3_GFX90A:TG_SPLIT: 0
	.section	.text._ZN7rocprim17ROCPRIM_400000_NS6detail17trampoline_kernelINS0_14default_configENS1_25partition_config_selectorILNS1_17partition_subalgoE0EjNS0_10empty_typeEbEEZZNS1_14partition_implILS5_0ELb0ES3_jN6thrust23THRUST_200600_302600_NS6detail15normal_iteratorINSA_10device_ptrIjEEEEPS6_SG_NS0_5tupleIJNSA_16discard_iteratorINSA_11use_defaultEEESK_EEENSH_IJSG_SG_EEES6_PlJ7is_evenIjEEEE10hipError_tPvRmT3_T4_T5_T6_T7_T9_mT8_P12ihipStream_tbDpT10_ENKUlT_T0_E_clISt17integral_constantIbLb0EES19_EEDaS14_S15_EUlS14_E_NS1_11comp_targetILNS1_3genE2ELNS1_11target_archE906ELNS1_3gpuE6ELNS1_3repE0EEENS1_30default_config_static_selectorELNS0_4arch9wavefront6targetE1EEEvT1_,"axG",@progbits,_ZN7rocprim17ROCPRIM_400000_NS6detail17trampoline_kernelINS0_14default_configENS1_25partition_config_selectorILNS1_17partition_subalgoE0EjNS0_10empty_typeEbEEZZNS1_14partition_implILS5_0ELb0ES3_jN6thrust23THRUST_200600_302600_NS6detail15normal_iteratorINSA_10device_ptrIjEEEEPS6_SG_NS0_5tupleIJNSA_16discard_iteratorINSA_11use_defaultEEESK_EEENSH_IJSG_SG_EEES6_PlJ7is_evenIjEEEE10hipError_tPvRmT3_T4_T5_T6_T7_T9_mT8_P12ihipStream_tbDpT10_ENKUlT_T0_E_clISt17integral_constantIbLb0EES19_EEDaS14_S15_EUlS14_E_NS1_11comp_targetILNS1_3genE2ELNS1_11target_archE906ELNS1_3gpuE6ELNS1_3repE0EEENS1_30default_config_static_selectorELNS0_4arch9wavefront6targetE1EEEvT1_,comdat
	.protected	_ZN7rocprim17ROCPRIM_400000_NS6detail17trampoline_kernelINS0_14default_configENS1_25partition_config_selectorILNS1_17partition_subalgoE0EjNS0_10empty_typeEbEEZZNS1_14partition_implILS5_0ELb0ES3_jN6thrust23THRUST_200600_302600_NS6detail15normal_iteratorINSA_10device_ptrIjEEEEPS6_SG_NS0_5tupleIJNSA_16discard_iteratorINSA_11use_defaultEEESK_EEENSH_IJSG_SG_EEES6_PlJ7is_evenIjEEEE10hipError_tPvRmT3_T4_T5_T6_T7_T9_mT8_P12ihipStream_tbDpT10_ENKUlT_T0_E_clISt17integral_constantIbLb0EES19_EEDaS14_S15_EUlS14_E_NS1_11comp_targetILNS1_3genE2ELNS1_11target_archE906ELNS1_3gpuE6ELNS1_3repE0EEENS1_30default_config_static_selectorELNS0_4arch9wavefront6targetE1EEEvT1_ ; -- Begin function _ZN7rocprim17ROCPRIM_400000_NS6detail17trampoline_kernelINS0_14default_configENS1_25partition_config_selectorILNS1_17partition_subalgoE0EjNS0_10empty_typeEbEEZZNS1_14partition_implILS5_0ELb0ES3_jN6thrust23THRUST_200600_302600_NS6detail15normal_iteratorINSA_10device_ptrIjEEEEPS6_SG_NS0_5tupleIJNSA_16discard_iteratorINSA_11use_defaultEEESK_EEENSH_IJSG_SG_EEES6_PlJ7is_evenIjEEEE10hipError_tPvRmT3_T4_T5_T6_T7_T9_mT8_P12ihipStream_tbDpT10_ENKUlT_T0_E_clISt17integral_constantIbLb0EES19_EEDaS14_S15_EUlS14_E_NS1_11comp_targetILNS1_3genE2ELNS1_11target_archE906ELNS1_3gpuE6ELNS1_3repE0EEENS1_30default_config_static_selectorELNS0_4arch9wavefront6targetE1EEEvT1_
	.globl	_ZN7rocprim17ROCPRIM_400000_NS6detail17trampoline_kernelINS0_14default_configENS1_25partition_config_selectorILNS1_17partition_subalgoE0EjNS0_10empty_typeEbEEZZNS1_14partition_implILS5_0ELb0ES3_jN6thrust23THRUST_200600_302600_NS6detail15normal_iteratorINSA_10device_ptrIjEEEEPS6_SG_NS0_5tupleIJNSA_16discard_iteratorINSA_11use_defaultEEESK_EEENSH_IJSG_SG_EEES6_PlJ7is_evenIjEEEE10hipError_tPvRmT3_T4_T5_T6_T7_T9_mT8_P12ihipStream_tbDpT10_ENKUlT_T0_E_clISt17integral_constantIbLb0EES19_EEDaS14_S15_EUlS14_E_NS1_11comp_targetILNS1_3genE2ELNS1_11target_archE906ELNS1_3gpuE6ELNS1_3repE0EEENS1_30default_config_static_selectorELNS0_4arch9wavefront6targetE1EEEvT1_
	.p2align	8
	.type	_ZN7rocprim17ROCPRIM_400000_NS6detail17trampoline_kernelINS0_14default_configENS1_25partition_config_selectorILNS1_17partition_subalgoE0EjNS0_10empty_typeEbEEZZNS1_14partition_implILS5_0ELb0ES3_jN6thrust23THRUST_200600_302600_NS6detail15normal_iteratorINSA_10device_ptrIjEEEEPS6_SG_NS0_5tupleIJNSA_16discard_iteratorINSA_11use_defaultEEESK_EEENSH_IJSG_SG_EEES6_PlJ7is_evenIjEEEE10hipError_tPvRmT3_T4_T5_T6_T7_T9_mT8_P12ihipStream_tbDpT10_ENKUlT_T0_E_clISt17integral_constantIbLb0EES19_EEDaS14_S15_EUlS14_E_NS1_11comp_targetILNS1_3genE2ELNS1_11target_archE906ELNS1_3gpuE6ELNS1_3repE0EEENS1_30default_config_static_selectorELNS0_4arch9wavefront6targetE1EEEvT1_,@function
_ZN7rocprim17ROCPRIM_400000_NS6detail17trampoline_kernelINS0_14default_configENS1_25partition_config_selectorILNS1_17partition_subalgoE0EjNS0_10empty_typeEbEEZZNS1_14partition_implILS5_0ELb0ES3_jN6thrust23THRUST_200600_302600_NS6detail15normal_iteratorINSA_10device_ptrIjEEEEPS6_SG_NS0_5tupleIJNSA_16discard_iteratorINSA_11use_defaultEEESK_EEENSH_IJSG_SG_EEES6_PlJ7is_evenIjEEEE10hipError_tPvRmT3_T4_T5_T6_T7_T9_mT8_P12ihipStream_tbDpT10_ENKUlT_T0_E_clISt17integral_constantIbLb0EES19_EEDaS14_S15_EUlS14_E_NS1_11comp_targetILNS1_3genE2ELNS1_11target_archE906ELNS1_3gpuE6ELNS1_3repE0EEENS1_30default_config_static_selectorELNS0_4arch9wavefront6targetE1EEEvT1_: ; @_ZN7rocprim17ROCPRIM_400000_NS6detail17trampoline_kernelINS0_14default_configENS1_25partition_config_selectorILNS1_17partition_subalgoE0EjNS0_10empty_typeEbEEZZNS1_14partition_implILS5_0ELb0ES3_jN6thrust23THRUST_200600_302600_NS6detail15normal_iteratorINSA_10device_ptrIjEEEEPS6_SG_NS0_5tupleIJNSA_16discard_iteratorINSA_11use_defaultEEESK_EEENSH_IJSG_SG_EEES6_PlJ7is_evenIjEEEE10hipError_tPvRmT3_T4_T5_T6_T7_T9_mT8_P12ihipStream_tbDpT10_ENKUlT_T0_E_clISt17integral_constantIbLb0EES19_EEDaS14_S15_EUlS14_E_NS1_11comp_targetILNS1_3genE2ELNS1_11target_archE906ELNS1_3gpuE6ELNS1_3repE0EEENS1_30default_config_static_selectorELNS0_4arch9wavefront6targetE1EEEvT1_
; %bb.0:
	.section	.rodata,"a",@progbits
	.p2align	6, 0x0
	.amdhsa_kernel _ZN7rocprim17ROCPRIM_400000_NS6detail17trampoline_kernelINS0_14default_configENS1_25partition_config_selectorILNS1_17partition_subalgoE0EjNS0_10empty_typeEbEEZZNS1_14partition_implILS5_0ELb0ES3_jN6thrust23THRUST_200600_302600_NS6detail15normal_iteratorINSA_10device_ptrIjEEEEPS6_SG_NS0_5tupleIJNSA_16discard_iteratorINSA_11use_defaultEEESK_EEENSH_IJSG_SG_EEES6_PlJ7is_evenIjEEEE10hipError_tPvRmT3_T4_T5_T6_T7_T9_mT8_P12ihipStream_tbDpT10_ENKUlT_T0_E_clISt17integral_constantIbLb0EES19_EEDaS14_S15_EUlS14_E_NS1_11comp_targetILNS1_3genE2ELNS1_11target_archE906ELNS1_3gpuE6ELNS1_3repE0EEENS1_30default_config_static_selectorELNS0_4arch9wavefront6targetE1EEEvT1_
		.amdhsa_group_segment_fixed_size 0
		.amdhsa_private_segment_fixed_size 0
		.amdhsa_kernarg_size 136
		.amdhsa_user_sgpr_count 2
		.amdhsa_user_sgpr_dispatch_ptr 0
		.amdhsa_user_sgpr_queue_ptr 0
		.amdhsa_user_sgpr_kernarg_segment_ptr 1
		.amdhsa_user_sgpr_dispatch_id 0
		.amdhsa_user_sgpr_kernarg_preload_length 0
		.amdhsa_user_sgpr_kernarg_preload_offset 0
		.amdhsa_user_sgpr_private_segment_size 0
		.amdhsa_uses_dynamic_stack 0
		.amdhsa_enable_private_segment 0
		.amdhsa_system_sgpr_workgroup_id_x 1
		.amdhsa_system_sgpr_workgroup_id_y 0
		.amdhsa_system_sgpr_workgroup_id_z 0
		.amdhsa_system_sgpr_workgroup_info 0
		.amdhsa_system_vgpr_workitem_id 0
		.amdhsa_next_free_vgpr 1
		.amdhsa_next_free_sgpr 0
		.amdhsa_accum_offset 4
		.amdhsa_reserve_vcc 0
		.amdhsa_float_round_mode_32 0
		.amdhsa_float_round_mode_16_64 0
		.amdhsa_float_denorm_mode_32 3
		.amdhsa_float_denorm_mode_16_64 3
		.amdhsa_dx10_clamp 1
		.amdhsa_ieee_mode 1
		.amdhsa_fp16_overflow 0
		.amdhsa_tg_split 0
		.amdhsa_exception_fp_ieee_invalid_op 0
		.amdhsa_exception_fp_denorm_src 0
		.amdhsa_exception_fp_ieee_div_zero 0
		.amdhsa_exception_fp_ieee_overflow 0
		.amdhsa_exception_fp_ieee_underflow 0
		.amdhsa_exception_fp_ieee_inexact 0
		.amdhsa_exception_int_div_zero 0
	.end_amdhsa_kernel
	.section	.text._ZN7rocprim17ROCPRIM_400000_NS6detail17trampoline_kernelINS0_14default_configENS1_25partition_config_selectorILNS1_17partition_subalgoE0EjNS0_10empty_typeEbEEZZNS1_14partition_implILS5_0ELb0ES3_jN6thrust23THRUST_200600_302600_NS6detail15normal_iteratorINSA_10device_ptrIjEEEEPS6_SG_NS0_5tupleIJNSA_16discard_iteratorINSA_11use_defaultEEESK_EEENSH_IJSG_SG_EEES6_PlJ7is_evenIjEEEE10hipError_tPvRmT3_T4_T5_T6_T7_T9_mT8_P12ihipStream_tbDpT10_ENKUlT_T0_E_clISt17integral_constantIbLb0EES19_EEDaS14_S15_EUlS14_E_NS1_11comp_targetILNS1_3genE2ELNS1_11target_archE906ELNS1_3gpuE6ELNS1_3repE0EEENS1_30default_config_static_selectorELNS0_4arch9wavefront6targetE1EEEvT1_,"axG",@progbits,_ZN7rocprim17ROCPRIM_400000_NS6detail17trampoline_kernelINS0_14default_configENS1_25partition_config_selectorILNS1_17partition_subalgoE0EjNS0_10empty_typeEbEEZZNS1_14partition_implILS5_0ELb0ES3_jN6thrust23THRUST_200600_302600_NS6detail15normal_iteratorINSA_10device_ptrIjEEEEPS6_SG_NS0_5tupleIJNSA_16discard_iteratorINSA_11use_defaultEEESK_EEENSH_IJSG_SG_EEES6_PlJ7is_evenIjEEEE10hipError_tPvRmT3_T4_T5_T6_T7_T9_mT8_P12ihipStream_tbDpT10_ENKUlT_T0_E_clISt17integral_constantIbLb0EES19_EEDaS14_S15_EUlS14_E_NS1_11comp_targetILNS1_3genE2ELNS1_11target_archE906ELNS1_3gpuE6ELNS1_3repE0EEENS1_30default_config_static_selectorELNS0_4arch9wavefront6targetE1EEEvT1_,comdat
.Lfunc_end2399:
	.size	_ZN7rocprim17ROCPRIM_400000_NS6detail17trampoline_kernelINS0_14default_configENS1_25partition_config_selectorILNS1_17partition_subalgoE0EjNS0_10empty_typeEbEEZZNS1_14partition_implILS5_0ELb0ES3_jN6thrust23THRUST_200600_302600_NS6detail15normal_iteratorINSA_10device_ptrIjEEEEPS6_SG_NS0_5tupleIJNSA_16discard_iteratorINSA_11use_defaultEEESK_EEENSH_IJSG_SG_EEES6_PlJ7is_evenIjEEEE10hipError_tPvRmT3_T4_T5_T6_T7_T9_mT8_P12ihipStream_tbDpT10_ENKUlT_T0_E_clISt17integral_constantIbLb0EES19_EEDaS14_S15_EUlS14_E_NS1_11comp_targetILNS1_3genE2ELNS1_11target_archE906ELNS1_3gpuE6ELNS1_3repE0EEENS1_30default_config_static_selectorELNS0_4arch9wavefront6targetE1EEEvT1_, .Lfunc_end2399-_ZN7rocprim17ROCPRIM_400000_NS6detail17trampoline_kernelINS0_14default_configENS1_25partition_config_selectorILNS1_17partition_subalgoE0EjNS0_10empty_typeEbEEZZNS1_14partition_implILS5_0ELb0ES3_jN6thrust23THRUST_200600_302600_NS6detail15normal_iteratorINSA_10device_ptrIjEEEEPS6_SG_NS0_5tupleIJNSA_16discard_iteratorINSA_11use_defaultEEESK_EEENSH_IJSG_SG_EEES6_PlJ7is_evenIjEEEE10hipError_tPvRmT3_T4_T5_T6_T7_T9_mT8_P12ihipStream_tbDpT10_ENKUlT_T0_E_clISt17integral_constantIbLb0EES19_EEDaS14_S15_EUlS14_E_NS1_11comp_targetILNS1_3genE2ELNS1_11target_archE906ELNS1_3gpuE6ELNS1_3repE0EEENS1_30default_config_static_selectorELNS0_4arch9wavefront6targetE1EEEvT1_
                                        ; -- End function
	.section	.AMDGPU.csdata,"",@progbits
; Kernel info:
; codeLenInByte = 0
; NumSgprs: 6
; NumVgprs: 0
; NumAgprs: 0
; TotalNumVgprs: 0
; ScratchSize: 0
; MemoryBound: 0
; FloatMode: 240
; IeeeMode: 1
; LDSByteSize: 0 bytes/workgroup (compile time only)
; SGPRBlocks: 0
; VGPRBlocks: 0
; NumSGPRsForWavesPerEU: 6
; NumVGPRsForWavesPerEU: 1
; AccumOffset: 4
; Occupancy: 8
; WaveLimiterHint : 0
; COMPUTE_PGM_RSRC2:SCRATCH_EN: 0
; COMPUTE_PGM_RSRC2:USER_SGPR: 2
; COMPUTE_PGM_RSRC2:TRAP_HANDLER: 0
; COMPUTE_PGM_RSRC2:TGID_X_EN: 1
; COMPUTE_PGM_RSRC2:TGID_Y_EN: 0
; COMPUTE_PGM_RSRC2:TGID_Z_EN: 0
; COMPUTE_PGM_RSRC2:TIDIG_COMP_CNT: 0
; COMPUTE_PGM_RSRC3_GFX90A:ACCUM_OFFSET: 0
; COMPUTE_PGM_RSRC3_GFX90A:TG_SPLIT: 0
	.section	.text._ZN7rocprim17ROCPRIM_400000_NS6detail17trampoline_kernelINS0_14default_configENS1_25partition_config_selectorILNS1_17partition_subalgoE0EjNS0_10empty_typeEbEEZZNS1_14partition_implILS5_0ELb0ES3_jN6thrust23THRUST_200600_302600_NS6detail15normal_iteratorINSA_10device_ptrIjEEEEPS6_SG_NS0_5tupleIJNSA_16discard_iteratorINSA_11use_defaultEEESK_EEENSH_IJSG_SG_EEES6_PlJ7is_evenIjEEEE10hipError_tPvRmT3_T4_T5_T6_T7_T9_mT8_P12ihipStream_tbDpT10_ENKUlT_T0_E_clISt17integral_constantIbLb0EES19_EEDaS14_S15_EUlS14_E_NS1_11comp_targetILNS1_3genE10ELNS1_11target_archE1200ELNS1_3gpuE4ELNS1_3repE0EEENS1_30default_config_static_selectorELNS0_4arch9wavefront6targetE1EEEvT1_,"axG",@progbits,_ZN7rocprim17ROCPRIM_400000_NS6detail17trampoline_kernelINS0_14default_configENS1_25partition_config_selectorILNS1_17partition_subalgoE0EjNS0_10empty_typeEbEEZZNS1_14partition_implILS5_0ELb0ES3_jN6thrust23THRUST_200600_302600_NS6detail15normal_iteratorINSA_10device_ptrIjEEEEPS6_SG_NS0_5tupleIJNSA_16discard_iteratorINSA_11use_defaultEEESK_EEENSH_IJSG_SG_EEES6_PlJ7is_evenIjEEEE10hipError_tPvRmT3_T4_T5_T6_T7_T9_mT8_P12ihipStream_tbDpT10_ENKUlT_T0_E_clISt17integral_constantIbLb0EES19_EEDaS14_S15_EUlS14_E_NS1_11comp_targetILNS1_3genE10ELNS1_11target_archE1200ELNS1_3gpuE4ELNS1_3repE0EEENS1_30default_config_static_selectorELNS0_4arch9wavefront6targetE1EEEvT1_,comdat
	.protected	_ZN7rocprim17ROCPRIM_400000_NS6detail17trampoline_kernelINS0_14default_configENS1_25partition_config_selectorILNS1_17partition_subalgoE0EjNS0_10empty_typeEbEEZZNS1_14partition_implILS5_0ELb0ES3_jN6thrust23THRUST_200600_302600_NS6detail15normal_iteratorINSA_10device_ptrIjEEEEPS6_SG_NS0_5tupleIJNSA_16discard_iteratorINSA_11use_defaultEEESK_EEENSH_IJSG_SG_EEES6_PlJ7is_evenIjEEEE10hipError_tPvRmT3_T4_T5_T6_T7_T9_mT8_P12ihipStream_tbDpT10_ENKUlT_T0_E_clISt17integral_constantIbLb0EES19_EEDaS14_S15_EUlS14_E_NS1_11comp_targetILNS1_3genE10ELNS1_11target_archE1200ELNS1_3gpuE4ELNS1_3repE0EEENS1_30default_config_static_selectorELNS0_4arch9wavefront6targetE1EEEvT1_ ; -- Begin function _ZN7rocprim17ROCPRIM_400000_NS6detail17trampoline_kernelINS0_14default_configENS1_25partition_config_selectorILNS1_17partition_subalgoE0EjNS0_10empty_typeEbEEZZNS1_14partition_implILS5_0ELb0ES3_jN6thrust23THRUST_200600_302600_NS6detail15normal_iteratorINSA_10device_ptrIjEEEEPS6_SG_NS0_5tupleIJNSA_16discard_iteratorINSA_11use_defaultEEESK_EEENSH_IJSG_SG_EEES6_PlJ7is_evenIjEEEE10hipError_tPvRmT3_T4_T5_T6_T7_T9_mT8_P12ihipStream_tbDpT10_ENKUlT_T0_E_clISt17integral_constantIbLb0EES19_EEDaS14_S15_EUlS14_E_NS1_11comp_targetILNS1_3genE10ELNS1_11target_archE1200ELNS1_3gpuE4ELNS1_3repE0EEENS1_30default_config_static_selectorELNS0_4arch9wavefront6targetE1EEEvT1_
	.globl	_ZN7rocprim17ROCPRIM_400000_NS6detail17trampoline_kernelINS0_14default_configENS1_25partition_config_selectorILNS1_17partition_subalgoE0EjNS0_10empty_typeEbEEZZNS1_14partition_implILS5_0ELb0ES3_jN6thrust23THRUST_200600_302600_NS6detail15normal_iteratorINSA_10device_ptrIjEEEEPS6_SG_NS0_5tupleIJNSA_16discard_iteratorINSA_11use_defaultEEESK_EEENSH_IJSG_SG_EEES6_PlJ7is_evenIjEEEE10hipError_tPvRmT3_T4_T5_T6_T7_T9_mT8_P12ihipStream_tbDpT10_ENKUlT_T0_E_clISt17integral_constantIbLb0EES19_EEDaS14_S15_EUlS14_E_NS1_11comp_targetILNS1_3genE10ELNS1_11target_archE1200ELNS1_3gpuE4ELNS1_3repE0EEENS1_30default_config_static_selectorELNS0_4arch9wavefront6targetE1EEEvT1_
	.p2align	8
	.type	_ZN7rocprim17ROCPRIM_400000_NS6detail17trampoline_kernelINS0_14default_configENS1_25partition_config_selectorILNS1_17partition_subalgoE0EjNS0_10empty_typeEbEEZZNS1_14partition_implILS5_0ELb0ES3_jN6thrust23THRUST_200600_302600_NS6detail15normal_iteratorINSA_10device_ptrIjEEEEPS6_SG_NS0_5tupleIJNSA_16discard_iteratorINSA_11use_defaultEEESK_EEENSH_IJSG_SG_EEES6_PlJ7is_evenIjEEEE10hipError_tPvRmT3_T4_T5_T6_T7_T9_mT8_P12ihipStream_tbDpT10_ENKUlT_T0_E_clISt17integral_constantIbLb0EES19_EEDaS14_S15_EUlS14_E_NS1_11comp_targetILNS1_3genE10ELNS1_11target_archE1200ELNS1_3gpuE4ELNS1_3repE0EEENS1_30default_config_static_selectorELNS0_4arch9wavefront6targetE1EEEvT1_,@function
_ZN7rocprim17ROCPRIM_400000_NS6detail17trampoline_kernelINS0_14default_configENS1_25partition_config_selectorILNS1_17partition_subalgoE0EjNS0_10empty_typeEbEEZZNS1_14partition_implILS5_0ELb0ES3_jN6thrust23THRUST_200600_302600_NS6detail15normal_iteratorINSA_10device_ptrIjEEEEPS6_SG_NS0_5tupleIJNSA_16discard_iteratorINSA_11use_defaultEEESK_EEENSH_IJSG_SG_EEES6_PlJ7is_evenIjEEEE10hipError_tPvRmT3_T4_T5_T6_T7_T9_mT8_P12ihipStream_tbDpT10_ENKUlT_T0_E_clISt17integral_constantIbLb0EES19_EEDaS14_S15_EUlS14_E_NS1_11comp_targetILNS1_3genE10ELNS1_11target_archE1200ELNS1_3gpuE4ELNS1_3repE0EEENS1_30default_config_static_selectorELNS0_4arch9wavefront6targetE1EEEvT1_: ; @_ZN7rocprim17ROCPRIM_400000_NS6detail17trampoline_kernelINS0_14default_configENS1_25partition_config_selectorILNS1_17partition_subalgoE0EjNS0_10empty_typeEbEEZZNS1_14partition_implILS5_0ELb0ES3_jN6thrust23THRUST_200600_302600_NS6detail15normal_iteratorINSA_10device_ptrIjEEEEPS6_SG_NS0_5tupleIJNSA_16discard_iteratorINSA_11use_defaultEEESK_EEENSH_IJSG_SG_EEES6_PlJ7is_evenIjEEEE10hipError_tPvRmT3_T4_T5_T6_T7_T9_mT8_P12ihipStream_tbDpT10_ENKUlT_T0_E_clISt17integral_constantIbLb0EES19_EEDaS14_S15_EUlS14_E_NS1_11comp_targetILNS1_3genE10ELNS1_11target_archE1200ELNS1_3gpuE4ELNS1_3repE0EEENS1_30default_config_static_selectorELNS0_4arch9wavefront6targetE1EEEvT1_
; %bb.0:
	.section	.rodata,"a",@progbits
	.p2align	6, 0x0
	.amdhsa_kernel _ZN7rocprim17ROCPRIM_400000_NS6detail17trampoline_kernelINS0_14default_configENS1_25partition_config_selectorILNS1_17partition_subalgoE0EjNS0_10empty_typeEbEEZZNS1_14partition_implILS5_0ELb0ES3_jN6thrust23THRUST_200600_302600_NS6detail15normal_iteratorINSA_10device_ptrIjEEEEPS6_SG_NS0_5tupleIJNSA_16discard_iteratorINSA_11use_defaultEEESK_EEENSH_IJSG_SG_EEES6_PlJ7is_evenIjEEEE10hipError_tPvRmT3_T4_T5_T6_T7_T9_mT8_P12ihipStream_tbDpT10_ENKUlT_T0_E_clISt17integral_constantIbLb0EES19_EEDaS14_S15_EUlS14_E_NS1_11comp_targetILNS1_3genE10ELNS1_11target_archE1200ELNS1_3gpuE4ELNS1_3repE0EEENS1_30default_config_static_selectorELNS0_4arch9wavefront6targetE1EEEvT1_
		.amdhsa_group_segment_fixed_size 0
		.amdhsa_private_segment_fixed_size 0
		.amdhsa_kernarg_size 136
		.amdhsa_user_sgpr_count 2
		.amdhsa_user_sgpr_dispatch_ptr 0
		.amdhsa_user_sgpr_queue_ptr 0
		.amdhsa_user_sgpr_kernarg_segment_ptr 1
		.amdhsa_user_sgpr_dispatch_id 0
		.amdhsa_user_sgpr_kernarg_preload_length 0
		.amdhsa_user_sgpr_kernarg_preload_offset 0
		.amdhsa_user_sgpr_private_segment_size 0
		.amdhsa_uses_dynamic_stack 0
		.amdhsa_enable_private_segment 0
		.amdhsa_system_sgpr_workgroup_id_x 1
		.amdhsa_system_sgpr_workgroup_id_y 0
		.amdhsa_system_sgpr_workgroup_id_z 0
		.amdhsa_system_sgpr_workgroup_info 0
		.amdhsa_system_vgpr_workitem_id 0
		.amdhsa_next_free_vgpr 1
		.amdhsa_next_free_sgpr 0
		.amdhsa_accum_offset 4
		.amdhsa_reserve_vcc 0
		.amdhsa_float_round_mode_32 0
		.amdhsa_float_round_mode_16_64 0
		.amdhsa_float_denorm_mode_32 3
		.amdhsa_float_denorm_mode_16_64 3
		.amdhsa_dx10_clamp 1
		.amdhsa_ieee_mode 1
		.amdhsa_fp16_overflow 0
		.amdhsa_tg_split 0
		.amdhsa_exception_fp_ieee_invalid_op 0
		.amdhsa_exception_fp_denorm_src 0
		.amdhsa_exception_fp_ieee_div_zero 0
		.amdhsa_exception_fp_ieee_overflow 0
		.amdhsa_exception_fp_ieee_underflow 0
		.amdhsa_exception_fp_ieee_inexact 0
		.amdhsa_exception_int_div_zero 0
	.end_amdhsa_kernel
	.section	.text._ZN7rocprim17ROCPRIM_400000_NS6detail17trampoline_kernelINS0_14default_configENS1_25partition_config_selectorILNS1_17partition_subalgoE0EjNS0_10empty_typeEbEEZZNS1_14partition_implILS5_0ELb0ES3_jN6thrust23THRUST_200600_302600_NS6detail15normal_iteratorINSA_10device_ptrIjEEEEPS6_SG_NS0_5tupleIJNSA_16discard_iteratorINSA_11use_defaultEEESK_EEENSH_IJSG_SG_EEES6_PlJ7is_evenIjEEEE10hipError_tPvRmT3_T4_T5_T6_T7_T9_mT8_P12ihipStream_tbDpT10_ENKUlT_T0_E_clISt17integral_constantIbLb0EES19_EEDaS14_S15_EUlS14_E_NS1_11comp_targetILNS1_3genE10ELNS1_11target_archE1200ELNS1_3gpuE4ELNS1_3repE0EEENS1_30default_config_static_selectorELNS0_4arch9wavefront6targetE1EEEvT1_,"axG",@progbits,_ZN7rocprim17ROCPRIM_400000_NS6detail17trampoline_kernelINS0_14default_configENS1_25partition_config_selectorILNS1_17partition_subalgoE0EjNS0_10empty_typeEbEEZZNS1_14partition_implILS5_0ELb0ES3_jN6thrust23THRUST_200600_302600_NS6detail15normal_iteratorINSA_10device_ptrIjEEEEPS6_SG_NS0_5tupleIJNSA_16discard_iteratorINSA_11use_defaultEEESK_EEENSH_IJSG_SG_EEES6_PlJ7is_evenIjEEEE10hipError_tPvRmT3_T4_T5_T6_T7_T9_mT8_P12ihipStream_tbDpT10_ENKUlT_T0_E_clISt17integral_constantIbLb0EES19_EEDaS14_S15_EUlS14_E_NS1_11comp_targetILNS1_3genE10ELNS1_11target_archE1200ELNS1_3gpuE4ELNS1_3repE0EEENS1_30default_config_static_selectorELNS0_4arch9wavefront6targetE1EEEvT1_,comdat
.Lfunc_end2400:
	.size	_ZN7rocprim17ROCPRIM_400000_NS6detail17trampoline_kernelINS0_14default_configENS1_25partition_config_selectorILNS1_17partition_subalgoE0EjNS0_10empty_typeEbEEZZNS1_14partition_implILS5_0ELb0ES3_jN6thrust23THRUST_200600_302600_NS6detail15normal_iteratorINSA_10device_ptrIjEEEEPS6_SG_NS0_5tupleIJNSA_16discard_iteratorINSA_11use_defaultEEESK_EEENSH_IJSG_SG_EEES6_PlJ7is_evenIjEEEE10hipError_tPvRmT3_T4_T5_T6_T7_T9_mT8_P12ihipStream_tbDpT10_ENKUlT_T0_E_clISt17integral_constantIbLb0EES19_EEDaS14_S15_EUlS14_E_NS1_11comp_targetILNS1_3genE10ELNS1_11target_archE1200ELNS1_3gpuE4ELNS1_3repE0EEENS1_30default_config_static_selectorELNS0_4arch9wavefront6targetE1EEEvT1_, .Lfunc_end2400-_ZN7rocprim17ROCPRIM_400000_NS6detail17trampoline_kernelINS0_14default_configENS1_25partition_config_selectorILNS1_17partition_subalgoE0EjNS0_10empty_typeEbEEZZNS1_14partition_implILS5_0ELb0ES3_jN6thrust23THRUST_200600_302600_NS6detail15normal_iteratorINSA_10device_ptrIjEEEEPS6_SG_NS0_5tupleIJNSA_16discard_iteratorINSA_11use_defaultEEESK_EEENSH_IJSG_SG_EEES6_PlJ7is_evenIjEEEE10hipError_tPvRmT3_T4_T5_T6_T7_T9_mT8_P12ihipStream_tbDpT10_ENKUlT_T0_E_clISt17integral_constantIbLb0EES19_EEDaS14_S15_EUlS14_E_NS1_11comp_targetILNS1_3genE10ELNS1_11target_archE1200ELNS1_3gpuE4ELNS1_3repE0EEENS1_30default_config_static_selectorELNS0_4arch9wavefront6targetE1EEEvT1_
                                        ; -- End function
	.section	.AMDGPU.csdata,"",@progbits
; Kernel info:
; codeLenInByte = 0
; NumSgprs: 6
; NumVgprs: 0
; NumAgprs: 0
; TotalNumVgprs: 0
; ScratchSize: 0
; MemoryBound: 0
; FloatMode: 240
; IeeeMode: 1
; LDSByteSize: 0 bytes/workgroup (compile time only)
; SGPRBlocks: 0
; VGPRBlocks: 0
; NumSGPRsForWavesPerEU: 6
; NumVGPRsForWavesPerEU: 1
; AccumOffset: 4
; Occupancy: 8
; WaveLimiterHint : 0
; COMPUTE_PGM_RSRC2:SCRATCH_EN: 0
; COMPUTE_PGM_RSRC2:USER_SGPR: 2
; COMPUTE_PGM_RSRC2:TRAP_HANDLER: 0
; COMPUTE_PGM_RSRC2:TGID_X_EN: 1
; COMPUTE_PGM_RSRC2:TGID_Y_EN: 0
; COMPUTE_PGM_RSRC2:TGID_Z_EN: 0
; COMPUTE_PGM_RSRC2:TIDIG_COMP_CNT: 0
; COMPUTE_PGM_RSRC3_GFX90A:ACCUM_OFFSET: 0
; COMPUTE_PGM_RSRC3_GFX90A:TG_SPLIT: 0
	.section	.text._ZN7rocprim17ROCPRIM_400000_NS6detail17trampoline_kernelINS0_14default_configENS1_25partition_config_selectorILNS1_17partition_subalgoE0EjNS0_10empty_typeEbEEZZNS1_14partition_implILS5_0ELb0ES3_jN6thrust23THRUST_200600_302600_NS6detail15normal_iteratorINSA_10device_ptrIjEEEEPS6_SG_NS0_5tupleIJNSA_16discard_iteratorINSA_11use_defaultEEESK_EEENSH_IJSG_SG_EEES6_PlJ7is_evenIjEEEE10hipError_tPvRmT3_T4_T5_T6_T7_T9_mT8_P12ihipStream_tbDpT10_ENKUlT_T0_E_clISt17integral_constantIbLb0EES19_EEDaS14_S15_EUlS14_E_NS1_11comp_targetILNS1_3genE9ELNS1_11target_archE1100ELNS1_3gpuE3ELNS1_3repE0EEENS1_30default_config_static_selectorELNS0_4arch9wavefront6targetE1EEEvT1_,"axG",@progbits,_ZN7rocprim17ROCPRIM_400000_NS6detail17trampoline_kernelINS0_14default_configENS1_25partition_config_selectorILNS1_17partition_subalgoE0EjNS0_10empty_typeEbEEZZNS1_14partition_implILS5_0ELb0ES3_jN6thrust23THRUST_200600_302600_NS6detail15normal_iteratorINSA_10device_ptrIjEEEEPS6_SG_NS0_5tupleIJNSA_16discard_iteratorINSA_11use_defaultEEESK_EEENSH_IJSG_SG_EEES6_PlJ7is_evenIjEEEE10hipError_tPvRmT3_T4_T5_T6_T7_T9_mT8_P12ihipStream_tbDpT10_ENKUlT_T0_E_clISt17integral_constantIbLb0EES19_EEDaS14_S15_EUlS14_E_NS1_11comp_targetILNS1_3genE9ELNS1_11target_archE1100ELNS1_3gpuE3ELNS1_3repE0EEENS1_30default_config_static_selectorELNS0_4arch9wavefront6targetE1EEEvT1_,comdat
	.protected	_ZN7rocprim17ROCPRIM_400000_NS6detail17trampoline_kernelINS0_14default_configENS1_25partition_config_selectorILNS1_17partition_subalgoE0EjNS0_10empty_typeEbEEZZNS1_14partition_implILS5_0ELb0ES3_jN6thrust23THRUST_200600_302600_NS6detail15normal_iteratorINSA_10device_ptrIjEEEEPS6_SG_NS0_5tupleIJNSA_16discard_iteratorINSA_11use_defaultEEESK_EEENSH_IJSG_SG_EEES6_PlJ7is_evenIjEEEE10hipError_tPvRmT3_T4_T5_T6_T7_T9_mT8_P12ihipStream_tbDpT10_ENKUlT_T0_E_clISt17integral_constantIbLb0EES19_EEDaS14_S15_EUlS14_E_NS1_11comp_targetILNS1_3genE9ELNS1_11target_archE1100ELNS1_3gpuE3ELNS1_3repE0EEENS1_30default_config_static_selectorELNS0_4arch9wavefront6targetE1EEEvT1_ ; -- Begin function _ZN7rocprim17ROCPRIM_400000_NS6detail17trampoline_kernelINS0_14default_configENS1_25partition_config_selectorILNS1_17partition_subalgoE0EjNS0_10empty_typeEbEEZZNS1_14partition_implILS5_0ELb0ES3_jN6thrust23THRUST_200600_302600_NS6detail15normal_iteratorINSA_10device_ptrIjEEEEPS6_SG_NS0_5tupleIJNSA_16discard_iteratorINSA_11use_defaultEEESK_EEENSH_IJSG_SG_EEES6_PlJ7is_evenIjEEEE10hipError_tPvRmT3_T4_T5_T6_T7_T9_mT8_P12ihipStream_tbDpT10_ENKUlT_T0_E_clISt17integral_constantIbLb0EES19_EEDaS14_S15_EUlS14_E_NS1_11comp_targetILNS1_3genE9ELNS1_11target_archE1100ELNS1_3gpuE3ELNS1_3repE0EEENS1_30default_config_static_selectorELNS0_4arch9wavefront6targetE1EEEvT1_
	.globl	_ZN7rocprim17ROCPRIM_400000_NS6detail17trampoline_kernelINS0_14default_configENS1_25partition_config_selectorILNS1_17partition_subalgoE0EjNS0_10empty_typeEbEEZZNS1_14partition_implILS5_0ELb0ES3_jN6thrust23THRUST_200600_302600_NS6detail15normal_iteratorINSA_10device_ptrIjEEEEPS6_SG_NS0_5tupleIJNSA_16discard_iteratorINSA_11use_defaultEEESK_EEENSH_IJSG_SG_EEES6_PlJ7is_evenIjEEEE10hipError_tPvRmT3_T4_T5_T6_T7_T9_mT8_P12ihipStream_tbDpT10_ENKUlT_T0_E_clISt17integral_constantIbLb0EES19_EEDaS14_S15_EUlS14_E_NS1_11comp_targetILNS1_3genE9ELNS1_11target_archE1100ELNS1_3gpuE3ELNS1_3repE0EEENS1_30default_config_static_selectorELNS0_4arch9wavefront6targetE1EEEvT1_
	.p2align	8
	.type	_ZN7rocprim17ROCPRIM_400000_NS6detail17trampoline_kernelINS0_14default_configENS1_25partition_config_selectorILNS1_17partition_subalgoE0EjNS0_10empty_typeEbEEZZNS1_14partition_implILS5_0ELb0ES3_jN6thrust23THRUST_200600_302600_NS6detail15normal_iteratorINSA_10device_ptrIjEEEEPS6_SG_NS0_5tupleIJNSA_16discard_iteratorINSA_11use_defaultEEESK_EEENSH_IJSG_SG_EEES6_PlJ7is_evenIjEEEE10hipError_tPvRmT3_T4_T5_T6_T7_T9_mT8_P12ihipStream_tbDpT10_ENKUlT_T0_E_clISt17integral_constantIbLb0EES19_EEDaS14_S15_EUlS14_E_NS1_11comp_targetILNS1_3genE9ELNS1_11target_archE1100ELNS1_3gpuE3ELNS1_3repE0EEENS1_30default_config_static_selectorELNS0_4arch9wavefront6targetE1EEEvT1_,@function
_ZN7rocprim17ROCPRIM_400000_NS6detail17trampoline_kernelINS0_14default_configENS1_25partition_config_selectorILNS1_17partition_subalgoE0EjNS0_10empty_typeEbEEZZNS1_14partition_implILS5_0ELb0ES3_jN6thrust23THRUST_200600_302600_NS6detail15normal_iteratorINSA_10device_ptrIjEEEEPS6_SG_NS0_5tupleIJNSA_16discard_iteratorINSA_11use_defaultEEESK_EEENSH_IJSG_SG_EEES6_PlJ7is_evenIjEEEE10hipError_tPvRmT3_T4_T5_T6_T7_T9_mT8_P12ihipStream_tbDpT10_ENKUlT_T0_E_clISt17integral_constantIbLb0EES19_EEDaS14_S15_EUlS14_E_NS1_11comp_targetILNS1_3genE9ELNS1_11target_archE1100ELNS1_3gpuE3ELNS1_3repE0EEENS1_30default_config_static_selectorELNS0_4arch9wavefront6targetE1EEEvT1_: ; @_ZN7rocprim17ROCPRIM_400000_NS6detail17trampoline_kernelINS0_14default_configENS1_25partition_config_selectorILNS1_17partition_subalgoE0EjNS0_10empty_typeEbEEZZNS1_14partition_implILS5_0ELb0ES3_jN6thrust23THRUST_200600_302600_NS6detail15normal_iteratorINSA_10device_ptrIjEEEEPS6_SG_NS0_5tupleIJNSA_16discard_iteratorINSA_11use_defaultEEESK_EEENSH_IJSG_SG_EEES6_PlJ7is_evenIjEEEE10hipError_tPvRmT3_T4_T5_T6_T7_T9_mT8_P12ihipStream_tbDpT10_ENKUlT_T0_E_clISt17integral_constantIbLb0EES19_EEDaS14_S15_EUlS14_E_NS1_11comp_targetILNS1_3genE9ELNS1_11target_archE1100ELNS1_3gpuE3ELNS1_3repE0EEENS1_30default_config_static_selectorELNS0_4arch9wavefront6targetE1EEEvT1_
; %bb.0:
	.section	.rodata,"a",@progbits
	.p2align	6, 0x0
	.amdhsa_kernel _ZN7rocprim17ROCPRIM_400000_NS6detail17trampoline_kernelINS0_14default_configENS1_25partition_config_selectorILNS1_17partition_subalgoE0EjNS0_10empty_typeEbEEZZNS1_14partition_implILS5_0ELb0ES3_jN6thrust23THRUST_200600_302600_NS6detail15normal_iteratorINSA_10device_ptrIjEEEEPS6_SG_NS0_5tupleIJNSA_16discard_iteratorINSA_11use_defaultEEESK_EEENSH_IJSG_SG_EEES6_PlJ7is_evenIjEEEE10hipError_tPvRmT3_T4_T5_T6_T7_T9_mT8_P12ihipStream_tbDpT10_ENKUlT_T0_E_clISt17integral_constantIbLb0EES19_EEDaS14_S15_EUlS14_E_NS1_11comp_targetILNS1_3genE9ELNS1_11target_archE1100ELNS1_3gpuE3ELNS1_3repE0EEENS1_30default_config_static_selectorELNS0_4arch9wavefront6targetE1EEEvT1_
		.amdhsa_group_segment_fixed_size 0
		.amdhsa_private_segment_fixed_size 0
		.amdhsa_kernarg_size 136
		.amdhsa_user_sgpr_count 2
		.amdhsa_user_sgpr_dispatch_ptr 0
		.amdhsa_user_sgpr_queue_ptr 0
		.amdhsa_user_sgpr_kernarg_segment_ptr 1
		.amdhsa_user_sgpr_dispatch_id 0
		.amdhsa_user_sgpr_kernarg_preload_length 0
		.amdhsa_user_sgpr_kernarg_preload_offset 0
		.amdhsa_user_sgpr_private_segment_size 0
		.amdhsa_uses_dynamic_stack 0
		.amdhsa_enable_private_segment 0
		.amdhsa_system_sgpr_workgroup_id_x 1
		.amdhsa_system_sgpr_workgroup_id_y 0
		.amdhsa_system_sgpr_workgroup_id_z 0
		.amdhsa_system_sgpr_workgroup_info 0
		.amdhsa_system_vgpr_workitem_id 0
		.amdhsa_next_free_vgpr 1
		.amdhsa_next_free_sgpr 0
		.amdhsa_accum_offset 4
		.amdhsa_reserve_vcc 0
		.amdhsa_float_round_mode_32 0
		.amdhsa_float_round_mode_16_64 0
		.amdhsa_float_denorm_mode_32 3
		.amdhsa_float_denorm_mode_16_64 3
		.amdhsa_dx10_clamp 1
		.amdhsa_ieee_mode 1
		.amdhsa_fp16_overflow 0
		.amdhsa_tg_split 0
		.amdhsa_exception_fp_ieee_invalid_op 0
		.amdhsa_exception_fp_denorm_src 0
		.amdhsa_exception_fp_ieee_div_zero 0
		.amdhsa_exception_fp_ieee_overflow 0
		.amdhsa_exception_fp_ieee_underflow 0
		.amdhsa_exception_fp_ieee_inexact 0
		.amdhsa_exception_int_div_zero 0
	.end_amdhsa_kernel
	.section	.text._ZN7rocprim17ROCPRIM_400000_NS6detail17trampoline_kernelINS0_14default_configENS1_25partition_config_selectorILNS1_17partition_subalgoE0EjNS0_10empty_typeEbEEZZNS1_14partition_implILS5_0ELb0ES3_jN6thrust23THRUST_200600_302600_NS6detail15normal_iteratorINSA_10device_ptrIjEEEEPS6_SG_NS0_5tupleIJNSA_16discard_iteratorINSA_11use_defaultEEESK_EEENSH_IJSG_SG_EEES6_PlJ7is_evenIjEEEE10hipError_tPvRmT3_T4_T5_T6_T7_T9_mT8_P12ihipStream_tbDpT10_ENKUlT_T0_E_clISt17integral_constantIbLb0EES19_EEDaS14_S15_EUlS14_E_NS1_11comp_targetILNS1_3genE9ELNS1_11target_archE1100ELNS1_3gpuE3ELNS1_3repE0EEENS1_30default_config_static_selectorELNS0_4arch9wavefront6targetE1EEEvT1_,"axG",@progbits,_ZN7rocprim17ROCPRIM_400000_NS6detail17trampoline_kernelINS0_14default_configENS1_25partition_config_selectorILNS1_17partition_subalgoE0EjNS0_10empty_typeEbEEZZNS1_14partition_implILS5_0ELb0ES3_jN6thrust23THRUST_200600_302600_NS6detail15normal_iteratorINSA_10device_ptrIjEEEEPS6_SG_NS0_5tupleIJNSA_16discard_iteratorINSA_11use_defaultEEESK_EEENSH_IJSG_SG_EEES6_PlJ7is_evenIjEEEE10hipError_tPvRmT3_T4_T5_T6_T7_T9_mT8_P12ihipStream_tbDpT10_ENKUlT_T0_E_clISt17integral_constantIbLb0EES19_EEDaS14_S15_EUlS14_E_NS1_11comp_targetILNS1_3genE9ELNS1_11target_archE1100ELNS1_3gpuE3ELNS1_3repE0EEENS1_30default_config_static_selectorELNS0_4arch9wavefront6targetE1EEEvT1_,comdat
.Lfunc_end2401:
	.size	_ZN7rocprim17ROCPRIM_400000_NS6detail17trampoline_kernelINS0_14default_configENS1_25partition_config_selectorILNS1_17partition_subalgoE0EjNS0_10empty_typeEbEEZZNS1_14partition_implILS5_0ELb0ES3_jN6thrust23THRUST_200600_302600_NS6detail15normal_iteratorINSA_10device_ptrIjEEEEPS6_SG_NS0_5tupleIJNSA_16discard_iteratorINSA_11use_defaultEEESK_EEENSH_IJSG_SG_EEES6_PlJ7is_evenIjEEEE10hipError_tPvRmT3_T4_T5_T6_T7_T9_mT8_P12ihipStream_tbDpT10_ENKUlT_T0_E_clISt17integral_constantIbLb0EES19_EEDaS14_S15_EUlS14_E_NS1_11comp_targetILNS1_3genE9ELNS1_11target_archE1100ELNS1_3gpuE3ELNS1_3repE0EEENS1_30default_config_static_selectorELNS0_4arch9wavefront6targetE1EEEvT1_, .Lfunc_end2401-_ZN7rocprim17ROCPRIM_400000_NS6detail17trampoline_kernelINS0_14default_configENS1_25partition_config_selectorILNS1_17partition_subalgoE0EjNS0_10empty_typeEbEEZZNS1_14partition_implILS5_0ELb0ES3_jN6thrust23THRUST_200600_302600_NS6detail15normal_iteratorINSA_10device_ptrIjEEEEPS6_SG_NS0_5tupleIJNSA_16discard_iteratorINSA_11use_defaultEEESK_EEENSH_IJSG_SG_EEES6_PlJ7is_evenIjEEEE10hipError_tPvRmT3_T4_T5_T6_T7_T9_mT8_P12ihipStream_tbDpT10_ENKUlT_T0_E_clISt17integral_constantIbLb0EES19_EEDaS14_S15_EUlS14_E_NS1_11comp_targetILNS1_3genE9ELNS1_11target_archE1100ELNS1_3gpuE3ELNS1_3repE0EEENS1_30default_config_static_selectorELNS0_4arch9wavefront6targetE1EEEvT1_
                                        ; -- End function
	.section	.AMDGPU.csdata,"",@progbits
; Kernel info:
; codeLenInByte = 0
; NumSgprs: 6
; NumVgprs: 0
; NumAgprs: 0
; TotalNumVgprs: 0
; ScratchSize: 0
; MemoryBound: 0
; FloatMode: 240
; IeeeMode: 1
; LDSByteSize: 0 bytes/workgroup (compile time only)
; SGPRBlocks: 0
; VGPRBlocks: 0
; NumSGPRsForWavesPerEU: 6
; NumVGPRsForWavesPerEU: 1
; AccumOffset: 4
; Occupancy: 8
; WaveLimiterHint : 0
; COMPUTE_PGM_RSRC2:SCRATCH_EN: 0
; COMPUTE_PGM_RSRC2:USER_SGPR: 2
; COMPUTE_PGM_RSRC2:TRAP_HANDLER: 0
; COMPUTE_PGM_RSRC2:TGID_X_EN: 1
; COMPUTE_PGM_RSRC2:TGID_Y_EN: 0
; COMPUTE_PGM_RSRC2:TGID_Z_EN: 0
; COMPUTE_PGM_RSRC2:TIDIG_COMP_CNT: 0
; COMPUTE_PGM_RSRC3_GFX90A:ACCUM_OFFSET: 0
; COMPUTE_PGM_RSRC3_GFX90A:TG_SPLIT: 0
	.section	.text._ZN7rocprim17ROCPRIM_400000_NS6detail17trampoline_kernelINS0_14default_configENS1_25partition_config_selectorILNS1_17partition_subalgoE0EjNS0_10empty_typeEbEEZZNS1_14partition_implILS5_0ELb0ES3_jN6thrust23THRUST_200600_302600_NS6detail15normal_iteratorINSA_10device_ptrIjEEEEPS6_SG_NS0_5tupleIJNSA_16discard_iteratorINSA_11use_defaultEEESK_EEENSH_IJSG_SG_EEES6_PlJ7is_evenIjEEEE10hipError_tPvRmT3_T4_T5_T6_T7_T9_mT8_P12ihipStream_tbDpT10_ENKUlT_T0_E_clISt17integral_constantIbLb0EES19_EEDaS14_S15_EUlS14_E_NS1_11comp_targetILNS1_3genE8ELNS1_11target_archE1030ELNS1_3gpuE2ELNS1_3repE0EEENS1_30default_config_static_selectorELNS0_4arch9wavefront6targetE1EEEvT1_,"axG",@progbits,_ZN7rocprim17ROCPRIM_400000_NS6detail17trampoline_kernelINS0_14default_configENS1_25partition_config_selectorILNS1_17partition_subalgoE0EjNS0_10empty_typeEbEEZZNS1_14partition_implILS5_0ELb0ES3_jN6thrust23THRUST_200600_302600_NS6detail15normal_iteratorINSA_10device_ptrIjEEEEPS6_SG_NS0_5tupleIJNSA_16discard_iteratorINSA_11use_defaultEEESK_EEENSH_IJSG_SG_EEES6_PlJ7is_evenIjEEEE10hipError_tPvRmT3_T4_T5_T6_T7_T9_mT8_P12ihipStream_tbDpT10_ENKUlT_T0_E_clISt17integral_constantIbLb0EES19_EEDaS14_S15_EUlS14_E_NS1_11comp_targetILNS1_3genE8ELNS1_11target_archE1030ELNS1_3gpuE2ELNS1_3repE0EEENS1_30default_config_static_selectorELNS0_4arch9wavefront6targetE1EEEvT1_,comdat
	.protected	_ZN7rocprim17ROCPRIM_400000_NS6detail17trampoline_kernelINS0_14default_configENS1_25partition_config_selectorILNS1_17partition_subalgoE0EjNS0_10empty_typeEbEEZZNS1_14partition_implILS5_0ELb0ES3_jN6thrust23THRUST_200600_302600_NS6detail15normal_iteratorINSA_10device_ptrIjEEEEPS6_SG_NS0_5tupleIJNSA_16discard_iteratorINSA_11use_defaultEEESK_EEENSH_IJSG_SG_EEES6_PlJ7is_evenIjEEEE10hipError_tPvRmT3_T4_T5_T6_T7_T9_mT8_P12ihipStream_tbDpT10_ENKUlT_T0_E_clISt17integral_constantIbLb0EES19_EEDaS14_S15_EUlS14_E_NS1_11comp_targetILNS1_3genE8ELNS1_11target_archE1030ELNS1_3gpuE2ELNS1_3repE0EEENS1_30default_config_static_selectorELNS0_4arch9wavefront6targetE1EEEvT1_ ; -- Begin function _ZN7rocprim17ROCPRIM_400000_NS6detail17trampoline_kernelINS0_14default_configENS1_25partition_config_selectorILNS1_17partition_subalgoE0EjNS0_10empty_typeEbEEZZNS1_14partition_implILS5_0ELb0ES3_jN6thrust23THRUST_200600_302600_NS6detail15normal_iteratorINSA_10device_ptrIjEEEEPS6_SG_NS0_5tupleIJNSA_16discard_iteratorINSA_11use_defaultEEESK_EEENSH_IJSG_SG_EEES6_PlJ7is_evenIjEEEE10hipError_tPvRmT3_T4_T5_T6_T7_T9_mT8_P12ihipStream_tbDpT10_ENKUlT_T0_E_clISt17integral_constantIbLb0EES19_EEDaS14_S15_EUlS14_E_NS1_11comp_targetILNS1_3genE8ELNS1_11target_archE1030ELNS1_3gpuE2ELNS1_3repE0EEENS1_30default_config_static_selectorELNS0_4arch9wavefront6targetE1EEEvT1_
	.globl	_ZN7rocprim17ROCPRIM_400000_NS6detail17trampoline_kernelINS0_14default_configENS1_25partition_config_selectorILNS1_17partition_subalgoE0EjNS0_10empty_typeEbEEZZNS1_14partition_implILS5_0ELb0ES3_jN6thrust23THRUST_200600_302600_NS6detail15normal_iteratorINSA_10device_ptrIjEEEEPS6_SG_NS0_5tupleIJNSA_16discard_iteratorINSA_11use_defaultEEESK_EEENSH_IJSG_SG_EEES6_PlJ7is_evenIjEEEE10hipError_tPvRmT3_T4_T5_T6_T7_T9_mT8_P12ihipStream_tbDpT10_ENKUlT_T0_E_clISt17integral_constantIbLb0EES19_EEDaS14_S15_EUlS14_E_NS1_11comp_targetILNS1_3genE8ELNS1_11target_archE1030ELNS1_3gpuE2ELNS1_3repE0EEENS1_30default_config_static_selectorELNS0_4arch9wavefront6targetE1EEEvT1_
	.p2align	8
	.type	_ZN7rocprim17ROCPRIM_400000_NS6detail17trampoline_kernelINS0_14default_configENS1_25partition_config_selectorILNS1_17partition_subalgoE0EjNS0_10empty_typeEbEEZZNS1_14partition_implILS5_0ELb0ES3_jN6thrust23THRUST_200600_302600_NS6detail15normal_iteratorINSA_10device_ptrIjEEEEPS6_SG_NS0_5tupleIJNSA_16discard_iteratorINSA_11use_defaultEEESK_EEENSH_IJSG_SG_EEES6_PlJ7is_evenIjEEEE10hipError_tPvRmT3_T4_T5_T6_T7_T9_mT8_P12ihipStream_tbDpT10_ENKUlT_T0_E_clISt17integral_constantIbLb0EES19_EEDaS14_S15_EUlS14_E_NS1_11comp_targetILNS1_3genE8ELNS1_11target_archE1030ELNS1_3gpuE2ELNS1_3repE0EEENS1_30default_config_static_selectorELNS0_4arch9wavefront6targetE1EEEvT1_,@function
_ZN7rocprim17ROCPRIM_400000_NS6detail17trampoline_kernelINS0_14default_configENS1_25partition_config_selectorILNS1_17partition_subalgoE0EjNS0_10empty_typeEbEEZZNS1_14partition_implILS5_0ELb0ES3_jN6thrust23THRUST_200600_302600_NS6detail15normal_iteratorINSA_10device_ptrIjEEEEPS6_SG_NS0_5tupleIJNSA_16discard_iteratorINSA_11use_defaultEEESK_EEENSH_IJSG_SG_EEES6_PlJ7is_evenIjEEEE10hipError_tPvRmT3_T4_T5_T6_T7_T9_mT8_P12ihipStream_tbDpT10_ENKUlT_T0_E_clISt17integral_constantIbLb0EES19_EEDaS14_S15_EUlS14_E_NS1_11comp_targetILNS1_3genE8ELNS1_11target_archE1030ELNS1_3gpuE2ELNS1_3repE0EEENS1_30default_config_static_selectorELNS0_4arch9wavefront6targetE1EEEvT1_: ; @_ZN7rocprim17ROCPRIM_400000_NS6detail17trampoline_kernelINS0_14default_configENS1_25partition_config_selectorILNS1_17partition_subalgoE0EjNS0_10empty_typeEbEEZZNS1_14partition_implILS5_0ELb0ES3_jN6thrust23THRUST_200600_302600_NS6detail15normal_iteratorINSA_10device_ptrIjEEEEPS6_SG_NS0_5tupleIJNSA_16discard_iteratorINSA_11use_defaultEEESK_EEENSH_IJSG_SG_EEES6_PlJ7is_evenIjEEEE10hipError_tPvRmT3_T4_T5_T6_T7_T9_mT8_P12ihipStream_tbDpT10_ENKUlT_T0_E_clISt17integral_constantIbLb0EES19_EEDaS14_S15_EUlS14_E_NS1_11comp_targetILNS1_3genE8ELNS1_11target_archE1030ELNS1_3gpuE2ELNS1_3repE0EEENS1_30default_config_static_selectorELNS0_4arch9wavefront6targetE1EEEvT1_
; %bb.0:
	.section	.rodata,"a",@progbits
	.p2align	6, 0x0
	.amdhsa_kernel _ZN7rocprim17ROCPRIM_400000_NS6detail17trampoline_kernelINS0_14default_configENS1_25partition_config_selectorILNS1_17partition_subalgoE0EjNS0_10empty_typeEbEEZZNS1_14partition_implILS5_0ELb0ES3_jN6thrust23THRUST_200600_302600_NS6detail15normal_iteratorINSA_10device_ptrIjEEEEPS6_SG_NS0_5tupleIJNSA_16discard_iteratorINSA_11use_defaultEEESK_EEENSH_IJSG_SG_EEES6_PlJ7is_evenIjEEEE10hipError_tPvRmT3_T4_T5_T6_T7_T9_mT8_P12ihipStream_tbDpT10_ENKUlT_T0_E_clISt17integral_constantIbLb0EES19_EEDaS14_S15_EUlS14_E_NS1_11comp_targetILNS1_3genE8ELNS1_11target_archE1030ELNS1_3gpuE2ELNS1_3repE0EEENS1_30default_config_static_selectorELNS0_4arch9wavefront6targetE1EEEvT1_
		.amdhsa_group_segment_fixed_size 0
		.amdhsa_private_segment_fixed_size 0
		.amdhsa_kernarg_size 136
		.amdhsa_user_sgpr_count 2
		.amdhsa_user_sgpr_dispatch_ptr 0
		.amdhsa_user_sgpr_queue_ptr 0
		.amdhsa_user_sgpr_kernarg_segment_ptr 1
		.amdhsa_user_sgpr_dispatch_id 0
		.amdhsa_user_sgpr_kernarg_preload_length 0
		.amdhsa_user_sgpr_kernarg_preload_offset 0
		.amdhsa_user_sgpr_private_segment_size 0
		.amdhsa_uses_dynamic_stack 0
		.amdhsa_enable_private_segment 0
		.amdhsa_system_sgpr_workgroup_id_x 1
		.amdhsa_system_sgpr_workgroup_id_y 0
		.amdhsa_system_sgpr_workgroup_id_z 0
		.amdhsa_system_sgpr_workgroup_info 0
		.amdhsa_system_vgpr_workitem_id 0
		.amdhsa_next_free_vgpr 1
		.amdhsa_next_free_sgpr 0
		.amdhsa_accum_offset 4
		.amdhsa_reserve_vcc 0
		.amdhsa_float_round_mode_32 0
		.amdhsa_float_round_mode_16_64 0
		.amdhsa_float_denorm_mode_32 3
		.amdhsa_float_denorm_mode_16_64 3
		.amdhsa_dx10_clamp 1
		.amdhsa_ieee_mode 1
		.amdhsa_fp16_overflow 0
		.amdhsa_tg_split 0
		.amdhsa_exception_fp_ieee_invalid_op 0
		.amdhsa_exception_fp_denorm_src 0
		.amdhsa_exception_fp_ieee_div_zero 0
		.amdhsa_exception_fp_ieee_overflow 0
		.amdhsa_exception_fp_ieee_underflow 0
		.amdhsa_exception_fp_ieee_inexact 0
		.amdhsa_exception_int_div_zero 0
	.end_amdhsa_kernel
	.section	.text._ZN7rocprim17ROCPRIM_400000_NS6detail17trampoline_kernelINS0_14default_configENS1_25partition_config_selectorILNS1_17partition_subalgoE0EjNS0_10empty_typeEbEEZZNS1_14partition_implILS5_0ELb0ES3_jN6thrust23THRUST_200600_302600_NS6detail15normal_iteratorINSA_10device_ptrIjEEEEPS6_SG_NS0_5tupleIJNSA_16discard_iteratorINSA_11use_defaultEEESK_EEENSH_IJSG_SG_EEES6_PlJ7is_evenIjEEEE10hipError_tPvRmT3_T4_T5_T6_T7_T9_mT8_P12ihipStream_tbDpT10_ENKUlT_T0_E_clISt17integral_constantIbLb0EES19_EEDaS14_S15_EUlS14_E_NS1_11comp_targetILNS1_3genE8ELNS1_11target_archE1030ELNS1_3gpuE2ELNS1_3repE0EEENS1_30default_config_static_selectorELNS0_4arch9wavefront6targetE1EEEvT1_,"axG",@progbits,_ZN7rocprim17ROCPRIM_400000_NS6detail17trampoline_kernelINS0_14default_configENS1_25partition_config_selectorILNS1_17partition_subalgoE0EjNS0_10empty_typeEbEEZZNS1_14partition_implILS5_0ELb0ES3_jN6thrust23THRUST_200600_302600_NS6detail15normal_iteratorINSA_10device_ptrIjEEEEPS6_SG_NS0_5tupleIJNSA_16discard_iteratorINSA_11use_defaultEEESK_EEENSH_IJSG_SG_EEES6_PlJ7is_evenIjEEEE10hipError_tPvRmT3_T4_T5_T6_T7_T9_mT8_P12ihipStream_tbDpT10_ENKUlT_T0_E_clISt17integral_constantIbLb0EES19_EEDaS14_S15_EUlS14_E_NS1_11comp_targetILNS1_3genE8ELNS1_11target_archE1030ELNS1_3gpuE2ELNS1_3repE0EEENS1_30default_config_static_selectorELNS0_4arch9wavefront6targetE1EEEvT1_,comdat
.Lfunc_end2402:
	.size	_ZN7rocprim17ROCPRIM_400000_NS6detail17trampoline_kernelINS0_14default_configENS1_25partition_config_selectorILNS1_17partition_subalgoE0EjNS0_10empty_typeEbEEZZNS1_14partition_implILS5_0ELb0ES3_jN6thrust23THRUST_200600_302600_NS6detail15normal_iteratorINSA_10device_ptrIjEEEEPS6_SG_NS0_5tupleIJNSA_16discard_iteratorINSA_11use_defaultEEESK_EEENSH_IJSG_SG_EEES6_PlJ7is_evenIjEEEE10hipError_tPvRmT3_T4_T5_T6_T7_T9_mT8_P12ihipStream_tbDpT10_ENKUlT_T0_E_clISt17integral_constantIbLb0EES19_EEDaS14_S15_EUlS14_E_NS1_11comp_targetILNS1_3genE8ELNS1_11target_archE1030ELNS1_3gpuE2ELNS1_3repE0EEENS1_30default_config_static_selectorELNS0_4arch9wavefront6targetE1EEEvT1_, .Lfunc_end2402-_ZN7rocprim17ROCPRIM_400000_NS6detail17trampoline_kernelINS0_14default_configENS1_25partition_config_selectorILNS1_17partition_subalgoE0EjNS0_10empty_typeEbEEZZNS1_14partition_implILS5_0ELb0ES3_jN6thrust23THRUST_200600_302600_NS6detail15normal_iteratorINSA_10device_ptrIjEEEEPS6_SG_NS0_5tupleIJNSA_16discard_iteratorINSA_11use_defaultEEESK_EEENSH_IJSG_SG_EEES6_PlJ7is_evenIjEEEE10hipError_tPvRmT3_T4_T5_T6_T7_T9_mT8_P12ihipStream_tbDpT10_ENKUlT_T0_E_clISt17integral_constantIbLb0EES19_EEDaS14_S15_EUlS14_E_NS1_11comp_targetILNS1_3genE8ELNS1_11target_archE1030ELNS1_3gpuE2ELNS1_3repE0EEENS1_30default_config_static_selectorELNS0_4arch9wavefront6targetE1EEEvT1_
                                        ; -- End function
	.section	.AMDGPU.csdata,"",@progbits
; Kernel info:
; codeLenInByte = 0
; NumSgprs: 6
; NumVgprs: 0
; NumAgprs: 0
; TotalNumVgprs: 0
; ScratchSize: 0
; MemoryBound: 0
; FloatMode: 240
; IeeeMode: 1
; LDSByteSize: 0 bytes/workgroup (compile time only)
; SGPRBlocks: 0
; VGPRBlocks: 0
; NumSGPRsForWavesPerEU: 6
; NumVGPRsForWavesPerEU: 1
; AccumOffset: 4
; Occupancy: 8
; WaveLimiterHint : 0
; COMPUTE_PGM_RSRC2:SCRATCH_EN: 0
; COMPUTE_PGM_RSRC2:USER_SGPR: 2
; COMPUTE_PGM_RSRC2:TRAP_HANDLER: 0
; COMPUTE_PGM_RSRC2:TGID_X_EN: 1
; COMPUTE_PGM_RSRC2:TGID_Y_EN: 0
; COMPUTE_PGM_RSRC2:TGID_Z_EN: 0
; COMPUTE_PGM_RSRC2:TIDIG_COMP_CNT: 0
; COMPUTE_PGM_RSRC3_GFX90A:ACCUM_OFFSET: 0
; COMPUTE_PGM_RSRC3_GFX90A:TG_SPLIT: 0
	.section	.text._ZN7rocprim17ROCPRIM_400000_NS6detail17trampoline_kernelINS0_14default_configENS1_25partition_config_selectorILNS1_17partition_subalgoE0EjNS0_10empty_typeEbEEZZNS1_14partition_implILS5_0ELb0ES3_jN6thrust23THRUST_200600_302600_NS6detail15normal_iteratorINSA_10device_ptrIjEEEEPS6_SG_NS0_5tupleIJNSA_16discard_iteratorINSA_11use_defaultEEESK_EEENSH_IJSG_SG_EEES6_PlJ7is_evenIjEEEE10hipError_tPvRmT3_T4_T5_T6_T7_T9_mT8_P12ihipStream_tbDpT10_ENKUlT_T0_E_clISt17integral_constantIbLb1EES19_EEDaS14_S15_EUlS14_E_NS1_11comp_targetILNS1_3genE0ELNS1_11target_archE4294967295ELNS1_3gpuE0ELNS1_3repE0EEENS1_30default_config_static_selectorELNS0_4arch9wavefront6targetE1EEEvT1_,"axG",@progbits,_ZN7rocprim17ROCPRIM_400000_NS6detail17trampoline_kernelINS0_14default_configENS1_25partition_config_selectorILNS1_17partition_subalgoE0EjNS0_10empty_typeEbEEZZNS1_14partition_implILS5_0ELb0ES3_jN6thrust23THRUST_200600_302600_NS6detail15normal_iteratorINSA_10device_ptrIjEEEEPS6_SG_NS0_5tupleIJNSA_16discard_iteratorINSA_11use_defaultEEESK_EEENSH_IJSG_SG_EEES6_PlJ7is_evenIjEEEE10hipError_tPvRmT3_T4_T5_T6_T7_T9_mT8_P12ihipStream_tbDpT10_ENKUlT_T0_E_clISt17integral_constantIbLb1EES19_EEDaS14_S15_EUlS14_E_NS1_11comp_targetILNS1_3genE0ELNS1_11target_archE4294967295ELNS1_3gpuE0ELNS1_3repE0EEENS1_30default_config_static_selectorELNS0_4arch9wavefront6targetE1EEEvT1_,comdat
	.protected	_ZN7rocprim17ROCPRIM_400000_NS6detail17trampoline_kernelINS0_14default_configENS1_25partition_config_selectorILNS1_17partition_subalgoE0EjNS0_10empty_typeEbEEZZNS1_14partition_implILS5_0ELb0ES3_jN6thrust23THRUST_200600_302600_NS6detail15normal_iteratorINSA_10device_ptrIjEEEEPS6_SG_NS0_5tupleIJNSA_16discard_iteratorINSA_11use_defaultEEESK_EEENSH_IJSG_SG_EEES6_PlJ7is_evenIjEEEE10hipError_tPvRmT3_T4_T5_T6_T7_T9_mT8_P12ihipStream_tbDpT10_ENKUlT_T0_E_clISt17integral_constantIbLb1EES19_EEDaS14_S15_EUlS14_E_NS1_11comp_targetILNS1_3genE0ELNS1_11target_archE4294967295ELNS1_3gpuE0ELNS1_3repE0EEENS1_30default_config_static_selectorELNS0_4arch9wavefront6targetE1EEEvT1_ ; -- Begin function _ZN7rocprim17ROCPRIM_400000_NS6detail17trampoline_kernelINS0_14default_configENS1_25partition_config_selectorILNS1_17partition_subalgoE0EjNS0_10empty_typeEbEEZZNS1_14partition_implILS5_0ELb0ES3_jN6thrust23THRUST_200600_302600_NS6detail15normal_iteratorINSA_10device_ptrIjEEEEPS6_SG_NS0_5tupleIJNSA_16discard_iteratorINSA_11use_defaultEEESK_EEENSH_IJSG_SG_EEES6_PlJ7is_evenIjEEEE10hipError_tPvRmT3_T4_T5_T6_T7_T9_mT8_P12ihipStream_tbDpT10_ENKUlT_T0_E_clISt17integral_constantIbLb1EES19_EEDaS14_S15_EUlS14_E_NS1_11comp_targetILNS1_3genE0ELNS1_11target_archE4294967295ELNS1_3gpuE0ELNS1_3repE0EEENS1_30default_config_static_selectorELNS0_4arch9wavefront6targetE1EEEvT1_
	.globl	_ZN7rocprim17ROCPRIM_400000_NS6detail17trampoline_kernelINS0_14default_configENS1_25partition_config_selectorILNS1_17partition_subalgoE0EjNS0_10empty_typeEbEEZZNS1_14partition_implILS5_0ELb0ES3_jN6thrust23THRUST_200600_302600_NS6detail15normal_iteratorINSA_10device_ptrIjEEEEPS6_SG_NS0_5tupleIJNSA_16discard_iteratorINSA_11use_defaultEEESK_EEENSH_IJSG_SG_EEES6_PlJ7is_evenIjEEEE10hipError_tPvRmT3_T4_T5_T6_T7_T9_mT8_P12ihipStream_tbDpT10_ENKUlT_T0_E_clISt17integral_constantIbLb1EES19_EEDaS14_S15_EUlS14_E_NS1_11comp_targetILNS1_3genE0ELNS1_11target_archE4294967295ELNS1_3gpuE0ELNS1_3repE0EEENS1_30default_config_static_selectorELNS0_4arch9wavefront6targetE1EEEvT1_
	.p2align	8
	.type	_ZN7rocprim17ROCPRIM_400000_NS6detail17trampoline_kernelINS0_14default_configENS1_25partition_config_selectorILNS1_17partition_subalgoE0EjNS0_10empty_typeEbEEZZNS1_14partition_implILS5_0ELb0ES3_jN6thrust23THRUST_200600_302600_NS6detail15normal_iteratorINSA_10device_ptrIjEEEEPS6_SG_NS0_5tupleIJNSA_16discard_iteratorINSA_11use_defaultEEESK_EEENSH_IJSG_SG_EEES6_PlJ7is_evenIjEEEE10hipError_tPvRmT3_T4_T5_T6_T7_T9_mT8_P12ihipStream_tbDpT10_ENKUlT_T0_E_clISt17integral_constantIbLb1EES19_EEDaS14_S15_EUlS14_E_NS1_11comp_targetILNS1_3genE0ELNS1_11target_archE4294967295ELNS1_3gpuE0ELNS1_3repE0EEENS1_30default_config_static_selectorELNS0_4arch9wavefront6targetE1EEEvT1_,@function
_ZN7rocprim17ROCPRIM_400000_NS6detail17trampoline_kernelINS0_14default_configENS1_25partition_config_selectorILNS1_17partition_subalgoE0EjNS0_10empty_typeEbEEZZNS1_14partition_implILS5_0ELb0ES3_jN6thrust23THRUST_200600_302600_NS6detail15normal_iteratorINSA_10device_ptrIjEEEEPS6_SG_NS0_5tupleIJNSA_16discard_iteratorINSA_11use_defaultEEESK_EEENSH_IJSG_SG_EEES6_PlJ7is_evenIjEEEE10hipError_tPvRmT3_T4_T5_T6_T7_T9_mT8_P12ihipStream_tbDpT10_ENKUlT_T0_E_clISt17integral_constantIbLb1EES19_EEDaS14_S15_EUlS14_E_NS1_11comp_targetILNS1_3genE0ELNS1_11target_archE4294967295ELNS1_3gpuE0ELNS1_3repE0EEENS1_30default_config_static_selectorELNS0_4arch9wavefront6targetE1EEEvT1_: ; @_ZN7rocprim17ROCPRIM_400000_NS6detail17trampoline_kernelINS0_14default_configENS1_25partition_config_selectorILNS1_17partition_subalgoE0EjNS0_10empty_typeEbEEZZNS1_14partition_implILS5_0ELb0ES3_jN6thrust23THRUST_200600_302600_NS6detail15normal_iteratorINSA_10device_ptrIjEEEEPS6_SG_NS0_5tupleIJNSA_16discard_iteratorINSA_11use_defaultEEESK_EEENSH_IJSG_SG_EEES6_PlJ7is_evenIjEEEE10hipError_tPvRmT3_T4_T5_T6_T7_T9_mT8_P12ihipStream_tbDpT10_ENKUlT_T0_E_clISt17integral_constantIbLb1EES19_EEDaS14_S15_EUlS14_E_NS1_11comp_targetILNS1_3genE0ELNS1_11target_archE4294967295ELNS1_3gpuE0ELNS1_3repE0EEENS1_30default_config_static_selectorELNS0_4arch9wavefront6targetE1EEEvT1_
; %bb.0:
	.section	.rodata,"a",@progbits
	.p2align	6, 0x0
	.amdhsa_kernel _ZN7rocprim17ROCPRIM_400000_NS6detail17trampoline_kernelINS0_14default_configENS1_25partition_config_selectorILNS1_17partition_subalgoE0EjNS0_10empty_typeEbEEZZNS1_14partition_implILS5_0ELb0ES3_jN6thrust23THRUST_200600_302600_NS6detail15normal_iteratorINSA_10device_ptrIjEEEEPS6_SG_NS0_5tupleIJNSA_16discard_iteratorINSA_11use_defaultEEESK_EEENSH_IJSG_SG_EEES6_PlJ7is_evenIjEEEE10hipError_tPvRmT3_T4_T5_T6_T7_T9_mT8_P12ihipStream_tbDpT10_ENKUlT_T0_E_clISt17integral_constantIbLb1EES19_EEDaS14_S15_EUlS14_E_NS1_11comp_targetILNS1_3genE0ELNS1_11target_archE4294967295ELNS1_3gpuE0ELNS1_3repE0EEENS1_30default_config_static_selectorELNS0_4arch9wavefront6targetE1EEEvT1_
		.amdhsa_group_segment_fixed_size 0
		.amdhsa_private_segment_fixed_size 0
		.amdhsa_kernarg_size 152
		.amdhsa_user_sgpr_count 2
		.amdhsa_user_sgpr_dispatch_ptr 0
		.amdhsa_user_sgpr_queue_ptr 0
		.amdhsa_user_sgpr_kernarg_segment_ptr 1
		.amdhsa_user_sgpr_dispatch_id 0
		.amdhsa_user_sgpr_kernarg_preload_length 0
		.amdhsa_user_sgpr_kernarg_preload_offset 0
		.amdhsa_user_sgpr_private_segment_size 0
		.amdhsa_uses_dynamic_stack 0
		.amdhsa_enable_private_segment 0
		.amdhsa_system_sgpr_workgroup_id_x 1
		.amdhsa_system_sgpr_workgroup_id_y 0
		.amdhsa_system_sgpr_workgroup_id_z 0
		.amdhsa_system_sgpr_workgroup_info 0
		.amdhsa_system_vgpr_workitem_id 0
		.amdhsa_next_free_vgpr 1
		.amdhsa_next_free_sgpr 0
		.amdhsa_accum_offset 4
		.amdhsa_reserve_vcc 0
		.amdhsa_float_round_mode_32 0
		.amdhsa_float_round_mode_16_64 0
		.amdhsa_float_denorm_mode_32 3
		.amdhsa_float_denorm_mode_16_64 3
		.amdhsa_dx10_clamp 1
		.amdhsa_ieee_mode 1
		.amdhsa_fp16_overflow 0
		.amdhsa_tg_split 0
		.amdhsa_exception_fp_ieee_invalid_op 0
		.amdhsa_exception_fp_denorm_src 0
		.amdhsa_exception_fp_ieee_div_zero 0
		.amdhsa_exception_fp_ieee_overflow 0
		.amdhsa_exception_fp_ieee_underflow 0
		.amdhsa_exception_fp_ieee_inexact 0
		.amdhsa_exception_int_div_zero 0
	.end_amdhsa_kernel
	.section	.text._ZN7rocprim17ROCPRIM_400000_NS6detail17trampoline_kernelINS0_14default_configENS1_25partition_config_selectorILNS1_17partition_subalgoE0EjNS0_10empty_typeEbEEZZNS1_14partition_implILS5_0ELb0ES3_jN6thrust23THRUST_200600_302600_NS6detail15normal_iteratorINSA_10device_ptrIjEEEEPS6_SG_NS0_5tupleIJNSA_16discard_iteratorINSA_11use_defaultEEESK_EEENSH_IJSG_SG_EEES6_PlJ7is_evenIjEEEE10hipError_tPvRmT3_T4_T5_T6_T7_T9_mT8_P12ihipStream_tbDpT10_ENKUlT_T0_E_clISt17integral_constantIbLb1EES19_EEDaS14_S15_EUlS14_E_NS1_11comp_targetILNS1_3genE0ELNS1_11target_archE4294967295ELNS1_3gpuE0ELNS1_3repE0EEENS1_30default_config_static_selectorELNS0_4arch9wavefront6targetE1EEEvT1_,"axG",@progbits,_ZN7rocprim17ROCPRIM_400000_NS6detail17trampoline_kernelINS0_14default_configENS1_25partition_config_selectorILNS1_17partition_subalgoE0EjNS0_10empty_typeEbEEZZNS1_14partition_implILS5_0ELb0ES3_jN6thrust23THRUST_200600_302600_NS6detail15normal_iteratorINSA_10device_ptrIjEEEEPS6_SG_NS0_5tupleIJNSA_16discard_iteratorINSA_11use_defaultEEESK_EEENSH_IJSG_SG_EEES6_PlJ7is_evenIjEEEE10hipError_tPvRmT3_T4_T5_T6_T7_T9_mT8_P12ihipStream_tbDpT10_ENKUlT_T0_E_clISt17integral_constantIbLb1EES19_EEDaS14_S15_EUlS14_E_NS1_11comp_targetILNS1_3genE0ELNS1_11target_archE4294967295ELNS1_3gpuE0ELNS1_3repE0EEENS1_30default_config_static_selectorELNS0_4arch9wavefront6targetE1EEEvT1_,comdat
.Lfunc_end2403:
	.size	_ZN7rocprim17ROCPRIM_400000_NS6detail17trampoline_kernelINS0_14default_configENS1_25partition_config_selectorILNS1_17partition_subalgoE0EjNS0_10empty_typeEbEEZZNS1_14partition_implILS5_0ELb0ES3_jN6thrust23THRUST_200600_302600_NS6detail15normal_iteratorINSA_10device_ptrIjEEEEPS6_SG_NS0_5tupleIJNSA_16discard_iteratorINSA_11use_defaultEEESK_EEENSH_IJSG_SG_EEES6_PlJ7is_evenIjEEEE10hipError_tPvRmT3_T4_T5_T6_T7_T9_mT8_P12ihipStream_tbDpT10_ENKUlT_T0_E_clISt17integral_constantIbLb1EES19_EEDaS14_S15_EUlS14_E_NS1_11comp_targetILNS1_3genE0ELNS1_11target_archE4294967295ELNS1_3gpuE0ELNS1_3repE0EEENS1_30default_config_static_selectorELNS0_4arch9wavefront6targetE1EEEvT1_, .Lfunc_end2403-_ZN7rocprim17ROCPRIM_400000_NS6detail17trampoline_kernelINS0_14default_configENS1_25partition_config_selectorILNS1_17partition_subalgoE0EjNS0_10empty_typeEbEEZZNS1_14partition_implILS5_0ELb0ES3_jN6thrust23THRUST_200600_302600_NS6detail15normal_iteratorINSA_10device_ptrIjEEEEPS6_SG_NS0_5tupleIJNSA_16discard_iteratorINSA_11use_defaultEEESK_EEENSH_IJSG_SG_EEES6_PlJ7is_evenIjEEEE10hipError_tPvRmT3_T4_T5_T6_T7_T9_mT8_P12ihipStream_tbDpT10_ENKUlT_T0_E_clISt17integral_constantIbLb1EES19_EEDaS14_S15_EUlS14_E_NS1_11comp_targetILNS1_3genE0ELNS1_11target_archE4294967295ELNS1_3gpuE0ELNS1_3repE0EEENS1_30default_config_static_selectorELNS0_4arch9wavefront6targetE1EEEvT1_
                                        ; -- End function
	.section	.AMDGPU.csdata,"",@progbits
; Kernel info:
; codeLenInByte = 0
; NumSgprs: 6
; NumVgprs: 0
; NumAgprs: 0
; TotalNumVgprs: 0
; ScratchSize: 0
; MemoryBound: 0
; FloatMode: 240
; IeeeMode: 1
; LDSByteSize: 0 bytes/workgroup (compile time only)
; SGPRBlocks: 0
; VGPRBlocks: 0
; NumSGPRsForWavesPerEU: 6
; NumVGPRsForWavesPerEU: 1
; AccumOffset: 4
; Occupancy: 8
; WaveLimiterHint : 0
; COMPUTE_PGM_RSRC2:SCRATCH_EN: 0
; COMPUTE_PGM_RSRC2:USER_SGPR: 2
; COMPUTE_PGM_RSRC2:TRAP_HANDLER: 0
; COMPUTE_PGM_RSRC2:TGID_X_EN: 1
; COMPUTE_PGM_RSRC2:TGID_Y_EN: 0
; COMPUTE_PGM_RSRC2:TGID_Z_EN: 0
; COMPUTE_PGM_RSRC2:TIDIG_COMP_CNT: 0
; COMPUTE_PGM_RSRC3_GFX90A:ACCUM_OFFSET: 0
; COMPUTE_PGM_RSRC3_GFX90A:TG_SPLIT: 0
	.section	.text._ZN7rocprim17ROCPRIM_400000_NS6detail17trampoline_kernelINS0_14default_configENS1_25partition_config_selectorILNS1_17partition_subalgoE0EjNS0_10empty_typeEbEEZZNS1_14partition_implILS5_0ELb0ES3_jN6thrust23THRUST_200600_302600_NS6detail15normal_iteratorINSA_10device_ptrIjEEEEPS6_SG_NS0_5tupleIJNSA_16discard_iteratorINSA_11use_defaultEEESK_EEENSH_IJSG_SG_EEES6_PlJ7is_evenIjEEEE10hipError_tPvRmT3_T4_T5_T6_T7_T9_mT8_P12ihipStream_tbDpT10_ENKUlT_T0_E_clISt17integral_constantIbLb1EES19_EEDaS14_S15_EUlS14_E_NS1_11comp_targetILNS1_3genE5ELNS1_11target_archE942ELNS1_3gpuE9ELNS1_3repE0EEENS1_30default_config_static_selectorELNS0_4arch9wavefront6targetE1EEEvT1_,"axG",@progbits,_ZN7rocprim17ROCPRIM_400000_NS6detail17trampoline_kernelINS0_14default_configENS1_25partition_config_selectorILNS1_17partition_subalgoE0EjNS0_10empty_typeEbEEZZNS1_14partition_implILS5_0ELb0ES3_jN6thrust23THRUST_200600_302600_NS6detail15normal_iteratorINSA_10device_ptrIjEEEEPS6_SG_NS0_5tupleIJNSA_16discard_iteratorINSA_11use_defaultEEESK_EEENSH_IJSG_SG_EEES6_PlJ7is_evenIjEEEE10hipError_tPvRmT3_T4_T5_T6_T7_T9_mT8_P12ihipStream_tbDpT10_ENKUlT_T0_E_clISt17integral_constantIbLb1EES19_EEDaS14_S15_EUlS14_E_NS1_11comp_targetILNS1_3genE5ELNS1_11target_archE942ELNS1_3gpuE9ELNS1_3repE0EEENS1_30default_config_static_selectorELNS0_4arch9wavefront6targetE1EEEvT1_,comdat
	.protected	_ZN7rocprim17ROCPRIM_400000_NS6detail17trampoline_kernelINS0_14default_configENS1_25partition_config_selectorILNS1_17partition_subalgoE0EjNS0_10empty_typeEbEEZZNS1_14partition_implILS5_0ELb0ES3_jN6thrust23THRUST_200600_302600_NS6detail15normal_iteratorINSA_10device_ptrIjEEEEPS6_SG_NS0_5tupleIJNSA_16discard_iteratorINSA_11use_defaultEEESK_EEENSH_IJSG_SG_EEES6_PlJ7is_evenIjEEEE10hipError_tPvRmT3_T4_T5_T6_T7_T9_mT8_P12ihipStream_tbDpT10_ENKUlT_T0_E_clISt17integral_constantIbLb1EES19_EEDaS14_S15_EUlS14_E_NS1_11comp_targetILNS1_3genE5ELNS1_11target_archE942ELNS1_3gpuE9ELNS1_3repE0EEENS1_30default_config_static_selectorELNS0_4arch9wavefront6targetE1EEEvT1_ ; -- Begin function _ZN7rocprim17ROCPRIM_400000_NS6detail17trampoline_kernelINS0_14default_configENS1_25partition_config_selectorILNS1_17partition_subalgoE0EjNS0_10empty_typeEbEEZZNS1_14partition_implILS5_0ELb0ES3_jN6thrust23THRUST_200600_302600_NS6detail15normal_iteratorINSA_10device_ptrIjEEEEPS6_SG_NS0_5tupleIJNSA_16discard_iteratorINSA_11use_defaultEEESK_EEENSH_IJSG_SG_EEES6_PlJ7is_evenIjEEEE10hipError_tPvRmT3_T4_T5_T6_T7_T9_mT8_P12ihipStream_tbDpT10_ENKUlT_T0_E_clISt17integral_constantIbLb1EES19_EEDaS14_S15_EUlS14_E_NS1_11comp_targetILNS1_3genE5ELNS1_11target_archE942ELNS1_3gpuE9ELNS1_3repE0EEENS1_30default_config_static_selectorELNS0_4arch9wavefront6targetE1EEEvT1_
	.globl	_ZN7rocprim17ROCPRIM_400000_NS6detail17trampoline_kernelINS0_14default_configENS1_25partition_config_selectorILNS1_17partition_subalgoE0EjNS0_10empty_typeEbEEZZNS1_14partition_implILS5_0ELb0ES3_jN6thrust23THRUST_200600_302600_NS6detail15normal_iteratorINSA_10device_ptrIjEEEEPS6_SG_NS0_5tupleIJNSA_16discard_iteratorINSA_11use_defaultEEESK_EEENSH_IJSG_SG_EEES6_PlJ7is_evenIjEEEE10hipError_tPvRmT3_T4_T5_T6_T7_T9_mT8_P12ihipStream_tbDpT10_ENKUlT_T0_E_clISt17integral_constantIbLb1EES19_EEDaS14_S15_EUlS14_E_NS1_11comp_targetILNS1_3genE5ELNS1_11target_archE942ELNS1_3gpuE9ELNS1_3repE0EEENS1_30default_config_static_selectorELNS0_4arch9wavefront6targetE1EEEvT1_
	.p2align	8
	.type	_ZN7rocprim17ROCPRIM_400000_NS6detail17trampoline_kernelINS0_14default_configENS1_25partition_config_selectorILNS1_17partition_subalgoE0EjNS0_10empty_typeEbEEZZNS1_14partition_implILS5_0ELb0ES3_jN6thrust23THRUST_200600_302600_NS6detail15normal_iteratorINSA_10device_ptrIjEEEEPS6_SG_NS0_5tupleIJNSA_16discard_iteratorINSA_11use_defaultEEESK_EEENSH_IJSG_SG_EEES6_PlJ7is_evenIjEEEE10hipError_tPvRmT3_T4_T5_T6_T7_T9_mT8_P12ihipStream_tbDpT10_ENKUlT_T0_E_clISt17integral_constantIbLb1EES19_EEDaS14_S15_EUlS14_E_NS1_11comp_targetILNS1_3genE5ELNS1_11target_archE942ELNS1_3gpuE9ELNS1_3repE0EEENS1_30default_config_static_selectorELNS0_4arch9wavefront6targetE1EEEvT1_,@function
_ZN7rocprim17ROCPRIM_400000_NS6detail17trampoline_kernelINS0_14default_configENS1_25partition_config_selectorILNS1_17partition_subalgoE0EjNS0_10empty_typeEbEEZZNS1_14partition_implILS5_0ELb0ES3_jN6thrust23THRUST_200600_302600_NS6detail15normal_iteratorINSA_10device_ptrIjEEEEPS6_SG_NS0_5tupleIJNSA_16discard_iteratorINSA_11use_defaultEEESK_EEENSH_IJSG_SG_EEES6_PlJ7is_evenIjEEEE10hipError_tPvRmT3_T4_T5_T6_T7_T9_mT8_P12ihipStream_tbDpT10_ENKUlT_T0_E_clISt17integral_constantIbLb1EES19_EEDaS14_S15_EUlS14_E_NS1_11comp_targetILNS1_3genE5ELNS1_11target_archE942ELNS1_3gpuE9ELNS1_3repE0EEENS1_30default_config_static_selectorELNS0_4arch9wavefront6targetE1EEEvT1_: ; @_ZN7rocprim17ROCPRIM_400000_NS6detail17trampoline_kernelINS0_14default_configENS1_25partition_config_selectorILNS1_17partition_subalgoE0EjNS0_10empty_typeEbEEZZNS1_14partition_implILS5_0ELb0ES3_jN6thrust23THRUST_200600_302600_NS6detail15normal_iteratorINSA_10device_ptrIjEEEEPS6_SG_NS0_5tupleIJNSA_16discard_iteratorINSA_11use_defaultEEESK_EEENSH_IJSG_SG_EEES6_PlJ7is_evenIjEEEE10hipError_tPvRmT3_T4_T5_T6_T7_T9_mT8_P12ihipStream_tbDpT10_ENKUlT_T0_E_clISt17integral_constantIbLb1EES19_EEDaS14_S15_EUlS14_E_NS1_11comp_targetILNS1_3genE5ELNS1_11target_archE942ELNS1_3gpuE9ELNS1_3repE0EEENS1_30default_config_static_selectorELNS0_4arch9wavefront6targetE1EEEvT1_
; %bb.0:
	s_load_dwordx2 s[2:3], s[0:1], 0x68
	s_load_dwordx4 s[20:23], s[0:1], 0x58
	s_load_dwordx2 s[24:25], s[0:1], 0x78
	v_cmp_eq_u32_e64 s[18:19], 0, v0
	s_and_saveexec_b64 s[4:5], s[18:19]
	s_cbranch_execz .LBB2404_4
; %bb.1:
	s_mov_b64 s[8:9], exec
	v_mbcnt_lo_u32_b32 v1, s8, 0
	v_mbcnt_hi_u32_b32 v1, s9, v1
	v_cmp_eq_u32_e32 vcc, 0, v1
                                        ; implicit-def: $vgpr2
	s_and_saveexec_b64 s[6:7], vcc
	s_cbranch_execz .LBB2404_3
; %bb.2:
	s_load_dwordx2 s[10:11], s[0:1], 0x88
	s_bcnt1_i32_b64 s8, s[8:9]
	v_mov_b32_e32 v2, 0
	v_mov_b32_e32 v3, s8
	s_waitcnt lgkmcnt(0)
	global_atomic_add v2, v2, v3, s[10:11] sc0
.LBB2404_3:
	s_or_b64 exec, exec, s[6:7]
	s_waitcnt vmcnt(0)
	v_readfirstlane_b32 s6, v2
	v_mov_b32_e32 v2, 0
	s_nop 0
	v_add_u32_e32 v1, s6, v1
	ds_write_b32 v2, v1
.LBB2404_4:
	s_or_b64 exec, exec, s[4:5]
	v_mov_b32_e32 v3, 0
	s_load_dwordx4 s[4:7], s[0:1], 0x8
	s_load_dword s8, s[0:1], 0x80
	s_waitcnt lgkmcnt(0)
	s_barrier
	ds_read_b32 v1, v3
	s_waitcnt lgkmcnt(0)
	s_barrier
	global_load_dwordx2 v[18:19], v3, s[22:23]
	s_lshl_b64 s[0:1], s[6:7], 2
	s_add_u32 s10, s4, s0
	s_movk_i32 s0, 0x1e00
	v_mul_lo_u32 v2, v1, s0
	s_mul_i32 s0, s8, 0x1e00
	s_addc_u32 s11, s5, s1
	s_add_i32 s1, s0, s6
	v_mov_b32_e32 v5, s3
	s_add_i32 s3, s8, -1
	s_sub_i32 s4, s2, s1
	s_add_u32 s0, s6, s0
	v_readfirstlane_b32 s30, v1
	s_addc_u32 s1, s7, 0
	s_cmp_eq_u32 s30, s3
	v_mov_b32_e32 v4, s2
	s_cselect_b64 s[22:23], -1, 0
	s_cmp_lg_u32 s30, s3
	v_cmp_lt_u64_e32 vcc, s[0:1], v[4:5]
	s_cselect_b64 s[0:1], -1, 0
	s_or_b64 s[0:1], vcc, s[0:1]
	v_lshlrev_b64 v[4:5], 2, v[2:3]
	v_lshl_add_u64 v[20:21], s[10:11], 0, v[4:5]
	s_mov_b64 s[2:3], -1
	s_and_b64 vcc, exec, s[0:1]
	s_cbranch_vccz .LBB2404_6
; %bb.5:
	v_lshlrev_b32_e32 v2, 2, v0
	v_lshl_add_u64 v[4:5], v[20:21], 0, v[2:3]
	v_add_co_u32_e32 v6, vcc, 0x1000, v4
	s_mov_b64 s[2:3], 0
	s_nop 0
	v_addc_co_u32_e32 v7, vcc, 0, v5, vcc
	v_add_co_u32_e32 v8, vcc, 0x2000, v4
	s_nop 1
	v_addc_co_u32_e32 v9, vcc, 0, v5, vcc
	v_add_co_u32_e32 v10, vcc, 0x3000, v4
	s_nop 1
	v_addc_co_u32_e32 v11, vcc, 0, v5, vcc
	flat_load_dword v1, v[4:5]
	flat_load_dword v3, v[4:5] offset:2048
	flat_load_dword v12, v[6:7]
	flat_load_dword v13, v[6:7] offset:2048
	;; [unrolled: 2-line block ×4, first 2 shown]
	v_add_co_u32_e32 v6, vcc, 0x4000, v4
	s_nop 1
	v_addc_co_u32_e32 v7, vcc, 0, v5, vcc
	v_add_co_u32_e32 v8, vcc, 0x5000, v4
	s_nop 1
	v_addc_co_u32_e32 v9, vcc, 0, v5, vcc
	;; [unrolled: 3-line block ×4, first 2 shown]
	flat_load_dword v22, v[6:7]
	flat_load_dword v23, v[6:7] offset:2048
	flat_load_dword v24, v[8:9]
	flat_load_dword v25, v[8:9] offset:2048
	;; [unrolled: 2-line block ×3, first 2 shown]
	flat_load_dword v28, v[4:5]
	s_waitcnt vmcnt(0) lgkmcnt(0)
	ds_write2st64_b32 v2, v1, v3 offset1:8
	ds_write2st64_b32 v2, v12, v13 offset0:16 offset1:24
	ds_write2st64_b32 v2, v14, v15 offset0:32 offset1:40
	;; [unrolled: 1-line block ×6, first 2 shown]
	ds_write_b32 v2, v28 offset:28672
	s_waitcnt lgkmcnt(0)
	s_barrier
.LBB2404_6:
	s_andn2_b64 vcc, exec, s[2:3]
	s_addk_i32 s4, 0x1e00
	s_cbranch_vccnz .LBB2404_38
; %bb.7:
	v_cmp_gt_u32_e32 vcc, s4, v0
                                        ; implicit-def: $vgpr2_vgpr3_vgpr4_vgpr5_vgpr6_vgpr7_vgpr8_vgpr9_vgpr10_vgpr11_vgpr12_vgpr13_vgpr14_vgpr15_vgpr16_vgpr17
	s_and_saveexec_b64 s[2:3], vcc
	s_cbranch_execz .LBB2404_9
; %bb.8:
	v_lshlrev_b32_e32 v2, 2, v0
	v_mov_b32_e32 v3, 0
	v_lshl_add_u64 v[2:3], v[20:21], 0, v[2:3]
	flat_load_dword v2, v[2:3]
.LBB2404_9:
	s_or_b64 exec, exec, s[2:3]
	v_or_b32_e32 v1, 0x200, v0
	v_cmp_gt_u32_e32 vcc, s4, v1
	s_and_saveexec_b64 s[2:3], vcc
	s_cbranch_execz .LBB2404_11
; %bb.10:
	v_lshlrev_b32_e32 v22, 2, v0
	v_mov_b32_e32 v23, 0
	v_lshl_add_u64 v[22:23], v[20:21], 0, v[22:23]
	flat_load_dword v3, v[22:23] offset:2048
.LBB2404_11:
	s_or_b64 exec, exec, s[2:3]
	v_or_b32_e32 v1, 0x400, v0
	v_cmp_gt_u32_e32 vcc, s4, v1
	s_and_saveexec_b64 s[2:3], vcc
	s_cbranch_execz .LBB2404_13
; %bb.12:
	v_lshlrev_b32_e32 v22, 2, v1
	v_mov_b32_e32 v23, 0
	v_lshl_add_u64 v[22:23], v[20:21], 0, v[22:23]
	flat_load_dword v4, v[22:23]
.LBB2404_13:
	s_or_b64 exec, exec, s[2:3]
	v_or_b32_e32 v1, 0x600, v0
	v_cmp_gt_u32_e32 vcc, s4, v1
	s_and_saveexec_b64 s[2:3], vcc
	s_cbranch_execz .LBB2404_15
; %bb.14:
	v_lshlrev_b32_e32 v22, 2, v1
	v_mov_b32_e32 v23, 0
	v_lshl_add_u64 v[22:23], v[20:21], 0, v[22:23]
	flat_load_dword v5, v[22:23]
.LBB2404_15:
	;; [unrolled: 11-line block ×13, first 2 shown]
	s_or_b64 exec, exec, s[2:3]
	v_lshlrev_b32_e32 v1, 2, v0
	s_waitcnt vmcnt(0) lgkmcnt(0)
	ds_write2st64_b32 v1, v2, v3 offset1:8
	ds_write2st64_b32 v1, v4, v5 offset0:16 offset1:24
	ds_write2st64_b32 v1, v6, v7 offset0:32 offset1:40
	;; [unrolled: 1-line block ×6, first 2 shown]
	ds_write_b32 v1, v16 offset:28672
	s_waitcnt lgkmcnt(0)
	s_barrier
.LBB2404_38:
	v_mul_u32_u24_e32 v38, 15, v0
	v_lshlrev_b32_e32 v1, 2, v38
	ds_read2_b32 v[32:33], v1 offset1:1
	ds_read2_b32 v[30:31], v1 offset0:2 offset1:3
	ds_read2_b32 v[28:29], v1 offset0:4 offset1:5
	;; [unrolled: 1-line block ×6, first 2 shown]
	ds_read_b32 v1, v1 offset:56
	s_andn2_b64 vcc, exec, s[0:1]
	s_waitcnt lgkmcnt(7)
	v_xor_b32_e32 v16, -1, v32
	v_xor_b32_e32 v15, -1, v33
	s_waitcnt lgkmcnt(6)
	v_xor_b32_e32 v14, -1, v30
	v_xor_b32_e32 v13, -1, v31
	;; [unrolled: 3-line block ×7, first 2 shown]
	s_waitcnt lgkmcnt(0)
	v_xor_b32_e32 v2, -1, v1
	s_barrier
	s_cbranch_vccnz .LBB2404_40
; %bb.39:
	v_and_b32_e32 v51, 1, v16
	v_and_b32_e32 v50, 1, v15
	;; [unrolled: 1-line block ×15, first 2 shown]
	s_cbranch_execz .LBB2404_41
	s_branch .LBB2404_42
.LBB2404_40:
                                        ; implicit-def: $vgpr36
                                        ; implicit-def: $vgpr37
                                        ; implicit-def: $vgpr39
                                        ; implicit-def: $vgpr40
                                        ; implicit-def: $vgpr41
                                        ; implicit-def: $vgpr42
                                        ; implicit-def: $vgpr43
                                        ; implicit-def: $vgpr44
                                        ; implicit-def: $vgpr45
                                        ; implicit-def: $vgpr51
                                        ; implicit-def: $vgpr50
                                        ; implicit-def: $vgpr49
                                        ; implicit-def: $vgpr48
                                        ; implicit-def: $vgpr47
                                        ; implicit-def: $vgpr46
.LBB2404_41:
	v_add_u32_e32 v45, 1, v38
	v_cmp_gt_u32_e32 vcc, s4, v38
	v_add_u32_e32 v17, 2, v38
	v_add_u32_e32 v44, 3, v38
	v_cndmask_b32_e64 v46, 0, 1, vcc
	v_cmp_gt_u32_e32 vcc, s4, v45
	v_and_b32_e32 v51, v46, v16
	v_add_u32_e32 v34, 4, v38
	v_cndmask_b32_e64 v16, 0, 1, vcc
	v_cmp_gt_u32_e32 vcc, s4, v17
	v_and_b32_e32 v50, v16, v15
	;; [unrolled: 4-line block ×12, first 2 shown]
	s_nop 0
	v_cndmask_b32_e64 v5, 0, 1, vcc
	v_cmp_gt_u32_e32 vcc, s4, v53
	v_and_b32_e32 v39, v5, v4
	s_nop 0
	v_cndmask_b32_e64 v4, 0, 1, vcc
	v_cmp_gt_u32_e32 vcc, s4, v52
	v_and_b32_e32 v37, v4, v3
	s_nop 0
	v_cndmask_b32_e64 v3, 0, 1, vcc
	v_and_b32_e32 v36, v3, v2
.LBB2404_42:
	v_and_b32_e32 v55, 0xff, v48
	v_and_b32_e32 v56, 0xff, v47
	v_and_b32_e32 v57, 0xff, v46
	v_and_b32_e32 v53, 0xff, v50
	v_and_b32_e32 v54, 0xff, v49
	v_add3_u32 v3, v56, v57, v55
	v_and_b32_e32 v52, 0xff, v51
	v_and_b32_e32 v58, 0xff, v45
	v_add3_u32 v3, v3, v54, v53
	v_and_b32_e32 v59, 0xff, v44
	v_and_b32_e32 v60, 0xff, v43
	;; [unrolled: 3-line block ×5, first 2 shown]
	v_add3_u32 v3, v3, v63, v64
	v_add3_u32 v68, v3, v65, v2
	v_mbcnt_lo_u32_b32 v2, -1, 0
	v_mbcnt_hi_u32_b32 v66, -1, v2
	v_and_b32_e32 v2, 15, v66
	v_cmp_eq_u32_e64 s[14:15], 0, v2
	v_cmp_lt_u32_e64 s[12:13], 1, v2
	v_cmp_lt_u32_e64 s[10:11], 3, v2
	;; [unrolled: 1-line block ×3, first 2 shown]
	v_and_b32_e32 v2, 16, v66
	v_cmp_eq_u32_e64 s[6:7], 0, v2
	v_or_b32_e32 v2, 63, v0
	s_cmp_lg_u32 s30, 0
	v_cmp_lt_u32_e64 s[2:3], 31, v66
	v_lshrrev_b32_e32 v67, 6, v0
	v_cmp_eq_u32_e64 s[4:5], v2, v0
	s_cbranch_scc0 .LBB2404_73
; %bb.43:
	v_mov_b32_dpp v2, v68 row_shr:1 row_mask:0xf bank_mask:0xf
	v_cndmask_b32_e64 v2, v2, 0, s[14:15]
	v_add_u32_e32 v2, v2, v68
	s_nop 1
	v_mov_b32_dpp v3, v2 row_shr:2 row_mask:0xf bank_mask:0xf
	v_cndmask_b32_e64 v3, 0, v3, s[12:13]
	v_add_u32_e32 v2, v2, v3
	s_nop 1
	;; [unrolled: 4-line block ×4, first 2 shown]
	v_mov_b32_dpp v3, v2 row_bcast:15 row_mask:0xf bank_mask:0xf
	v_cndmask_b32_e64 v3, v3, 0, s[6:7]
	v_add_u32_e32 v2, v2, v3
	s_nop 1
	v_mov_b32_dpp v3, v2 row_bcast:31 row_mask:0xf bank_mask:0xf
	v_cndmask_b32_e64 v3, 0, v3, s[2:3]
	v_add_u32_e32 v2, v2, v3
	s_and_saveexec_b64 s[0:1], s[4:5]
	s_cbranch_execz .LBB2404_45
; %bb.44:
	v_lshlrev_b32_e32 v3, 2, v67
	ds_write_b32 v3, v2
.LBB2404_45:
	s_or_b64 exec, exec, s[0:1]
	v_cmp_gt_u32_e32 vcc, 8, v0
	s_waitcnt lgkmcnt(0)
	s_barrier
	s_and_saveexec_b64 s[0:1], vcc
	s_cbranch_execz .LBB2404_47
; %bb.46:
	v_lshlrev_b32_e32 v3, 2, v0
	ds_read_b32 v4, v3
	v_and_b32_e32 v5, 7, v66
	v_cmp_ne_u32_e32 vcc, 0, v5
	s_waitcnt lgkmcnt(0)
	v_mov_b32_dpp v6, v4 row_shr:1 row_mask:0xf bank_mask:0xf
	v_cndmask_b32_e32 v6, 0, v6, vcc
	v_add_u32_e32 v4, v6, v4
	v_cmp_lt_u32_e32 vcc, 1, v5
	s_nop 0
	v_mov_b32_dpp v6, v4 row_shr:2 row_mask:0xf bank_mask:0xf
	v_cndmask_b32_e32 v6, 0, v6, vcc
	v_add_u32_e32 v4, v4, v6
	v_cmp_lt_u32_e32 vcc, 3, v5
	s_nop 0
	v_mov_b32_dpp v6, v4 row_shr:4 row_mask:0xf bank_mask:0xf
	v_cndmask_b32_e32 v5, 0, v6, vcc
	v_add_u32_e32 v4, v4, v5
	ds_write_b32 v3, v4
.LBB2404_47:
	s_or_b64 exec, exec, s[0:1]
	v_cmp_gt_u32_e32 vcc, 64, v0
	v_cmp_lt_u32_e64 s[0:1], 63, v0
	s_waitcnt lgkmcnt(0)
	s_barrier
	s_waitcnt lgkmcnt(0)
                                        ; implicit-def: $vgpr12
	s_and_saveexec_b64 s[16:17], s[0:1]
	s_cbranch_execz .LBB2404_49
; %bb.48:
	v_lshl_add_u32 v3, v67, 2, -4
	ds_read_b32 v12, v3
	s_waitcnt lgkmcnt(0)
	v_add_u32_e32 v2, v12, v2
.LBB2404_49:
	s_or_b64 exec, exec, s[16:17]
	v_add_u32_e32 v3, -1, v66
	v_and_b32_e32 v4, 64, v66
	v_cmp_lt_i32_e64 s[0:1], v3, v4
	v_cmp_eq_u32_e64 s[16:17], 0, v66
	s_nop 0
	v_cndmask_b32_e64 v3, v3, v66, s[0:1]
	v_lshlrev_b32_e32 v3, 2, v3
	ds_bpermute_b32 v13, v3, v2
	s_and_saveexec_b64 s[0:1], vcc
	s_cbranch_execz .LBB2404_72
; %bb.50:
	v_mov_b32_e32 v11, 0
	ds_read_b32 v2, v11 offset:28
	s_and_saveexec_b64 s[26:27], s[16:17]
	s_cbranch_execz .LBB2404_52
; %bb.51:
	s_add_i32 s28, s30, 64
	s_mov_b32 s29, 0
	s_lshl_b64 s[28:29], s[28:29], 3
	s_add_u32 s28, s24, s28
	v_mov_b32_e32 v3, 1
	s_addc_u32 s29, s25, s29
	s_waitcnt lgkmcnt(0)
	global_store_dwordx2 v11, v[2:3], s[28:29] sc1
.LBB2404_52:
	s_or_b64 exec, exec, s[26:27]
	v_xad_u32 v4, v66, -1, s30
	v_add_u32_e32 v10, 64, v4
	v_lshl_add_u64 v[6:7], v[10:11], 3, s[24:25]
	global_load_dwordx2 v[8:9], v[6:7], off sc1
	s_waitcnt vmcnt(0)
	v_cmp_eq_u16_sdwa s[28:29], v9, v11 src0_sel:BYTE_0 src1_sel:DWORD
	s_and_saveexec_b64 s[26:27], s[28:29]
	s_cbranch_execz .LBB2404_58
; %bb.53:
	s_mov_b32 s31, 1
	s_mov_b64 s[28:29], 0
	v_mov_b32_e32 v3, 0
.LBB2404_54:                            ; =>This Loop Header: Depth=1
                                        ;     Child Loop BB2404_55 Depth 2
	s_max_u32 s33, s31, 1
.LBB2404_55:                            ;   Parent Loop BB2404_54 Depth=1
                                        ; =>  This Inner Loop Header: Depth=2
	s_add_i32 s33, s33, -1
	s_cmp_eq_u32 s33, 0
	s_sleep 1
	s_cbranch_scc0 .LBB2404_55
; %bb.56:                               ;   in Loop: Header=BB2404_54 Depth=1
	global_load_dwordx2 v[8:9], v[6:7], off sc1
	s_cmp_lt_u32 s31, 32
	s_cselect_b64 s[34:35], -1, 0
	s_cmp_lg_u64 s[34:35], 0
	s_addc_u32 s31, s31, 0
	s_waitcnt vmcnt(0)
	v_cmp_ne_u16_sdwa s[34:35], v9, v3 src0_sel:BYTE_0 src1_sel:DWORD
	s_or_b64 s[28:29], s[34:35], s[28:29]
	s_andn2_b64 exec, exec, s[28:29]
	s_cbranch_execnz .LBB2404_54
; %bb.57:
	s_or_b64 exec, exec, s[28:29]
.LBB2404_58:
	s_or_b64 exec, exec, s[26:27]
	v_and_b32_e32 v15, 63, v66
	v_mov_b32_e32 v14, 2
	v_cmp_ne_u32_e32 vcc, 63, v15
	v_cmp_eq_u16_sdwa s[26:27], v9, v14 src0_sel:BYTE_0 src1_sel:DWORD
	v_lshlrev_b64 v[6:7], v66, -1
	v_addc_co_u32_e32 v10, vcc, 0, v66, vcc
	v_and_b32_e32 v3, s27, v7
	v_lshlrev_b32_e32 v16, 2, v10
	v_or_b32_e32 v3, 0x80000000, v3
	ds_bpermute_b32 v10, v16, v8
	v_and_b32_e32 v5, s26, v6
	v_ffbl_b32_e32 v3, v3
	v_add_u32_e32 v3, 32, v3
	v_ffbl_b32_e32 v5, v5
	v_min_u32_e32 v3, v5, v3
	v_cmp_lt_u32_e32 vcc, v15, v3
	v_add_u32_e32 v34, 2, v15
	v_add_u32_e32 v69, 4, v15
	s_waitcnt lgkmcnt(0)
	v_cndmask_b32_e32 v5, 0, v10, vcc
	v_cmp_gt_u32_e32 vcc, 62, v15
	v_add_u32_e32 v5, v5, v8
	v_add_u32_e32 v71, 8, v15
	v_cndmask_b32_e64 v8, 0, 1, vcc
	v_lshlrev_b32_e32 v8, 1, v8
	v_add_lshl_u32 v17, v8, v66, 2
	ds_bpermute_b32 v8, v17, v5
	v_cmp_le_u32_e32 vcc, v34, v3
	v_add_u32_e32 v73, 16, v15
	v_add_u32_e32 v75, 32, v15
	s_waitcnt lgkmcnt(0)
	v_cndmask_b32_e32 v8, 0, v8, vcc
	v_cmp_gt_u32_e32 vcc, 60, v15
	v_add_u32_e32 v5, v5, v8
	s_nop 0
	v_cndmask_b32_e64 v8, 0, 1, vcc
	v_lshlrev_b32_e32 v8, 2, v8
	v_add_lshl_u32 v35, v8, v66, 2
	ds_bpermute_b32 v8, v35, v5
	v_cmp_le_u32_e32 vcc, v69, v3
	s_waitcnt lgkmcnt(0)
	s_nop 0
	v_cndmask_b32_e32 v8, 0, v8, vcc
	v_cmp_gt_u32_e32 vcc, 56, v15
	v_add_u32_e32 v5, v5, v8
	s_nop 0
	v_cndmask_b32_e64 v8, 0, 1, vcc
	v_lshlrev_b32_e32 v8, 3, v8
	v_add_lshl_u32 v70, v8, v66, 2
	ds_bpermute_b32 v8, v70, v5
	v_cmp_le_u32_e32 vcc, v71, v3
	s_waitcnt lgkmcnt(0)
	s_nop 0
	;; [unrolled: 11-line block ×4, first 2 shown]
	v_cndmask_b32_e32 v3, 0, v8, vcc
	v_add_u32_e32 v8, v5, v3
	v_mov_b32_e32 v5, 0
	s_branch .LBB2404_60
.LBB2404_59:                            ;   in Loop: Header=BB2404_60 Depth=1
	s_or_b64 exec, exec, s[26:27]
	v_cmp_eq_u16_sdwa s[26:27], v9, v14 src0_sel:BYTE_0 src1_sel:DWORD
	ds_bpermute_b32 v76, v16, v8
	v_subrev_u32_e32 v4, 64, v4
	v_and_b32_e32 v10, s27, v7
	v_or_b32_e32 v10, 0x80000000, v10
	v_and_b32_e32 v11, s26, v6
	v_ffbl_b32_e32 v10, v10
	v_add_u32_e32 v10, 32, v10
	v_ffbl_b32_e32 v11, v11
	v_min_u32_e32 v10, v11, v10
	v_cmp_lt_u32_e32 vcc, v15, v10
	s_waitcnt lgkmcnt(0)
	s_nop 0
	v_cndmask_b32_e32 v11, 0, v76, vcc
	v_add_u32_e32 v8, v11, v8
	ds_bpermute_b32 v11, v17, v8
	v_cmp_le_u32_e32 vcc, v34, v10
	s_waitcnt lgkmcnt(0)
	s_nop 0
	v_cndmask_b32_e32 v11, 0, v11, vcc
	v_add_u32_e32 v8, v8, v11
	ds_bpermute_b32 v11, v35, v8
	v_cmp_le_u32_e32 vcc, v69, v10
	;; [unrolled: 6-line block ×5, first 2 shown]
	s_waitcnt lgkmcnt(0)
	s_nop 0
	v_cndmask_b32_e32 v10, 0, v11, vcc
	v_add3_u32 v8, v10, v3, v8
.LBB2404_60:                            ; =>This Loop Header: Depth=1
                                        ;     Child Loop BB2404_63 Depth 2
                                        ;       Child Loop BB2404_64 Depth 3
	v_cmp_ne_u16_sdwa s[26:27], v9, v14 src0_sel:BYTE_0 src1_sel:DWORD
	s_nop 1
	v_cndmask_b32_e64 v3, 0, 1, s[26:27]
	;;#ASMSTART
	;;#ASMEND
	s_nop 0
	v_cmp_ne_u32_e32 vcc, 0, v3
	s_cmp_lg_u64 vcc, exec
	v_mov_b32_e32 v3, v8
	s_cbranch_scc1 .LBB2404_67
; %bb.61:                               ;   in Loop: Header=BB2404_60 Depth=1
	v_lshl_add_u64 v[10:11], v[4:5], 3, s[24:25]
	global_load_dwordx2 v[8:9], v[10:11], off sc1
	s_waitcnt vmcnt(0)
	v_cmp_eq_u16_sdwa s[28:29], v9, v5 src0_sel:BYTE_0 src1_sel:DWORD
	s_and_saveexec_b64 s[26:27], s[28:29]
	s_cbranch_execz .LBB2404_59
; %bb.62:                               ;   in Loop: Header=BB2404_60 Depth=1
	s_mov_b32 s31, 1
	s_mov_b64 s[28:29], 0
.LBB2404_63:                            ;   Parent Loop BB2404_60 Depth=1
                                        ; =>  This Loop Header: Depth=2
                                        ;       Child Loop BB2404_64 Depth 3
	s_max_u32 s33, s31, 1
.LBB2404_64:                            ;   Parent Loop BB2404_60 Depth=1
                                        ;     Parent Loop BB2404_63 Depth=2
                                        ; =>    This Inner Loop Header: Depth=3
	s_add_i32 s33, s33, -1
	s_cmp_eq_u32 s33, 0
	s_sleep 1
	s_cbranch_scc0 .LBB2404_64
; %bb.65:                               ;   in Loop: Header=BB2404_63 Depth=2
	global_load_dwordx2 v[8:9], v[10:11], off sc1
	s_cmp_lt_u32 s31, 32
	s_cselect_b64 s[34:35], -1, 0
	s_cmp_lg_u64 s[34:35], 0
	s_addc_u32 s31, s31, 0
	s_waitcnt vmcnt(0)
	v_cmp_ne_u16_sdwa s[34:35], v9, v5 src0_sel:BYTE_0 src1_sel:DWORD
	s_or_b64 s[28:29], s[34:35], s[28:29]
	s_andn2_b64 exec, exec, s[28:29]
	s_cbranch_execnz .LBB2404_63
; %bb.66:                               ;   in Loop: Header=BB2404_60 Depth=1
	s_or_b64 exec, exec, s[28:29]
	s_branch .LBB2404_59
.LBB2404_67:                            ;   in Loop: Header=BB2404_60 Depth=1
                                        ; implicit-def: $vgpr8
                                        ; implicit-def: $vgpr9
	s_cbranch_execz .LBB2404_60
; %bb.68:
	s_and_saveexec_b64 s[26:27], s[16:17]
	s_cbranch_execz .LBB2404_70
; %bb.69:
	s_add_i32 s28, s30, 64
	s_mov_b32 s29, 0
	s_lshl_b64 s[28:29], s[28:29], 3
	s_add_u32 s28, s24, s28
	v_add_u32_e32 v4, v3, v2
	v_mov_b32_e32 v5, 2
	s_addc_u32 s29, s25, s29
	v_mov_b32_e32 v6, 0
	global_store_dwordx2 v6, v[4:5], s[28:29] sc1
	ds_write_b64 v6, v[2:3] offset:30720
.LBB2404_70:
	s_or_b64 exec, exec, s[26:27]
	s_and_b64 exec, exec, s[18:19]
	s_cbranch_execz .LBB2404_72
; %bb.71:
	v_mov_b32_e32 v2, 0
	ds_write_b32 v2, v3 offset:28
.LBB2404_72:
	s_or_b64 exec, exec, s[0:1]
	v_mov_b32_e32 v14, 0
	s_waitcnt lgkmcnt(0)
	s_barrier
	ds_read_b32 v2, v14 offset:28
	v_cndmask_b32_e64 v3, v13, v12, s[16:17]
	v_cndmask_b32_e64 v3, v3, 0, s[18:19]
	s_waitcnt lgkmcnt(0)
	s_barrier
	v_add_u32_e32 v2, v2, v3
	v_add_u32_e32 v3, v2, v52
	;; [unrolled: 1-line block ×11, first 2 shown]
	ds_read_b64 v[34:35], v14 offset:30720
	v_add_u32_e32 v13, v12, v62
	v_add_u32_e32 v14, v13, v63
	;; [unrolled: 1-line block ×4, first 2 shown]
	s_branch .LBB2404_83
.LBB2404_73:
                                        ; implicit-def: $vgpr35
                                        ; implicit-def: $vgpr2_vgpr3_vgpr4_vgpr5_vgpr6_vgpr7_vgpr8_vgpr9_vgpr10_vgpr11_vgpr12_vgpr13_vgpr14_vgpr15_vgpr16_vgpr17
	s_cbranch_execz .LBB2404_83
; %bb.74:
	s_nop 0
	v_mov_b32_dpp v2, v68 row_shr:1 row_mask:0xf bank_mask:0xf
	v_cndmask_b32_e64 v2, v2, 0, s[14:15]
	v_add_u32_e32 v2, v2, v68
	s_nop 1
	v_mov_b32_dpp v3, v2 row_shr:2 row_mask:0xf bank_mask:0xf
	v_cndmask_b32_e64 v3, 0, v3, s[12:13]
	v_add_u32_e32 v2, v2, v3
	;; [unrolled: 4-line block ×4, first 2 shown]
	s_nop 1
	v_mov_b32_dpp v3, v2 row_bcast:15 row_mask:0xf bank_mask:0xf
	v_cndmask_b32_e64 v3, v3, 0, s[6:7]
	v_add_u32_e32 v2, v2, v3
	s_nop 1
	v_mov_b32_dpp v3, v2 row_bcast:31 row_mask:0xf bank_mask:0xf
	v_cndmask_b32_e64 v3, 0, v3, s[2:3]
	v_add_u32_e32 v2, v2, v3
	s_and_saveexec_b64 s[0:1], s[4:5]
	s_cbranch_execz .LBB2404_76
; %bb.75:
	v_lshlrev_b32_e32 v3, 2, v67
	ds_write_b32 v3, v2
.LBB2404_76:
	s_or_b64 exec, exec, s[0:1]
	v_cmp_gt_u32_e32 vcc, 8, v0
	s_waitcnt lgkmcnt(0)
	s_barrier
	s_and_saveexec_b64 s[0:1], vcc
	s_cbranch_execz .LBB2404_78
; %bb.77:
	v_lshlrev_b32_e32 v3, 2, v0
	ds_read_b32 v4, v3
	v_and_b32_e32 v5, 7, v66
	v_cmp_ne_u32_e32 vcc, 0, v5
	s_waitcnt lgkmcnt(0)
	v_mov_b32_dpp v6, v4 row_shr:1 row_mask:0xf bank_mask:0xf
	v_cndmask_b32_e32 v6, 0, v6, vcc
	v_add_u32_e32 v4, v6, v4
	v_cmp_lt_u32_e32 vcc, 1, v5
	s_nop 0
	v_mov_b32_dpp v6, v4 row_shr:2 row_mask:0xf bank_mask:0xf
	v_cndmask_b32_e32 v6, 0, v6, vcc
	v_add_u32_e32 v4, v4, v6
	v_cmp_lt_u32_e32 vcc, 3, v5
	s_nop 0
	v_mov_b32_dpp v6, v4 row_shr:4 row_mask:0xf bank_mask:0xf
	v_cndmask_b32_e32 v5, 0, v6, vcc
	v_add_u32_e32 v4, v4, v5
	ds_write_b32 v3, v4
.LBB2404_78:
	s_or_b64 exec, exec, s[0:1]
	v_cmp_lt_u32_e32 vcc, 63, v0
	v_mov_b32_e32 v3, 0
	v_mov_b32_e32 v0, 0
	s_waitcnt lgkmcnt(0)
	s_barrier
	s_and_saveexec_b64 s[0:1], vcc
	s_cbranch_execz .LBB2404_80
; %bb.79:
	v_lshl_add_u32 v0, v67, 2, -4
	ds_read_b32 v0, v0
.LBB2404_80:
	s_or_b64 exec, exec, s[0:1]
	v_add_u32_e32 v4, -1, v66
	v_and_b32_e32 v5, 64, v66
	v_cmp_lt_i32_e32 vcc, v4, v5
	s_waitcnt lgkmcnt(0)
	v_add_u32_e32 v2, v0, v2
	ds_read_b32 v34, v3 offset:28
	v_cndmask_b32_e32 v4, v4, v66, vcc
	v_lshlrev_b32_e32 v4, 2, v4
	ds_bpermute_b32 v2, v4, v2
	s_and_saveexec_b64 s[0:1], s[18:19]
	s_cbranch_execz .LBB2404_82
; %bb.81:
	v_mov_b32_e32 v3, 0
	v_mov_b32_e32 v35, 2
	s_waitcnt lgkmcnt(1)
	global_store_dwordx2 v3, v[34:35], s[24:25] offset:512 sc1
.LBB2404_82:
	s_or_b64 exec, exec, s[0:1]
	v_cmp_eq_u32_e32 vcc, 0, v66
	v_mov_b32_e32 v35, 0
	s_waitcnt lgkmcnt(0)
	v_cndmask_b32_e32 v0, v2, v0, vcc
	v_cndmask_b32_e64 v2, v0, 0, s[18:19]
	v_add_u32_e32 v3, v2, v52
	v_add_u32_e32 v4, v3, v53
	;; [unrolled: 1-line block ×14, first 2 shown]
	s_barrier
.LBB2404_83:
	s_waitcnt lgkmcnt(0)
	v_add_u32_e32 v0, v34, v38
	v_sub_u32_e32 v2, v2, v35
	v_and_b32_e32 v38, 1, v51
	v_sub_u32_e32 v17, v0, v2
	v_cmp_eq_u32_e32 vcc, 1, v38
	s_and_b64 s[0:1], s[18:19], s[22:23]
	s_nop 0
	v_cndmask_b32_e32 v2, v17, v2, vcc
	v_lshlrev_b32_e32 v2, 2, v2
	ds_write_b32 v2, v32
	v_sub_u32_e32 v2, v3, v35
	v_sub_u32_e32 v3, v0, v2
	v_and_b32_e32 v17, 1, v50
	v_add_u32_e32 v3, 1, v3
	v_cmp_eq_u32_e32 vcc, 1, v17
	s_nop 1
	v_cndmask_b32_e32 v2, v3, v2, vcc
	v_lshlrev_b32_e32 v2, 2, v2
	ds_write_b32 v2, v33
	v_sub_u32_e32 v2, v4, v35
	v_sub_u32_e32 v3, v0, v2
	v_and_b32_e32 v4, 1, v49
	v_add_u32_e32 v3, 2, v3
	v_cmp_eq_u32_e32 vcc, 1, v4
	v_and_b32_e32 v4, 1, v48
	s_nop 0
	v_cndmask_b32_e32 v2, v3, v2, vcc
	v_lshlrev_b32_e32 v2, 2, v2
	ds_write_b32 v2, v30
	v_sub_u32_e32 v2, v5, v35
	v_sub_u32_e32 v3, v0, v2
	v_add_u32_e32 v3, 3, v3
	v_cmp_eq_u32_e32 vcc, 1, v4
	v_and_b32_e32 v4, 1, v47
	s_nop 0
	v_cndmask_b32_e32 v2, v3, v2, vcc
	v_lshlrev_b32_e32 v2, 2, v2
	ds_write_b32 v2, v31
	v_sub_u32_e32 v2, v6, v35
	v_sub_u32_e32 v3, v0, v2
	;; [unrolled: 9-line block ×11, first 2 shown]
	v_add_u32_e32 v3, 13, v3
	v_cmp_eq_u32_e32 vcc, 1, v4
	s_nop 1
	v_cndmask_b32_e32 v2, v3, v2, vcc
	v_lshlrev_b32_e32 v2, 2, v2
	ds_write_b32 v2, v21
	v_sub_u32_e32 v2, v16, v35
	v_sub_u32_e32 v0, v0, v2
	v_and_b32_e32 v3, 1, v36
	v_add_u32_e32 v0, 14, v0
	v_cmp_eq_u32_e32 vcc, 1, v3
	s_nop 1
	v_cndmask_b32_e32 v0, v0, v2, vcc
	v_lshlrev_b32_e32 v0, 2, v0
	ds_write_b32 v0, v1
	s_waitcnt lgkmcnt(0)
	s_barrier
	s_and_saveexec_b64 s[2:3], s[0:1]
	s_cbranch_execz .LBB2404_85
; %bb.84:
	v_mov_b32_e32 v1, 0
	v_mov_b32_e32 v0, v34
	s_waitcnt vmcnt(0)
	v_lshl_add_u64 v[2:3], v[18:19], 0, v[0:1]
	v_mov_b32_e32 v0, v35
	v_lshl_add_u64 v[2:3], v[2:3], 0, v[0:1]
	global_store_dwordx2 v1, v[2:3], s[20:21]
.LBB2404_85:
	s_endpgm
	.section	.rodata,"a",@progbits
	.p2align	6, 0x0
	.amdhsa_kernel _ZN7rocprim17ROCPRIM_400000_NS6detail17trampoline_kernelINS0_14default_configENS1_25partition_config_selectorILNS1_17partition_subalgoE0EjNS0_10empty_typeEbEEZZNS1_14partition_implILS5_0ELb0ES3_jN6thrust23THRUST_200600_302600_NS6detail15normal_iteratorINSA_10device_ptrIjEEEEPS6_SG_NS0_5tupleIJNSA_16discard_iteratorINSA_11use_defaultEEESK_EEENSH_IJSG_SG_EEES6_PlJ7is_evenIjEEEE10hipError_tPvRmT3_T4_T5_T6_T7_T9_mT8_P12ihipStream_tbDpT10_ENKUlT_T0_E_clISt17integral_constantIbLb1EES19_EEDaS14_S15_EUlS14_E_NS1_11comp_targetILNS1_3genE5ELNS1_11target_archE942ELNS1_3gpuE9ELNS1_3repE0EEENS1_30default_config_static_selectorELNS0_4arch9wavefront6targetE1EEEvT1_
		.amdhsa_group_segment_fixed_size 30728
		.amdhsa_private_segment_fixed_size 0
		.amdhsa_kernarg_size 152
		.amdhsa_user_sgpr_count 2
		.amdhsa_user_sgpr_dispatch_ptr 0
		.amdhsa_user_sgpr_queue_ptr 0
		.amdhsa_user_sgpr_kernarg_segment_ptr 1
		.amdhsa_user_sgpr_dispatch_id 0
		.amdhsa_user_sgpr_kernarg_preload_length 0
		.amdhsa_user_sgpr_kernarg_preload_offset 0
		.amdhsa_user_sgpr_private_segment_size 0
		.amdhsa_uses_dynamic_stack 0
		.amdhsa_enable_private_segment 0
		.amdhsa_system_sgpr_workgroup_id_x 1
		.amdhsa_system_sgpr_workgroup_id_y 0
		.amdhsa_system_sgpr_workgroup_id_z 0
		.amdhsa_system_sgpr_workgroup_info 0
		.amdhsa_system_vgpr_workitem_id 0
		.amdhsa_next_free_vgpr 77
		.amdhsa_next_free_sgpr 36
		.amdhsa_accum_offset 80
		.amdhsa_reserve_vcc 1
		.amdhsa_float_round_mode_32 0
		.amdhsa_float_round_mode_16_64 0
		.amdhsa_float_denorm_mode_32 3
		.amdhsa_float_denorm_mode_16_64 3
		.amdhsa_dx10_clamp 1
		.amdhsa_ieee_mode 1
		.amdhsa_fp16_overflow 0
		.amdhsa_tg_split 0
		.amdhsa_exception_fp_ieee_invalid_op 0
		.amdhsa_exception_fp_denorm_src 0
		.amdhsa_exception_fp_ieee_div_zero 0
		.amdhsa_exception_fp_ieee_overflow 0
		.amdhsa_exception_fp_ieee_underflow 0
		.amdhsa_exception_fp_ieee_inexact 0
		.amdhsa_exception_int_div_zero 0
	.end_amdhsa_kernel
	.section	.text._ZN7rocprim17ROCPRIM_400000_NS6detail17trampoline_kernelINS0_14default_configENS1_25partition_config_selectorILNS1_17partition_subalgoE0EjNS0_10empty_typeEbEEZZNS1_14partition_implILS5_0ELb0ES3_jN6thrust23THRUST_200600_302600_NS6detail15normal_iteratorINSA_10device_ptrIjEEEEPS6_SG_NS0_5tupleIJNSA_16discard_iteratorINSA_11use_defaultEEESK_EEENSH_IJSG_SG_EEES6_PlJ7is_evenIjEEEE10hipError_tPvRmT3_T4_T5_T6_T7_T9_mT8_P12ihipStream_tbDpT10_ENKUlT_T0_E_clISt17integral_constantIbLb1EES19_EEDaS14_S15_EUlS14_E_NS1_11comp_targetILNS1_3genE5ELNS1_11target_archE942ELNS1_3gpuE9ELNS1_3repE0EEENS1_30default_config_static_selectorELNS0_4arch9wavefront6targetE1EEEvT1_,"axG",@progbits,_ZN7rocprim17ROCPRIM_400000_NS6detail17trampoline_kernelINS0_14default_configENS1_25partition_config_selectorILNS1_17partition_subalgoE0EjNS0_10empty_typeEbEEZZNS1_14partition_implILS5_0ELb0ES3_jN6thrust23THRUST_200600_302600_NS6detail15normal_iteratorINSA_10device_ptrIjEEEEPS6_SG_NS0_5tupleIJNSA_16discard_iteratorINSA_11use_defaultEEESK_EEENSH_IJSG_SG_EEES6_PlJ7is_evenIjEEEE10hipError_tPvRmT3_T4_T5_T6_T7_T9_mT8_P12ihipStream_tbDpT10_ENKUlT_T0_E_clISt17integral_constantIbLb1EES19_EEDaS14_S15_EUlS14_E_NS1_11comp_targetILNS1_3genE5ELNS1_11target_archE942ELNS1_3gpuE9ELNS1_3repE0EEENS1_30default_config_static_selectorELNS0_4arch9wavefront6targetE1EEEvT1_,comdat
.Lfunc_end2404:
	.size	_ZN7rocprim17ROCPRIM_400000_NS6detail17trampoline_kernelINS0_14default_configENS1_25partition_config_selectorILNS1_17partition_subalgoE0EjNS0_10empty_typeEbEEZZNS1_14partition_implILS5_0ELb0ES3_jN6thrust23THRUST_200600_302600_NS6detail15normal_iteratorINSA_10device_ptrIjEEEEPS6_SG_NS0_5tupleIJNSA_16discard_iteratorINSA_11use_defaultEEESK_EEENSH_IJSG_SG_EEES6_PlJ7is_evenIjEEEE10hipError_tPvRmT3_T4_T5_T6_T7_T9_mT8_P12ihipStream_tbDpT10_ENKUlT_T0_E_clISt17integral_constantIbLb1EES19_EEDaS14_S15_EUlS14_E_NS1_11comp_targetILNS1_3genE5ELNS1_11target_archE942ELNS1_3gpuE9ELNS1_3repE0EEENS1_30default_config_static_selectorELNS0_4arch9wavefront6targetE1EEEvT1_, .Lfunc_end2404-_ZN7rocprim17ROCPRIM_400000_NS6detail17trampoline_kernelINS0_14default_configENS1_25partition_config_selectorILNS1_17partition_subalgoE0EjNS0_10empty_typeEbEEZZNS1_14partition_implILS5_0ELb0ES3_jN6thrust23THRUST_200600_302600_NS6detail15normal_iteratorINSA_10device_ptrIjEEEEPS6_SG_NS0_5tupleIJNSA_16discard_iteratorINSA_11use_defaultEEESK_EEENSH_IJSG_SG_EEES6_PlJ7is_evenIjEEEE10hipError_tPvRmT3_T4_T5_T6_T7_T9_mT8_P12ihipStream_tbDpT10_ENKUlT_T0_E_clISt17integral_constantIbLb1EES19_EEDaS14_S15_EUlS14_E_NS1_11comp_targetILNS1_3genE5ELNS1_11target_archE942ELNS1_3gpuE9ELNS1_3repE0EEENS1_30default_config_static_selectorELNS0_4arch9wavefront6targetE1EEEvT1_
                                        ; -- End function
	.section	.AMDGPU.csdata,"",@progbits
; Kernel info:
; codeLenInByte = 5000
; NumSgprs: 42
; NumVgprs: 77
; NumAgprs: 0
; TotalNumVgprs: 77
; ScratchSize: 0
; MemoryBound: 0
; FloatMode: 240
; IeeeMode: 1
; LDSByteSize: 30728 bytes/workgroup (compile time only)
; SGPRBlocks: 5
; VGPRBlocks: 9
; NumSGPRsForWavesPerEU: 42
; NumVGPRsForWavesPerEU: 77
; AccumOffset: 80
; Occupancy: 4
; WaveLimiterHint : 1
; COMPUTE_PGM_RSRC2:SCRATCH_EN: 0
; COMPUTE_PGM_RSRC2:USER_SGPR: 2
; COMPUTE_PGM_RSRC2:TRAP_HANDLER: 0
; COMPUTE_PGM_RSRC2:TGID_X_EN: 1
; COMPUTE_PGM_RSRC2:TGID_Y_EN: 0
; COMPUTE_PGM_RSRC2:TGID_Z_EN: 0
; COMPUTE_PGM_RSRC2:TIDIG_COMP_CNT: 0
; COMPUTE_PGM_RSRC3_GFX90A:ACCUM_OFFSET: 19
; COMPUTE_PGM_RSRC3_GFX90A:TG_SPLIT: 0
	.section	.text._ZN7rocprim17ROCPRIM_400000_NS6detail17trampoline_kernelINS0_14default_configENS1_25partition_config_selectorILNS1_17partition_subalgoE0EjNS0_10empty_typeEbEEZZNS1_14partition_implILS5_0ELb0ES3_jN6thrust23THRUST_200600_302600_NS6detail15normal_iteratorINSA_10device_ptrIjEEEEPS6_SG_NS0_5tupleIJNSA_16discard_iteratorINSA_11use_defaultEEESK_EEENSH_IJSG_SG_EEES6_PlJ7is_evenIjEEEE10hipError_tPvRmT3_T4_T5_T6_T7_T9_mT8_P12ihipStream_tbDpT10_ENKUlT_T0_E_clISt17integral_constantIbLb1EES19_EEDaS14_S15_EUlS14_E_NS1_11comp_targetILNS1_3genE4ELNS1_11target_archE910ELNS1_3gpuE8ELNS1_3repE0EEENS1_30default_config_static_selectorELNS0_4arch9wavefront6targetE1EEEvT1_,"axG",@progbits,_ZN7rocprim17ROCPRIM_400000_NS6detail17trampoline_kernelINS0_14default_configENS1_25partition_config_selectorILNS1_17partition_subalgoE0EjNS0_10empty_typeEbEEZZNS1_14partition_implILS5_0ELb0ES3_jN6thrust23THRUST_200600_302600_NS6detail15normal_iteratorINSA_10device_ptrIjEEEEPS6_SG_NS0_5tupleIJNSA_16discard_iteratorINSA_11use_defaultEEESK_EEENSH_IJSG_SG_EEES6_PlJ7is_evenIjEEEE10hipError_tPvRmT3_T4_T5_T6_T7_T9_mT8_P12ihipStream_tbDpT10_ENKUlT_T0_E_clISt17integral_constantIbLb1EES19_EEDaS14_S15_EUlS14_E_NS1_11comp_targetILNS1_3genE4ELNS1_11target_archE910ELNS1_3gpuE8ELNS1_3repE0EEENS1_30default_config_static_selectorELNS0_4arch9wavefront6targetE1EEEvT1_,comdat
	.protected	_ZN7rocprim17ROCPRIM_400000_NS6detail17trampoline_kernelINS0_14default_configENS1_25partition_config_selectorILNS1_17partition_subalgoE0EjNS0_10empty_typeEbEEZZNS1_14partition_implILS5_0ELb0ES3_jN6thrust23THRUST_200600_302600_NS6detail15normal_iteratorINSA_10device_ptrIjEEEEPS6_SG_NS0_5tupleIJNSA_16discard_iteratorINSA_11use_defaultEEESK_EEENSH_IJSG_SG_EEES6_PlJ7is_evenIjEEEE10hipError_tPvRmT3_T4_T5_T6_T7_T9_mT8_P12ihipStream_tbDpT10_ENKUlT_T0_E_clISt17integral_constantIbLb1EES19_EEDaS14_S15_EUlS14_E_NS1_11comp_targetILNS1_3genE4ELNS1_11target_archE910ELNS1_3gpuE8ELNS1_3repE0EEENS1_30default_config_static_selectorELNS0_4arch9wavefront6targetE1EEEvT1_ ; -- Begin function _ZN7rocprim17ROCPRIM_400000_NS6detail17trampoline_kernelINS0_14default_configENS1_25partition_config_selectorILNS1_17partition_subalgoE0EjNS0_10empty_typeEbEEZZNS1_14partition_implILS5_0ELb0ES3_jN6thrust23THRUST_200600_302600_NS6detail15normal_iteratorINSA_10device_ptrIjEEEEPS6_SG_NS0_5tupleIJNSA_16discard_iteratorINSA_11use_defaultEEESK_EEENSH_IJSG_SG_EEES6_PlJ7is_evenIjEEEE10hipError_tPvRmT3_T4_T5_T6_T7_T9_mT8_P12ihipStream_tbDpT10_ENKUlT_T0_E_clISt17integral_constantIbLb1EES19_EEDaS14_S15_EUlS14_E_NS1_11comp_targetILNS1_3genE4ELNS1_11target_archE910ELNS1_3gpuE8ELNS1_3repE0EEENS1_30default_config_static_selectorELNS0_4arch9wavefront6targetE1EEEvT1_
	.globl	_ZN7rocprim17ROCPRIM_400000_NS6detail17trampoline_kernelINS0_14default_configENS1_25partition_config_selectorILNS1_17partition_subalgoE0EjNS0_10empty_typeEbEEZZNS1_14partition_implILS5_0ELb0ES3_jN6thrust23THRUST_200600_302600_NS6detail15normal_iteratorINSA_10device_ptrIjEEEEPS6_SG_NS0_5tupleIJNSA_16discard_iteratorINSA_11use_defaultEEESK_EEENSH_IJSG_SG_EEES6_PlJ7is_evenIjEEEE10hipError_tPvRmT3_T4_T5_T6_T7_T9_mT8_P12ihipStream_tbDpT10_ENKUlT_T0_E_clISt17integral_constantIbLb1EES19_EEDaS14_S15_EUlS14_E_NS1_11comp_targetILNS1_3genE4ELNS1_11target_archE910ELNS1_3gpuE8ELNS1_3repE0EEENS1_30default_config_static_selectorELNS0_4arch9wavefront6targetE1EEEvT1_
	.p2align	8
	.type	_ZN7rocprim17ROCPRIM_400000_NS6detail17trampoline_kernelINS0_14default_configENS1_25partition_config_selectorILNS1_17partition_subalgoE0EjNS0_10empty_typeEbEEZZNS1_14partition_implILS5_0ELb0ES3_jN6thrust23THRUST_200600_302600_NS6detail15normal_iteratorINSA_10device_ptrIjEEEEPS6_SG_NS0_5tupleIJNSA_16discard_iteratorINSA_11use_defaultEEESK_EEENSH_IJSG_SG_EEES6_PlJ7is_evenIjEEEE10hipError_tPvRmT3_T4_T5_T6_T7_T9_mT8_P12ihipStream_tbDpT10_ENKUlT_T0_E_clISt17integral_constantIbLb1EES19_EEDaS14_S15_EUlS14_E_NS1_11comp_targetILNS1_3genE4ELNS1_11target_archE910ELNS1_3gpuE8ELNS1_3repE0EEENS1_30default_config_static_selectorELNS0_4arch9wavefront6targetE1EEEvT1_,@function
_ZN7rocprim17ROCPRIM_400000_NS6detail17trampoline_kernelINS0_14default_configENS1_25partition_config_selectorILNS1_17partition_subalgoE0EjNS0_10empty_typeEbEEZZNS1_14partition_implILS5_0ELb0ES3_jN6thrust23THRUST_200600_302600_NS6detail15normal_iteratorINSA_10device_ptrIjEEEEPS6_SG_NS0_5tupleIJNSA_16discard_iteratorINSA_11use_defaultEEESK_EEENSH_IJSG_SG_EEES6_PlJ7is_evenIjEEEE10hipError_tPvRmT3_T4_T5_T6_T7_T9_mT8_P12ihipStream_tbDpT10_ENKUlT_T0_E_clISt17integral_constantIbLb1EES19_EEDaS14_S15_EUlS14_E_NS1_11comp_targetILNS1_3genE4ELNS1_11target_archE910ELNS1_3gpuE8ELNS1_3repE0EEENS1_30default_config_static_selectorELNS0_4arch9wavefront6targetE1EEEvT1_: ; @_ZN7rocprim17ROCPRIM_400000_NS6detail17trampoline_kernelINS0_14default_configENS1_25partition_config_selectorILNS1_17partition_subalgoE0EjNS0_10empty_typeEbEEZZNS1_14partition_implILS5_0ELb0ES3_jN6thrust23THRUST_200600_302600_NS6detail15normal_iteratorINSA_10device_ptrIjEEEEPS6_SG_NS0_5tupleIJNSA_16discard_iteratorINSA_11use_defaultEEESK_EEENSH_IJSG_SG_EEES6_PlJ7is_evenIjEEEE10hipError_tPvRmT3_T4_T5_T6_T7_T9_mT8_P12ihipStream_tbDpT10_ENKUlT_T0_E_clISt17integral_constantIbLb1EES19_EEDaS14_S15_EUlS14_E_NS1_11comp_targetILNS1_3genE4ELNS1_11target_archE910ELNS1_3gpuE8ELNS1_3repE0EEENS1_30default_config_static_selectorELNS0_4arch9wavefront6targetE1EEEvT1_
; %bb.0:
	.section	.rodata,"a",@progbits
	.p2align	6, 0x0
	.amdhsa_kernel _ZN7rocprim17ROCPRIM_400000_NS6detail17trampoline_kernelINS0_14default_configENS1_25partition_config_selectorILNS1_17partition_subalgoE0EjNS0_10empty_typeEbEEZZNS1_14partition_implILS5_0ELb0ES3_jN6thrust23THRUST_200600_302600_NS6detail15normal_iteratorINSA_10device_ptrIjEEEEPS6_SG_NS0_5tupleIJNSA_16discard_iteratorINSA_11use_defaultEEESK_EEENSH_IJSG_SG_EEES6_PlJ7is_evenIjEEEE10hipError_tPvRmT3_T4_T5_T6_T7_T9_mT8_P12ihipStream_tbDpT10_ENKUlT_T0_E_clISt17integral_constantIbLb1EES19_EEDaS14_S15_EUlS14_E_NS1_11comp_targetILNS1_3genE4ELNS1_11target_archE910ELNS1_3gpuE8ELNS1_3repE0EEENS1_30default_config_static_selectorELNS0_4arch9wavefront6targetE1EEEvT1_
		.amdhsa_group_segment_fixed_size 0
		.amdhsa_private_segment_fixed_size 0
		.amdhsa_kernarg_size 152
		.amdhsa_user_sgpr_count 2
		.amdhsa_user_sgpr_dispatch_ptr 0
		.amdhsa_user_sgpr_queue_ptr 0
		.amdhsa_user_sgpr_kernarg_segment_ptr 1
		.amdhsa_user_sgpr_dispatch_id 0
		.amdhsa_user_sgpr_kernarg_preload_length 0
		.amdhsa_user_sgpr_kernarg_preload_offset 0
		.amdhsa_user_sgpr_private_segment_size 0
		.amdhsa_uses_dynamic_stack 0
		.amdhsa_enable_private_segment 0
		.amdhsa_system_sgpr_workgroup_id_x 1
		.amdhsa_system_sgpr_workgroup_id_y 0
		.amdhsa_system_sgpr_workgroup_id_z 0
		.amdhsa_system_sgpr_workgroup_info 0
		.amdhsa_system_vgpr_workitem_id 0
		.amdhsa_next_free_vgpr 1
		.amdhsa_next_free_sgpr 0
		.amdhsa_accum_offset 4
		.amdhsa_reserve_vcc 0
		.amdhsa_float_round_mode_32 0
		.amdhsa_float_round_mode_16_64 0
		.amdhsa_float_denorm_mode_32 3
		.amdhsa_float_denorm_mode_16_64 3
		.amdhsa_dx10_clamp 1
		.amdhsa_ieee_mode 1
		.amdhsa_fp16_overflow 0
		.amdhsa_tg_split 0
		.amdhsa_exception_fp_ieee_invalid_op 0
		.amdhsa_exception_fp_denorm_src 0
		.amdhsa_exception_fp_ieee_div_zero 0
		.amdhsa_exception_fp_ieee_overflow 0
		.amdhsa_exception_fp_ieee_underflow 0
		.amdhsa_exception_fp_ieee_inexact 0
		.amdhsa_exception_int_div_zero 0
	.end_amdhsa_kernel
	.section	.text._ZN7rocprim17ROCPRIM_400000_NS6detail17trampoline_kernelINS0_14default_configENS1_25partition_config_selectorILNS1_17partition_subalgoE0EjNS0_10empty_typeEbEEZZNS1_14partition_implILS5_0ELb0ES3_jN6thrust23THRUST_200600_302600_NS6detail15normal_iteratorINSA_10device_ptrIjEEEEPS6_SG_NS0_5tupleIJNSA_16discard_iteratorINSA_11use_defaultEEESK_EEENSH_IJSG_SG_EEES6_PlJ7is_evenIjEEEE10hipError_tPvRmT3_T4_T5_T6_T7_T9_mT8_P12ihipStream_tbDpT10_ENKUlT_T0_E_clISt17integral_constantIbLb1EES19_EEDaS14_S15_EUlS14_E_NS1_11comp_targetILNS1_3genE4ELNS1_11target_archE910ELNS1_3gpuE8ELNS1_3repE0EEENS1_30default_config_static_selectorELNS0_4arch9wavefront6targetE1EEEvT1_,"axG",@progbits,_ZN7rocprim17ROCPRIM_400000_NS6detail17trampoline_kernelINS0_14default_configENS1_25partition_config_selectorILNS1_17partition_subalgoE0EjNS0_10empty_typeEbEEZZNS1_14partition_implILS5_0ELb0ES3_jN6thrust23THRUST_200600_302600_NS6detail15normal_iteratorINSA_10device_ptrIjEEEEPS6_SG_NS0_5tupleIJNSA_16discard_iteratorINSA_11use_defaultEEESK_EEENSH_IJSG_SG_EEES6_PlJ7is_evenIjEEEE10hipError_tPvRmT3_T4_T5_T6_T7_T9_mT8_P12ihipStream_tbDpT10_ENKUlT_T0_E_clISt17integral_constantIbLb1EES19_EEDaS14_S15_EUlS14_E_NS1_11comp_targetILNS1_3genE4ELNS1_11target_archE910ELNS1_3gpuE8ELNS1_3repE0EEENS1_30default_config_static_selectorELNS0_4arch9wavefront6targetE1EEEvT1_,comdat
.Lfunc_end2405:
	.size	_ZN7rocprim17ROCPRIM_400000_NS6detail17trampoline_kernelINS0_14default_configENS1_25partition_config_selectorILNS1_17partition_subalgoE0EjNS0_10empty_typeEbEEZZNS1_14partition_implILS5_0ELb0ES3_jN6thrust23THRUST_200600_302600_NS6detail15normal_iteratorINSA_10device_ptrIjEEEEPS6_SG_NS0_5tupleIJNSA_16discard_iteratorINSA_11use_defaultEEESK_EEENSH_IJSG_SG_EEES6_PlJ7is_evenIjEEEE10hipError_tPvRmT3_T4_T5_T6_T7_T9_mT8_P12ihipStream_tbDpT10_ENKUlT_T0_E_clISt17integral_constantIbLb1EES19_EEDaS14_S15_EUlS14_E_NS1_11comp_targetILNS1_3genE4ELNS1_11target_archE910ELNS1_3gpuE8ELNS1_3repE0EEENS1_30default_config_static_selectorELNS0_4arch9wavefront6targetE1EEEvT1_, .Lfunc_end2405-_ZN7rocprim17ROCPRIM_400000_NS6detail17trampoline_kernelINS0_14default_configENS1_25partition_config_selectorILNS1_17partition_subalgoE0EjNS0_10empty_typeEbEEZZNS1_14partition_implILS5_0ELb0ES3_jN6thrust23THRUST_200600_302600_NS6detail15normal_iteratorINSA_10device_ptrIjEEEEPS6_SG_NS0_5tupleIJNSA_16discard_iteratorINSA_11use_defaultEEESK_EEENSH_IJSG_SG_EEES6_PlJ7is_evenIjEEEE10hipError_tPvRmT3_T4_T5_T6_T7_T9_mT8_P12ihipStream_tbDpT10_ENKUlT_T0_E_clISt17integral_constantIbLb1EES19_EEDaS14_S15_EUlS14_E_NS1_11comp_targetILNS1_3genE4ELNS1_11target_archE910ELNS1_3gpuE8ELNS1_3repE0EEENS1_30default_config_static_selectorELNS0_4arch9wavefront6targetE1EEEvT1_
                                        ; -- End function
	.section	.AMDGPU.csdata,"",@progbits
; Kernel info:
; codeLenInByte = 0
; NumSgprs: 6
; NumVgprs: 0
; NumAgprs: 0
; TotalNumVgprs: 0
; ScratchSize: 0
; MemoryBound: 0
; FloatMode: 240
; IeeeMode: 1
; LDSByteSize: 0 bytes/workgroup (compile time only)
; SGPRBlocks: 0
; VGPRBlocks: 0
; NumSGPRsForWavesPerEU: 6
; NumVGPRsForWavesPerEU: 1
; AccumOffset: 4
; Occupancy: 8
; WaveLimiterHint : 0
; COMPUTE_PGM_RSRC2:SCRATCH_EN: 0
; COMPUTE_PGM_RSRC2:USER_SGPR: 2
; COMPUTE_PGM_RSRC2:TRAP_HANDLER: 0
; COMPUTE_PGM_RSRC2:TGID_X_EN: 1
; COMPUTE_PGM_RSRC2:TGID_Y_EN: 0
; COMPUTE_PGM_RSRC2:TGID_Z_EN: 0
; COMPUTE_PGM_RSRC2:TIDIG_COMP_CNT: 0
; COMPUTE_PGM_RSRC3_GFX90A:ACCUM_OFFSET: 0
; COMPUTE_PGM_RSRC3_GFX90A:TG_SPLIT: 0
	.section	.text._ZN7rocprim17ROCPRIM_400000_NS6detail17trampoline_kernelINS0_14default_configENS1_25partition_config_selectorILNS1_17partition_subalgoE0EjNS0_10empty_typeEbEEZZNS1_14partition_implILS5_0ELb0ES3_jN6thrust23THRUST_200600_302600_NS6detail15normal_iteratorINSA_10device_ptrIjEEEEPS6_SG_NS0_5tupleIJNSA_16discard_iteratorINSA_11use_defaultEEESK_EEENSH_IJSG_SG_EEES6_PlJ7is_evenIjEEEE10hipError_tPvRmT3_T4_T5_T6_T7_T9_mT8_P12ihipStream_tbDpT10_ENKUlT_T0_E_clISt17integral_constantIbLb1EES19_EEDaS14_S15_EUlS14_E_NS1_11comp_targetILNS1_3genE3ELNS1_11target_archE908ELNS1_3gpuE7ELNS1_3repE0EEENS1_30default_config_static_selectorELNS0_4arch9wavefront6targetE1EEEvT1_,"axG",@progbits,_ZN7rocprim17ROCPRIM_400000_NS6detail17trampoline_kernelINS0_14default_configENS1_25partition_config_selectorILNS1_17partition_subalgoE0EjNS0_10empty_typeEbEEZZNS1_14partition_implILS5_0ELb0ES3_jN6thrust23THRUST_200600_302600_NS6detail15normal_iteratorINSA_10device_ptrIjEEEEPS6_SG_NS0_5tupleIJNSA_16discard_iteratorINSA_11use_defaultEEESK_EEENSH_IJSG_SG_EEES6_PlJ7is_evenIjEEEE10hipError_tPvRmT3_T4_T5_T6_T7_T9_mT8_P12ihipStream_tbDpT10_ENKUlT_T0_E_clISt17integral_constantIbLb1EES19_EEDaS14_S15_EUlS14_E_NS1_11comp_targetILNS1_3genE3ELNS1_11target_archE908ELNS1_3gpuE7ELNS1_3repE0EEENS1_30default_config_static_selectorELNS0_4arch9wavefront6targetE1EEEvT1_,comdat
	.protected	_ZN7rocprim17ROCPRIM_400000_NS6detail17trampoline_kernelINS0_14default_configENS1_25partition_config_selectorILNS1_17partition_subalgoE0EjNS0_10empty_typeEbEEZZNS1_14partition_implILS5_0ELb0ES3_jN6thrust23THRUST_200600_302600_NS6detail15normal_iteratorINSA_10device_ptrIjEEEEPS6_SG_NS0_5tupleIJNSA_16discard_iteratorINSA_11use_defaultEEESK_EEENSH_IJSG_SG_EEES6_PlJ7is_evenIjEEEE10hipError_tPvRmT3_T4_T5_T6_T7_T9_mT8_P12ihipStream_tbDpT10_ENKUlT_T0_E_clISt17integral_constantIbLb1EES19_EEDaS14_S15_EUlS14_E_NS1_11comp_targetILNS1_3genE3ELNS1_11target_archE908ELNS1_3gpuE7ELNS1_3repE0EEENS1_30default_config_static_selectorELNS0_4arch9wavefront6targetE1EEEvT1_ ; -- Begin function _ZN7rocprim17ROCPRIM_400000_NS6detail17trampoline_kernelINS0_14default_configENS1_25partition_config_selectorILNS1_17partition_subalgoE0EjNS0_10empty_typeEbEEZZNS1_14partition_implILS5_0ELb0ES3_jN6thrust23THRUST_200600_302600_NS6detail15normal_iteratorINSA_10device_ptrIjEEEEPS6_SG_NS0_5tupleIJNSA_16discard_iteratorINSA_11use_defaultEEESK_EEENSH_IJSG_SG_EEES6_PlJ7is_evenIjEEEE10hipError_tPvRmT3_T4_T5_T6_T7_T9_mT8_P12ihipStream_tbDpT10_ENKUlT_T0_E_clISt17integral_constantIbLb1EES19_EEDaS14_S15_EUlS14_E_NS1_11comp_targetILNS1_3genE3ELNS1_11target_archE908ELNS1_3gpuE7ELNS1_3repE0EEENS1_30default_config_static_selectorELNS0_4arch9wavefront6targetE1EEEvT1_
	.globl	_ZN7rocprim17ROCPRIM_400000_NS6detail17trampoline_kernelINS0_14default_configENS1_25partition_config_selectorILNS1_17partition_subalgoE0EjNS0_10empty_typeEbEEZZNS1_14partition_implILS5_0ELb0ES3_jN6thrust23THRUST_200600_302600_NS6detail15normal_iteratorINSA_10device_ptrIjEEEEPS6_SG_NS0_5tupleIJNSA_16discard_iteratorINSA_11use_defaultEEESK_EEENSH_IJSG_SG_EEES6_PlJ7is_evenIjEEEE10hipError_tPvRmT3_T4_T5_T6_T7_T9_mT8_P12ihipStream_tbDpT10_ENKUlT_T0_E_clISt17integral_constantIbLb1EES19_EEDaS14_S15_EUlS14_E_NS1_11comp_targetILNS1_3genE3ELNS1_11target_archE908ELNS1_3gpuE7ELNS1_3repE0EEENS1_30default_config_static_selectorELNS0_4arch9wavefront6targetE1EEEvT1_
	.p2align	8
	.type	_ZN7rocprim17ROCPRIM_400000_NS6detail17trampoline_kernelINS0_14default_configENS1_25partition_config_selectorILNS1_17partition_subalgoE0EjNS0_10empty_typeEbEEZZNS1_14partition_implILS5_0ELb0ES3_jN6thrust23THRUST_200600_302600_NS6detail15normal_iteratorINSA_10device_ptrIjEEEEPS6_SG_NS0_5tupleIJNSA_16discard_iteratorINSA_11use_defaultEEESK_EEENSH_IJSG_SG_EEES6_PlJ7is_evenIjEEEE10hipError_tPvRmT3_T4_T5_T6_T7_T9_mT8_P12ihipStream_tbDpT10_ENKUlT_T0_E_clISt17integral_constantIbLb1EES19_EEDaS14_S15_EUlS14_E_NS1_11comp_targetILNS1_3genE3ELNS1_11target_archE908ELNS1_3gpuE7ELNS1_3repE0EEENS1_30default_config_static_selectorELNS0_4arch9wavefront6targetE1EEEvT1_,@function
_ZN7rocprim17ROCPRIM_400000_NS6detail17trampoline_kernelINS0_14default_configENS1_25partition_config_selectorILNS1_17partition_subalgoE0EjNS0_10empty_typeEbEEZZNS1_14partition_implILS5_0ELb0ES3_jN6thrust23THRUST_200600_302600_NS6detail15normal_iteratorINSA_10device_ptrIjEEEEPS6_SG_NS0_5tupleIJNSA_16discard_iteratorINSA_11use_defaultEEESK_EEENSH_IJSG_SG_EEES6_PlJ7is_evenIjEEEE10hipError_tPvRmT3_T4_T5_T6_T7_T9_mT8_P12ihipStream_tbDpT10_ENKUlT_T0_E_clISt17integral_constantIbLb1EES19_EEDaS14_S15_EUlS14_E_NS1_11comp_targetILNS1_3genE3ELNS1_11target_archE908ELNS1_3gpuE7ELNS1_3repE0EEENS1_30default_config_static_selectorELNS0_4arch9wavefront6targetE1EEEvT1_: ; @_ZN7rocprim17ROCPRIM_400000_NS6detail17trampoline_kernelINS0_14default_configENS1_25partition_config_selectorILNS1_17partition_subalgoE0EjNS0_10empty_typeEbEEZZNS1_14partition_implILS5_0ELb0ES3_jN6thrust23THRUST_200600_302600_NS6detail15normal_iteratorINSA_10device_ptrIjEEEEPS6_SG_NS0_5tupleIJNSA_16discard_iteratorINSA_11use_defaultEEESK_EEENSH_IJSG_SG_EEES6_PlJ7is_evenIjEEEE10hipError_tPvRmT3_T4_T5_T6_T7_T9_mT8_P12ihipStream_tbDpT10_ENKUlT_T0_E_clISt17integral_constantIbLb1EES19_EEDaS14_S15_EUlS14_E_NS1_11comp_targetILNS1_3genE3ELNS1_11target_archE908ELNS1_3gpuE7ELNS1_3repE0EEENS1_30default_config_static_selectorELNS0_4arch9wavefront6targetE1EEEvT1_
; %bb.0:
	.section	.rodata,"a",@progbits
	.p2align	6, 0x0
	.amdhsa_kernel _ZN7rocprim17ROCPRIM_400000_NS6detail17trampoline_kernelINS0_14default_configENS1_25partition_config_selectorILNS1_17partition_subalgoE0EjNS0_10empty_typeEbEEZZNS1_14partition_implILS5_0ELb0ES3_jN6thrust23THRUST_200600_302600_NS6detail15normal_iteratorINSA_10device_ptrIjEEEEPS6_SG_NS0_5tupleIJNSA_16discard_iteratorINSA_11use_defaultEEESK_EEENSH_IJSG_SG_EEES6_PlJ7is_evenIjEEEE10hipError_tPvRmT3_T4_T5_T6_T7_T9_mT8_P12ihipStream_tbDpT10_ENKUlT_T0_E_clISt17integral_constantIbLb1EES19_EEDaS14_S15_EUlS14_E_NS1_11comp_targetILNS1_3genE3ELNS1_11target_archE908ELNS1_3gpuE7ELNS1_3repE0EEENS1_30default_config_static_selectorELNS0_4arch9wavefront6targetE1EEEvT1_
		.amdhsa_group_segment_fixed_size 0
		.amdhsa_private_segment_fixed_size 0
		.amdhsa_kernarg_size 152
		.amdhsa_user_sgpr_count 2
		.amdhsa_user_sgpr_dispatch_ptr 0
		.amdhsa_user_sgpr_queue_ptr 0
		.amdhsa_user_sgpr_kernarg_segment_ptr 1
		.amdhsa_user_sgpr_dispatch_id 0
		.amdhsa_user_sgpr_kernarg_preload_length 0
		.amdhsa_user_sgpr_kernarg_preload_offset 0
		.amdhsa_user_sgpr_private_segment_size 0
		.amdhsa_uses_dynamic_stack 0
		.amdhsa_enable_private_segment 0
		.amdhsa_system_sgpr_workgroup_id_x 1
		.amdhsa_system_sgpr_workgroup_id_y 0
		.amdhsa_system_sgpr_workgroup_id_z 0
		.amdhsa_system_sgpr_workgroup_info 0
		.amdhsa_system_vgpr_workitem_id 0
		.amdhsa_next_free_vgpr 1
		.amdhsa_next_free_sgpr 0
		.amdhsa_accum_offset 4
		.amdhsa_reserve_vcc 0
		.amdhsa_float_round_mode_32 0
		.amdhsa_float_round_mode_16_64 0
		.amdhsa_float_denorm_mode_32 3
		.amdhsa_float_denorm_mode_16_64 3
		.amdhsa_dx10_clamp 1
		.amdhsa_ieee_mode 1
		.amdhsa_fp16_overflow 0
		.amdhsa_tg_split 0
		.amdhsa_exception_fp_ieee_invalid_op 0
		.amdhsa_exception_fp_denorm_src 0
		.amdhsa_exception_fp_ieee_div_zero 0
		.amdhsa_exception_fp_ieee_overflow 0
		.amdhsa_exception_fp_ieee_underflow 0
		.amdhsa_exception_fp_ieee_inexact 0
		.amdhsa_exception_int_div_zero 0
	.end_amdhsa_kernel
	.section	.text._ZN7rocprim17ROCPRIM_400000_NS6detail17trampoline_kernelINS0_14default_configENS1_25partition_config_selectorILNS1_17partition_subalgoE0EjNS0_10empty_typeEbEEZZNS1_14partition_implILS5_0ELb0ES3_jN6thrust23THRUST_200600_302600_NS6detail15normal_iteratorINSA_10device_ptrIjEEEEPS6_SG_NS0_5tupleIJNSA_16discard_iteratorINSA_11use_defaultEEESK_EEENSH_IJSG_SG_EEES6_PlJ7is_evenIjEEEE10hipError_tPvRmT3_T4_T5_T6_T7_T9_mT8_P12ihipStream_tbDpT10_ENKUlT_T0_E_clISt17integral_constantIbLb1EES19_EEDaS14_S15_EUlS14_E_NS1_11comp_targetILNS1_3genE3ELNS1_11target_archE908ELNS1_3gpuE7ELNS1_3repE0EEENS1_30default_config_static_selectorELNS0_4arch9wavefront6targetE1EEEvT1_,"axG",@progbits,_ZN7rocprim17ROCPRIM_400000_NS6detail17trampoline_kernelINS0_14default_configENS1_25partition_config_selectorILNS1_17partition_subalgoE0EjNS0_10empty_typeEbEEZZNS1_14partition_implILS5_0ELb0ES3_jN6thrust23THRUST_200600_302600_NS6detail15normal_iteratorINSA_10device_ptrIjEEEEPS6_SG_NS0_5tupleIJNSA_16discard_iteratorINSA_11use_defaultEEESK_EEENSH_IJSG_SG_EEES6_PlJ7is_evenIjEEEE10hipError_tPvRmT3_T4_T5_T6_T7_T9_mT8_P12ihipStream_tbDpT10_ENKUlT_T0_E_clISt17integral_constantIbLb1EES19_EEDaS14_S15_EUlS14_E_NS1_11comp_targetILNS1_3genE3ELNS1_11target_archE908ELNS1_3gpuE7ELNS1_3repE0EEENS1_30default_config_static_selectorELNS0_4arch9wavefront6targetE1EEEvT1_,comdat
.Lfunc_end2406:
	.size	_ZN7rocprim17ROCPRIM_400000_NS6detail17trampoline_kernelINS0_14default_configENS1_25partition_config_selectorILNS1_17partition_subalgoE0EjNS0_10empty_typeEbEEZZNS1_14partition_implILS5_0ELb0ES3_jN6thrust23THRUST_200600_302600_NS6detail15normal_iteratorINSA_10device_ptrIjEEEEPS6_SG_NS0_5tupleIJNSA_16discard_iteratorINSA_11use_defaultEEESK_EEENSH_IJSG_SG_EEES6_PlJ7is_evenIjEEEE10hipError_tPvRmT3_T4_T5_T6_T7_T9_mT8_P12ihipStream_tbDpT10_ENKUlT_T0_E_clISt17integral_constantIbLb1EES19_EEDaS14_S15_EUlS14_E_NS1_11comp_targetILNS1_3genE3ELNS1_11target_archE908ELNS1_3gpuE7ELNS1_3repE0EEENS1_30default_config_static_selectorELNS0_4arch9wavefront6targetE1EEEvT1_, .Lfunc_end2406-_ZN7rocprim17ROCPRIM_400000_NS6detail17trampoline_kernelINS0_14default_configENS1_25partition_config_selectorILNS1_17partition_subalgoE0EjNS0_10empty_typeEbEEZZNS1_14partition_implILS5_0ELb0ES3_jN6thrust23THRUST_200600_302600_NS6detail15normal_iteratorINSA_10device_ptrIjEEEEPS6_SG_NS0_5tupleIJNSA_16discard_iteratorINSA_11use_defaultEEESK_EEENSH_IJSG_SG_EEES6_PlJ7is_evenIjEEEE10hipError_tPvRmT3_T4_T5_T6_T7_T9_mT8_P12ihipStream_tbDpT10_ENKUlT_T0_E_clISt17integral_constantIbLb1EES19_EEDaS14_S15_EUlS14_E_NS1_11comp_targetILNS1_3genE3ELNS1_11target_archE908ELNS1_3gpuE7ELNS1_3repE0EEENS1_30default_config_static_selectorELNS0_4arch9wavefront6targetE1EEEvT1_
                                        ; -- End function
	.section	.AMDGPU.csdata,"",@progbits
; Kernel info:
; codeLenInByte = 0
; NumSgprs: 6
; NumVgprs: 0
; NumAgprs: 0
; TotalNumVgprs: 0
; ScratchSize: 0
; MemoryBound: 0
; FloatMode: 240
; IeeeMode: 1
; LDSByteSize: 0 bytes/workgroup (compile time only)
; SGPRBlocks: 0
; VGPRBlocks: 0
; NumSGPRsForWavesPerEU: 6
; NumVGPRsForWavesPerEU: 1
; AccumOffset: 4
; Occupancy: 8
; WaveLimiterHint : 0
; COMPUTE_PGM_RSRC2:SCRATCH_EN: 0
; COMPUTE_PGM_RSRC2:USER_SGPR: 2
; COMPUTE_PGM_RSRC2:TRAP_HANDLER: 0
; COMPUTE_PGM_RSRC2:TGID_X_EN: 1
; COMPUTE_PGM_RSRC2:TGID_Y_EN: 0
; COMPUTE_PGM_RSRC2:TGID_Z_EN: 0
; COMPUTE_PGM_RSRC2:TIDIG_COMP_CNT: 0
; COMPUTE_PGM_RSRC3_GFX90A:ACCUM_OFFSET: 0
; COMPUTE_PGM_RSRC3_GFX90A:TG_SPLIT: 0
	.section	.text._ZN7rocprim17ROCPRIM_400000_NS6detail17trampoline_kernelINS0_14default_configENS1_25partition_config_selectorILNS1_17partition_subalgoE0EjNS0_10empty_typeEbEEZZNS1_14partition_implILS5_0ELb0ES3_jN6thrust23THRUST_200600_302600_NS6detail15normal_iteratorINSA_10device_ptrIjEEEEPS6_SG_NS0_5tupleIJNSA_16discard_iteratorINSA_11use_defaultEEESK_EEENSH_IJSG_SG_EEES6_PlJ7is_evenIjEEEE10hipError_tPvRmT3_T4_T5_T6_T7_T9_mT8_P12ihipStream_tbDpT10_ENKUlT_T0_E_clISt17integral_constantIbLb1EES19_EEDaS14_S15_EUlS14_E_NS1_11comp_targetILNS1_3genE2ELNS1_11target_archE906ELNS1_3gpuE6ELNS1_3repE0EEENS1_30default_config_static_selectorELNS0_4arch9wavefront6targetE1EEEvT1_,"axG",@progbits,_ZN7rocprim17ROCPRIM_400000_NS6detail17trampoline_kernelINS0_14default_configENS1_25partition_config_selectorILNS1_17partition_subalgoE0EjNS0_10empty_typeEbEEZZNS1_14partition_implILS5_0ELb0ES3_jN6thrust23THRUST_200600_302600_NS6detail15normal_iteratorINSA_10device_ptrIjEEEEPS6_SG_NS0_5tupleIJNSA_16discard_iteratorINSA_11use_defaultEEESK_EEENSH_IJSG_SG_EEES6_PlJ7is_evenIjEEEE10hipError_tPvRmT3_T4_T5_T6_T7_T9_mT8_P12ihipStream_tbDpT10_ENKUlT_T0_E_clISt17integral_constantIbLb1EES19_EEDaS14_S15_EUlS14_E_NS1_11comp_targetILNS1_3genE2ELNS1_11target_archE906ELNS1_3gpuE6ELNS1_3repE0EEENS1_30default_config_static_selectorELNS0_4arch9wavefront6targetE1EEEvT1_,comdat
	.protected	_ZN7rocprim17ROCPRIM_400000_NS6detail17trampoline_kernelINS0_14default_configENS1_25partition_config_selectorILNS1_17partition_subalgoE0EjNS0_10empty_typeEbEEZZNS1_14partition_implILS5_0ELb0ES3_jN6thrust23THRUST_200600_302600_NS6detail15normal_iteratorINSA_10device_ptrIjEEEEPS6_SG_NS0_5tupleIJNSA_16discard_iteratorINSA_11use_defaultEEESK_EEENSH_IJSG_SG_EEES6_PlJ7is_evenIjEEEE10hipError_tPvRmT3_T4_T5_T6_T7_T9_mT8_P12ihipStream_tbDpT10_ENKUlT_T0_E_clISt17integral_constantIbLb1EES19_EEDaS14_S15_EUlS14_E_NS1_11comp_targetILNS1_3genE2ELNS1_11target_archE906ELNS1_3gpuE6ELNS1_3repE0EEENS1_30default_config_static_selectorELNS0_4arch9wavefront6targetE1EEEvT1_ ; -- Begin function _ZN7rocprim17ROCPRIM_400000_NS6detail17trampoline_kernelINS0_14default_configENS1_25partition_config_selectorILNS1_17partition_subalgoE0EjNS0_10empty_typeEbEEZZNS1_14partition_implILS5_0ELb0ES3_jN6thrust23THRUST_200600_302600_NS6detail15normal_iteratorINSA_10device_ptrIjEEEEPS6_SG_NS0_5tupleIJNSA_16discard_iteratorINSA_11use_defaultEEESK_EEENSH_IJSG_SG_EEES6_PlJ7is_evenIjEEEE10hipError_tPvRmT3_T4_T5_T6_T7_T9_mT8_P12ihipStream_tbDpT10_ENKUlT_T0_E_clISt17integral_constantIbLb1EES19_EEDaS14_S15_EUlS14_E_NS1_11comp_targetILNS1_3genE2ELNS1_11target_archE906ELNS1_3gpuE6ELNS1_3repE0EEENS1_30default_config_static_selectorELNS0_4arch9wavefront6targetE1EEEvT1_
	.globl	_ZN7rocprim17ROCPRIM_400000_NS6detail17trampoline_kernelINS0_14default_configENS1_25partition_config_selectorILNS1_17partition_subalgoE0EjNS0_10empty_typeEbEEZZNS1_14partition_implILS5_0ELb0ES3_jN6thrust23THRUST_200600_302600_NS6detail15normal_iteratorINSA_10device_ptrIjEEEEPS6_SG_NS0_5tupleIJNSA_16discard_iteratorINSA_11use_defaultEEESK_EEENSH_IJSG_SG_EEES6_PlJ7is_evenIjEEEE10hipError_tPvRmT3_T4_T5_T6_T7_T9_mT8_P12ihipStream_tbDpT10_ENKUlT_T0_E_clISt17integral_constantIbLb1EES19_EEDaS14_S15_EUlS14_E_NS1_11comp_targetILNS1_3genE2ELNS1_11target_archE906ELNS1_3gpuE6ELNS1_3repE0EEENS1_30default_config_static_selectorELNS0_4arch9wavefront6targetE1EEEvT1_
	.p2align	8
	.type	_ZN7rocprim17ROCPRIM_400000_NS6detail17trampoline_kernelINS0_14default_configENS1_25partition_config_selectorILNS1_17partition_subalgoE0EjNS0_10empty_typeEbEEZZNS1_14partition_implILS5_0ELb0ES3_jN6thrust23THRUST_200600_302600_NS6detail15normal_iteratorINSA_10device_ptrIjEEEEPS6_SG_NS0_5tupleIJNSA_16discard_iteratorINSA_11use_defaultEEESK_EEENSH_IJSG_SG_EEES6_PlJ7is_evenIjEEEE10hipError_tPvRmT3_T4_T5_T6_T7_T9_mT8_P12ihipStream_tbDpT10_ENKUlT_T0_E_clISt17integral_constantIbLb1EES19_EEDaS14_S15_EUlS14_E_NS1_11comp_targetILNS1_3genE2ELNS1_11target_archE906ELNS1_3gpuE6ELNS1_3repE0EEENS1_30default_config_static_selectorELNS0_4arch9wavefront6targetE1EEEvT1_,@function
_ZN7rocprim17ROCPRIM_400000_NS6detail17trampoline_kernelINS0_14default_configENS1_25partition_config_selectorILNS1_17partition_subalgoE0EjNS0_10empty_typeEbEEZZNS1_14partition_implILS5_0ELb0ES3_jN6thrust23THRUST_200600_302600_NS6detail15normal_iteratorINSA_10device_ptrIjEEEEPS6_SG_NS0_5tupleIJNSA_16discard_iteratorINSA_11use_defaultEEESK_EEENSH_IJSG_SG_EEES6_PlJ7is_evenIjEEEE10hipError_tPvRmT3_T4_T5_T6_T7_T9_mT8_P12ihipStream_tbDpT10_ENKUlT_T0_E_clISt17integral_constantIbLb1EES19_EEDaS14_S15_EUlS14_E_NS1_11comp_targetILNS1_3genE2ELNS1_11target_archE906ELNS1_3gpuE6ELNS1_3repE0EEENS1_30default_config_static_selectorELNS0_4arch9wavefront6targetE1EEEvT1_: ; @_ZN7rocprim17ROCPRIM_400000_NS6detail17trampoline_kernelINS0_14default_configENS1_25partition_config_selectorILNS1_17partition_subalgoE0EjNS0_10empty_typeEbEEZZNS1_14partition_implILS5_0ELb0ES3_jN6thrust23THRUST_200600_302600_NS6detail15normal_iteratorINSA_10device_ptrIjEEEEPS6_SG_NS0_5tupleIJNSA_16discard_iteratorINSA_11use_defaultEEESK_EEENSH_IJSG_SG_EEES6_PlJ7is_evenIjEEEE10hipError_tPvRmT3_T4_T5_T6_T7_T9_mT8_P12ihipStream_tbDpT10_ENKUlT_T0_E_clISt17integral_constantIbLb1EES19_EEDaS14_S15_EUlS14_E_NS1_11comp_targetILNS1_3genE2ELNS1_11target_archE906ELNS1_3gpuE6ELNS1_3repE0EEENS1_30default_config_static_selectorELNS0_4arch9wavefront6targetE1EEEvT1_
; %bb.0:
	.section	.rodata,"a",@progbits
	.p2align	6, 0x0
	.amdhsa_kernel _ZN7rocprim17ROCPRIM_400000_NS6detail17trampoline_kernelINS0_14default_configENS1_25partition_config_selectorILNS1_17partition_subalgoE0EjNS0_10empty_typeEbEEZZNS1_14partition_implILS5_0ELb0ES3_jN6thrust23THRUST_200600_302600_NS6detail15normal_iteratorINSA_10device_ptrIjEEEEPS6_SG_NS0_5tupleIJNSA_16discard_iteratorINSA_11use_defaultEEESK_EEENSH_IJSG_SG_EEES6_PlJ7is_evenIjEEEE10hipError_tPvRmT3_T4_T5_T6_T7_T9_mT8_P12ihipStream_tbDpT10_ENKUlT_T0_E_clISt17integral_constantIbLb1EES19_EEDaS14_S15_EUlS14_E_NS1_11comp_targetILNS1_3genE2ELNS1_11target_archE906ELNS1_3gpuE6ELNS1_3repE0EEENS1_30default_config_static_selectorELNS0_4arch9wavefront6targetE1EEEvT1_
		.amdhsa_group_segment_fixed_size 0
		.amdhsa_private_segment_fixed_size 0
		.amdhsa_kernarg_size 152
		.amdhsa_user_sgpr_count 2
		.amdhsa_user_sgpr_dispatch_ptr 0
		.amdhsa_user_sgpr_queue_ptr 0
		.amdhsa_user_sgpr_kernarg_segment_ptr 1
		.amdhsa_user_sgpr_dispatch_id 0
		.amdhsa_user_sgpr_kernarg_preload_length 0
		.amdhsa_user_sgpr_kernarg_preload_offset 0
		.amdhsa_user_sgpr_private_segment_size 0
		.amdhsa_uses_dynamic_stack 0
		.amdhsa_enable_private_segment 0
		.amdhsa_system_sgpr_workgroup_id_x 1
		.amdhsa_system_sgpr_workgroup_id_y 0
		.amdhsa_system_sgpr_workgroup_id_z 0
		.amdhsa_system_sgpr_workgroup_info 0
		.amdhsa_system_vgpr_workitem_id 0
		.amdhsa_next_free_vgpr 1
		.amdhsa_next_free_sgpr 0
		.amdhsa_accum_offset 4
		.amdhsa_reserve_vcc 0
		.amdhsa_float_round_mode_32 0
		.amdhsa_float_round_mode_16_64 0
		.amdhsa_float_denorm_mode_32 3
		.amdhsa_float_denorm_mode_16_64 3
		.amdhsa_dx10_clamp 1
		.amdhsa_ieee_mode 1
		.amdhsa_fp16_overflow 0
		.amdhsa_tg_split 0
		.amdhsa_exception_fp_ieee_invalid_op 0
		.amdhsa_exception_fp_denorm_src 0
		.amdhsa_exception_fp_ieee_div_zero 0
		.amdhsa_exception_fp_ieee_overflow 0
		.amdhsa_exception_fp_ieee_underflow 0
		.amdhsa_exception_fp_ieee_inexact 0
		.amdhsa_exception_int_div_zero 0
	.end_amdhsa_kernel
	.section	.text._ZN7rocprim17ROCPRIM_400000_NS6detail17trampoline_kernelINS0_14default_configENS1_25partition_config_selectorILNS1_17partition_subalgoE0EjNS0_10empty_typeEbEEZZNS1_14partition_implILS5_0ELb0ES3_jN6thrust23THRUST_200600_302600_NS6detail15normal_iteratorINSA_10device_ptrIjEEEEPS6_SG_NS0_5tupleIJNSA_16discard_iteratorINSA_11use_defaultEEESK_EEENSH_IJSG_SG_EEES6_PlJ7is_evenIjEEEE10hipError_tPvRmT3_T4_T5_T6_T7_T9_mT8_P12ihipStream_tbDpT10_ENKUlT_T0_E_clISt17integral_constantIbLb1EES19_EEDaS14_S15_EUlS14_E_NS1_11comp_targetILNS1_3genE2ELNS1_11target_archE906ELNS1_3gpuE6ELNS1_3repE0EEENS1_30default_config_static_selectorELNS0_4arch9wavefront6targetE1EEEvT1_,"axG",@progbits,_ZN7rocprim17ROCPRIM_400000_NS6detail17trampoline_kernelINS0_14default_configENS1_25partition_config_selectorILNS1_17partition_subalgoE0EjNS0_10empty_typeEbEEZZNS1_14partition_implILS5_0ELb0ES3_jN6thrust23THRUST_200600_302600_NS6detail15normal_iteratorINSA_10device_ptrIjEEEEPS6_SG_NS0_5tupleIJNSA_16discard_iteratorINSA_11use_defaultEEESK_EEENSH_IJSG_SG_EEES6_PlJ7is_evenIjEEEE10hipError_tPvRmT3_T4_T5_T6_T7_T9_mT8_P12ihipStream_tbDpT10_ENKUlT_T0_E_clISt17integral_constantIbLb1EES19_EEDaS14_S15_EUlS14_E_NS1_11comp_targetILNS1_3genE2ELNS1_11target_archE906ELNS1_3gpuE6ELNS1_3repE0EEENS1_30default_config_static_selectorELNS0_4arch9wavefront6targetE1EEEvT1_,comdat
.Lfunc_end2407:
	.size	_ZN7rocprim17ROCPRIM_400000_NS6detail17trampoline_kernelINS0_14default_configENS1_25partition_config_selectorILNS1_17partition_subalgoE0EjNS0_10empty_typeEbEEZZNS1_14partition_implILS5_0ELb0ES3_jN6thrust23THRUST_200600_302600_NS6detail15normal_iteratorINSA_10device_ptrIjEEEEPS6_SG_NS0_5tupleIJNSA_16discard_iteratorINSA_11use_defaultEEESK_EEENSH_IJSG_SG_EEES6_PlJ7is_evenIjEEEE10hipError_tPvRmT3_T4_T5_T6_T7_T9_mT8_P12ihipStream_tbDpT10_ENKUlT_T0_E_clISt17integral_constantIbLb1EES19_EEDaS14_S15_EUlS14_E_NS1_11comp_targetILNS1_3genE2ELNS1_11target_archE906ELNS1_3gpuE6ELNS1_3repE0EEENS1_30default_config_static_selectorELNS0_4arch9wavefront6targetE1EEEvT1_, .Lfunc_end2407-_ZN7rocprim17ROCPRIM_400000_NS6detail17trampoline_kernelINS0_14default_configENS1_25partition_config_selectorILNS1_17partition_subalgoE0EjNS0_10empty_typeEbEEZZNS1_14partition_implILS5_0ELb0ES3_jN6thrust23THRUST_200600_302600_NS6detail15normal_iteratorINSA_10device_ptrIjEEEEPS6_SG_NS0_5tupleIJNSA_16discard_iteratorINSA_11use_defaultEEESK_EEENSH_IJSG_SG_EEES6_PlJ7is_evenIjEEEE10hipError_tPvRmT3_T4_T5_T6_T7_T9_mT8_P12ihipStream_tbDpT10_ENKUlT_T0_E_clISt17integral_constantIbLb1EES19_EEDaS14_S15_EUlS14_E_NS1_11comp_targetILNS1_3genE2ELNS1_11target_archE906ELNS1_3gpuE6ELNS1_3repE0EEENS1_30default_config_static_selectorELNS0_4arch9wavefront6targetE1EEEvT1_
                                        ; -- End function
	.section	.AMDGPU.csdata,"",@progbits
; Kernel info:
; codeLenInByte = 0
; NumSgprs: 6
; NumVgprs: 0
; NumAgprs: 0
; TotalNumVgprs: 0
; ScratchSize: 0
; MemoryBound: 0
; FloatMode: 240
; IeeeMode: 1
; LDSByteSize: 0 bytes/workgroup (compile time only)
; SGPRBlocks: 0
; VGPRBlocks: 0
; NumSGPRsForWavesPerEU: 6
; NumVGPRsForWavesPerEU: 1
; AccumOffset: 4
; Occupancy: 8
; WaveLimiterHint : 0
; COMPUTE_PGM_RSRC2:SCRATCH_EN: 0
; COMPUTE_PGM_RSRC2:USER_SGPR: 2
; COMPUTE_PGM_RSRC2:TRAP_HANDLER: 0
; COMPUTE_PGM_RSRC2:TGID_X_EN: 1
; COMPUTE_PGM_RSRC2:TGID_Y_EN: 0
; COMPUTE_PGM_RSRC2:TGID_Z_EN: 0
; COMPUTE_PGM_RSRC2:TIDIG_COMP_CNT: 0
; COMPUTE_PGM_RSRC3_GFX90A:ACCUM_OFFSET: 0
; COMPUTE_PGM_RSRC3_GFX90A:TG_SPLIT: 0
	.section	.text._ZN7rocprim17ROCPRIM_400000_NS6detail17trampoline_kernelINS0_14default_configENS1_25partition_config_selectorILNS1_17partition_subalgoE0EjNS0_10empty_typeEbEEZZNS1_14partition_implILS5_0ELb0ES3_jN6thrust23THRUST_200600_302600_NS6detail15normal_iteratorINSA_10device_ptrIjEEEEPS6_SG_NS0_5tupleIJNSA_16discard_iteratorINSA_11use_defaultEEESK_EEENSH_IJSG_SG_EEES6_PlJ7is_evenIjEEEE10hipError_tPvRmT3_T4_T5_T6_T7_T9_mT8_P12ihipStream_tbDpT10_ENKUlT_T0_E_clISt17integral_constantIbLb1EES19_EEDaS14_S15_EUlS14_E_NS1_11comp_targetILNS1_3genE10ELNS1_11target_archE1200ELNS1_3gpuE4ELNS1_3repE0EEENS1_30default_config_static_selectorELNS0_4arch9wavefront6targetE1EEEvT1_,"axG",@progbits,_ZN7rocprim17ROCPRIM_400000_NS6detail17trampoline_kernelINS0_14default_configENS1_25partition_config_selectorILNS1_17partition_subalgoE0EjNS0_10empty_typeEbEEZZNS1_14partition_implILS5_0ELb0ES3_jN6thrust23THRUST_200600_302600_NS6detail15normal_iteratorINSA_10device_ptrIjEEEEPS6_SG_NS0_5tupleIJNSA_16discard_iteratorINSA_11use_defaultEEESK_EEENSH_IJSG_SG_EEES6_PlJ7is_evenIjEEEE10hipError_tPvRmT3_T4_T5_T6_T7_T9_mT8_P12ihipStream_tbDpT10_ENKUlT_T0_E_clISt17integral_constantIbLb1EES19_EEDaS14_S15_EUlS14_E_NS1_11comp_targetILNS1_3genE10ELNS1_11target_archE1200ELNS1_3gpuE4ELNS1_3repE0EEENS1_30default_config_static_selectorELNS0_4arch9wavefront6targetE1EEEvT1_,comdat
	.protected	_ZN7rocprim17ROCPRIM_400000_NS6detail17trampoline_kernelINS0_14default_configENS1_25partition_config_selectorILNS1_17partition_subalgoE0EjNS0_10empty_typeEbEEZZNS1_14partition_implILS5_0ELb0ES3_jN6thrust23THRUST_200600_302600_NS6detail15normal_iteratorINSA_10device_ptrIjEEEEPS6_SG_NS0_5tupleIJNSA_16discard_iteratorINSA_11use_defaultEEESK_EEENSH_IJSG_SG_EEES6_PlJ7is_evenIjEEEE10hipError_tPvRmT3_T4_T5_T6_T7_T9_mT8_P12ihipStream_tbDpT10_ENKUlT_T0_E_clISt17integral_constantIbLb1EES19_EEDaS14_S15_EUlS14_E_NS1_11comp_targetILNS1_3genE10ELNS1_11target_archE1200ELNS1_3gpuE4ELNS1_3repE0EEENS1_30default_config_static_selectorELNS0_4arch9wavefront6targetE1EEEvT1_ ; -- Begin function _ZN7rocprim17ROCPRIM_400000_NS6detail17trampoline_kernelINS0_14default_configENS1_25partition_config_selectorILNS1_17partition_subalgoE0EjNS0_10empty_typeEbEEZZNS1_14partition_implILS5_0ELb0ES3_jN6thrust23THRUST_200600_302600_NS6detail15normal_iteratorINSA_10device_ptrIjEEEEPS6_SG_NS0_5tupleIJNSA_16discard_iteratorINSA_11use_defaultEEESK_EEENSH_IJSG_SG_EEES6_PlJ7is_evenIjEEEE10hipError_tPvRmT3_T4_T5_T6_T7_T9_mT8_P12ihipStream_tbDpT10_ENKUlT_T0_E_clISt17integral_constantIbLb1EES19_EEDaS14_S15_EUlS14_E_NS1_11comp_targetILNS1_3genE10ELNS1_11target_archE1200ELNS1_3gpuE4ELNS1_3repE0EEENS1_30default_config_static_selectorELNS0_4arch9wavefront6targetE1EEEvT1_
	.globl	_ZN7rocprim17ROCPRIM_400000_NS6detail17trampoline_kernelINS0_14default_configENS1_25partition_config_selectorILNS1_17partition_subalgoE0EjNS0_10empty_typeEbEEZZNS1_14partition_implILS5_0ELb0ES3_jN6thrust23THRUST_200600_302600_NS6detail15normal_iteratorINSA_10device_ptrIjEEEEPS6_SG_NS0_5tupleIJNSA_16discard_iteratorINSA_11use_defaultEEESK_EEENSH_IJSG_SG_EEES6_PlJ7is_evenIjEEEE10hipError_tPvRmT3_T4_T5_T6_T7_T9_mT8_P12ihipStream_tbDpT10_ENKUlT_T0_E_clISt17integral_constantIbLb1EES19_EEDaS14_S15_EUlS14_E_NS1_11comp_targetILNS1_3genE10ELNS1_11target_archE1200ELNS1_3gpuE4ELNS1_3repE0EEENS1_30default_config_static_selectorELNS0_4arch9wavefront6targetE1EEEvT1_
	.p2align	8
	.type	_ZN7rocprim17ROCPRIM_400000_NS6detail17trampoline_kernelINS0_14default_configENS1_25partition_config_selectorILNS1_17partition_subalgoE0EjNS0_10empty_typeEbEEZZNS1_14partition_implILS5_0ELb0ES3_jN6thrust23THRUST_200600_302600_NS6detail15normal_iteratorINSA_10device_ptrIjEEEEPS6_SG_NS0_5tupleIJNSA_16discard_iteratorINSA_11use_defaultEEESK_EEENSH_IJSG_SG_EEES6_PlJ7is_evenIjEEEE10hipError_tPvRmT3_T4_T5_T6_T7_T9_mT8_P12ihipStream_tbDpT10_ENKUlT_T0_E_clISt17integral_constantIbLb1EES19_EEDaS14_S15_EUlS14_E_NS1_11comp_targetILNS1_3genE10ELNS1_11target_archE1200ELNS1_3gpuE4ELNS1_3repE0EEENS1_30default_config_static_selectorELNS0_4arch9wavefront6targetE1EEEvT1_,@function
_ZN7rocprim17ROCPRIM_400000_NS6detail17trampoline_kernelINS0_14default_configENS1_25partition_config_selectorILNS1_17partition_subalgoE0EjNS0_10empty_typeEbEEZZNS1_14partition_implILS5_0ELb0ES3_jN6thrust23THRUST_200600_302600_NS6detail15normal_iteratorINSA_10device_ptrIjEEEEPS6_SG_NS0_5tupleIJNSA_16discard_iteratorINSA_11use_defaultEEESK_EEENSH_IJSG_SG_EEES6_PlJ7is_evenIjEEEE10hipError_tPvRmT3_T4_T5_T6_T7_T9_mT8_P12ihipStream_tbDpT10_ENKUlT_T0_E_clISt17integral_constantIbLb1EES19_EEDaS14_S15_EUlS14_E_NS1_11comp_targetILNS1_3genE10ELNS1_11target_archE1200ELNS1_3gpuE4ELNS1_3repE0EEENS1_30default_config_static_selectorELNS0_4arch9wavefront6targetE1EEEvT1_: ; @_ZN7rocprim17ROCPRIM_400000_NS6detail17trampoline_kernelINS0_14default_configENS1_25partition_config_selectorILNS1_17partition_subalgoE0EjNS0_10empty_typeEbEEZZNS1_14partition_implILS5_0ELb0ES3_jN6thrust23THRUST_200600_302600_NS6detail15normal_iteratorINSA_10device_ptrIjEEEEPS6_SG_NS0_5tupleIJNSA_16discard_iteratorINSA_11use_defaultEEESK_EEENSH_IJSG_SG_EEES6_PlJ7is_evenIjEEEE10hipError_tPvRmT3_T4_T5_T6_T7_T9_mT8_P12ihipStream_tbDpT10_ENKUlT_T0_E_clISt17integral_constantIbLb1EES19_EEDaS14_S15_EUlS14_E_NS1_11comp_targetILNS1_3genE10ELNS1_11target_archE1200ELNS1_3gpuE4ELNS1_3repE0EEENS1_30default_config_static_selectorELNS0_4arch9wavefront6targetE1EEEvT1_
; %bb.0:
	.section	.rodata,"a",@progbits
	.p2align	6, 0x0
	.amdhsa_kernel _ZN7rocprim17ROCPRIM_400000_NS6detail17trampoline_kernelINS0_14default_configENS1_25partition_config_selectorILNS1_17partition_subalgoE0EjNS0_10empty_typeEbEEZZNS1_14partition_implILS5_0ELb0ES3_jN6thrust23THRUST_200600_302600_NS6detail15normal_iteratorINSA_10device_ptrIjEEEEPS6_SG_NS0_5tupleIJNSA_16discard_iteratorINSA_11use_defaultEEESK_EEENSH_IJSG_SG_EEES6_PlJ7is_evenIjEEEE10hipError_tPvRmT3_T4_T5_T6_T7_T9_mT8_P12ihipStream_tbDpT10_ENKUlT_T0_E_clISt17integral_constantIbLb1EES19_EEDaS14_S15_EUlS14_E_NS1_11comp_targetILNS1_3genE10ELNS1_11target_archE1200ELNS1_3gpuE4ELNS1_3repE0EEENS1_30default_config_static_selectorELNS0_4arch9wavefront6targetE1EEEvT1_
		.amdhsa_group_segment_fixed_size 0
		.amdhsa_private_segment_fixed_size 0
		.amdhsa_kernarg_size 152
		.amdhsa_user_sgpr_count 2
		.amdhsa_user_sgpr_dispatch_ptr 0
		.amdhsa_user_sgpr_queue_ptr 0
		.amdhsa_user_sgpr_kernarg_segment_ptr 1
		.amdhsa_user_sgpr_dispatch_id 0
		.amdhsa_user_sgpr_kernarg_preload_length 0
		.amdhsa_user_sgpr_kernarg_preload_offset 0
		.amdhsa_user_sgpr_private_segment_size 0
		.amdhsa_uses_dynamic_stack 0
		.amdhsa_enable_private_segment 0
		.amdhsa_system_sgpr_workgroup_id_x 1
		.amdhsa_system_sgpr_workgroup_id_y 0
		.amdhsa_system_sgpr_workgroup_id_z 0
		.amdhsa_system_sgpr_workgroup_info 0
		.amdhsa_system_vgpr_workitem_id 0
		.amdhsa_next_free_vgpr 1
		.amdhsa_next_free_sgpr 0
		.amdhsa_accum_offset 4
		.amdhsa_reserve_vcc 0
		.amdhsa_float_round_mode_32 0
		.amdhsa_float_round_mode_16_64 0
		.amdhsa_float_denorm_mode_32 3
		.amdhsa_float_denorm_mode_16_64 3
		.amdhsa_dx10_clamp 1
		.amdhsa_ieee_mode 1
		.amdhsa_fp16_overflow 0
		.amdhsa_tg_split 0
		.amdhsa_exception_fp_ieee_invalid_op 0
		.amdhsa_exception_fp_denorm_src 0
		.amdhsa_exception_fp_ieee_div_zero 0
		.amdhsa_exception_fp_ieee_overflow 0
		.amdhsa_exception_fp_ieee_underflow 0
		.amdhsa_exception_fp_ieee_inexact 0
		.amdhsa_exception_int_div_zero 0
	.end_amdhsa_kernel
	.section	.text._ZN7rocprim17ROCPRIM_400000_NS6detail17trampoline_kernelINS0_14default_configENS1_25partition_config_selectorILNS1_17partition_subalgoE0EjNS0_10empty_typeEbEEZZNS1_14partition_implILS5_0ELb0ES3_jN6thrust23THRUST_200600_302600_NS6detail15normal_iteratorINSA_10device_ptrIjEEEEPS6_SG_NS0_5tupleIJNSA_16discard_iteratorINSA_11use_defaultEEESK_EEENSH_IJSG_SG_EEES6_PlJ7is_evenIjEEEE10hipError_tPvRmT3_T4_T5_T6_T7_T9_mT8_P12ihipStream_tbDpT10_ENKUlT_T0_E_clISt17integral_constantIbLb1EES19_EEDaS14_S15_EUlS14_E_NS1_11comp_targetILNS1_3genE10ELNS1_11target_archE1200ELNS1_3gpuE4ELNS1_3repE0EEENS1_30default_config_static_selectorELNS0_4arch9wavefront6targetE1EEEvT1_,"axG",@progbits,_ZN7rocprim17ROCPRIM_400000_NS6detail17trampoline_kernelINS0_14default_configENS1_25partition_config_selectorILNS1_17partition_subalgoE0EjNS0_10empty_typeEbEEZZNS1_14partition_implILS5_0ELb0ES3_jN6thrust23THRUST_200600_302600_NS6detail15normal_iteratorINSA_10device_ptrIjEEEEPS6_SG_NS0_5tupleIJNSA_16discard_iteratorINSA_11use_defaultEEESK_EEENSH_IJSG_SG_EEES6_PlJ7is_evenIjEEEE10hipError_tPvRmT3_T4_T5_T6_T7_T9_mT8_P12ihipStream_tbDpT10_ENKUlT_T0_E_clISt17integral_constantIbLb1EES19_EEDaS14_S15_EUlS14_E_NS1_11comp_targetILNS1_3genE10ELNS1_11target_archE1200ELNS1_3gpuE4ELNS1_3repE0EEENS1_30default_config_static_selectorELNS0_4arch9wavefront6targetE1EEEvT1_,comdat
.Lfunc_end2408:
	.size	_ZN7rocprim17ROCPRIM_400000_NS6detail17trampoline_kernelINS0_14default_configENS1_25partition_config_selectorILNS1_17partition_subalgoE0EjNS0_10empty_typeEbEEZZNS1_14partition_implILS5_0ELb0ES3_jN6thrust23THRUST_200600_302600_NS6detail15normal_iteratorINSA_10device_ptrIjEEEEPS6_SG_NS0_5tupleIJNSA_16discard_iteratorINSA_11use_defaultEEESK_EEENSH_IJSG_SG_EEES6_PlJ7is_evenIjEEEE10hipError_tPvRmT3_T4_T5_T6_T7_T9_mT8_P12ihipStream_tbDpT10_ENKUlT_T0_E_clISt17integral_constantIbLb1EES19_EEDaS14_S15_EUlS14_E_NS1_11comp_targetILNS1_3genE10ELNS1_11target_archE1200ELNS1_3gpuE4ELNS1_3repE0EEENS1_30default_config_static_selectorELNS0_4arch9wavefront6targetE1EEEvT1_, .Lfunc_end2408-_ZN7rocprim17ROCPRIM_400000_NS6detail17trampoline_kernelINS0_14default_configENS1_25partition_config_selectorILNS1_17partition_subalgoE0EjNS0_10empty_typeEbEEZZNS1_14partition_implILS5_0ELb0ES3_jN6thrust23THRUST_200600_302600_NS6detail15normal_iteratorINSA_10device_ptrIjEEEEPS6_SG_NS0_5tupleIJNSA_16discard_iteratorINSA_11use_defaultEEESK_EEENSH_IJSG_SG_EEES6_PlJ7is_evenIjEEEE10hipError_tPvRmT3_T4_T5_T6_T7_T9_mT8_P12ihipStream_tbDpT10_ENKUlT_T0_E_clISt17integral_constantIbLb1EES19_EEDaS14_S15_EUlS14_E_NS1_11comp_targetILNS1_3genE10ELNS1_11target_archE1200ELNS1_3gpuE4ELNS1_3repE0EEENS1_30default_config_static_selectorELNS0_4arch9wavefront6targetE1EEEvT1_
                                        ; -- End function
	.section	.AMDGPU.csdata,"",@progbits
; Kernel info:
; codeLenInByte = 0
; NumSgprs: 6
; NumVgprs: 0
; NumAgprs: 0
; TotalNumVgprs: 0
; ScratchSize: 0
; MemoryBound: 0
; FloatMode: 240
; IeeeMode: 1
; LDSByteSize: 0 bytes/workgroup (compile time only)
; SGPRBlocks: 0
; VGPRBlocks: 0
; NumSGPRsForWavesPerEU: 6
; NumVGPRsForWavesPerEU: 1
; AccumOffset: 4
; Occupancy: 8
; WaveLimiterHint : 0
; COMPUTE_PGM_RSRC2:SCRATCH_EN: 0
; COMPUTE_PGM_RSRC2:USER_SGPR: 2
; COMPUTE_PGM_RSRC2:TRAP_HANDLER: 0
; COMPUTE_PGM_RSRC2:TGID_X_EN: 1
; COMPUTE_PGM_RSRC2:TGID_Y_EN: 0
; COMPUTE_PGM_RSRC2:TGID_Z_EN: 0
; COMPUTE_PGM_RSRC2:TIDIG_COMP_CNT: 0
; COMPUTE_PGM_RSRC3_GFX90A:ACCUM_OFFSET: 0
; COMPUTE_PGM_RSRC3_GFX90A:TG_SPLIT: 0
	.section	.text._ZN7rocprim17ROCPRIM_400000_NS6detail17trampoline_kernelINS0_14default_configENS1_25partition_config_selectorILNS1_17partition_subalgoE0EjNS0_10empty_typeEbEEZZNS1_14partition_implILS5_0ELb0ES3_jN6thrust23THRUST_200600_302600_NS6detail15normal_iteratorINSA_10device_ptrIjEEEEPS6_SG_NS0_5tupleIJNSA_16discard_iteratorINSA_11use_defaultEEESK_EEENSH_IJSG_SG_EEES6_PlJ7is_evenIjEEEE10hipError_tPvRmT3_T4_T5_T6_T7_T9_mT8_P12ihipStream_tbDpT10_ENKUlT_T0_E_clISt17integral_constantIbLb1EES19_EEDaS14_S15_EUlS14_E_NS1_11comp_targetILNS1_3genE9ELNS1_11target_archE1100ELNS1_3gpuE3ELNS1_3repE0EEENS1_30default_config_static_selectorELNS0_4arch9wavefront6targetE1EEEvT1_,"axG",@progbits,_ZN7rocprim17ROCPRIM_400000_NS6detail17trampoline_kernelINS0_14default_configENS1_25partition_config_selectorILNS1_17partition_subalgoE0EjNS0_10empty_typeEbEEZZNS1_14partition_implILS5_0ELb0ES3_jN6thrust23THRUST_200600_302600_NS6detail15normal_iteratorINSA_10device_ptrIjEEEEPS6_SG_NS0_5tupleIJNSA_16discard_iteratorINSA_11use_defaultEEESK_EEENSH_IJSG_SG_EEES6_PlJ7is_evenIjEEEE10hipError_tPvRmT3_T4_T5_T6_T7_T9_mT8_P12ihipStream_tbDpT10_ENKUlT_T0_E_clISt17integral_constantIbLb1EES19_EEDaS14_S15_EUlS14_E_NS1_11comp_targetILNS1_3genE9ELNS1_11target_archE1100ELNS1_3gpuE3ELNS1_3repE0EEENS1_30default_config_static_selectorELNS0_4arch9wavefront6targetE1EEEvT1_,comdat
	.protected	_ZN7rocprim17ROCPRIM_400000_NS6detail17trampoline_kernelINS0_14default_configENS1_25partition_config_selectorILNS1_17partition_subalgoE0EjNS0_10empty_typeEbEEZZNS1_14partition_implILS5_0ELb0ES3_jN6thrust23THRUST_200600_302600_NS6detail15normal_iteratorINSA_10device_ptrIjEEEEPS6_SG_NS0_5tupleIJNSA_16discard_iteratorINSA_11use_defaultEEESK_EEENSH_IJSG_SG_EEES6_PlJ7is_evenIjEEEE10hipError_tPvRmT3_T4_T5_T6_T7_T9_mT8_P12ihipStream_tbDpT10_ENKUlT_T0_E_clISt17integral_constantIbLb1EES19_EEDaS14_S15_EUlS14_E_NS1_11comp_targetILNS1_3genE9ELNS1_11target_archE1100ELNS1_3gpuE3ELNS1_3repE0EEENS1_30default_config_static_selectorELNS0_4arch9wavefront6targetE1EEEvT1_ ; -- Begin function _ZN7rocprim17ROCPRIM_400000_NS6detail17trampoline_kernelINS0_14default_configENS1_25partition_config_selectorILNS1_17partition_subalgoE0EjNS0_10empty_typeEbEEZZNS1_14partition_implILS5_0ELb0ES3_jN6thrust23THRUST_200600_302600_NS6detail15normal_iteratorINSA_10device_ptrIjEEEEPS6_SG_NS0_5tupleIJNSA_16discard_iteratorINSA_11use_defaultEEESK_EEENSH_IJSG_SG_EEES6_PlJ7is_evenIjEEEE10hipError_tPvRmT3_T4_T5_T6_T7_T9_mT8_P12ihipStream_tbDpT10_ENKUlT_T0_E_clISt17integral_constantIbLb1EES19_EEDaS14_S15_EUlS14_E_NS1_11comp_targetILNS1_3genE9ELNS1_11target_archE1100ELNS1_3gpuE3ELNS1_3repE0EEENS1_30default_config_static_selectorELNS0_4arch9wavefront6targetE1EEEvT1_
	.globl	_ZN7rocprim17ROCPRIM_400000_NS6detail17trampoline_kernelINS0_14default_configENS1_25partition_config_selectorILNS1_17partition_subalgoE0EjNS0_10empty_typeEbEEZZNS1_14partition_implILS5_0ELb0ES3_jN6thrust23THRUST_200600_302600_NS6detail15normal_iteratorINSA_10device_ptrIjEEEEPS6_SG_NS0_5tupleIJNSA_16discard_iteratorINSA_11use_defaultEEESK_EEENSH_IJSG_SG_EEES6_PlJ7is_evenIjEEEE10hipError_tPvRmT3_T4_T5_T6_T7_T9_mT8_P12ihipStream_tbDpT10_ENKUlT_T0_E_clISt17integral_constantIbLb1EES19_EEDaS14_S15_EUlS14_E_NS1_11comp_targetILNS1_3genE9ELNS1_11target_archE1100ELNS1_3gpuE3ELNS1_3repE0EEENS1_30default_config_static_selectorELNS0_4arch9wavefront6targetE1EEEvT1_
	.p2align	8
	.type	_ZN7rocprim17ROCPRIM_400000_NS6detail17trampoline_kernelINS0_14default_configENS1_25partition_config_selectorILNS1_17partition_subalgoE0EjNS0_10empty_typeEbEEZZNS1_14partition_implILS5_0ELb0ES3_jN6thrust23THRUST_200600_302600_NS6detail15normal_iteratorINSA_10device_ptrIjEEEEPS6_SG_NS0_5tupleIJNSA_16discard_iteratorINSA_11use_defaultEEESK_EEENSH_IJSG_SG_EEES6_PlJ7is_evenIjEEEE10hipError_tPvRmT3_T4_T5_T6_T7_T9_mT8_P12ihipStream_tbDpT10_ENKUlT_T0_E_clISt17integral_constantIbLb1EES19_EEDaS14_S15_EUlS14_E_NS1_11comp_targetILNS1_3genE9ELNS1_11target_archE1100ELNS1_3gpuE3ELNS1_3repE0EEENS1_30default_config_static_selectorELNS0_4arch9wavefront6targetE1EEEvT1_,@function
_ZN7rocprim17ROCPRIM_400000_NS6detail17trampoline_kernelINS0_14default_configENS1_25partition_config_selectorILNS1_17partition_subalgoE0EjNS0_10empty_typeEbEEZZNS1_14partition_implILS5_0ELb0ES3_jN6thrust23THRUST_200600_302600_NS6detail15normal_iteratorINSA_10device_ptrIjEEEEPS6_SG_NS0_5tupleIJNSA_16discard_iteratorINSA_11use_defaultEEESK_EEENSH_IJSG_SG_EEES6_PlJ7is_evenIjEEEE10hipError_tPvRmT3_T4_T5_T6_T7_T9_mT8_P12ihipStream_tbDpT10_ENKUlT_T0_E_clISt17integral_constantIbLb1EES19_EEDaS14_S15_EUlS14_E_NS1_11comp_targetILNS1_3genE9ELNS1_11target_archE1100ELNS1_3gpuE3ELNS1_3repE0EEENS1_30default_config_static_selectorELNS0_4arch9wavefront6targetE1EEEvT1_: ; @_ZN7rocprim17ROCPRIM_400000_NS6detail17trampoline_kernelINS0_14default_configENS1_25partition_config_selectorILNS1_17partition_subalgoE0EjNS0_10empty_typeEbEEZZNS1_14partition_implILS5_0ELb0ES3_jN6thrust23THRUST_200600_302600_NS6detail15normal_iteratorINSA_10device_ptrIjEEEEPS6_SG_NS0_5tupleIJNSA_16discard_iteratorINSA_11use_defaultEEESK_EEENSH_IJSG_SG_EEES6_PlJ7is_evenIjEEEE10hipError_tPvRmT3_T4_T5_T6_T7_T9_mT8_P12ihipStream_tbDpT10_ENKUlT_T0_E_clISt17integral_constantIbLb1EES19_EEDaS14_S15_EUlS14_E_NS1_11comp_targetILNS1_3genE9ELNS1_11target_archE1100ELNS1_3gpuE3ELNS1_3repE0EEENS1_30default_config_static_selectorELNS0_4arch9wavefront6targetE1EEEvT1_
; %bb.0:
	.section	.rodata,"a",@progbits
	.p2align	6, 0x0
	.amdhsa_kernel _ZN7rocprim17ROCPRIM_400000_NS6detail17trampoline_kernelINS0_14default_configENS1_25partition_config_selectorILNS1_17partition_subalgoE0EjNS0_10empty_typeEbEEZZNS1_14partition_implILS5_0ELb0ES3_jN6thrust23THRUST_200600_302600_NS6detail15normal_iteratorINSA_10device_ptrIjEEEEPS6_SG_NS0_5tupleIJNSA_16discard_iteratorINSA_11use_defaultEEESK_EEENSH_IJSG_SG_EEES6_PlJ7is_evenIjEEEE10hipError_tPvRmT3_T4_T5_T6_T7_T9_mT8_P12ihipStream_tbDpT10_ENKUlT_T0_E_clISt17integral_constantIbLb1EES19_EEDaS14_S15_EUlS14_E_NS1_11comp_targetILNS1_3genE9ELNS1_11target_archE1100ELNS1_3gpuE3ELNS1_3repE0EEENS1_30default_config_static_selectorELNS0_4arch9wavefront6targetE1EEEvT1_
		.amdhsa_group_segment_fixed_size 0
		.amdhsa_private_segment_fixed_size 0
		.amdhsa_kernarg_size 152
		.amdhsa_user_sgpr_count 2
		.amdhsa_user_sgpr_dispatch_ptr 0
		.amdhsa_user_sgpr_queue_ptr 0
		.amdhsa_user_sgpr_kernarg_segment_ptr 1
		.amdhsa_user_sgpr_dispatch_id 0
		.amdhsa_user_sgpr_kernarg_preload_length 0
		.amdhsa_user_sgpr_kernarg_preload_offset 0
		.amdhsa_user_sgpr_private_segment_size 0
		.amdhsa_uses_dynamic_stack 0
		.amdhsa_enable_private_segment 0
		.amdhsa_system_sgpr_workgroup_id_x 1
		.amdhsa_system_sgpr_workgroup_id_y 0
		.amdhsa_system_sgpr_workgroup_id_z 0
		.amdhsa_system_sgpr_workgroup_info 0
		.amdhsa_system_vgpr_workitem_id 0
		.amdhsa_next_free_vgpr 1
		.amdhsa_next_free_sgpr 0
		.amdhsa_accum_offset 4
		.amdhsa_reserve_vcc 0
		.amdhsa_float_round_mode_32 0
		.amdhsa_float_round_mode_16_64 0
		.amdhsa_float_denorm_mode_32 3
		.amdhsa_float_denorm_mode_16_64 3
		.amdhsa_dx10_clamp 1
		.amdhsa_ieee_mode 1
		.amdhsa_fp16_overflow 0
		.amdhsa_tg_split 0
		.amdhsa_exception_fp_ieee_invalid_op 0
		.amdhsa_exception_fp_denorm_src 0
		.amdhsa_exception_fp_ieee_div_zero 0
		.amdhsa_exception_fp_ieee_overflow 0
		.amdhsa_exception_fp_ieee_underflow 0
		.amdhsa_exception_fp_ieee_inexact 0
		.amdhsa_exception_int_div_zero 0
	.end_amdhsa_kernel
	.section	.text._ZN7rocprim17ROCPRIM_400000_NS6detail17trampoline_kernelINS0_14default_configENS1_25partition_config_selectorILNS1_17partition_subalgoE0EjNS0_10empty_typeEbEEZZNS1_14partition_implILS5_0ELb0ES3_jN6thrust23THRUST_200600_302600_NS6detail15normal_iteratorINSA_10device_ptrIjEEEEPS6_SG_NS0_5tupleIJNSA_16discard_iteratorINSA_11use_defaultEEESK_EEENSH_IJSG_SG_EEES6_PlJ7is_evenIjEEEE10hipError_tPvRmT3_T4_T5_T6_T7_T9_mT8_P12ihipStream_tbDpT10_ENKUlT_T0_E_clISt17integral_constantIbLb1EES19_EEDaS14_S15_EUlS14_E_NS1_11comp_targetILNS1_3genE9ELNS1_11target_archE1100ELNS1_3gpuE3ELNS1_3repE0EEENS1_30default_config_static_selectorELNS0_4arch9wavefront6targetE1EEEvT1_,"axG",@progbits,_ZN7rocprim17ROCPRIM_400000_NS6detail17trampoline_kernelINS0_14default_configENS1_25partition_config_selectorILNS1_17partition_subalgoE0EjNS0_10empty_typeEbEEZZNS1_14partition_implILS5_0ELb0ES3_jN6thrust23THRUST_200600_302600_NS6detail15normal_iteratorINSA_10device_ptrIjEEEEPS6_SG_NS0_5tupleIJNSA_16discard_iteratorINSA_11use_defaultEEESK_EEENSH_IJSG_SG_EEES6_PlJ7is_evenIjEEEE10hipError_tPvRmT3_T4_T5_T6_T7_T9_mT8_P12ihipStream_tbDpT10_ENKUlT_T0_E_clISt17integral_constantIbLb1EES19_EEDaS14_S15_EUlS14_E_NS1_11comp_targetILNS1_3genE9ELNS1_11target_archE1100ELNS1_3gpuE3ELNS1_3repE0EEENS1_30default_config_static_selectorELNS0_4arch9wavefront6targetE1EEEvT1_,comdat
.Lfunc_end2409:
	.size	_ZN7rocprim17ROCPRIM_400000_NS6detail17trampoline_kernelINS0_14default_configENS1_25partition_config_selectorILNS1_17partition_subalgoE0EjNS0_10empty_typeEbEEZZNS1_14partition_implILS5_0ELb0ES3_jN6thrust23THRUST_200600_302600_NS6detail15normal_iteratorINSA_10device_ptrIjEEEEPS6_SG_NS0_5tupleIJNSA_16discard_iteratorINSA_11use_defaultEEESK_EEENSH_IJSG_SG_EEES6_PlJ7is_evenIjEEEE10hipError_tPvRmT3_T4_T5_T6_T7_T9_mT8_P12ihipStream_tbDpT10_ENKUlT_T0_E_clISt17integral_constantIbLb1EES19_EEDaS14_S15_EUlS14_E_NS1_11comp_targetILNS1_3genE9ELNS1_11target_archE1100ELNS1_3gpuE3ELNS1_3repE0EEENS1_30default_config_static_selectorELNS0_4arch9wavefront6targetE1EEEvT1_, .Lfunc_end2409-_ZN7rocprim17ROCPRIM_400000_NS6detail17trampoline_kernelINS0_14default_configENS1_25partition_config_selectorILNS1_17partition_subalgoE0EjNS0_10empty_typeEbEEZZNS1_14partition_implILS5_0ELb0ES3_jN6thrust23THRUST_200600_302600_NS6detail15normal_iteratorINSA_10device_ptrIjEEEEPS6_SG_NS0_5tupleIJNSA_16discard_iteratorINSA_11use_defaultEEESK_EEENSH_IJSG_SG_EEES6_PlJ7is_evenIjEEEE10hipError_tPvRmT3_T4_T5_T6_T7_T9_mT8_P12ihipStream_tbDpT10_ENKUlT_T0_E_clISt17integral_constantIbLb1EES19_EEDaS14_S15_EUlS14_E_NS1_11comp_targetILNS1_3genE9ELNS1_11target_archE1100ELNS1_3gpuE3ELNS1_3repE0EEENS1_30default_config_static_selectorELNS0_4arch9wavefront6targetE1EEEvT1_
                                        ; -- End function
	.section	.AMDGPU.csdata,"",@progbits
; Kernel info:
; codeLenInByte = 0
; NumSgprs: 6
; NumVgprs: 0
; NumAgprs: 0
; TotalNumVgprs: 0
; ScratchSize: 0
; MemoryBound: 0
; FloatMode: 240
; IeeeMode: 1
; LDSByteSize: 0 bytes/workgroup (compile time only)
; SGPRBlocks: 0
; VGPRBlocks: 0
; NumSGPRsForWavesPerEU: 6
; NumVGPRsForWavesPerEU: 1
; AccumOffset: 4
; Occupancy: 8
; WaveLimiterHint : 0
; COMPUTE_PGM_RSRC2:SCRATCH_EN: 0
; COMPUTE_PGM_RSRC2:USER_SGPR: 2
; COMPUTE_PGM_RSRC2:TRAP_HANDLER: 0
; COMPUTE_PGM_RSRC2:TGID_X_EN: 1
; COMPUTE_PGM_RSRC2:TGID_Y_EN: 0
; COMPUTE_PGM_RSRC2:TGID_Z_EN: 0
; COMPUTE_PGM_RSRC2:TIDIG_COMP_CNT: 0
; COMPUTE_PGM_RSRC3_GFX90A:ACCUM_OFFSET: 0
; COMPUTE_PGM_RSRC3_GFX90A:TG_SPLIT: 0
	.section	.text._ZN7rocprim17ROCPRIM_400000_NS6detail17trampoline_kernelINS0_14default_configENS1_25partition_config_selectorILNS1_17partition_subalgoE0EjNS0_10empty_typeEbEEZZNS1_14partition_implILS5_0ELb0ES3_jN6thrust23THRUST_200600_302600_NS6detail15normal_iteratorINSA_10device_ptrIjEEEEPS6_SG_NS0_5tupleIJNSA_16discard_iteratorINSA_11use_defaultEEESK_EEENSH_IJSG_SG_EEES6_PlJ7is_evenIjEEEE10hipError_tPvRmT3_T4_T5_T6_T7_T9_mT8_P12ihipStream_tbDpT10_ENKUlT_T0_E_clISt17integral_constantIbLb1EES19_EEDaS14_S15_EUlS14_E_NS1_11comp_targetILNS1_3genE8ELNS1_11target_archE1030ELNS1_3gpuE2ELNS1_3repE0EEENS1_30default_config_static_selectorELNS0_4arch9wavefront6targetE1EEEvT1_,"axG",@progbits,_ZN7rocprim17ROCPRIM_400000_NS6detail17trampoline_kernelINS0_14default_configENS1_25partition_config_selectorILNS1_17partition_subalgoE0EjNS0_10empty_typeEbEEZZNS1_14partition_implILS5_0ELb0ES3_jN6thrust23THRUST_200600_302600_NS6detail15normal_iteratorINSA_10device_ptrIjEEEEPS6_SG_NS0_5tupleIJNSA_16discard_iteratorINSA_11use_defaultEEESK_EEENSH_IJSG_SG_EEES6_PlJ7is_evenIjEEEE10hipError_tPvRmT3_T4_T5_T6_T7_T9_mT8_P12ihipStream_tbDpT10_ENKUlT_T0_E_clISt17integral_constantIbLb1EES19_EEDaS14_S15_EUlS14_E_NS1_11comp_targetILNS1_3genE8ELNS1_11target_archE1030ELNS1_3gpuE2ELNS1_3repE0EEENS1_30default_config_static_selectorELNS0_4arch9wavefront6targetE1EEEvT1_,comdat
	.protected	_ZN7rocprim17ROCPRIM_400000_NS6detail17trampoline_kernelINS0_14default_configENS1_25partition_config_selectorILNS1_17partition_subalgoE0EjNS0_10empty_typeEbEEZZNS1_14partition_implILS5_0ELb0ES3_jN6thrust23THRUST_200600_302600_NS6detail15normal_iteratorINSA_10device_ptrIjEEEEPS6_SG_NS0_5tupleIJNSA_16discard_iteratorINSA_11use_defaultEEESK_EEENSH_IJSG_SG_EEES6_PlJ7is_evenIjEEEE10hipError_tPvRmT3_T4_T5_T6_T7_T9_mT8_P12ihipStream_tbDpT10_ENKUlT_T0_E_clISt17integral_constantIbLb1EES19_EEDaS14_S15_EUlS14_E_NS1_11comp_targetILNS1_3genE8ELNS1_11target_archE1030ELNS1_3gpuE2ELNS1_3repE0EEENS1_30default_config_static_selectorELNS0_4arch9wavefront6targetE1EEEvT1_ ; -- Begin function _ZN7rocprim17ROCPRIM_400000_NS6detail17trampoline_kernelINS0_14default_configENS1_25partition_config_selectorILNS1_17partition_subalgoE0EjNS0_10empty_typeEbEEZZNS1_14partition_implILS5_0ELb0ES3_jN6thrust23THRUST_200600_302600_NS6detail15normal_iteratorINSA_10device_ptrIjEEEEPS6_SG_NS0_5tupleIJNSA_16discard_iteratorINSA_11use_defaultEEESK_EEENSH_IJSG_SG_EEES6_PlJ7is_evenIjEEEE10hipError_tPvRmT3_T4_T5_T6_T7_T9_mT8_P12ihipStream_tbDpT10_ENKUlT_T0_E_clISt17integral_constantIbLb1EES19_EEDaS14_S15_EUlS14_E_NS1_11comp_targetILNS1_3genE8ELNS1_11target_archE1030ELNS1_3gpuE2ELNS1_3repE0EEENS1_30default_config_static_selectorELNS0_4arch9wavefront6targetE1EEEvT1_
	.globl	_ZN7rocprim17ROCPRIM_400000_NS6detail17trampoline_kernelINS0_14default_configENS1_25partition_config_selectorILNS1_17partition_subalgoE0EjNS0_10empty_typeEbEEZZNS1_14partition_implILS5_0ELb0ES3_jN6thrust23THRUST_200600_302600_NS6detail15normal_iteratorINSA_10device_ptrIjEEEEPS6_SG_NS0_5tupleIJNSA_16discard_iteratorINSA_11use_defaultEEESK_EEENSH_IJSG_SG_EEES6_PlJ7is_evenIjEEEE10hipError_tPvRmT3_T4_T5_T6_T7_T9_mT8_P12ihipStream_tbDpT10_ENKUlT_T0_E_clISt17integral_constantIbLb1EES19_EEDaS14_S15_EUlS14_E_NS1_11comp_targetILNS1_3genE8ELNS1_11target_archE1030ELNS1_3gpuE2ELNS1_3repE0EEENS1_30default_config_static_selectorELNS0_4arch9wavefront6targetE1EEEvT1_
	.p2align	8
	.type	_ZN7rocprim17ROCPRIM_400000_NS6detail17trampoline_kernelINS0_14default_configENS1_25partition_config_selectorILNS1_17partition_subalgoE0EjNS0_10empty_typeEbEEZZNS1_14partition_implILS5_0ELb0ES3_jN6thrust23THRUST_200600_302600_NS6detail15normal_iteratorINSA_10device_ptrIjEEEEPS6_SG_NS0_5tupleIJNSA_16discard_iteratorINSA_11use_defaultEEESK_EEENSH_IJSG_SG_EEES6_PlJ7is_evenIjEEEE10hipError_tPvRmT3_T4_T5_T6_T7_T9_mT8_P12ihipStream_tbDpT10_ENKUlT_T0_E_clISt17integral_constantIbLb1EES19_EEDaS14_S15_EUlS14_E_NS1_11comp_targetILNS1_3genE8ELNS1_11target_archE1030ELNS1_3gpuE2ELNS1_3repE0EEENS1_30default_config_static_selectorELNS0_4arch9wavefront6targetE1EEEvT1_,@function
_ZN7rocprim17ROCPRIM_400000_NS6detail17trampoline_kernelINS0_14default_configENS1_25partition_config_selectorILNS1_17partition_subalgoE0EjNS0_10empty_typeEbEEZZNS1_14partition_implILS5_0ELb0ES3_jN6thrust23THRUST_200600_302600_NS6detail15normal_iteratorINSA_10device_ptrIjEEEEPS6_SG_NS0_5tupleIJNSA_16discard_iteratorINSA_11use_defaultEEESK_EEENSH_IJSG_SG_EEES6_PlJ7is_evenIjEEEE10hipError_tPvRmT3_T4_T5_T6_T7_T9_mT8_P12ihipStream_tbDpT10_ENKUlT_T0_E_clISt17integral_constantIbLb1EES19_EEDaS14_S15_EUlS14_E_NS1_11comp_targetILNS1_3genE8ELNS1_11target_archE1030ELNS1_3gpuE2ELNS1_3repE0EEENS1_30default_config_static_selectorELNS0_4arch9wavefront6targetE1EEEvT1_: ; @_ZN7rocprim17ROCPRIM_400000_NS6detail17trampoline_kernelINS0_14default_configENS1_25partition_config_selectorILNS1_17partition_subalgoE0EjNS0_10empty_typeEbEEZZNS1_14partition_implILS5_0ELb0ES3_jN6thrust23THRUST_200600_302600_NS6detail15normal_iteratorINSA_10device_ptrIjEEEEPS6_SG_NS0_5tupleIJNSA_16discard_iteratorINSA_11use_defaultEEESK_EEENSH_IJSG_SG_EEES6_PlJ7is_evenIjEEEE10hipError_tPvRmT3_T4_T5_T6_T7_T9_mT8_P12ihipStream_tbDpT10_ENKUlT_T0_E_clISt17integral_constantIbLb1EES19_EEDaS14_S15_EUlS14_E_NS1_11comp_targetILNS1_3genE8ELNS1_11target_archE1030ELNS1_3gpuE2ELNS1_3repE0EEENS1_30default_config_static_selectorELNS0_4arch9wavefront6targetE1EEEvT1_
; %bb.0:
	.section	.rodata,"a",@progbits
	.p2align	6, 0x0
	.amdhsa_kernel _ZN7rocprim17ROCPRIM_400000_NS6detail17trampoline_kernelINS0_14default_configENS1_25partition_config_selectorILNS1_17partition_subalgoE0EjNS0_10empty_typeEbEEZZNS1_14partition_implILS5_0ELb0ES3_jN6thrust23THRUST_200600_302600_NS6detail15normal_iteratorINSA_10device_ptrIjEEEEPS6_SG_NS0_5tupleIJNSA_16discard_iteratorINSA_11use_defaultEEESK_EEENSH_IJSG_SG_EEES6_PlJ7is_evenIjEEEE10hipError_tPvRmT3_T4_T5_T6_T7_T9_mT8_P12ihipStream_tbDpT10_ENKUlT_T0_E_clISt17integral_constantIbLb1EES19_EEDaS14_S15_EUlS14_E_NS1_11comp_targetILNS1_3genE8ELNS1_11target_archE1030ELNS1_3gpuE2ELNS1_3repE0EEENS1_30default_config_static_selectorELNS0_4arch9wavefront6targetE1EEEvT1_
		.amdhsa_group_segment_fixed_size 0
		.amdhsa_private_segment_fixed_size 0
		.amdhsa_kernarg_size 152
		.amdhsa_user_sgpr_count 2
		.amdhsa_user_sgpr_dispatch_ptr 0
		.amdhsa_user_sgpr_queue_ptr 0
		.amdhsa_user_sgpr_kernarg_segment_ptr 1
		.amdhsa_user_sgpr_dispatch_id 0
		.amdhsa_user_sgpr_kernarg_preload_length 0
		.amdhsa_user_sgpr_kernarg_preload_offset 0
		.amdhsa_user_sgpr_private_segment_size 0
		.amdhsa_uses_dynamic_stack 0
		.amdhsa_enable_private_segment 0
		.amdhsa_system_sgpr_workgroup_id_x 1
		.amdhsa_system_sgpr_workgroup_id_y 0
		.amdhsa_system_sgpr_workgroup_id_z 0
		.amdhsa_system_sgpr_workgroup_info 0
		.amdhsa_system_vgpr_workitem_id 0
		.amdhsa_next_free_vgpr 1
		.amdhsa_next_free_sgpr 0
		.amdhsa_accum_offset 4
		.amdhsa_reserve_vcc 0
		.amdhsa_float_round_mode_32 0
		.amdhsa_float_round_mode_16_64 0
		.amdhsa_float_denorm_mode_32 3
		.amdhsa_float_denorm_mode_16_64 3
		.amdhsa_dx10_clamp 1
		.amdhsa_ieee_mode 1
		.amdhsa_fp16_overflow 0
		.amdhsa_tg_split 0
		.amdhsa_exception_fp_ieee_invalid_op 0
		.amdhsa_exception_fp_denorm_src 0
		.amdhsa_exception_fp_ieee_div_zero 0
		.amdhsa_exception_fp_ieee_overflow 0
		.amdhsa_exception_fp_ieee_underflow 0
		.amdhsa_exception_fp_ieee_inexact 0
		.amdhsa_exception_int_div_zero 0
	.end_amdhsa_kernel
	.section	.text._ZN7rocprim17ROCPRIM_400000_NS6detail17trampoline_kernelINS0_14default_configENS1_25partition_config_selectorILNS1_17partition_subalgoE0EjNS0_10empty_typeEbEEZZNS1_14partition_implILS5_0ELb0ES3_jN6thrust23THRUST_200600_302600_NS6detail15normal_iteratorINSA_10device_ptrIjEEEEPS6_SG_NS0_5tupleIJNSA_16discard_iteratorINSA_11use_defaultEEESK_EEENSH_IJSG_SG_EEES6_PlJ7is_evenIjEEEE10hipError_tPvRmT3_T4_T5_T6_T7_T9_mT8_P12ihipStream_tbDpT10_ENKUlT_T0_E_clISt17integral_constantIbLb1EES19_EEDaS14_S15_EUlS14_E_NS1_11comp_targetILNS1_3genE8ELNS1_11target_archE1030ELNS1_3gpuE2ELNS1_3repE0EEENS1_30default_config_static_selectorELNS0_4arch9wavefront6targetE1EEEvT1_,"axG",@progbits,_ZN7rocprim17ROCPRIM_400000_NS6detail17trampoline_kernelINS0_14default_configENS1_25partition_config_selectorILNS1_17partition_subalgoE0EjNS0_10empty_typeEbEEZZNS1_14partition_implILS5_0ELb0ES3_jN6thrust23THRUST_200600_302600_NS6detail15normal_iteratorINSA_10device_ptrIjEEEEPS6_SG_NS0_5tupleIJNSA_16discard_iteratorINSA_11use_defaultEEESK_EEENSH_IJSG_SG_EEES6_PlJ7is_evenIjEEEE10hipError_tPvRmT3_T4_T5_T6_T7_T9_mT8_P12ihipStream_tbDpT10_ENKUlT_T0_E_clISt17integral_constantIbLb1EES19_EEDaS14_S15_EUlS14_E_NS1_11comp_targetILNS1_3genE8ELNS1_11target_archE1030ELNS1_3gpuE2ELNS1_3repE0EEENS1_30default_config_static_selectorELNS0_4arch9wavefront6targetE1EEEvT1_,comdat
.Lfunc_end2410:
	.size	_ZN7rocprim17ROCPRIM_400000_NS6detail17trampoline_kernelINS0_14default_configENS1_25partition_config_selectorILNS1_17partition_subalgoE0EjNS0_10empty_typeEbEEZZNS1_14partition_implILS5_0ELb0ES3_jN6thrust23THRUST_200600_302600_NS6detail15normal_iteratorINSA_10device_ptrIjEEEEPS6_SG_NS0_5tupleIJNSA_16discard_iteratorINSA_11use_defaultEEESK_EEENSH_IJSG_SG_EEES6_PlJ7is_evenIjEEEE10hipError_tPvRmT3_T4_T5_T6_T7_T9_mT8_P12ihipStream_tbDpT10_ENKUlT_T0_E_clISt17integral_constantIbLb1EES19_EEDaS14_S15_EUlS14_E_NS1_11comp_targetILNS1_3genE8ELNS1_11target_archE1030ELNS1_3gpuE2ELNS1_3repE0EEENS1_30default_config_static_selectorELNS0_4arch9wavefront6targetE1EEEvT1_, .Lfunc_end2410-_ZN7rocprim17ROCPRIM_400000_NS6detail17trampoline_kernelINS0_14default_configENS1_25partition_config_selectorILNS1_17partition_subalgoE0EjNS0_10empty_typeEbEEZZNS1_14partition_implILS5_0ELb0ES3_jN6thrust23THRUST_200600_302600_NS6detail15normal_iteratorINSA_10device_ptrIjEEEEPS6_SG_NS0_5tupleIJNSA_16discard_iteratorINSA_11use_defaultEEESK_EEENSH_IJSG_SG_EEES6_PlJ7is_evenIjEEEE10hipError_tPvRmT3_T4_T5_T6_T7_T9_mT8_P12ihipStream_tbDpT10_ENKUlT_T0_E_clISt17integral_constantIbLb1EES19_EEDaS14_S15_EUlS14_E_NS1_11comp_targetILNS1_3genE8ELNS1_11target_archE1030ELNS1_3gpuE2ELNS1_3repE0EEENS1_30default_config_static_selectorELNS0_4arch9wavefront6targetE1EEEvT1_
                                        ; -- End function
	.section	.AMDGPU.csdata,"",@progbits
; Kernel info:
; codeLenInByte = 0
; NumSgprs: 6
; NumVgprs: 0
; NumAgprs: 0
; TotalNumVgprs: 0
; ScratchSize: 0
; MemoryBound: 0
; FloatMode: 240
; IeeeMode: 1
; LDSByteSize: 0 bytes/workgroup (compile time only)
; SGPRBlocks: 0
; VGPRBlocks: 0
; NumSGPRsForWavesPerEU: 6
; NumVGPRsForWavesPerEU: 1
; AccumOffset: 4
; Occupancy: 8
; WaveLimiterHint : 0
; COMPUTE_PGM_RSRC2:SCRATCH_EN: 0
; COMPUTE_PGM_RSRC2:USER_SGPR: 2
; COMPUTE_PGM_RSRC2:TRAP_HANDLER: 0
; COMPUTE_PGM_RSRC2:TGID_X_EN: 1
; COMPUTE_PGM_RSRC2:TGID_Y_EN: 0
; COMPUTE_PGM_RSRC2:TGID_Z_EN: 0
; COMPUTE_PGM_RSRC2:TIDIG_COMP_CNT: 0
; COMPUTE_PGM_RSRC3_GFX90A:ACCUM_OFFSET: 0
; COMPUTE_PGM_RSRC3_GFX90A:TG_SPLIT: 0
	.section	.text._ZN7rocprim17ROCPRIM_400000_NS6detail17trampoline_kernelINS0_14default_configENS1_25partition_config_selectorILNS1_17partition_subalgoE0EjNS0_10empty_typeEbEEZZNS1_14partition_implILS5_0ELb0ES3_jN6thrust23THRUST_200600_302600_NS6detail15normal_iteratorINSA_10device_ptrIjEEEEPS6_SG_NS0_5tupleIJNSA_16discard_iteratorINSA_11use_defaultEEESK_EEENSH_IJSG_SG_EEES6_PlJ7is_evenIjEEEE10hipError_tPvRmT3_T4_T5_T6_T7_T9_mT8_P12ihipStream_tbDpT10_ENKUlT_T0_E_clISt17integral_constantIbLb1EES18_IbLb0EEEEDaS14_S15_EUlS14_E_NS1_11comp_targetILNS1_3genE0ELNS1_11target_archE4294967295ELNS1_3gpuE0ELNS1_3repE0EEENS1_30default_config_static_selectorELNS0_4arch9wavefront6targetE1EEEvT1_,"axG",@progbits,_ZN7rocprim17ROCPRIM_400000_NS6detail17trampoline_kernelINS0_14default_configENS1_25partition_config_selectorILNS1_17partition_subalgoE0EjNS0_10empty_typeEbEEZZNS1_14partition_implILS5_0ELb0ES3_jN6thrust23THRUST_200600_302600_NS6detail15normal_iteratorINSA_10device_ptrIjEEEEPS6_SG_NS0_5tupleIJNSA_16discard_iteratorINSA_11use_defaultEEESK_EEENSH_IJSG_SG_EEES6_PlJ7is_evenIjEEEE10hipError_tPvRmT3_T4_T5_T6_T7_T9_mT8_P12ihipStream_tbDpT10_ENKUlT_T0_E_clISt17integral_constantIbLb1EES18_IbLb0EEEEDaS14_S15_EUlS14_E_NS1_11comp_targetILNS1_3genE0ELNS1_11target_archE4294967295ELNS1_3gpuE0ELNS1_3repE0EEENS1_30default_config_static_selectorELNS0_4arch9wavefront6targetE1EEEvT1_,comdat
	.protected	_ZN7rocprim17ROCPRIM_400000_NS6detail17trampoline_kernelINS0_14default_configENS1_25partition_config_selectorILNS1_17partition_subalgoE0EjNS0_10empty_typeEbEEZZNS1_14partition_implILS5_0ELb0ES3_jN6thrust23THRUST_200600_302600_NS6detail15normal_iteratorINSA_10device_ptrIjEEEEPS6_SG_NS0_5tupleIJNSA_16discard_iteratorINSA_11use_defaultEEESK_EEENSH_IJSG_SG_EEES6_PlJ7is_evenIjEEEE10hipError_tPvRmT3_T4_T5_T6_T7_T9_mT8_P12ihipStream_tbDpT10_ENKUlT_T0_E_clISt17integral_constantIbLb1EES18_IbLb0EEEEDaS14_S15_EUlS14_E_NS1_11comp_targetILNS1_3genE0ELNS1_11target_archE4294967295ELNS1_3gpuE0ELNS1_3repE0EEENS1_30default_config_static_selectorELNS0_4arch9wavefront6targetE1EEEvT1_ ; -- Begin function _ZN7rocprim17ROCPRIM_400000_NS6detail17trampoline_kernelINS0_14default_configENS1_25partition_config_selectorILNS1_17partition_subalgoE0EjNS0_10empty_typeEbEEZZNS1_14partition_implILS5_0ELb0ES3_jN6thrust23THRUST_200600_302600_NS6detail15normal_iteratorINSA_10device_ptrIjEEEEPS6_SG_NS0_5tupleIJNSA_16discard_iteratorINSA_11use_defaultEEESK_EEENSH_IJSG_SG_EEES6_PlJ7is_evenIjEEEE10hipError_tPvRmT3_T4_T5_T6_T7_T9_mT8_P12ihipStream_tbDpT10_ENKUlT_T0_E_clISt17integral_constantIbLb1EES18_IbLb0EEEEDaS14_S15_EUlS14_E_NS1_11comp_targetILNS1_3genE0ELNS1_11target_archE4294967295ELNS1_3gpuE0ELNS1_3repE0EEENS1_30default_config_static_selectorELNS0_4arch9wavefront6targetE1EEEvT1_
	.globl	_ZN7rocprim17ROCPRIM_400000_NS6detail17trampoline_kernelINS0_14default_configENS1_25partition_config_selectorILNS1_17partition_subalgoE0EjNS0_10empty_typeEbEEZZNS1_14partition_implILS5_0ELb0ES3_jN6thrust23THRUST_200600_302600_NS6detail15normal_iteratorINSA_10device_ptrIjEEEEPS6_SG_NS0_5tupleIJNSA_16discard_iteratorINSA_11use_defaultEEESK_EEENSH_IJSG_SG_EEES6_PlJ7is_evenIjEEEE10hipError_tPvRmT3_T4_T5_T6_T7_T9_mT8_P12ihipStream_tbDpT10_ENKUlT_T0_E_clISt17integral_constantIbLb1EES18_IbLb0EEEEDaS14_S15_EUlS14_E_NS1_11comp_targetILNS1_3genE0ELNS1_11target_archE4294967295ELNS1_3gpuE0ELNS1_3repE0EEENS1_30default_config_static_selectorELNS0_4arch9wavefront6targetE1EEEvT1_
	.p2align	8
	.type	_ZN7rocprim17ROCPRIM_400000_NS6detail17trampoline_kernelINS0_14default_configENS1_25partition_config_selectorILNS1_17partition_subalgoE0EjNS0_10empty_typeEbEEZZNS1_14partition_implILS5_0ELb0ES3_jN6thrust23THRUST_200600_302600_NS6detail15normal_iteratorINSA_10device_ptrIjEEEEPS6_SG_NS0_5tupleIJNSA_16discard_iteratorINSA_11use_defaultEEESK_EEENSH_IJSG_SG_EEES6_PlJ7is_evenIjEEEE10hipError_tPvRmT3_T4_T5_T6_T7_T9_mT8_P12ihipStream_tbDpT10_ENKUlT_T0_E_clISt17integral_constantIbLb1EES18_IbLb0EEEEDaS14_S15_EUlS14_E_NS1_11comp_targetILNS1_3genE0ELNS1_11target_archE4294967295ELNS1_3gpuE0ELNS1_3repE0EEENS1_30default_config_static_selectorELNS0_4arch9wavefront6targetE1EEEvT1_,@function
_ZN7rocprim17ROCPRIM_400000_NS6detail17trampoline_kernelINS0_14default_configENS1_25partition_config_selectorILNS1_17partition_subalgoE0EjNS0_10empty_typeEbEEZZNS1_14partition_implILS5_0ELb0ES3_jN6thrust23THRUST_200600_302600_NS6detail15normal_iteratorINSA_10device_ptrIjEEEEPS6_SG_NS0_5tupleIJNSA_16discard_iteratorINSA_11use_defaultEEESK_EEENSH_IJSG_SG_EEES6_PlJ7is_evenIjEEEE10hipError_tPvRmT3_T4_T5_T6_T7_T9_mT8_P12ihipStream_tbDpT10_ENKUlT_T0_E_clISt17integral_constantIbLb1EES18_IbLb0EEEEDaS14_S15_EUlS14_E_NS1_11comp_targetILNS1_3genE0ELNS1_11target_archE4294967295ELNS1_3gpuE0ELNS1_3repE0EEENS1_30default_config_static_selectorELNS0_4arch9wavefront6targetE1EEEvT1_: ; @_ZN7rocprim17ROCPRIM_400000_NS6detail17trampoline_kernelINS0_14default_configENS1_25partition_config_selectorILNS1_17partition_subalgoE0EjNS0_10empty_typeEbEEZZNS1_14partition_implILS5_0ELb0ES3_jN6thrust23THRUST_200600_302600_NS6detail15normal_iteratorINSA_10device_ptrIjEEEEPS6_SG_NS0_5tupleIJNSA_16discard_iteratorINSA_11use_defaultEEESK_EEENSH_IJSG_SG_EEES6_PlJ7is_evenIjEEEE10hipError_tPvRmT3_T4_T5_T6_T7_T9_mT8_P12ihipStream_tbDpT10_ENKUlT_T0_E_clISt17integral_constantIbLb1EES18_IbLb0EEEEDaS14_S15_EUlS14_E_NS1_11comp_targetILNS1_3genE0ELNS1_11target_archE4294967295ELNS1_3gpuE0ELNS1_3repE0EEENS1_30default_config_static_selectorELNS0_4arch9wavefront6targetE1EEEvT1_
; %bb.0:
	.section	.rodata,"a",@progbits
	.p2align	6, 0x0
	.amdhsa_kernel _ZN7rocprim17ROCPRIM_400000_NS6detail17trampoline_kernelINS0_14default_configENS1_25partition_config_selectorILNS1_17partition_subalgoE0EjNS0_10empty_typeEbEEZZNS1_14partition_implILS5_0ELb0ES3_jN6thrust23THRUST_200600_302600_NS6detail15normal_iteratorINSA_10device_ptrIjEEEEPS6_SG_NS0_5tupleIJNSA_16discard_iteratorINSA_11use_defaultEEESK_EEENSH_IJSG_SG_EEES6_PlJ7is_evenIjEEEE10hipError_tPvRmT3_T4_T5_T6_T7_T9_mT8_P12ihipStream_tbDpT10_ENKUlT_T0_E_clISt17integral_constantIbLb1EES18_IbLb0EEEEDaS14_S15_EUlS14_E_NS1_11comp_targetILNS1_3genE0ELNS1_11target_archE4294967295ELNS1_3gpuE0ELNS1_3repE0EEENS1_30default_config_static_selectorELNS0_4arch9wavefront6targetE1EEEvT1_
		.amdhsa_group_segment_fixed_size 0
		.amdhsa_private_segment_fixed_size 0
		.amdhsa_kernarg_size 136
		.amdhsa_user_sgpr_count 2
		.amdhsa_user_sgpr_dispatch_ptr 0
		.amdhsa_user_sgpr_queue_ptr 0
		.amdhsa_user_sgpr_kernarg_segment_ptr 1
		.amdhsa_user_sgpr_dispatch_id 0
		.amdhsa_user_sgpr_kernarg_preload_length 0
		.amdhsa_user_sgpr_kernarg_preload_offset 0
		.amdhsa_user_sgpr_private_segment_size 0
		.amdhsa_uses_dynamic_stack 0
		.amdhsa_enable_private_segment 0
		.amdhsa_system_sgpr_workgroup_id_x 1
		.amdhsa_system_sgpr_workgroup_id_y 0
		.amdhsa_system_sgpr_workgroup_id_z 0
		.amdhsa_system_sgpr_workgroup_info 0
		.amdhsa_system_vgpr_workitem_id 0
		.amdhsa_next_free_vgpr 1
		.amdhsa_next_free_sgpr 0
		.amdhsa_accum_offset 4
		.amdhsa_reserve_vcc 0
		.amdhsa_float_round_mode_32 0
		.amdhsa_float_round_mode_16_64 0
		.amdhsa_float_denorm_mode_32 3
		.amdhsa_float_denorm_mode_16_64 3
		.amdhsa_dx10_clamp 1
		.amdhsa_ieee_mode 1
		.amdhsa_fp16_overflow 0
		.amdhsa_tg_split 0
		.amdhsa_exception_fp_ieee_invalid_op 0
		.amdhsa_exception_fp_denorm_src 0
		.amdhsa_exception_fp_ieee_div_zero 0
		.amdhsa_exception_fp_ieee_overflow 0
		.amdhsa_exception_fp_ieee_underflow 0
		.amdhsa_exception_fp_ieee_inexact 0
		.amdhsa_exception_int_div_zero 0
	.end_amdhsa_kernel
	.section	.text._ZN7rocprim17ROCPRIM_400000_NS6detail17trampoline_kernelINS0_14default_configENS1_25partition_config_selectorILNS1_17partition_subalgoE0EjNS0_10empty_typeEbEEZZNS1_14partition_implILS5_0ELb0ES3_jN6thrust23THRUST_200600_302600_NS6detail15normal_iteratorINSA_10device_ptrIjEEEEPS6_SG_NS0_5tupleIJNSA_16discard_iteratorINSA_11use_defaultEEESK_EEENSH_IJSG_SG_EEES6_PlJ7is_evenIjEEEE10hipError_tPvRmT3_T4_T5_T6_T7_T9_mT8_P12ihipStream_tbDpT10_ENKUlT_T0_E_clISt17integral_constantIbLb1EES18_IbLb0EEEEDaS14_S15_EUlS14_E_NS1_11comp_targetILNS1_3genE0ELNS1_11target_archE4294967295ELNS1_3gpuE0ELNS1_3repE0EEENS1_30default_config_static_selectorELNS0_4arch9wavefront6targetE1EEEvT1_,"axG",@progbits,_ZN7rocprim17ROCPRIM_400000_NS6detail17trampoline_kernelINS0_14default_configENS1_25partition_config_selectorILNS1_17partition_subalgoE0EjNS0_10empty_typeEbEEZZNS1_14partition_implILS5_0ELb0ES3_jN6thrust23THRUST_200600_302600_NS6detail15normal_iteratorINSA_10device_ptrIjEEEEPS6_SG_NS0_5tupleIJNSA_16discard_iteratorINSA_11use_defaultEEESK_EEENSH_IJSG_SG_EEES6_PlJ7is_evenIjEEEE10hipError_tPvRmT3_T4_T5_T6_T7_T9_mT8_P12ihipStream_tbDpT10_ENKUlT_T0_E_clISt17integral_constantIbLb1EES18_IbLb0EEEEDaS14_S15_EUlS14_E_NS1_11comp_targetILNS1_3genE0ELNS1_11target_archE4294967295ELNS1_3gpuE0ELNS1_3repE0EEENS1_30default_config_static_selectorELNS0_4arch9wavefront6targetE1EEEvT1_,comdat
.Lfunc_end2411:
	.size	_ZN7rocprim17ROCPRIM_400000_NS6detail17trampoline_kernelINS0_14default_configENS1_25partition_config_selectorILNS1_17partition_subalgoE0EjNS0_10empty_typeEbEEZZNS1_14partition_implILS5_0ELb0ES3_jN6thrust23THRUST_200600_302600_NS6detail15normal_iteratorINSA_10device_ptrIjEEEEPS6_SG_NS0_5tupleIJNSA_16discard_iteratorINSA_11use_defaultEEESK_EEENSH_IJSG_SG_EEES6_PlJ7is_evenIjEEEE10hipError_tPvRmT3_T4_T5_T6_T7_T9_mT8_P12ihipStream_tbDpT10_ENKUlT_T0_E_clISt17integral_constantIbLb1EES18_IbLb0EEEEDaS14_S15_EUlS14_E_NS1_11comp_targetILNS1_3genE0ELNS1_11target_archE4294967295ELNS1_3gpuE0ELNS1_3repE0EEENS1_30default_config_static_selectorELNS0_4arch9wavefront6targetE1EEEvT1_, .Lfunc_end2411-_ZN7rocprim17ROCPRIM_400000_NS6detail17trampoline_kernelINS0_14default_configENS1_25partition_config_selectorILNS1_17partition_subalgoE0EjNS0_10empty_typeEbEEZZNS1_14partition_implILS5_0ELb0ES3_jN6thrust23THRUST_200600_302600_NS6detail15normal_iteratorINSA_10device_ptrIjEEEEPS6_SG_NS0_5tupleIJNSA_16discard_iteratorINSA_11use_defaultEEESK_EEENSH_IJSG_SG_EEES6_PlJ7is_evenIjEEEE10hipError_tPvRmT3_T4_T5_T6_T7_T9_mT8_P12ihipStream_tbDpT10_ENKUlT_T0_E_clISt17integral_constantIbLb1EES18_IbLb0EEEEDaS14_S15_EUlS14_E_NS1_11comp_targetILNS1_3genE0ELNS1_11target_archE4294967295ELNS1_3gpuE0ELNS1_3repE0EEENS1_30default_config_static_selectorELNS0_4arch9wavefront6targetE1EEEvT1_
                                        ; -- End function
	.section	.AMDGPU.csdata,"",@progbits
; Kernel info:
; codeLenInByte = 0
; NumSgprs: 6
; NumVgprs: 0
; NumAgprs: 0
; TotalNumVgprs: 0
; ScratchSize: 0
; MemoryBound: 0
; FloatMode: 240
; IeeeMode: 1
; LDSByteSize: 0 bytes/workgroup (compile time only)
; SGPRBlocks: 0
; VGPRBlocks: 0
; NumSGPRsForWavesPerEU: 6
; NumVGPRsForWavesPerEU: 1
; AccumOffset: 4
; Occupancy: 8
; WaveLimiterHint : 0
; COMPUTE_PGM_RSRC2:SCRATCH_EN: 0
; COMPUTE_PGM_RSRC2:USER_SGPR: 2
; COMPUTE_PGM_RSRC2:TRAP_HANDLER: 0
; COMPUTE_PGM_RSRC2:TGID_X_EN: 1
; COMPUTE_PGM_RSRC2:TGID_Y_EN: 0
; COMPUTE_PGM_RSRC2:TGID_Z_EN: 0
; COMPUTE_PGM_RSRC2:TIDIG_COMP_CNT: 0
; COMPUTE_PGM_RSRC3_GFX90A:ACCUM_OFFSET: 0
; COMPUTE_PGM_RSRC3_GFX90A:TG_SPLIT: 0
	.section	.text._ZN7rocprim17ROCPRIM_400000_NS6detail17trampoline_kernelINS0_14default_configENS1_25partition_config_selectorILNS1_17partition_subalgoE0EjNS0_10empty_typeEbEEZZNS1_14partition_implILS5_0ELb0ES3_jN6thrust23THRUST_200600_302600_NS6detail15normal_iteratorINSA_10device_ptrIjEEEEPS6_SG_NS0_5tupleIJNSA_16discard_iteratorINSA_11use_defaultEEESK_EEENSH_IJSG_SG_EEES6_PlJ7is_evenIjEEEE10hipError_tPvRmT3_T4_T5_T6_T7_T9_mT8_P12ihipStream_tbDpT10_ENKUlT_T0_E_clISt17integral_constantIbLb1EES18_IbLb0EEEEDaS14_S15_EUlS14_E_NS1_11comp_targetILNS1_3genE5ELNS1_11target_archE942ELNS1_3gpuE9ELNS1_3repE0EEENS1_30default_config_static_selectorELNS0_4arch9wavefront6targetE1EEEvT1_,"axG",@progbits,_ZN7rocprim17ROCPRIM_400000_NS6detail17trampoline_kernelINS0_14default_configENS1_25partition_config_selectorILNS1_17partition_subalgoE0EjNS0_10empty_typeEbEEZZNS1_14partition_implILS5_0ELb0ES3_jN6thrust23THRUST_200600_302600_NS6detail15normal_iteratorINSA_10device_ptrIjEEEEPS6_SG_NS0_5tupleIJNSA_16discard_iteratorINSA_11use_defaultEEESK_EEENSH_IJSG_SG_EEES6_PlJ7is_evenIjEEEE10hipError_tPvRmT3_T4_T5_T6_T7_T9_mT8_P12ihipStream_tbDpT10_ENKUlT_T0_E_clISt17integral_constantIbLb1EES18_IbLb0EEEEDaS14_S15_EUlS14_E_NS1_11comp_targetILNS1_3genE5ELNS1_11target_archE942ELNS1_3gpuE9ELNS1_3repE0EEENS1_30default_config_static_selectorELNS0_4arch9wavefront6targetE1EEEvT1_,comdat
	.protected	_ZN7rocprim17ROCPRIM_400000_NS6detail17trampoline_kernelINS0_14default_configENS1_25partition_config_selectorILNS1_17partition_subalgoE0EjNS0_10empty_typeEbEEZZNS1_14partition_implILS5_0ELb0ES3_jN6thrust23THRUST_200600_302600_NS6detail15normal_iteratorINSA_10device_ptrIjEEEEPS6_SG_NS0_5tupleIJNSA_16discard_iteratorINSA_11use_defaultEEESK_EEENSH_IJSG_SG_EEES6_PlJ7is_evenIjEEEE10hipError_tPvRmT3_T4_T5_T6_T7_T9_mT8_P12ihipStream_tbDpT10_ENKUlT_T0_E_clISt17integral_constantIbLb1EES18_IbLb0EEEEDaS14_S15_EUlS14_E_NS1_11comp_targetILNS1_3genE5ELNS1_11target_archE942ELNS1_3gpuE9ELNS1_3repE0EEENS1_30default_config_static_selectorELNS0_4arch9wavefront6targetE1EEEvT1_ ; -- Begin function _ZN7rocprim17ROCPRIM_400000_NS6detail17trampoline_kernelINS0_14default_configENS1_25partition_config_selectorILNS1_17partition_subalgoE0EjNS0_10empty_typeEbEEZZNS1_14partition_implILS5_0ELb0ES3_jN6thrust23THRUST_200600_302600_NS6detail15normal_iteratorINSA_10device_ptrIjEEEEPS6_SG_NS0_5tupleIJNSA_16discard_iteratorINSA_11use_defaultEEESK_EEENSH_IJSG_SG_EEES6_PlJ7is_evenIjEEEE10hipError_tPvRmT3_T4_T5_T6_T7_T9_mT8_P12ihipStream_tbDpT10_ENKUlT_T0_E_clISt17integral_constantIbLb1EES18_IbLb0EEEEDaS14_S15_EUlS14_E_NS1_11comp_targetILNS1_3genE5ELNS1_11target_archE942ELNS1_3gpuE9ELNS1_3repE0EEENS1_30default_config_static_selectorELNS0_4arch9wavefront6targetE1EEEvT1_
	.globl	_ZN7rocprim17ROCPRIM_400000_NS6detail17trampoline_kernelINS0_14default_configENS1_25partition_config_selectorILNS1_17partition_subalgoE0EjNS0_10empty_typeEbEEZZNS1_14partition_implILS5_0ELb0ES3_jN6thrust23THRUST_200600_302600_NS6detail15normal_iteratorINSA_10device_ptrIjEEEEPS6_SG_NS0_5tupleIJNSA_16discard_iteratorINSA_11use_defaultEEESK_EEENSH_IJSG_SG_EEES6_PlJ7is_evenIjEEEE10hipError_tPvRmT3_T4_T5_T6_T7_T9_mT8_P12ihipStream_tbDpT10_ENKUlT_T0_E_clISt17integral_constantIbLb1EES18_IbLb0EEEEDaS14_S15_EUlS14_E_NS1_11comp_targetILNS1_3genE5ELNS1_11target_archE942ELNS1_3gpuE9ELNS1_3repE0EEENS1_30default_config_static_selectorELNS0_4arch9wavefront6targetE1EEEvT1_
	.p2align	8
	.type	_ZN7rocprim17ROCPRIM_400000_NS6detail17trampoline_kernelINS0_14default_configENS1_25partition_config_selectorILNS1_17partition_subalgoE0EjNS0_10empty_typeEbEEZZNS1_14partition_implILS5_0ELb0ES3_jN6thrust23THRUST_200600_302600_NS6detail15normal_iteratorINSA_10device_ptrIjEEEEPS6_SG_NS0_5tupleIJNSA_16discard_iteratorINSA_11use_defaultEEESK_EEENSH_IJSG_SG_EEES6_PlJ7is_evenIjEEEE10hipError_tPvRmT3_T4_T5_T6_T7_T9_mT8_P12ihipStream_tbDpT10_ENKUlT_T0_E_clISt17integral_constantIbLb1EES18_IbLb0EEEEDaS14_S15_EUlS14_E_NS1_11comp_targetILNS1_3genE5ELNS1_11target_archE942ELNS1_3gpuE9ELNS1_3repE0EEENS1_30default_config_static_selectorELNS0_4arch9wavefront6targetE1EEEvT1_,@function
_ZN7rocprim17ROCPRIM_400000_NS6detail17trampoline_kernelINS0_14default_configENS1_25partition_config_selectorILNS1_17partition_subalgoE0EjNS0_10empty_typeEbEEZZNS1_14partition_implILS5_0ELb0ES3_jN6thrust23THRUST_200600_302600_NS6detail15normal_iteratorINSA_10device_ptrIjEEEEPS6_SG_NS0_5tupleIJNSA_16discard_iteratorINSA_11use_defaultEEESK_EEENSH_IJSG_SG_EEES6_PlJ7is_evenIjEEEE10hipError_tPvRmT3_T4_T5_T6_T7_T9_mT8_P12ihipStream_tbDpT10_ENKUlT_T0_E_clISt17integral_constantIbLb1EES18_IbLb0EEEEDaS14_S15_EUlS14_E_NS1_11comp_targetILNS1_3genE5ELNS1_11target_archE942ELNS1_3gpuE9ELNS1_3repE0EEENS1_30default_config_static_selectorELNS0_4arch9wavefront6targetE1EEEvT1_: ; @_ZN7rocprim17ROCPRIM_400000_NS6detail17trampoline_kernelINS0_14default_configENS1_25partition_config_selectorILNS1_17partition_subalgoE0EjNS0_10empty_typeEbEEZZNS1_14partition_implILS5_0ELb0ES3_jN6thrust23THRUST_200600_302600_NS6detail15normal_iteratorINSA_10device_ptrIjEEEEPS6_SG_NS0_5tupleIJNSA_16discard_iteratorINSA_11use_defaultEEESK_EEENSH_IJSG_SG_EEES6_PlJ7is_evenIjEEEE10hipError_tPvRmT3_T4_T5_T6_T7_T9_mT8_P12ihipStream_tbDpT10_ENKUlT_T0_E_clISt17integral_constantIbLb1EES18_IbLb0EEEEDaS14_S15_EUlS14_E_NS1_11comp_targetILNS1_3genE5ELNS1_11target_archE942ELNS1_3gpuE9ELNS1_3repE0EEENS1_30default_config_static_selectorELNS0_4arch9wavefront6targetE1EEEvT1_
; %bb.0:
	s_load_dwordx2 s[8:9], s[0:1], 0x68
	s_load_dwordx4 s[4:7], s[0:1], 0x8
	s_load_dwordx4 s[20:23], s[0:1], 0x58
	s_load_dword s3, s[0:1], 0x80
	s_waitcnt lgkmcnt(0)
	v_mov_b32_e32 v3, s9
	s_lshl_b64 s[10:11], s[6:7], 2
	s_add_u32 s9, s4, s10
	s_mul_i32 s4, s3, 0x1e00
	s_addc_u32 s12, s5, s11
	s_add_i32 s13, s3, -1
	s_add_i32 s3, s4, s6
	s_sub_i32 s3, s8, s3
	s_add_u32 s4, s6, s4
	s_addc_u32 s5, s7, 0
	s_cmp_eq_u32 s2, s13
	v_mov_b32_e32 v2, s8
	s_load_dwordx2 s[18:19], s[22:23], 0x0
	s_cselect_b64 s[22:23], -1, 0
	s_cmp_lg_u32 s2, s13
	s_mul_i32 s10, s2, 0x1e00
	s_mov_b32 s11, 0
	v_cmp_lt_u64_e32 vcc, s[4:5], v[2:3]
	s_cselect_b64 s[4:5], -1, 0
	s_or_b64 s[4:5], s[4:5], vcc
	s_lshl_b64 s[6:7], s[10:11], 2
	s_add_u32 s6, s9, s6
	s_addc_u32 s7, s12, s7
	s_mov_b64 s[8:9], -1
	s_and_b64 vcc, exec, s[4:5]
	s_cbranch_vccz .LBB2412_2
; %bb.1:
	v_lshlrev_b32_e32 v2, 2, v0
	v_mov_b32_e32 v3, 0
	v_lshl_add_u64 v[4:5], s[6:7], 0, v[2:3]
	v_add_co_u32_e32 v6, vcc, 0x1000, v4
	s_mov_b64 s[8:9], 0
	s_nop 0
	v_addc_co_u32_e32 v7, vcc, 0, v5, vcc
	v_add_co_u32_e32 v8, vcc, 0x2000, v4
	s_nop 1
	v_addc_co_u32_e32 v9, vcc, 0, v5, vcc
	v_add_co_u32_e32 v10, vcc, 0x3000, v4
	s_nop 1
	v_addc_co_u32_e32 v11, vcc, 0, v5, vcc
	flat_load_dword v1, v[4:5]
	flat_load_dword v3, v[4:5] offset:2048
	flat_load_dword v12, v[6:7]
	flat_load_dword v13, v[6:7] offset:2048
	;; [unrolled: 2-line block ×4, first 2 shown]
	v_add_co_u32_e32 v6, vcc, 0x4000, v4
	s_nop 1
	v_addc_co_u32_e32 v7, vcc, 0, v5, vcc
	v_add_co_u32_e32 v8, vcc, 0x5000, v4
	s_nop 1
	v_addc_co_u32_e32 v9, vcc, 0, v5, vcc
	;; [unrolled: 3-line block ×4, first 2 shown]
	flat_load_dword v18, v[6:7]
	flat_load_dword v19, v[6:7] offset:2048
	flat_load_dword v20, v[8:9]
	flat_load_dword v21, v[8:9] offset:2048
	;; [unrolled: 2-line block ×3, first 2 shown]
	flat_load_dword v24, v[4:5]
	s_waitcnt vmcnt(0) lgkmcnt(0)
	ds_write2st64_b32 v2, v1, v3 offset1:8
	ds_write2st64_b32 v2, v12, v13 offset0:16 offset1:24
	ds_write2st64_b32 v2, v14, v15 offset0:32 offset1:40
	;; [unrolled: 1-line block ×6, first 2 shown]
	ds_write_b32 v2, v24 offset:28672
	s_waitcnt lgkmcnt(0)
	s_barrier
.LBB2412_2:
	s_andn2_b64 vcc, exec, s[8:9]
	s_addk_i32 s3, 0x1e00
	s_cbranch_vccnz .LBB2412_34
; %bb.3:
	v_cmp_gt_u32_e32 vcc, s3, v0
                                        ; implicit-def: $vgpr2_vgpr3_vgpr4_vgpr5_vgpr6_vgpr7_vgpr8_vgpr9_vgpr10_vgpr11_vgpr12_vgpr13_vgpr14_vgpr15_vgpr16_vgpr17
	s_and_saveexec_b64 s[8:9], vcc
	s_cbranch_execz .LBB2412_5
; %bb.4:
	v_lshlrev_b32_e32 v2, 2, v0
	v_mov_b32_e32 v3, 0
	v_lshl_add_u64 v[2:3], s[6:7], 0, v[2:3]
	flat_load_dword v2, v[2:3]
.LBB2412_5:
	s_or_b64 exec, exec, s[8:9]
	v_or_b32_e32 v1, 0x200, v0
	v_cmp_gt_u32_e32 vcc, s3, v1
	s_and_saveexec_b64 s[8:9], vcc
	s_cbranch_execz .LBB2412_7
; %bb.6:
	v_lshlrev_b32_e32 v18, 2, v0
	v_mov_b32_e32 v19, 0
	v_lshl_add_u64 v[18:19], s[6:7], 0, v[18:19]
	flat_load_dword v3, v[18:19] offset:2048
.LBB2412_7:
	s_or_b64 exec, exec, s[8:9]
	v_or_b32_e32 v1, 0x400, v0
	v_cmp_gt_u32_e32 vcc, s3, v1
	s_and_saveexec_b64 s[8:9], vcc
	s_cbranch_execz .LBB2412_9
; %bb.8:
	v_lshlrev_b32_e32 v18, 2, v1
	v_mov_b32_e32 v19, 0
	v_lshl_add_u64 v[18:19], s[6:7], 0, v[18:19]
	flat_load_dword v4, v[18:19]
.LBB2412_9:
	s_or_b64 exec, exec, s[8:9]
	v_or_b32_e32 v1, 0x600, v0
	v_cmp_gt_u32_e32 vcc, s3, v1
	s_and_saveexec_b64 s[8:9], vcc
	s_cbranch_execz .LBB2412_11
; %bb.10:
	v_lshlrev_b32_e32 v18, 2, v1
	v_mov_b32_e32 v19, 0
	v_lshl_add_u64 v[18:19], s[6:7], 0, v[18:19]
	flat_load_dword v5, v[18:19]
.LBB2412_11:
	;; [unrolled: 11-line block ×13, first 2 shown]
	s_or_b64 exec, exec, s[8:9]
	v_lshlrev_b32_e32 v1, 2, v0
	s_waitcnt vmcnt(0) lgkmcnt(0)
	ds_write2st64_b32 v1, v2, v3 offset1:8
	ds_write2st64_b32 v1, v4, v5 offset0:16 offset1:24
	ds_write2st64_b32 v1, v6, v7 offset0:32 offset1:40
	;; [unrolled: 1-line block ×6, first 2 shown]
	ds_write_b32 v1, v16 offset:28672
	s_waitcnt lgkmcnt(0)
	s_barrier
.LBB2412_34:
	v_mul_u32_u24_e32 v36, 15, v0
	v_lshlrev_b32_e32 v1, 2, v36
	s_waitcnt lgkmcnt(0)
	ds_read2_b32 v[30:31], v1 offset1:1
	ds_read2_b32 v[28:29], v1 offset0:2 offset1:3
	ds_read2_b32 v[26:27], v1 offset0:4 offset1:5
	;; [unrolled: 1-line block ×6, first 2 shown]
	ds_read_b32 v1, v1 offset:56
	s_andn2_b64 vcc, exec, s[4:5]
	s_waitcnt lgkmcnt(7)
	v_xor_b32_e32 v16, -1, v30
	v_xor_b32_e32 v15, -1, v31
	s_waitcnt lgkmcnt(6)
	v_xor_b32_e32 v14, -1, v28
	v_xor_b32_e32 v13, -1, v29
	;; [unrolled: 3-line block ×7, first 2 shown]
	s_waitcnt lgkmcnt(0)
	v_xor_b32_e32 v2, -1, v1
	s_barrier
	s_cbranch_vccnz .LBB2412_36
; %bb.35:
	v_and_b32_e32 v49, 1, v16
	v_and_b32_e32 v48, 1, v15
	;; [unrolled: 1-line block ×15, first 2 shown]
	s_load_dwordx2 s[24:25], s[0:1], 0x78
	s_cbranch_execz .LBB2412_37
	s_branch .LBB2412_38
.LBB2412_36:
                                        ; implicit-def: $vgpr34
                                        ; implicit-def: $vgpr35
                                        ; implicit-def: $vgpr37
                                        ; implicit-def: $vgpr38
                                        ; implicit-def: $vgpr39
                                        ; implicit-def: $vgpr40
                                        ; implicit-def: $vgpr41
                                        ; implicit-def: $vgpr42
                                        ; implicit-def: $vgpr43
                                        ; implicit-def: $vgpr49
                                        ; implicit-def: $vgpr48
                                        ; implicit-def: $vgpr47
                                        ; implicit-def: $vgpr46
                                        ; implicit-def: $vgpr45
                                        ; implicit-def: $vgpr44
	s_load_dwordx2 s[24:25], s[0:1], 0x78
.LBB2412_37:
	v_add_u32_e32 v43, 1, v36
	v_cmp_gt_u32_e32 vcc, s3, v36
	v_add_u32_e32 v17, 2, v36
	v_add_u32_e32 v42, 3, v36
	v_cndmask_b32_e64 v44, 0, 1, vcc
	v_cmp_gt_u32_e32 vcc, s3, v43
	v_and_b32_e32 v49, v44, v16
	v_add_u32_e32 v32, 4, v36
	v_cndmask_b32_e64 v16, 0, 1, vcc
	v_cmp_gt_u32_e32 vcc, s3, v17
	v_and_b32_e32 v48, v16, v15
	;; [unrolled: 4-line block ×12, first 2 shown]
	s_nop 0
	v_cndmask_b32_e64 v5, 0, 1, vcc
	v_cmp_gt_u32_e32 vcc, s3, v51
	v_and_b32_e32 v37, v5, v4
	s_nop 0
	v_cndmask_b32_e64 v4, 0, 1, vcc
	v_cmp_gt_u32_e32 vcc, s3, v50
	v_and_b32_e32 v35, v4, v3
	s_nop 0
	v_cndmask_b32_e64 v3, 0, 1, vcc
	v_and_b32_e32 v34, v3, v2
.LBB2412_38:
	v_and_b32_e32 v53, 0xff, v46
	v_and_b32_e32 v54, 0xff, v45
	;; [unrolled: 1-line block ×5, first 2 shown]
	v_add3_u32 v3, v54, v55, v53
	v_and_b32_e32 v50, 0xff, v49
	v_and_b32_e32 v56, 0xff, v43
	v_add3_u32 v3, v3, v52, v51
	v_and_b32_e32 v57, 0xff, v42
	v_and_b32_e32 v58, 0xff, v41
	;; [unrolled: 3-line block ×5, first 2 shown]
	v_add3_u32 v3, v3, v61, v62
	v_add3_u32 v66, v3, v63, v2
	v_mbcnt_lo_u32_b32 v2, -1, 0
	v_mbcnt_hi_u32_b32 v64, -1, v2
	v_and_b32_e32 v2, 15, v64
	v_cmp_eq_u32_e64 s[12:13], 0, v2
	v_cmp_lt_u32_e64 s[10:11], 1, v2
	v_cmp_lt_u32_e64 s[8:9], 3, v2
	v_cmp_lt_u32_e64 s[6:7], 7, v2
	v_and_b32_e32 v2, 16, v64
	v_cmp_eq_u32_e64 s[4:5], 0, v2
	v_or_b32_e32 v2, 63, v0
	s_cmp_lg_u32 s2, 0
	v_cmp_lt_u32_e64 s[0:1], 31, v64
	v_lshrrev_b32_e32 v65, 6, v0
	v_cmp_eq_u32_e64 s[16:17], v2, v0
	s_cbranch_scc0 .LBB2412_69
; %bb.39:
	v_mov_b32_dpp v2, v66 row_shr:1 row_mask:0xf bank_mask:0xf
	v_cndmask_b32_e64 v2, v2, 0, s[12:13]
	v_add_u32_e32 v2, v2, v66
	s_nop 1
	v_mov_b32_dpp v3, v2 row_shr:2 row_mask:0xf bank_mask:0xf
	v_cndmask_b32_e64 v3, 0, v3, s[10:11]
	v_add_u32_e32 v2, v2, v3
	s_nop 1
	;; [unrolled: 4-line block ×4, first 2 shown]
	v_mov_b32_dpp v3, v2 row_bcast:15 row_mask:0xf bank_mask:0xf
	v_cndmask_b32_e64 v3, v3, 0, s[4:5]
	v_add_u32_e32 v2, v2, v3
	s_nop 1
	v_mov_b32_dpp v3, v2 row_bcast:31 row_mask:0xf bank_mask:0xf
	v_cndmask_b32_e64 v3, 0, v3, s[0:1]
	v_add_u32_e32 v2, v2, v3
	s_and_saveexec_b64 s[14:15], s[16:17]
	s_cbranch_execz .LBB2412_41
; %bb.40:
	v_lshlrev_b32_e32 v3, 2, v65
	ds_write_b32 v3, v2
.LBB2412_41:
	s_or_b64 exec, exec, s[14:15]
	v_cmp_gt_u32_e32 vcc, 8, v0
	s_waitcnt lgkmcnt(0)
	s_barrier
	s_and_saveexec_b64 s[14:15], vcc
	s_cbranch_execz .LBB2412_43
; %bb.42:
	v_lshlrev_b32_e32 v3, 2, v0
	ds_read_b32 v4, v3
	v_and_b32_e32 v5, 7, v64
	v_cmp_ne_u32_e32 vcc, 0, v5
	s_waitcnt lgkmcnt(0)
	v_mov_b32_dpp v6, v4 row_shr:1 row_mask:0xf bank_mask:0xf
	v_cndmask_b32_e32 v6, 0, v6, vcc
	v_add_u32_e32 v4, v6, v4
	v_cmp_lt_u32_e32 vcc, 1, v5
	s_nop 0
	v_mov_b32_dpp v6, v4 row_shr:2 row_mask:0xf bank_mask:0xf
	v_cndmask_b32_e32 v6, 0, v6, vcc
	v_add_u32_e32 v4, v4, v6
	v_cmp_lt_u32_e32 vcc, 3, v5
	s_nop 0
	v_mov_b32_dpp v6, v4 row_shr:4 row_mask:0xf bank_mask:0xf
	v_cndmask_b32_e32 v5, 0, v6, vcc
	v_add_u32_e32 v4, v4, v5
	ds_write_b32 v3, v4
.LBB2412_43:
	s_or_b64 exec, exec, s[14:15]
	v_cmp_gt_u32_e32 vcc, 64, v0
	v_cmp_lt_u32_e64 s[14:15], 63, v0
	s_waitcnt lgkmcnt(0)
	s_barrier
	s_waitcnt lgkmcnt(0)
                                        ; implicit-def: $vgpr12
	s_and_saveexec_b64 s[26:27], s[14:15]
	s_cbranch_execz .LBB2412_45
; %bb.44:
	v_lshl_add_u32 v3, v65, 2, -4
	ds_read_b32 v12, v3
	s_waitcnt lgkmcnt(0)
	v_add_u32_e32 v2, v12, v2
.LBB2412_45:
	s_or_b64 exec, exec, s[26:27]
	v_add_u32_e32 v3, -1, v64
	v_and_b32_e32 v4, 64, v64
	v_cmp_lt_i32_e64 s[14:15], v3, v4
	s_nop 1
	v_cndmask_b32_e64 v3, v3, v64, s[14:15]
	v_lshlrev_b32_e32 v3, 2, v3
	ds_bpermute_b32 v13, v3, v2
	v_cmp_eq_u32_e64 s[14:15], 0, v64
	s_and_saveexec_b64 s[26:27], vcc
	s_cbranch_execz .LBB2412_68
; %bb.46:
	v_mov_b32_e32 v11, 0
	ds_read_b32 v2, v11 offset:28
	s_and_saveexec_b64 s[28:29], s[14:15]
	s_cbranch_execz .LBB2412_48
; %bb.47:
	s_add_i32 s30, s2, 64
	s_mov_b32 s31, 0
	s_lshl_b64 s[30:31], s[30:31], 3
	s_add_u32 s30, s24, s30
	v_mov_b32_e32 v3, 1
	s_addc_u32 s31, s25, s31
	s_waitcnt lgkmcnt(0)
	global_store_dwordx2 v11, v[2:3], s[30:31] sc1
.LBB2412_48:
	s_or_b64 exec, exec, s[28:29]
	v_xad_u32 v4, v64, -1, s2
	v_add_u32_e32 v10, 64, v4
	v_lshl_add_u64 v[6:7], v[10:11], 3, s[24:25]
	global_load_dwordx2 v[8:9], v[6:7], off sc1
	s_waitcnt vmcnt(0)
	v_cmp_eq_u16_sdwa s[30:31], v9, v11 src0_sel:BYTE_0 src1_sel:DWORD
	s_and_saveexec_b64 s[28:29], s[30:31]
	s_cbranch_execz .LBB2412_54
; %bb.49:
	s_mov_b32 s3, 1
	s_mov_b64 s[30:31], 0
	v_mov_b32_e32 v3, 0
.LBB2412_50:                            ; =>This Loop Header: Depth=1
                                        ;     Child Loop BB2412_51 Depth 2
	s_max_u32 s33, s3, 1
.LBB2412_51:                            ;   Parent Loop BB2412_50 Depth=1
                                        ; =>  This Inner Loop Header: Depth=2
	s_add_i32 s33, s33, -1
	s_cmp_eq_u32 s33, 0
	s_sleep 1
	s_cbranch_scc0 .LBB2412_51
; %bb.52:                               ;   in Loop: Header=BB2412_50 Depth=1
	global_load_dwordx2 v[8:9], v[6:7], off sc1
	s_cmp_lt_u32 s3, 32
	s_cselect_b64 s[34:35], -1, 0
	s_cmp_lg_u64 s[34:35], 0
	s_addc_u32 s3, s3, 0
	s_waitcnt vmcnt(0)
	v_cmp_ne_u16_sdwa s[34:35], v9, v3 src0_sel:BYTE_0 src1_sel:DWORD
	s_or_b64 s[30:31], s[34:35], s[30:31]
	s_andn2_b64 exec, exec, s[30:31]
	s_cbranch_execnz .LBB2412_50
; %bb.53:
	s_or_b64 exec, exec, s[30:31]
.LBB2412_54:
	s_or_b64 exec, exec, s[28:29]
	v_and_b32_e32 v15, 63, v64
	v_mov_b32_e32 v14, 2
	v_cmp_ne_u32_e32 vcc, 63, v15
	v_cmp_eq_u16_sdwa s[28:29], v9, v14 src0_sel:BYTE_0 src1_sel:DWORD
	v_lshlrev_b64 v[6:7], v64, -1
	v_addc_co_u32_e32 v10, vcc, 0, v64, vcc
	v_and_b32_e32 v3, s29, v7
	v_lshlrev_b32_e32 v16, 2, v10
	v_or_b32_e32 v3, 0x80000000, v3
	ds_bpermute_b32 v10, v16, v8
	v_and_b32_e32 v5, s28, v6
	v_ffbl_b32_e32 v3, v3
	v_add_u32_e32 v3, 32, v3
	v_ffbl_b32_e32 v5, v5
	v_min_u32_e32 v3, v5, v3
	v_cmp_lt_u32_e32 vcc, v15, v3
	v_add_u32_e32 v32, 2, v15
	v_add_u32_e32 v67, 4, v15
	s_waitcnt lgkmcnt(0)
	v_cndmask_b32_e32 v5, 0, v10, vcc
	v_cmp_gt_u32_e32 vcc, 62, v15
	v_add_u32_e32 v5, v5, v8
	v_add_u32_e32 v69, 8, v15
	v_cndmask_b32_e64 v8, 0, 1, vcc
	v_lshlrev_b32_e32 v8, 1, v8
	v_add_lshl_u32 v17, v8, v64, 2
	ds_bpermute_b32 v8, v17, v5
	v_cmp_le_u32_e32 vcc, v32, v3
	v_add_u32_e32 v71, 16, v15
	v_add_u32_e32 v73, 32, v15
	s_waitcnt lgkmcnt(0)
	v_cndmask_b32_e32 v8, 0, v8, vcc
	v_cmp_gt_u32_e32 vcc, 60, v15
	v_add_u32_e32 v5, v5, v8
	s_nop 0
	v_cndmask_b32_e64 v8, 0, 1, vcc
	v_lshlrev_b32_e32 v8, 2, v8
	v_add_lshl_u32 v33, v8, v64, 2
	ds_bpermute_b32 v8, v33, v5
	v_cmp_le_u32_e32 vcc, v67, v3
	s_waitcnt lgkmcnt(0)
	s_nop 0
	v_cndmask_b32_e32 v8, 0, v8, vcc
	v_cmp_gt_u32_e32 vcc, 56, v15
	v_add_u32_e32 v5, v5, v8
	s_nop 0
	v_cndmask_b32_e64 v8, 0, 1, vcc
	v_lshlrev_b32_e32 v8, 3, v8
	v_add_lshl_u32 v68, v8, v64, 2
	ds_bpermute_b32 v8, v68, v5
	v_cmp_le_u32_e32 vcc, v69, v3
	s_waitcnt lgkmcnt(0)
	s_nop 0
	;; [unrolled: 11-line block ×4, first 2 shown]
	v_cndmask_b32_e32 v3, 0, v8, vcc
	v_add_u32_e32 v8, v5, v3
	v_mov_b32_e32 v5, 0
	s_branch .LBB2412_56
.LBB2412_55:                            ;   in Loop: Header=BB2412_56 Depth=1
	s_or_b64 exec, exec, s[28:29]
	v_cmp_eq_u16_sdwa s[28:29], v9, v14 src0_sel:BYTE_0 src1_sel:DWORD
	ds_bpermute_b32 v74, v16, v8
	v_subrev_u32_e32 v4, 64, v4
	v_and_b32_e32 v10, s29, v7
	v_or_b32_e32 v10, 0x80000000, v10
	v_and_b32_e32 v11, s28, v6
	v_ffbl_b32_e32 v10, v10
	v_add_u32_e32 v10, 32, v10
	v_ffbl_b32_e32 v11, v11
	v_min_u32_e32 v10, v11, v10
	v_cmp_lt_u32_e32 vcc, v15, v10
	s_waitcnt lgkmcnt(0)
	s_nop 0
	v_cndmask_b32_e32 v11, 0, v74, vcc
	v_add_u32_e32 v8, v11, v8
	ds_bpermute_b32 v11, v17, v8
	v_cmp_le_u32_e32 vcc, v32, v10
	s_waitcnt lgkmcnt(0)
	s_nop 0
	v_cndmask_b32_e32 v11, 0, v11, vcc
	v_add_u32_e32 v8, v8, v11
	ds_bpermute_b32 v11, v33, v8
	v_cmp_le_u32_e32 vcc, v67, v10
	;; [unrolled: 6-line block ×5, first 2 shown]
	s_waitcnt lgkmcnt(0)
	s_nop 0
	v_cndmask_b32_e32 v10, 0, v11, vcc
	v_add3_u32 v8, v10, v3, v8
.LBB2412_56:                            ; =>This Loop Header: Depth=1
                                        ;     Child Loop BB2412_59 Depth 2
                                        ;       Child Loop BB2412_60 Depth 3
	v_cmp_ne_u16_sdwa s[28:29], v9, v14 src0_sel:BYTE_0 src1_sel:DWORD
	s_nop 1
	v_cndmask_b32_e64 v3, 0, 1, s[28:29]
	;;#ASMSTART
	;;#ASMEND
	s_nop 0
	v_cmp_ne_u32_e32 vcc, 0, v3
	s_cmp_lg_u64 vcc, exec
	v_mov_b32_e32 v3, v8
	s_cbranch_scc1 .LBB2412_63
; %bb.57:                               ;   in Loop: Header=BB2412_56 Depth=1
	v_lshl_add_u64 v[10:11], v[4:5], 3, s[24:25]
	global_load_dwordx2 v[8:9], v[10:11], off sc1
	s_waitcnt vmcnt(0)
	v_cmp_eq_u16_sdwa s[30:31], v9, v5 src0_sel:BYTE_0 src1_sel:DWORD
	s_and_saveexec_b64 s[28:29], s[30:31]
	s_cbranch_execz .LBB2412_55
; %bb.58:                               ;   in Loop: Header=BB2412_56 Depth=1
	s_mov_b32 s3, 1
	s_mov_b64 s[30:31], 0
.LBB2412_59:                            ;   Parent Loop BB2412_56 Depth=1
                                        ; =>  This Loop Header: Depth=2
                                        ;       Child Loop BB2412_60 Depth 3
	s_max_u32 s33, s3, 1
.LBB2412_60:                            ;   Parent Loop BB2412_56 Depth=1
                                        ;     Parent Loop BB2412_59 Depth=2
                                        ; =>    This Inner Loop Header: Depth=3
	s_add_i32 s33, s33, -1
	s_cmp_eq_u32 s33, 0
	s_sleep 1
	s_cbranch_scc0 .LBB2412_60
; %bb.61:                               ;   in Loop: Header=BB2412_59 Depth=2
	global_load_dwordx2 v[8:9], v[10:11], off sc1
	s_cmp_lt_u32 s3, 32
	s_cselect_b64 s[34:35], -1, 0
	s_cmp_lg_u64 s[34:35], 0
	s_addc_u32 s3, s3, 0
	s_waitcnt vmcnt(0)
	v_cmp_ne_u16_sdwa s[34:35], v9, v5 src0_sel:BYTE_0 src1_sel:DWORD
	s_or_b64 s[30:31], s[34:35], s[30:31]
	s_andn2_b64 exec, exec, s[30:31]
	s_cbranch_execnz .LBB2412_59
; %bb.62:                               ;   in Loop: Header=BB2412_56 Depth=1
	s_or_b64 exec, exec, s[30:31]
	s_branch .LBB2412_55
.LBB2412_63:                            ;   in Loop: Header=BB2412_56 Depth=1
                                        ; implicit-def: $vgpr8
                                        ; implicit-def: $vgpr9
	s_cbranch_execz .LBB2412_56
; %bb.64:
	s_and_saveexec_b64 s[28:29], s[14:15]
	s_cbranch_execz .LBB2412_66
; %bb.65:
	s_add_i32 s2, s2, 64
	s_mov_b32 s3, 0
	s_lshl_b64 s[2:3], s[2:3], 3
	s_add_u32 s2, s24, s2
	v_add_u32_e32 v4, v3, v2
	v_mov_b32_e32 v5, 2
	s_addc_u32 s3, s25, s3
	v_mov_b32_e32 v6, 0
	global_store_dwordx2 v6, v[4:5], s[2:3] sc1
	ds_write_b64 v6, v[2:3] offset:30720
.LBB2412_66:
	s_or_b64 exec, exec, s[28:29]
	v_cmp_eq_u32_e32 vcc, 0, v0
	s_and_b64 exec, exec, vcc
	s_cbranch_execz .LBB2412_68
; %bb.67:
	v_mov_b32_e32 v2, 0
	ds_write_b32 v2, v3 offset:28
.LBB2412_68:
	s_or_b64 exec, exec, s[26:27]
	v_mov_b32_e32 v14, 0
	s_waitcnt lgkmcnt(0)
	s_barrier
	ds_read_b32 v2, v14 offset:28
	v_cndmask_b32_e64 v3, v13, v12, s[14:15]
	v_cmp_ne_u32_e32 vcc, 0, v0
	s_waitcnt lgkmcnt(0)
	s_barrier
	v_cndmask_b32_e32 v3, 0, v3, vcc
	v_add_u32_e32 v2, v2, v3
	v_add_u32_e32 v3, v2, v50
	;; [unrolled: 1-line block ×11, first 2 shown]
	ds_read_b64 v[32:33], v14 offset:30720
	v_add_u32_e32 v13, v12, v60
	v_add_u32_e32 v14, v13, v61
	;; [unrolled: 1-line block ×4, first 2 shown]
	s_branch .LBB2412_79
.LBB2412_69:
                                        ; implicit-def: $vgpr33
                                        ; implicit-def: $vgpr2_vgpr3_vgpr4_vgpr5_vgpr6_vgpr7_vgpr8_vgpr9_vgpr10_vgpr11_vgpr12_vgpr13_vgpr14_vgpr15_vgpr16_vgpr17
	s_cbranch_execz .LBB2412_79
; %bb.70:
	s_nop 0
	v_mov_b32_dpp v2, v66 row_shr:1 row_mask:0xf bank_mask:0xf
	v_cndmask_b32_e64 v2, v2, 0, s[12:13]
	v_add_u32_e32 v2, v2, v66
	s_nop 1
	v_mov_b32_dpp v3, v2 row_shr:2 row_mask:0xf bank_mask:0xf
	v_cndmask_b32_e64 v3, 0, v3, s[10:11]
	v_add_u32_e32 v2, v2, v3
	;; [unrolled: 4-line block ×4, first 2 shown]
	s_nop 1
	v_mov_b32_dpp v3, v2 row_bcast:15 row_mask:0xf bank_mask:0xf
	v_cndmask_b32_e64 v3, v3, 0, s[4:5]
	v_add_u32_e32 v2, v2, v3
	s_nop 1
	v_mov_b32_dpp v3, v2 row_bcast:31 row_mask:0xf bank_mask:0xf
	v_cndmask_b32_e64 v3, 0, v3, s[0:1]
	v_add_u32_e32 v2, v2, v3
	s_and_saveexec_b64 s[0:1], s[16:17]
	s_cbranch_execz .LBB2412_72
; %bb.71:
	v_lshlrev_b32_e32 v3, 2, v65
	ds_write_b32 v3, v2
.LBB2412_72:
	s_or_b64 exec, exec, s[0:1]
	v_cmp_gt_u32_e32 vcc, 8, v0
	s_waitcnt lgkmcnt(0)
	s_barrier
	s_and_saveexec_b64 s[0:1], vcc
	s_cbranch_execz .LBB2412_74
; %bb.73:
	v_lshlrev_b32_e32 v3, 2, v0
	ds_read_b32 v4, v3
	v_and_b32_e32 v5, 7, v64
	v_cmp_ne_u32_e32 vcc, 0, v5
	s_waitcnt lgkmcnt(0)
	v_mov_b32_dpp v6, v4 row_shr:1 row_mask:0xf bank_mask:0xf
	v_cndmask_b32_e32 v6, 0, v6, vcc
	v_add_u32_e32 v4, v6, v4
	v_cmp_lt_u32_e32 vcc, 1, v5
	s_nop 0
	v_mov_b32_dpp v6, v4 row_shr:2 row_mask:0xf bank_mask:0xf
	v_cndmask_b32_e32 v6, 0, v6, vcc
	v_add_u32_e32 v4, v4, v6
	v_cmp_lt_u32_e32 vcc, 3, v5
	s_nop 0
	v_mov_b32_dpp v6, v4 row_shr:4 row_mask:0xf bank_mask:0xf
	v_cndmask_b32_e32 v5, 0, v6, vcc
	v_add_u32_e32 v4, v4, v5
	ds_write_b32 v3, v4
.LBB2412_74:
	s_or_b64 exec, exec, s[0:1]
	v_cmp_lt_u32_e32 vcc, 63, v0
	v_mov_b32_e32 v4, 0
	v_mov_b32_e32 v3, 0
	s_waitcnt lgkmcnt(0)
	s_barrier
	s_and_saveexec_b64 s[0:1], vcc
	s_cbranch_execz .LBB2412_76
; %bb.75:
	v_lshl_add_u32 v3, v65, 2, -4
	ds_read_b32 v3, v3
.LBB2412_76:
	s_or_b64 exec, exec, s[0:1]
	v_add_u32_e32 v5, -1, v64
	v_and_b32_e32 v6, 64, v64
	v_cmp_lt_i32_e32 vcc, v5, v6
	s_waitcnt lgkmcnt(0)
	v_add_u32_e32 v2, v3, v2
	ds_read_b32 v32, v4 offset:28
	v_cndmask_b32_e32 v5, v5, v64, vcc
	v_lshlrev_b32_e32 v5, 2, v5
	ds_bpermute_b32 v2, v5, v2
	v_cmp_eq_u32_e32 vcc, 0, v0
	s_and_saveexec_b64 s[0:1], vcc
	s_cbranch_execz .LBB2412_78
; %bb.77:
	v_mov_b32_e32 v4, 0
	v_mov_b32_e32 v33, 2
	s_waitcnt lgkmcnt(1)
	global_store_dwordx2 v4, v[32:33], s[24:25] offset:512 sc1
.LBB2412_78:
	s_or_b64 exec, exec, s[0:1]
	v_cmp_eq_u32_e64 s[0:1], 0, v64
	v_mov_b32_e32 v33, 0
	s_waitcnt lgkmcnt(0)
	v_cndmask_b32_e64 v2, v2, v3, s[0:1]
	v_cndmask_b32_e64 v2, v2, 0, vcc
	v_add_u32_e32 v3, v2, v50
	v_add_u32_e32 v4, v3, v51
	;; [unrolled: 1-line block ×14, first 2 shown]
	s_barrier
.LBB2412_79:
	s_waitcnt lgkmcnt(0)
	v_add_u32_e32 v17, v32, v36
	v_sub_u32_e32 v2, v2, v33
	v_and_b32_e32 v49, 1, v49
	v_sub_u32_e32 v36, v17, v2
	v_cmp_eq_u32_e32 vcc, 1, v49
	s_nop 1
	v_cndmask_b32_e32 v2, v36, v2, vcc
	v_lshlrev_b32_e32 v2, 2, v2
	ds_write_b32 v2, v30
	v_sub_u32_e32 v2, v3, v33
	v_sub_u32_e32 v3, v17, v2
	v_and_b32_e32 v30, 1, v48
	v_add_u32_e32 v3, 1, v3
	v_cmp_eq_u32_e32 vcc, 1, v30
	s_nop 1
	v_cndmask_b32_e32 v2, v3, v2, vcc
	v_lshlrev_b32_e32 v2, 2, v2
	ds_write_b32 v2, v31
	v_sub_u32_e32 v2, v4, v33
	v_sub_u32_e32 v3, v17, v2
	v_and_b32_e32 v4, 1, v47
	v_add_u32_e32 v3, 2, v3
	v_cmp_eq_u32_e32 vcc, 1, v4
	v_and_b32_e32 v4, 1, v46
	s_nop 0
	v_cndmask_b32_e32 v2, v3, v2, vcc
	v_lshlrev_b32_e32 v2, 2, v2
	ds_write_b32 v2, v28
	v_sub_u32_e32 v2, v5, v33
	v_sub_u32_e32 v3, v17, v2
	v_add_u32_e32 v3, 3, v3
	v_cmp_eq_u32_e32 vcc, 1, v4
	v_and_b32_e32 v4, 1, v45
	s_nop 0
	v_cndmask_b32_e32 v2, v3, v2, vcc
	v_lshlrev_b32_e32 v2, 2, v2
	ds_write_b32 v2, v29
	v_sub_u32_e32 v2, v6, v33
	v_sub_u32_e32 v3, v17, v2
	;; [unrolled: 9-line block ×12, first 2 shown]
	v_add_u32_e32 v3, 14, v3
	v_cmp_eq_u32_e32 vcc, 1, v4
	s_nop 1
	v_cndmask_b32_e32 v2, v3, v2, vcc
	v_cmp_eq_u32_e32 vcc, 0, v0
	v_lshlrev_b32_e32 v2, 2, v2
	s_and_b64 s[0:1], vcc, s[22:23]
	ds_write_b32 v2, v1
	s_waitcnt lgkmcnt(0)
	s_barrier
	s_and_saveexec_b64 s[2:3], s[0:1]
	s_cbranch_execz .LBB2412_81
; %bb.80:
	v_mov_b32_e32 v1, 0
	v_mov_b32_e32 v0, v32
	v_lshl_add_u64 v[2:3], s[18:19], 0, v[0:1]
	v_mov_b32_e32 v0, v33
	v_lshl_add_u64 v[2:3], v[2:3], 0, v[0:1]
	global_store_dwordx2 v1, v[2:3], s[20:21]
.LBB2412_81:
	s_endpgm
	.section	.rodata,"a",@progbits
	.p2align	6, 0x0
	.amdhsa_kernel _ZN7rocprim17ROCPRIM_400000_NS6detail17trampoline_kernelINS0_14default_configENS1_25partition_config_selectorILNS1_17partition_subalgoE0EjNS0_10empty_typeEbEEZZNS1_14partition_implILS5_0ELb0ES3_jN6thrust23THRUST_200600_302600_NS6detail15normal_iteratorINSA_10device_ptrIjEEEEPS6_SG_NS0_5tupleIJNSA_16discard_iteratorINSA_11use_defaultEEESK_EEENSH_IJSG_SG_EEES6_PlJ7is_evenIjEEEE10hipError_tPvRmT3_T4_T5_T6_T7_T9_mT8_P12ihipStream_tbDpT10_ENKUlT_T0_E_clISt17integral_constantIbLb1EES18_IbLb0EEEEDaS14_S15_EUlS14_E_NS1_11comp_targetILNS1_3genE5ELNS1_11target_archE942ELNS1_3gpuE9ELNS1_3repE0EEENS1_30default_config_static_selectorELNS0_4arch9wavefront6targetE1EEEvT1_
		.amdhsa_group_segment_fixed_size 30728
		.amdhsa_private_segment_fixed_size 0
		.amdhsa_kernarg_size 136
		.amdhsa_user_sgpr_count 2
		.amdhsa_user_sgpr_dispatch_ptr 0
		.amdhsa_user_sgpr_queue_ptr 0
		.amdhsa_user_sgpr_kernarg_segment_ptr 1
		.amdhsa_user_sgpr_dispatch_id 0
		.amdhsa_user_sgpr_kernarg_preload_length 0
		.amdhsa_user_sgpr_kernarg_preload_offset 0
		.amdhsa_user_sgpr_private_segment_size 0
		.amdhsa_uses_dynamic_stack 0
		.amdhsa_enable_private_segment 0
		.amdhsa_system_sgpr_workgroup_id_x 1
		.amdhsa_system_sgpr_workgroup_id_y 0
		.amdhsa_system_sgpr_workgroup_id_z 0
		.amdhsa_system_sgpr_workgroup_info 0
		.amdhsa_system_vgpr_workitem_id 0
		.amdhsa_next_free_vgpr 75
		.amdhsa_next_free_sgpr 36
		.amdhsa_accum_offset 76
		.amdhsa_reserve_vcc 1
		.amdhsa_float_round_mode_32 0
		.amdhsa_float_round_mode_16_64 0
		.amdhsa_float_denorm_mode_32 3
		.amdhsa_float_denorm_mode_16_64 3
		.amdhsa_dx10_clamp 1
		.amdhsa_ieee_mode 1
		.amdhsa_fp16_overflow 0
		.amdhsa_tg_split 0
		.amdhsa_exception_fp_ieee_invalid_op 0
		.amdhsa_exception_fp_denorm_src 0
		.amdhsa_exception_fp_ieee_div_zero 0
		.amdhsa_exception_fp_ieee_overflow 0
		.amdhsa_exception_fp_ieee_underflow 0
		.amdhsa_exception_fp_ieee_inexact 0
		.amdhsa_exception_int_div_zero 0
	.end_amdhsa_kernel
	.section	.text._ZN7rocprim17ROCPRIM_400000_NS6detail17trampoline_kernelINS0_14default_configENS1_25partition_config_selectorILNS1_17partition_subalgoE0EjNS0_10empty_typeEbEEZZNS1_14partition_implILS5_0ELb0ES3_jN6thrust23THRUST_200600_302600_NS6detail15normal_iteratorINSA_10device_ptrIjEEEEPS6_SG_NS0_5tupleIJNSA_16discard_iteratorINSA_11use_defaultEEESK_EEENSH_IJSG_SG_EEES6_PlJ7is_evenIjEEEE10hipError_tPvRmT3_T4_T5_T6_T7_T9_mT8_P12ihipStream_tbDpT10_ENKUlT_T0_E_clISt17integral_constantIbLb1EES18_IbLb0EEEEDaS14_S15_EUlS14_E_NS1_11comp_targetILNS1_3genE5ELNS1_11target_archE942ELNS1_3gpuE9ELNS1_3repE0EEENS1_30default_config_static_selectorELNS0_4arch9wavefront6targetE1EEEvT1_,"axG",@progbits,_ZN7rocprim17ROCPRIM_400000_NS6detail17trampoline_kernelINS0_14default_configENS1_25partition_config_selectorILNS1_17partition_subalgoE0EjNS0_10empty_typeEbEEZZNS1_14partition_implILS5_0ELb0ES3_jN6thrust23THRUST_200600_302600_NS6detail15normal_iteratorINSA_10device_ptrIjEEEEPS6_SG_NS0_5tupleIJNSA_16discard_iteratorINSA_11use_defaultEEESK_EEENSH_IJSG_SG_EEES6_PlJ7is_evenIjEEEE10hipError_tPvRmT3_T4_T5_T6_T7_T9_mT8_P12ihipStream_tbDpT10_ENKUlT_T0_E_clISt17integral_constantIbLb1EES18_IbLb0EEEEDaS14_S15_EUlS14_E_NS1_11comp_targetILNS1_3genE5ELNS1_11target_archE942ELNS1_3gpuE9ELNS1_3repE0EEENS1_30default_config_static_selectorELNS0_4arch9wavefront6targetE1EEEvT1_,comdat
.Lfunc_end2412:
	.size	_ZN7rocprim17ROCPRIM_400000_NS6detail17trampoline_kernelINS0_14default_configENS1_25partition_config_selectorILNS1_17partition_subalgoE0EjNS0_10empty_typeEbEEZZNS1_14partition_implILS5_0ELb0ES3_jN6thrust23THRUST_200600_302600_NS6detail15normal_iteratorINSA_10device_ptrIjEEEEPS6_SG_NS0_5tupleIJNSA_16discard_iteratorINSA_11use_defaultEEESK_EEENSH_IJSG_SG_EEES6_PlJ7is_evenIjEEEE10hipError_tPvRmT3_T4_T5_T6_T7_T9_mT8_P12ihipStream_tbDpT10_ENKUlT_T0_E_clISt17integral_constantIbLb1EES18_IbLb0EEEEDaS14_S15_EUlS14_E_NS1_11comp_targetILNS1_3genE5ELNS1_11target_archE942ELNS1_3gpuE9ELNS1_3repE0EEENS1_30default_config_static_selectorELNS0_4arch9wavefront6targetE1EEEvT1_, .Lfunc_end2412-_ZN7rocprim17ROCPRIM_400000_NS6detail17trampoline_kernelINS0_14default_configENS1_25partition_config_selectorILNS1_17partition_subalgoE0EjNS0_10empty_typeEbEEZZNS1_14partition_implILS5_0ELb0ES3_jN6thrust23THRUST_200600_302600_NS6detail15normal_iteratorINSA_10device_ptrIjEEEEPS6_SG_NS0_5tupleIJNSA_16discard_iteratorINSA_11use_defaultEEESK_EEENSH_IJSG_SG_EEES6_PlJ7is_evenIjEEEE10hipError_tPvRmT3_T4_T5_T6_T7_T9_mT8_P12ihipStream_tbDpT10_ENKUlT_T0_E_clISt17integral_constantIbLb1EES18_IbLb0EEEEDaS14_S15_EUlS14_E_NS1_11comp_targetILNS1_3genE5ELNS1_11target_archE942ELNS1_3gpuE9ELNS1_3repE0EEENS1_30default_config_static_selectorELNS0_4arch9wavefront6targetE1EEEvT1_
                                        ; -- End function
	.section	.AMDGPU.csdata,"",@progbits
; Kernel info:
; codeLenInByte = 4884
; NumSgprs: 42
; NumVgprs: 75
; NumAgprs: 0
; TotalNumVgprs: 75
; ScratchSize: 0
; MemoryBound: 0
; FloatMode: 240
; IeeeMode: 1
; LDSByteSize: 30728 bytes/workgroup (compile time only)
; SGPRBlocks: 5
; VGPRBlocks: 9
; NumSGPRsForWavesPerEU: 42
; NumVGPRsForWavesPerEU: 75
; AccumOffset: 76
; Occupancy: 4
; WaveLimiterHint : 1
; COMPUTE_PGM_RSRC2:SCRATCH_EN: 0
; COMPUTE_PGM_RSRC2:USER_SGPR: 2
; COMPUTE_PGM_RSRC2:TRAP_HANDLER: 0
; COMPUTE_PGM_RSRC2:TGID_X_EN: 1
; COMPUTE_PGM_RSRC2:TGID_Y_EN: 0
; COMPUTE_PGM_RSRC2:TGID_Z_EN: 0
; COMPUTE_PGM_RSRC2:TIDIG_COMP_CNT: 0
; COMPUTE_PGM_RSRC3_GFX90A:ACCUM_OFFSET: 18
; COMPUTE_PGM_RSRC3_GFX90A:TG_SPLIT: 0
	.section	.text._ZN7rocprim17ROCPRIM_400000_NS6detail17trampoline_kernelINS0_14default_configENS1_25partition_config_selectorILNS1_17partition_subalgoE0EjNS0_10empty_typeEbEEZZNS1_14partition_implILS5_0ELb0ES3_jN6thrust23THRUST_200600_302600_NS6detail15normal_iteratorINSA_10device_ptrIjEEEEPS6_SG_NS0_5tupleIJNSA_16discard_iteratorINSA_11use_defaultEEESK_EEENSH_IJSG_SG_EEES6_PlJ7is_evenIjEEEE10hipError_tPvRmT3_T4_T5_T6_T7_T9_mT8_P12ihipStream_tbDpT10_ENKUlT_T0_E_clISt17integral_constantIbLb1EES18_IbLb0EEEEDaS14_S15_EUlS14_E_NS1_11comp_targetILNS1_3genE4ELNS1_11target_archE910ELNS1_3gpuE8ELNS1_3repE0EEENS1_30default_config_static_selectorELNS0_4arch9wavefront6targetE1EEEvT1_,"axG",@progbits,_ZN7rocprim17ROCPRIM_400000_NS6detail17trampoline_kernelINS0_14default_configENS1_25partition_config_selectorILNS1_17partition_subalgoE0EjNS0_10empty_typeEbEEZZNS1_14partition_implILS5_0ELb0ES3_jN6thrust23THRUST_200600_302600_NS6detail15normal_iteratorINSA_10device_ptrIjEEEEPS6_SG_NS0_5tupleIJNSA_16discard_iteratorINSA_11use_defaultEEESK_EEENSH_IJSG_SG_EEES6_PlJ7is_evenIjEEEE10hipError_tPvRmT3_T4_T5_T6_T7_T9_mT8_P12ihipStream_tbDpT10_ENKUlT_T0_E_clISt17integral_constantIbLb1EES18_IbLb0EEEEDaS14_S15_EUlS14_E_NS1_11comp_targetILNS1_3genE4ELNS1_11target_archE910ELNS1_3gpuE8ELNS1_3repE0EEENS1_30default_config_static_selectorELNS0_4arch9wavefront6targetE1EEEvT1_,comdat
	.protected	_ZN7rocprim17ROCPRIM_400000_NS6detail17trampoline_kernelINS0_14default_configENS1_25partition_config_selectorILNS1_17partition_subalgoE0EjNS0_10empty_typeEbEEZZNS1_14partition_implILS5_0ELb0ES3_jN6thrust23THRUST_200600_302600_NS6detail15normal_iteratorINSA_10device_ptrIjEEEEPS6_SG_NS0_5tupleIJNSA_16discard_iteratorINSA_11use_defaultEEESK_EEENSH_IJSG_SG_EEES6_PlJ7is_evenIjEEEE10hipError_tPvRmT3_T4_T5_T6_T7_T9_mT8_P12ihipStream_tbDpT10_ENKUlT_T0_E_clISt17integral_constantIbLb1EES18_IbLb0EEEEDaS14_S15_EUlS14_E_NS1_11comp_targetILNS1_3genE4ELNS1_11target_archE910ELNS1_3gpuE8ELNS1_3repE0EEENS1_30default_config_static_selectorELNS0_4arch9wavefront6targetE1EEEvT1_ ; -- Begin function _ZN7rocprim17ROCPRIM_400000_NS6detail17trampoline_kernelINS0_14default_configENS1_25partition_config_selectorILNS1_17partition_subalgoE0EjNS0_10empty_typeEbEEZZNS1_14partition_implILS5_0ELb0ES3_jN6thrust23THRUST_200600_302600_NS6detail15normal_iteratorINSA_10device_ptrIjEEEEPS6_SG_NS0_5tupleIJNSA_16discard_iteratorINSA_11use_defaultEEESK_EEENSH_IJSG_SG_EEES6_PlJ7is_evenIjEEEE10hipError_tPvRmT3_T4_T5_T6_T7_T9_mT8_P12ihipStream_tbDpT10_ENKUlT_T0_E_clISt17integral_constantIbLb1EES18_IbLb0EEEEDaS14_S15_EUlS14_E_NS1_11comp_targetILNS1_3genE4ELNS1_11target_archE910ELNS1_3gpuE8ELNS1_3repE0EEENS1_30default_config_static_selectorELNS0_4arch9wavefront6targetE1EEEvT1_
	.globl	_ZN7rocprim17ROCPRIM_400000_NS6detail17trampoline_kernelINS0_14default_configENS1_25partition_config_selectorILNS1_17partition_subalgoE0EjNS0_10empty_typeEbEEZZNS1_14partition_implILS5_0ELb0ES3_jN6thrust23THRUST_200600_302600_NS6detail15normal_iteratorINSA_10device_ptrIjEEEEPS6_SG_NS0_5tupleIJNSA_16discard_iteratorINSA_11use_defaultEEESK_EEENSH_IJSG_SG_EEES6_PlJ7is_evenIjEEEE10hipError_tPvRmT3_T4_T5_T6_T7_T9_mT8_P12ihipStream_tbDpT10_ENKUlT_T0_E_clISt17integral_constantIbLb1EES18_IbLb0EEEEDaS14_S15_EUlS14_E_NS1_11comp_targetILNS1_3genE4ELNS1_11target_archE910ELNS1_3gpuE8ELNS1_3repE0EEENS1_30default_config_static_selectorELNS0_4arch9wavefront6targetE1EEEvT1_
	.p2align	8
	.type	_ZN7rocprim17ROCPRIM_400000_NS6detail17trampoline_kernelINS0_14default_configENS1_25partition_config_selectorILNS1_17partition_subalgoE0EjNS0_10empty_typeEbEEZZNS1_14partition_implILS5_0ELb0ES3_jN6thrust23THRUST_200600_302600_NS6detail15normal_iteratorINSA_10device_ptrIjEEEEPS6_SG_NS0_5tupleIJNSA_16discard_iteratorINSA_11use_defaultEEESK_EEENSH_IJSG_SG_EEES6_PlJ7is_evenIjEEEE10hipError_tPvRmT3_T4_T5_T6_T7_T9_mT8_P12ihipStream_tbDpT10_ENKUlT_T0_E_clISt17integral_constantIbLb1EES18_IbLb0EEEEDaS14_S15_EUlS14_E_NS1_11comp_targetILNS1_3genE4ELNS1_11target_archE910ELNS1_3gpuE8ELNS1_3repE0EEENS1_30default_config_static_selectorELNS0_4arch9wavefront6targetE1EEEvT1_,@function
_ZN7rocprim17ROCPRIM_400000_NS6detail17trampoline_kernelINS0_14default_configENS1_25partition_config_selectorILNS1_17partition_subalgoE0EjNS0_10empty_typeEbEEZZNS1_14partition_implILS5_0ELb0ES3_jN6thrust23THRUST_200600_302600_NS6detail15normal_iteratorINSA_10device_ptrIjEEEEPS6_SG_NS0_5tupleIJNSA_16discard_iteratorINSA_11use_defaultEEESK_EEENSH_IJSG_SG_EEES6_PlJ7is_evenIjEEEE10hipError_tPvRmT3_T4_T5_T6_T7_T9_mT8_P12ihipStream_tbDpT10_ENKUlT_T0_E_clISt17integral_constantIbLb1EES18_IbLb0EEEEDaS14_S15_EUlS14_E_NS1_11comp_targetILNS1_3genE4ELNS1_11target_archE910ELNS1_3gpuE8ELNS1_3repE0EEENS1_30default_config_static_selectorELNS0_4arch9wavefront6targetE1EEEvT1_: ; @_ZN7rocprim17ROCPRIM_400000_NS6detail17trampoline_kernelINS0_14default_configENS1_25partition_config_selectorILNS1_17partition_subalgoE0EjNS0_10empty_typeEbEEZZNS1_14partition_implILS5_0ELb0ES3_jN6thrust23THRUST_200600_302600_NS6detail15normal_iteratorINSA_10device_ptrIjEEEEPS6_SG_NS0_5tupleIJNSA_16discard_iteratorINSA_11use_defaultEEESK_EEENSH_IJSG_SG_EEES6_PlJ7is_evenIjEEEE10hipError_tPvRmT3_T4_T5_T6_T7_T9_mT8_P12ihipStream_tbDpT10_ENKUlT_T0_E_clISt17integral_constantIbLb1EES18_IbLb0EEEEDaS14_S15_EUlS14_E_NS1_11comp_targetILNS1_3genE4ELNS1_11target_archE910ELNS1_3gpuE8ELNS1_3repE0EEENS1_30default_config_static_selectorELNS0_4arch9wavefront6targetE1EEEvT1_
; %bb.0:
	.section	.rodata,"a",@progbits
	.p2align	6, 0x0
	.amdhsa_kernel _ZN7rocprim17ROCPRIM_400000_NS6detail17trampoline_kernelINS0_14default_configENS1_25partition_config_selectorILNS1_17partition_subalgoE0EjNS0_10empty_typeEbEEZZNS1_14partition_implILS5_0ELb0ES3_jN6thrust23THRUST_200600_302600_NS6detail15normal_iteratorINSA_10device_ptrIjEEEEPS6_SG_NS0_5tupleIJNSA_16discard_iteratorINSA_11use_defaultEEESK_EEENSH_IJSG_SG_EEES6_PlJ7is_evenIjEEEE10hipError_tPvRmT3_T4_T5_T6_T7_T9_mT8_P12ihipStream_tbDpT10_ENKUlT_T0_E_clISt17integral_constantIbLb1EES18_IbLb0EEEEDaS14_S15_EUlS14_E_NS1_11comp_targetILNS1_3genE4ELNS1_11target_archE910ELNS1_3gpuE8ELNS1_3repE0EEENS1_30default_config_static_selectorELNS0_4arch9wavefront6targetE1EEEvT1_
		.amdhsa_group_segment_fixed_size 0
		.amdhsa_private_segment_fixed_size 0
		.amdhsa_kernarg_size 136
		.amdhsa_user_sgpr_count 2
		.amdhsa_user_sgpr_dispatch_ptr 0
		.amdhsa_user_sgpr_queue_ptr 0
		.amdhsa_user_sgpr_kernarg_segment_ptr 1
		.amdhsa_user_sgpr_dispatch_id 0
		.amdhsa_user_sgpr_kernarg_preload_length 0
		.amdhsa_user_sgpr_kernarg_preload_offset 0
		.amdhsa_user_sgpr_private_segment_size 0
		.amdhsa_uses_dynamic_stack 0
		.amdhsa_enable_private_segment 0
		.amdhsa_system_sgpr_workgroup_id_x 1
		.amdhsa_system_sgpr_workgroup_id_y 0
		.amdhsa_system_sgpr_workgroup_id_z 0
		.amdhsa_system_sgpr_workgroup_info 0
		.amdhsa_system_vgpr_workitem_id 0
		.amdhsa_next_free_vgpr 1
		.amdhsa_next_free_sgpr 0
		.amdhsa_accum_offset 4
		.amdhsa_reserve_vcc 0
		.amdhsa_float_round_mode_32 0
		.amdhsa_float_round_mode_16_64 0
		.amdhsa_float_denorm_mode_32 3
		.amdhsa_float_denorm_mode_16_64 3
		.amdhsa_dx10_clamp 1
		.amdhsa_ieee_mode 1
		.amdhsa_fp16_overflow 0
		.amdhsa_tg_split 0
		.amdhsa_exception_fp_ieee_invalid_op 0
		.amdhsa_exception_fp_denorm_src 0
		.amdhsa_exception_fp_ieee_div_zero 0
		.amdhsa_exception_fp_ieee_overflow 0
		.amdhsa_exception_fp_ieee_underflow 0
		.amdhsa_exception_fp_ieee_inexact 0
		.amdhsa_exception_int_div_zero 0
	.end_amdhsa_kernel
	.section	.text._ZN7rocprim17ROCPRIM_400000_NS6detail17trampoline_kernelINS0_14default_configENS1_25partition_config_selectorILNS1_17partition_subalgoE0EjNS0_10empty_typeEbEEZZNS1_14partition_implILS5_0ELb0ES3_jN6thrust23THRUST_200600_302600_NS6detail15normal_iteratorINSA_10device_ptrIjEEEEPS6_SG_NS0_5tupleIJNSA_16discard_iteratorINSA_11use_defaultEEESK_EEENSH_IJSG_SG_EEES6_PlJ7is_evenIjEEEE10hipError_tPvRmT3_T4_T5_T6_T7_T9_mT8_P12ihipStream_tbDpT10_ENKUlT_T0_E_clISt17integral_constantIbLb1EES18_IbLb0EEEEDaS14_S15_EUlS14_E_NS1_11comp_targetILNS1_3genE4ELNS1_11target_archE910ELNS1_3gpuE8ELNS1_3repE0EEENS1_30default_config_static_selectorELNS0_4arch9wavefront6targetE1EEEvT1_,"axG",@progbits,_ZN7rocprim17ROCPRIM_400000_NS6detail17trampoline_kernelINS0_14default_configENS1_25partition_config_selectorILNS1_17partition_subalgoE0EjNS0_10empty_typeEbEEZZNS1_14partition_implILS5_0ELb0ES3_jN6thrust23THRUST_200600_302600_NS6detail15normal_iteratorINSA_10device_ptrIjEEEEPS6_SG_NS0_5tupleIJNSA_16discard_iteratorINSA_11use_defaultEEESK_EEENSH_IJSG_SG_EEES6_PlJ7is_evenIjEEEE10hipError_tPvRmT3_T4_T5_T6_T7_T9_mT8_P12ihipStream_tbDpT10_ENKUlT_T0_E_clISt17integral_constantIbLb1EES18_IbLb0EEEEDaS14_S15_EUlS14_E_NS1_11comp_targetILNS1_3genE4ELNS1_11target_archE910ELNS1_3gpuE8ELNS1_3repE0EEENS1_30default_config_static_selectorELNS0_4arch9wavefront6targetE1EEEvT1_,comdat
.Lfunc_end2413:
	.size	_ZN7rocprim17ROCPRIM_400000_NS6detail17trampoline_kernelINS0_14default_configENS1_25partition_config_selectorILNS1_17partition_subalgoE0EjNS0_10empty_typeEbEEZZNS1_14partition_implILS5_0ELb0ES3_jN6thrust23THRUST_200600_302600_NS6detail15normal_iteratorINSA_10device_ptrIjEEEEPS6_SG_NS0_5tupleIJNSA_16discard_iteratorINSA_11use_defaultEEESK_EEENSH_IJSG_SG_EEES6_PlJ7is_evenIjEEEE10hipError_tPvRmT3_T4_T5_T6_T7_T9_mT8_P12ihipStream_tbDpT10_ENKUlT_T0_E_clISt17integral_constantIbLb1EES18_IbLb0EEEEDaS14_S15_EUlS14_E_NS1_11comp_targetILNS1_3genE4ELNS1_11target_archE910ELNS1_3gpuE8ELNS1_3repE0EEENS1_30default_config_static_selectorELNS0_4arch9wavefront6targetE1EEEvT1_, .Lfunc_end2413-_ZN7rocprim17ROCPRIM_400000_NS6detail17trampoline_kernelINS0_14default_configENS1_25partition_config_selectorILNS1_17partition_subalgoE0EjNS0_10empty_typeEbEEZZNS1_14partition_implILS5_0ELb0ES3_jN6thrust23THRUST_200600_302600_NS6detail15normal_iteratorINSA_10device_ptrIjEEEEPS6_SG_NS0_5tupleIJNSA_16discard_iteratorINSA_11use_defaultEEESK_EEENSH_IJSG_SG_EEES6_PlJ7is_evenIjEEEE10hipError_tPvRmT3_T4_T5_T6_T7_T9_mT8_P12ihipStream_tbDpT10_ENKUlT_T0_E_clISt17integral_constantIbLb1EES18_IbLb0EEEEDaS14_S15_EUlS14_E_NS1_11comp_targetILNS1_3genE4ELNS1_11target_archE910ELNS1_3gpuE8ELNS1_3repE0EEENS1_30default_config_static_selectorELNS0_4arch9wavefront6targetE1EEEvT1_
                                        ; -- End function
	.section	.AMDGPU.csdata,"",@progbits
; Kernel info:
; codeLenInByte = 0
; NumSgprs: 6
; NumVgprs: 0
; NumAgprs: 0
; TotalNumVgprs: 0
; ScratchSize: 0
; MemoryBound: 0
; FloatMode: 240
; IeeeMode: 1
; LDSByteSize: 0 bytes/workgroup (compile time only)
; SGPRBlocks: 0
; VGPRBlocks: 0
; NumSGPRsForWavesPerEU: 6
; NumVGPRsForWavesPerEU: 1
; AccumOffset: 4
; Occupancy: 8
; WaveLimiterHint : 0
; COMPUTE_PGM_RSRC2:SCRATCH_EN: 0
; COMPUTE_PGM_RSRC2:USER_SGPR: 2
; COMPUTE_PGM_RSRC2:TRAP_HANDLER: 0
; COMPUTE_PGM_RSRC2:TGID_X_EN: 1
; COMPUTE_PGM_RSRC2:TGID_Y_EN: 0
; COMPUTE_PGM_RSRC2:TGID_Z_EN: 0
; COMPUTE_PGM_RSRC2:TIDIG_COMP_CNT: 0
; COMPUTE_PGM_RSRC3_GFX90A:ACCUM_OFFSET: 0
; COMPUTE_PGM_RSRC3_GFX90A:TG_SPLIT: 0
	.section	.text._ZN7rocprim17ROCPRIM_400000_NS6detail17trampoline_kernelINS0_14default_configENS1_25partition_config_selectorILNS1_17partition_subalgoE0EjNS0_10empty_typeEbEEZZNS1_14partition_implILS5_0ELb0ES3_jN6thrust23THRUST_200600_302600_NS6detail15normal_iteratorINSA_10device_ptrIjEEEEPS6_SG_NS0_5tupleIJNSA_16discard_iteratorINSA_11use_defaultEEESK_EEENSH_IJSG_SG_EEES6_PlJ7is_evenIjEEEE10hipError_tPvRmT3_T4_T5_T6_T7_T9_mT8_P12ihipStream_tbDpT10_ENKUlT_T0_E_clISt17integral_constantIbLb1EES18_IbLb0EEEEDaS14_S15_EUlS14_E_NS1_11comp_targetILNS1_3genE3ELNS1_11target_archE908ELNS1_3gpuE7ELNS1_3repE0EEENS1_30default_config_static_selectorELNS0_4arch9wavefront6targetE1EEEvT1_,"axG",@progbits,_ZN7rocprim17ROCPRIM_400000_NS6detail17trampoline_kernelINS0_14default_configENS1_25partition_config_selectorILNS1_17partition_subalgoE0EjNS0_10empty_typeEbEEZZNS1_14partition_implILS5_0ELb0ES3_jN6thrust23THRUST_200600_302600_NS6detail15normal_iteratorINSA_10device_ptrIjEEEEPS6_SG_NS0_5tupleIJNSA_16discard_iteratorINSA_11use_defaultEEESK_EEENSH_IJSG_SG_EEES6_PlJ7is_evenIjEEEE10hipError_tPvRmT3_T4_T5_T6_T7_T9_mT8_P12ihipStream_tbDpT10_ENKUlT_T0_E_clISt17integral_constantIbLb1EES18_IbLb0EEEEDaS14_S15_EUlS14_E_NS1_11comp_targetILNS1_3genE3ELNS1_11target_archE908ELNS1_3gpuE7ELNS1_3repE0EEENS1_30default_config_static_selectorELNS0_4arch9wavefront6targetE1EEEvT1_,comdat
	.protected	_ZN7rocprim17ROCPRIM_400000_NS6detail17trampoline_kernelINS0_14default_configENS1_25partition_config_selectorILNS1_17partition_subalgoE0EjNS0_10empty_typeEbEEZZNS1_14partition_implILS5_0ELb0ES3_jN6thrust23THRUST_200600_302600_NS6detail15normal_iteratorINSA_10device_ptrIjEEEEPS6_SG_NS0_5tupleIJNSA_16discard_iteratorINSA_11use_defaultEEESK_EEENSH_IJSG_SG_EEES6_PlJ7is_evenIjEEEE10hipError_tPvRmT3_T4_T5_T6_T7_T9_mT8_P12ihipStream_tbDpT10_ENKUlT_T0_E_clISt17integral_constantIbLb1EES18_IbLb0EEEEDaS14_S15_EUlS14_E_NS1_11comp_targetILNS1_3genE3ELNS1_11target_archE908ELNS1_3gpuE7ELNS1_3repE0EEENS1_30default_config_static_selectorELNS0_4arch9wavefront6targetE1EEEvT1_ ; -- Begin function _ZN7rocprim17ROCPRIM_400000_NS6detail17trampoline_kernelINS0_14default_configENS1_25partition_config_selectorILNS1_17partition_subalgoE0EjNS0_10empty_typeEbEEZZNS1_14partition_implILS5_0ELb0ES3_jN6thrust23THRUST_200600_302600_NS6detail15normal_iteratorINSA_10device_ptrIjEEEEPS6_SG_NS0_5tupleIJNSA_16discard_iteratorINSA_11use_defaultEEESK_EEENSH_IJSG_SG_EEES6_PlJ7is_evenIjEEEE10hipError_tPvRmT3_T4_T5_T6_T7_T9_mT8_P12ihipStream_tbDpT10_ENKUlT_T0_E_clISt17integral_constantIbLb1EES18_IbLb0EEEEDaS14_S15_EUlS14_E_NS1_11comp_targetILNS1_3genE3ELNS1_11target_archE908ELNS1_3gpuE7ELNS1_3repE0EEENS1_30default_config_static_selectorELNS0_4arch9wavefront6targetE1EEEvT1_
	.globl	_ZN7rocprim17ROCPRIM_400000_NS6detail17trampoline_kernelINS0_14default_configENS1_25partition_config_selectorILNS1_17partition_subalgoE0EjNS0_10empty_typeEbEEZZNS1_14partition_implILS5_0ELb0ES3_jN6thrust23THRUST_200600_302600_NS6detail15normal_iteratorINSA_10device_ptrIjEEEEPS6_SG_NS0_5tupleIJNSA_16discard_iteratorINSA_11use_defaultEEESK_EEENSH_IJSG_SG_EEES6_PlJ7is_evenIjEEEE10hipError_tPvRmT3_T4_T5_T6_T7_T9_mT8_P12ihipStream_tbDpT10_ENKUlT_T0_E_clISt17integral_constantIbLb1EES18_IbLb0EEEEDaS14_S15_EUlS14_E_NS1_11comp_targetILNS1_3genE3ELNS1_11target_archE908ELNS1_3gpuE7ELNS1_3repE0EEENS1_30default_config_static_selectorELNS0_4arch9wavefront6targetE1EEEvT1_
	.p2align	8
	.type	_ZN7rocprim17ROCPRIM_400000_NS6detail17trampoline_kernelINS0_14default_configENS1_25partition_config_selectorILNS1_17partition_subalgoE0EjNS0_10empty_typeEbEEZZNS1_14partition_implILS5_0ELb0ES3_jN6thrust23THRUST_200600_302600_NS6detail15normal_iteratorINSA_10device_ptrIjEEEEPS6_SG_NS0_5tupleIJNSA_16discard_iteratorINSA_11use_defaultEEESK_EEENSH_IJSG_SG_EEES6_PlJ7is_evenIjEEEE10hipError_tPvRmT3_T4_T5_T6_T7_T9_mT8_P12ihipStream_tbDpT10_ENKUlT_T0_E_clISt17integral_constantIbLb1EES18_IbLb0EEEEDaS14_S15_EUlS14_E_NS1_11comp_targetILNS1_3genE3ELNS1_11target_archE908ELNS1_3gpuE7ELNS1_3repE0EEENS1_30default_config_static_selectorELNS0_4arch9wavefront6targetE1EEEvT1_,@function
_ZN7rocprim17ROCPRIM_400000_NS6detail17trampoline_kernelINS0_14default_configENS1_25partition_config_selectorILNS1_17partition_subalgoE0EjNS0_10empty_typeEbEEZZNS1_14partition_implILS5_0ELb0ES3_jN6thrust23THRUST_200600_302600_NS6detail15normal_iteratorINSA_10device_ptrIjEEEEPS6_SG_NS0_5tupleIJNSA_16discard_iteratorINSA_11use_defaultEEESK_EEENSH_IJSG_SG_EEES6_PlJ7is_evenIjEEEE10hipError_tPvRmT3_T4_T5_T6_T7_T9_mT8_P12ihipStream_tbDpT10_ENKUlT_T0_E_clISt17integral_constantIbLb1EES18_IbLb0EEEEDaS14_S15_EUlS14_E_NS1_11comp_targetILNS1_3genE3ELNS1_11target_archE908ELNS1_3gpuE7ELNS1_3repE0EEENS1_30default_config_static_selectorELNS0_4arch9wavefront6targetE1EEEvT1_: ; @_ZN7rocprim17ROCPRIM_400000_NS6detail17trampoline_kernelINS0_14default_configENS1_25partition_config_selectorILNS1_17partition_subalgoE0EjNS0_10empty_typeEbEEZZNS1_14partition_implILS5_0ELb0ES3_jN6thrust23THRUST_200600_302600_NS6detail15normal_iteratorINSA_10device_ptrIjEEEEPS6_SG_NS0_5tupleIJNSA_16discard_iteratorINSA_11use_defaultEEESK_EEENSH_IJSG_SG_EEES6_PlJ7is_evenIjEEEE10hipError_tPvRmT3_T4_T5_T6_T7_T9_mT8_P12ihipStream_tbDpT10_ENKUlT_T0_E_clISt17integral_constantIbLb1EES18_IbLb0EEEEDaS14_S15_EUlS14_E_NS1_11comp_targetILNS1_3genE3ELNS1_11target_archE908ELNS1_3gpuE7ELNS1_3repE0EEENS1_30default_config_static_selectorELNS0_4arch9wavefront6targetE1EEEvT1_
; %bb.0:
	.section	.rodata,"a",@progbits
	.p2align	6, 0x0
	.amdhsa_kernel _ZN7rocprim17ROCPRIM_400000_NS6detail17trampoline_kernelINS0_14default_configENS1_25partition_config_selectorILNS1_17partition_subalgoE0EjNS0_10empty_typeEbEEZZNS1_14partition_implILS5_0ELb0ES3_jN6thrust23THRUST_200600_302600_NS6detail15normal_iteratorINSA_10device_ptrIjEEEEPS6_SG_NS0_5tupleIJNSA_16discard_iteratorINSA_11use_defaultEEESK_EEENSH_IJSG_SG_EEES6_PlJ7is_evenIjEEEE10hipError_tPvRmT3_T4_T5_T6_T7_T9_mT8_P12ihipStream_tbDpT10_ENKUlT_T0_E_clISt17integral_constantIbLb1EES18_IbLb0EEEEDaS14_S15_EUlS14_E_NS1_11comp_targetILNS1_3genE3ELNS1_11target_archE908ELNS1_3gpuE7ELNS1_3repE0EEENS1_30default_config_static_selectorELNS0_4arch9wavefront6targetE1EEEvT1_
		.amdhsa_group_segment_fixed_size 0
		.amdhsa_private_segment_fixed_size 0
		.amdhsa_kernarg_size 136
		.amdhsa_user_sgpr_count 2
		.amdhsa_user_sgpr_dispatch_ptr 0
		.amdhsa_user_sgpr_queue_ptr 0
		.amdhsa_user_sgpr_kernarg_segment_ptr 1
		.amdhsa_user_sgpr_dispatch_id 0
		.amdhsa_user_sgpr_kernarg_preload_length 0
		.amdhsa_user_sgpr_kernarg_preload_offset 0
		.amdhsa_user_sgpr_private_segment_size 0
		.amdhsa_uses_dynamic_stack 0
		.amdhsa_enable_private_segment 0
		.amdhsa_system_sgpr_workgroup_id_x 1
		.amdhsa_system_sgpr_workgroup_id_y 0
		.amdhsa_system_sgpr_workgroup_id_z 0
		.amdhsa_system_sgpr_workgroup_info 0
		.amdhsa_system_vgpr_workitem_id 0
		.amdhsa_next_free_vgpr 1
		.amdhsa_next_free_sgpr 0
		.amdhsa_accum_offset 4
		.amdhsa_reserve_vcc 0
		.amdhsa_float_round_mode_32 0
		.amdhsa_float_round_mode_16_64 0
		.amdhsa_float_denorm_mode_32 3
		.amdhsa_float_denorm_mode_16_64 3
		.amdhsa_dx10_clamp 1
		.amdhsa_ieee_mode 1
		.amdhsa_fp16_overflow 0
		.amdhsa_tg_split 0
		.amdhsa_exception_fp_ieee_invalid_op 0
		.amdhsa_exception_fp_denorm_src 0
		.amdhsa_exception_fp_ieee_div_zero 0
		.amdhsa_exception_fp_ieee_overflow 0
		.amdhsa_exception_fp_ieee_underflow 0
		.amdhsa_exception_fp_ieee_inexact 0
		.amdhsa_exception_int_div_zero 0
	.end_amdhsa_kernel
	.section	.text._ZN7rocprim17ROCPRIM_400000_NS6detail17trampoline_kernelINS0_14default_configENS1_25partition_config_selectorILNS1_17partition_subalgoE0EjNS0_10empty_typeEbEEZZNS1_14partition_implILS5_0ELb0ES3_jN6thrust23THRUST_200600_302600_NS6detail15normal_iteratorINSA_10device_ptrIjEEEEPS6_SG_NS0_5tupleIJNSA_16discard_iteratorINSA_11use_defaultEEESK_EEENSH_IJSG_SG_EEES6_PlJ7is_evenIjEEEE10hipError_tPvRmT3_T4_T5_T6_T7_T9_mT8_P12ihipStream_tbDpT10_ENKUlT_T0_E_clISt17integral_constantIbLb1EES18_IbLb0EEEEDaS14_S15_EUlS14_E_NS1_11comp_targetILNS1_3genE3ELNS1_11target_archE908ELNS1_3gpuE7ELNS1_3repE0EEENS1_30default_config_static_selectorELNS0_4arch9wavefront6targetE1EEEvT1_,"axG",@progbits,_ZN7rocprim17ROCPRIM_400000_NS6detail17trampoline_kernelINS0_14default_configENS1_25partition_config_selectorILNS1_17partition_subalgoE0EjNS0_10empty_typeEbEEZZNS1_14partition_implILS5_0ELb0ES3_jN6thrust23THRUST_200600_302600_NS6detail15normal_iteratorINSA_10device_ptrIjEEEEPS6_SG_NS0_5tupleIJNSA_16discard_iteratorINSA_11use_defaultEEESK_EEENSH_IJSG_SG_EEES6_PlJ7is_evenIjEEEE10hipError_tPvRmT3_T4_T5_T6_T7_T9_mT8_P12ihipStream_tbDpT10_ENKUlT_T0_E_clISt17integral_constantIbLb1EES18_IbLb0EEEEDaS14_S15_EUlS14_E_NS1_11comp_targetILNS1_3genE3ELNS1_11target_archE908ELNS1_3gpuE7ELNS1_3repE0EEENS1_30default_config_static_selectorELNS0_4arch9wavefront6targetE1EEEvT1_,comdat
.Lfunc_end2414:
	.size	_ZN7rocprim17ROCPRIM_400000_NS6detail17trampoline_kernelINS0_14default_configENS1_25partition_config_selectorILNS1_17partition_subalgoE0EjNS0_10empty_typeEbEEZZNS1_14partition_implILS5_0ELb0ES3_jN6thrust23THRUST_200600_302600_NS6detail15normal_iteratorINSA_10device_ptrIjEEEEPS6_SG_NS0_5tupleIJNSA_16discard_iteratorINSA_11use_defaultEEESK_EEENSH_IJSG_SG_EEES6_PlJ7is_evenIjEEEE10hipError_tPvRmT3_T4_T5_T6_T7_T9_mT8_P12ihipStream_tbDpT10_ENKUlT_T0_E_clISt17integral_constantIbLb1EES18_IbLb0EEEEDaS14_S15_EUlS14_E_NS1_11comp_targetILNS1_3genE3ELNS1_11target_archE908ELNS1_3gpuE7ELNS1_3repE0EEENS1_30default_config_static_selectorELNS0_4arch9wavefront6targetE1EEEvT1_, .Lfunc_end2414-_ZN7rocprim17ROCPRIM_400000_NS6detail17trampoline_kernelINS0_14default_configENS1_25partition_config_selectorILNS1_17partition_subalgoE0EjNS0_10empty_typeEbEEZZNS1_14partition_implILS5_0ELb0ES3_jN6thrust23THRUST_200600_302600_NS6detail15normal_iteratorINSA_10device_ptrIjEEEEPS6_SG_NS0_5tupleIJNSA_16discard_iteratorINSA_11use_defaultEEESK_EEENSH_IJSG_SG_EEES6_PlJ7is_evenIjEEEE10hipError_tPvRmT3_T4_T5_T6_T7_T9_mT8_P12ihipStream_tbDpT10_ENKUlT_T0_E_clISt17integral_constantIbLb1EES18_IbLb0EEEEDaS14_S15_EUlS14_E_NS1_11comp_targetILNS1_3genE3ELNS1_11target_archE908ELNS1_3gpuE7ELNS1_3repE0EEENS1_30default_config_static_selectorELNS0_4arch9wavefront6targetE1EEEvT1_
                                        ; -- End function
	.section	.AMDGPU.csdata,"",@progbits
; Kernel info:
; codeLenInByte = 0
; NumSgprs: 6
; NumVgprs: 0
; NumAgprs: 0
; TotalNumVgprs: 0
; ScratchSize: 0
; MemoryBound: 0
; FloatMode: 240
; IeeeMode: 1
; LDSByteSize: 0 bytes/workgroup (compile time only)
; SGPRBlocks: 0
; VGPRBlocks: 0
; NumSGPRsForWavesPerEU: 6
; NumVGPRsForWavesPerEU: 1
; AccumOffset: 4
; Occupancy: 8
; WaveLimiterHint : 0
; COMPUTE_PGM_RSRC2:SCRATCH_EN: 0
; COMPUTE_PGM_RSRC2:USER_SGPR: 2
; COMPUTE_PGM_RSRC2:TRAP_HANDLER: 0
; COMPUTE_PGM_RSRC2:TGID_X_EN: 1
; COMPUTE_PGM_RSRC2:TGID_Y_EN: 0
; COMPUTE_PGM_RSRC2:TGID_Z_EN: 0
; COMPUTE_PGM_RSRC2:TIDIG_COMP_CNT: 0
; COMPUTE_PGM_RSRC3_GFX90A:ACCUM_OFFSET: 0
; COMPUTE_PGM_RSRC3_GFX90A:TG_SPLIT: 0
	.section	.text._ZN7rocprim17ROCPRIM_400000_NS6detail17trampoline_kernelINS0_14default_configENS1_25partition_config_selectorILNS1_17partition_subalgoE0EjNS0_10empty_typeEbEEZZNS1_14partition_implILS5_0ELb0ES3_jN6thrust23THRUST_200600_302600_NS6detail15normal_iteratorINSA_10device_ptrIjEEEEPS6_SG_NS0_5tupleIJNSA_16discard_iteratorINSA_11use_defaultEEESK_EEENSH_IJSG_SG_EEES6_PlJ7is_evenIjEEEE10hipError_tPvRmT3_T4_T5_T6_T7_T9_mT8_P12ihipStream_tbDpT10_ENKUlT_T0_E_clISt17integral_constantIbLb1EES18_IbLb0EEEEDaS14_S15_EUlS14_E_NS1_11comp_targetILNS1_3genE2ELNS1_11target_archE906ELNS1_3gpuE6ELNS1_3repE0EEENS1_30default_config_static_selectorELNS0_4arch9wavefront6targetE1EEEvT1_,"axG",@progbits,_ZN7rocprim17ROCPRIM_400000_NS6detail17trampoline_kernelINS0_14default_configENS1_25partition_config_selectorILNS1_17partition_subalgoE0EjNS0_10empty_typeEbEEZZNS1_14partition_implILS5_0ELb0ES3_jN6thrust23THRUST_200600_302600_NS6detail15normal_iteratorINSA_10device_ptrIjEEEEPS6_SG_NS0_5tupleIJNSA_16discard_iteratorINSA_11use_defaultEEESK_EEENSH_IJSG_SG_EEES6_PlJ7is_evenIjEEEE10hipError_tPvRmT3_T4_T5_T6_T7_T9_mT8_P12ihipStream_tbDpT10_ENKUlT_T0_E_clISt17integral_constantIbLb1EES18_IbLb0EEEEDaS14_S15_EUlS14_E_NS1_11comp_targetILNS1_3genE2ELNS1_11target_archE906ELNS1_3gpuE6ELNS1_3repE0EEENS1_30default_config_static_selectorELNS0_4arch9wavefront6targetE1EEEvT1_,comdat
	.protected	_ZN7rocprim17ROCPRIM_400000_NS6detail17trampoline_kernelINS0_14default_configENS1_25partition_config_selectorILNS1_17partition_subalgoE0EjNS0_10empty_typeEbEEZZNS1_14partition_implILS5_0ELb0ES3_jN6thrust23THRUST_200600_302600_NS6detail15normal_iteratorINSA_10device_ptrIjEEEEPS6_SG_NS0_5tupleIJNSA_16discard_iteratorINSA_11use_defaultEEESK_EEENSH_IJSG_SG_EEES6_PlJ7is_evenIjEEEE10hipError_tPvRmT3_T4_T5_T6_T7_T9_mT8_P12ihipStream_tbDpT10_ENKUlT_T0_E_clISt17integral_constantIbLb1EES18_IbLb0EEEEDaS14_S15_EUlS14_E_NS1_11comp_targetILNS1_3genE2ELNS1_11target_archE906ELNS1_3gpuE6ELNS1_3repE0EEENS1_30default_config_static_selectorELNS0_4arch9wavefront6targetE1EEEvT1_ ; -- Begin function _ZN7rocprim17ROCPRIM_400000_NS6detail17trampoline_kernelINS0_14default_configENS1_25partition_config_selectorILNS1_17partition_subalgoE0EjNS0_10empty_typeEbEEZZNS1_14partition_implILS5_0ELb0ES3_jN6thrust23THRUST_200600_302600_NS6detail15normal_iteratorINSA_10device_ptrIjEEEEPS6_SG_NS0_5tupleIJNSA_16discard_iteratorINSA_11use_defaultEEESK_EEENSH_IJSG_SG_EEES6_PlJ7is_evenIjEEEE10hipError_tPvRmT3_T4_T5_T6_T7_T9_mT8_P12ihipStream_tbDpT10_ENKUlT_T0_E_clISt17integral_constantIbLb1EES18_IbLb0EEEEDaS14_S15_EUlS14_E_NS1_11comp_targetILNS1_3genE2ELNS1_11target_archE906ELNS1_3gpuE6ELNS1_3repE0EEENS1_30default_config_static_selectorELNS0_4arch9wavefront6targetE1EEEvT1_
	.globl	_ZN7rocprim17ROCPRIM_400000_NS6detail17trampoline_kernelINS0_14default_configENS1_25partition_config_selectorILNS1_17partition_subalgoE0EjNS0_10empty_typeEbEEZZNS1_14partition_implILS5_0ELb0ES3_jN6thrust23THRUST_200600_302600_NS6detail15normal_iteratorINSA_10device_ptrIjEEEEPS6_SG_NS0_5tupleIJNSA_16discard_iteratorINSA_11use_defaultEEESK_EEENSH_IJSG_SG_EEES6_PlJ7is_evenIjEEEE10hipError_tPvRmT3_T4_T5_T6_T7_T9_mT8_P12ihipStream_tbDpT10_ENKUlT_T0_E_clISt17integral_constantIbLb1EES18_IbLb0EEEEDaS14_S15_EUlS14_E_NS1_11comp_targetILNS1_3genE2ELNS1_11target_archE906ELNS1_3gpuE6ELNS1_3repE0EEENS1_30default_config_static_selectorELNS0_4arch9wavefront6targetE1EEEvT1_
	.p2align	8
	.type	_ZN7rocprim17ROCPRIM_400000_NS6detail17trampoline_kernelINS0_14default_configENS1_25partition_config_selectorILNS1_17partition_subalgoE0EjNS0_10empty_typeEbEEZZNS1_14partition_implILS5_0ELb0ES3_jN6thrust23THRUST_200600_302600_NS6detail15normal_iteratorINSA_10device_ptrIjEEEEPS6_SG_NS0_5tupleIJNSA_16discard_iteratorINSA_11use_defaultEEESK_EEENSH_IJSG_SG_EEES6_PlJ7is_evenIjEEEE10hipError_tPvRmT3_T4_T5_T6_T7_T9_mT8_P12ihipStream_tbDpT10_ENKUlT_T0_E_clISt17integral_constantIbLb1EES18_IbLb0EEEEDaS14_S15_EUlS14_E_NS1_11comp_targetILNS1_3genE2ELNS1_11target_archE906ELNS1_3gpuE6ELNS1_3repE0EEENS1_30default_config_static_selectorELNS0_4arch9wavefront6targetE1EEEvT1_,@function
_ZN7rocprim17ROCPRIM_400000_NS6detail17trampoline_kernelINS0_14default_configENS1_25partition_config_selectorILNS1_17partition_subalgoE0EjNS0_10empty_typeEbEEZZNS1_14partition_implILS5_0ELb0ES3_jN6thrust23THRUST_200600_302600_NS6detail15normal_iteratorINSA_10device_ptrIjEEEEPS6_SG_NS0_5tupleIJNSA_16discard_iteratorINSA_11use_defaultEEESK_EEENSH_IJSG_SG_EEES6_PlJ7is_evenIjEEEE10hipError_tPvRmT3_T4_T5_T6_T7_T9_mT8_P12ihipStream_tbDpT10_ENKUlT_T0_E_clISt17integral_constantIbLb1EES18_IbLb0EEEEDaS14_S15_EUlS14_E_NS1_11comp_targetILNS1_3genE2ELNS1_11target_archE906ELNS1_3gpuE6ELNS1_3repE0EEENS1_30default_config_static_selectorELNS0_4arch9wavefront6targetE1EEEvT1_: ; @_ZN7rocprim17ROCPRIM_400000_NS6detail17trampoline_kernelINS0_14default_configENS1_25partition_config_selectorILNS1_17partition_subalgoE0EjNS0_10empty_typeEbEEZZNS1_14partition_implILS5_0ELb0ES3_jN6thrust23THRUST_200600_302600_NS6detail15normal_iteratorINSA_10device_ptrIjEEEEPS6_SG_NS0_5tupleIJNSA_16discard_iteratorINSA_11use_defaultEEESK_EEENSH_IJSG_SG_EEES6_PlJ7is_evenIjEEEE10hipError_tPvRmT3_T4_T5_T6_T7_T9_mT8_P12ihipStream_tbDpT10_ENKUlT_T0_E_clISt17integral_constantIbLb1EES18_IbLb0EEEEDaS14_S15_EUlS14_E_NS1_11comp_targetILNS1_3genE2ELNS1_11target_archE906ELNS1_3gpuE6ELNS1_3repE0EEENS1_30default_config_static_selectorELNS0_4arch9wavefront6targetE1EEEvT1_
; %bb.0:
	.section	.rodata,"a",@progbits
	.p2align	6, 0x0
	.amdhsa_kernel _ZN7rocprim17ROCPRIM_400000_NS6detail17trampoline_kernelINS0_14default_configENS1_25partition_config_selectorILNS1_17partition_subalgoE0EjNS0_10empty_typeEbEEZZNS1_14partition_implILS5_0ELb0ES3_jN6thrust23THRUST_200600_302600_NS6detail15normal_iteratorINSA_10device_ptrIjEEEEPS6_SG_NS0_5tupleIJNSA_16discard_iteratorINSA_11use_defaultEEESK_EEENSH_IJSG_SG_EEES6_PlJ7is_evenIjEEEE10hipError_tPvRmT3_T4_T5_T6_T7_T9_mT8_P12ihipStream_tbDpT10_ENKUlT_T0_E_clISt17integral_constantIbLb1EES18_IbLb0EEEEDaS14_S15_EUlS14_E_NS1_11comp_targetILNS1_3genE2ELNS1_11target_archE906ELNS1_3gpuE6ELNS1_3repE0EEENS1_30default_config_static_selectorELNS0_4arch9wavefront6targetE1EEEvT1_
		.amdhsa_group_segment_fixed_size 0
		.amdhsa_private_segment_fixed_size 0
		.amdhsa_kernarg_size 136
		.amdhsa_user_sgpr_count 2
		.amdhsa_user_sgpr_dispatch_ptr 0
		.amdhsa_user_sgpr_queue_ptr 0
		.amdhsa_user_sgpr_kernarg_segment_ptr 1
		.amdhsa_user_sgpr_dispatch_id 0
		.amdhsa_user_sgpr_kernarg_preload_length 0
		.amdhsa_user_sgpr_kernarg_preload_offset 0
		.amdhsa_user_sgpr_private_segment_size 0
		.amdhsa_uses_dynamic_stack 0
		.amdhsa_enable_private_segment 0
		.amdhsa_system_sgpr_workgroup_id_x 1
		.amdhsa_system_sgpr_workgroup_id_y 0
		.amdhsa_system_sgpr_workgroup_id_z 0
		.amdhsa_system_sgpr_workgroup_info 0
		.amdhsa_system_vgpr_workitem_id 0
		.amdhsa_next_free_vgpr 1
		.amdhsa_next_free_sgpr 0
		.amdhsa_accum_offset 4
		.amdhsa_reserve_vcc 0
		.amdhsa_float_round_mode_32 0
		.amdhsa_float_round_mode_16_64 0
		.amdhsa_float_denorm_mode_32 3
		.amdhsa_float_denorm_mode_16_64 3
		.amdhsa_dx10_clamp 1
		.amdhsa_ieee_mode 1
		.amdhsa_fp16_overflow 0
		.amdhsa_tg_split 0
		.amdhsa_exception_fp_ieee_invalid_op 0
		.amdhsa_exception_fp_denorm_src 0
		.amdhsa_exception_fp_ieee_div_zero 0
		.amdhsa_exception_fp_ieee_overflow 0
		.amdhsa_exception_fp_ieee_underflow 0
		.amdhsa_exception_fp_ieee_inexact 0
		.amdhsa_exception_int_div_zero 0
	.end_amdhsa_kernel
	.section	.text._ZN7rocprim17ROCPRIM_400000_NS6detail17trampoline_kernelINS0_14default_configENS1_25partition_config_selectorILNS1_17partition_subalgoE0EjNS0_10empty_typeEbEEZZNS1_14partition_implILS5_0ELb0ES3_jN6thrust23THRUST_200600_302600_NS6detail15normal_iteratorINSA_10device_ptrIjEEEEPS6_SG_NS0_5tupleIJNSA_16discard_iteratorINSA_11use_defaultEEESK_EEENSH_IJSG_SG_EEES6_PlJ7is_evenIjEEEE10hipError_tPvRmT3_T4_T5_T6_T7_T9_mT8_P12ihipStream_tbDpT10_ENKUlT_T0_E_clISt17integral_constantIbLb1EES18_IbLb0EEEEDaS14_S15_EUlS14_E_NS1_11comp_targetILNS1_3genE2ELNS1_11target_archE906ELNS1_3gpuE6ELNS1_3repE0EEENS1_30default_config_static_selectorELNS0_4arch9wavefront6targetE1EEEvT1_,"axG",@progbits,_ZN7rocprim17ROCPRIM_400000_NS6detail17trampoline_kernelINS0_14default_configENS1_25partition_config_selectorILNS1_17partition_subalgoE0EjNS0_10empty_typeEbEEZZNS1_14partition_implILS5_0ELb0ES3_jN6thrust23THRUST_200600_302600_NS6detail15normal_iteratorINSA_10device_ptrIjEEEEPS6_SG_NS0_5tupleIJNSA_16discard_iteratorINSA_11use_defaultEEESK_EEENSH_IJSG_SG_EEES6_PlJ7is_evenIjEEEE10hipError_tPvRmT3_T4_T5_T6_T7_T9_mT8_P12ihipStream_tbDpT10_ENKUlT_T0_E_clISt17integral_constantIbLb1EES18_IbLb0EEEEDaS14_S15_EUlS14_E_NS1_11comp_targetILNS1_3genE2ELNS1_11target_archE906ELNS1_3gpuE6ELNS1_3repE0EEENS1_30default_config_static_selectorELNS0_4arch9wavefront6targetE1EEEvT1_,comdat
.Lfunc_end2415:
	.size	_ZN7rocprim17ROCPRIM_400000_NS6detail17trampoline_kernelINS0_14default_configENS1_25partition_config_selectorILNS1_17partition_subalgoE0EjNS0_10empty_typeEbEEZZNS1_14partition_implILS5_0ELb0ES3_jN6thrust23THRUST_200600_302600_NS6detail15normal_iteratorINSA_10device_ptrIjEEEEPS6_SG_NS0_5tupleIJNSA_16discard_iteratorINSA_11use_defaultEEESK_EEENSH_IJSG_SG_EEES6_PlJ7is_evenIjEEEE10hipError_tPvRmT3_T4_T5_T6_T7_T9_mT8_P12ihipStream_tbDpT10_ENKUlT_T0_E_clISt17integral_constantIbLb1EES18_IbLb0EEEEDaS14_S15_EUlS14_E_NS1_11comp_targetILNS1_3genE2ELNS1_11target_archE906ELNS1_3gpuE6ELNS1_3repE0EEENS1_30default_config_static_selectorELNS0_4arch9wavefront6targetE1EEEvT1_, .Lfunc_end2415-_ZN7rocprim17ROCPRIM_400000_NS6detail17trampoline_kernelINS0_14default_configENS1_25partition_config_selectorILNS1_17partition_subalgoE0EjNS0_10empty_typeEbEEZZNS1_14partition_implILS5_0ELb0ES3_jN6thrust23THRUST_200600_302600_NS6detail15normal_iteratorINSA_10device_ptrIjEEEEPS6_SG_NS0_5tupleIJNSA_16discard_iteratorINSA_11use_defaultEEESK_EEENSH_IJSG_SG_EEES6_PlJ7is_evenIjEEEE10hipError_tPvRmT3_T4_T5_T6_T7_T9_mT8_P12ihipStream_tbDpT10_ENKUlT_T0_E_clISt17integral_constantIbLb1EES18_IbLb0EEEEDaS14_S15_EUlS14_E_NS1_11comp_targetILNS1_3genE2ELNS1_11target_archE906ELNS1_3gpuE6ELNS1_3repE0EEENS1_30default_config_static_selectorELNS0_4arch9wavefront6targetE1EEEvT1_
                                        ; -- End function
	.section	.AMDGPU.csdata,"",@progbits
; Kernel info:
; codeLenInByte = 0
; NumSgprs: 6
; NumVgprs: 0
; NumAgprs: 0
; TotalNumVgprs: 0
; ScratchSize: 0
; MemoryBound: 0
; FloatMode: 240
; IeeeMode: 1
; LDSByteSize: 0 bytes/workgroup (compile time only)
; SGPRBlocks: 0
; VGPRBlocks: 0
; NumSGPRsForWavesPerEU: 6
; NumVGPRsForWavesPerEU: 1
; AccumOffset: 4
; Occupancy: 8
; WaveLimiterHint : 0
; COMPUTE_PGM_RSRC2:SCRATCH_EN: 0
; COMPUTE_PGM_RSRC2:USER_SGPR: 2
; COMPUTE_PGM_RSRC2:TRAP_HANDLER: 0
; COMPUTE_PGM_RSRC2:TGID_X_EN: 1
; COMPUTE_PGM_RSRC2:TGID_Y_EN: 0
; COMPUTE_PGM_RSRC2:TGID_Z_EN: 0
; COMPUTE_PGM_RSRC2:TIDIG_COMP_CNT: 0
; COMPUTE_PGM_RSRC3_GFX90A:ACCUM_OFFSET: 0
; COMPUTE_PGM_RSRC3_GFX90A:TG_SPLIT: 0
	.section	.text._ZN7rocprim17ROCPRIM_400000_NS6detail17trampoline_kernelINS0_14default_configENS1_25partition_config_selectorILNS1_17partition_subalgoE0EjNS0_10empty_typeEbEEZZNS1_14partition_implILS5_0ELb0ES3_jN6thrust23THRUST_200600_302600_NS6detail15normal_iteratorINSA_10device_ptrIjEEEEPS6_SG_NS0_5tupleIJNSA_16discard_iteratorINSA_11use_defaultEEESK_EEENSH_IJSG_SG_EEES6_PlJ7is_evenIjEEEE10hipError_tPvRmT3_T4_T5_T6_T7_T9_mT8_P12ihipStream_tbDpT10_ENKUlT_T0_E_clISt17integral_constantIbLb1EES18_IbLb0EEEEDaS14_S15_EUlS14_E_NS1_11comp_targetILNS1_3genE10ELNS1_11target_archE1200ELNS1_3gpuE4ELNS1_3repE0EEENS1_30default_config_static_selectorELNS0_4arch9wavefront6targetE1EEEvT1_,"axG",@progbits,_ZN7rocprim17ROCPRIM_400000_NS6detail17trampoline_kernelINS0_14default_configENS1_25partition_config_selectorILNS1_17partition_subalgoE0EjNS0_10empty_typeEbEEZZNS1_14partition_implILS5_0ELb0ES3_jN6thrust23THRUST_200600_302600_NS6detail15normal_iteratorINSA_10device_ptrIjEEEEPS6_SG_NS0_5tupleIJNSA_16discard_iteratorINSA_11use_defaultEEESK_EEENSH_IJSG_SG_EEES6_PlJ7is_evenIjEEEE10hipError_tPvRmT3_T4_T5_T6_T7_T9_mT8_P12ihipStream_tbDpT10_ENKUlT_T0_E_clISt17integral_constantIbLb1EES18_IbLb0EEEEDaS14_S15_EUlS14_E_NS1_11comp_targetILNS1_3genE10ELNS1_11target_archE1200ELNS1_3gpuE4ELNS1_3repE0EEENS1_30default_config_static_selectorELNS0_4arch9wavefront6targetE1EEEvT1_,comdat
	.protected	_ZN7rocprim17ROCPRIM_400000_NS6detail17trampoline_kernelINS0_14default_configENS1_25partition_config_selectorILNS1_17partition_subalgoE0EjNS0_10empty_typeEbEEZZNS1_14partition_implILS5_0ELb0ES3_jN6thrust23THRUST_200600_302600_NS6detail15normal_iteratorINSA_10device_ptrIjEEEEPS6_SG_NS0_5tupleIJNSA_16discard_iteratorINSA_11use_defaultEEESK_EEENSH_IJSG_SG_EEES6_PlJ7is_evenIjEEEE10hipError_tPvRmT3_T4_T5_T6_T7_T9_mT8_P12ihipStream_tbDpT10_ENKUlT_T0_E_clISt17integral_constantIbLb1EES18_IbLb0EEEEDaS14_S15_EUlS14_E_NS1_11comp_targetILNS1_3genE10ELNS1_11target_archE1200ELNS1_3gpuE4ELNS1_3repE0EEENS1_30default_config_static_selectorELNS0_4arch9wavefront6targetE1EEEvT1_ ; -- Begin function _ZN7rocprim17ROCPRIM_400000_NS6detail17trampoline_kernelINS0_14default_configENS1_25partition_config_selectorILNS1_17partition_subalgoE0EjNS0_10empty_typeEbEEZZNS1_14partition_implILS5_0ELb0ES3_jN6thrust23THRUST_200600_302600_NS6detail15normal_iteratorINSA_10device_ptrIjEEEEPS6_SG_NS0_5tupleIJNSA_16discard_iteratorINSA_11use_defaultEEESK_EEENSH_IJSG_SG_EEES6_PlJ7is_evenIjEEEE10hipError_tPvRmT3_T4_T5_T6_T7_T9_mT8_P12ihipStream_tbDpT10_ENKUlT_T0_E_clISt17integral_constantIbLb1EES18_IbLb0EEEEDaS14_S15_EUlS14_E_NS1_11comp_targetILNS1_3genE10ELNS1_11target_archE1200ELNS1_3gpuE4ELNS1_3repE0EEENS1_30default_config_static_selectorELNS0_4arch9wavefront6targetE1EEEvT1_
	.globl	_ZN7rocprim17ROCPRIM_400000_NS6detail17trampoline_kernelINS0_14default_configENS1_25partition_config_selectorILNS1_17partition_subalgoE0EjNS0_10empty_typeEbEEZZNS1_14partition_implILS5_0ELb0ES3_jN6thrust23THRUST_200600_302600_NS6detail15normal_iteratorINSA_10device_ptrIjEEEEPS6_SG_NS0_5tupleIJNSA_16discard_iteratorINSA_11use_defaultEEESK_EEENSH_IJSG_SG_EEES6_PlJ7is_evenIjEEEE10hipError_tPvRmT3_T4_T5_T6_T7_T9_mT8_P12ihipStream_tbDpT10_ENKUlT_T0_E_clISt17integral_constantIbLb1EES18_IbLb0EEEEDaS14_S15_EUlS14_E_NS1_11comp_targetILNS1_3genE10ELNS1_11target_archE1200ELNS1_3gpuE4ELNS1_3repE0EEENS1_30default_config_static_selectorELNS0_4arch9wavefront6targetE1EEEvT1_
	.p2align	8
	.type	_ZN7rocprim17ROCPRIM_400000_NS6detail17trampoline_kernelINS0_14default_configENS1_25partition_config_selectorILNS1_17partition_subalgoE0EjNS0_10empty_typeEbEEZZNS1_14partition_implILS5_0ELb0ES3_jN6thrust23THRUST_200600_302600_NS6detail15normal_iteratorINSA_10device_ptrIjEEEEPS6_SG_NS0_5tupleIJNSA_16discard_iteratorINSA_11use_defaultEEESK_EEENSH_IJSG_SG_EEES6_PlJ7is_evenIjEEEE10hipError_tPvRmT3_T4_T5_T6_T7_T9_mT8_P12ihipStream_tbDpT10_ENKUlT_T0_E_clISt17integral_constantIbLb1EES18_IbLb0EEEEDaS14_S15_EUlS14_E_NS1_11comp_targetILNS1_3genE10ELNS1_11target_archE1200ELNS1_3gpuE4ELNS1_3repE0EEENS1_30default_config_static_selectorELNS0_4arch9wavefront6targetE1EEEvT1_,@function
_ZN7rocprim17ROCPRIM_400000_NS6detail17trampoline_kernelINS0_14default_configENS1_25partition_config_selectorILNS1_17partition_subalgoE0EjNS0_10empty_typeEbEEZZNS1_14partition_implILS5_0ELb0ES3_jN6thrust23THRUST_200600_302600_NS6detail15normal_iteratorINSA_10device_ptrIjEEEEPS6_SG_NS0_5tupleIJNSA_16discard_iteratorINSA_11use_defaultEEESK_EEENSH_IJSG_SG_EEES6_PlJ7is_evenIjEEEE10hipError_tPvRmT3_T4_T5_T6_T7_T9_mT8_P12ihipStream_tbDpT10_ENKUlT_T0_E_clISt17integral_constantIbLb1EES18_IbLb0EEEEDaS14_S15_EUlS14_E_NS1_11comp_targetILNS1_3genE10ELNS1_11target_archE1200ELNS1_3gpuE4ELNS1_3repE0EEENS1_30default_config_static_selectorELNS0_4arch9wavefront6targetE1EEEvT1_: ; @_ZN7rocprim17ROCPRIM_400000_NS6detail17trampoline_kernelINS0_14default_configENS1_25partition_config_selectorILNS1_17partition_subalgoE0EjNS0_10empty_typeEbEEZZNS1_14partition_implILS5_0ELb0ES3_jN6thrust23THRUST_200600_302600_NS6detail15normal_iteratorINSA_10device_ptrIjEEEEPS6_SG_NS0_5tupleIJNSA_16discard_iteratorINSA_11use_defaultEEESK_EEENSH_IJSG_SG_EEES6_PlJ7is_evenIjEEEE10hipError_tPvRmT3_T4_T5_T6_T7_T9_mT8_P12ihipStream_tbDpT10_ENKUlT_T0_E_clISt17integral_constantIbLb1EES18_IbLb0EEEEDaS14_S15_EUlS14_E_NS1_11comp_targetILNS1_3genE10ELNS1_11target_archE1200ELNS1_3gpuE4ELNS1_3repE0EEENS1_30default_config_static_selectorELNS0_4arch9wavefront6targetE1EEEvT1_
; %bb.0:
	.section	.rodata,"a",@progbits
	.p2align	6, 0x0
	.amdhsa_kernel _ZN7rocprim17ROCPRIM_400000_NS6detail17trampoline_kernelINS0_14default_configENS1_25partition_config_selectorILNS1_17partition_subalgoE0EjNS0_10empty_typeEbEEZZNS1_14partition_implILS5_0ELb0ES3_jN6thrust23THRUST_200600_302600_NS6detail15normal_iteratorINSA_10device_ptrIjEEEEPS6_SG_NS0_5tupleIJNSA_16discard_iteratorINSA_11use_defaultEEESK_EEENSH_IJSG_SG_EEES6_PlJ7is_evenIjEEEE10hipError_tPvRmT3_T4_T5_T6_T7_T9_mT8_P12ihipStream_tbDpT10_ENKUlT_T0_E_clISt17integral_constantIbLb1EES18_IbLb0EEEEDaS14_S15_EUlS14_E_NS1_11comp_targetILNS1_3genE10ELNS1_11target_archE1200ELNS1_3gpuE4ELNS1_3repE0EEENS1_30default_config_static_selectorELNS0_4arch9wavefront6targetE1EEEvT1_
		.amdhsa_group_segment_fixed_size 0
		.amdhsa_private_segment_fixed_size 0
		.amdhsa_kernarg_size 136
		.amdhsa_user_sgpr_count 2
		.amdhsa_user_sgpr_dispatch_ptr 0
		.amdhsa_user_sgpr_queue_ptr 0
		.amdhsa_user_sgpr_kernarg_segment_ptr 1
		.amdhsa_user_sgpr_dispatch_id 0
		.amdhsa_user_sgpr_kernarg_preload_length 0
		.amdhsa_user_sgpr_kernarg_preload_offset 0
		.amdhsa_user_sgpr_private_segment_size 0
		.amdhsa_uses_dynamic_stack 0
		.amdhsa_enable_private_segment 0
		.amdhsa_system_sgpr_workgroup_id_x 1
		.amdhsa_system_sgpr_workgroup_id_y 0
		.amdhsa_system_sgpr_workgroup_id_z 0
		.amdhsa_system_sgpr_workgroup_info 0
		.amdhsa_system_vgpr_workitem_id 0
		.amdhsa_next_free_vgpr 1
		.amdhsa_next_free_sgpr 0
		.amdhsa_accum_offset 4
		.amdhsa_reserve_vcc 0
		.amdhsa_float_round_mode_32 0
		.amdhsa_float_round_mode_16_64 0
		.amdhsa_float_denorm_mode_32 3
		.amdhsa_float_denorm_mode_16_64 3
		.amdhsa_dx10_clamp 1
		.amdhsa_ieee_mode 1
		.amdhsa_fp16_overflow 0
		.amdhsa_tg_split 0
		.amdhsa_exception_fp_ieee_invalid_op 0
		.amdhsa_exception_fp_denorm_src 0
		.amdhsa_exception_fp_ieee_div_zero 0
		.amdhsa_exception_fp_ieee_overflow 0
		.amdhsa_exception_fp_ieee_underflow 0
		.amdhsa_exception_fp_ieee_inexact 0
		.amdhsa_exception_int_div_zero 0
	.end_amdhsa_kernel
	.section	.text._ZN7rocprim17ROCPRIM_400000_NS6detail17trampoline_kernelINS0_14default_configENS1_25partition_config_selectorILNS1_17partition_subalgoE0EjNS0_10empty_typeEbEEZZNS1_14partition_implILS5_0ELb0ES3_jN6thrust23THRUST_200600_302600_NS6detail15normal_iteratorINSA_10device_ptrIjEEEEPS6_SG_NS0_5tupleIJNSA_16discard_iteratorINSA_11use_defaultEEESK_EEENSH_IJSG_SG_EEES6_PlJ7is_evenIjEEEE10hipError_tPvRmT3_T4_T5_T6_T7_T9_mT8_P12ihipStream_tbDpT10_ENKUlT_T0_E_clISt17integral_constantIbLb1EES18_IbLb0EEEEDaS14_S15_EUlS14_E_NS1_11comp_targetILNS1_3genE10ELNS1_11target_archE1200ELNS1_3gpuE4ELNS1_3repE0EEENS1_30default_config_static_selectorELNS0_4arch9wavefront6targetE1EEEvT1_,"axG",@progbits,_ZN7rocprim17ROCPRIM_400000_NS6detail17trampoline_kernelINS0_14default_configENS1_25partition_config_selectorILNS1_17partition_subalgoE0EjNS0_10empty_typeEbEEZZNS1_14partition_implILS5_0ELb0ES3_jN6thrust23THRUST_200600_302600_NS6detail15normal_iteratorINSA_10device_ptrIjEEEEPS6_SG_NS0_5tupleIJNSA_16discard_iteratorINSA_11use_defaultEEESK_EEENSH_IJSG_SG_EEES6_PlJ7is_evenIjEEEE10hipError_tPvRmT3_T4_T5_T6_T7_T9_mT8_P12ihipStream_tbDpT10_ENKUlT_T0_E_clISt17integral_constantIbLb1EES18_IbLb0EEEEDaS14_S15_EUlS14_E_NS1_11comp_targetILNS1_3genE10ELNS1_11target_archE1200ELNS1_3gpuE4ELNS1_3repE0EEENS1_30default_config_static_selectorELNS0_4arch9wavefront6targetE1EEEvT1_,comdat
.Lfunc_end2416:
	.size	_ZN7rocprim17ROCPRIM_400000_NS6detail17trampoline_kernelINS0_14default_configENS1_25partition_config_selectorILNS1_17partition_subalgoE0EjNS0_10empty_typeEbEEZZNS1_14partition_implILS5_0ELb0ES3_jN6thrust23THRUST_200600_302600_NS6detail15normal_iteratorINSA_10device_ptrIjEEEEPS6_SG_NS0_5tupleIJNSA_16discard_iteratorINSA_11use_defaultEEESK_EEENSH_IJSG_SG_EEES6_PlJ7is_evenIjEEEE10hipError_tPvRmT3_T4_T5_T6_T7_T9_mT8_P12ihipStream_tbDpT10_ENKUlT_T0_E_clISt17integral_constantIbLb1EES18_IbLb0EEEEDaS14_S15_EUlS14_E_NS1_11comp_targetILNS1_3genE10ELNS1_11target_archE1200ELNS1_3gpuE4ELNS1_3repE0EEENS1_30default_config_static_selectorELNS0_4arch9wavefront6targetE1EEEvT1_, .Lfunc_end2416-_ZN7rocprim17ROCPRIM_400000_NS6detail17trampoline_kernelINS0_14default_configENS1_25partition_config_selectorILNS1_17partition_subalgoE0EjNS0_10empty_typeEbEEZZNS1_14partition_implILS5_0ELb0ES3_jN6thrust23THRUST_200600_302600_NS6detail15normal_iteratorINSA_10device_ptrIjEEEEPS6_SG_NS0_5tupleIJNSA_16discard_iteratorINSA_11use_defaultEEESK_EEENSH_IJSG_SG_EEES6_PlJ7is_evenIjEEEE10hipError_tPvRmT3_T4_T5_T6_T7_T9_mT8_P12ihipStream_tbDpT10_ENKUlT_T0_E_clISt17integral_constantIbLb1EES18_IbLb0EEEEDaS14_S15_EUlS14_E_NS1_11comp_targetILNS1_3genE10ELNS1_11target_archE1200ELNS1_3gpuE4ELNS1_3repE0EEENS1_30default_config_static_selectorELNS0_4arch9wavefront6targetE1EEEvT1_
                                        ; -- End function
	.section	.AMDGPU.csdata,"",@progbits
; Kernel info:
; codeLenInByte = 0
; NumSgprs: 6
; NumVgprs: 0
; NumAgprs: 0
; TotalNumVgprs: 0
; ScratchSize: 0
; MemoryBound: 0
; FloatMode: 240
; IeeeMode: 1
; LDSByteSize: 0 bytes/workgroup (compile time only)
; SGPRBlocks: 0
; VGPRBlocks: 0
; NumSGPRsForWavesPerEU: 6
; NumVGPRsForWavesPerEU: 1
; AccumOffset: 4
; Occupancy: 8
; WaveLimiterHint : 0
; COMPUTE_PGM_RSRC2:SCRATCH_EN: 0
; COMPUTE_PGM_RSRC2:USER_SGPR: 2
; COMPUTE_PGM_RSRC2:TRAP_HANDLER: 0
; COMPUTE_PGM_RSRC2:TGID_X_EN: 1
; COMPUTE_PGM_RSRC2:TGID_Y_EN: 0
; COMPUTE_PGM_RSRC2:TGID_Z_EN: 0
; COMPUTE_PGM_RSRC2:TIDIG_COMP_CNT: 0
; COMPUTE_PGM_RSRC3_GFX90A:ACCUM_OFFSET: 0
; COMPUTE_PGM_RSRC3_GFX90A:TG_SPLIT: 0
	.section	.text._ZN7rocprim17ROCPRIM_400000_NS6detail17trampoline_kernelINS0_14default_configENS1_25partition_config_selectorILNS1_17partition_subalgoE0EjNS0_10empty_typeEbEEZZNS1_14partition_implILS5_0ELb0ES3_jN6thrust23THRUST_200600_302600_NS6detail15normal_iteratorINSA_10device_ptrIjEEEEPS6_SG_NS0_5tupleIJNSA_16discard_iteratorINSA_11use_defaultEEESK_EEENSH_IJSG_SG_EEES6_PlJ7is_evenIjEEEE10hipError_tPvRmT3_T4_T5_T6_T7_T9_mT8_P12ihipStream_tbDpT10_ENKUlT_T0_E_clISt17integral_constantIbLb1EES18_IbLb0EEEEDaS14_S15_EUlS14_E_NS1_11comp_targetILNS1_3genE9ELNS1_11target_archE1100ELNS1_3gpuE3ELNS1_3repE0EEENS1_30default_config_static_selectorELNS0_4arch9wavefront6targetE1EEEvT1_,"axG",@progbits,_ZN7rocprim17ROCPRIM_400000_NS6detail17trampoline_kernelINS0_14default_configENS1_25partition_config_selectorILNS1_17partition_subalgoE0EjNS0_10empty_typeEbEEZZNS1_14partition_implILS5_0ELb0ES3_jN6thrust23THRUST_200600_302600_NS6detail15normal_iteratorINSA_10device_ptrIjEEEEPS6_SG_NS0_5tupleIJNSA_16discard_iteratorINSA_11use_defaultEEESK_EEENSH_IJSG_SG_EEES6_PlJ7is_evenIjEEEE10hipError_tPvRmT3_T4_T5_T6_T7_T9_mT8_P12ihipStream_tbDpT10_ENKUlT_T0_E_clISt17integral_constantIbLb1EES18_IbLb0EEEEDaS14_S15_EUlS14_E_NS1_11comp_targetILNS1_3genE9ELNS1_11target_archE1100ELNS1_3gpuE3ELNS1_3repE0EEENS1_30default_config_static_selectorELNS0_4arch9wavefront6targetE1EEEvT1_,comdat
	.protected	_ZN7rocprim17ROCPRIM_400000_NS6detail17trampoline_kernelINS0_14default_configENS1_25partition_config_selectorILNS1_17partition_subalgoE0EjNS0_10empty_typeEbEEZZNS1_14partition_implILS5_0ELb0ES3_jN6thrust23THRUST_200600_302600_NS6detail15normal_iteratorINSA_10device_ptrIjEEEEPS6_SG_NS0_5tupleIJNSA_16discard_iteratorINSA_11use_defaultEEESK_EEENSH_IJSG_SG_EEES6_PlJ7is_evenIjEEEE10hipError_tPvRmT3_T4_T5_T6_T7_T9_mT8_P12ihipStream_tbDpT10_ENKUlT_T0_E_clISt17integral_constantIbLb1EES18_IbLb0EEEEDaS14_S15_EUlS14_E_NS1_11comp_targetILNS1_3genE9ELNS1_11target_archE1100ELNS1_3gpuE3ELNS1_3repE0EEENS1_30default_config_static_selectorELNS0_4arch9wavefront6targetE1EEEvT1_ ; -- Begin function _ZN7rocprim17ROCPRIM_400000_NS6detail17trampoline_kernelINS0_14default_configENS1_25partition_config_selectorILNS1_17partition_subalgoE0EjNS0_10empty_typeEbEEZZNS1_14partition_implILS5_0ELb0ES3_jN6thrust23THRUST_200600_302600_NS6detail15normal_iteratorINSA_10device_ptrIjEEEEPS6_SG_NS0_5tupleIJNSA_16discard_iteratorINSA_11use_defaultEEESK_EEENSH_IJSG_SG_EEES6_PlJ7is_evenIjEEEE10hipError_tPvRmT3_T4_T5_T6_T7_T9_mT8_P12ihipStream_tbDpT10_ENKUlT_T0_E_clISt17integral_constantIbLb1EES18_IbLb0EEEEDaS14_S15_EUlS14_E_NS1_11comp_targetILNS1_3genE9ELNS1_11target_archE1100ELNS1_3gpuE3ELNS1_3repE0EEENS1_30default_config_static_selectorELNS0_4arch9wavefront6targetE1EEEvT1_
	.globl	_ZN7rocprim17ROCPRIM_400000_NS6detail17trampoline_kernelINS0_14default_configENS1_25partition_config_selectorILNS1_17partition_subalgoE0EjNS0_10empty_typeEbEEZZNS1_14partition_implILS5_0ELb0ES3_jN6thrust23THRUST_200600_302600_NS6detail15normal_iteratorINSA_10device_ptrIjEEEEPS6_SG_NS0_5tupleIJNSA_16discard_iteratorINSA_11use_defaultEEESK_EEENSH_IJSG_SG_EEES6_PlJ7is_evenIjEEEE10hipError_tPvRmT3_T4_T5_T6_T7_T9_mT8_P12ihipStream_tbDpT10_ENKUlT_T0_E_clISt17integral_constantIbLb1EES18_IbLb0EEEEDaS14_S15_EUlS14_E_NS1_11comp_targetILNS1_3genE9ELNS1_11target_archE1100ELNS1_3gpuE3ELNS1_3repE0EEENS1_30default_config_static_selectorELNS0_4arch9wavefront6targetE1EEEvT1_
	.p2align	8
	.type	_ZN7rocprim17ROCPRIM_400000_NS6detail17trampoline_kernelINS0_14default_configENS1_25partition_config_selectorILNS1_17partition_subalgoE0EjNS0_10empty_typeEbEEZZNS1_14partition_implILS5_0ELb0ES3_jN6thrust23THRUST_200600_302600_NS6detail15normal_iteratorINSA_10device_ptrIjEEEEPS6_SG_NS0_5tupleIJNSA_16discard_iteratorINSA_11use_defaultEEESK_EEENSH_IJSG_SG_EEES6_PlJ7is_evenIjEEEE10hipError_tPvRmT3_T4_T5_T6_T7_T9_mT8_P12ihipStream_tbDpT10_ENKUlT_T0_E_clISt17integral_constantIbLb1EES18_IbLb0EEEEDaS14_S15_EUlS14_E_NS1_11comp_targetILNS1_3genE9ELNS1_11target_archE1100ELNS1_3gpuE3ELNS1_3repE0EEENS1_30default_config_static_selectorELNS0_4arch9wavefront6targetE1EEEvT1_,@function
_ZN7rocprim17ROCPRIM_400000_NS6detail17trampoline_kernelINS0_14default_configENS1_25partition_config_selectorILNS1_17partition_subalgoE0EjNS0_10empty_typeEbEEZZNS1_14partition_implILS5_0ELb0ES3_jN6thrust23THRUST_200600_302600_NS6detail15normal_iteratorINSA_10device_ptrIjEEEEPS6_SG_NS0_5tupleIJNSA_16discard_iteratorINSA_11use_defaultEEESK_EEENSH_IJSG_SG_EEES6_PlJ7is_evenIjEEEE10hipError_tPvRmT3_T4_T5_T6_T7_T9_mT8_P12ihipStream_tbDpT10_ENKUlT_T0_E_clISt17integral_constantIbLb1EES18_IbLb0EEEEDaS14_S15_EUlS14_E_NS1_11comp_targetILNS1_3genE9ELNS1_11target_archE1100ELNS1_3gpuE3ELNS1_3repE0EEENS1_30default_config_static_selectorELNS0_4arch9wavefront6targetE1EEEvT1_: ; @_ZN7rocprim17ROCPRIM_400000_NS6detail17trampoline_kernelINS0_14default_configENS1_25partition_config_selectorILNS1_17partition_subalgoE0EjNS0_10empty_typeEbEEZZNS1_14partition_implILS5_0ELb0ES3_jN6thrust23THRUST_200600_302600_NS6detail15normal_iteratorINSA_10device_ptrIjEEEEPS6_SG_NS0_5tupleIJNSA_16discard_iteratorINSA_11use_defaultEEESK_EEENSH_IJSG_SG_EEES6_PlJ7is_evenIjEEEE10hipError_tPvRmT3_T4_T5_T6_T7_T9_mT8_P12ihipStream_tbDpT10_ENKUlT_T0_E_clISt17integral_constantIbLb1EES18_IbLb0EEEEDaS14_S15_EUlS14_E_NS1_11comp_targetILNS1_3genE9ELNS1_11target_archE1100ELNS1_3gpuE3ELNS1_3repE0EEENS1_30default_config_static_selectorELNS0_4arch9wavefront6targetE1EEEvT1_
; %bb.0:
	.section	.rodata,"a",@progbits
	.p2align	6, 0x0
	.amdhsa_kernel _ZN7rocprim17ROCPRIM_400000_NS6detail17trampoline_kernelINS0_14default_configENS1_25partition_config_selectorILNS1_17partition_subalgoE0EjNS0_10empty_typeEbEEZZNS1_14partition_implILS5_0ELb0ES3_jN6thrust23THRUST_200600_302600_NS6detail15normal_iteratorINSA_10device_ptrIjEEEEPS6_SG_NS0_5tupleIJNSA_16discard_iteratorINSA_11use_defaultEEESK_EEENSH_IJSG_SG_EEES6_PlJ7is_evenIjEEEE10hipError_tPvRmT3_T4_T5_T6_T7_T9_mT8_P12ihipStream_tbDpT10_ENKUlT_T0_E_clISt17integral_constantIbLb1EES18_IbLb0EEEEDaS14_S15_EUlS14_E_NS1_11comp_targetILNS1_3genE9ELNS1_11target_archE1100ELNS1_3gpuE3ELNS1_3repE0EEENS1_30default_config_static_selectorELNS0_4arch9wavefront6targetE1EEEvT1_
		.amdhsa_group_segment_fixed_size 0
		.amdhsa_private_segment_fixed_size 0
		.amdhsa_kernarg_size 136
		.amdhsa_user_sgpr_count 2
		.amdhsa_user_sgpr_dispatch_ptr 0
		.amdhsa_user_sgpr_queue_ptr 0
		.amdhsa_user_sgpr_kernarg_segment_ptr 1
		.amdhsa_user_sgpr_dispatch_id 0
		.amdhsa_user_sgpr_kernarg_preload_length 0
		.amdhsa_user_sgpr_kernarg_preload_offset 0
		.amdhsa_user_sgpr_private_segment_size 0
		.amdhsa_uses_dynamic_stack 0
		.amdhsa_enable_private_segment 0
		.amdhsa_system_sgpr_workgroup_id_x 1
		.amdhsa_system_sgpr_workgroup_id_y 0
		.amdhsa_system_sgpr_workgroup_id_z 0
		.amdhsa_system_sgpr_workgroup_info 0
		.amdhsa_system_vgpr_workitem_id 0
		.amdhsa_next_free_vgpr 1
		.amdhsa_next_free_sgpr 0
		.amdhsa_accum_offset 4
		.amdhsa_reserve_vcc 0
		.amdhsa_float_round_mode_32 0
		.amdhsa_float_round_mode_16_64 0
		.amdhsa_float_denorm_mode_32 3
		.amdhsa_float_denorm_mode_16_64 3
		.amdhsa_dx10_clamp 1
		.amdhsa_ieee_mode 1
		.amdhsa_fp16_overflow 0
		.amdhsa_tg_split 0
		.amdhsa_exception_fp_ieee_invalid_op 0
		.amdhsa_exception_fp_denorm_src 0
		.amdhsa_exception_fp_ieee_div_zero 0
		.amdhsa_exception_fp_ieee_overflow 0
		.amdhsa_exception_fp_ieee_underflow 0
		.amdhsa_exception_fp_ieee_inexact 0
		.amdhsa_exception_int_div_zero 0
	.end_amdhsa_kernel
	.section	.text._ZN7rocprim17ROCPRIM_400000_NS6detail17trampoline_kernelINS0_14default_configENS1_25partition_config_selectorILNS1_17partition_subalgoE0EjNS0_10empty_typeEbEEZZNS1_14partition_implILS5_0ELb0ES3_jN6thrust23THRUST_200600_302600_NS6detail15normal_iteratorINSA_10device_ptrIjEEEEPS6_SG_NS0_5tupleIJNSA_16discard_iteratorINSA_11use_defaultEEESK_EEENSH_IJSG_SG_EEES6_PlJ7is_evenIjEEEE10hipError_tPvRmT3_T4_T5_T6_T7_T9_mT8_P12ihipStream_tbDpT10_ENKUlT_T0_E_clISt17integral_constantIbLb1EES18_IbLb0EEEEDaS14_S15_EUlS14_E_NS1_11comp_targetILNS1_3genE9ELNS1_11target_archE1100ELNS1_3gpuE3ELNS1_3repE0EEENS1_30default_config_static_selectorELNS0_4arch9wavefront6targetE1EEEvT1_,"axG",@progbits,_ZN7rocprim17ROCPRIM_400000_NS6detail17trampoline_kernelINS0_14default_configENS1_25partition_config_selectorILNS1_17partition_subalgoE0EjNS0_10empty_typeEbEEZZNS1_14partition_implILS5_0ELb0ES3_jN6thrust23THRUST_200600_302600_NS6detail15normal_iteratorINSA_10device_ptrIjEEEEPS6_SG_NS0_5tupleIJNSA_16discard_iteratorINSA_11use_defaultEEESK_EEENSH_IJSG_SG_EEES6_PlJ7is_evenIjEEEE10hipError_tPvRmT3_T4_T5_T6_T7_T9_mT8_P12ihipStream_tbDpT10_ENKUlT_T0_E_clISt17integral_constantIbLb1EES18_IbLb0EEEEDaS14_S15_EUlS14_E_NS1_11comp_targetILNS1_3genE9ELNS1_11target_archE1100ELNS1_3gpuE3ELNS1_3repE0EEENS1_30default_config_static_selectorELNS0_4arch9wavefront6targetE1EEEvT1_,comdat
.Lfunc_end2417:
	.size	_ZN7rocprim17ROCPRIM_400000_NS6detail17trampoline_kernelINS0_14default_configENS1_25partition_config_selectorILNS1_17partition_subalgoE0EjNS0_10empty_typeEbEEZZNS1_14partition_implILS5_0ELb0ES3_jN6thrust23THRUST_200600_302600_NS6detail15normal_iteratorINSA_10device_ptrIjEEEEPS6_SG_NS0_5tupleIJNSA_16discard_iteratorINSA_11use_defaultEEESK_EEENSH_IJSG_SG_EEES6_PlJ7is_evenIjEEEE10hipError_tPvRmT3_T4_T5_T6_T7_T9_mT8_P12ihipStream_tbDpT10_ENKUlT_T0_E_clISt17integral_constantIbLb1EES18_IbLb0EEEEDaS14_S15_EUlS14_E_NS1_11comp_targetILNS1_3genE9ELNS1_11target_archE1100ELNS1_3gpuE3ELNS1_3repE0EEENS1_30default_config_static_selectorELNS0_4arch9wavefront6targetE1EEEvT1_, .Lfunc_end2417-_ZN7rocprim17ROCPRIM_400000_NS6detail17trampoline_kernelINS0_14default_configENS1_25partition_config_selectorILNS1_17partition_subalgoE0EjNS0_10empty_typeEbEEZZNS1_14partition_implILS5_0ELb0ES3_jN6thrust23THRUST_200600_302600_NS6detail15normal_iteratorINSA_10device_ptrIjEEEEPS6_SG_NS0_5tupleIJNSA_16discard_iteratorINSA_11use_defaultEEESK_EEENSH_IJSG_SG_EEES6_PlJ7is_evenIjEEEE10hipError_tPvRmT3_T4_T5_T6_T7_T9_mT8_P12ihipStream_tbDpT10_ENKUlT_T0_E_clISt17integral_constantIbLb1EES18_IbLb0EEEEDaS14_S15_EUlS14_E_NS1_11comp_targetILNS1_3genE9ELNS1_11target_archE1100ELNS1_3gpuE3ELNS1_3repE0EEENS1_30default_config_static_selectorELNS0_4arch9wavefront6targetE1EEEvT1_
                                        ; -- End function
	.section	.AMDGPU.csdata,"",@progbits
; Kernel info:
; codeLenInByte = 0
; NumSgprs: 6
; NumVgprs: 0
; NumAgprs: 0
; TotalNumVgprs: 0
; ScratchSize: 0
; MemoryBound: 0
; FloatMode: 240
; IeeeMode: 1
; LDSByteSize: 0 bytes/workgroup (compile time only)
; SGPRBlocks: 0
; VGPRBlocks: 0
; NumSGPRsForWavesPerEU: 6
; NumVGPRsForWavesPerEU: 1
; AccumOffset: 4
; Occupancy: 8
; WaveLimiterHint : 0
; COMPUTE_PGM_RSRC2:SCRATCH_EN: 0
; COMPUTE_PGM_RSRC2:USER_SGPR: 2
; COMPUTE_PGM_RSRC2:TRAP_HANDLER: 0
; COMPUTE_PGM_RSRC2:TGID_X_EN: 1
; COMPUTE_PGM_RSRC2:TGID_Y_EN: 0
; COMPUTE_PGM_RSRC2:TGID_Z_EN: 0
; COMPUTE_PGM_RSRC2:TIDIG_COMP_CNT: 0
; COMPUTE_PGM_RSRC3_GFX90A:ACCUM_OFFSET: 0
; COMPUTE_PGM_RSRC3_GFX90A:TG_SPLIT: 0
	.section	.text._ZN7rocprim17ROCPRIM_400000_NS6detail17trampoline_kernelINS0_14default_configENS1_25partition_config_selectorILNS1_17partition_subalgoE0EjNS0_10empty_typeEbEEZZNS1_14partition_implILS5_0ELb0ES3_jN6thrust23THRUST_200600_302600_NS6detail15normal_iteratorINSA_10device_ptrIjEEEEPS6_SG_NS0_5tupleIJNSA_16discard_iteratorINSA_11use_defaultEEESK_EEENSH_IJSG_SG_EEES6_PlJ7is_evenIjEEEE10hipError_tPvRmT3_T4_T5_T6_T7_T9_mT8_P12ihipStream_tbDpT10_ENKUlT_T0_E_clISt17integral_constantIbLb1EES18_IbLb0EEEEDaS14_S15_EUlS14_E_NS1_11comp_targetILNS1_3genE8ELNS1_11target_archE1030ELNS1_3gpuE2ELNS1_3repE0EEENS1_30default_config_static_selectorELNS0_4arch9wavefront6targetE1EEEvT1_,"axG",@progbits,_ZN7rocprim17ROCPRIM_400000_NS6detail17trampoline_kernelINS0_14default_configENS1_25partition_config_selectorILNS1_17partition_subalgoE0EjNS0_10empty_typeEbEEZZNS1_14partition_implILS5_0ELb0ES3_jN6thrust23THRUST_200600_302600_NS6detail15normal_iteratorINSA_10device_ptrIjEEEEPS6_SG_NS0_5tupleIJNSA_16discard_iteratorINSA_11use_defaultEEESK_EEENSH_IJSG_SG_EEES6_PlJ7is_evenIjEEEE10hipError_tPvRmT3_T4_T5_T6_T7_T9_mT8_P12ihipStream_tbDpT10_ENKUlT_T0_E_clISt17integral_constantIbLb1EES18_IbLb0EEEEDaS14_S15_EUlS14_E_NS1_11comp_targetILNS1_3genE8ELNS1_11target_archE1030ELNS1_3gpuE2ELNS1_3repE0EEENS1_30default_config_static_selectorELNS0_4arch9wavefront6targetE1EEEvT1_,comdat
	.protected	_ZN7rocprim17ROCPRIM_400000_NS6detail17trampoline_kernelINS0_14default_configENS1_25partition_config_selectorILNS1_17partition_subalgoE0EjNS0_10empty_typeEbEEZZNS1_14partition_implILS5_0ELb0ES3_jN6thrust23THRUST_200600_302600_NS6detail15normal_iteratorINSA_10device_ptrIjEEEEPS6_SG_NS0_5tupleIJNSA_16discard_iteratorINSA_11use_defaultEEESK_EEENSH_IJSG_SG_EEES6_PlJ7is_evenIjEEEE10hipError_tPvRmT3_T4_T5_T6_T7_T9_mT8_P12ihipStream_tbDpT10_ENKUlT_T0_E_clISt17integral_constantIbLb1EES18_IbLb0EEEEDaS14_S15_EUlS14_E_NS1_11comp_targetILNS1_3genE8ELNS1_11target_archE1030ELNS1_3gpuE2ELNS1_3repE0EEENS1_30default_config_static_selectorELNS0_4arch9wavefront6targetE1EEEvT1_ ; -- Begin function _ZN7rocprim17ROCPRIM_400000_NS6detail17trampoline_kernelINS0_14default_configENS1_25partition_config_selectorILNS1_17partition_subalgoE0EjNS0_10empty_typeEbEEZZNS1_14partition_implILS5_0ELb0ES3_jN6thrust23THRUST_200600_302600_NS6detail15normal_iteratorINSA_10device_ptrIjEEEEPS6_SG_NS0_5tupleIJNSA_16discard_iteratorINSA_11use_defaultEEESK_EEENSH_IJSG_SG_EEES6_PlJ7is_evenIjEEEE10hipError_tPvRmT3_T4_T5_T6_T7_T9_mT8_P12ihipStream_tbDpT10_ENKUlT_T0_E_clISt17integral_constantIbLb1EES18_IbLb0EEEEDaS14_S15_EUlS14_E_NS1_11comp_targetILNS1_3genE8ELNS1_11target_archE1030ELNS1_3gpuE2ELNS1_3repE0EEENS1_30default_config_static_selectorELNS0_4arch9wavefront6targetE1EEEvT1_
	.globl	_ZN7rocprim17ROCPRIM_400000_NS6detail17trampoline_kernelINS0_14default_configENS1_25partition_config_selectorILNS1_17partition_subalgoE0EjNS0_10empty_typeEbEEZZNS1_14partition_implILS5_0ELb0ES3_jN6thrust23THRUST_200600_302600_NS6detail15normal_iteratorINSA_10device_ptrIjEEEEPS6_SG_NS0_5tupleIJNSA_16discard_iteratorINSA_11use_defaultEEESK_EEENSH_IJSG_SG_EEES6_PlJ7is_evenIjEEEE10hipError_tPvRmT3_T4_T5_T6_T7_T9_mT8_P12ihipStream_tbDpT10_ENKUlT_T0_E_clISt17integral_constantIbLb1EES18_IbLb0EEEEDaS14_S15_EUlS14_E_NS1_11comp_targetILNS1_3genE8ELNS1_11target_archE1030ELNS1_3gpuE2ELNS1_3repE0EEENS1_30default_config_static_selectorELNS0_4arch9wavefront6targetE1EEEvT1_
	.p2align	8
	.type	_ZN7rocprim17ROCPRIM_400000_NS6detail17trampoline_kernelINS0_14default_configENS1_25partition_config_selectorILNS1_17partition_subalgoE0EjNS0_10empty_typeEbEEZZNS1_14partition_implILS5_0ELb0ES3_jN6thrust23THRUST_200600_302600_NS6detail15normal_iteratorINSA_10device_ptrIjEEEEPS6_SG_NS0_5tupleIJNSA_16discard_iteratorINSA_11use_defaultEEESK_EEENSH_IJSG_SG_EEES6_PlJ7is_evenIjEEEE10hipError_tPvRmT3_T4_T5_T6_T7_T9_mT8_P12ihipStream_tbDpT10_ENKUlT_T0_E_clISt17integral_constantIbLb1EES18_IbLb0EEEEDaS14_S15_EUlS14_E_NS1_11comp_targetILNS1_3genE8ELNS1_11target_archE1030ELNS1_3gpuE2ELNS1_3repE0EEENS1_30default_config_static_selectorELNS0_4arch9wavefront6targetE1EEEvT1_,@function
_ZN7rocprim17ROCPRIM_400000_NS6detail17trampoline_kernelINS0_14default_configENS1_25partition_config_selectorILNS1_17partition_subalgoE0EjNS0_10empty_typeEbEEZZNS1_14partition_implILS5_0ELb0ES3_jN6thrust23THRUST_200600_302600_NS6detail15normal_iteratorINSA_10device_ptrIjEEEEPS6_SG_NS0_5tupleIJNSA_16discard_iteratorINSA_11use_defaultEEESK_EEENSH_IJSG_SG_EEES6_PlJ7is_evenIjEEEE10hipError_tPvRmT3_T4_T5_T6_T7_T9_mT8_P12ihipStream_tbDpT10_ENKUlT_T0_E_clISt17integral_constantIbLb1EES18_IbLb0EEEEDaS14_S15_EUlS14_E_NS1_11comp_targetILNS1_3genE8ELNS1_11target_archE1030ELNS1_3gpuE2ELNS1_3repE0EEENS1_30default_config_static_selectorELNS0_4arch9wavefront6targetE1EEEvT1_: ; @_ZN7rocprim17ROCPRIM_400000_NS6detail17trampoline_kernelINS0_14default_configENS1_25partition_config_selectorILNS1_17partition_subalgoE0EjNS0_10empty_typeEbEEZZNS1_14partition_implILS5_0ELb0ES3_jN6thrust23THRUST_200600_302600_NS6detail15normal_iteratorINSA_10device_ptrIjEEEEPS6_SG_NS0_5tupleIJNSA_16discard_iteratorINSA_11use_defaultEEESK_EEENSH_IJSG_SG_EEES6_PlJ7is_evenIjEEEE10hipError_tPvRmT3_T4_T5_T6_T7_T9_mT8_P12ihipStream_tbDpT10_ENKUlT_T0_E_clISt17integral_constantIbLb1EES18_IbLb0EEEEDaS14_S15_EUlS14_E_NS1_11comp_targetILNS1_3genE8ELNS1_11target_archE1030ELNS1_3gpuE2ELNS1_3repE0EEENS1_30default_config_static_selectorELNS0_4arch9wavefront6targetE1EEEvT1_
; %bb.0:
	.section	.rodata,"a",@progbits
	.p2align	6, 0x0
	.amdhsa_kernel _ZN7rocprim17ROCPRIM_400000_NS6detail17trampoline_kernelINS0_14default_configENS1_25partition_config_selectorILNS1_17partition_subalgoE0EjNS0_10empty_typeEbEEZZNS1_14partition_implILS5_0ELb0ES3_jN6thrust23THRUST_200600_302600_NS6detail15normal_iteratorINSA_10device_ptrIjEEEEPS6_SG_NS0_5tupleIJNSA_16discard_iteratorINSA_11use_defaultEEESK_EEENSH_IJSG_SG_EEES6_PlJ7is_evenIjEEEE10hipError_tPvRmT3_T4_T5_T6_T7_T9_mT8_P12ihipStream_tbDpT10_ENKUlT_T0_E_clISt17integral_constantIbLb1EES18_IbLb0EEEEDaS14_S15_EUlS14_E_NS1_11comp_targetILNS1_3genE8ELNS1_11target_archE1030ELNS1_3gpuE2ELNS1_3repE0EEENS1_30default_config_static_selectorELNS0_4arch9wavefront6targetE1EEEvT1_
		.amdhsa_group_segment_fixed_size 0
		.amdhsa_private_segment_fixed_size 0
		.amdhsa_kernarg_size 136
		.amdhsa_user_sgpr_count 2
		.amdhsa_user_sgpr_dispatch_ptr 0
		.amdhsa_user_sgpr_queue_ptr 0
		.amdhsa_user_sgpr_kernarg_segment_ptr 1
		.amdhsa_user_sgpr_dispatch_id 0
		.amdhsa_user_sgpr_kernarg_preload_length 0
		.amdhsa_user_sgpr_kernarg_preload_offset 0
		.amdhsa_user_sgpr_private_segment_size 0
		.amdhsa_uses_dynamic_stack 0
		.amdhsa_enable_private_segment 0
		.amdhsa_system_sgpr_workgroup_id_x 1
		.amdhsa_system_sgpr_workgroup_id_y 0
		.amdhsa_system_sgpr_workgroup_id_z 0
		.amdhsa_system_sgpr_workgroup_info 0
		.amdhsa_system_vgpr_workitem_id 0
		.amdhsa_next_free_vgpr 1
		.amdhsa_next_free_sgpr 0
		.amdhsa_accum_offset 4
		.amdhsa_reserve_vcc 0
		.amdhsa_float_round_mode_32 0
		.amdhsa_float_round_mode_16_64 0
		.amdhsa_float_denorm_mode_32 3
		.amdhsa_float_denorm_mode_16_64 3
		.amdhsa_dx10_clamp 1
		.amdhsa_ieee_mode 1
		.amdhsa_fp16_overflow 0
		.amdhsa_tg_split 0
		.amdhsa_exception_fp_ieee_invalid_op 0
		.amdhsa_exception_fp_denorm_src 0
		.amdhsa_exception_fp_ieee_div_zero 0
		.amdhsa_exception_fp_ieee_overflow 0
		.amdhsa_exception_fp_ieee_underflow 0
		.amdhsa_exception_fp_ieee_inexact 0
		.amdhsa_exception_int_div_zero 0
	.end_amdhsa_kernel
	.section	.text._ZN7rocprim17ROCPRIM_400000_NS6detail17trampoline_kernelINS0_14default_configENS1_25partition_config_selectorILNS1_17partition_subalgoE0EjNS0_10empty_typeEbEEZZNS1_14partition_implILS5_0ELb0ES3_jN6thrust23THRUST_200600_302600_NS6detail15normal_iteratorINSA_10device_ptrIjEEEEPS6_SG_NS0_5tupleIJNSA_16discard_iteratorINSA_11use_defaultEEESK_EEENSH_IJSG_SG_EEES6_PlJ7is_evenIjEEEE10hipError_tPvRmT3_T4_T5_T6_T7_T9_mT8_P12ihipStream_tbDpT10_ENKUlT_T0_E_clISt17integral_constantIbLb1EES18_IbLb0EEEEDaS14_S15_EUlS14_E_NS1_11comp_targetILNS1_3genE8ELNS1_11target_archE1030ELNS1_3gpuE2ELNS1_3repE0EEENS1_30default_config_static_selectorELNS0_4arch9wavefront6targetE1EEEvT1_,"axG",@progbits,_ZN7rocprim17ROCPRIM_400000_NS6detail17trampoline_kernelINS0_14default_configENS1_25partition_config_selectorILNS1_17partition_subalgoE0EjNS0_10empty_typeEbEEZZNS1_14partition_implILS5_0ELb0ES3_jN6thrust23THRUST_200600_302600_NS6detail15normal_iteratorINSA_10device_ptrIjEEEEPS6_SG_NS0_5tupleIJNSA_16discard_iteratorINSA_11use_defaultEEESK_EEENSH_IJSG_SG_EEES6_PlJ7is_evenIjEEEE10hipError_tPvRmT3_T4_T5_T6_T7_T9_mT8_P12ihipStream_tbDpT10_ENKUlT_T0_E_clISt17integral_constantIbLb1EES18_IbLb0EEEEDaS14_S15_EUlS14_E_NS1_11comp_targetILNS1_3genE8ELNS1_11target_archE1030ELNS1_3gpuE2ELNS1_3repE0EEENS1_30default_config_static_selectorELNS0_4arch9wavefront6targetE1EEEvT1_,comdat
.Lfunc_end2418:
	.size	_ZN7rocprim17ROCPRIM_400000_NS6detail17trampoline_kernelINS0_14default_configENS1_25partition_config_selectorILNS1_17partition_subalgoE0EjNS0_10empty_typeEbEEZZNS1_14partition_implILS5_0ELb0ES3_jN6thrust23THRUST_200600_302600_NS6detail15normal_iteratorINSA_10device_ptrIjEEEEPS6_SG_NS0_5tupleIJNSA_16discard_iteratorINSA_11use_defaultEEESK_EEENSH_IJSG_SG_EEES6_PlJ7is_evenIjEEEE10hipError_tPvRmT3_T4_T5_T6_T7_T9_mT8_P12ihipStream_tbDpT10_ENKUlT_T0_E_clISt17integral_constantIbLb1EES18_IbLb0EEEEDaS14_S15_EUlS14_E_NS1_11comp_targetILNS1_3genE8ELNS1_11target_archE1030ELNS1_3gpuE2ELNS1_3repE0EEENS1_30default_config_static_selectorELNS0_4arch9wavefront6targetE1EEEvT1_, .Lfunc_end2418-_ZN7rocprim17ROCPRIM_400000_NS6detail17trampoline_kernelINS0_14default_configENS1_25partition_config_selectorILNS1_17partition_subalgoE0EjNS0_10empty_typeEbEEZZNS1_14partition_implILS5_0ELb0ES3_jN6thrust23THRUST_200600_302600_NS6detail15normal_iteratorINSA_10device_ptrIjEEEEPS6_SG_NS0_5tupleIJNSA_16discard_iteratorINSA_11use_defaultEEESK_EEENSH_IJSG_SG_EEES6_PlJ7is_evenIjEEEE10hipError_tPvRmT3_T4_T5_T6_T7_T9_mT8_P12ihipStream_tbDpT10_ENKUlT_T0_E_clISt17integral_constantIbLb1EES18_IbLb0EEEEDaS14_S15_EUlS14_E_NS1_11comp_targetILNS1_3genE8ELNS1_11target_archE1030ELNS1_3gpuE2ELNS1_3repE0EEENS1_30default_config_static_selectorELNS0_4arch9wavefront6targetE1EEEvT1_
                                        ; -- End function
	.section	.AMDGPU.csdata,"",@progbits
; Kernel info:
; codeLenInByte = 0
; NumSgprs: 6
; NumVgprs: 0
; NumAgprs: 0
; TotalNumVgprs: 0
; ScratchSize: 0
; MemoryBound: 0
; FloatMode: 240
; IeeeMode: 1
; LDSByteSize: 0 bytes/workgroup (compile time only)
; SGPRBlocks: 0
; VGPRBlocks: 0
; NumSGPRsForWavesPerEU: 6
; NumVGPRsForWavesPerEU: 1
; AccumOffset: 4
; Occupancy: 8
; WaveLimiterHint : 0
; COMPUTE_PGM_RSRC2:SCRATCH_EN: 0
; COMPUTE_PGM_RSRC2:USER_SGPR: 2
; COMPUTE_PGM_RSRC2:TRAP_HANDLER: 0
; COMPUTE_PGM_RSRC2:TGID_X_EN: 1
; COMPUTE_PGM_RSRC2:TGID_Y_EN: 0
; COMPUTE_PGM_RSRC2:TGID_Z_EN: 0
; COMPUTE_PGM_RSRC2:TIDIG_COMP_CNT: 0
; COMPUTE_PGM_RSRC3_GFX90A:ACCUM_OFFSET: 0
; COMPUTE_PGM_RSRC3_GFX90A:TG_SPLIT: 0
	.section	.text._ZN7rocprim17ROCPRIM_400000_NS6detail17trampoline_kernelINS0_14default_configENS1_25partition_config_selectorILNS1_17partition_subalgoE0EjNS0_10empty_typeEbEEZZNS1_14partition_implILS5_0ELb0ES3_jN6thrust23THRUST_200600_302600_NS6detail15normal_iteratorINSA_10device_ptrIjEEEEPS6_SG_NS0_5tupleIJNSA_16discard_iteratorINSA_11use_defaultEEESK_EEENSH_IJSG_SG_EEES6_PlJ7is_evenIjEEEE10hipError_tPvRmT3_T4_T5_T6_T7_T9_mT8_P12ihipStream_tbDpT10_ENKUlT_T0_E_clISt17integral_constantIbLb0EES18_IbLb1EEEEDaS14_S15_EUlS14_E_NS1_11comp_targetILNS1_3genE0ELNS1_11target_archE4294967295ELNS1_3gpuE0ELNS1_3repE0EEENS1_30default_config_static_selectorELNS0_4arch9wavefront6targetE1EEEvT1_,"axG",@progbits,_ZN7rocprim17ROCPRIM_400000_NS6detail17trampoline_kernelINS0_14default_configENS1_25partition_config_selectorILNS1_17partition_subalgoE0EjNS0_10empty_typeEbEEZZNS1_14partition_implILS5_0ELb0ES3_jN6thrust23THRUST_200600_302600_NS6detail15normal_iteratorINSA_10device_ptrIjEEEEPS6_SG_NS0_5tupleIJNSA_16discard_iteratorINSA_11use_defaultEEESK_EEENSH_IJSG_SG_EEES6_PlJ7is_evenIjEEEE10hipError_tPvRmT3_T4_T5_T6_T7_T9_mT8_P12ihipStream_tbDpT10_ENKUlT_T0_E_clISt17integral_constantIbLb0EES18_IbLb1EEEEDaS14_S15_EUlS14_E_NS1_11comp_targetILNS1_3genE0ELNS1_11target_archE4294967295ELNS1_3gpuE0ELNS1_3repE0EEENS1_30default_config_static_selectorELNS0_4arch9wavefront6targetE1EEEvT1_,comdat
	.protected	_ZN7rocprim17ROCPRIM_400000_NS6detail17trampoline_kernelINS0_14default_configENS1_25partition_config_selectorILNS1_17partition_subalgoE0EjNS0_10empty_typeEbEEZZNS1_14partition_implILS5_0ELb0ES3_jN6thrust23THRUST_200600_302600_NS6detail15normal_iteratorINSA_10device_ptrIjEEEEPS6_SG_NS0_5tupleIJNSA_16discard_iteratorINSA_11use_defaultEEESK_EEENSH_IJSG_SG_EEES6_PlJ7is_evenIjEEEE10hipError_tPvRmT3_T4_T5_T6_T7_T9_mT8_P12ihipStream_tbDpT10_ENKUlT_T0_E_clISt17integral_constantIbLb0EES18_IbLb1EEEEDaS14_S15_EUlS14_E_NS1_11comp_targetILNS1_3genE0ELNS1_11target_archE4294967295ELNS1_3gpuE0ELNS1_3repE0EEENS1_30default_config_static_selectorELNS0_4arch9wavefront6targetE1EEEvT1_ ; -- Begin function _ZN7rocprim17ROCPRIM_400000_NS6detail17trampoline_kernelINS0_14default_configENS1_25partition_config_selectorILNS1_17partition_subalgoE0EjNS0_10empty_typeEbEEZZNS1_14partition_implILS5_0ELb0ES3_jN6thrust23THRUST_200600_302600_NS6detail15normal_iteratorINSA_10device_ptrIjEEEEPS6_SG_NS0_5tupleIJNSA_16discard_iteratorINSA_11use_defaultEEESK_EEENSH_IJSG_SG_EEES6_PlJ7is_evenIjEEEE10hipError_tPvRmT3_T4_T5_T6_T7_T9_mT8_P12ihipStream_tbDpT10_ENKUlT_T0_E_clISt17integral_constantIbLb0EES18_IbLb1EEEEDaS14_S15_EUlS14_E_NS1_11comp_targetILNS1_3genE0ELNS1_11target_archE4294967295ELNS1_3gpuE0ELNS1_3repE0EEENS1_30default_config_static_selectorELNS0_4arch9wavefront6targetE1EEEvT1_
	.globl	_ZN7rocprim17ROCPRIM_400000_NS6detail17trampoline_kernelINS0_14default_configENS1_25partition_config_selectorILNS1_17partition_subalgoE0EjNS0_10empty_typeEbEEZZNS1_14partition_implILS5_0ELb0ES3_jN6thrust23THRUST_200600_302600_NS6detail15normal_iteratorINSA_10device_ptrIjEEEEPS6_SG_NS0_5tupleIJNSA_16discard_iteratorINSA_11use_defaultEEESK_EEENSH_IJSG_SG_EEES6_PlJ7is_evenIjEEEE10hipError_tPvRmT3_T4_T5_T6_T7_T9_mT8_P12ihipStream_tbDpT10_ENKUlT_T0_E_clISt17integral_constantIbLb0EES18_IbLb1EEEEDaS14_S15_EUlS14_E_NS1_11comp_targetILNS1_3genE0ELNS1_11target_archE4294967295ELNS1_3gpuE0ELNS1_3repE0EEENS1_30default_config_static_selectorELNS0_4arch9wavefront6targetE1EEEvT1_
	.p2align	8
	.type	_ZN7rocprim17ROCPRIM_400000_NS6detail17trampoline_kernelINS0_14default_configENS1_25partition_config_selectorILNS1_17partition_subalgoE0EjNS0_10empty_typeEbEEZZNS1_14partition_implILS5_0ELb0ES3_jN6thrust23THRUST_200600_302600_NS6detail15normal_iteratorINSA_10device_ptrIjEEEEPS6_SG_NS0_5tupleIJNSA_16discard_iteratorINSA_11use_defaultEEESK_EEENSH_IJSG_SG_EEES6_PlJ7is_evenIjEEEE10hipError_tPvRmT3_T4_T5_T6_T7_T9_mT8_P12ihipStream_tbDpT10_ENKUlT_T0_E_clISt17integral_constantIbLb0EES18_IbLb1EEEEDaS14_S15_EUlS14_E_NS1_11comp_targetILNS1_3genE0ELNS1_11target_archE4294967295ELNS1_3gpuE0ELNS1_3repE0EEENS1_30default_config_static_selectorELNS0_4arch9wavefront6targetE1EEEvT1_,@function
_ZN7rocprim17ROCPRIM_400000_NS6detail17trampoline_kernelINS0_14default_configENS1_25partition_config_selectorILNS1_17partition_subalgoE0EjNS0_10empty_typeEbEEZZNS1_14partition_implILS5_0ELb0ES3_jN6thrust23THRUST_200600_302600_NS6detail15normal_iteratorINSA_10device_ptrIjEEEEPS6_SG_NS0_5tupleIJNSA_16discard_iteratorINSA_11use_defaultEEESK_EEENSH_IJSG_SG_EEES6_PlJ7is_evenIjEEEE10hipError_tPvRmT3_T4_T5_T6_T7_T9_mT8_P12ihipStream_tbDpT10_ENKUlT_T0_E_clISt17integral_constantIbLb0EES18_IbLb1EEEEDaS14_S15_EUlS14_E_NS1_11comp_targetILNS1_3genE0ELNS1_11target_archE4294967295ELNS1_3gpuE0ELNS1_3repE0EEENS1_30default_config_static_selectorELNS0_4arch9wavefront6targetE1EEEvT1_: ; @_ZN7rocprim17ROCPRIM_400000_NS6detail17trampoline_kernelINS0_14default_configENS1_25partition_config_selectorILNS1_17partition_subalgoE0EjNS0_10empty_typeEbEEZZNS1_14partition_implILS5_0ELb0ES3_jN6thrust23THRUST_200600_302600_NS6detail15normal_iteratorINSA_10device_ptrIjEEEEPS6_SG_NS0_5tupleIJNSA_16discard_iteratorINSA_11use_defaultEEESK_EEENSH_IJSG_SG_EEES6_PlJ7is_evenIjEEEE10hipError_tPvRmT3_T4_T5_T6_T7_T9_mT8_P12ihipStream_tbDpT10_ENKUlT_T0_E_clISt17integral_constantIbLb0EES18_IbLb1EEEEDaS14_S15_EUlS14_E_NS1_11comp_targetILNS1_3genE0ELNS1_11target_archE4294967295ELNS1_3gpuE0ELNS1_3repE0EEENS1_30default_config_static_selectorELNS0_4arch9wavefront6targetE1EEEvT1_
; %bb.0:
	.section	.rodata,"a",@progbits
	.p2align	6, 0x0
	.amdhsa_kernel _ZN7rocprim17ROCPRIM_400000_NS6detail17trampoline_kernelINS0_14default_configENS1_25partition_config_selectorILNS1_17partition_subalgoE0EjNS0_10empty_typeEbEEZZNS1_14partition_implILS5_0ELb0ES3_jN6thrust23THRUST_200600_302600_NS6detail15normal_iteratorINSA_10device_ptrIjEEEEPS6_SG_NS0_5tupleIJNSA_16discard_iteratorINSA_11use_defaultEEESK_EEENSH_IJSG_SG_EEES6_PlJ7is_evenIjEEEE10hipError_tPvRmT3_T4_T5_T6_T7_T9_mT8_P12ihipStream_tbDpT10_ENKUlT_T0_E_clISt17integral_constantIbLb0EES18_IbLb1EEEEDaS14_S15_EUlS14_E_NS1_11comp_targetILNS1_3genE0ELNS1_11target_archE4294967295ELNS1_3gpuE0ELNS1_3repE0EEENS1_30default_config_static_selectorELNS0_4arch9wavefront6targetE1EEEvT1_
		.amdhsa_group_segment_fixed_size 0
		.amdhsa_private_segment_fixed_size 0
		.amdhsa_kernarg_size 152
		.amdhsa_user_sgpr_count 2
		.amdhsa_user_sgpr_dispatch_ptr 0
		.amdhsa_user_sgpr_queue_ptr 0
		.amdhsa_user_sgpr_kernarg_segment_ptr 1
		.amdhsa_user_sgpr_dispatch_id 0
		.amdhsa_user_sgpr_kernarg_preload_length 0
		.amdhsa_user_sgpr_kernarg_preload_offset 0
		.amdhsa_user_sgpr_private_segment_size 0
		.amdhsa_uses_dynamic_stack 0
		.amdhsa_enable_private_segment 0
		.amdhsa_system_sgpr_workgroup_id_x 1
		.amdhsa_system_sgpr_workgroup_id_y 0
		.amdhsa_system_sgpr_workgroup_id_z 0
		.amdhsa_system_sgpr_workgroup_info 0
		.amdhsa_system_vgpr_workitem_id 0
		.amdhsa_next_free_vgpr 1
		.amdhsa_next_free_sgpr 0
		.amdhsa_accum_offset 4
		.amdhsa_reserve_vcc 0
		.amdhsa_float_round_mode_32 0
		.amdhsa_float_round_mode_16_64 0
		.amdhsa_float_denorm_mode_32 3
		.amdhsa_float_denorm_mode_16_64 3
		.amdhsa_dx10_clamp 1
		.amdhsa_ieee_mode 1
		.amdhsa_fp16_overflow 0
		.amdhsa_tg_split 0
		.amdhsa_exception_fp_ieee_invalid_op 0
		.amdhsa_exception_fp_denorm_src 0
		.amdhsa_exception_fp_ieee_div_zero 0
		.amdhsa_exception_fp_ieee_overflow 0
		.amdhsa_exception_fp_ieee_underflow 0
		.amdhsa_exception_fp_ieee_inexact 0
		.amdhsa_exception_int_div_zero 0
	.end_amdhsa_kernel
	.section	.text._ZN7rocprim17ROCPRIM_400000_NS6detail17trampoline_kernelINS0_14default_configENS1_25partition_config_selectorILNS1_17partition_subalgoE0EjNS0_10empty_typeEbEEZZNS1_14partition_implILS5_0ELb0ES3_jN6thrust23THRUST_200600_302600_NS6detail15normal_iteratorINSA_10device_ptrIjEEEEPS6_SG_NS0_5tupleIJNSA_16discard_iteratorINSA_11use_defaultEEESK_EEENSH_IJSG_SG_EEES6_PlJ7is_evenIjEEEE10hipError_tPvRmT3_T4_T5_T6_T7_T9_mT8_P12ihipStream_tbDpT10_ENKUlT_T0_E_clISt17integral_constantIbLb0EES18_IbLb1EEEEDaS14_S15_EUlS14_E_NS1_11comp_targetILNS1_3genE0ELNS1_11target_archE4294967295ELNS1_3gpuE0ELNS1_3repE0EEENS1_30default_config_static_selectorELNS0_4arch9wavefront6targetE1EEEvT1_,"axG",@progbits,_ZN7rocprim17ROCPRIM_400000_NS6detail17trampoline_kernelINS0_14default_configENS1_25partition_config_selectorILNS1_17partition_subalgoE0EjNS0_10empty_typeEbEEZZNS1_14partition_implILS5_0ELb0ES3_jN6thrust23THRUST_200600_302600_NS6detail15normal_iteratorINSA_10device_ptrIjEEEEPS6_SG_NS0_5tupleIJNSA_16discard_iteratorINSA_11use_defaultEEESK_EEENSH_IJSG_SG_EEES6_PlJ7is_evenIjEEEE10hipError_tPvRmT3_T4_T5_T6_T7_T9_mT8_P12ihipStream_tbDpT10_ENKUlT_T0_E_clISt17integral_constantIbLb0EES18_IbLb1EEEEDaS14_S15_EUlS14_E_NS1_11comp_targetILNS1_3genE0ELNS1_11target_archE4294967295ELNS1_3gpuE0ELNS1_3repE0EEENS1_30default_config_static_selectorELNS0_4arch9wavefront6targetE1EEEvT1_,comdat
.Lfunc_end2419:
	.size	_ZN7rocprim17ROCPRIM_400000_NS6detail17trampoline_kernelINS0_14default_configENS1_25partition_config_selectorILNS1_17partition_subalgoE0EjNS0_10empty_typeEbEEZZNS1_14partition_implILS5_0ELb0ES3_jN6thrust23THRUST_200600_302600_NS6detail15normal_iteratorINSA_10device_ptrIjEEEEPS6_SG_NS0_5tupleIJNSA_16discard_iteratorINSA_11use_defaultEEESK_EEENSH_IJSG_SG_EEES6_PlJ7is_evenIjEEEE10hipError_tPvRmT3_T4_T5_T6_T7_T9_mT8_P12ihipStream_tbDpT10_ENKUlT_T0_E_clISt17integral_constantIbLb0EES18_IbLb1EEEEDaS14_S15_EUlS14_E_NS1_11comp_targetILNS1_3genE0ELNS1_11target_archE4294967295ELNS1_3gpuE0ELNS1_3repE0EEENS1_30default_config_static_selectorELNS0_4arch9wavefront6targetE1EEEvT1_, .Lfunc_end2419-_ZN7rocprim17ROCPRIM_400000_NS6detail17trampoline_kernelINS0_14default_configENS1_25partition_config_selectorILNS1_17partition_subalgoE0EjNS0_10empty_typeEbEEZZNS1_14partition_implILS5_0ELb0ES3_jN6thrust23THRUST_200600_302600_NS6detail15normal_iteratorINSA_10device_ptrIjEEEEPS6_SG_NS0_5tupleIJNSA_16discard_iteratorINSA_11use_defaultEEESK_EEENSH_IJSG_SG_EEES6_PlJ7is_evenIjEEEE10hipError_tPvRmT3_T4_T5_T6_T7_T9_mT8_P12ihipStream_tbDpT10_ENKUlT_T0_E_clISt17integral_constantIbLb0EES18_IbLb1EEEEDaS14_S15_EUlS14_E_NS1_11comp_targetILNS1_3genE0ELNS1_11target_archE4294967295ELNS1_3gpuE0ELNS1_3repE0EEENS1_30default_config_static_selectorELNS0_4arch9wavefront6targetE1EEEvT1_
                                        ; -- End function
	.section	.AMDGPU.csdata,"",@progbits
; Kernel info:
; codeLenInByte = 0
; NumSgprs: 6
; NumVgprs: 0
; NumAgprs: 0
; TotalNumVgprs: 0
; ScratchSize: 0
; MemoryBound: 0
; FloatMode: 240
; IeeeMode: 1
; LDSByteSize: 0 bytes/workgroup (compile time only)
; SGPRBlocks: 0
; VGPRBlocks: 0
; NumSGPRsForWavesPerEU: 6
; NumVGPRsForWavesPerEU: 1
; AccumOffset: 4
; Occupancy: 8
; WaveLimiterHint : 0
; COMPUTE_PGM_RSRC2:SCRATCH_EN: 0
; COMPUTE_PGM_RSRC2:USER_SGPR: 2
; COMPUTE_PGM_RSRC2:TRAP_HANDLER: 0
; COMPUTE_PGM_RSRC2:TGID_X_EN: 1
; COMPUTE_PGM_RSRC2:TGID_Y_EN: 0
; COMPUTE_PGM_RSRC2:TGID_Z_EN: 0
; COMPUTE_PGM_RSRC2:TIDIG_COMP_CNT: 0
; COMPUTE_PGM_RSRC3_GFX90A:ACCUM_OFFSET: 0
; COMPUTE_PGM_RSRC3_GFX90A:TG_SPLIT: 0
	.section	.text._ZN7rocprim17ROCPRIM_400000_NS6detail17trampoline_kernelINS0_14default_configENS1_25partition_config_selectorILNS1_17partition_subalgoE0EjNS0_10empty_typeEbEEZZNS1_14partition_implILS5_0ELb0ES3_jN6thrust23THRUST_200600_302600_NS6detail15normal_iteratorINSA_10device_ptrIjEEEEPS6_SG_NS0_5tupleIJNSA_16discard_iteratorINSA_11use_defaultEEESK_EEENSH_IJSG_SG_EEES6_PlJ7is_evenIjEEEE10hipError_tPvRmT3_T4_T5_T6_T7_T9_mT8_P12ihipStream_tbDpT10_ENKUlT_T0_E_clISt17integral_constantIbLb0EES18_IbLb1EEEEDaS14_S15_EUlS14_E_NS1_11comp_targetILNS1_3genE5ELNS1_11target_archE942ELNS1_3gpuE9ELNS1_3repE0EEENS1_30default_config_static_selectorELNS0_4arch9wavefront6targetE1EEEvT1_,"axG",@progbits,_ZN7rocprim17ROCPRIM_400000_NS6detail17trampoline_kernelINS0_14default_configENS1_25partition_config_selectorILNS1_17partition_subalgoE0EjNS0_10empty_typeEbEEZZNS1_14partition_implILS5_0ELb0ES3_jN6thrust23THRUST_200600_302600_NS6detail15normal_iteratorINSA_10device_ptrIjEEEEPS6_SG_NS0_5tupleIJNSA_16discard_iteratorINSA_11use_defaultEEESK_EEENSH_IJSG_SG_EEES6_PlJ7is_evenIjEEEE10hipError_tPvRmT3_T4_T5_T6_T7_T9_mT8_P12ihipStream_tbDpT10_ENKUlT_T0_E_clISt17integral_constantIbLb0EES18_IbLb1EEEEDaS14_S15_EUlS14_E_NS1_11comp_targetILNS1_3genE5ELNS1_11target_archE942ELNS1_3gpuE9ELNS1_3repE0EEENS1_30default_config_static_selectorELNS0_4arch9wavefront6targetE1EEEvT1_,comdat
	.protected	_ZN7rocprim17ROCPRIM_400000_NS6detail17trampoline_kernelINS0_14default_configENS1_25partition_config_selectorILNS1_17partition_subalgoE0EjNS0_10empty_typeEbEEZZNS1_14partition_implILS5_0ELb0ES3_jN6thrust23THRUST_200600_302600_NS6detail15normal_iteratorINSA_10device_ptrIjEEEEPS6_SG_NS0_5tupleIJNSA_16discard_iteratorINSA_11use_defaultEEESK_EEENSH_IJSG_SG_EEES6_PlJ7is_evenIjEEEE10hipError_tPvRmT3_T4_T5_T6_T7_T9_mT8_P12ihipStream_tbDpT10_ENKUlT_T0_E_clISt17integral_constantIbLb0EES18_IbLb1EEEEDaS14_S15_EUlS14_E_NS1_11comp_targetILNS1_3genE5ELNS1_11target_archE942ELNS1_3gpuE9ELNS1_3repE0EEENS1_30default_config_static_selectorELNS0_4arch9wavefront6targetE1EEEvT1_ ; -- Begin function _ZN7rocprim17ROCPRIM_400000_NS6detail17trampoline_kernelINS0_14default_configENS1_25partition_config_selectorILNS1_17partition_subalgoE0EjNS0_10empty_typeEbEEZZNS1_14partition_implILS5_0ELb0ES3_jN6thrust23THRUST_200600_302600_NS6detail15normal_iteratorINSA_10device_ptrIjEEEEPS6_SG_NS0_5tupleIJNSA_16discard_iteratorINSA_11use_defaultEEESK_EEENSH_IJSG_SG_EEES6_PlJ7is_evenIjEEEE10hipError_tPvRmT3_T4_T5_T6_T7_T9_mT8_P12ihipStream_tbDpT10_ENKUlT_T0_E_clISt17integral_constantIbLb0EES18_IbLb1EEEEDaS14_S15_EUlS14_E_NS1_11comp_targetILNS1_3genE5ELNS1_11target_archE942ELNS1_3gpuE9ELNS1_3repE0EEENS1_30default_config_static_selectorELNS0_4arch9wavefront6targetE1EEEvT1_
	.globl	_ZN7rocprim17ROCPRIM_400000_NS6detail17trampoline_kernelINS0_14default_configENS1_25partition_config_selectorILNS1_17partition_subalgoE0EjNS0_10empty_typeEbEEZZNS1_14partition_implILS5_0ELb0ES3_jN6thrust23THRUST_200600_302600_NS6detail15normal_iteratorINSA_10device_ptrIjEEEEPS6_SG_NS0_5tupleIJNSA_16discard_iteratorINSA_11use_defaultEEESK_EEENSH_IJSG_SG_EEES6_PlJ7is_evenIjEEEE10hipError_tPvRmT3_T4_T5_T6_T7_T9_mT8_P12ihipStream_tbDpT10_ENKUlT_T0_E_clISt17integral_constantIbLb0EES18_IbLb1EEEEDaS14_S15_EUlS14_E_NS1_11comp_targetILNS1_3genE5ELNS1_11target_archE942ELNS1_3gpuE9ELNS1_3repE0EEENS1_30default_config_static_selectorELNS0_4arch9wavefront6targetE1EEEvT1_
	.p2align	8
	.type	_ZN7rocprim17ROCPRIM_400000_NS6detail17trampoline_kernelINS0_14default_configENS1_25partition_config_selectorILNS1_17partition_subalgoE0EjNS0_10empty_typeEbEEZZNS1_14partition_implILS5_0ELb0ES3_jN6thrust23THRUST_200600_302600_NS6detail15normal_iteratorINSA_10device_ptrIjEEEEPS6_SG_NS0_5tupleIJNSA_16discard_iteratorINSA_11use_defaultEEESK_EEENSH_IJSG_SG_EEES6_PlJ7is_evenIjEEEE10hipError_tPvRmT3_T4_T5_T6_T7_T9_mT8_P12ihipStream_tbDpT10_ENKUlT_T0_E_clISt17integral_constantIbLb0EES18_IbLb1EEEEDaS14_S15_EUlS14_E_NS1_11comp_targetILNS1_3genE5ELNS1_11target_archE942ELNS1_3gpuE9ELNS1_3repE0EEENS1_30default_config_static_selectorELNS0_4arch9wavefront6targetE1EEEvT1_,@function
_ZN7rocprim17ROCPRIM_400000_NS6detail17trampoline_kernelINS0_14default_configENS1_25partition_config_selectorILNS1_17partition_subalgoE0EjNS0_10empty_typeEbEEZZNS1_14partition_implILS5_0ELb0ES3_jN6thrust23THRUST_200600_302600_NS6detail15normal_iteratorINSA_10device_ptrIjEEEEPS6_SG_NS0_5tupleIJNSA_16discard_iteratorINSA_11use_defaultEEESK_EEENSH_IJSG_SG_EEES6_PlJ7is_evenIjEEEE10hipError_tPvRmT3_T4_T5_T6_T7_T9_mT8_P12ihipStream_tbDpT10_ENKUlT_T0_E_clISt17integral_constantIbLb0EES18_IbLb1EEEEDaS14_S15_EUlS14_E_NS1_11comp_targetILNS1_3genE5ELNS1_11target_archE942ELNS1_3gpuE9ELNS1_3repE0EEENS1_30default_config_static_selectorELNS0_4arch9wavefront6targetE1EEEvT1_: ; @_ZN7rocprim17ROCPRIM_400000_NS6detail17trampoline_kernelINS0_14default_configENS1_25partition_config_selectorILNS1_17partition_subalgoE0EjNS0_10empty_typeEbEEZZNS1_14partition_implILS5_0ELb0ES3_jN6thrust23THRUST_200600_302600_NS6detail15normal_iteratorINSA_10device_ptrIjEEEEPS6_SG_NS0_5tupleIJNSA_16discard_iteratorINSA_11use_defaultEEESK_EEENSH_IJSG_SG_EEES6_PlJ7is_evenIjEEEE10hipError_tPvRmT3_T4_T5_T6_T7_T9_mT8_P12ihipStream_tbDpT10_ENKUlT_T0_E_clISt17integral_constantIbLb0EES18_IbLb1EEEEDaS14_S15_EUlS14_E_NS1_11comp_targetILNS1_3genE5ELNS1_11target_archE942ELNS1_3gpuE9ELNS1_3repE0EEENS1_30default_config_static_selectorELNS0_4arch9wavefront6targetE1EEEvT1_
; %bb.0:
	s_load_dwordx2 s[2:3], s[0:1], 0x68
	s_load_dwordx4 s[20:23], s[0:1], 0x58
	s_load_dwordx2 s[24:25], s[0:1], 0x78
	v_cmp_eq_u32_e64 s[18:19], 0, v0
	s_and_saveexec_b64 s[4:5], s[18:19]
	s_cbranch_execz .LBB2420_4
; %bb.1:
	s_mov_b64 s[8:9], exec
	v_mbcnt_lo_u32_b32 v1, s8, 0
	v_mbcnt_hi_u32_b32 v1, s9, v1
	v_cmp_eq_u32_e32 vcc, 0, v1
                                        ; implicit-def: $vgpr2
	s_and_saveexec_b64 s[6:7], vcc
	s_cbranch_execz .LBB2420_3
; %bb.2:
	s_load_dwordx2 s[10:11], s[0:1], 0x88
	s_bcnt1_i32_b64 s8, s[8:9]
	v_mov_b32_e32 v2, 0
	v_mov_b32_e32 v3, s8
	s_waitcnt lgkmcnt(0)
	global_atomic_add v2, v2, v3, s[10:11] sc0
.LBB2420_3:
	s_or_b64 exec, exec, s[6:7]
	s_waitcnt vmcnt(0)
	v_readfirstlane_b32 s6, v2
	v_mov_b32_e32 v2, 0
	s_nop 0
	v_add_u32_e32 v1, s6, v1
	ds_write_b32 v2, v1
.LBB2420_4:
	s_or_b64 exec, exec, s[4:5]
	v_mov_b32_e32 v3, 0
	s_load_dwordx4 s[4:7], s[0:1], 0x8
	s_load_dword s8, s[0:1], 0x80
	s_waitcnt lgkmcnt(0)
	s_barrier
	ds_read_b32 v1, v3
	s_waitcnt lgkmcnt(0)
	s_barrier
	global_load_dwordx2 v[18:19], v3, s[22:23]
	s_lshl_b64 s[0:1], s[6:7], 2
	s_add_u32 s10, s4, s0
	s_movk_i32 s0, 0x1e00
	v_mul_lo_u32 v2, v1, s0
	s_mul_i32 s0, s8, 0x1e00
	s_addc_u32 s11, s5, s1
	s_add_i32 s1, s0, s6
	v_mov_b32_e32 v5, s3
	s_add_i32 s3, s8, -1
	s_sub_i32 s4, s2, s1
	s_add_u32 s0, s6, s0
	v_readfirstlane_b32 s30, v1
	s_addc_u32 s1, s7, 0
	s_cmp_eq_u32 s30, s3
	v_mov_b32_e32 v4, s2
	s_cselect_b64 s[22:23], -1, 0
	s_cmp_lg_u32 s30, s3
	v_cmp_lt_u64_e32 vcc, s[0:1], v[4:5]
	s_cselect_b64 s[0:1], -1, 0
	s_or_b64 s[0:1], vcc, s[0:1]
	v_lshlrev_b64 v[4:5], 2, v[2:3]
	v_lshl_add_u64 v[20:21], s[10:11], 0, v[4:5]
	s_mov_b64 s[2:3], -1
	s_and_b64 vcc, exec, s[0:1]
	s_cbranch_vccz .LBB2420_6
; %bb.5:
	v_lshlrev_b32_e32 v2, 2, v0
	v_lshl_add_u64 v[4:5], v[20:21], 0, v[2:3]
	v_add_co_u32_e32 v6, vcc, 0x1000, v4
	s_mov_b64 s[2:3], 0
	s_nop 0
	v_addc_co_u32_e32 v7, vcc, 0, v5, vcc
	v_add_co_u32_e32 v8, vcc, 0x2000, v4
	s_nop 1
	v_addc_co_u32_e32 v9, vcc, 0, v5, vcc
	v_add_co_u32_e32 v10, vcc, 0x3000, v4
	s_nop 1
	v_addc_co_u32_e32 v11, vcc, 0, v5, vcc
	flat_load_dword v1, v[4:5]
	flat_load_dword v3, v[4:5] offset:2048
	flat_load_dword v12, v[6:7]
	flat_load_dword v13, v[6:7] offset:2048
	;; [unrolled: 2-line block ×4, first 2 shown]
	v_add_co_u32_e32 v6, vcc, 0x4000, v4
	s_nop 1
	v_addc_co_u32_e32 v7, vcc, 0, v5, vcc
	v_add_co_u32_e32 v8, vcc, 0x5000, v4
	s_nop 1
	v_addc_co_u32_e32 v9, vcc, 0, v5, vcc
	;; [unrolled: 3-line block ×4, first 2 shown]
	flat_load_dword v22, v[6:7]
	flat_load_dword v23, v[6:7] offset:2048
	flat_load_dword v24, v[8:9]
	flat_load_dword v25, v[8:9] offset:2048
	;; [unrolled: 2-line block ×3, first 2 shown]
	flat_load_dword v28, v[4:5]
	s_waitcnt vmcnt(0) lgkmcnt(0)
	ds_write2st64_b32 v2, v1, v3 offset1:8
	ds_write2st64_b32 v2, v12, v13 offset0:16 offset1:24
	ds_write2st64_b32 v2, v14, v15 offset0:32 offset1:40
	;; [unrolled: 1-line block ×6, first 2 shown]
	ds_write_b32 v2, v28 offset:28672
	s_waitcnt lgkmcnt(0)
	s_barrier
.LBB2420_6:
	s_andn2_b64 vcc, exec, s[2:3]
	s_addk_i32 s4, 0x1e00
	s_cbranch_vccnz .LBB2420_38
; %bb.7:
	v_cmp_gt_u32_e32 vcc, s4, v0
                                        ; implicit-def: $vgpr2_vgpr3_vgpr4_vgpr5_vgpr6_vgpr7_vgpr8_vgpr9_vgpr10_vgpr11_vgpr12_vgpr13_vgpr14_vgpr15_vgpr16_vgpr17
	s_and_saveexec_b64 s[2:3], vcc
	s_cbranch_execz .LBB2420_9
; %bb.8:
	v_lshlrev_b32_e32 v2, 2, v0
	v_mov_b32_e32 v3, 0
	v_lshl_add_u64 v[2:3], v[20:21], 0, v[2:3]
	flat_load_dword v2, v[2:3]
.LBB2420_9:
	s_or_b64 exec, exec, s[2:3]
	v_or_b32_e32 v1, 0x200, v0
	v_cmp_gt_u32_e32 vcc, s4, v1
	s_and_saveexec_b64 s[2:3], vcc
	s_cbranch_execz .LBB2420_11
; %bb.10:
	v_lshlrev_b32_e32 v22, 2, v0
	v_mov_b32_e32 v23, 0
	v_lshl_add_u64 v[22:23], v[20:21], 0, v[22:23]
	flat_load_dword v3, v[22:23] offset:2048
.LBB2420_11:
	s_or_b64 exec, exec, s[2:3]
	v_or_b32_e32 v1, 0x400, v0
	v_cmp_gt_u32_e32 vcc, s4, v1
	s_and_saveexec_b64 s[2:3], vcc
	s_cbranch_execz .LBB2420_13
; %bb.12:
	v_lshlrev_b32_e32 v22, 2, v1
	v_mov_b32_e32 v23, 0
	v_lshl_add_u64 v[22:23], v[20:21], 0, v[22:23]
	flat_load_dword v4, v[22:23]
.LBB2420_13:
	s_or_b64 exec, exec, s[2:3]
	v_or_b32_e32 v1, 0x600, v0
	v_cmp_gt_u32_e32 vcc, s4, v1
	s_and_saveexec_b64 s[2:3], vcc
	s_cbranch_execz .LBB2420_15
; %bb.14:
	v_lshlrev_b32_e32 v22, 2, v1
	v_mov_b32_e32 v23, 0
	v_lshl_add_u64 v[22:23], v[20:21], 0, v[22:23]
	flat_load_dword v5, v[22:23]
.LBB2420_15:
	s_or_b64 exec, exec, s[2:3]
	v_or_b32_e32 v1, 0x800, v0
	v_cmp_gt_u32_e32 vcc, s4, v1
	s_and_saveexec_b64 s[2:3], vcc
	s_cbranch_execz .LBB2420_17
; %bb.16:
	v_lshlrev_b32_e32 v22, 2, v1
	v_mov_b32_e32 v23, 0
	v_lshl_add_u64 v[22:23], v[20:21], 0, v[22:23]
	flat_load_dword v6, v[22:23]
.LBB2420_17:
	s_or_b64 exec, exec, s[2:3]
	v_or_b32_e32 v1, 0xa00, v0
	v_cmp_gt_u32_e32 vcc, s4, v1
	s_and_saveexec_b64 s[2:3], vcc
	s_cbranch_execz .LBB2420_19
; %bb.18:
	v_lshlrev_b32_e32 v22, 2, v1
	v_mov_b32_e32 v23, 0
	v_lshl_add_u64 v[22:23], v[20:21], 0, v[22:23]
	flat_load_dword v7, v[22:23]
.LBB2420_19:
	s_or_b64 exec, exec, s[2:3]
	v_or_b32_e32 v1, 0xc00, v0
	v_cmp_gt_u32_e32 vcc, s4, v1
	s_and_saveexec_b64 s[2:3], vcc
	s_cbranch_execz .LBB2420_21
; %bb.20:
	v_lshlrev_b32_e32 v22, 2, v1
	v_mov_b32_e32 v23, 0
	v_lshl_add_u64 v[22:23], v[20:21], 0, v[22:23]
	flat_load_dword v8, v[22:23]
.LBB2420_21:
	s_or_b64 exec, exec, s[2:3]
	v_or_b32_e32 v1, 0xe00, v0
	v_cmp_gt_u32_e32 vcc, s4, v1
	s_and_saveexec_b64 s[2:3], vcc
	s_cbranch_execz .LBB2420_23
; %bb.22:
	v_lshlrev_b32_e32 v22, 2, v1
	v_mov_b32_e32 v23, 0
	v_lshl_add_u64 v[22:23], v[20:21], 0, v[22:23]
	flat_load_dword v9, v[22:23]
.LBB2420_23:
	s_or_b64 exec, exec, s[2:3]
	v_or_b32_e32 v1, 0x1000, v0
	v_cmp_gt_u32_e32 vcc, s4, v1
	s_and_saveexec_b64 s[2:3], vcc
	s_cbranch_execz .LBB2420_25
; %bb.24:
	v_lshlrev_b32_e32 v22, 2, v1
	v_mov_b32_e32 v23, 0
	v_lshl_add_u64 v[22:23], v[20:21], 0, v[22:23]
	flat_load_dword v10, v[22:23]
.LBB2420_25:
	s_or_b64 exec, exec, s[2:3]
	v_or_b32_e32 v1, 0x1200, v0
	v_cmp_gt_u32_e32 vcc, s4, v1
	s_and_saveexec_b64 s[2:3], vcc
	s_cbranch_execz .LBB2420_27
; %bb.26:
	v_lshlrev_b32_e32 v22, 2, v1
	v_mov_b32_e32 v23, 0
	v_lshl_add_u64 v[22:23], v[20:21], 0, v[22:23]
	flat_load_dword v11, v[22:23]
.LBB2420_27:
	s_or_b64 exec, exec, s[2:3]
	v_or_b32_e32 v1, 0x1400, v0
	v_cmp_gt_u32_e32 vcc, s4, v1
	s_and_saveexec_b64 s[2:3], vcc
	s_cbranch_execz .LBB2420_29
; %bb.28:
	v_lshlrev_b32_e32 v22, 2, v1
	v_mov_b32_e32 v23, 0
	v_lshl_add_u64 v[22:23], v[20:21], 0, v[22:23]
	flat_load_dword v12, v[22:23]
.LBB2420_29:
	s_or_b64 exec, exec, s[2:3]
	v_or_b32_e32 v1, 0x1600, v0
	v_cmp_gt_u32_e32 vcc, s4, v1
	s_and_saveexec_b64 s[2:3], vcc
	s_cbranch_execz .LBB2420_31
; %bb.30:
	v_lshlrev_b32_e32 v22, 2, v1
	v_mov_b32_e32 v23, 0
	v_lshl_add_u64 v[22:23], v[20:21], 0, v[22:23]
	flat_load_dword v13, v[22:23]
.LBB2420_31:
	s_or_b64 exec, exec, s[2:3]
	v_or_b32_e32 v1, 0x1800, v0
	v_cmp_gt_u32_e32 vcc, s4, v1
	s_and_saveexec_b64 s[2:3], vcc
	s_cbranch_execz .LBB2420_33
; %bb.32:
	v_lshlrev_b32_e32 v22, 2, v1
	v_mov_b32_e32 v23, 0
	v_lshl_add_u64 v[22:23], v[20:21], 0, v[22:23]
	flat_load_dword v14, v[22:23]
.LBB2420_33:
	s_or_b64 exec, exec, s[2:3]
	v_or_b32_e32 v1, 0x1a00, v0
	v_cmp_gt_u32_e32 vcc, s4, v1
	s_and_saveexec_b64 s[2:3], vcc
	s_cbranch_execz .LBB2420_35
; %bb.34:
	v_lshlrev_b32_e32 v22, 2, v1
	v_mov_b32_e32 v23, 0
	v_lshl_add_u64 v[22:23], v[20:21], 0, v[22:23]
	flat_load_dword v15, v[22:23]
.LBB2420_35:
	s_or_b64 exec, exec, s[2:3]
	v_or_b32_e32 v1, 0x1c00, v0
	v_cmp_gt_u32_e32 vcc, s4, v1
	s_and_saveexec_b64 s[2:3], vcc
	s_cbranch_execz .LBB2420_37
; %bb.36:
	v_lshlrev_b32_e32 v16, 2, v1
	v_mov_b32_e32 v17, 0
	v_lshl_add_u64 v[16:17], v[20:21], 0, v[16:17]
	flat_load_dword v16, v[16:17]
.LBB2420_37:
	s_or_b64 exec, exec, s[2:3]
	v_lshlrev_b32_e32 v1, 2, v0
	s_waitcnt vmcnt(0) lgkmcnt(0)
	ds_write2st64_b32 v1, v2, v3 offset1:8
	ds_write2st64_b32 v1, v4, v5 offset0:16 offset1:24
	ds_write2st64_b32 v1, v6, v7 offset0:32 offset1:40
	;; [unrolled: 1-line block ×6, first 2 shown]
	ds_write_b32 v1, v16 offset:28672
	s_waitcnt lgkmcnt(0)
	s_barrier
.LBB2420_38:
	v_mul_u32_u24_e32 v38, 15, v0
	v_lshlrev_b32_e32 v1, 2, v38
	ds_read2_b32 v[32:33], v1 offset1:1
	ds_read2_b32 v[30:31], v1 offset0:2 offset1:3
	ds_read2_b32 v[28:29], v1 offset0:4 offset1:5
	;; [unrolled: 1-line block ×6, first 2 shown]
	ds_read_b32 v1, v1 offset:56
	s_andn2_b64 vcc, exec, s[0:1]
	s_waitcnt lgkmcnt(7)
	v_xor_b32_e32 v16, -1, v32
	v_xor_b32_e32 v15, -1, v33
	s_waitcnt lgkmcnt(6)
	v_xor_b32_e32 v14, -1, v30
	v_xor_b32_e32 v13, -1, v31
	;; [unrolled: 3-line block ×7, first 2 shown]
	s_waitcnt lgkmcnt(0)
	v_xor_b32_e32 v2, -1, v1
	s_barrier
	s_cbranch_vccnz .LBB2420_40
; %bb.39:
	v_and_b32_e32 v51, 1, v16
	v_and_b32_e32 v50, 1, v15
	;; [unrolled: 1-line block ×15, first 2 shown]
	s_cbranch_execz .LBB2420_41
	s_branch .LBB2420_42
.LBB2420_40:
                                        ; implicit-def: $vgpr36
                                        ; implicit-def: $vgpr37
                                        ; implicit-def: $vgpr39
                                        ; implicit-def: $vgpr40
                                        ; implicit-def: $vgpr41
                                        ; implicit-def: $vgpr42
                                        ; implicit-def: $vgpr43
                                        ; implicit-def: $vgpr44
                                        ; implicit-def: $vgpr45
                                        ; implicit-def: $vgpr51
                                        ; implicit-def: $vgpr50
                                        ; implicit-def: $vgpr49
                                        ; implicit-def: $vgpr48
                                        ; implicit-def: $vgpr47
                                        ; implicit-def: $vgpr46
.LBB2420_41:
	v_add_u32_e32 v45, 1, v38
	v_cmp_gt_u32_e32 vcc, s4, v38
	v_add_u32_e32 v17, 2, v38
	v_add_u32_e32 v44, 3, v38
	v_cndmask_b32_e64 v46, 0, 1, vcc
	v_cmp_gt_u32_e32 vcc, s4, v45
	v_and_b32_e32 v51, v46, v16
	v_add_u32_e32 v34, 4, v38
	v_cndmask_b32_e64 v16, 0, 1, vcc
	v_cmp_gt_u32_e32 vcc, s4, v17
	v_and_b32_e32 v50, v16, v15
	;; [unrolled: 4-line block ×12, first 2 shown]
	s_nop 0
	v_cndmask_b32_e64 v5, 0, 1, vcc
	v_cmp_gt_u32_e32 vcc, s4, v53
	v_and_b32_e32 v39, v5, v4
	s_nop 0
	v_cndmask_b32_e64 v4, 0, 1, vcc
	v_cmp_gt_u32_e32 vcc, s4, v52
	v_and_b32_e32 v37, v4, v3
	s_nop 0
	v_cndmask_b32_e64 v3, 0, 1, vcc
	v_and_b32_e32 v36, v3, v2
.LBB2420_42:
	v_and_b32_e32 v55, 0xff, v48
	v_and_b32_e32 v56, 0xff, v47
	;; [unrolled: 1-line block ×5, first 2 shown]
	v_add3_u32 v3, v56, v57, v55
	v_and_b32_e32 v52, 0xff, v51
	v_and_b32_e32 v58, 0xff, v45
	v_add3_u32 v3, v3, v54, v53
	v_and_b32_e32 v59, 0xff, v44
	v_and_b32_e32 v60, 0xff, v43
	;; [unrolled: 3-line block ×5, first 2 shown]
	v_add3_u32 v3, v3, v63, v64
	v_add3_u32 v68, v3, v65, v2
	v_mbcnt_lo_u32_b32 v2, -1, 0
	v_mbcnt_hi_u32_b32 v66, -1, v2
	v_and_b32_e32 v2, 15, v66
	v_cmp_eq_u32_e64 s[14:15], 0, v2
	v_cmp_lt_u32_e64 s[12:13], 1, v2
	v_cmp_lt_u32_e64 s[10:11], 3, v2
	;; [unrolled: 1-line block ×3, first 2 shown]
	v_and_b32_e32 v2, 16, v66
	v_cmp_eq_u32_e64 s[6:7], 0, v2
	v_or_b32_e32 v2, 63, v0
	s_cmp_lg_u32 s30, 0
	v_cmp_lt_u32_e64 s[2:3], 31, v66
	v_lshrrev_b32_e32 v67, 6, v0
	v_cmp_eq_u32_e64 s[4:5], v2, v0
	s_cbranch_scc0 .LBB2420_69
; %bb.43:
	v_mov_b32_dpp v2, v68 row_shr:1 row_mask:0xf bank_mask:0xf
	v_cndmask_b32_e64 v2, v2, 0, s[14:15]
	v_add_u32_e32 v2, v2, v68
	s_nop 1
	v_mov_b32_dpp v3, v2 row_shr:2 row_mask:0xf bank_mask:0xf
	v_cndmask_b32_e64 v3, 0, v3, s[12:13]
	v_add_u32_e32 v2, v2, v3
	s_nop 1
	;; [unrolled: 4-line block ×4, first 2 shown]
	v_mov_b32_dpp v3, v2 row_bcast:15 row_mask:0xf bank_mask:0xf
	v_cndmask_b32_e64 v3, v3, 0, s[6:7]
	v_add_u32_e32 v2, v2, v3
	s_nop 1
	v_mov_b32_dpp v3, v2 row_bcast:31 row_mask:0xf bank_mask:0xf
	v_cndmask_b32_e64 v3, 0, v3, s[2:3]
	v_add_u32_e32 v2, v2, v3
	s_and_saveexec_b64 s[0:1], s[4:5]
	s_cbranch_execz .LBB2420_45
; %bb.44:
	v_lshlrev_b32_e32 v3, 2, v67
	ds_write_b32 v3, v2
.LBB2420_45:
	s_or_b64 exec, exec, s[0:1]
	v_cmp_gt_u32_e32 vcc, 8, v0
	s_waitcnt lgkmcnt(0)
	s_barrier
	s_and_saveexec_b64 s[0:1], vcc
	s_cbranch_execz .LBB2420_47
; %bb.46:
	v_lshlrev_b32_e32 v3, 2, v0
	ds_read_b32 v4, v3
	v_and_b32_e32 v5, 7, v66
	v_cmp_ne_u32_e32 vcc, 0, v5
	s_waitcnt lgkmcnt(0)
	v_mov_b32_dpp v6, v4 row_shr:1 row_mask:0xf bank_mask:0xf
	v_cndmask_b32_e32 v6, 0, v6, vcc
	v_add_u32_e32 v4, v6, v4
	v_cmp_lt_u32_e32 vcc, 1, v5
	s_nop 0
	v_mov_b32_dpp v6, v4 row_shr:2 row_mask:0xf bank_mask:0xf
	v_cndmask_b32_e32 v6, 0, v6, vcc
	v_add_u32_e32 v4, v4, v6
	v_cmp_lt_u32_e32 vcc, 3, v5
	s_nop 0
	v_mov_b32_dpp v6, v4 row_shr:4 row_mask:0xf bank_mask:0xf
	v_cndmask_b32_e32 v5, 0, v6, vcc
	v_add_u32_e32 v4, v4, v5
	ds_write_b32 v3, v4
.LBB2420_47:
	s_or_b64 exec, exec, s[0:1]
	v_cmp_gt_u32_e32 vcc, 64, v0
	v_cmp_lt_u32_e64 s[0:1], 63, v0
	s_waitcnt lgkmcnt(0)
	s_barrier
	s_waitcnt lgkmcnt(0)
                                        ; implicit-def: $vgpr12
	s_and_saveexec_b64 s[16:17], s[0:1]
	s_cbranch_execz .LBB2420_49
; %bb.48:
	v_lshl_add_u32 v3, v67, 2, -4
	ds_read_b32 v12, v3
	s_waitcnt lgkmcnt(0)
	v_add_u32_e32 v2, v12, v2
.LBB2420_49:
	s_or_b64 exec, exec, s[16:17]
	v_add_u32_e32 v3, -1, v66
	v_and_b32_e32 v4, 64, v66
	v_cmp_lt_i32_e64 s[0:1], v3, v4
	v_cmp_eq_u32_e64 s[16:17], 0, v66
	s_nop 0
	v_cndmask_b32_e64 v3, v3, v66, s[0:1]
	v_lshlrev_b32_e32 v3, 2, v3
	ds_bpermute_b32 v13, v3, v2
	s_and_saveexec_b64 s[0:1], vcc
	s_cbranch_execz .LBB2420_68
; %bb.50:
	v_mov_b32_e32 v9, 0
	ds_read_b32 v2, v9 offset:28
	s_and_saveexec_b64 s[26:27], s[16:17]
	s_cbranch_execz .LBB2420_52
; %bb.51:
	s_add_i32 s28, s30, 64
	s_mov_b32 s29, 0
	s_lshl_b64 s[28:29], s[28:29], 3
	s_add_u32 s28, s24, s28
	v_mov_b32_e32 v3, 1
	s_addc_u32 s29, s25, s29
	s_waitcnt lgkmcnt(0)
	global_store_dwordx2 v9, v[2:3], s[28:29] sc1
.LBB2420_52:
	s_or_b64 exec, exec, s[26:27]
	v_xad_u32 v4, v66, -1, s30
	v_add_u32_e32 v8, 64, v4
	v_lshl_add_u64 v[10:11], v[8:9], 3, s[24:25]
	global_load_dwordx2 v[6:7], v[10:11], off sc1
	s_waitcnt vmcnt(0)
	v_cmp_eq_u16_sdwa s[28:29], v7, v9 src0_sel:BYTE_0 src1_sel:DWORD
	s_and_saveexec_b64 s[26:27], s[28:29]
	s_cbranch_execz .LBB2420_56
; %bb.53:
	s_mov_b64 s[28:29], 0
	v_mov_b32_e32 v3, 0
.LBB2420_54:                            ; =>This Inner Loop Header: Depth=1
	global_load_dwordx2 v[6:7], v[10:11], off sc1
	s_waitcnt vmcnt(0)
	v_cmp_ne_u16_sdwa s[34:35], v7, v3 src0_sel:BYTE_0 src1_sel:DWORD
	s_or_b64 s[28:29], s[34:35], s[28:29]
	s_andn2_b64 exec, exec, s[28:29]
	s_cbranch_execnz .LBB2420_54
; %bb.55:
	s_or_b64 exec, exec, s[28:29]
.LBB2420_56:
	s_or_b64 exec, exec, s[26:27]
	v_and_b32_e32 v15, 63, v66
	v_mov_b32_e32 v14, 2
	v_cmp_ne_u32_e32 vcc, 63, v15
	v_cmp_eq_u16_sdwa s[26:27], v7, v14 src0_sel:BYTE_0 src1_sel:DWORD
	v_lshlrev_b64 v[8:9], v66, -1
	v_addc_co_u32_e32 v10, vcc, 0, v66, vcc
	v_and_b32_e32 v3, s27, v9
	v_lshlrev_b32_e32 v16, 2, v10
	v_or_b32_e32 v3, 0x80000000, v3
	ds_bpermute_b32 v10, v16, v6
	v_and_b32_e32 v5, s26, v8
	v_ffbl_b32_e32 v3, v3
	v_add_u32_e32 v3, 32, v3
	v_ffbl_b32_e32 v5, v5
	v_min_u32_e32 v3, v5, v3
	v_cmp_lt_u32_e32 vcc, v15, v3
	v_add_u32_e32 v34, 2, v15
	v_add_u32_e32 v69, 4, v15
	s_waitcnt lgkmcnt(0)
	v_cndmask_b32_e32 v5, 0, v10, vcc
	v_cmp_gt_u32_e32 vcc, 62, v15
	v_add_u32_e32 v5, v5, v6
	v_add_u32_e32 v71, 8, v15
	v_cndmask_b32_e64 v6, 0, 1, vcc
	v_lshlrev_b32_e32 v6, 1, v6
	v_add_lshl_u32 v17, v6, v66, 2
	ds_bpermute_b32 v6, v17, v5
	v_cmp_le_u32_e32 vcc, v34, v3
	v_add_u32_e32 v73, 16, v15
	v_add_u32_e32 v75, 32, v15
	s_waitcnt lgkmcnt(0)
	v_cndmask_b32_e32 v6, 0, v6, vcc
	v_cmp_gt_u32_e32 vcc, 60, v15
	v_add_u32_e32 v5, v5, v6
	s_nop 0
	v_cndmask_b32_e64 v6, 0, 1, vcc
	v_lshlrev_b32_e32 v6, 2, v6
	v_add_lshl_u32 v35, v6, v66, 2
	ds_bpermute_b32 v6, v35, v5
	v_cmp_le_u32_e32 vcc, v69, v3
	s_waitcnt lgkmcnt(0)
	s_nop 0
	v_cndmask_b32_e32 v6, 0, v6, vcc
	v_cmp_gt_u32_e32 vcc, 56, v15
	v_add_u32_e32 v5, v5, v6
	s_nop 0
	v_cndmask_b32_e64 v6, 0, 1, vcc
	v_lshlrev_b32_e32 v6, 3, v6
	v_add_lshl_u32 v70, v6, v66, 2
	ds_bpermute_b32 v6, v70, v5
	v_cmp_le_u32_e32 vcc, v71, v3
	s_waitcnt lgkmcnt(0)
	s_nop 0
	;; [unrolled: 11-line block ×4, first 2 shown]
	v_cndmask_b32_e32 v3, 0, v6, vcc
	v_add_u32_e32 v6, v5, v3
	v_mov_b32_e32 v5, 0
	s_branch .LBB2420_58
.LBB2420_57:                            ;   in Loop: Header=BB2420_58 Depth=1
	s_or_b64 exec, exec, s[26:27]
	v_cmp_eq_u16_sdwa s[26:27], v7, v14 src0_sel:BYTE_0 src1_sel:DWORD
	ds_bpermute_b32 v76, v16, v6
	v_subrev_u32_e32 v4, 64, v4
	v_and_b32_e32 v10, s27, v9
	v_or_b32_e32 v10, 0x80000000, v10
	v_and_b32_e32 v11, s26, v8
	v_ffbl_b32_e32 v10, v10
	v_add_u32_e32 v10, 32, v10
	v_ffbl_b32_e32 v11, v11
	v_min_u32_e32 v10, v11, v10
	v_cmp_lt_u32_e32 vcc, v15, v10
	s_waitcnt lgkmcnt(0)
	s_nop 0
	v_cndmask_b32_e32 v11, 0, v76, vcc
	v_add_u32_e32 v6, v11, v6
	ds_bpermute_b32 v11, v17, v6
	v_cmp_le_u32_e32 vcc, v34, v10
	s_waitcnt lgkmcnt(0)
	s_nop 0
	v_cndmask_b32_e32 v11, 0, v11, vcc
	v_add_u32_e32 v6, v6, v11
	ds_bpermute_b32 v11, v35, v6
	v_cmp_le_u32_e32 vcc, v69, v10
	;; [unrolled: 6-line block ×5, first 2 shown]
	s_waitcnt lgkmcnt(0)
	s_nop 0
	v_cndmask_b32_e32 v10, 0, v11, vcc
	v_add3_u32 v6, v10, v3, v6
.LBB2420_58:                            ; =>This Loop Header: Depth=1
                                        ;     Child Loop BB2420_61 Depth 2
	v_cmp_ne_u16_sdwa s[26:27], v7, v14 src0_sel:BYTE_0 src1_sel:DWORD
	s_nop 1
	v_cndmask_b32_e64 v3, 0, 1, s[26:27]
	;;#ASMSTART
	;;#ASMEND
	s_nop 0
	v_cmp_ne_u32_e32 vcc, 0, v3
	s_cmp_lg_u64 vcc, exec
	v_mov_b32_e32 v3, v6
	s_cbranch_scc1 .LBB2420_63
; %bb.59:                               ;   in Loop: Header=BB2420_58 Depth=1
	v_lshl_add_u64 v[10:11], v[4:5], 3, s[24:25]
	global_load_dwordx2 v[6:7], v[10:11], off sc1
	s_waitcnt vmcnt(0)
	v_cmp_eq_u16_sdwa s[28:29], v7, v5 src0_sel:BYTE_0 src1_sel:DWORD
	s_and_saveexec_b64 s[26:27], s[28:29]
	s_cbranch_execz .LBB2420_57
; %bb.60:                               ;   in Loop: Header=BB2420_58 Depth=1
	s_mov_b64 s[28:29], 0
.LBB2420_61:                            ;   Parent Loop BB2420_58 Depth=1
                                        ; =>  This Inner Loop Header: Depth=2
	global_load_dwordx2 v[6:7], v[10:11], off sc1
	s_waitcnt vmcnt(0)
	v_cmp_ne_u16_sdwa s[34:35], v7, v5 src0_sel:BYTE_0 src1_sel:DWORD
	s_or_b64 s[28:29], s[34:35], s[28:29]
	s_andn2_b64 exec, exec, s[28:29]
	s_cbranch_execnz .LBB2420_61
; %bb.62:                               ;   in Loop: Header=BB2420_58 Depth=1
	s_or_b64 exec, exec, s[28:29]
	s_branch .LBB2420_57
.LBB2420_63:                            ;   in Loop: Header=BB2420_58 Depth=1
                                        ; implicit-def: $vgpr6
                                        ; implicit-def: $vgpr7
	s_cbranch_execz .LBB2420_58
; %bb.64:
	s_and_saveexec_b64 s[26:27], s[16:17]
	s_cbranch_execz .LBB2420_66
; %bb.65:
	s_add_i32 s28, s30, 64
	s_mov_b32 s29, 0
	s_lshl_b64 s[28:29], s[28:29], 3
	s_add_u32 s28, s24, s28
	v_add_u32_e32 v4, v3, v2
	v_mov_b32_e32 v5, 2
	s_addc_u32 s29, s25, s29
	v_mov_b32_e32 v6, 0
	global_store_dwordx2 v6, v[4:5], s[28:29] sc1
	ds_write_b64 v6, v[2:3] offset:30720
.LBB2420_66:
	s_or_b64 exec, exec, s[26:27]
	s_and_b64 exec, exec, s[18:19]
	s_cbranch_execz .LBB2420_68
; %bb.67:
	v_mov_b32_e32 v2, 0
	ds_write_b32 v2, v3 offset:28
.LBB2420_68:
	s_or_b64 exec, exec, s[0:1]
	v_mov_b32_e32 v14, 0
	s_waitcnt lgkmcnt(0)
	s_barrier
	ds_read_b32 v2, v14 offset:28
	v_cndmask_b32_e64 v3, v13, v12, s[16:17]
	v_cndmask_b32_e64 v3, v3, 0, s[18:19]
	s_waitcnt lgkmcnt(0)
	s_barrier
	v_add_u32_e32 v2, v2, v3
	v_add_u32_e32 v3, v2, v52
	;; [unrolled: 1-line block ×11, first 2 shown]
	ds_read_b64 v[34:35], v14 offset:30720
	v_add_u32_e32 v13, v12, v62
	v_add_u32_e32 v14, v13, v63
	;; [unrolled: 1-line block ×4, first 2 shown]
	s_branch .LBB2420_79
.LBB2420_69:
                                        ; implicit-def: $vgpr35
                                        ; implicit-def: $vgpr2_vgpr3_vgpr4_vgpr5_vgpr6_vgpr7_vgpr8_vgpr9_vgpr10_vgpr11_vgpr12_vgpr13_vgpr14_vgpr15_vgpr16_vgpr17
	s_cbranch_execz .LBB2420_79
; %bb.70:
	s_nop 0
	v_mov_b32_dpp v2, v68 row_shr:1 row_mask:0xf bank_mask:0xf
	v_cndmask_b32_e64 v2, v2, 0, s[14:15]
	v_add_u32_e32 v2, v2, v68
	s_nop 1
	v_mov_b32_dpp v3, v2 row_shr:2 row_mask:0xf bank_mask:0xf
	v_cndmask_b32_e64 v3, 0, v3, s[12:13]
	v_add_u32_e32 v2, v2, v3
	;; [unrolled: 4-line block ×4, first 2 shown]
	s_nop 1
	v_mov_b32_dpp v3, v2 row_bcast:15 row_mask:0xf bank_mask:0xf
	v_cndmask_b32_e64 v3, v3, 0, s[6:7]
	v_add_u32_e32 v2, v2, v3
	s_nop 1
	v_mov_b32_dpp v3, v2 row_bcast:31 row_mask:0xf bank_mask:0xf
	v_cndmask_b32_e64 v3, 0, v3, s[2:3]
	v_add_u32_e32 v2, v2, v3
	s_and_saveexec_b64 s[0:1], s[4:5]
	s_cbranch_execz .LBB2420_72
; %bb.71:
	v_lshlrev_b32_e32 v3, 2, v67
	ds_write_b32 v3, v2
.LBB2420_72:
	s_or_b64 exec, exec, s[0:1]
	v_cmp_gt_u32_e32 vcc, 8, v0
	s_waitcnt lgkmcnt(0)
	s_barrier
	s_and_saveexec_b64 s[0:1], vcc
	s_cbranch_execz .LBB2420_74
; %bb.73:
	v_lshlrev_b32_e32 v3, 2, v0
	ds_read_b32 v4, v3
	v_and_b32_e32 v5, 7, v66
	v_cmp_ne_u32_e32 vcc, 0, v5
	s_waitcnt lgkmcnt(0)
	v_mov_b32_dpp v6, v4 row_shr:1 row_mask:0xf bank_mask:0xf
	v_cndmask_b32_e32 v6, 0, v6, vcc
	v_add_u32_e32 v4, v6, v4
	v_cmp_lt_u32_e32 vcc, 1, v5
	s_nop 0
	v_mov_b32_dpp v6, v4 row_shr:2 row_mask:0xf bank_mask:0xf
	v_cndmask_b32_e32 v6, 0, v6, vcc
	v_add_u32_e32 v4, v4, v6
	v_cmp_lt_u32_e32 vcc, 3, v5
	s_nop 0
	v_mov_b32_dpp v6, v4 row_shr:4 row_mask:0xf bank_mask:0xf
	v_cndmask_b32_e32 v5, 0, v6, vcc
	v_add_u32_e32 v4, v4, v5
	ds_write_b32 v3, v4
.LBB2420_74:
	s_or_b64 exec, exec, s[0:1]
	v_cmp_lt_u32_e32 vcc, 63, v0
	v_mov_b32_e32 v3, 0
	v_mov_b32_e32 v0, 0
	s_waitcnt lgkmcnt(0)
	s_barrier
	s_and_saveexec_b64 s[0:1], vcc
	s_cbranch_execz .LBB2420_76
; %bb.75:
	v_lshl_add_u32 v0, v67, 2, -4
	ds_read_b32 v0, v0
.LBB2420_76:
	s_or_b64 exec, exec, s[0:1]
	v_add_u32_e32 v4, -1, v66
	v_and_b32_e32 v5, 64, v66
	v_cmp_lt_i32_e32 vcc, v4, v5
	s_waitcnt lgkmcnt(0)
	v_add_u32_e32 v2, v0, v2
	ds_read_b32 v34, v3 offset:28
	v_cndmask_b32_e32 v4, v4, v66, vcc
	v_lshlrev_b32_e32 v4, 2, v4
	ds_bpermute_b32 v2, v4, v2
	s_and_saveexec_b64 s[0:1], s[18:19]
	s_cbranch_execz .LBB2420_78
; %bb.77:
	v_mov_b32_e32 v3, 0
	v_mov_b32_e32 v35, 2
	s_waitcnt lgkmcnt(1)
	global_store_dwordx2 v3, v[34:35], s[24:25] offset:512 sc1
.LBB2420_78:
	s_or_b64 exec, exec, s[0:1]
	v_cmp_eq_u32_e32 vcc, 0, v66
	v_mov_b32_e32 v35, 0
	s_waitcnt lgkmcnt(0)
	v_cndmask_b32_e32 v0, v2, v0, vcc
	v_cndmask_b32_e64 v2, v0, 0, s[18:19]
	v_add_u32_e32 v3, v2, v52
	v_add_u32_e32 v4, v3, v53
	;; [unrolled: 1-line block ×14, first 2 shown]
	s_barrier
.LBB2420_79:
	s_waitcnt lgkmcnt(0)
	v_add_u32_e32 v0, v34, v38
	v_sub_u32_e32 v2, v2, v35
	v_and_b32_e32 v38, 1, v51
	v_sub_u32_e32 v17, v0, v2
	v_cmp_eq_u32_e32 vcc, 1, v38
	s_and_b64 s[0:1], s[18:19], s[22:23]
	s_nop 0
	v_cndmask_b32_e32 v2, v17, v2, vcc
	v_lshlrev_b32_e32 v2, 2, v2
	ds_write_b32 v2, v32
	v_sub_u32_e32 v2, v3, v35
	v_sub_u32_e32 v3, v0, v2
	v_and_b32_e32 v17, 1, v50
	v_add_u32_e32 v3, 1, v3
	v_cmp_eq_u32_e32 vcc, 1, v17
	s_nop 1
	v_cndmask_b32_e32 v2, v3, v2, vcc
	v_lshlrev_b32_e32 v2, 2, v2
	ds_write_b32 v2, v33
	v_sub_u32_e32 v2, v4, v35
	v_sub_u32_e32 v3, v0, v2
	v_and_b32_e32 v4, 1, v49
	v_add_u32_e32 v3, 2, v3
	v_cmp_eq_u32_e32 vcc, 1, v4
	v_and_b32_e32 v4, 1, v48
	s_nop 0
	v_cndmask_b32_e32 v2, v3, v2, vcc
	v_lshlrev_b32_e32 v2, 2, v2
	ds_write_b32 v2, v30
	v_sub_u32_e32 v2, v5, v35
	v_sub_u32_e32 v3, v0, v2
	v_add_u32_e32 v3, 3, v3
	v_cmp_eq_u32_e32 vcc, 1, v4
	v_and_b32_e32 v4, 1, v47
	s_nop 0
	v_cndmask_b32_e32 v2, v3, v2, vcc
	v_lshlrev_b32_e32 v2, 2, v2
	ds_write_b32 v2, v31
	v_sub_u32_e32 v2, v6, v35
	v_sub_u32_e32 v3, v0, v2
	;; [unrolled: 9-line block ×11, first 2 shown]
	v_add_u32_e32 v3, 13, v3
	v_cmp_eq_u32_e32 vcc, 1, v4
	s_nop 1
	v_cndmask_b32_e32 v2, v3, v2, vcc
	v_lshlrev_b32_e32 v2, 2, v2
	ds_write_b32 v2, v21
	v_sub_u32_e32 v2, v16, v35
	v_sub_u32_e32 v0, v0, v2
	v_and_b32_e32 v3, 1, v36
	v_add_u32_e32 v0, 14, v0
	v_cmp_eq_u32_e32 vcc, 1, v3
	s_nop 1
	v_cndmask_b32_e32 v0, v0, v2, vcc
	v_lshlrev_b32_e32 v0, 2, v0
	ds_write_b32 v0, v1
	s_waitcnt lgkmcnt(0)
	s_barrier
	s_and_saveexec_b64 s[2:3], s[0:1]
	s_cbranch_execz .LBB2420_81
; %bb.80:
	v_mov_b32_e32 v1, 0
	v_mov_b32_e32 v0, v34
	s_waitcnt vmcnt(0)
	v_lshl_add_u64 v[2:3], v[18:19], 0, v[0:1]
	v_mov_b32_e32 v0, v35
	v_lshl_add_u64 v[2:3], v[2:3], 0, v[0:1]
	global_store_dwordx2 v1, v[2:3], s[20:21]
.LBB2420_81:
	s_endpgm
	.section	.rodata,"a",@progbits
	.p2align	6, 0x0
	.amdhsa_kernel _ZN7rocprim17ROCPRIM_400000_NS6detail17trampoline_kernelINS0_14default_configENS1_25partition_config_selectorILNS1_17partition_subalgoE0EjNS0_10empty_typeEbEEZZNS1_14partition_implILS5_0ELb0ES3_jN6thrust23THRUST_200600_302600_NS6detail15normal_iteratorINSA_10device_ptrIjEEEEPS6_SG_NS0_5tupleIJNSA_16discard_iteratorINSA_11use_defaultEEESK_EEENSH_IJSG_SG_EEES6_PlJ7is_evenIjEEEE10hipError_tPvRmT3_T4_T5_T6_T7_T9_mT8_P12ihipStream_tbDpT10_ENKUlT_T0_E_clISt17integral_constantIbLb0EES18_IbLb1EEEEDaS14_S15_EUlS14_E_NS1_11comp_targetILNS1_3genE5ELNS1_11target_archE942ELNS1_3gpuE9ELNS1_3repE0EEENS1_30default_config_static_selectorELNS0_4arch9wavefront6targetE1EEEvT1_
		.amdhsa_group_segment_fixed_size 30728
		.amdhsa_private_segment_fixed_size 0
		.amdhsa_kernarg_size 152
		.amdhsa_user_sgpr_count 2
		.amdhsa_user_sgpr_dispatch_ptr 0
		.amdhsa_user_sgpr_queue_ptr 0
		.amdhsa_user_sgpr_kernarg_segment_ptr 1
		.amdhsa_user_sgpr_dispatch_id 0
		.amdhsa_user_sgpr_kernarg_preload_length 0
		.amdhsa_user_sgpr_kernarg_preload_offset 0
		.amdhsa_user_sgpr_private_segment_size 0
		.amdhsa_uses_dynamic_stack 0
		.amdhsa_enable_private_segment 0
		.amdhsa_system_sgpr_workgroup_id_x 1
		.amdhsa_system_sgpr_workgroup_id_y 0
		.amdhsa_system_sgpr_workgroup_id_z 0
		.amdhsa_system_sgpr_workgroup_info 0
		.amdhsa_system_vgpr_workitem_id 0
		.amdhsa_next_free_vgpr 77
		.amdhsa_next_free_sgpr 36
		.amdhsa_accum_offset 80
		.amdhsa_reserve_vcc 1
		.amdhsa_float_round_mode_32 0
		.amdhsa_float_round_mode_16_64 0
		.amdhsa_float_denorm_mode_32 3
		.amdhsa_float_denorm_mode_16_64 3
		.amdhsa_dx10_clamp 1
		.amdhsa_ieee_mode 1
		.amdhsa_fp16_overflow 0
		.amdhsa_tg_split 0
		.amdhsa_exception_fp_ieee_invalid_op 0
		.amdhsa_exception_fp_denorm_src 0
		.amdhsa_exception_fp_ieee_div_zero 0
		.amdhsa_exception_fp_ieee_overflow 0
		.amdhsa_exception_fp_ieee_underflow 0
		.amdhsa_exception_fp_ieee_inexact 0
		.amdhsa_exception_int_div_zero 0
	.end_amdhsa_kernel
	.section	.text._ZN7rocprim17ROCPRIM_400000_NS6detail17trampoline_kernelINS0_14default_configENS1_25partition_config_selectorILNS1_17partition_subalgoE0EjNS0_10empty_typeEbEEZZNS1_14partition_implILS5_0ELb0ES3_jN6thrust23THRUST_200600_302600_NS6detail15normal_iteratorINSA_10device_ptrIjEEEEPS6_SG_NS0_5tupleIJNSA_16discard_iteratorINSA_11use_defaultEEESK_EEENSH_IJSG_SG_EEES6_PlJ7is_evenIjEEEE10hipError_tPvRmT3_T4_T5_T6_T7_T9_mT8_P12ihipStream_tbDpT10_ENKUlT_T0_E_clISt17integral_constantIbLb0EES18_IbLb1EEEEDaS14_S15_EUlS14_E_NS1_11comp_targetILNS1_3genE5ELNS1_11target_archE942ELNS1_3gpuE9ELNS1_3repE0EEENS1_30default_config_static_selectorELNS0_4arch9wavefront6targetE1EEEvT1_,"axG",@progbits,_ZN7rocprim17ROCPRIM_400000_NS6detail17trampoline_kernelINS0_14default_configENS1_25partition_config_selectorILNS1_17partition_subalgoE0EjNS0_10empty_typeEbEEZZNS1_14partition_implILS5_0ELb0ES3_jN6thrust23THRUST_200600_302600_NS6detail15normal_iteratorINSA_10device_ptrIjEEEEPS6_SG_NS0_5tupleIJNSA_16discard_iteratorINSA_11use_defaultEEESK_EEENSH_IJSG_SG_EEES6_PlJ7is_evenIjEEEE10hipError_tPvRmT3_T4_T5_T6_T7_T9_mT8_P12ihipStream_tbDpT10_ENKUlT_T0_E_clISt17integral_constantIbLb0EES18_IbLb1EEEEDaS14_S15_EUlS14_E_NS1_11comp_targetILNS1_3genE5ELNS1_11target_archE942ELNS1_3gpuE9ELNS1_3repE0EEENS1_30default_config_static_selectorELNS0_4arch9wavefront6targetE1EEEvT1_,comdat
.Lfunc_end2420:
	.size	_ZN7rocprim17ROCPRIM_400000_NS6detail17trampoline_kernelINS0_14default_configENS1_25partition_config_selectorILNS1_17partition_subalgoE0EjNS0_10empty_typeEbEEZZNS1_14partition_implILS5_0ELb0ES3_jN6thrust23THRUST_200600_302600_NS6detail15normal_iteratorINSA_10device_ptrIjEEEEPS6_SG_NS0_5tupleIJNSA_16discard_iteratorINSA_11use_defaultEEESK_EEENSH_IJSG_SG_EEES6_PlJ7is_evenIjEEEE10hipError_tPvRmT3_T4_T5_T6_T7_T9_mT8_P12ihipStream_tbDpT10_ENKUlT_T0_E_clISt17integral_constantIbLb0EES18_IbLb1EEEEDaS14_S15_EUlS14_E_NS1_11comp_targetILNS1_3genE5ELNS1_11target_archE942ELNS1_3gpuE9ELNS1_3repE0EEENS1_30default_config_static_selectorELNS0_4arch9wavefront6targetE1EEEvT1_, .Lfunc_end2420-_ZN7rocprim17ROCPRIM_400000_NS6detail17trampoline_kernelINS0_14default_configENS1_25partition_config_selectorILNS1_17partition_subalgoE0EjNS0_10empty_typeEbEEZZNS1_14partition_implILS5_0ELb0ES3_jN6thrust23THRUST_200600_302600_NS6detail15normal_iteratorINSA_10device_ptrIjEEEEPS6_SG_NS0_5tupleIJNSA_16discard_iteratorINSA_11use_defaultEEESK_EEENSH_IJSG_SG_EEES6_PlJ7is_evenIjEEEE10hipError_tPvRmT3_T4_T5_T6_T7_T9_mT8_P12ihipStream_tbDpT10_ENKUlT_T0_E_clISt17integral_constantIbLb0EES18_IbLb1EEEEDaS14_S15_EUlS14_E_NS1_11comp_targetILNS1_3genE5ELNS1_11target_archE942ELNS1_3gpuE9ELNS1_3repE0EEENS1_30default_config_static_selectorELNS0_4arch9wavefront6targetE1EEEvT1_
                                        ; -- End function
	.section	.AMDGPU.csdata,"",@progbits
; Kernel info:
; codeLenInByte = 4920
; NumSgprs: 42
; NumVgprs: 77
; NumAgprs: 0
; TotalNumVgprs: 77
; ScratchSize: 0
; MemoryBound: 0
; FloatMode: 240
; IeeeMode: 1
; LDSByteSize: 30728 bytes/workgroup (compile time only)
; SGPRBlocks: 5
; VGPRBlocks: 9
; NumSGPRsForWavesPerEU: 42
; NumVGPRsForWavesPerEU: 77
; AccumOffset: 80
; Occupancy: 4
; WaveLimiterHint : 1
; COMPUTE_PGM_RSRC2:SCRATCH_EN: 0
; COMPUTE_PGM_RSRC2:USER_SGPR: 2
; COMPUTE_PGM_RSRC2:TRAP_HANDLER: 0
; COMPUTE_PGM_RSRC2:TGID_X_EN: 1
; COMPUTE_PGM_RSRC2:TGID_Y_EN: 0
; COMPUTE_PGM_RSRC2:TGID_Z_EN: 0
; COMPUTE_PGM_RSRC2:TIDIG_COMP_CNT: 0
; COMPUTE_PGM_RSRC3_GFX90A:ACCUM_OFFSET: 19
; COMPUTE_PGM_RSRC3_GFX90A:TG_SPLIT: 0
	.section	.text._ZN7rocprim17ROCPRIM_400000_NS6detail17trampoline_kernelINS0_14default_configENS1_25partition_config_selectorILNS1_17partition_subalgoE0EjNS0_10empty_typeEbEEZZNS1_14partition_implILS5_0ELb0ES3_jN6thrust23THRUST_200600_302600_NS6detail15normal_iteratorINSA_10device_ptrIjEEEEPS6_SG_NS0_5tupleIJNSA_16discard_iteratorINSA_11use_defaultEEESK_EEENSH_IJSG_SG_EEES6_PlJ7is_evenIjEEEE10hipError_tPvRmT3_T4_T5_T6_T7_T9_mT8_P12ihipStream_tbDpT10_ENKUlT_T0_E_clISt17integral_constantIbLb0EES18_IbLb1EEEEDaS14_S15_EUlS14_E_NS1_11comp_targetILNS1_3genE4ELNS1_11target_archE910ELNS1_3gpuE8ELNS1_3repE0EEENS1_30default_config_static_selectorELNS0_4arch9wavefront6targetE1EEEvT1_,"axG",@progbits,_ZN7rocprim17ROCPRIM_400000_NS6detail17trampoline_kernelINS0_14default_configENS1_25partition_config_selectorILNS1_17partition_subalgoE0EjNS0_10empty_typeEbEEZZNS1_14partition_implILS5_0ELb0ES3_jN6thrust23THRUST_200600_302600_NS6detail15normal_iteratorINSA_10device_ptrIjEEEEPS6_SG_NS0_5tupleIJNSA_16discard_iteratorINSA_11use_defaultEEESK_EEENSH_IJSG_SG_EEES6_PlJ7is_evenIjEEEE10hipError_tPvRmT3_T4_T5_T6_T7_T9_mT8_P12ihipStream_tbDpT10_ENKUlT_T0_E_clISt17integral_constantIbLb0EES18_IbLb1EEEEDaS14_S15_EUlS14_E_NS1_11comp_targetILNS1_3genE4ELNS1_11target_archE910ELNS1_3gpuE8ELNS1_3repE0EEENS1_30default_config_static_selectorELNS0_4arch9wavefront6targetE1EEEvT1_,comdat
	.protected	_ZN7rocprim17ROCPRIM_400000_NS6detail17trampoline_kernelINS0_14default_configENS1_25partition_config_selectorILNS1_17partition_subalgoE0EjNS0_10empty_typeEbEEZZNS1_14partition_implILS5_0ELb0ES3_jN6thrust23THRUST_200600_302600_NS6detail15normal_iteratorINSA_10device_ptrIjEEEEPS6_SG_NS0_5tupleIJNSA_16discard_iteratorINSA_11use_defaultEEESK_EEENSH_IJSG_SG_EEES6_PlJ7is_evenIjEEEE10hipError_tPvRmT3_T4_T5_T6_T7_T9_mT8_P12ihipStream_tbDpT10_ENKUlT_T0_E_clISt17integral_constantIbLb0EES18_IbLb1EEEEDaS14_S15_EUlS14_E_NS1_11comp_targetILNS1_3genE4ELNS1_11target_archE910ELNS1_3gpuE8ELNS1_3repE0EEENS1_30default_config_static_selectorELNS0_4arch9wavefront6targetE1EEEvT1_ ; -- Begin function _ZN7rocprim17ROCPRIM_400000_NS6detail17trampoline_kernelINS0_14default_configENS1_25partition_config_selectorILNS1_17partition_subalgoE0EjNS0_10empty_typeEbEEZZNS1_14partition_implILS5_0ELb0ES3_jN6thrust23THRUST_200600_302600_NS6detail15normal_iteratorINSA_10device_ptrIjEEEEPS6_SG_NS0_5tupleIJNSA_16discard_iteratorINSA_11use_defaultEEESK_EEENSH_IJSG_SG_EEES6_PlJ7is_evenIjEEEE10hipError_tPvRmT3_T4_T5_T6_T7_T9_mT8_P12ihipStream_tbDpT10_ENKUlT_T0_E_clISt17integral_constantIbLb0EES18_IbLb1EEEEDaS14_S15_EUlS14_E_NS1_11comp_targetILNS1_3genE4ELNS1_11target_archE910ELNS1_3gpuE8ELNS1_3repE0EEENS1_30default_config_static_selectorELNS0_4arch9wavefront6targetE1EEEvT1_
	.globl	_ZN7rocprim17ROCPRIM_400000_NS6detail17trampoline_kernelINS0_14default_configENS1_25partition_config_selectorILNS1_17partition_subalgoE0EjNS0_10empty_typeEbEEZZNS1_14partition_implILS5_0ELb0ES3_jN6thrust23THRUST_200600_302600_NS6detail15normal_iteratorINSA_10device_ptrIjEEEEPS6_SG_NS0_5tupleIJNSA_16discard_iteratorINSA_11use_defaultEEESK_EEENSH_IJSG_SG_EEES6_PlJ7is_evenIjEEEE10hipError_tPvRmT3_T4_T5_T6_T7_T9_mT8_P12ihipStream_tbDpT10_ENKUlT_T0_E_clISt17integral_constantIbLb0EES18_IbLb1EEEEDaS14_S15_EUlS14_E_NS1_11comp_targetILNS1_3genE4ELNS1_11target_archE910ELNS1_3gpuE8ELNS1_3repE0EEENS1_30default_config_static_selectorELNS0_4arch9wavefront6targetE1EEEvT1_
	.p2align	8
	.type	_ZN7rocprim17ROCPRIM_400000_NS6detail17trampoline_kernelINS0_14default_configENS1_25partition_config_selectorILNS1_17partition_subalgoE0EjNS0_10empty_typeEbEEZZNS1_14partition_implILS5_0ELb0ES3_jN6thrust23THRUST_200600_302600_NS6detail15normal_iteratorINSA_10device_ptrIjEEEEPS6_SG_NS0_5tupleIJNSA_16discard_iteratorINSA_11use_defaultEEESK_EEENSH_IJSG_SG_EEES6_PlJ7is_evenIjEEEE10hipError_tPvRmT3_T4_T5_T6_T7_T9_mT8_P12ihipStream_tbDpT10_ENKUlT_T0_E_clISt17integral_constantIbLb0EES18_IbLb1EEEEDaS14_S15_EUlS14_E_NS1_11comp_targetILNS1_3genE4ELNS1_11target_archE910ELNS1_3gpuE8ELNS1_3repE0EEENS1_30default_config_static_selectorELNS0_4arch9wavefront6targetE1EEEvT1_,@function
_ZN7rocprim17ROCPRIM_400000_NS6detail17trampoline_kernelINS0_14default_configENS1_25partition_config_selectorILNS1_17partition_subalgoE0EjNS0_10empty_typeEbEEZZNS1_14partition_implILS5_0ELb0ES3_jN6thrust23THRUST_200600_302600_NS6detail15normal_iteratorINSA_10device_ptrIjEEEEPS6_SG_NS0_5tupleIJNSA_16discard_iteratorINSA_11use_defaultEEESK_EEENSH_IJSG_SG_EEES6_PlJ7is_evenIjEEEE10hipError_tPvRmT3_T4_T5_T6_T7_T9_mT8_P12ihipStream_tbDpT10_ENKUlT_T0_E_clISt17integral_constantIbLb0EES18_IbLb1EEEEDaS14_S15_EUlS14_E_NS1_11comp_targetILNS1_3genE4ELNS1_11target_archE910ELNS1_3gpuE8ELNS1_3repE0EEENS1_30default_config_static_selectorELNS0_4arch9wavefront6targetE1EEEvT1_: ; @_ZN7rocprim17ROCPRIM_400000_NS6detail17trampoline_kernelINS0_14default_configENS1_25partition_config_selectorILNS1_17partition_subalgoE0EjNS0_10empty_typeEbEEZZNS1_14partition_implILS5_0ELb0ES3_jN6thrust23THRUST_200600_302600_NS6detail15normal_iteratorINSA_10device_ptrIjEEEEPS6_SG_NS0_5tupleIJNSA_16discard_iteratorINSA_11use_defaultEEESK_EEENSH_IJSG_SG_EEES6_PlJ7is_evenIjEEEE10hipError_tPvRmT3_T4_T5_T6_T7_T9_mT8_P12ihipStream_tbDpT10_ENKUlT_T0_E_clISt17integral_constantIbLb0EES18_IbLb1EEEEDaS14_S15_EUlS14_E_NS1_11comp_targetILNS1_3genE4ELNS1_11target_archE910ELNS1_3gpuE8ELNS1_3repE0EEENS1_30default_config_static_selectorELNS0_4arch9wavefront6targetE1EEEvT1_
; %bb.0:
	.section	.rodata,"a",@progbits
	.p2align	6, 0x0
	.amdhsa_kernel _ZN7rocprim17ROCPRIM_400000_NS6detail17trampoline_kernelINS0_14default_configENS1_25partition_config_selectorILNS1_17partition_subalgoE0EjNS0_10empty_typeEbEEZZNS1_14partition_implILS5_0ELb0ES3_jN6thrust23THRUST_200600_302600_NS6detail15normal_iteratorINSA_10device_ptrIjEEEEPS6_SG_NS0_5tupleIJNSA_16discard_iteratorINSA_11use_defaultEEESK_EEENSH_IJSG_SG_EEES6_PlJ7is_evenIjEEEE10hipError_tPvRmT3_T4_T5_T6_T7_T9_mT8_P12ihipStream_tbDpT10_ENKUlT_T0_E_clISt17integral_constantIbLb0EES18_IbLb1EEEEDaS14_S15_EUlS14_E_NS1_11comp_targetILNS1_3genE4ELNS1_11target_archE910ELNS1_3gpuE8ELNS1_3repE0EEENS1_30default_config_static_selectorELNS0_4arch9wavefront6targetE1EEEvT1_
		.amdhsa_group_segment_fixed_size 0
		.amdhsa_private_segment_fixed_size 0
		.amdhsa_kernarg_size 152
		.amdhsa_user_sgpr_count 2
		.amdhsa_user_sgpr_dispatch_ptr 0
		.amdhsa_user_sgpr_queue_ptr 0
		.amdhsa_user_sgpr_kernarg_segment_ptr 1
		.amdhsa_user_sgpr_dispatch_id 0
		.amdhsa_user_sgpr_kernarg_preload_length 0
		.amdhsa_user_sgpr_kernarg_preload_offset 0
		.amdhsa_user_sgpr_private_segment_size 0
		.amdhsa_uses_dynamic_stack 0
		.amdhsa_enable_private_segment 0
		.amdhsa_system_sgpr_workgroup_id_x 1
		.amdhsa_system_sgpr_workgroup_id_y 0
		.amdhsa_system_sgpr_workgroup_id_z 0
		.amdhsa_system_sgpr_workgroup_info 0
		.amdhsa_system_vgpr_workitem_id 0
		.amdhsa_next_free_vgpr 1
		.amdhsa_next_free_sgpr 0
		.amdhsa_accum_offset 4
		.amdhsa_reserve_vcc 0
		.amdhsa_float_round_mode_32 0
		.amdhsa_float_round_mode_16_64 0
		.amdhsa_float_denorm_mode_32 3
		.amdhsa_float_denorm_mode_16_64 3
		.amdhsa_dx10_clamp 1
		.amdhsa_ieee_mode 1
		.amdhsa_fp16_overflow 0
		.amdhsa_tg_split 0
		.amdhsa_exception_fp_ieee_invalid_op 0
		.amdhsa_exception_fp_denorm_src 0
		.amdhsa_exception_fp_ieee_div_zero 0
		.amdhsa_exception_fp_ieee_overflow 0
		.amdhsa_exception_fp_ieee_underflow 0
		.amdhsa_exception_fp_ieee_inexact 0
		.amdhsa_exception_int_div_zero 0
	.end_amdhsa_kernel
	.section	.text._ZN7rocprim17ROCPRIM_400000_NS6detail17trampoline_kernelINS0_14default_configENS1_25partition_config_selectorILNS1_17partition_subalgoE0EjNS0_10empty_typeEbEEZZNS1_14partition_implILS5_0ELb0ES3_jN6thrust23THRUST_200600_302600_NS6detail15normal_iteratorINSA_10device_ptrIjEEEEPS6_SG_NS0_5tupleIJNSA_16discard_iteratorINSA_11use_defaultEEESK_EEENSH_IJSG_SG_EEES6_PlJ7is_evenIjEEEE10hipError_tPvRmT3_T4_T5_T6_T7_T9_mT8_P12ihipStream_tbDpT10_ENKUlT_T0_E_clISt17integral_constantIbLb0EES18_IbLb1EEEEDaS14_S15_EUlS14_E_NS1_11comp_targetILNS1_3genE4ELNS1_11target_archE910ELNS1_3gpuE8ELNS1_3repE0EEENS1_30default_config_static_selectorELNS0_4arch9wavefront6targetE1EEEvT1_,"axG",@progbits,_ZN7rocprim17ROCPRIM_400000_NS6detail17trampoline_kernelINS0_14default_configENS1_25partition_config_selectorILNS1_17partition_subalgoE0EjNS0_10empty_typeEbEEZZNS1_14partition_implILS5_0ELb0ES3_jN6thrust23THRUST_200600_302600_NS6detail15normal_iteratorINSA_10device_ptrIjEEEEPS6_SG_NS0_5tupleIJNSA_16discard_iteratorINSA_11use_defaultEEESK_EEENSH_IJSG_SG_EEES6_PlJ7is_evenIjEEEE10hipError_tPvRmT3_T4_T5_T6_T7_T9_mT8_P12ihipStream_tbDpT10_ENKUlT_T0_E_clISt17integral_constantIbLb0EES18_IbLb1EEEEDaS14_S15_EUlS14_E_NS1_11comp_targetILNS1_3genE4ELNS1_11target_archE910ELNS1_3gpuE8ELNS1_3repE0EEENS1_30default_config_static_selectorELNS0_4arch9wavefront6targetE1EEEvT1_,comdat
.Lfunc_end2421:
	.size	_ZN7rocprim17ROCPRIM_400000_NS6detail17trampoline_kernelINS0_14default_configENS1_25partition_config_selectorILNS1_17partition_subalgoE0EjNS0_10empty_typeEbEEZZNS1_14partition_implILS5_0ELb0ES3_jN6thrust23THRUST_200600_302600_NS6detail15normal_iteratorINSA_10device_ptrIjEEEEPS6_SG_NS0_5tupleIJNSA_16discard_iteratorINSA_11use_defaultEEESK_EEENSH_IJSG_SG_EEES6_PlJ7is_evenIjEEEE10hipError_tPvRmT3_T4_T5_T6_T7_T9_mT8_P12ihipStream_tbDpT10_ENKUlT_T0_E_clISt17integral_constantIbLb0EES18_IbLb1EEEEDaS14_S15_EUlS14_E_NS1_11comp_targetILNS1_3genE4ELNS1_11target_archE910ELNS1_3gpuE8ELNS1_3repE0EEENS1_30default_config_static_selectorELNS0_4arch9wavefront6targetE1EEEvT1_, .Lfunc_end2421-_ZN7rocprim17ROCPRIM_400000_NS6detail17trampoline_kernelINS0_14default_configENS1_25partition_config_selectorILNS1_17partition_subalgoE0EjNS0_10empty_typeEbEEZZNS1_14partition_implILS5_0ELb0ES3_jN6thrust23THRUST_200600_302600_NS6detail15normal_iteratorINSA_10device_ptrIjEEEEPS6_SG_NS0_5tupleIJNSA_16discard_iteratorINSA_11use_defaultEEESK_EEENSH_IJSG_SG_EEES6_PlJ7is_evenIjEEEE10hipError_tPvRmT3_T4_T5_T6_T7_T9_mT8_P12ihipStream_tbDpT10_ENKUlT_T0_E_clISt17integral_constantIbLb0EES18_IbLb1EEEEDaS14_S15_EUlS14_E_NS1_11comp_targetILNS1_3genE4ELNS1_11target_archE910ELNS1_3gpuE8ELNS1_3repE0EEENS1_30default_config_static_selectorELNS0_4arch9wavefront6targetE1EEEvT1_
                                        ; -- End function
	.section	.AMDGPU.csdata,"",@progbits
; Kernel info:
; codeLenInByte = 0
; NumSgprs: 6
; NumVgprs: 0
; NumAgprs: 0
; TotalNumVgprs: 0
; ScratchSize: 0
; MemoryBound: 0
; FloatMode: 240
; IeeeMode: 1
; LDSByteSize: 0 bytes/workgroup (compile time only)
; SGPRBlocks: 0
; VGPRBlocks: 0
; NumSGPRsForWavesPerEU: 6
; NumVGPRsForWavesPerEU: 1
; AccumOffset: 4
; Occupancy: 8
; WaveLimiterHint : 0
; COMPUTE_PGM_RSRC2:SCRATCH_EN: 0
; COMPUTE_PGM_RSRC2:USER_SGPR: 2
; COMPUTE_PGM_RSRC2:TRAP_HANDLER: 0
; COMPUTE_PGM_RSRC2:TGID_X_EN: 1
; COMPUTE_PGM_RSRC2:TGID_Y_EN: 0
; COMPUTE_PGM_RSRC2:TGID_Z_EN: 0
; COMPUTE_PGM_RSRC2:TIDIG_COMP_CNT: 0
; COMPUTE_PGM_RSRC3_GFX90A:ACCUM_OFFSET: 0
; COMPUTE_PGM_RSRC3_GFX90A:TG_SPLIT: 0
	.section	.text._ZN7rocprim17ROCPRIM_400000_NS6detail17trampoline_kernelINS0_14default_configENS1_25partition_config_selectorILNS1_17partition_subalgoE0EjNS0_10empty_typeEbEEZZNS1_14partition_implILS5_0ELb0ES3_jN6thrust23THRUST_200600_302600_NS6detail15normal_iteratorINSA_10device_ptrIjEEEEPS6_SG_NS0_5tupleIJNSA_16discard_iteratorINSA_11use_defaultEEESK_EEENSH_IJSG_SG_EEES6_PlJ7is_evenIjEEEE10hipError_tPvRmT3_T4_T5_T6_T7_T9_mT8_P12ihipStream_tbDpT10_ENKUlT_T0_E_clISt17integral_constantIbLb0EES18_IbLb1EEEEDaS14_S15_EUlS14_E_NS1_11comp_targetILNS1_3genE3ELNS1_11target_archE908ELNS1_3gpuE7ELNS1_3repE0EEENS1_30default_config_static_selectorELNS0_4arch9wavefront6targetE1EEEvT1_,"axG",@progbits,_ZN7rocprim17ROCPRIM_400000_NS6detail17trampoline_kernelINS0_14default_configENS1_25partition_config_selectorILNS1_17partition_subalgoE0EjNS0_10empty_typeEbEEZZNS1_14partition_implILS5_0ELb0ES3_jN6thrust23THRUST_200600_302600_NS6detail15normal_iteratorINSA_10device_ptrIjEEEEPS6_SG_NS0_5tupleIJNSA_16discard_iteratorINSA_11use_defaultEEESK_EEENSH_IJSG_SG_EEES6_PlJ7is_evenIjEEEE10hipError_tPvRmT3_T4_T5_T6_T7_T9_mT8_P12ihipStream_tbDpT10_ENKUlT_T0_E_clISt17integral_constantIbLb0EES18_IbLb1EEEEDaS14_S15_EUlS14_E_NS1_11comp_targetILNS1_3genE3ELNS1_11target_archE908ELNS1_3gpuE7ELNS1_3repE0EEENS1_30default_config_static_selectorELNS0_4arch9wavefront6targetE1EEEvT1_,comdat
	.protected	_ZN7rocprim17ROCPRIM_400000_NS6detail17trampoline_kernelINS0_14default_configENS1_25partition_config_selectorILNS1_17partition_subalgoE0EjNS0_10empty_typeEbEEZZNS1_14partition_implILS5_0ELb0ES3_jN6thrust23THRUST_200600_302600_NS6detail15normal_iteratorINSA_10device_ptrIjEEEEPS6_SG_NS0_5tupleIJNSA_16discard_iteratorINSA_11use_defaultEEESK_EEENSH_IJSG_SG_EEES6_PlJ7is_evenIjEEEE10hipError_tPvRmT3_T4_T5_T6_T7_T9_mT8_P12ihipStream_tbDpT10_ENKUlT_T0_E_clISt17integral_constantIbLb0EES18_IbLb1EEEEDaS14_S15_EUlS14_E_NS1_11comp_targetILNS1_3genE3ELNS1_11target_archE908ELNS1_3gpuE7ELNS1_3repE0EEENS1_30default_config_static_selectorELNS0_4arch9wavefront6targetE1EEEvT1_ ; -- Begin function _ZN7rocprim17ROCPRIM_400000_NS6detail17trampoline_kernelINS0_14default_configENS1_25partition_config_selectorILNS1_17partition_subalgoE0EjNS0_10empty_typeEbEEZZNS1_14partition_implILS5_0ELb0ES3_jN6thrust23THRUST_200600_302600_NS6detail15normal_iteratorINSA_10device_ptrIjEEEEPS6_SG_NS0_5tupleIJNSA_16discard_iteratorINSA_11use_defaultEEESK_EEENSH_IJSG_SG_EEES6_PlJ7is_evenIjEEEE10hipError_tPvRmT3_T4_T5_T6_T7_T9_mT8_P12ihipStream_tbDpT10_ENKUlT_T0_E_clISt17integral_constantIbLb0EES18_IbLb1EEEEDaS14_S15_EUlS14_E_NS1_11comp_targetILNS1_3genE3ELNS1_11target_archE908ELNS1_3gpuE7ELNS1_3repE0EEENS1_30default_config_static_selectorELNS0_4arch9wavefront6targetE1EEEvT1_
	.globl	_ZN7rocprim17ROCPRIM_400000_NS6detail17trampoline_kernelINS0_14default_configENS1_25partition_config_selectorILNS1_17partition_subalgoE0EjNS0_10empty_typeEbEEZZNS1_14partition_implILS5_0ELb0ES3_jN6thrust23THRUST_200600_302600_NS6detail15normal_iteratorINSA_10device_ptrIjEEEEPS6_SG_NS0_5tupleIJNSA_16discard_iteratorINSA_11use_defaultEEESK_EEENSH_IJSG_SG_EEES6_PlJ7is_evenIjEEEE10hipError_tPvRmT3_T4_T5_T6_T7_T9_mT8_P12ihipStream_tbDpT10_ENKUlT_T0_E_clISt17integral_constantIbLb0EES18_IbLb1EEEEDaS14_S15_EUlS14_E_NS1_11comp_targetILNS1_3genE3ELNS1_11target_archE908ELNS1_3gpuE7ELNS1_3repE0EEENS1_30default_config_static_selectorELNS0_4arch9wavefront6targetE1EEEvT1_
	.p2align	8
	.type	_ZN7rocprim17ROCPRIM_400000_NS6detail17trampoline_kernelINS0_14default_configENS1_25partition_config_selectorILNS1_17partition_subalgoE0EjNS0_10empty_typeEbEEZZNS1_14partition_implILS5_0ELb0ES3_jN6thrust23THRUST_200600_302600_NS6detail15normal_iteratorINSA_10device_ptrIjEEEEPS6_SG_NS0_5tupleIJNSA_16discard_iteratorINSA_11use_defaultEEESK_EEENSH_IJSG_SG_EEES6_PlJ7is_evenIjEEEE10hipError_tPvRmT3_T4_T5_T6_T7_T9_mT8_P12ihipStream_tbDpT10_ENKUlT_T0_E_clISt17integral_constantIbLb0EES18_IbLb1EEEEDaS14_S15_EUlS14_E_NS1_11comp_targetILNS1_3genE3ELNS1_11target_archE908ELNS1_3gpuE7ELNS1_3repE0EEENS1_30default_config_static_selectorELNS0_4arch9wavefront6targetE1EEEvT1_,@function
_ZN7rocprim17ROCPRIM_400000_NS6detail17trampoline_kernelINS0_14default_configENS1_25partition_config_selectorILNS1_17partition_subalgoE0EjNS0_10empty_typeEbEEZZNS1_14partition_implILS5_0ELb0ES3_jN6thrust23THRUST_200600_302600_NS6detail15normal_iteratorINSA_10device_ptrIjEEEEPS6_SG_NS0_5tupleIJNSA_16discard_iteratorINSA_11use_defaultEEESK_EEENSH_IJSG_SG_EEES6_PlJ7is_evenIjEEEE10hipError_tPvRmT3_T4_T5_T6_T7_T9_mT8_P12ihipStream_tbDpT10_ENKUlT_T0_E_clISt17integral_constantIbLb0EES18_IbLb1EEEEDaS14_S15_EUlS14_E_NS1_11comp_targetILNS1_3genE3ELNS1_11target_archE908ELNS1_3gpuE7ELNS1_3repE0EEENS1_30default_config_static_selectorELNS0_4arch9wavefront6targetE1EEEvT1_: ; @_ZN7rocprim17ROCPRIM_400000_NS6detail17trampoline_kernelINS0_14default_configENS1_25partition_config_selectorILNS1_17partition_subalgoE0EjNS0_10empty_typeEbEEZZNS1_14partition_implILS5_0ELb0ES3_jN6thrust23THRUST_200600_302600_NS6detail15normal_iteratorINSA_10device_ptrIjEEEEPS6_SG_NS0_5tupleIJNSA_16discard_iteratorINSA_11use_defaultEEESK_EEENSH_IJSG_SG_EEES6_PlJ7is_evenIjEEEE10hipError_tPvRmT3_T4_T5_T6_T7_T9_mT8_P12ihipStream_tbDpT10_ENKUlT_T0_E_clISt17integral_constantIbLb0EES18_IbLb1EEEEDaS14_S15_EUlS14_E_NS1_11comp_targetILNS1_3genE3ELNS1_11target_archE908ELNS1_3gpuE7ELNS1_3repE0EEENS1_30default_config_static_selectorELNS0_4arch9wavefront6targetE1EEEvT1_
; %bb.0:
	.section	.rodata,"a",@progbits
	.p2align	6, 0x0
	.amdhsa_kernel _ZN7rocprim17ROCPRIM_400000_NS6detail17trampoline_kernelINS0_14default_configENS1_25partition_config_selectorILNS1_17partition_subalgoE0EjNS0_10empty_typeEbEEZZNS1_14partition_implILS5_0ELb0ES3_jN6thrust23THRUST_200600_302600_NS6detail15normal_iteratorINSA_10device_ptrIjEEEEPS6_SG_NS0_5tupleIJNSA_16discard_iteratorINSA_11use_defaultEEESK_EEENSH_IJSG_SG_EEES6_PlJ7is_evenIjEEEE10hipError_tPvRmT3_T4_T5_T6_T7_T9_mT8_P12ihipStream_tbDpT10_ENKUlT_T0_E_clISt17integral_constantIbLb0EES18_IbLb1EEEEDaS14_S15_EUlS14_E_NS1_11comp_targetILNS1_3genE3ELNS1_11target_archE908ELNS1_3gpuE7ELNS1_3repE0EEENS1_30default_config_static_selectorELNS0_4arch9wavefront6targetE1EEEvT1_
		.amdhsa_group_segment_fixed_size 0
		.amdhsa_private_segment_fixed_size 0
		.amdhsa_kernarg_size 152
		.amdhsa_user_sgpr_count 2
		.amdhsa_user_sgpr_dispatch_ptr 0
		.amdhsa_user_sgpr_queue_ptr 0
		.amdhsa_user_sgpr_kernarg_segment_ptr 1
		.amdhsa_user_sgpr_dispatch_id 0
		.amdhsa_user_sgpr_kernarg_preload_length 0
		.amdhsa_user_sgpr_kernarg_preload_offset 0
		.amdhsa_user_sgpr_private_segment_size 0
		.amdhsa_uses_dynamic_stack 0
		.amdhsa_enable_private_segment 0
		.amdhsa_system_sgpr_workgroup_id_x 1
		.amdhsa_system_sgpr_workgroup_id_y 0
		.amdhsa_system_sgpr_workgroup_id_z 0
		.amdhsa_system_sgpr_workgroup_info 0
		.amdhsa_system_vgpr_workitem_id 0
		.amdhsa_next_free_vgpr 1
		.amdhsa_next_free_sgpr 0
		.amdhsa_accum_offset 4
		.amdhsa_reserve_vcc 0
		.amdhsa_float_round_mode_32 0
		.amdhsa_float_round_mode_16_64 0
		.amdhsa_float_denorm_mode_32 3
		.amdhsa_float_denorm_mode_16_64 3
		.amdhsa_dx10_clamp 1
		.amdhsa_ieee_mode 1
		.amdhsa_fp16_overflow 0
		.amdhsa_tg_split 0
		.amdhsa_exception_fp_ieee_invalid_op 0
		.amdhsa_exception_fp_denorm_src 0
		.amdhsa_exception_fp_ieee_div_zero 0
		.amdhsa_exception_fp_ieee_overflow 0
		.amdhsa_exception_fp_ieee_underflow 0
		.amdhsa_exception_fp_ieee_inexact 0
		.amdhsa_exception_int_div_zero 0
	.end_amdhsa_kernel
	.section	.text._ZN7rocprim17ROCPRIM_400000_NS6detail17trampoline_kernelINS0_14default_configENS1_25partition_config_selectorILNS1_17partition_subalgoE0EjNS0_10empty_typeEbEEZZNS1_14partition_implILS5_0ELb0ES3_jN6thrust23THRUST_200600_302600_NS6detail15normal_iteratorINSA_10device_ptrIjEEEEPS6_SG_NS0_5tupleIJNSA_16discard_iteratorINSA_11use_defaultEEESK_EEENSH_IJSG_SG_EEES6_PlJ7is_evenIjEEEE10hipError_tPvRmT3_T4_T5_T6_T7_T9_mT8_P12ihipStream_tbDpT10_ENKUlT_T0_E_clISt17integral_constantIbLb0EES18_IbLb1EEEEDaS14_S15_EUlS14_E_NS1_11comp_targetILNS1_3genE3ELNS1_11target_archE908ELNS1_3gpuE7ELNS1_3repE0EEENS1_30default_config_static_selectorELNS0_4arch9wavefront6targetE1EEEvT1_,"axG",@progbits,_ZN7rocprim17ROCPRIM_400000_NS6detail17trampoline_kernelINS0_14default_configENS1_25partition_config_selectorILNS1_17partition_subalgoE0EjNS0_10empty_typeEbEEZZNS1_14partition_implILS5_0ELb0ES3_jN6thrust23THRUST_200600_302600_NS6detail15normal_iteratorINSA_10device_ptrIjEEEEPS6_SG_NS0_5tupleIJNSA_16discard_iteratorINSA_11use_defaultEEESK_EEENSH_IJSG_SG_EEES6_PlJ7is_evenIjEEEE10hipError_tPvRmT3_T4_T5_T6_T7_T9_mT8_P12ihipStream_tbDpT10_ENKUlT_T0_E_clISt17integral_constantIbLb0EES18_IbLb1EEEEDaS14_S15_EUlS14_E_NS1_11comp_targetILNS1_3genE3ELNS1_11target_archE908ELNS1_3gpuE7ELNS1_3repE0EEENS1_30default_config_static_selectorELNS0_4arch9wavefront6targetE1EEEvT1_,comdat
.Lfunc_end2422:
	.size	_ZN7rocprim17ROCPRIM_400000_NS6detail17trampoline_kernelINS0_14default_configENS1_25partition_config_selectorILNS1_17partition_subalgoE0EjNS0_10empty_typeEbEEZZNS1_14partition_implILS5_0ELb0ES3_jN6thrust23THRUST_200600_302600_NS6detail15normal_iteratorINSA_10device_ptrIjEEEEPS6_SG_NS0_5tupleIJNSA_16discard_iteratorINSA_11use_defaultEEESK_EEENSH_IJSG_SG_EEES6_PlJ7is_evenIjEEEE10hipError_tPvRmT3_T4_T5_T6_T7_T9_mT8_P12ihipStream_tbDpT10_ENKUlT_T0_E_clISt17integral_constantIbLb0EES18_IbLb1EEEEDaS14_S15_EUlS14_E_NS1_11comp_targetILNS1_3genE3ELNS1_11target_archE908ELNS1_3gpuE7ELNS1_3repE0EEENS1_30default_config_static_selectorELNS0_4arch9wavefront6targetE1EEEvT1_, .Lfunc_end2422-_ZN7rocprim17ROCPRIM_400000_NS6detail17trampoline_kernelINS0_14default_configENS1_25partition_config_selectorILNS1_17partition_subalgoE0EjNS0_10empty_typeEbEEZZNS1_14partition_implILS5_0ELb0ES3_jN6thrust23THRUST_200600_302600_NS6detail15normal_iteratorINSA_10device_ptrIjEEEEPS6_SG_NS0_5tupleIJNSA_16discard_iteratorINSA_11use_defaultEEESK_EEENSH_IJSG_SG_EEES6_PlJ7is_evenIjEEEE10hipError_tPvRmT3_T4_T5_T6_T7_T9_mT8_P12ihipStream_tbDpT10_ENKUlT_T0_E_clISt17integral_constantIbLb0EES18_IbLb1EEEEDaS14_S15_EUlS14_E_NS1_11comp_targetILNS1_3genE3ELNS1_11target_archE908ELNS1_3gpuE7ELNS1_3repE0EEENS1_30default_config_static_selectorELNS0_4arch9wavefront6targetE1EEEvT1_
                                        ; -- End function
	.section	.AMDGPU.csdata,"",@progbits
; Kernel info:
; codeLenInByte = 0
; NumSgprs: 6
; NumVgprs: 0
; NumAgprs: 0
; TotalNumVgprs: 0
; ScratchSize: 0
; MemoryBound: 0
; FloatMode: 240
; IeeeMode: 1
; LDSByteSize: 0 bytes/workgroup (compile time only)
; SGPRBlocks: 0
; VGPRBlocks: 0
; NumSGPRsForWavesPerEU: 6
; NumVGPRsForWavesPerEU: 1
; AccumOffset: 4
; Occupancy: 8
; WaveLimiterHint : 0
; COMPUTE_PGM_RSRC2:SCRATCH_EN: 0
; COMPUTE_PGM_RSRC2:USER_SGPR: 2
; COMPUTE_PGM_RSRC2:TRAP_HANDLER: 0
; COMPUTE_PGM_RSRC2:TGID_X_EN: 1
; COMPUTE_PGM_RSRC2:TGID_Y_EN: 0
; COMPUTE_PGM_RSRC2:TGID_Z_EN: 0
; COMPUTE_PGM_RSRC2:TIDIG_COMP_CNT: 0
; COMPUTE_PGM_RSRC3_GFX90A:ACCUM_OFFSET: 0
; COMPUTE_PGM_RSRC3_GFX90A:TG_SPLIT: 0
	.section	.text._ZN7rocprim17ROCPRIM_400000_NS6detail17trampoline_kernelINS0_14default_configENS1_25partition_config_selectorILNS1_17partition_subalgoE0EjNS0_10empty_typeEbEEZZNS1_14partition_implILS5_0ELb0ES3_jN6thrust23THRUST_200600_302600_NS6detail15normal_iteratorINSA_10device_ptrIjEEEEPS6_SG_NS0_5tupleIJNSA_16discard_iteratorINSA_11use_defaultEEESK_EEENSH_IJSG_SG_EEES6_PlJ7is_evenIjEEEE10hipError_tPvRmT3_T4_T5_T6_T7_T9_mT8_P12ihipStream_tbDpT10_ENKUlT_T0_E_clISt17integral_constantIbLb0EES18_IbLb1EEEEDaS14_S15_EUlS14_E_NS1_11comp_targetILNS1_3genE2ELNS1_11target_archE906ELNS1_3gpuE6ELNS1_3repE0EEENS1_30default_config_static_selectorELNS0_4arch9wavefront6targetE1EEEvT1_,"axG",@progbits,_ZN7rocprim17ROCPRIM_400000_NS6detail17trampoline_kernelINS0_14default_configENS1_25partition_config_selectorILNS1_17partition_subalgoE0EjNS0_10empty_typeEbEEZZNS1_14partition_implILS5_0ELb0ES3_jN6thrust23THRUST_200600_302600_NS6detail15normal_iteratorINSA_10device_ptrIjEEEEPS6_SG_NS0_5tupleIJNSA_16discard_iteratorINSA_11use_defaultEEESK_EEENSH_IJSG_SG_EEES6_PlJ7is_evenIjEEEE10hipError_tPvRmT3_T4_T5_T6_T7_T9_mT8_P12ihipStream_tbDpT10_ENKUlT_T0_E_clISt17integral_constantIbLb0EES18_IbLb1EEEEDaS14_S15_EUlS14_E_NS1_11comp_targetILNS1_3genE2ELNS1_11target_archE906ELNS1_3gpuE6ELNS1_3repE0EEENS1_30default_config_static_selectorELNS0_4arch9wavefront6targetE1EEEvT1_,comdat
	.protected	_ZN7rocprim17ROCPRIM_400000_NS6detail17trampoline_kernelINS0_14default_configENS1_25partition_config_selectorILNS1_17partition_subalgoE0EjNS0_10empty_typeEbEEZZNS1_14partition_implILS5_0ELb0ES3_jN6thrust23THRUST_200600_302600_NS6detail15normal_iteratorINSA_10device_ptrIjEEEEPS6_SG_NS0_5tupleIJNSA_16discard_iteratorINSA_11use_defaultEEESK_EEENSH_IJSG_SG_EEES6_PlJ7is_evenIjEEEE10hipError_tPvRmT3_T4_T5_T6_T7_T9_mT8_P12ihipStream_tbDpT10_ENKUlT_T0_E_clISt17integral_constantIbLb0EES18_IbLb1EEEEDaS14_S15_EUlS14_E_NS1_11comp_targetILNS1_3genE2ELNS1_11target_archE906ELNS1_3gpuE6ELNS1_3repE0EEENS1_30default_config_static_selectorELNS0_4arch9wavefront6targetE1EEEvT1_ ; -- Begin function _ZN7rocprim17ROCPRIM_400000_NS6detail17trampoline_kernelINS0_14default_configENS1_25partition_config_selectorILNS1_17partition_subalgoE0EjNS0_10empty_typeEbEEZZNS1_14partition_implILS5_0ELb0ES3_jN6thrust23THRUST_200600_302600_NS6detail15normal_iteratorINSA_10device_ptrIjEEEEPS6_SG_NS0_5tupleIJNSA_16discard_iteratorINSA_11use_defaultEEESK_EEENSH_IJSG_SG_EEES6_PlJ7is_evenIjEEEE10hipError_tPvRmT3_T4_T5_T6_T7_T9_mT8_P12ihipStream_tbDpT10_ENKUlT_T0_E_clISt17integral_constantIbLb0EES18_IbLb1EEEEDaS14_S15_EUlS14_E_NS1_11comp_targetILNS1_3genE2ELNS1_11target_archE906ELNS1_3gpuE6ELNS1_3repE0EEENS1_30default_config_static_selectorELNS0_4arch9wavefront6targetE1EEEvT1_
	.globl	_ZN7rocprim17ROCPRIM_400000_NS6detail17trampoline_kernelINS0_14default_configENS1_25partition_config_selectorILNS1_17partition_subalgoE0EjNS0_10empty_typeEbEEZZNS1_14partition_implILS5_0ELb0ES3_jN6thrust23THRUST_200600_302600_NS6detail15normal_iteratorINSA_10device_ptrIjEEEEPS6_SG_NS0_5tupleIJNSA_16discard_iteratorINSA_11use_defaultEEESK_EEENSH_IJSG_SG_EEES6_PlJ7is_evenIjEEEE10hipError_tPvRmT3_T4_T5_T6_T7_T9_mT8_P12ihipStream_tbDpT10_ENKUlT_T0_E_clISt17integral_constantIbLb0EES18_IbLb1EEEEDaS14_S15_EUlS14_E_NS1_11comp_targetILNS1_3genE2ELNS1_11target_archE906ELNS1_3gpuE6ELNS1_3repE0EEENS1_30default_config_static_selectorELNS0_4arch9wavefront6targetE1EEEvT1_
	.p2align	8
	.type	_ZN7rocprim17ROCPRIM_400000_NS6detail17trampoline_kernelINS0_14default_configENS1_25partition_config_selectorILNS1_17partition_subalgoE0EjNS0_10empty_typeEbEEZZNS1_14partition_implILS5_0ELb0ES3_jN6thrust23THRUST_200600_302600_NS6detail15normal_iteratorINSA_10device_ptrIjEEEEPS6_SG_NS0_5tupleIJNSA_16discard_iteratorINSA_11use_defaultEEESK_EEENSH_IJSG_SG_EEES6_PlJ7is_evenIjEEEE10hipError_tPvRmT3_T4_T5_T6_T7_T9_mT8_P12ihipStream_tbDpT10_ENKUlT_T0_E_clISt17integral_constantIbLb0EES18_IbLb1EEEEDaS14_S15_EUlS14_E_NS1_11comp_targetILNS1_3genE2ELNS1_11target_archE906ELNS1_3gpuE6ELNS1_3repE0EEENS1_30default_config_static_selectorELNS0_4arch9wavefront6targetE1EEEvT1_,@function
_ZN7rocprim17ROCPRIM_400000_NS6detail17trampoline_kernelINS0_14default_configENS1_25partition_config_selectorILNS1_17partition_subalgoE0EjNS0_10empty_typeEbEEZZNS1_14partition_implILS5_0ELb0ES3_jN6thrust23THRUST_200600_302600_NS6detail15normal_iteratorINSA_10device_ptrIjEEEEPS6_SG_NS0_5tupleIJNSA_16discard_iteratorINSA_11use_defaultEEESK_EEENSH_IJSG_SG_EEES6_PlJ7is_evenIjEEEE10hipError_tPvRmT3_T4_T5_T6_T7_T9_mT8_P12ihipStream_tbDpT10_ENKUlT_T0_E_clISt17integral_constantIbLb0EES18_IbLb1EEEEDaS14_S15_EUlS14_E_NS1_11comp_targetILNS1_3genE2ELNS1_11target_archE906ELNS1_3gpuE6ELNS1_3repE0EEENS1_30default_config_static_selectorELNS0_4arch9wavefront6targetE1EEEvT1_: ; @_ZN7rocprim17ROCPRIM_400000_NS6detail17trampoline_kernelINS0_14default_configENS1_25partition_config_selectorILNS1_17partition_subalgoE0EjNS0_10empty_typeEbEEZZNS1_14partition_implILS5_0ELb0ES3_jN6thrust23THRUST_200600_302600_NS6detail15normal_iteratorINSA_10device_ptrIjEEEEPS6_SG_NS0_5tupleIJNSA_16discard_iteratorINSA_11use_defaultEEESK_EEENSH_IJSG_SG_EEES6_PlJ7is_evenIjEEEE10hipError_tPvRmT3_T4_T5_T6_T7_T9_mT8_P12ihipStream_tbDpT10_ENKUlT_T0_E_clISt17integral_constantIbLb0EES18_IbLb1EEEEDaS14_S15_EUlS14_E_NS1_11comp_targetILNS1_3genE2ELNS1_11target_archE906ELNS1_3gpuE6ELNS1_3repE0EEENS1_30default_config_static_selectorELNS0_4arch9wavefront6targetE1EEEvT1_
; %bb.0:
	.section	.rodata,"a",@progbits
	.p2align	6, 0x0
	.amdhsa_kernel _ZN7rocprim17ROCPRIM_400000_NS6detail17trampoline_kernelINS0_14default_configENS1_25partition_config_selectorILNS1_17partition_subalgoE0EjNS0_10empty_typeEbEEZZNS1_14partition_implILS5_0ELb0ES3_jN6thrust23THRUST_200600_302600_NS6detail15normal_iteratorINSA_10device_ptrIjEEEEPS6_SG_NS0_5tupleIJNSA_16discard_iteratorINSA_11use_defaultEEESK_EEENSH_IJSG_SG_EEES6_PlJ7is_evenIjEEEE10hipError_tPvRmT3_T4_T5_T6_T7_T9_mT8_P12ihipStream_tbDpT10_ENKUlT_T0_E_clISt17integral_constantIbLb0EES18_IbLb1EEEEDaS14_S15_EUlS14_E_NS1_11comp_targetILNS1_3genE2ELNS1_11target_archE906ELNS1_3gpuE6ELNS1_3repE0EEENS1_30default_config_static_selectorELNS0_4arch9wavefront6targetE1EEEvT1_
		.amdhsa_group_segment_fixed_size 0
		.amdhsa_private_segment_fixed_size 0
		.amdhsa_kernarg_size 152
		.amdhsa_user_sgpr_count 2
		.amdhsa_user_sgpr_dispatch_ptr 0
		.amdhsa_user_sgpr_queue_ptr 0
		.amdhsa_user_sgpr_kernarg_segment_ptr 1
		.amdhsa_user_sgpr_dispatch_id 0
		.amdhsa_user_sgpr_kernarg_preload_length 0
		.amdhsa_user_sgpr_kernarg_preload_offset 0
		.amdhsa_user_sgpr_private_segment_size 0
		.amdhsa_uses_dynamic_stack 0
		.amdhsa_enable_private_segment 0
		.amdhsa_system_sgpr_workgroup_id_x 1
		.amdhsa_system_sgpr_workgroup_id_y 0
		.amdhsa_system_sgpr_workgroup_id_z 0
		.amdhsa_system_sgpr_workgroup_info 0
		.amdhsa_system_vgpr_workitem_id 0
		.amdhsa_next_free_vgpr 1
		.amdhsa_next_free_sgpr 0
		.amdhsa_accum_offset 4
		.amdhsa_reserve_vcc 0
		.amdhsa_float_round_mode_32 0
		.amdhsa_float_round_mode_16_64 0
		.amdhsa_float_denorm_mode_32 3
		.amdhsa_float_denorm_mode_16_64 3
		.amdhsa_dx10_clamp 1
		.amdhsa_ieee_mode 1
		.amdhsa_fp16_overflow 0
		.amdhsa_tg_split 0
		.amdhsa_exception_fp_ieee_invalid_op 0
		.amdhsa_exception_fp_denorm_src 0
		.amdhsa_exception_fp_ieee_div_zero 0
		.amdhsa_exception_fp_ieee_overflow 0
		.amdhsa_exception_fp_ieee_underflow 0
		.amdhsa_exception_fp_ieee_inexact 0
		.amdhsa_exception_int_div_zero 0
	.end_amdhsa_kernel
	.section	.text._ZN7rocprim17ROCPRIM_400000_NS6detail17trampoline_kernelINS0_14default_configENS1_25partition_config_selectorILNS1_17partition_subalgoE0EjNS0_10empty_typeEbEEZZNS1_14partition_implILS5_0ELb0ES3_jN6thrust23THRUST_200600_302600_NS6detail15normal_iteratorINSA_10device_ptrIjEEEEPS6_SG_NS0_5tupleIJNSA_16discard_iteratorINSA_11use_defaultEEESK_EEENSH_IJSG_SG_EEES6_PlJ7is_evenIjEEEE10hipError_tPvRmT3_T4_T5_T6_T7_T9_mT8_P12ihipStream_tbDpT10_ENKUlT_T0_E_clISt17integral_constantIbLb0EES18_IbLb1EEEEDaS14_S15_EUlS14_E_NS1_11comp_targetILNS1_3genE2ELNS1_11target_archE906ELNS1_3gpuE6ELNS1_3repE0EEENS1_30default_config_static_selectorELNS0_4arch9wavefront6targetE1EEEvT1_,"axG",@progbits,_ZN7rocprim17ROCPRIM_400000_NS6detail17trampoline_kernelINS0_14default_configENS1_25partition_config_selectorILNS1_17partition_subalgoE0EjNS0_10empty_typeEbEEZZNS1_14partition_implILS5_0ELb0ES3_jN6thrust23THRUST_200600_302600_NS6detail15normal_iteratorINSA_10device_ptrIjEEEEPS6_SG_NS0_5tupleIJNSA_16discard_iteratorINSA_11use_defaultEEESK_EEENSH_IJSG_SG_EEES6_PlJ7is_evenIjEEEE10hipError_tPvRmT3_T4_T5_T6_T7_T9_mT8_P12ihipStream_tbDpT10_ENKUlT_T0_E_clISt17integral_constantIbLb0EES18_IbLb1EEEEDaS14_S15_EUlS14_E_NS1_11comp_targetILNS1_3genE2ELNS1_11target_archE906ELNS1_3gpuE6ELNS1_3repE0EEENS1_30default_config_static_selectorELNS0_4arch9wavefront6targetE1EEEvT1_,comdat
.Lfunc_end2423:
	.size	_ZN7rocprim17ROCPRIM_400000_NS6detail17trampoline_kernelINS0_14default_configENS1_25partition_config_selectorILNS1_17partition_subalgoE0EjNS0_10empty_typeEbEEZZNS1_14partition_implILS5_0ELb0ES3_jN6thrust23THRUST_200600_302600_NS6detail15normal_iteratorINSA_10device_ptrIjEEEEPS6_SG_NS0_5tupleIJNSA_16discard_iteratorINSA_11use_defaultEEESK_EEENSH_IJSG_SG_EEES6_PlJ7is_evenIjEEEE10hipError_tPvRmT3_T4_T5_T6_T7_T9_mT8_P12ihipStream_tbDpT10_ENKUlT_T0_E_clISt17integral_constantIbLb0EES18_IbLb1EEEEDaS14_S15_EUlS14_E_NS1_11comp_targetILNS1_3genE2ELNS1_11target_archE906ELNS1_3gpuE6ELNS1_3repE0EEENS1_30default_config_static_selectorELNS0_4arch9wavefront6targetE1EEEvT1_, .Lfunc_end2423-_ZN7rocprim17ROCPRIM_400000_NS6detail17trampoline_kernelINS0_14default_configENS1_25partition_config_selectorILNS1_17partition_subalgoE0EjNS0_10empty_typeEbEEZZNS1_14partition_implILS5_0ELb0ES3_jN6thrust23THRUST_200600_302600_NS6detail15normal_iteratorINSA_10device_ptrIjEEEEPS6_SG_NS0_5tupleIJNSA_16discard_iteratorINSA_11use_defaultEEESK_EEENSH_IJSG_SG_EEES6_PlJ7is_evenIjEEEE10hipError_tPvRmT3_T4_T5_T6_T7_T9_mT8_P12ihipStream_tbDpT10_ENKUlT_T0_E_clISt17integral_constantIbLb0EES18_IbLb1EEEEDaS14_S15_EUlS14_E_NS1_11comp_targetILNS1_3genE2ELNS1_11target_archE906ELNS1_3gpuE6ELNS1_3repE0EEENS1_30default_config_static_selectorELNS0_4arch9wavefront6targetE1EEEvT1_
                                        ; -- End function
	.section	.AMDGPU.csdata,"",@progbits
; Kernel info:
; codeLenInByte = 0
; NumSgprs: 6
; NumVgprs: 0
; NumAgprs: 0
; TotalNumVgprs: 0
; ScratchSize: 0
; MemoryBound: 0
; FloatMode: 240
; IeeeMode: 1
; LDSByteSize: 0 bytes/workgroup (compile time only)
; SGPRBlocks: 0
; VGPRBlocks: 0
; NumSGPRsForWavesPerEU: 6
; NumVGPRsForWavesPerEU: 1
; AccumOffset: 4
; Occupancy: 8
; WaveLimiterHint : 0
; COMPUTE_PGM_RSRC2:SCRATCH_EN: 0
; COMPUTE_PGM_RSRC2:USER_SGPR: 2
; COMPUTE_PGM_RSRC2:TRAP_HANDLER: 0
; COMPUTE_PGM_RSRC2:TGID_X_EN: 1
; COMPUTE_PGM_RSRC2:TGID_Y_EN: 0
; COMPUTE_PGM_RSRC2:TGID_Z_EN: 0
; COMPUTE_PGM_RSRC2:TIDIG_COMP_CNT: 0
; COMPUTE_PGM_RSRC3_GFX90A:ACCUM_OFFSET: 0
; COMPUTE_PGM_RSRC3_GFX90A:TG_SPLIT: 0
	.section	.text._ZN7rocprim17ROCPRIM_400000_NS6detail17trampoline_kernelINS0_14default_configENS1_25partition_config_selectorILNS1_17partition_subalgoE0EjNS0_10empty_typeEbEEZZNS1_14partition_implILS5_0ELb0ES3_jN6thrust23THRUST_200600_302600_NS6detail15normal_iteratorINSA_10device_ptrIjEEEEPS6_SG_NS0_5tupleIJNSA_16discard_iteratorINSA_11use_defaultEEESK_EEENSH_IJSG_SG_EEES6_PlJ7is_evenIjEEEE10hipError_tPvRmT3_T4_T5_T6_T7_T9_mT8_P12ihipStream_tbDpT10_ENKUlT_T0_E_clISt17integral_constantIbLb0EES18_IbLb1EEEEDaS14_S15_EUlS14_E_NS1_11comp_targetILNS1_3genE10ELNS1_11target_archE1200ELNS1_3gpuE4ELNS1_3repE0EEENS1_30default_config_static_selectorELNS0_4arch9wavefront6targetE1EEEvT1_,"axG",@progbits,_ZN7rocprim17ROCPRIM_400000_NS6detail17trampoline_kernelINS0_14default_configENS1_25partition_config_selectorILNS1_17partition_subalgoE0EjNS0_10empty_typeEbEEZZNS1_14partition_implILS5_0ELb0ES3_jN6thrust23THRUST_200600_302600_NS6detail15normal_iteratorINSA_10device_ptrIjEEEEPS6_SG_NS0_5tupleIJNSA_16discard_iteratorINSA_11use_defaultEEESK_EEENSH_IJSG_SG_EEES6_PlJ7is_evenIjEEEE10hipError_tPvRmT3_T4_T5_T6_T7_T9_mT8_P12ihipStream_tbDpT10_ENKUlT_T0_E_clISt17integral_constantIbLb0EES18_IbLb1EEEEDaS14_S15_EUlS14_E_NS1_11comp_targetILNS1_3genE10ELNS1_11target_archE1200ELNS1_3gpuE4ELNS1_3repE0EEENS1_30default_config_static_selectorELNS0_4arch9wavefront6targetE1EEEvT1_,comdat
	.protected	_ZN7rocprim17ROCPRIM_400000_NS6detail17trampoline_kernelINS0_14default_configENS1_25partition_config_selectorILNS1_17partition_subalgoE0EjNS0_10empty_typeEbEEZZNS1_14partition_implILS5_0ELb0ES3_jN6thrust23THRUST_200600_302600_NS6detail15normal_iteratorINSA_10device_ptrIjEEEEPS6_SG_NS0_5tupleIJNSA_16discard_iteratorINSA_11use_defaultEEESK_EEENSH_IJSG_SG_EEES6_PlJ7is_evenIjEEEE10hipError_tPvRmT3_T4_T5_T6_T7_T9_mT8_P12ihipStream_tbDpT10_ENKUlT_T0_E_clISt17integral_constantIbLb0EES18_IbLb1EEEEDaS14_S15_EUlS14_E_NS1_11comp_targetILNS1_3genE10ELNS1_11target_archE1200ELNS1_3gpuE4ELNS1_3repE0EEENS1_30default_config_static_selectorELNS0_4arch9wavefront6targetE1EEEvT1_ ; -- Begin function _ZN7rocprim17ROCPRIM_400000_NS6detail17trampoline_kernelINS0_14default_configENS1_25partition_config_selectorILNS1_17partition_subalgoE0EjNS0_10empty_typeEbEEZZNS1_14partition_implILS5_0ELb0ES3_jN6thrust23THRUST_200600_302600_NS6detail15normal_iteratorINSA_10device_ptrIjEEEEPS6_SG_NS0_5tupleIJNSA_16discard_iteratorINSA_11use_defaultEEESK_EEENSH_IJSG_SG_EEES6_PlJ7is_evenIjEEEE10hipError_tPvRmT3_T4_T5_T6_T7_T9_mT8_P12ihipStream_tbDpT10_ENKUlT_T0_E_clISt17integral_constantIbLb0EES18_IbLb1EEEEDaS14_S15_EUlS14_E_NS1_11comp_targetILNS1_3genE10ELNS1_11target_archE1200ELNS1_3gpuE4ELNS1_3repE0EEENS1_30default_config_static_selectorELNS0_4arch9wavefront6targetE1EEEvT1_
	.globl	_ZN7rocprim17ROCPRIM_400000_NS6detail17trampoline_kernelINS0_14default_configENS1_25partition_config_selectorILNS1_17partition_subalgoE0EjNS0_10empty_typeEbEEZZNS1_14partition_implILS5_0ELb0ES3_jN6thrust23THRUST_200600_302600_NS6detail15normal_iteratorINSA_10device_ptrIjEEEEPS6_SG_NS0_5tupleIJNSA_16discard_iteratorINSA_11use_defaultEEESK_EEENSH_IJSG_SG_EEES6_PlJ7is_evenIjEEEE10hipError_tPvRmT3_T4_T5_T6_T7_T9_mT8_P12ihipStream_tbDpT10_ENKUlT_T0_E_clISt17integral_constantIbLb0EES18_IbLb1EEEEDaS14_S15_EUlS14_E_NS1_11comp_targetILNS1_3genE10ELNS1_11target_archE1200ELNS1_3gpuE4ELNS1_3repE0EEENS1_30default_config_static_selectorELNS0_4arch9wavefront6targetE1EEEvT1_
	.p2align	8
	.type	_ZN7rocprim17ROCPRIM_400000_NS6detail17trampoline_kernelINS0_14default_configENS1_25partition_config_selectorILNS1_17partition_subalgoE0EjNS0_10empty_typeEbEEZZNS1_14partition_implILS5_0ELb0ES3_jN6thrust23THRUST_200600_302600_NS6detail15normal_iteratorINSA_10device_ptrIjEEEEPS6_SG_NS0_5tupleIJNSA_16discard_iteratorINSA_11use_defaultEEESK_EEENSH_IJSG_SG_EEES6_PlJ7is_evenIjEEEE10hipError_tPvRmT3_T4_T5_T6_T7_T9_mT8_P12ihipStream_tbDpT10_ENKUlT_T0_E_clISt17integral_constantIbLb0EES18_IbLb1EEEEDaS14_S15_EUlS14_E_NS1_11comp_targetILNS1_3genE10ELNS1_11target_archE1200ELNS1_3gpuE4ELNS1_3repE0EEENS1_30default_config_static_selectorELNS0_4arch9wavefront6targetE1EEEvT1_,@function
_ZN7rocprim17ROCPRIM_400000_NS6detail17trampoline_kernelINS0_14default_configENS1_25partition_config_selectorILNS1_17partition_subalgoE0EjNS0_10empty_typeEbEEZZNS1_14partition_implILS5_0ELb0ES3_jN6thrust23THRUST_200600_302600_NS6detail15normal_iteratorINSA_10device_ptrIjEEEEPS6_SG_NS0_5tupleIJNSA_16discard_iteratorINSA_11use_defaultEEESK_EEENSH_IJSG_SG_EEES6_PlJ7is_evenIjEEEE10hipError_tPvRmT3_T4_T5_T6_T7_T9_mT8_P12ihipStream_tbDpT10_ENKUlT_T0_E_clISt17integral_constantIbLb0EES18_IbLb1EEEEDaS14_S15_EUlS14_E_NS1_11comp_targetILNS1_3genE10ELNS1_11target_archE1200ELNS1_3gpuE4ELNS1_3repE0EEENS1_30default_config_static_selectorELNS0_4arch9wavefront6targetE1EEEvT1_: ; @_ZN7rocprim17ROCPRIM_400000_NS6detail17trampoline_kernelINS0_14default_configENS1_25partition_config_selectorILNS1_17partition_subalgoE0EjNS0_10empty_typeEbEEZZNS1_14partition_implILS5_0ELb0ES3_jN6thrust23THRUST_200600_302600_NS6detail15normal_iteratorINSA_10device_ptrIjEEEEPS6_SG_NS0_5tupleIJNSA_16discard_iteratorINSA_11use_defaultEEESK_EEENSH_IJSG_SG_EEES6_PlJ7is_evenIjEEEE10hipError_tPvRmT3_T4_T5_T6_T7_T9_mT8_P12ihipStream_tbDpT10_ENKUlT_T0_E_clISt17integral_constantIbLb0EES18_IbLb1EEEEDaS14_S15_EUlS14_E_NS1_11comp_targetILNS1_3genE10ELNS1_11target_archE1200ELNS1_3gpuE4ELNS1_3repE0EEENS1_30default_config_static_selectorELNS0_4arch9wavefront6targetE1EEEvT1_
; %bb.0:
	.section	.rodata,"a",@progbits
	.p2align	6, 0x0
	.amdhsa_kernel _ZN7rocprim17ROCPRIM_400000_NS6detail17trampoline_kernelINS0_14default_configENS1_25partition_config_selectorILNS1_17partition_subalgoE0EjNS0_10empty_typeEbEEZZNS1_14partition_implILS5_0ELb0ES3_jN6thrust23THRUST_200600_302600_NS6detail15normal_iteratorINSA_10device_ptrIjEEEEPS6_SG_NS0_5tupleIJNSA_16discard_iteratorINSA_11use_defaultEEESK_EEENSH_IJSG_SG_EEES6_PlJ7is_evenIjEEEE10hipError_tPvRmT3_T4_T5_T6_T7_T9_mT8_P12ihipStream_tbDpT10_ENKUlT_T0_E_clISt17integral_constantIbLb0EES18_IbLb1EEEEDaS14_S15_EUlS14_E_NS1_11comp_targetILNS1_3genE10ELNS1_11target_archE1200ELNS1_3gpuE4ELNS1_3repE0EEENS1_30default_config_static_selectorELNS0_4arch9wavefront6targetE1EEEvT1_
		.amdhsa_group_segment_fixed_size 0
		.amdhsa_private_segment_fixed_size 0
		.amdhsa_kernarg_size 152
		.amdhsa_user_sgpr_count 2
		.amdhsa_user_sgpr_dispatch_ptr 0
		.amdhsa_user_sgpr_queue_ptr 0
		.amdhsa_user_sgpr_kernarg_segment_ptr 1
		.amdhsa_user_sgpr_dispatch_id 0
		.amdhsa_user_sgpr_kernarg_preload_length 0
		.amdhsa_user_sgpr_kernarg_preload_offset 0
		.amdhsa_user_sgpr_private_segment_size 0
		.amdhsa_uses_dynamic_stack 0
		.amdhsa_enable_private_segment 0
		.amdhsa_system_sgpr_workgroup_id_x 1
		.amdhsa_system_sgpr_workgroup_id_y 0
		.amdhsa_system_sgpr_workgroup_id_z 0
		.amdhsa_system_sgpr_workgroup_info 0
		.amdhsa_system_vgpr_workitem_id 0
		.amdhsa_next_free_vgpr 1
		.amdhsa_next_free_sgpr 0
		.amdhsa_accum_offset 4
		.amdhsa_reserve_vcc 0
		.amdhsa_float_round_mode_32 0
		.amdhsa_float_round_mode_16_64 0
		.amdhsa_float_denorm_mode_32 3
		.amdhsa_float_denorm_mode_16_64 3
		.amdhsa_dx10_clamp 1
		.amdhsa_ieee_mode 1
		.amdhsa_fp16_overflow 0
		.amdhsa_tg_split 0
		.amdhsa_exception_fp_ieee_invalid_op 0
		.amdhsa_exception_fp_denorm_src 0
		.amdhsa_exception_fp_ieee_div_zero 0
		.amdhsa_exception_fp_ieee_overflow 0
		.amdhsa_exception_fp_ieee_underflow 0
		.amdhsa_exception_fp_ieee_inexact 0
		.amdhsa_exception_int_div_zero 0
	.end_amdhsa_kernel
	.section	.text._ZN7rocprim17ROCPRIM_400000_NS6detail17trampoline_kernelINS0_14default_configENS1_25partition_config_selectorILNS1_17partition_subalgoE0EjNS0_10empty_typeEbEEZZNS1_14partition_implILS5_0ELb0ES3_jN6thrust23THRUST_200600_302600_NS6detail15normal_iteratorINSA_10device_ptrIjEEEEPS6_SG_NS0_5tupleIJNSA_16discard_iteratorINSA_11use_defaultEEESK_EEENSH_IJSG_SG_EEES6_PlJ7is_evenIjEEEE10hipError_tPvRmT3_T4_T5_T6_T7_T9_mT8_P12ihipStream_tbDpT10_ENKUlT_T0_E_clISt17integral_constantIbLb0EES18_IbLb1EEEEDaS14_S15_EUlS14_E_NS1_11comp_targetILNS1_3genE10ELNS1_11target_archE1200ELNS1_3gpuE4ELNS1_3repE0EEENS1_30default_config_static_selectorELNS0_4arch9wavefront6targetE1EEEvT1_,"axG",@progbits,_ZN7rocprim17ROCPRIM_400000_NS6detail17trampoline_kernelINS0_14default_configENS1_25partition_config_selectorILNS1_17partition_subalgoE0EjNS0_10empty_typeEbEEZZNS1_14partition_implILS5_0ELb0ES3_jN6thrust23THRUST_200600_302600_NS6detail15normal_iteratorINSA_10device_ptrIjEEEEPS6_SG_NS0_5tupleIJNSA_16discard_iteratorINSA_11use_defaultEEESK_EEENSH_IJSG_SG_EEES6_PlJ7is_evenIjEEEE10hipError_tPvRmT3_T4_T5_T6_T7_T9_mT8_P12ihipStream_tbDpT10_ENKUlT_T0_E_clISt17integral_constantIbLb0EES18_IbLb1EEEEDaS14_S15_EUlS14_E_NS1_11comp_targetILNS1_3genE10ELNS1_11target_archE1200ELNS1_3gpuE4ELNS1_3repE0EEENS1_30default_config_static_selectorELNS0_4arch9wavefront6targetE1EEEvT1_,comdat
.Lfunc_end2424:
	.size	_ZN7rocprim17ROCPRIM_400000_NS6detail17trampoline_kernelINS0_14default_configENS1_25partition_config_selectorILNS1_17partition_subalgoE0EjNS0_10empty_typeEbEEZZNS1_14partition_implILS5_0ELb0ES3_jN6thrust23THRUST_200600_302600_NS6detail15normal_iteratorINSA_10device_ptrIjEEEEPS6_SG_NS0_5tupleIJNSA_16discard_iteratorINSA_11use_defaultEEESK_EEENSH_IJSG_SG_EEES6_PlJ7is_evenIjEEEE10hipError_tPvRmT3_T4_T5_T6_T7_T9_mT8_P12ihipStream_tbDpT10_ENKUlT_T0_E_clISt17integral_constantIbLb0EES18_IbLb1EEEEDaS14_S15_EUlS14_E_NS1_11comp_targetILNS1_3genE10ELNS1_11target_archE1200ELNS1_3gpuE4ELNS1_3repE0EEENS1_30default_config_static_selectorELNS0_4arch9wavefront6targetE1EEEvT1_, .Lfunc_end2424-_ZN7rocprim17ROCPRIM_400000_NS6detail17trampoline_kernelINS0_14default_configENS1_25partition_config_selectorILNS1_17partition_subalgoE0EjNS0_10empty_typeEbEEZZNS1_14partition_implILS5_0ELb0ES3_jN6thrust23THRUST_200600_302600_NS6detail15normal_iteratorINSA_10device_ptrIjEEEEPS6_SG_NS0_5tupleIJNSA_16discard_iteratorINSA_11use_defaultEEESK_EEENSH_IJSG_SG_EEES6_PlJ7is_evenIjEEEE10hipError_tPvRmT3_T4_T5_T6_T7_T9_mT8_P12ihipStream_tbDpT10_ENKUlT_T0_E_clISt17integral_constantIbLb0EES18_IbLb1EEEEDaS14_S15_EUlS14_E_NS1_11comp_targetILNS1_3genE10ELNS1_11target_archE1200ELNS1_3gpuE4ELNS1_3repE0EEENS1_30default_config_static_selectorELNS0_4arch9wavefront6targetE1EEEvT1_
                                        ; -- End function
	.section	.AMDGPU.csdata,"",@progbits
; Kernel info:
; codeLenInByte = 0
; NumSgprs: 6
; NumVgprs: 0
; NumAgprs: 0
; TotalNumVgprs: 0
; ScratchSize: 0
; MemoryBound: 0
; FloatMode: 240
; IeeeMode: 1
; LDSByteSize: 0 bytes/workgroup (compile time only)
; SGPRBlocks: 0
; VGPRBlocks: 0
; NumSGPRsForWavesPerEU: 6
; NumVGPRsForWavesPerEU: 1
; AccumOffset: 4
; Occupancy: 8
; WaveLimiterHint : 0
; COMPUTE_PGM_RSRC2:SCRATCH_EN: 0
; COMPUTE_PGM_RSRC2:USER_SGPR: 2
; COMPUTE_PGM_RSRC2:TRAP_HANDLER: 0
; COMPUTE_PGM_RSRC2:TGID_X_EN: 1
; COMPUTE_PGM_RSRC2:TGID_Y_EN: 0
; COMPUTE_PGM_RSRC2:TGID_Z_EN: 0
; COMPUTE_PGM_RSRC2:TIDIG_COMP_CNT: 0
; COMPUTE_PGM_RSRC3_GFX90A:ACCUM_OFFSET: 0
; COMPUTE_PGM_RSRC3_GFX90A:TG_SPLIT: 0
	.section	.text._ZN7rocprim17ROCPRIM_400000_NS6detail17trampoline_kernelINS0_14default_configENS1_25partition_config_selectorILNS1_17partition_subalgoE0EjNS0_10empty_typeEbEEZZNS1_14partition_implILS5_0ELb0ES3_jN6thrust23THRUST_200600_302600_NS6detail15normal_iteratorINSA_10device_ptrIjEEEEPS6_SG_NS0_5tupleIJNSA_16discard_iteratorINSA_11use_defaultEEESK_EEENSH_IJSG_SG_EEES6_PlJ7is_evenIjEEEE10hipError_tPvRmT3_T4_T5_T6_T7_T9_mT8_P12ihipStream_tbDpT10_ENKUlT_T0_E_clISt17integral_constantIbLb0EES18_IbLb1EEEEDaS14_S15_EUlS14_E_NS1_11comp_targetILNS1_3genE9ELNS1_11target_archE1100ELNS1_3gpuE3ELNS1_3repE0EEENS1_30default_config_static_selectorELNS0_4arch9wavefront6targetE1EEEvT1_,"axG",@progbits,_ZN7rocprim17ROCPRIM_400000_NS6detail17trampoline_kernelINS0_14default_configENS1_25partition_config_selectorILNS1_17partition_subalgoE0EjNS0_10empty_typeEbEEZZNS1_14partition_implILS5_0ELb0ES3_jN6thrust23THRUST_200600_302600_NS6detail15normal_iteratorINSA_10device_ptrIjEEEEPS6_SG_NS0_5tupleIJNSA_16discard_iteratorINSA_11use_defaultEEESK_EEENSH_IJSG_SG_EEES6_PlJ7is_evenIjEEEE10hipError_tPvRmT3_T4_T5_T6_T7_T9_mT8_P12ihipStream_tbDpT10_ENKUlT_T0_E_clISt17integral_constantIbLb0EES18_IbLb1EEEEDaS14_S15_EUlS14_E_NS1_11comp_targetILNS1_3genE9ELNS1_11target_archE1100ELNS1_3gpuE3ELNS1_3repE0EEENS1_30default_config_static_selectorELNS0_4arch9wavefront6targetE1EEEvT1_,comdat
	.protected	_ZN7rocprim17ROCPRIM_400000_NS6detail17trampoline_kernelINS0_14default_configENS1_25partition_config_selectorILNS1_17partition_subalgoE0EjNS0_10empty_typeEbEEZZNS1_14partition_implILS5_0ELb0ES3_jN6thrust23THRUST_200600_302600_NS6detail15normal_iteratorINSA_10device_ptrIjEEEEPS6_SG_NS0_5tupleIJNSA_16discard_iteratorINSA_11use_defaultEEESK_EEENSH_IJSG_SG_EEES6_PlJ7is_evenIjEEEE10hipError_tPvRmT3_T4_T5_T6_T7_T9_mT8_P12ihipStream_tbDpT10_ENKUlT_T0_E_clISt17integral_constantIbLb0EES18_IbLb1EEEEDaS14_S15_EUlS14_E_NS1_11comp_targetILNS1_3genE9ELNS1_11target_archE1100ELNS1_3gpuE3ELNS1_3repE0EEENS1_30default_config_static_selectorELNS0_4arch9wavefront6targetE1EEEvT1_ ; -- Begin function _ZN7rocprim17ROCPRIM_400000_NS6detail17trampoline_kernelINS0_14default_configENS1_25partition_config_selectorILNS1_17partition_subalgoE0EjNS0_10empty_typeEbEEZZNS1_14partition_implILS5_0ELb0ES3_jN6thrust23THRUST_200600_302600_NS6detail15normal_iteratorINSA_10device_ptrIjEEEEPS6_SG_NS0_5tupleIJNSA_16discard_iteratorINSA_11use_defaultEEESK_EEENSH_IJSG_SG_EEES6_PlJ7is_evenIjEEEE10hipError_tPvRmT3_T4_T5_T6_T7_T9_mT8_P12ihipStream_tbDpT10_ENKUlT_T0_E_clISt17integral_constantIbLb0EES18_IbLb1EEEEDaS14_S15_EUlS14_E_NS1_11comp_targetILNS1_3genE9ELNS1_11target_archE1100ELNS1_3gpuE3ELNS1_3repE0EEENS1_30default_config_static_selectorELNS0_4arch9wavefront6targetE1EEEvT1_
	.globl	_ZN7rocprim17ROCPRIM_400000_NS6detail17trampoline_kernelINS0_14default_configENS1_25partition_config_selectorILNS1_17partition_subalgoE0EjNS0_10empty_typeEbEEZZNS1_14partition_implILS5_0ELb0ES3_jN6thrust23THRUST_200600_302600_NS6detail15normal_iteratorINSA_10device_ptrIjEEEEPS6_SG_NS0_5tupleIJNSA_16discard_iteratorINSA_11use_defaultEEESK_EEENSH_IJSG_SG_EEES6_PlJ7is_evenIjEEEE10hipError_tPvRmT3_T4_T5_T6_T7_T9_mT8_P12ihipStream_tbDpT10_ENKUlT_T0_E_clISt17integral_constantIbLb0EES18_IbLb1EEEEDaS14_S15_EUlS14_E_NS1_11comp_targetILNS1_3genE9ELNS1_11target_archE1100ELNS1_3gpuE3ELNS1_3repE0EEENS1_30default_config_static_selectorELNS0_4arch9wavefront6targetE1EEEvT1_
	.p2align	8
	.type	_ZN7rocprim17ROCPRIM_400000_NS6detail17trampoline_kernelINS0_14default_configENS1_25partition_config_selectorILNS1_17partition_subalgoE0EjNS0_10empty_typeEbEEZZNS1_14partition_implILS5_0ELb0ES3_jN6thrust23THRUST_200600_302600_NS6detail15normal_iteratorINSA_10device_ptrIjEEEEPS6_SG_NS0_5tupleIJNSA_16discard_iteratorINSA_11use_defaultEEESK_EEENSH_IJSG_SG_EEES6_PlJ7is_evenIjEEEE10hipError_tPvRmT3_T4_T5_T6_T7_T9_mT8_P12ihipStream_tbDpT10_ENKUlT_T0_E_clISt17integral_constantIbLb0EES18_IbLb1EEEEDaS14_S15_EUlS14_E_NS1_11comp_targetILNS1_3genE9ELNS1_11target_archE1100ELNS1_3gpuE3ELNS1_3repE0EEENS1_30default_config_static_selectorELNS0_4arch9wavefront6targetE1EEEvT1_,@function
_ZN7rocprim17ROCPRIM_400000_NS6detail17trampoline_kernelINS0_14default_configENS1_25partition_config_selectorILNS1_17partition_subalgoE0EjNS0_10empty_typeEbEEZZNS1_14partition_implILS5_0ELb0ES3_jN6thrust23THRUST_200600_302600_NS6detail15normal_iteratorINSA_10device_ptrIjEEEEPS6_SG_NS0_5tupleIJNSA_16discard_iteratorINSA_11use_defaultEEESK_EEENSH_IJSG_SG_EEES6_PlJ7is_evenIjEEEE10hipError_tPvRmT3_T4_T5_T6_T7_T9_mT8_P12ihipStream_tbDpT10_ENKUlT_T0_E_clISt17integral_constantIbLb0EES18_IbLb1EEEEDaS14_S15_EUlS14_E_NS1_11comp_targetILNS1_3genE9ELNS1_11target_archE1100ELNS1_3gpuE3ELNS1_3repE0EEENS1_30default_config_static_selectorELNS0_4arch9wavefront6targetE1EEEvT1_: ; @_ZN7rocprim17ROCPRIM_400000_NS6detail17trampoline_kernelINS0_14default_configENS1_25partition_config_selectorILNS1_17partition_subalgoE0EjNS0_10empty_typeEbEEZZNS1_14partition_implILS5_0ELb0ES3_jN6thrust23THRUST_200600_302600_NS6detail15normal_iteratorINSA_10device_ptrIjEEEEPS6_SG_NS0_5tupleIJNSA_16discard_iteratorINSA_11use_defaultEEESK_EEENSH_IJSG_SG_EEES6_PlJ7is_evenIjEEEE10hipError_tPvRmT3_T4_T5_T6_T7_T9_mT8_P12ihipStream_tbDpT10_ENKUlT_T0_E_clISt17integral_constantIbLb0EES18_IbLb1EEEEDaS14_S15_EUlS14_E_NS1_11comp_targetILNS1_3genE9ELNS1_11target_archE1100ELNS1_3gpuE3ELNS1_3repE0EEENS1_30default_config_static_selectorELNS0_4arch9wavefront6targetE1EEEvT1_
; %bb.0:
	.section	.rodata,"a",@progbits
	.p2align	6, 0x0
	.amdhsa_kernel _ZN7rocprim17ROCPRIM_400000_NS6detail17trampoline_kernelINS0_14default_configENS1_25partition_config_selectorILNS1_17partition_subalgoE0EjNS0_10empty_typeEbEEZZNS1_14partition_implILS5_0ELb0ES3_jN6thrust23THRUST_200600_302600_NS6detail15normal_iteratorINSA_10device_ptrIjEEEEPS6_SG_NS0_5tupleIJNSA_16discard_iteratorINSA_11use_defaultEEESK_EEENSH_IJSG_SG_EEES6_PlJ7is_evenIjEEEE10hipError_tPvRmT3_T4_T5_T6_T7_T9_mT8_P12ihipStream_tbDpT10_ENKUlT_T0_E_clISt17integral_constantIbLb0EES18_IbLb1EEEEDaS14_S15_EUlS14_E_NS1_11comp_targetILNS1_3genE9ELNS1_11target_archE1100ELNS1_3gpuE3ELNS1_3repE0EEENS1_30default_config_static_selectorELNS0_4arch9wavefront6targetE1EEEvT1_
		.amdhsa_group_segment_fixed_size 0
		.amdhsa_private_segment_fixed_size 0
		.amdhsa_kernarg_size 152
		.amdhsa_user_sgpr_count 2
		.amdhsa_user_sgpr_dispatch_ptr 0
		.amdhsa_user_sgpr_queue_ptr 0
		.amdhsa_user_sgpr_kernarg_segment_ptr 1
		.amdhsa_user_sgpr_dispatch_id 0
		.amdhsa_user_sgpr_kernarg_preload_length 0
		.amdhsa_user_sgpr_kernarg_preload_offset 0
		.amdhsa_user_sgpr_private_segment_size 0
		.amdhsa_uses_dynamic_stack 0
		.amdhsa_enable_private_segment 0
		.amdhsa_system_sgpr_workgroup_id_x 1
		.amdhsa_system_sgpr_workgroup_id_y 0
		.amdhsa_system_sgpr_workgroup_id_z 0
		.amdhsa_system_sgpr_workgroup_info 0
		.amdhsa_system_vgpr_workitem_id 0
		.amdhsa_next_free_vgpr 1
		.amdhsa_next_free_sgpr 0
		.amdhsa_accum_offset 4
		.amdhsa_reserve_vcc 0
		.amdhsa_float_round_mode_32 0
		.amdhsa_float_round_mode_16_64 0
		.amdhsa_float_denorm_mode_32 3
		.amdhsa_float_denorm_mode_16_64 3
		.amdhsa_dx10_clamp 1
		.amdhsa_ieee_mode 1
		.amdhsa_fp16_overflow 0
		.amdhsa_tg_split 0
		.amdhsa_exception_fp_ieee_invalid_op 0
		.amdhsa_exception_fp_denorm_src 0
		.amdhsa_exception_fp_ieee_div_zero 0
		.amdhsa_exception_fp_ieee_overflow 0
		.amdhsa_exception_fp_ieee_underflow 0
		.amdhsa_exception_fp_ieee_inexact 0
		.amdhsa_exception_int_div_zero 0
	.end_amdhsa_kernel
	.section	.text._ZN7rocprim17ROCPRIM_400000_NS6detail17trampoline_kernelINS0_14default_configENS1_25partition_config_selectorILNS1_17partition_subalgoE0EjNS0_10empty_typeEbEEZZNS1_14partition_implILS5_0ELb0ES3_jN6thrust23THRUST_200600_302600_NS6detail15normal_iteratorINSA_10device_ptrIjEEEEPS6_SG_NS0_5tupleIJNSA_16discard_iteratorINSA_11use_defaultEEESK_EEENSH_IJSG_SG_EEES6_PlJ7is_evenIjEEEE10hipError_tPvRmT3_T4_T5_T6_T7_T9_mT8_P12ihipStream_tbDpT10_ENKUlT_T0_E_clISt17integral_constantIbLb0EES18_IbLb1EEEEDaS14_S15_EUlS14_E_NS1_11comp_targetILNS1_3genE9ELNS1_11target_archE1100ELNS1_3gpuE3ELNS1_3repE0EEENS1_30default_config_static_selectorELNS0_4arch9wavefront6targetE1EEEvT1_,"axG",@progbits,_ZN7rocprim17ROCPRIM_400000_NS6detail17trampoline_kernelINS0_14default_configENS1_25partition_config_selectorILNS1_17partition_subalgoE0EjNS0_10empty_typeEbEEZZNS1_14partition_implILS5_0ELb0ES3_jN6thrust23THRUST_200600_302600_NS6detail15normal_iteratorINSA_10device_ptrIjEEEEPS6_SG_NS0_5tupleIJNSA_16discard_iteratorINSA_11use_defaultEEESK_EEENSH_IJSG_SG_EEES6_PlJ7is_evenIjEEEE10hipError_tPvRmT3_T4_T5_T6_T7_T9_mT8_P12ihipStream_tbDpT10_ENKUlT_T0_E_clISt17integral_constantIbLb0EES18_IbLb1EEEEDaS14_S15_EUlS14_E_NS1_11comp_targetILNS1_3genE9ELNS1_11target_archE1100ELNS1_3gpuE3ELNS1_3repE0EEENS1_30default_config_static_selectorELNS0_4arch9wavefront6targetE1EEEvT1_,comdat
.Lfunc_end2425:
	.size	_ZN7rocprim17ROCPRIM_400000_NS6detail17trampoline_kernelINS0_14default_configENS1_25partition_config_selectorILNS1_17partition_subalgoE0EjNS0_10empty_typeEbEEZZNS1_14partition_implILS5_0ELb0ES3_jN6thrust23THRUST_200600_302600_NS6detail15normal_iteratorINSA_10device_ptrIjEEEEPS6_SG_NS0_5tupleIJNSA_16discard_iteratorINSA_11use_defaultEEESK_EEENSH_IJSG_SG_EEES6_PlJ7is_evenIjEEEE10hipError_tPvRmT3_T4_T5_T6_T7_T9_mT8_P12ihipStream_tbDpT10_ENKUlT_T0_E_clISt17integral_constantIbLb0EES18_IbLb1EEEEDaS14_S15_EUlS14_E_NS1_11comp_targetILNS1_3genE9ELNS1_11target_archE1100ELNS1_3gpuE3ELNS1_3repE0EEENS1_30default_config_static_selectorELNS0_4arch9wavefront6targetE1EEEvT1_, .Lfunc_end2425-_ZN7rocprim17ROCPRIM_400000_NS6detail17trampoline_kernelINS0_14default_configENS1_25partition_config_selectorILNS1_17partition_subalgoE0EjNS0_10empty_typeEbEEZZNS1_14partition_implILS5_0ELb0ES3_jN6thrust23THRUST_200600_302600_NS6detail15normal_iteratorINSA_10device_ptrIjEEEEPS6_SG_NS0_5tupleIJNSA_16discard_iteratorINSA_11use_defaultEEESK_EEENSH_IJSG_SG_EEES6_PlJ7is_evenIjEEEE10hipError_tPvRmT3_T4_T5_T6_T7_T9_mT8_P12ihipStream_tbDpT10_ENKUlT_T0_E_clISt17integral_constantIbLb0EES18_IbLb1EEEEDaS14_S15_EUlS14_E_NS1_11comp_targetILNS1_3genE9ELNS1_11target_archE1100ELNS1_3gpuE3ELNS1_3repE0EEENS1_30default_config_static_selectorELNS0_4arch9wavefront6targetE1EEEvT1_
                                        ; -- End function
	.section	.AMDGPU.csdata,"",@progbits
; Kernel info:
; codeLenInByte = 0
; NumSgprs: 6
; NumVgprs: 0
; NumAgprs: 0
; TotalNumVgprs: 0
; ScratchSize: 0
; MemoryBound: 0
; FloatMode: 240
; IeeeMode: 1
; LDSByteSize: 0 bytes/workgroup (compile time only)
; SGPRBlocks: 0
; VGPRBlocks: 0
; NumSGPRsForWavesPerEU: 6
; NumVGPRsForWavesPerEU: 1
; AccumOffset: 4
; Occupancy: 8
; WaveLimiterHint : 0
; COMPUTE_PGM_RSRC2:SCRATCH_EN: 0
; COMPUTE_PGM_RSRC2:USER_SGPR: 2
; COMPUTE_PGM_RSRC2:TRAP_HANDLER: 0
; COMPUTE_PGM_RSRC2:TGID_X_EN: 1
; COMPUTE_PGM_RSRC2:TGID_Y_EN: 0
; COMPUTE_PGM_RSRC2:TGID_Z_EN: 0
; COMPUTE_PGM_RSRC2:TIDIG_COMP_CNT: 0
; COMPUTE_PGM_RSRC3_GFX90A:ACCUM_OFFSET: 0
; COMPUTE_PGM_RSRC3_GFX90A:TG_SPLIT: 0
	.section	.text._ZN7rocprim17ROCPRIM_400000_NS6detail17trampoline_kernelINS0_14default_configENS1_25partition_config_selectorILNS1_17partition_subalgoE0EjNS0_10empty_typeEbEEZZNS1_14partition_implILS5_0ELb0ES3_jN6thrust23THRUST_200600_302600_NS6detail15normal_iteratorINSA_10device_ptrIjEEEEPS6_SG_NS0_5tupleIJNSA_16discard_iteratorINSA_11use_defaultEEESK_EEENSH_IJSG_SG_EEES6_PlJ7is_evenIjEEEE10hipError_tPvRmT3_T4_T5_T6_T7_T9_mT8_P12ihipStream_tbDpT10_ENKUlT_T0_E_clISt17integral_constantIbLb0EES18_IbLb1EEEEDaS14_S15_EUlS14_E_NS1_11comp_targetILNS1_3genE8ELNS1_11target_archE1030ELNS1_3gpuE2ELNS1_3repE0EEENS1_30default_config_static_selectorELNS0_4arch9wavefront6targetE1EEEvT1_,"axG",@progbits,_ZN7rocprim17ROCPRIM_400000_NS6detail17trampoline_kernelINS0_14default_configENS1_25partition_config_selectorILNS1_17partition_subalgoE0EjNS0_10empty_typeEbEEZZNS1_14partition_implILS5_0ELb0ES3_jN6thrust23THRUST_200600_302600_NS6detail15normal_iteratorINSA_10device_ptrIjEEEEPS6_SG_NS0_5tupleIJNSA_16discard_iteratorINSA_11use_defaultEEESK_EEENSH_IJSG_SG_EEES6_PlJ7is_evenIjEEEE10hipError_tPvRmT3_T4_T5_T6_T7_T9_mT8_P12ihipStream_tbDpT10_ENKUlT_T0_E_clISt17integral_constantIbLb0EES18_IbLb1EEEEDaS14_S15_EUlS14_E_NS1_11comp_targetILNS1_3genE8ELNS1_11target_archE1030ELNS1_3gpuE2ELNS1_3repE0EEENS1_30default_config_static_selectorELNS0_4arch9wavefront6targetE1EEEvT1_,comdat
	.protected	_ZN7rocprim17ROCPRIM_400000_NS6detail17trampoline_kernelINS0_14default_configENS1_25partition_config_selectorILNS1_17partition_subalgoE0EjNS0_10empty_typeEbEEZZNS1_14partition_implILS5_0ELb0ES3_jN6thrust23THRUST_200600_302600_NS6detail15normal_iteratorINSA_10device_ptrIjEEEEPS6_SG_NS0_5tupleIJNSA_16discard_iteratorINSA_11use_defaultEEESK_EEENSH_IJSG_SG_EEES6_PlJ7is_evenIjEEEE10hipError_tPvRmT3_T4_T5_T6_T7_T9_mT8_P12ihipStream_tbDpT10_ENKUlT_T0_E_clISt17integral_constantIbLb0EES18_IbLb1EEEEDaS14_S15_EUlS14_E_NS1_11comp_targetILNS1_3genE8ELNS1_11target_archE1030ELNS1_3gpuE2ELNS1_3repE0EEENS1_30default_config_static_selectorELNS0_4arch9wavefront6targetE1EEEvT1_ ; -- Begin function _ZN7rocprim17ROCPRIM_400000_NS6detail17trampoline_kernelINS0_14default_configENS1_25partition_config_selectorILNS1_17partition_subalgoE0EjNS0_10empty_typeEbEEZZNS1_14partition_implILS5_0ELb0ES3_jN6thrust23THRUST_200600_302600_NS6detail15normal_iteratorINSA_10device_ptrIjEEEEPS6_SG_NS0_5tupleIJNSA_16discard_iteratorINSA_11use_defaultEEESK_EEENSH_IJSG_SG_EEES6_PlJ7is_evenIjEEEE10hipError_tPvRmT3_T4_T5_T6_T7_T9_mT8_P12ihipStream_tbDpT10_ENKUlT_T0_E_clISt17integral_constantIbLb0EES18_IbLb1EEEEDaS14_S15_EUlS14_E_NS1_11comp_targetILNS1_3genE8ELNS1_11target_archE1030ELNS1_3gpuE2ELNS1_3repE0EEENS1_30default_config_static_selectorELNS0_4arch9wavefront6targetE1EEEvT1_
	.globl	_ZN7rocprim17ROCPRIM_400000_NS6detail17trampoline_kernelINS0_14default_configENS1_25partition_config_selectorILNS1_17partition_subalgoE0EjNS0_10empty_typeEbEEZZNS1_14partition_implILS5_0ELb0ES3_jN6thrust23THRUST_200600_302600_NS6detail15normal_iteratorINSA_10device_ptrIjEEEEPS6_SG_NS0_5tupleIJNSA_16discard_iteratorINSA_11use_defaultEEESK_EEENSH_IJSG_SG_EEES6_PlJ7is_evenIjEEEE10hipError_tPvRmT3_T4_T5_T6_T7_T9_mT8_P12ihipStream_tbDpT10_ENKUlT_T0_E_clISt17integral_constantIbLb0EES18_IbLb1EEEEDaS14_S15_EUlS14_E_NS1_11comp_targetILNS1_3genE8ELNS1_11target_archE1030ELNS1_3gpuE2ELNS1_3repE0EEENS1_30default_config_static_selectorELNS0_4arch9wavefront6targetE1EEEvT1_
	.p2align	8
	.type	_ZN7rocprim17ROCPRIM_400000_NS6detail17trampoline_kernelINS0_14default_configENS1_25partition_config_selectorILNS1_17partition_subalgoE0EjNS0_10empty_typeEbEEZZNS1_14partition_implILS5_0ELb0ES3_jN6thrust23THRUST_200600_302600_NS6detail15normal_iteratorINSA_10device_ptrIjEEEEPS6_SG_NS0_5tupleIJNSA_16discard_iteratorINSA_11use_defaultEEESK_EEENSH_IJSG_SG_EEES6_PlJ7is_evenIjEEEE10hipError_tPvRmT3_T4_T5_T6_T7_T9_mT8_P12ihipStream_tbDpT10_ENKUlT_T0_E_clISt17integral_constantIbLb0EES18_IbLb1EEEEDaS14_S15_EUlS14_E_NS1_11comp_targetILNS1_3genE8ELNS1_11target_archE1030ELNS1_3gpuE2ELNS1_3repE0EEENS1_30default_config_static_selectorELNS0_4arch9wavefront6targetE1EEEvT1_,@function
_ZN7rocprim17ROCPRIM_400000_NS6detail17trampoline_kernelINS0_14default_configENS1_25partition_config_selectorILNS1_17partition_subalgoE0EjNS0_10empty_typeEbEEZZNS1_14partition_implILS5_0ELb0ES3_jN6thrust23THRUST_200600_302600_NS6detail15normal_iteratorINSA_10device_ptrIjEEEEPS6_SG_NS0_5tupleIJNSA_16discard_iteratorINSA_11use_defaultEEESK_EEENSH_IJSG_SG_EEES6_PlJ7is_evenIjEEEE10hipError_tPvRmT3_T4_T5_T6_T7_T9_mT8_P12ihipStream_tbDpT10_ENKUlT_T0_E_clISt17integral_constantIbLb0EES18_IbLb1EEEEDaS14_S15_EUlS14_E_NS1_11comp_targetILNS1_3genE8ELNS1_11target_archE1030ELNS1_3gpuE2ELNS1_3repE0EEENS1_30default_config_static_selectorELNS0_4arch9wavefront6targetE1EEEvT1_: ; @_ZN7rocprim17ROCPRIM_400000_NS6detail17trampoline_kernelINS0_14default_configENS1_25partition_config_selectorILNS1_17partition_subalgoE0EjNS0_10empty_typeEbEEZZNS1_14partition_implILS5_0ELb0ES3_jN6thrust23THRUST_200600_302600_NS6detail15normal_iteratorINSA_10device_ptrIjEEEEPS6_SG_NS0_5tupleIJNSA_16discard_iteratorINSA_11use_defaultEEESK_EEENSH_IJSG_SG_EEES6_PlJ7is_evenIjEEEE10hipError_tPvRmT3_T4_T5_T6_T7_T9_mT8_P12ihipStream_tbDpT10_ENKUlT_T0_E_clISt17integral_constantIbLb0EES18_IbLb1EEEEDaS14_S15_EUlS14_E_NS1_11comp_targetILNS1_3genE8ELNS1_11target_archE1030ELNS1_3gpuE2ELNS1_3repE0EEENS1_30default_config_static_selectorELNS0_4arch9wavefront6targetE1EEEvT1_
; %bb.0:
	.section	.rodata,"a",@progbits
	.p2align	6, 0x0
	.amdhsa_kernel _ZN7rocprim17ROCPRIM_400000_NS6detail17trampoline_kernelINS0_14default_configENS1_25partition_config_selectorILNS1_17partition_subalgoE0EjNS0_10empty_typeEbEEZZNS1_14partition_implILS5_0ELb0ES3_jN6thrust23THRUST_200600_302600_NS6detail15normal_iteratorINSA_10device_ptrIjEEEEPS6_SG_NS0_5tupleIJNSA_16discard_iteratorINSA_11use_defaultEEESK_EEENSH_IJSG_SG_EEES6_PlJ7is_evenIjEEEE10hipError_tPvRmT3_T4_T5_T6_T7_T9_mT8_P12ihipStream_tbDpT10_ENKUlT_T0_E_clISt17integral_constantIbLb0EES18_IbLb1EEEEDaS14_S15_EUlS14_E_NS1_11comp_targetILNS1_3genE8ELNS1_11target_archE1030ELNS1_3gpuE2ELNS1_3repE0EEENS1_30default_config_static_selectorELNS0_4arch9wavefront6targetE1EEEvT1_
		.amdhsa_group_segment_fixed_size 0
		.amdhsa_private_segment_fixed_size 0
		.amdhsa_kernarg_size 152
		.amdhsa_user_sgpr_count 2
		.amdhsa_user_sgpr_dispatch_ptr 0
		.amdhsa_user_sgpr_queue_ptr 0
		.amdhsa_user_sgpr_kernarg_segment_ptr 1
		.amdhsa_user_sgpr_dispatch_id 0
		.amdhsa_user_sgpr_kernarg_preload_length 0
		.amdhsa_user_sgpr_kernarg_preload_offset 0
		.amdhsa_user_sgpr_private_segment_size 0
		.amdhsa_uses_dynamic_stack 0
		.amdhsa_enable_private_segment 0
		.amdhsa_system_sgpr_workgroup_id_x 1
		.amdhsa_system_sgpr_workgroup_id_y 0
		.amdhsa_system_sgpr_workgroup_id_z 0
		.amdhsa_system_sgpr_workgroup_info 0
		.amdhsa_system_vgpr_workitem_id 0
		.amdhsa_next_free_vgpr 1
		.amdhsa_next_free_sgpr 0
		.amdhsa_accum_offset 4
		.amdhsa_reserve_vcc 0
		.amdhsa_float_round_mode_32 0
		.amdhsa_float_round_mode_16_64 0
		.amdhsa_float_denorm_mode_32 3
		.amdhsa_float_denorm_mode_16_64 3
		.amdhsa_dx10_clamp 1
		.amdhsa_ieee_mode 1
		.amdhsa_fp16_overflow 0
		.amdhsa_tg_split 0
		.amdhsa_exception_fp_ieee_invalid_op 0
		.amdhsa_exception_fp_denorm_src 0
		.amdhsa_exception_fp_ieee_div_zero 0
		.amdhsa_exception_fp_ieee_overflow 0
		.amdhsa_exception_fp_ieee_underflow 0
		.amdhsa_exception_fp_ieee_inexact 0
		.amdhsa_exception_int_div_zero 0
	.end_amdhsa_kernel
	.section	.text._ZN7rocprim17ROCPRIM_400000_NS6detail17trampoline_kernelINS0_14default_configENS1_25partition_config_selectorILNS1_17partition_subalgoE0EjNS0_10empty_typeEbEEZZNS1_14partition_implILS5_0ELb0ES3_jN6thrust23THRUST_200600_302600_NS6detail15normal_iteratorINSA_10device_ptrIjEEEEPS6_SG_NS0_5tupleIJNSA_16discard_iteratorINSA_11use_defaultEEESK_EEENSH_IJSG_SG_EEES6_PlJ7is_evenIjEEEE10hipError_tPvRmT3_T4_T5_T6_T7_T9_mT8_P12ihipStream_tbDpT10_ENKUlT_T0_E_clISt17integral_constantIbLb0EES18_IbLb1EEEEDaS14_S15_EUlS14_E_NS1_11comp_targetILNS1_3genE8ELNS1_11target_archE1030ELNS1_3gpuE2ELNS1_3repE0EEENS1_30default_config_static_selectorELNS0_4arch9wavefront6targetE1EEEvT1_,"axG",@progbits,_ZN7rocprim17ROCPRIM_400000_NS6detail17trampoline_kernelINS0_14default_configENS1_25partition_config_selectorILNS1_17partition_subalgoE0EjNS0_10empty_typeEbEEZZNS1_14partition_implILS5_0ELb0ES3_jN6thrust23THRUST_200600_302600_NS6detail15normal_iteratorINSA_10device_ptrIjEEEEPS6_SG_NS0_5tupleIJNSA_16discard_iteratorINSA_11use_defaultEEESK_EEENSH_IJSG_SG_EEES6_PlJ7is_evenIjEEEE10hipError_tPvRmT3_T4_T5_T6_T7_T9_mT8_P12ihipStream_tbDpT10_ENKUlT_T0_E_clISt17integral_constantIbLb0EES18_IbLb1EEEEDaS14_S15_EUlS14_E_NS1_11comp_targetILNS1_3genE8ELNS1_11target_archE1030ELNS1_3gpuE2ELNS1_3repE0EEENS1_30default_config_static_selectorELNS0_4arch9wavefront6targetE1EEEvT1_,comdat
.Lfunc_end2426:
	.size	_ZN7rocprim17ROCPRIM_400000_NS6detail17trampoline_kernelINS0_14default_configENS1_25partition_config_selectorILNS1_17partition_subalgoE0EjNS0_10empty_typeEbEEZZNS1_14partition_implILS5_0ELb0ES3_jN6thrust23THRUST_200600_302600_NS6detail15normal_iteratorINSA_10device_ptrIjEEEEPS6_SG_NS0_5tupleIJNSA_16discard_iteratorINSA_11use_defaultEEESK_EEENSH_IJSG_SG_EEES6_PlJ7is_evenIjEEEE10hipError_tPvRmT3_T4_T5_T6_T7_T9_mT8_P12ihipStream_tbDpT10_ENKUlT_T0_E_clISt17integral_constantIbLb0EES18_IbLb1EEEEDaS14_S15_EUlS14_E_NS1_11comp_targetILNS1_3genE8ELNS1_11target_archE1030ELNS1_3gpuE2ELNS1_3repE0EEENS1_30default_config_static_selectorELNS0_4arch9wavefront6targetE1EEEvT1_, .Lfunc_end2426-_ZN7rocprim17ROCPRIM_400000_NS6detail17trampoline_kernelINS0_14default_configENS1_25partition_config_selectorILNS1_17partition_subalgoE0EjNS0_10empty_typeEbEEZZNS1_14partition_implILS5_0ELb0ES3_jN6thrust23THRUST_200600_302600_NS6detail15normal_iteratorINSA_10device_ptrIjEEEEPS6_SG_NS0_5tupleIJNSA_16discard_iteratorINSA_11use_defaultEEESK_EEENSH_IJSG_SG_EEES6_PlJ7is_evenIjEEEE10hipError_tPvRmT3_T4_T5_T6_T7_T9_mT8_P12ihipStream_tbDpT10_ENKUlT_T0_E_clISt17integral_constantIbLb0EES18_IbLb1EEEEDaS14_S15_EUlS14_E_NS1_11comp_targetILNS1_3genE8ELNS1_11target_archE1030ELNS1_3gpuE2ELNS1_3repE0EEENS1_30default_config_static_selectorELNS0_4arch9wavefront6targetE1EEEvT1_
                                        ; -- End function
	.section	.AMDGPU.csdata,"",@progbits
; Kernel info:
; codeLenInByte = 0
; NumSgprs: 6
; NumVgprs: 0
; NumAgprs: 0
; TotalNumVgprs: 0
; ScratchSize: 0
; MemoryBound: 0
; FloatMode: 240
; IeeeMode: 1
; LDSByteSize: 0 bytes/workgroup (compile time only)
; SGPRBlocks: 0
; VGPRBlocks: 0
; NumSGPRsForWavesPerEU: 6
; NumVGPRsForWavesPerEU: 1
; AccumOffset: 4
; Occupancy: 8
; WaveLimiterHint : 0
; COMPUTE_PGM_RSRC2:SCRATCH_EN: 0
; COMPUTE_PGM_RSRC2:USER_SGPR: 2
; COMPUTE_PGM_RSRC2:TRAP_HANDLER: 0
; COMPUTE_PGM_RSRC2:TGID_X_EN: 1
; COMPUTE_PGM_RSRC2:TGID_Y_EN: 0
; COMPUTE_PGM_RSRC2:TGID_Z_EN: 0
; COMPUTE_PGM_RSRC2:TIDIG_COMP_CNT: 0
; COMPUTE_PGM_RSRC3_GFX90A:ACCUM_OFFSET: 0
; COMPUTE_PGM_RSRC3_GFX90A:TG_SPLIT: 0
	.section	.text._ZN7rocprim17ROCPRIM_400000_NS6detail17trampoline_kernelINS0_14default_configENS1_25partition_config_selectorILNS1_17partition_subalgoE0EjNS0_10empty_typeEbEEZZNS1_14partition_implILS5_0ELb0ES3_jN6thrust23THRUST_200600_302600_NS6detail15normal_iteratorINSA_10device_ptrIjEEEEPS6_SG_NS0_5tupleIJSF_NSA_16discard_iteratorINSA_11use_defaultEEEEEENSH_IJSG_SG_EEES6_PlJ7is_evenIjEEEE10hipError_tPvRmT3_T4_T5_T6_T7_T9_mT8_P12ihipStream_tbDpT10_ENKUlT_T0_E_clISt17integral_constantIbLb0EES19_EEDaS14_S15_EUlS14_E_NS1_11comp_targetILNS1_3genE0ELNS1_11target_archE4294967295ELNS1_3gpuE0ELNS1_3repE0EEENS1_30default_config_static_selectorELNS0_4arch9wavefront6targetE1EEEvT1_,"axG",@progbits,_ZN7rocprim17ROCPRIM_400000_NS6detail17trampoline_kernelINS0_14default_configENS1_25partition_config_selectorILNS1_17partition_subalgoE0EjNS0_10empty_typeEbEEZZNS1_14partition_implILS5_0ELb0ES3_jN6thrust23THRUST_200600_302600_NS6detail15normal_iteratorINSA_10device_ptrIjEEEEPS6_SG_NS0_5tupleIJSF_NSA_16discard_iteratorINSA_11use_defaultEEEEEENSH_IJSG_SG_EEES6_PlJ7is_evenIjEEEE10hipError_tPvRmT3_T4_T5_T6_T7_T9_mT8_P12ihipStream_tbDpT10_ENKUlT_T0_E_clISt17integral_constantIbLb0EES19_EEDaS14_S15_EUlS14_E_NS1_11comp_targetILNS1_3genE0ELNS1_11target_archE4294967295ELNS1_3gpuE0ELNS1_3repE0EEENS1_30default_config_static_selectorELNS0_4arch9wavefront6targetE1EEEvT1_,comdat
	.protected	_ZN7rocprim17ROCPRIM_400000_NS6detail17trampoline_kernelINS0_14default_configENS1_25partition_config_selectorILNS1_17partition_subalgoE0EjNS0_10empty_typeEbEEZZNS1_14partition_implILS5_0ELb0ES3_jN6thrust23THRUST_200600_302600_NS6detail15normal_iteratorINSA_10device_ptrIjEEEEPS6_SG_NS0_5tupleIJSF_NSA_16discard_iteratorINSA_11use_defaultEEEEEENSH_IJSG_SG_EEES6_PlJ7is_evenIjEEEE10hipError_tPvRmT3_T4_T5_T6_T7_T9_mT8_P12ihipStream_tbDpT10_ENKUlT_T0_E_clISt17integral_constantIbLb0EES19_EEDaS14_S15_EUlS14_E_NS1_11comp_targetILNS1_3genE0ELNS1_11target_archE4294967295ELNS1_3gpuE0ELNS1_3repE0EEENS1_30default_config_static_selectorELNS0_4arch9wavefront6targetE1EEEvT1_ ; -- Begin function _ZN7rocprim17ROCPRIM_400000_NS6detail17trampoline_kernelINS0_14default_configENS1_25partition_config_selectorILNS1_17partition_subalgoE0EjNS0_10empty_typeEbEEZZNS1_14partition_implILS5_0ELb0ES3_jN6thrust23THRUST_200600_302600_NS6detail15normal_iteratorINSA_10device_ptrIjEEEEPS6_SG_NS0_5tupleIJSF_NSA_16discard_iteratorINSA_11use_defaultEEEEEENSH_IJSG_SG_EEES6_PlJ7is_evenIjEEEE10hipError_tPvRmT3_T4_T5_T6_T7_T9_mT8_P12ihipStream_tbDpT10_ENKUlT_T0_E_clISt17integral_constantIbLb0EES19_EEDaS14_S15_EUlS14_E_NS1_11comp_targetILNS1_3genE0ELNS1_11target_archE4294967295ELNS1_3gpuE0ELNS1_3repE0EEENS1_30default_config_static_selectorELNS0_4arch9wavefront6targetE1EEEvT1_
	.globl	_ZN7rocprim17ROCPRIM_400000_NS6detail17trampoline_kernelINS0_14default_configENS1_25partition_config_selectorILNS1_17partition_subalgoE0EjNS0_10empty_typeEbEEZZNS1_14partition_implILS5_0ELb0ES3_jN6thrust23THRUST_200600_302600_NS6detail15normal_iteratorINSA_10device_ptrIjEEEEPS6_SG_NS0_5tupleIJSF_NSA_16discard_iteratorINSA_11use_defaultEEEEEENSH_IJSG_SG_EEES6_PlJ7is_evenIjEEEE10hipError_tPvRmT3_T4_T5_T6_T7_T9_mT8_P12ihipStream_tbDpT10_ENKUlT_T0_E_clISt17integral_constantIbLb0EES19_EEDaS14_S15_EUlS14_E_NS1_11comp_targetILNS1_3genE0ELNS1_11target_archE4294967295ELNS1_3gpuE0ELNS1_3repE0EEENS1_30default_config_static_selectorELNS0_4arch9wavefront6targetE1EEEvT1_
	.p2align	8
	.type	_ZN7rocprim17ROCPRIM_400000_NS6detail17trampoline_kernelINS0_14default_configENS1_25partition_config_selectorILNS1_17partition_subalgoE0EjNS0_10empty_typeEbEEZZNS1_14partition_implILS5_0ELb0ES3_jN6thrust23THRUST_200600_302600_NS6detail15normal_iteratorINSA_10device_ptrIjEEEEPS6_SG_NS0_5tupleIJSF_NSA_16discard_iteratorINSA_11use_defaultEEEEEENSH_IJSG_SG_EEES6_PlJ7is_evenIjEEEE10hipError_tPvRmT3_T4_T5_T6_T7_T9_mT8_P12ihipStream_tbDpT10_ENKUlT_T0_E_clISt17integral_constantIbLb0EES19_EEDaS14_S15_EUlS14_E_NS1_11comp_targetILNS1_3genE0ELNS1_11target_archE4294967295ELNS1_3gpuE0ELNS1_3repE0EEENS1_30default_config_static_selectorELNS0_4arch9wavefront6targetE1EEEvT1_,@function
_ZN7rocprim17ROCPRIM_400000_NS6detail17trampoline_kernelINS0_14default_configENS1_25partition_config_selectorILNS1_17partition_subalgoE0EjNS0_10empty_typeEbEEZZNS1_14partition_implILS5_0ELb0ES3_jN6thrust23THRUST_200600_302600_NS6detail15normal_iteratorINSA_10device_ptrIjEEEEPS6_SG_NS0_5tupleIJSF_NSA_16discard_iteratorINSA_11use_defaultEEEEEENSH_IJSG_SG_EEES6_PlJ7is_evenIjEEEE10hipError_tPvRmT3_T4_T5_T6_T7_T9_mT8_P12ihipStream_tbDpT10_ENKUlT_T0_E_clISt17integral_constantIbLb0EES19_EEDaS14_S15_EUlS14_E_NS1_11comp_targetILNS1_3genE0ELNS1_11target_archE4294967295ELNS1_3gpuE0ELNS1_3repE0EEENS1_30default_config_static_selectorELNS0_4arch9wavefront6targetE1EEEvT1_: ; @_ZN7rocprim17ROCPRIM_400000_NS6detail17trampoline_kernelINS0_14default_configENS1_25partition_config_selectorILNS1_17partition_subalgoE0EjNS0_10empty_typeEbEEZZNS1_14partition_implILS5_0ELb0ES3_jN6thrust23THRUST_200600_302600_NS6detail15normal_iteratorINSA_10device_ptrIjEEEEPS6_SG_NS0_5tupleIJSF_NSA_16discard_iteratorINSA_11use_defaultEEEEEENSH_IJSG_SG_EEES6_PlJ7is_evenIjEEEE10hipError_tPvRmT3_T4_T5_T6_T7_T9_mT8_P12ihipStream_tbDpT10_ENKUlT_T0_E_clISt17integral_constantIbLb0EES19_EEDaS14_S15_EUlS14_E_NS1_11comp_targetILNS1_3genE0ELNS1_11target_archE4294967295ELNS1_3gpuE0ELNS1_3repE0EEENS1_30default_config_static_selectorELNS0_4arch9wavefront6targetE1EEEvT1_
; %bb.0:
	.section	.rodata,"a",@progbits
	.p2align	6, 0x0
	.amdhsa_kernel _ZN7rocprim17ROCPRIM_400000_NS6detail17trampoline_kernelINS0_14default_configENS1_25partition_config_selectorILNS1_17partition_subalgoE0EjNS0_10empty_typeEbEEZZNS1_14partition_implILS5_0ELb0ES3_jN6thrust23THRUST_200600_302600_NS6detail15normal_iteratorINSA_10device_ptrIjEEEEPS6_SG_NS0_5tupleIJSF_NSA_16discard_iteratorINSA_11use_defaultEEEEEENSH_IJSG_SG_EEES6_PlJ7is_evenIjEEEE10hipError_tPvRmT3_T4_T5_T6_T7_T9_mT8_P12ihipStream_tbDpT10_ENKUlT_T0_E_clISt17integral_constantIbLb0EES19_EEDaS14_S15_EUlS14_E_NS1_11comp_targetILNS1_3genE0ELNS1_11target_archE4294967295ELNS1_3gpuE0ELNS1_3repE0EEENS1_30default_config_static_selectorELNS0_4arch9wavefront6targetE1EEEvT1_
		.amdhsa_group_segment_fixed_size 0
		.amdhsa_private_segment_fixed_size 0
		.amdhsa_kernarg_size 128
		.amdhsa_user_sgpr_count 2
		.amdhsa_user_sgpr_dispatch_ptr 0
		.amdhsa_user_sgpr_queue_ptr 0
		.amdhsa_user_sgpr_kernarg_segment_ptr 1
		.amdhsa_user_sgpr_dispatch_id 0
		.amdhsa_user_sgpr_kernarg_preload_length 0
		.amdhsa_user_sgpr_kernarg_preload_offset 0
		.amdhsa_user_sgpr_private_segment_size 0
		.amdhsa_uses_dynamic_stack 0
		.amdhsa_enable_private_segment 0
		.amdhsa_system_sgpr_workgroup_id_x 1
		.amdhsa_system_sgpr_workgroup_id_y 0
		.amdhsa_system_sgpr_workgroup_id_z 0
		.amdhsa_system_sgpr_workgroup_info 0
		.amdhsa_system_vgpr_workitem_id 0
		.amdhsa_next_free_vgpr 1
		.amdhsa_next_free_sgpr 0
		.amdhsa_accum_offset 4
		.amdhsa_reserve_vcc 0
		.amdhsa_float_round_mode_32 0
		.amdhsa_float_round_mode_16_64 0
		.amdhsa_float_denorm_mode_32 3
		.amdhsa_float_denorm_mode_16_64 3
		.amdhsa_dx10_clamp 1
		.amdhsa_ieee_mode 1
		.amdhsa_fp16_overflow 0
		.amdhsa_tg_split 0
		.amdhsa_exception_fp_ieee_invalid_op 0
		.amdhsa_exception_fp_denorm_src 0
		.amdhsa_exception_fp_ieee_div_zero 0
		.amdhsa_exception_fp_ieee_overflow 0
		.amdhsa_exception_fp_ieee_underflow 0
		.amdhsa_exception_fp_ieee_inexact 0
		.amdhsa_exception_int_div_zero 0
	.end_amdhsa_kernel
	.section	.text._ZN7rocprim17ROCPRIM_400000_NS6detail17trampoline_kernelINS0_14default_configENS1_25partition_config_selectorILNS1_17partition_subalgoE0EjNS0_10empty_typeEbEEZZNS1_14partition_implILS5_0ELb0ES3_jN6thrust23THRUST_200600_302600_NS6detail15normal_iteratorINSA_10device_ptrIjEEEEPS6_SG_NS0_5tupleIJSF_NSA_16discard_iteratorINSA_11use_defaultEEEEEENSH_IJSG_SG_EEES6_PlJ7is_evenIjEEEE10hipError_tPvRmT3_T4_T5_T6_T7_T9_mT8_P12ihipStream_tbDpT10_ENKUlT_T0_E_clISt17integral_constantIbLb0EES19_EEDaS14_S15_EUlS14_E_NS1_11comp_targetILNS1_3genE0ELNS1_11target_archE4294967295ELNS1_3gpuE0ELNS1_3repE0EEENS1_30default_config_static_selectorELNS0_4arch9wavefront6targetE1EEEvT1_,"axG",@progbits,_ZN7rocprim17ROCPRIM_400000_NS6detail17trampoline_kernelINS0_14default_configENS1_25partition_config_selectorILNS1_17partition_subalgoE0EjNS0_10empty_typeEbEEZZNS1_14partition_implILS5_0ELb0ES3_jN6thrust23THRUST_200600_302600_NS6detail15normal_iteratorINSA_10device_ptrIjEEEEPS6_SG_NS0_5tupleIJSF_NSA_16discard_iteratorINSA_11use_defaultEEEEEENSH_IJSG_SG_EEES6_PlJ7is_evenIjEEEE10hipError_tPvRmT3_T4_T5_T6_T7_T9_mT8_P12ihipStream_tbDpT10_ENKUlT_T0_E_clISt17integral_constantIbLb0EES19_EEDaS14_S15_EUlS14_E_NS1_11comp_targetILNS1_3genE0ELNS1_11target_archE4294967295ELNS1_3gpuE0ELNS1_3repE0EEENS1_30default_config_static_selectorELNS0_4arch9wavefront6targetE1EEEvT1_,comdat
.Lfunc_end2427:
	.size	_ZN7rocprim17ROCPRIM_400000_NS6detail17trampoline_kernelINS0_14default_configENS1_25partition_config_selectorILNS1_17partition_subalgoE0EjNS0_10empty_typeEbEEZZNS1_14partition_implILS5_0ELb0ES3_jN6thrust23THRUST_200600_302600_NS6detail15normal_iteratorINSA_10device_ptrIjEEEEPS6_SG_NS0_5tupleIJSF_NSA_16discard_iteratorINSA_11use_defaultEEEEEENSH_IJSG_SG_EEES6_PlJ7is_evenIjEEEE10hipError_tPvRmT3_T4_T5_T6_T7_T9_mT8_P12ihipStream_tbDpT10_ENKUlT_T0_E_clISt17integral_constantIbLb0EES19_EEDaS14_S15_EUlS14_E_NS1_11comp_targetILNS1_3genE0ELNS1_11target_archE4294967295ELNS1_3gpuE0ELNS1_3repE0EEENS1_30default_config_static_selectorELNS0_4arch9wavefront6targetE1EEEvT1_, .Lfunc_end2427-_ZN7rocprim17ROCPRIM_400000_NS6detail17trampoline_kernelINS0_14default_configENS1_25partition_config_selectorILNS1_17partition_subalgoE0EjNS0_10empty_typeEbEEZZNS1_14partition_implILS5_0ELb0ES3_jN6thrust23THRUST_200600_302600_NS6detail15normal_iteratorINSA_10device_ptrIjEEEEPS6_SG_NS0_5tupleIJSF_NSA_16discard_iteratorINSA_11use_defaultEEEEEENSH_IJSG_SG_EEES6_PlJ7is_evenIjEEEE10hipError_tPvRmT3_T4_T5_T6_T7_T9_mT8_P12ihipStream_tbDpT10_ENKUlT_T0_E_clISt17integral_constantIbLb0EES19_EEDaS14_S15_EUlS14_E_NS1_11comp_targetILNS1_3genE0ELNS1_11target_archE4294967295ELNS1_3gpuE0ELNS1_3repE0EEENS1_30default_config_static_selectorELNS0_4arch9wavefront6targetE1EEEvT1_
                                        ; -- End function
	.section	.AMDGPU.csdata,"",@progbits
; Kernel info:
; codeLenInByte = 0
; NumSgprs: 6
; NumVgprs: 0
; NumAgprs: 0
; TotalNumVgprs: 0
; ScratchSize: 0
; MemoryBound: 0
; FloatMode: 240
; IeeeMode: 1
; LDSByteSize: 0 bytes/workgroup (compile time only)
; SGPRBlocks: 0
; VGPRBlocks: 0
; NumSGPRsForWavesPerEU: 6
; NumVGPRsForWavesPerEU: 1
; AccumOffset: 4
; Occupancy: 8
; WaveLimiterHint : 0
; COMPUTE_PGM_RSRC2:SCRATCH_EN: 0
; COMPUTE_PGM_RSRC2:USER_SGPR: 2
; COMPUTE_PGM_RSRC2:TRAP_HANDLER: 0
; COMPUTE_PGM_RSRC2:TGID_X_EN: 1
; COMPUTE_PGM_RSRC2:TGID_Y_EN: 0
; COMPUTE_PGM_RSRC2:TGID_Z_EN: 0
; COMPUTE_PGM_RSRC2:TIDIG_COMP_CNT: 0
; COMPUTE_PGM_RSRC3_GFX90A:ACCUM_OFFSET: 0
; COMPUTE_PGM_RSRC3_GFX90A:TG_SPLIT: 0
	.section	.text._ZN7rocprim17ROCPRIM_400000_NS6detail17trampoline_kernelINS0_14default_configENS1_25partition_config_selectorILNS1_17partition_subalgoE0EjNS0_10empty_typeEbEEZZNS1_14partition_implILS5_0ELb0ES3_jN6thrust23THRUST_200600_302600_NS6detail15normal_iteratorINSA_10device_ptrIjEEEEPS6_SG_NS0_5tupleIJSF_NSA_16discard_iteratorINSA_11use_defaultEEEEEENSH_IJSG_SG_EEES6_PlJ7is_evenIjEEEE10hipError_tPvRmT3_T4_T5_T6_T7_T9_mT8_P12ihipStream_tbDpT10_ENKUlT_T0_E_clISt17integral_constantIbLb0EES19_EEDaS14_S15_EUlS14_E_NS1_11comp_targetILNS1_3genE5ELNS1_11target_archE942ELNS1_3gpuE9ELNS1_3repE0EEENS1_30default_config_static_selectorELNS0_4arch9wavefront6targetE1EEEvT1_,"axG",@progbits,_ZN7rocprim17ROCPRIM_400000_NS6detail17trampoline_kernelINS0_14default_configENS1_25partition_config_selectorILNS1_17partition_subalgoE0EjNS0_10empty_typeEbEEZZNS1_14partition_implILS5_0ELb0ES3_jN6thrust23THRUST_200600_302600_NS6detail15normal_iteratorINSA_10device_ptrIjEEEEPS6_SG_NS0_5tupleIJSF_NSA_16discard_iteratorINSA_11use_defaultEEEEEENSH_IJSG_SG_EEES6_PlJ7is_evenIjEEEE10hipError_tPvRmT3_T4_T5_T6_T7_T9_mT8_P12ihipStream_tbDpT10_ENKUlT_T0_E_clISt17integral_constantIbLb0EES19_EEDaS14_S15_EUlS14_E_NS1_11comp_targetILNS1_3genE5ELNS1_11target_archE942ELNS1_3gpuE9ELNS1_3repE0EEENS1_30default_config_static_selectorELNS0_4arch9wavefront6targetE1EEEvT1_,comdat
	.protected	_ZN7rocprim17ROCPRIM_400000_NS6detail17trampoline_kernelINS0_14default_configENS1_25partition_config_selectorILNS1_17partition_subalgoE0EjNS0_10empty_typeEbEEZZNS1_14partition_implILS5_0ELb0ES3_jN6thrust23THRUST_200600_302600_NS6detail15normal_iteratorINSA_10device_ptrIjEEEEPS6_SG_NS0_5tupleIJSF_NSA_16discard_iteratorINSA_11use_defaultEEEEEENSH_IJSG_SG_EEES6_PlJ7is_evenIjEEEE10hipError_tPvRmT3_T4_T5_T6_T7_T9_mT8_P12ihipStream_tbDpT10_ENKUlT_T0_E_clISt17integral_constantIbLb0EES19_EEDaS14_S15_EUlS14_E_NS1_11comp_targetILNS1_3genE5ELNS1_11target_archE942ELNS1_3gpuE9ELNS1_3repE0EEENS1_30default_config_static_selectorELNS0_4arch9wavefront6targetE1EEEvT1_ ; -- Begin function _ZN7rocprim17ROCPRIM_400000_NS6detail17trampoline_kernelINS0_14default_configENS1_25partition_config_selectorILNS1_17partition_subalgoE0EjNS0_10empty_typeEbEEZZNS1_14partition_implILS5_0ELb0ES3_jN6thrust23THRUST_200600_302600_NS6detail15normal_iteratorINSA_10device_ptrIjEEEEPS6_SG_NS0_5tupleIJSF_NSA_16discard_iteratorINSA_11use_defaultEEEEEENSH_IJSG_SG_EEES6_PlJ7is_evenIjEEEE10hipError_tPvRmT3_T4_T5_T6_T7_T9_mT8_P12ihipStream_tbDpT10_ENKUlT_T0_E_clISt17integral_constantIbLb0EES19_EEDaS14_S15_EUlS14_E_NS1_11comp_targetILNS1_3genE5ELNS1_11target_archE942ELNS1_3gpuE9ELNS1_3repE0EEENS1_30default_config_static_selectorELNS0_4arch9wavefront6targetE1EEEvT1_
	.globl	_ZN7rocprim17ROCPRIM_400000_NS6detail17trampoline_kernelINS0_14default_configENS1_25partition_config_selectorILNS1_17partition_subalgoE0EjNS0_10empty_typeEbEEZZNS1_14partition_implILS5_0ELb0ES3_jN6thrust23THRUST_200600_302600_NS6detail15normal_iteratorINSA_10device_ptrIjEEEEPS6_SG_NS0_5tupleIJSF_NSA_16discard_iteratorINSA_11use_defaultEEEEEENSH_IJSG_SG_EEES6_PlJ7is_evenIjEEEE10hipError_tPvRmT3_T4_T5_T6_T7_T9_mT8_P12ihipStream_tbDpT10_ENKUlT_T0_E_clISt17integral_constantIbLb0EES19_EEDaS14_S15_EUlS14_E_NS1_11comp_targetILNS1_3genE5ELNS1_11target_archE942ELNS1_3gpuE9ELNS1_3repE0EEENS1_30default_config_static_selectorELNS0_4arch9wavefront6targetE1EEEvT1_
	.p2align	8
	.type	_ZN7rocprim17ROCPRIM_400000_NS6detail17trampoline_kernelINS0_14default_configENS1_25partition_config_selectorILNS1_17partition_subalgoE0EjNS0_10empty_typeEbEEZZNS1_14partition_implILS5_0ELb0ES3_jN6thrust23THRUST_200600_302600_NS6detail15normal_iteratorINSA_10device_ptrIjEEEEPS6_SG_NS0_5tupleIJSF_NSA_16discard_iteratorINSA_11use_defaultEEEEEENSH_IJSG_SG_EEES6_PlJ7is_evenIjEEEE10hipError_tPvRmT3_T4_T5_T6_T7_T9_mT8_P12ihipStream_tbDpT10_ENKUlT_T0_E_clISt17integral_constantIbLb0EES19_EEDaS14_S15_EUlS14_E_NS1_11comp_targetILNS1_3genE5ELNS1_11target_archE942ELNS1_3gpuE9ELNS1_3repE0EEENS1_30default_config_static_selectorELNS0_4arch9wavefront6targetE1EEEvT1_,@function
_ZN7rocprim17ROCPRIM_400000_NS6detail17trampoline_kernelINS0_14default_configENS1_25partition_config_selectorILNS1_17partition_subalgoE0EjNS0_10empty_typeEbEEZZNS1_14partition_implILS5_0ELb0ES3_jN6thrust23THRUST_200600_302600_NS6detail15normal_iteratorINSA_10device_ptrIjEEEEPS6_SG_NS0_5tupleIJSF_NSA_16discard_iteratorINSA_11use_defaultEEEEEENSH_IJSG_SG_EEES6_PlJ7is_evenIjEEEE10hipError_tPvRmT3_T4_T5_T6_T7_T9_mT8_P12ihipStream_tbDpT10_ENKUlT_T0_E_clISt17integral_constantIbLb0EES19_EEDaS14_S15_EUlS14_E_NS1_11comp_targetILNS1_3genE5ELNS1_11target_archE942ELNS1_3gpuE9ELNS1_3repE0EEENS1_30default_config_static_selectorELNS0_4arch9wavefront6targetE1EEEvT1_: ; @_ZN7rocprim17ROCPRIM_400000_NS6detail17trampoline_kernelINS0_14default_configENS1_25partition_config_selectorILNS1_17partition_subalgoE0EjNS0_10empty_typeEbEEZZNS1_14partition_implILS5_0ELb0ES3_jN6thrust23THRUST_200600_302600_NS6detail15normal_iteratorINSA_10device_ptrIjEEEEPS6_SG_NS0_5tupleIJSF_NSA_16discard_iteratorINSA_11use_defaultEEEEEENSH_IJSG_SG_EEES6_PlJ7is_evenIjEEEE10hipError_tPvRmT3_T4_T5_T6_T7_T9_mT8_P12ihipStream_tbDpT10_ENKUlT_T0_E_clISt17integral_constantIbLb0EES19_EEDaS14_S15_EUlS14_E_NS1_11comp_targetILNS1_3genE5ELNS1_11target_archE942ELNS1_3gpuE9ELNS1_3repE0EEENS1_30default_config_static_selectorELNS0_4arch9wavefront6targetE1EEEvT1_
; %bb.0:
	s_load_dwordx2 s[8:9], s[0:1], 0x60
	s_load_dwordx4 s[4:7], s[0:1], 0x8
	s_load_dwordx4 s[24:27], s[0:1], 0x50
	s_load_dword s3, s[0:1], 0x78
	v_lshlrev_b32_e32 v18, 2, v0
	s_waitcnt lgkmcnt(0)
	v_mov_b32_e32 v3, s9
	s_lshl_b64 s[10:11], s[6:7], 2
	s_add_u32 s9, s4, s10
	s_addc_u32 s12, s5, s11
	s_add_i32 s13, s3, -1
	s_mulk_i32 s3, 0x1e00
	s_add_i32 s4, s3, s6
	s_sub_i32 s33, s8, s4
	s_add_u32 s4, s6, s3
	s_addc_u32 s5, s7, 0
	s_cmp_eq_u32 s2, s13
	v_mov_b32_e32 v2, s8
	s_load_dwordx2 s[22:23], s[26:27], 0x0
	s_cselect_b64 s[26:27], -1, 0
	s_cmp_lg_u32 s2, s13
	s_mul_i32 s10, s2, 0x1e00
	s_mov_b32 s11, 0
	v_cmp_lt_u64_e32 vcc, s[4:5], v[2:3]
	s_cselect_b64 s[4:5], -1, 0
	s_or_b64 s[4:5], s[4:5], vcc
	s_lshl_b64 s[6:7], s[10:11], 2
	s_add_u32 s6, s9, s6
	s_addc_u32 s7, s12, s7
	s_mov_b64 s[8:9], -1
	s_and_b64 vcc, exec, s[4:5]
	s_cbranch_vccz .LBB2428_2
; %bb.1:
	v_mov_b32_e32 v19, 0
	v_lshl_add_u64 v[2:3], s[6:7], 0, v[18:19]
	v_add_co_u32_e32 v4, vcc, 0x1000, v2
	s_mov_b64 s[8:9], 0
	s_nop 0
	v_addc_co_u32_e32 v5, vcc, 0, v3, vcc
	v_add_co_u32_e32 v6, vcc, 0x2000, v2
	s_nop 1
	v_addc_co_u32_e32 v7, vcc, 0, v3, vcc
	v_add_co_u32_e32 v8, vcc, 0x3000, v2
	s_nop 1
	v_addc_co_u32_e32 v9, vcc, 0, v3, vcc
	flat_load_dword v1, v[2:3]
	flat_load_dword v10, v[2:3] offset:2048
	flat_load_dword v11, v[4:5]
	flat_load_dword v12, v[4:5] offset:2048
	;; [unrolled: 2-line block ×4, first 2 shown]
	v_add_co_u32_e32 v4, vcc, 0x4000, v2
	s_nop 1
	v_addc_co_u32_e32 v5, vcc, 0, v3, vcc
	v_add_co_u32_e32 v6, vcc, 0x5000, v2
	s_nop 1
	v_addc_co_u32_e32 v7, vcc, 0, v3, vcc
	;; [unrolled: 3-line block ×4, first 2 shown]
	flat_load_dword v17, v[4:5]
	flat_load_dword v19, v[4:5] offset:2048
	flat_load_dword v20, v[6:7]
	flat_load_dword v21, v[6:7] offset:2048
	;; [unrolled: 2-line block ×3, first 2 shown]
	flat_load_dword v24, v[2:3]
	s_waitcnt vmcnt(0) lgkmcnt(0)
	ds_write2st64_b32 v18, v1, v10 offset1:8
	ds_write2st64_b32 v18, v11, v12 offset0:16 offset1:24
	ds_write2st64_b32 v18, v13, v14 offset0:32 offset1:40
	;; [unrolled: 1-line block ×6, first 2 shown]
	ds_write_b32 v18, v24 offset:28672
	s_waitcnt lgkmcnt(0)
	s_barrier
.LBB2428_2:
	s_andn2_b64 vcc, exec, s[8:9]
	s_addk_i32 s33, 0x1e00
	s_cbranch_vccnz .LBB2428_34
; %bb.3:
	v_cmp_gt_u32_e32 vcc, s33, v0
                                        ; implicit-def: $vgpr2_vgpr3_vgpr4_vgpr5_vgpr6_vgpr7_vgpr8_vgpr9_vgpr10_vgpr11_vgpr12_vgpr13_vgpr14_vgpr15_vgpr16_vgpr17
	s_and_saveexec_b64 s[8:9], vcc
	s_cbranch_execz .LBB2428_5
; %bb.4:
	v_mov_b32_e32 v19, 0
	v_lshl_add_u64 v[2:3], s[6:7], 0, v[18:19]
	flat_load_dword v2, v[2:3]
.LBB2428_5:
	s_or_b64 exec, exec, s[8:9]
	v_or_b32_e32 v1, 0x200, v0
	v_cmp_gt_u32_e32 vcc, s33, v1
	s_and_saveexec_b64 s[8:9], vcc
	s_cbranch_execz .LBB2428_7
; %bb.6:
	v_mov_b32_e32 v19, 0
	v_lshl_add_u64 v[20:21], s[6:7], 0, v[18:19]
	flat_load_dword v3, v[20:21] offset:2048
.LBB2428_7:
	s_or_b64 exec, exec, s[8:9]
	v_or_b32_e32 v1, 0x400, v0
	v_cmp_gt_u32_e32 vcc, s33, v1
	s_and_saveexec_b64 s[8:9], vcc
	s_cbranch_execz .LBB2428_9
; %bb.8:
	v_lshlrev_b32_e32 v20, 2, v1
	v_mov_b32_e32 v21, 0
	v_lshl_add_u64 v[20:21], s[6:7], 0, v[20:21]
	flat_load_dword v4, v[20:21]
.LBB2428_9:
	s_or_b64 exec, exec, s[8:9]
	v_or_b32_e32 v1, 0x600, v0
	v_cmp_gt_u32_e32 vcc, s33, v1
	s_and_saveexec_b64 s[8:9], vcc
	s_cbranch_execz .LBB2428_11
; %bb.10:
	v_lshlrev_b32_e32 v20, 2, v1
	v_mov_b32_e32 v21, 0
	v_lshl_add_u64 v[20:21], s[6:7], 0, v[20:21]
	flat_load_dword v5, v[20:21]
.LBB2428_11:
	;; [unrolled: 11-line block ×13, first 2 shown]
	s_or_b64 exec, exec, s[8:9]
	s_waitcnt vmcnt(0) lgkmcnt(0)
	ds_write2st64_b32 v18, v2, v3 offset1:8
	ds_write2st64_b32 v18, v4, v5 offset0:16 offset1:24
	ds_write2st64_b32 v18, v6, v7 offset0:32 offset1:40
	;; [unrolled: 1-line block ×6, first 2 shown]
	ds_write_b32 v18, v16 offset:28672
	s_waitcnt lgkmcnt(0)
	s_barrier
.LBB2428_34:
	v_mul_u32_u24_e32 v38, 15, v0
	v_lshlrev_b32_e32 v1, 2, v38
	s_waitcnt lgkmcnt(0)
	ds_read2_b32 v[32:33], v1 offset1:1
	ds_read2_b32 v[30:31], v1 offset0:2 offset1:3
	ds_read2_b32 v[28:29], v1 offset0:4 offset1:5
	;; [unrolled: 1-line block ×6, first 2 shown]
	ds_read_b32 v1, v1 offset:56
	v_cndmask_b32_e64 v2, 0, 1, s[4:5]
	v_cmp_ne_u32_e64 s[20:21], 1, v2
	s_andn2_b64 vcc, exec, s[4:5]
	s_waitcnt lgkmcnt(7)
	v_xor_b32_e32 v16, -1, v32
	v_xor_b32_e32 v15, -1, v33
	s_waitcnt lgkmcnt(6)
	v_xor_b32_e32 v14, -1, v30
	v_xor_b32_e32 v13, -1, v31
	;; [unrolled: 3-line block ×7, first 2 shown]
	s_waitcnt lgkmcnt(0)
	v_xor_b32_e32 v2, -1, v1
	s_barrier
	s_cbranch_vccnz .LBB2428_36
; %bb.35:
	v_and_b32_e32 v51, 1, v16
	v_and_b32_e32 v50, 1, v15
	;; [unrolled: 1-line block ×15, first 2 shown]
	s_load_dwordx2 s[28:29], s[0:1], 0x70
	s_cbranch_execz .LBB2428_37
	s_branch .LBB2428_38
.LBB2428_36:
                                        ; implicit-def: $vgpr19
                                        ; implicit-def: $vgpr37
                                        ; implicit-def: $vgpr39
                                        ; implicit-def: $vgpr40
                                        ; implicit-def: $vgpr41
                                        ; implicit-def: $vgpr42
                                        ; implicit-def: $vgpr43
                                        ; implicit-def: $vgpr44
                                        ; implicit-def: $vgpr45
                                        ; implicit-def: $vgpr51
                                        ; implicit-def: $vgpr50
                                        ; implicit-def: $vgpr49
                                        ; implicit-def: $vgpr48
                                        ; implicit-def: $vgpr47
                                        ; implicit-def: $vgpr46
	s_load_dwordx2 s[28:29], s[0:1], 0x70
.LBB2428_37:
	v_add_u32_e32 v44, 1, v38
	v_cmp_gt_u32_e32 vcc, s33, v38
	v_add_u32_e32 v17, 2, v38
	v_add_u32_e32 v43, 3, v38
	v_cndmask_b32_e64 v45, 0, 1, vcc
	v_cmp_gt_u32_e32 vcc, s33, v44
	v_and_b32_e32 v51, v45, v16
	v_add_u32_e32 v19, 4, v38
	v_cndmask_b32_e64 v16, 0, 1, vcc
	v_cmp_gt_u32_e32 vcc, s33, v17
	v_and_b32_e32 v50, v16, v15
	;; [unrolled: 4-line block ×12, first 2 shown]
	s_nop 0
	v_cndmask_b32_e64 v5, 0, 1, vcc
	v_cmp_gt_u32_e32 vcc, s33, v53
	v_and_b32_e32 v39, v5, v4
	s_nop 0
	v_cndmask_b32_e64 v4, 0, 1, vcc
	v_cmp_gt_u32_e32 vcc, s33, v52
	v_and_b32_e32 v37, v4, v3
	s_nop 0
	v_cndmask_b32_e64 v3, 0, 1, vcc
	v_and_b32_e32 v19, v3, v2
.LBB2428_38:
	v_and_b32_e32 v55, 0xff, v48
	v_and_b32_e32 v56, 0xff, v47
	;; [unrolled: 1-line block ×5, first 2 shown]
	v_add3_u32 v3, v56, v57, v55
	v_and_b32_e32 v52, 0xff, v51
	v_and_b32_e32 v58, 0xff, v45
	v_add3_u32 v3, v3, v54, v53
	v_and_b32_e32 v59, 0xff, v44
	v_and_b32_e32 v60, 0xff, v43
	;; [unrolled: 3-line block ×5, first 2 shown]
	v_add3_u32 v3, v3, v63, v64
	v_add3_u32 v68, v3, v65, v2
	v_mbcnt_lo_u32_b32 v2, -1, 0
	v_mbcnt_hi_u32_b32 v66, -1, v2
	v_and_b32_e32 v2, 15, v66
	v_cmp_eq_u32_e64 s[16:17], 0, v2
	v_cmp_lt_u32_e64 s[14:15], 1, v2
	v_cmp_lt_u32_e64 s[12:13], 3, v2
	;; [unrolled: 1-line block ×3, first 2 shown]
	v_and_b32_e32 v2, 16, v66
	v_cmp_eq_u32_e64 s[8:9], 0, v2
	v_or_b32_e32 v2, 63, v0
	s_cmp_lg_u32 s2, 0
	v_cmp_lt_u32_e64 s[4:5], 31, v66
	v_lshrrev_b32_e32 v67, 6, v0
	v_cmp_eq_u32_e64 s[6:7], v2, v0
	s_cbranch_scc0 .LBB2428_65
; %bb.39:
	v_mov_b32_dpp v2, v68 row_shr:1 row_mask:0xf bank_mask:0xf
	v_cndmask_b32_e64 v2, v2, 0, s[16:17]
	v_add_u32_e32 v2, v2, v68
	s_nop 1
	v_mov_b32_dpp v3, v2 row_shr:2 row_mask:0xf bank_mask:0xf
	v_cndmask_b32_e64 v3, 0, v3, s[14:15]
	v_add_u32_e32 v2, v2, v3
	s_nop 1
	;; [unrolled: 4-line block ×4, first 2 shown]
	v_mov_b32_dpp v3, v2 row_bcast:15 row_mask:0xf bank_mask:0xf
	v_cndmask_b32_e64 v3, v3, 0, s[8:9]
	v_add_u32_e32 v2, v2, v3
	s_nop 1
	v_mov_b32_dpp v3, v2 row_bcast:31 row_mask:0xf bank_mask:0xf
	v_cndmask_b32_e64 v3, 0, v3, s[4:5]
	v_add_u32_e32 v2, v2, v3
	s_and_saveexec_b64 s[18:19], s[6:7]
	s_cbranch_execz .LBB2428_41
; %bb.40:
	v_lshlrev_b32_e32 v3, 2, v67
	ds_write_b32 v3, v2
.LBB2428_41:
	s_or_b64 exec, exec, s[18:19]
	v_cmp_gt_u32_e32 vcc, 8, v0
	s_waitcnt lgkmcnt(0)
	s_barrier
	s_and_saveexec_b64 s[18:19], vcc
	s_cbranch_execz .LBB2428_43
; %bb.42:
	ds_read_b32 v3, v18
	v_and_b32_e32 v4, 7, v66
	v_cmp_ne_u32_e32 vcc, 0, v4
	s_waitcnt lgkmcnt(0)
	v_mov_b32_dpp v5, v3 row_shr:1 row_mask:0xf bank_mask:0xf
	v_cndmask_b32_e32 v5, 0, v5, vcc
	v_add_u32_e32 v3, v5, v3
	v_cmp_lt_u32_e32 vcc, 1, v4
	s_nop 0
	v_mov_b32_dpp v5, v3 row_shr:2 row_mask:0xf bank_mask:0xf
	v_cndmask_b32_e32 v5, 0, v5, vcc
	v_add_u32_e32 v3, v3, v5
	v_cmp_lt_u32_e32 vcc, 3, v4
	s_nop 0
	v_mov_b32_dpp v5, v3 row_shr:4 row_mask:0xf bank_mask:0xf
	v_cndmask_b32_e32 v4, 0, v5, vcc
	v_add_u32_e32 v3, v3, v4
	ds_write_b32 v18, v3
.LBB2428_43:
	s_or_b64 exec, exec, s[18:19]
	v_cmp_gt_u32_e32 vcc, 64, v0
	v_cmp_lt_u32_e64 s[18:19], 63, v0
	s_waitcnt lgkmcnt(0)
	s_barrier
	s_waitcnt lgkmcnt(0)
                                        ; implicit-def: $vgpr12
	s_and_saveexec_b64 s[30:31], s[18:19]
	s_cbranch_execz .LBB2428_45
; %bb.44:
	v_lshl_add_u32 v3, v67, 2, -4
	ds_read_b32 v12, v3
	s_waitcnt lgkmcnt(0)
	v_add_u32_e32 v2, v12, v2
.LBB2428_45:
	s_or_b64 exec, exec, s[30:31]
	v_add_u32_e32 v3, -1, v66
	v_and_b32_e32 v4, 64, v66
	v_cmp_lt_i32_e64 s[18:19], v3, v4
	s_nop 1
	v_cndmask_b32_e64 v3, v3, v66, s[18:19]
	v_lshlrev_b32_e32 v3, 2, v3
	ds_bpermute_b32 v13, v3, v2
	v_cmp_eq_u32_e64 s[18:19], 0, v66
	s_and_saveexec_b64 s[30:31], vcc
	s_cbranch_execz .LBB2428_64
; %bb.46:
	v_mov_b32_e32 v9, 0
	ds_read_b32 v2, v9 offset:28
	s_and_saveexec_b64 s[34:35], s[18:19]
	s_cbranch_execz .LBB2428_48
; %bb.47:
	s_add_i32 s36, s2, 64
	s_mov_b32 s37, 0
	s_lshl_b64 s[36:37], s[36:37], 3
	s_add_u32 s36, s28, s36
	v_mov_b32_e32 v3, 1
	s_addc_u32 s37, s29, s37
	s_waitcnt lgkmcnt(0)
	global_store_dwordx2 v9, v[2:3], s[36:37] sc1
.LBB2428_48:
	s_or_b64 exec, exec, s[34:35]
	v_xad_u32 v4, v66, -1, s2
	v_add_u32_e32 v8, 64, v4
	v_lshl_add_u64 v[10:11], v[8:9], 3, s[28:29]
	global_load_dwordx2 v[6:7], v[10:11], off sc1
	s_waitcnt vmcnt(0)
	v_cmp_eq_u16_sdwa s[36:37], v7, v9 src0_sel:BYTE_0 src1_sel:DWORD
	s_and_saveexec_b64 s[34:35], s[36:37]
	s_cbranch_execz .LBB2428_52
; %bb.49:
	s_mov_b64 s[36:37], 0
	v_mov_b32_e32 v3, 0
.LBB2428_50:                            ; =>This Inner Loop Header: Depth=1
	global_load_dwordx2 v[6:7], v[10:11], off sc1
	s_waitcnt vmcnt(0)
	v_cmp_ne_u16_sdwa s[38:39], v7, v3 src0_sel:BYTE_0 src1_sel:DWORD
	s_or_b64 s[36:37], s[38:39], s[36:37]
	s_andn2_b64 exec, exec, s[36:37]
	s_cbranch_execnz .LBB2428_50
; %bb.51:
	s_or_b64 exec, exec, s[36:37]
.LBB2428_52:
	s_or_b64 exec, exec, s[34:35]
	v_and_b32_e32 v15, 63, v66
	v_mov_b32_e32 v14, 2
	v_cmp_ne_u32_e32 vcc, 63, v15
	v_cmp_eq_u16_sdwa s[34:35], v7, v14 src0_sel:BYTE_0 src1_sel:DWORD
	v_lshlrev_b64 v[8:9], v66, -1
	v_addc_co_u32_e32 v10, vcc, 0, v66, vcc
	v_and_b32_e32 v3, s35, v9
	v_lshlrev_b32_e32 v16, 2, v10
	v_or_b32_e32 v3, 0x80000000, v3
	ds_bpermute_b32 v10, v16, v6
	v_and_b32_e32 v5, s34, v8
	v_ffbl_b32_e32 v3, v3
	v_add_u32_e32 v3, 32, v3
	v_ffbl_b32_e32 v5, v5
	v_min_u32_e32 v3, v5, v3
	v_cmp_lt_u32_e32 vcc, v15, v3
	v_add_u32_e32 v34, 2, v15
	v_add_u32_e32 v36, 4, v15
	s_waitcnt lgkmcnt(0)
	v_cndmask_b32_e32 v5, 0, v10, vcc
	v_cmp_gt_u32_e32 vcc, 62, v15
	v_add_u32_e32 v5, v5, v6
	v_add_u32_e32 v70, 8, v15
	v_cndmask_b32_e64 v6, 0, 1, vcc
	v_lshlrev_b32_e32 v6, 1, v6
	v_add_lshl_u32 v17, v6, v66, 2
	ds_bpermute_b32 v6, v17, v5
	v_cmp_le_u32_e32 vcc, v34, v3
	v_add_u32_e32 v72, 16, v15
	v_add_u32_e32 v74, 32, v15
	s_waitcnt lgkmcnt(0)
	v_cndmask_b32_e32 v6, 0, v6, vcc
	v_cmp_gt_u32_e32 vcc, 60, v15
	v_add_u32_e32 v5, v5, v6
	s_nop 0
	v_cndmask_b32_e64 v6, 0, 1, vcc
	v_lshlrev_b32_e32 v6, 2, v6
	v_add_lshl_u32 v35, v6, v66, 2
	ds_bpermute_b32 v6, v35, v5
	v_cmp_le_u32_e32 vcc, v36, v3
	s_waitcnt lgkmcnt(0)
	s_nop 0
	v_cndmask_b32_e32 v6, 0, v6, vcc
	v_cmp_gt_u32_e32 vcc, 56, v15
	v_add_u32_e32 v5, v5, v6
	s_nop 0
	v_cndmask_b32_e64 v6, 0, 1, vcc
	v_lshlrev_b32_e32 v6, 3, v6
	v_add_lshl_u32 v69, v6, v66, 2
	ds_bpermute_b32 v6, v69, v5
	v_cmp_le_u32_e32 vcc, v70, v3
	s_waitcnt lgkmcnt(0)
	s_nop 0
	;; [unrolled: 11-line block ×4, first 2 shown]
	v_cndmask_b32_e32 v3, 0, v6, vcc
	v_add_u32_e32 v6, v5, v3
	v_mov_b32_e32 v5, 0
	s_branch .LBB2428_54
.LBB2428_53:                            ;   in Loop: Header=BB2428_54 Depth=1
	s_or_b64 exec, exec, s[34:35]
	v_cmp_eq_u16_sdwa s[34:35], v7, v14 src0_sel:BYTE_0 src1_sel:DWORD
	ds_bpermute_b32 v75, v16, v6
	v_subrev_u32_e32 v4, 64, v4
	v_and_b32_e32 v10, s35, v9
	v_or_b32_e32 v10, 0x80000000, v10
	v_and_b32_e32 v11, s34, v8
	v_ffbl_b32_e32 v10, v10
	v_add_u32_e32 v10, 32, v10
	v_ffbl_b32_e32 v11, v11
	v_min_u32_e32 v10, v11, v10
	v_cmp_lt_u32_e32 vcc, v15, v10
	s_waitcnt lgkmcnt(0)
	s_nop 0
	v_cndmask_b32_e32 v11, 0, v75, vcc
	v_add_u32_e32 v6, v11, v6
	ds_bpermute_b32 v11, v17, v6
	v_cmp_le_u32_e32 vcc, v34, v10
	s_waitcnt lgkmcnt(0)
	s_nop 0
	v_cndmask_b32_e32 v11, 0, v11, vcc
	v_add_u32_e32 v6, v6, v11
	ds_bpermute_b32 v11, v35, v6
	v_cmp_le_u32_e32 vcc, v36, v10
	;; [unrolled: 6-line block ×5, first 2 shown]
	s_waitcnt lgkmcnt(0)
	s_nop 0
	v_cndmask_b32_e32 v10, 0, v11, vcc
	v_add3_u32 v6, v10, v3, v6
.LBB2428_54:                            ; =>This Loop Header: Depth=1
                                        ;     Child Loop BB2428_57 Depth 2
	v_cmp_ne_u16_sdwa s[34:35], v7, v14 src0_sel:BYTE_0 src1_sel:DWORD
	s_nop 1
	v_cndmask_b32_e64 v3, 0, 1, s[34:35]
	;;#ASMSTART
	;;#ASMEND
	s_nop 0
	v_cmp_ne_u32_e32 vcc, 0, v3
	s_cmp_lg_u64 vcc, exec
	v_mov_b32_e32 v3, v6
	s_cbranch_scc1 .LBB2428_59
; %bb.55:                               ;   in Loop: Header=BB2428_54 Depth=1
	v_lshl_add_u64 v[10:11], v[4:5], 3, s[28:29]
	global_load_dwordx2 v[6:7], v[10:11], off sc1
	s_waitcnt vmcnt(0)
	v_cmp_eq_u16_sdwa s[36:37], v7, v5 src0_sel:BYTE_0 src1_sel:DWORD
	s_and_saveexec_b64 s[34:35], s[36:37]
	s_cbranch_execz .LBB2428_53
; %bb.56:                               ;   in Loop: Header=BB2428_54 Depth=1
	s_mov_b64 s[36:37], 0
.LBB2428_57:                            ;   Parent Loop BB2428_54 Depth=1
                                        ; =>  This Inner Loop Header: Depth=2
	global_load_dwordx2 v[6:7], v[10:11], off sc1
	s_waitcnt vmcnt(0)
	v_cmp_ne_u16_sdwa s[38:39], v7, v5 src0_sel:BYTE_0 src1_sel:DWORD
	s_or_b64 s[36:37], s[38:39], s[36:37]
	s_andn2_b64 exec, exec, s[36:37]
	s_cbranch_execnz .LBB2428_57
; %bb.58:                               ;   in Loop: Header=BB2428_54 Depth=1
	s_or_b64 exec, exec, s[36:37]
	s_branch .LBB2428_53
.LBB2428_59:                            ;   in Loop: Header=BB2428_54 Depth=1
                                        ; implicit-def: $vgpr6
                                        ; implicit-def: $vgpr7
	s_cbranch_execz .LBB2428_54
; %bb.60:
	s_and_saveexec_b64 s[34:35], s[18:19]
	s_cbranch_execz .LBB2428_62
; %bb.61:
	s_add_i32 s2, s2, 64
	s_mov_b32 s3, 0
	s_lshl_b64 s[2:3], s[2:3], 3
	s_add_u32 s2, s28, s2
	v_add_u32_e32 v4, v3, v2
	v_mov_b32_e32 v5, 2
	s_addc_u32 s3, s29, s3
	v_mov_b32_e32 v6, 0
	global_store_dwordx2 v6, v[4:5], s[2:3] sc1
	ds_write_b64 v6, v[2:3] offset:30720
.LBB2428_62:
	s_or_b64 exec, exec, s[34:35]
	v_cmp_eq_u32_e32 vcc, 0, v0
	s_and_b64 exec, exec, vcc
	s_cbranch_execz .LBB2428_64
; %bb.63:
	v_mov_b32_e32 v2, 0
	ds_write_b32 v2, v3 offset:28
.LBB2428_64:
	s_or_b64 exec, exec, s[30:31]
	v_mov_b32_e32 v14, 0
	s_waitcnt lgkmcnt(0)
	s_barrier
	ds_read_b32 v2, v14 offset:28
	v_cndmask_b32_e64 v3, v13, v12, s[18:19]
	v_cmp_ne_u32_e32 vcc, 0, v0
	s_waitcnt lgkmcnt(0)
	s_barrier
	v_cndmask_b32_e32 v3, 0, v3, vcc
	v_add_u32_e32 v2, v2, v3
	v_add_u32_e32 v3, v2, v52
	v_add_u32_e32 v4, v3, v53
	v_add_u32_e32 v5, v4, v54
	v_add_u32_e32 v6, v5, v55
	v_add_u32_e32 v7, v6, v56
	v_add_u32_e32 v8, v7, v57
	v_add_u32_e32 v9, v8, v58
	v_add_u32_e32 v10, v9, v59
	v_add_u32_e32 v11, v10, v60
	ds_read_b64 v[34:35], v14 offset:30720
	v_add_u32_e32 v12, v11, v61
	v_add_u32_e32 v13, v12, v62
	;; [unrolled: 1-line block ×5, first 2 shown]
	s_waitcnt lgkmcnt(0)
	v_mov_b32_e32 v36, v35
	s_load_dwordx2 s[2:3], s[0:1], 0x28
	s_branch .LBB2428_75
.LBB2428_65:
                                        ; implicit-def: $vgpr36
                                        ; implicit-def: $vgpr34
                                        ; implicit-def: $vgpr2_vgpr3_vgpr4_vgpr5_vgpr6_vgpr7_vgpr8_vgpr9_vgpr10_vgpr11_vgpr12_vgpr13_vgpr14_vgpr15_vgpr16_vgpr17
	s_load_dwordx2 s[2:3], s[0:1], 0x28
	s_cbranch_execz .LBB2428_75
; %bb.66:
	v_mov_b32_dpp v2, v68 row_shr:1 row_mask:0xf bank_mask:0xf
	v_cndmask_b32_e64 v2, v2, 0, s[16:17]
	v_add_u32_e32 v2, v2, v68
	s_nop 1
	v_mov_b32_dpp v3, v2 row_shr:2 row_mask:0xf bank_mask:0xf
	v_cndmask_b32_e64 v3, 0, v3, s[14:15]
	v_add_u32_e32 v2, v2, v3
	s_nop 1
	;; [unrolled: 4-line block ×4, first 2 shown]
	v_mov_b32_dpp v3, v2 row_bcast:15 row_mask:0xf bank_mask:0xf
	v_cndmask_b32_e64 v3, v3, 0, s[8:9]
	v_add_u32_e32 v2, v2, v3
	s_nop 1
	v_mov_b32_dpp v3, v2 row_bcast:31 row_mask:0xf bank_mask:0xf
	v_cndmask_b32_e64 v3, 0, v3, s[4:5]
	v_add_u32_e32 v2, v2, v3
	s_and_saveexec_b64 s[0:1], s[6:7]
	s_cbranch_execz .LBB2428_68
; %bb.67:
	v_lshlrev_b32_e32 v3, 2, v67
	ds_write_b32 v3, v2
.LBB2428_68:
	s_or_b64 exec, exec, s[0:1]
	v_cmp_gt_u32_e32 vcc, 8, v0
	s_waitcnt lgkmcnt(0)
	s_barrier
	s_and_saveexec_b64 s[0:1], vcc
	s_cbranch_execz .LBB2428_70
; %bb.69:
	ds_read_b32 v3, v18
	v_and_b32_e32 v4, 7, v66
	v_cmp_ne_u32_e32 vcc, 0, v4
	s_waitcnt lgkmcnt(0)
	v_mov_b32_dpp v5, v3 row_shr:1 row_mask:0xf bank_mask:0xf
	v_cndmask_b32_e32 v5, 0, v5, vcc
	v_add_u32_e32 v3, v5, v3
	v_cmp_lt_u32_e32 vcc, 1, v4
	s_nop 0
	v_mov_b32_dpp v5, v3 row_shr:2 row_mask:0xf bank_mask:0xf
	v_cndmask_b32_e32 v5, 0, v5, vcc
	v_add_u32_e32 v3, v3, v5
	v_cmp_lt_u32_e32 vcc, 3, v4
	s_nop 0
	v_mov_b32_dpp v5, v3 row_shr:4 row_mask:0xf bank_mask:0xf
	v_cndmask_b32_e32 v4, 0, v5, vcc
	v_add_u32_e32 v3, v3, v4
	ds_write_b32 v18, v3
.LBB2428_70:
	s_or_b64 exec, exec, s[0:1]
	v_cmp_lt_u32_e32 vcc, 63, v0
	v_mov_b32_e32 v4, 0
	v_mov_b32_e32 v3, 0
	s_waitcnt lgkmcnt(0)
	s_barrier
	s_and_saveexec_b64 s[0:1], vcc
	s_cbranch_execz .LBB2428_72
; %bb.71:
	v_lshl_add_u32 v3, v67, 2, -4
	ds_read_b32 v3, v3
.LBB2428_72:
	s_or_b64 exec, exec, s[0:1]
	v_add_u32_e32 v5, -1, v66
	v_and_b32_e32 v6, 64, v66
	v_cmp_lt_i32_e32 vcc, v5, v6
	s_waitcnt lgkmcnt(0)
	v_add_u32_e32 v2, v3, v2
	ds_read_b32 v34, v4 offset:28
	v_cndmask_b32_e32 v5, v5, v66, vcc
	v_lshlrev_b32_e32 v5, 2, v5
	ds_bpermute_b32 v2, v5, v2
	v_cmp_eq_u32_e32 vcc, 0, v0
	s_and_saveexec_b64 s[0:1], vcc
	s_cbranch_execz .LBB2428_74
; %bb.73:
	v_mov_b32_e32 v4, 0
	v_mov_b32_e32 v35, 2
	s_waitcnt lgkmcnt(1)
	global_store_dwordx2 v4, v[34:35], s[28:29] offset:512 sc1
.LBB2428_74:
	s_or_b64 exec, exec, s[0:1]
	v_cmp_eq_u32_e64 s[0:1], 0, v66
	v_mov_b32_e32 v36, 0
	s_waitcnt lgkmcnt(0)
	v_cndmask_b32_e64 v2, v2, v3, s[0:1]
	v_cndmask_b32_e64 v2, v2, 0, vcc
	v_add_u32_e32 v3, v2, v52
	v_add_u32_e32 v4, v3, v53
	;; [unrolled: 1-line block ×14, first 2 shown]
	s_barrier
.LBB2428_75:
	v_add_u32_e32 v17, v34, v38
	v_sub_u32_e32 v2, v2, v36
	v_and_b32_e32 v38, 1, v51
	v_sub_u32_e32 v35, v17, v2
	v_cmp_eq_u32_e32 vcc, 1, v38
	s_nop 1
	v_cndmask_b32_e32 v2, v35, v2, vcc
	v_lshlrev_b32_e32 v2, 2, v2
	ds_write_b32 v2, v32
	v_sub_u32_e32 v2, v3, v36
	v_sub_u32_e32 v3, v17, v2
	v_and_b32_e32 v32, 1, v50
	v_add_u32_e32 v3, 1, v3
	v_cmp_eq_u32_e32 vcc, 1, v32
	v_or_b32_e32 v32, 0x200, v0
	s_nop 0
	v_cndmask_b32_e32 v2, v3, v2, vcc
	v_lshlrev_b32_e32 v2, 2, v2
	ds_write_b32 v2, v33
	v_sub_u32_e32 v2, v4, v36
	v_sub_u32_e32 v3, v17, v2
	v_and_b32_e32 v4, 1, v49
	v_add_u32_e32 v3, 2, v3
	v_cmp_eq_u32_e32 vcc, 1, v4
	v_and_b32_e32 v4, 1, v48
	s_nop 0
	v_cndmask_b32_e32 v2, v3, v2, vcc
	v_lshlrev_b32_e32 v2, 2, v2
	ds_write_b32 v2, v30
	v_sub_u32_e32 v2, v5, v36
	v_sub_u32_e32 v3, v17, v2
	v_add_u32_e32 v3, 3, v3
	v_cmp_eq_u32_e32 vcc, 1, v4
	v_and_b32_e32 v4, 1, v47
	v_or_b32_e32 v30, 0x600, v0
	v_cndmask_b32_e32 v2, v3, v2, vcc
	v_lshlrev_b32_e32 v2, 2, v2
	ds_write_b32 v2, v31
	v_sub_u32_e32 v2, v6, v36
	v_sub_u32_e32 v3, v17, v2
	v_add_u32_e32 v3, 4, v3
	v_cmp_eq_u32_e32 vcc, 1, v4
	v_and_b32_e32 v4, 1, v46
	v_or_b32_e32 v31, 0x400, v0
	;; [unrolled: 9-line block ×11, first 2 shown]
	v_cndmask_b32_e32 v2, v3, v2, vcc
	v_lshlrev_b32_e32 v2, 2, v2
	ds_write_b32 v2, v21
	v_sub_u32_e32 v2, v16, v36
	v_sub_u32_e32 v3, v17, v2
	v_add_u32_e32 v3, 14, v3
	v_cmp_eq_u32_e32 vcc, 1, v4
	v_or_b32_e32 v21, 0x1800, v0
	v_or_b32_e32 v19, 0x1c00, v0
	v_cndmask_b32_e32 v2, v3, v2, vcc
	v_lshlrev_b32_e32 v2, 2, v2
	ds_write_b32 v2, v1
	s_waitcnt lgkmcnt(0)
	s_barrier
	ds_read2st64_b32 v[16:17], v18 offset1:8
	ds_read2st64_b32 v[14:15], v18 offset0:16 offset1:24
	ds_read2st64_b32 v[12:13], v18 offset0:32 offset1:40
	;; [unrolled: 1-line block ×6, first 2 shown]
	ds_read_b32 v1, v18 offset:28672
	s_and_b64 vcc, exec, s[20:21]
	s_cbranch_vccnz .LBB2428_92
; %bb.76:
	s_lshl_b64 s[0:1], s[22:23], 2
	v_mov_b32_e32 v37, 0
	s_add_u32 s0, s2, s0
	s_addc_u32 s1, s3, s1
	v_lshlrev_b64 v[4:5], 2, v[36:37]
	v_lshl_add_u64 v[4:5], s[0:1], 0, v[4:5]
	v_cmp_gt_u32_e32 vcc, v34, v0
	s_and_saveexec_b64 s[0:1], vcc
	s_cbranch_execnz .LBB2428_114
; %bb.77:
	s_or_b64 exec, exec, s[0:1]
	v_cmp_lt_u32_e32 vcc, v32, v34
	s_and_saveexec_b64 s[0:1], vcc
	s_cbranch_execnz .LBB2428_115
.LBB2428_78:
	s_or_b64 exec, exec, s[0:1]
	v_cmp_lt_u32_e32 vcc, v31, v34
	s_and_saveexec_b64 s[0:1], vcc
	s_cbranch_execnz .LBB2428_116
.LBB2428_79:
	s_or_b64 exec, exec, s[0:1]
	v_cmp_lt_u32_e32 vcc, v30, v34
	s_and_saveexec_b64 s[0:1], vcc
	s_cbranch_execnz .LBB2428_117
.LBB2428_80:
	s_or_b64 exec, exec, s[0:1]
	v_cmp_lt_u32_e32 vcc, v29, v34
	s_and_saveexec_b64 s[0:1], vcc
	s_cbranch_execnz .LBB2428_118
.LBB2428_81:
	s_or_b64 exec, exec, s[0:1]
	v_cmp_lt_u32_e32 vcc, v28, v34
	s_and_saveexec_b64 s[0:1], vcc
	s_cbranch_execnz .LBB2428_119
.LBB2428_82:
	s_or_b64 exec, exec, s[0:1]
	v_cmp_lt_u32_e32 vcc, v27, v34
	s_and_saveexec_b64 s[0:1], vcc
	s_cbranch_execnz .LBB2428_120
.LBB2428_83:
	s_or_b64 exec, exec, s[0:1]
	v_cmp_lt_u32_e32 vcc, v26, v34
	s_and_saveexec_b64 s[0:1], vcc
	s_cbranch_execnz .LBB2428_121
.LBB2428_84:
	s_or_b64 exec, exec, s[0:1]
	v_cmp_lt_u32_e32 vcc, v25, v34
	s_and_saveexec_b64 s[0:1], vcc
	s_cbranch_execnz .LBB2428_122
.LBB2428_85:
	s_or_b64 exec, exec, s[0:1]
	v_cmp_lt_u32_e32 vcc, v24, v34
	s_and_saveexec_b64 s[0:1], vcc
	s_cbranch_execnz .LBB2428_123
.LBB2428_86:
	s_or_b64 exec, exec, s[0:1]
	v_cmp_lt_u32_e32 vcc, v23, v34
	s_and_saveexec_b64 s[0:1], vcc
	s_cbranch_execnz .LBB2428_124
.LBB2428_87:
	s_or_b64 exec, exec, s[0:1]
	v_cmp_lt_u32_e32 vcc, v22, v34
	s_and_saveexec_b64 s[0:1], vcc
	s_cbranch_execnz .LBB2428_125
.LBB2428_88:
	s_or_b64 exec, exec, s[0:1]
	v_cmp_lt_u32_e32 vcc, v21, v34
	s_and_saveexec_b64 s[0:1], vcc
	s_cbranch_execnz .LBB2428_126
.LBB2428_89:
	s_or_b64 exec, exec, s[0:1]
	v_cmp_lt_u32_e32 vcc, v20, v34
	s_and_saveexec_b64 s[0:1], vcc
	s_cbranch_execz .LBB2428_91
.LBB2428_90:
	v_lshlrev_b32_e32 v33, 2, v20
	v_readfirstlane_b32 s4, v4
	v_readfirstlane_b32 s5, v5
	s_waitcnt lgkmcnt(1)
	s_nop 3
	global_store_dword v33, v3, s[4:5]
.LBB2428_91:
	s_or_b64 exec, exec, s[0:1]
	v_cmp_lt_u32_e64 s[0:1], v19, v34
	s_branch .LBB2428_109
.LBB2428_92:
	s_mov_b64 s[0:1], 0
                                        ; implicit-def: $vgpr4_vgpr5
	s_cbranch_execz .LBB2428_109
; %bb.93:
	s_lshl_b64 s[0:1], s[22:23], 2
	v_mov_b32_e32 v37, 0
	s_add_u32 s0, s2, s0
	v_min_u32_e32 v33, s33, v34
	s_addc_u32 s1, s3, s1
	v_lshlrev_b64 v[4:5], 2, v[36:37]
	v_lshl_add_u64 v[4:5], s[0:1], 0, v[4:5]
	v_cmp_gt_u32_e32 vcc, v33, v0
	s_and_saveexec_b64 s[0:1], vcc
	s_cbranch_execnz .LBB2428_127
; %bb.94:
	s_or_b64 exec, exec, s[0:1]
	v_cmp_lt_u32_e32 vcc, v32, v33
	s_and_saveexec_b64 s[0:1], vcc
	s_cbranch_execnz .LBB2428_128
.LBB2428_95:
	s_or_b64 exec, exec, s[0:1]
	v_cmp_lt_u32_e32 vcc, v31, v33
	s_and_saveexec_b64 s[0:1], vcc
	s_cbranch_execnz .LBB2428_129
.LBB2428_96:
	s_or_b64 exec, exec, s[0:1]
	v_cmp_lt_u32_e32 vcc, v30, v33
	s_and_saveexec_b64 s[0:1], vcc
	s_cbranch_execnz .LBB2428_130
.LBB2428_97:
	s_or_b64 exec, exec, s[0:1]
	v_cmp_lt_u32_e32 vcc, v29, v33
	s_and_saveexec_b64 s[0:1], vcc
	s_cbranch_execnz .LBB2428_131
.LBB2428_98:
	s_or_b64 exec, exec, s[0:1]
	v_cmp_lt_u32_e32 vcc, v28, v33
	s_and_saveexec_b64 s[0:1], vcc
	s_cbranch_execnz .LBB2428_132
.LBB2428_99:
	s_or_b64 exec, exec, s[0:1]
	v_cmp_lt_u32_e32 vcc, v27, v33
	s_and_saveexec_b64 s[0:1], vcc
	s_cbranch_execnz .LBB2428_133
.LBB2428_100:
	s_or_b64 exec, exec, s[0:1]
	v_cmp_lt_u32_e32 vcc, v26, v33
	s_and_saveexec_b64 s[0:1], vcc
	s_cbranch_execnz .LBB2428_134
.LBB2428_101:
	s_or_b64 exec, exec, s[0:1]
	v_cmp_lt_u32_e32 vcc, v25, v33
	s_and_saveexec_b64 s[0:1], vcc
	s_cbranch_execnz .LBB2428_135
.LBB2428_102:
	s_or_b64 exec, exec, s[0:1]
	v_cmp_lt_u32_e32 vcc, v24, v33
	s_and_saveexec_b64 s[0:1], vcc
	s_cbranch_execnz .LBB2428_136
.LBB2428_103:
	s_or_b64 exec, exec, s[0:1]
	v_cmp_lt_u32_e32 vcc, v23, v33
	s_and_saveexec_b64 s[0:1], vcc
	s_cbranch_execnz .LBB2428_137
.LBB2428_104:
	s_or_b64 exec, exec, s[0:1]
	v_cmp_lt_u32_e32 vcc, v22, v33
	s_and_saveexec_b64 s[0:1], vcc
	s_cbranch_execnz .LBB2428_138
.LBB2428_105:
	s_or_b64 exec, exec, s[0:1]
	v_cmp_lt_u32_e32 vcc, v21, v33
	s_and_saveexec_b64 s[0:1], vcc
	s_cbranch_execnz .LBB2428_139
.LBB2428_106:
	s_or_b64 exec, exec, s[0:1]
	v_cmp_lt_u32_e32 vcc, v20, v33
	s_and_saveexec_b64 s[0:1], vcc
	s_cbranch_execz .LBB2428_108
.LBB2428_107:
	s_waitcnt lgkmcnt(1)
	v_lshlrev_b32_e32 v2, 2, v20
	v_readfirstlane_b32 s2, v4
	v_readfirstlane_b32 s3, v5
	s_nop 4
	global_store_dword v2, v3, s[2:3]
.LBB2428_108:
	s_or_b64 exec, exec, s[0:1]
	v_cmp_lt_u32_e64 s[0:1], v19, v33
.LBB2428_109:
	s_and_saveexec_b64 s[2:3], s[0:1]
	s_cbranch_execz .LBB2428_111
; %bb.110:
	s_waitcnt lgkmcnt(1)
	v_lshlrev_b32_e32 v2, 2, v19
	v_readfirstlane_b32 s0, v4
	v_readfirstlane_b32 s1, v5
	s_waitcnt lgkmcnt(0)
	s_nop 3
	global_store_dword v2, v1, s[0:1]
.LBB2428_111:
	s_or_b64 exec, exec, s[2:3]
	v_cmp_eq_u32_e32 vcc, 0, v0
	s_and_b64 s[0:1], vcc, s[26:27]
	s_and_saveexec_b64 s[2:3], s[0:1]
	s_cbranch_execz .LBB2428_113
; %bb.112:
	v_mov_b32_e32 v35, 0
	s_waitcnt lgkmcnt(0)
	v_lshl_add_u64 v[0:1], s[22:23], 0, v[34:35]
	v_mov_b32_e32 v37, v35
	v_lshl_add_u64 v[0:1], v[0:1], 0, v[36:37]
	global_store_dwordx2 v35, v[0:1], s[24:25]
.LBB2428_113:
	s_endpgm
.LBB2428_114:
	v_readfirstlane_b32 s4, v4
	v_readfirstlane_b32 s5, v5
	s_waitcnt lgkmcnt(7)
	s_nop 3
	global_store_dword v18, v16, s[4:5]
	s_or_b64 exec, exec, s[0:1]
	v_cmp_lt_u32_e32 vcc, v32, v34
	s_and_saveexec_b64 s[0:1], vcc
	s_cbranch_execz .LBB2428_78
.LBB2428_115:
	v_readfirstlane_b32 s4, v4
	v_readfirstlane_b32 s5, v5
	s_waitcnt lgkmcnt(7)
	s_nop 3
	global_store_dword v18, v17, s[4:5] offset:2048
	s_or_b64 exec, exec, s[0:1]
	v_cmp_lt_u32_e32 vcc, v31, v34
	s_and_saveexec_b64 s[0:1], vcc
	s_cbranch_execz .LBB2428_79
.LBB2428_116:
	v_lshlrev_b32_e32 v33, 2, v31
	v_readfirstlane_b32 s4, v4
	v_readfirstlane_b32 s5, v5
	s_waitcnt lgkmcnt(6)
	s_nop 3
	global_store_dword v33, v14, s[4:5]
	s_or_b64 exec, exec, s[0:1]
	v_cmp_lt_u32_e32 vcc, v30, v34
	s_and_saveexec_b64 s[0:1], vcc
	s_cbranch_execz .LBB2428_80
.LBB2428_117:
	v_lshlrev_b32_e32 v33, 2, v30
	v_readfirstlane_b32 s4, v4
	v_readfirstlane_b32 s5, v5
	s_waitcnt lgkmcnt(6)
	s_nop 3
	global_store_dword v33, v15, s[4:5]
	s_or_b64 exec, exec, s[0:1]
	v_cmp_lt_u32_e32 vcc, v29, v34
	s_and_saveexec_b64 s[0:1], vcc
	s_cbranch_execz .LBB2428_81
.LBB2428_118:
	v_lshlrev_b32_e32 v33, 2, v29
	v_readfirstlane_b32 s4, v4
	v_readfirstlane_b32 s5, v5
	s_waitcnt lgkmcnt(5)
	s_nop 3
	global_store_dword v33, v12, s[4:5]
	s_or_b64 exec, exec, s[0:1]
	v_cmp_lt_u32_e32 vcc, v28, v34
	s_and_saveexec_b64 s[0:1], vcc
	s_cbranch_execz .LBB2428_82
.LBB2428_119:
	v_lshlrev_b32_e32 v33, 2, v28
	v_readfirstlane_b32 s4, v4
	v_readfirstlane_b32 s5, v5
	s_waitcnt lgkmcnt(5)
	s_nop 3
	global_store_dword v33, v13, s[4:5]
	s_or_b64 exec, exec, s[0:1]
	v_cmp_lt_u32_e32 vcc, v27, v34
	s_and_saveexec_b64 s[0:1], vcc
	s_cbranch_execz .LBB2428_83
.LBB2428_120:
	v_lshlrev_b32_e32 v33, 2, v27
	v_readfirstlane_b32 s4, v4
	v_readfirstlane_b32 s5, v5
	s_waitcnt lgkmcnt(4)
	s_nop 3
	global_store_dword v33, v10, s[4:5]
	s_or_b64 exec, exec, s[0:1]
	v_cmp_lt_u32_e32 vcc, v26, v34
	s_and_saveexec_b64 s[0:1], vcc
	s_cbranch_execz .LBB2428_84
.LBB2428_121:
	v_lshlrev_b32_e32 v33, 2, v26
	v_readfirstlane_b32 s4, v4
	v_readfirstlane_b32 s5, v5
	s_waitcnt lgkmcnt(4)
	s_nop 3
	global_store_dword v33, v11, s[4:5]
	s_or_b64 exec, exec, s[0:1]
	v_cmp_lt_u32_e32 vcc, v25, v34
	s_and_saveexec_b64 s[0:1], vcc
	s_cbranch_execz .LBB2428_85
.LBB2428_122:
	v_lshlrev_b32_e32 v33, 2, v25
	v_readfirstlane_b32 s4, v4
	v_readfirstlane_b32 s5, v5
	s_waitcnt lgkmcnt(3)
	s_nop 3
	global_store_dword v33, v8, s[4:5]
	s_or_b64 exec, exec, s[0:1]
	v_cmp_lt_u32_e32 vcc, v24, v34
	s_and_saveexec_b64 s[0:1], vcc
	s_cbranch_execz .LBB2428_86
.LBB2428_123:
	v_lshlrev_b32_e32 v33, 2, v24
	v_readfirstlane_b32 s4, v4
	v_readfirstlane_b32 s5, v5
	s_waitcnt lgkmcnt(3)
	s_nop 3
	global_store_dword v33, v9, s[4:5]
	s_or_b64 exec, exec, s[0:1]
	v_cmp_lt_u32_e32 vcc, v23, v34
	s_and_saveexec_b64 s[0:1], vcc
	s_cbranch_execz .LBB2428_87
.LBB2428_124:
	v_lshlrev_b32_e32 v33, 2, v23
	v_readfirstlane_b32 s4, v4
	v_readfirstlane_b32 s5, v5
	s_waitcnt lgkmcnt(2)
	s_nop 3
	global_store_dword v33, v6, s[4:5]
	s_or_b64 exec, exec, s[0:1]
	v_cmp_lt_u32_e32 vcc, v22, v34
	s_and_saveexec_b64 s[0:1], vcc
	s_cbranch_execz .LBB2428_88
.LBB2428_125:
	v_lshlrev_b32_e32 v33, 2, v22
	v_readfirstlane_b32 s4, v4
	v_readfirstlane_b32 s5, v5
	s_waitcnt lgkmcnt(2)
	s_nop 3
	global_store_dword v33, v7, s[4:5]
	s_or_b64 exec, exec, s[0:1]
	v_cmp_lt_u32_e32 vcc, v21, v34
	s_and_saveexec_b64 s[0:1], vcc
	s_cbranch_execz .LBB2428_89
.LBB2428_126:
	v_lshlrev_b32_e32 v33, 2, v21
	v_readfirstlane_b32 s4, v4
	v_readfirstlane_b32 s5, v5
	s_waitcnt lgkmcnt(1)
	s_nop 3
	global_store_dword v33, v2, s[4:5]
	s_or_b64 exec, exec, s[0:1]
	v_cmp_lt_u32_e32 vcc, v20, v34
	s_and_saveexec_b64 s[0:1], vcc
	s_cbranch_execnz .LBB2428_90
	s_branch .LBB2428_91
.LBB2428_127:
	v_readfirstlane_b32 s2, v4
	v_readfirstlane_b32 s3, v5
	s_waitcnt lgkmcnt(7)
	s_nop 3
	global_store_dword v18, v16, s[2:3]
	s_or_b64 exec, exec, s[0:1]
	v_cmp_lt_u32_e32 vcc, v32, v33
	s_and_saveexec_b64 s[0:1], vcc
	s_cbranch_execz .LBB2428_95
.LBB2428_128:
	v_readfirstlane_b32 s2, v4
	v_readfirstlane_b32 s3, v5
	s_waitcnt lgkmcnt(7)
	s_nop 3
	global_store_dword v18, v17, s[2:3] offset:2048
	s_or_b64 exec, exec, s[0:1]
	v_cmp_lt_u32_e32 vcc, v31, v33
	s_and_saveexec_b64 s[0:1], vcc
	s_cbranch_execz .LBB2428_96
.LBB2428_129:
	s_waitcnt lgkmcnt(7)
	v_lshlrev_b32_e32 v16, 2, v31
	v_readfirstlane_b32 s2, v4
	v_readfirstlane_b32 s3, v5
	s_waitcnt lgkmcnt(6)
	s_nop 3
	global_store_dword v16, v14, s[2:3]
	s_or_b64 exec, exec, s[0:1]
	v_cmp_lt_u32_e32 vcc, v30, v33
	s_and_saveexec_b64 s[0:1], vcc
	s_cbranch_execz .LBB2428_97
.LBB2428_130:
	s_waitcnt lgkmcnt(6)
	v_lshlrev_b32_e32 v14, 2, v30
	v_readfirstlane_b32 s2, v4
	v_readfirstlane_b32 s3, v5
	s_nop 4
	global_store_dword v14, v15, s[2:3]
	s_or_b64 exec, exec, s[0:1]
	v_cmp_lt_u32_e32 vcc, v29, v33
	s_and_saveexec_b64 s[0:1], vcc
	s_cbranch_execz .LBB2428_98
.LBB2428_131:
	s_waitcnt lgkmcnt(6)
	v_lshlrev_b32_e32 v14, 2, v29
	v_readfirstlane_b32 s2, v4
	v_readfirstlane_b32 s3, v5
	s_waitcnt lgkmcnt(5)
	s_nop 3
	global_store_dword v14, v12, s[2:3]
	s_or_b64 exec, exec, s[0:1]
	v_cmp_lt_u32_e32 vcc, v28, v33
	s_and_saveexec_b64 s[0:1], vcc
	s_cbranch_execz .LBB2428_99
.LBB2428_132:
	s_waitcnt lgkmcnt(5)
	v_lshlrev_b32_e32 v12, 2, v28
	v_readfirstlane_b32 s2, v4
	v_readfirstlane_b32 s3, v5
	s_nop 4
	global_store_dword v12, v13, s[2:3]
	s_or_b64 exec, exec, s[0:1]
	v_cmp_lt_u32_e32 vcc, v27, v33
	s_and_saveexec_b64 s[0:1], vcc
	s_cbranch_execz .LBB2428_100
.LBB2428_133:
	s_waitcnt lgkmcnt(5)
	v_lshlrev_b32_e32 v12, 2, v27
	v_readfirstlane_b32 s2, v4
	v_readfirstlane_b32 s3, v5
	s_waitcnt lgkmcnt(4)
	s_nop 3
	global_store_dword v12, v10, s[2:3]
	s_or_b64 exec, exec, s[0:1]
	v_cmp_lt_u32_e32 vcc, v26, v33
	s_and_saveexec_b64 s[0:1], vcc
	s_cbranch_execz .LBB2428_101
.LBB2428_134:
	s_waitcnt lgkmcnt(4)
	v_lshlrev_b32_e32 v10, 2, v26
	v_readfirstlane_b32 s2, v4
	v_readfirstlane_b32 s3, v5
	s_nop 4
	global_store_dword v10, v11, s[2:3]
	s_or_b64 exec, exec, s[0:1]
	v_cmp_lt_u32_e32 vcc, v25, v33
	s_and_saveexec_b64 s[0:1], vcc
	s_cbranch_execz .LBB2428_102
.LBB2428_135:
	s_waitcnt lgkmcnt(4)
	v_lshlrev_b32_e32 v10, 2, v25
	v_readfirstlane_b32 s2, v4
	v_readfirstlane_b32 s3, v5
	s_waitcnt lgkmcnt(3)
	s_nop 3
	global_store_dword v10, v8, s[2:3]
	s_or_b64 exec, exec, s[0:1]
	v_cmp_lt_u32_e32 vcc, v24, v33
	s_and_saveexec_b64 s[0:1], vcc
	s_cbranch_execz .LBB2428_103
.LBB2428_136:
	s_waitcnt lgkmcnt(3)
	v_lshlrev_b32_e32 v8, 2, v24
	v_readfirstlane_b32 s2, v4
	v_readfirstlane_b32 s3, v5
	s_nop 4
	global_store_dword v8, v9, s[2:3]
	s_or_b64 exec, exec, s[0:1]
	v_cmp_lt_u32_e32 vcc, v23, v33
	s_and_saveexec_b64 s[0:1], vcc
	s_cbranch_execz .LBB2428_104
.LBB2428_137:
	s_waitcnt lgkmcnt(3)
	v_lshlrev_b32_e32 v8, 2, v23
	v_readfirstlane_b32 s2, v4
	v_readfirstlane_b32 s3, v5
	s_waitcnt lgkmcnt(2)
	s_nop 3
	global_store_dword v8, v6, s[2:3]
	s_or_b64 exec, exec, s[0:1]
	v_cmp_lt_u32_e32 vcc, v22, v33
	s_and_saveexec_b64 s[0:1], vcc
	s_cbranch_execz .LBB2428_105
.LBB2428_138:
	s_waitcnt lgkmcnt(2)
	v_lshlrev_b32_e32 v6, 2, v22
	v_readfirstlane_b32 s2, v4
	v_readfirstlane_b32 s3, v5
	s_nop 4
	global_store_dword v6, v7, s[2:3]
	s_or_b64 exec, exec, s[0:1]
	v_cmp_lt_u32_e32 vcc, v21, v33
	s_and_saveexec_b64 s[0:1], vcc
	s_cbranch_execz .LBB2428_106
.LBB2428_139:
	s_waitcnt lgkmcnt(2)
	v_lshlrev_b32_e32 v6, 2, v21
	v_readfirstlane_b32 s2, v4
	v_readfirstlane_b32 s3, v5
	s_waitcnt lgkmcnt(1)
	s_nop 3
	global_store_dword v6, v2, s[2:3]
	s_or_b64 exec, exec, s[0:1]
	v_cmp_lt_u32_e32 vcc, v20, v33
	s_and_saveexec_b64 s[0:1], vcc
	s_cbranch_execnz .LBB2428_107
	s_branch .LBB2428_108
	.section	.rodata,"a",@progbits
	.p2align	6, 0x0
	.amdhsa_kernel _ZN7rocprim17ROCPRIM_400000_NS6detail17trampoline_kernelINS0_14default_configENS1_25partition_config_selectorILNS1_17partition_subalgoE0EjNS0_10empty_typeEbEEZZNS1_14partition_implILS5_0ELb0ES3_jN6thrust23THRUST_200600_302600_NS6detail15normal_iteratorINSA_10device_ptrIjEEEEPS6_SG_NS0_5tupleIJSF_NSA_16discard_iteratorINSA_11use_defaultEEEEEENSH_IJSG_SG_EEES6_PlJ7is_evenIjEEEE10hipError_tPvRmT3_T4_T5_T6_T7_T9_mT8_P12ihipStream_tbDpT10_ENKUlT_T0_E_clISt17integral_constantIbLb0EES19_EEDaS14_S15_EUlS14_E_NS1_11comp_targetILNS1_3genE5ELNS1_11target_archE942ELNS1_3gpuE9ELNS1_3repE0EEENS1_30default_config_static_selectorELNS0_4arch9wavefront6targetE1EEEvT1_
		.amdhsa_group_segment_fixed_size 30728
		.amdhsa_private_segment_fixed_size 0
		.amdhsa_kernarg_size 128
		.amdhsa_user_sgpr_count 2
		.amdhsa_user_sgpr_dispatch_ptr 0
		.amdhsa_user_sgpr_queue_ptr 0
		.amdhsa_user_sgpr_kernarg_segment_ptr 1
		.amdhsa_user_sgpr_dispatch_id 0
		.amdhsa_user_sgpr_kernarg_preload_length 0
		.amdhsa_user_sgpr_kernarg_preload_offset 0
		.amdhsa_user_sgpr_private_segment_size 0
		.amdhsa_uses_dynamic_stack 0
		.amdhsa_enable_private_segment 0
		.amdhsa_system_sgpr_workgroup_id_x 1
		.amdhsa_system_sgpr_workgroup_id_y 0
		.amdhsa_system_sgpr_workgroup_id_z 0
		.amdhsa_system_sgpr_workgroup_info 0
		.amdhsa_system_vgpr_workitem_id 0
		.amdhsa_next_free_vgpr 76
		.amdhsa_next_free_sgpr 40
		.amdhsa_accum_offset 76
		.amdhsa_reserve_vcc 1
		.amdhsa_float_round_mode_32 0
		.amdhsa_float_round_mode_16_64 0
		.amdhsa_float_denorm_mode_32 3
		.amdhsa_float_denorm_mode_16_64 3
		.amdhsa_dx10_clamp 1
		.amdhsa_ieee_mode 1
		.amdhsa_fp16_overflow 0
		.amdhsa_tg_split 0
		.amdhsa_exception_fp_ieee_invalid_op 0
		.amdhsa_exception_fp_denorm_src 0
		.amdhsa_exception_fp_ieee_div_zero 0
		.amdhsa_exception_fp_ieee_overflow 0
		.amdhsa_exception_fp_ieee_underflow 0
		.amdhsa_exception_fp_ieee_inexact 0
		.amdhsa_exception_int_div_zero 0
	.end_amdhsa_kernel
	.section	.text._ZN7rocprim17ROCPRIM_400000_NS6detail17trampoline_kernelINS0_14default_configENS1_25partition_config_selectorILNS1_17partition_subalgoE0EjNS0_10empty_typeEbEEZZNS1_14partition_implILS5_0ELb0ES3_jN6thrust23THRUST_200600_302600_NS6detail15normal_iteratorINSA_10device_ptrIjEEEEPS6_SG_NS0_5tupleIJSF_NSA_16discard_iteratorINSA_11use_defaultEEEEEENSH_IJSG_SG_EEES6_PlJ7is_evenIjEEEE10hipError_tPvRmT3_T4_T5_T6_T7_T9_mT8_P12ihipStream_tbDpT10_ENKUlT_T0_E_clISt17integral_constantIbLb0EES19_EEDaS14_S15_EUlS14_E_NS1_11comp_targetILNS1_3genE5ELNS1_11target_archE942ELNS1_3gpuE9ELNS1_3repE0EEENS1_30default_config_static_selectorELNS0_4arch9wavefront6targetE1EEEvT1_,"axG",@progbits,_ZN7rocprim17ROCPRIM_400000_NS6detail17trampoline_kernelINS0_14default_configENS1_25partition_config_selectorILNS1_17partition_subalgoE0EjNS0_10empty_typeEbEEZZNS1_14partition_implILS5_0ELb0ES3_jN6thrust23THRUST_200600_302600_NS6detail15normal_iteratorINSA_10device_ptrIjEEEEPS6_SG_NS0_5tupleIJSF_NSA_16discard_iteratorINSA_11use_defaultEEEEEENSH_IJSG_SG_EEES6_PlJ7is_evenIjEEEE10hipError_tPvRmT3_T4_T5_T6_T7_T9_mT8_P12ihipStream_tbDpT10_ENKUlT_T0_E_clISt17integral_constantIbLb0EES19_EEDaS14_S15_EUlS14_E_NS1_11comp_targetILNS1_3genE5ELNS1_11target_archE942ELNS1_3gpuE9ELNS1_3repE0EEENS1_30default_config_static_selectorELNS0_4arch9wavefront6targetE1EEEvT1_,comdat
.Lfunc_end2428:
	.size	_ZN7rocprim17ROCPRIM_400000_NS6detail17trampoline_kernelINS0_14default_configENS1_25partition_config_selectorILNS1_17partition_subalgoE0EjNS0_10empty_typeEbEEZZNS1_14partition_implILS5_0ELb0ES3_jN6thrust23THRUST_200600_302600_NS6detail15normal_iteratorINSA_10device_ptrIjEEEEPS6_SG_NS0_5tupleIJSF_NSA_16discard_iteratorINSA_11use_defaultEEEEEENSH_IJSG_SG_EEES6_PlJ7is_evenIjEEEE10hipError_tPvRmT3_T4_T5_T6_T7_T9_mT8_P12ihipStream_tbDpT10_ENKUlT_T0_E_clISt17integral_constantIbLb0EES19_EEDaS14_S15_EUlS14_E_NS1_11comp_targetILNS1_3genE5ELNS1_11target_archE942ELNS1_3gpuE9ELNS1_3repE0EEENS1_30default_config_static_selectorELNS0_4arch9wavefront6targetE1EEEvT1_, .Lfunc_end2428-_ZN7rocprim17ROCPRIM_400000_NS6detail17trampoline_kernelINS0_14default_configENS1_25partition_config_selectorILNS1_17partition_subalgoE0EjNS0_10empty_typeEbEEZZNS1_14partition_implILS5_0ELb0ES3_jN6thrust23THRUST_200600_302600_NS6detail15normal_iteratorINSA_10device_ptrIjEEEEPS6_SG_NS0_5tupleIJSF_NSA_16discard_iteratorINSA_11use_defaultEEEEEENSH_IJSG_SG_EEES6_PlJ7is_evenIjEEEE10hipError_tPvRmT3_T4_T5_T6_T7_T9_mT8_P12ihipStream_tbDpT10_ENKUlT_T0_E_clISt17integral_constantIbLb0EES19_EEDaS14_S15_EUlS14_E_NS1_11comp_targetILNS1_3genE5ELNS1_11target_archE942ELNS1_3gpuE9ELNS1_3repE0EEENS1_30default_config_static_selectorELNS0_4arch9wavefront6targetE1EEEvT1_
                                        ; -- End function
	.section	.AMDGPU.csdata,"",@progbits
; Kernel info:
; codeLenInByte = 6752
; NumSgprs: 46
; NumVgprs: 76
; NumAgprs: 0
; TotalNumVgprs: 76
; ScratchSize: 0
; MemoryBound: 0
; FloatMode: 240
; IeeeMode: 1
; LDSByteSize: 30728 bytes/workgroup (compile time only)
; SGPRBlocks: 5
; VGPRBlocks: 9
; NumSGPRsForWavesPerEU: 46
; NumVGPRsForWavesPerEU: 76
; AccumOffset: 76
; Occupancy: 4
; WaveLimiterHint : 1
; COMPUTE_PGM_RSRC2:SCRATCH_EN: 0
; COMPUTE_PGM_RSRC2:USER_SGPR: 2
; COMPUTE_PGM_RSRC2:TRAP_HANDLER: 0
; COMPUTE_PGM_RSRC2:TGID_X_EN: 1
; COMPUTE_PGM_RSRC2:TGID_Y_EN: 0
; COMPUTE_PGM_RSRC2:TGID_Z_EN: 0
; COMPUTE_PGM_RSRC2:TIDIG_COMP_CNT: 0
; COMPUTE_PGM_RSRC3_GFX90A:ACCUM_OFFSET: 18
; COMPUTE_PGM_RSRC3_GFX90A:TG_SPLIT: 0
	.section	.text._ZN7rocprim17ROCPRIM_400000_NS6detail17trampoline_kernelINS0_14default_configENS1_25partition_config_selectorILNS1_17partition_subalgoE0EjNS0_10empty_typeEbEEZZNS1_14partition_implILS5_0ELb0ES3_jN6thrust23THRUST_200600_302600_NS6detail15normal_iteratorINSA_10device_ptrIjEEEEPS6_SG_NS0_5tupleIJSF_NSA_16discard_iteratorINSA_11use_defaultEEEEEENSH_IJSG_SG_EEES6_PlJ7is_evenIjEEEE10hipError_tPvRmT3_T4_T5_T6_T7_T9_mT8_P12ihipStream_tbDpT10_ENKUlT_T0_E_clISt17integral_constantIbLb0EES19_EEDaS14_S15_EUlS14_E_NS1_11comp_targetILNS1_3genE4ELNS1_11target_archE910ELNS1_3gpuE8ELNS1_3repE0EEENS1_30default_config_static_selectorELNS0_4arch9wavefront6targetE1EEEvT1_,"axG",@progbits,_ZN7rocprim17ROCPRIM_400000_NS6detail17trampoline_kernelINS0_14default_configENS1_25partition_config_selectorILNS1_17partition_subalgoE0EjNS0_10empty_typeEbEEZZNS1_14partition_implILS5_0ELb0ES3_jN6thrust23THRUST_200600_302600_NS6detail15normal_iteratorINSA_10device_ptrIjEEEEPS6_SG_NS0_5tupleIJSF_NSA_16discard_iteratorINSA_11use_defaultEEEEEENSH_IJSG_SG_EEES6_PlJ7is_evenIjEEEE10hipError_tPvRmT3_T4_T5_T6_T7_T9_mT8_P12ihipStream_tbDpT10_ENKUlT_T0_E_clISt17integral_constantIbLb0EES19_EEDaS14_S15_EUlS14_E_NS1_11comp_targetILNS1_3genE4ELNS1_11target_archE910ELNS1_3gpuE8ELNS1_3repE0EEENS1_30default_config_static_selectorELNS0_4arch9wavefront6targetE1EEEvT1_,comdat
	.protected	_ZN7rocprim17ROCPRIM_400000_NS6detail17trampoline_kernelINS0_14default_configENS1_25partition_config_selectorILNS1_17partition_subalgoE0EjNS0_10empty_typeEbEEZZNS1_14partition_implILS5_0ELb0ES3_jN6thrust23THRUST_200600_302600_NS6detail15normal_iteratorINSA_10device_ptrIjEEEEPS6_SG_NS0_5tupleIJSF_NSA_16discard_iteratorINSA_11use_defaultEEEEEENSH_IJSG_SG_EEES6_PlJ7is_evenIjEEEE10hipError_tPvRmT3_T4_T5_T6_T7_T9_mT8_P12ihipStream_tbDpT10_ENKUlT_T0_E_clISt17integral_constantIbLb0EES19_EEDaS14_S15_EUlS14_E_NS1_11comp_targetILNS1_3genE4ELNS1_11target_archE910ELNS1_3gpuE8ELNS1_3repE0EEENS1_30default_config_static_selectorELNS0_4arch9wavefront6targetE1EEEvT1_ ; -- Begin function _ZN7rocprim17ROCPRIM_400000_NS6detail17trampoline_kernelINS0_14default_configENS1_25partition_config_selectorILNS1_17partition_subalgoE0EjNS0_10empty_typeEbEEZZNS1_14partition_implILS5_0ELb0ES3_jN6thrust23THRUST_200600_302600_NS6detail15normal_iteratorINSA_10device_ptrIjEEEEPS6_SG_NS0_5tupleIJSF_NSA_16discard_iteratorINSA_11use_defaultEEEEEENSH_IJSG_SG_EEES6_PlJ7is_evenIjEEEE10hipError_tPvRmT3_T4_T5_T6_T7_T9_mT8_P12ihipStream_tbDpT10_ENKUlT_T0_E_clISt17integral_constantIbLb0EES19_EEDaS14_S15_EUlS14_E_NS1_11comp_targetILNS1_3genE4ELNS1_11target_archE910ELNS1_3gpuE8ELNS1_3repE0EEENS1_30default_config_static_selectorELNS0_4arch9wavefront6targetE1EEEvT1_
	.globl	_ZN7rocprim17ROCPRIM_400000_NS6detail17trampoline_kernelINS0_14default_configENS1_25partition_config_selectorILNS1_17partition_subalgoE0EjNS0_10empty_typeEbEEZZNS1_14partition_implILS5_0ELb0ES3_jN6thrust23THRUST_200600_302600_NS6detail15normal_iteratorINSA_10device_ptrIjEEEEPS6_SG_NS0_5tupleIJSF_NSA_16discard_iteratorINSA_11use_defaultEEEEEENSH_IJSG_SG_EEES6_PlJ7is_evenIjEEEE10hipError_tPvRmT3_T4_T5_T6_T7_T9_mT8_P12ihipStream_tbDpT10_ENKUlT_T0_E_clISt17integral_constantIbLb0EES19_EEDaS14_S15_EUlS14_E_NS1_11comp_targetILNS1_3genE4ELNS1_11target_archE910ELNS1_3gpuE8ELNS1_3repE0EEENS1_30default_config_static_selectorELNS0_4arch9wavefront6targetE1EEEvT1_
	.p2align	8
	.type	_ZN7rocprim17ROCPRIM_400000_NS6detail17trampoline_kernelINS0_14default_configENS1_25partition_config_selectorILNS1_17partition_subalgoE0EjNS0_10empty_typeEbEEZZNS1_14partition_implILS5_0ELb0ES3_jN6thrust23THRUST_200600_302600_NS6detail15normal_iteratorINSA_10device_ptrIjEEEEPS6_SG_NS0_5tupleIJSF_NSA_16discard_iteratorINSA_11use_defaultEEEEEENSH_IJSG_SG_EEES6_PlJ7is_evenIjEEEE10hipError_tPvRmT3_T4_T5_T6_T7_T9_mT8_P12ihipStream_tbDpT10_ENKUlT_T0_E_clISt17integral_constantIbLb0EES19_EEDaS14_S15_EUlS14_E_NS1_11comp_targetILNS1_3genE4ELNS1_11target_archE910ELNS1_3gpuE8ELNS1_3repE0EEENS1_30default_config_static_selectorELNS0_4arch9wavefront6targetE1EEEvT1_,@function
_ZN7rocprim17ROCPRIM_400000_NS6detail17trampoline_kernelINS0_14default_configENS1_25partition_config_selectorILNS1_17partition_subalgoE0EjNS0_10empty_typeEbEEZZNS1_14partition_implILS5_0ELb0ES3_jN6thrust23THRUST_200600_302600_NS6detail15normal_iteratorINSA_10device_ptrIjEEEEPS6_SG_NS0_5tupleIJSF_NSA_16discard_iteratorINSA_11use_defaultEEEEEENSH_IJSG_SG_EEES6_PlJ7is_evenIjEEEE10hipError_tPvRmT3_T4_T5_T6_T7_T9_mT8_P12ihipStream_tbDpT10_ENKUlT_T0_E_clISt17integral_constantIbLb0EES19_EEDaS14_S15_EUlS14_E_NS1_11comp_targetILNS1_3genE4ELNS1_11target_archE910ELNS1_3gpuE8ELNS1_3repE0EEENS1_30default_config_static_selectorELNS0_4arch9wavefront6targetE1EEEvT1_: ; @_ZN7rocprim17ROCPRIM_400000_NS6detail17trampoline_kernelINS0_14default_configENS1_25partition_config_selectorILNS1_17partition_subalgoE0EjNS0_10empty_typeEbEEZZNS1_14partition_implILS5_0ELb0ES3_jN6thrust23THRUST_200600_302600_NS6detail15normal_iteratorINSA_10device_ptrIjEEEEPS6_SG_NS0_5tupleIJSF_NSA_16discard_iteratorINSA_11use_defaultEEEEEENSH_IJSG_SG_EEES6_PlJ7is_evenIjEEEE10hipError_tPvRmT3_T4_T5_T6_T7_T9_mT8_P12ihipStream_tbDpT10_ENKUlT_T0_E_clISt17integral_constantIbLb0EES19_EEDaS14_S15_EUlS14_E_NS1_11comp_targetILNS1_3genE4ELNS1_11target_archE910ELNS1_3gpuE8ELNS1_3repE0EEENS1_30default_config_static_selectorELNS0_4arch9wavefront6targetE1EEEvT1_
; %bb.0:
	.section	.rodata,"a",@progbits
	.p2align	6, 0x0
	.amdhsa_kernel _ZN7rocprim17ROCPRIM_400000_NS6detail17trampoline_kernelINS0_14default_configENS1_25partition_config_selectorILNS1_17partition_subalgoE0EjNS0_10empty_typeEbEEZZNS1_14partition_implILS5_0ELb0ES3_jN6thrust23THRUST_200600_302600_NS6detail15normal_iteratorINSA_10device_ptrIjEEEEPS6_SG_NS0_5tupleIJSF_NSA_16discard_iteratorINSA_11use_defaultEEEEEENSH_IJSG_SG_EEES6_PlJ7is_evenIjEEEE10hipError_tPvRmT3_T4_T5_T6_T7_T9_mT8_P12ihipStream_tbDpT10_ENKUlT_T0_E_clISt17integral_constantIbLb0EES19_EEDaS14_S15_EUlS14_E_NS1_11comp_targetILNS1_3genE4ELNS1_11target_archE910ELNS1_3gpuE8ELNS1_3repE0EEENS1_30default_config_static_selectorELNS0_4arch9wavefront6targetE1EEEvT1_
		.amdhsa_group_segment_fixed_size 0
		.amdhsa_private_segment_fixed_size 0
		.amdhsa_kernarg_size 128
		.amdhsa_user_sgpr_count 2
		.amdhsa_user_sgpr_dispatch_ptr 0
		.amdhsa_user_sgpr_queue_ptr 0
		.amdhsa_user_sgpr_kernarg_segment_ptr 1
		.amdhsa_user_sgpr_dispatch_id 0
		.amdhsa_user_sgpr_kernarg_preload_length 0
		.amdhsa_user_sgpr_kernarg_preload_offset 0
		.amdhsa_user_sgpr_private_segment_size 0
		.amdhsa_uses_dynamic_stack 0
		.amdhsa_enable_private_segment 0
		.amdhsa_system_sgpr_workgroup_id_x 1
		.amdhsa_system_sgpr_workgroup_id_y 0
		.amdhsa_system_sgpr_workgroup_id_z 0
		.amdhsa_system_sgpr_workgroup_info 0
		.amdhsa_system_vgpr_workitem_id 0
		.amdhsa_next_free_vgpr 1
		.amdhsa_next_free_sgpr 0
		.amdhsa_accum_offset 4
		.amdhsa_reserve_vcc 0
		.amdhsa_float_round_mode_32 0
		.amdhsa_float_round_mode_16_64 0
		.amdhsa_float_denorm_mode_32 3
		.amdhsa_float_denorm_mode_16_64 3
		.amdhsa_dx10_clamp 1
		.amdhsa_ieee_mode 1
		.amdhsa_fp16_overflow 0
		.amdhsa_tg_split 0
		.amdhsa_exception_fp_ieee_invalid_op 0
		.amdhsa_exception_fp_denorm_src 0
		.amdhsa_exception_fp_ieee_div_zero 0
		.amdhsa_exception_fp_ieee_overflow 0
		.amdhsa_exception_fp_ieee_underflow 0
		.amdhsa_exception_fp_ieee_inexact 0
		.amdhsa_exception_int_div_zero 0
	.end_amdhsa_kernel
	.section	.text._ZN7rocprim17ROCPRIM_400000_NS6detail17trampoline_kernelINS0_14default_configENS1_25partition_config_selectorILNS1_17partition_subalgoE0EjNS0_10empty_typeEbEEZZNS1_14partition_implILS5_0ELb0ES3_jN6thrust23THRUST_200600_302600_NS6detail15normal_iteratorINSA_10device_ptrIjEEEEPS6_SG_NS0_5tupleIJSF_NSA_16discard_iteratorINSA_11use_defaultEEEEEENSH_IJSG_SG_EEES6_PlJ7is_evenIjEEEE10hipError_tPvRmT3_T4_T5_T6_T7_T9_mT8_P12ihipStream_tbDpT10_ENKUlT_T0_E_clISt17integral_constantIbLb0EES19_EEDaS14_S15_EUlS14_E_NS1_11comp_targetILNS1_3genE4ELNS1_11target_archE910ELNS1_3gpuE8ELNS1_3repE0EEENS1_30default_config_static_selectorELNS0_4arch9wavefront6targetE1EEEvT1_,"axG",@progbits,_ZN7rocprim17ROCPRIM_400000_NS6detail17trampoline_kernelINS0_14default_configENS1_25partition_config_selectorILNS1_17partition_subalgoE0EjNS0_10empty_typeEbEEZZNS1_14partition_implILS5_0ELb0ES3_jN6thrust23THRUST_200600_302600_NS6detail15normal_iteratorINSA_10device_ptrIjEEEEPS6_SG_NS0_5tupleIJSF_NSA_16discard_iteratorINSA_11use_defaultEEEEEENSH_IJSG_SG_EEES6_PlJ7is_evenIjEEEE10hipError_tPvRmT3_T4_T5_T6_T7_T9_mT8_P12ihipStream_tbDpT10_ENKUlT_T0_E_clISt17integral_constantIbLb0EES19_EEDaS14_S15_EUlS14_E_NS1_11comp_targetILNS1_3genE4ELNS1_11target_archE910ELNS1_3gpuE8ELNS1_3repE0EEENS1_30default_config_static_selectorELNS0_4arch9wavefront6targetE1EEEvT1_,comdat
.Lfunc_end2429:
	.size	_ZN7rocprim17ROCPRIM_400000_NS6detail17trampoline_kernelINS0_14default_configENS1_25partition_config_selectorILNS1_17partition_subalgoE0EjNS0_10empty_typeEbEEZZNS1_14partition_implILS5_0ELb0ES3_jN6thrust23THRUST_200600_302600_NS6detail15normal_iteratorINSA_10device_ptrIjEEEEPS6_SG_NS0_5tupleIJSF_NSA_16discard_iteratorINSA_11use_defaultEEEEEENSH_IJSG_SG_EEES6_PlJ7is_evenIjEEEE10hipError_tPvRmT3_T4_T5_T6_T7_T9_mT8_P12ihipStream_tbDpT10_ENKUlT_T0_E_clISt17integral_constantIbLb0EES19_EEDaS14_S15_EUlS14_E_NS1_11comp_targetILNS1_3genE4ELNS1_11target_archE910ELNS1_3gpuE8ELNS1_3repE0EEENS1_30default_config_static_selectorELNS0_4arch9wavefront6targetE1EEEvT1_, .Lfunc_end2429-_ZN7rocprim17ROCPRIM_400000_NS6detail17trampoline_kernelINS0_14default_configENS1_25partition_config_selectorILNS1_17partition_subalgoE0EjNS0_10empty_typeEbEEZZNS1_14partition_implILS5_0ELb0ES3_jN6thrust23THRUST_200600_302600_NS6detail15normal_iteratorINSA_10device_ptrIjEEEEPS6_SG_NS0_5tupleIJSF_NSA_16discard_iteratorINSA_11use_defaultEEEEEENSH_IJSG_SG_EEES6_PlJ7is_evenIjEEEE10hipError_tPvRmT3_T4_T5_T6_T7_T9_mT8_P12ihipStream_tbDpT10_ENKUlT_T0_E_clISt17integral_constantIbLb0EES19_EEDaS14_S15_EUlS14_E_NS1_11comp_targetILNS1_3genE4ELNS1_11target_archE910ELNS1_3gpuE8ELNS1_3repE0EEENS1_30default_config_static_selectorELNS0_4arch9wavefront6targetE1EEEvT1_
                                        ; -- End function
	.section	.AMDGPU.csdata,"",@progbits
; Kernel info:
; codeLenInByte = 0
; NumSgprs: 6
; NumVgprs: 0
; NumAgprs: 0
; TotalNumVgprs: 0
; ScratchSize: 0
; MemoryBound: 0
; FloatMode: 240
; IeeeMode: 1
; LDSByteSize: 0 bytes/workgroup (compile time only)
; SGPRBlocks: 0
; VGPRBlocks: 0
; NumSGPRsForWavesPerEU: 6
; NumVGPRsForWavesPerEU: 1
; AccumOffset: 4
; Occupancy: 8
; WaveLimiterHint : 0
; COMPUTE_PGM_RSRC2:SCRATCH_EN: 0
; COMPUTE_PGM_RSRC2:USER_SGPR: 2
; COMPUTE_PGM_RSRC2:TRAP_HANDLER: 0
; COMPUTE_PGM_RSRC2:TGID_X_EN: 1
; COMPUTE_PGM_RSRC2:TGID_Y_EN: 0
; COMPUTE_PGM_RSRC2:TGID_Z_EN: 0
; COMPUTE_PGM_RSRC2:TIDIG_COMP_CNT: 0
; COMPUTE_PGM_RSRC3_GFX90A:ACCUM_OFFSET: 0
; COMPUTE_PGM_RSRC3_GFX90A:TG_SPLIT: 0
	.section	.text._ZN7rocprim17ROCPRIM_400000_NS6detail17trampoline_kernelINS0_14default_configENS1_25partition_config_selectorILNS1_17partition_subalgoE0EjNS0_10empty_typeEbEEZZNS1_14partition_implILS5_0ELb0ES3_jN6thrust23THRUST_200600_302600_NS6detail15normal_iteratorINSA_10device_ptrIjEEEEPS6_SG_NS0_5tupleIJSF_NSA_16discard_iteratorINSA_11use_defaultEEEEEENSH_IJSG_SG_EEES6_PlJ7is_evenIjEEEE10hipError_tPvRmT3_T4_T5_T6_T7_T9_mT8_P12ihipStream_tbDpT10_ENKUlT_T0_E_clISt17integral_constantIbLb0EES19_EEDaS14_S15_EUlS14_E_NS1_11comp_targetILNS1_3genE3ELNS1_11target_archE908ELNS1_3gpuE7ELNS1_3repE0EEENS1_30default_config_static_selectorELNS0_4arch9wavefront6targetE1EEEvT1_,"axG",@progbits,_ZN7rocprim17ROCPRIM_400000_NS6detail17trampoline_kernelINS0_14default_configENS1_25partition_config_selectorILNS1_17partition_subalgoE0EjNS0_10empty_typeEbEEZZNS1_14partition_implILS5_0ELb0ES3_jN6thrust23THRUST_200600_302600_NS6detail15normal_iteratorINSA_10device_ptrIjEEEEPS6_SG_NS0_5tupleIJSF_NSA_16discard_iteratorINSA_11use_defaultEEEEEENSH_IJSG_SG_EEES6_PlJ7is_evenIjEEEE10hipError_tPvRmT3_T4_T5_T6_T7_T9_mT8_P12ihipStream_tbDpT10_ENKUlT_T0_E_clISt17integral_constantIbLb0EES19_EEDaS14_S15_EUlS14_E_NS1_11comp_targetILNS1_3genE3ELNS1_11target_archE908ELNS1_3gpuE7ELNS1_3repE0EEENS1_30default_config_static_selectorELNS0_4arch9wavefront6targetE1EEEvT1_,comdat
	.protected	_ZN7rocprim17ROCPRIM_400000_NS6detail17trampoline_kernelINS0_14default_configENS1_25partition_config_selectorILNS1_17partition_subalgoE0EjNS0_10empty_typeEbEEZZNS1_14partition_implILS5_0ELb0ES3_jN6thrust23THRUST_200600_302600_NS6detail15normal_iteratorINSA_10device_ptrIjEEEEPS6_SG_NS0_5tupleIJSF_NSA_16discard_iteratorINSA_11use_defaultEEEEEENSH_IJSG_SG_EEES6_PlJ7is_evenIjEEEE10hipError_tPvRmT3_T4_T5_T6_T7_T9_mT8_P12ihipStream_tbDpT10_ENKUlT_T0_E_clISt17integral_constantIbLb0EES19_EEDaS14_S15_EUlS14_E_NS1_11comp_targetILNS1_3genE3ELNS1_11target_archE908ELNS1_3gpuE7ELNS1_3repE0EEENS1_30default_config_static_selectorELNS0_4arch9wavefront6targetE1EEEvT1_ ; -- Begin function _ZN7rocprim17ROCPRIM_400000_NS6detail17trampoline_kernelINS0_14default_configENS1_25partition_config_selectorILNS1_17partition_subalgoE0EjNS0_10empty_typeEbEEZZNS1_14partition_implILS5_0ELb0ES3_jN6thrust23THRUST_200600_302600_NS6detail15normal_iteratorINSA_10device_ptrIjEEEEPS6_SG_NS0_5tupleIJSF_NSA_16discard_iteratorINSA_11use_defaultEEEEEENSH_IJSG_SG_EEES6_PlJ7is_evenIjEEEE10hipError_tPvRmT3_T4_T5_T6_T7_T9_mT8_P12ihipStream_tbDpT10_ENKUlT_T0_E_clISt17integral_constantIbLb0EES19_EEDaS14_S15_EUlS14_E_NS1_11comp_targetILNS1_3genE3ELNS1_11target_archE908ELNS1_3gpuE7ELNS1_3repE0EEENS1_30default_config_static_selectorELNS0_4arch9wavefront6targetE1EEEvT1_
	.globl	_ZN7rocprim17ROCPRIM_400000_NS6detail17trampoline_kernelINS0_14default_configENS1_25partition_config_selectorILNS1_17partition_subalgoE0EjNS0_10empty_typeEbEEZZNS1_14partition_implILS5_0ELb0ES3_jN6thrust23THRUST_200600_302600_NS6detail15normal_iteratorINSA_10device_ptrIjEEEEPS6_SG_NS0_5tupleIJSF_NSA_16discard_iteratorINSA_11use_defaultEEEEEENSH_IJSG_SG_EEES6_PlJ7is_evenIjEEEE10hipError_tPvRmT3_T4_T5_T6_T7_T9_mT8_P12ihipStream_tbDpT10_ENKUlT_T0_E_clISt17integral_constantIbLb0EES19_EEDaS14_S15_EUlS14_E_NS1_11comp_targetILNS1_3genE3ELNS1_11target_archE908ELNS1_3gpuE7ELNS1_3repE0EEENS1_30default_config_static_selectorELNS0_4arch9wavefront6targetE1EEEvT1_
	.p2align	8
	.type	_ZN7rocprim17ROCPRIM_400000_NS6detail17trampoline_kernelINS0_14default_configENS1_25partition_config_selectorILNS1_17partition_subalgoE0EjNS0_10empty_typeEbEEZZNS1_14partition_implILS5_0ELb0ES3_jN6thrust23THRUST_200600_302600_NS6detail15normal_iteratorINSA_10device_ptrIjEEEEPS6_SG_NS0_5tupleIJSF_NSA_16discard_iteratorINSA_11use_defaultEEEEEENSH_IJSG_SG_EEES6_PlJ7is_evenIjEEEE10hipError_tPvRmT3_T4_T5_T6_T7_T9_mT8_P12ihipStream_tbDpT10_ENKUlT_T0_E_clISt17integral_constantIbLb0EES19_EEDaS14_S15_EUlS14_E_NS1_11comp_targetILNS1_3genE3ELNS1_11target_archE908ELNS1_3gpuE7ELNS1_3repE0EEENS1_30default_config_static_selectorELNS0_4arch9wavefront6targetE1EEEvT1_,@function
_ZN7rocprim17ROCPRIM_400000_NS6detail17trampoline_kernelINS0_14default_configENS1_25partition_config_selectorILNS1_17partition_subalgoE0EjNS0_10empty_typeEbEEZZNS1_14partition_implILS5_0ELb0ES3_jN6thrust23THRUST_200600_302600_NS6detail15normal_iteratorINSA_10device_ptrIjEEEEPS6_SG_NS0_5tupleIJSF_NSA_16discard_iteratorINSA_11use_defaultEEEEEENSH_IJSG_SG_EEES6_PlJ7is_evenIjEEEE10hipError_tPvRmT3_T4_T5_T6_T7_T9_mT8_P12ihipStream_tbDpT10_ENKUlT_T0_E_clISt17integral_constantIbLb0EES19_EEDaS14_S15_EUlS14_E_NS1_11comp_targetILNS1_3genE3ELNS1_11target_archE908ELNS1_3gpuE7ELNS1_3repE0EEENS1_30default_config_static_selectorELNS0_4arch9wavefront6targetE1EEEvT1_: ; @_ZN7rocprim17ROCPRIM_400000_NS6detail17trampoline_kernelINS0_14default_configENS1_25partition_config_selectorILNS1_17partition_subalgoE0EjNS0_10empty_typeEbEEZZNS1_14partition_implILS5_0ELb0ES3_jN6thrust23THRUST_200600_302600_NS6detail15normal_iteratorINSA_10device_ptrIjEEEEPS6_SG_NS0_5tupleIJSF_NSA_16discard_iteratorINSA_11use_defaultEEEEEENSH_IJSG_SG_EEES6_PlJ7is_evenIjEEEE10hipError_tPvRmT3_T4_T5_T6_T7_T9_mT8_P12ihipStream_tbDpT10_ENKUlT_T0_E_clISt17integral_constantIbLb0EES19_EEDaS14_S15_EUlS14_E_NS1_11comp_targetILNS1_3genE3ELNS1_11target_archE908ELNS1_3gpuE7ELNS1_3repE0EEENS1_30default_config_static_selectorELNS0_4arch9wavefront6targetE1EEEvT1_
; %bb.0:
	.section	.rodata,"a",@progbits
	.p2align	6, 0x0
	.amdhsa_kernel _ZN7rocprim17ROCPRIM_400000_NS6detail17trampoline_kernelINS0_14default_configENS1_25partition_config_selectorILNS1_17partition_subalgoE0EjNS0_10empty_typeEbEEZZNS1_14partition_implILS5_0ELb0ES3_jN6thrust23THRUST_200600_302600_NS6detail15normal_iteratorINSA_10device_ptrIjEEEEPS6_SG_NS0_5tupleIJSF_NSA_16discard_iteratorINSA_11use_defaultEEEEEENSH_IJSG_SG_EEES6_PlJ7is_evenIjEEEE10hipError_tPvRmT3_T4_T5_T6_T7_T9_mT8_P12ihipStream_tbDpT10_ENKUlT_T0_E_clISt17integral_constantIbLb0EES19_EEDaS14_S15_EUlS14_E_NS1_11comp_targetILNS1_3genE3ELNS1_11target_archE908ELNS1_3gpuE7ELNS1_3repE0EEENS1_30default_config_static_selectorELNS0_4arch9wavefront6targetE1EEEvT1_
		.amdhsa_group_segment_fixed_size 0
		.amdhsa_private_segment_fixed_size 0
		.amdhsa_kernarg_size 128
		.amdhsa_user_sgpr_count 2
		.amdhsa_user_sgpr_dispatch_ptr 0
		.amdhsa_user_sgpr_queue_ptr 0
		.amdhsa_user_sgpr_kernarg_segment_ptr 1
		.amdhsa_user_sgpr_dispatch_id 0
		.amdhsa_user_sgpr_kernarg_preload_length 0
		.amdhsa_user_sgpr_kernarg_preload_offset 0
		.amdhsa_user_sgpr_private_segment_size 0
		.amdhsa_uses_dynamic_stack 0
		.amdhsa_enable_private_segment 0
		.amdhsa_system_sgpr_workgroup_id_x 1
		.amdhsa_system_sgpr_workgroup_id_y 0
		.amdhsa_system_sgpr_workgroup_id_z 0
		.amdhsa_system_sgpr_workgroup_info 0
		.amdhsa_system_vgpr_workitem_id 0
		.amdhsa_next_free_vgpr 1
		.amdhsa_next_free_sgpr 0
		.amdhsa_accum_offset 4
		.amdhsa_reserve_vcc 0
		.amdhsa_float_round_mode_32 0
		.amdhsa_float_round_mode_16_64 0
		.amdhsa_float_denorm_mode_32 3
		.amdhsa_float_denorm_mode_16_64 3
		.amdhsa_dx10_clamp 1
		.amdhsa_ieee_mode 1
		.amdhsa_fp16_overflow 0
		.amdhsa_tg_split 0
		.amdhsa_exception_fp_ieee_invalid_op 0
		.amdhsa_exception_fp_denorm_src 0
		.amdhsa_exception_fp_ieee_div_zero 0
		.amdhsa_exception_fp_ieee_overflow 0
		.amdhsa_exception_fp_ieee_underflow 0
		.amdhsa_exception_fp_ieee_inexact 0
		.amdhsa_exception_int_div_zero 0
	.end_amdhsa_kernel
	.section	.text._ZN7rocprim17ROCPRIM_400000_NS6detail17trampoline_kernelINS0_14default_configENS1_25partition_config_selectorILNS1_17partition_subalgoE0EjNS0_10empty_typeEbEEZZNS1_14partition_implILS5_0ELb0ES3_jN6thrust23THRUST_200600_302600_NS6detail15normal_iteratorINSA_10device_ptrIjEEEEPS6_SG_NS0_5tupleIJSF_NSA_16discard_iteratorINSA_11use_defaultEEEEEENSH_IJSG_SG_EEES6_PlJ7is_evenIjEEEE10hipError_tPvRmT3_T4_T5_T6_T7_T9_mT8_P12ihipStream_tbDpT10_ENKUlT_T0_E_clISt17integral_constantIbLb0EES19_EEDaS14_S15_EUlS14_E_NS1_11comp_targetILNS1_3genE3ELNS1_11target_archE908ELNS1_3gpuE7ELNS1_3repE0EEENS1_30default_config_static_selectorELNS0_4arch9wavefront6targetE1EEEvT1_,"axG",@progbits,_ZN7rocprim17ROCPRIM_400000_NS6detail17trampoline_kernelINS0_14default_configENS1_25partition_config_selectorILNS1_17partition_subalgoE0EjNS0_10empty_typeEbEEZZNS1_14partition_implILS5_0ELb0ES3_jN6thrust23THRUST_200600_302600_NS6detail15normal_iteratorINSA_10device_ptrIjEEEEPS6_SG_NS0_5tupleIJSF_NSA_16discard_iteratorINSA_11use_defaultEEEEEENSH_IJSG_SG_EEES6_PlJ7is_evenIjEEEE10hipError_tPvRmT3_T4_T5_T6_T7_T9_mT8_P12ihipStream_tbDpT10_ENKUlT_T0_E_clISt17integral_constantIbLb0EES19_EEDaS14_S15_EUlS14_E_NS1_11comp_targetILNS1_3genE3ELNS1_11target_archE908ELNS1_3gpuE7ELNS1_3repE0EEENS1_30default_config_static_selectorELNS0_4arch9wavefront6targetE1EEEvT1_,comdat
.Lfunc_end2430:
	.size	_ZN7rocprim17ROCPRIM_400000_NS6detail17trampoline_kernelINS0_14default_configENS1_25partition_config_selectorILNS1_17partition_subalgoE0EjNS0_10empty_typeEbEEZZNS1_14partition_implILS5_0ELb0ES3_jN6thrust23THRUST_200600_302600_NS6detail15normal_iteratorINSA_10device_ptrIjEEEEPS6_SG_NS0_5tupleIJSF_NSA_16discard_iteratorINSA_11use_defaultEEEEEENSH_IJSG_SG_EEES6_PlJ7is_evenIjEEEE10hipError_tPvRmT3_T4_T5_T6_T7_T9_mT8_P12ihipStream_tbDpT10_ENKUlT_T0_E_clISt17integral_constantIbLb0EES19_EEDaS14_S15_EUlS14_E_NS1_11comp_targetILNS1_3genE3ELNS1_11target_archE908ELNS1_3gpuE7ELNS1_3repE0EEENS1_30default_config_static_selectorELNS0_4arch9wavefront6targetE1EEEvT1_, .Lfunc_end2430-_ZN7rocprim17ROCPRIM_400000_NS6detail17trampoline_kernelINS0_14default_configENS1_25partition_config_selectorILNS1_17partition_subalgoE0EjNS0_10empty_typeEbEEZZNS1_14partition_implILS5_0ELb0ES3_jN6thrust23THRUST_200600_302600_NS6detail15normal_iteratorINSA_10device_ptrIjEEEEPS6_SG_NS0_5tupleIJSF_NSA_16discard_iteratorINSA_11use_defaultEEEEEENSH_IJSG_SG_EEES6_PlJ7is_evenIjEEEE10hipError_tPvRmT3_T4_T5_T6_T7_T9_mT8_P12ihipStream_tbDpT10_ENKUlT_T0_E_clISt17integral_constantIbLb0EES19_EEDaS14_S15_EUlS14_E_NS1_11comp_targetILNS1_3genE3ELNS1_11target_archE908ELNS1_3gpuE7ELNS1_3repE0EEENS1_30default_config_static_selectorELNS0_4arch9wavefront6targetE1EEEvT1_
                                        ; -- End function
	.section	.AMDGPU.csdata,"",@progbits
; Kernel info:
; codeLenInByte = 0
; NumSgprs: 6
; NumVgprs: 0
; NumAgprs: 0
; TotalNumVgprs: 0
; ScratchSize: 0
; MemoryBound: 0
; FloatMode: 240
; IeeeMode: 1
; LDSByteSize: 0 bytes/workgroup (compile time only)
; SGPRBlocks: 0
; VGPRBlocks: 0
; NumSGPRsForWavesPerEU: 6
; NumVGPRsForWavesPerEU: 1
; AccumOffset: 4
; Occupancy: 8
; WaveLimiterHint : 0
; COMPUTE_PGM_RSRC2:SCRATCH_EN: 0
; COMPUTE_PGM_RSRC2:USER_SGPR: 2
; COMPUTE_PGM_RSRC2:TRAP_HANDLER: 0
; COMPUTE_PGM_RSRC2:TGID_X_EN: 1
; COMPUTE_PGM_RSRC2:TGID_Y_EN: 0
; COMPUTE_PGM_RSRC2:TGID_Z_EN: 0
; COMPUTE_PGM_RSRC2:TIDIG_COMP_CNT: 0
; COMPUTE_PGM_RSRC3_GFX90A:ACCUM_OFFSET: 0
; COMPUTE_PGM_RSRC3_GFX90A:TG_SPLIT: 0
	.section	.text._ZN7rocprim17ROCPRIM_400000_NS6detail17trampoline_kernelINS0_14default_configENS1_25partition_config_selectorILNS1_17partition_subalgoE0EjNS0_10empty_typeEbEEZZNS1_14partition_implILS5_0ELb0ES3_jN6thrust23THRUST_200600_302600_NS6detail15normal_iteratorINSA_10device_ptrIjEEEEPS6_SG_NS0_5tupleIJSF_NSA_16discard_iteratorINSA_11use_defaultEEEEEENSH_IJSG_SG_EEES6_PlJ7is_evenIjEEEE10hipError_tPvRmT3_T4_T5_T6_T7_T9_mT8_P12ihipStream_tbDpT10_ENKUlT_T0_E_clISt17integral_constantIbLb0EES19_EEDaS14_S15_EUlS14_E_NS1_11comp_targetILNS1_3genE2ELNS1_11target_archE906ELNS1_3gpuE6ELNS1_3repE0EEENS1_30default_config_static_selectorELNS0_4arch9wavefront6targetE1EEEvT1_,"axG",@progbits,_ZN7rocprim17ROCPRIM_400000_NS6detail17trampoline_kernelINS0_14default_configENS1_25partition_config_selectorILNS1_17partition_subalgoE0EjNS0_10empty_typeEbEEZZNS1_14partition_implILS5_0ELb0ES3_jN6thrust23THRUST_200600_302600_NS6detail15normal_iteratorINSA_10device_ptrIjEEEEPS6_SG_NS0_5tupleIJSF_NSA_16discard_iteratorINSA_11use_defaultEEEEEENSH_IJSG_SG_EEES6_PlJ7is_evenIjEEEE10hipError_tPvRmT3_T4_T5_T6_T7_T9_mT8_P12ihipStream_tbDpT10_ENKUlT_T0_E_clISt17integral_constantIbLb0EES19_EEDaS14_S15_EUlS14_E_NS1_11comp_targetILNS1_3genE2ELNS1_11target_archE906ELNS1_3gpuE6ELNS1_3repE0EEENS1_30default_config_static_selectorELNS0_4arch9wavefront6targetE1EEEvT1_,comdat
	.protected	_ZN7rocprim17ROCPRIM_400000_NS6detail17trampoline_kernelINS0_14default_configENS1_25partition_config_selectorILNS1_17partition_subalgoE0EjNS0_10empty_typeEbEEZZNS1_14partition_implILS5_0ELb0ES3_jN6thrust23THRUST_200600_302600_NS6detail15normal_iteratorINSA_10device_ptrIjEEEEPS6_SG_NS0_5tupleIJSF_NSA_16discard_iteratorINSA_11use_defaultEEEEEENSH_IJSG_SG_EEES6_PlJ7is_evenIjEEEE10hipError_tPvRmT3_T4_T5_T6_T7_T9_mT8_P12ihipStream_tbDpT10_ENKUlT_T0_E_clISt17integral_constantIbLb0EES19_EEDaS14_S15_EUlS14_E_NS1_11comp_targetILNS1_3genE2ELNS1_11target_archE906ELNS1_3gpuE6ELNS1_3repE0EEENS1_30default_config_static_selectorELNS0_4arch9wavefront6targetE1EEEvT1_ ; -- Begin function _ZN7rocprim17ROCPRIM_400000_NS6detail17trampoline_kernelINS0_14default_configENS1_25partition_config_selectorILNS1_17partition_subalgoE0EjNS0_10empty_typeEbEEZZNS1_14partition_implILS5_0ELb0ES3_jN6thrust23THRUST_200600_302600_NS6detail15normal_iteratorINSA_10device_ptrIjEEEEPS6_SG_NS0_5tupleIJSF_NSA_16discard_iteratorINSA_11use_defaultEEEEEENSH_IJSG_SG_EEES6_PlJ7is_evenIjEEEE10hipError_tPvRmT3_T4_T5_T6_T7_T9_mT8_P12ihipStream_tbDpT10_ENKUlT_T0_E_clISt17integral_constantIbLb0EES19_EEDaS14_S15_EUlS14_E_NS1_11comp_targetILNS1_3genE2ELNS1_11target_archE906ELNS1_3gpuE6ELNS1_3repE0EEENS1_30default_config_static_selectorELNS0_4arch9wavefront6targetE1EEEvT1_
	.globl	_ZN7rocprim17ROCPRIM_400000_NS6detail17trampoline_kernelINS0_14default_configENS1_25partition_config_selectorILNS1_17partition_subalgoE0EjNS0_10empty_typeEbEEZZNS1_14partition_implILS5_0ELb0ES3_jN6thrust23THRUST_200600_302600_NS6detail15normal_iteratorINSA_10device_ptrIjEEEEPS6_SG_NS0_5tupleIJSF_NSA_16discard_iteratorINSA_11use_defaultEEEEEENSH_IJSG_SG_EEES6_PlJ7is_evenIjEEEE10hipError_tPvRmT3_T4_T5_T6_T7_T9_mT8_P12ihipStream_tbDpT10_ENKUlT_T0_E_clISt17integral_constantIbLb0EES19_EEDaS14_S15_EUlS14_E_NS1_11comp_targetILNS1_3genE2ELNS1_11target_archE906ELNS1_3gpuE6ELNS1_3repE0EEENS1_30default_config_static_selectorELNS0_4arch9wavefront6targetE1EEEvT1_
	.p2align	8
	.type	_ZN7rocprim17ROCPRIM_400000_NS6detail17trampoline_kernelINS0_14default_configENS1_25partition_config_selectorILNS1_17partition_subalgoE0EjNS0_10empty_typeEbEEZZNS1_14partition_implILS5_0ELb0ES3_jN6thrust23THRUST_200600_302600_NS6detail15normal_iteratorINSA_10device_ptrIjEEEEPS6_SG_NS0_5tupleIJSF_NSA_16discard_iteratorINSA_11use_defaultEEEEEENSH_IJSG_SG_EEES6_PlJ7is_evenIjEEEE10hipError_tPvRmT3_T4_T5_T6_T7_T9_mT8_P12ihipStream_tbDpT10_ENKUlT_T0_E_clISt17integral_constantIbLb0EES19_EEDaS14_S15_EUlS14_E_NS1_11comp_targetILNS1_3genE2ELNS1_11target_archE906ELNS1_3gpuE6ELNS1_3repE0EEENS1_30default_config_static_selectorELNS0_4arch9wavefront6targetE1EEEvT1_,@function
_ZN7rocprim17ROCPRIM_400000_NS6detail17trampoline_kernelINS0_14default_configENS1_25partition_config_selectorILNS1_17partition_subalgoE0EjNS0_10empty_typeEbEEZZNS1_14partition_implILS5_0ELb0ES3_jN6thrust23THRUST_200600_302600_NS6detail15normal_iteratorINSA_10device_ptrIjEEEEPS6_SG_NS0_5tupleIJSF_NSA_16discard_iteratorINSA_11use_defaultEEEEEENSH_IJSG_SG_EEES6_PlJ7is_evenIjEEEE10hipError_tPvRmT3_T4_T5_T6_T7_T9_mT8_P12ihipStream_tbDpT10_ENKUlT_T0_E_clISt17integral_constantIbLb0EES19_EEDaS14_S15_EUlS14_E_NS1_11comp_targetILNS1_3genE2ELNS1_11target_archE906ELNS1_3gpuE6ELNS1_3repE0EEENS1_30default_config_static_selectorELNS0_4arch9wavefront6targetE1EEEvT1_: ; @_ZN7rocprim17ROCPRIM_400000_NS6detail17trampoline_kernelINS0_14default_configENS1_25partition_config_selectorILNS1_17partition_subalgoE0EjNS0_10empty_typeEbEEZZNS1_14partition_implILS5_0ELb0ES3_jN6thrust23THRUST_200600_302600_NS6detail15normal_iteratorINSA_10device_ptrIjEEEEPS6_SG_NS0_5tupleIJSF_NSA_16discard_iteratorINSA_11use_defaultEEEEEENSH_IJSG_SG_EEES6_PlJ7is_evenIjEEEE10hipError_tPvRmT3_T4_T5_T6_T7_T9_mT8_P12ihipStream_tbDpT10_ENKUlT_T0_E_clISt17integral_constantIbLb0EES19_EEDaS14_S15_EUlS14_E_NS1_11comp_targetILNS1_3genE2ELNS1_11target_archE906ELNS1_3gpuE6ELNS1_3repE0EEENS1_30default_config_static_selectorELNS0_4arch9wavefront6targetE1EEEvT1_
; %bb.0:
	.section	.rodata,"a",@progbits
	.p2align	6, 0x0
	.amdhsa_kernel _ZN7rocprim17ROCPRIM_400000_NS6detail17trampoline_kernelINS0_14default_configENS1_25partition_config_selectorILNS1_17partition_subalgoE0EjNS0_10empty_typeEbEEZZNS1_14partition_implILS5_0ELb0ES3_jN6thrust23THRUST_200600_302600_NS6detail15normal_iteratorINSA_10device_ptrIjEEEEPS6_SG_NS0_5tupleIJSF_NSA_16discard_iteratorINSA_11use_defaultEEEEEENSH_IJSG_SG_EEES6_PlJ7is_evenIjEEEE10hipError_tPvRmT3_T4_T5_T6_T7_T9_mT8_P12ihipStream_tbDpT10_ENKUlT_T0_E_clISt17integral_constantIbLb0EES19_EEDaS14_S15_EUlS14_E_NS1_11comp_targetILNS1_3genE2ELNS1_11target_archE906ELNS1_3gpuE6ELNS1_3repE0EEENS1_30default_config_static_selectorELNS0_4arch9wavefront6targetE1EEEvT1_
		.amdhsa_group_segment_fixed_size 0
		.amdhsa_private_segment_fixed_size 0
		.amdhsa_kernarg_size 128
		.amdhsa_user_sgpr_count 2
		.amdhsa_user_sgpr_dispatch_ptr 0
		.amdhsa_user_sgpr_queue_ptr 0
		.amdhsa_user_sgpr_kernarg_segment_ptr 1
		.amdhsa_user_sgpr_dispatch_id 0
		.amdhsa_user_sgpr_kernarg_preload_length 0
		.amdhsa_user_sgpr_kernarg_preload_offset 0
		.amdhsa_user_sgpr_private_segment_size 0
		.amdhsa_uses_dynamic_stack 0
		.amdhsa_enable_private_segment 0
		.amdhsa_system_sgpr_workgroup_id_x 1
		.amdhsa_system_sgpr_workgroup_id_y 0
		.amdhsa_system_sgpr_workgroup_id_z 0
		.amdhsa_system_sgpr_workgroup_info 0
		.amdhsa_system_vgpr_workitem_id 0
		.amdhsa_next_free_vgpr 1
		.amdhsa_next_free_sgpr 0
		.amdhsa_accum_offset 4
		.amdhsa_reserve_vcc 0
		.amdhsa_float_round_mode_32 0
		.amdhsa_float_round_mode_16_64 0
		.amdhsa_float_denorm_mode_32 3
		.amdhsa_float_denorm_mode_16_64 3
		.amdhsa_dx10_clamp 1
		.amdhsa_ieee_mode 1
		.amdhsa_fp16_overflow 0
		.amdhsa_tg_split 0
		.amdhsa_exception_fp_ieee_invalid_op 0
		.amdhsa_exception_fp_denorm_src 0
		.amdhsa_exception_fp_ieee_div_zero 0
		.amdhsa_exception_fp_ieee_overflow 0
		.amdhsa_exception_fp_ieee_underflow 0
		.amdhsa_exception_fp_ieee_inexact 0
		.amdhsa_exception_int_div_zero 0
	.end_amdhsa_kernel
	.section	.text._ZN7rocprim17ROCPRIM_400000_NS6detail17trampoline_kernelINS0_14default_configENS1_25partition_config_selectorILNS1_17partition_subalgoE0EjNS0_10empty_typeEbEEZZNS1_14partition_implILS5_0ELb0ES3_jN6thrust23THRUST_200600_302600_NS6detail15normal_iteratorINSA_10device_ptrIjEEEEPS6_SG_NS0_5tupleIJSF_NSA_16discard_iteratorINSA_11use_defaultEEEEEENSH_IJSG_SG_EEES6_PlJ7is_evenIjEEEE10hipError_tPvRmT3_T4_T5_T6_T7_T9_mT8_P12ihipStream_tbDpT10_ENKUlT_T0_E_clISt17integral_constantIbLb0EES19_EEDaS14_S15_EUlS14_E_NS1_11comp_targetILNS1_3genE2ELNS1_11target_archE906ELNS1_3gpuE6ELNS1_3repE0EEENS1_30default_config_static_selectorELNS0_4arch9wavefront6targetE1EEEvT1_,"axG",@progbits,_ZN7rocprim17ROCPRIM_400000_NS6detail17trampoline_kernelINS0_14default_configENS1_25partition_config_selectorILNS1_17partition_subalgoE0EjNS0_10empty_typeEbEEZZNS1_14partition_implILS5_0ELb0ES3_jN6thrust23THRUST_200600_302600_NS6detail15normal_iteratorINSA_10device_ptrIjEEEEPS6_SG_NS0_5tupleIJSF_NSA_16discard_iteratorINSA_11use_defaultEEEEEENSH_IJSG_SG_EEES6_PlJ7is_evenIjEEEE10hipError_tPvRmT3_T4_T5_T6_T7_T9_mT8_P12ihipStream_tbDpT10_ENKUlT_T0_E_clISt17integral_constantIbLb0EES19_EEDaS14_S15_EUlS14_E_NS1_11comp_targetILNS1_3genE2ELNS1_11target_archE906ELNS1_3gpuE6ELNS1_3repE0EEENS1_30default_config_static_selectorELNS0_4arch9wavefront6targetE1EEEvT1_,comdat
.Lfunc_end2431:
	.size	_ZN7rocprim17ROCPRIM_400000_NS6detail17trampoline_kernelINS0_14default_configENS1_25partition_config_selectorILNS1_17partition_subalgoE0EjNS0_10empty_typeEbEEZZNS1_14partition_implILS5_0ELb0ES3_jN6thrust23THRUST_200600_302600_NS6detail15normal_iteratorINSA_10device_ptrIjEEEEPS6_SG_NS0_5tupleIJSF_NSA_16discard_iteratorINSA_11use_defaultEEEEEENSH_IJSG_SG_EEES6_PlJ7is_evenIjEEEE10hipError_tPvRmT3_T4_T5_T6_T7_T9_mT8_P12ihipStream_tbDpT10_ENKUlT_T0_E_clISt17integral_constantIbLb0EES19_EEDaS14_S15_EUlS14_E_NS1_11comp_targetILNS1_3genE2ELNS1_11target_archE906ELNS1_3gpuE6ELNS1_3repE0EEENS1_30default_config_static_selectorELNS0_4arch9wavefront6targetE1EEEvT1_, .Lfunc_end2431-_ZN7rocprim17ROCPRIM_400000_NS6detail17trampoline_kernelINS0_14default_configENS1_25partition_config_selectorILNS1_17partition_subalgoE0EjNS0_10empty_typeEbEEZZNS1_14partition_implILS5_0ELb0ES3_jN6thrust23THRUST_200600_302600_NS6detail15normal_iteratorINSA_10device_ptrIjEEEEPS6_SG_NS0_5tupleIJSF_NSA_16discard_iteratorINSA_11use_defaultEEEEEENSH_IJSG_SG_EEES6_PlJ7is_evenIjEEEE10hipError_tPvRmT3_T4_T5_T6_T7_T9_mT8_P12ihipStream_tbDpT10_ENKUlT_T0_E_clISt17integral_constantIbLb0EES19_EEDaS14_S15_EUlS14_E_NS1_11comp_targetILNS1_3genE2ELNS1_11target_archE906ELNS1_3gpuE6ELNS1_3repE0EEENS1_30default_config_static_selectorELNS0_4arch9wavefront6targetE1EEEvT1_
                                        ; -- End function
	.section	.AMDGPU.csdata,"",@progbits
; Kernel info:
; codeLenInByte = 0
; NumSgprs: 6
; NumVgprs: 0
; NumAgprs: 0
; TotalNumVgprs: 0
; ScratchSize: 0
; MemoryBound: 0
; FloatMode: 240
; IeeeMode: 1
; LDSByteSize: 0 bytes/workgroup (compile time only)
; SGPRBlocks: 0
; VGPRBlocks: 0
; NumSGPRsForWavesPerEU: 6
; NumVGPRsForWavesPerEU: 1
; AccumOffset: 4
; Occupancy: 8
; WaveLimiterHint : 0
; COMPUTE_PGM_RSRC2:SCRATCH_EN: 0
; COMPUTE_PGM_RSRC2:USER_SGPR: 2
; COMPUTE_PGM_RSRC2:TRAP_HANDLER: 0
; COMPUTE_PGM_RSRC2:TGID_X_EN: 1
; COMPUTE_PGM_RSRC2:TGID_Y_EN: 0
; COMPUTE_PGM_RSRC2:TGID_Z_EN: 0
; COMPUTE_PGM_RSRC2:TIDIG_COMP_CNT: 0
; COMPUTE_PGM_RSRC3_GFX90A:ACCUM_OFFSET: 0
; COMPUTE_PGM_RSRC3_GFX90A:TG_SPLIT: 0
	.section	.text._ZN7rocprim17ROCPRIM_400000_NS6detail17trampoline_kernelINS0_14default_configENS1_25partition_config_selectorILNS1_17partition_subalgoE0EjNS0_10empty_typeEbEEZZNS1_14partition_implILS5_0ELb0ES3_jN6thrust23THRUST_200600_302600_NS6detail15normal_iteratorINSA_10device_ptrIjEEEEPS6_SG_NS0_5tupleIJSF_NSA_16discard_iteratorINSA_11use_defaultEEEEEENSH_IJSG_SG_EEES6_PlJ7is_evenIjEEEE10hipError_tPvRmT3_T4_T5_T6_T7_T9_mT8_P12ihipStream_tbDpT10_ENKUlT_T0_E_clISt17integral_constantIbLb0EES19_EEDaS14_S15_EUlS14_E_NS1_11comp_targetILNS1_3genE10ELNS1_11target_archE1200ELNS1_3gpuE4ELNS1_3repE0EEENS1_30default_config_static_selectorELNS0_4arch9wavefront6targetE1EEEvT1_,"axG",@progbits,_ZN7rocprim17ROCPRIM_400000_NS6detail17trampoline_kernelINS0_14default_configENS1_25partition_config_selectorILNS1_17partition_subalgoE0EjNS0_10empty_typeEbEEZZNS1_14partition_implILS5_0ELb0ES3_jN6thrust23THRUST_200600_302600_NS6detail15normal_iteratorINSA_10device_ptrIjEEEEPS6_SG_NS0_5tupleIJSF_NSA_16discard_iteratorINSA_11use_defaultEEEEEENSH_IJSG_SG_EEES6_PlJ7is_evenIjEEEE10hipError_tPvRmT3_T4_T5_T6_T7_T9_mT8_P12ihipStream_tbDpT10_ENKUlT_T0_E_clISt17integral_constantIbLb0EES19_EEDaS14_S15_EUlS14_E_NS1_11comp_targetILNS1_3genE10ELNS1_11target_archE1200ELNS1_3gpuE4ELNS1_3repE0EEENS1_30default_config_static_selectorELNS0_4arch9wavefront6targetE1EEEvT1_,comdat
	.protected	_ZN7rocprim17ROCPRIM_400000_NS6detail17trampoline_kernelINS0_14default_configENS1_25partition_config_selectorILNS1_17partition_subalgoE0EjNS0_10empty_typeEbEEZZNS1_14partition_implILS5_0ELb0ES3_jN6thrust23THRUST_200600_302600_NS6detail15normal_iteratorINSA_10device_ptrIjEEEEPS6_SG_NS0_5tupleIJSF_NSA_16discard_iteratorINSA_11use_defaultEEEEEENSH_IJSG_SG_EEES6_PlJ7is_evenIjEEEE10hipError_tPvRmT3_T4_T5_T6_T7_T9_mT8_P12ihipStream_tbDpT10_ENKUlT_T0_E_clISt17integral_constantIbLb0EES19_EEDaS14_S15_EUlS14_E_NS1_11comp_targetILNS1_3genE10ELNS1_11target_archE1200ELNS1_3gpuE4ELNS1_3repE0EEENS1_30default_config_static_selectorELNS0_4arch9wavefront6targetE1EEEvT1_ ; -- Begin function _ZN7rocprim17ROCPRIM_400000_NS6detail17trampoline_kernelINS0_14default_configENS1_25partition_config_selectorILNS1_17partition_subalgoE0EjNS0_10empty_typeEbEEZZNS1_14partition_implILS5_0ELb0ES3_jN6thrust23THRUST_200600_302600_NS6detail15normal_iteratorINSA_10device_ptrIjEEEEPS6_SG_NS0_5tupleIJSF_NSA_16discard_iteratorINSA_11use_defaultEEEEEENSH_IJSG_SG_EEES6_PlJ7is_evenIjEEEE10hipError_tPvRmT3_T4_T5_T6_T7_T9_mT8_P12ihipStream_tbDpT10_ENKUlT_T0_E_clISt17integral_constantIbLb0EES19_EEDaS14_S15_EUlS14_E_NS1_11comp_targetILNS1_3genE10ELNS1_11target_archE1200ELNS1_3gpuE4ELNS1_3repE0EEENS1_30default_config_static_selectorELNS0_4arch9wavefront6targetE1EEEvT1_
	.globl	_ZN7rocprim17ROCPRIM_400000_NS6detail17trampoline_kernelINS0_14default_configENS1_25partition_config_selectorILNS1_17partition_subalgoE0EjNS0_10empty_typeEbEEZZNS1_14partition_implILS5_0ELb0ES3_jN6thrust23THRUST_200600_302600_NS6detail15normal_iteratorINSA_10device_ptrIjEEEEPS6_SG_NS0_5tupleIJSF_NSA_16discard_iteratorINSA_11use_defaultEEEEEENSH_IJSG_SG_EEES6_PlJ7is_evenIjEEEE10hipError_tPvRmT3_T4_T5_T6_T7_T9_mT8_P12ihipStream_tbDpT10_ENKUlT_T0_E_clISt17integral_constantIbLb0EES19_EEDaS14_S15_EUlS14_E_NS1_11comp_targetILNS1_3genE10ELNS1_11target_archE1200ELNS1_3gpuE4ELNS1_3repE0EEENS1_30default_config_static_selectorELNS0_4arch9wavefront6targetE1EEEvT1_
	.p2align	8
	.type	_ZN7rocprim17ROCPRIM_400000_NS6detail17trampoline_kernelINS0_14default_configENS1_25partition_config_selectorILNS1_17partition_subalgoE0EjNS0_10empty_typeEbEEZZNS1_14partition_implILS5_0ELb0ES3_jN6thrust23THRUST_200600_302600_NS6detail15normal_iteratorINSA_10device_ptrIjEEEEPS6_SG_NS0_5tupleIJSF_NSA_16discard_iteratorINSA_11use_defaultEEEEEENSH_IJSG_SG_EEES6_PlJ7is_evenIjEEEE10hipError_tPvRmT3_T4_T5_T6_T7_T9_mT8_P12ihipStream_tbDpT10_ENKUlT_T0_E_clISt17integral_constantIbLb0EES19_EEDaS14_S15_EUlS14_E_NS1_11comp_targetILNS1_3genE10ELNS1_11target_archE1200ELNS1_3gpuE4ELNS1_3repE0EEENS1_30default_config_static_selectorELNS0_4arch9wavefront6targetE1EEEvT1_,@function
_ZN7rocprim17ROCPRIM_400000_NS6detail17trampoline_kernelINS0_14default_configENS1_25partition_config_selectorILNS1_17partition_subalgoE0EjNS0_10empty_typeEbEEZZNS1_14partition_implILS5_0ELb0ES3_jN6thrust23THRUST_200600_302600_NS6detail15normal_iteratorINSA_10device_ptrIjEEEEPS6_SG_NS0_5tupleIJSF_NSA_16discard_iteratorINSA_11use_defaultEEEEEENSH_IJSG_SG_EEES6_PlJ7is_evenIjEEEE10hipError_tPvRmT3_T4_T5_T6_T7_T9_mT8_P12ihipStream_tbDpT10_ENKUlT_T0_E_clISt17integral_constantIbLb0EES19_EEDaS14_S15_EUlS14_E_NS1_11comp_targetILNS1_3genE10ELNS1_11target_archE1200ELNS1_3gpuE4ELNS1_3repE0EEENS1_30default_config_static_selectorELNS0_4arch9wavefront6targetE1EEEvT1_: ; @_ZN7rocprim17ROCPRIM_400000_NS6detail17trampoline_kernelINS0_14default_configENS1_25partition_config_selectorILNS1_17partition_subalgoE0EjNS0_10empty_typeEbEEZZNS1_14partition_implILS5_0ELb0ES3_jN6thrust23THRUST_200600_302600_NS6detail15normal_iteratorINSA_10device_ptrIjEEEEPS6_SG_NS0_5tupleIJSF_NSA_16discard_iteratorINSA_11use_defaultEEEEEENSH_IJSG_SG_EEES6_PlJ7is_evenIjEEEE10hipError_tPvRmT3_T4_T5_T6_T7_T9_mT8_P12ihipStream_tbDpT10_ENKUlT_T0_E_clISt17integral_constantIbLb0EES19_EEDaS14_S15_EUlS14_E_NS1_11comp_targetILNS1_3genE10ELNS1_11target_archE1200ELNS1_3gpuE4ELNS1_3repE0EEENS1_30default_config_static_selectorELNS0_4arch9wavefront6targetE1EEEvT1_
; %bb.0:
	.section	.rodata,"a",@progbits
	.p2align	6, 0x0
	.amdhsa_kernel _ZN7rocprim17ROCPRIM_400000_NS6detail17trampoline_kernelINS0_14default_configENS1_25partition_config_selectorILNS1_17partition_subalgoE0EjNS0_10empty_typeEbEEZZNS1_14partition_implILS5_0ELb0ES3_jN6thrust23THRUST_200600_302600_NS6detail15normal_iteratorINSA_10device_ptrIjEEEEPS6_SG_NS0_5tupleIJSF_NSA_16discard_iteratorINSA_11use_defaultEEEEEENSH_IJSG_SG_EEES6_PlJ7is_evenIjEEEE10hipError_tPvRmT3_T4_T5_T6_T7_T9_mT8_P12ihipStream_tbDpT10_ENKUlT_T0_E_clISt17integral_constantIbLb0EES19_EEDaS14_S15_EUlS14_E_NS1_11comp_targetILNS1_3genE10ELNS1_11target_archE1200ELNS1_3gpuE4ELNS1_3repE0EEENS1_30default_config_static_selectorELNS0_4arch9wavefront6targetE1EEEvT1_
		.amdhsa_group_segment_fixed_size 0
		.amdhsa_private_segment_fixed_size 0
		.amdhsa_kernarg_size 128
		.amdhsa_user_sgpr_count 2
		.amdhsa_user_sgpr_dispatch_ptr 0
		.amdhsa_user_sgpr_queue_ptr 0
		.amdhsa_user_sgpr_kernarg_segment_ptr 1
		.amdhsa_user_sgpr_dispatch_id 0
		.amdhsa_user_sgpr_kernarg_preload_length 0
		.amdhsa_user_sgpr_kernarg_preload_offset 0
		.amdhsa_user_sgpr_private_segment_size 0
		.amdhsa_uses_dynamic_stack 0
		.amdhsa_enable_private_segment 0
		.amdhsa_system_sgpr_workgroup_id_x 1
		.amdhsa_system_sgpr_workgroup_id_y 0
		.amdhsa_system_sgpr_workgroup_id_z 0
		.amdhsa_system_sgpr_workgroup_info 0
		.amdhsa_system_vgpr_workitem_id 0
		.amdhsa_next_free_vgpr 1
		.amdhsa_next_free_sgpr 0
		.amdhsa_accum_offset 4
		.amdhsa_reserve_vcc 0
		.amdhsa_float_round_mode_32 0
		.amdhsa_float_round_mode_16_64 0
		.amdhsa_float_denorm_mode_32 3
		.amdhsa_float_denorm_mode_16_64 3
		.amdhsa_dx10_clamp 1
		.amdhsa_ieee_mode 1
		.amdhsa_fp16_overflow 0
		.amdhsa_tg_split 0
		.amdhsa_exception_fp_ieee_invalid_op 0
		.amdhsa_exception_fp_denorm_src 0
		.amdhsa_exception_fp_ieee_div_zero 0
		.amdhsa_exception_fp_ieee_overflow 0
		.amdhsa_exception_fp_ieee_underflow 0
		.amdhsa_exception_fp_ieee_inexact 0
		.amdhsa_exception_int_div_zero 0
	.end_amdhsa_kernel
	.section	.text._ZN7rocprim17ROCPRIM_400000_NS6detail17trampoline_kernelINS0_14default_configENS1_25partition_config_selectorILNS1_17partition_subalgoE0EjNS0_10empty_typeEbEEZZNS1_14partition_implILS5_0ELb0ES3_jN6thrust23THRUST_200600_302600_NS6detail15normal_iteratorINSA_10device_ptrIjEEEEPS6_SG_NS0_5tupleIJSF_NSA_16discard_iteratorINSA_11use_defaultEEEEEENSH_IJSG_SG_EEES6_PlJ7is_evenIjEEEE10hipError_tPvRmT3_T4_T5_T6_T7_T9_mT8_P12ihipStream_tbDpT10_ENKUlT_T0_E_clISt17integral_constantIbLb0EES19_EEDaS14_S15_EUlS14_E_NS1_11comp_targetILNS1_3genE10ELNS1_11target_archE1200ELNS1_3gpuE4ELNS1_3repE0EEENS1_30default_config_static_selectorELNS0_4arch9wavefront6targetE1EEEvT1_,"axG",@progbits,_ZN7rocprim17ROCPRIM_400000_NS6detail17trampoline_kernelINS0_14default_configENS1_25partition_config_selectorILNS1_17partition_subalgoE0EjNS0_10empty_typeEbEEZZNS1_14partition_implILS5_0ELb0ES3_jN6thrust23THRUST_200600_302600_NS6detail15normal_iteratorINSA_10device_ptrIjEEEEPS6_SG_NS0_5tupleIJSF_NSA_16discard_iteratorINSA_11use_defaultEEEEEENSH_IJSG_SG_EEES6_PlJ7is_evenIjEEEE10hipError_tPvRmT3_T4_T5_T6_T7_T9_mT8_P12ihipStream_tbDpT10_ENKUlT_T0_E_clISt17integral_constantIbLb0EES19_EEDaS14_S15_EUlS14_E_NS1_11comp_targetILNS1_3genE10ELNS1_11target_archE1200ELNS1_3gpuE4ELNS1_3repE0EEENS1_30default_config_static_selectorELNS0_4arch9wavefront6targetE1EEEvT1_,comdat
.Lfunc_end2432:
	.size	_ZN7rocprim17ROCPRIM_400000_NS6detail17trampoline_kernelINS0_14default_configENS1_25partition_config_selectorILNS1_17partition_subalgoE0EjNS0_10empty_typeEbEEZZNS1_14partition_implILS5_0ELb0ES3_jN6thrust23THRUST_200600_302600_NS6detail15normal_iteratorINSA_10device_ptrIjEEEEPS6_SG_NS0_5tupleIJSF_NSA_16discard_iteratorINSA_11use_defaultEEEEEENSH_IJSG_SG_EEES6_PlJ7is_evenIjEEEE10hipError_tPvRmT3_T4_T5_T6_T7_T9_mT8_P12ihipStream_tbDpT10_ENKUlT_T0_E_clISt17integral_constantIbLb0EES19_EEDaS14_S15_EUlS14_E_NS1_11comp_targetILNS1_3genE10ELNS1_11target_archE1200ELNS1_3gpuE4ELNS1_3repE0EEENS1_30default_config_static_selectorELNS0_4arch9wavefront6targetE1EEEvT1_, .Lfunc_end2432-_ZN7rocprim17ROCPRIM_400000_NS6detail17trampoline_kernelINS0_14default_configENS1_25partition_config_selectorILNS1_17partition_subalgoE0EjNS0_10empty_typeEbEEZZNS1_14partition_implILS5_0ELb0ES3_jN6thrust23THRUST_200600_302600_NS6detail15normal_iteratorINSA_10device_ptrIjEEEEPS6_SG_NS0_5tupleIJSF_NSA_16discard_iteratorINSA_11use_defaultEEEEEENSH_IJSG_SG_EEES6_PlJ7is_evenIjEEEE10hipError_tPvRmT3_T4_T5_T6_T7_T9_mT8_P12ihipStream_tbDpT10_ENKUlT_T0_E_clISt17integral_constantIbLb0EES19_EEDaS14_S15_EUlS14_E_NS1_11comp_targetILNS1_3genE10ELNS1_11target_archE1200ELNS1_3gpuE4ELNS1_3repE0EEENS1_30default_config_static_selectorELNS0_4arch9wavefront6targetE1EEEvT1_
                                        ; -- End function
	.section	.AMDGPU.csdata,"",@progbits
; Kernel info:
; codeLenInByte = 0
; NumSgprs: 6
; NumVgprs: 0
; NumAgprs: 0
; TotalNumVgprs: 0
; ScratchSize: 0
; MemoryBound: 0
; FloatMode: 240
; IeeeMode: 1
; LDSByteSize: 0 bytes/workgroup (compile time only)
; SGPRBlocks: 0
; VGPRBlocks: 0
; NumSGPRsForWavesPerEU: 6
; NumVGPRsForWavesPerEU: 1
; AccumOffset: 4
; Occupancy: 8
; WaveLimiterHint : 0
; COMPUTE_PGM_RSRC2:SCRATCH_EN: 0
; COMPUTE_PGM_RSRC2:USER_SGPR: 2
; COMPUTE_PGM_RSRC2:TRAP_HANDLER: 0
; COMPUTE_PGM_RSRC2:TGID_X_EN: 1
; COMPUTE_PGM_RSRC2:TGID_Y_EN: 0
; COMPUTE_PGM_RSRC2:TGID_Z_EN: 0
; COMPUTE_PGM_RSRC2:TIDIG_COMP_CNT: 0
; COMPUTE_PGM_RSRC3_GFX90A:ACCUM_OFFSET: 0
; COMPUTE_PGM_RSRC3_GFX90A:TG_SPLIT: 0
	.section	.text._ZN7rocprim17ROCPRIM_400000_NS6detail17trampoline_kernelINS0_14default_configENS1_25partition_config_selectorILNS1_17partition_subalgoE0EjNS0_10empty_typeEbEEZZNS1_14partition_implILS5_0ELb0ES3_jN6thrust23THRUST_200600_302600_NS6detail15normal_iteratorINSA_10device_ptrIjEEEEPS6_SG_NS0_5tupleIJSF_NSA_16discard_iteratorINSA_11use_defaultEEEEEENSH_IJSG_SG_EEES6_PlJ7is_evenIjEEEE10hipError_tPvRmT3_T4_T5_T6_T7_T9_mT8_P12ihipStream_tbDpT10_ENKUlT_T0_E_clISt17integral_constantIbLb0EES19_EEDaS14_S15_EUlS14_E_NS1_11comp_targetILNS1_3genE9ELNS1_11target_archE1100ELNS1_3gpuE3ELNS1_3repE0EEENS1_30default_config_static_selectorELNS0_4arch9wavefront6targetE1EEEvT1_,"axG",@progbits,_ZN7rocprim17ROCPRIM_400000_NS6detail17trampoline_kernelINS0_14default_configENS1_25partition_config_selectorILNS1_17partition_subalgoE0EjNS0_10empty_typeEbEEZZNS1_14partition_implILS5_0ELb0ES3_jN6thrust23THRUST_200600_302600_NS6detail15normal_iteratorINSA_10device_ptrIjEEEEPS6_SG_NS0_5tupleIJSF_NSA_16discard_iteratorINSA_11use_defaultEEEEEENSH_IJSG_SG_EEES6_PlJ7is_evenIjEEEE10hipError_tPvRmT3_T4_T5_T6_T7_T9_mT8_P12ihipStream_tbDpT10_ENKUlT_T0_E_clISt17integral_constantIbLb0EES19_EEDaS14_S15_EUlS14_E_NS1_11comp_targetILNS1_3genE9ELNS1_11target_archE1100ELNS1_3gpuE3ELNS1_3repE0EEENS1_30default_config_static_selectorELNS0_4arch9wavefront6targetE1EEEvT1_,comdat
	.protected	_ZN7rocprim17ROCPRIM_400000_NS6detail17trampoline_kernelINS0_14default_configENS1_25partition_config_selectorILNS1_17partition_subalgoE0EjNS0_10empty_typeEbEEZZNS1_14partition_implILS5_0ELb0ES3_jN6thrust23THRUST_200600_302600_NS6detail15normal_iteratorINSA_10device_ptrIjEEEEPS6_SG_NS0_5tupleIJSF_NSA_16discard_iteratorINSA_11use_defaultEEEEEENSH_IJSG_SG_EEES6_PlJ7is_evenIjEEEE10hipError_tPvRmT3_T4_T5_T6_T7_T9_mT8_P12ihipStream_tbDpT10_ENKUlT_T0_E_clISt17integral_constantIbLb0EES19_EEDaS14_S15_EUlS14_E_NS1_11comp_targetILNS1_3genE9ELNS1_11target_archE1100ELNS1_3gpuE3ELNS1_3repE0EEENS1_30default_config_static_selectorELNS0_4arch9wavefront6targetE1EEEvT1_ ; -- Begin function _ZN7rocprim17ROCPRIM_400000_NS6detail17trampoline_kernelINS0_14default_configENS1_25partition_config_selectorILNS1_17partition_subalgoE0EjNS0_10empty_typeEbEEZZNS1_14partition_implILS5_0ELb0ES3_jN6thrust23THRUST_200600_302600_NS6detail15normal_iteratorINSA_10device_ptrIjEEEEPS6_SG_NS0_5tupleIJSF_NSA_16discard_iteratorINSA_11use_defaultEEEEEENSH_IJSG_SG_EEES6_PlJ7is_evenIjEEEE10hipError_tPvRmT3_T4_T5_T6_T7_T9_mT8_P12ihipStream_tbDpT10_ENKUlT_T0_E_clISt17integral_constantIbLb0EES19_EEDaS14_S15_EUlS14_E_NS1_11comp_targetILNS1_3genE9ELNS1_11target_archE1100ELNS1_3gpuE3ELNS1_3repE0EEENS1_30default_config_static_selectorELNS0_4arch9wavefront6targetE1EEEvT1_
	.globl	_ZN7rocprim17ROCPRIM_400000_NS6detail17trampoline_kernelINS0_14default_configENS1_25partition_config_selectorILNS1_17partition_subalgoE0EjNS0_10empty_typeEbEEZZNS1_14partition_implILS5_0ELb0ES3_jN6thrust23THRUST_200600_302600_NS6detail15normal_iteratorINSA_10device_ptrIjEEEEPS6_SG_NS0_5tupleIJSF_NSA_16discard_iteratorINSA_11use_defaultEEEEEENSH_IJSG_SG_EEES6_PlJ7is_evenIjEEEE10hipError_tPvRmT3_T4_T5_T6_T7_T9_mT8_P12ihipStream_tbDpT10_ENKUlT_T0_E_clISt17integral_constantIbLb0EES19_EEDaS14_S15_EUlS14_E_NS1_11comp_targetILNS1_3genE9ELNS1_11target_archE1100ELNS1_3gpuE3ELNS1_3repE0EEENS1_30default_config_static_selectorELNS0_4arch9wavefront6targetE1EEEvT1_
	.p2align	8
	.type	_ZN7rocprim17ROCPRIM_400000_NS6detail17trampoline_kernelINS0_14default_configENS1_25partition_config_selectorILNS1_17partition_subalgoE0EjNS0_10empty_typeEbEEZZNS1_14partition_implILS5_0ELb0ES3_jN6thrust23THRUST_200600_302600_NS6detail15normal_iteratorINSA_10device_ptrIjEEEEPS6_SG_NS0_5tupleIJSF_NSA_16discard_iteratorINSA_11use_defaultEEEEEENSH_IJSG_SG_EEES6_PlJ7is_evenIjEEEE10hipError_tPvRmT3_T4_T5_T6_T7_T9_mT8_P12ihipStream_tbDpT10_ENKUlT_T0_E_clISt17integral_constantIbLb0EES19_EEDaS14_S15_EUlS14_E_NS1_11comp_targetILNS1_3genE9ELNS1_11target_archE1100ELNS1_3gpuE3ELNS1_3repE0EEENS1_30default_config_static_selectorELNS0_4arch9wavefront6targetE1EEEvT1_,@function
_ZN7rocprim17ROCPRIM_400000_NS6detail17trampoline_kernelINS0_14default_configENS1_25partition_config_selectorILNS1_17partition_subalgoE0EjNS0_10empty_typeEbEEZZNS1_14partition_implILS5_0ELb0ES3_jN6thrust23THRUST_200600_302600_NS6detail15normal_iteratorINSA_10device_ptrIjEEEEPS6_SG_NS0_5tupleIJSF_NSA_16discard_iteratorINSA_11use_defaultEEEEEENSH_IJSG_SG_EEES6_PlJ7is_evenIjEEEE10hipError_tPvRmT3_T4_T5_T6_T7_T9_mT8_P12ihipStream_tbDpT10_ENKUlT_T0_E_clISt17integral_constantIbLb0EES19_EEDaS14_S15_EUlS14_E_NS1_11comp_targetILNS1_3genE9ELNS1_11target_archE1100ELNS1_3gpuE3ELNS1_3repE0EEENS1_30default_config_static_selectorELNS0_4arch9wavefront6targetE1EEEvT1_: ; @_ZN7rocprim17ROCPRIM_400000_NS6detail17trampoline_kernelINS0_14default_configENS1_25partition_config_selectorILNS1_17partition_subalgoE0EjNS0_10empty_typeEbEEZZNS1_14partition_implILS5_0ELb0ES3_jN6thrust23THRUST_200600_302600_NS6detail15normal_iteratorINSA_10device_ptrIjEEEEPS6_SG_NS0_5tupleIJSF_NSA_16discard_iteratorINSA_11use_defaultEEEEEENSH_IJSG_SG_EEES6_PlJ7is_evenIjEEEE10hipError_tPvRmT3_T4_T5_T6_T7_T9_mT8_P12ihipStream_tbDpT10_ENKUlT_T0_E_clISt17integral_constantIbLb0EES19_EEDaS14_S15_EUlS14_E_NS1_11comp_targetILNS1_3genE9ELNS1_11target_archE1100ELNS1_3gpuE3ELNS1_3repE0EEENS1_30default_config_static_selectorELNS0_4arch9wavefront6targetE1EEEvT1_
; %bb.0:
	.section	.rodata,"a",@progbits
	.p2align	6, 0x0
	.amdhsa_kernel _ZN7rocprim17ROCPRIM_400000_NS6detail17trampoline_kernelINS0_14default_configENS1_25partition_config_selectorILNS1_17partition_subalgoE0EjNS0_10empty_typeEbEEZZNS1_14partition_implILS5_0ELb0ES3_jN6thrust23THRUST_200600_302600_NS6detail15normal_iteratorINSA_10device_ptrIjEEEEPS6_SG_NS0_5tupleIJSF_NSA_16discard_iteratorINSA_11use_defaultEEEEEENSH_IJSG_SG_EEES6_PlJ7is_evenIjEEEE10hipError_tPvRmT3_T4_T5_T6_T7_T9_mT8_P12ihipStream_tbDpT10_ENKUlT_T0_E_clISt17integral_constantIbLb0EES19_EEDaS14_S15_EUlS14_E_NS1_11comp_targetILNS1_3genE9ELNS1_11target_archE1100ELNS1_3gpuE3ELNS1_3repE0EEENS1_30default_config_static_selectorELNS0_4arch9wavefront6targetE1EEEvT1_
		.amdhsa_group_segment_fixed_size 0
		.amdhsa_private_segment_fixed_size 0
		.amdhsa_kernarg_size 128
		.amdhsa_user_sgpr_count 2
		.amdhsa_user_sgpr_dispatch_ptr 0
		.amdhsa_user_sgpr_queue_ptr 0
		.amdhsa_user_sgpr_kernarg_segment_ptr 1
		.amdhsa_user_sgpr_dispatch_id 0
		.amdhsa_user_sgpr_kernarg_preload_length 0
		.amdhsa_user_sgpr_kernarg_preload_offset 0
		.amdhsa_user_sgpr_private_segment_size 0
		.amdhsa_uses_dynamic_stack 0
		.amdhsa_enable_private_segment 0
		.amdhsa_system_sgpr_workgroup_id_x 1
		.amdhsa_system_sgpr_workgroup_id_y 0
		.amdhsa_system_sgpr_workgroup_id_z 0
		.amdhsa_system_sgpr_workgroup_info 0
		.amdhsa_system_vgpr_workitem_id 0
		.amdhsa_next_free_vgpr 1
		.amdhsa_next_free_sgpr 0
		.amdhsa_accum_offset 4
		.amdhsa_reserve_vcc 0
		.amdhsa_float_round_mode_32 0
		.amdhsa_float_round_mode_16_64 0
		.amdhsa_float_denorm_mode_32 3
		.amdhsa_float_denorm_mode_16_64 3
		.amdhsa_dx10_clamp 1
		.amdhsa_ieee_mode 1
		.amdhsa_fp16_overflow 0
		.amdhsa_tg_split 0
		.amdhsa_exception_fp_ieee_invalid_op 0
		.amdhsa_exception_fp_denorm_src 0
		.amdhsa_exception_fp_ieee_div_zero 0
		.amdhsa_exception_fp_ieee_overflow 0
		.amdhsa_exception_fp_ieee_underflow 0
		.amdhsa_exception_fp_ieee_inexact 0
		.amdhsa_exception_int_div_zero 0
	.end_amdhsa_kernel
	.section	.text._ZN7rocprim17ROCPRIM_400000_NS6detail17trampoline_kernelINS0_14default_configENS1_25partition_config_selectorILNS1_17partition_subalgoE0EjNS0_10empty_typeEbEEZZNS1_14partition_implILS5_0ELb0ES3_jN6thrust23THRUST_200600_302600_NS6detail15normal_iteratorINSA_10device_ptrIjEEEEPS6_SG_NS0_5tupleIJSF_NSA_16discard_iteratorINSA_11use_defaultEEEEEENSH_IJSG_SG_EEES6_PlJ7is_evenIjEEEE10hipError_tPvRmT3_T4_T5_T6_T7_T9_mT8_P12ihipStream_tbDpT10_ENKUlT_T0_E_clISt17integral_constantIbLb0EES19_EEDaS14_S15_EUlS14_E_NS1_11comp_targetILNS1_3genE9ELNS1_11target_archE1100ELNS1_3gpuE3ELNS1_3repE0EEENS1_30default_config_static_selectorELNS0_4arch9wavefront6targetE1EEEvT1_,"axG",@progbits,_ZN7rocprim17ROCPRIM_400000_NS6detail17trampoline_kernelINS0_14default_configENS1_25partition_config_selectorILNS1_17partition_subalgoE0EjNS0_10empty_typeEbEEZZNS1_14partition_implILS5_0ELb0ES3_jN6thrust23THRUST_200600_302600_NS6detail15normal_iteratorINSA_10device_ptrIjEEEEPS6_SG_NS0_5tupleIJSF_NSA_16discard_iteratorINSA_11use_defaultEEEEEENSH_IJSG_SG_EEES6_PlJ7is_evenIjEEEE10hipError_tPvRmT3_T4_T5_T6_T7_T9_mT8_P12ihipStream_tbDpT10_ENKUlT_T0_E_clISt17integral_constantIbLb0EES19_EEDaS14_S15_EUlS14_E_NS1_11comp_targetILNS1_3genE9ELNS1_11target_archE1100ELNS1_3gpuE3ELNS1_3repE0EEENS1_30default_config_static_selectorELNS0_4arch9wavefront6targetE1EEEvT1_,comdat
.Lfunc_end2433:
	.size	_ZN7rocprim17ROCPRIM_400000_NS6detail17trampoline_kernelINS0_14default_configENS1_25partition_config_selectorILNS1_17partition_subalgoE0EjNS0_10empty_typeEbEEZZNS1_14partition_implILS5_0ELb0ES3_jN6thrust23THRUST_200600_302600_NS6detail15normal_iteratorINSA_10device_ptrIjEEEEPS6_SG_NS0_5tupleIJSF_NSA_16discard_iteratorINSA_11use_defaultEEEEEENSH_IJSG_SG_EEES6_PlJ7is_evenIjEEEE10hipError_tPvRmT3_T4_T5_T6_T7_T9_mT8_P12ihipStream_tbDpT10_ENKUlT_T0_E_clISt17integral_constantIbLb0EES19_EEDaS14_S15_EUlS14_E_NS1_11comp_targetILNS1_3genE9ELNS1_11target_archE1100ELNS1_3gpuE3ELNS1_3repE0EEENS1_30default_config_static_selectorELNS0_4arch9wavefront6targetE1EEEvT1_, .Lfunc_end2433-_ZN7rocprim17ROCPRIM_400000_NS6detail17trampoline_kernelINS0_14default_configENS1_25partition_config_selectorILNS1_17partition_subalgoE0EjNS0_10empty_typeEbEEZZNS1_14partition_implILS5_0ELb0ES3_jN6thrust23THRUST_200600_302600_NS6detail15normal_iteratorINSA_10device_ptrIjEEEEPS6_SG_NS0_5tupleIJSF_NSA_16discard_iteratorINSA_11use_defaultEEEEEENSH_IJSG_SG_EEES6_PlJ7is_evenIjEEEE10hipError_tPvRmT3_T4_T5_T6_T7_T9_mT8_P12ihipStream_tbDpT10_ENKUlT_T0_E_clISt17integral_constantIbLb0EES19_EEDaS14_S15_EUlS14_E_NS1_11comp_targetILNS1_3genE9ELNS1_11target_archE1100ELNS1_3gpuE3ELNS1_3repE0EEENS1_30default_config_static_selectorELNS0_4arch9wavefront6targetE1EEEvT1_
                                        ; -- End function
	.section	.AMDGPU.csdata,"",@progbits
; Kernel info:
; codeLenInByte = 0
; NumSgprs: 6
; NumVgprs: 0
; NumAgprs: 0
; TotalNumVgprs: 0
; ScratchSize: 0
; MemoryBound: 0
; FloatMode: 240
; IeeeMode: 1
; LDSByteSize: 0 bytes/workgroup (compile time only)
; SGPRBlocks: 0
; VGPRBlocks: 0
; NumSGPRsForWavesPerEU: 6
; NumVGPRsForWavesPerEU: 1
; AccumOffset: 4
; Occupancy: 8
; WaveLimiterHint : 0
; COMPUTE_PGM_RSRC2:SCRATCH_EN: 0
; COMPUTE_PGM_RSRC2:USER_SGPR: 2
; COMPUTE_PGM_RSRC2:TRAP_HANDLER: 0
; COMPUTE_PGM_RSRC2:TGID_X_EN: 1
; COMPUTE_PGM_RSRC2:TGID_Y_EN: 0
; COMPUTE_PGM_RSRC2:TGID_Z_EN: 0
; COMPUTE_PGM_RSRC2:TIDIG_COMP_CNT: 0
; COMPUTE_PGM_RSRC3_GFX90A:ACCUM_OFFSET: 0
; COMPUTE_PGM_RSRC3_GFX90A:TG_SPLIT: 0
	.section	.text._ZN7rocprim17ROCPRIM_400000_NS6detail17trampoline_kernelINS0_14default_configENS1_25partition_config_selectorILNS1_17partition_subalgoE0EjNS0_10empty_typeEbEEZZNS1_14partition_implILS5_0ELb0ES3_jN6thrust23THRUST_200600_302600_NS6detail15normal_iteratorINSA_10device_ptrIjEEEEPS6_SG_NS0_5tupleIJSF_NSA_16discard_iteratorINSA_11use_defaultEEEEEENSH_IJSG_SG_EEES6_PlJ7is_evenIjEEEE10hipError_tPvRmT3_T4_T5_T6_T7_T9_mT8_P12ihipStream_tbDpT10_ENKUlT_T0_E_clISt17integral_constantIbLb0EES19_EEDaS14_S15_EUlS14_E_NS1_11comp_targetILNS1_3genE8ELNS1_11target_archE1030ELNS1_3gpuE2ELNS1_3repE0EEENS1_30default_config_static_selectorELNS0_4arch9wavefront6targetE1EEEvT1_,"axG",@progbits,_ZN7rocprim17ROCPRIM_400000_NS6detail17trampoline_kernelINS0_14default_configENS1_25partition_config_selectorILNS1_17partition_subalgoE0EjNS0_10empty_typeEbEEZZNS1_14partition_implILS5_0ELb0ES3_jN6thrust23THRUST_200600_302600_NS6detail15normal_iteratorINSA_10device_ptrIjEEEEPS6_SG_NS0_5tupleIJSF_NSA_16discard_iteratorINSA_11use_defaultEEEEEENSH_IJSG_SG_EEES6_PlJ7is_evenIjEEEE10hipError_tPvRmT3_T4_T5_T6_T7_T9_mT8_P12ihipStream_tbDpT10_ENKUlT_T0_E_clISt17integral_constantIbLb0EES19_EEDaS14_S15_EUlS14_E_NS1_11comp_targetILNS1_3genE8ELNS1_11target_archE1030ELNS1_3gpuE2ELNS1_3repE0EEENS1_30default_config_static_selectorELNS0_4arch9wavefront6targetE1EEEvT1_,comdat
	.protected	_ZN7rocprim17ROCPRIM_400000_NS6detail17trampoline_kernelINS0_14default_configENS1_25partition_config_selectorILNS1_17partition_subalgoE0EjNS0_10empty_typeEbEEZZNS1_14partition_implILS5_0ELb0ES3_jN6thrust23THRUST_200600_302600_NS6detail15normal_iteratorINSA_10device_ptrIjEEEEPS6_SG_NS0_5tupleIJSF_NSA_16discard_iteratorINSA_11use_defaultEEEEEENSH_IJSG_SG_EEES6_PlJ7is_evenIjEEEE10hipError_tPvRmT3_T4_T5_T6_T7_T9_mT8_P12ihipStream_tbDpT10_ENKUlT_T0_E_clISt17integral_constantIbLb0EES19_EEDaS14_S15_EUlS14_E_NS1_11comp_targetILNS1_3genE8ELNS1_11target_archE1030ELNS1_3gpuE2ELNS1_3repE0EEENS1_30default_config_static_selectorELNS0_4arch9wavefront6targetE1EEEvT1_ ; -- Begin function _ZN7rocprim17ROCPRIM_400000_NS6detail17trampoline_kernelINS0_14default_configENS1_25partition_config_selectorILNS1_17partition_subalgoE0EjNS0_10empty_typeEbEEZZNS1_14partition_implILS5_0ELb0ES3_jN6thrust23THRUST_200600_302600_NS6detail15normal_iteratorINSA_10device_ptrIjEEEEPS6_SG_NS0_5tupleIJSF_NSA_16discard_iteratorINSA_11use_defaultEEEEEENSH_IJSG_SG_EEES6_PlJ7is_evenIjEEEE10hipError_tPvRmT3_T4_T5_T6_T7_T9_mT8_P12ihipStream_tbDpT10_ENKUlT_T0_E_clISt17integral_constantIbLb0EES19_EEDaS14_S15_EUlS14_E_NS1_11comp_targetILNS1_3genE8ELNS1_11target_archE1030ELNS1_3gpuE2ELNS1_3repE0EEENS1_30default_config_static_selectorELNS0_4arch9wavefront6targetE1EEEvT1_
	.globl	_ZN7rocprim17ROCPRIM_400000_NS6detail17trampoline_kernelINS0_14default_configENS1_25partition_config_selectorILNS1_17partition_subalgoE0EjNS0_10empty_typeEbEEZZNS1_14partition_implILS5_0ELb0ES3_jN6thrust23THRUST_200600_302600_NS6detail15normal_iteratorINSA_10device_ptrIjEEEEPS6_SG_NS0_5tupleIJSF_NSA_16discard_iteratorINSA_11use_defaultEEEEEENSH_IJSG_SG_EEES6_PlJ7is_evenIjEEEE10hipError_tPvRmT3_T4_T5_T6_T7_T9_mT8_P12ihipStream_tbDpT10_ENKUlT_T0_E_clISt17integral_constantIbLb0EES19_EEDaS14_S15_EUlS14_E_NS1_11comp_targetILNS1_3genE8ELNS1_11target_archE1030ELNS1_3gpuE2ELNS1_3repE0EEENS1_30default_config_static_selectorELNS0_4arch9wavefront6targetE1EEEvT1_
	.p2align	8
	.type	_ZN7rocprim17ROCPRIM_400000_NS6detail17trampoline_kernelINS0_14default_configENS1_25partition_config_selectorILNS1_17partition_subalgoE0EjNS0_10empty_typeEbEEZZNS1_14partition_implILS5_0ELb0ES3_jN6thrust23THRUST_200600_302600_NS6detail15normal_iteratorINSA_10device_ptrIjEEEEPS6_SG_NS0_5tupleIJSF_NSA_16discard_iteratorINSA_11use_defaultEEEEEENSH_IJSG_SG_EEES6_PlJ7is_evenIjEEEE10hipError_tPvRmT3_T4_T5_T6_T7_T9_mT8_P12ihipStream_tbDpT10_ENKUlT_T0_E_clISt17integral_constantIbLb0EES19_EEDaS14_S15_EUlS14_E_NS1_11comp_targetILNS1_3genE8ELNS1_11target_archE1030ELNS1_3gpuE2ELNS1_3repE0EEENS1_30default_config_static_selectorELNS0_4arch9wavefront6targetE1EEEvT1_,@function
_ZN7rocprim17ROCPRIM_400000_NS6detail17trampoline_kernelINS0_14default_configENS1_25partition_config_selectorILNS1_17partition_subalgoE0EjNS0_10empty_typeEbEEZZNS1_14partition_implILS5_0ELb0ES3_jN6thrust23THRUST_200600_302600_NS6detail15normal_iteratorINSA_10device_ptrIjEEEEPS6_SG_NS0_5tupleIJSF_NSA_16discard_iteratorINSA_11use_defaultEEEEEENSH_IJSG_SG_EEES6_PlJ7is_evenIjEEEE10hipError_tPvRmT3_T4_T5_T6_T7_T9_mT8_P12ihipStream_tbDpT10_ENKUlT_T0_E_clISt17integral_constantIbLb0EES19_EEDaS14_S15_EUlS14_E_NS1_11comp_targetILNS1_3genE8ELNS1_11target_archE1030ELNS1_3gpuE2ELNS1_3repE0EEENS1_30default_config_static_selectorELNS0_4arch9wavefront6targetE1EEEvT1_: ; @_ZN7rocprim17ROCPRIM_400000_NS6detail17trampoline_kernelINS0_14default_configENS1_25partition_config_selectorILNS1_17partition_subalgoE0EjNS0_10empty_typeEbEEZZNS1_14partition_implILS5_0ELb0ES3_jN6thrust23THRUST_200600_302600_NS6detail15normal_iteratorINSA_10device_ptrIjEEEEPS6_SG_NS0_5tupleIJSF_NSA_16discard_iteratorINSA_11use_defaultEEEEEENSH_IJSG_SG_EEES6_PlJ7is_evenIjEEEE10hipError_tPvRmT3_T4_T5_T6_T7_T9_mT8_P12ihipStream_tbDpT10_ENKUlT_T0_E_clISt17integral_constantIbLb0EES19_EEDaS14_S15_EUlS14_E_NS1_11comp_targetILNS1_3genE8ELNS1_11target_archE1030ELNS1_3gpuE2ELNS1_3repE0EEENS1_30default_config_static_selectorELNS0_4arch9wavefront6targetE1EEEvT1_
; %bb.0:
	.section	.rodata,"a",@progbits
	.p2align	6, 0x0
	.amdhsa_kernel _ZN7rocprim17ROCPRIM_400000_NS6detail17trampoline_kernelINS0_14default_configENS1_25partition_config_selectorILNS1_17partition_subalgoE0EjNS0_10empty_typeEbEEZZNS1_14partition_implILS5_0ELb0ES3_jN6thrust23THRUST_200600_302600_NS6detail15normal_iteratorINSA_10device_ptrIjEEEEPS6_SG_NS0_5tupleIJSF_NSA_16discard_iteratorINSA_11use_defaultEEEEEENSH_IJSG_SG_EEES6_PlJ7is_evenIjEEEE10hipError_tPvRmT3_T4_T5_T6_T7_T9_mT8_P12ihipStream_tbDpT10_ENKUlT_T0_E_clISt17integral_constantIbLb0EES19_EEDaS14_S15_EUlS14_E_NS1_11comp_targetILNS1_3genE8ELNS1_11target_archE1030ELNS1_3gpuE2ELNS1_3repE0EEENS1_30default_config_static_selectorELNS0_4arch9wavefront6targetE1EEEvT1_
		.amdhsa_group_segment_fixed_size 0
		.amdhsa_private_segment_fixed_size 0
		.amdhsa_kernarg_size 128
		.amdhsa_user_sgpr_count 2
		.amdhsa_user_sgpr_dispatch_ptr 0
		.amdhsa_user_sgpr_queue_ptr 0
		.amdhsa_user_sgpr_kernarg_segment_ptr 1
		.amdhsa_user_sgpr_dispatch_id 0
		.amdhsa_user_sgpr_kernarg_preload_length 0
		.amdhsa_user_sgpr_kernarg_preload_offset 0
		.amdhsa_user_sgpr_private_segment_size 0
		.amdhsa_uses_dynamic_stack 0
		.amdhsa_enable_private_segment 0
		.amdhsa_system_sgpr_workgroup_id_x 1
		.amdhsa_system_sgpr_workgroup_id_y 0
		.amdhsa_system_sgpr_workgroup_id_z 0
		.amdhsa_system_sgpr_workgroup_info 0
		.amdhsa_system_vgpr_workitem_id 0
		.amdhsa_next_free_vgpr 1
		.amdhsa_next_free_sgpr 0
		.amdhsa_accum_offset 4
		.amdhsa_reserve_vcc 0
		.amdhsa_float_round_mode_32 0
		.amdhsa_float_round_mode_16_64 0
		.amdhsa_float_denorm_mode_32 3
		.amdhsa_float_denorm_mode_16_64 3
		.amdhsa_dx10_clamp 1
		.amdhsa_ieee_mode 1
		.amdhsa_fp16_overflow 0
		.amdhsa_tg_split 0
		.amdhsa_exception_fp_ieee_invalid_op 0
		.amdhsa_exception_fp_denorm_src 0
		.amdhsa_exception_fp_ieee_div_zero 0
		.amdhsa_exception_fp_ieee_overflow 0
		.amdhsa_exception_fp_ieee_underflow 0
		.amdhsa_exception_fp_ieee_inexact 0
		.amdhsa_exception_int_div_zero 0
	.end_amdhsa_kernel
	.section	.text._ZN7rocprim17ROCPRIM_400000_NS6detail17trampoline_kernelINS0_14default_configENS1_25partition_config_selectorILNS1_17partition_subalgoE0EjNS0_10empty_typeEbEEZZNS1_14partition_implILS5_0ELb0ES3_jN6thrust23THRUST_200600_302600_NS6detail15normal_iteratorINSA_10device_ptrIjEEEEPS6_SG_NS0_5tupleIJSF_NSA_16discard_iteratorINSA_11use_defaultEEEEEENSH_IJSG_SG_EEES6_PlJ7is_evenIjEEEE10hipError_tPvRmT3_T4_T5_T6_T7_T9_mT8_P12ihipStream_tbDpT10_ENKUlT_T0_E_clISt17integral_constantIbLb0EES19_EEDaS14_S15_EUlS14_E_NS1_11comp_targetILNS1_3genE8ELNS1_11target_archE1030ELNS1_3gpuE2ELNS1_3repE0EEENS1_30default_config_static_selectorELNS0_4arch9wavefront6targetE1EEEvT1_,"axG",@progbits,_ZN7rocprim17ROCPRIM_400000_NS6detail17trampoline_kernelINS0_14default_configENS1_25partition_config_selectorILNS1_17partition_subalgoE0EjNS0_10empty_typeEbEEZZNS1_14partition_implILS5_0ELb0ES3_jN6thrust23THRUST_200600_302600_NS6detail15normal_iteratorINSA_10device_ptrIjEEEEPS6_SG_NS0_5tupleIJSF_NSA_16discard_iteratorINSA_11use_defaultEEEEEENSH_IJSG_SG_EEES6_PlJ7is_evenIjEEEE10hipError_tPvRmT3_T4_T5_T6_T7_T9_mT8_P12ihipStream_tbDpT10_ENKUlT_T0_E_clISt17integral_constantIbLb0EES19_EEDaS14_S15_EUlS14_E_NS1_11comp_targetILNS1_3genE8ELNS1_11target_archE1030ELNS1_3gpuE2ELNS1_3repE0EEENS1_30default_config_static_selectorELNS0_4arch9wavefront6targetE1EEEvT1_,comdat
.Lfunc_end2434:
	.size	_ZN7rocprim17ROCPRIM_400000_NS6detail17trampoline_kernelINS0_14default_configENS1_25partition_config_selectorILNS1_17partition_subalgoE0EjNS0_10empty_typeEbEEZZNS1_14partition_implILS5_0ELb0ES3_jN6thrust23THRUST_200600_302600_NS6detail15normal_iteratorINSA_10device_ptrIjEEEEPS6_SG_NS0_5tupleIJSF_NSA_16discard_iteratorINSA_11use_defaultEEEEEENSH_IJSG_SG_EEES6_PlJ7is_evenIjEEEE10hipError_tPvRmT3_T4_T5_T6_T7_T9_mT8_P12ihipStream_tbDpT10_ENKUlT_T0_E_clISt17integral_constantIbLb0EES19_EEDaS14_S15_EUlS14_E_NS1_11comp_targetILNS1_3genE8ELNS1_11target_archE1030ELNS1_3gpuE2ELNS1_3repE0EEENS1_30default_config_static_selectorELNS0_4arch9wavefront6targetE1EEEvT1_, .Lfunc_end2434-_ZN7rocprim17ROCPRIM_400000_NS6detail17trampoline_kernelINS0_14default_configENS1_25partition_config_selectorILNS1_17partition_subalgoE0EjNS0_10empty_typeEbEEZZNS1_14partition_implILS5_0ELb0ES3_jN6thrust23THRUST_200600_302600_NS6detail15normal_iteratorINSA_10device_ptrIjEEEEPS6_SG_NS0_5tupleIJSF_NSA_16discard_iteratorINSA_11use_defaultEEEEEENSH_IJSG_SG_EEES6_PlJ7is_evenIjEEEE10hipError_tPvRmT3_T4_T5_T6_T7_T9_mT8_P12ihipStream_tbDpT10_ENKUlT_T0_E_clISt17integral_constantIbLb0EES19_EEDaS14_S15_EUlS14_E_NS1_11comp_targetILNS1_3genE8ELNS1_11target_archE1030ELNS1_3gpuE2ELNS1_3repE0EEENS1_30default_config_static_selectorELNS0_4arch9wavefront6targetE1EEEvT1_
                                        ; -- End function
	.section	.AMDGPU.csdata,"",@progbits
; Kernel info:
; codeLenInByte = 0
; NumSgprs: 6
; NumVgprs: 0
; NumAgprs: 0
; TotalNumVgprs: 0
; ScratchSize: 0
; MemoryBound: 0
; FloatMode: 240
; IeeeMode: 1
; LDSByteSize: 0 bytes/workgroup (compile time only)
; SGPRBlocks: 0
; VGPRBlocks: 0
; NumSGPRsForWavesPerEU: 6
; NumVGPRsForWavesPerEU: 1
; AccumOffset: 4
; Occupancy: 8
; WaveLimiterHint : 0
; COMPUTE_PGM_RSRC2:SCRATCH_EN: 0
; COMPUTE_PGM_RSRC2:USER_SGPR: 2
; COMPUTE_PGM_RSRC2:TRAP_HANDLER: 0
; COMPUTE_PGM_RSRC2:TGID_X_EN: 1
; COMPUTE_PGM_RSRC2:TGID_Y_EN: 0
; COMPUTE_PGM_RSRC2:TGID_Z_EN: 0
; COMPUTE_PGM_RSRC2:TIDIG_COMP_CNT: 0
; COMPUTE_PGM_RSRC3_GFX90A:ACCUM_OFFSET: 0
; COMPUTE_PGM_RSRC3_GFX90A:TG_SPLIT: 0
	.section	.text._ZN7rocprim17ROCPRIM_400000_NS6detail17trampoline_kernelINS0_14default_configENS1_25partition_config_selectorILNS1_17partition_subalgoE0EjNS0_10empty_typeEbEEZZNS1_14partition_implILS5_0ELb0ES3_jN6thrust23THRUST_200600_302600_NS6detail15normal_iteratorINSA_10device_ptrIjEEEEPS6_SG_NS0_5tupleIJSF_NSA_16discard_iteratorINSA_11use_defaultEEEEEENSH_IJSG_SG_EEES6_PlJ7is_evenIjEEEE10hipError_tPvRmT3_T4_T5_T6_T7_T9_mT8_P12ihipStream_tbDpT10_ENKUlT_T0_E_clISt17integral_constantIbLb1EES19_EEDaS14_S15_EUlS14_E_NS1_11comp_targetILNS1_3genE0ELNS1_11target_archE4294967295ELNS1_3gpuE0ELNS1_3repE0EEENS1_30default_config_static_selectorELNS0_4arch9wavefront6targetE1EEEvT1_,"axG",@progbits,_ZN7rocprim17ROCPRIM_400000_NS6detail17trampoline_kernelINS0_14default_configENS1_25partition_config_selectorILNS1_17partition_subalgoE0EjNS0_10empty_typeEbEEZZNS1_14partition_implILS5_0ELb0ES3_jN6thrust23THRUST_200600_302600_NS6detail15normal_iteratorINSA_10device_ptrIjEEEEPS6_SG_NS0_5tupleIJSF_NSA_16discard_iteratorINSA_11use_defaultEEEEEENSH_IJSG_SG_EEES6_PlJ7is_evenIjEEEE10hipError_tPvRmT3_T4_T5_T6_T7_T9_mT8_P12ihipStream_tbDpT10_ENKUlT_T0_E_clISt17integral_constantIbLb1EES19_EEDaS14_S15_EUlS14_E_NS1_11comp_targetILNS1_3genE0ELNS1_11target_archE4294967295ELNS1_3gpuE0ELNS1_3repE0EEENS1_30default_config_static_selectorELNS0_4arch9wavefront6targetE1EEEvT1_,comdat
	.protected	_ZN7rocprim17ROCPRIM_400000_NS6detail17trampoline_kernelINS0_14default_configENS1_25partition_config_selectorILNS1_17partition_subalgoE0EjNS0_10empty_typeEbEEZZNS1_14partition_implILS5_0ELb0ES3_jN6thrust23THRUST_200600_302600_NS6detail15normal_iteratorINSA_10device_ptrIjEEEEPS6_SG_NS0_5tupleIJSF_NSA_16discard_iteratorINSA_11use_defaultEEEEEENSH_IJSG_SG_EEES6_PlJ7is_evenIjEEEE10hipError_tPvRmT3_T4_T5_T6_T7_T9_mT8_P12ihipStream_tbDpT10_ENKUlT_T0_E_clISt17integral_constantIbLb1EES19_EEDaS14_S15_EUlS14_E_NS1_11comp_targetILNS1_3genE0ELNS1_11target_archE4294967295ELNS1_3gpuE0ELNS1_3repE0EEENS1_30default_config_static_selectorELNS0_4arch9wavefront6targetE1EEEvT1_ ; -- Begin function _ZN7rocprim17ROCPRIM_400000_NS6detail17trampoline_kernelINS0_14default_configENS1_25partition_config_selectorILNS1_17partition_subalgoE0EjNS0_10empty_typeEbEEZZNS1_14partition_implILS5_0ELb0ES3_jN6thrust23THRUST_200600_302600_NS6detail15normal_iteratorINSA_10device_ptrIjEEEEPS6_SG_NS0_5tupleIJSF_NSA_16discard_iteratorINSA_11use_defaultEEEEEENSH_IJSG_SG_EEES6_PlJ7is_evenIjEEEE10hipError_tPvRmT3_T4_T5_T6_T7_T9_mT8_P12ihipStream_tbDpT10_ENKUlT_T0_E_clISt17integral_constantIbLb1EES19_EEDaS14_S15_EUlS14_E_NS1_11comp_targetILNS1_3genE0ELNS1_11target_archE4294967295ELNS1_3gpuE0ELNS1_3repE0EEENS1_30default_config_static_selectorELNS0_4arch9wavefront6targetE1EEEvT1_
	.globl	_ZN7rocprim17ROCPRIM_400000_NS6detail17trampoline_kernelINS0_14default_configENS1_25partition_config_selectorILNS1_17partition_subalgoE0EjNS0_10empty_typeEbEEZZNS1_14partition_implILS5_0ELb0ES3_jN6thrust23THRUST_200600_302600_NS6detail15normal_iteratorINSA_10device_ptrIjEEEEPS6_SG_NS0_5tupleIJSF_NSA_16discard_iteratorINSA_11use_defaultEEEEEENSH_IJSG_SG_EEES6_PlJ7is_evenIjEEEE10hipError_tPvRmT3_T4_T5_T6_T7_T9_mT8_P12ihipStream_tbDpT10_ENKUlT_T0_E_clISt17integral_constantIbLb1EES19_EEDaS14_S15_EUlS14_E_NS1_11comp_targetILNS1_3genE0ELNS1_11target_archE4294967295ELNS1_3gpuE0ELNS1_3repE0EEENS1_30default_config_static_selectorELNS0_4arch9wavefront6targetE1EEEvT1_
	.p2align	8
	.type	_ZN7rocprim17ROCPRIM_400000_NS6detail17trampoline_kernelINS0_14default_configENS1_25partition_config_selectorILNS1_17partition_subalgoE0EjNS0_10empty_typeEbEEZZNS1_14partition_implILS5_0ELb0ES3_jN6thrust23THRUST_200600_302600_NS6detail15normal_iteratorINSA_10device_ptrIjEEEEPS6_SG_NS0_5tupleIJSF_NSA_16discard_iteratorINSA_11use_defaultEEEEEENSH_IJSG_SG_EEES6_PlJ7is_evenIjEEEE10hipError_tPvRmT3_T4_T5_T6_T7_T9_mT8_P12ihipStream_tbDpT10_ENKUlT_T0_E_clISt17integral_constantIbLb1EES19_EEDaS14_S15_EUlS14_E_NS1_11comp_targetILNS1_3genE0ELNS1_11target_archE4294967295ELNS1_3gpuE0ELNS1_3repE0EEENS1_30default_config_static_selectorELNS0_4arch9wavefront6targetE1EEEvT1_,@function
_ZN7rocprim17ROCPRIM_400000_NS6detail17trampoline_kernelINS0_14default_configENS1_25partition_config_selectorILNS1_17partition_subalgoE0EjNS0_10empty_typeEbEEZZNS1_14partition_implILS5_0ELb0ES3_jN6thrust23THRUST_200600_302600_NS6detail15normal_iteratorINSA_10device_ptrIjEEEEPS6_SG_NS0_5tupleIJSF_NSA_16discard_iteratorINSA_11use_defaultEEEEEENSH_IJSG_SG_EEES6_PlJ7is_evenIjEEEE10hipError_tPvRmT3_T4_T5_T6_T7_T9_mT8_P12ihipStream_tbDpT10_ENKUlT_T0_E_clISt17integral_constantIbLb1EES19_EEDaS14_S15_EUlS14_E_NS1_11comp_targetILNS1_3genE0ELNS1_11target_archE4294967295ELNS1_3gpuE0ELNS1_3repE0EEENS1_30default_config_static_selectorELNS0_4arch9wavefront6targetE1EEEvT1_: ; @_ZN7rocprim17ROCPRIM_400000_NS6detail17trampoline_kernelINS0_14default_configENS1_25partition_config_selectorILNS1_17partition_subalgoE0EjNS0_10empty_typeEbEEZZNS1_14partition_implILS5_0ELb0ES3_jN6thrust23THRUST_200600_302600_NS6detail15normal_iteratorINSA_10device_ptrIjEEEEPS6_SG_NS0_5tupleIJSF_NSA_16discard_iteratorINSA_11use_defaultEEEEEENSH_IJSG_SG_EEES6_PlJ7is_evenIjEEEE10hipError_tPvRmT3_T4_T5_T6_T7_T9_mT8_P12ihipStream_tbDpT10_ENKUlT_T0_E_clISt17integral_constantIbLb1EES19_EEDaS14_S15_EUlS14_E_NS1_11comp_targetILNS1_3genE0ELNS1_11target_archE4294967295ELNS1_3gpuE0ELNS1_3repE0EEENS1_30default_config_static_selectorELNS0_4arch9wavefront6targetE1EEEvT1_
; %bb.0:
	.section	.rodata,"a",@progbits
	.p2align	6, 0x0
	.amdhsa_kernel _ZN7rocprim17ROCPRIM_400000_NS6detail17trampoline_kernelINS0_14default_configENS1_25partition_config_selectorILNS1_17partition_subalgoE0EjNS0_10empty_typeEbEEZZNS1_14partition_implILS5_0ELb0ES3_jN6thrust23THRUST_200600_302600_NS6detail15normal_iteratorINSA_10device_ptrIjEEEEPS6_SG_NS0_5tupleIJSF_NSA_16discard_iteratorINSA_11use_defaultEEEEEENSH_IJSG_SG_EEES6_PlJ7is_evenIjEEEE10hipError_tPvRmT3_T4_T5_T6_T7_T9_mT8_P12ihipStream_tbDpT10_ENKUlT_T0_E_clISt17integral_constantIbLb1EES19_EEDaS14_S15_EUlS14_E_NS1_11comp_targetILNS1_3genE0ELNS1_11target_archE4294967295ELNS1_3gpuE0ELNS1_3repE0EEENS1_30default_config_static_selectorELNS0_4arch9wavefront6targetE1EEEvT1_
		.amdhsa_group_segment_fixed_size 0
		.amdhsa_private_segment_fixed_size 0
		.amdhsa_kernarg_size 144
		.amdhsa_user_sgpr_count 2
		.amdhsa_user_sgpr_dispatch_ptr 0
		.amdhsa_user_sgpr_queue_ptr 0
		.amdhsa_user_sgpr_kernarg_segment_ptr 1
		.amdhsa_user_sgpr_dispatch_id 0
		.amdhsa_user_sgpr_kernarg_preload_length 0
		.amdhsa_user_sgpr_kernarg_preload_offset 0
		.amdhsa_user_sgpr_private_segment_size 0
		.amdhsa_uses_dynamic_stack 0
		.amdhsa_enable_private_segment 0
		.amdhsa_system_sgpr_workgroup_id_x 1
		.amdhsa_system_sgpr_workgroup_id_y 0
		.amdhsa_system_sgpr_workgroup_id_z 0
		.amdhsa_system_sgpr_workgroup_info 0
		.amdhsa_system_vgpr_workitem_id 0
		.amdhsa_next_free_vgpr 1
		.amdhsa_next_free_sgpr 0
		.amdhsa_accum_offset 4
		.amdhsa_reserve_vcc 0
		.amdhsa_float_round_mode_32 0
		.amdhsa_float_round_mode_16_64 0
		.amdhsa_float_denorm_mode_32 3
		.amdhsa_float_denorm_mode_16_64 3
		.amdhsa_dx10_clamp 1
		.amdhsa_ieee_mode 1
		.amdhsa_fp16_overflow 0
		.amdhsa_tg_split 0
		.amdhsa_exception_fp_ieee_invalid_op 0
		.amdhsa_exception_fp_denorm_src 0
		.amdhsa_exception_fp_ieee_div_zero 0
		.amdhsa_exception_fp_ieee_overflow 0
		.amdhsa_exception_fp_ieee_underflow 0
		.amdhsa_exception_fp_ieee_inexact 0
		.amdhsa_exception_int_div_zero 0
	.end_amdhsa_kernel
	.section	.text._ZN7rocprim17ROCPRIM_400000_NS6detail17trampoline_kernelINS0_14default_configENS1_25partition_config_selectorILNS1_17partition_subalgoE0EjNS0_10empty_typeEbEEZZNS1_14partition_implILS5_0ELb0ES3_jN6thrust23THRUST_200600_302600_NS6detail15normal_iteratorINSA_10device_ptrIjEEEEPS6_SG_NS0_5tupleIJSF_NSA_16discard_iteratorINSA_11use_defaultEEEEEENSH_IJSG_SG_EEES6_PlJ7is_evenIjEEEE10hipError_tPvRmT3_T4_T5_T6_T7_T9_mT8_P12ihipStream_tbDpT10_ENKUlT_T0_E_clISt17integral_constantIbLb1EES19_EEDaS14_S15_EUlS14_E_NS1_11comp_targetILNS1_3genE0ELNS1_11target_archE4294967295ELNS1_3gpuE0ELNS1_3repE0EEENS1_30default_config_static_selectorELNS0_4arch9wavefront6targetE1EEEvT1_,"axG",@progbits,_ZN7rocprim17ROCPRIM_400000_NS6detail17trampoline_kernelINS0_14default_configENS1_25partition_config_selectorILNS1_17partition_subalgoE0EjNS0_10empty_typeEbEEZZNS1_14partition_implILS5_0ELb0ES3_jN6thrust23THRUST_200600_302600_NS6detail15normal_iteratorINSA_10device_ptrIjEEEEPS6_SG_NS0_5tupleIJSF_NSA_16discard_iteratorINSA_11use_defaultEEEEEENSH_IJSG_SG_EEES6_PlJ7is_evenIjEEEE10hipError_tPvRmT3_T4_T5_T6_T7_T9_mT8_P12ihipStream_tbDpT10_ENKUlT_T0_E_clISt17integral_constantIbLb1EES19_EEDaS14_S15_EUlS14_E_NS1_11comp_targetILNS1_3genE0ELNS1_11target_archE4294967295ELNS1_3gpuE0ELNS1_3repE0EEENS1_30default_config_static_selectorELNS0_4arch9wavefront6targetE1EEEvT1_,comdat
.Lfunc_end2435:
	.size	_ZN7rocprim17ROCPRIM_400000_NS6detail17trampoline_kernelINS0_14default_configENS1_25partition_config_selectorILNS1_17partition_subalgoE0EjNS0_10empty_typeEbEEZZNS1_14partition_implILS5_0ELb0ES3_jN6thrust23THRUST_200600_302600_NS6detail15normal_iteratorINSA_10device_ptrIjEEEEPS6_SG_NS0_5tupleIJSF_NSA_16discard_iteratorINSA_11use_defaultEEEEEENSH_IJSG_SG_EEES6_PlJ7is_evenIjEEEE10hipError_tPvRmT3_T4_T5_T6_T7_T9_mT8_P12ihipStream_tbDpT10_ENKUlT_T0_E_clISt17integral_constantIbLb1EES19_EEDaS14_S15_EUlS14_E_NS1_11comp_targetILNS1_3genE0ELNS1_11target_archE4294967295ELNS1_3gpuE0ELNS1_3repE0EEENS1_30default_config_static_selectorELNS0_4arch9wavefront6targetE1EEEvT1_, .Lfunc_end2435-_ZN7rocprim17ROCPRIM_400000_NS6detail17trampoline_kernelINS0_14default_configENS1_25partition_config_selectorILNS1_17partition_subalgoE0EjNS0_10empty_typeEbEEZZNS1_14partition_implILS5_0ELb0ES3_jN6thrust23THRUST_200600_302600_NS6detail15normal_iteratorINSA_10device_ptrIjEEEEPS6_SG_NS0_5tupleIJSF_NSA_16discard_iteratorINSA_11use_defaultEEEEEENSH_IJSG_SG_EEES6_PlJ7is_evenIjEEEE10hipError_tPvRmT3_T4_T5_T6_T7_T9_mT8_P12ihipStream_tbDpT10_ENKUlT_T0_E_clISt17integral_constantIbLb1EES19_EEDaS14_S15_EUlS14_E_NS1_11comp_targetILNS1_3genE0ELNS1_11target_archE4294967295ELNS1_3gpuE0ELNS1_3repE0EEENS1_30default_config_static_selectorELNS0_4arch9wavefront6targetE1EEEvT1_
                                        ; -- End function
	.section	.AMDGPU.csdata,"",@progbits
; Kernel info:
; codeLenInByte = 0
; NumSgprs: 6
; NumVgprs: 0
; NumAgprs: 0
; TotalNumVgprs: 0
; ScratchSize: 0
; MemoryBound: 0
; FloatMode: 240
; IeeeMode: 1
; LDSByteSize: 0 bytes/workgroup (compile time only)
; SGPRBlocks: 0
; VGPRBlocks: 0
; NumSGPRsForWavesPerEU: 6
; NumVGPRsForWavesPerEU: 1
; AccumOffset: 4
; Occupancy: 8
; WaveLimiterHint : 0
; COMPUTE_PGM_RSRC2:SCRATCH_EN: 0
; COMPUTE_PGM_RSRC2:USER_SGPR: 2
; COMPUTE_PGM_RSRC2:TRAP_HANDLER: 0
; COMPUTE_PGM_RSRC2:TGID_X_EN: 1
; COMPUTE_PGM_RSRC2:TGID_Y_EN: 0
; COMPUTE_PGM_RSRC2:TGID_Z_EN: 0
; COMPUTE_PGM_RSRC2:TIDIG_COMP_CNT: 0
; COMPUTE_PGM_RSRC3_GFX90A:ACCUM_OFFSET: 0
; COMPUTE_PGM_RSRC3_GFX90A:TG_SPLIT: 0
	.section	.text._ZN7rocprim17ROCPRIM_400000_NS6detail17trampoline_kernelINS0_14default_configENS1_25partition_config_selectorILNS1_17partition_subalgoE0EjNS0_10empty_typeEbEEZZNS1_14partition_implILS5_0ELb0ES3_jN6thrust23THRUST_200600_302600_NS6detail15normal_iteratorINSA_10device_ptrIjEEEEPS6_SG_NS0_5tupleIJSF_NSA_16discard_iteratorINSA_11use_defaultEEEEEENSH_IJSG_SG_EEES6_PlJ7is_evenIjEEEE10hipError_tPvRmT3_T4_T5_T6_T7_T9_mT8_P12ihipStream_tbDpT10_ENKUlT_T0_E_clISt17integral_constantIbLb1EES19_EEDaS14_S15_EUlS14_E_NS1_11comp_targetILNS1_3genE5ELNS1_11target_archE942ELNS1_3gpuE9ELNS1_3repE0EEENS1_30default_config_static_selectorELNS0_4arch9wavefront6targetE1EEEvT1_,"axG",@progbits,_ZN7rocprim17ROCPRIM_400000_NS6detail17trampoline_kernelINS0_14default_configENS1_25partition_config_selectorILNS1_17partition_subalgoE0EjNS0_10empty_typeEbEEZZNS1_14partition_implILS5_0ELb0ES3_jN6thrust23THRUST_200600_302600_NS6detail15normal_iteratorINSA_10device_ptrIjEEEEPS6_SG_NS0_5tupleIJSF_NSA_16discard_iteratorINSA_11use_defaultEEEEEENSH_IJSG_SG_EEES6_PlJ7is_evenIjEEEE10hipError_tPvRmT3_T4_T5_T6_T7_T9_mT8_P12ihipStream_tbDpT10_ENKUlT_T0_E_clISt17integral_constantIbLb1EES19_EEDaS14_S15_EUlS14_E_NS1_11comp_targetILNS1_3genE5ELNS1_11target_archE942ELNS1_3gpuE9ELNS1_3repE0EEENS1_30default_config_static_selectorELNS0_4arch9wavefront6targetE1EEEvT1_,comdat
	.protected	_ZN7rocprim17ROCPRIM_400000_NS6detail17trampoline_kernelINS0_14default_configENS1_25partition_config_selectorILNS1_17partition_subalgoE0EjNS0_10empty_typeEbEEZZNS1_14partition_implILS5_0ELb0ES3_jN6thrust23THRUST_200600_302600_NS6detail15normal_iteratorINSA_10device_ptrIjEEEEPS6_SG_NS0_5tupleIJSF_NSA_16discard_iteratorINSA_11use_defaultEEEEEENSH_IJSG_SG_EEES6_PlJ7is_evenIjEEEE10hipError_tPvRmT3_T4_T5_T6_T7_T9_mT8_P12ihipStream_tbDpT10_ENKUlT_T0_E_clISt17integral_constantIbLb1EES19_EEDaS14_S15_EUlS14_E_NS1_11comp_targetILNS1_3genE5ELNS1_11target_archE942ELNS1_3gpuE9ELNS1_3repE0EEENS1_30default_config_static_selectorELNS0_4arch9wavefront6targetE1EEEvT1_ ; -- Begin function _ZN7rocprim17ROCPRIM_400000_NS6detail17trampoline_kernelINS0_14default_configENS1_25partition_config_selectorILNS1_17partition_subalgoE0EjNS0_10empty_typeEbEEZZNS1_14partition_implILS5_0ELb0ES3_jN6thrust23THRUST_200600_302600_NS6detail15normal_iteratorINSA_10device_ptrIjEEEEPS6_SG_NS0_5tupleIJSF_NSA_16discard_iteratorINSA_11use_defaultEEEEEENSH_IJSG_SG_EEES6_PlJ7is_evenIjEEEE10hipError_tPvRmT3_T4_T5_T6_T7_T9_mT8_P12ihipStream_tbDpT10_ENKUlT_T0_E_clISt17integral_constantIbLb1EES19_EEDaS14_S15_EUlS14_E_NS1_11comp_targetILNS1_3genE5ELNS1_11target_archE942ELNS1_3gpuE9ELNS1_3repE0EEENS1_30default_config_static_selectorELNS0_4arch9wavefront6targetE1EEEvT1_
	.globl	_ZN7rocprim17ROCPRIM_400000_NS6detail17trampoline_kernelINS0_14default_configENS1_25partition_config_selectorILNS1_17partition_subalgoE0EjNS0_10empty_typeEbEEZZNS1_14partition_implILS5_0ELb0ES3_jN6thrust23THRUST_200600_302600_NS6detail15normal_iteratorINSA_10device_ptrIjEEEEPS6_SG_NS0_5tupleIJSF_NSA_16discard_iteratorINSA_11use_defaultEEEEEENSH_IJSG_SG_EEES6_PlJ7is_evenIjEEEE10hipError_tPvRmT3_T4_T5_T6_T7_T9_mT8_P12ihipStream_tbDpT10_ENKUlT_T0_E_clISt17integral_constantIbLb1EES19_EEDaS14_S15_EUlS14_E_NS1_11comp_targetILNS1_3genE5ELNS1_11target_archE942ELNS1_3gpuE9ELNS1_3repE0EEENS1_30default_config_static_selectorELNS0_4arch9wavefront6targetE1EEEvT1_
	.p2align	8
	.type	_ZN7rocprim17ROCPRIM_400000_NS6detail17trampoline_kernelINS0_14default_configENS1_25partition_config_selectorILNS1_17partition_subalgoE0EjNS0_10empty_typeEbEEZZNS1_14partition_implILS5_0ELb0ES3_jN6thrust23THRUST_200600_302600_NS6detail15normal_iteratorINSA_10device_ptrIjEEEEPS6_SG_NS0_5tupleIJSF_NSA_16discard_iteratorINSA_11use_defaultEEEEEENSH_IJSG_SG_EEES6_PlJ7is_evenIjEEEE10hipError_tPvRmT3_T4_T5_T6_T7_T9_mT8_P12ihipStream_tbDpT10_ENKUlT_T0_E_clISt17integral_constantIbLb1EES19_EEDaS14_S15_EUlS14_E_NS1_11comp_targetILNS1_3genE5ELNS1_11target_archE942ELNS1_3gpuE9ELNS1_3repE0EEENS1_30default_config_static_selectorELNS0_4arch9wavefront6targetE1EEEvT1_,@function
_ZN7rocprim17ROCPRIM_400000_NS6detail17trampoline_kernelINS0_14default_configENS1_25partition_config_selectorILNS1_17partition_subalgoE0EjNS0_10empty_typeEbEEZZNS1_14partition_implILS5_0ELb0ES3_jN6thrust23THRUST_200600_302600_NS6detail15normal_iteratorINSA_10device_ptrIjEEEEPS6_SG_NS0_5tupleIJSF_NSA_16discard_iteratorINSA_11use_defaultEEEEEENSH_IJSG_SG_EEES6_PlJ7is_evenIjEEEE10hipError_tPvRmT3_T4_T5_T6_T7_T9_mT8_P12ihipStream_tbDpT10_ENKUlT_T0_E_clISt17integral_constantIbLb1EES19_EEDaS14_S15_EUlS14_E_NS1_11comp_targetILNS1_3genE5ELNS1_11target_archE942ELNS1_3gpuE9ELNS1_3repE0EEENS1_30default_config_static_selectorELNS0_4arch9wavefront6targetE1EEEvT1_: ; @_ZN7rocprim17ROCPRIM_400000_NS6detail17trampoline_kernelINS0_14default_configENS1_25partition_config_selectorILNS1_17partition_subalgoE0EjNS0_10empty_typeEbEEZZNS1_14partition_implILS5_0ELb0ES3_jN6thrust23THRUST_200600_302600_NS6detail15normal_iteratorINSA_10device_ptrIjEEEEPS6_SG_NS0_5tupleIJSF_NSA_16discard_iteratorINSA_11use_defaultEEEEEENSH_IJSG_SG_EEES6_PlJ7is_evenIjEEEE10hipError_tPvRmT3_T4_T5_T6_T7_T9_mT8_P12ihipStream_tbDpT10_ENKUlT_T0_E_clISt17integral_constantIbLb1EES19_EEDaS14_S15_EUlS14_E_NS1_11comp_targetILNS1_3genE5ELNS1_11target_archE942ELNS1_3gpuE9ELNS1_3repE0EEENS1_30default_config_static_selectorELNS0_4arch9wavefront6targetE1EEEvT1_
; %bb.0:
	s_load_dwordx2 s[2:3], s[0:1], 0x60
	s_load_dwordx4 s[24:27], s[0:1], 0x50
	s_load_dwordx2 s[30:31], s[0:1], 0x70
	v_cmp_eq_u32_e64 s[20:21], 0, v0
	s_and_saveexec_b64 s[4:5], s[20:21]
	s_cbranch_execz .LBB2436_4
; %bb.1:
	s_mov_b64 s[8:9], exec
	v_mbcnt_lo_u32_b32 v1, s8, 0
	v_mbcnt_hi_u32_b32 v1, s9, v1
	v_cmp_eq_u32_e32 vcc, 0, v1
                                        ; implicit-def: $vgpr2
	s_and_saveexec_b64 s[6:7], vcc
	s_cbranch_execz .LBB2436_3
; %bb.2:
	s_load_dwordx2 s[10:11], s[0:1], 0x80
	s_bcnt1_i32_b64 s8, s[8:9]
	v_mov_b32_e32 v2, 0
	v_mov_b32_e32 v3, s8
	s_waitcnt lgkmcnt(0)
	global_atomic_add v2, v2, v3, s[10:11] sc0
.LBB2436_3:
	s_or_b64 exec, exec, s[6:7]
	s_waitcnt vmcnt(0)
	v_readfirstlane_b32 s6, v2
	v_mov_b32_e32 v2, 0
	s_nop 0
	v_add_u32_e32 v1, s6, v1
	ds_write_b32 v2, v1
.LBB2436_4:
	s_or_b64 exec, exec, s[4:5]
	v_mov_b32_e32 v21, 0
	s_load_dwordx4 s[4:7], s[0:1], 0x8
	s_load_dwordx2 s[28:29], s[0:1], 0x28
	s_load_dword s8, s[0:1], 0x78
	s_waitcnt lgkmcnt(0)
	s_barrier
	ds_read_b32 v1, v21
	s_waitcnt lgkmcnt(0)
	s_barrier
	global_load_dwordx2 v[18:19], v21, s[26:27]
	s_lshl_b64 s[0:1], s[6:7], 2
	s_add_u32 s4, s4, s0
	s_movk_i32 s0, 0x1e00
	v_mul_lo_u32 v20, v1, s0
	s_mul_i32 s0, s8, 0x1e00
	s_addc_u32 s5, s5, s1
	s_add_i32 s1, s0, s6
	v_mov_b32_e32 v3, s3
	s_add_i32 s3, s8, -1
	s_sub_i32 s33, s2, s1
	s_add_u32 s0, s6, s0
	v_readfirstlane_b32 s36, v1
	s_addc_u32 s1, s7, 0
	s_cmp_eq_u32 s36, s3
	v_mov_b32_e32 v2, s2
	s_cselect_b64 s[22:23], -1, 0
	s_cmp_lg_u32 s36, s3
	v_cmp_lt_u64_e32 vcc, s[0:1], v[2:3]
	s_cselect_b64 s[0:1], -1, 0
	s_or_b64 s[0:1], vcc, s[0:1]
	v_lshlrev_b64 v[2:3], 2, v[20:21]
	v_lshl_add_u64 v[22:23], s[4:5], 0, v[2:3]
	s_mov_b64 s[2:3], -1
	s_and_b64 vcc, exec, s[0:1]
	v_lshlrev_b32_e32 v20, 2, v0
	s_cbranch_vccz .LBB2436_6
; %bb.5:
	v_lshl_add_u64 v[2:3], v[22:23], 0, v[20:21]
	v_add_co_u32_e32 v4, vcc, 0x1000, v2
	s_mov_b64 s[2:3], 0
	s_nop 0
	v_addc_co_u32_e32 v5, vcc, 0, v3, vcc
	v_add_co_u32_e32 v6, vcc, 0x2000, v2
	s_nop 1
	v_addc_co_u32_e32 v7, vcc, 0, v3, vcc
	v_add_co_u32_e32 v8, vcc, 0x3000, v2
	s_nop 1
	v_addc_co_u32_e32 v9, vcc, 0, v3, vcc
	flat_load_dword v1, v[2:3]
	flat_load_dword v10, v[2:3] offset:2048
	flat_load_dword v11, v[4:5]
	flat_load_dword v12, v[4:5] offset:2048
	;; [unrolled: 2-line block ×4, first 2 shown]
	v_add_co_u32_e32 v4, vcc, 0x4000, v2
	s_nop 1
	v_addc_co_u32_e32 v5, vcc, 0, v3, vcc
	v_add_co_u32_e32 v6, vcc, 0x5000, v2
	s_nop 1
	v_addc_co_u32_e32 v7, vcc, 0, v3, vcc
	;; [unrolled: 3-line block ×4, first 2 shown]
	flat_load_dword v17, v[4:5]
	flat_load_dword v21, v[4:5] offset:2048
	flat_load_dword v24, v[6:7]
	flat_load_dword v25, v[6:7] offset:2048
	flat_load_dword v26, v[8:9]
	flat_load_dword v27, v[8:9] offset:2048
	flat_load_dword v28, v[2:3]
	s_waitcnt vmcnt(0) lgkmcnt(0)
	ds_write2st64_b32 v20, v1, v10 offset1:8
	ds_write2st64_b32 v20, v11, v12 offset0:16 offset1:24
	ds_write2st64_b32 v20, v13, v14 offset0:32 offset1:40
	ds_write2st64_b32 v20, v15, v16 offset0:48 offset1:56
	ds_write2st64_b32 v20, v17, v21 offset0:64 offset1:72
	ds_write2st64_b32 v20, v24, v25 offset0:80 offset1:88
	ds_write2st64_b32 v20, v26, v27 offset0:96 offset1:104
	ds_write_b32 v20, v28 offset:28672
	s_waitcnt lgkmcnt(0)
	s_barrier
.LBB2436_6:
	s_andn2_b64 vcc, exec, s[2:3]
	s_addk_i32 s33, 0x1e00
	s_cbranch_vccnz .LBB2436_38
; %bb.7:
	v_cmp_gt_u32_e32 vcc, s33, v0
                                        ; implicit-def: $vgpr2_vgpr3_vgpr4_vgpr5_vgpr6_vgpr7_vgpr8_vgpr9_vgpr10_vgpr11_vgpr12_vgpr13_vgpr14_vgpr15_vgpr16_vgpr17
	s_and_saveexec_b64 s[2:3], vcc
	s_cbranch_execz .LBB2436_9
; %bb.8:
	v_mov_b32_e32 v21, 0
	v_lshl_add_u64 v[2:3], v[22:23], 0, v[20:21]
	flat_load_dword v2, v[2:3]
.LBB2436_9:
	s_or_b64 exec, exec, s[2:3]
	v_or_b32_e32 v1, 0x200, v0
	v_cmp_gt_u32_e32 vcc, s33, v1
	s_and_saveexec_b64 s[2:3], vcc
	s_cbranch_execz .LBB2436_11
; %bb.10:
	v_mov_b32_e32 v21, 0
	v_lshl_add_u64 v[24:25], v[22:23], 0, v[20:21]
	flat_load_dword v3, v[24:25] offset:2048
.LBB2436_11:
	s_or_b64 exec, exec, s[2:3]
	v_or_b32_e32 v1, 0x400, v0
	v_cmp_gt_u32_e32 vcc, s33, v1
	s_and_saveexec_b64 s[2:3], vcc
	s_cbranch_execz .LBB2436_13
; %bb.12:
	v_lshlrev_b32_e32 v24, 2, v1
	v_mov_b32_e32 v25, 0
	v_lshl_add_u64 v[24:25], v[22:23], 0, v[24:25]
	flat_load_dword v4, v[24:25]
.LBB2436_13:
	s_or_b64 exec, exec, s[2:3]
	v_or_b32_e32 v1, 0x600, v0
	v_cmp_gt_u32_e32 vcc, s33, v1
	s_and_saveexec_b64 s[2:3], vcc
	s_cbranch_execz .LBB2436_15
; %bb.14:
	v_lshlrev_b32_e32 v24, 2, v1
	v_mov_b32_e32 v25, 0
	v_lshl_add_u64 v[24:25], v[22:23], 0, v[24:25]
	flat_load_dword v5, v[24:25]
.LBB2436_15:
	;; [unrolled: 11-line block ×13, first 2 shown]
	s_or_b64 exec, exec, s[2:3]
	s_waitcnt vmcnt(0) lgkmcnt(0)
	ds_write2st64_b32 v20, v2, v3 offset1:8
	ds_write2st64_b32 v20, v4, v5 offset0:16 offset1:24
	ds_write2st64_b32 v20, v6, v7 offset0:32 offset1:40
	;; [unrolled: 1-line block ×6, first 2 shown]
	ds_write_b32 v20, v16 offset:28672
	s_waitcnt lgkmcnt(0)
	s_barrier
.LBB2436_38:
	v_mul_u32_u24_e32 v40, 15, v0
	v_lshlrev_b32_e32 v1, 2, v40
	ds_read2_b32 v[34:35], v1 offset1:1
	ds_read2_b32 v[32:33], v1 offset0:2 offset1:3
	ds_read2_b32 v[30:31], v1 offset0:4 offset1:5
	;; [unrolled: 1-line block ×6, first 2 shown]
	ds_read_b32 v1, v1 offset:56
	v_cndmask_b32_e64 v2, 0, 1, s[0:1]
	v_cmp_ne_u32_e64 s[2:3], 1, v2
	s_andn2_b64 vcc, exec, s[0:1]
	s_waitcnt lgkmcnt(7)
	v_xor_b32_e32 v16, -1, v34
	v_xor_b32_e32 v15, -1, v35
	s_waitcnt lgkmcnt(6)
	v_xor_b32_e32 v14, -1, v32
	v_xor_b32_e32 v13, -1, v33
	;; [unrolled: 3-line block ×7, first 2 shown]
	s_waitcnt lgkmcnt(0)
	v_xor_b32_e32 v2, -1, v1
	s_barrier
	s_cbranch_vccnz .LBB2436_40
; %bb.39:
	v_and_b32_e32 v53, 1, v16
	v_and_b32_e32 v52, 1, v15
	;; [unrolled: 1-line block ×15, first 2 shown]
	s_cbranch_execz .LBB2436_41
	s_branch .LBB2436_42
.LBB2436_40:
                                        ; implicit-def: $vgpr21
                                        ; implicit-def: $vgpr39
                                        ; implicit-def: $vgpr41
                                        ; implicit-def: $vgpr42
                                        ; implicit-def: $vgpr43
                                        ; implicit-def: $vgpr44
                                        ; implicit-def: $vgpr45
                                        ; implicit-def: $vgpr46
                                        ; implicit-def: $vgpr47
                                        ; implicit-def: $vgpr53
                                        ; implicit-def: $vgpr52
                                        ; implicit-def: $vgpr51
                                        ; implicit-def: $vgpr50
                                        ; implicit-def: $vgpr49
                                        ; implicit-def: $vgpr48
.LBB2436_41:
	v_add_u32_e32 v46, 1, v40
	v_cmp_gt_u32_e32 vcc, s33, v40
	v_add_u32_e32 v17, 2, v40
	v_add_u32_e32 v45, 3, v40
	v_cndmask_b32_e64 v47, 0, 1, vcc
	v_cmp_gt_u32_e32 vcc, s33, v46
	v_and_b32_e32 v53, v47, v16
	v_add_u32_e32 v21, 4, v40
	v_cndmask_b32_e64 v16, 0, 1, vcc
	v_cmp_gt_u32_e32 vcc, s33, v17
	v_and_b32_e32 v52, v16, v15
	;; [unrolled: 4-line block ×12, first 2 shown]
	s_nop 0
	v_cndmask_b32_e64 v5, 0, 1, vcc
	v_cmp_gt_u32_e32 vcc, s33, v55
	v_and_b32_e32 v41, v5, v4
	s_nop 0
	v_cndmask_b32_e64 v4, 0, 1, vcc
	v_cmp_gt_u32_e32 vcc, s33, v54
	v_and_b32_e32 v39, v4, v3
	s_nop 0
	v_cndmask_b32_e64 v3, 0, 1, vcc
	v_and_b32_e32 v21, v3, v2
.LBB2436_42:
	v_and_b32_e32 v57, 0xff, v50
	v_and_b32_e32 v58, 0xff, v49
	;; [unrolled: 1-line block ×5, first 2 shown]
	v_add3_u32 v3, v58, v59, v57
	v_and_b32_e32 v54, 0xff, v53
	v_and_b32_e32 v60, 0xff, v47
	v_add3_u32 v3, v3, v56, v55
	v_and_b32_e32 v61, 0xff, v46
	v_and_b32_e32 v62, 0xff, v45
	;; [unrolled: 3-line block ×5, first 2 shown]
	v_add3_u32 v3, v3, v65, v66
	v_add3_u32 v70, v3, v67, v2
	v_mbcnt_lo_u32_b32 v2, -1, 0
	v_mbcnt_hi_u32_b32 v68, -1, v2
	v_and_b32_e32 v2, 15, v68
	v_cmp_eq_u32_e64 s[16:17], 0, v2
	v_cmp_lt_u32_e64 s[14:15], 1, v2
	v_cmp_lt_u32_e64 s[12:13], 3, v2
	;; [unrolled: 1-line block ×3, first 2 shown]
	v_and_b32_e32 v2, 16, v68
	v_cmp_eq_u32_e64 s[8:9], 0, v2
	v_or_b32_e32 v2, 63, v0
	s_cmp_lg_u32 s36, 0
	v_cmp_lt_u32_e64 s[4:5], 31, v68
	v_lshrrev_b32_e32 v69, 6, v0
	v_cmp_eq_u32_e64 s[6:7], v2, v0
	s_cbranch_scc0 .LBB2436_73
; %bb.43:
	v_mov_b32_dpp v2, v70 row_shr:1 row_mask:0xf bank_mask:0xf
	v_cndmask_b32_e64 v2, v2, 0, s[16:17]
	v_add_u32_e32 v2, v2, v70
	s_nop 1
	v_mov_b32_dpp v3, v2 row_shr:2 row_mask:0xf bank_mask:0xf
	v_cndmask_b32_e64 v3, 0, v3, s[14:15]
	v_add_u32_e32 v2, v2, v3
	s_nop 1
	;; [unrolled: 4-line block ×4, first 2 shown]
	v_mov_b32_dpp v3, v2 row_bcast:15 row_mask:0xf bank_mask:0xf
	v_cndmask_b32_e64 v3, v3, 0, s[8:9]
	v_add_u32_e32 v2, v2, v3
	s_nop 1
	v_mov_b32_dpp v3, v2 row_bcast:31 row_mask:0xf bank_mask:0xf
	v_cndmask_b32_e64 v3, 0, v3, s[4:5]
	v_add_u32_e32 v2, v2, v3
	s_and_saveexec_b64 s[0:1], s[6:7]
	s_cbranch_execz .LBB2436_45
; %bb.44:
	v_lshlrev_b32_e32 v3, 2, v69
	ds_write_b32 v3, v2
.LBB2436_45:
	s_or_b64 exec, exec, s[0:1]
	v_cmp_gt_u32_e32 vcc, 8, v0
	s_waitcnt lgkmcnt(0)
	s_barrier
	s_and_saveexec_b64 s[0:1], vcc
	s_cbranch_execz .LBB2436_47
; %bb.46:
	ds_read_b32 v3, v20
	v_and_b32_e32 v4, 7, v68
	v_cmp_ne_u32_e32 vcc, 0, v4
	s_waitcnt lgkmcnt(0)
	v_mov_b32_dpp v5, v3 row_shr:1 row_mask:0xf bank_mask:0xf
	v_cndmask_b32_e32 v5, 0, v5, vcc
	v_add_u32_e32 v3, v5, v3
	v_cmp_lt_u32_e32 vcc, 1, v4
	s_nop 0
	v_mov_b32_dpp v5, v3 row_shr:2 row_mask:0xf bank_mask:0xf
	v_cndmask_b32_e32 v5, 0, v5, vcc
	v_add_u32_e32 v3, v3, v5
	v_cmp_lt_u32_e32 vcc, 3, v4
	s_nop 0
	v_mov_b32_dpp v5, v3 row_shr:4 row_mask:0xf bank_mask:0xf
	v_cndmask_b32_e32 v4, 0, v5, vcc
	v_add_u32_e32 v3, v3, v4
	ds_write_b32 v20, v3
.LBB2436_47:
	s_or_b64 exec, exec, s[0:1]
	v_cmp_gt_u32_e32 vcc, 64, v0
	v_cmp_lt_u32_e64 s[0:1], 63, v0
	s_waitcnt lgkmcnt(0)
	s_barrier
	s_waitcnt lgkmcnt(0)
                                        ; implicit-def: $vgpr12
	s_and_saveexec_b64 s[18:19], s[0:1]
	s_cbranch_execz .LBB2436_49
; %bb.48:
	v_lshl_add_u32 v3, v69, 2, -4
	ds_read_b32 v12, v3
	s_waitcnt lgkmcnt(0)
	v_add_u32_e32 v2, v12, v2
.LBB2436_49:
	s_or_b64 exec, exec, s[18:19]
	v_add_u32_e32 v3, -1, v68
	v_and_b32_e32 v4, 64, v68
	v_cmp_lt_i32_e64 s[0:1], v3, v4
	v_cmp_eq_u32_e64 s[18:19], 0, v68
	s_nop 0
	v_cndmask_b32_e64 v3, v3, v68, s[0:1]
	v_lshlrev_b32_e32 v3, 2, v3
	ds_bpermute_b32 v13, v3, v2
	s_and_saveexec_b64 s[0:1], vcc
	s_cbranch_execz .LBB2436_72
; %bb.50:
	v_mov_b32_e32 v11, 0
	ds_read_b32 v2, v11 offset:28
	s_and_saveexec_b64 s[26:27], s[18:19]
	s_cbranch_execz .LBB2436_52
; %bb.51:
	s_add_i32 s34, s36, 64
	s_mov_b32 s35, 0
	s_lshl_b64 s[34:35], s[34:35], 3
	s_add_u32 s34, s30, s34
	v_mov_b32_e32 v3, 1
	s_addc_u32 s35, s31, s35
	s_waitcnt lgkmcnt(0)
	global_store_dwordx2 v11, v[2:3], s[34:35] sc1
.LBB2436_52:
	s_or_b64 exec, exec, s[26:27]
	v_xad_u32 v4, v68, -1, s36
	v_add_u32_e32 v10, 64, v4
	v_lshl_add_u64 v[6:7], v[10:11], 3, s[30:31]
	global_load_dwordx2 v[8:9], v[6:7], off sc1
	s_waitcnt vmcnt(0)
	v_cmp_eq_u16_sdwa s[34:35], v9, v11 src0_sel:BYTE_0 src1_sel:DWORD
	s_and_saveexec_b64 s[26:27], s[34:35]
	s_cbranch_execz .LBB2436_58
; %bb.53:
	s_mov_b32 s37, 1
	s_mov_b64 s[34:35], 0
	v_mov_b32_e32 v3, 0
.LBB2436_54:                            ; =>This Loop Header: Depth=1
                                        ;     Child Loop BB2436_55 Depth 2
	s_max_u32 s38, s37, 1
.LBB2436_55:                            ;   Parent Loop BB2436_54 Depth=1
                                        ; =>  This Inner Loop Header: Depth=2
	s_add_i32 s38, s38, -1
	s_cmp_eq_u32 s38, 0
	s_sleep 1
	s_cbranch_scc0 .LBB2436_55
; %bb.56:                               ;   in Loop: Header=BB2436_54 Depth=1
	global_load_dwordx2 v[8:9], v[6:7], off sc1
	s_cmp_lt_u32 s37, 32
	s_cselect_b64 s[38:39], -1, 0
	s_cmp_lg_u64 s[38:39], 0
	s_addc_u32 s37, s37, 0
	s_waitcnt vmcnt(0)
	v_cmp_ne_u16_sdwa s[38:39], v9, v3 src0_sel:BYTE_0 src1_sel:DWORD
	s_or_b64 s[34:35], s[38:39], s[34:35]
	s_andn2_b64 exec, exec, s[34:35]
	s_cbranch_execnz .LBB2436_54
; %bb.57:
	s_or_b64 exec, exec, s[34:35]
.LBB2436_58:
	s_or_b64 exec, exec, s[26:27]
	v_and_b32_e32 v15, 63, v68
	v_mov_b32_e32 v14, 2
	v_cmp_ne_u32_e32 vcc, 63, v15
	v_cmp_eq_u16_sdwa s[26:27], v9, v14 src0_sel:BYTE_0 src1_sel:DWORD
	v_lshlrev_b64 v[6:7], v68, -1
	v_addc_co_u32_e32 v10, vcc, 0, v68, vcc
	v_and_b32_e32 v3, s27, v7
	v_lshlrev_b32_e32 v16, 2, v10
	v_or_b32_e32 v3, 0x80000000, v3
	ds_bpermute_b32 v10, v16, v8
	v_and_b32_e32 v5, s26, v6
	v_ffbl_b32_e32 v3, v3
	v_add_u32_e32 v3, 32, v3
	v_ffbl_b32_e32 v5, v5
	v_min_u32_e32 v3, v5, v3
	v_cmp_lt_u32_e32 vcc, v15, v3
	v_add_u32_e32 v36, 2, v15
	v_add_u32_e32 v38, 4, v15
	s_waitcnt lgkmcnt(0)
	v_cndmask_b32_e32 v5, 0, v10, vcc
	v_cmp_gt_u32_e32 vcc, 62, v15
	v_add_u32_e32 v5, v5, v8
	v_add_u32_e32 v72, 8, v15
	v_cndmask_b32_e64 v8, 0, 1, vcc
	v_lshlrev_b32_e32 v8, 1, v8
	v_add_lshl_u32 v17, v8, v68, 2
	ds_bpermute_b32 v8, v17, v5
	v_cmp_le_u32_e32 vcc, v36, v3
	v_add_u32_e32 v74, 16, v15
	v_add_u32_e32 v76, 32, v15
	s_waitcnt lgkmcnt(0)
	v_cndmask_b32_e32 v8, 0, v8, vcc
	v_cmp_gt_u32_e32 vcc, 60, v15
	v_add_u32_e32 v5, v5, v8
	s_nop 0
	v_cndmask_b32_e64 v8, 0, 1, vcc
	v_lshlrev_b32_e32 v8, 2, v8
	v_add_lshl_u32 v37, v8, v68, 2
	ds_bpermute_b32 v8, v37, v5
	v_cmp_le_u32_e32 vcc, v38, v3
	s_waitcnt lgkmcnt(0)
	s_nop 0
	v_cndmask_b32_e32 v8, 0, v8, vcc
	v_cmp_gt_u32_e32 vcc, 56, v15
	v_add_u32_e32 v5, v5, v8
	s_nop 0
	v_cndmask_b32_e64 v8, 0, 1, vcc
	v_lshlrev_b32_e32 v8, 3, v8
	v_add_lshl_u32 v71, v8, v68, 2
	ds_bpermute_b32 v8, v71, v5
	v_cmp_le_u32_e32 vcc, v72, v3
	s_waitcnt lgkmcnt(0)
	s_nop 0
	;; [unrolled: 11-line block ×4, first 2 shown]
	v_cndmask_b32_e32 v3, 0, v8, vcc
	v_add_u32_e32 v8, v5, v3
	v_mov_b32_e32 v5, 0
	s_branch .LBB2436_60
.LBB2436_59:                            ;   in Loop: Header=BB2436_60 Depth=1
	s_or_b64 exec, exec, s[26:27]
	v_cmp_eq_u16_sdwa s[26:27], v9, v14 src0_sel:BYTE_0 src1_sel:DWORD
	ds_bpermute_b32 v77, v16, v8
	v_subrev_u32_e32 v4, 64, v4
	v_and_b32_e32 v10, s27, v7
	v_or_b32_e32 v10, 0x80000000, v10
	v_and_b32_e32 v11, s26, v6
	v_ffbl_b32_e32 v10, v10
	v_add_u32_e32 v10, 32, v10
	v_ffbl_b32_e32 v11, v11
	v_min_u32_e32 v10, v11, v10
	v_cmp_lt_u32_e32 vcc, v15, v10
	s_waitcnt lgkmcnt(0)
	s_nop 0
	v_cndmask_b32_e32 v11, 0, v77, vcc
	v_add_u32_e32 v8, v11, v8
	ds_bpermute_b32 v11, v17, v8
	v_cmp_le_u32_e32 vcc, v36, v10
	s_waitcnt lgkmcnt(0)
	s_nop 0
	v_cndmask_b32_e32 v11, 0, v11, vcc
	v_add_u32_e32 v8, v8, v11
	ds_bpermute_b32 v11, v37, v8
	v_cmp_le_u32_e32 vcc, v38, v10
	;; [unrolled: 6-line block ×5, first 2 shown]
	s_waitcnt lgkmcnt(0)
	s_nop 0
	v_cndmask_b32_e32 v10, 0, v11, vcc
	v_add3_u32 v8, v10, v3, v8
.LBB2436_60:                            ; =>This Loop Header: Depth=1
                                        ;     Child Loop BB2436_63 Depth 2
                                        ;       Child Loop BB2436_64 Depth 3
	v_cmp_ne_u16_sdwa s[26:27], v9, v14 src0_sel:BYTE_0 src1_sel:DWORD
	s_nop 1
	v_cndmask_b32_e64 v3, 0, 1, s[26:27]
	;;#ASMSTART
	;;#ASMEND
	s_nop 0
	v_cmp_ne_u32_e32 vcc, 0, v3
	s_cmp_lg_u64 vcc, exec
	v_mov_b32_e32 v3, v8
	s_cbranch_scc1 .LBB2436_67
; %bb.61:                               ;   in Loop: Header=BB2436_60 Depth=1
	v_lshl_add_u64 v[10:11], v[4:5], 3, s[30:31]
	global_load_dwordx2 v[8:9], v[10:11], off sc1
	s_waitcnt vmcnt(0)
	v_cmp_eq_u16_sdwa s[34:35], v9, v5 src0_sel:BYTE_0 src1_sel:DWORD
	s_and_saveexec_b64 s[26:27], s[34:35]
	s_cbranch_execz .LBB2436_59
; %bb.62:                               ;   in Loop: Header=BB2436_60 Depth=1
	s_mov_b32 s37, 1
	s_mov_b64 s[34:35], 0
.LBB2436_63:                            ;   Parent Loop BB2436_60 Depth=1
                                        ; =>  This Loop Header: Depth=2
                                        ;       Child Loop BB2436_64 Depth 3
	s_max_u32 s38, s37, 1
.LBB2436_64:                            ;   Parent Loop BB2436_60 Depth=1
                                        ;     Parent Loop BB2436_63 Depth=2
                                        ; =>    This Inner Loop Header: Depth=3
	s_add_i32 s38, s38, -1
	s_cmp_eq_u32 s38, 0
	s_sleep 1
	s_cbranch_scc0 .LBB2436_64
; %bb.65:                               ;   in Loop: Header=BB2436_63 Depth=2
	global_load_dwordx2 v[8:9], v[10:11], off sc1
	s_cmp_lt_u32 s37, 32
	s_cselect_b64 s[38:39], -1, 0
	s_cmp_lg_u64 s[38:39], 0
	s_addc_u32 s37, s37, 0
	s_waitcnt vmcnt(0)
	v_cmp_ne_u16_sdwa s[38:39], v9, v5 src0_sel:BYTE_0 src1_sel:DWORD
	s_or_b64 s[34:35], s[38:39], s[34:35]
	s_andn2_b64 exec, exec, s[34:35]
	s_cbranch_execnz .LBB2436_63
; %bb.66:                               ;   in Loop: Header=BB2436_60 Depth=1
	s_or_b64 exec, exec, s[34:35]
	s_branch .LBB2436_59
.LBB2436_67:                            ;   in Loop: Header=BB2436_60 Depth=1
                                        ; implicit-def: $vgpr8
                                        ; implicit-def: $vgpr9
	s_cbranch_execz .LBB2436_60
; %bb.68:
	s_and_saveexec_b64 s[26:27], s[18:19]
	s_cbranch_execz .LBB2436_70
; %bb.69:
	s_add_i32 s34, s36, 64
	s_mov_b32 s35, 0
	s_lshl_b64 s[34:35], s[34:35], 3
	s_add_u32 s34, s30, s34
	v_add_u32_e32 v4, v3, v2
	v_mov_b32_e32 v5, 2
	s_addc_u32 s35, s31, s35
	v_mov_b32_e32 v6, 0
	global_store_dwordx2 v6, v[4:5], s[34:35] sc1
	ds_write_b64 v6, v[2:3] offset:30720
.LBB2436_70:
	s_or_b64 exec, exec, s[26:27]
	s_and_b64 exec, exec, s[20:21]
	s_cbranch_execz .LBB2436_72
; %bb.71:
	v_mov_b32_e32 v2, 0
	ds_write_b32 v2, v3 offset:28
.LBB2436_72:
	s_or_b64 exec, exec, s[0:1]
	v_mov_b32_e32 v14, 0
	s_waitcnt lgkmcnt(0)
	s_barrier
	ds_read_b32 v2, v14 offset:28
	v_cndmask_b32_e64 v3, v13, v12, s[18:19]
	v_cndmask_b32_e64 v3, v3, 0, s[20:21]
	s_waitcnt lgkmcnt(0)
	s_barrier
	v_add_u32_e32 v2, v2, v3
	v_add_u32_e32 v3, v2, v54
	;; [unrolled: 1-line block ×10, first 2 shown]
	ds_read_b64 v[36:37], v14 offset:30720
	v_add_u32_e32 v12, v11, v63
	v_add_u32_e32 v13, v12, v64
	;; [unrolled: 1-line block ×5, first 2 shown]
	s_waitcnt lgkmcnt(0)
	v_mov_b32_e32 v38, v37
	s_branch .LBB2436_83
.LBB2436_73:
                                        ; implicit-def: $vgpr38
                                        ; implicit-def: $vgpr36
                                        ; implicit-def: $vgpr2_vgpr3_vgpr4_vgpr5_vgpr6_vgpr7_vgpr8_vgpr9_vgpr10_vgpr11_vgpr12_vgpr13_vgpr14_vgpr15_vgpr16_vgpr17
	s_cbranch_execz .LBB2436_83
; %bb.74:
	s_nop 0
	v_mov_b32_dpp v2, v70 row_shr:1 row_mask:0xf bank_mask:0xf
	v_cndmask_b32_e64 v2, v2, 0, s[16:17]
	v_add_u32_e32 v2, v2, v70
	s_nop 1
	v_mov_b32_dpp v3, v2 row_shr:2 row_mask:0xf bank_mask:0xf
	v_cndmask_b32_e64 v3, 0, v3, s[14:15]
	v_add_u32_e32 v2, v2, v3
	;; [unrolled: 4-line block ×4, first 2 shown]
	s_nop 1
	v_mov_b32_dpp v3, v2 row_bcast:15 row_mask:0xf bank_mask:0xf
	v_cndmask_b32_e64 v3, v3, 0, s[8:9]
	v_add_u32_e32 v2, v2, v3
	s_nop 1
	v_mov_b32_dpp v3, v2 row_bcast:31 row_mask:0xf bank_mask:0xf
	v_cndmask_b32_e64 v3, 0, v3, s[4:5]
	v_add_u32_e32 v2, v2, v3
	s_and_saveexec_b64 s[0:1], s[6:7]
	s_cbranch_execz .LBB2436_76
; %bb.75:
	v_lshlrev_b32_e32 v3, 2, v69
	ds_write_b32 v3, v2
.LBB2436_76:
	s_or_b64 exec, exec, s[0:1]
	v_cmp_gt_u32_e32 vcc, 8, v0
	s_waitcnt lgkmcnt(0)
	s_barrier
	s_and_saveexec_b64 s[0:1], vcc
	s_cbranch_execz .LBB2436_78
; %bb.77:
	ds_read_b32 v3, v20
	v_and_b32_e32 v4, 7, v68
	v_cmp_ne_u32_e32 vcc, 0, v4
	s_waitcnt lgkmcnt(0)
	v_mov_b32_dpp v5, v3 row_shr:1 row_mask:0xf bank_mask:0xf
	v_cndmask_b32_e32 v5, 0, v5, vcc
	v_add_u32_e32 v3, v5, v3
	v_cmp_lt_u32_e32 vcc, 1, v4
	s_nop 0
	v_mov_b32_dpp v5, v3 row_shr:2 row_mask:0xf bank_mask:0xf
	v_cndmask_b32_e32 v5, 0, v5, vcc
	v_add_u32_e32 v3, v3, v5
	v_cmp_lt_u32_e32 vcc, 3, v4
	s_nop 0
	v_mov_b32_dpp v5, v3 row_shr:4 row_mask:0xf bank_mask:0xf
	v_cndmask_b32_e32 v4, 0, v5, vcc
	v_add_u32_e32 v3, v3, v4
	ds_write_b32 v20, v3
.LBB2436_78:
	s_or_b64 exec, exec, s[0:1]
	v_cmp_lt_u32_e32 vcc, 63, v0
	v_mov_b32_e32 v4, 0
	v_mov_b32_e32 v3, 0
	s_waitcnt lgkmcnt(0)
	s_barrier
	s_and_saveexec_b64 s[0:1], vcc
	s_cbranch_execz .LBB2436_80
; %bb.79:
	v_lshl_add_u32 v3, v69, 2, -4
	ds_read_b32 v3, v3
.LBB2436_80:
	s_or_b64 exec, exec, s[0:1]
	v_add_u32_e32 v5, -1, v68
	v_and_b32_e32 v6, 64, v68
	v_cmp_lt_i32_e32 vcc, v5, v6
	s_waitcnt lgkmcnt(0)
	v_add_u32_e32 v2, v3, v2
	ds_read_b32 v36, v4 offset:28
	v_cndmask_b32_e32 v5, v5, v68, vcc
	v_lshlrev_b32_e32 v5, 2, v5
	ds_bpermute_b32 v2, v5, v2
	s_and_saveexec_b64 s[0:1], s[20:21]
	s_cbranch_execz .LBB2436_82
; %bb.81:
	v_mov_b32_e32 v4, 0
	v_mov_b32_e32 v37, 2
	s_waitcnt lgkmcnt(1)
	global_store_dwordx2 v4, v[36:37], s[30:31] offset:512 sc1
.LBB2436_82:
	s_or_b64 exec, exec, s[0:1]
	v_cmp_eq_u32_e32 vcc, 0, v68
	v_mov_b32_e32 v38, 0
	s_waitcnt lgkmcnt(0)
	v_cndmask_b32_e32 v2, v2, v3, vcc
	v_cndmask_b32_e64 v2, v2, 0, s[20:21]
	v_add_u32_e32 v3, v2, v54
	v_add_u32_e32 v4, v3, v55
	;; [unrolled: 1-line block ×14, first 2 shown]
	s_barrier
.LBB2436_83:
	v_add_u32_e32 v17, v36, v40
	v_sub_u32_e32 v2, v2, v38
	v_and_b32_e32 v40, 1, v53
	v_sub_u32_e32 v37, v17, v2
	v_cmp_eq_u32_e32 vcc, 1, v40
	s_nop 1
	v_cndmask_b32_e32 v2, v37, v2, vcc
	v_lshlrev_b32_e32 v2, 2, v2
	ds_write_b32 v2, v34
	v_sub_u32_e32 v2, v3, v38
	v_sub_u32_e32 v3, v17, v2
	v_and_b32_e32 v34, 1, v52
	v_add_u32_e32 v3, 1, v3
	v_cmp_eq_u32_e32 vcc, 1, v34
	v_or_b32_e32 v37, 0x200, v0
	v_or_b32_e32 v34, 0x600, v0
	v_cndmask_b32_e32 v2, v3, v2, vcc
	v_lshlrev_b32_e32 v2, 2, v2
	ds_write_b32 v2, v35
	v_sub_u32_e32 v2, v4, v38
	v_sub_u32_e32 v3, v17, v2
	v_and_b32_e32 v4, 1, v51
	v_add_u32_e32 v3, 2, v3
	v_cmp_eq_u32_e32 vcc, 1, v4
	v_and_b32_e32 v4, 1, v50
	v_or_b32_e32 v35, 0x400, v0
	v_cndmask_b32_e32 v2, v3, v2, vcc
	v_lshlrev_b32_e32 v2, 2, v2
	ds_write_b32 v2, v32
	v_sub_u32_e32 v2, v5, v38
	v_sub_u32_e32 v3, v17, v2
	v_add_u32_e32 v3, 3, v3
	v_cmp_eq_u32_e32 vcc, 1, v4
	v_and_b32_e32 v4, 1, v49
	v_or_b32_e32 v32, 0xa00, v0
	v_cndmask_b32_e32 v2, v3, v2, vcc
	v_lshlrev_b32_e32 v2, 2, v2
	ds_write_b32 v2, v33
	v_sub_u32_e32 v2, v6, v38
	v_sub_u32_e32 v3, v17, v2
	;; [unrolled: 9-line block ×12, first 2 shown]
	v_add_u32_e32 v3, 14, v3
	v_cmp_eq_u32_e32 vcc, 1, v4
	s_waitcnt vmcnt(0)
	v_lshlrev_b64 v[22:23], 2, v[18:19]
	v_cndmask_b32_e32 v2, v3, v2, vcc
	v_lshlrev_b32_e32 v2, 2, v2
	ds_write_b32 v2, v1
	s_waitcnt lgkmcnt(0)
	s_barrier
	ds_read2st64_b32 v[16:17], v20 offset1:8
	ds_read2st64_b32 v[14:15], v20 offset0:16 offset1:24
	ds_read2st64_b32 v[12:13], v20 offset0:32 offset1:40
	;; [unrolled: 1-line block ×6, first 2 shown]
	ds_read_b32 v1, v20 offset:28672
	s_and_b64 vcc, exec, s[2:3]
	s_cbranch_vccnz .LBB2436_100
; %bb.84:
	v_mov_b32_e32 v39, 0
	v_lshl_add_u64 v[4:5], s[28:29], 0, v[22:23]
	v_lshlrev_b64 v[40:41], 2, v[38:39]
	v_lshl_add_u64 v[4:5], v[4:5], 0, v[40:41]
	v_cmp_gt_u32_e32 vcc, v36, v0
	s_and_saveexec_b64 s[0:1], vcc
	s_cbranch_execnz .LBB2436_122
; %bb.85:
	s_or_b64 exec, exec, s[0:1]
	v_cmp_lt_u32_e32 vcc, v37, v36
	s_and_saveexec_b64 s[0:1], vcc
	s_cbranch_execnz .LBB2436_123
.LBB2436_86:
	s_or_b64 exec, exec, s[0:1]
	v_cmp_lt_u32_e32 vcc, v35, v36
	s_and_saveexec_b64 s[0:1], vcc
	s_cbranch_execnz .LBB2436_124
.LBB2436_87:
	s_or_b64 exec, exec, s[0:1]
	v_cmp_lt_u32_e32 vcc, v34, v36
	s_and_saveexec_b64 s[0:1], vcc
	s_cbranch_execnz .LBB2436_125
.LBB2436_88:
	s_or_b64 exec, exec, s[0:1]
	v_cmp_lt_u32_e32 vcc, v33, v36
	s_and_saveexec_b64 s[0:1], vcc
	s_cbranch_execnz .LBB2436_126
.LBB2436_89:
	s_or_b64 exec, exec, s[0:1]
	v_cmp_lt_u32_e32 vcc, v32, v36
	s_and_saveexec_b64 s[0:1], vcc
	s_cbranch_execnz .LBB2436_127
.LBB2436_90:
	s_or_b64 exec, exec, s[0:1]
	v_cmp_lt_u32_e32 vcc, v31, v36
	s_and_saveexec_b64 s[0:1], vcc
	s_cbranch_execnz .LBB2436_128
.LBB2436_91:
	s_or_b64 exec, exec, s[0:1]
	v_cmp_lt_u32_e32 vcc, v30, v36
	s_and_saveexec_b64 s[0:1], vcc
	s_cbranch_execnz .LBB2436_129
.LBB2436_92:
	s_or_b64 exec, exec, s[0:1]
	v_cmp_lt_u32_e32 vcc, v29, v36
	s_and_saveexec_b64 s[0:1], vcc
	s_cbranch_execnz .LBB2436_130
.LBB2436_93:
	s_or_b64 exec, exec, s[0:1]
	v_cmp_lt_u32_e32 vcc, v28, v36
	s_and_saveexec_b64 s[0:1], vcc
	s_cbranch_execnz .LBB2436_131
.LBB2436_94:
	s_or_b64 exec, exec, s[0:1]
	v_cmp_lt_u32_e32 vcc, v27, v36
	s_and_saveexec_b64 s[0:1], vcc
	s_cbranch_execnz .LBB2436_132
.LBB2436_95:
	s_or_b64 exec, exec, s[0:1]
	v_cmp_lt_u32_e32 vcc, v26, v36
	s_and_saveexec_b64 s[0:1], vcc
	s_cbranch_execnz .LBB2436_133
.LBB2436_96:
	s_or_b64 exec, exec, s[0:1]
	v_cmp_lt_u32_e32 vcc, v25, v36
	s_and_saveexec_b64 s[0:1], vcc
	s_cbranch_execnz .LBB2436_134
.LBB2436_97:
	s_or_b64 exec, exec, s[0:1]
	v_cmp_lt_u32_e32 vcc, v24, v36
	s_and_saveexec_b64 s[0:1], vcc
	s_cbranch_execz .LBB2436_99
.LBB2436_98:
	v_lshlrev_b32_e32 v39, 2, v24
	v_readfirstlane_b32 s2, v4
	v_readfirstlane_b32 s3, v5
	s_waitcnt lgkmcnt(1)
	s_nop 3
	global_store_dword v39, v3, s[2:3]
.LBB2436_99:
	s_or_b64 exec, exec, s[0:1]
	v_cmp_lt_u32_e64 s[0:1], v21, v36
	s_branch .LBB2436_117
.LBB2436_100:
	s_mov_b64 s[0:1], 0
                                        ; implicit-def: $vgpr4_vgpr5
	s_cbranch_execz .LBB2436_117
; %bb.101:
	v_mov_b32_e32 v39, 0
	v_min_u32_e32 v40, s33, v36
	v_lshl_add_u64 v[4:5], s[28:29], 0, v[22:23]
	v_lshlrev_b64 v[22:23], 2, v[38:39]
	v_lshl_add_u64 v[4:5], v[4:5], 0, v[22:23]
	v_cmp_gt_u32_e32 vcc, v40, v0
	s_and_saveexec_b64 s[0:1], vcc
	s_cbranch_execnz .LBB2436_135
; %bb.102:
	s_or_b64 exec, exec, s[0:1]
	v_cmp_lt_u32_e32 vcc, v37, v40
	s_and_saveexec_b64 s[0:1], vcc
	s_cbranch_execnz .LBB2436_136
.LBB2436_103:
	s_or_b64 exec, exec, s[0:1]
	v_cmp_lt_u32_e32 vcc, v35, v40
	s_and_saveexec_b64 s[0:1], vcc
	s_cbranch_execnz .LBB2436_137
.LBB2436_104:
	s_or_b64 exec, exec, s[0:1]
	v_cmp_lt_u32_e32 vcc, v34, v40
	s_and_saveexec_b64 s[0:1], vcc
	s_cbranch_execnz .LBB2436_138
.LBB2436_105:
	s_or_b64 exec, exec, s[0:1]
	v_cmp_lt_u32_e32 vcc, v33, v40
	s_and_saveexec_b64 s[0:1], vcc
	s_cbranch_execnz .LBB2436_139
.LBB2436_106:
	s_or_b64 exec, exec, s[0:1]
	v_cmp_lt_u32_e32 vcc, v32, v40
	s_and_saveexec_b64 s[0:1], vcc
	s_cbranch_execnz .LBB2436_140
.LBB2436_107:
	s_or_b64 exec, exec, s[0:1]
	v_cmp_lt_u32_e32 vcc, v31, v40
	s_and_saveexec_b64 s[0:1], vcc
	s_cbranch_execnz .LBB2436_141
.LBB2436_108:
	s_or_b64 exec, exec, s[0:1]
	v_cmp_lt_u32_e32 vcc, v30, v40
	s_and_saveexec_b64 s[0:1], vcc
	s_cbranch_execnz .LBB2436_142
.LBB2436_109:
	s_or_b64 exec, exec, s[0:1]
	v_cmp_lt_u32_e32 vcc, v29, v40
	s_and_saveexec_b64 s[0:1], vcc
	s_cbranch_execnz .LBB2436_143
.LBB2436_110:
	s_or_b64 exec, exec, s[0:1]
	v_cmp_lt_u32_e32 vcc, v28, v40
	s_and_saveexec_b64 s[0:1], vcc
	s_cbranch_execnz .LBB2436_144
.LBB2436_111:
	s_or_b64 exec, exec, s[0:1]
	v_cmp_lt_u32_e32 vcc, v27, v40
	s_and_saveexec_b64 s[0:1], vcc
	s_cbranch_execnz .LBB2436_145
.LBB2436_112:
	s_or_b64 exec, exec, s[0:1]
	v_cmp_lt_u32_e32 vcc, v26, v40
	s_and_saveexec_b64 s[0:1], vcc
	s_cbranch_execnz .LBB2436_146
.LBB2436_113:
	s_or_b64 exec, exec, s[0:1]
	v_cmp_lt_u32_e32 vcc, v25, v40
	s_and_saveexec_b64 s[0:1], vcc
	s_cbranch_execnz .LBB2436_147
.LBB2436_114:
	s_or_b64 exec, exec, s[0:1]
	v_cmp_lt_u32_e32 vcc, v24, v40
	s_and_saveexec_b64 s[0:1], vcc
	s_cbranch_execz .LBB2436_116
.LBB2436_115:
	v_lshlrev_b32_e32 v0, 2, v24
	v_readfirstlane_b32 s2, v4
	v_readfirstlane_b32 s3, v5
	s_waitcnt lgkmcnt(1)
	s_nop 3
	global_store_dword v0, v3, s[2:3]
.LBB2436_116:
	s_or_b64 exec, exec, s[0:1]
	v_cmp_lt_u32_e64 s[0:1], v21, v40
.LBB2436_117:
	s_and_saveexec_b64 s[2:3], s[0:1]
	s_cbranch_execnz .LBB2436_120
; %bb.118:
	s_or_b64 exec, exec, s[2:3]
	s_and_b64 s[0:1], s[20:21], s[22:23]
	s_and_saveexec_b64 s[2:3], s[0:1]
	s_cbranch_execnz .LBB2436_121
.LBB2436_119:
	s_endpgm
.LBB2436_120:
	v_lshlrev_b32_e32 v0, 2, v21
	v_readfirstlane_b32 s0, v4
	v_readfirstlane_b32 s1, v5
	s_waitcnt lgkmcnt(0)
	s_nop 3
	global_store_dword v0, v1, s[0:1]
	s_or_b64 exec, exec, s[2:3]
	s_and_b64 s[0:1], s[20:21], s[22:23]
	s_and_saveexec_b64 s[2:3], s[0:1]
	s_cbranch_execz .LBB2436_119
.LBB2436_121:
	v_mov_b32_e32 v37, 0
	s_waitcnt lgkmcnt(0)
	v_lshl_add_u64 v[0:1], v[18:19], 0, v[36:37]
	v_mov_b32_e32 v39, v37
	v_lshl_add_u64 v[0:1], v[0:1], 0, v[38:39]
	global_store_dwordx2 v37, v[0:1], s[24:25]
	s_endpgm
.LBB2436_122:
	v_readfirstlane_b32 s2, v4
	v_readfirstlane_b32 s3, v5
	s_waitcnt lgkmcnt(7)
	s_nop 3
	global_store_dword v20, v16, s[2:3]
	s_or_b64 exec, exec, s[0:1]
	v_cmp_lt_u32_e32 vcc, v37, v36
	s_and_saveexec_b64 s[0:1], vcc
	s_cbranch_execz .LBB2436_86
.LBB2436_123:
	v_readfirstlane_b32 s2, v4
	v_readfirstlane_b32 s3, v5
	s_waitcnt lgkmcnt(7)
	s_nop 3
	global_store_dword v20, v17, s[2:3] offset:2048
	s_or_b64 exec, exec, s[0:1]
	v_cmp_lt_u32_e32 vcc, v35, v36
	s_and_saveexec_b64 s[0:1], vcc
	s_cbranch_execz .LBB2436_87
.LBB2436_124:
	v_lshlrev_b32_e32 v39, 2, v35
	v_readfirstlane_b32 s2, v4
	v_readfirstlane_b32 s3, v5
	s_waitcnt lgkmcnt(6)
	s_nop 3
	global_store_dword v39, v14, s[2:3]
	s_or_b64 exec, exec, s[0:1]
	v_cmp_lt_u32_e32 vcc, v34, v36
	s_and_saveexec_b64 s[0:1], vcc
	s_cbranch_execz .LBB2436_88
.LBB2436_125:
	v_lshlrev_b32_e32 v39, 2, v34
	v_readfirstlane_b32 s2, v4
	v_readfirstlane_b32 s3, v5
	s_waitcnt lgkmcnt(6)
	s_nop 3
	global_store_dword v39, v15, s[2:3]
	s_or_b64 exec, exec, s[0:1]
	v_cmp_lt_u32_e32 vcc, v33, v36
	s_and_saveexec_b64 s[0:1], vcc
	s_cbranch_execz .LBB2436_89
.LBB2436_126:
	v_lshlrev_b32_e32 v39, 2, v33
	v_readfirstlane_b32 s2, v4
	v_readfirstlane_b32 s3, v5
	s_waitcnt lgkmcnt(5)
	s_nop 3
	global_store_dword v39, v12, s[2:3]
	s_or_b64 exec, exec, s[0:1]
	v_cmp_lt_u32_e32 vcc, v32, v36
	s_and_saveexec_b64 s[0:1], vcc
	s_cbranch_execz .LBB2436_90
.LBB2436_127:
	v_lshlrev_b32_e32 v39, 2, v32
	v_readfirstlane_b32 s2, v4
	v_readfirstlane_b32 s3, v5
	s_waitcnt lgkmcnt(5)
	s_nop 3
	global_store_dword v39, v13, s[2:3]
	s_or_b64 exec, exec, s[0:1]
	v_cmp_lt_u32_e32 vcc, v31, v36
	s_and_saveexec_b64 s[0:1], vcc
	s_cbranch_execz .LBB2436_91
.LBB2436_128:
	v_lshlrev_b32_e32 v39, 2, v31
	v_readfirstlane_b32 s2, v4
	v_readfirstlane_b32 s3, v5
	s_waitcnt lgkmcnt(4)
	s_nop 3
	global_store_dword v39, v10, s[2:3]
	s_or_b64 exec, exec, s[0:1]
	v_cmp_lt_u32_e32 vcc, v30, v36
	s_and_saveexec_b64 s[0:1], vcc
	s_cbranch_execz .LBB2436_92
.LBB2436_129:
	v_lshlrev_b32_e32 v39, 2, v30
	v_readfirstlane_b32 s2, v4
	v_readfirstlane_b32 s3, v5
	s_waitcnt lgkmcnt(4)
	s_nop 3
	global_store_dword v39, v11, s[2:3]
	s_or_b64 exec, exec, s[0:1]
	v_cmp_lt_u32_e32 vcc, v29, v36
	s_and_saveexec_b64 s[0:1], vcc
	s_cbranch_execz .LBB2436_93
.LBB2436_130:
	v_lshlrev_b32_e32 v39, 2, v29
	v_readfirstlane_b32 s2, v4
	v_readfirstlane_b32 s3, v5
	s_waitcnt lgkmcnt(3)
	s_nop 3
	global_store_dword v39, v8, s[2:3]
	s_or_b64 exec, exec, s[0:1]
	v_cmp_lt_u32_e32 vcc, v28, v36
	s_and_saveexec_b64 s[0:1], vcc
	s_cbranch_execz .LBB2436_94
.LBB2436_131:
	v_lshlrev_b32_e32 v39, 2, v28
	v_readfirstlane_b32 s2, v4
	v_readfirstlane_b32 s3, v5
	s_waitcnt lgkmcnt(3)
	s_nop 3
	global_store_dword v39, v9, s[2:3]
	s_or_b64 exec, exec, s[0:1]
	v_cmp_lt_u32_e32 vcc, v27, v36
	s_and_saveexec_b64 s[0:1], vcc
	s_cbranch_execz .LBB2436_95
.LBB2436_132:
	v_lshlrev_b32_e32 v39, 2, v27
	v_readfirstlane_b32 s2, v4
	v_readfirstlane_b32 s3, v5
	s_waitcnt lgkmcnt(2)
	s_nop 3
	global_store_dword v39, v6, s[2:3]
	s_or_b64 exec, exec, s[0:1]
	v_cmp_lt_u32_e32 vcc, v26, v36
	s_and_saveexec_b64 s[0:1], vcc
	s_cbranch_execz .LBB2436_96
.LBB2436_133:
	v_lshlrev_b32_e32 v39, 2, v26
	v_readfirstlane_b32 s2, v4
	v_readfirstlane_b32 s3, v5
	s_waitcnt lgkmcnt(2)
	s_nop 3
	global_store_dword v39, v7, s[2:3]
	s_or_b64 exec, exec, s[0:1]
	v_cmp_lt_u32_e32 vcc, v25, v36
	s_and_saveexec_b64 s[0:1], vcc
	s_cbranch_execz .LBB2436_97
.LBB2436_134:
	v_lshlrev_b32_e32 v39, 2, v25
	v_readfirstlane_b32 s2, v4
	v_readfirstlane_b32 s3, v5
	s_waitcnt lgkmcnt(1)
	s_nop 3
	global_store_dword v39, v2, s[2:3]
	s_or_b64 exec, exec, s[0:1]
	v_cmp_lt_u32_e32 vcc, v24, v36
	s_and_saveexec_b64 s[0:1], vcc
	s_cbranch_execnz .LBB2436_98
	s_branch .LBB2436_99
.LBB2436_135:
	v_readfirstlane_b32 s2, v4
	v_readfirstlane_b32 s3, v5
	s_waitcnt lgkmcnt(7)
	s_nop 3
	global_store_dword v20, v16, s[2:3]
	s_or_b64 exec, exec, s[0:1]
	v_cmp_lt_u32_e32 vcc, v37, v40
	s_and_saveexec_b64 s[0:1], vcc
	s_cbranch_execz .LBB2436_103
.LBB2436_136:
	v_readfirstlane_b32 s2, v4
	v_readfirstlane_b32 s3, v5
	s_waitcnt lgkmcnt(7)
	s_nop 3
	global_store_dword v20, v17, s[2:3] offset:2048
	s_or_b64 exec, exec, s[0:1]
	v_cmp_lt_u32_e32 vcc, v35, v40
	s_and_saveexec_b64 s[0:1], vcc
	s_cbranch_execz .LBB2436_104
.LBB2436_137:
	v_lshlrev_b32_e32 v0, 2, v35
	v_readfirstlane_b32 s2, v4
	v_readfirstlane_b32 s3, v5
	s_waitcnt lgkmcnt(6)
	s_nop 3
	global_store_dword v0, v14, s[2:3]
	s_or_b64 exec, exec, s[0:1]
	v_cmp_lt_u32_e32 vcc, v34, v40
	s_and_saveexec_b64 s[0:1], vcc
	s_cbranch_execz .LBB2436_105
.LBB2436_138:
	v_lshlrev_b32_e32 v0, 2, v34
	v_readfirstlane_b32 s2, v4
	v_readfirstlane_b32 s3, v5
	s_waitcnt lgkmcnt(6)
	s_nop 3
	global_store_dword v0, v15, s[2:3]
	s_or_b64 exec, exec, s[0:1]
	v_cmp_lt_u32_e32 vcc, v33, v40
	s_and_saveexec_b64 s[0:1], vcc
	s_cbranch_execz .LBB2436_106
.LBB2436_139:
	v_lshlrev_b32_e32 v0, 2, v33
	v_readfirstlane_b32 s2, v4
	v_readfirstlane_b32 s3, v5
	s_waitcnt lgkmcnt(5)
	s_nop 3
	global_store_dword v0, v12, s[2:3]
	s_or_b64 exec, exec, s[0:1]
	v_cmp_lt_u32_e32 vcc, v32, v40
	s_and_saveexec_b64 s[0:1], vcc
	s_cbranch_execz .LBB2436_107
.LBB2436_140:
	v_lshlrev_b32_e32 v0, 2, v32
	v_readfirstlane_b32 s2, v4
	v_readfirstlane_b32 s3, v5
	s_waitcnt lgkmcnt(5)
	s_nop 3
	global_store_dword v0, v13, s[2:3]
	s_or_b64 exec, exec, s[0:1]
	v_cmp_lt_u32_e32 vcc, v31, v40
	s_and_saveexec_b64 s[0:1], vcc
	s_cbranch_execz .LBB2436_108
.LBB2436_141:
	v_lshlrev_b32_e32 v0, 2, v31
	v_readfirstlane_b32 s2, v4
	v_readfirstlane_b32 s3, v5
	s_waitcnt lgkmcnt(4)
	s_nop 3
	global_store_dword v0, v10, s[2:3]
	s_or_b64 exec, exec, s[0:1]
	v_cmp_lt_u32_e32 vcc, v30, v40
	s_and_saveexec_b64 s[0:1], vcc
	s_cbranch_execz .LBB2436_109
.LBB2436_142:
	v_lshlrev_b32_e32 v0, 2, v30
	v_readfirstlane_b32 s2, v4
	v_readfirstlane_b32 s3, v5
	s_waitcnt lgkmcnt(4)
	s_nop 3
	global_store_dword v0, v11, s[2:3]
	s_or_b64 exec, exec, s[0:1]
	v_cmp_lt_u32_e32 vcc, v29, v40
	s_and_saveexec_b64 s[0:1], vcc
	s_cbranch_execz .LBB2436_110
.LBB2436_143:
	v_lshlrev_b32_e32 v0, 2, v29
	v_readfirstlane_b32 s2, v4
	v_readfirstlane_b32 s3, v5
	s_waitcnt lgkmcnt(3)
	s_nop 3
	global_store_dword v0, v8, s[2:3]
	s_or_b64 exec, exec, s[0:1]
	v_cmp_lt_u32_e32 vcc, v28, v40
	s_and_saveexec_b64 s[0:1], vcc
	s_cbranch_execz .LBB2436_111
.LBB2436_144:
	v_lshlrev_b32_e32 v0, 2, v28
	v_readfirstlane_b32 s2, v4
	v_readfirstlane_b32 s3, v5
	s_waitcnt lgkmcnt(3)
	s_nop 3
	global_store_dword v0, v9, s[2:3]
	s_or_b64 exec, exec, s[0:1]
	v_cmp_lt_u32_e32 vcc, v27, v40
	s_and_saveexec_b64 s[0:1], vcc
	s_cbranch_execz .LBB2436_112
.LBB2436_145:
	v_lshlrev_b32_e32 v0, 2, v27
	v_readfirstlane_b32 s2, v4
	v_readfirstlane_b32 s3, v5
	s_waitcnt lgkmcnt(2)
	s_nop 3
	global_store_dword v0, v6, s[2:3]
	s_or_b64 exec, exec, s[0:1]
	v_cmp_lt_u32_e32 vcc, v26, v40
	s_and_saveexec_b64 s[0:1], vcc
	s_cbranch_execz .LBB2436_113
.LBB2436_146:
	v_lshlrev_b32_e32 v0, 2, v26
	v_readfirstlane_b32 s2, v4
	v_readfirstlane_b32 s3, v5
	s_waitcnt lgkmcnt(2)
	s_nop 3
	global_store_dword v0, v7, s[2:3]
	s_or_b64 exec, exec, s[0:1]
	v_cmp_lt_u32_e32 vcc, v25, v40
	s_and_saveexec_b64 s[0:1], vcc
	s_cbranch_execz .LBB2436_114
.LBB2436_147:
	v_lshlrev_b32_e32 v0, 2, v25
	v_readfirstlane_b32 s2, v4
	v_readfirstlane_b32 s3, v5
	s_waitcnt lgkmcnt(1)
	s_nop 3
	global_store_dword v0, v2, s[2:3]
	s_or_b64 exec, exec, s[0:1]
	v_cmp_lt_u32_e32 vcc, v24, v40
	s_and_saveexec_b64 s[0:1], vcc
	s_cbranch_execnz .LBB2436_115
	s_branch .LBB2436_116
	.section	.rodata,"a",@progbits
	.p2align	6, 0x0
	.amdhsa_kernel _ZN7rocprim17ROCPRIM_400000_NS6detail17trampoline_kernelINS0_14default_configENS1_25partition_config_selectorILNS1_17partition_subalgoE0EjNS0_10empty_typeEbEEZZNS1_14partition_implILS5_0ELb0ES3_jN6thrust23THRUST_200600_302600_NS6detail15normal_iteratorINSA_10device_ptrIjEEEEPS6_SG_NS0_5tupleIJSF_NSA_16discard_iteratorINSA_11use_defaultEEEEEENSH_IJSG_SG_EEES6_PlJ7is_evenIjEEEE10hipError_tPvRmT3_T4_T5_T6_T7_T9_mT8_P12ihipStream_tbDpT10_ENKUlT_T0_E_clISt17integral_constantIbLb1EES19_EEDaS14_S15_EUlS14_E_NS1_11comp_targetILNS1_3genE5ELNS1_11target_archE942ELNS1_3gpuE9ELNS1_3repE0EEENS1_30default_config_static_selectorELNS0_4arch9wavefront6targetE1EEEvT1_
		.amdhsa_group_segment_fixed_size 30728
		.amdhsa_private_segment_fixed_size 0
		.amdhsa_kernarg_size 144
		.amdhsa_user_sgpr_count 2
		.amdhsa_user_sgpr_dispatch_ptr 0
		.amdhsa_user_sgpr_queue_ptr 0
		.amdhsa_user_sgpr_kernarg_segment_ptr 1
		.amdhsa_user_sgpr_dispatch_id 0
		.amdhsa_user_sgpr_kernarg_preload_length 0
		.amdhsa_user_sgpr_kernarg_preload_offset 0
		.amdhsa_user_sgpr_private_segment_size 0
		.amdhsa_uses_dynamic_stack 0
		.amdhsa_enable_private_segment 0
		.amdhsa_system_sgpr_workgroup_id_x 1
		.amdhsa_system_sgpr_workgroup_id_y 0
		.amdhsa_system_sgpr_workgroup_id_z 0
		.amdhsa_system_sgpr_workgroup_info 0
		.amdhsa_system_vgpr_workitem_id 0
		.amdhsa_next_free_vgpr 78
		.amdhsa_next_free_sgpr 40
		.amdhsa_accum_offset 80
		.amdhsa_reserve_vcc 1
		.amdhsa_float_round_mode_32 0
		.amdhsa_float_round_mode_16_64 0
		.amdhsa_float_denorm_mode_32 3
		.amdhsa_float_denorm_mode_16_64 3
		.amdhsa_dx10_clamp 1
		.amdhsa_ieee_mode 1
		.amdhsa_fp16_overflow 0
		.amdhsa_tg_split 0
		.amdhsa_exception_fp_ieee_invalid_op 0
		.amdhsa_exception_fp_denorm_src 0
		.amdhsa_exception_fp_ieee_div_zero 0
		.amdhsa_exception_fp_ieee_overflow 0
		.amdhsa_exception_fp_ieee_underflow 0
		.amdhsa_exception_fp_ieee_inexact 0
		.amdhsa_exception_int_div_zero 0
	.end_amdhsa_kernel
	.section	.text._ZN7rocprim17ROCPRIM_400000_NS6detail17trampoline_kernelINS0_14default_configENS1_25partition_config_selectorILNS1_17partition_subalgoE0EjNS0_10empty_typeEbEEZZNS1_14partition_implILS5_0ELb0ES3_jN6thrust23THRUST_200600_302600_NS6detail15normal_iteratorINSA_10device_ptrIjEEEEPS6_SG_NS0_5tupleIJSF_NSA_16discard_iteratorINSA_11use_defaultEEEEEENSH_IJSG_SG_EEES6_PlJ7is_evenIjEEEE10hipError_tPvRmT3_T4_T5_T6_T7_T9_mT8_P12ihipStream_tbDpT10_ENKUlT_T0_E_clISt17integral_constantIbLb1EES19_EEDaS14_S15_EUlS14_E_NS1_11comp_targetILNS1_3genE5ELNS1_11target_archE942ELNS1_3gpuE9ELNS1_3repE0EEENS1_30default_config_static_selectorELNS0_4arch9wavefront6targetE1EEEvT1_,"axG",@progbits,_ZN7rocprim17ROCPRIM_400000_NS6detail17trampoline_kernelINS0_14default_configENS1_25partition_config_selectorILNS1_17partition_subalgoE0EjNS0_10empty_typeEbEEZZNS1_14partition_implILS5_0ELb0ES3_jN6thrust23THRUST_200600_302600_NS6detail15normal_iteratorINSA_10device_ptrIjEEEEPS6_SG_NS0_5tupleIJSF_NSA_16discard_iteratorINSA_11use_defaultEEEEEENSH_IJSG_SG_EEES6_PlJ7is_evenIjEEEE10hipError_tPvRmT3_T4_T5_T6_T7_T9_mT8_P12ihipStream_tbDpT10_ENKUlT_T0_E_clISt17integral_constantIbLb1EES19_EEDaS14_S15_EUlS14_E_NS1_11comp_targetILNS1_3genE5ELNS1_11target_archE942ELNS1_3gpuE9ELNS1_3repE0EEENS1_30default_config_static_selectorELNS0_4arch9wavefront6targetE1EEEvT1_,comdat
.Lfunc_end2436:
	.size	_ZN7rocprim17ROCPRIM_400000_NS6detail17trampoline_kernelINS0_14default_configENS1_25partition_config_selectorILNS1_17partition_subalgoE0EjNS0_10empty_typeEbEEZZNS1_14partition_implILS5_0ELb0ES3_jN6thrust23THRUST_200600_302600_NS6detail15normal_iteratorINSA_10device_ptrIjEEEEPS6_SG_NS0_5tupleIJSF_NSA_16discard_iteratorINSA_11use_defaultEEEEEENSH_IJSG_SG_EEES6_PlJ7is_evenIjEEEE10hipError_tPvRmT3_T4_T5_T6_T7_T9_mT8_P12ihipStream_tbDpT10_ENKUlT_T0_E_clISt17integral_constantIbLb1EES19_EEDaS14_S15_EUlS14_E_NS1_11comp_targetILNS1_3genE5ELNS1_11target_archE942ELNS1_3gpuE9ELNS1_3repE0EEENS1_30default_config_static_selectorELNS0_4arch9wavefront6targetE1EEEvT1_, .Lfunc_end2436-_ZN7rocprim17ROCPRIM_400000_NS6detail17trampoline_kernelINS0_14default_configENS1_25partition_config_selectorILNS1_17partition_subalgoE0EjNS0_10empty_typeEbEEZZNS1_14partition_implILS5_0ELb0ES3_jN6thrust23THRUST_200600_302600_NS6detail15normal_iteratorINSA_10device_ptrIjEEEEPS6_SG_NS0_5tupleIJSF_NSA_16discard_iteratorINSA_11use_defaultEEEEEENSH_IJSG_SG_EEES6_PlJ7is_evenIjEEEE10hipError_tPvRmT3_T4_T5_T6_T7_T9_mT8_P12ihipStream_tbDpT10_ENKUlT_T0_E_clISt17integral_constantIbLb1EES19_EEDaS14_S15_EUlS14_E_NS1_11comp_targetILNS1_3genE5ELNS1_11target_archE942ELNS1_3gpuE9ELNS1_3repE0EEENS1_30default_config_static_selectorELNS0_4arch9wavefront6targetE1EEEvT1_
                                        ; -- End function
	.section	.AMDGPU.csdata,"",@progbits
; Kernel info:
; codeLenInByte = 6932
; NumSgprs: 46
; NumVgprs: 78
; NumAgprs: 0
; TotalNumVgprs: 78
; ScratchSize: 0
; MemoryBound: 0
; FloatMode: 240
; IeeeMode: 1
; LDSByteSize: 30728 bytes/workgroup (compile time only)
; SGPRBlocks: 5
; VGPRBlocks: 9
; NumSGPRsForWavesPerEU: 46
; NumVGPRsForWavesPerEU: 78
; AccumOffset: 80
; Occupancy: 4
; WaveLimiterHint : 1
; COMPUTE_PGM_RSRC2:SCRATCH_EN: 0
; COMPUTE_PGM_RSRC2:USER_SGPR: 2
; COMPUTE_PGM_RSRC2:TRAP_HANDLER: 0
; COMPUTE_PGM_RSRC2:TGID_X_EN: 1
; COMPUTE_PGM_RSRC2:TGID_Y_EN: 0
; COMPUTE_PGM_RSRC2:TGID_Z_EN: 0
; COMPUTE_PGM_RSRC2:TIDIG_COMP_CNT: 0
; COMPUTE_PGM_RSRC3_GFX90A:ACCUM_OFFSET: 19
; COMPUTE_PGM_RSRC3_GFX90A:TG_SPLIT: 0
	.section	.text._ZN7rocprim17ROCPRIM_400000_NS6detail17trampoline_kernelINS0_14default_configENS1_25partition_config_selectorILNS1_17partition_subalgoE0EjNS0_10empty_typeEbEEZZNS1_14partition_implILS5_0ELb0ES3_jN6thrust23THRUST_200600_302600_NS6detail15normal_iteratorINSA_10device_ptrIjEEEEPS6_SG_NS0_5tupleIJSF_NSA_16discard_iteratorINSA_11use_defaultEEEEEENSH_IJSG_SG_EEES6_PlJ7is_evenIjEEEE10hipError_tPvRmT3_T4_T5_T6_T7_T9_mT8_P12ihipStream_tbDpT10_ENKUlT_T0_E_clISt17integral_constantIbLb1EES19_EEDaS14_S15_EUlS14_E_NS1_11comp_targetILNS1_3genE4ELNS1_11target_archE910ELNS1_3gpuE8ELNS1_3repE0EEENS1_30default_config_static_selectorELNS0_4arch9wavefront6targetE1EEEvT1_,"axG",@progbits,_ZN7rocprim17ROCPRIM_400000_NS6detail17trampoline_kernelINS0_14default_configENS1_25partition_config_selectorILNS1_17partition_subalgoE0EjNS0_10empty_typeEbEEZZNS1_14partition_implILS5_0ELb0ES3_jN6thrust23THRUST_200600_302600_NS6detail15normal_iteratorINSA_10device_ptrIjEEEEPS6_SG_NS0_5tupleIJSF_NSA_16discard_iteratorINSA_11use_defaultEEEEEENSH_IJSG_SG_EEES6_PlJ7is_evenIjEEEE10hipError_tPvRmT3_T4_T5_T6_T7_T9_mT8_P12ihipStream_tbDpT10_ENKUlT_T0_E_clISt17integral_constantIbLb1EES19_EEDaS14_S15_EUlS14_E_NS1_11comp_targetILNS1_3genE4ELNS1_11target_archE910ELNS1_3gpuE8ELNS1_3repE0EEENS1_30default_config_static_selectorELNS0_4arch9wavefront6targetE1EEEvT1_,comdat
	.protected	_ZN7rocprim17ROCPRIM_400000_NS6detail17trampoline_kernelINS0_14default_configENS1_25partition_config_selectorILNS1_17partition_subalgoE0EjNS0_10empty_typeEbEEZZNS1_14partition_implILS5_0ELb0ES3_jN6thrust23THRUST_200600_302600_NS6detail15normal_iteratorINSA_10device_ptrIjEEEEPS6_SG_NS0_5tupleIJSF_NSA_16discard_iteratorINSA_11use_defaultEEEEEENSH_IJSG_SG_EEES6_PlJ7is_evenIjEEEE10hipError_tPvRmT3_T4_T5_T6_T7_T9_mT8_P12ihipStream_tbDpT10_ENKUlT_T0_E_clISt17integral_constantIbLb1EES19_EEDaS14_S15_EUlS14_E_NS1_11comp_targetILNS1_3genE4ELNS1_11target_archE910ELNS1_3gpuE8ELNS1_3repE0EEENS1_30default_config_static_selectorELNS0_4arch9wavefront6targetE1EEEvT1_ ; -- Begin function _ZN7rocprim17ROCPRIM_400000_NS6detail17trampoline_kernelINS0_14default_configENS1_25partition_config_selectorILNS1_17partition_subalgoE0EjNS0_10empty_typeEbEEZZNS1_14partition_implILS5_0ELb0ES3_jN6thrust23THRUST_200600_302600_NS6detail15normal_iteratorINSA_10device_ptrIjEEEEPS6_SG_NS0_5tupleIJSF_NSA_16discard_iteratorINSA_11use_defaultEEEEEENSH_IJSG_SG_EEES6_PlJ7is_evenIjEEEE10hipError_tPvRmT3_T4_T5_T6_T7_T9_mT8_P12ihipStream_tbDpT10_ENKUlT_T0_E_clISt17integral_constantIbLb1EES19_EEDaS14_S15_EUlS14_E_NS1_11comp_targetILNS1_3genE4ELNS1_11target_archE910ELNS1_3gpuE8ELNS1_3repE0EEENS1_30default_config_static_selectorELNS0_4arch9wavefront6targetE1EEEvT1_
	.globl	_ZN7rocprim17ROCPRIM_400000_NS6detail17trampoline_kernelINS0_14default_configENS1_25partition_config_selectorILNS1_17partition_subalgoE0EjNS0_10empty_typeEbEEZZNS1_14partition_implILS5_0ELb0ES3_jN6thrust23THRUST_200600_302600_NS6detail15normal_iteratorINSA_10device_ptrIjEEEEPS6_SG_NS0_5tupleIJSF_NSA_16discard_iteratorINSA_11use_defaultEEEEEENSH_IJSG_SG_EEES6_PlJ7is_evenIjEEEE10hipError_tPvRmT3_T4_T5_T6_T7_T9_mT8_P12ihipStream_tbDpT10_ENKUlT_T0_E_clISt17integral_constantIbLb1EES19_EEDaS14_S15_EUlS14_E_NS1_11comp_targetILNS1_3genE4ELNS1_11target_archE910ELNS1_3gpuE8ELNS1_3repE0EEENS1_30default_config_static_selectorELNS0_4arch9wavefront6targetE1EEEvT1_
	.p2align	8
	.type	_ZN7rocprim17ROCPRIM_400000_NS6detail17trampoline_kernelINS0_14default_configENS1_25partition_config_selectorILNS1_17partition_subalgoE0EjNS0_10empty_typeEbEEZZNS1_14partition_implILS5_0ELb0ES3_jN6thrust23THRUST_200600_302600_NS6detail15normal_iteratorINSA_10device_ptrIjEEEEPS6_SG_NS0_5tupleIJSF_NSA_16discard_iteratorINSA_11use_defaultEEEEEENSH_IJSG_SG_EEES6_PlJ7is_evenIjEEEE10hipError_tPvRmT3_T4_T5_T6_T7_T9_mT8_P12ihipStream_tbDpT10_ENKUlT_T0_E_clISt17integral_constantIbLb1EES19_EEDaS14_S15_EUlS14_E_NS1_11comp_targetILNS1_3genE4ELNS1_11target_archE910ELNS1_3gpuE8ELNS1_3repE0EEENS1_30default_config_static_selectorELNS0_4arch9wavefront6targetE1EEEvT1_,@function
_ZN7rocprim17ROCPRIM_400000_NS6detail17trampoline_kernelINS0_14default_configENS1_25partition_config_selectorILNS1_17partition_subalgoE0EjNS0_10empty_typeEbEEZZNS1_14partition_implILS5_0ELb0ES3_jN6thrust23THRUST_200600_302600_NS6detail15normal_iteratorINSA_10device_ptrIjEEEEPS6_SG_NS0_5tupleIJSF_NSA_16discard_iteratorINSA_11use_defaultEEEEEENSH_IJSG_SG_EEES6_PlJ7is_evenIjEEEE10hipError_tPvRmT3_T4_T5_T6_T7_T9_mT8_P12ihipStream_tbDpT10_ENKUlT_T0_E_clISt17integral_constantIbLb1EES19_EEDaS14_S15_EUlS14_E_NS1_11comp_targetILNS1_3genE4ELNS1_11target_archE910ELNS1_3gpuE8ELNS1_3repE0EEENS1_30default_config_static_selectorELNS0_4arch9wavefront6targetE1EEEvT1_: ; @_ZN7rocprim17ROCPRIM_400000_NS6detail17trampoline_kernelINS0_14default_configENS1_25partition_config_selectorILNS1_17partition_subalgoE0EjNS0_10empty_typeEbEEZZNS1_14partition_implILS5_0ELb0ES3_jN6thrust23THRUST_200600_302600_NS6detail15normal_iteratorINSA_10device_ptrIjEEEEPS6_SG_NS0_5tupleIJSF_NSA_16discard_iteratorINSA_11use_defaultEEEEEENSH_IJSG_SG_EEES6_PlJ7is_evenIjEEEE10hipError_tPvRmT3_T4_T5_T6_T7_T9_mT8_P12ihipStream_tbDpT10_ENKUlT_T0_E_clISt17integral_constantIbLb1EES19_EEDaS14_S15_EUlS14_E_NS1_11comp_targetILNS1_3genE4ELNS1_11target_archE910ELNS1_3gpuE8ELNS1_3repE0EEENS1_30default_config_static_selectorELNS0_4arch9wavefront6targetE1EEEvT1_
; %bb.0:
	.section	.rodata,"a",@progbits
	.p2align	6, 0x0
	.amdhsa_kernel _ZN7rocprim17ROCPRIM_400000_NS6detail17trampoline_kernelINS0_14default_configENS1_25partition_config_selectorILNS1_17partition_subalgoE0EjNS0_10empty_typeEbEEZZNS1_14partition_implILS5_0ELb0ES3_jN6thrust23THRUST_200600_302600_NS6detail15normal_iteratorINSA_10device_ptrIjEEEEPS6_SG_NS0_5tupleIJSF_NSA_16discard_iteratorINSA_11use_defaultEEEEEENSH_IJSG_SG_EEES6_PlJ7is_evenIjEEEE10hipError_tPvRmT3_T4_T5_T6_T7_T9_mT8_P12ihipStream_tbDpT10_ENKUlT_T0_E_clISt17integral_constantIbLb1EES19_EEDaS14_S15_EUlS14_E_NS1_11comp_targetILNS1_3genE4ELNS1_11target_archE910ELNS1_3gpuE8ELNS1_3repE0EEENS1_30default_config_static_selectorELNS0_4arch9wavefront6targetE1EEEvT1_
		.amdhsa_group_segment_fixed_size 0
		.amdhsa_private_segment_fixed_size 0
		.amdhsa_kernarg_size 144
		.amdhsa_user_sgpr_count 2
		.amdhsa_user_sgpr_dispatch_ptr 0
		.amdhsa_user_sgpr_queue_ptr 0
		.amdhsa_user_sgpr_kernarg_segment_ptr 1
		.amdhsa_user_sgpr_dispatch_id 0
		.amdhsa_user_sgpr_kernarg_preload_length 0
		.amdhsa_user_sgpr_kernarg_preload_offset 0
		.amdhsa_user_sgpr_private_segment_size 0
		.amdhsa_uses_dynamic_stack 0
		.amdhsa_enable_private_segment 0
		.amdhsa_system_sgpr_workgroup_id_x 1
		.amdhsa_system_sgpr_workgroup_id_y 0
		.amdhsa_system_sgpr_workgroup_id_z 0
		.amdhsa_system_sgpr_workgroup_info 0
		.amdhsa_system_vgpr_workitem_id 0
		.amdhsa_next_free_vgpr 1
		.amdhsa_next_free_sgpr 0
		.amdhsa_accum_offset 4
		.amdhsa_reserve_vcc 0
		.amdhsa_float_round_mode_32 0
		.amdhsa_float_round_mode_16_64 0
		.amdhsa_float_denorm_mode_32 3
		.amdhsa_float_denorm_mode_16_64 3
		.amdhsa_dx10_clamp 1
		.amdhsa_ieee_mode 1
		.amdhsa_fp16_overflow 0
		.amdhsa_tg_split 0
		.amdhsa_exception_fp_ieee_invalid_op 0
		.amdhsa_exception_fp_denorm_src 0
		.amdhsa_exception_fp_ieee_div_zero 0
		.amdhsa_exception_fp_ieee_overflow 0
		.amdhsa_exception_fp_ieee_underflow 0
		.amdhsa_exception_fp_ieee_inexact 0
		.amdhsa_exception_int_div_zero 0
	.end_amdhsa_kernel
	.section	.text._ZN7rocprim17ROCPRIM_400000_NS6detail17trampoline_kernelINS0_14default_configENS1_25partition_config_selectorILNS1_17partition_subalgoE0EjNS0_10empty_typeEbEEZZNS1_14partition_implILS5_0ELb0ES3_jN6thrust23THRUST_200600_302600_NS6detail15normal_iteratorINSA_10device_ptrIjEEEEPS6_SG_NS0_5tupleIJSF_NSA_16discard_iteratorINSA_11use_defaultEEEEEENSH_IJSG_SG_EEES6_PlJ7is_evenIjEEEE10hipError_tPvRmT3_T4_T5_T6_T7_T9_mT8_P12ihipStream_tbDpT10_ENKUlT_T0_E_clISt17integral_constantIbLb1EES19_EEDaS14_S15_EUlS14_E_NS1_11comp_targetILNS1_3genE4ELNS1_11target_archE910ELNS1_3gpuE8ELNS1_3repE0EEENS1_30default_config_static_selectorELNS0_4arch9wavefront6targetE1EEEvT1_,"axG",@progbits,_ZN7rocprim17ROCPRIM_400000_NS6detail17trampoline_kernelINS0_14default_configENS1_25partition_config_selectorILNS1_17partition_subalgoE0EjNS0_10empty_typeEbEEZZNS1_14partition_implILS5_0ELb0ES3_jN6thrust23THRUST_200600_302600_NS6detail15normal_iteratorINSA_10device_ptrIjEEEEPS6_SG_NS0_5tupleIJSF_NSA_16discard_iteratorINSA_11use_defaultEEEEEENSH_IJSG_SG_EEES6_PlJ7is_evenIjEEEE10hipError_tPvRmT3_T4_T5_T6_T7_T9_mT8_P12ihipStream_tbDpT10_ENKUlT_T0_E_clISt17integral_constantIbLb1EES19_EEDaS14_S15_EUlS14_E_NS1_11comp_targetILNS1_3genE4ELNS1_11target_archE910ELNS1_3gpuE8ELNS1_3repE0EEENS1_30default_config_static_selectorELNS0_4arch9wavefront6targetE1EEEvT1_,comdat
.Lfunc_end2437:
	.size	_ZN7rocprim17ROCPRIM_400000_NS6detail17trampoline_kernelINS0_14default_configENS1_25partition_config_selectorILNS1_17partition_subalgoE0EjNS0_10empty_typeEbEEZZNS1_14partition_implILS5_0ELb0ES3_jN6thrust23THRUST_200600_302600_NS6detail15normal_iteratorINSA_10device_ptrIjEEEEPS6_SG_NS0_5tupleIJSF_NSA_16discard_iteratorINSA_11use_defaultEEEEEENSH_IJSG_SG_EEES6_PlJ7is_evenIjEEEE10hipError_tPvRmT3_T4_T5_T6_T7_T9_mT8_P12ihipStream_tbDpT10_ENKUlT_T0_E_clISt17integral_constantIbLb1EES19_EEDaS14_S15_EUlS14_E_NS1_11comp_targetILNS1_3genE4ELNS1_11target_archE910ELNS1_3gpuE8ELNS1_3repE0EEENS1_30default_config_static_selectorELNS0_4arch9wavefront6targetE1EEEvT1_, .Lfunc_end2437-_ZN7rocprim17ROCPRIM_400000_NS6detail17trampoline_kernelINS0_14default_configENS1_25partition_config_selectorILNS1_17partition_subalgoE0EjNS0_10empty_typeEbEEZZNS1_14partition_implILS5_0ELb0ES3_jN6thrust23THRUST_200600_302600_NS6detail15normal_iteratorINSA_10device_ptrIjEEEEPS6_SG_NS0_5tupleIJSF_NSA_16discard_iteratorINSA_11use_defaultEEEEEENSH_IJSG_SG_EEES6_PlJ7is_evenIjEEEE10hipError_tPvRmT3_T4_T5_T6_T7_T9_mT8_P12ihipStream_tbDpT10_ENKUlT_T0_E_clISt17integral_constantIbLb1EES19_EEDaS14_S15_EUlS14_E_NS1_11comp_targetILNS1_3genE4ELNS1_11target_archE910ELNS1_3gpuE8ELNS1_3repE0EEENS1_30default_config_static_selectorELNS0_4arch9wavefront6targetE1EEEvT1_
                                        ; -- End function
	.section	.AMDGPU.csdata,"",@progbits
; Kernel info:
; codeLenInByte = 0
; NumSgprs: 6
; NumVgprs: 0
; NumAgprs: 0
; TotalNumVgprs: 0
; ScratchSize: 0
; MemoryBound: 0
; FloatMode: 240
; IeeeMode: 1
; LDSByteSize: 0 bytes/workgroup (compile time only)
; SGPRBlocks: 0
; VGPRBlocks: 0
; NumSGPRsForWavesPerEU: 6
; NumVGPRsForWavesPerEU: 1
; AccumOffset: 4
; Occupancy: 8
; WaveLimiterHint : 0
; COMPUTE_PGM_RSRC2:SCRATCH_EN: 0
; COMPUTE_PGM_RSRC2:USER_SGPR: 2
; COMPUTE_PGM_RSRC2:TRAP_HANDLER: 0
; COMPUTE_PGM_RSRC2:TGID_X_EN: 1
; COMPUTE_PGM_RSRC2:TGID_Y_EN: 0
; COMPUTE_PGM_RSRC2:TGID_Z_EN: 0
; COMPUTE_PGM_RSRC2:TIDIG_COMP_CNT: 0
; COMPUTE_PGM_RSRC3_GFX90A:ACCUM_OFFSET: 0
; COMPUTE_PGM_RSRC3_GFX90A:TG_SPLIT: 0
	.section	.text._ZN7rocprim17ROCPRIM_400000_NS6detail17trampoline_kernelINS0_14default_configENS1_25partition_config_selectorILNS1_17partition_subalgoE0EjNS0_10empty_typeEbEEZZNS1_14partition_implILS5_0ELb0ES3_jN6thrust23THRUST_200600_302600_NS6detail15normal_iteratorINSA_10device_ptrIjEEEEPS6_SG_NS0_5tupleIJSF_NSA_16discard_iteratorINSA_11use_defaultEEEEEENSH_IJSG_SG_EEES6_PlJ7is_evenIjEEEE10hipError_tPvRmT3_T4_T5_T6_T7_T9_mT8_P12ihipStream_tbDpT10_ENKUlT_T0_E_clISt17integral_constantIbLb1EES19_EEDaS14_S15_EUlS14_E_NS1_11comp_targetILNS1_3genE3ELNS1_11target_archE908ELNS1_3gpuE7ELNS1_3repE0EEENS1_30default_config_static_selectorELNS0_4arch9wavefront6targetE1EEEvT1_,"axG",@progbits,_ZN7rocprim17ROCPRIM_400000_NS6detail17trampoline_kernelINS0_14default_configENS1_25partition_config_selectorILNS1_17partition_subalgoE0EjNS0_10empty_typeEbEEZZNS1_14partition_implILS5_0ELb0ES3_jN6thrust23THRUST_200600_302600_NS6detail15normal_iteratorINSA_10device_ptrIjEEEEPS6_SG_NS0_5tupleIJSF_NSA_16discard_iteratorINSA_11use_defaultEEEEEENSH_IJSG_SG_EEES6_PlJ7is_evenIjEEEE10hipError_tPvRmT3_T4_T5_T6_T7_T9_mT8_P12ihipStream_tbDpT10_ENKUlT_T0_E_clISt17integral_constantIbLb1EES19_EEDaS14_S15_EUlS14_E_NS1_11comp_targetILNS1_3genE3ELNS1_11target_archE908ELNS1_3gpuE7ELNS1_3repE0EEENS1_30default_config_static_selectorELNS0_4arch9wavefront6targetE1EEEvT1_,comdat
	.protected	_ZN7rocprim17ROCPRIM_400000_NS6detail17trampoline_kernelINS0_14default_configENS1_25partition_config_selectorILNS1_17partition_subalgoE0EjNS0_10empty_typeEbEEZZNS1_14partition_implILS5_0ELb0ES3_jN6thrust23THRUST_200600_302600_NS6detail15normal_iteratorINSA_10device_ptrIjEEEEPS6_SG_NS0_5tupleIJSF_NSA_16discard_iteratorINSA_11use_defaultEEEEEENSH_IJSG_SG_EEES6_PlJ7is_evenIjEEEE10hipError_tPvRmT3_T4_T5_T6_T7_T9_mT8_P12ihipStream_tbDpT10_ENKUlT_T0_E_clISt17integral_constantIbLb1EES19_EEDaS14_S15_EUlS14_E_NS1_11comp_targetILNS1_3genE3ELNS1_11target_archE908ELNS1_3gpuE7ELNS1_3repE0EEENS1_30default_config_static_selectorELNS0_4arch9wavefront6targetE1EEEvT1_ ; -- Begin function _ZN7rocprim17ROCPRIM_400000_NS6detail17trampoline_kernelINS0_14default_configENS1_25partition_config_selectorILNS1_17partition_subalgoE0EjNS0_10empty_typeEbEEZZNS1_14partition_implILS5_0ELb0ES3_jN6thrust23THRUST_200600_302600_NS6detail15normal_iteratorINSA_10device_ptrIjEEEEPS6_SG_NS0_5tupleIJSF_NSA_16discard_iteratorINSA_11use_defaultEEEEEENSH_IJSG_SG_EEES6_PlJ7is_evenIjEEEE10hipError_tPvRmT3_T4_T5_T6_T7_T9_mT8_P12ihipStream_tbDpT10_ENKUlT_T0_E_clISt17integral_constantIbLb1EES19_EEDaS14_S15_EUlS14_E_NS1_11comp_targetILNS1_3genE3ELNS1_11target_archE908ELNS1_3gpuE7ELNS1_3repE0EEENS1_30default_config_static_selectorELNS0_4arch9wavefront6targetE1EEEvT1_
	.globl	_ZN7rocprim17ROCPRIM_400000_NS6detail17trampoline_kernelINS0_14default_configENS1_25partition_config_selectorILNS1_17partition_subalgoE0EjNS0_10empty_typeEbEEZZNS1_14partition_implILS5_0ELb0ES3_jN6thrust23THRUST_200600_302600_NS6detail15normal_iteratorINSA_10device_ptrIjEEEEPS6_SG_NS0_5tupleIJSF_NSA_16discard_iteratorINSA_11use_defaultEEEEEENSH_IJSG_SG_EEES6_PlJ7is_evenIjEEEE10hipError_tPvRmT3_T4_T5_T6_T7_T9_mT8_P12ihipStream_tbDpT10_ENKUlT_T0_E_clISt17integral_constantIbLb1EES19_EEDaS14_S15_EUlS14_E_NS1_11comp_targetILNS1_3genE3ELNS1_11target_archE908ELNS1_3gpuE7ELNS1_3repE0EEENS1_30default_config_static_selectorELNS0_4arch9wavefront6targetE1EEEvT1_
	.p2align	8
	.type	_ZN7rocprim17ROCPRIM_400000_NS6detail17trampoline_kernelINS0_14default_configENS1_25partition_config_selectorILNS1_17partition_subalgoE0EjNS0_10empty_typeEbEEZZNS1_14partition_implILS5_0ELb0ES3_jN6thrust23THRUST_200600_302600_NS6detail15normal_iteratorINSA_10device_ptrIjEEEEPS6_SG_NS0_5tupleIJSF_NSA_16discard_iteratorINSA_11use_defaultEEEEEENSH_IJSG_SG_EEES6_PlJ7is_evenIjEEEE10hipError_tPvRmT3_T4_T5_T6_T7_T9_mT8_P12ihipStream_tbDpT10_ENKUlT_T0_E_clISt17integral_constantIbLb1EES19_EEDaS14_S15_EUlS14_E_NS1_11comp_targetILNS1_3genE3ELNS1_11target_archE908ELNS1_3gpuE7ELNS1_3repE0EEENS1_30default_config_static_selectorELNS0_4arch9wavefront6targetE1EEEvT1_,@function
_ZN7rocprim17ROCPRIM_400000_NS6detail17trampoline_kernelINS0_14default_configENS1_25partition_config_selectorILNS1_17partition_subalgoE0EjNS0_10empty_typeEbEEZZNS1_14partition_implILS5_0ELb0ES3_jN6thrust23THRUST_200600_302600_NS6detail15normal_iteratorINSA_10device_ptrIjEEEEPS6_SG_NS0_5tupleIJSF_NSA_16discard_iteratorINSA_11use_defaultEEEEEENSH_IJSG_SG_EEES6_PlJ7is_evenIjEEEE10hipError_tPvRmT3_T4_T5_T6_T7_T9_mT8_P12ihipStream_tbDpT10_ENKUlT_T0_E_clISt17integral_constantIbLb1EES19_EEDaS14_S15_EUlS14_E_NS1_11comp_targetILNS1_3genE3ELNS1_11target_archE908ELNS1_3gpuE7ELNS1_3repE0EEENS1_30default_config_static_selectorELNS0_4arch9wavefront6targetE1EEEvT1_: ; @_ZN7rocprim17ROCPRIM_400000_NS6detail17trampoline_kernelINS0_14default_configENS1_25partition_config_selectorILNS1_17partition_subalgoE0EjNS0_10empty_typeEbEEZZNS1_14partition_implILS5_0ELb0ES3_jN6thrust23THRUST_200600_302600_NS6detail15normal_iteratorINSA_10device_ptrIjEEEEPS6_SG_NS0_5tupleIJSF_NSA_16discard_iteratorINSA_11use_defaultEEEEEENSH_IJSG_SG_EEES6_PlJ7is_evenIjEEEE10hipError_tPvRmT3_T4_T5_T6_T7_T9_mT8_P12ihipStream_tbDpT10_ENKUlT_T0_E_clISt17integral_constantIbLb1EES19_EEDaS14_S15_EUlS14_E_NS1_11comp_targetILNS1_3genE3ELNS1_11target_archE908ELNS1_3gpuE7ELNS1_3repE0EEENS1_30default_config_static_selectorELNS0_4arch9wavefront6targetE1EEEvT1_
; %bb.0:
	.section	.rodata,"a",@progbits
	.p2align	6, 0x0
	.amdhsa_kernel _ZN7rocprim17ROCPRIM_400000_NS6detail17trampoline_kernelINS0_14default_configENS1_25partition_config_selectorILNS1_17partition_subalgoE0EjNS0_10empty_typeEbEEZZNS1_14partition_implILS5_0ELb0ES3_jN6thrust23THRUST_200600_302600_NS6detail15normal_iteratorINSA_10device_ptrIjEEEEPS6_SG_NS0_5tupleIJSF_NSA_16discard_iteratorINSA_11use_defaultEEEEEENSH_IJSG_SG_EEES6_PlJ7is_evenIjEEEE10hipError_tPvRmT3_T4_T5_T6_T7_T9_mT8_P12ihipStream_tbDpT10_ENKUlT_T0_E_clISt17integral_constantIbLb1EES19_EEDaS14_S15_EUlS14_E_NS1_11comp_targetILNS1_3genE3ELNS1_11target_archE908ELNS1_3gpuE7ELNS1_3repE0EEENS1_30default_config_static_selectorELNS0_4arch9wavefront6targetE1EEEvT1_
		.amdhsa_group_segment_fixed_size 0
		.amdhsa_private_segment_fixed_size 0
		.amdhsa_kernarg_size 144
		.amdhsa_user_sgpr_count 2
		.amdhsa_user_sgpr_dispatch_ptr 0
		.amdhsa_user_sgpr_queue_ptr 0
		.amdhsa_user_sgpr_kernarg_segment_ptr 1
		.amdhsa_user_sgpr_dispatch_id 0
		.amdhsa_user_sgpr_kernarg_preload_length 0
		.amdhsa_user_sgpr_kernarg_preload_offset 0
		.amdhsa_user_sgpr_private_segment_size 0
		.amdhsa_uses_dynamic_stack 0
		.amdhsa_enable_private_segment 0
		.amdhsa_system_sgpr_workgroup_id_x 1
		.amdhsa_system_sgpr_workgroup_id_y 0
		.amdhsa_system_sgpr_workgroup_id_z 0
		.amdhsa_system_sgpr_workgroup_info 0
		.amdhsa_system_vgpr_workitem_id 0
		.amdhsa_next_free_vgpr 1
		.amdhsa_next_free_sgpr 0
		.amdhsa_accum_offset 4
		.amdhsa_reserve_vcc 0
		.amdhsa_float_round_mode_32 0
		.amdhsa_float_round_mode_16_64 0
		.amdhsa_float_denorm_mode_32 3
		.amdhsa_float_denorm_mode_16_64 3
		.amdhsa_dx10_clamp 1
		.amdhsa_ieee_mode 1
		.amdhsa_fp16_overflow 0
		.amdhsa_tg_split 0
		.amdhsa_exception_fp_ieee_invalid_op 0
		.amdhsa_exception_fp_denorm_src 0
		.amdhsa_exception_fp_ieee_div_zero 0
		.amdhsa_exception_fp_ieee_overflow 0
		.amdhsa_exception_fp_ieee_underflow 0
		.amdhsa_exception_fp_ieee_inexact 0
		.amdhsa_exception_int_div_zero 0
	.end_amdhsa_kernel
	.section	.text._ZN7rocprim17ROCPRIM_400000_NS6detail17trampoline_kernelINS0_14default_configENS1_25partition_config_selectorILNS1_17partition_subalgoE0EjNS0_10empty_typeEbEEZZNS1_14partition_implILS5_0ELb0ES3_jN6thrust23THRUST_200600_302600_NS6detail15normal_iteratorINSA_10device_ptrIjEEEEPS6_SG_NS0_5tupleIJSF_NSA_16discard_iteratorINSA_11use_defaultEEEEEENSH_IJSG_SG_EEES6_PlJ7is_evenIjEEEE10hipError_tPvRmT3_T4_T5_T6_T7_T9_mT8_P12ihipStream_tbDpT10_ENKUlT_T0_E_clISt17integral_constantIbLb1EES19_EEDaS14_S15_EUlS14_E_NS1_11comp_targetILNS1_3genE3ELNS1_11target_archE908ELNS1_3gpuE7ELNS1_3repE0EEENS1_30default_config_static_selectorELNS0_4arch9wavefront6targetE1EEEvT1_,"axG",@progbits,_ZN7rocprim17ROCPRIM_400000_NS6detail17trampoline_kernelINS0_14default_configENS1_25partition_config_selectorILNS1_17partition_subalgoE0EjNS0_10empty_typeEbEEZZNS1_14partition_implILS5_0ELb0ES3_jN6thrust23THRUST_200600_302600_NS6detail15normal_iteratorINSA_10device_ptrIjEEEEPS6_SG_NS0_5tupleIJSF_NSA_16discard_iteratorINSA_11use_defaultEEEEEENSH_IJSG_SG_EEES6_PlJ7is_evenIjEEEE10hipError_tPvRmT3_T4_T5_T6_T7_T9_mT8_P12ihipStream_tbDpT10_ENKUlT_T0_E_clISt17integral_constantIbLb1EES19_EEDaS14_S15_EUlS14_E_NS1_11comp_targetILNS1_3genE3ELNS1_11target_archE908ELNS1_3gpuE7ELNS1_3repE0EEENS1_30default_config_static_selectorELNS0_4arch9wavefront6targetE1EEEvT1_,comdat
.Lfunc_end2438:
	.size	_ZN7rocprim17ROCPRIM_400000_NS6detail17trampoline_kernelINS0_14default_configENS1_25partition_config_selectorILNS1_17partition_subalgoE0EjNS0_10empty_typeEbEEZZNS1_14partition_implILS5_0ELb0ES3_jN6thrust23THRUST_200600_302600_NS6detail15normal_iteratorINSA_10device_ptrIjEEEEPS6_SG_NS0_5tupleIJSF_NSA_16discard_iteratorINSA_11use_defaultEEEEEENSH_IJSG_SG_EEES6_PlJ7is_evenIjEEEE10hipError_tPvRmT3_T4_T5_T6_T7_T9_mT8_P12ihipStream_tbDpT10_ENKUlT_T0_E_clISt17integral_constantIbLb1EES19_EEDaS14_S15_EUlS14_E_NS1_11comp_targetILNS1_3genE3ELNS1_11target_archE908ELNS1_3gpuE7ELNS1_3repE0EEENS1_30default_config_static_selectorELNS0_4arch9wavefront6targetE1EEEvT1_, .Lfunc_end2438-_ZN7rocprim17ROCPRIM_400000_NS6detail17trampoline_kernelINS0_14default_configENS1_25partition_config_selectorILNS1_17partition_subalgoE0EjNS0_10empty_typeEbEEZZNS1_14partition_implILS5_0ELb0ES3_jN6thrust23THRUST_200600_302600_NS6detail15normal_iteratorINSA_10device_ptrIjEEEEPS6_SG_NS0_5tupleIJSF_NSA_16discard_iteratorINSA_11use_defaultEEEEEENSH_IJSG_SG_EEES6_PlJ7is_evenIjEEEE10hipError_tPvRmT3_T4_T5_T6_T7_T9_mT8_P12ihipStream_tbDpT10_ENKUlT_T0_E_clISt17integral_constantIbLb1EES19_EEDaS14_S15_EUlS14_E_NS1_11comp_targetILNS1_3genE3ELNS1_11target_archE908ELNS1_3gpuE7ELNS1_3repE0EEENS1_30default_config_static_selectorELNS0_4arch9wavefront6targetE1EEEvT1_
                                        ; -- End function
	.section	.AMDGPU.csdata,"",@progbits
; Kernel info:
; codeLenInByte = 0
; NumSgprs: 6
; NumVgprs: 0
; NumAgprs: 0
; TotalNumVgprs: 0
; ScratchSize: 0
; MemoryBound: 0
; FloatMode: 240
; IeeeMode: 1
; LDSByteSize: 0 bytes/workgroup (compile time only)
; SGPRBlocks: 0
; VGPRBlocks: 0
; NumSGPRsForWavesPerEU: 6
; NumVGPRsForWavesPerEU: 1
; AccumOffset: 4
; Occupancy: 8
; WaveLimiterHint : 0
; COMPUTE_PGM_RSRC2:SCRATCH_EN: 0
; COMPUTE_PGM_RSRC2:USER_SGPR: 2
; COMPUTE_PGM_RSRC2:TRAP_HANDLER: 0
; COMPUTE_PGM_RSRC2:TGID_X_EN: 1
; COMPUTE_PGM_RSRC2:TGID_Y_EN: 0
; COMPUTE_PGM_RSRC2:TGID_Z_EN: 0
; COMPUTE_PGM_RSRC2:TIDIG_COMP_CNT: 0
; COMPUTE_PGM_RSRC3_GFX90A:ACCUM_OFFSET: 0
; COMPUTE_PGM_RSRC3_GFX90A:TG_SPLIT: 0
	.section	.text._ZN7rocprim17ROCPRIM_400000_NS6detail17trampoline_kernelINS0_14default_configENS1_25partition_config_selectorILNS1_17partition_subalgoE0EjNS0_10empty_typeEbEEZZNS1_14partition_implILS5_0ELb0ES3_jN6thrust23THRUST_200600_302600_NS6detail15normal_iteratorINSA_10device_ptrIjEEEEPS6_SG_NS0_5tupleIJSF_NSA_16discard_iteratorINSA_11use_defaultEEEEEENSH_IJSG_SG_EEES6_PlJ7is_evenIjEEEE10hipError_tPvRmT3_T4_T5_T6_T7_T9_mT8_P12ihipStream_tbDpT10_ENKUlT_T0_E_clISt17integral_constantIbLb1EES19_EEDaS14_S15_EUlS14_E_NS1_11comp_targetILNS1_3genE2ELNS1_11target_archE906ELNS1_3gpuE6ELNS1_3repE0EEENS1_30default_config_static_selectorELNS0_4arch9wavefront6targetE1EEEvT1_,"axG",@progbits,_ZN7rocprim17ROCPRIM_400000_NS6detail17trampoline_kernelINS0_14default_configENS1_25partition_config_selectorILNS1_17partition_subalgoE0EjNS0_10empty_typeEbEEZZNS1_14partition_implILS5_0ELb0ES3_jN6thrust23THRUST_200600_302600_NS6detail15normal_iteratorINSA_10device_ptrIjEEEEPS6_SG_NS0_5tupleIJSF_NSA_16discard_iteratorINSA_11use_defaultEEEEEENSH_IJSG_SG_EEES6_PlJ7is_evenIjEEEE10hipError_tPvRmT3_T4_T5_T6_T7_T9_mT8_P12ihipStream_tbDpT10_ENKUlT_T0_E_clISt17integral_constantIbLb1EES19_EEDaS14_S15_EUlS14_E_NS1_11comp_targetILNS1_3genE2ELNS1_11target_archE906ELNS1_3gpuE6ELNS1_3repE0EEENS1_30default_config_static_selectorELNS0_4arch9wavefront6targetE1EEEvT1_,comdat
	.protected	_ZN7rocprim17ROCPRIM_400000_NS6detail17trampoline_kernelINS0_14default_configENS1_25partition_config_selectorILNS1_17partition_subalgoE0EjNS0_10empty_typeEbEEZZNS1_14partition_implILS5_0ELb0ES3_jN6thrust23THRUST_200600_302600_NS6detail15normal_iteratorINSA_10device_ptrIjEEEEPS6_SG_NS0_5tupleIJSF_NSA_16discard_iteratorINSA_11use_defaultEEEEEENSH_IJSG_SG_EEES6_PlJ7is_evenIjEEEE10hipError_tPvRmT3_T4_T5_T6_T7_T9_mT8_P12ihipStream_tbDpT10_ENKUlT_T0_E_clISt17integral_constantIbLb1EES19_EEDaS14_S15_EUlS14_E_NS1_11comp_targetILNS1_3genE2ELNS1_11target_archE906ELNS1_3gpuE6ELNS1_3repE0EEENS1_30default_config_static_selectorELNS0_4arch9wavefront6targetE1EEEvT1_ ; -- Begin function _ZN7rocprim17ROCPRIM_400000_NS6detail17trampoline_kernelINS0_14default_configENS1_25partition_config_selectorILNS1_17partition_subalgoE0EjNS0_10empty_typeEbEEZZNS1_14partition_implILS5_0ELb0ES3_jN6thrust23THRUST_200600_302600_NS6detail15normal_iteratorINSA_10device_ptrIjEEEEPS6_SG_NS0_5tupleIJSF_NSA_16discard_iteratorINSA_11use_defaultEEEEEENSH_IJSG_SG_EEES6_PlJ7is_evenIjEEEE10hipError_tPvRmT3_T4_T5_T6_T7_T9_mT8_P12ihipStream_tbDpT10_ENKUlT_T0_E_clISt17integral_constantIbLb1EES19_EEDaS14_S15_EUlS14_E_NS1_11comp_targetILNS1_3genE2ELNS1_11target_archE906ELNS1_3gpuE6ELNS1_3repE0EEENS1_30default_config_static_selectorELNS0_4arch9wavefront6targetE1EEEvT1_
	.globl	_ZN7rocprim17ROCPRIM_400000_NS6detail17trampoline_kernelINS0_14default_configENS1_25partition_config_selectorILNS1_17partition_subalgoE0EjNS0_10empty_typeEbEEZZNS1_14partition_implILS5_0ELb0ES3_jN6thrust23THRUST_200600_302600_NS6detail15normal_iteratorINSA_10device_ptrIjEEEEPS6_SG_NS0_5tupleIJSF_NSA_16discard_iteratorINSA_11use_defaultEEEEEENSH_IJSG_SG_EEES6_PlJ7is_evenIjEEEE10hipError_tPvRmT3_T4_T5_T6_T7_T9_mT8_P12ihipStream_tbDpT10_ENKUlT_T0_E_clISt17integral_constantIbLb1EES19_EEDaS14_S15_EUlS14_E_NS1_11comp_targetILNS1_3genE2ELNS1_11target_archE906ELNS1_3gpuE6ELNS1_3repE0EEENS1_30default_config_static_selectorELNS0_4arch9wavefront6targetE1EEEvT1_
	.p2align	8
	.type	_ZN7rocprim17ROCPRIM_400000_NS6detail17trampoline_kernelINS0_14default_configENS1_25partition_config_selectorILNS1_17partition_subalgoE0EjNS0_10empty_typeEbEEZZNS1_14partition_implILS5_0ELb0ES3_jN6thrust23THRUST_200600_302600_NS6detail15normal_iteratorINSA_10device_ptrIjEEEEPS6_SG_NS0_5tupleIJSF_NSA_16discard_iteratorINSA_11use_defaultEEEEEENSH_IJSG_SG_EEES6_PlJ7is_evenIjEEEE10hipError_tPvRmT3_T4_T5_T6_T7_T9_mT8_P12ihipStream_tbDpT10_ENKUlT_T0_E_clISt17integral_constantIbLb1EES19_EEDaS14_S15_EUlS14_E_NS1_11comp_targetILNS1_3genE2ELNS1_11target_archE906ELNS1_3gpuE6ELNS1_3repE0EEENS1_30default_config_static_selectorELNS0_4arch9wavefront6targetE1EEEvT1_,@function
_ZN7rocprim17ROCPRIM_400000_NS6detail17trampoline_kernelINS0_14default_configENS1_25partition_config_selectorILNS1_17partition_subalgoE0EjNS0_10empty_typeEbEEZZNS1_14partition_implILS5_0ELb0ES3_jN6thrust23THRUST_200600_302600_NS6detail15normal_iteratorINSA_10device_ptrIjEEEEPS6_SG_NS0_5tupleIJSF_NSA_16discard_iteratorINSA_11use_defaultEEEEEENSH_IJSG_SG_EEES6_PlJ7is_evenIjEEEE10hipError_tPvRmT3_T4_T5_T6_T7_T9_mT8_P12ihipStream_tbDpT10_ENKUlT_T0_E_clISt17integral_constantIbLb1EES19_EEDaS14_S15_EUlS14_E_NS1_11comp_targetILNS1_3genE2ELNS1_11target_archE906ELNS1_3gpuE6ELNS1_3repE0EEENS1_30default_config_static_selectorELNS0_4arch9wavefront6targetE1EEEvT1_: ; @_ZN7rocprim17ROCPRIM_400000_NS6detail17trampoline_kernelINS0_14default_configENS1_25partition_config_selectorILNS1_17partition_subalgoE0EjNS0_10empty_typeEbEEZZNS1_14partition_implILS5_0ELb0ES3_jN6thrust23THRUST_200600_302600_NS6detail15normal_iteratorINSA_10device_ptrIjEEEEPS6_SG_NS0_5tupleIJSF_NSA_16discard_iteratorINSA_11use_defaultEEEEEENSH_IJSG_SG_EEES6_PlJ7is_evenIjEEEE10hipError_tPvRmT3_T4_T5_T6_T7_T9_mT8_P12ihipStream_tbDpT10_ENKUlT_T0_E_clISt17integral_constantIbLb1EES19_EEDaS14_S15_EUlS14_E_NS1_11comp_targetILNS1_3genE2ELNS1_11target_archE906ELNS1_3gpuE6ELNS1_3repE0EEENS1_30default_config_static_selectorELNS0_4arch9wavefront6targetE1EEEvT1_
; %bb.0:
	.section	.rodata,"a",@progbits
	.p2align	6, 0x0
	.amdhsa_kernel _ZN7rocprim17ROCPRIM_400000_NS6detail17trampoline_kernelINS0_14default_configENS1_25partition_config_selectorILNS1_17partition_subalgoE0EjNS0_10empty_typeEbEEZZNS1_14partition_implILS5_0ELb0ES3_jN6thrust23THRUST_200600_302600_NS6detail15normal_iteratorINSA_10device_ptrIjEEEEPS6_SG_NS0_5tupleIJSF_NSA_16discard_iteratorINSA_11use_defaultEEEEEENSH_IJSG_SG_EEES6_PlJ7is_evenIjEEEE10hipError_tPvRmT3_T4_T5_T6_T7_T9_mT8_P12ihipStream_tbDpT10_ENKUlT_T0_E_clISt17integral_constantIbLb1EES19_EEDaS14_S15_EUlS14_E_NS1_11comp_targetILNS1_3genE2ELNS1_11target_archE906ELNS1_3gpuE6ELNS1_3repE0EEENS1_30default_config_static_selectorELNS0_4arch9wavefront6targetE1EEEvT1_
		.amdhsa_group_segment_fixed_size 0
		.amdhsa_private_segment_fixed_size 0
		.amdhsa_kernarg_size 144
		.amdhsa_user_sgpr_count 2
		.amdhsa_user_sgpr_dispatch_ptr 0
		.amdhsa_user_sgpr_queue_ptr 0
		.amdhsa_user_sgpr_kernarg_segment_ptr 1
		.amdhsa_user_sgpr_dispatch_id 0
		.amdhsa_user_sgpr_kernarg_preload_length 0
		.amdhsa_user_sgpr_kernarg_preload_offset 0
		.amdhsa_user_sgpr_private_segment_size 0
		.amdhsa_uses_dynamic_stack 0
		.amdhsa_enable_private_segment 0
		.amdhsa_system_sgpr_workgroup_id_x 1
		.amdhsa_system_sgpr_workgroup_id_y 0
		.amdhsa_system_sgpr_workgroup_id_z 0
		.amdhsa_system_sgpr_workgroup_info 0
		.amdhsa_system_vgpr_workitem_id 0
		.amdhsa_next_free_vgpr 1
		.amdhsa_next_free_sgpr 0
		.amdhsa_accum_offset 4
		.amdhsa_reserve_vcc 0
		.amdhsa_float_round_mode_32 0
		.amdhsa_float_round_mode_16_64 0
		.amdhsa_float_denorm_mode_32 3
		.amdhsa_float_denorm_mode_16_64 3
		.amdhsa_dx10_clamp 1
		.amdhsa_ieee_mode 1
		.amdhsa_fp16_overflow 0
		.amdhsa_tg_split 0
		.amdhsa_exception_fp_ieee_invalid_op 0
		.amdhsa_exception_fp_denorm_src 0
		.amdhsa_exception_fp_ieee_div_zero 0
		.amdhsa_exception_fp_ieee_overflow 0
		.amdhsa_exception_fp_ieee_underflow 0
		.amdhsa_exception_fp_ieee_inexact 0
		.amdhsa_exception_int_div_zero 0
	.end_amdhsa_kernel
	.section	.text._ZN7rocprim17ROCPRIM_400000_NS6detail17trampoline_kernelINS0_14default_configENS1_25partition_config_selectorILNS1_17partition_subalgoE0EjNS0_10empty_typeEbEEZZNS1_14partition_implILS5_0ELb0ES3_jN6thrust23THRUST_200600_302600_NS6detail15normal_iteratorINSA_10device_ptrIjEEEEPS6_SG_NS0_5tupleIJSF_NSA_16discard_iteratorINSA_11use_defaultEEEEEENSH_IJSG_SG_EEES6_PlJ7is_evenIjEEEE10hipError_tPvRmT3_T4_T5_T6_T7_T9_mT8_P12ihipStream_tbDpT10_ENKUlT_T0_E_clISt17integral_constantIbLb1EES19_EEDaS14_S15_EUlS14_E_NS1_11comp_targetILNS1_3genE2ELNS1_11target_archE906ELNS1_3gpuE6ELNS1_3repE0EEENS1_30default_config_static_selectorELNS0_4arch9wavefront6targetE1EEEvT1_,"axG",@progbits,_ZN7rocprim17ROCPRIM_400000_NS6detail17trampoline_kernelINS0_14default_configENS1_25partition_config_selectorILNS1_17partition_subalgoE0EjNS0_10empty_typeEbEEZZNS1_14partition_implILS5_0ELb0ES3_jN6thrust23THRUST_200600_302600_NS6detail15normal_iteratorINSA_10device_ptrIjEEEEPS6_SG_NS0_5tupleIJSF_NSA_16discard_iteratorINSA_11use_defaultEEEEEENSH_IJSG_SG_EEES6_PlJ7is_evenIjEEEE10hipError_tPvRmT3_T4_T5_T6_T7_T9_mT8_P12ihipStream_tbDpT10_ENKUlT_T0_E_clISt17integral_constantIbLb1EES19_EEDaS14_S15_EUlS14_E_NS1_11comp_targetILNS1_3genE2ELNS1_11target_archE906ELNS1_3gpuE6ELNS1_3repE0EEENS1_30default_config_static_selectorELNS0_4arch9wavefront6targetE1EEEvT1_,comdat
.Lfunc_end2439:
	.size	_ZN7rocprim17ROCPRIM_400000_NS6detail17trampoline_kernelINS0_14default_configENS1_25partition_config_selectorILNS1_17partition_subalgoE0EjNS0_10empty_typeEbEEZZNS1_14partition_implILS5_0ELb0ES3_jN6thrust23THRUST_200600_302600_NS6detail15normal_iteratorINSA_10device_ptrIjEEEEPS6_SG_NS0_5tupleIJSF_NSA_16discard_iteratorINSA_11use_defaultEEEEEENSH_IJSG_SG_EEES6_PlJ7is_evenIjEEEE10hipError_tPvRmT3_T4_T5_T6_T7_T9_mT8_P12ihipStream_tbDpT10_ENKUlT_T0_E_clISt17integral_constantIbLb1EES19_EEDaS14_S15_EUlS14_E_NS1_11comp_targetILNS1_3genE2ELNS1_11target_archE906ELNS1_3gpuE6ELNS1_3repE0EEENS1_30default_config_static_selectorELNS0_4arch9wavefront6targetE1EEEvT1_, .Lfunc_end2439-_ZN7rocprim17ROCPRIM_400000_NS6detail17trampoline_kernelINS0_14default_configENS1_25partition_config_selectorILNS1_17partition_subalgoE0EjNS0_10empty_typeEbEEZZNS1_14partition_implILS5_0ELb0ES3_jN6thrust23THRUST_200600_302600_NS6detail15normal_iteratorINSA_10device_ptrIjEEEEPS6_SG_NS0_5tupleIJSF_NSA_16discard_iteratorINSA_11use_defaultEEEEEENSH_IJSG_SG_EEES6_PlJ7is_evenIjEEEE10hipError_tPvRmT3_T4_T5_T6_T7_T9_mT8_P12ihipStream_tbDpT10_ENKUlT_T0_E_clISt17integral_constantIbLb1EES19_EEDaS14_S15_EUlS14_E_NS1_11comp_targetILNS1_3genE2ELNS1_11target_archE906ELNS1_3gpuE6ELNS1_3repE0EEENS1_30default_config_static_selectorELNS0_4arch9wavefront6targetE1EEEvT1_
                                        ; -- End function
	.section	.AMDGPU.csdata,"",@progbits
; Kernel info:
; codeLenInByte = 0
; NumSgprs: 6
; NumVgprs: 0
; NumAgprs: 0
; TotalNumVgprs: 0
; ScratchSize: 0
; MemoryBound: 0
; FloatMode: 240
; IeeeMode: 1
; LDSByteSize: 0 bytes/workgroup (compile time only)
; SGPRBlocks: 0
; VGPRBlocks: 0
; NumSGPRsForWavesPerEU: 6
; NumVGPRsForWavesPerEU: 1
; AccumOffset: 4
; Occupancy: 8
; WaveLimiterHint : 0
; COMPUTE_PGM_RSRC2:SCRATCH_EN: 0
; COMPUTE_PGM_RSRC2:USER_SGPR: 2
; COMPUTE_PGM_RSRC2:TRAP_HANDLER: 0
; COMPUTE_PGM_RSRC2:TGID_X_EN: 1
; COMPUTE_PGM_RSRC2:TGID_Y_EN: 0
; COMPUTE_PGM_RSRC2:TGID_Z_EN: 0
; COMPUTE_PGM_RSRC2:TIDIG_COMP_CNT: 0
; COMPUTE_PGM_RSRC3_GFX90A:ACCUM_OFFSET: 0
; COMPUTE_PGM_RSRC3_GFX90A:TG_SPLIT: 0
	.section	.text._ZN7rocprim17ROCPRIM_400000_NS6detail17trampoline_kernelINS0_14default_configENS1_25partition_config_selectorILNS1_17partition_subalgoE0EjNS0_10empty_typeEbEEZZNS1_14partition_implILS5_0ELb0ES3_jN6thrust23THRUST_200600_302600_NS6detail15normal_iteratorINSA_10device_ptrIjEEEEPS6_SG_NS0_5tupleIJSF_NSA_16discard_iteratorINSA_11use_defaultEEEEEENSH_IJSG_SG_EEES6_PlJ7is_evenIjEEEE10hipError_tPvRmT3_T4_T5_T6_T7_T9_mT8_P12ihipStream_tbDpT10_ENKUlT_T0_E_clISt17integral_constantIbLb1EES19_EEDaS14_S15_EUlS14_E_NS1_11comp_targetILNS1_3genE10ELNS1_11target_archE1200ELNS1_3gpuE4ELNS1_3repE0EEENS1_30default_config_static_selectorELNS0_4arch9wavefront6targetE1EEEvT1_,"axG",@progbits,_ZN7rocprim17ROCPRIM_400000_NS6detail17trampoline_kernelINS0_14default_configENS1_25partition_config_selectorILNS1_17partition_subalgoE0EjNS0_10empty_typeEbEEZZNS1_14partition_implILS5_0ELb0ES3_jN6thrust23THRUST_200600_302600_NS6detail15normal_iteratorINSA_10device_ptrIjEEEEPS6_SG_NS0_5tupleIJSF_NSA_16discard_iteratorINSA_11use_defaultEEEEEENSH_IJSG_SG_EEES6_PlJ7is_evenIjEEEE10hipError_tPvRmT3_T4_T5_T6_T7_T9_mT8_P12ihipStream_tbDpT10_ENKUlT_T0_E_clISt17integral_constantIbLb1EES19_EEDaS14_S15_EUlS14_E_NS1_11comp_targetILNS1_3genE10ELNS1_11target_archE1200ELNS1_3gpuE4ELNS1_3repE0EEENS1_30default_config_static_selectorELNS0_4arch9wavefront6targetE1EEEvT1_,comdat
	.protected	_ZN7rocprim17ROCPRIM_400000_NS6detail17trampoline_kernelINS0_14default_configENS1_25partition_config_selectorILNS1_17partition_subalgoE0EjNS0_10empty_typeEbEEZZNS1_14partition_implILS5_0ELb0ES3_jN6thrust23THRUST_200600_302600_NS6detail15normal_iteratorINSA_10device_ptrIjEEEEPS6_SG_NS0_5tupleIJSF_NSA_16discard_iteratorINSA_11use_defaultEEEEEENSH_IJSG_SG_EEES6_PlJ7is_evenIjEEEE10hipError_tPvRmT3_T4_T5_T6_T7_T9_mT8_P12ihipStream_tbDpT10_ENKUlT_T0_E_clISt17integral_constantIbLb1EES19_EEDaS14_S15_EUlS14_E_NS1_11comp_targetILNS1_3genE10ELNS1_11target_archE1200ELNS1_3gpuE4ELNS1_3repE0EEENS1_30default_config_static_selectorELNS0_4arch9wavefront6targetE1EEEvT1_ ; -- Begin function _ZN7rocprim17ROCPRIM_400000_NS6detail17trampoline_kernelINS0_14default_configENS1_25partition_config_selectorILNS1_17partition_subalgoE0EjNS0_10empty_typeEbEEZZNS1_14partition_implILS5_0ELb0ES3_jN6thrust23THRUST_200600_302600_NS6detail15normal_iteratorINSA_10device_ptrIjEEEEPS6_SG_NS0_5tupleIJSF_NSA_16discard_iteratorINSA_11use_defaultEEEEEENSH_IJSG_SG_EEES6_PlJ7is_evenIjEEEE10hipError_tPvRmT3_T4_T5_T6_T7_T9_mT8_P12ihipStream_tbDpT10_ENKUlT_T0_E_clISt17integral_constantIbLb1EES19_EEDaS14_S15_EUlS14_E_NS1_11comp_targetILNS1_3genE10ELNS1_11target_archE1200ELNS1_3gpuE4ELNS1_3repE0EEENS1_30default_config_static_selectorELNS0_4arch9wavefront6targetE1EEEvT1_
	.globl	_ZN7rocprim17ROCPRIM_400000_NS6detail17trampoline_kernelINS0_14default_configENS1_25partition_config_selectorILNS1_17partition_subalgoE0EjNS0_10empty_typeEbEEZZNS1_14partition_implILS5_0ELb0ES3_jN6thrust23THRUST_200600_302600_NS6detail15normal_iteratorINSA_10device_ptrIjEEEEPS6_SG_NS0_5tupleIJSF_NSA_16discard_iteratorINSA_11use_defaultEEEEEENSH_IJSG_SG_EEES6_PlJ7is_evenIjEEEE10hipError_tPvRmT3_T4_T5_T6_T7_T9_mT8_P12ihipStream_tbDpT10_ENKUlT_T0_E_clISt17integral_constantIbLb1EES19_EEDaS14_S15_EUlS14_E_NS1_11comp_targetILNS1_3genE10ELNS1_11target_archE1200ELNS1_3gpuE4ELNS1_3repE0EEENS1_30default_config_static_selectorELNS0_4arch9wavefront6targetE1EEEvT1_
	.p2align	8
	.type	_ZN7rocprim17ROCPRIM_400000_NS6detail17trampoline_kernelINS0_14default_configENS1_25partition_config_selectorILNS1_17partition_subalgoE0EjNS0_10empty_typeEbEEZZNS1_14partition_implILS5_0ELb0ES3_jN6thrust23THRUST_200600_302600_NS6detail15normal_iteratorINSA_10device_ptrIjEEEEPS6_SG_NS0_5tupleIJSF_NSA_16discard_iteratorINSA_11use_defaultEEEEEENSH_IJSG_SG_EEES6_PlJ7is_evenIjEEEE10hipError_tPvRmT3_T4_T5_T6_T7_T9_mT8_P12ihipStream_tbDpT10_ENKUlT_T0_E_clISt17integral_constantIbLb1EES19_EEDaS14_S15_EUlS14_E_NS1_11comp_targetILNS1_3genE10ELNS1_11target_archE1200ELNS1_3gpuE4ELNS1_3repE0EEENS1_30default_config_static_selectorELNS0_4arch9wavefront6targetE1EEEvT1_,@function
_ZN7rocprim17ROCPRIM_400000_NS6detail17trampoline_kernelINS0_14default_configENS1_25partition_config_selectorILNS1_17partition_subalgoE0EjNS0_10empty_typeEbEEZZNS1_14partition_implILS5_0ELb0ES3_jN6thrust23THRUST_200600_302600_NS6detail15normal_iteratorINSA_10device_ptrIjEEEEPS6_SG_NS0_5tupleIJSF_NSA_16discard_iteratorINSA_11use_defaultEEEEEENSH_IJSG_SG_EEES6_PlJ7is_evenIjEEEE10hipError_tPvRmT3_T4_T5_T6_T7_T9_mT8_P12ihipStream_tbDpT10_ENKUlT_T0_E_clISt17integral_constantIbLb1EES19_EEDaS14_S15_EUlS14_E_NS1_11comp_targetILNS1_3genE10ELNS1_11target_archE1200ELNS1_3gpuE4ELNS1_3repE0EEENS1_30default_config_static_selectorELNS0_4arch9wavefront6targetE1EEEvT1_: ; @_ZN7rocprim17ROCPRIM_400000_NS6detail17trampoline_kernelINS0_14default_configENS1_25partition_config_selectorILNS1_17partition_subalgoE0EjNS0_10empty_typeEbEEZZNS1_14partition_implILS5_0ELb0ES3_jN6thrust23THRUST_200600_302600_NS6detail15normal_iteratorINSA_10device_ptrIjEEEEPS6_SG_NS0_5tupleIJSF_NSA_16discard_iteratorINSA_11use_defaultEEEEEENSH_IJSG_SG_EEES6_PlJ7is_evenIjEEEE10hipError_tPvRmT3_T4_T5_T6_T7_T9_mT8_P12ihipStream_tbDpT10_ENKUlT_T0_E_clISt17integral_constantIbLb1EES19_EEDaS14_S15_EUlS14_E_NS1_11comp_targetILNS1_3genE10ELNS1_11target_archE1200ELNS1_3gpuE4ELNS1_3repE0EEENS1_30default_config_static_selectorELNS0_4arch9wavefront6targetE1EEEvT1_
; %bb.0:
	.section	.rodata,"a",@progbits
	.p2align	6, 0x0
	.amdhsa_kernel _ZN7rocprim17ROCPRIM_400000_NS6detail17trampoline_kernelINS0_14default_configENS1_25partition_config_selectorILNS1_17partition_subalgoE0EjNS0_10empty_typeEbEEZZNS1_14partition_implILS5_0ELb0ES3_jN6thrust23THRUST_200600_302600_NS6detail15normal_iteratorINSA_10device_ptrIjEEEEPS6_SG_NS0_5tupleIJSF_NSA_16discard_iteratorINSA_11use_defaultEEEEEENSH_IJSG_SG_EEES6_PlJ7is_evenIjEEEE10hipError_tPvRmT3_T4_T5_T6_T7_T9_mT8_P12ihipStream_tbDpT10_ENKUlT_T0_E_clISt17integral_constantIbLb1EES19_EEDaS14_S15_EUlS14_E_NS1_11comp_targetILNS1_3genE10ELNS1_11target_archE1200ELNS1_3gpuE4ELNS1_3repE0EEENS1_30default_config_static_selectorELNS0_4arch9wavefront6targetE1EEEvT1_
		.amdhsa_group_segment_fixed_size 0
		.amdhsa_private_segment_fixed_size 0
		.amdhsa_kernarg_size 144
		.amdhsa_user_sgpr_count 2
		.amdhsa_user_sgpr_dispatch_ptr 0
		.amdhsa_user_sgpr_queue_ptr 0
		.amdhsa_user_sgpr_kernarg_segment_ptr 1
		.amdhsa_user_sgpr_dispatch_id 0
		.amdhsa_user_sgpr_kernarg_preload_length 0
		.amdhsa_user_sgpr_kernarg_preload_offset 0
		.amdhsa_user_sgpr_private_segment_size 0
		.amdhsa_uses_dynamic_stack 0
		.amdhsa_enable_private_segment 0
		.amdhsa_system_sgpr_workgroup_id_x 1
		.amdhsa_system_sgpr_workgroup_id_y 0
		.amdhsa_system_sgpr_workgroup_id_z 0
		.amdhsa_system_sgpr_workgroup_info 0
		.amdhsa_system_vgpr_workitem_id 0
		.amdhsa_next_free_vgpr 1
		.amdhsa_next_free_sgpr 0
		.amdhsa_accum_offset 4
		.amdhsa_reserve_vcc 0
		.amdhsa_float_round_mode_32 0
		.amdhsa_float_round_mode_16_64 0
		.amdhsa_float_denorm_mode_32 3
		.amdhsa_float_denorm_mode_16_64 3
		.amdhsa_dx10_clamp 1
		.amdhsa_ieee_mode 1
		.amdhsa_fp16_overflow 0
		.amdhsa_tg_split 0
		.amdhsa_exception_fp_ieee_invalid_op 0
		.amdhsa_exception_fp_denorm_src 0
		.amdhsa_exception_fp_ieee_div_zero 0
		.amdhsa_exception_fp_ieee_overflow 0
		.amdhsa_exception_fp_ieee_underflow 0
		.amdhsa_exception_fp_ieee_inexact 0
		.amdhsa_exception_int_div_zero 0
	.end_amdhsa_kernel
	.section	.text._ZN7rocprim17ROCPRIM_400000_NS6detail17trampoline_kernelINS0_14default_configENS1_25partition_config_selectorILNS1_17partition_subalgoE0EjNS0_10empty_typeEbEEZZNS1_14partition_implILS5_0ELb0ES3_jN6thrust23THRUST_200600_302600_NS6detail15normal_iteratorINSA_10device_ptrIjEEEEPS6_SG_NS0_5tupleIJSF_NSA_16discard_iteratorINSA_11use_defaultEEEEEENSH_IJSG_SG_EEES6_PlJ7is_evenIjEEEE10hipError_tPvRmT3_T4_T5_T6_T7_T9_mT8_P12ihipStream_tbDpT10_ENKUlT_T0_E_clISt17integral_constantIbLb1EES19_EEDaS14_S15_EUlS14_E_NS1_11comp_targetILNS1_3genE10ELNS1_11target_archE1200ELNS1_3gpuE4ELNS1_3repE0EEENS1_30default_config_static_selectorELNS0_4arch9wavefront6targetE1EEEvT1_,"axG",@progbits,_ZN7rocprim17ROCPRIM_400000_NS6detail17trampoline_kernelINS0_14default_configENS1_25partition_config_selectorILNS1_17partition_subalgoE0EjNS0_10empty_typeEbEEZZNS1_14partition_implILS5_0ELb0ES3_jN6thrust23THRUST_200600_302600_NS6detail15normal_iteratorINSA_10device_ptrIjEEEEPS6_SG_NS0_5tupleIJSF_NSA_16discard_iteratorINSA_11use_defaultEEEEEENSH_IJSG_SG_EEES6_PlJ7is_evenIjEEEE10hipError_tPvRmT3_T4_T5_T6_T7_T9_mT8_P12ihipStream_tbDpT10_ENKUlT_T0_E_clISt17integral_constantIbLb1EES19_EEDaS14_S15_EUlS14_E_NS1_11comp_targetILNS1_3genE10ELNS1_11target_archE1200ELNS1_3gpuE4ELNS1_3repE0EEENS1_30default_config_static_selectorELNS0_4arch9wavefront6targetE1EEEvT1_,comdat
.Lfunc_end2440:
	.size	_ZN7rocprim17ROCPRIM_400000_NS6detail17trampoline_kernelINS0_14default_configENS1_25partition_config_selectorILNS1_17partition_subalgoE0EjNS0_10empty_typeEbEEZZNS1_14partition_implILS5_0ELb0ES3_jN6thrust23THRUST_200600_302600_NS6detail15normal_iteratorINSA_10device_ptrIjEEEEPS6_SG_NS0_5tupleIJSF_NSA_16discard_iteratorINSA_11use_defaultEEEEEENSH_IJSG_SG_EEES6_PlJ7is_evenIjEEEE10hipError_tPvRmT3_T4_T5_T6_T7_T9_mT8_P12ihipStream_tbDpT10_ENKUlT_T0_E_clISt17integral_constantIbLb1EES19_EEDaS14_S15_EUlS14_E_NS1_11comp_targetILNS1_3genE10ELNS1_11target_archE1200ELNS1_3gpuE4ELNS1_3repE0EEENS1_30default_config_static_selectorELNS0_4arch9wavefront6targetE1EEEvT1_, .Lfunc_end2440-_ZN7rocprim17ROCPRIM_400000_NS6detail17trampoline_kernelINS0_14default_configENS1_25partition_config_selectorILNS1_17partition_subalgoE0EjNS0_10empty_typeEbEEZZNS1_14partition_implILS5_0ELb0ES3_jN6thrust23THRUST_200600_302600_NS6detail15normal_iteratorINSA_10device_ptrIjEEEEPS6_SG_NS0_5tupleIJSF_NSA_16discard_iteratorINSA_11use_defaultEEEEEENSH_IJSG_SG_EEES6_PlJ7is_evenIjEEEE10hipError_tPvRmT3_T4_T5_T6_T7_T9_mT8_P12ihipStream_tbDpT10_ENKUlT_T0_E_clISt17integral_constantIbLb1EES19_EEDaS14_S15_EUlS14_E_NS1_11comp_targetILNS1_3genE10ELNS1_11target_archE1200ELNS1_3gpuE4ELNS1_3repE0EEENS1_30default_config_static_selectorELNS0_4arch9wavefront6targetE1EEEvT1_
                                        ; -- End function
	.section	.AMDGPU.csdata,"",@progbits
; Kernel info:
; codeLenInByte = 0
; NumSgprs: 6
; NumVgprs: 0
; NumAgprs: 0
; TotalNumVgprs: 0
; ScratchSize: 0
; MemoryBound: 0
; FloatMode: 240
; IeeeMode: 1
; LDSByteSize: 0 bytes/workgroup (compile time only)
; SGPRBlocks: 0
; VGPRBlocks: 0
; NumSGPRsForWavesPerEU: 6
; NumVGPRsForWavesPerEU: 1
; AccumOffset: 4
; Occupancy: 8
; WaveLimiterHint : 0
; COMPUTE_PGM_RSRC2:SCRATCH_EN: 0
; COMPUTE_PGM_RSRC2:USER_SGPR: 2
; COMPUTE_PGM_RSRC2:TRAP_HANDLER: 0
; COMPUTE_PGM_RSRC2:TGID_X_EN: 1
; COMPUTE_PGM_RSRC2:TGID_Y_EN: 0
; COMPUTE_PGM_RSRC2:TGID_Z_EN: 0
; COMPUTE_PGM_RSRC2:TIDIG_COMP_CNT: 0
; COMPUTE_PGM_RSRC3_GFX90A:ACCUM_OFFSET: 0
; COMPUTE_PGM_RSRC3_GFX90A:TG_SPLIT: 0
	.section	.text._ZN7rocprim17ROCPRIM_400000_NS6detail17trampoline_kernelINS0_14default_configENS1_25partition_config_selectorILNS1_17partition_subalgoE0EjNS0_10empty_typeEbEEZZNS1_14partition_implILS5_0ELb0ES3_jN6thrust23THRUST_200600_302600_NS6detail15normal_iteratorINSA_10device_ptrIjEEEEPS6_SG_NS0_5tupleIJSF_NSA_16discard_iteratorINSA_11use_defaultEEEEEENSH_IJSG_SG_EEES6_PlJ7is_evenIjEEEE10hipError_tPvRmT3_T4_T5_T6_T7_T9_mT8_P12ihipStream_tbDpT10_ENKUlT_T0_E_clISt17integral_constantIbLb1EES19_EEDaS14_S15_EUlS14_E_NS1_11comp_targetILNS1_3genE9ELNS1_11target_archE1100ELNS1_3gpuE3ELNS1_3repE0EEENS1_30default_config_static_selectorELNS0_4arch9wavefront6targetE1EEEvT1_,"axG",@progbits,_ZN7rocprim17ROCPRIM_400000_NS6detail17trampoline_kernelINS0_14default_configENS1_25partition_config_selectorILNS1_17partition_subalgoE0EjNS0_10empty_typeEbEEZZNS1_14partition_implILS5_0ELb0ES3_jN6thrust23THRUST_200600_302600_NS6detail15normal_iteratorINSA_10device_ptrIjEEEEPS6_SG_NS0_5tupleIJSF_NSA_16discard_iteratorINSA_11use_defaultEEEEEENSH_IJSG_SG_EEES6_PlJ7is_evenIjEEEE10hipError_tPvRmT3_T4_T5_T6_T7_T9_mT8_P12ihipStream_tbDpT10_ENKUlT_T0_E_clISt17integral_constantIbLb1EES19_EEDaS14_S15_EUlS14_E_NS1_11comp_targetILNS1_3genE9ELNS1_11target_archE1100ELNS1_3gpuE3ELNS1_3repE0EEENS1_30default_config_static_selectorELNS0_4arch9wavefront6targetE1EEEvT1_,comdat
	.protected	_ZN7rocprim17ROCPRIM_400000_NS6detail17trampoline_kernelINS0_14default_configENS1_25partition_config_selectorILNS1_17partition_subalgoE0EjNS0_10empty_typeEbEEZZNS1_14partition_implILS5_0ELb0ES3_jN6thrust23THRUST_200600_302600_NS6detail15normal_iteratorINSA_10device_ptrIjEEEEPS6_SG_NS0_5tupleIJSF_NSA_16discard_iteratorINSA_11use_defaultEEEEEENSH_IJSG_SG_EEES6_PlJ7is_evenIjEEEE10hipError_tPvRmT3_T4_T5_T6_T7_T9_mT8_P12ihipStream_tbDpT10_ENKUlT_T0_E_clISt17integral_constantIbLb1EES19_EEDaS14_S15_EUlS14_E_NS1_11comp_targetILNS1_3genE9ELNS1_11target_archE1100ELNS1_3gpuE3ELNS1_3repE0EEENS1_30default_config_static_selectorELNS0_4arch9wavefront6targetE1EEEvT1_ ; -- Begin function _ZN7rocprim17ROCPRIM_400000_NS6detail17trampoline_kernelINS0_14default_configENS1_25partition_config_selectorILNS1_17partition_subalgoE0EjNS0_10empty_typeEbEEZZNS1_14partition_implILS5_0ELb0ES3_jN6thrust23THRUST_200600_302600_NS6detail15normal_iteratorINSA_10device_ptrIjEEEEPS6_SG_NS0_5tupleIJSF_NSA_16discard_iteratorINSA_11use_defaultEEEEEENSH_IJSG_SG_EEES6_PlJ7is_evenIjEEEE10hipError_tPvRmT3_T4_T5_T6_T7_T9_mT8_P12ihipStream_tbDpT10_ENKUlT_T0_E_clISt17integral_constantIbLb1EES19_EEDaS14_S15_EUlS14_E_NS1_11comp_targetILNS1_3genE9ELNS1_11target_archE1100ELNS1_3gpuE3ELNS1_3repE0EEENS1_30default_config_static_selectorELNS0_4arch9wavefront6targetE1EEEvT1_
	.globl	_ZN7rocprim17ROCPRIM_400000_NS6detail17trampoline_kernelINS0_14default_configENS1_25partition_config_selectorILNS1_17partition_subalgoE0EjNS0_10empty_typeEbEEZZNS1_14partition_implILS5_0ELb0ES3_jN6thrust23THRUST_200600_302600_NS6detail15normal_iteratorINSA_10device_ptrIjEEEEPS6_SG_NS0_5tupleIJSF_NSA_16discard_iteratorINSA_11use_defaultEEEEEENSH_IJSG_SG_EEES6_PlJ7is_evenIjEEEE10hipError_tPvRmT3_T4_T5_T6_T7_T9_mT8_P12ihipStream_tbDpT10_ENKUlT_T0_E_clISt17integral_constantIbLb1EES19_EEDaS14_S15_EUlS14_E_NS1_11comp_targetILNS1_3genE9ELNS1_11target_archE1100ELNS1_3gpuE3ELNS1_3repE0EEENS1_30default_config_static_selectorELNS0_4arch9wavefront6targetE1EEEvT1_
	.p2align	8
	.type	_ZN7rocprim17ROCPRIM_400000_NS6detail17trampoline_kernelINS0_14default_configENS1_25partition_config_selectorILNS1_17partition_subalgoE0EjNS0_10empty_typeEbEEZZNS1_14partition_implILS5_0ELb0ES3_jN6thrust23THRUST_200600_302600_NS6detail15normal_iteratorINSA_10device_ptrIjEEEEPS6_SG_NS0_5tupleIJSF_NSA_16discard_iteratorINSA_11use_defaultEEEEEENSH_IJSG_SG_EEES6_PlJ7is_evenIjEEEE10hipError_tPvRmT3_T4_T5_T6_T7_T9_mT8_P12ihipStream_tbDpT10_ENKUlT_T0_E_clISt17integral_constantIbLb1EES19_EEDaS14_S15_EUlS14_E_NS1_11comp_targetILNS1_3genE9ELNS1_11target_archE1100ELNS1_3gpuE3ELNS1_3repE0EEENS1_30default_config_static_selectorELNS0_4arch9wavefront6targetE1EEEvT1_,@function
_ZN7rocprim17ROCPRIM_400000_NS6detail17trampoline_kernelINS0_14default_configENS1_25partition_config_selectorILNS1_17partition_subalgoE0EjNS0_10empty_typeEbEEZZNS1_14partition_implILS5_0ELb0ES3_jN6thrust23THRUST_200600_302600_NS6detail15normal_iteratorINSA_10device_ptrIjEEEEPS6_SG_NS0_5tupleIJSF_NSA_16discard_iteratorINSA_11use_defaultEEEEEENSH_IJSG_SG_EEES6_PlJ7is_evenIjEEEE10hipError_tPvRmT3_T4_T5_T6_T7_T9_mT8_P12ihipStream_tbDpT10_ENKUlT_T0_E_clISt17integral_constantIbLb1EES19_EEDaS14_S15_EUlS14_E_NS1_11comp_targetILNS1_3genE9ELNS1_11target_archE1100ELNS1_3gpuE3ELNS1_3repE0EEENS1_30default_config_static_selectorELNS0_4arch9wavefront6targetE1EEEvT1_: ; @_ZN7rocprim17ROCPRIM_400000_NS6detail17trampoline_kernelINS0_14default_configENS1_25partition_config_selectorILNS1_17partition_subalgoE0EjNS0_10empty_typeEbEEZZNS1_14partition_implILS5_0ELb0ES3_jN6thrust23THRUST_200600_302600_NS6detail15normal_iteratorINSA_10device_ptrIjEEEEPS6_SG_NS0_5tupleIJSF_NSA_16discard_iteratorINSA_11use_defaultEEEEEENSH_IJSG_SG_EEES6_PlJ7is_evenIjEEEE10hipError_tPvRmT3_T4_T5_T6_T7_T9_mT8_P12ihipStream_tbDpT10_ENKUlT_T0_E_clISt17integral_constantIbLb1EES19_EEDaS14_S15_EUlS14_E_NS1_11comp_targetILNS1_3genE9ELNS1_11target_archE1100ELNS1_3gpuE3ELNS1_3repE0EEENS1_30default_config_static_selectorELNS0_4arch9wavefront6targetE1EEEvT1_
; %bb.0:
	.section	.rodata,"a",@progbits
	.p2align	6, 0x0
	.amdhsa_kernel _ZN7rocprim17ROCPRIM_400000_NS6detail17trampoline_kernelINS0_14default_configENS1_25partition_config_selectorILNS1_17partition_subalgoE0EjNS0_10empty_typeEbEEZZNS1_14partition_implILS5_0ELb0ES3_jN6thrust23THRUST_200600_302600_NS6detail15normal_iteratorINSA_10device_ptrIjEEEEPS6_SG_NS0_5tupleIJSF_NSA_16discard_iteratorINSA_11use_defaultEEEEEENSH_IJSG_SG_EEES6_PlJ7is_evenIjEEEE10hipError_tPvRmT3_T4_T5_T6_T7_T9_mT8_P12ihipStream_tbDpT10_ENKUlT_T0_E_clISt17integral_constantIbLb1EES19_EEDaS14_S15_EUlS14_E_NS1_11comp_targetILNS1_3genE9ELNS1_11target_archE1100ELNS1_3gpuE3ELNS1_3repE0EEENS1_30default_config_static_selectorELNS0_4arch9wavefront6targetE1EEEvT1_
		.amdhsa_group_segment_fixed_size 0
		.amdhsa_private_segment_fixed_size 0
		.amdhsa_kernarg_size 144
		.amdhsa_user_sgpr_count 2
		.amdhsa_user_sgpr_dispatch_ptr 0
		.amdhsa_user_sgpr_queue_ptr 0
		.amdhsa_user_sgpr_kernarg_segment_ptr 1
		.amdhsa_user_sgpr_dispatch_id 0
		.amdhsa_user_sgpr_kernarg_preload_length 0
		.amdhsa_user_sgpr_kernarg_preload_offset 0
		.amdhsa_user_sgpr_private_segment_size 0
		.amdhsa_uses_dynamic_stack 0
		.amdhsa_enable_private_segment 0
		.amdhsa_system_sgpr_workgroup_id_x 1
		.amdhsa_system_sgpr_workgroup_id_y 0
		.amdhsa_system_sgpr_workgroup_id_z 0
		.amdhsa_system_sgpr_workgroup_info 0
		.amdhsa_system_vgpr_workitem_id 0
		.amdhsa_next_free_vgpr 1
		.amdhsa_next_free_sgpr 0
		.amdhsa_accum_offset 4
		.amdhsa_reserve_vcc 0
		.amdhsa_float_round_mode_32 0
		.amdhsa_float_round_mode_16_64 0
		.amdhsa_float_denorm_mode_32 3
		.amdhsa_float_denorm_mode_16_64 3
		.amdhsa_dx10_clamp 1
		.amdhsa_ieee_mode 1
		.amdhsa_fp16_overflow 0
		.amdhsa_tg_split 0
		.amdhsa_exception_fp_ieee_invalid_op 0
		.amdhsa_exception_fp_denorm_src 0
		.amdhsa_exception_fp_ieee_div_zero 0
		.amdhsa_exception_fp_ieee_overflow 0
		.amdhsa_exception_fp_ieee_underflow 0
		.amdhsa_exception_fp_ieee_inexact 0
		.amdhsa_exception_int_div_zero 0
	.end_amdhsa_kernel
	.section	.text._ZN7rocprim17ROCPRIM_400000_NS6detail17trampoline_kernelINS0_14default_configENS1_25partition_config_selectorILNS1_17partition_subalgoE0EjNS0_10empty_typeEbEEZZNS1_14partition_implILS5_0ELb0ES3_jN6thrust23THRUST_200600_302600_NS6detail15normal_iteratorINSA_10device_ptrIjEEEEPS6_SG_NS0_5tupleIJSF_NSA_16discard_iteratorINSA_11use_defaultEEEEEENSH_IJSG_SG_EEES6_PlJ7is_evenIjEEEE10hipError_tPvRmT3_T4_T5_T6_T7_T9_mT8_P12ihipStream_tbDpT10_ENKUlT_T0_E_clISt17integral_constantIbLb1EES19_EEDaS14_S15_EUlS14_E_NS1_11comp_targetILNS1_3genE9ELNS1_11target_archE1100ELNS1_3gpuE3ELNS1_3repE0EEENS1_30default_config_static_selectorELNS0_4arch9wavefront6targetE1EEEvT1_,"axG",@progbits,_ZN7rocprim17ROCPRIM_400000_NS6detail17trampoline_kernelINS0_14default_configENS1_25partition_config_selectorILNS1_17partition_subalgoE0EjNS0_10empty_typeEbEEZZNS1_14partition_implILS5_0ELb0ES3_jN6thrust23THRUST_200600_302600_NS6detail15normal_iteratorINSA_10device_ptrIjEEEEPS6_SG_NS0_5tupleIJSF_NSA_16discard_iteratorINSA_11use_defaultEEEEEENSH_IJSG_SG_EEES6_PlJ7is_evenIjEEEE10hipError_tPvRmT3_T4_T5_T6_T7_T9_mT8_P12ihipStream_tbDpT10_ENKUlT_T0_E_clISt17integral_constantIbLb1EES19_EEDaS14_S15_EUlS14_E_NS1_11comp_targetILNS1_3genE9ELNS1_11target_archE1100ELNS1_3gpuE3ELNS1_3repE0EEENS1_30default_config_static_selectorELNS0_4arch9wavefront6targetE1EEEvT1_,comdat
.Lfunc_end2441:
	.size	_ZN7rocprim17ROCPRIM_400000_NS6detail17trampoline_kernelINS0_14default_configENS1_25partition_config_selectorILNS1_17partition_subalgoE0EjNS0_10empty_typeEbEEZZNS1_14partition_implILS5_0ELb0ES3_jN6thrust23THRUST_200600_302600_NS6detail15normal_iteratorINSA_10device_ptrIjEEEEPS6_SG_NS0_5tupleIJSF_NSA_16discard_iteratorINSA_11use_defaultEEEEEENSH_IJSG_SG_EEES6_PlJ7is_evenIjEEEE10hipError_tPvRmT3_T4_T5_T6_T7_T9_mT8_P12ihipStream_tbDpT10_ENKUlT_T0_E_clISt17integral_constantIbLb1EES19_EEDaS14_S15_EUlS14_E_NS1_11comp_targetILNS1_3genE9ELNS1_11target_archE1100ELNS1_3gpuE3ELNS1_3repE0EEENS1_30default_config_static_selectorELNS0_4arch9wavefront6targetE1EEEvT1_, .Lfunc_end2441-_ZN7rocprim17ROCPRIM_400000_NS6detail17trampoline_kernelINS0_14default_configENS1_25partition_config_selectorILNS1_17partition_subalgoE0EjNS0_10empty_typeEbEEZZNS1_14partition_implILS5_0ELb0ES3_jN6thrust23THRUST_200600_302600_NS6detail15normal_iteratorINSA_10device_ptrIjEEEEPS6_SG_NS0_5tupleIJSF_NSA_16discard_iteratorINSA_11use_defaultEEEEEENSH_IJSG_SG_EEES6_PlJ7is_evenIjEEEE10hipError_tPvRmT3_T4_T5_T6_T7_T9_mT8_P12ihipStream_tbDpT10_ENKUlT_T0_E_clISt17integral_constantIbLb1EES19_EEDaS14_S15_EUlS14_E_NS1_11comp_targetILNS1_3genE9ELNS1_11target_archE1100ELNS1_3gpuE3ELNS1_3repE0EEENS1_30default_config_static_selectorELNS0_4arch9wavefront6targetE1EEEvT1_
                                        ; -- End function
	.section	.AMDGPU.csdata,"",@progbits
; Kernel info:
; codeLenInByte = 0
; NumSgprs: 6
; NumVgprs: 0
; NumAgprs: 0
; TotalNumVgprs: 0
; ScratchSize: 0
; MemoryBound: 0
; FloatMode: 240
; IeeeMode: 1
; LDSByteSize: 0 bytes/workgroup (compile time only)
; SGPRBlocks: 0
; VGPRBlocks: 0
; NumSGPRsForWavesPerEU: 6
; NumVGPRsForWavesPerEU: 1
; AccumOffset: 4
; Occupancy: 8
; WaveLimiterHint : 0
; COMPUTE_PGM_RSRC2:SCRATCH_EN: 0
; COMPUTE_PGM_RSRC2:USER_SGPR: 2
; COMPUTE_PGM_RSRC2:TRAP_HANDLER: 0
; COMPUTE_PGM_RSRC2:TGID_X_EN: 1
; COMPUTE_PGM_RSRC2:TGID_Y_EN: 0
; COMPUTE_PGM_RSRC2:TGID_Z_EN: 0
; COMPUTE_PGM_RSRC2:TIDIG_COMP_CNT: 0
; COMPUTE_PGM_RSRC3_GFX90A:ACCUM_OFFSET: 0
; COMPUTE_PGM_RSRC3_GFX90A:TG_SPLIT: 0
	.section	.text._ZN7rocprim17ROCPRIM_400000_NS6detail17trampoline_kernelINS0_14default_configENS1_25partition_config_selectorILNS1_17partition_subalgoE0EjNS0_10empty_typeEbEEZZNS1_14partition_implILS5_0ELb0ES3_jN6thrust23THRUST_200600_302600_NS6detail15normal_iteratorINSA_10device_ptrIjEEEEPS6_SG_NS0_5tupleIJSF_NSA_16discard_iteratorINSA_11use_defaultEEEEEENSH_IJSG_SG_EEES6_PlJ7is_evenIjEEEE10hipError_tPvRmT3_T4_T5_T6_T7_T9_mT8_P12ihipStream_tbDpT10_ENKUlT_T0_E_clISt17integral_constantIbLb1EES19_EEDaS14_S15_EUlS14_E_NS1_11comp_targetILNS1_3genE8ELNS1_11target_archE1030ELNS1_3gpuE2ELNS1_3repE0EEENS1_30default_config_static_selectorELNS0_4arch9wavefront6targetE1EEEvT1_,"axG",@progbits,_ZN7rocprim17ROCPRIM_400000_NS6detail17trampoline_kernelINS0_14default_configENS1_25partition_config_selectorILNS1_17partition_subalgoE0EjNS0_10empty_typeEbEEZZNS1_14partition_implILS5_0ELb0ES3_jN6thrust23THRUST_200600_302600_NS6detail15normal_iteratorINSA_10device_ptrIjEEEEPS6_SG_NS0_5tupleIJSF_NSA_16discard_iteratorINSA_11use_defaultEEEEEENSH_IJSG_SG_EEES6_PlJ7is_evenIjEEEE10hipError_tPvRmT3_T4_T5_T6_T7_T9_mT8_P12ihipStream_tbDpT10_ENKUlT_T0_E_clISt17integral_constantIbLb1EES19_EEDaS14_S15_EUlS14_E_NS1_11comp_targetILNS1_3genE8ELNS1_11target_archE1030ELNS1_3gpuE2ELNS1_3repE0EEENS1_30default_config_static_selectorELNS0_4arch9wavefront6targetE1EEEvT1_,comdat
	.protected	_ZN7rocprim17ROCPRIM_400000_NS6detail17trampoline_kernelINS0_14default_configENS1_25partition_config_selectorILNS1_17partition_subalgoE0EjNS0_10empty_typeEbEEZZNS1_14partition_implILS5_0ELb0ES3_jN6thrust23THRUST_200600_302600_NS6detail15normal_iteratorINSA_10device_ptrIjEEEEPS6_SG_NS0_5tupleIJSF_NSA_16discard_iteratorINSA_11use_defaultEEEEEENSH_IJSG_SG_EEES6_PlJ7is_evenIjEEEE10hipError_tPvRmT3_T4_T5_T6_T7_T9_mT8_P12ihipStream_tbDpT10_ENKUlT_T0_E_clISt17integral_constantIbLb1EES19_EEDaS14_S15_EUlS14_E_NS1_11comp_targetILNS1_3genE8ELNS1_11target_archE1030ELNS1_3gpuE2ELNS1_3repE0EEENS1_30default_config_static_selectorELNS0_4arch9wavefront6targetE1EEEvT1_ ; -- Begin function _ZN7rocprim17ROCPRIM_400000_NS6detail17trampoline_kernelINS0_14default_configENS1_25partition_config_selectorILNS1_17partition_subalgoE0EjNS0_10empty_typeEbEEZZNS1_14partition_implILS5_0ELb0ES3_jN6thrust23THRUST_200600_302600_NS6detail15normal_iteratorINSA_10device_ptrIjEEEEPS6_SG_NS0_5tupleIJSF_NSA_16discard_iteratorINSA_11use_defaultEEEEEENSH_IJSG_SG_EEES6_PlJ7is_evenIjEEEE10hipError_tPvRmT3_T4_T5_T6_T7_T9_mT8_P12ihipStream_tbDpT10_ENKUlT_T0_E_clISt17integral_constantIbLb1EES19_EEDaS14_S15_EUlS14_E_NS1_11comp_targetILNS1_3genE8ELNS1_11target_archE1030ELNS1_3gpuE2ELNS1_3repE0EEENS1_30default_config_static_selectorELNS0_4arch9wavefront6targetE1EEEvT1_
	.globl	_ZN7rocprim17ROCPRIM_400000_NS6detail17trampoline_kernelINS0_14default_configENS1_25partition_config_selectorILNS1_17partition_subalgoE0EjNS0_10empty_typeEbEEZZNS1_14partition_implILS5_0ELb0ES3_jN6thrust23THRUST_200600_302600_NS6detail15normal_iteratorINSA_10device_ptrIjEEEEPS6_SG_NS0_5tupleIJSF_NSA_16discard_iteratorINSA_11use_defaultEEEEEENSH_IJSG_SG_EEES6_PlJ7is_evenIjEEEE10hipError_tPvRmT3_T4_T5_T6_T7_T9_mT8_P12ihipStream_tbDpT10_ENKUlT_T0_E_clISt17integral_constantIbLb1EES19_EEDaS14_S15_EUlS14_E_NS1_11comp_targetILNS1_3genE8ELNS1_11target_archE1030ELNS1_3gpuE2ELNS1_3repE0EEENS1_30default_config_static_selectorELNS0_4arch9wavefront6targetE1EEEvT1_
	.p2align	8
	.type	_ZN7rocprim17ROCPRIM_400000_NS6detail17trampoline_kernelINS0_14default_configENS1_25partition_config_selectorILNS1_17partition_subalgoE0EjNS0_10empty_typeEbEEZZNS1_14partition_implILS5_0ELb0ES3_jN6thrust23THRUST_200600_302600_NS6detail15normal_iteratorINSA_10device_ptrIjEEEEPS6_SG_NS0_5tupleIJSF_NSA_16discard_iteratorINSA_11use_defaultEEEEEENSH_IJSG_SG_EEES6_PlJ7is_evenIjEEEE10hipError_tPvRmT3_T4_T5_T6_T7_T9_mT8_P12ihipStream_tbDpT10_ENKUlT_T0_E_clISt17integral_constantIbLb1EES19_EEDaS14_S15_EUlS14_E_NS1_11comp_targetILNS1_3genE8ELNS1_11target_archE1030ELNS1_3gpuE2ELNS1_3repE0EEENS1_30default_config_static_selectorELNS0_4arch9wavefront6targetE1EEEvT1_,@function
_ZN7rocprim17ROCPRIM_400000_NS6detail17trampoline_kernelINS0_14default_configENS1_25partition_config_selectorILNS1_17partition_subalgoE0EjNS0_10empty_typeEbEEZZNS1_14partition_implILS5_0ELb0ES3_jN6thrust23THRUST_200600_302600_NS6detail15normal_iteratorINSA_10device_ptrIjEEEEPS6_SG_NS0_5tupleIJSF_NSA_16discard_iteratorINSA_11use_defaultEEEEEENSH_IJSG_SG_EEES6_PlJ7is_evenIjEEEE10hipError_tPvRmT3_T4_T5_T6_T7_T9_mT8_P12ihipStream_tbDpT10_ENKUlT_T0_E_clISt17integral_constantIbLb1EES19_EEDaS14_S15_EUlS14_E_NS1_11comp_targetILNS1_3genE8ELNS1_11target_archE1030ELNS1_3gpuE2ELNS1_3repE0EEENS1_30default_config_static_selectorELNS0_4arch9wavefront6targetE1EEEvT1_: ; @_ZN7rocprim17ROCPRIM_400000_NS6detail17trampoline_kernelINS0_14default_configENS1_25partition_config_selectorILNS1_17partition_subalgoE0EjNS0_10empty_typeEbEEZZNS1_14partition_implILS5_0ELb0ES3_jN6thrust23THRUST_200600_302600_NS6detail15normal_iteratorINSA_10device_ptrIjEEEEPS6_SG_NS0_5tupleIJSF_NSA_16discard_iteratorINSA_11use_defaultEEEEEENSH_IJSG_SG_EEES6_PlJ7is_evenIjEEEE10hipError_tPvRmT3_T4_T5_T6_T7_T9_mT8_P12ihipStream_tbDpT10_ENKUlT_T0_E_clISt17integral_constantIbLb1EES19_EEDaS14_S15_EUlS14_E_NS1_11comp_targetILNS1_3genE8ELNS1_11target_archE1030ELNS1_3gpuE2ELNS1_3repE0EEENS1_30default_config_static_selectorELNS0_4arch9wavefront6targetE1EEEvT1_
; %bb.0:
	.section	.rodata,"a",@progbits
	.p2align	6, 0x0
	.amdhsa_kernel _ZN7rocprim17ROCPRIM_400000_NS6detail17trampoline_kernelINS0_14default_configENS1_25partition_config_selectorILNS1_17partition_subalgoE0EjNS0_10empty_typeEbEEZZNS1_14partition_implILS5_0ELb0ES3_jN6thrust23THRUST_200600_302600_NS6detail15normal_iteratorINSA_10device_ptrIjEEEEPS6_SG_NS0_5tupleIJSF_NSA_16discard_iteratorINSA_11use_defaultEEEEEENSH_IJSG_SG_EEES6_PlJ7is_evenIjEEEE10hipError_tPvRmT3_T4_T5_T6_T7_T9_mT8_P12ihipStream_tbDpT10_ENKUlT_T0_E_clISt17integral_constantIbLb1EES19_EEDaS14_S15_EUlS14_E_NS1_11comp_targetILNS1_3genE8ELNS1_11target_archE1030ELNS1_3gpuE2ELNS1_3repE0EEENS1_30default_config_static_selectorELNS0_4arch9wavefront6targetE1EEEvT1_
		.amdhsa_group_segment_fixed_size 0
		.amdhsa_private_segment_fixed_size 0
		.amdhsa_kernarg_size 144
		.amdhsa_user_sgpr_count 2
		.amdhsa_user_sgpr_dispatch_ptr 0
		.amdhsa_user_sgpr_queue_ptr 0
		.amdhsa_user_sgpr_kernarg_segment_ptr 1
		.amdhsa_user_sgpr_dispatch_id 0
		.amdhsa_user_sgpr_kernarg_preload_length 0
		.amdhsa_user_sgpr_kernarg_preload_offset 0
		.amdhsa_user_sgpr_private_segment_size 0
		.amdhsa_uses_dynamic_stack 0
		.amdhsa_enable_private_segment 0
		.amdhsa_system_sgpr_workgroup_id_x 1
		.amdhsa_system_sgpr_workgroup_id_y 0
		.amdhsa_system_sgpr_workgroup_id_z 0
		.amdhsa_system_sgpr_workgroup_info 0
		.amdhsa_system_vgpr_workitem_id 0
		.amdhsa_next_free_vgpr 1
		.amdhsa_next_free_sgpr 0
		.amdhsa_accum_offset 4
		.amdhsa_reserve_vcc 0
		.amdhsa_float_round_mode_32 0
		.amdhsa_float_round_mode_16_64 0
		.amdhsa_float_denorm_mode_32 3
		.amdhsa_float_denorm_mode_16_64 3
		.amdhsa_dx10_clamp 1
		.amdhsa_ieee_mode 1
		.amdhsa_fp16_overflow 0
		.amdhsa_tg_split 0
		.amdhsa_exception_fp_ieee_invalid_op 0
		.amdhsa_exception_fp_denorm_src 0
		.amdhsa_exception_fp_ieee_div_zero 0
		.amdhsa_exception_fp_ieee_overflow 0
		.amdhsa_exception_fp_ieee_underflow 0
		.amdhsa_exception_fp_ieee_inexact 0
		.amdhsa_exception_int_div_zero 0
	.end_amdhsa_kernel
	.section	.text._ZN7rocprim17ROCPRIM_400000_NS6detail17trampoline_kernelINS0_14default_configENS1_25partition_config_selectorILNS1_17partition_subalgoE0EjNS0_10empty_typeEbEEZZNS1_14partition_implILS5_0ELb0ES3_jN6thrust23THRUST_200600_302600_NS6detail15normal_iteratorINSA_10device_ptrIjEEEEPS6_SG_NS0_5tupleIJSF_NSA_16discard_iteratorINSA_11use_defaultEEEEEENSH_IJSG_SG_EEES6_PlJ7is_evenIjEEEE10hipError_tPvRmT3_T4_T5_T6_T7_T9_mT8_P12ihipStream_tbDpT10_ENKUlT_T0_E_clISt17integral_constantIbLb1EES19_EEDaS14_S15_EUlS14_E_NS1_11comp_targetILNS1_3genE8ELNS1_11target_archE1030ELNS1_3gpuE2ELNS1_3repE0EEENS1_30default_config_static_selectorELNS0_4arch9wavefront6targetE1EEEvT1_,"axG",@progbits,_ZN7rocprim17ROCPRIM_400000_NS6detail17trampoline_kernelINS0_14default_configENS1_25partition_config_selectorILNS1_17partition_subalgoE0EjNS0_10empty_typeEbEEZZNS1_14partition_implILS5_0ELb0ES3_jN6thrust23THRUST_200600_302600_NS6detail15normal_iteratorINSA_10device_ptrIjEEEEPS6_SG_NS0_5tupleIJSF_NSA_16discard_iteratorINSA_11use_defaultEEEEEENSH_IJSG_SG_EEES6_PlJ7is_evenIjEEEE10hipError_tPvRmT3_T4_T5_T6_T7_T9_mT8_P12ihipStream_tbDpT10_ENKUlT_T0_E_clISt17integral_constantIbLb1EES19_EEDaS14_S15_EUlS14_E_NS1_11comp_targetILNS1_3genE8ELNS1_11target_archE1030ELNS1_3gpuE2ELNS1_3repE0EEENS1_30default_config_static_selectorELNS0_4arch9wavefront6targetE1EEEvT1_,comdat
.Lfunc_end2442:
	.size	_ZN7rocprim17ROCPRIM_400000_NS6detail17trampoline_kernelINS0_14default_configENS1_25partition_config_selectorILNS1_17partition_subalgoE0EjNS0_10empty_typeEbEEZZNS1_14partition_implILS5_0ELb0ES3_jN6thrust23THRUST_200600_302600_NS6detail15normal_iteratorINSA_10device_ptrIjEEEEPS6_SG_NS0_5tupleIJSF_NSA_16discard_iteratorINSA_11use_defaultEEEEEENSH_IJSG_SG_EEES6_PlJ7is_evenIjEEEE10hipError_tPvRmT3_T4_T5_T6_T7_T9_mT8_P12ihipStream_tbDpT10_ENKUlT_T0_E_clISt17integral_constantIbLb1EES19_EEDaS14_S15_EUlS14_E_NS1_11comp_targetILNS1_3genE8ELNS1_11target_archE1030ELNS1_3gpuE2ELNS1_3repE0EEENS1_30default_config_static_selectorELNS0_4arch9wavefront6targetE1EEEvT1_, .Lfunc_end2442-_ZN7rocprim17ROCPRIM_400000_NS6detail17trampoline_kernelINS0_14default_configENS1_25partition_config_selectorILNS1_17partition_subalgoE0EjNS0_10empty_typeEbEEZZNS1_14partition_implILS5_0ELb0ES3_jN6thrust23THRUST_200600_302600_NS6detail15normal_iteratorINSA_10device_ptrIjEEEEPS6_SG_NS0_5tupleIJSF_NSA_16discard_iteratorINSA_11use_defaultEEEEEENSH_IJSG_SG_EEES6_PlJ7is_evenIjEEEE10hipError_tPvRmT3_T4_T5_T6_T7_T9_mT8_P12ihipStream_tbDpT10_ENKUlT_T0_E_clISt17integral_constantIbLb1EES19_EEDaS14_S15_EUlS14_E_NS1_11comp_targetILNS1_3genE8ELNS1_11target_archE1030ELNS1_3gpuE2ELNS1_3repE0EEENS1_30default_config_static_selectorELNS0_4arch9wavefront6targetE1EEEvT1_
                                        ; -- End function
	.section	.AMDGPU.csdata,"",@progbits
; Kernel info:
; codeLenInByte = 0
; NumSgprs: 6
; NumVgprs: 0
; NumAgprs: 0
; TotalNumVgprs: 0
; ScratchSize: 0
; MemoryBound: 0
; FloatMode: 240
; IeeeMode: 1
; LDSByteSize: 0 bytes/workgroup (compile time only)
; SGPRBlocks: 0
; VGPRBlocks: 0
; NumSGPRsForWavesPerEU: 6
; NumVGPRsForWavesPerEU: 1
; AccumOffset: 4
; Occupancy: 8
; WaveLimiterHint : 0
; COMPUTE_PGM_RSRC2:SCRATCH_EN: 0
; COMPUTE_PGM_RSRC2:USER_SGPR: 2
; COMPUTE_PGM_RSRC2:TRAP_HANDLER: 0
; COMPUTE_PGM_RSRC2:TGID_X_EN: 1
; COMPUTE_PGM_RSRC2:TGID_Y_EN: 0
; COMPUTE_PGM_RSRC2:TGID_Z_EN: 0
; COMPUTE_PGM_RSRC2:TIDIG_COMP_CNT: 0
; COMPUTE_PGM_RSRC3_GFX90A:ACCUM_OFFSET: 0
; COMPUTE_PGM_RSRC3_GFX90A:TG_SPLIT: 0
	.section	.text._ZN7rocprim17ROCPRIM_400000_NS6detail17trampoline_kernelINS0_14default_configENS1_25partition_config_selectorILNS1_17partition_subalgoE0EjNS0_10empty_typeEbEEZZNS1_14partition_implILS5_0ELb0ES3_jN6thrust23THRUST_200600_302600_NS6detail15normal_iteratorINSA_10device_ptrIjEEEEPS6_SG_NS0_5tupleIJSF_NSA_16discard_iteratorINSA_11use_defaultEEEEEENSH_IJSG_SG_EEES6_PlJ7is_evenIjEEEE10hipError_tPvRmT3_T4_T5_T6_T7_T9_mT8_P12ihipStream_tbDpT10_ENKUlT_T0_E_clISt17integral_constantIbLb1EES18_IbLb0EEEEDaS14_S15_EUlS14_E_NS1_11comp_targetILNS1_3genE0ELNS1_11target_archE4294967295ELNS1_3gpuE0ELNS1_3repE0EEENS1_30default_config_static_selectorELNS0_4arch9wavefront6targetE1EEEvT1_,"axG",@progbits,_ZN7rocprim17ROCPRIM_400000_NS6detail17trampoline_kernelINS0_14default_configENS1_25partition_config_selectorILNS1_17partition_subalgoE0EjNS0_10empty_typeEbEEZZNS1_14partition_implILS5_0ELb0ES3_jN6thrust23THRUST_200600_302600_NS6detail15normal_iteratorINSA_10device_ptrIjEEEEPS6_SG_NS0_5tupleIJSF_NSA_16discard_iteratorINSA_11use_defaultEEEEEENSH_IJSG_SG_EEES6_PlJ7is_evenIjEEEE10hipError_tPvRmT3_T4_T5_T6_T7_T9_mT8_P12ihipStream_tbDpT10_ENKUlT_T0_E_clISt17integral_constantIbLb1EES18_IbLb0EEEEDaS14_S15_EUlS14_E_NS1_11comp_targetILNS1_3genE0ELNS1_11target_archE4294967295ELNS1_3gpuE0ELNS1_3repE0EEENS1_30default_config_static_selectorELNS0_4arch9wavefront6targetE1EEEvT1_,comdat
	.protected	_ZN7rocprim17ROCPRIM_400000_NS6detail17trampoline_kernelINS0_14default_configENS1_25partition_config_selectorILNS1_17partition_subalgoE0EjNS0_10empty_typeEbEEZZNS1_14partition_implILS5_0ELb0ES3_jN6thrust23THRUST_200600_302600_NS6detail15normal_iteratorINSA_10device_ptrIjEEEEPS6_SG_NS0_5tupleIJSF_NSA_16discard_iteratorINSA_11use_defaultEEEEEENSH_IJSG_SG_EEES6_PlJ7is_evenIjEEEE10hipError_tPvRmT3_T4_T5_T6_T7_T9_mT8_P12ihipStream_tbDpT10_ENKUlT_T0_E_clISt17integral_constantIbLb1EES18_IbLb0EEEEDaS14_S15_EUlS14_E_NS1_11comp_targetILNS1_3genE0ELNS1_11target_archE4294967295ELNS1_3gpuE0ELNS1_3repE0EEENS1_30default_config_static_selectorELNS0_4arch9wavefront6targetE1EEEvT1_ ; -- Begin function _ZN7rocprim17ROCPRIM_400000_NS6detail17trampoline_kernelINS0_14default_configENS1_25partition_config_selectorILNS1_17partition_subalgoE0EjNS0_10empty_typeEbEEZZNS1_14partition_implILS5_0ELb0ES3_jN6thrust23THRUST_200600_302600_NS6detail15normal_iteratorINSA_10device_ptrIjEEEEPS6_SG_NS0_5tupleIJSF_NSA_16discard_iteratorINSA_11use_defaultEEEEEENSH_IJSG_SG_EEES6_PlJ7is_evenIjEEEE10hipError_tPvRmT3_T4_T5_T6_T7_T9_mT8_P12ihipStream_tbDpT10_ENKUlT_T0_E_clISt17integral_constantIbLb1EES18_IbLb0EEEEDaS14_S15_EUlS14_E_NS1_11comp_targetILNS1_3genE0ELNS1_11target_archE4294967295ELNS1_3gpuE0ELNS1_3repE0EEENS1_30default_config_static_selectorELNS0_4arch9wavefront6targetE1EEEvT1_
	.globl	_ZN7rocprim17ROCPRIM_400000_NS6detail17trampoline_kernelINS0_14default_configENS1_25partition_config_selectorILNS1_17partition_subalgoE0EjNS0_10empty_typeEbEEZZNS1_14partition_implILS5_0ELb0ES3_jN6thrust23THRUST_200600_302600_NS6detail15normal_iteratorINSA_10device_ptrIjEEEEPS6_SG_NS0_5tupleIJSF_NSA_16discard_iteratorINSA_11use_defaultEEEEEENSH_IJSG_SG_EEES6_PlJ7is_evenIjEEEE10hipError_tPvRmT3_T4_T5_T6_T7_T9_mT8_P12ihipStream_tbDpT10_ENKUlT_T0_E_clISt17integral_constantIbLb1EES18_IbLb0EEEEDaS14_S15_EUlS14_E_NS1_11comp_targetILNS1_3genE0ELNS1_11target_archE4294967295ELNS1_3gpuE0ELNS1_3repE0EEENS1_30default_config_static_selectorELNS0_4arch9wavefront6targetE1EEEvT1_
	.p2align	8
	.type	_ZN7rocprim17ROCPRIM_400000_NS6detail17trampoline_kernelINS0_14default_configENS1_25partition_config_selectorILNS1_17partition_subalgoE0EjNS0_10empty_typeEbEEZZNS1_14partition_implILS5_0ELb0ES3_jN6thrust23THRUST_200600_302600_NS6detail15normal_iteratorINSA_10device_ptrIjEEEEPS6_SG_NS0_5tupleIJSF_NSA_16discard_iteratorINSA_11use_defaultEEEEEENSH_IJSG_SG_EEES6_PlJ7is_evenIjEEEE10hipError_tPvRmT3_T4_T5_T6_T7_T9_mT8_P12ihipStream_tbDpT10_ENKUlT_T0_E_clISt17integral_constantIbLb1EES18_IbLb0EEEEDaS14_S15_EUlS14_E_NS1_11comp_targetILNS1_3genE0ELNS1_11target_archE4294967295ELNS1_3gpuE0ELNS1_3repE0EEENS1_30default_config_static_selectorELNS0_4arch9wavefront6targetE1EEEvT1_,@function
_ZN7rocprim17ROCPRIM_400000_NS6detail17trampoline_kernelINS0_14default_configENS1_25partition_config_selectorILNS1_17partition_subalgoE0EjNS0_10empty_typeEbEEZZNS1_14partition_implILS5_0ELb0ES3_jN6thrust23THRUST_200600_302600_NS6detail15normal_iteratorINSA_10device_ptrIjEEEEPS6_SG_NS0_5tupleIJSF_NSA_16discard_iteratorINSA_11use_defaultEEEEEENSH_IJSG_SG_EEES6_PlJ7is_evenIjEEEE10hipError_tPvRmT3_T4_T5_T6_T7_T9_mT8_P12ihipStream_tbDpT10_ENKUlT_T0_E_clISt17integral_constantIbLb1EES18_IbLb0EEEEDaS14_S15_EUlS14_E_NS1_11comp_targetILNS1_3genE0ELNS1_11target_archE4294967295ELNS1_3gpuE0ELNS1_3repE0EEENS1_30default_config_static_selectorELNS0_4arch9wavefront6targetE1EEEvT1_: ; @_ZN7rocprim17ROCPRIM_400000_NS6detail17trampoline_kernelINS0_14default_configENS1_25partition_config_selectorILNS1_17partition_subalgoE0EjNS0_10empty_typeEbEEZZNS1_14partition_implILS5_0ELb0ES3_jN6thrust23THRUST_200600_302600_NS6detail15normal_iteratorINSA_10device_ptrIjEEEEPS6_SG_NS0_5tupleIJSF_NSA_16discard_iteratorINSA_11use_defaultEEEEEENSH_IJSG_SG_EEES6_PlJ7is_evenIjEEEE10hipError_tPvRmT3_T4_T5_T6_T7_T9_mT8_P12ihipStream_tbDpT10_ENKUlT_T0_E_clISt17integral_constantIbLb1EES18_IbLb0EEEEDaS14_S15_EUlS14_E_NS1_11comp_targetILNS1_3genE0ELNS1_11target_archE4294967295ELNS1_3gpuE0ELNS1_3repE0EEENS1_30default_config_static_selectorELNS0_4arch9wavefront6targetE1EEEvT1_
; %bb.0:
	.section	.rodata,"a",@progbits
	.p2align	6, 0x0
	.amdhsa_kernel _ZN7rocprim17ROCPRIM_400000_NS6detail17trampoline_kernelINS0_14default_configENS1_25partition_config_selectorILNS1_17partition_subalgoE0EjNS0_10empty_typeEbEEZZNS1_14partition_implILS5_0ELb0ES3_jN6thrust23THRUST_200600_302600_NS6detail15normal_iteratorINSA_10device_ptrIjEEEEPS6_SG_NS0_5tupleIJSF_NSA_16discard_iteratorINSA_11use_defaultEEEEEENSH_IJSG_SG_EEES6_PlJ7is_evenIjEEEE10hipError_tPvRmT3_T4_T5_T6_T7_T9_mT8_P12ihipStream_tbDpT10_ENKUlT_T0_E_clISt17integral_constantIbLb1EES18_IbLb0EEEEDaS14_S15_EUlS14_E_NS1_11comp_targetILNS1_3genE0ELNS1_11target_archE4294967295ELNS1_3gpuE0ELNS1_3repE0EEENS1_30default_config_static_selectorELNS0_4arch9wavefront6targetE1EEEvT1_
		.amdhsa_group_segment_fixed_size 0
		.amdhsa_private_segment_fixed_size 0
		.amdhsa_kernarg_size 128
		.amdhsa_user_sgpr_count 2
		.amdhsa_user_sgpr_dispatch_ptr 0
		.amdhsa_user_sgpr_queue_ptr 0
		.amdhsa_user_sgpr_kernarg_segment_ptr 1
		.amdhsa_user_sgpr_dispatch_id 0
		.amdhsa_user_sgpr_kernarg_preload_length 0
		.amdhsa_user_sgpr_kernarg_preload_offset 0
		.amdhsa_user_sgpr_private_segment_size 0
		.amdhsa_uses_dynamic_stack 0
		.amdhsa_enable_private_segment 0
		.amdhsa_system_sgpr_workgroup_id_x 1
		.amdhsa_system_sgpr_workgroup_id_y 0
		.amdhsa_system_sgpr_workgroup_id_z 0
		.amdhsa_system_sgpr_workgroup_info 0
		.amdhsa_system_vgpr_workitem_id 0
		.amdhsa_next_free_vgpr 1
		.amdhsa_next_free_sgpr 0
		.amdhsa_accum_offset 4
		.amdhsa_reserve_vcc 0
		.amdhsa_float_round_mode_32 0
		.amdhsa_float_round_mode_16_64 0
		.amdhsa_float_denorm_mode_32 3
		.amdhsa_float_denorm_mode_16_64 3
		.amdhsa_dx10_clamp 1
		.amdhsa_ieee_mode 1
		.amdhsa_fp16_overflow 0
		.amdhsa_tg_split 0
		.amdhsa_exception_fp_ieee_invalid_op 0
		.amdhsa_exception_fp_denorm_src 0
		.amdhsa_exception_fp_ieee_div_zero 0
		.amdhsa_exception_fp_ieee_overflow 0
		.amdhsa_exception_fp_ieee_underflow 0
		.amdhsa_exception_fp_ieee_inexact 0
		.amdhsa_exception_int_div_zero 0
	.end_amdhsa_kernel
	.section	.text._ZN7rocprim17ROCPRIM_400000_NS6detail17trampoline_kernelINS0_14default_configENS1_25partition_config_selectorILNS1_17partition_subalgoE0EjNS0_10empty_typeEbEEZZNS1_14partition_implILS5_0ELb0ES3_jN6thrust23THRUST_200600_302600_NS6detail15normal_iteratorINSA_10device_ptrIjEEEEPS6_SG_NS0_5tupleIJSF_NSA_16discard_iteratorINSA_11use_defaultEEEEEENSH_IJSG_SG_EEES6_PlJ7is_evenIjEEEE10hipError_tPvRmT3_T4_T5_T6_T7_T9_mT8_P12ihipStream_tbDpT10_ENKUlT_T0_E_clISt17integral_constantIbLb1EES18_IbLb0EEEEDaS14_S15_EUlS14_E_NS1_11comp_targetILNS1_3genE0ELNS1_11target_archE4294967295ELNS1_3gpuE0ELNS1_3repE0EEENS1_30default_config_static_selectorELNS0_4arch9wavefront6targetE1EEEvT1_,"axG",@progbits,_ZN7rocprim17ROCPRIM_400000_NS6detail17trampoline_kernelINS0_14default_configENS1_25partition_config_selectorILNS1_17partition_subalgoE0EjNS0_10empty_typeEbEEZZNS1_14partition_implILS5_0ELb0ES3_jN6thrust23THRUST_200600_302600_NS6detail15normal_iteratorINSA_10device_ptrIjEEEEPS6_SG_NS0_5tupleIJSF_NSA_16discard_iteratorINSA_11use_defaultEEEEEENSH_IJSG_SG_EEES6_PlJ7is_evenIjEEEE10hipError_tPvRmT3_T4_T5_T6_T7_T9_mT8_P12ihipStream_tbDpT10_ENKUlT_T0_E_clISt17integral_constantIbLb1EES18_IbLb0EEEEDaS14_S15_EUlS14_E_NS1_11comp_targetILNS1_3genE0ELNS1_11target_archE4294967295ELNS1_3gpuE0ELNS1_3repE0EEENS1_30default_config_static_selectorELNS0_4arch9wavefront6targetE1EEEvT1_,comdat
.Lfunc_end2443:
	.size	_ZN7rocprim17ROCPRIM_400000_NS6detail17trampoline_kernelINS0_14default_configENS1_25partition_config_selectorILNS1_17partition_subalgoE0EjNS0_10empty_typeEbEEZZNS1_14partition_implILS5_0ELb0ES3_jN6thrust23THRUST_200600_302600_NS6detail15normal_iteratorINSA_10device_ptrIjEEEEPS6_SG_NS0_5tupleIJSF_NSA_16discard_iteratorINSA_11use_defaultEEEEEENSH_IJSG_SG_EEES6_PlJ7is_evenIjEEEE10hipError_tPvRmT3_T4_T5_T6_T7_T9_mT8_P12ihipStream_tbDpT10_ENKUlT_T0_E_clISt17integral_constantIbLb1EES18_IbLb0EEEEDaS14_S15_EUlS14_E_NS1_11comp_targetILNS1_3genE0ELNS1_11target_archE4294967295ELNS1_3gpuE0ELNS1_3repE0EEENS1_30default_config_static_selectorELNS0_4arch9wavefront6targetE1EEEvT1_, .Lfunc_end2443-_ZN7rocprim17ROCPRIM_400000_NS6detail17trampoline_kernelINS0_14default_configENS1_25partition_config_selectorILNS1_17partition_subalgoE0EjNS0_10empty_typeEbEEZZNS1_14partition_implILS5_0ELb0ES3_jN6thrust23THRUST_200600_302600_NS6detail15normal_iteratorINSA_10device_ptrIjEEEEPS6_SG_NS0_5tupleIJSF_NSA_16discard_iteratorINSA_11use_defaultEEEEEENSH_IJSG_SG_EEES6_PlJ7is_evenIjEEEE10hipError_tPvRmT3_T4_T5_T6_T7_T9_mT8_P12ihipStream_tbDpT10_ENKUlT_T0_E_clISt17integral_constantIbLb1EES18_IbLb0EEEEDaS14_S15_EUlS14_E_NS1_11comp_targetILNS1_3genE0ELNS1_11target_archE4294967295ELNS1_3gpuE0ELNS1_3repE0EEENS1_30default_config_static_selectorELNS0_4arch9wavefront6targetE1EEEvT1_
                                        ; -- End function
	.section	.AMDGPU.csdata,"",@progbits
; Kernel info:
; codeLenInByte = 0
; NumSgprs: 6
; NumVgprs: 0
; NumAgprs: 0
; TotalNumVgprs: 0
; ScratchSize: 0
; MemoryBound: 0
; FloatMode: 240
; IeeeMode: 1
; LDSByteSize: 0 bytes/workgroup (compile time only)
; SGPRBlocks: 0
; VGPRBlocks: 0
; NumSGPRsForWavesPerEU: 6
; NumVGPRsForWavesPerEU: 1
; AccumOffset: 4
; Occupancy: 8
; WaveLimiterHint : 0
; COMPUTE_PGM_RSRC2:SCRATCH_EN: 0
; COMPUTE_PGM_RSRC2:USER_SGPR: 2
; COMPUTE_PGM_RSRC2:TRAP_HANDLER: 0
; COMPUTE_PGM_RSRC2:TGID_X_EN: 1
; COMPUTE_PGM_RSRC2:TGID_Y_EN: 0
; COMPUTE_PGM_RSRC2:TGID_Z_EN: 0
; COMPUTE_PGM_RSRC2:TIDIG_COMP_CNT: 0
; COMPUTE_PGM_RSRC3_GFX90A:ACCUM_OFFSET: 0
; COMPUTE_PGM_RSRC3_GFX90A:TG_SPLIT: 0
	.section	.text._ZN7rocprim17ROCPRIM_400000_NS6detail17trampoline_kernelINS0_14default_configENS1_25partition_config_selectorILNS1_17partition_subalgoE0EjNS0_10empty_typeEbEEZZNS1_14partition_implILS5_0ELb0ES3_jN6thrust23THRUST_200600_302600_NS6detail15normal_iteratorINSA_10device_ptrIjEEEEPS6_SG_NS0_5tupleIJSF_NSA_16discard_iteratorINSA_11use_defaultEEEEEENSH_IJSG_SG_EEES6_PlJ7is_evenIjEEEE10hipError_tPvRmT3_T4_T5_T6_T7_T9_mT8_P12ihipStream_tbDpT10_ENKUlT_T0_E_clISt17integral_constantIbLb1EES18_IbLb0EEEEDaS14_S15_EUlS14_E_NS1_11comp_targetILNS1_3genE5ELNS1_11target_archE942ELNS1_3gpuE9ELNS1_3repE0EEENS1_30default_config_static_selectorELNS0_4arch9wavefront6targetE1EEEvT1_,"axG",@progbits,_ZN7rocprim17ROCPRIM_400000_NS6detail17trampoline_kernelINS0_14default_configENS1_25partition_config_selectorILNS1_17partition_subalgoE0EjNS0_10empty_typeEbEEZZNS1_14partition_implILS5_0ELb0ES3_jN6thrust23THRUST_200600_302600_NS6detail15normal_iteratorINSA_10device_ptrIjEEEEPS6_SG_NS0_5tupleIJSF_NSA_16discard_iteratorINSA_11use_defaultEEEEEENSH_IJSG_SG_EEES6_PlJ7is_evenIjEEEE10hipError_tPvRmT3_T4_T5_T6_T7_T9_mT8_P12ihipStream_tbDpT10_ENKUlT_T0_E_clISt17integral_constantIbLb1EES18_IbLb0EEEEDaS14_S15_EUlS14_E_NS1_11comp_targetILNS1_3genE5ELNS1_11target_archE942ELNS1_3gpuE9ELNS1_3repE0EEENS1_30default_config_static_selectorELNS0_4arch9wavefront6targetE1EEEvT1_,comdat
	.protected	_ZN7rocprim17ROCPRIM_400000_NS6detail17trampoline_kernelINS0_14default_configENS1_25partition_config_selectorILNS1_17partition_subalgoE0EjNS0_10empty_typeEbEEZZNS1_14partition_implILS5_0ELb0ES3_jN6thrust23THRUST_200600_302600_NS6detail15normal_iteratorINSA_10device_ptrIjEEEEPS6_SG_NS0_5tupleIJSF_NSA_16discard_iteratorINSA_11use_defaultEEEEEENSH_IJSG_SG_EEES6_PlJ7is_evenIjEEEE10hipError_tPvRmT3_T4_T5_T6_T7_T9_mT8_P12ihipStream_tbDpT10_ENKUlT_T0_E_clISt17integral_constantIbLb1EES18_IbLb0EEEEDaS14_S15_EUlS14_E_NS1_11comp_targetILNS1_3genE5ELNS1_11target_archE942ELNS1_3gpuE9ELNS1_3repE0EEENS1_30default_config_static_selectorELNS0_4arch9wavefront6targetE1EEEvT1_ ; -- Begin function _ZN7rocprim17ROCPRIM_400000_NS6detail17trampoline_kernelINS0_14default_configENS1_25partition_config_selectorILNS1_17partition_subalgoE0EjNS0_10empty_typeEbEEZZNS1_14partition_implILS5_0ELb0ES3_jN6thrust23THRUST_200600_302600_NS6detail15normal_iteratorINSA_10device_ptrIjEEEEPS6_SG_NS0_5tupleIJSF_NSA_16discard_iteratorINSA_11use_defaultEEEEEENSH_IJSG_SG_EEES6_PlJ7is_evenIjEEEE10hipError_tPvRmT3_T4_T5_T6_T7_T9_mT8_P12ihipStream_tbDpT10_ENKUlT_T0_E_clISt17integral_constantIbLb1EES18_IbLb0EEEEDaS14_S15_EUlS14_E_NS1_11comp_targetILNS1_3genE5ELNS1_11target_archE942ELNS1_3gpuE9ELNS1_3repE0EEENS1_30default_config_static_selectorELNS0_4arch9wavefront6targetE1EEEvT1_
	.globl	_ZN7rocprim17ROCPRIM_400000_NS6detail17trampoline_kernelINS0_14default_configENS1_25partition_config_selectorILNS1_17partition_subalgoE0EjNS0_10empty_typeEbEEZZNS1_14partition_implILS5_0ELb0ES3_jN6thrust23THRUST_200600_302600_NS6detail15normal_iteratorINSA_10device_ptrIjEEEEPS6_SG_NS0_5tupleIJSF_NSA_16discard_iteratorINSA_11use_defaultEEEEEENSH_IJSG_SG_EEES6_PlJ7is_evenIjEEEE10hipError_tPvRmT3_T4_T5_T6_T7_T9_mT8_P12ihipStream_tbDpT10_ENKUlT_T0_E_clISt17integral_constantIbLb1EES18_IbLb0EEEEDaS14_S15_EUlS14_E_NS1_11comp_targetILNS1_3genE5ELNS1_11target_archE942ELNS1_3gpuE9ELNS1_3repE0EEENS1_30default_config_static_selectorELNS0_4arch9wavefront6targetE1EEEvT1_
	.p2align	8
	.type	_ZN7rocprim17ROCPRIM_400000_NS6detail17trampoline_kernelINS0_14default_configENS1_25partition_config_selectorILNS1_17partition_subalgoE0EjNS0_10empty_typeEbEEZZNS1_14partition_implILS5_0ELb0ES3_jN6thrust23THRUST_200600_302600_NS6detail15normal_iteratorINSA_10device_ptrIjEEEEPS6_SG_NS0_5tupleIJSF_NSA_16discard_iteratorINSA_11use_defaultEEEEEENSH_IJSG_SG_EEES6_PlJ7is_evenIjEEEE10hipError_tPvRmT3_T4_T5_T6_T7_T9_mT8_P12ihipStream_tbDpT10_ENKUlT_T0_E_clISt17integral_constantIbLb1EES18_IbLb0EEEEDaS14_S15_EUlS14_E_NS1_11comp_targetILNS1_3genE5ELNS1_11target_archE942ELNS1_3gpuE9ELNS1_3repE0EEENS1_30default_config_static_selectorELNS0_4arch9wavefront6targetE1EEEvT1_,@function
_ZN7rocprim17ROCPRIM_400000_NS6detail17trampoline_kernelINS0_14default_configENS1_25partition_config_selectorILNS1_17partition_subalgoE0EjNS0_10empty_typeEbEEZZNS1_14partition_implILS5_0ELb0ES3_jN6thrust23THRUST_200600_302600_NS6detail15normal_iteratorINSA_10device_ptrIjEEEEPS6_SG_NS0_5tupleIJSF_NSA_16discard_iteratorINSA_11use_defaultEEEEEENSH_IJSG_SG_EEES6_PlJ7is_evenIjEEEE10hipError_tPvRmT3_T4_T5_T6_T7_T9_mT8_P12ihipStream_tbDpT10_ENKUlT_T0_E_clISt17integral_constantIbLb1EES18_IbLb0EEEEDaS14_S15_EUlS14_E_NS1_11comp_targetILNS1_3genE5ELNS1_11target_archE942ELNS1_3gpuE9ELNS1_3repE0EEENS1_30default_config_static_selectorELNS0_4arch9wavefront6targetE1EEEvT1_: ; @_ZN7rocprim17ROCPRIM_400000_NS6detail17trampoline_kernelINS0_14default_configENS1_25partition_config_selectorILNS1_17partition_subalgoE0EjNS0_10empty_typeEbEEZZNS1_14partition_implILS5_0ELb0ES3_jN6thrust23THRUST_200600_302600_NS6detail15normal_iteratorINSA_10device_ptrIjEEEEPS6_SG_NS0_5tupleIJSF_NSA_16discard_iteratorINSA_11use_defaultEEEEEENSH_IJSG_SG_EEES6_PlJ7is_evenIjEEEE10hipError_tPvRmT3_T4_T5_T6_T7_T9_mT8_P12ihipStream_tbDpT10_ENKUlT_T0_E_clISt17integral_constantIbLb1EES18_IbLb0EEEEDaS14_S15_EUlS14_E_NS1_11comp_targetILNS1_3genE5ELNS1_11target_archE942ELNS1_3gpuE9ELNS1_3repE0EEENS1_30default_config_static_selectorELNS0_4arch9wavefront6targetE1EEEvT1_
; %bb.0:
	s_load_dwordx2 s[8:9], s[0:1], 0x60
	s_load_dwordx4 s[4:7], s[0:1], 0x8
	s_load_dwordx4 s[24:27], s[0:1], 0x50
	s_load_dword s3, s[0:1], 0x78
	v_lshlrev_b32_e32 v18, 2, v0
	s_waitcnt lgkmcnt(0)
	v_mov_b32_e32 v3, s9
	s_lshl_b64 s[10:11], s[6:7], 2
	s_add_u32 s9, s4, s10
	s_addc_u32 s12, s5, s11
	s_add_i32 s13, s3, -1
	s_mulk_i32 s3, 0x1e00
	s_add_i32 s4, s3, s6
	s_sub_i32 s33, s8, s4
	s_add_u32 s4, s6, s3
	s_addc_u32 s5, s7, 0
	s_cmp_eq_u32 s2, s13
	v_mov_b32_e32 v2, s8
	s_load_dwordx2 s[22:23], s[26:27], 0x0
	s_cselect_b64 s[26:27], -1, 0
	s_cmp_lg_u32 s2, s13
	s_mul_i32 s10, s2, 0x1e00
	s_mov_b32 s11, 0
	v_cmp_lt_u64_e32 vcc, s[4:5], v[2:3]
	s_cselect_b64 s[4:5], -1, 0
	s_or_b64 s[4:5], s[4:5], vcc
	s_lshl_b64 s[6:7], s[10:11], 2
	s_add_u32 s6, s9, s6
	s_addc_u32 s7, s12, s7
	s_mov_b64 s[8:9], -1
	s_and_b64 vcc, exec, s[4:5]
	s_cbranch_vccz .LBB2444_2
; %bb.1:
	v_mov_b32_e32 v19, 0
	v_lshl_add_u64 v[2:3], s[6:7], 0, v[18:19]
	v_add_co_u32_e32 v4, vcc, 0x1000, v2
	s_mov_b64 s[8:9], 0
	s_nop 0
	v_addc_co_u32_e32 v5, vcc, 0, v3, vcc
	v_add_co_u32_e32 v6, vcc, 0x2000, v2
	s_nop 1
	v_addc_co_u32_e32 v7, vcc, 0, v3, vcc
	v_add_co_u32_e32 v8, vcc, 0x3000, v2
	s_nop 1
	v_addc_co_u32_e32 v9, vcc, 0, v3, vcc
	flat_load_dword v1, v[2:3]
	flat_load_dword v10, v[2:3] offset:2048
	flat_load_dword v11, v[4:5]
	flat_load_dword v12, v[4:5] offset:2048
	;; [unrolled: 2-line block ×4, first 2 shown]
	v_add_co_u32_e32 v4, vcc, 0x4000, v2
	s_nop 1
	v_addc_co_u32_e32 v5, vcc, 0, v3, vcc
	v_add_co_u32_e32 v6, vcc, 0x5000, v2
	s_nop 1
	v_addc_co_u32_e32 v7, vcc, 0, v3, vcc
	;; [unrolled: 3-line block ×4, first 2 shown]
	flat_load_dword v17, v[4:5]
	flat_load_dword v19, v[4:5] offset:2048
	flat_load_dword v20, v[6:7]
	flat_load_dword v21, v[6:7] offset:2048
	;; [unrolled: 2-line block ×3, first 2 shown]
	flat_load_dword v24, v[2:3]
	s_waitcnt vmcnt(0) lgkmcnt(0)
	ds_write2st64_b32 v18, v1, v10 offset1:8
	ds_write2st64_b32 v18, v11, v12 offset0:16 offset1:24
	ds_write2st64_b32 v18, v13, v14 offset0:32 offset1:40
	;; [unrolled: 1-line block ×6, first 2 shown]
	ds_write_b32 v18, v24 offset:28672
	s_waitcnt lgkmcnt(0)
	s_barrier
.LBB2444_2:
	s_andn2_b64 vcc, exec, s[8:9]
	s_addk_i32 s33, 0x1e00
	s_cbranch_vccnz .LBB2444_34
; %bb.3:
	v_cmp_gt_u32_e32 vcc, s33, v0
                                        ; implicit-def: $vgpr2_vgpr3_vgpr4_vgpr5_vgpr6_vgpr7_vgpr8_vgpr9_vgpr10_vgpr11_vgpr12_vgpr13_vgpr14_vgpr15_vgpr16_vgpr17
	s_and_saveexec_b64 s[8:9], vcc
	s_cbranch_execz .LBB2444_5
; %bb.4:
	v_mov_b32_e32 v19, 0
	v_lshl_add_u64 v[2:3], s[6:7], 0, v[18:19]
	flat_load_dword v2, v[2:3]
.LBB2444_5:
	s_or_b64 exec, exec, s[8:9]
	v_or_b32_e32 v1, 0x200, v0
	v_cmp_gt_u32_e32 vcc, s33, v1
	s_and_saveexec_b64 s[8:9], vcc
	s_cbranch_execz .LBB2444_7
; %bb.6:
	v_mov_b32_e32 v19, 0
	v_lshl_add_u64 v[20:21], s[6:7], 0, v[18:19]
	flat_load_dword v3, v[20:21] offset:2048
.LBB2444_7:
	s_or_b64 exec, exec, s[8:9]
	v_or_b32_e32 v1, 0x400, v0
	v_cmp_gt_u32_e32 vcc, s33, v1
	s_and_saveexec_b64 s[8:9], vcc
	s_cbranch_execz .LBB2444_9
; %bb.8:
	v_lshlrev_b32_e32 v20, 2, v1
	v_mov_b32_e32 v21, 0
	v_lshl_add_u64 v[20:21], s[6:7], 0, v[20:21]
	flat_load_dword v4, v[20:21]
.LBB2444_9:
	s_or_b64 exec, exec, s[8:9]
	v_or_b32_e32 v1, 0x600, v0
	v_cmp_gt_u32_e32 vcc, s33, v1
	s_and_saveexec_b64 s[8:9], vcc
	s_cbranch_execz .LBB2444_11
; %bb.10:
	v_lshlrev_b32_e32 v20, 2, v1
	v_mov_b32_e32 v21, 0
	v_lshl_add_u64 v[20:21], s[6:7], 0, v[20:21]
	flat_load_dword v5, v[20:21]
.LBB2444_11:
	;; [unrolled: 11-line block ×13, first 2 shown]
	s_or_b64 exec, exec, s[8:9]
	s_waitcnt vmcnt(0) lgkmcnt(0)
	ds_write2st64_b32 v18, v2, v3 offset1:8
	ds_write2st64_b32 v18, v4, v5 offset0:16 offset1:24
	ds_write2st64_b32 v18, v6, v7 offset0:32 offset1:40
	ds_write2st64_b32 v18, v8, v9 offset0:48 offset1:56
	ds_write2st64_b32 v18, v10, v11 offset0:64 offset1:72
	ds_write2st64_b32 v18, v12, v13 offset0:80 offset1:88
	ds_write2st64_b32 v18, v14, v15 offset0:96 offset1:104
	ds_write_b32 v18, v16 offset:28672
	s_waitcnt lgkmcnt(0)
	s_barrier
.LBB2444_34:
	v_mul_u32_u24_e32 v38, 15, v0
	v_lshlrev_b32_e32 v1, 2, v38
	s_waitcnt lgkmcnt(0)
	ds_read2_b32 v[32:33], v1 offset1:1
	ds_read2_b32 v[30:31], v1 offset0:2 offset1:3
	ds_read2_b32 v[28:29], v1 offset0:4 offset1:5
	;; [unrolled: 1-line block ×6, first 2 shown]
	ds_read_b32 v1, v1 offset:56
	v_cndmask_b32_e64 v2, 0, 1, s[4:5]
	v_cmp_ne_u32_e64 s[20:21], 1, v2
	s_andn2_b64 vcc, exec, s[4:5]
	s_waitcnt lgkmcnt(7)
	v_xor_b32_e32 v16, -1, v32
	v_xor_b32_e32 v15, -1, v33
	s_waitcnt lgkmcnt(6)
	v_xor_b32_e32 v14, -1, v30
	v_xor_b32_e32 v13, -1, v31
	;; [unrolled: 3-line block ×7, first 2 shown]
	s_waitcnt lgkmcnt(0)
	v_xor_b32_e32 v2, -1, v1
	s_barrier
	s_cbranch_vccnz .LBB2444_36
; %bb.35:
	v_and_b32_e32 v51, 1, v16
	v_and_b32_e32 v50, 1, v15
	;; [unrolled: 1-line block ×15, first 2 shown]
	s_load_dwordx2 s[28:29], s[0:1], 0x70
	s_cbranch_execz .LBB2444_37
	s_branch .LBB2444_38
.LBB2444_36:
                                        ; implicit-def: $vgpr19
                                        ; implicit-def: $vgpr37
                                        ; implicit-def: $vgpr39
                                        ; implicit-def: $vgpr40
                                        ; implicit-def: $vgpr41
                                        ; implicit-def: $vgpr42
                                        ; implicit-def: $vgpr43
                                        ; implicit-def: $vgpr44
                                        ; implicit-def: $vgpr45
                                        ; implicit-def: $vgpr51
                                        ; implicit-def: $vgpr50
                                        ; implicit-def: $vgpr49
                                        ; implicit-def: $vgpr48
                                        ; implicit-def: $vgpr47
                                        ; implicit-def: $vgpr46
	s_load_dwordx2 s[28:29], s[0:1], 0x70
.LBB2444_37:
	v_add_u32_e32 v44, 1, v38
	v_cmp_gt_u32_e32 vcc, s33, v38
	v_add_u32_e32 v17, 2, v38
	v_add_u32_e32 v43, 3, v38
	v_cndmask_b32_e64 v45, 0, 1, vcc
	v_cmp_gt_u32_e32 vcc, s33, v44
	v_and_b32_e32 v51, v45, v16
	v_add_u32_e32 v19, 4, v38
	v_cndmask_b32_e64 v16, 0, 1, vcc
	v_cmp_gt_u32_e32 vcc, s33, v17
	v_and_b32_e32 v50, v16, v15
	;; [unrolled: 4-line block ×12, first 2 shown]
	s_nop 0
	v_cndmask_b32_e64 v5, 0, 1, vcc
	v_cmp_gt_u32_e32 vcc, s33, v53
	v_and_b32_e32 v39, v5, v4
	s_nop 0
	v_cndmask_b32_e64 v4, 0, 1, vcc
	v_cmp_gt_u32_e32 vcc, s33, v52
	v_and_b32_e32 v37, v4, v3
	s_nop 0
	v_cndmask_b32_e64 v3, 0, 1, vcc
	v_and_b32_e32 v19, v3, v2
.LBB2444_38:
	v_and_b32_e32 v55, 0xff, v48
	v_and_b32_e32 v56, 0xff, v47
	v_and_b32_e32 v57, 0xff, v46
	v_and_b32_e32 v53, 0xff, v50
	v_and_b32_e32 v54, 0xff, v49
	v_add3_u32 v3, v56, v57, v55
	v_and_b32_e32 v52, 0xff, v51
	v_and_b32_e32 v58, 0xff, v45
	v_add3_u32 v3, v3, v54, v53
	v_and_b32_e32 v59, 0xff, v44
	v_and_b32_e32 v60, 0xff, v43
	;; [unrolled: 3-line block ×5, first 2 shown]
	v_add3_u32 v3, v3, v63, v64
	v_add3_u32 v68, v3, v65, v2
	v_mbcnt_lo_u32_b32 v2, -1, 0
	v_mbcnt_hi_u32_b32 v66, -1, v2
	v_and_b32_e32 v2, 15, v66
	v_cmp_eq_u32_e64 s[16:17], 0, v2
	v_cmp_lt_u32_e64 s[14:15], 1, v2
	v_cmp_lt_u32_e64 s[12:13], 3, v2
	;; [unrolled: 1-line block ×3, first 2 shown]
	v_and_b32_e32 v2, 16, v66
	v_cmp_eq_u32_e64 s[8:9], 0, v2
	v_or_b32_e32 v2, 63, v0
	s_cmp_lg_u32 s2, 0
	v_cmp_lt_u32_e64 s[4:5], 31, v66
	v_lshrrev_b32_e32 v67, 6, v0
	v_cmp_eq_u32_e64 s[6:7], v2, v0
	s_cbranch_scc0 .LBB2444_69
; %bb.39:
	v_mov_b32_dpp v2, v68 row_shr:1 row_mask:0xf bank_mask:0xf
	v_cndmask_b32_e64 v2, v2, 0, s[16:17]
	v_add_u32_e32 v2, v2, v68
	s_nop 1
	v_mov_b32_dpp v3, v2 row_shr:2 row_mask:0xf bank_mask:0xf
	v_cndmask_b32_e64 v3, 0, v3, s[14:15]
	v_add_u32_e32 v2, v2, v3
	s_nop 1
	;; [unrolled: 4-line block ×4, first 2 shown]
	v_mov_b32_dpp v3, v2 row_bcast:15 row_mask:0xf bank_mask:0xf
	v_cndmask_b32_e64 v3, v3, 0, s[8:9]
	v_add_u32_e32 v2, v2, v3
	s_nop 1
	v_mov_b32_dpp v3, v2 row_bcast:31 row_mask:0xf bank_mask:0xf
	v_cndmask_b32_e64 v3, 0, v3, s[4:5]
	v_add_u32_e32 v2, v2, v3
	s_and_saveexec_b64 s[18:19], s[6:7]
	s_cbranch_execz .LBB2444_41
; %bb.40:
	v_lshlrev_b32_e32 v3, 2, v67
	ds_write_b32 v3, v2
.LBB2444_41:
	s_or_b64 exec, exec, s[18:19]
	v_cmp_gt_u32_e32 vcc, 8, v0
	s_waitcnt lgkmcnt(0)
	s_barrier
	s_and_saveexec_b64 s[18:19], vcc
	s_cbranch_execz .LBB2444_43
; %bb.42:
	ds_read_b32 v3, v18
	v_and_b32_e32 v4, 7, v66
	v_cmp_ne_u32_e32 vcc, 0, v4
	s_waitcnt lgkmcnt(0)
	v_mov_b32_dpp v5, v3 row_shr:1 row_mask:0xf bank_mask:0xf
	v_cndmask_b32_e32 v5, 0, v5, vcc
	v_add_u32_e32 v3, v5, v3
	v_cmp_lt_u32_e32 vcc, 1, v4
	s_nop 0
	v_mov_b32_dpp v5, v3 row_shr:2 row_mask:0xf bank_mask:0xf
	v_cndmask_b32_e32 v5, 0, v5, vcc
	v_add_u32_e32 v3, v3, v5
	v_cmp_lt_u32_e32 vcc, 3, v4
	s_nop 0
	v_mov_b32_dpp v5, v3 row_shr:4 row_mask:0xf bank_mask:0xf
	v_cndmask_b32_e32 v4, 0, v5, vcc
	v_add_u32_e32 v3, v3, v4
	ds_write_b32 v18, v3
.LBB2444_43:
	s_or_b64 exec, exec, s[18:19]
	v_cmp_gt_u32_e32 vcc, 64, v0
	v_cmp_lt_u32_e64 s[18:19], 63, v0
	s_waitcnt lgkmcnt(0)
	s_barrier
	s_waitcnt lgkmcnt(0)
                                        ; implicit-def: $vgpr12
	s_and_saveexec_b64 s[30:31], s[18:19]
	s_cbranch_execz .LBB2444_45
; %bb.44:
	v_lshl_add_u32 v3, v67, 2, -4
	ds_read_b32 v12, v3
	s_waitcnt lgkmcnt(0)
	v_add_u32_e32 v2, v12, v2
.LBB2444_45:
	s_or_b64 exec, exec, s[30:31]
	v_add_u32_e32 v3, -1, v66
	v_and_b32_e32 v4, 64, v66
	v_cmp_lt_i32_e64 s[18:19], v3, v4
	s_nop 1
	v_cndmask_b32_e64 v3, v3, v66, s[18:19]
	v_lshlrev_b32_e32 v3, 2, v3
	ds_bpermute_b32 v13, v3, v2
	v_cmp_eq_u32_e64 s[18:19], 0, v66
	s_and_saveexec_b64 s[30:31], vcc
	s_cbranch_execz .LBB2444_68
; %bb.46:
	v_mov_b32_e32 v11, 0
	ds_read_b32 v2, v11 offset:28
	s_and_saveexec_b64 s[34:35], s[18:19]
	s_cbranch_execz .LBB2444_48
; %bb.47:
	s_add_i32 s36, s2, 64
	s_mov_b32 s37, 0
	s_lshl_b64 s[36:37], s[36:37], 3
	s_add_u32 s36, s28, s36
	v_mov_b32_e32 v3, 1
	s_addc_u32 s37, s29, s37
	s_waitcnt lgkmcnt(0)
	global_store_dwordx2 v11, v[2:3], s[36:37] sc1
.LBB2444_48:
	s_or_b64 exec, exec, s[34:35]
	v_xad_u32 v4, v66, -1, s2
	v_add_u32_e32 v10, 64, v4
	v_lshl_add_u64 v[6:7], v[10:11], 3, s[28:29]
	global_load_dwordx2 v[8:9], v[6:7], off sc1
	s_waitcnt vmcnt(0)
	v_cmp_eq_u16_sdwa s[36:37], v9, v11 src0_sel:BYTE_0 src1_sel:DWORD
	s_and_saveexec_b64 s[34:35], s[36:37]
	s_cbranch_execz .LBB2444_54
; %bb.49:
	s_mov_b32 s3, 1
	s_mov_b64 s[36:37], 0
	v_mov_b32_e32 v3, 0
.LBB2444_50:                            ; =>This Loop Header: Depth=1
                                        ;     Child Loop BB2444_51 Depth 2
	s_max_u32 s38, s3, 1
.LBB2444_51:                            ;   Parent Loop BB2444_50 Depth=1
                                        ; =>  This Inner Loop Header: Depth=2
	s_add_i32 s38, s38, -1
	s_cmp_eq_u32 s38, 0
	s_sleep 1
	s_cbranch_scc0 .LBB2444_51
; %bb.52:                               ;   in Loop: Header=BB2444_50 Depth=1
	global_load_dwordx2 v[8:9], v[6:7], off sc1
	s_cmp_lt_u32 s3, 32
	s_cselect_b64 s[38:39], -1, 0
	s_cmp_lg_u64 s[38:39], 0
	s_addc_u32 s3, s3, 0
	s_waitcnt vmcnt(0)
	v_cmp_ne_u16_sdwa s[38:39], v9, v3 src0_sel:BYTE_0 src1_sel:DWORD
	s_or_b64 s[36:37], s[38:39], s[36:37]
	s_andn2_b64 exec, exec, s[36:37]
	s_cbranch_execnz .LBB2444_50
; %bb.53:
	s_or_b64 exec, exec, s[36:37]
.LBB2444_54:
	s_or_b64 exec, exec, s[34:35]
	v_and_b32_e32 v15, 63, v66
	v_mov_b32_e32 v14, 2
	v_cmp_ne_u32_e32 vcc, 63, v15
	v_cmp_eq_u16_sdwa s[34:35], v9, v14 src0_sel:BYTE_0 src1_sel:DWORD
	v_lshlrev_b64 v[6:7], v66, -1
	v_addc_co_u32_e32 v10, vcc, 0, v66, vcc
	v_and_b32_e32 v3, s35, v7
	v_lshlrev_b32_e32 v16, 2, v10
	v_or_b32_e32 v3, 0x80000000, v3
	ds_bpermute_b32 v10, v16, v8
	v_and_b32_e32 v5, s34, v6
	v_ffbl_b32_e32 v3, v3
	v_add_u32_e32 v3, 32, v3
	v_ffbl_b32_e32 v5, v5
	v_min_u32_e32 v3, v5, v3
	v_cmp_lt_u32_e32 vcc, v15, v3
	v_add_u32_e32 v34, 2, v15
	v_add_u32_e32 v36, 4, v15
	s_waitcnt lgkmcnt(0)
	v_cndmask_b32_e32 v5, 0, v10, vcc
	v_cmp_gt_u32_e32 vcc, 62, v15
	v_add_u32_e32 v5, v5, v8
	v_add_u32_e32 v70, 8, v15
	v_cndmask_b32_e64 v8, 0, 1, vcc
	v_lshlrev_b32_e32 v8, 1, v8
	v_add_lshl_u32 v17, v8, v66, 2
	ds_bpermute_b32 v8, v17, v5
	v_cmp_le_u32_e32 vcc, v34, v3
	v_add_u32_e32 v72, 16, v15
	v_add_u32_e32 v74, 32, v15
	s_waitcnt lgkmcnt(0)
	v_cndmask_b32_e32 v8, 0, v8, vcc
	v_cmp_gt_u32_e32 vcc, 60, v15
	v_add_u32_e32 v5, v5, v8
	s_nop 0
	v_cndmask_b32_e64 v8, 0, 1, vcc
	v_lshlrev_b32_e32 v8, 2, v8
	v_add_lshl_u32 v35, v8, v66, 2
	ds_bpermute_b32 v8, v35, v5
	v_cmp_le_u32_e32 vcc, v36, v3
	s_waitcnt lgkmcnt(0)
	s_nop 0
	v_cndmask_b32_e32 v8, 0, v8, vcc
	v_cmp_gt_u32_e32 vcc, 56, v15
	v_add_u32_e32 v5, v5, v8
	s_nop 0
	v_cndmask_b32_e64 v8, 0, 1, vcc
	v_lshlrev_b32_e32 v8, 3, v8
	v_add_lshl_u32 v69, v8, v66, 2
	ds_bpermute_b32 v8, v69, v5
	v_cmp_le_u32_e32 vcc, v70, v3
	s_waitcnt lgkmcnt(0)
	s_nop 0
	;; [unrolled: 11-line block ×4, first 2 shown]
	v_cndmask_b32_e32 v3, 0, v8, vcc
	v_add_u32_e32 v8, v5, v3
	v_mov_b32_e32 v5, 0
	s_branch .LBB2444_56
.LBB2444_55:                            ;   in Loop: Header=BB2444_56 Depth=1
	s_or_b64 exec, exec, s[34:35]
	v_cmp_eq_u16_sdwa s[34:35], v9, v14 src0_sel:BYTE_0 src1_sel:DWORD
	ds_bpermute_b32 v75, v16, v8
	v_subrev_u32_e32 v4, 64, v4
	v_and_b32_e32 v10, s35, v7
	v_or_b32_e32 v10, 0x80000000, v10
	v_and_b32_e32 v11, s34, v6
	v_ffbl_b32_e32 v10, v10
	v_add_u32_e32 v10, 32, v10
	v_ffbl_b32_e32 v11, v11
	v_min_u32_e32 v10, v11, v10
	v_cmp_lt_u32_e32 vcc, v15, v10
	s_waitcnt lgkmcnt(0)
	s_nop 0
	v_cndmask_b32_e32 v11, 0, v75, vcc
	v_add_u32_e32 v8, v11, v8
	ds_bpermute_b32 v11, v17, v8
	v_cmp_le_u32_e32 vcc, v34, v10
	s_waitcnt lgkmcnt(0)
	s_nop 0
	v_cndmask_b32_e32 v11, 0, v11, vcc
	v_add_u32_e32 v8, v8, v11
	ds_bpermute_b32 v11, v35, v8
	v_cmp_le_u32_e32 vcc, v36, v10
	;; [unrolled: 6-line block ×5, first 2 shown]
	s_waitcnt lgkmcnt(0)
	s_nop 0
	v_cndmask_b32_e32 v10, 0, v11, vcc
	v_add3_u32 v8, v10, v3, v8
.LBB2444_56:                            ; =>This Loop Header: Depth=1
                                        ;     Child Loop BB2444_59 Depth 2
                                        ;       Child Loop BB2444_60 Depth 3
	v_cmp_ne_u16_sdwa s[34:35], v9, v14 src0_sel:BYTE_0 src1_sel:DWORD
	s_nop 1
	v_cndmask_b32_e64 v3, 0, 1, s[34:35]
	;;#ASMSTART
	;;#ASMEND
	s_nop 0
	v_cmp_ne_u32_e32 vcc, 0, v3
	s_cmp_lg_u64 vcc, exec
	v_mov_b32_e32 v3, v8
	s_cbranch_scc1 .LBB2444_63
; %bb.57:                               ;   in Loop: Header=BB2444_56 Depth=1
	v_lshl_add_u64 v[10:11], v[4:5], 3, s[28:29]
	global_load_dwordx2 v[8:9], v[10:11], off sc1
	s_waitcnt vmcnt(0)
	v_cmp_eq_u16_sdwa s[36:37], v9, v5 src0_sel:BYTE_0 src1_sel:DWORD
	s_and_saveexec_b64 s[34:35], s[36:37]
	s_cbranch_execz .LBB2444_55
; %bb.58:                               ;   in Loop: Header=BB2444_56 Depth=1
	s_mov_b32 s3, 1
	s_mov_b64 s[36:37], 0
.LBB2444_59:                            ;   Parent Loop BB2444_56 Depth=1
                                        ; =>  This Loop Header: Depth=2
                                        ;       Child Loop BB2444_60 Depth 3
	s_max_u32 s38, s3, 1
.LBB2444_60:                            ;   Parent Loop BB2444_56 Depth=1
                                        ;     Parent Loop BB2444_59 Depth=2
                                        ; =>    This Inner Loop Header: Depth=3
	s_add_i32 s38, s38, -1
	s_cmp_eq_u32 s38, 0
	s_sleep 1
	s_cbranch_scc0 .LBB2444_60
; %bb.61:                               ;   in Loop: Header=BB2444_59 Depth=2
	global_load_dwordx2 v[8:9], v[10:11], off sc1
	s_cmp_lt_u32 s3, 32
	s_cselect_b64 s[38:39], -1, 0
	s_cmp_lg_u64 s[38:39], 0
	s_addc_u32 s3, s3, 0
	s_waitcnt vmcnt(0)
	v_cmp_ne_u16_sdwa s[38:39], v9, v5 src0_sel:BYTE_0 src1_sel:DWORD
	s_or_b64 s[36:37], s[38:39], s[36:37]
	s_andn2_b64 exec, exec, s[36:37]
	s_cbranch_execnz .LBB2444_59
; %bb.62:                               ;   in Loop: Header=BB2444_56 Depth=1
	s_or_b64 exec, exec, s[36:37]
	s_branch .LBB2444_55
.LBB2444_63:                            ;   in Loop: Header=BB2444_56 Depth=1
                                        ; implicit-def: $vgpr8
                                        ; implicit-def: $vgpr9
	s_cbranch_execz .LBB2444_56
; %bb.64:
	s_and_saveexec_b64 s[34:35], s[18:19]
	s_cbranch_execz .LBB2444_66
; %bb.65:
	s_add_i32 s2, s2, 64
	s_mov_b32 s3, 0
	s_lshl_b64 s[2:3], s[2:3], 3
	s_add_u32 s2, s28, s2
	v_add_u32_e32 v4, v3, v2
	v_mov_b32_e32 v5, 2
	s_addc_u32 s3, s29, s3
	v_mov_b32_e32 v6, 0
	global_store_dwordx2 v6, v[4:5], s[2:3] sc1
	ds_write_b64 v6, v[2:3] offset:30720
.LBB2444_66:
	s_or_b64 exec, exec, s[34:35]
	v_cmp_eq_u32_e32 vcc, 0, v0
	s_and_b64 exec, exec, vcc
	s_cbranch_execz .LBB2444_68
; %bb.67:
	v_mov_b32_e32 v2, 0
	ds_write_b32 v2, v3 offset:28
.LBB2444_68:
	s_or_b64 exec, exec, s[30:31]
	v_mov_b32_e32 v14, 0
	s_waitcnt lgkmcnt(0)
	s_barrier
	ds_read_b32 v2, v14 offset:28
	v_cndmask_b32_e64 v3, v13, v12, s[18:19]
	v_cmp_ne_u32_e32 vcc, 0, v0
	s_waitcnt lgkmcnt(0)
	s_barrier
	v_cndmask_b32_e32 v3, 0, v3, vcc
	v_add_u32_e32 v2, v2, v3
	v_add_u32_e32 v3, v2, v52
	;; [unrolled: 1-line block ×10, first 2 shown]
	ds_read_b64 v[34:35], v14 offset:30720
	v_add_u32_e32 v12, v11, v61
	v_add_u32_e32 v13, v12, v62
	;; [unrolled: 1-line block ×5, first 2 shown]
	s_waitcnt lgkmcnt(0)
	v_mov_b32_e32 v36, v35
	s_load_dwordx2 s[2:3], s[0:1], 0x28
	s_branch .LBB2444_79
.LBB2444_69:
                                        ; implicit-def: $vgpr36
                                        ; implicit-def: $vgpr34
                                        ; implicit-def: $vgpr2_vgpr3_vgpr4_vgpr5_vgpr6_vgpr7_vgpr8_vgpr9_vgpr10_vgpr11_vgpr12_vgpr13_vgpr14_vgpr15_vgpr16_vgpr17
	s_load_dwordx2 s[2:3], s[0:1], 0x28
	s_cbranch_execz .LBB2444_79
; %bb.70:
	v_mov_b32_dpp v2, v68 row_shr:1 row_mask:0xf bank_mask:0xf
	v_cndmask_b32_e64 v2, v2, 0, s[16:17]
	v_add_u32_e32 v2, v2, v68
	s_nop 1
	v_mov_b32_dpp v3, v2 row_shr:2 row_mask:0xf bank_mask:0xf
	v_cndmask_b32_e64 v3, 0, v3, s[14:15]
	v_add_u32_e32 v2, v2, v3
	s_nop 1
	;; [unrolled: 4-line block ×4, first 2 shown]
	v_mov_b32_dpp v3, v2 row_bcast:15 row_mask:0xf bank_mask:0xf
	v_cndmask_b32_e64 v3, v3, 0, s[8:9]
	v_add_u32_e32 v2, v2, v3
	s_nop 1
	v_mov_b32_dpp v3, v2 row_bcast:31 row_mask:0xf bank_mask:0xf
	v_cndmask_b32_e64 v3, 0, v3, s[4:5]
	v_add_u32_e32 v2, v2, v3
	s_and_saveexec_b64 s[0:1], s[6:7]
	s_cbranch_execz .LBB2444_72
; %bb.71:
	v_lshlrev_b32_e32 v3, 2, v67
	ds_write_b32 v3, v2
.LBB2444_72:
	s_or_b64 exec, exec, s[0:1]
	v_cmp_gt_u32_e32 vcc, 8, v0
	s_waitcnt lgkmcnt(0)
	s_barrier
	s_and_saveexec_b64 s[0:1], vcc
	s_cbranch_execz .LBB2444_74
; %bb.73:
	ds_read_b32 v3, v18
	v_and_b32_e32 v4, 7, v66
	v_cmp_ne_u32_e32 vcc, 0, v4
	s_waitcnt lgkmcnt(0)
	v_mov_b32_dpp v5, v3 row_shr:1 row_mask:0xf bank_mask:0xf
	v_cndmask_b32_e32 v5, 0, v5, vcc
	v_add_u32_e32 v3, v5, v3
	v_cmp_lt_u32_e32 vcc, 1, v4
	s_nop 0
	v_mov_b32_dpp v5, v3 row_shr:2 row_mask:0xf bank_mask:0xf
	v_cndmask_b32_e32 v5, 0, v5, vcc
	v_add_u32_e32 v3, v3, v5
	v_cmp_lt_u32_e32 vcc, 3, v4
	s_nop 0
	v_mov_b32_dpp v5, v3 row_shr:4 row_mask:0xf bank_mask:0xf
	v_cndmask_b32_e32 v4, 0, v5, vcc
	v_add_u32_e32 v3, v3, v4
	ds_write_b32 v18, v3
.LBB2444_74:
	s_or_b64 exec, exec, s[0:1]
	v_cmp_lt_u32_e32 vcc, 63, v0
	v_mov_b32_e32 v4, 0
	v_mov_b32_e32 v3, 0
	s_waitcnt lgkmcnt(0)
	s_barrier
	s_and_saveexec_b64 s[0:1], vcc
	s_cbranch_execz .LBB2444_76
; %bb.75:
	v_lshl_add_u32 v3, v67, 2, -4
	ds_read_b32 v3, v3
.LBB2444_76:
	s_or_b64 exec, exec, s[0:1]
	v_add_u32_e32 v5, -1, v66
	v_and_b32_e32 v6, 64, v66
	v_cmp_lt_i32_e32 vcc, v5, v6
	s_waitcnt lgkmcnt(0)
	v_add_u32_e32 v2, v3, v2
	ds_read_b32 v34, v4 offset:28
	v_cndmask_b32_e32 v5, v5, v66, vcc
	v_lshlrev_b32_e32 v5, 2, v5
	ds_bpermute_b32 v2, v5, v2
	v_cmp_eq_u32_e32 vcc, 0, v0
	s_and_saveexec_b64 s[0:1], vcc
	s_cbranch_execz .LBB2444_78
; %bb.77:
	v_mov_b32_e32 v4, 0
	v_mov_b32_e32 v35, 2
	s_waitcnt lgkmcnt(1)
	global_store_dwordx2 v4, v[34:35], s[28:29] offset:512 sc1
.LBB2444_78:
	s_or_b64 exec, exec, s[0:1]
	v_cmp_eq_u32_e64 s[0:1], 0, v66
	v_mov_b32_e32 v36, 0
	s_waitcnt lgkmcnt(0)
	v_cndmask_b32_e64 v2, v2, v3, s[0:1]
	v_cndmask_b32_e64 v2, v2, 0, vcc
	v_add_u32_e32 v3, v2, v52
	v_add_u32_e32 v4, v3, v53
	;; [unrolled: 1-line block ×14, first 2 shown]
	s_barrier
.LBB2444_79:
	v_add_u32_e32 v17, v34, v38
	v_sub_u32_e32 v2, v2, v36
	v_and_b32_e32 v38, 1, v51
	v_sub_u32_e32 v35, v17, v2
	v_cmp_eq_u32_e32 vcc, 1, v38
	s_nop 1
	v_cndmask_b32_e32 v2, v35, v2, vcc
	v_lshlrev_b32_e32 v2, 2, v2
	ds_write_b32 v2, v32
	v_sub_u32_e32 v2, v3, v36
	v_sub_u32_e32 v3, v17, v2
	v_and_b32_e32 v32, 1, v50
	v_add_u32_e32 v3, 1, v3
	v_cmp_eq_u32_e32 vcc, 1, v32
	v_or_b32_e32 v32, 0x200, v0
	s_nop 0
	v_cndmask_b32_e32 v2, v3, v2, vcc
	v_lshlrev_b32_e32 v2, 2, v2
	ds_write_b32 v2, v33
	v_sub_u32_e32 v2, v4, v36
	v_sub_u32_e32 v3, v17, v2
	v_and_b32_e32 v4, 1, v49
	v_add_u32_e32 v3, 2, v3
	v_cmp_eq_u32_e32 vcc, 1, v4
	v_and_b32_e32 v4, 1, v48
	s_nop 0
	v_cndmask_b32_e32 v2, v3, v2, vcc
	v_lshlrev_b32_e32 v2, 2, v2
	ds_write_b32 v2, v30
	v_sub_u32_e32 v2, v5, v36
	v_sub_u32_e32 v3, v17, v2
	v_add_u32_e32 v3, 3, v3
	v_cmp_eq_u32_e32 vcc, 1, v4
	v_and_b32_e32 v4, 1, v47
	v_or_b32_e32 v30, 0x600, v0
	v_cndmask_b32_e32 v2, v3, v2, vcc
	v_lshlrev_b32_e32 v2, 2, v2
	ds_write_b32 v2, v31
	v_sub_u32_e32 v2, v6, v36
	v_sub_u32_e32 v3, v17, v2
	v_add_u32_e32 v3, 4, v3
	v_cmp_eq_u32_e32 vcc, 1, v4
	v_and_b32_e32 v4, 1, v46
	v_or_b32_e32 v31, 0x400, v0
	;; [unrolled: 9-line block ×11, first 2 shown]
	v_cndmask_b32_e32 v2, v3, v2, vcc
	v_lshlrev_b32_e32 v2, 2, v2
	ds_write_b32 v2, v21
	v_sub_u32_e32 v2, v16, v36
	v_sub_u32_e32 v3, v17, v2
	v_add_u32_e32 v3, 14, v3
	v_cmp_eq_u32_e32 vcc, 1, v4
	v_or_b32_e32 v21, 0x1800, v0
	v_or_b32_e32 v19, 0x1c00, v0
	v_cndmask_b32_e32 v2, v3, v2, vcc
	v_lshlrev_b32_e32 v2, 2, v2
	ds_write_b32 v2, v1
	s_waitcnt lgkmcnt(0)
	s_barrier
	ds_read2st64_b32 v[16:17], v18 offset1:8
	ds_read2st64_b32 v[14:15], v18 offset0:16 offset1:24
	ds_read2st64_b32 v[12:13], v18 offset0:32 offset1:40
	;; [unrolled: 1-line block ×6, first 2 shown]
	ds_read_b32 v1, v18 offset:28672
	s_and_b64 vcc, exec, s[20:21]
	s_cbranch_vccnz .LBB2444_96
; %bb.80:
	s_lshl_b64 s[0:1], s[22:23], 2
	v_mov_b32_e32 v37, 0
	s_add_u32 s0, s2, s0
	s_addc_u32 s1, s3, s1
	v_lshlrev_b64 v[4:5], 2, v[36:37]
	v_lshl_add_u64 v[4:5], s[0:1], 0, v[4:5]
	v_cmp_gt_u32_e32 vcc, v34, v0
	s_and_saveexec_b64 s[0:1], vcc
	s_cbranch_execnz .LBB2444_118
; %bb.81:
	s_or_b64 exec, exec, s[0:1]
	v_cmp_lt_u32_e32 vcc, v32, v34
	s_and_saveexec_b64 s[0:1], vcc
	s_cbranch_execnz .LBB2444_119
.LBB2444_82:
	s_or_b64 exec, exec, s[0:1]
	v_cmp_lt_u32_e32 vcc, v31, v34
	s_and_saveexec_b64 s[0:1], vcc
	s_cbranch_execnz .LBB2444_120
.LBB2444_83:
	s_or_b64 exec, exec, s[0:1]
	v_cmp_lt_u32_e32 vcc, v30, v34
	s_and_saveexec_b64 s[0:1], vcc
	s_cbranch_execnz .LBB2444_121
.LBB2444_84:
	s_or_b64 exec, exec, s[0:1]
	v_cmp_lt_u32_e32 vcc, v29, v34
	s_and_saveexec_b64 s[0:1], vcc
	s_cbranch_execnz .LBB2444_122
.LBB2444_85:
	s_or_b64 exec, exec, s[0:1]
	v_cmp_lt_u32_e32 vcc, v28, v34
	s_and_saveexec_b64 s[0:1], vcc
	s_cbranch_execnz .LBB2444_123
.LBB2444_86:
	s_or_b64 exec, exec, s[0:1]
	v_cmp_lt_u32_e32 vcc, v27, v34
	s_and_saveexec_b64 s[0:1], vcc
	s_cbranch_execnz .LBB2444_124
.LBB2444_87:
	s_or_b64 exec, exec, s[0:1]
	v_cmp_lt_u32_e32 vcc, v26, v34
	s_and_saveexec_b64 s[0:1], vcc
	s_cbranch_execnz .LBB2444_125
.LBB2444_88:
	s_or_b64 exec, exec, s[0:1]
	v_cmp_lt_u32_e32 vcc, v25, v34
	s_and_saveexec_b64 s[0:1], vcc
	s_cbranch_execnz .LBB2444_126
.LBB2444_89:
	s_or_b64 exec, exec, s[0:1]
	v_cmp_lt_u32_e32 vcc, v24, v34
	s_and_saveexec_b64 s[0:1], vcc
	s_cbranch_execnz .LBB2444_127
.LBB2444_90:
	s_or_b64 exec, exec, s[0:1]
	v_cmp_lt_u32_e32 vcc, v23, v34
	s_and_saveexec_b64 s[0:1], vcc
	s_cbranch_execnz .LBB2444_128
.LBB2444_91:
	s_or_b64 exec, exec, s[0:1]
	v_cmp_lt_u32_e32 vcc, v22, v34
	s_and_saveexec_b64 s[0:1], vcc
	s_cbranch_execnz .LBB2444_129
.LBB2444_92:
	s_or_b64 exec, exec, s[0:1]
	v_cmp_lt_u32_e32 vcc, v21, v34
	s_and_saveexec_b64 s[0:1], vcc
	s_cbranch_execnz .LBB2444_130
.LBB2444_93:
	s_or_b64 exec, exec, s[0:1]
	v_cmp_lt_u32_e32 vcc, v20, v34
	s_and_saveexec_b64 s[0:1], vcc
	s_cbranch_execz .LBB2444_95
.LBB2444_94:
	v_lshlrev_b32_e32 v33, 2, v20
	v_readfirstlane_b32 s4, v4
	v_readfirstlane_b32 s5, v5
	s_waitcnt lgkmcnt(1)
	s_nop 3
	global_store_dword v33, v3, s[4:5]
.LBB2444_95:
	s_or_b64 exec, exec, s[0:1]
	v_cmp_lt_u32_e64 s[0:1], v19, v34
	s_branch .LBB2444_113
.LBB2444_96:
	s_mov_b64 s[0:1], 0
                                        ; implicit-def: $vgpr4_vgpr5
	s_cbranch_execz .LBB2444_113
; %bb.97:
	s_lshl_b64 s[0:1], s[22:23], 2
	v_mov_b32_e32 v37, 0
	s_add_u32 s0, s2, s0
	v_min_u32_e32 v33, s33, v34
	s_addc_u32 s1, s3, s1
	v_lshlrev_b64 v[4:5], 2, v[36:37]
	v_lshl_add_u64 v[4:5], s[0:1], 0, v[4:5]
	v_cmp_gt_u32_e32 vcc, v33, v0
	s_and_saveexec_b64 s[0:1], vcc
	s_cbranch_execnz .LBB2444_131
; %bb.98:
	s_or_b64 exec, exec, s[0:1]
	v_cmp_lt_u32_e32 vcc, v32, v33
	s_and_saveexec_b64 s[0:1], vcc
	s_cbranch_execnz .LBB2444_132
.LBB2444_99:
	s_or_b64 exec, exec, s[0:1]
	v_cmp_lt_u32_e32 vcc, v31, v33
	s_and_saveexec_b64 s[0:1], vcc
	s_cbranch_execnz .LBB2444_133
.LBB2444_100:
	s_or_b64 exec, exec, s[0:1]
	v_cmp_lt_u32_e32 vcc, v30, v33
	s_and_saveexec_b64 s[0:1], vcc
	s_cbranch_execnz .LBB2444_134
.LBB2444_101:
	s_or_b64 exec, exec, s[0:1]
	v_cmp_lt_u32_e32 vcc, v29, v33
	s_and_saveexec_b64 s[0:1], vcc
	s_cbranch_execnz .LBB2444_135
.LBB2444_102:
	s_or_b64 exec, exec, s[0:1]
	v_cmp_lt_u32_e32 vcc, v28, v33
	s_and_saveexec_b64 s[0:1], vcc
	s_cbranch_execnz .LBB2444_136
.LBB2444_103:
	s_or_b64 exec, exec, s[0:1]
	v_cmp_lt_u32_e32 vcc, v27, v33
	s_and_saveexec_b64 s[0:1], vcc
	s_cbranch_execnz .LBB2444_137
.LBB2444_104:
	s_or_b64 exec, exec, s[0:1]
	v_cmp_lt_u32_e32 vcc, v26, v33
	s_and_saveexec_b64 s[0:1], vcc
	s_cbranch_execnz .LBB2444_138
.LBB2444_105:
	s_or_b64 exec, exec, s[0:1]
	v_cmp_lt_u32_e32 vcc, v25, v33
	s_and_saveexec_b64 s[0:1], vcc
	s_cbranch_execnz .LBB2444_139
.LBB2444_106:
	s_or_b64 exec, exec, s[0:1]
	v_cmp_lt_u32_e32 vcc, v24, v33
	s_and_saveexec_b64 s[0:1], vcc
	s_cbranch_execnz .LBB2444_140
.LBB2444_107:
	s_or_b64 exec, exec, s[0:1]
	v_cmp_lt_u32_e32 vcc, v23, v33
	s_and_saveexec_b64 s[0:1], vcc
	s_cbranch_execnz .LBB2444_141
.LBB2444_108:
	s_or_b64 exec, exec, s[0:1]
	v_cmp_lt_u32_e32 vcc, v22, v33
	s_and_saveexec_b64 s[0:1], vcc
	s_cbranch_execnz .LBB2444_142
.LBB2444_109:
	s_or_b64 exec, exec, s[0:1]
	v_cmp_lt_u32_e32 vcc, v21, v33
	s_and_saveexec_b64 s[0:1], vcc
	s_cbranch_execnz .LBB2444_143
.LBB2444_110:
	s_or_b64 exec, exec, s[0:1]
	v_cmp_lt_u32_e32 vcc, v20, v33
	s_and_saveexec_b64 s[0:1], vcc
	s_cbranch_execz .LBB2444_112
.LBB2444_111:
	s_waitcnt lgkmcnt(1)
	v_lshlrev_b32_e32 v2, 2, v20
	v_readfirstlane_b32 s2, v4
	v_readfirstlane_b32 s3, v5
	s_nop 4
	global_store_dword v2, v3, s[2:3]
.LBB2444_112:
	s_or_b64 exec, exec, s[0:1]
	v_cmp_lt_u32_e64 s[0:1], v19, v33
.LBB2444_113:
	s_and_saveexec_b64 s[2:3], s[0:1]
	s_cbranch_execz .LBB2444_115
; %bb.114:
	s_waitcnt lgkmcnt(1)
	v_lshlrev_b32_e32 v2, 2, v19
	v_readfirstlane_b32 s0, v4
	v_readfirstlane_b32 s1, v5
	s_waitcnt lgkmcnt(0)
	s_nop 3
	global_store_dword v2, v1, s[0:1]
.LBB2444_115:
	s_or_b64 exec, exec, s[2:3]
	v_cmp_eq_u32_e32 vcc, 0, v0
	s_and_b64 s[0:1], vcc, s[26:27]
	s_and_saveexec_b64 s[2:3], s[0:1]
	s_cbranch_execz .LBB2444_117
; %bb.116:
	v_mov_b32_e32 v35, 0
	s_waitcnt lgkmcnt(0)
	v_lshl_add_u64 v[0:1], s[22:23], 0, v[34:35]
	v_mov_b32_e32 v37, v35
	v_lshl_add_u64 v[0:1], v[0:1], 0, v[36:37]
	global_store_dwordx2 v35, v[0:1], s[24:25]
.LBB2444_117:
	s_endpgm
.LBB2444_118:
	v_readfirstlane_b32 s4, v4
	v_readfirstlane_b32 s5, v5
	s_waitcnt lgkmcnt(7)
	s_nop 3
	global_store_dword v18, v16, s[4:5]
	s_or_b64 exec, exec, s[0:1]
	v_cmp_lt_u32_e32 vcc, v32, v34
	s_and_saveexec_b64 s[0:1], vcc
	s_cbranch_execz .LBB2444_82
.LBB2444_119:
	v_readfirstlane_b32 s4, v4
	v_readfirstlane_b32 s5, v5
	s_waitcnt lgkmcnt(7)
	s_nop 3
	global_store_dword v18, v17, s[4:5] offset:2048
	s_or_b64 exec, exec, s[0:1]
	v_cmp_lt_u32_e32 vcc, v31, v34
	s_and_saveexec_b64 s[0:1], vcc
	s_cbranch_execz .LBB2444_83
.LBB2444_120:
	v_lshlrev_b32_e32 v33, 2, v31
	v_readfirstlane_b32 s4, v4
	v_readfirstlane_b32 s5, v5
	s_waitcnt lgkmcnt(6)
	s_nop 3
	global_store_dword v33, v14, s[4:5]
	s_or_b64 exec, exec, s[0:1]
	v_cmp_lt_u32_e32 vcc, v30, v34
	s_and_saveexec_b64 s[0:1], vcc
	s_cbranch_execz .LBB2444_84
.LBB2444_121:
	v_lshlrev_b32_e32 v33, 2, v30
	v_readfirstlane_b32 s4, v4
	v_readfirstlane_b32 s5, v5
	s_waitcnt lgkmcnt(6)
	s_nop 3
	global_store_dword v33, v15, s[4:5]
	s_or_b64 exec, exec, s[0:1]
	v_cmp_lt_u32_e32 vcc, v29, v34
	s_and_saveexec_b64 s[0:1], vcc
	s_cbranch_execz .LBB2444_85
.LBB2444_122:
	v_lshlrev_b32_e32 v33, 2, v29
	v_readfirstlane_b32 s4, v4
	v_readfirstlane_b32 s5, v5
	s_waitcnt lgkmcnt(5)
	s_nop 3
	global_store_dword v33, v12, s[4:5]
	s_or_b64 exec, exec, s[0:1]
	v_cmp_lt_u32_e32 vcc, v28, v34
	s_and_saveexec_b64 s[0:1], vcc
	s_cbranch_execz .LBB2444_86
.LBB2444_123:
	v_lshlrev_b32_e32 v33, 2, v28
	v_readfirstlane_b32 s4, v4
	v_readfirstlane_b32 s5, v5
	s_waitcnt lgkmcnt(5)
	s_nop 3
	global_store_dword v33, v13, s[4:5]
	s_or_b64 exec, exec, s[0:1]
	v_cmp_lt_u32_e32 vcc, v27, v34
	s_and_saveexec_b64 s[0:1], vcc
	s_cbranch_execz .LBB2444_87
.LBB2444_124:
	v_lshlrev_b32_e32 v33, 2, v27
	v_readfirstlane_b32 s4, v4
	v_readfirstlane_b32 s5, v5
	s_waitcnt lgkmcnt(4)
	s_nop 3
	global_store_dword v33, v10, s[4:5]
	s_or_b64 exec, exec, s[0:1]
	v_cmp_lt_u32_e32 vcc, v26, v34
	s_and_saveexec_b64 s[0:1], vcc
	s_cbranch_execz .LBB2444_88
.LBB2444_125:
	v_lshlrev_b32_e32 v33, 2, v26
	v_readfirstlane_b32 s4, v4
	v_readfirstlane_b32 s5, v5
	s_waitcnt lgkmcnt(4)
	s_nop 3
	global_store_dword v33, v11, s[4:5]
	s_or_b64 exec, exec, s[0:1]
	v_cmp_lt_u32_e32 vcc, v25, v34
	s_and_saveexec_b64 s[0:1], vcc
	s_cbranch_execz .LBB2444_89
.LBB2444_126:
	v_lshlrev_b32_e32 v33, 2, v25
	v_readfirstlane_b32 s4, v4
	v_readfirstlane_b32 s5, v5
	s_waitcnt lgkmcnt(3)
	s_nop 3
	global_store_dword v33, v8, s[4:5]
	s_or_b64 exec, exec, s[0:1]
	v_cmp_lt_u32_e32 vcc, v24, v34
	s_and_saveexec_b64 s[0:1], vcc
	s_cbranch_execz .LBB2444_90
.LBB2444_127:
	v_lshlrev_b32_e32 v33, 2, v24
	v_readfirstlane_b32 s4, v4
	v_readfirstlane_b32 s5, v5
	s_waitcnt lgkmcnt(3)
	s_nop 3
	global_store_dword v33, v9, s[4:5]
	s_or_b64 exec, exec, s[0:1]
	v_cmp_lt_u32_e32 vcc, v23, v34
	s_and_saveexec_b64 s[0:1], vcc
	s_cbranch_execz .LBB2444_91
.LBB2444_128:
	v_lshlrev_b32_e32 v33, 2, v23
	v_readfirstlane_b32 s4, v4
	v_readfirstlane_b32 s5, v5
	s_waitcnt lgkmcnt(2)
	s_nop 3
	global_store_dword v33, v6, s[4:5]
	s_or_b64 exec, exec, s[0:1]
	v_cmp_lt_u32_e32 vcc, v22, v34
	s_and_saveexec_b64 s[0:1], vcc
	s_cbranch_execz .LBB2444_92
.LBB2444_129:
	v_lshlrev_b32_e32 v33, 2, v22
	v_readfirstlane_b32 s4, v4
	v_readfirstlane_b32 s5, v5
	s_waitcnt lgkmcnt(2)
	s_nop 3
	global_store_dword v33, v7, s[4:5]
	s_or_b64 exec, exec, s[0:1]
	v_cmp_lt_u32_e32 vcc, v21, v34
	s_and_saveexec_b64 s[0:1], vcc
	s_cbranch_execz .LBB2444_93
.LBB2444_130:
	v_lshlrev_b32_e32 v33, 2, v21
	v_readfirstlane_b32 s4, v4
	v_readfirstlane_b32 s5, v5
	s_waitcnt lgkmcnt(1)
	s_nop 3
	global_store_dword v33, v2, s[4:5]
	s_or_b64 exec, exec, s[0:1]
	v_cmp_lt_u32_e32 vcc, v20, v34
	s_and_saveexec_b64 s[0:1], vcc
	s_cbranch_execnz .LBB2444_94
	s_branch .LBB2444_95
.LBB2444_131:
	v_readfirstlane_b32 s2, v4
	v_readfirstlane_b32 s3, v5
	s_waitcnt lgkmcnt(7)
	s_nop 3
	global_store_dword v18, v16, s[2:3]
	s_or_b64 exec, exec, s[0:1]
	v_cmp_lt_u32_e32 vcc, v32, v33
	s_and_saveexec_b64 s[0:1], vcc
	s_cbranch_execz .LBB2444_99
.LBB2444_132:
	v_readfirstlane_b32 s2, v4
	v_readfirstlane_b32 s3, v5
	s_waitcnt lgkmcnt(7)
	s_nop 3
	global_store_dword v18, v17, s[2:3] offset:2048
	s_or_b64 exec, exec, s[0:1]
	v_cmp_lt_u32_e32 vcc, v31, v33
	s_and_saveexec_b64 s[0:1], vcc
	s_cbranch_execz .LBB2444_100
.LBB2444_133:
	s_waitcnt lgkmcnt(7)
	v_lshlrev_b32_e32 v16, 2, v31
	v_readfirstlane_b32 s2, v4
	v_readfirstlane_b32 s3, v5
	s_waitcnt lgkmcnt(6)
	s_nop 3
	global_store_dword v16, v14, s[2:3]
	s_or_b64 exec, exec, s[0:1]
	v_cmp_lt_u32_e32 vcc, v30, v33
	s_and_saveexec_b64 s[0:1], vcc
	s_cbranch_execz .LBB2444_101
.LBB2444_134:
	s_waitcnt lgkmcnt(6)
	v_lshlrev_b32_e32 v14, 2, v30
	v_readfirstlane_b32 s2, v4
	v_readfirstlane_b32 s3, v5
	s_nop 4
	global_store_dword v14, v15, s[2:3]
	s_or_b64 exec, exec, s[0:1]
	v_cmp_lt_u32_e32 vcc, v29, v33
	s_and_saveexec_b64 s[0:1], vcc
	s_cbranch_execz .LBB2444_102
.LBB2444_135:
	s_waitcnt lgkmcnt(6)
	v_lshlrev_b32_e32 v14, 2, v29
	v_readfirstlane_b32 s2, v4
	v_readfirstlane_b32 s3, v5
	s_waitcnt lgkmcnt(5)
	s_nop 3
	global_store_dword v14, v12, s[2:3]
	s_or_b64 exec, exec, s[0:1]
	v_cmp_lt_u32_e32 vcc, v28, v33
	s_and_saveexec_b64 s[0:1], vcc
	s_cbranch_execz .LBB2444_103
.LBB2444_136:
	s_waitcnt lgkmcnt(5)
	v_lshlrev_b32_e32 v12, 2, v28
	v_readfirstlane_b32 s2, v4
	v_readfirstlane_b32 s3, v5
	s_nop 4
	global_store_dword v12, v13, s[2:3]
	s_or_b64 exec, exec, s[0:1]
	v_cmp_lt_u32_e32 vcc, v27, v33
	s_and_saveexec_b64 s[0:1], vcc
	s_cbranch_execz .LBB2444_104
.LBB2444_137:
	s_waitcnt lgkmcnt(5)
	v_lshlrev_b32_e32 v12, 2, v27
	v_readfirstlane_b32 s2, v4
	v_readfirstlane_b32 s3, v5
	s_waitcnt lgkmcnt(4)
	s_nop 3
	global_store_dword v12, v10, s[2:3]
	s_or_b64 exec, exec, s[0:1]
	v_cmp_lt_u32_e32 vcc, v26, v33
	s_and_saveexec_b64 s[0:1], vcc
	s_cbranch_execz .LBB2444_105
.LBB2444_138:
	s_waitcnt lgkmcnt(4)
	v_lshlrev_b32_e32 v10, 2, v26
	v_readfirstlane_b32 s2, v4
	v_readfirstlane_b32 s3, v5
	s_nop 4
	global_store_dword v10, v11, s[2:3]
	s_or_b64 exec, exec, s[0:1]
	v_cmp_lt_u32_e32 vcc, v25, v33
	s_and_saveexec_b64 s[0:1], vcc
	s_cbranch_execz .LBB2444_106
.LBB2444_139:
	s_waitcnt lgkmcnt(4)
	v_lshlrev_b32_e32 v10, 2, v25
	v_readfirstlane_b32 s2, v4
	v_readfirstlane_b32 s3, v5
	s_waitcnt lgkmcnt(3)
	s_nop 3
	global_store_dword v10, v8, s[2:3]
	s_or_b64 exec, exec, s[0:1]
	v_cmp_lt_u32_e32 vcc, v24, v33
	s_and_saveexec_b64 s[0:1], vcc
	s_cbranch_execz .LBB2444_107
.LBB2444_140:
	s_waitcnt lgkmcnt(3)
	v_lshlrev_b32_e32 v8, 2, v24
	v_readfirstlane_b32 s2, v4
	v_readfirstlane_b32 s3, v5
	s_nop 4
	global_store_dword v8, v9, s[2:3]
	s_or_b64 exec, exec, s[0:1]
	v_cmp_lt_u32_e32 vcc, v23, v33
	s_and_saveexec_b64 s[0:1], vcc
	s_cbranch_execz .LBB2444_108
.LBB2444_141:
	s_waitcnt lgkmcnt(3)
	v_lshlrev_b32_e32 v8, 2, v23
	v_readfirstlane_b32 s2, v4
	v_readfirstlane_b32 s3, v5
	s_waitcnt lgkmcnt(2)
	s_nop 3
	global_store_dword v8, v6, s[2:3]
	s_or_b64 exec, exec, s[0:1]
	v_cmp_lt_u32_e32 vcc, v22, v33
	s_and_saveexec_b64 s[0:1], vcc
	s_cbranch_execz .LBB2444_109
.LBB2444_142:
	s_waitcnt lgkmcnt(2)
	v_lshlrev_b32_e32 v6, 2, v22
	v_readfirstlane_b32 s2, v4
	v_readfirstlane_b32 s3, v5
	s_nop 4
	global_store_dword v6, v7, s[2:3]
	s_or_b64 exec, exec, s[0:1]
	v_cmp_lt_u32_e32 vcc, v21, v33
	s_and_saveexec_b64 s[0:1], vcc
	s_cbranch_execz .LBB2444_110
.LBB2444_143:
	s_waitcnt lgkmcnt(2)
	v_lshlrev_b32_e32 v6, 2, v21
	v_readfirstlane_b32 s2, v4
	v_readfirstlane_b32 s3, v5
	s_waitcnt lgkmcnt(1)
	s_nop 3
	global_store_dword v6, v2, s[2:3]
	s_or_b64 exec, exec, s[0:1]
	v_cmp_lt_u32_e32 vcc, v20, v33
	s_and_saveexec_b64 s[0:1], vcc
	s_cbranch_execnz .LBB2444_111
	s_branch .LBB2444_112
	.section	.rodata,"a",@progbits
	.p2align	6, 0x0
	.amdhsa_kernel _ZN7rocprim17ROCPRIM_400000_NS6detail17trampoline_kernelINS0_14default_configENS1_25partition_config_selectorILNS1_17partition_subalgoE0EjNS0_10empty_typeEbEEZZNS1_14partition_implILS5_0ELb0ES3_jN6thrust23THRUST_200600_302600_NS6detail15normal_iteratorINSA_10device_ptrIjEEEEPS6_SG_NS0_5tupleIJSF_NSA_16discard_iteratorINSA_11use_defaultEEEEEENSH_IJSG_SG_EEES6_PlJ7is_evenIjEEEE10hipError_tPvRmT3_T4_T5_T6_T7_T9_mT8_P12ihipStream_tbDpT10_ENKUlT_T0_E_clISt17integral_constantIbLb1EES18_IbLb0EEEEDaS14_S15_EUlS14_E_NS1_11comp_targetILNS1_3genE5ELNS1_11target_archE942ELNS1_3gpuE9ELNS1_3repE0EEENS1_30default_config_static_selectorELNS0_4arch9wavefront6targetE1EEEvT1_
		.amdhsa_group_segment_fixed_size 30728
		.amdhsa_private_segment_fixed_size 0
		.amdhsa_kernarg_size 128
		.amdhsa_user_sgpr_count 2
		.amdhsa_user_sgpr_dispatch_ptr 0
		.amdhsa_user_sgpr_queue_ptr 0
		.amdhsa_user_sgpr_kernarg_segment_ptr 1
		.amdhsa_user_sgpr_dispatch_id 0
		.amdhsa_user_sgpr_kernarg_preload_length 0
		.amdhsa_user_sgpr_kernarg_preload_offset 0
		.amdhsa_user_sgpr_private_segment_size 0
		.amdhsa_uses_dynamic_stack 0
		.amdhsa_enable_private_segment 0
		.amdhsa_system_sgpr_workgroup_id_x 1
		.amdhsa_system_sgpr_workgroup_id_y 0
		.amdhsa_system_sgpr_workgroup_id_z 0
		.amdhsa_system_sgpr_workgroup_info 0
		.amdhsa_system_vgpr_workitem_id 0
		.amdhsa_next_free_vgpr 76
		.amdhsa_next_free_sgpr 40
		.amdhsa_accum_offset 76
		.amdhsa_reserve_vcc 1
		.amdhsa_float_round_mode_32 0
		.amdhsa_float_round_mode_16_64 0
		.amdhsa_float_denorm_mode_32 3
		.amdhsa_float_denorm_mode_16_64 3
		.amdhsa_dx10_clamp 1
		.amdhsa_ieee_mode 1
		.amdhsa_fp16_overflow 0
		.amdhsa_tg_split 0
		.amdhsa_exception_fp_ieee_invalid_op 0
		.amdhsa_exception_fp_denorm_src 0
		.amdhsa_exception_fp_ieee_div_zero 0
		.amdhsa_exception_fp_ieee_overflow 0
		.amdhsa_exception_fp_ieee_underflow 0
		.amdhsa_exception_fp_ieee_inexact 0
		.amdhsa_exception_int_div_zero 0
	.end_amdhsa_kernel
	.section	.text._ZN7rocprim17ROCPRIM_400000_NS6detail17trampoline_kernelINS0_14default_configENS1_25partition_config_selectorILNS1_17partition_subalgoE0EjNS0_10empty_typeEbEEZZNS1_14partition_implILS5_0ELb0ES3_jN6thrust23THRUST_200600_302600_NS6detail15normal_iteratorINSA_10device_ptrIjEEEEPS6_SG_NS0_5tupleIJSF_NSA_16discard_iteratorINSA_11use_defaultEEEEEENSH_IJSG_SG_EEES6_PlJ7is_evenIjEEEE10hipError_tPvRmT3_T4_T5_T6_T7_T9_mT8_P12ihipStream_tbDpT10_ENKUlT_T0_E_clISt17integral_constantIbLb1EES18_IbLb0EEEEDaS14_S15_EUlS14_E_NS1_11comp_targetILNS1_3genE5ELNS1_11target_archE942ELNS1_3gpuE9ELNS1_3repE0EEENS1_30default_config_static_selectorELNS0_4arch9wavefront6targetE1EEEvT1_,"axG",@progbits,_ZN7rocprim17ROCPRIM_400000_NS6detail17trampoline_kernelINS0_14default_configENS1_25partition_config_selectorILNS1_17partition_subalgoE0EjNS0_10empty_typeEbEEZZNS1_14partition_implILS5_0ELb0ES3_jN6thrust23THRUST_200600_302600_NS6detail15normal_iteratorINSA_10device_ptrIjEEEEPS6_SG_NS0_5tupleIJSF_NSA_16discard_iteratorINSA_11use_defaultEEEEEENSH_IJSG_SG_EEES6_PlJ7is_evenIjEEEE10hipError_tPvRmT3_T4_T5_T6_T7_T9_mT8_P12ihipStream_tbDpT10_ENKUlT_T0_E_clISt17integral_constantIbLb1EES18_IbLb0EEEEDaS14_S15_EUlS14_E_NS1_11comp_targetILNS1_3genE5ELNS1_11target_archE942ELNS1_3gpuE9ELNS1_3repE0EEENS1_30default_config_static_selectorELNS0_4arch9wavefront6targetE1EEEvT1_,comdat
.Lfunc_end2444:
	.size	_ZN7rocprim17ROCPRIM_400000_NS6detail17trampoline_kernelINS0_14default_configENS1_25partition_config_selectorILNS1_17partition_subalgoE0EjNS0_10empty_typeEbEEZZNS1_14partition_implILS5_0ELb0ES3_jN6thrust23THRUST_200600_302600_NS6detail15normal_iteratorINSA_10device_ptrIjEEEEPS6_SG_NS0_5tupleIJSF_NSA_16discard_iteratorINSA_11use_defaultEEEEEENSH_IJSG_SG_EEES6_PlJ7is_evenIjEEEE10hipError_tPvRmT3_T4_T5_T6_T7_T9_mT8_P12ihipStream_tbDpT10_ENKUlT_T0_E_clISt17integral_constantIbLb1EES18_IbLb0EEEEDaS14_S15_EUlS14_E_NS1_11comp_targetILNS1_3genE5ELNS1_11target_archE942ELNS1_3gpuE9ELNS1_3repE0EEENS1_30default_config_static_selectorELNS0_4arch9wavefront6targetE1EEEvT1_, .Lfunc_end2444-_ZN7rocprim17ROCPRIM_400000_NS6detail17trampoline_kernelINS0_14default_configENS1_25partition_config_selectorILNS1_17partition_subalgoE0EjNS0_10empty_typeEbEEZZNS1_14partition_implILS5_0ELb0ES3_jN6thrust23THRUST_200600_302600_NS6detail15normal_iteratorINSA_10device_ptrIjEEEEPS6_SG_NS0_5tupleIJSF_NSA_16discard_iteratorINSA_11use_defaultEEEEEENSH_IJSG_SG_EEES6_PlJ7is_evenIjEEEE10hipError_tPvRmT3_T4_T5_T6_T7_T9_mT8_P12ihipStream_tbDpT10_ENKUlT_T0_E_clISt17integral_constantIbLb1EES18_IbLb0EEEEDaS14_S15_EUlS14_E_NS1_11comp_targetILNS1_3genE5ELNS1_11target_archE942ELNS1_3gpuE9ELNS1_3repE0EEENS1_30default_config_static_selectorELNS0_4arch9wavefront6targetE1EEEvT1_
                                        ; -- End function
	.section	.AMDGPU.csdata,"",@progbits
; Kernel info:
; codeLenInByte = 6832
; NumSgprs: 46
; NumVgprs: 76
; NumAgprs: 0
; TotalNumVgprs: 76
; ScratchSize: 0
; MemoryBound: 0
; FloatMode: 240
; IeeeMode: 1
; LDSByteSize: 30728 bytes/workgroup (compile time only)
; SGPRBlocks: 5
; VGPRBlocks: 9
; NumSGPRsForWavesPerEU: 46
; NumVGPRsForWavesPerEU: 76
; AccumOffset: 76
; Occupancy: 4
; WaveLimiterHint : 1
; COMPUTE_PGM_RSRC2:SCRATCH_EN: 0
; COMPUTE_PGM_RSRC2:USER_SGPR: 2
; COMPUTE_PGM_RSRC2:TRAP_HANDLER: 0
; COMPUTE_PGM_RSRC2:TGID_X_EN: 1
; COMPUTE_PGM_RSRC2:TGID_Y_EN: 0
; COMPUTE_PGM_RSRC2:TGID_Z_EN: 0
; COMPUTE_PGM_RSRC2:TIDIG_COMP_CNT: 0
; COMPUTE_PGM_RSRC3_GFX90A:ACCUM_OFFSET: 18
; COMPUTE_PGM_RSRC3_GFX90A:TG_SPLIT: 0
	.section	.text._ZN7rocprim17ROCPRIM_400000_NS6detail17trampoline_kernelINS0_14default_configENS1_25partition_config_selectorILNS1_17partition_subalgoE0EjNS0_10empty_typeEbEEZZNS1_14partition_implILS5_0ELb0ES3_jN6thrust23THRUST_200600_302600_NS6detail15normal_iteratorINSA_10device_ptrIjEEEEPS6_SG_NS0_5tupleIJSF_NSA_16discard_iteratorINSA_11use_defaultEEEEEENSH_IJSG_SG_EEES6_PlJ7is_evenIjEEEE10hipError_tPvRmT3_T4_T5_T6_T7_T9_mT8_P12ihipStream_tbDpT10_ENKUlT_T0_E_clISt17integral_constantIbLb1EES18_IbLb0EEEEDaS14_S15_EUlS14_E_NS1_11comp_targetILNS1_3genE4ELNS1_11target_archE910ELNS1_3gpuE8ELNS1_3repE0EEENS1_30default_config_static_selectorELNS0_4arch9wavefront6targetE1EEEvT1_,"axG",@progbits,_ZN7rocprim17ROCPRIM_400000_NS6detail17trampoline_kernelINS0_14default_configENS1_25partition_config_selectorILNS1_17partition_subalgoE0EjNS0_10empty_typeEbEEZZNS1_14partition_implILS5_0ELb0ES3_jN6thrust23THRUST_200600_302600_NS6detail15normal_iteratorINSA_10device_ptrIjEEEEPS6_SG_NS0_5tupleIJSF_NSA_16discard_iteratorINSA_11use_defaultEEEEEENSH_IJSG_SG_EEES6_PlJ7is_evenIjEEEE10hipError_tPvRmT3_T4_T5_T6_T7_T9_mT8_P12ihipStream_tbDpT10_ENKUlT_T0_E_clISt17integral_constantIbLb1EES18_IbLb0EEEEDaS14_S15_EUlS14_E_NS1_11comp_targetILNS1_3genE4ELNS1_11target_archE910ELNS1_3gpuE8ELNS1_3repE0EEENS1_30default_config_static_selectorELNS0_4arch9wavefront6targetE1EEEvT1_,comdat
	.protected	_ZN7rocprim17ROCPRIM_400000_NS6detail17trampoline_kernelINS0_14default_configENS1_25partition_config_selectorILNS1_17partition_subalgoE0EjNS0_10empty_typeEbEEZZNS1_14partition_implILS5_0ELb0ES3_jN6thrust23THRUST_200600_302600_NS6detail15normal_iteratorINSA_10device_ptrIjEEEEPS6_SG_NS0_5tupleIJSF_NSA_16discard_iteratorINSA_11use_defaultEEEEEENSH_IJSG_SG_EEES6_PlJ7is_evenIjEEEE10hipError_tPvRmT3_T4_T5_T6_T7_T9_mT8_P12ihipStream_tbDpT10_ENKUlT_T0_E_clISt17integral_constantIbLb1EES18_IbLb0EEEEDaS14_S15_EUlS14_E_NS1_11comp_targetILNS1_3genE4ELNS1_11target_archE910ELNS1_3gpuE8ELNS1_3repE0EEENS1_30default_config_static_selectorELNS0_4arch9wavefront6targetE1EEEvT1_ ; -- Begin function _ZN7rocprim17ROCPRIM_400000_NS6detail17trampoline_kernelINS0_14default_configENS1_25partition_config_selectorILNS1_17partition_subalgoE0EjNS0_10empty_typeEbEEZZNS1_14partition_implILS5_0ELb0ES3_jN6thrust23THRUST_200600_302600_NS6detail15normal_iteratorINSA_10device_ptrIjEEEEPS6_SG_NS0_5tupleIJSF_NSA_16discard_iteratorINSA_11use_defaultEEEEEENSH_IJSG_SG_EEES6_PlJ7is_evenIjEEEE10hipError_tPvRmT3_T4_T5_T6_T7_T9_mT8_P12ihipStream_tbDpT10_ENKUlT_T0_E_clISt17integral_constantIbLb1EES18_IbLb0EEEEDaS14_S15_EUlS14_E_NS1_11comp_targetILNS1_3genE4ELNS1_11target_archE910ELNS1_3gpuE8ELNS1_3repE0EEENS1_30default_config_static_selectorELNS0_4arch9wavefront6targetE1EEEvT1_
	.globl	_ZN7rocprim17ROCPRIM_400000_NS6detail17trampoline_kernelINS0_14default_configENS1_25partition_config_selectorILNS1_17partition_subalgoE0EjNS0_10empty_typeEbEEZZNS1_14partition_implILS5_0ELb0ES3_jN6thrust23THRUST_200600_302600_NS6detail15normal_iteratorINSA_10device_ptrIjEEEEPS6_SG_NS0_5tupleIJSF_NSA_16discard_iteratorINSA_11use_defaultEEEEEENSH_IJSG_SG_EEES6_PlJ7is_evenIjEEEE10hipError_tPvRmT3_T4_T5_T6_T7_T9_mT8_P12ihipStream_tbDpT10_ENKUlT_T0_E_clISt17integral_constantIbLb1EES18_IbLb0EEEEDaS14_S15_EUlS14_E_NS1_11comp_targetILNS1_3genE4ELNS1_11target_archE910ELNS1_3gpuE8ELNS1_3repE0EEENS1_30default_config_static_selectorELNS0_4arch9wavefront6targetE1EEEvT1_
	.p2align	8
	.type	_ZN7rocprim17ROCPRIM_400000_NS6detail17trampoline_kernelINS0_14default_configENS1_25partition_config_selectorILNS1_17partition_subalgoE0EjNS0_10empty_typeEbEEZZNS1_14partition_implILS5_0ELb0ES3_jN6thrust23THRUST_200600_302600_NS6detail15normal_iteratorINSA_10device_ptrIjEEEEPS6_SG_NS0_5tupleIJSF_NSA_16discard_iteratorINSA_11use_defaultEEEEEENSH_IJSG_SG_EEES6_PlJ7is_evenIjEEEE10hipError_tPvRmT3_T4_T5_T6_T7_T9_mT8_P12ihipStream_tbDpT10_ENKUlT_T0_E_clISt17integral_constantIbLb1EES18_IbLb0EEEEDaS14_S15_EUlS14_E_NS1_11comp_targetILNS1_3genE4ELNS1_11target_archE910ELNS1_3gpuE8ELNS1_3repE0EEENS1_30default_config_static_selectorELNS0_4arch9wavefront6targetE1EEEvT1_,@function
_ZN7rocprim17ROCPRIM_400000_NS6detail17trampoline_kernelINS0_14default_configENS1_25partition_config_selectorILNS1_17partition_subalgoE0EjNS0_10empty_typeEbEEZZNS1_14partition_implILS5_0ELb0ES3_jN6thrust23THRUST_200600_302600_NS6detail15normal_iteratorINSA_10device_ptrIjEEEEPS6_SG_NS0_5tupleIJSF_NSA_16discard_iteratorINSA_11use_defaultEEEEEENSH_IJSG_SG_EEES6_PlJ7is_evenIjEEEE10hipError_tPvRmT3_T4_T5_T6_T7_T9_mT8_P12ihipStream_tbDpT10_ENKUlT_T0_E_clISt17integral_constantIbLb1EES18_IbLb0EEEEDaS14_S15_EUlS14_E_NS1_11comp_targetILNS1_3genE4ELNS1_11target_archE910ELNS1_3gpuE8ELNS1_3repE0EEENS1_30default_config_static_selectorELNS0_4arch9wavefront6targetE1EEEvT1_: ; @_ZN7rocprim17ROCPRIM_400000_NS6detail17trampoline_kernelINS0_14default_configENS1_25partition_config_selectorILNS1_17partition_subalgoE0EjNS0_10empty_typeEbEEZZNS1_14partition_implILS5_0ELb0ES3_jN6thrust23THRUST_200600_302600_NS6detail15normal_iteratorINSA_10device_ptrIjEEEEPS6_SG_NS0_5tupleIJSF_NSA_16discard_iteratorINSA_11use_defaultEEEEEENSH_IJSG_SG_EEES6_PlJ7is_evenIjEEEE10hipError_tPvRmT3_T4_T5_T6_T7_T9_mT8_P12ihipStream_tbDpT10_ENKUlT_T0_E_clISt17integral_constantIbLb1EES18_IbLb0EEEEDaS14_S15_EUlS14_E_NS1_11comp_targetILNS1_3genE4ELNS1_11target_archE910ELNS1_3gpuE8ELNS1_3repE0EEENS1_30default_config_static_selectorELNS0_4arch9wavefront6targetE1EEEvT1_
; %bb.0:
	.section	.rodata,"a",@progbits
	.p2align	6, 0x0
	.amdhsa_kernel _ZN7rocprim17ROCPRIM_400000_NS6detail17trampoline_kernelINS0_14default_configENS1_25partition_config_selectorILNS1_17partition_subalgoE0EjNS0_10empty_typeEbEEZZNS1_14partition_implILS5_0ELb0ES3_jN6thrust23THRUST_200600_302600_NS6detail15normal_iteratorINSA_10device_ptrIjEEEEPS6_SG_NS0_5tupleIJSF_NSA_16discard_iteratorINSA_11use_defaultEEEEEENSH_IJSG_SG_EEES6_PlJ7is_evenIjEEEE10hipError_tPvRmT3_T4_T5_T6_T7_T9_mT8_P12ihipStream_tbDpT10_ENKUlT_T0_E_clISt17integral_constantIbLb1EES18_IbLb0EEEEDaS14_S15_EUlS14_E_NS1_11comp_targetILNS1_3genE4ELNS1_11target_archE910ELNS1_3gpuE8ELNS1_3repE0EEENS1_30default_config_static_selectorELNS0_4arch9wavefront6targetE1EEEvT1_
		.amdhsa_group_segment_fixed_size 0
		.amdhsa_private_segment_fixed_size 0
		.amdhsa_kernarg_size 128
		.amdhsa_user_sgpr_count 2
		.amdhsa_user_sgpr_dispatch_ptr 0
		.amdhsa_user_sgpr_queue_ptr 0
		.amdhsa_user_sgpr_kernarg_segment_ptr 1
		.amdhsa_user_sgpr_dispatch_id 0
		.amdhsa_user_sgpr_kernarg_preload_length 0
		.amdhsa_user_sgpr_kernarg_preload_offset 0
		.amdhsa_user_sgpr_private_segment_size 0
		.amdhsa_uses_dynamic_stack 0
		.amdhsa_enable_private_segment 0
		.amdhsa_system_sgpr_workgroup_id_x 1
		.amdhsa_system_sgpr_workgroup_id_y 0
		.amdhsa_system_sgpr_workgroup_id_z 0
		.amdhsa_system_sgpr_workgroup_info 0
		.amdhsa_system_vgpr_workitem_id 0
		.amdhsa_next_free_vgpr 1
		.amdhsa_next_free_sgpr 0
		.amdhsa_accum_offset 4
		.amdhsa_reserve_vcc 0
		.amdhsa_float_round_mode_32 0
		.amdhsa_float_round_mode_16_64 0
		.amdhsa_float_denorm_mode_32 3
		.amdhsa_float_denorm_mode_16_64 3
		.amdhsa_dx10_clamp 1
		.amdhsa_ieee_mode 1
		.amdhsa_fp16_overflow 0
		.amdhsa_tg_split 0
		.amdhsa_exception_fp_ieee_invalid_op 0
		.amdhsa_exception_fp_denorm_src 0
		.amdhsa_exception_fp_ieee_div_zero 0
		.amdhsa_exception_fp_ieee_overflow 0
		.amdhsa_exception_fp_ieee_underflow 0
		.amdhsa_exception_fp_ieee_inexact 0
		.amdhsa_exception_int_div_zero 0
	.end_amdhsa_kernel
	.section	.text._ZN7rocprim17ROCPRIM_400000_NS6detail17trampoline_kernelINS0_14default_configENS1_25partition_config_selectorILNS1_17partition_subalgoE0EjNS0_10empty_typeEbEEZZNS1_14partition_implILS5_0ELb0ES3_jN6thrust23THRUST_200600_302600_NS6detail15normal_iteratorINSA_10device_ptrIjEEEEPS6_SG_NS0_5tupleIJSF_NSA_16discard_iteratorINSA_11use_defaultEEEEEENSH_IJSG_SG_EEES6_PlJ7is_evenIjEEEE10hipError_tPvRmT3_T4_T5_T6_T7_T9_mT8_P12ihipStream_tbDpT10_ENKUlT_T0_E_clISt17integral_constantIbLb1EES18_IbLb0EEEEDaS14_S15_EUlS14_E_NS1_11comp_targetILNS1_3genE4ELNS1_11target_archE910ELNS1_3gpuE8ELNS1_3repE0EEENS1_30default_config_static_selectorELNS0_4arch9wavefront6targetE1EEEvT1_,"axG",@progbits,_ZN7rocprim17ROCPRIM_400000_NS6detail17trampoline_kernelINS0_14default_configENS1_25partition_config_selectorILNS1_17partition_subalgoE0EjNS0_10empty_typeEbEEZZNS1_14partition_implILS5_0ELb0ES3_jN6thrust23THRUST_200600_302600_NS6detail15normal_iteratorINSA_10device_ptrIjEEEEPS6_SG_NS0_5tupleIJSF_NSA_16discard_iteratorINSA_11use_defaultEEEEEENSH_IJSG_SG_EEES6_PlJ7is_evenIjEEEE10hipError_tPvRmT3_T4_T5_T6_T7_T9_mT8_P12ihipStream_tbDpT10_ENKUlT_T0_E_clISt17integral_constantIbLb1EES18_IbLb0EEEEDaS14_S15_EUlS14_E_NS1_11comp_targetILNS1_3genE4ELNS1_11target_archE910ELNS1_3gpuE8ELNS1_3repE0EEENS1_30default_config_static_selectorELNS0_4arch9wavefront6targetE1EEEvT1_,comdat
.Lfunc_end2445:
	.size	_ZN7rocprim17ROCPRIM_400000_NS6detail17trampoline_kernelINS0_14default_configENS1_25partition_config_selectorILNS1_17partition_subalgoE0EjNS0_10empty_typeEbEEZZNS1_14partition_implILS5_0ELb0ES3_jN6thrust23THRUST_200600_302600_NS6detail15normal_iteratorINSA_10device_ptrIjEEEEPS6_SG_NS0_5tupleIJSF_NSA_16discard_iteratorINSA_11use_defaultEEEEEENSH_IJSG_SG_EEES6_PlJ7is_evenIjEEEE10hipError_tPvRmT3_T4_T5_T6_T7_T9_mT8_P12ihipStream_tbDpT10_ENKUlT_T0_E_clISt17integral_constantIbLb1EES18_IbLb0EEEEDaS14_S15_EUlS14_E_NS1_11comp_targetILNS1_3genE4ELNS1_11target_archE910ELNS1_3gpuE8ELNS1_3repE0EEENS1_30default_config_static_selectorELNS0_4arch9wavefront6targetE1EEEvT1_, .Lfunc_end2445-_ZN7rocprim17ROCPRIM_400000_NS6detail17trampoline_kernelINS0_14default_configENS1_25partition_config_selectorILNS1_17partition_subalgoE0EjNS0_10empty_typeEbEEZZNS1_14partition_implILS5_0ELb0ES3_jN6thrust23THRUST_200600_302600_NS6detail15normal_iteratorINSA_10device_ptrIjEEEEPS6_SG_NS0_5tupleIJSF_NSA_16discard_iteratorINSA_11use_defaultEEEEEENSH_IJSG_SG_EEES6_PlJ7is_evenIjEEEE10hipError_tPvRmT3_T4_T5_T6_T7_T9_mT8_P12ihipStream_tbDpT10_ENKUlT_T0_E_clISt17integral_constantIbLb1EES18_IbLb0EEEEDaS14_S15_EUlS14_E_NS1_11comp_targetILNS1_3genE4ELNS1_11target_archE910ELNS1_3gpuE8ELNS1_3repE0EEENS1_30default_config_static_selectorELNS0_4arch9wavefront6targetE1EEEvT1_
                                        ; -- End function
	.section	.AMDGPU.csdata,"",@progbits
; Kernel info:
; codeLenInByte = 0
; NumSgprs: 6
; NumVgprs: 0
; NumAgprs: 0
; TotalNumVgprs: 0
; ScratchSize: 0
; MemoryBound: 0
; FloatMode: 240
; IeeeMode: 1
; LDSByteSize: 0 bytes/workgroup (compile time only)
; SGPRBlocks: 0
; VGPRBlocks: 0
; NumSGPRsForWavesPerEU: 6
; NumVGPRsForWavesPerEU: 1
; AccumOffset: 4
; Occupancy: 8
; WaveLimiterHint : 0
; COMPUTE_PGM_RSRC2:SCRATCH_EN: 0
; COMPUTE_PGM_RSRC2:USER_SGPR: 2
; COMPUTE_PGM_RSRC2:TRAP_HANDLER: 0
; COMPUTE_PGM_RSRC2:TGID_X_EN: 1
; COMPUTE_PGM_RSRC2:TGID_Y_EN: 0
; COMPUTE_PGM_RSRC2:TGID_Z_EN: 0
; COMPUTE_PGM_RSRC2:TIDIG_COMP_CNT: 0
; COMPUTE_PGM_RSRC3_GFX90A:ACCUM_OFFSET: 0
; COMPUTE_PGM_RSRC3_GFX90A:TG_SPLIT: 0
	.section	.text._ZN7rocprim17ROCPRIM_400000_NS6detail17trampoline_kernelINS0_14default_configENS1_25partition_config_selectorILNS1_17partition_subalgoE0EjNS0_10empty_typeEbEEZZNS1_14partition_implILS5_0ELb0ES3_jN6thrust23THRUST_200600_302600_NS6detail15normal_iteratorINSA_10device_ptrIjEEEEPS6_SG_NS0_5tupleIJSF_NSA_16discard_iteratorINSA_11use_defaultEEEEEENSH_IJSG_SG_EEES6_PlJ7is_evenIjEEEE10hipError_tPvRmT3_T4_T5_T6_T7_T9_mT8_P12ihipStream_tbDpT10_ENKUlT_T0_E_clISt17integral_constantIbLb1EES18_IbLb0EEEEDaS14_S15_EUlS14_E_NS1_11comp_targetILNS1_3genE3ELNS1_11target_archE908ELNS1_3gpuE7ELNS1_3repE0EEENS1_30default_config_static_selectorELNS0_4arch9wavefront6targetE1EEEvT1_,"axG",@progbits,_ZN7rocprim17ROCPRIM_400000_NS6detail17trampoline_kernelINS0_14default_configENS1_25partition_config_selectorILNS1_17partition_subalgoE0EjNS0_10empty_typeEbEEZZNS1_14partition_implILS5_0ELb0ES3_jN6thrust23THRUST_200600_302600_NS6detail15normal_iteratorINSA_10device_ptrIjEEEEPS6_SG_NS0_5tupleIJSF_NSA_16discard_iteratorINSA_11use_defaultEEEEEENSH_IJSG_SG_EEES6_PlJ7is_evenIjEEEE10hipError_tPvRmT3_T4_T5_T6_T7_T9_mT8_P12ihipStream_tbDpT10_ENKUlT_T0_E_clISt17integral_constantIbLb1EES18_IbLb0EEEEDaS14_S15_EUlS14_E_NS1_11comp_targetILNS1_3genE3ELNS1_11target_archE908ELNS1_3gpuE7ELNS1_3repE0EEENS1_30default_config_static_selectorELNS0_4arch9wavefront6targetE1EEEvT1_,comdat
	.protected	_ZN7rocprim17ROCPRIM_400000_NS6detail17trampoline_kernelINS0_14default_configENS1_25partition_config_selectorILNS1_17partition_subalgoE0EjNS0_10empty_typeEbEEZZNS1_14partition_implILS5_0ELb0ES3_jN6thrust23THRUST_200600_302600_NS6detail15normal_iteratorINSA_10device_ptrIjEEEEPS6_SG_NS0_5tupleIJSF_NSA_16discard_iteratorINSA_11use_defaultEEEEEENSH_IJSG_SG_EEES6_PlJ7is_evenIjEEEE10hipError_tPvRmT3_T4_T5_T6_T7_T9_mT8_P12ihipStream_tbDpT10_ENKUlT_T0_E_clISt17integral_constantIbLb1EES18_IbLb0EEEEDaS14_S15_EUlS14_E_NS1_11comp_targetILNS1_3genE3ELNS1_11target_archE908ELNS1_3gpuE7ELNS1_3repE0EEENS1_30default_config_static_selectorELNS0_4arch9wavefront6targetE1EEEvT1_ ; -- Begin function _ZN7rocprim17ROCPRIM_400000_NS6detail17trampoline_kernelINS0_14default_configENS1_25partition_config_selectorILNS1_17partition_subalgoE0EjNS0_10empty_typeEbEEZZNS1_14partition_implILS5_0ELb0ES3_jN6thrust23THRUST_200600_302600_NS6detail15normal_iteratorINSA_10device_ptrIjEEEEPS6_SG_NS0_5tupleIJSF_NSA_16discard_iteratorINSA_11use_defaultEEEEEENSH_IJSG_SG_EEES6_PlJ7is_evenIjEEEE10hipError_tPvRmT3_T4_T5_T6_T7_T9_mT8_P12ihipStream_tbDpT10_ENKUlT_T0_E_clISt17integral_constantIbLb1EES18_IbLb0EEEEDaS14_S15_EUlS14_E_NS1_11comp_targetILNS1_3genE3ELNS1_11target_archE908ELNS1_3gpuE7ELNS1_3repE0EEENS1_30default_config_static_selectorELNS0_4arch9wavefront6targetE1EEEvT1_
	.globl	_ZN7rocprim17ROCPRIM_400000_NS6detail17trampoline_kernelINS0_14default_configENS1_25partition_config_selectorILNS1_17partition_subalgoE0EjNS0_10empty_typeEbEEZZNS1_14partition_implILS5_0ELb0ES3_jN6thrust23THRUST_200600_302600_NS6detail15normal_iteratorINSA_10device_ptrIjEEEEPS6_SG_NS0_5tupleIJSF_NSA_16discard_iteratorINSA_11use_defaultEEEEEENSH_IJSG_SG_EEES6_PlJ7is_evenIjEEEE10hipError_tPvRmT3_T4_T5_T6_T7_T9_mT8_P12ihipStream_tbDpT10_ENKUlT_T0_E_clISt17integral_constantIbLb1EES18_IbLb0EEEEDaS14_S15_EUlS14_E_NS1_11comp_targetILNS1_3genE3ELNS1_11target_archE908ELNS1_3gpuE7ELNS1_3repE0EEENS1_30default_config_static_selectorELNS0_4arch9wavefront6targetE1EEEvT1_
	.p2align	8
	.type	_ZN7rocprim17ROCPRIM_400000_NS6detail17trampoline_kernelINS0_14default_configENS1_25partition_config_selectorILNS1_17partition_subalgoE0EjNS0_10empty_typeEbEEZZNS1_14partition_implILS5_0ELb0ES3_jN6thrust23THRUST_200600_302600_NS6detail15normal_iteratorINSA_10device_ptrIjEEEEPS6_SG_NS0_5tupleIJSF_NSA_16discard_iteratorINSA_11use_defaultEEEEEENSH_IJSG_SG_EEES6_PlJ7is_evenIjEEEE10hipError_tPvRmT3_T4_T5_T6_T7_T9_mT8_P12ihipStream_tbDpT10_ENKUlT_T0_E_clISt17integral_constantIbLb1EES18_IbLb0EEEEDaS14_S15_EUlS14_E_NS1_11comp_targetILNS1_3genE3ELNS1_11target_archE908ELNS1_3gpuE7ELNS1_3repE0EEENS1_30default_config_static_selectorELNS0_4arch9wavefront6targetE1EEEvT1_,@function
_ZN7rocprim17ROCPRIM_400000_NS6detail17trampoline_kernelINS0_14default_configENS1_25partition_config_selectorILNS1_17partition_subalgoE0EjNS0_10empty_typeEbEEZZNS1_14partition_implILS5_0ELb0ES3_jN6thrust23THRUST_200600_302600_NS6detail15normal_iteratorINSA_10device_ptrIjEEEEPS6_SG_NS0_5tupleIJSF_NSA_16discard_iteratorINSA_11use_defaultEEEEEENSH_IJSG_SG_EEES6_PlJ7is_evenIjEEEE10hipError_tPvRmT3_T4_T5_T6_T7_T9_mT8_P12ihipStream_tbDpT10_ENKUlT_T0_E_clISt17integral_constantIbLb1EES18_IbLb0EEEEDaS14_S15_EUlS14_E_NS1_11comp_targetILNS1_3genE3ELNS1_11target_archE908ELNS1_3gpuE7ELNS1_3repE0EEENS1_30default_config_static_selectorELNS0_4arch9wavefront6targetE1EEEvT1_: ; @_ZN7rocprim17ROCPRIM_400000_NS6detail17trampoline_kernelINS0_14default_configENS1_25partition_config_selectorILNS1_17partition_subalgoE0EjNS0_10empty_typeEbEEZZNS1_14partition_implILS5_0ELb0ES3_jN6thrust23THRUST_200600_302600_NS6detail15normal_iteratorINSA_10device_ptrIjEEEEPS6_SG_NS0_5tupleIJSF_NSA_16discard_iteratorINSA_11use_defaultEEEEEENSH_IJSG_SG_EEES6_PlJ7is_evenIjEEEE10hipError_tPvRmT3_T4_T5_T6_T7_T9_mT8_P12ihipStream_tbDpT10_ENKUlT_T0_E_clISt17integral_constantIbLb1EES18_IbLb0EEEEDaS14_S15_EUlS14_E_NS1_11comp_targetILNS1_3genE3ELNS1_11target_archE908ELNS1_3gpuE7ELNS1_3repE0EEENS1_30default_config_static_selectorELNS0_4arch9wavefront6targetE1EEEvT1_
; %bb.0:
	.section	.rodata,"a",@progbits
	.p2align	6, 0x0
	.amdhsa_kernel _ZN7rocprim17ROCPRIM_400000_NS6detail17trampoline_kernelINS0_14default_configENS1_25partition_config_selectorILNS1_17partition_subalgoE0EjNS0_10empty_typeEbEEZZNS1_14partition_implILS5_0ELb0ES3_jN6thrust23THRUST_200600_302600_NS6detail15normal_iteratorINSA_10device_ptrIjEEEEPS6_SG_NS0_5tupleIJSF_NSA_16discard_iteratorINSA_11use_defaultEEEEEENSH_IJSG_SG_EEES6_PlJ7is_evenIjEEEE10hipError_tPvRmT3_T4_T5_T6_T7_T9_mT8_P12ihipStream_tbDpT10_ENKUlT_T0_E_clISt17integral_constantIbLb1EES18_IbLb0EEEEDaS14_S15_EUlS14_E_NS1_11comp_targetILNS1_3genE3ELNS1_11target_archE908ELNS1_3gpuE7ELNS1_3repE0EEENS1_30default_config_static_selectorELNS0_4arch9wavefront6targetE1EEEvT1_
		.amdhsa_group_segment_fixed_size 0
		.amdhsa_private_segment_fixed_size 0
		.amdhsa_kernarg_size 128
		.amdhsa_user_sgpr_count 2
		.amdhsa_user_sgpr_dispatch_ptr 0
		.amdhsa_user_sgpr_queue_ptr 0
		.amdhsa_user_sgpr_kernarg_segment_ptr 1
		.amdhsa_user_sgpr_dispatch_id 0
		.amdhsa_user_sgpr_kernarg_preload_length 0
		.amdhsa_user_sgpr_kernarg_preload_offset 0
		.amdhsa_user_sgpr_private_segment_size 0
		.amdhsa_uses_dynamic_stack 0
		.amdhsa_enable_private_segment 0
		.amdhsa_system_sgpr_workgroup_id_x 1
		.amdhsa_system_sgpr_workgroup_id_y 0
		.amdhsa_system_sgpr_workgroup_id_z 0
		.amdhsa_system_sgpr_workgroup_info 0
		.amdhsa_system_vgpr_workitem_id 0
		.amdhsa_next_free_vgpr 1
		.amdhsa_next_free_sgpr 0
		.amdhsa_accum_offset 4
		.amdhsa_reserve_vcc 0
		.amdhsa_float_round_mode_32 0
		.amdhsa_float_round_mode_16_64 0
		.amdhsa_float_denorm_mode_32 3
		.amdhsa_float_denorm_mode_16_64 3
		.amdhsa_dx10_clamp 1
		.amdhsa_ieee_mode 1
		.amdhsa_fp16_overflow 0
		.amdhsa_tg_split 0
		.amdhsa_exception_fp_ieee_invalid_op 0
		.amdhsa_exception_fp_denorm_src 0
		.amdhsa_exception_fp_ieee_div_zero 0
		.amdhsa_exception_fp_ieee_overflow 0
		.amdhsa_exception_fp_ieee_underflow 0
		.amdhsa_exception_fp_ieee_inexact 0
		.amdhsa_exception_int_div_zero 0
	.end_amdhsa_kernel
	.section	.text._ZN7rocprim17ROCPRIM_400000_NS6detail17trampoline_kernelINS0_14default_configENS1_25partition_config_selectorILNS1_17partition_subalgoE0EjNS0_10empty_typeEbEEZZNS1_14partition_implILS5_0ELb0ES3_jN6thrust23THRUST_200600_302600_NS6detail15normal_iteratorINSA_10device_ptrIjEEEEPS6_SG_NS0_5tupleIJSF_NSA_16discard_iteratorINSA_11use_defaultEEEEEENSH_IJSG_SG_EEES6_PlJ7is_evenIjEEEE10hipError_tPvRmT3_T4_T5_T6_T7_T9_mT8_P12ihipStream_tbDpT10_ENKUlT_T0_E_clISt17integral_constantIbLb1EES18_IbLb0EEEEDaS14_S15_EUlS14_E_NS1_11comp_targetILNS1_3genE3ELNS1_11target_archE908ELNS1_3gpuE7ELNS1_3repE0EEENS1_30default_config_static_selectorELNS0_4arch9wavefront6targetE1EEEvT1_,"axG",@progbits,_ZN7rocprim17ROCPRIM_400000_NS6detail17trampoline_kernelINS0_14default_configENS1_25partition_config_selectorILNS1_17partition_subalgoE0EjNS0_10empty_typeEbEEZZNS1_14partition_implILS5_0ELb0ES3_jN6thrust23THRUST_200600_302600_NS6detail15normal_iteratorINSA_10device_ptrIjEEEEPS6_SG_NS0_5tupleIJSF_NSA_16discard_iteratorINSA_11use_defaultEEEEEENSH_IJSG_SG_EEES6_PlJ7is_evenIjEEEE10hipError_tPvRmT3_T4_T5_T6_T7_T9_mT8_P12ihipStream_tbDpT10_ENKUlT_T0_E_clISt17integral_constantIbLb1EES18_IbLb0EEEEDaS14_S15_EUlS14_E_NS1_11comp_targetILNS1_3genE3ELNS1_11target_archE908ELNS1_3gpuE7ELNS1_3repE0EEENS1_30default_config_static_selectorELNS0_4arch9wavefront6targetE1EEEvT1_,comdat
.Lfunc_end2446:
	.size	_ZN7rocprim17ROCPRIM_400000_NS6detail17trampoline_kernelINS0_14default_configENS1_25partition_config_selectorILNS1_17partition_subalgoE0EjNS0_10empty_typeEbEEZZNS1_14partition_implILS5_0ELb0ES3_jN6thrust23THRUST_200600_302600_NS6detail15normal_iteratorINSA_10device_ptrIjEEEEPS6_SG_NS0_5tupleIJSF_NSA_16discard_iteratorINSA_11use_defaultEEEEEENSH_IJSG_SG_EEES6_PlJ7is_evenIjEEEE10hipError_tPvRmT3_T4_T5_T6_T7_T9_mT8_P12ihipStream_tbDpT10_ENKUlT_T0_E_clISt17integral_constantIbLb1EES18_IbLb0EEEEDaS14_S15_EUlS14_E_NS1_11comp_targetILNS1_3genE3ELNS1_11target_archE908ELNS1_3gpuE7ELNS1_3repE0EEENS1_30default_config_static_selectorELNS0_4arch9wavefront6targetE1EEEvT1_, .Lfunc_end2446-_ZN7rocprim17ROCPRIM_400000_NS6detail17trampoline_kernelINS0_14default_configENS1_25partition_config_selectorILNS1_17partition_subalgoE0EjNS0_10empty_typeEbEEZZNS1_14partition_implILS5_0ELb0ES3_jN6thrust23THRUST_200600_302600_NS6detail15normal_iteratorINSA_10device_ptrIjEEEEPS6_SG_NS0_5tupleIJSF_NSA_16discard_iteratorINSA_11use_defaultEEEEEENSH_IJSG_SG_EEES6_PlJ7is_evenIjEEEE10hipError_tPvRmT3_T4_T5_T6_T7_T9_mT8_P12ihipStream_tbDpT10_ENKUlT_T0_E_clISt17integral_constantIbLb1EES18_IbLb0EEEEDaS14_S15_EUlS14_E_NS1_11comp_targetILNS1_3genE3ELNS1_11target_archE908ELNS1_3gpuE7ELNS1_3repE0EEENS1_30default_config_static_selectorELNS0_4arch9wavefront6targetE1EEEvT1_
                                        ; -- End function
	.section	.AMDGPU.csdata,"",@progbits
; Kernel info:
; codeLenInByte = 0
; NumSgprs: 6
; NumVgprs: 0
; NumAgprs: 0
; TotalNumVgprs: 0
; ScratchSize: 0
; MemoryBound: 0
; FloatMode: 240
; IeeeMode: 1
; LDSByteSize: 0 bytes/workgroup (compile time only)
; SGPRBlocks: 0
; VGPRBlocks: 0
; NumSGPRsForWavesPerEU: 6
; NumVGPRsForWavesPerEU: 1
; AccumOffset: 4
; Occupancy: 8
; WaveLimiterHint : 0
; COMPUTE_PGM_RSRC2:SCRATCH_EN: 0
; COMPUTE_PGM_RSRC2:USER_SGPR: 2
; COMPUTE_PGM_RSRC2:TRAP_HANDLER: 0
; COMPUTE_PGM_RSRC2:TGID_X_EN: 1
; COMPUTE_PGM_RSRC2:TGID_Y_EN: 0
; COMPUTE_PGM_RSRC2:TGID_Z_EN: 0
; COMPUTE_PGM_RSRC2:TIDIG_COMP_CNT: 0
; COMPUTE_PGM_RSRC3_GFX90A:ACCUM_OFFSET: 0
; COMPUTE_PGM_RSRC3_GFX90A:TG_SPLIT: 0
	.section	.text._ZN7rocprim17ROCPRIM_400000_NS6detail17trampoline_kernelINS0_14default_configENS1_25partition_config_selectorILNS1_17partition_subalgoE0EjNS0_10empty_typeEbEEZZNS1_14partition_implILS5_0ELb0ES3_jN6thrust23THRUST_200600_302600_NS6detail15normal_iteratorINSA_10device_ptrIjEEEEPS6_SG_NS0_5tupleIJSF_NSA_16discard_iteratorINSA_11use_defaultEEEEEENSH_IJSG_SG_EEES6_PlJ7is_evenIjEEEE10hipError_tPvRmT3_T4_T5_T6_T7_T9_mT8_P12ihipStream_tbDpT10_ENKUlT_T0_E_clISt17integral_constantIbLb1EES18_IbLb0EEEEDaS14_S15_EUlS14_E_NS1_11comp_targetILNS1_3genE2ELNS1_11target_archE906ELNS1_3gpuE6ELNS1_3repE0EEENS1_30default_config_static_selectorELNS0_4arch9wavefront6targetE1EEEvT1_,"axG",@progbits,_ZN7rocprim17ROCPRIM_400000_NS6detail17trampoline_kernelINS0_14default_configENS1_25partition_config_selectorILNS1_17partition_subalgoE0EjNS0_10empty_typeEbEEZZNS1_14partition_implILS5_0ELb0ES3_jN6thrust23THRUST_200600_302600_NS6detail15normal_iteratorINSA_10device_ptrIjEEEEPS6_SG_NS0_5tupleIJSF_NSA_16discard_iteratorINSA_11use_defaultEEEEEENSH_IJSG_SG_EEES6_PlJ7is_evenIjEEEE10hipError_tPvRmT3_T4_T5_T6_T7_T9_mT8_P12ihipStream_tbDpT10_ENKUlT_T0_E_clISt17integral_constantIbLb1EES18_IbLb0EEEEDaS14_S15_EUlS14_E_NS1_11comp_targetILNS1_3genE2ELNS1_11target_archE906ELNS1_3gpuE6ELNS1_3repE0EEENS1_30default_config_static_selectorELNS0_4arch9wavefront6targetE1EEEvT1_,comdat
	.protected	_ZN7rocprim17ROCPRIM_400000_NS6detail17trampoline_kernelINS0_14default_configENS1_25partition_config_selectorILNS1_17partition_subalgoE0EjNS0_10empty_typeEbEEZZNS1_14partition_implILS5_0ELb0ES3_jN6thrust23THRUST_200600_302600_NS6detail15normal_iteratorINSA_10device_ptrIjEEEEPS6_SG_NS0_5tupleIJSF_NSA_16discard_iteratorINSA_11use_defaultEEEEEENSH_IJSG_SG_EEES6_PlJ7is_evenIjEEEE10hipError_tPvRmT3_T4_T5_T6_T7_T9_mT8_P12ihipStream_tbDpT10_ENKUlT_T0_E_clISt17integral_constantIbLb1EES18_IbLb0EEEEDaS14_S15_EUlS14_E_NS1_11comp_targetILNS1_3genE2ELNS1_11target_archE906ELNS1_3gpuE6ELNS1_3repE0EEENS1_30default_config_static_selectorELNS0_4arch9wavefront6targetE1EEEvT1_ ; -- Begin function _ZN7rocprim17ROCPRIM_400000_NS6detail17trampoline_kernelINS0_14default_configENS1_25partition_config_selectorILNS1_17partition_subalgoE0EjNS0_10empty_typeEbEEZZNS1_14partition_implILS5_0ELb0ES3_jN6thrust23THRUST_200600_302600_NS6detail15normal_iteratorINSA_10device_ptrIjEEEEPS6_SG_NS0_5tupleIJSF_NSA_16discard_iteratorINSA_11use_defaultEEEEEENSH_IJSG_SG_EEES6_PlJ7is_evenIjEEEE10hipError_tPvRmT3_T4_T5_T6_T7_T9_mT8_P12ihipStream_tbDpT10_ENKUlT_T0_E_clISt17integral_constantIbLb1EES18_IbLb0EEEEDaS14_S15_EUlS14_E_NS1_11comp_targetILNS1_3genE2ELNS1_11target_archE906ELNS1_3gpuE6ELNS1_3repE0EEENS1_30default_config_static_selectorELNS0_4arch9wavefront6targetE1EEEvT1_
	.globl	_ZN7rocprim17ROCPRIM_400000_NS6detail17trampoline_kernelINS0_14default_configENS1_25partition_config_selectorILNS1_17partition_subalgoE0EjNS0_10empty_typeEbEEZZNS1_14partition_implILS5_0ELb0ES3_jN6thrust23THRUST_200600_302600_NS6detail15normal_iteratorINSA_10device_ptrIjEEEEPS6_SG_NS0_5tupleIJSF_NSA_16discard_iteratorINSA_11use_defaultEEEEEENSH_IJSG_SG_EEES6_PlJ7is_evenIjEEEE10hipError_tPvRmT3_T4_T5_T6_T7_T9_mT8_P12ihipStream_tbDpT10_ENKUlT_T0_E_clISt17integral_constantIbLb1EES18_IbLb0EEEEDaS14_S15_EUlS14_E_NS1_11comp_targetILNS1_3genE2ELNS1_11target_archE906ELNS1_3gpuE6ELNS1_3repE0EEENS1_30default_config_static_selectorELNS0_4arch9wavefront6targetE1EEEvT1_
	.p2align	8
	.type	_ZN7rocprim17ROCPRIM_400000_NS6detail17trampoline_kernelINS0_14default_configENS1_25partition_config_selectorILNS1_17partition_subalgoE0EjNS0_10empty_typeEbEEZZNS1_14partition_implILS5_0ELb0ES3_jN6thrust23THRUST_200600_302600_NS6detail15normal_iteratorINSA_10device_ptrIjEEEEPS6_SG_NS0_5tupleIJSF_NSA_16discard_iteratorINSA_11use_defaultEEEEEENSH_IJSG_SG_EEES6_PlJ7is_evenIjEEEE10hipError_tPvRmT3_T4_T5_T6_T7_T9_mT8_P12ihipStream_tbDpT10_ENKUlT_T0_E_clISt17integral_constantIbLb1EES18_IbLb0EEEEDaS14_S15_EUlS14_E_NS1_11comp_targetILNS1_3genE2ELNS1_11target_archE906ELNS1_3gpuE6ELNS1_3repE0EEENS1_30default_config_static_selectorELNS0_4arch9wavefront6targetE1EEEvT1_,@function
_ZN7rocprim17ROCPRIM_400000_NS6detail17trampoline_kernelINS0_14default_configENS1_25partition_config_selectorILNS1_17partition_subalgoE0EjNS0_10empty_typeEbEEZZNS1_14partition_implILS5_0ELb0ES3_jN6thrust23THRUST_200600_302600_NS6detail15normal_iteratorINSA_10device_ptrIjEEEEPS6_SG_NS0_5tupleIJSF_NSA_16discard_iteratorINSA_11use_defaultEEEEEENSH_IJSG_SG_EEES6_PlJ7is_evenIjEEEE10hipError_tPvRmT3_T4_T5_T6_T7_T9_mT8_P12ihipStream_tbDpT10_ENKUlT_T0_E_clISt17integral_constantIbLb1EES18_IbLb0EEEEDaS14_S15_EUlS14_E_NS1_11comp_targetILNS1_3genE2ELNS1_11target_archE906ELNS1_3gpuE6ELNS1_3repE0EEENS1_30default_config_static_selectorELNS0_4arch9wavefront6targetE1EEEvT1_: ; @_ZN7rocprim17ROCPRIM_400000_NS6detail17trampoline_kernelINS0_14default_configENS1_25partition_config_selectorILNS1_17partition_subalgoE0EjNS0_10empty_typeEbEEZZNS1_14partition_implILS5_0ELb0ES3_jN6thrust23THRUST_200600_302600_NS6detail15normal_iteratorINSA_10device_ptrIjEEEEPS6_SG_NS0_5tupleIJSF_NSA_16discard_iteratorINSA_11use_defaultEEEEEENSH_IJSG_SG_EEES6_PlJ7is_evenIjEEEE10hipError_tPvRmT3_T4_T5_T6_T7_T9_mT8_P12ihipStream_tbDpT10_ENKUlT_T0_E_clISt17integral_constantIbLb1EES18_IbLb0EEEEDaS14_S15_EUlS14_E_NS1_11comp_targetILNS1_3genE2ELNS1_11target_archE906ELNS1_3gpuE6ELNS1_3repE0EEENS1_30default_config_static_selectorELNS0_4arch9wavefront6targetE1EEEvT1_
; %bb.0:
	.section	.rodata,"a",@progbits
	.p2align	6, 0x0
	.amdhsa_kernel _ZN7rocprim17ROCPRIM_400000_NS6detail17trampoline_kernelINS0_14default_configENS1_25partition_config_selectorILNS1_17partition_subalgoE0EjNS0_10empty_typeEbEEZZNS1_14partition_implILS5_0ELb0ES3_jN6thrust23THRUST_200600_302600_NS6detail15normal_iteratorINSA_10device_ptrIjEEEEPS6_SG_NS0_5tupleIJSF_NSA_16discard_iteratorINSA_11use_defaultEEEEEENSH_IJSG_SG_EEES6_PlJ7is_evenIjEEEE10hipError_tPvRmT3_T4_T5_T6_T7_T9_mT8_P12ihipStream_tbDpT10_ENKUlT_T0_E_clISt17integral_constantIbLb1EES18_IbLb0EEEEDaS14_S15_EUlS14_E_NS1_11comp_targetILNS1_3genE2ELNS1_11target_archE906ELNS1_3gpuE6ELNS1_3repE0EEENS1_30default_config_static_selectorELNS0_4arch9wavefront6targetE1EEEvT1_
		.amdhsa_group_segment_fixed_size 0
		.amdhsa_private_segment_fixed_size 0
		.amdhsa_kernarg_size 128
		.amdhsa_user_sgpr_count 2
		.amdhsa_user_sgpr_dispatch_ptr 0
		.amdhsa_user_sgpr_queue_ptr 0
		.amdhsa_user_sgpr_kernarg_segment_ptr 1
		.amdhsa_user_sgpr_dispatch_id 0
		.amdhsa_user_sgpr_kernarg_preload_length 0
		.amdhsa_user_sgpr_kernarg_preload_offset 0
		.amdhsa_user_sgpr_private_segment_size 0
		.amdhsa_uses_dynamic_stack 0
		.amdhsa_enable_private_segment 0
		.amdhsa_system_sgpr_workgroup_id_x 1
		.amdhsa_system_sgpr_workgroup_id_y 0
		.amdhsa_system_sgpr_workgroup_id_z 0
		.amdhsa_system_sgpr_workgroup_info 0
		.amdhsa_system_vgpr_workitem_id 0
		.amdhsa_next_free_vgpr 1
		.amdhsa_next_free_sgpr 0
		.amdhsa_accum_offset 4
		.amdhsa_reserve_vcc 0
		.amdhsa_float_round_mode_32 0
		.amdhsa_float_round_mode_16_64 0
		.amdhsa_float_denorm_mode_32 3
		.amdhsa_float_denorm_mode_16_64 3
		.amdhsa_dx10_clamp 1
		.amdhsa_ieee_mode 1
		.amdhsa_fp16_overflow 0
		.amdhsa_tg_split 0
		.amdhsa_exception_fp_ieee_invalid_op 0
		.amdhsa_exception_fp_denorm_src 0
		.amdhsa_exception_fp_ieee_div_zero 0
		.amdhsa_exception_fp_ieee_overflow 0
		.amdhsa_exception_fp_ieee_underflow 0
		.amdhsa_exception_fp_ieee_inexact 0
		.amdhsa_exception_int_div_zero 0
	.end_amdhsa_kernel
	.section	.text._ZN7rocprim17ROCPRIM_400000_NS6detail17trampoline_kernelINS0_14default_configENS1_25partition_config_selectorILNS1_17partition_subalgoE0EjNS0_10empty_typeEbEEZZNS1_14partition_implILS5_0ELb0ES3_jN6thrust23THRUST_200600_302600_NS6detail15normal_iteratorINSA_10device_ptrIjEEEEPS6_SG_NS0_5tupleIJSF_NSA_16discard_iteratorINSA_11use_defaultEEEEEENSH_IJSG_SG_EEES6_PlJ7is_evenIjEEEE10hipError_tPvRmT3_T4_T5_T6_T7_T9_mT8_P12ihipStream_tbDpT10_ENKUlT_T0_E_clISt17integral_constantIbLb1EES18_IbLb0EEEEDaS14_S15_EUlS14_E_NS1_11comp_targetILNS1_3genE2ELNS1_11target_archE906ELNS1_3gpuE6ELNS1_3repE0EEENS1_30default_config_static_selectorELNS0_4arch9wavefront6targetE1EEEvT1_,"axG",@progbits,_ZN7rocprim17ROCPRIM_400000_NS6detail17trampoline_kernelINS0_14default_configENS1_25partition_config_selectorILNS1_17partition_subalgoE0EjNS0_10empty_typeEbEEZZNS1_14partition_implILS5_0ELb0ES3_jN6thrust23THRUST_200600_302600_NS6detail15normal_iteratorINSA_10device_ptrIjEEEEPS6_SG_NS0_5tupleIJSF_NSA_16discard_iteratorINSA_11use_defaultEEEEEENSH_IJSG_SG_EEES6_PlJ7is_evenIjEEEE10hipError_tPvRmT3_T4_T5_T6_T7_T9_mT8_P12ihipStream_tbDpT10_ENKUlT_T0_E_clISt17integral_constantIbLb1EES18_IbLb0EEEEDaS14_S15_EUlS14_E_NS1_11comp_targetILNS1_3genE2ELNS1_11target_archE906ELNS1_3gpuE6ELNS1_3repE0EEENS1_30default_config_static_selectorELNS0_4arch9wavefront6targetE1EEEvT1_,comdat
.Lfunc_end2447:
	.size	_ZN7rocprim17ROCPRIM_400000_NS6detail17trampoline_kernelINS0_14default_configENS1_25partition_config_selectorILNS1_17partition_subalgoE0EjNS0_10empty_typeEbEEZZNS1_14partition_implILS5_0ELb0ES3_jN6thrust23THRUST_200600_302600_NS6detail15normal_iteratorINSA_10device_ptrIjEEEEPS6_SG_NS0_5tupleIJSF_NSA_16discard_iteratorINSA_11use_defaultEEEEEENSH_IJSG_SG_EEES6_PlJ7is_evenIjEEEE10hipError_tPvRmT3_T4_T5_T6_T7_T9_mT8_P12ihipStream_tbDpT10_ENKUlT_T0_E_clISt17integral_constantIbLb1EES18_IbLb0EEEEDaS14_S15_EUlS14_E_NS1_11comp_targetILNS1_3genE2ELNS1_11target_archE906ELNS1_3gpuE6ELNS1_3repE0EEENS1_30default_config_static_selectorELNS0_4arch9wavefront6targetE1EEEvT1_, .Lfunc_end2447-_ZN7rocprim17ROCPRIM_400000_NS6detail17trampoline_kernelINS0_14default_configENS1_25partition_config_selectorILNS1_17partition_subalgoE0EjNS0_10empty_typeEbEEZZNS1_14partition_implILS5_0ELb0ES3_jN6thrust23THRUST_200600_302600_NS6detail15normal_iteratorINSA_10device_ptrIjEEEEPS6_SG_NS0_5tupleIJSF_NSA_16discard_iteratorINSA_11use_defaultEEEEEENSH_IJSG_SG_EEES6_PlJ7is_evenIjEEEE10hipError_tPvRmT3_T4_T5_T6_T7_T9_mT8_P12ihipStream_tbDpT10_ENKUlT_T0_E_clISt17integral_constantIbLb1EES18_IbLb0EEEEDaS14_S15_EUlS14_E_NS1_11comp_targetILNS1_3genE2ELNS1_11target_archE906ELNS1_3gpuE6ELNS1_3repE0EEENS1_30default_config_static_selectorELNS0_4arch9wavefront6targetE1EEEvT1_
                                        ; -- End function
	.section	.AMDGPU.csdata,"",@progbits
; Kernel info:
; codeLenInByte = 0
; NumSgprs: 6
; NumVgprs: 0
; NumAgprs: 0
; TotalNumVgprs: 0
; ScratchSize: 0
; MemoryBound: 0
; FloatMode: 240
; IeeeMode: 1
; LDSByteSize: 0 bytes/workgroup (compile time only)
; SGPRBlocks: 0
; VGPRBlocks: 0
; NumSGPRsForWavesPerEU: 6
; NumVGPRsForWavesPerEU: 1
; AccumOffset: 4
; Occupancy: 8
; WaveLimiterHint : 0
; COMPUTE_PGM_RSRC2:SCRATCH_EN: 0
; COMPUTE_PGM_RSRC2:USER_SGPR: 2
; COMPUTE_PGM_RSRC2:TRAP_HANDLER: 0
; COMPUTE_PGM_RSRC2:TGID_X_EN: 1
; COMPUTE_PGM_RSRC2:TGID_Y_EN: 0
; COMPUTE_PGM_RSRC2:TGID_Z_EN: 0
; COMPUTE_PGM_RSRC2:TIDIG_COMP_CNT: 0
; COMPUTE_PGM_RSRC3_GFX90A:ACCUM_OFFSET: 0
; COMPUTE_PGM_RSRC3_GFX90A:TG_SPLIT: 0
	.section	.text._ZN7rocprim17ROCPRIM_400000_NS6detail17trampoline_kernelINS0_14default_configENS1_25partition_config_selectorILNS1_17partition_subalgoE0EjNS0_10empty_typeEbEEZZNS1_14partition_implILS5_0ELb0ES3_jN6thrust23THRUST_200600_302600_NS6detail15normal_iteratorINSA_10device_ptrIjEEEEPS6_SG_NS0_5tupleIJSF_NSA_16discard_iteratorINSA_11use_defaultEEEEEENSH_IJSG_SG_EEES6_PlJ7is_evenIjEEEE10hipError_tPvRmT3_T4_T5_T6_T7_T9_mT8_P12ihipStream_tbDpT10_ENKUlT_T0_E_clISt17integral_constantIbLb1EES18_IbLb0EEEEDaS14_S15_EUlS14_E_NS1_11comp_targetILNS1_3genE10ELNS1_11target_archE1200ELNS1_3gpuE4ELNS1_3repE0EEENS1_30default_config_static_selectorELNS0_4arch9wavefront6targetE1EEEvT1_,"axG",@progbits,_ZN7rocprim17ROCPRIM_400000_NS6detail17trampoline_kernelINS0_14default_configENS1_25partition_config_selectorILNS1_17partition_subalgoE0EjNS0_10empty_typeEbEEZZNS1_14partition_implILS5_0ELb0ES3_jN6thrust23THRUST_200600_302600_NS6detail15normal_iteratorINSA_10device_ptrIjEEEEPS6_SG_NS0_5tupleIJSF_NSA_16discard_iteratorINSA_11use_defaultEEEEEENSH_IJSG_SG_EEES6_PlJ7is_evenIjEEEE10hipError_tPvRmT3_T4_T5_T6_T7_T9_mT8_P12ihipStream_tbDpT10_ENKUlT_T0_E_clISt17integral_constantIbLb1EES18_IbLb0EEEEDaS14_S15_EUlS14_E_NS1_11comp_targetILNS1_3genE10ELNS1_11target_archE1200ELNS1_3gpuE4ELNS1_3repE0EEENS1_30default_config_static_selectorELNS0_4arch9wavefront6targetE1EEEvT1_,comdat
	.protected	_ZN7rocprim17ROCPRIM_400000_NS6detail17trampoline_kernelINS0_14default_configENS1_25partition_config_selectorILNS1_17partition_subalgoE0EjNS0_10empty_typeEbEEZZNS1_14partition_implILS5_0ELb0ES3_jN6thrust23THRUST_200600_302600_NS6detail15normal_iteratorINSA_10device_ptrIjEEEEPS6_SG_NS0_5tupleIJSF_NSA_16discard_iteratorINSA_11use_defaultEEEEEENSH_IJSG_SG_EEES6_PlJ7is_evenIjEEEE10hipError_tPvRmT3_T4_T5_T6_T7_T9_mT8_P12ihipStream_tbDpT10_ENKUlT_T0_E_clISt17integral_constantIbLb1EES18_IbLb0EEEEDaS14_S15_EUlS14_E_NS1_11comp_targetILNS1_3genE10ELNS1_11target_archE1200ELNS1_3gpuE4ELNS1_3repE0EEENS1_30default_config_static_selectorELNS0_4arch9wavefront6targetE1EEEvT1_ ; -- Begin function _ZN7rocprim17ROCPRIM_400000_NS6detail17trampoline_kernelINS0_14default_configENS1_25partition_config_selectorILNS1_17partition_subalgoE0EjNS0_10empty_typeEbEEZZNS1_14partition_implILS5_0ELb0ES3_jN6thrust23THRUST_200600_302600_NS6detail15normal_iteratorINSA_10device_ptrIjEEEEPS6_SG_NS0_5tupleIJSF_NSA_16discard_iteratorINSA_11use_defaultEEEEEENSH_IJSG_SG_EEES6_PlJ7is_evenIjEEEE10hipError_tPvRmT3_T4_T5_T6_T7_T9_mT8_P12ihipStream_tbDpT10_ENKUlT_T0_E_clISt17integral_constantIbLb1EES18_IbLb0EEEEDaS14_S15_EUlS14_E_NS1_11comp_targetILNS1_3genE10ELNS1_11target_archE1200ELNS1_3gpuE4ELNS1_3repE0EEENS1_30default_config_static_selectorELNS0_4arch9wavefront6targetE1EEEvT1_
	.globl	_ZN7rocprim17ROCPRIM_400000_NS6detail17trampoline_kernelINS0_14default_configENS1_25partition_config_selectorILNS1_17partition_subalgoE0EjNS0_10empty_typeEbEEZZNS1_14partition_implILS5_0ELb0ES3_jN6thrust23THRUST_200600_302600_NS6detail15normal_iteratorINSA_10device_ptrIjEEEEPS6_SG_NS0_5tupleIJSF_NSA_16discard_iteratorINSA_11use_defaultEEEEEENSH_IJSG_SG_EEES6_PlJ7is_evenIjEEEE10hipError_tPvRmT3_T4_T5_T6_T7_T9_mT8_P12ihipStream_tbDpT10_ENKUlT_T0_E_clISt17integral_constantIbLb1EES18_IbLb0EEEEDaS14_S15_EUlS14_E_NS1_11comp_targetILNS1_3genE10ELNS1_11target_archE1200ELNS1_3gpuE4ELNS1_3repE0EEENS1_30default_config_static_selectorELNS0_4arch9wavefront6targetE1EEEvT1_
	.p2align	8
	.type	_ZN7rocprim17ROCPRIM_400000_NS6detail17trampoline_kernelINS0_14default_configENS1_25partition_config_selectorILNS1_17partition_subalgoE0EjNS0_10empty_typeEbEEZZNS1_14partition_implILS5_0ELb0ES3_jN6thrust23THRUST_200600_302600_NS6detail15normal_iteratorINSA_10device_ptrIjEEEEPS6_SG_NS0_5tupleIJSF_NSA_16discard_iteratorINSA_11use_defaultEEEEEENSH_IJSG_SG_EEES6_PlJ7is_evenIjEEEE10hipError_tPvRmT3_T4_T5_T6_T7_T9_mT8_P12ihipStream_tbDpT10_ENKUlT_T0_E_clISt17integral_constantIbLb1EES18_IbLb0EEEEDaS14_S15_EUlS14_E_NS1_11comp_targetILNS1_3genE10ELNS1_11target_archE1200ELNS1_3gpuE4ELNS1_3repE0EEENS1_30default_config_static_selectorELNS0_4arch9wavefront6targetE1EEEvT1_,@function
_ZN7rocprim17ROCPRIM_400000_NS6detail17trampoline_kernelINS0_14default_configENS1_25partition_config_selectorILNS1_17partition_subalgoE0EjNS0_10empty_typeEbEEZZNS1_14partition_implILS5_0ELb0ES3_jN6thrust23THRUST_200600_302600_NS6detail15normal_iteratorINSA_10device_ptrIjEEEEPS6_SG_NS0_5tupleIJSF_NSA_16discard_iteratorINSA_11use_defaultEEEEEENSH_IJSG_SG_EEES6_PlJ7is_evenIjEEEE10hipError_tPvRmT3_T4_T5_T6_T7_T9_mT8_P12ihipStream_tbDpT10_ENKUlT_T0_E_clISt17integral_constantIbLb1EES18_IbLb0EEEEDaS14_S15_EUlS14_E_NS1_11comp_targetILNS1_3genE10ELNS1_11target_archE1200ELNS1_3gpuE4ELNS1_3repE0EEENS1_30default_config_static_selectorELNS0_4arch9wavefront6targetE1EEEvT1_: ; @_ZN7rocprim17ROCPRIM_400000_NS6detail17trampoline_kernelINS0_14default_configENS1_25partition_config_selectorILNS1_17partition_subalgoE0EjNS0_10empty_typeEbEEZZNS1_14partition_implILS5_0ELb0ES3_jN6thrust23THRUST_200600_302600_NS6detail15normal_iteratorINSA_10device_ptrIjEEEEPS6_SG_NS0_5tupleIJSF_NSA_16discard_iteratorINSA_11use_defaultEEEEEENSH_IJSG_SG_EEES6_PlJ7is_evenIjEEEE10hipError_tPvRmT3_T4_T5_T6_T7_T9_mT8_P12ihipStream_tbDpT10_ENKUlT_T0_E_clISt17integral_constantIbLb1EES18_IbLb0EEEEDaS14_S15_EUlS14_E_NS1_11comp_targetILNS1_3genE10ELNS1_11target_archE1200ELNS1_3gpuE4ELNS1_3repE0EEENS1_30default_config_static_selectorELNS0_4arch9wavefront6targetE1EEEvT1_
; %bb.0:
	.section	.rodata,"a",@progbits
	.p2align	6, 0x0
	.amdhsa_kernel _ZN7rocprim17ROCPRIM_400000_NS6detail17trampoline_kernelINS0_14default_configENS1_25partition_config_selectorILNS1_17partition_subalgoE0EjNS0_10empty_typeEbEEZZNS1_14partition_implILS5_0ELb0ES3_jN6thrust23THRUST_200600_302600_NS6detail15normal_iteratorINSA_10device_ptrIjEEEEPS6_SG_NS0_5tupleIJSF_NSA_16discard_iteratorINSA_11use_defaultEEEEEENSH_IJSG_SG_EEES6_PlJ7is_evenIjEEEE10hipError_tPvRmT3_T4_T5_T6_T7_T9_mT8_P12ihipStream_tbDpT10_ENKUlT_T0_E_clISt17integral_constantIbLb1EES18_IbLb0EEEEDaS14_S15_EUlS14_E_NS1_11comp_targetILNS1_3genE10ELNS1_11target_archE1200ELNS1_3gpuE4ELNS1_3repE0EEENS1_30default_config_static_selectorELNS0_4arch9wavefront6targetE1EEEvT1_
		.amdhsa_group_segment_fixed_size 0
		.amdhsa_private_segment_fixed_size 0
		.amdhsa_kernarg_size 128
		.amdhsa_user_sgpr_count 2
		.amdhsa_user_sgpr_dispatch_ptr 0
		.amdhsa_user_sgpr_queue_ptr 0
		.amdhsa_user_sgpr_kernarg_segment_ptr 1
		.amdhsa_user_sgpr_dispatch_id 0
		.amdhsa_user_sgpr_kernarg_preload_length 0
		.amdhsa_user_sgpr_kernarg_preload_offset 0
		.amdhsa_user_sgpr_private_segment_size 0
		.amdhsa_uses_dynamic_stack 0
		.amdhsa_enable_private_segment 0
		.amdhsa_system_sgpr_workgroup_id_x 1
		.amdhsa_system_sgpr_workgroup_id_y 0
		.amdhsa_system_sgpr_workgroup_id_z 0
		.amdhsa_system_sgpr_workgroup_info 0
		.amdhsa_system_vgpr_workitem_id 0
		.amdhsa_next_free_vgpr 1
		.amdhsa_next_free_sgpr 0
		.amdhsa_accum_offset 4
		.amdhsa_reserve_vcc 0
		.amdhsa_float_round_mode_32 0
		.amdhsa_float_round_mode_16_64 0
		.amdhsa_float_denorm_mode_32 3
		.amdhsa_float_denorm_mode_16_64 3
		.amdhsa_dx10_clamp 1
		.amdhsa_ieee_mode 1
		.amdhsa_fp16_overflow 0
		.amdhsa_tg_split 0
		.amdhsa_exception_fp_ieee_invalid_op 0
		.amdhsa_exception_fp_denorm_src 0
		.amdhsa_exception_fp_ieee_div_zero 0
		.amdhsa_exception_fp_ieee_overflow 0
		.amdhsa_exception_fp_ieee_underflow 0
		.amdhsa_exception_fp_ieee_inexact 0
		.amdhsa_exception_int_div_zero 0
	.end_amdhsa_kernel
	.section	.text._ZN7rocprim17ROCPRIM_400000_NS6detail17trampoline_kernelINS0_14default_configENS1_25partition_config_selectorILNS1_17partition_subalgoE0EjNS0_10empty_typeEbEEZZNS1_14partition_implILS5_0ELb0ES3_jN6thrust23THRUST_200600_302600_NS6detail15normal_iteratorINSA_10device_ptrIjEEEEPS6_SG_NS0_5tupleIJSF_NSA_16discard_iteratorINSA_11use_defaultEEEEEENSH_IJSG_SG_EEES6_PlJ7is_evenIjEEEE10hipError_tPvRmT3_T4_T5_T6_T7_T9_mT8_P12ihipStream_tbDpT10_ENKUlT_T0_E_clISt17integral_constantIbLb1EES18_IbLb0EEEEDaS14_S15_EUlS14_E_NS1_11comp_targetILNS1_3genE10ELNS1_11target_archE1200ELNS1_3gpuE4ELNS1_3repE0EEENS1_30default_config_static_selectorELNS0_4arch9wavefront6targetE1EEEvT1_,"axG",@progbits,_ZN7rocprim17ROCPRIM_400000_NS6detail17trampoline_kernelINS0_14default_configENS1_25partition_config_selectorILNS1_17partition_subalgoE0EjNS0_10empty_typeEbEEZZNS1_14partition_implILS5_0ELb0ES3_jN6thrust23THRUST_200600_302600_NS6detail15normal_iteratorINSA_10device_ptrIjEEEEPS6_SG_NS0_5tupleIJSF_NSA_16discard_iteratorINSA_11use_defaultEEEEEENSH_IJSG_SG_EEES6_PlJ7is_evenIjEEEE10hipError_tPvRmT3_T4_T5_T6_T7_T9_mT8_P12ihipStream_tbDpT10_ENKUlT_T0_E_clISt17integral_constantIbLb1EES18_IbLb0EEEEDaS14_S15_EUlS14_E_NS1_11comp_targetILNS1_3genE10ELNS1_11target_archE1200ELNS1_3gpuE4ELNS1_3repE0EEENS1_30default_config_static_selectorELNS0_4arch9wavefront6targetE1EEEvT1_,comdat
.Lfunc_end2448:
	.size	_ZN7rocprim17ROCPRIM_400000_NS6detail17trampoline_kernelINS0_14default_configENS1_25partition_config_selectorILNS1_17partition_subalgoE0EjNS0_10empty_typeEbEEZZNS1_14partition_implILS5_0ELb0ES3_jN6thrust23THRUST_200600_302600_NS6detail15normal_iteratorINSA_10device_ptrIjEEEEPS6_SG_NS0_5tupleIJSF_NSA_16discard_iteratorINSA_11use_defaultEEEEEENSH_IJSG_SG_EEES6_PlJ7is_evenIjEEEE10hipError_tPvRmT3_T4_T5_T6_T7_T9_mT8_P12ihipStream_tbDpT10_ENKUlT_T0_E_clISt17integral_constantIbLb1EES18_IbLb0EEEEDaS14_S15_EUlS14_E_NS1_11comp_targetILNS1_3genE10ELNS1_11target_archE1200ELNS1_3gpuE4ELNS1_3repE0EEENS1_30default_config_static_selectorELNS0_4arch9wavefront6targetE1EEEvT1_, .Lfunc_end2448-_ZN7rocprim17ROCPRIM_400000_NS6detail17trampoline_kernelINS0_14default_configENS1_25partition_config_selectorILNS1_17partition_subalgoE0EjNS0_10empty_typeEbEEZZNS1_14partition_implILS5_0ELb0ES3_jN6thrust23THRUST_200600_302600_NS6detail15normal_iteratorINSA_10device_ptrIjEEEEPS6_SG_NS0_5tupleIJSF_NSA_16discard_iteratorINSA_11use_defaultEEEEEENSH_IJSG_SG_EEES6_PlJ7is_evenIjEEEE10hipError_tPvRmT3_T4_T5_T6_T7_T9_mT8_P12ihipStream_tbDpT10_ENKUlT_T0_E_clISt17integral_constantIbLb1EES18_IbLb0EEEEDaS14_S15_EUlS14_E_NS1_11comp_targetILNS1_3genE10ELNS1_11target_archE1200ELNS1_3gpuE4ELNS1_3repE0EEENS1_30default_config_static_selectorELNS0_4arch9wavefront6targetE1EEEvT1_
                                        ; -- End function
	.section	.AMDGPU.csdata,"",@progbits
; Kernel info:
; codeLenInByte = 0
; NumSgprs: 6
; NumVgprs: 0
; NumAgprs: 0
; TotalNumVgprs: 0
; ScratchSize: 0
; MemoryBound: 0
; FloatMode: 240
; IeeeMode: 1
; LDSByteSize: 0 bytes/workgroup (compile time only)
; SGPRBlocks: 0
; VGPRBlocks: 0
; NumSGPRsForWavesPerEU: 6
; NumVGPRsForWavesPerEU: 1
; AccumOffset: 4
; Occupancy: 8
; WaveLimiterHint : 0
; COMPUTE_PGM_RSRC2:SCRATCH_EN: 0
; COMPUTE_PGM_RSRC2:USER_SGPR: 2
; COMPUTE_PGM_RSRC2:TRAP_HANDLER: 0
; COMPUTE_PGM_RSRC2:TGID_X_EN: 1
; COMPUTE_PGM_RSRC2:TGID_Y_EN: 0
; COMPUTE_PGM_RSRC2:TGID_Z_EN: 0
; COMPUTE_PGM_RSRC2:TIDIG_COMP_CNT: 0
; COMPUTE_PGM_RSRC3_GFX90A:ACCUM_OFFSET: 0
; COMPUTE_PGM_RSRC3_GFX90A:TG_SPLIT: 0
	.section	.text._ZN7rocprim17ROCPRIM_400000_NS6detail17trampoline_kernelINS0_14default_configENS1_25partition_config_selectorILNS1_17partition_subalgoE0EjNS0_10empty_typeEbEEZZNS1_14partition_implILS5_0ELb0ES3_jN6thrust23THRUST_200600_302600_NS6detail15normal_iteratorINSA_10device_ptrIjEEEEPS6_SG_NS0_5tupleIJSF_NSA_16discard_iteratorINSA_11use_defaultEEEEEENSH_IJSG_SG_EEES6_PlJ7is_evenIjEEEE10hipError_tPvRmT3_T4_T5_T6_T7_T9_mT8_P12ihipStream_tbDpT10_ENKUlT_T0_E_clISt17integral_constantIbLb1EES18_IbLb0EEEEDaS14_S15_EUlS14_E_NS1_11comp_targetILNS1_3genE9ELNS1_11target_archE1100ELNS1_3gpuE3ELNS1_3repE0EEENS1_30default_config_static_selectorELNS0_4arch9wavefront6targetE1EEEvT1_,"axG",@progbits,_ZN7rocprim17ROCPRIM_400000_NS6detail17trampoline_kernelINS0_14default_configENS1_25partition_config_selectorILNS1_17partition_subalgoE0EjNS0_10empty_typeEbEEZZNS1_14partition_implILS5_0ELb0ES3_jN6thrust23THRUST_200600_302600_NS6detail15normal_iteratorINSA_10device_ptrIjEEEEPS6_SG_NS0_5tupleIJSF_NSA_16discard_iteratorINSA_11use_defaultEEEEEENSH_IJSG_SG_EEES6_PlJ7is_evenIjEEEE10hipError_tPvRmT3_T4_T5_T6_T7_T9_mT8_P12ihipStream_tbDpT10_ENKUlT_T0_E_clISt17integral_constantIbLb1EES18_IbLb0EEEEDaS14_S15_EUlS14_E_NS1_11comp_targetILNS1_3genE9ELNS1_11target_archE1100ELNS1_3gpuE3ELNS1_3repE0EEENS1_30default_config_static_selectorELNS0_4arch9wavefront6targetE1EEEvT1_,comdat
	.protected	_ZN7rocprim17ROCPRIM_400000_NS6detail17trampoline_kernelINS0_14default_configENS1_25partition_config_selectorILNS1_17partition_subalgoE0EjNS0_10empty_typeEbEEZZNS1_14partition_implILS5_0ELb0ES3_jN6thrust23THRUST_200600_302600_NS6detail15normal_iteratorINSA_10device_ptrIjEEEEPS6_SG_NS0_5tupleIJSF_NSA_16discard_iteratorINSA_11use_defaultEEEEEENSH_IJSG_SG_EEES6_PlJ7is_evenIjEEEE10hipError_tPvRmT3_T4_T5_T6_T7_T9_mT8_P12ihipStream_tbDpT10_ENKUlT_T0_E_clISt17integral_constantIbLb1EES18_IbLb0EEEEDaS14_S15_EUlS14_E_NS1_11comp_targetILNS1_3genE9ELNS1_11target_archE1100ELNS1_3gpuE3ELNS1_3repE0EEENS1_30default_config_static_selectorELNS0_4arch9wavefront6targetE1EEEvT1_ ; -- Begin function _ZN7rocprim17ROCPRIM_400000_NS6detail17trampoline_kernelINS0_14default_configENS1_25partition_config_selectorILNS1_17partition_subalgoE0EjNS0_10empty_typeEbEEZZNS1_14partition_implILS5_0ELb0ES3_jN6thrust23THRUST_200600_302600_NS6detail15normal_iteratorINSA_10device_ptrIjEEEEPS6_SG_NS0_5tupleIJSF_NSA_16discard_iteratorINSA_11use_defaultEEEEEENSH_IJSG_SG_EEES6_PlJ7is_evenIjEEEE10hipError_tPvRmT3_T4_T5_T6_T7_T9_mT8_P12ihipStream_tbDpT10_ENKUlT_T0_E_clISt17integral_constantIbLb1EES18_IbLb0EEEEDaS14_S15_EUlS14_E_NS1_11comp_targetILNS1_3genE9ELNS1_11target_archE1100ELNS1_3gpuE3ELNS1_3repE0EEENS1_30default_config_static_selectorELNS0_4arch9wavefront6targetE1EEEvT1_
	.globl	_ZN7rocprim17ROCPRIM_400000_NS6detail17trampoline_kernelINS0_14default_configENS1_25partition_config_selectorILNS1_17partition_subalgoE0EjNS0_10empty_typeEbEEZZNS1_14partition_implILS5_0ELb0ES3_jN6thrust23THRUST_200600_302600_NS6detail15normal_iteratorINSA_10device_ptrIjEEEEPS6_SG_NS0_5tupleIJSF_NSA_16discard_iteratorINSA_11use_defaultEEEEEENSH_IJSG_SG_EEES6_PlJ7is_evenIjEEEE10hipError_tPvRmT3_T4_T5_T6_T7_T9_mT8_P12ihipStream_tbDpT10_ENKUlT_T0_E_clISt17integral_constantIbLb1EES18_IbLb0EEEEDaS14_S15_EUlS14_E_NS1_11comp_targetILNS1_3genE9ELNS1_11target_archE1100ELNS1_3gpuE3ELNS1_3repE0EEENS1_30default_config_static_selectorELNS0_4arch9wavefront6targetE1EEEvT1_
	.p2align	8
	.type	_ZN7rocprim17ROCPRIM_400000_NS6detail17trampoline_kernelINS0_14default_configENS1_25partition_config_selectorILNS1_17partition_subalgoE0EjNS0_10empty_typeEbEEZZNS1_14partition_implILS5_0ELb0ES3_jN6thrust23THRUST_200600_302600_NS6detail15normal_iteratorINSA_10device_ptrIjEEEEPS6_SG_NS0_5tupleIJSF_NSA_16discard_iteratorINSA_11use_defaultEEEEEENSH_IJSG_SG_EEES6_PlJ7is_evenIjEEEE10hipError_tPvRmT3_T4_T5_T6_T7_T9_mT8_P12ihipStream_tbDpT10_ENKUlT_T0_E_clISt17integral_constantIbLb1EES18_IbLb0EEEEDaS14_S15_EUlS14_E_NS1_11comp_targetILNS1_3genE9ELNS1_11target_archE1100ELNS1_3gpuE3ELNS1_3repE0EEENS1_30default_config_static_selectorELNS0_4arch9wavefront6targetE1EEEvT1_,@function
_ZN7rocprim17ROCPRIM_400000_NS6detail17trampoline_kernelINS0_14default_configENS1_25partition_config_selectorILNS1_17partition_subalgoE0EjNS0_10empty_typeEbEEZZNS1_14partition_implILS5_0ELb0ES3_jN6thrust23THRUST_200600_302600_NS6detail15normal_iteratorINSA_10device_ptrIjEEEEPS6_SG_NS0_5tupleIJSF_NSA_16discard_iteratorINSA_11use_defaultEEEEEENSH_IJSG_SG_EEES6_PlJ7is_evenIjEEEE10hipError_tPvRmT3_T4_T5_T6_T7_T9_mT8_P12ihipStream_tbDpT10_ENKUlT_T0_E_clISt17integral_constantIbLb1EES18_IbLb0EEEEDaS14_S15_EUlS14_E_NS1_11comp_targetILNS1_3genE9ELNS1_11target_archE1100ELNS1_3gpuE3ELNS1_3repE0EEENS1_30default_config_static_selectorELNS0_4arch9wavefront6targetE1EEEvT1_: ; @_ZN7rocprim17ROCPRIM_400000_NS6detail17trampoline_kernelINS0_14default_configENS1_25partition_config_selectorILNS1_17partition_subalgoE0EjNS0_10empty_typeEbEEZZNS1_14partition_implILS5_0ELb0ES3_jN6thrust23THRUST_200600_302600_NS6detail15normal_iteratorINSA_10device_ptrIjEEEEPS6_SG_NS0_5tupleIJSF_NSA_16discard_iteratorINSA_11use_defaultEEEEEENSH_IJSG_SG_EEES6_PlJ7is_evenIjEEEE10hipError_tPvRmT3_T4_T5_T6_T7_T9_mT8_P12ihipStream_tbDpT10_ENKUlT_T0_E_clISt17integral_constantIbLb1EES18_IbLb0EEEEDaS14_S15_EUlS14_E_NS1_11comp_targetILNS1_3genE9ELNS1_11target_archE1100ELNS1_3gpuE3ELNS1_3repE0EEENS1_30default_config_static_selectorELNS0_4arch9wavefront6targetE1EEEvT1_
; %bb.0:
	.section	.rodata,"a",@progbits
	.p2align	6, 0x0
	.amdhsa_kernel _ZN7rocprim17ROCPRIM_400000_NS6detail17trampoline_kernelINS0_14default_configENS1_25partition_config_selectorILNS1_17partition_subalgoE0EjNS0_10empty_typeEbEEZZNS1_14partition_implILS5_0ELb0ES3_jN6thrust23THRUST_200600_302600_NS6detail15normal_iteratorINSA_10device_ptrIjEEEEPS6_SG_NS0_5tupleIJSF_NSA_16discard_iteratorINSA_11use_defaultEEEEEENSH_IJSG_SG_EEES6_PlJ7is_evenIjEEEE10hipError_tPvRmT3_T4_T5_T6_T7_T9_mT8_P12ihipStream_tbDpT10_ENKUlT_T0_E_clISt17integral_constantIbLb1EES18_IbLb0EEEEDaS14_S15_EUlS14_E_NS1_11comp_targetILNS1_3genE9ELNS1_11target_archE1100ELNS1_3gpuE3ELNS1_3repE0EEENS1_30default_config_static_selectorELNS0_4arch9wavefront6targetE1EEEvT1_
		.amdhsa_group_segment_fixed_size 0
		.amdhsa_private_segment_fixed_size 0
		.amdhsa_kernarg_size 128
		.amdhsa_user_sgpr_count 2
		.amdhsa_user_sgpr_dispatch_ptr 0
		.amdhsa_user_sgpr_queue_ptr 0
		.amdhsa_user_sgpr_kernarg_segment_ptr 1
		.amdhsa_user_sgpr_dispatch_id 0
		.amdhsa_user_sgpr_kernarg_preload_length 0
		.amdhsa_user_sgpr_kernarg_preload_offset 0
		.amdhsa_user_sgpr_private_segment_size 0
		.amdhsa_uses_dynamic_stack 0
		.amdhsa_enable_private_segment 0
		.amdhsa_system_sgpr_workgroup_id_x 1
		.amdhsa_system_sgpr_workgroup_id_y 0
		.amdhsa_system_sgpr_workgroup_id_z 0
		.amdhsa_system_sgpr_workgroup_info 0
		.amdhsa_system_vgpr_workitem_id 0
		.amdhsa_next_free_vgpr 1
		.amdhsa_next_free_sgpr 0
		.amdhsa_accum_offset 4
		.amdhsa_reserve_vcc 0
		.amdhsa_float_round_mode_32 0
		.amdhsa_float_round_mode_16_64 0
		.amdhsa_float_denorm_mode_32 3
		.amdhsa_float_denorm_mode_16_64 3
		.amdhsa_dx10_clamp 1
		.amdhsa_ieee_mode 1
		.amdhsa_fp16_overflow 0
		.amdhsa_tg_split 0
		.amdhsa_exception_fp_ieee_invalid_op 0
		.amdhsa_exception_fp_denorm_src 0
		.amdhsa_exception_fp_ieee_div_zero 0
		.amdhsa_exception_fp_ieee_overflow 0
		.amdhsa_exception_fp_ieee_underflow 0
		.amdhsa_exception_fp_ieee_inexact 0
		.amdhsa_exception_int_div_zero 0
	.end_amdhsa_kernel
	.section	.text._ZN7rocprim17ROCPRIM_400000_NS6detail17trampoline_kernelINS0_14default_configENS1_25partition_config_selectorILNS1_17partition_subalgoE0EjNS0_10empty_typeEbEEZZNS1_14partition_implILS5_0ELb0ES3_jN6thrust23THRUST_200600_302600_NS6detail15normal_iteratorINSA_10device_ptrIjEEEEPS6_SG_NS0_5tupleIJSF_NSA_16discard_iteratorINSA_11use_defaultEEEEEENSH_IJSG_SG_EEES6_PlJ7is_evenIjEEEE10hipError_tPvRmT3_T4_T5_T6_T7_T9_mT8_P12ihipStream_tbDpT10_ENKUlT_T0_E_clISt17integral_constantIbLb1EES18_IbLb0EEEEDaS14_S15_EUlS14_E_NS1_11comp_targetILNS1_3genE9ELNS1_11target_archE1100ELNS1_3gpuE3ELNS1_3repE0EEENS1_30default_config_static_selectorELNS0_4arch9wavefront6targetE1EEEvT1_,"axG",@progbits,_ZN7rocprim17ROCPRIM_400000_NS6detail17trampoline_kernelINS0_14default_configENS1_25partition_config_selectorILNS1_17partition_subalgoE0EjNS0_10empty_typeEbEEZZNS1_14partition_implILS5_0ELb0ES3_jN6thrust23THRUST_200600_302600_NS6detail15normal_iteratorINSA_10device_ptrIjEEEEPS6_SG_NS0_5tupleIJSF_NSA_16discard_iteratorINSA_11use_defaultEEEEEENSH_IJSG_SG_EEES6_PlJ7is_evenIjEEEE10hipError_tPvRmT3_T4_T5_T6_T7_T9_mT8_P12ihipStream_tbDpT10_ENKUlT_T0_E_clISt17integral_constantIbLb1EES18_IbLb0EEEEDaS14_S15_EUlS14_E_NS1_11comp_targetILNS1_3genE9ELNS1_11target_archE1100ELNS1_3gpuE3ELNS1_3repE0EEENS1_30default_config_static_selectorELNS0_4arch9wavefront6targetE1EEEvT1_,comdat
.Lfunc_end2449:
	.size	_ZN7rocprim17ROCPRIM_400000_NS6detail17trampoline_kernelINS0_14default_configENS1_25partition_config_selectorILNS1_17partition_subalgoE0EjNS0_10empty_typeEbEEZZNS1_14partition_implILS5_0ELb0ES3_jN6thrust23THRUST_200600_302600_NS6detail15normal_iteratorINSA_10device_ptrIjEEEEPS6_SG_NS0_5tupleIJSF_NSA_16discard_iteratorINSA_11use_defaultEEEEEENSH_IJSG_SG_EEES6_PlJ7is_evenIjEEEE10hipError_tPvRmT3_T4_T5_T6_T7_T9_mT8_P12ihipStream_tbDpT10_ENKUlT_T0_E_clISt17integral_constantIbLb1EES18_IbLb0EEEEDaS14_S15_EUlS14_E_NS1_11comp_targetILNS1_3genE9ELNS1_11target_archE1100ELNS1_3gpuE3ELNS1_3repE0EEENS1_30default_config_static_selectorELNS0_4arch9wavefront6targetE1EEEvT1_, .Lfunc_end2449-_ZN7rocprim17ROCPRIM_400000_NS6detail17trampoline_kernelINS0_14default_configENS1_25partition_config_selectorILNS1_17partition_subalgoE0EjNS0_10empty_typeEbEEZZNS1_14partition_implILS5_0ELb0ES3_jN6thrust23THRUST_200600_302600_NS6detail15normal_iteratorINSA_10device_ptrIjEEEEPS6_SG_NS0_5tupleIJSF_NSA_16discard_iteratorINSA_11use_defaultEEEEEENSH_IJSG_SG_EEES6_PlJ7is_evenIjEEEE10hipError_tPvRmT3_T4_T5_T6_T7_T9_mT8_P12ihipStream_tbDpT10_ENKUlT_T0_E_clISt17integral_constantIbLb1EES18_IbLb0EEEEDaS14_S15_EUlS14_E_NS1_11comp_targetILNS1_3genE9ELNS1_11target_archE1100ELNS1_3gpuE3ELNS1_3repE0EEENS1_30default_config_static_selectorELNS0_4arch9wavefront6targetE1EEEvT1_
                                        ; -- End function
	.section	.AMDGPU.csdata,"",@progbits
; Kernel info:
; codeLenInByte = 0
; NumSgprs: 6
; NumVgprs: 0
; NumAgprs: 0
; TotalNumVgprs: 0
; ScratchSize: 0
; MemoryBound: 0
; FloatMode: 240
; IeeeMode: 1
; LDSByteSize: 0 bytes/workgroup (compile time only)
; SGPRBlocks: 0
; VGPRBlocks: 0
; NumSGPRsForWavesPerEU: 6
; NumVGPRsForWavesPerEU: 1
; AccumOffset: 4
; Occupancy: 8
; WaveLimiterHint : 0
; COMPUTE_PGM_RSRC2:SCRATCH_EN: 0
; COMPUTE_PGM_RSRC2:USER_SGPR: 2
; COMPUTE_PGM_RSRC2:TRAP_HANDLER: 0
; COMPUTE_PGM_RSRC2:TGID_X_EN: 1
; COMPUTE_PGM_RSRC2:TGID_Y_EN: 0
; COMPUTE_PGM_RSRC2:TGID_Z_EN: 0
; COMPUTE_PGM_RSRC2:TIDIG_COMP_CNT: 0
; COMPUTE_PGM_RSRC3_GFX90A:ACCUM_OFFSET: 0
; COMPUTE_PGM_RSRC3_GFX90A:TG_SPLIT: 0
	.section	.text._ZN7rocprim17ROCPRIM_400000_NS6detail17trampoline_kernelINS0_14default_configENS1_25partition_config_selectorILNS1_17partition_subalgoE0EjNS0_10empty_typeEbEEZZNS1_14partition_implILS5_0ELb0ES3_jN6thrust23THRUST_200600_302600_NS6detail15normal_iteratorINSA_10device_ptrIjEEEEPS6_SG_NS0_5tupleIJSF_NSA_16discard_iteratorINSA_11use_defaultEEEEEENSH_IJSG_SG_EEES6_PlJ7is_evenIjEEEE10hipError_tPvRmT3_T4_T5_T6_T7_T9_mT8_P12ihipStream_tbDpT10_ENKUlT_T0_E_clISt17integral_constantIbLb1EES18_IbLb0EEEEDaS14_S15_EUlS14_E_NS1_11comp_targetILNS1_3genE8ELNS1_11target_archE1030ELNS1_3gpuE2ELNS1_3repE0EEENS1_30default_config_static_selectorELNS0_4arch9wavefront6targetE1EEEvT1_,"axG",@progbits,_ZN7rocprim17ROCPRIM_400000_NS6detail17trampoline_kernelINS0_14default_configENS1_25partition_config_selectorILNS1_17partition_subalgoE0EjNS0_10empty_typeEbEEZZNS1_14partition_implILS5_0ELb0ES3_jN6thrust23THRUST_200600_302600_NS6detail15normal_iteratorINSA_10device_ptrIjEEEEPS6_SG_NS0_5tupleIJSF_NSA_16discard_iteratorINSA_11use_defaultEEEEEENSH_IJSG_SG_EEES6_PlJ7is_evenIjEEEE10hipError_tPvRmT3_T4_T5_T6_T7_T9_mT8_P12ihipStream_tbDpT10_ENKUlT_T0_E_clISt17integral_constantIbLb1EES18_IbLb0EEEEDaS14_S15_EUlS14_E_NS1_11comp_targetILNS1_3genE8ELNS1_11target_archE1030ELNS1_3gpuE2ELNS1_3repE0EEENS1_30default_config_static_selectorELNS0_4arch9wavefront6targetE1EEEvT1_,comdat
	.protected	_ZN7rocprim17ROCPRIM_400000_NS6detail17trampoline_kernelINS0_14default_configENS1_25partition_config_selectorILNS1_17partition_subalgoE0EjNS0_10empty_typeEbEEZZNS1_14partition_implILS5_0ELb0ES3_jN6thrust23THRUST_200600_302600_NS6detail15normal_iteratorINSA_10device_ptrIjEEEEPS6_SG_NS0_5tupleIJSF_NSA_16discard_iteratorINSA_11use_defaultEEEEEENSH_IJSG_SG_EEES6_PlJ7is_evenIjEEEE10hipError_tPvRmT3_T4_T5_T6_T7_T9_mT8_P12ihipStream_tbDpT10_ENKUlT_T0_E_clISt17integral_constantIbLb1EES18_IbLb0EEEEDaS14_S15_EUlS14_E_NS1_11comp_targetILNS1_3genE8ELNS1_11target_archE1030ELNS1_3gpuE2ELNS1_3repE0EEENS1_30default_config_static_selectorELNS0_4arch9wavefront6targetE1EEEvT1_ ; -- Begin function _ZN7rocprim17ROCPRIM_400000_NS6detail17trampoline_kernelINS0_14default_configENS1_25partition_config_selectorILNS1_17partition_subalgoE0EjNS0_10empty_typeEbEEZZNS1_14partition_implILS5_0ELb0ES3_jN6thrust23THRUST_200600_302600_NS6detail15normal_iteratorINSA_10device_ptrIjEEEEPS6_SG_NS0_5tupleIJSF_NSA_16discard_iteratorINSA_11use_defaultEEEEEENSH_IJSG_SG_EEES6_PlJ7is_evenIjEEEE10hipError_tPvRmT3_T4_T5_T6_T7_T9_mT8_P12ihipStream_tbDpT10_ENKUlT_T0_E_clISt17integral_constantIbLb1EES18_IbLb0EEEEDaS14_S15_EUlS14_E_NS1_11comp_targetILNS1_3genE8ELNS1_11target_archE1030ELNS1_3gpuE2ELNS1_3repE0EEENS1_30default_config_static_selectorELNS0_4arch9wavefront6targetE1EEEvT1_
	.globl	_ZN7rocprim17ROCPRIM_400000_NS6detail17trampoline_kernelINS0_14default_configENS1_25partition_config_selectorILNS1_17partition_subalgoE0EjNS0_10empty_typeEbEEZZNS1_14partition_implILS5_0ELb0ES3_jN6thrust23THRUST_200600_302600_NS6detail15normal_iteratorINSA_10device_ptrIjEEEEPS6_SG_NS0_5tupleIJSF_NSA_16discard_iteratorINSA_11use_defaultEEEEEENSH_IJSG_SG_EEES6_PlJ7is_evenIjEEEE10hipError_tPvRmT3_T4_T5_T6_T7_T9_mT8_P12ihipStream_tbDpT10_ENKUlT_T0_E_clISt17integral_constantIbLb1EES18_IbLb0EEEEDaS14_S15_EUlS14_E_NS1_11comp_targetILNS1_3genE8ELNS1_11target_archE1030ELNS1_3gpuE2ELNS1_3repE0EEENS1_30default_config_static_selectorELNS0_4arch9wavefront6targetE1EEEvT1_
	.p2align	8
	.type	_ZN7rocprim17ROCPRIM_400000_NS6detail17trampoline_kernelINS0_14default_configENS1_25partition_config_selectorILNS1_17partition_subalgoE0EjNS0_10empty_typeEbEEZZNS1_14partition_implILS5_0ELb0ES3_jN6thrust23THRUST_200600_302600_NS6detail15normal_iteratorINSA_10device_ptrIjEEEEPS6_SG_NS0_5tupleIJSF_NSA_16discard_iteratorINSA_11use_defaultEEEEEENSH_IJSG_SG_EEES6_PlJ7is_evenIjEEEE10hipError_tPvRmT3_T4_T5_T6_T7_T9_mT8_P12ihipStream_tbDpT10_ENKUlT_T0_E_clISt17integral_constantIbLb1EES18_IbLb0EEEEDaS14_S15_EUlS14_E_NS1_11comp_targetILNS1_3genE8ELNS1_11target_archE1030ELNS1_3gpuE2ELNS1_3repE0EEENS1_30default_config_static_selectorELNS0_4arch9wavefront6targetE1EEEvT1_,@function
_ZN7rocprim17ROCPRIM_400000_NS6detail17trampoline_kernelINS0_14default_configENS1_25partition_config_selectorILNS1_17partition_subalgoE0EjNS0_10empty_typeEbEEZZNS1_14partition_implILS5_0ELb0ES3_jN6thrust23THRUST_200600_302600_NS6detail15normal_iteratorINSA_10device_ptrIjEEEEPS6_SG_NS0_5tupleIJSF_NSA_16discard_iteratorINSA_11use_defaultEEEEEENSH_IJSG_SG_EEES6_PlJ7is_evenIjEEEE10hipError_tPvRmT3_T4_T5_T6_T7_T9_mT8_P12ihipStream_tbDpT10_ENKUlT_T0_E_clISt17integral_constantIbLb1EES18_IbLb0EEEEDaS14_S15_EUlS14_E_NS1_11comp_targetILNS1_3genE8ELNS1_11target_archE1030ELNS1_3gpuE2ELNS1_3repE0EEENS1_30default_config_static_selectorELNS0_4arch9wavefront6targetE1EEEvT1_: ; @_ZN7rocprim17ROCPRIM_400000_NS6detail17trampoline_kernelINS0_14default_configENS1_25partition_config_selectorILNS1_17partition_subalgoE0EjNS0_10empty_typeEbEEZZNS1_14partition_implILS5_0ELb0ES3_jN6thrust23THRUST_200600_302600_NS6detail15normal_iteratorINSA_10device_ptrIjEEEEPS6_SG_NS0_5tupleIJSF_NSA_16discard_iteratorINSA_11use_defaultEEEEEENSH_IJSG_SG_EEES6_PlJ7is_evenIjEEEE10hipError_tPvRmT3_T4_T5_T6_T7_T9_mT8_P12ihipStream_tbDpT10_ENKUlT_T0_E_clISt17integral_constantIbLb1EES18_IbLb0EEEEDaS14_S15_EUlS14_E_NS1_11comp_targetILNS1_3genE8ELNS1_11target_archE1030ELNS1_3gpuE2ELNS1_3repE0EEENS1_30default_config_static_selectorELNS0_4arch9wavefront6targetE1EEEvT1_
; %bb.0:
	.section	.rodata,"a",@progbits
	.p2align	6, 0x0
	.amdhsa_kernel _ZN7rocprim17ROCPRIM_400000_NS6detail17trampoline_kernelINS0_14default_configENS1_25partition_config_selectorILNS1_17partition_subalgoE0EjNS0_10empty_typeEbEEZZNS1_14partition_implILS5_0ELb0ES3_jN6thrust23THRUST_200600_302600_NS6detail15normal_iteratorINSA_10device_ptrIjEEEEPS6_SG_NS0_5tupleIJSF_NSA_16discard_iteratorINSA_11use_defaultEEEEEENSH_IJSG_SG_EEES6_PlJ7is_evenIjEEEE10hipError_tPvRmT3_T4_T5_T6_T7_T9_mT8_P12ihipStream_tbDpT10_ENKUlT_T0_E_clISt17integral_constantIbLb1EES18_IbLb0EEEEDaS14_S15_EUlS14_E_NS1_11comp_targetILNS1_3genE8ELNS1_11target_archE1030ELNS1_3gpuE2ELNS1_3repE0EEENS1_30default_config_static_selectorELNS0_4arch9wavefront6targetE1EEEvT1_
		.amdhsa_group_segment_fixed_size 0
		.amdhsa_private_segment_fixed_size 0
		.amdhsa_kernarg_size 128
		.amdhsa_user_sgpr_count 2
		.amdhsa_user_sgpr_dispatch_ptr 0
		.amdhsa_user_sgpr_queue_ptr 0
		.amdhsa_user_sgpr_kernarg_segment_ptr 1
		.amdhsa_user_sgpr_dispatch_id 0
		.amdhsa_user_sgpr_kernarg_preload_length 0
		.amdhsa_user_sgpr_kernarg_preload_offset 0
		.amdhsa_user_sgpr_private_segment_size 0
		.amdhsa_uses_dynamic_stack 0
		.amdhsa_enable_private_segment 0
		.amdhsa_system_sgpr_workgroup_id_x 1
		.amdhsa_system_sgpr_workgroup_id_y 0
		.amdhsa_system_sgpr_workgroup_id_z 0
		.amdhsa_system_sgpr_workgroup_info 0
		.amdhsa_system_vgpr_workitem_id 0
		.amdhsa_next_free_vgpr 1
		.amdhsa_next_free_sgpr 0
		.amdhsa_accum_offset 4
		.amdhsa_reserve_vcc 0
		.amdhsa_float_round_mode_32 0
		.amdhsa_float_round_mode_16_64 0
		.amdhsa_float_denorm_mode_32 3
		.amdhsa_float_denorm_mode_16_64 3
		.amdhsa_dx10_clamp 1
		.amdhsa_ieee_mode 1
		.amdhsa_fp16_overflow 0
		.amdhsa_tg_split 0
		.amdhsa_exception_fp_ieee_invalid_op 0
		.amdhsa_exception_fp_denorm_src 0
		.amdhsa_exception_fp_ieee_div_zero 0
		.amdhsa_exception_fp_ieee_overflow 0
		.amdhsa_exception_fp_ieee_underflow 0
		.amdhsa_exception_fp_ieee_inexact 0
		.amdhsa_exception_int_div_zero 0
	.end_amdhsa_kernel
	.section	.text._ZN7rocprim17ROCPRIM_400000_NS6detail17trampoline_kernelINS0_14default_configENS1_25partition_config_selectorILNS1_17partition_subalgoE0EjNS0_10empty_typeEbEEZZNS1_14partition_implILS5_0ELb0ES3_jN6thrust23THRUST_200600_302600_NS6detail15normal_iteratorINSA_10device_ptrIjEEEEPS6_SG_NS0_5tupleIJSF_NSA_16discard_iteratorINSA_11use_defaultEEEEEENSH_IJSG_SG_EEES6_PlJ7is_evenIjEEEE10hipError_tPvRmT3_T4_T5_T6_T7_T9_mT8_P12ihipStream_tbDpT10_ENKUlT_T0_E_clISt17integral_constantIbLb1EES18_IbLb0EEEEDaS14_S15_EUlS14_E_NS1_11comp_targetILNS1_3genE8ELNS1_11target_archE1030ELNS1_3gpuE2ELNS1_3repE0EEENS1_30default_config_static_selectorELNS0_4arch9wavefront6targetE1EEEvT1_,"axG",@progbits,_ZN7rocprim17ROCPRIM_400000_NS6detail17trampoline_kernelINS0_14default_configENS1_25partition_config_selectorILNS1_17partition_subalgoE0EjNS0_10empty_typeEbEEZZNS1_14partition_implILS5_0ELb0ES3_jN6thrust23THRUST_200600_302600_NS6detail15normal_iteratorINSA_10device_ptrIjEEEEPS6_SG_NS0_5tupleIJSF_NSA_16discard_iteratorINSA_11use_defaultEEEEEENSH_IJSG_SG_EEES6_PlJ7is_evenIjEEEE10hipError_tPvRmT3_T4_T5_T6_T7_T9_mT8_P12ihipStream_tbDpT10_ENKUlT_T0_E_clISt17integral_constantIbLb1EES18_IbLb0EEEEDaS14_S15_EUlS14_E_NS1_11comp_targetILNS1_3genE8ELNS1_11target_archE1030ELNS1_3gpuE2ELNS1_3repE0EEENS1_30default_config_static_selectorELNS0_4arch9wavefront6targetE1EEEvT1_,comdat
.Lfunc_end2450:
	.size	_ZN7rocprim17ROCPRIM_400000_NS6detail17trampoline_kernelINS0_14default_configENS1_25partition_config_selectorILNS1_17partition_subalgoE0EjNS0_10empty_typeEbEEZZNS1_14partition_implILS5_0ELb0ES3_jN6thrust23THRUST_200600_302600_NS6detail15normal_iteratorINSA_10device_ptrIjEEEEPS6_SG_NS0_5tupleIJSF_NSA_16discard_iteratorINSA_11use_defaultEEEEEENSH_IJSG_SG_EEES6_PlJ7is_evenIjEEEE10hipError_tPvRmT3_T4_T5_T6_T7_T9_mT8_P12ihipStream_tbDpT10_ENKUlT_T0_E_clISt17integral_constantIbLb1EES18_IbLb0EEEEDaS14_S15_EUlS14_E_NS1_11comp_targetILNS1_3genE8ELNS1_11target_archE1030ELNS1_3gpuE2ELNS1_3repE0EEENS1_30default_config_static_selectorELNS0_4arch9wavefront6targetE1EEEvT1_, .Lfunc_end2450-_ZN7rocprim17ROCPRIM_400000_NS6detail17trampoline_kernelINS0_14default_configENS1_25partition_config_selectorILNS1_17partition_subalgoE0EjNS0_10empty_typeEbEEZZNS1_14partition_implILS5_0ELb0ES3_jN6thrust23THRUST_200600_302600_NS6detail15normal_iteratorINSA_10device_ptrIjEEEEPS6_SG_NS0_5tupleIJSF_NSA_16discard_iteratorINSA_11use_defaultEEEEEENSH_IJSG_SG_EEES6_PlJ7is_evenIjEEEE10hipError_tPvRmT3_T4_T5_T6_T7_T9_mT8_P12ihipStream_tbDpT10_ENKUlT_T0_E_clISt17integral_constantIbLb1EES18_IbLb0EEEEDaS14_S15_EUlS14_E_NS1_11comp_targetILNS1_3genE8ELNS1_11target_archE1030ELNS1_3gpuE2ELNS1_3repE0EEENS1_30default_config_static_selectorELNS0_4arch9wavefront6targetE1EEEvT1_
                                        ; -- End function
	.section	.AMDGPU.csdata,"",@progbits
; Kernel info:
; codeLenInByte = 0
; NumSgprs: 6
; NumVgprs: 0
; NumAgprs: 0
; TotalNumVgprs: 0
; ScratchSize: 0
; MemoryBound: 0
; FloatMode: 240
; IeeeMode: 1
; LDSByteSize: 0 bytes/workgroup (compile time only)
; SGPRBlocks: 0
; VGPRBlocks: 0
; NumSGPRsForWavesPerEU: 6
; NumVGPRsForWavesPerEU: 1
; AccumOffset: 4
; Occupancy: 8
; WaveLimiterHint : 0
; COMPUTE_PGM_RSRC2:SCRATCH_EN: 0
; COMPUTE_PGM_RSRC2:USER_SGPR: 2
; COMPUTE_PGM_RSRC2:TRAP_HANDLER: 0
; COMPUTE_PGM_RSRC2:TGID_X_EN: 1
; COMPUTE_PGM_RSRC2:TGID_Y_EN: 0
; COMPUTE_PGM_RSRC2:TGID_Z_EN: 0
; COMPUTE_PGM_RSRC2:TIDIG_COMP_CNT: 0
; COMPUTE_PGM_RSRC3_GFX90A:ACCUM_OFFSET: 0
; COMPUTE_PGM_RSRC3_GFX90A:TG_SPLIT: 0
	.section	.text._ZN7rocprim17ROCPRIM_400000_NS6detail17trampoline_kernelINS0_14default_configENS1_25partition_config_selectorILNS1_17partition_subalgoE0EjNS0_10empty_typeEbEEZZNS1_14partition_implILS5_0ELb0ES3_jN6thrust23THRUST_200600_302600_NS6detail15normal_iteratorINSA_10device_ptrIjEEEEPS6_SG_NS0_5tupleIJSF_NSA_16discard_iteratorINSA_11use_defaultEEEEEENSH_IJSG_SG_EEES6_PlJ7is_evenIjEEEE10hipError_tPvRmT3_T4_T5_T6_T7_T9_mT8_P12ihipStream_tbDpT10_ENKUlT_T0_E_clISt17integral_constantIbLb0EES18_IbLb1EEEEDaS14_S15_EUlS14_E_NS1_11comp_targetILNS1_3genE0ELNS1_11target_archE4294967295ELNS1_3gpuE0ELNS1_3repE0EEENS1_30default_config_static_selectorELNS0_4arch9wavefront6targetE1EEEvT1_,"axG",@progbits,_ZN7rocprim17ROCPRIM_400000_NS6detail17trampoline_kernelINS0_14default_configENS1_25partition_config_selectorILNS1_17partition_subalgoE0EjNS0_10empty_typeEbEEZZNS1_14partition_implILS5_0ELb0ES3_jN6thrust23THRUST_200600_302600_NS6detail15normal_iteratorINSA_10device_ptrIjEEEEPS6_SG_NS0_5tupleIJSF_NSA_16discard_iteratorINSA_11use_defaultEEEEEENSH_IJSG_SG_EEES6_PlJ7is_evenIjEEEE10hipError_tPvRmT3_T4_T5_T6_T7_T9_mT8_P12ihipStream_tbDpT10_ENKUlT_T0_E_clISt17integral_constantIbLb0EES18_IbLb1EEEEDaS14_S15_EUlS14_E_NS1_11comp_targetILNS1_3genE0ELNS1_11target_archE4294967295ELNS1_3gpuE0ELNS1_3repE0EEENS1_30default_config_static_selectorELNS0_4arch9wavefront6targetE1EEEvT1_,comdat
	.protected	_ZN7rocprim17ROCPRIM_400000_NS6detail17trampoline_kernelINS0_14default_configENS1_25partition_config_selectorILNS1_17partition_subalgoE0EjNS0_10empty_typeEbEEZZNS1_14partition_implILS5_0ELb0ES3_jN6thrust23THRUST_200600_302600_NS6detail15normal_iteratorINSA_10device_ptrIjEEEEPS6_SG_NS0_5tupleIJSF_NSA_16discard_iteratorINSA_11use_defaultEEEEEENSH_IJSG_SG_EEES6_PlJ7is_evenIjEEEE10hipError_tPvRmT3_T4_T5_T6_T7_T9_mT8_P12ihipStream_tbDpT10_ENKUlT_T0_E_clISt17integral_constantIbLb0EES18_IbLb1EEEEDaS14_S15_EUlS14_E_NS1_11comp_targetILNS1_3genE0ELNS1_11target_archE4294967295ELNS1_3gpuE0ELNS1_3repE0EEENS1_30default_config_static_selectorELNS0_4arch9wavefront6targetE1EEEvT1_ ; -- Begin function _ZN7rocprim17ROCPRIM_400000_NS6detail17trampoline_kernelINS0_14default_configENS1_25partition_config_selectorILNS1_17partition_subalgoE0EjNS0_10empty_typeEbEEZZNS1_14partition_implILS5_0ELb0ES3_jN6thrust23THRUST_200600_302600_NS6detail15normal_iteratorINSA_10device_ptrIjEEEEPS6_SG_NS0_5tupleIJSF_NSA_16discard_iteratorINSA_11use_defaultEEEEEENSH_IJSG_SG_EEES6_PlJ7is_evenIjEEEE10hipError_tPvRmT3_T4_T5_T6_T7_T9_mT8_P12ihipStream_tbDpT10_ENKUlT_T0_E_clISt17integral_constantIbLb0EES18_IbLb1EEEEDaS14_S15_EUlS14_E_NS1_11comp_targetILNS1_3genE0ELNS1_11target_archE4294967295ELNS1_3gpuE0ELNS1_3repE0EEENS1_30default_config_static_selectorELNS0_4arch9wavefront6targetE1EEEvT1_
	.globl	_ZN7rocprim17ROCPRIM_400000_NS6detail17trampoline_kernelINS0_14default_configENS1_25partition_config_selectorILNS1_17partition_subalgoE0EjNS0_10empty_typeEbEEZZNS1_14partition_implILS5_0ELb0ES3_jN6thrust23THRUST_200600_302600_NS6detail15normal_iteratorINSA_10device_ptrIjEEEEPS6_SG_NS0_5tupleIJSF_NSA_16discard_iteratorINSA_11use_defaultEEEEEENSH_IJSG_SG_EEES6_PlJ7is_evenIjEEEE10hipError_tPvRmT3_T4_T5_T6_T7_T9_mT8_P12ihipStream_tbDpT10_ENKUlT_T0_E_clISt17integral_constantIbLb0EES18_IbLb1EEEEDaS14_S15_EUlS14_E_NS1_11comp_targetILNS1_3genE0ELNS1_11target_archE4294967295ELNS1_3gpuE0ELNS1_3repE0EEENS1_30default_config_static_selectorELNS0_4arch9wavefront6targetE1EEEvT1_
	.p2align	8
	.type	_ZN7rocprim17ROCPRIM_400000_NS6detail17trampoline_kernelINS0_14default_configENS1_25partition_config_selectorILNS1_17partition_subalgoE0EjNS0_10empty_typeEbEEZZNS1_14partition_implILS5_0ELb0ES3_jN6thrust23THRUST_200600_302600_NS6detail15normal_iteratorINSA_10device_ptrIjEEEEPS6_SG_NS0_5tupleIJSF_NSA_16discard_iteratorINSA_11use_defaultEEEEEENSH_IJSG_SG_EEES6_PlJ7is_evenIjEEEE10hipError_tPvRmT3_T4_T5_T6_T7_T9_mT8_P12ihipStream_tbDpT10_ENKUlT_T0_E_clISt17integral_constantIbLb0EES18_IbLb1EEEEDaS14_S15_EUlS14_E_NS1_11comp_targetILNS1_3genE0ELNS1_11target_archE4294967295ELNS1_3gpuE0ELNS1_3repE0EEENS1_30default_config_static_selectorELNS0_4arch9wavefront6targetE1EEEvT1_,@function
_ZN7rocprim17ROCPRIM_400000_NS6detail17trampoline_kernelINS0_14default_configENS1_25partition_config_selectorILNS1_17partition_subalgoE0EjNS0_10empty_typeEbEEZZNS1_14partition_implILS5_0ELb0ES3_jN6thrust23THRUST_200600_302600_NS6detail15normal_iteratorINSA_10device_ptrIjEEEEPS6_SG_NS0_5tupleIJSF_NSA_16discard_iteratorINSA_11use_defaultEEEEEENSH_IJSG_SG_EEES6_PlJ7is_evenIjEEEE10hipError_tPvRmT3_T4_T5_T6_T7_T9_mT8_P12ihipStream_tbDpT10_ENKUlT_T0_E_clISt17integral_constantIbLb0EES18_IbLb1EEEEDaS14_S15_EUlS14_E_NS1_11comp_targetILNS1_3genE0ELNS1_11target_archE4294967295ELNS1_3gpuE0ELNS1_3repE0EEENS1_30default_config_static_selectorELNS0_4arch9wavefront6targetE1EEEvT1_: ; @_ZN7rocprim17ROCPRIM_400000_NS6detail17trampoline_kernelINS0_14default_configENS1_25partition_config_selectorILNS1_17partition_subalgoE0EjNS0_10empty_typeEbEEZZNS1_14partition_implILS5_0ELb0ES3_jN6thrust23THRUST_200600_302600_NS6detail15normal_iteratorINSA_10device_ptrIjEEEEPS6_SG_NS0_5tupleIJSF_NSA_16discard_iteratorINSA_11use_defaultEEEEEENSH_IJSG_SG_EEES6_PlJ7is_evenIjEEEE10hipError_tPvRmT3_T4_T5_T6_T7_T9_mT8_P12ihipStream_tbDpT10_ENKUlT_T0_E_clISt17integral_constantIbLb0EES18_IbLb1EEEEDaS14_S15_EUlS14_E_NS1_11comp_targetILNS1_3genE0ELNS1_11target_archE4294967295ELNS1_3gpuE0ELNS1_3repE0EEENS1_30default_config_static_selectorELNS0_4arch9wavefront6targetE1EEEvT1_
; %bb.0:
	.section	.rodata,"a",@progbits
	.p2align	6, 0x0
	.amdhsa_kernel _ZN7rocprim17ROCPRIM_400000_NS6detail17trampoline_kernelINS0_14default_configENS1_25partition_config_selectorILNS1_17partition_subalgoE0EjNS0_10empty_typeEbEEZZNS1_14partition_implILS5_0ELb0ES3_jN6thrust23THRUST_200600_302600_NS6detail15normal_iteratorINSA_10device_ptrIjEEEEPS6_SG_NS0_5tupleIJSF_NSA_16discard_iteratorINSA_11use_defaultEEEEEENSH_IJSG_SG_EEES6_PlJ7is_evenIjEEEE10hipError_tPvRmT3_T4_T5_T6_T7_T9_mT8_P12ihipStream_tbDpT10_ENKUlT_T0_E_clISt17integral_constantIbLb0EES18_IbLb1EEEEDaS14_S15_EUlS14_E_NS1_11comp_targetILNS1_3genE0ELNS1_11target_archE4294967295ELNS1_3gpuE0ELNS1_3repE0EEENS1_30default_config_static_selectorELNS0_4arch9wavefront6targetE1EEEvT1_
		.amdhsa_group_segment_fixed_size 0
		.amdhsa_private_segment_fixed_size 0
		.amdhsa_kernarg_size 144
		.amdhsa_user_sgpr_count 2
		.amdhsa_user_sgpr_dispatch_ptr 0
		.amdhsa_user_sgpr_queue_ptr 0
		.amdhsa_user_sgpr_kernarg_segment_ptr 1
		.amdhsa_user_sgpr_dispatch_id 0
		.amdhsa_user_sgpr_kernarg_preload_length 0
		.amdhsa_user_sgpr_kernarg_preload_offset 0
		.amdhsa_user_sgpr_private_segment_size 0
		.amdhsa_uses_dynamic_stack 0
		.amdhsa_enable_private_segment 0
		.amdhsa_system_sgpr_workgroup_id_x 1
		.amdhsa_system_sgpr_workgroup_id_y 0
		.amdhsa_system_sgpr_workgroup_id_z 0
		.amdhsa_system_sgpr_workgroup_info 0
		.amdhsa_system_vgpr_workitem_id 0
		.amdhsa_next_free_vgpr 1
		.amdhsa_next_free_sgpr 0
		.amdhsa_accum_offset 4
		.amdhsa_reserve_vcc 0
		.amdhsa_float_round_mode_32 0
		.amdhsa_float_round_mode_16_64 0
		.amdhsa_float_denorm_mode_32 3
		.amdhsa_float_denorm_mode_16_64 3
		.amdhsa_dx10_clamp 1
		.amdhsa_ieee_mode 1
		.amdhsa_fp16_overflow 0
		.amdhsa_tg_split 0
		.amdhsa_exception_fp_ieee_invalid_op 0
		.amdhsa_exception_fp_denorm_src 0
		.amdhsa_exception_fp_ieee_div_zero 0
		.amdhsa_exception_fp_ieee_overflow 0
		.amdhsa_exception_fp_ieee_underflow 0
		.amdhsa_exception_fp_ieee_inexact 0
		.amdhsa_exception_int_div_zero 0
	.end_amdhsa_kernel
	.section	.text._ZN7rocprim17ROCPRIM_400000_NS6detail17trampoline_kernelINS0_14default_configENS1_25partition_config_selectorILNS1_17partition_subalgoE0EjNS0_10empty_typeEbEEZZNS1_14partition_implILS5_0ELb0ES3_jN6thrust23THRUST_200600_302600_NS6detail15normal_iteratorINSA_10device_ptrIjEEEEPS6_SG_NS0_5tupleIJSF_NSA_16discard_iteratorINSA_11use_defaultEEEEEENSH_IJSG_SG_EEES6_PlJ7is_evenIjEEEE10hipError_tPvRmT3_T4_T5_T6_T7_T9_mT8_P12ihipStream_tbDpT10_ENKUlT_T0_E_clISt17integral_constantIbLb0EES18_IbLb1EEEEDaS14_S15_EUlS14_E_NS1_11comp_targetILNS1_3genE0ELNS1_11target_archE4294967295ELNS1_3gpuE0ELNS1_3repE0EEENS1_30default_config_static_selectorELNS0_4arch9wavefront6targetE1EEEvT1_,"axG",@progbits,_ZN7rocprim17ROCPRIM_400000_NS6detail17trampoline_kernelINS0_14default_configENS1_25partition_config_selectorILNS1_17partition_subalgoE0EjNS0_10empty_typeEbEEZZNS1_14partition_implILS5_0ELb0ES3_jN6thrust23THRUST_200600_302600_NS6detail15normal_iteratorINSA_10device_ptrIjEEEEPS6_SG_NS0_5tupleIJSF_NSA_16discard_iteratorINSA_11use_defaultEEEEEENSH_IJSG_SG_EEES6_PlJ7is_evenIjEEEE10hipError_tPvRmT3_T4_T5_T6_T7_T9_mT8_P12ihipStream_tbDpT10_ENKUlT_T0_E_clISt17integral_constantIbLb0EES18_IbLb1EEEEDaS14_S15_EUlS14_E_NS1_11comp_targetILNS1_3genE0ELNS1_11target_archE4294967295ELNS1_3gpuE0ELNS1_3repE0EEENS1_30default_config_static_selectorELNS0_4arch9wavefront6targetE1EEEvT1_,comdat
.Lfunc_end2451:
	.size	_ZN7rocprim17ROCPRIM_400000_NS6detail17trampoline_kernelINS0_14default_configENS1_25partition_config_selectorILNS1_17partition_subalgoE0EjNS0_10empty_typeEbEEZZNS1_14partition_implILS5_0ELb0ES3_jN6thrust23THRUST_200600_302600_NS6detail15normal_iteratorINSA_10device_ptrIjEEEEPS6_SG_NS0_5tupleIJSF_NSA_16discard_iteratorINSA_11use_defaultEEEEEENSH_IJSG_SG_EEES6_PlJ7is_evenIjEEEE10hipError_tPvRmT3_T4_T5_T6_T7_T9_mT8_P12ihipStream_tbDpT10_ENKUlT_T0_E_clISt17integral_constantIbLb0EES18_IbLb1EEEEDaS14_S15_EUlS14_E_NS1_11comp_targetILNS1_3genE0ELNS1_11target_archE4294967295ELNS1_3gpuE0ELNS1_3repE0EEENS1_30default_config_static_selectorELNS0_4arch9wavefront6targetE1EEEvT1_, .Lfunc_end2451-_ZN7rocprim17ROCPRIM_400000_NS6detail17trampoline_kernelINS0_14default_configENS1_25partition_config_selectorILNS1_17partition_subalgoE0EjNS0_10empty_typeEbEEZZNS1_14partition_implILS5_0ELb0ES3_jN6thrust23THRUST_200600_302600_NS6detail15normal_iteratorINSA_10device_ptrIjEEEEPS6_SG_NS0_5tupleIJSF_NSA_16discard_iteratorINSA_11use_defaultEEEEEENSH_IJSG_SG_EEES6_PlJ7is_evenIjEEEE10hipError_tPvRmT3_T4_T5_T6_T7_T9_mT8_P12ihipStream_tbDpT10_ENKUlT_T0_E_clISt17integral_constantIbLb0EES18_IbLb1EEEEDaS14_S15_EUlS14_E_NS1_11comp_targetILNS1_3genE0ELNS1_11target_archE4294967295ELNS1_3gpuE0ELNS1_3repE0EEENS1_30default_config_static_selectorELNS0_4arch9wavefront6targetE1EEEvT1_
                                        ; -- End function
	.section	.AMDGPU.csdata,"",@progbits
; Kernel info:
; codeLenInByte = 0
; NumSgprs: 6
; NumVgprs: 0
; NumAgprs: 0
; TotalNumVgprs: 0
; ScratchSize: 0
; MemoryBound: 0
; FloatMode: 240
; IeeeMode: 1
; LDSByteSize: 0 bytes/workgroup (compile time only)
; SGPRBlocks: 0
; VGPRBlocks: 0
; NumSGPRsForWavesPerEU: 6
; NumVGPRsForWavesPerEU: 1
; AccumOffset: 4
; Occupancy: 8
; WaveLimiterHint : 0
; COMPUTE_PGM_RSRC2:SCRATCH_EN: 0
; COMPUTE_PGM_RSRC2:USER_SGPR: 2
; COMPUTE_PGM_RSRC2:TRAP_HANDLER: 0
; COMPUTE_PGM_RSRC2:TGID_X_EN: 1
; COMPUTE_PGM_RSRC2:TGID_Y_EN: 0
; COMPUTE_PGM_RSRC2:TGID_Z_EN: 0
; COMPUTE_PGM_RSRC2:TIDIG_COMP_CNT: 0
; COMPUTE_PGM_RSRC3_GFX90A:ACCUM_OFFSET: 0
; COMPUTE_PGM_RSRC3_GFX90A:TG_SPLIT: 0
	.section	.text._ZN7rocprim17ROCPRIM_400000_NS6detail17trampoline_kernelINS0_14default_configENS1_25partition_config_selectorILNS1_17partition_subalgoE0EjNS0_10empty_typeEbEEZZNS1_14partition_implILS5_0ELb0ES3_jN6thrust23THRUST_200600_302600_NS6detail15normal_iteratorINSA_10device_ptrIjEEEEPS6_SG_NS0_5tupleIJSF_NSA_16discard_iteratorINSA_11use_defaultEEEEEENSH_IJSG_SG_EEES6_PlJ7is_evenIjEEEE10hipError_tPvRmT3_T4_T5_T6_T7_T9_mT8_P12ihipStream_tbDpT10_ENKUlT_T0_E_clISt17integral_constantIbLb0EES18_IbLb1EEEEDaS14_S15_EUlS14_E_NS1_11comp_targetILNS1_3genE5ELNS1_11target_archE942ELNS1_3gpuE9ELNS1_3repE0EEENS1_30default_config_static_selectorELNS0_4arch9wavefront6targetE1EEEvT1_,"axG",@progbits,_ZN7rocprim17ROCPRIM_400000_NS6detail17trampoline_kernelINS0_14default_configENS1_25partition_config_selectorILNS1_17partition_subalgoE0EjNS0_10empty_typeEbEEZZNS1_14partition_implILS5_0ELb0ES3_jN6thrust23THRUST_200600_302600_NS6detail15normal_iteratorINSA_10device_ptrIjEEEEPS6_SG_NS0_5tupleIJSF_NSA_16discard_iteratorINSA_11use_defaultEEEEEENSH_IJSG_SG_EEES6_PlJ7is_evenIjEEEE10hipError_tPvRmT3_T4_T5_T6_T7_T9_mT8_P12ihipStream_tbDpT10_ENKUlT_T0_E_clISt17integral_constantIbLb0EES18_IbLb1EEEEDaS14_S15_EUlS14_E_NS1_11comp_targetILNS1_3genE5ELNS1_11target_archE942ELNS1_3gpuE9ELNS1_3repE0EEENS1_30default_config_static_selectorELNS0_4arch9wavefront6targetE1EEEvT1_,comdat
	.protected	_ZN7rocprim17ROCPRIM_400000_NS6detail17trampoline_kernelINS0_14default_configENS1_25partition_config_selectorILNS1_17partition_subalgoE0EjNS0_10empty_typeEbEEZZNS1_14partition_implILS5_0ELb0ES3_jN6thrust23THRUST_200600_302600_NS6detail15normal_iteratorINSA_10device_ptrIjEEEEPS6_SG_NS0_5tupleIJSF_NSA_16discard_iteratorINSA_11use_defaultEEEEEENSH_IJSG_SG_EEES6_PlJ7is_evenIjEEEE10hipError_tPvRmT3_T4_T5_T6_T7_T9_mT8_P12ihipStream_tbDpT10_ENKUlT_T0_E_clISt17integral_constantIbLb0EES18_IbLb1EEEEDaS14_S15_EUlS14_E_NS1_11comp_targetILNS1_3genE5ELNS1_11target_archE942ELNS1_3gpuE9ELNS1_3repE0EEENS1_30default_config_static_selectorELNS0_4arch9wavefront6targetE1EEEvT1_ ; -- Begin function _ZN7rocprim17ROCPRIM_400000_NS6detail17trampoline_kernelINS0_14default_configENS1_25partition_config_selectorILNS1_17partition_subalgoE0EjNS0_10empty_typeEbEEZZNS1_14partition_implILS5_0ELb0ES3_jN6thrust23THRUST_200600_302600_NS6detail15normal_iteratorINSA_10device_ptrIjEEEEPS6_SG_NS0_5tupleIJSF_NSA_16discard_iteratorINSA_11use_defaultEEEEEENSH_IJSG_SG_EEES6_PlJ7is_evenIjEEEE10hipError_tPvRmT3_T4_T5_T6_T7_T9_mT8_P12ihipStream_tbDpT10_ENKUlT_T0_E_clISt17integral_constantIbLb0EES18_IbLb1EEEEDaS14_S15_EUlS14_E_NS1_11comp_targetILNS1_3genE5ELNS1_11target_archE942ELNS1_3gpuE9ELNS1_3repE0EEENS1_30default_config_static_selectorELNS0_4arch9wavefront6targetE1EEEvT1_
	.globl	_ZN7rocprim17ROCPRIM_400000_NS6detail17trampoline_kernelINS0_14default_configENS1_25partition_config_selectorILNS1_17partition_subalgoE0EjNS0_10empty_typeEbEEZZNS1_14partition_implILS5_0ELb0ES3_jN6thrust23THRUST_200600_302600_NS6detail15normal_iteratorINSA_10device_ptrIjEEEEPS6_SG_NS0_5tupleIJSF_NSA_16discard_iteratorINSA_11use_defaultEEEEEENSH_IJSG_SG_EEES6_PlJ7is_evenIjEEEE10hipError_tPvRmT3_T4_T5_T6_T7_T9_mT8_P12ihipStream_tbDpT10_ENKUlT_T0_E_clISt17integral_constantIbLb0EES18_IbLb1EEEEDaS14_S15_EUlS14_E_NS1_11comp_targetILNS1_3genE5ELNS1_11target_archE942ELNS1_3gpuE9ELNS1_3repE0EEENS1_30default_config_static_selectorELNS0_4arch9wavefront6targetE1EEEvT1_
	.p2align	8
	.type	_ZN7rocprim17ROCPRIM_400000_NS6detail17trampoline_kernelINS0_14default_configENS1_25partition_config_selectorILNS1_17partition_subalgoE0EjNS0_10empty_typeEbEEZZNS1_14partition_implILS5_0ELb0ES3_jN6thrust23THRUST_200600_302600_NS6detail15normal_iteratorINSA_10device_ptrIjEEEEPS6_SG_NS0_5tupleIJSF_NSA_16discard_iteratorINSA_11use_defaultEEEEEENSH_IJSG_SG_EEES6_PlJ7is_evenIjEEEE10hipError_tPvRmT3_T4_T5_T6_T7_T9_mT8_P12ihipStream_tbDpT10_ENKUlT_T0_E_clISt17integral_constantIbLb0EES18_IbLb1EEEEDaS14_S15_EUlS14_E_NS1_11comp_targetILNS1_3genE5ELNS1_11target_archE942ELNS1_3gpuE9ELNS1_3repE0EEENS1_30default_config_static_selectorELNS0_4arch9wavefront6targetE1EEEvT1_,@function
_ZN7rocprim17ROCPRIM_400000_NS6detail17trampoline_kernelINS0_14default_configENS1_25partition_config_selectorILNS1_17partition_subalgoE0EjNS0_10empty_typeEbEEZZNS1_14partition_implILS5_0ELb0ES3_jN6thrust23THRUST_200600_302600_NS6detail15normal_iteratorINSA_10device_ptrIjEEEEPS6_SG_NS0_5tupleIJSF_NSA_16discard_iteratorINSA_11use_defaultEEEEEENSH_IJSG_SG_EEES6_PlJ7is_evenIjEEEE10hipError_tPvRmT3_T4_T5_T6_T7_T9_mT8_P12ihipStream_tbDpT10_ENKUlT_T0_E_clISt17integral_constantIbLb0EES18_IbLb1EEEEDaS14_S15_EUlS14_E_NS1_11comp_targetILNS1_3genE5ELNS1_11target_archE942ELNS1_3gpuE9ELNS1_3repE0EEENS1_30default_config_static_selectorELNS0_4arch9wavefront6targetE1EEEvT1_: ; @_ZN7rocprim17ROCPRIM_400000_NS6detail17trampoline_kernelINS0_14default_configENS1_25partition_config_selectorILNS1_17partition_subalgoE0EjNS0_10empty_typeEbEEZZNS1_14partition_implILS5_0ELb0ES3_jN6thrust23THRUST_200600_302600_NS6detail15normal_iteratorINSA_10device_ptrIjEEEEPS6_SG_NS0_5tupleIJSF_NSA_16discard_iteratorINSA_11use_defaultEEEEEENSH_IJSG_SG_EEES6_PlJ7is_evenIjEEEE10hipError_tPvRmT3_T4_T5_T6_T7_T9_mT8_P12ihipStream_tbDpT10_ENKUlT_T0_E_clISt17integral_constantIbLb0EES18_IbLb1EEEEDaS14_S15_EUlS14_E_NS1_11comp_targetILNS1_3genE5ELNS1_11target_archE942ELNS1_3gpuE9ELNS1_3repE0EEENS1_30default_config_static_selectorELNS0_4arch9wavefront6targetE1EEEvT1_
; %bb.0:
	s_load_dwordx2 s[2:3], s[0:1], 0x60
	s_load_dwordx4 s[24:27], s[0:1], 0x50
	s_load_dwordx2 s[30:31], s[0:1], 0x70
	v_cmp_eq_u32_e64 s[20:21], 0, v0
	s_and_saveexec_b64 s[4:5], s[20:21]
	s_cbranch_execz .LBB2452_4
; %bb.1:
	s_mov_b64 s[8:9], exec
	v_mbcnt_lo_u32_b32 v1, s8, 0
	v_mbcnt_hi_u32_b32 v1, s9, v1
	v_cmp_eq_u32_e32 vcc, 0, v1
                                        ; implicit-def: $vgpr2
	s_and_saveexec_b64 s[6:7], vcc
	s_cbranch_execz .LBB2452_3
; %bb.2:
	s_load_dwordx2 s[10:11], s[0:1], 0x80
	s_bcnt1_i32_b64 s8, s[8:9]
	v_mov_b32_e32 v2, 0
	v_mov_b32_e32 v3, s8
	s_waitcnt lgkmcnt(0)
	global_atomic_add v2, v2, v3, s[10:11] sc0
.LBB2452_3:
	s_or_b64 exec, exec, s[6:7]
	s_waitcnt vmcnt(0)
	v_readfirstlane_b32 s6, v2
	v_mov_b32_e32 v2, 0
	s_nop 0
	v_add_u32_e32 v1, s6, v1
	ds_write_b32 v2, v1
.LBB2452_4:
	s_or_b64 exec, exec, s[4:5]
	v_mov_b32_e32 v21, 0
	s_load_dwordx4 s[4:7], s[0:1], 0x8
	s_load_dwordx2 s[28:29], s[0:1], 0x28
	s_load_dword s8, s[0:1], 0x78
	s_waitcnt lgkmcnt(0)
	s_barrier
	ds_read_b32 v1, v21
	s_waitcnt lgkmcnt(0)
	s_barrier
	global_load_dwordx2 v[18:19], v21, s[26:27]
	s_lshl_b64 s[0:1], s[6:7], 2
	s_add_u32 s4, s4, s0
	s_movk_i32 s0, 0x1e00
	v_mul_lo_u32 v20, v1, s0
	s_mul_i32 s0, s8, 0x1e00
	s_addc_u32 s5, s5, s1
	s_add_i32 s1, s0, s6
	v_mov_b32_e32 v3, s3
	s_add_i32 s3, s8, -1
	s_sub_i32 s33, s2, s1
	s_add_u32 s0, s6, s0
	v_readfirstlane_b32 s36, v1
	s_addc_u32 s1, s7, 0
	s_cmp_eq_u32 s36, s3
	v_mov_b32_e32 v2, s2
	s_cselect_b64 s[22:23], -1, 0
	s_cmp_lg_u32 s36, s3
	v_cmp_lt_u64_e32 vcc, s[0:1], v[2:3]
	s_cselect_b64 s[0:1], -1, 0
	s_or_b64 s[0:1], vcc, s[0:1]
	v_lshlrev_b64 v[2:3], 2, v[20:21]
	v_lshl_add_u64 v[22:23], s[4:5], 0, v[2:3]
	s_mov_b64 s[2:3], -1
	s_and_b64 vcc, exec, s[0:1]
	v_lshlrev_b32_e32 v20, 2, v0
	s_cbranch_vccz .LBB2452_6
; %bb.5:
	v_lshl_add_u64 v[2:3], v[22:23], 0, v[20:21]
	v_add_co_u32_e32 v4, vcc, 0x1000, v2
	s_mov_b64 s[2:3], 0
	s_nop 0
	v_addc_co_u32_e32 v5, vcc, 0, v3, vcc
	v_add_co_u32_e32 v6, vcc, 0x2000, v2
	s_nop 1
	v_addc_co_u32_e32 v7, vcc, 0, v3, vcc
	v_add_co_u32_e32 v8, vcc, 0x3000, v2
	s_nop 1
	v_addc_co_u32_e32 v9, vcc, 0, v3, vcc
	flat_load_dword v1, v[2:3]
	flat_load_dword v10, v[2:3] offset:2048
	flat_load_dword v11, v[4:5]
	flat_load_dword v12, v[4:5] offset:2048
	;; [unrolled: 2-line block ×4, first 2 shown]
	v_add_co_u32_e32 v4, vcc, 0x4000, v2
	s_nop 1
	v_addc_co_u32_e32 v5, vcc, 0, v3, vcc
	v_add_co_u32_e32 v6, vcc, 0x5000, v2
	s_nop 1
	v_addc_co_u32_e32 v7, vcc, 0, v3, vcc
	;; [unrolled: 3-line block ×4, first 2 shown]
	flat_load_dword v17, v[4:5]
	flat_load_dword v21, v[4:5] offset:2048
	flat_load_dword v24, v[6:7]
	flat_load_dword v25, v[6:7] offset:2048
	;; [unrolled: 2-line block ×3, first 2 shown]
	flat_load_dword v28, v[2:3]
	s_waitcnt vmcnt(0) lgkmcnt(0)
	ds_write2st64_b32 v20, v1, v10 offset1:8
	ds_write2st64_b32 v20, v11, v12 offset0:16 offset1:24
	ds_write2st64_b32 v20, v13, v14 offset0:32 offset1:40
	;; [unrolled: 1-line block ×6, first 2 shown]
	ds_write_b32 v20, v28 offset:28672
	s_waitcnt lgkmcnt(0)
	s_barrier
.LBB2452_6:
	s_andn2_b64 vcc, exec, s[2:3]
	s_addk_i32 s33, 0x1e00
	s_cbranch_vccnz .LBB2452_38
; %bb.7:
	v_cmp_gt_u32_e32 vcc, s33, v0
                                        ; implicit-def: $vgpr2_vgpr3_vgpr4_vgpr5_vgpr6_vgpr7_vgpr8_vgpr9_vgpr10_vgpr11_vgpr12_vgpr13_vgpr14_vgpr15_vgpr16_vgpr17
	s_and_saveexec_b64 s[2:3], vcc
	s_cbranch_execz .LBB2452_9
; %bb.8:
	v_mov_b32_e32 v21, 0
	v_lshl_add_u64 v[2:3], v[22:23], 0, v[20:21]
	flat_load_dword v2, v[2:3]
.LBB2452_9:
	s_or_b64 exec, exec, s[2:3]
	v_or_b32_e32 v1, 0x200, v0
	v_cmp_gt_u32_e32 vcc, s33, v1
	s_and_saveexec_b64 s[2:3], vcc
	s_cbranch_execz .LBB2452_11
; %bb.10:
	v_mov_b32_e32 v21, 0
	v_lshl_add_u64 v[24:25], v[22:23], 0, v[20:21]
	flat_load_dword v3, v[24:25] offset:2048
.LBB2452_11:
	s_or_b64 exec, exec, s[2:3]
	v_or_b32_e32 v1, 0x400, v0
	v_cmp_gt_u32_e32 vcc, s33, v1
	s_and_saveexec_b64 s[2:3], vcc
	s_cbranch_execz .LBB2452_13
; %bb.12:
	v_lshlrev_b32_e32 v24, 2, v1
	v_mov_b32_e32 v25, 0
	v_lshl_add_u64 v[24:25], v[22:23], 0, v[24:25]
	flat_load_dword v4, v[24:25]
.LBB2452_13:
	s_or_b64 exec, exec, s[2:3]
	v_or_b32_e32 v1, 0x600, v0
	v_cmp_gt_u32_e32 vcc, s33, v1
	s_and_saveexec_b64 s[2:3], vcc
	s_cbranch_execz .LBB2452_15
; %bb.14:
	v_lshlrev_b32_e32 v24, 2, v1
	v_mov_b32_e32 v25, 0
	v_lshl_add_u64 v[24:25], v[22:23], 0, v[24:25]
	flat_load_dword v5, v[24:25]
.LBB2452_15:
	;; [unrolled: 11-line block ×13, first 2 shown]
	s_or_b64 exec, exec, s[2:3]
	s_waitcnt vmcnt(0) lgkmcnt(0)
	ds_write2st64_b32 v20, v2, v3 offset1:8
	ds_write2st64_b32 v20, v4, v5 offset0:16 offset1:24
	ds_write2st64_b32 v20, v6, v7 offset0:32 offset1:40
	;; [unrolled: 1-line block ×6, first 2 shown]
	ds_write_b32 v20, v16 offset:28672
	s_waitcnt lgkmcnt(0)
	s_barrier
.LBB2452_38:
	v_mul_u32_u24_e32 v40, 15, v0
	v_lshlrev_b32_e32 v1, 2, v40
	ds_read2_b32 v[34:35], v1 offset1:1
	ds_read2_b32 v[32:33], v1 offset0:2 offset1:3
	ds_read2_b32 v[30:31], v1 offset0:4 offset1:5
	;; [unrolled: 1-line block ×6, first 2 shown]
	ds_read_b32 v1, v1 offset:56
	v_cndmask_b32_e64 v2, 0, 1, s[0:1]
	v_cmp_ne_u32_e64 s[2:3], 1, v2
	s_andn2_b64 vcc, exec, s[0:1]
	s_waitcnt lgkmcnt(7)
	v_xor_b32_e32 v16, -1, v34
	v_xor_b32_e32 v15, -1, v35
	s_waitcnt lgkmcnt(6)
	v_xor_b32_e32 v14, -1, v32
	v_xor_b32_e32 v13, -1, v33
	s_waitcnt lgkmcnt(5)
	v_xor_b32_e32 v12, -1, v30
	v_xor_b32_e32 v11, -1, v31
	s_waitcnt lgkmcnt(4)
	v_xor_b32_e32 v10, -1, v28
	v_xor_b32_e32 v9, -1, v29
	s_waitcnt lgkmcnt(3)
	v_xor_b32_e32 v8, -1, v26
	v_xor_b32_e32 v7, -1, v27
	s_waitcnt lgkmcnt(2)
	v_xor_b32_e32 v6, -1, v24
	v_xor_b32_e32 v5, -1, v25
	s_waitcnt lgkmcnt(1)
	v_xor_b32_e32 v4, -1, v22
	v_xor_b32_e32 v3, -1, v23
	s_waitcnt lgkmcnt(0)
	v_xor_b32_e32 v2, -1, v1
	s_barrier
	s_cbranch_vccnz .LBB2452_40
; %bb.39:
	v_and_b32_e32 v53, 1, v16
	v_and_b32_e32 v52, 1, v15
	;; [unrolled: 1-line block ×15, first 2 shown]
	s_cbranch_execz .LBB2452_41
	s_branch .LBB2452_42
.LBB2452_40:
                                        ; implicit-def: $vgpr21
                                        ; implicit-def: $vgpr39
                                        ; implicit-def: $vgpr41
                                        ; implicit-def: $vgpr42
                                        ; implicit-def: $vgpr43
                                        ; implicit-def: $vgpr44
                                        ; implicit-def: $vgpr45
                                        ; implicit-def: $vgpr46
                                        ; implicit-def: $vgpr47
                                        ; implicit-def: $vgpr53
                                        ; implicit-def: $vgpr52
                                        ; implicit-def: $vgpr51
                                        ; implicit-def: $vgpr50
                                        ; implicit-def: $vgpr49
                                        ; implicit-def: $vgpr48
.LBB2452_41:
	v_add_u32_e32 v46, 1, v40
	v_cmp_gt_u32_e32 vcc, s33, v40
	v_add_u32_e32 v17, 2, v40
	v_add_u32_e32 v45, 3, v40
	v_cndmask_b32_e64 v47, 0, 1, vcc
	v_cmp_gt_u32_e32 vcc, s33, v46
	v_and_b32_e32 v53, v47, v16
	v_add_u32_e32 v21, 4, v40
	v_cndmask_b32_e64 v16, 0, 1, vcc
	v_cmp_gt_u32_e32 vcc, s33, v17
	v_and_b32_e32 v52, v16, v15
	;; [unrolled: 4-line block ×12, first 2 shown]
	s_nop 0
	v_cndmask_b32_e64 v5, 0, 1, vcc
	v_cmp_gt_u32_e32 vcc, s33, v55
	v_and_b32_e32 v41, v5, v4
	s_nop 0
	v_cndmask_b32_e64 v4, 0, 1, vcc
	v_cmp_gt_u32_e32 vcc, s33, v54
	v_and_b32_e32 v39, v4, v3
	s_nop 0
	v_cndmask_b32_e64 v3, 0, 1, vcc
	v_and_b32_e32 v21, v3, v2
.LBB2452_42:
	v_and_b32_e32 v57, 0xff, v50
	v_and_b32_e32 v58, 0xff, v49
	;; [unrolled: 1-line block ×5, first 2 shown]
	v_add3_u32 v3, v58, v59, v57
	v_and_b32_e32 v54, 0xff, v53
	v_and_b32_e32 v60, 0xff, v47
	v_add3_u32 v3, v3, v56, v55
	v_and_b32_e32 v61, 0xff, v46
	v_and_b32_e32 v62, 0xff, v45
	;; [unrolled: 3-line block ×5, first 2 shown]
	v_add3_u32 v3, v3, v65, v66
	v_add3_u32 v70, v3, v67, v2
	v_mbcnt_lo_u32_b32 v2, -1, 0
	v_mbcnt_hi_u32_b32 v68, -1, v2
	v_and_b32_e32 v2, 15, v68
	v_cmp_eq_u32_e64 s[16:17], 0, v2
	v_cmp_lt_u32_e64 s[14:15], 1, v2
	v_cmp_lt_u32_e64 s[12:13], 3, v2
	;; [unrolled: 1-line block ×3, first 2 shown]
	v_and_b32_e32 v2, 16, v68
	v_cmp_eq_u32_e64 s[8:9], 0, v2
	v_or_b32_e32 v2, 63, v0
	s_cmp_lg_u32 s36, 0
	v_cmp_lt_u32_e64 s[4:5], 31, v68
	v_lshrrev_b32_e32 v69, 6, v0
	v_cmp_eq_u32_e64 s[6:7], v2, v0
	s_cbranch_scc0 .LBB2452_69
; %bb.43:
	v_mov_b32_dpp v2, v70 row_shr:1 row_mask:0xf bank_mask:0xf
	v_cndmask_b32_e64 v2, v2, 0, s[16:17]
	v_add_u32_e32 v2, v2, v70
	s_nop 1
	v_mov_b32_dpp v3, v2 row_shr:2 row_mask:0xf bank_mask:0xf
	v_cndmask_b32_e64 v3, 0, v3, s[14:15]
	v_add_u32_e32 v2, v2, v3
	s_nop 1
	;; [unrolled: 4-line block ×4, first 2 shown]
	v_mov_b32_dpp v3, v2 row_bcast:15 row_mask:0xf bank_mask:0xf
	v_cndmask_b32_e64 v3, v3, 0, s[8:9]
	v_add_u32_e32 v2, v2, v3
	s_nop 1
	v_mov_b32_dpp v3, v2 row_bcast:31 row_mask:0xf bank_mask:0xf
	v_cndmask_b32_e64 v3, 0, v3, s[4:5]
	v_add_u32_e32 v2, v2, v3
	s_and_saveexec_b64 s[0:1], s[6:7]
	s_cbranch_execz .LBB2452_45
; %bb.44:
	v_lshlrev_b32_e32 v3, 2, v69
	ds_write_b32 v3, v2
.LBB2452_45:
	s_or_b64 exec, exec, s[0:1]
	v_cmp_gt_u32_e32 vcc, 8, v0
	s_waitcnt lgkmcnt(0)
	s_barrier
	s_and_saveexec_b64 s[0:1], vcc
	s_cbranch_execz .LBB2452_47
; %bb.46:
	ds_read_b32 v3, v20
	v_and_b32_e32 v4, 7, v68
	v_cmp_ne_u32_e32 vcc, 0, v4
	s_waitcnt lgkmcnt(0)
	v_mov_b32_dpp v5, v3 row_shr:1 row_mask:0xf bank_mask:0xf
	v_cndmask_b32_e32 v5, 0, v5, vcc
	v_add_u32_e32 v3, v5, v3
	v_cmp_lt_u32_e32 vcc, 1, v4
	s_nop 0
	v_mov_b32_dpp v5, v3 row_shr:2 row_mask:0xf bank_mask:0xf
	v_cndmask_b32_e32 v5, 0, v5, vcc
	v_add_u32_e32 v3, v3, v5
	v_cmp_lt_u32_e32 vcc, 3, v4
	s_nop 0
	v_mov_b32_dpp v5, v3 row_shr:4 row_mask:0xf bank_mask:0xf
	v_cndmask_b32_e32 v4, 0, v5, vcc
	v_add_u32_e32 v3, v3, v4
	ds_write_b32 v20, v3
.LBB2452_47:
	s_or_b64 exec, exec, s[0:1]
	v_cmp_gt_u32_e32 vcc, 64, v0
	v_cmp_lt_u32_e64 s[0:1], 63, v0
	s_waitcnt lgkmcnt(0)
	s_barrier
	s_waitcnt lgkmcnt(0)
                                        ; implicit-def: $vgpr12
	s_and_saveexec_b64 s[18:19], s[0:1]
	s_cbranch_execz .LBB2452_49
; %bb.48:
	v_lshl_add_u32 v3, v69, 2, -4
	ds_read_b32 v12, v3
	s_waitcnt lgkmcnt(0)
	v_add_u32_e32 v2, v12, v2
.LBB2452_49:
	s_or_b64 exec, exec, s[18:19]
	v_add_u32_e32 v3, -1, v68
	v_and_b32_e32 v4, 64, v68
	v_cmp_lt_i32_e64 s[0:1], v3, v4
	v_cmp_eq_u32_e64 s[18:19], 0, v68
	s_nop 0
	v_cndmask_b32_e64 v3, v3, v68, s[0:1]
	v_lshlrev_b32_e32 v3, 2, v3
	ds_bpermute_b32 v13, v3, v2
	s_and_saveexec_b64 s[0:1], vcc
	s_cbranch_execz .LBB2452_68
; %bb.50:
	v_mov_b32_e32 v9, 0
	ds_read_b32 v2, v9 offset:28
	s_and_saveexec_b64 s[26:27], s[18:19]
	s_cbranch_execz .LBB2452_52
; %bb.51:
	s_add_i32 s34, s36, 64
	s_mov_b32 s35, 0
	s_lshl_b64 s[34:35], s[34:35], 3
	s_add_u32 s34, s30, s34
	v_mov_b32_e32 v3, 1
	s_addc_u32 s35, s31, s35
	s_waitcnt lgkmcnt(0)
	global_store_dwordx2 v9, v[2:3], s[34:35] sc1
.LBB2452_52:
	s_or_b64 exec, exec, s[26:27]
	v_xad_u32 v4, v68, -1, s36
	v_add_u32_e32 v8, 64, v4
	v_lshl_add_u64 v[10:11], v[8:9], 3, s[30:31]
	global_load_dwordx2 v[6:7], v[10:11], off sc1
	s_waitcnt vmcnt(0)
	v_cmp_eq_u16_sdwa s[34:35], v7, v9 src0_sel:BYTE_0 src1_sel:DWORD
	s_and_saveexec_b64 s[26:27], s[34:35]
	s_cbranch_execz .LBB2452_56
; %bb.53:
	s_mov_b64 s[34:35], 0
	v_mov_b32_e32 v3, 0
.LBB2452_54:                            ; =>This Inner Loop Header: Depth=1
	global_load_dwordx2 v[6:7], v[10:11], off sc1
	s_waitcnt vmcnt(0)
	v_cmp_ne_u16_sdwa s[38:39], v7, v3 src0_sel:BYTE_0 src1_sel:DWORD
	s_or_b64 s[34:35], s[38:39], s[34:35]
	s_andn2_b64 exec, exec, s[34:35]
	s_cbranch_execnz .LBB2452_54
; %bb.55:
	s_or_b64 exec, exec, s[34:35]
.LBB2452_56:
	s_or_b64 exec, exec, s[26:27]
	v_and_b32_e32 v15, 63, v68
	v_mov_b32_e32 v14, 2
	v_cmp_ne_u32_e32 vcc, 63, v15
	v_cmp_eq_u16_sdwa s[26:27], v7, v14 src0_sel:BYTE_0 src1_sel:DWORD
	v_lshlrev_b64 v[8:9], v68, -1
	v_addc_co_u32_e32 v10, vcc, 0, v68, vcc
	v_and_b32_e32 v3, s27, v9
	v_lshlrev_b32_e32 v16, 2, v10
	v_or_b32_e32 v3, 0x80000000, v3
	ds_bpermute_b32 v10, v16, v6
	v_and_b32_e32 v5, s26, v8
	v_ffbl_b32_e32 v3, v3
	v_add_u32_e32 v3, 32, v3
	v_ffbl_b32_e32 v5, v5
	v_min_u32_e32 v3, v5, v3
	v_cmp_lt_u32_e32 vcc, v15, v3
	v_add_u32_e32 v36, 2, v15
	v_add_u32_e32 v38, 4, v15
	s_waitcnt lgkmcnt(0)
	v_cndmask_b32_e32 v5, 0, v10, vcc
	v_cmp_gt_u32_e32 vcc, 62, v15
	v_add_u32_e32 v5, v5, v6
	v_add_u32_e32 v72, 8, v15
	v_cndmask_b32_e64 v6, 0, 1, vcc
	v_lshlrev_b32_e32 v6, 1, v6
	v_add_lshl_u32 v17, v6, v68, 2
	ds_bpermute_b32 v6, v17, v5
	v_cmp_le_u32_e32 vcc, v36, v3
	v_add_u32_e32 v74, 16, v15
	v_add_u32_e32 v76, 32, v15
	s_waitcnt lgkmcnt(0)
	v_cndmask_b32_e32 v6, 0, v6, vcc
	v_cmp_gt_u32_e32 vcc, 60, v15
	v_add_u32_e32 v5, v5, v6
	s_nop 0
	v_cndmask_b32_e64 v6, 0, 1, vcc
	v_lshlrev_b32_e32 v6, 2, v6
	v_add_lshl_u32 v37, v6, v68, 2
	ds_bpermute_b32 v6, v37, v5
	v_cmp_le_u32_e32 vcc, v38, v3
	s_waitcnt lgkmcnt(0)
	s_nop 0
	v_cndmask_b32_e32 v6, 0, v6, vcc
	v_cmp_gt_u32_e32 vcc, 56, v15
	v_add_u32_e32 v5, v5, v6
	s_nop 0
	v_cndmask_b32_e64 v6, 0, 1, vcc
	v_lshlrev_b32_e32 v6, 3, v6
	v_add_lshl_u32 v71, v6, v68, 2
	ds_bpermute_b32 v6, v71, v5
	v_cmp_le_u32_e32 vcc, v72, v3
	s_waitcnt lgkmcnt(0)
	s_nop 0
	;; [unrolled: 11-line block ×4, first 2 shown]
	v_cndmask_b32_e32 v3, 0, v6, vcc
	v_add_u32_e32 v6, v5, v3
	v_mov_b32_e32 v5, 0
	s_branch .LBB2452_58
.LBB2452_57:                            ;   in Loop: Header=BB2452_58 Depth=1
	s_or_b64 exec, exec, s[26:27]
	v_cmp_eq_u16_sdwa s[26:27], v7, v14 src0_sel:BYTE_0 src1_sel:DWORD
	ds_bpermute_b32 v77, v16, v6
	v_subrev_u32_e32 v4, 64, v4
	v_and_b32_e32 v10, s27, v9
	v_or_b32_e32 v10, 0x80000000, v10
	v_and_b32_e32 v11, s26, v8
	v_ffbl_b32_e32 v10, v10
	v_add_u32_e32 v10, 32, v10
	v_ffbl_b32_e32 v11, v11
	v_min_u32_e32 v10, v11, v10
	v_cmp_lt_u32_e32 vcc, v15, v10
	s_waitcnt lgkmcnt(0)
	s_nop 0
	v_cndmask_b32_e32 v11, 0, v77, vcc
	v_add_u32_e32 v6, v11, v6
	ds_bpermute_b32 v11, v17, v6
	v_cmp_le_u32_e32 vcc, v36, v10
	s_waitcnt lgkmcnt(0)
	s_nop 0
	v_cndmask_b32_e32 v11, 0, v11, vcc
	v_add_u32_e32 v6, v6, v11
	ds_bpermute_b32 v11, v37, v6
	v_cmp_le_u32_e32 vcc, v38, v10
	s_waitcnt lgkmcnt(0)
	s_nop 0
	v_cndmask_b32_e32 v11, 0, v11, vcc
	v_add_u32_e32 v6, v6, v11
	ds_bpermute_b32 v11, v71, v6
	v_cmp_le_u32_e32 vcc, v72, v10
	s_waitcnt lgkmcnt(0)
	s_nop 0
	v_cndmask_b32_e32 v11, 0, v11, vcc
	v_add_u32_e32 v6, v6, v11
	ds_bpermute_b32 v11, v73, v6
	v_cmp_le_u32_e32 vcc, v74, v10
	s_waitcnt lgkmcnt(0)
	s_nop 0
	v_cndmask_b32_e32 v11, 0, v11, vcc
	v_add_u32_e32 v6, v6, v11
	ds_bpermute_b32 v11, v75, v6
	v_cmp_le_u32_e32 vcc, v76, v10
	s_waitcnt lgkmcnt(0)
	s_nop 0
	v_cndmask_b32_e32 v10, 0, v11, vcc
	v_add3_u32 v6, v10, v3, v6
.LBB2452_58:                            ; =>This Loop Header: Depth=1
                                        ;     Child Loop BB2452_61 Depth 2
	v_cmp_ne_u16_sdwa s[26:27], v7, v14 src0_sel:BYTE_0 src1_sel:DWORD
	s_nop 1
	v_cndmask_b32_e64 v3, 0, 1, s[26:27]
	;;#ASMSTART
	;;#ASMEND
	s_nop 0
	v_cmp_ne_u32_e32 vcc, 0, v3
	s_cmp_lg_u64 vcc, exec
	v_mov_b32_e32 v3, v6
	s_cbranch_scc1 .LBB2452_63
; %bb.59:                               ;   in Loop: Header=BB2452_58 Depth=1
	v_lshl_add_u64 v[10:11], v[4:5], 3, s[30:31]
	global_load_dwordx2 v[6:7], v[10:11], off sc1
	s_waitcnt vmcnt(0)
	v_cmp_eq_u16_sdwa s[34:35], v7, v5 src0_sel:BYTE_0 src1_sel:DWORD
	s_and_saveexec_b64 s[26:27], s[34:35]
	s_cbranch_execz .LBB2452_57
; %bb.60:                               ;   in Loop: Header=BB2452_58 Depth=1
	s_mov_b64 s[34:35], 0
.LBB2452_61:                            ;   Parent Loop BB2452_58 Depth=1
                                        ; =>  This Inner Loop Header: Depth=2
	global_load_dwordx2 v[6:7], v[10:11], off sc1
	s_waitcnt vmcnt(0)
	v_cmp_ne_u16_sdwa s[38:39], v7, v5 src0_sel:BYTE_0 src1_sel:DWORD
	s_or_b64 s[34:35], s[38:39], s[34:35]
	s_andn2_b64 exec, exec, s[34:35]
	s_cbranch_execnz .LBB2452_61
; %bb.62:                               ;   in Loop: Header=BB2452_58 Depth=1
	s_or_b64 exec, exec, s[34:35]
	s_branch .LBB2452_57
.LBB2452_63:                            ;   in Loop: Header=BB2452_58 Depth=1
                                        ; implicit-def: $vgpr6
                                        ; implicit-def: $vgpr7
	s_cbranch_execz .LBB2452_58
; %bb.64:
	s_and_saveexec_b64 s[26:27], s[18:19]
	s_cbranch_execz .LBB2452_66
; %bb.65:
	s_add_i32 s34, s36, 64
	s_mov_b32 s35, 0
	s_lshl_b64 s[34:35], s[34:35], 3
	s_add_u32 s34, s30, s34
	v_add_u32_e32 v4, v3, v2
	v_mov_b32_e32 v5, 2
	s_addc_u32 s35, s31, s35
	v_mov_b32_e32 v6, 0
	global_store_dwordx2 v6, v[4:5], s[34:35] sc1
	ds_write_b64 v6, v[2:3] offset:30720
.LBB2452_66:
	s_or_b64 exec, exec, s[26:27]
	s_and_b64 exec, exec, s[20:21]
	s_cbranch_execz .LBB2452_68
; %bb.67:
	v_mov_b32_e32 v2, 0
	ds_write_b32 v2, v3 offset:28
.LBB2452_68:
	s_or_b64 exec, exec, s[0:1]
	v_mov_b32_e32 v14, 0
	s_waitcnt lgkmcnt(0)
	s_barrier
	ds_read_b32 v2, v14 offset:28
	v_cndmask_b32_e64 v3, v13, v12, s[18:19]
	v_cndmask_b32_e64 v3, v3, 0, s[20:21]
	s_waitcnt lgkmcnt(0)
	s_barrier
	v_add_u32_e32 v2, v2, v3
	v_add_u32_e32 v3, v2, v54
	;; [unrolled: 1-line block ×10, first 2 shown]
	ds_read_b64 v[36:37], v14 offset:30720
	v_add_u32_e32 v12, v11, v63
	v_add_u32_e32 v13, v12, v64
	;; [unrolled: 1-line block ×5, first 2 shown]
	s_waitcnt lgkmcnt(0)
	v_mov_b32_e32 v38, v37
	s_branch .LBB2452_79
.LBB2452_69:
                                        ; implicit-def: $vgpr38
                                        ; implicit-def: $vgpr36
                                        ; implicit-def: $vgpr2_vgpr3_vgpr4_vgpr5_vgpr6_vgpr7_vgpr8_vgpr9_vgpr10_vgpr11_vgpr12_vgpr13_vgpr14_vgpr15_vgpr16_vgpr17
	s_cbranch_execz .LBB2452_79
; %bb.70:
	s_nop 0
	v_mov_b32_dpp v2, v70 row_shr:1 row_mask:0xf bank_mask:0xf
	v_cndmask_b32_e64 v2, v2, 0, s[16:17]
	v_add_u32_e32 v2, v2, v70
	s_nop 1
	v_mov_b32_dpp v3, v2 row_shr:2 row_mask:0xf bank_mask:0xf
	v_cndmask_b32_e64 v3, 0, v3, s[14:15]
	v_add_u32_e32 v2, v2, v3
	s_nop 1
	v_mov_b32_dpp v3, v2 row_shr:4 row_mask:0xf bank_mask:0xf
	v_cndmask_b32_e64 v3, 0, v3, s[12:13]
	v_add_u32_e32 v2, v2, v3
	s_nop 1
	v_mov_b32_dpp v3, v2 row_shr:8 row_mask:0xf bank_mask:0xf
	v_cndmask_b32_e64 v3, 0, v3, s[10:11]
	v_add_u32_e32 v2, v2, v3
	s_nop 1
	v_mov_b32_dpp v3, v2 row_bcast:15 row_mask:0xf bank_mask:0xf
	v_cndmask_b32_e64 v3, v3, 0, s[8:9]
	v_add_u32_e32 v2, v2, v3
	s_nop 1
	v_mov_b32_dpp v3, v2 row_bcast:31 row_mask:0xf bank_mask:0xf
	v_cndmask_b32_e64 v3, 0, v3, s[4:5]
	v_add_u32_e32 v2, v2, v3
	s_and_saveexec_b64 s[0:1], s[6:7]
	s_cbranch_execz .LBB2452_72
; %bb.71:
	v_lshlrev_b32_e32 v3, 2, v69
	ds_write_b32 v3, v2
.LBB2452_72:
	s_or_b64 exec, exec, s[0:1]
	v_cmp_gt_u32_e32 vcc, 8, v0
	s_waitcnt lgkmcnt(0)
	s_barrier
	s_and_saveexec_b64 s[0:1], vcc
	s_cbranch_execz .LBB2452_74
; %bb.73:
	ds_read_b32 v3, v20
	v_and_b32_e32 v4, 7, v68
	v_cmp_ne_u32_e32 vcc, 0, v4
	s_waitcnt lgkmcnt(0)
	v_mov_b32_dpp v5, v3 row_shr:1 row_mask:0xf bank_mask:0xf
	v_cndmask_b32_e32 v5, 0, v5, vcc
	v_add_u32_e32 v3, v5, v3
	v_cmp_lt_u32_e32 vcc, 1, v4
	s_nop 0
	v_mov_b32_dpp v5, v3 row_shr:2 row_mask:0xf bank_mask:0xf
	v_cndmask_b32_e32 v5, 0, v5, vcc
	v_add_u32_e32 v3, v3, v5
	v_cmp_lt_u32_e32 vcc, 3, v4
	s_nop 0
	v_mov_b32_dpp v5, v3 row_shr:4 row_mask:0xf bank_mask:0xf
	v_cndmask_b32_e32 v4, 0, v5, vcc
	v_add_u32_e32 v3, v3, v4
	ds_write_b32 v20, v3
.LBB2452_74:
	s_or_b64 exec, exec, s[0:1]
	v_cmp_lt_u32_e32 vcc, 63, v0
	v_mov_b32_e32 v4, 0
	v_mov_b32_e32 v3, 0
	s_waitcnt lgkmcnt(0)
	s_barrier
	s_and_saveexec_b64 s[0:1], vcc
	s_cbranch_execz .LBB2452_76
; %bb.75:
	v_lshl_add_u32 v3, v69, 2, -4
	ds_read_b32 v3, v3
.LBB2452_76:
	s_or_b64 exec, exec, s[0:1]
	v_add_u32_e32 v5, -1, v68
	v_and_b32_e32 v6, 64, v68
	v_cmp_lt_i32_e32 vcc, v5, v6
	s_waitcnt lgkmcnt(0)
	v_add_u32_e32 v2, v3, v2
	ds_read_b32 v36, v4 offset:28
	v_cndmask_b32_e32 v5, v5, v68, vcc
	v_lshlrev_b32_e32 v5, 2, v5
	ds_bpermute_b32 v2, v5, v2
	s_and_saveexec_b64 s[0:1], s[20:21]
	s_cbranch_execz .LBB2452_78
; %bb.77:
	v_mov_b32_e32 v4, 0
	v_mov_b32_e32 v37, 2
	s_waitcnt lgkmcnt(1)
	global_store_dwordx2 v4, v[36:37], s[30:31] offset:512 sc1
.LBB2452_78:
	s_or_b64 exec, exec, s[0:1]
	v_cmp_eq_u32_e32 vcc, 0, v68
	v_mov_b32_e32 v38, 0
	s_waitcnt lgkmcnt(0)
	v_cndmask_b32_e32 v2, v2, v3, vcc
	v_cndmask_b32_e64 v2, v2, 0, s[20:21]
	v_add_u32_e32 v3, v2, v54
	v_add_u32_e32 v4, v3, v55
	;; [unrolled: 1-line block ×14, first 2 shown]
	s_barrier
.LBB2452_79:
	v_add_u32_e32 v17, v36, v40
	v_sub_u32_e32 v2, v2, v38
	v_and_b32_e32 v40, 1, v53
	v_sub_u32_e32 v37, v17, v2
	v_cmp_eq_u32_e32 vcc, 1, v40
	s_nop 1
	v_cndmask_b32_e32 v2, v37, v2, vcc
	v_lshlrev_b32_e32 v2, 2, v2
	ds_write_b32 v2, v34
	v_sub_u32_e32 v2, v3, v38
	v_sub_u32_e32 v3, v17, v2
	v_and_b32_e32 v34, 1, v52
	v_add_u32_e32 v3, 1, v3
	v_cmp_eq_u32_e32 vcc, 1, v34
	v_or_b32_e32 v37, 0x200, v0
	v_or_b32_e32 v34, 0x600, v0
	v_cndmask_b32_e32 v2, v3, v2, vcc
	v_lshlrev_b32_e32 v2, 2, v2
	ds_write_b32 v2, v35
	v_sub_u32_e32 v2, v4, v38
	v_sub_u32_e32 v3, v17, v2
	v_and_b32_e32 v4, 1, v51
	v_add_u32_e32 v3, 2, v3
	v_cmp_eq_u32_e32 vcc, 1, v4
	v_and_b32_e32 v4, 1, v50
	v_or_b32_e32 v35, 0x400, v0
	v_cndmask_b32_e32 v2, v3, v2, vcc
	v_lshlrev_b32_e32 v2, 2, v2
	ds_write_b32 v2, v32
	v_sub_u32_e32 v2, v5, v38
	v_sub_u32_e32 v3, v17, v2
	v_add_u32_e32 v3, 3, v3
	v_cmp_eq_u32_e32 vcc, 1, v4
	v_and_b32_e32 v4, 1, v49
	v_or_b32_e32 v32, 0xa00, v0
	v_cndmask_b32_e32 v2, v3, v2, vcc
	v_lshlrev_b32_e32 v2, 2, v2
	ds_write_b32 v2, v33
	v_sub_u32_e32 v2, v6, v38
	v_sub_u32_e32 v3, v17, v2
	;; [unrolled: 9-line block ×12, first 2 shown]
	v_add_u32_e32 v3, 14, v3
	v_cmp_eq_u32_e32 vcc, 1, v4
	s_waitcnt vmcnt(0)
	v_lshlrev_b64 v[22:23], 2, v[18:19]
	v_cndmask_b32_e32 v2, v3, v2, vcc
	v_lshlrev_b32_e32 v2, 2, v2
	ds_write_b32 v2, v1
	s_waitcnt lgkmcnt(0)
	s_barrier
	ds_read2st64_b32 v[16:17], v20 offset1:8
	ds_read2st64_b32 v[14:15], v20 offset0:16 offset1:24
	ds_read2st64_b32 v[12:13], v20 offset0:32 offset1:40
	;; [unrolled: 1-line block ×6, first 2 shown]
	ds_read_b32 v1, v20 offset:28672
	s_and_b64 vcc, exec, s[2:3]
	s_cbranch_vccnz .LBB2452_96
; %bb.80:
	v_mov_b32_e32 v39, 0
	v_lshl_add_u64 v[4:5], s[28:29], 0, v[22:23]
	v_lshlrev_b64 v[40:41], 2, v[38:39]
	v_lshl_add_u64 v[4:5], v[4:5], 0, v[40:41]
	v_cmp_gt_u32_e32 vcc, v36, v0
	s_and_saveexec_b64 s[0:1], vcc
	s_cbranch_execnz .LBB2452_118
; %bb.81:
	s_or_b64 exec, exec, s[0:1]
	v_cmp_lt_u32_e32 vcc, v37, v36
	s_and_saveexec_b64 s[0:1], vcc
	s_cbranch_execnz .LBB2452_119
.LBB2452_82:
	s_or_b64 exec, exec, s[0:1]
	v_cmp_lt_u32_e32 vcc, v35, v36
	s_and_saveexec_b64 s[0:1], vcc
	s_cbranch_execnz .LBB2452_120
.LBB2452_83:
	s_or_b64 exec, exec, s[0:1]
	v_cmp_lt_u32_e32 vcc, v34, v36
	s_and_saveexec_b64 s[0:1], vcc
	s_cbranch_execnz .LBB2452_121
.LBB2452_84:
	s_or_b64 exec, exec, s[0:1]
	v_cmp_lt_u32_e32 vcc, v33, v36
	s_and_saveexec_b64 s[0:1], vcc
	s_cbranch_execnz .LBB2452_122
.LBB2452_85:
	s_or_b64 exec, exec, s[0:1]
	v_cmp_lt_u32_e32 vcc, v32, v36
	s_and_saveexec_b64 s[0:1], vcc
	s_cbranch_execnz .LBB2452_123
.LBB2452_86:
	s_or_b64 exec, exec, s[0:1]
	v_cmp_lt_u32_e32 vcc, v31, v36
	s_and_saveexec_b64 s[0:1], vcc
	s_cbranch_execnz .LBB2452_124
.LBB2452_87:
	s_or_b64 exec, exec, s[0:1]
	v_cmp_lt_u32_e32 vcc, v30, v36
	s_and_saveexec_b64 s[0:1], vcc
	s_cbranch_execnz .LBB2452_125
.LBB2452_88:
	s_or_b64 exec, exec, s[0:1]
	v_cmp_lt_u32_e32 vcc, v29, v36
	s_and_saveexec_b64 s[0:1], vcc
	s_cbranch_execnz .LBB2452_126
.LBB2452_89:
	s_or_b64 exec, exec, s[0:1]
	v_cmp_lt_u32_e32 vcc, v28, v36
	s_and_saveexec_b64 s[0:1], vcc
	s_cbranch_execnz .LBB2452_127
.LBB2452_90:
	s_or_b64 exec, exec, s[0:1]
	v_cmp_lt_u32_e32 vcc, v27, v36
	s_and_saveexec_b64 s[0:1], vcc
	s_cbranch_execnz .LBB2452_128
.LBB2452_91:
	s_or_b64 exec, exec, s[0:1]
	v_cmp_lt_u32_e32 vcc, v26, v36
	s_and_saveexec_b64 s[0:1], vcc
	s_cbranch_execnz .LBB2452_129
.LBB2452_92:
	s_or_b64 exec, exec, s[0:1]
	v_cmp_lt_u32_e32 vcc, v25, v36
	s_and_saveexec_b64 s[0:1], vcc
	s_cbranch_execnz .LBB2452_130
.LBB2452_93:
	s_or_b64 exec, exec, s[0:1]
	v_cmp_lt_u32_e32 vcc, v24, v36
	s_and_saveexec_b64 s[0:1], vcc
	s_cbranch_execz .LBB2452_95
.LBB2452_94:
	v_lshlrev_b32_e32 v39, 2, v24
	v_readfirstlane_b32 s2, v4
	v_readfirstlane_b32 s3, v5
	s_waitcnt lgkmcnt(1)
	s_nop 3
	global_store_dword v39, v3, s[2:3]
.LBB2452_95:
	s_or_b64 exec, exec, s[0:1]
	v_cmp_lt_u32_e64 s[0:1], v21, v36
	s_branch .LBB2452_113
.LBB2452_96:
	s_mov_b64 s[0:1], 0
                                        ; implicit-def: $vgpr4_vgpr5
	s_cbranch_execz .LBB2452_113
; %bb.97:
	v_mov_b32_e32 v39, 0
	v_min_u32_e32 v40, s33, v36
	v_lshl_add_u64 v[4:5], s[28:29], 0, v[22:23]
	v_lshlrev_b64 v[22:23], 2, v[38:39]
	v_lshl_add_u64 v[4:5], v[4:5], 0, v[22:23]
	v_cmp_gt_u32_e32 vcc, v40, v0
	s_and_saveexec_b64 s[0:1], vcc
	s_cbranch_execnz .LBB2452_131
; %bb.98:
	s_or_b64 exec, exec, s[0:1]
	v_cmp_lt_u32_e32 vcc, v37, v40
	s_and_saveexec_b64 s[0:1], vcc
	s_cbranch_execnz .LBB2452_132
.LBB2452_99:
	s_or_b64 exec, exec, s[0:1]
	v_cmp_lt_u32_e32 vcc, v35, v40
	s_and_saveexec_b64 s[0:1], vcc
	s_cbranch_execnz .LBB2452_133
.LBB2452_100:
	s_or_b64 exec, exec, s[0:1]
	v_cmp_lt_u32_e32 vcc, v34, v40
	s_and_saveexec_b64 s[0:1], vcc
	s_cbranch_execnz .LBB2452_134
.LBB2452_101:
	s_or_b64 exec, exec, s[0:1]
	v_cmp_lt_u32_e32 vcc, v33, v40
	s_and_saveexec_b64 s[0:1], vcc
	s_cbranch_execnz .LBB2452_135
.LBB2452_102:
	s_or_b64 exec, exec, s[0:1]
	v_cmp_lt_u32_e32 vcc, v32, v40
	s_and_saveexec_b64 s[0:1], vcc
	s_cbranch_execnz .LBB2452_136
.LBB2452_103:
	s_or_b64 exec, exec, s[0:1]
	v_cmp_lt_u32_e32 vcc, v31, v40
	s_and_saveexec_b64 s[0:1], vcc
	s_cbranch_execnz .LBB2452_137
.LBB2452_104:
	s_or_b64 exec, exec, s[0:1]
	v_cmp_lt_u32_e32 vcc, v30, v40
	s_and_saveexec_b64 s[0:1], vcc
	s_cbranch_execnz .LBB2452_138
.LBB2452_105:
	s_or_b64 exec, exec, s[0:1]
	v_cmp_lt_u32_e32 vcc, v29, v40
	s_and_saveexec_b64 s[0:1], vcc
	s_cbranch_execnz .LBB2452_139
.LBB2452_106:
	s_or_b64 exec, exec, s[0:1]
	v_cmp_lt_u32_e32 vcc, v28, v40
	s_and_saveexec_b64 s[0:1], vcc
	s_cbranch_execnz .LBB2452_140
.LBB2452_107:
	s_or_b64 exec, exec, s[0:1]
	v_cmp_lt_u32_e32 vcc, v27, v40
	s_and_saveexec_b64 s[0:1], vcc
	s_cbranch_execnz .LBB2452_141
.LBB2452_108:
	s_or_b64 exec, exec, s[0:1]
	v_cmp_lt_u32_e32 vcc, v26, v40
	s_and_saveexec_b64 s[0:1], vcc
	s_cbranch_execnz .LBB2452_142
.LBB2452_109:
	s_or_b64 exec, exec, s[0:1]
	v_cmp_lt_u32_e32 vcc, v25, v40
	s_and_saveexec_b64 s[0:1], vcc
	s_cbranch_execnz .LBB2452_143
.LBB2452_110:
	s_or_b64 exec, exec, s[0:1]
	v_cmp_lt_u32_e32 vcc, v24, v40
	s_and_saveexec_b64 s[0:1], vcc
	s_cbranch_execz .LBB2452_112
.LBB2452_111:
	v_lshlrev_b32_e32 v0, 2, v24
	v_readfirstlane_b32 s2, v4
	v_readfirstlane_b32 s3, v5
	s_waitcnt lgkmcnt(1)
	s_nop 3
	global_store_dword v0, v3, s[2:3]
.LBB2452_112:
	s_or_b64 exec, exec, s[0:1]
	v_cmp_lt_u32_e64 s[0:1], v21, v40
.LBB2452_113:
	s_and_saveexec_b64 s[2:3], s[0:1]
	s_cbranch_execnz .LBB2452_116
; %bb.114:
	s_or_b64 exec, exec, s[2:3]
	s_and_b64 s[0:1], s[20:21], s[22:23]
	s_and_saveexec_b64 s[2:3], s[0:1]
	s_cbranch_execnz .LBB2452_117
.LBB2452_115:
	s_endpgm
.LBB2452_116:
	v_lshlrev_b32_e32 v0, 2, v21
	v_readfirstlane_b32 s0, v4
	v_readfirstlane_b32 s1, v5
	s_waitcnt lgkmcnt(0)
	s_nop 3
	global_store_dword v0, v1, s[0:1]
	s_or_b64 exec, exec, s[2:3]
	s_and_b64 s[0:1], s[20:21], s[22:23]
	s_and_saveexec_b64 s[2:3], s[0:1]
	s_cbranch_execz .LBB2452_115
.LBB2452_117:
	v_mov_b32_e32 v37, 0
	s_waitcnt lgkmcnt(0)
	v_lshl_add_u64 v[0:1], v[18:19], 0, v[36:37]
	v_mov_b32_e32 v39, v37
	v_lshl_add_u64 v[0:1], v[0:1], 0, v[38:39]
	global_store_dwordx2 v37, v[0:1], s[24:25]
	s_endpgm
.LBB2452_118:
	v_readfirstlane_b32 s2, v4
	v_readfirstlane_b32 s3, v5
	s_waitcnt lgkmcnt(7)
	s_nop 3
	global_store_dword v20, v16, s[2:3]
	s_or_b64 exec, exec, s[0:1]
	v_cmp_lt_u32_e32 vcc, v37, v36
	s_and_saveexec_b64 s[0:1], vcc
	s_cbranch_execz .LBB2452_82
.LBB2452_119:
	v_readfirstlane_b32 s2, v4
	v_readfirstlane_b32 s3, v5
	s_waitcnt lgkmcnt(7)
	s_nop 3
	global_store_dword v20, v17, s[2:3] offset:2048
	s_or_b64 exec, exec, s[0:1]
	v_cmp_lt_u32_e32 vcc, v35, v36
	s_and_saveexec_b64 s[0:1], vcc
	s_cbranch_execz .LBB2452_83
.LBB2452_120:
	v_lshlrev_b32_e32 v39, 2, v35
	v_readfirstlane_b32 s2, v4
	v_readfirstlane_b32 s3, v5
	s_waitcnt lgkmcnt(6)
	s_nop 3
	global_store_dword v39, v14, s[2:3]
	s_or_b64 exec, exec, s[0:1]
	v_cmp_lt_u32_e32 vcc, v34, v36
	s_and_saveexec_b64 s[0:1], vcc
	s_cbranch_execz .LBB2452_84
.LBB2452_121:
	v_lshlrev_b32_e32 v39, 2, v34
	v_readfirstlane_b32 s2, v4
	v_readfirstlane_b32 s3, v5
	s_waitcnt lgkmcnt(6)
	s_nop 3
	global_store_dword v39, v15, s[2:3]
	s_or_b64 exec, exec, s[0:1]
	v_cmp_lt_u32_e32 vcc, v33, v36
	s_and_saveexec_b64 s[0:1], vcc
	s_cbranch_execz .LBB2452_85
.LBB2452_122:
	v_lshlrev_b32_e32 v39, 2, v33
	v_readfirstlane_b32 s2, v4
	v_readfirstlane_b32 s3, v5
	s_waitcnt lgkmcnt(5)
	s_nop 3
	global_store_dword v39, v12, s[2:3]
	s_or_b64 exec, exec, s[0:1]
	v_cmp_lt_u32_e32 vcc, v32, v36
	s_and_saveexec_b64 s[0:1], vcc
	s_cbranch_execz .LBB2452_86
.LBB2452_123:
	v_lshlrev_b32_e32 v39, 2, v32
	v_readfirstlane_b32 s2, v4
	v_readfirstlane_b32 s3, v5
	s_waitcnt lgkmcnt(5)
	s_nop 3
	global_store_dword v39, v13, s[2:3]
	s_or_b64 exec, exec, s[0:1]
	v_cmp_lt_u32_e32 vcc, v31, v36
	s_and_saveexec_b64 s[0:1], vcc
	s_cbranch_execz .LBB2452_87
.LBB2452_124:
	v_lshlrev_b32_e32 v39, 2, v31
	v_readfirstlane_b32 s2, v4
	v_readfirstlane_b32 s3, v5
	s_waitcnt lgkmcnt(4)
	s_nop 3
	global_store_dword v39, v10, s[2:3]
	s_or_b64 exec, exec, s[0:1]
	v_cmp_lt_u32_e32 vcc, v30, v36
	s_and_saveexec_b64 s[0:1], vcc
	s_cbranch_execz .LBB2452_88
.LBB2452_125:
	v_lshlrev_b32_e32 v39, 2, v30
	v_readfirstlane_b32 s2, v4
	v_readfirstlane_b32 s3, v5
	s_waitcnt lgkmcnt(4)
	s_nop 3
	global_store_dword v39, v11, s[2:3]
	s_or_b64 exec, exec, s[0:1]
	v_cmp_lt_u32_e32 vcc, v29, v36
	s_and_saveexec_b64 s[0:1], vcc
	s_cbranch_execz .LBB2452_89
.LBB2452_126:
	v_lshlrev_b32_e32 v39, 2, v29
	v_readfirstlane_b32 s2, v4
	v_readfirstlane_b32 s3, v5
	s_waitcnt lgkmcnt(3)
	s_nop 3
	global_store_dword v39, v8, s[2:3]
	s_or_b64 exec, exec, s[0:1]
	v_cmp_lt_u32_e32 vcc, v28, v36
	s_and_saveexec_b64 s[0:1], vcc
	s_cbranch_execz .LBB2452_90
.LBB2452_127:
	v_lshlrev_b32_e32 v39, 2, v28
	v_readfirstlane_b32 s2, v4
	v_readfirstlane_b32 s3, v5
	s_waitcnt lgkmcnt(3)
	s_nop 3
	global_store_dword v39, v9, s[2:3]
	s_or_b64 exec, exec, s[0:1]
	v_cmp_lt_u32_e32 vcc, v27, v36
	s_and_saveexec_b64 s[0:1], vcc
	s_cbranch_execz .LBB2452_91
.LBB2452_128:
	v_lshlrev_b32_e32 v39, 2, v27
	v_readfirstlane_b32 s2, v4
	v_readfirstlane_b32 s3, v5
	s_waitcnt lgkmcnt(2)
	s_nop 3
	global_store_dword v39, v6, s[2:3]
	s_or_b64 exec, exec, s[0:1]
	v_cmp_lt_u32_e32 vcc, v26, v36
	s_and_saveexec_b64 s[0:1], vcc
	s_cbranch_execz .LBB2452_92
.LBB2452_129:
	v_lshlrev_b32_e32 v39, 2, v26
	v_readfirstlane_b32 s2, v4
	v_readfirstlane_b32 s3, v5
	s_waitcnt lgkmcnt(2)
	s_nop 3
	global_store_dword v39, v7, s[2:3]
	s_or_b64 exec, exec, s[0:1]
	v_cmp_lt_u32_e32 vcc, v25, v36
	s_and_saveexec_b64 s[0:1], vcc
	s_cbranch_execz .LBB2452_93
.LBB2452_130:
	v_lshlrev_b32_e32 v39, 2, v25
	v_readfirstlane_b32 s2, v4
	v_readfirstlane_b32 s3, v5
	s_waitcnt lgkmcnt(1)
	s_nop 3
	global_store_dword v39, v2, s[2:3]
	s_or_b64 exec, exec, s[0:1]
	v_cmp_lt_u32_e32 vcc, v24, v36
	s_and_saveexec_b64 s[0:1], vcc
	s_cbranch_execnz .LBB2452_94
	s_branch .LBB2452_95
.LBB2452_131:
	v_readfirstlane_b32 s2, v4
	v_readfirstlane_b32 s3, v5
	s_waitcnt lgkmcnt(7)
	s_nop 3
	global_store_dword v20, v16, s[2:3]
	s_or_b64 exec, exec, s[0:1]
	v_cmp_lt_u32_e32 vcc, v37, v40
	s_and_saveexec_b64 s[0:1], vcc
	s_cbranch_execz .LBB2452_99
.LBB2452_132:
	v_readfirstlane_b32 s2, v4
	v_readfirstlane_b32 s3, v5
	s_waitcnt lgkmcnt(7)
	s_nop 3
	global_store_dword v20, v17, s[2:3] offset:2048
	s_or_b64 exec, exec, s[0:1]
	v_cmp_lt_u32_e32 vcc, v35, v40
	s_and_saveexec_b64 s[0:1], vcc
	s_cbranch_execz .LBB2452_100
.LBB2452_133:
	v_lshlrev_b32_e32 v0, 2, v35
	v_readfirstlane_b32 s2, v4
	v_readfirstlane_b32 s3, v5
	s_waitcnt lgkmcnt(6)
	s_nop 3
	global_store_dword v0, v14, s[2:3]
	s_or_b64 exec, exec, s[0:1]
	v_cmp_lt_u32_e32 vcc, v34, v40
	s_and_saveexec_b64 s[0:1], vcc
	s_cbranch_execz .LBB2452_101
.LBB2452_134:
	v_lshlrev_b32_e32 v0, 2, v34
	v_readfirstlane_b32 s2, v4
	v_readfirstlane_b32 s3, v5
	s_waitcnt lgkmcnt(6)
	s_nop 3
	global_store_dword v0, v15, s[2:3]
	s_or_b64 exec, exec, s[0:1]
	v_cmp_lt_u32_e32 vcc, v33, v40
	s_and_saveexec_b64 s[0:1], vcc
	s_cbranch_execz .LBB2452_102
.LBB2452_135:
	v_lshlrev_b32_e32 v0, 2, v33
	v_readfirstlane_b32 s2, v4
	v_readfirstlane_b32 s3, v5
	s_waitcnt lgkmcnt(5)
	s_nop 3
	global_store_dword v0, v12, s[2:3]
	s_or_b64 exec, exec, s[0:1]
	v_cmp_lt_u32_e32 vcc, v32, v40
	s_and_saveexec_b64 s[0:1], vcc
	s_cbranch_execz .LBB2452_103
.LBB2452_136:
	v_lshlrev_b32_e32 v0, 2, v32
	v_readfirstlane_b32 s2, v4
	v_readfirstlane_b32 s3, v5
	s_waitcnt lgkmcnt(5)
	s_nop 3
	global_store_dword v0, v13, s[2:3]
	s_or_b64 exec, exec, s[0:1]
	v_cmp_lt_u32_e32 vcc, v31, v40
	s_and_saveexec_b64 s[0:1], vcc
	s_cbranch_execz .LBB2452_104
.LBB2452_137:
	v_lshlrev_b32_e32 v0, 2, v31
	v_readfirstlane_b32 s2, v4
	v_readfirstlane_b32 s3, v5
	s_waitcnt lgkmcnt(4)
	s_nop 3
	global_store_dword v0, v10, s[2:3]
	s_or_b64 exec, exec, s[0:1]
	v_cmp_lt_u32_e32 vcc, v30, v40
	s_and_saveexec_b64 s[0:1], vcc
	s_cbranch_execz .LBB2452_105
.LBB2452_138:
	v_lshlrev_b32_e32 v0, 2, v30
	v_readfirstlane_b32 s2, v4
	v_readfirstlane_b32 s3, v5
	s_waitcnt lgkmcnt(4)
	s_nop 3
	global_store_dword v0, v11, s[2:3]
	s_or_b64 exec, exec, s[0:1]
	v_cmp_lt_u32_e32 vcc, v29, v40
	s_and_saveexec_b64 s[0:1], vcc
	s_cbranch_execz .LBB2452_106
.LBB2452_139:
	v_lshlrev_b32_e32 v0, 2, v29
	v_readfirstlane_b32 s2, v4
	v_readfirstlane_b32 s3, v5
	s_waitcnt lgkmcnt(3)
	s_nop 3
	global_store_dword v0, v8, s[2:3]
	s_or_b64 exec, exec, s[0:1]
	v_cmp_lt_u32_e32 vcc, v28, v40
	s_and_saveexec_b64 s[0:1], vcc
	s_cbranch_execz .LBB2452_107
.LBB2452_140:
	v_lshlrev_b32_e32 v0, 2, v28
	v_readfirstlane_b32 s2, v4
	v_readfirstlane_b32 s3, v5
	s_waitcnt lgkmcnt(3)
	s_nop 3
	global_store_dword v0, v9, s[2:3]
	s_or_b64 exec, exec, s[0:1]
	v_cmp_lt_u32_e32 vcc, v27, v40
	s_and_saveexec_b64 s[0:1], vcc
	s_cbranch_execz .LBB2452_108
.LBB2452_141:
	v_lshlrev_b32_e32 v0, 2, v27
	v_readfirstlane_b32 s2, v4
	v_readfirstlane_b32 s3, v5
	s_waitcnt lgkmcnt(2)
	s_nop 3
	global_store_dword v0, v6, s[2:3]
	s_or_b64 exec, exec, s[0:1]
	v_cmp_lt_u32_e32 vcc, v26, v40
	s_and_saveexec_b64 s[0:1], vcc
	s_cbranch_execz .LBB2452_109
.LBB2452_142:
	v_lshlrev_b32_e32 v0, 2, v26
	v_readfirstlane_b32 s2, v4
	v_readfirstlane_b32 s3, v5
	s_waitcnt lgkmcnt(2)
	s_nop 3
	global_store_dword v0, v7, s[2:3]
	s_or_b64 exec, exec, s[0:1]
	v_cmp_lt_u32_e32 vcc, v25, v40
	s_and_saveexec_b64 s[0:1], vcc
	s_cbranch_execz .LBB2452_110
.LBB2452_143:
	v_lshlrev_b32_e32 v0, 2, v25
	v_readfirstlane_b32 s2, v4
	v_readfirstlane_b32 s3, v5
	s_waitcnt lgkmcnt(1)
	s_nop 3
	global_store_dword v0, v2, s[2:3]
	s_or_b64 exec, exec, s[0:1]
	v_cmp_lt_u32_e32 vcc, v24, v40
	s_and_saveexec_b64 s[0:1], vcc
	s_cbranch_execnz .LBB2452_111
	s_branch .LBB2452_112
	.section	.rodata,"a",@progbits
	.p2align	6, 0x0
	.amdhsa_kernel _ZN7rocprim17ROCPRIM_400000_NS6detail17trampoline_kernelINS0_14default_configENS1_25partition_config_selectorILNS1_17partition_subalgoE0EjNS0_10empty_typeEbEEZZNS1_14partition_implILS5_0ELb0ES3_jN6thrust23THRUST_200600_302600_NS6detail15normal_iteratorINSA_10device_ptrIjEEEEPS6_SG_NS0_5tupleIJSF_NSA_16discard_iteratorINSA_11use_defaultEEEEEENSH_IJSG_SG_EEES6_PlJ7is_evenIjEEEE10hipError_tPvRmT3_T4_T5_T6_T7_T9_mT8_P12ihipStream_tbDpT10_ENKUlT_T0_E_clISt17integral_constantIbLb0EES18_IbLb1EEEEDaS14_S15_EUlS14_E_NS1_11comp_targetILNS1_3genE5ELNS1_11target_archE942ELNS1_3gpuE9ELNS1_3repE0EEENS1_30default_config_static_selectorELNS0_4arch9wavefront6targetE1EEEvT1_
		.amdhsa_group_segment_fixed_size 30728
		.amdhsa_private_segment_fixed_size 0
		.amdhsa_kernarg_size 144
		.amdhsa_user_sgpr_count 2
		.amdhsa_user_sgpr_dispatch_ptr 0
		.amdhsa_user_sgpr_queue_ptr 0
		.amdhsa_user_sgpr_kernarg_segment_ptr 1
		.amdhsa_user_sgpr_dispatch_id 0
		.amdhsa_user_sgpr_kernarg_preload_length 0
		.amdhsa_user_sgpr_kernarg_preload_offset 0
		.amdhsa_user_sgpr_private_segment_size 0
		.amdhsa_uses_dynamic_stack 0
		.amdhsa_enable_private_segment 0
		.amdhsa_system_sgpr_workgroup_id_x 1
		.amdhsa_system_sgpr_workgroup_id_y 0
		.amdhsa_system_sgpr_workgroup_id_z 0
		.amdhsa_system_sgpr_workgroup_info 0
		.amdhsa_system_vgpr_workitem_id 0
		.amdhsa_next_free_vgpr 78
		.amdhsa_next_free_sgpr 40
		.amdhsa_accum_offset 80
		.amdhsa_reserve_vcc 1
		.amdhsa_float_round_mode_32 0
		.amdhsa_float_round_mode_16_64 0
		.amdhsa_float_denorm_mode_32 3
		.amdhsa_float_denorm_mode_16_64 3
		.amdhsa_dx10_clamp 1
		.amdhsa_ieee_mode 1
		.amdhsa_fp16_overflow 0
		.amdhsa_tg_split 0
		.amdhsa_exception_fp_ieee_invalid_op 0
		.amdhsa_exception_fp_denorm_src 0
		.amdhsa_exception_fp_ieee_div_zero 0
		.amdhsa_exception_fp_ieee_overflow 0
		.amdhsa_exception_fp_ieee_underflow 0
		.amdhsa_exception_fp_ieee_inexact 0
		.amdhsa_exception_int_div_zero 0
	.end_amdhsa_kernel
	.section	.text._ZN7rocprim17ROCPRIM_400000_NS6detail17trampoline_kernelINS0_14default_configENS1_25partition_config_selectorILNS1_17partition_subalgoE0EjNS0_10empty_typeEbEEZZNS1_14partition_implILS5_0ELb0ES3_jN6thrust23THRUST_200600_302600_NS6detail15normal_iteratorINSA_10device_ptrIjEEEEPS6_SG_NS0_5tupleIJSF_NSA_16discard_iteratorINSA_11use_defaultEEEEEENSH_IJSG_SG_EEES6_PlJ7is_evenIjEEEE10hipError_tPvRmT3_T4_T5_T6_T7_T9_mT8_P12ihipStream_tbDpT10_ENKUlT_T0_E_clISt17integral_constantIbLb0EES18_IbLb1EEEEDaS14_S15_EUlS14_E_NS1_11comp_targetILNS1_3genE5ELNS1_11target_archE942ELNS1_3gpuE9ELNS1_3repE0EEENS1_30default_config_static_selectorELNS0_4arch9wavefront6targetE1EEEvT1_,"axG",@progbits,_ZN7rocprim17ROCPRIM_400000_NS6detail17trampoline_kernelINS0_14default_configENS1_25partition_config_selectorILNS1_17partition_subalgoE0EjNS0_10empty_typeEbEEZZNS1_14partition_implILS5_0ELb0ES3_jN6thrust23THRUST_200600_302600_NS6detail15normal_iteratorINSA_10device_ptrIjEEEEPS6_SG_NS0_5tupleIJSF_NSA_16discard_iteratorINSA_11use_defaultEEEEEENSH_IJSG_SG_EEES6_PlJ7is_evenIjEEEE10hipError_tPvRmT3_T4_T5_T6_T7_T9_mT8_P12ihipStream_tbDpT10_ENKUlT_T0_E_clISt17integral_constantIbLb0EES18_IbLb1EEEEDaS14_S15_EUlS14_E_NS1_11comp_targetILNS1_3genE5ELNS1_11target_archE942ELNS1_3gpuE9ELNS1_3repE0EEENS1_30default_config_static_selectorELNS0_4arch9wavefront6targetE1EEEvT1_,comdat
.Lfunc_end2452:
	.size	_ZN7rocprim17ROCPRIM_400000_NS6detail17trampoline_kernelINS0_14default_configENS1_25partition_config_selectorILNS1_17partition_subalgoE0EjNS0_10empty_typeEbEEZZNS1_14partition_implILS5_0ELb0ES3_jN6thrust23THRUST_200600_302600_NS6detail15normal_iteratorINSA_10device_ptrIjEEEEPS6_SG_NS0_5tupleIJSF_NSA_16discard_iteratorINSA_11use_defaultEEEEEENSH_IJSG_SG_EEES6_PlJ7is_evenIjEEEE10hipError_tPvRmT3_T4_T5_T6_T7_T9_mT8_P12ihipStream_tbDpT10_ENKUlT_T0_E_clISt17integral_constantIbLb0EES18_IbLb1EEEEDaS14_S15_EUlS14_E_NS1_11comp_targetILNS1_3genE5ELNS1_11target_archE942ELNS1_3gpuE9ELNS1_3repE0EEENS1_30default_config_static_selectorELNS0_4arch9wavefront6targetE1EEEvT1_, .Lfunc_end2452-_ZN7rocprim17ROCPRIM_400000_NS6detail17trampoline_kernelINS0_14default_configENS1_25partition_config_selectorILNS1_17partition_subalgoE0EjNS0_10empty_typeEbEEZZNS1_14partition_implILS5_0ELb0ES3_jN6thrust23THRUST_200600_302600_NS6detail15normal_iteratorINSA_10device_ptrIjEEEEPS6_SG_NS0_5tupleIJSF_NSA_16discard_iteratorINSA_11use_defaultEEEEEENSH_IJSG_SG_EEES6_PlJ7is_evenIjEEEE10hipError_tPvRmT3_T4_T5_T6_T7_T9_mT8_P12ihipStream_tbDpT10_ENKUlT_T0_E_clISt17integral_constantIbLb0EES18_IbLb1EEEEDaS14_S15_EUlS14_E_NS1_11comp_targetILNS1_3genE5ELNS1_11target_archE942ELNS1_3gpuE9ELNS1_3repE0EEENS1_30default_config_static_selectorELNS0_4arch9wavefront6targetE1EEEvT1_
                                        ; -- End function
	.section	.AMDGPU.csdata,"",@progbits
; Kernel info:
; codeLenInByte = 6852
; NumSgprs: 46
; NumVgprs: 78
; NumAgprs: 0
; TotalNumVgprs: 78
; ScratchSize: 0
; MemoryBound: 0
; FloatMode: 240
; IeeeMode: 1
; LDSByteSize: 30728 bytes/workgroup (compile time only)
; SGPRBlocks: 5
; VGPRBlocks: 9
; NumSGPRsForWavesPerEU: 46
; NumVGPRsForWavesPerEU: 78
; AccumOffset: 80
; Occupancy: 4
; WaveLimiterHint : 1
; COMPUTE_PGM_RSRC2:SCRATCH_EN: 0
; COMPUTE_PGM_RSRC2:USER_SGPR: 2
; COMPUTE_PGM_RSRC2:TRAP_HANDLER: 0
; COMPUTE_PGM_RSRC2:TGID_X_EN: 1
; COMPUTE_PGM_RSRC2:TGID_Y_EN: 0
; COMPUTE_PGM_RSRC2:TGID_Z_EN: 0
; COMPUTE_PGM_RSRC2:TIDIG_COMP_CNT: 0
; COMPUTE_PGM_RSRC3_GFX90A:ACCUM_OFFSET: 19
; COMPUTE_PGM_RSRC3_GFX90A:TG_SPLIT: 0
	.section	.text._ZN7rocprim17ROCPRIM_400000_NS6detail17trampoline_kernelINS0_14default_configENS1_25partition_config_selectorILNS1_17partition_subalgoE0EjNS0_10empty_typeEbEEZZNS1_14partition_implILS5_0ELb0ES3_jN6thrust23THRUST_200600_302600_NS6detail15normal_iteratorINSA_10device_ptrIjEEEEPS6_SG_NS0_5tupleIJSF_NSA_16discard_iteratorINSA_11use_defaultEEEEEENSH_IJSG_SG_EEES6_PlJ7is_evenIjEEEE10hipError_tPvRmT3_T4_T5_T6_T7_T9_mT8_P12ihipStream_tbDpT10_ENKUlT_T0_E_clISt17integral_constantIbLb0EES18_IbLb1EEEEDaS14_S15_EUlS14_E_NS1_11comp_targetILNS1_3genE4ELNS1_11target_archE910ELNS1_3gpuE8ELNS1_3repE0EEENS1_30default_config_static_selectorELNS0_4arch9wavefront6targetE1EEEvT1_,"axG",@progbits,_ZN7rocprim17ROCPRIM_400000_NS6detail17trampoline_kernelINS0_14default_configENS1_25partition_config_selectorILNS1_17partition_subalgoE0EjNS0_10empty_typeEbEEZZNS1_14partition_implILS5_0ELb0ES3_jN6thrust23THRUST_200600_302600_NS6detail15normal_iteratorINSA_10device_ptrIjEEEEPS6_SG_NS0_5tupleIJSF_NSA_16discard_iteratorINSA_11use_defaultEEEEEENSH_IJSG_SG_EEES6_PlJ7is_evenIjEEEE10hipError_tPvRmT3_T4_T5_T6_T7_T9_mT8_P12ihipStream_tbDpT10_ENKUlT_T0_E_clISt17integral_constantIbLb0EES18_IbLb1EEEEDaS14_S15_EUlS14_E_NS1_11comp_targetILNS1_3genE4ELNS1_11target_archE910ELNS1_3gpuE8ELNS1_3repE0EEENS1_30default_config_static_selectorELNS0_4arch9wavefront6targetE1EEEvT1_,comdat
	.protected	_ZN7rocprim17ROCPRIM_400000_NS6detail17trampoline_kernelINS0_14default_configENS1_25partition_config_selectorILNS1_17partition_subalgoE0EjNS0_10empty_typeEbEEZZNS1_14partition_implILS5_0ELb0ES3_jN6thrust23THRUST_200600_302600_NS6detail15normal_iteratorINSA_10device_ptrIjEEEEPS6_SG_NS0_5tupleIJSF_NSA_16discard_iteratorINSA_11use_defaultEEEEEENSH_IJSG_SG_EEES6_PlJ7is_evenIjEEEE10hipError_tPvRmT3_T4_T5_T6_T7_T9_mT8_P12ihipStream_tbDpT10_ENKUlT_T0_E_clISt17integral_constantIbLb0EES18_IbLb1EEEEDaS14_S15_EUlS14_E_NS1_11comp_targetILNS1_3genE4ELNS1_11target_archE910ELNS1_3gpuE8ELNS1_3repE0EEENS1_30default_config_static_selectorELNS0_4arch9wavefront6targetE1EEEvT1_ ; -- Begin function _ZN7rocprim17ROCPRIM_400000_NS6detail17trampoline_kernelINS0_14default_configENS1_25partition_config_selectorILNS1_17partition_subalgoE0EjNS0_10empty_typeEbEEZZNS1_14partition_implILS5_0ELb0ES3_jN6thrust23THRUST_200600_302600_NS6detail15normal_iteratorINSA_10device_ptrIjEEEEPS6_SG_NS0_5tupleIJSF_NSA_16discard_iteratorINSA_11use_defaultEEEEEENSH_IJSG_SG_EEES6_PlJ7is_evenIjEEEE10hipError_tPvRmT3_T4_T5_T6_T7_T9_mT8_P12ihipStream_tbDpT10_ENKUlT_T0_E_clISt17integral_constantIbLb0EES18_IbLb1EEEEDaS14_S15_EUlS14_E_NS1_11comp_targetILNS1_3genE4ELNS1_11target_archE910ELNS1_3gpuE8ELNS1_3repE0EEENS1_30default_config_static_selectorELNS0_4arch9wavefront6targetE1EEEvT1_
	.globl	_ZN7rocprim17ROCPRIM_400000_NS6detail17trampoline_kernelINS0_14default_configENS1_25partition_config_selectorILNS1_17partition_subalgoE0EjNS0_10empty_typeEbEEZZNS1_14partition_implILS5_0ELb0ES3_jN6thrust23THRUST_200600_302600_NS6detail15normal_iteratorINSA_10device_ptrIjEEEEPS6_SG_NS0_5tupleIJSF_NSA_16discard_iteratorINSA_11use_defaultEEEEEENSH_IJSG_SG_EEES6_PlJ7is_evenIjEEEE10hipError_tPvRmT3_T4_T5_T6_T7_T9_mT8_P12ihipStream_tbDpT10_ENKUlT_T0_E_clISt17integral_constantIbLb0EES18_IbLb1EEEEDaS14_S15_EUlS14_E_NS1_11comp_targetILNS1_3genE4ELNS1_11target_archE910ELNS1_3gpuE8ELNS1_3repE0EEENS1_30default_config_static_selectorELNS0_4arch9wavefront6targetE1EEEvT1_
	.p2align	8
	.type	_ZN7rocprim17ROCPRIM_400000_NS6detail17trampoline_kernelINS0_14default_configENS1_25partition_config_selectorILNS1_17partition_subalgoE0EjNS0_10empty_typeEbEEZZNS1_14partition_implILS5_0ELb0ES3_jN6thrust23THRUST_200600_302600_NS6detail15normal_iteratorINSA_10device_ptrIjEEEEPS6_SG_NS0_5tupleIJSF_NSA_16discard_iteratorINSA_11use_defaultEEEEEENSH_IJSG_SG_EEES6_PlJ7is_evenIjEEEE10hipError_tPvRmT3_T4_T5_T6_T7_T9_mT8_P12ihipStream_tbDpT10_ENKUlT_T0_E_clISt17integral_constantIbLb0EES18_IbLb1EEEEDaS14_S15_EUlS14_E_NS1_11comp_targetILNS1_3genE4ELNS1_11target_archE910ELNS1_3gpuE8ELNS1_3repE0EEENS1_30default_config_static_selectorELNS0_4arch9wavefront6targetE1EEEvT1_,@function
_ZN7rocprim17ROCPRIM_400000_NS6detail17trampoline_kernelINS0_14default_configENS1_25partition_config_selectorILNS1_17partition_subalgoE0EjNS0_10empty_typeEbEEZZNS1_14partition_implILS5_0ELb0ES3_jN6thrust23THRUST_200600_302600_NS6detail15normal_iteratorINSA_10device_ptrIjEEEEPS6_SG_NS0_5tupleIJSF_NSA_16discard_iteratorINSA_11use_defaultEEEEEENSH_IJSG_SG_EEES6_PlJ7is_evenIjEEEE10hipError_tPvRmT3_T4_T5_T6_T7_T9_mT8_P12ihipStream_tbDpT10_ENKUlT_T0_E_clISt17integral_constantIbLb0EES18_IbLb1EEEEDaS14_S15_EUlS14_E_NS1_11comp_targetILNS1_3genE4ELNS1_11target_archE910ELNS1_3gpuE8ELNS1_3repE0EEENS1_30default_config_static_selectorELNS0_4arch9wavefront6targetE1EEEvT1_: ; @_ZN7rocprim17ROCPRIM_400000_NS6detail17trampoline_kernelINS0_14default_configENS1_25partition_config_selectorILNS1_17partition_subalgoE0EjNS0_10empty_typeEbEEZZNS1_14partition_implILS5_0ELb0ES3_jN6thrust23THRUST_200600_302600_NS6detail15normal_iteratorINSA_10device_ptrIjEEEEPS6_SG_NS0_5tupleIJSF_NSA_16discard_iteratorINSA_11use_defaultEEEEEENSH_IJSG_SG_EEES6_PlJ7is_evenIjEEEE10hipError_tPvRmT3_T4_T5_T6_T7_T9_mT8_P12ihipStream_tbDpT10_ENKUlT_T0_E_clISt17integral_constantIbLb0EES18_IbLb1EEEEDaS14_S15_EUlS14_E_NS1_11comp_targetILNS1_3genE4ELNS1_11target_archE910ELNS1_3gpuE8ELNS1_3repE0EEENS1_30default_config_static_selectorELNS0_4arch9wavefront6targetE1EEEvT1_
; %bb.0:
	.section	.rodata,"a",@progbits
	.p2align	6, 0x0
	.amdhsa_kernel _ZN7rocprim17ROCPRIM_400000_NS6detail17trampoline_kernelINS0_14default_configENS1_25partition_config_selectorILNS1_17partition_subalgoE0EjNS0_10empty_typeEbEEZZNS1_14partition_implILS5_0ELb0ES3_jN6thrust23THRUST_200600_302600_NS6detail15normal_iteratorINSA_10device_ptrIjEEEEPS6_SG_NS0_5tupleIJSF_NSA_16discard_iteratorINSA_11use_defaultEEEEEENSH_IJSG_SG_EEES6_PlJ7is_evenIjEEEE10hipError_tPvRmT3_T4_T5_T6_T7_T9_mT8_P12ihipStream_tbDpT10_ENKUlT_T0_E_clISt17integral_constantIbLb0EES18_IbLb1EEEEDaS14_S15_EUlS14_E_NS1_11comp_targetILNS1_3genE4ELNS1_11target_archE910ELNS1_3gpuE8ELNS1_3repE0EEENS1_30default_config_static_selectorELNS0_4arch9wavefront6targetE1EEEvT1_
		.amdhsa_group_segment_fixed_size 0
		.amdhsa_private_segment_fixed_size 0
		.amdhsa_kernarg_size 144
		.amdhsa_user_sgpr_count 2
		.amdhsa_user_sgpr_dispatch_ptr 0
		.amdhsa_user_sgpr_queue_ptr 0
		.amdhsa_user_sgpr_kernarg_segment_ptr 1
		.amdhsa_user_sgpr_dispatch_id 0
		.amdhsa_user_sgpr_kernarg_preload_length 0
		.amdhsa_user_sgpr_kernarg_preload_offset 0
		.amdhsa_user_sgpr_private_segment_size 0
		.amdhsa_uses_dynamic_stack 0
		.amdhsa_enable_private_segment 0
		.amdhsa_system_sgpr_workgroup_id_x 1
		.amdhsa_system_sgpr_workgroup_id_y 0
		.amdhsa_system_sgpr_workgroup_id_z 0
		.amdhsa_system_sgpr_workgroup_info 0
		.amdhsa_system_vgpr_workitem_id 0
		.amdhsa_next_free_vgpr 1
		.amdhsa_next_free_sgpr 0
		.amdhsa_accum_offset 4
		.amdhsa_reserve_vcc 0
		.amdhsa_float_round_mode_32 0
		.amdhsa_float_round_mode_16_64 0
		.amdhsa_float_denorm_mode_32 3
		.amdhsa_float_denorm_mode_16_64 3
		.amdhsa_dx10_clamp 1
		.amdhsa_ieee_mode 1
		.amdhsa_fp16_overflow 0
		.amdhsa_tg_split 0
		.amdhsa_exception_fp_ieee_invalid_op 0
		.amdhsa_exception_fp_denorm_src 0
		.amdhsa_exception_fp_ieee_div_zero 0
		.amdhsa_exception_fp_ieee_overflow 0
		.amdhsa_exception_fp_ieee_underflow 0
		.amdhsa_exception_fp_ieee_inexact 0
		.amdhsa_exception_int_div_zero 0
	.end_amdhsa_kernel
	.section	.text._ZN7rocprim17ROCPRIM_400000_NS6detail17trampoline_kernelINS0_14default_configENS1_25partition_config_selectorILNS1_17partition_subalgoE0EjNS0_10empty_typeEbEEZZNS1_14partition_implILS5_0ELb0ES3_jN6thrust23THRUST_200600_302600_NS6detail15normal_iteratorINSA_10device_ptrIjEEEEPS6_SG_NS0_5tupleIJSF_NSA_16discard_iteratorINSA_11use_defaultEEEEEENSH_IJSG_SG_EEES6_PlJ7is_evenIjEEEE10hipError_tPvRmT3_T4_T5_T6_T7_T9_mT8_P12ihipStream_tbDpT10_ENKUlT_T0_E_clISt17integral_constantIbLb0EES18_IbLb1EEEEDaS14_S15_EUlS14_E_NS1_11comp_targetILNS1_3genE4ELNS1_11target_archE910ELNS1_3gpuE8ELNS1_3repE0EEENS1_30default_config_static_selectorELNS0_4arch9wavefront6targetE1EEEvT1_,"axG",@progbits,_ZN7rocprim17ROCPRIM_400000_NS6detail17trampoline_kernelINS0_14default_configENS1_25partition_config_selectorILNS1_17partition_subalgoE0EjNS0_10empty_typeEbEEZZNS1_14partition_implILS5_0ELb0ES3_jN6thrust23THRUST_200600_302600_NS6detail15normal_iteratorINSA_10device_ptrIjEEEEPS6_SG_NS0_5tupleIJSF_NSA_16discard_iteratorINSA_11use_defaultEEEEEENSH_IJSG_SG_EEES6_PlJ7is_evenIjEEEE10hipError_tPvRmT3_T4_T5_T6_T7_T9_mT8_P12ihipStream_tbDpT10_ENKUlT_T0_E_clISt17integral_constantIbLb0EES18_IbLb1EEEEDaS14_S15_EUlS14_E_NS1_11comp_targetILNS1_3genE4ELNS1_11target_archE910ELNS1_3gpuE8ELNS1_3repE0EEENS1_30default_config_static_selectorELNS0_4arch9wavefront6targetE1EEEvT1_,comdat
.Lfunc_end2453:
	.size	_ZN7rocprim17ROCPRIM_400000_NS6detail17trampoline_kernelINS0_14default_configENS1_25partition_config_selectorILNS1_17partition_subalgoE0EjNS0_10empty_typeEbEEZZNS1_14partition_implILS5_0ELb0ES3_jN6thrust23THRUST_200600_302600_NS6detail15normal_iteratorINSA_10device_ptrIjEEEEPS6_SG_NS0_5tupleIJSF_NSA_16discard_iteratorINSA_11use_defaultEEEEEENSH_IJSG_SG_EEES6_PlJ7is_evenIjEEEE10hipError_tPvRmT3_T4_T5_T6_T7_T9_mT8_P12ihipStream_tbDpT10_ENKUlT_T0_E_clISt17integral_constantIbLb0EES18_IbLb1EEEEDaS14_S15_EUlS14_E_NS1_11comp_targetILNS1_3genE4ELNS1_11target_archE910ELNS1_3gpuE8ELNS1_3repE0EEENS1_30default_config_static_selectorELNS0_4arch9wavefront6targetE1EEEvT1_, .Lfunc_end2453-_ZN7rocprim17ROCPRIM_400000_NS6detail17trampoline_kernelINS0_14default_configENS1_25partition_config_selectorILNS1_17partition_subalgoE0EjNS0_10empty_typeEbEEZZNS1_14partition_implILS5_0ELb0ES3_jN6thrust23THRUST_200600_302600_NS6detail15normal_iteratorINSA_10device_ptrIjEEEEPS6_SG_NS0_5tupleIJSF_NSA_16discard_iteratorINSA_11use_defaultEEEEEENSH_IJSG_SG_EEES6_PlJ7is_evenIjEEEE10hipError_tPvRmT3_T4_T5_T6_T7_T9_mT8_P12ihipStream_tbDpT10_ENKUlT_T0_E_clISt17integral_constantIbLb0EES18_IbLb1EEEEDaS14_S15_EUlS14_E_NS1_11comp_targetILNS1_3genE4ELNS1_11target_archE910ELNS1_3gpuE8ELNS1_3repE0EEENS1_30default_config_static_selectorELNS0_4arch9wavefront6targetE1EEEvT1_
                                        ; -- End function
	.section	.AMDGPU.csdata,"",@progbits
; Kernel info:
; codeLenInByte = 0
; NumSgprs: 6
; NumVgprs: 0
; NumAgprs: 0
; TotalNumVgprs: 0
; ScratchSize: 0
; MemoryBound: 0
; FloatMode: 240
; IeeeMode: 1
; LDSByteSize: 0 bytes/workgroup (compile time only)
; SGPRBlocks: 0
; VGPRBlocks: 0
; NumSGPRsForWavesPerEU: 6
; NumVGPRsForWavesPerEU: 1
; AccumOffset: 4
; Occupancy: 8
; WaveLimiterHint : 0
; COMPUTE_PGM_RSRC2:SCRATCH_EN: 0
; COMPUTE_PGM_RSRC2:USER_SGPR: 2
; COMPUTE_PGM_RSRC2:TRAP_HANDLER: 0
; COMPUTE_PGM_RSRC2:TGID_X_EN: 1
; COMPUTE_PGM_RSRC2:TGID_Y_EN: 0
; COMPUTE_PGM_RSRC2:TGID_Z_EN: 0
; COMPUTE_PGM_RSRC2:TIDIG_COMP_CNT: 0
; COMPUTE_PGM_RSRC3_GFX90A:ACCUM_OFFSET: 0
; COMPUTE_PGM_RSRC3_GFX90A:TG_SPLIT: 0
	.section	.text._ZN7rocprim17ROCPRIM_400000_NS6detail17trampoline_kernelINS0_14default_configENS1_25partition_config_selectorILNS1_17partition_subalgoE0EjNS0_10empty_typeEbEEZZNS1_14partition_implILS5_0ELb0ES3_jN6thrust23THRUST_200600_302600_NS6detail15normal_iteratorINSA_10device_ptrIjEEEEPS6_SG_NS0_5tupleIJSF_NSA_16discard_iteratorINSA_11use_defaultEEEEEENSH_IJSG_SG_EEES6_PlJ7is_evenIjEEEE10hipError_tPvRmT3_T4_T5_T6_T7_T9_mT8_P12ihipStream_tbDpT10_ENKUlT_T0_E_clISt17integral_constantIbLb0EES18_IbLb1EEEEDaS14_S15_EUlS14_E_NS1_11comp_targetILNS1_3genE3ELNS1_11target_archE908ELNS1_3gpuE7ELNS1_3repE0EEENS1_30default_config_static_selectorELNS0_4arch9wavefront6targetE1EEEvT1_,"axG",@progbits,_ZN7rocprim17ROCPRIM_400000_NS6detail17trampoline_kernelINS0_14default_configENS1_25partition_config_selectorILNS1_17partition_subalgoE0EjNS0_10empty_typeEbEEZZNS1_14partition_implILS5_0ELb0ES3_jN6thrust23THRUST_200600_302600_NS6detail15normal_iteratorINSA_10device_ptrIjEEEEPS6_SG_NS0_5tupleIJSF_NSA_16discard_iteratorINSA_11use_defaultEEEEEENSH_IJSG_SG_EEES6_PlJ7is_evenIjEEEE10hipError_tPvRmT3_T4_T5_T6_T7_T9_mT8_P12ihipStream_tbDpT10_ENKUlT_T0_E_clISt17integral_constantIbLb0EES18_IbLb1EEEEDaS14_S15_EUlS14_E_NS1_11comp_targetILNS1_3genE3ELNS1_11target_archE908ELNS1_3gpuE7ELNS1_3repE0EEENS1_30default_config_static_selectorELNS0_4arch9wavefront6targetE1EEEvT1_,comdat
	.protected	_ZN7rocprim17ROCPRIM_400000_NS6detail17trampoline_kernelINS0_14default_configENS1_25partition_config_selectorILNS1_17partition_subalgoE0EjNS0_10empty_typeEbEEZZNS1_14partition_implILS5_0ELb0ES3_jN6thrust23THRUST_200600_302600_NS6detail15normal_iteratorINSA_10device_ptrIjEEEEPS6_SG_NS0_5tupleIJSF_NSA_16discard_iteratorINSA_11use_defaultEEEEEENSH_IJSG_SG_EEES6_PlJ7is_evenIjEEEE10hipError_tPvRmT3_T4_T5_T6_T7_T9_mT8_P12ihipStream_tbDpT10_ENKUlT_T0_E_clISt17integral_constantIbLb0EES18_IbLb1EEEEDaS14_S15_EUlS14_E_NS1_11comp_targetILNS1_3genE3ELNS1_11target_archE908ELNS1_3gpuE7ELNS1_3repE0EEENS1_30default_config_static_selectorELNS0_4arch9wavefront6targetE1EEEvT1_ ; -- Begin function _ZN7rocprim17ROCPRIM_400000_NS6detail17trampoline_kernelINS0_14default_configENS1_25partition_config_selectorILNS1_17partition_subalgoE0EjNS0_10empty_typeEbEEZZNS1_14partition_implILS5_0ELb0ES3_jN6thrust23THRUST_200600_302600_NS6detail15normal_iteratorINSA_10device_ptrIjEEEEPS6_SG_NS0_5tupleIJSF_NSA_16discard_iteratorINSA_11use_defaultEEEEEENSH_IJSG_SG_EEES6_PlJ7is_evenIjEEEE10hipError_tPvRmT3_T4_T5_T6_T7_T9_mT8_P12ihipStream_tbDpT10_ENKUlT_T0_E_clISt17integral_constantIbLb0EES18_IbLb1EEEEDaS14_S15_EUlS14_E_NS1_11comp_targetILNS1_3genE3ELNS1_11target_archE908ELNS1_3gpuE7ELNS1_3repE0EEENS1_30default_config_static_selectorELNS0_4arch9wavefront6targetE1EEEvT1_
	.globl	_ZN7rocprim17ROCPRIM_400000_NS6detail17trampoline_kernelINS0_14default_configENS1_25partition_config_selectorILNS1_17partition_subalgoE0EjNS0_10empty_typeEbEEZZNS1_14partition_implILS5_0ELb0ES3_jN6thrust23THRUST_200600_302600_NS6detail15normal_iteratorINSA_10device_ptrIjEEEEPS6_SG_NS0_5tupleIJSF_NSA_16discard_iteratorINSA_11use_defaultEEEEEENSH_IJSG_SG_EEES6_PlJ7is_evenIjEEEE10hipError_tPvRmT3_T4_T5_T6_T7_T9_mT8_P12ihipStream_tbDpT10_ENKUlT_T0_E_clISt17integral_constantIbLb0EES18_IbLb1EEEEDaS14_S15_EUlS14_E_NS1_11comp_targetILNS1_3genE3ELNS1_11target_archE908ELNS1_3gpuE7ELNS1_3repE0EEENS1_30default_config_static_selectorELNS0_4arch9wavefront6targetE1EEEvT1_
	.p2align	8
	.type	_ZN7rocprim17ROCPRIM_400000_NS6detail17trampoline_kernelINS0_14default_configENS1_25partition_config_selectorILNS1_17partition_subalgoE0EjNS0_10empty_typeEbEEZZNS1_14partition_implILS5_0ELb0ES3_jN6thrust23THRUST_200600_302600_NS6detail15normal_iteratorINSA_10device_ptrIjEEEEPS6_SG_NS0_5tupleIJSF_NSA_16discard_iteratorINSA_11use_defaultEEEEEENSH_IJSG_SG_EEES6_PlJ7is_evenIjEEEE10hipError_tPvRmT3_T4_T5_T6_T7_T9_mT8_P12ihipStream_tbDpT10_ENKUlT_T0_E_clISt17integral_constantIbLb0EES18_IbLb1EEEEDaS14_S15_EUlS14_E_NS1_11comp_targetILNS1_3genE3ELNS1_11target_archE908ELNS1_3gpuE7ELNS1_3repE0EEENS1_30default_config_static_selectorELNS0_4arch9wavefront6targetE1EEEvT1_,@function
_ZN7rocprim17ROCPRIM_400000_NS6detail17trampoline_kernelINS0_14default_configENS1_25partition_config_selectorILNS1_17partition_subalgoE0EjNS0_10empty_typeEbEEZZNS1_14partition_implILS5_0ELb0ES3_jN6thrust23THRUST_200600_302600_NS6detail15normal_iteratorINSA_10device_ptrIjEEEEPS6_SG_NS0_5tupleIJSF_NSA_16discard_iteratorINSA_11use_defaultEEEEEENSH_IJSG_SG_EEES6_PlJ7is_evenIjEEEE10hipError_tPvRmT3_T4_T5_T6_T7_T9_mT8_P12ihipStream_tbDpT10_ENKUlT_T0_E_clISt17integral_constantIbLb0EES18_IbLb1EEEEDaS14_S15_EUlS14_E_NS1_11comp_targetILNS1_3genE3ELNS1_11target_archE908ELNS1_3gpuE7ELNS1_3repE0EEENS1_30default_config_static_selectorELNS0_4arch9wavefront6targetE1EEEvT1_: ; @_ZN7rocprim17ROCPRIM_400000_NS6detail17trampoline_kernelINS0_14default_configENS1_25partition_config_selectorILNS1_17partition_subalgoE0EjNS0_10empty_typeEbEEZZNS1_14partition_implILS5_0ELb0ES3_jN6thrust23THRUST_200600_302600_NS6detail15normal_iteratorINSA_10device_ptrIjEEEEPS6_SG_NS0_5tupleIJSF_NSA_16discard_iteratorINSA_11use_defaultEEEEEENSH_IJSG_SG_EEES6_PlJ7is_evenIjEEEE10hipError_tPvRmT3_T4_T5_T6_T7_T9_mT8_P12ihipStream_tbDpT10_ENKUlT_T0_E_clISt17integral_constantIbLb0EES18_IbLb1EEEEDaS14_S15_EUlS14_E_NS1_11comp_targetILNS1_3genE3ELNS1_11target_archE908ELNS1_3gpuE7ELNS1_3repE0EEENS1_30default_config_static_selectorELNS0_4arch9wavefront6targetE1EEEvT1_
; %bb.0:
	.section	.rodata,"a",@progbits
	.p2align	6, 0x0
	.amdhsa_kernel _ZN7rocprim17ROCPRIM_400000_NS6detail17trampoline_kernelINS0_14default_configENS1_25partition_config_selectorILNS1_17partition_subalgoE0EjNS0_10empty_typeEbEEZZNS1_14partition_implILS5_0ELb0ES3_jN6thrust23THRUST_200600_302600_NS6detail15normal_iteratorINSA_10device_ptrIjEEEEPS6_SG_NS0_5tupleIJSF_NSA_16discard_iteratorINSA_11use_defaultEEEEEENSH_IJSG_SG_EEES6_PlJ7is_evenIjEEEE10hipError_tPvRmT3_T4_T5_T6_T7_T9_mT8_P12ihipStream_tbDpT10_ENKUlT_T0_E_clISt17integral_constantIbLb0EES18_IbLb1EEEEDaS14_S15_EUlS14_E_NS1_11comp_targetILNS1_3genE3ELNS1_11target_archE908ELNS1_3gpuE7ELNS1_3repE0EEENS1_30default_config_static_selectorELNS0_4arch9wavefront6targetE1EEEvT1_
		.amdhsa_group_segment_fixed_size 0
		.amdhsa_private_segment_fixed_size 0
		.amdhsa_kernarg_size 144
		.amdhsa_user_sgpr_count 2
		.amdhsa_user_sgpr_dispatch_ptr 0
		.amdhsa_user_sgpr_queue_ptr 0
		.amdhsa_user_sgpr_kernarg_segment_ptr 1
		.amdhsa_user_sgpr_dispatch_id 0
		.amdhsa_user_sgpr_kernarg_preload_length 0
		.amdhsa_user_sgpr_kernarg_preload_offset 0
		.amdhsa_user_sgpr_private_segment_size 0
		.amdhsa_uses_dynamic_stack 0
		.amdhsa_enable_private_segment 0
		.amdhsa_system_sgpr_workgroup_id_x 1
		.amdhsa_system_sgpr_workgroup_id_y 0
		.amdhsa_system_sgpr_workgroup_id_z 0
		.amdhsa_system_sgpr_workgroup_info 0
		.amdhsa_system_vgpr_workitem_id 0
		.amdhsa_next_free_vgpr 1
		.amdhsa_next_free_sgpr 0
		.amdhsa_accum_offset 4
		.amdhsa_reserve_vcc 0
		.amdhsa_float_round_mode_32 0
		.amdhsa_float_round_mode_16_64 0
		.amdhsa_float_denorm_mode_32 3
		.amdhsa_float_denorm_mode_16_64 3
		.amdhsa_dx10_clamp 1
		.amdhsa_ieee_mode 1
		.amdhsa_fp16_overflow 0
		.amdhsa_tg_split 0
		.amdhsa_exception_fp_ieee_invalid_op 0
		.amdhsa_exception_fp_denorm_src 0
		.amdhsa_exception_fp_ieee_div_zero 0
		.amdhsa_exception_fp_ieee_overflow 0
		.amdhsa_exception_fp_ieee_underflow 0
		.amdhsa_exception_fp_ieee_inexact 0
		.amdhsa_exception_int_div_zero 0
	.end_amdhsa_kernel
	.section	.text._ZN7rocprim17ROCPRIM_400000_NS6detail17trampoline_kernelINS0_14default_configENS1_25partition_config_selectorILNS1_17partition_subalgoE0EjNS0_10empty_typeEbEEZZNS1_14partition_implILS5_0ELb0ES3_jN6thrust23THRUST_200600_302600_NS6detail15normal_iteratorINSA_10device_ptrIjEEEEPS6_SG_NS0_5tupleIJSF_NSA_16discard_iteratorINSA_11use_defaultEEEEEENSH_IJSG_SG_EEES6_PlJ7is_evenIjEEEE10hipError_tPvRmT3_T4_T5_T6_T7_T9_mT8_P12ihipStream_tbDpT10_ENKUlT_T0_E_clISt17integral_constantIbLb0EES18_IbLb1EEEEDaS14_S15_EUlS14_E_NS1_11comp_targetILNS1_3genE3ELNS1_11target_archE908ELNS1_3gpuE7ELNS1_3repE0EEENS1_30default_config_static_selectorELNS0_4arch9wavefront6targetE1EEEvT1_,"axG",@progbits,_ZN7rocprim17ROCPRIM_400000_NS6detail17trampoline_kernelINS0_14default_configENS1_25partition_config_selectorILNS1_17partition_subalgoE0EjNS0_10empty_typeEbEEZZNS1_14partition_implILS5_0ELb0ES3_jN6thrust23THRUST_200600_302600_NS6detail15normal_iteratorINSA_10device_ptrIjEEEEPS6_SG_NS0_5tupleIJSF_NSA_16discard_iteratorINSA_11use_defaultEEEEEENSH_IJSG_SG_EEES6_PlJ7is_evenIjEEEE10hipError_tPvRmT3_T4_T5_T6_T7_T9_mT8_P12ihipStream_tbDpT10_ENKUlT_T0_E_clISt17integral_constantIbLb0EES18_IbLb1EEEEDaS14_S15_EUlS14_E_NS1_11comp_targetILNS1_3genE3ELNS1_11target_archE908ELNS1_3gpuE7ELNS1_3repE0EEENS1_30default_config_static_selectorELNS0_4arch9wavefront6targetE1EEEvT1_,comdat
.Lfunc_end2454:
	.size	_ZN7rocprim17ROCPRIM_400000_NS6detail17trampoline_kernelINS0_14default_configENS1_25partition_config_selectorILNS1_17partition_subalgoE0EjNS0_10empty_typeEbEEZZNS1_14partition_implILS5_0ELb0ES3_jN6thrust23THRUST_200600_302600_NS6detail15normal_iteratorINSA_10device_ptrIjEEEEPS6_SG_NS0_5tupleIJSF_NSA_16discard_iteratorINSA_11use_defaultEEEEEENSH_IJSG_SG_EEES6_PlJ7is_evenIjEEEE10hipError_tPvRmT3_T4_T5_T6_T7_T9_mT8_P12ihipStream_tbDpT10_ENKUlT_T0_E_clISt17integral_constantIbLb0EES18_IbLb1EEEEDaS14_S15_EUlS14_E_NS1_11comp_targetILNS1_3genE3ELNS1_11target_archE908ELNS1_3gpuE7ELNS1_3repE0EEENS1_30default_config_static_selectorELNS0_4arch9wavefront6targetE1EEEvT1_, .Lfunc_end2454-_ZN7rocprim17ROCPRIM_400000_NS6detail17trampoline_kernelINS0_14default_configENS1_25partition_config_selectorILNS1_17partition_subalgoE0EjNS0_10empty_typeEbEEZZNS1_14partition_implILS5_0ELb0ES3_jN6thrust23THRUST_200600_302600_NS6detail15normal_iteratorINSA_10device_ptrIjEEEEPS6_SG_NS0_5tupleIJSF_NSA_16discard_iteratorINSA_11use_defaultEEEEEENSH_IJSG_SG_EEES6_PlJ7is_evenIjEEEE10hipError_tPvRmT3_T4_T5_T6_T7_T9_mT8_P12ihipStream_tbDpT10_ENKUlT_T0_E_clISt17integral_constantIbLb0EES18_IbLb1EEEEDaS14_S15_EUlS14_E_NS1_11comp_targetILNS1_3genE3ELNS1_11target_archE908ELNS1_3gpuE7ELNS1_3repE0EEENS1_30default_config_static_selectorELNS0_4arch9wavefront6targetE1EEEvT1_
                                        ; -- End function
	.section	.AMDGPU.csdata,"",@progbits
; Kernel info:
; codeLenInByte = 0
; NumSgprs: 6
; NumVgprs: 0
; NumAgprs: 0
; TotalNumVgprs: 0
; ScratchSize: 0
; MemoryBound: 0
; FloatMode: 240
; IeeeMode: 1
; LDSByteSize: 0 bytes/workgroup (compile time only)
; SGPRBlocks: 0
; VGPRBlocks: 0
; NumSGPRsForWavesPerEU: 6
; NumVGPRsForWavesPerEU: 1
; AccumOffset: 4
; Occupancy: 8
; WaveLimiterHint : 0
; COMPUTE_PGM_RSRC2:SCRATCH_EN: 0
; COMPUTE_PGM_RSRC2:USER_SGPR: 2
; COMPUTE_PGM_RSRC2:TRAP_HANDLER: 0
; COMPUTE_PGM_RSRC2:TGID_X_EN: 1
; COMPUTE_PGM_RSRC2:TGID_Y_EN: 0
; COMPUTE_PGM_RSRC2:TGID_Z_EN: 0
; COMPUTE_PGM_RSRC2:TIDIG_COMP_CNT: 0
; COMPUTE_PGM_RSRC3_GFX90A:ACCUM_OFFSET: 0
; COMPUTE_PGM_RSRC3_GFX90A:TG_SPLIT: 0
	.section	.text._ZN7rocprim17ROCPRIM_400000_NS6detail17trampoline_kernelINS0_14default_configENS1_25partition_config_selectorILNS1_17partition_subalgoE0EjNS0_10empty_typeEbEEZZNS1_14partition_implILS5_0ELb0ES3_jN6thrust23THRUST_200600_302600_NS6detail15normal_iteratorINSA_10device_ptrIjEEEEPS6_SG_NS0_5tupleIJSF_NSA_16discard_iteratorINSA_11use_defaultEEEEEENSH_IJSG_SG_EEES6_PlJ7is_evenIjEEEE10hipError_tPvRmT3_T4_T5_T6_T7_T9_mT8_P12ihipStream_tbDpT10_ENKUlT_T0_E_clISt17integral_constantIbLb0EES18_IbLb1EEEEDaS14_S15_EUlS14_E_NS1_11comp_targetILNS1_3genE2ELNS1_11target_archE906ELNS1_3gpuE6ELNS1_3repE0EEENS1_30default_config_static_selectorELNS0_4arch9wavefront6targetE1EEEvT1_,"axG",@progbits,_ZN7rocprim17ROCPRIM_400000_NS6detail17trampoline_kernelINS0_14default_configENS1_25partition_config_selectorILNS1_17partition_subalgoE0EjNS0_10empty_typeEbEEZZNS1_14partition_implILS5_0ELb0ES3_jN6thrust23THRUST_200600_302600_NS6detail15normal_iteratorINSA_10device_ptrIjEEEEPS6_SG_NS0_5tupleIJSF_NSA_16discard_iteratorINSA_11use_defaultEEEEEENSH_IJSG_SG_EEES6_PlJ7is_evenIjEEEE10hipError_tPvRmT3_T4_T5_T6_T7_T9_mT8_P12ihipStream_tbDpT10_ENKUlT_T0_E_clISt17integral_constantIbLb0EES18_IbLb1EEEEDaS14_S15_EUlS14_E_NS1_11comp_targetILNS1_3genE2ELNS1_11target_archE906ELNS1_3gpuE6ELNS1_3repE0EEENS1_30default_config_static_selectorELNS0_4arch9wavefront6targetE1EEEvT1_,comdat
	.protected	_ZN7rocprim17ROCPRIM_400000_NS6detail17trampoline_kernelINS0_14default_configENS1_25partition_config_selectorILNS1_17partition_subalgoE0EjNS0_10empty_typeEbEEZZNS1_14partition_implILS5_0ELb0ES3_jN6thrust23THRUST_200600_302600_NS6detail15normal_iteratorINSA_10device_ptrIjEEEEPS6_SG_NS0_5tupleIJSF_NSA_16discard_iteratorINSA_11use_defaultEEEEEENSH_IJSG_SG_EEES6_PlJ7is_evenIjEEEE10hipError_tPvRmT3_T4_T5_T6_T7_T9_mT8_P12ihipStream_tbDpT10_ENKUlT_T0_E_clISt17integral_constantIbLb0EES18_IbLb1EEEEDaS14_S15_EUlS14_E_NS1_11comp_targetILNS1_3genE2ELNS1_11target_archE906ELNS1_3gpuE6ELNS1_3repE0EEENS1_30default_config_static_selectorELNS0_4arch9wavefront6targetE1EEEvT1_ ; -- Begin function _ZN7rocprim17ROCPRIM_400000_NS6detail17trampoline_kernelINS0_14default_configENS1_25partition_config_selectorILNS1_17partition_subalgoE0EjNS0_10empty_typeEbEEZZNS1_14partition_implILS5_0ELb0ES3_jN6thrust23THRUST_200600_302600_NS6detail15normal_iteratorINSA_10device_ptrIjEEEEPS6_SG_NS0_5tupleIJSF_NSA_16discard_iteratorINSA_11use_defaultEEEEEENSH_IJSG_SG_EEES6_PlJ7is_evenIjEEEE10hipError_tPvRmT3_T4_T5_T6_T7_T9_mT8_P12ihipStream_tbDpT10_ENKUlT_T0_E_clISt17integral_constantIbLb0EES18_IbLb1EEEEDaS14_S15_EUlS14_E_NS1_11comp_targetILNS1_3genE2ELNS1_11target_archE906ELNS1_3gpuE6ELNS1_3repE0EEENS1_30default_config_static_selectorELNS0_4arch9wavefront6targetE1EEEvT1_
	.globl	_ZN7rocprim17ROCPRIM_400000_NS6detail17trampoline_kernelINS0_14default_configENS1_25partition_config_selectorILNS1_17partition_subalgoE0EjNS0_10empty_typeEbEEZZNS1_14partition_implILS5_0ELb0ES3_jN6thrust23THRUST_200600_302600_NS6detail15normal_iteratorINSA_10device_ptrIjEEEEPS6_SG_NS0_5tupleIJSF_NSA_16discard_iteratorINSA_11use_defaultEEEEEENSH_IJSG_SG_EEES6_PlJ7is_evenIjEEEE10hipError_tPvRmT3_T4_T5_T6_T7_T9_mT8_P12ihipStream_tbDpT10_ENKUlT_T0_E_clISt17integral_constantIbLb0EES18_IbLb1EEEEDaS14_S15_EUlS14_E_NS1_11comp_targetILNS1_3genE2ELNS1_11target_archE906ELNS1_3gpuE6ELNS1_3repE0EEENS1_30default_config_static_selectorELNS0_4arch9wavefront6targetE1EEEvT1_
	.p2align	8
	.type	_ZN7rocprim17ROCPRIM_400000_NS6detail17trampoline_kernelINS0_14default_configENS1_25partition_config_selectorILNS1_17partition_subalgoE0EjNS0_10empty_typeEbEEZZNS1_14partition_implILS5_0ELb0ES3_jN6thrust23THRUST_200600_302600_NS6detail15normal_iteratorINSA_10device_ptrIjEEEEPS6_SG_NS0_5tupleIJSF_NSA_16discard_iteratorINSA_11use_defaultEEEEEENSH_IJSG_SG_EEES6_PlJ7is_evenIjEEEE10hipError_tPvRmT3_T4_T5_T6_T7_T9_mT8_P12ihipStream_tbDpT10_ENKUlT_T0_E_clISt17integral_constantIbLb0EES18_IbLb1EEEEDaS14_S15_EUlS14_E_NS1_11comp_targetILNS1_3genE2ELNS1_11target_archE906ELNS1_3gpuE6ELNS1_3repE0EEENS1_30default_config_static_selectorELNS0_4arch9wavefront6targetE1EEEvT1_,@function
_ZN7rocprim17ROCPRIM_400000_NS6detail17trampoline_kernelINS0_14default_configENS1_25partition_config_selectorILNS1_17partition_subalgoE0EjNS0_10empty_typeEbEEZZNS1_14partition_implILS5_0ELb0ES3_jN6thrust23THRUST_200600_302600_NS6detail15normal_iteratorINSA_10device_ptrIjEEEEPS6_SG_NS0_5tupleIJSF_NSA_16discard_iteratorINSA_11use_defaultEEEEEENSH_IJSG_SG_EEES6_PlJ7is_evenIjEEEE10hipError_tPvRmT3_T4_T5_T6_T7_T9_mT8_P12ihipStream_tbDpT10_ENKUlT_T0_E_clISt17integral_constantIbLb0EES18_IbLb1EEEEDaS14_S15_EUlS14_E_NS1_11comp_targetILNS1_3genE2ELNS1_11target_archE906ELNS1_3gpuE6ELNS1_3repE0EEENS1_30default_config_static_selectorELNS0_4arch9wavefront6targetE1EEEvT1_: ; @_ZN7rocprim17ROCPRIM_400000_NS6detail17trampoline_kernelINS0_14default_configENS1_25partition_config_selectorILNS1_17partition_subalgoE0EjNS0_10empty_typeEbEEZZNS1_14partition_implILS5_0ELb0ES3_jN6thrust23THRUST_200600_302600_NS6detail15normal_iteratorINSA_10device_ptrIjEEEEPS6_SG_NS0_5tupleIJSF_NSA_16discard_iteratorINSA_11use_defaultEEEEEENSH_IJSG_SG_EEES6_PlJ7is_evenIjEEEE10hipError_tPvRmT3_T4_T5_T6_T7_T9_mT8_P12ihipStream_tbDpT10_ENKUlT_T0_E_clISt17integral_constantIbLb0EES18_IbLb1EEEEDaS14_S15_EUlS14_E_NS1_11comp_targetILNS1_3genE2ELNS1_11target_archE906ELNS1_3gpuE6ELNS1_3repE0EEENS1_30default_config_static_selectorELNS0_4arch9wavefront6targetE1EEEvT1_
; %bb.0:
	.section	.rodata,"a",@progbits
	.p2align	6, 0x0
	.amdhsa_kernel _ZN7rocprim17ROCPRIM_400000_NS6detail17trampoline_kernelINS0_14default_configENS1_25partition_config_selectorILNS1_17partition_subalgoE0EjNS0_10empty_typeEbEEZZNS1_14partition_implILS5_0ELb0ES3_jN6thrust23THRUST_200600_302600_NS6detail15normal_iteratorINSA_10device_ptrIjEEEEPS6_SG_NS0_5tupleIJSF_NSA_16discard_iteratorINSA_11use_defaultEEEEEENSH_IJSG_SG_EEES6_PlJ7is_evenIjEEEE10hipError_tPvRmT3_T4_T5_T6_T7_T9_mT8_P12ihipStream_tbDpT10_ENKUlT_T0_E_clISt17integral_constantIbLb0EES18_IbLb1EEEEDaS14_S15_EUlS14_E_NS1_11comp_targetILNS1_3genE2ELNS1_11target_archE906ELNS1_3gpuE6ELNS1_3repE0EEENS1_30default_config_static_selectorELNS0_4arch9wavefront6targetE1EEEvT1_
		.amdhsa_group_segment_fixed_size 0
		.amdhsa_private_segment_fixed_size 0
		.amdhsa_kernarg_size 144
		.amdhsa_user_sgpr_count 2
		.amdhsa_user_sgpr_dispatch_ptr 0
		.amdhsa_user_sgpr_queue_ptr 0
		.amdhsa_user_sgpr_kernarg_segment_ptr 1
		.amdhsa_user_sgpr_dispatch_id 0
		.amdhsa_user_sgpr_kernarg_preload_length 0
		.amdhsa_user_sgpr_kernarg_preload_offset 0
		.amdhsa_user_sgpr_private_segment_size 0
		.amdhsa_uses_dynamic_stack 0
		.amdhsa_enable_private_segment 0
		.amdhsa_system_sgpr_workgroup_id_x 1
		.amdhsa_system_sgpr_workgroup_id_y 0
		.amdhsa_system_sgpr_workgroup_id_z 0
		.amdhsa_system_sgpr_workgroup_info 0
		.amdhsa_system_vgpr_workitem_id 0
		.amdhsa_next_free_vgpr 1
		.amdhsa_next_free_sgpr 0
		.amdhsa_accum_offset 4
		.amdhsa_reserve_vcc 0
		.amdhsa_float_round_mode_32 0
		.amdhsa_float_round_mode_16_64 0
		.amdhsa_float_denorm_mode_32 3
		.amdhsa_float_denorm_mode_16_64 3
		.amdhsa_dx10_clamp 1
		.amdhsa_ieee_mode 1
		.amdhsa_fp16_overflow 0
		.amdhsa_tg_split 0
		.amdhsa_exception_fp_ieee_invalid_op 0
		.amdhsa_exception_fp_denorm_src 0
		.amdhsa_exception_fp_ieee_div_zero 0
		.amdhsa_exception_fp_ieee_overflow 0
		.amdhsa_exception_fp_ieee_underflow 0
		.amdhsa_exception_fp_ieee_inexact 0
		.amdhsa_exception_int_div_zero 0
	.end_amdhsa_kernel
	.section	.text._ZN7rocprim17ROCPRIM_400000_NS6detail17trampoline_kernelINS0_14default_configENS1_25partition_config_selectorILNS1_17partition_subalgoE0EjNS0_10empty_typeEbEEZZNS1_14partition_implILS5_0ELb0ES3_jN6thrust23THRUST_200600_302600_NS6detail15normal_iteratorINSA_10device_ptrIjEEEEPS6_SG_NS0_5tupleIJSF_NSA_16discard_iteratorINSA_11use_defaultEEEEEENSH_IJSG_SG_EEES6_PlJ7is_evenIjEEEE10hipError_tPvRmT3_T4_T5_T6_T7_T9_mT8_P12ihipStream_tbDpT10_ENKUlT_T0_E_clISt17integral_constantIbLb0EES18_IbLb1EEEEDaS14_S15_EUlS14_E_NS1_11comp_targetILNS1_3genE2ELNS1_11target_archE906ELNS1_3gpuE6ELNS1_3repE0EEENS1_30default_config_static_selectorELNS0_4arch9wavefront6targetE1EEEvT1_,"axG",@progbits,_ZN7rocprim17ROCPRIM_400000_NS6detail17trampoline_kernelINS0_14default_configENS1_25partition_config_selectorILNS1_17partition_subalgoE0EjNS0_10empty_typeEbEEZZNS1_14partition_implILS5_0ELb0ES3_jN6thrust23THRUST_200600_302600_NS6detail15normal_iteratorINSA_10device_ptrIjEEEEPS6_SG_NS0_5tupleIJSF_NSA_16discard_iteratorINSA_11use_defaultEEEEEENSH_IJSG_SG_EEES6_PlJ7is_evenIjEEEE10hipError_tPvRmT3_T4_T5_T6_T7_T9_mT8_P12ihipStream_tbDpT10_ENKUlT_T0_E_clISt17integral_constantIbLb0EES18_IbLb1EEEEDaS14_S15_EUlS14_E_NS1_11comp_targetILNS1_3genE2ELNS1_11target_archE906ELNS1_3gpuE6ELNS1_3repE0EEENS1_30default_config_static_selectorELNS0_4arch9wavefront6targetE1EEEvT1_,comdat
.Lfunc_end2455:
	.size	_ZN7rocprim17ROCPRIM_400000_NS6detail17trampoline_kernelINS0_14default_configENS1_25partition_config_selectorILNS1_17partition_subalgoE0EjNS0_10empty_typeEbEEZZNS1_14partition_implILS5_0ELb0ES3_jN6thrust23THRUST_200600_302600_NS6detail15normal_iteratorINSA_10device_ptrIjEEEEPS6_SG_NS0_5tupleIJSF_NSA_16discard_iteratorINSA_11use_defaultEEEEEENSH_IJSG_SG_EEES6_PlJ7is_evenIjEEEE10hipError_tPvRmT3_T4_T5_T6_T7_T9_mT8_P12ihipStream_tbDpT10_ENKUlT_T0_E_clISt17integral_constantIbLb0EES18_IbLb1EEEEDaS14_S15_EUlS14_E_NS1_11comp_targetILNS1_3genE2ELNS1_11target_archE906ELNS1_3gpuE6ELNS1_3repE0EEENS1_30default_config_static_selectorELNS0_4arch9wavefront6targetE1EEEvT1_, .Lfunc_end2455-_ZN7rocprim17ROCPRIM_400000_NS6detail17trampoline_kernelINS0_14default_configENS1_25partition_config_selectorILNS1_17partition_subalgoE0EjNS0_10empty_typeEbEEZZNS1_14partition_implILS5_0ELb0ES3_jN6thrust23THRUST_200600_302600_NS6detail15normal_iteratorINSA_10device_ptrIjEEEEPS6_SG_NS0_5tupleIJSF_NSA_16discard_iteratorINSA_11use_defaultEEEEEENSH_IJSG_SG_EEES6_PlJ7is_evenIjEEEE10hipError_tPvRmT3_T4_T5_T6_T7_T9_mT8_P12ihipStream_tbDpT10_ENKUlT_T0_E_clISt17integral_constantIbLb0EES18_IbLb1EEEEDaS14_S15_EUlS14_E_NS1_11comp_targetILNS1_3genE2ELNS1_11target_archE906ELNS1_3gpuE6ELNS1_3repE0EEENS1_30default_config_static_selectorELNS0_4arch9wavefront6targetE1EEEvT1_
                                        ; -- End function
	.section	.AMDGPU.csdata,"",@progbits
; Kernel info:
; codeLenInByte = 0
; NumSgprs: 6
; NumVgprs: 0
; NumAgprs: 0
; TotalNumVgprs: 0
; ScratchSize: 0
; MemoryBound: 0
; FloatMode: 240
; IeeeMode: 1
; LDSByteSize: 0 bytes/workgroup (compile time only)
; SGPRBlocks: 0
; VGPRBlocks: 0
; NumSGPRsForWavesPerEU: 6
; NumVGPRsForWavesPerEU: 1
; AccumOffset: 4
; Occupancy: 8
; WaveLimiterHint : 0
; COMPUTE_PGM_RSRC2:SCRATCH_EN: 0
; COMPUTE_PGM_RSRC2:USER_SGPR: 2
; COMPUTE_PGM_RSRC2:TRAP_HANDLER: 0
; COMPUTE_PGM_RSRC2:TGID_X_EN: 1
; COMPUTE_PGM_RSRC2:TGID_Y_EN: 0
; COMPUTE_PGM_RSRC2:TGID_Z_EN: 0
; COMPUTE_PGM_RSRC2:TIDIG_COMP_CNT: 0
; COMPUTE_PGM_RSRC3_GFX90A:ACCUM_OFFSET: 0
; COMPUTE_PGM_RSRC3_GFX90A:TG_SPLIT: 0
	.section	.text._ZN7rocprim17ROCPRIM_400000_NS6detail17trampoline_kernelINS0_14default_configENS1_25partition_config_selectorILNS1_17partition_subalgoE0EjNS0_10empty_typeEbEEZZNS1_14partition_implILS5_0ELb0ES3_jN6thrust23THRUST_200600_302600_NS6detail15normal_iteratorINSA_10device_ptrIjEEEEPS6_SG_NS0_5tupleIJSF_NSA_16discard_iteratorINSA_11use_defaultEEEEEENSH_IJSG_SG_EEES6_PlJ7is_evenIjEEEE10hipError_tPvRmT3_T4_T5_T6_T7_T9_mT8_P12ihipStream_tbDpT10_ENKUlT_T0_E_clISt17integral_constantIbLb0EES18_IbLb1EEEEDaS14_S15_EUlS14_E_NS1_11comp_targetILNS1_3genE10ELNS1_11target_archE1200ELNS1_3gpuE4ELNS1_3repE0EEENS1_30default_config_static_selectorELNS0_4arch9wavefront6targetE1EEEvT1_,"axG",@progbits,_ZN7rocprim17ROCPRIM_400000_NS6detail17trampoline_kernelINS0_14default_configENS1_25partition_config_selectorILNS1_17partition_subalgoE0EjNS0_10empty_typeEbEEZZNS1_14partition_implILS5_0ELb0ES3_jN6thrust23THRUST_200600_302600_NS6detail15normal_iteratorINSA_10device_ptrIjEEEEPS6_SG_NS0_5tupleIJSF_NSA_16discard_iteratorINSA_11use_defaultEEEEEENSH_IJSG_SG_EEES6_PlJ7is_evenIjEEEE10hipError_tPvRmT3_T4_T5_T6_T7_T9_mT8_P12ihipStream_tbDpT10_ENKUlT_T0_E_clISt17integral_constantIbLb0EES18_IbLb1EEEEDaS14_S15_EUlS14_E_NS1_11comp_targetILNS1_3genE10ELNS1_11target_archE1200ELNS1_3gpuE4ELNS1_3repE0EEENS1_30default_config_static_selectorELNS0_4arch9wavefront6targetE1EEEvT1_,comdat
	.protected	_ZN7rocprim17ROCPRIM_400000_NS6detail17trampoline_kernelINS0_14default_configENS1_25partition_config_selectorILNS1_17partition_subalgoE0EjNS0_10empty_typeEbEEZZNS1_14partition_implILS5_0ELb0ES3_jN6thrust23THRUST_200600_302600_NS6detail15normal_iteratorINSA_10device_ptrIjEEEEPS6_SG_NS0_5tupleIJSF_NSA_16discard_iteratorINSA_11use_defaultEEEEEENSH_IJSG_SG_EEES6_PlJ7is_evenIjEEEE10hipError_tPvRmT3_T4_T5_T6_T7_T9_mT8_P12ihipStream_tbDpT10_ENKUlT_T0_E_clISt17integral_constantIbLb0EES18_IbLb1EEEEDaS14_S15_EUlS14_E_NS1_11comp_targetILNS1_3genE10ELNS1_11target_archE1200ELNS1_3gpuE4ELNS1_3repE0EEENS1_30default_config_static_selectorELNS0_4arch9wavefront6targetE1EEEvT1_ ; -- Begin function _ZN7rocprim17ROCPRIM_400000_NS6detail17trampoline_kernelINS0_14default_configENS1_25partition_config_selectorILNS1_17partition_subalgoE0EjNS0_10empty_typeEbEEZZNS1_14partition_implILS5_0ELb0ES3_jN6thrust23THRUST_200600_302600_NS6detail15normal_iteratorINSA_10device_ptrIjEEEEPS6_SG_NS0_5tupleIJSF_NSA_16discard_iteratorINSA_11use_defaultEEEEEENSH_IJSG_SG_EEES6_PlJ7is_evenIjEEEE10hipError_tPvRmT3_T4_T5_T6_T7_T9_mT8_P12ihipStream_tbDpT10_ENKUlT_T0_E_clISt17integral_constantIbLb0EES18_IbLb1EEEEDaS14_S15_EUlS14_E_NS1_11comp_targetILNS1_3genE10ELNS1_11target_archE1200ELNS1_3gpuE4ELNS1_3repE0EEENS1_30default_config_static_selectorELNS0_4arch9wavefront6targetE1EEEvT1_
	.globl	_ZN7rocprim17ROCPRIM_400000_NS6detail17trampoline_kernelINS0_14default_configENS1_25partition_config_selectorILNS1_17partition_subalgoE0EjNS0_10empty_typeEbEEZZNS1_14partition_implILS5_0ELb0ES3_jN6thrust23THRUST_200600_302600_NS6detail15normal_iteratorINSA_10device_ptrIjEEEEPS6_SG_NS0_5tupleIJSF_NSA_16discard_iteratorINSA_11use_defaultEEEEEENSH_IJSG_SG_EEES6_PlJ7is_evenIjEEEE10hipError_tPvRmT3_T4_T5_T6_T7_T9_mT8_P12ihipStream_tbDpT10_ENKUlT_T0_E_clISt17integral_constantIbLb0EES18_IbLb1EEEEDaS14_S15_EUlS14_E_NS1_11comp_targetILNS1_3genE10ELNS1_11target_archE1200ELNS1_3gpuE4ELNS1_3repE0EEENS1_30default_config_static_selectorELNS0_4arch9wavefront6targetE1EEEvT1_
	.p2align	8
	.type	_ZN7rocprim17ROCPRIM_400000_NS6detail17trampoline_kernelINS0_14default_configENS1_25partition_config_selectorILNS1_17partition_subalgoE0EjNS0_10empty_typeEbEEZZNS1_14partition_implILS5_0ELb0ES3_jN6thrust23THRUST_200600_302600_NS6detail15normal_iteratorINSA_10device_ptrIjEEEEPS6_SG_NS0_5tupleIJSF_NSA_16discard_iteratorINSA_11use_defaultEEEEEENSH_IJSG_SG_EEES6_PlJ7is_evenIjEEEE10hipError_tPvRmT3_T4_T5_T6_T7_T9_mT8_P12ihipStream_tbDpT10_ENKUlT_T0_E_clISt17integral_constantIbLb0EES18_IbLb1EEEEDaS14_S15_EUlS14_E_NS1_11comp_targetILNS1_3genE10ELNS1_11target_archE1200ELNS1_3gpuE4ELNS1_3repE0EEENS1_30default_config_static_selectorELNS0_4arch9wavefront6targetE1EEEvT1_,@function
_ZN7rocprim17ROCPRIM_400000_NS6detail17trampoline_kernelINS0_14default_configENS1_25partition_config_selectorILNS1_17partition_subalgoE0EjNS0_10empty_typeEbEEZZNS1_14partition_implILS5_0ELb0ES3_jN6thrust23THRUST_200600_302600_NS6detail15normal_iteratorINSA_10device_ptrIjEEEEPS6_SG_NS0_5tupleIJSF_NSA_16discard_iteratorINSA_11use_defaultEEEEEENSH_IJSG_SG_EEES6_PlJ7is_evenIjEEEE10hipError_tPvRmT3_T4_T5_T6_T7_T9_mT8_P12ihipStream_tbDpT10_ENKUlT_T0_E_clISt17integral_constantIbLb0EES18_IbLb1EEEEDaS14_S15_EUlS14_E_NS1_11comp_targetILNS1_3genE10ELNS1_11target_archE1200ELNS1_3gpuE4ELNS1_3repE0EEENS1_30default_config_static_selectorELNS0_4arch9wavefront6targetE1EEEvT1_: ; @_ZN7rocprim17ROCPRIM_400000_NS6detail17trampoline_kernelINS0_14default_configENS1_25partition_config_selectorILNS1_17partition_subalgoE0EjNS0_10empty_typeEbEEZZNS1_14partition_implILS5_0ELb0ES3_jN6thrust23THRUST_200600_302600_NS6detail15normal_iteratorINSA_10device_ptrIjEEEEPS6_SG_NS0_5tupleIJSF_NSA_16discard_iteratorINSA_11use_defaultEEEEEENSH_IJSG_SG_EEES6_PlJ7is_evenIjEEEE10hipError_tPvRmT3_T4_T5_T6_T7_T9_mT8_P12ihipStream_tbDpT10_ENKUlT_T0_E_clISt17integral_constantIbLb0EES18_IbLb1EEEEDaS14_S15_EUlS14_E_NS1_11comp_targetILNS1_3genE10ELNS1_11target_archE1200ELNS1_3gpuE4ELNS1_3repE0EEENS1_30default_config_static_selectorELNS0_4arch9wavefront6targetE1EEEvT1_
; %bb.0:
	.section	.rodata,"a",@progbits
	.p2align	6, 0x0
	.amdhsa_kernel _ZN7rocprim17ROCPRIM_400000_NS6detail17trampoline_kernelINS0_14default_configENS1_25partition_config_selectorILNS1_17partition_subalgoE0EjNS0_10empty_typeEbEEZZNS1_14partition_implILS5_0ELb0ES3_jN6thrust23THRUST_200600_302600_NS6detail15normal_iteratorINSA_10device_ptrIjEEEEPS6_SG_NS0_5tupleIJSF_NSA_16discard_iteratorINSA_11use_defaultEEEEEENSH_IJSG_SG_EEES6_PlJ7is_evenIjEEEE10hipError_tPvRmT3_T4_T5_T6_T7_T9_mT8_P12ihipStream_tbDpT10_ENKUlT_T0_E_clISt17integral_constantIbLb0EES18_IbLb1EEEEDaS14_S15_EUlS14_E_NS1_11comp_targetILNS1_3genE10ELNS1_11target_archE1200ELNS1_3gpuE4ELNS1_3repE0EEENS1_30default_config_static_selectorELNS0_4arch9wavefront6targetE1EEEvT1_
		.amdhsa_group_segment_fixed_size 0
		.amdhsa_private_segment_fixed_size 0
		.amdhsa_kernarg_size 144
		.amdhsa_user_sgpr_count 2
		.amdhsa_user_sgpr_dispatch_ptr 0
		.amdhsa_user_sgpr_queue_ptr 0
		.amdhsa_user_sgpr_kernarg_segment_ptr 1
		.amdhsa_user_sgpr_dispatch_id 0
		.amdhsa_user_sgpr_kernarg_preload_length 0
		.amdhsa_user_sgpr_kernarg_preload_offset 0
		.amdhsa_user_sgpr_private_segment_size 0
		.amdhsa_uses_dynamic_stack 0
		.amdhsa_enable_private_segment 0
		.amdhsa_system_sgpr_workgroup_id_x 1
		.amdhsa_system_sgpr_workgroup_id_y 0
		.amdhsa_system_sgpr_workgroup_id_z 0
		.amdhsa_system_sgpr_workgroup_info 0
		.amdhsa_system_vgpr_workitem_id 0
		.amdhsa_next_free_vgpr 1
		.amdhsa_next_free_sgpr 0
		.amdhsa_accum_offset 4
		.amdhsa_reserve_vcc 0
		.amdhsa_float_round_mode_32 0
		.amdhsa_float_round_mode_16_64 0
		.amdhsa_float_denorm_mode_32 3
		.amdhsa_float_denorm_mode_16_64 3
		.amdhsa_dx10_clamp 1
		.amdhsa_ieee_mode 1
		.amdhsa_fp16_overflow 0
		.amdhsa_tg_split 0
		.amdhsa_exception_fp_ieee_invalid_op 0
		.amdhsa_exception_fp_denorm_src 0
		.amdhsa_exception_fp_ieee_div_zero 0
		.amdhsa_exception_fp_ieee_overflow 0
		.amdhsa_exception_fp_ieee_underflow 0
		.amdhsa_exception_fp_ieee_inexact 0
		.amdhsa_exception_int_div_zero 0
	.end_amdhsa_kernel
	.section	.text._ZN7rocprim17ROCPRIM_400000_NS6detail17trampoline_kernelINS0_14default_configENS1_25partition_config_selectorILNS1_17partition_subalgoE0EjNS0_10empty_typeEbEEZZNS1_14partition_implILS5_0ELb0ES3_jN6thrust23THRUST_200600_302600_NS6detail15normal_iteratorINSA_10device_ptrIjEEEEPS6_SG_NS0_5tupleIJSF_NSA_16discard_iteratorINSA_11use_defaultEEEEEENSH_IJSG_SG_EEES6_PlJ7is_evenIjEEEE10hipError_tPvRmT3_T4_T5_T6_T7_T9_mT8_P12ihipStream_tbDpT10_ENKUlT_T0_E_clISt17integral_constantIbLb0EES18_IbLb1EEEEDaS14_S15_EUlS14_E_NS1_11comp_targetILNS1_3genE10ELNS1_11target_archE1200ELNS1_3gpuE4ELNS1_3repE0EEENS1_30default_config_static_selectorELNS0_4arch9wavefront6targetE1EEEvT1_,"axG",@progbits,_ZN7rocprim17ROCPRIM_400000_NS6detail17trampoline_kernelINS0_14default_configENS1_25partition_config_selectorILNS1_17partition_subalgoE0EjNS0_10empty_typeEbEEZZNS1_14partition_implILS5_0ELb0ES3_jN6thrust23THRUST_200600_302600_NS6detail15normal_iteratorINSA_10device_ptrIjEEEEPS6_SG_NS0_5tupleIJSF_NSA_16discard_iteratorINSA_11use_defaultEEEEEENSH_IJSG_SG_EEES6_PlJ7is_evenIjEEEE10hipError_tPvRmT3_T4_T5_T6_T7_T9_mT8_P12ihipStream_tbDpT10_ENKUlT_T0_E_clISt17integral_constantIbLb0EES18_IbLb1EEEEDaS14_S15_EUlS14_E_NS1_11comp_targetILNS1_3genE10ELNS1_11target_archE1200ELNS1_3gpuE4ELNS1_3repE0EEENS1_30default_config_static_selectorELNS0_4arch9wavefront6targetE1EEEvT1_,comdat
.Lfunc_end2456:
	.size	_ZN7rocprim17ROCPRIM_400000_NS6detail17trampoline_kernelINS0_14default_configENS1_25partition_config_selectorILNS1_17partition_subalgoE0EjNS0_10empty_typeEbEEZZNS1_14partition_implILS5_0ELb0ES3_jN6thrust23THRUST_200600_302600_NS6detail15normal_iteratorINSA_10device_ptrIjEEEEPS6_SG_NS0_5tupleIJSF_NSA_16discard_iteratorINSA_11use_defaultEEEEEENSH_IJSG_SG_EEES6_PlJ7is_evenIjEEEE10hipError_tPvRmT3_T4_T5_T6_T7_T9_mT8_P12ihipStream_tbDpT10_ENKUlT_T0_E_clISt17integral_constantIbLb0EES18_IbLb1EEEEDaS14_S15_EUlS14_E_NS1_11comp_targetILNS1_3genE10ELNS1_11target_archE1200ELNS1_3gpuE4ELNS1_3repE0EEENS1_30default_config_static_selectorELNS0_4arch9wavefront6targetE1EEEvT1_, .Lfunc_end2456-_ZN7rocprim17ROCPRIM_400000_NS6detail17trampoline_kernelINS0_14default_configENS1_25partition_config_selectorILNS1_17partition_subalgoE0EjNS0_10empty_typeEbEEZZNS1_14partition_implILS5_0ELb0ES3_jN6thrust23THRUST_200600_302600_NS6detail15normal_iteratorINSA_10device_ptrIjEEEEPS6_SG_NS0_5tupleIJSF_NSA_16discard_iteratorINSA_11use_defaultEEEEEENSH_IJSG_SG_EEES6_PlJ7is_evenIjEEEE10hipError_tPvRmT3_T4_T5_T6_T7_T9_mT8_P12ihipStream_tbDpT10_ENKUlT_T0_E_clISt17integral_constantIbLb0EES18_IbLb1EEEEDaS14_S15_EUlS14_E_NS1_11comp_targetILNS1_3genE10ELNS1_11target_archE1200ELNS1_3gpuE4ELNS1_3repE0EEENS1_30default_config_static_selectorELNS0_4arch9wavefront6targetE1EEEvT1_
                                        ; -- End function
	.section	.AMDGPU.csdata,"",@progbits
; Kernel info:
; codeLenInByte = 0
; NumSgprs: 6
; NumVgprs: 0
; NumAgprs: 0
; TotalNumVgprs: 0
; ScratchSize: 0
; MemoryBound: 0
; FloatMode: 240
; IeeeMode: 1
; LDSByteSize: 0 bytes/workgroup (compile time only)
; SGPRBlocks: 0
; VGPRBlocks: 0
; NumSGPRsForWavesPerEU: 6
; NumVGPRsForWavesPerEU: 1
; AccumOffset: 4
; Occupancy: 8
; WaveLimiterHint : 0
; COMPUTE_PGM_RSRC2:SCRATCH_EN: 0
; COMPUTE_PGM_RSRC2:USER_SGPR: 2
; COMPUTE_PGM_RSRC2:TRAP_HANDLER: 0
; COMPUTE_PGM_RSRC2:TGID_X_EN: 1
; COMPUTE_PGM_RSRC2:TGID_Y_EN: 0
; COMPUTE_PGM_RSRC2:TGID_Z_EN: 0
; COMPUTE_PGM_RSRC2:TIDIG_COMP_CNT: 0
; COMPUTE_PGM_RSRC3_GFX90A:ACCUM_OFFSET: 0
; COMPUTE_PGM_RSRC3_GFX90A:TG_SPLIT: 0
	.section	.text._ZN7rocprim17ROCPRIM_400000_NS6detail17trampoline_kernelINS0_14default_configENS1_25partition_config_selectorILNS1_17partition_subalgoE0EjNS0_10empty_typeEbEEZZNS1_14partition_implILS5_0ELb0ES3_jN6thrust23THRUST_200600_302600_NS6detail15normal_iteratorINSA_10device_ptrIjEEEEPS6_SG_NS0_5tupleIJSF_NSA_16discard_iteratorINSA_11use_defaultEEEEEENSH_IJSG_SG_EEES6_PlJ7is_evenIjEEEE10hipError_tPvRmT3_T4_T5_T6_T7_T9_mT8_P12ihipStream_tbDpT10_ENKUlT_T0_E_clISt17integral_constantIbLb0EES18_IbLb1EEEEDaS14_S15_EUlS14_E_NS1_11comp_targetILNS1_3genE9ELNS1_11target_archE1100ELNS1_3gpuE3ELNS1_3repE0EEENS1_30default_config_static_selectorELNS0_4arch9wavefront6targetE1EEEvT1_,"axG",@progbits,_ZN7rocprim17ROCPRIM_400000_NS6detail17trampoline_kernelINS0_14default_configENS1_25partition_config_selectorILNS1_17partition_subalgoE0EjNS0_10empty_typeEbEEZZNS1_14partition_implILS5_0ELb0ES3_jN6thrust23THRUST_200600_302600_NS6detail15normal_iteratorINSA_10device_ptrIjEEEEPS6_SG_NS0_5tupleIJSF_NSA_16discard_iteratorINSA_11use_defaultEEEEEENSH_IJSG_SG_EEES6_PlJ7is_evenIjEEEE10hipError_tPvRmT3_T4_T5_T6_T7_T9_mT8_P12ihipStream_tbDpT10_ENKUlT_T0_E_clISt17integral_constantIbLb0EES18_IbLb1EEEEDaS14_S15_EUlS14_E_NS1_11comp_targetILNS1_3genE9ELNS1_11target_archE1100ELNS1_3gpuE3ELNS1_3repE0EEENS1_30default_config_static_selectorELNS0_4arch9wavefront6targetE1EEEvT1_,comdat
	.protected	_ZN7rocprim17ROCPRIM_400000_NS6detail17trampoline_kernelINS0_14default_configENS1_25partition_config_selectorILNS1_17partition_subalgoE0EjNS0_10empty_typeEbEEZZNS1_14partition_implILS5_0ELb0ES3_jN6thrust23THRUST_200600_302600_NS6detail15normal_iteratorINSA_10device_ptrIjEEEEPS6_SG_NS0_5tupleIJSF_NSA_16discard_iteratorINSA_11use_defaultEEEEEENSH_IJSG_SG_EEES6_PlJ7is_evenIjEEEE10hipError_tPvRmT3_T4_T5_T6_T7_T9_mT8_P12ihipStream_tbDpT10_ENKUlT_T0_E_clISt17integral_constantIbLb0EES18_IbLb1EEEEDaS14_S15_EUlS14_E_NS1_11comp_targetILNS1_3genE9ELNS1_11target_archE1100ELNS1_3gpuE3ELNS1_3repE0EEENS1_30default_config_static_selectorELNS0_4arch9wavefront6targetE1EEEvT1_ ; -- Begin function _ZN7rocprim17ROCPRIM_400000_NS6detail17trampoline_kernelINS0_14default_configENS1_25partition_config_selectorILNS1_17partition_subalgoE0EjNS0_10empty_typeEbEEZZNS1_14partition_implILS5_0ELb0ES3_jN6thrust23THRUST_200600_302600_NS6detail15normal_iteratorINSA_10device_ptrIjEEEEPS6_SG_NS0_5tupleIJSF_NSA_16discard_iteratorINSA_11use_defaultEEEEEENSH_IJSG_SG_EEES6_PlJ7is_evenIjEEEE10hipError_tPvRmT3_T4_T5_T6_T7_T9_mT8_P12ihipStream_tbDpT10_ENKUlT_T0_E_clISt17integral_constantIbLb0EES18_IbLb1EEEEDaS14_S15_EUlS14_E_NS1_11comp_targetILNS1_3genE9ELNS1_11target_archE1100ELNS1_3gpuE3ELNS1_3repE0EEENS1_30default_config_static_selectorELNS0_4arch9wavefront6targetE1EEEvT1_
	.globl	_ZN7rocprim17ROCPRIM_400000_NS6detail17trampoline_kernelINS0_14default_configENS1_25partition_config_selectorILNS1_17partition_subalgoE0EjNS0_10empty_typeEbEEZZNS1_14partition_implILS5_0ELb0ES3_jN6thrust23THRUST_200600_302600_NS6detail15normal_iteratorINSA_10device_ptrIjEEEEPS6_SG_NS0_5tupleIJSF_NSA_16discard_iteratorINSA_11use_defaultEEEEEENSH_IJSG_SG_EEES6_PlJ7is_evenIjEEEE10hipError_tPvRmT3_T4_T5_T6_T7_T9_mT8_P12ihipStream_tbDpT10_ENKUlT_T0_E_clISt17integral_constantIbLb0EES18_IbLb1EEEEDaS14_S15_EUlS14_E_NS1_11comp_targetILNS1_3genE9ELNS1_11target_archE1100ELNS1_3gpuE3ELNS1_3repE0EEENS1_30default_config_static_selectorELNS0_4arch9wavefront6targetE1EEEvT1_
	.p2align	8
	.type	_ZN7rocprim17ROCPRIM_400000_NS6detail17trampoline_kernelINS0_14default_configENS1_25partition_config_selectorILNS1_17partition_subalgoE0EjNS0_10empty_typeEbEEZZNS1_14partition_implILS5_0ELb0ES3_jN6thrust23THRUST_200600_302600_NS6detail15normal_iteratorINSA_10device_ptrIjEEEEPS6_SG_NS0_5tupleIJSF_NSA_16discard_iteratorINSA_11use_defaultEEEEEENSH_IJSG_SG_EEES6_PlJ7is_evenIjEEEE10hipError_tPvRmT3_T4_T5_T6_T7_T9_mT8_P12ihipStream_tbDpT10_ENKUlT_T0_E_clISt17integral_constantIbLb0EES18_IbLb1EEEEDaS14_S15_EUlS14_E_NS1_11comp_targetILNS1_3genE9ELNS1_11target_archE1100ELNS1_3gpuE3ELNS1_3repE0EEENS1_30default_config_static_selectorELNS0_4arch9wavefront6targetE1EEEvT1_,@function
_ZN7rocprim17ROCPRIM_400000_NS6detail17trampoline_kernelINS0_14default_configENS1_25partition_config_selectorILNS1_17partition_subalgoE0EjNS0_10empty_typeEbEEZZNS1_14partition_implILS5_0ELb0ES3_jN6thrust23THRUST_200600_302600_NS6detail15normal_iteratorINSA_10device_ptrIjEEEEPS6_SG_NS0_5tupleIJSF_NSA_16discard_iteratorINSA_11use_defaultEEEEEENSH_IJSG_SG_EEES6_PlJ7is_evenIjEEEE10hipError_tPvRmT3_T4_T5_T6_T7_T9_mT8_P12ihipStream_tbDpT10_ENKUlT_T0_E_clISt17integral_constantIbLb0EES18_IbLb1EEEEDaS14_S15_EUlS14_E_NS1_11comp_targetILNS1_3genE9ELNS1_11target_archE1100ELNS1_3gpuE3ELNS1_3repE0EEENS1_30default_config_static_selectorELNS0_4arch9wavefront6targetE1EEEvT1_: ; @_ZN7rocprim17ROCPRIM_400000_NS6detail17trampoline_kernelINS0_14default_configENS1_25partition_config_selectorILNS1_17partition_subalgoE0EjNS0_10empty_typeEbEEZZNS1_14partition_implILS5_0ELb0ES3_jN6thrust23THRUST_200600_302600_NS6detail15normal_iteratorINSA_10device_ptrIjEEEEPS6_SG_NS0_5tupleIJSF_NSA_16discard_iteratorINSA_11use_defaultEEEEEENSH_IJSG_SG_EEES6_PlJ7is_evenIjEEEE10hipError_tPvRmT3_T4_T5_T6_T7_T9_mT8_P12ihipStream_tbDpT10_ENKUlT_T0_E_clISt17integral_constantIbLb0EES18_IbLb1EEEEDaS14_S15_EUlS14_E_NS1_11comp_targetILNS1_3genE9ELNS1_11target_archE1100ELNS1_3gpuE3ELNS1_3repE0EEENS1_30default_config_static_selectorELNS0_4arch9wavefront6targetE1EEEvT1_
; %bb.0:
	.section	.rodata,"a",@progbits
	.p2align	6, 0x0
	.amdhsa_kernel _ZN7rocprim17ROCPRIM_400000_NS6detail17trampoline_kernelINS0_14default_configENS1_25partition_config_selectorILNS1_17partition_subalgoE0EjNS0_10empty_typeEbEEZZNS1_14partition_implILS5_0ELb0ES3_jN6thrust23THRUST_200600_302600_NS6detail15normal_iteratorINSA_10device_ptrIjEEEEPS6_SG_NS0_5tupleIJSF_NSA_16discard_iteratorINSA_11use_defaultEEEEEENSH_IJSG_SG_EEES6_PlJ7is_evenIjEEEE10hipError_tPvRmT3_T4_T5_T6_T7_T9_mT8_P12ihipStream_tbDpT10_ENKUlT_T0_E_clISt17integral_constantIbLb0EES18_IbLb1EEEEDaS14_S15_EUlS14_E_NS1_11comp_targetILNS1_3genE9ELNS1_11target_archE1100ELNS1_3gpuE3ELNS1_3repE0EEENS1_30default_config_static_selectorELNS0_4arch9wavefront6targetE1EEEvT1_
		.amdhsa_group_segment_fixed_size 0
		.amdhsa_private_segment_fixed_size 0
		.amdhsa_kernarg_size 144
		.amdhsa_user_sgpr_count 2
		.amdhsa_user_sgpr_dispatch_ptr 0
		.amdhsa_user_sgpr_queue_ptr 0
		.amdhsa_user_sgpr_kernarg_segment_ptr 1
		.amdhsa_user_sgpr_dispatch_id 0
		.amdhsa_user_sgpr_kernarg_preload_length 0
		.amdhsa_user_sgpr_kernarg_preload_offset 0
		.amdhsa_user_sgpr_private_segment_size 0
		.amdhsa_uses_dynamic_stack 0
		.amdhsa_enable_private_segment 0
		.amdhsa_system_sgpr_workgroup_id_x 1
		.amdhsa_system_sgpr_workgroup_id_y 0
		.amdhsa_system_sgpr_workgroup_id_z 0
		.amdhsa_system_sgpr_workgroup_info 0
		.amdhsa_system_vgpr_workitem_id 0
		.amdhsa_next_free_vgpr 1
		.amdhsa_next_free_sgpr 0
		.amdhsa_accum_offset 4
		.amdhsa_reserve_vcc 0
		.amdhsa_float_round_mode_32 0
		.amdhsa_float_round_mode_16_64 0
		.amdhsa_float_denorm_mode_32 3
		.amdhsa_float_denorm_mode_16_64 3
		.amdhsa_dx10_clamp 1
		.amdhsa_ieee_mode 1
		.amdhsa_fp16_overflow 0
		.amdhsa_tg_split 0
		.amdhsa_exception_fp_ieee_invalid_op 0
		.amdhsa_exception_fp_denorm_src 0
		.amdhsa_exception_fp_ieee_div_zero 0
		.amdhsa_exception_fp_ieee_overflow 0
		.amdhsa_exception_fp_ieee_underflow 0
		.amdhsa_exception_fp_ieee_inexact 0
		.amdhsa_exception_int_div_zero 0
	.end_amdhsa_kernel
	.section	.text._ZN7rocprim17ROCPRIM_400000_NS6detail17trampoline_kernelINS0_14default_configENS1_25partition_config_selectorILNS1_17partition_subalgoE0EjNS0_10empty_typeEbEEZZNS1_14partition_implILS5_0ELb0ES3_jN6thrust23THRUST_200600_302600_NS6detail15normal_iteratorINSA_10device_ptrIjEEEEPS6_SG_NS0_5tupleIJSF_NSA_16discard_iteratorINSA_11use_defaultEEEEEENSH_IJSG_SG_EEES6_PlJ7is_evenIjEEEE10hipError_tPvRmT3_T4_T5_T6_T7_T9_mT8_P12ihipStream_tbDpT10_ENKUlT_T0_E_clISt17integral_constantIbLb0EES18_IbLb1EEEEDaS14_S15_EUlS14_E_NS1_11comp_targetILNS1_3genE9ELNS1_11target_archE1100ELNS1_3gpuE3ELNS1_3repE0EEENS1_30default_config_static_selectorELNS0_4arch9wavefront6targetE1EEEvT1_,"axG",@progbits,_ZN7rocprim17ROCPRIM_400000_NS6detail17trampoline_kernelINS0_14default_configENS1_25partition_config_selectorILNS1_17partition_subalgoE0EjNS0_10empty_typeEbEEZZNS1_14partition_implILS5_0ELb0ES3_jN6thrust23THRUST_200600_302600_NS6detail15normal_iteratorINSA_10device_ptrIjEEEEPS6_SG_NS0_5tupleIJSF_NSA_16discard_iteratorINSA_11use_defaultEEEEEENSH_IJSG_SG_EEES6_PlJ7is_evenIjEEEE10hipError_tPvRmT3_T4_T5_T6_T7_T9_mT8_P12ihipStream_tbDpT10_ENKUlT_T0_E_clISt17integral_constantIbLb0EES18_IbLb1EEEEDaS14_S15_EUlS14_E_NS1_11comp_targetILNS1_3genE9ELNS1_11target_archE1100ELNS1_3gpuE3ELNS1_3repE0EEENS1_30default_config_static_selectorELNS0_4arch9wavefront6targetE1EEEvT1_,comdat
.Lfunc_end2457:
	.size	_ZN7rocprim17ROCPRIM_400000_NS6detail17trampoline_kernelINS0_14default_configENS1_25partition_config_selectorILNS1_17partition_subalgoE0EjNS0_10empty_typeEbEEZZNS1_14partition_implILS5_0ELb0ES3_jN6thrust23THRUST_200600_302600_NS6detail15normal_iteratorINSA_10device_ptrIjEEEEPS6_SG_NS0_5tupleIJSF_NSA_16discard_iteratorINSA_11use_defaultEEEEEENSH_IJSG_SG_EEES6_PlJ7is_evenIjEEEE10hipError_tPvRmT3_T4_T5_T6_T7_T9_mT8_P12ihipStream_tbDpT10_ENKUlT_T0_E_clISt17integral_constantIbLb0EES18_IbLb1EEEEDaS14_S15_EUlS14_E_NS1_11comp_targetILNS1_3genE9ELNS1_11target_archE1100ELNS1_3gpuE3ELNS1_3repE0EEENS1_30default_config_static_selectorELNS0_4arch9wavefront6targetE1EEEvT1_, .Lfunc_end2457-_ZN7rocprim17ROCPRIM_400000_NS6detail17trampoline_kernelINS0_14default_configENS1_25partition_config_selectorILNS1_17partition_subalgoE0EjNS0_10empty_typeEbEEZZNS1_14partition_implILS5_0ELb0ES3_jN6thrust23THRUST_200600_302600_NS6detail15normal_iteratorINSA_10device_ptrIjEEEEPS6_SG_NS0_5tupleIJSF_NSA_16discard_iteratorINSA_11use_defaultEEEEEENSH_IJSG_SG_EEES6_PlJ7is_evenIjEEEE10hipError_tPvRmT3_T4_T5_T6_T7_T9_mT8_P12ihipStream_tbDpT10_ENKUlT_T0_E_clISt17integral_constantIbLb0EES18_IbLb1EEEEDaS14_S15_EUlS14_E_NS1_11comp_targetILNS1_3genE9ELNS1_11target_archE1100ELNS1_3gpuE3ELNS1_3repE0EEENS1_30default_config_static_selectorELNS0_4arch9wavefront6targetE1EEEvT1_
                                        ; -- End function
	.section	.AMDGPU.csdata,"",@progbits
; Kernel info:
; codeLenInByte = 0
; NumSgprs: 6
; NumVgprs: 0
; NumAgprs: 0
; TotalNumVgprs: 0
; ScratchSize: 0
; MemoryBound: 0
; FloatMode: 240
; IeeeMode: 1
; LDSByteSize: 0 bytes/workgroup (compile time only)
; SGPRBlocks: 0
; VGPRBlocks: 0
; NumSGPRsForWavesPerEU: 6
; NumVGPRsForWavesPerEU: 1
; AccumOffset: 4
; Occupancy: 8
; WaveLimiterHint : 0
; COMPUTE_PGM_RSRC2:SCRATCH_EN: 0
; COMPUTE_PGM_RSRC2:USER_SGPR: 2
; COMPUTE_PGM_RSRC2:TRAP_HANDLER: 0
; COMPUTE_PGM_RSRC2:TGID_X_EN: 1
; COMPUTE_PGM_RSRC2:TGID_Y_EN: 0
; COMPUTE_PGM_RSRC2:TGID_Z_EN: 0
; COMPUTE_PGM_RSRC2:TIDIG_COMP_CNT: 0
; COMPUTE_PGM_RSRC3_GFX90A:ACCUM_OFFSET: 0
; COMPUTE_PGM_RSRC3_GFX90A:TG_SPLIT: 0
	.section	.text._ZN7rocprim17ROCPRIM_400000_NS6detail17trampoline_kernelINS0_14default_configENS1_25partition_config_selectorILNS1_17partition_subalgoE0EjNS0_10empty_typeEbEEZZNS1_14partition_implILS5_0ELb0ES3_jN6thrust23THRUST_200600_302600_NS6detail15normal_iteratorINSA_10device_ptrIjEEEEPS6_SG_NS0_5tupleIJSF_NSA_16discard_iteratorINSA_11use_defaultEEEEEENSH_IJSG_SG_EEES6_PlJ7is_evenIjEEEE10hipError_tPvRmT3_T4_T5_T6_T7_T9_mT8_P12ihipStream_tbDpT10_ENKUlT_T0_E_clISt17integral_constantIbLb0EES18_IbLb1EEEEDaS14_S15_EUlS14_E_NS1_11comp_targetILNS1_3genE8ELNS1_11target_archE1030ELNS1_3gpuE2ELNS1_3repE0EEENS1_30default_config_static_selectorELNS0_4arch9wavefront6targetE1EEEvT1_,"axG",@progbits,_ZN7rocprim17ROCPRIM_400000_NS6detail17trampoline_kernelINS0_14default_configENS1_25partition_config_selectorILNS1_17partition_subalgoE0EjNS0_10empty_typeEbEEZZNS1_14partition_implILS5_0ELb0ES3_jN6thrust23THRUST_200600_302600_NS6detail15normal_iteratorINSA_10device_ptrIjEEEEPS6_SG_NS0_5tupleIJSF_NSA_16discard_iteratorINSA_11use_defaultEEEEEENSH_IJSG_SG_EEES6_PlJ7is_evenIjEEEE10hipError_tPvRmT3_T4_T5_T6_T7_T9_mT8_P12ihipStream_tbDpT10_ENKUlT_T0_E_clISt17integral_constantIbLb0EES18_IbLb1EEEEDaS14_S15_EUlS14_E_NS1_11comp_targetILNS1_3genE8ELNS1_11target_archE1030ELNS1_3gpuE2ELNS1_3repE0EEENS1_30default_config_static_selectorELNS0_4arch9wavefront6targetE1EEEvT1_,comdat
	.protected	_ZN7rocprim17ROCPRIM_400000_NS6detail17trampoline_kernelINS0_14default_configENS1_25partition_config_selectorILNS1_17partition_subalgoE0EjNS0_10empty_typeEbEEZZNS1_14partition_implILS5_0ELb0ES3_jN6thrust23THRUST_200600_302600_NS6detail15normal_iteratorINSA_10device_ptrIjEEEEPS6_SG_NS0_5tupleIJSF_NSA_16discard_iteratorINSA_11use_defaultEEEEEENSH_IJSG_SG_EEES6_PlJ7is_evenIjEEEE10hipError_tPvRmT3_T4_T5_T6_T7_T9_mT8_P12ihipStream_tbDpT10_ENKUlT_T0_E_clISt17integral_constantIbLb0EES18_IbLb1EEEEDaS14_S15_EUlS14_E_NS1_11comp_targetILNS1_3genE8ELNS1_11target_archE1030ELNS1_3gpuE2ELNS1_3repE0EEENS1_30default_config_static_selectorELNS0_4arch9wavefront6targetE1EEEvT1_ ; -- Begin function _ZN7rocprim17ROCPRIM_400000_NS6detail17trampoline_kernelINS0_14default_configENS1_25partition_config_selectorILNS1_17partition_subalgoE0EjNS0_10empty_typeEbEEZZNS1_14partition_implILS5_0ELb0ES3_jN6thrust23THRUST_200600_302600_NS6detail15normal_iteratorINSA_10device_ptrIjEEEEPS6_SG_NS0_5tupleIJSF_NSA_16discard_iteratorINSA_11use_defaultEEEEEENSH_IJSG_SG_EEES6_PlJ7is_evenIjEEEE10hipError_tPvRmT3_T4_T5_T6_T7_T9_mT8_P12ihipStream_tbDpT10_ENKUlT_T0_E_clISt17integral_constantIbLb0EES18_IbLb1EEEEDaS14_S15_EUlS14_E_NS1_11comp_targetILNS1_3genE8ELNS1_11target_archE1030ELNS1_3gpuE2ELNS1_3repE0EEENS1_30default_config_static_selectorELNS0_4arch9wavefront6targetE1EEEvT1_
	.globl	_ZN7rocprim17ROCPRIM_400000_NS6detail17trampoline_kernelINS0_14default_configENS1_25partition_config_selectorILNS1_17partition_subalgoE0EjNS0_10empty_typeEbEEZZNS1_14partition_implILS5_0ELb0ES3_jN6thrust23THRUST_200600_302600_NS6detail15normal_iteratorINSA_10device_ptrIjEEEEPS6_SG_NS0_5tupleIJSF_NSA_16discard_iteratorINSA_11use_defaultEEEEEENSH_IJSG_SG_EEES6_PlJ7is_evenIjEEEE10hipError_tPvRmT3_T4_T5_T6_T7_T9_mT8_P12ihipStream_tbDpT10_ENKUlT_T0_E_clISt17integral_constantIbLb0EES18_IbLb1EEEEDaS14_S15_EUlS14_E_NS1_11comp_targetILNS1_3genE8ELNS1_11target_archE1030ELNS1_3gpuE2ELNS1_3repE0EEENS1_30default_config_static_selectorELNS0_4arch9wavefront6targetE1EEEvT1_
	.p2align	8
	.type	_ZN7rocprim17ROCPRIM_400000_NS6detail17trampoline_kernelINS0_14default_configENS1_25partition_config_selectorILNS1_17partition_subalgoE0EjNS0_10empty_typeEbEEZZNS1_14partition_implILS5_0ELb0ES3_jN6thrust23THRUST_200600_302600_NS6detail15normal_iteratorINSA_10device_ptrIjEEEEPS6_SG_NS0_5tupleIJSF_NSA_16discard_iteratorINSA_11use_defaultEEEEEENSH_IJSG_SG_EEES6_PlJ7is_evenIjEEEE10hipError_tPvRmT3_T4_T5_T6_T7_T9_mT8_P12ihipStream_tbDpT10_ENKUlT_T0_E_clISt17integral_constantIbLb0EES18_IbLb1EEEEDaS14_S15_EUlS14_E_NS1_11comp_targetILNS1_3genE8ELNS1_11target_archE1030ELNS1_3gpuE2ELNS1_3repE0EEENS1_30default_config_static_selectorELNS0_4arch9wavefront6targetE1EEEvT1_,@function
_ZN7rocprim17ROCPRIM_400000_NS6detail17trampoline_kernelINS0_14default_configENS1_25partition_config_selectorILNS1_17partition_subalgoE0EjNS0_10empty_typeEbEEZZNS1_14partition_implILS5_0ELb0ES3_jN6thrust23THRUST_200600_302600_NS6detail15normal_iteratorINSA_10device_ptrIjEEEEPS6_SG_NS0_5tupleIJSF_NSA_16discard_iteratorINSA_11use_defaultEEEEEENSH_IJSG_SG_EEES6_PlJ7is_evenIjEEEE10hipError_tPvRmT3_T4_T5_T6_T7_T9_mT8_P12ihipStream_tbDpT10_ENKUlT_T0_E_clISt17integral_constantIbLb0EES18_IbLb1EEEEDaS14_S15_EUlS14_E_NS1_11comp_targetILNS1_3genE8ELNS1_11target_archE1030ELNS1_3gpuE2ELNS1_3repE0EEENS1_30default_config_static_selectorELNS0_4arch9wavefront6targetE1EEEvT1_: ; @_ZN7rocprim17ROCPRIM_400000_NS6detail17trampoline_kernelINS0_14default_configENS1_25partition_config_selectorILNS1_17partition_subalgoE0EjNS0_10empty_typeEbEEZZNS1_14partition_implILS5_0ELb0ES3_jN6thrust23THRUST_200600_302600_NS6detail15normal_iteratorINSA_10device_ptrIjEEEEPS6_SG_NS0_5tupleIJSF_NSA_16discard_iteratorINSA_11use_defaultEEEEEENSH_IJSG_SG_EEES6_PlJ7is_evenIjEEEE10hipError_tPvRmT3_T4_T5_T6_T7_T9_mT8_P12ihipStream_tbDpT10_ENKUlT_T0_E_clISt17integral_constantIbLb0EES18_IbLb1EEEEDaS14_S15_EUlS14_E_NS1_11comp_targetILNS1_3genE8ELNS1_11target_archE1030ELNS1_3gpuE2ELNS1_3repE0EEENS1_30default_config_static_selectorELNS0_4arch9wavefront6targetE1EEEvT1_
; %bb.0:
	.section	.rodata,"a",@progbits
	.p2align	6, 0x0
	.amdhsa_kernel _ZN7rocprim17ROCPRIM_400000_NS6detail17trampoline_kernelINS0_14default_configENS1_25partition_config_selectorILNS1_17partition_subalgoE0EjNS0_10empty_typeEbEEZZNS1_14partition_implILS5_0ELb0ES3_jN6thrust23THRUST_200600_302600_NS6detail15normal_iteratorINSA_10device_ptrIjEEEEPS6_SG_NS0_5tupleIJSF_NSA_16discard_iteratorINSA_11use_defaultEEEEEENSH_IJSG_SG_EEES6_PlJ7is_evenIjEEEE10hipError_tPvRmT3_T4_T5_T6_T7_T9_mT8_P12ihipStream_tbDpT10_ENKUlT_T0_E_clISt17integral_constantIbLb0EES18_IbLb1EEEEDaS14_S15_EUlS14_E_NS1_11comp_targetILNS1_3genE8ELNS1_11target_archE1030ELNS1_3gpuE2ELNS1_3repE0EEENS1_30default_config_static_selectorELNS0_4arch9wavefront6targetE1EEEvT1_
		.amdhsa_group_segment_fixed_size 0
		.amdhsa_private_segment_fixed_size 0
		.amdhsa_kernarg_size 144
		.amdhsa_user_sgpr_count 2
		.amdhsa_user_sgpr_dispatch_ptr 0
		.amdhsa_user_sgpr_queue_ptr 0
		.amdhsa_user_sgpr_kernarg_segment_ptr 1
		.amdhsa_user_sgpr_dispatch_id 0
		.amdhsa_user_sgpr_kernarg_preload_length 0
		.amdhsa_user_sgpr_kernarg_preload_offset 0
		.amdhsa_user_sgpr_private_segment_size 0
		.amdhsa_uses_dynamic_stack 0
		.amdhsa_enable_private_segment 0
		.amdhsa_system_sgpr_workgroup_id_x 1
		.amdhsa_system_sgpr_workgroup_id_y 0
		.amdhsa_system_sgpr_workgroup_id_z 0
		.amdhsa_system_sgpr_workgroup_info 0
		.amdhsa_system_vgpr_workitem_id 0
		.amdhsa_next_free_vgpr 1
		.amdhsa_next_free_sgpr 0
		.amdhsa_accum_offset 4
		.amdhsa_reserve_vcc 0
		.amdhsa_float_round_mode_32 0
		.amdhsa_float_round_mode_16_64 0
		.amdhsa_float_denorm_mode_32 3
		.amdhsa_float_denorm_mode_16_64 3
		.amdhsa_dx10_clamp 1
		.amdhsa_ieee_mode 1
		.amdhsa_fp16_overflow 0
		.amdhsa_tg_split 0
		.amdhsa_exception_fp_ieee_invalid_op 0
		.amdhsa_exception_fp_denorm_src 0
		.amdhsa_exception_fp_ieee_div_zero 0
		.amdhsa_exception_fp_ieee_overflow 0
		.amdhsa_exception_fp_ieee_underflow 0
		.amdhsa_exception_fp_ieee_inexact 0
		.amdhsa_exception_int_div_zero 0
	.end_amdhsa_kernel
	.section	.text._ZN7rocprim17ROCPRIM_400000_NS6detail17trampoline_kernelINS0_14default_configENS1_25partition_config_selectorILNS1_17partition_subalgoE0EjNS0_10empty_typeEbEEZZNS1_14partition_implILS5_0ELb0ES3_jN6thrust23THRUST_200600_302600_NS6detail15normal_iteratorINSA_10device_ptrIjEEEEPS6_SG_NS0_5tupleIJSF_NSA_16discard_iteratorINSA_11use_defaultEEEEEENSH_IJSG_SG_EEES6_PlJ7is_evenIjEEEE10hipError_tPvRmT3_T4_T5_T6_T7_T9_mT8_P12ihipStream_tbDpT10_ENKUlT_T0_E_clISt17integral_constantIbLb0EES18_IbLb1EEEEDaS14_S15_EUlS14_E_NS1_11comp_targetILNS1_3genE8ELNS1_11target_archE1030ELNS1_3gpuE2ELNS1_3repE0EEENS1_30default_config_static_selectorELNS0_4arch9wavefront6targetE1EEEvT1_,"axG",@progbits,_ZN7rocprim17ROCPRIM_400000_NS6detail17trampoline_kernelINS0_14default_configENS1_25partition_config_selectorILNS1_17partition_subalgoE0EjNS0_10empty_typeEbEEZZNS1_14partition_implILS5_0ELb0ES3_jN6thrust23THRUST_200600_302600_NS6detail15normal_iteratorINSA_10device_ptrIjEEEEPS6_SG_NS0_5tupleIJSF_NSA_16discard_iteratorINSA_11use_defaultEEEEEENSH_IJSG_SG_EEES6_PlJ7is_evenIjEEEE10hipError_tPvRmT3_T4_T5_T6_T7_T9_mT8_P12ihipStream_tbDpT10_ENKUlT_T0_E_clISt17integral_constantIbLb0EES18_IbLb1EEEEDaS14_S15_EUlS14_E_NS1_11comp_targetILNS1_3genE8ELNS1_11target_archE1030ELNS1_3gpuE2ELNS1_3repE0EEENS1_30default_config_static_selectorELNS0_4arch9wavefront6targetE1EEEvT1_,comdat
.Lfunc_end2458:
	.size	_ZN7rocprim17ROCPRIM_400000_NS6detail17trampoline_kernelINS0_14default_configENS1_25partition_config_selectorILNS1_17partition_subalgoE0EjNS0_10empty_typeEbEEZZNS1_14partition_implILS5_0ELb0ES3_jN6thrust23THRUST_200600_302600_NS6detail15normal_iteratorINSA_10device_ptrIjEEEEPS6_SG_NS0_5tupleIJSF_NSA_16discard_iteratorINSA_11use_defaultEEEEEENSH_IJSG_SG_EEES6_PlJ7is_evenIjEEEE10hipError_tPvRmT3_T4_T5_T6_T7_T9_mT8_P12ihipStream_tbDpT10_ENKUlT_T0_E_clISt17integral_constantIbLb0EES18_IbLb1EEEEDaS14_S15_EUlS14_E_NS1_11comp_targetILNS1_3genE8ELNS1_11target_archE1030ELNS1_3gpuE2ELNS1_3repE0EEENS1_30default_config_static_selectorELNS0_4arch9wavefront6targetE1EEEvT1_, .Lfunc_end2458-_ZN7rocprim17ROCPRIM_400000_NS6detail17trampoline_kernelINS0_14default_configENS1_25partition_config_selectorILNS1_17partition_subalgoE0EjNS0_10empty_typeEbEEZZNS1_14partition_implILS5_0ELb0ES3_jN6thrust23THRUST_200600_302600_NS6detail15normal_iteratorINSA_10device_ptrIjEEEEPS6_SG_NS0_5tupleIJSF_NSA_16discard_iteratorINSA_11use_defaultEEEEEENSH_IJSG_SG_EEES6_PlJ7is_evenIjEEEE10hipError_tPvRmT3_T4_T5_T6_T7_T9_mT8_P12ihipStream_tbDpT10_ENKUlT_T0_E_clISt17integral_constantIbLb0EES18_IbLb1EEEEDaS14_S15_EUlS14_E_NS1_11comp_targetILNS1_3genE8ELNS1_11target_archE1030ELNS1_3gpuE2ELNS1_3repE0EEENS1_30default_config_static_selectorELNS0_4arch9wavefront6targetE1EEEvT1_
                                        ; -- End function
	.section	.AMDGPU.csdata,"",@progbits
; Kernel info:
; codeLenInByte = 0
; NumSgprs: 6
; NumVgprs: 0
; NumAgprs: 0
; TotalNumVgprs: 0
; ScratchSize: 0
; MemoryBound: 0
; FloatMode: 240
; IeeeMode: 1
; LDSByteSize: 0 bytes/workgroup (compile time only)
; SGPRBlocks: 0
; VGPRBlocks: 0
; NumSGPRsForWavesPerEU: 6
; NumVGPRsForWavesPerEU: 1
; AccumOffset: 4
; Occupancy: 8
; WaveLimiterHint : 0
; COMPUTE_PGM_RSRC2:SCRATCH_EN: 0
; COMPUTE_PGM_RSRC2:USER_SGPR: 2
; COMPUTE_PGM_RSRC2:TRAP_HANDLER: 0
; COMPUTE_PGM_RSRC2:TGID_X_EN: 1
; COMPUTE_PGM_RSRC2:TGID_Y_EN: 0
; COMPUTE_PGM_RSRC2:TGID_Z_EN: 0
; COMPUTE_PGM_RSRC2:TIDIG_COMP_CNT: 0
; COMPUTE_PGM_RSRC3_GFX90A:ACCUM_OFFSET: 0
; COMPUTE_PGM_RSRC3_GFX90A:TG_SPLIT: 0
	.section	.text._ZN7rocprim17ROCPRIM_400000_NS6detail17trampoline_kernelINS0_14default_configENS1_25partition_config_selectorILNS1_17partition_subalgoE0EjNS0_10empty_typeEbEEZZNS1_14partition_implILS5_0ELb0ES3_jN6thrust23THRUST_200600_302600_NS6detail15normal_iteratorINSA_10device_ptrIjEEEEPS6_SG_NS0_5tupleIJNSA_16discard_iteratorINSA_11use_defaultEEESF_EEENSH_IJSG_SG_EEES6_PlJ7is_evenIjEEEE10hipError_tPvRmT3_T4_T5_T6_T7_T9_mT8_P12ihipStream_tbDpT10_ENKUlT_T0_E_clISt17integral_constantIbLb0EES19_EEDaS14_S15_EUlS14_E_NS1_11comp_targetILNS1_3genE0ELNS1_11target_archE4294967295ELNS1_3gpuE0ELNS1_3repE0EEENS1_30default_config_static_selectorELNS0_4arch9wavefront6targetE1EEEvT1_,"axG",@progbits,_ZN7rocprim17ROCPRIM_400000_NS6detail17trampoline_kernelINS0_14default_configENS1_25partition_config_selectorILNS1_17partition_subalgoE0EjNS0_10empty_typeEbEEZZNS1_14partition_implILS5_0ELb0ES3_jN6thrust23THRUST_200600_302600_NS6detail15normal_iteratorINSA_10device_ptrIjEEEEPS6_SG_NS0_5tupleIJNSA_16discard_iteratorINSA_11use_defaultEEESF_EEENSH_IJSG_SG_EEES6_PlJ7is_evenIjEEEE10hipError_tPvRmT3_T4_T5_T6_T7_T9_mT8_P12ihipStream_tbDpT10_ENKUlT_T0_E_clISt17integral_constantIbLb0EES19_EEDaS14_S15_EUlS14_E_NS1_11comp_targetILNS1_3genE0ELNS1_11target_archE4294967295ELNS1_3gpuE0ELNS1_3repE0EEENS1_30default_config_static_selectorELNS0_4arch9wavefront6targetE1EEEvT1_,comdat
	.protected	_ZN7rocprim17ROCPRIM_400000_NS6detail17trampoline_kernelINS0_14default_configENS1_25partition_config_selectorILNS1_17partition_subalgoE0EjNS0_10empty_typeEbEEZZNS1_14partition_implILS5_0ELb0ES3_jN6thrust23THRUST_200600_302600_NS6detail15normal_iteratorINSA_10device_ptrIjEEEEPS6_SG_NS0_5tupleIJNSA_16discard_iteratorINSA_11use_defaultEEESF_EEENSH_IJSG_SG_EEES6_PlJ7is_evenIjEEEE10hipError_tPvRmT3_T4_T5_T6_T7_T9_mT8_P12ihipStream_tbDpT10_ENKUlT_T0_E_clISt17integral_constantIbLb0EES19_EEDaS14_S15_EUlS14_E_NS1_11comp_targetILNS1_3genE0ELNS1_11target_archE4294967295ELNS1_3gpuE0ELNS1_3repE0EEENS1_30default_config_static_selectorELNS0_4arch9wavefront6targetE1EEEvT1_ ; -- Begin function _ZN7rocprim17ROCPRIM_400000_NS6detail17trampoline_kernelINS0_14default_configENS1_25partition_config_selectorILNS1_17partition_subalgoE0EjNS0_10empty_typeEbEEZZNS1_14partition_implILS5_0ELb0ES3_jN6thrust23THRUST_200600_302600_NS6detail15normal_iteratorINSA_10device_ptrIjEEEEPS6_SG_NS0_5tupleIJNSA_16discard_iteratorINSA_11use_defaultEEESF_EEENSH_IJSG_SG_EEES6_PlJ7is_evenIjEEEE10hipError_tPvRmT3_T4_T5_T6_T7_T9_mT8_P12ihipStream_tbDpT10_ENKUlT_T0_E_clISt17integral_constantIbLb0EES19_EEDaS14_S15_EUlS14_E_NS1_11comp_targetILNS1_3genE0ELNS1_11target_archE4294967295ELNS1_3gpuE0ELNS1_3repE0EEENS1_30default_config_static_selectorELNS0_4arch9wavefront6targetE1EEEvT1_
	.globl	_ZN7rocprim17ROCPRIM_400000_NS6detail17trampoline_kernelINS0_14default_configENS1_25partition_config_selectorILNS1_17partition_subalgoE0EjNS0_10empty_typeEbEEZZNS1_14partition_implILS5_0ELb0ES3_jN6thrust23THRUST_200600_302600_NS6detail15normal_iteratorINSA_10device_ptrIjEEEEPS6_SG_NS0_5tupleIJNSA_16discard_iteratorINSA_11use_defaultEEESF_EEENSH_IJSG_SG_EEES6_PlJ7is_evenIjEEEE10hipError_tPvRmT3_T4_T5_T6_T7_T9_mT8_P12ihipStream_tbDpT10_ENKUlT_T0_E_clISt17integral_constantIbLb0EES19_EEDaS14_S15_EUlS14_E_NS1_11comp_targetILNS1_3genE0ELNS1_11target_archE4294967295ELNS1_3gpuE0ELNS1_3repE0EEENS1_30default_config_static_selectorELNS0_4arch9wavefront6targetE1EEEvT1_
	.p2align	8
	.type	_ZN7rocprim17ROCPRIM_400000_NS6detail17trampoline_kernelINS0_14default_configENS1_25partition_config_selectorILNS1_17partition_subalgoE0EjNS0_10empty_typeEbEEZZNS1_14partition_implILS5_0ELb0ES3_jN6thrust23THRUST_200600_302600_NS6detail15normal_iteratorINSA_10device_ptrIjEEEEPS6_SG_NS0_5tupleIJNSA_16discard_iteratorINSA_11use_defaultEEESF_EEENSH_IJSG_SG_EEES6_PlJ7is_evenIjEEEE10hipError_tPvRmT3_T4_T5_T6_T7_T9_mT8_P12ihipStream_tbDpT10_ENKUlT_T0_E_clISt17integral_constantIbLb0EES19_EEDaS14_S15_EUlS14_E_NS1_11comp_targetILNS1_3genE0ELNS1_11target_archE4294967295ELNS1_3gpuE0ELNS1_3repE0EEENS1_30default_config_static_selectorELNS0_4arch9wavefront6targetE1EEEvT1_,@function
_ZN7rocprim17ROCPRIM_400000_NS6detail17trampoline_kernelINS0_14default_configENS1_25partition_config_selectorILNS1_17partition_subalgoE0EjNS0_10empty_typeEbEEZZNS1_14partition_implILS5_0ELb0ES3_jN6thrust23THRUST_200600_302600_NS6detail15normal_iteratorINSA_10device_ptrIjEEEEPS6_SG_NS0_5tupleIJNSA_16discard_iteratorINSA_11use_defaultEEESF_EEENSH_IJSG_SG_EEES6_PlJ7is_evenIjEEEE10hipError_tPvRmT3_T4_T5_T6_T7_T9_mT8_P12ihipStream_tbDpT10_ENKUlT_T0_E_clISt17integral_constantIbLb0EES19_EEDaS14_S15_EUlS14_E_NS1_11comp_targetILNS1_3genE0ELNS1_11target_archE4294967295ELNS1_3gpuE0ELNS1_3repE0EEENS1_30default_config_static_selectorELNS0_4arch9wavefront6targetE1EEEvT1_: ; @_ZN7rocprim17ROCPRIM_400000_NS6detail17trampoline_kernelINS0_14default_configENS1_25partition_config_selectorILNS1_17partition_subalgoE0EjNS0_10empty_typeEbEEZZNS1_14partition_implILS5_0ELb0ES3_jN6thrust23THRUST_200600_302600_NS6detail15normal_iteratorINSA_10device_ptrIjEEEEPS6_SG_NS0_5tupleIJNSA_16discard_iteratorINSA_11use_defaultEEESF_EEENSH_IJSG_SG_EEES6_PlJ7is_evenIjEEEE10hipError_tPvRmT3_T4_T5_T6_T7_T9_mT8_P12ihipStream_tbDpT10_ENKUlT_T0_E_clISt17integral_constantIbLb0EES19_EEDaS14_S15_EUlS14_E_NS1_11comp_targetILNS1_3genE0ELNS1_11target_archE4294967295ELNS1_3gpuE0ELNS1_3repE0EEENS1_30default_config_static_selectorELNS0_4arch9wavefront6targetE1EEEvT1_
; %bb.0:
	.section	.rodata,"a",@progbits
	.p2align	6, 0x0
	.amdhsa_kernel _ZN7rocprim17ROCPRIM_400000_NS6detail17trampoline_kernelINS0_14default_configENS1_25partition_config_selectorILNS1_17partition_subalgoE0EjNS0_10empty_typeEbEEZZNS1_14partition_implILS5_0ELb0ES3_jN6thrust23THRUST_200600_302600_NS6detail15normal_iteratorINSA_10device_ptrIjEEEEPS6_SG_NS0_5tupleIJNSA_16discard_iteratorINSA_11use_defaultEEESF_EEENSH_IJSG_SG_EEES6_PlJ7is_evenIjEEEE10hipError_tPvRmT3_T4_T5_T6_T7_T9_mT8_P12ihipStream_tbDpT10_ENKUlT_T0_E_clISt17integral_constantIbLb0EES19_EEDaS14_S15_EUlS14_E_NS1_11comp_targetILNS1_3genE0ELNS1_11target_archE4294967295ELNS1_3gpuE0ELNS1_3repE0EEENS1_30default_config_static_selectorELNS0_4arch9wavefront6targetE1EEEvT1_
		.amdhsa_group_segment_fixed_size 0
		.amdhsa_private_segment_fixed_size 0
		.amdhsa_kernarg_size 128
		.amdhsa_user_sgpr_count 2
		.amdhsa_user_sgpr_dispatch_ptr 0
		.amdhsa_user_sgpr_queue_ptr 0
		.amdhsa_user_sgpr_kernarg_segment_ptr 1
		.amdhsa_user_sgpr_dispatch_id 0
		.amdhsa_user_sgpr_kernarg_preload_length 0
		.amdhsa_user_sgpr_kernarg_preload_offset 0
		.amdhsa_user_sgpr_private_segment_size 0
		.amdhsa_uses_dynamic_stack 0
		.amdhsa_enable_private_segment 0
		.amdhsa_system_sgpr_workgroup_id_x 1
		.amdhsa_system_sgpr_workgroup_id_y 0
		.amdhsa_system_sgpr_workgroup_id_z 0
		.amdhsa_system_sgpr_workgroup_info 0
		.amdhsa_system_vgpr_workitem_id 0
		.amdhsa_next_free_vgpr 1
		.amdhsa_next_free_sgpr 0
		.amdhsa_accum_offset 4
		.amdhsa_reserve_vcc 0
		.amdhsa_float_round_mode_32 0
		.amdhsa_float_round_mode_16_64 0
		.amdhsa_float_denorm_mode_32 3
		.amdhsa_float_denorm_mode_16_64 3
		.amdhsa_dx10_clamp 1
		.amdhsa_ieee_mode 1
		.amdhsa_fp16_overflow 0
		.amdhsa_tg_split 0
		.amdhsa_exception_fp_ieee_invalid_op 0
		.amdhsa_exception_fp_denorm_src 0
		.amdhsa_exception_fp_ieee_div_zero 0
		.amdhsa_exception_fp_ieee_overflow 0
		.amdhsa_exception_fp_ieee_underflow 0
		.amdhsa_exception_fp_ieee_inexact 0
		.amdhsa_exception_int_div_zero 0
	.end_amdhsa_kernel
	.section	.text._ZN7rocprim17ROCPRIM_400000_NS6detail17trampoline_kernelINS0_14default_configENS1_25partition_config_selectorILNS1_17partition_subalgoE0EjNS0_10empty_typeEbEEZZNS1_14partition_implILS5_0ELb0ES3_jN6thrust23THRUST_200600_302600_NS6detail15normal_iteratorINSA_10device_ptrIjEEEEPS6_SG_NS0_5tupleIJNSA_16discard_iteratorINSA_11use_defaultEEESF_EEENSH_IJSG_SG_EEES6_PlJ7is_evenIjEEEE10hipError_tPvRmT3_T4_T5_T6_T7_T9_mT8_P12ihipStream_tbDpT10_ENKUlT_T0_E_clISt17integral_constantIbLb0EES19_EEDaS14_S15_EUlS14_E_NS1_11comp_targetILNS1_3genE0ELNS1_11target_archE4294967295ELNS1_3gpuE0ELNS1_3repE0EEENS1_30default_config_static_selectorELNS0_4arch9wavefront6targetE1EEEvT1_,"axG",@progbits,_ZN7rocprim17ROCPRIM_400000_NS6detail17trampoline_kernelINS0_14default_configENS1_25partition_config_selectorILNS1_17partition_subalgoE0EjNS0_10empty_typeEbEEZZNS1_14partition_implILS5_0ELb0ES3_jN6thrust23THRUST_200600_302600_NS6detail15normal_iteratorINSA_10device_ptrIjEEEEPS6_SG_NS0_5tupleIJNSA_16discard_iteratorINSA_11use_defaultEEESF_EEENSH_IJSG_SG_EEES6_PlJ7is_evenIjEEEE10hipError_tPvRmT3_T4_T5_T6_T7_T9_mT8_P12ihipStream_tbDpT10_ENKUlT_T0_E_clISt17integral_constantIbLb0EES19_EEDaS14_S15_EUlS14_E_NS1_11comp_targetILNS1_3genE0ELNS1_11target_archE4294967295ELNS1_3gpuE0ELNS1_3repE0EEENS1_30default_config_static_selectorELNS0_4arch9wavefront6targetE1EEEvT1_,comdat
.Lfunc_end2459:
	.size	_ZN7rocprim17ROCPRIM_400000_NS6detail17trampoline_kernelINS0_14default_configENS1_25partition_config_selectorILNS1_17partition_subalgoE0EjNS0_10empty_typeEbEEZZNS1_14partition_implILS5_0ELb0ES3_jN6thrust23THRUST_200600_302600_NS6detail15normal_iteratorINSA_10device_ptrIjEEEEPS6_SG_NS0_5tupleIJNSA_16discard_iteratorINSA_11use_defaultEEESF_EEENSH_IJSG_SG_EEES6_PlJ7is_evenIjEEEE10hipError_tPvRmT3_T4_T5_T6_T7_T9_mT8_P12ihipStream_tbDpT10_ENKUlT_T0_E_clISt17integral_constantIbLb0EES19_EEDaS14_S15_EUlS14_E_NS1_11comp_targetILNS1_3genE0ELNS1_11target_archE4294967295ELNS1_3gpuE0ELNS1_3repE0EEENS1_30default_config_static_selectorELNS0_4arch9wavefront6targetE1EEEvT1_, .Lfunc_end2459-_ZN7rocprim17ROCPRIM_400000_NS6detail17trampoline_kernelINS0_14default_configENS1_25partition_config_selectorILNS1_17partition_subalgoE0EjNS0_10empty_typeEbEEZZNS1_14partition_implILS5_0ELb0ES3_jN6thrust23THRUST_200600_302600_NS6detail15normal_iteratorINSA_10device_ptrIjEEEEPS6_SG_NS0_5tupleIJNSA_16discard_iteratorINSA_11use_defaultEEESF_EEENSH_IJSG_SG_EEES6_PlJ7is_evenIjEEEE10hipError_tPvRmT3_T4_T5_T6_T7_T9_mT8_P12ihipStream_tbDpT10_ENKUlT_T0_E_clISt17integral_constantIbLb0EES19_EEDaS14_S15_EUlS14_E_NS1_11comp_targetILNS1_3genE0ELNS1_11target_archE4294967295ELNS1_3gpuE0ELNS1_3repE0EEENS1_30default_config_static_selectorELNS0_4arch9wavefront6targetE1EEEvT1_
                                        ; -- End function
	.section	.AMDGPU.csdata,"",@progbits
; Kernel info:
; codeLenInByte = 0
; NumSgprs: 6
; NumVgprs: 0
; NumAgprs: 0
; TotalNumVgprs: 0
; ScratchSize: 0
; MemoryBound: 0
; FloatMode: 240
; IeeeMode: 1
; LDSByteSize: 0 bytes/workgroup (compile time only)
; SGPRBlocks: 0
; VGPRBlocks: 0
; NumSGPRsForWavesPerEU: 6
; NumVGPRsForWavesPerEU: 1
; AccumOffset: 4
; Occupancy: 8
; WaveLimiterHint : 0
; COMPUTE_PGM_RSRC2:SCRATCH_EN: 0
; COMPUTE_PGM_RSRC2:USER_SGPR: 2
; COMPUTE_PGM_RSRC2:TRAP_HANDLER: 0
; COMPUTE_PGM_RSRC2:TGID_X_EN: 1
; COMPUTE_PGM_RSRC2:TGID_Y_EN: 0
; COMPUTE_PGM_RSRC2:TGID_Z_EN: 0
; COMPUTE_PGM_RSRC2:TIDIG_COMP_CNT: 0
; COMPUTE_PGM_RSRC3_GFX90A:ACCUM_OFFSET: 0
; COMPUTE_PGM_RSRC3_GFX90A:TG_SPLIT: 0
	.section	.text._ZN7rocprim17ROCPRIM_400000_NS6detail17trampoline_kernelINS0_14default_configENS1_25partition_config_selectorILNS1_17partition_subalgoE0EjNS0_10empty_typeEbEEZZNS1_14partition_implILS5_0ELb0ES3_jN6thrust23THRUST_200600_302600_NS6detail15normal_iteratorINSA_10device_ptrIjEEEEPS6_SG_NS0_5tupleIJNSA_16discard_iteratorINSA_11use_defaultEEESF_EEENSH_IJSG_SG_EEES6_PlJ7is_evenIjEEEE10hipError_tPvRmT3_T4_T5_T6_T7_T9_mT8_P12ihipStream_tbDpT10_ENKUlT_T0_E_clISt17integral_constantIbLb0EES19_EEDaS14_S15_EUlS14_E_NS1_11comp_targetILNS1_3genE5ELNS1_11target_archE942ELNS1_3gpuE9ELNS1_3repE0EEENS1_30default_config_static_selectorELNS0_4arch9wavefront6targetE1EEEvT1_,"axG",@progbits,_ZN7rocprim17ROCPRIM_400000_NS6detail17trampoline_kernelINS0_14default_configENS1_25partition_config_selectorILNS1_17partition_subalgoE0EjNS0_10empty_typeEbEEZZNS1_14partition_implILS5_0ELb0ES3_jN6thrust23THRUST_200600_302600_NS6detail15normal_iteratorINSA_10device_ptrIjEEEEPS6_SG_NS0_5tupleIJNSA_16discard_iteratorINSA_11use_defaultEEESF_EEENSH_IJSG_SG_EEES6_PlJ7is_evenIjEEEE10hipError_tPvRmT3_T4_T5_T6_T7_T9_mT8_P12ihipStream_tbDpT10_ENKUlT_T0_E_clISt17integral_constantIbLb0EES19_EEDaS14_S15_EUlS14_E_NS1_11comp_targetILNS1_3genE5ELNS1_11target_archE942ELNS1_3gpuE9ELNS1_3repE0EEENS1_30default_config_static_selectorELNS0_4arch9wavefront6targetE1EEEvT1_,comdat
	.protected	_ZN7rocprim17ROCPRIM_400000_NS6detail17trampoline_kernelINS0_14default_configENS1_25partition_config_selectorILNS1_17partition_subalgoE0EjNS0_10empty_typeEbEEZZNS1_14partition_implILS5_0ELb0ES3_jN6thrust23THRUST_200600_302600_NS6detail15normal_iteratorINSA_10device_ptrIjEEEEPS6_SG_NS0_5tupleIJNSA_16discard_iteratorINSA_11use_defaultEEESF_EEENSH_IJSG_SG_EEES6_PlJ7is_evenIjEEEE10hipError_tPvRmT3_T4_T5_T6_T7_T9_mT8_P12ihipStream_tbDpT10_ENKUlT_T0_E_clISt17integral_constantIbLb0EES19_EEDaS14_S15_EUlS14_E_NS1_11comp_targetILNS1_3genE5ELNS1_11target_archE942ELNS1_3gpuE9ELNS1_3repE0EEENS1_30default_config_static_selectorELNS0_4arch9wavefront6targetE1EEEvT1_ ; -- Begin function _ZN7rocprim17ROCPRIM_400000_NS6detail17trampoline_kernelINS0_14default_configENS1_25partition_config_selectorILNS1_17partition_subalgoE0EjNS0_10empty_typeEbEEZZNS1_14partition_implILS5_0ELb0ES3_jN6thrust23THRUST_200600_302600_NS6detail15normal_iteratorINSA_10device_ptrIjEEEEPS6_SG_NS0_5tupleIJNSA_16discard_iteratorINSA_11use_defaultEEESF_EEENSH_IJSG_SG_EEES6_PlJ7is_evenIjEEEE10hipError_tPvRmT3_T4_T5_T6_T7_T9_mT8_P12ihipStream_tbDpT10_ENKUlT_T0_E_clISt17integral_constantIbLb0EES19_EEDaS14_S15_EUlS14_E_NS1_11comp_targetILNS1_3genE5ELNS1_11target_archE942ELNS1_3gpuE9ELNS1_3repE0EEENS1_30default_config_static_selectorELNS0_4arch9wavefront6targetE1EEEvT1_
	.globl	_ZN7rocprim17ROCPRIM_400000_NS6detail17trampoline_kernelINS0_14default_configENS1_25partition_config_selectorILNS1_17partition_subalgoE0EjNS0_10empty_typeEbEEZZNS1_14partition_implILS5_0ELb0ES3_jN6thrust23THRUST_200600_302600_NS6detail15normal_iteratorINSA_10device_ptrIjEEEEPS6_SG_NS0_5tupleIJNSA_16discard_iteratorINSA_11use_defaultEEESF_EEENSH_IJSG_SG_EEES6_PlJ7is_evenIjEEEE10hipError_tPvRmT3_T4_T5_T6_T7_T9_mT8_P12ihipStream_tbDpT10_ENKUlT_T0_E_clISt17integral_constantIbLb0EES19_EEDaS14_S15_EUlS14_E_NS1_11comp_targetILNS1_3genE5ELNS1_11target_archE942ELNS1_3gpuE9ELNS1_3repE0EEENS1_30default_config_static_selectorELNS0_4arch9wavefront6targetE1EEEvT1_
	.p2align	8
	.type	_ZN7rocprim17ROCPRIM_400000_NS6detail17trampoline_kernelINS0_14default_configENS1_25partition_config_selectorILNS1_17partition_subalgoE0EjNS0_10empty_typeEbEEZZNS1_14partition_implILS5_0ELb0ES3_jN6thrust23THRUST_200600_302600_NS6detail15normal_iteratorINSA_10device_ptrIjEEEEPS6_SG_NS0_5tupleIJNSA_16discard_iteratorINSA_11use_defaultEEESF_EEENSH_IJSG_SG_EEES6_PlJ7is_evenIjEEEE10hipError_tPvRmT3_T4_T5_T6_T7_T9_mT8_P12ihipStream_tbDpT10_ENKUlT_T0_E_clISt17integral_constantIbLb0EES19_EEDaS14_S15_EUlS14_E_NS1_11comp_targetILNS1_3genE5ELNS1_11target_archE942ELNS1_3gpuE9ELNS1_3repE0EEENS1_30default_config_static_selectorELNS0_4arch9wavefront6targetE1EEEvT1_,@function
_ZN7rocprim17ROCPRIM_400000_NS6detail17trampoline_kernelINS0_14default_configENS1_25partition_config_selectorILNS1_17partition_subalgoE0EjNS0_10empty_typeEbEEZZNS1_14partition_implILS5_0ELb0ES3_jN6thrust23THRUST_200600_302600_NS6detail15normal_iteratorINSA_10device_ptrIjEEEEPS6_SG_NS0_5tupleIJNSA_16discard_iteratorINSA_11use_defaultEEESF_EEENSH_IJSG_SG_EEES6_PlJ7is_evenIjEEEE10hipError_tPvRmT3_T4_T5_T6_T7_T9_mT8_P12ihipStream_tbDpT10_ENKUlT_T0_E_clISt17integral_constantIbLb0EES19_EEDaS14_S15_EUlS14_E_NS1_11comp_targetILNS1_3genE5ELNS1_11target_archE942ELNS1_3gpuE9ELNS1_3repE0EEENS1_30default_config_static_selectorELNS0_4arch9wavefront6targetE1EEEvT1_: ; @_ZN7rocprim17ROCPRIM_400000_NS6detail17trampoline_kernelINS0_14default_configENS1_25partition_config_selectorILNS1_17partition_subalgoE0EjNS0_10empty_typeEbEEZZNS1_14partition_implILS5_0ELb0ES3_jN6thrust23THRUST_200600_302600_NS6detail15normal_iteratorINSA_10device_ptrIjEEEEPS6_SG_NS0_5tupleIJNSA_16discard_iteratorINSA_11use_defaultEEESF_EEENSH_IJSG_SG_EEES6_PlJ7is_evenIjEEEE10hipError_tPvRmT3_T4_T5_T6_T7_T9_mT8_P12ihipStream_tbDpT10_ENKUlT_T0_E_clISt17integral_constantIbLb0EES19_EEDaS14_S15_EUlS14_E_NS1_11comp_targetILNS1_3genE5ELNS1_11target_archE942ELNS1_3gpuE9ELNS1_3repE0EEENS1_30default_config_static_selectorELNS0_4arch9wavefront6targetE1EEEvT1_
; %bb.0:
	s_load_dwordx2 s[4:5], s[0:1], 0x60
	s_load_dwordx4 s[20:23], s[0:1], 0x8
	s_load_dwordx4 s[24:27], s[0:1], 0x50
	s_load_dword s3, s[0:1], 0x78
	s_mul_i32 s8, s2, 0x1e00
	s_waitcnt lgkmcnt(0)
	v_mov_b32_e32 v3, s5
	s_lshl_b64 s[6:7], s[22:23], 2
	s_add_u32 s10, s20, s6
	s_addc_u32 s11, s21, s7
	s_add_i32 s6, s3, -1
	s_mulk_i32 s3, 0x1e00
	s_add_i32 s5, s3, s22
	s_sub_i32 s33, s4, s5
	s_addk_i32 s33, 0x1e00
	v_mov_b32_e32 v2, s4
	s_add_u32 s4, s22, s3
	s_addc_u32 s5, s23, 0
	s_cmp_eq_u32 s2, s6
	s_load_dwordx2 s[28:29], s[26:27], 0x0
	s_cselect_b64 s[26:27], -1, 0
	s_cmp_lg_u32 s2, s6
	s_mov_b32 s9, 0
	v_cmp_lt_u64_e32 vcc, s[4:5], v[2:3]
	s_cselect_b64 s[4:5], -1, 0
	s_or_b64 s[6:7], s[4:5], vcc
	s_lshl_b64 s[30:31], s[8:9], 2
	s_add_u32 s8, s10, s30
	s_addc_u32 s9, s11, s31
	s_mov_b64 s[4:5], -1
	s_and_b64 vcc, exec, s[6:7]
	v_lshlrev_b32_e32 v18, 2, v0
	s_cbranch_vccz .LBB2460_2
; %bb.1:
	v_mov_b32_e32 v19, 0
	v_lshl_add_u64 v[2:3], s[8:9], 0, v[18:19]
	v_add_co_u32_e32 v4, vcc, 0x1000, v2
	s_mov_b64 s[4:5], 0
	s_nop 0
	v_addc_co_u32_e32 v5, vcc, 0, v3, vcc
	v_add_co_u32_e32 v6, vcc, 0x2000, v2
	s_nop 1
	v_addc_co_u32_e32 v7, vcc, 0, v3, vcc
	v_add_co_u32_e32 v8, vcc, 0x3000, v2
	s_nop 1
	v_addc_co_u32_e32 v9, vcc, 0, v3, vcc
	flat_load_dword v1, v[2:3]
	flat_load_dword v10, v[2:3] offset:2048
	flat_load_dword v11, v[4:5]
	flat_load_dword v12, v[4:5] offset:2048
	;; [unrolled: 2-line block ×4, first 2 shown]
	v_add_co_u32_e32 v4, vcc, 0x4000, v2
	s_nop 1
	v_addc_co_u32_e32 v5, vcc, 0, v3, vcc
	v_add_co_u32_e32 v6, vcc, 0x5000, v2
	s_nop 1
	v_addc_co_u32_e32 v7, vcc, 0, v3, vcc
	;; [unrolled: 3-line block ×4, first 2 shown]
	flat_load_dword v17, v[4:5]
	flat_load_dword v19, v[4:5] offset:2048
	flat_load_dword v20, v[6:7]
	flat_load_dword v21, v[6:7] offset:2048
	;; [unrolled: 2-line block ×3, first 2 shown]
	flat_load_dword v24, v[2:3]
	s_waitcnt vmcnt(0) lgkmcnt(0)
	ds_write2st64_b32 v18, v1, v10 offset1:8
	ds_write2st64_b32 v18, v11, v12 offset0:16 offset1:24
	ds_write2st64_b32 v18, v13, v14 offset0:32 offset1:40
	;; [unrolled: 1-line block ×6, first 2 shown]
	ds_write_b32 v18, v24 offset:28672
	s_waitcnt lgkmcnt(0)
	s_barrier
.LBB2460_2:
	s_andn2_b64 vcc, exec, s[4:5]
	v_cmp_gt_u32_e64 s[4:5], s33, v0
	s_cbranch_vccnz .LBB2460_34
; %bb.3:
                                        ; implicit-def: $vgpr2_vgpr3_vgpr4_vgpr5_vgpr6_vgpr7_vgpr8_vgpr9_vgpr10_vgpr11_vgpr12_vgpr13_vgpr14_vgpr15_vgpr16_vgpr17
	s_and_saveexec_b64 s[10:11], s[4:5]
	s_cbranch_execz .LBB2460_5
; %bb.4:
	v_mov_b32_e32 v19, 0
	v_lshl_add_u64 v[2:3], s[8:9], 0, v[18:19]
	flat_load_dword v2, v[2:3]
.LBB2460_5:
	s_or_b64 exec, exec, s[10:11]
	v_or_b32_e32 v1, 0x200, v0
	v_cmp_gt_u32_e32 vcc, s33, v1
	s_and_saveexec_b64 s[4:5], vcc
	s_cbranch_execz .LBB2460_7
; %bb.6:
	v_mov_b32_e32 v19, 0
	v_lshl_add_u64 v[20:21], s[8:9], 0, v[18:19]
	flat_load_dword v3, v[20:21] offset:2048
.LBB2460_7:
	s_or_b64 exec, exec, s[4:5]
	v_or_b32_e32 v1, 0x400, v0
	v_cmp_gt_u32_e32 vcc, s33, v1
	s_and_saveexec_b64 s[4:5], vcc
	s_cbranch_execz .LBB2460_9
; %bb.8:
	v_lshlrev_b32_e32 v20, 2, v1
	v_mov_b32_e32 v21, 0
	v_lshl_add_u64 v[20:21], s[8:9], 0, v[20:21]
	flat_load_dword v4, v[20:21]
.LBB2460_9:
	s_or_b64 exec, exec, s[4:5]
	v_or_b32_e32 v1, 0x600, v0
	v_cmp_gt_u32_e32 vcc, s33, v1
	s_and_saveexec_b64 s[4:5], vcc
	s_cbranch_execz .LBB2460_11
; %bb.10:
	v_lshlrev_b32_e32 v20, 2, v1
	v_mov_b32_e32 v21, 0
	v_lshl_add_u64 v[20:21], s[8:9], 0, v[20:21]
	flat_load_dword v5, v[20:21]
.LBB2460_11:
	;; [unrolled: 11-line block ×13, first 2 shown]
	s_or_b64 exec, exec, s[4:5]
	s_waitcnt vmcnt(0) lgkmcnt(0)
	ds_write2st64_b32 v18, v2, v3 offset1:8
	ds_write2st64_b32 v18, v4, v5 offset0:16 offset1:24
	ds_write2st64_b32 v18, v6, v7 offset0:32 offset1:40
	;; [unrolled: 1-line block ×6, first 2 shown]
	ds_write_b32 v18, v16 offset:28672
	s_waitcnt lgkmcnt(0)
	s_barrier
.LBB2460_34:
	v_mul_u32_u24_e32 v38, 15, v0
	v_lshlrev_b32_e32 v1, 2, v38
	s_waitcnt lgkmcnt(0)
	ds_read2_b32 v[32:33], v1 offset1:1
	ds_read2_b32 v[30:31], v1 offset0:2 offset1:3
	ds_read2_b32 v[28:29], v1 offset0:4 offset1:5
	;; [unrolled: 1-line block ×6, first 2 shown]
	ds_read_b32 v1, v1 offset:56
	v_cndmask_b32_e64 v2, 0, 1, s[6:7]
	v_cmp_ne_u32_e64 s[20:21], 1, v2
	s_andn2_b64 vcc, exec, s[6:7]
	s_waitcnt lgkmcnt(7)
	v_xor_b32_e32 v16, -1, v32
	v_xor_b32_e32 v15, -1, v33
	s_waitcnt lgkmcnt(6)
	v_xor_b32_e32 v14, -1, v30
	v_xor_b32_e32 v13, -1, v31
	;; [unrolled: 3-line block ×7, first 2 shown]
	s_waitcnt lgkmcnt(0)
	v_xor_b32_e32 v2, -1, v1
	s_barrier
	s_cbranch_vccnz .LBB2460_36
; %bb.35:
	v_and_b32_e32 v51, 1, v16
	v_and_b32_e32 v50, 1, v15
	;; [unrolled: 1-line block ×15, first 2 shown]
	s_load_dwordx2 s[34:35], s[0:1], 0x70
	s_cbranch_execz .LBB2460_37
	s_branch .LBB2460_38
.LBB2460_36:
                                        ; implicit-def: $vgpr19
                                        ; implicit-def: $vgpr37
                                        ; implicit-def: $vgpr39
                                        ; implicit-def: $vgpr40
                                        ; implicit-def: $vgpr41
                                        ; implicit-def: $vgpr42
                                        ; implicit-def: $vgpr43
                                        ; implicit-def: $vgpr44
                                        ; implicit-def: $vgpr45
                                        ; implicit-def: $vgpr51
                                        ; implicit-def: $vgpr50
                                        ; implicit-def: $vgpr49
                                        ; implicit-def: $vgpr48
                                        ; implicit-def: $vgpr47
                                        ; implicit-def: $vgpr46
	s_load_dwordx2 s[34:35], s[0:1], 0x70
.LBB2460_37:
	v_add_u32_e32 v44, 1, v38
	v_cmp_gt_u32_e32 vcc, s33, v38
	v_add_u32_e32 v17, 2, v38
	v_add_u32_e32 v43, 3, v38
	v_cndmask_b32_e64 v45, 0, 1, vcc
	v_cmp_gt_u32_e32 vcc, s33, v44
	v_and_b32_e32 v51, v45, v16
	v_add_u32_e32 v19, 4, v38
	v_cndmask_b32_e64 v16, 0, 1, vcc
	v_cmp_gt_u32_e32 vcc, s33, v17
	v_and_b32_e32 v50, v16, v15
	v_add_u32_e32 v42, 5, v38
	v_cndmask_b32_e64 v15, 0, 1, vcc
	v_cmp_gt_u32_e32 vcc, s33, v43
	v_and_b32_e32 v49, v15, v14
	v_add_u32_e32 v34, 6, v38
	v_cndmask_b32_e64 v14, 0, 1, vcc
	v_cmp_gt_u32_e32 vcc, s33, v19
	v_and_b32_e32 v48, v14, v13
	v_add_u32_e32 v41, 7, v38
	v_cndmask_b32_e64 v13, 0, 1, vcc
	v_cmp_gt_u32_e32 vcc, s33, v42
	v_and_b32_e32 v47, v13, v12
	v_add_u32_e32 v35, 8, v38
	v_cndmask_b32_e64 v12, 0, 1, vcc
	v_cmp_gt_u32_e32 vcc, s33, v34
	v_and_b32_e32 v46, v12, v11
	v_add_u32_e32 v40, 9, v38
	v_cndmask_b32_e64 v11, 0, 1, vcc
	v_cmp_gt_u32_e32 vcc, s33, v41
	v_and_b32_e32 v45, v11, v10
	v_add_u32_e32 v36, 10, v38
	v_cndmask_b32_e64 v10, 0, 1, vcc
	v_cmp_gt_u32_e32 vcc, s33, v35
	v_and_b32_e32 v44, v10, v9
	v_add_u32_e32 v39, 11, v38
	v_cndmask_b32_e64 v9, 0, 1, vcc
	v_cmp_gt_u32_e32 vcc, s33, v40
	v_and_b32_e32 v43, v9, v8
	v_add_u32_e32 v37, 12, v38
	v_cndmask_b32_e64 v8, 0, 1, vcc
	v_cmp_gt_u32_e32 vcc, s33, v36
	v_and_b32_e32 v42, v8, v7
	v_add_u32_e32 v53, 13, v38
	v_cndmask_b32_e64 v7, 0, 1, vcc
	v_cmp_gt_u32_e32 vcc, s33, v39
	v_and_b32_e32 v41, v7, v6
	v_add_u32_e32 v52, 14, v38
	v_cndmask_b32_e64 v6, 0, 1, vcc
	v_cmp_gt_u32_e32 vcc, s33, v37
	v_and_b32_e32 v40, v6, v5
	s_nop 0
	v_cndmask_b32_e64 v5, 0, 1, vcc
	v_cmp_gt_u32_e32 vcc, s33, v53
	v_and_b32_e32 v39, v5, v4
	s_nop 0
	v_cndmask_b32_e64 v4, 0, 1, vcc
	v_cmp_gt_u32_e32 vcc, s33, v52
	v_and_b32_e32 v37, v4, v3
	s_nop 0
	v_cndmask_b32_e64 v3, 0, 1, vcc
	v_and_b32_e32 v19, v3, v2
.LBB2460_38:
	v_and_b32_e32 v55, 0xff, v48
	v_and_b32_e32 v56, 0xff, v47
	;; [unrolled: 1-line block ×5, first 2 shown]
	v_add3_u32 v3, v56, v57, v55
	v_and_b32_e32 v52, 0xff, v51
	v_and_b32_e32 v58, 0xff, v45
	v_add3_u32 v3, v3, v54, v53
	v_and_b32_e32 v59, 0xff, v44
	v_and_b32_e32 v60, 0xff, v43
	;; [unrolled: 3-line block ×5, first 2 shown]
	v_add3_u32 v3, v3, v63, v64
	v_add3_u32 v68, v3, v65, v2
	v_mbcnt_lo_u32_b32 v2, -1, 0
	v_mbcnt_hi_u32_b32 v66, -1, v2
	v_and_b32_e32 v2, 15, v66
	v_cmp_eq_u32_e64 s[16:17], 0, v2
	v_cmp_lt_u32_e64 s[14:15], 1, v2
	v_cmp_lt_u32_e64 s[12:13], 3, v2
	;; [unrolled: 1-line block ×3, first 2 shown]
	v_and_b32_e32 v2, 16, v66
	v_cmp_eq_u32_e64 s[8:9], 0, v2
	v_or_b32_e32 v2, 63, v0
	s_cmp_lg_u32 s2, 0
	v_cmp_lt_u32_e64 s[4:5], 31, v66
	v_lshrrev_b32_e32 v67, 6, v0
	v_cmp_eq_u32_e64 s[6:7], v2, v0
	s_cbranch_scc0 .LBB2460_65
; %bb.39:
	v_mov_b32_dpp v2, v68 row_shr:1 row_mask:0xf bank_mask:0xf
	v_cndmask_b32_e64 v2, v2, 0, s[16:17]
	v_add_u32_e32 v2, v2, v68
	s_nop 1
	v_mov_b32_dpp v3, v2 row_shr:2 row_mask:0xf bank_mask:0xf
	v_cndmask_b32_e64 v3, 0, v3, s[14:15]
	v_add_u32_e32 v2, v2, v3
	s_nop 1
	;; [unrolled: 4-line block ×4, first 2 shown]
	v_mov_b32_dpp v3, v2 row_bcast:15 row_mask:0xf bank_mask:0xf
	v_cndmask_b32_e64 v3, v3, 0, s[8:9]
	v_add_u32_e32 v2, v2, v3
	s_nop 1
	v_mov_b32_dpp v3, v2 row_bcast:31 row_mask:0xf bank_mask:0xf
	v_cndmask_b32_e64 v3, 0, v3, s[4:5]
	v_add_u32_e32 v2, v2, v3
	s_and_saveexec_b64 s[18:19], s[6:7]
	s_cbranch_execz .LBB2460_41
; %bb.40:
	v_lshlrev_b32_e32 v3, 2, v67
	ds_write_b32 v3, v2
.LBB2460_41:
	s_or_b64 exec, exec, s[18:19]
	v_cmp_gt_u32_e32 vcc, 8, v0
	s_waitcnt lgkmcnt(0)
	s_barrier
	s_and_saveexec_b64 s[18:19], vcc
	s_cbranch_execz .LBB2460_43
; %bb.42:
	ds_read_b32 v3, v18
	v_and_b32_e32 v4, 7, v66
	v_cmp_ne_u32_e32 vcc, 0, v4
	s_waitcnt lgkmcnt(0)
	v_mov_b32_dpp v5, v3 row_shr:1 row_mask:0xf bank_mask:0xf
	v_cndmask_b32_e32 v5, 0, v5, vcc
	v_add_u32_e32 v3, v5, v3
	v_cmp_lt_u32_e32 vcc, 1, v4
	s_nop 0
	v_mov_b32_dpp v5, v3 row_shr:2 row_mask:0xf bank_mask:0xf
	v_cndmask_b32_e32 v5, 0, v5, vcc
	v_add_u32_e32 v3, v3, v5
	v_cmp_lt_u32_e32 vcc, 3, v4
	s_nop 0
	v_mov_b32_dpp v5, v3 row_shr:4 row_mask:0xf bank_mask:0xf
	v_cndmask_b32_e32 v4, 0, v5, vcc
	v_add_u32_e32 v3, v3, v4
	ds_write_b32 v18, v3
.LBB2460_43:
	s_or_b64 exec, exec, s[18:19]
	v_cmp_gt_u32_e32 vcc, 64, v0
	v_cmp_lt_u32_e64 s[18:19], 63, v0
	s_waitcnt lgkmcnt(0)
	s_barrier
	s_waitcnt lgkmcnt(0)
                                        ; implicit-def: $vgpr12
	s_and_saveexec_b64 s[36:37], s[18:19]
	s_cbranch_execz .LBB2460_45
; %bb.44:
	v_lshl_add_u32 v3, v67, 2, -4
	ds_read_b32 v12, v3
	s_waitcnt lgkmcnt(0)
	v_add_u32_e32 v2, v12, v2
.LBB2460_45:
	s_or_b64 exec, exec, s[36:37]
	v_add_u32_e32 v3, -1, v66
	v_and_b32_e32 v4, 64, v66
	v_cmp_lt_i32_e64 s[18:19], v3, v4
	s_nop 1
	v_cndmask_b32_e64 v3, v3, v66, s[18:19]
	v_lshlrev_b32_e32 v3, 2, v3
	ds_bpermute_b32 v13, v3, v2
	v_cmp_eq_u32_e64 s[18:19], 0, v66
	s_and_saveexec_b64 s[36:37], vcc
	s_cbranch_execz .LBB2460_64
; %bb.46:
	v_mov_b32_e32 v9, 0
	ds_read_b32 v2, v9 offset:28
	s_and_saveexec_b64 s[38:39], s[18:19]
	s_cbranch_execz .LBB2460_48
; %bb.47:
	s_add_i32 s40, s2, 64
	s_mov_b32 s41, 0
	s_lshl_b64 s[40:41], s[40:41], 3
	s_add_u32 s40, s34, s40
	v_mov_b32_e32 v3, 1
	s_addc_u32 s41, s35, s41
	s_waitcnt lgkmcnt(0)
	global_store_dwordx2 v9, v[2:3], s[40:41] sc1
.LBB2460_48:
	s_or_b64 exec, exec, s[38:39]
	v_xad_u32 v4, v66, -1, s2
	v_add_u32_e32 v8, 64, v4
	v_lshl_add_u64 v[10:11], v[8:9], 3, s[34:35]
	global_load_dwordx2 v[6:7], v[10:11], off sc1
	s_waitcnt vmcnt(0)
	v_cmp_eq_u16_sdwa s[40:41], v7, v9 src0_sel:BYTE_0 src1_sel:DWORD
	s_and_saveexec_b64 s[38:39], s[40:41]
	s_cbranch_execz .LBB2460_52
; %bb.49:
	s_mov_b64 s[40:41], 0
	v_mov_b32_e32 v3, 0
.LBB2460_50:                            ; =>This Inner Loop Header: Depth=1
	global_load_dwordx2 v[6:7], v[10:11], off sc1
	s_waitcnt vmcnt(0)
	v_cmp_ne_u16_sdwa s[42:43], v7, v3 src0_sel:BYTE_0 src1_sel:DWORD
	s_or_b64 s[40:41], s[42:43], s[40:41]
	s_andn2_b64 exec, exec, s[40:41]
	s_cbranch_execnz .LBB2460_50
; %bb.51:
	s_or_b64 exec, exec, s[40:41]
.LBB2460_52:
	s_or_b64 exec, exec, s[38:39]
	v_and_b32_e32 v15, 63, v66
	v_mov_b32_e32 v14, 2
	v_cmp_ne_u32_e32 vcc, 63, v15
	v_cmp_eq_u16_sdwa s[38:39], v7, v14 src0_sel:BYTE_0 src1_sel:DWORD
	v_lshlrev_b64 v[8:9], v66, -1
	v_addc_co_u32_e32 v10, vcc, 0, v66, vcc
	v_and_b32_e32 v3, s39, v9
	v_lshlrev_b32_e32 v16, 2, v10
	v_or_b32_e32 v3, 0x80000000, v3
	ds_bpermute_b32 v10, v16, v6
	v_and_b32_e32 v5, s38, v8
	v_ffbl_b32_e32 v3, v3
	v_add_u32_e32 v3, 32, v3
	v_ffbl_b32_e32 v5, v5
	v_min_u32_e32 v3, v5, v3
	v_cmp_lt_u32_e32 vcc, v15, v3
	v_add_u32_e32 v34, 2, v15
	v_add_u32_e32 v36, 4, v15
	s_waitcnt lgkmcnt(0)
	v_cndmask_b32_e32 v5, 0, v10, vcc
	v_cmp_gt_u32_e32 vcc, 62, v15
	v_add_u32_e32 v5, v5, v6
	v_add_u32_e32 v70, 8, v15
	v_cndmask_b32_e64 v6, 0, 1, vcc
	v_lshlrev_b32_e32 v6, 1, v6
	v_add_lshl_u32 v17, v6, v66, 2
	ds_bpermute_b32 v6, v17, v5
	v_cmp_le_u32_e32 vcc, v34, v3
	v_add_u32_e32 v72, 16, v15
	v_add_u32_e32 v74, 32, v15
	s_waitcnt lgkmcnt(0)
	v_cndmask_b32_e32 v6, 0, v6, vcc
	v_cmp_gt_u32_e32 vcc, 60, v15
	v_add_u32_e32 v5, v5, v6
	s_nop 0
	v_cndmask_b32_e64 v6, 0, 1, vcc
	v_lshlrev_b32_e32 v6, 2, v6
	v_add_lshl_u32 v35, v6, v66, 2
	ds_bpermute_b32 v6, v35, v5
	v_cmp_le_u32_e32 vcc, v36, v3
	s_waitcnt lgkmcnt(0)
	s_nop 0
	v_cndmask_b32_e32 v6, 0, v6, vcc
	v_cmp_gt_u32_e32 vcc, 56, v15
	v_add_u32_e32 v5, v5, v6
	s_nop 0
	v_cndmask_b32_e64 v6, 0, 1, vcc
	v_lshlrev_b32_e32 v6, 3, v6
	v_add_lshl_u32 v69, v6, v66, 2
	ds_bpermute_b32 v6, v69, v5
	v_cmp_le_u32_e32 vcc, v70, v3
	s_waitcnt lgkmcnt(0)
	s_nop 0
	v_cndmask_b32_e32 v6, 0, v6, vcc
	v_cmp_gt_u32_e32 vcc, 48, v15
	v_add_u32_e32 v5, v5, v6
	s_nop 0
	v_cndmask_b32_e64 v6, 0, 1, vcc
	v_lshlrev_b32_e32 v6, 4, v6
	v_add_lshl_u32 v71, v6, v66, 2
	ds_bpermute_b32 v6, v71, v5
	v_cmp_le_u32_e32 vcc, v72, v3
	s_waitcnt lgkmcnt(0)
	s_nop 0
	v_cndmask_b32_e32 v6, 0, v6, vcc
	v_cmp_gt_u32_e32 vcc, 32, v15
	v_add_u32_e32 v5, v5, v6
	s_nop 0
	v_cndmask_b32_e64 v6, 0, 1, vcc
	v_lshlrev_b32_e32 v6, 5, v6
	v_add_lshl_u32 v73, v6, v66, 2
	ds_bpermute_b32 v6, v73, v5
	v_cmp_le_u32_e32 vcc, v74, v3
	s_waitcnt lgkmcnt(0)
	s_nop 0
	v_cndmask_b32_e32 v3, 0, v6, vcc
	v_add_u32_e32 v6, v5, v3
	v_mov_b32_e32 v5, 0
	s_branch .LBB2460_54
.LBB2460_53:                            ;   in Loop: Header=BB2460_54 Depth=1
	s_or_b64 exec, exec, s[38:39]
	v_cmp_eq_u16_sdwa s[38:39], v7, v14 src0_sel:BYTE_0 src1_sel:DWORD
	ds_bpermute_b32 v75, v16, v6
	v_subrev_u32_e32 v4, 64, v4
	v_and_b32_e32 v10, s39, v9
	v_or_b32_e32 v10, 0x80000000, v10
	v_and_b32_e32 v11, s38, v8
	v_ffbl_b32_e32 v10, v10
	v_add_u32_e32 v10, 32, v10
	v_ffbl_b32_e32 v11, v11
	v_min_u32_e32 v10, v11, v10
	v_cmp_lt_u32_e32 vcc, v15, v10
	s_waitcnt lgkmcnt(0)
	s_nop 0
	v_cndmask_b32_e32 v11, 0, v75, vcc
	v_add_u32_e32 v6, v11, v6
	ds_bpermute_b32 v11, v17, v6
	v_cmp_le_u32_e32 vcc, v34, v10
	s_waitcnt lgkmcnt(0)
	s_nop 0
	v_cndmask_b32_e32 v11, 0, v11, vcc
	v_add_u32_e32 v6, v6, v11
	ds_bpermute_b32 v11, v35, v6
	v_cmp_le_u32_e32 vcc, v36, v10
	;; [unrolled: 6-line block ×5, first 2 shown]
	s_waitcnt lgkmcnt(0)
	s_nop 0
	v_cndmask_b32_e32 v10, 0, v11, vcc
	v_add3_u32 v6, v10, v3, v6
.LBB2460_54:                            ; =>This Loop Header: Depth=1
                                        ;     Child Loop BB2460_57 Depth 2
	v_cmp_ne_u16_sdwa s[38:39], v7, v14 src0_sel:BYTE_0 src1_sel:DWORD
	s_nop 1
	v_cndmask_b32_e64 v3, 0, 1, s[38:39]
	;;#ASMSTART
	;;#ASMEND
	s_nop 0
	v_cmp_ne_u32_e32 vcc, 0, v3
	s_cmp_lg_u64 vcc, exec
	v_mov_b32_e32 v3, v6
	s_cbranch_scc1 .LBB2460_59
; %bb.55:                               ;   in Loop: Header=BB2460_54 Depth=1
	v_lshl_add_u64 v[10:11], v[4:5], 3, s[34:35]
	global_load_dwordx2 v[6:7], v[10:11], off sc1
	s_waitcnt vmcnt(0)
	v_cmp_eq_u16_sdwa s[40:41], v7, v5 src0_sel:BYTE_0 src1_sel:DWORD
	s_and_saveexec_b64 s[38:39], s[40:41]
	s_cbranch_execz .LBB2460_53
; %bb.56:                               ;   in Loop: Header=BB2460_54 Depth=1
	s_mov_b64 s[40:41], 0
.LBB2460_57:                            ;   Parent Loop BB2460_54 Depth=1
                                        ; =>  This Inner Loop Header: Depth=2
	global_load_dwordx2 v[6:7], v[10:11], off sc1
	s_waitcnt vmcnt(0)
	v_cmp_ne_u16_sdwa s[42:43], v7, v5 src0_sel:BYTE_0 src1_sel:DWORD
	s_or_b64 s[40:41], s[42:43], s[40:41]
	s_andn2_b64 exec, exec, s[40:41]
	s_cbranch_execnz .LBB2460_57
; %bb.58:                               ;   in Loop: Header=BB2460_54 Depth=1
	s_or_b64 exec, exec, s[40:41]
	s_branch .LBB2460_53
.LBB2460_59:                            ;   in Loop: Header=BB2460_54 Depth=1
                                        ; implicit-def: $vgpr6
                                        ; implicit-def: $vgpr7
	s_cbranch_execz .LBB2460_54
; %bb.60:
	s_and_saveexec_b64 s[38:39], s[18:19]
	s_cbranch_execz .LBB2460_62
; %bb.61:
	s_add_i32 s2, s2, 64
	s_mov_b32 s3, 0
	s_lshl_b64 s[2:3], s[2:3], 3
	s_add_u32 s2, s34, s2
	v_add_u32_e32 v4, v3, v2
	v_mov_b32_e32 v5, 2
	s_addc_u32 s3, s35, s3
	v_mov_b32_e32 v6, 0
	global_store_dwordx2 v6, v[4:5], s[2:3] sc1
	ds_write_b64 v6, v[2:3] offset:30720
.LBB2460_62:
	s_or_b64 exec, exec, s[38:39]
	v_cmp_eq_u32_e32 vcc, 0, v0
	s_and_b64 exec, exec, vcc
	s_cbranch_execz .LBB2460_64
; %bb.63:
	v_mov_b32_e32 v2, 0
	ds_write_b32 v2, v3 offset:28
.LBB2460_64:
	s_or_b64 exec, exec, s[36:37]
	v_mov_b32_e32 v14, 0
	s_waitcnt lgkmcnt(0)
	s_barrier
	ds_read_b32 v2, v14 offset:28
	v_cndmask_b32_e64 v3, v13, v12, s[18:19]
	v_cmp_ne_u32_e32 vcc, 0, v0
	s_waitcnt lgkmcnt(0)
	s_barrier
	v_cndmask_b32_e32 v3, 0, v3, vcc
	v_add_u32_e32 v2, v2, v3
	v_add_u32_e32 v3, v2, v52
	;; [unrolled: 1-line block ×10, first 2 shown]
	ds_read_b64 v[34:35], v14 offset:30720
	v_add_u32_e32 v12, v11, v61
	v_add_u32_e32 v13, v12, v62
	;; [unrolled: 1-line block ×5, first 2 shown]
	s_waitcnt lgkmcnt(0)
	v_mov_b32_e32 v36, v35
	s_branch .LBB2460_75
.LBB2460_65:
                                        ; implicit-def: $vgpr36
                                        ; implicit-def: $vgpr34
                                        ; implicit-def: $vgpr2_vgpr3_vgpr4_vgpr5_vgpr6_vgpr7_vgpr8_vgpr9_vgpr10_vgpr11_vgpr12_vgpr13_vgpr14_vgpr15_vgpr16_vgpr17
	s_cbranch_execz .LBB2460_75
; %bb.66:
	s_nop 0
	v_mov_b32_dpp v2, v68 row_shr:1 row_mask:0xf bank_mask:0xf
	v_cndmask_b32_e64 v2, v2, 0, s[16:17]
	v_add_u32_e32 v2, v2, v68
	s_nop 1
	v_mov_b32_dpp v3, v2 row_shr:2 row_mask:0xf bank_mask:0xf
	v_cndmask_b32_e64 v3, 0, v3, s[14:15]
	v_add_u32_e32 v2, v2, v3
	;; [unrolled: 4-line block ×4, first 2 shown]
	s_nop 1
	v_mov_b32_dpp v3, v2 row_bcast:15 row_mask:0xf bank_mask:0xf
	v_cndmask_b32_e64 v3, v3, 0, s[8:9]
	v_add_u32_e32 v2, v2, v3
	s_nop 1
	v_mov_b32_dpp v3, v2 row_bcast:31 row_mask:0xf bank_mask:0xf
	v_cndmask_b32_e64 v3, 0, v3, s[4:5]
	v_add_u32_e32 v2, v2, v3
	s_and_saveexec_b64 s[2:3], s[6:7]
	s_cbranch_execz .LBB2460_68
; %bb.67:
	v_lshlrev_b32_e32 v3, 2, v67
	ds_write_b32 v3, v2
.LBB2460_68:
	s_or_b64 exec, exec, s[2:3]
	v_cmp_gt_u32_e32 vcc, 8, v0
	s_waitcnt lgkmcnt(0)
	s_barrier
	s_and_saveexec_b64 s[2:3], vcc
	s_cbranch_execz .LBB2460_70
; %bb.69:
	ds_read_b32 v3, v18
	v_and_b32_e32 v4, 7, v66
	v_cmp_ne_u32_e32 vcc, 0, v4
	s_waitcnt lgkmcnt(0)
	v_mov_b32_dpp v5, v3 row_shr:1 row_mask:0xf bank_mask:0xf
	v_cndmask_b32_e32 v5, 0, v5, vcc
	v_add_u32_e32 v3, v5, v3
	v_cmp_lt_u32_e32 vcc, 1, v4
	s_nop 0
	v_mov_b32_dpp v5, v3 row_shr:2 row_mask:0xf bank_mask:0xf
	v_cndmask_b32_e32 v5, 0, v5, vcc
	v_add_u32_e32 v3, v3, v5
	v_cmp_lt_u32_e32 vcc, 3, v4
	s_nop 0
	v_mov_b32_dpp v5, v3 row_shr:4 row_mask:0xf bank_mask:0xf
	v_cndmask_b32_e32 v4, 0, v5, vcc
	v_add_u32_e32 v3, v3, v4
	ds_write_b32 v18, v3
.LBB2460_70:
	s_or_b64 exec, exec, s[2:3]
	v_cmp_lt_u32_e32 vcc, 63, v0
	v_mov_b32_e32 v4, 0
	v_mov_b32_e32 v3, 0
	s_waitcnt lgkmcnt(0)
	s_barrier
	s_and_saveexec_b64 s[2:3], vcc
	s_cbranch_execz .LBB2460_72
; %bb.71:
	v_lshl_add_u32 v3, v67, 2, -4
	ds_read_b32 v3, v3
.LBB2460_72:
	s_or_b64 exec, exec, s[2:3]
	v_add_u32_e32 v5, -1, v66
	v_and_b32_e32 v6, 64, v66
	v_cmp_lt_i32_e32 vcc, v5, v6
	s_waitcnt lgkmcnt(0)
	v_add_u32_e32 v2, v3, v2
	ds_read_b32 v34, v4 offset:28
	v_cndmask_b32_e32 v5, v5, v66, vcc
	v_lshlrev_b32_e32 v5, 2, v5
	ds_bpermute_b32 v2, v5, v2
	v_cmp_eq_u32_e32 vcc, 0, v0
	s_and_saveexec_b64 s[2:3], vcc
	s_cbranch_execz .LBB2460_74
; %bb.73:
	v_mov_b32_e32 v4, 0
	v_mov_b32_e32 v35, 2
	s_waitcnt lgkmcnt(1)
	global_store_dwordx2 v4, v[34:35], s[34:35] offset:512 sc1
.LBB2460_74:
	s_or_b64 exec, exec, s[2:3]
	v_cmp_eq_u32_e64 s[2:3], 0, v66
	v_mov_b32_e32 v36, 0
	s_waitcnt lgkmcnt(0)
	v_cndmask_b32_e64 v2, v2, v3, s[2:3]
	v_cndmask_b32_e64 v2, v2, 0, vcc
	v_add_u32_e32 v3, v2, v52
	v_add_u32_e32 v4, v3, v53
	v_add_u32_e32 v5, v4, v54
	v_add_u32_e32 v6, v5, v55
	v_add_u32_e32 v7, v6, v56
	v_add_u32_e32 v8, v7, v57
	v_add_u32_e32 v9, v8, v58
	v_add_u32_e32 v10, v9, v59
	v_add_u32_e32 v11, v10, v60
	v_add_u32_e32 v12, v11, v61
	v_add_u32_e32 v13, v12, v62
	v_add_u32_e32 v14, v13, v63
	v_add_u32_e32 v15, v14, v64
	v_add_u32_e32 v16, v15, v65
	s_barrier
.LBB2460_75:
	v_add_u32_e32 v17, v34, v38
	v_sub_u32_e32 v2, v2, v36
	v_and_b32_e32 v38, 1, v51
	v_sub_u32_e32 v35, v17, v2
	v_cmp_eq_u32_e32 vcc, 1, v38
	s_load_dwordx2 s[0:1], s[0:1], 0x38
	v_or_b32_e32 v38, 0x200, v0
	v_cndmask_b32_e32 v2, v35, v2, vcc
	v_lshlrev_b32_e32 v2, 2, v2
	ds_write_b32 v2, v32
	v_sub_u32_e32 v2, v3, v36
	v_sub_u32_e32 v3, v17, v2
	v_and_b32_e32 v32, 1, v50
	v_add_u32_e32 v3, 1, v3
	v_cmp_eq_u32_e32 vcc, 1, v32
	v_or_b32_e32 v32, 0x600, v0
	s_nop 0
	v_cndmask_b32_e32 v2, v3, v2, vcc
	v_lshlrev_b32_e32 v2, 2, v2
	ds_write_b32 v2, v33
	v_sub_u32_e32 v2, v4, v36
	v_sub_u32_e32 v3, v17, v2
	v_and_b32_e32 v4, 1, v49
	v_add_u32_e32 v3, 2, v3
	v_cmp_eq_u32_e32 vcc, 1, v4
	v_and_b32_e32 v4, 1, v48
	v_or_b32_e32 v33, 0x400, v0
	v_cndmask_b32_e32 v2, v3, v2, vcc
	v_lshlrev_b32_e32 v2, 2, v2
	ds_write_b32 v2, v30
	v_sub_u32_e32 v2, v5, v36
	v_sub_u32_e32 v3, v17, v2
	v_add_u32_e32 v3, 3, v3
	v_cmp_eq_u32_e32 vcc, 1, v4
	v_and_b32_e32 v4, 1, v47
	v_mov_b32_e32 v5, s23
	v_cndmask_b32_e32 v2, v3, v2, vcc
	v_lshlrev_b32_e32 v2, 2, v2
	ds_write_b32 v2, v31
	v_sub_u32_e32 v2, v6, v36
	v_sub_u32_e32 v3, v17, v2
	v_add_u32_e32 v3, 4, v3
	v_cmp_eq_u32_e32 vcc, 1, v4
	v_and_b32_e32 v4, 1, v46
	v_or_b32_e32 v31, 0x800, v0
	v_cndmask_b32_e32 v2, v3, v2, vcc
	v_lshlrev_b32_e32 v2, 2, v2
	ds_write_b32 v2, v28
	v_sub_u32_e32 v2, v7, v36
	v_sub_u32_e32 v3, v17, v2
	v_add_u32_e32 v3, 5, v3
	v_cmp_eq_u32_e32 vcc, 1, v4
	v_and_b32_e32 v4, 1, v45
	v_or_b32_e32 v30, 0xa00, v0
	;; [unrolled: 9-line block ×8, first 2 shown]
	v_cndmask_b32_e32 v2, v3, v2, vcc
	v_lshlrev_b32_e32 v2, 2, v2
	ds_write_b32 v2, v23
	v_sub_u32_e32 v2, v14, v36
	v_sub_u32_e32 v3, v17, v2
	v_add_u32_e32 v3, 12, v3
	v_cmp_eq_u32_e32 vcc, 1, v4
	v_and_b32_e32 v4, 1, v37
	v_mov_b32_e32 v37, 0
	v_cndmask_b32_e32 v2, v3, v2, vcc
	v_lshlrev_b32_e32 v2, 2, v2
	ds_write_b32 v2, v20
	v_sub_u32_e32 v2, v15, v36
	v_sub_u32_e32 v3, v17, v2
	v_add_u32_e32 v3, 13, v3
	v_cmp_eq_u32_e32 vcc, 1, v4
	v_and_b32_e32 v4, 1, v19
	v_mov_b32_e32 v35, v37
	v_cndmask_b32_e32 v2, v3, v2, vcc
	v_lshlrev_b32_e32 v2, 2, v2
	ds_write_b32 v2, v21
	v_sub_u32_e32 v2, v16, v36
	v_sub_u32_e32 v3, v17, v2
	v_add_u32_e32 v3, 14, v3
	v_cmp_eq_u32_e32 vcc, 1, v4
	v_or_b32_e32 v23, 0x1800, v0
	v_or_b32_e32 v22, 0x1a00, v0
	v_cndmask_b32_e32 v2, v3, v2, vcc
	v_lshlrev_b32_e32 v2, 2, v2
	ds_write_b32 v2, v1
	v_lshl_add_u64 v[2:3], s[28:29], 0, v[34:35]
	v_lshl_add_u64 v[2:3], v[2:3], 0, v[36:37]
	s_waitcnt lgkmcnt(0)
	s_barrier
	ds_read2st64_b32 v[20:21], v18 offset1:8
	ds_read2st64_b32 v[16:17], v18 offset0:16 offset1:24
	ds_read2st64_b32 v[14:15], v18 offset0:32 offset1:40
	;; [unrolled: 1-line block ×6, first 2 shown]
	ds_read_b32 v1, v18 offset:28672
	v_sub_co_u32_e32 v4, vcc, s22, v2
	v_or_b32_e32 v19, 0x1c00, v0
	s_nop 0
	v_subb_co_u32_e32 v5, vcc, v5, v3, vcc
	v_lshlrev_b64 v[4:5], 2, v[4:5]
	v_lshl_add_u64 v[4:5], s[0:1], 0, v[4:5]
	v_lshl_add_u64 v[4:5], v[4:5], 0, s[30:31]
	s_and_b64 vcc, exec, s[20:21]
	v_cmp_le_u32_e64 s[0:1], v34, v0
	s_cbranch_vccnz .LBB2460_92
; %bb.76:
	s_and_saveexec_b64 s[2:3], s[0:1]
	s_cbranch_execnz .LBB2460_127
; %bb.77:
	s_or_b64 exec, exec, s[2:3]
	v_cmp_ge_u32_e32 vcc, v38, v34
	s_and_saveexec_b64 s[0:1], vcc
	s_cbranch_execnz .LBB2460_128
.LBB2460_78:
	s_or_b64 exec, exec, s[0:1]
	v_cmp_ge_u32_e32 vcc, v33, v34
	s_and_saveexec_b64 s[0:1], vcc
	s_cbranch_execnz .LBB2460_129
.LBB2460_79:
	s_or_b64 exec, exec, s[0:1]
	v_cmp_ge_u32_e32 vcc, v32, v34
	s_and_saveexec_b64 s[0:1], vcc
	s_cbranch_execnz .LBB2460_130
.LBB2460_80:
	s_or_b64 exec, exec, s[0:1]
	v_cmp_ge_u32_e32 vcc, v31, v34
	s_and_saveexec_b64 s[0:1], vcc
	s_cbranch_execnz .LBB2460_131
.LBB2460_81:
	s_or_b64 exec, exec, s[0:1]
	v_cmp_ge_u32_e32 vcc, v30, v34
	s_and_saveexec_b64 s[0:1], vcc
	s_cbranch_execnz .LBB2460_132
.LBB2460_82:
	s_or_b64 exec, exec, s[0:1]
	v_cmp_ge_u32_e32 vcc, v29, v34
	s_and_saveexec_b64 s[0:1], vcc
	s_cbranch_execnz .LBB2460_133
.LBB2460_83:
	s_or_b64 exec, exec, s[0:1]
	v_cmp_ge_u32_e32 vcc, v28, v34
	s_and_saveexec_b64 s[0:1], vcc
	s_cbranch_execnz .LBB2460_134
.LBB2460_84:
	s_or_b64 exec, exec, s[0:1]
	v_cmp_ge_u32_e32 vcc, v27, v34
	s_and_saveexec_b64 s[0:1], vcc
	s_cbranch_execnz .LBB2460_135
.LBB2460_85:
	s_or_b64 exec, exec, s[0:1]
	v_cmp_ge_u32_e32 vcc, v26, v34
	s_and_saveexec_b64 s[0:1], vcc
	s_cbranch_execnz .LBB2460_136
.LBB2460_86:
	s_or_b64 exec, exec, s[0:1]
	v_cmp_ge_u32_e32 vcc, v25, v34
	s_and_saveexec_b64 s[0:1], vcc
	s_cbranch_execnz .LBB2460_137
.LBB2460_87:
	s_or_b64 exec, exec, s[0:1]
	v_cmp_ge_u32_e32 vcc, v24, v34
	s_and_saveexec_b64 s[0:1], vcc
	s_cbranch_execnz .LBB2460_138
.LBB2460_88:
	s_or_b64 exec, exec, s[0:1]
	v_cmp_ge_u32_e32 vcc, v23, v34
	s_and_saveexec_b64 s[0:1], vcc
	s_cbranch_execnz .LBB2460_139
.LBB2460_89:
	s_or_b64 exec, exec, s[0:1]
	v_cmp_ge_u32_e32 vcc, v22, v34
	s_and_saveexec_b64 s[0:1], vcc
	s_cbranch_execz .LBB2460_91
.LBB2460_90:
	v_lshlrev_b32_e32 v35, 2, v22
	v_readfirstlane_b32 s2, v4
	v_readfirstlane_b32 s3, v5
	s_waitcnt lgkmcnt(1)
	s_nop 3
	global_store_dword v35, v7, s[2:3]
.LBB2460_91:
	s_or_b64 exec, exec, s[0:1]
	v_cmp_ge_u32_e64 s[0:1], v19, v34
	s_branch .LBB2460_122
.LBB2460_92:
	s_mov_b64 s[0:1], 0
	s_cbranch_execz .LBB2460_122
; %bb.93:
	v_cmp_gt_u32_e32 vcc, s33, v0
	v_cmp_le_u32_e64 s[0:1], v34, v0
	s_and_b64 s[2:3], vcc, s[0:1]
	s_and_saveexec_b64 s[0:1], s[2:3]
	s_cbranch_execz .LBB2460_95
; %bb.94:
	v_readfirstlane_b32 s2, v4
	v_readfirstlane_b32 s3, v5
	s_waitcnt lgkmcnt(7)
	s_nop 3
	global_store_dword v18, v20, s[2:3]
.LBB2460_95:
	s_or_b64 exec, exec, s[0:1]
	v_cmp_gt_u32_e32 vcc, s33, v38
	v_cmp_ge_u32_e64 s[0:1], v38, v34
	s_and_b64 s[2:3], vcc, s[0:1]
	s_and_saveexec_b64 s[0:1], s[2:3]
	s_cbranch_execz .LBB2460_97
; %bb.96:
	v_readfirstlane_b32 s2, v4
	v_readfirstlane_b32 s3, v5
	s_waitcnt lgkmcnt(7)
	s_nop 3
	global_store_dword v18, v21, s[2:3] offset:2048
.LBB2460_97:
	s_or_b64 exec, exec, s[0:1]
	v_cmp_gt_u32_e32 vcc, s33, v33
	v_cmp_ge_u32_e64 s[0:1], v33, v34
	s_and_b64 s[2:3], vcc, s[0:1]
	s_and_saveexec_b64 s[0:1], s[2:3]
	s_cbranch_execz .LBB2460_99
; %bb.98:
	v_lshlrev_b32_e32 v18, 2, v33
	v_readfirstlane_b32 s2, v4
	v_readfirstlane_b32 s3, v5
	s_waitcnt lgkmcnt(6)
	s_nop 3
	global_store_dword v18, v16, s[2:3]
.LBB2460_99:
	s_or_b64 exec, exec, s[0:1]
	v_cmp_gt_u32_e32 vcc, s33, v32
	v_cmp_ge_u32_e64 s[0:1], v32, v34
	s_and_b64 s[2:3], vcc, s[0:1]
	s_and_saveexec_b64 s[0:1], s[2:3]
	s_cbranch_execz .LBB2460_101
; %bb.100:
	s_waitcnt lgkmcnt(6)
	v_lshlrev_b32_e32 v16, 2, v32
	v_readfirstlane_b32 s2, v4
	v_readfirstlane_b32 s3, v5
	s_nop 4
	global_store_dword v16, v17, s[2:3]
.LBB2460_101:
	s_or_b64 exec, exec, s[0:1]
	v_cmp_gt_u32_e32 vcc, s33, v31
	v_cmp_ge_u32_e64 s[0:1], v31, v34
	s_and_b64 s[2:3], vcc, s[0:1]
	s_and_saveexec_b64 s[0:1], s[2:3]
	s_cbranch_execz .LBB2460_103
; %bb.102:
	s_waitcnt lgkmcnt(6)
	v_lshlrev_b32_e32 v16, 2, v31
	v_readfirstlane_b32 s2, v4
	v_readfirstlane_b32 s3, v5
	s_waitcnt lgkmcnt(5)
	s_nop 3
	global_store_dword v16, v14, s[2:3]
.LBB2460_103:
	s_or_b64 exec, exec, s[0:1]
	v_cmp_gt_u32_e32 vcc, s33, v30
	v_cmp_ge_u32_e64 s[0:1], v30, v34
	s_and_b64 s[2:3], vcc, s[0:1]
	s_and_saveexec_b64 s[0:1], s[2:3]
	s_cbranch_execz .LBB2460_105
; %bb.104:
	s_waitcnt lgkmcnt(5)
	v_lshlrev_b32_e32 v14, 2, v30
	v_readfirstlane_b32 s2, v4
	v_readfirstlane_b32 s3, v5
	s_nop 4
	global_store_dword v14, v15, s[2:3]
.LBB2460_105:
	s_or_b64 exec, exec, s[0:1]
	v_cmp_gt_u32_e32 vcc, s33, v29
	v_cmp_ge_u32_e64 s[0:1], v29, v34
	s_and_b64 s[2:3], vcc, s[0:1]
	s_and_saveexec_b64 s[0:1], s[2:3]
	s_cbranch_execz .LBB2460_107
; %bb.106:
	s_waitcnt lgkmcnt(5)
	v_lshlrev_b32_e32 v14, 2, v29
	v_readfirstlane_b32 s2, v4
	v_readfirstlane_b32 s3, v5
	s_waitcnt lgkmcnt(4)
	s_nop 3
	global_store_dword v14, v12, s[2:3]
.LBB2460_107:
	;; [unrolled: 29-line block ×5, first 2 shown]
	s_or_b64 exec, exec, s[0:1]
	v_cmp_gt_u32_e32 vcc, s33, v22
	v_cmp_ge_u32_e64 s[0:1], v22, v34
	s_and_b64 s[2:3], vcc, s[0:1]
	s_and_saveexec_b64 s[0:1], s[2:3]
	s_cbranch_execz .LBB2460_121
; %bb.120:
	s_waitcnt lgkmcnt(1)
	v_lshlrev_b32_e32 v6, 2, v22
	v_readfirstlane_b32 s2, v4
	v_readfirstlane_b32 s3, v5
	s_nop 4
	global_store_dword v6, v7, s[2:3]
.LBB2460_121:
	s_or_b64 exec, exec, s[0:1]
	v_cmp_gt_u32_e32 vcc, s33, v19
	v_cmp_ge_u32_e64 s[0:1], v19, v34
	s_and_b64 s[0:1], vcc, s[0:1]
.LBB2460_122:
	s_and_saveexec_b64 s[2:3], s[0:1]
	s_cbranch_execz .LBB2460_124
; %bb.123:
	s_waitcnt lgkmcnt(1)
	v_lshlrev_b32_e32 v6, 2, v19
	v_readfirstlane_b32 s0, v4
	v_readfirstlane_b32 s1, v5
	s_waitcnt lgkmcnt(0)
	s_nop 3
	global_store_dword v6, v1, s[0:1]
.LBB2460_124:
	s_or_b64 exec, exec, s[2:3]
	v_cmp_eq_u32_e32 vcc, 0, v0
	s_and_b64 s[0:1], vcc, s[26:27]
	s_and_saveexec_b64 s[2:3], s[0:1]
	s_cbranch_execz .LBB2460_126
; %bb.125:
	v_mov_b32_e32 v0, 0
	global_store_dwordx2 v0, v[2:3], s[24:25]
.LBB2460_126:
	s_endpgm
.LBB2460_127:
	v_readfirstlane_b32 s0, v4
	v_readfirstlane_b32 s1, v5
	s_waitcnt lgkmcnt(7)
	s_nop 3
	global_store_dword v18, v20, s[0:1]
	s_or_b64 exec, exec, s[2:3]
	v_cmp_ge_u32_e32 vcc, v38, v34
	s_and_saveexec_b64 s[0:1], vcc
	s_cbranch_execz .LBB2460_78
.LBB2460_128:
	v_readfirstlane_b32 s2, v4
	v_readfirstlane_b32 s3, v5
	s_waitcnt lgkmcnt(7)
	s_nop 3
	global_store_dword v18, v21, s[2:3] offset:2048
	s_or_b64 exec, exec, s[0:1]
	v_cmp_ge_u32_e32 vcc, v33, v34
	s_and_saveexec_b64 s[0:1], vcc
	s_cbranch_execz .LBB2460_79
.LBB2460_129:
	v_lshlrev_b32_e32 v35, 2, v33
	v_readfirstlane_b32 s2, v4
	v_readfirstlane_b32 s3, v5
	s_waitcnt lgkmcnt(6)
	s_nop 3
	global_store_dword v35, v16, s[2:3]
	s_or_b64 exec, exec, s[0:1]
	v_cmp_ge_u32_e32 vcc, v32, v34
	s_and_saveexec_b64 s[0:1], vcc
	s_cbranch_execz .LBB2460_80
.LBB2460_130:
	v_lshlrev_b32_e32 v35, 2, v32
	v_readfirstlane_b32 s2, v4
	v_readfirstlane_b32 s3, v5
	s_waitcnt lgkmcnt(6)
	s_nop 3
	global_store_dword v35, v17, s[2:3]
	s_or_b64 exec, exec, s[0:1]
	v_cmp_ge_u32_e32 vcc, v31, v34
	s_and_saveexec_b64 s[0:1], vcc
	s_cbranch_execz .LBB2460_81
.LBB2460_131:
	v_lshlrev_b32_e32 v35, 2, v31
	v_readfirstlane_b32 s2, v4
	v_readfirstlane_b32 s3, v5
	s_waitcnt lgkmcnt(5)
	s_nop 3
	global_store_dword v35, v14, s[2:3]
	s_or_b64 exec, exec, s[0:1]
	v_cmp_ge_u32_e32 vcc, v30, v34
	s_and_saveexec_b64 s[0:1], vcc
	s_cbranch_execz .LBB2460_82
.LBB2460_132:
	v_lshlrev_b32_e32 v35, 2, v30
	v_readfirstlane_b32 s2, v4
	v_readfirstlane_b32 s3, v5
	s_waitcnt lgkmcnt(5)
	s_nop 3
	global_store_dword v35, v15, s[2:3]
	s_or_b64 exec, exec, s[0:1]
	v_cmp_ge_u32_e32 vcc, v29, v34
	s_and_saveexec_b64 s[0:1], vcc
	s_cbranch_execz .LBB2460_83
.LBB2460_133:
	v_lshlrev_b32_e32 v35, 2, v29
	v_readfirstlane_b32 s2, v4
	v_readfirstlane_b32 s3, v5
	s_waitcnt lgkmcnt(4)
	s_nop 3
	global_store_dword v35, v12, s[2:3]
	s_or_b64 exec, exec, s[0:1]
	v_cmp_ge_u32_e32 vcc, v28, v34
	s_and_saveexec_b64 s[0:1], vcc
	s_cbranch_execz .LBB2460_84
.LBB2460_134:
	v_lshlrev_b32_e32 v35, 2, v28
	v_readfirstlane_b32 s2, v4
	v_readfirstlane_b32 s3, v5
	s_waitcnt lgkmcnt(4)
	s_nop 3
	global_store_dword v35, v13, s[2:3]
	s_or_b64 exec, exec, s[0:1]
	v_cmp_ge_u32_e32 vcc, v27, v34
	s_and_saveexec_b64 s[0:1], vcc
	s_cbranch_execz .LBB2460_85
.LBB2460_135:
	v_lshlrev_b32_e32 v35, 2, v27
	v_readfirstlane_b32 s2, v4
	v_readfirstlane_b32 s3, v5
	s_waitcnt lgkmcnt(3)
	s_nop 3
	global_store_dword v35, v10, s[2:3]
	s_or_b64 exec, exec, s[0:1]
	v_cmp_ge_u32_e32 vcc, v26, v34
	s_and_saveexec_b64 s[0:1], vcc
	s_cbranch_execz .LBB2460_86
.LBB2460_136:
	v_lshlrev_b32_e32 v35, 2, v26
	v_readfirstlane_b32 s2, v4
	v_readfirstlane_b32 s3, v5
	s_waitcnt lgkmcnt(3)
	s_nop 3
	global_store_dword v35, v11, s[2:3]
	s_or_b64 exec, exec, s[0:1]
	v_cmp_ge_u32_e32 vcc, v25, v34
	s_and_saveexec_b64 s[0:1], vcc
	s_cbranch_execz .LBB2460_87
.LBB2460_137:
	v_lshlrev_b32_e32 v35, 2, v25
	v_readfirstlane_b32 s2, v4
	v_readfirstlane_b32 s3, v5
	s_waitcnt lgkmcnt(2)
	s_nop 3
	global_store_dword v35, v8, s[2:3]
	s_or_b64 exec, exec, s[0:1]
	v_cmp_ge_u32_e32 vcc, v24, v34
	s_and_saveexec_b64 s[0:1], vcc
	s_cbranch_execz .LBB2460_88
.LBB2460_138:
	v_lshlrev_b32_e32 v35, 2, v24
	v_readfirstlane_b32 s2, v4
	v_readfirstlane_b32 s3, v5
	s_waitcnt lgkmcnt(2)
	s_nop 3
	global_store_dword v35, v9, s[2:3]
	s_or_b64 exec, exec, s[0:1]
	v_cmp_ge_u32_e32 vcc, v23, v34
	s_and_saveexec_b64 s[0:1], vcc
	s_cbranch_execz .LBB2460_89
.LBB2460_139:
	v_lshlrev_b32_e32 v35, 2, v23
	v_readfirstlane_b32 s2, v4
	v_readfirstlane_b32 s3, v5
	s_waitcnt lgkmcnt(1)
	s_nop 3
	global_store_dword v35, v6, s[2:3]
	s_or_b64 exec, exec, s[0:1]
	v_cmp_ge_u32_e32 vcc, v22, v34
	s_and_saveexec_b64 s[0:1], vcc
	s_cbranch_execnz .LBB2460_90
	s_branch .LBB2460_91
	.section	.rodata,"a",@progbits
	.p2align	6, 0x0
	.amdhsa_kernel _ZN7rocprim17ROCPRIM_400000_NS6detail17trampoline_kernelINS0_14default_configENS1_25partition_config_selectorILNS1_17partition_subalgoE0EjNS0_10empty_typeEbEEZZNS1_14partition_implILS5_0ELb0ES3_jN6thrust23THRUST_200600_302600_NS6detail15normal_iteratorINSA_10device_ptrIjEEEEPS6_SG_NS0_5tupleIJNSA_16discard_iteratorINSA_11use_defaultEEESF_EEENSH_IJSG_SG_EEES6_PlJ7is_evenIjEEEE10hipError_tPvRmT3_T4_T5_T6_T7_T9_mT8_P12ihipStream_tbDpT10_ENKUlT_T0_E_clISt17integral_constantIbLb0EES19_EEDaS14_S15_EUlS14_E_NS1_11comp_targetILNS1_3genE5ELNS1_11target_archE942ELNS1_3gpuE9ELNS1_3repE0EEENS1_30default_config_static_selectorELNS0_4arch9wavefront6targetE1EEEvT1_
		.amdhsa_group_segment_fixed_size 30728
		.amdhsa_private_segment_fixed_size 0
		.amdhsa_kernarg_size 128
		.amdhsa_user_sgpr_count 2
		.amdhsa_user_sgpr_dispatch_ptr 0
		.amdhsa_user_sgpr_queue_ptr 0
		.amdhsa_user_sgpr_kernarg_segment_ptr 1
		.amdhsa_user_sgpr_dispatch_id 0
		.amdhsa_user_sgpr_kernarg_preload_length 0
		.amdhsa_user_sgpr_kernarg_preload_offset 0
		.amdhsa_user_sgpr_private_segment_size 0
		.amdhsa_uses_dynamic_stack 0
		.amdhsa_enable_private_segment 0
		.amdhsa_system_sgpr_workgroup_id_x 1
		.amdhsa_system_sgpr_workgroup_id_y 0
		.amdhsa_system_sgpr_workgroup_id_z 0
		.amdhsa_system_sgpr_workgroup_info 0
		.amdhsa_system_vgpr_workitem_id 0
		.amdhsa_next_free_vgpr 76
		.amdhsa_next_free_sgpr 44
		.amdhsa_accum_offset 76
		.amdhsa_reserve_vcc 1
		.amdhsa_float_round_mode_32 0
		.amdhsa_float_round_mode_16_64 0
		.amdhsa_float_denorm_mode_32 3
		.amdhsa_float_denorm_mode_16_64 3
		.amdhsa_dx10_clamp 1
		.amdhsa_ieee_mode 1
		.amdhsa_fp16_overflow 0
		.amdhsa_tg_split 0
		.amdhsa_exception_fp_ieee_invalid_op 0
		.amdhsa_exception_fp_denorm_src 0
		.amdhsa_exception_fp_ieee_div_zero 0
		.amdhsa_exception_fp_ieee_overflow 0
		.amdhsa_exception_fp_ieee_underflow 0
		.amdhsa_exception_fp_ieee_inexact 0
		.amdhsa_exception_int_div_zero 0
	.end_amdhsa_kernel
	.section	.text._ZN7rocprim17ROCPRIM_400000_NS6detail17trampoline_kernelINS0_14default_configENS1_25partition_config_selectorILNS1_17partition_subalgoE0EjNS0_10empty_typeEbEEZZNS1_14partition_implILS5_0ELb0ES3_jN6thrust23THRUST_200600_302600_NS6detail15normal_iteratorINSA_10device_ptrIjEEEEPS6_SG_NS0_5tupleIJNSA_16discard_iteratorINSA_11use_defaultEEESF_EEENSH_IJSG_SG_EEES6_PlJ7is_evenIjEEEE10hipError_tPvRmT3_T4_T5_T6_T7_T9_mT8_P12ihipStream_tbDpT10_ENKUlT_T0_E_clISt17integral_constantIbLb0EES19_EEDaS14_S15_EUlS14_E_NS1_11comp_targetILNS1_3genE5ELNS1_11target_archE942ELNS1_3gpuE9ELNS1_3repE0EEENS1_30default_config_static_selectorELNS0_4arch9wavefront6targetE1EEEvT1_,"axG",@progbits,_ZN7rocprim17ROCPRIM_400000_NS6detail17trampoline_kernelINS0_14default_configENS1_25partition_config_selectorILNS1_17partition_subalgoE0EjNS0_10empty_typeEbEEZZNS1_14partition_implILS5_0ELb0ES3_jN6thrust23THRUST_200600_302600_NS6detail15normal_iteratorINSA_10device_ptrIjEEEEPS6_SG_NS0_5tupleIJNSA_16discard_iteratorINSA_11use_defaultEEESF_EEENSH_IJSG_SG_EEES6_PlJ7is_evenIjEEEE10hipError_tPvRmT3_T4_T5_T6_T7_T9_mT8_P12ihipStream_tbDpT10_ENKUlT_T0_E_clISt17integral_constantIbLb0EES19_EEDaS14_S15_EUlS14_E_NS1_11comp_targetILNS1_3genE5ELNS1_11target_archE942ELNS1_3gpuE9ELNS1_3repE0EEENS1_30default_config_static_selectorELNS0_4arch9wavefront6targetE1EEEvT1_,comdat
.Lfunc_end2460:
	.size	_ZN7rocprim17ROCPRIM_400000_NS6detail17trampoline_kernelINS0_14default_configENS1_25partition_config_selectorILNS1_17partition_subalgoE0EjNS0_10empty_typeEbEEZZNS1_14partition_implILS5_0ELb0ES3_jN6thrust23THRUST_200600_302600_NS6detail15normal_iteratorINSA_10device_ptrIjEEEEPS6_SG_NS0_5tupleIJNSA_16discard_iteratorINSA_11use_defaultEEESF_EEENSH_IJSG_SG_EEES6_PlJ7is_evenIjEEEE10hipError_tPvRmT3_T4_T5_T6_T7_T9_mT8_P12ihipStream_tbDpT10_ENKUlT_T0_E_clISt17integral_constantIbLb0EES19_EEDaS14_S15_EUlS14_E_NS1_11comp_targetILNS1_3genE5ELNS1_11target_archE942ELNS1_3gpuE9ELNS1_3repE0EEENS1_30default_config_static_selectorELNS0_4arch9wavefront6targetE1EEEvT1_, .Lfunc_end2460-_ZN7rocprim17ROCPRIM_400000_NS6detail17trampoline_kernelINS0_14default_configENS1_25partition_config_selectorILNS1_17partition_subalgoE0EjNS0_10empty_typeEbEEZZNS1_14partition_implILS5_0ELb0ES3_jN6thrust23THRUST_200600_302600_NS6detail15normal_iteratorINSA_10device_ptrIjEEEEPS6_SG_NS0_5tupleIJNSA_16discard_iteratorINSA_11use_defaultEEESF_EEENSH_IJSG_SG_EEES6_PlJ7is_evenIjEEEE10hipError_tPvRmT3_T4_T5_T6_T7_T9_mT8_P12ihipStream_tbDpT10_ENKUlT_T0_E_clISt17integral_constantIbLb0EES19_EEDaS14_S15_EUlS14_E_NS1_11comp_targetILNS1_3genE5ELNS1_11target_archE942ELNS1_3gpuE9ELNS1_3repE0EEENS1_30default_config_static_selectorELNS0_4arch9wavefront6targetE1EEEvT1_
                                        ; -- End function
	.section	.AMDGPU.csdata,"",@progbits
; Kernel info:
; codeLenInByte = 6680
; NumSgprs: 50
; NumVgprs: 76
; NumAgprs: 0
; TotalNumVgprs: 76
; ScratchSize: 0
; MemoryBound: 0
; FloatMode: 240
; IeeeMode: 1
; LDSByteSize: 30728 bytes/workgroup (compile time only)
; SGPRBlocks: 6
; VGPRBlocks: 9
; NumSGPRsForWavesPerEU: 50
; NumVGPRsForWavesPerEU: 76
; AccumOffset: 76
; Occupancy: 4
; WaveLimiterHint : 1
; COMPUTE_PGM_RSRC2:SCRATCH_EN: 0
; COMPUTE_PGM_RSRC2:USER_SGPR: 2
; COMPUTE_PGM_RSRC2:TRAP_HANDLER: 0
; COMPUTE_PGM_RSRC2:TGID_X_EN: 1
; COMPUTE_PGM_RSRC2:TGID_Y_EN: 0
; COMPUTE_PGM_RSRC2:TGID_Z_EN: 0
; COMPUTE_PGM_RSRC2:TIDIG_COMP_CNT: 0
; COMPUTE_PGM_RSRC3_GFX90A:ACCUM_OFFSET: 18
; COMPUTE_PGM_RSRC3_GFX90A:TG_SPLIT: 0
	.section	.text._ZN7rocprim17ROCPRIM_400000_NS6detail17trampoline_kernelINS0_14default_configENS1_25partition_config_selectorILNS1_17partition_subalgoE0EjNS0_10empty_typeEbEEZZNS1_14partition_implILS5_0ELb0ES3_jN6thrust23THRUST_200600_302600_NS6detail15normal_iteratorINSA_10device_ptrIjEEEEPS6_SG_NS0_5tupleIJNSA_16discard_iteratorINSA_11use_defaultEEESF_EEENSH_IJSG_SG_EEES6_PlJ7is_evenIjEEEE10hipError_tPvRmT3_T4_T5_T6_T7_T9_mT8_P12ihipStream_tbDpT10_ENKUlT_T0_E_clISt17integral_constantIbLb0EES19_EEDaS14_S15_EUlS14_E_NS1_11comp_targetILNS1_3genE4ELNS1_11target_archE910ELNS1_3gpuE8ELNS1_3repE0EEENS1_30default_config_static_selectorELNS0_4arch9wavefront6targetE1EEEvT1_,"axG",@progbits,_ZN7rocprim17ROCPRIM_400000_NS6detail17trampoline_kernelINS0_14default_configENS1_25partition_config_selectorILNS1_17partition_subalgoE0EjNS0_10empty_typeEbEEZZNS1_14partition_implILS5_0ELb0ES3_jN6thrust23THRUST_200600_302600_NS6detail15normal_iteratorINSA_10device_ptrIjEEEEPS6_SG_NS0_5tupleIJNSA_16discard_iteratorINSA_11use_defaultEEESF_EEENSH_IJSG_SG_EEES6_PlJ7is_evenIjEEEE10hipError_tPvRmT3_T4_T5_T6_T7_T9_mT8_P12ihipStream_tbDpT10_ENKUlT_T0_E_clISt17integral_constantIbLb0EES19_EEDaS14_S15_EUlS14_E_NS1_11comp_targetILNS1_3genE4ELNS1_11target_archE910ELNS1_3gpuE8ELNS1_3repE0EEENS1_30default_config_static_selectorELNS0_4arch9wavefront6targetE1EEEvT1_,comdat
	.protected	_ZN7rocprim17ROCPRIM_400000_NS6detail17trampoline_kernelINS0_14default_configENS1_25partition_config_selectorILNS1_17partition_subalgoE0EjNS0_10empty_typeEbEEZZNS1_14partition_implILS5_0ELb0ES3_jN6thrust23THRUST_200600_302600_NS6detail15normal_iteratorINSA_10device_ptrIjEEEEPS6_SG_NS0_5tupleIJNSA_16discard_iteratorINSA_11use_defaultEEESF_EEENSH_IJSG_SG_EEES6_PlJ7is_evenIjEEEE10hipError_tPvRmT3_T4_T5_T6_T7_T9_mT8_P12ihipStream_tbDpT10_ENKUlT_T0_E_clISt17integral_constantIbLb0EES19_EEDaS14_S15_EUlS14_E_NS1_11comp_targetILNS1_3genE4ELNS1_11target_archE910ELNS1_3gpuE8ELNS1_3repE0EEENS1_30default_config_static_selectorELNS0_4arch9wavefront6targetE1EEEvT1_ ; -- Begin function _ZN7rocprim17ROCPRIM_400000_NS6detail17trampoline_kernelINS0_14default_configENS1_25partition_config_selectorILNS1_17partition_subalgoE0EjNS0_10empty_typeEbEEZZNS1_14partition_implILS5_0ELb0ES3_jN6thrust23THRUST_200600_302600_NS6detail15normal_iteratorINSA_10device_ptrIjEEEEPS6_SG_NS0_5tupleIJNSA_16discard_iteratorINSA_11use_defaultEEESF_EEENSH_IJSG_SG_EEES6_PlJ7is_evenIjEEEE10hipError_tPvRmT3_T4_T5_T6_T7_T9_mT8_P12ihipStream_tbDpT10_ENKUlT_T0_E_clISt17integral_constantIbLb0EES19_EEDaS14_S15_EUlS14_E_NS1_11comp_targetILNS1_3genE4ELNS1_11target_archE910ELNS1_3gpuE8ELNS1_3repE0EEENS1_30default_config_static_selectorELNS0_4arch9wavefront6targetE1EEEvT1_
	.globl	_ZN7rocprim17ROCPRIM_400000_NS6detail17trampoline_kernelINS0_14default_configENS1_25partition_config_selectorILNS1_17partition_subalgoE0EjNS0_10empty_typeEbEEZZNS1_14partition_implILS5_0ELb0ES3_jN6thrust23THRUST_200600_302600_NS6detail15normal_iteratorINSA_10device_ptrIjEEEEPS6_SG_NS0_5tupleIJNSA_16discard_iteratorINSA_11use_defaultEEESF_EEENSH_IJSG_SG_EEES6_PlJ7is_evenIjEEEE10hipError_tPvRmT3_T4_T5_T6_T7_T9_mT8_P12ihipStream_tbDpT10_ENKUlT_T0_E_clISt17integral_constantIbLb0EES19_EEDaS14_S15_EUlS14_E_NS1_11comp_targetILNS1_3genE4ELNS1_11target_archE910ELNS1_3gpuE8ELNS1_3repE0EEENS1_30default_config_static_selectorELNS0_4arch9wavefront6targetE1EEEvT1_
	.p2align	8
	.type	_ZN7rocprim17ROCPRIM_400000_NS6detail17trampoline_kernelINS0_14default_configENS1_25partition_config_selectorILNS1_17partition_subalgoE0EjNS0_10empty_typeEbEEZZNS1_14partition_implILS5_0ELb0ES3_jN6thrust23THRUST_200600_302600_NS6detail15normal_iteratorINSA_10device_ptrIjEEEEPS6_SG_NS0_5tupleIJNSA_16discard_iteratorINSA_11use_defaultEEESF_EEENSH_IJSG_SG_EEES6_PlJ7is_evenIjEEEE10hipError_tPvRmT3_T4_T5_T6_T7_T9_mT8_P12ihipStream_tbDpT10_ENKUlT_T0_E_clISt17integral_constantIbLb0EES19_EEDaS14_S15_EUlS14_E_NS1_11comp_targetILNS1_3genE4ELNS1_11target_archE910ELNS1_3gpuE8ELNS1_3repE0EEENS1_30default_config_static_selectorELNS0_4arch9wavefront6targetE1EEEvT1_,@function
_ZN7rocprim17ROCPRIM_400000_NS6detail17trampoline_kernelINS0_14default_configENS1_25partition_config_selectorILNS1_17partition_subalgoE0EjNS0_10empty_typeEbEEZZNS1_14partition_implILS5_0ELb0ES3_jN6thrust23THRUST_200600_302600_NS6detail15normal_iteratorINSA_10device_ptrIjEEEEPS6_SG_NS0_5tupleIJNSA_16discard_iteratorINSA_11use_defaultEEESF_EEENSH_IJSG_SG_EEES6_PlJ7is_evenIjEEEE10hipError_tPvRmT3_T4_T5_T6_T7_T9_mT8_P12ihipStream_tbDpT10_ENKUlT_T0_E_clISt17integral_constantIbLb0EES19_EEDaS14_S15_EUlS14_E_NS1_11comp_targetILNS1_3genE4ELNS1_11target_archE910ELNS1_3gpuE8ELNS1_3repE0EEENS1_30default_config_static_selectorELNS0_4arch9wavefront6targetE1EEEvT1_: ; @_ZN7rocprim17ROCPRIM_400000_NS6detail17trampoline_kernelINS0_14default_configENS1_25partition_config_selectorILNS1_17partition_subalgoE0EjNS0_10empty_typeEbEEZZNS1_14partition_implILS5_0ELb0ES3_jN6thrust23THRUST_200600_302600_NS6detail15normal_iteratorINSA_10device_ptrIjEEEEPS6_SG_NS0_5tupleIJNSA_16discard_iteratorINSA_11use_defaultEEESF_EEENSH_IJSG_SG_EEES6_PlJ7is_evenIjEEEE10hipError_tPvRmT3_T4_T5_T6_T7_T9_mT8_P12ihipStream_tbDpT10_ENKUlT_T0_E_clISt17integral_constantIbLb0EES19_EEDaS14_S15_EUlS14_E_NS1_11comp_targetILNS1_3genE4ELNS1_11target_archE910ELNS1_3gpuE8ELNS1_3repE0EEENS1_30default_config_static_selectorELNS0_4arch9wavefront6targetE1EEEvT1_
; %bb.0:
	.section	.rodata,"a",@progbits
	.p2align	6, 0x0
	.amdhsa_kernel _ZN7rocprim17ROCPRIM_400000_NS6detail17trampoline_kernelINS0_14default_configENS1_25partition_config_selectorILNS1_17partition_subalgoE0EjNS0_10empty_typeEbEEZZNS1_14partition_implILS5_0ELb0ES3_jN6thrust23THRUST_200600_302600_NS6detail15normal_iteratorINSA_10device_ptrIjEEEEPS6_SG_NS0_5tupleIJNSA_16discard_iteratorINSA_11use_defaultEEESF_EEENSH_IJSG_SG_EEES6_PlJ7is_evenIjEEEE10hipError_tPvRmT3_T4_T5_T6_T7_T9_mT8_P12ihipStream_tbDpT10_ENKUlT_T0_E_clISt17integral_constantIbLb0EES19_EEDaS14_S15_EUlS14_E_NS1_11comp_targetILNS1_3genE4ELNS1_11target_archE910ELNS1_3gpuE8ELNS1_3repE0EEENS1_30default_config_static_selectorELNS0_4arch9wavefront6targetE1EEEvT1_
		.amdhsa_group_segment_fixed_size 0
		.amdhsa_private_segment_fixed_size 0
		.amdhsa_kernarg_size 128
		.amdhsa_user_sgpr_count 2
		.amdhsa_user_sgpr_dispatch_ptr 0
		.amdhsa_user_sgpr_queue_ptr 0
		.amdhsa_user_sgpr_kernarg_segment_ptr 1
		.amdhsa_user_sgpr_dispatch_id 0
		.amdhsa_user_sgpr_kernarg_preload_length 0
		.amdhsa_user_sgpr_kernarg_preload_offset 0
		.amdhsa_user_sgpr_private_segment_size 0
		.amdhsa_uses_dynamic_stack 0
		.amdhsa_enable_private_segment 0
		.amdhsa_system_sgpr_workgroup_id_x 1
		.amdhsa_system_sgpr_workgroup_id_y 0
		.amdhsa_system_sgpr_workgroup_id_z 0
		.amdhsa_system_sgpr_workgroup_info 0
		.amdhsa_system_vgpr_workitem_id 0
		.amdhsa_next_free_vgpr 1
		.amdhsa_next_free_sgpr 0
		.amdhsa_accum_offset 4
		.amdhsa_reserve_vcc 0
		.amdhsa_float_round_mode_32 0
		.amdhsa_float_round_mode_16_64 0
		.amdhsa_float_denorm_mode_32 3
		.amdhsa_float_denorm_mode_16_64 3
		.amdhsa_dx10_clamp 1
		.amdhsa_ieee_mode 1
		.amdhsa_fp16_overflow 0
		.amdhsa_tg_split 0
		.amdhsa_exception_fp_ieee_invalid_op 0
		.amdhsa_exception_fp_denorm_src 0
		.amdhsa_exception_fp_ieee_div_zero 0
		.amdhsa_exception_fp_ieee_overflow 0
		.amdhsa_exception_fp_ieee_underflow 0
		.amdhsa_exception_fp_ieee_inexact 0
		.amdhsa_exception_int_div_zero 0
	.end_amdhsa_kernel
	.section	.text._ZN7rocprim17ROCPRIM_400000_NS6detail17trampoline_kernelINS0_14default_configENS1_25partition_config_selectorILNS1_17partition_subalgoE0EjNS0_10empty_typeEbEEZZNS1_14partition_implILS5_0ELb0ES3_jN6thrust23THRUST_200600_302600_NS6detail15normal_iteratorINSA_10device_ptrIjEEEEPS6_SG_NS0_5tupleIJNSA_16discard_iteratorINSA_11use_defaultEEESF_EEENSH_IJSG_SG_EEES6_PlJ7is_evenIjEEEE10hipError_tPvRmT3_T4_T5_T6_T7_T9_mT8_P12ihipStream_tbDpT10_ENKUlT_T0_E_clISt17integral_constantIbLb0EES19_EEDaS14_S15_EUlS14_E_NS1_11comp_targetILNS1_3genE4ELNS1_11target_archE910ELNS1_3gpuE8ELNS1_3repE0EEENS1_30default_config_static_selectorELNS0_4arch9wavefront6targetE1EEEvT1_,"axG",@progbits,_ZN7rocprim17ROCPRIM_400000_NS6detail17trampoline_kernelINS0_14default_configENS1_25partition_config_selectorILNS1_17partition_subalgoE0EjNS0_10empty_typeEbEEZZNS1_14partition_implILS5_0ELb0ES3_jN6thrust23THRUST_200600_302600_NS6detail15normal_iteratorINSA_10device_ptrIjEEEEPS6_SG_NS0_5tupleIJNSA_16discard_iteratorINSA_11use_defaultEEESF_EEENSH_IJSG_SG_EEES6_PlJ7is_evenIjEEEE10hipError_tPvRmT3_T4_T5_T6_T7_T9_mT8_P12ihipStream_tbDpT10_ENKUlT_T0_E_clISt17integral_constantIbLb0EES19_EEDaS14_S15_EUlS14_E_NS1_11comp_targetILNS1_3genE4ELNS1_11target_archE910ELNS1_3gpuE8ELNS1_3repE0EEENS1_30default_config_static_selectorELNS0_4arch9wavefront6targetE1EEEvT1_,comdat
.Lfunc_end2461:
	.size	_ZN7rocprim17ROCPRIM_400000_NS6detail17trampoline_kernelINS0_14default_configENS1_25partition_config_selectorILNS1_17partition_subalgoE0EjNS0_10empty_typeEbEEZZNS1_14partition_implILS5_0ELb0ES3_jN6thrust23THRUST_200600_302600_NS6detail15normal_iteratorINSA_10device_ptrIjEEEEPS6_SG_NS0_5tupleIJNSA_16discard_iteratorINSA_11use_defaultEEESF_EEENSH_IJSG_SG_EEES6_PlJ7is_evenIjEEEE10hipError_tPvRmT3_T4_T5_T6_T7_T9_mT8_P12ihipStream_tbDpT10_ENKUlT_T0_E_clISt17integral_constantIbLb0EES19_EEDaS14_S15_EUlS14_E_NS1_11comp_targetILNS1_3genE4ELNS1_11target_archE910ELNS1_3gpuE8ELNS1_3repE0EEENS1_30default_config_static_selectorELNS0_4arch9wavefront6targetE1EEEvT1_, .Lfunc_end2461-_ZN7rocprim17ROCPRIM_400000_NS6detail17trampoline_kernelINS0_14default_configENS1_25partition_config_selectorILNS1_17partition_subalgoE0EjNS0_10empty_typeEbEEZZNS1_14partition_implILS5_0ELb0ES3_jN6thrust23THRUST_200600_302600_NS6detail15normal_iteratorINSA_10device_ptrIjEEEEPS6_SG_NS0_5tupleIJNSA_16discard_iteratorINSA_11use_defaultEEESF_EEENSH_IJSG_SG_EEES6_PlJ7is_evenIjEEEE10hipError_tPvRmT3_T4_T5_T6_T7_T9_mT8_P12ihipStream_tbDpT10_ENKUlT_T0_E_clISt17integral_constantIbLb0EES19_EEDaS14_S15_EUlS14_E_NS1_11comp_targetILNS1_3genE4ELNS1_11target_archE910ELNS1_3gpuE8ELNS1_3repE0EEENS1_30default_config_static_selectorELNS0_4arch9wavefront6targetE1EEEvT1_
                                        ; -- End function
	.section	.AMDGPU.csdata,"",@progbits
; Kernel info:
; codeLenInByte = 0
; NumSgprs: 6
; NumVgprs: 0
; NumAgprs: 0
; TotalNumVgprs: 0
; ScratchSize: 0
; MemoryBound: 0
; FloatMode: 240
; IeeeMode: 1
; LDSByteSize: 0 bytes/workgroup (compile time only)
; SGPRBlocks: 0
; VGPRBlocks: 0
; NumSGPRsForWavesPerEU: 6
; NumVGPRsForWavesPerEU: 1
; AccumOffset: 4
; Occupancy: 8
; WaveLimiterHint : 0
; COMPUTE_PGM_RSRC2:SCRATCH_EN: 0
; COMPUTE_PGM_RSRC2:USER_SGPR: 2
; COMPUTE_PGM_RSRC2:TRAP_HANDLER: 0
; COMPUTE_PGM_RSRC2:TGID_X_EN: 1
; COMPUTE_PGM_RSRC2:TGID_Y_EN: 0
; COMPUTE_PGM_RSRC2:TGID_Z_EN: 0
; COMPUTE_PGM_RSRC2:TIDIG_COMP_CNT: 0
; COMPUTE_PGM_RSRC3_GFX90A:ACCUM_OFFSET: 0
; COMPUTE_PGM_RSRC3_GFX90A:TG_SPLIT: 0
	.section	.text._ZN7rocprim17ROCPRIM_400000_NS6detail17trampoline_kernelINS0_14default_configENS1_25partition_config_selectorILNS1_17partition_subalgoE0EjNS0_10empty_typeEbEEZZNS1_14partition_implILS5_0ELb0ES3_jN6thrust23THRUST_200600_302600_NS6detail15normal_iteratorINSA_10device_ptrIjEEEEPS6_SG_NS0_5tupleIJNSA_16discard_iteratorINSA_11use_defaultEEESF_EEENSH_IJSG_SG_EEES6_PlJ7is_evenIjEEEE10hipError_tPvRmT3_T4_T5_T6_T7_T9_mT8_P12ihipStream_tbDpT10_ENKUlT_T0_E_clISt17integral_constantIbLb0EES19_EEDaS14_S15_EUlS14_E_NS1_11comp_targetILNS1_3genE3ELNS1_11target_archE908ELNS1_3gpuE7ELNS1_3repE0EEENS1_30default_config_static_selectorELNS0_4arch9wavefront6targetE1EEEvT1_,"axG",@progbits,_ZN7rocprim17ROCPRIM_400000_NS6detail17trampoline_kernelINS0_14default_configENS1_25partition_config_selectorILNS1_17partition_subalgoE0EjNS0_10empty_typeEbEEZZNS1_14partition_implILS5_0ELb0ES3_jN6thrust23THRUST_200600_302600_NS6detail15normal_iteratorINSA_10device_ptrIjEEEEPS6_SG_NS0_5tupleIJNSA_16discard_iteratorINSA_11use_defaultEEESF_EEENSH_IJSG_SG_EEES6_PlJ7is_evenIjEEEE10hipError_tPvRmT3_T4_T5_T6_T7_T9_mT8_P12ihipStream_tbDpT10_ENKUlT_T0_E_clISt17integral_constantIbLb0EES19_EEDaS14_S15_EUlS14_E_NS1_11comp_targetILNS1_3genE3ELNS1_11target_archE908ELNS1_3gpuE7ELNS1_3repE0EEENS1_30default_config_static_selectorELNS0_4arch9wavefront6targetE1EEEvT1_,comdat
	.protected	_ZN7rocprim17ROCPRIM_400000_NS6detail17trampoline_kernelINS0_14default_configENS1_25partition_config_selectorILNS1_17partition_subalgoE0EjNS0_10empty_typeEbEEZZNS1_14partition_implILS5_0ELb0ES3_jN6thrust23THRUST_200600_302600_NS6detail15normal_iteratorINSA_10device_ptrIjEEEEPS6_SG_NS0_5tupleIJNSA_16discard_iteratorINSA_11use_defaultEEESF_EEENSH_IJSG_SG_EEES6_PlJ7is_evenIjEEEE10hipError_tPvRmT3_T4_T5_T6_T7_T9_mT8_P12ihipStream_tbDpT10_ENKUlT_T0_E_clISt17integral_constantIbLb0EES19_EEDaS14_S15_EUlS14_E_NS1_11comp_targetILNS1_3genE3ELNS1_11target_archE908ELNS1_3gpuE7ELNS1_3repE0EEENS1_30default_config_static_selectorELNS0_4arch9wavefront6targetE1EEEvT1_ ; -- Begin function _ZN7rocprim17ROCPRIM_400000_NS6detail17trampoline_kernelINS0_14default_configENS1_25partition_config_selectorILNS1_17partition_subalgoE0EjNS0_10empty_typeEbEEZZNS1_14partition_implILS5_0ELb0ES3_jN6thrust23THRUST_200600_302600_NS6detail15normal_iteratorINSA_10device_ptrIjEEEEPS6_SG_NS0_5tupleIJNSA_16discard_iteratorINSA_11use_defaultEEESF_EEENSH_IJSG_SG_EEES6_PlJ7is_evenIjEEEE10hipError_tPvRmT3_T4_T5_T6_T7_T9_mT8_P12ihipStream_tbDpT10_ENKUlT_T0_E_clISt17integral_constantIbLb0EES19_EEDaS14_S15_EUlS14_E_NS1_11comp_targetILNS1_3genE3ELNS1_11target_archE908ELNS1_3gpuE7ELNS1_3repE0EEENS1_30default_config_static_selectorELNS0_4arch9wavefront6targetE1EEEvT1_
	.globl	_ZN7rocprim17ROCPRIM_400000_NS6detail17trampoline_kernelINS0_14default_configENS1_25partition_config_selectorILNS1_17partition_subalgoE0EjNS0_10empty_typeEbEEZZNS1_14partition_implILS5_0ELb0ES3_jN6thrust23THRUST_200600_302600_NS6detail15normal_iteratorINSA_10device_ptrIjEEEEPS6_SG_NS0_5tupleIJNSA_16discard_iteratorINSA_11use_defaultEEESF_EEENSH_IJSG_SG_EEES6_PlJ7is_evenIjEEEE10hipError_tPvRmT3_T4_T5_T6_T7_T9_mT8_P12ihipStream_tbDpT10_ENKUlT_T0_E_clISt17integral_constantIbLb0EES19_EEDaS14_S15_EUlS14_E_NS1_11comp_targetILNS1_3genE3ELNS1_11target_archE908ELNS1_3gpuE7ELNS1_3repE0EEENS1_30default_config_static_selectorELNS0_4arch9wavefront6targetE1EEEvT1_
	.p2align	8
	.type	_ZN7rocprim17ROCPRIM_400000_NS6detail17trampoline_kernelINS0_14default_configENS1_25partition_config_selectorILNS1_17partition_subalgoE0EjNS0_10empty_typeEbEEZZNS1_14partition_implILS5_0ELb0ES3_jN6thrust23THRUST_200600_302600_NS6detail15normal_iteratorINSA_10device_ptrIjEEEEPS6_SG_NS0_5tupleIJNSA_16discard_iteratorINSA_11use_defaultEEESF_EEENSH_IJSG_SG_EEES6_PlJ7is_evenIjEEEE10hipError_tPvRmT3_T4_T5_T6_T7_T9_mT8_P12ihipStream_tbDpT10_ENKUlT_T0_E_clISt17integral_constantIbLb0EES19_EEDaS14_S15_EUlS14_E_NS1_11comp_targetILNS1_3genE3ELNS1_11target_archE908ELNS1_3gpuE7ELNS1_3repE0EEENS1_30default_config_static_selectorELNS0_4arch9wavefront6targetE1EEEvT1_,@function
_ZN7rocprim17ROCPRIM_400000_NS6detail17trampoline_kernelINS0_14default_configENS1_25partition_config_selectorILNS1_17partition_subalgoE0EjNS0_10empty_typeEbEEZZNS1_14partition_implILS5_0ELb0ES3_jN6thrust23THRUST_200600_302600_NS6detail15normal_iteratorINSA_10device_ptrIjEEEEPS6_SG_NS0_5tupleIJNSA_16discard_iteratorINSA_11use_defaultEEESF_EEENSH_IJSG_SG_EEES6_PlJ7is_evenIjEEEE10hipError_tPvRmT3_T4_T5_T6_T7_T9_mT8_P12ihipStream_tbDpT10_ENKUlT_T0_E_clISt17integral_constantIbLb0EES19_EEDaS14_S15_EUlS14_E_NS1_11comp_targetILNS1_3genE3ELNS1_11target_archE908ELNS1_3gpuE7ELNS1_3repE0EEENS1_30default_config_static_selectorELNS0_4arch9wavefront6targetE1EEEvT1_: ; @_ZN7rocprim17ROCPRIM_400000_NS6detail17trampoline_kernelINS0_14default_configENS1_25partition_config_selectorILNS1_17partition_subalgoE0EjNS0_10empty_typeEbEEZZNS1_14partition_implILS5_0ELb0ES3_jN6thrust23THRUST_200600_302600_NS6detail15normal_iteratorINSA_10device_ptrIjEEEEPS6_SG_NS0_5tupleIJNSA_16discard_iteratorINSA_11use_defaultEEESF_EEENSH_IJSG_SG_EEES6_PlJ7is_evenIjEEEE10hipError_tPvRmT3_T4_T5_T6_T7_T9_mT8_P12ihipStream_tbDpT10_ENKUlT_T0_E_clISt17integral_constantIbLb0EES19_EEDaS14_S15_EUlS14_E_NS1_11comp_targetILNS1_3genE3ELNS1_11target_archE908ELNS1_3gpuE7ELNS1_3repE0EEENS1_30default_config_static_selectorELNS0_4arch9wavefront6targetE1EEEvT1_
; %bb.0:
	.section	.rodata,"a",@progbits
	.p2align	6, 0x0
	.amdhsa_kernel _ZN7rocprim17ROCPRIM_400000_NS6detail17trampoline_kernelINS0_14default_configENS1_25partition_config_selectorILNS1_17partition_subalgoE0EjNS0_10empty_typeEbEEZZNS1_14partition_implILS5_0ELb0ES3_jN6thrust23THRUST_200600_302600_NS6detail15normal_iteratorINSA_10device_ptrIjEEEEPS6_SG_NS0_5tupleIJNSA_16discard_iteratorINSA_11use_defaultEEESF_EEENSH_IJSG_SG_EEES6_PlJ7is_evenIjEEEE10hipError_tPvRmT3_T4_T5_T6_T7_T9_mT8_P12ihipStream_tbDpT10_ENKUlT_T0_E_clISt17integral_constantIbLb0EES19_EEDaS14_S15_EUlS14_E_NS1_11comp_targetILNS1_3genE3ELNS1_11target_archE908ELNS1_3gpuE7ELNS1_3repE0EEENS1_30default_config_static_selectorELNS0_4arch9wavefront6targetE1EEEvT1_
		.amdhsa_group_segment_fixed_size 0
		.amdhsa_private_segment_fixed_size 0
		.amdhsa_kernarg_size 128
		.amdhsa_user_sgpr_count 2
		.amdhsa_user_sgpr_dispatch_ptr 0
		.amdhsa_user_sgpr_queue_ptr 0
		.amdhsa_user_sgpr_kernarg_segment_ptr 1
		.amdhsa_user_sgpr_dispatch_id 0
		.amdhsa_user_sgpr_kernarg_preload_length 0
		.amdhsa_user_sgpr_kernarg_preload_offset 0
		.amdhsa_user_sgpr_private_segment_size 0
		.amdhsa_uses_dynamic_stack 0
		.amdhsa_enable_private_segment 0
		.amdhsa_system_sgpr_workgroup_id_x 1
		.amdhsa_system_sgpr_workgroup_id_y 0
		.amdhsa_system_sgpr_workgroup_id_z 0
		.amdhsa_system_sgpr_workgroup_info 0
		.amdhsa_system_vgpr_workitem_id 0
		.amdhsa_next_free_vgpr 1
		.amdhsa_next_free_sgpr 0
		.amdhsa_accum_offset 4
		.amdhsa_reserve_vcc 0
		.amdhsa_float_round_mode_32 0
		.amdhsa_float_round_mode_16_64 0
		.amdhsa_float_denorm_mode_32 3
		.amdhsa_float_denorm_mode_16_64 3
		.amdhsa_dx10_clamp 1
		.amdhsa_ieee_mode 1
		.amdhsa_fp16_overflow 0
		.amdhsa_tg_split 0
		.amdhsa_exception_fp_ieee_invalid_op 0
		.amdhsa_exception_fp_denorm_src 0
		.amdhsa_exception_fp_ieee_div_zero 0
		.amdhsa_exception_fp_ieee_overflow 0
		.amdhsa_exception_fp_ieee_underflow 0
		.amdhsa_exception_fp_ieee_inexact 0
		.amdhsa_exception_int_div_zero 0
	.end_amdhsa_kernel
	.section	.text._ZN7rocprim17ROCPRIM_400000_NS6detail17trampoline_kernelINS0_14default_configENS1_25partition_config_selectorILNS1_17partition_subalgoE0EjNS0_10empty_typeEbEEZZNS1_14partition_implILS5_0ELb0ES3_jN6thrust23THRUST_200600_302600_NS6detail15normal_iteratorINSA_10device_ptrIjEEEEPS6_SG_NS0_5tupleIJNSA_16discard_iteratorINSA_11use_defaultEEESF_EEENSH_IJSG_SG_EEES6_PlJ7is_evenIjEEEE10hipError_tPvRmT3_T4_T5_T6_T7_T9_mT8_P12ihipStream_tbDpT10_ENKUlT_T0_E_clISt17integral_constantIbLb0EES19_EEDaS14_S15_EUlS14_E_NS1_11comp_targetILNS1_3genE3ELNS1_11target_archE908ELNS1_3gpuE7ELNS1_3repE0EEENS1_30default_config_static_selectorELNS0_4arch9wavefront6targetE1EEEvT1_,"axG",@progbits,_ZN7rocprim17ROCPRIM_400000_NS6detail17trampoline_kernelINS0_14default_configENS1_25partition_config_selectorILNS1_17partition_subalgoE0EjNS0_10empty_typeEbEEZZNS1_14partition_implILS5_0ELb0ES3_jN6thrust23THRUST_200600_302600_NS6detail15normal_iteratorINSA_10device_ptrIjEEEEPS6_SG_NS0_5tupleIJNSA_16discard_iteratorINSA_11use_defaultEEESF_EEENSH_IJSG_SG_EEES6_PlJ7is_evenIjEEEE10hipError_tPvRmT3_T4_T5_T6_T7_T9_mT8_P12ihipStream_tbDpT10_ENKUlT_T0_E_clISt17integral_constantIbLb0EES19_EEDaS14_S15_EUlS14_E_NS1_11comp_targetILNS1_3genE3ELNS1_11target_archE908ELNS1_3gpuE7ELNS1_3repE0EEENS1_30default_config_static_selectorELNS0_4arch9wavefront6targetE1EEEvT1_,comdat
.Lfunc_end2462:
	.size	_ZN7rocprim17ROCPRIM_400000_NS6detail17trampoline_kernelINS0_14default_configENS1_25partition_config_selectorILNS1_17partition_subalgoE0EjNS0_10empty_typeEbEEZZNS1_14partition_implILS5_0ELb0ES3_jN6thrust23THRUST_200600_302600_NS6detail15normal_iteratorINSA_10device_ptrIjEEEEPS6_SG_NS0_5tupleIJNSA_16discard_iteratorINSA_11use_defaultEEESF_EEENSH_IJSG_SG_EEES6_PlJ7is_evenIjEEEE10hipError_tPvRmT3_T4_T5_T6_T7_T9_mT8_P12ihipStream_tbDpT10_ENKUlT_T0_E_clISt17integral_constantIbLb0EES19_EEDaS14_S15_EUlS14_E_NS1_11comp_targetILNS1_3genE3ELNS1_11target_archE908ELNS1_3gpuE7ELNS1_3repE0EEENS1_30default_config_static_selectorELNS0_4arch9wavefront6targetE1EEEvT1_, .Lfunc_end2462-_ZN7rocprim17ROCPRIM_400000_NS6detail17trampoline_kernelINS0_14default_configENS1_25partition_config_selectorILNS1_17partition_subalgoE0EjNS0_10empty_typeEbEEZZNS1_14partition_implILS5_0ELb0ES3_jN6thrust23THRUST_200600_302600_NS6detail15normal_iteratorINSA_10device_ptrIjEEEEPS6_SG_NS0_5tupleIJNSA_16discard_iteratorINSA_11use_defaultEEESF_EEENSH_IJSG_SG_EEES6_PlJ7is_evenIjEEEE10hipError_tPvRmT3_T4_T5_T6_T7_T9_mT8_P12ihipStream_tbDpT10_ENKUlT_T0_E_clISt17integral_constantIbLb0EES19_EEDaS14_S15_EUlS14_E_NS1_11comp_targetILNS1_3genE3ELNS1_11target_archE908ELNS1_3gpuE7ELNS1_3repE0EEENS1_30default_config_static_selectorELNS0_4arch9wavefront6targetE1EEEvT1_
                                        ; -- End function
	.section	.AMDGPU.csdata,"",@progbits
; Kernel info:
; codeLenInByte = 0
; NumSgprs: 6
; NumVgprs: 0
; NumAgprs: 0
; TotalNumVgprs: 0
; ScratchSize: 0
; MemoryBound: 0
; FloatMode: 240
; IeeeMode: 1
; LDSByteSize: 0 bytes/workgroup (compile time only)
; SGPRBlocks: 0
; VGPRBlocks: 0
; NumSGPRsForWavesPerEU: 6
; NumVGPRsForWavesPerEU: 1
; AccumOffset: 4
; Occupancy: 8
; WaveLimiterHint : 0
; COMPUTE_PGM_RSRC2:SCRATCH_EN: 0
; COMPUTE_PGM_RSRC2:USER_SGPR: 2
; COMPUTE_PGM_RSRC2:TRAP_HANDLER: 0
; COMPUTE_PGM_RSRC2:TGID_X_EN: 1
; COMPUTE_PGM_RSRC2:TGID_Y_EN: 0
; COMPUTE_PGM_RSRC2:TGID_Z_EN: 0
; COMPUTE_PGM_RSRC2:TIDIG_COMP_CNT: 0
; COMPUTE_PGM_RSRC3_GFX90A:ACCUM_OFFSET: 0
; COMPUTE_PGM_RSRC3_GFX90A:TG_SPLIT: 0
	.section	.text._ZN7rocprim17ROCPRIM_400000_NS6detail17trampoline_kernelINS0_14default_configENS1_25partition_config_selectorILNS1_17partition_subalgoE0EjNS0_10empty_typeEbEEZZNS1_14partition_implILS5_0ELb0ES3_jN6thrust23THRUST_200600_302600_NS6detail15normal_iteratorINSA_10device_ptrIjEEEEPS6_SG_NS0_5tupleIJNSA_16discard_iteratorINSA_11use_defaultEEESF_EEENSH_IJSG_SG_EEES6_PlJ7is_evenIjEEEE10hipError_tPvRmT3_T4_T5_T6_T7_T9_mT8_P12ihipStream_tbDpT10_ENKUlT_T0_E_clISt17integral_constantIbLb0EES19_EEDaS14_S15_EUlS14_E_NS1_11comp_targetILNS1_3genE2ELNS1_11target_archE906ELNS1_3gpuE6ELNS1_3repE0EEENS1_30default_config_static_selectorELNS0_4arch9wavefront6targetE1EEEvT1_,"axG",@progbits,_ZN7rocprim17ROCPRIM_400000_NS6detail17trampoline_kernelINS0_14default_configENS1_25partition_config_selectorILNS1_17partition_subalgoE0EjNS0_10empty_typeEbEEZZNS1_14partition_implILS5_0ELb0ES3_jN6thrust23THRUST_200600_302600_NS6detail15normal_iteratorINSA_10device_ptrIjEEEEPS6_SG_NS0_5tupleIJNSA_16discard_iteratorINSA_11use_defaultEEESF_EEENSH_IJSG_SG_EEES6_PlJ7is_evenIjEEEE10hipError_tPvRmT3_T4_T5_T6_T7_T9_mT8_P12ihipStream_tbDpT10_ENKUlT_T0_E_clISt17integral_constantIbLb0EES19_EEDaS14_S15_EUlS14_E_NS1_11comp_targetILNS1_3genE2ELNS1_11target_archE906ELNS1_3gpuE6ELNS1_3repE0EEENS1_30default_config_static_selectorELNS0_4arch9wavefront6targetE1EEEvT1_,comdat
	.protected	_ZN7rocprim17ROCPRIM_400000_NS6detail17trampoline_kernelINS0_14default_configENS1_25partition_config_selectorILNS1_17partition_subalgoE0EjNS0_10empty_typeEbEEZZNS1_14partition_implILS5_0ELb0ES3_jN6thrust23THRUST_200600_302600_NS6detail15normal_iteratorINSA_10device_ptrIjEEEEPS6_SG_NS0_5tupleIJNSA_16discard_iteratorINSA_11use_defaultEEESF_EEENSH_IJSG_SG_EEES6_PlJ7is_evenIjEEEE10hipError_tPvRmT3_T4_T5_T6_T7_T9_mT8_P12ihipStream_tbDpT10_ENKUlT_T0_E_clISt17integral_constantIbLb0EES19_EEDaS14_S15_EUlS14_E_NS1_11comp_targetILNS1_3genE2ELNS1_11target_archE906ELNS1_3gpuE6ELNS1_3repE0EEENS1_30default_config_static_selectorELNS0_4arch9wavefront6targetE1EEEvT1_ ; -- Begin function _ZN7rocprim17ROCPRIM_400000_NS6detail17trampoline_kernelINS0_14default_configENS1_25partition_config_selectorILNS1_17partition_subalgoE0EjNS0_10empty_typeEbEEZZNS1_14partition_implILS5_0ELb0ES3_jN6thrust23THRUST_200600_302600_NS6detail15normal_iteratorINSA_10device_ptrIjEEEEPS6_SG_NS0_5tupleIJNSA_16discard_iteratorINSA_11use_defaultEEESF_EEENSH_IJSG_SG_EEES6_PlJ7is_evenIjEEEE10hipError_tPvRmT3_T4_T5_T6_T7_T9_mT8_P12ihipStream_tbDpT10_ENKUlT_T0_E_clISt17integral_constantIbLb0EES19_EEDaS14_S15_EUlS14_E_NS1_11comp_targetILNS1_3genE2ELNS1_11target_archE906ELNS1_3gpuE6ELNS1_3repE0EEENS1_30default_config_static_selectorELNS0_4arch9wavefront6targetE1EEEvT1_
	.globl	_ZN7rocprim17ROCPRIM_400000_NS6detail17trampoline_kernelINS0_14default_configENS1_25partition_config_selectorILNS1_17partition_subalgoE0EjNS0_10empty_typeEbEEZZNS1_14partition_implILS5_0ELb0ES3_jN6thrust23THRUST_200600_302600_NS6detail15normal_iteratorINSA_10device_ptrIjEEEEPS6_SG_NS0_5tupleIJNSA_16discard_iteratorINSA_11use_defaultEEESF_EEENSH_IJSG_SG_EEES6_PlJ7is_evenIjEEEE10hipError_tPvRmT3_T4_T5_T6_T7_T9_mT8_P12ihipStream_tbDpT10_ENKUlT_T0_E_clISt17integral_constantIbLb0EES19_EEDaS14_S15_EUlS14_E_NS1_11comp_targetILNS1_3genE2ELNS1_11target_archE906ELNS1_3gpuE6ELNS1_3repE0EEENS1_30default_config_static_selectorELNS0_4arch9wavefront6targetE1EEEvT1_
	.p2align	8
	.type	_ZN7rocprim17ROCPRIM_400000_NS6detail17trampoline_kernelINS0_14default_configENS1_25partition_config_selectorILNS1_17partition_subalgoE0EjNS0_10empty_typeEbEEZZNS1_14partition_implILS5_0ELb0ES3_jN6thrust23THRUST_200600_302600_NS6detail15normal_iteratorINSA_10device_ptrIjEEEEPS6_SG_NS0_5tupleIJNSA_16discard_iteratorINSA_11use_defaultEEESF_EEENSH_IJSG_SG_EEES6_PlJ7is_evenIjEEEE10hipError_tPvRmT3_T4_T5_T6_T7_T9_mT8_P12ihipStream_tbDpT10_ENKUlT_T0_E_clISt17integral_constantIbLb0EES19_EEDaS14_S15_EUlS14_E_NS1_11comp_targetILNS1_3genE2ELNS1_11target_archE906ELNS1_3gpuE6ELNS1_3repE0EEENS1_30default_config_static_selectorELNS0_4arch9wavefront6targetE1EEEvT1_,@function
_ZN7rocprim17ROCPRIM_400000_NS6detail17trampoline_kernelINS0_14default_configENS1_25partition_config_selectorILNS1_17partition_subalgoE0EjNS0_10empty_typeEbEEZZNS1_14partition_implILS5_0ELb0ES3_jN6thrust23THRUST_200600_302600_NS6detail15normal_iteratorINSA_10device_ptrIjEEEEPS6_SG_NS0_5tupleIJNSA_16discard_iteratorINSA_11use_defaultEEESF_EEENSH_IJSG_SG_EEES6_PlJ7is_evenIjEEEE10hipError_tPvRmT3_T4_T5_T6_T7_T9_mT8_P12ihipStream_tbDpT10_ENKUlT_T0_E_clISt17integral_constantIbLb0EES19_EEDaS14_S15_EUlS14_E_NS1_11comp_targetILNS1_3genE2ELNS1_11target_archE906ELNS1_3gpuE6ELNS1_3repE0EEENS1_30default_config_static_selectorELNS0_4arch9wavefront6targetE1EEEvT1_: ; @_ZN7rocprim17ROCPRIM_400000_NS6detail17trampoline_kernelINS0_14default_configENS1_25partition_config_selectorILNS1_17partition_subalgoE0EjNS0_10empty_typeEbEEZZNS1_14partition_implILS5_0ELb0ES3_jN6thrust23THRUST_200600_302600_NS6detail15normal_iteratorINSA_10device_ptrIjEEEEPS6_SG_NS0_5tupleIJNSA_16discard_iteratorINSA_11use_defaultEEESF_EEENSH_IJSG_SG_EEES6_PlJ7is_evenIjEEEE10hipError_tPvRmT3_T4_T5_T6_T7_T9_mT8_P12ihipStream_tbDpT10_ENKUlT_T0_E_clISt17integral_constantIbLb0EES19_EEDaS14_S15_EUlS14_E_NS1_11comp_targetILNS1_3genE2ELNS1_11target_archE906ELNS1_3gpuE6ELNS1_3repE0EEENS1_30default_config_static_selectorELNS0_4arch9wavefront6targetE1EEEvT1_
; %bb.0:
	.section	.rodata,"a",@progbits
	.p2align	6, 0x0
	.amdhsa_kernel _ZN7rocprim17ROCPRIM_400000_NS6detail17trampoline_kernelINS0_14default_configENS1_25partition_config_selectorILNS1_17partition_subalgoE0EjNS0_10empty_typeEbEEZZNS1_14partition_implILS5_0ELb0ES3_jN6thrust23THRUST_200600_302600_NS6detail15normal_iteratorINSA_10device_ptrIjEEEEPS6_SG_NS0_5tupleIJNSA_16discard_iteratorINSA_11use_defaultEEESF_EEENSH_IJSG_SG_EEES6_PlJ7is_evenIjEEEE10hipError_tPvRmT3_T4_T5_T6_T7_T9_mT8_P12ihipStream_tbDpT10_ENKUlT_T0_E_clISt17integral_constantIbLb0EES19_EEDaS14_S15_EUlS14_E_NS1_11comp_targetILNS1_3genE2ELNS1_11target_archE906ELNS1_3gpuE6ELNS1_3repE0EEENS1_30default_config_static_selectorELNS0_4arch9wavefront6targetE1EEEvT1_
		.amdhsa_group_segment_fixed_size 0
		.amdhsa_private_segment_fixed_size 0
		.amdhsa_kernarg_size 128
		.amdhsa_user_sgpr_count 2
		.amdhsa_user_sgpr_dispatch_ptr 0
		.amdhsa_user_sgpr_queue_ptr 0
		.amdhsa_user_sgpr_kernarg_segment_ptr 1
		.amdhsa_user_sgpr_dispatch_id 0
		.amdhsa_user_sgpr_kernarg_preload_length 0
		.amdhsa_user_sgpr_kernarg_preload_offset 0
		.amdhsa_user_sgpr_private_segment_size 0
		.amdhsa_uses_dynamic_stack 0
		.amdhsa_enable_private_segment 0
		.amdhsa_system_sgpr_workgroup_id_x 1
		.amdhsa_system_sgpr_workgroup_id_y 0
		.amdhsa_system_sgpr_workgroup_id_z 0
		.amdhsa_system_sgpr_workgroup_info 0
		.amdhsa_system_vgpr_workitem_id 0
		.amdhsa_next_free_vgpr 1
		.amdhsa_next_free_sgpr 0
		.amdhsa_accum_offset 4
		.amdhsa_reserve_vcc 0
		.amdhsa_float_round_mode_32 0
		.amdhsa_float_round_mode_16_64 0
		.amdhsa_float_denorm_mode_32 3
		.amdhsa_float_denorm_mode_16_64 3
		.amdhsa_dx10_clamp 1
		.amdhsa_ieee_mode 1
		.amdhsa_fp16_overflow 0
		.amdhsa_tg_split 0
		.amdhsa_exception_fp_ieee_invalid_op 0
		.amdhsa_exception_fp_denorm_src 0
		.amdhsa_exception_fp_ieee_div_zero 0
		.amdhsa_exception_fp_ieee_overflow 0
		.amdhsa_exception_fp_ieee_underflow 0
		.amdhsa_exception_fp_ieee_inexact 0
		.amdhsa_exception_int_div_zero 0
	.end_amdhsa_kernel
	.section	.text._ZN7rocprim17ROCPRIM_400000_NS6detail17trampoline_kernelINS0_14default_configENS1_25partition_config_selectorILNS1_17partition_subalgoE0EjNS0_10empty_typeEbEEZZNS1_14partition_implILS5_0ELb0ES3_jN6thrust23THRUST_200600_302600_NS6detail15normal_iteratorINSA_10device_ptrIjEEEEPS6_SG_NS0_5tupleIJNSA_16discard_iteratorINSA_11use_defaultEEESF_EEENSH_IJSG_SG_EEES6_PlJ7is_evenIjEEEE10hipError_tPvRmT3_T4_T5_T6_T7_T9_mT8_P12ihipStream_tbDpT10_ENKUlT_T0_E_clISt17integral_constantIbLb0EES19_EEDaS14_S15_EUlS14_E_NS1_11comp_targetILNS1_3genE2ELNS1_11target_archE906ELNS1_3gpuE6ELNS1_3repE0EEENS1_30default_config_static_selectorELNS0_4arch9wavefront6targetE1EEEvT1_,"axG",@progbits,_ZN7rocprim17ROCPRIM_400000_NS6detail17trampoline_kernelINS0_14default_configENS1_25partition_config_selectorILNS1_17partition_subalgoE0EjNS0_10empty_typeEbEEZZNS1_14partition_implILS5_0ELb0ES3_jN6thrust23THRUST_200600_302600_NS6detail15normal_iteratorINSA_10device_ptrIjEEEEPS6_SG_NS0_5tupleIJNSA_16discard_iteratorINSA_11use_defaultEEESF_EEENSH_IJSG_SG_EEES6_PlJ7is_evenIjEEEE10hipError_tPvRmT3_T4_T5_T6_T7_T9_mT8_P12ihipStream_tbDpT10_ENKUlT_T0_E_clISt17integral_constantIbLb0EES19_EEDaS14_S15_EUlS14_E_NS1_11comp_targetILNS1_3genE2ELNS1_11target_archE906ELNS1_3gpuE6ELNS1_3repE0EEENS1_30default_config_static_selectorELNS0_4arch9wavefront6targetE1EEEvT1_,comdat
.Lfunc_end2463:
	.size	_ZN7rocprim17ROCPRIM_400000_NS6detail17trampoline_kernelINS0_14default_configENS1_25partition_config_selectorILNS1_17partition_subalgoE0EjNS0_10empty_typeEbEEZZNS1_14partition_implILS5_0ELb0ES3_jN6thrust23THRUST_200600_302600_NS6detail15normal_iteratorINSA_10device_ptrIjEEEEPS6_SG_NS0_5tupleIJNSA_16discard_iteratorINSA_11use_defaultEEESF_EEENSH_IJSG_SG_EEES6_PlJ7is_evenIjEEEE10hipError_tPvRmT3_T4_T5_T6_T7_T9_mT8_P12ihipStream_tbDpT10_ENKUlT_T0_E_clISt17integral_constantIbLb0EES19_EEDaS14_S15_EUlS14_E_NS1_11comp_targetILNS1_3genE2ELNS1_11target_archE906ELNS1_3gpuE6ELNS1_3repE0EEENS1_30default_config_static_selectorELNS0_4arch9wavefront6targetE1EEEvT1_, .Lfunc_end2463-_ZN7rocprim17ROCPRIM_400000_NS6detail17trampoline_kernelINS0_14default_configENS1_25partition_config_selectorILNS1_17partition_subalgoE0EjNS0_10empty_typeEbEEZZNS1_14partition_implILS5_0ELb0ES3_jN6thrust23THRUST_200600_302600_NS6detail15normal_iteratorINSA_10device_ptrIjEEEEPS6_SG_NS0_5tupleIJNSA_16discard_iteratorINSA_11use_defaultEEESF_EEENSH_IJSG_SG_EEES6_PlJ7is_evenIjEEEE10hipError_tPvRmT3_T4_T5_T6_T7_T9_mT8_P12ihipStream_tbDpT10_ENKUlT_T0_E_clISt17integral_constantIbLb0EES19_EEDaS14_S15_EUlS14_E_NS1_11comp_targetILNS1_3genE2ELNS1_11target_archE906ELNS1_3gpuE6ELNS1_3repE0EEENS1_30default_config_static_selectorELNS0_4arch9wavefront6targetE1EEEvT1_
                                        ; -- End function
	.section	.AMDGPU.csdata,"",@progbits
; Kernel info:
; codeLenInByte = 0
; NumSgprs: 6
; NumVgprs: 0
; NumAgprs: 0
; TotalNumVgprs: 0
; ScratchSize: 0
; MemoryBound: 0
; FloatMode: 240
; IeeeMode: 1
; LDSByteSize: 0 bytes/workgroup (compile time only)
; SGPRBlocks: 0
; VGPRBlocks: 0
; NumSGPRsForWavesPerEU: 6
; NumVGPRsForWavesPerEU: 1
; AccumOffset: 4
; Occupancy: 8
; WaveLimiterHint : 0
; COMPUTE_PGM_RSRC2:SCRATCH_EN: 0
; COMPUTE_PGM_RSRC2:USER_SGPR: 2
; COMPUTE_PGM_RSRC2:TRAP_HANDLER: 0
; COMPUTE_PGM_RSRC2:TGID_X_EN: 1
; COMPUTE_PGM_RSRC2:TGID_Y_EN: 0
; COMPUTE_PGM_RSRC2:TGID_Z_EN: 0
; COMPUTE_PGM_RSRC2:TIDIG_COMP_CNT: 0
; COMPUTE_PGM_RSRC3_GFX90A:ACCUM_OFFSET: 0
; COMPUTE_PGM_RSRC3_GFX90A:TG_SPLIT: 0
	.section	.text._ZN7rocprim17ROCPRIM_400000_NS6detail17trampoline_kernelINS0_14default_configENS1_25partition_config_selectorILNS1_17partition_subalgoE0EjNS0_10empty_typeEbEEZZNS1_14partition_implILS5_0ELb0ES3_jN6thrust23THRUST_200600_302600_NS6detail15normal_iteratorINSA_10device_ptrIjEEEEPS6_SG_NS0_5tupleIJNSA_16discard_iteratorINSA_11use_defaultEEESF_EEENSH_IJSG_SG_EEES6_PlJ7is_evenIjEEEE10hipError_tPvRmT3_T4_T5_T6_T7_T9_mT8_P12ihipStream_tbDpT10_ENKUlT_T0_E_clISt17integral_constantIbLb0EES19_EEDaS14_S15_EUlS14_E_NS1_11comp_targetILNS1_3genE10ELNS1_11target_archE1200ELNS1_3gpuE4ELNS1_3repE0EEENS1_30default_config_static_selectorELNS0_4arch9wavefront6targetE1EEEvT1_,"axG",@progbits,_ZN7rocprim17ROCPRIM_400000_NS6detail17trampoline_kernelINS0_14default_configENS1_25partition_config_selectorILNS1_17partition_subalgoE0EjNS0_10empty_typeEbEEZZNS1_14partition_implILS5_0ELb0ES3_jN6thrust23THRUST_200600_302600_NS6detail15normal_iteratorINSA_10device_ptrIjEEEEPS6_SG_NS0_5tupleIJNSA_16discard_iteratorINSA_11use_defaultEEESF_EEENSH_IJSG_SG_EEES6_PlJ7is_evenIjEEEE10hipError_tPvRmT3_T4_T5_T6_T7_T9_mT8_P12ihipStream_tbDpT10_ENKUlT_T0_E_clISt17integral_constantIbLb0EES19_EEDaS14_S15_EUlS14_E_NS1_11comp_targetILNS1_3genE10ELNS1_11target_archE1200ELNS1_3gpuE4ELNS1_3repE0EEENS1_30default_config_static_selectorELNS0_4arch9wavefront6targetE1EEEvT1_,comdat
	.protected	_ZN7rocprim17ROCPRIM_400000_NS6detail17trampoline_kernelINS0_14default_configENS1_25partition_config_selectorILNS1_17partition_subalgoE0EjNS0_10empty_typeEbEEZZNS1_14partition_implILS5_0ELb0ES3_jN6thrust23THRUST_200600_302600_NS6detail15normal_iteratorINSA_10device_ptrIjEEEEPS6_SG_NS0_5tupleIJNSA_16discard_iteratorINSA_11use_defaultEEESF_EEENSH_IJSG_SG_EEES6_PlJ7is_evenIjEEEE10hipError_tPvRmT3_T4_T5_T6_T7_T9_mT8_P12ihipStream_tbDpT10_ENKUlT_T0_E_clISt17integral_constantIbLb0EES19_EEDaS14_S15_EUlS14_E_NS1_11comp_targetILNS1_3genE10ELNS1_11target_archE1200ELNS1_3gpuE4ELNS1_3repE0EEENS1_30default_config_static_selectorELNS0_4arch9wavefront6targetE1EEEvT1_ ; -- Begin function _ZN7rocprim17ROCPRIM_400000_NS6detail17trampoline_kernelINS0_14default_configENS1_25partition_config_selectorILNS1_17partition_subalgoE0EjNS0_10empty_typeEbEEZZNS1_14partition_implILS5_0ELb0ES3_jN6thrust23THRUST_200600_302600_NS6detail15normal_iteratorINSA_10device_ptrIjEEEEPS6_SG_NS0_5tupleIJNSA_16discard_iteratorINSA_11use_defaultEEESF_EEENSH_IJSG_SG_EEES6_PlJ7is_evenIjEEEE10hipError_tPvRmT3_T4_T5_T6_T7_T9_mT8_P12ihipStream_tbDpT10_ENKUlT_T0_E_clISt17integral_constantIbLb0EES19_EEDaS14_S15_EUlS14_E_NS1_11comp_targetILNS1_3genE10ELNS1_11target_archE1200ELNS1_3gpuE4ELNS1_3repE0EEENS1_30default_config_static_selectorELNS0_4arch9wavefront6targetE1EEEvT1_
	.globl	_ZN7rocprim17ROCPRIM_400000_NS6detail17trampoline_kernelINS0_14default_configENS1_25partition_config_selectorILNS1_17partition_subalgoE0EjNS0_10empty_typeEbEEZZNS1_14partition_implILS5_0ELb0ES3_jN6thrust23THRUST_200600_302600_NS6detail15normal_iteratorINSA_10device_ptrIjEEEEPS6_SG_NS0_5tupleIJNSA_16discard_iteratorINSA_11use_defaultEEESF_EEENSH_IJSG_SG_EEES6_PlJ7is_evenIjEEEE10hipError_tPvRmT3_T4_T5_T6_T7_T9_mT8_P12ihipStream_tbDpT10_ENKUlT_T0_E_clISt17integral_constantIbLb0EES19_EEDaS14_S15_EUlS14_E_NS1_11comp_targetILNS1_3genE10ELNS1_11target_archE1200ELNS1_3gpuE4ELNS1_3repE0EEENS1_30default_config_static_selectorELNS0_4arch9wavefront6targetE1EEEvT1_
	.p2align	8
	.type	_ZN7rocprim17ROCPRIM_400000_NS6detail17trampoline_kernelINS0_14default_configENS1_25partition_config_selectorILNS1_17partition_subalgoE0EjNS0_10empty_typeEbEEZZNS1_14partition_implILS5_0ELb0ES3_jN6thrust23THRUST_200600_302600_NS6detail15normal_iteratorINSA_10device_ptrIjEEEEPS6_SG_NS0_5tupleIJNSA_16discard_iteratorINSA_11use_defaultEEESF_EEENSH_IJSG_SG_EEES6_PlJ7is_evenIjEEEE10hipError_tPvRmT3_T4_T5_T6_T7_T9_mT8_P12ihipStream_tbDpT10_ENKUlT_T0_E_clISt17integral_constantIbLb0EES19_EEDaS14_S15_EUlS14_E_NS1_11comp_targetILNS1_3genE10ELNS1_11target_archE1200ELNS1_3gpuE4ELNS1_3repE0EEENS1_30default_config_static_selectorELNS0_4arch9wavefront6targetE1EEEvT1_,@function
_ZN7rocprim17ROCPRIM_400000_NS6detail17trampoline_kernelINS0_14default_configENS1_25partition_config_selectorILNS1_17partition_subalgoE0EjNS0_10empty_typeEbEEZZNS1_14partition_implILS5_0ELb0ES3_jN6thrust23THRUST_200600_302600_NS6detail15normal_iteratorINSA_10device_ptrIjEEEEPS6_SG_NS0_5tupleIJNSA_16discard_iteratorINSA_11use_defaultEEESF_EEENSH_IJSG_SG_EEES6_PlJ7is_evenIjEEEE10hipError_tPvRmT3_T4_T5_T6_T7_T9_mT8_P12ihipStream_tbDpT10_ENKUlT_T0_E_clISt17integral_constantIbLb0EES19_EEDaS14_S15_EUlS14_E_NS1_11comp_targetILNS1_3genE10ELNS1_11target_archE1200ELNS1_3gpuE4ELNS1_3repE0EEENS1_30default_config_static_selectorELNS0_4arch9wavefront6targetE1EEEvT1_: ; @_ZN7rocprim17ROCPRIM_400000_NS6detail17trampoline_kernelINS0_14default_configENS1_25partition_config_selectorILNS1_17partition_subalgoE0EjNS0_10empty_typeEbEEZZNS1_14partition_implILS5_0ELb0ES3_jN6thrust23THRUST_200600_302600_NS6detail15normal_iteratorINSA_10device_ptrIjEEEEPS6_SG_NS0_5tupleIJNSA_16discard_iteratorINSA_11use_defaultEEESF_EEENSH_IJSG_SG_EEES6_PlJ7is_evenIjEEEE10hipError_tPvRmT3_T4_T5_T6_T7_T9_mT8_P12ihipStream_tbDpT10_ENKUlT_T0_E_clISt17integral_constantIbLb0EES19_EEDaS14_S15_EUlS14_E_NS1_11comp_targetILNS1_3genE10ELNS1_11target_archE1200ELNS1_3gpuE4ELNS1_3repE0EEENS1_30default_config_static_selectorELNS0_4arch9wavefront6targetE1EEEvT1_
; %bb.0:
	.section	.rodata,"a",@progbits
	.p2align	6, 0x0
	.amdhsa_kernel _ZN7rocprim17ROCPRIM_400000_NS6detail17trampoline_kernelINS0_14default_configENS1_25partition_config_selectorILNS1_17partition_subalgoE0EjNS0_10empty_typeEbEEZZNS1_14partition_implILS5_0ELb0ES3_jN6thrust23THRUST_200600_302600_NS6detail15normal_iteratorINSA_10device_ptrIjEEEEPS6_SG_NS0_5tupleIJNSA_16discard_iteratorINSA_11use_defaultEEESF_EEENSH_IJSG_SG_EEES6_PlJ7is_evenIjEEEE10hipError_tPvRmT3_T4_T5_T6_T7_T9_mT8_P12ihipStream_tbDpT10_ENKUlT_T0_E_clISt17integral_constantIbLb0EES19_EEDaS14_S15_EUlS14_E_NS1_11comp_targetILNS1_3genE10ELNS1_11target_archE1200ELNS1_3gpuE4ELNS1_3repE0EEENS1_30default_config_static_selectorELNS0_4arch9wavefront6targetE1EEEvT1_
		.amdhsa_group_segment_fixed_size 0
		.amdhsa_private_segment_fixed_size 0
		.amdhsa_kernarg_size 128
		.amdhsa_user_sgpr_count 2
		.amdhsa_user_sgpr_dispatch_ptr 0
		.amdhsa_user_sgpr_queue_ptr 0
		.amdhsa_user_sgpr_kernarg_segment_ptr 1
		.amdhsa_user_sgpr_dispatch_id 0
		.amdhsa_user_sgpr_kernarg_preload_length 0
		.amdhsa_user_sgpr_kernarg_preload_offset 0
		.amdhsa_user_sgpr_private_segment_size 0
		.amdhsa_uses_dynamic_stack 0
		.amdhsa_enable_private_segment 0
		.amdhsa_system_sgpr_workgroup_id_x 1
		.amdhsa_system_sgpr_workgroup_id_y 0
		.amdhsa_system_sgpr_workgroup_id_z 0
		.amdhsa_system_sgpr_workgroup_info 0
		.amdhsa_system_vgpr_workitem_id 0
		.amdhsa_next_free_vgpr 1
		.amdhsa_next_free_sgpr 0
		.amdhsa_accum_offset 4
		.amdhsa_reserve_vcc 0
		.amdhsa_float_round_mode_32 0
		.amdhsa_float_round_mode_16_64 0
		.amdhsa_float_denorm_mode_32 3
		.amdhsa_float_denorm_mode_16_64 3
		.amdhsa_dx10_clamp 1
		.amdhsa_ieee_mode 1
		.amdhsa_fp16_overflow 0
		.amdhsa_tg_split 0
		.amdhsa_exception_fp_ieee_invalid_op 0
		.amdhsa_exception_fp_denorm_src 0
		.amdhsa_exception_fp_ieee_div_zero 0
		.amdhsa_exception_fp_ieee_overflow 0
		.amdhsa_exception_fp_ieee_underflow 0
		.amdhsa_exception_fp_ieee_inexact 0
		.amdhsa_exception_int_div_zero 0
	.end_amdhsa_kernel
	.section	.text._ZN7rocprim17ROCPRIM_400000_NS6detail17trampoline_kernelINS0_14default_configENS1_25partition_config_selectorILNS1_17partition_subalgoE0EjNS0_10empty_typeEbEEZZNS1_14partition_implILS5_0ELb0ES3_jN6thrust23THRUST_200600_302600_NS6detail15normal_iteratorINSA_10device_ptrIjEEEEPS6_SG_NS0_5tupleIJNSA_16discard_iteratorINSA_11use_defaultEEESF_EEENSH_IJSG_SG_EEES6_PlJ7is_evenIjEEEE10hipError_tPvRmT3_T4_T5_T6_T7_T9_mT8_P12ihipStream_tbDpT10_ENKUlT_T0_E_clISt17integral_constantIbLb0EES19_EEDaS14_S15_EUlS14_E_NS1_11comp_targetILNS1_3genE10ELNS1_11target_archE1200ELNS1_3gpuE4ELNS1_3repE0EEENS1_30default_config_static_selectorELNS0_4arch9wavefront6targetE1EEEvT1_,"axG",@progbits,_ZN7rocprim17ROCPRIM_400000_NS6detail17trampoline_kernelINS0_14default_configENS1_25partition_config_selectorILNS1_17partition_subalgoE0EjNS0_10empty_typeEbEEZZNS1_14partition_implILS5_0ELb0ES3_jN6thrust23THRUST_200600_302600_NS6detail15normal_iteratorINSA_10device_ptrIjEEEEPS6_SG_NS0_5tupleIJNSA_16discard_iteratorINSA_11use_defaultEEESF_EEENSH_IJSG_SG_EEES6_PlJ7is_evenIjEEEE10hipError_tPvRmT3_T4_T5_T6_T7_T9_mT8_P12ihipStream_tbDpT10_ENKUlT_T0_E_clISt17integral_constantIbLb0EES19_EEDaS14_S15_EUlS14_E_NS1_11comp_targetILNS1_3genE10ELNS1_11target_archE1200ELNS1_3gpuE4ELNS1_3repE0EEENS1_30default_config_static_selectorELNS0_4arch9wavefront6targetE1EEEvT1_,comdat
.Lfunc_end2464:
	.size	_ZN7rocprim17ROCPRIM_400000_NS6detail17trampoline_kernelINS0_14default_configENS1_25partition_config_selectorILNS1_17partition_subalgoE0EjNS0_10empty_typeEbEEZZNS1_14partition_implILS5_0ELb0ES3_jN6thrust23THRUST_200600_302600_NS6detail15normal_iteratorINSA_10device_ptrIjEEEEPS6_SG_NS0_5tupleIJNSA_16discard_iteratorINSA_11use_defaultEEESF_EEENSH_IJSG_SG_EEES6_PlJ7is_evenIjEEEE10hipError_tPvRmT3_T4_T5_T6_T7_T9_mT8_P12ihipStream_tbDpT10_ENKUlT_T0_E_clISt17integral_constantIbLb0EES19_EEDaS14_S15_EUlS14_E_NS1_11comp_targetILNS1_3genE10ELNS1_11target_archE1200ELNS1_3gpuE4ELNS1_3repE0EEENS1_30default_config_static_selectorELNS0_4arch9wavefront6targetE1EEEvT1_, .Lfunc_end2464-_ZN7rocprim17ROCPRIM_400000_NS6detail17trampoline_kernelINS0_14default_configENS1_25partition_config_selectorILNS1_17partition_subalgoE0EjNS0_10empty_typeEbEEZZNS1_14partition_implILS5_0ELb0ES3_jN6thrust23THRUST_200600_302600_NS6detail15normal_iteratorINSA_10device_ptrIjEEEEPS6_SG_NS0_5tupleIJNSA_16discard_iteratorINSA_11use_defaultEEESF_EEENSH_IJSG_SG_EEES6_PlJ7is_evenIjEEEE10hipError_tPvRmT3_T4_T5_T6_T7_T9_mT8_P12ihipStream_tbDpT10_ENKUlT_T0_E_clISt17integral_constantIbLb0EES19_EEDaS14_S15_EUlS14_E_NS1_11comp_targetILNS1_3genE10ELNS1_11target_archE1200ELNS1_3gpuE4ELNS1_3repE0EEENS1_30default_config_static_selectorELNS0_4arch9wavefront6targetE1EEEvT1_
                                        ; -- End function
	.section	.AMDGPU.csdata,"",@progbits
; Kernel info:
; codeLenInByte = 0
; NumSgprs: 6
; NumVgprs: 0
; NumAgprs: 0
; TotalNumVgprs: 0
; ScratchSize: 0
; MemoryBound: 0
; FloatMode: 240
; IeeeMode: 1
; LDSByteSize: 0 bytes/workgroup (compile time only)
; SGPRBlocks: 0
; VGPRBlocks: 0
; NumSGPRsForWavesPerEU: 6
; NumVGPRsForWavesPerEU: 1
; AccumOffset: 4
; Occupancy: 8
; WaveLimiterHint : 0
; COMPUTE_PGM_RSRC2:SCRATCH_EN: 0
; COMPUTE_PGM_RSRC2:USER_SGPR: 2
; COMPUTE_PGM_RSRC2:TRAP_HANDLER: 0
; COMPUTE_PGM_RSRC2:TGID_X_EN: 1
; COMPUTE_PGM_RSRC2:TGID_Y_EN: 0
; COMPUTE_PGM_RSRC2:TGID_Z_EN: 0
; COMPUTE_PGM_RSRC2:TIDIG_COMP_CNT: 0
; COMPUTE_PGM_RSRC3_GFX90A:ACCUM_OFFSET: 0
; COMPUTE_PGM_RSRC3_GFX90A:TG_SPLIT: 0
	.section	.text._ZN7rocprim17ROCPRIM_400000_NS6detail17trampoline_kernelINS0_14default_configENS1_25partition_config_selectorILNS1_17partition_subalgoE0EjNS0_10empty_typeEbEEZZNS1_14partition_implILS5_0ELb0ES3_jN6thrust23THRUST_200600_302600_NS6detail15normal_iteratorINSA_10device_ptrIjEEEEPS6_SG_NS0_5tupleIJNSA_16discard_iteratorINSA_11use_defaultEEESF_EEENSH_IJSG_SG_EEES6_PlJ7is_evenIjEEEE10hipError_tPvRmT3_T4_T5_T6_T7_T9_mT8_P12ihipStream_tbDpT10_ENKUlT_T0_E_clISt17integral_constantIbLb0EES19_EEDaS14_S15_EUlS14_E_NS1_11comp_targetILNS1_3genE9ELNS1_11target_archE1100ELNS1_3gpuE3ELNS1_3repE0EEENS1_30default_config_static_selectorELNS0_4arch9wavefront6targetE1EEEvT1_,"axG",@progbits,_ZN7rocprim17ROCPRIM_400000_NS6detail17trampoline_kernelINS0_14default_configENS1_25partition_config_selectorILNS1_17partition_subalgoE0EjNS0_10empty_typeEbEEZZNS1_14partition_implILS5_0ELb0ES3_jN6thrust23THRUST_200600_302600_NS6detail15normal_iteratorINSA_10device_ptrIjEEEEPS6_SG_NS0_5tupleIJNSA_16discard_iteratorINSA_11use_defaultEEESF_EEENSH_IJSG_SG_EEES6_PlJ7is_evenIjEEEE10hipError_tPvRmT3_T4_T5_T6_T7_T9_mT8_P12ihipStream_tbDpT10_ENKUlT_T0_E_clISt17integral_constantIbLb0EES19_EEDaS14_S15_EUlS14_E_NS1_11comp_targetILNS1_3genE9ELNS1_11target_archE1100ELNS1_3gpuE3ELNS1_3repE0EEENS1_30default_config_static_selectorELNS0_4arch9wavefront6targetE1EEEvT1_,comdat
	.protected	_ZN7rocprim17ROCPRIM_400000_NS6detail17trampoline_kernelINS0_14default_configENS1_25partition_config_selectorILNS1_17partition_subalgoE0EjNS0_10empty_typeEbEEZZNS1_14partition_implILS5_0ELb0ES3_jN6thrust23THRUST_200600_302600_NS6detail15normal_iteratorINSA_10device_ptrIjEEEEPS6_SG_NS0_5tupleIJNSA_16discard_iteratorINSA_11use_defaultEEESF_EEENSH_IJSG_SG_EEES6_PlJ7is_evenIjEEEE10hipError_tPvRmT3_T4_T5_T6_T7_T9_mT8_P12ihipStream_tbDpT10_ENKUlT_T0_E_clISt17integral_constantIbLb0EES19_EEDaS14_S15_EUlS14_E_NS1_11comp_targetILNS1_3genE9ELNS1_11target_archE1100ELNS1_3gpuE3ELNS1_3repE0EEENS1_30default_config_static_selectorELNS0_4arch9wavefront6targetE1EEEvT1_ ; -- Begin function _ZN7rocprim17ROCPRIM_400000_NS6detail17trampoline_kernelINS0_14default_configENS1_25partition_config_selectorILNS1_17partition_subalgoE0EjNS0_10empty_typeEbEEZZNS1_14partition_implILS5_0ELb0ES3_jN6thrust23THRUST_200600_302600_NS6detail15normal_iteratorINSA_10device_ptrIjEEEEPS6_SG_NS0_5tupleIJNSA_16discard_iteratorINSA_11use_defaultEEESF_EEENSH_IJSG_SG_EEES6_PlJ7is_evenIjEEEE10hipError_tPvRmT3_T4_T5_T6_T7_T9_mT8_P12ihipStream_tbDpT10_ENKUlT_T0_E_clISt17integral_constantIbLb0EES19_EEDaS14_S15_EUlS14_E_NS1_11comp_targetILNS1_3genE9ELNS1_11target_archE1100ELNS1_3gpuE3ELNS1_3repE0EEENS1_30default_config_static_selectorELNS0_4arch9wavefront6targetE1EEEvT1_
	.globl	_ZN7rocprim17ROCPRIM_400000_NS6detail17trampoline_kernelINS0_14default_configENS1_25partition_config_selectorILNS1_17partition_subalgoE0EjNS0_10empty_typeEbEEZZNS1_14partition_implILS5_0ELb0ES3_jN6thrust23THRUST_200600_302600_NS6detail15normal_iteratorINSA_10device_ptrIjEEEEPS6_SG_NS0_5tupleIJNSA_16discard_iteratorINSA_11use_defaultEEESF_EEENSH_IJSG_SG_EEES6_PlJ7is_evenIjEEEE10hipError_tPvRmT3_T4_T5_T6_T7_T9_mT8_P12ihipStream_tbDpT10_ENKUlT_T0_E_clISt17integral_constantIbLb0EES19_EEDaS14_S15_EUlS14_E_NS1_11comp_targetILNS1_3genE9ELNS1_11target_archE1100ELNS1_3gpuE3ELNS1_3repE0EEENS1_30default_config_static_selectorELNS0_4arch9wavefront6targetE1EEEvT1_
	.p2align	8
	.type	_ZN7rocprim17ROCPRIM_400000_NS6detail17trampoline_kernelINS0_14default_configENS1_25partition_config_selectorILNS1_17partition_subalgoE0EjNS0_10empty_typeEbEEZZNS1_14partition_implILS5_0ELb0ES3_jN6thrust23THRUST_200600_302600_NS6detail15normal_iteratorINSA_10device_ptrIjEEEEPS6_SG_NS0_5tupleIJNSA_16discard_iteratorINSA_11use_defaultEEESF_EEENSH_IJSG_SG_EEES6_PlJ7is_evenIjEEEE10hipError_tPvRmT3_T4_T5_T6_T7_T9_mT8_P12ihipStream_tbDpT10_ENKUlT_T0_E_clISt17integral_constantIbLb0EES19_EEDaS14_S15_EUlS14_E_NS1_11comp_targetILNS1_3genE9ELNS1_11target_archE1100ELNS1_3gpuE3ELNS1_3repE0EEENS1_30default_config_static_selectorELNS0_4arch9wavefront6targetE1EEEvT1_,@function
_ZN7rocprim17ROCPRIM_400000_NS6detail17trampoline_kernelINS0_14default_configENS1_25partition_config_selectorILNS1_17partition_subalgoE0EjNS0_10empty_typeEbEEZZNS1_14partition_implILS5_0ELb0ES3_jN6thrust23THRUST_200600_302600_NS6detail15normal_iteratorINSA_10device_ptrIjEEEEPS6_SG_NS0_5tupleIJNSA_16discard_iteratorINSA_11use_defaultEEESF_EEENSH_IJSG_SG_EEES6_PlJ7is_evenIjEEEE10hipError_tPvRmT3_T4_T5_T6_T7_T9_mT8_P12ihipStream_tbDpT10_ENKUlT_T0_E_clISt17integral_constantIbLb0EES19_EEDaS14_S15_EUlS14_E_NS1_11comp_targetILNS1_3genE9ELNS1_11target_archE1100ELNS1_3gpuE3ELNS1_3repE0EEENS1_30default_config_static_selectorELNS0_4arch9wavefront6targetE1EEEvT1_: ; @_ZN7rocprim17ROCPRIM_400000_NS6detail17trampoline_kernelINS0_14default_configENS1_25partition_config_selectorILNS1_17partition_subalgoE0EjNS0_10empty_typeEbEEZZNS1_14partition_implILS5_0ELb0ES3_jN6thrust23THRUST_200600_302600_NS6detail15normal_iteratorINSA_10device_ptrIjEEEEPS6_SG_NS0_5tupleIJNSA_16discard_iteratorINSA_11use_defaultEEESF_EEENSH_IJSG_SG_EEES6_PlJ7is_evenIjEEEE10hipError_tPvRmT3_T4_T5_T6_T7_T9_mT8_P12ihipStream_tbDpT10_ENKUlT_T0_E_clISt17integral_constantIbLb0EES19_EEDaS14_S15_EUlS14_E_NS1_11comp_targetILNS1_3genE9ELNS1_11target_archE1100ELNS1_3gpuE3ELNS1_3repE0EEENS1_30default_config_static_selectorELNS0_4arch9wavefront6targetE1EEEvT1_
; %bb.0:
	.section	.rodata,"a",@progbits
	.p2align	6, 0x0
	.amdhsa_kernel _ZN7rocprim17ROCPRIM_400000_NS6detail17trampoline_kernelINS0_14default_configENS1_25partition_config_selectorILNS1_17partition_subalgoE0EjNS0_10empty_typeEbEEZZNS1_14partition_implILS5_0ELb0ES3_jN6thrust23THRUST_200600_302600_NS6detail15normal_iteratorINSA_10device_ptrIjEEEEPS6_SG_NS0_5tupleIJNSA_16discard_iteratorINSA_11use_defaultEEESF_EEENSH_IJSG_SG_EEES6_PlJ7is_evenIjEEEE10hipError_tPvRmT3_T4_T5_T6_T7_T9_mT8_P12ihipStream_tbDpT10_ENKUlT_T0_E_clISt17integral_constantIbLb0EES19_EEDaS14_S15_EUlS14_E_NS1_11comp_targetILNS1_3genE9ELNS1_11target_archE1100ELNS1_3gpuE3ELNS1_3repE0EEENS1_30default_config_static_selectorELNS0_4arch9wavefront6targetE1EEEvT1_
		.amdhsa_group_segment_fixed_size 0
		.amdhsa_private_segment_fixed_size 0
		.amdhsa_kernarg_size 128
		.amdhsa_user_sgpr_count 2
		.amdhsa_user_sgpr_dispatch_ptr 0
		.amdhsa_user_sgpr_queue_ptr 0
		.amdhsa_user_sgpr_kernarg_segment_ptr 1
		.amdhsa_user_sgpr_dispatch_id 0
		.amdhsa_user_sgpr_kernarg_preload_length 0
		.amdhsa_user_sgpr_kernarg_preload_offset 0
		.amdhsa_user_sgpr_private_segment_size 0
		.amdhsa_uses_dynamic_stack 0
		.amdhsa_enable_private_segment 0
		.amdhsa_system_sgpr_workgroup_id_x 1
		.amdhsa_system_sgpr_workgroup_id_y 0
		.amdhsa_system_sgpr_workgroup_id_z 0
		.amdhsa_system_sgpr_workgroup_info 0
		.amdhsa_system_vgpr_workitem_id 0
		.amdhsa_next_free_vgpr 1
		.amdhsa_next_free_sgpr 0
		.amdhsa_accum_offset 4
		.amdhsa_reserve_vcc 0
		.amdhsa_float_round_mode_32 0
		.amdhsa_float_round_mode_16_64 0
		.amdhsa_float_denorm_mode_32 3
		.amdhsa_float_denorm_mode_16_64 3
		.amdhsa_dx10_clamp 1
		.amdhsa_ieee_mode 1
		.amdhsa_fp16_overflow 0
		.amdhsa_tg_split 0
		.amdhsa_exception_fp_ieee_invalid_op 0
		.amdhsa_exception_fp_denorm_src 0
		.amdhsa_exception_fp_ieee_div_zero 0
		.amdhsa_exception_fp_ieee_overflow 0
		.amdhsa_exception_fp_ieee_underflow 0
		.amdhsa_exception_fp_ieee_inexact 0
		.amdhsa_exception_int_div_zero 0
	.end_amdhsa_kernel
	.section	.text._ZN7rocprim17ROCPRIM_400000_NS6detail17trampoline_kernelINS0_14default_configENS1_25partition_config_selectorILNS1_17partition_subalgoE0EjNS0_10empty_typeEbEEZZNS1_14partition_implILS5_0ELb0ES3_jN6thrust23THRUST_200600_302600_NS6detail15normal_iteratorINSA_10device_ptrIjEEEEPS6_SG_NS0_5tupleIJNSA_16discard_iteratorINSA_11use_defaultEEESF_EEENSH_IJSG_SG_EEES6_PlJ7is_evenIjEEEE10hipError_tPvRmT3_T4_T5_T6_T7_T9_mT8_P12ihipStream_tbDpT10_ENKUlT_T0_E_clISt17integral_constantIbLb0EES19_EEDaS14_S15_EUlS14_E_NS1_11comp_targetILNS1_3genE9ELNS1_11target_archE1100ELNS1_3gpuE3ELNS1_3repE0EEENS1_30default_config_static_selectorELNS0_4arch9wavefront6targetE1EEEvT1_,"axG",@progbits,_ZN7rocprim17ROCPRIM_400000_NS6detail17trampoline_kernelINS0_14default_configENS1_25partition_config_selectorILNS1_17partition_subalgoE0EjNS0_10empty_typeEbEEZZNS1_14partition_implILS5_0ELb0ES3_jN6thrust23THRUST_200600_302600_NS6detail15normal_iteratorINSA_10device_ptrIjEEEEPS6_SG_NS0_5tupleIJNSA_16discard_iteratorINSA_11use_defaultEEESF_EEENSH_IJSG_SG_EEES6_PlJ7is_evenIjEEEE10hipError_tPvRmT3_T4_T5_T6_T7_T9_mT8_P12ihipStream_tbDpT10_ENKUlT_T0_E_clISt17integral_constantIbLb0EES19_EEDaS14_S15_EUlS14_E_NS1_11comp_targetILNS1_3genE9ELNS1_11target_archE1100ELNS1_3gpuE3ELNS1_3repE0EEENS1_30default_config_static_selectorELNS0_4arch9wavefront6targetE1EEEvT1_,comdat
.Lfunc_end2465:
	.size	_ZN7rocprim17ROCPRIM_400000_NS6detail17trampoline_kernelINS0_14default_configENS1_25partition_config_selectorILNS1_17partition_subalgoE0EjNS0_10empty_typeEbEEZZNS1_14partition_implILS5_0ELb0ES3_jN6thrust23THRUST_200600_302600_NS6detail15normal_iteratorINSA_10device_ptrIjEEEEPS6_SG_NS0_5tupleIJNSA_16discard_iteratorINSA_11use_defaultEEESF_EEENSH_IJSG_SG_EEES6_PlJ7is_evenIjEEEE10hipError_tPvRmT3_T4_T5_T6_T7_T9_mT8_P12ihipStream_tbDpT10_ENKUlT_T0_E_clISt17integral_constantIbLb0EES19_EEDaS14_S15_EUlS14_E_NS1_11comp_targetILNS1_3genE9ELNS1_11target_archE1100ELNS1_3gpuE3ELNS1_3repE0EEENS1_30default_config_static_selectorELNS0_4arch9wavefront6targetE1EEEvT1_, .Lfunc_end2465-_ZN7rocprim17ROCPRIM_400000_NS6detail17trampoline_kernelINS0_14default_configENS1_25partition_config_selectorILNS1_17partition_subalgoE0EjNS0_10empty_typeEbEEZZNS1_14partition_implILS5_0ELb0ES3_jN6thrust23THRUST_200600_302600_NS6detail15normal_iteratorINSA_10device_ptrIjEEEEPS6_SG_NS0_5tupleIJNSA_16discard_iteratorINSA_11use_defaultEEESF_EEENSH_IJSG_SG_EEES6_PlJ7is_evenIjEEEE10hipError_tPvRmT3_T4_T5_T6_T7_T9_mT8_P12ihipStream_tbDpT10_ENKUlT_T0_E_clISt17integral_constantIbLb0EES19_EEDaS14_S15_EUlS14_E_NS1_11comp_targetILNS1_3genE9ELNS1_11target_archE1100ELNS1_3gpuE3ELNS1_3repE0EEENS1_30default_config_static_selectorELNS0_4arch9wavefront6targetE1EEEvT1_
                                        ; -- End function
	.section	.AMDGPU.csdata,"",@progbits
; Kernel info:
; codeLenInByte = 0
; NumSgprs: 6
; NumVgprs: 0
; NumAgprs: 0
; TotalNumVgprs: 0
; ScratchSize: 0
; MemoryBound: 0
; FloatMode: 240
; IeeeMode: 1
; LDSByteSize: 0 bytes/workgroup (compile time only)
; SGPRBlocks: 0
; VGPRBlocks: 0
; NumSGPRsForWavesPerEU: 6
; NumVGPRsForWavesPerEU: 1
; AccumOffset: 4
; Occupancy: 8
; WaveLimiterHint : 0
; COMPUTE_PGM_RSRC2:SCRATCH_EN: 0
; COMPUTE_PGM_RSRC2:USER_SGPR: 2
; COMPUTE_PGM_RSRC2:TRAP_HANDLER: 0
; COMPUTE_PGM_RSRC2:TGID_X_EN: 1
; COMPUTE_PGM_RSRC2:TGID_Y_EN: 0
; COMPUTE_PGM_RSRC2:TGID_Z_EN: 0
; COMPUTE_PGM_RSRC2:TIDIG_COMP_CNT: 0
; COMPUTE_PGM_RSRC3_GFX90A:ACCUM_OFFSET: 0
; COMPUTE_PGM_RSRC3_GFX90A:TG_SPLIT: 0
	.section	.text._ZN7rocprim17ROCPRIM_400000_NS6detail17trampoline_kernelINS0_14default_configENS1_25partition_config_selectorILNS1_17partition_subalgoE0EjNS0_10empty_typeEbEEZZNS1_14partition_implILS5_0ELb0ES3_jN6thrust23THRUST_200600_302600_NS6detail15normal_iteratorINSA_10device_ptrIjEEEEPS6_SG_NS0_5tupleIJNSA_16discard_iteratorINSA_11use_defaultEEESF_EEENSH_IJSG_SG_EEES6_PlJ7is_evenIjEEEE10hipError_tPvRmT3_T4_T5_T6_T7_T9_mT8_P12ihipStream_tbDpT10_ENKUlT_T0_E_clISt17integral_constantIbLb0EES19_EEDaS14_S15_EUlS14_E_NS1_11comp_targetILNS1_3genE8ELNS1_11target_archE1030ELNS1_3gpuE2ELNS1_3repE0EEENS1_30default_config_static_selectorELNS0_4arch9wavefront6targetE1EEEvT1_,"axG",@progbits,_ZN7rocprim17ROCPRIM_400000_NS6detail17trampoline_kernelINS0_14default_configENS1_25partition_config_selectorILNS1_17partition_subalgoE0EjNS0_10empty_typeEbEEZZNS1_14partition_implILS5_0ELb0ES3_jN6thrust23THRUST_200600_302600_NS6detail15normal_iteratorINSA_10device_ptrIjEEEEPS6_SG_NS0_5tupleIJNSA_16discard_iteratorINSA_11use_defaultEEESF_EEENSH_IJSG_SG_EEES6_PlJ7is_evenIjEEEE10hipError_tPvRmT3_T4_T5_T6_T7_T9_mT8_P12ihipStream_tbDpT10_ENKUlT_T0_E_clISt17integral_constantIbLb0EES19_EEDaS14_S15_EUlS14_E_NS1_11comp_targetILNS1_3genE8ELNS1_11target_archE1030ELNS1_3gpuE2ELNS1_3repE0EEENS1_30default_config_static_selectorELNS0_4arch9wavefront6targetE1EEEvT1_,comdat
	.protected	_ZN7rocprim17ROCPRIM_400000_NS6detail17trampoline_kernelINS0_14default_configENS1_25partition_config_selectorILNS1_17partition_subalgoE0EjNS0_10empty_typeEbEEZZNS1_14partition_implILS5_0ELb0ES3_jN6thrust23THRUST_200600_302600_NS6detail15normal_iteratorINSA_10device_ptrIjEEEEPS6_SG_NS0_5tupleIJNSA_16discard_iteratorINSA_11use_defaultEEESF_EEENSH_IJSG_SG_EEES6_PlJ7is_evenIjEEEE10hipError_tPvRmT3_T4_T5_T6_T7_T9_mT8_P12ihipStream_tbDpT10_ENKUlT_T0_E_clISt17integral_constantIbLb0EES19_EEDaS14_S15_EUlS14_E_NS1_11comp_targetILNS1_3genE8ELNS1_11target_archE1030ELNS1_3gpuE2ELNS1_3repE0EEENS1_30default_config_static_selectorELNS0_4arch9wavefront6targetE1EEEvT1_ ; -- Begin function _ZN7rocprim17ROCPRIM_400000_NS6detail17trampoline_kernelINS0_14default_configENS1_25partition_config_selectorILNS1_17partition_subalgoE0EjNS0_10empty_typeEbEEZZNS1_14partition_implILS5_0ELb0ES3_jN6thrust23THRUST_200600_302600_NS6detail15normal_iteratorINSA_10device_ptrIjEEEEPS6_SG_NS0_5tupleIJNSA_16discard_iteratorINSA_11use_defaultEEESF_EEENSH_IJSG_SG_EEES6_PlJ7is_evenIjEEEE10hipError_tPvRmT3_T4_T5_T6_T7_T9_mT8_P12ihipStream_tbDpT10_ENKUlT_T0_E_clISt17integral_constantIbLb0EES19_EEDaS14_S15_EUlS14_E_NS1_11comp_targetILNS1_3genE8ELNS1_11target_archE1030ELNS1_3gpuE2ELNS1_3repE0EEENS1_30default_config_static_selectorELNS0_4arch9wavefront6targetE1EEEvT1_
	.globl	_ZN7rocprim17ROCPRIM_400000_NS6detail17trampoline_kernelINS0_14default_configENS1_25partition_config_selectorILNS1_17partition_subalgoE0EjNS0_10empty_typeEbEEZZNS1_14partition_implILS5_0ELb0ES3_jN6thrust23THRUST_200600_302600_NS6detail15normal_iteratorINSA_10device_ptrIjEEEEPS6_SG_NS0_5tupleIJNSA_16discard_iteratorINSA_11use_defaultEEESF_EEENSH_IJSG_SG_EEES6_PlJ7is_evenIjEEEE10hipError_tPvRmT3_T4_T5_T6_T7_T9_mT8_P12ihipStream_tbDpT10_ENKUlT_T0_E_clISt17integral_constantIbLb0EES19_EEDaS14_S15_EUlS14_E_NS1_11comp_targetILNS1_3genE8ELNS1_11target_archE1030ELNS1_3gpuE2ELNS1_3repE0EEENS1_30default_config_static_selectorELNS0_4arch9wavefront6targetE1EEEvT1_
	.p2align	8
	.type	_ZN7rocprim17ROCPRIM_400000_NS6detail17trampoline_kernelINS0_14default_configENS1_25partition_config_selectorILNS1_17partition_subalgoE0EjNS0_10empty_typeEbEEZZNS1_14partition_implILS5_0ELb0ES3_jN6thrust23THRUST_200600_302600_NS6detail15normal_iteratorINSA_10device_ptrIjEEEEPS6_SG_NS0_5tupleIJNSA_16discard_iteratorINSA_11use_defaultEEESF_EEENSH_IJSG_SG_EEES6_PlJ7is_evenIjEEEE10hipError_tPvRmT3_T4_T5_T6_T7_T9_mT8_P12ihipStream_tbDpT10_ENKUlT_T0_E_clISt17integral_constantIbLb0EES19_EEDaS14_S15_EUlS14_E_NS1_11comp_targetILNS1_3genE8ELNS1_11target_archE1030ELNS1_3gpuE2ELNS1_3repE0EEENS1_30default_config_static_selectorELNS0_4arch9wavefront6targetE1EEEvT1_,@function
_ZN7rocprim17ROCPRIM_400000_NS6detail17trampoline_kernelINS0_14default_configENS1_25partition_config_selectorILNS1_17partition_subalgoE0EjNS0_10empty_typeEbEEZZNS1_14partition_implILS5_0ELb0ES3_jN6thrust23THRUST_200600_302600_NS6detail15normal_iteratorINSA_10device_ptrIjEEEEPS6_SG_NS0_5tupleIJNSA_16discard_iteratorINSA_11use_defaultEEESF_EEENSH_IJSG_SG_EEES6_PlJ7is_evenIjEEEE10hipError_tPvRmT3_T4_T5_T6_T7_T9_mT8_P12ihipStream_tbDpT10_ENKUlT_T0_E_clISt17integral_constantIbLb0EES19_EEDaS14_S15_EUlS14_E_NS1_11comp_targetILNS1_3genE8ELNS1_11target_archE1030ELNS1_3gpuE2ELNS1_3repE0EEENS1_30default_config_static_selectorELNS0_4arch9wavefront6targetE1EEEvT1_: ; @_ZN7rocprim17ROCPRIM_400000_NS6detail17trampoline_kernelINS0_14default_configENS1_25partition_config_selectorILNS1_17partition_subalgoE0EjNS0_10empty_typeEbEEZZNS1_14partition_implILS5_0ELb0ES3_jN6thrust23THRUST_200600_302600_NS6detail15normal_iteratorINSA_10device_ptrIjEEEEPS6_SG_NS0_5tupleIJNSA_16discard_iteratorINSA_11use_defaultEEESF_EEENSH_IJSG_SG_EEES6_PlJ7is_evenIjEEEE10hipError_tPvRmT3_T4_T5_T6_T7_T9_mT8_P12ihipStream_tbDpT10_ENKUlT_T0_E_clISt17integral_constantIbLb0EES19_EEDaS14_S15_EUlS14_E_NS1_11comp_targetILNS1_3genE8ELNS1_11target_archE1030ELNS1_3gpuE2ELNS1_3repE0EEENS1_30default_config_static_selectorELNS0_4arch9wavefront6targetE1EEEvT1_
; %bb.0:
	.section	.rodata,"a",@progbits
	.p2align	6, 0x0
	.amdhsa_kernel _ZN7rocprim17ROCPRIM_400000_NS6detail17trampoline_kernelINS0_14default_configENS1_25partition_config_selectorILNS1_17partition_subalgoE0EjNS0_10empty_typeEbEEZZNS1_14partition_implILS5_0ELb0ES3_jN6thrust23THRUST_200600_302600_NS6detail15normal_iteratorINSA_10device_ptrIjEEEEPS6_SG_NS0_5tupleIJNSA_16discard_iteratorINSA_11use_defaultEEESF_EEENSH_IJSG_SG_EEES6_PlJ7is_evenIjEEEE10hipError_tPvRmT3_T4_T5_T6_T7_T9_mT8_P12ihipStream_tbDpT10_ENKUlT_T0_E_clISt17integral_constantIbLb0EES19_EEDaS14_S15_EUlS14_E_NS1_11comp_targetILNS1_3genE8ELNS1_11target_archE1030ELNS1_3gpuE2ELNS1_3repE0EEENS1_30default_config_static_selectorELNS0_4arch9wavefront6targetE1EEEvT1_
		.amdhsa_group_segment_fixed_size 0
		.amdhsa_private_segment_fixed_size 0
		.amdhsa_kernarg_size 128
		.amdhsa_user_sgpr_count 2
		.amdhsa_user_sgpr_dispatch_ptr 0
		.amdhsa_user_sgpr_queue_ptr 0
		.amdhsa_user_sgpr_kernarg_segment_ptr 1
		.amdhsa_user_sgpr_dispatch_id 0
		.amdhsa_user_sgpr_kernarg_preload_length 0
		.amdhsa_user_sgpr_kernarg_preload_offset 0
		.amdhsa_user_sgpr_private_segment_size 0
		.amdhsa_uses_dynamic_stack 0
		.amdhsa_enable_private_segment 0
		.amdhsa_system_sgpr_workgroup_id_x 1
		.amdhsa_system_sgpr_workgroup_id_y 0
		.amdhsa_system_sgpr_workgroup_id_z 0
		.amdhsa_system_sgpr_workgroup_info 0
		.amdhsa_system_vgpr_workitem_id 0
		.amdhsa_next_free_vgpr 1
		.amdhsa_next_free_sgpr 0
		.amdhsa_accum_offset 4
		.amdhsa_reserve_vcc 0
		.amdhsa_float_round_mode_32 0
		.amdhsa_float_round_mode_16_64 0
		.amdhsa_float_denorm_mode_32 3
		.amdhsa_float_denorm_mode_16_64 3
		.amdhsa_dx10_clamp 1
		.amdhsa_ieee_mode 1
		.amdhsa_fp16_overflow 0
		.amdhsa_tg_split 0
		.amdhsa_exception_fp_ieee_invalid_op 0
		.amdhsa_exception_fp_denorm_src 0
		.amdhsa_exception_fp_ieee_div_zero 0
		.amdhsa_exception_fp_ieee_overflow 0
		.amdhsa_exception_fp_ieee_underflow 0
		.amdhsa_exception_fp_ieee_inexact 0
		.amdhsa_exception_int_div_zero 0
	.end_amdhsa_kernel
	.section	.text._ZN7rocprim17ROCPRIM_400000_NS6detail17trampoline_kernelINS0_14default_configENS1_25partition_config_selectorILNS1_17partition_subalgoE0EjNS0_10empty_typeEbEEZZNS1_14partition_implILS5_0ELb0ES3_jN6thrust23THRUST_200600_302600_NS6detail15normal_iteratorINSA_10device_ptrIjEEEEPS6_SG_NS0_5tupleIJNSA_16discard_iteratorINSA_11use_defaultEEESF_EEENSH_IJSG_SG_EEES6_PlJ7is_evenIjEEEE10hipError_tPvRmT3_T4_T5_T6_T7_T9_mT8_P12ihipStream_tbDpT10_ENKUlT_T0_E_clISt17integral_constantIbLb0EES19_EEDaS14_S15_EUlS14_E_NS1_11comp_targetILNS1_3genE8ELNS1_11target_archE1030ELNS1_3gpuE2ELNS1_3repE0EEENS1_30default_config_static_selectorELNS0_4arch9wavefront6targetE1EEEvT1_,"axG",@progbits,_ZN7rocprim17ROCPRIM_400000_NS6detail17trampoline_kernelINS0_14default_configENS1_25partition_config_selectorILNS1_17partition_subalgoE0EjNS0_10empty_typeEbEEZZNS1_14partition_implILS5_0ELb0ES3_jN6thrust23THRUST_200600_302600_NS6detail15normal_iteratorINSA_10device_ptrIjEEEEPS6_SG_NS0_5tupleIJNSA_16discard_iteratorINSA_11use_defaultEEESF_EEENSH_IJSG_SG_EEES6_PlJ7is_evenIjEEEE10hipError_tPvRmT3_T4_T5_T6_T7_T9_mT8_P12ihipStream_tbDpT10_ENKUlT_T0_E_clISt17integral_constantIbLb0EES19_EEDaS14_S15_EUlS14_E_NS1_11comp_targetILNS1_3genE8ELNS1_11target_archE1030ELNS1_3gpuE2ELNS1_3repE0EEENS1_30default_config_static_selectorELNS0_4arch9wavefront6targetE1EEEvT1_,comdat
.Lfunc_end2466:
	.size	_ZN7rocprim17ROCPRIM_400000_NS6detail17trampoline_kernelINS0_14default_configENS1_25partition_config_selectorILNS1_17partition_subalgoE0EjNS0_10empty_typeEbEEZZNS1_14partition_implILS5_0ELb0ES3_jN6thrust23THRUST_200600_302600_NS6detail15normal_iteratorINSA_10device_ptrIjEEEEPS6_SG_NS0_5tupleIJNSA_16discard_iteratorINSA_11use_defaultEEESF_EEENSH_IJSG_SG_EEES6_PlJ7is_evenIjEEEE10hipError_tPvRmT3_T4_T5_T6_T7_T9_mT8_P12ihipStream_tbDpT10_ENKUlT_T0_E_clISt17integral_constantIbLb0EES19_EEDaS14_S15_EUlS14_E_NS1_11comp_targetILNS1_3genE8ELNS1_11target_archE1030ELNS1_3gpuE2ELNS1_3repE0EEENS1_30default_config_static_selectorELNS0_4arch9wavefront6targetE1EEEvT1_, .Lfunc_end2466-_ZN7rocprim17ROCPRIM_400000_NS6detail17trampoline_kernelINS0_14default_configENS1_25partition_config_selectorILNS1_17partition_subalgoE0EjNS0_10empty_typeEbEEZZNS1_14partition_implILS5_0ELb0ES3_jN6thrust23THRUST_200600_302600_NS6detail15normal_iteratorINSA_10device_ptrIjEEEEPS6_SG_NS0_5tupleIJNSA_16discard_iteratorINSA_11use_defaultEEESF_EEENSH_IJSG_SG_EEES6_PlJ7is_evenIjEEEE10hipError_tPvRmT3_T4_T5_T6_T7_T9_mT8_P12ihipStream_tbDpT10_ENKUlT_T0_E_clISt17integral_constantIbLb0EES19_EEDaS14_S15_EUlS14_E_NS1_11comp_targetILNS1_3genE8ELNS1_11target_archE1030ELNS1_3gpuE2ELNS1_3repE0EEENS1_30default_config_static_selectorELNS0_4arch9wavefront6targetE1EEEvT1_
                                        ; -- End function
	.section	.AMDGPU.csdata,"",@progbits
; Kernel info:
; codeLenInByte = 0
; NumSgprs: 6
; NumVgprs: 0
; NumAgprs: 0
; TotalNumVgprs: 0
; ScratchSize: 0
; MemoryBound: 0
; FloatMode: 240
; IeeeMode: 1
; LDSByteSize: 0 bytes/workgroup (compile time only)
; SGPRBlocks: 0
; VGPRBlocks: 0
; NumSGPRsForWavesPerEU: 6
; NumVGPRsForWavesPerEU: 1
; AccumOffset: 4
; Occupancy: 8
; WaveLimiterHint : 0
; COMPUTE_PGM_RSRC2:SCRATCH_EN: 0
; COMPUTE_PGM_RSRC2:USER_SGPR: 2
; COMPUTE_PGM_RSRC2:TRAP_HANDLER: 0
; COMPUTE_PGM_RSRC2:TGID_X_EN: 1
; COMPUTE_PGM_RSRC2:TGID_Y_EN: 0
; COMPUTE_PGM_RSRC2:TGID_Z_EN: 0
; COMPUTE_PGM_RSRC2:TIDIG_COMP_CNT: 0
; COMPUTE_PGM_RSRC3_GFX90A:ACCUM_OFFSET: 0
; COMPUTE_PGM_RSRC3_GFX90A:TG_SPLIT: 0
	.section	.text._ZN7rocprim17ROCPRIM_400000_NS6detail17trampoline_kernelINS0_14default_configENS1_25partition_config_selectorILNS1_17partition_subalgoE0EjNS0_10empty_typeEbEEZZNS1_14partition_implILS5_0ELb0ES3_jN6thrust23THRUST_200600_302600_NS6detail15normal_iteratorINSA_10device_ptrIjEEEEPS6_SG_NS0_5tupleIJNSA_16discard_iteratorINSA_11use_defaultEEESF_EEENSH_IJSG_SG_EEES6_PlJ7is_evenIjEEEE10hipError_tPvRmT3_T4_T5_T6_T7_T9_mT8_P12ihipStream_tbDpT10_ENKUlT_T0_E_clISt17integral_constantIbLb1EES19_EEDaS14_S15_EUlS14_E_NS1_11comp_targetILNS1_3genE0ELNS1_11target_archE4294967295ELNS1_3gpuE0ELNS1_3repE0EEENS1_30default_config_static_selectorELNS0_4arch9wavefront6targetE1EEEvT1_,"axG",@progbits,_ZN7rocprim17ROCPRIM_400000_NS6detail17trampoline_kernelINS0_14default_configENS1_25partition_config_selectorILNS1_17partition_subalgoE0EjNS0_10empty_typeEbEEZZNS1_14partition_implILS5_0ELb0ES3_jN6thrust23THRUST_200600_302600_NS6detail15normal_iteratorINSA_10device_ptrIjEEEEPS6_SG_NS0_5tupleIJNSA_16discard_iteratorINSA_11use_defaultEEESF_EEENSH_IJSG_SG_EEES6_PlJ7is_evenIjEEEE10hipError_tPvRmT3_T4_T5_T6_T7_T9_mT8_P12ihipStream_tbDpT10_ENKUlT_T0_E_clISt17integral_constantIbLb1EES19_EEDaS14_S15_EUlS14_E_NS1_11comp_targetILNS1_3genE0ELNS1_11target_archE4294967295ELNS1_3gpuE0ELNS1_3repE0EEENS1_30default_config_static_selectorELNS0_4arch9wavefront6targetE1EEEvT1_,comdat
	.protected	_ZN7rocprim17ROCPRIM_400000_NS6detail17trampoline_kernelINS0_14default_configENS1_25partition_config_selectorILNS1_17partition_subalgoE0EjNS0_10empty_typeEbEEZZNS1_14partition_implILS5_0ELb0ES3_jN6thrust23THRUST_200600_302600_NS6detail15normal_iteratorINSA_10device_ptrIjEEEEPS6_SG_NS0_5tupleIJNSA_16discard_iteratorINSA_11use_defaultEEESF_EEENSH_IJSG_SG_EEES6_PlJ7is_evenIjEEEE10hipError_tPvRmT3_T4_T5_T6_T7_T9_mT8_P12ihipStream_tbDpT10_ENKUlT_T0_E_clISt17integral_constantIbLb1EES19_EEDaS14_S15_EUlS14_E_NS1_11comp_targetILNS1_3genE0ELNS1_11target_archE4294967295ELNS1_3gpuE0ELNS1_3repE0EEENS1_30default_config_static_selectorELNS0_4arch9wavefront6targetE1EEEvT1_ ; -- Begin function _ZN7rocprim17ROCPRIM_400000_NS6detail17trampoline_kernelINS0_14default_configENS1_25partition_config_selectorILNS1_17partition_subalgoE0EjNS0_10empty_typeEbEEZZNS1_14partition_implILS5_0ELb0ES3_jN6thrust23THRUST_200600_302600_NS6detail15normal_iteratorINSA_10device_ptrIjEEEEPS6_SG_NS0_5tupleIJNSA_16discard_iteratorINSA_11use_defaultEEESF_EEENSH_IJSG_SG_EEES6_PlJ7is_evenIjEEEE10hipError_tPvRmT3_T4_T5_T6_T7_T9_mT8_P12ihipStream_tbDpT10_ENKUlT_T0_E_clISt17integral_constantIbLb1EES19_EEDaS14_S15_EUlS14_E_NS1_11comp_targetILNS1_3genE0ELNS1_11target_archE4294967295ELNS1_3gpuE0ELNS1_3repE0EEENS1_30default_config_static_selectorELNS0_4arch9wavefront6targetE1EEEvT1_
	.globl	_ZN7rocprim17ROCPRIM_400000_NS6detail17trampoline_kernelINS0_14default_configENS1_25partition_config_selectorILNS1_17partition_subalgoE0EjNS0_10empty_typeEbEEZZNS1_14partition_implILS5_0ELb0ES3_jN6thrust23THRUST_200600_302600_NS6detail15normal_iteratorINSA_10device_ptrIjEEEEPS6_SG_NS0_5tupleIJNSA_16discard_iteratorINSA_11use_defaultEEESF_EEENSH_IJSG_SG_EEES6_PlJ7is_evenIjEEEE10hipError_tPvRmT3_T4_T5_T6_T7_T9_mT8_P12ihipStream_tbDpT10_ENKUlT_T0_E_clISt17integral_constantIbLb1EES19_EEDaS14_S15_EUlS14_E_NS1_11comp_targetILNS1_3genE0ELNS1_11target_archE4294967295ELNS1_3gpuE0ELNS1_3repE0EEENS1_30default_config_static_selectorELNS0_4arch9wavefront6targetE1EEEvT1_
	.p2align	8
	.type	_ZN7rocprim17ROCPRIM_400000_NS6detail17trampoline_kernelINS0_14default_configENS1_25partition_config_selectorILNS1_17partition_subalgoE0EjNS0_10empty_typeEbEEZZNS1_14partition_implILS5_0ELb0ES3_jN6thrust23THRUST_200600_302600_NS6detail15normal_iteratorINSA_10device_ptrIjEEEEPS6_SG_NS0_5tupleIJNSA_16discard_iteratorINSA_11use_defaultEEESF_EEENSH_IJSG_SG_EEES6_PlJ7is_evenIjEEEE10hipError_tPvRmT3_T4_T5_T6_T7_T9_mT8_P12ihipStream_tbDpT10_ENKUlT_T0_E_clISt17integral_constantIbLb1EES19_EEDaS14_S15_EUlS14_E_NS1_11comp_targetILNS1_3genE0ELNS1_11target_archE4294967295ELNS1_3gpuE0ELNS1_3repE0EEENS1_30default_config_static_selectorELNS0_4arch9wavefront6targetE1EEEvT1_,@function
_ZN7rocprim17ROCPRIM_400000_NS6detail17trampoline_kernelINS0_14default_configENS1_25partition_config_selectorILNS1_17partition_subalgoE0EjNS0_10empty_typeEbEEZZNS1_14partition_implILS5_0ELb0ES3_jN6thrust23THRUST_200600_302600_NS6detail15normal_iteratorINSA_10device_ptrIjEEEEPS6_SG_NS0_5tupleIJNSA_16discard_iteratorINSA_11use_defaultEEESF_EEENSH_IJSG_SG_EEES6_PlJ7is_evenIjEEEE10hipError_tPvRmT3_T4_T5_T6_T7_T9_mT8_P12ihipStream_tbDpT10_ENKUlT_T0_E_clISt17integral_constantIbLb1EES19_EEDaS14_S15_EUlS14_E_NS1_11comp_targetILNS1_3genE0ELNS1_11target_archE4294967295ELNS1_3gpuE0ELNS1_3repE0EEENS1_30default_config_static_selectorELNS0_4arch9wavefront6targetE1EEEvT1_: ; @_ZN7rocprim17ROCPRIM_400000_NS6detail17trampoline_kernelINS0_14default_configENS1_25partition_config_selectorILNS1_17partition_subalgoE0EjNS0_10empty_typeEbEEZZNS1_14partition_implILS5_0ELb0ES3_jN6thrust23THRUST_200600_302600_NS6detail15normal_iteratorINSA_10device_ptrIjEEEEPS6_SG_NS0_5tupleIJNSA_16discard_iteratorINSA_11use_defaultEEESF_EEENSH_IJSG_SG_EEES6_PlJ7is_evenIjEEEE10hipError_tPvRmT3_T4_T5_T6_T7_T9_mT8_P12ihipStream_tbDpT10_ENKUlT_T0_E_clISt17integral_constantIbLb1EES19_EEDaS14_S15_EUlS14_E_NS1_11comp_targetILNS1_3genE0ELNS1_11target_archE4294967295ELNS1_3gpuE0ELNS1_3repE0EEENS1_30default_config_static_selectorELNS0_4arch9wavefront6targetE1EEEvT1_
; %bb.0:
	.section	.rodata,"a",@progbits
	.p2align	6, 0x0
	.amdhsa_kernel _ZN7rocprim17ROCPRIM_400000_NS6detail17trampoline_kernelINS0_14default_configENS1_25partition_config_selectorILNS1_17partition_subalgoE0EjNS0_10empty_typeEbEEZZNS1_14partition_implILS5_0ELb0ES3_jN6thrust23THRUST_200600_302600_NS6detail15normal_iteratorINSA_10device_ptrIjEEEEPS6_SG_NS0_5tupleIJNSA_16discard_iteratorINSA_11use_defaultEEESF_EEENSH_IJSG_SG_EEES6_PlJ7is_evenIjEEEE10hipError_tPvRmT3_T4_T5_T6_T7_T9_mT8_P12ihipStream_tbDpT10_ENKUlT_T0_E_clISt17integral_constantIbLb1EES19_EEDaS14_S15_EUlS14_E_NS1_11comp_targetILNS1_3genE0ELNS1_11target_archE4294967295ELNS1_3gpuE0ELNS1_3repE0EEENS1_30default_config_static_selectorELNS0_4arch9wavefront6targetE1EEEvT1_
		.amdhsa_group_segment_fixed_size 0
		.amdhsa_private_segment_fixed_size 0
		.amdhsa_kernarg_size 144
		.amdhsa_user_sgpr_count 2
		.amdhsa_user_sgpr_dispatch_ptr 0
		.amdhsa_user_sgpr_queue_ptr 0
		.amdhsa_user_sgpr_kernarg_segment_ptr 1
		.amdhsa_user_sgpr_dispatch_id 0
		.amdhsa_user_sgpr_kernarg_preload_length 0
		.amdhsa_user_sgpr_kernarg_preload_offset 0
		.amdhsa_user_sgpr_private_segment_size 0
		.amdhsa_uses_dynamic_stack 0
		.amdhsa_enable_private_segment 0
		.amdhsa_system_sgpr_workgroup_id_x 1
		.amdhsa_system_sgpr_workgroup_id_y 0
		.amdhsa_system_sgpr_workgroup_id_z 0
		.amdhsa_system_sgpr_workgroup_info 0
		.amdhsa_system_vgpr_workitem_id 0
		.amdhsa_next_free_vgpr 1
		.amdhsa_next_free_sgpr 0
		.amdhsa_accum_offset 4
		.amdhsa_reserve_vcc 0
		.amdhsa_float_round_mode_32 0
		.amdhsa_float_round_mode_16_64 0
		.amdhsa_float_denorm_mode_32 3
		.amdhsa_float_denorm_mode_16_64 3
		.amdhsa_dx10_clamp 1
		.amdhsa_ieee_mode 1
		.amdhsa_fp16_overflow 0
		.amdhsa_tg_split 0
		.amdhsa_exception_fp_ieee_invalid_op 0
		.amdhsa_exception_fp_denorm_src 0
		.amdhsa_exception_fp_ieee_div_zero 0
		.amdhsa_exception_fp_ieee_overflow 0
		.amdhsa_exception_fp_ieee_underflow 0
		.amdhsa_exception_fp_ieee_inexact 0
		.amdhsa_exception_int_div_zero 0
	.end_amdhsa_kernel
	.section	.text._ZN7rocprim17ROCPRIM_400000_NS6detail17trampoline_kernelINS0_14default_configENS1_25partition_config_selectorILNS1_17partition_subalgoE0EjNS0_10empty_typeEbEEZZNS1_14partition_implILS5_0ELb0ES3_jN6thrust23THRUST_200600_302600_NS6detail15normal_iteratorINSA_10device_ptrIjEEEEPS6_SG_NS0_5tupleIJNSA_16discard_iteratorINSA_11use_defaultEEESF_EEENSH_IJSG_SG_EEES6_PlJ7is_evenIjEEEE10hipError_tPvRmT3_T4_T5_T6_T7_T9_mT8_P12ihipStream_tbDpT10_ENKUlT_T0_E_clISt17integral_constantIbLb1EES19_EEDaS14_S15_EUlS14_E_NS1_11comp_targetILNS1_3genE0ELNS1_11target_archE4294967295ELNS1_3gpuE0ELNS1_3repE0EEENS1_30default_config_static_selectorELNS0_4arch9wavefront6targetE1EEEvT1_,"axG",@progbits,_ZN7rocprim17ROCPRIM_400000_NS6detail17trampoline_kernelINS0_14default_configENS1_25partition_config_selectorILNS1_17partition_subalgoE0EjNS0_10empty_typeEbEEZZNS1_14partition_implILS5_0ELb0ES3_jN6thrust23THRUST_200600_302600_NS6detail15normal_iteratorINSA_10device_ptrIjEEEEPS6_SG_NS0_5tupleIJNSA_16discard_iteratorINSA_11use_defaultEEESF_EEENSH_IJSG_SG_EEES6_PlJ7is_evenIjEEEE10hipError_tPvRmT3_T4_T5_T6_T7_T9_mT8_P12ihipStream_tbDpT10_ENKUlT_T0_E_clISt17integral_constantIbLb1EES19_EEDaS14_S15_EUlS14_E_NS1_11comp_targetILNS1_3genE0ELNS1_11target_archE4294967295ELNS1_3gpuE0ELNS1_3repE0EEENS1_30default_config_static_selectorELNS0_4arch9wavefront6targetE1EEEvT1_,comdat
.Lfunc_end2467:
	.size	_ZN7rocprim17ROCPRIM_400000_NS6detail17trampoline_kernelINS0_14default_configENS1_25partition_config_selectorILNS1_17partition_subalgoE0EjNS0_10empty_typeEbEEZZNS1_14partition_implILS5_0ELb0ES3_jN6thrust23THRUST_200600_302600_NS6detail15normal_iteratorINSA_10device_ptrIjEEEEPS6_SG_NS0_5tupleIJNSA_16discard_iteratorINSA_11use_defaultEEESF_EEENSH_IJSG_SG_EEES6_PlJ7is_evenIjEEEE10hipError_tPvRmT3_T4_T5_T6_T7_T9_mT8_P12ihipStream_tbDpT10_ENKUlT_T0_E_clISt17integral_constantIbLb1EES19_EEDaS14_S15_EUlS14_E_NS1_11comp_targetILNS1_3genE0ELNS1_11target_archE4294967295ELNS1_3gpuE0ELNS1_3repE0EEENS1_30default_config_static_selectorELNS0_4arch9wavefront6targetE1EEEvT1_, .Lfunc_end2467-_ZN7rocprim17ROCPRIM_400000_NS6detail17trampoline_kernelINS0_14default_configENS1_25partition_config_selectorILNS1_17partition_subalgoE0EjNS0_10empty_typeEbEEZZNS1_14partition_implILS5_0ELb0ES3_jN6thrust23THRUST_200600_302600_NS6detail15normal_iteratorINSA_10device_ptrIjEEEEPS6_SG_NS0_5tupleIJNSA_16discard_iteratorINSA_11use_defaultEEESF_EEENSH_IJSG_SG_EEES6_PlJ7is_evenIjEEEE10hipError_tPvRmT3_T4_T5_T6_T7_T9_mT8_P12ihipStream_tbDpT10_ENKUlT_T0_E_clISt17integral_constantIbLb1EES19_EEDaS14_S15_EUlS14_E_NS1_11comp_targetILNS1_3genE0ELNS1_11target_archE4294967295ELNS1_3gpuE0ELNS1_3repE0EEENS1_30default_config_static_selectorELNS0_4arch9wavefront6targetE1EEEvT1_
                                        ; -- End function
	.section	.AMDGPU.csdata,"",@progbits
; Kernel info:
; codeLenInByte = 0
; NumSgprs: 6
; NumVgprs: 0
; NumAgprs: 0
; TotalNumVgprs: 0
; ScratchSize: 0
; MemoryBound: 0
; FloatMode: 240
; IeeeMode: 1
; LDSByteSize: 0 bytes/workgroup (compile time only)
; SGPRBlocks: 0
; VGPRBlocks: 0
; NumSGPRsForWavesPerEU: 6
; NumVGPRsForWavesPerEU: 1
; AccumOffset: 4
; Occupancy: 8
; WaveLimiterHint : 0
; COMPUTE_PGM_RSRC2:SCRATCH_EN: 0
; COMPUTE_PGM_RSRC2:USER_SGPR: 2
; COMPUTE_PGM_RSRC2:TRAP_HANDLER: 0
; COMPUTE_PGM_RSRC2:TGID_X_EN: 1
; COMPUTE_PGM_RSRC2:TGID_Y_EN: 0
; COMPUTE_PGM_RSRC2:TGID_Z_EN: 0
; COMPUTE_PGM_RSRC2:TIDIG_COMP_CNT: 0
; COMPUTE_PGM_RSRC3_GFX90A:ACCUM_OFFSET: 0
; COMPUTE_PGM_RSRC3_GFX90A:TG_SPLIT: 0
	.section	.text._ZN7rocprim17ROCPRIM_400000_NS6detail17trampoline_kernelINS0_14default_configENS1_25partition_config_selectorILNS1_17partition_subalgoE0EjNS0_10empty_typeEbEEZZNS1_14partition_implILS5_0ELb0ES3_jN6thrust23THRUST_200600_302600_NS6detail15normal_iteratorINSA_10device_ptrIjEEEEPS6_SG_NS0_5tupleIJNSA_16discard_iteratorINSA_11use_defaultEEESF_EEENSH_IJSG_SG_EEES6_PlJ7is_evenIjEEEE10hipError_tPvRmT3_T4_T5_T6_T7_T9_mT8_P12ihipStream_tbDpT10_ENKUlT_T0_E_clISt17integral_constantIbLb1EES19_EEDaS14_S15_EUlS14_E_NS1_11comp_targetILNS1_3genE5ELNS1_11target_archE942ELNS1_3gpuE9ELNS1_3repE0EEENS1_30default_config_static_selectorELNS0_4arch9wavefront6targetE1EEEvT1_,"axG",@progbits,_ZN7rocprim17ROCPRIM_400000_NS6detail17trampoline_kernelINS0_14default_configENS1_25partition_config_selectorILNS1_17partition_subalgoE0EjNS0_10empty_typeEbEEZZNS1_14partition_implILS5_0ELb0ES3_jN6thrust23THRUST_200600_302600_NS6detail15normal_iteratorINSA_10device_ptrIjEEEEPS6_SG_NS0_5tupleIJNSA_16discard_iteratorINSA_11use_defaultEEESF_EEENSH_IJSG_SG_EEES6_PlJ7is_evenIjEEEE10hipError_tPvRmT3_T4_T5_T6_T7_T9_mT8_P12ihipStream_tbDpT10_ENKUlT_T0_E_clISt17integral_constantIbLb1EES19_EEDaS14_S15_EUlS14_E_NS1_11comp_targetILNS1_3genE5ELNS1_11target_archE942ELNS1_3gpuE9ELNS1_3repE0EEENS1_30default_config_static_selectorELNS0_4arch9wavefront6targetE1EEEvT1_,comdat
	.protected	_ZN7rocprim17ROCPRIM_400000_NS6detail17trampoline_kernelINS0_14default_configENS1_25partition_config_selectorILNS1_17partition_subalgoE0EjNS0_10empty_typeEbEEZZNS1_14partition_implILS5_0ELb0ES3_jN6thrust23THRUST_200600_302600_NS6detail15normal_iteratorINSA_10device_ptrIjEEEEPS6_SG_NS0_5tupleIJNSA_16discard_iteratorINSA_11use_defaultEEESF_EEENSH_IJSG_SG_EEES6_PlJ7is_evenIjEEEE10hipError_tPvRmT3_T4_T5_T6_T7_T9_mT8_P12ihipStream_tbDpT10_ENKUlT_T0_E_clISt17integral_constantIbLb1EES19_EEDaS14_S15_EUlS14_E_NS1_11comp_targetILNS1_3genE5ELNS1_11target_archE942ELNS1_3gpuE9ELNS1_3repE0EEENS1_30default_config_static_selectorELNS0_4arch9wavefront6targetE1EEEvT1_ ; -- Begin function _ZN7rocprim17ROCPRIM_400000_NS6detail17trampoline_kernelINS0_14default_configENS1_25partition_config_selectorILNS1_17partition_subalgoE0EjNS0_10empty_typeEbEEZZNS1_14partition_implILS5_0ELb0ES3_jN6thrust23THRUST_200600_302600_NS6detail15normal_iteratorINSA_10device_ptrIjEEEEPS6_SG_NS0_5tupleIJNSA_16discard_iteratorINSA_11use_defaultEEESF_EEENSH_IJSG_SG_EEES6_PlJ7is_evenIjEEEE10hipError_tPvRmT3_T4_T5_T6_T7_T9_mT8_P12ihipStream_tbDpT10_ENKUlT_T0_E_clISt17integral_constantIbLb1EES19_EEDaS14_S15_EUlS14_E_NS1_11comp_targetILNS1_3genE5ELNS1_11target_archE942ELNS1_3gpuE9ELNS1_3repE0EEENS1_30default_config_static_selectorELNS0_4arch9wavefront6targetE1EEEvT1_
	.globl	_ZN7rocprim17ROCPRIM_400000_NS6detail17trampoline_kernelINS0_14default_configENS1_25partition_config_selectorILNS1_17partition_subalgoE0EjNS0_10empty_typeEbEEZZNS1_14partition_implILS5_0ELb0ES3_jN6thrust23THRUST_200600_302600_NS6detail15normal_iteratorINSA_10device_ptrIjEEEEPS6_SG_NS0_5tupleIJNSA_16discard_iteratorINSA_11use_defaultEEESF_EEENSH_IJSG_SG_EEES6_PlJ7is_evenIjEEEE10hipError_tPvRmT3_T4_T5_T6_T7_T9_mT8_P12ihipStream_tbDpT10_ENKUlT_T0_E_clISt17integral_constantIbLb1EES19_EEDaS14_S15_EUlS14_E_NS1_11comp_targetILNS1_3genE5ELNS1_11target_archE942ELNS1_3gpuE9ELNS1_3repE0EEENS1_30default_config_static_selectorELNS0_4arch9wavefront6targetE1EEEvT1_
	.p2align	8
	.type	_ZN7rocprim17ROCPRIM_400000_NS6detail17trampoline_kernelINS0_14default_configENS1_25partition_config_selectorILNS1_17partition_subalgoE0EjNS0_10empty_typeEbEEZZNS1_14partition_implILS5_0ELb0ES3_jN6thrust23THRUST_200600_302600_NS6detail15normal_iteratorINSA_10device_ptrIjEEEEPS6_SG_NS0_5tupleIJNSA_16discard_iteratorINSA_11use_defaultEEESF_EEENSH_IJSG_SG_EEES6_PlJ7is_evenIjEEEE10hipError_tPvRmT3_T4_T5_T6_T7_T9_mT8_P12ihipStream_tbDpT10_ENKUlT_T0_E_clISt17integral_constantIbLb1EES19_EEDaS14_S15_EUlS14_E_NS1_11comp_targetILNS1_3genE5ELNS1_11target_archE942ELNS1_3gpuE9ELNS1_3repE0EEENS1_30default_config_static_selectorELNS0_4arch9wavefront6targetE1EEEvT1_,@function
_ZN7rocprim17ROCPRIM_400000_NS6detail17trampoline_kernelINS0_14default_configENS1_25partition_config_selectorILNS1_17partition_subalgoE0EjNS0_10empty_typeEbEEZZNS1_14partition_implILS5_0ELb0ES3_jN6thrust23THRUST_200600_302600_NS6detail15normal_iteratorINSA_10device_ptrIjEEEEPS6_SG_NS0_5tupleIJNSA_16discard_iteratorINSA_11use_defaultEEESF_EEENSH_IJSG_SG_EEES6_PlJ7is_evenIjEEEE10hipError_tPvRmT3_T4_T5_T6_T7_T9_mT8_P12ihipStream_tbDpT10_ENKUlT_T0_E_clISt17integral_constantIbLb1EES19_EEDaS14_S15_EUlS14_E_NS1_11comp_targetILNS1_3genE5ELNS1_11target_archE942ELNS1_3gpuE9ELNS1_3repE0EEENS1_30default_config_static_selectorELNS0_4arch9wavefront6targetE1EEEvT1_: ; @_ZN7rocprim17ROCPRIM_400000_NS6detail17trampoline_kernelINS0_14default_configENS1_25partition_config_selectorILNS1_17partition_subalgoE0EjNS0_10empty_typeEbEEZZNS1_14partition_implILS5_0ELb0ES3_jN6thrust23THRUST_200600_302600_NS6detail15normal_iteratorINSA_10device_ptrIjEEEEPS6_SG_NS0_5tupleIJNSA_16discard_iteratorINSA_11use_defaultEEESF_EEENSH_IJSG_SG_EEES6_PlJ7is_evenIjEEEE10hipError_tPvRmT3_T4_T5_T6_T7_T9_mT8_P12ihipStream_tbDpT10_ENKUlT_T0_E_clISt17integral_constantIbLb1EES19_EEDaS14_S15_EUlS14_E_NS1_11comp_targetILNS1_3genE5ELNS1_11target_archE942ELNS1_3gpuE9ELNS1_3repE0EEENS1_30default_config_static_selectorELNS0_4arch9wavefront6targetE1EEEvT1_
; %bb.0:
	s_load_dwordx2 s[2:3], s[0:1], 0x60
	s_load_dwordx4 s[24:27], s[0:1], 0x50
	s_load_dwordx2 s[36:37], s[0:1], 0x70
	v_cmp_eq_u32_e64 s[20:21], 0, v0
	s_and_saveexec_b64 s[4:5], s[20:21]
	s_cbranch_execz .LBB2468_4
; %bb.1:
	s_mov_b64 s[8:9], exec
	v_mbcnt_lo_u32_b32 v1, s8, 0
	v_mbcnt_hi_u32_b32 v1, s9, v1
	v_cmp_eq_u32_e32 vcc, 0, v1
                                        ; implicit-def: $vgpr2
	s_and_saveexec_b64 s[6:7], vcc
	s_cbranch_execz .LBB2468_3
; %bb.2:
	s_load_dwordx2 s[10:11], s[0:1], 0x80
	s_bcnt1_i32_b64 s8, s[8:9]
	v_mov_b32_e32 v2, 0
	v_mov_b32_e32 v3, s8
	s_waitcnt lgkmcnt(0)
	global_atomic_add v2, v2, v3, s[10:11] sc0
.LBB2468_3:
	s_or_b64 exec, exec, s[6:7]
	s_waitcnt vmcnt(0)
	v_readfirstlane_b32 s6, v2
	v_mov_b32_e32 v2, 0
	s_nop 0
	v_add_u32_e32 v1, s6, v1
	ds_write_b32 v2, v1
.LBB2468_4:
	s_or_b64 exec, exec, s[4:5]
	v_mov_b32_e32 v19, 0
	s_load_dwordx4 s[28:31], s[0:1], 0x8
	s_load_dwordx2 s[34:35], s[0:1], 0x38
	s_load_dword s4, s[0:1], 0x78
	s_waitcnt lgkmcnt(0)
	s_barrier
	ds_read_b32 v1, v19
	s_waitcnt lgkmcnt(0)
	s_barrier
	global_load_dwordx2 v[20:21], v19, s[26:27]
	v_mov_b32_e32 v3, s3
	s_lshl_b64 s[0:1], s[30:31], 2
	s_movk_i32 s3, 0x1e00
	s_add_u32 s0, s28, s0
	v_mul_lo_u32 v18, v1, s3
	s_mul_i32 s3, s4, 0x1e00
	s_addc_u32 s1, s29, s1
	s_add_i32 s5, s4, -1
	s_add_i32 s4, s3, s30
	s_sub_i32 s33, s2, s4
	s_addk_i32 s33, 0x1e00
	v_mov_b32_e32 v2, s2
	s_add_u32 s2, s30, s3
	v_readfirstlane_b32 s38, v1
	s_addc_u32 s3, s31, 0
	s_cmp_eq_u32 s38, s5
	s_cselect_b64 s[22:23], -1, 0
	s_cmp_lg_u32 s38, s5
	v_cmp_lt_u64_e32 vcc, s[2:3], v[2:3]
	s_cselect_b64 s[2:3], -1, 0
	s_or_b64 s[4:5], vcc, s[2:3]
	v_lshlrev_b64 v[22:23], 2, v[18:19]
	v_lshl_add_u64 v[24:25], s[0:1], 0, v[22:23]
	s_mov_b64 s[0:1], -1
	s_and_b64 vcc, exec, s[4:5]
	v_lshlrev_b32_e32 v18, 2, v0
	s_cbranch_vccz .LBB2468_6
; %bb.5:
	v_lshl_add_u64 v[2:3], v[24:25], 0, v[18:19]
	v_add_co_u32_e32 v4, vcc, 0x1000, v2
	s_mov_b64 s[0:1], 0
	s_nop 0
	v_addc_co_u32_e32 v5, vcc, 0, v3, vcc
	v_add_co_u32_e32 v6, vcc, 0x2000, v2
	s_nop 1
	v_addc_co_u32_e32 v7, vcc, 0, v3, vcc
	v_add_co_u32_e32 v8, vcc, 0x3000, v2
	s_nop 1
	v_addc_co_u32_e32 v9, vcc, 0, v3, vcc
	flat_load_dword v1, v[2:3]
	flat_load_dword v10, v[2:3] offset:2048
	flat_load_dword v11, v[4:5]
	flat_load_dword v12, v[4:5] offset:2048
	;; [unrolled: 2-line block ×4, first 2 shown]
	v_add_co_u32_e32 v4, vcc, 0x4000, v2
	s_nop 1
	v_addc_co_u32_e32 v5, vcc, 0, v3, vcc
	v_add_co_u32_e32 v6, vcc, 0x5000, v2
	s_nop 1
	v_addc_co_u32_e32 v7, vcc, 0, v3, vcc
	;; [unrolled: 3-line block ×4, first 2 shown]
	flat_load_dword v17, v[4:5]
	flat_load_dword v19, v[4:5] offset:2048
	flat_load_dword v26, v[6:7]
	flat_load_dword v27, v[6:7] offset:2048
	;; [unrolled: 2-line block ×3, first 2 shown]
	flat_load_dword v30, v[2:3]
	s_waitcnt vmcnt(0) lgkmcnt(0)
	ds_write2st64_b32 v18, v1, v10 offset1:8
	ds_write2st64_b32 v18, v11, v12 offset0:16 offset1:24
	ds_write2st64_b32 v18, v13, v14 offset0:32 offset1:40
	ds_write2st64_b32 v18, v15, v16 offset0:48 offset1:56
	ds_write2st64_b32 v18, v17, v19 offset0:64 offset1:72
	ds_write2st64_b32 v18, v26, v27 offset0:80 offset1:88
	ds_write2st64_b32 v18, v28, v29 offset0:96 offset1:104
	ds_write_b32 v18, v30 offset:28672
	s_waitcnt lgkmcnt(0)
	s_barrier
.LBB2468_6:
	s_andn2_b64 vcc, exec, s[0:1]
	v_cmp_gt_u32_e64 s[0:1], s33, v0
	s_cbranch_vccnz .LBB2468_38
; %bb.7:
                                        ; implicit-def: $vgpr2_vgpr3_vgpr4_vgpr5_vgpr6_vgpr7_vgpr8_vgpr9_vgpr10_vgpr11_vgpr12_vgpr13_vgpr14_vgpr15_vgpr16_vgpr17
	s_and_saveexec_b64 s[2:3], s[0:1]
	s_cbranch_execz .LBB2468_9
; %bb.8:
	v_mov_b32_e32 v19, 0
	v_lshl_add_u64 v[2:3], v[24:25], 0, v[18:19]
	flat_load_dword v2, v[2:3]
.LBB2468_9:
	s_or_b64 exec, exec, s[2:3]
	v_or_b32_e32 v1, 0x200, v0
	v_cmp_gt_u32_e32 vcc, s33, v1
	s_and_saveexec_b64 s[0:1], vcc
	s_cbranch_execz .LBB2468_11
; %bb.10:
	v_mov_b32_e32 v19, 0
	v_lshl_add_u64 v[26:27], v[24:25], 0, v[18:19]
	flat_load_dword v3, v[26:27] offset:2048
.LBB2468_11:
	s_or_b64 exec, exec, s[0:1]
	v_or_b32_e32 v1, 0x400, v0
	v_cmp_gt_u32_e32 vcc, s33, v1
	s_and_saveexec_b64 s[0:1], vcc
	s_cbranch_execz .LBB2468_13
; %bb.12:
	v_lshlrev_b32_e32 v26, 2, v1
	v_mov_b32_e32 v27, 0
	v_lshl_add_u64 v[26:27], v[24:25], 0, v[26:27]
	flat_load_dword v4, v[26:27]
.LBB2468_13:
	s_or_b64 exec, exec, s[0:1]
	v_or_b32_e32 v1, 0x600, v0
	v_cmp_gt_u32_e32 vcc, s33, v1
	s_and_saveexec_b64 s[0:1], vcc
	s_cbranch_execz .LBB2468_15
; %bb.14:
	v_lshlrev_b32_e32 v26, 2, v1
	v_mov_b32_e32 v27, 0
	v_lshl_add_u64 v[26:27], v[24:25], 0, v[26:27]
	flat_load_dword v5, v[26:27]
.LBB2468_15:
	s_or_b64 exec, exec, s[0:1]
	v_or_b32_e32 v1, 0x800, v0
	v_cmp_gt_u32_e32 vcc, s33, v1
	s_and_saveexec_b64 s[0:1], vcc
	s_cbranch_execz .LBB2468_17
; %bb.16:
	v_lshlrev_b32_e32 v26, 2, v1
	v_mov_b32_e32 v27, 0
	v_lshl_add_u64 v[26:27], v[24:25], 0, v[26:27]
	flat_load_dword v6, v[26:27]
.LBB2468_17:
	s_or_b64 exec, exec, s[0:1]
	v_or_b32_e32 v1, 0xa00, v0
	v_cmp_gt_u32_e32 vcc, s33, v1
	s_and_saveexec_b64 s[0:1], vcc
	s_cbranch_execz .LBB2468_19
; %bb.18:
	v_lshlrev_b32_e32 v26, 2, v1
	v_mov_b32_e32 v27, 0
	v_lshl_add_u64 v[26:27], v[24:25], 0, v[26:27]
	flat_load_dword v7, v[26:27]
.LBB2468_19:
	s_or_b64 exec, exec, s[0:1]
	v_or_b32_e32 v1, 0xc00, v0
	v_cmp_gt_u32_e32 vcc, s33, v1
	s_and_saveexec_b64 s[0:1], vcc
	s_cbranch_execz .LBB2468_21
; %bb.20:
	v_lshlrev_b32_e32 v26, 2, v1
	v_mov_b32_e32 v27, 0
	v_lshl_add_u64 v[26:27], v[24:25], 0, v[26:27]
	flat_load_dword v8, v[26:27]
.LBB2468_21:
	s_or_b64 exec, exec, s[0:1]
	v_or_b32_e32 v1, 0xe00, v0
	v_cmp_gt_u32_e32 vcc, s33, v1
	s_and_saveexec_b64 s[0:1], vcc
	s_cbranch_execz .LBB2468_23
; %bb.22:
	v_lshlrev_b32_e32 v26, 2, v1
	v_mov_b32_e32 v27, 0
	v_lshl_add_u64 v[26:27], v[24:25], 0, v[26:27]
	flat_load_dword v9, v[26:27]
.LBB2468_23:
	s_or_b64 exec, exec, s[0:1]
	v_or_b32_e32 v1, 0x1000, v0
	v_cmp_gt_u32_e32 vcc, s33, v1
	s_and_saveexec_b64 s[0:1], vcc
	s_cbranch_execz .LBB2468_25
; %bb.24:
	v_lshlrev_b32_e32 v26, 2, v1
	v_mov_b32_e32 v27, 0
	v_lshl_add_u64 v[26:27], v[24:25], 0, v[26:27]
	flat_load_dword v10, v[26:27]
.LBB2468_25:
	s_or_b64 exec, exec, s[0:1]
	v_or_b32_e32 v1, 0x1200, v0
	v_cmp_gt_u32_e32 vcc, s33, v1
	s_and_saveexec_b64 s[0:1], vcc
	s_cbranch_execz .LBB2468_27
; %bb.26:
	v_lshlrev_b32_e32 v26, 2, v1
	v_mov_b32_e32 v27, 0
	v_lshl_add_u64 v[26:27], v[24:25], 0, v[26:27]
	flat_load_dword v11, v[26:27]
.LBB2468_27:
	s_or_b64 exec, exec, s[0:1]
	v_or_b32_e32 v1, 0x1400, v0
	v_cmp_gt_u32_e32 vcc, s33, v1
	s_and_saveexec_b64 s[0:1], vcc
	s_cbranch_execz .LBB2468_29
; %bb.28:
	v_lshlrev_b32_e32 v26, 2, v1
	v_mov_b32_e32 v27, 0
	v_lshl_add_u64 v[26:27], v[24:25], 0, v[26:27]
	flat_load_dword v12, v[26:27]
.LBB2468_29:
	s_or_b64 exec, exec, s[0:1]
	v_or_b32_e32 v1, 0x1600, v0
	v_cmp_gt_u32_e32 vcc, s33, v1
	s_and_saveexec_b64 s[0:1], vcc
	s_cbranch_execz .LBB2468_31
; %bb.30:
	v_lshlrev_b32_e32 v26, 2, v1
	v_mov_b32_e32 v27, 0
	v_lshl_add_u64 v[26:27], v[24:25], 0, v[26:27]
	flat_load_dword v13, v[26:27]
.LBB2468_31:
	s_or_b64 exec, exec, s[0:1]
	v_or_b32_e32 v1, 0x1800, v0
	v_cmp_gt_u32_e32 vcc, s33, v1
	s_and_saveexec_b64 s[0:1], vcc
	s_cbranch_execz .LBB2468_33
; %bb.32:
	v_lshlrev_b32_e32 v26, 2, v1
	v_mov_b32_e32 v27, 0
	v_lshl_add_u64 v[26:27], v[24:25], 0, v[26:27]
	flat_load_dword v14, v[26:27]
.LBB2468_33:
	s_or_b64 exec, exec, s[0:1]
	v_or_b32_e32 v1, 0x1a00, v0
	v_cmp_gt_u32_e32 vcc, s33, v1
	s_and_saveexec_b64 s[0:1], vcc
	s_cbranch_execz .LBB2468_35
; %bb.34:
	v_lshlrev_b32_e32 v26, 2, v1
	v_mov_b32_e32 v27, 0
	v_lshl_add_u64 v[26:27], v[24:25], 0, v[26:27]
	flat_load_dword v15, v[26:27]
.LBB2468_35:
	s_or_b64 exec, exec, s[0:1]
	v_or_b32_e32 v1, 0x1c00, v0
	v_cmp_gt_u32_e32 vcc, s33, v1
	s_and_saveexec_b64 s[0:1], vcc
	s_cbranch_execz .LBB2468_37
; %bb.36:
	v_lshlrev_b32_e32 v16, 2, v1
	v_mov_b32_e32 v17, 0
	v_lshl_add_u64 v[16:17], v[24:25], 0, v[16:17]
	flat_load_dword v16, v[16:17]
.LBB2468_37:
	s_or_b64 exec, exec, s[0:1]
	s_waitcnt vmcnt(0) lgkmcnt(0)
	ds_write2st64_b32 v18, v2, v3 offset1:8
	ds_write2st64_b32 v18, v4, v5 offset0:16 offset1:24
	ds_write2st64_b32 v18, v6, v7 offset0:32 offset1:40
	;; [unrolled: 1-line block ×6, first 2 shown]
	ds_write_b32 v18, v16 offset:28672
	s_waitcnt lgkmcnt(0)
	s_barrier
.LBB2468_38:
	v_mul_u32_u24_e32 v42, 15, v0
	v_lshlrev_b32_e32 v1, 2, v42
	ds_read2_b32 v[36:37], v1 offset1:1
	ds_read2_b32 v[34:35], v1 offset0:2 offset1:3
	ds_read2_b32 v[32:33], v1 offset0:4 offset1:5
	;; [unrolled: 1-line block ×6, first 2 shown]
	ds_read_b32 v1, v1 offset:56
	v_cndmask_b32_e64 v2, 0, 1, s[4:5]
	v_cmp_ne_u32_e64 s[2:3], 1, v2
	s_andn2_b64 vcc, exec, s[4:5]
	s_waitcnt lgkmcnt(7)
	v_xor_b32_e32 v16, -1, v36
	v_xor_b32_e32 v15, -1, v37
	s_waitcnt lgkmcnt(6)
	v_xor_b32_e32 v14, -1, v34
	v_xor_b32_e32 v13, -1, v35
	;; [unrolled: 3-line block ×7, first 2 shown]
	s_waitcnt lgkmcnt(0)
	v_xor_b32_e32 v2, -1, v1
	s_barrier
	s_cbranch_vccnz .LBB2468_40
; %bb.39:
	v_and_b32_e32 v55, 1, v16
	v_and_b32_e32 v54, 1, v15
	;; [unrolled: 1-line block ×15, first 2 shown]
	s_cbranch_execz .LBB2468_41
	s_branch .LBB2468_42
.LBB2468_40:
                                        ; implicit-def: $vgpr19
                                        ; implicit-def: $vgpr41
                                        ; implicit-def: $vgpr43
                                        ; implicit-def: $vgpr44
                                        ; implicit-def: $vgpr45
                                        ; implicit-def: $vgpr46
                                        ; implicit-def: $vgpr47
                                        ; implicit-def: $vgpr48
                                        ; implicit-def: $vgpr49
                                        ; implicit-def: $vgpr55
                                        ; implicit-def: $vgpr54
                                        ; implicit-def: $vgpr53
                                        ; implicit-def: $vgpr52
                                        ; implicit-def: $vgpr51
                                        ; implicit-def: $vgpr50
.LBB2468_41:
	v_add_u32_e32 v48, 1, v42
	v_cmp_gt_u32_e32 vcc, s33, v42
	v_add_u32_e32 v17, 2, v42
	v_add_u32_e32 v47, 3, v42
	v_cndmask_b32_e64 v49, 0, 1, vcc
	v_cmp_gt_u32_e32 vcc, s33, v48
	v_and_b32_e32 v55, v49, v16
	v_add_u32_e32 v19, 4, v42
	v_cndmask_b32_e64 v16, 0, 1, vcc
	v_cmp_gt_u32_e32 vcc, s33, v17
	v_and_b32_e32 v54, v16, v15
	;; [unrolled: 4-line block ×12, first 2 shown]
	s_nop 0
	v_cndmask_b32_e64 v5, 0, 1, vcc
	v_cmp_gt_u32_e32 vcc, s33, v57
	v_and_b32_e32 v43, v5, v4
	s_nop 0
	v_cndmask_b32_e64 v4, 0, 1, vcc
	v_cmp_gt_u32_e32 vcc, s33, v56
	v_and_b32_e32 v41, v4, v3
	s_nop 0
	v_cndmask_b32_e64 v3, 0, 1, vcc
	v_and_b32_e32 v19, v3, v2
.LBB2468_42:
	v_and_b32_e32 v59, 0xff, v52
	v_and_b32_e32 v60, 0xff, v51
	;; [unrolled: 1-line block ×5, first 2 shown]
	v_add3_u32 v3, v60, v61, v59
	v_and_b32_e32 v56, 0xff, v55
	v_and_b32_e32 v62, 0xff, v49
	v_add3_u32 v3, v3, v58, v57
	v_and_b32_e32 v63, 0xff, v48
	v_and_b32_e32 v64, 0xff, v47
	;; [unrolled: 3-line block ×5, first 2 shown]
	v_add3_u32 v3, v3, v67, v68
	v_add3_u32 v72, v3, v69, v2
	v_mbcnt_lo_u32_b32 v2, -1, 0
	v_mbcnt_hi_u32_b32 v70, -1, v2
	v_and_b32_e32 v2, 15, v70
	v_cmp_eq_u32_e64 s[16:17], 0, v2
	v_cmp_lt_u32_e64 s[14:15], 1, v2
	v_cmp_lt_u32_e64 s[12:13], 3, v2
	;; [unrolled: 1-line block ×3, first 2 shown]
	v_and_b32_e32 v2, 16, v70
	v_cmp_eq_u32_e64 s[8:9], 0, v2
	v_or_b32_e32 v2, 63, v0
	s_cmp_lg_u32 s38, 0
	v_cmp_lt_u32_e64 s[4:5], 31, v70
	v_lshrrev_b32_e32 v71, 6, v0
	v_cmp_eq_u32_e64 s[6:7], v2, v0
	s_cbranch_scc0 .LBB2468_73
; %bb.43:
	v_mov_b32_dpp v2, v72 row_shr:1 row_mask:0xf bank_mask:0xf
	v_cndmask_b32_e64 v2, v2, 0, s[16:17]
	v_add_u32_e32 v2, v2, v72
	s_nop 1
	v_mov_b32_dpp v3, v2 row_shr:2 row_mask:0xf bank_mask:0xf
	v_cndmask_b32_e64 v3, 0, v3, s[14:15]
	v_add_u32_e32 v2, v2, v3
	s_nop 1
	;; [unrolled: 4-line block ×4, first 2 shown]
	v_mov_b32_dpp v3, v2 row_bcast:15 row_mask:0xf bank_mask:0xf
	v_cndmask_b32_e64 v3, v3, 0, s[8:9]
	v_add_u32_e32 v2, v2, v3
	s_nop 1
	v_mov_b32_dpp v3, v2 row_bcast:31 row_mask:0xf bank_mask:0xf
	v_cndmask_b32_e64 v3, 0, v3, s[4:5]
	v_add_u32_e32 v2, v2, v3
	s_and_saveexec_b64 s[0:1], s[6:7]
	s_cbranch_execz .LBB2468_45
; %bb.44:
	v_lshlrev_b32_e32 v3, 2, v71
	ds_write_b32 v3, v2
.LBB2468_45:
	s_or_b64 exec, exec, s[0:1]
	v_cmp_gt_u32_e32 vcc, 8, v0
	s_waitcnt lgkmcnt(0)
	s_barrier
	s_and_saveexec_b64 s[0:1], vcc
	s_cbranch_execz .LBB2468_47
; %bb.46:
	ds_read_b32 v3, v18
	v_and_b32_e32 v4, 7, v70
	v_cmp_ne_u32_e32 vcc, 0, v4
	s_waitcnt lgkmcnt(0)
	v_mov_b32_dpp v5, v3 row_shr:1 row_mask:0xf bank_mask:0xf
	v_cndmask_b32_e32 v5, 0, v5, vcc
	v_add_u32_e32 v3, v5, v3
	v_cmp_lt_u32_e32 vcc, 1, v4
	s_nop 0
	v_mov_b32_dpp v5, v3 row_shr:2 row_mask:0xf bank_mask:0xf
	v_cndmask_b32_e32 v5, 0, v5, vcc
	v_add_u32_e32 v3, v3, v5
	v_cmp_lt_u32_e32 vcc, 3, v4
	s_nop 0
	v_mov_b32_dpp v5, v3 row_shr:4 row_mask:0xf bank_mask:0xf
	v_cndmask_b32_e32 v4, 0, v5, vcc
	v_add_u32_e32 v3, v3, v4
	ds_write_b32 v18, v3
.LBB2468_47:
	s_or_b64 exec, exec, s[0:1]
	v_cmp_gt_u32_e32 vcc, 64, v0
	v_cmp_lt_u32_e64 s[0:1], 63, v0
	s_waitcnt lgkmcnt(0)
	s_barrier
	s_waitcnt lgkmcnt(0)
                                        ; implicit-def: $vgpr12
	s_and_saveexec_b64 s[18:19], s[0:1]
	s_cbranch_execz .LBB2468_49
; %bb.48:
	v_lshl_add_u32 v3, v71, 2, -4
	ds_read_b32 v12, v3
	s_waitcnt lgkmcnt(0)
	v_add_u32_e32 v2, v12, v2
.LBB2468_49:
	s_or_b64 exec, exec, s[18:19]
	v_add_u32_e32 v3, -1, v70
	v_and_b32_e32 v4, 64, v70
	v_cmp_lt_i32_e64 s[0:1], v3, v4
	v_cmp_eq_u32_e64 s[18:19], 0, v70
	s_nop 0
	v_cndmask_b32_e64 v3, v3, v70, s[0:1]
	v_lshlrev_b32_e32 v3, 2, v3
	ds_bpermute_b32 v13, v3, v2
	s_and_saveexec_b64 s[0:1], vcc
	s_cbranch_execz .LBB2468_72
; %bb.50:
	v_mov_b32_e32 v11, 0
	ds_read_b32 v2, v11 offset:28
	s_and_saveexec_b64 s[26:27], s[18:19]
	s_cbranch_execz .LBB2468_52
; %bb.51:
	s_add_i32 s28, s38, 64
	s_mov_b32 s29, 0
	s_lshl_b64 s[28:29], s[28:29], 3
	s_add_u32 s28, s36, s28
	v_mov_b32_e32 v3, 1
	s_addc_u32 s29, s37, s29
	s_waitcnt lgkmcnt(0)
	global_store_dwordx2 v11, v[2:3], s[28:29] sc1
.LBB2468_52:
	s_or_b64 exec, exec, s[26:27]
	v_xad_u32 v4, v70, -1, s38
	v_add_u32_e32 v10, 64, v4
	v_lshl_add_u64 v[6:7], v[10:11], 3, s[36:37]
	global_load_dwordx2 v[8:9], v[6:7], off sc1
	s_waitcnt vmcnt(0)
	v_cmp_eq_u16_sdwa s[28:29], v9, v11 src0_sel:BYTE_0 src1_sel:DWORD
	s_and_saveexec_b64 s[26:27], s[28:29]
	s_cbranch_execz .LBB2468_58
; %bb.53:
	s_mov_b32 s39, 1
	s_mov_b64 s[28:29], 0
	v_mov_b32_e32 v3, 0
.LBB2468_54:                            ; =>This Loop Header: Depth=1
                                        ;     Child Loop BB2468_55 Depth 2
	s_max_u32 s40, s39, 1
.LBB2468_55:                            ;   Parent Loop BB2468_54 Depth=1
                                        ; =>  This Inner Loop Header: Depth=2
	s_add_i32 s40, s40, -1
	s_cmp_eq_u32 s40, 0
	s_sleep 1
	s_cbranch_scc0 .LBB2468_55
; %bb.56:                               ;   in Loop: Header=BB2468_54 Depth=1
	global_load_dwordx2 v[8:9], v[6:7], off sc1
	s_cmp_lt_u32 s39, 32
	s_cselect_b64 s[40:41], -1, 0
	s_cmp_lg_u64 s[40:41], 0
	s_addc_u32 s39, s39, 0
	s_waitcnt vmcnt(0)
	v_cmp_ne_u16_sdwa s[40:41], v9, v3 src0_sel:BYTE_0 src1_sel:DWORD
	s_or_b64 s[28:29], s[40:41], s[28:29]
	s_andn2_b64 exec, exec, s[28:29]
	s_cbranch_execnz .LBB2468_54
; %bb.57:
	s_or_b64 exec, exec, s[28:29]
.LBB2468_58:
	s_or_b64 exec, exec, s[26:27]
	v_and_b32_e32 v15, 63, v70
	v_mov_b32_e32 v14, 2
	v_cmp_ne_u32_e32 vcc, 63, v15
	v_cmp_eq_u16_sdwa s[26:27], v9, v14 src0_sel:BYTE_0 src1_sel:DWORD
	v_lshlrev_b64 v[6:7], v70, -1
	v_addc_co_u32_e32 v10, vcc, 0, v70, vcc
	v_and_b32_e32 v3, s27, v7
	v_lshlrev_b32_e32 v16, 2, v10
	v_or_b32_e32 v3, 0x80000000, v3
	ds_bpermute_b32 v10, v16, v8
	v_and_b32_e32 v5, s26, v6
	v_ffbl_b32_e32 v3, v3
	v_add_u32_e32 v3, 32, v3
	v_ffbl_b32_e32 v5, v5
	v_min_u32_e32 v3, v5, v3
	v_cmp_lt_u32_e32 vcc, v15, v3
	v_add_u32_e32 v38, 2, v15
	v_add_u32_e32 v40, 4, v15
	s_waitcnt lgkmcnt(0)
	v_cndmask_b32_e32 v5, 0, v10, vcc
	v_cmp_gt_u32_e32 vcc, 62, v15
	v_add_u32_e32 v5, v5, v8
	v_add_u32_e32 v74, 8, v15
	v_cndmask_b32_e64 v8, 0, 1, vcc
	v_lshlrev_b32_e32 v8, 1, v8
	v_add_lshl_u32 v17, v8, v70, 2
	ds_bpermute_b32 v8, v17, v5
	v_cmp_le_u32_e32 vcc, v38, v3
	v_add_u32_e32 v76, 16, v15
	v_add_u32_e32 v78, 32, v15
	s_waitcnt lgkmcnt(0)
	v_cndmask_b32_e32 v8, 0, v8, vcc
	v_cmp_gt_u32_e32 vcc, 60, v15
	v_add_u32_e32 v5, v5, v8
	s_nop 0
	v_cndmask_b32_e64 v8, 0, 1, vcc
	v_lshlrev_b32_e32 v8, 2, v8
	v_add_lshl_u32 v39, v8, v70, 2
	ds_bpermute_b32 v8, v39, v5
	v_cmp_le_u32_e32 vcc, v40, v3
	s_waitcnt lgkmcnt(0)
	s_nop 0
	v_cndmask_b32_e32 v8, 0, v8, vcc
	v_cmp_gt_u32_e32 vcc, 56, v15
	v_add_u32_e32 v5, v5, v8
	s_nop 0
	v_cndmask_b32_e64 v8, 0, 1, vcc
	v_lshlrev_b32_e32 v8, 3, v8
	v_add_lshl_u32 v73, v8, v70, 2
	ds_bpermute_b32 v8, v73, v5
	v_cmp_le_u32_e32 vcc, v74, v3
	s_waitcnt lgkmcnt(0)
	s_nop 0
	;; [unrolled: 11-line block ×4, first 2 shown]
	v_cndmask_b32_e32 v3, 0, v8, vcc
	v_add_u32_e32 v8, v5, v3
	v_mov_b32_e32 v5, 0
	s_branch .LBB2468_60
.LBB2468_59:                            ;   in Loop: Header=BB2468_60 Depth=1
	s_or_b64 exec, exec, s[26:27]
	v_cmp_eq_u16_sdwa s[26:27], v9, v14 src0_sel:BYTE_0 src1_sel:DWORD
	ds_bpermute_b32 v79, v16, v8
	v_subrev_u32_e32 v4, 64, v4
	v_and_b32_e32 v10, s27, v7
	v_or_b32_e32 v10, 0x80000000, v10
	v_and_b32_e32 v11, s26, v6
	v_ffbl_b32_e32 v10, v10
	v_add_u32_e32 v10, 32, v10
	v_ffbl_b32_e32 v11, v11
	v_min_u32_e32 v10, v11, v10
	v_cmp_lt_u32_e32 vcc, v15, v10
	s_waitcnt lgkmcnt(0)
	s_nop 0
	v_cndmask_b32_e32 v11, 0, v79, vcc
	v_add_u32_e32 v8, v11, v8
	ds_bpermute_b32 v11, v17, v8
	v_cmp_le_u32_e32 vcc, v38, v10
	s_waitcnt lgkmcnt(0)
	s_nop 0
	v_cndmask_b32_e32 v11, 0, v11, vcc
	v_add_u32_e32 v8, v8, v11
	ds_bpermute_b32 v11, v39, v8
	v_cmp_le_u32_e32 vcc, v40, v10
	;; [unrolled: 6-line block ×5, first 2 shown]
	s_waitcnt lgkmcnt(0)
	s_nop 0
	v_cndmask_b32_e32 v10, 0, v11, vcc
	v_add3_u32 v8, v10, v3, v8
.LBB2468_60:                            ; =>This Loop Header: Depth=1
                                        ;     Child Loop BB2468_63 Depth 2
                                        ;       Child Loop BB2468_64 Depth 3
	v_cmp_ne_u16_sdwa s[26:27], v9, v14 src0_sel:BYTE_0 src1_sel:DWORD
	s_nop 1
	v_cndmask_b32_e64 v3, 0, 1, s[26:27]
	;;#ASMSTART
	;;#ASMEND
	s_nop 0
	v_cmp_ne_u32_e32 vcc, 0, v3
	s_cmp_lg_u64 vcc, exec
	v_mov_b32_e32 v3, v8
	s_cbranch_scc1 .LBB2468_67
; %bb.61:                               ;   in Loop: Header=BB2468_60 Depth=1
	v_lshl_add_u64 v[10:11], v[4:5], 3, s[36:37]
	global_load_dwordx2 v[8:9], v[10:11], off sc1
	s_waitcnt vmcnt(0)
	v_cmp_eq_u16_sdwa s[28:29], v9, v5 src0_sel:BYTE_0 src1_sel:DWORD
	s_and_saveexec_b64 s[26:27], s[28:29]
	s_cbranch_execz .LBB2468_59
; %bb.62:                               ;   in Loop: Header=BB2468_60 Depth=1
	s_mov_b32 s39, 1
	s_mov_b64 s[28:29], 0
.LBB2468_63:                            ;   Parent Loop BB2468_60 Depth=1
                                        ; =>  This Loop Header: Depth=2
                                        ;       Child Loop BB2468_64 Depth 3
	s_max_u32 s40, s39, 1
.LBB2468_64:                            ;   Parent Loop BB2468_60 Depth=1
                                        ;     Parent Loop BB2468_63 Depth=2
                                        ; =>    This Inner Loop Header: Depth=3
	s_add_i32 s40, s40, -1
	s_cmp_eq_u32 s40, 0
	s_sleep 1
	s_cbranch_scc0 .LBB2468_64
; %bb.65:                               ;   in Loop: Header=BB2468_63 Depth=2
	global_load_dwordx2 v[8:9], v[10:11], off sc1
	s_cmp_lt_u32 s39, 32
	s_cselect_b64 s[40:41], -1, 0
	s_cmp_lg_u64 s[40:41], 0
	s_addc_u32 s39, s39, 0
	s_waitcnt vmcnt(0)
	v_cmp_ne_u16_sdwa s[40:41], v9, v5 src0_sel:BYTE_0 src1_sel:DWORD
	s_or_b64 s[28:29], s[40:41], s[28:29]
	s_andn2_b64 exec, exec, s[28:29]
	s_cbranch_execnz .LBB2468_63
; %bb.66:                               ;   in Loop: Header=BB2468_60 Depth=1
	s_or_b64 exec, exec, s[28:29]
	s_branch .LBB2468_59
.LBB2468_67:                            ;   in Loop: Header=BB2468_60 Depth=1
                                        ; implicit-def: $vgpr8
                                        ; implicit-def: $vgpr9
	s_cbranch_execz .LBB2468_60
; %bb.68:
	s_and_saveexec_b64 s[26:27], s[18:19]
	s_cbranch_execz .LBB2468_70
; %bb.69:
	s_add_i32 s28, s38, 64
	s_mov_b32 s29, 0
	s_lshl_b64 s[28:29], s[28:29], 3
	s_add_u32 s28, s36, s28
	v_add_u32_e32 v4, v3, v2
	v_mov_b32_e32 v5, 2
	s_addc_u32 s29, s37, s29
	v_mov_b32_e32 v6, 0
	global_store_dwordx2 v6, v[4:5], s[28:29] sc1
	ds_write_b64 v6, v[2:3] offset:30720
.LBB2468_70:
	s_or_b64 exec, exec, s[26:27]
	s_and_b64 exec, exec, s[20:21]
	s_cbranch_execz .LBB2468_72
; %bb.71:
	v_mov_b32_e32 v2, 0
	ds_write_b32 v2, v3 offset:28
.LBB2468_72:
	s_or_b64 exec, exec, s[0:1]
	v_mov_b32_e32 v14, 0
	s_waitcnt lgkmcnt(0)
	s_barrier
	ds_read_b32 v2, v14 offset:28
	v_cndmask_b32_e64 v3, v13, v12, s[18:19]
	v_cndmask_b32_e64 v3, v3, 0, s[20:21]
	s_waitcnt lgkmcnt(0)
	s_barrier
	v_add_u32_e32 v2, v2, v3
	v_add_u32_e32 v3, v2, v56
	;; [unrolled: 1-line block ×10, first 2 shown]
	ds_read_b64 v[38:39], v14 offset:30720
	v_add_u32_e32 v12, v11, v65
	v_add_u32_e32 v13, v12, v66
	;; [unrolled: 1-line block ×5, first 2 shown]
	s_waitcnt lgkmcnt(0)
	v_mov_b32_e32 v40, v39
	s_branch .LBB2468_83
.LBB2468_73:
                                        ; implicit-def: $vgpr40
                                        ; implicit-def: $vgpr38
                                        ; implicit-def: $vgpr2_vgpr3_vgpr4_vgpr5_vgpr6_vgpr7_vgpr8_vgpr9_vgpr10_vgpr11_vgpr12_vgpr13_vgpr14_vgpr15_vgpr16_vgpr17
	s_cbranch_execz .LBB2468_83
; %bb.74:
	s_nop 0
	v_mov_b32_dpp v2, v72 row_shr:1 row_mask:0xf bank_mask:0xf
	v_cndmask_b32_e64 v2, v2, 0, s[16:17]
	v_add_u32_e32 v2, v2, v72
	s_nop 1
	v_mov_b32_dpp v3, v2 row_shr:2 row_mask:0xf bank_mask:0xf
	v_cndmask_b32_e64 v3, 0, v3, s[14:15]
	v_add_u32_e32 v2, v2, v3
	;; [unrolled: 4-line block ×4, first 2 shown]
	s_nop 1
	v_mov_b32_dpp v3, v2 row_bcast:15 row_mask:0xf bank_mask:0xf
	v_cndmask_b32_e64 v3, v3, 0, s[8:9]
	v_add_u32_e32 v2, v2, v3
	s_nop 1
	v_mov_b32_dpp v3, v2 row_bcast:31 row_mask:0xf bank_mask:0xf
	v_cndmask_b32_e64 v3, 0, v3, s[4:5]
	v_add_u32_e32 v2, v2, v3
	s_and_saveexec_b64 s[0:1], s[6:7]
	s_cbranch_execz .LBB2468_76
; %bb.75:
	v_lshlrev_b32_e32 v3, 2, v71
	ds_write_b32 v3, v2
.LBB2468_76:
	s_or_b64 exec, exec, s[0:1]
	v_cmp_gt_u32_e32 vcc, 8, v0
	s_waitcnt lgkmcnt(0)
	s_barrier
	s_and_saveexec_b64 s[0:1], vcc
	s_cbranch_execz .LBB2468_78
; %bb.77:
	ds_read_b32 v3, v18
	v_and_b32_e32 v4, 7, v70
	v_cmp_ne_u32_e32 vcc, 0, v4
	s_waitcnt lgkmcnt(0)
	v_mov_b32_dpp v5, v3 row_shr:1 row_mask:0xf bank_mask:0xf
	v_cndmask_b32_e32 v5, 0, v5, vcc
	v_add_u32_e32 v3, v5, v3
	v_cmp_lt_u32_e32 vcc, 1, v4
	s_nop 0
	v_mov_b32_dpp v5, v3 row_shr:2 row_mask:0xf bank_mask:0xf
	v_cndmask_b32_e32 v5, 0, v5, vcc
	v_add_u32_e32 v3, v3, v5
	v_cmp_lt_u32_e32 vcc, 3, v4
	s_nop 0
	v_mov_b32_dpp v5, v3 row_shr:4 row_mask:0xf bank_mask:0xf
	v_cndmask_b32_e32 v4, 0, v5, vcc
	v_add_u32_e32 v3, v3, v4
	ds_write_b32 v18, v3
.LBB2468_78:
	s_or_b64 exec, exec, s[0:1]
	v_cmp_lt_u32_e32 vcc, 63, v0
	v_mov_b32_e32 v4, 0
	v_mov_b32_e32 v3, 0
	s_waitcnt lgkmcnt(0)
	s_barrier
	s_and_saveexec_b64 s[0:1], vcc
	s_cbranch_execz .LBB2468_80
; %bb.79:
	v_lshl_add_u32 v3, v71, 2, -4
	ds_read_b32 v3, v3
.LBB2468_80:
	s_or_b64 exec, exec, s[0:1]
	v_add_u32_e32 v5, -1, v70
	v_and_b32_e32 v6, 64, v70
	v_cmp_lt_i32_e32 vcc, v5, v6
	s_waitcnt lgkmcnt(0)
	v_add_u32_e32 v2, v3, v2
	ds_read_b32 v38, v4 offset:28
	v_cndmask_b32_e32 v5, v5, v70, vcc
	v_lshlrev_b32_e32 v5, 2, v5
	ds_bpermute_b32 v2, v5, v2
	s_and_saveexec_b64 s[0:1], s[20:21]
	s_cbranch_execz .LBB2468_82
; %bb.81:
	v_mov_b32_e32 v4, 0
	v_mov_b32_e32 v39, 2
	s_waitcnt lgkmcnt(1)
	global_store_dwordx2 v4, v[38:39], s[36:37] offset:512 sc1
.LBB2468_82:
	s_or_b64 exec, exec, s[0:1]
	v_cmp_eq_u32_e32 vcc, 0, v70
	v_mov_b32_e32 v40, 0
	s_waitcnt lgkmcnt(0)
	v_cndmask_b32_e32 v2, v2, v3, vcc
	v_cndmask_b32_e64 v2, v2, 0, s[20:21]
	v_add_u32_e32 v3, v2, v56
	v_add_u32_e32 v4, v3, v57
	;; [unrolled: 1-line block ×14, first 2 shown]
	s_barrier
.LBB2468_83:
	v_add_u32_e32 v17, v38, v42
	v_sub_u32_e32 v2, v2, v40
	v_and_b32_e32 v42, 1, v55
	v_sub_u32_e32 v39, v17, v2
	v_cmp_eq_u32_e32 vcc, 1, v42
	v_or_b32_e32 v42, 0x200, v0
	v_cmp_le_u32_e64 s[0:1], v38, v0
	v_cndmask_b32_e32 v2, v39, v2, vcc
	v_lshlrev_b32_e32 v2, 2, v2
	ds_write_b32 v2, v36
	v_sub_u32_e32 v2, v3, v40
	v_sub_u32_e32 v3, v17, v2
	v_and_b32_e32 v36, 1, v54
	v_add_u32_e32 v3, 1, v3
	v_cmp_eq_u32_e32 vcc, 1, v36
	v_or_b32_e32 v36, 0x600, v0
	s_nop 0
	v_cndmask_b32_e32 v2, v3, v2, vcc
	v_lshlrev_b32_e32 v2, 2, v2
	ds_write_b32 v2, v37
	v_sub_u32_e32 v2, v4, v40
	v_sub_u32_e32 v3, v17, v2
	v_and_b32_e32 v4, 1, v53
	v_add_u32_e32 v3, 2, v3
	v_cmp_eq_u32_e32 vcc, 1, v4
	v_and_b32_e32 v4, 1, v52
	v_or_b32_e32 v37, 0x400, v0
	v_cndmask_b32_e32 v2, v3, v2, vcc
	v_lshlrev_b32_e32 v2, 2, v2
	ds_write_b32 v2, v34
	v_sub_u32_e32 v2, v5, v40
	v_sub_u32_e32 v3, v17, v2
	v_add_u32_e32 v3, 3, v3
	v_cmp_eq_u32_e32 vcc, 1, v4
	v_and_b32_e32 v4, 1, v51
	v_mov_b32_e32 v5, s31
	v_cndmask_b32_e32 v2, v3, v2, vcc
	v_lshlrev_b32_e32 v2, 2, v2
	ds_write_b32 v2, v35
	v_sub_u32_e32 v2, v6, v40
	v_sub_u32_e32 v3, v17, v2
	v_add_u32_e32 v3, 4, v3
	v_cmp_eq_u32_e32 vcc, 1, v4
	v_and_b32_e32 v4, 1, v50
	v_or_b32_e32 v35, 0x800, v0
	v_cndmask_b32_e32 v2, v3, v2, vcc
	v_lshlrev_b32_e32 v2, 2, v2
	ds_write_b32 v2, v32
	v_sub_u32_e32 v2, v7, v40
	v_sub_u32_e32 v3, v17, v2
	v_add_u32_e32 v3, 5, v3
	v_cmp_eq_u32_e32 vcc, 1, v4
	v_and_b32_e32 v4, 1, v49
	v_or_b32_e32 v34, 0xa00, v0
	;; [unrolled: 9-line block ×8, first 2 shown]
	v_cndmask_b32_e32 v2, v3, v2, vcc
	v_lshlrev_b32_e32 v2, 2, v2
	ds_write_b32 v2, v27
	v_sub_u32_e32 v2, v14, v40
	v_sub_u32_e32 v3, v17, v2
	v_add_u32_e32 v3, 12, v3
	v_cmp_eq_u32_e32 vcc, 1, v4
	v_and_b32_e32 v4, 1, v41
	v_mov_b32_e32 v41, 0
	v_cndmask_b32_e32 v2, v3, v2, vcc
	v_lshlrev_b32_e32 v2, 2, v2
	ds_write_b32 v2, v24
	v_sub_u32_e32 v2, v15, v40
	v_sub_u32_e32 v3, v17, v2
	v_add_u32_e32 v3, 13, v3
	v_cmp_eq_u32_e32 vcc, 1, v4
	v_and_b32_e32 v4, 1, v19
	v_mov_b32_e32 v39, v41
	v_cndmask_b32_e32 v2, v3, v2, vcc
	v_lshlrev_b32_e32 v2, 2, v2
	ds_write_b32 v2, v25
	v_sub_u32_e32 v2, v16, v40
	v_sub_u32_e32 v3, v17, v2
	v_add_u32_e32 v3, 14, v3
	v_cmp_eq_u32_e32 vcc, 1, v4
	v_or_b32_e32 v27, 0x1800, v0
	v_or_b32_e32 v26, 0x1a00, v0
	v_cndmask_b32_e32 v2, v3, v2, vcc
	v_lshlrev_b32_e32 v2, 2, v2
	ds_write_b32 v2, v1
	s_waitcnt vmcnt(0)
	v_lshl_add_u64 v[2:3], v[20:21], 0, v[38:39]
	v_lshl_add_u64 v[2:3], v[2:3], 0, v[40:41]
	s_waitcnt lgkmcnt(0)
	s_barrier
	ds_read2st64_b32 v[24:25], v18 offset1:8
	ds_read2st64_b32 v[16:17], v18 offset0:16 offset1:24
	ds_read2st64_b32 v[14:15], v18 offset0:32 offset1:40
	;; [unrolled: 1-line block ×6, first 2 shown]
	ds_read_b32 v1, v18 offset:28672
	v_sub_co_u32_e32 v4, vcc, s30, v2
	v_or_b32_e32 v19, 0x1c00, v0
	s_nop 0
	v_subb_co_u32_e32 v5, vcc, v5, v3, vcc
	v_lshlrev_b64 v[4:5], 2, v[4:5]
	v_lshl_add_u64 v[4:5], s[34:35], 0, v[4:5]
	v_lshl_add_u64 v[4:5], v[4:5], 0, v[22:23]
	s_and_b64 vcc, exec, s[2:3]
	s_cbranch_vccnz .LBB2468_100
; %bb.84:
	s_and_saveexec_b64 s[2:3], s[0:1]
	s_cbranch_execnz .LBB2468_135
; %bb.85:
	s_or_b64 exec, exec, s[2:3]
	v_cmp_ge_u32_e32 vcc, v42, v38
	s_and_saveexec_b64 s[0:1], vcc
	s_cbranch_execnz .LBB2468_136
.LBB2468_86:
	s_or_b64 exec, exec, s[0:1]
	v_cmp_ge_u32_e32 vcc, v37, v38
	s_and_saveexec_b64 s[0:1], vcc
	s_cbranch_execnz .LBB2468_137
.LBB2468_87:
	s_or_b64 exec, exec, s[0:1]
	v_cmp_ge_u32_e32 vcc, v36, v38
	s_and_saveexec_b64 s[0:1], vcc
	s_cbranch_execnz .LBB2468_138
.LBB2468_88:
	s_or_b64 exec, exec, s[0:1]
	v_cmp_ge_u32_e32 vcc, v35, v38
	s_and_saveexec_b64 s[0:1], vcc
	s_cbranch_execnz .LBB2468_139
.LBB2468_89:
	s_or_b64 exec, exec, s[0:1]
	v_cmp_ge_u32_e32 vcc, v34, v38
	s_and_saveexec_b64 s[0:1], vcc
	s_cbranch_execnz .LBB2468_140
.LBB2468_90:
	s_or_b64 exec, exec, s[0:1]
	v_cmp_ge_u32_e32 vcc, v33, v38
	s_and_saveexec_b64 s[0:1], vcc
	s_cbranch_execnz .LBB2468_141
.LBB2468_91:
	s_or_b64 exec, exec, s[0:1]
	v_cmp_ge_u32_e32 vcc, v32, v38
	s_and_saveexec_b64 s[0:1], vcc
	s_cbranch_execnz .LBB2468_142
.LBB2468_92:
	s_or_b64 exec, exec, s[0:1]
	v_cmp_ge_u32_e32 vcc, v31, v38
	s_and_saveexec_b64 s[0:1], vcc
	s_cbranch_execnz .LBB2468_143
.LBB2468_93:
	s_or_b64 exec, exec, s[0:1]
	v_cmp_ge_u32_e32 vcc, v30, v38
	s_and_saveexec_b64 s[0:1], vcc
	s_cbranch_execnz .LBB2468_144
.LBB2468_94:
	s_or_b64 exec, exec, s[0:1]
	v_cmp_ge_u32_e32 vcc, v29, v38
	s_and_saveexec_b64 s[0:1], vcc
	s_cbranch_execnz .LBB2468_145
.LBB2468_95:
	s_or_b64 exec, exec, s[0:1]
	v_cmp_ge_u32_e32 vcc, v28, v38
	s_and_saveexec_b64 s[0:1], vcc
	s_cbranch_execnz .LBB2468_146
.LBB2468_96:
	s_or_b64 exec, exec, s[0:1]
	v_cmp_ge_u32_e32 vcc, v27, v38
	s_and_saveexec_b64 s[0:1], vcc
	s_cbranch_execnz .LBB2468_147
.LBB2468_97:
	s_or_b64 exec, exec, s[0:1]
	v_cmp_ge_u32_e32 vcc, v26, v38
	s_and_saveexec_b64 s[0:1], vcc
	s_cbranch_execz .LBB2468_99
.LBB2468_98:
	v_lshlrev_b32_e32 v20, 2, v26
	v_readfirstlane_b32 s2, v4
	v_readfirstlane_b32 s3, v5
	s_waitcnt lgkmcnt(1)
	s_nop 3
	global_store_dword v20, v7, s[2:3]
.LBB2468_99:
	s_or_b64 exec, exec, s[0:1]
	v_cmp_ge_u32_e64 s[0:1], v19, v38
	s_branch .LBB2468_130
.LBB2468_100:
	s_mov_b64 s[0:1], 0
	s_cbranch_execz .LBB2468_130
; %bb.101:
	v_cmp_gt_u32_e32 vcc, s33, v0
	v_cmp_le_u32_e64 s[0:1], v38, v0
	s_and_b64 s[2:3], vcc, s[0:1]
	s_and_saveexec_b64 s[0:1], s[2:3]
	s_cbranch_execz .LBB2468_103
; %bb.102:
	v_readfirstlane_b32 s2, v4
	v_readfirstlane_b32 s3, v5
	s_waitcnt lgkmcnt(7)
	s_nop 3
	global_store_dword v18, v24, s[2:3]
.LBB2468_103:
	s_or_b64 exec, exec, s[0:1]
	v_cmp_gt_u32_e32 vcc, s33, v42
	v_cmp_ge_u32_e64 s[0:1], v42, v38
	s_and_b64 s[2:3], vcc, s[0:1]
	s_and_saveexec_b64 s[0:1], s[2:3]
	s_cbranch_execz .LBB2468_105
; %bb.104:
	v_readfirstlane_b32 s2, v4
	v_readfirstlane_b32 s3, v5
	s_waitcnt lgkmcnt(7)
	s_nop 3
	global_store_dword v18, v25, s[2:3] offset:2048
.LBB2468_105:
	s_or_b64 exec, exec, s[0:1]
	v_cmp_gt_u32_e32 vcc, s33, v37
	v_cmp_ge_u32_e64 s[0:1], v37, v38
	s_and_b64 s[2:3], vcc, s[0:1]
	s_and_saveexec_b64 s[0:1], s[2:3]
	s_cbranch_execz .LBB2468_107
; %bb.106:
	v_lshlrev_b32_e32 v0, 2, v37
	v_readfirstlane_b32 s2, v4
	v_readfirstlane_b32 s3, v5
	s_waitcnt lgkmcnt(6)
	s_nop 3
	global_store_dword v0, v16, s[2:3]
.LBB2468_107:
	s_or_b64 exec, exec, s[0:1]
	v_cmp_gt_u32_e32 vcc, s33, v36
	v_cmp_ge_u32_e64 s[0:1], v36, v38
	s_and_b64 s[2:3], vcc, s[0:1]
	s_and_saveexec_b64 s[0:1], s[2:3]
	s_cbranch_execz .LBB2468_109
; %bb.108:
	v_lshlrev_b32_e32 v0, 2, v36
	v_readfirstlane_b32 s2, v4
	v_readfirstlane_b32 s3, v5
	s_waitcnt lgkmcnt(6)
	s_nop 3
	global_store_dword v0, v17, s[2:3]
.LBB2468_109:
	;; [unrolled: 14-line block ×12, first 2 shown]
	s_or_b64 exec, exec, s[0:1]
	v_cmp_gt_u32_e32 vcc, s33, v19
	v_cmp_ge_u32_e64 s[0:1], v19, v38
	s_and_b64 s[0:1], vcc, s[0:1]
.LBB2468_130:
	s_and_saveexec_b64 s[2:3], s[0:1]
	s_cbranch_execnz .LBB2468_133
; %bb.131:
	s_or_b64 exec, exec, s[2:3]
	s_and_b64 s[0:1], s[20:21], s[22:23]
	s_and_saveexec_b64 s[2:3], s[0:1]
	s_cbranch_execnz .LBB2468_134
.LBB2468_132:
	s_endpgm
.LBB2468_133:
	v_lshlrev_b32_e32 v0, 2, v19
	v_readfirstlane_b32 s0, v4
	v_readfirstlane_b32 s1, v5
	s_waitcnt lgkmcnt(0)
	s_nop 3
	global_store_dword v0, v1, s[0:1]
	s_or_b64 exec, exec, s[2:3]
	s_and_b64 s[0:1], s[20:21], s[22:23]
	s_and_saveexec_b64 s[2:3], s[0:1]
	s_cbranch_execz .LBB2468_132
.LBB2468_134:
	v_mov_b32_e32 v0, 0
	global_store_dwordx2 v0, v[2:3], s[24:25]
	s_endpgm
.LBB2468_135:
	v_readfirstlane_b32 s0, v4
	v_readfirstlane_b32 s1, v5
	s_waitcnt lgkmcnt(7)
	s_nop 3
	global_store_dword v18, v24, s[0:1]
	s_or_b64 exec, exec, s[2:3]
	v_cmp_ge_u32_e32 vcc, v42, v38
	s_and_saveexec_b64 s[0:1], vcc
	s_cbranch_execz .LBB2468_86
.LBB2468_136:
	v_readfirstlane_b32 s2, v4
	v_readfirstlane_b32 s3, v5
	s_waitcnt lgkmcnt(7)
	s_nop 3
	global_store_dword v18, v25, s[2:3] offset:2048
	s_or_b64 exec, exec, s[0:1]
	v_cmp_ge_u32_e32 vcc, v37, v38
	s_and_saveexec_b64 s[0:1], vcc
	s_cbranch_execz .LBB2468_87
.LBB2468_137:
	v_lshlrev_b32_e32 v20, 2, v37
	v_readfirstlane_b32 s2, v4
	v_readfirstlane_b32 s3, v5
	s_waitcnt lgkmcnt(6)
	s_nop 3
	global_store_dword v20, v16, s[2:3]
	s_or_b64 exec, exec, s[0:1]
	v_cmp_ge_u32_e32 vcc, v36, v38
	s_and_saveexec_b64 s[0:1], vcc
	s_cbranch_execz .LBB2468_88
.LBB2468_138:
	v_lshlrev_b32_e32 v20, 2, v36
	v_readfirstlane_b32 s2, v4
	v_readfirstlane_b32 s3, v5
	s_waitcnt lgkmcnt(6)
	s_nop 3
	global_store_dword v20, v17, s[2:3]
	s_or_b64 exec, exec, s[0:1]
	v_cmp_ge_u32_e32 vcc, v35, v38
	s_and_saveexec_b64 s[0:1], vcc
	s_cbranch_execz .LBB2468_89
.LBB2468_139:
	v_lshlrev_b32_e32 v20, 2, v35
	v_readfirstlane_b32 s2, v4
	v_readfirstlane_b32 s3, v5
	s_waitcnt lgkmcnt(5)
	s_nop 3
	global_store_dword v20, v14, s[2:3]
	s_or_b64 exec, exec, s[0:1]
	v_cmp_ge_u32_e32 vcc, v34, v38
	s_and_saveexec_b64 s[0:1], vcc
	s_cbranch_execz .LBB2468_90
.LBB2468_140:
	v_lshlrev_b32_e32 v20, 2, v34
	v_readfirstlane_b32 s2, v4
	v_readfirstlane_b32 s3, v5
	s_waitcnt lgkmcnt(5)
	s_nop 3
	global_store_dword v20, v15, s[2:3]
	s_or_b64 exec, exec, s[0:1]
	v_cmp_ge_u32_e32 vcc, v33, v38
	s_and_saveexec_b64 s[0:1], vcc
	s_cbranch_execz .LBB2468_91
.LBB2468_141:
	v_lshlrev_b32_e32 v20, 2, v33
	v_readfirstlane_b32 s2, v4
	v_readfirstlane_b32 s3, v5
	s_waitcnt lgkmcnt(4)
	s_nop 3
	global_store_dword v20, v12, s[2:3]
	s_or_b64 exec, exec, s[0:1]
	v_cmp_ge_u32_e32 vcc, v32, v38
	s_and_saveexec_b64 s[0:1], vcc
	s_cbranch_execz .LBB2468_92
.LBB2468_142:
	v_lshlrev_b32_e32 v20, 2, v32
	v_readfirstlane_b32 s2, v4
	v_readfirstlane_b32 s3, v5
	s_waitcnt lgkmcnt(4)
	s_nop 3
	global_store_dword v20, v13, s[2:3]
	s_or_b64 exec, exec, s[0:1]
	v_cmp_ge_u32_e32 vcc, v31, v38
	s_and_saveexec_b64 s[0:1], vcc
	s_cbranch_execz .LBB2468_93
.LBB2468_143:
	v_lshlrev_b32_e32 v20, 2, v31
	v_readfirstlane_b32 s2, v4
	v_readfirstlane_b32 s3, v5
	s_waitcnt lgkmcnt(3)
	s_nop 3
	global_store_dword v20, v10, s[2:3]
	s_or_b64 exec, exec, s[0:1]
	v_cmp_ge_u32_e32 vcc, v30, v38
	s_and_saveexec_b64 s[0:1], vcc
	s_cbranch_execz .LBB2468_94
.LBB2468_144:
	v_lshlrev_b32_e32 v20, 2, v30
	v_readfirstlane_b32 s2, v4
	v_readfirstlane_b32 s3, v5
	s_waitcnt lgkmcnt(3)
	s_nop 3
	global_store_dword v20, v11, s[2:3]
	s_or_b64 exec, exec, s[0:1]
	v_cmp_ge_u32_e32 vcc, v29, v38
	s_and_saveexec_b64 s[0:1], vcc
	s_cbranch_execz .LBB2468_95
.LBB2468_145:
	v_lshlrev_b32_e32 v20, 2, v29
	v_readfirstlane_b32 s2, v4
	v_readfirstlane_b32 s3, v5
	s_waitcnt lgkmcnt(2)
	s_nop 3
	global_store_dword v20, v8, s[2:3]
	s_or_b64 exec, exec, s[0:1]
	v_cmp_ge_u32_e32 vcc, v28, v38
	s_and_saveexec_b64 s[0:1], vcc
	s_cbranch_execz .LBB2468_96
.LBB2468_146:
	v_lshlrev_b32_e32 v20, 2, v28
	v_readfirstlane_b32 s2, v4
	v_readfirstlane_b32 s3, v5
	s_waitcnt lgkmcnt(2)
	s_nop 3
	global_store_dword v20, v9, s[2:3]
	s_or_b64 exec, exec, s[0:1]
	v_cmp_ge_u32_e32 vcc, v27, v38
	s_and_saveexec_b64 s[0:1], vcc
	s_cbranch_execz .LBB2468_97
.LBB2468_147:
	v_lshlrev_b32_e32 v20, 2, v27
	v_readfirstlane_b32 s2, v4
	v_readfirstlane_b32 s3, v5
	s_waitcnt lgkmcnt(1)
	s_nop 3
	global_store_dword v20, v6, s[2:3]
	s_or_b64 exec, exec, s[0:1]
	v_cmp_ge_u32_e32 vcc, v26, v38
	s_and_saveexec_b64 s[0:1], vcc
	s_cbranch_execnz .LBB2468_98
	s_branch .LBB2468_99
	.section	.rodata,"a",@progbits
	.p2align	6, 0x0
	.amdhsa_kernel _ZN7rocprim17ROCPRIM_400000_NS6detail17trampoline_kernelINS0_14default_configENS1_25partition_config_selectorILNS1_17partition_subalgoE0EjNS0_10empty_typeEbEEZZNS1_14partition_implILS5_0ELb0ES3_jN6thrust23THRUST_200600_302600_NS6detail15normal_iteratorINSA_10device_ptrIjEEEEPS6_SG_NS0_5tupleIJNSA_16discard_iteratorINSA_11use_defaultEEESF_EEENSH_IJSG_SG_EEES6_PlJ7is_evenIjEEEE10hipError_tPvRmT3_T4_T5_T6_T7_T9_mT8_P12ihipStream_tbDpT10_ENKUlT_T0_E_clISt17integral_constantIbLb1EES19_EEDaS14_S15_EUlS14_E_NS1_11comp_targetILNS1_3genE5ELNS1_11target_archE942ELNS1_3gpuE9ELNS1_3repE0EEENS1_30default_config_static_selectorELNS0_4arch9wavefront6targetE1EEEvT1_
		.amdhsa_group_segment_fixed_size 30728
		.amdhsa_private_segment_fixed_size 0
		.amdhsa_kernarg_size 144
		.amdhsa_user_sgpr_count 2
		.amdhsa_user_sgpr_dispatch_ptr 0
		.amdhsa_user_sgpr_queue_ptr 0
		.amdhsa_user_sgpr_kernarg_segment_ptr 1
		.amdhsa_user_sgpr_dispatch_id 0
		.amdhsa_user_sgpr_kernarg_preload_length 0
		.amdhsa_user_sgpr_kernarg_preload_offset 0
		.amdhsa_user_sgpr_private_segment_size 0
		.amdhsa_uses_dynamic_stack 0
		.amdhsa_enable_private_segment 0
		.amdhsa_system_sgpr_workgroup_id_x 1
		.amdhsa_system_sgpr_workgroup_id_y 0
		.amdhsa_system_sgpr_workgroup_id_z 0
		.amdhsa_system_sgpr_workgroup_info 0
		.amdhsa_system_vgpr_workitem_id 0
		.amdhsa_next_free_vgpr 80
		.amdhsa_next_free_sgpr 42
		.amdhsa_accum_offset 80
		.amdhsa_reserve_vcc 1
		.amdhsa_float_round_mode_32 0
		.amdhsa_float_round_mode_16_64 0
		.amdhsa_float_denorm_mode_32 3
		.amdhsa_float_denorm_mode_16_64 3
		.amdhsa_dx10_clamp 1
		.amdhsa_ieee_mode 1
		.amdhsa_fp16_overflow 0
		.amdhsa_tg_split 0
		.amdhsa_exception_fp_ieee_invalid_op 0
		.amdhsa_exception_fp_denorm_src 0
		.amdhsa_exception_fp_ieee_div_zero 0
		.amdhsa_exception_fp_ieee_overflow 0
		.amdhsa_exception_fp_ieee_underflow 0
		.amdhsa_exception_fp_ieee_inexact 0
		.amdhsa_exception_int_div_zero 0
	.end_amdhsa_kernel
	.section	.text._ZN7rocprim17ROCPRIM_400000_NS6detail17trampoline_kernelINS0_14default_configENS1_25partition_config_selectorILNS1_17partition_subalgoE0EjNS0_10empty_typeEbEEZZNS1_14partition_implILS5_0ELb0ES3_jN6thrust23THRUST_200600_302600_NS6detail15normal_iteratorINSA_10device_ptrIjEEEEPS6_SG_NS0_5tupleIJNSA_16discard_iteratorINSA_11use_defaultEEESF_EEENSH_IJSG_SG_EEES6_PlJ7is_evenIjEEEE10hipError_tPvRmT3_T4_T5_T6_T7_T9_mT8_P12ihipStream_tbDpT10_ENKUlT_T0_E_clISt17integral_constantIbLb1EES19_EEDaS14_S15_EUlS14_E_NS1_11comp_targetILNS1_3genE5ELNS1_11target_archE942ELNS1_3gpuE9ELNS1_3repE0EEENS1_30default_config_static_selectorELNS0_4arch9wavefront6targetE1EEEvT1_,"axG",@progbits,_ZN7rocprim17ROCPRIM_400000_NS6detail17trampoline_kernelINS0_14default_configENS1_25partition_config_selectorILNS1_17partition_subalgoE0EjNS0_10empty_typeEbEEZZNS1_14partition_implILS5_0ELb0ES3_jN6thrust23THRUST_200600_302600_NS6detail15normal_iteratorINSA_10device_ptrIjEEEEPS6_SG_NS0_5tupleIJNSA_16discard_iteratorINSA_11use_defaultEEESF_EEENSH_IJSG_SG_EEES6_PlJ7is_evenIjEEEE10hipError_tPvRmT3_T4_T5_T6_T7_T9_mT8_P12ihipStream_tbDpT10_ENKUlT_T0_E_clISt17integral_constantIbLb1EES19_EEDaS14_S15_EUlS14_E_NS1_11comp_targetILNS1_3genE5ELNS1_11target_archE942ELNS1_3gpuE9ELNS1_3repE0EEENS1_30default_config_static_selectorELNS0_4arch9wavefront6targetE1EEEvT1_,comdat
.Lfunc_end2468:
	.size	_ZN7rocprim17ROCPRIM_400000_NS6detail17trampoline_kernelINS0_14default_configENS1_25partition_config_selectorILNS1_17partition_subalgoE0EjNS0_10empty_typeEbEEZZNS1_14partition_implILS5_0ELb0ES3_jN6thrust23THRUST_200600_302600_NS6detail15normal_iteratorINSA_10device_ptrIjEEEEPS6_SG_NS0_5tupleIJNSA_16discard_iteratorINSA_11use_defaultEEESF_EEENSH_IJSG_SG_EEES6_PlJ7is_evenIjEEEE10hipError_tPvRmT3_T4_T5_T6_T7_T9_mT8_P12ihipStream_tbDpT10_ENKUlT_T0_E_clISt17integral_constantIbLb1EES19_EEDaS14_S15_EUlS14_E_NS1_11comp_targetILNS1_3genE5ELNS1_11target_archE942ELNS1_3gpuE9ELNS1_3repE0EEENS1_30default_config_static_selectorELNS0_4arch9wavefront6targetE1EEEvT1_, .Lfunc_end2468-_ZN7rocprim17ROCPRIM_400000_NS6detail17trampoline_kernelINS0_14default_configENS1_25partition_config_selectorILNS1_17partition_subalgoE0EjNS0_10empty_typeEbEEZZNS1_14partition_implILS5_0ELb0ES3_jN6thrust23THRUST_200600_302600_NS6detail15normal_iteratorINSA_10device_ptrIjEEEEPS6_SG_NS0_5tupleIJNSA_16discard_iteratorINSA_11use_defaultEEESF_EEENSH_IJSG_SG_EEES6_PlJ7is_evenIjEEEE10hipError_tPvRmT3_T4_T5_T6_T7_T9_mT8_P12ihipStream_tbDpT10_ENKUlT_T0_E_clISt17integral_constantIbLb1EES19_EEDaS14_S15_EUlS14_E_NS1_11comp_targetILNS1_3genE5ELNS1_11target_archE942ELNS1_3gpuE9ELNS1_3repE0EEENS1_30default_config_static_selectorELNS0_4arch9wavefront6targetE1EEEvT1_
                                        ; -- End function
	.section	.AMDGPU.csdata,"",@progbits
; Kernel info:
; codeLenInByte = 6876
; NumSgprs: 48
; NumVgprs: 80
; NumAgprs: 0
; TotalNumVgprs: 80
; ScratchSize: 0
; MemoryBound: 0
; FloatMode: 240
; IeeeMode: 1
; LDSByteSize: 30728 bytes/workgroup (compile time only)
; SGPRBlocks: 5
; VGPRBlocks: 9
; NumSGPRsForWavesPerEU: 48
; NumVGPRsForWavesPerEU: 80
; AccumOffset: 80
; Occupancy: 4
; WaveLimiterHint : 1
; COMPUTE_PGM_RSRC2:SCRATCH_EN: 0
; COMPUTE_PGM_RSRC2:USER_SGPR: 2
; COMPUTE_PGM_RSRC2:TRAP_HANDLER: 0
; COMPUTE_PGM_RSRC2:TGID_X_EN: 1
; COMPUTE_PGM_RSRC2:TGID_Y_EN: 0
; COMPUTE_PGM_RSRC2:TGID_Z_EN: 0
; COMPUTE_PGM_RSRC2:TIDIG_COMP_CNT: 0
; COMPUTE_PGM_RSRC3_GFX90A:ACCUM_OFFSET: 19
; COMPUTE_PGM_RSRC3_GFX90A:TG_SPLIT: 0
	.section	.text._ZN7rocprim17ROCPRIM_400000_NS6detail17trampoline_kernelINS0_14default_configENS1_25partition_config_selectorILNS1_17partition_subalgoE0EjNS0_10empty_typeEbEEZZNS1_14partition_implILS5_0ELb0ES3_jN6thrust23THRUST_200600_302600_NS6detail15normal_iteratorINSA_10device_ptrIjEEEEPS6_SG_NS0_5tupleIJNSA_16discard_iteratorINSA_11use_defaultEEESF_EEENSH_IJSG_SG_EEES6_PlJ7is_evenIjEEEE10hipError_tPvRmT3_T4_T5_T6_T7_T9_mT8_P12ihipStream_tbDpT10_ENKUlT_T0_E_clISt17integral_constantIbLb1EES19_EEDaS14_S15_EUlS14_E_NS1_11comp_targetILNS1_3genE4ELNS1_11target_archE910ELNS1_3gpuE8ELNS1_3repE0EEENS1_30default_config_static_selectorELNS0_4arch9wavefront6targetE1EEEvT1_,"axG",@progbits,_ZN7rocprim17ROCPRIM_400000_NS6detail17trampoline_kernelINS0_14default_configENS1_25partition_config_selectorILNS1_17partition_subalgoE0EjNS0_10empty_typeEbEEZZNS1_14partition_implILS5_0ELb0ES3_jN6thrust23THRUST_200600_302600_NS6detail15normal_iteratorINSA_10device_ptrIjEEEEPS6_SG_NS0_5tupleIJNSA_16discard_iteratorINSA_11use_defaultEEESF_EEENSH_IJSG_SG_EEES6_PlJ7is_evenIjEEEE10hipError_tPvRmT3_T4_T5_T6_T7_T9_mT8_P12ihipStream_tbDpT10_ENKUlT_T0_E_clISt17integral_constantIbLb1EES19_EEDaS14_S15_EUlS14_E_NS1_11comp_targetILNS1_3genE4ELNS1_11target_archE910ELNS1_3gpuE8ELNS1_3repE0EEENS1_30default_config_static_selectorELNS0_4arch9wavefront6targetE1EEEvT1_,comdat
	.protected	_ZN7rocprim17ROCPRIM_400000_NS6detail17trampoline_kernelINS0_14default_configENS1_25partition_config_selectorILNS1_17partition_subalgoE0EjNS0_10empty_typeEbEEZZNS1_14partition_implILS5_0ELb0ES3_jN6thrust23THRUST_200600_302600_NS6detail15normal_iteratorINSA_10device_ptrIjEEEEPS6_SG_NS0_5tupleIJNSA_16discard_iteratorINSA_11use_defaultEEESF_EEENSH_IJSG_SG_EEES6_PlJ7is_evenIjEEEE10hipError_tPvRmT3_T4_T5_T6_T7_T9_mT8_P12ihipStream_tbDpT10_ENKUlT_T0_E_clISt17integral_constantIbLb1EES19_EEDaS14_S15_EUlS14_E_NS1_11comp_targetILNS1_3genE4ELNS1_11target_archE910ELNS1_3gpuE8ELNS1_3repE0EEENS1_30default_config_static_selectorELNS0_4arch9wavefront6targetE1EEEvT1_ ; -- Begin function _ZN7rocprim17ROCPRIM_400000_NS6detail17trampoline_kernelINS0_14default_configENS1_25partition_config_selectorILNS1_17partition_subalgoE0EjNS0_10empty_typeEbEEZZNS1_14partition_implILS5_0ELb0ES3_jN6thrust23THRUST_200600_302600_NS6detail15normal_iteratorINSA_10device_ptrIjEEEEPS6_SG_NS0_5tupleIJNSA_16discard_iteratorINSA_11use_defaultEEESF_EEENSH_IJSG_SG_EEES6_PlJ7is_evenIjEEEE10hipError_tPvRmT3_T4_T5_T6_T7_T9_mT8_P12ihipStream_tbDpT10_ENKUlT_T0_E_clISt17integral_constantIbLb1EES19_EEDaS14_S15_EUlS14_E_NS1_11comp_targetILNS1_3genE4ELNS1_11target_archE910ELNS1_3gpuE8ELNS1_3repE0EEENS1_30default_config_static_selectorELNS0_4arch9wavefront6targetE1EEEvT1_
	.globl	_ZN7rocprim17ROCPRIM_400000_NS6detail17trampoline_kernelINS0_14default_configENS1_25partition_config_selectorILNS1_17partition_subalgoE0EjNS0_10empty_typeEbEEZZNS1_14partition_implILS5_0ELb0ES3_jN6thrust23THRUST_200600_302600_NS6detail15normal_iteratorINSA_10device_ptrIjEEEEPS6_SG_NS0_5tupleIJNSA_16discard_iteratorINSA_11use_defaultEEESF_EEENSH_IJSG_SG_EEES6_PlJ7is_evenIjEEEE10hipError_tPvRmT3_T4_T5_T6_T7_T9_mT8_P12ihipStream_tbDpT10_ENKUlT_T0_E_clISt17integral_constantIbLb1EES19_EEDaS14_S15_EUlS14_E_NS1_11comp_targetILNS1_3genE4ELNS1_11target_archE910ELNS1_3gpuE8ELNS1_3repE0EEENS1_30default_config_static_selectorELNS0_4arch9wavefront6targetE1EEEvT1_
	.p2align	8
	.type	_ZN7rocprim17ROCPRIM_400000_NS6detail17trampoline_kernelINS0_14default_configENS1_25partition_config_selectorILNS1_17partition_subalgoE0EjNS0_10empty_typeEbEEZZNS1_14partition_implILS5_0ELb0ES3_jN6thrust23THRUST_200600_302600_NS6detail15normal_iteratorINSA_10device_ptrIjEEEEPS6_SG_NS0_5tupleIJNSA_16discard_iteratorINSA_11use_defaultEEESF_EEENSH_IJSG_SG_EEES6_PlJ7is_evenIjEEEE10hipError_tPvRmT3_T4_T5_T6_T7_T9_mT8_P12ihipStream_tbDpT10_ENKUlT_T0_E_clISt17integral_constantIbLb1EES19_EEDaS14_S15_EUlS14_E_NS1_11comp_targetILNS1_3genE4ELNS1_11target_archE910ELNS1_3gpuE8ELNS1_3repE0EEENS1_30default_config_static_selectorELNS0_4arch9wavefront6targetE1EEEvT1_,@function
_ZN7rocprim17ROCPRIM_400000_NS6detail17trampoline_kernelINS0_14default_configENS1_25partition_config_selectorILNS1_17partition_subalgoE0EjNS0_10empty_typeEbEEZZNS1_14partition_implILS5_0ELb0ES3_jN6thrust23THRUST_200600_302600_NS6detail15normal_iteratorINSA_10device_ptrIjEEEEPS6_SG_NS0_5tupleIJNSA_16discard_iteratorINSA_11use_defaultEEESF_EEENSH_IJSG_SG_EEES6_PlJ7is_evenIjEEEE10hipError_tPvRmT3_T4_T5_T6_T7_T9_mT8_P12ihipStream_tbDpT10_ENKUlT_T0_E_clISt17integral_constantIbLb1EES19_EEDaS14_S15_EUlS14_E_NS1_11comp_targetILNS1_3genE4ELNS1_11target_archE910ELNS1_3gpuE8ELNS1_3repE0EEENS1_30default_config_static_selectorELNS0_4arch9wavefront6targetE1EEEvT1_: ; @_ZN7rocprim17ROCPRIM_400000_NS6detail17trampoline_kernelINS0_14default_configENS1_25partition_config_selectorILNS1_17partition_subalgoE0EjNS0_10empty_typeEbEEZZNS1_14partition_implILS5_0ELb0ES3_jN6thrust23THRUST_200600_302600_NS6detail15normal_iteratorINSA_10device_ptrIjEEEEPS6_SG_NS0_5tupleIJNSA_16discard_iteratorINSA_11use_defaultEEESF_EEENSH_IJSG_SG_EEES6_PlJ7is_evenIjEEEE10hipError_tPvRmT3_T4_T5_T6_T7_T9_mT8_P12ihipStream_tbDpT10_ENKUlT_T0_E_clISt17integral_constantIbLb1EES19_EEDaS14_S15_EUlS14_E_NS1_11comp_targetILNS1_3genE4ELNS1_11target_archE910ELNS1_3gpuE8ELNS1_3repE0EEENS1_30default_config_static_selectorELNS0_4arch9wavefront6targetE1EEEvT1_
; %bb.0:
	.section	.rodata,"a",@progbits
	.p2align	6, 0x0
	.amdhsa_kernel _ZN7rocprim17ROCPRIM_400000_NS6detail17trampoline_kernelINS0_14default_configENS1_25partition_config_selectorILNS1_17partition_subalgoE0EjNS0_10empty_typeEbEEZZNS1_14partition_implILS5_0ELb0ES3_jN6thrust23THRUST_200600_302600_NS6detail15normal_iteratorINSA_10device_ptrIjEEEEPS6_SG_NS0_5tupleIJNSA_16discard_iteratorINSA_11use_defaultEEESF_EEENSH_IJSG_SG_EEES6_PlJ7is_evenIjEEEE10hipError_tPvRmT3_T4_T5_T6_T7_T9_mT8_P12ihipStream_tbDpT10_ENKUlT_T0_E_clISt17integral_constantIbLb1EES19_EEDaS14_S15_EUlS14_E_NS1_11comp_targetILNS1_3genE4ELNS1_11target_archE910ELNS1_3gpuE8ELNS1_3repE0EEENS1_30default_config_static_selectorELNS0_4arch9wavefront6targetE1EEEvT1_
		.amdhsa_group_segment_fixed_size 0
		.amdhsa_private_segment_fixed_size 0
		.amdhsa_kernarg_size 144
		.amdhsa_user_sgpr_count 2
		.amdhsa_user_sgpr_dispatch_ptr 0
		.amdhsa_user_sgpr_queue_ptr 0
		.amdhsa_user_sgpr_kernarg_segment_ptr 1
		.amdhsa_user_sgpr_dispatch_id 0
		.amdhsa_user_sgpr_kernarg_preload_length 0
		.amdhsa_user_sgpr_kernarg_preload_offset 0
		.amdhsa_user_sgpr_private_segment_size 0
		.amdhsa_uses_dynamic_stack 0
		.amdhsa_enable_private_segment 0
		.amdhsa_system_sgpr_workgroup_id_x 1
		.amdhsa_system_sgpr_workgroup_id_y 0
		.amdhsa_system_sgpr_workgroup_id_z 0
		.amdhsa_system_sgpr_workgroup_info 0
		.amdhsa_system_vgpr_workitem_id 0
		.amdhsa_next_free_vgpr 1
		.amdhsa_next_free_sgpr 0
		.amdhsa_accum_offset 4
		.amdhsa_reserve_vcc 0
		.amdhsa_float_round_mode_32 0
		.amdhsa_float_round_mode_16_64 0
		.amdhsa_float_denorm_mode_32 3
		.amdhsa_float_denorm_mode_16_64 3
		.amdhsa_dx10_clamp 1
		.amdhsa_ieee_mode 1
		.amdhsa_fp16_overflow 0
		.amdhsa_tg_split 0
		.amdhsa_exception_fp_ieee_invalid_op 0
		.amdhsa_exception_fp_denorm_src 0
		.amdhsa_exception_fp_ieee_div_zero 0
		.amdhsa_exception_fp_ieee_overflow 0
		.amdhsa_exception_fp_ieee_underflow 0
		.amdhsa_exception_fp_ieee_inexact 0
		.amdhsa_exception_int_div_zero 0
	.end_amdhsa_kernel
	.section	.text._ZN7rocprim17ROCPRIM_400000_NS6detail17trampoline_kernelINS0_14default_configENS1_25partition_config_selectorILNS1_17partition_subalgoE0EjNS0_10empty_typeEbEEZZNS1_14partition_implILS5_0ELb0ES3_jN6thrust23THRUST_200600_302600_NS6detail15normal_iteratorINSA_10device_ptrIjEEEEPS6_SG_NS0_5tupleIJNSA_16discard_iteratorINSA_11use_defaultEEESF_EEENSH_IJSG_SG_EEES6_PlJ7is_evenIjEEEE10hipError_tPvRmT3_T4_T5_T6_T7_T9_mT8_P12ihipStream_tbDpT10_ENKUlT_T0_E_clISt17integral_constantIbLb1EES19_EEDaS14_S15_EUlS14_E_NS1_11comp_targetILNS1_3genE4ELNS1_11target_archE910ELNS1_3gpuE8ELNS1_3repE0EEENS1_30default_config_static_selectorELNS0_4arch9wavefront6targetE1EEEvT1_,"axG",@progbits,_ZN7rocprim17ROCPRIM_400000_NS6detail17trampoline_kernelINS0_14default_configENS1_25partition_config_selectorILNS1_17partition_subalgoE0EjNS0_10empty_typeEbEEZZNS1_14partition_implILS5_0ELb0ES3_jN6thrust23THRUST_200600_302600_NS6detail15normal_iteratorINSA_10device_ptrIjEEEEPS6_SG_NS0_5tupleIJNSA_16discard_iteratorINSA_11use_defaultEEESF_EEENSH_IJSG_SG_EEES6_PlJ7is_evenIjEEEE10hipError_tPvRmT3_T4_T5_T6_T7_T9_mT8_P12ihipStream_tbDpT10_ENKUlT_T0_E_clISt17integral_constantIbLb1EES19_EEDaS14_S15_EUlS14_E_NS1_11comp_targetILNS1_3genE4ELNS1_11target_archE910ELNS1_3gpuE8ELNS1_3repE0EEENS1_30default_config_static_selectorELNS0_4arch9wavefront6targetE1EEEvT1_,comdat
.Lfunc_end2469:
	.size	_ZN7rocprim17ROCPRIM_400000_NS6detail17trampoline_kernelINS0_14default_configENS1_25partition_config_selectorILNS1_17partition_subalgoE0EjNS0_10empty_typeEbEEZZNS1_14partition_implILS5_0ELb0ES3_jN6thrust23THRUST_200600_302600_NS6detail15normal_iteratorINSA_10device_ptrIjEEEEPS6_SG_NS0_5tupleIJNSA_16discard_iteratorINSA_11use_defaultEEESF_EEENSH_IJSG_SG_EEES6_PlJ7is_evenIjEEEE10hipError_tPvRmT3_T4_T5_T6_T7_T9_mT8_P12ihipStream_tbDpT10_ENKUlT_T0_E_clISt17integral_constantIbLb1EES19_EEDaS14_S15_EUlS14_E_NS1_11comp_targetILNS1_3genE4ELNS1_11target_archE910ELNS1_3gpuE8ELNS1_3repE0EEENS1_30default_config_static_selectorELNS0_4arch9wavefront6targetE1EEEvT1_, .Lfunc_end2469-_ZN7rocprim17ROCPRIM_400000_NS6detail17trampoline_kernelINS0_14default_configENS1_25partition_config_selectorILNS1_17partition_subalgoE0EjNS0_10empty_typeEbEEZZNS1_14partition_implILS5_0ELb0ES3_jN6thrust23THRUST_200600_302600_NS6detail15normal_iteratorINSA_10device_ptrIjEEEEPS6_SG_NS0_5tupleIJNSA_16discard_iteratorINSA_11use_defaultEEESF_EEENSH_IJSG_SG_EEES6_PlJ7is_evenIjEEEE10hipError_tPvRmT3_T4_T5_T6_T7_T9_mT8_P12ihipStream_tbDpT10_ENKUlT_T0_E_clISt17integral_constantIbLb1EES19_EEDaS14_S15_EUlS14_E_NS1_11comp_targetILNS1_3genE4ELNS1_11target_archE910ELNS1_3gpuE8ELNS1_3repE0EEENS1_30default_config_static_selectorELNS0_4arch9wavefront6targetE1EEEvT1_
                                        ; -- End function
	.section	.AMDGPU.csdata,"",@progbits
; Kernel info:
; codeLenInByte = 0
; NumSgprs: 6
; NumVgprs: 0
; NumAgprs: 0
; TotalNumVgprs: 0
; ScratchSize: 0
; MemoryBound: 0
; FloatMode: 240
; IeeeMode: 1
; LDSByteSize: 0 bytes/workgroup (compile time only)
; SGPRBlocks: 0
; VGPRBlocks: 0
; NumSGPRsForWavesPerEU: 6
; NumVGPRsForWavesPerEU: 1
; AccumOffset: 4
; Occupancy: 8
; WaveLimiterHint : 0
; COMPUTE_PGM_RSRC2:SCRATCH_EN: 0
; COMPUTE_PGM_RSRC2:USER_SGPR: 2
; COMPUTE_PGM_RSRC2:TRAP_HANDLER: 0
; COMPUTE_PGM_RSRC2:TGID_X_EN: 1
; COMPUTE_PGM_RSRC2:TGID_Y_EN: 0
; COMPUTE_PGM_RSRC2:TGID_Z_EN: 0
; COMPUTE_PGM_RSRC2:TIDIG_COMP_CNT: 0
; COMPUTE_PGM_RSRC3_GFX90A:ACCUM_OFFSET: 0
; COMPUTE_PGM_RSRC3_GFX90A:TG_SPLIT: 0
	.section	.text._ZN7rocprim17ROCPRIM_400000_NS6detail17trampoline_kernelINS0_14default_configENS1_25partition_config_selectorILNS1_17partition_subalgoE0EjNS0_10empty_typeEbEEZZNS1_14partition_implILS5_0ELb0ES3_jN6thrust23THRUST_200600_302600_NS6detail15normal_iteratorINSA_10device_ptrIjEEEEPS6_SG_NS0_5tupleIJNSA_16discard_iteratorINSA_11use_defaultEEESF_EEENSH_IJSG_SG_EEES6_PlJ7is_evenIjEEEE10hipError_tPvRmT3_T4_T5_T6_T7_T9_mT8_P12ihipStream_tbDpT10_ENKUlT_T0_E_clISt17integral_constantIbLb1EES19_EEDaS14_S15_EUlS14_E_NS1_11comp_targetILNS1_3genE3ELNS1_11target_archE908ELNS1_3gpuE7ELNS1_3repE0EEENS1_30default_config_static_selectorELNS0_4arch9wavefront6targetE1EEEvT1_,"axG",@progbits,_ZN7rocprim17ROCPRIM_400000_NS6detail17trampoline_kernelINS0_14default_configENS1_25partition_config_selectorILNS1_17partition_subalgoE0EjNS0_10empty_typeEbEEZZNS1_14partition_implILS5_0ELb0ES3_jN6thrust23THRUST_200600_302600_NS6detail15normal_iteratorINSA_10device_ptrIjEEEEPS6_SG_NS0_5tupleIJNSA_16discard_iteratorINSA_11use_defaultEEESF_EEENSH_IJSG_SG_EEES6_PlJ7is_evenIjEEEE10hipError_tPvRmT3_T4_T5_T6_T7_T9_mT8_P12ihipStream_tbDpT10_ENKUlT_T0_E_clISt17integral_constantIbLb1EES19_EEDaS14_S15_EUlS14_E_NS1_11comp_targetILNS1_3genE3ELNS1_11target_archE908ELNS1_3gpuE7ELNS1_3repE0EEENS1_30default_config_static_selectorELNS0_4arch9wavefront6targetE1EEEvT1_,comdat
	.protected	_ZN7rocprim17ROCPRIM_400000_NS6detail17trampoline_kernelINS0_14default_configENS1_25partition_config_selectorILNS1_17partition_subalgoE0EjNS0_10empty_typeEbEEZZNS1_14partition_implILS5_0ELb0ES3_jN6thrust23THRUST_200600_302600_NS6detail15normal_iteratorINSA_10device_ptrIjEEEEPS6_SG_NS0_5tupleIJNSA_16discard_iteratorINSA_11use_defaultEEESF_EEENSH_IJSG_SG_EEES6_PlJ7is_evenIjEEEE10hipError_tPvRmT3_T4_T5_T6_T7_T9_mT8_P12ihipStream_tbDpT10_ENKUlT_T0_E_clISt17integral_constantIbLb1EES19_EEDaS14_S15_EUlS14_E_NS1_11comp_targetILNS1_3genE3ELNS1_11target_archE908ELNS1_3gpuE7ELNS1_3repE0EEENS1_30default_config_static_selectorELNS0_4arch9wavefront6targetE1EEEvT1_ ; -- Begin function _ZN7rocprim17ROCPRIM_400000_NS6detail17trampoline_kernelINS0_14default_configENS1_25partition_config_selectorILNS1_17partition_subalgoE0EjNS0_10empty_typeEbEEZZNS1_14partition_implILS5_0ELb0ES3_jN6thrust23THRUST_200600_302600_NS6detail15normal_iteratorINSA_10device_ptrIjEEEEPS6_SG_NS0_5tupleIJNSA_16discard_iteratorINSA_11use_defaultEEESF_EEENSH_IJSG_SG_EEES6_PlJ7is_evenIjEEEE10hipError_tPvRmT3_T4_T5_T6_T7_T9_mT8_P12ihipStream_tbDpT10_ENKUlT_T0_E_clISt17integral_constantIbLb1EES19_EEDaS14_S15_EUlS14_E_NS1_11comp_targetILNS1_3genE3ELNS1_11target_archE908ELNS1_3gpuE7ELNS1_3repE0EEENS1_30default_config_static_selectorELNS0_4arch9wavefront6targetE1EEEvT1_
	.globl	_ZN7rocprim17ROCPRIM_400000_NS6detail17trampoline_kernelINS0_14default_configENS1_25partition_config_selectorILNS1_17partition_subalgoE0EjNS0_10empty_typeEbEEZZNS1_14partition_implILS5_0ELb0ES3_jN6thrust23THRUST_200600_302600_NS6detail15normal_iteratorINSA_10device_ptrIjEEEEPS6_SG_NS0_5tupleIJNSA_16discard_iteratorINSA_11use_defaultEEESF_EEENSH_IJSG_SG_EEES6_PlJ7is_evenIjEEEE10hipError_tPvRmT3_T4_T5_T6_T7_T9_mT8_P12ihipStream_tbDpT10_ENKUlT_T0_E_clISt17integral_constantIbLb1EES19_EEDaS14_S15_EUlS14_E_NS1_11comp_targetILNS1_3genE3ELNS1_11target_archE908ELNS1_3gpuE7ELNS1_3repE0EEENS1_30default_config_static_selectorELNS0_4arch9wavefront6targetE1EEEvT1_
	.p2align	8
	.type	_ZN7rocprim17ROCPRIM_400000_NS6detail17trampoline_kernelINS0_14default_configENS1_25partition_config_selectorILNS1_17partition_subalgoE0EjNS0_10empty_typeEbEEZZNS1_14partition_implILS5_0ELb0ES3_jN6thrust23THRUST_200600_302600_NS6detail15normal_iteratorINSA_10device_ptrIjEEEEPS6_SG_NS0_5tupleIJNSA_16discard_iteratorINSA_11use_defaultEEESF_EEENSH_IJSG_SG_EEES6_PlJ7is_evenIjEEEE10hipError_tPvRmT3_T4_T5_T6_T7_T9_mT8_P12ihipStream_tbDpT10_ENKUlT_T0_E_clISt17integral_constantIbLb1EES19_EEDaS14_S15_EUlS14_E_NS1_11comp_targetILNS1_3genE3ELNS1_11target_archE908ELNS1_3gpuE7ELNS1_3repE0EEENS1_30default_config_static_selectorELNS0_4arch9wavefront6targetE1EEEvT1_,@function
_ZN7rocprim17ROCPRIM_400000_NS6detail17trampoline_kernelINS0_14default_configENS1_25partition_config_selectorILNS1_17partition_subalgoE0EjNS0_10empty_typeEbEEZZNS1_14partition_implILS5_0ELb0ES3_jN6thrust23THRUST_200600_302600_NS6detail15normal_iteratorINSA_10device_ptrIjEEEEPS6_SG_NS0_5tupleIJNSA_16discard_iteratorINSA_11use_defaultEEESF_EEENSH_IJSG_SG_EEES6_PlJ7is_evenIjEEEE10hipError_tPvRmT3_T4_T5_T6_T7_T9_mT8_P12ihipStream_tbDpT10_ENKUlT_T0_E_clISt17integral_constantIbLb1EES19_EEDaS14_S15_EUlS14_E_NS1_11comp_targetILNS1_3genE3ELNS1_11target_archE908ELNS1_3gpuE7ELNS1_3repE0EEENS1_30default_config_static_selectorELNS0_4arch9wavefront6targetE1EEEvT1_: ; @_ZN7rocprim17ROCPRIM_400000_NS6detail17trampoline_kernelINS0_14default_configENS1_25partition_config_selectorILNS1_17partition_subalgoE0EjNS0_10empty_typeEbEEZZNS1_14partition_implILS5_0ELb0ES3_jN6thrust23THRUST_200600_302600_NS6detail15normal_iteratorINSA_10device_ptrIjEEEEPS6_SG_NS0_5tupleIJNSA_16discard_iteratorINSA_11use_defaultEEESF_EEENSH_IJSG_SG_EEES6_PlJ7is_evenIjEEEE10hipError_tPvRmT3_T4_T5_T6_T7_T9_mT8_P12ihipStream_tbDpT10_ENKUlT_T0_E_clISt17integral_constantIbLb1EES19_EEDaS14_S15_EUlS14_E_NS1_11comp_targetILNS1_3genE3ELNS1_11target_archE908ELNS1_3gpuE7ELNS1_3repE0EEENS1_30default_config_static_selectorELNS0_4arch9wavefront6targetE1EEEvT1_
; %bb.0:
	.section	.rodata,"a",@progbits
	.p2align	6, 0x0
	.amdhsa_kernel _ZN7rocprim17ROCPRIM_400000_NS6detail17trampoline_kernelINS0_14default_configENS1_25partition_config_selectorILNS1_17partition_subalgoE0EjNS0_10empty_typeEbEEZZNS1_14partition_implILS5_0ELb0ES3_jN6thrust23THRUST_200600_302600_NS6detail15normal_iteratorINSA_10device_ptrIjEEEEPS6_SG_NS0_5tupleIJNSA_16discard_iteratorINSA_11use_defaultEEESF_EEENSH_IJSG_SG_EEES6_PlJ7is_evenIjEEEE10hipError_tPvRmT3_T4_T5_T6_T7_T9_mT8_P12ihipStream_tbDpT10_ENKUlT_T0_E_clISt17integral_constantIbLb1EES19_EEDaS14_S15_EUlS14_E_NS1_11comp_targetILNS1_3genE3ELNS1_11target_archE908ELNS1_3gpuE7ELNS1_3repE0EEENS1_30default_config_static_selectorELNS0_4arch9wavefront6targetE1EEEvT1_
		.amdhsa_group_segment_fixed_size 0
		.amdhsa_private_segment_fixed_size 0
		.amdhsa_kernarg_size 144
		.amdhsa_user_sgpr_count 2
		.amdhsa_user_sgpr_dispatch_ptr 0
		.amdhsa_user_sgpr_queue_ptr 0
		.amdhsa_user_sgpr_kernarg_segment_ptr 1
		.amdhsa_user_sgpr_dispatch_id 0
		.amdhsa_user_sgpr_kernarg_preload_length 0
		.amdhsa_user_sgpr_kernarg_preload_offset 0
		.amdhsa_user_sgpr_private_segment_size 0
		.amdhsa_uses_dynamic_stack 0
		.amdhsa_enable_private_segment 0
		.amdhsa_system_sgpr_workgroup_id_x 1
		.amdhsa_system_sgpr_workgroup_id_y 0
		.amdhsa_system_sgpr_workgroup_id_z 0
		.amdhsa_system_sgpr_workgroup_info 0
		.amdhsa_system_vgpr_workitem_id 0
		.amdhsa_next_free_vgpr 1
		.amdhsa_next_free_sgpr 0
		.amdhsa_accum_offset 4
		.amdhsa_reserve_vcc 0
		.amdhsa_float_round_mode_32 0
		.amdhsa_float_round_mode_16_64 0
		.amdhsa_float_denorm_mode_32 3
		.amdhsa_float_denorm_mode_16_64 3
		.amdhsa_dx10_clamp 1
		.amdhsa_ieee_mode 1
		.amdhsa_fp16_overflow 0
		.amdhsa_tg_split 0
		.amdhsa_exception_fp_ieee_invalid_op 0
		.amdhsa_exception_fp_denorm_src 0
		.amdhsa_exception_fp_ieee_div_zero 0
		.amdhsa_exception_fp_ieee_overflow 0
		.amdhsa_exception_fp_ieee_underflow 0
		.amdhsa_exception_fp_ieee_inexact 0
		.amdhsa_exception_int_div_zero 0
	.end_amdhsa_kernel
	.section	.text._ZN7rocprim17ROCPRIM_400000_NS6detail17trampoline_kernelINS0_14default_configENS1_25partition_config_selectorILNS1_17partition_subalgoE0EjNS0_10empty_typeEbEEZZNS1_14partition_implILS5_0ELb0ES3_jN6thrust23THRUST_200600_302600_NS6detail15normal_iteratorINSA_10device_ptrIjEEEEPS6_SG_NS0_5tupleIJNSA_16discard_iteratorINSA_11use_defaultEEESF_EEENSH_IJSG_SG_EEES6_PlJ7is_evenIjEEEE10hipError_tPvRmT3_T4_T5_T6_T7_T9_mT8_P12ihipStream_tbDpT10_ENKUlT_T0_E_clISt17integral_constantIbLb1EES19_EEDaS14_S15_EUlS14_E_NS1_11comp_targetILNS1_3genE3ELNS1_11target_archE908ELNS1_3gpuE7ELNS1_3repE0EEENS1_30default_config_static_selectorELNS0_4arch9wavefront6targetE1EEEvT1_,"axG",@progbits,_ZN7rocprim17ROCPRIM_400000_NS6detail17trampoline_kernelINS0_14default_configENS1_25partition_config_selectorILNS1_17partition_subalgoE0EjNS0_10empty_typeEbEEZZNS1_14partition_implILS5_0ELb0ES3_jN6thrust23THRUST_200600_302600_NS6detail15normal_iteratorINSA_10device_ptrIjEEEEPS6_SG_NS0_5tupleIJNSA_16discard_iteratorINSA_11use_defaultEEESF_EEENSH_IJSG_SG_EEES6_PlJ7is_evenIjEEEE10hipError_tPvRmT3_T4_T5_T6_T7_T9_mT8_P12ihipStream_tbDpT10_ENKUlT_T0_E_clISt17integral_constantIbLb1EES19_EEDaS14_S15_EUlS14_E_NS1_11comp_targetILNS1_3genE3ELNS1_11target_archE908ELNS1_3gpuE7ELNS1_3repE0EEENS1_30default_config_static_selectorELNS0_4arch9wavefront6targetE1EEEvT1_,comdat
.Lfunc_end2470:
	.size	_ZN7rocprim17ROCPRIM_400000_NS6detail17trampoline_kernelINS0_14default_configENS1_25partition_config_selectorILNS1_17partition_subalgoE0EjNS0_10empty_typeEbEEZZNS1_14partition_implILS5_0ELb0ES3_jN6thrust23THRUST_200600_302600_NS6detail15normal_iteratorINSA_10device_ptrIjEEEEPS6_SG_NS0_5tupleIJNSA_16discard_iteratorINSA_11use_defaultEEESF_EEENSH_IJSG_SG_EEES6_PlJ7is_evenIjEEEE10hipError_tPvRmT3_T4_T5_T6_T7_T9_mT8_P12ihipStream_tbDpT10_ENKUlT_T0_E_clISt17integral_constantIbLb1EES19_EEDaS14_S15_EUlS14_E_NS1_11comp_targetILNS1_3genE3ELNS1_11target_archE908ELNS1_3gpuE7ELNS1_3repE0EEENS1_30default_config_static_selectorELNS0_4arch9wavefront6targetE1EEEvT1_, .Lfunc_end2470-_ZN7rocprim17ROCPRIM_400000_NS6detail17trampoline_kernelINS0_14default_configENS1_25partition_config_selectorILNS1_17partition_subalgoE0EjNS0_10empty_typeEbEEZZNS1_14partition_implILS5_0ELb0ES3_jN6thrust23THRUST_200600_302600_NS6detail15normal_iteratorINSA_10device_ptrIjEEEEPS6_SG_NS0_5tupleIJNSA_16discard_iteratorINSA_11use_defaultEEESF_EEENSH_IJSG_SG_EEES6_PlJ7is_evenIjEEEE10hipError_tPvRmT3_T4_T5_T6_T7_T9_mT8_P12ihipStream_tbDpT10_ENKUlT_T0_E_clISt17integral_constantIbLb1EES19_EEDaS14_S15_EUlS14_E_NS1_11comp_targetILNS1_3genE3ELNS1_11target_archE908ELNS1_3gpuE7ELNS1_3repE0EEENS1_30default_config_static_selectorELNS0_4arch9wavefront6targetE1EEEvT1_
                                        ; -- End function
	.section	.AMDGPU.csdata,"",@progbits
; Kernel info:
; codeLenInByte = 0
; NumSgprs: 6
; NumVgprs: 0
; NumAgprs: 0
; TotalNumVgprs: 0
; ScratchSize: 0
; MemoryBound: 0
; FloatMode: 240
; IeeeMode: 1
; LDSByteSize: 0 bytes/workgroup (compile time only)
; SGPRBlocks: 0
; VGPRBlocks: 0
; NumSGPRsForWavesPerEU: 6
; NumVGPRsForWavesPerEU: 1
; AccumOffset: 4
; Occupancy: 8
; WaveLimiterHint : 0
; COMPUTE_PGM_RSRC2:SCRATCH_EN: 0
; COMPUTE_PGM_RSRC2:USER_SGPR: 2
; COMPUTE_PGM_RSRC2:TRAP_HANDLER: 0
; COMPUTE_PGM_RSRC2:TGID_X_EN: 1
; COMPUTE_PGM_RSRC2:TGID_Y_EN: 0
; COMPUTE_PGM_RSRC2:TGID_Z_EN: 0
; COMPUTE_PGM_RSRC2:TIDIG_COMP_CNT: 0
; COMPUTE_PGM_RSRC3_GFX90A:ACCUM_OFFSET: 0
; COMPUTE_PGM_RSRC3_GFX90A:TG_SPLIT: 0
	.section	.text._ZN7rocprim17ROCPRIM_400000_NS6detail17trampoline_kernelINS0_14default_configENS1_25partition_config_selectorILNS1_17partition_subalgoE0EjNS0_10empty_typeEbEEZZNS1_14partition_implILS5_0ELb0ES3_jN6thrust23THRUST_200600_302600_NS6detail15normal_iteratorINSA_10device_ptrIjEEEEPS6_SG_NS0_5tupleIJNSA_16discard_iteratorINSA_11use_defaultEEESF_EEENSH_IJSG_SG_EEES6_PlJ7is_evenIjEEEE10hipError_tPvRmT3_T4_T5_T6_T7_T9_mT8_P12ihipStream_tbDpT10_ENKUlT_T0_E_clISt17integral_constantIbLb1EES19_EEDaS14_S15_EUlS14_E_NS1_11comp_targetILNS1_3genE2ELNS1_11target_archE906ELNS1_3gpuE6ELNS1_3repE0EEENS1_30default_config_static_selectorELNS0_4arch9wavefront6targetE1EEEvT1_,"axG",@progbits,_ZN7rocprim17ROCPRIM_400000_NS6detail17trampoline_kernelINS0_14default_configENS1_25partition_config_selectorILNS1_17partition_subalgoE0EjNS0_10empty_typeEbEEZZNS1_14partition_implILS5_0ELb0ES3_jN6thrust23THRUST_200600_302600_NS6detail15normal_iteratorINSA_10device_ptrIjEEEEPS6_SG_NS0_5tupleIJNSA_16discard_iteratorINSA_11use_defaultEEESF_EEENSH_IJSG_SG_EEES6_PlJ7is_evenIjEEEE10hipError_tPvRmT3_T4_T5_T6_T7_T9_mT8_P12ihipStream_tbDpT10_ENKUlT_T0_E_clISt17integral_constantIbLb1EES19_EEDaS14_S15_EUlS14_E_NS1_11comp_targetILNS1_3genE2ELNS1_11target_archE906ELNS1_3gpuE6ELNS1_3repE0EEENS1_30default_config_static_selectorELNS0_4arch9wavefront6targetE1EEEvT1_,comdat
	.protected	_ZN7rocprim17ROCPRIM_400000_NS6detail17trampoline_kernelINS0_14default_configENS1_25partition_config_selectorILNS1_17partition_subalgoE0EjNS0_10empty_typeEbEEZZNS1_14partition_implILS5_0ELb0ES3_jN6thrust23THRUST_200600_302600_NS6detail15normal_iteratorINSA_10device_ptrIjEEEEPS6_SG_NS0_5tupleIJNSA_16discard_iteratorINSA_11use_defaultEEESF_EEENSH_IJSG_SG_EEES6_PlJ7is_evenIjEEEE10hipError_tPvRmT3_T4_T5_T6_T7_T9_mT8_P12ihipStream_tbDpT10_ENKUlT_T0_E_clISt17integral_constantIbLb1EES19_EEDaS14_S15_EUlS14_E_NS1_11comp_targetILNS1_3genE2ELNS1_11target_archE906ELNS1_3gpuE6ELNS1_3repE0EEENS1_30default_config_static_selectorELNS0_4arch9wavefront6targetE1EEEvT1_ ; -- Begin function _ZN7rocprim17ROCPRIM_400000_NS6detail17trampoline_kernelINS0_14default_configENS1_25partition_config_selectorILNS1_17partition_subalgoE0EjNS0_10empty_typeEbEEZZNS1_14partition_implILS5_0ELb0ES3_jN6thrust23THRUST_200600_302600_NS6detail15normal_iteratorINSA_10device_ptrIjEEEEPS6_SG_NS0_5tupleIJNSA_16discard_iteratorINSA_11use_defaultEEESF_EEENSH_IJSG_SG_EEES6_PlJ7is_evenIjEEEE10hipError_tPvRmT3_T4_T5_T6_T7_T9_mT8_P12ihipStream_tbDpT10_ENKUlT_T0_E_clISt17integral_constantIbLb1EES19_EEDaS14_S15_EUlS14_E_NS1_11comp_targetILNS1_3genE2ELNS1_11target_archE906ELNS1_3gpuE6ELNS1_3repE0EEENS1_30default_config_static_selectorELNS0_4arch9wavefront6targetE1EEEvT1_
	.globl	_ZN7rocprim17ROCPRIM_400000_NS6detail17trampoline_kernelINS0_14default_configENS1_25partition_config_selectorILNS1_17partition_subalgoE0EjNS0_10empty_typeEbEEZZNS1_14partition_implILS5_0ELb0ES3_jN6thrust23THRUST_200600_302600_NS6detail15normal_iteratorINSA_10device_ptrIjEEEEPS6_SG_NS0_5tupleIJNSA_16discard_iteratorINSA_11use_defaultEEESF_EEENSH_IJSG_SG_EEES6_PlJ7is_evenIjEEEE10hipError_tPvRmT3_T4_T5_T6_T7_T9_mT8_P12ihipStream_tbDpT10_ENKUlT_T0_E_clISt17integral_constantIbLb1EES19_EEDaS14_S15_EUlS14_E_NS1_11comp_targetILNS1_3genE2ELNS1_11target_archE906ELNS1_3gpuE6ELNS1_3repE0EEENS1_30default_config_static_selectorELNS0_4arch9wavefront6targetE1EEEvT1_
	.p2align	8
	.type	_ZN7rocprim17ROCPRIM_400000_NS6detail17trampoline_kernelINS0_14default_configENS1_25partition_config_selectorILNS1_17partition_subalgoE0EjNS0_10empty_typeEbEEZZNS1_14partition_implILS5_0ELb0ES3_jN6thrust23THRUST_200600_302600_NS6detail15normal_iteratorINSA_10device_ptrIjEEEEPS6_SG_NS0_5tupleIJNSA_16discard_iteratorINSA_11use_defaultEEESF_EEENSH_IJSG_SG_EEES6_PlJ7is_evenIjEEEE10hipError_tPvRmT3_T4_T5_T6_T7_T9_mT8_P12ihipStream_tbDpT10_ENKUlT_T0_E_clISt17integral_constantIbLb1EES19_EEDaS14_S15_EUlS14_E_NS1_11comp_targetILNS1_3genE2ELNS1_11target_archE906ELNS1_3gpuE6ELNS1_3repE0EEENS1_30default_config_static_selectorELNS0_4arch9wavefront6targetE1EEEvT1_,@function
_ZN7rocprim17ROCPRIM_400000_NS6detail17trampoline_kernelINS0_14default_configENS1_25partition_config_selectorILNS1_17partition_subalgoE0EjNS0_10empty_typeEbEEZZNS1_14partition_implILS5_0ELb0ES3_jN6thrust23THRUST_200600_302600_NS6detail15normal_iteratorINSA_10device_ptrIjEEEEPS6_SG_NS0_5tupleIJNSA_16discard_iteratorINSA_11use_defaultEEESF_EEENSH_IJSG_SG_EEES6_PlJ7is_evenIjEEEE10hipError_tPvRmT3_T4_T5_T6_T7_T9_mT8_P12ihipStream_tbDpT10_ENKUlT_T0_E_clISt17integral_constantIbLb1EES19_EEDaS14_S15_EUlS14_E_NS1_11comp_targetILNS1_3genE2ELNS1_11target_archE906ELNS1_3gpuE6ELNS1_3repE0EEENS1_30default_config_static_selectorELNS0_4arch9wavefront6targetE1EEEvT1_: ; @_ZN7rocprim17ROCPRIM_400000_NS6detail17trampoline_kernelINS0_14default_configENS1_25partition_config_selectorILNS1_17partition_subalgoE0EjNS0_10empty_typeEbEEZZNS1_14partition_implILS5_0ELb0ES3_jN6thrust23THRUST_200600_302600_NS6detail15normal_iteratorINSA_10device_ptrIjEEEEPS6_SG_NS0_5tupleIJNSA_16discard_iteratorINSA_11use_defaultEEESF_EEENSH_IJSG_SG_EEES6_PlJ7is_evenIjEEEE10hipError_tPvRmT3_T4_T5_T6_T7_T9_mT8_P12ihipStream_tbDpT10_ENKUlT_T0_E_clISt17integral_constantIbLb1EES19_EEDaS14_S15_EUlS14_E_NS1_11comp_targetILNS1_3genE2ELNS1_11target_archE906ELNS1_3gpuE6ELNS1_3repE0EEENS1_30default_config_static_selectorELNS0_4arch9wavefront6targetE1EEEvT1_
; %bb.0:
	.section	.rodata,"a",@progbits
	.p2align	6, 0x0
	.amdhsa_kernel _ZN7rocprim17ROCPRIM_400000_NS6detail17trampoline_kernelINS0_14default_configENS1_25partition_config_selectorILNS1_17partition_subalgoE0EjNS0_10empty_typeEbEEZZNS1_14partition_implILS5_0ELb0ES3_jN6thrust23THRUST_200600_302600_NS6detail15normal_iteratorINSA_10device_ptrIjEEEEPS6_SG_NS0_5tupleIJNSA_16discard_iteratorINSA_11use_defaultEEESF_EEENSH_IJSG_SG_EEES6_PlJ7is_evenIjEEEE10hipError_tPvRmT3_T4_T5_T6_T7_T9_mT8_P12ihipStream_tbDpT10_ENKUlT_T0_E_clISt17integral_constantIbLb1EES19_EEDaS14_S15_EUlS14_E_NS1_11comp_targetILNS1_3genE2ELNS1_11target_archE906ELNS1_3gpuE6ELNS1_3repE0EEENS1_30default_config_static_selectorELNS0_4arch9wavefront6targetE1EEEvT1_
		.amdhsa_group_segment_fixed_size 0
		.amdhsa_private_segment_fixed_size 0
		.amdhsa_kernarg_size 144
		.amdhsa_user_sgpr_count 2
		.amdhsa_user_sgpr_dispatch_ptr 0
		.amdhsa_user_sgpr_queue_ptr 0
		.amdhsa_user_sgpr_kernarg_segment_ptr 1
		.amdhsa_user_sgpr_dispatch_id 0
		.amdhsa_user_sgpr_kernarg_preload_length 0
		.amdhsa_user_sgpr_kernarg_preload_offset 0
		.amdhsa_user_sgpr_private_segment_size 0
		.amdhsa_uses_dynamic_stack 0
		.amdhsa_enable_private_segment 0
		.amdhsa_system_sgpr_workgroup_id_x 1
		.amdhsa_system_sgpr_workgroup_id_y 0
		.amdhsa_system_sgpr_workgroup_id_z 0
		.amdhsa_system_sgpr_workgroup_info 0
		.amdhsa_system_vgpr_workitem_id 0
		.amdhsa_next_free_vgpr 1
		.amdhsa_next_free_sgpr 0
		.amdhsa_accum_offset 4
		.amdhsa_reserve_vcc 0
		.amdhsa_float_round_mode_32 0
		.amdhsa_float_round_mode_16_64 0
		.amdhsa_float_denorm_mode_32 3
		.amdhsa_float_denorm_mode_16_64 3
		.amdhsa_dx10_clamp 1
		.amdhsa_ieee_mode 1
		.amdhsa_fp16_overflow 0
		.amdhsa_tg_split 0
		.amdhsa_exception_fp_ieee_invalid_op 0
		.amdhsa_exception_fp_denorm_src 0
		.amdhsa_exception_fp_ieee_div_zero 0
		.amdhsa_exception_fp_ieee_overflow 0
		.amdhsa_exception_fp_ieee_underflow 0
		.amdhsa_exception_fp_ieee_inexact 0
		.amdhsa_exception_int_div_zero 0
	.end_amdhsa_kernel
	.section	.text._ZN7rocprim17ROCPRIM_400000_NS6detail17trampoline_kernelINS0_14default_configENS1_25partition_config_selectorILNS1_17partition_subalgoE0EjNS0_10empty_typeEbEEZZNS1_14partition_implILS5_0ELb0ES3_jN6thrust23THRUST_200600_302600_NS6detail15normal_iteratorINSA_10device_ptrIjEEEEPS6_SG_NS0_5tupleIJNSA_16discard_iteratorINSA_11use_defaultEEESF_EEENSH_IJSG_SG_EEES6_PlJ7is_evenIjEEEE10hipError_tPvRmT3_T4_T5_T6_T7_T9_mT8_P12ihipStream_tbDpT10_ENKUlT_T0_E_clISt17integral_constantIbLb1EES19_EEDaS14_S15_EUlS14_E_NS1_11comp_targetILNS1_3genE2ELNS1_11target_archE906ELNS1_3gpuE6ELNS1_3repE0EEENS1_30default_config_static_selectorELNS0_4arch9wavefront6targetE1EEEvT1_,"axG",@progbits,_ZN7rocprim17ROCPRIM_400000_NS6detail17trampoline_kernelINS0_14default_configENS1_25partition_config_selectorILNS1_17partition_subalgoE0EjNS0_10empty_typeEbEEZZNS1_14partition_implILS5_0ELb0ES3_jN6thrust23THRUST_200600_302600_NS6detail15normal_iteratorINSA_10device_ptrIjEEEEPS6_SG_NS0_5tupleIJNSA_16discard_iteratorINSA_11use_defaultEEESF_EEENSH_IJSG_SG_EEES6_PlJ7is_evenIjEEEE10hipError_tPvRmT3_T4_T5_T6_T7_T9_mT8_P12ihipStream_tbDpT10_ENKUlT_T0_E_clISt17integral_constantIbLb1EES19_EEDaS14_S15_EUlS14_E_NS1_11comp_targetILNS1_3genE2ELNS1_11target_archE906ELNS1_3gpuE6ELNS1_3repE0EEENS1_30default_config_static_selectorELNS0_4arch9wavefront6targetE1EEEvT1_,comdat
.Lfunc_end2471:
	.size	_ZN7rocprim17ROCPRIM_400000_NS6detail17trampoline_kernelINS0_14default_configENS1_25partition_config_selectorILNS1_17partition_subalgoE0EjNS0_10empty_typeEbEEZZNS1_14partition_implILS5_0ELb0ES3_jN6thrust23THRUST_200600_302600_NS6detail15normal_iteratorINSA_10device_ptrIjEEEEPS6_SG_NS0_5tupleIJNSA_16discard_iteratorINSA_11use_defaultEEESF_EEENSH_IJSG_SG_EEES6_PlJ7is_evenIjEEEE10hipError_tPvRmT3_T4_T5_T6_T7_T9_mT8_P12ihipStream_tbDpT10_ENKUlT_T0_E_clISt17integral_constantIbLb1EES19_EEDaS14_S15_EUlS14_E_NS1_11comp_targetILNS1_3genE2ELNS1_11target_archE906ELNS1_3gpuE6ELNS1_3repE0EEENS1_30default_config_static_selectorELNS0_4arch9wavefront6targetE1EEEvT1_, .Lfunc_end2471-_ZN7rocprim17ROCPRIM_400000_NS6detail17trampoline_kernelINS0_14default_configENS1_25partition_config_selectorILNS1_17partition_subalgoE0EjNS0_10empty_typeEbEEZZNS1_14partition_implILS5_0ELb0ES3_jN6thrust23THRUST_200600_302600_NS6detail15normal_iteratorINSA_10device_ptrIjEEEEPS6_SG_NS0_5tupleIJNSA_16discard_iteratorINSA_11use_defaultEEESF_EEENSH_IJSG_SG_EEES6_PlJ7is_evenIjEEEE10hipError_tPvRmT3_T4_T5_T6_T7_T9_mT8_P12ihipStream_tbDpT10_ENKUlT_T0_E_clISt17integral_constantIbLb1EES19_EEDaS14_S15_EUlS14_E_NS1_11comp_targetILNS1_3genE2ELNS1_11target_archE906ELNS1_3gpuE6ELNS1_3repE0EEENS1_30default_config_static_selectorELNS0_4arch9wavefront6targetE1EEEvT1_
                                        ; -- End function
	.section	.AMDGPU.csdata,"",@progbits
; Kernel info:
; codeLenInByte = 0
; NumSgprs: 6
; NumVgprs: 0
; NumAgprs: 0
; TotalNumVgprs: 0
; ScratchSize: 0
; MemoryBound: 0
; FloatMode: 240
; IeeeMode: 1
; LDSByteSize: 0 bytes/workgroup (compile time only)
; SGPRBlocks: 0
; VGPRBlocks: 0
; NumSGPRsForWavesPerEU: 6
; NumVGPRsForWavesPerEU: 1
; AccumOffset: 4
; Occupancy: 8
; WaveLimiterHint : 0
; COMPUTE_PGM_RSRC2:SCRATCH_EN: 0
; COMPUTE_PGM_RSRC2:USER_SGPR: 2
; COMPUTE_PGM_RSRC2:TRAP_HANDLER: 0
; COMPUTE_PGM_RSRC2:TGID_X_EN: 1
; COMPUTE_PGM_RSRC2:TGID_Y_EN: 0
; COMPUTE_PGM_RSRC2:TGID_Z_EN: 0
; COMPUTE_PGM_RSRC2:TIDIG_COMP_CNT: 0
; COMPUTE_PGM_RSRC3_GFX90A:ACCUM_OFFSET: 0
; COMPUTE_PGM_RSRC3_GFX90A:TG_SPLIT: 0
	.section	.text._ZN7rocprim17ROCPRIM_400000_NS6detail17trampoline_kernelINS0_14default_configENS1_25partition_config_selectorILNS1_17partition_subalgoE0EjNS0_10empty_typeEbEEZZNS1_14partition_implILS5_0ELb0ES3_jN6thrust23THRUST_200600_302600_NS6detail15normal_iteratorINSA_10device_ptrIjEEEEPS6_SG_NS0_5tupleIJNSA_16discard_iteratorINSA_11use_defaultEEESF_EEENSH_IJSG_SG_EEES6_PlJ7is_evenIjEEEE10hipError_tPvRmT3_T4_T5_T6_T7_T9_mT8_P12ihipStream_tbDpT10_ENKUlT_T0_E_clISt17integral_constantIbLb1EES19_EEDaS14_S15_EUlS14_E_NS1_11comp_targetILNS1_3genE10ELNS1_11target_archE1200ELNS1_3gpuE4ELNS1_3repE0EEENS1_30default_config_static_selectorELNS0_4arch9wavefront6targetE1EEEvT1_,"axG",@progbits,_ZN7rocprim17ROCPRIM_400000_NS6detail17trampoline_kernelINS0_14default_configENS1_25partition_config_selectorILNS1_17partition_subalgoE0EjNS0_10empty_typeEbEEZZNS1_14partition_implILS5_0ELb0ES3_jN6thrust23THRUST_200600_302600_NS6detail15normal_iteratorINSA_10device_ptrIjEEEEPS6_SG_NS0_5tupleIJNSA_16discard_iteratorINSA_11use_defaultEEESF_EEENSH_IJSG_SG_EEES6_PlJ7is_evenIjEEEE10hipError_tPvRmT3_T4_T5_T6_T7_T9_mT8_P12ihipStream_tbDpT10_ENKUlT_T0_E_clISt17integral_constantIbLb1EES19_EEDaS14_S15_EUlS14_E_NS1_11comp_targetILNS1_3genE10ELNS1_11target_archE1200ELNS1_3gpuE4ELNS1_3repE0EEENS1_30default_config_static_selectorELNS0_4arch9wavefront6targetE1EEEvT1_,comdat
	.protected	_ZN7rocprim17ROCPRIM_400000_NS6detail17trampoline_kernelINS0_14default_configENS1_25partition_config_selectorILNS1_17partition_subalgoE0EjNS0_10empty_typeEbEEZZNS1_14partition_implILS5_0ELb0ES3_jN6thrust23THRUST_200600_302600_NS6detail15normal_iteratorINSA_10device_ptrIjEEEEPS6_SG_NS0_5tupleIJNSA_16discard_iteratorINSA_11use_defaultEEESF_EEENSH_IJSG_SG_EEES6_PlJ7is_evenIjEEEE10hipError_tPvRmT3_T4_T5_T6_T7_T9_mT8_P12ihipStream_tbDpT10_ENKUlT_T0_E_clISt17integral_constantIbLb1EES19_EEDaS14_S15_EUlS14_E_NS1_11comp_targetILNS1_3genE10ELNS1_11target_archE1200ELNS1_3gpuE4ELNS1_3repE0EEENS1_30default_config_static_selectorELNS0_4arch9wavefront6targetE1EEEvT1_ ; -- Begin function _ZN7rocprim17ROCPRIM_400000_NS6detail17trampoline_kernelINS0_14default_configENS1_25partition_config_selectorILNS1_17partition_subalgoE0EjNS0_10empty_typeEbEEZZNS1_14partition_implILS5_0ELb0ES3_jN6thrust23THRUST_200600_302600_NS6detail15normal_iteratorINSA_10device_ptrIjEEEEPS6_SG_NS0_5tupleIJNSA_16discard_iteratorINSA_11use_defaultEEESF_EEENSH_IJSG_SG_EEES6_PlJ7is_evenIjEEEE10hipError_tPvRmT3_T4_T5_T6_T7_T9_mT8_P12ihipStream_tbDpT10_ENKUlT_T0_E_clISt17integral_constantIbLb1EES19_EEDaS14_S15_EUlS14_E_NS1_11comp_targetILNS1_3genE10ELNS1_11target_archE1200ELNS1_3gpuE4ELNS1_3repE0EEENS1_30default_config_static_selectorELNS0_4arch9wavefront6targetE1EEEvT1_
	.globl	_ZN7rocprim17ROCPRIM_400000_NS6detail17trampoline_kernelINS0_14default_configENS1_25partition_config_selectorILNS1_17partition_subalgoE0EjNS0_10empty_typeEbEEZZNS1_14partition_implILS5_0ELb0ES3_jN6thrust23THRUST_200600_302600_NS6detail15normal_iteratorINSA_10device_ptrIjEEEEPS6_SG_NS0_5tupleIJNSA_16discard_iteratorINSA_11use_defaultEEESF_EEENSH_IJSG_SG_EEES6_PlJ7is_evenIjEEEE10hipError_tPvRmT3_T4_T5_T6_T7_T9_mT8_P12ihipStream_tbDpT10_ENKUlT_T0_E_clISt17integral_constantIbLb1EES19_EEDaS14_S15_EUlS14_E_NS1_11comp_targetILNS1_3genE10ELNS1_11target_archE1200ELNS1_3gpuE4ELNS1_3repE0EEENS1_30default_config_static_selectorELNS0_4arch9wavefront6targetE1EEEvT1_
	.p2align	8
	.type	_ZN7rocprim17ROCPRIM_400000_NS6detail17trampoline_kernelINS0_14default_configENS1_25partition_config_selectorILNS1_17partition_subalgoE0EjNS0_10empty_typeEbEEZZNS1_14partition_implILS5_0ELb0ES3_jN6thrust23THRUST_200600_302600_NS6detail15normal_iteratorINSA_10device_ptrIjEEEEPS6_SG_NS0_5tupleIJNSA_16discard_iteratorINSA_11use_defaultEEESF_EEENSH_IJSG_SG_EEES6_PlJ7is_evenIjEEEE10hipError_tPvRmT3_T4_T5_T6_T7_T9_mT8_P12ihipStream_tbDpT10_ENKUlT_T0_E_clISt17integral_constantIbLb1EES19_EEDaS14_S15_EUlS14_E_NS1_11comp_targetILNS1_3genE10ELNS1_11target_archE1200ELNS1_3gpuE4ELNS1_3repE0EEENS1_30default_config_static_selectorELNS0_4arch9wavefront6targetE1EEEvT1_,@function
_ZN7rocprim17ROCPRIM_400000_NS6detail17trampoline_kernelINS0_14default_configENS1_25partition_config_selectorILNS1_17partition_subalgoE0EjNS0_10empty_typeEbEEZZNS1_14partition_implILS5_0ELb0ES3_jN6thrust23THRUST_200600_302600_NS6detail15normal_iteratorINSA_10device_ptrIjEEEEPS6_SG_NS0_5tupleIJNSA_16discard_iteratorINSA_11use_defaultEEESF_EEENSH_IJSG_SG_EEES6_PlJ7is_evenIjEEEE10hipError_tPvRmT3_T4_T5_T6_T7_T9_mT8_P12ihipStream_tbDpT10_ENKUlT_T0_E_clISt17integral_constantIbLb1EES19_EEDaS14_S15_EUlS14_E_NS1_11comp_targetILNS1_3genE10ELNS1_11target_archE1200ELNS1_3gpuE4ELNS1_3repE0EEENS1_30default_config_static_selectorELNS0_4arch9wavefront6targetE1EEEvT1_: ; @_ZN7rocprim17ROCPRIM_400000_NS6detail17trampoline_kernelINS0_14default_configENS1_25partition_config_selectorILNS1_17partition_subalgoE0EjNS0_10empty_typeEbEEZZNS1_14partition_implILS5_0ELb0ES3_jN6thrust23THRUST_200600_302600_NS6detail15normal_iteratorINSA_10device_ptrIjEEEEPS6_SG_NS0_5tupleIJNSA_16discard_iteratorINSA_11use_defaultEEESF_EEENSH_IJSG_SG_EEES6_PlJ7is_evenIjEEEE10hipError_tPvRmT3_T4_T5_T6_T7_T9_mT8_P12ihipStream_tbDpT10_ENKUlT_T0_E_clISt17integral_constantIbLb1EES19_EEDaS14_S15_EUlS14_E_NS1_11comp_targetILNS1_3genE10ELNS1_11target_archE1200ELNS1_3gpuE4ELNS1_3repE0EEENS1_30default_config_static_selectorELNS0_4arch9wavefront6targetE1EEEvT1_
; %bb.0:
	.section	.rodata,"a",@progbits
	.p2align	6, 0x0
	.amdhsa_kernel _ZN7rocprim17ROCPRIM_400000_NS6detail17trampoline_kernelINS0_14default_configENS1_25partition_config_selectorILNS1_17partition_subalgoE0EjNS0_10empty_typeEbEEZZNS1_14partition_implILS5_0ELb0ES3_jN6thrust23THRUST_200600_302600_NS6detail15normal_iteratorINSA_10device_ptrIjEEEEPS6_SG_NS0_5tupleIJNSA_16discard_iteratorINSA_11use_defaultEEESF_EEENSH_IJSG_SG_EEES6_PlJ7is_evenIjEEEE10hipError_tPvRmT3_T4_T5_T6_T7_T9_mT8_P12ihipStream_tbDpT10_ENKUlT_T0_E_clISt17integral_constantIbLb1EES19_EEDaS14_S15_EUlS14_E_NS1_11comp_targetILNS1_3genE10ELNS1_11target_archE1200ELNS1_3gpuE4ELNS1_3repE0EEENS1_30default_config_static_selectorELNS0_4arch9wavefront6targetE1EEEvT1_
		.amdhsa_group_segment_fixed_size 0
		.amdhsa_private_segment_fixed_size 0
		.amdhsa_kernarg_size 144
		.amdhsa_user_sgpr_count 2
		.amdhsa_user_sgpr_dispatch_ptr 0
		.amdhsa_user_sgpr_queue_ptr 0
		.amdhsa_user_sgpr_kernarg_segment_ptr 1
		.amdhsa_user_sgpr_dispatch_id 0
		.amdhsa_user_sgpr_kernarg_preload_length 0
		.amdhsa_user_sgpr_kernarg_preload_offset 0
		.amdhsa_user_sgpr_private_segment_size 0
		.amdhsa_uses_dynamic_stack 0
		.amdhsa_enable_private_segment 0
		.amdhsa_system_sgpr_workgroup_id_x 1
		.amdhsa_system_sgpr_workgroup_id_y 0
		.amdhsa_system_sgpr_workgroup_id_z 0
		.amdhsa_system_sgpr_workgroup_info 0
		.amdhsa_system_vgpr_workitem_id 0
		.amdhsa_next_free_vgpr 1
		.amdhsa_next_free_sgpr 0
		.amdhsa_accum_offset 4
		.amdhsa_reserve_vcc 0
		.amdhsa_float_round_mode_32 0
		.amdhsa_float_round_mode_16_64 0
		.amdhsa_float_denorm_mode_32 3
		.amdhsa_float_denorm_mode_16_64 3
		.amdhsa_dx10_clamp 1
		.amdhsa_ieee_mode 1
		.amdhsa_fp16_overflow 0
		.amdhsa_tg_split 0
		.amdhsa_exception_fp_ieee_invalid_op 0
		.amdhsa_exception_fp_denorm_src 0
		.amdhsa_exception_fp_ieee_div_zero 0
		.amdhsa_exception_fp_ieee_overflow 0
		.amdhsa_exception_fp_ieee_underflow 0
		.amdhsa_exception_fp_ieee_inexact 0
		.amdhsa_exception_int_div_zero 0
	.end_amdhsa_kernel
	.section	.text._ZN7rocprim17ROCPRIM_400000_NS6detail17trampoline_kernelINS0_14default_configENS1_25partition_config_selectorILNS1_17partition_subalgoE0EjNS0_10empty_typeEbEEZZNS1_14partition_implILS5_0ELb0ES3_jN6thrust23THRUST_200600_302600_NS6detail15normal_iteratorINSA_10device_ptrIjEEEEPS6_SG_NS0_5tupleIJNSA_16discard_iteratorINSA_11use_defaultEEESF_EEENSH_IJSG_SG_EEES6_PlJ7is_evenIjEEEE10hipError_tPvRmT3_T4_T5_T6_T7_T9_mT8_P12ihipStream_tbDpT10_ENKUlT_T0_E_clISt17integral_constantIbLb1EES19_EEDaS14_S15_EUlS14_E_NS1_11comp_targetILNS1_3genE10ELNS1_11target_archE1200ELNS1_3gpuE4ELNS1_3repE0EEENS1_30default_config_static_selectorELNS0_4arch9wavefront6targetE1EEEvT1_,"axG",@progbits,_ZN7rocprim17ROCPRIM_400000_NS6detail17trampoline_kernelINS0_14default_configENS1_25partition_config_selectorILNS1_17partition_subalgoE0EjNS0_10empty_typeEbEEZZNS1_14partition_implILS5_0ELb0ES3_jN6thrust23THRUST_200600_302600_NS6detail15normal_iteratorINSA_10device_ptrIjEEEEPS6_SG_NS0_5tupleIJNSA_16discard_iteratorINSA_11use_defaultEEESF_EEENSH_IJSG_SG_EEES6_PlJ7is_evenIjEEEE10hipError_tPvRmT3_T4_T5_T6_T7_T9_mT8_P12ihipStream_tbDpT10_ENKUlT_T0_E_clISt17integral_constantIbLb1EES19_EEDaS14_S15_EUlS14_E_NS1_11comp_targetILNS1_3genE10ELNS1_11target_archE1200ELNS1_3gpuE4ELNS1_3repE0EEENS1_30default_config_static_selectorELNS0_4arch9wavefront6targetE1EEEvT1_,comdat
.Lfunc_end2472:
	.size	_ZN7rocprim17ROCPRIM_400000_NS6detail17trampoline_kernelINS0_14default_configENS1_25partition_config_selectorILNS1_17partition_subalgoE0EjNS0_10empty_typeEbEEZZNS1_14partition_implILS5_0ELb0ES3_jN6thrust23THRUST_200600_302600_NS6detail15normal_iteratorINSA_10device_ptrIjEEEEPS6_SG_NS0_5tupleIJNSA_16discard_iteratorINSA_11use_defaultEEESF_EEENSH_IJSG_SG_EEES6_PlJ7is_evenIjEEEE10hipError_tPvRmT3_T4_T5_T6_T7_T9_mT8_P12ihipStream_tbDpT10_ENKUlT_T0_E_clISt17integral_constantIbLb1EES19_EEDaS14_S15_EUlS14_E_NS1_11comp_targetILNS1_3genE10ELNS1_11target_archE1200ELNS1_3gpuE4ELNS1_3repE0EEENS1_30default_config_static_selectorELNS0_4arch9wavefront6targetE1EEEvT1_, .Lfunc_end2472-_ZN7rocprim17ROCPRIM_400000_NS6detail17trampoline_kernelINS0_14default_configENS1_25partition_config_selectorILNS1_17partition_subalgoE0EjNS0_10empty_typeEbEEZZNS1_14partition_implILS5_0ELb0ES3_jN6thrust23THRUST_200600_302600_NS6detail15normal_iteratorINSA_10device_ptrIjEEEEPS6_SG_NS0_5tupleIJNSA_16discard_iteratorINSA_11use_defaultEEESF_EEENSH_IJSG_SG_EEES6_PlJ7is_evenIjEEEE10hipError_tPvRmT3_T4_T5_T6_T7_T9_mT8_P12ihipStream_tbDpT10_ENKUlT_T0_E_clISt17integral_constantIbLb1EES19_EEDaS14_S15_EUlS14_E_NS1_11comp_targetILNS1_3genE10ELNS1_11target_archE1200ELNS1_3gpuE4ELNS1_3repE0EEENS1_30default_config_static_selectorELNS0_4arch9wavefront6targetE1EEEvT1_
                                        ; -- End function
	.section	.AMDGPU.csdata,"",@progbits
; Kernel info:
; codeLenInByte = 0
; NumSgprs: 6
; NumVgprs: 0
; NumAgprs: 0
; TotalNumVgprs: 0
; ScratchSize: 0
; MemoryBound: 0
; FloatMode: 240
; IeeeMode: 1
; LDSByteSize: 0 bytes/workgroup (compile time only)
; SGPRBlocks: 0
; VGPRBlocks: 0
; NumSGPRsForWavesPerEU: 6
; NumVGPRsForWavesPerEU: 1
; AccumOffset: 4
; Occupancy: 8
; WaveLimiterHint : 0
; COMPUTE_PGM_RSRC2:SCRATCH_EN: 0
; COMPUTE_PGM_RSRC2:USER_SGPR: 2
; COMPUTE_PGM_RSRC2:TRAP_HANDLER: 0
; COMPUTE_PGM_RSRC2:TGID_X_EN: 1
; COMPUTE_PGM_RSRC2:TGID_Y_EN: 0
; COMPUTE_PGM_RSRC2:TGID_Z_EN: 0
; COMPUTE_PGM_RSRC2:TIDIG_COMP_CNT: 0
; COMPUTE_PGM_RSRC3_GFX90A:ACCUM_OFFSET: 0
; COMPUTE_PGM_RSRC3_GFX90A:TG_SPLIT: 0
	.section	.text._ZN7rocprim17ROCPRIM_400000_NS6detail17trampoline_kernelINS0_14default_configENS1_25partition_config_selectorILNS1_17partition_subalgoE0EjNS0_10empty_typeEbEEZZNS1_14partition_implILS5_0ELb0ES3_jN6thrust23THRUST_200600_302600_NS6detail15normal_iteratorINSA_10device_ptrIjEEEEPS6_SG_NS0_5tupleIJNSA_16discard_iteratorINSA_11use_defaultEEESF_EEENSH_IJSG_SG_EEES6_PlJ7is_evenIjEEEE10hipError_tPvRmT3_T4_T5_T6_T7_T9_mT8_P12ihipStream_tbDpT10_ENKUlT_T0_E_clISt17integral_constantIbLb1EES19_EEDaS14_S15_EUlS14_E_NS1_11comp_targetILNS1_3genE9ELNS1_11target_archE1100ELNS1_3gpuE3ELNS1_3repE0EEENS1_30default_config_static_selectorELNS0_4arch9wavefront6targetE1EEEvT1_,"axG",@progbits,_ZN7rocprim17ROCPRIM_400000_NS6detail17trampoline_kernelINS0_14default_configENS1_25partition_config_selectorILNS1_17partition_subalgoE0EjNS0_10empty_typeEbEEZZNS1_14partition_implILS5_0ELb0ES3_jN6thrust23THRUST_200600_302600_NS6detail15normal_iteratorINSA_10device_ptrIjEEEEPS6_SG_NS0_5tupleIJNSA_16discard_iteratorINSA_11use_defaultEEESF_EEENSH_IJSG_SG_EEES6_PlJ7is_evenIjEEEE10hipError_tPvRmT3_T4_T5_T6_T7_T9_mT8_P12ihipStream_tbDpT10_ENKUlT_T0_E_clISt17integral_constantIbLb1EES19_EEDaS14_S15_EUlS14_E_NS1_11comp_targetILNS1_3genE9ELNS1_11target_archE1100ELNS1_3gpuE3ELNS1_3repE0EEENS1_30default_config_static_selectorELNS0_4arch9wavefront6targetE1EEEvT1_,comdat
	.protected	_ZN7rocprim17ROCPRIM_400000_NS6detail17trampoline_kernelINS0_14default_configENS1_25partition_config_selectorILNS1_17partition_subalgoE0EjNS0_10empty_typeEbEEZZNS1_14partition_implILS5_0ELb0ES3_jN6thrust23THRUST_200600_302600_NS6detail15normal_iteratorINSA_10device_ptrIjEEEEPS6_SG_NS0_5tupleIJNSA_16discard_iteratorINSA_11use_defaultEEESF_EEENSH_IJSG_SG_EEES6_PlJ7is_evenIjEEEE10hipError_tPvRmT3_T4_T5_T6_T7_T9_mT8_P12ihipStream_tbDpT10_ENKUlT_T0_E_clISt17integral_constantIbLb1EES19_EEDaS14_S15_EUlS14_E_NS1_11comp_targetILNS1_3genE9ELNS1_11target_archE1100ELNS1_3gpuE3ELNS1_3repE0EEENS1_30default_config_static_selectorELNS0_4arch9wavefront6targetE1EEEvT1_ ; -- Begin function _ZN7rocprim17ROCPRIM_400000_NS6detail17trampoline_kernelINS0_14default_configENS1_25partition_config_selectorILNS1_17partition_subalgoE0EjNS0_10empty_typeEbEEZZNS1_14partition_implILS5_0ELb0ES3_jN6thrust23THRUST_200600_302600_NS6detail15normal_iteratorINSA_10device_ptrIjEEEEPS6_SG_NS0_5tupleIJNSA_16discard_iteratorINSA_11use_defaultEEESF_EEENSH_IJSG_SG_EEES6_PlJ7is_evenIjEEEE10hipError_tPvRmT3_T4_T5_T6_T7_T9_mT8_P12ihipStream_tbDpT10_ENKUlT_T0_E_clISt17integral_constantIbLb1EES19_EEDaS14_S15_EUlS14_E_NS1_11comp_targetILNS1_3genE9ELNS1_11target_archE1100ELNS1_3gpuE3ELNS1_3repE0EEENS1_30default_config_static_selectorELNS0_4arch9wavefront6targetE1EEEvT1_
	.globl	_ZN7rocprim17ROCPRIM_400000_NS6detail17trampoline_kernelINS0_14default_configENS1_25partition_config_selectorILNS1_17partition_subalgoE0EjNS0_10empty_typeEbEEZZNS1_14partition_implILS5_0ELb0ES3_jN6thrust23THRUST_200600_302600_NS6detail15normal_iteratorINSA_10device_ptrIjEEEEPS6_SG_NS0_5tupleIJNSA_16discard_iteratorINSA_11use_defaultEEESF_EEENSH_IJSG_SG_EEES6_PlJ7is_evenIjEEEE10hipError_tPvRmT3_T4_T5_T6_T7_T9_mT8_P12ihipStream_tbDpT10_ENKUlT_T0_E_clISt17integral_constantIbLb1EES19_EEDaS14_S15_EUlS14_E_NS1_11comp_targetILNS1_3genE9ELNS1_11target_archE1100ELNS1_3gpuE3ELNS1_3repE0EEENS1_30default_config_static_selectorELNS0_4arch9wavefront6targetE1EEEvT1_
	.p2align	8
	.type	_ZN7rocprim17ROCPRIM_400000_NS6detail17trampoline_kernelINS0_14default_configENS1_25partition_config_selectorILNS1_17partition_subalgoE0EjNS0_10empty_typeEbEEZZNS1_14partition_implILS5_0ELb0ES3_jN6thrust23THRUST_200600_302600_NS6detail15normal_iteratorINSA_10device_ptrIjEEEEPS6_SG_NS0_5tupleIJNSA_16discard_iteratorINSA_11use_defaultEEESF_EEENSH_IJSG_SG_EEES6_PlJ7is_evenIjEEEE10hipError_tPvRmT3_T4_T5_T6_T7_T9_mT8_P12ihipStream_tbDpT10_ENKUlT_T0_E_clISt17integral_constantIbLb1EES19_EEDaS14_S15_EUlS14_E_NS1_11comp_targetILNS1_3genE9ELNS1_11target_archE1100ELNS1_3gpuE3ELNS1_3repE0EEENS1_30default_config_static_selectorELNS0_4arch9wavefront6targetE1EEEvT1_,@function
_ZN7rocprim17ROCPRIM_400000_NS6detail17trampoline_kernelINS0_14default_configENS1_25partition_config_selectorILNS1_17partition_subalgoE0EjNS0_10empty_typeEbEEZZNS1_14partition_implILS5_0ELb0ES3_jN6thrust23THRUST_200600_302600_NS6detail15normal_iteratorINSA_10device_ptrIjEEEEPS6_SG_NS0_5tupleIJNSA_16discard_iteratorINSA_11use_defaultEEESF_EEENSH_IJSG_SG_EEES6_PlJ7is_evenIjEEEE10hipError_tPvRmT3_T4_T5_T6_T7_T9_mT8_P12ihipStream_tbDpT10_ENKUlT_T0_E_clISt17integral_constantIbLb1EES19_EEDaS14_S15_EUlS14_E_NS1_11comp_targetILNS1_3genE9ELNS1_11target_archE1100ELNS1_3gpuE3ELNS1_3repE0EEENS1_30default_config_static_selectorELNS0_4arch9wavefront6targetE1EEEvT1_: ; @_ZN7rocprim17ROCPRIM_400000_NS6detail17trampoline_kernelINS0_14default_configENS1_25partition_config_selectorILNS1_17partition_subalgoE0EjNS0_10empty_typeEbEEZZNS1_14partition_implILS5_0ELb0ES3_jN6thrust23THRUST_200600_302600_NS6detail15normal_iteratorINSA_10device_ptrIjEEEEPS6_SG_NS0_5tupleIJNSA_16discard_iteratorINSA_11use_defaultEEESF_EEENSH_IJSG_SG_EEES6_PlJ7is_evenIjEEEE10hipError_tPvRmT3_T4_T5_T6_T7_T9_mT8_P12ihipStream_tbDpT10_ENKUlT_T0_E_clISt17integral_constantIbLb1EES19_EEDaS14_S15_EUlS14_E_NS1_11comp_targetILNS1_3genE9ELNS1_11target_archE1100ELNS1_3gpuE3ELNS1_3repE0EEENS1_30default_config_static_selectorELNS0_4arch9wavefront6targetE1EEEvT1_
; %bb.0:
	.section	.rodata,"a",@progbits
	.p2align	6, 0x0
	.amdhsa_kernel _ZN7rocprim17ROCPRIM_400000_NS6detail17trampoline_kernelINS0_14default_configENS1_25partition_config_selectorILNS1_17partition_subalgoE0EjNS0_10empty_typeEbEEZZNS1_14partition_implILS5_0ELb0ES3_jN6thrust23THRUST_200600_302600_NS6detail15normal_iteratorINSA_10device_ptrIjEEEEPS6_SG_NS0_5tupleIJNSA_16discard_iteratorINSA_11use_defaultEEESF_EEENSH_IJSG_SG_EEES6_PlJ7is_evenIjEEEE10hipError_tPvRmT3_T4_T5_T6_T7_T9_mT8_P12ihipStream_tbDpT10_ENKUlT_T0_E_clISt17integral_constantIbLb1EES19_EEDaS14_S15_EUlS14_E_NS1_11comp_targetILNS1_3genE9ELNS1_11target_archE1100ELNS1_3gpuE3ELNS1_3repE0EEENS1_30default_config_static_selectorELNS0_4arch9wavefront6targetE1EEEvT1_
		.amdhsa_group_segment_fixed_size 0
		.amdhsa_private_segment_fixed_size 0
		.amdhsa_kernarg_size 144
		.amdhsa_user_sgpr_count 2
		.amdhsa_user_sgpr_dispatch_ptr 0
		.amdhsa_user_sgpr_queue_ptr 0
		.amdhsa_user_sgpr_kernarg_segment_ptr 1
		.amdhsa_user_sgpr_dispatch_id 0
		.amdhsa_user_sgpr_kernarg_preload_length 0
		.amdhsa_user_sgpr_kernarg_preload_offset 0
		.amdhsa_user_sgpr_private_segment_size 0
		.amdhsa_uses_dynamic_stack 0
		.amdhsa_enable_private_segment 0
		.amdhsa_system_sgpr_workgroup_id_x 1
		.amdhsa_system_sgpr_workgroup_id_y 0
		.amdhsa_system_sgpr_workgroup_id_z 0
		.amdhsa_system_sgpr_workgroup_info 0
		.amdhsa_system_vgpr_workitem_id 0
		.amdhsa_next_free_vgpr 1
		.amdhsa_next_free_sgpr 0
		.amdhsa_accum_offset 4
		.amdhsa_reserve_vcc 0
		.amdhsa_float_round_mode_32 0
		.amdhsa_float_round_mode_16_64 0
		.amdhsa_float_denorm_mode_32 3
		.amdhsa_float_denorm_mode_16_64 3
		.amdhsa_dx10_clamp 1
		.amdhsa_ieee_mode 1
		.amdhsa_fp16_overflow 0
		.amdhsa_tg_split 0
		.amdhsa_exception_fp_ieee_invalid_op 0
		.amdhsa_exception_fp_denorm_src 0
		.amdhsa_exception_fp_ieee_div_zero 0
		.amdhsa_exception_fp_ieee_overflow 0
		.amdhsa_exception_fp_ieee_underflow 0
		.amdhsa_exception_fp_ieee_inexact 0
		.amdhsa_exception_int_div_zero 0
	.end_amdhsa_kernel
	.section	.text._ZN7rocprim17ROCPRIM_400000_NS6detail17trampoline_kernelINS0_14default_configENS1_25partition_config_selectorILNS1_17partition_subalgoE0EjNS0_10empty_typeEbEEZZNS1_14partition_implILS5_0ELb0ES3_jN6thrust23THRUST_200600_302600_NS6detail15normal_iteratorINSA_10device_ptrIjEEEEPS6_SG_NS0_5tupleIJNSA_16discard_iteratorINSA_11use_defaultEEESF_EEENSH_IJSG_SG_EEES6_PlJ7is_evenIjEEEE10hipError_tPvRmT3_T4_T5_T6_T7_T9_mT8_P12ihipStream_tbDpT10_ENKUlT_T0_E_clISt17integral_constantIbLb1EES19_EEDaS14_S15_EUlS14_E_NS1_11comp_targetILNS1_3genE9ELNS1_11target_archE1100ELNS1_3gpuE3ELNS1_3repE0EEENS1_30default_config_static_selectorELNS0_4arch9wavefront6targetE1EEEvT1_,"axG",@progbits,_ZN7rocprim17ROCPRIM_400000_NS6detail17trampoline_kernelINS0_14default_configENS1_25partition_config_selectorILNS1_17partition_subalgoE0EjNS0_10empty_typeEbEEZZNS1_14partition_implILS5_0ELb0ES3_jN6thrust23THRUST_200600_302600_NS6detail15normal_iteratorINSA_10device_ptrIjEEEEPS6_SG_NS0_5tupleIJNSA_16discard_iteratorINSA_11use_defaultEEESF_EEENSH_IJSG_SG_EEES6_PlJ7is_evenIjEEEE10hipError_tPvRmT3_T4_T5_T6_T7_T9_mT8_P12ihipStream_tbDpT10_ENKUlT_T0_E_clISt17integral_constantIbLb1EES19_EEDaS14_S15_EUlS14_E_NS1_11comp_targetILNS1_3genE9ELNS1_11target_archE1100ELNS1_3gpuE3ELNS1_3repE0EEENS1_30default_config_static_selectorELNS0_4arch9wavefront6targetE1EEEvT1_,comdat
.Lfunc_end2473:
	.size	_ZN7rocprim17ROCPRIM_400000_NS6detail17trampoline_kernelINS0_14default_configENS1_25partition_config_selectorILNS1_17partition_subalgoE0EjNS0_10empty_typeEbEEZZNS1_14partition_implILS5_0ELb0ES3_jN6thrust23THRUST_200600_302600_NS6detail15normal_iteratorINSA_10device_ptrIjEEEEPS6_SG_NS0_5tupleIJNSA_16discard_iteratorINSA_11use_defaultEEESF_EEENSH_IJSG_SG_EEES6_PlJ7is_evenIjEEEE10hipError_tPvRmT3_T4_T5_T6_T7_T9_mT8_P12ihipStream_tbDpT10_ENKUlT_T0_E_clISt17integral_constantIbLb1EES19_EEDaS14_S15_EUlS14_E_NS1_11comp_targetILNS1_3genE9ELNS1_11target_archE1100ELNS1_3gpuE3ELNS1_3repE0EEENS1_30default_config_static_selectorELNS0_4arch9wavefront6targetE1EEEvT1_, .Lfunc_end2473-_ZN7rocprim17ROCPRIM_400000_NS6detail17trampoline_kernelINS0_14default_configENS1_25partition_config_selectorILNS1_17partition_subalgoE0EjNS0_10empty_typeEbEEZZNS1_14partition_implILS5_0ELb0ES3_jN6thrust23THRUST_200600_302600_NS6detail15normal_iteratorINSA_10device_ptrIjEEEEPS6_SG_NS0_5tupleIJNSA_16discard_iteratorINSA_11use_defaultEEESF_EEENSH_IJSG_SG_EEES6_PlJ7is_evenIjEEEE10hipError_tPvRmT3_T4_T5_T6_T7_T9_mT8_P12ihipStream_tbDpT10_ENKUlT_T0_E_clISt17integral_constantIbLb1EES19_EEDaS14_S15_EUlS14_E_NS1_11comp_targetILNS1_3genE9ELNS1_11target_archE1100ELNS1_3gpuE3ELNS1_3repE0EEENS1_30default_config_static_selectorELNS0_4arch9wavefront6targetE1EEEvT1_
                                        ; -- End function
	.section	.AMDGPU.csdata,"",@progbits
; Kernel info:
; codeLenInByte = 0
; NumSgprs: 6
; NumVgprs: 0
; NumAgprs: 0
; TotalNumVgprs: 0
; ScratchSize: 0
; MemoryBound: 0
; FloatMode: 240
; IeeeMode: 1
; LDSByteSize: 0 bytes/workgroup (compile time only)
; SGPRBlocks: 0
; VGPRBlocks: 0
; NumSGPRsForWavesPerEU: 6
; NumVGPRsForWavesPerEU: 1
; AccumOffset: 4
; Occupancy: 8
; WaveLimiterHint : 0
; COMPUTE_PGM_RSRC2:SCRATCH_EN: 0
; COMPUTE_PGM_RSRC2:USER_SGPR: 2
; COMPUTE_PGM_RSRC2:TRAP_HANDLER: 0
; COMPUTE_PGM_RSRC2:TGID_X_EN: 1
; COMPUTE_PGM_RSRC2:TGID_Y_EN: 0
; COMPUTE_PGM_RSRC2:TGID_Z_EN: 0
; COMPUTE_PGM_RSRC2:TIDIG_COMP_CNT: 0
; COMPUTE_PGM_RSRC3_GFX90A:ACCUM_OFFSET: 0
; COMPUTE_PGM_RSRC3_GFX90A:TG_SPLIT: 0
	.section	.text._ZN7rocprim17ROCPRIM_400000_NS6detail17trampoline_kernelINS0_14default_configENS1_25partition_config_selectorILNS1_17partition_subalgoE0EjNS0_10empty_typeEbEEZZNS1_14partition_implILS5_0ELb0ES3_jN6thrust23THRUST_200600_302600_NS6detail15normal_iteratorINSA_10device_ptrIjEEEEPS6_SG_NS0_5tupleIJNSA_16discard_iteratorINSA_11use_defaultEEESF_EEENSH_IJSG_SG_EEES6_PlJ7is_evenIjEEEE10hipError_tPvRmT3_T4_T5_T6_T7_T9_mT8_P12ihipStream_tbDpT10_ENKUlT_T0_E_clISt17integral_constantIbLb1EES19_EEDaS14_S15_EUlS14_E_NS1_11comp_targetILNS1_3genE8ELNS1_11target_archE1030ELNS1_3gpuE2ELNS1_3repE0EEENS1_30default_config_static_selectorELNS0_4arch9wavefront6targetE1EEEvT1_,"axG",@progbits,_ZN7rocprim17ROCPRIM_400000_NS6detail17trampoline_kernelINS0_14default_configENS1_25partition_config_selectorILNS1_17partition_subalgoE0EjNS0_10empty_typeEbEEZZNS1_14partition_implILS5_0ELb0ES3_jN6thrust23THRUST_200600_302600_NS6detail15normal_iteratorINSA_10device_ptrIjEEEEPS6_SG_NS0_5tupleIJNSA_16discard_iteratorINSA_11use_defaultEEESF_EEENSH_IJSG_SG_EEES6_PlJ7is_evenIjEEEE10hipError_tPvRmT3_T4_T5_T6_T7_T9_mT8_P12ihipStream_tbDpT10_ENKUlT_T0_E_clISt17integral_constantIbLb1EES19_EEDaS14_S15_EUlS14_E_NS1_11comp_targetILNS1_3genE8ELNS1_11target_archE1030ELNS1_3gpuE2ELNS1_3repE0EEENS1_30default_config_static_selectorELNS0_4arch9wavefront6targetE1EEEvT1_,comdat
	.protected	_ZN7rocprim17ROCPRIM_400000_NS6detail17trampoline_kernelINS0_14default_configENS1_25partition_config_selectorILNS1_17partition_subalgoE0EjNS0_10empty_typeEbEEZZNS1_14partition_implILS5_0ELb0ES3_jN6thrust23THRUST_200600_302600_NS6detail15normal_iteratorINSA_10device_ptrIjEEEEPS6_SG_NS0_5tupleIJNSA_16discard_iteratorINSA_11use_defaultEEESF_EEENSH_IJSG_SG_EEES6_PlJ7is_evenIjEEEE10hipError_tPvRmT3_T4_T5_T6_T7_T9_mT8_P12ihipStream_tbDpT10_ENKUlT_T0_E_clISt17integral_constantIbLb1EES19_EEDaS14_S15_EUlS14_E_NS1_11comp_targetILNS1_3genE8ELNS1_11target_archE1030ELNS1_3gpuE2ELNS1_3repE0EEENS1_30default_config_static_selectorELNS0_4arch9wavefront6targetE1EEEvT1_ ; -- Begin function _ZN7rocprim17ROCPRIM_400000_NS6detail17trampoline_kernelINS0_14default_configENS1_25partition_config_selectorILNS1_17partition_subalgoE0EjNS0_10empty_typeEbEEZZNS1_14partition_implILS5_0ELb0ES3_jN6thrust23THRUST_200600_302600_NS6detail15normal_iteratorINSA_10device_ptrIjEEEEPS6_SG_NS0_5tupleIJNSA_16discard_iteratorINSA_11use_defaultEEESF_EEENSH_IJSG_SG_EEES6_PlJ7is_evenIjEEEE10hipError_tPvRmT3_T4_T5_T6_T7_T9_mT8_P12ihipStream_tbDpT10_ENKUlT_T0_E_clISt17integral_constantIbLb1EES19_EEDaS14_S15_EUlS14_E_NS1_11comp_targetILNS1_3genE8ELNS1_11target_archE1030ELNS1_3gpuE2ELNS1_3repE0EEENS1_30default_config_static_selectorELNS0_4arch9wavefront6targetE1EEEvT1_
	.globl	_ZN7rocprim17ROCPRIM_400000_NS6detail17trampoline_kernelINS0_14default_configENS1_25partition_config_selectorILNS1_17partition_subalgoE0EjNS0_10empty_typeEbEEZZNS1_14partition_implILS5_0ELb0ES3_jN6thrust23THRUST_200600_302600_NS6detail15normal_iteratorINSA_10device_ptrIjEEEEPS6_SG_NS0_5tupleIJNSA_16discard_iteratorINSA_11use_defaultEEESF_EEENSH_IJSG_SG_EEES6_PlJ7is_evenIjEEEE10hipError_tPvRmT3_T4_T5_T6_T7_T9_mT8_P12ihipStream_tbDpT10_ENKUlT_T0_E_clISt17integral_constantIbLb1EES19_EEDaS14_S15_EUlS14_E_NS1_11comp_targetILNS1_3genE8ELNS1_11target_archE1030ELNS1_3gpuE2ELNS1_3repE0EEENS1_30default_config_static_selectorELNS0_4arch9wavefront6targetE1EEEvT1_
	.p2align	8
	.type	_ZN7rocprim17ROCPRIM_400000_NS6detail17trampoline_kernelINS0_14default_configENS1_25partition_config_selectorILNS1_17partition_subalgoE0EjNS0_10empty_typeEbEEZZNS1_14partition_implILS5_0ELb0ES3_jN6thrust23THRUST_200600_302600_NS6detail15normal_iteratorINSA_10device_ptrIjEEEEPS6_SG_NS0_5tupleIJNSA_16discard_iteratorINSA_11use_defaultEEESF_EEENSH_IJSG_SG_EEES6_PlJ7is_evenIjEEEE10hipError_tPvRmT3_T4_T5_T6_T7_T9_mT8_P12ihipStream_tbDpT10_ENKUlT_T0_E_clISt17integral_constantIbLb1EES19_EEDaS14_S15_EUlS14_E_NS1_11comp_targetILNS1_3genE8ELNS1_11target_archE1030ELNS1_3gpuE2ELNS1_3repE0EEENS1_30default_config_static_selectorELNS0_4arch9wavefront6targetE1EEEvT1_,@function
_ZN7rocprim17ROCPRIM_400000_NS6detail17trampoline_kernelINS0_14default_configENS1_25partition_config_selectorILNS1_17partition_subalgoE0EjNS0_10empty_typeEbEEZZNS1_14partition_implILS5_0ELb0ES3_jN6thrust23THRUST_200600_302600_NS6detail15normal_iteratorINSA_10device_ptrIjEEEEPS6_SG_NS0_5tupleIJNSA_16discard_iteratorINSA_11use_defaultEEESF_EEENSH_IJSG_SG_EEES6_PlJ7is_evenIjEEEE10hipError_tPvRmT3_T4_T5_T6_T7_T9_mT8_P12ihipStream_tbDpT10_ENKUlT_T0_E_clISt17integral_constantIbLb1EES19_EEDaS14_S15_EUlS14_E_NS1_11comp_targetILNS1_3genE8ELNS1_11target_archE1030ELNS1_3gpuE2ELNS1_3repE0EEENS1_30default_config_static_selectorELNS0_4arch9wavefront6targetE1EEEvT1_: ; @_ZN7rocprim17ROCPRIM_400000_NS6detail17trampoline_kernelINS0_14default_configENS1_25partition_config_selectorILNS1_17partition_subalgoE0EjNS0_10empty_typeEbEEZZNS1_14partition_implILS5_0ELb0ES3_jN6thrust23THRUST_200600_302600_NS6detail15normal_iteratorINSA_10device_ptrIjEEEEPS6_SG_NS0_5tupleIJNSA_16discard_iteratorINSA_11use_defaultEEESF_EEENSH_IJSG_SG_EEES6_PlJ7is_evenIjEEEE10hipError_tPvRmT3_T4_T5_T6_T7_T9_mT8_P12ihipStream_tbDpT10_ENKUlT_T0_E_clISt17integral_constantIbLb1EES19_EEDaS14_S15_EUlS14_E_NS1_11comp_targetILNS1_3genE8ELNS1_11target_archE1030ELNS1_3gpuE2ELNS1_3repE0EEENS1_30default_config_static_selectorELNS0_4arch9wavefront6targetE1EEEvT1_
; %bb.0:
	.section	.rodata,"a",@progbits
	.p2align	6, 0x0
	.amdhsa_kernel _ZN7rocprim17ROCPRIM_400000_NS6detail17trampoline_kernelINS0_14default_configENS1_25partition_config_selectorILNS1_17partition_subalgoE0EjNS0_10empty_typeEbEEZZNS1_14partition_implILS5_0ELb0ES3_jN6thrust23THRUST_200600_302600_NS6detail15normal_iteratorINSA_10device_ptrIjEEEEPS6_SG_NS0_5tupleIJNSA_16discard_iteratorINSA_11use_defaultEEESF_EEENSH_IJSG_SG_EEES6_PlJ7is_evenIjEEEE10hipError_tPvRmT3_T4_T5_T6_T7_T9_mT8_P12ihipStream_tbDpT10_ENKUlT_T0_E_clISt17integral_constantIbLb1EES19_EEDaS14_S15_EUlS14_E_NS1_11comp_targetILNS1_3genE8ELNS1_11target_archE1030ELNS1_3gpuE2ELNS1_3repE0EEENS1_30default_config_static_selectorELNS0_4arch9wavefront6targetE1EEEvT1_
		.amdhsa_group_segment_fixed_size 0
		.amdhsa_private_segment_fixed_size 0
		.amdhsa_kernarg_size 144
		.amdhsa_user_sgpr_count 2
		.amdhsa_user_sgpr_dispatch_ptr 0
		.amdhsa_user_sgpr_queue_ptr 0
		.amdhsa_user_sgpr_kernarg_segment_ptr 1
		.amdhsa_user_sgpr_dispatch_id 0
		.amdhsa_user_sgpr_kernarg_preload_length 0
		.amdhsa_user_sgpr_kernarg_preload_offset 0
		.amdhsa_user_sgpr_private_segment_size 0
		.amdhsa_uses_dynamic_stack 0
		.amdhsa_enable_private_segment 0
		.amdhsa_system_sgpr_workgroup_id_x 1
		.amdhsa_system_sgpr_workgroup_id_y 0
		.amdhsa_system_sgpr_workgroup_id_z 0
		.amdhsa_system_sgpr_workgroup_info 0
		.amdhsa_system_vgpr_workitem_id 0
		.amdhsa_next_free_vgpr 1
		.amdhsa_next_free_sgpr 0
		.amdhsa_accum_offset 4
		.amdhsa_reserve_vcc 0
		.amdhsa_float_round_mode_32 0
		.amdhsa_float_round_mode_16_64 0
		.amdhsa_float_denorm_mode_32 3
		.amdhsa_float_denorm_mode_16_64 3
		.amdhsa_dx10_clamp 1
		.amdhsa_ieee_mode 1
		.amdhsa_fp16_overflow 0
		.amdhsa_tg_split 0
		.amdhsa_exception_fp_ieee_invalid_op 0
		.amdhsa_exception_fp_denorm_src 0
		.amdhsa_exception_fp_ieee_div_zero 0
		.amdhsa_exception_fp_ieee_overflow 0
		.amdhsa_exception_fp_ieee_underflow 0
		.amdhsa_exception_fp_ieee_inexact 0
		.amdhsa_exception_int_div_zero 0
	.end_amdhsa_kernel
	.section	.text._ZN7rocprim17ROCPRIM_400000_NS6detail17trampoline_kernelINS0_14default_configENS1_25partition_config_selectorILNS1_17partition_subalgoE0EjNS0_10empty_typeEbEEZZNS1_14partition_implILS5_0ELb0ES3_jN6thrust23THRUST_200600_302600_NS6detail15normal_iteratorINSA_10device_ptrIjEEEEPS6_SG_NS0_5tupleIJNSA_16discard_iteratorINSA_11use_defaultEEESF_EEENSH_IJSG_SG_EEES6_PlJ7is_evenIjEEEE10hipError_tPvRmT3_T4_T5_T6_T7_T9_mT8_P12ihipStream_tbDpT10_ENKUlT_T0_E_clISt17integral_constantIbLb1EES19_EEDaS14_S15_EUlS14_E_NS1_11comp_targetILNS1_3genE8ELNS1_11target_archE1030ELNS1_3gpuE2ELNS1_3repE0EEENS1_30default_config_static_selectorELNS0_4arch9wavefront6targetE1EEEvT1_,"axG",@progbits,_ZN7rocprim17ROCPRIM_400000_NS6detail17trampoline_kernelINS0_14default_configENS1_25partition_config_selectorILNS1_17partition_subalgoE0EjNS0_10empty_typeEbEEZZNS1_14partition_implILS5_0ELb0ES3_jN6thrust23THRUST_200600_302600_NS6detail15normal_iteratorINSA_10device_ptrIjEEEEPS6_SG_NS0_5tupleIJNSA_16discard_iteratorINSA_11use_defaultEEESF_EEENSH_IJSG_SG_EEES6_PlJ7is_evenIjEEEE10hipError_tPvRmT3_T4_T5_T6_T7_T9_mT8_P12ihipStream_tbDpT10_ENKUlT_T0_E_clISt17integral_constantIbLb1EES19_EEDaS14_S15_EUlS14_E_NS1_11comp_targetILNS1_3genE8ELNS1_11target_archE1030ELNS1_3gpuE2ELNS1_3repE0EEENS1_30default_config_static_selectorELNS0_4arch9wavefront6targetE1EEEvT1_,comdat
.Lfunc_end2474:
	.size	_ZN7rocprim17ROCPRIM_400000_NS6detail17trampoline_kernelINS0_14default_configENS1_25partition_config_selectorILNS1_17partition_subalgoE0EjNS0_10empty_typeEbEEZZNS1_14partition_implILS5_0ELb0ES3_jN6thrust23THRUST_200600_302600_NS6detail15normal_iteratorINSA_10device_ptrIjEEEEPS6_SG_NS0_5tupleIJNSA_16discard_iteratorINSA_11use_defaultEEESF_EEENSH_IJSG_SG_EEES6_PlJ7is_evenIjEEEE10hipError_tPvRmT3_T4_T5_T6_T7_T9_mT8_P12ihipStream_tbDpT10_ENKUlT_T0_E_clISt17integral_constantIbLb1EES19_EEDaS14_S15_EUlS14_E_NS1_11comp_targetILNS1_3genE8ELNS1_11target_archE1030ELNS1_3gpuE2ELNS1_3repE0EEENS1_30default_config_static_selectorELNS0_4arch9wavefront6targetE1EEEvT1_, .Lfunc_end2474-_ZN7rocprim17ROCPRIM_400000_NS6detail17trampoline_kernelINS0_14default_configENS1_25partition_config_selectorILNS1_17partition_subalgoE0EjNS0_10empty_typeEbEEZZNS1_14partition_implILS5_0ELb0ES3_jN6thrust23THRUST_200600_302600_NS6detail15normal_iteratorINSA_10device_ptrIjEEEEPS6_SG_NS0_5tupleIJNSA_16discard_iteratorINSA_11use_defaultEEESF_EEENSH_IJSG_SG_EEES6_PlJ7is_evenIjEEEE10hipError_tPvRmT3_T4_T5_T6_T7_T9_mT8_P12ihipStream_tbDpT10_ENKUlT_T0_E_clISt17integral_constantIbLb1EES19_EEDaS14_S15_EUlS14_E_NS1_11comp_targetILNS1_3genE8ELNS1_11target_archE1030ELNS1_3gpuE2ELNS1_3repE0EEENS1_30default_config_static_selectorELNS0_4arch9wavefront6targetE1EEEvT1_
                                        ; -- End function
	.section	.AMDGPU.csdata,"",@progbits
; Kernel info:
; codeLenInByte = 0
; NumSgprs: 6
; NumVgprs: 0
; NumAgprs: 0
; TotalNumVgprs: 0
; ScratchSize: 0
; MemoryBound: 0
; FloatMode: 240
; IeeeMode: 1
; LDSByteSize: 0 bytes/workgroup (compile time only)
; SGPRBlocks: 0
; VGPRBlocks: 0
; NumSGPRsForWavesPerEU: 6
; NumVGPRsForWavesPerEU: 1
; AccumOffset: 4
; Occupancy: 8
; WaveLimiterHint : 0
; COMPUTE_PGM_RSRC2:SCRATCH_EN: 0
; COMPUTE_PGM_RSRC2:USER_SGPR: 2
; COMPUTE_PGM_RSRC2:TRAP_HANDLER: 0
; COMPUTE_PGM_RSRC2:TGID_X_EN: 1
; COMPUTE_PGM_RSRC2:TGID_Y_EN: 0
; COMPUTE_PGM_RSRC2:TGID_Z_EN: 0
; COMPUTE_PGM_RSRC2:TIDIG_COMP_CNT: 0
; COMPUTE_PGM_RSRC3_GFX90A:ACCUM_OFFSET: 0
; COMPUTE_PGM_RSRC3_GFX90A:TG_SPLIT: 0
	.section	.text._ZN7rocprim17ROCPRIM_400000_NS6detail17trampoline_kernelINS0_14default_configENS1_25partition_config_selectorILNS1_17partition_subalgoE0EjNS0_10empty_typeEbEEZZNS1_14partition_implILS5_0ELb0ES3_jN6thrust23THRUST_200600_302600_NS6detail15normal_iteratorINSA_10device_ptrIjEEEEPS6_SG_NS0_5tupleIJNSA_16discard_iteratorINSA_11use_defaultEEESF_EEENSH_IJSG_SG_EEES6_PlJ7is_evenIjEEEE10hipError_tPvRmT3_T4_T5_T6_T7_T9_mT8_P12ihipStream_tbDpT10_ENKUlT_T0_E_clISt17integral_constantIbLb1EES18_IbLb0EEEEDaS14_S15_EUlS14_E_NS1_11comp_targetILNS1_3genE0ELNS1_11target_archE4294967295ELNS1_3gpuE0ELNS1_3repE0EEENS1_30default_config_static_selectorELNS0_4arch9wavefront6targetE1EEEvT1_,"axG",@progbits,_ZN7rocprim17ROCPRIM_400000_NS6detail17trampoline_kernelINS0_14default_configENS1_25partition_config_selectorILNS1_17partition_subalgoE0EjNS0_10empty_typeEbEEZZNS1_14partition_implILS5_0ELb0ES3_jN6thrust23THRUST_200600_302600_NS6detail15normal_iteratorINSA_10device_ptrIjEEEEPS6_SG_NS0_5tupleIJNSA_16discard_iteratorINSA_11use_defaultEEESF_EEENSH_IJSG_SG_EEES6_PlJ7is_evenIjEEEE10hipError_tPvRmT3_T4_T5_T6_T7_T9_mT8_P12ihipStream_tbDpT10_ENKUlT_T0_E_clISt17integral_constantIbLb1EES18_IbLb0EEEEDaS14_S15_EUlS14_E_NS1_11comp_targetILNS1_3genE0ELNS1_11target_archE4294967295ELNS1_3gpuE0ELNS1_3repE0EEENS1_30default_config_static_selectorELNS0_4arch9wavefront6targetE1EEEvT1_,comdat
	.protected	_ZN7rocprim17ROCPRIM_400000_NS6detail17trampoline_kernelINS0_14default_configENS1_25partition_config_selectorILNS1_17partition_subalgoE0EjNS0_10empty_typeEbEEZZNS1_14partition_implILS5_0ELb0ES3_jN6thrust23THRUST_200600_302600_NS6detail15normal_iteratorINSA_10device_ptrIjEEEEPS6_SG_NS0_5tupleIJNSA_16discard_iteratorINSA_11use_defaultEEESF_EEENSH_IJSG_SG_EEES6_PlJ7is_evenIjEEEE10hipError_tPvRmT3_T4_T5_T6_T7_T9_mT8_P12ihipStream_tbDpT10_ENKUlT_T0_E_clISt17integral_constantIbLb1EES18_IbLb0EEEEDaS14_S15_EUlS14_E_NS1_11comp_targetILNS1_3genE0ELNS1_11target_archE4294967295ELNS1_3gpuE0ELNS1_3repE0EEENS1_30default_config_static_selectorELNS0_4arch9wavefront6targetE1EEEvT1_ ; -- Begin function _ZN7rocprim17ROCPRIM_400000_NS6detail17trampoline_kernelINS0_14default_configENS1_25partition_config_selectorILNS1_17partition_subalgoE0EjNS0_10empty_typeEbEEZZNS1_14partition_implILS5_0ELb0ES3_jN6thrust23THRUST_200600_302600_NS6detail15normal_iteratorINSA_10device_ptrIjEEEEPS6_SG_NS0_5tupleIJNSA_16discard_iteratorINSA_11use_defaultEEESF_EEENSH_IJSG_SG_EEES6_PlJ7is_evenIjEEEE10hipError_tPvRmT3_T4_T5_T6_T7_T9_mT8_P12ihipStream_tbDpT10_ENKUlT_T0_E_clISt17integral_constantIbLb1EES18_IbLb0EEEEDaS14_S15_EUlS14_E_NS1_11comp_targetILNS1_3genE0ELNS1_11target_archE4294967295ELNS1_3gpuE0ELNS1_3repE0EEENS1_30default_config_static_selectorELNS0_4arch9wavefront6targetE1EEEvT1_
	.globl	_ZN7rocprim17ROCPRIM_400000_NS6detail17trampoline_kernelINS0_14default_configENS1_25partition_config_selectorILNS1_17partition_subalgoE0EjNS0_10empty_typeEbEEZZNS1_14partition_implILS5_0ELb0ES3_jN6thrust23THRUST_200600_302600_NS6detail15normal_iteratorINSA_10device_ptrIjEEEEPS6_SG_NS0_5tupleIJNSA_16discard_iteratorINSA_11use_defaultEEESF_EEENSH_IJSG_SG_EEES6_PlJ7is_evenIjEEEE10hipError_tPvRmT3_T4_T5_T6_T7_T9_mT8_P12ihipStream_tbDpT10_ENKUlT_T0_E_clISt17integral_constantIbLb1EES18_IbLb0EEEEDaS14_S15_EUlS14_E_NS1_11comp_targetILNS1_3genE0ELNS1_11target_archE4294967295ELNS1_3gpuE0ELNS1_3repE0EEENS1_30default_config_static_selectorELNS0_4arch9wavefront6targetE1EEEvT1_
	.p2align	8
	.type	_ZN7rocprim17ROCPRIM_400000_NS6detail17trampoline_kernelINS0_14default_configENS1_25partition_config_selectorILNS1_17partition_subalgoE0EjNS0_10empty_typeEbEEZZNS1_14partition_implILS5_0ELb0ES3_jN6thrust23THRUST_200600_302600_NS6detail15normal_iteratorINSA_10device_ptrIjEEEEPS6_SG_NS0_5tupleIJNSA_16discard_iteratorINSA_11use_defaultEEESF_EEENSH_IJSG_SG_EEES6_PlJ7is_evenIjEEEE10hipError_tPvRmT3_T4_T5_T6_T7_T9_mT8_P12ihipStream_tbDpT10_ENKUlT_T0_E_clISt17integral_constantIbLb1EES18_IbLb0EEEEDaS14_S15_EUlS14_E_NS1_11comp_targetILNS1_3genE0ELNS1_11target_archE4294967295ELNS1_3gpuE0ELNS1_3repE0EEENS1_30default_config_static_selectorELNS0_4arch9wavefront6targetE1EEEvT1_,@function
_ZN7rocprim17ROCPRIM_400000_NS6detail17trampoline_kernelINS0_14default_configENS1_25partition_config_selectorILNS1_17partition_subalgoE0EjNS0_10empty_typeEbEEZZNS1_14partition_implILS5_0ELb0ES3_jN6thrust23THRUST_200600_302600_NS6detail15normal_iteratorINSA_10device_ptrIjEEEEPS6_SG_NS0_5tupleIJNSA_16discard_iteratorINSA_11use_defaultEEESF_EEENSH_IJSG_SG_EEES6_PlJ7is_evenIjEEEE10hipError_tPvRmT3_T4_T5_T6_T7_T9_mT8_P12ihipStream_tbDpT10_ENKUlT_T0_E_clISt17integral_constantIbLb1EES18_IbLb0EEEEDaS14_S15_EUlS14_E_NS1_11comp_targetILNS1_3genE0ELNS1_11target_archE4294967295ELNS1_3gpuE0ELNS1_3repE0EEENS1_30default_config_static_selectorELNS0_4arch9wavefront6targetE1EEEvT1_: ; @_ZN7rocprim17ROCPRIM_400000_NS6detail17trampoline_kernelINS0_14default_configENS1_25partition_config_selectorILNS1_17partition_subalgoE0EjNS0_10empty_typeEbEEZZNS1_14partition_implILS5_0ELb0ES3_jN6thrust23THRUST_200600_302600_NS6detail15normal_iteratorINSA_10device_ptrIjEEEEPS6_SG_NS0_5tupleIJNSA_16discard_iteratorINSA_11use_defaultEEESF_EEENSH_IJSG_SG_EEES6_PlJ7is_evenIjEEEE10hipError_tPvRmT3_T4_T5_T6_T7_T9_mT8_P12ihipStream_tbDpT10_ENKUlT_T0_E_clISt17integral_constantIbLb1EES18_IbLb0EEEEDaS14_S15_EUlS14_E_NS1_11comp_targetILNS1_3genE0ELNS1_11target_archE4294967295ELNS1_3gpuE0ELNS1_3repE0EEENS1_30default_config_static_selectorELNS0_4arch9wavefront6targetE1EEEvT1_
; %bb.0:
	.section	.rodata,"a",@progbits
	.p2align	6, 0x0
	.amdhsa_kernel _ZN7rocprim17ROCPRIM_400000_NS6detail17trampoline_kernelINS0_14default_configENS1_25partition_config_selectorILNS1_17partition_subalgoE0EjNS0_10empty_typeEbEEZZNS1_14partition_implILS5_0ELb0ES3_jN6thrust23THRUST_200600_302600_NS6detail15normal_iteratorINSA_10device_ptrIjEEEEPS6_SG_NS0_5tupleIJNSA_16discard_iteratorINSA_11use_defaultEEESF_EEENSH_IJSG_SG_EEES6_PlJ7is_evenIjEEEE10hipError_tPvRmT3_T4_T5_T6_T7_T9_mT8_P12ihipStream_tbDpT10_ENKUlT_T0_E_clISt17integral_constantIbLb1EES18_IbLb0EEEEDaS14_S15_EUlS14_E_NS1_11comp_targetILNS1_3genE0ELNS1_11target_archE4294967295ELNS1_3gpuE0ELNS1_3repE0EEENS1_30default_config_static_selectorELNS0_4arch9wavefront6targetE1EEEvT1_
		.amdhsa_group_segment_fixed_size 0
		.amdhsa_private_segment_fixed_size 0
		.amdhsa_kernarg_size 128
		.amdhsa_user_sgpr_count 2
		.amdhsa_user_sgpr_dispatch_ptr 0
		.amdhsa_user_sgpr_queue_ptr 0
		.amdhsa_user_sgpr_kernarg_segment_ptr 1
		.amdhsa_user_sgpr_dispatch_id 0
		.amdhsa_user_sgpr_kernarg_preload_length 0
		.amdhsa_user_sgpr_kernarg_preload_offset 0
		.amdhsa_user_sgpr_private_segment_size 0
		.amdhsa_uses_dynamic_stack 0
		.amdhsa_enable_private_segment 0
		.amdhsa_system_sgpr_workgroup_id_x 1
		.amdhsa_system_sgpr_workgroup_id_y 0
		.amdhsa_system_sgpr_workgroup_id_z 0
		.amdhsa_system_sgpr_workgroup_info 0
		.amdhsa_system_vgpr_workitem_id 0
		.amdhsa_next_free_vgpr 1
		.amdhsa_next_free_sgpr 0
		.amdhsa_accum_offset 4
		.amdhsa_reserve_vcc 0
		.amdhsa_float_round_mode_32 0
		.amdhsa_float_round_mode_16_64 0
		.amdhsa_float_denorm_mode_32 3
		.amdhsa_float_denorm_mode_16_64 3
		.amdhsa_dx10_clamp 1
		.amdhsa_ieee_mode 1
		.amdhsa_fp16_overflow 0
		.amdhsa_tg_split 0
		.amdhsa_exception_fp_ieee_invalid_op 0
		.amdhsa_exception_fp_denorm_src 0
		.amdhsa_exception_fp_ieee_div_zero 0
		.amdhsa_exception_fp_ieee_overflow 0
		.amdhsa_exception_fp_ieee_underflow 0
		.amdhsa_exception_fp_ieee_inexact 0
		.amdhsa_exception_int_div_zero 0
	.end_amdhsa_kernel
	.section	.text._ZN7rocprim17ROCPRIM_400000_NS6detail17trampoline_kernelINS0_14default_configENS1_25partition_config_selectorILNS1_17partition_subalgoE0EjNS0_10empty_typeEbEEZZNS1_14partition_implILS5_0ELb0ES3_jN6thrust23THRUST_200600_302600_NS6detail15normal_iteratorINSA_10device_ptrIjEEEEPS6_SG_NS0_5tupleIJNSA_16discard_iteratorINSA_11use_defaultEEESF_EEENSH_IJSG_SG_EEES6_PlJ7is_evenIjEEEE10hipError_tPvRmT3_T4_T5_T6_T7_T9_mT8_P12ihipStream_tbDpT10_ENKUlT_T0_E_clISt17integral_constantIbLb1EES18_IbLb0EEEEDaS14_S15_EUlS14_E_NS1_11comp_targetILNS1_3genE0ELNS1_11target_archE4294967295ELNS1_3gpuE0ELNS1_3repE0EEENS1_30default_config_static_selectorELNS0_4arch9wavefront6targetE1EEEvT1_,"axG",@progbits,_ZN7rocprim17ROCPRIM_400000_NS6detail17trampoline_kernelINS0_14default_configENS1_25partition_config_selectorILNS1_17partition_subalgoE0EjNS0_10empty_typeEbEEZZNS1_14partition_implILS5_0ELb0ES3_jN6thrust23THRUST_200600_302600_NS6detail15normal_iteratorINSA_10device_ptrIjEEEEPS6_SG_NS0_5tupleIJNSA_16discard_iteratorINSA_11use_defaultEEESF_EEENSH_IJSG_SG_EEES6_PlJ7is_evenIjEEEE10hipError_tPvRmT3_T4_T5_T6_T7_T9_mT8_P12ihipStream_tbDpT10_ENKUlT_T0_E_clISt17integral_constantIbLb1EES18_IbLb0EEEEDaS14_S15_EUlS14_E_NS1_11comp_targetILNS1_3genE0ELNS1_11target_archE4294967295ELNS1_3gpuE0ELNS1_3repE0EEENS1_30default_config_static_selectorELNS0_4arch9wavefront6targetE1EEEvT1_,comdat
.Lfunc_end2475:
	.size	_ZN7rocprim17ROCPRIM_400000_NS6detail17trampoline_kernelINS0_14default_configENS1_25partition_config_selectorILNS1_17partition_subalgoE0EjNS0_10empty_typeEbEEZZNS1_14partition_implILS5_0ELb0ES3_jN6thrust23THRUST_200600_302600_NS6detail15normal_iteratorINSA_10device_ptrIjEEEEPS6_SG_NS0_5tupleIJNSA_16discard_iteratorINSA_11use_defaultEEESF_EEENSH_IJSG_SG_EEES6_PlJ7is_evenIjEEEE10hipError_tPvRmT3_T4_T5_T6_T7_T9_mT8_P12ihipStream_tbDpT10_ENKUlT_T0_E_clISt17integral_constantIbLb1EES18_IbLb0EEEEDaS14_S15_EUlS14_E_NS1_11comp_targetILNS1_3genE0ELNS1_11target_archE4294967295ELNS1_3gpuE0ELNS1_3repE0EEENS1_30default_config_static_selectorELNS0_4arch9wavefront6targetE1EEEvT1_, .Lfunc_end2475-_ZN7rocprim17ROCPRIM_400000_NS6detail17trampoline_kernelINS0_14default_configENS1_25partition_config_selectorILNS1_17partition_subalgoE0EjNS0_10empty_typeEbEEZZNS1_14partition_implILS5_0ELb0ES3_jN6thrust23THRUST_200600_302600_NS6detail15normal_iteratorINSA_10device_ptrIjEEEEPS6_SG_NS0_5tupleIJNSA_16discard_iteratorINSA_11use_defaultEEESF_EEENSH_IJSG_SG_EEES6_PlJ7is_evenIjEEEE10hipError_tPvRmT3_T4_T5_T6_T7_T9_mT8_P12ihipStream_tbDpT10_ENKUlT_T0_E_clISt17integral_constantIbLb1EES18_IbLb0EEEEDaS14_S15_EUlS14_E_NS1_11comp_targetILNS1_3genE0ELNS1_11target_archE4294967295ELNS1_3gpuE0ELNS1_3repE0EEENS1_30default_config_static_selectorELNS0_4arch9wavefront6targetE1EEEvT1_
                                        ; -- End function
	.section	.AMDGPU.csdata,"",@progbits
; Kernel info:
; codeLenInByte = 0
; NumSgprs: 6
; NumVgprs: 0
; NumAgprs: 0
; TotalNumVgprs: 0
; ScratchSize: 0
; MemoryBound: 0
; FloatMode: 240
; IeeeMode: 1
; LDSByteSize: 0 bytes/workgroup (compile time only)
; SGPRBlocks: 0
; VGPRBlocks: 0
; NumSGPRsForWavesPerEU: 6
; NumVGPRsForWavesPerEU: 1
; AccumOffset: 4
; Occupancy: 8
; WaveLimiterHint : 0
; COMPUTE_PGM_RSRC2:SCRATCH_EN: 0
; COMPUTE_PGM_RSRC2:USER_SGPR: 2
; COMPUTE_PGM_RSRC2:TRAP_HANDLER: 0
; COMPUTE_PGM_RSRC2:TGID_X_EN: 1
; COMPUTE_PGM_RSRC2:TGID_Y_EN: 0
; COMPUTE_PGM_RSRC2:TGID_Z_EN: 0
; COMPUTE_PGM_RSRC2:TIDIG_COMP_CNT: 0
; COMPUTE_PGM_RSRC3_GFX90A:ACCUM_OFFSET: 0
; COMPUTE_PGM_RSRC3_GFX90A:TG_SPLIT: 0
	.section	.text._ZN7rocprim17ROCPRIM_400000_NS6detail17trampoline_kernelINS0_14default_configENS1_25partition_config_selectorILNS1_17partition_subalgoE0EjNS0_10empty_typeEbEEZZNS1_14partition_implILS5_0ELb0ES3_jN6thrust23THRUST_200600_302600_NS6detail15normal_iteratorINSA_10device_ptrIjEEEEPS6_SG_NS0_5tupleIJNSA_16discard_iteratorINSA_11use_defaultEEESF_EEENSH_IJSG_SG_EEES6_PlJ7is_evenIjEEEE10hipError_tPvRmT3_T4_T5_T6_T7_T9_mT8_P12ihipStream_tbDpT10_ENKUlT_T0_E_clISt17integral_constantIbLb1EES18_IbLb0EEEEDaS14_S15_EUlS14_E_NS1_11comp_targetILNS1_3genE5ELNS1_11target_archE942ELNS1_3gpuE9ELNS1_3repE0EEENS1_30default_config_static_selectorELNS0_4arch9wavefront6targetE1EEEvT1_,"axG",@progbits,_ZN7rocprim17ROCPRIM_400000_NS6detail17trampoline_kernelINS0_14default_configENS1_25partition_config_selectorILNS1_17partition_subalgoE0EjNS0_10empty_typeEbEEZZNS1_14partition_implILS5_0ELb0ES3_jN6thrust23THRUST_200600_302600_NS6detail15normal_iteratorINSA_10device_ptrIjEEEEPS6_SG_NS0_5tupleIJNSA_16discard_iteratorINSA_11use_defaultEEESF_EEENSH_IJSG_SG_EEES6_PlJ7is_evenIjEEEE10hipError_tPvRmT3_T4_T5_T6_T7_T9_mT8_P12ihipStream_tbDpT10_ENKUlT_T0_E_clISt17integral_constantIbLb1EES18_IbLb0EEEEDaS14_S15_EUlS14_E_NS1_11comp_targetILNS1_3genE5ELNS1_11target_archE942ELNS1_3gpuE9ELNS1_3repE0EEENS1_30default_config_static_selectorELNS0_4arch9wavefront6targetE1EEEvT1_,comdat
	.protected	_ZN7rocprim17ROCPRIM_400000_NS6detail17trampoline_kernelINS0_14default_configENS1_25partition_config_selectorILNS1_17partition_subalgoE0EjNS0_10empty_typeEbEEZZNS1_14partition_implILS5_0ELb0ES3_jN6thrust23THRUST_200600_302600_NS6detail15normal_iteratorINSA_10device_ptrIjEEEEPS6_SG_NS0_5tupleIJNSA_16discard_iteratorINSA_11use_defaultEEESF_EEENSH_IJSG_SG_EEES6_PlJ7is_evenIjEEEE10hipError_tPvRmT3_T4_T5_T6_T7_T9_mT8_P12ihipStream_tbDpT10_ENKUlT_T0_E_clISt17integral_constantIbLb1EES18_IbLb0EEEEDaS14_S15_EUlS14_E_NS1_11comp_targetILNS1_3genE5ELNS1_11target_archE942ELNS1_3gpuE9ELNS1_3repE0EEENS1_30default_config_static_selectorELNS0_4arch9wavefront6targetE1EEEvT1_ ; -- Begin function _ZN7rocprim17ROCPRIM_400000_NS6detail17trampoline_kernelINS0_14default_configENS1_25partition_config_selectorILNS1_17partition_subalgoE0EjNS0_10empty_typeEbEEZZNS1_14partition_implILS5_0ELb0ES3_jN6thrust23THRUST_200600_302600_NS6detail15normal_iteratorINSA_10device_ptrIjEEEEPS6_SG_NS0_5tupleIJNSA_16discard_iteratorINSA_11use_defaultEEESF_EEENSH_IJSG_SG_EEES6_PlJ7is_evenIjEEEE10hipError_tPvRmT3_T4_T5_T6_T7_T9_mT8_P12ihipStream_tbDpT10_ENKUlT_T0_E_clISt17integral_constantIbLb1EES18_IbLb0EEEEDaS14_S15_EUlS14_E_NS1_11comp_targetILNS1_3genE5ELNS1_11target_archE942ELNS1_3gpuE9ELNS1_3repE0EEENS1_30default_config_static_selectorELNS0_4arch9wavefront6targetE1EEEvT1_
	.globl	_ZN7rocprim17ROCPRIM_400000_NS6detail17trampoline_kernelINS0_14default_configENS1_25partition_config_selectorILNS1_17partition_subalgoE0EjNS0_10empty_typeEbEEZZNS1_14partition_implILS5_0ELb0ES3_jN6thrust23THRUST_200600_302600_NS6detail15normal_iteratorINSA_10device_ptrIjEEEEPS6_SG_NS0_5tupleIJNSA_16discard_iteratorINSA_11use_defaultEEESF_EEENSH_IJSG_SG_EEES6_PlJ7is_evenIjEEEE10hipError_tPvRmT3_T4_T5_T6_T7_T9_mT8_P12ihipStream_tbDpT10_ENKUlT_T0_E_clISt17integral_constantIbLb1EES18_IbLb0EEEEDaS14_S15_EUlS14_E_NS1_11comp_targetILNS1_3genE5ELNS1_11target_archE942ELNS1_3gpuE9ELNS1_3repE0EEENS1_30default_config_static_selectorELNS0_4arch9wavefront6targetE1EEEvT1_
	.p2align	8
	.type	_ZN7rocprim17ROCPRIM_400000_NS6detail17trampoline_kernelINS0_14default_configENS1_25partition_config_selectorILNS1_17partition_subalgoE0EjNS0_10empty_typeEbEEZZNS1_14partition_implILS5_0ELb0ES3_jN6thrust23THRUST_200600_302600_NS6detail15normal_iteratorINSA_10device_ptrIjEEEEPS6_SG_NS0_5tupleIJNSA_16discard_iteratorINSA_11use_defaultEEESF_EEENSH_IJSG_SG_EEES6_PlJ7is_evenIjEEEE10hipError_tPvRmT3_T4_T5_T6_T7_T9_mT8_P12ihipStream_tbDpT10_ENKUlT_T0_E_clISt17integral_constantIbLb1EES18_IbLb0EEEEDaS14_S15_EUlS14_E_NS1_11comp_targetILNS1_3genE5ELNS1_11target_archE942ELNS1_3gpuE9ELNS1_3repE0EEENS1_30default_config_static_selectorELNS0_4arch9wavefront6targetE1EEEvT1_,@function
_ZN7rocprim17ROCPRIM_400000_NS6detail17trampoline_kernelINS0_14default_configENS1_25partition_config_selectorILNS1_17partition_subalgoE0EjNS0_10empty_typeEbEEZZNS1_14partition_implILS5_0ELb0ES3_jN6thrust23THRUST_200600_302600_NS6detail15normal_iteratorINSA_10device_ptrIjEEEEPS6_SG_NS0_5tupleIJNSA_16discard_iteratorINSA_11use_defaultEEESF_EEENSH_IJSG_SG_EEES6_PlJ7is_evenIjEEEE10hipError_tPvRmT3_T4_T5_T6_T7_T9_mT8_P12ihipStream_tbDpT10_ENKUlT_T0_E_clISt17integral_constantIbLb1EES18_IbLb0EEEEDaS14_S15_EUlS14_E_NS1_11comp_targetILNS1_3genE5ELNS1_11target_archE942ELNS1_3gpuE9ELNS1_3repE0EEENS1_30default_config_static_selectorELNS0_4arch9wavefront6targetE1EEEvT1_: ; @_ZN7rocprim17ROCPRIM_400000_NS6detail17trampoline_kernelINS0_14default_configENS1_25partition_config_selectorILNS1_17partition_subalgoE0EjNS0_10empty_typeEbEEZZNS1_14partition_implILS5_0ELb0ES3_jN6thrust23THRUST_200600_302600_NS6detail15normal_iteratorINSA_10device_ptrIjEEEEPS6_SG_NS0_5tupleIJNSA_16discard_iteratorINSA_11use_defaultEEESF_EEENSH_IJSG_SG_EEES6_PlJ7is_evenIjEEEE10hipError_tPvRmT3_T4_T5_T6_T7_T9_mT8_P12ihipStream_tbDpT10_ENKUlT_T0_E_clISt17integral_constantIbLb1EES18_IbLb0EEEEDaS14_S15_EUlS14_E_NS1_11comp_targetILNS1_3genE5ELNS1_11target_archE942ELNS1_3gpuE9ELNS1_3repE0EEENS1_30default_config_static_selectorELNS0_4arch9wavefront6targetE1EEEvT1_
; %bb.0:
	s_load_dwordx2 s[4:5], s[0:1], 0x60
	s_load_dwordx4 s[20:23], s[0:1], 0x8
	s_load_dwordx4 s[24:27], s[0:1], 0x50
	s_load_dword s3, s[0:1], 0x78
	s_mul_i32 s8, s2, 0x1e00
	s_waitcnt lgkmcnt(0)
	v_mov_b32_e32 v3, s5
	s_lshl_b64 s[6:7], s[22:23], 2
	s_add_u32 s10, s20, s6
	s_addc_u32 s11, s21, s7
	s_add_i32 s6, s3, -1
	s_mulk_i32 s3, 0x1e00
	s_add_i32 s5, s3, s22
	s_sub_i32 s33, s4, s5
	s_addk_i32 s33, 0x1e00
	v_mov_b32_e32 v2, s4
	s_add_u32 s4, s22, s3
	s_addc_u32 s5, s23, 0
	s_cmp_eq_u32 s2, s6
	s_load_dwordx2 s[28:29], s[26:27], 0x0
	s_cselect_b64 s[26:27], -1, 0
	s_cmp_lg_u32 s2, s6
	s_mov_b32 s9, 0
	v_cmp_lt_u64_e32 vcc, s[4:5], v[2:3]
	s_cselect_b64 s[4:5], -1, 0
	s_or_b64 s[6:7], s[4:5], vcc
	s_lshl_b64 s[30:31], s[8:9], 2
	s_add_u32 s8, s10, s30
	s_addc_u32 s9, s11, s31
	s_mov_b64 s[4:5], -1
	s_and_b64 vcc, exec, s[6:7]
	v_lshlrev_b32_e32 v18, 2, v0
	s_cbranch_vccz .LBB2476_2
; %bb.1:
	v_mov_b32_e32 v19, 0
	v_lshl_add_u64 v[2:3], s[8:9], 0, v[18:19]
	v_add_co_u32_e32 v4, vcc, 0x1000, v2
	s_mov_b64 s[4:5], 0
	s_nop 0
	v_addc_co_u32_e32 v5, vcc, 0, v3, vcc
	v_add_co_u32_e32 v6, vcc, 0x2000, v2
	s_nop 1
	v_addc_co_u32_e32 v7, vcc, 0, v3, vcc
	v_add_co_u32_e32 v8, vcc, 0x3000, v2
	s_nop 1
	v_addc_co_u32_e32 v9, vcc, 0, v3, vcc
	flat_load_dword v1, v[2:3]
	flat_load_dword v10, v[2:3] offset:2048
	flat_load_dword v11, v[4:5]
	flat_load_dword v12, v[4:5] offset:2048
	;; [unrolled: 2-line block ×4, first 2 shown]
	v_add_co_u32_e32 v4, vcc, 0x4000, v2
	s_nop 1
	v_addc_co_u32_e32 v5, vcc, 0, v3, vcc
	v_add_co_u32_e32 v6, vcc, 0x5000, v2
	s_nop 1
	v_addc_co_u32_e32 v7, vcc, 0, v3, vcc
	;; [unrolled: 3-line block ×4, first 2 shown]
	flat_load_dword v17, v[4:5]
	flat_load_dword v19, v[4:5] offset:2048
	flat_load_dword v20, v[6:7]
	flat_load_dword v21, v[6:7] offset:2048
	;; [unrolled: 2-line block ×3, first 2 shown]
	flat_load_dword v24, v[2:3]
	s_waitcnt vmcnt(0) lgkmcnt(0)
	ds_write2st64_b32 v18, v1, v10 offset1:8
	ds_write2st64_b32 v18, v11, v12 offset0:16 offset1:24
	ds_write2st64_b32 v18, v13, v14 offset0:32 offset1:40
	;; [unrolled: 1-line block ×6, first 2 shown]
	ds_write_b32 v18, v24 offset:28672
	s_waitcnt lgkmcnt(0)
	s_barrier
.LBB2476_2:
	s_andn2_b64 vcc, exec, s[4:5]
	v_cmp_gt_u32_e64 s[4:5], s33, v0
	s_cbranch_vccnz .LBB2476_34
; %bb.3:
                                        ; implicit-def: $vgpr2_vgpr3_vgpr4_vgpr5_vgpr6_vgpr7_vgpr8_vgpr9_vgpr10_vgpr11_vgpr12_vgpr13_vgpr14_vgpr15_vgpr16_vgpr17
	s_and_saveexec_b64 s[10:11], s[4:5]
	s_cbranch_execz .LBB2476_5
; %bb.4:
	v_mov_b32_e32 v19, 0
	v_lshl_add_u64 v[2:3], s[8:9], 0, v[18:19]
	flat_load_dword v2, v[2:3]
.LBB2476_5:
	s_or_b64 exec, exec, s[10:11]
	v_or_b32_e32 v1, 0x200, v0
	v_cmp_gt_u32_e32 vcc, s33, v1
	s_and_saveexec_b64 s[4:5], vcc
	s_cbranch_execz .LBB2476_7
; %bb.6:
	v_mov_b32_e32 v19, 0
	v_lshl_add_u64 v[20:21], s[8:9], 0, v[18:19]
	flat_load_dword v3, v[20:21] offset:2048
.LBB2476_7:
	s_or_b64 exec, exec, s[4:5]
	v_or_b32_e32 v1, 0x400, v0
	v_cmp_gt_u32_e32 vcc, s33, v1
	s_and_saveexec_b64 s[4:5], vcc
	s_cbranch_execz .LBB2476_9
; %bb.8:
	v_lshlrev_b32_e32 v20, 2, v1
	v_mov_b32_e32 v21, 0
	v_lshl_add_u64 v[20:21], s[8:9], 0, v[20:21]
	flat_load_dword v4, v[20:21]
.LBB2476_9:
	s_or_b64 exec, exec, s[4:5]
	v_or_b32_e32 v1, 0x600, v0
	v_cmp_gt_u32_e32 vcc, s33, v1
	s_and_saveexec_b64 s[4:5], vcc
	s_cbranch_execz .LBB2476_11
; %bb.10:
	v_lshlrev_b32_e32 v20, 2, v1
	v_mov_b32_e32 v21, 0
	v_lshl_add_u64 v[20:21], s[8:9], 0, v[20:21]
	flat_load_dword v5, v[20:21]
.LBB2476_11:
	;; [unrolled: 11-line block ×13, first 2 shown]
	s_or_b64 exec, exec, s[4:5]
	s_waitcnt vmcnt(0) lgkmcnt(0)
	ds_write2st64_b32 v18, v2, v3 offset1:8
	ds_write2st64_b32 v18, v4, v5 offset0:16 offset1:24
	ds_write2st64_b32 v18, v6, v7 offset0:32 offset1:40
	;; [unrolled: 1-line block ×6, first 2 shown]
	ds_write_b32 v18, v16 offset:28672
	s_waitcnt lgkmcnt(0)
	s_barrier
.LBB2476_34:
	v_mul_u32_u24_e32 v38, 15, v0
	v_lshlrev_b32_e32 v1, 2, v38
	s_waitcnt lgkmcnt(0)
	ds_read2_b32 v[32:33], v1 offset1:1
	ds_read2_b32 v[30:31], v1 offset0:2 offset1:3
	ds_read2_b32 v[28:29], v1 offset0:4 offset1:5
	;; [unrolled: 1-line block ×6, first 2 shown]
	ds_read_b32 v1, v1 offset:56
	v_cndmask_b32_e64 v2, 0, 1, s[6:7]
	v_cmp_ne_u32_e64 s[20:21], 1, v2
	s_andn2_b64 vcc, exec, s[6:7]
	s_waitcnt lgkmcnt(7)
	v_xor_b32_e32 v16, -1, v32
	v_xor_b32_e32 v15, -1, v33
	s_waitcnt lgkmcnt(6)
	v_xor_b32_e32 v14, -1, v30
	v_xor_b32_e32 v13, -1, v31
	;; [unrolled: 3-line block ×7, first 2 shown]
	s_waitcnt lgkmcnt(0)
	v_xor_b32_e32 v2, -1, v1
	s_barrier
	s_cbranch_vccnz .LBB2476_36
; %bb.35:
	v_and_b32_e32 v51, 1, v16
	v_and_b32_e32 v50, 1, v15
	;; [unrolled: 1-line block ×15, first 2 shown]
	s_load_dwordx2 s[34:35], s[0:1], 0x70
	s_cbranch_execz .LBB2476_37
	s_branch .LBB2476_38
.LBB2476_36:
                                        ; implicit-def: $vgpr19
                                        ; implicit-def: $vgpr37
                                        ; implicit-def: $vgpr39
                                        ; implicit-def: $vgpr40
                                        ; implicit-def: $vgpr41
                                        ; implicit-def: $vgpr42
                                        ; implicit-def: $vgpr43
                                        ; implicit-def: $vgpr44
                                        ; implicit-def: $vgpr45
                                        ; implicit-def: $vgpr51
                                        ; implicit-def: $vgpr50
                                        ; implicit-def: $vgpr49
                                        ; implicit-def: $vgpr48
                                        ; implicit-def: $vgpr47
                                        ; implicit-def: $vgpr46
	s_load_dwordx2 s[34:35], s[0:1], 0x70
.LBB2476_37:
	v_add_u32_e32 v44, 1, v38
	v_cmp_gt_u32_e32 vcc, s33, v38
	v_add_u32_e32 v17, 2, v38
	v_add_u32_e32 v43, 3, v38
	v_cndmask_b32_e64 v45, 0, 1, vcc
	v_cmp_gt_u32_e32 vcc, s33, v44
	v_and_b32_e32 v51, v45, v16
	v_add_u32_e32 v19, 4, v38
	v_cndmask_b32_e64 v16, 0, 1, vcc
	v_cmp_gt_u32_e32 vcc, s33, v17
	v_and_b32_e32 v50, v16, v15
	;; [unrolled: 4-line block ×12, first 2 shown]
	s_nop 0
	v_cndmask_b32_e64 v5, 0, 1, vcc
	v_cmp_gt_u32_e32 vcc, s33, v53
	v_and_b32_e32 v39, v5, v4
	s_nop 0
	v_cndmask_b32_e64 v4, 0, 1, vcc
	v_cmp_gt_u32_e32 vcc, s33, v52
	v_and_b32_e32 v37, v4, v3
	s_nop 0
	v_cndmask_b32_e64 v3, 0, 1, vcc
	v_and_b32_e32 v19, v3, v2
.LBB2476_38:
	v_and_b32_e32 v55, 0xff, v48
	v_and_b32_e32 v56, 0xff, v47
	;; [unrolled: 1-line block ×5, first 2 shown]
	v_add3_u32 v3, v56, v57, v55
	v_and_b32_e32 v52, 0xff, v51
	v_and_b32_e32 v58, 0xff, v45
	v_add3_u32 v3, v3, v54, v53
	v_and_b32_e32 v59, 0xff, v44
	v_and_b32_e32 v60, 0xff, v43
	;; [unrolled: 3-line block ×5, first 2 shown]
	v_add3_u32 v3, v3, v63, v64
	v_add3_u32 v68, v3, v65, v2
	v_mbcnt_lo_u32_b32 v2, -1, 0
	v_mbcnt_hi_u32_b32 v66, -1, v2
	v_and_b32_e32 v2, 15, v66
	v_cmp_eq_u32_e64 s[16:17], 0, v2
	v_cmp_lt_u32_e64 s[14:15], 1, v2
	v_cmp_lt_u32_e64 s[12:13], 3, v2
	;; [unrolled: 1-line block ×3, first 2 shown]
	v_and_b32_e32 v2, 16, v66
	v_cmp_eq_u32_e64 s[8:9], 0, v2
	v_or_b32_e32 v2, 63, v0
	s_cmp_lg_u32 s2, 0
	v_cmp_lt_u32_e64 s[4:5], 31, v66
	v_lshrrev_b32_e32 v67, 6, v0
	v_cmp_eq_u32_e64 s[6:7], v2, v0
	s_cbranch_scc0 .LBB2476_69
; %bb.39:
	v_mov_b32_dpp v2, v68 row_shr:1 row_mask:0xf bank_mask:0xf
	v_cndmask_b32_e64 v2, v2, 0, s[16:17]
	v_add_u32_e32 v2, v2, v68
	s_nop 1
	v_mov_b32_dpp v3, v2 row_shr:2 row_mask:0xf bank_mask:0xf
	v_cndmask_b32_e64 v3, 0, v3, s[14:15]
	v_add_u32_e32 v2, v2, v3
	s_nop 1
	;; [unrolled: 4-line block ×4, first 2 shown]
	v_mov_b32_dpp v3, v2 row_bcast:15 row_mask:0xf bank_mask:0xf
	v_cndmask_b32_e64 v3, v3, 0, s[8:9]
	v_add_u32_e32 v2, v2, v3
	s_nop 1
	v_mov_b32_dpp v3, v2 row_bcast:31 row_mask:0xf bank_mask:0xf
	v_cndmask_b32_e64 v3, 0, v3, s[4:5]
	v_add_u32_e32 v2, v2, v3
	s_and_saveexec_b64 s[18:19], s[6:7]
	s_cbranch_execz .LBB2476_41
; %bb.40:
	v_lshlrev_b32_e32 v3, 2, v67
	ds_write_b32 v3, v2
.LBB2476_41:
	s_or_b64 exec, exec, s[18:19]
	v_cmp_gt_u32_e32 vcc, 8, v0
	s_waitcnt lgkmcnt(0)
	s_barrier
	s_and_saveexec_b64 s[18:19], vcc
	s_cbranch_execz .LBB2476_43
; %bb.42:
	ds_read_b32 v3, v18
	v_and_b32_e32 v4, 7, v66
	v_cmp_ne_u32_e32 vcc, 0, v4
	s_waitcnt lgkmcnt(0)
	v_mov_b32_dpp v5, v3 row_shr:1 row_mask:0xf bank_mask:0xf
	v_cndmask_b32_e32 v5, 0, v5, vcc
	v_add_u32_e32 v3, v5, v3
	v_cmp_lt_u32_e32 vcc, 1, v4
	s_nop 0
	v_mov_b32_dpp v5, v3 row_shr:2 row_mask:0xf bank_mask:0xf
	v_cndmask_b32_e32 v5, 0, v5, vcc
	v_add_u32_e32 v3, v3, v5
	v_cmp_lt_u32_e32 vcc, 3, v4
	s_nop 0
	v_mov_b32_dpp v5, v3 row_shr:4 row_mask:0xf bank_mask:0xf
	v_cndmask_b32_e32 v4, 0, v5, vcc
	v_add_u32_e32 v3, v3, v4
	ds_write_b32 v18, v3
.LBB2476_43:
	s_or_b64 exec, exec, s[18:19]
	v_cmp_gt_u32_e32 vcc, 64, v0
	v_cmp_lt_u32_e64 s[18:19], 63, v0
	s_waitcnt lgkmcnt(0)
	s_barrier
	s_waitcnt lgkmcnt(0)
                                        ; implicit-def: $vgpr12
	s_and_saveexec_b64 s[36:37], s[18:19]
	s_cbranch_execz .LBB2476_45
; %bb.44:
	v_lshl_add_u32 v3, v67, 2, -4
	ds_read_b32 v12, v3
	s_waitcnt lgkmcnt(0)
	v_add_u32_e32 v2, v12, v2
.LBB2476_45:
	s_or_b64 exec, exec, s[36:37]
	v_add_u32_e32 v3, -1, v66
	v_and_b32_e32 v4, 64, v66
	v_cmp_lt_i32_e64 s[18:19], v3, v4
	s_nop 1
	v_cndmask_b32_e64 v3, v3, v66, s[18:19]
	v_lshlrev_b32_e32 v3, 2, v3
	ds_bpermute_b32 v13, v3, v2
	v_cmp_eq_u32_e64 s[18:19], 0, v66
	s_and_saveexec_b64 s[36:37], vcc
	s_cbranch_execz .LBB2476_68
; %bb.46:
	v_mov_b32_e32 v11, 0
	ds_read_b32 v2, v11 offset:28
	s_and_saveexec_b64 s[38:39], s[18:19]
	s_cbranch_execz .LBB2476_48
; %bb.47:
	s_add_i32 s40, s2, 64
	s_mov_b32 s41, 0
	s_lshl_b64 s[40:41], s[40:41], 3
	s_add_u32 s40, s34, s40
	v_mov_b32_e32 v3, 1
	s_addc_u32 s41, s35, s41
	s_waitcnt lgkmcnt(0)
	global_store_dwordx2 v11, v[2:3], s[40:41] sc1
.LBB2476_48:
	s_or_b64 exec, exec, s[38:39]
	v_xad_u32 v4, v66, -1, s2
	v_add_u32_e32 v10, 64, v4
	v_lshl_add_u64 v[6:7], v[10:11], 3, s[34:35]
	global_load_dwordx2 v[8:9], v[6:7], off sc1
	s_waitcnt vmcnt(0)
	v_cmp_eq_u16_sdwa s[40:41], v9, v11 src0_sel:BYTE_0 src1_sel:DWORD
	s_and_saveexec_b64 s[38:39], s[40:41]
	s_cbranch_execz .LBB2476_54
; %bb.49:
	s_mov_b32 s3, 1
	s_mov_b64 s[40:41], 0
	v_mov_b32_e32 v3, 0
.LBB2476_50:                            ; =>This Loop Header: Depth=1
                                        ;     Child Loop BB2476_51 Depth 2
	s_max_u32 s42, s3, 1
.LBB2476_51:                            ;   Parent Loop BB2476_50 Depth=1
                                        ; =>  This Inner Loop Header: Depth=2
	s_add_i32 s42, s42, -1
	s_cmp_eq_u32 s42, 0
	s_sleep 1
	s_cbranch_scc0 .LBB2476_51
; %bb.52:                               ;   in Loop: Header=BB2476_50 Depth=1
	global_load_dwordx2 v[8:9], v[6:7], off sc1
	s_cmp_lt_u32 s3, 32
	s_cselect_b64 s[42:43], -1, 0
	s_cmp_lg_u64 s[42:43], 0
	s_addc_u32 s3, s3, 0
	s_waitcnt vmcnt(0)
	v_cmp_ne_u16_sdwa s[42:43], v9, v3 src0_sel:BYTE_0 src1_sel:DWORD
	s_or_b64 s[40:41], s[42:43], s[40:41]
	s_andn2_b64 exec, exec, s[40:41]
	s_cbranch_execnz .LBB2476_50
; %bb.53:
	s_or_b64 exec, exec, s[40:41]
.LBB2476_54:
	s_or_b64 exec, exec, s[38:39]
	v_and_b32_e32 v15, 63, v66
	v_mov_b32_e32 v14, 2
	v_cmp_ne_u32_e32 vcc, 63, v15
	v_cmp_eq_u16_sdwa s[38:39], v9, v14 src0_sel:BYTE_0 src1_sel:DWORD
	v_lshlrev_b64 v[6:7], v66, -1
	v_addc_co_u32_e32 v10, vcc, 0, v66, vcc
	v_and_b32_e32 v3, s39, v7
	v_lshlrev_b32_e32 v16, 2, v10
	v_or_b32_e32 v3, 0x80000000, v3
	ds_bpermute_b32 v10, v16, v8
	v_and_b32_e32 v5, s38, v6
	v_ffbl_b32_e32 v3, v3
	v_add_u32_e32 v3, 32, v3
	v_ffbl_b32_e32 v5, v5
	v_min_u32_e32 v3, v5, v3
	v_cmp_lt_u32_e32 vcc, v15, v3
	v_add_u32_e32 v34, 2, v15
	v_add_u32_e32 v36, 4, v15
	s_waitcnt lgkmcnt(0)
	v_cndmask_b32_e32 v5, 0, v10, vcc
	v_cmp_gt_u32_e32 vcc, 62, v15
	v_add_u32_e32 v5, v5, v8
	v_add_u32_e32 v70, 8, v15
	v_cndmask_b32_e64 v8, 0, 1, vcc
	v_lshlrev_b32_e32 v8, 1, v8
	v_add_lshl_u32 v17, v8, v66, 2
	ds_bpermute_b32 v8, v17, v5
	v_cmp_le_u32_e32 vcc, v34, v3
	v_add_u32_e32 v72, 16, v15
	v_add_u32_e32 v74, 32, v15
	s_waitcnt lgkmcnt(0)
	v_cndmask_b32_e32 v8, 0, v8, vcc
	v_cmp_gt_u32_e32 vcc, 60, v15
	v_add_u32_e32 v5, v5, v8
	s_nop 0
	v_cndmask_b32_e64 v8, 0, 1, vcc
	v_lshlrev_b32_e32 v8, 2, v8
	v_add_lshl_u32 v35, v8, v66, 2
	ds_bpermute_b32 v8, v35, v5
	v_cmp_le_u32_e32 vcc, v36, v3
	s_waitcnt lgkmcnt(0)
	s_nop 0
	v_cndmask_b32_e32 v8, 0, v8, vcc
	v_cmp_gt_u32_e32 vcc, 56, v15
	v_add_u32_e32 v5, v5, v8
	s_nop 0
	v_cndmask_b32_e64 v8, 0, 1, vcc
	v_lshlrev_b32_e32 v8, 3, v8
	v_add_lshl_u32 v69, v8, v66, 2
	ds_bpermute_b32 v8, v69, v5
	v_cmp_le_u32_e32 vcc, v70, v3
	s_waitcnt lgkmcnt(0)
	s_nop 0
	;; [unrolled: 11-line block ×4, first 2 shown]
	v_cndmask_b32_e32 v3, 0, v8, vcc
	v_add_u32_e32 v8, v5, v3
	v_mov_b32_e32 v5, 0
	s_branch .LBB2476_56
.LBB2476_55:                            ;   in Loop: Header=BB2476_56 Depth=1
	s_or_b64 exec, exec, s[38:39]
	v_cmp_eq_u16_sdwa s[38:39], v9, v14 src0_sel:BYTE_0 src1_sel:DWORD
	ds_bpermute_b32 v75, v16, v8
	v_subrev_u32_e32 v4, 64, v4
	v_and_b32_e32 v10, s39, v7
	v_or_b32_e32 v10, 0x80000000, v10
	v_and_b32_e32 v11, s38, v6
	v_ffbl_b32_e32 v10, v10
	v_add_u32_e32 v10, 32, v10
	v_ffbl_b32_e32 v11, v11
	v_min_u32_e32 v10, v11, v10
	v_cmp_lt_u32_e32 vcc, v15, v10
	s_waitcnt lgkmcnt(0)
	s_nop 0
	v_cndmask_b32_e32 v11, 0, v75, vcc
	v_add_u32_e32 v8, v11, v8
	ds_bpermute_b32 v11, v17, v8
	v_cmp_le_u32_e32 vcc, v34, v10
	s_waitcnt lgkmcnt(0)
	s_nop 0
	v_cndmask_b32_e32 v11, 0, v11, vcc
	v_add_u32_e32 v8, v8, v11
	ds_bpermute_b32 v11, v35, v8
	v_cmp_le_u32_e32 vcc, v36, v10
	;; [unrolled: 6-line block ×5, first 2 shown]
	s_waitcnt lgkmcnt(0)
	s_nop 0
	v_cndmask_b32_e32 v10, 0, v11, vcc
	v_add3_u32 v8, v10, v3, v8
.LBB2476_56:                            ; =>This Loop Header: Depth=1
                                        ;     Child Loop BB2476_59 Depth 2
                                        ;       Child Loop BB2476_60 Depth 3
	v_cmp_ne_u16_sdwa s[38:39], v9, v14 src0_sel:BYTE_0 src1_sel:DWORD
	s_nop 1
	v_cndmask_b32_e64 v3, 0, 1, s[38:39]
	;;#ASMSTART
	;;#ASMEND
	s_nop 0
	v_cmp_ne_u32_e32 vcc, 0, v3
	s_cmp_lg_u64 vcc, exec
	v_mov_b32_e32 v3, v8
	s_cbranch_scc1 .LBB2476_63
; %bb.57:                               ;   in Loop: Header=BB2476_56 Depth=1
	v_lshl_add_u64 v[10:11], v[4:5], 3, s[34:35]
	global_load_dwordx2 v[8:9], v[10:11], off sc1
	s_waitcnt vmcnt(0)
	v_cmp_eq_u16_sdwa s[40:41], v9, v5 src0_sel:BYTE_0 src1_sel:DWORD
	s_and_saveexec_b64 s[38:39], s[40:41]
	s_cbranch_execz .LBB2476_55
; %bb.58:                               ;   in Loop: Header=BB2476_56 Depth=1
	s_mov_b32 s3, 1
	s_mov_b64 s[40:41], 0
.LBB2476_59:                            ;   Parent Loop BB2476_56 Depth=1
                                        ; =>  This Loop Header: Depth=2
                                        ;       Child Loop BB2476_60 Depth 3
	s_max_u32 s42, s3, 1
.LBB2476_60:                            ;   Parent Loop BB2476_56 Depth=1
                                        ;     Parent Loop BB2476_59 Depth=2
                                        ; =>    This Inner Loop Header: Depth=3
	s_add_i32 s42, s42, -1
	s_cmp_eq_u32 s42, 0
	s_sleep 1
	s_cbranch_scc0 .LBB2476_60
; %bb.61:                               ;   in Loop: Header=BB2476_59 Depth=2
	global_load_dwordx2 v[8:9], v[10:11], off sc1
	s_cmp_lt_u32 s3, 32
	s_cselect_b64 s[42:43], -1, 0
	s_cmp_lg_u64 s[42:43], 0
	s_addc_u32 s3, s3, 0
	s_waitcnt vmcnt(0)
	v_cmp_ne_u16_sdwa s[42:43], v9, v5 src0_sel:BYTE_0 src1_sel:DWORD
	s_or_b64 s[40:41], s[42:43], s[40:41]
	s_andn2_b64 exec, exec, s[40:41]
	s_cbranch_execnz .LBB2476_59
; %bb.62:                               ;   in Loop: Header=BB2476_56 Depth=1
	s_or_b64 exec, exec, s[40:41]
	s_branch .LBB2476_55
.LBB2476_63:                            ;   in Loop: Header=BB2476_56 Depth=1
                                        ; implicit-def: $vgpr8
                                        ; implicit-def: $vgpr9
	s_cbranch_execz .LBB2476_56
; %bb.64:
	s_and_saveexec_b64 s[38:39], s[18:19]
	s_cbranch_execz .LBB2476_66
; %bb.65:
	s_add_i32 s2, s2, 64
	s_mov_b32 s3, 0
	s_lshl_b64 s[2:3], s[2:3], 3
	s_add_u32 s2, s34, s2
	v_add_u32_e32 v4, v3, v2
	v_mov_b32_e32 v5, 2
	s_addc_u32 s3, s35, s3
	v_mov_b32_e32 v6, 0
	global_store_dwordx2 v6, v[4:5], s[2:3] sc1
	ds_write_b64 v6, v[2:3] offset:30720
.LBB2476_66:
	s_or_b64 exec, exec, s[38:39]
	v_cmp_eq_u32_e32 vcc, 0, v0
	s_and_b64 exec, exec, vcc
	s_cbranch_execz .LBB2476_68
; %bb.67:
	v_mov_b32_e32 v2, 0
	ds_write_b32 v2, v3 offset:28
.LBB2476_68:
	s_or_b64 exec, exec, s[36:37]
	v_mov_b32_e32 v14, 0
	s_waitcnt lgkmcnt(0)
	s_barrier
	ds_read_b32 v2, v14 offset:28
	v_cndmask_b32_e64 v3, v13, v12, s[18:19]
	v_cmp_ne_u32_e32 vcc, 0, v0
	s_waitcnt lgkmcnt(0)
	s_barrier
	v_cndmask_b32_e32 v3, 0, v3, vcc
	v_add_u32_e32 v2, v2, v3
	v_add_u32_e32 v3, v2, v52
	v_add_u32_e32 v4, v3, v53
	v_add_u32_e32 v5, v4, v54
	v_add_u32_e32 v6, v5, v55
	v_add_u32_e32 v7, v6, v56
	v_add_u32_e32 v8, v7, v57
	v_add_u32_e32 v9, v8, v58
	v_add_u32_e32 v10, v9, v59
	v_add_u32_e32 v11, v10, v60
	ds_read_b64 v[34:35], v14 offset:30720
	v_add_u32_e32 v12, v11, v61
	v_add_u32_e32 v13, v12, v62
	;; [unrolled: 1-line block ×5, first 2 shown]
	s_waitcnt lgkmcnt(0)
	v_mov_b32_e32 v36, v35
	s_branch .LBB2476_79
.LBB2476_69:
                                        ; implicit-def: $vgpr36
                                        ; implicit-def: $vgpr34
                                        ; implicit-def: $vgpr2_vgpr3_vgpr4_vgpr5_vgpr6_vgpr7_vgpr8_vgpr9_vgpr10_vgpr11_vgpr12_vgpr13_vgpr14_vgpr15_vgpr16_vgpr17
	s_cbranch_execz .LBB2476_79
; %bb.70:
	s_nop 0
	v_mov_b32_dpp v2, v68 row_shr:1 row_mask:0xf bank_mask:0xf
	v_cndmask_b32_e64 v2, v2, 0, s[16:17]
	v_add_u32_e32 v2, v2, v68
	s_nop 1
	v_mov_b32_dpp v3, v2 row_shr:2 row_mask:0xf bank_mask:0xf
	v_cndmask_b32_e64 v3, 0, v3, s[14:15]
	v_add_u32_e32 v2, v2, v3
	s_nop 1
	v_mov_b32_dpp v3, v2 row_shr:4 row_mask:0xf bank_mask:0xf
	v_cndmask_b32_e64 v3, 0, v3, s[12:13]
	v_add_u32_e32 v2, v2, v3
	s_nop 1
	v_mov_b32_dpp v3, v2 row_shr:8 row_mask:0xf bank_mask:0xf
	v_cndmask_b32_e64 v3, 0, v3, s[10:11]
	v_add_u32_e32 v2, v2, v3
	s_nop 1
	v_mov_b32_dpp v3, v2 row_bcast:15 row_mask:0xf bank_mask:0xf
	v_cndmask_b32_e64 v3, v3, 0, s[8:9]
	v_add_u32_e32 v2, v2, v3
	s_nop 1
	v_mov_b32_dpp v3, v2 row_bcast:31 row_mask:0xf bank_mask:0xf
	v_cndmask_b32_e64 v3, 0, v3, s[4:5]
	v_add_u32_e32 v2, v2, v3
	s_and_saveexec_b64 s[2:3], s[6:7]
	s_cbranch_execz .LBB2476_72
; %bb.71:
	v_lshlrev_b32_e32 v3, 2, v67
	ds_write_b32 v3, v2
.LBB2476_72:
	s_or_b64 exec, exec, s[2:3]
	v_cmp_gt_u32_e32 vcc, 8, v0
	s_waitcnt lgkmcnt(0)
	s_barrier
	s_and_saveexec_b64 s[2:3], vcc
	s_cbranch_execz .LBB2476_74
; %bb.73:
	ds_read_b32 v3, v18
	v_and_b32_e32 v4, 7, v66
	v_cmp_ne_u32_e32 vcc, 0, v4
	s_waitcnt lgkmcnt(0)
	v_mov_b32_dpp v5, v3 row_shr:1 row_mask:0xf bank_mask:0xf
	v_cndmask_b32_e32 v5, 0, v5, vcc
	v_add_u32_e32 v3, v5, v3
	v_cmp_lt_u32_e32 vcc, 1, v4
	s_nop 0
	v_mov_b32_dpp v5, v3 row_shr:2 row_mask:0xf bank_mask:0xf
	v_cndmask_b32_e32 v5, 0, v5, vcc
	v_add_u32_e32 v3, v3, v5
	v_cmp_lt_u32_e32 vcc, 3, v4
	s_nop 0
	v_mov_b32_dpp v5, v3 row_shr:4 row_mask:0xf bank_mask:0xf
	v_cndmask_b32_e32 v4, 0, v5, vcc
	v_add_u32_e32 v3, v3, v4
	ds_write_b32 v18, v3
.LBB2476_74:
	s_or_b64 exec, exec, s[2:3]
	v_cmp_lt_u32_e32 vcc, 63, v0
	v_mov_b32_e32 v4, 0
	v_mov_b32_e32 v3, 0
	s_waitcnt lgkmcnt(0)
	s_barrier
	s_and_saveexec_b64 s[2:3], vcc
	s_cbranch_execz .LBB2476_76
; %bb.75:
	v_lshl_add_u32 v3, v67, 2, -4
	ds_read_b32 v3, v3
.LBB2476_76:
	s_or_b64 exec, exec, s[2:3]
	v_add_u32_e32 v5, -1, v66
	v_and_b32_e32 v6, 64, v66
	v_cmp_lt_i32_e32 vcc, v5, v6
	s_waitcnt lgkmcnt(0)
	v_add_u32_e32 v2, v3, v2
	ds_read_b32 v34, v4 offset:28
	v_cndmask_b32_e32 v5, v5, v66, vcc
	v_lshlrev_b32_e32 v5, 2, v5
	ds_bpermute_b32 v2, v5, v2
	v_cmp_eq_u32_e32 vcc, 0, v0
	s_and_saveexec_b64 s[2:3], vcc
	s_cbranch_execz .LBB2476_78
; %bb.77:
	v_mov_b32_e32 v4, 0
	v_mov_b32_e32 v35, 2
	s_waitcnt lgkmcnt(1)
	global_store_dwordx2 v4, v[34:35], s[34:35] offset:512 sc1
.LBB2476_78:
	s_or_b64 exec, exec, s[2:3]
	v_cmp_eq_u32_e64 s[2:3], 0, v66
	v_mov_b32_e32 v36, 0
	s_waitcnt lgkmcnt(0)
	v_cndmask_b32_e64 v2, v2, v3, s[2:3]
	v_cndmask_b32_e64 v2, v2, 0, vcc
	v_add_u32_e32 v3, v2, v52
	v_add_u32_e32 v4, v3, v53
	;; [unrolled: 1-line block ×14, first 2 shown]
	s_barrier
.LBB2476_79:
	v_add_u32_e32 v17, v34, v38
	v_sub_u32_e32 v2, v2, v36
	v_and_b32_e32 v38, 1, v51
	v_sub_u32_e32 v35, v17, v2
	v_cmp_eq_u32_e32 vcc, 1, v38
	s_load_dwordx2 s[0:1], s[0:1], 0x38
	v_or_b32_e32 v38, 0x200, v0
	v_cndmask_b32_e32 v2, v35, v2, vcc
	v_lshlrev_b32_e32 v2, 2, v2
	ds_write_b32 v2, v32
	v_sub_u32_e32 v2, v3, v36
	v_sub_u32_e32 v3, v17, v2
	v_and_b32_e32 v32, 1, v50
	v_add_u32_e32 v3, 1, v3
	v_cmp_eq_u32_e32 vcc, 1, v32
	v_or_b32_e32 v32, 0x600, v0
	s_nop 0
	v_cndmask_b32_e32 v2, v3, v2, vcc
	v_lshlrev_b32_e32 v2, 2, v2
	ds_write_b32 v2, v33
	v_sub_u32_e32 v2, v4, v36
	v_sub_u32_e32 v3, v17, v2
	v_and_b32_e32 v4, 1, v49
	v_add_u32_e32 v3, 2, v3
	v_cmp_eq_u32_e32 vcc, 1, v4
	v_and_b32_e32 v4, 1, v48
	v_or_b32_e32 v33, 0x400, v0
	v_cndmask_b32_e32 v2, v3, v2, vcc
	v_lshlrev_b32_e32 v2, 2, v2
	ds_write_b32 v2, v30
	v_sub_u32_e32 v2, v5, v36
	v_sub_u32_e32 v3, v17, v2
	v_add_u32_e32 v3, 3, v3
	v_cmp_eq_u32_e32 vcc, 1, v4
	v_and_b32_e32 v4, 1, v47
	v_mov_b32_e32 v5, s23
	v_cndmask_b32_e32 v2, v3, v2, vcc
	v_lshlrev_b32_e32 v2, 2, v2
	ds_write_b32 v2, v31
	v_sub_u32_e32 v2, v6, v36
	v_sub_u32_e32 v3, v17, v2
	v_add_u32_e32 v3, 4, v3
	v_cmp_eq_u32_e32 vcc, 1, v4
	v_and_b32_e32 v4, 1, v46
	v_or_b32_e32 v31, 0x800, v0
	v_cndmask_b32_e32 v2, v3, v2, vcc
	v_lshlrev_b32_e32 v2, 2, v2
	ds_write_b32 v2, v28
	v_sub_u32_e32 v2, v7, v36
	v_sub_u32_e32 v3, v17, v2
	v_add_u32_e32 v3, 5, v3
	v_cmp_eq_u32_e32 vcc, 1, v4
	v_and_b32_e32 v4, 1, v45
	v_or_b32_e32 v30, 0xa00, v0
	;; [unrolled: 9-line block ×8, first 2 shown]
	v_cndmask_b32_e32 v2, v3, v2, vcc
	v_lshlrev_b32_e32 v2, 2, v2
	ds_write_b32 v2, v23
	v_sub_u32_e32 v2, v14, v36
	v_sub_u32_e32 v3, v17, v2
	v_add_u32_e32 v3, 12, v3
	v_cmp_eq_u32_e32 vcc, 1, v4
	v_and_b32_e32 v4, 1, v37
	v_mov_b32_e32 v37, 0
	v_cndmask_b32_e32 v2, v3, v2, vcc
	v_lshlrev_b32_e32 v2, 2, v2
	ds_write_b32 v2, v20
	v_sub_u32_e32 v2, v15, v36
	v_sub_u32_e32 v3, v17, v2
	v_add_u32_e32 v3, 13, v3
	v_cmp_eq_u32_e32 vcc, 1, v4
	v_and_b32_e32 v4, 1, v19
	v_mov_b32_e32 v35, v37
	v_cndmask_b32_e32 v2, v3, v2, vcc
	v_lshlrev_b32_e32 v2, 2, v2
	ds_write_b32 v2, v21
	v_sub_u32_e32 v2, v16, v36
	v_sub_u32_e32 v3, v17, v2
	v_add_u32_e32 v3, 14, v3
	v_cmp_eq_u32_e32 vcc, 1, v4
	v_or_b32_e32 v23, 0x1800, v0
	v_or_b32_e32 v22, 0x1a00, v0
	v_cndmask_b32_e32 v2, v3, v2, vcc
	v_lshlrev_b32_e32 v2, 2, v2
	ds_write_b32 v2, v1
	v_lshl_add_u64 v[2:3], s[28:29], 0, v[34:35]
	v_lshl_add_u64 v[2:3], v[2:3], 0, v[36:37]
	s_waitcnt lgkmcnt(0)
	s_barrier
	ds_read2st64_b32 v[20:21], v18 offset1:8
	ds_read2st64_b32 v[16:17], v18 offset0:16 offset1:24
	ds_read2st64_b32 v[14:15], v18 offset0:32 offset1:40
	;; [unrolled: 1-line block ×6, first 2 shown]
	ds_read_b32 v1, v18 offset:28672
	v_sub_co_u32_e32 v4, vcc, s22, v2
	v_or_b32_e32 v19, 0x1c00, v0
	s_nop 0
	v_subb_co_u32_e32 v5, vcc, v5, v3, vcc
	v_lshlrev_b64 v[4:5], 2, v[4:5]
	v_lshl_add_u64 v[4:5], s[0:1], 0, v[4:5]
	v_lshl_add_u64 v[4:5], v[4:5], 0, s[30:31]
	s_and_b64 vcc, exec, s[20:21]
	v_cmp_le_u32_e64 s[0:1], v34, v0
	s_cbranch_vccnz .LBB2476_96
; %bb.80:
	s_and_saveexec_b64 s[2:3], s[0:1]
	s_cbranch_execnz .LBB2476_131
; %bb.81:
	s_or_b64 exec, exec, s[2:3]
	v_cmp_ge_u32_e32 vcc, v38, v34
	s_and_saveexec_b64 s[0:1], vcc
	s_cbranch_execnz .LBB2476_132
.LBB2476_82:
	s_or_b64 exec, exec, s[0:1]
	v_cmp_ge_u32_e32 vcc, v33, v34
	s_and_saveexec_b64 s[0:1], vcc
	s_cbranch_execnz .LBB2476_133
.LBB2476_83:
	s_or_b64 exec, exec, s[0:1]
	v_cmp_ge_u32_e32 vcc, v32, v34
	s_and_saveexec_b64 s[0:1], vcc
	s_cbranch_execnz .LBB2476_134
.LBB2476_84:
	s_or_b64 exec, exec, s[0:1]
	v_cmp_ge_u32_e32 vcc, v31, v34
	s_and_saveexec_b64 s[0:1], vcc
	s_cbranch_execnz .LBB2476_135
.LBB2476_85:
	s_or_b64 exec, exec, s[0:1]
	v_cmp_ge_u32_e32 vcc, v30, v34
	s_and_saveexec_b64 s[0:1], vcc
	s_cbranch_execnz .LBB2476_136
.LBB2476_86:
	s_or_b64 exec, exec, s[0:1]
	v_cmp_ge_u32_e32 vcc, v29, v34
	s_and_saveexec_b64 s[0:1], vcc
	s_cbranch_execnz .LBB2476_137
.LBB2476_87:
	s_or_b64 exec, exec, s[0:1]
	v_cmp_ge_u32_e32 vcc, v28, v34
	s_and_saveexec_b64 s[0:1], vcc
	s_cbranch_execnz .LBB2476_138
.LBB2476_88:
	s_or_b64 exec, exec, s[0:1]
	v_cmp_ge_u32_e32 vcc, v27, v34
	s_and_saveexec_b64 s[0:1], vcc
	s_cbranch_execnz .LBB2476_139
.LBB2476_89:
	s_or_b64 exec, exec, s[0:1]
	v_cmp_ge_u32_e32 vcc, v26, v34
	s_and_saveexec_b64 s[0:1], vcc
	s_cbranch_execnz .LBB2476_140
.LBB2476_90:
	s_or_b64 exec, exec, s[0:1]
	v_cmp_ge_u32_e32 vcc, v25, v34
	s_and_saveexec_b64 s[0:1], vcc
	s_cbranch_execnz .LBB2476_141
.LBB2476_91:
	s_or_b64 exec, exec, s[0:1]
	v_cmp_ge_u32_e32 vcc, v24, v34
	s_and_saveexec_b64 s[0:1], vcc
	s_cbranch_execnz .LBB2476_142
.LBB2476_92:
	s_or_b64 exec, exec, s[0:1]
	v_cmp_ge_u32_e32 vcc, v23, v34
	s_and_saveexec_b64 s[0:1], vcc
	s_cbranch_execnz .LBB2476_143
.LBB2476_93:
	s_or_b64 exec, exec, s[0:1]
	v_cmp_ge_u32_e32 vcc, v22, v34
	s_and_saveexec_b64 s[0:1], vcc
	s_cbranch_execz .LBB2476_95
.LBB2476_94:
	v_lshlrev_b32_e32 v35, 2, v22
	v_readfirstlane_b32 s2, v4
	v_readfirstlane_b32 s3, v5
	s_waitcnt lgkmcnt(1)
	s_nop 3
	global_store_dword v35, v7, s[2:3]
.LBB2476_95:
	s_or_b64 exec, exec, s[0:1]
	v_cmp_ge_u32_e64 s[0:1], v19, v34
	s_branch .LBB2476_126
.LBB2476_96:
	s_mov_b64 s[0:1], 0
	s_cbranch_execz .LBB2476_126
; %bb.97:
	v_cmp_gt_u32_e32 vcc, s33, v0
	v_cmp_le_u32_e64 s[0:1], v34, v0
	s_and_b64 s[2:3], vcc, s[0:1]
	s_and_saveexec_b64 s[0:1], s[2:3]
	s_cbranch_execz .LBB2476_99
; %bb.98:
	v_readfirstlane_b32 s2, v4
	v_readfirstlane_b32 s3, v5
	s_waitcnt lgkmcnt(7)
	s_nop 3
	global_store_dword v18, v20, s[2:3]
.LBB2476_99:
	s_or_b64 exec, exec, s[0:1]
	v_cmp_gt_u32_e32 vcc, s33, v38
	v_cmp_ge_u32_e64 s[0:1], v38, v34
	s_and_b64 s[2:3], vcc, s[0:1]
	s_and_saveexec_b64 s[0:1], s[2:3]
	s_cbranch_execz .LBB2476_101
; %bb.100:
	v_readfirstlane_b32 s2, v4
	v_readfirstlane_b32 s3, v5
	s_waitcnt lgkmcnt(7)
	s_nop 3
	global_store_dword v18, v21, s[2:3] offset:2048
.LBB2476_101:
	s_or_b64 exec, exec, s[0:1]
	v_cmp_gt_u32_e32 vcc, s33, v33
	v_cmp_ge_u32_e64 s[0:1], v33, v34
	s_and_b64 s[2:3], vcc, s[0:1]
	s_and_saveexec_b64 s[0:1], s[2:3]
	s_cbranch_execz .LBB2476_103
; %bb.102:
	v_lshlrev_b32_e32 v18, 2, v33
	v_readfirstlane_b32 s2, v4
	v_readfirstlane_b32 s3, v5
	s_waitcnt lgkmcnt(6)
	s_nop 3
	global_store_dword v18, v16, s[2:3]
.LBB2476_103:
	s_or_b64 exec, exec, s[0:1]
	v_cmp_gt_u32_e32 vcc, s33, v32
	v_cmp_ge_u32_e64 s[0:1], v32, v34
	s_and_b64 s[2:3], vcc, s[0:1]
	s_and_saveexec_b64 s[0:1], s[2:3]
	s_cbranch_execz .LBB2476_105
; %bb.104:
	s_waitcnt lgkmcnt(6)
	v_lshlrev_b32_e32 v16, 2, v32
	v_readfirstlane_b32 s2, v4
	v_readfirstlane_b32 s3, v5
	s_nop 4
	global_store_dword v16, v17, s[2:3]
.LBB2476_105:
	s_or_b64 exec, exec, s[0:1]
	v_cmp_gt_u32_e32 vcc, s33, v31
	v_cmp_ge_u32_e64 s[0:1], v31, v34
	s_and_b64 s[2:3], vcc, s[0:1]
	s_and_saveexec_b64 s[0:1], s[2:3]
	s_cbranch_execz .LBB2476_107
; %bb.106:
	s_waitcnt lgkmcnt(6)
	v_lshlrev_b32_e32 v16, 2, v31
	v_readfirstlane_b32 s2, v4
	v_readfirstlane_b32 s3, v5
	s_waitcnt lgkmcnt(5)
	s_nop 3
	global_store_dword v16, v14, s[2:3]
.LBB2476_107:
	s_or_b64 exec, exec, s[0:1]
	v_cmp_gt_u32_e32 vcc, s33, v30
	v_cmp_ge_u32_e64 s[0:1], v30, v34
	s_and_b64 s[2:3], vcc, s[0:1]
	s_and_saveexec_b64 s[0:1], s[2:3]
	s_cbranch_execz .LBB2476_109
; %bb.108:
	s_waitcnt lgkmcnt(5)
	v_lshlrev_b32_e32 v14, 2, v30
	v_readfirstlane_b32 s2, v4
	v_readfirstlane_b32 s3, v5
	s_nop 4
	global_store_dword v14, v15, s[2:3]
.LBB2476_109:
	s_or_b64 exec, exec, s[0:1]
	v_cmp_gt_u32_e32 vcc, s33, v29
	v_cmp_ge_u32_e64 s[0:1], v29, v34
	s_and_b64 s[2:3], vcc, s[0:1]
	s_and_saveexec_b64 s[0:1], s[2:3]
	s_cbranch_execz .LBB2476_111
; %bb.110:
	s_waitcnt lgkmcnt(5)
	v_lshlrev_b32_e32 v14, 2, v29
	v_readfirstlane_b32 s2, v4
	v_readfirstlane_b32 s3, v5
	s_waitcnt lgkmcnt(4)
	s_nop 3
	global_store_dword v14, v12, s[2:3]
.LBB2476_111:
	;; [unrolled: 29-line block ×5, first 2 shown]
	s_or_b64 exec, exec, s[0:1]
	v_cmp_gt_u32_e32 vcc, s33, v22
	v_cmp_ge_u32_e64 s[0:1], v22, v34
	s_and_b64 s[2:3], vcc, s[0:1]
	s_and_saveexec_b64 s[0:1], s[2:3]
	s_cbranch_execz .LBB2476_125
; %bb.124:
	s_waitcnt lgkmcnt(1)
	v_lshlrev_b32_e32 v6, 2, v22
	v_readfirstlane_b32 s2, v4
	v_readfirstlane_b32 s3, v5
	s_nop 4
	global_store_dword v6, v7, s[2:3]
.LBB2476_125:
	s_or_b64 exec, exec, s[0:1]
	v_cmp_gt_u32_e32 vcc, s33, v19
	v_cmp_ge_u32_e64 s[0:1], v19, v34
	s_and_b64 s[0:1], vcc, s[0:1]
.LBB2476_126:
	s_and_saveexec_b64 s[2:3], s[0:1]
	s_cbranch_execz .LBB2476_128
; %bb.127:
	s_waitcnt lgkmcnt(1)
	v_lshlrev_b32_e32 v6, 2, v19
	v_readfirstlane_b32 s0, v4
	v_readfirstlane_b32 s1, v5
	s_waitcnt lgkmcnt(0)
	s_nop 3
	global_store_dword v6, v1, s[0:1]
.LBB2476_128:
	s_or_b64 exec, exec, s[2:3]
	v_cmp_eq_u32_e32 vcc, 0, v0
	s_and_b64 s[0:1], vcc, s[26:27]
	s_and_saveexec_b64 s[2:3], s[0:1]
	s_cbranch_execz .LBB2476_130
; %bb.129:
	v_mov_b32_e32 v0, 0
	global_store_dwordx2 v0, v[2:3], s[24:25]
.LBB2476_130:
	s_endpgm
.LBB2476_131:
	v_readfirstlane_b32 s0, v4
	v_readfirstlane_b32 s1, v5
	s_waitcnt lgkmcnt(7)
	s_nop 3
	global_store_dword v18, v20, s[0:1]
	s_or_b64 exec, exec, s[2:3]
	v_cmp_ge_u32_e32 vcc, v38, v34
	s_and_saveexec_b64 s[0:1], vcc
	s_cbranch_execz .LBB2476_82
.LBB2476_132:
	v_readfirstlane_b32 s2, v4
	v_readfirstlane_b32 s3, v5
	s_waitcnt lgkmcnt(7)
	s_nop 3
	global_store_dword v18, v21, s[2:3] offset:2048
	s_or_b64 exec, exec, s[0:1]
	v_cmp_ge_u32_e32 vcc, v33, v34
	s_and_saveexec_b64 s[0:1], vcc
	s_cbranch_execz .LBB2476_83
.LBB2476_133:
	v_lshlrev_b32_e32 v35, 2, v33
	v_readfirstlane_b32 s2, v4
	v_readfirstlane_b32 s3, v5
	s_waitcnt lgkmcnt(6)
	s_nop 3
	global_store_dword v35, v16, s[2:3]
	s_or_b64 exec, exec, s[0:1]
	v_cmp_ge_u32_e32 vcc, v32, v34
	s_and_saveexec_b64 s[0:1], vcc
	s_cbranch_execz .LBB2476_84
.LBB2476_134:
	v_lshlrev_b32_e32 v35, 2, v32
	v_readfirstlane_b32 s2, v4
	v_readfirstlane_b32 s3, v5
	s_waitcnt lgkmcnt(6)
	s_nop 3
	global_store_dword v35, v17, s[2:3]
	s_or_b64 exec, exec, s[0:1]
	v_cmp_ge_u32_e32 vcc, v31, v34
	s_and_saveexec_b64 s[0:1], vcc
	s_cbranch_execz .LBB2476_85
.LBB2476_135:
	v_lshlrev_b32_e32 v35, 2, v31
	v_readfirstlane_b32 s2, v4
	v_readfirstlane_b32 s3, v5
	s_waitcnt lgkmcnt(5)
	s_nop 3
	global_store_dword v35, v14, s[2:3]
	s_or_b64 exec, exec, s[0:1]
	v_cmp_ge_u32_e32 vcc, v30, v34
	s_and_saveexec_b64 s[0:1], vcc
	s_cbranch_execz .LBB2476_86
.LBB2476_136:
	v_lshlrev_b32_e32 v35, 2, v30
	v_readfirstlane_b32 s2, v4
	v_readfirstlane_b32 s3, v5
	s_waitcnt lgkmcnt(5)
	s_nop 3
	global_store_dword v35, v15, s[2:3]
	s_or_b64 exec, exec, s[0:1]
	v_cmp_ge_u32_e32 vcc, v29, v34
	s_and_saveexec_b64 s[0:1], vcc
	s_cbranch_execz .LBB2476_87
.LBB2476_137:
	v_lshlrev_b32_e32 v35, 2, v29
	v_readfirstlane_b32 s2, v4
	v_readfirstlane_b32 s3, v5
	s_waitcnt lgkmcnt(4)
	s_nop 3
	global_store_dword v35, v12, s[2:3]
	s_or_b64 exec, exec, s[0:1]
	v_cmp_ge_u32_e32 vcc, v28, v34
	s_and_saveexec_b64 s[0:1], vcc
	s_cbranch_execz .LBB2476_88
.LBB2476_138:
	v_lshlrev_b32_e32 v35, 2, v28
	v_readfirstlane_b32 s2, v4
	v_readfirstlane_b32 s3, v5
	s_waitcnt lgkmcnt(4)
	s_nop 3
	global_store_dword v35, v13, s[2:3]
	s_or_b64 exec, exec, s[0:1]
	v_cmp_ge_u32_e32 vcc, v27, v34
	s_and_saveexec_b64 s[0:1], vcc
	s_cbranch_execz .LBB2476_89
.LBB2476_139:
	v_lshlrev_b32_e32 v35, 2, v27
	v_readfirstlane_b32 s2, v4
	v_readfirstlane_b32 s3, v5
	s_waitcnt lgkmcnt(3)
	s_nop 3
	global_store_dword v35, v10, s[2:3]
	s_or_b64 exec, exec, s[0:1]
	v_cmp_ge_u32_e32 vcc, v26, v34
	s_and_saveexec_b64 s[0:1], vcc
	s_cbranch_execz .LBB2476_90
.LBB2476_140:
	v_lshlrev_b32_e32 v35, 2, v26
	v_readfirstlane_b32 s2, v4
	v_readfirstlane_b32 s3, v5
	s_waitcnt lgkmcnt(3)
	s_nop 3
	global_store_dword v35, v11, s[2:3]
	s_or_b64 exec, exec, s[0:1]
	v_cmp_ge_u32_e32 vcc, v25, v34
	s_and_saveexec_b64 s[0:1], vcc
	s_cbranch_execz .LBB2476_91
.LBB2476_141:
	v_lshlrev_b32_e32 v35, 2, v25
	v_readfirstlane_b32 s2, v4
	v_readfirstlane_b32 s3, v5
	s_waitcnt lgkmcnt(2)
	s_nop 3
	global_store_dword v35, v8, s[2:3]
	s_or_b64 exec, exec, s[0:1]
	v_cmp_ge_u32_e32 vcc, v24, v34
	s_and_saveexec_b64 s[0:1], vcc
	s_cbranch_execz .LBB2476_92
.LBB2476_142:
	v_lshlrev_b32_e32 v35, 2, v24
	v_readfirstlane_b32 s2, v4
	v_readfirstlane_b32 s3, v5
	s_waitcnt lgkmcnt(2)
	s_nop 3
	global_store_dword v35, v9, s[2:3]
	s_or_b64 exec, exec, s[0:1]
	v_cmp_ge_u32_e32 vcc, v23, v34
	s_and_saveexec_b64 s[0:1], vcc
	s_cbranch_execz .LBB2476_93
.LBB2476_143:
	v_lshlrev_b32_e32 v35, 2, v23
	v_readfirstlane_b32 s2, v4
	v_readfirstlane_b32 s3, v5
	s_waitcnt lgkmcnt(1)
	s_nop 3
	global_store_dword v35, v6, s[2:3]
	s_or_b64 exec, exec, s[0:1]
	v_cmp_ge_u32_e32 vcc, v22, v34
	s_and_saveexec_b64 s[0:1], vcc
	s_cbranch_execnz .LBB2476_94
	s_branch .LBB2476_95
	.section	.rodata,"a",@progbits
	.p2align	6, 0x0
	.amdhsa_kernel _ZN7rocprim17ROCPRIM_400000_NS6detail17trampoline_kernelINS0_14default_configENS1_25partition_config_selectorILNS1_17partition_subalgoE0EjNS0_10empty_typeEbEEZZNS1_14partition_implILS5_0ELb0ES3_jN6thrust23THRUST_200600_302600_NS6detail15normal_iteratorINSA_10device_ptrIjEEEEPS6_SG_NS0_5tupleIJNSA_16discard_iteratorINSA_11use_defaultEEESF_EEENSH_IJSG_SG_EEES6_PlJ7is_evenIjEEEE10hipError_tPvRmT3_T4_T5_T6_T7_T9_mT8_P12ihipStream_tbDpT10_ENKUlT_T0_E_clISt17integral_constantIbLb1EES18_IbLb0EEEEDaS14_S15_EUlS14_E_NS1_11comp_targetILNS1_3genE5ELNS1_11target_archE942ELNS1_3gpuE9ELNS1_3repE0EEENS1_30default_config_static_selectorELNS0_4arch9wavefront6targetE1EEEvT1_
		.amdhsa_group_segment_fixed_size 30728
		.amdhsa_private_segment_fixed_size 0
		.amdhsa_kernarg_size 128
		.amdhsa_user_sgpr_count 2
		.amdhsa_user_sgpr_dispatch_ptr 0
		.amdhsa_user_sgpr_queue_ptr 0
		.amdhsa_user_sgpr_kernarg_segment_ptr 1
		.amdhsa_user_sgpr_dispatch_id 0
		.amdhsa_user_sgpr_kernarg_preload_length 0
		.amdhsa_user_sgpr_kernarg_preload_offset 0
		.amdhsa_user_sgpr_private_segment_size 0
		.amdhsa_uses_dynamic_stack 0
		.amdhsa_enable_private_segment 0
		.amdhsa_system_sgpr_workgroup_id_x 1
		.amdhsa_system_sgpr_workgroup_id_y 0
		.amdhsa_system_sgpr_workgroup_id_z 0
		.amdhsa_system_sgpr_workgroup_info 0
		.amdhsa_system_vgpr_workitem_id 0
		.amdhsa_next_free_vgpr 76
		.amdhsa_next_free_sgpr 44
		.amdhsa_accum_offset 76
		.amdhsa_reserve_vcc 1
		.amdhsa_float_round_mode_32 0
		.amdhsa_float_round_mode_16_64 0
		.amdhsa_float_denorm_mode_32 3
		.amdhsa_float_denorm_mode_16_64 3
		.amdhsa_dx10_clamp 1
		.amdhsa_ieee_mode 1
		.amdhsa_fp16_overflow 0
		.amdhsa_tg_split 0
		.amdhsa_exception_fp_ieee_invalid_op 0
		.amdhsa_exception_fp_denorm_src 0
		.amdhsa_exception_fp_ieee_div_zero 0
		.amdhsa_exception_fp_ieee_overflow 0
		.amdhsa_exception_fp_ieee_underflow 0
		.amdhsa_exception_fp_ieee_inexact 0
		.amdhsa_exception_int_div_zero 0
	.end_amdhsa_kernel
	.section	.text._ZN7rocprim17ROCPRIM_400000_NS6detail17trampoline_kernelINS0_14default_configENS1_25partition_config_selectorILNS1_17partition_subalgoE0EjNS0_10empty_typeEbEEZZNS1_14partition_implILS5_0ELb0ES3_jN6thrust23THRUST_200600_302600_NS6detail15normal_iteratorINSA_10device_ptrIjEEEEPS6_SG_NS0_5tupleIJNSA_16discard_iteratorINSA_11use_defaultEEESF_EEENSH_IJSG_SG_EEES6_PlJ7is_evenIjEEEE10hipError_tPvRmT3_T4_T5_T6_T7_T9_mT8_P12ihipStream_tbDpT10_ENKUlT_T0_E_clISt17integral_constantIbLb1EES18_IbLb0EEEEDaS14_S15_EUlS14_E_NS1_11comp_targetILNS1_3genE5ELNS1_11target_archE942ELNS1_3gpuE9ELNS1_3repE0EEENS1_30default_config_static_selectorELNS0_4arch9wavefront6targetE1EEEvT1_,"axG",@progbits,_ZN7rocprim17ROCPRIM_400000_NS6detail17trampoline_kernelINS0_14default_configENS1_25partition_config_selectorILNS1_17partition_subalgoE0EjNS0_10empty_typeEbEEZZNS1_14partition_implILS5_0ELb0ES3_jN6thrust23THRUST_200600_302600_NS6detail15normal_iteratorINSA_10device_ptrIjEEEEPS6_SG_NS0_5tupleIJNSA_16discard_iteratorINSA_11use_defaultEEESF_EEENSH_IJSG_SG_EEES6_PlJ7is_evenIjEEEE10hipError_tPvRmT3_T4_T5_T6_T7_T9_mT8_P12ihipStream_tbDpT10_ENKUlT_T0_E_clISt17integral_constantIbLb1EES18_IbLb0EEEEDaS14_S15_EUlS14_E_NS1_11comp_targetILNS1_3genE5ELNS1_11target_archE942ELNS1_3gpuE9ELNS1_3repE0EEENS1_30default_config_static_selectorELNS0_4arch9wavefront6targetE1EEEvT1_,comdat
.Lfunc_end2476:
	.size	_ZN7rocprim17ROCPRIM_400000_NS6detail17trampoline_kernelINS0_14default_configENS1_25partition_config_selectorILNS1_17partition_subalgoE0EjNS0_10empty_typeEbEEZZNS1_14partition_implILS5_0ELb0ES3_jN6thrust23THRUST_200600_302600_NS6detail15normal_iteratorINSA_10device_ptrIjEEEEPS6_SG_NS0_5tupleIJNSA_16discard_iteratorINSA_11use_defaultEEESF_EEENSH_IJSG_SG_EEES6_PlJ7is_evenIjEEEE10hipError_tPvRmT3_T4_T5_T6_T7_T9_mT8_P12ihipStream_tbDpT10_ENKUlT_T0_E_clISt17integral_constantIbLb1EES18_IbLb0EEEEDaS14_S15_EUlS14_E_NS1_11comp_targetILNS1_3genE5ELNS1_11target_archE942ELNS1_3gpuE9ELNS1_3repE0EEENS1_30default_config_static_selectorELNS0_4arch9wavefront6targetE1EEEvT1_, .Lfunc_end2476-_ZN7rocprim17ROCPRIM_400000_NS6detail17trampoline_kernelINS0_14default_configENS1_25partition_config_selectorILNS1_17partition_subalgoE0EjNS0_10empty_typeEbEEZZNS1_14partition_implILS5_0ELb0ES3_jN6thrust23THRUST_200600_302600_NS6detail15normal_iteratorINSA_10device_ptrIjEEEEPS6_SG_NS0_5tupleIJNSA_16discard_iteratorINSA_11use_defaultEEESF_EEENSH_IJSG_SG_EEES6_PlJ7is_evenIjEEEE10hipError_tPvRmT3_T4_T5_T6_T7_T9_mT8_P12ihipStream_tbDpT10_ENKUlT_T0_E_clISt17integral_constantIbLb1EES18_IbLb0EEEEDaS14_S15_EUlS14_E_NS1_11comp_targetILNS1_3genE5ELNS1_11target_archE942ELNS1_3gpuE9ELNS1_3repE0EEENS1_30default_config_static_selectorELNS0_4arch9wavefront6targetE1EEEvT1_
                                        ; -- End function
	.section	.AMDGPU.csdata,"",@progbits
; Kernel info:
; codeLenInByte = 6760
; NumSgprs: 50
; NumVgprs: 76
; NumAgprs: 0
; TotalNumVgprs: 76
; ScratchSize: 0
; MemoryBound: 0
; FloatMode: 240
; IeeeMode: 1
; LDSByteSize: 30728 bytes/workgroup (compile time only)
; SGPRBlocks: 6
; VGPRBlocks: 9
; NumSGPRsForWavesPerEU: 50
; NumVGPRsForWavesPerEU: 76
; AccumOffset: 76
; Occupancy: 4
; WaveLimiterHint : 1
; COMPUTE_PGM_RSRC2:SCRATCH_EN: 0
; COMPUTE_PGM_RSRC2:USER_SGPR: 2
; COMPUTE_PGM_RSRC2:TRAP_HANDLER: 0
; COMPUTE_PGM_RSRC2:TGID_X_EN: 1
; COMPUTE_PGM_RSRC2:TGID_Y_EN: 0
; COMPUTE_PGM_RSRC2:TGID_Z_EN: 0
; COMPUTE_PGM_RSRC2:TIDIG_COMP_CNT: 0
; COMPUTE_PGM_RSRC3_GFX90A:ACCUM_OFFSET: 18
; COMPUTE_PGM_RSRC3_GFX90A:TG_SPLIT: 0
	.section	.text._ZN7rocprim17ROCPRIM_400000_NS6detail17trampoline_kernelINS0_14default_configENS1_25partition_config_selectorILNS1_17partition_subalgoE0EjNS0_10empty_typeEbEEZZNS1_14partition_implILS5_0ELb0ES3_jN6thrust23THRUST_200600_302600_NS6detail15normal_iteratorINSA_10device_ptrIjEEEEPS6_SG_NS0_5tupleIJNSA_16discard_iteratorINSA_11use_defaultEEESF_EEENSH_IJSG_SG_EEES6_PlJ7is_evenIjEEEE10hipError_tPvRmT3_T4_T5_T6_T7_T9_mT8_P12ihipStream_tbDpT10_ENKUlT_T0_E_clISt17integral_constantIbLb1EES18_IbLb0EEEEDaS14_S15_EUlS14_E_NS1_11comp_targetILNS1_3genE4ELNS1_11target_archE910ELNS1_3gpuE8ELNS1_3repE0EEENS1_30default_config_static_selectorELNS0_4arch9wavefront6targetE1EEEvT1_,"axG",@progbits,_ZN7rocprim17ROCPRIM_400000_NS6detail17trampoline_kernelINS0_14default_configENS1_25partition_config_selectorILNS1_17partition_subalgoE0EjNS0_10empty_typeEbEEZZNS1_14partition_implILS5_0ELb0ES3_jN6thrust23THRUST_200600_302600_NS6detail15normal_iteratorINSA_10device_ptrIjEEEEPS6_SG_NS0_5tupleIJNSA_16discard_iteratorINSA_11use_defaultEEESF_EEENSH_IJSG_SG_EEES6_PlJ7is_evenIjEEEE10hipError_tPvRmT3_T4_T5_T6_T7_T9_mT8_P12ihipStream_tbDpT10_ENKUlT_T0_E_clISt17integral_constantIbLb1EES18_IbLb0EEEEDaS14_S15_EUlS14_E_NS1_11comp_targetILNS1_3genE4ELNS1_11target_archE910ELNS1_3gpuE8ELNS1_3repE0EEENS1_30default_config_static_selectorELNS0_4arch9wavefront6targetE1EEEvT1_,comdat
	.protected	_ZN7rocprim17ROCPRIM_400000_NS6detail17trampoline_kernelINS0_14default_configENS1_25partition_config_selectorILNS1_17partition_subalgoE0EjNS0_10empty_typeEbEEZZNS1_14partition_implILS5_0ELb0ES3_jN6thrust23THRUST_200600_302600_NS6detail15normal_iteratorINSA_10device_ptrIjEEEEPS6_SG_NS0_5tupleIJNSA_16discard_iteratorINSA_11use_defaultEEESF_EEENSH_IJSG_SG_EEES6_PlJ7is_evenIjEEEE10hipError_tPvRmT3_T4_T5_T6_T7_T9_mT8_P12ihipStream_tbDpT10_ENKUlT_T0_E_clISt17integral_constantIbLb1EES18_IbLb0EEEEDaS14_S15_EUlS14_E_NS1_11comp_targetILNS1_3genE4ELNS1_11target_archE910ELNS1_3gpuE8ELNS1_3repE0EEENS1_30default_config_static_selectorELNS0_4arch9wavefront6targetE1EEEvT1_ ; -- Begin function _ZN7rocprim17ROCPRIM_400000_NS6detail17trampoline_kernelINS0_14default_configENS1_25partition_config_selectorILNS1_17partition_subalgoE0EjNS0_10empty_typeEbEEZZNS1_14partition_implILS5_0ELb0ES3_jN6thrust23THRUST_200600_302600_NS6detail15normal_iteratorINSA_10device_ptrIjEEEEPS6_SG_NS0_5tupleIJNSA_16discard_iteratorINSA_11use_defaultEEESF_EEENSH_IJSG_SG_EEES6_PlJ7is_evenIjEEEE10hipError_tPvRmT3_T4_T5_T6_T7_T9_mT8_P12ihipStream_tbDpT10_ENKUlT_T0_E_clISt17integral_constantIbLb1EES18_IbLb0EEEEDaS14_S15_EUlS14_E_NS1_11comp_targetILNS1_3genE4ELNS1_11target_archE910ELNS1_3gpuE8ELNS1_3repE0EEENS1_30default_config_static_selectorELNS0_4arch9wavefront6targetE1EEEvT1_
	.globl	_ZN7rocprim17ROCPRIM_400000_NS6detail17trampoline_kernelINS0_14default_configENS1_25partition_config_selectorILNS1_17partition_subalgoE0EjNS0_10empty_typeEbEEZZNS1_14partition_implILS5_0ELb0ES3_jN6thrust23THRUST_200600_302600_NS6detail15normal_iteratorINSA_10device_ptrIjEEEEPS6_SG_NS0_5tupleIJNSA_16discard_iteratorINSA_11use_defaultEEESF_EEENSH_IJSG_SG_EEES6_PlJ7is_evenIjEEEE10hipError_tPvRmT3_T4_T5_T6_T7_T9_mT8_P12ihipStream_tbDpT10_ENKUlT_T0_E_clISt17integral_constantIbLb1EES18_IbLb0EEEEDaS14_S15_EUlS14_E_NS1_11comp_targetILNS1_3genE4ELNS1_11target_archE910ELNS1_3gpuE8ELNS1_3repE0EEENS1_30default_config_static_selectorELNS0_4arch9wavefront6targetE1EEEvT1_
	.p2align	8
	.type	_ZN7rocprim17ROCPRIM_400000_NS6detail17trampoline_kernelINS0_14default_configENS1_25partition_config_selectorILNS1_17partition_subalgoE0EjNS0_10empty_typeEbEEZZNS1_14partition_implILS5_0ELb0ES3_jN6thrust23THRUST_200600_302600_NS6detail15normal_iteratorINSA_10device_ptrIjEEEEPS6_SG_NS0_5tupleIJNSA_16discard_iteratorINSA_11use_defaultEEESF_EEENSH_IJSG_SG_EEES6_PlJ7is_evenIjEEEE10hipError_tPvRmT3_T4_T5_T6_T7_T9_mT8_P12ihipStream_tbDpT10_ENKUlT_T0_E_clISt17integral_constantIbLb1EES18_IbLb0EEEEDaS14_S15_EUlS14_E_NS1_11comp_targetILNS1_3genE4ELNS1_11target_archE910ELNS1_3gpuE8ELNS1_3repE0EEENS1_30default_config_static_selectorELNS0_4arch9wavefront6targetE1EEEvT1_,@function
_ZN7rocprim17ROCPRIM_400000_NS6detail17trampoline_kernelINS0_14default_configENS1_25partition_config_selectorILNS1_17partition_subalgoE0EjNS0_10empty_typeEbEEZZNS1_14partition_implILS5_0ELb0ES3_jN6thrust23THRUST_200600_302600_NS6detail15normal_iteratorINSA_10device_ptrIjEEEEPS6_SG_NS0_5tupleIJNSA_16discard_iteratorINSA_11use_defaultEEESF_EEENSH_IJSG_SG_EEES6_PlJ7is_evenIjEEEE10hipError_tPvRmT3_T4_T5_T6_T7_T9_mT8_P12ihipStream_tbDpT10_ENKUlT_T0_E_clISt17integral_constantIbLb1EES18_IbLb0EEEEDaS14_S15_EUlS14_E_NS1_11comp_targetILNS1_3genE4ELNS1_11target_archE910ELNS1_3gpuE8ELNS1_3repE0EEENS1_30default_config_static_selectorELNS0_4arch9wavefront6targetE1EEEvT1_: ; @_ZN7rocprim17ROCPRIM_400000_NS6detail17trampoline_kernelINS0_14default_configENS1_25partition_config_selectorILNS1_17partition_subalgoE0EjNS0_10empty_typeEbEEZZNS1_14partition_implILS5_0ELb0ES3_jN6thrust23THRUST_200600_302600_NS6detail15normal_iteratorINSA_10device_ptrIjEEEEPS6_SG_NS0_5tupleIJNSA_16discard_iteratorINSA_11use_defaultEEESF_EEENSH_IJSG_SG_EEES6_PlJ7is_evenIjEEEE10hipError_tPvRmT3_T4_T5_T6_T7_T9_mT8_P12ihipStream_tbDpT10_ENKUlT_T0_E_clISt17integral_constantIbLb1EES18_IbLb0EEEEDaS14_S15_EUlS14_E_NS1_11comp_targetILNS1_3genE4ELNS1_11target_archE910ELNS1_3gpuE8ELNS1_3repE0EEENS1_30default_config_static_selectorELNS0_4arch9wavefront6targetE1EEEvT1_
; %bb.0:
	.section	.rodata,"a",@progbits
	.p2align	6, 0x0
	.amdhsa_kernel _ZN7rocprim17ROCPRIM_400000_NS6detail17trampoline_kernelINS0_14default_configENS1_25partition_config_selectorILNS1_17partition_subalgoE0EjNS0_10empty_typeEbEEZZNS1_14partition_implILS5_0ELb0ES3_jN6thrust23THRUST_200600_302600_NS6detail15normal_iteratorINSA_10device_ptrIjEEEEPS6_SG_NS0_5tupleIJNSA_16discard_iteratorINSA_11use_defaultEEESF_EEENSH_IJSG_SG_EEES6_PlJ7is_evenIjEEEE10hipError_tPvRmT3_T4_T5_T6_T7_T9_mT8_P12ihipStream_tbDpT10_ENKUlT_T0_E_clISt17integral_constantIbLb1EES18_IbLb0EEEEDaS14_S15_EUlS14_E_NS1_11comp_targetILNS1_3genE4ELNS1_11target_archE910ELNS1_3gpuE8ELNS1_3repE0EEENS1_30default_config_static_selectorELNS0_4arch9wavefront6targetE1EEEvT1_
		.amdhsa_group_segment_fixed_size 0
		.amdhsa_private_segment_fixed_size 0
		.amdhsa_kernarg_size 128
		.amdhsa_user_sgpr_count 2
		.amdhsa_user_sgpr_dispatch_ptr 0
		.amdhsa_user_sgpr_queue_ptr 0
		.amdhsa_user_sgpr_kernarg_segment_ptr 1
		.amdhsa_user_sgpr_dispatch_id 0
		.amdhsa_user_sgpr_kernarg_preload_length 0
		.amdhsa_user_sgpr_kernarg_preload_offset 0
		.amdhsa_user_sgpr_private_segment_size 0
		.amdhsa_uses_dynamic_stack 0
		.amdhsa_enable_private_segment 0
		.amdhsa_system_sgpr_workgroup_id_x 1
		.amdhsa_system_sgpr_workgroup_id_y 0
		.amdhsa_system_sgpr_workgroup_id_z 0
		.amdhsa_system_sgpr_workgroup_info 0
		.amdhsa_system_vgpr_workitem_id 0
		.amdhsa_next_free_vgpr 1
		.amdhsa_next_free_sgpr 0
		.amdhsa_accum_offset 4
		.amdhsa_reserve_vcc 0
		.amdhsa_float_round_mode_32 0
		.amdhsa_float_round_mode_16_64 0
		.amdhsa_float_denorm_mode_32 3
		.amdhsa_float_denorm_mode_16_64 3
		.amdhsa_dx10_clamp 1
		.amdhsa_ieee_mode 1
		.amdhsa_fp16_overflow 0
		.amdhsa_tg_split 0
		.amdhsa_exception_fp_ieee_invalid_op 0
		.amdhsa_exception_fp_denorm_src 0
		.amdhsa_exception_fp_ieee_div_zero 0
		.amdhsa_exception_fp_ieee_overflow 0
		.amdhsa_exception_fp_ieee_underflow 0
		.amdhsa_exception_fp_ieee_inexact 0
		.amdhsa_exception_int_div_zero 0
	.end_amdhsa_kernel
	.section	.text._ZN7rocprim17ROCPRIM_400000_NS6detail17trampoline_kernelINS0_14default_configENS1_25partition_config_selectorILNS1_17partition_subalgoE0EjNS0_10empty_typeEbEEZZNS1_14partition_implILS5_0ELb0ES3_jN6thrust23THRUST_200600_302600_NS6detail15normal_iteratorINSA_10device_ptrIjEEEEPS6_SG_NS0_5tupleIJNSA_16discard_iteratorINSA_11use_defaultEEESF_EEENSH_IJSG_SG_EEES6_PlJ7is_evenIjEEEE10hipError_tPvRmT3_T4_T5_T6_T7_T9_mT8_P12ihipStream_tbDpT10_ENKUlT_T0_E_clISt17integral_constantIbLb1EES18_IbLb0EEEEDaS14_S15_EUlS14_E_NS1_11comp_targetILNS1_3genE4ELNS1_11target_archE910ELNS1_3gpuE8ELNS1_3repE0EEENS1_30default_config_static_selectorELNS0_4arch9wavefront6targetE1EEEvT1_,"axG",@progbits,_ZN7rocprim17ROCPRIM_400000_NS6detail17trampoline_kernelINS0_14default_configENS1_25partition_config_selectorILNS1_17partition_subalgoE0EjNS0_10empty_typeEbEEZZNS1_14partition_implILS5_0ELb0ES3_jN6thrust23THRUST_200600_302600_NS6detail15normal_iteratorINSA_10device_ptrIjEEEEPS6_SG_NS0_5tupleIJNSA_16discard_iteratorINSA_11use_defaultEEESF_EEENSH_IJSG_SG_EEES6_PlJ7is_evenIjEEEE10hipError_tPvRmT3_T4_T5_T6_T7_T9_mT8_P12ihipStream_tbDpT10_ENKUlT_T0_E_clISt17integral_constantIbLb1EES18_IbLb0EEEEDaS14_S15_EUlS14_E_NS1_11comp_targetILNS1_3genE4ELNS1_11target_archE910ELNS1_3gpuE8ELNS1_3repE0EEENS1_30default_config_static_selectorELNS0_4arch9wavefront6targetE1EEEvT1_,comdat
.Lfunc_end2477:
	.size	_ZN7rocprim17ROCPRIM_400000_NS6detail17trampoline_kernelINS0_14default_configENS1_25partition_config_selectorILNS1_17partition_subalgoE0EjNS0_10empty_typeEbEEZZNS1_14partition_implILS5_0ELb0ES3_jN6thrust23THRUST_200600_302600_NS6detail15normal_iteratorINSA_10device_ptrIjEEEEPS6_SG_NS0_5tupleIJNSA_16discard_iteratorINSA_11use_defaultEEESF_EEENSH_IJSG_SG_EEES6_PlJ7is_evenIjEEEE10hipError_tPvRmT3_T4_T5_T6_T7_T9_mT8_P12ihipStream_tbDpT10_ENKUlT_T0_E_clISt17integral_constantIbLb1EES18_IbLb0EEEEDaS14_S15_EUlS14_E_NS1_11comp_targetILNS1_3genE4ELNS1_11target_archE910ELNS1_3gpuE8ELNS1_3repE0EEENS1_30default_config_static_selectorELNS0_4arch9wavefront6targetE1EEEvT1_, .Lfunc_end2477-_ZN7rocprim17ROCPRIM_400000_NS6detail17trampoline_kernelINS0_14default_configENS1_25partition_config_selectorILNS1_17partition_subalgoE0EjNS0_10empty_typeEbEEZZNS1_14partition_implILS5_0ELb0ES3_jN6thrust23THRUST_200600_302600_NS6detail15normal_iteratorINSA_10device_ptrIjEEEEPS6_SG_NS0_5tupleIJNSA_16discard_iteratorINSA_11use_defaultEEESF_EEENSH_IJSG_SG_EEES6_PlJ7is_evenIjEEEE10hipError_tPvRmT3_T4_T5_T6_T7_T9_mT8_P12ihipStream_tbDpT10_ENKUlT_T0_E_clISt17integral_constantIbLb1EES18_IbLb0EEEEDaS14_S15_EUlS14_E_NS1_11comp_targetILNS1_3genE4ELNS1_11target_archE910ELNS1_3gpuE8ELNS1_3repE0EEENS1_30default_config_static_selectorELNS0_4arch9wavefront6targetE1EEEvT1_
                                        ; -- End function
	.section	.AMDGPU.csdata,"",@progbits
; Kernel info:
; codeLenInByte = 0
; NumSgprs: 6
; NumVgprs: 0
; NumAgprs: 0
; TotalNumVgprs: 0
; ScratchSize: 0
; MemoryBound: 0
; FloatMode: 240
; IeeeMode: 1
; LDSByteSize: 0 bytes/workgroup (compile time only)
; SGPRBlocks: 0
; VGPRBlocks: 0
; NumSGPRsForWavesPerEU: 6
; NumVGPRsForWavesPerEU: 1
; AccumOffset: 4
; Occupancy: 8
; WaveLimiterHint : 0
; COMPUTE_PGM_RSRC2:SCRATCH_EN: 0
; COMPUTE_PGM_RSRC2:USER_SGPR: 2
; COMPUTE_PGM_RSRC2:TRAP_HANDLER: 0
; COMPUTE_PGM_RSRC2:TGID_X_EN: 1
; COMPUTE_PGM_RSRC2:TGID_Y_EN: 0
; COMPUTE_PGM_RSRC2:TGID_Z_EN: 0
; COMPUTE_PGM_RSRC2:TIDIG_COMP_CNT: 0
; COMPUTE_PGM_RSRC3_GFX90A:ACCUM_OFFSET: 0
; COMPUTE_PGM_RSRC3_GFX90A:TG_SPLIT: 0
	.section	.text._ZN7rocprim17ROCPRIM_400000_NS6detail17trampoline_kernelINS0_14default_configENS1_25partition_config_selectorILNS1_17partition_subalgoE0EjNS0_10empty_typeEbEEZZNS1_14partition_implILS5_0ELb0ES3_jN6thrust23THRUST_200600_302600_NS6detail15normal_iteratorINSA_10device_ptrIjEEEEPS6_SG_NS0_5tupleIJNSA_16discard_iteratorINSA_11use_defaultEEESF_EEENSH_IJSG_SG_EEES6_PlJ7is_evenIjEEEE10hipError_tPvRmT3_T4_T5_T6_T7_T9_mT8_P12ihipStream_tbDpT10_ENKUlT_T0_E_clISt17integral_constantIbLb1EES18_IbLb0EEEEDaS14_S15_EUlS14_E_NS1_11comp_targetILNS1_3genE3ELNS1_11target_archE908ELNS1_3gpuE7ELNS1_3repE0EEENS1_30default_config_static_selectorELNS0_4arch9wavefront6targetE1EEEvT1_,"axG",@progbits,_ZN7rocprim17ROCPRIM_400000_NS6detail17trampoline_kernelINS0_14default_configENS1_25partition_config_selectorILNS1_17partition_subalgoE0EjNS0_10empty_typeEbEEZZNS1_14partition_implILS5_0ELb0ES3_jN6thrust23THRUST_200600_302600_NS6detail15normal_iteratorINSA_10device_ptrIjEEEEPS6_SG_NS0_5tupleIJNSA_16discard_iteratorINSA_11use_defaultEEESF_EEENSH_IJSG_SG_EEES6_PlJ7is_evenIjEEEE10hipError_tPvRmT3_T4_T5_T6_T7_T9_mT8_P12ihipStream_tbDpT10_ENKUlT_T0_E_clISt17integral_constantIbLb1EES18_IbLb0EEEEDaS14_S15_EUlS14_E_NS1_11comp_targetILNS1_3genE3ELNS1_11target_archE908ELNS1_3gpuE7ELNS1_3repE0EEENS1_30default_config_static_selectorELNS0_4arch9wavefront6targetE1EEEvT1_,comdat
	.protected	_ZN7rocprim17ROCPRIM_400000_NS6detail17trampoline_kernelINS0_14default_configENS1_25partition_config_selectorILNS1_17partition_subalgoE0EjNS0_10empty_typeEbEEZZNS1_14partition_implILS5_0ELb0ES3_jN6thrust23THRUST_200600_302600_NS6detail15normal_iteratorINSA_10device_ptrIjEEEEPS6_SG_NS0_5tupleIJNSA_16discard_iteratorINSA_11use_defaultEEESF_EEENSH_IJSG_SG_EEES6_PlJ7is_evenIjEEEE10hipError_tPvRmT3_T4_T5_T6_T7_T9_mT8_P12ihipStream_tbDpT10_ENKUlT_T0_E_clISt17integral_constantIbLb1EES18_IbLb0EEEEDaS14_S15_EUlS14_E_NS1_11comp_targetILNS1_3genE3ELNS1_11target_archE908ELNS1_3gpuE7ELNS1_3repE0EEENS1_30default_config_static_selectorELNS0_4arch9wavefront6targetE1EEEvT1_ ; -- Begin function _ZN7rocprim17ROCPRIM_400000_NS6detail17trampoline_kernelINS0_14default_configENS1_25partition_config_selectorILNS1_17partition_subalgoE0EjNS0_10empty_typeEbEEZZNS1_14partition_implILS5_0ELb0ES3_jN6thrust23THRUST_200600_302600_NS6detail15normal_iteratorINSA_10device_ptrIjEEEEPS6_SG_NS0_5tupleIJNSA_16discard_iteratorINSA_11use_defaultEEESF_EEENSH_IJSG_SG_EEES6_PlJ7is_evenIjEEEE10hipError_tPvRmT3_T4_T5_T6_T7_T9_mT8_P12ihipStream_tbDpT10_ENKUlT_T0_E_clISt17integral_constantIbLb1EES18_IbLb0EEEEDaS14_S15_EUlS14_E_NS1_11comp_targetILNS1_3genE3ELNS1_11target_archE908ELNS1_3gpuE7ELNS1_3repE0EEENS1_30default_config_static_selectorELNS0_4arch9wavefront6targetE1EEEvT1_
	.globl	_ZN7rocprim17ROCPRIM_400000_NS6detail17trampoline_kernelINS0_14default_configENS1_25partition_config_selectorILNS1_17partition_subalgoE0EjNS0_10empty_typeEbEEZZNS1_14partition_implILS5_0ELb0ES3_jN6thrust23THRUST_200600_302600_NS6detail15normal_iteratorINSA_10device_ptrIjEEEEPS6_SG_NS0_5tupleIJNSA_16discard_iteratorINSA_11use_defaultEEESF_EEENSH_IJSG_SG_EEES6_PlJ7is_evenIjEEEE10hipError_tPvRmT3_T4_T5_T6_T7_T9_mT8_P12ihipStream_tbDpT10_ENKUlT_T0_E_clISt17integral_constantIbLb1EES18_IbLb0EEEEDaS14_S15_EUlS14_E_NS1_11comp_targetILNS1_3genE3ELNS1_11target_archE908ELNS1_3gpuE7ELNS1_3repE0EEENS1_30default_config_static_selectorELNS0_4arch9wavefront6targetE1EEEvT1_
	.p2align	8
	.type	_ZN7rocprim17ROCPRIM_400000_NS6detail17trampoline_kernelINS0_14default_configENS1_25partition_config_selectorILNS1_17partition_subalgoE0EjNS0_10empty_typeEbEEZZNS1_14partition_implILS5_0ELb0ES3_jN6thrust23THRUST_200600_302600_NS6detail15normal_iteratorINSA_10device_ptrIjEEEEPS6_SG_NS0_5tupleIJNSA_16discard_iteratorINSA_11use_defaultEEESF_EEENSH_IJSG_SG_EEES6_PlJ7is_evenIjEEEE10hipError_tPvRmT3_T4_T5_T6_T7_T9_mT8_P12ihipStream_tbDpT10_ENKUlT_T0_E_clISt17integral_constantIbLb1EES18_IbLb0EEEEDaS14_S15_EUlS14_E_NS1_11comp_targetILNS1_3genE3ELNS1_11target_archE908ELNS1_3gpuE7ELNS1_3repE0EEENS1_30default_config_static_selectorELNS0_4arch9wavefront6targetE1EEEvT1_,@function
_ZN7rocprim17ROCPRIM_400000_NS6detail17trampoline_kernelINS0_14default_configENS1_25partition_config_selectorILNS1_17partition_subalgoE0EjNS0_10empty_typeEbEEZZNS1_14partition_implILS5_0ELb0ES3_jN6thrust23THRUST_200600_302600_NS6detail15normal_iteratorINSA_10device_ptrIjEEEEPS6_SG_NS0_5tupleIJNSA_16discard_iteratorINSA_11use_defaultEEESF_EEENSH_IJSG_SG_EEES6_PlJ7is_evenIjEEEE10hipError_tPvRmT3_T4_T5_T6_T7_T9_mT8_P12ihipStream_tbDpT10_ENKUlT_T0_E_clISt17integral_constantIbLb1EES18_IbLb0EEEEDaS14_S15_EUlS14_E_NS1_11comp_targetILNS1_3genE3ELNS1_11target_archE908ELNS1_3gpuE7ELNS1_3repE0EEENS1_30default_config_static_selectorELNS0_4arch9wavefront6targetE1EEEvT1_: ; @_ZN7rocprim17ROCPRIM_400000_NS6detail17trampoline_kernelINS0_14default_configENS1_25partition_config_selectorILNS1_17partition_subalgoE0EjNS0_10empty_typeEbEEZZNS1_14partition_implILS5_0ELb0ES3_jN6thrust23THRUST_200600_302600_NS6detail15normal_iteratorINSA_10device_ptrIjEEEEPS6_SG_NS0_5tupleIJNSA_16discard_iteratorINSA_11use_defaultEEESF_EEENSH_IJSG_SG_EEES6_PlJ7is_evenIjEEEE10hipError_tPvRmT3_T4_T5_T6_T7_T9_mT8_P12ihipStream_tbDpT10_ENKUlT_T0_E_clISt17integral_constantIbLb1EES18_IbLb0EEEEDaS14_S15_EUlS14_E_NS1_11comp_targetILNS1_3genE3ELNS1_11target_archE908ELNS1_3gpuE7ELNS1_3repE0EEENS1_30default_config_static_selectorELNS0_4arch9wavefront6targetE1EEEvT1_
; %bb.0:
	.section	.rodata,"a",@progbits
	.p2align	6, 0x0
	.amdhsa_kernel _ZN7rocprim17ROCPRIM_400000_NS6detail17trampoline_kernelINS0_14default_configENS1_25partition_config_selectorILNS1_17partition_subalgoE0EjNS0_10empty_typeEbEEZZNS1_14partition_implILS5_0ELb0ES3_jN6thrust23THRUST_200600_302600_NS6detail15normal_iteratorINSA_10device_ptrIjEEEEPS6_SG_NS0_5tupleIJNSA_16discard_iteratorINSA_11use_defaultEEESF_EEENSH_IJSG_SG_EEES6_PlJ7is_evenIjEEEE10hipError_tPvRmT3_T4_T5_T6_T7_T9_mT8_P12ihipStream_tbDpT10_ENKUlT_T0_E_clISt17integral_constantIbLb1EES18_IbLb0EEEEDaS14_S15_EUlS14_E_NS1_11comp_targetILNS1_3genE3ELNS1_11target_archE908ELNS1_3gpuE7ELNS1_3repE0EEENS1_30default_config_static_selectorELNS0_4arch9wavefront6targetE1EEEvT1_
		.amdhsa_group_segment_fixed_size 0
		.amdhsa_private_segment_fixed_size 0
		.amdhsa_kernarg_size 128
		.amdhsa_user_sgpr_count 2
		.amdhsa_user_sgpr_dispatch_ptr 0
		.amdhsa_user_sgpr_queue_ptr 0
		.amdhsa_user_sgpr_kernarg_segment_ptr 1
		.amdhsa_user_sgpr_dispatch_id 0
		.amdhsa_user_sgpr_kernarg_preload_length 0
		.amdhsa_user_sgpr_kernarg_preload_offset 0
		.amdhsa_user_sgpr_private_segment_size 0
		.amdhsa_uses_dynamic_stack 0
		.amdhsa_enable_private_segment 0
		.amdhsa_system_sgpr_workgroup_id_x 1
		.amdhsa_system_sgpr_workgroup_id_y 0
		.amdhsa_system_sgpr_workgroup_id_z 0
		.amdhsa_system_sgpr_workgroup_info 0
		.amdhsa_system_vgpr_workitem_id 0
		.amdhsa_next_free_vgpr 1
		.amdhsa_next_free_sgpr 0
		.amdhsa_accum_offset 4
		.amdhsa_reserve_vcc 0
		.amdhsa_float_round_mode_32 0
		.amdhsa_float_round_mode_16_64 0
		.amdhsa_float_denorm_mode_32 3
		.amdhsa_float_denorm_mode_16_64 3
		.amdhsa_dx10_clamp 1
		.amdhsa_ieee_mode 1
		.amdhsa_fp16_overflow 0
		.amdhsa_tg_split 0
		.amdhsa_exception_fp_ieee_invalid_op 0
		.amdhsa_exception_fp_denorm_src 0
		.amdhsa_exception_fp_ieee_div_zero 0
		.amdhsa_exception_fp_ieee_overflow 0
		.amdhsa_exception_fp_ieee_underflow 0
		.amdhsa_exception_fp_ieee_inexact 0
		.amdhsa_exception_int_div_zero 0
	.end_amdhsa_kernel
	.section	.text._ZN7rocprim17ROCPRIM_400000_NS6detail17trampoline_kernelINS0_14default_configENS1_25partition_config_selectorILNS1_17partition_subalgoE0EjNS0_10empty_typeEbEEZZNS1_14partition_implILS5_0ELb0ES3_jN6thrust23THRUST_200600_302600_NS6detail15normal_iteratorINSA_10device_ptrIjEEEEPS6_SG_NS0_5tupleIJNSA_16discard_iteratorINSA_11use_defaultEEESF_EEENSH_IJSG_SG_EEES6_PlJ7is_evenIjEEEE10hipError_tPvRmT3_T4_T5_T6_T7_T9_mT8_P12ihipStream_tbDpT10_ENKUlT_T0_E_clISt17integral_constantIbLb1EES18_IbLb0EEEEDaS14_S15_EUlS14_E_NS1_11comp_targetILNS1_3genE3ELNS1_11target_archE908ELNS1_3gpuE7ELNS1_3repE0EEENS1_30default_config_static_selectorELNS0_4arch9wavefront6targetE1EEEvT1_,"axG",@progbits,_ZN7rocprim17ROCPRIM_400000_NS6detail17trampoline_kernelINS0_14default_configENS1_25partition_config_selectorILNS1_17partition_subalgoE0EjNS0_10empty_typeEbEEZZNS1_14partition_implILS5_0ELb0ES3_jN6thrust23THRUST_200600_302600_NS6detail15normal_iteratorINSA_10device_ptrIjEEEEPS6_SG_NS0_5tupleIJNSA_16discard_iteratorINSA_11use_defaultEEESF_EEENSH_IJSG_SG_EEES6_PlJ7is_evenIjEEEE10hipError_tPvRmT3_T4_T5_T6_T7_T9_mT8_P12ihipStream_tbDpT10_ENKUlT_T0_E_clISt17integral_constantIbLb1EES18_IbLb0EEEEDaS14_S15_EUlS14_E_NS1_11comp_targetILNS1_3genE3ELNS1_11target_archE908ELNS1_3gpuE7ELNS1_3repE0EEENS1_30default_config_static_selectorELNS0_4arch9wavefront6targetE1EEEvT1_,comdat
.Lfunc_end2478:
	.size	_ZN7rocprim17ROCPRIM_400000_NS6detail17trampoline_kernelINS0_14default_configENS1_25partition_config_selectorILNS1_17partition_subalgoE0EjNS0_10empty_typeEbEEZZNS1_14partition_implILS5_0ELb0ES3_jN6thrust23THRUST_200600_302600_NS6detail15normal_iteratorINSA_10device_ptrIjEEEEPS6_SG_NS0_5tupleIJNSA_16discard_iteratorINSA_11use_defaultEEESF_EEENSH_IJSG_SG_EEES6_PlJ7is_evenIjEEEE10hipError_tPvRmT3_T4_T5_T6_T7_T9_mT8_P12ihipStream_tbDpT10_ENKUlT_T0_E_clISt17integral_constantIbLb1EES18_IbLb0EEEEDaS14_S15_EUlS14_E_NS1_11comp_targetILNS1_3genE3ELNS1_11target_archE908ELNS1_3gpuE7ELNS1_3repE0EEENS1_30default_config_static_selectorELNS0_4arch9wavefront6targetE1EEEvT1_, .Lfunc_end2478-_ZN7rocprim17ROCPRIM_400000_NS6detail17trampoline_kernelINS0_14default_configENS1_25partition_config_selectorILNS1_17partition_subalgoE0EjNS0_10empty_typeEbEEZZNS1_14partition_implILS5_0ELb0ES3_jN6thrust23THRUST_200600_302600_NS6detail15normal_iteratorINSA_10device_ptrIjEEEEPS6_SG_NS0_5tupleIJNSA_16discard_iteratorINSA_11use_defaultEEESF_EEENSH_IJSG_SG_EEES6_PlJ7is_evenIjEEEE10hipError_tPvRmT3_T4_T5_T6_T7_T9_mT8_P12ihipStream_tbDpT10_ENKUlT_T0_E_clISt17integral_constantIbLb1EES18_IbLb0EEEEDaS14_S15_EUlS14_E_NS1_11comp_targetILNS1_3genE3ELNS1_11target_archE908ELNS1_3gpuE7ELNS1_3repE0EEENS1_30default_config_static_selectorELNS0_4arch9wavefront6targetE1EEEvT1_
                                        ; -- End function
	.section	.AMDGPU.csdata,"",@progbits
; Kernel info:
; codeLenInByte = 0
; NumSgprs: 6
; NumVgprs: 0
; NumAgprs: 0
; TotalNumVgprs: 0
; ScratchSize: 0
; MemoryBound: 0
; FloatMode: 240
; IeeeMode: 1
; LDSByteSize: 0 bytes/workgroup (compile time only)
; SGPRBlocks: 0
; VGPRBlocks: 0
; NumSGPRsForWavesPerEU: 6
; NumVGPRsForWavesPerEU: 1
; AccumOffset: 4
; Occupancy: 8
; WaveLimiterHint : 0
; COMPUTE_PGM_RSRC2:SCRATCH_EN: 0
; COMPUTE_PGM_RSRC2:USER_SGPR: 2
; COMPUTE_PGM_RSRC2:TRAP_HANDLER: 0
; COMPUTE_PGM_RSRC2:TGID_X_EN: 1
; COMPUTE_PGM_RSRC2:TGID_Y_EN: 0
; COMPUTE_PGM_RSRC2:TGID_Z_EN: 0
; COMPUTE_PGM_RSRC2:TIDIG_COMP_CNT: 0
; COMPUTE_PGM_RSRC3_GFX90A:ACCUM_OFFSET: 0
; COMPUTE_PGM_RSRC3_GFX90A:TG_SPLIT: 0
	.section	.text._ZN7rocprim17ROCPRIM_400000_NS6detail17trampoline_kernelINS0_14default_configENS1_25partition_config_selectorILNS1_17partition_subalgoE0EjNS0_10empty_typeEbEEZZNS1_14partition_implILS5_0ELb0ES3_jN6thrust23THRUST_200600_302600_NS6detail15normal_iteratorINSA_10device_ptrIjEEEEPS6_SG_NS0_5tupleIJNSA_16discard_iteratorINSA_11use_defaultEEESF_EEENSH_IJSG_SG_EEES6_PlJ7is_evenIjEEEE10hipError_tPvRmT3_T4_T5_T6_T7_T9_mT8_P12ihipStream_tbDpT10_ENKUlT_T0_E_clISt17integral_constantIbLb1EES18_IbLb0EEEEDaS14_S15_EUlS14_E_NS1_11comp_targetILNS1_3genE2ELNS1_11target_archE906ELNS1_3gpuE6ELNS1_3repE0EEENS1_30default_config_static_selectorELNS0_4arch9wavefront6targetE1EEEvT1_,"axG",@progbits,_ZN7rocprim17ROCPRIM_400000_NS6detail17trampoline_kernelINS0_14default_configENS1_25partition_config_selectorILNS1_17partition_subalgoE0EjNS0_10empty_typeEbEEZZNS1_14partition_implILS5_0ELb0ES3_jN6thrust23THRUST_200600_302600_NS6detail15normal_iteratorINSA_10device_ptrIjEEEEPS6_SG_NS0_5tupleIJNSA_16discard_iteratorINSA_11use_defaultEEESF_EEENSH_IJSG_SG_EEES6_PlJ7is_evenIjEEEE10hipError_tPvRmT3_T4_T5_T6_T7_T9_mT8_P12ihipStream_tbDpT10_ENKUlT_T0_E_clISt17integral_constantIbLb1EES18_IbLb0EEEEDaS14_S15_EUlS14_E_NS1_11comp_targetILNS1_3genE2ELNS1_11target_archE906ELNS1_3gpuE6ELNS1_3repE0EEENS1_30default_config_static_selectorELNS0_4arch9wavefront6targetE1EEEvT1_,comdat
	.protected	_ZN7rocprim17ROCPRIM_400000_NS6detail17trampoline_kernelINS0_14default_configENS1_25partition_config_selectorILNS1_17partition_subalgoE0EjNS0_10empty_typeEbEEZZNS1_14partition_implILS5_0ELb0ES3_jN6thrust23THRUST_200600_302600_NS6detail15normal_iteratorINSA_10device_ptrIjEEEEPS6_SG_NS0_5tupleIJNSA_16discard_iteratorINSA_11use_defaultEEESF_EEENSH_IJSG_SG_EEES6_PlJ7is_evenIjEEEE10hipError_tPvRmT3_T4_T5_T6_T7_T9_mT8_P12ihipStream_tbDpT10_ENKUlT_T0_E_clISt17integral_constantIbLb1EES18_IbLb0EEEEDaS14_S15_EUlS14_E_NS1_11comp_targetILNS1_3genE2ELNS1_11target_archE906ELNS1_3gpuE6ELNS1_3repE0EEENS1_30default_config_static_selectorELNS0_4arch9wavefront6targetE1EEEvT1_ ; -- Begin function _ZN7rocprim17ROCPRIM_400000_NS6detail17trampoline_kernelINS0_14default_configENS1_25partition_config_selectorILNS1_17partition_subalgoE0EjNS0_10empty_typeEbEEZZNS1_14partition_implILS5_0ELb0ES3_jN6thrust23THRUST_200600_302600_NS6detail15normal_iteratorINSA_10device_ptrIjEEEEPS6_SG_NS0_5tupleIJNSA_16discard_iteratorINSA_11use_defaultEEESF_EEENSH_IJSG_SG_EEES6_PlJ7is_evenIjEEEE10hipError_tPvRmT3_T4_T5_T6_T7_T9_mT8_P12ihipStream_tbDpT10_ENKUlT_T0_E_clISt17integral_constantIbLb1EES18_IbLb0EEEEDaS14_S15_EUlS14_E_NS1_11comp_targetILNS1_3genE2ELNS1_11target_archE906ELNS1_3gpuE6ELNS1_3repE0EEENS1_30default_config_static_selectorELNS0_4arch9wavefront6targetE1EEEvT1_
	.globl	_ZN7rocprim17ROCPRIM_400000_NS6detail17trampoline_kernelINS0_14default_configENS1_25partition_config_selectorILNS1_17partition_subalgoE0EjNS0_10empty_typeEbEEZZNS1_14partition_implILS5_0ELb0ES3_jN6thrust23THRUST_200600_302600_NS6detail15normal_iteratorINSA_10device_ptrIjEEEEPS6_SG_NS0_5tupleIJNSA_16discard_iteratorINSA_11use_defaultEEESF_EEENSH_IJSG_SG_EEES6_PlJ7is_evenIjEEEE10hipError_tPvRmT3_T4_T5_T6_T7_T9_mT8_P12ihipStream_tbDpT10_ENKUlT_T0_E_clISt17integral_constantIbLb1EES18_IbLb0EEEEDaS14_S15_EUlS14_E_NS1_11comp_targetILNS1_3genE2ELNS1_11target_archE906ELNS1_3gpuE6ELNS1_3repE0EEENS1_30default_config_static_selectorELNS0_4arch9wavefront6targetE1EEEvT1_
	.p2align	8
	.type	_ZN7rocprim17ROCPRIM_400000_NS6detail17trampoline_kernelINS0_14default_configENS1_25partition_config_selectorILNS1_17partition_subalgoE0EjNS0_10empty_typeEbEEZZNS1_14partition_implILS5_0ELb0ES3_jN6thrust23THRUST_200600_302600_NS6detail15normal_iteratorINSA_10device_ptrIjEEEEPS6_SG_NS0_5tupleIJNSA_16discard_iteratorINSA_11use_defaultEEESF_EEENSH_IJSG_SG_EEES6_PlJ7is_evenIjEEEE10hipError_tPvRmT3_T4_T5_T6_T7_T9_mT8_P12ihipStream_tbDpT10_ENKUlT_T0_E_clISt17integral_constantIbLb1EES18_IbLb0EEEEDaS14_S15_EUlS14_E_NS1_11comp_targetILNS1_3genE2ELNS1_11target_archE906ELNS1_3gpuE6ELNS1_3repE0EEENS1_30default_config_static_selectorELNS0_4arch9wavefront6targetE1EEEvT1_,@function
_ZN7rocprim17ROCPRIM_400000_NS6detail17trampoline_kernelINS0_14default_configENS1_25partition_config_selectorILNS1_17partition_subalgoE0EjNS0_10empty_typeEbEEZZNS1_14partition_implILS5_0ELb0ES3_jN6thrust23THRUST_200600_302600_NS6detail15normal_iteratorINSA_10device_ptrIjEEEEPS6_SG_NS0_5tupleIJNSA_16discard_iteratorINSA_11use_defaultEEESF_EEENSH_IJSG_SG_EEES6_PlJ7is_evenIjEEEE10hipError_tPvRmT3_T4_T5_T6_T7_T9_mT8_P12ihipStream_tbDpT10_ENKUlT_T0_E_clISt17integral_constantIbLb1EES18_IbLb0EEEEDaS14_S15_EUlS14_E_NS1_11comp_targetILNS1_3genE2ELNS1_11target_archE906ELNS1_3gpuE6ELNS1_3repE0EEENS1_30default_config_static_selectorELNS0_4arch9wavefront6targetE1EEEvT1_: ; @_ZN7rocprim17ROCPRIM_400000_NS6detail17trampoline_kernelINS0_14default_configENS1_25partition_config_selectorILNS1_17partition_subalgoE0EjNS0_10empty_typeEbEEZZNS1_14partition_implILS5_0ELb0ES3_jN6thrust23THRUST_200600_302600_NS6detail15normal_iteratorINSA_10device_ptrIjEEEEPS6_SG_NS0_5tupleIJNSA_16discard_iteratorINSA_11use_defaultEEESF_EEENSH_IJSG_SG_EEES6_PlJ7is_evenIjEEEE10hipError_tPvRmT3_T4_T5_T6_T7_T9_mT8_P12ihipStream_tbDpT10_ENKUlT_T0_E_clISt17integral_constantIbLb1EES18_IbLb0EEEEDaS14_S15_EUlS14_E_NS1_11comp_targetILNS1_3genE2ELNS1_11target_archE906ELNS1_3gpuE6ELNS1_3repE0EEENS1_30default_config_static_selectorELNS0_4arch9wavefront6targetE1EEEvT1_
; %bb.0:
	.section	.rodata,"a",@progbits
	.p2align	6, 0x0
	.amdhsa_kernel _ZN7rocprim17ROCPRIM_400000_NS6detail17trampoline_kernelINS0_14default_configENS1_25partition_config_selectorILNS1_17partition_subalgoE0EjNS0_10empty_typeEbEEZZNS1_14partition_implILS5_0ELb0ES3_jN6thrust23THRUST_200600_302600_NS6detail15normal_iteratorINSA_10device_ptrIjEEEEPS6_SG_NS0_5tupleIJNSA_16discard_iteratorINSA_11use_defaultEEESF_EEENSH_IJSG_SG_EEES6_PlJ7is_evenIjEEEE10hipError_tPvRmT3_T4_T5_T6_T7_T9_mT8_P12ihipStream_tbDpT10_ENKUlT_T0_E_clISt17integral_constantIbLb1EES18_IbLb0EEEEDaS14_S15_EUlS14_E_NS1_11comp_targetILNS1_3genE2ELNS1_11target_archE906ELNS1_3gpuE6ELNS1_3repE0EEENS1_30default_config_static_selectorELNS0_4arch9wavefront6targetE1EEEvT1_
		.amdhsa_group_segment_fixed_size 0
		.amdhsa_private_segment_fixed_size 0
		.amdhsa_kernarg_size 128
		.amdhsa_user_sgpr_count 2
		.amdhsa_user_sgpr_dispatch_ptr 0
		.amdhsa_user_sgpr_queue_ptr 0
		.amdhsa_user_sgpr_kernarg_segment_ptr 1
		.amdhsa_user_sgpr_dispatch_id 0
		.amdhsa_user_sgpr_kernarg_preload_length 0
		.amdhsa_user_sgpr_kernarg_preload_offset 0
		.amdhsa_user_sgpr_private_segment_size 0
		.amdhsa_uses_dynamic_stack 0
		.amdhsa_enable_private_segment 0
		.amdhsa_system_sgpr_workgroup_id_x 1
		.amdhsa_system_sgpr_workgroup_id_y 0
		.amdhsa_system_sgpr_workgroup_id_z 0
		.amdhsa_system_sgpr_workgroup_info 0
		.amdhsa_system_vgpr_workitem_id 0
		.amdhsa_next_free_vgpr 1
		.amdhsa_next_free_sgpr 0
		.amdhsa_accum_offset 4
		.amdhsa_reserve_vcc 0
		.amdhsa_float_round_mode_32 0
		.amdhsa_float_round_mode_16_64 0
		.amdhsa_float_denorm_mode_32 3
		.amdhsa_float_denorm_mode_16_64 3
		.amdhsa_dx10_clamp 1
		.amdhsa_ieee_mode 1
		.amdhsa_fp16_overflow 0
		.amdhsa_tg_split 0
		.amdhsa_exception_fp_ieee_invalid_op 0
		.amdhsa_exception_fp_denorm_src 0
		.amdhsa_exception_fp_ieee_div_zero 0
		.amdhsa_exception_fp_ieee_overflow 0
		.amdhsa_exception_fp_ieee_underflow 0
		.amdhsa_exception_fp_ieee_inexact 0
		.amdhsa_exception_int_div_zero 0
	.end_amdhsa_kernel
	.section	.text._ZN7rocprim17ROCPRIM_400000_NS6detail17trampoline_kernelINS0_14default_configENS1_25partition_config_selectorILNS1_17partition_subalgoE0EjNS0_10empty_typeEbEEZZNS1_14partition_implILS5_0ELb0ES3_jN6thrust23THRUST_200600_302600_NS6detail15normal_iteratorINSA_10device_ptrIjEEEEPS6_SG_NS0_5tupleIJNSA_16discard_iteratorINSA_11use_defaultEEESF_EEENSH_IJSG_SG_EEES6_PlJ7is_evenIjEEEE10hipError_tPvRmT3_T4_T5_T6_T7_T9_mT8_P12ihipStream_tbDpT10_ENKUlT_T0_E_clISt17integral_constantIbLb1EES18_IbLb0EEEEDaS14_S15_EUlS14_E_NS1_11comp_targetILNS1_3genE2ELNS1_11target_archE906ELNS1_3gpuE6ELNS1_3repE0EEENS1_30default_config_static_selectorELNS0_4arch9wavefront6targetE1EEEvT1_,"axG",@progbits,_ZN7rocprim17ROCPRIM_400000_NS6detail17trampoline_kernelINS0_14default_configENS1_25partition_config_selectorILNS1_17partition_subalgoE0EjNS0_10empty_typeEbEEZZNS1_14partition_implILS5_0ELb0ES3_jN6thrust23THRUST_200600_302600_NS6detail15normal_iteratorINSA_10device_ptrIjEEEEPS6_SG_NS0_5tupleIJNSA_16discard_iteratorINSA_11use_defaultEEESF_EEENSH_IJSG_SG_EEES6_PlJ7is_evenIjEEEE10hipError_tPvRmT3_T4_T5_T6_T7_T9_mT8_P12ihipStream_tbDpT10_ENKUlT_T0_E_clISt17integral_constantIbLb1EES18_IbLb0EEEEDaS14_S15_EUlS14_E_NS1_11comp_targetILNS1_3genE2ELNS1_11target_archE906ELNS1_3gpuE6ELNS1_3repE0EEENS1_30default_config_static_selectorELNS0_4arch9wavefront6targetE1EEEvT1_,comdat
.Lfunc_end2479:
	.size	_ZN7rocprim17ROCPRIM_400000_NS6detail17trampoline_kernelINS0_14default_configENS1_25partition_config_selectorILNS1_17partition_subalgoE0EjNS0_10empty_typeEbEEZZNS1_14partition_implILS5_0ELb0ES3_jN6thrust23THRUST_200600_302600_NS6detail15normal_iteratorINSA_10device_ptrIjEEEEPS6_SG_NS0_5tupleIJNSA_16discard_iteratorINSA_11use_defaultEEESF_EEENSH_IJSG_SG_EEES6_PlJ7is_evenIjEEEE10hipError_tPvRmT3_T4_T5_T6_T7_T9_mT8_P12ihipStream_tbDpT10_ENKUlT_T0_E_clISt17integral_constantIbLb1EES18_IbLb0EEEEDaS14_S15_EUlS14_E_NS1_11comp_targetILNS1_3genE2ELNS1_11target_archE906ELNS1_3gpuE6ELNS1_3repE0EEENS1_30default_config_static_selectorELNS0_4arch9wavefront6targetE1EEEvT1_, .Lfunc_end2479-_ZN7rocprim17ROCPRIM_400000_NS6detail17trampoline_kernelINS0_14default_configENS1_25partition_config_selectorILNS1_17partition_subalgoE0EjNS0_10empty_typeEbEEZZNS1_14partition_implILS5_0ELb0ES3_jN6thrust23THRUST_200600_302600_NS6detail15normal_iteratorINSA_10device_ptrIjEEEEPS6_SG_NS0_5tupleIJNSA_16discard_iteratorINSA_11use_defaultEEESF_EEENSH_IJSG_SG_EEES6_PlJ7is_evenIjEEEE10hipError_tPvRmT3_T4_T5_T6_T7_T9_mT8_P12ihipStream_tbDpT10_ENKUlT_T0_E_clISt17integral_constantIbLb1EES18_IbLb0EEEEDaS14_S15_EUlS14_E_NS1_11comp_targetILNS1_3genE2ELNS1_11target_archE906ELNS1_3gpuE6ELNS1_3repE0EEENS1_30default_config_static_selectorELNS0_4arch9wavefront6targetE1EEEvT1_
                                        ; -- End function
	.section	.AMDGPU.csdata,"",@progbits
; Kernel info:
; codeLenInByte = 0
; NumSgprs: 6
; NumVgprs: 0
; NumAgprs: 0
; TotalNumVgprs: 0
; ScratchSize: 0
; MemoryBound: 0
; FloatMode: 240
; IeeeMode: 1
; LDSByteSize: 0 bytes/workgroup (compile time only)
; SGPRBlocks: 0
; VGPRBlocks: 0
; NumSGPRsForWavesPerEU: 6
; NumVGPRsForWavesPerEU: 1
; AccumOffset: 4
; Occupancy: 8
; WaveLimiterHint : 0
; COMPUTE_PGM_RSRC2:SCRATCH_EN: 0
; COMPUTE_PGM_RSRC2:USER_SGPR: 2
; COMPUTE_PGM_RSRC2:TRAP_HANDLER: 0
; COMPUTE_PGM_RSRC2:TGID_X_EN: 1
; COMPUTE_PGM_RSRC2:TGID_Y_EN: 0
; COMPUTE_PGM_RSRC2:TGID_Z_EN: 0
; COMPUTE_PGM_RSRC2:TIDIG_COMP_CNT: 0
; COMPUTE_PGM_RSRC3_GFX90A:ACCUM_OFFSET: 0
; COMPUTE_PGM_RSRC3_GFX90A:TG_SPLIT: 0
	.section	.text._ZN7rocprim17ROCPRIM_400000_NS6detail17trampoline_kernelINS0_14default_configENS1_25partition_config_selectorILNS1_17partition_subalgoE0EjNS0_10empty_typeEbEEZZNS1_14partition_implILS5_0ELb0ES3_jN6thrust23THRUST_200600_302600_NS6detail15normal_iteratorINSA_10device_ptrIjEEEEPS6_SG_NS0_5tupleIJNSA_16discard_iteratorINSA_11use_defaultEEESF_EEENSH_IJSG_SG_EEES6_PlJ7is_evenIjEEEE10hipError_tPvRmT3_T4_T5_T6_T7_T9_mT8_P12ihipStream_tbDpT10_ENKUlT_T0_E_clISt17integral_constantIbLb1EES18_IbLb0EEEEDaS14_S15_EUlS14_E_NS1_11comp_targetILNS1_3genE10ELNS1_11target_archE1200ELNS1_3gpuE4ELNS1_3repE0EEENS1_30default_config_static_selectorELNS0_4arch9wavefront6targetE1EEEvT1_,"axG",@progbits,_ZN7rocprim17ROCPRIM_400000_NS6detail17trampoline_kernelINS0_14default_configENS1_25partition_config_selectorILNS1_17partition_subalgoE0EjNS0_10empty_typeEbEEZZNS1_14partition_implILS5_0ELb0ES3_jN6thrust23THRUST_200600_302600_NS6detail15normal_iteratorINSA_10device_ptrIjEEEEPS6_SG_NS0_5tupleIJNSA_16discard_iteratorINSA_11use_defaultEEESF_EEENSH_IJSG_SG_EEES6_PlJ7is_evenIjEEEE10hipError_tPvRmT3_T4_T5_T6_T7_T9_mT8_P12ihipStream_tbDpT10_ENKUlT_T0_E_clISt17integral_constantIbLb1EES18_IbLb0EEEEDaS14_S15_EUlS14_E_NS1_11comp_targetILNS1_3genE10ELNS1_11target_archE1200ELNS1_3gpuE4ELNS1_3repE0EEENS1_30default_config_static_selectorELNS0_4arch9wavefront6targetE1EEEvT1_,comdat
	.protected	_ZN7rocprim17ROCPRIM_400000_NS6detail17trampoline_kernelINS0_14default_configENS1_25partition_config_selectorILNS1_17partition_subalgoE0EjNS0_10empty_typeEbEEZZNS1_14partition_implILS5_0ELb0ES3_jN6thrust23THRUST_200600_302600_NS6detail15normal_iteratorINSA_10device_ptrIjEEEEPS6_SG_NS0_5tupleIJNSA_16discard_iteratorINSA_11use_defaultEEESF_EEENSH_IJSG_SG_EEES6_PlJ7is_evenIjEEEE10hipError_tPvRmT3_T4_T5_T6_T7_T9_mT8_P12ihipStream_tbDpT10_ENKUlT_T0_E_clISt17integral_constantIbLb1EES18_IbLb0EEEEDaS14_S15_EUlS14_E_NS1_11comp_targetILNS1_3genE10ELNS1_11target_archE1200ELNS1_3gpuE4ELNS1_3repE0EEENS1_30default_config_static_selectorELNS0_4arch9wavefront6targetE1EEEvT1_ ; -- Begin function _ZN7rocprim17ROCPRIM_400000_NS6detail17trampoline_kernelINS0_14default_configENS1_25partition_config_selectorILNS1_17partition_subalgoE0EjNS0_10empty_typeEbEEZZNS1_14partition_implILS5_0ELb0ES3_jN6thrust23THRUST_200600_302600_NS6detail15normal_iteratorINSA_10device_ptrIjEEEEPS6_SG_NS0_5tupleIJNSA_16discard_iteratorINSA_11use_defaultEEESF_EEENSH_IJSG_SG_EEES6_PlJ7is_evenIjEEEE10hipError_tPvRmT3_T4_T5_T6_T7_T9_mT8_P12ihipStream_tbDpT10_ENKUlT_T0_E_clISt17integral_constantIbLb1EES18_IbLb0EEEEDaS14_S15_EUlS14_E_NS1_11comp_targetILNS1_3genE10ELNS1_11target_archE1200ELNS1_3gpuE4ELNS1_3repE0EEENS1_30default_config_static_selectorELNS0_4arch9wavefront6targetE1EEEvT1_
	.globl	_ZN7rocprim17ROCPRIM_400000_NS6detail17trampoline_kernelINS0_14default_configENS1_25partition_config_selectorILNS1_17partition_subalgoE0EjNS0_10empty_typeEbEEZZNS1_14partition_implILS5_0ELb0ES3_jN6thrust23THRUST_200600_302600_NS6detail15normal_iteratorINSA_10device_ptrIjEEEEPS6_SG_NS0_5tupleIJNSA_16discard_iteratorINSA_11use_defaultEEESF_EEENSH_IJSG_SG_EEES6_PlJ7is_evenIjEEEE10hipError_tPvRmT3_T4_T5_T6_T7_T9_mT8_P12ihipStream_tbDpT10_ENKUlT_T0_E_clISt17integral_constantIbLb1EES18_IbLb0EEEEDaS14_S15_EUlS14_E_NS1_11comp_targetILNS1_3genE10ELNS1_11target_archE1200ELNS1_3gpuE4ELNS1_3repE0EEENS1_30default_config_static_selectorELNS0_4arch9wavefront6targetE1EEEvT1_
	.p2align	8
	.type	_ZN7rocprim17ROCPRIM_400000_NS6detail17trampoline_kernelINS0_14default_configENS1_25partition_config_selectorILNS1_17partition_subalgoE0EjNS0_10empty_typeEbEEZZNS1_14partition_implILS5_0ELb0ES3_jN6thrust23THRUST_200600_302600_NS6detail15normal_iteratorINSA_10device_ptrIjEEEEPS6_SG_NS0_5tupleIJNSA_16discard_iteratorINSA_11use_defaultEEESF_EEENSH_IJSG_SG_EEES6_PlJ7is_evenIjEEEE10hipError_tPvRmT3_T4_T5_T6_T7_T9_mT8_P12ihipStream_tbDpT10_ENKUlT_T0_E_clISt17integral_constantIbLb1EES18_IbLb0EEEEDaS14_S15_EUlS14_E_NS1_11comp_targetILNS1_3genE10ELNS1_11target_archE1200ELNS1_3gpuE4ELNS1_3repE0EEENS1_30default_config_static_selectorELNS0_4arch9wavefront6targetE1EEEvT1_,@function
_ZN7rocprim17ROCPRIM_400000_NS6detail17trampoline_kernelINS0_14default_configENS1_25partition_config_selectorILNS1_17partition_subalgoE0EjNS0_10empty_typeEbEEZZNS1_14partition_implILS5_0ELb0ES3_jN6thrust23THRUST_200600_302600_NS6detail15normal_iteratorINSA_10device_ptrIjEEEEPS6_SG_NS0_5tupleIJNSA_16discard_iteratorINSA_11use_defaultEEESF_EEENSH_IJSG_SG_EEES6_PlJ7is_evenIjEEEE10hipError_tPvRmT3_T4_T5_T6_T7_T9_mT8_P12ihipStream_tbDpT10_ENKUlT_T0_E_clISt17integral_constantIbLb1EES18_IbLb0EEEEDaS14_S15_EUlS14_E_NS1_11comp_targetILNS1_3genE10ELNS1_11target_archE1200ELNS1_3gpuE4ELNS1_3repE0EEENS1_30default_config_static_selectorELNS0_4arch9wavefront6targetE1EEEvT1_: ; @_ZN7rocprim17ROCPRIM_400000_NS6detail17trampoline_kernelINS0_14default_configENS1_25partition_config_selectorILNS1_17partition_subalgoE0EjNS0_10empty_typeEbEEZZNS1_14partition_implILS5_0ELb0ES3_jN6thrust23THRUST_200600_302600_NS6detail15normal_iteratorINSA_10device_ptrIjEEEEPS6_SG_NS0_5tupleIJNSA_16discard_iteratorINSA_11use_defaultEEESF_EEENSH_IJSG_SG_EEES6_PlJ7is_evenIjEEEE10hipError_tPvRmT3_T4_T5_T6_T7_T9_mT8_P12ihipStream_tbDpT10_ENKUlT_T0_E_clISt17integral_constantIbLb1EES18_IbLb0EEEEDaS14_S15_EUlS14_E_NS1_11comp_targetILNS1_3genE10ELNS1_11target_archE1200ELNS1_3gpuE4ELNS1_3repE0EEENS1_30default_config_static_selectorELNS0_4arch9wavefront6targetE1EEEvT1_
; %bb.0:
	.section	.rodata,"a",@progbits
	.p2align	6, 0x0
	.amdhsa_kernel _ZN7rocprim17ROCPRIM_400000_NS6detail17trampoline_kernelINS0_14default_configENS1_25partition_config_selectorILNS1_17partition_subalgoE0EjNS0_10empty_typeEbEEZZNS1_14partition_implILS5_0ELb0ES3_jN6thrust23THRUST_200600_302600_NS6detail15normal_iteratorINSA_10device_ptrIjEEEEPS6_SG_NS0_5tupleIJNSA_16discard_iteratorINSA_11use_defaultEEESF_EEENSH_IJSG_SG_EEES6_PlJ7is_evenIjEEEE10hipError_tPvRmT3_T4_T5_T6_T7_T9_mT8_P12ihipStream_tbDpT10_ENKUlT_T0_E_clISt17integral_constantIbLb1EES18_IbLb0EEEEDaS14_S15_EUlS14_E_NS1_11comp_targetILNS1_3genE10ELNS1_11target_archE1200ELNS1_3gpuE4ELNS1_3repE0EEENS1_30default_config_static_selectorELNS0_4arch9wavefront6targetE1EEEvT1_
		.amdhsa_group_segment_fixed_size 0
		.amdhsa_private_segment_fixed_size 0
		.amdhsa_kernarg_size 128
		.amdhsa_user_sgpr_count 2
		.amdhsa_user_sgpr_dispatch_ptr 0
		.amdhsa_user_sgpr_queue_ptr 0
		.amdhsa_user_sgpr_kernarg_segment_ptr 1
		.amdhsa_user_sgpr_dispatch_id 0
		.amdhsa_user_sgpr_kernarg_preload_length 0
		.amdhsa_user_sgpr_kernarg_preload_offset 0
		.amdhsa_user_sgpr_private_segment_size 0
		.amdhsa_uses_dynamic_stack 0
		.amdhsa_enable_private_segment 0
		.amdhsa_system_sgpr_workgroup_id_x 1
		.amdhsa_system_sgpr_workgroup_id_y 0
		.amdhsa_system_sgpr_workgroup_id_z 0
		.amdhsa_system_sgpr_workgroup_info 0
		.amdhsa_system_vgpr_workitem_id 0
		.amdhsa_next_free_vgpr 1
		.amdhsa_next_free_sgpr 0
		.amdhsa_accum_offset 4
		.amdhsa_reserve_vcc 0
		.amdhsa_float_round_mode_32 0
		.amdhsa_float_round_mode_16_64 0
		.amdhsa_float_denorm_mode_32 3
		.amdhsa_float_denorm_mode_16_64 3
		.amdhsa_dx10_clamp 1
		.amdhsa_ieee_mode 1
		.amdhsa_fp16_overflow 0
		.amdhsa_tg_split 0
		.amdhsa_exception_fp_ieee_invalid_op 0
		.amdhsa_exception_fp_denorm_src 0
		.amdhsa_exception_fp_ieee_div_zero 0
		.amdhsa_exception_fp_ieee_overflow 0
		.amdhsa_exception_fp_ieee_underflow 0
		.amdhsa_exception_fp_ieee_inexact 0
		.amdhsa_exception_int_div_zero 0
	.end_amdhsa_kernel
	.section	.text._ZN7rocprim17ROCPRIM_400000_NS6detail17trampoline_kernelINS0_14default_configENS1_25partition_config_selectorILNS1_17partition_subalgoE0EjNS0_10empty_typeEbEEZZNS1_14partition_implILS5_0ELb0ES3_jN6thrust23THRUST_200600_302600_NS6detail15normal_iteratorINSA_10device_ptrIjEEEEPS6_SG_NS0_5tupleIJNSA_16discard_iteratorINSA_11use_defaultEEESF_EEENSH_IJSG_SG_EEES6_PlJ7is_evenIjEEEE10hipError_tPvRmT3_T4_T5_T6_T7_T9_mT8_P12ihipStream_tbDpT10_ENKUlT_T0_E_clISt17integral_constantIbLb1EES18_IbLb0EEEEDaS14_S15_EUlS14_E_NS1_11comp_targetILNS1_3genE10ELNS1_11target_archE1200ELNS1_3gpuE4ELNS1_3repE0EEENS1_30default_config_static_selectorELNS0_4arch9wavefront6targetE1EEEvT1_,"axG",@progbits,_ZN7rocprim17ROCPRIM_400000_NS6detail17trampoline_kernelINS0_14default_configENS1_25partition_config_selectorILNS1_17partition_subalgoE0EjNS0_10empty_typeEbEEZZNS1_14partition_implILS5_0ELb0ES3_jN6thrust23THRUST_200600_302600_NS6detail15normal_iteratorINSA_10device_ptrIjEEEEPS6_SG_NS0_5tupleIJNSA_16discard_iteratorINSA_11use_defaultEEESF_EEENSH_IJSG_SG_EEES6_PlJ7is_evenIjEEEE10hipError_tPvRmT3_T4_T5_T6_T7_T9_mT8_P12ihipStream_tbDpT10_ENKUlT_T0_E_clISt17integral_constantIbLb1EES18_IbLb0EEEEDaS14_S15_EUlS14_E_NS1_11comp_targetILNS1_3genE10ELNS1_11target_archE1200ELNS1_3gpuE4ELNS1_3repE0EEENS1_30default_config_static_selectorELNS0_4arch9wavefront6targetE1EEEvT1_,comdat
.Lfunc_end2480:
	.size	_ZN7rocprim17ROCPRIM_400000_NS6detail17trampoline_kernelINS0_14default_configENS1_25partition_config_selectorILNS1_17partition_subalgoE0EjNS0_10empty_typeEbEEZZNS1_14partition_implILS5_0ELb0ES3_jN6thrust23THRUST_200600_302600_NS6detail15normal_iteratorINSA_10device_ptrIjEEEEPS6_SG_NS0_5tupleIJNSA_16discard_iteratorINSA_11use_defaultEEESF_EEENSH_IJSG_SG_EEES6_PlJ7is_evenIjEEEE10hipError_tPvRmT3_T4_T5_T6_T7_T9_mT8_P12ihipStream_tbDpT10_ENKUlT_T0_E_clISt17integral_constantIbLb1EES18_IbLb0EEEEDaS14_S15_EUlS14_E_NS1_11comp_targetILNS1_3genE10ELNS1_11target_archE1200ELNS1_3gpuE4ELNS1_3repE0EEENS1_30default_config_static_selectorELNS0_4arch9wavefront6targetE1EEEvT1_, .Lfunc_end2480-_ZN7rocprim17ROCPRIM_400000_NS6detail17trampoline_kernelINS0_14default_configENS1_25partition_config_selectorILNS1_17partition_subalgoE0EjNS0_10empty_typeEbEEZZNS1_14partition_implILS5_0ELb0ES3_jN6thrust23THRUST_200600_302600_NS6detail15normal_iteratorINSA_10device_ptrIjEEEEPS6_SG_NS0_5tupleIJNSA_16discard_iteratorINSA_11use_defaultEEESF_EEENSH_IJSG_SG_EEES6_PlJ7is_evenIjEEEE10hipError_tPvRmT3_T4_T5_T6_T7_T9_mT8_P12ihipStream_tbDpT10_ENKUlT_T0_E_clISt17integral_constantIbLb1EES18_IbLb0EEEEDaS14_S15_EUlS14_E_NS1_11comp_targetILNS1_3genE10ELNS1_11target_archE1200ELNS1_3gpuE4ELNS1_3repE0EEENS1_30default_config_static_selectorELNS0_4arch9wavefront6targetE1EEEvT1_
                                        ; -- End function
	.section	.AMDGPU.csdata,"",@progbits
; Kernel info:
; codeLenInByte = 0
; NumSgprs: 6
; NumVgprs: 0
; NumAgprs: 0
; TotalNumVgprs: 0
; ScratchSize: 0
; MemoryBound: 0
; FloatMode: 240
; IeeeMode: 1
; LDSByteSize: 0 bytes/workgroup (compile time only)
; SGPRBlocks: 0
; VGPRBlocks: 0
; NumSGPRsForWavesPerEU: 6
; NumVGPRsForWavesPerEU: 1
; AccumOffset: 4
; Occupancy: 8
; WaveLimiterHint : 0
; COMPUTE_PGM_RSRC2:SCRATCH_EN: 0
; COMPUTE_PGM_RSRC2:USER_SGPR: 2
; COMPUTE_PGM_RSRC2:TRAP_HANDLER: 0
; COMPUTE_PGM_RSRC2:TGID_X_EN: 1
; COMPUTE_PGM_RSRC2:TGID_Y_EN: 0
; COMPUTE_PGM_RSRC2:TGID_Z_EN: 0
; COMPUTE_PGM_RSRC2:TIDIG_COMP_CNT: 0
; COMPUTE_PGM_RSRC3_GFX90A:ACCUM_OFFSET: 0
; COMPUTE_PGM_RSRC3_GFX90A:TG_SPLIT: 0
	.section	.text._ZN7rocprim17ROCPRIM_400000_NS6detail17trampoline_kernelINS0_14default_configENS1_25partition_config_selectorILNS1_17partition_subalgoE0EjNS0_10empty_typeEbEEZZNS1_14partition_implILS5_0ELb0ES3_jN6thrust23THRUST_200600_302600_NS6detail15normal_iteratorINSA_10device_ptrIjEEEEPS6_SG_NS0_5tupleIJNSA_16discard_iteratorINSA_11use_defaultEEESF_EEENSH_IJSG_SG_EEES6_PlJ7is_evenIjEEEE10hipError_tPvRmT3_T4_T5_T6_T7_T9_mT8_P12ihipStream_tbDpT10_ENKUlT_T0_E_clISt17integral_constantIbLb1EES18_IbLb0EEEEDaS14_S15_EUlS14_E_NS1_11comp_targetILNS1_3genE9ELNS1_11target_archE1100ELNS1_3gpuE3ELNS1_3repE0EEENS1_30default_config_static_selectorELNS0_4arch9wavefront6targetE1EEEvT1_,"axG",@progbits,_ZN7rocprim17ROCPRIM_400000_NS6detail17trampoline_kernelINS0_14default_configENS1_25partition_config_selectorILNS1_17partition_subalgoE0EjNS0_10empty_typeEbEEZZNS1_14partition_implILS5_0ELb0ES3_jN6thrust23THRUST_200600_302600_NS6detail15normal_iteratorINSA_10device_ptrIjEEEEPS6_SG_NS0_5tupleIJNSA_16discard_iteratorINSA_11use_defaultEEESF_EEENSH_IJSG_SG_EEES6_PlJ7is_evenIjEEEE10hipError_tPvRmT3_T4_T5_T6_T7_T9_mT8_P12ihipStream_tbDpT10_ENKUlT_T0_E_clISt17integral_constantIbLb1EES18_IbLb0EEEEDaS14_S15_EUlS14_E_NS1_11comp_targetILNS1_3genE9ELNS1_11target_archE1100ELNS1_3gpuE3ELNS1_3repE0EEENS1_30default_config_static_selectorELNS0_4arch9wavefront6targetE1EEEvT1_,comdat
	.protected	_ZN7rocprim17ROCPRIM_400000_NS6detail17trampoline_kernelINS0_14default_configENS1_25partition_config_selectorILNS1_17partition_subalgoE0EjNS0_10empty_typeEbEEZZNS1_14partition_implILS5_0ELb0ES3_jN6thrust23THRUST_200600_302600_NS6detail15normal_iteratorINSA_10device_ptrIjEEEEPS6_SG_NS0_5tupleIJNSA_16discard_iteratorINSA_11use_defaultEEESF_EEENSH_IJSG_SG_EEES6_PlJ7is_evenIjEEEE10hipError_tPvRmT3_T4_T5_T6_T7_T9_mT8_P12ihipStream_tbDpT10_ENKUlT_T0_E_clISt17integral_constantIbLb1EES18_IbLb0EEEEDaS14_S15_EUlS14_E_NS1_11comp_targetILNS1_3genE9ELNS1_11target_archE1100ELNS1_3gpuE3ELNS1_3repE0EEENS1_30default_config_static_selectorELNS0_4arch9wavefront6targetE1EEEvT1_ ; -- Begin function _ZN7rocprim17ROCPRIM_400000_NS6detail17trampoline_kernelINS0_14default_configENS1_25partition_config_selectorILNS1_17partition_subalgoE0EjNS0_10empty_typeEbEEZZNS1_14partition_implILS5_0ELb0ES3_jN6thrust23THRUST_200600_302600_NS6detail15normal_iteratorINSA_10device_ptrIjEEEEPS6_SG_NS0_5tupleIJNSA_16discard_iteratorINSA_11use_defaultEEESF_EEENSH_IJSG_SG_EEES6_PlJ7is_evenIjEEEE10hipError_tPvRmT3_T4_T5_T6_T7_T9_mT8_P12ihipStream_tbDpT10_ENKUlT_T0_E_clISt17integral_constantIbLb1EES18_IbLb0EEEEDaS14_S15_EUlS14_E_NS1_11comp_targetILNS1_3genE9ELNS1_11target_archE1100ELNS1_3gpuE3ELNS1_3repE0EEENS1_30default_config_static_selectorELNS0_4arch9wavefront6targetE1EEEvT1_
	.globl	_ZN7rocprim17ROCPRIM_400000_NS6detail17trampoline_kernelINS0_14default_configENS1_25partition_config_selectorILNS1_17partition_subalgoE0EjNS0_10empty_typeEbEEZZNS1_14partition_implILS5_0ELb0ES3_jN6thrust23THRUST_200600_302600_NS6detail15normal_iteratorINSA_10device_ptrIjEEEEPS6_SG_NS0_5tupleIJNSA_16discard_iteratorINSA_11use_defaultEEESF_EEENSH_IJSG_SG_EEES6_PlJ7is_evenIjEEEE10hipError_tPvRmT3_T4_T5_T6_T7_T9_mT8_P12ihipStream_tbDpT10_ENKUlT_T0_E_clISt17integral_constantIbLb1EES18_IbLb0EEEEDaS14_S15_EUlS14_E_NS1_11comp_targetILNS1_3genE9ELNS1_11target_archE1100ELNS1_3gpuE3ELNS1_3repE0EEENS1_30default_config_static_selectorELNS0_4arch9wavefront6targetE1EEEvT1_
	.p2align	8
	.type	_ZN7rocprim17ROCPRIM_400000_NS6detail17trampoline_kernelINS0_14default_configENS1_25partition_config_selectorILNS1_17partition_subalgoE0EjNS0_10empty_typeEbEEZZNS1_14partition_implILS5_0ELb0ES3_jN6thrust23THRUST_200600_302600_NS6detail15normal_iteratorINSA_10device_ptrIjEEEEPS6_SG_NS0_5tupleIJNSA_16discard_iteratorINSA_11use_defaultEEESF_EEENSH_IJSG_SG_EEES6_PlJ7is_evenIjEEEE10hipError_tPvRmT3_T4_T5_T6_T7_T9_mT8_P12ihipStream_tbDpT10_ENKUlT_T0_E_clISt17integral_constantIbLb1EES18_IbLb0EEEEDaS14_S15_EUlS14_E_NS1_11comp_targetILNS1_3genE9ELNS1_11target_archE1100ELNS1_3gpuE3ELNS1_3repE0EEENS1_30default_config_static_selectorELNS0_4arch9wavefront6targetE1EEEvT1_,@function
_ZN7rocprim17ROCPRIM_400000_NS6detail17trampoline_kernelINS0_14default_configENS1_25partition_config_selectorILNS1_17partition_subalgoE0EjNS0_10empty_typeEbEEZZNS1_14partition_implILS5_0ELb0ES3_jN6thrust23THRUST_200600_302600_NS6detail15normal_iteratorINSA_10device_ptrIjEEEEPS6_SG_NS0_5tupleIJNSA_16discard_iteratorINSA_11use_defaultEEESF_EEENSH_IJSG_SG_EEES6_PlJ7is_evenIjEEEE10hipError_tPvRmT3_T4_T5_T6_T7_T9_mT8_P12ihipStream_tbDpT10_ENKUlT_T0_E_clISt17integral_constantIbLb1EES18_IbLb0EEEEDaS14_S15_EUlS14_E_NS1_11comp_targetILNS1_3genE9ELNS1_11target_archE1100ELNS1_3gpuE3ELNS1_3repE0EEENS1_30default_config_static_selectorELNS0_4arch9wavefront6targetE1EEEvT1_: ; @_ZN7rocprim17ROCPRIM_400000_NS6detail17trampoline_kernelINS0_14default_configENS1_25partition_config_selectorILNS1_17partition_subalgoE0EjNS0_10empty_typeEbEEZZNS1_14partition_implILS5_0ELb0ES3_jN6thrust23THRUST_200600_302600_NS6detail15normal_iteratorINSA_10device_ptrIjEEEEPS6_SG_NS0_5tupleIJNSA_16discard_iteratorINSA_11use_defaultEEESF_EEENSH_IJSG_SG_EEES6_PlJ7is_evenIjEEEE10hipError_tPvRmT3_T4_T5_T6_T7_T9_mT8_P12ihipStream_tbDpT10_ENKUlT_T0_E_clISt17integral_constantIbLb1EES18_IbLb0EEEEDaS14_S15_EUlS14_E_NS1_11comp_targetILNS1_3genE9ELNS1_11target_archE1100ELNS1_3gpuE3ELNS1_3repE0EEENS1_30default_config_static_selectorELNS0_4arch9wavefront6targetE1EEEvT1_
; %bb.0:
	.section	.rodata,"a",@progbits
	.p2align	6, 0x0
	.amdhsa_kernel _ZN7rocprim17ROCPRIM_400000_NS6detail17trampoline_kernelINS0_14default_configENS1_25partition_config_selectorILNS1_17partition_subalgoE0EjNS0_10empty_typeEbEEZZNS1_14partition_implILS5_0ELb0ES3_jN6thrust23THRUST_200600_302600_NS6detail15normal_iteratorINSA_10device_ptrIjEEEEPS6_SG_NS0_5tupleIJNSA_16discard_iteratorINSA_11use_defaultEEESF_EEENSH_IJSG_SG_EEES6_PlJ7is_evenIjEEEE10hipError_tPvRmT3_T4_T5_T6_T7_T9_mT8_P12ihipStream_tbDpT10_ENKUlT_T0_E_clISt17integral_constantIbLb1EES18_IbLb0EEEEDaS14_S15_EUlS14_E_NS1_11comp_targetILNS1_3genE9ELNS1_11target_archE1100ELNS1_3gpuE3ELNS1_3repE0EEENS1_30default_config_static_selectorELNS0_4arch9wavefront6targetE1EEEvT1_
		.amdhsa_group_segment_fixed_size 0
		.amdhsa_private_segment_fixed_size 0
		.amdhsa_kernarg_size 128
		.amdhsa_user_sgpr_count 2
		.amdhsa_user_sgpr_dispatch_ptr 0
		.amdhsa_user_sgpr_queue_ptr 0
		.amdhsa_user_sgpr_kernarg_segment_ptr 1
		.amdhsa_user_sgpr_dispatch_id 0
		.amdhsa_user_sgpr_kernarg_preload_length 0
		.amdhsa_user_sgpr_kernarg_preload_offset 0
		.amdhsa_user_sgpr_private_segment_size 0
		.amdhsa_uses_dynamic_stack 0
		.amdhsa_enable_private_segment 0
		.amdhsa_system_sgpr_workgroup_id_x 1
		.amdhsa_system_sgpr_workgroup_id_y 0
		.amdhsa_system_sgpr_workgroup_id_z 0
		.amdhsa_system_sgpr_workgroup_info 0
		.amdhsa_system_vgpr_workitem_id 0
		.amdhsa_next_free_vgpr 1
		.amdhsa_next_free_sgpr 0
		.amdhsa_accum_offset 4
		.amdhsa_reserve_vcc 0
		.amdhsa_float_round_mode_32 0
		.amdhsa_float_round_mode_16_64 0
		.amdhsa_float_denorm_mode_32 3
		.amdhsa_float_denorm_mode_16_64 3
		.amdhsa_dx10_clamp 1
		.amdhsa_ieee_mode 1
		.amdhsa_fp16_overflow 0
		.amdhsa_tg_split 0
		.amdhsa_exception_fp_ieee_invalid_op 0
		.amdhsa_exception_fp_denorm_src 0
		.amdhsa_exception_fp_ieee_div_zero 0
		.amdhsa_exception_fp_ieee_overflow 0
		.amdhsa_exception_fp_ieee_underflow 0
		.amdhsa_exception_fp_ieee_inexact 0
		.amdhsa_exception_int_div_zero 0
	.end_amdhsa_kernel
	.section	.text._ZN7rocprim17ROCPRIM_400000_NS6detail17trampoline_kernelINS0_14default_configENS1_25partition_config_selectorILNS1_17partition_subalgoE0EjNS0_10empty_typeEbEEZZNS1_14partition_implILS5_0ELb0ES3_jN6thrust23THRUST_200600_302600_NS6detail15normal_iteratorINSA_10device_ptrIjEEEEPS6_SG_NS0_5tupleIJNSA_16discard_iteratorINSA_11use_defaultEEESF_EEENSH_IJSG_SG_EEES6_PlJ7is_evenIjEEEE10hipError_tPvRmT3_T4_T5_T6_T7_T9_mT8_P12ihipStream_tbDpT10_ENKUlT_T0_E_clISt17integral_constantIbLb1EES18_IbLb0EEEEDaS14_S15_EUlS14_E_NS1_11comp_targetILNS1_3genE9ELNS1_11target_archE1100ELNS1_3gpuE3ELNS1_3repE0EEENS1_30default_config_static_selectorELNS0_4arch9wavefront6targetE1EEEvT1_,"axG",@progbits,_ZN7rocprim17ROCPRIM_400000_NS6detail17trampoline_kernelINS0_14default_configENS1_25partition_config_selectorILNS1_17partition_subalgoE0EjNS0_10empty_typeEbEEZZNS1_14partition_implILS5_0ELb0ES3_jN6thrust23THRUST_200600_302600_NS6detail15normal_iteratorINSA_10device_ptrIjEEEEPS6_SG_NS0_5tupleIJNSA_16discard_iteratorINSA_11use_defaultEEESF_EEENSH_IJSG_SG_EEES6_PlJ7is_evenIjEEEE10hipError_tPvRmT3_T4_T5_T6_T7_T9_mT8_P12ihipStream_tbDpT10_ENKUlT_T0_E_clISt17integral_constantIbLb1EES18_IbLb0EEEEDaS14_S15_EUlS14_E_NS1_11comp_targetILNS1_3genE9ELNS1_11target_archE1100ELNS1_3gpuE3ELNS1_3repE0EEENS1_30default_config_static_selectorELNS0_4arch9wavefront6targetE1EEEvT1_,comdat
.Lfunc_end2481:
	.size	_ZN7rocprim17ROCPRIM_400000_NS6detail17trampoline_kernelINS0_14default_configENS1_25partition_config_selectorILNS1_17partition_subalgoE0EjNS0_10empty_typeEbEEZZNS1_14partition_implILS5_0ELb0ES3_jN6thrust23THRUST_200600_302600_NS6detail15normal_iteratorINSA_10device_ptrIjEEEEPS6_SG_NS0_5tupleIJNSA_16discard_iteratorINSA_11use_defaultEEESF_EEENSH_IJSG_SG_EEES6_PlJ7is_evenIjEEEE10hipError_tPvRmT3_T4_T5_T6_T7_T9_mT8_P12ihipStream_tbDpT10_ENKUlT_T0_E_clISt17integral_constantIbLb1EES18_IbLb0EEEEDaS14_S15_EUlS14_E_NS1_11comp_targetILNS1_3genE9ELNS1_11target_archE1100ELNS1_3gpuE3ELNS1_3repE0EEENS1_30default_config_static_selectorELNS0_4arch9wavefront6targetE1EEEvT1_, .Lfunc_end2481-_ZN7rocprim17ROCPRIM_400000_NS6detail17trampoline_kernelINS0_14default_configENS1_25partition_config_selectorILNS1_17partition_subalgoE0EjNS0_10empty_typeEbEEZZNS1_14partition_implILS5_0ELb0ES3_jN6thrust23THRUST_200600_302600_NS6detail15normal_iteratorINSA_10device_ptrIjEEEEPS6_SG_NS0_5tupleIJNSA_16discard_iteratorINSA_11use_defaultEEESF_EEENSH_IJSG_SG_EEES6_PlJ7is_evenIjEEEE10hipError_tPvRmT3_T4_T5_T6_T7_T9_mT8_P12ihipStream_tbDpT10_ENKUlT_T0_E_clISt17integral_constantIbLb1EES18_IbLb0EEEEDaS14_S15_EUlS14_E_NS1_11comp_targetILNS1_3genE9ELNS1_11target_archE1100ELNS1_3gpuE3ELNS1_3repE0EEENS1_30default_config_static_selectorELNS0_4arch9wavefront6targetE1EEEvT1_
                                        ; -- End function
	.section	.AMDGPU.csdata,"",@progbits
; Kernel info:
; codeLenInByte = 0
; NumSgprs: 6
; NumVgprs: 0
; NumAgprs: 0
; TotalNumVgprs: 0
; ScratchSize: 0
; MemoryBound: 0
; FloatMode: 240
; IeeeMode: 1
; LDSByteSize: 0 bytes/workgroup (compile time only)
; SGPRBlocks: 0
; VGPRBlocks: 0
; NumSGPRsForWavesPerEU: 6
; NumVGPRsForWavesPerEU: 1
; AccumOffset: 4
; Occupancy: 8
; WaveLimiterHint : 0
; COMPUTE_PGM_RSRC2:SCRATCH_EN: 0
; COMPUTE_PGM_RSRC2:USER_SGPR: 2
; COMPUTE_PGM_RSRC2:TRAP_HANDLER: 0
; COMPUTE_PGM_RSRC2:TGID_X_EN: 1
; COMPUTE_PGM_RSRC2:TGID_Y_EN: 0
; COMPUTE_PGM_RSRC2:TGID_Z_EN: 0
; COMPUTE_PGM_RSRC2:TIDIG_COMP_CNT: 0
; COMPUTE_PGM_RSRC3_GFX90A:ACCUM_OFFSET: 0
; COMPUTE_PGM_RSRC3_GFX90A:TG_SPLIT: 0
	.section	.text._ZN7rocprim17ROCPRIM_400000_NS6detail17trampoline_kernelINS0_14default_configENS1_25partition_config_selectorILNS1_17partition_subalgoE0EjNS0_10empty_typeEbEEZZNS1_14partition_implILS5_0ELb0ES3_jN6thrust23THRUST_200600_302600_NS6detail15normal_iteratorINSA_10device_ptrIjEEEEPS6_SG_NS0_5tupleIJNSA_16discard_iteratorINSA_11use_defaultEEESF_EEENSH_IJSG_SG_EEES6_PlJ7is_evenIjEEEE10hipError_tPvRmT3_T4_T5_T6_T7_T9_mT8_P12ihipStream_tbDpT10_ENKUlT_T0_E_clISt17integral_constantIbLb1EES18_IbLb0EEEEDaS14_S15_EUlS14_E_NS1_11comp_targetILNS1_3genE8ELNS1_11target_archE1030ELNS1_3gpuE2ELNS1_3repE0EEENS1_30default_config_static_selectorELNS0_4arch9wavefront6targetE1EEEvT1_,"axG",@progbits,_ZN7rocprim17ROCPRIM_400000_NS6detail17trampoline_kernelINS0_14default_configENS1_25partition_config_selectorILNS1_17partition_subalgoE0EjNS0_10empty_typeEbEEZZNS1_14partition_implILS5_0ELb0ES3_jN6thrust23THRUST_200600_302600_NS6detail15normal_iteratorINSA_10device_ptrIjEEEEPS6_SG_NS0_5tupleIJNSA_16discard_iteratorINSA_11use_defaultEEESF_EEENSH_IJSG_SG_EEES6_PlJ7is_evenIjEEEE10hipError_tPvRmT3_T4_T5_T6_T7_T9_mT8_P12ihipStream_tbDpT10_ENKUlT_T0_E_clISt17integral_constantIbLb1EES18_IbLb0EEEEDaS14_S15_EUlS14_E_NS1_11comp_targetILNS1_3genE8ELNS1_11target_archE1030ELNS1_3gpuE2ELNS1_3repE0EEENS1_30default_config_static_selectorELNS0_4arch9wavefront6targetE1EEEvT1_,comdat
	.protected	_ZN7rocprim17ROCPRIM_400000_NS6detail17trampoline_kernelINS0_14default_configENS1_25partition_config_selectorILNS1_17partition_subalgoE0EjNS0_10empty_typeEbEEZZNS1_14partition_implILS5_0ELb0ES3_jN6thrust23THRUST_200600_302600_NS6detail15normal_iteratorINSA_10device_ptrIjEEEEPS6_SG_NS0_5tupleIJNSA_16discard_iteratorINSA_11use_defaultEEESF_EEENSH_IJSG_SG_EEES6_PlJ7is_evenIjEEEE10hipError_tPvRmT3_T4_T5_T6_T7_T9_mT8_P12ihipStream_tbDpT10_ENKUlT_T0_E_clISt17integral_constantIbLb1EES18_IbLb0EEEEDaS14_S15_EUlS14_E_NS1_11comp_targetILNS1_3genE8ELNS1_11target_archE1030ELNS1_3gpuE2ELNS1_3repE0EEENS1_30default_config_static_selectorELNS0_4arch9wavefront6targetE1EEEvT1_ ; -- Begin function _ZN7rocprim17ROCPRIM_400000_NS6detail17trampoline_kernelINS0_14default_configENS1_25partition_config_selectorILNS1_17partition_subalgoE0EjNS0_10empty_typeEbEEZZNS1_14partition_implILS5_0ELb0ES3_jN6thrust23THRUST_200600_302600_NS6detail15normal_iteratorINSA_10device_ptrIjEEEEPS6_SG_NS0_5tupleIJNSA_16discard_iteratorINSA_11use_defaultEEESF_EEENSH_IJSG_SG_EEES6_PlJ7is_evenIjEEEE10hipError_tPvRmT3_T4_T5_T6_T7_T9_mT8_P12ihipStream_tbDpT10_ENKUlT_T0_E_clISt17integral_constantIbLb1EES18_IbLb0EEEEDaS14_S15_EUlS14_E_NS1_11comp_targetILNS1_3genE8ELNS1_11target_archE1030ELNS1_3gpuE2ELNS1_3repE0EEENS1_30default_config_static_selectorELNS0_4arch9wavefront6targetE1EEEvT1_
	.globl	_ZN7rocprim17ROCPRIM_400000_NS6detail17trampoline_kernelINS0_14default_configENS1_25partition_config_selectorILNS1_17partition_subalgoE0EjNS0_10empty_typeEbEEZZNS1_14partition_implILS5_0ELb0ES3_jN6thrust23THRUST_200600_302600_NS6detail15normal_iteratorINSA_10device_ptrIjEEEEPS6_SG_NS0_5tupleIJNSA_16discard_iteratorINSA_11use_defaultEEESF_EEENSH_IJSG_SG_EEES6_PlJ7is_evenIjEEEE10hipError_tPvRmT3_T4_T5_T6_T7_T9_mT8_P12ihipStream_tbDpT10_ENKUlT_T0_E_clISt17integral_constantIbLb1EES18_IbLb0EEEEDaS14_S15_EUlS14_E_NS1_11comp_targetILNS1_3genE8ELNS1_11target_archE1030ELNS1_3gpuE2ELNS1_3repE0EEENS1_30default_config_static_selectorELNS0_4arch9wavefront6targetE1EEEvT1_
	.p2align	8
	.type	_ZN7rocprim17ROCPRIM_400000_NS6detail17trampoline_kernelINS0_14default_configENS1_25partition_config_selectorILNS1_17partition_subalgoE0EjNS0_10empty_typeEbEEZZNS1_14partition_implILS5_0ELb0ES3_jN6thrust23THRUST_200600_302600_NS6detail15normal_iteratorINSA_10device_ptrIjEEEEPS6_SG_NS0_5tupleIJNSA_16discard_iteratorINSA_11use_defaultEEESF_EEENSH_IJSG_SG_EEES6_PlJ7is_evenIjEEEE10hipError_tPvRmT3_T4_T5_T6_T7_T9_mT8_P12ihipStream_tbDpT10_ENKUlT_T0_E_clISt17integral_constantIbLb1EES18_IbLb0EEEEDaS14_S15_EUlS14_E_NS1_11comp_targetILNS1_3genE8ELNS1_11target_archE1030ELNS1_3gpuE2ELNS1_3repE0EEENS1_30default_config_static_selectorELNS0_4arch9wavefront6targetE1EEEvT1_,@function
_ZN7rocprim17ROCPRIM_400000_NS6detail17trampoline_kernelINS0_14default_configENS1_25partition_config_selectorILNS1_17partition_subalgoE0EjNS0_10empty_typeEbEEZZNS1_14partition_implILS5_0ELb0ES3_jN6thrust23THRUST_200600_302600_NS6detail15normal_iteratorINSA_10device_ptrIjEEEEPS6_SG_NS0_5tupleIJNSA_16discard_iteratorINSA_11use_defaultEEESF_EEENSH_IJSG_SG_EEES6_PlJ7is_evenIjEEEE10hipError_tPvRmT3_T4_T5_T6_T7_T9_mT8_P12ihipStream_tbDpT10_ENKUlT_T0_E_clISt17integral_constantIbLb1EES18_IbLb0EEEEDaS14_S15_EUlS14_E_NS1_11comp_targetILNS1_3genE8ELNS1_11target_archE1030ELNS1_3gpuE2ELNS1_3repE0EEENS1_30default_config_static_selectorELNS0_4arch9wavefront6targetE1EEEvT1_: ; @_ZN7rocprim17ROCPRIM_400000_NS6detail17trampoline_kernelINS0_14default_configENS1_25partition_config_selectorILNS1_17partition_subalgoE0EjNS0_10empty_typeEbEEZZNS1_14partition_implILS5_0ELb0ES3_jN6thrust23THRUST_200600_302600_NS6detail15normal_iteratorINSA_10device_ptrIjEEEEPS6_SG_NS0_5tupleIJNSA_16discard_iteratorINSA_11use_defaultEEESF_EEENSH_IJSG_SG_EEES6_PlJ7is_evenIjEEEE10hipError_tPvRmT3_T4_T5_T6_T7_T9_mT8_P12ihipStream_tbDpT10_ENKUlT_T0_E_clISt17integral_constantIbLb1EES18_IbLb0EEEEDaS14_S15_EUlS14_E_NS1_11comp_targetILNS1_3genE8ELNS1_11target_archE1030ELNS1_3gpuE2ELNS1_3repE0EEENS1_30default_config_static_selectorELNS0_4arch9wavefront6targetE1EEEvT1_
; %bb.0:
	.section	.rodata,"a",@progbits
	.p2align	6, 0x0
	.amdhsa_kernel _ZN7rocprim17ROCPRIM_400000_NS6detail17trampoline_kernelINS0_14default_configENS1_25partition_config_selectorILNS1_17partition_subalgoE0EjNS0_10empty_typeEbEEZZNS1_14partition_implILS5_0ELb0ES3_jN6thrust23THRUST_200600_302600_NS6detail15normal_iteratorINSA_10device_ptrIjEEEEPS6_SG_NS0_5tupleIJNSA_16discard_iteratorINSA_11use_defaultEEESF_EEENSH_IJSG_SG_EEES6_PlJ7is_evenIjEEEE10hipError_tPvRmT3_T4_T5_T6_T7_T9_mT8_P12ihipStream_tbDpT10_ENKUlT_T0_E_clISt17integral_constantIbLb1EES18_IbLb0EEEEDaS14_S15_EUlS14_E_NS1_11comp_targetILNS1_3genE8ELNS1_11target_archE1030ELNS1_3gpuE2ELNS1_3repE0EEENS1_30default_config_static_selectorELNS0_4arch9wavefront6targetE1EEEvT1_
		.amdhsa_group_segment_fixed_size 0
		.amdhsa_private_segment_fixed_size 0
		.amdhsa_kernarg_size 128
		.amdhsa_user_sgpr_count 2
		.amdhsa_user_sgpr_dispatch_ptr 0
		.amdhsa_user_sgpr_queue_ptr 0
		.amdhsa_user_sgpr_kernarg_segment_ptr 1
		.amdhsa_user_sgpr_dispatch_id 0
		.amdhsa_user_sgpr_kernarg_preload_length 0
		.amdhsa_user_sgpr_kernarg_preload_offset 0
		.amdhsa_user_sgpr_private_segment_size 0
		.amdhsa_uses_dynamic_stack 0
		.amdhsa_enable_private_segment 0
		.amdhsa_system_sgpr_workgroup_id_x 1
		.amdhsa_system_sgpr_workgroup_id_y 0
		.amdhsa_system_sgpr_workgroup_id_z 0
		.amdhsa_system_sgpr_workgroup_info 0
		.amdhsa_system_vgpr_workitem_id 0
		.amdhsa_next_free_vgpr 1
		.amdhsa_next_free_sgpr 0
		.amdhsa_accum_offset 4
		.amdhsa_reserve_vcc 0
		.amdhsa_float_round_mode_32 0
		.amdhsa_float_round_mode_16_64 0
		.amdhsa_float_denorm_mode_32 3
		.amdhsa_float_denorm_mode_16_64 3
		.amdhsa_dx10_clamp 1
		.amdhsa_ieee_mode 1
		.amdhsa_fp16_overflow 0
		.amdhsa_tg_split 0
		.amdhsa_exception_fp_ieee_invalid_op 0
		.amdhsa_exception_fp_denorm_src 0
		.amdhsa_exception_fp_ieee_div_zero 0
		.amdhsa_exception_fp_ieee_overflow 0
		.amdhsa_exception_fp_ieee_underflow 0
		.amdhsa_exception_fp_ieee_inexact 0
		.amdhsa_exception_int_div_zero 0
	.end_amdhsa_kernel
	.section	.text._ZN7rocprim17ROCPRIM_400000_NS6detail17trampoline_kernelINS0_14default_configENS1_25partition_config_selectorILNS1_17partition_subalgoE0EjNS0_10empty_typeEbEEZZNS1_14partition_implILS5_0ELb0ES3_jN6thrust23THRUST_200600_302600_NS6detail15normal_iteratorINSA_10device_ptrIjEEEEPS6_SG_NS0_5tupleIJNSA_16discard_iteratorINSA_11use_defaultEEESF_EEENSH_IJSG_SG_EEES6_PlJ7is_evenIjEEEE10hipError_tPvRmT3_T4_T5_T6_T7_T9_mT8_P12ihipStream_tbDpT10_ENKUlT_T0_E_clISt17integral_constantIbLb1EES18_IbLb0EEEEDaS14_S15_EUlS14_E_NS1_11comp_targetILNS1_3genE8ELNS1_11target_archE1030ELNS1_3gpuE2ELNS1_3repE0EEENS1_30default_config_static_selectorELNS0_4arch9wavefront6targetE1EEEvT1_,"axG",@progbits,_ZN7rocprim17ROCPRIM_400000_NS6detail17trampoline_kernelINS0_14default_configENS1_25partition_config_selectorILNS1_17partition_subalgoE0EjNS0_10empty_typeEbEEZZNS1_14partition_implILS5_0ELb0ES3_jN6thrust23THRUST_200600_302600_NS6detail15normal_iteratorINSA_10device_ptrIjEEEEPS6_SG_NS0_5tupleIJNSA_16discard_iteratorINSA_11use_defaultEEESF_EEENSH_IJSG_SG_EEES6_PlJ7is_evenIjEEEE10hipError_tPvRmT3_T4_T5_T6_T7_T9_mT8_P12ihipStream_tbDpT10_ENKUlT_T0_E_clISt17integral_constantIbLb1EES18_IbLb0EEEEDaS14_S15_EUlS14_E_NS1_11comp_targetILNS1_3genE8ELNS1_11target_archE1030ELNS1_3gpuE2ELNS1_3repE0EEENS1_30default_config_static_selectorELNS0_4arch9wavefront6targetE1EEEvT1_,comdat
.Lfunc_end2482:
	.size	_ZN7rocprim17ROCPRIM_400000_NS6detail17trampoline_kernelINS0_14default_configENS1_25partition_config_selectorILNS1_17partition_subalgoE0EjNS0_10empty_typeEbEEZZNS1_14partition_implILS5_0ELb0ES3_jN6thrust23THRUST_200600_302600_NS6detail15normal_iteratorINSA_10device_ptrIjEEEEPS6_SG_NS0_5tupleIJNSA_16discard_iteratorINSA_11use_defaultEEESF_EEENSH_IJSG_SG_EEES6_PlJ7is_evenIjEEEE10hipError_tPvRmT3_T4_T5_T6_T7_T9_mT8_P12ihipStream_tbDpT10_ENKUlT_T0_E_clISt17integral_constantIbLb1EES18_IbLb0EEEEDaS14_S15_EUlS14_E_NS1_11comp_targetILNS1_3genE8ELNS1_11target_archE1030ELNS1_3gpuE2ELNS1_3repE0EEENS1_30default_config_static_selectorELNS0_4arch9wavefront6targetE1EEEvT1_, .Lfunc_end2482-_ZN7rocprim17ROCPRIM_400000_NS6detail17trampoline_kernelINS0_14default_configENS1_25partition_config_selectorILNS1_17partition_subalgoE0EjNS0_10empty_typeEbEEZZNS1_14partition_implILS5_0ELb0ES3_jN6thrust23THRUST_200600_302600_NS6detail15normal_iteratorINSA_10device_ptrIjEEEEPS6_SG_NS0_5tupleIJNSA_16discard_iteratorINSA_11use_defaultEEESF_EEENSH_IJSG_SG_EEES6_PlJ7is_evenIjEEEE10hipError_tPvRmT3_T4_T5_T6_T7_T9_mT8_P12ihipStream_tbDpT10_ENKUlT_T0_E_clISt17integral_constantIbLb1EES18_IbLb0EEEEDaS14_S15_EUlS14_E_NS1_11comp_targetILNS1_3genE8ELNS1_11target_archE1030ELNS1_3gpuE2ELNS1_3repE0EEENS1_30default_config_static_selectorELNS0_4arch9wavefront6targetE1EEEvT1_
                                        ; -- End function
	.section	.AMDGPU.csdata,"",@progbits
; Kernel info:
; codeLenInByte = 0
; NumSgprs: 6
; NumVgprs: 0
; NumAgprs: 0
; TotalNumVgprs: 0
; ScratchSize: 0
; MemoryBound: 0
; FloatMode: 240
; IeeeMode: 1
; LDSByteSize: 0 bytes/workgroup (compile time only)
; SGPRBlocks: 0
; VGPRBlocks: 0
; NumSGPRsForWavesPerEU: 6
; NumVGPRsForWavesPerEU: 1
; AccumOffset: 4
; Occupancy: 8
; WaveLimiterHint : 0
; COMPUTE_PGM_RSRC2:SCRATCH_EN: 0
; COMPUTE_PGM_RSRC2:USER_SGPR: 2
; COMPUTE_PGM_RSRC2:TRAP_HANDLER: 0
; COMPUTE_PGM_RSRC2:TGID_X_EN: 1
; COMPUTE_PGM_RSRC2:TGID_Y_EN: 0
; COMPUTE_PGM_RSRC2:TGID_Z_EN: 0
; COMPUTE_PGM_RSRC2:TIDIG_COMP_CNT: 0
; COMPUTE_PGM_RSRC3_GFX90A:ACCUM_OFFSET: 0
; COMPUTE_PGM_RSRC3_GFX90A:TG_SPLIT: 0
	.section	.text._ZN7rocprim17ROCPRIM_400000_NS6detail17trampoline_kernelINS0_14default_configENS1_25partition_config_selectorILNS1_17partition_subalgoE0EjNS0_10empty_typeEbEEZZNS1_14partition_implILS5_0ELb0ES3_jN6thrust23THRUST_200600_302600_NS6detail15normal_iteratorINSA_10device_ptrIjEEEEPS6_SG_NS0_5tupleIJNSA_16discard_iteratorINSA_11use_defaultEEESF_EEENSH_IJSG_SG_EEES6_PlJ7is_evenIjEEEE10hipError_tPvRmT3_T4_T5_T6_T7_T9_mT8_P12ihipStream_tbDpT10_ENKUlT_T0_E_clISt17integral_constantIbLb0EES18_IbLb1EEEEDaS14_S15_EUlS14_E_NS1_11comp_targetILNS1_3genE0ELNS1_11target_archE4294967295ELNS1_3gpuE0ELNS1_3repE0EEENS1_30default_config_static_selectorELNS0_4arch9wavefront6targetE1EEEvT1_,"axG",@progbits,_ZN7rocprim17ROCPRIM_400000_NS6detail17trampoline_kernelINS0_14default_configENS1_25partition_config_selectorILNS1_17partition_subalgoE0EjNS0_10empty_typeEbEEZZNS1_14partition_implILS5_0ELb0ES3_jN6thrust23THRUST_200600_302600_NS6detail15normal_iteratorINSA_10device_ptrIjEEEEPS6_SG_NS0_5tupleIJNSA_16discard_iteratorINSA_11use_defaultEEESF_EEENSH_IJSG_SG_EEES6_PlJ7is_evenIjEEEE10hipError_tPvRmT3_T4_T5_T6_T7_T9_mT8_P12ihipStream_tbDpT10_ENKUlT_T0_E_clISt17integral_constantIbLb0EES18_IbLb1EEEEDaS14_S15_EUlS14_E_NS1_11comp_targetILNS1_3genE0ELNS1_11target_archE4294967295ELNS1_3gpuE0ELNS1_3repE0EEENS1_30default_config_static_selectorELNS0_4arch9wavefront6targetE1EEEvT1_,comdat
	.protected	_ZN7rocprim17ROCPRIM_400000_NS6detail17trampoline_kernelINS0_14default_configENS1_25partition_config_selectorILNS1_17partition_subalgoE0EjNS0_10empty_typeEbEEZZNS1_14partition_implILS5_0ELb0ES3_jN6thrust23THRUST_200600_302600_NS6detail15normal_iteratorINSA_10device_ptrIjEEEEPS6_SG_NS0_5tupleIJNSA_16discard_iteratorINSA_11use_defaultEEESF_EEENSH_IJSG_SG_EEES6_PlJ7is_evenIjEEEE10hipError_tPvRmT3_T4_T5_T6_T7_T9_mT8_P12ihipStream_tbDpT10_ENKUlT_T0_E_clISt17integral_constantIbLb0EES18_IbLb1EEEEDaS14_S15_EUlS14_E_NS1_11comp_targetILNS1_3genE0ELNS1_11target_archE4294967295ELNS1_3gpuE0ELNS1_3repE0EEENS1_30default_config_static_selectorELNS0_4arch9wavefront6targetE1EEEvT1_ ; -- Begin function _ZN7rocprim17ROCPRIM_400000_NS6detail17trampoline_kernelINS0_14default_configENS1_25partition_config_selectorILNS1_17partition_subalgoE0EjNS0_10empty_typeEbEEZZNS1_14partition_implILS5_0ELb0ES3_jN6thrust23THRUST_200600_302600_NS6detail15normal_iteratorINSA_10device_ptrIjEEEEPS6_SG_NS0_5tupleIJNSA_16discard_iteratorINSA_11use_defaultEEESF_EEENSH_IJSG_SG_EEES6_PlJ7is_evenIjEEEE10hipError_tPvRmT3_T4_T5_T6_T7_T9_mT8_P12ihipStream_tbDpT10_ENKUlT_T0_E_clISt17integral_constantIbLb0EES18_IbLb1EEEEDaS14_S15_EUlS14_E_NS1_11comp_targetILNS1_3genE0ELNS1_11target_archE4294967295ELNS1_3gpuE0ELNS1_3repE0EEENS1_30default_config_static_selectorELNS0_4arch9wavefront6targetE1EEEvT1_
	.globl	_ZN7rocprim17ROCPRIM_400000_NS6detail17trampoline_kernelINS0_14default_configENS1_25partition_config_selectorILNS1_17partition_subalgoE0EjNS0_10empty_typeEbEEZZNS1_14partition_implILS5_0ELb0ES3_jN6thrust23THRUST_200600_302600_NS6detail15normal_iteratorINSA_10device_ptrIjEEEEPS6_SG_NS0_5tupleIJNSA_16discard_iteratorINSA_11use_defaultEEESF_EEENSH_IJSG_SG_EEES6_PlJ7is_evenIjEEEE10hipError_tPvRmT3_T4_T5_T6_T7_T9_mT8_P12ihipStream_tbDpT10_ENKUlT_T0_E_clISt17integral_constantIbLb0EES18_IbLb1EEEEDaS14_S15_EUlS14_E_NS1_11comp_targetILNS1_3genE0ELNS1_11target_archE4294967295ELNS1_3gpuE0ELNS1_3repE0EEENS1_30default_config_static_selectorELNS0_4arch9wavefront6targetE1EEEvT1_
	.p2align	8
	.type	_ZN7rocprim17ROCPRIM_400000_NS6detail17trampoline_kernelINS0_14default_configENS1_25partition_config_selectorILNS1_17partition_subalgoE0EjNS0_10empty_typeEbEEZZNS1_14partition_implILS5_0ELb0ES3_jN6thrust23THRUST_200600_302600_NS6detail15normal_iteratorINSA_10device_ptrIjEEEEPS6_SG_NS0_5tupleIJNSA_16discard_iteratorINSA_11use_defaultEEESF_EEENSH_IJSG_SG_EEES6_PlJ7is_evenIjEEEE10hipError_tPvRmT3_T4_T5_T6_T7_T9_mT8_P12ihipStream_tbDpT10_ENKUlT_T0_E_clISt17integral_constantIbLb0EES18_IbLb1EEEEDaS14_S15_EUlS14_E_NS1_11comp_targetILNS1_3genE0ELNS1_11target_archE4294967295ELNS1_3gpuE0ELNS1_3repE0EEENS1_30default_config_static_selectorELNS0_4arch9wavefront6targetE1EEEvT1_,@function
_ZN7rocprim17ROCPRIM_400000_NS6detail17trampoline_kernelINS0_14default_configENS1_25partition_config_selectorILNS1_17partition_subalgoE0EjNS0_10empty_typeEbEEZZNS1_14partition_implILS5_0ELb0ES3_jN6thrust23THRUST_200600_302600_NS6detail15normal_iteratorINSA_10device_ptrIjEEEEPS6_SG_NS0_5tupleIJNSA_16discard_iteratorINSA_11use_defaultEEESF_EEENSH_IJSG_SG_EEES6_PlJ7is_evenIjEEEE10hipError_tPvRmT3_T4_T5_T6_T7_T9_mT8_P12ihipStream_tbDpT10_ENKUlT_T0_E_clISt17integral_constantIbLb0EES18_IbLb1EEEEDaS14_S15_EUlS14_E_NS1_11comp_targetILNS1_3genE0ELNS1_11target_archE4294967295ELNS1_3gpuE0ELNS1_3repE0EEENS1_30default_config_static_selectorELNS0_4arch9wavefront6targetE1EEEvT1_: ; @_ZN7rocprim17ROCPRIM_400000_NS6detail17trampoline_kernelINS0_14default_configENS1_25partition_config_selectorILNS1_17partition_subalgoE0EjNS0_10empty_typeEbEEZZNS1_14partition_implILS5_0ELb0ES3_jN6thrust23THRUST_200600_302600_NS6detail15normal_iteratorINSA_10device_ptrIjEEEEPS6_SG_NS0_5tupleIJNSA_16discard_iteratorINSA_11use_defaultEEESF_EEENSH_IJSG_SG_EEES6_PlJ7is_evenIjEEEE10hipError_tPvRmT3_T4_T5_T6_T7_T9_mT8_P12ihipStream_tbDpT10_ENKUlT_T0_E_clISt17integral_constantIbLb0EES18_IbLb1EEEEDaS14_S15_EUlS14_E_NS1_11comp_targetILNS1_3genE0ELNS1_11target_archE4294967295ELNS1_3gpuE0ELNS1_3repE0EEENS1_30default_config_static_selectorELNS0_4arch9wavefront6targetE1EEEvT1_
; %bb.0:
	.section	.rodata,"a",@progbits
	.p2align	6, 0x0
	.amdhsa_kernel _ZN7rocprim17ROCPRIM_400000_NS6detail17trampoline_kernelINS0_14default_configENS1_25partition_config_selectorILNS1_17partition_subalgoE0EjNS0_10empty_typeEbEEZZNS1_14partition_implILS5_0ELb0ES3_jN6thrust23THRUST_200600_302600_NS6detail15normal_iteratorINSA_10device_ptrIjEEEEPS6_SG_NS0_5tupleIJNSA_16discard_iteratorINSA_11use_defaultEEESF_EEENSH_IJSG_SG_EEES6_PlJ7is_evenIjEEEE10hipError_tPvRmT3_T4_T5_T6_T7_T9_mT8_P12ihipStream_tbDpT10_ENKUlT_T0_E_clISt17integral_constantIbLb0EES18_IbLb1EEEEDaS14_S15_EUlS14_E_NS1_11comp_targetILNS1_3genE0ELNS1_11target_archE4294967295ELNS1_3gpuE0ELNS1_3repE0EEENS1_30default_config_static_selectorELNS0_4arch9wavefront6targetE1EEEvT1_
		.amdhsa_group_segment_fixed_size 0
		.amdhsa_private_segment_fixed_size 0
		.amdhsa_kernarg_size 144
		.amdhsa_user_sgpr_count 2
		.amdhsa_user_sgpr_dispatch_ptr 0
		.amdhsa_user_sgpr_queue_ptr 0
		.amdhsa_user_sgpr_kernarg_segment_ptr 1
		.amdhsa_user_sgpr_dispatch_id 0
		.amdhsa_user_sgpr_kernarg_preload_length 0
		.amdhsa_user_sgpr_kernarg_preload_offset 0
		.amdhsa_user_sgpr_private_segment_size 0
		.amdhsa_uses_dynamic_stack 0
		.amdhsa_enable_private_segment 0
		.amdhsa_system_sgpr_workgroup_id_x 1
		.amdhsa_system_sgpr_workgroup_id_y 0
		.amdhsa_system_sgpr_workgroup_id_z 0
		.amdhsa_system_sgpr_workgroup_info 0
		.amdhsa_system_vgpr_workitem_id 0
		.amdhsa_next_free_vgpr 1
		.amdhsa_next_free_sgpr 0
		.amdhsa_accum_offset 4
		.amdhsa_reserve_vcc 0
		.amdhsa_float_round_mode_32 0
		.amdhsa_float_round_mode_16_64 0
		.amdhsa_float_denorm_mode_32 3
		.amdhsa_float_denorm_mode_16_64 3
		.amdhsa_dx10_clamp 1
		.amdhsa_ieee_mode 1
		.amdhsa_fp16_overflow 0
		.amdhsa_tg_split 0
		.amdhsa_exception_fp_ieee_invalid_op 0
		.amdhsa_exception_fp_denorm_src 0
		.amdhsa_exception_fp_ieee_div_zero 0
		.amdhsa_exception_fp_ieee_overflow 0
		.amdhsa_exception_fp_ieee_underflow 0
		.amdhsa_exception_fp_ieee_inexact 0
		.amdhsa_exception_int_div_zero 0
	.end_amdhsa_kernel
	.section	.text._ZN7rocprim17ROCPRIM_400000_NS6detail17trampoline_kernelINS0_14default_configENS1_25partition_config_selectorILNS1_17partition_subalgoE0EjNS0_10empty_typeEbEEZZNS1_14partition_implILS5_0ELb0ES3_jN6thrust23THRUST_200600_302600_NS6detail15normal_iteratorINSA_10device_ptrIjEEEEPS6_SG_NS0_5tupleIJNSA_16discard_iteratorINSA_11use_defaultEEESF_EEENSH_IJSG_SG_EEES6_PlJ7is_evenIjEEEE10hipError_tPvRmT3_T4_T5_T6_T7_T9_mT8_P12ihipStream_tbDpT10_ENKUlT_T0_E_clISt17integral_constantIbLb0EES18_IbLb1EEEEDaS14_S15_EUlS14_E_NS1_11comp_targetILNS1_3genE0ELNS1_11target_archE4294967295ELNS1_3gpuE0ELNS1_3repE0EEENS1_30default_config_static_selectorELNS0_4arch9wavefront6targetE1EEEvT1_,"axG",@progbits,_ZN7rocprim17ROCPRIM_400000_NS6detail17trampoline_kernelINS0_14default_configENS1_25partition_config_selectorILNS1_17partition_subalgoE0EjNS0_10empty_typeEbEEZZNS1_14partition_implILS5_0ELb0ES3_jN6thrust23THRUST_200600_302600_NS6detail15normal_iteratorINSA_10device_ptrIjEEEEPS6_SG_NS0_5tupleIJNSA_16discard_iteratorINSA_11use_defaultEEESF_EEENSH_IJSG_SG_EEES6_PlJ7is_evenIjEEEE10hipError_tPvRmT3_T4_T5_T6_T7_T9_mT8_P12ihipStream_tbDpT10_ENKUlT_T0_E_clISt17integral_constantIbLb0EES18_IbLb1EEEEDaS14_S15_EUlS14_E_NS1_11comp_targetILNS1_3genE0ELNS1_11target_archE4294967295ELNS1_3gpuE0ELNS1_3repE0EEENS1_30default_config_static_selectorELNS0_4arch9wavefront6targetE1EEEvT1_,comdat
.Lfunc_end2483:
	.size	_ZN7rocprim17ROCPRIM_400000_NS6detail17trampoline_kernelINS0_14default_configENS1_25partition_config_selectorILNS1_17partition_subalgoE0EjNS0_10empty_typeEbEEZZNS1_14partition_implILS5_0ELb0ES3_jN6thrust23THRUST_200600_302600_NS6detail15normal_iteratorINSA_10device_ptrIjEEEEPS6_SG_NS0_5tupleIJNSA_16discard_iteratorINSA_11use_defaultEEESF_EEENSH_IJSG_SG_EEES6_PlJ7is_evenIjEEEE10hipError_tPvRmT3_T4_T5_T6_T7_T9_mT8_P12ihipStream_tbDpT10_ENKUlT_T0_E_clISt17integral_constantIbLb0EES18_IbLb1EEEEDaS14_S15_EUlS14_E_NS1_11comp_targetILNS1_3genE0ELNS1_11target_archE4294967295ELNS1_3gpuE0ELNS1_3repE0EEENS1_30default_config_static_selectorELNS0_4arch9wavefront6targetE1EEEvT1_, .Lfunc_end2483-_ZN7rocprim17ROCPRIM_400000_NS6detail17trampoline_kernelINS0_14default_configENS1_25partition_config_selectorILNS1_17partition_subalgoE0EjNS0_10empty_typeEbEEZZNS1_14partition_implILS5_0ELb0ES3_jN6thrust23THRUST_200600_302600_NS6detail15normal_iteratorINSA_10device_ptrIjEEEEPS6_SG_NS0_5tupleIJNSA_16discard_iteratorINSA_11use_defaultEEESF_EEENSH_IJSG_SG_EEES6_PlJ7is_evenIjEEEE10hipError_tPvRmT3_T4_T5_T6_T7_T9_mT8_P12ihipStream_tbDpT10_ENKUlT_T0_E_clISt17integral_constantIbLb0EES18_IbLb1EEEEDaS14_S15_EUlS14_E_NS1_11comp_targetILNS1_3genE0ELNS1_11target_archE4294967295ELNS1_3gpuE0ELNS1_3repE0EEENS1_30default_config_static_selectorELNS0_4arch9wavefront6targetE1EEEvT1_
                                        ; -- End function
	.section	.AMDGPU.csdata,"",@progbits
; Kernel info:
; codeLenInByte = 0
; NumSgprs: 6
; NumVgprs: 0
; NumAgprs: 0
; TotalNumVgprs: 0
; ScratchSize: 0
; MemoryBound: 0
; FloatMode: 240
; IeeeMode: 1
; LDSByteSize: 0 bytes/workgroup (compile time only)
; SGPRBlocks: 0
; VGPRBlocks: 0
; NumSGPRsForWavesPerEU: 6
; NumVGPRsForWavesPerEU: 1
; AccumOffset: 4
; Occupancy: 8
; WaveLimiterHint : 0
; COMPUTE_PGM_RSRC2:SCRATCH_EN: 0
; COMPUTE_PGM_RSRC2:USER_SGPR: 2
; COMPUTE_PGM_RSRC2:TRAP_HANDLER: 0
; COMPUTE_PGM_RSRC2:TGID_X_EN: 1
; COMPUTE_PGM_RSRC2:TGID_Y_EN: 0
; COMPUTE_PGM_RSRC2:TGID_Z_EN: 0
; COMPUTE_PGM_RSRC2:TIDIG_COMP_CNT: 0
; COMPUTE_PGM_RSRC3_GFX90A:ACCUM_OFFSET: 0
; COMPUTE_PGM_RSRC3_GFX90A:TG_SPLIT: 0
	.section	.text._ZN7rocprim17ROCPRIM_400000_NS6detail17trampoline_kernelINS0_14default_configENS1_25partition_config_selectorILNS1_17partition_subalgoE0EjNS0_10empty_typeEbEEZZNS1_14partition_implILS5_0ELb0ES3_jN6thrust23THRUST_200600_302600_NS6detail15normal_iteratorINSA_10device_ptrIjEEEEPS6_SG_NS0_5tupleIJNSA_16discard_iteratorINSA_11use_defaultEEESF_EEENSH_IJSG_SG_EEES6_PlJ7is_evenIjEEEE10hipError_tPvRmT3_T4_T5_T6_T7_T9_mT8_P12ihipStream_tbDpT10_ENKUlT_T0_E_clISt17integral_constantIbLb0EES18_IbLb1EEEEDaS14_S15_EUlS14_E_NS1_11comp_targetILNS1_3genE5ELNS1_11target_archE942ELNS1_3gpuE9ELNS1_3repE0EEENS1_30default_config_static_selectorELNS0_4arch9wavefront6targetE1EEEvT1_,"axG",@progbits,_ZN7rocprim17ROCPRIM_400000_NS6detail17trampoline_kernelINS0_14default_configENS1_25partition_config_selectorILNS1_17partition_subalgoE0EjNS0_10empty_typeEbEEZZNS1_14partition_implILS5_0ELb0ES3_jN6thrust23THRUST_200600_302600_NS6detail15normal_iteratorINSA_10device_ptrIjEEEEPS6_SG_NS0_5tupleIJNSA_16discard_iteratorINSA_11use_defaultEEESF_EEENSH_IJSG_SG_EEES6_PlJ7is_evenIjEEEE10hipError_tPvRmT3_T4_T5_T6_T7_T9_mT8_P12ihipStream_tbDpT10_ENKUlT_T0_E_clISt17integral_constantIbLb0EES18_IbLb1EEEEDaS14_S15_EUlS14_E_NS1_11comp_targetILNS1_3genE5ELNS1_11target_archE942ELNS1_3gpuE9ELNS1_3repE0EEENS1_30default_config_static_selectorELNS0_4arch9wavefront6targetE1EEEvT1_,comdat
	.protected	_ZN7rocprim17ROCPRIM_400000_NS6detail17trampoline_kernelINS0_14default_configENS1_25partition_config_selectorILNS1_17partition_subalgoE0EjNS0_10empty_typeEbEEZZNS1_14partition_implILS5_0ELb0ES3_jN6thrust23THRUST_200600_302600_NS6detail15normal_iteratorINSA_10device_ptrIjEEEEPS6_SG_NS0_5tupleIJNSA_16discard_iteratorINSA_11use_defaultEEESF_EEENSH_IJSG_SG_EEES6_PlJ7is_evenIjEEEE10hipError_tPvRmT3_T4_T5_T6_T7_T9_mT8_P12ihipStream_tbDpT10_ENKUlT_T0_E_clISt17integral_constantIbLb0EES18_IbLb1EEEEDaS14_S15_EUlS14_E_NS1_11comp_targetILNS1_3genE5ELNS1_11target_archE942ELNS1_3gpuE9ELNS1_3repE0EEENS1_30default_config_static_selectorELNS0_4arch9wavefront6targetE1EEEvT1_ ; -- Begin function _ZN7rocprim17ROCPRIM_400000_NS6detail17trampoline_kernelINS0_14default_configENS1_25partition_config_selectorILNS1_17partition_subalgoE0EjNS0_10empty_typeEbEEZZNS1_14partition_implILS5_0ELb0ES3_jN6thrust23THRUST_200600_302600_NS6detail15normal_iteratorINSA_10device_ptrIjEEEEPS6_SG_NS0_5tupleIJNSA_16discard_iteratorINSA_11use_defaultEEESF_EEENSH_IJSG_SG_EEES6_PlJ7is_evenIjEEEE10hipError_tPvRmT3_T4_T5_T6_T7_T9_mT8_P12ihipStream_tbDpT10_ENKUlT_T0_E_clISt17integral_constantIbLb0EES18_IbLb1EEEEDaS14_S15_EUlS14_E_NS1_11comp_targetILNS1_3genE5ELNS1_11target_archE942ELNS1_3gpuE9ELNS1_3repE0EEENS1_30default_config_static_selectorELNS0_4arch9wavefront6targetE1EEEvT1_
	.globl	_ZN7rocprim17ROCPRIM_400000_NS6detail17trampoline_kernelINS0_14default_configENS1_25partition_config_selectorILNS1_17partition_subalgoE0EjNS0_10empty_typeEbEEZZNS1_14partition_implILS5_0ELb0ES3_jN6thrust23THRUST_200600_302600_NS6detail15normal_iteratorINSA_10device_ptrIjEEEEPS6_SG_NS0_5tupleIJNSA_16discard_iteratorINSA_11use_defaultEEESF_EEENSH_IJSG_SG_EEES6_PlJ7is_evenIjEEEE10hipError_tPvRmT3_T4_T5_T6_T7_T9_mT8_P12ihipStream_tbDpT10_ENKUlT_T0_E_clISt17integral_constantIbLb0EES18_IbLb1EEEEDaS14_S15_EUlS14_E_NS1_11comp_targetILNS1_3genE5ELNS1_11target_archE942ELNS1_3gpuE9ELNS1_3repE0EEENS1_30default_config_static_selectorELNS0_4arch9wavefront6targetE1EEEvT1_
	.p2align	8
	.type	_ZN7rocprim17ROCPRIM_400000_NS6detail17trampoline_kernelINS0_14default_configENS1_25partition_config_selectorILNS1_17partition_subalgoE0EjNS0_10empty_typeEbEEZZNS1_14partition_implILS5_0ELb0ES3_jN6thrust23THRUST_200600_302600_NS6detail15normal_iteratorINSA_10device_ptrIjEEEEPS6_SG_NS0_5tupleIJNSA_16discard_iteratorINSA_11use_defaultEEESF_EEENSH_IJSG_SG_EEES6_PlJ7is_evenIjEEEE10hipError_tPvRmT3_T4_T5_T6_T7_T9_mT8_P12ihipStream_tbDpT10_ENKUlT_T0_E_clISt17integral_constantIbLb0EES18_IbLb1EEEEDaS14_S15_EUlS14_E_NS1_11comp_targetILNS1_3genE5ELNS1_11target_archE942ELNS1_3gpuE9ELNS1_3repE0EEENS1_30default_config_static_selectorELNS0_4arch9wavefront6targetE1EEEvT1_,@function
_ZN7rocprim17ROCPRIM_400000_NS6detail17trampoline_kernelINS0_14default_configENS1_25partition_config_selectorILNS1_17partition_subalgoE0EjNS0_10empty_typeEbEEZZNS1_14partition_implILS5_0ELb0ES3_jN6thrust23THRUST_200600_302600_NS6detail15normal_iteratorINSA_10device_ptrIjEEEEPS6_SG_NS0_5tupleIJNSA_16discard_iteratorINSA_11use_defaultEEESF_EEENSH_IJSG_SG_EEES6_PlJ7is_evenIjEEEE10hipError_tPvRmT3_T4_T5_T6_T7_T9_mT8_P12ihipStream_tbDpT10_ENKUlT_T0_E_clISt17integral_constantIbLb0EES18_IbLb1EEEEDaS14_S15_EUlS14_E_NS1_11comp_targetILNS1_3genE5ELNS1_11target_archE942ELNS1_3gpuE9ELNS1_3repE0EEENS1_30default_config_static_selectorELNS0_4arch9wavefront6targetE1EEEvT1_: ; @_ZN7rocprim17ROCPRIM_400000_NS6detail17trampoline_kernelINS0_14default_configENS1_25partition_config_selectorILNS1_17partition_subalgoE0EjNS0_10empty_typeEbEEZZNS1_14partition_implILS5_0ELb0ES3_jN6thrust23THRUST_200600_302600_NS6detail15normal_iteratorINSA_10device_ptrIjEEEEPS6_SG_NS0_5tupleIJNSA_16discard_iteratorINSA_11use_defaultEEESF_EEENSH_IJSG_SG_EEES6_PlJ7is_evenIjEEEE10hipError_tPvRmT3_T4_T5_T6_T7_T9_mT8_P12ihipStream_tbDpT10_ENKUlT_T0_E_clISt17integral_constantIbLb0EES18_IbLb1EEEEDaS14_S15_EUlS14_E_NS1_11comp_targetILNS1_3genE5ELNS1_11target_archE942ELNS1_3gpuE9ELNS1_3repE0EEENS1_30default_config_static_selectorELNS0_4arch9wavefront6targetE1EEEvT1_
; %bb.0:
	s_load_dwordx2 s[2:3], s[0:1], 0x60
	s_load_dwordx4 s[24:27], s[0:1], 0x50
	s_load_dwordx2 s[36:37], s[0:1], 0x70
	v_cmp_eq_u32_e64 s[20:21], 0, v0
	s_and_saveexec_b64 s[4:5], s[20:21]
	s_cbranch_execz .LBB2484_4
; %bb.1:
	s_mov_b64 s[8:9], exec
	v_mbcnt_lo_u32_b32 v1, s8, 0
	v_mbcnt_hi_u32_b32 v1, s9, v1
	v_cmp_eq_u32_e32 vcc, 0, v1
                                        ; implicit-def: $vgpr2
	s_and_saveexec_b64 s[6:7], vcc
	s_cbranch_execz .LBB2484_3
; %bb.2:
	s_load_dwordx2 s[10:11], s[0:1], 0x80
	s_bcnt1_i32_b64 s8, s[8:9]
	v_mov_b32_e32 v2, 0
	v_mov_b32_e32 v3, s8
	s_waitcnt lgkmcnt(0)
	global_atomic_add v2, v2, v3, s[10:11] sc0
.LBB2484_3:
	s_or_b64 exec, exec, s[6:7]
	s_waitcnt vmcnt(0)
	v_readfirstlane_b32 s6, v2
	v_mov_b32_e32 v2, 0
	s_nop 0
	v_add_u32_e32 v1, s6, v1
	ds_write_b32 v2, v1
.LBB2484_4:
	s_or_b64 exec, exec, s[4:5]
	v_mov_b32_e32 v19, 0
	s_load_dwordx4 s[28:31], s[0:1], 0x8
	s_load_dwordx2 s[34:35], s[0:1], 0x38
	s_load_dword s4, s[0:1], 0x78
	s_waitcnt lgkmcnt(0)
	s_barrier
	ds_read_b32 v1, v19
	s_waitcnt lgkmcnt(0)
	s_barrier
	global_load_dwordx2 v[20:21], v19, s[26:27]
	v_mov_b32_e32 v3, s3
	s_lshl_b64 s[0:1], s[30:31], 2
	s_movk_i32 s3, 0x1e00
	s_add_u32 s0, s28, s0
	v_mul_lo_u32 v18, v1, s3
	s_mul_i32 s3, s4, 0x1e00
	s_addc_u32 s1, s29, s1
	s_add_i32 s5, s4, -1
	s_add_i32 s4, s3, s30
	s_sub_i32 s33, s2, s4
	s_addk_i32 s33, 0x1e00
	v_mov_b32_e32 v2, s2
	s_add_u32 s2, s30, s3
	v_readfirstlane_b32 s38, v1
	s_addc_u32 s3, s31, 0
	s_cmp_eq_u32 s38, s5
	s_cselect_b64 s[22:23], -1, 0
	s_cmp_lg_u32 s38, s5
	v_cmp_lt_u64_e32 vcc, s[2:3], v[2:3]
	s_cselect_b64 s[2:3], -1, 0
	s_or_b64 s[4:5], vcc, s[2:3]
	v_lshlrev_b64 v[22:23], 2, v[18:19]
	v_lshl_add_u64 v[24:25], s[0:1], 0, v[22:23]
	s_mov_b64 s[0:1], -1
	s_and_b64 vcc, exec, s[4:5]
	v_lshlrev_b32_e32 v18, 2, v0
	s_cbranch_vccz .LBB2484_6
; %bb.5:
	v_lshl_add_u64 v[2:3], v[24:25], 0, v[18:19]
	v_add_co_u32_e32 v4, vcc, 0x1000, v2
	s_mov_b64 s[0:1], 0
	s_nop 0
	v_addc_co_u32_e32 v5, vcc, 0, v3, vcc
	v_add_co_u32_e32 v6, vcc, 0x2000, v2
	s_nop 1
	v_addc_co_u32_e32 v7, vcc, 0, v3, vcc
	v_add_co_u32_e32 v8, vcc, 0x3000, v2
	s_nop 1
	v_addc_co_u32_e32 v9, vcc, 0, v3, vcc
	flat_load_dword v1, v[2:3]
	flat_load_dword v10, v[2:3] offset:2048
	flat_load_dword v11, v[4:5]
	flat_load_dword v12, v[4:5] offset:2048
	;; [unrolled: 2-line block ×4, first 2 shown]
	v_add_co_u32_e32 v4, vcc, 0x4000, v2
	s_nop 1
	v_addc_co_u32_e32 v5, vcc, 0, v3, vcc
	v_add_co_u32_e32 v6, vcc, 0x5000, v2
	s_nop 1
	v_addc_co_u32_e32 v7, vcc, 0, v3, vcc
	;; [unrolled: 3-line block ×4, first 2 shown]
	flat_load_dword v17, v[4:5]
	flat_load_dword v19, v[4:5] offset:2048
	flat_load_dword v26, v[6:7]
	flat_load_dword v27, v[6:7] offset:2048
	;; [unrolled: 2-line block ×3, first 2 shown]
	flat_load_dword v30, v[2:3]
	s_waitcnt vmcnt(0) lgkmcnt(0)
	ds_write2st64_b32 v18, v1, v10 offset1:8
	ds_write2st64_b32 v18, v11, v12 offset0:16 offset1:24
	ds_write2st64_b32 v18, v13, v14 offset0:32 offset1:40
	;; [unrolled: 1-line block ×6, first 2 shown]
	ds_write_b32 v18, v30 offset:28672
	s_waitcnt lgkmcnt(0)
	s_barrier
.LBB2484_6:
	s_andn2_b64 vcc, exec, s[0:1]
	v_cmp_gt_u32_e64 s[0:1], s33, v0
	s_cbranch_vccnz .LBB2484_38
; %bb.7:
                                        ; implicit-def: $vgpr2_vgpr3_vgpr4_vgpr5_vgpr6_vgpr7_vgpr8_vgpr9_vgpr10_vgpr11_vgpr12_vgpr13_vgpr14_vgpr15_vgpr16_vgpr17
	s_and_saveexec_b64 s[2:3], s[0:1]
	s_cbranch_execz .LBB2484_9
; %bb.8:
	v_mov_b32_e32 v19, 0
	v_lshl_add_u64 v[2:3], v[24:25], 0, v[18:19]
	flat_load_dword v2, v[2:3]
.LBB2484_9:
	s_or_b64 exec, exec, s[2:3]
	v_or_b32_e32 v1, 0x200, v0
	v_cmp_gt_u32_e32 vcc, s33, v1
	s_and_saveexec_b64 s[0:1], vcc
	s_cbranch_execz .LBB2484_11
; %bb.10:
	v_mov_b32_e32 v19, 0
	v_lshl_add_u64 v[26:27], v[24:25], 0, v[18:19]
	flat_load_dword v3, v[26:27] offset:2048
.LBB2484_11:
	s_or_b64 exec, exec, s[0:1]
	v_or_b32_e32 v1, 0x400, v0
	v_cmp_gt_u32_e32 vcc, s33, v1
	s_and_saveexec_b64 s[0:1], vcc
	s_cbranch_execz .LBB2484_13
; %bb.12:
	v_lshlrev_b32_e32 v26, 2, v1
	v_mov_b32_e32 v27, 0
	v_lshl_add_u64 v[26:27], v[24:25], 0, v[26:27]
	flat_load_dword v4, v[26:27]
.LBB2484_13:
	s_or_b64 exec, exec, s[0:1]
	v_or_b32_e32 v1, 0x600, v0
	v_cmp_gt_u32_e32 vcc, s33, v1
	s_and_saveexec_b64 s[0:1], vcc
	s_cbranch_execz .LBB2484_15
; %bb.14:
	v_lshlrev_b32_e32 v26, 2, v1
	v_mov_b32_e32 v27, 0
	v_lshl_add_u64 v[26:27], v[24:25], 0, v[26:27]
	flat_load_dword v5, v[26:27]
.LBB2484_15:
	;; [unrolled: 11-line block ×13, first 2 shown]
	s_or_b64 exec, exec, s[0:1]
	s_waitcnt vmcnt(0) lgkmcnt(0)
	ds_write2st64_b32 v18, v2, v3 offset1:8
	ds_write2st64_b32 v18, v4, v5 offset0:16 offset1:24
	ds_write2st64_b32 v18, v6, v7 offset0:32 offset1:40
	;; [unrolled: 1-line block ×6, first 2 shown]
	ds_write_b32 v18, v16 offset:28672
	s_waitcnt lgkmcnt(0)
	s_barrier
.LBB2484_38:
	v_mul_u32_u24_e32 v42, 15, v0
	v_lshlrev_b32_e32 v1, 2, v42
	ds_read2_b32 v[36:37], v1 offset1:1
	ds_read2_b32 v[34:35], v1 offset0:2 offset1:3
	ds_read2_b32 v[32:33], v1 offset0:4 offset1:5
	;; [unrolled: 1-line block ×6, first 2 shown]
	ds_read_b32 v1, v1 offset:56
	v_cndmask_b32_e64 v2, 0, 1, s[4:5]
	v_cmp_ne_u32_e64 s[2:3], 1, v2
	s_andn2_b64 vcc, exec, s[4:5]
	s_waitcnt lgkmcnt(7)
	v_xor_b32_e32 v16, -1, v36
	v_xor_b32_e32 v15, -1, v37
	s_waitcnt lgkmcnt(6)
	v_xor_b32_e32 v14, -1, v34
	v_xor_b32_e32 v13, -1, v35
	;; [unrolled: 3-line block ×7, first 2 shown]
	s_waitcnt lgkmcnt(0)
	v_xor_b32_e32 v2, -1, v1
	s_barrier
	s_cbranch_vccnz .LBB2484_40
; %bb.39:
	v_and_b32_e32 v55, 1, v16
	v_and_b32_e32 v54, 1, v15
	;; [unrolled: 1-line block ×15, first 2 shown]
	s_cbranch_execz .LBB2484_41
	s_branch .LBB2484_42
.LBB2484_40:
                                        ; implicit-def: $vgpr19
                                        ; implicit-def: $vgpr41
                                        ; implicit-def: $vgpr43
                                        ; implicit-def: $vgpr44
                                        ; implicit-def: $vgpr45
                                        ; implicit-def: $vgpr46
                                        ; implicit-def: $vgpr47
                                        ; implicit-def: $vgpr48
                                        ; implicit-def: $vgpr49
                                        ; implicit-def: $vgpr55
                                        ; implicit-def: $vgpr54
                                        ; implicit-def: $vgpr53
                                        ; implicit-def: $vgpr52
                                        ; implicit-def: $vgpr51
                                        ; implicit-def: $vgpr50
.LBB2484_41:
	v_add_u32_e32 v48, 1, v42
	v_cmp_gt_u32_e32 vcc, s33, v42
	v_add_u32_e32 v17, 2, v42
	v_add_u32_e32 v47, 3, v42
	v_cndmask_b32_e64 v49, 0, 1, vcc
	v_cmp_gt_u32_e32 vcc, s33, v48
	v_and_b32_e32 v55, v49, v16
	v_add_u32_e32 v19, 4, v42
	v_cndmask_b32_e64 v16, 0, 1, vcc
	v_cmp_gt_u32_e32 vcc, s33, v17
	v_and_b32_e32 v54, v16, v15
	;; [unrolled: 4-line block ×12, first 2 shown]
	s_nop 0
	v_cndmask_b32_e64 v5, 0, 1, vcc
	v_cmp_gt_u32_e32 vcc, s33, v57
	v_and_b32_e32 v43, v5, v4
	s_nop 0
	v_cndmask_b32_e64 v4, 0, 1, vcc
	v_cmp_gt_u32_e32 vcc, s33, v56
	v_and_b32_e32 v41, v4, v3
	s_nop 0
	v_cndmask_b32_e64 v3, 0, 1, vcc
	v_and_b32_e32 v19, v3, v2
.LBB2484_42:
	v_and_b32_e32 v59, 0xff, v52
	v_and_b32_e32 v60, 0xff, v51
	;; [unrolled: 1-line block ×5, first 2 shown]
	v_add3_u32 v3, v60, v61, v59
	v_and_b32_e32 v56, 0xff, v55
	v_and_b32_e32 v62, 0xff, v49
	v_add3_u32 v3, v3, v58, v57
	v_and_b32_e32 v63, 0xff, v48
	v_and_b32_e32 v64, 0xff, v47
	;; [unrolled: 3-line block ×5, first 2 shown]
	v_add3_u32 v3, v3, v67, v68
	v_add3_u32 v72, v3, v69, v2
	v_mbcnt_lo_u32_b32 v2, -1, 0
	v_mbcnt_hi_u32_b32 v70, -1, v2
	v_and_b32_e32 v2, 15, v70
	v_cmp_eq_u32_e64 s[16:17], 0, v2
	v_cmp_lt_u32_e64 s[14:15], 1, v2
	v_cmp_lt_u32_e64 s[12:13], 3, v2
	;; [unrolled: 1-line block ×3, first 2 shown]
	v_and_b32_e32 v2, 16, v70
	v_cmp_eq_u32_e64 s[8:9], 0, v2
	v_or_b32_e32 v2, 63, v0
	s_cmp_lg_u32 s38, 0
	v_cmp_lt_u32_e64 s[4:5], 31, v70
	v_lshrrev_b32_e32 v71, 6, v0
	v_cmp_eq_u32_e64 s[6:7], v2, v0
	s_cbranch_scc0 .LBB2484_69
; %bb.43:
	v_mov_b32_dpp v2, v72 row_shr:1 row_mask:0xf bank_mask:0xf
	v_cndmask_b32_e64 v2, v2, 0, s[16:17]
	v_add_u32_e32 v2, v2, v72
	s_nop 1
	v_mov_b32_dpp v3, v2 row_shr:2 row_mask:0xf bank_mask:0xf
	v_cndmask_b32_e64 v3, 0, v3, s[14:15]
	v_add_u32_e32 v2, v2, v3
	s_nop 1
	;; [unrolled: 4-line block ×4, first 2 shown]
	v_mov_b32_dpp v3, v2 row_bcast:15 row_mask:0xf bank_mask:0xf
	v_cndmask_b32_e64 v3, v3, 0, s[8:9]
	v_add_u32_e32 v2, v2, v3
	s_nop 1
	v_mov_b32_dpp v3, v2 row_bcast:31 row_mask:0xf bank_mask:0xf
	v_cndmask_b32_e64 v3, 0, v3, s[4:5]
	v_add_u32_e32 v2, v2, v3
	s_and_saveexec_b64 s[0:1], s[6:7]
	s_cbranch_execz .LBB2484_45
; %bb.44:
	v_lshlrev_b32_e32 v3, 2, v71
	ds_write_b32 v3, v2
.LBB2484_45:
	s_or_b64 exec, exec, s[0:1]
	v_cmp_gt_u32_e32 vcc, 8, v0
	s_waitcnt lgkmcnt(0)
	s_barrier
	s_and_saveexec_b64 s[0:1], vcc
	s_cbranch_execz .LBB2484_47
; %bb.46:
	ds_read_b32 v3, v18
	v_and_b32_e32 v4, 7, v70
	v_cmp_ne_u32_e32 vcc, 0, v4
	s_waitcnt lgkmcnt(0)
	v_mov_b32_dpp v5, v3 row_shr:1 row_mask:0xf bank_mask:0xf
	v_cndmask_b32_e32 v5, 0, v5, vcc
	v_add_u32_e32 v3, v5, v3
	v_cmp_lt_u32_e32 vcc, 1, v4
	s_nop 0
	v_mov_b32_dpp v5, v3 row_shr:2 row_mask:0xf bank_mask:0xf
	v_cndmask_b32_e32 v5, 0, v5, vcc
	v_add_u32_e32 v3, v3, v5
	v_cmp_lt_u32_e32 vcc, 3, v4
	s_nop 0
	v_mov_b32_dpp v5, v3 row_shr:4 row_mask:0xf bank_mask:0xf
	v_cndmask_b32_e32 v4, 0, v5, vcc
	v_add_u32_e32 v3, v3, v4
	ds_write_b32 v18, v3
.LBB2484_47:
	s_or_b64 exec, exec, s[0:1]
	v_cmp_gt_u32_e32 vcc, 64, v0
	v_cmp_lt_u32_e64 s[0:1], 63, v0
	s_waitcnt lgkmcnt(0)
	s_barrier
	s_waitcnt lgkmcnt(0)
                                        ; implicit-def: $vgpr12
	s_and_saveexec_b64 s[18:19], s[0:1]
	s_cbranch_execz .LBB2484_49
; %bb.48:
	v_lshl_add_u32 v3, v71, 2, -4
	ds_read_b32 v12, v3
	s_waitcnt lgkmcnt(0)
	v_add_u32_e32 v2, v12, v2
.LBB2484_49:
	s_or_b64 exec, exec, s[18:19]
	v_add_u32_e32 v3, -1, v70
	v_and_b32_e32 v4, 64, v70
	v_cmp_lt_i32_e64 s[0:1], v3, v4
	v_cmp_eq_u32_e64 s[18:19], 0, v70
	s_nop 0
	v_cndmask_b32_e64 v3, v3, v70, s[0:1]
	v_lshlrev_b32_e32 v3, 2, v3
	ds_bpermute_b32 v13, v3, v2
	s_and_saveexec_b64 s[0:1], vcc
	s_cbranch_execz .LBB2484_68
; %bb.50:
	v_mov_b32_e32 v9, 0
	ds_read_b32 v2, v9 offset:28
	s_and_saveexec_b64 s[26:27], s[18:19]
	s_cbranch_execz .LBB2484_52
; %bb.51:
	s_add_i32 s28, s38, 64
	s_mov_b32 s29, 0
	s_lshl_b64 s[28:29], s[28:29], 3
	s_add_u32 s28, s36, s28
	v_mov_b32_e32 v3, 1
	s_addc_u32 s29, s37, s29
	s_waitcnt lgkmcnt(0)
	global_store_dwordx2 v9, v[2:3], s[28:29] sc1
.LBB2484_52:
	s_or_b64 exec, exec, s[26:27]
	v_xad_u32 v4, v70, -1, s38
	v_add_u32_e32 v8, 64, v4
	v_lshl_add_u64 v[10:11], v[8:9], 3, s[36:37]
	global_load_dwordx2 v[6:7], v[10:11], off sc1
	s_waitcnt vmcnt(0)
	v_cmp_eq_u16_sdwa s[28:29], v7, v9 src0_sel:BYTE_0 src1_sel:DWORD
	s_and_saveexec_b64 s[26:27], s[28:29]
	s_cbranch_execz .LBB2484_56
; %bb.53:
	s_mov_b64 s[28:29], 0
	v_mov_b32_e32 v3, 0
.LBB2484_54:                            ; =>This Inner Loop Header: Depth=1
	global_load_dwordx2 v[6:7], v[10:11], off sc1
	s_waitcnt vmcnt(0)
	v_cmp_ne_u16_sdwa s[40:41], v7, v3 src0_sel:BYTE_0 src1_sel:DWORD
	s_or_b64 s[28:29], s[40:41], s[28:29]
	s_andn2_b64 exec, exec, s[28:29]
	s_cbranch_execnz .LBB2484_54
; %bb.55:
	s_or_b64 exec, exec, s[28:29]
.LBB2484_56:
	s_or_b64 exec, exec, s[26:27]
	v_and_b32_e32 v15, 63, v70
	v_mov_b32_e32 v14, 2
	v_cmp_ne_u32_e32 vcc, 63, v15
	v_cmp_eq_u16_sdwa s[26:27], v7, v14 src0_sel:BYTE_0 src1_sel:DWORD
	v_lshlrev_b64 v[8:9], v70, -1
	v_addc_co_u32_e32 v10, vcc, 0, v70, vcc
	v_and_b32_e32 v3, s27, v9
	v_lshlrev_b32_e32 v16, 2, v10
	v_or_b32_e32 v3, 0x80000000, v3
	ds_bpermute_b32 v10, v16, v6
	v_and_b32_e32 v5, s26, v8
	v_ffbl_b32_e32 v3, v3
	v_add_u32_e32 v3, 32, v3
	v_ffbl_b32_e32 v5, v5
	v_min_u32_e32 v3, v5, v3
	v_cmp_lt_u32_e32 vcc, v15, v3
	v_add_u32_e32 v38, 2, v15
	v_add_u32_e32 v40, 4, v15
	s_waitcnt lgkmcnt(0)
	v_cndmask_b32_e32 v5, 0, v10, vcc
	v_cmp_gt_u32_e32 vcc, 62, v15
	v_add_u32_e32 v5, v5, v6
	v_add_u32_e32 v74, 8, v15
	v_cndmask_b32_e64 v6, 0, 1, vcc
	v_lshlrev_b32_e32 v6, 1, v6
	v_add_lshl_u32 v17, v6, v70, 2
	ds_bpermute_b32 v6, v17, v5
	v_cmp_le_u32_e32 vcc, v38, v3
	v_add_u32_e32 v76, 16, v15
	v_add_u32_e32 v78, 32, v15
	s_waitcnt lgkmcnt(0)
	v_cndmask_b32_e32 v6, 0, v6, vcc
	v_cmp_gt_u32_e32 vcc, 60, v15
	v_add_u32_e32 v5, v5, v6
	s_nop 0
	v_cndmask_b32_e64 v6, 0, 1, vcc
	v_lshlrev_b32_e32 v6, 2, v6
	v_add_lshl_u32 v39, v6, v70, 2
	ds_bpermute_b32 v6, v39, v5
	v_cmp_le_u32_e32 vcc, v40, v3
	s_waitcnt lgkmcnt(0)
	s_nop 0
	v_cndmask_b32_e32 v6, 0, v6, vcc
	v_cmp_gt_u32_e32 vcc, 56, v15
	v_add_u32_e32 v5, v5, v6
	s_nop 0
	v_cndmask_b32_e64 v6, 0, 1, vcc
	v_lshlrev_b32_e32 v6, 3, v6
	v_add_lshl_u32 v73, v6, v70, 2
	ds_bpermute_b32 v6, v73, v5
	v_cmp_le_u32_e32 vcc, v74, v3
	s_waitcnt lgkmcnt(0)
	s_nop 0
	v_cndmask_b32_e32 v6, 0, v6, vcc
	v_cmp_gt_u32_e32 vcc, 48, v15
	v_add_u32_e32 v5, v5, v6
	s_nop 0
	v_cndmask_b32_e64 v6, 0, 1, vcc
	v_lshlrev_b32_e32 v6, 4, v6
	v_add_lshl_u32 v75, v6, v70, 2
	ds_bpermute_b32 v6, v75, v5
	v_cmp_le_u32_e32 vcc, v76, v3
	s_waitcnt lgkmcnt(0)
	s_nop 0
	v_cndmask_b32_e32 v6, 0, v6, vcc
	v_cmp_gt_u32_e32 vcc, 32, v15
	v_add_u32_e32 v5, v5, v6
	s_nop 0
	v_cndmask_b32_e64 v6, 0, 1, vcc
	v_lshlrev_b32_e32 v6, 5, v6
	v_add_lshl_u32 v77, v6, v70, 2
	ds_bpermute_b32 v6, v77, v5
	v_cmp_le_u32_e32 vcc, v78, v3
	s_waitcnt lgkmcnt(0)
	s_nop 0
	v_cndmask_b32_e32 v3, 0, v6, vcc
	v_add_u32_e32 v6, v5, v3
	v_mov_b32_e32 v5, 0
	s_branch .LBB2484_58
.LBB2484_57:                            ;   in Loop: Header=BB2484_58 Depth=1
	s_or_b64 exec, exec, s[26:27]
	v_cmp_eq_u16_sdwa s[26:27], v7, v14 src0_sel:BYTE_0 src1_sel:DWORD
	ds_bpermute_b32 v79, v16, v6
	v_subrev_u32_e32 v4, 64, v4
	v_and_b32_e32 v10, s27, v9
	v_or_b32_e32 v10, 0x80000000, v10
	v_and_b32_e32 v11, s26, v8
	v_ffbl_b32_e32 v10, v10
	v_add_u32_e32 v10, 32, v10
	v_ffbl_b32_e32 v11, v11
	v_min_u32_e32 v10, v11, v10
	v_cmp_lt_u32_e32 vcc, v15, v10
	s_waitcnt lgkmcnt(0)
	s_nop 0
	v_cndmask_b32_e32 v11, 0, v79, vcc
	v_add_u32_e32 v6, v11, v6
	ds_bpermute_b32 v11, v17, v6
	v_cmp_le_u32_e32 vcc, v38, v10
	s_waitcnt lgkmcnt(0)
	s_nop 0
	v_cndmask_b32_e32 v11, 0, v11, vcc
	v_add_u32_e32 v6, v6, v11
	ds_bpermute_b32 v11, v39, v6
	v_cmp_le_u32_e32 vcc, v40, v10
	;; [unrolled: 6-line block ×5, first 2 shown]
	s_waitcnt lgkmcnt(0)
	s_nop 0
	v_cndmask_b32_e32 v10, 0, v11, vcc
	v_add3_u32 v6, v10, v3, v6
.LBB2484_58:                            ; =>This Loop Header: Depth=1
                                        ;     Child Loop BB2484_61 Depth 2
	v_cmp_ne_u16_sdwa s[26:27], v7, v14 src0_sel:BYTE_0 src1_sel:DWORD
	s_nop 1
	v_cndmask_b32_e64 v3, 0, 1, s[26:27]
	;;#ASMSTART
	;;#ASMEND
	s_nop 0
	v_cmp_ne_u32_e32 vcc, 0, v3
	s_cmp_lg_u64 vcc, exec
	v_mov_b32_e32 v3, v6
	s_cbranch_scc1 .LBB2484_63
; %bb.59:                               ;   in Loop: Header=BB2484_58 Depth=1
	v_lshl_add_u64 v[10:11], v[4:5], 3, s[36:37]
	global_load_dwordx2 v[6:7], v[10:11], off sc1
	s_waitcnt vmcnt(0)
	v_cmp_eq_u16_sdwa s[28:29], v7, v5 src0_sel:BYTE_0 src1_sel:DWORD
	s_and_saveexec_b64 s[26:27], s[28:29]
	s_cbranch_execz .LBB2484_57
; %bb.60:                               ;   in Loop: Header=BB2484_58 Depth=1
	s_mov_b64 s[28:29], 0
.LBB2484_61:                            ;   Parent Loop BB2484_58 Depth=1
                                        ; =>  This Inner Loop Header: Depth=2
	global_load_dwordx2 v[6:7], v[10:11], off sc1
	s_waitcnt vmcnt(0)
	v_cmp_ne_u16_sdwa s[40:41], v7, v5 src0_sel:BYTE_0 src1_sel:DWORD
	s_or_b64 s[28:29], s[40:41], s[28:29]
	s_andn2_b64 exec, exec, s[28:29]
	s_cbranch_execnz .LBB2484_61
; %bb.62:                               ;   in Loop: Header=BB2484_58 Depth=1
	s_or_b64 exec, exec, s[28:29]
	s_branch .LBB2484_57
.LBB2484_63:                            ;   in Loop: Header=BB2484_58 Depth=1
                                        ; implicit-def: $vgpr6
                                        ; implicit-def: $vgpr7
	s_cbranch_execz .LBB2484_58
; %bb.64:
	s_and_saveexec_b64 s[26:27], s[18:19]
	s_cbranch_execz .LBB2484_66
; %bb.65:
	s_add_i32 s28, s38, 64
	s_mov_b32 s29, 0
	s_lshl_b64 s[28:29], s[28:29], 3
	s_add_u32 s28, s36, s28
	v_add_u32_e32 v4, v3, v2
	v_mov_b32_e32 v5, 2
	s_addc_u32 s29, s37, s29
	v_mov_b32_e32 v6, 0
	global_store_dwordx2 v6, v[4:5], s[28:29] sc1
	ds_write_b64 v6, v[2:3] offset:30720
.LBB2484_66:
	s_or_b64 exec, exec, s[26:27]
	s_and_b64 exec, exec, s[20:21]
	s_cbranch_execz .LBB2484_68
; %bb.67:
	v_mov_b32_e32 v2, 0
	ds_write_b32 v2, v3 offset:28
.LBB2484_68:
	s_or_b64 exec, exec, s[0:1]
	v_mov_b32_e32 v14, 0
	s_waitcnt lgkmcnt(0)
	s_barrier
	ds_read_b32 v2, v14 offset:28
	v_cndmask_b32_e64 v3, v13, v12, s[18:19]
	v_cndmask_b32_e64 v3, v3, 0, s[20:21]
	s_waitcnt lgkmcnt(0)
	s_barrier
	v_add_u32_e32 v2, v2, v3
	v_add_u32_e32 v3, v2, v56
	;; [unrolled: 1-line block ×10, first 2 shown]
	ds_read_b64 v[38:39], v14 offset:30720
	v_add_u32_e32 v12, v11, v65
	v_add_u32_e32 v13, v12, v66
	;; [unrolled: 1-line block ×5, first 2 shown]
	s_waitcnt lgkmcnt(0)
	v_mov_b32_e32 v40, v39
	s_branch .LBB2484_79
.LBB2484_69:
                                        ; implicit-def: $vgpr40
                                        ; implicit-def: $vgpr38
                                        ; implicit-def: $vgpr2_vgpr3_vgpr4_vgpr5_vgpr6_vgpr7_vgpr8_vgpr9_vgpr10_vgpr11_vgpr12_vgpr13_vgpr14_vgpr15_vgpr16_vgpr17
	s_cbranch_execz .LBB2484_79
; %bb.70:
	s_nop 0
	v_mov_b32_dpp v2, v72 row_shr:1 row_mask:0xf bank_mask:0xf
	v_cndmask_b32_e64 v2, v2, 0, s[16:17]
	v_add_u32_e32 v2, v2, v72
	s_nop 1
	v_mov_b32_dpp v3, v2 row_shr:2 row_mask:0xf bank_mask:0xf
	v_cndmask_b32_e64 v3, 0, v3, s[14:15]
	v_add_u32_e32 v2, v2, v3
	;; [unrolled: 4-line block ×4, first 2 shown]
	s_nop 1
	v_mov_b32_dpp v3, v2 row_bcast:15 row_mask:0xf bank_mask:0xf
	v_cndmask_b32_e64 v3, v3, 0, s[8:9]
	v_add_u32_e32 v2, v2, v3
	s_nop 1
	v_mov_b32_dpp v3, v2 row_bcast:31 row_mask:0xf bank_mask:0xf
	v_cndmask_b32_e64 v3, 0, v3, s[4:5]
	v_add_u32_e32 v2, v2, v3
	s_and_saveexec_b64 s[0:1], s[6:7]
	s_cbranch_execz .LBB2484_72
; %bb.71:
	v_lshlrev_b32_e32 v3, 2, v71
	ds_write_b32 v3, v2
.LBB2484_72:
	s_or_b64 exec, exec, s[0:1]
	v_cmp_gt_u32_e32 vcc, 8, v0
	s_waitcnt lgkmcnt(0)
	s_barrier
	s_and_saveexec_b64 s[0:1], vcc
	s_cbranch_execz .LBB2484_74
; %bb.73:
	ds_read_b32 v3, v18
	v_and_b32_e32 v4, 7, v70
	v_cmp_ne_u32_e32 vcc, 0, v4
	s_waitcnt lgkmcnt(0)
	v_mov_b32_dpp v5, v3 row_shr:1 row_mask:0xf bank_mask:0xf
	v_cndmask_b32_e32 v5, 0, v5, vcc
	v_add_u32_e32 v3, v5, v3
	v_cmp_lt_u32_e32 vcc, 1, v4
	s_nop 0
	v_mov_b32_dpp v5, v3 row_shr:2 row_mask:0xf bank_mask:0xf
	v_cndmask_b32_e32 v5, 0, v5, vcc
	v_add_u32_e32 v3, v3, v5
	v_cmp_lt_u32_e32 vcc, 3, v4
	s_nop 0
	v_mov_b32_dpp v5, v3 row_shr:4 row_mask:0xf bank_mask:0xf
	v_cndmask_b32_e32 v4, 0, v5, vcc
	v_add_u32_e32 v3, v3, v4
	ds_write_b32 v18, v3
.LBB2484_74:
	s_or_b64 exec, exec, s[0:1]
	v_cmp_lt_u32_e32 vcc, 63, v0
	v_mov_b32_e32 v4, 0
	v_mov_b32_e32 v3, 0
	s_waitcnt lgkmcnt(0)
	s_barrier
	s_and_saveexec_b64 s[0:1], vcc
	s_cbranch_execz .LBB2484_76
; %bb.75:
	v_lshl_add_u32 v3, v71, 2, -4
	ds_read_b32 v3, v3
.LBB2484_76:
	s_or_b64 exec, exec, s[0:1]
	v_add_u32_e32 v5, -1, v70
	v_and_b32_e32 v6, 64, v70
	v_cmp_lt_i32_e32 vcc, v5, v6
	s_waitcnt lgkmcnt(0)
	v_add_u32_e32 v2, v3, v2
	ds_read_b32 v38, v4 offset:28
	v_cndmask_b32_e32 v5, v5, v70, vcc
	v_lshlrev_b32_e32 v5, 2, v5
	ds_bpermute_b32 v2, v5, v2
	s_and_saveexec_b64 s[0:1], s[20:21]
	s_cbranch_execz .LBB2484_78
; %bb.77:
	v_mov_b32_e32 v4, 0
	v_mov_b32_e32 v39, 2
	s_waitcnt lgkmcnt(1)
	global_store_dwordx2 v4, v[38:39], s[36:37] offset:512 sc1
.LBB2484_78:
	s_or_b64 exec, exec, s[0:1]
	v_cmp_eq_u32_e32 vcc, 0, v70
	v_mov_b32_e32 v40, 0
	s_waitcnt lgkmcnt(0)
	v_cndmask_b32_e32 v2, v2, v3, vcc
	v_cndmask_b32_e64 v2, v2, 0, s[20:21]
	v_add_u32_e32 v3, v2, v56
	v_add_u32_e32 v4, v3, v57
	;; [unrolled: 1-line block ×14, first 2 shown]
	s_barrier
.LBB2484_79:
	v_add_u32_e32 v17, v38, v42
	v_sub_u32_e32 v2, v2, v40
	v_and_b32_e32 v42, 1, v55
	v_sub_u32_e32 v39, v17, v2
	v_cmp_eq_u32_e32 vcc, 1, v42
	v_or_b32_e32 v42, 0x200, v0
	v_cmp_le_u32_e64 s[0:1], v38, v0
	v_cndmask_b32_e32 v2, v39, v2, vcc
	v_lshlrev_b32_e32 v2, 2, v2
	ds_write_b32 v2, v36
	v_sub_u32_e32 v2, v3, v40
	v_sub_u32_e32 v3, v17, v2
	v_and_b32_e32 v36, 1, v54
	v_add_u32_e32 v3, 1, v3
	v_cmp_eq_u32_e32 vcc, 1, v36
	v_or_b32_e32 v36, 0x600, v0
	s_nop 0
	v_cndmask_b32_e32 v2, v3, v2, vcc
	v_lshlrev_b32_e32 v2, 2, v2
	ds_write_b32 v2, v37
	v_sub_u32_e32 v2, v4, v40
	v_sub_u32_e32 v3, v17, v2
	v_and_b32_e32 v4, 1, v53
	v_add_u32_e32 v3, 2, v3
	v_cmp_eq_u32_e32 vcc, 1, v4
	v_and_b32_e32 v4, 1, v52
	v_or_b32_e32 v37, 0x400, v0
	v_cndmask_b32_e32 v2, v3, v2, vcc
	v_lshlrev_b32_e32 v2, 2, v2
	ds_write_b32 v2, v34
	v_sub_u32_e32 v2, v5, v40
	v_sub_u32_e32 v3, v17, v2
	v_add_u32_e32 v3, 3, v3
	v_cmp_eq_u32_e32 vcc, 1, v4
	v_and_b32_e32 v4, 1, v51
	v_mov_b32_e32 v5, s31
	v_cndmask_b32_e32 v2, v3, v2, vcc
	v_lshlrev_b32_e32 v2, 2, v2
	ds_write_b32 v2, v35
	v_sub_u32_e32 v2, v6, v40
	v_sub_u32_e32 v3, v17, v2
	v_add_u32_e32 v3, 4, v3
	v_cmp_eq_u32_e32 vcc, 1, v4
	v_and_b32_e32 v4, 1, v50
	v_or_b32_e32 v35, 0x800, v0
	v_cndmask_b32_e32 v2, v3, v2, vcc
	v_lshlrev_b32_e32 v2, 2, v2
	ds_write_b32 v2, v32
	v_sub_u32_e32 v2, v7, v40
	v_sub_u32_e32 v3, v17, v2
	v_add_u32_e32 v3, 5, v3
	v_cmp_eq_u32_e32 vcc, 1, v4
	v_and_b32_e32 v4, 1, v49
	v_or_b32_e32 v34, 0xa00, v0
	;; [unrolled: 9-line block ×8, first 2 shown]
	v_cndmask_b32_e32 v2, v3, v2, vcc
	v_lshlrev_b32_e32 v2, 2, v2
	ds_write_b32 v2, v27
	v_sub_u32_e32 v2, v14, v40
	v_sub_u32_e32 v3, v17, v2
	v_add_u32_e32 v3, 12, v3
	v_cmp_eq_u32_e32 vcc, 1, v4
	v_and_b32_e32 v4, 1, v41
	v_mov_b32_e32 v41, 0
	v_cndmask_b32_e32 v2, v3, v2, vcc
	v_lshlrev_b32_e32 v2, 2, v2
	ds_write_b32 v2, v24
	v_sub_u32_e32 v2, v15, v40
	v_sub_u32_e32 v3, v17, v2
	v_add_u32_e32 v3, 13, v3
	v_cmp_eq_u32_e32 vcc, 1, v4
	v_and_b32_e32 v4, 1, v19
	v_mov_b32_e32 v39, v41
	v_cndmask_b32_e32 v2, v3, v2, vcc
	v_lshlrev_b32_e32 v2, 2, v2
	ds_write_b32 v2, v25
	v_sub_u32_e32 v2, v16, v40
	v_sub_u32_e32 v3, v17, v2
	v_add_u32_e32 v3, 14, v3
	v_cmp_eq_u32_e32 vcc, 1, v4
	v_or_b32_e32 v27, 0x1800, v0
	v_or_b32_e32 v26, 0x1a00, v0
	v_cndmask_b32_e32 v2, v3, v2, vcc
	v_lshlrev_b32_e32 v2, 2, v2
	ds_write_b32 v2, v1
	s_waitcnt vmcnt(0)
	v_lshl_add_u64 v[2:3], v[20:21], 0, v[38:39]
	v_lshl_add_u64 v[2:3], v[2:3], 0, v[40:41]
	s_waitcnt lgkmcnt(0)
	s_barrier
	ds_read2st64_b32 v[24:25], v18 offset1:8
	ds_read2st64_b32 v[16:17], v18 offset0:16 offset1:24
	ds_read2st64_b32 v[14:15], v18 offset0:32 offset1:40
	;; [unrolled: 1-line block ×6, first 2 shown]
	ds_read_b32 v1, v18 offset:28672
	v_sub_co_u32_e32 v4, vcc, s30, v2
	v_or_b32_e32 v19, 0x1c00, v0
	s_nop 0
	v_subb_co_u32_e32 v5, vcc, v5, v3, vcc
	v_lshlrev_b64 v[4:5], 2, v[4:5]
	v_lshl_add_u64 v[4:5], s[34:35], 0, v[4:5]
	v_lshl_add_u64 v[4:5], v[4:5], 0, v[22:23]
	s_and_b64 vcc, exec, s[2:3]
	s_cbranch_vccnz .LBB2484_96
; %bb.80:
	s_and_saveexec_b64 s[2:3], s[0:1]
	s_cbranch_execnz .LBB2484_131
; %bb.81:
	s_or_b64 exec, exec, s[2:3]
	v_cmp_ge_u32_e32 vcc, v42, v38
	s_and_saveexec_b64 s[0:1], vcc
	s_cbranch_execnz .LBB2484_132
.LBB2484_82:
	s_or_b64 exec, exec, s[0:1]
	v_cmp_ge_u32_e32 vcc, v37, v38
	s_and_saveexec_b64 s[0:1], vcc
	s_cbranch_execnz .LBB2484_133
.LBB2484_83:
	s_or_b64 exec, exec, s[0:1]
	v_cmp_ge_u32_e32 vcc, v36, v38
	s_and_saveexec_b64 s[0:1], vcc
	s_cbranch_execnz .LBB2484_134
.LBB2484_84:
	s_or_b64 exec, exec, s[0:1]
	v_cmp_ge_u32_e32 vcc, v35, v38
	s_and_saveexec_b64 s[0:1], vcc
	s_cbranch_execnz .LBB2484_135
.LBB2484_85:
	s_or_b64 exec, exec, s[0:1]
	v_cmp_ge_u32_e32 vcc, v34, v38
	s_and_saveexec_b64 s[0:1], vcc
	s_cbranch_execnz .LBB2484_136
.LBB2484_86:
	s_or_b64 exec, exec, s[0:1]
	v_cmp_ge_u32_e32 vcc, v33, v38
	s_and_saveexec_b64 s[0:1], vcc
	s_cbranch_execnz .LBB2484_137
.LBB2484_87:
	s_or_b64 exec, exec, s[0:1]
	v_cmp_ge_u32_e32 vcc, v32, v38
	s_and_saveexec_b64 s[0:1], vcc
	s_cbranch_execnz .LBB2484_138
.LBB2484_88:
	s_or_b64 exec, exec, s[0:1]
	v_cmp_ge_u32_e32 vcc, v31, v38
	s_and_saveexec_b64 s[0:1], vcc
	s_cbranch_execnz .LBB2484_139
.LBB2484_89:
	s_or_b64 exec, exec, s[0:1]
	v_cmp_ge_u32_e32 vcc, v30, v38
	s_and_saveexec_b64 s[0:1], vcc
	s_cbranch_execnz .LBB2484_140
.LBB2484_90:
	s_or_b64 exec, exec, s[0:1]
	v_cmp_ge_u32_e32 vcc, v29, v38
	s_and_saveexec_b64 s[0:1], vcc
	s_cbranch_execnz .LBB2484_141
.LBB2484_91:
	s_or_b64 exec, exec, s[0:1]
	v_cmp_ge_u32_e32 vcc, v28, v38
	s_and_saveexec_b64 s[0:1], vcc
	s_cbranch_execnz .LBB2484_142
.LBB2484_92:
	s_or_b64 exec, exec, s[0:1]
	v_cmp_ge_u32_e32 vcc, v27, v38
	s_and_saveexec_b64 s[0:1], vcc
	s_cbranch_execnz .LBB2484_143
.LBB2484_93:
	s_or_b64 exec, exec, s[0:1]
	v_cmp_ge_u32_e32 vcc, v26, v38
	s_and_saveexec_b64 s[0:1], vcc
	s_cbranch_execz .LBB2484_95
.LBB2484_94:
	v_lshlrev_b32_e32 v20, 2, v26
	v_readfirstlane_b32 s2, v4
	v_readfirstlane_b32 s3, v5
	s_waitcnt lgkmcnt(1)
	s_nop 3
	global_store_dword v20, v7, s[2:3]
.LBB2484_95:
	s_or_b64 exec, exec, s[0:1]
	v_cmp_ge_u32_e64 s[0:1], v19, v38
	s_branch .LBB2484_126
.LBB2484_96:
	s_mov_b64 s[0:1], 0
	s_cbranch_execz .LBB2484_126
; %bb.97:
	v_cmp_gt_u32_e32 vcc, s33, v0
	v_cmp_le_u32_e64 s[0:1], v38, v0
	s_and_b64 s[2:3], vcc, s[0:1]
	s_and_saveexec_b64 s[0:1], s[2:3]
	s_cbranch_execz .LBB2484_99
; %bb.98:
	v_readfirstlane_b32 s2, v4
	v_readfirstlane_b32 s3, v5
	s_waitcnt lgkmcnt(7)
	s_nop 3
	global_store_dword v18, v24, s[2:3]
.LBB2484_99:
	s_or_b64 exec, exec, s[0:1]
	v_cmp_gt_u32_e32 vcc, s33, v42
	v_cmp_ge_u32_e64 s[0:1], v42, v38
	s_and_b64 s[2:3], vcc, s[0:1]
	s_and_saveexec_b64 s[0:1], s[2:3]
	s_cbranch_execz .LBB2484_101
; %bb.100:
	v_readfirstlane_b32 s2, v4
	v_readfirstlane_b32 s3, v5
	s_waitcnt lgkmcnt(7)
	s_nop 3
	global_store_dword v18, v25, s[2:3] offset:2048
.LBB2484_101:
	s_or_b64 exec, exec, s[0:1]
	v_cmp_gt_u32_e32 vcc, s33, v37
	v_cmp_ge_u32_e64 s[0:1], v37, v38
	s_and_b64 s[2:3], vcc, s[0:1]
	s_and_saveexec_b64 s[0:1], s[2:3]
	s_cbranch_execz .LBB2484_103
; %bb.102:
	v_lshlrev_b32_e32 v0, 2, v37
	v_readfirstlane_b32 s2, v4
	v_readfirstlane_b32 s3, v5
	s_waitcnt lgkmcnt(6)
	s_nop 3
	global_store_dword v0, v16, s[2:3]
.LBB2484_103:
	s_or_b64 exec, exec, s[0:1]
	v_cmp_gt_u32_e32 vcc, s33, v36
	v_cmp_ge_u32_e64 s[0:1], v36, v38
	s_and_b64 s[2:3], vcc, s[0:1]
	s_and_saveexec_b64 s[0:1], s[2:3]
	s_cbranch_execz .LBB2484_105
; %bb.104:
	v_lshlrev_b32_e32 v0, 2, v36
	v_readfirstlane_b32 s2, v4
	v_readfirstlane_b32 s3, v5
	s_waitcnt lgkmcnt(6)
	s_nop 3
	global_store_dword v0, v17, s[2:3]
.LBB2484_105:
	;; [unrolled: 14-line block ×12, first 2 shown]
	s_or_b64 exec, exec, s[0:1]
	v_cmp_gt_u32_e32 vcc, s33, v19
	v_cmp_ge_u32_e64 s[0:1], v19, v38
	s_and_b64 s[0:1], vcc, s[0:1]
.LBB2484_126:
	s_and_saveexec_b64 s[2:3], s[0:1]
	s_cbranch_execnz .LBB2484_129
; %bb.127:
	s_or_b64 exec, exec, s[2:3]
	s_and_b64 s[0:1], s[20:21], s[22:23]
	s_and_saveexec_b64 s[2:3], s[0:1]
	s_cbranch_execnz .LBB2484_130
.LBB2484_128:
	s_endpgm
.LBB2484_129:
	v_lshlrev_b32_e32 v0, 2, v19
	v_readfirstlane_b32 s0, v4
	v_readfirstlane_b32 s1, v5
	s_waitcnt lgkmcnt(0)
	s_nop 3
	global_store_dword v0, v1, s[0:1]
	s_or_b64 exec, exec, s[2:3]
	s_and_b64 s[0:1], s[20:21], s[22:23]
	s_and_saveexec_b64 s[2:3], s[0:1]
	s_cbranch_execz .LBB2484_128
.LBB2484_130:
	v_mov_b32_e32 v0, 0
	global_store_dwordx2 v0, v[2:3], s[24:25]
	s_endpgm
.LBB2484_131:
	v_readfirstlane_b32 s0, v4
	v_readfirstlane_b32 s1, v5
	s_waitcnt lgkmcnt(7)
	s_nop 3
	global_store_dword v18, v24, s[0:1]
	s_or_b64 exec, exec, s[2:3]
	v_cmp_ge_u32_e32 vcc, v42, v38
	s_and_saveexec_b64 s[0:1], vcc
	s_cbranch_execz .LBB2484_82
.LBB2484_132:
	v_readfirstlane_b32 s2, v4
	v_readfirstlane_b32 s3, v5
	s_waitcnt lgkmcnt(7)
	s_nop 3
	global_store_dword v18, v25, s[2:3] offset:2048
	s_or_b64 exec, exec, s[0:1]
	v_cmp_ge_u32_e32 vcc, v37, v38
	s_and_saveexec_b64 s[0:1], vcc
	s_cbranch_execz .LBB2484_83
.LBB2484_133:
	v_lshlrev_b32_e32 v20, 2, v37
	v_readfirstlane_b32 s2, v4
	v_readfirstlane_b32 s3, v5
	s_waitcnt lgkmcnt(6)
	s_nop 3
	global_store_dword v20, v16, s[2:3]
	s_or_b64 exec, exec, s[0:1]
	v_cmp_ge_u32_e32 vcc, v36, v38
	s_and_saveexec_b64 s[0:1], vcc
	s_cbranch_execz .LBB2484_84
.LBB2484_134:
	v_lshlrev_b32_e32 v20, 2, v36
	v_readfirstlane_b32 s2, v4
	v_readfirstlane_b32 s3, v5
	s_waitcnt lgkmcnt(6)
	s_nop 3
	global_store_dword v20, v17, s[2:3]
	s_or_b64 exec, exec, s[0:1]
	v_cmp_ge_u32_e32 vcc, v35, v38
	s_and_saveexec_b64 s[0:1], vcc
	s_cbranch_execz .LBB2484_85
.LBB2484_135:
	v_lshlrev_b32_e32 v20, 2, v35
	v_readfirstlane_b32 s2, v4
	v_readfirstlane_b32 s3, v5
	s_waitcnt lgkmcnt(5)
	s_nop 3
	global_store_dword v20, v14, s[2:3]
	s_or_b64 exec, exec, s[0:1]
	v_cmp_ge_u32_e32 vcc, v34, v38
	s_and_saveexec_b64 s[0:1], vcc
	s_cbranch_execz .LBB2484_86
.LBB2484_136:
	v_lshlrev_b32_e32 v20, 2, v34
	v_readfirstlane_b32 s2, v4
	v_readfirstlane_b32 s3, v5
	s_waitcnt lgkmcnt(5)
	s_nop 3
	global_store_dword v20, v15, s[2:3]
	s_or_b64 exec, exec, s[0:1]
	v_cmp_ge_u32_e32 vcc, v33, v38
	s_and_saveexec_b64 s[0:1], vcc
	s_cbranch_execz .LBB2484_87
.LBB2484_137:
	v_lshlrev_b32_e32 v20, 2, v33
	v_readfirstlane_b32 s2, v4
	v_readfirstlane_b32 s3, v5
	s_waitcnt lgkmcnt(4)
	s_nop 3
	global_store_dword v20, v12, s[2:3]
	s_or_b64 exec, exec, s[0:1]
	v_cmp_ge_u32_e32 vcc, v32, v38
	s_and_saveexec_b64 s[0:1], vcc
	s_cbranch_execz .LBB2484_88
.LBB2484_138:
	v_lshlrev_b32_e32 v20, 2, v32
	v_readfirstlane_b32 s2, v4
	v_readfirstlane_b32 s3, v5
	s_waitcnt lgkmcnt(4)
	s_nop 3
	global_store_dword v20, v13, s[2:3]
	s_or_b64 exec, exec, s[0:1]
	v_cmp_ge_u32_e32 vcc, v31, v38
	s_and_saveexec_b64 s[0:1], vcc
	s_cbranch_execz .LBB2484_89
.LBB2484_139:
	v_lshlrev_b32_e32 v20, 2, v31
	v_readfirstlane_b32 s2, v4
	v_readfirstlane_b32 s3, v5
	s_waitcnt lgkmcnt(3)
	s_nop 3
	global_store_dword v20, v10, s[2:3]
	s_or_b64 exec, exec, s[0:1]
	v_cmp_ge_u32_e32 vcc, v30, v38
	s_and_saveexec_b64 s[0:1], vcc
	s_cbranch_execz .LBB2484_90
.LBB2484_140:
	v_lshlrev_b32_e32 v20, 2, v30
	v_readfirstlane_b32 s2, v4
	v_readfirstlane_b32 s3, v5
	s_waitcnt lgkmcnt(3)
	s_nop 3
	global_store_dword v20, v11, s[2:3]
	s_or_b64 exec, exec, s[0:1]
	v_cmp_ge_u32_e32 vcc, v29, v38
	s_and_saveexec_b64 s[0:1], vcc
	s_cbranch_execz .LBB2484_91
.LBB2484_141:
	v_lshlrev_b32_e32 v20, 2, v29
	v_readfirstlane_b32 s2, v4
	v_readfirstlane_b32 s3, v5
	s_waitcnt lgkmcnt(2)
	s_nop 3
	global_store_dword v20, v8, s[2:3]
	s_or_b64 exec, exec, s[0:1]
	v_cmp_ge_u32_e32 vcc, v28, v38
	s_and_saveexec_b64 s[0:1], vcc
	s_cbranch_execz .LBB2484_92
.LBB2484_142:
	v_lshlrev_b32_e32 v20, 2, v28
	v_readfirstlane_b32 s2, v4
	v_readfirstlane_b32 s3, v5
	s_waitcnt lgkmcnt(2)
	s_nop 3
	global_store_dword v20, v9, s[2:3]
	s_or_b64 exec, exec, s[0:1]
	v_cmp_ge_u32_e32 vcc, v27, v38
	s_and_saveexec_b64 s[0:1], vcc
	s_cbranch_execz .LBB2484_93
.LBB2484_143:
	v_lshlrev_b32_e32 v20, 2, v27
	v_readfirstlane_b32 s2, v4
	v_readfirstlane_b32 s3, v5
	s_waitcnt lgkmcnt(1)
	s_nop 3
	global_store_dword v20, v6, s[2:3]
	s_or_b64 exec, exec, s[0:1]
	v_cmp_ge_u32_e32 vcc, v26, v38
	s_and_saveexec_b64 s[0:1], vcc
	s_cbranch_execnz .LBB2484_94
	s_branch .LBB2484_95
	.section	.rodata,"a",@progbits
	.p2align	6, 0x0
	.amdhsa_kernel _ZN7rocprim17ROCPRIM_400000_NS6detail17trampoline_kernelINS0_14default_configENS1_25partition_config_selectorILNS1_17partition_subalgoE0EjNS0_10empty_typeEbEEZZNS1_14partition_implILS5_0ELb0ES3_jN6thrust23THRUST_200600_302600_NS6detail15normal_iteratorINSA_10device_ptrIjEEEEPS6_SG_NS0_5tupleIJNSA_16discard_iteratorINSA_11use_defaultEEESF_EEENSH_IJSG_SG_EEES6_PlJ7is_evenIjEEEE10hipError_tPvRmT3_T4_T5_T6_T7_T9_mT8_P12ihipStream_tbDpT10_ENKUlT_T0_E_clISt17integral_constantIbLb0EES18_IbLb1EEEEDaS14_S15_EUlS14_E_NS1_11comp_targetILNS1_3genE5ELNS1_11target_archE942ELNS1_3gpuE9ELNS1_3repE0EEENS1_30default_config_static_selectorELNS0_4arch9wavefront6targetE1EEEvT1_
		.amdhsa_group_segment_fixed_size 30728
		.amdhsa_private_segment_fixed_size 0
		.amdhsa_kernarg_size 144
		.amdhsa_user_sgpr_count 2
		.amdhsa_user_sgpr_dispatch_ptr 0
		.amdhsa_user_sgpr_queue_ptr 0
		.amdhsa_user_sgpr_kernarg_segment_ptr 1
		.amdhsa_user_sgpr_dispatch_id 0
		.amdhsa_user_sgpr_kernarg_preload_length 0
		.amdhsa_user_sgpr_kernarg_preload_offset 0
		.amdhsa_user_sgpr_private_segment_size 0
		.amdhsa_uses_dynamic_stack 0
		.amdhsa_enable_private_segment 0
		.amdhsa_system_sgpr_workgroup_id_x 1
		.amdhsa_system_sgpr_workgroup_id_y 0
		.amdhsa_system_sgpr_workgroup_id_z 0
		.amdhsa_system_sgpr_workgroup_info 0
		.amdhsa_system_vgpr_workitem_id 0
		.amdhsa_next_free_vgpr 80
		.amdhsa_next_free_sgpr 42
		.amdhsa_accum_offset 80
		.amdhsa_reserve_vcc 1
		.amdhsa_float_round_mode_32 0
		.amdhsa_float_round_mode_16_64 0
		.amdhsa_float_denorm_mode_32 3
		.amdhsa_float_denorm_mode_16_64 3
		.amdhsa_dx10_clamp 1
		.amdhsa_ieee_mode 1
		.amdhsa_fp16_overflow 0
		.amdhsa_tg_split 0
		.amdhsa_exception_fp_ieee_invalid_op 0
		.amdhsa_exception_fp_denorm_src 0
		.amdhsa_exception_fp_ieee_div_zero 0
		.amdhsa_exception_fp_ieee_overflow 0
		.amdhsa_exception_fp_ieee_underflow 0
		.amdhsa_exception_fp_ieee_inexact 0
		.amdhsa_exception_int_div_zero 0
	.end_amdhsa_kernel
	.section	.text._ZN7rocprim17ROCPRIM_400000_NS6detail17trampoline_kernelINS0_14default_configENS1_25partition_config_selectorILNS1_17partition_subalgoE0EjNS0_10empty_typeEbEEZZNS1_14partition_implILS5_0ELb0ES3_jN6thrust23THRUST_200600_302600_NS6detail15normal_iteratorINSA_10device_ptrIjEEEEPS6_SG_NS0_5tupleIJNSA_16discard_iteratorINSA_11use_defaultEEESF_EEENSH_IJSG_SG_EEES6_PlJ7is_evenIjEEEE10hipError_tPvRmT3_T4_T5_T6_T7_T9_mT8_P12ihipStream_tbDpT10_ENKUlT_T0_E_clISt17integral_constantIbLb0EES18_IbLb1EEEEDaS14_S15_EUlS14_E_NS1_11comp_targetILNS1_3genE5ELNS1_11target_archE942ELNS1_3gpuE9ELNS1_3repE0EEENS1_30default_config_static_selectorELNS0_4arch9wavefront6targetE1EEEvT1_,"axG",@progbits,_ZN7rocprim17ROCPRIM_400000_NS6detail17trampoline_kernelINS0_14default_configENS1_25partition_config_selectorILNS1_17partition_subalgoE0EjNS0_10empty_typeEbEEZZNS1_14partition_implILS5_0ELb0ES3_jN6thrust23THRUST_200600_302600_NS6detail15normal_iteratorINSA_10device_ptrIjEEEEPS6_SG_NS0_5tupleIJNSA_16discard_iteratorINSA_11use_defaultEEESF_EEENSH_IJSG_SG_EEES6_PlJ7is_evenIjEEEE10hipError_tPvRmT3_T4_T5_T6_T7_T9_mT8_P12ihipStream_tbDpT10_ENKUlT_T0_E_clISt17integral_constantIbLb0EES18_IbLb1EEEEDaS14_S15_EUlS14_E_NS1_11comp_targetILNS1_3genE5ELNS1_11target_archE942ELNS1_3gpuE9ELNS1_3repE0EEENS1_30default_config_static_selectorELNS0_4arch9wavefront6targetE1EEEvT1_,comdat
.Lfunc_end2484:
	.size	_ZN7rocprim17ROCPRIM_400000_NS6detail17trampoline_kernelINS0_14default_configENS1_25partition_config_selectorILNS1_17partition_subalgoE0EjNS0_10empty_typeEbEEZZNS1_14partition_implILS5_0ELb0ES3_jN6thrust23THRUST_200600_302600_NS6detail15normal_iteratorINSA_10device_ptrIjEEEEPS6_SG_NS0_5tupleIJNSA_16discard_iteratorINSA_11use_defaultEEESF_EEENSH_IJSG_SG_EEES6_PlJ7is_evenIjEEEE10hipError_tPvRmT3_T4_T5_T6_T7_T9_mT8_P12ihipStream_tbDpT10_ENKUlT_T0_E_clISt17integral_constantIbLb0EES18_IbLb1EEEEDaS14_S15_EUlS14_E_NS1_11comp_targetILNS1_3genE5ELNS1_11target_archE942ELNS1_3gpuE9ELNS1_3repE0EEENS1_30default_config_static_selectorELNS0_4arch9wavefront6targetE1EEEvT1_, .Lfunc_end2484-_ZN7rocprim17ROCPRIM_400000_NS6detail17trampoline_kernelINS0_14default_configENS1_25partition_config_selectorILNS1_17partition_subalgoE0EjNS0_10empty_typeEbEEZZNS1_14partition_implILS5_0ELb0ES3_jN6thrust23THRUST_200600_302600_NS6detail15normal_iteratorINSA_10device_ptrIjEEEEPS6_SG_NS0_5tupleIJNSA_16discard_iteratorINSA_11use_defaultEEESF_EEENSH_IJSG_SG_EEES6_PlJ7is_evenIjEEEE10hipError_tPvRmT3_T4_T5_T6_T7_T9_mT8_P12ihipStream_tbDpT10_ENKUlT_T0_E_clISt17integral_constantIbLb0EES18_IbLb1EEEEDaS14_S15_EUlS14_E_NS1_11comp_targetILNS1_3genE5ELNS1_11target_archE942ELNS1_3gpuE9ELNS1_3repE0EEENS1_30default_config_static_selectorELNS0_4arch9wavefront6targetE1EEEvT1_
                                        ; -- End function
	.section	.AMDGPU.csdata,"",@progbits
; Kernel info:
; codeLenInByte = 6796
; NumSgprs: 48
; NumVgprs: 80
; NumAgprs: 0
; TotalNumVgprs: 80
; ScratchSize: 0
; MemoryBound: 0
; FloatMode: 240
; IeeeMode: 1
; LDSByteSize: 30728 bytes/workgroup (compile time only)
; SGPRBlocks: 5
; VGPRBlocks: 9
; NumSGPRsForWavesPerEU: 48
; NumVGPRsForWavesPerEU: 80
; AccumOffset: 80
; Occupancy: 4
; WaveLimiterHint : 1
; COMPUTE_PGM_RSRC2:SCRATCH_EN: 0
; COMPUTE_PGM_RSRC2:USER_SGPR: 2
; COMPUTE_PGM_RSRC2:TRAP_HANDLER: 0
; COMPUTE_PGM_RSRC2:TGID_X_EN: 1
; COMPUTE_PGM_RSRC2:TGID_Y_EN: 0
; COMPUTE_PGM_RSRC2:TGID_Z_EN: 0
; COMPUTE_PGM_RSRC2:TIDIG_COMP_CNT: 0
; COMPUTE_PGM_RSRC3_GFX90A:ACCUM_OFFSET: 19
; COMPUTE_PGM_RSRC3_GFX90A:TG_SPLIT: 0
	.section	.text._ZN7rocprim17ROCPRIM_400000_NS6detail17trampoline_kernelINS0_14default_configENS1_25partition_config_selectorILNS1_17partition_subalgoE0EjNS0_10empty_typeEbEEZZNS1_14partition_implILS5_0ELb0ES3_jN6thrust23THRUST_200600_302600_NS6detail15normal_iteratorINSA_10device_ptrIjEEEEPS6_SG_NS0_5tupleIJNSA_16discard_iteratorINSA_11use_defaultEEESF_EEENSH_IJSG_SG_EEES6_PlJ7is_evenIjEEEE10hipError_tPvRmT3_T4_T5_T6_T7_T9_mT8_P12ihipStream_tbDpT10_ENKUlT_T0_E_clISt17integral_constantIbLb0EES18_IbLb1EEEEDaS14_S15_EUlS14_E_NS1_11comp_targetILNS1_3genE4ELNS1_11target_archE910ELNS1_3gpuE8ELNS1_3repE0EEENS1_30default_config_static_selectorELNS0_4arch9wavefront6targetE1EEEvT1_,"axG",@progbits,_ZN7rocprim17ROCPRIM_400000_NS6detail17trampoline_kernelINS0_14default_configENS1_25partition_config_selectorILNS1_17partition_subalgoE0EjNS0_10empty_typeEbEEZZNS1_14partition_implILS5_0ELb0ES3_jN6thrust23THRUST_200600_302600_NS6detail15normal_iteratorINSA_10device_ptrIjEEEEPS6_SG_NS0_5tupleIJNSA_16discard_iteratorINSA_11use_defaultEEESF_EEENSH_IJSG_SG_EEES6_PlJ7is_evenIjEEEE10hipError_tPvRmT3_T4_T5_T6_T7_T9_mT8_P12ihipStream_tbDpT10_ENKUlT_T0_E_clISt17integral_constantIbLb0EES18_IbLb1EEEEDaS14_S15_EUlS14_E_NS1_11comp_targetILNS1_3genE4ELNS1_11target_archE910ELNS1_3gpuE8ELNS1_3repE0EEENS1_30default_config_static_selectorELNS0_4arch9wavefront6targetE1EEEvT1_,comdat
	.protected	_ZN7rocprim17ROCPRIM_400000_NS6detail17trampoline_kernelINS0_14default_configENS1_25partition_config_selectorILNS1_17partition_subalgoE0EjNS0_10empty_typeEbEEZZNS1_14partition_implILS5_0ELb0ES3_jN6thrust23THRUST_200600_302600_NS6detail15normal_iteratorINSA_10device_ptrIjEEEEPS6_SG_NS0_5tupleIJNSA_16discard_iteratorINSA_11use_defaultEEESF_EEENSH_IJSG_SG_EEES6_PlJ7is_evenIjEEEE10hipError_tPvRmT3_T4_T5_T6_T7_T9_mT8_P12ihipStream_tbDpT10_ENKUlT_T0_E_clISt17integral_constantIbLb0EES18_IbLb1EEEEDaS14_S15_EUlS14_E_NS1_11comp_targetILNS1_3genE4ELNS1_11target_archE910ELNS1_3gpuE8ELNS1_3repE0EEENS1_30default_config_static_selectorELNS0_4arch9wavefront6targetE1EEEvT1_ ; -- Begin function _ZN7rocprim17ROCPRIM_400000_NS6detail17trampoline_kernelINS0_14default_configENS1_25partition_config_selectorILNS1_17partition_subalgoE0EjNS0_10empty_typeEbEEZZNS1_14partition_implILS5_0ELb0ES3_jN6thrust23THRUST_200600_302600_NS6detail15normal_iteratorINSA_10device_ptrIjEEEEPS6_SG_NS0_5tupleIJNSA_16discard_iteratorINSA_11use_defaultEEESF_EEENSH_IJSG_SG_EEES6_PlJ7is_evenIjEEEE10hipError_tPvRmT3_T4_T5_T6_T7_T9_mT8_P12ihipStream_tbDpT10_ENKUlT_T0_E_clISt17integral_constantIbLb0EES18_IbLb1EEEEDaS14_S15_EUlS14_E_NS1_11comp_targetILNS1_3genE4ELNS1_11target_archE910ELNS1_3gpuE8ELNS1_3repE0EEENS1_30default_config_static_selectorELNS0_4arch9wavefront6targetE1EEEvT1_
	.globl	_ZN7rocprim17ROCPRIM_400000_NS6detail17trampoline_kernelINS0_14default_configENS1_25partition_config_selectorILNS1_17partition_subalgoE0EjNS0_10empty_typeEbEEZZNS1_14partition_implILS5_0ELb0ES3_jN6thrust23THRUST_200600_302600_NS6detail15normal_iteratorINSA_10device_ptrIjEEEEPS6_SG_NS0_5tupleIJNSA_16discard_iteratorINSA_11use_defaultEEESF_EEENSH_IJSG_SG_EEES6_PlJ7is_evenIjEEEE10hipError_tPvRmT3_T4_T5_T6_T7_T9_mT8_P12ihipStream_tbDpT10_ENKUlT_T0_E_clISt17integral_constantIbLb0EES18_IbLb1EEEEDaS14_S15_EUlS14_E_NS1_11comp_targetILNS1_3genE4ELNS1_11target_archE910ELNS1_3gpuE8ELNS1_3repE0EEENS1_30default_config_static_selectorELNS0_4arch9wavefront6targetE1EEEvT1_
	.p2align	8
	.type	_ZN7rocprim17ROCPRIM_400000_NS6detail17trampoline_kernelINS0_14default_configENS1_25partition_config_selectorILNS1_17partition_subalgoE0EjNS0_10empty_typeEbEEZZNS1_14partition_implILS5_0ELb0ES3_jN6thrust23THRUST_200600_302600_NS6detail15normal_iteratorINSA_10device_ptrIjEEEEPS6_SG_NS0_5tupleIJNSA_16discard_iteratorINSA_11use_defaultEEESF_EEENSH_IJSG_SG_EEES6_PlJ7is_evenIjEEEE10hipError_tPvRmT3_T4_T5_T6_T7_T9_mT8_P12ihipStream_tbDpT10_ENKUlT_T0_E_clISt17integral_constantIbLb0EES18_IbLb1EEEEDaS14_S15_EUlS14_E_NS1_11comp_targetILNS1_3genE4ELNS1_11target_archE910ELNS1_3gpuE8ELNS1_3repE0EEENS1_30default_config_static_selectorELNS0_4arch9wavefront6targetE1EEEvT1_,@function
_ZN7rocprim17ROCPRIM_400000_NS6detail17trampoline_kernelINS0_14default_configENS1_25partition_config_selectorILNS1_17partition_subalgoE0EjNS0_10empty_typeEbEEZZNS1_14partition_implILS5_0ELb0ES3_jN6thrust23THRUST_200600_302600_NS6detail15normal_iteratorINSA_10device_ptrIjEEEEPS6_SG_NS0_5tupleIJNSA_16discard_iteratorINSA_11use_defaultEEESF_EEENSH_IJSG_SG_EEES6_PlJ7is_evenIjEEEE10hipError_tPvRmT3_T4_T5_T6_T7_T9_mT8_P12ihipStream_tbDpT10_ENKUlT_T0_E_clISt17integral_constantIbLb0EES18_IbLb1EEEEDaS14_S15_EUlS14_E_NS1_11comp_targetILNS1_3genE4ELNS1_11target_archE910ELNS1_3gpuE8ELNS1_3repE0EEENS1_30default_config_static_selectorELNS0_4arch9wavefront6targetE1EEEvT1_: ; @_ZN7rocprim17ROCPRIM_400000_NS6detail17trampoline_kernelINS0_14default_configENS1_25partition_config_selectorILNS1_17partition_subalgoE0EjNS0_10empty_typeEbEEZZNS1_14partition_implILS5_0ELb0ES3_jN6thrust23THRUST_200600_302600_NS6detail15normal_iteratorINSA_10device_ptrIjEEEEPS6_SG_NS0_5tupleIJNSA_16discard_iteratorINSA_11use_defaultEEESF_EEENSH_IJSG_SG_EEES6_PlJ7is_evenIjEEEE10hipError_tPvRmT3_T4_T5_T6_T7_T9_mT8_P12ihipStream_tbDpT10_ENKUlT_T0_E_clISt17integral_constantIbLb0EES18_IbLb1EEEEDaS14_S15_EUlS14_E_NS1_11comp_targetILNS1_3genE4ELNS1_11target_archE910ELNS1_3gpuE8ELNS1_3repE0EEENS1_30default_config_static_selectorELNS0_4arch9wavefront6targetE1EEEvT1_
; %bb.0:
	.section	.rodata,"a",@progbits
	.p2align	6, 0x0
	.amdhsa_kernel _ZN7rocprim17ROCPRIM_400000_NS6detail17trampoline_kernelINS0_14default_configENS1_25partition_config_selectorILNS1_17partition_subalgoE0EjNS0_10empty_typeEbEEZZNS1_14partition_implILS5_0ELb0ES3_jN6thrust23THRUST_200600_302600_NS6detail15normal_iteratorINSA_10device_ptrIjEEEEPS6_SG_NS0_5tupleIJNSA_16discard_iteratorINSA_11use_defaultEEESF_EEENSH_IJSG_SG_EEES6_PlJ7is_evenIjEEEE10hipError_tPvRmT3_T4_T5_T6_T7_T9_mT8_P12ihipStream_tbDpT10_ENKUlT_T0_E_clISt17integral_constantIbLb0EES18_IbLb1EEEEDaS14_S15_EUlS14_E_NS1_11comp_targetILNS1_3genE4ELNS1_11target_archE910ELNS1_3gpuE8ELNS1_3repE0EEENS1_30default_config_static_selectorELNS0_4arch9wavefront6targetE1EEEvT1_
		.amdhsa_group_segment_fixed_size 0
		.amdhsa_private_segment_fixed_size 0
		.amdhsa_kernarg_size 144
		.amdhsa_user_sgpr_count 2
		.amdhsa_user_sgpr_dispatch_ptr 0
		.amdhsa_user_sgpr_queue_ptr 0
		.amdhsa_user_sgpr_kernarg_segment_ptr 1
		.amdhsa_user_sgpr_dispatch_id 0
		.amdhsa_user_sgpr_kernarg_preload_length 0
		.amdhsa_user_sgpr_kernarg_preload_offset 0
		.amdhsa_user_sgpr_private_segment_size 0
		.amdhsa_uses_dynamic_stack 0
		.amdhsa_enable_private_segment 0
		.amdhsa_system_sgpr_workgroup_id_x 1
		.amdhsa_system_sgpr_workgroup_id_y 0
		.amdhsa_system_sgpr_workgroup_id_z 0
		.amdhsa_system_sgpr_workgroup_info 0
		.amdhsa_system_vgpr_workitem_id 0
		.amdhsa_next_free_vgpr 1
		.amdhsa_next_free_sgpr 0
		.amdhsa_accum_offset 4
		.amdhsa_reserve_vcc 0
		.amdhsa_float_round_mode_32 0
		.amdhsa_float_round_mode_16_64 0
		.amdhsa_float_denorm_mode_32 3
		.amdhsa_float_denorm_mode_16_64 3
		.amdhsa_dx10_clamp 1
		.amdhsa_ieee_mode 1
		.amdhsa_fp16_overflow 0
		.amdhsa_tg_split 0
		.amdhsa_exception_fp_ieee_invalid_op 0
		.amdhsa_exception_fp_denorm_src 0
		.amdhsa_exception_fp_ieee_div_zero 0
		.amdhsa_exception_fp_ieee_overflow 0
		.amdhsa_exception_fp_ieee_underflow 0
		.amdhsa_exception_fp_ieee_inexact 0
		.amdhsa_exception_int_div_zero 0
	.end_amdhsa_kernel
	.section	.text._ZN7rocprim17ROCPRIM_400000_NS6detail17trampoline_kernelINS0_14default_configENS1_25partition_config_selectorILNS1_17partition_subalgoE0EjNS0_10empty_typeEbEEZZNS1_14partition_implILS5_0ELb0ES3_jN6thrust23THRUST_200600_302600_NS6detail15normal_iteratorINSA_10device_ptrIjEEEEPS6_SG_NS0_5tupleIJNSA_16discard_iteratorINSA_11use_defaultEEESF_EEENSH_IJSG_SG_EEES6_PlJ7is_evenIjEEEE10hipError_tPvRmT3_T4_T5_T6_T7_T9_mT8_P12ihipStream_tbDpT10_ENKUlT_T0_E_clISt17integral_constantIbLb0EES18_IbLb1EEEEDaS14_S15_EUlS14_E_NS1_11comp_targetILNS1_3genE4ELNS1_11target_archE910ELNS1_3gpuE8ELNS1_3repE0EEENS1_30default_config_static_selectorELNS0_4arch9wavefront6targetE1EEEvT1_,"axG",@progbits,_ZN7rocprim17ROCPRIM_400000_NS6detail17trampoline_kernelINS0_14default_configENS1_25partition_config_selectorILNS1_17partition_subalgoE0EjNS0_10empty_typeEbEEZZNS1_14partition_implILS5_0ELb0ES3_jN6thrust23THRUST_200600_302600_NS6detail15normal_iteratorINSA_10device_ptrIjEEEEPS6_SG_NS0_5tupleIJNSA_16discard_iteratorINSA_11use_defaultEEESF_EEENSH_IJSG_SG_EEES6_PlJ7is_evenIjEEEE10hipError_tPvRmT3_T4_T5_T6_T7_T9_mT8_P12ihipStream_tbDpT10_ENKUlT_T0_E_clISt17integral_constantIbLb0EES18_IbLb1EEEEDaS14_S15_EUlS14_E_NS1_11comp_targetILNS1_3genE4ELNS1_11target_archE910ELNS1_3gpuE8ELNS1_3repE0EEENS1_30default_config_static_selectorELNS0_4arch9wavefront6targetE1EEEvT1_,comdat
.Lfunc_end2485:
	.size	_ZN7rocprim17ROCPRIM_400000_NS6detail17trampoline_kernelINS0_14default_configENS1_25partition_config_selectorILNS1_17partition_subalgoE0EjNS0_10empty_typeEbEEZZNS1_14partition_implILS5_0ELb0ES3_jN6thrust23THRUST_200600_302600_NS6detail15normal_iteratorINSA_10device_ptrIjEEEEPS6_SG_NS0_5tupleIJNSA_16discard_iteratorINSA_11use_defaultEEESF_EEENSH_IJSG_SG_EEES6_PlJ7is_evenIjEEEE10hipError_tPvRmT3_T4_T5_T6_T7_T9_mT8_P12ihipStream_tbDpT10_ENKUlT_T0_E_clISt17integral_constantIbLb0EES18_IbLb1EEEEDaS14_S15_EUlS14_E_NS1_11comp_targetILNS1_3genE4ELNS1_11target_archE910ELNS1_3gpuE8ELNS1_3repE0EEENS1_30default_config_static_selectorELNS0_4arch9wavefront6targetE1EEEvT1_, .Lfunc_end2485-_ZN7rocprim17ROCPRIM_400000_NS6detail17trampoline_kernelINS0_14default_configENS1_25partition_config_selectorILNS1_17partition_subalgoE0EjNS0_10empty_typeEbEEZZNS1_14partition_implILS5_0ELb0ES3_jN6thrust23THRUST_200600_302600_NS6detail15normal_iteratorINSA_10device_ptrIjEEEEPS6_SG_NS0_5tupleIJNSA_16discard_iteratorINSA_11use_defaultEEESF_EEENSH_IJSG_SG_EEES6_PlJ7is_evenIjEEEE10hipError_tPvRmT3_T4_T5_T6_T7_T9_mT8_P12ihipStream_tbDpT10_ENKUlT_T0_E_clISt17integral_constantIbLb0EES18_IbLb1EEEEDaS14_S15_EUlS14_E_NS1_11comp_targetILNS1_3genE4ELNS1_11target_archE910ELNS1_3gpuE8ELNS1_3repE0EEENS1_30default_config_static_selectorELNS0_4arch9wavefront6targetE1EEEvT1_
                                        ; -- End function
	.section	.AMDGPU.csdata,"",@progbits
; Kernel info:
; codeLenInByte = 0
; NumSgprs: 6
; NumVgprs: 0
; NumAgprs: 0
; TotalNumVgprs: 0
; ScratchSize: 0
; MemoryBound: 0
; FloatMode: 240
; IeeeMode: 1
; LDSByteSize: 0 bytes/workgroup (compile time only)
; SGPRBlocks: 0
; VGPRBlocks: 0
; NumSGPRsForWavesPerEU: 6
; NumVGPRsForWavesPerEU: 1
; AccumOffset: 4
; Occupancy: 8
; WaveLimiterHint : 0
; COMPUTE_PGM_RSRC2:SCRATCH_EN: 0
; COMPUTE_PGM_RSRC2:USER_SGPR: 2
; COMPUTE_PGM_RSRC2:TRAP_HANDLER: 0
; COMPUTE_PGM_RSRC2:TGID_X_EN: 1
; COMPUTE_PGM_RSRC2:TGID_Y_EN: 0
; COMPUTE_PGM_RSRC2:TGID_Z_EN: 0
; COMPUTE_PGM_RSRC2:TIDIG_COMP_CNT: 0
; COMPUTE_PGM_RSRC3_GFX90A:ACCUM_OFFSET: 0
; COMPUTE_PGM_RSRC3_GFX90A:TG_SPLIT: 0
	.section	.text._ZN7rocprim17ROCPRIM_400000_NS6detail17trampoline_kernelINS0_14default_configENS1_25partition_config_selectorILNS1_17partition_subalgoE0EjNS0_10empty_typeEbEEZZNS1_14partition_implILS5_0ELb0ES3_jN6thrust23THRUST_200600_302600_NS6detail15normal_iteratorINSA_10device_ptrIjEEEEPS6_SG_NS0_5tupleIJNSA_16discard_iteratorINSA_11use_defaultEEESF_EEENSH_IJSG_SG_EEES6_PlJ7is_evenIjEEEE10hipError_tPvRmT3_T4_T5_T6_T7_T9_mT8_P12ihipStream_tbDpT10_ENKUlT_T0_E_clISt17integral_constantIbLb0EES18_IbLb1EEEEDaS14_S15_EUlS14_E_NS1_11comp_targetILNS1_3genE3ELNS1_11target_archE908ELNS1_3gpuE7ELNS1_3repE0EEENS1_30default_config_static_selectorELNS0_4arch9wavefront6targetE1EEEvT1_,"axG",@progbits,_ZN7rocprim17ROCPRIM_400000_NS6detail17trampoline_kernelINS0_14default_configENS1_25partition_config_selectorILNS1_17partition_subalgoE0EjNS0_10empty_typeEbEEZZNS1_14partition_implILS5_0ELb0ES3_jN6thrust23THRUST_200600_302600_NS6detail15normal_iteratorINSA_10device_ptrIjEEEEPS6_SG_NS0_5tupleIJNSA_16discard_iteratorINSA_11use_defaultEEESF_EEENSH_IJSG_SG_EEES6_PlJ7is_evenIjEEEE10hipError_tPvRmT3_T4_T5_T6_T7_T9_mT8_P12ihipStream_tbDpT10_ENKUlT_T0_E_clISt17integral_constantIbLb0EES18_IbLb1EEEEDaS14_S15_EUlS14_E_NS1_11comp_targetILNS1_3genE3ELNS1_11target_archE908ELNS1_3gpuE7ELNS1_3repE0EEENS1_30default_config_static_selectorELNS0_4arch9wavefront6targetE1EEEvT1_,comdat
	.protected	_ZN7rocprim17ROCPRIM_400000_NS6detail17trampoline_kernelINS0_14default_configENS1_25partition_config_selectorILNS1_17partition_subalgoE0EjNS0_10empty_typeEbEEZZNS1_14partition_implILS5_0ELb0ES3_jN6thrust23THRUST_200600_302600_NS6detail15normal_iteratorINSA_10device_ptrIjEEEEPS6_SG_NS0_5tupleIJNSA_16discard_iteratorINSA_11use_defaultEEESF_EEENSH_IJSG_SG_EEES6_PlJ7is_evenIjEEEE10hipError_tPvRmT3_T4_T5_T6_T7_T9_mT8_P12ihipStream_tbDpT10_ENKUlT_T0_E_clISt17integral_constantIbLb0EES18_IbLb1EEEEDaS14_S15_EUlS14_E_NS1_11comp_targetILNS1_3genE3ELNS1_11target_archE908ELNS1_3gpuE7ELNS1_3repE0EEENS1_30default_config_static_selectorELNS0_4arch9wavefront6targetE1EEEvT1_ ; -- Begin function _ZN7rocprim17ROCPRIM_400000_NS6detail17trampoline_kernelINS0_14default_configENS1_25partition_config_selectorILNS1_17partition_subalgoE0EjNS0_10empty_typeEbEEZZNS1_14partition_implILS5_0ELb0ES3_jN6thrust23THRUST_200600_302600_NS6detail15normal_iteratorINSA_10device_ptrIjEEEEPS6_SG_NS0_5tupleIJNSA_16discard_iteratorINSA_11use_defaultEEESF_EEENSH_IJSG_SG_EEES6_PlJ7is_evenIjEEEE10hipError_tPvRmT3_T4_T5_T6_T7_T9_mT8_P12ihipStream_tbDpT10_ENKUlT_T0_E_clISt17integral_constantIbLb0EES18_IbLb1EEEEDaS14_S15_EUlS14_E_NS1_11comp_targetILNS1_3genE3ELNS1_11target_archE908ELNS1_3gpuE7ELNS1_3repE0EEENS1_30default_config_static_selectorELNS0_4arch9wavefront6targetE1EEEvT1_
	.globl	_ZN7rocprim17ROCPRIM_400000_NS6detail17trampoline_kernelINS0_14default_configENS1_25partition_config_selectorILNS1_17partition_subalgoE0EjNS0_10empty_typeEbEEZZNS1_14partition_implILS5_0ELb0ES3_jN6thrust23THRUST_200600_302600_NS6detail15normal_iteratorINSA_10device_ptrIjEEEEPS6_SG_NS0_5tupleIJNSA_16discard_iteratorINSA_11use_defaultEEESF_EEENSH_IJSG_SG_EEES6_PlJ7is_evenIjEEEE10hipError_tPvRmT3_T4_T5_T6_T7_T9_mT8_P12ihipStream_tbDpT10_ENKUlT_T0_E_clISt17integral_constantIbLb0EES18_IbLb1EEEEDaS14_S15_EUlS14_E_NS1_11comp_targetILNS1_3genE3ELNS1_11target_archE908ELNS1_3gpuE7ELNS1_3repE0EEENS1_30default_config_static_selectorELNS0_4arch9wavefront6targetE1EEEvT1_
	.p2align	8
	.type	_ZN7rocprim17ROCPRIM_400000_NS6detail17trampoline_kernelINS0_14default_configENS1_25partition_config_selectorILNS1_17partition_subalgoE0EjNS0_10empty_typeEbEEZZNS1_14partition_implILS5_0ELb0ES3_jN6thrust23THRUST_200600_302600_NS6detail15normal_iteratorINSA_10device_ptrIjEEEEPS6_SG_NS0_5tupleIJNSA_16discard_iteratorINSA_11use_defaultEEESF_EEENSH_IJSG_SG_EEES6_PlJ7is_evenIjEEEE10hipError_tPvRmT3_T4_T5_T6_T7_T9_mT8_P12ihipStream_tbDpT10_ENKUlT_T0_E_clISt17integral_constantIbLb0EES18_IbLb1EEEEDaS14_S15_EUlS14_E_NS1_11comp_targetILNS1_3genE3ELNS1_11target_archE908ELNS1_3gpuE7ELNS1_3repE0EEENS1_30default_config_static_selectorELNS0_4arch9wavefront6targetE1EEEvT1_,@function
_ZN7rocprim17ROCPRIM_400000_NS6detail17trampoline_kernelINS0_14default_configENS1_25partition_config_selectorILNS1_17partition_subalgoE0EjNS0_10empty_typeEbEEZZNS1_14partition_implILS5_0ELb0ES3_jN6thrust23THRUST_200600_302600_NS6detail15normal_iteratorINSA_10device_ptrIjEEEEPS6_SG_NS0_5tupleIJNSA_16discard_iteratorINSA_11use_defaultEEESF_EEENSH_IJSG_SG_EEES6_PlJ7is_evenIjEEEE10hipError_tPvRmT3_T4_T5_T6_T7_T9_mT8_P12ihipStream_tbDpT10_ENKUlT_T0_E_clISt17integral_constantIbLb0EES18_IbLb1EEEEDaS14_S15_EUlS14_E_NS1_11comp_targetILNS1_3genE3ELNS1_11target_archE908ELNS1_3gpuE7ELNS1_3repE0EEENS1_30default_config_static_selectorELNS0_4arch9wavefront6targetE1EEEvT1_: ; @_ZN7rocprim17ROCPRIM_400000_NS6detail17trampoline_kernelINS0_14default_configENS1_25partition_config_selectorILNS1_17partition_subalgoE0EjNS0_10empty_typeEbEEZZNS1_14partition_implILS5_0ELb0ES3_jN6thrust23THRUST_200600_302600_NS6detail15normal_iteratorINSA_10device_ptrIjEEEEPS6_SG_NS0_5tupleIJNSA_16discard_iteratorINSA_11use_defaultEEESF_EEENSH_IJSG_SG_EEES6_PlJ7is_evenIjEEEE10hipError_tPvRmT3_T4_T5_T6_T7_T9_mT8_P12ihipStream_tbDpT10_ENKUlT_T0_E_clISt17integral_constantIbLb0EES18_IbLb1EEEEDaS14_S15_EUlS14_E_NS1_11comp_targetILNS1_3genE3ELNS1_11target_archE908ELNS1_3gpuE7ELNS1_3repE0EEENS1_30default_config_static_selectorELNS0_4arch9wavefront6targetE1EEEvT1_
; %bb.0:
	.section	.rodata,"a",@progbits
	.p2align	6, 0x0
	.amdhsa_kernel _ZN7rocprim17ROCPRIM_400000_NS6detail17trampoline_kernelINS0_14default_configENS1_25partition_config_selectorILNS1_17partition_subalgoE0EjNS0_10empty_typeEbEEZZNS1_14partition_implILS5_0ELb0ES3_jN6thrust23THRUST_200600_302600_NS6detail15normal_iteratorINSA_10device_ptrIjEEEEPS6_SG_NS0_5tupleIJNSA_16discard_iteratorINSA_11use_defaultEEESF_EEENSH_IJSG_SG_EEES6_PlJ7is_evenIjEEEE10hipError_tPvRmT3_T4_T5_T6_T7_T9_mT8_P12ihipStream_tbDpT10_ENKUlT_T0_E_clISt17integral_constantIbLb0EES18_IbLb1EEEEDaS14_S15_EUlS14_E_NS1_11comp_targetILNS1_3genE3ELNS1_11target_archE908ELNS1_3gpuE7ELNS1_3repE0EEENS1_30default_config_static_selectorELNS0_4arch9wavefront6targetE1EEEvT1_
		.amdhsa_group_segment_fixed_size 0
		.amdhsa_private_segment_fixed_size 0
		.amdhsa_kernarg_size 144
		.amdhsa_user_sgpr_count 2
		.amdhsa_user_sgpr_dispatch_ptr 0
		.amdhsa_user_sgpr_queue_ptr 0
		.amdhsa_user_sgpr_kernarg_segment_ptr 1
		.amdhsa_user_sgpr_dispatch_id 0
		.amdhsa_user_sgpr_kernarg_preload_length 0
		.amdhsa_user_sgpr_kernarg_preload_offset 0
		.amdhsa_user_sgpr_private_segment_size 0
		.amdhsa_uses_dynamic_stack 0
		.amdhsa_enable_private_segment 0
		.amdhsa_system_sgpr_workgroup_id_x 1
		.amdhsa_system_sgpr_workgroup_id_y 0
		.amdhsa_system_sgpr_workgroup_id_z 0
		.amdhsa_system_sgpr_workgroup_info 0
		.amdhsa_system_vgpr_workitem_id 0
		.amdhsa_next_free_vgpr 1
		.amdhsa_next_free_sgpr 0
		.amdhsa_accum_offset 4
		.amdhsa_reserve_vcc 0
		.amdhsa_float_round_mode_32 0
		.amdhsa_float_round_mode_16_64 0
		.amdhsa_float_denorm_mode_32 3
		.amdhsa_float_denorm_mode_16_64 3
		.amdhsa_dx10_clamp 1
		.amdhsa_ieee_mode 1
		.amdhsa_fp16_overflow 0
		.amdhsa_tg_split 0
		.amdhsa_exception_fp_ieee_invalid_op 0
		.amdhsa_exception_fp_denorm_src 0
		.amdhsa_exception_fp_ieee_div_zero 0
		.amdhsa_exception_fp_ieee_overflow 0
		.amdhsa_exception_fp_ieee_underflow 0
		.amdhsa_exception_fp_ieee_inexact 0
		.amdhsa_exception_int_div_zero 0
	.end_amdhsa_kernel
	.section	.text._ZN7rocprim17ROCPRIM_400000_NS6detail17trampoline_kernelINS0_14default_configENS1_25partition_config_selectorILNS1_17partition_subalgoE0EjNS0_10empty_typeEbEEZZNS1_14partition_implILS5_0ELb0ES3_jN6thrust23THRUST_200600_302600_NS6detail15normal_iteratorINSA_10device_ptrIjEEEEPS6_SG_NS0_5tupleIJNSA_16discard_iteratorINSA_11use_defaultEEESF_EEENSH_IJSG_SG_EEES6_PlJ7is_evenIjEEEE10hipError_tPvRmT3_T4_T5_T6_T7_T9_mT8_P12ihipStream_tbDpT10_ENKUlT_T0_E_clISt17integral_constantIbLb0EES18_IbLb1EEEEDaS14_S15_EUlS14_E_NS1_11comp_targetILNS1_3genE3ELNS1_11target_archE908ELNS1_3gpuE7ELNS1_3repE0EEENS1_30default_config_static_selectorELNS0_4arch9wavefront6targetE1EEEvT1_,"axG",@progbits,_ZN7rocprim17ROCPRIM_400000_NS6detail17trampoline_kernelINS0_14default_configENS1_25partition_config_selectorILNS1_17partition_subalgoE0EjNS0_10empty_typeEbEEZZNS1_14partition_implILS5_0ELb0ES3_jN6thrust23THRUST_200600_302600_NS6detail15normal_iteratorINSA_10device_ptrIjEEEEPS6_SG_NS0_5tupleIJNSA_16discard_iteratorINSA_11use_defaultEEESF_EEENSH_IJSG_SG_EEES6_PlJ7is_evenIjEEEE10hipError_tPvRmT3_T4_T5_T6_T7_T9_mT8_P12ihipStream_tbDpT10_ENKUlT_T0_E_clISt17integral_constantIbLb0EES18_IbLb1EEEEDaS14_S15_EUlS14_E_NS1_11comp_targetILNS1_3genE3ELNS1_11target_archE908ELNS1_3gpuE7ELNS1_3repE0EEENS1_30default_config_static_selectorELNS0_4arch9wavefront6targetE1EEEvT1_,comdat
.Lfunc_end2486:
	.size	_ZN7rocprim17ROCPRIM_400000_NS6detail17trampoline_kernelINS0_14default_configENS1_25partition_config_selectorILNS1_17partition_subalgoE0EjNS0_10empty_typeEbEEZZNS1_14partition_implILS5_0ELb0ES3_jN6thrust23THRUST_200600_302600_NS6detail15normal_iteratorINSA_10device_ptrIjEEEEPS6_SG_NS0_5tupleIJNSA_16discard_iteratorINSA_11use_defaultEEESF_EEENSH_IJSG_SG_EEES6_PlJ7is_evenIjEEEE10hipError_tPvRmT3_T4_T5_T6_T7_T9_mT8_P12ihipStream_tbDpT10_ENKUlT_T0_E_clISt17integral_constantIbLb0EES18_IbLb1EEEEDaS14_S15_EUlS14_E_NS1_11comp_targetILNS1_3genE3ELNS1_11target_archE908ELNS1_3gpuE7ELNS1_3repE0EEENS1_30default_config_static_selectorELNS0_4arch9wavefront6targetE1EEEvT1_, .Lfunc_end2486-_ZN7rocprim17ROCPRIM_400000_NS6detail17trampoline_kernelINS0_14default_configENS1_25partition_config_selectorILNS1_17partition_subalgoE0EjNS0_10empty_typeEbEEZZNS1_14partition_implILS5_0ELb0ES3_jN6thrust23THRUST_200600_302600_NS6detail15normal_iteratorINSA_10device_ptrIjEEEEPS6_SG_NS0_5tupleIJNSA_16discard_iteratorINSA_11use_defaultEEESF_EEENSH_IJSG_SG_EEES6_PlJ7is_evenIjEEEE10hipError_tPvRmT3_T4_T5_T6_T7_T9_mT8_P12ihipStream_tbDpT10_ENKUlT_T0_E_clISt17integral_constantIbLb0EES18_IbLb1EEEEDaS14_S15_EUlS14_E_NS1_11comp_targetILNS1_3genE3ELNS1_11target_archE908ELNS1_3gpuE7ELNS1_3repE0EEENS1_30default_config_static_selectorELNS0_4arch9wavefront6targetE1EEEvT1_
                                        ; -- End function
	.section	.AMDGPU.csdata,"",@progbits
; Kernel info:
; codeLenInByte = 0
; NumSgprs: 6
; NumVgprs: 0
; NumAgprs: 0
; TotalNumVgprs: 0
; ScratchSize: 0
; MemoryBound: 0
; FloatMode: 240
; IeeeMode: 1
; LDSByteSize: 0 bytes/workgroup (compile time only)
; SGPRBlocks: 0
; VGPRBlocks: 0
; NumSGPRsForWavesPerEU: 6
; NumVGPRsForWavesPerEU: 1
; AccumOffset: 4
; Occupancy: 8
; WaveLimiterHint : 0
; COMPUTE_PGM_RSRC2:SCRATCH_EN: 0
; COMPUTE_PGM_RSRC2:USER_SGPR: 2
; COMPUTE_PGM_RSRC2:TRAP_HANDLER: 0
; COMPUTE_PGM_RSRC2:TGID_X_EN: 1
; COMPUTE_PGM_RSRC2:TGID_Y_EN: 0
; COMPUTE_PGM_RSRC2:TGID_Z_EN: 0
; COMPUTE_PGM_RSRC2:TIDIG_COMP_CNT: 0
; COMPUTE_PGM_RSRC3_GFX90A:ACCUM_OFFSET: 0
; COMPUTE_PGM_RSRC3_GFX90A:TG_SPLIT: 0
	.section	.text._ZN7rocprim17ROCPRIM_400000_NS6detail17trampoline_kernelINS0_14default_configENS1_25partition_config_selectorILNS1_17partition_subalgoE0EjNS0_10empty_typeEbEEZZNS1_14partition_implILS5_0ELb0ES3_jN6thrust23THRUST_200600_302600_NS6detail15normal_iteratorINSA_10device_ptrIjEEEEPS6_SG_NS0_5tupleIJNSA_16discard_iteratorINSA_11use_defaultEEESF_EEENSH_IJSG_SG_EEES6_PlJ7is_evenIjEEEE10hipError_tPvRmT3_T4_T5_T6_T7_T9_mT8_P12ihipStream_tbDpT10_ENKUlT_T0_E_clISt17integral_constantIbLb0EES18_IbLb1EEEEDaS14_S15_EUlS14_E_NS1_11comp_targetILNS1_3genE2ELNS1_11target_archE906ELNS1_3gpuE6ELNS1_3repE0EEENS1_30default_config_static_selectorELNS0_4arch9wavefront6targetE1EEEvT1_,"axG",@progbits,_ZN7rocprim17ROCPRIM_400000_NS6detail17trampoline_kernelINS0_14default_configENS1_25partition_config_selectorILNS1_17partition_subalgoE0EjNS0_10empty_typeEbEEZZNS1_14partition_implILS5_0ELb0ES3_jN6thrust23THRUST_200600_302600_NS6detail15normal_iteratorINSA_10device_ptrIjEEEEPS6_SG_NS0_5tupleIJNSA_16discard_iteratorINSA_11use_defaultEEESF_EEENSH_IJSG_SG_EEES6_PlJ7is_evenIjEEEE10hipError_tPvRmT3_T4_T5_T6_T7_T9_mT8_P12ihipStream_tbDpT10_ENKUlT_T0_E_clISt17integral_constantIbLb0EES18_IbLb1EEEEDaS14_S15_EUlS14_E_NS1_11comp_targetILNS1_3genE2ELNS1_11target_archE906ELNS1_3gpuE6ELNS1_3repE0EEENS1_30default_config_static_selectorELNS0_4arch9wavefront6targetE1EEEvT1_,comdat
	.protected	_ZN7rocprim17ROCPRIM_400000_NS6detail17trampoline_kernelINS0_14default_configENS1_25partition_config_selectorILNS1_17partition_subalgoE0EjNS0_10empty_typeEbEEZZNS1_14partition_implILS5_0ELb0ES3_jN6thrust23THRUST_200600_302600_NS6detail15normal_iteratorINSA_10device_ptrIjEEEEPS6_SG_NS0_5tupleIJNSA_16discard_iteratorINSA_11use_defaultEEESF_EEENSH_IJSG_SG_EEES6_PlJ7is_evenIjEEEE10hipError_tPvRmT3_T4_T5_T6_T7_T9_mT8_P12ihipStream_tbDpT10_ENKUlT_T0_E_clISt17integral_constantIbLb0EES18_IbLb1EEEEDaS14_S15_EUlS14_E_NS1_11comp_targetILNS1_3genE2ELNS1_11target_archE906ELNS1_3gpuE6ELNS1_3repE0EEENS1_30default_config_static_selectorELNS0_4arch9wavefront6targetE1EEEvT1_ ; -- Begin function _ZN7rocprim17ROCPRIM_400000_NS6detail17trampoline_kernelINS0_14default_configENS1_25partition_config_selectorILNS1_17partition_subalgoE0EjNS0_10empty_typeEbEEZZNS1_14partition_implILS5_0ELb0ES3_jN6thrust23THRUST_200600_302600_NS6detail15normal_iteratorINSA_10device_ptrIjEEEEPS6_SG_NS0_5tupleIJNSA_16discard_iteratorINSA_11use_defaultEEESF_EEENSH_IJSG_SG_EEES6_PlJ7is_evenIjEEEE10hipError_tPvRmT3_T4_T5_T6_T7_T9_mT8_P12ihipStream_tbDpT10_ENKUlT_T0_E_clISt17integral_constantIbLb0EES18_IbLb1EEEEDaS14_S15_EUlS14_E_NS1_11comp_targetILNS1_3genE2ELNS1_11target_archE906ELNS1_3gpuE6ELNS1_3repE0EEENS1_30default_config_static_selectorELNS0_4arch9wavefront6targetE1EEEvT1_
	.globl	_ZN7rocprim17ROCPRIM_400000_NS6detail17trampoline_kernelINS0_14default_configENS1_25partition_config_selectorILNS1_17partition_subalgoE0EjNS0_10empty_typeEbEEZZNS1_14partition_implILS5_0ELb0ES3_jN6thrust23THRUST_200600_302600_NS6detail15normal_iteratorINSA_10device_ptrIjEEEEPS6_SG_NS0_5tupleIJNSA_16discard_iteratorINSA_11use_defaultEEESF_EEENSH_IJSG_SG_EEES6_PlJ7is_evenIjEEEE10hipError_tPvRmT3_T4_T5_T6_T7_T9_mT8_P12ihipStream_tbDpT10_ENKUlT_T0_E_clISt17integral_constantIbLb0EES18_IbLb1EEEEDaS14_S15_EUlS14_E_NS1_11comp_targetILNS1_3genE2ELNS1_11target_archE906ELNS1_3gpuE6ELNS1_3repE0EEENS1_30default_config_static_selectorELNS0_4arch9wavefront6targetE1EEEvT1_
	.p2align	8
	.type	_ZN7rocprim17ROCPRIM_400000_NS6detail17trampoline_kernelINS0_14default_configENS1_25partition_config_selectorILNS1_17partition_subalgoE0EjNS0_10empty_typeEbEEZZNS1_14partition_implILS5_0ELb0ES3_jN6thrust23THRUST_200600_302600_NS6detail15normal_iteratorINSA_10device_ptrIjEEEEPS6_SG_NS0_5tupleIJNSA_16discard_iteratorINSA_11use_defaultEEESF_EEENSH_IJSG_SG_EEES6_PlJ7is_evenIjEEEE10hipError_tPvRmT3_T4_T5_T6_T7_T9_mT8_P12ihipStream_tbDpT10_ENKUlT_T0_E_clISt17integral_constantIbLb0EES18_IbLb1EEEEDaS14_S15_EUlS14_E_NS1_11comp_targetILNS1_3genE2ELNS1_11target_archE906ELNS1_3gpuE6ELNS1_3repE0EEENS1_30default_config_static_selectorELNS0_4arch9wavefront6targetE1EEEvT1_,@function
_ZN7rocprim17ROCPRIM_400000_NS6detail17trampoline_kernelINS0_14default_configENS1_25partition_config_selectorILNS1_17partition_subalgoE0EjNS0_10empty_typeEbEEZZNS1_14partition_implILS5_0ELb0ES3_jN6thrust23THRUST_200600_302600_NS6detail15normal_iteratorINSA_10device_ptrIjEEEEPS6_SG_NS0_5tupleIJNSA_16discard_iteratorINSA_11use_defaultEEESF_EEENSH_IJSG_SG_EEES6_PlJ7is_evenIjEEEE10hipError_tPvRmT3_T4_T5_T6_T7_T9_mT8_P12ihipStream_tbDpT10_ENKUlT_T0_E_clISt17integral_constantIbLb0EES18_IbLb1EEEEDaS14_S15_EUlS14_E_NS1_11comp_targetILNS1_3genE2ELNS1_11target_archE906ELNS1_3gpuE6ELNS1_3repE0EEENS1_30default_config_static_selectorELNS0_4arch9wavefront6targetE1EEEvT1_: ; @_ZN7rocprim17ROCPRIM_400000_NS6detail17trampoline_kernelINS0_14default_configENS1_25partition_config_selectorILNS1_17partition_subalgoE0EjNS0_10empty_typeEbEEZZNS1_14partition_implILS5_0ELb0ES3_jN6thrust23THRUST_200600_302600_NS6detail15normal_iteratorINSA_10device_ptrIjEEEEPS6_SG_NS0_5tupleIJNSA_16discard_iteratorINSA_11use_defaultEEESF_EEENSH_IJSG_SG_EEES6_PlJ7is_evenIjEEEE10hipError_tPvRmT3_T4_T5_T6_T7_T9_mT8_P12ihipStream_tbDpT10_ENKUlT_T0_E_clISt17integral_constantIbLb0EES18_IbLb1EEEEDaS14_S15_EUlS14_E_NS1_11comp_targetILNS1_3genE2ELNS1_11target_archE906ELNS1_3gpuE6ELNS1_3repE0EEENS1_30default_config_static_selectorELNS0_4arch9wavefront6targetE1EEEvT1_
; %bb.0:
	.section	.rodata,"a",@progbits
	.p2align	6, 0x0
	.amdhsa_kernel _ZN7rocprim17ROCPRIM_400000_NS6detail17trampoline_kernelINS0_14default_configENS1_25partition_config_selectorILNS1_17partition_subalgoE0EjNS0_10empty_typeEbEEZZNS1_14partition_implILS5_0ELb0ES3_jN6thrust23THRUST_200600_302600_NS6detail15normal_iteratorINSA_10device_ptrIjEEEEPS6_SG_NS0_5tupleIJNSA_16discard_iteratorINSA_11use_defaultEEESF_EEENSH_IJSG_SG_EEES6_PlJ7is_evenIjEEEE10hipError_tPvRmT3_T4_T5_T6_T7_T9_mT8_P12ihipStream_tbDpT10_ENKUlT_T0_E_clISt17integral_constantIbLb0EES18_IbLb1EEEEDaS14_S15_EUlS14_E_NS1_11comp_targetILNS1_3genE2ELNS1_11target_archE906ELNS1_3gpuE6ELNS1_3repE0EEENS1_30default_config_static_selectorELNS0_4arch9wavefront6targetE1EEEvT1_
		.amdhsa_group_segment_fixed_size 0
		.amdhsa_private_segment_fixed_size 0
		.amdhsa_kernarg_size 144
		.amdhsa_user_sgpr_count 2
		.amdhsa_user_sgpr_dispatch_ptr 0
		.amdhsa_user_sgpr_queue_ptr 0
		.amdhsa_user_sgpr_kernarg_segment_ptr 1
		.amdhsa_user_sgpr_dispatch_id 0
		.amdhsa_user_sgpr_kernarg_preload_length 0
		.amdhsa_user_sgpr_kernarg_preload_offset 0
		.amdhsa_user_sgpr_private_segment_size 0
		.amdhsa_uses_dynamic_stack 0
		.amdhsa_enable_private_segment 0
		.amdhsa_system_sgpr_workgroup_id_x 1
		.amdhsa_system_sgpr_workgroup_id_y 0
		.amdhsa_system_sgpr_workgroup_id_z 0
		.amdhsa_system_sgpr_workgroup_info 0
		.amdhsa_system_vgpr_workitem_id 0
		.amdhsa_next_free_vgpr 1
		.amdhsa_next_free_sgpr 0
		.amdhsa_accum_offset 4
		.amdhsa_reserve_vcc 0
		.amdhsa_float_round_mode_32 0
		.amdhsa_float_round_mode_16_64 0
		.amdhsa_float_denorm_mode_32 3
		.amdhsa_float_denorm_mode_16_64 3
		.amdhsa_dx10_clamp 1
		.amdhsa_ieee_mode 1
		.amdhsa_fp16_overflow 0
		.amdhsa_tg_split 0
		.amdhsa_exception_fp_ieee_invalid_op 0
		.amdhsa_exception_fp_denorm_src 0
		.amdhsa_exception_fp_ieee_div_zero 0
		.amdhsa_exception_fp_ieee_overflow 0
		.amdhsa_exception_fp_ieee_underflow 0
		.amdhsa_exception_fp_ieee_inexact 0
		.amdhsa_exception_int_div_zero 0
	.end_amdhsa_kernel
	.section	.text._ZN7rocprim17ROCPRIM_400000_NS6detail17trampoline_kernelINS0_14default_configENS1_25partition_config_selectorILNS1_17partition_subalgoE0EjNS0_10empty_typeEbEEZZNS1_14partition_implILS5_0ELb0ES3_jN6thrust23THRUST_200600_302600_NS6detail15normal_iteratorINSA_10device_ptrIjEEEEPS6_SG_NS0_5tupleIJNSA_16discard_iteratorINSA_11use_defaultEEESF_EEENSH_IJSG_SG_EEES6_PlJ7is_evenIjEEEE10hipError_tPvRmT3_T4_T5_T6_T7_T9_mT8_P12ihipStream_tbDpT10_ENKUlT_T0_E_clISt17integral_constantIbLb0EES18_IbLb1EEEEDaS14_S15_EUlS14_E_NS1_11comp_targetILNS1_3genE2ELNS1_11target_archE906ELNS1_3gpuE6ELNS1_3repE0EEENS1_30default_config_static_selectorELNS0_4arch9wavefront6targetE1EEEvT1_,"axG",@progbits,_ZN7rocprim17ROCPRIM_400000_NS6detail17trampoline_kernelINS0_14default_configENS1_25partition_config_selectorILNS1_17partition_subalgoE0EjNS0_10empty_typeEbEEZZNS1_14partition_implILS5_0ELb0ES3_jN6thrust23THRUST_200600_302600_NS6detail15normal_iteratorINSA_10device_ptrIjEEEEPS6_SG_NS0_5tupleIJNSA_16discard_iteratorINSA_11use_defaultEEESF_EEENSH_IJSG_SG_EEES6_PlJ7is_evenIjEEEE10hipError_tPvRmT3_T4_T5_T6_T7_T9_mT8_P12ihipStream_tbDpT10_ENKUlT_T0_E_clISt17integral_constantIbLb0EES18_IbLb1EEEEDaS14_S15_EUlS14_E_NS1_11comp_targetILNS1_3genE2ELNS1_11target_archE906ELNS1_3gpuE6ELNS1_3repE0EEENS1_30default_config_static_selectorELNS0_4arch9wavefront6targetE1EEEvT1_,comdat
.Lfunc_end2487:
	.size	_ZN7rocprim17ROCPRIM_400000_NS6detail17trampoline_kernelINS0_14default_configENS1_25partition_config_selectorILNS1_17partition_subalgoE0EjNS0_10empty_typeEbEEZZNS1_14partition_implILS5_0ELb0ES3_jN6thrust23THRUST_200600_302600_NS6detail15normal_iteratorINSA_10device_ptrIjEEEEPS6_SG_NS0_5tupleIJNSA_16discard_iteratorINSA_11use_defaultEEESF_EEENSH_IJSG_SG_EEES6_PlJ7is_evenIjEEEE10hipError_tPvRmT3_T4_T5_T6_T7_T9_mT8_P12ihipStream_tbDpT10_ENKUlT_T0_E_clISt17integral_constantIbLb0EES18_IbLb1EEEEDaS14_S15_EUlS14_E_NS1_11comp_targetILNS1_3genE2ELNS1_11target_archE906ELNS1_3gpuE6ELNS1_3repE0EEENS1_30default_config_static_selectorELNS0_4arch9wavefront6targetE1EEEvT1_, .Lfunc_end2487-_ZN7rocprim17ROCPRIM_400000_NS6detail17trampoline_kernelINS0_14default_configENS1_25partition_config_selectorILNS1_17partition_subalgoE0EjNS0_10empty_typeEbEEZZNS1_14partition_implILS5_0ELb0ES3_jN6thrust23THRUST_200600_302600_NS6detail15normal_iteratorINSA_10device_ptrIjEEEEPS6_SG_NS0_5tupleIJNSA_16discard_iteratorINSA_11use_defaultEEESF_EEENSH_IJSG_SG_EEES6_PlJ7is_evenIjEEEE10hipError_tPvRmT3_T4_T5_T6_T7_T9_mT8_P12ihipStream_tbDpT10_ENKUlT_T0_E_clISt17integral_constantIbLb0EES18_IbLb1EEEEDaS14_S15_EUlS14_E_NS1_11comp_targetILNS1_3genE2ELNS1_11target_archE906ELNS1_3gpuE6ELNS1_3repE0EEENS1_30default_config_static_selectorELNS0_4arch9wavefront6targetE1EEEvT1_
                                        ; -- End function
	.section	.AMDGPU.csdata,"",@progbits
; Kernel info:
; codeLenInByte = 0
; NumSgprs: 6
; NumVgprs: 0
; NumAgprs: 0
; TotalNumVgprs: 0
; ScratchSize: 0
; MemoryBound: 0
; FloatMode: 240
; IeeeMode: 1
; LDSByteSize: 0 bytes/workgroup (compile time only)
; SGPRBlocks: 0
; VGPRBlocks: 0
; NumSGPRsForWavesPerEU: 6
; NumVGPRsForWavesPerEU: 1
; AccumOffset: 4
; Occupancy: 8
; WaveLimiterHint : 0
; COMPUTE_PGM_RSRC2:SCRATCH_EN: 0
; COMPUTE_PGM_RSRC2:USER_SGPR: 2
; COMPUTE_PGM_RSRC2:TRAP_HANDLER: 0
; COMPUTE_PGM_RSRC2:TGID_X_EN: 1
; COMPUTE_PGM_RSRC2:TGID_Y_EN: 0
; COMPUTE_PGM_RSRC2:TGID_Z_EN: 0
; COMPUTE_PGM_RSRC2:TIDIG_COMP_CNT: 0
; COMPUTE_PGM_RSRC3_GFX90A:ACCUM_OFFSET: 0
; COMPUTE_PGM_RSRC3_GFX90A:TG_SPLIT: 0
	.section	.text._ZN7rocprim17ROCPRIM_400000_NS6detail17trampoline_kernelINS0_14default_configENS1_25partition_config_selectorILNS1_17partition_subalgoE0EjNS0_10empty_typeEbEEZZNS1_14partition_implILS5_0ELb0ES3_jN6thrust23THRUST_200600_302600_NS6detail15normal_iteratorINSA_10device_ptrIjEEEEPS6_SG_NS0_5tupleIJNSA_16discard_iteratorINSA_11use_defaultEEESF_EEENSH_IJSG_SG_EEES6_PlJ7is_evenIjEEEE10hipError_tPvRmT3_T4_T5_T6_T7_T9_mT8_P12ihipStream_tbDpT10_ENKUlT_T0_E_clISt17integral_constantIbLb0EES18_IbLb1EEEEDaS14_S15_EUlS14_E_NS1_11comp_targetILNS1_3genE10ELNS1_11target_archE1200ELNS1_3gpuE4ELNS1_3repE0EEENS1_30default_config_static_selectorELNS0_4arch9wavefront6targetE1EEEvT1_,"axG",@progbits,_ZN7rocprim17ROCPRIM_400000_NS6detail17trampoline_kernelINS0_14default_configENS1_25partition_config_selectorILNS1_17partition_subalgoE0EjNS0_10empty_typeEbEEZZNS1_14partition_implILS5_0ELb0ES3_jN6thrust23THRUST_200600_302600_NS6detail15normal_iteratorINSA_10device_ptrIjEEEEPS6_SG_NS0_5tupleIJNSA_16discard_iteratorINSA_11use_defaultEEESF_EEENSH_IJSG_SG_EEES6_PlJ7is_evenIjEEEE10hipError_tPvRmT3_T4_T5_T6_T7_T9_mT8_P12ihipStream_tbDpT10_ENKUlT_T0_E_clISt17integral_constantIbLb0EES18_IbLb1EEEEDaS14_S15_EUlS14_E_NS1_11comp_targetILNS1_3genE10ELNS1_11target_archE1200ELNS1_3gpuE4ELNS1_3repE0EEENS1_30default_config_static_selectorELNS0_4arch9wavefront6targetE1EEEvT1_,comdat
	.protected	_ZN7rocprim17ROCPRIM_400000_NS6detail17trampoline_kernelINS0_14default_configENS1_25partition_config_selectorILNS1_17partition_subalgoE0EjNS0_10empty_typeEbEEZZNS1_14partition_implILS5_0ELb0ES3_jN6thrust23THRUST_200600_302600_NS6detail15normal_iteratorINSA_10device_ptrIjEEEEPS6_SG_NS0_5tupleIJNSA_16discard_iteratorINSA_11use_defaultEEESF_EEENSH_IJSG_SG_EEES6_PlJ7is_evenIjEEEE10hipError_tPvRmT3_T4_T5_T6_T7_T9_mT8_P12ihipStream_tbDpT10_ENKUlT_T0_E_clISt17integral_constantIbLb0EES18_IbLb1EEEEDaS14_S15_EUlS14_E_NS1_11comp_targetILNS1_3genE10ELNS1_11target_archE1200ELNS1_3gpuE4ELNS1_3repE0EEENS1_30default_config_static_selectorELNS0_4arch9wavefront6targetE1EEEvT1_ ; -- Begin function _ZN7rocprim17ROCPRIM_400000_NS6detail17trampoline_kernelINS0_14default_configENS1_25partition_config_selectorILNS1_17partition_subalgoE0EjNS0_10empty_typeEbEEZZNS1_14partition_implILS5_0ELb0ES3_jN6thrust23THRUST_200600_302600_NS6detail15normal_iteratorINSA_10device_ptrIjEEEEPS6_SG_NS0_5tupleIJNSA_16discard_iteratorINSA_11use_defaultEEESF_EEENSH_IJSG_SG_EEES6_PlJ7is_evenIjEEEE10hipError_tPvRmT3_T4_T5_T6_T7_T9_mT8_P12ihipStream_tbDpT10_ENKUlT_T0_E_clISt17integral_constantIbLb0EES18_IbLb1EEEEDaS14_S15_EUlS14_E_NS1_11comp_targetILNS1_3genE10ELNS1_11target_archE1200ELNS1_3gpuE4ELNS1_3repE0EEENS1_30default_config_static_selectorELNS0_4arch9wavefront6targetE1EEEvT1_
	.globl	_ZN7rocprim17ROCPRIM_400000_NS6detail17trampoline_kernelINS0_14default_configENS1_25partition_config_selectorILNS1_17partition_subalgoE0EjNS0_10empty_typeEbEEZZNS1_14partition_implILS5_0ELb0ES3_jN6thrust23THRUST_200600_302600_NS6detail15normal_iteratorINSA_10device_ptrIjEEEEPS6_SG_NS0_5tupleIJNSA_16discard_iteratorINSA_11use_defaultEEESF_EEENSH_IJSG_SG_EEES6_PlJ7is_evenIjEEEE10hipError_tPvRmT3_T4_T5_T6_T7_T9_mT8_P12ihipStream_tbDpT10_ENKUlT_T0_E_clISt17integral_constantIbLb0EES18_IbLb1EEEEDaS14_S15_EUlS14_E_NS1_11comp_targetILNS1_3genE10ELNS1_11target_archE1200ELNS1_3gpuE4ELNS1_3repE0EEENS1_30default_config_static_selectorELNS0_4arch9wavefront6targetE1EEEvT1_
	.p2align	8
	.type	_ZN7rocprim17ROCPRIM_400000_NS6detail17trampoline_kernelINS0_14default_configENS1_25partition_config_selectorILNS1_17partition_subalgoE0EjNS0_10empty_typeEbEEZZNS1_14partition_implILS5_0ELb0ES3_jN6thrust23THRUST_200600_302600_NS6detail15normal_iteratorINSA_10device_ptrIjEEEEPS6_SG_NS0_5tupleIJNSA_16discard_iteratorINSA_11use_defaultEEESF_EEENSH_IJSG_SG_EEES6_PlJ7is_evenIjEEEE10hipError_tPvRmT3_T4_T5_T6_T7_T9_mT8_P12ihipStream_tbDpT10_ENKUlT_T0_E_clISt17integral_constantIbLb0EES18_IbLb1EEEEDaS14_S15_EUlS14_E_NS1_11comp_targetILNS1_3genE10ELNS1_11target_archE1200ELNS1_3gpuE4ELNS1_3repE0EEENS1_30default_config_static_selectorELNS0_4arch9wavefront6targetE1EEEvT1_,@function
_ZN7rocprim17ROCPRIM_400000_NS6detail17trampoline_kernelINS0_14default_configENS1_25partition_config_selectorILNS1_17partition_subalgoE0EjNS0_10empty_typeEbEEZZNS1_14partition_implILS5_0ELb0ES3_jN6thrust23THRUST_200600_302600_NS6detail15normal_iteratorINSA_10device_ptrIjEEEEPS6_SG_NS0_5tupleIJNSA_16discard_iteratorINSA_11use_defaultEEESF_EEENSH_IJSG_SG_EEES6_PlJ7is_evenIjEEEE10hipError_tPvRmT3_T4_T5_T6_T7_T9_mT8_P12ihipStream_tbDpT10_ENKUlT_T0_E_clISt17integral_constantIbLb0EES18_IbLb1EEEEDaS14_S15_EUlS14_E_NS1_11comp_targetILNS1_3genE10ELNS1_11target_archE1200ELNS1_3gpuE4ELNS1_3repE0EEENS1_30default_config_static_selectorELNS0_4arch9wavefront6targetE1EEEvT1_: ; @_ZN7rocprim17ROCPRIM_400000_NS6detail17trampoline_kernelINS0_14default_configENS1_25partition_config_selectorILNS1_17partition_subalgoE0EjNS0_10empty_typeEbEEZZNS1_14partition_implILS5_0ELb0ES3_jN6thrust23THRUST_200600_302600_NS6detail15normal_iteratorINSA_10device_ptrIjEEEEPS6_SG_NS0_5tupleIJNSA_16discard_iteratorINSA_11use_defaultEEESF_EEENSH_IJSG_SG_EEES6_PlJ7is_evenIjEEEE10hipError_tPvRmT3_T4_T5_T6_T7_T9_mT8_P12ihipStream_tbDpT10_ENKUlT_T0_E_clISt17integral_constantIbLb0EES18_IbLb1EEEEDaS14_S15_EUlS14_E_NS1_11comp_targetILNS1_3genE10ELNS1_11target_archE1200ELNS1_3gpuE4ELNS1_3repE0EEENS1_30default_config_static_selectorELNS0_4arch9wavefront6targetE1EEEvT1_
; %bb.0:
	.section	.rodata,"a",@progbits
	.p2align	6, 0x0
	.amdhsa_kernel _ZN7rocprim17ROCPRIM_400000_NS6detail17trampoline_kernelINS0_14default_configENS1_25partition_config_selectorILNS1_17partition_subalgoE0EjNS0_10empty_typeEbEEZZNS1_14partition_implILS5_0ELb0ES3_jN6thrust23THRUST_200600_302600_NS6detail15normal_iteratorINSA_10device_ptrIjEEEEPS6_SG_NS0_5tupleIJNSA_16discard_iteratorINSA_11use_defaultEEESF_EEENSH_IJSG_SG_EEES6_PlJ7is_evenIjEEEE10hipError_tPvRmT3_T4_T5_T6_T7_T9_mT8_P12ihipStream_tbDpT10_ENKUlT_T0_E_clISt17integral_constantIbLb0EES18_IbLb1EEEEDaS14_S15_EUlS14_E_NS1_11comp_targetILNS1_3genE10ELNS1_11target_archE1200ELNS1_3gpuE4ELNS1_3repE0EEENS1_30default_config_static_selectorELNS0_4arch9wavefront6targetE1EEEvT1_
		.amdhsa_group_segment_fixed_size 0
		.amdhsa_private_segment_fixed_size 0
		.amdhsa_kernarg_size 144
		.amdhsa_user_sgpr_count 2
		.amdhsa_user_sgpr_dispatch_ptr 0
		.amdhsa_user_sgpr_queue_ptr 0
		.amdhsa_user_sgpr_kernarg_segment_ptr 1
		.amdhsa_user_sgpr_dispatch_id 0
		.amdhsa_user_sgpr_kernarg_preload_length 0
		.amdhsa_user_sgpr_kernarg_preload_offset 0
		.amdhsa_user_sgpr_private_segment_size 0
		.amdhsa_uses_dynamic_stack 0
		.amdhsa_enable_private_segment 0
		.amdhsa_system_sgpr_workgroup_id_x 1
		.amdhsa_system_sgpr_workgroup_id_y 0
		.amdhsa_system_sgpr_workgroup_id_z 0
		.amdhsa_system_sgpr_workgroup_info 0
		.amdhsa_system_vgpr_workitem_id 0
		.amdhsa_next_free_vgpr 1
		.amdhsa_next_free_sgpr 0
		.amdhsa_accum_offset 4
		.amdhsa_reserve_vcc 0
		.amdhsa_float_round_mode_32 0
		.amdhsa_float_round_mode_16_64 0
		.amdhsa_float_denorm_mode_32 3
		.amdhsa_float_denorm_mode_16_64 3
		.amdhsa_dx10_clamp 1
		.amdhsa_ieee_mode 1
		.amdhsa_fp16_overflow 0
		.amdhsa_tg_split 0
		.amdhsa_exception_fp_ieee_invalid_op 0
		.amdhsa_exception_fp_denorm_src 0
		.amdhsa_exception_fp_ieee_div_zero 0
		.amdhsa_exception_fp_ieee_overflow 0
		.amdhsa_exception_fp_ieee_underflow 0
		.amdhsa_exception_fp_ieee_inexact 0
		.amdhsa_exception_int_div_zero 0
	.end_amdhsa_kernel
	.section	.text._ZN7rocprim17ROCPRIM_400000_NS6detail17trampoline_kernelINS0_14default_configENS1_25partition_config_selectorILNS1_17partition_subalgoE0EjNS0_10empty_typeEbEEZZNS1_14partition_implILS5_0ELb0ES3_jN6thrust23THRUST_200600_302600_NS6detail15normal_iteratorINSA_10device_ptrIjEEEEPS6_SG_NS0_5tupleIJNSA_16discard_iteratorINSA_11use_defaultEEESF_EEENSH_IJSG_SG_EEES6_PlJ7is_evenIjEEEE10hipError_tPvRmT3_T4_T5_T6_T7_T9_mT8_P12ihipStream_tbDpT10_ENKUlT_T0_E_clISt17integral_constantIbLb0EES18_IbLb1EEEEDaS14_S15_EUlS14_E_NS1_11comp_targetILNS1_3genE10ELNS1_11target_archE1200ELNS1_3gpuE4ELNS1_3repE0EEENS1_30default_config_static_selectorELNS0_4arch9wavefront6targetE1EEEvT1_,"axG",@progbits,_ZN7rocprim17ROCPRIM_400000_NS6detail17trampoline_kernelINS0_14default_configENS1_25partition_config_selectorILNS1_17partition_subalgoE0EjNS0_10empty_typeEbEEZZNS1_14partition_implILS5_0ELb0ES3_jN6thrust23THRUST_200600_302600_NS6detail15normal_iteratorINSA_10device_ptrIjEEEEPS6_SG_NS0_5tupleIJNSA_16discard_iteratorINSA_11use_defaultEEESF_EEENSH_IJSG_SG_EEES6_PlJ7is_evenIjEEEE10hipError_tPvRmT3_T4_T5_T6_T7_T9_mT8_P12ihipStream_tbDpT10_ENKUlT_T0_E_clISt17integral_constantIbLb0EES18_IbLb1EEEEDaS14_S15_EUlS14_E_NS1_11comp_targetILNS1_3genE10ELNS1_11target_archE1200ELNS1_3gpuE4ELNS1_3repE0EEENS1_30default_config_static_selectorELNS0_4arch9wavefront6targetE1EEEvT1_,comdat
.Lfunc_end2488:
	.size	_ZN7rocprim17ROCPRIM_400000_NS6detail17trampoline_kernelINS0_14default_configENS1_25partition_config_selectorILNS1_17partition_subalgoE0EjNS0_10empty_typeEbEEZZNS1_14partition_implILS5_0ELb0ES3_jN6thrust23THRUST_200600_302600_NS6detail15normal_iteratorINSA_10device_ptrIjEEEEPS6_SG_NS0_5tupleIJNSA_16discard_iteratorINSA_11use_defaultEEESF_EEENSH_IJSG_SG_EEES6_PlJ7is_evenIjEEEE10hipError_tPvRmT3_T4_T5_T6_T7_T9_mT8_P12ihipStream_tbDpT10_ENKUlT_T0_E_clISt17integral_constantIbLb0EES18_IbLb1EEEEDaS14_S15_EUlS14_E_NS1_11comp_targetILNS1_3genE10ELNS1_11target_archE1200ELNS1_3gpuE4ELNS1_3repE0EEENS1_30default_config_static_selectorELNS0_4arch9wavefront6targetE1EEEvT1_, .Lfunc_end2488-_ZN7rocprim17ROCPRIM_400000_NS6detail17trampoline_kernelINS0_14default_configENS1_25partition_config_selectorILNS1_17partition_subalgoE0EjNS0_10empty_typeEbEEZZNS1_14partition_implILS5_0ELb0ES3_jN6thrust23THRUST_200600_302600_NS6detail15normal_iteratorINSA_10device_ptrIjEEEEPS6_SG_NS0_5tupleIJNSA_16discard_iteratorINSA_11use_defaultEEESF_EEENSH_IJSG_SG_EEES6_PlJ7is_evenIjEEEE10hipError_tPvRmT3_T4_T5_T6_T7_T9_mT8_P12ihipStream_tbDpT10_ENKUlT_T0_E_clISt17integral_constantIbLb0EES18_IbLb1EEEEDaS14_S15_EUlS14_E_NS1_11comp_targetILNS1_3genE10ELNS1_11target_archE1200ELNS1_3gpuE4ELNS1_3repE0EEENS1_30default_config_static_selectorELNS0_4arch9wavefront6targetE1EEEvT1_
                                        ; -- End function
	.section	.AMDGPU.csdata,"",@progbits
; Kernel info:
; codeLenInByte = 0
; NumSgprs: 6
; NumVgprs: 0
; NumAgprs: 0
; TotalNumVgprs: 0
; ScratchSize: 0
; MemoryBound: 0
; FloatMode: 240
; IeeeMode: 1
; LDSByteSize: 0 bytes/workgroup (compile time only)
; SGPRBlocks: 0
; VGPRBlocks: 0
; NumSGPRsForWavesPerEU: 6
; NumVGPRsForWavesPerEU: 1
; AccumOffset: 4
; Occupancy: 8
; WaveLimiterHint : 0
; COMPUTE_PGM_RSRC2:SCRATCH_EN: 0
; COMPUTE_PGM_RSRC2:USER_SGPR: 2
; COMPUTE_PGM_RSRC2:TRAP_HANDLER: 0
; COMPUTE_PGM_RSRC2:TGID_X_EN: 1
; COMPUTE_PGM_RSRC2:TGID_Y_EN: 0
; COMPUTE_PGM_RSRC2:TGID_Z_EN: 0
; COMPUTE_PGM_RSRC2:TIDIG_COMP_CNT: 0
; COMPUTE_PGM_RSRC3_GFX90A:ACCUM_OFFSET: 0
; COMPUTE_PGM_RSRC3_GFX90A:TG_SPLIT: 0
	.section	.text._ZN7rocprim17ROCPRIM_400000_NS6detail17trampoline_kernelINS0_14default_configENS1_25partition_config_selectorILNS1_17partition_subalgoE0EjNS0_10empty_typeEbEEZZNS1_14partition_implILS5_0ELb0ES3_jN6thrust23THRUST_200600_302600_NS6detail15normal_iteratorINSA_10device_ptrIjEEEEPS6_SG_NS0_5tupleIJNSA_16discard_iteratorINSA_11use_defaultEEESF_EEENSH_IJSG_SG_EEES6_PlJ7is_evenIjEEEE10hipError_tPvRmT3_T4_T5_T6_T7_T9_mT8_P12ihipStream_tbDpT10_ENKUlT_T0_E_clISt17integral_constantIbLb0EES18_IbLb1EEEEDaS14_S15_EUlS14_E_NS1_11comp_targetILNS1_3genE9ELNS1_11target_archE1100ELNS1_3gpuE3ELNS1_3repE0EEENS1_30default_config_static_selectorELNS0_4arch9wavefront6targetE1EEEvT1_,"axG",@progbits,_ZN7rocprim17ROCPRIM_400000_NS6detail17trampoline_kernelINS0_14default_configENS1_25partition_config_selectorILNS1_17partition_subalgoE0EjNS0_10empty_typeEbEEZZNS1_14partition_implILS5_0ELb0ES3_jN6thrust23THRUST_200600_302600_NS6detail15normal_iteratorINSA_10device_ptrIjEEEEPS6_SG_NS0_5tupleIJNSA_16discard_iteratorINSA_11use_defaultEEESF_EEENSH_IJSG_SG_EEES6_PlJ7is_evenIjEEEE10hipError_tPvRmT3_T4_T5_T6_T7_T9_mT8_P12ihipStream_tbDpT10_ENKUlT_T0_E_clISt17integral_constantIbLb0EES18_IbLb1EEEEDaS14_S15_EUlS14_E_NS1_11comp_targetILNS1_3genE9ELNS1_11target_archE1100ELNS1_3gpuE3ELNS1_3repE0EEENS1_30default_config_static_selectorELNS0_4arch9wavefront6targetE1EEEvT1_,comdat
	.protected	_ZN7rocprim17ROCPRIM_400000_NS6detail17trampoline_kernelINS0_14default_configENS1_25partition_config_selectorILNS1_17partition_subalgoE0EjNS0_10empty_typeEbEEZZNS1_14partition_implILS5_0ELb0ES3_jN6thrust23THRUST_200600_302600_NS6detail15normal_iteratorINSA_10device_ptrIjEEEEPS6_SG_NS0_5tupleIJNSA_16discard_iteratorINSA_11use_defaultEEESF_EEENSH_IJSG_SG_EEES6_PlJ7is_evenIjEEEE10hipError_tPvRmT3_T4_T5_T6_T7_T9_mT8_P12ihipStream_tbDpT10_ENKUlT_T0_E_clISt17integral_constantIbLb0EES18_IbLb1EEEEDaS14_S15_EUlS14_E_NS1_11comp_targetILNS1_3genE9ELNS1_11target_archE1100ELNS1_3gpuE3ELNS1_3repE0EEENS1_30default_config_static_selectorELNS0_4arch9wavefront6targetE1EEEvT1_ ; -- Begin function _ZN7rocprim17ROCPRIM_400000_NS6detail17trampoline_kernelINS0_14default_configENS1_25partition_config_selectorILNS1_17partition_subalgoE0EjNS0_10empty_typeEbEEZZNS1_14partition_implILS5_0ELb0ES3_jN6thrust23THRUST_200600_302600_NS6detail15normal_iteratorINSA_10device_ptrIjEEEEPS6_SG_NS0_5tupleIJNSA_16discard_iteratorINSA_11use_defaultEEESF_EEENSH_IJSG_SG_EEES6_PlJ7is_evenIjEEEE10hipError_tPvRmT3_T4_T5_T6_T7_T9_mT8_P12ihipStream_tbDpT10_ENKUlT_T0_E_clISt17integral_constantIbLb0EES18_IbLb1EEEEDaS14_S15_EUlS14_E_NS1_11comp_targetILNS1_3genE9ELNS1_11target_archE1100ELNS1_3gpuE3ELNS1_3repE0EEENS1_30default_config_static_selectorELNS0_4arch9wavefront6targetE1EEEvT1_
	.globl	_ZN7rocprim17ROCPRIM_400000_NS6detail17trampoline_kernelINS0_14default_configENS1_25partition_config_selectorILNS1_17partition_subalgoE0EjNS0_10empty_typeEbEEZZNS1_14partition_implILS5_0ELb0ES3_jN6thrust23THRUST_200600_302600_NS6detail15normal_iteratorINSA_10device_ptrIjEEEEPS6_SG_NS0_5tupleIJNSA_16discard_iteratorINSA_11use_defaultEEESF_EEENSH_IJSG_SG_EEES6_PlJ7is_evenIjEEEE10hipError_tPvRmT3_T4_T5_T6_T7_T9_mT8_P12ihipStream_tbDpT10_ENKUlT_T0_E_clISt17integral_constantIbLb0EES18_IbLb1EEEEDaS14_S15_EUlS14_E_NS1_11comp_targetILNS1_3genE9ELNS1_11target_archE1100ELNS1_3gpuE3ELNS1_3repE0EEENS1_30default_config_static_selectorELNS0_4arch9wavefront6targetE1EEEvT1_
	.p2align	8
	.type	_ZN7rocprim17ROCPRIM_400000_NS6detail17trampoline_kernelINS0_14default_configENS1_25partition_config_selectorILNS1_17partition_subalgoE0EjNS0_10empty_typeEbEEZZNS1_14partition_implILS5_0ELb0ES3_jN6thrust23THRUST_200600_302600_NS6detail15normal_iteratorINSA_10device_ptrIjEEEEPS6_SG_NS0_5tupleIJNSA_16discard_iteratorINSA_11use_defaultEEESF_EEENSH_IJSG_SG_EEES6_PlJ7is_evenIjEEEE10hipError_tPvRmT3_T4_T5_T6_T7_T9_mT8_P12ihipStream_tbDpT10_ENKUlT_T0_E_clISt17integral_constantIbLb0EES18_IbLb1EEEEDaS14_S15_EUlS14_E_NS1_11comp_targetILNS1_3genE9ELNS1_11target_archE1100ELNS1_3gpuE3ELNS1_3repE0EEENS1_30default_config_static_selectorELNS0_4arch9wavefront6targetE1EEEvT1_,@function
_ZN7rocprim17ROCPRIM_400000_NS6detail17trampoline_kernelINS0_14default_configENS1_25partition_config_selectorILNS1_17partition_subalgoE0EjNS0_10empty_typeEbEEZZNS1_14partition_implILS5_0ELb0ES3_jN6thrust23THRUST_200600_302600_NS6detail15normal_iteratorINSA_10device_ptrIjEEEEPS6_SG_NS0_5tupleIJNSA_16discard_iteratorINSA_11use_defaultEEESF_EEENSH_IJSG_SG_EEES6_PlJ7is_evenIjEEEE10hipError_tPvRmT3_T4_T5_T6_T7_T9_mT8_P12ihipStream_tbDpT10_ENKUlT_T0_E_clISt17integral_constantIbLb0EES18_IbLb1EEEEDaS14_S15_EUlS14_E_NS1_11comp_targetILNS1_3genE9ELNS1_11target_archE1100ELNS1_3gpuE3ELNS1_3repE0EEENS1_30default_config_static_selectorELNS0_4arch9wavefront6targetE1EEEvT1_: ; @_ZN7rocprim17ROCPRIM_400000_NS6detail17trampoline_kernelINS0_14default_configENS1_25partition_config_selectorILNS1_17partition_subalgoE0EjNS0_10empty_typeEbEEZZNS1_14partition_implILS5_0ELb0ES3_jN6thrust23THRUST_200600_302600_NS6detail15normal_iteratorINSA_10device_ptrIjEEEEPS6_SG_NS0_5tupleIJNSA_16discard_iteratorINSA_11use_defaultEEESF_EEENSH_IJSG_SG_EEES6_PlJ7is_evenIjEEEE10hipError_tPvRmT3_T4_T5_T6_T7_T9_mT8_P12ihipStream_tbDpT10_ENKUlT_T0_E_clISt17integral_constantIbLb0EES18_IbLb1EEEEDaS14_S15_EUlS14_E_NS1_11comp_targetILNS1_3genE9ELNS1_11target_archE1100ELNS1_3gpuE3ELNS1_3repE0EEENS1_30default_config_static_selectorELNS0_4arch9wavefront6targetE1EEEvT1_
; %bb.0:
	.section	.rodata,"a",@progbits
	.p2align	6, 0x0
	.amdhsa_kernel _ZN7rocprim17ROCPRIM_400000_NS6detail17trampoline_kernelINS0_14default_configENS1_25partition_config_selectorILNS1_17partition_subalgoE0EjNS0_10empty_typeEbEEZZNS1_14partition_implILS5_0ELb0ES3_jN6thrust23THRUST_200600_302600_NS6detail15normal_iteratorINSA_10device_ptrIjEEEEPS6_SG_NS0_5tupleIJNSA_16discard_iteratorINSA_11use_defaultEEESF_EEENSH_IJSG_SG_EEES6_PlJ7is_evenIjEEEE10hipError_tPvRmT3_T4_T5_T6_T7_T9_mT8_P12ihipStream_tbDpT10_ENKUlT_T0_E_clISt17integral_constantIbLb0EES18_IbLb1EEEEDaS14_S15_EUlS14_E_NS1_11comp_targetILNS1_3genE9ELNS1_11target_archE1100ELNS1_3gpuE3ELNS1_3repE0EEENS1_30default_config_static_selectorELNS0_4arch9wavefront6targetE1EEEvT1_
		.amdhsa_group_segment_fixed_size 0
		.amdhsa_private_segment_fixed_size 0
		.amdhsa_kernarg_size 144
		.amdhsa_user_sgpr_count 2
		.amdhsa_user_sgpr_dispatch_ptr 0
		.amdhsa_user_sgpr_queue_ptr 0
		.amdhsa_user_sgpr_kernarg_segment_ptr 1
		.amdhsa_user_sgpr_dispatch_id 0
		.amdhsa_user_sgpr_kernarg_preload_length 0
		.amdhsa_user_sgpr_kernarg_preload_offset 0
		.amdhsa_user_sgpr_private_segment_size 0
		.amdhsa_uses_dynamic_stack 0
		.amdhsa_enable_private_segment 0
		.amdhsa_system_sgpr_workgroup_id_x 1
		.amdhsa_system_sgpr_workgroup_id_y 0
		.amdhsa_system_sgpr_workgroup_id_z 0
		.amdhsa_system_sgpr_workgroup_info 0
		.amdhsa_system_vgpr_workitem_id 0
		.amdhsa_next_free_vgpr 1
		.amdhsa_next_free_sgpr 0
		.amdhsa_accum_offset 4
		.amdhsa_reserve_vcc 0
		.amdhsa_float_round_mode_32 0
		.amdhsa_float_round_mode_16_64 0
		.amdhsa_float_denorm_mode_32 3
		.amdhsa_float_denorm_mode_16_64 3
		.amdhsa_dx10_clamp 1
		.amdhsa_ieee_mode 1
		.amdhsa_fp16_overflow 0
		.amdhsa_tg_split 0
		.amdhsa_exception_fp_ieee_invalid_op 0
		.amdhsa_exception_fp_denorm_src 0
		.amdhsa_exception_fp_ieee_div_zero 0
		.amdhsa_exception_fp_ieee_overflow 0
		.amdhsa_exception_fp_ieee_underflow 0
		.amdhsa_exception_fp_ieee_inexact 0
		.amdhsa_exception_int_div_zero 0
	.end_amdhsa_kernel
	.section	.text._ZN7rocprim17ROCPRIM_400000_NS6detail17trampoline_kernelINS0_14default_configENS1_25partition_config_selectorILNS1_17partition_subalgoE0EjNS0_10empty_typeEbEEZZNS1_14partition_implILS5_0ELb0ES3_jN6thrust23THRUST_200600_302600_NS6detail15normal_iteratorINSA_10device_ptrIjEEEEPS6_SG_NS0_5tupleIJNSA_16discard_iteratorINSA_11use_defaultEEESF_EEENSH_IJSG_SG_EEES6_PlJ7is_evenIjEEEE10hipError_tPvRmT3_T4_T5_T6_T7_T9_mT8_P12ihipStream_tbDpT10_ENKUlT_T0_E_clISt17integral_constantIbLb0EES18_IbLb1EEEEDaS14_S15_EUlS14_E_NS1_11comp_targetILNS1_3genE9ELNS1_11target_archE1100ELNS1_3gpuE3ELNS1_3repE0EEENS1_30default_config_static_selectorELNS0_4arch9wavefront6targetE1EEEvT1_,"axG",@progbits,_ZN7rocprim17ROCPRIM_400000_NS6detail17trampoline_kernelINS0_14default_configENS1_25partition_config_selectorILNS1_17partition_subalgoE0EjNS0_10empty_typeEbEEZZNS1_14partition_implILS5_0ELb0ES3_jN6thrust23THRUST_200600_302600_NS6detail15normal_iteratorINSA_10device_ptrIjEEEEPS6_SG_NS0_5tupleIJNSA_16discard_iteratorINSA_11use_defaultEEESF_EEENSH_IJSG_SG_EEES6_PlJ7is_evenIjEEEE10hipError_tPvRmT3_T4_T5_T6_T7_T9_mT8_P12ihipStream_tbDpT10_ENKUlT_T0_E_clISt17integral_constantIbLb0EES18_IbLb1EEEEDaS14_S15_EUlS14_E_NS1_11comp_targetILNS1_3genE9ELNS1_11target_archE1100ELNS1_3gpuE3ELNS1_3repE0EEENS1_30default_config_static_selectorELNS0_4arch9wavefront6targetE1EEEvT1_,comdat
.Lfunc_end2489:
	.size	_ZN7rocprim17ROCPRIM_400000_NS6detail17trampoline_kernelINS0_14default_configENS1_25partition_config_selectorILNS1_17partition_subalgoE0EjNS0_10empty_typeEbEEZZNS1_14partition_implILS5_0ELb0ES3_jN6thrust23THRUST_200600_302600_NS6detail15normal_iteratorINSA_10device_ptrIjEEEEPS6_SG_NS0_5tupleIJNSA_16discard_iteratorINSA_11use_defaultEEESF_EEENSH_IJSG_SG_EEES6_PlJ7is_evenIjEEEE10hipError_tPvRmT3_T4_T5_T6_T7_T9_mT8_P12ihipStream_tbDpT10_ENKUlT_T0_E_clISt17integral_constantIbLb0EES18_IbLb1EEEEDaS14_S15_EUlS14_E_NS1_11comp_targetILNS1_3genE9ELNS1_11target_archE1100ELNS1_3gpuE3ELNS1_3repE0EEENS1_30default_config_static_selectorELNS0_4arch9wavefront6targetE1EEEvT1_, .Lfunc_end2489-_ZN7rocprim17ROCPRIM_400000_NS6detail17trampoline_kernelINS0_14default_configENS1_25partition_config_selectorILNS1_17partition_subalgoE0EjNS0_10empty_typeEbEEZZNS1_14partition_implILS5_0ELb0ES3_jN6thrust23THRUST_200600_302600_NS6detail15normal_iteratorINSA_10device_ptrIjEEEEPS6_SG_NS0_5tupleIJNSA_16discard_iteratorINSA_11use_defaultEEESF_EEENSH_IJSG_SG_EEES6_PlJ7is_evenIjEEEE10hipError_tPvRmT3_T4_T5_T6_T7_T9_mT8_P12ihipStream_tbDpT10_ENKUlT_T0_E_clISt17integral_constantIbLb0EES18_IbLb1EEEEDaS14_S15_EUlS14_E_NS1_11comp_targetILNS1_3genE9ELNS1_11target_archE1100ELNS1_3gpuE3ELNS1_3repE0EEENS1_30default_config_static_selectorELNS0_4arch9wavefront6targetE1EEEvT1_
                                        ; -- End function
	.section	.AMDGPU.csdata,"",@progbits
; Kernel info:
; codeLenInByte = 0
; NumSgprs: 6
; NumVgprs: 0
; NumAgprs: 0
; TotalNumVgprs: 0
; ScratchSize: 0
; MemoryBound: 0
; FloatMode: 240
; IeeeMode: 1
; LDSByteSize: 0 bytes/workgroup (compile time only)
; SGPRBlocks: 0
; VGPRBlocks: 0
; NumSGPRsForWavesPerEU: 6
; NumVGPRsForWavesPerEU: 1
; AccumOffset: 4
; Occupancy: 8
; WaveLimiterHint : 0
; COMPUTE_PGM_RSRC2:SCRATCH_EN: 0
; COMPUTE_PGM_RSRC2:USER_SGPR: 2
; COMPUTE_PGM_RSRC2:TRAP_HANDLER: 0
; COMPUTE_PGM_RSRC2:TGID_X_EN: 1
; COMPUTE_PGM_RSRC2:TGID_Y_EN: 0
; COMPUTE_PGM_RSRC2:TGID_Z_EN: 0
; COMPUTE_PGM_RSRC2:TIDIG_COMP_CNT: 0
; COMPUTE_PGM_RSRC3_GFX90A:ACCUM_OFFSET: 0
; COMPUTE_PGM_RSRC3_GFX90A:TG_SPLIT: 0
	.section	.text._ZN7rocprim17ROCPRIM_400000_NS6detail17trampoline_kernelINS0_14default_configENS1_25partition_config_selectorILNS1_17partition_subalgoE0EjNS0_10empty_typeEbEEZZNS1_14partition_implILS5_0ELb0ES3_jN6thrust23THRUST_200600_302600_NS6detail15normal_iteratorINSA_10device_ptrIjEEEEPS6_SG_NS0_5tupleIJNSA_16discard_iteratorINSA_11use_defaultEEESF_EEENSH_IJSG_SG_EEES6_PlJ7is_evenIjEEEE10hipError_tPvRmT3_T4_T5_T6_T7_T9_mT8_P12ihipStream_tbDpT10_ENKUlT_T0_E_clISt17integral_constantIbLb0EES18_IbLb1EEEEDaS14_S15_EUlS14_E_NS1_11comp_targetILNS1_3genE8ELNS1_11target_archE1030ELNS1_3gpuE2ELNS1_3repE0EEENS1_30default_config_static_selectorELNS0_4arch9wavefront6targetE1EEEvT1_,"axG",@progbits,_ZN7rocprim17ROCPRIM_400000_NS6detail17trampoline_kernelINS0_14default_configENS1_25partition_config_selectorILNS1_17partition_subalgoE0EjNS0_10empty_typeEbEEZZNS1_14partition_implILS5_0ELb0ES3_jN6thrust23THRUST_200600_302600_NS6detail15normal_iteratorINSA_10device_ptrIjEEEEPS6_SG_NS0_5tupleIJNSA_16discard_iteratorINSA_11use_defaultEEESF_EEENSH_IJSG_SG_EEES6_PlJ7is_evenIjEEEE10hipError_tPvRmT3_T4_T5_T6_T7_T9_mT8_P12ihipStream_tbDpT10_ENKUlT_T0_E_clISt17integral_constantIbLb0EES18_IbLb1EEEEDaS14_S15_EUlS14_E_NS1_11comp_targetILNS1_3genE8ELNS1_11target_archE1030ELNS1_3gpuE2ELNS1_3repE0EEENS1_30default_config_static_selectorELNS0_4arch9wavefront6targetE1EEEvT1_,comdat
	.protected	_ZN7rocprim17ROCPRIM_400000_NS6detail17trampoline_kernelINS0_14default_configENS1_25partition_config_selectorILNS1_17partition_subalgoE0EjNS0_10empty_typeEbEEZZNS1_14partition_implILS5_0ELb0ES3_jN6thrust23THRUST_200600_302600_NS6detail15normal_iteratorINSA_10device_ptrIjEEEEPS6_SG_NS0_5tupleIJNSA_16discard_iteratorINSA_11use_defaultEEESF_EEENSH_IJSG_SG_EEES6_PlJ7is_evenIjEEEE10hipError_tPvRmT3_T4_T5_T6_T7_T9_mT8_P12ihipStream_tbDpT10_ENKUlT_T0_E_clISt17integral_constantIbLb0EES18_IbLb1EEEEDaS14_S15_EUlS14_E_NS1_11comp_targetILNS1_3genE8ELNS1_11target_archE1030ELNS1_3gpuE2ELNS1_3repE0EEENS1_30default_config_static_selectorELNS0_4arch9wavefront6targetE1EEEvT1_ ; -- Begin function _ZN7rocprim17ROCPRIM_400000_NS6detail17trampoline_kernelINS0_14default_configENS1_25partition_config_selectorILNS1_17partition_subalgoE0EjNS0_10empty_typeEbEEZZNS1_14partition_implILS5_0ELb0ES3_jN6thrust23THRUST_200600_302600_NS6detail15normal_iteratorINSA_10device_ptrIjEEEEPS6_SG_NS0_5tupleIJNSA_16discard_iteratorINSA_11use_defaultEEESF_EEENSH_IJSG_SG_EEES6_PlJ7is_evenIjEEEE10hipError_tPvRmT3_T4_T5_T6_T7_T9_mT8_P12ihipStream_tbDpT10_ENKUlT_T0_E_clISt17integral_constantIbLb0EES18_IbLb1EEEEDaS14_S15_EUlS14_E_NS1_11comp_targetILNS1_3genE8ELNS1_11target_archE1030ELNS1_3gpuE2ELNS1_3repE0EEENS1_30default_config_static_selectorELNS0_4arch9wavefront6targetE1EEEvT1_
	.globl	_ZN7rocprim17ROCPRIM_400000_NS6detail17trampoline_kernelINS0_14default_configENS1_25partition_config_selectorILNS1_17partition_subalgoE0EjNS0_10empty_typeEbEEZZNS1_14partition_implILS5_0ELb0ES3_jN6thrust23THRUST_200600_302600_NS6detail15normal_iteratorINSA_10device_ptrIjEEEEPS6_SG_NS0_5tupleIJNSA_16discard_iteratorINSA_11use_defaultEEESF_EEENSH_IJSG_SG_EEES6_PlJ7is_evenIjEEEE10hipError_tPvRmT3_T4_T5_T6_T7_T9_mT8_P12ihipStream_tbDpT10_ENKUlT_T0_E_clISt17integral_constantIbLb0EES18_IbLb1EEEEDaS14_S15_EUlS14_E_NS1_11comp_targetILNS1_3genE8ELNS1_11target_archE1030ELNS1_3gpuE2ELNS1_3repE0EEENS1_30default_config_static_selectorELNS0_4arch9wavefront6targetE1EEEvT1_
	.p2align	8
	.type	_ZN7rocprim17ROCPRIM_400000_NS6detail17trampoline_kernelINS0_14default_configENS1_25partition_config_selectorILNS1_17partition_subalgoE0EjNS0_10empty_typeEbEEZZNS1_14partition_implILS5_0ELb0ES3_jN6thrust23THRUST_200600_302600_NS6detail15normal_iteratorINSA_10device_ptrIjEEEEPS6_SG_NS0_5tupleIJNSA_16discard_iteratorINSA_11use_defaultEEESF_EEENSH_IJSG_SG_EEES6_PlJ7is_evenIjEEEE10hipError_tPvRmT3_T4_T5_T6_T7_T9_mT8_P12ihipStream_tbDpT10_ENKUlT_T0_E_clISt17integral_constantIbLb0EES18_IbLb1EEEEDaS14_S15_EUlS14_E_NS1_11comp_targetILNS1_3genE8ELNS1_11target_archE1030ELNS1_3gpuE2ELNS1_3repE0EEENS1_30default_config_static_selectorELNS0_4arch9wavefront6targetE1EEEvT1_,@function
_ZN7rocprim17ROCPRIM_400000_NS6detail17trampoline_kernelINS0_14default_configENS1_25partition_config_selectorILNS1_17partition_subalgoE0EjNS0_10empty_typeEbEEZZNS1_14partition_implILS5_0ELb0ES3_jN6thrust23THRUST_200600_302600_NS6detail15normal_iteratorINSA_10device_ptrIjEEEEPS6_SG_NS0_5tupleIJNSA_16discard_iteratorINSA_11use_defaultEEESF_EEENSH_IJSG_SG_EEES6_PlJ7is_evenIjEEEE10hipError_tPvRmT3_T4_T5_T6_T7_T9_mT8_P12ihipStream_tbDpT10_ENKUlT_T0_E_clISt17integral_constantIbLb0EES18_IbLb1EEEEDaS14_S15_EUlS14_E_NS1_11comp_targetILNS1_3genE8ELNS1_11target_archE1030ELNS1_3gpuE2ELNS1_3repE0EEENS1_30default_config_static_selectorELNS0_4arch9wavefront6targetE1EEEvT1_: ; @_ZN7rocprim17ROCPRIM_400000_NS6detail17trampoline_kernelINS0_14default_configENS1_25partition_config_selectorILNS1_17partition_subalgoE0EjNS0_10empty_typeEbEEZZNS1_14partition_implILS5_0ELb0ES3_jN6thrust23THRUST_200600_302600_NS6detail15normal_iteratorINSA_10device_ptrIjEEEEPS6_SG_NS0_5tupleIJNSA_16discard_iteratorINSA_11use_defaultEEESF_EEENSH_IJSG_SG_EEES6_PlJ7is_evenIjEEEE10hipError_tPvRmT3_T4_T5_T6_T7_T9_mT8_P12ihipStream_tbDpT10_ENKUlT_T0_E_clISt17integral_constantIbLb0EES18_IbLb1EEEEDaS14_S15_EUlS14_E_NS1_11comp_targetILNS1_3genE8ELNS1_11target_archE1030ELNS1_3gpuE2ELNS1_3repE0EEENS1_30default_config_static_selectorELNS0_4arch9wavefront6targetE1EEEvT1_
; %bb.0:
	.section	.rodata,"a",@progbits
	.p2align	6, 0x0
	.amdhsa_kernel _ZN7rocprim17ROCPRIM_400000_NS6detail17trampoline_kernelINS0_14default_configENS1_25partition_config_selectorILNS1_17partition_subalgoE0EjNS0_10empty_typeEbEEZZNS1_14partition_implILS5_0ELb0ES3_jN6thrust23THRUST_200600_302600_NS6detail15normal_iteratorINSA_10device_ptrIjEEEEPS6_SG_NS0_5tupleIJNSA_16discard_iteratorINSA_11use_defaultEEESF_EEENSH_IJSG_SG_EEES6_PlJ7is_evenIjEEEE10hipError_tPvRmT3_T4_T5_T6_T7_T9_mT8_P12ihipStream_tbDpT10_ENKUlT_T0_E_clISt17integral_constantIbLb0EES18_IbLb1EEEEDaS14_S15_EUlS14_E_NS1_11comp_targetILNS1_3genE8ELNS1_11target_archE1030ELNS1_3gpuE2ELNS1_3repE0EEENS1_30default_config_static_selectorELNS0_4arch9wavefront6targetE1EEEvT1_
		.amdhsa_group_segment_fixed_size 0
		.amdhsa_private_segment_fixed_size 0
		.amdhsa_kernarg_size 144
		.amdhsa_user_sgpr_count 2
		.amdhsa_user_sgpr_dispatch_ptr 0
		.amdhsa_user_sgpr_queue_ptr 0
		.amdhsa_user_sgpr_kernarg_segment_ptr 1
		.amdhsa_user_sgpr_dispatch_id 0
		.amdhsa_user_sgpr_kernarg_preload_length 0
		.amdhsa_user_sgpr_kernarg_preload_offset 0
		.amdhsa_user_sgpr_private_segment_size 0
		.amdhsa_uses_dynamic_stack 0
		.amdhsa_enable_private_segment 0
		.amdhsa_system_sgpr_workgroup_id_x 1
		.amdhsa_system_sgpr_workgroup_id_y 0
		.amdhsa_system_sgpr_workgroup_id_z 0
		.amdhsa_system_sgpr_workgroup_info 0
		.amdhsa_system_vgpr_workitem_id 0
		.amdhsa_next_free_vgpr 1
		.amdhsa_next_free_sgpr 0
		.amdhsa_accum_offset 4
		.amdhsa_reserve_vcc 0
		.amdhsa_float_round_mode_32 0
		.amdhsa_float_round_mode_16_64 0
		.amdhsa_float_denorm_mode_32 3
		.amdhsa_float_denorm_mode_16_64 3
		.amdhsa_dx10_clamp 1
		.amdhsa_ieee_mode 1
		.amdhsa_fp16_overflow 0
		.amdhsa_tg_split 0
		.amdhsa_exception_fp_ieee_invalid_op 0
		.amdhsa_exception_fp_denorm_src 0
		.amdhsa_exception_fp_ieee_div_zero 0
		.amdhsa_exception_fp_ieee_overflow 0
		.amdhsa_exception_fp_ieee_underflow 0
		.amdhsa_exception_fp_ieee_inexact 0
		.amdhsa_exception_int_div_zero 0
	.end_amdhsa_kernel
	.section	.text._ZN7rocprim17ROCPRIM_400000_NS6detail17trampoline_kernelINS0_14default_configENS1_25partition_config_selectorILNS1_17partition_subalgoE0EjNS0_10empty_typeEbEEZZNS1_14partition_implILS5_0ELb0ES3_jN6thrust23THRUST_200600_302600_NS6detail15normal_iteratorINSA_10device_ptrIjEEEEPS6_SG_NS0_5tupleIJNSA_16discard_iteratorINSA_11use_defaultEEESF_EEENSH_IJSG_SG_EEES6_PlJ7is_evenIjEEEE10hipError_tPvRmT3_T4_T5_T6_T7_T9_mT8_P12ihipStream_tbDpT10_ENKUlT_T0_E_clISt17integral_constantIbLb0EES18_IbLb1EEEEDaS14_S15_EUlS14_E_NS1_11comp_targetILNS1_3genE8ELNS1_11target_archE1030ELNS1_3gpuE2ELNS1_3repE0EEENS1_30default_config_static_selectorELNS0_4arch9wavefront6targetE1EEEvT1_,"axG",@progbits,_ZN7rocprim17ROCPRIM_400000_NS6detail17trampoline_kernelINS0_14default_configENS1_25partition_config_selectorILNS1_17partition_subalgoE0EjNS0_10empty_typeEbEEZZNS1_14partition_implILS5_0ELb0ES3_jN6thrust23THRUST_200600_302600_NS6detail15normal_iteratorINSA_10device_ptrIjEEEEPS6_SG_NS0_5tupleIJNSA_16discard_iteratorINSA_11use_defaultEEESF_EEENSH_IJSG_SG_EEES6_PlJ7is_evenIjEEEE10hipError_tPvRmT3_T4_T5_T6_T7_T9_mT8_P12ihipStream_tbDpT10_ENKUlT_T0_E_clISt17integral_constantIbLb0EES18_IbLb1EEEEDaS14_S15_EUlS14_E_NS1_11comp_targetILNS1_3genE8ELNS1_11target_archE1030ELNS1_3gpuE2ELNS1_3repE0EEENS1_30default_config_static_selectorELNS0_4arch9wavefront6targetE1EEEvT1_,comdat
.Lfunc_end2490:
	.size	_ZN7rocprim17ROCPRIM_400000_NS6detail17trampoline_kernelINS0_14default_configENS1_25partition_config_selectorILNS1_17partition_subalgoE0EjNS0_10empty_typeEbEEZZNS1_14partition_implILS5_0ELb0ES3_jN6thrust23THRUST_200600_302600_NS6detail15normal_iteratorINSA_10device_ptrIjEEEEPS6_SG_NS0_5tupleIJNSA_16discard_iteratorINSA_11use_defaultEEESF_EEENSH_IJSG_SG_EEES6_PlJ7is_evenIjEEEE10hipError_tPvRmT3_T4_T5_T6_T7_T9_mT8_P12ihipStream_tbDpT10_ENKUlT_T0_E_clISt17integral_constantIbLb0EES18_IbLb1EEEEDaS14_S15_EUlS14_E_NS1_11comp_targetILNS1_3genE8ELNS1_11target_archE1030ELNS1_3gpuE2ELNS1_3repE0EEENS1_30default_config_static_selectorELNS0_4arch9wavefront6targetE1EEEvT1_, .Lfunc_end2490-_ZN7rocprim17ROCPRIM_400000_NS6detail17trampoline_kernelINS0_14default_configENS1_25partition_config_selectorILNS1_17partition_subalgoE0EjNS0_10empty_typeEbEEZZNS1_14partition_implILS5_0ELb0ES3_jN6thrust23THRUST_200600_302600_NS6detail15normal_iteratorINSA_10device_ptrIjEEEEPS6_SG_NS0_5tupleIJNSA_16discard_iteratorINSA_11use_defaultEEESF_EEENSH_IJSG_SG_EEES6_PlJ7is_evenIjEEEE10hipError_tPvRmT3_T4_T5_T6_T7_T9_mT8_P12ihipStream_tbDpT10_ENKUlT_T0_E_clISt17integral_constantIbLb0EES18_IbLb1EEEEDaS14_S15_EUlS14_E_NS1_11comp_targetILNS1_3genE8ELNS1_11target_archE1030ELNS1_3gpuE2ELNS1_3repE0EEENS1_30default_config_static_selectorELNS0_4arch9wavefront6targetE1EEEvT1_
                                        ; -- End function
	.section	.AMDGPU.csdata,"",@progbits
; Kernel info:
; codeLenInByte = 0
; NumSgprs: 6
; NumVgprs: 0
; NumAgprs: 0
; TotalNumVgprs: 0
; ScratchSize: 0
; MemoryBound: 0
; FloatMode: 240
; IeeeMode: 1
; LDSByteSize: 0 bytes/workgroup (compile time only)
; SGPRBlocks: 0
; VGPRBlocks: 0
; NumSGPRsForWavesPerEU: 6
; NumVGPRsForWavesPerEU: 1
; AccumOffset: 4
; Occupancy: 8
; WaveLimiterHint : 0
; COMPUTE_PGM_RSRC2:SCRATCH_EN: 0
; COMPUTE_PGM_RSRC2:USER_SGPR: 2
; COMPUTE_PGM_RSRC2:TRAP_HANDLER: 0
; COMPUTE_PGM_RSRC2:TGID_X_EN: 1
; COMPUTE_PGM_RSRC2:TGID_Y_EN: 0
; COMPUTE_PGM_RSRC2:TGID_Z_EN: 0
; COMPUTE_PGM_RSRC2:TIDIG_COMP_CNT: 0
; COMPUTE_PGM_RSRC3_GFX90A:ACCUM_OFFSET: 0
; COMPUTE_PGM_RSRC3_GFX90A:TG_SPLIT: 0
	.section	.text._ZN7rocprim17ROCPRIM_400000_NS6detail17trampoline_kernelINS0_14default_configENS1_25partition_config_selectorILNS1_17partition_subalgoE0EtNS0_10empty_typeEbEEZZNS1_14partition_implILS5_0ELb0ES3_jN6thrust23THRUST_200600_302600_NS6detail15normal_iteratorINSA_10device_ptrItEEEEPS6_SG_NS0_5tupleIJNSA_16discard_iteratorINSA_11use_defaultEEESK_EEENSH_IJSG_SG_EEES6_PlJ7is_evenItEEEE10hipError_tPvRmT3_T4_T5_T6_T7_T9_mT8_P12ihipStream_tbDpT10_ENKUlT_T0_E_clISt17integral_constantIbLb0EES19_EEDaS14_S15_EUlS14_E_NS1_11comp_targetILNS1_3genE0ELNS1_11target_archE4294967295ELNS1_3gpuE0ELNS1_3repE0EEENS1_30default_config_static_selectorELNS0_4arch9wavefront6targetE1EEEvT1_,"axG",@progbits,_ZN7rocprim17ROCPRIM_400000_NS6detail17trampoline_kernelINS0_14default_configENS1_25partition_config_selectorILNS1_17partition_subalgoE0EtNS0_10empty_typeEbEEZZNS1_14partition_implILS5_0ELb0ES3_jN6thrust23THRUST_200600_302600_NS6detail15normal_iteratorINSA_10device_ptrItEEEEPS6_SG_NS0_5tupleIJNSA_16discard_iteratorINSA_11use_defaultEEESK_EEENSH_IJSG_SG_EEES6_PlJ7is_evenItEEEE10hipError_tPvRmT3_T4_T5_T6_T7_T9_mT8_P12ihipStream_tbDpT10_ENKUlT_T0_E_clISt17integral_constantIbLb0EES19_EEDaS14_S15_EUlS14_E_NS1_11comp_targetILNS1_3genE0ELNS1_11target_archE4294967295ELNS1_3gpuE0ELNS1_3repE0EEENS1_30default_config_static_selectorELNS0_4arch9wavefront6targetE1EEEvT1_,comdat
	.protected	_ZN7rocprim17ROCPRIM_400000_NS6detail17trampoline_kernelINS0_14default_configENS1_25partition_config_selectorILNS1_17partition_subalgoE0EtNS0_10empty_typeEbEEZZNS1_14partition_implILS5_0ELb0ES3_jN6thrust23THRUST_200600_302600_NS6detail15normal_iteratorINSA_10device_ptrItEEEEPS6_SG_NS0_5tupleIJNSA_16discard_iteratorINSA_11use_defaultEEESK_EEENSH_IJSG_SG_EEES6_PlJ7is_evenItEEEE10hipError_tPvRmT3_T4_T5_T6_T7_T9_mT8_P12ihipStream_tbDpT10_ENKUlT_T0_E_clISt17integral_constantIbLb0EES19_EEDaS14_S15_EUlS14_E_NS1_11comp_targetILNS1_3genE0ELNS1_11target_archE4294967295ELNS1_3gpuE0ELNS1_3repE0EEENS1_30default_config_static_selectorELNS0_4arch9wavefront6targetE1EEEvT1_ ; -- Begin function _ZN7rocprim17ROCPRIM_400000_NS6detail17trampoline_kernelINS0_14default_configENS1_25partition_config_selectorILNS1_17partition_subalgoE0EtNS0_10empty_typeEbEEZZNS1_14partition_implILS5_0ELb0ES3_jN6thrust23THRUST_200600_302600_NS6detail15normal_iteratorINSA_10device_ptrItEEEEPS6_SG_NS0_5tupleIJNSA_16discard_iteratorINSA_11use_defaultEEESK_EEENSH_IJSG_SG_EEES6_PlJ7is_evenItEEEE10hipError_tPvRmT3_T4_T5_T6_T7_T9_mT8_P12ihipStream_tbDpT10_ENKUlT_T0_E_clISt17integral_constantIbLb0EES19_EEDaS14_S15_EUlS14_E_NS1_11comp_targetILNS1_3genE0ELNS1_11target_archE4294967295ELNS1_3gpuE0ELNS1_3repE0EEENS1_30default_config_static_selectorELNS0_4arch9wavefront6targetE1EEEvT1_
	.globl	_ZN7rocprim17ROCPRIM_400000_NS6detail17trampoline_kernelINS0_14default_configENS1_25partition_config_selectorILNS1_17partition_subalgoE0EtNS0_10empty_typeEbEEZZNS1_14partition_implILS5_0ELb0ES3_jN6thrust23THRUST_200600_302600_NS6detail15normal_iteratorINSA_10device_ptrItEEEEPS6_SG_NS0_5tupleIJNSA_16discard_iteratorINSA_11use_defaultEEESK_EEENSH_IJSG_SG_EEES6_PlJ7is_evenItEEEE10hipError_tPvRmT3_T4_T5_T6_T7_T9_mT8_P12ihipStream_tbDpT10_ENKUlT_T0_E_clISt17integral_constantIbLb0EES19_EEDaS14_S15_EUlS14_E_NS1_11comp_targetILNS1_3genE0ELNS1_11target_archE4294967295ELNS1_3gpuE0ELNS1_3repE0EEENS1_30default_config_static_selectorELNS0_4arch9wavefront6targetE1EEEvT1_
	.p2align	8
	.type	_ZN7rocprim17ROCPRIM_400000_NS6detail17trampoline_kernelINS0_14default_configENS1_25partition_config_selectorILNS1_17partition_subalgoE0EtNS0_10empty_typeEbEEZZNS1_14partition_implILS5_0ELb0ES3_jN6thrust23THRUST_200600_302600_NS6detail15normal_iteratorINSA_10device_ptrItEEEEPS6_SG_NS0_5tupleIJNSA_16discard_iteratorINSA_11use_defaultEEESK_EEENSH_IJSG_SG_EEES6_PlJ7is_evenItEEEE10hipError_tPvRmT3_T4_T5_T6_T7_T9_mT8_P12ihipStream_tbDpT10_ENKUlT_T0_E_clISt17integral_constantIbLb0EES19_EEDaS14_S15_EUlS14_E_NS1_11comp_targetILNS1_3genE0ELNS1_11target_archE4294967295ELNS1_3gpuE0ELNS1_3repE0EEENS1_30default_config_static_selectorELNS0_4arch9wavefront6targetE1EEEvT1_,@function
_ZN7rocprim17ROCPRIM_400000_NS6detail17trampoline_kernelINS0_14default_configENS1_25partition_config_selectorILNS1_17partition_subalgoE0EtNS0_10empty_typeEbEEZZNS1_14partition_implILS5_0ELb0ES3_jN6thrust23THRUST_200600_302600_NS6detail15normal_iteratorINSA_10device_ptrItEEEEPS6_SG_NS0_5tupleIJNSA_16discard_iteratorINSA_11use_defaultEEESK_EEENSH_IJSG_SG_EEES6_PlJ7is_evenItEEEE10hipError_tPvRmT3_T4_T5_T6_T7_T9_mT8_P12ihipStream_tbDpT10_ENKUlT_T0_E_clISt17integral_constantIbLb0EES19_EEDaS14_S15_EUlS14_E_NS1_11comp_targetILNS1_3genE0ELNS1_11target_archE4294967295ELNS1_3gpuE0ELNS1_3repE0EEENS1_30default_config_static_selectorELNS0_4arch9wavefront6targetE1EEEvT1_: ; @_ZN7rocprim17ROCPRIM_400000_NS6detail17trampoline_kernelINS0_14default_configENS1_25partition_config_selectorILNS1_17partition_subalgoE0EtNS0_10empty_typeEbEEZZNS1_14partition_implILS5_0ELb0ES3_jN6thrust23THRUST_200600_302600_NS6detail15normal_iteratorINSA_10device_ptrItEEEEPS6_SG_NS0_5tupleIJNSA_16discard_iteratorINSA_11use_defaultEEESK_EEENSH_IJSG_SG_EEES6_PlJ7is_evenItEEEE10hipError_tPvRmT3_T4_T5_T6_T7_T9_mT8_P12ihipStream_tbDpT10_ENKUlT_T0_E_clISt17integral_constantIbLb0EES19_EEDaS14_S15_EUlS14_E_NS1_11comp_targetILNS1_3genE0ELNS1_11target_archE4294967295ELNS1_3gpuE0ELNS1_3repE0EEENS1_30default_config_static_selectorELNS0_4arch9wavefront6targetE1EEEvT1_
; %bb.0:
	.section	.rodata,"a",@progbits
	.p2align	6, 0x0
	.amdhsa_kernel _ZN7rocprim17ROCPRIM_400000_NS6detail17trampoline_kernelINS0_14default_configENS1_25partition_config_selectorILNS1_17partition_subalgoE0EtNS0_10empty_typeEbEEZZNS1_14partition_implILS5_0ELb0ES3_jN6thrust23THRUST_200600_302600_NS6detail15normal_iteratorINSA_10device_ptrItEEEEPS6_SG_NS0_5tupleIJNSA_16discard_iteratorINSA_11use_defaultEEESK_EEENSH_IJSG_SG_EEES6_PlJ7is_evenItEEEE10hipError_tPvRmT3_T4_T5_T6_T7_T9_mT8_P12ihipStream_tbDpT10_ENKUlT_T0_E_clISt17integral_constantIbLb0EES19_EEDaS14_S15_EUlS14_E_NS1_11comp_targetILNS1_3genE0ELNS1_11target_archE4294967295ELNS1_3gpuE0ELNS1_3repE0EEENS1_30default_config_static_selectorELNS0_4arch9wavefront6targetE1EEEvT1_
		.amdhsa_group_segment_fixed_size 0
		.amdhsa_private_segment_fixed_size 0
		.amdhsa_kernarg_size 136
		.amdhsa_user_sgpr_count 2
		.amdhsa_user_sgpr_dispatch_ptr 0
		.amdhsa_user_sgpr_queue_ptr 0
		.amdhsa_user_sgpr_kernarg_segment_ptr 1
		.amdhsa_user_sgpr_dispatch_id 0
		.amdhsa_user_sgpr_kernarg_preload_length 0
		.amdhsa_user_sgpr_kernarg_preload_offset 0
		.amdhsa_user_sgpr_private_segment_size 0
		.amdhsa_uses_dynamic_stack 0
		.amdhsa_enable_private_segment 0
		.amdhsa_system_sgpr_workgroup_id_x 1
		.amdhsa_system_sgpr_workgroup_id_y 0
		.amdhsa_system_sgpr_workgroup_id_z 0
		.amdhsa_system_sgpr_workgroup_info 0
		.amdhsa_system_vgpr_workitem_id 0
		.amdhsa_next_free_vgpr 1
		.amdhsa_next_free_sgpr 0
		.amdhsa_accum_offset 4
		.amdhsa_reserve_vcc 0
		.amdhsa_float_round_mode_32 0
		.amdhsa_float_round_mode_16_64 0
		.amdhsa_float_denorm_mode_32 3
		.amdhsa_float_denorm_mode_16_64 3
		.amdhsa_dx10_clamp 1
		.amdhsa_ieee_mode 1
		.amdhsa_fp16_overflow 0
		.amdhsa_tg_split 0
		.amdhsa_exception_fp_ieee_invalid_op 0
		.amdhsa_exception_fp_denorm_src 0
		.amdhsa_exception_fp_ieee_div_zero 0
		.amdhsa_exception_fp_ieee_overflow 0
		.amdhsa_exception_fp_ieee_underflow 0
		.amdhsa_exception_fp_ieee_inexact 0
		.amdhsa_exception_int_div_zero 0
	.end_amdhsa_kernel
	.section	.text._ZN7rocprim17ROCPRIM_400000_NS6detail17trampoline_kernelINS0_14default_configENS1_25partition_config_selectorILNS1_17partition_subalgoE0EtNS0_10empty_typeEbEEZZNS1_14partition_implILS5_0ELb0ES3_jN6thrust23THRUST_200600_302600_NS6detail15normal_iteratorINSA_10device_ptrItEEEEPS6_SG_NS0_5tupleIJNSA_16discard_iteratorINSA_11use_defaultEEESK_EEENSH_IJSG_SG_EEES6_PlJ7is_evenItEEEE10hipError_tPvRmT3_T4_T5_T6_T7_T9_mT8_P12ihipStream_tbDpT10_ENKUlT_T0_E_clISt17integral_constantIbLb0EES19_EEDaS14_S15_EUlS14_E_NS1_11comp_targetILNS1_3genE0ELNS1_11target_archE4294967295ELNS1_3gpuE0ELNS1_3repE0EEENS1_30default_config_static_selectorELNS0_4arch9wavefront6targetE1EEEvT1_,"axG",@progbits,_ZN7rocprim17ROCPRIM_400000_NS6detail17trampoline_kernelINS0_14default_configENS1_25partition_config_selectorILNS1_17partition_subalgoE0EtNS0_10empty_typeEbEEZZNS1_14partition_implILS5_0ELb0ES3_jN6thrust23THRUST_200600_302600_NS6detail15normal_iteratorINSA_10device_ptrItEEEEPS6_SG_NS0_5tupleIJNSA_16discard_iteratorINSA_11use_defaultEEESK_EEENSH_IJSG_SG_EEES6_PlJ7is_evenItEEEE10hipError_tPvRmT3_T4_T5_T6_T7_T9_mT8_P12ihipStream_tbDpT10_ENKUlT_T0_E_clISt17integral_constantIbLb0EES19_EEDaS14_S15_EUlS14_E_NS1_11comp_targetILNS1_3genE0ELNS1_11target_archE4294967295ELNS1_3gpuE0ELNS1_3repE0EEENS1_30default_config_static_selectorELNS0_4arch9wavefront6targetE1EEEvT1_,comdat
.Lfunc_end2491:
	.size	_ZN7rocprim17ROCPRIM_400000_NS6detail17trampoline_kernelINS0_14default_configENS1_25partition_config_selectorILNS1_17partition_subalgoE0EtNS0_10empty_typeEbEEZZNS1_14partition_implILS5_0ELb0ES3_jN6thrust23THRUST_200600_302600_NS6detail15normal_iteratorINSA_10device_ptrItEEEEPS6_SG_NS0_5tupleIJNSA_16discard_iteratorINSA_11use_defaultEEESK_EEENSH_IJSG_SG_EEES6_PlJ7is_evenItEEEE10hipError_tPvRmT3_T4_T5_T6_T7_T9_mT8_P12ihipStream_tbDpT10_ENKUlT_T0_E_clISt17integral_constantIbLb0EES19_EEDaS14_S15_EUlS14_E_NS1_11comp_targetILNS1_3genE0ELNS1_11target_archE4294967295ELNS1_3gpuE0ELNS1_3repE0EEENS1_30default_config_static_selectorELNS0_4arch9wavefront6targetE1EEEvT1_, .Lfunc_end2491-_ZN7rocprim17ROCPRIM_400000_NS6detail17trampoline_kernelINS0_14default_configENS1_25partition_config_selectorILNS1_17partition_subalgoE0EtNS0_10empty_typeEbEEZZNS1_14partition_implILS5_0ELb0ES3_jN6thrust23THRUST_200600_302600_NS6detail15normal_iteratorINSA_10device_ptrItEEEEPS6_SG_NS0_5tupleIJNSA_16discard_iteratorINSA_11use_defaultEEESK_EEENSH_IJSG_SG_EEES6_PlJ7is_evenItEEEE10hipError_tPvRmT3_T4_T5_T6_T7_T9_mT8_P12ihipStream_tbDpT10_ENKUlT_T0_E_clISt17integral_constantIbLb0EES19_EEDaS14_S15_EUlS14_E_NS1_11comp_targetILNS1_3genE0ELNS1_11target_archE4294967295ELNS1_3gpuE0ELNS1_3repE0EEENS1_30default_config_static_selectorELNS0_4arch9wavefront6targetE1EEEvT1_
                                        ; -- End function
	.section	.AMDGPU.csdata,"",@progbits
; Kernel info:
; codeLenInByte = 0
; NumSgprs: 6
; NumVgprs: 0
; NumAgprs: 0
; TotalNumVgprs: 0
; ScratchSize: 0
; MemoryBound: 0
; FloatMode: 240
; IeeeMode: 1
; LDSByteSize: 0 bytes/workgroup (compile time only)
; SGPRBlocks: 0
; VGPRBlocks: 0
; NumSGPRsForWavesPerEU: 6
; NumVGPRsForWavesPerEU: 1
; AccumOffset: 4
; Occupancy: 8
; WaveLimiterHint : 0
; COMPUTE_PGM_RSRC2:SCRATCH_EN: 0
; COMPUTE_PGM_RSRC2:USER_SGPR: 2
; COMPUTE_PGM_RSRC2:TRAP_HANDLER: 0
; COMPUTE_PGM_RSRC2:TGID_X_EN: 1
; COMPUTE_PGM_RSRC2:TGID_Y_EN: 0
; COMPUTE_PGM_RSRC2:TGID_Z_EN: 0
; COMPUTE_PGM_RSRC2:TIDIG_COMP_CNT: 0
; COMPUTE_PGM_RSRC3_GFX90A:ACCUM_OFFSET: 0
; COMPUTE_PGM_RSRC3_GFX90A:TG_SPLIT: 0
	.section	.text._ZN7rocprim17ROCPRIM_400000_NS6detail17trampoline_kernelINS0_14default_configENS1_25partition_config_selectorILNS1_17partition_subalgoE0EtNS0_10empty_typeEbEEZZNS1_14partition_implILS5_0ELb0ES3_jN6thrust23THRUST_200600_302600_NS6detail15normal_iteratorINSA_10device_ptrItEEEEPS6_SG_NS0_5tupleIJNSA_16discard_iteratorINSA_11use_defaultEEESK_EEENSH_IJSG_SG_EEES6_PlJ7is_evenItEEEE10hipError_tPvRmT3_T4_T5_T6_T7_T9_mT8_P12ihipStream_tbDpT10_ENKUlT_T0_E_clISt17integral_constantIbLb0EES19_EEDaS14_S15_EUlS14_E_NS1_11comp_targetILNS1_3genE5ELNS1_11target_archE942ELNS1_3gpuE9ELNS1_3repE0EEENS1_30default_config_static_selectorELNS0_4arch9wavefront6targetE1EEEvT1_,"axG",@progbits,_ZN7rocprim17ROCPRIM_400000_NS6detail17trampoline_kernelINS0_14default_configENS1_25partition_config_selectorILNS1_17partition_subalgoE0EtNS0_10empty_typeEbEEZZNS1_14partition_implILS5_0ELb0ES3_jN6thrust23THRUST_200600_302600_NS6detail15normal_iteratorINSA_10device_ptrItEEEEPS6_SG_NS0_5tupleIJNSA_16discard_iteratorINSA_11use_defaultEEESK_EEENSH_IJSG_SG_EEES6_PlJ7is_evenItEEEE10hipError_tPvRmT3_T4_T5_T6_T7_T9_mT8_P12ihipStream_tbDpT10_ENKUlT_T0_E_clISt17integral_constantIbLb0EES19_EEDaS14_S15_EUlS14_E_NS1_11comp_targetILNS1_3genE5ELNS1_11target_archE942ELNS1_3gpuE9ELNS1_3repE0EEENS1_30default_config_static_selectorELNS0_4arch9wavefront6targetE1EEEvT1_,comdat
	.protected	_ZN7rocprim17ROCPRIM_400000_NS6detail17trampoline_kernelINS0_14default_configENS1_25partition_config_selectorILNS1_17partition_subalgoE0EtNS0_10empty_typeEbEEZZNS1_14partition_implILS5_0ELb0ES3_jN6thrust23THRUST_200600_302600_NS6detail15normal_iteratorINSA_10device_ptrItEEEEPS6_SG_NS0_5tupleIJNSA_16discard_iteratorINSA_11use_defaultEEESK_EEENSH_IJSG_SG_EEES6_PlJ7is_evenItEEEE10hipError_tPvRmT3_T4_T5_T6_T7_T9_mT8_P12ihipStream_tbDpT10_ENKUlT_T0_E_clISt17integral_constantIbLb0EES19_EEDaS14_S15_EUlS14_E_NS1_11comp_targetILNS1_3genE5ELNS1_11target_archE942ELNS1_3gpuE9ELNS1_3repE0EEENS1_30default_config_static_selectorELNS0_4arch9wavefront6targetE1EEEvT1_ ; -- Begin function _ZN7rocprim17ROCPRIM_400000_NS6detail17trampoline_kernelINS0_14default_configENS1_25partition_config_selectorILNS1_17partition_subalgoE0EtNS0_10empty_typeEbEEZZNS1_14partition_implILS5_0ELb0ES3_jN6thrust23THRUST_200600_302600_NS6detail15normal_iteratorINSA_10device_ptrItEEEEPS6_SG_NS0_5tupleIJNSA_16discard_iteratorINSA_11use_defaultEEESK_EEENSH_IJSG_SG_EEES6_PlJ7is_evenItEEEE10hipError_tPvRmT3_T4_T5_T6_T7_T9_mT8_P12ihipStream_tbDpT10_ENKUlT_T0_E_clISt17integral_constantIbLb0EES19_EEDaS14_S15_EUlS14_E_NS1_11comp_targetILNS1_3genE5ELNS1_11target_archE942ELNS1_3gpuE9ELNS1_3repE0EEENS1_30default_config_static_selectorELNS0_4arch9wavefront6targetE1EEEvT1_
	.globl	_ZN7rocprim17ROCPRIM_400000_NS6detail17trampoline_kernelINS0_14default_configENS1_25partition_config_selectorILNS1_17partition_subalgoE0EtNS0_10empty_typeEbEEZZNS1_14partition_implILS5_0ELb0ES3_jN6thrust23THRUST_200600_302600_NS6detail15normal_iteratorINSA_10device_ptrItEEEEPS6_SG_NS0_5tupleIJNSA_16discard_iteratorINSA_11use_defaultEEESK_EEENSH_IJSG_SG_EEES6_PlJ7is_evenItEEEE10hipError_tPvRmT3_T4_T5_T6_T7_T9_mT8_P12ihipStream_tbDpT10_ENKUlT_T0_E_clISt17integral_constantIbLb0EES19_EEDaS14_S15_EUlS14_E_NS1_11comp_targetILNS1_3genE5ELNS1_11target_archE942ELNS1_3gpuE9ELNS1_3repE0EEENS1_30default_config_static_selectorELNS0_4arch9wavefront6targetE1EEEvT1_
	.p2align	8
	.type	_ZN7rocprim17ROCPRIM_400000_NS6detail17trampoline_kernelINS0_14default_configENS1_25partition_config_selectorILNS1_17partition_subalgoE0EtNS0_10empty_typeEbEEZZNS1_14partition_implILS5_0ELb0ES3_jN6thrust23THRUST_200600_302600_NS6detail15normal_iteratorINSA_10device_ptrItEEEEPS6_SG_NS0_5tupleIJNSA_16discard_iteratorINSA_11use_defaultEEESK_EEENSH_IJSG_SG_EEES6_PlJ7is_evenItEEEE10hipError_tPvRmT3_T4_T5_T6_T7_T9_mT8_P12ihipStream_tbDpT10_ENKUlT_T0_E_clISt17integral_constantIbLb0EES19_EEDaS14_S15_EUlS14_E_NS1_11comp_targetILNS1_3genE5ELNS1_11target_archE942ELNS1_3gpuE9ELNS1_3repE0EEENS1_30default_config_static_selectorELNS0_4arch9wavefront6targetE1EEEvT1_,@function
_ZN7rocprim17ROCPRIM_400000_NS6detail17trampoline_kernelINS0_14default_configENS1_25partition_config_selectorILNS1_17partition_subalgoE0EtNS0_10empty_typeEbEEZZNS1_14partition_implILS5_0ELb0ES3_jN6thrust23THRUST_200600_302600_NS6detail15normal_iteratorINSA_10device_ptrItEEEEPS6_SG_NS0_5tupleIJNSA_16discard_iteratorINSA_11use_defaultEEESK_EEENSH_IJSG_SG_EEES6_PlJ7is_evenItEEEE10hipError_tPvRmT3_T4_T5_T6_T7_T9_mT8_P12ihipStream_tbDpT10_ENKUlT_T0_E_clISt17integral_constantIbLb0EES19_EEDaS14_S15_EUlS14_E_NS1_11comp_targetILNS1_3genE5ELNS1_11target_archE942ELNS1_3gpuE9ELNS1_3repE0EEENS1_30default_config_static_selectorELNS0_4arch9wavefront6targetE1EEEvT1_: ; @_ZN7rocprim17ROCPRIM_400000_NS6detail17trampoline_kernelINS0_14default_configENS1_25partition_config_selectorILNS1_17partition_subalgoE0EtNS0_10empty_typeEbEEZZNS1_14partition_implILS5_0ELb0ES3_jN6thrust23THRUST_200600_302600_NS6detail15normal_iteratorINSA_10device_ptrItEEEEPS6_SG_NS0_5tupleIJNSA_16discard_iteratorINSA_11use_defaultEEESK_EEENSH_IJSG_SG_EEES6_PlJ7is_evenItEEEE10hipError_tPvRmT3_T4_T5_T6_T7_T9_mT8_P12ihipStream_tbDpT10_ENKUlT_T0_E_clISt17integral_constantIbLb0EES19_EEDaS14_S15_EUlS14_E_NS1_11comp_targetILNS1_3genE5ELNS1_11target_archE942ELNS1_3gpuE9ELNS1_3repE0EEENS1_30default_config_static_selectorELNS0_4arch9wavefront6targetE1EEEvT1_
; %bb.0:
	s_load_dwordx2 s[8:9], s[0:1], 0x68
	s_load_dwordx4 s[4:7], s[0:1], 0x8
	s_load_dwordx4 s[20:23], s[0:1], 0x58
	s_load_dword s3, s[0:1], 0x80
	s_waitcnt lgkmcnt(0)
	v_mov_b32_e32 v3, s9
	s_lshl_b64 s[10:11], s[6:7], 1
	s_add_u32 s9, s4, s10
	s_mul_i32 s4, s3, 0x3c00
	s_addc_u32 s12, s5, s11
	s_add_i32 s13, s3, -1
	s_add_i32 s3, s4, s6
	s_sub_i32 s3, s8, s3
	s_add_u32 s4, s6, s4
	s_addc_u32 s5, s7, 0
	s_cmp_eq_u32 s2, s13
	v_mov_b32_e32 v2, s8
	s_load_dwordx2 s[18:19], s[22:23], 0x0
	s_cselect_b64 s[22:23], -1, 0
	s_cmp_lg_u32 s2, s13
	s_mul_i32 s10, s2, 0x3c00
	s_mov_b32 s11, 0
	v_cmp_lt_u64_e32 vcc, s[4:5], v[2:3]
	s_cselect_b64 s[4:5], -1, 0
	s_or_b64 s[4:5], s[4:5], vcc
	s_lshl_b64 s[6:7], s[10:11], 1
	s_add_u32 s6, s9, s6
	s_addc_u32 s7, s12, s7
	s_mov_b64 s[8:9], -1
	s_and_b64 vcc, exec, s[4:5]
	v_lshlrev_b32_e32 v2, 1, v0
	s_cbranch_vccz .LBB2492_2
; %bb.1:
	v_mov_b32_e32 v3, 0
	v_lshl_add_u64 v[4:5], s[6:7], 0, v[2:3]
	v_add_co_u32_e32 v6, vcc, 0x1000, v4
	s_mov_b64 s[8:9], 0
	s_nop 0
	v_addc_co_u32_e32 v7, vcc, 0, v5, vcc
	flat_load_ushort v1, v[4:5]
	flat_load_ushort v3, v[4:5] offset:1024
	flat_load_ushort v10, v[4:5] offset:2048
	flat_load_ushort v11, v[4:5] offset:3072
	flat_load_ushort v12, v[6:7]
	flat_load_ushort v13, v[6:7] offset:1024
	flat_load_ushort v14, v[6:7] offset:2048
	flat_load_ushort v15, v[6:7] offset:3072
	v_add_co_u32_e32 v6, vcc, 0x2000, v4
	s_nop 1
	v_addc_co_u32_e32 v7, vcc, 0, v5, vcc
	v_add_co_u32_e32 v8, vcc, 0x3000, v4
	s_nop 1
	v_addc_co_u32_e32 v9, vcc, 0, v5, vcc
	flat_load_ushort v16, v[6:7]
	flat_load_ushort v17, v[6:7] offset:1024
	flat_load_ushort v18, v[6:7] offset:2048
	flat_load_ushort v19, v[6:7] offset:3072
	flat_load_ushort v20, v[8:9]
	flat_load_ushort v21, v[8:9] offset:1024
	flat_load_ushort v22, v[8:9] offset:2048
	flat_load_ushort v23, v[8:9] offset:3072
	v_add_co_u32_e32 v6, vcc, 0x4000, v4
	s_nop 1
	v_addc_co_u32_e32 v7, vcc, 0, v5, vcc
	v_add_co_u32_e32 v8, vcc, 0x5000, v4
	;; [unrolled: 14-line block ×3, first 2 shown]
	s_nop 1
	v_addc_co_u32_e32 v5, vcc, 0, v5, vcc
	flat_load_ushort v8, v[6:7]
	flat_load_ushort v9, v[6:7] offset:1024
	flat_load_ushort v32, v[6:7] offset:2048
	;; [unrolled: 1-line block ×3, first 2 shown]
	flat_load_ushort v34, v[4:5]
	flat_load_ushort v35, v[4:5] offset:1024
	s_waitcnt vmcnt(0) lgkmcnt(0)
	ds_write_b16 v2, v1
	ds_write_b16 v2, v3 offset:1024
	ds_write_b16 v2, v10 offset:2048
	;; [unrolled: 1-line block ×29, first 2 shown]
	s_waitcnt lgkmcnt(0)
	s_barrier
.LBB2492_2:
	s_andn2_b64 vcc, exec, s[8:9]
	s_addk_i32 s3, 0x3c00
	s_cbranch_vccnz .LBB2492_64
; %bb.3:
	v_cmp_gt_u32_e32 vcc, s3, v0
                                        ; implicit-def: $vgpr1
	s_and_saveexec_b64 s[8:9], vcc
	s_cbranch_execz .LBB2492_5
; %bb.4:
	v_mov_b32_e32 v3, 0
	v_lshl_add_u64 v[4:5], s[6:7], 0, v[2:3]
	flat_load_ushort v1, v[4:5]
.LBB2492_5:
	s_or_b64 exec, exec, s[8:9]
	v_or_b32_e32 v3, 0x200, v0
	v_cmp_gt_u32_e32 vcc, s3, v3
                                        ; implicit-def: $vgpr4
	s_and_saveexec_b64 s[8:9], vcc
	s_cbranch_execz .LBB2492_7
; %bb.6:
	v_mov_b32_e32 v3, 0
	v_lshl_add_u64 v[4:5], s[6:7], 0, v[2:3]
	flat_load_ushort v4, v[4:5] offset:1024
.LBB2492_7:
	s_or_b64 exec, exec, s[8:9]
	v_or_b32_e32 v3, 0x400, v0
	v_cmp_gt_u32_e32 vcc, s3, v3
                                        ; implicit-def: $vgpr5
	s_and_saveexec_b64 s[8:9], vcc
	s_cbranch_execz .LBB2492_9
; %bb.8:
	v_mov_b32_e32 v3, 0
	v_lshl_add_u64 v[6:7], s[6:7], 0, v[2:3]
	flat_load_ushort v5, v[6:7] offset:2048
.LBB2492_9:
	s_or_b64 exec, exec, s[8:9]
	v_or_b32_e32 v3, 0x600, v0
	v_cmp_gt_u32_e32 vcc, s3, v3
                                        ; implicit-def: $vgpr3
	s_and_saveexec_b64 s[8:9], vcc
	s_cbranch_execz .LBB2492_11
; %bb.10:
	v_mov_b32_e32 v3, 0
	v_lshl_add_u64 v[6:7], s[6:7], 0, v[2:3]
	flat_load_ushort v3, v[6:7] offset:3072
.LBB2492_11:
	s_or_b64 exec, exec, s[8:9]
	v_or_b32_e32 v7, 0x800, v0
	v_cmp_gt_u32_e32 vcc, s3, v7
                                        ; implicit-def: $vgpr6
	s_and_saveexec_b64 s[8:9], vcc
	s_cbranch_execz .LBB2492_13
; %bb.12:
	v_lshlrev_b32_e32 v6, 1, v7
	v_mov_b32_e32 v7, 0
	v_lshl_add_u64 v[6:7], s[6:7], 0, v[6:7]
	flat_load_ushort v6, v[6:7]
.LBB2492_13:
	s_or_b64 exec, exec, s[8:9]
	v_or_b32_e32 v8, 0xa00, v0
	v_cmp_gt_u32_e32 vcc, s3, v8
                                        ; implicit-def: $vgpr7
	s_and_saveexec_b64 s[8:9], vcc
	s_cbranch_execz .LBB2492_15
; %bb.14:
	v_lshlrev_b32_e32 v8, 1, v8
	v_mov_b32_e32 v9, 0
	v_lshl_add_u64 v[8:9], s[6:7], 0, v[8:9]
	flat_load_ushort v7, v[8:9]
.LBB2492_15:
	s_or_b64 exec, exec, s[8:9]
	v_or_b32_e32 v9, 0xc00, v0
	v_cmp_gt_u32_e32 vcc, s3, v9
                                        ; implicit-def: $vgpr8
	s_and_saveexec_b64 s[8:9], vcc
	s_cbranch_execz .LBB2492_17
; %bb.16:
	v_lshlrev_b32_e32 v8, 1, v9
	v_mov_b32_e32 v9, 0
	v_lshl_add_u64 v[8:9], s[6:7], 0, v[8:9]
	flat_load_ushort v8, v[8:9]
.LBB2492_17:
	s_or_b64 exec, exec, s[8:9]
	v_or_b32_e32 v10, 0xe00, v0
	v_cmp_gt_u32_e32 vcc, s3, v10
                                        ; implicit-def: $vgpr9
	s_and_saveexec_b64 s[8:9], vcc
	s_cbranch_execz .LBB2492_19
; %bb.18:
	v_lshlrev_b32_e32 v10, 1, v10
	v_mov_b32_e32 v11, 0
	v_lshl_add_u64 v[10:11], s[6:7], 0, v[10:11]
	flat_load_ushort v9, v[10:11]
.LBB2492_19:
	s_or_b64 exec, exec, s[8:9]
	v_or_b32_e32 v11, 0x1000, v0
	v_cmp_gt_u32_e32 vcc, s3, v11
                                        ; implicit-def: $vgpr10
	s_and_saveexec_b64 s[8:9], vcc
	s_cbranch_execz .LBB2492_21
; %bb.20:
	v_lshlrev_b32_e32 v10, 1, v11
	v_mov_b32_e32 v11, 0
	v_lshl_add_u64 v[10:11], s[6:7], 0, v[10:11]
	flat_load_ushort v10, v[10:11]
.LBB2492_21:
	s_or_b64 exec, exec, s[8:9]
	v_or_b32_e32 v12, 0x1200, v0
	v_cmp_gt_u32_e32 vcc, s3, v12
                                        ; implicit-def: $vgpr11
	s_and_saveexec_b64 s[8:9], vcc
	s_cbranch_execz .LBB2492_23
; %bb.22:
	v_lshlrev_b32_e32 v12, 1, v12
	v_mov_b32_e32 v13, 0
	v_lshl_add_u64 v[12:13], s[6:7], 0, v[12:13]
	flat_load_ushort v11, v[12:13]
.LBB2492_23:
	s_or_b64 exec, exec, s[8:9]
	v_or_b32_e32 v13, 0x1400, v0
	v_cmp_gt_u32_e32 vcc, s3, v13
                                        ; implicit-def: $vgpr12
	s_and_saveexec_b64 s[8:9], vcc
	s_cbranch_execz .LBB2492_25
; %bb.24:
	v_lshlrev_b32_e32 v12, 1, v13
	v_mov_b32_e32 v13, 0
	v_lshl_add_u64 v[12:13], s[6:7], 0, v[12:13]
	flat_load_ushort v12, v[12:13]
.LBB2492_25:
	s_or_b64 exec, exec, s[8:9]
	v_or_b32_e32 v14, 0x1600, v0
	v_cmp_gt_u32_e32 vcc, s3, v14
                                        ; implicit-def: $vgpr13
	s_and_saveexec_b64 s[8:9], vcc
	s_cbranch_execz .LBB2492_27
; %bb.26:
	v_lshlrev_b32_e32 v14, 1, v14
	v_mov_b32_e32 v15, 0
	v_lshl_add_u64 v[14:15], s[6:7], 0, v[14:15]
	flat_load_ushort v13, v[14:15]
.LBB2492_27:
	s_or_b64 exec, exec, s[8:9]
	v_or_b32_e32 v15, 0x1800, v0
	v_cmp_gt_u32_e32 vcc, s3, v15
                                        ; implicit-def: $vgpr14
	s_and_saveexec_b64 s[8:9], vcc
	s_cbranch_execz .LBB2492_29
; %bb.28:
	v_lshlrev_b32_e32 v14, 1, v15
	v_mov_b32_e32 v15, 0
	v_lshl_add_u64 v[14:15], s[6:7], 0, v[14:15]
	flat_load_ushort v14, v[14:15]
.LBB2492_29:
	s_or_b64 exec, exec, s[8:9]
	v_or_b32_e32 v16, 0x1a00, v0
	v_cmp_gt_u32_e32 vcc, s3, v16
                                        ; implicit-def: $vgpr15
	s_and_saveexec_b64 s[8:9], vcc
	s_cbranch_execz .LBB2492_31
; %bb.30:
	v_lshlrev_b32_e32 v16, 1, v16
	v_mov_b32_e32 v17, 0
	v_lshl_add_u64 v[16:17], s[6:7], 0, v[16:17]
	flat_load_ushort v15, v[16:17]
.LBB2492_31:
	s_or_b64 exec, exec, s[8:9]
	v_or_b32_e32 v17, 0x1c00, v0
	v_cmp_gt_u32_e32 vcc, s3, v17
                                        ; implicit-def: $vgpr16
	s_and_saveexec_b64 s[8:9], vcc
	s_cbranch_execz .LBB2492_33
; %bb.32:
	v_lshlrev_b32_e32 v16, 1, v17
	v_mov_b32_e32 v17, 0
	v_lshl_add_u64 v[16:17], s[6:7], 0, v[16:17]
	flat_load_ushort v16, v[16:17]
.LBB2492_33:
	s_or_b64 exec, exec, s[8:9]
	v_or_b32_e32 v18, 0x1e00, v0
	v_cmp_gt_u32_e32 vcc, s3, v18
                                        ; implicit-def: $vgpr17
	s_and_saveexec_b64 s[8:9], vcc
	s_cbranch_execz .LBB2492_35
; %bb.34:
	v_lshlrev_b32_e32 v18, 1, v18
	v_mov_b32_e32 v19, 0
	v_lshl_add_u64 v[18:19], s[6:7], 0, v[18:19]
	flat_load_ushort v17, v[18:19]
.LBB2492_35:
	s_or_b64 exec, exec, s[8:9]
	v_or_b32_e32 v19, 0x2000, v0
	v_cmp_gt_u32_e32 vcc, s3, v19
                                        ; implicit-def: $vgpr18
	s_and_saveexec_b64 s[8:9], vcc
	s_cbranch_execz .LBB2492_37
; %bb.36:
	v_lshlrev_b32_e32 v18, 1, v19
	v_mov_b32_e32 v19, 0
	v_lshl_add_u64 v[18:19], s[6:7], 0, v[18:19]
	flat_load_ushort v18, v[18:19]
.LBB2492_37:
	s_or_b64 exec, exec, s[8:9]
	v_or_b32_e32 v20, 0x2200, v0
	v_cmp_gt_u32_e32 vcc, s3, v20
                                        ; implicit-def: $vgpr19
	s_and_saveexec_b64 s[8:9], vcc
	s_cbranch_execz .LBB2492_39
; %bb.38:
	v_lshlrev_b32_e32 v20, 1, v20
	v_mov_b32_e32 v21, 0
	v_lshl_add_u64 v[20:21], s[6:7], 0, v[20:21]
	flat_load_ushort v19, v[20:21]
.LBB2492_39:
	s_or_b64 exec, exec, s[8:9]
	v_or_b32_e32 v21, 0x2400, v0
	v_cmp_gt_u32_e32 vcc, s3, v21
                                        ; implicit-def: $vgpr20
	s_and_saveexec_b64 s[8:9], vcc
	s_cbranch_execz .LBB2492_41
; %bb.40:
	v_lshlrev_b32_e32 v20, 1, v21
	v_mov_b32_e32 v21, 0
	v_lshl_add_u64 v[20:21], s[6:7], 0, v[20:21]
	flat_load_ushort v20, v[20:21]
.LBB2492_41:
	s_or_b64 exec, exec, s[8:9]
	v_or_b32_e32 v22, 0x2600, v0
	v_cmp_gt_u32_e32 vcc, s3, v22
                                        ; implicit-def: $vgpr21
	s_and_saveexec_b64 s[8:9], vcc
	s_cbranch_execz .LBB2492_43
; %bb.42:
	v_lshlrev_b32_e32 v22, 1, v22
	v_mov_b32_e32 v23, 0
	v_lshl_add_u64 v[22:23], s[6:7], 0, v[22:23]
	flat_load_ushort v21, v[22:23]
.LBB2492_43:
	s_or_b64 exec, exec, s[8:9]
	v_or_b32_e32 v23, 0x2800, v0
	v_cmp_gt_u32_e32 vcc, s3, v23
                                        ; implicit-def: $vgpr22
	s_and_saveexec_b64 s[8:9], vcc
	s_cbranch_execz .LBB2492_45
; %bb.44:
	v_lshlrev_b32_e32 v22, 1, v23
	v_mov_b32_e32 v23, 0
	v_lshl_add_u64 v[22:23], s[6:7], 0, v[22:23]
	flat_load_ushort v22, v[22:23]
.LBB2492_45:
	s_or_b64 exec, exec, s[8:9]
	v_or_b32_e32 v24, 0x2a00, v0
	v_cmp_gt_u32_e32 vcc, s3, v24
                                        ; implicit-def: $vgpr23
	s_and_saveexec_b64 s[8:9], vcc
	s_cbranch_execz .LBB2492_47
; %bb.46:
	v_lshlrev_b32_e32 v24, 1, v24
	v_mov_b32_e32 v25, 0
	v_lshl_add_u64 v[24:25], s[6:7], 0, v[24:25]
	flat_load_ushort v23, v[24:25]
.LBB2492_47:
	s_or_b64 exec, exec, s[8:9]
	v_or_b32_e32 v25, 0x2c00, v0
	v_cmp_gt_u32_e32 vcc, s3, v25
                                        ; implicit-def: $vgpr24
	s_and_saveexec_b64 s[8:9], vcc
	s_cbranch_execz .LBB2492_49
; %bb.48:
	v_lshlrev_b32_e32 v24, 1, v25
	v_mov_b32_e32 v25, 0
	v_lshl_add_u64 v[24:25], s[6:7], 0, v[24:25]
	flat_load_ushort v24, v[24:25]
.LBB2492_49:
	s_or_b64 exec, exec, s[8:9]
	v_or_b32_e32 v26, 0x2e00, v0
	v_cmp_gt_u32_e32 vcc, s3, v26
                                        ; implicit-def: $vgpr25
	s_and_saveexec_b64 s[8:9], vcc
	s_cbranch_execz .LBB2492_51
; %bb.50:
	v_lshlrev_b32_e32 v26, 1, v26
	v_mov_b32_e32 v27, 0
	v_lshl_add_u64 v[26:27], s[6:7], 0, v[26:27]
	flat_load_ushort v25, v[26:27]
.LBB2492_51:
	s_or_b64 exec, exec, s[8:9]
	v_or_b32_e32 v27, 0x3000, v0
	v_cmp_gt_u32_e32 vcc, s3, v27
                                        ; implicit-def: $vgpr26
	s_and_saveexec_b64 s[8:9], vcc
	s_cbranch_execz .LBB2492_53
; %bb.52:
	v_lshlrev_b32_e32 v26, 1, v27
	v_mov_b32_e32 v27, 0
	v_lshl_add_u64 v[26:27], s[6:7], 0, v[26:27]
	flat_load_ushort v26, v[26:27]
.LBB2492_53:
	s_or_b64 exec, exec, s[8:9]
	v_or_b32_e32 v28, 0x3200, v0
	v_cmp_gt_u32_e32 vcc, s3, v28
                                        ; implicit-def: $vgpr27
	s_and_saveexec_b64 s[8:9], vcc
	s_cbranch_execz .LBB2492_55
; %bb.54:
	v_lshlrev_b32_e32 v28, 1, v28
	v_mov_b32_e32 v29, 0
	v_lshl_add_u64 v[28:29], s[6:7], 0, v[28:29]
	flat_load_ushort v27, v[28:29]
.LBB2492_55:
	s_or_b64 exec, exec, s[8:9]
	v_or_b32_e32 v29, 0x3400, v0
	v_cmp_gt_u32_e32 vcc, s3, v29
                                        ; implicit-def: $vgpr28
	s_and_saveexec_b64 s[8:9], vcc
	s_cbranch_execz .LBB2492_57
; %bb.56:
	v_lshlrev_b32_e32 v28, 1, v29
	v_mov_b32_e32 v29, 0
	v_lshl_add_u64 v[28:29], s[6:7], 0, v[28:29]
	flat_load_ushort v28, v[28:29]
.LBB2492_57:
	s_or_b64 exec, exec, s[8:9]
	v_or_b32_e32 v30, 0x3600, v0
	v_cmp_gt_u32_e32 vcc, s3, v30
                                        ; implicit-def: $vgpr29
	s_and_saveexec_b64 s[8:9], vcc
	s_cbranch_execz .LBB2492_59
; %bb.58:
	v_lshlrev_b32_e32 v30, 1, v30
	v_mov_b32_e32 v31, 0
	v_lshl_add_u64 v[30:31], s[6:7], 0, v[30:31]
	flat_load_ushort v29, v[30:31]
.LBB2492_59:
	s_or_b64 exec, exec, s[8:9]
	v_or_b32_e32 v31, 0x3800, v0
	v_cmp_gt_u32_e32 vcc, s3, v31
                                        ; implicit-def: $vgpr30
	s_and_saveexec_b64 s[8:9], vcc
	s_cbranch_execz .LBB2492_61
; %bb.60:
	v_lshlrev_b32_e32 v30, 1, v31
	v_mov_b32_e32 v31, 0
	v_lshl_add_u64 v[30:31], s[6:7], 0, v[30:31]
	flat_load_ushort v30, v[30:31]
.LBB2492_61:
	s_or_b64 exec, exec, s[8:9]
	v_or_b32_e32 v32, 0x3a00, v0
	v_cmp_gt_u32_e32 vcc, s3, v32
                                        ; implicit-def: $vgpr31
	s_and_saveexec_b64 s[8:9], vcc
	s_cbranch_execz .LBB2492_63
; %bb.62:
	v_lshlrev_b32_e32 v32, 1, v32
	v_mov_b32_e32 v33, 0
	v_lshl_add_u64 v[32:33], s[6:7], 0, v[32:33]
	flat_load_ushort v31, v[32:33]
.LBB2492_63:
	s_or_b64 exec, exec, s[8:9]
	s_waitcnt vmcnt(0) lgkmcnt(0)
	ds_write_b16 v2, v1
	ds_write_b16 v2, v4 offset:1024
	ds_write_b16 v2, v5 offset:2048
	;; [unrolled: 1-line block ×29, first 2 shown]
	s_waitcnt lgkmcnt(0)
	s_barrier
.LBB2492_64:
	v_mul_u32_u24_e32 v39, 30, v0
	v_lshlrev_b32_e32 v8, 1, v39
	s_waitcnt lgkmcnt(0)
	ds_read_b32 v26, v8 offset:56
	ds_read2_b32 v[2:3], v8 offset0:12 offset1:13
	ds_read2_b32 v[4:5], v8 offset0:10 offset1:11
	;; [unrolled: 1-line block ×3, first 2 shown]
	ds_read2_b32 v[14:15], v8 offset1:1
	ds_read2_b32 v[12:13], v8 offset0:2 offset1:3
	ds_read2_b32 v[10:11], v8 offset0:4 offset1:5
	;; [unrolled: 1-line block ×3, first 2 shown]
	s_waitcnt lgkmcnt(7)
	v_lshrrev_b32_e32 v1, 16, v26
	s_waitcnt lgkmcnt(6)
	v_lshrrev_b32_e32 v28, 16, v2
	v_lshrrev_b32_e32 v27, 16, v3
	s_waitcnt lgkmcnt(5)
	v_lshrrev_b32_e32 v30, 16, v4
	;; [unrolled: 3-line block ×6, first 2 shown]
	v_lshrrev_b32_e32 v33, 16, v9
	v_lshrrev_b32_e32 v32, 16, v6
	;; [unrolled: 1-line block ×3, first 2 shown]
	s_andn2_b64 vcc, exec, s[4:5]
	v_xor_b32_e32 v91, -1, v14
	v_xor_b32_e32 v90, -1, v41
	v_xor_b32_e32 v89, -1, v15
	v_xor_b32_e32 v88, -1, v40
	v_xor_b32_e32 v87, -1, v12
	v_xor_b32_e32 v86, -1, v38
	v_xor_b32_e32 v85, -1, v13
	v_xor_b32_e32 v84, -1, v37
	v_xor_b32_e32 v83, -1, v10
	v_xor_b32_e32 v82, -1, v36
	v_xor_b32_e32 v81, -1, v11
	v_xor_b32_e32 v80, -1, v35
	v_xor_b32_e32 v79, -1, v8
	v_xor_b32_e32 v78, -1, v34
	v_xor_b32_e32 v77, -1, v9
	v_xor_b32_e32 v76, -1, v33
	v_xor_b32_e32 v75, -1, v6
	v_xor_b32_e32 v74, -1, v32
	v_xor_b32_e32 v73, -1, v7
	v_xor_b32_e32 v72, -1, v31
	v_xor_b32_e32 v25, -1, v4
	v_xor_b32_e32 v24, -1, v30
	v_xor_b32_e32 v23, -1, v5
	v_xor_b32_e32 v22, -1, v29
	v_xor_b32_e32 v21, -1, v2
	v_xor_b32_e32 v20, -1, v28
	v_xor_b32_e32 v19, -1, v3
	v_xor_b32_e32 v18, -1, v27
	v_xor_b32_e32 v17, -1, v26
	v_xor_b32_e32 v16, -1, v1
	s_barrier
	s_cbranch_vccnz .LBB2492_66
; %bb.65:
	v_and_b32_e32 v71, 1, v91
	v_and_b32_e32 v70, 1, v90
	;; [unrolled: 1-line block ×30, first 2 shown]
	s_load_dwordx2 s[24:25], s[0:1], 0x78
	s_cbranch_execz .LBB2492_67
	s_branch .LBB2492_68
.LBB2492_66:
                                        ; implicit-def: $vgpr71
                                        ; implicit-def: $vgpr70
                                        ; implicit-def: $vgpr69
                                        ; implicit-def: $vgpr68
                                        ; implicit-def: $vgpr67
                                        ; implicit-def: $vgpr66
                                        ; implicit-def: $vgpr65
                                        ; implicit-def: $vgpr64
                                        ; implicit-def: $vgpr63
                                        ; implicit-def: $vgpr62
                                        ; implicit-def: $vgpr61
                                        ; implicit-def: $vgpr60
                                        ; implicit-def: $vgpr59
                                        ; implicit-def: $vgpr58
                                        ; implicit-def: $vgpr57
                                        ; implicit-def: $vgpr56
                                        ; implicit-def: $vgpr55
                                        ; implicit-def: $vgpr54
                                        ; implicit-def: $vgpr53
                                        ; implicit-def: $vgpr52
                                        ; implicit-def: $vgpr51
                                        ; implicit-def: $vgpr50
                                        ; implicit-def: $vgpr49
                                        ; implicit-def: $vgpr48
                                        ; implicit-def: $vgpr47
                                        ; implicit-def: $vgpr46
                                        ; implicit-def: $vgpr45
                                        ; implicit-def: $vgpr44
                                        ; implicit-def: $vgpr42
                                        ; implicit-def: $vgpr43
	s_load_dwordx2 s[24:25], s[0:1], 0x78
.LBB2492_67:
	v_or_b32_e32 v51, 1, v39
	v_cmp_gt_u32_e32 vcc, s3, v39
	v_add_u32_e32 v52, 2, v39
	v_add_u32_e32 v53, 3, v39
	v_cndmask_b32_e64 v61, 0, 1, vcc
	v_cmp_gt_u32_e32 vcc, s3, v51
	v_add_u32_e32 v54, 4, v39
	v_add_u32_e32 v55, 5, v39
	v_cndmask_b32_e64 v51, 0, 1, vcc
	v_cmp_gt_u32_e32 vcc, s3, v52
	v_and_b32_e32 v70, v51, v90
	v_add_u32_e32 v56, 6, v39
	v_cndmask_b32_e64 v51, 0, 1, vcc
	v_cmp_gt_u32_e32 vcc, s3, v53
	v_and_b32_e32 v69, v51, v89
	;; [unrolled: 4-line block ×9, first 2 shown]
	v_and_b32_e32 v71, v61, v91
	v_cndmask_b32_e64 v51, 0, 1, vcc
	v_cmp_gt_u32_e32 vcc, s3, v92
	v_and_b32_e32 v61, v51, v81
	v_add_u32_e32 v95, 14, v39
	v_cndmask_b32_e64 v51, 0, 1, vcc
	v_cmp_gt_u32_e32 vcc, s3, v93
	v_and_b32_e32 v60, v51, v80
	v_add_u32_e32 v96, 15, v39
	;; [unrolled: 4-line block ×16, first 2 shown]
	v_cndmask_b32_e64 v20, 0, 1, vcc
	v_cmp_gt_u32_e32 vcc, s3, v44
	v_and_b32_e32 v45, v20, v19
	s_nop 0
	v_cndmask_b32_e64 v19, 0, 1, vcc
	v_cmp_gt_u32_e32 vcc, s3, v42
	v_and_b32_e32 v44, v19, v18
	s_nop 0
	;; [unrolled: 4-line block ×3, first 2 shown]
	v_cndmask_b32_e64 v17, 0, 1, vcc
	v_and_b32_e32 v43, v17, v16
.LBB2492_68:
	v_and_b32_e32 v98, 0xff, v45
	v_and_b32_e32 v99, 0xff, v44
	v_add_u32_sdwa v16, v42, v43 dst_sel:DWORD dst_unused:UNUSED_PAD src0_sel:BYTE_0 src1_sel:BYTE_0
	v_and_b32_e32 v96, 0xff, v47
	v_and_b32_e32 v97, 0xff, v46
	v_add3_u32 v16, v16, v99, v98
	v_and_b32_e32 v94, 0xff, v49
	v_and_b32_e32 v95, 0xff, v48
	v_add3_u32 v16, v16, v97, v96
	;; [unrolled: 3-line block ×13, first 2 shown]
	v_add3_u32 v102, v16, v73, v72
	v_mbcnt_lo_u32_b32 v16, -1, 0
	v_mbcnt_hi_u32_b32 v100, -1, v16
	v_and_b32_e32 v16, 15, v100
	v_cmp_eq_u32_e64 s[12:13], 0, v16
	v_cmp_lt_u32_e64 s[10:11], 1, v16
	v_cmp_lt_u32_e64 s[8:9], 3, v16
	;; [unrolled: 1-line block ×3, first 2 shown]
	v_and_b32_e32 v16, 16, v100
	v_cmp_eq_u32_e64 s[4:5], 0, v16
	v_or_b32_e32 v16, 63, v0
	s_cmp_lg_u32 s2, 0
	v_cmp_lt_u32_e64 s[0:1], 31, v100
	v_lshrrev_b32_e32 v101, 6, v0
	v_cmp_eq_u32_e64 s[16:17], v16, v0
	s_cbranch_scc0 .LBB2492_95
; %bb.69:
	v_mov_b32_dpp v16, v102 row_shr:1 row_mask:0xf bank_mask:0xf
	v_cndmask_b32_e64 v16, v16, 0, s[12:13]
	v_add_u32_e32 v16, v16, v102
	s_nop 1
	v_mov_b32_dpp v17, v16 row_shr:2 row_mask:0xf bank_mask:0xf
	v_cndmask_b32_e64 v17, 0, v17, s[10:11]
	v_add_u32_e32 v16, v16, v17
	s_nop 1
	;; [unrolled: 4-line block ×4, first 2 shown]
	v_mov_b32_dpp v17, v16 row_bcast:15 row_mask:0xf bank_mask:0xf
	v_cndmask_b32_e64 v17, v17, 0, s[4:5]
	v_add_u32_e32 v16, v16, v17
	s_nop 1
	v_mov_b32_dpp v17, v16 row_bcast:31 row_mask:0xf bank_mask:0xf
	v_cndmask_b32_e64 v17, 0, v17, s[0:1]
	v_add_u32_e32 v16, v16, v17
	s_and_saveexec_b64 s[14:15], s[16:17]
	s_cbranch_execz .LBB2492_71
; %bb.70:
	v_lshlrev_b32_e32 v17, 2, v101
	ds_write_b32 v17, v16
.LBB2492_71:
	s_or_b64 exec, exec, s[14:15]
	v_cmp_gt_u32_e32 vcc, 8, v0
	s_waitcnt lgkmcnt(0)
	s_barrier
	s_and_saveexec_b64 s[14:15], vcc
	s_cbranch_execz .LBB2492_73
; %bb.72:
	v_lshlrev_b32_e32 v17, 2, v0
	ds_read_b32 v18, v17
	v_and_b32_e32 v19, 7, v100
	v_cmp_ne_u32_e32 vcc, 0, v19
	s_waitcnt lgkmcnt(0)
	v_mov_b32_dpp v20, v18 row_shr:1 row_mask:0xf bank_mask:0xf
	v_cndmask_b32_e32 v20, 0, v20, vcc
	v_add_u32_e32 v18, v20, v18
	v_cmp_lt_u32_e32 vcc, 1, v19
	s_nop 0
	v_mov_b32_dpp v20, v18 row_shr:2 row_mask:0xf bank_mask:0xf
	v_cndmask_b32_e32 v20, 0, v20, vcc
	v_add_u32_e32 v18, v18, v20
	v_cmp_lt_u32_e32 vcc, 3, v19
	s_nop 0
	v_mov_b32_dpp v20, v18 row_shr:4 row_mask:0xf bank_mask:0xf
	v_cndmask_b32_e32 v19, 0, v20, vcc
	v_add_u32_e32 v18, v18, v19
	ds_write_b32 v17, v18
.LBB2492_73:
	s_or_b64 exec, exec, s[14:15]
	v_cmp_gt_u32_e32 vcc, 64, v0
	v_cmp_lt_u32_e64 s[14:15], 63, v0
	s_waitcnt lgkmcnt(0)
	s_barrier
	s_waitcnt lgkmcnt(0)
                                        ; implicit-def: $vgpr103
	s_and_saveexec_b64 s[26:27], s[14:15]
	s_cbranch_execz .LBB2492_75
; %bb.74:
	v_lshl_add_u32 v17, v101, 2, -4
	ds_read_b32 v103, v17
	s_waitcnt lgkmcnt(0)
	v_add_u32_e32 v16, v103, v16
.LBB2492_75:
	s_or_b64 exec, exec, s[26:27]
	v_add_u32_e32 v17, -1, v100
	v_and_b32_e32 v18, 64, v100
	v_cmp_lt_i32_e64 s[14:15], v17, v18
	s_nop 1
	v_cndmask_b32_e64 v17, v17, v100, s[14:15]
	v_lshlrev_b32_e32 v17, 2, v17
	ds_bpermute_b32 v104, v17, v16
	v_cmp_eq_u32_e64 s[14:15], 0, v100
	s_and_saveexec_b64 s[26:27], vcc
	s_cbranch_execz .LBB2492_94
; %bb.76:
	v_mov_b32_e32 v23, 0
	ds_read_b32 v16, v23 offset:28
	s_and_saveexec_b64 s[28:29], s[14:15]
	s_cbranch_execz .LBB2492_78
; %bb.77:
	s_add_i32 s30, s2, 64
	s_mov_b32 s31, 0
	s_lshl_b64 s[30:31], s[30:31], 3
	s_add_u32 s30, s24, s30
	v_mov_b32_e32 v17, 1
	s_addc_u32 s31, s25, s31
	s_waitcnt lgkmcnt(0)
	global_store_dwordx2 v23, v[16:17], s[30:31] sc1
.LBB2492_78:
	s_or_b64 exec, exec, s[28:29]
	v_xad_u32 v18, v100, -1, s2
	v_add_u32_e32 v22, 64, v18
	v_lshl_add_u64 v[24:25], v[22:23], 3, s[24:25]
	global_load_dwordx2 v[20:21], v[24:25], off sc1
	s_waitcnt vmcnt(0)
	v_cmp_eq_u16_sdwa s[30:31], v21, v23 src0_sel:BYTE_0 src1_sel:DWORD
	s_and_saveexec_b64 s[28:29], s[30:31]
	s_cbranch_execz .LBB2492_82
; %bb.79:
	s_mov_b64 s[30:31], 0
	v_mov_b32_e32 v17, 0
.LBB2492_80:                            ; =>This Inner Loop Header: Depth=1
	global_load_dwordx2 v[20:21], v[24:25], off sc1
	s_waitcnt vmcnt(0)
	v_cmp_ne_u16_sdwa s[34:35], v21, v17 src0_sel:BYTE_0 src1_sel:DWORD
	s_or_b64 s[30:31], s[34:35], s[30:31]
	s_andn2_b64 exec, exec, s[30:31]
	s_cbranch_execnz .LBB2492_80
; %bb.81:
	s_or_b64 exec, exec, s[30:31]
.LBB2492_82:
	s_or_b64 exec, exec, s[28:29]
	v_and_b32_e32 v106, 63, v100
	v_mov_b32_e32 v105, 2
	v_cmp_ne_u32_e32 vcc, 63, v106
	v_cmp_eq_u16_sdwa s[28:29], v21, v105 src0_sel:BYTE_0 src1_sel:DWORD
	v_lshlrev_b64 v[22:23], v100, -1
	v_addc_co_u32_e32 v24, vcc, 0, v100, vcc
	v_and_b32_e32 v17, s29, v23
	v_lshlrev_b32_e32 v107, 2, v24
	v_or_b32_e32 v17, 0x80000000, v17
	ds_bpermute_b32 v24, v107, v20
	v_and_b32_e32 v19, s28, v22
	v_ffbl_b32_e32 v17, v17
	v_add_u32_e32 v17, 32, v17
	v_ffbl_b32_e32 v19, v19
	v_min_u32_e32 v17, v19, v17
	v_cmp_lt_u32_e32 vcc, v106, v17
	v_add_u32_e32 v109, 2, v106
	v_add_u32_e32 v111, 4, v106
	s_waitcnt lgkmcnt(0)
	v_cndmask_b32_e32 v19, 0, v24, vcc
	v_cmp_gt_u32_e32 vcc, 62, v106
	v_add_u32_e32 v19, v19, v20
	v_add_u32_e32 v113, 8, v106
	v_cndmask_b32_e64 v20, 0, 1, vcc
	v_lshlrev_b32_e32 v20, 1, v20
	v_add_lshl_u32 v108, v20, v100, 2
	ds_bpermute_b32 v20, v108, v19
	v_cmp_le_u32_e32 vcc, v109, v17
	v_add_u32_e32 v115, 16, v106
	v_add_u32_e32 v117, 32, v106
	s_waitcnt lgkmcnt(0)
	v_cndmask_b32_e32 v20, 0, v20, vcc
	v_cmp_gt_u32_e32 vcc, 60, v106
	v_add_u32_e32 v19, v19, v20
	s_nop 0
	v_cndmask_b32_e64 v20, 0, 1, vcc
	v_lshlrev_b32_e32 v20, 2, v20
	v_add_lshl_u32 v110, v20, v100, 2
	ds_bpermute_b32 v20, v110, v19
	v_cmp_le_u32_e32 vcc, v111, v17
	s_waitcnt lgkmcnt(0)
	s_nop 0
	v_cndmask_b32_e32 v20, 0, v20, vcc
	v_cmp_gt_u32_e32 vcc, 56, v106
	v_add_u32_e32 v19, v19, v20
	s_nop 0
	v_cndmask_b32_e64 v20, 0, 1, vcc
	v_lshlrev_b32_e32 v20, 3, v20
	v_add_lshl_u32 v112, v20, v100, 2
	ds_bpermute_b32 v20, v112, v19
	v_cmp_le_u32_e32 vcc, v113, v17
	s_waitcnt lgkmcnt(0)
	s_nop 0
	;; [unrolled: 11-line block ×4, first 2 shown]
	v_cndmask_b32_e32 v17, 0, v20, vcc
	v_add_u32_e32 v20, v19, v17
	v_mov_b32_e32 v19, 0
	s_branch .LBB2492_84
.LBB2492_83:                            ;   in Loop: Header=BB2492_84 Depth=1
	s_or_b64 exec, exec, s[28:29]
	v_cmp_eq_u16_sdwa s[28:29], v21, v105 src0_sel:BYTE_0 src1_sel:DWORD
	ds_bpermute_b32 v118, v107, v20
	v_subrev_u32_e32 v18, 64, v18
	v_and_b32_e32 v24, s29, v23
	v_or_b32_e32 v24, 0x80000000, v24
	v_and_b32_e32 v25, s28, v22
	v_ffbl_b32_e32 v24, v24
	v_add_u32_e32 v24, 32, v24
	v_ffbl_b32_e32 v25, v25
	v_min_u32_e32 v24, v25, v24
	v_cmp_lt_u32_e32 vcc, v106, v24
	s_waitcnt lgkmcnt(0)
	s_nop 0
	v_cndmask_b32_e32 v25, 0, v118, vcc
	v_add_u32_e32 v20, v25, v20
	ds_bpermute_b32 v25, v108, v20
	v_cmp_le_u32_e32 vcc, v109, v24
	s_waitcnt lgkmcnt(0)
	s_nop 0
	v_cndmask_b32_e32 v25, 0, v25, vcc
	v_add_u32_e32 v20, v20, v25
	ds_bpermute_b32 v25, v110, v20
	v_cmp_le_u32_e32 vcc, v111, v24
	;; [unrolled: 6-line block ×5, first 2 shown]
	s_waitcnt lgkmcnt(0)
	s_nop 0
	v_cndmask_b32_e32 v24, 0, v25, vcc
	v_add3_u32 v20, v24, v17, v20
.LBB2492_84:                            ; =>This Loop Header: Depth=1
                                        ;     Child Loop BB2492_87 Depth 2
	v_cmp_ne_u16_sdwa s[28:29], v21, v105 src0_sel:BYTE_0 src1_sel:DWORD
	s_nop 1
	v_cndmask_b32_e64 v17, 0, 1, s[28:29]
	;;#ASMSTART
	;;#ASMEND
	s_nop 0
	v_cmp_ne_u32_e32 vcc, 0, v17
	s_cmp_lg_u64 vcc, exec
	v_mov_b32_e32 v17, v20
	s_cbranch_scc1 .LBB2492_89
; %bb.85:                               ;   in Loop: Header=BB2492_84 Depth=1
	v_lshl_add_u64 v[24:25], v[18:19], 3, s[24:25]
	global_load_dwordx2 v[20:21], v[24:25], off sc1
	s_waitcnt vmcnt(0)
	v_cmp_eq_u16_sdwa s[30:31], v21, v19 src0_sel:BYTE_0 src1_sel:DWORD
	s_and_saveexec_b64 s[28:29], s[30:31]
	s_cbranch_execz .LBB2492_83
; %bb.86:                               ;   in Loop: Header=BB2492_84 Depth=1
	s_mov_b64 s[30:31], 0
.LBB2492_87:                            ;   Parent Loop BB2492_84 Depth=1
                                        ; =>  This Inner Loop Header: Depth=2
	global_load_dwordx2 v[20:21], v[24:25], off sc1
	s_waitcnt vmcnt(0)
	v_cmp_ne_u16_sdwa s[34:35], v21, v19 src0_sel:BYTE_0 src1_sel:DWORD
	s_or_b64 s[30:31], s[34:35], s[30:31]
	s_andn2_b64 exec, exec, s[30:31]
	s_cbranch_execnz .LBB2492_87
; %bb.88:                               ;   in Loop: Header=BB2492_84 Depth=1
	s_or_b64 exec, exec, s[30:31]
	s_branch .LBB2492_83
.LBB2492_89:                            ;   in Loop: Header=BB2492_84 Depth=1
                                        ; implicit-def: $vgpr20
                                        ; implicit-def: $vgpr21
	s_cbranch_execz .LBB2492_84
; %bb.90:
	s_and_saveexec_b64 s[28:29], s[14:15]
	s_cbranch_execz .LBB2492_92
; %bb.91:
	s_add_i32 s2, s2, 64
	s_mov_b32 s3, 0
	s_lshl_b64 s[2:3], s[2:3], 3
	s_add_u32 s2, s24, s2
	v_add_u32_e32 v18, v17, v16
	v_mov_b32_e32 v19, 2
	s_addc_u32 s3, s25, s3
	v_mov_b32_e32 v20, 0
	global_store_dwordx2 v20, v[18:19], s[2:3] sc1
	ds_write_b64 v20, v[16:17] offset:30720
.LBB2492_92:
	s_or_b64 exec, exec, s[28:29]
	v_cmp_eq_u32_e32 vcc, 0, v0
	s_and_b64 exec, exec, vcc
	s_cbranch_execz .LBB2492_94
; %bb.93:
	v_mov_b32_e32 v16, 0
	ds_write_b32 v16, v17 offset:28
.LBB2492_94:
	s_or_b64 exec, exec, s[26:27]
	v_mov_b32_e32 v16, 0
	s_waitcnt lgkmcnt(0)
	s_barrier
	ds_read_b32 v19, v16 offset:28
	s_waitcnt lgkmcnt(0)
	s_barrier
	ds_read_b64 v[16:17], v16 offset:30720
	v_cndmask_b32_e64 v18, v104, v103, s[14:15]
	v_cmp_ne_u32_e32 vcc, 0, v0
	s_nop 1
	v_cndmask_b32_e32 v18, 0, v18, vcc
	v_add_u32_e32 v18, v19, v18
	s_branch .LBB2492_105
.LBB2492_95:
                                        ; implicit-def: $vgpr17
                                        ; implicit-def: $vgpr18
	s_cbranch_execz .LBB2492_105
; %bb.96:
	s_waitcnt lgkmcnt(0)
	v_mov_b32_dpp v16, v102 row_shr:1 row_mask:0xf bank_mask:0xf
	v_cndmask_b32_e64 v16, v16, 0, s[12:13]
	v_add_u32_e32 v16, v16, v102
	s_nop 1
	v_mov_b32_dpp v17, v16 row_shr:2 row_mask:0xf bank_mask:0xf
	v_cndmask_b32_e64 v17, 0, v17, s[10:11]
	v_add_u32_e32 v16, v16, v17
	s_nop 1
	;; [unrolled: 4-line block ×4, first 2 shown]
	v_mov_b32_dpp v17, v16 row_bcast:15 row_mask:0xf bank_mask:0xf
	v_cndmask_b32_e64 v17, v17, 0, s[4:5]
	v_add_u32_e32 v16, v16, v17
	s_nop 1
	v_mov_b32_dpp v17, v16 row_bcast:31 row_mask:0xf bank_mask:0xf
	v_cndmask_b32_e64 v17, 0, v17, s[0:1]
	v_add_u32_e32 v16, v16, v17
	s_and_saveexec_b64 s[0:1], s[16:17]
	s_cbranch_execz .LBB2492_98
; %bb.97:
	v_lshlrev_b32_e32 v17, 2, v101
	ds_write_b32 v17, v16
.LBB2492_98:
	s_or_b64 exec, exec, s[0:1]
	v_cmp_gt_u32_e32 vcc, 8, v0
	s_waitcnt lgkmcnt(0)
	s_barrier
	s_and_saveexec_b64 s[0:1], vcc
	s_cbranch_execz .LBB2492_100
; %bb.99:
	v_lshlrev_b32_e32 v17, 2, v0
	ds_read_b32 v18, v17
	v_and_b32_e32 v19, 7, v100
	v_cmp_ne_u32_e32 vcc, 0, v19
	s_waitcnt lgkmcnt(0)
	v_mov_b32_dpp v20, v18 row_shr:1 row_mask:0xf bank_mask:0xf
	v_cndmask_b32_e32 v20, 0, v20, vcc
	v_add_u32_e32 v18, v20, v18
	v_cmp_lt_u32_e32 vcc, 1, v19
	s_nop 0
	v_mov_b32_dpp v20, v18 row_shr:2 row_mask:0xf bank_mask:0xf
	v_cndmask_b32_e32 v20, 0, v20, vcc
	v_add_u32_e32 v18, v18, v20
	v_cmp_lt_u32_e32 vcc, 3, v19
	s_nop 0
	v_mov_b32_dpp v20, v18 row_shr:4 row_mask:0xf bank_mask:0xf
	v_cndmask_b32_e32 v19, 0, v20, vcc
	v_add_u32_e32 v18, v18, v19
	ds_write_b32 v17, v18
.LBB2492_100:
	s_or_b64 exec, exec, s[0:1]
	v_cmp_lt_u32_e32 vcc, 63, v0
	v_mov_b32_e32 v17, 0
	v_mov_b32_e32 v18, 0
	s_waitcnt lgkmcnt(0)
	s_barrier
	s_and_saveexec_b64 s[0:1], vcc
	s_cbranch_execz .LBB2492_102
; %bb.101:
	v_lshl_add_u32 v18, v101, 2, -4
	ds_read_b32 v18, v18
.LBB2492_102:
	s_or_b64 exec, exec, s[0:1]
	v_add_u32_e32 v19, -1, v100
	v_and_b32_e32 v20, 64, v100
	v_cmp_lt_i32_e32 vcc, v19, v20
	s_waitcnt lgkmcnt(0)
	v_add_u32_e32 v16, v18, v16
	v_cndmask_b32_e32 v19, v19, v100, vcc
	v_lshlrev_b32_e32 v19, 2, v19
	ds_bpermute_b32 v19, v19, v16
	ds_read_b32 v16, v17 offset:28
	v_cmp_eq_u32_e32 vcc, 0, v0
	s_and_saveexec_b64 s[0:1], vcc
	s_cbranch_execz .LBB2492_104
; %bb.103:
	v_mov_b32_e32 v20, 0
	v_mov_b32_e32 v17, 2
	s_waitcnt lgkmcnt(0)
	global_store_dwordx2 v20, v[16:17], s[24:25] offset:512 sc1
.LBB2492_104:
	s_or_b64 exec, exec, s[0:1]
	v_cmp_eq_u32_e64 s[0:1], 0, v100
	v_mov_b32_e32 v17, 0
	s_waitcnt lgkmcnt(0)
	v_cndmask_b32_e64 v18, v19, v18, s[0:1]
	v_cndmask_b32_e64 v18, v18, 0, vcc
	s_barrier
.LBB2492_105:
	v_add_u32_e32 v19, v18, v72
	v_add_u32_e32 v20, v19, v73
	;; [unrolled: 1-line block ×21, first 2 shown]
	s_waitcnt lgkmcnt(0)
	v_add_u32_e32 v39, v16, v39
	v_sub_u32_e32 v18, v18, v17
	v_and_b32_e32 v71, 1, v71
	v_add_u32_e32 v86, v85, v93
	v_sub_u32_e32 v93, v39, v18
	v_cmp_eq_u32_e32 vcc, 1, v71
	v_add_u32_e32 v87, v86, v94
	v_add_u32_e32 v88, v87, v95
	v_cndmask_b32_e32 v18, v93, v18, vcc
	v_lshlrev_b32_e32 v18, 1, v18
	ds_write_b16 v18, v14
	v_sub_u32_e32 v14, v19, v17
	v_sub_u32_e32 v18, v39, v14
	v_and_b32_e32 v19, 1, v70
	v_add_u32_e32 v18, 1, v18
	v_cmp_eq_u32_e32 vcc, 1, v19
	v_and_b32_e32 v19, 1, v69
	v_add_u32_e32 v89, v88, v96
	v_cndmask_b32_e32 v14, v18, v14, vcc
	v_lshlrev_b32_e32 v14, 1, v14
	ds_write_b16 v14, v41
	v_sub_u32_e32 v14, v20, v17
	v_sub_u32_e32 v18, v39, v14
	v_add_u32_e32 v18, 2, v18
	v_cmp_eq_u32_e32 vcc, 1, v19
	v_add_u32_e32 v90, v89, v97
	v_add_u32_e32 v91, v90, v98
	v_cndmask_b32_e32 v14, v18, v14, vcc
	v_lshlrev_b32_e32 v14, 1, v14
	ds_write_b16 v14, v15
	v_sub_u32_e32 v14, v21, v17
	v_sub_u32_e32 v15, v39, v14
	v_and_b32_e32 v18, 1, v68
	v_add_u32_e32 v15, 3, v15
	v_cmp_eq_u32_e32 vcc, 1, v18
	v_and_b32_e32 v18, 1, v67
	v_add_u32_e32 v92, v91, v99
	v_cndmask_b32_e32 v14, v15, v14, vcc
	v_lshlrev_b32_e32 v14, 1, v14
	ds_write_b16 v14, v40
	v_sub_u32_e32 v14, v22, v17
	v_sub_u32_e32 v15, v39, v14
	v_add_u32_e32 v15, 4, v15
	v_cmp_eq_u32_e32 vcc, 1, v18
	s_nop 1
	v_cndmask_b32_e32 v14, v15, v14, vcc
	v_lshlrev_b32_e32 v14, 1, v14
	ds_write_b16 v14, v12
	v_sub_u32_e32 v12, v23, v17
	v_sub_u32_e32 v14, v39, v12
	v_and_b32_e32 v15, 1, v66
	v_add_u32_e32 v14, 5, v14
	v_cmp_eq_u32_e32 vcc, 1, v15
	v_and_b32_e32 v15, 1, v65
	s_nop 0
	v_cndmask_b32_e32 v12, v14, v12, vcc
	v_lshlrev_b32_e32 v12, 1, v12
	ds_write_b16 v12, v38
	v_sub_u32_e32 v12, v24, v17
	v_sub_u32_e32 v14, v39, v12
	v_add_u32_e32 v14, 6, v14
	v_cmp_eq_u32_e32 vcc, 1, v15
	s_nop 1
	v_cndmask_b32_e32 v12, v14, v12, vcc
	v_lshlrev_b32_e32 v12, 1, v12
	ds_write_b16 v12, v13
	v_sub_u32_e32 v12, v25, v17
	v_sub_u32_e32 v13, v39, v12
	v_and_b32_e32 v14, 1, v64
	v_add_u32_e32 v13, 7, v13
	v_cmp_eq_u32_e32 vcc, 1, v14
	v_and_b32_e32 v14, 1, v63
	s_nop 0
	;; [unrolled: 18-line block ×12, first 2 shown]
	v_cndmask_b32_e32 v2, v3, v2, vcc
	v_lshlrev_b32_e32 v2, 1, v2
	ds_write_b16 v2, v27
	v_sub_u32_e32 v2, v92, v17
	v_sub_u32_e32 v3, v39, v2
	v_add_u32_e32 v3, 28, v3
	v_cmp_eq_u32_e32 vcc, 1, v4
	v_and_b32_e32 v4, 1, v43
	s_nop 0
	v_cndmask_b32_e32 v2, v3, v2, vcc
	v_lshlrev_b32_e32 v2, 1, v2
	ds_write_b16 v2, v26
	v_sub_u32_sdwa v2, v42, v17 dst_sel:DWORD dst_unused:UNUSED_PAD src0_sel:BYTE_0 src1_sel:DWORD
	v_add_u32_e32 v2, v92, v2
	v_sub_u32_e32 v3, v39, v2
	v_add_u32_e32 v3, 29, v3
	v_cmp_eq_u32_e32 vcc, 1, v4
	s_nop 1
	v_cndmask_b32_e32 v2, v3, v2, vcc
	v_cmp_eq_u32_e32 vcc, 0, v0
	v_lshlrev_b32_e32 v2, 1, v2
	s_and_b64 s[0:1], vcc, s[22:23]
	ds_write_b16 v2, v1
	s_waitcnt lgkmcnt(0)
	s_barrier
	s_and_saveexec_b64 s[2:3], s[0:1]
	s_cbranch_execz .LBB2492_107
; %bb.106:
	v_mov_b32_e32 v1, 0
	v_mov_b32_e32 v0, v16
	v_lshl_add_u64 v[2:3], s[18:19], 0, v[0:1]
	v_mov_b32_e32 v0, v17
	v_lshl_add_u64 v[2:3], v[2:3], 0, v[0:1]
	global_store_dwordx2 v1, v[2:3], s[20:21]
.LBB2492_107:
	s_endpgm
	.section	.rodata,"a",@progbits
	.p2align	6, 0x0
	.amdhsa_kernel _ZN7rocprim17ROCPRIM_400000_NS6detail17trampoline_kernelINS0_14default_configENS1_25partition_config_selectorILNS1_17partition_subalgoE0EtNS0_10empty_typeEbEEZZNS1_14partition_implILS5_0ELb0ES3_jN6thrust23THRUST_200600_302600_NS6detail15normal_iteratorINSA_10device_ptrItEEEEPS6_SG_NS0_5tupleIJNSA_16discard_iteratorINSA_11use_defaultEEESK_EEENSH_IJSG_SG_EEES6_PlJ7is_evenItEEEE10hipError_tPvRmT3_T4_T5_T6_T7_T9_mT8_P12ihipStream_tbDpT10_ENKUlT_T0_E_clISt17integral_constantIbLb0EES19_EEDaS14_S15_EUlS14_E_NS1_11comp_targetILNS1_3genE5ELNS1_11target_archE942ELNS1_3gpuE9ELNS1_3repE0EEENS1_30default_config_static_selectorELNS0_4arch9wavefront6targetE1EEEvT1_
		.amdhsa_group_segment_fixed_size 30728
		.amdhsa_private_segment_fixed_size 0
		.amdhsa_kernarg_size 136
		.amdhsa_user_sgpr_count 2
		.amdhsa_user_sgpr_dispatch_ptr 0
		.amdhsa_user_sgpr_queue_ptr 0
		.amdhsa_user_sgpr_kernarg_segment_ptr 1
		.amdhsa_user_sgpr_dispatch_id 0
		.amdhsa_user_sgpr_kernarg_preload_length 0
		.amdhsa_user_sgpr_kernarg_preload_offset 0
		.amdhsa_user_sgpr_private_segment_size 0
		.amdhsa_uses_dynamic_stack 0
		.amdhsa_enable_private_segment 0
		.amdhsa_system_sgpr_workgroup_id_x 1
		.amdhsa_system_sgpr_workgroup_id_y 0
		.amdhsa_system_sgpr_workgroup_id_z 0
		.amdhsa_system_sgpr_workgroup_info 0
		.amdhsa_system_vgpr_workitem_id 0
		.amdhsa_next_free_vgpr 119
		.amdhsa_next_free_sgpr 36
		.amdhsa_accum_offset 120
		.amdhsa_reserve_vcc 1
		.amdhsa_float_round_mode_32 0
		.amdhsa_float_round_mode_16_64 0
		.amdhsa_float_denorm_mode_32 3
		.amdhsa_float_denorm_mode_16_64 3
		.amdhsa_dx10_clamp 1
		.amdhsa_ieee_mode 1
		.amdhsa_fp16_overflow 0
		.amdhsa_tg_split 0
		.amdhsa_exception_fp_ieee_invalid_op 0
		.amdhsa_exception_fp_denorm_src 0
		.amdhsa_exception_fp_ieee_div_zero 0
		.amdhsa_exception_fp_ieee_overflow 0
		.amdhsa_exception_fp_ieee_underflow 0
		.amdhsa_exception_fp_ieee_inexact 0
		.amdhsa_exception_int_div_zero 0
	.end_amdhsa_kernel
	.section	.text._ZN7rocprim17ROCPRIM_400000_NS6detail17trampoline_kernelINS0_14default_configENS1_25partition_config_selectorILNS1_17partition_subalgoE0EtNS0_10empty_typeEbEEZZNS1_14partition_implILS5_0ELb0ES3_jN6thrust23THRUST_200600_302600_NS6detail15normal_iteratorINSA_10device_ptrItEEEEPS6_SG_NS0_5tupleIJNSA_16discard_iteratorINSA_11use_defaultEEESK_EEENSH_IJSG_SG_EEES6_PlJ7is_evenItEEEE10hipError_tPvRmT3_T4_T5_T6_T7_T9_mT8_P12ihipStream_tbDpT10_ENKUlT_T0_E_clISt17integral_constantIbLb0EES19_EEDaS14_S15_EUlS14_E_NS1_11comp_targetILNS1_3genE5ELNS1_11target_archE942ELNS1_3gpuE9ELNS1_3repE0EEENS1_30default_config_static_selectorELNS0_4arch9wavefront6targetE1EEEvT1_,"axG",@progbits,_ZN7rocprim17ROCPRIM_400000_NS6detail17trampoline_kernelINS0_14default_configENS1_25partition_config_selectorILNS1_17partition_subalgoE0EtNS0_10empty_typeEbEEZZNS1_14partition_implILS5_0ELb0ES3_jN6thrust23THRUST_200600_302600_NS6detail15normal_iteratorINSA_10device_ptrItEEEEPS6_SG_NS0_5tupleIJNSA_16discard_iteratorINSA_11use_defaultEEESK_EEENSH_IJSG_SG_EEES6_PlJ7is_evenItEEEE10hipError_tPvRmT3_T4_T5_T6_T7_T9_mT8_P12ihipStream_tbDpT10_ENKUlT_T0_E_clISt17integral_constantIbLb0EES19_EEDaS14_S15_EUlS14_E_NS1_11comp_targetILNS1_3genE5ELNS1_11target_archE942ELNS1_3gpuE9ELNS1_3repE0EEENS1_30default_config_static_selectorELNS0_4arch9wavefront6targetE1EEEvT1_,comdat
.Lfunc_end2492:
	.size	_ZN7rocprim17ROCPRIM_400000_NS6detail17trampoline_kernelINS0_14default_configENS1_25partition_config_selectorILNS1_17partition_subalgoE0EtNS0_10empty_typeEbEEZZNS1_14partition_implILS5_0ELb0ES3_jN6thrust23THRUST_200600_302600_NS6detail15normal_iteratorINSA_10device_ptrItEEEEPS6_SG_NS0_5tupleIJNSA_16discard_iteratorINSA_11use_defaultEEESK_EEENSH_IJSG_SG_EEES6_PlJ7is_evenItEEEE10hipError_tPvRmT3_T4_T5_T6_T7_T9_mT8_P12ihipStream_tbDpT10_ENKUlT_T0_E_clISt17integral_constantIbLb0EES19_EEDaS14_S15_EUlS14_E_NS1_11comp_targetILNS1_3genE5ELNS1_11target_archE942ELNS1_3gpuE9ELNS1_3repE0EEENS1_30default_config_static_selectorELNS0_4arch9wavefront6targetE1EEEvT1_, .Lfunc_end2492-_ZN7rocprim17ROCPRIM_400000_NS6detail17trampoline_kernelINS0_14default_configENS1_25partition_config_selectorILNS1_17partition_subalgoE0EtNS0_10empty_typeEbEEZZNS1_14partition_implILS5_0ELb0ES3_jN6thrust23THRUST_200600_302600_NS6detail15normal_iteratorINSA_10device_ptrItEEEEPS6_SG_NS0_5tupleIJNSA_16discard_iteratorINSA_11use_defaultEEESK_EEENSH_IJSG_SG_EEES6_PlJ7is_evenItEEEE10hipError_tPvRmT3_T4_T5_T6_T7_T9_mT8_P12ihipStream_tbDpT10_ENKUlT_T0_E_clISt17integral_constantIbLb0EES19_EEDaS14_S15_EUlS14_E_NS1_11comp_targetILNS1_3genE5ELNS1_11target_archE942ELNS1_3gpuE9ELNS1_3repE0EEENS1_30default_config_static_selectorELNS0_4arch9wavefront6targetE1EEEvT1_
                                        ; -- End function
	.section	.AMDGPU.csdata,"",@progbits
; Kernel info:
; codeLenInByte = 7216
; NumSgprs: 42
; NumVgprs: 119
; NumAgprs: 0
; TotalNumVgprs: 119
; ScratchSize: 0
; MemoryBound: 0
; FloatMode: 240
; IeeeMode: 1
; LDSByteSize: 30728 bytes/workgroup (compile time only)
; SGPRBlocks: 5
; VGPRBlocks: 14
; NumSGPRsForWavesPerEU: 42
; NumVGPRsForWavesPerEU: 119
; AccumOffset: 120
; Occupancy: 4
; WaveLimiterHint : 1
; COMPUTE_PGM_RSRC2:SCRATCH_EN: 0
; COMPUTE_PGM_RSRC2:USER_SGPR: 2
; COMPUTE_PGM_RSRC2:TRAP_HANDLER: 0
; COMPUTE_PGM_RSRC2:TGID_X_EN: 1
; COMPUTE_PGM_RSRC2:TGID_Y_EN: 0
; COMPUTE_PGM_RSRC2:TGID_Z_EN: 0
; COMPUTE_PGM_RSRC2:TIDIG_COMP_CNT: 0
; COMPUTE_PGM_RSRC3_GFX90A:ACCUM_OFFSET: 29
; COMPUTE_PGM_RSRC3_GFX90A:TG_SPLIT: 0
	.section	.text._ZN7rocprim17ROCPRIM_400000_NS6detail17trampoline_kernelINS0_14default_configENS1_25partition_config_selectorILNS1_17partition_subalgoE0EtNS0_10empty_typeEbEEZZNS1_14partition_implILS5_0ELb0ES3_jN6thrust23THRUST_200600_302600_NS6detail15normal_iteratorINSA_10device_ptrItEEEEPS6_SG_NS0_5tupleIJNSA_16discard_iteratorINSA_11use_defaultEEESK_EEENSH_IJSG_SG_EEES6_PlJ7is_evenItEEEE10hipError_tPvRmT3_T4_T5_T6_T7_T9_mT8_P12ihipStream_tbDpT10_ENKUlT_T0_E_clISt17integral_constantIbLb0EES19_EEDaS14_S15_EUlS14_E_NS1_11comp_targetILNS1_3genE4ELNS1_11target_archE910ELNS1_3gpuE8ELNS1_3repE0EEENS1_30default_config_static_selectorELNS0_4arch9wavefront6targetE1EEEvT1_,"axG",@progbits,_ZN7rocprim17ROCPRIM_400000_NS6detail17trampoline_kernelINS0_14default_configENS1_25partition_config_selectorILNS1_17partition_subalgoE0EtNS0_10empty_typeEbEEZZNS1_14partition_implILS5_0ELb0ES3_jN6thrust23THRUST_200600_302600_NS6detail15normal_iteratorINSA_10device_ptrItEEEEPS6_SG_NS0_5tupleIJNSA_16discard_iteratorINSA_11use_defaultEEESK_EEENSH_IJSG_SG_EEES6_PlJ7is_evenItEEEE10hipError_tPvRmT3_T4_T5_T6_T7_T9_mT8_P12ihipStream_tbDpT10_ENKUlT_T0_E_clISt17integral_constantIbLb0EES19_EEDaS14_S15_EUlS14_E_NS1_11comp_targetILNS1_3genE4ELNS1_11target_archE910ELNS1_3gpuE8ELNS1_3repE0EEENS1_30default_config_static_selectorELNS0_4arch9wavefront6targetE1EEEvT1_,comdat
	.protected	_ZN7rocprim17ROCPRIM_400000_NS6detail17trampoline_kernelINS0_14default_configENS1_25partition_config_selectorILNS1_17partition_subalgoE0EtNS0_10empty_typeEbEEZZNS1_14partition_implILS5_0ELb0ES3_jN6thrust23THRUST_200600_302600_NS6detail15normal_iteratorINSA_10device_ptrItEEEEPS6_SG_NS0_5tupleIJNSA_16discard_iteratorINSA_11use_defaultEEESK_EEENSH_IJSG_SG_EEES6_PlJ7is_evenItEEEE10hipError_tPvRmT3_T4_T5_T6_T7_T9_mT8_P12ihipStream_tbDpT10_ENKUlT_T0_E_clISt17integral_constantIbLb0EES19_EEDaS14_S15_EUlS14_E_NS1_11comp_targetILNS1_3genE4ELNS1_11target_archE910ELNS1_3gpuE8ELNS1_3repE0EEENS1_30default_config_static_selectorELNS0_4arch9wavefront6targetE1EEEvT1_ ; -- Begin function _ZN7rocprim17ROCPRIM_400000_NS6detail17trampoline_kernelINS0_14default_configENS1_25partition_config_selectorILNS1_17partition_subalgoE0EtNS0_10empty_typeEbEEZZNS1_14partition_implILS5_0ELb0ES3_jN6thrust23THRUST_200600_302600_NS6detail15normal_iteratorINSA_10device_ptrItEEEEPS6_SG_NS0_5tupleIJNSA_16discard_iteratorINSA_11use_defaultEEESK_EEENSH_IJSG_SG_EEES6_PlJ7is_evenItEEEE10hipError_tPvRmT3_T4_T5_T6_T7_T9_mT8_P12ihipStream_tbDpT10_ENKUlT_T0_E_clISt17integral_constantIbLb0EES19_EEDaS14_S15_EUlS14_E_NS1_11comp_targetILNS1_3genE4ELNS1_11target_archE910ELNS1_3gpuE8ELNS1_3repE0EEENS1_30default_config_static_selectorELNS0_4arch9wavefront6targetE1EEEvT1_
	.globl	_ZN7rocprim17ROCPRIM_400000_NS6detail17trampoline_kernelINS0_14default_configENS1_25partition_config_selectorILNS1_17partition_subalgoE0EtNS0_10empty_typeEbEEZZNS1_14partition_implILS5_0ELb0ES3_jN6thrust23THRUST_200600_302600_NS6detail15normal_iteratorINSA_10device_ptrItEEEEPS6_SG_NS0_5tupleIJNSA_16discard_iteratorINSA_11use_defaultEEESK_EEENSH_IJSG_SG_EEES6_PlJ7is_evenItEEEE10hipError_tPvRmT3_T4_T5_T6_T7_T9_mT8_P12ihipStream_tbDpT10_ENKUlT_T0_E_clISt17integral_constantIbLb0EES19_EEDaS14_S15_EUlS14_E_NS1_11comp_targetILNS1_3genE4ELNS1_11target_archE910ELNS1_3gpuE8ELNS1_3repE0EEENS1_30default_config_static_selectorELNS0_4arch9wavefront6targetE1EEEvT1_
	.p2align	8
	.type	_ZN7rocprim17ROCPRIM_400000_NS6detail17trampoline_kernelINS0_14default_configENS1_25partition_config_selectorILNS1_17partition_subalgoE0EtNS0_10empty_typeEbEEZZNS1_14partition_implILS5_0ELb0ES3_jN6thrust23THRUST_200600_302600_NS6detail15normal_iteratorINSA_10device_ptrItEEEEPS6_SG_NS0_5tupleIJNSA_16discard_iteratorINSA_11use_defaultEEESK_EEENSH_IJSG_SG_EEES6_PlJ7is_evenItEEEE10hipError_tPvRmT3_T4_T5_T6_T7_T9_mT8_P12ihipStream_tbDpT10_ENKUlT_T0_E_clISt17integral_constantIbLb0EES19_EEDaS14_S15_EUlS14_E_NS1_11comp_targetILNS1_3genE4ELNS1_11target_archE910ELNS1_3gpuE8ELNS1_3repE0EEENS1_30default_config_static_selectorELNS0_4arch9wavefront6targetE1EEEvT1_,@function
_ZN7rocprim17ROCPRIM_400000_NS6detail17trampoline_kernelINS0_14default_configENS1_25partition_config_selectorILNS1_17partition_subalgoE0EtNS0_10empty_typeEbEEZZNS1_14partition_implILS5_0ELb0ES3_jN6thrust23THRUST_200600_302600_NS6detail15normal_iteratorINSA_10device_ptrItEEEEPS6_SG_NS0_5tupleIJNSA_16discard_iteratorINSA_11use_defaultEEESK_EEENSH_IJSG_SG_EEES6_PlJ7is_evenItEEEE10hipError_tPvRmT3_T4_T5_T6_T7_T9_mT8_P12ihipStream_tbDpT10_ENKUlT_T0_E_clISt17integral_constantIbLb0EES19_EEDaS14_S15_EUlS14_E_NS1_11comp_targetILNS1_3genE4ELNS1_11target_archE910ELNS1_3gpuE8ELNS1_3repE0EEENS1_30default_config_static_selectorELNS0_4arch9wavefront6targetE1EEEvT1_: ; @_ZN7rocprim17ROCPRIM_400000_NS6detail17trampoline_kernelINS0_14default_configENS1_25partition_config_selectorILNS1_17partition_subalgoE0EtNS0_10empty_typeEbEEZZNS1_14partition_implILS5_0ELb0ES3_jN6thrust23THRUST_200600_302600_NS6detail15normal_iteratorINSA_10device_ptrItEEEEPS6_SG_NS0_5tupleIJNSA_16discard_iteratorINSA_11use_defaultEEESK_EEENSH_IJSG_SG_EEES6_PlJ7is_evenItEEEE10hipError_tPvRmT3_T4_T5_T6_T7_T9_mT8_P12ihipStream_tbDpT10_ENKUlT_T0_E_clISt17integral_constantIbLb0EES19_EEDaS14_S15_EUlS14_E_NS1_11comp_targetILNS1_3genE4ELNS1_11target_archE910ELNS1_3gpuE8ELNS1_3repE0EEENS1_30default_config_static_selectorELNS0_4arch9wavefront6targetE1EEEvT1_
; %bb.0:
	.section	.rodata,"a",@progbits
	.p2align	6, 0x0
	.amdhsa_kernel _ZN7rocprim17ROCPRIM_400000_NS6detail17trampoline_kernelINS0_14default_configENS1_25partition_config_selectorILNS1_17partition_subalgoE0EtNS0_10empty_typeEbEEZZNS1_14partition_implILS5_0ELb0ES3_jN6thrust23THRUST_200600_302600_NS6detail15normal_iteratorINSA_10device_ptrItEEEEPS6_SG_NS0_5tupleIJNSA_16discard_iteratorINSA_11use_defaultEEESK_EEENSH_IJSG_SG_EEES6_PlJ7is_evenItEEEE10hipError_tPvRmT3_T4_T5_T6_T7_T9_mT8_P12ihipStream_tbDpT10_ENKUlT_T0_E_clISt17integral_constantIbLb0EES19_EEDaS14_S15_EUlS14_E_NS1_11comp_targetILNS1_3genE4ELNS1_11target_archE910ELNS1_3gpuE8ELNS1_3repE0EEENS1_30default_config_static_selectorELNS0_4arch9wavefront6targetE1EEEvT1_
		.amdhsa_group_segment_fixed_size 0
		.amdhsa_private_segment_fixed_size 0
		.amdhsa_kernarg_size 136
		.amdhsa_user_sgpr_count 2
		.amdhsa_user_sgpr_dispatch_ptr 0
		.amdhsa_user_sgpr_queue_ptr 0
		.amdhsa_user_sgpr_kernarg_segment_ptr 1
		.amdhsa_user_sgpr_dispatch_id 0
		.amdhsa_user_sgpr_kernarg_preload_length 0
		.amdhsa_user_sgpr_kernarg_preload_offset 0
		.amdhsa_user_sgpr_private_segment_size 0
		.amdhsa_uses_dynamic_stack 0
		.amdhsa_enable_private_segment 0
		.amdhsa_system_sgpr_workgroup_id_x 1
		.amdhsa_system_sgpr_workgroup_id_y 0
		.amdhsa_system_sgpr_workgroup_id_z 0
		.amdhsa_system_sgpr_workgroup_info 0
		.amdhsa_system_vgpr_workitem_id 0
		.amdhsa_next_free_vgpr 1
		.amdhsa_next_free_sgpr 0
		.amdhsa_accum_offset 4
		.amdhsa_reserve_vcc 0
		.amdhsa_float_round_mode_32 0
		.amdhsa_float_round_mode_16_64 0
		.amdhsa_float_denorm_mode_32 3
		.amdhsa_float_denorm_mode_16_64 3
		.amdhsa_dx10_clamp 1
		.amdhsa_ieee_mode 1
		.amdhsa_fp16_overflow 0
		.amdhsa_tg_split 0
		.amdhsa_exception_fp_ieee_invalid_op 0
		.amdhsa_exception_fp_denorm_src 0
		.amdhsa_exception_fp_ieee_div_zero 0
		.amdhsa_exception_fp_ieee_overflow 0
		.amdhsa_exception_fp_ieee_underflow 0
		.amdhsa_exception_fp_ieee_inexact 0
		.amdhsa_exception_int_div_zero 0
	.end_amdhsa_kernel
	.section	.text._ZN7rocprim17ROCPRIM_400000_NS6detail17trampoline_kernelINS0_14default_configENS1_25partition_config_selectorILNS1_17partition_subalgoE0EtNS0_10empty_typeEbEEZZNS1_14partition_implILS5_0ELb0ES3_jN6thrust23THRUST_200600_302600_NS6detail15normal_iteratorINSA_10device_ptrItEEEEPS6_SG_NS0_5tupleIJNSA_16discard_iteratorINSA_11use_defaultEEESK_EEENSH_IJSG_SG_EEES6_PlJ7is_evenItEEEE10hipError_tPvRmT3_T4_T5_T6_T7_T9_mT8_P12ihipStream_tbDpT10_ENKUlT_T0_E_clISt17integral_constantIbLb0EES19_EEDaS14_S15_EUlS14_E_NS1_11comp_targetILNS1_3genE4ELNS1_11target_archE910ELNS1_3gpuE8ELNS1_3repE0EEENS1_30default_config_static_selectorELNS0_4arch9wavefront6targetE1EEEvT1_,"axG",@progbits,_ZN7rocprim17ROCPRIM_400000_NS6detail17trampoline_kernelINS0_14default_configENS1_25partition_config_selectorILNS1_17partition_subalgoE0EtNS0_10empty_typeEbEEZZNS1_14partition_implILS5_0ELb0ES3_jN6thrust23THRUST_200600_302600_NS6detail15normal_iteratorINSA_10device_ptrItEEEEPS6_SG_NS0_5tupleIJNSA_16discard_iteratorINSA_11use_defaultEEESK_EEENSH_IJSG_SG_EEES6_PlJ7is_evenItEEEE10hipError_tPvRmT3_T4_T5_T6_T7_T9_mT8_P12ihipStream_tbDpT10_ENKUlT_T0_E_clISt17integral_constantIbLb0EES19_EEDaS14_S15_EUlS14_E_NS1_11comp_targetILNS1_3genE4ELNS1_11target_archE910ELNS1_3gpuE8ELNS1_3repE0EEENS1_30default_config_static_selectorELNS0_4arch9wavefront6targetE1EEEvT1_,comdat
.Lfunc_end2493:
	.size	_ZN7rocprim17ROCPRIM_400000_NS6detail17trampoline_kernelINS0_14default_configENS1_25partition_config_selectorILNS1_17partition_subalgoE0EtNS0_10empty_typeEbEEZZNS1_14partition_implILS5_0ELb0ES3_jN6thrust23THRUST_200600_302600_NS6detail15normal_iteratorINSA_10device_ptrItEEEEPS6_SG_NS0_5tupleIJNSA_16discard_iteratorINSA_11use_defaultEEESK_EEENSH_IJSG_SG_EEES6_PlJ7is_evenItEEEE10hipError_tPvRmT3_T4_T5_T6_T7_T9_mT8_P12ihipStream_tbDpT10_ENKUlT_T0_E_clISt17integral_constantIbLb0EES19_EEDaS14_S15_EUlS14_E_NS1_11comp_targetILNS1_3genE4ELNS1_11target_archE910ELNS1_3gpuE8ELNS1_3repE0EEENS1_30default_config_static_selectorELNS0_4arch9wavefront6targetE1EEEvT1_, .Lfunc_end2493-_ZN7rocprim17ROCPRIM_400000_NS6detail17trampoline_kernelINS0_14default_configENS1_25partition_config_selectorILNS1_17partition_subalgoE0EtNS0_10empty_typeEbEEZZNS1_14partition_implILS5_0ELb0ES3_jN6thrust23THRUST_200600_302600_NS6detail15normal_iteratorINSA_10device_ptrItEEEEPS6_SG_NS0_5tupleIJNSA_16discard_iteratorINSA_11use_defaultEEESK_EEENSH_IJSG_SG_EEES6_PlJ7is_evenItEEEE10hipError_tPvRmT3_T4_T5_T6_T7_T9_mT8_P12ihipStream_tbDpT10_ENKUlT_T0_E_clISt17integral_constantIbLb0EES19_EEDaS14_S15_EUlS14_E_NS1_11comp_targetILNS1_3genE4ELNS1_11target_archE910ELNS1_3gpuE8ELNS1_3repE0EEENS1_30default_config_static_selectorELNS0_4arch9wavefront6targetE1EEEvT1_
                                        ; -- End function
	.section	.AMDGPU.csdata,"",@progbits
; Kernel info:
; codeLenInByte = 0
; NumSgprs: 6
; NumVgprs: 0
; NumAgprs: 0
; TotalNumVgprs: 0
; ScratchSize: 0
; MemoryBound: 0
; FloatMode: 240
; IeeeMode: 1
; LDSByteSize: 0 bytes/workgroup (compile time only)
; SGPRBlocks: 0
; VGPRBlocks: 0
; NumSGPRsForWavesPerEU: 6
; NumVGPRsForWavesPerEU: 1
; AccumOffset: 4
; Occupancy: 8
; WaveLimiterHint : 0
; COMPUTE_PGM_RSRC2:SCRATCH_EN: 0
; COMPUTE_PGM_RSRC2:USER_SGPR: 2
; COMPUTE_PGM_RSRC2:TRAP_HANDLER: 0
; COMPUTE_PGM_RSRC2:TGID_X_EN: 1
; COMPUTE_PGM_RSRC2:TGID_Y_EN: 0
; COMPUTE_PGM_RSRC2:TGID_Z_EN: 0
; COMPUTE_PGM_RSRC2:TIDIG_COMP_CNT: 0
; COMPUTE_PGM_RSRC3_GFX90A:ACCUM_OFFSET: 0
; COMPUTE_PGM_RSRC3_GFX90A:TG_SPLIT: 0
	.section	.text._ZN7rocprim17ROCPRIM_400000_NS6detail17trampoline_kernelINS0_14default_configENS1_25partition_config_selectorILNS1_17partition_subalgoE0EtNS0_10empty_typeEbEEZZNS1_14partition_implILS5_0ELb0ES3_jN6thrust23THRUST_200600_302600_NS6detail15normal_iteratorINSA_10device_ptrItEEEEPS6_SG_NS0_5tupleIJNSA_16discard_iteratorINSA_11use_defaultEEESK_EEENSH_IJSG_SG_EEES6_PlJ7is_evenItEEEE10hipError_tPvRmT3_T4_T5_T6_T7_T9_mT8_P12ihipStream_tbDpT10_ENKUlT_T0_E_clISt17integral_constantIbLb0EES19_EEDaS14_S15_EUlS14_E_NS1_11comp_targetILNS1_3genE3ELNS1_11target_archE908ELNS1_3gpuE7ELNS1_3repE0EEENS1_30default_config_static_selectorELNS0_4arch9wavefront6targetE1EEEvT1_,"axG",@progbits,_ZN7rocprim17ROCPRIM_400000_NS6detail17trampoline_kernelINS0_14default_configENS1_25partition_config_selectorILNS1_17partition_subalgoE0EtNS0_10empty_typeEbEEZZNS1_14partition_implILS5_0ELb0ES3_jN6thrust23THRUST_200600_302600_NS6detail15normal_iteratorINSA_10device_ptrItEEEEPS6_SG_NS0_5tupleIJNSA_16discard_iteratorINSA_11use_defaultEEESK_EEENSH_IJSG_SG_EEES6_PlJ7is_evenItEEEE10hipError_tPvRmT3_T4_T5_T6_T7_T9_mT8_P12ihipStream_tbDpT10_ENKUlT_T0_E_clISt17integral_constantIbLb0EES19_EEDaS14_S15_EUlS14_E_NS1_11comp_targetILNS1_3genE3ELNS1_11target_archE908ELNS1_3gpuE7ELNS1_3repE0EEENS1_30default_config_static_selectorELNS0_4arch9wavefront6targetE1EEEvT1_,comdat
	.protected	_ZN7rocprim17ROCPRIM_400000_NS6detail17trampoline_kernelINS0_14default_configENS1_25partition_config_selectorILNS1_17partition_subalgoE0EtNS0_10empty_typeEbEEZZNS1_14partition_implILS5_0ELb0ES3_jN6thrust23THRUST_200600_302600_NS6detail15normal_iteratorINSA_10device_ptrItEEEEPS6_SG_NS0_5tupleIJNSA_16discard_iteratorINSA_11use_defaultEEESK_EEENSH_IJSG_SG_EEES6_PlJ7is_evenItEEEE10hipError_tPvRmT3_T4_T5_T6_T7_T9_mT8_P12ihipStream_tbDpT10_ENKUlT_T0_E_clISt17integral_constantIbLb0EES19_EEDaS14_S15_EUlS14_E_NS1_11comp_targetILNS1_3genE3ELNS1_11target_archE908ELNS1_3gpuE7ELNS1_3repE0EEENS1_30default_config_static_selectorELNS0_4arch9wavefront6targetE1EEEvT1_ ; -- Begin function _ZN7rocprim17ROCPRIM_400000_NS6detail17trampoline_kernelINS0_14default_configENS1_25partition_config_selectorILNS1_17partition_subalgoE0EtNS0_10empty_typeEbEEZZNS1_14partition_implILS5_0ELb0ES3_jN6thrust23THRUST_200600_302600_NS6detail15normal_iteratorINSA_10device_ptrItEEEEPS6_SG_NS0_5tupleIJNSA_16discard_iteratorINSA_11use_defaultEEESK_EEENSH_IJSG_SG_EEES6_PlJ7is_evenItEEEE10hipError_tPvRmT3_T4_T5_T6_T7_T9_mT8_P12ihipStream_tbDpT10_ENKUlT_T0_E_clISt17integral_constantIbLb0EES19_EEDaS14_S15_EUlS14_E_NS1_11comp_targetILNS1_3genE3ELNS1_11target_archE908ELNS1_3gpuE7ELNS1_3repE0EEENS1_30default_config_static_selectorELNS0_4arch9wavefront6targetE1EEEvT1_
	.globl	_ZN7rocprim17ROCPRIM_400000_NS6detail17trampoline_kernelINS0_14default_configENS1_25partition_config_selectorILNS1_17partition_subalgoE0EtNS0_10empty_typeEbEEZZNS1_14partition_implILS5_0ELb0ES3_jN6thrust23THRUST_200600_302600_NS6detail15normal_iteratorINSA_10device_ptrItEEEEPS6_SG_NS0_5tupleIJNSA_16discard_iteratorINSA_11use_defaultEEESK_EEENSH_IJSG_SG_EEES6_PlJ7is_evenItEEEE10hipError_tPvRmT3_T4_T5_T6_T7_T9_mT8_P12ihipStream_tbDpT10_ENKUlT_T0_E_clISt17integral_constantIbLb0EES19_EEDaS14_S15_EUlS14_E_NS1_11comp_targetILNS1_3genE3ELNS1_11target_archE908ELNS1_3gpuE7ELNS1_3repE0EEENS1_30default_config_static_selectorELNS0_4arch9wavefront6targetE1EEEvT1_
	.p2align	8
	.type	_ZN7rocprim17ROCPRIM_400000_NS6detail17trampoline_kernelINS0_14default_configENS1_25partition_config_selectorILNS1_17partition_subalgoE0EtNS0_10empty_typeEbEEZZNS1_14partition_implILS5_0ELb0ES3_jN6thrust23THRUST_200600_302600_NS6detail15normal_iteratorINSA_10device_ptrItEEEEPS6_SG_NS0_5tupleIJNSA_16discard_iteratorINSA_11use_defaultEEESK_EEENSH_IJSG_SG_EEES6_PlJ7is_evenItEEEE10hipError_tPvRmT3_T4_T5_T6_T7_T9_mT8_P12ihipStream_tbDpT10_ENKUlT_T0_E_clISt17integral_constantIbLb0EES19_EEDaS14_S15_EUlS14_E_NS1_11comp_targetILNS1_3genE3ELNS1_11target_archE908ELNS1_3gpuE7ELNS1_3repE0EEENS1_30default_config_static_selectorELNS0_4arch9wavefront6targetE1EEEvT1_,@function
_ZN7rocprim17ROCPRIM_400000_NS6detail17trampoline_kernelINS0_14default_configENS1_25partition_config_selectorILNS1_17partition_subalgoE0EtNS0_10empty_typeEbEEZZNS1_14partition_implILS5_0ELb0ES3_jN6thrust23THRUST_200600_302600_NS6detail15normal_iteratorINSA_10device_ptrItEEEEPS6_SG_NS0_5tupleIJNSA_16discard_iteratorINSA_11use_defaultEEESK_EEENSH_IJSG_SG_EEES6_PlJ7is_evenItEEEE10hipError_tPvRmT3_T4_T5_T6_T7_T9_mT8_P12ihipStream_tbDpT10_ENKUlT_T0_E_clISt17integral_constantIbLb0EES19_EEDaS14_S15_EUlS14_E_NS1_11comp_targetILNS1_3genE3ELNS1_11target_archE908ELNS1_3gpuE7ELNS1_3repE0EEENS1_30default_config_static_selectorELNS0_4arch9wavefront6targetE1EEEvT1_: ; @_ZN7rocprim17ROCPRIM_400000_NS6detail17trampoline_kernelINS0_14default_configENS1_25partition_config_selectorILNS1_17partition_subalgoE0EtNS0_10empty_typeEbEEZZNS1_14partition_implILS5_0ELb0ES3_jN6thrust23THRUST_200600_302600_NS6detail15normal_iteratorINSA_10device_ptrItEEEEPS6_SG_NS0_5tupleIJNSA_16discard_iteratorINSA_11use_defaultEEESK_EEENSH_IJSG_SG_EEES6_PlJ7is_evenItEEEE10hipError_tPvRmT3_T4_T5_T6_T7_T9_mT8_P12ihipStream_tbDpT10_ENKUlT_T0_E_clISt17integral_constantIbLb0EES19_EEDaS14_S15_EUlS14_E_NS1_11comp_targetILNS1_3genE3ELNS1_11target_archE908ELNS1_3gpuE7ELNS1_3repE0EEENS1_30default_config_static_selectorELNS0_4arch9wavefront6targetE1EEEvT1_
; %bb.0:
	.section	.rodata,"a",@progbits
	.p2align	6, 0x0
	.amdhsa_kernel _ZN7rocprim17ROCPRIM_400000_NS6detail17trampoline_kernelINS0_14default_configENS1_25partition_config_selectorILNS1_17partition_subalgoE0EtNS0_10empty_typeEbEEZZNS1_14partition_implILS5_0ELb0ES3_jN6thrust23THRUST_200600_302600_NS6detail15normal_iteratorINSA_10device_ptrItEEEEPS6_SG_NS0_5tupleIJNSA_16discard_iteratorINSA_11use_defaultEEESK_EEENSH_IJSG_SG_EEES6_PlJ7is_evenItEEEE10hipError_tPvRmT3_T4_T5_T6_T7_T9_mT8_P12ihipStream_tbDpT10_ENKUlT_T0_E_clISt17integral_constantIbLb0EES19_EEDaS14_S15_EUlS14_E_NS1_11comp_targetILNS1_3genE3ELNS1_11target_archE908ELNS1_3gpuE7ELNS1_3repE0EEENS1_30default_config_static_selectorELNS0_4arch9wavefront6targetE1EEEvT1_
		.amdhsa_group_segment_fixed_size 0
		.amdhsa_private_segment_fixed_size 0
		.amdhsa_kernarg_size 136
		.amdhsa_user_sgpr_count 2
		.amdhsa_user_sgpr_dispatch_ptr 0
		.amdhsa_user_sgpr_queue_ptr 0
		.amdhsa_user_sgpr_kernarg_segment_ptr 1
		.amdhsa_user_sgpr_dispatch_id 0
		.amdhsa_user_sgpr_kernarg_preload_length 0
		.amdhsa_user_sgpr_kernarg_preload_offset 0
		.amdhsa_user_sgpr_private_segment_size 0
		.amdhsa_uses_dynamic_stack 0
		.amdhsa_enable_private_segment 0
		.amdhsa_system_sgpr_workgroup_id_x 1
		.amdhsa_system_sgpr_workgroup_id_y 0
		.amdhsa_system_sgpr_workgroup_id_z 0
		.amdhsa_system_sgpr_workgroup_info 0
		.amdhsa_system_vgpr_workitem_id 0
		.amdhsa_next_free_vgpr 1
		.amdhsa_next_free_sgpr 0
		.amdhsa_accum_offset 4
		.amdhsa_reserve_vcc 0
		.amdhsa_float_round_mode_32 0
		.amdhsa_float_round_mode_16_64 0
		.amdhsa_float_denorm_mode_32 3
		.amdhsa_float_denorm_mode_16_64 3
		.amdhsa_dx10_clamp 1
		.amdhsa_ieee_mode 1
		.amdhsa_fp16_overflow 0
		.amdhsa_tg_split 0
		.amdhsa_exception_fp_ieee_invalid_op 0
		.amdhsa_exception_fp_denorm_src 0
		.amdhsa_exception_fp_ieee_div_zero 0
		.amdhsa_exception_fp_ieee_overflow 0
		.amdhsa_exception_fp_ieee_underflow 0
		.amdhsa_exception_fp_ieee_inexact 0
		.amdhsa_exception_int_div_zero 0
	.end_amdhsa_kernel
	.section	.text._ZN7rocprim17ROCPRIM_400000_NS6detail17trampoline_kernelINS0_14default_configENS1_25partition_config_selectorILNS1_17partition_subalgoE0EtNS0_10empty_typeEbEEZZNS1_14partition_implILS5_0ELb0ES3_jN6thrust23THRUST_200600_302600_NS6detail15normal_iteratorINSA_10device_ptrItEEEEPS6_SG_NS0_5tupleIJNSA_16discard_iteratorINSA_11use_defaultEEESK_EEENSH_IJSG_SG_EEES6_PlJ7is_evenItEEEE10hipError_tPvRmT3_T4_T5_T6_T7_T9_mT8_P12ihipStream_tbDpT10_ENKUlT_T0_E_clISt17integral_constantIbLb0EES19_EEDaS14_S15_EUlS14_E_NS1_11comp_targetILNS1_3genE3ELNS1_11target_archE908ELNS1_3gpuE7ELNS1_3repE0EEENS1_30default_config_static_selectorELNS0_4arch9wavefront6targetE1EEEvT1_,"axG",@progbits,_ZN7rocprim17ROCPRIM_400000_NS6detail17trampoline_kernelINS0_14default_configENS1_25partition_config_selectorILNS1_17partition_subalgoE0EtNS0_10empty_typeEbEEZZNS1_14partition_implILS5_0ELb0ES3_jN6thrust23THRUST_200600_302600_NS6detail15normal_iteratorINSA_10device_ptrItEEEEPS6_SG_NS0_5tupleIJNSA_16discard_iteratorINSA_11use_defaultEEESK_EEENSH_IJSG_SG_EEES6_PlJ7is_evenItEEEE10hipError_tPvRmT3_T4_T5_T6_T7_T9_mT8_P12ihipStream_tbDpT10_ENKUlT_T0_E_clISt17integral_constantIbLb0EES19_EEDaS14_S15_EUlS14_E_NS1_11comp_targetILNS1_3genE3ELNS1_11target_archE908ELNS1_3gpuE7ELNS1_3repE0EEENS1_30default_config_static_selectorELNS0_4arch9wavefront6targetE1EEEvT1_,comdat
.Lfunc_end2494:
	.size	_ZN7rocprim17ROCPRIM_400000_NS6detail17trampoline_kernelINS0_14default_configENS1_25partition_config_selectorILNS1_17partition_subalgoE0EtNS0_10empty_typeEbEEZZNS1_14partition_implILS5_0ELb0ES3_jN6thrust23THRUST_200600_302600_NS6detail15normal_iteratorINSA_10device_ptrItEEEEPS6_SG_NS0_5tupleIJNSA_16discard_iteratorINSA_11use_defaultEEESK_EEENSH_IJSG_SG_EEES6_PlJ7is_evenItEEEE10hipError_tPvRmT3_T4_T5_T6_T7_T9_mT8_P12ihipStream_tbDpT10_ENKUlT_T0_E_clISt17integral_constantIbLb0EES19_EEDaS14_S15_EUlS14_E_NS1_11comp_targetILNS1_3genE3ELNS1_11target_archE908ELNS1_3gpuE7ELNS1_3repE0EEENS1_30default_config_static_selectorELNS0_4arch9wavefront6targetE1EEEvT1_, .Lfunc_end2494-_ZN7rocprim17ROCPRIM_400000_NS6detail17trampoline_kernelINS0_14default_configENS1_25partition_config_selectorILNS1_17partition_subalgoE0EtNS0_10empty_typeEbEEZZNS1_14partition_implILS5_0ELb0ES3_jN6thrust23THRUST_200600_302600_NS6detail15normal_iteratorINSA_10device_ptrItEEEEPS6_SG_NS0_5tupleIJNSA_16discard_iteratorINSA_11use_defaultEEESK_EEENSH_IJSG_SG_EEES6_PlJ7is_evenItEEEE10hipError_tPvRmT3_T4_T5_T6_T7_T9_mT8_P12ihipStream_tbDpT10_ENKUlT_T0_E_clISt17integral_constantIbLb0EES19_EEDaS14_S15_EUlS14_E_NS1_11comp_targetILNS1_3genE3ELNS1_11target_archE908ELNS1_3gpuE7ELNS1_3repE0EEENS1_30default_config_static_selectorELNS0_4arch9wavefront6targetE1EEEvT1_
                                        ; -- End function
	.section	.AMDGPU.csdata,"",@progbits
; Kernel info:
; codeLenInByte = 0
; NumSgprs: 6
; NumVgprs: 0
; NumAgprs: 0
; TotalNumVgprs: 0
; ScratchSize: 0
; MemoryBound: 0
; FloatMode: 240
; IeeeMode: 1
; LDSByteSize: 0 bytes/workgroup (compile time only)
; SGPRBlocks: 0
; VGPRBlocks: 0
; NumSGPRsForWavesPerEU: 6
; NumVGPRsForWavesPerEU: 1
; AccumOffset: 4
; Occupancy: 8
; WaveLimiterHint : 0
; COMPUTE_PGM_RSRC2:SCRATCH_EN: 0
; COMPUTE_PGM_RSRC2:USER_SGPR: 2
; COMPUTE_PGM_RSRC2:TRAP_HANDLER: 0
; COMPUTE_PGM_RSRC2:TGID_X_EN: 1
; COMPUTE_PGM_RSRC2:TGID_Y_EN: 0
; COMPUTE_PGM_RSRC2:TGID_Z_EN: 0
; COMPUTE_PGM_RSRC2:TIDIG_COMP_CNT: 0
; COMPUTE_PGM_RSRC3_GFX90A:ACCUM_OFFSET: 0
; COMPUTE_PGM_RSRC3_GFX90A:TG_SPLIT: 0
	.section	.text._ZN7rocprim17ROCPRIM_400000_NS6detail17trampoline_kernelINS0_14default_configENS1_25partition_config_selectorILNS1_17partition_subalgoE0EtNS0_10empty_typeEbEEZZNS1_14partition_implILS5_0ELb0ES3_jN6thrust23THRUST_200600_302600_NS6detail15normal_iteratorINSA_10device_ptrItEEEEPS6_SG_NS0_5tupleIJNSA_16discard_iteratorINSA_11use_defaultEEESK_EEENSH_IJSG_SG_EEES6_PlJ7is_evenItEEEE10hipError_tPvRmT3_T4_T5_T6_T7_T9_mT8_P12ihipStream_tbDpT10_ENKUlT_T0_E_clISt17integral_constantIbLb0EES19_EEDaS14_S15_EUlS14_E_NS1_11comp_targetILNS1_3genE2ELNS1_11target_archE906ELNS1_3gpuE6ELNS1_3repE0EEENS1_30default_config_static_selectorELNS0_4arch9wavefront6targetE1EEEvT1_,"axG",@progbits,_ZN7rocprim17ROCPRIM_400000_NS6detail17trampoline_kernelINS0_14default_configENS1_25partition_config_selectorILNS1_17partition_subalgoE0EtNS0_10empty_typeEbEEZZNS1_14partition_implILS5_0ELb0ES3_jN6thrust23THRUST_200600_302600_NS6detail15normal_iteratorINSA_10device_ptrItEEEEPS6_SG_NS0_5tupleIJNSA_16discard_iteratorINSA_11use_defaultEEESK_EEENSH_IJSG_SG_EEES6_PlJ7is_evenItEEEE10hipError_tPvRmT3_T4_T5_T6_T7_T9_mT8_P12ihipStream_tbDpT10_ENKUlT_T0_E_clISt17integral_constantIbLb0EES19_EEDaS14_S15_EUlS14_E_NS1_11comp_targetILNS1_3genE2ELNS1_11target_archE906ELNS1_3gpuE6ELNS1_3repE0EEENS1_30default_config_static_selectorELNS0_4arch9wavefront6targetE1EEEvT1_,comdat
	.protected	_ZN7rocprim17ROCPRIM_400000_NS6detail17trampoline_kernelINS0_14default_configENS1_25partition_config_selectorILNS1_17partition_subalgoE0EtNS0_10empty_typeEbEEZZNS1_14partition_implILS5_0ELb0ES3_jN6thrust23THRUST_200600_302600_NS6detail15normal_iteratorINSA_10device_ptrItEEEEPS6_SG_NS0_5tupleIJNSA_16discard_iteratorINSA_11use_defaultEEESK_EEENSH_IJSG_SG_EEES6_PlJ7is_evenItEEEE10hipError_tPvRmT3_T4_T5_T6_T7_T9_mT8_P12ihipStream_tbDpT10_ENKUlT_T0_E_clISt17integral_constantIbLb0EES19_EEDaS14_S15_EUlS14_E_NS1_11comp_targetILNS1_3genE2ELNS1_11target_archE906ELNS1_3gpuE6ELNS1_3repE0EEENS1_30default_config_static_selectorELNS0_4arch9wavefront6targetE1EEEvT1_ ; -- Begin function _ZN7rocprim17ROCPRIM_400000_NS6detail17trampoline_kernelINS0_14default_configENS1_25partition_config_selectorILNS1_17partition_subalgoE0EtNS0_10empty_typeEbEEZZNS1_14partition_implILS5_0ELb0ES3_jN6thrust23THRUST_200600_302600_NS6detail15normal_iteratorINSA_10device_ptrItEEEEPS6_SG_NS0_5tupleIJNSA_16discard_iteratorINSA_11use_defaultEEESK_EEENSH_IJSG_SG_EEES6_PlJ7is_evenItEEEE10hipError_tPvRmT3_T4_T5_T6_T7_T9_mT8_P12ihipStream_tbDpT10_ENKUlT_T0_E_clISt17integral_constantIbLb0EES19_EEDaS14_S15_EUlS14_E_NS1_11comp_targetILNS1_3genE2ELNS1_11target_archE906ELNS1_3gpuE6ELNS1_3repE0EEENS1_30default_config_static_selectorELNS0_4arch9wavefront6targetE1EEEvT1_
	.globl	_ZN7rocprim17ROCPRIM_400000_NS6detail17trampoline_kernelINS0_14default_configENS1_25partition_config_selectorILNS1_17partition_subalgoE0EtNS0_10empty_typeEbEEZZNS1_14partition_implILS5_0ELb0ES3_jN6thrust23THRUST_200600_302600_NS6detail15normal_iteratorINSA_10device_ptrItEEEEPS6_SG_NS0_5tupleIJNSA_16discard_iteratorINSA_11use_defaultEEESK_EEENSH_IJSG_SG_EEES6_PlJ7is_evenItEEEE10hipError_tPvRmT3_T4_T5_T6_T7_T9_mT8_P12ihipStream_tbDpT10_ENKUlT_T0_E_clISt17integral_constantIbLb0EES19_EEDaS14_S15_EUlS14_E_NS1_11comp_targetILNS1_3genE2ELNS1_11target_archE906ELNS1_3gpuE6ELNS1_3repE0EEENS1_30default_config_static_selectorELNS0_4arch9wavefront6targetE1EEEvT1_
	.p2align	8
	.type	_ZN7rocprim17ROCPRIM_400000_NS6detail17trampoline_kernelINS0_14default_configENS1_25partition_config_selectorILNS1_17partition_subalgoE0EtNS0_10empty_typeEbEEZZNS1_14partition_implILS5_0ELb0ES3_jN6thrust23THRUST_200600_302600_NS6detail15normal_iteratorINSA_10device_ptrItEEEEPS6_SG_NS0_5tupleIJNSA_16discard_iteratorINSA_11use_defaultEEESK_EEENSH_IJSG_SG_EEES6_PlJ7is_evenItEEEE10hipError_tPvRmT3_T4_T5_T6_T7_T9_mT8_P12ihipStream_tbDpT10_ENKUlT_T0_E_clISt17integral_constantIbLb0EES19_EEDaS14_S15_EUlS14_E_NS1_11comp_targetILNS1_3genE2ELNS1_11target_archE906ELNS1_3gpuE6ELNS1_3repE0EEENS1_30default_config_static_selectorELNS0_4arch9wavefront6targetE1EEEvT1_,@function
_ZN7rocprim17ROCPRIM_400000_NS6detail17trampoline_kernelINS0_14default_configENS1_25partition_config_selectorILNS1_17partition_subalgoE0EtNS0_10empty_typeEbEEZZNS1_14partition_implILS5_0ELb0ES3_jN6thrust23THRUST_200600_302600_NS6detail15normal_iteratorINSA_10device_ptrItEEEEPS6_SG_NS0_5tupleIJNSA_16discard_iteratorINSA_11use_defaultEEESK_EEENSH_IJSG_SG_EEES6_PlJ7is_evenItEEEE10hipError_tPvRmT3_T4_T5_T6_T7_T9_mT8_P12ihipStream_tbDpT10_ENKUlT_T0_E_clISt17integral_constantIbLb0EES19_EEDaS14_S15_EUlS14_E_NS1_11comp_targetILNS1_3genE2ELNS1_11target_archE906ELNS1_3gpuE6ELNS1_3repE0EEENS1_30default_config_static_selectorELNS0_4arch9wavefront6targetE1EEEvT1_: ; @_ZN7rocprim17ROCPRIM_400000_NS6detail17trampoline_kernelINS0_14default_configENS1_25partition_config_selectorILNS1_17partition_subalgoE0EtNS0_10empty_typeEbEEZZNS1_14partition_implILS5_0ELb0ES3_jN6thrust23THRUST_200600_302600_NS6detail15normal_iteratorINSA_10device_ptrItEEEEPS6_SG_NS0_5tupleIJNSA_16discard_iteratorINSA_11use_defaultEEESK_EEENSH_IJSG_SG_EEES6_PlJ7is_evenItEEEE10hipError_tPvRmT3_T4_T5_T6_T7_T9_mT8_P12ihipStream_tbDpT10_ENKUlT_T0_E_clISt17integral_constantIbLb0EES19_EEDaS14_S15_EUlS14_E_NS1_11comp_targetILNS1_3genE2ELNS1_11target_archE906ELNS1_3gpuE6ELNS1_3repE0EEENS1_30default_config_static_selectorELNS0_4arch9wavefront6targetE1EEEvT1_
; %bb.0:
	.section	.rodata,"a",@progbits
	.p2align	6, 0x0
	.amdhsa_kernel _ZN7rocprim17ROCPRIM_400000_NS6detail17trampoline_kernelINS0_14default_configENS1_25partition_config_selectorILNS1_17partition_subalgoE0EtNS0_10empty_typeEbEEZZNS1_14partition_implILS5_0ELb0ES3_jN6thrust23THRUST_200600_302600_NS6detail15normal_iteratorINSA_10device_ptrItEEEEPS6_SG_NS0_5tupleIJNSA_16discard_iteratorINSA_11use_defaultEEESK_EEENSH_IJSG_SG_EEES6_PlJ7is_evenItEEEE10hipError_tPvRmT3_T4_T5_T6_T7_T9_mT8_P12ihipStream_tbDpT10_ENKUlT_T0_E_clISt17integral_constantIbLb0EES19_EEDaS14_S15_EUlS14_E_NS1_11comp_targetILNS1_3genE2ELNS1_11target_archE906ELNS1_3gpuE6ELNS1_3repE0EEENS1_30default_config_static_selectorELNS0_4arch9wavefront6targetE1EEEvT1_
		.amdhsa_group_segment_fixed_size 0
		.amdhsa_private_segment_fixed_size 0
		.amdhsa_kernarg_size 136
		.amdhsa_user_sgpr_count 2
		.amdhsa_user_sgpr_dispatch_ptr 0
		.amdhsa_user_sgpr_queue_ptr 0
		.amdhsa_user_sgpr_kernarg_segment_ptr 1
		.amdhsa_user_sgpr_dispatch_id 0
		.amdhsa_user_sgpr_kernarg_preload_length 0
		.amdhsa_user_sgpr_kernarg_preload_offset 0
		.amdhsa_user_sgpr_private_segment_size 0
		.amdhsa_uses_dynamic_stack 0
		.amdhsa_enable_private_segment 0
		.amdhsa_system_sgpr_workgroup_id_x 1
		.amdhsa_system_sgpr_workgroup_id_y 0
		.amdhsa_system_sgpr_workgroup_id_z 0
		.amdhsa_system_sgpr_workgroup_info 0
		.amdhsa_system_vgpr_workitem_id 0
		.amdhsa_next_free_vgpr 1
		.amdhsa_next_free_sgpr 0
		.amdhsa_accum_offset 4
		.amdhsa_reserve_vcc 0
		.amdhsa_float_round_mode_32 0
		.amdhsa_float_round_mode_16_64 0
		.amdhsa_float_denorm_mode_32 3
		.amdhsa_float_denorm_mode_16_64 3
		.amdhsa_dx10_clamp 1
		.amdhsa_ieee_mode 1
		.amdhsa_fp16_overflow 0
		.amdhsa_tg_split 0
		.amdhsa_exception_fp_ieee_invalid_op 0
		.amdhsa_exception_fp_denorm_src 0
		.amdhsa_exception_fp_ieee_div_zero 0
		.amdhsa_exception_fp_ieee_overflow 0
		.amdhsa_exception_fp_ieee_underflow 0
		.amdhsa_exception_fp_ieee_inexact 0
		.amdhsa_exception_int_div_zero 0
	.end_amdhsa_kernel
	.section	.text._ZN7rocprim17ROCPRIM_400000_NS6detail17trampoline_kernelINS0_14default_configENS1_25partition_config_selectorILNS1_17partition_subalgoE0EtNS0_10empty_typeEbEEZZNS1_14partition_implILS5_0ELb0ES3_jN6thrust23THRUST_200600_302600_NS6detail15normal_iteratorINSA_10device_ptrItEEEEPS6_SG_NS0_5tupleIJNSA_16discard_iteratorINSA_11use_defaultEEESK_EEENSH_IJSG_SG_EEES6_PlJ7is_evenItEEEE10hipError_tPvRmT3_T4_T5_T6_T7_T9_mT8_P12ihipStream_tbDpT10_ENKUlT_T0_E_clISt17integral_constantIbLb0EES19_EEDaS14_S15_EUlS14_E_NS1_11comp_targetILNS1_3genE2ELNS1_11target_archE906ELNS1_3gpuE6ELNS1_3repE0EEENS1_30default_config_static_selectorELNS0_4arch9wavefront6targetE1EEEvT1_,"axG",@progbits,_ZN7rocprim17ROCPRIM_400000_NS6detail17trampoline_kernelINS0_14default_configENS1_25partition_config_selectorILNS1_17partition_subalgoE0EtNS0_10empty_typeEbEEZZNS1_14partition_implILS5_0ELb0ES3_jN6thrust23THRUST_200600_302600_NS6detail15normal_iteratorINSA_10device_ptrItEEEEPS6_SG_NS0_5tupleIJNSA_16discard_iteratorINSA_11use_defaultEEESK_EEENSH_IJSG_SG_EEES6_PlJ7is_evenItEEEE10hipError_tPvRmT3_T4_T5_T6_T7_T9_mT8_P12ihipStream_tbDpT10_ENKUlT_T0_E_clISt17integral_constantIbLb0EES19_EEDaS14_S15_EUlS14_E_NS1_11comp_targetILNS1_3genE2ELNS1_11target_archE906ELNS1_3gpuE6ELNS1_3repE0EEENS1_30default_config_static_selectorELNS0_4arch9wavefront6targetE1EEEvT1_,comdat
.Lfunc_end2495:
	.size	_ZN7rocprim17ROCPRIM_400000_NS6detail17trampoline_kernelINS0_14default_configENS1_25partition_config_selectorILNS1_17partition_subalgoE0EtNS0_10empty_typeEbEEZZNS1_14partition_implILS5_0ELb0ES3_jN6thrust23THRUST_200600_302600_NS6detail15normal_iteratorINSA_10device_ptrItEEEEPS6_SG_NS0_5tupleIJNSA_16discard_iteratorINSA_11use_defaultEEESK_EEENSH_IJSG_SG_EEES6_PlJ7is_evenItEEEE10hipError_tPvRmT3_T4_T5_T6_T7_T9_mT8_P12ihipStream_tbDpT10_ENKUlT_T0_E_clISt17integral_constantIbLb0EES19_EEDaS14_S15_EUlS14_E_NS1_11comp_targetILNS1_3genE2ELNS1_11target_archE906ELNS1_3gpuE6ELNS1_3repE0EEENS1_30default_config_static_selectorELNS0_4arch9wavefront6targetE1EEEvT1_, .Lfunc_end2495-_ZN7rocprim17ROCPRIM_400000_NS6detail17trampoline_kernelINS0_14default_configENS1_25partition_config_selectorILNS1_17partition_subalgoE0EtNS0_10empty_typeEbEEZZNS1_14partition_implILS5_0ELb0ES3_jN6thrust23THRUST_200600_302600_NS6detail15normal_iteratorINSA_10device_ptrItEEEEPS6_SG_NS0_5tupleIJNSA_16discard_iteratorINSA_11use_defaultEEESK_EEENSH_IJSG_SG_EEES6_PlJ7is_evenItEEEE10hipError_tPvRmT3_T4_T5_T6_T7_T9_mT8_P12ihipStream_tbDpT10_ENKUlT_T0_E_clISt17integral_constantIbLb0EES19_EEDaS14_S15_EUlS14_E_NS1_11comp_targetILNS1_3genE2ELNS1_11target_archE906ELNS1_3gpuE6ELNS1_3repE0EEENS1_30default_config_static_selectorELNS0_4arch9wavefront6targetE1EEEvT1_
                                        ; -- End function
	.section	.AMDGPU.csdata,"",@progbits
; Kernel info:
; codeLenInByte = 0
; NumSgprs: 6
; NumVgprs: 0
; NumAgprs: 0
; TotalNumVgprs: 0
; ScratchSize: 0
; MemoryBound: 0
; FloatMode: 240
; IeeeMode: 1
; LDSByteSize: 0 bytes/workgroup (compile time only)
; SGPRBlocks: 0
; VGPRBlocks: 0
; NumSGPRsForWavesPerEU: 6
; NumVGPRsForWavesPerEU: 1
; AccumOffset: 4
; Occupancy: 8
; WaveLimiterHint : 0
; COMPUTE_PGM_RSRC2:SCRATCH_EN: 0
; COMPUTE_PGM_RSRC2:USER_SGPR: 2
; COMPUTE_PGM_RSRC2:TRAP_HANDLER: 0
; COMPUTE_PGM_RSRC2:TGID_X_EN: 1
; COMPUTE_PGM_RSRC2:TGID_Y_EN: 0
; COMPUTE_PGM_RSRC2:TGID_Z_EN: 0
; COMPUTE_PGM_RSRC2:TIDIG_COMP_CNT: 0
; COMPUTE_PGM_RSRC3_GFX90A:ACCUM_OFFSET: 0
; COMPUTE_PGM_RSRC3_GFX90A:TG_SPLIT: 0
	.section	.text._ZN7rocprim17ROCPRIM_400000_NS6detail17trampoline_kernelINS0_14default_configENS1_25partition_config_selectorILNS1_17partition_subalgoE0EtNS0_10empty_typeEbEEZZNS1_14partition_implILS5_0ELb0ES3_jN6thrust23THRUST_200600_302600_NS6detail15normal_iteratorINSA_10device_ptrItEEEEPS6_SG_NS0_5tupleIJNSA_16discard_iteratorINSA_11use_defaultEEESK_EEENSH_IJSG_SG_EEES6_PlJ7is_evenItEEEE10hipError_tPvRmT3_T4_T5_T6_T7_T9_mT8_P12ihipStream_tbDpT10_ENKUlT_T0_E_clISt17integral_constantIbLb0EES19_EEDaS14_S15_EUlS14_E_NS1_11comp_targetILNS1_3genE10ELNS1_11target_archE1200ELNS1_3gpuE4ELNS1_3repE0EEENS1_30default_config_static_selectorELNS0_4arch9wavefront6targetE1EEEvT1_,"axG",@progbits,_ZN7rocprim17ROCPRIM_400000_NS6detail17trampoline_kernelINS0_14default_configENS1_25partition_config_selectorILNS1_17partition_subalgoE0EtNS0_10empty_typeEbEEZZNS1_14partition_implILS5_0ELb0ES3_jN6thrust23THRUST_200600_302600_NS6detail15normal_iteratorINSA_10device_ptrItEEEEPS6_SG_NS0_5tupleIJNSA_16discard_iteratorINSA_11use_defaultEEESK_EEENSH_IJSG_SG_EEES6_PlJ7is_evenItEEEE10hipError_tPvRmT3_T4_T5_T6_T7_T9_mT8_P12ihipStream_tbDpT10_ENKUlT_T0_E_clISt17integral_constantIbLb0EES19_EEDaS14_S15_EUlS14_E_NS1_11comp_targetILNS1_3genE10ELNS1_11target_archE1200ELNS1_3gpuE4ELNS1_3repE0EEENS1_30default_config_static_selectorELNS0_4arch9wavefront6targetE1EEEvT1_,comdat
	.protected	_ZN7rocprim17ROCPRIM_400000_NS6detail17trampoline_kernelINS0_14default_configENS1_25partition_config_selectorILNS1_17partition_subalgoE0EtNS0_10empty_typeEbEEZZNS1_14partition_implILS5_0ELb0ES3_jN6thrust23THRUST_200600_302600_NS6detail15normal_iteratorINSA_10device_ptrItEEEEPS6_SG_NS0_5tupleIJNSA_16discard_iteratorINSA_11use_defaultEEESK_EEENSH_IJSG_SG_EEES6_PlJ7is_evenItEEEE10hipError_tPvRmT3_T4_T5_T6_T7_T9_mT8_P12ihipStream_tbDpT10_ENKUlT_T0_E_clISt17integral_constantIbLb0EES19_EEDaS14_S15_EUlS14_E_NS1_11comp_targetILNS1_3genE10ELNS1_11target_archE1200ELNS1_3gpuE4ELNS1_3repE0EEENS1_30default_config_static_selectorELNS0_4arch9wavefront6targetE1EEEvT1_ ; -- Begin function _ZN7rocprim17ROCPRIM_400000_NS6detail17trampoline_kernelINS0_14default_configENS1_25partition_config_selectorILNS1_17partition_subalgoE0EtNS0_10empty_typeEbEEZZNS1_14partition_implILS5_0ELb0ES3_jN6thrust23THRUST_200600_302600_NS6detail15normal_iteratorINSA_10device_ptrItEEEEPS6_SG_NS0_5tupleIJNSA_16discard_iteratorINSA_11use_defaultEEESK_EEENSH_IJSG_SG_EEES6_PlJ7is_evenItEEEE10hipError_tPvRmT3_T4_T5_T6_T7_T9_mT8_P12ihipStream_tbDpT10_ENKUlT_T0_E_clISt17integral_constantIbLb0EES19_EEDaS14_S15_EUlS14_E_NS1_11comp_targetILNS1_3genE10ELNS1_11target_archE1200ELNS1_3gpuE4ELNS1_3repE0EEENS1_30default_config_static_selectorELNS0_4arch9wavefront6targetE1EEEvT1_
	.globl	_ZN7rocprim17ROCPRIM_400000_NS6detail17trampoline_kernelINS0_14default_configENS1_25partition_config_selectorILNS1_17partition_subalgoE0EtNS0_10empty_typeEbEEZZNS1_14partition_implILS5_0ELb0ES3_jN6thrust23THRUST_200600_302600_NS6detail15normal_iteratorINSA_10device_ptrItEEEEPS6_SG_NS0_5tupleIJNSA_16discard_iteratorINSA_11use_defaultEEESK_EEENSH_IJSG_SG_EEES6_PlJ7is_evenItEEEE10hipError_tPvRmT3_T4_T5_T6_T7_T9_mT8_P12ihipStream_tbDpT10_ENKUlT_T0_E_clISt17integral_constantIbLb0EES19_EEDaS14_S15_EUlS14_E_NS1_11comp_targetILNS1_3genE10ELNS1_11target_archE1200ELNS1_3gpuE4ELNS1_3repE0EEENS1_30default_config_static_selectorELNS0_4arch9wavefront6targetE1EEEvT1_
	.p2align	8
	.type	_ZN7rocprim17ROCPRIM_400000_NS6detail17trampoline_kernelINS0_14default_configENS1_25partition_config_selectorILNS1_17partition_subalgoE0EtNS0_10empty_typeEbEEZZNS1_14partition_implILS5_0ELb0ES3_jN6thrust23THRUST_200600_302600_NS6detail15normal_iteratorINSA_10device_ptrItEEEEPS6_SG_NS0_5tupleIJNSA_16discard_iteratorINSA_11use_defaultEEESK_EEENSH_IJSG_SG_EEES6_PlJ7is_evenItEEEE10hipError_tPvRmT3_T4_T5_T6_T7_T9_mT8_P12ihipStream_tbDpT10_ENKUlT_T0_E_clISt17integral_constantIbLb0EES19_EEDaS14_S15_EUlS14_E_NS1_11comp_targetILNS1_3genE10ELNS1_11target_archE1200ELNS1_3gpuE4ELNS1_3repE0EEENS1_30default_config_static_selectorELNS0_4arch9wavefront6targetE1EEEvT1_,@function
_ZN7rocprim17ROCPRIM_400000_NS6detail17trampoline_kernelINS0_14default_configENS1_25partition_config_selectorILNS1_17partition_subalgoE0EtNS0_10empty_typeEbEEZZNS1_14partition_implILS5_0ELb0ES3_jN6thrust23THRUST_200600_302600_NS6detail15normal_iteratorINSA_10device_ptrItEEEEPS6_SG_NS0_5tupleIJNSA_16discard_iteratorINSA_11use_defaultEEESK_EEENSH_IJSG_SG_EEES6_PlJ7is_evenItEEEE10hipError_tPvRmT3_T4_T5_T6_T7_T9_mT8_P12ihipStream_tbDpT10_ENKUlT_T0_E_clISt17integral_constantIbLb0EES19_EEDaS14_S15_EUlS14_E_NS1_11comp_targetILNS1_3genE10ELNS1_11target_archE1200ELNS1_3gpuE4ELNS1_3repE0EEENS1_30default_config_static_selectorELNS0_4arch9wavefront6targetE1EEEvT1_: ; @_ZN7rocprim17ROCPRIM_400000_NS6detail17trampoline_kernelINS0_14default_configENS1_25partition_config_selectorILNS1_17partition_subalgoE0EtNS0_10empty_typeEbEEZZNS1_14partition_implILS5_0ELb0ES3_jN6thrust23THRUST_200600_302600_NS6detail15normal_iteratorINSA_10device_ptrItEEEEPS6_SG_NS0_5tupleIJNSA_16discard_iteratorINSA_11use_defaultEEESK_EEENSH_IJSG_SG_EEES6_PlJ7is_evenItEEEE10hipError_tPvRmT3_T4_T5_T6_T7_T9_mT8_P12ihipStream_tbDpT10_ENKUlT_T0_E_clISt17integral_constantIbLb0EES19_EEDaS14_S15_EUlS14_E_NS1_11comp_targetILNS1_3genE10ELNS1_11target_archE1200ELNS1_3gpuE4ELNS1_3repE0EEENS1_30default_config_static_selectorELNS0_4arch9wavefront6targetE1EEEvT1_
; %bb.0:
	.section	.rodata,"a",@progbits
	.p2align	6, 0x0
	.amdhsa_kernel _ZN7rocprim17ROCPRIM_400000_NS6detail17trampoline_kernelINS0_14default_configENS1_25partition_config_selectorILNS1_17partition_subalgoE0EtNS0_10empty_typeEbEEZZNS1_14partition_implILS5_0ELb0ES3_jN6thrust23THRUST_200600_302600_NS6detail15normal_iteratorINSA_10device_ptrItEEEEPS6_SG_NS0_5tupleIJNSA_16discard_iteratorINSA_11use_defaultEEESK_EEENSH_IJSG_SG_EEES6_PlJ7is_evenItEEEE10hipError_tPvRmT3_T4_T5_T6_T7_T9_mT8_P12ihipStream_tbDpT10_ENKUlT_T0_E_clISt17integral_constantIbLb0EES19_EEDaS14_S15_EUlS14_E_NS1_11comp_targetILNS1_3genE10ELNS1_11target_archE1200ELNS1_3gpuE4ELNS1_3repE0EEENS1_30default_config_static_selectorELNS0_4arch9wavefront6targetE1EEEvT1_
		.amdhsa_group_segment_fixed_size 0
		.amdhsa_private_segment_fixed_size 0
		.amdhsa_kernarg_size 136
		.amdhsa_user_sgpr_count 2
		.amdhsa_user_sgpr_dispatch_ptr 0
		.amdhsa_user_sgpr_queue_ptr 0
		.amdhsa_user_sgpr_kernarg_segment_ptr 1
		.amdhsa_user_sgpr_dispatch_id 0
		.amdhsa_user_sgpr_kernarg_preload_length 0
		.amdhsa_user_sgpr_kernarg_preload_offset 0
		.amdhsa_user_sgpr_private_segment_size 0
		.amdhsa_uses_dynamic_stack 0
		.amdhsa_enable_private_segment 0
		.amdhsa_system_sgpr_workgroup_id_x 1
		.amdhsa_system_sgpr_workgroup_id_y 0
		.amdhsa_system_sgpr_workgroup_id_z 0
		.amdhsa_system_sgpr_workgroup_info 0
		.amdhsa_system_vgpr_workitem_id 0
		.amdhsa_next_free_vgpr 1
		.amdhsa_next_free_sgpr 0
		.amdhsa_accum_offset 4
		.amdhsa_reserve_vcc 0
		.amdhsa_float_round_mode_32 0
		.amdhsa_float_round_mode_16_64 0
		.amdhsa_float_denorm_mode_32 3
		.amdhsa_float_denorm_mode_16_64 3
		.amdhsa_dx10_clamp 1
		.amdhsa_ieee_mode 1
		.amdhsa_fp16_overflow 0
		.amdhsa_tg_split 0
		.amdhsa_exception_fp_ieee_invalid_op 0
		.amdhsa_exception_fp_denorm_src 0
		.amdhsa_exception_fp_ieee_div_zero 0
		.amdhsa_exception_fp_ieee_overflow 0
		.amdhsa_exception_fp_ieee_underflow 0
		.amdhsa_exception_fp_ieee_inexact 0
		.amdhsa_exception_int_div_zero 0
	.end_amdhsa_kernel
	.section	.text._ZN7rocprim17ROCPRIM_400000_NS6detail17trampoline_kernelINS0_14default_configENS1_25partition_config_selectorILNS1_17partition_subalgoE0EtNS0_10empty_typeEbEEZZNS1_14partition_implILS5_0ELb0ES3_jN6thrust23THRUST_200600_302600_NS6detail15normal_iteratorINSA_10device_ptrItEEEEPS6_SG_NS0_5tupleIJNSA_16discard_iteratorINSA_11use_defaultEEESK_EEENSH_IJSG_SG_EEES6_PlJ7is_evenItEEEE10hipError_tPvRmT3_T4_T5_T6_T7_T9_mT8_P12ihipStream_tbDpT10_ENKUlT_T0_E_clISt17integral_constantIbLb0EES19_EEDaS14_S15_EUlS14_E_NS1_11comp_targetILNS1_3genE10ELNS1_11target_archE1200ELNS1_3gpuE4ELNS1_3repE0EEENS1_30default_config_static_selectorELNS0_4arch9wavefront6targetE1EEEvT1_,"axG",@progbits,_ZN7rocprim17ROCPRIM_400000_NS6detail17trampoline_kernelINS0_14default_configENS1_25partition_config_selectorILNS1_17partition_subalgoE0EtNS0_10empty_typeEbEEZZNS1_14partition_implILS5_0ELb0ES3_jN6thrust23THRUST_200600_302600_NS6detail15normal_iteratorINSA_10device_ptrItEEEEPS6_SG_NS0_5tupleIJNSA_16discard_iteratorINSA_11use_defaultEEESK_EEENSH_IJSG_SG_EEES6_PlJ7is_evenItEEEE10hipError_tPvRmT3_T4_T5_T6_T7_T9_mT8_P12ihipStream_tbDpT10_ENKUlT_T0_E_clISt17integral_constantIbLb0EES19_EEDaS14_S15_EUlS14_E_NS1_11comp_targetILNS1_3genE10ELNS1_11target_archE1200ELNS1_3gpuE4ELNS1_3repE0EEENS1_30default_config_static_selectorELNS0_4arch9wavefront6targetE1EEEvT1_,comdat
.Lfunc_end2496:
	.size	_ZN7rocprim17ROCPRIM_400000_NS6detail17trampoline_kernelINS0_14default_configENS1_25partition_config_selectorILNS1_17partition_subalgoE0EtNS0_10empty_typeEbEEZZNS1_14partition_implILS5_0ELb0ES3_jN6thrust23THRUST_200600_302600_NS6detail15normal_iteratorINSA_10device_ptrItEEEEPS6_SG_NS0_5tupleIJNSA_16discard_iteratorINSA_11use_defaultEEESK_EEENSH_IJSG_SG_EEES6_PlJ7is_evenItEEEE10hipError_tPvRmT3_T4_T5_T6_T7_T9_mT8_P12ihipStream_tbDpT10_ENKUlT_T0_E_clISt17integral_constantIbLb0EES19_EEDaS14_S15_EUlS14_E_NS1_11comp_targetILNS1_3genE10ELNS1_11target_archE1200ELNS1_3gpuE4ELNS1_3repE0EEENS1_30default_config_static_selectorELNS0_4arch9wavefront6targetE1EEEvT1_, .Lfunc_end2496-_ZN7rocprim17ROCPRIM_400000_NS6detail17trampoline_kernelINS0_14default_configENS1_25partition_config_selectorILNS1_17partition_subalgoE0EtNS0_10empty_typeEbEEZZNS1_14partition_implILS5_0ELb0ES3_jN6thrust23THRUST_200600_302600_NS6detail15normal_iteratorINSA_10device_ptrItEEEEPS6_SG_NS0_5tupleIJNSA_16discard_iteratorINSA_11use_defaultEEESK_EEENSH_IJSG_SG_EEES6_PlJ7is_evenItEEEE10hipError_tPvRmT3_T4_T5_T6_T7_T9_mT8_P12ihipStream_tbDpT10_ENKUlT_T0_E_clISt17integral_constantIbLb0EES19_EEDaS14_S15_EUlS14_E_NS1_11comp_targetILNS1_3genE10ELNS1_11target_archE1200ELNS1_3gpuE4ELNS1_3repE0EEENS1_30default_config_static_selectorELNS0_4arch9wavefront6targetE1EEEvT1_
                                        ; -- End function
	.section	.AMDGPU.csdata,"",@progbits
; Kernel info:
; codeLenInByte = 0
; NumSgprs: 6
; NumVgprs: 0
; NumAgprs: 0
; TotalNumVgprs: 0
; ScratchSize: 0
; MemoryBound: 0
; FloatMode: 240
; IeeeMode: 1
; LDSByteSize: 0 bytes/workgroup (compile time only)
; SGPRBlocks: 0
; VGPRBlocks: 0
; NumSGPRsForWavesPerEU: 6
; NumVGPRsForWavesPerEU: 1
; AccumOffset: 4
; Occupancy: 8
; WaveLimiterHint : 0
; COMPUTE_PGM_RSRC2:SCRATCH_EN: 0
; COMPUTE_PGM_RSRC2:USER_SGPR: 2
; COMPUTE_PGM_RSRC2:TRAP_HANDLER: 0
; COMPUTE_PGM_RSRC2:TGID_X_EN: 1
; COMPUTE_PGM_RSRC2:TGID_Y_EN: 0
; COMPUTE_PGM_RSRC2:TGID_Z_EN: 0
; COMPUTE_PGM_RSRC2:TIDIG_COMP_CNT: 0
; COMPUTE_PGM_RSRC3_GFX90A:ACCUM_OFFSET: 0
; COMPUTE_PGM_RSRC3_GFX90A:TG_SPLIT: 0
	.section	.text._ZN7rocprim17ROCPRIM_400000_NS6detail17trampoline_kernelINS0_14default_configENS1_25partition_config_selectorILNS1_17partition_subalgoE0EtNS0_10empty_typeEbEEZZNS1_14partition_implILS5_0ELb0ES3_jN6thrust23THRUST_200600_302600_NS6detail15normal_iteratorINSA_10device_ptrItEEEEPS6_SG_NS0_5tupleIJNSA_16discard_iteratorINSA_11use_defaultEEESK_EEENSH_IJSG_SG_EEES6_PlJ7is_evenItEEEE10hipError_tPvRmT3_T4_T5_T6_T7_T9_mT8_P12ihipStream_tbDpT10_ENKUlT_T0_E_clISt17integral_constantIbLb0EES19_EEDaS14_S15_EUlS14_E_NS1_11comp_targetILNS1_3genE9ELNS1_11target_archE1100ELNS1_3gpuE3ELNS1_3repE0EEENS1_30default_config_static_selectorELNS0_4arch9wavefront6targetE1EEEvT1_,"axG",@progbits,_ZN7rocprim17ROCPRIM_400000_NS6detail17trampoline_kernelINS0_14default_configENS1_25partition_config_selectorILNS1_17partition_subalgoE0EtNS0_10empty_typeEbEEZZNS1_14partition_implILS5_0ELb0ES3_jN6thrust23THRUST_200600_302600_NS6detail15normal_iteratorINSA_10device_ptrItEEEEPS6_SG_NS0_5tupleIJNSA_16discard_iteratorINSA_11use_defaultEEESK_EEENSH_IJSG_SG_EEES6_PlJ7is_evenItEEEE10hipError_tPvRmT3_T4_T5_T6_T7_T9_mT8_P12ihipStream_tbDpT10_ENKUlT_T0_E_clISt17integral_constantIbLb0EES19_EEDaS14_S15_EUlS14_E_NS1_11comp_targetILNS1_3genE9ELNS1_11target_archE1100ELNS1_3gpuE3ELNS1_3repE0EEENS1_30default_config_static_selectorELNS0_4arch9wavefront6targetE1EEEvT1_,comdat
	.protected	_ZN7rocprim17ROCPRIM_400000_NS6detail17trampoline_kernelINS0_14default_configENS1_25partition_config_selectorILNS1_17partition_subalgoE0EtNS0_10empty_typeEbEEZZNS1_14partition_implILS5_0ELb0ES3_jN6thrust23THRUST_200600_302600_NS6detail15normal_iteratorINSA_10device_ptrItEEEEPS6_SG_NS0_5tupleIJNSA_16discard_iteratorINSA_11use_defaultEEESK_EEENSH_IJSG_SG_EEES6_PlJ7is_evenItEEEE10hipError_tPvRmT3_T4_T5_T6_T7_T9_mT8_P12ihipStream_tbDpT10_ENKUlT_T0_E_clISt17integral_constantIbLb0EES19_EEDaS14_S15_EUlS14_E_NS1_11comp_targetILNS1_3genE9ELNS1_11target_archE1100ELNS1_3gpuE3ELNS1_3repE0EEENS1_30default_config_static_selectorELNS0_4arch9wavefront6targetE1EEEvT1_ ; -- Begin function _ZN7rocprim17ROCPRIM_400000_NS6detail17trampoline_kernelINS0_14default_configENS1_25partition_config_selectorILNS1_17partition_subalgoE0EtNS0_10empty_typeEbEEZZNS1_14partition_implILS5_0ELb0ES3_jN6thrust23THRUST_200600_302600_NS6detail15normal_iteratorINSA_10device_ptrItEEEEPS6_SG_NS0_5tupleIJNSA_16discard_iteratorINSA_11use_defaultEEESK_EEENSH_IJSG_SG_EEES6_PlJ7is_evenItEEEE10hipError_tPvRmT3_T4_T5_T6_T7_T9_mT8_P12ihipStream_tbDpT10_ENKUlT_T0_E_clISt17integral_constantIbLb0EES19_EEDaS14_S15_EUlS14_E_NS1_11comp_targetILNS1_3genE9ELNS1_11target_archE1100ELNS1_3gpuE3ELNS1_3repE0EEENS1_30default_config_static_selectorELNS0_4arch9wavefront6targetE1EEEvT1_
	.globl	_ZN7rocprim17ROCPRIM_400000_NS6detail17trampoline_kernelINS0_14default_configENS1_25partition_config_selectorILNS1_17partition_subalgoE0EtNS0_10empty_typeEbEEZZNS1_14partition_implILS5_0ELb0ES3_jN6thrust23THRUST_200600_302600_NS6detail15normal_iteratorINSA_10device_ptrItEEEEPS6_SG_NS0_5tupleIJNSA_16discard_iteratorINSA_11use_defaultEEESK_EEENSH_IJSG_SG_EEES6_PlJ7is_evenItEEEE10hipError_tPvRmT3_T4_T5_T6_T7_T9_mT8_P12ihipStream_tbDpT10_ENKUlT_T0_E_clISt17integral_constantIbLb0EES19_EEDaS14_S15_EUlS14_E_NS1_11comp_targetILNS1_3genE9ELNS1_11target_archE1100ELNS1_3gpuE3ELNS1_3repE0EEENS1_30default_config_static_selectorELNS0_4arch9wavefront6targetE1EEEvT1_
	.p2align	8
	.type	_ZN7rocprim17ROCPRIM_400000_NS6detail17trampoline_kernelINS0_14default_configENS1_25partition_config_selectorILNS1_17partition_subalgoE0EtNS0_10empty_typeEbEEZZNS1_14partition_implILS5_0ELb0ES3_jN6thrust23THRUST_200600_302600_NS6detail15normal_iteratorINSA_10device_ptrItEEEEPS6_SG_NS0_5tupleIJNSA_16discard_iteratorINSA_11use_defaultEEESK_EEENSH_IJSG_SG_EEES6_PlJ7is_evenItEEEE10hipError_tPvRmT3_T4_T5_T6_T7_T9_mT8_P12ihipStream_tbDpT10_ENKUlT_T0_E_clISt17integral_constantIbLb0EES19_EEDaS14_S15_EUlS14_E_NS1_11comp_targetILNS1_3genE9ELNS1_11target_archE1100ELNS1_3gpuE3ELNS1_3repE0EEENS1_30default_config_static_selectorELNS0_4arch9wavefront6targetE1EEEvT1_,@function
_ZN7rocprim17ROCPRIM_400000_NS6detail17trampoline_kernelINS0_14default_configENS1_25partition_config_selectorILNS1_17partition_subalgoE0EtNS0_10empty_typeEbEEZZNS1_14partition_implILS5_0ELb0ES3_jN6thrust23THRUST_200600_302600_NS6detail15normal_iteratorINSA_10device_ptrItEEEEPS6_SG_NS0_5tupleIJNSA_16discard_iteratorINSA_11use_defaultEEESK_EEENSH_IJSG_SG_EEES6_PlJ7is_evenItEEEE10hipError_tPvRmT3_T4_T5_T6_T7_T9_mT8_P12ihipStream_tbDpT10_ENKUlT_T0_E_clISt17integral_constantIbLb0EES19_EEDaS14_S15_EUlS14_E_NS1_11comp_targetILNS1_3genE9ELNS1_11target_archE1100ELNS1_3gpuE3ELNS1_3repE0EEENS1_30default_config_static_selectorELNS0_4arch9wavefront6targetE1EEEvT1_: ; @_ZN7rocprim17ROCPRIM_400000_NS6detail17trampoline_kernelINS0_14default_configENS1_25partition_config_selectorILNS1_17partition_subalgoE0EtNS0_10empty_typeEbEEZZNS1_14partition_implILS5_0ELb0ES3_jN6thrust23THRUST_200600_302600_NS6detail15normal_iteratorINSA_10device_ptrItEEEEPS6_SG_NS0_5tupleIJNSA_16discard_iteratorINSA_11use_defaultEEESK_EEENSH_IJSG_SG_EEES6_PlJ7is_evenItEEEE10hipError_tPvRmT3_T4_T5_T6_T7_T9_mT8_P12ihipStream_tbDpT10_ENKUlT_T0_E_clISt17integral_constantIbLb0EES19_EEDaS14_S15_EUlS14_E_NS1_11comp_targetILNS1_3genE9ELNS1_11target_archE1100ELNS1_3gpuE3ELNS1_3repE0EEENS1_30default_config_static_selectorELNS0_4arch9wavefront6targetE1EEEvT1_
; %bb.0:
	.section	.rodata,"a",@progbits
	.p2align	6, 0x0
	.amdhsa_kernel _ZN7rocprim17ROCPRIM_400000_NS6detail17trampoline_kernelINS0_14default_configENS1_25partition_config_selectorILNS1_17partition_subalgoE0EtNS0_10empty_typeEbEEZZNS1_14partition_implILS5_0ELb0ES3_jN6thrust23THRUST_200600_302600_NS6detail15normal_iteratorINSA_10device_ptrItEEEEPS6_SG_NS0_5tupleIJNSA_16discard_iteratorINSA_11use_defaultEEESK_EEENSH_IJSG_SG_EEES6_PlJ7is_evenItEEEE10hipError_tPvRmT3_T4_T5_T6_T7_T9_mT8_P12ihipStream_tbDpT10_ENKUlT_T0_E_clISt17integral_constantIbLb0EES19_EEDaS14_S15_EUlS14_E_NS1_11comp_targetILNS1_3genE9ELNS1_11target_archE1100ELNS1_3gpuE3ELNS1_3repE0EEENS1_30default_config_static_selectorELNS0_4arch9wavefront6targetE1EEEvT1_
		.amdhsa_group_segment_fixed_size 0
		.amdhsa_private_segment_fixed_size 0
		.amdhsa_kernarg_size 136
		.amdhsa_user_sgpr_count 2
		.amdhsa_user_sgpr_dispatch_ptr 0
		.amdhsa_user_sgpr_queue_ptr 0
		.amdhsa_user_sgpr_kernarg_segment_ptr 1
		.amdhsa_user_sgpr_dispatch_id 0
		.amdhsa_user_sgpr_kernarg_preload_length 0
		.amdhsa_user_sgpr_kernarg_preload_offset 0
		.amdhsa_user_sgpr_private_segment_size 0
		.amdhsa_uses_dynamic_stack 0
		.amdhsa_enable_private_segment 0
		.amdhsa_system_sgpr_workgroup_id_x 1
		.amdhsa_system_sgpr_workgroup_id_y 0
		.amdhsa_system_sgpr_workgroup_id_z 0
		.amdhsa_system_sgpr_workgroup_info 0
		.amdhsa_system_vgpr_workitem_id 0
		.amdhsa_next_free_vgpr 1
		.amdhsa_next_free_sgpr 0
		.amdhsa_accum_offset 4
		.amdhsa_reserve_vcc 0
		.amdhsa_float_round_mode_32 0
		.amdhsa_float_round_mode_16_64 0
		.amdhsa_float_denorm_mode_32 3
		.amdhsa_float_denorm_mode_16_64 3
		.amdhsa_dx10_clamp 1
		.amdhsa_ieee_mode 1
		.amdhsa_fp16_overflow 0
		.amdhsa_tg_split 0
		.amdhsa_exception_fp_ieee_invalid_op 0
		.amdhsa_exception_fp_denorm_src 0
		.amdhsa_exception_fp_ieee_div_zero 0
		.amdhsa_exception_fp_ieee_overflow 0
		.amdhsa_exception_fp_ieee_underflow 0
		.amdhsa_exception_fp_ieee_inexact 0
		.amdhsa_exception_int_div_zero 0
	.end_amdhsa_kernel
	.section	.text._ZN7rocprim17ROCPRIM_400000_NS6detail17trampoline_kernelINS0_14default_configENS1_25partition_config_selectorILNS1_17partition_subalgoE0EtNS0_10empty_typeEbEEZZNS1_14partition_implILS5_0ELb0ES3_jN6thrust23THRUST_200600_302600_NS6detail15normal_iteratorINSA_10device_ptrItEEEEPS6_SG_NS0_5tupleIJNSA_16discard_iteratorINSA_11use_defaultEEESK_EEENSH_IJSG_SG_EEES6_PlJ7is_evenItEEEE10hipError_tPvRmT3_T4_T5_T6_T7_T9_mT8_P12ihipStream_tbDpT10_ENKUlT_T0_E_clISt17integral_constantIbLb0EES19_EEDaS14_S15_EUlS14_E_NS1_11comp_targetILNS1_3genE9ELNS1_11target_archE1100ELNS1_3gpuE3ELNS1_3repE0EEENS1_30default_config_static_selectorELNS0_4arch9wavefront6targetE1EEEvT1_,"axG",@progbits,_ZN7rocprim17ROCPRIM_400000_NS6detail17trampoline_kernelINS0_14default_configENS1_25partition_config_selectorILNS1_17partition_subalgoE0EtNS0_10empty_typeEbEEZZNS1_14partition_implILS5_0ELb0ES3_jN6thrust23THRUST_200600_302600_NS6detail15normal_iteratorINSA_10device_ptrItEEEEPS6_SG_NS0_5tupleIJNSA_16discard_iteratorINSA_11use_defaultEEESK_EEENSH_IJSG_SG_EEES6_PlJ7is_evenItEEEE10hipError_tPvRmT3_T4_T5_T6_T7_T9_mT8_P12ihipStream_tbDpT10_ENKUlT_T0_E_clISt17integral_constantIbLb0EES19_EEDaS14_S15_EUlS14_E_NS1_11comp_targetILNS1_3genE9ELNS1_11target_archE1100ELNS1_3gpuE3ELNS1_3repE0EEENS1_30default_config_static_selectorELNS0_4arch9wavefront6targetE1EEEvT1_,comdat
.Lfunc_end2497:
	.size	_ZN7rocprim17ROCPRIM_400000_NS6detail17trampoline_kernelINS0_14default_configENS1_25partition_config_selectorILNS1_17partition_subalgoE0EtNS0_10empty_typeEbEEZZNS1_14partition_implILS5_0ELb0ES3_jN6thrust23THRUST_200600_302600_NS6detail15normal_iteratorINSA_10device_ptrItEEEEPS6_SG_NS0_5tupleIJNSA_16discard_iteratorINSA_11use_defaultEEESK_EEENSH_IJSG_SG_EEES6_PlJ7is_evenItEEEE10hipError_tPvRmT3_T4_T5_T6_T7_T9_mT8_P12ihipStream_tbDpT10_ENKUlT_T0_E_clISt17integral_constantIbLb0EES19_EEDaS14_S15_EUlS14_E_NS1_11comp_targetILNS1_3genE9ELNS1_11target_archE1100ELNS1_3gpuE3ELNS1_3repE0EEENS1_30default_config_static_selectorELNS0_4arch9wavefront6targetE1EEEvT1_, .Lfunc_end2497-_ZN7rocprim17ROCPRIM_400000_NS6detail17trampoline_kernelINS0_14default_configENS1_25partition_config_selectorILNS1_17partition_subalgoE0EtNS0_10empty_typeEbEEZZNS1_14partition_implILS5_0ELb0ES3_jN6thrust23THRUST_200600_302600_NS6detail15normal_iteratorINSA_10device_ptrItEEEEPS6_SG_NS0_5tupleIJNSA_16discard_iteratorINSA_11use_defaultEEESK_EEENSH_IJSG_SG_EEES6_PlJ7is_evenItEEEE10hipError_tPvRmT3_T4_T5_T6_T7_T9_mT8_P12ihipStream_tbDpT10_ENKUlT_T0_E_clISt17integral_constantIbLb0EES19_EEDaS14_S15_EUlS14_E_NS1_11comp_targetILNS1_3genE9ELNS1_11target_archE1100ELNS1_3gpuE3ELNS1_3repE0EEENS1_30default_config_static_selectorELNS0_4arch9wavefront6targetE1EEEvT1_
                                        ; -- End function
	.section	.AMDGPU.csdata,"",@progbits
; Kernel info:
; codeLenInByte = 0
; NumSgprs: 6
; NumVgprs: 0
; NumAgprs: 0
; TotalNumVgprs: 0
; ScratchSize: 0
; MemoryBound: 0
; FloatMode: 240
; IeeeMode: 1
; LDSByteSize: 0 bytes/workgroup (compile time only)
; SGPRBlocks: 0
; VGPRBlocks: 0
; NumSGPRsForWavesPerEU: 6
; NumVGPRsForWavesPerEU: 1
; AccumOffset: 4
; Occupancy: 8
; WaveLimiterHint : 0
; COMPUTE_PGM_RSRC2:SCRATCH_EN: 0
; COMPUTE_PGM_RSRC2:USER_SGPR: 2
; COMPUTE_PGM_RSRC2:TRAP_HANDLER: 0
; COMPUTE_PGM_RSRC2:TGID_X_EN: 1
; COMPUTE_PGM_RSRC2:TGID_Y_EN: 0
; COMPUTE_PGM_RSRC2:TGID_Z_EN: 0
; COMPUTE_PGM_RSRC2:TIDIG_COMP_CNT: 0
; COMPUTE_PGM_RSRC3_GFX90A:ACCUM_OFFSET: 0
; COMPUTE_PGM_RSRC3_GFX90A:TG_SPLIT: 0
	.section	.text._ZN7rocprim17ROCPRIM_400000_NS6detail17trampoline_kernelINS0_14default_configENS1_25partition_config_selectorILNS1_17partition_subalgoE0EtNS0_10empty_typeEbEEZZNS1_14partition_implILS5_0ELb0ES3_jN6thrust23THRUST_200600_302600_NS6detail15normal_iteratorINSA_10device_ptrItEEEEPS6_SG_NS0_5tupleIJNSA_16discard_iteratorINSA_11use_defaultEEESK_EEENSH_IJSG_SG_EEES6_PlJ7is_evenItEEEE10hipError_tPvRmT3_T4_T5_T6_T7_T9_mT8_P12ihipStream_tbDpT10_ENKUlT_T0_E_clISt17integral_constantIbLb0EES19_EEDaS14_S15_EUlS14_E_NS1_11comp_targetILNS1_3genE8ELNS1_11target_archE1030ELNS1_3gpuE2ELNS1_3repE0EEENS1_30default_config_static_selectorELNS0_4arch9wavefront6targetE1EEEvT1_,"axG",@progbits,_ZN7rocprim17ROCPRIM_400000_NS6detail17trampoline_kernelINS0_14default_configENS1_25partition_config_selectorILNS1_17partition_subalgoE0EtNS0_10empty_typeEbEEZZNS1_14partition_implILS5_0ELb0ES3_jN6thrust23THRUST_200600_302600_NS6detail15normal_iteratorINSA_10device_ptrItEEEEPS6_SG_NS0_5tupleIJNSA_16discard_iteratorINSA_11use_defaultEEESK_EEENSH_IJSG_SG_EEES6_PlJ7is_evenItEEEE10hipError_tPvRmT3_T4_T5_T6_T7_T9_mT8_P12ihipStream_tbDpT10_ENKUlT_T0_E_clISt17integral_constantIbLb0EES19_EEDaS14_S15_EUlS14_E_NS1_11comp_targetILNS1_3genE8ELNS1_11target_archE1030ELNS1_3gpuE2ELNS1_3repE0EEENS1_30default_config_static_selectorELNS0_4arch9wavefront6targetE1EEEvT1_,comdat
	.protected	_ZN7rocprim17ROCPRIM_400000_NS6detail17trampoline_kernelINS0_14default_configENS1_25partition_config_selectorILNS1_17partition_subalgoE0EtNS0_10empty_typeEbEEZZNS1_14partition_implILS5_0ELb0ES3_jN6thrust23THRUST_200600_302600_NS6detail15normal_iteratorINSA_10device_ptrItEEEEPS6_SG_NS0_5tupleIJNSA_16discard_iteratorINSA_11use_defaultEEESK_EEENSH_IJSG_SG_EEES6_PlJ7is_evenItEEEE10hipError_tPvRmT3_T4_T5_T6_T7_T9_mT8_P12ihipStream_tbDpT10_ENKUlT_T0_E_clISt17integral_constantIbLb0EES19_EEDaS14_S15_EUlS14_E_NS1_11comp_targetILNS1_3genE8ELNS1_11target_archE1030ELNS1_3gpuE2ELNS1_3repE0EEENS1_30default_config_static_selectorELNS0_4arch9wavefront6targetE1EEEvT1_ ; -- Begin function _ZN7rocprim17ROCPRIM_400000_NS6detail17trampoline_kernelINS0_14default_configENS1_25partition_config_selectorILNS1_17partition_subalgoE0EtNS0_10empty_typeEbEEZZNS1_14partition_implILS5_0ELb0ES3_jN6thrust23THRUST_200600_302600_NS6detail15normal_iteratorINSA_10device_ptrItEEEEPS6_SG_NS0_5tupleIJNSA_16discard_iteratorINSA_11use_defaultEEESK_EEENSH_IJSG_SG_EEES6_PlJ7is_evenItEEEE10hipError_tPvRmT3_T4_T5_T6_T7_T9_mT8_P12ihipStream_tbDpT10_ENKUlT_T0_E_clISt17integral_constantIbLb0EES19_EEDaS14_S15_EUlS14_E_NS1_11comp_targetILNS1_3genE8ELNS1_11target_archE1030ELNS1_3gpuE2ELNS1_3repE0EEENS1_30default_config_static_selectorELNS0_4arch9wavefront6targetE1EEEvT1_
	.globl	_ZN7rocprim17ROCPRIM_400000_NS6detail17trampoline_kernelINS0_14default_configENS1_25partition_config_selectorILNS1_17partition_subalgoE0EtNS0_10empty_typeEbEEZZNS1_14partition_implILS5_0ELb0ES3_jN6thrust23THRUST_200600_302600_NS6detail15normal_iteratorINSA_10device_ptrItEEEEPS6_SG_NS0_5tupleIJNSA_16discard_iteratorINSA_11use_defaultEEESK_EEENSH_IJSG_SG_EEES6_PlJ7is_evenItEEEE10hipError_tPvRmT3_T4_T5_T6_T7_T9_mT8_P12ihipStream_tbDpT10_ENKUlT_T0_E_clISt17integral_constantIbLb0EES19_EEDaS14_S15_EUlS14_E_NS1_11comp_targetILNS1_3genE8ELNS1_11target_archE1030ELNS1_3gpuE2ELNS1_3repE0EEENS1_30default_config_static_selectorELNS0_4arch9wavefront6targetE1EEEvT1_
	.p2align	8
	.type	_ZN7rocprim17ROCPRIM_400000_NS6detail17trampoline_kernelINS0_14default_configENS1_25partition_config_selectorILNS1_17partition_subalgoE0EtNS0_10empty_typeEbEEZZNS1_14partition_implILS5_0ELb0ES3_jN6thrust23THRUST_200600_302600_NS6detail15normal_iteratorINSA_10device_ptrItEEEEPS6_SG_NS0_5tupleIJNSA_16discard_iteratorINSA_11use_defaultEEESK_EEENSH_IJSG_SG_EEES6_PlJ7is_evenItEEEE10hipError_tPvRmT3_T4_T5_T6_T7_T9_mT8_P12ihipStream_tbDpT10_ENKUlT_T0_E_clISt17integral_constantIbLb0EES19_EEDaS14_S15_EUlS14_E_NS1_11comp_targetILNS1_3genE8ELNS1_11target_archE1030ELNS1_3gpuE2ELNS1_3repE0EEENS1_30default_config_static_selectorELNS0_4arch9wavefront6targetE1EEEvT1_,@function
_ZN7rocprim17ROCPRIM_400000_NS6detail17trampoline_kernelINS0_14default_configENS1_25partition_config_selectorILNS1_17partition_subalgoE0EtNS0_10empty_typeEbEEZZNS1_14partition_implILS5_0ELb0ES3_jN6thrust23THRUST_200600_302600_NS6detail15normal_iteratorINSA_10device_ptrItEEEEPS6_SG_NS0_5tupleIJNSA_16discard_iteratorINSA_11use_defaultEEESK_EEENSH_IJSG_SG_EEES6_PlJ7is_evenItEEEE10hipError_tPvRmT3_T4_T5_T6_T7_T9_mT8_P12ihipStream_tbDpT10_ENKUlT_T0_E_clISt17integral_constantIbLb0EES19_EEDaS14_S15_EUlS14_E_NS1_11comp_targetILNS1_3genE8ELNS1_11target_archE1030ELNS1_3gpuE2ELNS1_3repE0EEENS1_30default_config_static_selectorELNS0_4arch9wavefront6targetE1EEEvT1_: ; @_ZN7rocprim17ROCPRIM_400000_NS6detail17trampoline_kernelINS0_14default_configENS1_25partition_config_selectorILNS1_17partition_subalgoE0EtNS0_10empty_typeEbEEZZNS1_14partition_implILS5_0ELb0ES3_jN6thrust23THRUST_200600_302600_NS6detail15normal_iteratorINSA_10device_ptrItEEEEPS6_SG_NS0_5tupleIJNSA_16discard_iteratorINSA_11use_defaultEEESK_EEENSH_IJSG_SG_EEES6_PlJ7is_evenItEEEE10hipError_tPvRmT3_T4_T5_T6_T7_T9_mT8_P12ihipStream_tbDpT10_ENKUlT_T0_E_clISt17integral_constantIbLb0EES19_EEDaS14_S15_EUlS14_E_NS1_11comp_targetILNS1_3genE8ELNS1_11target_archE1030ELNS1_3gpuE2ELNS1_3repE0EEENS1_30default_config_static_selectorELNS0_4arch9wavefront6targetE1EEEvT1_
; %bb.0:
	.section	.rodata,"a",@progbits
	.p2align	6, 0x0
	.amdhsa_kernel _ZN7rocprim17ROCPRIM_400000_NS6detail17trampoline_kernelINS0_14default_configENS1_25partition_config_selectorILNS1_17partition_subalgoE0EtNS0_10empty_typeEbEEZZNS1_14partition_implILS5_0ELb0ES3_jN6thrust23THRUST_200600_302600_NS6detail15normal_iteratorINSA_10device_ptrItEEEEPS6_SG_NS0_5tupleIJNSA_16discard_iteratorINSA_11use_defaultEEESK_EEENSH_IJSG_SG_EEES6_PlJ7is_evenItEEEE10hipError_tPvRmT3_T4_T5_T6_T7_T9_mT8_P12ihipStream_tbDpT10_ENKUlT_T0_E_clISt17integral_constantIbLb0EES19_EEDaS14_S15_EUlS14_E_NS1_11comp_targetILNS1_3genE8ELNS1_11target_archE1030ELNS1_3gpuE2ELNS1_3repE0EEENS1_30default_config_static_selectorELNS0_4arch9wavefront6targetE1EEEvT1_
		.amdhsa_group_segment_fixed_size 0
		.amdhsa_private_segment_fixed_size 0
		.amdhsa_kernarg_size 136
		.amdhsa_user_sgpr_count 2
		.amdhsa_user_sgpr_dispatch_ptr 0
		.amdhsa_user_sgpr_queue_ptr 0
		.amdhsa_user_sgpr_kernarg_segment_ptr 1
		.amdhsa_user_sgpr_dispatch_id 0
		.amdhsa_user_sgpr_kernarg_preload_length 0
		.amdhsa_user_sgpr_kernarg_preload_offset 0
		.amdhsa_user_sgpr_private_segment_size 0
		.amdhsa_uses_dynamic_stack 0
		.amdhsa_enable_private_segment 0
		.amdhsa_system_sgpr_workgroup_id_x 1
		.amdhsa_system_sgpr_workgroup_id_y 0
		.amdhsa_system_sgpr_workgroup_id_z 0
		.amdhsa_system_sgpr_workgroup_info 0
		.amdhsa_system_vgpr_workitem_id 0
		.amdhsa_next_free_vgpr 1
		.amdhsa_next_free_sgpr 0
		.amdhsa_accum_offset 4
		.amdhsa_reserve_vcc 0
		.amdhsa_float_round_mode_32 0
		.amdhsa_float_round_mode_16_64 0
		.amdhsa_float_denorm_mode_32 3
		.amdhsa_float_denorm_mode_16_64 3
		.amdhsa_dx10_clamp 1
		.amdhsa_ieee_mode 1
		.amdhsa_fp16_overflow 0
		.amdhsa_tg_split 0
		.amdhsa_exception_fp_ieee_invalid_op 0
		.amdhsa_exception_fp_denorm_src 0
		.amdhsa_exception_fp_ieee_div_zero 0
		.amdhsa_exception_fp_ieee_overflow 0
		.amdhsa_exception_fp_ieee_underflow 0
		.amdhsa_exception_fp_ieee_inexact 0
		.amdhsa_exception_int_div_zero 0
	.end_amdhsa_kernel
	.section	.text._ZN7rocprim17ROCPRIM_400000_NS6detail17trampoline_kernelINS0_14default_configENS1_25partition_config_selectorILNS1_17partition_subalgoE0EtNS0_10empty_typeEbEEZZNS1_14partition_implILS5_0ELb0ES3_jN6thrust23THRUST_200600_302600_NS6detail15normal_iteratorINSA_10device_ptrItEEEEPS6_SG_NS0_5tupleIJNSA_16discard_iteratorINSA_11use_defaultEEESK_EEENSH_IJSG_SG_EEES6_PlJ7is_evenItEEEE10hipError_tPvRmT3_T4_T5_T6_T7_T9_mT8_P12ihipStream_tbDpT10_ENKUlT_T0_E_clISt17integral_constantIbLb0EES19_EEDaS14_S15_EUlS14_E_NS1_11comp_targetILNS1_3genE8ELNS1_11target_archE1030ELNS1_3gpuE2ELNS1_3repE0EEENS1_30default_config_static_selectorELNS0_4arch9wavefront6targetE1EEEvT1_,"axG",@progbits,_ZN7rocprim17ROCPRIM_400000_NS6detail17trampoline_kernelINS0_14default_configENS1_25partition_config_selectorILNS1_17partition_subalgoE0EtNS0_10empty_typeEbEEZZNS1_14partition_implILS5_0ELb0ES3_jN6thrust23THRUST_200600_302600_NS6detail15normal_iteratorINSA_10device_ptrItEEEEPS6_SG_NS0_5tupleIJNSA_16discard_iteratorINSA_11use_defaultEEESK_EEENSH_IJSG_SG_EEES6_PlJ7is_evenItEEEE10hipError_tPvRmT3_T4_T5_T6_T7_T9_mT8_P12ihipStream_tbDpT10_ENKUlT_T0_E_clISt17integral_constantIbLb0EES19_EEDaS14_S15_EUlS14_E_NS1_11comp_targetILNS1_3genE8ELNS1_11target_archE1030ELNS1_3gpuE2ELNS1_3repE0EEENS1_30default_config_static_selectorELNS0_4arch9wavefront6targetE1EEEvT1_,comdat
.Lfunc_end2498:
	.size	_ZN7rocprim17ROCPRIM_400000_NS6detail17trampoline_kernelINS0_14default_configENS1_25partition_config_selectorILNS1_17partition_subalgoE0EtNS0_10empty_typeEbEEZZNS1_14partition_implILS5_0ELb0ES3_jN6thrust23THRUST_200600_302600_NS6detail15normal_iteratorINSA_10device_ptrItEEEEPS6_SG_NS0_5tupleIJNSA_16discard_iteratorINSA_11use_defaultEEESK_EEENSH_IJSG_SG_EEES6_PlJ7is_evenItEEEE10hipError_tPvRmT3_T4_T5_T6_T7_T9_mT8_P12ihipStream_tbDpT10_ENKUlT_T0_E_clISt17integral_constantIbLb0EES19_EEDaS14_S15_EUlS14_E_NS1_11comp_targetILNS1_3genE8ELNS1_11target_archE1030ELNS1_3gpuE2ELNS1_3repE0EEENS1_30default_config_static_selectorELNS0_4arch9wavefront6targetE1EEEvT1_, .Lfunc_end2498-_ZN7rocprim17ROCPRIM_400000_NS6detail17trampoline_kernelINS0_14default_configENS1_25partition_config_selectorILNS1_17partition_subalgoE0EtNS0_10empty_typeEbEEZZNS1_14partition_implILS5_0ELb0ES3_jN6thrust23THRUST_200600_302600_NS6detail15normal_iteratorINSA_10device_ptrItEEEEPS6_SG_NS0_5tupleIJNSA_16discard_iteratorINSA_11use_defaultEEESK_EEENSH_IJSG_SG_EEES6_PlJ7is_evenItEEEE10hipError_tPvRmT3_T4_T5_T6_T7_T9_mT8_P12ihipStream_tbDpT10_ENKUlT_T0_E_clISt17integral_constantIbLb0EES19_EEDaS14_S15_EUlS14_E_NS1_11comp_targetILNS1_3genE8ELNS1_11target_archE1030ELNS1_3gpuE2ELNS1_3repE0EEENS1_30default_config_static_selectorELNS0_4arch9wavefront6targetE1EEEvT1_
                                        ; -- End function
	.section	.AMDGPU.csdata,"",@progbits
; Kernel info:
; codeLenInByte = 0
; NumSgprs: 6
; NumVgprs: 0
; NumAgprs: 0
; TotalNumVgprs: 0
; ScratchSize: 0
; MemoryBound: 0
; FloatMode: 240
; IeeeMode: 1
; LDSByteSize: 0 bytes/workgroup (compile time only)
; SGPRBlocks: 0
; VGPRBlocks: 0
; NumSGPRsForWavesPerEU: 6
; NumVGPRsForWavesPerEU: 1
; AccumOffset: 4
; Occupancy: 8
; WaveLimiterHint : 0
; COMPUTE_PGM_RSRC2:SCRATCH_EN: 0
; COMPUTE_PGM_RSRC2:USER_SGPR: 2
; COMPUTE_PGM_RSRC2:TRAP_HANDLER: 0
; COMPUTE_PGM_RSRC2:TGID_X_EN: 1
; COMPUTE_PGM_RSRC2:TGID_Y_EN: 0
; COMPUTE_PGM_RSRC2:TGID_Z_EN: 0
; COMPUTE_PGM_RSRC2:TIDIG_COMP_CNT: 0
; COMPUTE_PGM_RSRC3_GFX90A:ACCUM_OFFSET: 0
; COMPUTE_PGM_RSRC3_GFX90A:TG_SPLIT: 0
	.section	.text._ZN7rocprim17ROCPRIM_400000_NS6detail17trampoline_kernelINS0_14default_configENS1_25partition_config_selectorILNS1_17partition_subalgoE0EtNS0_10empty_typeEbEEZZNS1_14partition_implILS5_0ELb0ES3_jN6thrust23THRUST_200600_302600_NS6detail15normal_iteratorINSA_10device_ptrItEEEEPS6_SG_NS0_5tupleIJNSA_16discard_iteratorINSA_11use_defaultEEESK_EEENSH_IJSG_SG_EEES6_PlJ7is_evenItEEEE10hipError_tPvRmT3_T4_T5_T6_T7_T9_mT8_P12ihipStream_tbDpT10_ENKUlT_T0_E_clISt17integral_constantIbLb1EES19_EEDaS14_S15_EUlS14_E_NS1_11comp_targetILNS1_3genE0ELNS1_11target_archE4294967295ELNS1_3gpuE0ELNS1_3repE0EEENS1_30default_config_static_selectorELNS0_4arch9wavefront6targetE1EEEvT1_,"axG",@progbits,_ZN7rocprim17ROCPRIM_400000_NS6detail17trampoline_kernelINS0_14default_configENS1_25partition_config_selectorILNS1_17partition_subalgoE0EtNS0_10empty_typeEbEEZZNS1_14partition_implILS5_0ELb0ES3_jN6thrust23THRUST_200600_302600_NS6detail15normal_iteratorINSA_10device_ptrItEEEEPS6_SG_NS0_5tupleIJNSA_16discard_iteratorINSA_11use_defaultEEESK_EEENSH_IJSG_SG_EEES6_PlJ7is_evenItEEEE10hipError_tPvRmT3_T4_T5_T6_T7_T9_mT8_P12ihipStream_tbDpT10_ENKUlT_T0_E_clISt17integral_constantIbLb1EES19_EEDaS14_S15_EUlS14_E_NS1_11comp_targetILNS1_3genE0ELNS1_11target_archE4294967295ELNS1_3gpuE0ELNS1_3repE0EEENS1_30default_config_static_selectorELNS0_4arch9wavefront6targetE1EEEvT1_,comdat
	.protected	_ZN7rocprim17ROCPRIM_400000_NS6detail17trampoline_kernelINS0_14default_configENS1_25partition_config_selectorILNS1_17partition_subalgoE0EtNS0_10empty_typeEbEEZZNS1_14partition_implILS5_0ELb0ES3_jN6thrust23THRUST_200600_302600_NS6detail15normal_iteratorINSA_10device_ptrItEEEEPS6_SG_NS0_5tupleIJNSA_16discard_iteratorINSA_11use_defaultEEESK_EEENSH_IJSG_SG_EEES6_PlJ7is_evenItEEEE10hipError_tPvRmT3_T4_T5_T6_T7_T9_mT8_P12ihipStream_tbDpT10_ENKUlT_T0_E_clISt17integral_constantIbLb1EES19_EEDaS14_S15_EUlS14_E_NS1_11comp_targetILNS1_3genE0ELNS1_11target_archE4294967295ELNS1_3gpuE0ELNS1_3repE0EEENS1_30default_config_static_selectorELNS0_4arch9wavefront6targetE1EEEvT1_ ; -- Begin function _ZN7rocprim17ROCPRIM_400000_NS6detail17trampoline_kernelINS0_14default_configENS1_25partition_config_selectorILNS1_17partition_subalgoE0EtNS0_10empty_typeEbEEZZNS1_14partition_implILS5_0ELb0ES3_jN6thrust23THRUST_200600_302600_NS6detail15normal_iteratorINSA_10device_ptrItEEEEPS6_SG_NS0_5tupleIJNSA_16discard_iteratorINSA_11use_defaultEEESK_EEENSH_IJSG_SG_EEES6_PlJ7is_evenItEEEE10hipError_tPvRmT3_T4_T5_T6_T7_T9_mT8_P12ihipStream_tbDpT10_ENKUlT_T0_E_clISt17integral_constantIbLb1EES19_EEDaS14_S15_EUlS14_E_NS1_11comp_targetILNS1_3genE0ELNS1_11target_archE4294967295ELNS1_3gpuE0ELNS1_3repE0EEENS1_30default_config_static_selectorELNS0_4arch9wavefront6targetE1EEEvT1_
	.globl	_ZN7rocprim17ROCPRIM_400000_NS6detail17trampoline_kernelINS0_14default_configENS1_25partition_config_selectorILNS1_17partition_subalgoE0EtNS0_10empty_typeEbEEZZNS1_14partition_implILS5_0ELb0ES3_jN6thrust23THRUST_200600_302600_NS6detail15normal_iteratorINSA_10device_ptrItEEEEPS6_SG_NS0_5tupleIJNSA_16discard_iteratorINSA_11use_defaultEEESK_EEENSH_IJSG_SG_EEES6_PlJ7is_evenItEEEE10hipError_tPvRmT3_T4_T5_T6_T7_T9_mT8_P12ihipStream_tbDpT10_ENKUlT_T0_E_clISt17integral_constantIbLb1EES19_EEDaS14_S15_EUlS14_E_NS1_11comp_targetILNS1_3genE0ELNS1_11target_archE4294967295ELNS1_3gpuE0ELNS1_3repE0EEENS1_30default_config_static_selectorELNS0_4arch9wavefront6targetE1EEEvT1_
	.p2align	8
	.type	_ZN7rocprim17ROCPRIM_400000_NS6detail17trampoline_kernelINS0_14default_configENS1_25partition_config_selectorILNS1_17partition_subalgoE0EtNS0_10empty_typeEbEEZZNS1_14partition_implILS5_0ELb0ES3_jN6thrust23THRUST_200600_302600_NS6detail15normal_iteratorINSA_10device_ptrItEEEEPS6_SG_NS0_5tupleIJNSA_16discard_iteratorINSA_11use_defaultEEESK_EEENSH_IJSG_SG_EEES6_PlJ7is_evenItEEEE10hipError_tPvRmT3_T4_T5_T6_T7_T9_mT8_P12ihipStream_tbDpT10_ENKUlT_T0_E_clISt17integral_constantIbLb1EES19_EEDaS14_S15_EUlS14_E_NS1_11comp_targetILNS1_3genE0ELNS1_11target_archE4294967295ELNS1_3gpuE0ELNS1_3repE0EEENS1_30default_config_static_selectorELNS0_4arch9wavefront6targetE1EEEvT1_,@function
_ZN7rocprim17ROCPRIM_400000_NS6detail17trampoline_kernelINS0_14default_configENS1_25partition_config_selectorILNS1_17partition_subalgoE0EtNS0_10empty_typeEbEEZZNS1_14partition_implILS5_0ELb0ES3_jN6thrust23THRUST_200600_302600_NS6detail15normal_iteratorINSA_10device_ptrItEEEEPS6_SG_NS0_5tupleIJNSA_16discard_iteratorINSA_11use_defaultEEESK_EEENSH_IJSG_SG_EEES6_PlJ7is_evenItEEEE10hipError_tPvRmT3_T4_T5_T6_T7_T9_mT8_P12ihipStream_tbDpT10_ENKUlT_T0_E_clISt17integral_constantIbLb1EES19_EEDaS14_S15_EUlS14_E_NS1_11comp_targetILNS1_3genE0ELNS1_11target_archE4294967295ELNS1_3gpuE0ELNS1_3repE0EEENS1_30default_config_static_selectorELNS0_4arch9wavefront6targetE1EEEvT1_: ; @_ZN7rocprim17ROCPRIM_400000_NS6detail17trampoline_kernelINS0_14default_configENS1_25partition_config_selectorILNS1_17partition_subalgoE0EtNS0_10empty_typeEbEEZZNS1_14partition_implILS5_0ELb0ES3_jN6thrust23THRUST_200600_302600_NS6detail15normal_iteratorINSA_10device_ptrItEEEEPS6_SG_NS0_5tupleIJNSA_16discard_iteratorINSA_11use_defaultEEESK_EEENSH_IJSG_SG_EEES6_PlJ7is_evenItEEEE10hipError_tPvRmT3_T4_T5_T6_T7_T9_mT8_P12ihipStream_tbDpT10_ENKUlT_T0_E_clISt17integral_constantIbLb1EES19_EEDaS14_S15_EUlS14_E_NS1_11comp_targetILNS1_3genE0ELNS1_11target_archE4294967295ELNS1_3gpuE0ELNS1_3repE0EEENS1_30default_config_static_selectorELNS0_4arch9wavefront6targetE1EEEvT1_
; %bb.0:
	.section	.rodata,"a",@progbits
	.p2align	6, 0x0
	.amdhsa_kernel _ZN7rocprim17ROCPRIM_400000_NS6detail17trampoline_kernelINS0_14default_configENS1_25partition_config_selectorILNS1_17partition_subalgoE0EtNS0_10empty_typeEbEEZZNS1_14partition_implILS5_0ELb0ES3_jN6thrust23THRUST_200600_302600_NS6detail15normal_iteratorINSA_10device_ptrItEEEEPS6_SG_NS0_5tupleIJNSA_16discard_iteratorINSA_11use_defaultEEESK_EEENSH_IJSG_SG_EEES6_PlJ7is_evenItEEEE10hipError_tPvRmT3_T4_T5_T6_T7_T9_mT8_P12ihipStream_tbDpT10_ENKUlT_T0_E_clISt17integral_constantIbLb1EES19_EEDaS14_S15_EUlS14_E_NS1_11comp_targetILNS1_3genE0ELNS1_11target_archE4294967295ELNS1_3gpuE0ELNS1_3repE0EEENS1_30default_config_static_selectorELNS0_4arch9wavefront6targetE1EEEvT1_
		.amdhsa_group_segment_fixed_size 0
		.amdhsa_private_segment_fixed_size 0
		.amdhsa_kernarg_size 152
		.amdhsa_user_sgpr_count 2
		.amdhsa_user_sgpr_dispatch_ptr 0
		.amdhsa_user_sgpr_queue_ptr 0
		.amdhsa_user_sgpr_kernarg_segment_ptr 1
		.amdhsa_user_sgpr_dispatch_id 0
		.amdhsa_user_sgpr_kernarg_preload_length 0
		.amdhsa_user_sgpr_kernarg_preload_offset 0
		.amdhsa_user_sgpr_private_segment_size 0
		.amdhsa_uses_dynamic_stack 0
		.amdhsa_enable_private_segment 0
		.amdhsa_system_sgpr_workgroup_id_x 1
		.amdhsa_system_sgpr_workgroup_id_y 0
		.amdhsa_system_sgpr_workgroup_id_z 0
		.amdhsa_system_sgpr_workgroup_info 0
		.amdhsa_system_vgpr_workitem_id 0
		.amdhsa_next_free_vgpr 1
		.amdhsa_next_free_sgpr 0
		.amdhsa_accum_offset 4
		.amdhsa_reserve_vcc 0
		.amdhsa_float_round_mode_32 0
		.amdhsa_float_round_mode_16_64 0
		.amdhsa_float_denorm_mode_32 3
		.amdhsa_float_denorm_mode_16_64 3
		.amdhsa_dx10_clamp 1
		.amdhsa_ieee_mode 1
		.amdhsa_fp16_overflow 0
		.amdhsa_tg_split 0
		.amdhsa_exception_fp_ieee_invalid_op 0
		.amdhsa_exception_fp_denorm_src 0
		.amdhsa_exception_fp_ieee_div_zero 0
		.amdhsa_exception_fp_ieee_overflow 0
		.amdhsa_exception_fp_ieee_underflow 0
		.amdhsa_exception_fp_ieee_inexact 0
		.amdhsa_exception_int_div_zero 0
	.end_amdhsa_kernel
	.section	.text._ZN7rocprim17ROCPRIM_400000_NS6detail17trampoline_kernelINS0_14default_configENS1_25partition_config_selectorILNS1_17partition_subalgoE0EtNS0_10empty_typeEbEEZZNS1_14partition_implILS5_0ELb0ES3_jN6thrust23THRUST_200600_302600_NS6detail15normal_iteratorINSA_10device_ptrItEEEEPS6_SG_NS0_5tupleIJNSA_16discard_iteratorINSA_11use_defaultEEESK_EEENSH_IJSG_SG_EEES6_PlJ7is_evenItEEEE10hipError_tPvRmT3_T4_T5_T6_T7_T9_mT8_P12ihipStream_tbDpT10_ENKUlT_T0_E_clISt17integral_constantIbLb1EES19_EEDaS14_S15_EUlS14_E_NS1_11comp_targetILNS1_3genE0ELNS1_11target_archE4294967295ELNS1_3gpuE0ELNS1_3repE0EEENS1_30default_config_static_selectorELNS0_4arch9wavefront6targetE1EEEvT1_,"axG",@progbits,_ZN7rocprim17ROCPRIM_400000_NS6detail17trampoline_kernelINS0_14default_configENS1_25partition_config_selectorILNS1_17partition_subalgoE0EtNS0_10empty_typeEbEEZZNS1_14partition_implILS5_0ELb0ES3_jN6thrust23THRUST_200600_302600_NS6detail15normal_iteratorINSA_10device_ptrItEEEEPS6_SG_NS0_5tupleIJNSA_16discard_iteratorINSA_11use_defaultEEESK_EEENSH_IJSG_SG_EEES6_PlJ7is_evenItEEEE10hipError_tPvRmT3_T4_T5_T6_T7_T9_mT8_P12ihipStream_tbDpT10_ENKUlT_T0_E_clISt17integral_constantIbLb1EES19_EEDaS14_S15_EUlS14_E_NS1_11comp_targetILNS1_3genE0ELNS1_11target_archE4294967295ELNS1_3gpuE0ELNS1_3repE0EEENS1_30default_config_static_selectorELNS0_4arch9wavefront6targetE1EEEvT1_,comdat
.Lfunc_end2499:
	.size	_ZN7rocprim17ROCPRIM_400000_NS6detail17trampoline_kernelINS0_14default_configENS1_25partition_config_selectorILNS1_17partition_subalgoE0EtNS0_10empty_typeEbEEZZNS1_14partition_implILS5_0ELb0ES3_jN6thrust23THRUST_200600_302600_NS6detail15normal_iteratorINSA_10device_ptrItEEEEPS6_SG_NS0_5tupleIJNSA_16discard_iteratorINSA_11use_defaultEEESK_EEENSH_IJSG_SG_EEES6_PlJ7is_evenItEEEE10hipError_tPvRmT3_T4_T5_T6_T7_T9_mT8_P12ihipStream_tbDpT10_ENKUlT_T0_E_clISt17integral_constantIbLb1EES19_EEDaS14_S15_EUlS14_E_NS1_11comp_targetILNS1_3genE0ELNS1_11target_archE4294967295ELNS1_3gpuE0ELNS1_3repE0EEENS1_30default_config_static_selectorELNS0_4arch9wavefront6targetE1EEEvT1_, .Lfunc_end2499-_ZN7rocprim17ROCPRIM_400000_NS6detail17trampoline_kernelINS0_14default_configENS1_25partition_config_selectorILNS1_17partition_subalgoE0EtNS0_10empty_typeEbEEZZNS1_14partition_implILS5_0ELb0ES3_jN6thrust23THRUST_200600_302600_NS6detail15normal_iteratorINSA_10device_ptrItEEEEPS6_SG_NS0_5tupleIJNSA_16discard_iteratorINSA_11use_defaultEEESK_EEENSH_IJSG_SG_EEES6_PlJ7is_evenItEEEE10hipError_tPvRmT3_T4_T5_T6_T7_T9_mT8_P12ihipStream_tbDpT10_ENKUlT_T0_E_clISt17integral_constantIbLb1EES19_EEDaS14_S15_EUlS14_E_NS1_11comp_targetILNS1_3genE0ELNS1_11target_archE4294967295ELNS1_3gpuE0ELNS1_3repE0EEENS1_30default_config_static_selectorELNS0_4arch9wavefront6targetE1EEEvT1_
                                        ; -- End function
	.section	.AMDGPU.csdata,"",@progbits
; Kernel info:
; codeLenInByte = 0
; NumSgprs: 6
; NumVgprs: 0
; NumAgprs: 0
; TotalNumVgprs: 0
; ScratchSize: 0
; MemoryBound: 0
; FloatMode: 240
; IeeeMode: 1
; LDSByteSize: 0 bytes/workgroup (compile time only)
; SGPRBlocks: 0
; VGPRBlocks: 0
; NumSGPRsForWavesPerEU: 6
; NumVGPRsForWavesPerEU: 1
; AccumOffset: 4
; Occupancy: 8
; WaveLimiterHint : 0
; COMPUTE_PGM_RSRC2:SCRATCH_EN: 0
; COMPUTE_PGM_RSRC2:USER_SGPR: 2
; COMPUTE_PGM_RSRC2:TRAP_HANDLER: 0
; COMPUTE_PGM_RSRC2:TGID_X_EN: 1
; COMPUTE_PGM_RSRC2:TGID_Y_EN: 0
; COMPUTE_PGM_RSRC2:TGID_Z_EN: 0
; COMPUTE_PGM_RSRC2:TIDIG_COMP_CNT: 0
; COMPUTE_PGM_RSRC3_GFX90A:ACCUM_OFFSET: 0
; COMPUTE_PGM_RSRC3_GFX90A:TG_SPLIT: 0
	.section	.text._ZN7rocprim17ROCPRIM_400000_NS6detail17trampoline_kernelINS0_14default_configENS1_25partition_config_selectorILNS1_17partition_subalgoE0EtNS0_10empty_typeEbEEZZNS1_14partition_implILS5_0ELb0ES3_jN6thrust23THRUST_200600_302600_NS6detail15normal_iteratorINSA_10device_ptrItEEEEPS6_SG_NS0_5tupleIJNSA_16discard_iteratorINSA_11use_defaultEEESK_EEENSH_IJSG_SG_EEES6_PlJ7is_evenItEEEE10hipError_tPvRmT3_T4_T5_T6_T7_T9_mT8_P12ihipStream_tbDpT10_ENKUlT_T0_E_clISt17integral_constantIbLb1EES19_EEDaS14_S15_EUlS14_E_NS1_11comp_targetILNS1_3genE5ELNS1_11target_archE942ELNS1_3gpuE9ELNS1_3repE0EEENS1_30default_config_static_selectorELNS0_4arch9wavefront6targetE1EEEvT1_,"axG",@progbits,_ZN7rocprim17ROCPRIM_400000_NS6detail17trampoline_kernelINS0_14default_configENS1_25partition_config_selectorILNS1_17partition_subalgoE0EtNS0_10empty_typeEbEEZZNS1_14partition_implILS5_0ELb0ES3_jN6thrust23THRUST_200600_302600_NS6detail15normal_iteratorINSA_10device_ptrItEEEEPS6_SG_NS0_5tupleIJNSA_16discard_iteratorINSA_11use_defaultEEESK_EEENSH_IJSG_SG_EEES6_PlJ7is_evenItEEEE10hipError_tPvRmT3_T4_T5_T6_T7_T9_mT8_P12ihipStream_tbDpT10_ENKUlT_T0_E_clISt17integral_constantIbLb1EES19_EEDaS14_S15_EUlS14_E_NS1_11comp_targetILNS1_3genE5ELNS1_11target_archE942ELNS1_3gpuE9ELNS1_3repE0EEENS1_30default_config_static_selectorELNS0_4arch9wavefront6targetE1EEEvT1_,comdat
	.protected	_ZN7rocprim17ROCPRIM_400000_NS6detail17trampoline_kernelINS0_14default_configENS1_25partition_config_selectorILNS1_17partition_subalgoE0EtNS0_10empty_typeEbEEZZNS1_14partition_implILS5_0ELb0ES3_jN6thrust23THRUST_200600_302600_NS6detail15normal_iteratorINSA_10device_ptrItEEEEPS6_SG_NS0_5tupleIJNSA_16discard_iteratorINSA_11use_defaultEEESK_EEENSH_IJSG_SG_EEES6_PlJ7is_evenItEEEE10hipError_tPvRmT3_T4_T5_T6_T7_T9_mT8_P12ihipStream_tbDpT10_ENKUlT_T0_E_clISt17integral_constantIbLb1EES19_EEDaS14_S15_EUlS14_E_NS1_11comp_targetILNS1_3genE5ELNS1_11target_archE942ELNS1_3gpuE9ELNS1_3repE0EEENS1_30default_config_static_selectorELNS0_4arch9wavefront6targetE1EEEvT1_ ; -- Begin function _ZN7rocprim17ROCPRIM_400000_NS6detail17trampoline_kernelINS0_14default_configENS1_25partition_config_selectorILNS1_17partition_subalgoE0EtNS0_10empty_typeEbEEZZNS1_14partition_implILS5_0ELb0ES3_jN6thrust23THRUST_200600_302600_NS6detail15normal_iteratorINSA_10device_ptrItEEEEPS6_SG_NS0_5tupleIJNSA_16discard_iteratorINSA_11use_defaultEEESK_EEENSH_IJSG_SG_EEES6_PlJ7is_evenItEEEE10hipError_tPvRmT3_T4_T5_T6_T7_T9_mT8_P12ihipStream_tbDpT10_ENKUlT_T0_E_clISt17integral_constantIbLb1EES19_EEDaS14_S15_EUlS14_E_NS1_11comp_targetILNS1_3genE5ELNS1_11target_archE942ELNS1_3gpuE9ELNS1_3repE0EEENS1_30default_config_static_selectorELNS0_4arch9wavefront6targetE1EEEvT1_
	.globl	_ZN7rocprim17ROCPRIM_400000_NS6detail17trampoline_kernelINS0_14default_configENS1_25partition_config_selectorILNS1_17partition_subalgoE0EtNS0_10empty_typeEbEEZZNS1_14partition_implILS5_0ELb0ES3_jN6thrust23THRUST_200600_302600_NS6detail15normal_iteratorINSA_10device_ptrItEEEEPS6_SG_NS0_5tupleIJNSA_16discard_iteratorINSA_11use_defaultEEESK_EEENSH_IJSG_SG_EEES6_PlJ7is_evenItEEEE10hipError_tPvRmT3_T4_T5_T6_T7_T9_mT8_P12ihipStream_tbDpT10_ENKUlT_T0_E_clISt17integral_constantIbLb1EES19_EEDaS14_S15_EUlS14_E_NS1_11comp_targetILNS1_3genE5ELNS1_11target_archE942ELNS1_3gpuE9ELNS1_3repE0EEENS1_30default_config_static_selectorELNS0_4arch9wavefront6targetE1EEEvT1_
	.p2align	8
	.type	_ZN7rocprim17ROCPRIM_400000_NS6detail17trampoline_kernelINS0_14default_configENS1_25partition_config_selectorILNS1_17partition_subalgoE0EtNS0_10empty_typeEbEEZZNS1_14partition_implILS5_0ELb0ES3_jN6thrust23THRUST_200600_302600_NS6detail15normal_iteratorINSA_10device_ptrItEEEEPS6_SG_NS0_5tupleIJNSA_16discard_iteratorINSA_11use_defaultEEESK_EEENSH_IJSG_SG_EEES6_PlJ7is_evenItEEEE10hipError_tPvRmT3_T4_T5_T6_T7_T9_mT8_P12ihipStream_tbDpT10_ENKUlT_T0_E_clISt17integral_constantIbLb1EES19_EEDaS14_S15_EUlS14_E_NS1_11comp_targetILNS1_3genE5ELNS1_11target_archE942ELNS1_3gpuE9ELNS1_3repE0EEENS1_30default_config_static_selectorELNS0_4arch9wavefront6targetE1EEEvT1_,@function
_ZN7rocprim17ROCPRIM_400000_NS6detail17trampoline_kernelINS0_14default_configENS1_25partition_config_selectorILNS1_17partition_subalgoE0EtNS0_10empty_typeEbEEZZNS1_14partition_implILS5_0ELb0ES3_jN6thrust23THRUST_200600_302600_NS6detail15normal_iteratorINSA_10device_ptrItEEEEPS6_SG_NS0_5tupleIJNSA_16discard_iteratorINSA_11use_defaultEEESK_EEENSH_IJSG_SG_EEES6_PlJ7is_evenItEEEE10hipError_tPvRmT3_T4_T5_T6_T7_T9_mT8_P12ihipStream_tbDpT10_ENKUlT_T0_E_clISt17integral_constantIbLb1EES19_EEDaS14_S15_EUlS14_E_NS1_11comp_targetILNS1_3genE5ELNS1_11target_archE942ELNS1_3gpuE9ELNS1_3repE0EEENS1_30default_config_static_selectorELNS0_4arch9wavefront6targetE1EEEvT1_: ; @_ZN7rocprim17ROCPRIM_400000_NS6detail17trampoline_kernelINS0_14default_configENS1_25partition_config_selectorILNS1_17partition_subalgoE0EtNS0_10empty_typeEbEEZZNS1_14partition_implILS5_0ELb0ES3_jN6thrust23THRUST_200600_302600_NS6detail15normal_iteratorINSA_10device_ptrItEEEEPS6_SG_NS0_5tupleIJNSA_16discard_iteratorINSA_11use_defaultEEESK_EEENSH_IJSG_SG_EEES6_PlJ7is_evenItEEEE10hipError_tPvRmT3_T4_T5_T6_T7_T9_mT8_P12ihipStream_tbDpT10_ENKUlT_T0_E_clISt17integral_constantIbLb1EES19_EEDaS14_S15_EUlS14_E_NS1_11comp_targetILNS1_3genE5ELNS1_11target_archE942ELNS1_3gpuE9ELNS1_3repE0EEENS1_30default_config_static_selectorELNS0_4arch9wavefront6targetE1EEEvT1_
; %bb.0:
	s_load_dwordx2 s[2:3], s[0:1], 0x68
	s_load_dwordx4 s[20:23], s[0:1], 0x58
	s_load_dwordx2 s[24:25], s[0:1], 0x78
	v_cmp_eq_u32_e64 s[18:19], 0, v0
	s_and_saveexec_b64 s[4:5], s[18:19]
	s_cbranch_execz .LBB2500_4
; %bb.1:
	s_mov_b64 s[8:9], exec
	v_mbcnt_lo_u32_b32 v1, s8, 0
	v_mbcnt_hi_u32_b32 v1, s9, v1
	v_cmp_eq_u32_e32 vcc, 0, v1
                                        ; implicit-def: $vgpr2
	s_and_saveexec_b64 s[6:7], vcc
	s_cbranch_execz .LBB2500_3
; %bb.2:
	s_load_dwordx2 s[10:11], s[0:1], 0x88
	s_bcnt1_i32_b64 s8, s[8:9]
	v_mov_b32_e32 v2, 0
	v_mov_b32_e32 v3, s8
	s_waitcnt lgkmcnt(0)
	global_atomic_add v2, v2, v3, s[10:11] sc0
.LBB2500_3:
	s_or_b64 exec, exec, s[6:7]
	s_waitcnt vmcnt(0)
	v_readfirstlane_b32 s6, v2
	v_mov_b32_e32 v2, 0
	s_nop 0
	v_add_u32_e32 v1, s6, v1
	ds_write_b32 v2, v1
.LBB2500_4:
	s_or_b64 exec, exec, s[4:5]
	v_mov_b32_e32 v5, 0
	s_load_dwordx4 s[4:7], s[0:1], 0x8
	s_load_dword s8, s[0:1], 0x80
	s_waitcnt lgkmcnt(0)
	s_barrier
	ds_read_b32 v1, v5
	s_waitcnt lgkmcnt(0)
	s_barrier
	global_load_dwordx2 v[2:3], v5, s[22:23]
	s_lshl_b64 s[0:1], s[6:7], 1
	s_add_u32 s10, s4, s0
	s_movk_i32 s0, 0x3c00
	v_mul_lo_u32 v4, v1, s0
	s_mul_i32 s0, s8, 0x3c00
	s_addc_u32 s11, s5, s1
	s_add_i32 s1, s0, s6
	v_mov_b32_e32 v7, s3
	s_add_i32 s3, s8, -1
	s_sub_i32 s4, s2, s1
	s_add_u32 s0, s6, s0
	v_readfirstlane_b32 s30, v1
	s_addc_u32 s1, s7, 0
	s_cmp_eq_u32 s30, s3
	v_mov_b32_e32 v6, s2
	s_cselect_b64 s[22:23], -1, 0
	s_cmp_lg_u32 s30, s3
	v_cmp_lt_u64_e32 vcc, s[0:1], v[6:7]
	s_cselect_b64 s[0:1], -1, 0
	s_or_b64 s[0:1], vcc, s[0:1]
	v_lshlrev_b64 v[6:7], 1, v[4:5]
	v_lshl_add_u64 v[6:7], s[10:11], 0, v[6:7]
	s_mov_b64 s[2:3], -1
	s_and_b64 vcc, exec, s[0:1]
	v_lshlrev_b32_e32 v4, 1, v0
	s_cbranch_vccz .LBB2500_6
; %bb.5:
	v_lshl_add_u64 v[8:9], v[6:7], 0, v[4:5]
	v_add_co_u32_e32 v10, vcc, 0x1000, v8
	s_mov_b64 s[2:3], 0
	s_nop 0
	v_addc_co_u32_e32 v11, vcc, 0, v9, vcc
	flat_load_ushort v1, v[8:9]
	flat_load_ushort v5, v[8:9] offset:1024
	flat_load_ushort v14, v[8:9] offset:2048
	flat_load_ushort v15, v[8:9] offset:3072
	flat_load_ushort v16, v[10:11]
	flat_load_ushort v17, v[10:11] offset:1024
	flat_load_ushort v18, v[10:11] offset:2048
	flat_load_ushort v19, v[10:11] offset:3072
	v_add_co_u32_e32 v10, vcc, 0x2000, v8
	s_nop 1
	v_addc_co_u32_e32 v11, vcc, 0, v9, vcc
	v_add_co_u32_e32 v12, vcc, 0x3000, v8
	s_nop 1
	v_addc_co_u32_e32 v13, vcc, 0, v9, vcc
	flat_load_ushort v20, v[10:11]
	flat_load_ushort v21, v[10:11] offset:1024
	flat_load_ushort v22, v[10:11] offset:2048
	flat_load_ushort v23, v[10:11] offset:3072
	flat_load_ushort v24, v[12:13]
	flat_load_ushort v25, v[12:13] offset:1024
	flat_load_ushort v26, v[12:13] offset:2048
	flat_load_ushort v27, v[12:13] offset:3072
	v_add_co_u32_e32 v10, vcc, 0x4000, v8
	s_nop 1
	v_addc_co_u32_e32 v11, vcc, 0, v9, vcc
	v_add_co_u32_e32 v12, vcc, 0x5000, v8
	;; [unrolled: 14-line block ×3, first 2 shown]
	s_nop 1
	v_addc_co_u32_e32 v9, vcc, 0, v9, vcc
	flat_load_ushort v12, v[10:11]
	flat_load_ushort v13, v[10:11] offset:1024
	flat_load_ushort v36, v[10:11] offset:2048
	;; [unrolled: 1-line block ×3, first 2 shown]
	flat_load_ushort v38, v[8:9]
	flat_load_ushort v39, v[8:9] offset:1024
	s_waitcnt vmcnt(0) lgkmcnt(0)
	ds_write_b16 v4, v1
	ds_write_b16 v4, v5 offset:1024
	ds_write_b16 v4, v14 offset:2048
	;; [unrolled: 1-line block ×29, first 2 shown]
	s_waitcnt lgkmcnt(0)
	s_barrier
.LBB2500_6:
	s_andn2_b64 vcc, exec, s[2:3]
	s_addk_i32 s4, 0x3c00
	s_cbranch_vccnz .LBB2500_68
; %bb.7:
	v_cmp_gt_u32_e32 vcc, s4, v0
                                        ; implicit-def: $vgpr1
	s_and_saveexec_b64 s[2:3], vcc
	s_cbranch_execz .LBB2500_9
; %bb.8:
	v_mov_b32_e32 v5, 0
	v_lshl_add_u64 v[8:9], v[6:7], 0, v[4:5]
	flat_load_ushort v1, v[8:9]
.LBB2500_9:
	s_or_b64 exec, exec, s[2:3]
	v_or_b32_e32 v5, 0x200, v0
	v_cmp_gt_u32_e32 vcc, s4, v5
                                        ; implicit-def: $vgpr8
	s_and_saveexec_b64 s[2:3], vcc
	s_cbranch_execz .LBB2500_11
; %bb.10:
	v_mov_b32_e32 v5, 0
	v_lshl_add_u64 v[8:9], v[6:7], 0, v[4:5]
	flat_load_ushort v8, v[8:9] offset:1024
.LBB2500_11:
	s_or_b64 exec, exec, s[2:3]
	v_or_b32_e32 v5, 0x400, v0
	v_cmp_gt_u32_e32 vcc, s4, v5
                                        ; implicit-def: $vgpr9
	s_and_saveexec_b64 s[2:3], vcc
	s_cbranch_execz .LBB2500_13
; %bb.12:
	v_mov_b32_e32 v5, 0
	v_lshl_add_u64 v[10:11], v[6:7], 0, v[4:5]
	flat_load_ushort v9, v[10:11] offset:2048
.LBB2500_13:
	s_or_b64 exec, exec, s[2:3]
	v_or_b32_e32 v5, 0x600, v0
	v_cmp_gt_u32_e32 vcc, s4, v5
                                        ; implicit-def: $vgpr5
	s_and_saveexec_b64 s[2:3], vcc
	s_cbranch_execz .LBB2500_15
; %bb.14:
	v_mov_b32_e32 v5, 0
	v_lshl_add_u64 v[10:11], v[6:7], 0, v[4:5]
	flat_load_ushort v5, v[10:11] offset:3072
.LBB2500_15:
	s_or_b64 exec, exec, s[2:3]
	v_or_b32_e32 v11, 0x800, v0
	v_cmp_gt_u32_e32 vcc, s4, v11
                                        ; implicit-def: $vgpr10
	s_and_saveexec_b64 s[2:3], vcc
	s_cbranch_execz .LBB2500_17
; %bb.16:
	v_lshlrev_b32_e32 v10, 1, v11
	v_mov_b32_e32 v11, 0
	v_lshl_add_u64 v[10:11], v[6:7], 0, v[10:11]
	flat_load_ushort v10, v[10:11]
.LBB2500_17:
	s_or_b64 exec, exec, s[2:3]
	v_or_b32_e32 v12, 0xa00, v0
	v_cmp_gt_u32_e32 vcc, s4, v12
                                        ; implicit-def: $vgpr11
	s_and_saveexec_b64 s[2:3], vcc
	s_cbranch_execz .LBB2500_19
; %bb.18:
	v_lshlrev_b32_e32 v12, 1, v12
	v_mov_b32_e32 v13, 0
	v_lshl_add_u64 v[12:13], v[6:7], 0, v[12:13]
	flat_load_ushort v11, v[12:13]
.LBB2500_19:
	s_or_b64 exec, exec, s[2:3]
	v_or_b32_e32 v13, 0xc00, v0
	v_cmp_gt_u32_e32 vcc, s4, v13
                                        ; implicit-def: $vgpr12
	s_and_saveexec_b64 s[2:3], vcc
	s_cbranch_execz .LBB2500_21
; %bb.20:
	v_lshlrev_b32_e32 v12, 1, v13
	v_mov_b32_e32 v13, 0
	v_lshl_add_u64 v[12:13], v[6:7], 0, v[12:13]
	flat_load_ushort v12, v[12:13]
.LBB2500_21:
	s_or_b64 exec, exec, s[2:3]
	v_or_b32_e32 v14, 0xe00, v0
	v_cmp_gt_u32_e32 vcc, s4, v14
                                        ; implicit-def: $vgpr13
	s_and_saveexec_b64 s[2:3], vcc
	s_cbranch_execz .LBB2500_23
; %bb.22:
	v_lshlrev_b32_e32 v14, 1, v14
	v_mov_b32_e32 v15, 0
	v_lshl_add_u64 v[14:15], v[6:7], 0, v[14:15]
	flat_load_ushort v13, v[14:15]
.LBB2500_23:
	s_or_b64 exec, exec, s[2:3]
	v_or_b32_e32 v15, 0x1000, v0
	v_cmp_gt_u32_e32 vcc, s4, v15
                                        ; implicit-def: $vgpr14
	s_and_saveexec_b64 s[2:3], vcc
	s_cbranch_execz .LBB2500_25
; %bb.24:
	v_lshlrev_b32_e32 v14, 1, v15
	v_mov_b32_e32 v15, 0
	v_lshl_add_u64 v[14:15], v[6:7], 0, v[14:15]
	flat_load_ushort v14, v[14:15]
.LBB2500_25:
	s_or_b64 exec, exec, s[2:3]
	v_or_b32_e32 v16, 0x1200, v0
	v_cmp_gt_u32_e32 vcc, s4, v16
                                        ; implicit-def: $vgpr15
	s_and_saveexec_b64 s[2:3], vcc
	s_cbranch_execz .LBB2500_27
; %bb.26:
	v_lshlrev_b32_e32 v16, 1, v16
	v_mov_b32_e32 v17, 0
	v_lshl_add_u64 v[16:17], v[6:7], 0, v[16:17]
	flat_load_ushort v15, v[16:17]
.LBB2500_27:
	s_or_b64 exec, exec, s[2:3]
	v_or_b32_e32 v17, 0x1400, v0
	v_cmp_gt_u32_e32 vcc, s4, v17
                                        ; implicit-def: $vgpr16
	s_and_saveexec_b64 s[2:3], vcc
	s_cbranch_execz .LBB2500_29
; %bb.28:
	v_lshlrev_b32_e32 v16, 1, v17
	v_mov_b32_e32 v17, 0
	v_lshl_add_u64 v[16:17], v[6:7], 0, v[16:17]
	flat_load_ushort v16, v[16:17]
.LBB2500_29:
	s_or_b64 exec, exec, s[2:3]
	v_or_b32_e32 v18, 0x1600, v0
	v_cmp_gt_u32_e32 vcc, s4, v18
                                        ; implicit-def: $vgpr17
	s_and_saveexec_b64 s[2:3], vcc
	s_cbranch_execz .LBB2500_31
; %bb.30:
	v_lshlrev_b32_e32 v18, 1, v18
	v_mov_b32_e32 v19, 0
	v_lshl_add_u64 v[18:19], v[6:7], 0, v[18:19]
	flat_load_ushort v17, v[18:19]
.LBB2500_31:
	s_or_b64 exec, exec, s[2:3]
	v_or_b32_e32 v19, 0x1800, v0
	v_cmp_gt_u32_e32 vcc, s4, v19
                                        ; implicit-def: $vgpr18
	s_and_saveexec_b64 s[2:3], vcc
	s_cbranch_execz .LBB2500_33
; %bb.32:
	v_lshlrev_b32_e32 v18, 1, v19
	v_mov_b32_e32 v19, 0
	v_lshl_add_u64 v[18:19], v[6:7], 0, v[18:19]
	flat_load_ushort v18, v[18:19]
.LBB2500_33:
	s_or_b64 exec, exec, s[2:3]
	v_or_b32_e32 v20, 0x1a00, v0
	v_cmp_gt_u32_e32 vcc, s4, v20
                                        ; implicit-def: $vgpr19
	s_and_saveexec_b64 s[2:3], vcc
	s_cbranch_execz .LBB2500_35
; %bb.34:
	v_lshlrev_b32_e32 v20, 1, v20
	v_mov_b32_e32 v21, 0
	v_lshl_add_u64 v[20:21], v[6:7], 0, v[20:21]
	flat_load_ushort v19, v[20:21]
.LBB2500_35:
	s_or_b64 exec, exec, s[2:3]
	v_or_b32_e32 v21, 0x1c00, v0
	v_cmp_gt_u32_e32 vcc, s4, v21
                                        ; implicit-def: $vgpr20
	s_and_saveexec_b64 s[2:3], vcc
	s_cbranch_execz .LBB2500_37
; %bb.36:
	v_lshlrev_b32_e32 v20, 1, v21
	v_mov_b32_e32 v21, 0
	v_lshl_add_u64 v[20:21], v[6:7], 0, v[20:21]
	flat_load_ushort v20, v[20:21]
.LBB2500_37:
	s_or_b64 exec, exec, s[2:3]
	v_or_b32_e32 v22, 0x1e00, v0
	v_cmp_gt_u32_e32 vcc, s4, v22
                                        ; implicit-def: $vgpr21
	s_and_saveexec_b64 s[2:3], vcc
	s_cbranch_execz .LBB2500_39
; %bb.38:
	v_lshlrev_b32_e32 v22, 1, v22
	v_mov_b32_e32 v23, 0
	v_lshl_add_u64 v[22:23], v[6:7], 0, v[22:23]
	flat_load_ushort v21, v[22:23]
.LBB2500_39:
	s_or_b64 exec, exec, s[2:3]
	v_or_b32_e32 v23, 0x2000, v0
	v_cmp_gt_u32_e32 vcc, s4, v23
                                        ; implicit-def: $vgpr22
	s_and_saveexec_b64 s[2:3], vcc
	s_cbranch_execz .LBB2500_41
; %bb.40:
	v_lshlrev_b32_e32 v22, 1, v23
	v_mov_b32_e32 v23, 0
	v_lshl_add_u64 v[22:23], v[6:7], 0, v[22:23]
	flat_load_ushort v22, v[22:23]
.LBB2500_41:
	s_or_b64 exec, exec, s[2:3]
	v_or_b32_e32 v24, 0x2200, v0
	v_cmp_gt_u32_e32 vcc, s4, v24
                                        ; implicit-def: $vgpr23
	s_and_saveexec_b64 s[2:3], vcc
	s_cbranch_execz .LBB2500_43
; %bb.42:
	v_lshlrev_b32_e32 v24, 1, v24
	v_mov_b32_e32 v25, 0
	v_lshl_add_u64 v[24:25], v[6:7], 0, v[24:25]
	flat_load_ushort v23, v[24:25]
.LBB2500_43:
	s_or_b64 exec, exec, s[2:3]
	v_or_b32_e32 v25, 0x2400, v0
	v_cmp_gt_u32_e32 vcc, s4, v25
                                        ; implicit-def: $vgpr24
	s_and_saveexec_b64 s[2:3], vcc
	s_cbranch_execz .LBB2500_45
; %bb.44:
	v_lshlrev_b32_e32 v24, 1, v25
	v_mov_b32_e32 v25, 0
	v_lshl_add_u64 v[24:25], v[6:7], 0, v[24:25]
	flat_load_ushort v24, v[24:25]
.LBB2500_45:
	s_or_b64 exec, exec, s[2:3]
	v_or_b32_e32 v26, 0x2600, v0
	v_cmp_gt_u32_e32 vcc, s4, v26
                                        ; implicit-def: $vgpr25
	s_and_saveexec_b64 s[2:3], vcc
	s_cbranch_execz .LBB2500_47
; %bb.46:
	v_lshlrev_b32_e32 v26, 1, v26
	v_mov_b32_e32 v27, 0
	v_lshl_add_u64 v[26:27], v[6:7], 0, v[26:27]
	flat_load_ushort v25, v[26:27]
.LBB2500_47:
	s_or_b64 exec, exec, s[2:3]
	v_or_b32_e32 v27, 0x2800, v0
	v_cmp_gt_u32_e32 vcc, s4, v27
                                        ; implicit-def: $vgpr26
	s_and_saveexec_b64 s[2:3], vcc
	s_cbranch_execz .LBB2500_49
; %bb.48:
	v_lshlrev_b32_e32 v26, 1, v27
	v_mov_b32_e32 v27, 0
	v_lshl_add_u64 v[26:27], v[6:7], 0, v[26:27]
	flat_load_ushort v26, v[26:27]
.LBB2500_49:
	s_or_b64 exec, exec, s[2:3]
	v_or_b32_e32 v28, 0x2a00, v0
	v_cmp_gt_u32_e32 vcc, s4, v28
                                        ; implicit-def: $vgpr27
	s_and_saveexec_b64 s[2:3], vcc
	s_cbranch_execz .LBB2500_51
; %bb.50:
	v_lshlrev_b32_e32 v28, 1, v28
	v_mov_b32_e32 v29, 0
	v_lshl_add_u64 v[28:29], v[6:7], 0, v[28:29]
	flat_load_ushort v27, v[28:29]
.LBB2500_51:
	s_or_b64 exec, exec, s[2:3]
	v_or_b32_e32 v29, 0x2c00, v0
	v_cmp_gt_u32_e32 vcc, s4, v29
                                        ; implicit-def: $vgpr28
	s_and_saveexec_b64 s[2:3], vcc
	s_cbranch_execz .LBB2500_53
; %bb.52:
	v_lshlrev_b32_e32 v28, 1, v29
	v_mov_b32_e32 v29, 0
	v_lshl_add_u64 v[28:29], v[6:7], 0, v[28:29]
	flat_load_ushort v28, v[28:29]
.LBB2500_53:
	s_or_b64 exec, exec, s[2:3]
	v_or_b32_e32 v30, 0x2e00, v0
	v_cmp_gt_u32_e32 vcc, s4, v30
                                        ; implicit-def: $vgpr29
	s_and_saveexec_b64 s[2:3], vcc
	s_cbranch_execz .LBB2500_55
; %bb.54:
	v_lshlrev_b32_e32 v30, 1, v30
	v_mov_b32_e32 v31, 0
	v_lshl_add_u64 v[30:31], v[6:7], 0, v[30:31]
	flat_load_ushort v29, v[30:31]
.LBB2500_55:
	s_or_b64 exec, exec, s[2:3]
	v_or_b32_e32 v31, 0x3000, v0
	v_cmp_gt_u32_e32 vcc, s4, v31
                                        ; implicit-def: $vgpr30
	s_and_saveexec_b64 s[2:3], vcc
	s_cbranch_execz .LBB2500_57
; %bb.56:
	v_lshlrev_b32_e32 v30, 1, v31
	v_mov_b32_e32 v31, 0
	v_lshl_add_u64 v[30:31], v[6:7], 0, v[30:31]
	flat_load_ushort v30, v[30:31]
.LBB2500_57:
	s_or_b64 exec, exec, s[2:3]
	v_or_b32_e32 v32, 0x3200, v0
	v_cmp_gt_u32_e32 vcc, s4, v32
                                        ; implicit-def: $vgpr31
	s_and_saveexec_b64 s[2:3], vcc
	s_cbranch_execz .LBB2500_59
; %bb.58:
	v_lshlrev_b32_e32 v32, 1, v32
	v_mov_b32_e32 v33, 0
	v_lshl_add_u64 v[32:33], v[6:7], 0, v[32:33]
	flat_load_ushort v31, v[32:33]
.LBB2500_59:
	s_or_b64 exec, exec, s[2:3]
	v_or_b32_e32 v33, 0x3400, v0
	v_cmp_gt_u32_e32 vcc, s4, v33
                                        ; implicit-def: $vgpr32
	s_and_saveexec_b64 s[2:3], vcc
	s_cbranch_execz .LBB2500_61
; %bb.60:
	v_lshlrev_b32_e32 v32, 1, v33
	v_mov_b32_e32 v33, 0
	v_lshl_add_u64 v[32:33], v[6:7], 0, v[32:33]
	flat_load_ushort v32, v[32:33]
.LBB2500_61:
	s_or_b64 exec, exec, s[2:3]
	v_or_b32_e32 v34, 0x3600, v0
	v_cmp_gt_u32_e32 vcc, s4, v34
                                        ; implicit-def: $vgpr33
	s_and_saveexec_b64 s[2:3], vcc
	s_cbranch_execz .LBB2500_63
; %bb.62:
	v_lshlrev_b32_e32 v34, 1, v34
	v_mov_b32_e32 v35, 0
	v_lshl_add_u64 v[34:35], v[6:7], 0, v[34:35]
	flat_load_ushort v33, v[34:35]
.LBB2500_63:
	s_or_b64 exec, exec, s[2:3]
	v_or_b32_e32 v35, 0x3800, v0
	v_cmp_gt_u32_e32 vcc, s4, v35
                                        ; implicit-def: $vgpr34
	s_and_saveexec_b64 s[2:3], vcc
	s_cbranch_execz .LBB2500_65
; %bb.64:
	v_lshlrev_b32_e32 v34, 1, v35
	v_mov_b32_e32 v35, 0
	v_lshl_add_u64 v[34:35], v[6:7], 0, v[34:35]
	flat_load_ushort v34, v[34:35]
.LBB2500_65:
	s_or_b64 exec, exec, s[2:3]
	v_or_b32_e32 v36, 0x3a00, v0
	v_cmp_gt_u32_e32 vcc, s4, v36
                                        ; implicit-def: $vgpr35
	s_and_saveexec_b64 s[2:3], vcc
	s_cbranch_execz .LBB2500_67
; %bb.66:
	v_lshlrev_b32_e32 v36, 1, v36
	v_mov_b32_e32 v37, 0
	v_lshl_add_u64 v[6:7], v[6:7], 0, v[36:37]
	flat_load_ushort v35, v[6:7]
.LBB2500_67:
	s_or_b64 exec, exec, s[2:3]
	s_waitcnt vmcnt(0) lgkmcnt(0)
	ds_write_b16 v4, v1
	ds_write_b16 v4, v8 offset:1024
	ds_write_b16 v4, v9 offset:2048
	;; [unrolled: 1-line block ×29, first 2 shown]
	s_waitcnt lgkmcnt(0)
	s_barrier
.LBB2500_68:
	v_mul_u32_u24_e32 v41, 30, v0
	v_lshlrev_b32_e32 v10, 1, v41
	ds_read_b32 v28, v10 offset:56
	ds_read2_b32 v[4:5], v10 offset0:12 offset1:13
	ds_read2_b32 v[6:7], v10 offset0:10 offset1:11
	;; [unrolled: 1-line block ×3, first 2 shown]
	ds_read2_b32 v[16:17], v10 offset1:1
	ds_read2_b32 v[14:15], v10 offset0:2 offset1:3
	ds_read2_b32 v[12:13], v10 offset0:4 offset1:5
	;; [unrolled: 1-line block ×3, first 2 shown]
	s_waitcnt lgkmcnt(7)
	v_lshrrev_b32_e32 v1, 16, v28
	s_waitcnt lgkmcnt(6)
	v_lshrrev_b32_e32 v30, 16, v4
	v_lshrrev_b32_e32 v29, 16, v5
	s_waitcnt lgkmcnt(5)
	v_lshrrev_b32_e32 v32, 16, v6
	;; [unrolled: 3-line block ×6, first 2 shown]
	v_lshrrev_b32_e32 v35, 16, v11
	v_lshrrev_b32_e32 v34, 16, v8
	;; [unrolled: 1-line block ×3, first 2 shown]
	s_andn2_b64 vcc, exec, s[0:1]
	v_xor_b32_e32 v93, -1, v16
	v_xor_b32_e32 v92, -1, v43
	;; [unrolled: 1-line block ×30, first 2 shown]
	s_barrier
	s_cbranch_vccnz .LBB2500_70
; %bb.69:
	v_and_b32_e32 v73, 1, v93
	v_and_b32_e32 v72, 1, v92
	;; [unrolled: 1-line block ×30, first 2 shown]
	s_cbranch_execz .LBB2500_71
	s_branch .LBB2500_72
.LBB2500_70:
                                        ; implicit-def: $vgpr73
                                        ; implicit-def: $vgpr72
                                        ; implicit-def: $vgpr71
                                        ; implicit-def: $vgpr70
                                        ; implicit-def: $vgpr69
                                        ; implicit-def: $vgpr68
                                        ; implicit-def: $vgpr67
                                        ; implicit-def: $vgpr66
                                        ; implicit-def: $vgpr65
                                        ; implicit-def: $vgpr64
                                        ; implicit-def: $vgpr63
                                        ; implicit-def: $vgpr62
                                        ; implicit-def: $vgpr61
                                        ; implicit-def: $vgpr60
                                        ; implicit-def: $vgpr59
                                        ; implicit-def: $vgpr58
                                        ; implicit-def: $vgpr57
                                        ; implicit-def: $vgpr56
                                        ; implicit-def: $vgpr55
                                        ; implicit-def: $vgpr54
                                        ; implicit-def: $vgpr53
                                        ; implicit-def: $vgpr52
                                        ; implicit-def: $vgpr51
                                        ; implicit-def: $vgpr50
                                        ; implicit-def: $vgpr49
                                        ; implicit-def: $vgpr48
                                        ; implicit-def: $vgpr47
                                        ; implicit-def: $vgpr46
                                        ; implicit-def: $vgpr44
                                        ; implicit-def: $vgpr45
.LBB2500_71:
	v_or_b32_e32 v53, 1, v41
	v_cmp_gt_u32_e32 vcc, s4, v41
	v_add_u32_e32 v54, 2, v41
	v_add_u32_e32 v55, 3, v41
	v_cndmask_b32_e64 v63, 0, 1, vcc
	v_cmp_gt_u32_e32 vcc, s4, v53
	v_add_u32_e32 v56, 4, v41
	v_add_u32_e32 v57, 5, v41
	v_cndmask_b32_e64 v53, 0, 1, vcc
	v_cmp_gt_u32_e32 vcc, s4, v54
	v_and_b32_e32 v72, v53, v92
	v_add_u32_e32 v58, 6, v41
	v_cndmask_b32_e64 v53, 0, 1, vcc
	v_cmp_gt_u32_e32 vcc, s4, v55
	v_and_b32_e32 v71, v53, v91
	;; [unrolled: 4-line block ×9, first 2 shown]
	v_and_b32_e32 v73, v63, v93
	v_cndmask_b32_e64 v53, 0, 1, vcc
	v_cmp_gt_u32_e32 vcc, s4, v94
	v_and_b32_e32 v63, v53, v83
	v_add_u32_e32 v97, 14, v41
	v_cndmask_b32_e64 v53, 0, 1, vcc
	v_cmp_gt_u32_e32 vcc, s4, v95
	v_and_b32_e32 v62, v53, v82
	v_add_u32_e32 v98, 15, v41
	;; [unrolled: 4-line block ×16, first 2 shown]
	v_cndmask_b32_e64 v22, 0, 1, vcc
	v_cmp_gt_u32_e32 vcc, s4, v46
	v_and_b32_e32 v47, v22, v21
	s_nop 0
	v_cndmask_b32_e64 v21, 0, 1, vcc
	v_cmp_gt_u32_e32 vcc, s4, v44
	v_and_b32_e32 v46, v21, v20
	s_nop 0
	;; [unrolled: 4-line block ×3, first 2 shown]
	v_cndmask_b32_e64 v19, 0, 1, vcc
	v_and_b32_e32 v45, v19, v18
.LBB2500_72:
	v_and_b32_e32 v100, 0xff, v47
	v_and_b32_e32 v101, 0xff, v46
	v_add_u32_sdwa v18, v44, v45 dst_sel:DWORD dst_unused:UNUSED_PAD src0_sel:BYTE_0 src1_sel:BYTE_0
	v_and_b32_e32 v98, 0xff, v49
	v_and_b32_e32 v99, 0xff, v48
	v_add3_u32 v18, v18, v101, v100
	v_and_b32_e32 v96, 0xff, v51
	v_and_b32_e32 v97, 0xff, v50
	v_add3_u32 v18, v18, v99, v98
	;; [unrolled: 3-line block ×13, first 2 shown]
	v_add3_u32 v104, v18, v75, v74
	v_mbcnt_lo_u32_b32 v18, -1, 0
	v_mbcnt_hi_u32_b32 v102, -1, v18
	v_and_b32_e32 v18, 15, v102
	v_cmp_eq_u32_e64 s[14:15], 0, v18
	v_cmp_lt_u32_e64 s[12:13], 1, v18
	v_cmp_lt_u32_e64 s[10:11], 3, v18
	;; [unrolled: 1-line block ×3, first 2 shown]
	v_and_b32_e32 v18, 16, v102
	v_cmp_eq_u32_e64 s[6:7], 0, v18
	v_or_b32_e32 v18, 63, v0
	s_cmp_lg_u32 s30, 0
	v_cmp_lt_u32_e64 s[2:3], 31, v102
	v_lshrrev_b32_e32 v103, 6, v0
	v_cmp_eq_u32_e64 s[4:5], v18, v0
	s_cbranch_scc0 .LBB2500_103
; %bb.73:
	v_mov_b32_dpp v18, v104 row_shr:1 row_mask:0xf bank_mask:0xf
	v_cndmask_b32_e64 v18, v18, 0, s[14:15]
	v_add_u32_e32 v18, v18, v104
	s_nop 1
	v_mov_b32_dpp v19, v18 row_shr:2 row_mask:0xf bank_mask:0xf
	v_cndmask_b32_e64 v19, 0, v19, s[12:13]
	v_add_u32_e32 v18, v18, v19
	s_nop 1
	;; [unrolled: 4-line block ×4, first 2 shown]
	v_mov_b32_dpp v19, v18 row_bcast:15 row_mask:0xf bank_mask:0xf
	v_cndmask_b32_e64 v19, v19, 0, s[6:7]
	v_add_u32_e32 v18, v18, v19
	s_nop 1
	v_mov_b32_dpp v19, v18 row_bcast:31 row_mask:0xf bank_mask:0xf
	v_cndmask_b32_e64 v19, 0, v19, s[2:3]
	v_add_u32_e32 v18, v18, v19
	s_and_saveexec_b64 s[0:1], s[4:5]
	s_cbranch_execz .LBB2500_75
; %bb.74:
	v_lshlrev_b32_e32 v19, 2, v103
	ds_write_b32 v19, v18
.LBB2500_75:
	s_or_b64 exec, exec, s[0:1]
	v_cmp_gt_u32_e32 vcc, 8, v0
	s_waitcnt lgkmcnt(0)
	s_barrier
	s_and_saveexec_b64 s[0:1], vcc
	s_cbranch_execz .LBB2500_77
; %bb.76:
	v_lshlrev_b32_e32 v19, 2, v0
	ds_read_b32 v20, v19
	v_and_b32_e32 v21, 7, v102
	v_cmp_ne_u32_e32 vcc, 0, v21
	s_waitcnt lgkmcnt(0)
	v_mov_b32_dpp v22, v20 row_shr:1 row_mask:0xf bank_mask:0xf
	v_cndmask_b32_e32 v22, 0, v22, vcc
	v_add_u32_e32 v20, v22, v20
	v_cmp_lt_u32_e32 vcc, 1, v21
	s_nop 0
	v_mov_b32_dpp v22, v20 row_shr:2 row_mask:0xf bank_mask:0xf
	v_cndmask_b32_e32 v22, 0, v22, vcc
	v_add_u32_e32 v20, v20, v22
	v_cmp_lt_u32_e32 vcc, 3, v21
	s_nop 0
	v_mov_b32_dpp v22, v20 row_shr:4 row_mask:0xf bank_mask:0xf
	v_cndmask_b32_e32 v21, 0, v22, vcc
	v_add_u32_e32 v20, v20, v21
	ds_write_b32 v19, v20
.LBB2500_77:
	s_or_b64 exec, exec, s[0:1]
	v_cmp_gt_u32_e32 vcc, 64, v0
	v_cmp_lt_u32_e64 s[0:1], 63, v0
	s_waitcnt lgkmcnt(0)
	s_barrier
	s_waitcnt lgkmcnt(0)
                                        ; implicit-def: $vgpr105
	s_and_saveexec_b64 s[16:17], s[0:1]
	s_cbranch_execz .LBB2500_79
; %bb.78:
	v_lshl_add_u32 v19, v103, 2, -4
	ds_read_b32 v105, v19
	s_waitcnt lgkmcnt(0)
	v_add_u32_e32 v18, v105, v18
.LBB2500_79:
	s_or_b64 exec, exec, s[16:17]
	v_add_u32_e32 v19, -1, v102
	v_and_b32_e32 v20, 64, v102
	v_cmp_lt_i32_e64 s[0:1], v19, v20
	v_cmp_eq_u32_e64 s[16:17], 0, v102
	s_nop 0
	v_cndmask_b32_e64 v19, v19, v102, s[0:1]
	v_lshlrev_b32_e32 v19, 2, v19
	ds_bpermute_b32 v106, v19, v18
	s_and_saveexec_b64 s[0:1], vcc
	s_cbranch_execz .LBB2500_102
; %bb.80:
	v_mov_b32_e32 v27, 0
	ds_read_b32 v18, v27 offset:28
	s_and_saveexec_b64 s[26:27], s[16:17]
	s_cbranch_execz .LBB2500_82
; %bb.81:
	s_add_i32 s28, s30, 64
	s_mov_b32 s29, 0
	s_lshl_b64 s[28:29], s[28:29], 3
	s_add_u32 s28, s24, s28
	v_mov_b32_e32 v19, 1
	s_addc_u32 s29, s25, s29
	s_waitcnt lgkmcnt(0)
	global_store_dwordx2 v27, v[18:19], s[28:29] sc1
.LBB2500_82:
	s_or_b64 exec, exec, s[26:27]
	v_xad_u32 v20, v102, -1, s30
	v_add_u32_e32 v26, 64, v20
	v_lshl_add_u64 v[22:23], v[26:27], 3, s[24:25]
	global_load_dwordx2 v[24:25], v[22:23], off sc1
	s_waitcnt vmcnt(0)
	v_cmp_eq_u16_sdwa s[28:29], v25, v27 src0_sel:BYTE_0 src1_sel:DWORD
	s_and_saveexec_b64 s[26:27], s[28:29]
	s_cbranch_execz .LBB2500_88
; %bb.83:
	s_mov_b32 s31, 1
	s_mov_b64 s[28:29], 0
	v_mov_b32_e32 v19, 0
.LBB2500_84:                            ; =>This Loop Header: Depth=1
                                        ;     Child Loop BB2500_85 Depth 2
	s_max_u32 s33, s31, 1
.LBB2500_85:                            ;   Parent Loop BB2500_84 Depth=1
                                        ; =>  This Inner Loop Header: Depth=2
	s_add_i32 s33, s33, -1
	s_cmp_eq_u32 s33, 0
	s_sleep 1
	s_cbranch_scc0 .LBB2500_85
; %bb.86:                               ;   in Loop: Header=BB2500_84 Depth=1
	global_load_dwordx2 v[24:25], v[22:23], off sc1
	s_cmp_lt_u32 s31, 32
	s_cselect_b64 s[34:35], -1, 0
	s_cmp_lg_u64 s[34:35], 0
	s_addc_u32 s31, s31, 0
	s_waitcnt vmcnt(0)
	v_cmp_ne_u16_sdwa s[34:35], v25, v19 src0_sel:BYTE_0 src1_sel:DWORD
	s_or_b64 s[28:29], s[34:35], s[28:29]
	s_andn2_b64 exec, exec, s[28:29]
	s_cbranch_execnz .LBB2500_84
; %bb.87:
	s_or_b64 exec, exec, s[28:29]
.LBB2500_88:
	s_or_b64 exec, exec, s[26:27]
	v_and_b32_e32 v108, 63, v102
	v_mov_b32_e32 v107, 2
	v_cmp_ne_u32_e32 vcc, 63, v108
	v_cmp_eq_u16_sdwa s[26:27], v25, v107 src0_sel:BYTE_0 src1_sel:DWORD
	v_lshlrev_b64 v[22:23], v102, -1
	v_addc_co_u32_e32 v26, vcc, 0, v102, vcc
	v_and_b32_e32 v19, s27, v23
	v_lshlrev_b32_e32 v109, 2, v26
	v_or_b32_e32 v19, 0x80000000, v19
	ds_bpermute_b32 v26, v109, v24
	v_and_b32_e32 v21, s26, v22
	v_ffbl_b32_e32 v19, v19
	v_add_u32_e32 v19, 32, v19
	v_ffbl_b32_e32 v21, v21
	v_min_u32_e32 v19, v21, v19
	v_cmp_lt_u32_e32 vcc, v108, v19
	v_add_u32_e32 v111, 2, v108
	v_add_u32_e32 v113, 4, v108
	s_waitcnt lgkmcnt(0)
	v_cndmask_b32_e32 v21, 0, v26, vcc
	v_cmp_gt_u32_e32 vcc, 62, v108
	v_add_u32_e32 v21, v21, v24
	v_add_u32_e32 v115, 8, v108
	v_cndmask_b32_e64 v24, 0, 1, vcc
	v_lshlrev_b32_e32 v24, 1, v24
	v_add_lshl_u32 v110, v24, v102, 2
	ds_bpermute_b32 v24, v110, v21
	v_cmp_le_u32_e32 vcc, v111, v19
	v_add_u32_e32 v117, 16, v108
	v_add_u32_e32 v119, 32, v108
	s_waitcnt lgkmcnt(0)
	v_cndmask_b32_e32 v24, 0, v24, vcc
	v_cmp_gt_u32_e32 vcc, 60, v108
	v_add_u32_e32 v21, v21, v24
	s_nop 0
	v_cndmask_b32_e64 v24, 0, 1, vcc
	v_lshlrev_b32_e32 v24, 2, v24
	v_add_lshl_u32 v112, v24, v102, 2
	ds_bpermute_b32 v24, v112, v21
	v_cmp_le_u32_e32 vcc, v113, v19
	s_waitcnt lgkmcnt(0)
	s_nop 0
	v_cndmask_b32_e32 v24, 0, v24, vcc
	v_cmp_gt_u32_e32 vcc, 56, v108
	v_add_u32_e32 v21, v21, v24
	s_nop 0
	v_cndmask_b32_e64 v24, 0, 1, vcc
	v_lshlrev_b32_e32 v24, 3, v24
	v_add_lshl_u32 v114, v24, v102, 2
	ds_bpermute_b32 v24, v114, v21
	v_cmp_le_u32_e32 vcc, v115, v19
	s_waitcnt lgkmcnt(0)
	s_nop 0
	v_cndmask_b32_e32 v24, 0, v24, vcc
	v_cmp_gt_u32_e32 vcc, 48, v108
	v_add_u32_e32 v21, v21, v24
	s_nop 0
	v_cndmask_b32_e64 v24, 0, 1, vcc
	v_lshlrev_b32_e32 v24, 4, v24
	v_add_lshl_u32 v116, v24, v102, 2
	ds_bpermute_b32 v24, v116, v21
	v_cmp_le_u32_e32 vcc, v117, v19
	s_waitcnt lgkmcnt(0)
	s_nop 0
	v_cndmask_b32_e32 v24, 0, v24, vcc
	v_cmp_gt_u32_e32 vcc, 32, v108
	v_add_u32_e32 v21, v21, v24
	s_nop 0
	v_cndmask_b32_e64 v24, 0, 1, vcc
	v_lshlrev_b32_e32 v24, 5, v24
	v_add_lshl_u32 v118, v24, v102, 2
	ds_bpermute_b32 v24, v118, v21
	v_cmp_le_u32_e32 vcc, v119, v19
	s_waitcnt lgkmcnt(0)
	s_nop 0
	v_cndmask_b32_e32 v19, 0, v24, vcc
	v_add_u32_e32 v24, v21, v19
	v_mov_b32_e32 v21, 0
	s_branch .LBB2500_90
.LBB2500_89:                            ;   in Loop: Header=BB2500_90 Depth=1
	s_or_b64 exec, exec, s[26:27]
	v_cmp_eq_u16_sdwa s[26:27], v25, v107 src0_sel:BYTE_0 src1_sel:DWORD
	ds_bpermute_b32 v120, v109, v24
	v_subrev_u32_e32 v20, 64, v20
	v_and_b32_e32 v26, s27, v23
	v_or_b32_e32 v26, 0x80000000, v26
	v_and_b32_e32 v27, s26, v22
	v_ffbl_b32_e32 v26, v26
	v_add_u32_e32 v26, 32, v26
	v_ffbl_b32_e32 v27, v27
	v_min_u32_e32 v26, v27, v26
	v_cmp_lt_u32_e32 vcc, v108, v26
	s_waitcnt lgkmcnt(0)
	s_nop 0
	v_cndmask_b32_e32 v27, 0, v120, vcc
	v_add_u32_e32 v24, v27, v24
	ds_bpermute_b32 v27, v110, v24
	v_cmp_le_u32_e32 vcc, v111, v26
	s_waitcnt lgkmcnt(0)
	s_nop 0
	v_cndmask_b32_e32 v27, 0, v27, vcc
	v_add_u32_e32 v24, v24, v27
	ds_bpermute_b32 v27, v112, v24
	v_cmp_le_u32_e32 vcc, v113, v26
	;; [unrolled: 6-line block ×5, first 2 shown]
	s_waitcnt lgkmcnt(0)
	s_nop 0
	v_cndmask_b32_e32 v26, 0, v27, vcc
	v_add3_u32 v24, v26, v19, v24
.LBB2500_90:                            ; =>This Loop Header: Depth=1
                                        ;     Child Loop BB2500_93 Depth 2
                                        ;       Child Loop BB2500_94 Depth 3
	v_cmp_ne_u16_sdwa s[26:27], v25, v107 src0_sel:BYTE_0 src1_sel:DWORD
	s_nop 1
	v_cndmask_b32_e64 v19, 0, 1, s[26:27]
	;;#ASMSTART
	;;#ASMEND
	s_nop 0
	v_cmp_ne_u32_e32 vcc, 0, v19
	s_cmp_lg_u64 vcc, exec
	v_mov_b32_e32 v19, v24
	s_cbranch_scc1 .LBB2500_97
; %bb.91:                               ;   in Loop: Header=BB2500_90 Depth=1
	v_lshl_add_u64 v[26:27], v[20:21], 3, s[24:25]
	global_load_dwordx2 v[24:25], v[26:27], off sc1
	s_waitcnt vmcnt(0)
	v_cmp_eq_u16_sdwa s[28:29], v25, v21 src0_sel:BYTE_0 src1_sel:DWORD
	s_and_saveexec_b64 s[26:27], s[28:29]
	s_cbranch_execz .LBB2500_89
; %bb.92:                               ;   in Loop: Header=BB2500_90 Depth=1
	s_mov_b32 s31, 1
	s_mov_b64 s[28:29], 0
.LBB2500_93:                            ;   Parent Loop BB2500_90 Depth=1
                                        ; =>  This Loop Header: Depth=2
                                        ;       Child Loop BB2500_94 Depth 3
	s_max_u32 s33, s31, 1
.LBB2500_94:                            ;   Parent Loop BB2500_90 Depth=1
                                        ;     Parent Loop BB2500_93 Depth=2
                                        ; =>    This Inner Loop Header: Depth=3
	s_add_i32 s33, s33, -1
	s_cmp_eq_u32 s33, 0
	s_sleep 1
	s_cbranch_scc0 .LBB2500_94
; %bb.95:                               ;   in Loop: Header=BB2500_93 Depth=2
	global_load_dwordx2 v[24:25], v[26:27], off sc1
	s_cmp_lt_u32 s31, 32
	s_cselect_b64 s[34:35], -1, 0
	s_cmp_lg_u64 s[34:35], 0
	s_addc_u32 s31, s31, 0
	s_waitcnt vmcnt(0)
	v_cmp_ne_u16_sdwa s[34:35], v25, v21 src0_sel:BYTE_0 src1_sel:DWORD
	s_or_b64 s[28:29], s[34:35], s[28:29]
	s_andn2_b64 exec, exec, s[28:29]
	s_cbranch_execnz .LBB2500_93
; %bb.96:                               ;   in Loop: Header=BB2500_90 Depth=1
	s_or_b64 exec, exec, s[28:29]
	s_branch .LBB2500_89
.LBB2500_97:                            ;   in Loop: Header=BB2500_90 Depth=1
                                        ; implicit-def: $vgpr24
                                        ; implicit-def: $vgpr25
	s_cbranch_execz .LBB2500_90
; %bb.98:
	s_and_saveexec_b64 s[26:27], s[16:17]
	s_cbranch_execz .LBB2500_100
; %bb.99:
	s_add_i32 s28, s30, 64
	s_mov_b32 s29, 0
	s_lshl_b64 s[28:29], s[28:29], 3
	s_add_u32 s28, s24, s28
	v_add_u32_e32 v20, v19, v18
	v_mov_b32_e32 v21, 2
	s_addc_u32 s29, s25, s29
	v_mov_b32_e32 v22, 0
	global_store_dwordx2 v22, v[20:21], s[28:29] sc1
	ds_write_b64 v22, v[18:19] offset:30720
.LBB2500_100:
	s_or_b64 exec, exec, s[26:27]
	s_and_b64 exec, exec, s[18:19]
	s_cbranch_execz .LBB2500_102
; %bb.101:
	v_mov_b32_e32 v18, 0
	ds_write_b32 v18, v19 offset:28
.LBB2500_102:
	s_or_b64 exec, exec, s[0:1]
	v_mov_b32_e32 v18, 0
	s_waitcnt lgkmcnt(0)
	s_barrier
	ds_read_b32 v20, v18 offset:28
	s_waitcnt lgkmcnt(0)
	s_barrier
	ds_read_b64 v[18:19], v18 offset:30720
	v_cndmask_b32_e64 v21, v106, v105, s[16:17]
	v_cndmask_b32_e64 v21, v21, 0, s[18:19]
	v_add_u32_e32 v20, v20, v21
	s_branch .LBB2500_113
.LBB2500_103:
                                        ; implicit-def: $vgpr19
                                        ; implicit-def: $vgpr20
	s_cbranch_execz .LBB2500_113
; %bb.104:
	s_waitcnt lgkmcnt(0)
	v_mov_b32_dpp v18, v104 row_shr:1 row_mask:0xf bank_mask:0xf
	v_cndmask_b32_e64 v18, v18, 0, s[14:15]
	v_add_u32_e32 v18, v18, v104
	s_nop 1
	v_mov_b32_dpp v19, v18 row_shr:2 row_mask:0xf bank_mask:0xf
	v_cndmask_b32_e64 v19, 0, v19, s[12:13]
	v_add_u32_e32 v18, v18, v19
	s_nop 1
	;; [unrolled: 4-line block ×4, first 2 shown]
	v_mov_b32_dpp v19, v18 row_bcast:15 row_mask:0xf bank_mask:0xf
	v_cndmask_b32_e64 v19, v19, 0, s[6:7]
	v_add_u32_e32 v18, v18, v19
	s_nop 1
	v_mov_b32_dpp v19, v18 row_bcast:31 row_mask:0xf bank_mask:0xf
	v_cndmask_b32_e64 v19, 0, v19, s[2:3]
	v_add_u32_e32 v18, v18, v19
	s_and_saveexec_b64 s[0:1], s[4:5]
	s_cbranch_execz .LBB2500_106
; %bb.105:
	v_lshlrev_b32_e32 v19, 2, v103
	ds_write_b32 v19, v18
.LBB2500_106:
	s_or_b64 exec, exec, s[0:1]
	v_cmp_gt_u32_e32 vcc, 8, v0
	s_waitcnt lgkmcnt(0)
	s_barrier
	s_and_saveexec_b64 s[0:1], vcc
	s_cbranch_execz .LBB2500_108
; %bb.107:
	v_lshlrev_b32_e32 v19, 2, v0
	ds_read_b32 v20, v19
	v_and_b32_e32 v21, 7, v102
	v_cmp_ne_u32_e32 vcc, 0, v21
	s_waitcnt lgkmcnt(0)
	v_mov_b32_dpp v22, v20 row_shr:1 row_mask:0xf bank_mask:0xf
	v_cndmask_b32_e32 v22, 0, v22, vcc
	v_add_u32_e32 v20, v22, v20
	v_cmp_lt_u32_e32 vcc, 1, v21
	s_nop 0
	v_mov_b32_dpp v22, v20 row_shr:2 row_mask:0xf bank_mask:0xf
	v_cndmask_b32_e32 v22, 0, v22, vcc
	v_add_u32_e32 v20, v20, v22
	v_cmp_lt_u32_e32 vcc, 3, v21
	s_nop 0
	v_mov_b32_dpp v22, v20 row_shr:4 row_mask:0xf bank_mask:0xf
	v_cndmask_b32_e32 v21, 0, v22, vcc
	v_add_u32_e32 v20, v20, v21
	ds_write_b32 v19, v20
.LBB2500_108:
	s_or_b64 exec, exec, s[0:1]
	v_cmp_lt_u32_e32 vcc, 63, v0
	v_mov_b32_e32 v19, 0
	v_mov_b32_e32 v0, 0
	s_waitcnt lgkmcnt(0)
	s_barrier
	s_and_saveexec_b64 s[0:1], vcc
	s_cbranch_execz .LBB2500_110
; %bb.109:
	v_lshl_add_u32 v0, v103, 2, -4
	ds_read_b32 v0, v0
.LBB2500_110:
	s_or_b64 exec, exec, s[0:1]
	v_add_u32_e32 v20, -1, v102
	v_and_b32_e32 v21, 64, v102
	v_cmp_lt_i32_e32 vcc, v20, v21
	s_waitcnt lgkmcnt(0)
	v_add_u32_e32 v18, v0, v18
	v_cndmask_b32_e32 v20, v20, v102, vcc
	v_lshlrev_b32_e32 v20, 2, v20
	ds_bpermute_b32 v20, v20, v18
	ds_read_b32 v18, v19 offset:28
	s_and_saveexec_b64 s[0:1], s[18:19]
	s_cbranch_execz .LBB2500_112
; %bb.111:
	v_mov_b32_e32 v21, 0
	v_mov_b32_e32 v19, 2
	s_waitcnt lgkmcnt(0)
	global_store_dwordx2 v21, v[18:19], s[24:25] offset:512 sc1
.LBB2500_112:
	s_or_b64 exec, exec, s[0:1]
	v_cmp_eq_u32_e32 vcc, 0, v102
	v_mov_b32_e32 v19, 0
	s_waitcnt lgkmcnt(0)
	v_cndmask_b32_e32 v0, v20, v0, vcc
	v_cndmask_b32_e64 v20, v0, 0, s[18:19]
	s_barrier
.LBB2500_113:
	v_add_u32_e32 v0, v20, v74
	v_add_u32_e32 v21, v0, v75
	;; [unrolled: 1-line block ×20, first 2 shown]
	s_waitcnt lgkmcnt(0)
	v_add_u32_e32 v41, v18, v41
	v_sub_u32_e32 v20, v20, v19
	v_and_b32_e32 v73, 1, v73
	v_add_u32_e32 v86, v85, v94
	v_sub_u32_e32 v94, v41, v20
	v_cmp_eq_u32_e32 vcc, 1, v73
	v_sub_u32_e32 v0, v0, v19
	v_add_u32_e32 v87, v86, v95
	v_cndmask_b32_e32 v20, v94, v20, vcc
	v_lshlrev_b32_e32 v20, 1, v20
	ds_write_b16 v20, v16
	v_sub_u32_e32 v16, v41, v0
	v_and_b32_e32 v20, 1, v72
	v_add_u32_e32 v16, 1, v16
	v_cmp_eq_u32_e32 vcc, 1, v20
	v_and_b32_e32 v20, 1, v71
	v_add_u32_e32 v88, v87, v96
	v_cndmask_b32_e32 v0, v16, v0, vcc
	v_lshlrev_b32_e32 v0, 1, v0
	ds_write_b16 v0, v43
	v_sub_u32_e32 v0, v21, v19
	v_sub_u32_e32 v16, v41, v0
	v_add_u32_e32 v16, 2, v16
	v_cmp_eq_u32_e32 vcc, 1, v20
	v_add_u32_e32 v89, v88, v97
	v_add_u32_e32 v90, v89, v98
	v_cndmask_b32_e32 v0, v16, v0, vcc
	v_lshlrev_b32_e32 v0, 1, v0
	ds_write_b16 v0, v17
	v_sub_u32_e32 v0, v22, v19
	v_sub_u32_e32 v16, v41, v0
	v_and_b32_e32 v17, 1, v70
	v_add_u32_e32 v16, 3, v16
	v_cmp_eq_u32_e32 vcc, 1, v17
	v_and_b32_e32 v17, 1, v69
	v_add_u32_e32 v91, v90, v99
	v_cndmask_b32_e32 v0, v16, v0, vcc
	v_lshlrev_b32_e32 v0, 1, v0
	ds_write_b16 v0, v42
	v_sub_u32_e32 v0, v23, v19
	v_sub_u32_e32 v16, v41, v0
	v_add_u32_e32 v16, 4, v16
	v_cmp_eq_u32_e32 vcc, 1, v17
	v_add_u32_e32 v92, v91, v100
	v_add_u32_e32 v93, v92, v101
	v_cndmask_b32_e32 v0, v16, v0, vcc
	v_lshlrev_b32_e32 v0, 1, v0
	ds_write_b16 v0, v14
	v_sub_u32_e32 v0, v24, v19
	v_sub_u32_e32 v14, v41, v0
	v_and_b32_e32 v16, 1, v68
	v_add_u32_e32 v14, 5, v14
	v_cmp_eq_u32_e32 vcc, 1, v16
	v_and_b32_e32 v16, 1, v67
	s_and_b64 s[0:1], s[18:19], s[22:23]
	v_cndmask_b32_e32 v0, v14, v0, vcc
	v_lshlrev_b32_e32 v0, 1, v0
	ds_write_b16 v0, v40
	v_sub_u32_e32 v0, v25, v19
	v_sub_u32_e32 v14, v41, v0
	v_add_u32_e32 v14, 6, v14
	v_cmp_eq_u32_e32 vcc, 1, v16
	s_nop 1
	v_cndmask_b32_e32 v0, v14, v0, vcc
	v_lshlrev_b32_e32 v0, 1, v0
	ds_write_b16 v0, v15
	v_sub_u32_e32 v0, v26, v19
	v_sub_u32_e32 v14, v41, v0
	v_and_b32_e32 v15, 1, v66
	v_add_u32_e32 v14, 7, v14
	v_cmp_eq_u32_e32 vcc, 1, v15
	v_and_b32_e32 v15, 1, v65
	s_nop 0
	v_cndmask_b32_e32 v0, v14, v0, vcc
	v_lshlrev_b32_e32 v0, 1, v0
	ds_write_b16 v0, v39
	v_sub_u32_e32 v0, v27, v19
	v_sub_u32_e32 v14, v41, v0
	v_add_u32_e32 v14, 8, v14
	v_cmp_eq_u32_e32 vcc, 1, v15
	s_nop 1
	v_cndmask_b32_e32 v0, v14, v0, vcc
	v_lshlrev_b32_e32 v0, 1, v0
	ds_write_b16 v0, v12
	v_sub_u32_e32 v0, v74, v19
	v_sub_u32_e32 v12, v41, v0
	v_and_b32_e32 v14, 1, v64
	v_add_u32_e32 v12, 9, v12
	v_cmp_eq_u32_e32 vcc, 1, v14
	v_and_b32_e32 v14, 1, v63
	s_nop 0
	;; [unrolled: 18-line block ×11, first 2 shown]
	v_cndmask_b32_e32 v0, v4, v0, vcc
	v_lshlrev_b32_e32 v0, 1, v0
	ds_write_b16 v0, v29
	v_sub_u32_e32 v0, v93, v19
	v_sub_u32_e32 v4, v41, v0
	v_add_u32_e32 v4, 28, v4
	v_cmp_eq_u32_e32 vcc, 1, v5
	v_and_b32_e32 v5, 1, v45
	s_nop 0
	v_cndmask_b32_e32 v0, v4, v0, vcc
	v_lshlrev_b32_e32 v0, 1, v0
	ds_write_b16 v0, v28
	v_sub_u32_sdwa v0, v44, v19 dst_sel:DWORD dst_unused:UNUSED_PAD src0_sel:BYTE_0 src1_sel:DWORD
	v_add_u32_e32 v0, v93, v0
	v_sub_u32_e32 v4, v41, v0
	v_add_u32_e32 v4, 29, v4
	v_cmp_eq_u32_e32 vcc, 1, v5
	s_nop 1
	v_cndmask_b32_e32 v0, v4, v0, vcc
	v_lshlrev_b32_e32 v0, 1, v0
	ds_write_b16 v0, v1
	s_waitcnt lgkmcnt(0)
	s_barrier
	s_and_saveexec_b64 s[2:3], s[0:1]
	s_cbranch_execz .LBB2500_115
; %bb.114:
	v_mov_b32_e32 v1, 0
	v_mov_b32_e32 v0, v18
	s_waitcnt vmcnt(0)
	v_lshl_add_u64 v[2:3], v[2:3], 0, v[0:1]
	v_mov_b32_e32 v0, v19
	v_lshl_add_u64 v[2:3], v[2:3], 0, v[0:1]
	global_store_dwordx2 v1, v[2:3], s[20:21]
.LBB2500_115:
	s_endpgm
	.section	.rodata,"a",@progbits
	.p2align	6, 0x0
	.amdhsa_kernel _ZN7rocprim17ROCPRIM_400000_NS6detail17trampoline_kernelINS0_14default_configENS1_25partition_config_selectorILNS1_17partition_subalgoE0EtNS0_10empty_typeEbEEZZNS1_14partition_implILS5_0ELb0ES3_jN6thrust23THRUST_200600_302600_NS6detail15normal_iteratorINSA_10device_ptrItEEEEPS6_SG_NS0_5tupleIJNSA_16discard_iteratorINSA_11use_defaultEEESK_EEENSH_IJSG_SG_EEES6_PlJ7is_evenItEEEE10hipError_tPvRmT3_T4_T5_T6_T7_T9_mT8_P12ihipStream_tbDpT10_ENKUlT_T0_E_clISt17integral_constantIbLb1EES19_EEDaS14_S15_EUlS14_E_NS1_11comp_targetILNS1_3genE5ELNS1_11target_archE942ELNS1_3gpuE9ELNS1_3repE0EEENS1_30default_config_static_selectorELNS0_4arch9wavefront6targetE1EEEvT1_
		.amdhsa_group_segment_fixed_size 30728
		.amdhsa_private_segment_fixed_size 0
		.amdhsa_kernarg_size 152
		.amdhsa_user_sgpr_count 2
		.amdhsa_user_sgpr_dispatch_ptr 0
		.amdhsa_user_sgpr_queue_ptr 0
		.amdhsa_user_sgpr_kernarg_segment_ptr 1
		.amdhsa_user_sgpr_dispatch_id 0
		.amdhsa_user_sgpr_kernarg_preload_length 0
		.amdhsa_user_sgpr_kernarg_preload_offset 0
		.amdhsa_user_sgpr_private_segment_size 0
		.amdhsa_uses_dynamic_stack 0
		.amdhsa_enable_private_segment 0
		.amdhsa_system_sgpr_workgroup_id_x 1
		.amdhsa_system_sgpr_workgroup_id_y 0
		.amdhsa_system_sgpr_workgroup_id_z 0
		.amdhsa_system_sgpr_workgroup_info 0
		.amdhsa_system_vgpr_workitem_id 0
		.amdhsa_next_free_vgpr 121
		.amdhsa_next_free_sgpr 36
		.amdhsa_accum_offset 124
		.amdhsa_reserve_vcc 1
		.amdhsa_float_round_mode_32 0
		.amdhsa_float_round_mode_16_64 0
		.amdhsa_float_denorm_mode_32 3
		.amdhsa_float_denorm_mode_16_64 3
		.amdhsa_dx10_clamp 1
		.amdhsa_ieee_mode 1
		.amdhsa_fp16_overflow 0
		.amdhsa_tg_split 0
		.amdhsa_exception_fp_ieee_invalid_op 0
		.amdhsa_exception_fp_denorm_src 0
		.amdhsa_exception_fp_ieee_div_zero 0
		.amdhsa_exception_fp_ieee_overflow 0
		.amdhsa_exception_fp_ieee_underflow 0
		.amdhsa_exception_fp_ieee_inexact 0
		.amdhsa_exception_int_div_zero 0
	.end_amdhsa_kernel
	.section	.text._ZN7rocprim17ROCPRIM_400000_NS6detail17trampoline_kernelINS0_14default_configENS1_25partition_config_selectorILNS1_17partition_subalgoE0EtNS0_10empty_typeEbEEZZNS1_14partition_implILS5_0ELb0ES3_jN6thrust23THRUST_200600_302600_NS6detail15normal_iteratorINSA_10device_ptrItEEEEPS6_SG_NS0_5tupleIJNSA_16discard_iteratorINSA_11use_defaultEEESK_EEENSH_IJSG_SG_EEES6_PlJ7is_evenItEEEE10hipError_tPvRmT3_T4_T5_T6_T7_T9_mT8_P12ihipStream_tbDpT10_ENKUlT_T0_E_clISt17integral_constantIbLb1EES19_EEDaS14_S15_EUlS14_E_NS1_11comp_targetILNS1_3genE5ELNS1_11target_archE942ELNS1_3gpuE9ELNS1_3repE0EEENS1_30default_config_static_selectorELNS0_4arch9wavefront6targetE1EEEvT1_,"axG",@progbits,_ZN7rocprim17ROCPRIM_400000_NS6detail17trampoline_kernelINS0_14default_configENS1_25partition_config_selectorILNS1_17partition_subalgoE0EtNS0_10empty_typeEbEEZZNS1_14partition_implILS5_0ELb0ES3_jN6thrust23THRUST_200600_302600_NS6detail15normal_iteratorINSA_10device_ptrItEEEEPS6_SG_NS0_5tupleIJNSA_16discard_iteratorINSA_11use_defaultEEESK_EEENSH_IJSG_SG_EEES6_PlJ7is_evenItEEEE10hipError_tPvRmT3_T4_T5_T6_T7_T9_mT8_P12ihipStream_tbDpT10_ENKUlT_T0_E_clISt17integral_constantIbLb1EES19_EEDaS14_S15_EUlS14_E_NS1_11comp_targetILNS1_3genE5ELNS1_11target_archE942ELNS1_3gpuE9ELNS1_3repE0EEENS1_30default_config_static_selectorELNS0_4arch9wavefront6targetE1EEEvT1_,comdat
.Lfunc_end2500:
	.size	_ZN7rocprim17ROCPRIM_400000_NS6detail17trampoline_kernelINS0_14default_configENS1_25partition_config_selectorILNS1_17partition_subalgoE0EtNS0_10empty_typeEbEEZZNS1_14partition_implILS5_0ELb0ES3_jN6thrust23THRUST_200600_302600_NS6detail15normal_iteratorINSA_10device_ptrItEEEEPS6_SG_NS0_5tupleIJNSA_16discard_iteratorINSA_11use_defaultEEESK_EEENSH_IJSG_SG_EEES6_PlJ7is_evenItEEEE10hipError_tPvRmT3_T4_T5_T6_T7_T9_mT8_P12ihipStream_tbDpT10_ENKUlT_T0_E_clISt17integral_constantIbLb1EES19_EEDaS14_S15_EUlS14_E_NS1_11comp_targetILNS1_3genE5ELNS1_11target_archE942ELNS1_3gpuE9ELNS1_3repE0EEENS1_30default_config_static_selectorELNS0_4arch9wavefront6targetE1EEEvT1_, .Lfunc_end2500-_ZN7rocprim17ROCPRIM_400000_NS6detail17trampoline_kernelINS0_14default_configENS1_25partition_config_selectorILNS1_17partition_subalgoE0EtNS0_10empty_typeEbEEZZNS1_14partition_implILS5_0ELb0ES3_jN6thrust23THRUST_200600_302600_NS6detail15normal_iteratorINSA_10device_ptrItEEEEPS6_SG_NS0_5tupleIJNSA_16discard_iteratorINSA_11use_defaultEEESK_EEENSH_IJSG_SG_EEES6_PlJ7is_evenItEEEE10hipError_tPvRmT3_T4_T5_T6_T7_T9_mT8_P12ihipStream_tbDpT10_ENKUlT_T0_E_clISt17integral_constantIbLb1EES19_EEDaS14_S15_EUlS14_E_NS1_11comp_targetILNS1_3genE5ELNS1_11target_archE942ELNS1_3gpuE9ELNS1_3repE0EEENS1_30default_config_static_selectorELNS0_4arch9wavefront6targetE1EEEvT1_
                                        ; -- End function
	.section	.AMDGPU.csdata,"",@progbits
; Kernel info:
; codeLenInByte = 7400
; NumSgprs: 42
; NumVgprs: 121
; NumAgprs: 0
; TotalNumVgprs: 121
; ScratchSize: 0
; MemoryBound: 0
; FloatMode: 240
; IeeeMode: 1
; LDSByteSize: 30728 bytes/workgroup (compile time only)
; SGPRBlocks: 5
; VGPRBlocks: 15
; NumSGPRsForWavesPerEU: 42
; NumVGPRsForWavesPerEU: 121
; AccumOffset: 124
; Occupancy: 4
; WaveLimiterHint : 1
; COMPUTE_PGM_RSRC2:SCRATCH_EN: 0
; COMPUTE_PGM_RSRC2:USER_SGPR: 2
; COMPUTE_PGM_RSRC2:TRAP_HANDLER: 0
; COMPUTE_PGM_RSRC2:TGID_X_EN: 1
; COMPUTE_PGM_RSRC2:TGID_Y_EN: 0
; COMPUTE_PGM_RSRC2:TGID_Z_EN: 0
; COMPUTE_PGM_RSRC2:TIDIG_COMP_CNT: 0
; COMPUTE_PGM_RSRC3_GFX90A:ACCUM_OFFSET: 30
; COMPUTE_PGM_RSRC3_GFX90A:TG_SPLIT: 0
	.section	.text._ZN7rocprim17ROCPRIM_400000_NS6detail17trampoline_kernelINS0_14default_configENS1_25partition_config_selectorILNS1_17partition_subalgoE0EtNS0_10empty_typeEbEEZZNS1_14partition_implILS5_0ELb0ES3_jN6thrust23THRUST_200600_302600_NS6detail15normal_iteratorINSA_10device_ptrItEEEEPS6_SG_NS0_5tupleIJNSA_16discard_iteratorINSA_11use_defaultEEESK_EEENSH_IJSG_SG_EEES6_PlJ7is_evenItEEEE10hipError_tPvRmT3_T4_T5_T6_T7_T9_mT8_P12ihipStream_tbDpT10_ENKUlT_T0_E_clISt17integral_constantIbLb1EES19_EEDaS14_S15_EUlS14_E_NS1_11comp_targetILNS1_3genE4ELNS1_11target_archE910ELNS1_3gpuE8ELNS1_3repE0EEENS1_30default_config_static_selectorELNS0_4arch9wavefront6targetE1EEEvT1_,"axG",@progbits,_ZN7rocprim17ROCPRIM_400000_NS6detail17trampoline_kernelINS0_14default_configENS1_25partition_config_selectorILNS1_17partition_subalgoE0EtNS0_10empty_typeEbEEZZNS1_14partition_implILS5_0ELb0ES3_jN6thrust23THRUST_200600_302600_NS6detail15normal_iteratorINSA_10device_ptrItEEEEPS6_SG_NS0_5tupleIJNSA_16discard_iteratorINSA_11use_defaultEEESK_EEENSH_IJSG_SG_EEES6_PlJ7is_evenItEEEE10hipError_tPvRmT3_T4_T5_T6_T7_T9_mT8_P12ihipStream_tbDpT10_ENKUlT_T0_E_clISt17integral_constantIbLb1EES19_EEDaS14_S15_EUlS14_E_NS1_11comp_targetILNS1_3genE4ELNS1_11target_archE910ELNS1_3gpuE8ELNS1_3repE0EEENS1_30default_config_static_selectorELNS0_4arch9wavefront6targetE1EEEvT1_,comdat
	.protected	_ZN7rocprim17ROCPRIM_400000_NS6detail17trampoline_kernelINS0_14default_configENS1_25partition_config_selectorILNS1_17partition_subalgoE0EtNS0_10empty_typeEbEEZZNS1_14partition_implILS5_0ELb0ES3_jN6thrust23THRUST_200600_302600_NS6detail15normal_iteratorINSA_10device_ptrItEEEEPS6_SG_NS0_5tupleIJNSA_16discard_iteratorINSA_11use_defaultEEESK_EEENSH_IJSG_SG_EEES6_PlJ7is_evenItEEEE10hipError_tPvRmT3_T4_T5_T6_T7_T9_mT8_P12ihipStream_tbDpT10_ENKUlT_T0_E_clISt17integral_constantIbLb1EES19_EEDaS14_S15_EUlS14_E_NS1_11comp_targetILNS1_3genE4ELNS1_11target_archE910ELNS1_3gpuE8ELNS1_3repE0EEENS1_30default_config_static_selectorELNS0_4arch9wavefront6targetE1EEEvT1_ ; -- Begin function _ZN7rocprim17ROCPRIM_400000_NS6detail17trampoline_kernelINS0_14default_configENS1_25partition_config_selectorILNS1_17partition_subalgoE0EtNS0_10empty_typeEbEEZZNS1_14partition_implILS5_0ELb0ES3_jN6thrust23THRUST_200600_302600_NS6detail15normal_iteratorINSA_10device_ptrItEEEEPS6_SG_NS0_5tupleIJNSA_16discard_iteratorINSA_11use_defaultEEESK_EEENSH_IJSG_SG_EEES6_PlJ7is_evenItEEEE10hipError_tPvRmT3_T4_T5_T6_T7_T9_mT8_P12ihipStream_tbDpT10_ENKUlT_T0_E_clISt17integral_constantIbLb1EES19_EEDaS14_S15_EUlS14_E_NS1_11comp_targetILNS1_3genE4ELNS1_11target_archE910ELNS1_3gpuE8ELNS1_3repE0EEENS1_30default_config_static_selectorELNS0_4arch9wavefront6targetE1EEEvT1_
	.globl	_ZN7rocprim17ROCPRIM_400000_NS6detail17trampoline_kernelINS0_14default_configENS1_25partition_config_selectorILNS1_17partition_subalgoE0EtNS0_10empty_typeEbEEZZNS1_14partition_implILS5_0ELb0ES3_jN6thrust23THRUST_200600_302600_NS6detail15normal_iteratorINSA_10device_ptrItEEEEPS6_SG_NS0_5tupleIJNSA_16discard_iteratorINSA_11use_defaultEEESK_EEENSH_IJSG_SG_EEES6_PlJ7is_evenItEEEE10hipError_tPvRmT3_T4_T5_T6_T7_T9_mT8_P12ihipStream_tbDpT10_ENKUlT_T0_E_clISt17integral_constantIbLb1EES19_EEDaS14_S15_EUlS14_E_NS1_11comp_targetILNS1_3genE4ELNS1_11target_archE910ELNS1_3gpuE8ELNS1_3repE0EEENS1_30default_config_static_selectorELNS0_4arch9wavefront6targetE1EEEvT1_
	.p2align	8
	.type	_ZN7rocprim17ROCPRIM_400000_NS6detail17trampoline_kernelINS0_14default_configENS1_25partition_config_selectorILNS1_17partition_subalgoE0EtNS0_10empty_typeEbEEZZNS1_14partition_implILS5_0ELb0ES3_jN6thrust23THRUST_200600_302600_NS6detail15normal_iteratorINSA_10device_ptrItEEEEPS6_SG_NS0_5tupleIJNSA_16discard_iteratorINSA_11use_defaultEEESK_EEENSH_IJSG_SG_EEES6_PlJ7is_evenItEEEE10hipError_tPvRmT3_T4_T5_T6_T7_T9_mT8_P12ihipStream_tbDpT10_ENKUlT_T0_E_clISt17integral_constantIbLb1EES19_EEDaS14_S15_EUlS14_E_NS1_11comp_targetILNS1_3genE4ELNS1_11target_archE910ELNS1_3gpuE8ELNS1_3repE0EEENS1_30default_config_static_selectorELNS0_4arch9wavefront6targetE1EEEvT1_,@function
_ZN7rocprim17ROCPRIM_400000_NS6detail17trampoline_kernelINS0_14default_configENS1_25partition_config_selectorILNS1_17partition_subalgoE0EtNS0_10empty_typeEbEEZZNS1_14partition_implILS5_0ELb0ES3_jN6thrust23THRUST_200600_302600_NS6detail15normal_iteratorINSA_10device_ptrItEEEEPS6_SG_NS0_5tupleIJNSA_16discard_iteratorINSA_11use_defaultEEESK_EEENSH_IJSG_SG_EEES6_PlJ7is_evenItEEEE10hipError_tPvRmT3_T4_T5_T6_T7_T9_mT8_P12ihipStream_tbDpT10_ENKUlT_T0_E_clISt17integral_constantIbLb1EES19_EEDaS14_S15_EUlS14_E_NS1_11comp_targetILNS1_3genE4ELNS1_11target_archE910ELNS1_3gpuE8ELNS1_3repE0EEENS1_30default_config_static_selectorELNS0_4arch9wavefront6targetE1EEEvT1_: ; @_ZN7rocprim17ROCPRIM_400000_NS6detail17trampoline_kernelINS0_14default_configENS1_25partition_config_selectorILNS1_17partition_subalgoE0EtNS0_10empty_typeEbEEZZNS1_14partition_implILS5_0ELb0ES3_jN6thrust23THRUST_200600_302600_NS6detail15normal_iteratorINSA_10device_ptrItEEEEPS6_SG_NS0_5tupleIJNSA_16discard_iteratorINSA_11use_defaultEEESK_EEENSH_IJSG_SG_EEES6_PlJ7is_evenItEEEE10hipError_tPvRmT3_T4_T5_T6_T7_T9_mT8_P12ihipStream_tbDpT10_ENKUlT_T0_E_clISt17integral_constantIbLb1EES19_EEDaS14_S15_EUlS14_E_NS1_11comp_targetILNS1_3genE4ELNS1_11target_archE910ELNS1_3gpuE8ELNS1_3repE0EEENS1_30default_config_static_selectorELNS0_4arch9wavefront6targetE1EEEvT1_
; %bb.0:
	.section	.rodata,"a",@progbits
	.p2align	6, 0x0
	.amdhsa_kernel _ZN7rocprim17ROCPRIM_400000_NS6detail17trampoline_kernelINS0_14default_configENS1_25partition_config_selectorILNS1_17partition_subalgoE0EtNS0_10empty_typeEbEEZZNS1_14partition_implILS5_0ELb0ES3_jN6thrust23THRUST_200600_302600_NS6detail15normal_iteratorINSA_10device_ptrItEEEEPS6_SG_NS0_5tupleIJNSA_16discard_iteratorINSA_11use_defaultEEESK_EEENSH_IJSG_SG_EEES6_PlJ7is_evenItEEEE10hipError_tPvRmT3_T4_T5_T6_T7_T9_mT8_P12ihipStream_tbDpT10_ENKUlT_T0_E_clISt17integral_constantIbLb1EES19_EEDaS14_S15_EUlS14_E_NS1_11comp_targetILNS1_3genE4ELNS1_11target_archE910ELNS1_3gpuE8ELNS1_3repE0EEENS1_30default_config_static_selectorELNS0_4arch9wavefront6targetE1EEEvT1_
		.amdhsa_group_segment_fixed_size 0
		.amdhsa_private_segment_fixed_size 0
		.amdhsa_kernarg_size 152
		.amdhsa_user_sgpr_count 2
		.amdhsa_user_sgpr_dispatch_ptr 0
		.amdhsa_user_sgpr_queue_ptr 0
		.amdhsa_user_sgpr_kernarg_segment_ptr 1
		.amdhsa_user_sgpr_dispatch_id 0
		.amdhsa_user_sgpr_kernarg_preload_length 0
		.amdhsa_user_sgpr_kernarg_preload_offset 0
		.amdhsa_user_sgpr_private_segment_size 0
		.amdhsa_uses_dynamic_stack 0
		.amdhsa_enable_private_segment 0
		.amdhsa_system_sgpr_workgroup_id_x 1
		.amdhsa_system_sgpr_workgroup_id_y 0
		.amdhsa_system_sgpr_workgroup_id_z 0
		.amdhsa_system_sgpr_workgroup_info 0
		.amdhsa_system_vgpr_workitem_id 0
		.amdhsa_next_free_vgpr 1
		.amdhsa_next_free_sgpr 0
		.amdhsa_accum_offset 4
		.amdhsa_reserve_vcc 0
		.amdhsa_float_round_mode_32 0
		.amdhsa_float_round_mode_16_64 0
		.amdhsa_float_denorm_mode_32 3
		.amdhsa_float_denorm_mode_16_64 3
		.amdhsa_dx10_clamp 1
		.amdhsa_ieee_mode 1
		.amdhsa_fp16_overflow 0
		.amdhsa_tg_split 0
		.amdhsa_exception_fp_ieee_invalid_op 0
		.amdhsa_exception_fp_denorm_src 0
		.amdhsa_exception_fp_ieee_div_zero 0
		.amdhsa_exception_fp_ieee_overflow 0
		.amdhsa_exception_fp_ieee_underflow 0
		.amdhsa_exception_fp_ieee_inexact 0
		.amdhsa_exception_int_div_zero 0
	.end_amdhsa_kernel
	.section	.text._ZN7rocprim17ROCPRIM_400000_NS6detail17trampoline_kernelINS0_14default_configENS1_25partition_config_selectorILNS1_17partition_subalgoE0EtNS0_10empty_typeEbEEZZNS1_14partition_implILS5_0ELb0ES3_jN6thrust23THRUST_200600_302600_NS6detail15normal_iteratorINSA_10device_ptrItEEEEPS6_SG_NS0_5tupleIJNSA_16discard_iteratorINSA_11use_defaultEEESK_EEENSH_IJSG_SG_EEES6_PlJ7is_evenItEEEE10hipError_tPvRmT3_T4_T5_T6_T7_T9_mT8_P12ihipStream_tbDpT10_ENKUlT_T0_E_clISt17integral_constantIbLb1EES19_EEDaS14_S15_EUlS14_E_NS1_11comp_targetILNS1_3genE4ELNS1_11target_archE910ELNS1_3gpuE8ELNS1_3repE0EEENS1_30default_config_static_selectorELNS0_4arch9wavefront6targetE1EEEvT1_,"axG",@progbits,_ZN7rocprim17ROCPRIM_400000_NS6detail17trampoline_kernelINS0_14default_configENS1_25partition_config_selectorILNS1_17partition_subalgoE0EtNS0_10empty_typeEbEEZZNS1_14partition_implILS5_0ELb0ES3_jN6thrust23THRUST_200600_302600_NS6detail15normal_iteratorINSA_10device_ptrItEEEEPS6_SG_NS0_5tupleIJNSA_16discard_iteratorINSA_11use_defaultEEESK_EEENSH_IJSG_SG_EEES6_PlJ7is_evenItEEEE10hipError_tPvRmT3_T4_T5_T6_T7_T9_mT8_P12ihipStream_tbDpT10_ENKUlT_T0_E_clISt17integral_constantIbLb1EES19_EEDaS14_S15_EUlS14_E_NS1_11comp_targetILNS1_3genE4ELNS1_11target_archE910ELNS1_3gpuE8ELNS1_3repE0EEENS1_30default_config_static_selectorELNS0_4arch9wavefront6targetE1EEEvT1_,comdat
.Lfunc_end2501:
	.size	_ZN7rocprim17ROCPRIM_400000_NS6detail17trampoline_kernelINS0_14default_configENS1_25partition_config_selectorILNS1_17partition_subalgoE0EtNS0_10empty_typeEbEEZZNS1_14partition_implILS5_0ELb0ES3_jN6thrust23THRUST_200600_302600_NS6detail15normal_iteratorINSA_10device_ptrItEEEEPS6_SG_NS0_5tupleIJNSA_16discard_iteratorINSA_11use_defaultEEESK_EEENSH_IJSG_SG_EEES6_PlJ7is_evenItEEEE10hipError_tPvRmT3_T4_T5_T6_T7_T9_mT8_P12ihipStream_tbDpT10_ENKUlT_T0_E_clISt17integral_constantIbLb1EES19_EEDaS14_S15_EUlS14_E_NS1_11comp_targetILNS1_3genE4ELNS1_11target_archE910ELNS1_3gpuE8ELNS1_3repE0EEENS1_30default_config_static_selectorELNS0_4arch9wavefront6targetE1EEEvT1_, .Lfunc_end2501-_ZN7rocprim17ROCPRIM_400000_NS6detail17trampoline_kernelINS0_14default_configENS1_25partition_config_selectorILNS1_17partition_subalgoE0EtNS0_10empty_typeEbEEZZNS1_14partition_implILS5_0ELb0ES3_jN6thrust23THRUST_200600_302600_NS6detail15normal_iteratorINSA_10device_ptrItEEEEPS6_SG_NS0_5tupleIJNSA_16discard_iteratorINSA_11use_defaultEEESK_EEENSH_IJSG_SG_EEES6_PlJ7is_evenItEEEE10hipError_tPvRmT3_T4_T5_T6_T7_T9_mT8_P12ihipStream_tbDpT10_ENKUlT_T0_E_clISt17integral_constantIbLb1EES19_EEDaS14_S15_EUlS14_E_NS1_11comp_targetILNS1_3genE4ELNS1_11target_archE910ELNS1_3gpuE8ELNS1_3repE0EEENS1_30default_config_static_selectorELNS0_4arch9wavefront6targetE1EEEvT1_
                                        ; -- End function
	.section	.AMDGPU.csdata,"",@progbits
; Kernel info:
; codeLenInByte = 0
; NumSgprs: 6
; NumVgprs: 0
; NumAgprs: 0
; TotalNumVgprs: 0
; ScratchSize: 0
; MemoryBound: 0
; FloatMode: 240
; IeeeMode: 1
; LDSByteSize: 0 bytes/workgroup (compile time only)
; SGPRBlocks: 0
; VGPRBlocks: 0
; NumSGPRsForWavesPerEU: 6
; NumVGPRsForWavesPerEU: 1
; AccumOffset: 4
; Occupancy: 8
; WaveLimiterHint : 0
; COMPUTE_PGM_RSRC2:SCRATCH_EN: 0
; COMPUTE_PGM_RSRC2:USER_SGPR: 2
; COMPUTE_PGM_RSRC2:TRAP_HANDLER: 0
; COMPUTE_PGM_RSRC2:TGID_X_EN: 1
; COMPUTE_PGM_RSRC2:TGID_Y_EN: 0
; COMPUTE_PGM_RSRC2:TGID_Z_EN: 0
; COMPUTE_PGM_RSRC2:TIDIG_COMP_CNT: 0
; COMPUTE_PGM_RSRC3_GFX90A:ACCUM_OFFSET: 0
; COMPUTE_PGM_RSRC3_GFX90A:TG_SPLIT: 0
	.section	.text._ZN7rocprim17ROCPRIM_400000_NS6detail17trampoline_kernelINS0_14default_configENS1_25partition_config_selectorILNS1_17partition_subalgoE0EtNS0_10empty_typeEbEEZZNS1_14partition_implILS5_0ELb0ES3_jN6thrust23THRUST_200600_302600_NS6detail15normal_iteratorINSA_10device_ptrItEEEEPS6_SG_NS0_5tupleIJNSA_16discard_iteratorINSA_11use_defaultEEESK_EEENSH_IJSG_SG_EEES6_PlJ7is_evenItEEEE10hipError_tPvRmT3_T4_T5_T6_T7_T9_mT8_P12ihipStream_tbDpT10_ENKUlT_T0_E_clISt17integral_constantIbLb1EES19_EEDaS14_S15_EUlS14_E_NS1_11comp_targetILNS1_3genE3ELNS1_11target_archE908ELNS1_3gpuE7ELNS1_3repE0EEENS1_30default_config_static_selectorELNS0_4arch9wavefront6targetE1EEEvT1_,"axG",@progbits,_ZN7rocprim17ROCPRIM_400000_NS6detail17trampoline_kernelINS0_14default_configENS1_25partition_config_selectorILNS1_17partition_subalgoE0EtNS0_10empty_typeEbEEZZNS1_14partition_implILS5_0ELb0ES3_jN6thrust23THRUST_200600_302600_NS6detail15normal_iteratorINSA_10device_ptrItEEEEPS6_SG_NS0_5tupleIJNSA_16discard_iteratorINSA_11use_defaultEEESK_EEENSH_IJSG_SG_EEES6_PlJ7is_evenItEEEE10hipError_tPvRmT3_T4_T5_T6_T7_T9_mT8_P12ihipStream_tbDpT10_ENKUlT_T0_E_clISt17integral_constantIbLb1EES19_EEDaS14_S15_EUlS14_E_NS1_11comp_targetILNS1_3genE3ELNS1_11target_archE908ELNS1_3gpuE7ELNS1_3repE0EEENS1_30default_config_static_selectorELNS0_4arch9wavefront6targetE1EEEvT1_,comdat
	.protected	_ZN7rocprim17ROCPRIM_400000_NS6detail17trampoline_kernelINS0_14default_configENS1_25partition_config_selectorILNS1_17partition_subalgoE0EtNS0_10empty_typeEbEEZZNS1_14partition_implILS5_0ELb0ES3_jN6thrust23THRUST_200600_302600_NS6detail15normal_iteratorINSA_10device_ptrItEEEEPS6_SG_NS0_5tupleIJNSA_16discard_iteratorINSA_11use_defaultEEESK_EEENSH_IJSG_SG_EEES6_PlJ7is_evenItEEEE10hipError_tPvRmT3_T4_T5_T6_T7_T9_mT8_P12ihipStream_tbDpT10_ENKUlT_T0_E_clISt17integral_constantIbLb1EES19_EEDaS14_S15_EUlS14_E_NS1_11comp_targetILNS1_3genE3ELNS1_11target_archE908ELNS1_3gpuE7ELNS1_3repE0EEENS1_30default_config_static_selectorELNS0_4arch9wavefront6targetE1EEEvT1_ ; -- Begin function _ZN7rocprim17ROCPRIM_400000_NS6detail17trampoline_kernelINS0_14default_configENS1_25partition_config_selectorILNS1_17partition_subalgoE0EtNS0_10empty_typeEbEEZZNS1_14partition_implILS5_0ELb0ES3_jN6thrust23THRUST_200600_302600_NS6detail15normal_iteratorINSA_10device_ptrItEEEEPS6_SG_NS0_5tupleIJNSA_16discard_iteratorINSA_11use_defaultEEESK_EEENSH_IJSG_SG_EEES6_PlJ7is_evenItEEEE10hipError_tPvRmT3_T4_T5_T6_T7_T9_mT8_P12ihipStream_tbDpT10_ENKUlT_T0_E_clISt17integral_constantIbLb1EES19_EEDaS14_S15_EUlS14_E_NS1_11comp_targetILNS1_3genE3ELNS1_11target_archE908ELNS1_3gpuE7ELNS1_3repE0EEENS1_30default_config_static_selectorELNS0_4arch9wavefront6targetE1EEEvT1_
	.globl	_ZN7rocprim17ROCPRIM_400000_NS6detail17trampoline_kernelINS0_14default_configENS1_25partition_config_selectorILNS1_17partition_subalgoE0EtNS0_10empty_typeEbEEZZNS1_14partition_implILS5_0ELb0ES3_jN6thrust23THRUST_200600_302600_NS6detail15normal_iteratorINSA_10device_ptrItEEEEPS6_SG_NS0_5tupleIJNSA_16discard_iteratorINSA_11use_defaultEEESK_EEENSH_IJSG_SG_EEES6_PlJ7is_evenItEEEE10hipError_tPvRmT3_T4_T5_T6_T7_T9_mT8_P12ihipStream_tbDpT10_ENKUlT_T0_E_clISt17integral_constantIbLb1EES19_EEDaS14_S15_EUlS14_E_NS1_11comp_targetILNS1_3genE3ELNS1_11target_archE908ELNS1_3gpuE7ELNS1_3repE0EEENS1_30default_config_static_selectorELNS0_4arch9wavefront6targetE1EEEvT1_
	.p2align	8
	.type	_ZN7rocprim17ROCPRIM_400000_NS6detail17trampoline_kernelINS0_14default_configENS1_25partition_config_selectorILNS1_17partition_subalgoE0EtNS0_10empty_typeEbEEZZNS1_14partition_implILS5_0ELb0ES3_jN6thrust23THRUST_200600_302600_NS6detail15normal_iteratorINSA_10device_ptrItEEEEPS6_SG_NS0_5tupleIJNSA_16discard_iteratorINSA_11use_defaultEEESK_EEENSH_IJSG_SG_EEES6_PlJ7is_evenItEEEE10hipError_tPvRmT3_T4_T5_T6_T7_T9_mT8_P12ihipStream_tbDpT10_ENKUlT_T0_E_clISt17integral_constantIbLb1EES19_EEDaS14_S15_EUlS14_E_NS1_11comp_targetILNS1_3genE3ELNS1_11target_archE908ELNS1_3gpuE7ELNS1_3repE0EEENS1_30default_config_static_selectorELNS0_4arch9wavefront6targetE1EEEvT1_,@function
_ZN7rocprim17ROCPRIM_400000_NS6detail17trampoline_kernelINS0_14default_configENS1_25partition_config_selectorILNS1_17partition_subalgoE0EtNS0_10empty_typeEbEEZZNS1_14partition_implILS5_0ELb0ES3_jN6thrust23THRUST_200600_302600_NS6detail15normal_iteratorINSA_10device_ptrItEEEEPS6_SG_NS0_5tupleIJNSA_16discard_iteratorINSA_11use_defaultEEESK_EEENSH_IJSG_SG_EEES6_PlJ7is_evenItEEEE10hipError_tPvRmT3_T4_T5_T6_T7_T9_mT8_P12ihipStream_tbDpT10_ENKUlT_T0_E_clISt17integral_constantIbLb1EES19_EEDaS14_S15_EUlS14_E_NS1_11comp_targetILNS1_3genE3ELNS1_11target_archE908ELNS1_3gpuE7ELNS1_3repE0EEENS1_30default_config_static_selectorELNS0_4arch9wavefront6targetE1EEEvT1_: ; @_ZN7rocprim17ROCPRIM_400000_NS6detail17trampoline_kernelINS0_14default_configENS1_25partition_config_selectorILNS1_17partition_subalgoE0EtNS0_10empty_typeEbEEZZNS1_14partition_implILS5_0ELb0ES3_jN6thrust23THRUST_200600_302600_NS6detail15normal_iteratorINSA_10device_ptrItEEEEPS6_SG_NS0_5tupleIJNSA_16discard_iteratorINSA_11use_defaultEEESK_EEENSH_IJSG_SG_EEES6_PlJ7is_evenItEEEE10hipError_tPvRmT3_T4_T5_T6_T7_T9_mT8_P12ihipStream_tbDpT10_ENKUlT_T0_E_clISt17integral_constantIbLb1EES19_EEDaS14_S15_EUlS14_E_NS1_11comp_targetILNS1_3genE3ELNS1_11target_archE908ELNS1_3gpuE7ELNS1_3repE0EEENS1_30default_config_static_selectorELNS0_4arch9wavefront6targetE1EEEvT1_
; %bb.0:
	.section	.rodata,"a",@progbits
	.p2align	6, 0x0
	.amdhsa_kernel _ZN7rocprim17ROCPRIM_400000_NS6detail17trampoline_kernelINS0_14default_configENS1_25partition_config_selectorILNS1_17partition_subalgoE0EtNS0_10empty_typeEbEEZZNS1_14partition_implILS5_0ELb0ES3_jN6thrust23THRUST_200600_302600_NS6detail15normal_iteratorINSA_10device_ptrItEEEEPS6_SG_NS0_5tupleIJNSA_16discard_iteratorINSA_11use_defaultEEESK_EEENSH_IJSG_SG_EEES6_PlJ7is_evenItEEEE10hipError_tPvRmT3_T4_T5_T6_T7_T9_mT8_P12ihipStream_tbDpT10_ENKUlT_T0_E_clISt17integral_constantIbLb1EES19_EEDaS14_S15_EUlS14_E_NS1_11comp_targetILNS1_3genE3ELNS1_11target_archE908ELNS1_3gpuE7ELNS1_3repE0EEENS1_30default_config_static_selectorELNS0_4arch9wavefront6targetE1EEEvT1_
		.amdhsa_group_segment_fixed_size 0
		.amdhsa_private_segment_fixed_size 0
		.amdhsa_kernarg_size 152
		.amdhsa_user_sgpr_count 2
		.amdhsa_user_sgpr_dispatch_ptr 0
		.amdhsa_user_sgpr_queue_ptr 0
		.amdhsa_user_sgpr_kernarg_segment_ptr 1
		.amdhsa_user_sgpr_dispatch_id 0
		.amdhsa_user_sgpr_kernarg_preload_length 0
		.amdhsa_user_sgpr_kernarg_preload_offset 0
		.amdhsa_user_sgpr_private_segment_size 0
		.amdhsa_uses_dynamic_stack 0
		.amdhsa_enable_private_segment 0
		.amdhsa_system_sgpr_workgroup_id_x 1
		.amdhsa_system_sgpr_workgroup_id_y 0
		.amdhsa_system_sgpr_workgroup_id_z 0
		.amdhsa_system_sgpr_workgroup_info 0
		.amdhsa_system_vgpr_workitem_id 0
		.amdhsa_next_free_vgpr 1
		.amdhsa_next_free_sgpr 0
		.amdhsa_accum_offset 4
		.amdhsa_reserve_vcc 0
		.amdhsa_float_round_mode_32 0
		.amdhsa_float_round_mode_16_64 0
		.amdhsa_float_denorm_mode_32 3
		.amdhsa_float_denorm_mode_16_64 3
		.amdhsa_dx10_clamp 1
		.amdhsa_ieee_mode 1
		.amdhsa_fp16_overflow 0
		.amdhsa_tg_split 0
		.amdhsa_exception_fp_ieee_invalid_op 0
		.amdhsa_exception_fp_denorm_src 0
		.amdhsa_exception_fp_ieee_div_zero 0
		.amdhsa_exception_fp_ieee_overflow 0
		.amdhsa_exception_fp_ieee_underflow 0
		.amdhsa_exception_fp_ieee_inexact 0
		.amdhsa_exception_int_div_zero 0
	.end_amdhsa_kernel
	.section	.text._ZN7rocprim17ROCPRIM_400000_NS6detail17trampoline_kernelINS0_14default_configENS1_25partition_config_selectorILNS1_17partition_subalgoE0EtNS0_10empty_typeEbEEZZNS1_14partition_implILS5_0ELb0ES3_jN6thrust23THRUST_200600_302600_NS6detail15normal_iteratorINSA_10device_ptrItEEEEPS6_SG_NS0_5tupleIJNSA_16discard_iteratorINSA_11use_defaultEEESK_EEENSH_IJSG_SG_EEES6_PlJ7is_evenItEEEE10hipError_tPvRmT3_T4_T5_T6_T7_T9_mT8_P12ihipStream_tbDpT10_ENKUlT_T0_E_clISt17integral_constantIbLb1EES19_EEDaS14_S15_EUlS14_E_NS1_11comp_targetILNS1_3genE3ELNS1_11target_archE908ELNS1_3gpuE7ELNS1_3repE0EEENS1_30default_config_static_selectorELNS0_4arch9wavefront6targetE1EEEvT1_,"axG",@progbits,_ZN7rocprim17ROCPRIM_400000_NS6detail17trampoline_kernelINS0_14default_configENS1_25partition_config_selectorILNS1_17partition_subalgoE0EtNS0_10empty_typeEbEEZZNS1_14partition_implILS5_0ELb0ES3_jN6thrust23THRUST_200600_302600_NS6detail15normal_iteratorINSA_10device_ptrItEEEEPS6_SG_NS0_5tupleIJNSA_16discard_iteratorINSA_11use_defaultEEESK_EEENSH_IJSG_SG_EEES6_PlJ7is_evenItEEEE10hipError_tPvRmT3_T4_T5_T6_T7_T9_mT8_P12ihipStream_tbDpT10_ENKUlT_T0_E_clISt17integral_constantIbLb1EES19_EEDaS14_S15_EUlS14_E_NS1_11comp_targetILNS1_3genE3ELNS1_11target_archE908ELNS1_3gpuE7ELNS1_3repE0EEENS1_30default_config_static_selectorELNS0_4arch9wavefront6targetE1EEEvT1_,comdat
.Lfunc_end2502:
	.size	_ZN7rocprim17ROCPRIM_400000_NS6detail17trampoline_kernelINS0_14default_configENS1_25partition_config_selectorILNS1_17partition_subalgoE0EtNS0_10empty_typeEbEEZZNS1_14partition_implILS5_0ELb0ES3_jN6thrust23THRUST_200600_302600_NS6detail15normal_iteratorINSA_10device_ptrItEEEEPS6_SG_NS0_5tupleIJNSA_16discard_iteratorINSA_11use_defaultEEESK_EEENSH_IJSG_SG_EEES6_PlJ7is_evenItEEEE10hipError_tPvRmT3_T4_T5_T6_T7_T9_mT8_P12ihipStream_tbDpT10_ENKUlT_T0_E_clISt17integral_constantIbLb1EES19_EEDaS14_S15_EUlS14_E_NS1_11comp_targetILNS1_3genE3ELNS1_11target_archE908ELNS1_3gpuE7ELNS1_3repE0EEENS1_30default_config_static_selectorELNS0_4arch9wavefront6targetE1EEEvT1_, .Lfunc_end2502-_ZN7rocprim17ROCPRIM_400000_NS6detail17trampoline_kernelINS0_14default_configENS1_25partition_config_selectorILNS1_17partition_subalgoE0EtNS0_10empty_typeEbEEZZNS1_14partition_implILS5_0ELb0ES3_jN6thrust23THRUST_200600_302600_NS6detail15normal_iteratorINSA_10device_ptrItEEEEPS6_SG_NS0_5tupleIJNSA_16discard_iteratorINSA_11use_defaultEEESK_EEENSH_IJSG_SG_EEES6_PlJ7is_evenItEEEE10hipError_tPvRmT3_T4_T5_T6_T7_T9_mT8_P12ihipStream_tbDpT10_ENKUlT_T0_E_clISt17integral_constantIbLb1EES19_EEDaS14_S15_EUlS14_E_NS1_11comp_targetILNS1_3genE3ELNS1_11target_archE908ELNS1_3gpuE7ELNS1_3repE0EEENS1_30default_config_static_selectorELNS0_4arch9wavefront6targetE1EEEvT1_
                                        ; -- End function
	.section	.AMDGPU.csdata,"",@progbits
; Kernel info:
; codeLenInByte = 0
; NumSgprs: 6
; NumVgprs: 0
; NumAgprs: 0
; TotalNumVgprs: 0
; ScratchSize: 0
; MemoryBound: 0
; FloatMode: 240
; IeeeMode: 1
; LDSByteSize: 0 bytes/workgroup (compile time only)
; SGPRBlocks: 0
; VGPRBlocks: 0
; NumSGPRsForWavesPerEU: 6
; NumVGPRsForWavesPerEU: 1
; AccumOffset: 4
; Occupancy: 8
; WaveLimiterHint : 0
; COMPUTE_PGM_RSRC2:SCRATCH_EN: 0
; COMPUTE_PGM_RSRC2:USER_SGPR: 2
; COMPUTE_PGM_RSRC2:TRAP_HANDLER: 0
; COMPUTE_PGM_RSRC2:TGID_X_EN: 1
; COMPUTE_PGM_RSRC2:TGID_Y_EN: 0
; COMPUTE_PGM_RSRC2:TGID_Z_EN: 0
; COMPUTE_PGM_RSRC2:TIDIG_COMP_CNT: 0
; COMPUTE_PGM_RSRC3_GFX90A:ACCUM_OFFSET: 0
; COMPUTE_PGM_RSRC3_GFX90A:TG_SPLIT: 0
	.section	.text._ZN7rocprim17ROCPRIM_400000_NS6detail17trampoline_kernelINS0_14default_configENS1_25partition_config_selectorILNS1_17partition_subalgoE0EtNS0_10empty_typeEbEEZZNS1_14partition_implILS5_0ELb0ES3_jN6thrust23THRUST_200600_302600_NS6detail15normal_iteratorINSA_10device_ptrItEEEEPS6_SG_NS0_5tupleIJNSA_16discard_iteratorINSA_11use_defaultEEESK_EEENSH_IJSG_SG_EEES6_PlJ7is_evenItEEEE10hipError_tPvRmT3_T4_T5_T6_T7_T9_mT8_P12ihipStream_tbDpT10_ENKUlT_T0_E_clISt17integral_constantIbLb1EES19_EEDaS14_S15_EUlS14_E_NS1_11comp_targetILNS1_3genE2ELNS1_11target_archE906ELNS1_3gpuE6ELNS1_3repE0EEENS1_30default_config_static_selectorELNS0_4arch9wavefront6targetE1EEEvT1_,"axG",@progbits,_ZN7rocprim17ROCPRIM_400000_NS6detail17trampoline_kernelINS0_14default_configENS1_25partition_config_selectorILNS1_17partition_subalgoE0EtNS0_10empty_typeEbEEZZNS1_14partition_implILS5_0ELb0ES3_jN6thrust23THRUST_200600_302600_NS6detail15normal_iteratorINSA_10device_ptrItEEEEPS6_SG_NS0_5tupleIJNSA_16discard_iteratorINSA_11use_defaultEEESK_EEENSH_IJSG_SG_EEES6_PlJ7is_evenItEEEE10hipError_tPvRmT3_T4_T5_T6_T7_T9_mT8_P12ihipStream_tbDpT10_ENKUlT_T0_E_clISt17integral_constantIbLb1EES19_EEDaS14_S15_EUlS14_E_NS1_11comp_targetILNS1_3genE2ELNS1_11target_archE906ELNS1_3gpuE6ELNS1_3repE0EEENS1_30default_config_static_selectorELNS0_4arch9wavefront6targetE1EEEvT1_,comdat
	.protected	_ZN7rocprim17ROCPRIM_400000_NS6detail17trampoline_kernelINS0_14default_configENS1_25partition_config_selectorILNS1_17partition_subalgoE0EtNS0_10empty_typeEbEEZZNS1_14partition_implILS5_0ELb0ES3_jN6thrust23THRUST_200600_302600_NS6detail15normal_iteratorINSA_10device_ptrItEEEEPS6_SG_NS0_5tupleIJNSA_16discard_iteratorINSA_11use_defaultEEESK_EEENSH_IJSG_SG_EEES6_PlJ7is_evenItEEEE10hipError_tPvRmT3_T4_T5_T6_T7_T9_mT8_P12ihipStream_tbDpT10_ENKUlT_T0_E_clISt17integral_constantIbLb1EES19_EEDaS14_S15_EUlS14_E_NS1_11comp_targetILNS1_3genE2ELNS1_11target_archE906ELNS1_3gpuE6ELNS1_3repE0EEENS1_30default_config_static_selectorELNS0_4arch9wavefront6targetE1EEEvT1_ ; -- Begin function _ZN7rocprim17ROCPRIM_400000_NS6detail17trampoline_kernelINS0_14default_configENS1_25partition_config_selectorILNS1_17partition_subalgoE0EtNS0_10empty_typeEbEEZZNS1_14partition_implILS5_0ELb0ES3_jN6thrust23THRUST_200600_302600_NS6detail15normal_iteratorINSA_10device_ptrItEEEEPS6_SG_NS0_5tupleIJNSA_16discard_iteratorINSA_11use_defaultEEESK_EEENSH_IJSG_SG_EEES6_PlJ7is_evenItEEEE10hipError_tPvRmT3_T4_T5_T6_T7_T9_mT8_P12ihipStream_tbDpT10_ENKUlT_T0_E_clISt17integral_constantIbLb1EES19_EEDaS14_S15_EUlS14_E_NS1_11comp_targetILNS1_3genE2ELNS1_11target_archE906ELNS1_3gpuE6ELNS1_3repE0EEENS1_30default_config_static_selectorELNS0_4arch9wavefront6targetE1EEEvT1_
	.globl	_ZN7rocprim17ROCPRIM_400000_NS6detail17trampoline_kernelINS0_14default_configENS1_25partition_config_selectorILNS1_17partition_subalgoE0EtNS0_10empty_typeEbEEZZNS1_14partition_implILS5_0ELb0ES3_jN6thrust23THRUST_200600_302600_NS6detail15normal_iteratorINSA_10device_ptrItEEEEPS6_SG_NS0_5tupleIJNSA_16discard_iteratorINSA_11use_defaultEEESK_EEENSH_IJSG_SG_EEES6_PlJ7is_evenItEEEE10hipError_tPvRmT3_T4_T5_T6_T7_T9_mT8_P12ihipStream_tbDpT10_ENKUlT_T0_E_clISt17integral_constantIbLb1EES19_EEDaS14_S15_EUlS14_E_NS1_11comp_targetILNS1_3genE2ELNS1_11target_archE906ELNS1_3gpuE6ELNS1_3repE0EEENS1_30default_config_static_selectorELNS0_4arch9wavefront6targetE1EEEvT1_
	.p2align	8
	.type	_ZN7rocprim17ROCPRIM_400000_NS6detail17trampoline_kernelINS0_14default_configENS1_25partition_config_selectorILNS1_17partition_subalgoE0EtNS0_10empty_typeEbEEZZNS1_14partition_implILS5_0ELb0ES3_jN6thrust23THRUST_200600_302600_NS6detail15normal_iteratorINSA_10device_ptrItEEEEPS6_SG_NS0_5tupleIJNSA_16discard_iteratorINSA_11use_defaultEEESK_EEENSH_IJSG_SG_EEES6_PlJ7is_evenItEEEE10hipError_tPvRmT3_T4_T5_T6_T7_T9_mT8_P12ihipStream_tbDpT10_ENKUlT_T0_E_clISt17integral_constantIbLb1EES19_EEDaS14_S15_EUlS14_E_NS1_11comp_targetILNS1_3genE2ELNS1_11target_archE906ELNS1_3gpuE6ELNS1_3repE0EEENS1_30default_config_static_selectorELNS0_4arch9wavefront6targetE1EEEvT1_,@function
_ZN7rocprim17ROCPRIM_400000_NS6detail17trampoline_kernelINS0_14default_configENS1_25partition_config_selectorILNS1_17partition_subalgoE0EtNS0_10empty_typeEbEEZZNS1_14partition_implILS5_0ELb0ES3_jN6thrust23THRUST_200600_302600_NS6detail15normal_iteratorINSA_10device_ptrItEEEEPS6_SG_NS0_5tupleIJNSA_16discard_iteratorINSA_11use_defaultEEESK_EEENSH_IJSG_SG_EEES6_PlJ7is_evenItEEEE10hipError_tPvRmT3_T4_T5_T6_T7_T9_mT8_P12ihipStream_tbDpT10_ENKUlT_T0_E_clISt17integral_constantIbLb1EES19_EEDaS14_S15_EUlS14_E_NS1_11comp_targetILNS1_3genE2ELNS1_11target_archE906ELNS1_3gpuE6ELNS1_3repE0EEENS1_30default_config_static_selectorELNS0_4arch9wavefront6targetE1EEEvT1_: ; @_ZN7rocprim17ROCPRIM_400000_NS6detail17trampoline_kernelINS0_14default_configENS1_25partition_config_selectorILNS1_17partition_subalgoE0EtNS0_10empty_typeEbEEZZNS1_14partition_implILS5_0ELb0ES3_jN6thrust23THRUST_200600_302600_NS6detail15normal_iteratorINSA_10device_ptrItEEEEPS6_SG_NS0_5tupleIJNSA_16discard_iteratorINSA_11use_defaultEEESK_EEENSH_IJSG_SG_EEES6_PlJ7is_evenItEEEE10hipError_tPvRmT3_T4_T5_T6_T7_T9_mT8_P12ihipStream_tbDpT10_ENKUlT_T0_E_clISt17integral_constantIbLb1EES19_EEDaS14_S15_EUlS14_E_NS1_11comp_targetILNS1_3genE2ELNS1_11target_archE906ELNS1_3gpuE6ELNS1_3repE0EEENS1_30default_config_static_selectorELNS0_4arch9wavefront6targetE1EEEvT1_
; %bb.0:
	.section	.rodata,"a",@progbits
	.p2align	6, 0x0
	.amdhsa_kernel _ZN7rocprim17ROCPRIM_400000_NS6detail17trampoline_kernelINS0_14default_configENS1_25partition_config_selectorILNS1_17partition_subalgoE0EtNS0_10empty_typeEbEEZZNS1_14partition_implILS5_0ELb0ES3_jN6thrust23THRUST_200600_302600_NS6detail15normal_iteratorINSA_10device_ptrItEEEEPS6_SG_NS0_5tupleIJNSA_16discard_iteratorINSA_11use_defaultEEESK_EEENSH_IJSG_SG_EEES6_PlJ7is_evenItEEEE10hipError_tPvRmT3_T4_T5_T6_T7_T9_mT8_P12ihipStream_tbDpT10_ENKUlT_T0_E_clISt17integral_constantIbLb1EES19_EEDaS14_S15_EUlS14_E_NS1_11comp_targetILNS1_3genE2ELNS1_11target_archE906ELNS1_3gpuE6ELNS1_3repE0EEENS1_30default_config_static_selectorELNS0_4arch9wavefront6targetE1EEEvT1_
		.amdhsa_group_segment_fixed_size 0
		.amdhsa_private_segment_fixed_size 0
		.amdhsa_kernarg_size 152
		.amdhsa_user_sgpr_count 2
		.amdhsa_user_sgpr_dispatch_ptr 0
		.amdhsa_user_sgpr_queue_ptr 0
		.amdhsa_user_sgpr_kernarg_segment_ptr 1
		.amdhsa_user_sgpr_dispatch_id 0
		.amdhsa_user_sgpr_kernarg_preload_length 0
		.amdhsa_user_sgpr_kernarg_preload_offset 0
		.amdhsa_user_sgpr_private_segment_size 0
		.amdhsa_uses_dynamic_stack 0
		.amdhsa_enable_private_segment 0
		.amdhsa_system_sgpr_workgroup_id_x 1
		.amdhsa_system_sgpr_workgroup_id_y 0
		.amdhsa_system_sgpr_workgroup_id_z 0
		.amdhsa_system_sgpr_workgroup_info 0
		.amdhsa_system_vgpr_workitem_id 0
		.amdhsa_next_free_vgpr 1
		.amdhsa_next_free_sgpr 0
		.amdhsa_accum_offset 4
		.amdhsa_reserve_vcc 0
		.amdhsa_float_round_mode_32 0
		.amdhsa_float_round_mode_16_64 0
		.amdhsa_float_denorm_mode_32 3
		.amdhsa_float_denorm_mode_16_64 3
		.amdhsa_dx10_clamp 1
		.amdhsa_ieee_mode 1
		.amdhsa_fp16_overflow 0
		.amdhsa_tg_split 0
		.amdhsa_exception_fp_ieee_invalid_op 0
		.amdhsa_exception_fp_denorm_src 0
		.amdhsa_exception_fp_ieee_div_zero 0
		.amdhsa_exception_fp_ieee_overflow 0
		.amdhsa_exception_fp_ieee_underflow 0
		.amdhsa_exception_fp_ieee_inexact 0
		.amdhsa_exception_int_div_zero 0
	.end_amdhsa_kernel
	.section	.text._ZN7rocprim17ROCPRIM_400000_NS6detail17trampoline_kernelINS0_14default_configENS1_25partition_config_selectorILNS1_17partition_subalgoE0EtNS0_10empty_typeEbEEZZNS1_14partition_implILS5_0ELb0ES3_jN6thrust23THRUST_200600_302600_NS6detail15normal_iteratorINSA_10device_ptrItEEEEPS6_SG_NS0_5tupleIJNSA_16discard_iteratorINSA_11use_defaultEEESK_EEENSH_IJSG_SG_EEES6_PlJ7is_evenItEEEE10hipError_tPvRmT3_T4_T5_T6_T7_T9_mT8_P12ihipStream_tbDpT10_ENKUlT_T0_E_clISt17integral_constantIbLb1EES19_EEDaS14_S15_EUlS14_E_NS1_11comp_targetILNS1_3genE2ELNS1_11target_archE906ELNS1_3gpuE6ELNS1_3repE0EEENS1_30default_config_static_selectorELNS0_4arch9wavefront6targetE1EEEvT1_,"axG",@progbits,_ZN7rocprim17ROCPRIM_400000_NS6detail17trampoline_kernelINS0_14default_configENS1_25partition_config_selectorILNS1_17partition_subalgoE0EtNS0_10empty_typeEbEEZZNS1_14partition_implILS5_0ELb0ES3_jN6thrust23THRUST_200600_302600_NS6detail15normal_iteratorINSA_10device_ptrItEEEEPS6_SG_NS0_5tupleIJNSA_16discard_iteratorINSA_11use_defaultEEESK_EEENSH_IJSG_SG_EEES6_PlJ7is_evenItEEEE10hipError_tPvRmT3_T4_T5_T6_T7_T9_mT8_P12ihipStream_tbDpT10_ENKUlT_T0_E_clISt17integral_constantIbLb1EES19_EEDaS14_S15_EUlS14_E_NS1_11comp_targetILNS1_3genE2ELNS1_11target_archE906ELNS1_3gpuE6ELNS1_3repE0EEENS1_30default_config_static_selectorELNS0_4arch9wavefront6targetE1EEEvT1_,comdat
.Lfunc_end2503:
	.size	_ZN7rocprim17ROCPRIM_400000_NS6detail17trampoline_kernelINS0_14default_configENS1_25partition_config_selectorILNS1_17partition_subalgoE0EtNS0_10empty_typeEbEEZZNS1_14partition_implILS5_0ELb0ES3_jN6thrust23THRUST_200600_302600_NS6detail15normal_iteratorINSA_10device_ptrItEEEEPS6_SG_NS0_5tupleIJNSA_16discard_iteratorINSA_11use_defaultEEESK_EEENSH_IJSG_SG_EEES6_PlJ7is_evenItEEEE10hipError_tPvRmT3_T4_T5_T6_T7_T9_mT8_P12ihipStream_tbDpT10_ENKUlT_T0_E_clISt17integral_constantIbLb1EES19_EEDaS14_S15_EUlS14_E_NS1_11comp_targetILNS1_3genE2ELNS1_11target_archE906ELNS1_3gpuE6ELNS1_3repE0EEENS1_30default_config_static_selectorELNS0_4arch9wavefront6targetE1EEEvT1_, .Lfunc_end2503-_ZN7rocprim17ROCPRIM_400000_NS6detail17trampoline_kernelINS0_14default_configENS1_25partition_config_selectorILNS1_17partition_subalgoE0EtNS0_10empty_typeEbEEZZNS1_14partition_implILS5_0ELb0ES3_jN6thrust23THRUST_200600_302600_NS6detail15normal_iteratorINSA_10device_ptrItEEEEPS6_SG_NS0_5tupleIJNSA_16discard_iteratorINSA_11use_defaultEEESK_EEENSH_IJSG_SG_EEES6_PlJ7is_evenItEEEE10hipError_tPvRmT3_T4_T5_T6_T7_T9_mT8_P12ihipStream_tbDpT10_ENKUlT_T0_E_clISt17integral_constantIbLb1EES19_EEDaS14_S15_EUlS14_E_NS1_11comp_targetILNS1_3genE2ELNS1_11target_archE906ELNS1_3gpuE6ELNS1_3repE0EEENS1_30default_config_static_selectorELNS0_4arch9wavefront6targetE1EEEvT1_
                                        ; -- End function
	.section	.AMDGPU.csdata,"",@progbits
; Kernel info:
; codeLenInByte = 0
; NumSgprs: 6
; NumVgprs: 0
; NumAgprs: 0
; TotalNumVgprs: 0
; ScratchSize: 0
; MemoryBound: 0
; FloatMode: 240
; IeeeMode: 1
; LDSByteSize: 0 bytes/workgroup (compile time only)
; SGPRBlocks: 0
; VGPRBlocks: 0
; NumSGPRsForWavesPerEU: 6
; NumVGPRsForWavesPerEU: 1
; AccumOffset: 4
; Occupancy: 8
; WaveLimiterHint : 0
; COMPUTE_PGM_RSRC2:SCRATCH_EN: 0
; COMPUTE_PGM_RSRC2:USER_SGPR: 2
; COMPUTE_PGM_RSRC2:TRAP_HANDLER: 0
; COMPUTE_PGM_RSRC2:TGID_X_EN: 1
; COMPUTE_PGM_RSRC2:TGID_Y_EN: 0
; COMPUTE_PGM_RSRC2:TGID_Z_EN: 0
; COMPUTE_PGM_RSRC2:TIDIG_COMP_CNT: 0
; COMPUTE_PGM_RSRC3_GFX90A:ACCUM_OFFSET: 0
; COMPUTE_PGM_RSRC3_GFX90A:TG_SPLIT: 0
	.section	.text._ZN7rocprim17ROCPRIM_400000_NS6detail17trampoline_kernelINS0_14default_configENS1_25partition_config_selectorILNS1_17partition_subalgoE0EtNS0_10empty_typeEbEEZZNS1_14partition_implILS5_0ELb0ES3_jN6thrust23THRUST_200600_302600_NS6detail15normal_iteratorINSA_10device_ptrItEEEEPS6_SG_NS0_5tupleIJNSA_16discard_iteratorINSA_11use_defaultEEESK_EEENSH_IJSG_SG_EEES6_PlJ7is_evenItEEEE10hipError_tPvRmT3_T4_T5_T6_T7_T9_mT8_P12ihipStream_tbDpT10_ENKUlT_T0_E_clISt17integral_constantIbLb1EES19_EEDaS14_S15_EUlS14_E_NS1_11comp_targetILNS1_3genE10ELNS1_11target_archE1200ELNS1_3gpuE4ELNS1_3repE0EEENS1_30default_config_static_selectorELNS0_4arch9wavefront6targetE1EEEvT1_,"axG",@progbits,_ZN7rocprim17ROCPRIM_400000_NS6detail17trampoline_kernelINS0_14default_configENS1_25partition_config_selectorILNS1_17partition_subalgoE0EtNS0_10empty_typeEbEEZZNS1_14partition_implILS5_0ELb0ES3_jN6thrust23THRUST_200600_302600_NS6detail15normal_iteratorINSA_10device_ptrItEEEEPS6_SG_NS0_5tupleIJNSA_16discard_iteratorINSA_11use_defaultEEESK_EEENSH_IJSG_SG_EEES6_PlJ7is_evenItEEEE10hipError_tPvRmT3_T4_T5_T6_T7_T9_mT8_P12ihipStream_tbDpT10_ENKUlT_T0_E_clISt17integral_constantIbLb1EES19_EEDaS14_S15_EUlS14_E_NS1_11comp_targetILNS1_3genE10ELNS1_11target_archE1200ELNS1_3gpuE4ELNS1_3repE0EEENS1_30default_config_static_selectorELNS0_4arch9wavefront6targetE1EEEvT1_,comdat
	.protected	_ZN7rocprim17ROCPRIM_400000_NS6detail17trampoline_kernelINS0_14default_configENS1_25partition_config_selectorILNS1_17partition_subalgoE0EtNS0_10empty_typeEbEEZZNS1_14partition_implILS5_0ELb0ES3_jN6thrust23THRUST_200600_302600_NS6detail15normal_iteratorINSA_10device_ptrItEEEEPS6_SG_NS0_5tupleIJNSA_16discard_iteratorINSA_11use_defaultEEESK_EEENSH_IJSG_SG_EEES6_PlJ7is_evenItEEEE10hipError_tPvRmT3_T4_T5_T6_T7_T9_mT8_P12ihipStream_tbDpT10_ENKUlT_T0_E_clISt17integral_constantIbLb1EES19_EEDaS14_S15_EUlS14_E_NS1_11comp_targetILNS1_3genE10ELNS1_11target_archE1200ELNS1_3gpuE4ELNS1_3repE0EEENS1_30default_config_static_selectorELNS0_4arch9wavefront6targetE1EEEvT1_ ; -- Begin function _ZN7rocprim17ROCPRIM_400000_NS6detail17trampoline_kernelINS0_14default_configENS1_25partition_config_selectorILNS1_17partition_subalgoE0EtNS0_10empty_typeEbEEZZNS1_14partition_implILS5_0ELb0ES3_jN6thrust23THRUST_200600_302600_NS6detail15normal_iteratorINSA_10device_ptrItEEEEPS6_SG_NS0_5tupleIJNSA_16discard_iteratorINSA_11use_defaultEEESK_EEENSH_IJSG_SG_EEES6_PlJ7is_evenItEEEE10hipError_tPvRmT3_T4_T5_T6_T7_T9_mT8_P12ihipStream_tbDpT10_ENKUlT_T0_E_clISt17integral_constantIbLb1EES19_EEDaS14_S15_EUlS14_E_NS1_11comp_targetILNS1_3genE10ELNS1_11target_archE1200ELNS1_3gpuE4ELNS1_3repE0EEENS1_30default_config_static_selectorELNS0_4arch9wavefront6targetE1EEEvT1_
	.globl	_ZN7rocprim17ROCPRIM_400000_NS6detail17trampoline_kernelINS0_14default_configENS1_25partition_config_selectorILNS1_17partition_subalgoE0EtNS0_10empty_typeEbEEZZNS1_14partition_implILS5_0ELb0ES3_jN6thrust23THRUST_200600_302600_NS6detail15normal_iteratorINSA_10device_ptrItEEEEPS6_SG_NS0_5tupleIJNSA_16discard_iteratorINSA_11use_defaultEEESK_EEENSH_IJSG_SG_EEES6_PlJ7is_evenItEEEE10hipError_tPvRmT3_T4_T5_T6_T7_T9_mT8_P12ihipStream_tbDpT10_ENKUlT_T0_E_clISt17integral_constantIbLb1EES19_EEDaS14_S15_EUlS14_E_NS1_11comp_targetILNS1_3genE10ELNS1_11target_archE1200ELNS1_3gpuE4ELNS1_3repE0EEENS1_30default_config_static_selectorELNS0_4arch9wavefront6targetE1EEEvT1_
	.p2align	8
	.type	_ZN7rocprim17ROCPRIM_400000_NS6detail17trampoline_kernelINS0_14default_configENS1_25partition_config_selectorILNS1_17partition_subalgoE0EtNS0_10empty_typeEbEEZZNS1_14partition_implILS5_0ELb0ES3_jN6thrust23THRUST_200600_302600_NS6detail15normal_iteratorINSA_10device_ptrItEEEEPS6_SG_NS0_5tupleIJNSA_16discard_iteratorINSA_11use_defaultEEESK_EEENSH_IJSG_SG_EEES6_PlJ7is_evenItEEEE10hipError_tPvRmT3_T4_T5_T6_T7_T9_mT8_P12ihipStream_tbDpT10_ENKUlT_T0_E_clISt17integral_constantIbLb1EES19_EEDaS14_S15_EUlS14_E_NS1_11comp_targetILNS1_3genE10ELNS1_11target_archE1200ELNS1_3gpuE4ELNS1_3repE0EEENS1_30default_config_static_selectorELNS0_4arch9wavefront6targetE1EEEvT1_,@function
_ZN7rocprim17ROCPRIM_400000_NS6detail17trampoline_kernelINS0_14default_configENS1_25partition_config_selectorILNS1_17partition_subalgoE0EtNS0_10empty_typeEbEEZZNS1_14partition_implILS5_0ELb0ES3_jN6thrust23THRUST_200600_302600_NS6detail15normal_iteratorINSA_10device_ptrItEEEEPS6_SG_NS0_5tupleIJNSA_16discard_iteratorINSA_11use_defaultEEESK_EEENSH_IJSG_SG_EEES6_PlJ7is_evenItEEEE10hipError_tPvRmT3_T4_T5_T6_T7_T9_mT8_P12ihipStream_tbDpT10_ENKUlT_T0_E_clISt17integral_constantIbLb1EES19_EEDaS14_S15_EUlS14_E_NS1_11comp_targetILNS1_3genE10ELNS1_11target_archE1200ELNS1_3gpuE4ELNS1_3repE0EEENS1_30default_config_static_selectorELNS0_4arch9wavefront6targetE1EEEvT1_: ; @_ZN7rocprim17ROCPRIM_400000_NS6detail17trampoline_kernelINS0_14default_configENS1_25partition_config_selectorILNS1_17partition_subalgoE0EtNS0_10empty_typeEbEEZZNS1_14partition_implILS5_0ELb0ES3_jN6thrust23THRUST_200600_302600_NS6detail15normal_iteratorINSA_10device_ptrItEEEEPS6_SG_NS0_5tupleIJNSA_16discard_iteratorINSA_11use_defaultEEESK_EEENSH_IJSG_SG_EEES6_PlJ7is_evenItEEEE10hipError_tPvRmT3_T4_T5_T6_T7_T9_mT8_P12ihipStream_tbDpT10_ENKUlT_T0_E_clISt17integral_constantIbLb1EES19_EEDaS14_S15_EUlS14_E_NS1_11comp_targetILNS1_3genE10ELNS1_11target_archE1200ELNS1_3gpuE4ELNS1_3repE0EEENS1_30default_config_static_selectorELNS0_4arch9wavefront6targetE1EEEvT1_
; %bb.0:
	.section	.rodata,"a",@progbits
	.p2align	6, 0x0
	.amdhsa_kernel _ZN7rocprim17ROCPRIM_400000_NS6detail17trampoline_kernelINS0_14default_configENS1_25partition_config_selectorILNS1_17partition_subalgoE0EtNS0_10empty_typeEbEEZZNS1_14partition_implILS5_0ELb0ES3_jN6thrust23THRUST_200600_302600_NS6detail15normal_iteratorINSA_10device_ptrItEEEEPS6_SG_NS0_5tupleIJNSA_16discard_iteratorINSA_11use_defaultEEESK_EEENSH_IJSG_SG_EEES6_PlJ7is_evenItEEEE10hipError_tPvRmT3_T4_T5_T6_T7_T9_mT8_P12ihipStream_tbDpT10_ENKUlT_T0_E_clISt17integral_constantIbLb1EES19_EEDaS14_S15_EUlS14_E_NS1_11comp_targetILNS1_3genE10ELNS1_11target_archE1200ELNS1_3gpuE4ELNS1_3repE0EEENS1_30default_config_static_selectorELNS0_4arch9wavefront6targetE1EEEvT1_
		.amdhsa_group_segment_fixed_size 0
		.amdhsa_private_segment_fixed_size 0
		.amdhsa_kernarg_size 152
		.amdhsa_user_sgpr_count 2
		.amdhsa_user_sgpr_dispatch_ptr 0
		.amdhsa_user_sgpr_queue_ptr 0
		.amdhsa_user_sgpr_kernarg_segment_ptr 1
		.amdhsa_user_sgpr_dispatch_id 0
		.amdhsa_user_sgpr_kernarg_preload_length 0
		.amdhsa_user_sgpr_kernarg_preload_offset 0
		.amdhsa_user_sgpr_private_segment_size 0
		.amdhsa_uses_dynamic_stack 0
		.amdhsa_enable_private_segment 0
		.amdhsa_system_sgpr_workgroup_id_x 1
		.amdhsa_system_sgpr_workgroup_id_y 0
		.amdhsa_system_sgpr_workgroup_id_z 0
		.amdhsa_system_sgpr_workgroup_info 0
		.amdhsa_system_vgpr_workitem_id 0
		.amdhsa_next_free_vgpr 1
		.amdhsa_next_free_sgpr 0
		.amdhsa_accum_offset 4
		.amdhsa_reserve_vcc 0
		.amdhsa_float_round_mode_32 0
		.amdhsa_float_round_mode_16_64 0
		.amdhsa_float_denorm_mode_32 3
		.amdhsa_float_denorm_mode_16_64 3
		.amdhsa_dx10_clamp 1
		.amdhsa_ieee_mode 1
		.amdhsa_fp16_overflow 0
		.amdhsa_tg_split 0
		.amdhsa_exception_fp_ieee_invalid_op 0
		.amdhsa_exception_fp_denorm_src 0
		.amdhsa_exception_fp_ieee_div_zero 0
		.amdhsa_exception_fp_ieee_overflow 0
		.amdhsa_exception_fp_ieee_underflow 0
		.amdhsa_exception_fp_ieee_inexact 0
		.amdhsa_exception_int_div_zero 0
	.end_amdhsa_kernel
	.section	.text._ZN7rocprim17ROCPRIM_400000_NS6detail17trampoline_kernelINS0_14default_configENS1_25partition_config_selectorILNS1_17partition_subalgoE0EtNS0_10empty_typeEbEEZZNS1_14partition_implILS5_0ELb0ES3_jN6thrust23THRUST_200600_302600_NS6detail15normal_iteratorINSA_10device_ptrItEEEEPS6_SG_NS0_5tupleIJNSA_16discard_iteratorINSA_11use_defaultEEESK_EEENSH_IJSG_SG_EEES6_PlJ7is_evenItEEEE10hipError_tPvRmT3_T4_T5_T6_T7_T9_mT8_P12ihipStream_tbDpT10_ENKUlT_T0_E_clISt17integral_constantIbLb1EES19_EEDaS14_S15_EUlS14_E_NS1_11comp_targetILNS1_3genE10ELNS1_11target_archE1200ELNS1_3gpuE4ELNS1_3repE0EEENS1_30default_config_static_selectorELNS0_4arch9wavefront6targetE1EEEvT1_,"axG",@progbits,_ZN7rocprim17ROCPRIM_400000_NS6detail17trampoline_kernelINS0_14default_configENS1_25partition_config_selectorILNS1_17partition_subalgoE0EtNS0_10empty_typeEbEEZZNS1_14partition_implILS5_0ELb0ES3_jN6thrust23THRUST_200600_302600_NS6detail15normal_iteratorINSA_10device_ptrItEEEEPS6_SG_NS0_5tupleIJNSA_16discard_iteratorINSA_11use_defaultEEESK_EEENSH_IJSG_SG_EEES6_PlJ7is_evenItEEEE10hipError_tPvRmT3_T4_T5_T6_T7_T9_mT8_P12ihipStream_tbDpT10_ENKUlT_T0_E_clISt17integral_constantIbLb1EES19_EEDaS14_S15_EUlS14_E_NS1_11comp_targetILNS1_3genE10ELNS1_11target_archE1200ELNS1_3gpuE4ELNS1_3repE0EEENS1_30default_config_static_selectorELNS0_4arch9wavefront6targetE1EEEvT1_,comdat
.Lfunc_end2504:
	.size	_ZN7rocprim17ROCPRIM_400000_NS6detail17trampoline_kernelINS0_14default_configENS1_25partition_config_selectorILNS1_17partition_subalgoE0EtNS0_10empty_typeEbEEZZNS1_14partition_implILS5_0ELb0ES3_jN6thrust23THRUST_200600_302600_NS6detail15normal_iteratorINSA_10device_ptrItEEEEPS6_SG_NS0_5tupleIJNSA_16discard_iteratorINSA_11use_defaultEEESK_EEENSH_IJSG_SG_EEES6_PlJ7is_evenItEEEE10hipError_tPvRmT3_T4_T5_T6_T7_T9_mT8_P12ihipStream_tbDpT10_ENKUlT_T0_E_clISt17integral_constantIbLb1EES19_EEDaS14_S15_EUlS14_E_NS1_11comp_targetILNS1_3genE10ELNS1_11target_archE1200ELNS1_3gpuE4ELNS1_3repE0EEENS1_30default_config_static_selectorELNS0_4arch9wavefront6targetE1EEEvT1_, .Lfunc_end2504-_ZN7rocprim17ROCPRIM_400000_NS6detail17trampoline_kernelINS0_14default_configENS1_25partition_config_selectorILNS1_17partition_subalgoE0EtNS0_10empty_typeEbEEZZNS1_14partition_implILS5_0ELb0ES3_jN6thrust23THRUST_200600_302600_NS6detail15normal_iteratorINSA_10device_ptrItEEEEPS6_SG_NS0_5tupleIJNSA_16discard_iteratorINSA_11use_defaultEEESK_EEENSH_IJSG_SG_EEES6_PlJ7is_evenItEEEE10hipError_tPvRmT3_T4_T5_T6_T7_T9_mT8_P12ihipStream_tbDpT10_ENKUlT_T0_E_clISt17integral_constantIbLb1EES19_EEDaS14_S15_EUlS14_E_NS1_11comp_targetILNS1_3genE10ELNS1_11target_archE1200ELNS1_3gpuE4ELNS1_3repE0EEENS1_30default_config_static_selectorELNS0_4arch9wavefront6targetE1EEEvT1_
                                        ; -- End function
	.section	.AMDGPU.csdata,"",@progbits
; Kernel info:
; codeLenInByte = 0
; NumSgprs: 6
; NumVgprs: 0
; NumAgprs: 0
; TotalNumVgprs: 0
; ScratchSize: 0
; MemoryBound: 0
; FloatMode: 240
; IeeeMode: 1
; LDSByteSize: 0 bytes/workgroup (compile time only)
; SGPRBlocks: 0
; VGPRBlocks: 0
; NumSGPRsForWavesPerEU: 6
; NumVGPRsForWavesPerEU: 1
; AccumOffset: 4
; Occupancy: 8
; WaveLimiterHint : 0
; COMPUTE_PGM_RSRC2:SCRATCH_EN: 0
; COMPUTE_PGM_RSRC2:USER_SGPR: 2
; COMPUTE_PGM_RSRC2:TRAP_HANDLER: 0
; COMPUTE_PGM_RSRC2:TGID_X_EN: 1
; COMPUTE_PGM_RSRC2:TGID_Y_EN: 0
; COMPUTE_PGM_RSRC2:TGID_Z_EN: 0
; COMPUTE_PGM_RSRC2:TIDIG_COMP_CNT: 0
; COMPUTE_PGM_RSRC3_GFX90A:ACCUM_OFFSET: 0
; COMPUTE_PGM_RSRC3_GFX90A:TG_SPLIT: 0
	.section	.text._ZN7rocprim17ROCPRIM_400000_NS6detail17trampoline_kernelINS0_14default_configENS1_25partition_config_selectorILNS1_17partition_subalgoE0EtNS0_10empty_typeEbEEZZNS1_14partition_implILS5_0ELb0ES3_jN6thrust23THRUST_200600_302600_NS6detail15normal_iteratorINSA_10device_ptrItEEEEPS6_SG_NS0_5tupleIJNSA_16discard_iteratorINSA_11use_defaultEEESK_EEENSH_IJSG_SG_EEES6_PlJ7is_evenItEEEE10hipError_tPvRmT3_T4_T5_T6_T7_T9_mT8_P12ihipStream_tbDpT10_ENKUlT_T0_E_clISt17integral_constantIbLb1EES19_EEDaS14_S15_EUlS14_E_NS1_11comp_targetILNS1_3genE9ELNS1_11target_archE1100ELNS1_3gpuE3ELNS1_3repE0EEENS1_30default_config_static_selectorELNS0_4arch9wavefront6targetE1EEEvT1_,"axG",@progbits,_ZN7rocprim17ROCPRIM_400000_NS6detail17trampoline_kernelINS0_14default_configENS1_25partition_config_selectorILNS1_17partition_subalgoE0EtNS0_10empty_typeEbEEZZNS1_14partition_implILS5_0ELb0ES3_jN6thrust23THRUST_200600_302600_NS6detail15normal_iteratorINSA_10device_ptrItEEEEPS6_SG_NS0_5tupleIJNSA_16discard_iteratorINSA_11use_defaultEEESK_EEENSH_IJSG_SG_EEES6_PlJ7is_evenItEEEE10hipError_tPvRmT3_T4_T5_T6_T7_T9_mT8_P12ihipStream_tbDpT10_ENKUlT_T0_E_clISt17integral_constantIbLb1EES19_EEDaS14_S15_EUlS14_E_NS1_11comp_targetILNS1_3genE9ELNS1_11target_archE1100ELNS1_3gpuE3ELNS1_3repE0EEENS1_30default_config_static_selectorELNS0_4arch9wavefront6targetE1EEEvT1_,comdat
	.protected	_ZN7rocprim17ROCPRIM_400000_NS6detail17trampoline_kernelINS0_14default_configENS1_25partition_config_selectorILNS1_17partition_subalgoE0EtNS0_10empty_typeEbEEZZNS1_14partition_implILS5_0ELb0ES3_jN6thrust23THRUST_200600_302600_NS6detail15normal_iteratorINSA_10device_ptrItEEEEPS6_SG_NS0_5tupleIJNSA_16discard_iteratorINSA_11use_defaultEEESK_EEENSH_IJSG_SG_EEES6_PlJ7is_evenItEEEE10hipError_tPvRmT3_T4_T5_T6_T7_T9_mT8_P12ihipStream_tbDpT10_ENKUlT_T0_E_clISt17integral_constantIbLb1EES19_EEDaS14_S15_EUlS14_E_NS1_11comp_targetILNS1_3genE9ELNS1_11target_archE1100ELNS1_3gpuE3ELNS1_3repE0EEENS1_30default_config_static_selectorELNS0_4arch9wavefront6targetE1EEEvT1_ ; -- Begin function _ZN7rocprim17ROCPRIM_400000_NS6detail17trampoline_kernelINS0_14default_configENS1_25partition_config_selectorILNS1_17partition_subalgoE0EtNS0_10empty_typeEbEEZZNS1_14partition_implILS5_0ELb0ES3_jN6thrust23THRUST_200600_302600_NS6detail15normal_iteratorINSA_10device_ptrItEEEEPS6_SG_NS0_5tupleIJNSA_16discard_iteratorINSA_11use_defaultEEESK_EEENSH_IJSG_SG_EEES6_PlJ7is_evenItEEEE10hipError_tPvRmT3_T4_T5_T6_T7_T9_mT8_P12ihipStream_tbDpT10_ENKUlT_T0_E_clISt17integral_constantIbLb1EES19_EEDaS14_S15_EUlS14_E_NS1_11comp_targetILNS1_3genE9ELNS1_11target_archE1100ELNS1_3gpuE3ELNS1_3repE0EEENS1_30default_config_static_selectorELNS0_4arch9wavefront6targetE1EEEvT1_
	.globl	_ZN7rocprim17ROCPRIM_400000_NS6detail17trampoline_kernelINS0_14default_configENS1_25partition_config_selectorILNS1_17partition_subalgoE0EtNS0_10empty_typeEbEEZZNS1_14partition_implILS5_0ELb0ES3_jN6thrust23THRUST_200600_302600_NS6detail15normal_iteratorINSA_10device_ptrItEEEEPS6_SG_NS0_5tupleIJNSA_16discard_iteratorINSA_11use_defaultEEESK_EEENSH_IJSG_SG_EEES6_PlJ7is_evenItEEEE10hipError_tPvRmT3_T4_T5_T6_T7_T9_mT8_P12ihipStream_tbDpT10_ENKUlT_T0_E_clISt17integral_constantIbLb1EES19_EEDaS14_S15_EUlS14_E_NS1_11comp_targetILNS1_3genE9ELNS1_11target_archE1100ELNS1_3gpuE3ELNS1_3repE0EEENS1_30default_config_static_selectorELNS0_4arch9wavefront6targetE1EEEvT1_
	.p2align	8
	.type	_ZN7rocprim17ROCPRIM_400000_NS6detail17trampoline_kernelINS0_14default_configENS1_25partition_config_selectorILNS1_17partition_subalgoE0EtNS0_10empty_typeEbEEZZNS1_14partition_implILS5_0ELb0ES3_jN6thrust23THRUST_200600_302600_NS6detail15normal_iteratorINSA_10device_ptrItEEEEPS6_SG_NS0_5tupleIJNSA_16discard_iteratorINSA_11use_defaultEEESK_EEENSH_IJSG_SG_EEES6_PlJ7is_evenItEEEE10hipError_tPvRmT3_T4_T5_T6_T7_T9_mT8_P12ihipStream_tbDpT10_ENKUlT_T0_E_clISt17integral_constantIbLb1EES19_EEDaS14_S15_EUlS14_E_NS1_11comp_targetILNS1_3genE9ELNS1_11target_archE1100ELNS1_3gpuE3ELNS1_3repE0EEENS1_30default_config_static_selectorELNS0_4arch9wavefront6targetE1EEEvT1_,@function
_ZN7rocprim17ROCPRIM_400000_NS6detail17trampoline_kernelINS0_14default_configENS1_25partition_config_selectorILNS1_17partition_subalgoE0EtNS0_10empty_typeEbEEZZNS1_14partition_implILS5_0ELb0ES3_jN6thrust23THRUST_200600_302600_NS6detail15normal_iteratorINSA_10device_ptrItEEEEPS6_SG_NS0_5tupleIJNSA_16discard_iteratorINSA_11use_defaultEEESK_EEENSH_IJSG_SG_EEES6_PlJ7is_evenItEEEE10hipError_tPvRmT3_T4_T5_T6_T7_T9_mT8_P12ihipStream_tbDpT10_ENKUlT_T0_E_clISt17integral_constantIbLb1EES19_EEDaS14_S15_EUlS14_E_NS1_11comp_targetILNS1_3genE9ELNS1_11target_archE1100ELNS1_3gpuE3ELNS1_3repE0EEENS1_30default_config_static_selectorELNS0_4arch9wavefront6targetE1EEEvT1_: ; @_ZN7rocprim17ROCPRIM_400000_NS6detail17trampoline_kernelINS0_14default_configENS1_25partition_config_selectorILNS1_17partition_subalgoE0EtNS0_10empty_typeEbEEZZNS1_14partition_implILS5_0ELb0ES3_jN6thrust23THRUST_200600_302600_NS6detail15normal_iteratorINSA_10device_ptrItEEEEPS6_SG_NS0_5tupleIJNSA_16discard_iteratorINSA_11use_defaultEEESK_EEENSH_IJSG_SG_EEES6_PlJ7is_evenItEEEE10hipError_tPvRmT3_T4_T5_T6_T7_T9_mT8_P12ihipStream_tbDpT10_ENKUlT_T0_E_clISt17integral_constantIbLb1EES19_EEDaS14_S15_EUlS14_E_NS1_11comp_targetILNS1_3genE9ELNS1_11target_archE1100ELNS1_3gpuE3ELNS1_3repE0EEENS1_30default_config_static_selectorELNS0_4arch9wavefront6targetE1EEEvT1_
; %bb.0:
	.section	.rodata,"a",@progbits
	.p2align	6, 0x0
	.amdhsa_kernel _ZN7rocprim17ROCPRIM_400000_NS6detail17trampoline_kernelINS0_14default_configENS1_25partition_config_selectorILNS1_17partition_subalgoE0EtNS0_10empty_typeEbEEZZNS1_14partition_implILS5_0ELb0ES3_jN6thrust23THRUST_200600_302600_NS6detail15normal_iteratorINSA_10device_ptrItEEEEPS6_SG_NS0_5tupleIJNSA_16discard_iteratorINSA_11use_defaultEEESK_EEENSH_IJSG_SG_EEES6_PlJ7is_evenItEEEE10hipError_tPvRmT3_T4_T5_T6_T7_T9_mT8_P12ihipStream_tbDpT10_ENKUlT_T0_E_clISt17integral_constantIbLb1EES19_EEDaS14_S15_EUlS14_E_NS1_11comp_targetILNS1_3genE9ELNS1_11target_archE1100ELNS1_3gpuE3ELNS1_3repE0EEENS1_30default_config_static_selectorELNS0_4arch9wavefront6targetE1EEEvT1_
		.amdhsa_group_segment_fixed_size 0
		.amdhsa_private_segment_fixed_size 0
		.amdhsa_kernarg_size 152
		.amdhsa_user_sgpr_count 2
		.amdhsa_user_sgpr_dispatch_ptr 0
		.amdhsa_user_sgpr_queue_ptr 0
		.amdhsa_user_sgpr_kernarg_segment_ptr 1
		.amdhsa_user_sgpr_dispatch_id 0
		.amdhsa_user_sgpr_kernarg_preload_length 0
		.amdhsa_user_sgpr_kernarg_preload_offset 0
		.amdhsa_user_sgpr_private_segment_size 0
		.amdhsa_uses_dynamic_stack 0
		.amdhsa_enable_private_segment 0
		.amdhsa_system_sgpr_workgroup_id_x 1
		.amdhsa_system_sgpr_workgroup_id_y 0
		.amdhsa_system_sgpr_workgroup_id_z 0
		.amdhsa_system_sgpr_workgroup_info 0
		.amdhsa_system_vgpr_workitem_id 0
		.amdhsa_next_free_vgpr 1
		.amdhsa_next_free_sgpr 0
		.amdhsa_accum_offset 4
		.amdhsa_reserve_vcc 0
		.amdhsa_float_round_mode_32 0
		.amdhsa_float_round_mode_16_64 0
		.amdhsa_float_denorm_mode_32 3
		.amdhsa_float_denorm_mode_16_64 3
		.amdhsa_dx10_clamp 1
		.amdhsa_ieee_mode 1
		.amdhsa_fp16_overflow 0
		.amdhsa_tg_split 0
		.amdhsa_exception_fp_ieee_invalid_op 0
		.amdhsa_exception_fp_denorm_src 0
		.amdhsa_exception_fp_ieee_div_zero 0
		.amdhsa_exception_fp_ieee_overflow 0
		.amdhsa_exception_fp_ieee_underflow 0
		.amdhsa_exception_fp_ieee_inexact 0
		.amdhsa_exception_int_div_zero 0
	.end_amdhsa_kernel
	.section	.text._ZN7rocprim17ROCPRIM_400000_NS6detail17trampoline_kernelINS0_14default_configENS1_25partition_config_selectorILNS1_17partition_subalgoE0EtNS0_10empty_typeEbEEZZNS1_14partition_implILS5_0ELb0ES3_jN6thrust23THRUST_200600_302600_NS6detail15normal_iteratorINSA_10device_ptrItEEEEPS6_SG_NS0_5tupleIJNSA_16discard_iteratorINSA_11use_defaultEEESK_EEENSH_IJSG_SG_EEES6_PlJ7is_evenItEEEE10hipError_tPvRmT3_T4_T5_T6_T7_T9_mT8_P12ihipStream_tbDpT10_ENKUlT_T0_E_clISt17integral_constantIbLb1EES19_EEDaS14_S15_EUlS14_E_NS1_11comp_targetILNS1_3genE9ELNS1_11target_archE1100ELNS1_3gpuE3ELNS1_3repE0EEENS1_30default_config_static_selectorELNS0_4arch9wavefront6targetE1EEEvT1_,"axG",@progbits,_ZN7rocprim17ROCPRIM_400000_NS6detail17trampoline_kernelINS0_14default_configENS1_25partition_config_selectorILNS1_17partition_subalgoE0EtNS0_10empty_typeEbEEZZNS1_14partition_implILS5_0ELb0ES3_jN6thrust23THRUST_200600_302600_NS6detail15normal_iteratorINSA_10device_ptrItEEEEPS6_SG_NS0_5tupleIJNSA_16discard_iteratorINSA_11use_defaultEEESK_EEENSH_IJSG_SG_EEES6_PlJ7is_evenItEEEE10hipError_tPvRmT3_T4_T5_T6_T7_T9_mT8_P12ihipStream_tbDpT10_ENKUlT_T0_E_clISt17integral_constantIbLb1EES19_EEDaS14_S15_EUlS14_E_NS1_11comp_targetILNS1_3genE9ELNS1_11target_archE1100ELNS1_3gpuE3ELNS1_3repE0EEENS1_30default_config_static_selectorELNS0_4arch9wavefront6targetE1EEEvT1_,comdat
.Lfunc_end2505:
	.size	_ZN7rocprim17ROCPRIM_400000_NS6detail17trampoline_kernelINS0_14default_configENS1_25partition_config_selectorILNS1_17partition_subalgoE0EtNS0_10empty_typeEbEEZZNS1_14partition_implILS5_0ELb0ES3_jN6thrust23THRUST_200600_302600_NS6detail15normal_iteratorINSA_10device_ptrItEEEEPS6_SG_NS0_5tupleIJNSA_16discard_iteratorINSA_11use_defaultEEESK_EEENSH_IJSG_SG_EEES6_PlJ7is_evenItEEEE10hipError_tPvRmT3_T4_T5_T6_T7_T9_mT8_P12ihipStream_tbDpT10_ENKUlT_T0_E_clISt17integral_constantIbLb1EES19_EEDaS14_S15_EUlS14_E_NS1_11comp_targetILNS1_3genE9ELNS1_11target_archE1100ELNS1_3gpuE3ELNS1_3repE0EEENS1_30default_config_static_selectorELNS0_4arch9wavefront6targetE1EEEvT1_, .Lfunc_end2505-_ZN7rocprim17ROCPRIM_400000_NS6detail17trampoline_kernelINS0_14default_configENS1_25partition_config_selectorILNS1_17partition_subalgoE0EtNS0_10empty_typeEbEEZZNS1_14partition_implILS5_0ELb0ES3_jN6thrust23THRUST_200600_302600_NS6detail15normal_iteratorINSA_10device_ptrItEEEEPS6_SG_NS0_5tupleIJNSA_16discard_iteratorINSA_11use_defaultEEESK_EEENSH_IJSG_SG_EEES6_PlJ7is_evenItEEEE10hipError_tPvRmT3_T4_T5_T6_T7_T9_mT8_P12ihipStream_tbDpT10_ENKUlT_T0_E_clISt17integral_constantIbLb1EES19_EEDaS14_S15_EUlS14_E_NS1_11comp_targetILNS1_3genE9ELNS1_11target_archE1100ELNS1_3gpuE3ELNS1_3repE0EEENS1_30default_config_static_selectorELNS0_4arch9wavefront6targetE1EEEvT1_
                                        ; -- End function
	.section	.AMDGPU.csdata,"",@progbits
; Kernel info:
; codeLenInByte = 0
; NumSgprs: 6
; NumVgprs: 0
; NumAgprs: 0
; TotalNumVgprs: 0
; ScratchSize: 0
; MemoryBound: 0
; FloatMode: 240
; IeeeMode: 1
; LDSByteSize: 0 bytes/workgroup (compile time only)
; SGPRBlocks: 0
; VGPRBlocks: 0
; NumSGPRsForWavesPerEU: 6
; NumVGPRsForWavesPerEU: 1
; AccumOffset: 4
; Occupancy: 8
; WaveLimiterHint : 0
; COMPUTE_PGM_RSRC2:SCRATCH_EN: 0
; COMPUTE_PGM_RSRC2:USER_SGPR: 2
; COMPUTE_PGM_RSRC2:TRAP_HANDLER: 0
; COMPUTE_PGM_RSRC2:TGID_X_EN: 1
; COMPUTE_PGM_RSRC2:TGID_Y_EN: 0
; COMPUTE_PGM_RSRC2:TGID_Z_EN: 0
; COMPUTE_PGM_RSRC2:TIDIG_COMP_CNT: 0
; COMPUTE_PGM_RSRC3_GFX90A:ACCUM_OFFSET: 0
; COMPUTE_PGM_RSRC3_GFX90A:TG_SPLIT: 0
	.section	.text._ZN7rocprim17ROCPRIM_400000_NS6detail17trampoline_kernelINS0_14default_configENS1_25partition_config_selectorILNS1_17partition_subalgoE0EtNS0_10empty_typeEbEEZZNS1_14partition_implILS5_0ELb0ES3_jN6thrust23THRUST_200600_302600_NS6detail15normal_iteratorINSA_10device_ptrItEEEEPS6_SG_NS0_5tupleIJNSA_16discard_iteratorINSA_11use_defaultEEESK_EEENSH_IJSG_SG_EEES6_PlJ7is_evenItEEEE10hipError_tPvRmT3_T4_T5_T6_T7_T9_mT8_P12ihipStream_tbDpT10_ENKUlT_T0_E_clISt17integral_constantIbLb1EES19_EEDaS14_S15_EUlS14_E_NS1_11comp_targetILNS1_3genE8ELNS1_11target_archE1030ELNS1_3gpuE2ELNS1_3repE0EEENS1_30default_config_static_selectorELNS0_4arch9wavefront6targetE1EEEvT1_,"axG",@progbits,_ZN7rocprim17ROCPRIM_400000_NS6detail17trampoline_kernelINS0_14default_configENS1_25partition_config_selectorILNS1_17partition_subalgoE0EtNS0_10empty_typeEbEEZZNS1_14partition_implILS5_0ELb0ES3_jN6thrust23THRUST_200600_302600_NS6detail15normal_iteratorINSA_10device_ptrItEEEEPS6_SG_NS0_5tupleIJNSA_16discard_iteratorINSA_11use_defaultEEESK_EEENSH_IJSG_SG_EEES6_PlJ7is_evenItEEEE10hipError_tPvRmT3_T4_T5_T6_T7_T9_mT8_P12ihipStream_tbDpT10_ENKUlT_T0_E_clISt17integral_constantIbLb1EES19_EEDaS14_S15_EUlS14_E_NS1_11comp_targetILNS1_3genE8ELNS1_11target_archE1030ELNS1_3gpuE2ELNS1_3repE0EEENS1_30default_config_static_selectorELNS0_4arch9wavefront6targetE1EEEvT1_,comdat
	.protected	_ZN7rocprim17ROCPRIM_400000_NS6detail17trampoline_kernelINS0_14default_configENS1_25partition_config_selectorILNS1_17partition_subalgoE0EtNS0_10empty_typeEbEEZZNS1_14partition_implILS5_0ELb0ES3_jN6thrust23THRUST_200600_302600_NS6detail15normal_iteratorINSA_10device_ptrItEEEEPS6_SG_NS0_5tupleIJNSA_16discard_iteratorINSA_11use_defaultEEESK_EEENSH_IJSG_SG_EEES6_PlJ7is_evenItEEEE10hipError_tPvRmT3_T4_T5_T6_T7_T9_mT8_P12ihipStream_tbDpT10_ENKUlT_T0_E_clISt17integral_constantIbLb1EES19_EEDaS14_S15_EUlS14_E_NS1_11comp_targetILNS1_3genE8ELNS1_11target_archE1030ELNS1_3gpuE2ELNS1_3repE0EEENS1_30default_config_static_selectorELNS0_4arch9wavefront6targetE1EEEvT1_ ; -- Begin function _ZN7rocprim17ROCPRIM_400000_NS6detail17trampoline_kernelINS0_14default_configENS1_25partition_config_selectorILNS1_17partition_subalgoE0EtNS0_10empty_typeEbEEZZNS1_14partition_implILS5_0ELb0ES3_jN6thrust23THRUST_200600_302600_NS6detail15normal_iteratorINSA_10device_ptrItEEEEPS6_SG_NS0_5tupleIJNSA_16discard_iteratorINSA_11use_defaultEEESK_EEENSH_IJSG_SG_EEES6_PlJ7is_evenItEEEE10hipError_tPvRmT3_T4_T5_T6_T7_T9_mT8_P12ihipStream_tbDpT10_ENKUlT_T0_E_clISt17integral_constantIbLb1EES19_EEDaS14_S15_EUlS14_E_NS1_11comp_targetILNS1_3genE8ELNS1_11target_archE1030ELNS1_3gpuE2ELNS1_3repE0EEENS1_30default_config_static_selectorELNS0_4arch9wavefront6targetE1EEEvT1_
	.globl	_ZN7rocprim17ROCPRIM_400000_NS6detail17trampoline_kernelINS0_14default_configENS1_25partition_config_selectorILNS1_17partition_subalgoE0EtNS0_10empty_typeEbEEZZNS1_14partition_implILS5_0ELb0ES3_jN6thrust23THRUST_200600_302600_NS6detail15normal_iteratorINSA_10device_ptrItEEEEPS6_SG_NS0_5tupleIJNSA_16discard_iteratorINSA_11use_defaultEEESK_EEENSH_IJSG_SG_EEES6_PlJ7is_evenItEEEE10hipError_tPvRmT3_T4_T5_T6_T7_T9_mT8_P12ihipStream_tbDpT10_ENKUlT_T0_E_clISt17integral_constantIbLb1EES19_EEDaS14_S15_EUlS14_E_NS1_11comp_targetILNS1_3genE8ELNS1_11target_archE1030ELNS1_3gpuE2ELNS1_3repE0EEENS1_30default_config_static_selectorELNS0_4arch9wavefront6targetE1EEEvT1_
	.p2align	8
	.type	_ZN7rocprim17ROCPRIM_400000_NS6detail17trampoline_kernelINS0_14default_configENS1_25partition_config_selectorILNS1_17partition_subalgoE0EtNS0_10empty_typeEbEEZZNS1_14partition_implILS5_0ELb0ES3_jN6thrust23THRUST_200600_302600_NS6detail15normal_iteratorINSA_10device_ptrItEEEEPS6_SG_NS0_5tupleIJNSA_16discard_iteratorINSA_11use_defaultEEESK_EEENSH_IJSG_SG_EEES6_PlJ7is_evenItEEEE10hipError_tPvRmT3_T4_T5_T6_T7_T9_mT8_P12ihipStream_tbDpT10_ENKUlT_T0_E_clISt17integral_constantIbLb1EES19_EEDaS14_S15_EUlS14_E_NS1_11comp_targetILNS1_3genE8ELNS1_11target_archE1030ELNS1_3gpuE2ELNS1_3repE0EEENS1_30default_config_static_selectorELNS0_4arch9wavefront6targetE1EEEvT1_,@function
_ZN7rocprim17ROCPRIM_400000_NS6detail17trampoline_kernelINS0_14default_configENS1_25partition_config_selectorILNS1_17partition_subalgoE0EtNS0_10empty_typeEbEEZZNS1_14partition_implILS5_0ELb0ES3_jN6thrust23THRUST_200600_302600_NS6detail15normal_iteratorINSA_10device_ptrItEEEEPS6_SG_NS0_5tupleIJNSA_16discard_iteratorINSA_11use_defaultEEESK_EEENSH_IJSG_SG_EEES6_PlJ7is_evenItEEEE10hipError_tPvRmT3_T4_T5_T6_T7_T9_mT8_P12ihipStream_tbDpT10_ENKUlT_T0_E_clISt17integral_constantIbLb1EES19_EEDaS14_S15_EUlS14_E_NS1_11comp_targetILNS1_3genE8ELNS1_11target_archE1030ELNS1_3gpuE2ELNS1_3repE0EEENS1_30default_config_static_selectorELNS0_4arch9wavefront6targetE1EEEvT1_: ; @_ZN7rocprim17ROCPRIM_400000_NS6detail17trampoline_kernelINS0_14default_configENS1_25partition_config_selectorILNS1_17partition_subalgoE0EtNS0_10empty_typeEbEEZZNS1_14partition_implILS5_0ELb0ES3_jN6thrust23THRUST_200600_302600_NS6detail15normal_iteratorINSA_10device_ptrItEEEEPS6_SG_NS0_5tupleIJNSA_16discard_iteratorINSA_11use_defaultEEESK_EEENSH_IJSG_SG_EEES6_PlJ7is_evenItEEEE10hipError_tPvRmT3_T4_T5_T6_T7_T9_mT8_P12ihipStream_tbDpT10_ENKUlT_T0_E_clISt17integral_constantIbLb1EES19_EEDaS14_S15_EUlS14_E_NS1_11comp_targetILNS1_3genE8ELNS1_11target_archE1030ELNS1_3gpuE2ELNS1_3repE0EEENS1_30default_config_static_selectorELNS0_4arch9wavefront6targetE1EEEvT1_
; %bb.0:
	.section	.rodata,"a",@progbits
	.p2align	6, 0x0
	.amdhsa_kernel _ZN7rocprim17ROCPRIM_400000_NS6detail17trampoline_kernelINS0_14default_configENS1_25partition_config_selectorILNS1_17partition_subalgoE0EtNS0_10empty_typeEbEEZZNS1_14partition_implILS5_0ELb0ES3_jN6thrust23THRUST_200600_302600_NS6detail15normal_iteratorINSA_10device_ptrItEEEEPS6_SG_NS0_5tupleIJNSA_16discard_iteratorINSA_11use_defaultEEESK_EEENSH_IJSG_SG_EEES6_PlJ7is_evenItEEEE10hipError_tPvRmT3_T4_T5_T6_T7_T9_mT8_P12ihipStream_tbDpT10_ENKUlT_T0_E_clISt17integral_constantIbLb1EES19_EEDaS14_S15_EUlS14_E_NS1_11comp_targetILNS1_3genE8ELNS1_11target_archE1030ELNS1_3gpuE2ELNS1_3repE0EEENS1_30default_config_static_selectorELNS0_4arch9wavefront6targetE1EEEvT1_
		.amdhsa_group_segment_fixed_size 0
		.amdhsa_private_segment_fixed_size 0
		.amdhsa_kernarg_size 152
		.amdhsa_user_sgpr_count 2
		.amdhsa_user_sgpr_dispatch_ptr 0
		.amdhsa_user_sgpr_queue_ptr 0
		.amdhsa_user_sgpr_kernarg_segment_ptr 1
		.amdhsa_user_sgpr_dispatch_id 0
		.amdhsa_user_sgpr_kernarg_preload_length 0
		.amdhsa_user_sgpr_kernarg_preload_offset 0
		.amdhsa_user_sgpr_private_segment_size 0
		.amdhsa_uses_dynamic_stack 0
		.amdhsa_enable_private_segment 0
		.amdhsa_system_sgpr_workgroup_id_x 1
		.amdhsa_system_sgpr_workgroup_id_y 0
		.amdhsa_system_sgpr_workgroup_id_z 0
		.amdhsa_system_sgpr_workgroup_info 0
		.amdhsa_system_vgpr_workitem_id 0
		.amdhsa_next_free_vgpr 1
		.amdhsa_next_free_sgpr 0
		.amdhsa_accum_offset 4
		.amdhsa_reserve_vcc 0
		.amdhsa_float_round_mode_32 0
		.amdhsa_float_round_mode_16_64 0
		.amdhsa_float_denorm_mode_32 3
		.amdhsa_float_denorm_mode_16_64 3
		.amdhsa_dx10_clamp 1
		.amdhsa_ieee_mode 1
		.amdhsa_fp16_overflow 0
		.amdhsa_tg_split 0
		.amdhsa_exception_fp_ieee_invalid_op 0
		.amdhsa_exception_fp_denorm_src 0
		.amdhsa_exception_fp_ieee_div_zero 0
		.amdhsa_exception_fp_ieee_overflow 0
		.amdhsa_exception_fp_ieee_underflow 0
		.amdhsa_exception_fp_ieee_inexact 0
		.amdhsa_exception_int_div_zero 0
	.end_amdhsa_kernel
	.section	.text._ZN7rocprim17ROCPRIM_400000_NS6detail17trampoline_kernelINS0_14default_configENS1_25partition_config_selectorILNS1_17partition_subalgoE0EtNS0_10empty_typeEbEEZZNS1_14partition_implILS5_0ELb0ES3_jN6thrust23THRUST_200600_302600_NS6detail15normal_iteratorINSA_10device_ptrItEEEEPS6_SG_NS0_5tupleIJNSA_16discard_iteratorINSA_11use_defaultEEESK_EEENSH_IJSG_SG_EEES6_PlJ7is_evenItEEEE10hipError_tPvRmT3_T4_T5_T6_T7_T9_mT8_P12ihipStream_tbDpT10_ENKUlT_T0_E_clISt17integral_constantIbLb1EES19_EEDaS14_S15_EUlS14_E_NS1_11comp_targetILNS1_3genE8ELNS1_11target_archE1030ELNS1_3gpuE2ELNS1_3repE0EEENS1_30default_config_static_selectorELNS0_4arch9wavefront6targetE1EEEvT1_,"axG",@progbits,_ZN7rocprim17ROCPRIM_400000_NS6detail17trampoline_kernelINS0_14default_configENS1_25partition_config_selectorILNS1_17partition_subalgoE0EtNS0_10empty_typeEbEEZZNS1_14partition_implILS5_0ELb0ES3_jN6thrust23THRUST_200600_302600_NS6detail15normal_iteratorINSA_10device_ptrItEEEEPS6_SG_NS0_5tupleIJNSA_16discard_iteratorINSA_11use_defaultEEESK_EEENSH_IJSG_SG_EEES6_PlJ7is_evenItEEEE10hipError_tPvRmT3_T4_T5_T6_T7_T9_mT8_P12ihipStream_tbDpT10_ENKUlT_T0_E_clISt17integral_constantIbLb1EES19_EEDaS14_S15_EUlS14_E_NS1_11comp_targetILNS1_3genE8ELNS1_11target_archE1030ELNS1_3gpuE2ELNS1_3repE0EEENS1_30default_config_static_selectorELNS0_4arch9wavefront6targetE1EEEvT1_,comdat
.Lfunc_end2506:
	.size	_ZN7rocprim17ROCPRIM_400000_NS6detail17trampoline_kernelINS0_14default_configENS1_25partition_config_selectorILNS1_17partition_subalgoE0EtNS0_10empty_typeEbEEZZNS1_14partition_implILS5_0ELb0ES3_jN6thrust23THRUST_200600_302600_NS6detail15normal_iteratorINSA_10device_ptrItEEEEPS6_SG_NS0_5tupleIJNSA_16discard_iteratorINSA_11use_defaultEEESK_EEENSH_IJSG_SG_EEES6_PlJ7is_evenItEEEE10hipError_tPvRmT3_T4_T5_T6_T7_T9_mT8_P12ihipStream_tbDpT10_ENKUlT_T0_E_clISt17integral_constantIbLb1EES19_EEDaS14_S15_EUlS14_E_NS1_11comp_targetILNS1_3genE8ELNS1_11target_archE1030ELNS1_3gpuE2ELNS1_3repE0EEENS1_30default_config_static_selectorELNS0_4arch9wavefront6targetE1EEEvT1_, .Lfunc_end2506-_ZN7rocprim17ROCPRIM_400000_NS6detail17trampoline_kernelINS0_14default_configENS1_25partition_config_selectorILNS1_17partition_subalgoE0EtNS0_10empty_typeEbEEZZNS1_14partition_implILS5_0ELb0ES3_jN6thrust23THRUST_200600_302600_NS6detail15normal_iteratorINSA_10device_ptrItEEEEPS6_SG_NS0_5tupleIJNSA_16discard_iteratorINSA_11use_defaultEEESK_EEENSH_IJSG_SG_EEES6_PlJ7is_evenItEEEE10hipError_tPvRmT3_T4_T5_T6_T7_T9_mT8_P12ihipStream_tbDpT10_ENKUlT_T0_E_clISt17integral_constantIbLb1EES19_EEDaS14_S15_EUlS14_E_NS1_11comp_targetILNS1_3genE8ELNS1_11target_archE1030ELNS1_3gpuE2ELNS1_3repE0EEENS1_30default_config_static_selectorELNS0_4arch9wavefront6targetE1EEEvT1_
                                        ; -- End function
	.section	.AMDGPU.csdata,"",@progbits
; Kernel info:
; codeLenInByte = 0
; NumSgprs: 6
; NumVgprs: 0
; NumAgprs: 0
; TotalNumVgprs: 0
; ScratchSize: 0
; MemoryBound: 0
; FloatMode: 240
; IeeeMode: 1
; LDSByteSize: 0 bytes/workgroup (compile time only)
; SGPRBlocks: 0
; VGPRBlocks: 0
; NumSGPRsForWavesPerEU: 6
; NumVGPRsForWavesPerEU: 1
; AccumOffset: 4
; Occupancy: 8
; WaveLimiterHint : 0
; COMPUTE_PGM_RSRC2:SCRATCH_EN: 0
; COMPUTE_PGM_RSRC2:USER_SGPR: 2
; COMPUTE_PGM_RSRC2:TRAP_HANDLER: 0
; COMPUTE_PGM_RSRC2:TGID_X_EN: 1
; COMPUTE_PGM_RSRC2:TGID_Y_EN: 0
; COMPUTE_PGM_RSRC2:TGID_Z_EN: 0
; COMPUTE_PGM_RSRC2:TIDIG_COMP_CNT: 0
; COMPUTE_PGM_RSRC3_GFX90A:ACCUM_OFFSET: 0
; COMPUTE_PGM_RSRC3_GFX90A:TG_SPLIT: 0
	.section	.text._ZN7rocprim17ROCPRIM_400000_NS6detail17trampoline_kernelINS0_14default_configENS1_25partition_config_selectorILNS1_17partition_subalgoE0EtNS0_10empty_typeEbEEZZNS1_14partition_implILS5_0ELb0ES3_jN6thrust23THRUST_200600_302600_NS6detail15normal_iteratorINSA_10device_ptrItEEEEPS6_SG_NS0_5tupleIJNSA_16discard_iteratorINSA_11use_defaultEEESK_EEENSH_IJSG_SG_EEES6_PlJ7is_evenItEEEE10hipError_tPvRmT3_T4_T5_T6_T7_T9_mT8_P12ihipStream_tbDpT10_ENKUlT_T0_E_clISt17integral_constantIbLb1EES18_IbLb0EEEEDaS14_S15_EUlS14_E_NS1_11comp_targetILNS1_3genE0ELNS1_11target_archE4294967295ELNS1_3gpuE0ELNS1_3repE0EEENS1_30default_config_static_selectorELNS0_4arch9wavefront6targetE1EEEvT1_,"axG",@progbits,_ZN7rocprim17ROCPRIM_400000_NS6detail17trampoline_kernelINS0_14default_configENS1_25partition_config_selectorILNS1_17partition_subalgoE0EtNS0_10empty_typeEbEEZZNS1_14partition_implILS5_0ELb0ES3_jN6thrust23THRUST_200600_302600_NS6detail15normal_iteratorINSA_10device_ptrItEEEEPS6_SG_NS0_5tupleIJNSA_16discard_iteratorINSA_11use_defaultEEESK_EEENSH_IJSG_SG_EEES6_PlJ7is_evenItEEEE10hipError_tPvRmT3_T4_T5_T6_T7_T9_mT8_P12ihipStream_tbDpT10_ENKUlT_T0_E_clISt17integral_constantIbLb1EES18_IbLb0EEEEDaS14_S15_EUlS14_E_NS1_11comp_targetILNS1_3genE0ELNS1_11target_archE4294967295ELNS1_3gpuE0ELNS1_3repE0EEENS1_30default_config_static_selectorELNS0_4arch9wavefront6targetE1EEEvT1_,comdat
	.protected	_ZN7rocprim17ROCPRIM_400000_NS6detail17trampoline_kernelINS0_14default_configENS1_25partition_config_selectorILNS1_17partition_subalgoE0EtNS0_10empty_typeEbEEZZNS1_14partition_implILS5_0ELb0ES3_jN6thrust23THRUST_200600_302600_NS6detail15normal_iteratorINSA_10device_ptrItEEEEPS6_SG_NS0_5tupleIJNSA_16discard_iteratorINSA_11use_defaultEEESK_EEENSH_IJSG_SG_EEES6_PlJ7is_evenItEEEE10hipError_tPvRmT3_T4_T5_T6_T7_T9_mT8_P12ihipStream_tbDpT10_ENKUlT_T0_E_clISt17integral_constantIbLb1EES18_IbLb0EEEEDaS14_S15_EUlS14_E_NS1_11comp_targetILNS1_3genE0ELNS1_11target_archE4294967295ELNS1_3gpuE0ELNS1_3repE0EEENS1_30default_config_static_selectorELNS0_4arch9wavefront6targetE1EEEvT1_ ; -- Begin function _ZN7rocprim17ROCPRIM_400000_NS6detail17trampoline_kernelINS0_14default_configENS1_25partition_config_selectorILNS1_17partition_subalgoE0EtNS0_10empty_typeEbEEZZNS1_14partition_implILS5_0ELb0ES3_jN6thrust23THRUST_200600_302600_NS6detail15normal_iteratorINSA_10device_ptrItEEEEPS6_SG_NS0_5tupleIJNSA_16discard_iteratorINSA_11use_defaultEEESK_EEENSH_IJSG_SG_EEES6_PlJ7is_evenItEEEE10hipError_tPvRmT3_T4_T5_T6_T7_T9_mT8_P12ihipStream_tbDpT10_ENKUlT_T0_E_clISt17integral_constantIbLb1EES18_IbLb0EEEEDaS14_S15_EUlS14_E_NS1_11comp_targetILNS1_3genE0ELNS1_11target_archE4294967295ELNS1_3gpuE0ELNS1_3repE0EEENS1_30default_config_static_selectorELNS0_4arch9wavefront6targetE1EEEvT1_
	.globl	_ZN7rocprim17ROCPRIM_400000_NS6detail17trampoline_kernelINS0_14default_configENS1_25partition_config_selectorILNS1_17partition_subalgoE0EtNS0_10empty_typeEbEEZZNS1_14partition_implILS5_0ELb0ES3_jN6thrust23THRUST_200600_302600_NS6detail15normal_iteratorINSA_10device_ptrItEEEEPS6_SG_NS0_5tupleIJNSA_16discard_iteratorINSA_11use_defaultEEESK_EEENSH_IJSG_SG_EEES6_PlJ7is_evenItEEEE10hipError_tPvRmT3_T4_T5_T6_T7_T9_mT8_P12ihipStream_tbDpT10_ENKUlT_T0_E_clISt17integral_constantIbLb1EES18_IbLb0EEEEDaS14_S15_EUlS14_E_NS1_11comp_targetILNS1_3genE0ELNS1_11target_archE4294967295ELNS1_3gpuE0ELNS1_3repE0EEENS1_30default_config_static_selectorELNS0_4arch9wavefront6targetE1EEEvT1_
	.p2align	8
	.type	_ZN7rocprim17ROCPRIM_400000_NS6detail17trampoline_kernelINS0_14default_configENS1_25partition_config_selectorILNS1_17partition_subalgoE0EtNS0_10empty_typeEbEEZZNS1_14partition_implILS5_0ELb0ES3_jN6thrust23THRUST_200600_302600_NS6detail15normal_iteratorINSA_10device_ptrItEEEEPS6_SG_NS0_5tupleIJNSA_16discard_iteratorINSA_11use_defaultEEESK_EEENSH_IJSG_SG_EEES6_PlJ7is_evenItEEEE10hipError_tPvRmT3_T4_T5_T6_T7_T9_mT8_P12ihipStream_tbDpT10_ENKUlT_T0_E_clISt17integral_constantIbLb1EES18_IbLb0EEEEDaS14_S15_EUlS14_E_NS1_11comp_targetILNS1_3genE0ELNS1_11target_archE4294967295ELNS1_3gpuE0ELNS1_3repE0EEENS1_30default_config_static_selectorELNS0_4arch9wavefront6targetE1EEEvT1_,@function
_ZN7rocprim17ROCPRIM_400000_NS6detail17trampoline_kernelINS0_14default_configENS1_25partition_config_selectorILNS1_17partition_subalgoE0EtNS0_10empty_typeEbEEZZNS1_14partition_implILS5_0ELb0ES3_jN6thrust23THRUST_200600_302600_NS6detail15normal_iteratorINSA_10device_ptrItEEEEPS6_SG_NS0_5tupleIJNSA_16discard_iteratorINSA_11use_defaultEEESK_EEENSH_IJSG_SG_EEES6_PlJ7is_evenItEEEE10hipError_tPvRmT3_T4_T5_T6_T7_T9_mT8_P12ihipStream_tbDpT10_ENKUlT_T0_E_clISt17integral_constantIbLb1EES18_IbLb0EEEEDaS14_S15_EUlS14_E_NS1_11comp_targetILNS1_3genE0ELNS1_11target_archE4294967295ELNS1_3gpuE0ELNS1_3repE0EEENS1_30default_config_static_selectorELNS0_4arch9wavefront6targetE1EEEvT1_: ; @_ZN7rocprim17ROCPRIM_400000_NS6detail17trampoline_kernelINS0_14default_configENS1_25partition_config_selectorILNS1_17partition_subalgoE0EtNS0_10empty_typeEbEEZZNS1_14partition_implILS5_0ELb0ES3_jN6thrust23THRUST_200600_302600_NS6detail15normal_iteratorINSA_10device_ptrItEEEEPS6_SG_NS0_5tupleIJNSA_16discard_iteratorINSA_11use_defaultEEESK_EEENSH_IJSG_SG_EEES6_PlJ7is_evenItEEEE10hipError_tPvRmT3_T4_T5_T6_T7_T9_mT8_P12ihipStream_tbDpT10_ENKUlT_T0_E_clISt17integral_constantIbLb1EES18_IbLb0EEEEDaS14_S15_EUlS14_E_NS1_11comp_targetILNS1_3genE0ELNS1_11target_archE4294967295ELNS1_3gpuE0ELNS1_3repE0EEENS1_30default_config_static_selectorELNS0_4arch9wavefront6targetE1EEEvT1_
; %bb.0:
	.section	.rodata,"a",@progbits
	.p2align	6, 0x0
	.amdhsa_kernel _ZN7rocprim17ROCPRIM_400000_NS6detail17trampoline_kernelINS0_14default_configENS1_25partition_config_selectorILNS1_17partition_subalgoE0EtNS0_10empty_typeEbEEZZNS1_14partition_implILS5_0ELb0ES3_jN6thrust23THRUST_200600_302600_NS6detail15normal_iteratorINSA_10device_ptrItEEEEPS6_SG_NS0_5tupleIJNSA_16discard_iteratorINSA_11use_defaultEEESK_EEENSH_IJSG_SG_EEES6_PlJ7is_evenItEEEE10hipError_tPvRmT3_T4_T5_T6_T7_T9_mT8_P12ihipStream_tbDpT10_ENKUlT_T0_E_clISt17integral_constantIbLb1EES18_IbLb0EEEEDaS14_S15_EUlS14_E_NS1_11comp_targetILNS1_3genE0ELNS1_11target_archE4294967295ELNS1_3gpuE0ELNS1_3repE0EEENS1_30default_config_static_selectorELNS0_4arch9wavefront6targetE1EEEvT1_
		.amdhsa_group_segment_fixed_size 0
		.amdhsa_private_segment_fixed_size 0
		.amdhsa_kernarg_size 136
		.amdhsa_user_sgpr_count 2
		.amdhsa_user_sgpr_dispatch_ptr 0
		.amdhsa_user_sgpr_queue_ptr 0
		.amdhsa_user_sgpr_kernarg_segment_ptr 1
		.amdhsa_user_sgpr_dispatch_id 0
		.amdhsa_user_sgpr_kernarg_preload_length 0
		.amdhsa_user_sgpr_kernarg_preload_offset 0
		.amdhsa_user_sgpr_private_segment_size 0
		.amdhsa_uses_dynamic_stack 0
		.amdhsa_enable_private_segment 0
		.amdhsa_system_sgpr_workgroup_id_x 1
		.amdhsa_system_sgpr_workgroup_id_y 0
		.amdhsa_system_sgpr_workgroup_id_z 0
		.amdhsa_system_sgpr_workgroup_info 0
		.amdhsa_system_vgpr_workitem_id 0
		.amdhsa_next_free_vgpr 1
		.amdhsa_next_free_sgpr 0
		.amdhsa_accum_offset 4
		.amdhsa_reserve_vcc 0
		.amdhsa_float_round_mode_32 0
		.amdhsa_float_round_mode_16_64 0
		.amdhsa_float_denorm_mode_32 3
		.amdhsa_float_denorm_mode_16_64 3
		.amdhsa_dx10_clamp 1
		.amdhsa_ieee_mode 1
		.amdhsa_fp16_overflow 0
		.amdhsa_tg_split 0
		.amdhsa_exception_fp_ieee_invalid_op 0
		.amdhsa_exception_fp_denorm_src 0
		.amdhsa_exception_fp_ieee_div_zero 0
		.amdhsa_exception_fp_ieee_overflow 0
		.amdhsa_exception_fp_ieee_underflow 0
		.amdhsa_exception_fp_ieee_inexact 0
		.amdhsa_exception_int_div_zero 0
	.end_amdhsa_kernel
	.section	.text._ZN7rocprim17ROCPRIM_400000_NS6detail17trampoline_kernelINS0_14default_configENS1_25partition_config_selectorILNS1_17partition_subalgoE0EtNS0_10empty_typeEbEEZZNS1_14partition_implILS5_0ELb0ES3_jN6thrust23THRUST_200600_302600_NS6detail15normal_iteratorINSA_10device_ptrItEEEEPS6_SG_NS0_5tupleIJNSA_16discard_iteratorINSA_11use_defaultEEESK_EEENSH_IJSG_SG_EEES6_PlJ7is_evenItEEEE10hipError_tPvRmT3_T4_T5_T6_T7_T9_mT8_P12ihipStream_tbDpT10_ENKUlT_T0_E_clISt17integral_constantIbLb1EES18_IbLb0EEEEDaS14_S15_EUlS14_E_NS1_11comp_targetILNS1_3genE0ELNS1_11target_archE4294967295ELNS1_3gpuE0ELNS1_3repE0EEENS1_30default_config_static_selectorELNS0_4arch9wavefront6targetE1EEEvT1_,"axG",@progbits,_ZN7rocprim17ROCPRIM_400000_NS6detail17trampoline_kernelINS0_14default_configENS1_25partition_config_selectorILNS1_17partition_subalgoE0EtNS0_10empty_typeEbEEZZNS1_14partition_implILS5_0ELb0ES3_jN6thrust23THRUST_200600_302600_NS6detail15normal_iteratorINSA_10device_ptrItEEEEPS6_SG_NS0_5tupleIJNSA_16discard_iteratorINSA_11use_defaultEEESK_EEENSH_IJSG_SG_EEES6_PlJ7is_evenItEEEE10hipError_tPvRmT3_T4_T5_T6_T7_T9_mT8_P12ihipStream_tbDpT10_ENKUlT_T0_E_clISt17integral_constantIbLb1EES18_IbLb0EEEEDaS14_S15_EUlS14_E_NS1_11comp_targetILNS1_3genE0ELNS1_11target_archE4294967295ELNS1_3gpuE0ELNS1_3repE0EEENS1_30default_config_static_selectorELNS0_4arch9wavefront6targetE1EEEvT1_,comdat
.Lfunc_end2507:
	.size	_ZN7rocprim17ROCPRIM_400000_NS6detail17trampoline_kernelINS0_14default_configENS1_25partition_config_selectorILNS1_17partition_subalgoE0EtNS0_10empty_typeEbEEZZNS1_14partition_implILS5_0ELb0ES3_jN6thrust23THRUST_200600_302600_NS6detail15normal_iteratorINSA_10device_ptrItEEEEPS6_SG_NS0_5tupleIJNSA_16discard_iteratorINSA_11use_defaultEEESK_EEENSH_IJSG_SG_EEES6_PlJ7is_evenItEEEE10hipError_tPvRmT3_T4_T5_T6_T7_T9_mT8_P12ihipStream_tbDpT10_ENKUlT_T0_E_clISt17integral_constantIbLb1EES18_IbLb0EEEEDaS14_S15_EUlS14_E_NS1_11comp_targetILNS1_3genE0ELNS1_11target_archE4294967295ELNS1_3gpuE0ELNS1_3repE0EEENS1_30default_config_static_selectorELNS0_4arch9wavefront6targetE1EEEvT1_, .Lfunc_end2507-_ZN7rocprim17ROCPRIM_400000_NS6detail17trampoline_kernelINS0_14default_configENS1_25partition_config_selectorILNS1_17partition_subalgoE0EtNS0_10empty_typeEbEEZZNS1_14partition_implILS5_0ELb0ES3_jN6thrust23THRUST_200600_302600_NS6detail15normal_iteratorINSA_10device_ptrItEEEEPS6_SG_NS0_5tupleIJNSA_16discard_iteratorINSA_11use_defaultEEESK_EEENSH_IJSG_SG_EEES6_PlJ7is_evenItEEEE10hipError_tPvRmT3_T4_T5_T6_T7_T9_mT8_P12ihipStream_tbDpT10_ENKUlT_T0_E_clISt17integral_constantIbLb1EES18_IbLb0EEEEDaS14_S15_EUlS14_E_NS1_11comp_targetILNS1_3genE0ELNS1_11target_archE4294967295ELNS1_3gpuE0ELNS1_3repE0EEENS1_30default_config_static_selectorELNS0_4arch9wavefront6targetE1EEEvT1_
                                        ; -- End function
	.section	.AMDGPU.csdata,"",@progbits
; Kernel info:
; codeLenInByte = 0
; NumSgprs: 6
; NumVgprs: 0
; NumAgprs: 0
; TotalNumVgprs: 0
; ScratchSize: 0
; MemoryBound: 0
; FloatMode: 240
; IeeeMode: 1
; LDSByteSize: 0 bytes/workgroup (compile time only)
; SGPRBlocks: 0
; VGPRBlocks: 0
; NumSGPRsForWavesPerEU: 6
; NumVGPRsForWavesPerEU: 1
; AccumOffset: 4
; Occupancy: 8
; WaveLimiterHint : 0
; COMPUTE_PGM_RSRC2:SCRATCH_EN: 0
; COMPUTE_PGM_RSRC2:USER_SGPR: 2
; COMPUTE_PGM_RSRC2:TRAP_HANDLER: 0
; COMPUTE_PGM_RSRC2:TGID_X_EN: 1
; COMPUTE_PGM_RSRC2:TGID_Y_EN: 0
; COMPUTE_PGM_RSRC2:TGID_Z_EN: 0
; COMPUTE_PGM_RSRC2:TIDIG_COMP_CNT: 0
; COMPUTE_PGM_RSRC3_GFX90A:ACCUM_OFFSET: 0
; COMPUTE_PGM_RSRC3_GFX90A:TG_SPLIT: 0
	.section	.text._ZN7rocprim17ROCPRIM_400000_NS6detail17trampoline_kernelINS0_14default_configENS1_25partition_config_selectorILNS1_17partition_subalgoE0EtNS0_10empty_typeEbEEZZNS1_14partition_implILS5_0ELb0ES3_jN6thrust23THRUST_200600_302600_NS6detail15normal_iteratorINSA_10device_ptrItEEEEPS6_SG_NS0_5tupleIJNSA_16discard_iteratorINSA_11use_defaultEEESK_EEENSH_IJSG_SG_EEES6_PlJ7is_evenItEEEE10hipError_tPvRmT3_T4_T5_T6_T7_T9_mT8_P12ihipStream_tbDpT10_ENKUlT_T0_E_clISt17integral_constantIbLb1EES18_IbLb0EEEEDaS14_S15_EUlS14_E_NS1_11comp_targetILNS1_3genE5ELNS1_11target_archE942ELNS1_3gpuE9ELNS1_3repE0EEENS1_30default_config_static_selectorELNS0_4arch9wavefront6targetE1EEEvT1_,"axG",@progbits,_ZN7rocprim17ROCPRIM_400000_NS6detail17trampoline_kernelINS0_14default_configENS1_25partition_config_selectorILNS1_17partition_subalgoE0EtNS0_10empty_typeEbEEZZNS1_14partition_implILS5_0ELb0ES3_jN6thrust23THRUST_200600_302600_NS6detail15normal_iteratorINSA_10device_ptrItEEEEPS6_SG_NS0_5tupleIJNSA_16discard_iteratorINSA_11use_defaultEEESK_EEENSH_IJSG_SG_EEES6_PlJ7is_evenItEEEE10hipError_tPvRmT3_T4_T5_T6_T7_T9_mT8_P12ihipStream_tbDpT10_ENKUlT_T0_E_clISt17integral_constantIbLb1EES18_IbLb0EEEEDaS14_S15_EUlS14_E_NS1_11comp_targetILNS1_3genE5ELNS1_11target_archE942ELNS1_3gpuE9ELNS1_3repE0EEENS1_30default_config_static_selectorELNS0_4arch9wavefront6targetE1EEEvT1_,comdat
	.protected	_ZN7rocprim17ROCPRIM_400000_NS6detail17trampoline_kernelINS0_14default_configENS1_25partition_config_selectorILNS1_17partition_subalgoE0EtNS0_10empty_typeEbEEZZNS1_14partition_implILS5_0ELb0ES3_jN6thrust23THRUST_200600_302600_NS6detail15normal_iteratorINSA_10device_ptrItEEEEPS6_SG_NS0_5tupleIJNSA_16discard_iteratorINSA_11use_defaultEEESK_EEENSH_IJSG_SG_EEES6_PlJ7is_evenItEEEE10hipError_tPvRmT3_T4_T5_T6_T7_T9_mT8_P12ihipStream_tbDpT10_ENKUlT_T0_E_clISt17integral_constantIbLb1EES18_IbLb0EEEEDaS14_S15_EUlS14_E_NS1_11comp_targetILNS1_3genE5ELNS1_11target_archE942ELNS1_3gpuE9ELNS1_3repE0EEENS1_30default_config_static_selectorELNS0_4arch9wavefront6targetE1EEEvT1_ ; -- Begin function _ZN7rocprim17ROCPRIM_400000_NS6detail17trampoline_kernelINS0_14default_configENS1_25partition_config_selectorILNS1_17partition_subalgoE0EtNS0_10empty_typeEbEEZZNS1_14partition_implILS5_0ELb0ES3_jN6thrust23THRUST_200600_302600_NS6detail15normal_iteratorINSA_10device_ptrItEEEEPS6_SG_NS0_5tupleIJNSA_16discard_iteratorINSA_11use_defaultEEESK_EEENSH_IJSG_SG_EEES6_PlJ7is_evenItEEEE10hipError_tPvRmT3_T4_T5_T6_T7_T9_mT8_P12ihipStream_tbDpT10_ENKUlT_T0_E_clISt17integral_constantIbLb1EES18_IbLb0EEEEDaS14_S15_EUlS14_E_NS1_11comp_targetILNS1_3genE5ELNS1_11target_archE942ELNS1_3gpuE9ELNS1_3repE0EEENS1_30default_config_static_selectorELNS0_4arch9wavefront6targetE1EEEvT1_
	.globl	_ZN7rocprim17ROCPRIM_400000_NS6detail17trampoline_kernelINS0_14default_configENS1_25partition_config_selectorILNS1_17partition_subalgoE0EtNS0_10empty_typeEbEEZZNS1_14partition_implILS5_0ELb0ES3_jN6thrust23THRUST_200600_302600_NS6detail15normal_iteratorINSA_10device_ptrItEEEEPS6_SG_NS0_5tupleIJNSA_16discard_iteratorINSA_11use_defaultEEESK_EEENSH_IJSG_SG_EEES6_PlJ7is_evenItEEEE10hipError_tPvRmT3_T4_T5_T6_T7_T9_mT8_P12ihipStream_tbDpT10_ENKUlT_T0_E_clISt17integral_constantIbLb1EES18_IbLb0EEEEDaS14_S15_EUlS14_E_NS1_11comp_targetILNS1_3genE5ELNS1_11target_archE942ELNS1_3gpuE9ELNS1_3repE0EEENS1_30default_config_static_selectorELNS0_4arch9wavefront6targetE1EEEvT1_
	.p2align	8
	.type	_ZN7rocprim17ROCPRIM_400000_NS6detail17trampoline_kernelINS0_14default_configENS1_25partition_config_selectorILNS1_17partition_subalgoE0EtNS0_10empty_typeEbEEZZNS1_14partition_implILS5_0ELb0ES3_jN6thrust23THRUST_200600_302600_NS6detail15normal_iteratorINSA_10device_ptrItEEEEPS6_SG_NS0_5tupleIJNSA_16discard_iteratorINSA_11use_defaultEEESK_EEENSH_IJSG_SG_EEES6_PlJ7is_evenItEEEE10hipError_tPvRmT3_T4_T5_T6_T7_T9_mT8_P12ihipStream_tbDpT10_ENKUlT_T0_E_clISt17integral_constantIbLb1EES18_IbLb0EEEEDaS14_S15_EUlS14_E_NS1_11comp_targetILNS1_3genE5ELNS1_11target_archE942ELNS1_3gpuE9ELNS1_3repE0EEENS1_30default_config_static_selectorELNS0_4arch9wavefront6targetE1EEEvT1_,@function
_ZN7rocprim17ROCPRIM_400000_NS6detail17trampoline_kernelINS0_14default_configENS1_25partition_config_selectorILNS1_17partition_subalgoE0EtNS0_10empty_typeEbEEZZNS1_14partition_implILS5_0ELb0ES3_jN6thrust23THRUST_200600_302600_NS6detail15normal_iteratorINSA_10device_ptrItEEEEPS6_SG_NS0_5tupleIJNSA_16discard_iteratorINSA_11use_defaultEEESK_EEENSH_IJSG_SG_EEES6_PlJ7is_evenItEEEE10hipError_tPvRmT3_T4_T5_T6_T7_T9_mT8_P12ihipStream_tbDpT10_ENKUlT_T0_E_clISt17integral_constantIbLb1EES18_IbLb0EEEEDaS14_S15_EUlS14_E_NS1_11comp_targetILNS1_3genE5ELNS1_11target_archE942ELNS1_3gpuE9ELNS1_3repE0EEENS1_30default_config_static_selectorELNS0_4arch9wavefront6targetE1EEEvT1_: ; @_ZN7rocprim17ROCPRIM_400000_NS6detail17trampoline_kernelINS0_14default_configENS1_25partition_config_selectorILNS1_17partition_subalgoE0EtNS0_10empty_typeEbEEZZNS1_14partition_implILS5_0ELb0ES3_jN6thrust23THRUST_200600_302600_NS6detail15normal_iteratorINSA_10device_ptrItEEEEPS6_SG_NS0_5tupleIJNSA_16discard_iteratorINSA_11use_defaultEEESK_EEENSH_IJSG_SG_EEES6_PlJ7is_evenItEEEE10hipError_tPvRmT3_T4_T5_T6_T7_T9_mT8_P12ihipStream_tbDpT10_ENKUlT_T0_E_clISt17integral_constantIbLb1EES18_IbLb0EEEEDaS14_S15_EUlS14_E_NS1_11comp_targetILNS1_3genE5ELNS1_11target_archE942ELNS1_3gpuE9ELNS1_3repE0EEENS1_30default_config_static_selectorELNS0_4arch9wavefront6targetE1EEEvT1_
; %bb.0:
	s_load_dwordx2 s[8:9], s[0:1], 0x68
	s_load_dwordx4 s[4:7], s[0:1], 0x8
	s_load_dwordx4 s[20:23], s[0:1], 0x58
	s_load_dword s3, s[0:1], 0x80
	s_waitcnt lgkmcnt(0)
	v_mov_b32_e32 v3, s9
	s_lshl_b64 s[10:11], s[6:7], 1
	s_add_u32 s9, s4, s10
	s_mul_i32 s4, s3, 0x3c00
	s_addc_u32 s12, s5, s11
	s_add_i32 s13, s3, -1
	s_add_i32 s3, s4, s6
	s_sub_i32 s3, s8, s3
	s_add_u32 s4, s6, s4
	s_addc_u32 s5, s7, 0
	s_cmp_eq_u32 s2, s13
	v_mov_b32_e32 v2, s8
	s_load_dwordx2 s[18:19], s[22:23], 0x0
	s_cselect_b64 s[22:23], -1, 0
	s_cmp_lg_u32 s2, s13
	s_mul_i32 s10, s2, 0x3c00
	s_mov_b32 s11, 0
	v_cmp_lt_u64_e32 vcc, s[4:5], v[2:3]
	s_cselect_b64 s[4:5], -1, 0
	s_or_b64 s[4:5], s[4:5], vcc
	s_lshl_b64 s[6:7], s[10:11], 1
	s_add_u32 s6, s9, s6
	s_addc_u32 s7, s12, s7
	s_mov_b64 s[8:9], -1
	s_and_b64 vcc, exec, s[4:5]
	v_lshlrev_b32_e32 v2, 1, v0
	s_cbranch_vccz .LBB2508_2
; %bb.1:
	v_mov_b32_e32 v3, 0
	v_lshl_add_u64 v[4:5], s[6:7], 0, v[2:3]
	v_add_co_u32_e32 v6, vcc, 0x1000, v4
	s_mov_b64 s[8:9], 0
	s_nop 0
	v_addc_co_u32_e32 v7, vcc, 0, v5, vcc
	flat_load_ushort v1, v[4:5]
	flat_load_ushort v3, v[4:5] offset:1024
	flat_load_ushort v10, v[4:5] offset:2048
	flat_load_ushort v11, v[4:5] offset:3072
	flat_load_ushort v12, v[6:7]
	flat_load_ushort v13, v[6:7] offset:1024
	flat_load_ushort v14, v[6:7] offset:2048
	flat_load_ushort v15, v[6:7] offset:3072
	v_add_co_u32_e32 v6, vcc, 0x2000, v4
	s_nop 1
	v_addc_co_u32_e32 v7, vcc, 0, v5, vcc
	v_add_co_u32_e32 v8, vcc, 0x3000, v4
	s_nop 1
	v_addc_co_u32_e32 v9, vcc, 0, v5, vcc
	flat_load_ushort v16, v[6:7]
	flat_load_ushort v17, v[6:7] offset:1024
	flat_load_ushort v18, v[6:7] offset:2048
	flat_load_ushort v19, v[6:7] offset:3072
	flat_load_ushort v20, v[8:9]
	flat_load_ushort v21, v[8:9] offset:1024
	flat_load_ushort v22, v[8:9] offset:2048
	flat_load_ushort v23, v[8:9] offset:3072
	v_add_co_u32_e32 v6, vcc, 0x4000, v4
	s_nop 1
	v_addc_co_u32_e32 v7, vcc, 0, v5, vcc
	v_add_co_u32_e32 v8, vcc, 0x5000, v4
	;; [unrolled: 14-line block ×3, first 2 shown]
	s_nop 1
	v_addc_co_u32_e32 v5, vcc, 0, v5, vcc
	flat_load_ushort v8, v[6:7]
	flat_load_ushort v9, v[6:7] offset:1024
	flat_load_ushort v32, v[6:7] offset:2048
	;; [unrolled: 1-line block ×3, first 2 shown]
	flat_load_ushort v34, v[4:5]
	flat_load_ushort v35, v[4:5] offset:1024
	s_waitcnt vmcnt(0) lgkmcnt(0)
	ds_write_b16 v2, v1
	ds_write_b16 v2, v3 offset:1024
	ds_write_b16 v2, v10 offset:2048
	;; [unrolled: 1-line block ×29, first 2 shown]
	s_waitcnt lgkmcnt(0)
	s_barrier
.LBB2508_2:
	s_andn2_b64 vcc, exec, s[8:9]
	s_addk_i32 s3, 0x3c00
	s_cbranch_vccnz .LBB2508_64
; %bb.3:
	v_cmp_gt_u32_e32 vcc, s3, v0
                                        ; implicit-def: $vgpr1
	s_and_saveexec_b64 s[8:9], vcc
	s_cbranch_execz .LBB2508_5
; %bb.4:
	v_mov_b32_e32 v3, 0
	v_lshl_add_u64 v[4:5], s[6:7], 0, v[2:3]
	flat_load_ushort v1, v[4:5]
.LBB2508_5:
	s_or_b64 exec, exec, s[8:9]
	v_or_b32_e32 v3, 0x200, v0
	v_cmp_gt_u32_e32 vcc, s3, v3
                                        ; implicit-def: $vgpr4
	s_and_saveexec_b64 s[8:9], vcc
	s_cbranch_execz .LBB2508_7
; %bb.6:
	v_mov_b32_e32 v3, 0
	v_lshl_add_u64 v[4:5], s[6:7], 0, v[2:3]
	flat_load_ushort v4, v[4:5] offset:1024
.LBB2508_7:
	s_or_b64 exec, exec, s[8:9]
	v_or_b32_e32 v3, 0x400, v0
	v_cmp_gt_u32_e32 vcc, s3, v3
                                        ; implicit-def: $vgpr5
	s_and_saveexec_b64 s[8:9], vcc
	s_cbranch_execz .LBB2508_9
; %bb.8:
	v_mov_b32_e32 v3, 0
	v_lshl_add_u64 v[6:7], s[6:7], 0, v[2:3]
	flat_load_ushort v5, v[6:7] offset:2048
.LBB2508_9:
	s_or_b64 exec, exec, s[8:9]
	v_or_b32_e32 v3, 0x600, v0
	v_cmp_gt_u32_e32 vcc, s3, v3
                                        ; implicit-def: $vgpr3
	s_and_saveexec_b64 s[8:9], vcc
	s_cbranch_execz .LBB2508_11
; %bb.10:
	v_mov_b32_e32 v3, 0
	v_lshl_add_u64 v[6:7], s[6:7], 0, v[2:3]
	flat_load_ushort v3, v[6:7] offset:3072
.LBB2508_11:
	s_or_b64 exec, exec, s[8:9]
	v_or_b32_e32 v7, 0x800, v0
	v_cmp_gt_u32_e32 vcc, s3, v7
                                        ; implicit-def: $vgpr6
	s_and_saveexec_b64 s[8:9], vcc
	s_cbranch_execz .LBB2508_13
; %bb.12:
	v_lshlrev_b32_e32 v6, 1, v7
	v_mov_b32_e32 v7, 0
	v_lshl_add_u64 v[6:7], s[6:7], 0, v[6:7]
	flat_load_ushort v6, v[6:7]
.LBB2508_13:
	s_or_b64 exec, exec, s[8:9]
	v_or_b32_e32 v8, 0xa00, v0
	v_cmp_gt_u32_e32 vcc, s3, v8
                                        ; implicit-def: $vgpr7
	s_and_saveexec_b64 s[8:9], vcc
	s_cbranch_execz .LBB2508_15
; %bb.14:
	v_lshlrev_b32_e32 v8, 1, v8
	v_mov_b32_e32 v9, 0
	v_lshl_add_u64 v[8:9], s[6:7], 0, v[8:9]
	flat_load_ushort v7, v[8:9]
.LBB2508_15:
	s_or_b64 exec, exec, s[8:9]
	v_or_b32_e32 v9, 0xc00, v0
	v_cmp_gt_u32_e32 vcc, s3, v9
                                        ; implicit-def: $vgpr8
	s_and_saveexec_b64 s[8:9], vcc
	s_cbranch_execz .LBB2508_17
; %bb.16:
	v_lshlrev_b32_e32 v8, 1, v9
	v_mov_b32_e32 v9, 0
	v_lshl_add_u64 v[8:9], s[6:7], 0, v[8:9]
	flat_load_ushort v8, v[8:9]
.LBB2508_17:
	s_or_b64 exec, exec, s[8:9]
	v_or_b32_e32 v10, 0xe00, v0
	v_cmp_gt_u32_e32 vcc, s3, v10
                                        ; implicit-def: $vgpr9
	s_and_saveexec_b64 s[8:9], vcc
	s_cbranch_execz .LBB2508_19
; %bb.18:
	v_lshlrev_b32_e32 v10, 1, v10
	v_mov_b32_e32 v11, 0
	v_lshl_add_u64 v[10:11], s[6:7], 0, v[10:11]
	flat_load_ushort v9, v[10:11]
.LBB2508_19:
	s_or_b64 exec, exec, s[8:9]
	v_or_b32_e32 v11, 0x1000, v0
	v_cmp_gt_u32_e32 vcc, s3, v11
                                        ; implicit-def: $vgpr10
	s_and_saveexec_b64 s[8:9], vcc
	s_cbranch_execz .LBB2508_21
; %bb.20:
	v_lshlrev_b32_e32 v10, 1, v11
	v_mov_b32_e32 v11, 0
	v_lshl_add_u64 v[10:11], s[6:7], 0, v[10:11]
	flat_load_ushort v10, v[10:11]
.LBB2508_21:
	s_or_b64 exec, exec, s[8:9]
	v_or_b32_e32 v12, 0x1200, v0
	v_cmp_gt_u32_e32 vcc, s3, v12
                                        ; implicit-def: $vgpr11
	s_and_saveexec_b64 s[8:9], vcc
	s_cbranch_execz .LBB2508_23
; %bb.22:
	v_lshlrev_b32_e32 v12, 1, v12
	v_mov_b32_e32 v13, 0
	v_lshl_add_u64 v[12:13], s[6:7], 0, v[12:13]
	flat_load_ushort v11, v[12:13]
.LBB2508_23:
	s_or_b64 exec, exec, s[8:9]
	v_or_b32_e32 v13, 0x1400, v0
	v_cmp_gt_u32_e32 vcc, s3, v13
                                        ; implicit-def: $vgpr12
	s_and_saveexec_b64 s[8:9], vcc
	s_cbranch_execz .LBB2508_25
; %bb.24:
	v_lshlrev_b32_e32 v12, 1, v13
	v_mov_b32_e32 v13, 0
	v_lshl_add_u64 v[12:13], s[6:7], 0, v[12:13]
	flat_load_ushort v12, v[12:13]
.LBB2508_25:
	s_or_b64 exec, exec, s[8:9]
	v_or_b32_e32 v14, 0x1600, v0
	v_cmp_gt_u32_e32 vcc, s3, v14
                                        ; implicit-def: $vgpr13
	s_and_saveexec_b64 s[8:9], vcc
	s_cbranch_execz .LBB2508_27
; %bb.26:
	v_lshlrev_b32_e32 v14, 1, v14
	v_mov_b32_e32 v15, 0
	v_lshl_add_u64 v[14:15], s[6:7], 0, v[14:15]
	flat_load_ushort v13, v[14:15]
.LBB2508_27:
	s_or_b64 exec, exec, s[8:9]
	v_or_b32_e32 v15, 0x1800, v0
	v_cmp_gt_u32_e32 vcc, s3, v15
                                        ; implicit-def: $vgpr14
	s_and_saveexec_b64 s[8:9], vcc
	s_cbranch_execz .LBB2508_29
; %bb.28:
	v_lshlrev_b32_e32 v14, 1, v15
	v_mov_b32_e32 v15, 0
	v_lshl_add_u64 v[14:15], s[6:7], 0, v[14:15]
	flat_load_ushort v14, v[14:15]
.LBB2508_29:
	s_or_b64 exec, exec, s[8:9]
	v_or_b32_e32 v16, 0x1a00, v0
	v_cmp_gt_u32_e32 vcc, s3, v16
                                        ; implicit-def: $vgpr15
	s_and_saveexec_b64 s[8:9], vcc
	s_cbranch_execz .LBB2508_31
; %bb.30:
	v_lshlrev_b32_e32 v16, 1, v16
	v_mov_b32_e32 v17, 0
	v_lshl_add_u64 v[16:17], s[6:7], 0, v[16:17]
	flat_load_ushort v15, v[16:17]
.LBB2508_31:
	s_or_b64 exec, exec, s[8:9]
	v_or_b32_e32 v17, 0x1c00, v0
	v_cmp_gt_u32_e32 vcc, s3, v17
                                        ; implicit-def: $vgpr16
	s_and_saveexec_b64 s[8:9], vcc
	s_cbranch_execz .LBB2508_33
; %bb.32:
	v_lshlrev_b32_e32 v16, 1, v17
	v_mov_b32_e32 v17, 0
	v_lshl_add_u64 v[16:17], s[6:7], 0, v[16:17]
	flat_load_ushort v16, v[16:17]
.LBB2508_33:
	s_or_b64 exec, exec, s[8:9]
	v_or_b32_e32 v18, 0x1e00, v0
	v_cmp_gt_u32_e32 vcc, s3, v18
                                        ; implicit-def: $vgpr17
	s_and_saveexec_b64 s[8:9], vcc
	s_cbranch_execz .LBB2508_35
; %bb.34:
	v_lshlrev_b32_e32 v18, 1, v18
	v_mov_b32_e32 v19, 0
	v_lshl_add_u64 v[18:19], s[6:7], 0, v[18:19]
	flat_load_ushort v17, v[18:19]
.LBB2508_35:
	s_or_b64 exec, exec, s[8:9]
	v_or_b32_e32 v19, 0x2000, v0
	v_cmp_gt_u32_e32 vcc, s3, v19
                                        ; implicit-def: $vgpr18
	s_and_saveexec_b64 s[8:9], vcc
	s_cbranch_execz .LBB2508_37
; %bb.36:
	v_lshlrev_b32_e32 v18, 1, v19
	v_mov_b32_e32 v19, 0
	v_lshl_add_u64 v[18:19], s[6:7], 0, v[18:19]
	flat_load_ushort v18, v[18:19]
.LBB2508_37:
	s_or_b64 exec, exec, s[8:9]
	v_or_b32_e32 v20, 0x2200, v0
	v_cmp_gt_u32_e32 vcc, s3, v20
                                        ; implicit-def: $vgpr19
	s_and_saveexec_b64 s[8:9], vcc
	s_cbranch_execz .LBB2508_39
; %bb.38:
	v_lshlrev_b32_e32 v20, 1, v20
	v_mov_b32_e32 v21, 0
	v_lshl_add_u64 v[20:21], s[6:7], 0, v[20:21]
	flat_load_ushort v19, v[20:21]
.LBB2508_39:
	s_or_b64 exec, exec, s[8:9]
	v_or_b32_e32 v21, 0x2400, v0
	v_cmp_gt_u32_e32 vcc, s3, v21
                                        ; implicit-def: $vgpr20
	s_and_saveexec_b64 s[8:9], vcc
	s_cbranch_execz .LBB2508_41
; %bb.40:
	v_lshlrev_b32_e32 v20, 1, v21
	v_mov_b32_e32 v21, 0
	v_lshl_add_u64 v[20:21], s[6:7], 0, v[20:21]
	flat_load_ushort v20, v[20:21]
.LBB2508_41:
	s_or_b64 exec, exec, s[8:9]
	v_or_b32_e32 v22, 0x2600, v0
	v_cmp_gt_u32_e32 vcc, s3, v22
                                        ; implicit-def: $vgpr21
	s_and_saveexec_b64 s[8:9], vcc
	s_cbranch_execz .LBB2508_43
; %bb.42:
	v_lshlrev_b32_e32 v22, 1, v22
	v_mov_b32_e32 v23, 0
	v_lshl_add_u64 v[22:23], s[6:7], 0, v[22:23]
	flat_load_ushort v21, v[22:23]
.LBB2508_43:
	s_or_b64 exec, exec, s[8:9]
	v_or_b32_e32 v23, 0x2800, v0
	v_cmp_gt_u32_e32 vcc, s3, v23
                                        ; implicit-def: $vgpr22
	s_and_saveexec_b64 s[8:9], vcc
	s_cbranch_execz .LBB2508_45
; %bb.44:
	v_lshlrev_b32_e32 v22, 1, v23
	v_mov_b32_e32 v23, 0
	v_lshl_add_u64 v[22:23], s[6:7], 0, v[22:23]
	flat_load_ushort v22, v[22:23]
.LBB2508_45:
	s_or_b64 exec, exec, s[8:9]
	v_or_b32_e32 v24, 0x2a00, v0
	v_cmp_gt_u32_e32 vcc, s3, v24
                                        ; implicit-def: $vgpr23
	s_and_saveexec_b64 s[8:9], vcc
	s_cbranch_execz .LBB2508_47
; %bb.46:
	v_lshlrev_b32_e32 v24, 1, v24
	v_mov_b32_e32 v25, 0
	v_lshl_add_u64 v[24:25], s[6:7], 0, v[24:25]
	flat_load_ushort v23, v[24:25]
.LBB2508_47:
	s_or_b64 exec, exec, s[8:9]
	v_or_b32_e32 v25, 0x2c00, v0
	v_cmp_gt_u32_e32 vcc, s3, v25
                                        ; implicit-def: $vgpr24
	s_and_saveexec_b64 s[8:9], vcc
	s_cbranch_execz .LBB2508_49
; %bb.48:
	v_lshlrev_b32_e32 v24, 1, v25
	v_mov_b32_e32 v25, 0
	v_lshl_add_u64 v[24:25], s[6:7], 0, v[24:25]
	flat_load_ushort v24, v[24:25]
.LBB2508_49:
	s_or_b64 exec, exec, s[8:9]
	v_or_b32_e32 v26, 0x2e00, v0
	v_cmp_gt_u32_e32 vcc, s3, v26
                                        ; implicit-def: $vgpr25
	s_and_saveexec_b64 s[8:9], vcc
	s_cbranch_execz .LBB2508_51
; %bb.50:
	v_lshlrev_b32_e32 v26, 1, v26
	v_mov_b32_e32 v27, 0
	v_lshl_add_u64 v[26:27], s[6:7], 0, v[26:27]
	flat_load_ushort v25, v[26:27]
.LBB2508_51:
	s_or_b64 exec, exec, s[8:9]
	v_or_b32_e32 v27, 0x3000, v0
	v_cmp_gt_u32_e32 vcc, s3, v27
                                        ; implicit-def: $vgpr26
	s_and_saveexec_b64 s[8:9], vcc
	s_cbranch_execz .LBB2508_53
; %bb.52:
	v_lshlrev_b32_e32 v26, 1, v27
	v_mov_b32_e32 v27, 0
	v_lshl_add_u64 v[26:27], s[6:7], 0, v[26:27]
	flat_load_ushort v26, v[26:27]
.LBB2508_53:
	s_or_b64 exec, exec, s[8:9]
	v_or_b32_e32 v28, 0x3200, v0
	v_cmp_gt_u32_e32 vcc, s3, v28
                                        ; implicit-def: $vgpr27
	s_and_saveexec_b64 s[8:9], vcc
	s_cbranch_execz .LBB2508_55
; %bb.54:
	v_lshlrev_b32_e32 v28, 1, v28
	v_mov_b32_e32 v29, 0
	v_lshl_add_u64 v[28:29], s[6:7], 0, v[28:29]
	flat_load_ushort v27, v[28:29]
.LBB2508_55:
	s_or_b64 exec, exec, s[8:9]
	v_or_b32_e32 v29, 0x3400, v0
	v_cmp_gt_u32_e32 vcc, s3, v29
                                        ; implicit-def: $vgpr28
	s_and_saveexec_b64 s[8:9], vcc
	s_cbranch_execz .LBB2508_57
; %bb.56:
	v_lshlrev_b32_e32 v28, 1, v29
	v_mov_b32_e32 v29, 0
	v_lshl_add_u64 v[28:29], s[6:7], 0, v[28:29]
	flat_load_ushort v28, v[28:29]
.LBB2508_57:
	s_or_b64 exec, exec, s[8:9]
	v_or_b32_e32 v30, 0x3600, v0
	v_cmp_gt_u32_e32 vcc, s3, v30
                                        ; implicit-def: $vgpr29
	s_and_saveexec_b64 s[8:9], vcc
	s_cbranch_execz .LBB2508_59
; %bb.58:
	v_lshlrev_b32_e32 v30, 1, v30
	v_mov_b32_e32 v31, 0
	v_lshl_add_u64 v[30:31], s[6:7], 0, v[30:31]
	flat_load_ushort v29, v[30:31]
.LBB2508_59:
	s_or_b64 exec, exec, s[8:9]
	v_or_b32_e32 v31, 0x3800, v0
	v_cmp_gt_u32_e32 vcc, s3, v31
                                        ; implicit-def: $vgpr30
	s_and_saveexec_b64 s[8:9], vcc
	s_cbranch_execz .LBB2508_61
; %bb.60:
	v_lshlrev_b32_e32 v30, 1, v31
	v_mov_b32_e32 v31, 0
	v_lshl_add_u64 v[30:31], s[6:7], 0, v[30:31]
	flat_load_ushort v30, v[30:31]
.LBB2508_61:
	s_or_b64 exec, exec, s[8:9]
	v_or_b32_e32 v32, 0x3a00, v0
	v_cmp_gt_u32_e32 vcc, s3, v32
                                        ; implicit-def: $vgpr31
	s_and_saveexec_b64 s[8:9], vcc
	s_cbranch_execz .LBB2508_63
; %bb.62:
	v_lshlrev_b32_e32 v32, 1, v32
	v_mov_b32_e32 v33, 0
	v_lshl_add_u64 v[32:33], s[6:7], 0, v[32:33]
	flat_load_ushort v31, v[32:33]
.LBB2508_63:
	s_or_b64 exec, exec, s[8:9]
	s_waitcnt vmcnt(0) lgkmcnt(0)
	ds_write_b16 v2, v1
	ds_write_b16 v2, v4 offset:1024
	ds_write_b16 v2, v5 offset:2048
	;; [unrolled: 1-line block ×29, first 2 shown]
	s_waitcnt lgkmcnt(0)
	s_barrier
.LBB2508_64:
	v_mul_u32_u24_e32 v39, 30, v0
	v_lshlrev_b32_e32 v8, 1, v39
	s_waitcnt lgkmcnt(0)
	ds_read_b32 v26, v8 offset:56
	ds_read2_b32 v[2:3], v8 offset0:12 offset1:13
	ds_read2_b32 v[4:5], v8 offset0:10 offset1:11
	;; [unrolled: 1-line block ×3, first 2 shown]
	ds_read2_b32 v[14:15], v8 offset1:1
	ds_read2_b32 v[12:13], v8 offset0:2 offset1:3
	ds_read2_b32 v[10:11], v8 offset0:4 offset1:5
	;; [unrolled: 1-line block ×3, first 2 shown]
	s_waitcnt lgkmcnt(7)
	v_lshrrev_b32_e32 v1, 16, v26
	s_waitcnt lgkmcnt(6)
	v_lshrrev_b32_e32 v28, 16, v2
	v_lshrrev_b32_e32 v27, 16, v3
	s_waitcnt lgkmcnt(5)
	v_lshrrev_b32_e32 v30, 16, v4
	;; [unrolled: 3-line block ×6, first 2 shown]
	v_lshrrev_b32_e32 v33, 16, v9
	v_lshrrev_b32_e32 v32, 16, v6
	;; [unrolled: 1-line block ×3, first 2 shown]
	s_andn2_b64 vcc, exec, s[4:5]
	v_xor_b32_e32 v91, -1, v14
	v_xor_b32_e32 v90, -1, v41
	;; [unrolled: 1-line block ×30, first 2 shown]
	s_barrier
	s_cbranch_vccnz .LBB2508_66
; %bb.65:
	v_and_b32_e32 v71, 1, v91
	v_and_b32_e32 v70, 1, v90
	;; [unrolled: 1-line block ×30, first 2 shown]
	s_load_dwordx2 s[24:25], s[0:1], 0x78
	s_cbranch_execz .LBB2508_67
	s_branch .LBB2508_68
.LBB2508_66:
                                        ; implicit-def: $vgpr71
                                        ; implicit-def: $vgpr70
                                        ; implicit-def: $vgpr69
                                        ; implicit-def: $vgpr68
                                        ; implicit-def: $vgpr67
                                        ; implicit-def: $vgpr66
                                        ; implicit-def: $vgpr65
                                        ; implicit-def: $vgpr64
                                        ; implicit-def: $vgpr63
                                        ; implicit-def: $vgpr62
                                        ; implicit-def: $vgpr61
                                        ; implicit-def: $vgpr60
                                        ; implicit-def: $vgpr59
                                        ; implicit-def: $vgpr58
                                        ; implicit-def: $vgpr57
                                        ; implicit-def: $vgpr56
                                        ; implicit-def: $vgpr55
                                        ; implicit-def: $vgpr54
                                        ; implicit-def: $vgpr53
                                        ; implicit-def: $vgpr52
                                        ; implicit-def: $vgpr51
                                        ; implicit-def: $vgpr50
                                        ; implicit-def: $vgpr49
                                        ; implicit-def: $vgpr48
                                        ; implicit-def: $vgpr47
                                        ; implicit-def: $vgpr46
                                        ; implicit-def: $vgpr45
                                        ; implicit-def: $vgpr44
                                        ; implicit-def: $vgpr42
                                        ; implicit-def: $vgpr43
	s_load_dwordx2 s[24:25], s[0:1], 0x78
.LBB2508_67:
	v_or_b32_e32 v51, 1, v39
	v_cmp_gt_u32_e32 vcc, s3, v39
	v_add_u32_e32 v52, 2, v39
	v_add_u32_e32 v53, 3, v39
	v_cndmask_b32_e64 v61, 0, 1, vcc
	v_cmp_gt_u32_e32 vcc, s3, v51
	v_add_u32_e32 v54, 4, v39
	v_add_u32_e32 v55, 5, v39
	v_cndmask_b32_e64 v51, 0, 1, vcc
	v_cmp_gt_u32_e32 vcc, s3, v52
	v_and_b32_e32 v70, v51, v90
	v_add_u32_e32 v56, 6, v39
	v_cndmask_b32_e64 v51, 0, 1, vcc
	v_cmp_gt_u32_e32 vcc, s3, v53
	v_and_b32_e32 v69, v51, v89
	;; [unrolled: 4-line block ×9, first 2 shown]
	v_and_b32_e32 v71, v61, v91
	v_cndmask_b32_e64 v51, 0, 1, vcc
	v_cmp_gt_u32_e32 vcc, s3, v92
	v_and_b32_e32 v61, v51, v81
	v_add_u32_e32 v95, 14, v39
	v_cndmask_b32_e64 v51, 0, 1, vcc
	v_cmp_gt_u32_e32 vcc, s3, v93
	v_and_b32_e32 v60, v51, v80
	v_add_u32_e32 v96, 15, v39
	;; [unrolled: 4-line block ×16, first 2 shown]
	v_cndmask_b32_e64 v20, 0, 1, vcc
	v_cmp_gt_u32_e32 vcc, s3, v44
	v_and_b32_e32 v45, v20, v19
	s_nop 0
	v_cndmask_b32_e64 v19, 0, 1, vcc
	v_cmp_gt_u32_e32 vcc, s3, v42
	v_and_b32_e32 v44, v19, v18
	s_nop 0
	;; [unrolled: 4-line block ×3, first 2 shown]
	v_cndmask_b32_e64 v17, 0, 1, vcc
	v_and_b32_e32 v43, v17, v16
.LBB2508_68:
	v_and_b32_e32 v98, 0xff, v45
	v_and_b32_e32 v99, 0xff, v44
	v_add_u32_sdwa v16, v42, v43 dst_sel:DWORD dst_unused:UNUSED_PAD src0_sel:BYTE_0 src1_sel:BYTE_0
	v_and_b32_e32 v96, 0xff, v47
	v_and_b32_e32 v97, 0xff, v46
	v_add3_u32 v16, v16, v99, v98
	v_and_b32_e32 v94, 0xff, v49
	v_and_b32_e32 v95, 0xff, v48
	v_add3_u32 v16, v16, v97, v96
	;; [unrolled: 3-line block ×13, first 2 shown]
	v_add3_u32 v102, v16, v73, v72
	v_mbcnt_lo_u32_b32 v16, -1, 0
	v_mbcnt_hi_u32_b32 v100, -1, v16
	v_and_b32_e32 v16, 15, v100
	v_cmp_eq_u32_e64 s[12:13], 0, v16
	v_cmp_lt_u32_e64 s[10:11], 1, v16
	v_cmp_lt_u32_e64 s[8:9], 3, v16
	v_cmp_lt_u32_e64 s[6:7], 7, v16
	v_and_b32_e32 v16, 16, v100
	v_cmp_eq_u32_e64 s[4:5], 0, v16
	v_or_b32_e32 v16, 63, v0
	s_cmp_lg_u32 s2, 0
	v_cmp_lt_u32_e64 s[0:1], 31, v100
	v_lshrrev_b32_e32 v101, 6, v0
	v_cmp_eq_u32_e64 s[16:17], v16, v0
	s_cbranch_scc0 .LBB2508_99
; %bb.69:
	v_mov_b32_dpp v16, v102 row_shr:1 row_mask:0xf bank_mask:0xf
	v_cndmask_b32_e64 v16, v16, 0, s[12:13]
	v_add_u32_e32 v16, v16, v102
	s_nop 1
	v_mov_b32_dpp v17, v16 row_shr:2 row_mask:0xf bank_mask:0xf
	v_cndmask_b32_e64 v17, 0, v17, s[10:11]
	v_add_u32_e32 v16, v16, v17
	s_nop 1
	;; [unrolled: 4-line block ×4, first 2 shown]
	v_mov_b32_dpp v17, v16 row_bcast:15 row_mask:0xf bank_mask:0xf
	v_cndmask_b32_e64 v17, v17, 0, s[4:5]
	v_add_u32_e32 v16, v16, v17
	s_nop 1
	v_mov_b32_dpp v17, v16 row_bcast:31 row_mask:0xf bank_mask:0xf
	v_cndmask_b32_e64 v17, 0, v17, s[0:1]
	v_add_u32_e32 v16, v16, v17
	s_and_saveexec_b64 s[14:15], s[16:17]
	s_cbranch_execz .LBB2508_71
; %bb.70:
	v_lshlrev_b32_e32 v17, 2, v101
	ds_write_b32 v17, v16
.LBB2508_71:
	s_or_b64 exec, exec, s[14:15]
	v_cmp_gt_u32_e32 vcc, 8, v0
	s_waitcnt lgkmcnt(0)
	s_barrier
	s_and_saveexec_b64 s[14:15], vcc
	s_cbranch_execz .LBB2508_73
; %bb.72:
	v_lshlrev_b32_e32 v17, 2, v0
	ds_read_b32 v18, v17
	v_and_b32_e32 v19, 7, v100
	v_cmp_ne_u32_e32 vcc, 0, v19
	s_waitcnt lgkmcnt(0)
	v_mov_b32_dpp v20, v18 row_shr:1 row_mask:0xf bank_mask:0xf
	v_cndmask_b32_e32 v20, 0, v20, vcc
	v_add_u32_e32 v18, v20, v18
	v_cmp_lt_u32_e32 vcc, 1, v19
	s_nop 0
	v_mov_b32_dpp v20, v18 row_shr:2 row_mask:0xf bank_mask:0xf
	v_cndmask_b32_e32 v20, 0, v20, vcc
	v_add_u32_e32 v18, v18, v20
	v_cmp_lt_u32_e32 vcc, 3, v19
	s_nop 0
	v_mov_b32_dpp v20, v18 row_shr:4 row_mask:0xf bank_mask:0xf
	v_cndmask_b32_e32 v19, 0, v20, vcc
	v_add_u32_e32 v18, v18, v19
	ds_write_b32 v17, v18
.LBB2508_73:
	s_or_b64 exec, exec, s[14:15]
	v_cmp_gt_u32_e32 vcc, 64, v0
	v_cmp_lt_u32_e64 s[14:15], 63, v0
	s_waitcnt lgkmcnt(0)
	s_barrier
	s_waitcnt lgkmcnt(0)
                                        ; implicit-def: $vgpr103
	s_and_saveexec_b64 s[26:27], s[14:15]
	s_cbranch_execz .LBB2508_75
; %bb.74:
	v_lshl_add_u32 v17, v101, 2, -4
	ds_read_b32 v103, v17
	s_waitcnt lgkmcnt(0)
	v_add_u32_e32 v16, v103, v16
.LBB2508_75:
	s_or_b64 exec, exec, s[26:27]
	v_add_u32_e32 v17, -1, v100
	v_and_b32_e32 v18, 64, v100
	v_cmp_lt_i32_e64 s[14:15], v17, v18
	s_nop 1
	v_cndmask_b32_e64 v17, v17, v100, s[14:15]
	v_lshlrev_b32_e32 v17, 2, v17
	ds_bpermute_b32 v104, v17, v16
	v_cmp_eq_u32_e64 s[14:15], 0, v100
	s_and_saveexec_b64 s[26:27], vcc
	s_cbranch_execz .LBB2508_98
; %bb.76:
	v_mov_b32_e32 v25, 0
	ds_read_b32 v16, v25 offset:28
	s_and_saveexec_b64 s[28:29], s[14:15]
	s_cbranch_execz .LBB2508_78
; %bb.77:
	s_add_i32 s30, s2, 64
	s_mov_b32 s31, 0
	s_lshl_b64 s[30:31], s[30:31], 3
	s_add_u32 s30, s24, s30
	v_mov_b32_e32 v17, 1
	s_addc_u32 s31, s25, s31
	s_waitcnt lgkmcnt(0)
	global_store_dwordx2 v25, v[16:17], s[30:31] sc1
.LBB2508_78:
	s_or_b64 exec, exec, s[28:29]
	v_xad_u32 v18, v100, -1, s2
	v_add_u32_e32 v24, 64, v18
	v_lshl_add_u64 v[20:21], v[24:25], 3, s[24:25]
	global_load_dwordx2 v[22:23], v[20:21], off sc1
	s_waitcnt vmcnt(0)
	v_cmp_eq_u16_sdwa s[30:31], v23, v25 src0_sel:BYTE_0 src1_sel:DWORD
	s_and_saveexec_b64 s[28:29], s[30:31]
	s_cbranch_execz .LBB2508_84
; %bb.79:
	s_mov_b32 s3, 1
	s_mov_b64 s[30:31], 0
	v_mov_b32_e32 v17, 0
.LBB2508_80:                            ; =>This Loop Header: Depth=1
                                        ;     Child Loop BB2508_81 Depth 2
	s_max_u32 s33, s3, 1
.LBB2508_81:                            ;   Parent Loop BB2508_80 Depth=1
                                        ; =>  This Inner Loop Header: Depth=2
	s_add_i32 s33, s33, -1
	s_cmp_eq_u32 s33, 0
	s_sleep 1
	s_cbranch_scc0 .LBB2508_81
; %bb.82:                               ;   in Loop: Header=BB2508_80 Depth=1
	global_load_dwordx2 v[22:23], v[20:21], off sc1
	s_cmp_lt_u32 s3, 32
	s_cselect_b64 s[34:35], -1, 0
	s_cmp_lg_u64 s[34:35], 0
	s_addc_u32 s3, s3, 0
	s_waitcnt vmcnt(0)
	v_cmp_ne_u16_sdwa s[34:35], v23, v17 src0_sel:BYTE_0 src1_sel:DWORD
	s_or_b64 s[30:31], s[34:35], s[30:31]
	s_andn2_b64 exec, exec, s[30:31]
	s_cbranch_execnz .LBB2508_80
; %bb.83:
	s_or_b64 exec, exec, s[30:31]
.LBB2508_84:
	s_or_b64 exec, exec, s[28:29]
	v_and_b32_e32 v106, 63, v100
	v_mov_b32_e32 v105, 2
	v_cmp_ne_u32_e32 vcc, 63, v106
	v_cmp_eq_u16_sdwa s[28:29], v23, v105 src0_sel:BYTE_0 src1_sel:DWORD
	v_lshlrev_b64 v[20:21], v100, -1
	v_addc_co_u32_e32 v24, vcc, 0, v100, vcc
	v_and_b32_e32 v17, s29, v21
	v_lshlrev_b32_e32 v107, 2, v24
	v_or_b32_e32 v17, 0x80000000, v17
	ds_bpermute_b32 v24, v107, v22
	v_and_b32_e32 v19, s28, v20
	v_ffbl_b32_e32 v17, v17
	v_add_u32_e32 v17, 32, v17
	v_ffbl_b32_e32 v19, v19
	v_min_u32_e32 v17, v19, v17
	v_cmp_lt_u32_e32 vcc, v106, v17
	v_add_u32_e32 v109, 2, v106
	v_add_u32_e32 v111, 4, v106
	s_waitcnt lgkmcnt(0)
	v_cndmask_b32_e32 v19, 0, v24, vcc
	v_cmp_gt_u32_e32 vcc, 62, v106
	v_add_u32_e32 v19, v19, v22
	v_add_u32_e32 v113, 8, v106
	v_cndmask_b32_e64 v22, 0, 1, vcc
	v_lshlrev_b32_e32 v22, 1, v22
	v_add_lshl_u32 v108, v22, v100, 2
	ds_bpermute_b32 v22, v108, v19
	v_cmp_le_u32_e32 vcc, v109, v17
	v_add_u32_e32 v115, 16, v106
	v_add_u32_e32 v117, 32, v106
	s_waitcnt lgkmcnt(0)
	v_cndmask_b32_e32 v22, 0, v22, vcc
	v_cmp_gt_u32_e32 vcc, 60, v106
	v_add_u32_e32 v19, v19, v22
	s_nop 0
	v_cndmask_b32_e64 v22, 0, 1, vcc
	v_lshlrev_b32_e32 v22, 2, v22
	v_add_lshl_u32 v110, v22, v100, 2
	ds_bpermute_b32 v22, v110, v19
	v_cmp_le_u32_e32 vcc, v111, v17
	s_waitcnt lgkmcnt(0)
	s_nop 0
	v_cndmask_b32_e32 v22, 0, v22, vcc
	v_cmp_gt_u32_e32 vcc, 56, v106
	v_add_u32_e32 v19, v19, v22
	s_nop 0
	v_cndmask_b32_e64 v22, 0, 1, vcc
	v_lshlrev_b32_e32 v22, 3, v22
	v_add_lshl_u32 v112, v22, v100, 2
	ds_bpermute_b32 v22, v112, v19
	v_cmp_le_u32_e32 vcc, v113, v17
	s_waitcnt lgkmcnt(0)
	s_nop 0
	;; [unrolled: 11-line block ×4, first 2 shown]
	v_cndmask_b32_e32 v17, 0, v22, vcc
	v_add_u32_e32 v22, v19, v17
	v_mov_b32_e32 v19, 0
	s_branch .LBB2508_86
.LBB2508_85:                            ;   in Loop: Header=BB2508_86 Depth=1
	s_or_b64 exec, exec, s[28:29]
	v_cmp_eq_u16_sdwa s[28:29], v23, v105 src0_sel:BYTE_0 src1_sel:DWORD
	ds_bpermute_b32 v118, v107, v22
	v_subrev_u32_e32 v18, 64, v18
	v_and_b32_e32 v24, s29, v21
	v_or_b32_e32 v24, 0x80000000, v24
	v_and_b32_e32 v25, s28, v20
	v_ffbl_b32_e32 v24, v24
	v_add_u32_e32 v24, 32, v24
	v_ffbl_b32_e32 v25, v25
	v_min_u32_e32 v24, v25, v24
	v_cmp_lt_u32_e32 vcc, v106, v24
	s_waitcnt lgkmcnt(0)
	s_nop 0
	v_cndmask_b32_e32 v25, 0, v118, vcc
	v_add_u32_e32 v22, v25, v22
	ds_bpermute_b32 v25, v108, v22
	v_cmp_le_u32_e32 vcc, v109, v24
	s_waitcnt lgkmcnt(0)
	s_nop 0
	v_cndmask_b32_e32 v25, 0, v25, vcc
	v_add_u32_e32 v22, v22, v25
	ds_bpermute_b32 v25, v110, v22
	v_cmp_le_u32_e32 vcc, v111, v24
	;; [unrolled: 6-line block ×5, first 2 shown]
	s_waitcnt lgkmcnt(0)
	s_nop 0
	v_cndmask_b32_e32 v24, 0, v25, vcc
	v_add3_u32 v22, v24, v17, v22
.LBB2508_86:                            ; =>This Loop Header: Depth=1
                                        ;     Child Loop BB2508_89 Depth 2
                                        ;       Child Loop BB2508_90 Depth 3
	v_cmp_ne_u16_sdwa s[28:29], v23, v105 src0_sel:BYTE_0 src1_sel:DWORD
	s_nop 1
	v_cndmask_b32_e64 v17, 0, 1, s[28:29]
	;;#ASMSTART
	;;#ASMEND
	s_nop 0
	v_cmp_ne_u32_e32 vcc, 0, v17
	s_cmp_lg_u64 vcc, exec
	v_mov_b32_e32 v17, v22
	s_cbranch_scc1 .LBB2508_93
; %bb.87:                               ;   in Loop: Header=BB2508_86 Depth=1
	v_lshl_add_u64 v[24:25], v[18:19], 3, s[24:25]
	global_load_dwordx2 v[22:23], v[24:25], off sc1
	s_waitcnt vmcnt(0)
	v_cmp_eq_u16_sdwa s[30:31], v23, v19 src0_sel:BYTE_0 src1_sel:DWORD
	s_and_saveexec_b64 s[28:29], s[30:31]
	s_cbranch_execz .LBB2508_85
; %bb.88:                               ;   in Loop: Header=BB2508_86 Depth=1
	s_mov_b32 s3, 1
	s_mov_b64 s[30:31], 0
.LBB2508_89:                            ;   Parent Loop BB2508_86 Depth=1
                                        ; =>  This Loop Header: Depth=2
                                        ;       Child Loop BB2508_90 Depth 3
	s_max_u32 s33, s3, 1
.LBB2508_90:                            ;   Parent Loop BB2508_86 Depth=1
                                        ;     Parent Loop BB2508_89 Depth=2
                                        ; =>    This Inner Loop Header: Depth=3
	s_add_i32 s33, s33, -1
	s_cmp_eq_u32 s33, 0
	s_sleep 1
	s_cbranch_scc0 .LBB2508_90
; %bb.91:                               ;   in Loop: Header=BB2508_89 Depth=2
	global_load_dwordx2 v[22:23], v[24:25], off sc1
	s_cmp_lt_u32 s3, 32
	s_cselect_b64 s[34:35], -1, 0
	s_cmp_lg_u64 s[34:35], 0
	s_addc_u32 s3, s3, 0
	s_waitcnt vmcnt(0)
	v_cmp_ne_u16_sdwa s[34:35], v23, v19 src0_sel:BYTE_0 src1_sel:DWORD
	s_or_b64 s[30:31], s[34:35], s[30:31]
	s_andn2_b64 exec, exec, s[30:31]
	s_cbranch_execnz .LBB2508_89
; %bb.92:                               ;   in Loop: Header=BB2508_86 Depth=1
	s_or_b64 exec, exec, s[30:31]
	s_branch .LBB2508_85
.LBB2508_93:                            ;   in Loop: Header=BB2508_86 Depth=1
                                        ; implicit-def: $vgpr22
                                        ; implicit-def: $vgpr23
	s_cbranch_execz .LBB2508_86
; %bb.94:
	s_and_saveexec_b64 s[28:29], s[14:15]
	s_cbranch_execz .LBB2508_96
; %bb.95:
	s_add_i32 s2, s2, 64
	s_mov_b32 s3, 0
	s_lshl_b64 s[2:3], s[2:3], 3
	s_add_u32 s2, s24, s2
	v_add_u32_e32 v18, v17, v16
	v_mov_b32_e32 v19, 2
	s_addc_u32 s3, s25, s3
	v_mov_b32_e32 v20, 0
	global_store_dwordx2 v20, v[18:19], s[2:3] sc1
	ds_write_b64 v20, v[16:17] offset:30720
.LBB2508_96:
	s_or_b64 exec, exec, s[28:29]
	v_cmp_eq_u32_e32 vcc, 0, v0
	s_and_b64 exec, exec, vcc
	s_cbranch_execz .LBB2508_98
; %bb.97:
	v_mov_b32_e32 v16, 0
	ds_write_b32 v16, v17 offset:28
.LBB2508_98:
	s_or_b64 exec, exec, s[26:27]
	v_mov_b32_e32 v16, 0
	s_waitcnt lgkmcnt(0)
	s_barrier
	ds_read_b32 v19, v16 offset:28
	s_waitcnt lgkmcnt(0)
	s_barrier
	ds_read_b64 v[16:17], v16 offset:30720
	v_cndmask_b32_e64 v18, v104, v103, s[14:15]
	v_cmp_ne_u32_e32 vcc, 0, v0
	s_nop 1
	v_cndmask_b32_e32 v18, 0, v18, vcc
	v_add_u32_e32 v18, v19, v18
	s_branch .LBB2508_109
.LBB2508_99:
                                        ; implicit-def: $vgpr17
                                        ; implicit-def: $vgpr18
	s_cbranch_execz .LBB2508_109
; %bb.100:
	s_waitcnt lgkmcnt(0)
	v_mov_b32_dpp v16, v102 row_shr:1 row_mask:0xf bank_mask:0xf
	v_cndmask_b32_e64 v16, v16, 0, s[12:13]
	v_add_u32_e32 v16, v16, v102
	s_nop 1
	v_mov_b32_dpp v17, v16 row_shr:2 row_mask:0xf bank_mask:0xf
	v_cndmask_b32_e64 v17, 0, v17, s[10:11]
	v_add_u32_e32 v16, v16, v17
	s_nop 1
	v_mov_b32_dpp v17, v16 row_shr:4 row_mask:0xf bank_mask:0xf
	v_cndmask_b32_e64 v17, 0, v17, s[8:9]
	v_add_u32_e32 v16, v16, v17
	s_nop 1
	v_mov_b32_dpp v17, v16 row_shr:8 row_mask:0xf bank_mask:0xf
	v_cndmask_b32_e64 v17, 0, v17, s[6:7]
	v_add_u32_e32 v16, v16, v17
	s_nop 1
	v_mov_b32_dpp v17, v16 row_bcast:15 row_mask:0xf bank_mask:0xf
	v_cndmask_b32_e64 v17, v17, 0, s[4:5]
	v_add_u32_e32 v16, v16, v17
	s_nop 1
	v_mov_b32_dpp v17, v16 row_bcast:31 row_mask:0xf bank_mask:0xf
	v_cndmask_b32_e64 v17, 0, v17, s[0:1]
	v_add_u32_e32 v16, v16, v17
	s_and_saveexec_b64 s[0:1], s[16:17]
	s_cbranch_execz .LBB2508_102
; %bb.101:
	v_lshlrev_b32_e32 v17, 2, v101
	ds_write_b32 v17, v16
.LBB2508_102:
	s_or_b64 exec, exec, s[0:1]
	v_cmp_gt_u32_e32 vcc, 8, v0
	s_waitcnt lgkmcnt(0)
	s_barrier
	s_and_saveexec_b64 s[0:1], vcc
	s_cbranch_execz .LBB2508_104
; %bb.103:
	v_lshlrev_b32_e32 v17, 2, v0
	ds_read_b32 v18, v17
	v_and_b32_e32 v19, 7, v100
	v_cmp_ne_u32_e32 vcc, 0, v19
	s_waitcnt lgkmcnt(0)
	v_mov_b32_dpp v20, v18 row_shr:1 row_mask:0xf bank_mask:0xf
	v_cndmask_b32_e32 v20, 0, v20, vcc
	v_add_u32_e32 v18, v20, v18
	v_cmp_lt_u32_e32 vcc, 1, v19
	s_nop 0
	v_mov_b32_dpp v20, v18 row_shr:2 row_mask:0xf bank_mask:0xf
	v_cndmask_b32_e32 v20, 0, v20, vcc
	v_add_u32_e32 v18, v18, v20
	v_cmp_lt_u32_e32 vcc, 3, v19
	s_nop 0
	v_mov_b32_dpp v20, v18 row_shr:4 row_mask:0xf bank_mask:0xf
	v_cndmask_b32_e32 v19, 0, v20, vcc
	v_add_u32_e32 v18, v18, v19
	ds_write_b32 v17, v18
.LBB2508_104:
	s_or_b64 exec, exec, s[0:1]
	v_cmp_lt_u32_e32 vcc, 63, v0
	v_mov_b32_e32 v17, 0
	v_mov_b32_e32 v18, 0
	s_waitcnt lgkmcnt(0)
	s_barrier
	s_and_saveexec_b64 s[0:1], vcc
	s_cbranch_execz .LBB2508_106
; %bb.105:
	v_lshl_add_u32 v18, v101, 2, -4
	ds_read_b32 v18, v18
.LBB2508_106:
	s_or_b64 exec, exec, s[0:1]
	v_add_u32_e32 v19, -1, v100
	v_and_b32_e32 v20, 64, v100
	v_cmp_lt_i32_e32 vcc, v19, v20
	s_waitcnt lgkmcnt(0)
	v_add_u32_e32 v16, v18, v16
	v_cndmask_b32_e32 v19, v19, v100, vcc
	v_lshlrev_b32_e32 v19, 2, v19
	ds_bpermute_b32 v19, v19, v16
	ds_read_b32 v16, v17 offset:28
	v_cmp_eq_u32_e32 vcc, 0, v0
	s_and_saveexec_b64 s[0:1], vcc
	s_cbranch_execz .LBB2508_108
; %bb.107:
	v_mov_b32_e32 v20, 0
	v_mov_b32_e32 v17, 2
	s_waitcnt lgkmcnt(0)
	global_store_dwordx2 v20, v[16:17], s[24:25] offset:512 sc1
.LBB2508_108:
	s_or_b64 exec, exec, s[0:1]
	v_cmp_eq_u32_e64 s[0:1], 0, v100
	v_mov_b32_e32 v17, 0
	s_waitcnt lgkmcnt(0)
	v_cndmask_b32_e64 v18, v19, v18, s[0:1]
	v_cndmask_b32_e64 v18, v18, 0, vcc
	s_barrier
.LBB2508_109:
	v_add_u32_e32 v19, v18, v72
	v_add_u32_e32 v20, v19, v73
	v_add_u32_e32 v21, v20, v74
	v_add_u32_e32 v22, v21, v75
	v_add_u32_e32 v23, v22, v76
	v_add_u32_e32 v24, v23, v77
	v_add_u32_e32 v25, v24, v78
	v_add_u32_e32 v72, v25, v79
	v_add_u32_e32 v73, v72, v80
	v_add_u32_e32 v74, v73, v81
	v_add_u32_e32 v75, v74, v82
	v_add_u32_e32 v76, v75, v83
	v_add_u32_e32 v77, v76, v84
	v_add_u32_e32 v78, v77, v85
	v_add_u32_e32 v79, v78, v86
	v_add_u32_e32 v80, v79, v87
	v_add_u32_e32 v81, v80, v88
	v_add_u32_e32 v82, v81, v89
	v_add_u32_e32 v83, v82, v90
	v_add_u32_e32 v84, v83, v91
	v_add_u32_e32 v85, v84, v92
	s_waitcnt lgkmcnt(0)
	v_add_u32_e32 v39, v16, v39
	v_sub_u32_e32 v18, v18, v17
	v_and_b32_e32 v71, 1, v71
	v_add_u32_e32 v86, v85, v93
	v_sub_u32_e32 v93, v39, v18
	v_cmp_eq_u32_e32 vcc, 1, v71
	v_add_u32_e32 v87, v86, v94
	v_add_u32_e32 v88, v87, v95
	v_cndmask_b32_e32 v18, v93, v18, vcc
	v_lshlrev_b32_e32 v18, 1, v18
	ds_write_b16 v18, v14
	v_sub_u32_e32 v14, v19, v17
	v_sub_u32_e32 v18, v39, v14
	v_and_b32_e32 v19, 1, v70
	v_add_u32_e32 v18, 1, v18
	v_cmp_eq_u32_e32 vcc, 1, v19
	v_and_b32_e32 v19, 1, v69
	v_add_u32_e32 v89, v88, v96
	v_cndmask_b32_e32 v14, v18, v14, vcc
	v_lshlrev_b32_e32 v14, 1, v14
	ds_write_b16 v14, v41
	v_sub_u32_e32 v14, v20, v17
	v_sub_u32_e32 v18, v39, v14
	v_add_u32_e32 v18, 2, v18
	v_cmp_eq_u32_e32 vcc, 1, v19
	v_add_u32_e32 v90, v89, v97
	v_add_u32_e32 v91, v90, v98
	v_cndmask_b32_e32 v14, v18, v14, vcc
	v_lshlrev_b32_e32 v14, 1, v14
	ds_write_b16 v14, v15
	v_sub_u32_e32 v14, v21, v17
	v_sub_u32_e32 v15, v39, v14
	v_and_b32_e32 v18, 1, v68
	v_add_u32_e32 v15, 3, v15
	v_cmp_eq_u32_e32 vcc, 1, v18
	v_and_b32_e32 v18, 1, v67
	v_add_u32_e32 v92, v91, v99
	v_cndmask_b32_e32 v14, v15, v14, vcc
	v_lshlrev_b32_e32 v14, 1, v14
	ds_write_b16 v14, v40
	v_sub_u32_e32 v14, v22, v17
	v_sub_u32_e32 v15, v39, v14
	v_add_u32_e32 v15, 4, v15
	v_cmp_eq_u32_e32 vcc, 1, v18
	s_nop 1
	v_cndmask_b32_e32 v14, v15, v14, vcc
	v_lshlrev_b32_e32 v14, 1, v14
	ds_write_b16 v14, v12
	v_sub_u32_e32 v12, v23, v17
	v_sub_u32_e32 v14, v39, v12
	v_and_b32_e32 v15, 1, v66
	v_add_u32_e32 v14, 5, v14
	v_cmp_eq_u32_e32 vcc, 1, v15
	v_and_b32_e32 v15, 1, v65
	s_nop 0
	v_cndmask_b32_e32 v12, v14, v12, vcc
	v_lshlrev_b32_e32 v12, 1, v12
	ds_write_b16 v12, v38
	v_sub_u32_e32 v12, v24, v17
	v_sub_u32_e32 v14, v39, v12
	v_add_u32_e32 v14, 6, v14
	v_cmp_eq_u32_e32 vcc, 1, v15
	s_nop 1
	v_cndmask_b32_e32 v12, v14, v12, vcc
	v_lshlrev_b32_e32 v12, 1, v12
	ds_write_b16 v12, v13
	v_sub_u32_e32 v12, v25, v17
	v_sub_u32_e32 v13, v39, v12
	v_and_b32_e32 v14, 1, v64
	v_add_u32_e32 v13, 7, v13
	v_cmp_eq_u32_e32 vcc, 1, v14
	v_and_b32_e32 v14, 1, v63
	s_nop 0
	;; [unrolled: 18-line block ×12, first 2 shown]
	v_cndmask_b32_e32 v2, v3, v2, vcc
	v_lshlrev_b32_e32 v2, 1, v2
	ds_write_b16 v2, v27
	v_sub_u32_e32 v2, v92, v17
	v_sub_u32_e32 v3, v39, v2
	v_add_u32_e32 v3, 28, v3
	v_cmp_eq_u32_e32 vcc, 1, v4
	v_and_b32_e32 v4, 1, v43
	s_nop 0
	v_cndmask_b32_e32 v2, v3, v2, vcc
	v_lshlrev_b32_e32 v2, 1, v2
	ds_write_b16 v2, v26
	v_sub_u32_sdwa v2, v42, v17 dst_sel:DWORD dst_unused:UNUSED_PAD src0_sel:BYTE_0 src1_sel:DWORD
	v_add_u32_e32 v2, v92, v2
	v_sub_u32_e32 v3, v39, v2
	v_add_u32_e32 v3, 29, v3
	v_cmp_eq_u32_e32 vcc, 1, v4
	s_nop 1
	v_cndmask_b32_e32 v2, v3, v2, vcc
	v_cmp_eq_u32_e32 vcc, 0, v0
	v_lshlrev_b32_e32 v2, 1, v2
	s_and_b64 s[0:1], vcc, s[22:23]
	ds_write_b16 v2, v1
	s_waitcnt lgkmcnt(0)
	s_barrier
	s_and_saveexec_b64 s[2:3], s[0:1]
	s_cbranch_execz .LBB2508_111
; %bb.110:
	v_mov_b32_e32 v1, 0
	v_mov_b32_e32 v0, v16
	v_lshl_add_u64 v[2:3], s[18:19], 0, v[0:1]
	v_mov_b32_e32 v0, v17
	v_lshl_add_u64 v[2:3], v[2:3], 0, v[0:1]
	global_store_dwordx2 v1, v[2:3], s[20:21]
.LBB2508_111:
	s_endpgm
	.section	.rodata,"a",@progbits
	.p2align	6, 0x0
	.amdhsa_kernel _ZN7rocprim17ROCPRIM_400000_NS6detail17trampoline_kernelINS0_14default_configENS1_25partition_config_selectorILNS1_17partition_subalgoE0EtNS0_10empty_typeEbEEZZNS1_14partition_implILS5_0ELb0ES3_jN6thrust23THRUST_200600_302600_NS6detail15normal_iteratorINSA_10device_ptrItEEEEPS6_SG_NS0_5tupleIJNSA_16discard_iteratorINSA_11use_defaultEEESK_EEENSH_IJSG_SG_EEES6_PlJ7is_evenItEEEE10hipError_tPvRmT3_T4_T5_T6_T7_T9_mT8_P12ihipStream_tbDpT10_ENKUlT_T0_E_clISt17integral_constantIbLb1EES18_IbLb0EEEEDaS14_S15_EUlS14_E_NS1_11comp_targetILNS1_3genE5ELNS1_11target_archE942ELNS1_3gpuE9ELNS1_3repE0EEENS1_30default_config_static_selectorELNS0_4arch9wavefront6targetE1EEEvT1_
		.amdhsa_group_segment_fixed_size 30728
		.amdhsa_private_segment_fixed_size 0
		.amdhsa_kernarg_size 136
		.amdhsa_user_sgpr_count 2
		.amdhsa_user_sgpr_dispatch_ptr 0
		.amdhsa_user_sgpr_queue_ptr 0
		.amdhsa_user_sgpr_kernarg_segment_ptr 1
		.amdhsa_user_sgpr_dispatch_id 0
		.amdhsa_user_sgpr_kernarg_preload_length 0
		.amdhsa_user_sgpr_kernarg_preload_offset 0
		.amdhsa_user_sgpr_private_segment_size 0
		.amdhsa_uses_dynamic_stack 0
		.amdhsa_enable_private_segment 0
		.amdhsa_system_sgpr_workgroup_id_x 1
		.amdhsa_system_sgpr_workgroup_id_y 0
		.amdhsa_system_sgpr_workgroup_id_z 0
		.amdhsa_system_sgpr_workgroup_info 0
		.amdhsa_system_vgpr_workitem_id 0
		.amdhsa_next_free_vgpr 119
		.amdhsa_next_free_sgpr 36
		.amdhsa_accum_offset 120
		.amdhsa_reserve_vcc 1
		.amdhsa_float_round_mode_32 0
		.amdhsa_float_round_mode_16_64 0
		.amdhsa_float_denorm_mode_32 3
		.amdhsa_float_denorm_mode_16_64 3
		.amdhsa_dx10_clamp 1
		.amdhsa_ieee_mode 1
		.amdhsa_fp16_overflow 0
		.amdhsa_tg_split 0
		.amdhsa_exception_fp_ieee_invalid_op 0
		.amdhsa_exception_fp_denorm_src 0
		.amdhsa_exception_fp_ieee_div_zero 0
		.amdhsa_exception_fp_ieee_overflow 0
		.amdhsa_exception_fp_ieee_underflow 0
		.amdhsa_exception_fp_ieee_inexact 0
		.amdhsa_exception_int_div_zero 0
	.end_amdhsa_kernel
	.section	.text._ZN7rocprim17ROCPRIM_400000_NS6detail17trampoline_kernelINS0_14default_configENS1_25partition_config_selectorILNS1_17partition_subalgoE0EtNS0_10empty_typeEbEEZZNS1_14partition_implILS5_0ELb0ES3_jN6thrust23THRUST_200600_302600_NS6detail15normal_iteratorINSA_10device_ptrItEEEEPS6_SG_NS0_5tupleIJNSA_16discard_iteratorINSA_11use_defaultEEESK_EEENSH_IJSG_SG_EEES6_PlJ7is_evenItEEEE10hipError_tPvRmT3_T4_T5_T6_T7_T9_mT8_P12ihipStream_tbDpT10_ENKUlT_T0_E_clISt17integral_constantIbLb1EES18_IbLb0EEEEDaS14_S15_EUlS14_E_NS1_11comp_targetILNS1_3genE5ELNS1_11target_archE942ELNS1_3gpuE9ELNS1_3repE0EEENS1_30default_config_static_selectorELNS0_4arch9wavefront6targetE1EEEvT1_,"axG",@progbits,_ZN7rocprim17ROCPRIM_400000_NS6detail17trampoline_kernelINS0_14default_configENS1_25partition_config_selectorILNS1_17partition_subalgoE0EtNS0_10empty_typeEbEEZZNS1_14partition_implILS5_0ELb0ES3_jN6thrust23THRUST_200600_302600_NS6detail15normal_iteratorINSA_10device_ptrItEEEEPS6_SG_NS0_5tupleIJNSA_16discard_iteratorINSA_11use_defaultEEESK_EEENSH_IJSG_SG_EEES6_PlJ7is_evenItEEEE10hipError_tPvRmT3_T4_T5_T6_T7_T9_mT8_P12ihipStream_tbDpT10_ENKUlT_T0_E_clISt17integral_constantIbLb1EES18_IbLb0EEEEDaS14_S15_EUlS14_E_NS1_11comp_targetILNS1_3genE5ELNS1_11target_archE942ELNS1_3gpuE9ELNS1_3repE0EEENS1_30default_config_static_selectorELNS0_4arch9wavefront6targetE1EEEvT1_,comdat
.Lfunc_end2508:
	.size	_ZN7rocprim17ROCPRIM_400000_NS6detail17trampoline_kernelINS0_14default_configENS1_25partition_config_selectorILNS1_17partition_subalgoE0EtNS0_10empty_typeEbEEZZNS1_14partition_implILS5_0ELb0ES3_jN6thrust23THRUST_200600_302600_NS6detail15normal_iteratorINSA_10device_ptrItEEEEPS6_SG_NS0_5tupleIJNSA_16discard_iteratorINSA_11use_defaultEEESK_EEENSH_IJSG_SG_EEES6_PlJ7is_evenItEEEE10hipError_tPvRmT3_T4_T5_T6_T7_T9_mT8_P12ihipStream_tbDpT10_ENKUlT_T0_E_clISt17integral_constantIbLb1EES18_IbLb0EEEEDaS14_S15_EUlS14_E_NS1_11comp_targetILNS1_3genE5ELNS1_11target_archE942ELNS1_3gpuE9ELNS1_3repE0EEENS1_30default_config_static_selectorELNS0_4arch9wavefront6targetE1EEEvT1_, .Lfunc_end2508-_ZN7rocprim17ROCPRIM_400000_NS6detail17trampoline_kernelINS0_14default_configENS1_25partition_config_selectorILNS1_17partition_subalgoE0EtNS0_10empty_typeEbEEZZNS1_14partition_implILS5_0ELb0ES3_jN6thrust23THRUST_200600_302600_NS6detail15normal_iteratorINSA_10device_ptrItEEEEPS6_SG_NS0_5tupleIJNSA_16discard_iteratorINSA_11use_defaultEEESK_EEENSH_IJSG_SG_EEES6_PlJ7is_evenItEEEE10hipError_tPvRmT3_T4_T5_T6_T7_T9_mT8_P12ihipStream_tbDpT10_ENKUlT_T0_E_clISt17integral_constantIbLb1EES18_IbLb0EEEEDaS14_S15_EUlS14_E_NS1_11comp_targetILNS1_3genE5ELNS1_11target_archE942ELNS1_3gpuE9ELNS1_3repE0EEENS1_30default_config_static_selectorELNS0_4arch9wavefront6targetE1EEEvT1_
                                        ; -- End function
	.section	.AMDGPU.csdata,"",@progbits
; Kernel info:
; codeLenInByte = 7296
; NumSgprs: 42
; NumVgprs: 119
; NumAgprs: 0
; TotalNumVgprs: 119
; ScratchSize: 0
; MemoryBound: 0
; FloatMode: 240
; IeeeMode: 1
; LDSByteSize: 30728 bytes/workgroup (compile time only)
; SGPRBlocks: 5
; VGPRBlocks: 14
; NumSGPRsForWavesPerEU: 42
; NumVGPRsForWavesPerEU: 119
; AccumOffset: 120
; Occupancy: 4
; WaveLimiterHint : 1
; COMPUTE_PGM_RSRC2:SCRATCH_EN: 0
; COMPUTE_PGM_RSRC2:USER_SGPR: 2
; COMPUTE_PGM_RSRC2:TRAP_HANDLER: 0
; COMPUTE_PGM_RSRC2:TGID_X_EN: 1
; COMPUTE_PGM_RSRC2:TGID_Y_EN: 0
; COMPUTE_PGM_RSRC2:TGID_Z_EN: 0
; COMPUTE_PGM_RSRC2:TIDIG_COMP_CNT: 0
; COMPUTE_PGM_RSRC3_GFX90A:ACCUM_OFFSET: 29
; COMPUTE_PGM_RSRC3_GFX90A:TG_SPLIT: 0
	.section	.text._ZN7rocprim17ROCPRIM_400000_NS6detail17trampoline_kernelINS0_14default_configENS1_25partition_config_selectorILNS1_17partition_subalgoE0EtNS0_10empty_typeEbEEZZNS1_14partition_implILS5_0ELb0ES3_jN6thrust23THRUST_200600_302600_NS6detail15normal_iteratorINSA_10device_ptrItEEEEPS6_SG_NS0_5tupleIJNSA_16discard_iteratorINSA_11use_defaultEEESK_EEENSH_IJSG_SG_EEES6_PlJ7is_evenItEEEE10hipError_tPvRmT3_T4_T5_T6_T7_T9_mT8_P12ihipStream_tbDpT10_ENKUlT_T0_E_clISt17integral_constantIbLb1EES18_IbLb0EEEEDaS14_S15_EUlS14_E_NS1_11comp_targetILNS1_3genE4ELNS1_11target_archE910ELNS1_3gpuE8ELNS1_3repE0EEENS1_30default_config_static_selectorELNS0_4arch9wavefront6targetE1EEEvT1_,"axG",@progbits,_ZN7rocprim17ROCPRIM_400000_NS6detail17trampoline_kernelINS0_14default_configENS1_25partition_config_selectorILNS1_17partition_subalgoE0EtNS0_10empty_typeEbEEZZNS1_14partition_implILS5_0ELb0ES3_jN6thrust23THRUST_200600_302600_NS6detail15normal_iteratorINSA_10device_ptrItEEEEPS6_SG_NS0_5tupleIJNSA_16discard_iteratorINSA_11use_defaultEEESK_EEENSH_IJSG_SG_EEES6_PlJ7is_evenItEEEE10hipError_tPvRmT3_T4_T5_T6_T7_T9_mT8_P12ihipStream_tbDpT10_ENKUlT_T0_E_clISt17integral_constantIbLb1EES18_IbLb0EEEEDaS14_S15_EUlS14_E_NS1_11comp_targetILNS1_3genE4ELNS1_11target_archE910ELNS1_3gpuE8ELNS1_3repE0EEENS1_30default_config_static_selectorELNS0_4arch9wavefront6targetE1EEEvT1_,comdat
	.protected	_ZN7rocprim17ROCPRIM_400000_NS6detail17trampoline_kernelINS0_14default_configENS1_25partition_config_selectorILNS1_17partition_subalgoE0EtNS0_10empty_typeEbEEZZNS1_14partition_implILS5_0ELb0ES3_jN6thrust23THRUST_200600_302600_NS6detail15normal_iteratorINSA_10device_ptrItEEEEPS6_SG_NS0_5tupleIJNSA_16discard_iteratorINSA_11use_defaultEEESK_EEENSH_IJSG_SG_EEES6_PlJ7is_evenItEEEE10hipError_tPvRmT3_T4_T5_T6_T7_T9_mT8_P12ihipStream_tbDpT10_ENKUlT_T0_E_clISt17integral_constantIbLb1EES18_IbLb0EEEEDaS14_S15_EUlS14_E_NS1_11comp_targetILNS1_3genE4ELNS1_11target_archE910ELNS1_3gpuE8ELNS1_3repE0EEENS1_30default_config_static_selectorELNS0_4arch9wavefront6targetE1EEEvT1_ ; -- Begin function _ZN7rocprim17ROCPRIM_400000_NS6detail17trampoline_kernelINS0_14default_configENS1_25partition_config_selectorILNS1_17partition_subalgoE0EtNS0_10empty_typeEbEEZZNS1_14partition_implILS5_0ELb0ES3_jN6thrust23THRUST_200600_302600_NS6detail15normal_iteratorINSA_10device_ptrItEEEEPS6_SG_NS0_5tupleIJNSA_16discard_iteratorINSA_11use_defaultEEESK_EEENSH_IJSG_SG_EEES6_PlJ7is_evenItEEEE10hipError_tPvRmT3_T4_T5_T6_T7_T9_mT8_P12ihipStream_tbDpT10_ENKUlT_T0_E_clISt17integral_constantIbLb1EES18_IbLb0EEEEDaS14_S15_EUlS14_E_NS1_11comp_targetILNS1_3genE4ELNS1_11target_archE910ELNS1_3gpuE8ELNS1_3repE0EEENS1_30default_config_static_selectorELNS0_4arch9wavefront6targetE1EEEvT1_
	.globl	_ZN7rocprim17ROCPRIM_400000_NS6detail17trampoline_kernelINS0_14default_configENS1_25partition_config_selectorILNS1_17partition_subalgoE0EtNS0_10empty_typeEbEEZZNS1_14partition_implILS5_0ELb0ES3_jN6thrust23THRUST_200600_302600_NS6detail15normal_iteratorINSA_10device_ptrItEEEEPS6_SG_NS0_5tupleIJNSA_16discard_iteratorINSA_11use_defaultEEESK_EEENSH_IJSG_SG_EEES6_PlJ7is_evenItEEEE10hipError_tPvRmT3_T4_T5_T6_T7_T9_mT8_P12ihipStream_tbDpT10_ENKUlT_T0_E_clISt17integral_constantIbLb1EES18_IbLb0EEEEDaS14_S15_EUlS14_E_NS1_11comp_targetILNS1_3genE4ELNS1_11target_archE910ELNS1_3gpuE8ELNS1_3repE0EEENS1_30default_config_static_selectorELNS0_4arch9wavefront6targetE1EEEvT1_
	.p2align	8
	.type	_ZN7rocprim17ROCPRIM_400000_NS6detail17trampoline_kernelINS0_14default_configENS1_25partition_config_selectorILNS1_17partition_subalgoE0EtNS0_10empty_typeEbEEZZNS1_14partition_implILS5_0ELb0ES3_jN6thrust23THRUST_200600_302600_NS6detail15normal_iteratorINSA_10device_ptrItEEEEPS6_SG_NS0_5tupleIJNSA_16discard_iteratorINSA_11use_defaultEEESK_EEENSH_IJSG_SG_EEES6_PlJ7is_evenItEEEE10hipError_tPvRmT3_T4_T5_T6_T7_T9_mT8_P12ihipStream_tbDpT10_ENKUlT_T0_E_clISt17integral_constantIbLb1EES18_IbLb0EEEEDaS14_S15_EUlS14_E_NS1_11comp_targetILNS1_3genE4ELNS1_11target_archE910ELNS1_3gpuE8ELNS1_3repE0EEENS1_30default_config_static_selectorELNS0_4arch9wavefront6targetE1EEEvT1_,@function
_ZN7rocprim17ROCPRIM_400000_NS6detail17trampoline_kernelINS0_14default_configENS1_25partition_config_selectorILNS1_17partition_subalgoE0EtNS0_10empty_typeEbEEZZNS1_14partition_implILS5_0ELb0ES3_jN6thrust23THRUST_200600_302600_NS6detail15normal_iteratorINSA_10device_ptrItEEEEPS6_SG_NS0_5tupleIJNSA_16discard_iteratorINSA_11use_defaultEEESK_EEENSH_IJSG_SG_EEES6_PlJ7is_evenItEEEE10hipError_tPvRmT3_T4_T5_T6_T7_T9_mT8_P12ihipStream_tbDpT10_ENKUlT_T0_E_clISt17integral_constantIbLb1EES18_IbLb0EEEEDaS14_S15_EUlS14_E_NS1_11comp_targetILNS1_3genE4ELNS1_11target_archE910ELNS1_3gpuE8ELNS1_3repE0EEENS1_30default_config_static_selectorELNS0_4arch9wavefront6targetE1EEEvT1_: ; @_ZN7rocprim17ROCPRIM_400000_NS6detail17trampoline_kernelINS0_14default_configENS1_25partition_config_selectorILNS1_17partition_subalgoE0EtNS0_10empty_typeEbEEZZNS1_14partition_implILS5_0ELb0ES3_jN6thrust23THRUST_200600_302600_NS6detail15normal_iteratorINSA_10device_ptrItEEEEPS6_SG_NS0_5tupleIJNSA_16discard_iteratorINSA_11use_defaultEEESK_EEENSH_IJSG_SG_EEES6_PlJ7is_evenItEEEE10hipError_tPvRmT3_T4_T5_T6_T7_T9_mT8_P12ihipStream_tbDpT10_ENKUlT_T0_E_clISt17integral_constantIbLb1EES18_IbLb0EEEEDaS14_S15_EUlS14_E_NS1_11comp_targetILNS1_3genE4ELNS1_11target_archE910ELNS1_3gpuE8ELNS1_3repE0EEENS1_30default_config_static_selectorELNS0_4arch9wavefront6targetE1EEEvT1_
; %bb.0:
	.section	.rodata,"a",@progbits
	.p2align	6, 0x0
	.amdhsa_kernel _ZN7rocprim17ROCPRIM_400000_NS6detail17trampoline_kernelINS0_14default_configENS1_25partition_config_selectorILNS1_17partition_subalgoE0EtNS0_10empty_typeEbEEZZNS1_14partition_implILS5_0ELb0ES3_jN6thrust23THRUST_200600_302600_NS6detail15normal_iteratorINSA_10device_ptrItEEEEPS6_SG_NS0_5tupleIJNSA_16discard_iteratorINSA_11use_defaultEEESK_EEENSH_IJSG_SG_EEES6_PlJ7is_evenItEEEE10hipError_tPvRmT3_T4_T5_T6_T7_T9_mT8_P12ihipStream_tbDpT10_ENKUlT_T0_E_clISt17integral_constantIbLb1EES18_IbLb0EEEEDaS14_S15_EUlS14_E_NS1_11comp_targetILNS1_3genE4ELNS1_11target_archE910ELNS1_3gpuE8ELNS1_3repE0EEENS1_30default_config_static_selectorELNS0_4arch9wavefront6targetE1EEEvT1_
		.amdhsa_group_segment_fixed_size 0
		.amdhsa_private_segment_fixed_size 0
		.amdhsa_kernarg_size 136
		.amdhsa_user_sgpr_count 2
		.amdhsa_user_sgpr_dispatch_ptr 0
		.amdhsa_user_sgpr_queue_ptr 0
		.amdhsa_user_sgpr_kernarg_segment_ptr 1
		.amdhsa_user_sgpr_dispatch_id 0
		.amdhsa_user_sgpr_kernarg_preload_length 0
		.amdhsa_user_sgpr_kernarg_preload_offset 0
		.amdhsa_user_sgpr_private_segment_size 0
		.amdhsa_uses_dynamic_stack 0
		.amdhsa_enable_private_segment 0
		.amdhsa_system_sgpr_workgroup_id_x 1
		.amdhsa_system_sgpr_workgroup_id_y 0
		.amdhsa_system_sgpr_workgroup_id_z 0
		.amdhsa_system_sgpr_workgroup_info 0
		.amdhsa_system_vgpr_workitem_id 0
		.amdhsa_next_free_vgpr 1
		.amdhsa_next_free_sgpr 0
		.amdhsa_accum_offset 4
		.amdhsa_reserve_vcc 0
		.amdhsa_float_round_mode_32 0
		.amdhsa_float_round_mode_16_64 0
		.amdhsa_float_denorm_mode_32 3
		.amdhsa_float_denorm_mode_16_64 3
		.amdhsa_dx10_clamp 1
		.amdhsa_ieee_mode 1
		.amdhsa_fp16_overflow 0
		.amdhsa_tg_split 0
		.amdhsa_exception_fp_ieee_invalid_op 0
		.amdhsa_exception_fp_denorm_src 0
		.amdhsa_exception_fp_ieee_div_zero 0
		.amdhsa_exception_fp_ieee_overflow 0
		.amdhsa_exception_fp_ieee_underflow 0
		.amdhsa_exception_fp_ieee_inexact 0
		.amdhsa_exception_int_div_zero 0
	.end_amdhsa_kernel
	.section	.text._ZN7rocprim17ROCPRIM_400000_NS6detail17trampoline_kernelINS0_14default_configENS1_25partition_config_selectorILNS1_17partition_subalgoE0EtNS0_10empty_typeEbEEZZNS1_14partition_implILS5_0ELb0ES3_jN6thrust23THRUST_200600_302600_NS6detail15normal_iteratorINSA_10device_ptrItEEEEPS6_SG_NS0_5tupleIJNSA_16discard_iteratorINSA_11use_defaultEEESK_EEENSH_IJSG_SG_EEES6_PlJ7is_evenItEEEE10hipError_tPvRmT3_T4_T5_T6_T7_T9_mT8_P12ihipStream_tbDpT10_ENKUlT_T0_E_clISt17integral_constantIbLb1EES18_IbLb0EEEEDaS14_S15_EUlS14_E_NS1_11comp_targetILNS1_3genE4ELNS1_11target_archE910ELNS1_3gpuE8ELNS1_3repE0EEENS1_30default_config_static_selectorELNS0_4arch9wavefront6targetE1EEEvT1_,"axG",@progbits,_ZN7rocprim17ROCPRIM_400000_NS6detail17trampoline_kernelINS0_14default_configENS1_25partition_config_selectorILNS1_17partition_subalgoE0EtNS0_10empty_typeEbEEZZNS1_14partition_implILS5_0ELb0ES3_jN6thrust23THRUST_200600_302600_NS6detail15normal_iteratorINSA_10device_ptrItEEEEPS6_SG_NS0_5tupleIJNSA_16discard_iteratorINSA_11use_defaultEEESK_EEENSH_IJSG_SG_EEES6_PlJ7is_evenItEEEE10hipError_tPvRmT3_T4_T5_T6_T7_T9_mT8_P12ihipStream_tbDpT10_ENKUlT_T0_E_clISt17integral_constantIbLb1EES18_IbLb0EEEEDaS14_S15_EUlS14_E_NS1_11comp_targetILNS1_3genE4ELNS1_11target_archE910ELNS1_3gpuE8ELNS1_3repE0EEENS1_30default_config_static_selectorELNS0_4arch9wavefront6targetE1EEEvT1_,comdat
.Lfunc_end2509:
	.size	_ZN7rocprim17ROCPRIM_400000_NS6detail17trampoline_kernelINS0_14default_configENS1_25partition_config_selectorILNS1_17partition_subalgoE0EtNS0_10empty_typeEbEEZZNS1_14partition_implILS5_0ELb0ES3_jN6thrust23THRUST_200600_302600_NS6detail15normal_iteratorINSA_10device_ptrItEEEEPS6_SG_NS0_5tupleIJNSA_16discard_iteratorINSA_11use_defaultEEESK_EEENSH_IJSG_SG_EEES6_PlJ7is_evenItEEEE10hipError_tPvRmT3_T4_T5_T6_T7_T9_mT8_P12ihipStream_tbDpT10_ENKUlT_T0_E_clISt17integral_constantIbLb1EES18_IbLb0EEEEDaS14_S15_EUlS14_E_NS1_11comp_targetILNS1_3genE4ELNS1_11target_archE910ELNS1_3gpuE8ELNS1_3repE0EEENS1_30default_config_static_selectorELNS0_4arch9wavefront6targetE1EEEvT1_, .Lfunc_end2509-_ZN7rocprim17ROCPRIM_400000_NS6detail17trampoline_kernelINS0_14default_configENS1_25partition_config_selectorILNS1_17partition_subalgoE0EtNS0_10empty_typeEbEEZZNS1_14partition_implILS5_0ELb0ES3_jN6thrust23THRUST_200600_302600_NS6detail15normal_iteratorINSA_10device_ptrItEEEEPS6_SG_NS0_5tupleIJNSA_16discard_iteratorINSA_11use_defaultEEESK_EEENSH_IJSG_SG_EEES6_PlJ7is_evenItEEEE10hipError_tPvRmT3_T4_T5_T6_T7_T9_mT8_P12ihipStream_tbDpT10_ENKUlT_T0_E_clISt17integral_constantIbLb1EES18_IbLb0EEEEDaS14_S15_EUlS14_E_NS1_11comp_targetILNS1_3genE4ELNS1_11target_archE910ELNS1_3gpuE8ELNS1_3repE0EEENS1_30default_config_static_selectorELNS0_4arch9wavefront6targetE1EEEvT1_
                                        ; -- End function
	.section	.AMDGPU.csdata,"",@progbits
; Kernel info:
; codeLenInByte = 0
; NumSgprs: 6
; NumVgprs: 0
; NumAgprs: 0
; TotalNumVgprs: 0
; ScratchSize: 0
; MemoryBound: 0
; FloatMode: 240
; IeeeMode: 1
; LDSByteSize: 0 bytes/workgroup (compile time only)
; SGPRBlocks: 0
; VGPRBlocks: 0
; NumSGPRsForWavesPerEU: 6
; NumVGPRsForWavesPerEU: 1
; AccumOffset: 4
; Occupancy: 8
; WaveLimiterHint : 0
; COMPUTE_PGM_RSRC2:SCRATCH_EN: 0
; COMPUTE_PGM_RSRC2:USER_SGPR: 2
; COMPUTE_PGM_RSRC2:TRAP_HANDLER: 0
; COMPUTE_PGM_RSRC2:TGID_X_EN: 1
; COMPUTE_PGM_RSRC2:TGID_Y_EN: 0
; COMPUTE_PGM_RSRC2:TGID_Z_EN: 0
; COMPUTE_PGM_RSRC2:TIDIG_COMP_CNT: 0
; COMPUTE_PGM_RSRC3_GFX90A:ACCUM_OFFSET: 0
; COMPUTE_PGM_RSRC3_GFX90A:TG_SPLIT: 0
	.section	.text._ZN7rocprim17ROCPRIM_400000_NS6detail17trampoline_kernelINS0_14default_configENS1_25partition_config_selectorILNS1_17partition_subalgoE0EtNS0_10empty_typeEbEEZZNS1_14partition_implILS5_0ELb0ES3_jN6thrust23THRUST_200600_302600_NS6detail15normal_iteratorINSA_10device_ptrItEEEEPS6_SG_NS0_5tupleIJNSA_16discard_iteratorINSA_11use_defaultEEESK_EEENSH_IJSG_SG_EEES6_PlJ7is_evenItEEEE10hipError_tPvRmT3_T4_T5_T6_T7_T9_mT8_P12ihipStream_tbDpT10_ENKUlT_T0_E_clISt17integral_constantIbLb1EES18_IbLb0EEEEDaS14_S15_EUlS14_E_NS1_11comp_targetILNS1_3genE3ELNS1_11target_archE908ELNS1_3gpuE7ELNS1_3repE0EEENS1_30default_config_static_selectorELNS0_4arch9wavefront6targetE1EEEvT1_,"axG",@progbits,_ZN7rocprim17ROCPRIM_400000_NS6detail17trampoline_kernelINS0_14default_configENS1_25partition_config_selectorILNS1_17partition_subalgoE0EtNS0_10empty_typeEbEEZZNS1_14partition_implILS5_0ELb0ES3_jN6thrust23THRUST_200600_302600_NS6detail15normal_iteratorINSA_10device_ptrItEEEEPS6_SG_NS0_5tupleIJNSA_16discard_iteratorINSA_11use_defaultEEESK_EEENSH_IJSG_SG_EEES6_PlJ7is_evenItEEEE10hipError_tPvRmT3_T4_T5_T6_T7_T9_mT8_P12ihipStream_tbDpT10_ENKUlT_T0_E_clISt17integral_constantIbLb1EES18_IbLb0EEEEDaS14_S15_EUlS14_E_NS1_11comp_targetILNS1_3genE3ELNS1_11target_archE908ELNS1_3gpuE7ELNS1_3repE0EEENS1_30default_config_static_selectorELNS0_4arch9wavefront6targetE1EEEvT1_,comdat
	.protected	_ZN7rocprim17ROCPRIM_400000_NS6detail17trampoline_kernelINS0_14default_configENS1_25partition_config_selectorILNS1_17partition_subalgoE0EtNS0_10empty_typeEbEEZZNS1_14partition_implILS5_0ELb0ES3_jN6thrust23THRUST_200600_302600_NS6detail15normal_iteratorINSA_10device_ptrItEEEEPS6_SG_NS0_5tupleIJNSA_16discard_iteratorINSA_11use_defaultEEESK_EEENSH_IJSG_SG_EEES6_PlJ7is_evenItEEEE10hipError_tPvRmT3_T4_T5_T6_T7_T9_mT8_P12ihipStream_tbDpT10_ENKUlT_T0_E_clISt17integral_constantIbLb1EES18_IbLb0EEEEDaS14_S15_EUlS14_E_NS1_11comp_targetILNS1_3genE3ELNS1_11target_archE908ELNS1_3gpuE7ELNS1_3repE0EEENS1_30default_config_static_selectorELNS0_4arch9wavefront6targetE1EEEvT1_ ; -- Begin function _ZN7rocprim17ROCPRIM_400000_NS6detail17trampoline_kernelINS0_14default_configENS1_25partition_config_selectorILNS1_17partition_subalgoE0EtNS0_10empty_typeEbEEZZNS1_14partition_implILS5_0ELb0ES3_jN6thrust23THRUST_200600_302600_NS6detail15normal_iteratorINSA_10device_ptrItEEEEPS6_SG_NS0_5tupleIJNSA_16discard_iteratorINSA_11use_defaultEEESK_EEENSH_IJSG_SG_EEES6_PlJ7is_evenItEEEE10hipError_tPvRmT3_T4_T5_T6_T7_T9_mT8_P12ihipStream_tbDpT10_ENKUlT_T0_E_clISt17integral_constantIbLb1EES18_IbLb0EEEEDaS14_S15_EUlS14_E_NS1_11comp_targetILNS1_3genE3ELNS1_11target_archE908ELNS1_3gpuE7ELNS1_3repE0EEENS1_30default_config_static_selectorELNS0_4arch9wavefront6targetE1EEEvT1_
	.globl	_ZN7rocprim17ROCPRIM_400000_NS6detail17trampoline_kernelINS0_14default_configENS1_25partition_config_selectorILNS1_17partition_subalgoE0EtNS0_10empty_typeEbEEZZNS1_14partition_implILS5_0ELb0ES3_jN6thrust23THRUST_200600_302600_NS6detail15normal_iteratorINSA_10device_ptrItEEEEPS6_SG_NS0_5tupleIJNSA_16discard_iteratorINSA_11use_defaultEEESK_EEENSH_IJSG_SG_EEES6_PlJ7is_evenItEEEE10hipError_tPvRmT3_T4_T5_T6_T7_T9_mT8_P12ihipStream_tbDpT10_ENKUlT_T0_E_clISt17integral_constantIbLb1EES18_IbLb0EEEEDaS14_S15_EUlS14_E_NS1_11comp_targetILNS1_3genE3ELNS1_11target_archE908ELNS1_3gpuE7ELNS1_3repE0EEENS1_30default_config_static_selectorELNS0_4arch9wavefront6targetE1EEEvT1_
	.p2align	8
	.type	_ZN7rocprim17ROCPRIM_400000_NS6detail17trampoline_kernelINS0_14default_configENS1_25partition_config_selectorILNS1_17partition_subalgoE0EtNS0_10empty_typeEbEEZZNS1_14partition_implILS5_0ELb0ES3_jN6thrust23THRUST_200600_302600_NS6detail15normal_iteratorINSA_10device_ptrItEEEEPS6_SG_NS0_5tupleIJNSA_16discard_iteratorINSA_11use_defaultEEESK_EEENSH_IJSG_SG_EEES6_PlJ7is_evenItEEEE10hipError_tPvRmT3_T4_T5_T6_T7_T9_mT8_P12ihipStream_tbDpT10_ENKUlT_T0_E_clISt17integral_constantIbLb1EES18_IbLb0EEEEDaS14_S15_EUlS14_E_NS1_11comp_targetILNS1_3genE3ELNS1_11target_archE908ELNS1_3gpuE7ELNS1_3repE0EEENS1_30default_config_static_selectorELNS0_4arch9wavefront6targetE1EEEvT1_,@function
_ZN7rocprim17ROCPRIM_400000_NS6detail17trampoline_kernelINS0_14default_configENS1_25partition_config_selectorILNS1_17partition_subalgoE0EtNS0_10empty_typeEbEEZZNS1_14partition_implILS5_0ELb0ES3_jN6thrust23THRUST_200600_302600_NS6detail15normal_iteratorINSA_10device_ptrItEEEEPS6_SG_NS0_5tupleIJNSA_16discard_iteratorINSA_11use_defaultEEESK_EEENSH_IJSG_SG_EEES6_PlJ7is_evenItEEEE10hipError_tPvRmT3_T4_T5_T6_T7_T9_mT8_P12ihipStream_tbDpT10_ENKUlT_T0_E_clISt17integral_constantIbLb1EES18_IbLb0EEEEDaS14_S15_EUlS14_E_NS1_11comp_targetILNS1_3genE3ELNS1_11target_archE908ELNS1_3gpuE7ELNS1_3repE0EEENS1_30default_config_static_selectorELNS0_4arch9wavefront6targetE1EEEvT1_: ; @_ZN7rocprim17ROCPRIM_400000_NS6detail17trampoline_kernelINS0_14default_configENS1_25partition_config_selectorILNS1_17partition_subalgoE0EtNS0_10empty_typeEbEEZZNS1_14partition_implILS5_0ELb0ES3_jN6thrust23THRUST_200600_302600_NS6detail15normal_iteratorINSA_10device_ptrItEEEEPS6_SG_NS0_5tupleIJNSA_16discard_iteratorINSA_11use_defaultEEESK_EEENSH_IJSG_SG_EEES6_PlJ7is_evenItEEEE10hipError_tPvRmT3_T4_T5_T6_T7_T9_mT8_P12ihipStream_tbDpT10_ENKUlT_T0_E_clISt17integral_constantIbLb1EES18_IbLb0EEEEDaS14_S15_EUlS14_E_NS1_11comp_targetILNS1_3genE3ELNS1_11target_archE908ELNS1_3gpuE7ELNS1_3repE0EEENS1_30default_config_static_selectorELNS0_4arch9wavefront6targetE1EEEvT1_
; %bb.0:
	.section	.rodata,"a",@progbits
	.p2align	6, 0x0
	.amdhsa_kernel _ZN7rocprim17ROCPRIM_400000_NS6detail17trampoline_kernelINS0_14default_configENS1_25partition_config_selectorILNS1_17partition_subalgoE0EtNS0_10empty_typeEbEEZZNS1_14partition_implILS5_0ELb0ES3_jN6thrust23THRUST_200600_302600_NS6detail15normal_iteratorINSA_10device_ptrItEEEEPS6_SG_NS0_5tupleIJNSA_16discard_iteratorINSA_11use_defaultEEESK_EEENSH_IJSG_SG_EEES6_PlJ7is_evenItEEEE10hipError_tPvRmT3_T4_T5_T6_T7_T9_mT8_P12ihipStream_tbDpT10_ENKUlT_T0_E_clISt17integral_constantIbLb1EES18_IbLb0EEEEDaS14_S15_EUlS14_E_NS1_11comp_targetILNS1_3genE3ELNS1_11target_archE908ELNS1_3gpuE7ELNS1_3repE0EEENS1_30default_config_static_selectorELNS0_4arch9wavefront6targetE1EEEvT1_
		.amdhsa_group_segment_fixed_size 0
		.amdhsa_private_segment_fixed_size 0
		.amdhsa_kernarg_size 136
		.amdhsa_user_sgpr_count 2
		.amdhsa_user_sgpr_dispatch_ptr 0
		.amdhsa_user_sgpr_queue_ptr 0
		.amdhsa_user_sgpr_kernarg_segment_ptr 1
		.amdhsa_user_sgpr_dispatch_id 0
		.amdhsa_user_sgpr_kernarg_preload_length 0
		.amdhsa_user_sgpr_kernarg_preload_offset 0
		.amdhsa_user_sgpr_private_segment_size 0
		.amdhsa_uses_dynamic_stack 0
		.amdhsa_enable_private_segment 0
		.amdhsa_system_sgpr_workgroup_id_x 1
		.amdhsa_system_sgpr_workgroup_id_y 0
		.amdhsa_system_sgpr_workgroup_id_z 0
		.amdhsa_system_sgpr_workgroup_info 0
		.amdhsa_system_vgpr_workitem_id 0
		.amdhsa_next_free_vgpr 1
		.amdhsa_next_free_sgpr 0
		.amdhsa_accum_offset 4
		.amdhsa_reserve_vcc 0
		.amdhsa_float_round_mode_32 0
		.amdhsa_float_round_mode_16_64 0
		.amdhsa_float_denorm_mode_32 3
		.amdhsa_float_denorm_mode_16_64 3
		.amdhsa_dx10_clamp 1
		.amdhsa_ieee_mode 1
		.amdhsa_fp16_overflow 0
		.amdhsa_tg_split 0
		.amdhsa_exception_fp_ieee_invalid_op 0
		.amdhsa_exception_fp_denorm_src 0
		.amdhsa_exception_fp_ieee_div_zero 0
		.amdhsa_exception_fp_ieee_overflow 0
		.amdhsa_exception_fp_ieee_underflow 0
		.amdhsa_exception_fp_ieee_inexact 0
		.amdhsa_exception_int_div_zero 0
	.end_amdhsa_kernel
	.section	.text._ZN7rocprim17ROCPRIM_400000_NS6detail17trampoline_kernelINS0_14default_configENS1_25partition_config_selectorILNS1_17partition_subalgoE0EtNS0_10empty_typeEbEEZZNS1_14partition_implILS5_0ELb0ES3_jN6thrust23THRUST_200600_302600_NS6detail15normal_iteratorINSA_10device_ptrItEEEEPS6_SG_NS0_5tupleIJNSA_16discard_iteratorINSA_11use_defaultEEESK_EEENSH_IJSG_SG_EEES6_PlJ7is_evenItEEEE10hipError_tPvRmT3_T4_T5_T6_T7_T9_mT8_P12ihipStream_tbDpT10_ENKUlT_T0_E_clISt17integral_constantIbLb1EES18_IbLb0EEEEDaS14_S15_EUlS14_E_NS1_11comp_targetILNS1_3genE3ELNS1_11target_archE908ELNS1_3gpuE7ELNS1_3repE0EEENS1_30default_config_static_selectorELNS0_4arch9wavefront6targetE1EEEvT1_,"axG",@progbits,_ZN7rocprim17ROCPRIM_400000_NS6detail17trampoline_kernelINS0_14default_configENS1_25partition_config_selectorILNS1_17partition_subalgoE0EtNS0_10empty_typeEbEEZZNS1_14partition_implILS5_0ELb0ES3_jN6thrust23THRUST_200600_302600_NS6detail15normal_iteratorINSA_10device_ptrItEEEEPS6_SG_NS0_5tupleIJNSA_16discard_iteratorINSA_11use_defaultEEESK_EEENSH_IJSG_SG_EEES6_PlJ7is_evenItEEEE10hipError_tPvRmT3_T4_T5_T6_T7_T9_mT8_P12ihipStream_tbDpT10_ENKUlT_T0_E_clISt17integral_constantIbLb1EES18_IbLb0EEEEDaS14_S15_EUlS14_E_NS1_11comp_targetILNS1_3genE3ELNS1_11target_archE908ELNS1_3gpuE7ELNS1_3repE0EEENS1_30default_config_static_selectorELNS0_4arch9wavefront6targetE1EEEvT1_,comdat
.Lfunc_end2510:
	.size	_ZN7rocprim17ROCPRIM_400000_NS6detail17trampoline_kernelINS0_14default_configENS1_25partition_config_selectorILNS1_17partition_subalgoE0EtNS0_10empty_typeEbEEZZNS1_14partition_implILS5_0ELb0ES3_jN6thrust23THRUST_200600_302600_NS6detail15normal_iteratorINSA_10device_ptrItEEEEPS6_SG_NS0_5tupleIJNSA_16discard_iteratorINSA_11use_defaultEEESK_EEENSH_IJSG_SG_EEES6_PlJ7is_evenItEEEE10hipError_tPvRmT3_T4_T5_T6_T7_T9_mT8_P12ihipStream_tbDpT10_ENKUlT_T0_E_clISt17integral_constantIbLb1EES18_IbLb0EEEEDaS14_S15_EUlS14_E_NS1_11comp_targetILNS1_3genE3ELNS1_11target_archE908ELNS1_3gpuE7ELNS1_3repE0EEENS1_30default_config_static_selectorELNS0_4arch9wavefront6targetE1EEEvT1_, .Lfunc_end2510-_ZN7rocprim17ROCPRIM_400000_NS6detail17trampoline_kernelINS0_14default_configENS1_25partition_config_selectorILNS1_17partition_subalgoE0EtNS0_10empty_typeEbEEZZNS1_14partition_implILS5_0ELb0ES3_jN6thrust23THRUST_200600_302600_NS6detail15normal_iteratorINSA_10device_ptrItEEEEPS6_SG_NS0_5tupleIJNSA_16discard_iteratorINSA_11use_defaultEEESK_EEENSH_IJSG_SG_EEES6_PlJ7is_evenItEEEE10hipError_tPvRmT3_T4_T5_T6_T7_T9_mT8_P12ihipStream_tbDpT10_ENKUlT_T0_E_clISt17integral_constantIbLb1EES18_IbLb0EEEEDaS14_S15_EUlS14_E_NS1_11comp_targetILNS1_3genE3ELNS1_11target_archE908ELNS1_3gpuE7ELNS1_3repE0EEENS1_30default_config_static_selectorELNS0_4arch9wavefront6targetE1EEEvT1_
                                        ; -- End function
	.section	.AMDGPU.csdata,"",@progbits
; Kernel info:
; codeLenInByte = 0
; NumSgprs: 6
; NumVgprs: 0
; NumAgprs: 0
; TotalNumVgprs: 0
; ScratchSize: 0
; MemoryBound: 0
; FloatMode: 240
; IeeeMode: 1
; LDSByteSize: 0 bytes/workgroup (compile time only)
; SGPRBlocks: 0
; VGPRBlocks: 0
; NumSGPRsForWavesPerEU: 6
; NumVGPRsForWavesPerEU: 1
; AccumOffset: 4
; Occupancy: 8
; WaveLimiterHint : 0
; COMPUTE_PGM_RSRC2:SCRATCH_EN: 0
; COMPUTE_PGM_RSRC2:USER_SGPR: 2
; COMPUTE_PGM_RSRC2:TRAP_HANDLER: 0
; COMPUTE_PGM_RSRC2:TGID_X_EN: 1
; COMPUTE_PGM_RSRC2:TGID_Y_EN: 0
; COMPUTE_PGM_RSRC2:TGID_Z_EN: 0
; COMPUTE_PGM_RSRC2:TIDIG_COMP_CNT: 0
; COMPUTE_PGM_RSRC3_GFX90A:ACCUM_OFFSET: 0
; COMPUTE_PGM_RSRC3_GFX90A:TG_SPLIT: 0
	.section	.text._ZN7rocprim17ROCPRIM_400000_NS6detail17trampoline_kernelINS0_14default_configENS1_25partition_config_selectorILNS1_17partition_subalgoE0EtNS0_10empty_typeEbEEZZNS1_14partition_implILS5_0ELb0ES3_jN6thrust23THRUST_200600_302600_NS6detail15normal_iteratorINSA_10device_ptrItEEEEPS6_SG_NS0_5tupleIJNSA_16discard_iteratorINSA_11use_defaultEEESK_EEENSH_IJSG_SG_EEES6_PlJ7is_evenItEEEE10hipError_tPvRmT3_T4_T5_T6_T7_T9_mT8_P12ihipStream_tbDpT10_ENKUlT_T0_E_clISt17integral_constantIbLb1EES18_IbLb0EEEEDaS14_S15_EUlS14_E_NS1_11comp_targetILNS1_3genE2ELNS1_11target_archE906ELNS1_3gpuE6ELNS1_3repE0EEENS1_30default_config_static_selectorELNS0_4arch9wavefront6targetE1EEEvT1_,"axG",@progbits,_ZN7rocprim17ROCPRIM_400000_NS6detail17trampoline_kernelINS0_14default_configENS1_25partition_config_selectorILNS1_17partition_subalgoE0EtNS0_10empty_typeEbEEZZNS1_14partition_implILS5_0ELb0ES3_jN6thrust23THRUST_200600_302600_NS6detail15normal_iteratorINSA_10device_ptrItEEEEPS6_SG_NS0_5tupleIJNSA_16discard_iteratorINSA_11use_defaultEEESK_EEENSH_IJSG_SG_EEES6_PlJ7is_evenItEEEE10hipError_tPvRmT3_T4_T5_T6_T7_T9_mT8_P12ihipStream_tbDpT10_ENKUlT_T0_E_clISt17integral_constantIbLb1EES18_IbLb0EEEEDaS14_S15_EUlS14_E_NS1_11comp_targetILNS1_3genE2ELNS1_11target_archE906ELNS1_3gpuE6ELNS1_3repE0EEENS1_30default_config_static_selectorELNS0_4arch9wavefront6targetE1EEEvT1_,comdat
	.protected	_ZN7rocprim17ROCPRIM_400000_NS6detail17trampoline_kernelINS0_14default_configENS1_25partition_config_selectorILNS1_17partition_subalgoE0EtNS0_10empty_typeEbEEZZNS1_14partition_implILS5_0ELb0ES3_jN6thrust23THRUST_200600_302600_NS6detail15normal_iteratorINSA_10device_ptrItEEEEPS6_SG_NS0_5tupleIJNSA_16discard_iteratorINSA_11use_defaultEEESK_EEENSH_IJSG_SG_EEES6_PlJ7is_evenItEEEE10hipError_tPvRmT3_T4_T5_T6_T7_T9_mT8_P12ihipStream_tbDpT10_ENKUlT_T0_E_clISt17integral_constantIbLb1EES18_IbLb0EEEEDaS14_S15_EUlS14_E_NS1_11comp_targetILNS1_3genE2ELNS1_11target_archE906ELNS1_3gpuE6ELNS1_3repE0EEENS1_30default_config_static_selectorELNS0_4arch9wavefront6targetE1EEEvT1_ ; -- Begin function _ZN7rocprim17ROCPRIM_400000_NS6detail17trampoline_kernelINS0_14default_configENS1_25partition_config_selectorILNS1_17partition_subalgoE0EtNS0_10empty_typeEbEEZZNS1_14partition_implILS5_0ELb0ES3_jN6thrust23THRUST_200600_302600_NS6detail15normal_iteratorINSA_10device_ptrItEEEEPS6_SG_NS0_5tupleIJNSA_16discard_iteratorINSA_11use_defaultEEESK_EEENSH_IJSG_SG_EEES6_PlJ7is_evenItEEEE10hipError_tPvRmT3_T4_T5_T6_T7_T9_mT8_P12ihipStream_tbDpT10_ENKUlT_T0_E_clISt17integral_constantIbLb1EES18_IbLb0EEEEDaS14_S15_EUlS14_E_NS1_11comp_targetILNS1_3genE2ELNS1_11target_archE906ELNS1_3gpuE6ELNS1_3repE0EEENS1_30default_config_static_selectorELNS0_4arch9wavefront6targetE1EEEvT1_
	.globl	_ZN7rocprim17ROCPRIM_400000_NS6detail17trampoline_kernelINS0_14default_configENS1_25partition_config_selectorILNS1_17partition_subalgoE0EtNS0_10empty_typeEbEEZZNS1_14partition_implILS5_0ELb0ES3_jN6thrust23THRUST_200600_302600_NS6detail15normal_iteratorINSA_10device_ptrItEEEEPS6_SG_NS0_5tupleIJNSA_16discard_iteratorINSA_11use_defaultEEESK_EEENSH_IJSG_SG_EEES6_PlJ7is_evenItEEEE10hipError_tPvRmT3_T4_T5_T6_T7_T9_mT8_P12ihipStream_tbDpT10_ENKUlT_T0_E_clISt17integral_constantIbLb1EES18_IbLb0EEEEDaS14_S15_EUlS14_E_NS1_11comp_targetILNS1_3genE2ELNS1_11target_archE906ELNS1_3gpuE6ELNS1_3repE0EEENS1_30default_config_static_selectorELNS0_4arch9wavefront6targetE1EEEvT1_
	.p2align	8
	.type	_ZN7rocprim17ROCPRIM_400000_NS6detail17trampoline_kernelINS0_14default_configENS1_25partition_config_selectorILNS1_17partition_subalgoE0EtNS0_10empty_typeEbEEZZNS1_14partition_implILS5_0ELb0ES3_jN6thrust23THRUST_200600_302600_NS6detail15normal_iteratorINSA_10device_ptrItEEEEPS6_SG_NS0_5tupleIJNSA_16discard_iteratorINSA_11use_defaultEEESK_EEENSH_IJSG_SG_EEES6_PlJ7is_evenItEEEE10hipError_tPvRmT3_T4_T5_T6_T7_T9_mT8_P12ihipStream_tbDpT10_ENKUlT_T0_E_clISt17integral_constantIbLb1EES18_IbLb0EEEEDaS14_S15_EUlS14_E_NS1_11comp_targetILNS1_3genE2ELNS1_11target_archE906ELNS1_3gpuE6ELNS1_3repE0EEENS1_30default_config_static_selectorELNS0_4arch9wavefront6targetE1EEEvT1_,@function
_ZN7rocprim17ROCPRIM_400000_NS6detail17trampoline_kernelINS0_14default_configENS1_25partition_config_selectorILNS1_17partition_subalgoE0EtNS0_10empty_typeEbEEZZNS1_14partition_implILS5_0ELb0ES3_jN6thrust23THRUST_200600_302600_NS6detail15normal_iteratorINSA_10device_ptrItEEEEPS6_SG_NS0_5tupleIJNSA_16discard_iteratorINSA_11use_defaultEEESK_EEENSH_IJSG_SG_EEES6_PlJ7is_evenItEEEE10hipError_tPvRmT3_T4_T5_T6_T7_T9_mT8_P12ihipStream_tbDpT10_ENKUlT_T0_E_clISt17integral_constantIbLb1EES18_IbLb0EEEEDaS14_S15_EUlS14_E_NS1_11comp_targetILNS1_3genE2ELNS1_11target_archE906ELNS1_3gpuE6ELNS1_3repE0EEENS1_30default_config_static_selectorELNS0_4arch9wavefront6targetE1EEEvT1_: ; @_ZN7rocprim17ROCPRIM_400000_NS6detail17trampoline_kernelINS0_14default_configENS1_25partition_config_selectorILNS1_17partition_subalgoE0EtNS0_10empty_typeEbEEZZNS1_14partition_implILS5_0ELb0ES3_jN6thrust23THRUST_200600_302600_NS6detail15normal_iteratorINSA_10device_ptrItEEEEPS6_SG_NS0_5tupleIJNSA_16discard_iteratorINSA_11use_defaultEEESK_EEENSH_IJSG_SG_EEES6_PlJ7is_evenItEEEE10hipError_tPvRmT3_T4_T5_T6_T7_T9_mT8_P12ihipStream_tbDpT10_ENKUlT_T0_E_clISt17integral_constantIbLb1EES18_IbLb0EEEEDaS14_S15_EUlS14_E_NS1_11comp_targetILNS1_3genE2ELNS1_11target_archE906ELNS1_3gpuE6ELNS1_3repE0EEENS1_30default_config_static_selectorELNS0_4arch9wavefront6targetE1EEEvT1_
; %bb.0:
	.section	.rodata,"a",@progbits
	.p2align	6, 0x0
	.amdhsa_kernel _ZN7rocprim17ROCPRIM_400000_NS6detail17trampoline_kernelINS0_14default_configENS1_25partition_config_selectorILNS1_17partition_subalgoE0EtNS0_10empty_typeEbEEZZNS1_14partition_implILS5_0ELb0ES3_jN6thrust23THRUST_200600_302600_NS6detail15normal_iteratorINSA_10device_ptrItEEEEPS6_SG_NS0_5tupleIJNSA_16discard_iteratorINSA_11use_defaultEEESK_EEENSH_IJSG_SG_EEES6_PlJ7is_evenItEEEE10hipError_tPvRmT3_T4_T5_T6_T7_T9_mT8_P12ihipStream_tbDpT10_ENKUlT_T0_E_clISt17integral_constantIbLb1EES18_IbLb0EEEEDaS14_S15_EUlS14_E_NS1_11comp_targetILNS1_3genE2ELNS1_11target_archE906ELNS1_3gpuE6ELNS1_3repE0EEENS1_30default_config_static_selectorELNS0_4arch9wavefront6targetE1EEEvT1_
		.amdhsa_group_segment_fixed_size 0
		.amdhsa_private_segment_fixed_size 0
		.amdhsa_kernarg_size 136
		.amdhsa_user_sgpr_count 2
		.amdhsa_user_sgpr_dispatch_ptr 0
		.amdhsa_user_sgpr_queue_ptr 0
		.amdhsa_user_sgpr_kernarg_segment_ptr 1
		.amdhsa_user_sgpr_dispatch_id 0
		.amdhsa_user_sgpr_kernarg_preload_length 0
		.amdhsa_user_sgpr_kernarg_preload_offset 0
		.amdhsa_user_sgpr_private_segment_size 0
		.amdhsa_uses_dynamic_stack 0
		.amdhsa_enable_private_segment 0
		.amdhsa_system_sgpr_workgroup_id_x 1
		.amdhsa_system_sgpr_workgroup_id_y 0
		.amdhsa_system_sgpr_workgroup_id_z 0
		.amdhsa_system_sgpr_workgroup_info 0
		.amdhsa_system_vgpr_workitem_id 0
		.amdhsa_next_free_vgpr 1
		.amdhsa_next_free_sgpr 0
		.amdhsa_accum_offset 4
		.amdhsa_reserve_vcc 0
		.amdhsa_float_round_mode_32 0
		.amdhsa_float_round_mode_16_64 0
		.amdhsa_float_denorm_mode_32 3
		.amdhsa_float_denorm_mode_16_64 3
		.amdhsa_dx10_clamp 1
		.amdhsa_ieee_mode 1
		.amdhsa_fp16_overflow 0
		.amdhsa_tg_split 0
		.amdhsa_exception_fp_ieee_invalid_op 0
		.amdhsa_exception_fp_denorm_src 0
		.amdhsa_exception_fp_ieee_div_zero 0
		.amdhsa_exception_fp_ieee_overflow 0
		.amdhsa_exception_fp_ieee_underflow 0
		.amdhsa_exception_fp_ieee_inexact 0
		.amdhsa_exception_int_div_zero 0
	.end_amdhsa_kernel
	.section	.text._ZN7rocprim17ROCPRIM_400000_NS6detail17trampoline_kernelINS0_14default_configENS1_25partition_config_selectorILNS1_17partition_subalgoE0EtNS0_10empty_typeEbEEZZNS1_14partition_implILS5_0ELb0ES3_jN6thrust23THRUST_200600_302600_NS6detail15normal_iteratorINSA_10device_ptrItEEEEPS6_SG_NS0_5tupleIJNSA_16discard_iteratorINSA_11use_defaultEEESK_EEENSH_IJSG_SG_EEES6_PlJ7is_evenItEEEE10hipError_tPvRmT3_T4_T5_T6_T7_T9_mT8_P12ihipStream_tbDpT10_ENKUlT_T0_E_clISt17integral_constantIbLb1EES18_IbLb0EEEEDaS14_S15_EUlS14_E_NS1_11comp_targetILNS1_3genE2ELNS1_11target_archE906ELNS1_3gpuE6ELNS1_3repE0EEENS1_30default_config_static_selectorELNS0_4arch9wavefront6targetE1EEEvT1_,"axG",@progbits,_ZN7rocprim17ROCPRIM_400000_NS6detail17trampoline_kernelINS0_14default_configENS1_25partition_config_selectorILNS1_17partition_subalgoE0EtNS0_10empty_typeEbEEZZNS1_14partition_implILS5_0ELb0ES3_jN6thrust23THRUST_200600_302600_NS6detail15normal_iteratorINSA_10device_ptrItEEEEPS6_SG_NS0_5tupleIJNSA_16discard_iteratorINSA_11use_defaultEEESK_EEENSH_IJSG_SG_EEES6_PlJ7is_evenItEEEE10hipError_tPvRmT3_T4_T5_T6_T7_T9_mT8_P12ihipStream_tbDpT10_ENKUlT_T0_E_clISt17integral_constantIbLb1EES18_IbLb0EEEEDaS14_S15_EUlS14_E_NS1_11comp_targetILNS1_3genE2ELNS1_11target_archE906ELNS1_3gpuE6ELNS1_3repE0EEENS1_30default_config_static_selectorELNS0_4arch9wavefront6targetE1EEEvT1_,comdat
.Lfunc_end2511:
	.size	_ZN7rocprim17ROCPRIM_400000_NS6detail17trampoline_kernelINS0_14default_configENS1_25partition_config_selectorILNS1_17partition_subalgoE0EtNS0_10empty_typeEbEEZZNS1_14partition_implILS5_0ELb0ES3_jN6thrust23THRUST_200600_302600_NS6detail15normal_iteratorINSA_10device_ptrItEEEEPS6_SG_NS0_5tupleIJNSA_16discard_iteratorINSA_11use_defaultEEESK_EEENSH_IJSG_SG_EEES6_PlJ7is_evenItEEEE10hipError_tPvRmT3_T4_T5_T6_T7_T9_mT8_P12ihipStream_tbDpT10_ENKUlT_T0_E_clISt17integral_constantIbLb1EES18_IbLb0EEEEDaS14_S15_EUlS14_E_NS1_11comp_targetILNS1_3genE2ELNS1_11target_archE906ELNS1_3gpuE6ELNS1_3repE0EEENS1_30default_config_static_selectorELNS0_4arch9wavefront6targetE1EEEvT1_, .Lfunc_end2511-_ZN7rocprim17ROCPRIM_400000_NS6detail17trampoline_kernelINS0_14default_configENS1_25partition_config_selectorILNS1_17partition_subalgoE0EtNS0_10empty_typeEbEEZZNS1_14partition_implILS5_0ELb0ES3_jN6thrust23THRUST_200600_302600_NS6detail15normal_iteratorINSA_10device_ptrItEEEEPS6_SG_NS0_5tupleIJNSA_16discard_iteratorINSA_11use_defaultEEESK_EEENSH_IJSG_SG_EEES6_PlJ7is_evenItEEEE10hipError_tPvRmT3_T4_T5_T6_T7_T9_mT8_P12ihipStream_tbDpT10_ENKUlT_T0_E_clISt17integral_constantIbLb1EES18_IbLb0EEEEDaS14_S15_EUlS14_E_NS1_11comp_targetILNS1_3genE2ELNS1_11target_archE906ELNS1_3gpuE6ELNS1_3repE0EEENS1_30default_config_static_selectorELNS0_4arch9wavefront6targetE1EEEvT1_
                                        ; -- End function
	.section	.AMDGPU.csdata,"",@progbits
; Kernel info:
; codeLenInByte = 0
; NumSgprs: 6
; NumVgprs: 0
; NumAgprs: 0
; TotalNumVgprs: 0
; ScratchSize: 0
; MemoryBound: 0
; FloatMode: 240
; IeeeMode: 1
; LDSByteSize: 0 bytes/workgroup (compile time only)
; SGPRBlocks: 0
; VGPRBlocks: 0
; NumSGPRsForWavesPerEU: 6
; NumVGPRsForWavesPerEU: 1
; AccumOffset: 4
; Occupancy: 8
; WaveLimiterHint : 0
; COMPUTE_PGM_RSRC2:SCRATCH_EN: 0
; COMPUTE_PGM_RSRC2:USER_SGPR: 2
; COMPUTE_PGM_RSRC2:TRAP_HANDLER: 0
; COMPUTE_PGM_RSRC2:TGID_X_EN: 1
; COMPUTE_PGM_RSRC2:TGID_Y_EN: 0
; COMPUTE_PGM_RSRC2:TGID_Z_EN: 0
; COMPUTE_PGM_RSRC2:TIDIG_COMP_CNT: 0
; COMPUTE_PGM_RSRC3_GFX90A:ACCUM_OFFSET: 0
; COMPUTE_PGM_RSRC3_GFX90A:TG_SPLIT: 0
	.section	.text._ZN7rocprim17ROCPRIM_400000_NS6detail17trampoline_kernelINS0_14default_configENS1_25partition_config_selectorILNS1_17partition_subalgoE0EtNS0_10empty_typeEbEEZZNS1_14partition_implILS5_0ELb0ES3_jN6thrust23THRUST_200600_302600_NS6detail15normal_iteratorINSA_10device_ptrItEEEEPS6_SG_NS0_5tupleIJNSA_16discard_iteratorINSA_11use_defaultEEESK_EEENSH_IJSG_SG_EEES6_PlJ7is_evenItEEEE10hipError_tPvRmT3_T4_T5_T6_T7_T9_mT8_P12ihipStream_tbDpT10_ENKUlT_T0_E_clISt17integral_constantIbLb1EES18_IbLb0EEEEDaS14_S15_EUlS14_E_NS1_11comp_targetILNS1_3genE10ELNS1_11target_archE1200ELNS1_3gpuE4ELNS1_3repE0EEENS1_30default_config_static_selectorELNS0_4arch9wavefront6targetE1EEEvT1_,"axG",@progbits,_ZN7rocprim17ROCPRIM_400000_NS6detail17trampoline_kernelINS0_14default_configENS1_25partition_config_selectorILNS1_17partition_subalgoE0EtNS0_10empty_typeEbEEZZNS1_14partition_implILS5_0ELb0ES3_jN6thrust23THRUST_200600_302600_NS6detail15normal_iteratorINSA_10device_ptrItEEEEPS6_SG_NS0_5tupleIJNSA_16discard_iteratorINSA_11use_defaultEEESK_EEENSH_IJSG_SG_EEES6_PlJ7is_evenItEEEE10hipError_tPvRmT3_T4_T5_T6_T7_T9_mT8_P12ihipStream_tbDpT10_ENKUlT_T0_E_clISt17integral_constantIbLb1EES18_IbLb0EEEEDaS14_S15_EUlS14_E_NS1_11comp_targetILNS1_3genE10ELNS1_11target_archE1200ELNS1_3gpuE4ELNS1_3repE0EEENS1_30default_config_static_selectorELNS0_4arch9wavefront6targetE1EEEvT1_,comdat
	.protected	_ZN7rocprim17ROCPRIM_400000_NS6detail17trampoline_kernelINS0_14default_configENS1_25partition_config_selectorILNS1_17partition_subalgoE0EtNS0_10empty_typeEbEEZZNS1_14partition_implILS5_0ELb0ES3_jN6thrust23THRUST_200600_302600_NS6detail15normal_iteratorINSA_10device_ptrItEEEEPS6_SG_NS0_5tupleIJNSA_16discard_iteratorINSA_11use_defaultEEESK_EEENSH_IJSG_SG_EEES6_PlJ7is_evenItEEEE10hipError_tPvRmT3_T4_T5_T6_T7_T9_mT8_P12ihipStream_tbDpT10_ENKUlT_T0_E_clISt17integral_constantIbLb1EES18_IbLb0EEEEDaS14_S15_EUlS14_E_NS1_11comp_targetILNS1_3genE10ELNS1_11target_archE1200ELNS1_3gpuE4ELNS1_3repE0EEENS1_30default_config_static_selectorELNS0_4arch9wavefront6targetE1EEEvT1_ ; -- Begin function _ZN7rocprim17ROCPRIM_400000_NS6detail17trampoline_kernelINS0_14default_configENS1_25partition_config_selectorILNS1_17partition_subalgoE0EtNS0_10empty_typeEbEEZZNS1_14partition_implILS5_0ELb0ES3_jN6thrust23THRUST_200600_302600_NS6detail15normal_iteratorINSA_10device_ptrItEEEEPS6_SG_NS0_5tupleIJNSA_16discard_iteratorINSA_11use_defaultEEESK_EEENSH_IJSG_SG_EEES6_PlJ7is_evenItEEEE10hipError_tPvRmT3_T4_T5_T6_T7_T9_mT8_P12ihipStream_tbDpT10_ENKUlT_T0_E_clISt17integral_constantIbLb1EES18_IbLb0EEEEDaS14_S15_EUlS14_E_NS1_11comp_targetILNS1_3genE10ELNS1_11target_archE1200ELNS1_3gpuE4ELNS1_3repE0EEENS1_30default_config_static_selectorELNS0_4arch9wavefront6targetE1EEEvT1_
	.globl	_ZN7rocprim17ROCPRIM_400000_NS6detail17trampoline_kernelINS0_14default_configENS1_25partition_config_selectorILNS1_17partition_subalgoE0EtNS0_10empty_typeEbEEZZNS1_14partition_implILS5_0ELb0ES3_jN6thrust23THRUST_200600_302600_NS6detail15normal_iteratorINSA_10device_ptrItEEEEPS6_SG_NS0_5tupleIJNSA_16discard_iteratorINSA_11use_defaultEEESK_EEENSH_IJSG_SG_EEES6_PlJ7is_evenItEEEE10hipError_tPvRmT3_T4_T5_T6_T7_T9_mT8_P12ihipStream_tbDpT10_ENKUlT_T0_E_clISt17integral_constantIbLb1EES18_IbLb0EEEEDaS14_S15_EUlS14_E_NS1_11comp_targetILNS1_3genE10ELNS1_11target_archE1200ELNS1_3gpuE4ELNS1_3repE0EEENS1_30default_config_static_selectorELNS0_4arch9wavefront6targetE1EEEvT1_
	.p2align	8
	.type	_ZN7rocprim17ROCPRIM_400000_NS6detail17trampoline_kernelINS0_14default_configENS1_25partition_config_selectorILNS1_17partition_subalgoE0EtNS0_10empty_typeEbEEZZNS1_14partition_implILS5_0ELb0ES3_jN6thrust23THRUST_200600_302600_NS6detail15normal_iteratorINSA_10device_ptrItEEEEPS6_SG_NS0_5tupleIJNSA_16discard_iteratorINSA_11use_defaultEEESK_EEENSH_IJSG_SG_EEES6_PlJ7is_evenItEEEE10hipError_tPvRmT3_T4_T5_T6_T7_T9_mT8_P12ihipStream_tbDpT10_ENKUlT_T0_E_clISt17integral_constantIbLb1EES18_IbLb0EEEEDaS14_S15_EUlS14_E_NS1_11comp_targetILNS1_3genE10ELNS1_11target_archE1200ELNS1_3gpuE4ELNS1_3repE0EEENS1_30default_config_static_selectorELNS0_4arch9wavefront6targetE1EEEvT1_,@function
_ZN7rocprim17ROCPRIM_400000_NS6detail17trampoline_kernelINS0_14default_configENS1_25partition_config_selectorILNS1_17partition_subalgoE0EtNS0_10empty_typeEbEEZZNS1_14partition_implILS5_0ELb0ES3_jN6thrust23THRUST_200600_302600_NS6detail15normal_iteratorINSA_10device_ptrItEEEEPS6_SG_NS0_5tupleIJNSA_16discard_iteratorINSA_11use_defaultEEESK_EEENSH_IJSG_SG_EEES6_PlJ7is_evenItEEEE10hipError_tPvRmT3_T4_T5_T6_T7_T9_mT8_P12ihipStream_tbDpT10_ENKUlT_T0_E_clISt17integral_constantIbLb1EES18_IbLb0EEEEDaS14_S15_EUlS14_E_NS1_11comp_targetILNS1_3genE10ELNS1_11target_archE1200ELNS1_3gpuE4ELNS1_3repE0EEENS1_30default_config_static_selectorELNS0_4arch9wavefront6targetE1EEEvT1_: ; @_ZN7rocprim17ROCPRIM_400000_NS6detail17trampoline_kernelINS0_14default_configENS1_25partition_config_selectorILNS1_17partition_subalgoE0EtNS0_10empty_typeEbEEZZNS1_14partition_implILS5_0ELb0ES3_jN6thrust23THRUST_200600_302600_NS6detail15normal_iteratorINSA_10device_ptrItEEEEPS6_SG_NS0_5tupleIJNSA_16discard_iteratorINSA_11use_defaultEEESK_EEENSH_IJSG_SG_EEES6_PlJ7is_evenItEEEE10hipError_tPvRmT3_T4_T5_T6_T7_T9_mT8_P12ihipStream_tbDpT10_ENKUlT_T0_E_clISt17integral_constantIbLb1EES18_IbLb0EEEEDaS14_S15_EUlS14_E_NS1_11comp_targetILNS1_3genE10ELNS1_11target_archE1200ELNS1_3gpuE4ELNS1_3repE0EEENS1_30default_config_static_selectorELNS0_4arch9wavefront6targetE1EEEvT1_
; %bb.0:
	.section	.rodata,"a",@progbits
	.p2align	6, 0x0
	.amdhsa_kernel _ZN7rocprim17ROCPRIM_400000_NS6detail17trampoline_kernelINS0_14default_configENS1_25partition_config_selectorILNS1_17partition_subalgoE0EtNS0_10empty_typeEbEEZZNS1_14partition_implILS5_0ELb0ES3_jN6thrust23THRUST_200600_302600_NS6detail15normal_iteratorINSA_10device_ptrItEEEEPS6_SG_NS0_5tupleIJNSA_16discard_iteratorINSA_11use_defaultEEESK_EEENSH_IJSG_SG_EEES6_PlJ7is_evenItEEEE10hipError_tPvRmT3_T4_T5_T6_T7_T9_mT8_P12ihipStream_tbDpT10_ENKUlT_T0_E_clISt17integral_constantIbLb1EES18_IbLb0EEEEDaS14_S15_EUlS14_E_NS1_11comp_targetILNS1_3genE10ELNS1_11target_archE1200ELNS1_3gpuE4ELNS1_3repE0EEENS1_30default_config_static_selectorELNS0_4arch9wavefront6targetE1EEEvT1_
		.amdhsa_group_segment_fixed_size 0
		.amdhsa_private_segment_fixed_size 0
		.amdhsa_kernarg_size 136
		.amdhsa_user_sgpr_count 2
		.amdhsa_user_sgpr_dispatch_ptr 0
		.amdhsa_user_sgpr_queue_ptr 0
		.amdhsa_user_sgpr_kernarg_segment_ptr 1
		.amdhsa_user_sgpr_dispatch_id 0
		.amdhsa_user_sgpr_kernarg_preload_length 0
		.amdhsa_user_sgpr_kernarg_preload_offset 0
		.amdhsa_user_sgpr_private_segment_size 0
		.amdhsa_uses_dynamic_stack 0
		.amdhsa_enable_private_segment 0
		.amdhsa_system_sgpr_workgroup_id_x 1
		.amdhsa_system_sgpr_workgroup_id_y 0
		.amdhsa_system_sgpr_workgroup_id_z 0
		.amdhsa_system_sgpr_workgroup_info 0
		.amdhsa_system_vgpr_workitem_id 0
		.amdhsa_next_free_vgpr 1
		.amdhsa_next_free_sgpr 0
		.amdhsa_accum_offset 4
		.amdhsa_reserve_vcc 0
		.amdhsa_float_round_mode_32 0
		.amdhsa_float_round_mode_16_64 0
		.amdhsa_float_denorm_mode_32 3
		.amdhsa_float_denorm_mode_16_64 3
		.amdhsa_dx10_clamp 1
		.amdhsa_ieee_mode 1
		.amdhsa_fp16_overflow 0
		.amdhsa_tg_split 0
		.amdhsa_exception_fp_ieee_invalid_op 0
		.amdhsa_exception_fp_denorm_src 0
		.amdhsa_exception_fp_ieee_div_zero 0
		.amdhsa_exception_fp_ieee_overflow 0
		.amdhsa_exception_fp_ieee_underflow 0
		.amdhsa_exception_fp_ieee_inexact 0
		.amdhsa_exception_int_div_zero 0
	.end_amdhsa_kernel
	.section	.text._ZN7rocprim17ROCPRIM_400000_NS6detail17trampoline_kernelINS0_14default_configENS1_25partition_config_selectorILNS1_17partition_subalgoE0EtNS0_10empty_typeEbEEZZNS1_14partition_implILS5_0ELb0ES3_jN6thrust23THRUST_200600_302600_NS6detail15normal_iteratorINSA_10device_ptrItEEEEPS6_SG_NS0_5tupleIJNSA_16discard_iteratorINSA_11use_defaultEEESK_EEENSH_IJSG_SG_EEES6_PlJ7is_evenItEEEE10hipError_tPvRmT3_T4_T5_T6_T7_T9_mT8_P12ihipStream_tbDpT10_ENKUlT_T0_E_clISt17integral_constantIbLb1EES18_IbLb0EEEEDaS14_S15_EUlS14_E_NS1_11comp_targetILNS1_3genE10ELNS1_11target_archE1200ELNS1_3gpuE4ELNS1_3repE0EEENS1_30default_config_static_selectorELNS0_4arch9wavefront6targetE1EEEvT1_,"axG",@progbits,_ZN7rocprim17ROCPRIM_400000_NS6detail17trampoline_kernelINS0_14default_configENS1_25partition_config_selectorILNS1_17partition_subalgoE0EtNS0_10empty_typeEbEEZZNS1_14partition_implILS5_0ELb0ES3_jN6thrust23THRUST_200600_302600_NS6detail15normal_iteratorINSA_10device_ptrItEEEEPS6_SG_NS0_5tupleIJNSA_16discard_iteratorINSA_11use_defaultEEESK_EEENSH_IJSG_SG_EEES6_PlJ7is_evenItEEEE10hipError_tPvRmT3_T4_T5_T6_T7_T9_mT8_P12ihipStream_tbDpT10_ENKUlT_T0_E_clISt17integral_constantIbLb1EES18_IbLb0EEEEDaS14_S15_EUlS14_E_NS1_11comp_targetILNS1_3genE10ELNS1_11target_archE1200ELNS1_3gpuE4ELNS1_3repE0EEENS1_30default_config_static_selectorELNS0_4arch9wavefront6targetE1EEEvT1_,comdat
.Lfunc_end2512:
	.size	_ZN7rocprim17ROCPRIM_400000_NS6detail17trampoline_kernelINS0_14default_configENS1_25partition_config_selectorILNS1_17partition_subalgoE0EtNS0_10empty_typeEbEEZZNS1_14partition_implILS5_0ELb0ES3_jN6thrust23THRUST_200600_302600_NS6detail15normal_iteratorINSA_10device_ptrItEEEEPS6_SG_NS0_5tupleIJNSA_16discard_iteratorINSA_11use_defaultEEESK_EEENSH_IJSG_SG_EEES6_PlJ7is_evenItEEEE10hipError_tPvRmT3_T4_T5_T6_T7_T9_mT8_P12ihipStream_tbDpT10_ENKUlT_T0_E_clISt17integral_constantIbLb1EES18_IbLb0EEEEDaS14_S15_EUlS14_E_NS1_11comp_targetILNS1_3genE10ELNS1_11target_archE1200ELNS1_3gpuE4ELNS1_3repE0EEENS1_30default_config_static_selectorELNS0_4arch9wavefront6targetE1EEEvT1_, .Lfunc_end2512-_ZN7rocprim17ROCPRIM_400000_NS6detail17trampoline_kernelINS0_14default_configENS1_25partition_config_selectorILNS1_17partition_subalgoE0EtNS0_10empty_typeEbEEZZNS1_14partition_implILS5_0ELb0ES3_jN6thrust23THRUST_200600_302600_NS6detail15normal_iteratorINSA_10device_ptrItEEEEPS6_SG_NS0_5tupleIJNSA_16discard_iteratorINSA_11use_defaultEEESK_EEENSH_IJSG_SG_EEES6_PlJ7is_evenItEEEE10hipError_tPvRmT3_T4_T5_T6_T7_T9_mT8_P12ihipStream_tbDpT10_ENKUlT_T0_E_clISt17integral_constantIbLb1EES18_IbLb0EEEEDaS14_S15_EUlS14_E_NS1_11comp_targetILNS1_3genE10ELNS1_11target_archE1200ELNS1_3gpuE4ELNS1_3repE0EEENS1_30default_config_static_selectorELNS0_4arch9wavefront6targetE1EEEvT1_
                                        ; -- End function
	.section	.AMDGPU.csdata,"",@progbits
; Kernel info:
; codeLenInByte = 0
; NumSgprs: 6
; NumVgprs: 0
; NumAgprs: 0
; TotalNumVgprs: 0
; ScratchSize: 0
; MemoryBound: 0
; FloatMode: 240
; IeeeMode: 1
; LDSByteSize: 0 bytes/workgroup (compile time only)
; SGPRBlocks: 0
; VGPRBlocks: 0
; NumSGPRsForWavesPerEU: 6
; NumVGPRsForWavesPerEU: 1
; AccumOffset: 4
; Occupancy: 8
; WaveLimiterHint : 0
; COMPUTE_PGM_RSRC2:SCRATCH_EN: 0
; COMPUTE_PGM_RSRC2:USER_SGPR: 2
; COMPUTE_PGM_RSRC2:TRAP_HANDLER: 0
; COMPUTE_PGM_RSRC2:TGID_X_EN: 1
; COMPUTE_PGM_RSRC2:TGID_Y_EN: 0
; COMPUTE_PGM_RSRC2:TGID_Z_EN: 0
; COMPUTE_PGM_RSRC2:TIDIG_COMP_CNT: 0
; COMPUTE_PGM_RSRC3_GFX90A:ACCUM_OFFSET: 0
; COMPUTE_PGM_RSRC3_GFX90A:TG_SPLIT: 0
	.section	.text._ZN7rocprim17ROCPRIM_400000_NS6detail17trampoline_kernelINS0_14default_configENS1_25partition_config_selectorILNS1_17partition_subalgoE0EtNS0_10empty_typeEbEEZZNS1_14partition_implILS5_0ELb0ES3_jN6thrust23THRUST_200600_302600_NS6detail15normal_iteratorINSA_10device_ptrItEEEEPS6_SG_NS0_5tupleIJNSA_16discard_iteratorINSA_11use_defaultEEESK_EEENSH_IJSG_SG_EEES6_PlJ7is_evenItEEEE10hipError_tPvRmT3_T4_T5_T6_T7_T9_mT8_P12ihipStream_tbDpT10_ENKUlT_T0_E_clISt17integral_constantIbLb1EES18_IbLb0EEEEDaS14_S15_EUlS14_E_NS1_11comp_targetILNS1_3genE9ELNS1_11target_archE1100ELNS1_3gpuE3ELNS1_3repE0EEENS1_30default_config_static_selectorELNS0_4arch9wavefront6targetE1EEEvT1_,"axG",@progbits,_ZN7rocprim17ROCPRIM_400000_NS6detail17trampoline_kernelINS0_14default_configENS1_25partition_config_selectorILNS1_17partition_subalgoE0EtNS0_10empty_typeEbEEZZNS1_14partition_implILS5_0ELb0ES3_jN6thrust23THRUST_200600_302600_NS6detail15normal_iteratorINSA_10device_ptrItEEEEPS6_SG_NS0_5tupleIJNSA_16discard_iteratorINSA_11use_defaultEEESK_EEENSH_IJSG_SG_EEES6_PlJ7is_evenItEEEE10hipError_tPvRmT3_T4_T5_T6_T7_T9_mT8_P12ihipStream_tbDpT10_ENKUlT_T0_E_clISt17integral_constantIbLb1EES18_IbLb0EEEEDaS14_S15_EUlS14_E_NS1_11comp_targetILNS1_3genE9ELNS1_11target_archE1100ELNS1_3gpuE3ELNS1_3repE0EEENS1_30default_config_static_selectorELNS0_4arch9wavefront6targetE1EEEvT1_,comdat
	.protected	_ZN7rocprim17ROCPRIM_400000_NS6detail17trampoline_kernelINS0_14default_configENS1_25partition_config_selectorILNS1_17partition_subalgoE0EtNS0_10empty_typeEbEEZZNS1_14partition_implILS5_0ELb0ES3_jN6thrust23THRUST_200600_302600_NS6detail15normal_iteratorINSA_10device_ptrItEEEEPS6_SG_NS0_5tupleIJNSA_16discard_iteratorINSA_11use_defaultEEESK_EEENSH_IJSG_SG_EEES6_PlJ7is_evenItEEEE10hipError_tPvRmT3_T4_T5_T6_T7_T9_mT8_P12ihipStream_tbDpT10_ENKUlT_T0_E_clISt17integral_constantIbLb1EES18_IbLb0EEEEDaS14_S15_EUlS14_E_NS1_11comp_targetILNS1_3genE9ELNS1_11target_archE1100ELNS1_3gpuE3ELNS1_3repE0EEENS1_30default_config_static_selectorELNS0_4arch9wavefront6targetE1EEEvT1_ ; -- Begin function _ZN7rocprim17ROCPRIM_400000_NS6detail17trampoline_kernelINS0_14default_configENS1_25partition_config_selectorILNS1_17partition_subalgoE0EtNS0_10empty_typeEbEEZZNS1_14partition_implILS5_0ELb0ES3_jN6thrust23THRUST_200600_302600_NS6detail15normal_iteratorINSA_10device_ptrItEEEEPS6_SG_NS0_5tupleIJNSA_16discard_iteratorINSA_11use_defaultEEESK_EEENSH_IJSG_SG_EEES6_PlJ7is_evenItEEEE10hipError_tPvRmT3_T4_T5_T6_T7_T9_mT8_P12ihipStream_tbDpT10_ENKUlT_T0_E_clISt17integral_constantIbLb1EES18_IbLb0EEEEDaS14_S15_EUlS14_E_NS1_11comp_targetILNS1_3genE9ELNS1_11target_archE1100ELNS1_3gpuE3ELNS1_3repE0EEENS1_30default_config_static_selectorELNS0_4arch9wavefront6targetE1EEEvT1_
	.globl	_ZN7rocprim17ROCPRIM_400000_NS6detail17trampoline_kernelINS0_14default_configENS1_25partition_config_selectorILNS1_17partition_subalgoE0EtNS0_10empty_typeEbEEZZNS1_14partition_implILS5_0ELb0ES3_jN6thrust23THRUST_200600_302600_NS6detail15normal_iteratorINSA_10device_ptrItEEEEPS6_SG_NS0_5tupleIJNSA_16discard_iteratorINSA_11use_defaultEEESK_EEENSH_IJSG_SG_EEES6_PlJ7is_evenItEEEE10hipError_tPvRmT3_T4_T5_T6_T7_T9_mT8_P12ihipStream_tbDpT10_ENKUlT_T0_E_clISt17integral_constantIbLb1EES18_IbLb0EEEEDaS14_S15_EUlS14_E_NS1_11comp_targetILNS1_3genE9ELNS1_11target_archE1100ELNS1_3gpuE3ELNS1_3repE0EEENS1_30default_config_static_selectorELNS0_4arch9wavefront6targetE1EEEvT1_
	.p2align	8
	.type	_ZN7rocprim17ROCPRIM_400000_NS6detail17trampoline_kernelINS0_14default_configENS1_25partition_config_selectorILNS1_17partition_subalgoE0EtNS0_10empty_typeEbEEZZNS1_14partition_implILS5_0ELb0ES3_jN6thrust23THRUST_200600_302600_NS6detail15normal_iteratorINSA_10device_ptrItEEEEPS6_SG_NS0_5tupleIJNSA_16discard_iteratorINSA_11use_defaultEEESK_EEENSH_IJSG_SG_EEES6_PlJ7is_evenItEEEE10hipError_tPvRmT3_T4_T5_T6_T7_T9_mT8_P12ihipStream_tbDpT10_ENKUlT_T0_E_clISt17integral_constantIbLb1EES18_IbLb0EEEEDaS14_S15_EUlS14_E_NS1_11comp_targetILNS1_3genE9ELNS1_11target_archE1100ELNS1_3gpuE3ELNS1_3repE0EEENS1_30default_config_static_selectorELNS0_4arch9wavefront6targetE1EEEvT1_,@function
_ZN7rocprim17ROCPRIM_400000_NS6detail17trampoline_kernelINS0_14default_configENS1_25partition_config_selectorILNS1_17partition_subalgoE0EtNS0_10empty_typeEbEEZZNS1_14partition_implILS5_0ELb0ES3_jN6thrust23THRUST_200600_302600_NS6detail15normal_iteratorINSA_10device_ptrItEEEEPS6_SG_NS0_5tupleIJNSA_16discard_iteratorINSA_11use_defaultEEESK_EEENSH_IJSG_SG_EEES6_PlJ7is_evenItEEEE10hipError_tPvRmT3_T4_T5_T6_T7_T9_mT8_P12ihipStream_tbDpT10_ENKUlT_T0_E_clISt17integral_constantIbLb1EES18_IbLb0EEEEDaS14_S15_EUlS14_E_NS1_11comp_targetILNS1_3genE9ELNS1_11target_archE1100ELNS1_3gpuE3ELNS1_3repE0EEENS1_30default_config_static_selectorELNS0_4arch9wavefront6targetE1EEEvT1_: ; @_ZN7rocprim17ROCPRIM_400000_NS6detail17trampoline_kernelINS0_14default_configENS1_25partition_config_selectorILNS1_17partition_subalgoE0EtNS0_10empty_typeEbEEZZNS1_14partition_implILS5_0ELb0ES3_jN6thrust23THRUST_200600_302600_NS6detail15normal_iteratorINSA_10device_ptrItEEEEPS6_SG_NS0_5tupleIJNSA_16discard_iteratorINSA_11use_defaultEEESK_EEENSH_IJSG_SG_EEES6_PlJ7is_evenItEEEE10hipError_tPvRmT3_T4_T5_T6_T7_T9_mT8_P12ihipStream_tbDpT10_ENKUlT_T0_E_clISt17integral_constantIbLb1EES18_IbLb0EEEEDaS14_S15_EUlS14_E_NS1_11comp_targetILNS1_3genE9ELNS1_11target_archE1100ELNS1_3gpuE3ELNS1_3repE0EEENS1_30default_config_static_selectorELNS0_4arch9wavefront6targetE1EEEvT1_
; %bb.0:
	.section	.rodata,"a",@progbits
	.p2align	6, 0x0
	.amdhsa_kernel _ZN7rocprim17ROCPRIM_400000_NS6detail17trampoline_kernelINS0_14default_configENS1_25partition_config_selectorILNS1_17partition_subalgoE0EtNS0_10empty_typeEbEEZZNS1_14partition_implILS5_0ELb0ES3_jN6thrust23THRUST_200600_302600_NS6detail15normal_iteratorINSA_10device_ptrItEEEEPS6_SG_NS0_5tupleIJNSA_16discard_iteratorINSA_11use_defaultEEESK_EEENSH_IJSG_SG_EEES6_PlJ7is_evenItEEEE10hipError_tPvRmT3_T4_T5_T6_T7_T9_mT8_P12ihipStream_tbDpT10_ENKUlT_T0_E_clISt17integral_constantIbLb1EES18_IbLb0EEEEDaS14_S15_EUlS14_E_NS1_11comp_targetILNS1_3genE9ELNS1_11target_archE1100ELNS1_3gpuE3ELNS1_3repE0EEENS1_30default_config_static_selectorELNS0_4arch9wavefront6targetE1EEEvT1_
		.amdhsa_group_segment_fixed_size 0
		.amdhsa_private_segment_fixed_size 0
		.amdhsa_kernarg_size 136
		.amdhsa_user_sgpr_count 2
		.amdhsa_user_sgpr_dispatch_ptr 0
		.amdhsa_user_sgpr_queue_ptr 0
		.amdhsa_user_sgpr_kernarg_segment_ptr 1
		.amdhsa_user_sgpr_dispatch_id 0
		.amdhsa_user_sgpr_kernarg_preload_length 0
		.amdhsa_user_sgpr_kernarg_preload_offset 0
		.amdhsa_user_sgpr_private_segment_size 0
		.amdhsa_uses_dynamic_stack 0
		.amdhsa_enable_private_segment 0
		.amdhsa_system_sgpr_workgroup_id_x 1
		.amdhsa_system_sgpr_workgroup_id_y 0
		.amdhsa_system_sgpr_workgroup_id_z 0
		.amdhsa_system_sgpr_workgroup_info 0
		.amdhsa_system_vgpr_workitem_id 0
		.amdhsa_next_free_vgpr 1
		.amdhsa_next_free_sgpr 0
		.amdhsa_accum_offset 4
		.amdhsa_reserve_vcc 0
		.amdhsa_float_round_mode_32 0
		.amdhsa_float_round_mode_16_64 0
		.amdhsa_float_denorm_mode_32 3
		.amdhsa_float_denorm_mode_16_64 3
		.amdhsa_dx10_clamp 1
		.amdhsa_ieee_mode 1
		.amdhsa_fp16_overflow 0
		.amdhsa_tg_split 0
		.amdhsa_exception_fp_ieee_invalid_op 0
		.amdhsa_exception_fp_denorm_src 0
		.amdhsa_exception_fp_ieee_div_zero 0
		.amdhsa_exception_fp_ieee_overflow 0
		.amdhsa_exception_fp_ieee_underflow 0
		.amdhsa_exception_fp_ieee_inexact 0
		.amdhsa_exception_int_div_zero 0
	.end_amdhsa_kernel
	.section	.text._ZN7rocprim17ROCPRIM_400000_NS6detail17trampoline_kernelINS0_14default_configENS1_25partition_config_selectorILNS1_17partition_subalgoE0EtNS0_10empty_typeEbEEZZNS1_14partition_implILS5_0ELb0ES3_jN6thrust23THRUST_200600_302600_NS6detail15normal_iteratorINSA_10device_ptrItEEEEPS6_SG_NS0_5tupleIJNSA_16discard_iteratorINSA_11use_defaultEEESK_EEENSH_IJSG_SG_EEES6_PlJ7is_evenItEEEE10hipError_tPvRmT3_T4_T5_T6_T7_T9_mT8_P12ihipStream_tbDpT10_ENKUlT_T0_E_clISt17integral_constantIbLb1EES18_IbLb0EEEEDaS14_S15_EUlS14_E_NS1_11comp_targetILNS1_3genE9ELNS1_11target_archE1100ELNS1_3gpuE3ELNS1_3repE0EEENS1_30default_config_static_selectorELNS0_4arch9wavefront6targetE1EEEvT1_,"axG",@progbits,_ZN7rocprim17ROCPRIM_400000_NS6detail17trampoline_kernelINS0_14default_configENS1_25partition_config_selectorILNS1_17partition_subalgoE0EtNS0_10empty_typeEbEEZZNS1_14partition_implILS5_0ELb0ES3_jN6thrust23THRUST_200600_302600_NS6detail15normal_iteratorINSA_10device_ptrItEEEEPS6_SG_NS0_5tupleIJNSA_16discard_iteratorINSA_11use_defaultEEESK_EEENSH_IJSG_SG_EEES6_PlJ7is_evenItEEEE10hipError_tPvRmT3_T4_T5_T6_T7_T9_mT8_P12ihipStream_tbDpT10_ENKUlT_T0_E_clISt17integral_constantIbLb1EES18_IbLb0EEEEDaS14_S15_EUlS14_E_NS1_11comp_targetILNS1_3genE9ELNS1_11target_archE1100ELNS1_3gpuE3ELNS1_3repE0EEENS1_30default_config_static_selectorELNS0_4arch9wavefront6targetE1EEEvT1_,comdat
.Lfunc_end2513:
	.size	_ZN7rocprim17ROCPRIM_400000_NS6detail17trampoline_kernelINS0_14default_configENS1_25partition_config_selectorILNS1_17partition_subalgoE0EtNS0_10empty_typeEbEEZZNS1_14partition_implILS5_0ELb0ES3_jN6thrust23THRUST_200600_302600_NS6detail15normal_iteratorINSA_10device_ptrItEEEEPS6_SG_NS0_5tupleIJNSA_16discard_iteratorINSA_11use_defaultEEESK_EEENSH_IJSG_SG_EEES6_PlJ7is_evenItEEEE10hipError_tPvRmT3_T4_T5_T6_T7_T9_mT8_P12ihipStream_tbDpT10_ENKUlT_T0_E_clISt17integral_constantIbLb1EES18_IbLb0EEEEDaS14_S15_EUlS14_E_NS1_11comp_targetILNS1_3genE9ELNS1_11target_archE1100ELNS1_3gpuE3ELNS1_3repE0EEENS1_30default_config_static_selectorELNS0_4arch9wavefront6targetE1EEEvT1_, .Lfunc_end2513-_ZN7rocprim17ROCPRIM_400000_NS6detail17trampoline_kernelINS0_14default_configENS1_25partition_config_selectorILNS1_17partition_subalgoE0EtNS0_10empty_typeEbEEZZNS1_14partition_implILS5_0ELb0ES3_jN6thrust23THRUST_200600_302600_NS6detail15normal_iteratorINSA_10device_ptrItEEEEPS6_SG_NS0_5tupleIJNSA_16discard_iteratorINSA_11use_defaultEEESK_EEENSH_IJSG_SG_EEES6_PlJ7is_evenItEEEE10hipError_tPvRmT3_T4_T5_T6_T7_T9_mT8_P12ihipStream_tbDpT10_ENKUlT_T0_E_clISt17integral_constantIbLb1EES18_IbLb0EEEEDaS14_S15_EUlS14_E_NS1_11comp_targetILNS1_3genE9ELNS1_11target_archE1100ELNS1_3gpuE3ELNS1_3repE0EEENS1_30default_config_static_selectorELNS0_4arch9wavefront6targetE1EEEvT1_
                                        ; -- End function
	.section	.AMDGPU.csdata,"",@progbits
; Kernel info:
; codeLenInByte = 0
; NumSgprs: 6
; NumVgprs: 0
; NumAgprs: 0
; TotalNumVgprs: 0
; ScratchSize: 0
; MemoryBound: 0
; FloatMode: 240
; IeeeMode: 1
; LDSByteSize: 0 bytes/workgroup (compile time only)
; SGPRBlocks: 0
; VGPRBlocks: 0
; NumSGPRsForWavesPerEU: 6
; NumVGPRsForWavesPerEU: 1
; AccumOffset: 4
; Occupancy: 8
; WaveLimiterHint : 0
; COMPUTE_PGM_RSRC2:SCRATCH_EN: 0
; COMPUTE_PGM_RSRC2:USER_SGPR: 2
; COMPUTE_PGM_RSRC2:TRAP_HANDLER: 0
; COMPUTE_PGM_RSRC2:TGID_X_EN: 1
; COMPUTE_PGM_RSRC2:TGID_Y_EN: 0
; COMPUTE_PGM_RSRC2:TGID_Z_EN: 0
; COMPUTE_PGM_RSRC2:TIDIG_COMP_CNT: 0
; COMPUTE_PGM_RSRC3_GFX90A:ACCUM_OFFSET: 0
; COMPUTE_PGM_RSRC3_GFX90A:TG_SPLIT: 0
	.section	.text._ZN7rocprim17ROCPRIM_400000_NS6detail17trampoline_kernelINS0_14default_configENS1_25partition_config_selectorILNS1_17partition_subalgoE0EtNS0_10empty_typeEbEEZZNS1_14partition_implILS5_0ELb0ES3_jN6thrust23THRUST_200600_302600_NS6detail15normal_iteratorINSA_10device_ptrItEEEEPS6_SG_NS0_5tupleIJNSA_16discard_iteratorINSA_11use_defaultEEESK_EEENSH_IJSG_SG_EEES6_PlJ7is_evenItEEEE10hipError_tPvRmT3_T4_T5_T6_T7_T9_mT8_P12ihipStream_tbDpT10_ENKUlT_T0_E_clISt17integral_constantIbLb1EES18_IbLb0EEEEDaS14_S15_EUlS14_E_NS1_11comp_targetILNS1_3genE8ELNS1_11target_archE1030ELNS1_3gpuE2ELNS1_3repE0EEENS1_30default_config_static_selectorELNS0_4arch9wavefront6targetE1EEEvT1_,"axG",@progbits,_ZN7rocprim17ROCPRIM_400000_NS6detail17trampoline_kernelINS0_14default_configENS1_25partition_config_selectorILNS1_17partition_subalgoE0EtNS0_10empty_typeEbEEZZNS1_14partition_implILS5_0ELb0ES3_jN6thrust23THRUST_200600_302600_NS6detail15normal_iteratorINSA_10device_ptrItEEEEPS6_SG_NS0_5tupleIJNSA_16discard_iteratorINSA_11use_defaultEEESK_EEENSH_IJSG_SG_EEES6_PlJ7is_evenItEEEE10hipError_tPvRmT3_T4_T5_T6_T7_T9_mT8_P12ihipStream_tbDpT10_ENKUlT_T0_E_clISt17integral_constantIbLb1EES18_IbLb0EEEEDaS14_S15_EUlS14_E_NS1_11comp_targetILNS1_3genE8ELNS1_11target_archE1030ELNS1_3gpuE2ELNS1_3repE0EEENS1_30default_config_static_selectorELNS0_4arch9wavefront6targetE1EEEvT1_,comdat
	.protected	_ZN7rocprim17ROCPRIM_400000_NS6detail17trampoline_kernelINS0_14default_configENS1_25partition_config_selectorILNS1_17partition_subalgoE0EtNS0_10empty_typeEbEEZZNS1_14partition_implILS5_0ELb0ES3_jN6thrust23THRUST_200600_302600_NS6detail15normal_iteratorINSA_10device_ptrItEEEEPS6_SG_NS0_5tupleIJNSA_16discard_iteratorINSA_11use_defaultEEESK_EEENSH_IJSG_SG_EEES6_PlJ7is_evenItEEEE10hipError_tPvRmT3_T4_T5_T6_T7_T9_mT8_P12ihipStream_tbDpT10_ENKUlT_T0_E_clISt17integral_constantIbLb1EES18_IbLb0EEEEDaS14_S15_EUlS14_E_NS1_11comp_targetILNS1_3genE8ELNS1_11target_archE1030ELNS1_3gpuE2ELNS1_3repE0EEENS1_30default_config_static_selectorELNS0_4arch9wavefront6targetE1EEEvT1_ ; -- Begin function _ZN7rocprim17ROCPRIM_400000_NS6detail17trampoline_kernelINS0_14default_configENS1_25partition_config_selectorILNS1_17partition_subalgoE0EtNS0_10empty_typeEbEEZZNS1_14partition_implILS5_0ELb0ES3_jN6thrust23THRUST_200600_302600_NS6detail15normal_iteratorINSA_10device_ptrItEEEEPS6_SG_NS0_5tupleIJNSA_16discard_iteratorINSA_11use_defaultEEESK_EEENSH_IJSG_SG_EEES6_PlJ7is_evenItEEEE10hipError_tPvRmT3_T4_T5_T6_T7_T9_mT8_P12ihipStream_tbDpT10_ENKUlT_T0_E_clISt17integral_constantIbLb1EES18_IbLb0EEEEDaS14_S15_EUlS14_E_NS1_11comp_targetILNS1_3genE8ELNS1_11target_archE1030ELNS1_3gpuE2ELNS1_3repE0EEENS1_30default_config_static_selectorELNS0_4arch9wavefront6targetE1EEEvT1_
	.globl	_ZN7rocprim17ROCPRIM_400000_NS6detail17trampoline_kernelINS0_14default_configENS1_25partition_config_selectorILNS1_17partition_subalgoE0EtNS0_10empty_typeEbEEZZNS1_14partition_implILS5_0ELb0ES3_jN6thrust23THRUST_200600_302600_NS6detail15normal_iteratorINSA_10device_ptrItEEEEPS6_SG_NS0_5tupleIJNSA_16discard_iteratorINSA_11use_defaultEEESK_EEENSH_IJSG_SG_EEES6_PlJ7is_evenItEEEE10hipError_tPvRmT3_T4_T5_T6_T7_T9_mT8_P12ihipStream_tbDpT10_ENKUlT_T0_E_clISt17integral_constantIbLb1EES18_IbLb0EEEEDaS14_S15_EUlS14_E_NS1_11comp_targetILNS1_3genE8ELNS1_11target_archE1030ELNS1_3gpuE2ELNS1_3repE0EEENS1_30default_config_static_selectorELNS0_4arch9wavefront6targetE1EEEvT1_
	.p2align	8
	.type	_ZN7rocprim17ROCPRIM_400000_NS6detail17trampoline_kernelINS0_14default_configENS1_25partition_config_selectorILNS1_17partition_subalgoE0EtNS0_10empty_typeEbEEZZNS1_14partition_implILS5_0ELb0ES3_jN6thrust23THRUST_200600_302600_NS6detail15normal_iteratorINSA_10device_ptrItEEEEPS6_SG_NS0_5tupleIJNSA_16discard_iteratorINSA_11use_defaultEEESK_EEENSH_IJSG_SG_EEES6_PlJ7is_evenItEEEE10hipError_tPvRmT3_T4_T5_T6_T7_T9_mT8_P12ihipStream_tbDpT10_ENKUlT_T0_E_clISt17integral_constantIbLb1EES18_IbLb0EEEEDaS14_S15_EUlS14_E_NS1_11comp_targetILNS1_3genE8ELNS1_11target_archE1030ELNS1_3gpuE2ELNS1_3repE0EEENS1_30default_config_static_selectorELNS0_4arch9wavefront6targetE1EEEvT1_,@function
_ZN7rocprim17ROCPRIM_400000_NS6detail17trampoline_kernelINS0_14default_configENS1_25partition_config_selectorILNS1_17partition_subalgoE0EtNS0_10empty_typeEbEEZZNS1_14partition_implILS5_0ELb0ES3_jN6thrust23THRUST_200600_302600_NS6detail15normal_iteratorINSA_10device_ptrItEEEEPS6_SG_NS0_5tupleIJNSA_16discard_iteratorINSA_11use_defaultEEESK_EEENSH_IJSG_SG_EEES6_PlJ7is_evenItEEEE10hipError_tPvRmT3_T4_T5_T6_T7_T9_mT8_P12ihipStream_tbDpT10_ENKUlT_T0_E_clISt17integral_constantIbLb1EES18_IbLb0EEEEDaS14_S15_EUlS14_E_NS1_11comp_targetILNS1_3genE8ELNS1_11target_archE1030ELNS1_3gpuE2ELNS1_3repE0EEENS1_30default_config_static_selectorELNS0_4arch9wavefront6targetE1EEEvT1_: ; @_ZN7rocprim17ROCPRIM_400000_NS6detail17trampoline_kernelINS0_14default_configENS1_25partition_config_selectorILNS1_17partition_subalgoE0EtNS0_10empty_typeEbEEZZNS1_14partition_implILS5_0ELb0ES3_jN6thrust23THRUST_200600_302600_NS6detail15normal_iteratorINSA_10device_ptrItEEEEPS6_SG_NS0_5tupleIJNSA_16discard_iteratorINSA_11use_defaultEEESK_EEENSH_IJSG_SG_EEES6_PlJ7is_evenItEEEE10hipError_tPvRmT3_T4_T5_T6_T7_T9_mT8_P12ihipStream_tbDpT10_ENKUlT_T0_E_clISt17integral_constantIbLb1EES18_IbLb0EEEEDaS14_S15_EUlS14_E_NS1_11comp_targetILNS1_3genE8ELNS1_11target_archE1030ELNS1_3gpuE2ELNS1_3repE0EEENS1_30default_config_static_selectorELNS0_4arch9wavefront6targetE1EEEvT1_
; %bb.0:
	.section	.rodata,"a",@progbits
	.p2align	6, 0x0
	.amdhsa_kernel _ZN7rocprim17ROCPRIM_400000_NS6detail17trampoline_kernelINS0_14default_configENS1_25partition_config_selectorILNS1_17partition_subalgoE0EtNS0_10empty_typeEbEEZZNS1_14partition_implILS5_0ELb0ES3_jN6thrust23THRUST_200600_302600_NS6detail15normal_iteratorINSA_10device_ptrItEEEEPS6_SG_NS0_5tupleIJNSA_16discard_iteratorINSA_11use_defaultEEESK_EEENSH_IJSG_SG_EEES6_PlJ7is_evenItEEEE10hipError_tPvRmT3_T4_T5_T6_T7_T9_mT8_P12ihipStream_tbDpT10_ENKUlT_T0_E_clISt17integral_constantIbLb1EES18_IbLb0EEEEDaS14_S15_EUlS14_E_NS1_11comp_targetILNS1_3genE8ELNS1_11target_archE1030ELNS1_3gpuE2ELNS1_3repE0EEENS1_30default_config_static_selectorELNS0_4arch9wavefront6targetE1EEEvT1_
		.amdhsa_group_segment_fixed_size 0
		.amdhsa_private_segment_fixed_size 0
		.amdhsa_kernarg_size 136
		.amdhsa_user_sgpr_count 2
		.amdhsa_user_sgpr_dispatch_ptr 0
		.amdhsa_user_sgpr_queue_ptr 0
		.amdhsa_user_sgpr_kernarg_segment_ptr 1
		.amdhsa_user_sgpr_dispatch_id 0
		.amdhsa_user_sgpr_kernarg_preload_length 0
		.amdhsa_user_sgpr_kernarg_preload_offset 0
		.amdhsa_user_sgpr_private_segment_size 0
		.amdhsa_uses_dynamic_stack 0
		.amdhsa_enable_private_segment 0
		.amdhsa_system_sgpr_workgroup_id_x 1
		.amdhsa_system_sgpr_workgroup_id_y 0
		.amdhsa_system_sgpr_workgroup_id_z 0
		.amdhsa_system_sgpr_workgroup_info 0
		.amdhsa_system_vgpr_workitem_id 0
		.amdhsa_next_free_vgpr 1
		.amdhsa_next_free_sgpr 0
		.amdhsa_accum_offset 4
		.amdhsa_reserve_vcc 0
		.amdhsa_float_round_mode_32 0
		.amdhsa_float_round_mode_16_64 0
		.amdhsa_float_denorm_mode_32 3
		.amdhsa_float_denorm_mode_16_64 3
		.amdhsa_dx10_clamp 1
		.amdhsa_ieee_mode 1
		.amdhsa_fp16_overflow 0
		.amdhsa_tg_split 0
		.amdhsa_exception_fp_ieee_invalid_op 0
		.amdhsa_exception_fp_denorm_src 0
		.amdhsa_exception_fp_ieee_div_zero 0
		.amdhsa_exception_fp_ieee_overflow 0
		.amdhsa_exception_fp_ieee_underflow 0
		.amdhsa_exception_fp_ieee_inexact 0
		.amdhsa_exception_int_div_zero 0
	.end_amdhsa_kernel
	.section	.text._ZN7rocprim17ROCPRIM_400000_NS6detail17trampoline_kernelINS0_14default_configENS1_25partition_config_selectorILNS1_17partition_subalgoE0EtNS0_10empty_typeEbEEZZNS1_14partition_implILS5_0ELb0ES3_jN6thrust23THRUST_200600_302600_NS6detail15normal_iteratorINSA_10device_ptrItEEEEPS6_SG_NS0_5tupleIJNSA_16discard_iteratorINSA_11use_defaultEEESK_EEENSH_IJSG_SG_EEES6_PlJ7is_evenItEEEE10hipError_tPvRmT3_T4_T5_T6_T7_T9_mT8_P12ihipStream_tbDpT10_ENKUlT_T0_E_clISt17integral_constantIbLb1EES18_IbLb0EEEEDaS14_S15_EUlS14_E_NS1_11comp_targetILNS1_3genE8ELNS1_11target_archE1030ELNS1_3gpuE2ELNS1_3repE0EEENS1_30default_config_static_selectorELNS0_4arch9wavefront6targetE1EEEvT1_,"axG",@progbits,_ZN7rocprim17ROCPRIM_400000_NS6detail17trampoline_kernelINS0_14default_configENS1_25partition_config_selectorILNS1_17partition_subalgoE0EtNS0_10empty_typeEbEEZZNS1_14partition_implILS5_0ELb0ES3_jN6thrust23THRUST_200600_302600_NS6detail15normal_iteratorINSA_10device_ptrItEEEEPS6_SG_NS0_5tupleIJNSA_16discard_iteratorINSA_11use_defaultEEESK_EEENSH_IJSG_SG_EEES6_PlJ7is_evenItEEEE10hipError_tPvRmT3_T4_T5_T6_T7_T9_mT8_P12ihipStream_tbDpT10_ENKUlT_T0_E_clISt17integral_constantIbLb1EES18_IbLb0EEEEDaS14_S15_EUlS14_E_NS1_11comp_targetILNS1_3genE8ELNS1_11target_archE1030ELNS1_3gpuE2ELNS1_3repE0EEENS1_30default_config_static_selectorELNS0_4arch9wavefront6targetE1EEEvT1_,comdat
.Lfunc_end2514:
	.size	_ZN7rocprim17ROCPRIM_400000_NS6detail17trampoline_kernelINS0_14default_configENS1_25partition_config_selectorILNS1_17partition_subalgoE0EtNS0_10empty_typeEbEEZZNS1_14partition_implILS5_0ELb0ES3_jN6thrust23THRUST_200600_302600_NS6detail15normal_iteratorINSA_10device_ptrItEEEEPS6_SG_NS0_5tupleIJNSA_16discard_iteratorINSA_11use_defaultEEESK_EEENSH_IJSG_SG_EEES6_PlJ7is_evenItEEEE10hipError_tPvRmT3_T4_T5_T6_T7_T9_mT8_P12ihipStream_tbDpT10_ENKUlT_T0_E_clISt17integral_constantIbLb1EES18_IbLb0EEEEDaS14_S15_EUlS14_E_NS1_11comp_targetILNS1_3genE8ELNS1_11target_archE1030ELNS1_3gpuE2ELNS1_3repE0EEENS1_30default_config_static_selectorELNS0_4arch9wavefront6targetE1EEEvT1_, .Lfunc_end2514-_ZN7rocprim17ROCPRIM_400000_NS6detail17trampoline_kernelINS0_14default_configENS1_25partition_config_selectorILNS1_17partition_subalgoE0EtNS0_10empty_typeEbEEZZNS1_14partition_implILS5_0ELb0ES3_jN6thrust23THRUST_200600_302600_NS6detail15normal_iteratorINSA_10device_ptrItEEEEPS6_SG_NS0_5tupleIJNSA_16discard_iteratorINSA_11use_defaultEEESK_EEENSH_IJSG_SG_EEES6_PlJ7is_evenItEEEE10hipError_tPvRmT3_T4_T5_T6_T7_T9_mT8_P12ihipStream_tbDpT10_ENKUlT_T0_E_clISt17integral_constantIbLb1EES18_IbLb0EEEEDaS14_S15_EUlS14_E_NS1_11comp_targetILNS1_3genE8ELNS1_11target_archE1030ELNS1_3gpuE2ELNS1_3repE0EEENS1_30default_config_static_selectorELNS0_4arch9wavefront6targetE1EEEvT1_
                                        ; -- End function
	.section	.AMDGPU.csdata,"",@progbits
; Kernel info:
; codeLenInByte = 0
; NumSgprs: 6
; NumVgprs: 0
; NumAgprs: 0
; TotalNumVgprs: 0
; ScratchSize: 0
; MemoryBound: 0
; FloatMode: 240
; IeeeMode: 1
; LDSByteSize: 0 bytes/workgroup (compile time only)
; SGPRBlocks: 0
; VGPRBlocks: 0
; NumSGPRsForWavesPerEU: 6
; NumVGPRsForWavesPerEU: 1
; AccumOffset: 4
; Occupancy: 8
; WaveLimiterHint : 0
; COMPUTE_PGM_RSRC2:SCRATCH_EN: 0
; COMPUTE_PGM_RSRC2:USER_SGPR: 2
; COMPUTE_PGM_RSRC2:TRAP_HANDLER: 0
; COMPUTE_PGM_RSRC2:TGID_X_EN: 1
; COMPUTE_PGM_RSRC2:TGID_Y_EN: 0
; COMPUTE_PGM_RSRC2:TGID_Z_EN: 0
; COMPUTE_PGM_RSRC2:TIDIG_COMP_CNT: 0
; COMPUTE_PGM_RSRC3_GFX90A:ACCUM_OFFSET: 0
; COMPUTE_PGM_RSRC3_GFX90A:TG_SPLIT: 0
	.section	.text._ZN7rocprim17ROCPRIM_400000_NS6detail17trampoline_kernelINS0_14default_configENS1_25partition_config_selectorILNS1_17partition_subalgoE0EtNS0_10empty_typeEbEEZZNS1_14partition_implILS5_0ELb0ES3_jN6thrust23THRUST_200600_302600_NS6detail15normal_iteratorINSA_10device_ptrItEEEEPS6_SG_NS0_5tupleIJNSA_16discard_iteratorINSA_11use_defaultEEESK_EEENSH_IJSG_SG_EEES6_PlJ7is_evenItEEEE10hipError_tPvRmT3_T4_T5_T6_T7_T9_mT8_P12ihipStream_tbDpT10_ENKUlT_T0_E_clISt17integral_constantIbLb0EES18_IbLb1EEEEDaS14_S15_EUlS14_E_NS1_11comp_targetILNS1_3genE0ELNS1_11target_archE4294967295ELNS1_3gpuE0ELNS1_3repE0EEENS1_30default_config_static_selectorELNS0_4arch9wavefront6targetE1EEEvT1_,"axG",@progbits,_ZN7rocprim17ROCPRIM_400000_NS6detail17trampoline_kernelINS0_14default_configENS1_25partition_config_selectorILNS1_17partition_subalgoE0EtNS0_10empty_typeEbEEZZNS1_14partition_implILS5_0ELb0ES3_jN6thrust23THRUST_200600_302600_NS6detail15normal_iteratorINSA_10device_ptrItEEEEPS6_SG_NS0_5tupleIJNSA_16discard_iteratorINSA_11use_defaultEEESK_EEENSH_IJSG_SG_EEES6_PlJ7is_evenItEEEE10hipError_tPvRmT3_T4_T5_T6_T7_T9_mT8_P12ihipStream_tbDpT10_ENKUlT_T0_E_clISt17integral_constantIbLb0EES18_IbLb1EEEEDaS14_S15_EUlS14_E_NS1_11comp_targetILNS1_3genE0ELNS1_11target_archE4294967295ELNS1_3gpuE0ELNS1_3repE0EEENS1_30default_config_static_selectorELNS0_4arch9wavefront6targetE1EEEvT1_,comdat
	.protected	_ZN7rocprim17ROCPRIM_400000_NS6detail17trampoline_kernelINS0_14default_configENS1_25partition_config_selectorILNS1_17partition_subalgoE0EtNS0_10empty_typeEbEEZZNS1_14partition_implILS5_0ELb0ES3_jN6thrust23THRUST_200600_302600_NS6detail15normal_iteratorINSA_10device_ptrItEEEEPS6_SG_NS0_5tupleIJNSA_16discard_iteratorINSA_11use_defaultEEESK_EEENSH_IJSG_SG_EEES6_PlJ7is_evenItEEEE10hipError_tPvRmT3_T4_T5_T6_T7_T9_mT8_P12ihipStream_tbDpT10_ENKUlT_T0_E_clISt17integral_constantIbLb0EES18_IbLb1EEEEDaS14_S15_EUlS14_E_NS1_11comp_targetILNS1_3genE0ELNS1_11target_archE4294967295ELNS1_3gpuE0ELNS1_3repE0EEENS1_30default_config_static_selectorELNS0_4arch9wavefront6targetE1EEEvT1_ ; -- Begin function _ZN7rocprim17ROCPRIM_400000_NS6detail17trampoline_kernelINS0_14default_configENS1_25partition_config_selectorILNS1_17partition_subalgoE0EtNS0_10empty_typeEbEEZZNS1_14partition_implILS5_0ELb0ES3_jN6thrust23THRUST_200600_302600_NS6detail15normal_iteratorINSA_10device_ptrItEEEEPS6_SG_NS0_5tupleIJNSA_16discard_iteratorINSA_11use_defaultEEESK_EEENSH_IJSG_SG_EEES6_PlJ7is_evenItEEEE10hipError_tPvRmT3_T4_T5_T6_T7_T9_mT8_P12ihipStream_tbDpT10_ENKUlT_T0_E_clISt17integral_constantIbLb0EES18_IbLb1EEEEDaS14_S15_EUlS14_E_NS1_11comp_targetILNS1_3genE0ELNS1_11target_archE4294967295ELNS1_3gpuE0ELNS1_3repE0EEENS1_30default_config_static_selectorELNS0_4arch9wavefront6targetE1EEEvT1_
	.globl	_ZN7rocprim17ROCPRIM_400000_NS6detail17trampoline_kernelINS0_14default_configENS1_25partition_config_selectorILNS1_17partition_subalgoE0EtNS0_10empty_typeEbEEZZNS1_14partition_implILS5_0ELb0ES3_jN6thrust23THRUST_200600_302600_NS6detail15normal_iteratorINSA_10device_ptrItEEEEPS6_SG_NS0_5tupleIJNSA_16discard_iteratorINSA_11use_defaultEEESK_EEENSH_IJSG_SG_EEES6_PlJ7is_evenItEEEE10hipError_tPvRmT3_T4_T5_T6_T7_T9_mT8_P12ihipStream_tbDpT10_ENKUlT_T0_E_clISt17integral_constantIbLb0EES18_IbLb1EEEEDaS14_S15_EUlS14_E_NS1_11comp_targetILNS1_3genE0ELNS1_11target_archE4294967295ELNS1_3gpuE0ELNS1_3repE0EEENS1_30default_config_static_selectorELNS0_4arch9wavefront6targetE1EEEvT1_
	.p2align	8
	.type	_ZN7rocprim17ROCPRIM_400000_NS6detail17trampoline_kernelINS0_14default_configENS1_25partition_config_selectorILNS1_17partition_subalgoE0EtNS0_10empty_typeEbEEZZNS1_14partition_implILS5_0ELb0ES3_jN6thrust23THRUST_200600_302600_NS6detail15normal_iteratorINSA_10device_ptrItEEEEPS6_SG_NS0_5tupleIJNSA_16discard_iteratorINSA_11use_defaultEEESK_EEENSH_IJSG_SG_EEES6_PlJ7is_evenItEEEE10hipError_tPvRmT3_T4_T5_T6_T7_T9_mT8_P12ihipStream_tbDpT10_ENKUlT_T0_E_clISt17integral_constantIbLb0EES18_IbLb1EEEEDaS14_S15_EUlS14_E_NS1_11comp_targetILNS1_3genE0ELNS1_11target_archE4294967295ELNS1_3gpuE0ELNS1_3repE0EEENS1_30default_config_static_selectorELNS0_4arch9wavefront6targetE1EEEvT1_,@function
_ZN7rocprim17ROCPRIM_400000_NS6detail17trampoline_kernelINS0_14default_configENS1_25partition_config_selectorILNS1_17partition_subalgoE0EtNS0_10empty_typeEbEEZZNS1_14partition_implILS5_0ELb0ES3_jN6thrust23THRUST_200600_302600_NS6detail15normal_iteratorINSA_10device_ptrItEEEEPS6_SG_NS0_5tupleIJNSA_16discard_iteratorINSA_11use_defaultEEESK_EEENSH_IJSG_SG_EEES6_PlJ7is_evenItEEEE10hipError_tPvRmT3_T4_T5_T6_T7_T9_mT8_P12ihipStream_tbDpT10_ENKUlT_T0_E_clISt17integral_constantIbLb0EES18_IbLb1EEEEDaS14_S15_EUlS14_E_NS1_11comp_targetILNS1_3genE0ELNS1_11target_archE4294967295ELNS1_3gpuE0ELNS1_3repE0EEENS1_30default_config_static_selectorELNS0_4arch9wavefront6targetE1EEEvT1_: ; @_ZN7rocprim17ROCPRIM_400000_NS6detail17trampoline_kernelINS0_14default_configENS1_25partition_config_selectorILNS1_17partition_subalgoE0EtNS0_10empty_typeEbEEZZNS1_14partition_implILS5_0ELb0ES3_jN6thrust23THRUST_200600_302600_NS6detail15normal_iteratorINSA_10device_ptrItEEEEPS6_SG_NS0_5tupleIJNSA_16discard_iteratorINSA_11use_defaultEEESK_EEENSH_IJSG_SG_EEES6_PlJ7is_evenItEEEE10hipError_tPvRmT3_T4_T5_T6_T7_T9_mT8_P12ihipStream_tbDpT10_ENKUlT_T0_E_clISt17integral_constantIbLb0EES18_IbLb1EEEEDaS14_S15_EUlS14_E_NS1_11comp_targetILNS1_3genE0ELNS1_11target_archE4294967295ELNS1_3gpuE0ELNS1_3repE0EEENS1_30default_config_static_selectorELNS0_4arch9wavefront6targetE1EEEvT1_
; %bb.0:
	.section	.rodata,"a",@progbits
	.p2align	6, 0x0
	.amdhsa_kernel _ZN7rocprim17ROCPRIM_400000_NS6detail17trampoline_kernelINS0_14default_configENS1_25partition_config_selectorILNS1_17partition_subalgoE0EtNS0_10empty_typeEbEEZZNS1_14partition_implILS5_0ELb0ES3_jN6thrust23THRUST_200600_302600_NS6detail15normal_iteratorINSA_10device_ptrItEEEEPS6_SG_NS0_5tupleIJNSA_16discard_iteratorINSA_11use_defaultEEESK_EEENSH_IJSG_SG_EEES6_PlJ7is_evenItEEEE10hipError_tPvRmT3_T4_T5_T6_T7_T9_mT8_P12ihipStream_tbDpT10_ENKUlT_T0_E_clISt17integral_constantIbLb0EES18_IbLb1EEEEDaS14_S15_EUlS14_E_NS1_11comp_targetILNS1_3genE0ELNS1_11target_archE4294967295ELNS1_3gpuE0ELNS1_3repE0EEENS1_30default_config_static_selectorELNS0_4arch9wavefront6targetE1EEEvT1_
		.amdhsa_group_segment_fixed_size 0
		.amdhsa_private_segment_fixed_size 0
		.amdhsa_kernarg_size 152
		.amdhsa_user_sgpr_count 2
		.amdhsa_user_sgpr_dispatch_ptr 0
		.amdhsa_user_sgpr_queue_ptr 0
		.amdhsa_user_sgpr_kernarg_segment_ptr 1
		.amdhsa_user_sgpr_dispatch_id 0
		.amdhsa_user_sgpr_kernarg_preload_length 0
		.amdhsa_user_sgpr_kernarg_preload_offset 0
		.amdhsa_user_sgpr_private_segment_size 0
		.amdhsa_uses_dynamic_stack 0
		.amdhsa_enable_private_segment 0
		.amdhsa_system_sgpr_workgroup_id_x 1
		.amdhsa_system_sgpr_workgroup_id_y 0
		.amdhsa_system_sgpr_workgroup_id_z 0
		.amdhsa_system_sgpr_workgroup_info 0
		.amdhsa_system_vgpr_workitem_id 0
		.amdhsa_next_free_vgpr 1
		.amdhsa_next_free_sgpr 0
		.amdhsa_accum_offset 4
		.amdhsa_reserve_vcc 0
		.amdhsa_float_round_mode_32 0
		.amdhsa_float_round_mode_16_64 0
		.amdhsa_float_denorm_mode_32 3
		.amdhsa_float_denorm_mode_16_64 3
		.amdhsa_dx10_clamp 1
		.amdhsa_ieee_mode 1
		.amdhsa_fp16_overflow 0
		.amdhsa_tg_split 0
		.amdhsa_exception_fp_ieee_invalid_op 0
		.amdhsa_exception_fp_denorm_src 0
		.amdhsa_exception_fp_ieee_div_zero 0
		.amdhsa_exception_fp_ieee_overflow 0
		.amdhsa_exception_fp_ieee_underflow 0
		.amdhsa_exception_fp_ieee_inexact 0
		.amdhsa_exception_int_div_zero 0
	.end_amdhsa_kernel
	.section	.text._ZN7rocprim17ROCPRIM_400000_NS6detail17trampoline_kernelINS0_14default_configENS1_25partition_config_selectorILNS1_17partition_subalgoE0EtNS0_10empty_typeEbEEZZNS1_14partition_implILS5_0ELb0ES3_jN6thrust23THRUST_200600_302600_NS6detail15normal_iteratorINSA_10device_ptrItEEEEPS6_SG_NS0_5tupleIJNSA_16discard_iteratorINSA_11use_defaultEEESK_EEENSH_IJSG_SG_EEES6_PlJ7is_evenItEEEE10hipError_tPvRmT3_T4_T5_T6_T7_T9_mT8_P12ihipStream_tbDpT10_ENKUlT_T0_E_clISt17integral_constantIbLb0EES18_IbLb1EEEEDaS14_S15_EUlS14_E_NS1_11comp_targetILNS1_3genE0ELNS1_11target_archE4294967295ELNS1_3gpuE0ELNS1_3repE0EEENS1_30default_config_static_selectorELNS0_4arch9wavefront6targetE1EEEvT1_,"axG",@progbits,_ZN7rocprim17ROCPRIM_400000_NS6detail17trampoline_kernelINS0_14default_configENS1_25partition_config_selectorILNS1_17partition_subalgoE0EtNS0_10empty_typeEbEEZZNS1_14partition_implILS5_0ELb0ES3_jN6thrust23THRUST_200600_302600_NS6detail15normal_iteratorINSA_10device_ptrItEEEEPS6_SG_NS0_5tupleIJNSA_16discard_iteratorINSA_11use_defaultEEESK_EEENSH_IJSG_SG_EEES6_PlJ7is_evenItEEEE10hipError_tPvRmT3_T4_T5_T6_T7_T9_mT8_P12ihipStream_tbDpT10_ENKUlT_T0_E_clISt17integral_constantIbLb0EES18_IbLb1EEEEDaS14_S15_EUlS14_E_NS1_11comp_targetILNS1_3genE0ELNS1_11target_archE4294967295ELNS1_3gpuE0ELNS1_3repE0EEENS1_30default_config_static_selectorELNS0_4arch9wavefront6targetE1EEEvT1_,comdat
.Lfunc_end2515:
	.size	_ZN7rocprim17ROCPRIM_400000_NS6detail17trampoline_kernelINS0_14default_configENS1_25partition_config_selectorILNS1_17partition_subalgoE0EtNS0_10empty_typeEbEEZZNS1_14partition_implILS5_0ELb0ES3_jN6thrust23THRUST_200600_302600_NS6detail15normal_iteratorINSA_10device_ptrItEEEEPS6_SG_NS0_5tupleIJNSA_16discard_iteratorINSA_11use_defaultEEESK_EEENSH_IJSG_SG_EEES6_PlJ7is_evenItEEEE10hipError_tPvRmT3_T4_T5_T6_T7_T9_mT8_P12ihipStream_tbDpT10_ENKUlT_T0_E_clISt17integral_constantIbLb0EES18_IbLb1EEEEDaS14_S15_EUlS14_E_NS1_11comp_targetILNS1_3genE0ELNS1_11target_archE4294967295ELNS1_3gpuE0ELNS1_3repE0EEENS1_30default_config_static_selectorELNS0_4arch9wavefront6targetE1EEEvT1_, .Lfunc_end2515-_ZN7rocprim17ROCPRIM_400000_NS6detail17trampoline_kernelINS0_14default_configENS1_25partition_config_selectorILNS1_17partition_subalgoE0EtNS0_10empty_typeEbEEZZNS1_14partition_implILS5_0ELb0ES3_jN6thrust23THRUST_200600_302600_NS6detail15normal_iteratorINSA_10device_ptrItEEEEPS6_SG_NS0_5tupleIJNSA_16discard_iteratorINSA_11use_defaultEEESK_EEENSH_IJSG_SG_EEES6_PlJ7is_evenItEEEE10hipError_tPvRmT3_T4_T5_T6_T7_T9_mT8_P12ihipStream_tbDpT10_ENKUlT_T0_E_clISt17integral_constantIbLb0EES18_IbLb1EEEEDaS14_S15_EUlS14_E_NS1_11comp_targetILNS1_3genE0ELNS1_11target_archE4294967295ELNS1_3gpuE0ELNS1_3repE0EEENS1_30default_config_static_selectorELNS0_4arch9wavefront6targetE1EEEvT1_
                                        ; -- End function
	.section	.AMDGPU.csdata,"",@progbits
; Kernel info:
; codeLenInByte = 0
; NumSgprs: 6
; NumVgprs: 0
; NumAgprs: 0
; TotalNumVgprs: 0
; ScratchSize: 0
; MemoryBound: 0
; FloatMode: 240
; IeeeMode: 1
; LDSByteSize: 0 bytes/workgroup (compile time only)
; SGPRBlocks: 0
; VGPRBlocks: 0
; NumSGPRsForWavesPerEU: 6
; NumVGPRsForWavesPerEU: 1
; AccumOffset: 4
; Occupancy: 8
; WaveLimiterHint : 0
; COMPUTE_PGM_RSRC2:SCRATCH_EN: 0
; COMPUTE_PGM_RSRC2:USER_SGPR: 2
; COMPUTE_PGM_RSRC2:TRAP_HANDLER: 0
; COMPUTE_PGM_RSRC2:TGID_X_EN: 1
; COMPUTE_PGM_RSRC2:TGID_Y_EN: 0
; COMPUTE_PGM_RSRC2:TGID_Z_EN: 0
; COMPUTE_PGM_RSRC2:TIDIG_COMP_CNT: 0
; COMPUTE_PGM_RSRC3_GFX90A:ACCUM_OFFSET: 0
; COMPUTE_PGM_RSRC3_GFX90A:TG_SPLIT: 0
	.section	.text._ZN7rocprim17ROCPRIM_400000_NS6detail17trampoline_kernelINS0_14default_configENS1_25partition_config_selectorILNS1_17partition_subalgoE0EtNS0_10empty_typeEbEEZZNS1_14partition_implILS5_0ELb0ES3_jN6thrust23THRUST_200600_302600_NS6detail15normal_iteratorINSA_10device_ptrItEEEEPS6_SG_NS0_5tupleIJNSA_16discard_iteratorINSA_11use_defaultEEESK_EEENSH_IJSG_SG_EEES6_PlJ7is_evenItEEEE10hipError_tPvRmT3_T4_T5_T6_T7_T9_mT8_P12ihipStream_tbDpT10_ENKUlT_T0_E_clISt17integral_constantIbLb0EES18_IbLb1EEEEDaS14_S15_EUlS14_E_NS1_11comp_targetILNS1_3genE5ELNS1_11target_archE942ELNS1_3gpuE9ELNS1_3repE0EEENS1_30default_config_static_selectorELNS0_4arch9wavefront6targetE1EEEvT1_,"axG",@progbits,_ZN7rocprim17ROCPRIM_400000_NS6detail17trampoline_kernelINS0_14default_configENS1_25partition_config_selectorILNS1_17partition_subalgoE0EtNS0_10empty_typeEbEEZZNS1_14partition_implILS5_0ELb0ES3_jN6thrust23THRUST_200600_302600_NS6detail15normal_iteratorINSA_10device_ptrItEEEEPS6_SG_NS0_5tupleIJNSA_16discard_iteratorINSA_11use_defaultEEESK_EEENSH_IJSG_SG_EEES6_PlJ7is_evenItEEEE10hipError_tPvRmT3_T4_T5_T6_T7_T9_mT8_P12ihipStream_tbDpT10_ENKUlT_T0_E_clISt17integral_constantIbLb0EES18_IbLb1EEEEDaS14_S15_EUlS14_E_NS1_11comp_targetILNS1_3genE5ELNS1_11target_archE942ELNS1_3gpuE9ELNS1_3repE0EEENS1_30default_config_static_selectorELNS0_4arch9wavefront6targetE1EEEvT1_,comdat
	.protected	_ZN7rocprim17ROCPRIM_400000_NS6detail17trampoline_kernelINS0_14default_configENS1_25partition_config_selectorILNS1_17partition_subalgoE0EtNS0_10empty_typeEbEEZZNS1_14partition_implILS5_0ELb0ES3_jN6thrust23THRUST_200600_302600_NS6detail15normal_iteratorINSA_10device_ptrItEEEEPS6_SG_NS0_5tupleIJNSA_16discard_iteratorINSA_11use_defaultEEESK_EEENSH_IJSG_SG_EEES6_PlJ7is_evenItEEEE10hipError_tPvRmT3_T4_T5_T6_T7_T9_mT8_P12ihipStream_tbDpT10_ENKUlT_T0_E_clISt17integral_constantIbLb0EES18_IbLb1EEEEDaS14_S15_EUlS14_E_NS1_11comp_targetILNS1_3genE5ELNS1_11target_archE942ELNS1_3gpuE9ELNS1_3repE0EEENS1_30default_config_static_selectorELNS0_4arch9wavefront6targetE1EEEvT1_ ; -- Begin function _ZN7rocprim17ROCPRIM_400000_NS6detail17trampoline_kernelINS0_14default_configENS1_25partition_config_selectorILNS1_17partition_subalgoE0EtNS0_10empty_typeEbEEZZNS1_14partition_implILS5_0ELb0ES3_jN6thrust23THRUST_200600_302600_NS6detail15normal_iteratorINSA_10device_ptrItEEEEPS6_SG_NS0_5tupleIJNSA_16discard_iteratorINSA_11use_defaultEEESK_EEENSH_IJSG_SG_EEES6_PlJ7is_evenItEEEE10hipError_tPvRmT3_T4_T5_T6_T7_T9_mT8_P12ihipStream_tbDpT10_ENKUlT_T0_E_clISt17integral_constantIbLb0EES18_IbLb1EEEEDaS14_S15_EUlS14_E_NS1_11comp_targetILNS1_3genE5ELNS1_11target_archE942ELNS1_3gpuE9ELNS1_3repE0EEENS1_30default_config_static_selectorELNS0_4arch9wavefront6targetE1EEEvT1_
	.globl	_ZN7rocprim17ROCPRIM_400000_NS6detail17trampoline_kernelINS0_14default_configENS1_25partition_config_selectorILNS1_17partition_subalgoE0EtNS0_10empty_typeEbEEZZNS1_14partition_implILS5_0ELb0ES3_jN6thrust23THRUST_200600_302600_NS6detail15normal_iteratorINSA_10device_ptrItEEEEPS6_SG_NS0_5tupleIJNSA_16discard_iteratorINSA_11use_defaultEEESK_EEENSH_IJSG_SG_EEES6_PlJ7is_evenItEEEE10hipError_tPvRmT3_T4_T5_T6_T7_T9_mT8_P12ihipStream_tbDpT10_ENKUlT_T0_E_clISt17integral_constantIbLb0EES18_IbLb1EEEEDaS14_S15_EUlS14_E_NS1_11comp_targetILNS1_3genE5ELNS1_11target_archE942ELNS1_3gpuE9ELNS1_3repE0EEENS1_30default_config_static_selectorELNS0_4arch9wavefront6targetE1EEEvT1_
	.p2align	8
	.type	_ZN7rocprim17ROCPRIM_400000_NS6detail17trampoline_kernelINS0_14default_configENS1_25partition_config_selectorILNS1_17partition_subalgoE0EtNS0_10empty_typeEbEEZZNS1_14partition_implILS5_0ELb0ES3_jN6thrust23THRUST_200600_302600_NS6detail15normal_iteratorINSA_10device_ptrItEEEEPS6_SG_NS0_5tupleIJNSA_16discard_iteratorINSA_11use_defaultEEESK_EEENSH_IJSG_SG_EEES6_PlJ7is_evenItEEEE10hipError_tPvRmT3_T4_T5_T6_T7_T9_mT8_P12ihipStream_tbDpT10_ENKUlT_T0_E_clISt17integral_constantIbLb0EES18_IbLb1EEEEDaS14_S15_EUlS14_E_NS1_11comp_targetILNS1_3genE5ELNS1_11target_archE942ELNS1_3gpuE9ELNS1_3repE0EEENS1_30default_config_static_selectorELNS0_4arch9wavefront6targetE1EEEvT1_,@function
_ZN7rocprim17ROCPRIM_400000_NS6detail17trampoline_kernelINS0_14default_configENS1_25partition_config_selectorILNS1_17partition_subalgoE0EtNS0_10empty_typeEbEEZZNS1_14partition_implILS5_0ELb0ES3_jN6thrust23THRUST_200600_302600_NS6detail15normal_iteratorINSA_10device_ptrItEEEEPS6_SG_NS0_5tupleIJNSA_16discard_iteratorINSA_11use_defaultEEESK_EEENSH_IJSG_SG_EEES6_PlJ7is_evenItEEEE10hipError_tPvRmT3_T4_T5_T6_T7_T9_mT8_P12ihipStream_tbDpT10_ENKUlT_T0_E_clISt17integral_constantIbLb0EES18_IbLb1EEEEDaS14_S15_EUlS14_E_NS1_11comp_targetILNS1_3genE5ELNS1_11target_archE942ELNS1_3gpuE9ELNS1_3repE0EEENS1_30default_config_static_selectorELNS0_4arch9wavefront6targetE1EEEvT1_: ; @_ZN7rocprim17ROCPRIM_400000_NS6detail17trampoline_kernelINS0_14default_configENS1_25partition_config_selectorILNS1_17partition_subalgoE0EtNS0_10empty_typeEbEEZZNS1_14partition_implILS5_0ELb0ES3_jN6thrust23THRUST_200600_302600_NS6detail15normal_iteratorINSA_10device_ptrItEEEEPS6_SG_NS0_5tupleIJNSA_16discard_iteratorINSA_11use_defaultEEESK_EEENSH_IJSG_SG_EEES6_PlJ7is_evenItEEEE10hipError_tPvRmT3_T4_T5_T6_T7_T9_mT8_P12ihipStream_tbDpT10_ENKUlT_T0_E_clISt17integral_constantIbLb0EES18_IbLb1EEEEDaS14_S15_EUlS14_E_NS1_11comp_targetILNS1_3genE5ELNS1_11target_archE942ELNS1_3gpuE9ELNS1_3repE0EEENS1_30default_config_static_selectorELNS0_4arch9wavefront6targetE1EEEvT1_
; %bb.0:
	s_load_dwordx2 s[2:3], s[0:1], 0x68
	s_load_dwordx4 s[20:23], s[0:1], 0x58
	s_load_dwordx2 s[24:25], s[0:1], 0x78
	v_cmp_eq_u32_e64 s[18:19], 0, v0
	s_and_saveexec_b64 s[4:5], s[18:19]
	s_cbranch_execz .LBB2516_4
; %bb.1:
	s_mov_b64 s[8:9], exec
	v_mbcnt_lo_u32_b32 v1, s8, 0
	v_mbcnt_hi_u32_b32 v1, s9, v1
	v_cmp_eq_u32_e32 vcc, 0, v1
                                        ; implicit-def: $vgpr2
	s_and_saveexec_b64 s[6:7], vcc
	s_cbranch_execz .LBB2516_3
; %bb.2:
	s_load_dwordx2 s[10:11], s[0:1], 0x88
	s_bcnt1_i32_b64 s8, s[8:9]
	v_mov_b32_e32 v2, 0
	v_mov_b32_e32 v3, s8
	s_waitcnt lgkmcnt(0)
	global_atomic_add v2, v2, v3, s[10:11] sc0
.LBB2516_3:
	s_or_b64 exec, exec, s[6:7]
	s_waitcnt vmcnt(0)
	v_readfirstlane_b32 s6, v2
	v_mov_b32_e32 v2, 0
	s_nop 0
	v_add_u32_e32 v1, s6, v1
	ds_write_b32 v2, v1
.LBB2516_4:
	s_or_b64 exec, exec, s[4:5]
	v_mov_b32_e32 v5, 0
	s_load_dwordx4 s[4:7], s[0:1], 0x8
	s_load_dword s8, s[0:1], 0x80
	s_waitcnt lgkmcnt(0)
	s_barrier
	ds_read_b32 v1, v5
	s_waitcnt lgkmcnt(0)
	s_barrier
	global_load_dwordx2 v[2:3], v5, s[22:23]
	s_lshl_b64 s[0:1], s[6:7], 1
	s_add_u32 s10, s4, s0
	s_movk_i32 s0, 0x3c00
	v_mul_lo_u32 v4, v1, s0
	s_mul_i32 s0, s8, 0x3c00
	s_addc_u32 s11, s5, s1
	s_add_i32 s1, s0, s6
	v_mov_b32_e32 v7, s3
	s_add_i32 s3, s8, -1
	s_sub_i32 s4, s2, s1
	s_add_u32 s0, s6, s0
	v_readfirstlane_b32 s30, v1
	s_addc_u32 s1, s7, 0
	s_cmp_eq_u32 s30, s3
	v_mov_b32_e32 v6, s2
	s_cselect_b64 s[22:23], -1, 0
	s_cmp_lg_u32 s30, s3
	v_cmp_lt_u64_e32 vcc, s[0:1], v[6:7]
	s_cselect_b64 s[0:1], -1, 0
	s_or_b64 s[0:1], vcc, s[0:1]
	v_lshlrev_b64 v[6:7], 1, v[4:5]
	v_lshl_add_u64 v[6:7], s[10:11], 0, v[6:7]
	s_mov_b64 s[2:3], -1
	s_and_b64 vcc, exec, s[0:1]
	v_lshlrev_b32_e32 v4, 1, v0
	s_cbranch_vccz .LBB2516_6
; %bb.5:
	v_lshl_add_u64 v[8:9], v[6:7], 0, v[4:5]
	v_add_co_u32_e32 v10, vcc, 0x1000, v8
	s_mov_b64 s[2:3], 0
	s_nop 0
	v_addc_co_u32_e32 v11, vcc, 0, v9, vcc
	flat_load_ushort v1, v[8:9]
	flat_load_ushort v5, v[8:9] offset:1024
	flat_load_ushort v14, v[8:9] offset:2048
	flat_load_ushort v15, v[8:9] offset:3072
	flat_load_ushort v16, v[10:11]
	flat_load_ushort v17, v[10:11] offset:1024
	flat_load_ushort v18, v[10:11] offset:2048
	flat_load_ushort v19, v[10:11] offset:3072
	v_add_co_u32_e32 v10, vcc, 0x2000, v8
	s_nop 1
	v_addc_co_u32_e32 v11, vcc, 0, v9, vcc
	v_add_co_u32_e32 v12, vcc, 0x3000, v8
	s_nop 1
	v_addc_co_u32_e32 v13, vcc, 0, v9, vcc
	flat_load_ushort v20, v[10:11]
	flat_load_ushort v21, v[10:11] offset:1024
	flat_load_ushort v22, v[10:11] offset:2048
	flat_load_ushort v23, v[10:11] offset:3072
	flat_load_ushort v24, v[12:13]
	flat_load_ushort v25, v[12:13] offset:1024
	flat_load_ushort v26, v[12:13] offset:2048
	flat_load_ushort v27, v[12:13] offset:3072
	v_add_co_u32_e32 v10, vcc, 0x4000, v8
	s_nop 1
	v_addc_co_u32_e32 v11, vcc, 0, v9, vcc
	v_add_co_u32_e32 v12, vcc, 0x5000, v8
	;; [unrolled: 14-line block ×3, first 2 shown]
	s_nop 1
	v_addc_co_u32_e32 v9, vcc, 0, v9, vcc
	flat_load_ushort v12, v[10:11]
	flat_load_ushort v13, v[10:11] offset:1024
	flat_load_ushort v36, v[10:11] offset:2048
	;; [unrolled: 1-line block ×3, first 2 shown]
	flat_load_ushort v38, v[8:9]
	flat_load_ushort v39, v[8:9] offset:1024
	s_waitcnt vmcnt(0) lgkmcnt(0)
	ds_write_b16 v4, v1
	ds_write_b16 v4, v5 offset:1024
	ds_write_b16 v4, v14 offset:2048
	;; [unrolled: 1-line block ×29, first 2 shown]
	s_waitcnt lgkmcnt(0)
	s_barrier
.LBB2516_6:
	s_andn2_b64 vcc, exec, s[2:3]
	s_addk_i32 s4, 0x3c00
	s_cbranch_vccnz .LBB2516_68
; %bb.7:
	v_cmp_gt_u32_e32 vcc, s4, v0
                                        ; implicit-def: $vgpr1
	s_and_saveexec_b64 s[2:3], vcc
	s_cbranch_execz .LBB2516_9
; %bb.8:
	v_mov_b32_e32 v5, 0
	v_lshl_add_u64 v[8:9], v[6:7], 0, v[4:5]
	flat_load_ushort v1, v[8:9]
.LBB2516_9:
	s_or_b64 exec, exec, s[2:3]
	v_or_b32_e32 v5, 0x200, v0
	v_cmp_gt_u32_e32 vcc, s4, v5
                                        ; implicit-def: $vgpr8
	s_and_saveexec_b64 s[2:3], vcc
	s_cbranch_execz .LBB2516_11
; %bb.10:
	v_mov_b32_e32 v5, 0
	v_lshl_add_u64 v[8:9], v[6:7], 0, v[4:5]
	flat_load_ushort v8, v[8:9] offset:1024
.LBB2516_11:
	s_or_b64 exec, exec, s[2:3]
	v_or_b32_e32 v5, 0x400, v0
	v_cmp_gt_u32_e32 vcc, s4, v5
                                        ; implicit-def: $vgpr9
	s_and_saveexec_b64 s[2:3], vcc
	s_cbranch_execz .LBB2516_13
; %bb.12:
	v_mov_b32_e32 v5, 0
	v_lshl_add_u64 v[10:11], v[6:7], 0, v[4:5]
	flat_load_ushort v9, v[10:11] offset:2048
.LBB2516_13:
	s_or_b64 exec, exec, s[2:3]
	v_or_b32_e32 v5, 0x600, v0
	v_cmp_gt_u32_e32 vcc, s4, v5
                                        ; implicit-def: $vgpr5
	s_and_saveexec_b64 s[2:3], vcc
	s_cbranch_execz .LBB2516_15
; %bb.14:
	v_mov_b32_e32 v5, 0
	v_lshl_add_u64 v[10:11], v[6:7], 0, v[4:5]
	flat_load_ushort v5, v[10:11] offset:3072
.LBB2516_15:
	s_or_b64 exec, exec, s[2:3]
	v_or_b32_e32 v11, 0x800, v0
	v_cmp_gt_u32_e32 vcc, s4, v11
                                        ; implicit-def: $vgpr10
	s_and_saveexec_b64 s[2:3], vcc
	s_cbranch_execz .LBB2516_17
; %bb.16:
	v_lshlrev_b32_e32 v10, 1, v11
	v_mov_b32_e32 v11, 0
	v_lshl_add_u64 v[10:11], v[6:7], 0, v[10:11]
	flat_load_ushort v10, v[10:11]
.LBB2516_17:
	s_or_b64 exec, exec, s[2:3]
	v_or_b32_e32 v12, 0xa00, v0
	v_cmp_gt_u32_e32 vcc, s4, v12
                                        ; implicit-def: $vgpr11
	s_and_saveexec_b64 s[2:3], vcc
	s_cbranch_execz .LBB2516_19
; %bb.18:
	v_lshlrev_b32_e32 v12, 1, v12
	v_mov_b32_e32 v13, 0
	v_lshl_add_u64 v[12:13], v[6:7], 0, v[12:13]
	flat_load_ushort v11, v[12:13]
.LBB2516_19:
	s_or_b64 exec, exec, s[2:3]
	v_or_b32_e32 v13, 0xc00, v0
	v_cmp_gt_u32_e32 vcc, s4, v13
                                        ; implicit-def: $vgpr12
	s_and_saveexec_b64 s[2:3], vcc
	s_cbranch_execz .LBB2516_21
; %bb.20:
	v_lshlrev_b32_e32 v12, 1, v13
	v_mov_b32_e32 v13, 0
	v_lshl_add_u64 v[12:13], v[6:7], 0, v[12:13]
	flat_load_ushort v12, v[12:13]
.LBB2516_21:
	s_or_b64 exec, exec, s[2:3]
	v_or_b32_e32 v14, 0xe00, v0
	v_cmp_gt_u32_e32 vcc, s4, v14
                                        ; implicit-def: $vgpr13
	s_and_saveexec_b64 s[2:3], vcc
	s_cbranch_execz .LBB2516_23
; %bb.22:
	v_lshlrev_b32_e32 v14, 1, v14
	v_mov_b32_e32 v15, 0
	v_lshl_add_u64 v[14:15], v[6:7], 0, v[14:15]
	flat_load_ushort v13, v[14:15]
.LBB2516_23:
	s_or_b64 exec, exec, s[2:3]
	v_or_b32_e32 v15, 0x1000, v0
	v_cmp_gt_u32_e32 vcc, s4, v15
                                        ; implicit-def: $vgpr14
	s_and_saveexec_b64 s[2:3], vcc
	s_cbranch_execz .LBB2516_25
; %bb.24:
	v_lshlrev_b32_e32 v14, 1, v15
	v_mov_b32_e32 v15, 0
	v_lshl_add_u64 v[14:15], v[6:7], 0, v[14:15]
	flat_load_ushort v14, v[14:15]
.LBB2516_25:
	s_or_b64 exec, exec, s[2:3]
	v_or_b32_e32 v16, 0x1200, v0
	v_cmp_gt_u32_e32 vcc, s4, v16
                                        ; implicit-def: $vgpr15
	s_and_saveexec_b64 s[2:3], vcc
	s_cbranch_execz .LBB2516_27
; %bb.26:
	v_lshlrev_b32_e32 v16, 1, v16
	v_mov_b32_e32 v17, 0
	v_lshl_add_u64 v[16:17], v[6:7], 0, v[16:17]
	flat_load_ushort v15, v[16:17]
.LBB2516_27:
	s_or_b64 exec, exec, s[2:3]
	v_or_b32_e32 v17, 0x1400, v0
	v_cmp_gt_u32_e32 vcc, s4, v17
                                        ; implicit-def: $vgpr16
	s_and_saveexec_b64 s[2:3], vcc
	s_cbranch_execz .LBB2516_29
; %bb.28:
	v_lshlrev_b32_e32 v16, 1, v17
	v_mov_b32_e32 v17, 0
	v_lshl_add_u64 v[16:17], v[6:7], 0, v[16:17]
	flat_load_ushort v16, v[16:17]
.LBB2516_29:
	s_or_b64 exec, exec, s[2:3]
	v_or_b32_e32 v18, 0x1600, v0
	v_cmp_gt_u32_e32 vcc, s4, v18
                                        ; implicit-def: $vgpr17
	s_and_saveexec_b64 s[2:3], vcc
	s_cbranch_execz .LBB2516_31
; %bb.30:
	v_lshlrev_b32_e32 v18, 1, v18
	v_mov_b32_e32 v19, 0
	v_lshl_add_u64 v[18:19], v[6:7], 0, v[18:19]
	flat_load_ushort v17, v[18:19]
.LBB2516_31:
	s_or_b64 exec, exec, s[2:3]
	v_or_b32_e32 v19, 0x1800, v0
	v_cmp_gt_u32_e32 vcc, s4, v19
                                        ; implicit-def: $vgpr18
	s_and_saveexec_b64 s[2:3], vcc
	s_cbranch_execz .LBB2516_33
; %bb.32:
	v_lshlrev_b32_e32 v18, 1, v19
	v_mov_b32_e32 v19, 0
	v_lshl_add_u64 v[18:19], v[6:7], 0, v[18:19]
	flat_load_ushort v18, v[18:19]
.LBB2516_33:
	s_or_b64 exec, exec, s[2:3]
	v_or_b32_e32 v20, 0x1a00, v0
	v_cmp_gt_u32_e32 vcc, s4, v20
                                        ; implicit-def: $vgpr19
	s_and_saveexec_b64 s[2:3], vcc
	s_cbranch_execz .LBB2516_35
; %bb.34:
	v_lshlrev_b32_e32 v20, 1, v20
	v_mov_b32_e32 v21, 0
	v_lshl_add_u64 v[20:21], v[6:7], 0, v[20:21]
	flat_load_ushort v19, v[20:21]
.LBB2516_35:
	s_or_b64 exec, exec, s[2:3]
	v_or_b32_e32 v21, 0x1c00, v0
	v_cmp_gt_u32_e32 vcc, s4, v21
                                        ; implicit-def: $vgpr20
	s_and_saveexec_b64 s[2:3], vcc
	s_cbranch_execz .LBB2516_37
; %bb.36:
	v_lshlrev_b32_e32 v20, 1, v21
	v_mov_b32_e32 v21, 0
	v_lshl_add_u64 v[20:21], v[6:7], 0, v[20:21]
	flat_load_ushort v20, v[20:21]
.LBB2516_37:
	s_or_b64 exec, exec, s[2:3]
	v_or_b32_e32 v22, 0x1e00, v0
	v_cmp_gt_u32_e32 vcc, s4, v22
                                        ; implicit-def: $vgpr21
	s_and_saveexec_b64 s[2:3], vcc
	s_cbranch_execz .LBB2516_39
; %bb.38:
	v_lshlrev_b32_e32 v22, 1, v22
	v_mov_b32_e32 v23, 0
	v_lshl_add_u64 v[22:23], v[6:7], 0, v[22:23]
	flat_load_ushort v21, v[22:23]
.LBB2516_39:
	s_or_b64 exec, exec, s[2:3]
	v_or_b32_e32 v23, 0x2000, v0
	v_cmp_gt_u32_e32 vcc, s4, v23
                                        ; implicit-def: $vgpr22
	s_and_saveexec_b64 s[2:3], vcc
	s_cbranch_execz .LBB2516_41
; %bb.40:
	v_lshlrev_b32_e32 v22, 1, v23
	v_mov_b32_e32 v23, 0
	v_lshl_add_u64 v[22:23], v[6:7], 0, v[22:23]
	flat_load_ushort v22, v[22:23]
.LBB2516_41:
	s_or_b64 exec, exec, s[2:3]
	v_or_b32_e32 v24, 0x2200, v0
	v_cmp_gt_u32_e32 vcc, s4, v24
                                        ; implicit-def: $vgpr23
	s_and_saveexec_b64 s[2:3], vcc
	s_cbranch_execz .LBB2516_43
; %bb.42:
	v_lshlrev_b32_e32 v24, 1, v24
	v_mov_b32_e32 v25, 0
	v_lshl_add_u64 v[24:25], v[6:7], 0, v[24:25]
	flat_load_ushort v23, v[24:25]
.LBB2516_43:
	s_or_b64 exec, exec, s[2:3]
	v_or_b32_e32 v25, 0x2400, v0
	v_cmp_gt_u32_e32 vcc, s4, v25
                                        ; implicit-def: $vgpr24
	s_and_saveexec_b64 s[2:3], vcc
	s_cbranch_execz .LBB2516_45
; %bb.44:
	v_lshlrev_b32_e32 v24, 1, v25
	v_mov_b32_e32 v25, 0
	v_lshl_add_u64 v[24:25], v[6:7], 0, v[24:25]
	flat_load_ushort v24, v[24:25]
.LBB2516_45:
	s_or_b64 exec, exec, s[2:3]
	v_or_b32_e32 v26, 0x2600, v0
	v_cmp_gt_u32_e32 vcc, s4, v26
                                        ; implicit-def: $vgpr25
	s_and_saveexec_b64 s[2:3], vcc
	s_cbranch_execz .LBB2516_47
; %bb.46:
	v_lshlrev_b32_e32 v26, 1, v26
	v_mov_b32_e32 v27, 0
	v_lshl_add_u64 v[26:27], v[6:7], 0, v[26:27]
	flat_load_ushort v25, v[26:27]
.LBB2516_47:
	s_or_b64 exec, exec, s[2:3]
	v_or_b32_e32 v27, 0x2800, v0
	v_cmp_gt_u32_e32 vcc, s4, v27
                                        ; implicit-def: $vgpr26
	s_and_saveexec_b64 s[2:3], vcc
	s_cbranch_execz .LBB2516_49
; %bb.48:
	v_lshlrev_b32_e32 v26, 1, v27
	v_mov_b32_e32 v27, 0
	v_lshl_add_u64 v[26:27], v[6:7], 0, v[26:27]
	flat_load_ushort v26, v[26:27]
.LBB2516_49:
	s_or_b64 exec, exec, s[2:3]
	v_or_b32_e32 v28, 0x2a00, v0
	v_cmp_gt_u32_e32 vcc, s4, v28
                                        ; implicit-def: $vgpr27
	s_and_saveexec_b64 s[2:3], vcc
	s_cbranch_execz .LBB2516_51
; %bb.50:
	v_lshlrev_b32_e32 v28, 1, v28
	v_mov_b32_e32 v29, 0
	v_lshl_add_u64 v[28:29], v[6:7], 0, v[28:29]
	flat_load_ushort v27, v[28:29]
.LBB2516_51:
	s_or_b64 exec, exec, s[2:3]
	v_or_b32_e32 v29, 0x2c00, v0
	v_cmp_gt_u32_e32 vcc, s4, v29
                                        ; implicit-def: $vgpr28
	s_and_saveexec_b64 s[2:3], vcc
	s_cbranch_execz .LBB2516_53
; %bb.52:
	v_lshlrev_b32_e32 v28, 1, v29
	v_mov_b32_e32 v29, 0
	v_lshl_add_u64 v[28:29], v[6:7], 0, v[28:29]
	flat_load_ushort v28, v[28:29]
.LBB2516_53:
	s_or_b64 exec, exec, s[2:3]
	v_or_b32_e32 v30, 0x2e00, v0
	v_cmp_gt_u32_e32 vcc, s4, v30
                                        ; implicit-def: $vgpr29
	s_and_saveexec_b64 s[2:3], vcc
	s_cbranch_execz .LBB2516_55
; %bb.54:
	v_lshlrev_b32_e32 v30, 1, v30
	v_mov_b32_e32 v31, 0
	v_lshl_add_u64 v[30:31], v[6:7], 0, v[30:31]
	flat_load_ushort v29, v[30:31]
.LBB2516_55:
	s_or_b64 exec, exec, s[2:3]
	v_or_b32_e32 v31, 0x3000, v0
	v_cmp_gt_u32_e32 vcc, s4, v31
                                        ; implicit-def: $vgpr30
	s_and_saveexec_b64 s[2:3], vcc
	s_cbranch_execz .LBB2516_57
; %bb.56:
	v_lshlrev_b32_e32 v30, 1, v31
	v_mov_b32_e32 v31, 0
	v_lshl_add_u64 v[30:31], v[6:7], 0, v[30:31]
	flat_load_ushort v30, v[30:31]
.LBB2516_57:
	s_or_b64 exec, exec, s[2:3]
	v_or_b32_e32 v32, 0x3200, v0
	v_cmp_gt_u32_e32 vcc, s4, v32
                                        ; implicit-def: $vgpr31
	s_and_saveexec_b64 s[2:3], vcc
	s_cbranch_execz .LBB2516_59
; %bb.58:
	v_lshlrev_b32_e32 v32, 1, v32
	v_mov_b32_e32 v33, 0
	v_lshl_add_u64 v[32:33], v[6:7], 0, v[32:33]
	flat_load_ushort v31, v[32:33]
.LBB2516_59:
	s_or_b64 exec, exec, s[2:3]
	v_or_b32_e32 v33, 0x3400, v0
	v_cmp_gt_u32_e32 vcc, s4, v33
                                        ; implicit-def: $vgpr32
	s_and_saveexec_b64 s[2:3], vcc
	s_cbranch_execz .LBB2516_61
; %bb.60:
	v_lshlrev_b32_e32 v32, 1, v33
	v_mov_b32_e32 v33, 0
	v_lshl_add_u64 v[32:33], v[6:7], 0, v[32:33]
	flat_load_ushort v32, v[32:33]
.LBB2516_61:
	s_or_b64 exec, exec, s[2:3]
	v_or_b32_e32 v34, 0x3600, v0
	v_cmp_gt_u32_e32 vcc, s4, v34
                                        ; implicit-def: $vgpr33
	s_and_saveexec_b64 s[2:3], vcc
	s_cbranch_execz .LBB2516_63
; %bb.62:
	v_lshlrev_b32_e32 v34, 1, v34
	v_mov_b32_e32 v35, 0
	v_lshl_add_u64 v[34:35], v[6:7], 0, v[34:35]
	flat_load_ushort v33, v[34:35]
.LBB2516_63:
	s_or_b64 exec, exec, s[2:3]
	v_or_b32_e32 v35, 0x3800, v0
	v_cmp_gt_u32_e32 vcc, s4, v35
                                        ; implicit-def: $vgpr34
	s_and_saveexec_b64 s[2:3], vcc
	s_cbranch_execz .LBB2516_65
; %bb.64:
	v_lshlrev_b32_e32 v34, 1, v35
	v_mov_b32_e32 v35, 0
	v_lshl_add_u64 v[34:35], v[6:7], 0, v[34:35]
	flat_load_ushort v34, v[34:35]
.LBB2516_65:
	s_or_b64 exec, exec, s[2:3]
	v_or_b32_e32 v36, 0x3a00, v0
	v_cmp_gt_u32_e32 vcc, s4, v36
                                        ; implicit-def: $vgpr35
	s_and_saveexec_b64 s[2:3], vcc
	s_cbranch_execz .LBB2516_67
; %bb.66:
	v_lshlrev_b32_e32 v36, 1, v36
	v_mov_b32_e32 v37, 0
	v_lshl_add_u64 v[6:7], v[6:7], 0, v[36:37]
	flat_load_ushort v35, v[6:7]
.LBB2516_67:
	s_or_b64 exec, exec, s[2:3]
	s_waitcnt vmcnt(0) lgkmcnt(0)
	ds_write_b16 v4, v1
	ds_write_b16 v4, v8 offset:1024
	ds_write_b16 v4, v9 offset:2048
	;; [unrolled: 1-line block ×29, first 2 shown]
	s_waitcnt lgkmcnt(0)
	s_barrier
.LBB2516_68:
	v_mul_u32_u24_e32 v41, 30, v0
	v_lshlrev_b32_e32 v10, 1, v41
	ds_read_b32 v28, v10 offset:56
	ds_read2_b32 v[4:5], v10 offset0:12 offset1:13
	ds_read2_b32 v[6:7], v10 offset0:10 offset1:11
	ds_read2_b32 v[8:9], v10 offset0:8 offset1:9
	ds_read2_b32 v[16:17], v10 offset1:1
	ds_read2_b32 v[14:15], v10 offset0:2 offset1:3
	ds_read2_b32 v[12:13], v10 offset0:4 offset1:5
	;; [unrolled: 1-line block ×3, first 2 shown]
	s_waitcnt lgkmcnt(7)
	v_lshrrev_b32_e32 v1, 16, v28
	s_waitcnt lgkmcnt(6)
	v_lshrrev_b32_e32 v30, 16, v4
	v_lshrrev_b32_e32 v29, 16, v5
	s_waitcnt lgkmcnt(5)
	v_lshrrev_b32_e32 v32, 16, v6
	;; [unrolled: 3-line block ×6, first 2 shown]
	v_lshrrev_b32_e32 v35, 16, v11
	v_lshrrev_b32_e32 v34, 16, v8
	;; [unrolled: 1-line block ×3, first 2 shown]
	s_andn2_b64 vcc, exec, s[0:1]
	v_xor_b32_e32 v93, -1, v16
	v_xor_b32_e32 v92, -1, v43
	;; [unrolled: 1-line block ×30, first 2 shown]
	s_barrier
	s_cbranch_vccnz .LBB2516_70
; %bb.69:
	v_and_b32_e32 v73, 1, v93
	v_and_b32_e32 v72, 1, v92
	;; [unrolled: 1-line block ×30, first 2 shown]
	s_cbranch_execz .LBB2516_71
	s_branch .LBB2516_72
.LBB2516_70:
                                        ; implicit-def: $vgpr73
                                        ; implicit-def: $vgpr72
                                        ; implicit-def: $vgpr71
                                        ; implicit-def: $vgpr70
                                        ; implicit-def: $vgpr69
                                        ; implicit-def: $vgpr68
                                        ; implicit-def: $vgpr67
                                        ; implicit-def: $vgpr66
                                        ; implicit-def: $vgpr65
                                        ; implicit-def: $vgpr64
                                        ; implicit-def: $vgpr63
                                        ; implicit-def: $vgpr62
                                        ; implicit-def: $vgpr61
                                        ; implicit-def: $vgpr60
                                        ; implicit-def: $vgpr59
                                        ; implicit-def: $vgpr58
                                        ; implicit-def: $vgpr57
                                        ; implicit-def: $vgpr56
                                        ; implicit-def: $vgpr55
                                        ; implicit-def: $vgpr54
                                        ; implicit-def: $vgpr53
                                        ; implicit-def: $vgpr52
                                        ; implicit-def: $vgpr51
                                        ; implicit-def: $vgpr50
                                        ; implicit-def: $vgpr49
                                        ; implicit-def: $vgpr48
                                        ; implicit-def: $vgpr47
                                        ; implicit-def: $vgpr46
                                        ; implicit-def: $vgpr44
                                        ; implicit-def: $vgpr45
.LBB2516_71:
	v_or_b32_e32 v53, 1, v41
	v_cmp_gt_u32_e32 vcc, s4, v41
	v_add_u32_e32 v54, 2, v41
	v_add_u32_e32 v55, 3, v41
	v_cndmask_b32_e64 v63, 0, 1, vcc
	v_cmp_gt_u32_e32 vcc, s4, v53
	v_add_u32_e32 v56, 4, v41
	v_add_u32_e32 v57, 5, v41
	v_cndmask_b32_e64 v53, 0, 1, vcc
	v_cmp_gt_u32_e32 vcc, s4, v54
	v_and_b32_e32 v72, v53, v92
	v_add_u32_e32 v58, 6, v41
	v_cndmask_b32_e64 v53, 0, 1, vcc
	v_cmp_gt_u32_e32 vcc, s4, v55
	v_and_b32_e32 v71, v53, v91
	;; [unrolled: 4-line block ×9, first 2 shown]
	v_and_b32_e32 v73, v63, v93
	v_cndmask_b32_e64 v53, 0, 1, vcc
	v_cmp_gt_u32_e32 vcc, s4, v94
	v_and_b32_e32 v63, v53, v83
	v_add_u32_e32 v97, 14, v41
	v_cndmask_b32_e64 v53, 0, 1, vcc
	v_cmp_gt_u32_e32 vcc, s4, v95
	v_and_b32_e32 v62, v53, v82
	v_add_u32_e32 v98, 15, v41
	;; [unrolled: 4-line block ×16, first 2 shown]
	v_cndmask_b32_e64 v22, 0, 1, vcc
	v_cmp_gt_u32_e32 vcc, s4, v46
	v_and_b32_e32 v47, v22, v21
	s_nop 0
	v_cndmask_b32_e64 v21, 0, 1, vcc
	v_cmp_gt_u32_e32 vcc, s4, v44
	v_and_b32_e32 v46, v21, v20
	s_nop 0
	;; [unrolled: 4-line block ×3, first 2 shown]
	v_cndmask_b32_e64 v19, 0, 1, vcc
	v_and_b32_e32 v45, v19, v18
.LBB2516_72:
	v_and_b32_e32 v100, 0xff, v47
	v_and_b32_e32 v101, 0xff, v46
	v_add_u32_sdwa v18, v44, v45 dst_sel:DWORD dst_unused:UNUSED_PAD src0_sel:BYTE_0 src1_sel:BYTE_0
	v_and_b32_e32 v98, 0xff, v49
	v_and_b32_e32 v99, 0xff, v48
	v_add3_u32 v18, v18, v101, v100
	v_and_b32_e32 v96, 0xff, v51
	v_and_b32_e32 v97, 0xff, v50
	v_add3_u32 v18, v18, v99, v98
	;; [unrolled: 3-line block ×13, first 2 shown]
	v_add3_u32 v104, v18, v75, v74
	v_mbcnt_lo_u32_b32 v18, -1, 0
	v_mbcnt_hi_u32_b32 v102, -1, v18
	v_and_b32_e32 v18, 15, v102
	v_cmp_eq_u32_e64 s[14:15], 0, v18
	v_cmp_lt_u32_e64 s[12:13], 1, v18
	v_cmp_lt_u32_e64 s[10:11], 3, v18
	v_cmp_lt_u32_e64 s[8:9], 7, v18
	v_and_b32_e32 v18, 16, v102
	v_cmp_eq_u32_e64 s[6:7], 0, v18
	v_or_b32_e32 v18, 63, v0
	s_cmp_lg_u32 s30, 0
	v_cmp_lt_u32_e64 s[2:3], 31, v102
	v_lshrrev_b32_e32 v103, 6, v0
	v_cmp_eq_u32_e64 s[4:5], v18, v0
	s_cbranch_scc0 .LBB2516_99
; %bb.73:
	v_mov_b32_dpp v18, v104 row_shr:1 row_mask:0xf bank_mask:0xf
	v_cndmask_b32_e64 v18, v18, 0, s[14:15]
	v_add_u32_e32 v18, v18, v104
	s_nop 1
	v_mov_b32_dpp v19, v18 row_shr:2 row_mask:0xf bank_mask:0xf
	v_cndmask_b32_e64 v19, 0, v19, s[12:13]
	v_add_u32_e32 v18, v18, v19
	s_nop 1
	;; [unrolled: 4-line block ×4, first 2 shown]
	v_mov_b32_dpp v19, v18 row_bcast:15 row_mask:0xf bank_mask:0xf
	v_cndmask_b32_e64 v19, v19, 0, s[6:7]
	v_add_u32_e32 v18, v18, v19
	s_nop 1
	v_mov_b32_dpp v19, v18 row_bcast:31 row_mask:0xf bank_mask:0xf
	v_cndmask_b32_e64 v19, 0, v19, s[2:3]
	v_add_u32_e32 v18, v18, v19
	s_and_saveexec_b64 s[0:1], s[4:5]
	s_cbranch_execz .LBB2516_75
; %bb.74:
	v_lshlrev_b32_e32 v19, 2, v103
	ds_write_b32 v19, v18
.LBB2516_75:
	s_or_b64 exec, exec, s[0:1]
	v_cmp_gt_u32_e32 vcc, 8, v0
	s_waitcnt lgkmcnt(0)
	s_barrier
	s_and_saveexec_b64 s[0:1], vcc
	s_cbranch_execz .LBB2516_77
; %bb.76:
	v_lshlrev_b32_e32 v19, 2, v0
	ds_read_b32 v20, v19
	v_and_b32_e32 v21, 7, v102
	v_cmp_ne_u32_e32 vcc, 0, v21
	s_waitcnt lgkmcnt(0)
	v_mov_b32_dpp v22, v20 row_shr:1 row_mask:0xf bank_mask:0xf
	v_cndmask_b32_e32 v22, 0, v22, vcc
	v_add_u32_e32 v20, v22, v20
	v_cmp_lt_u32_e32 vcc, 1, v21
	s_nop 0
	v_mov_b32_dpp v22, v20 row_shr:2 row_mask:0xf bank_mask:0xf
	v_cndmask_b32_e32 v22, 0, v22, vcc
	v_add_u32_e32 v20, v20, v22
	v_cmp_lt_u32_e32 vcc, 3, v21
	s_nop 0
	v_mov_b32_dpp v22, v20 row_shr:4 row_mask:0xf bank_mask:0xf
	v_cndmask_b32_e32 v21, 0, v22, vcc
	v_add_u32_e32 v20, v20, v21
	ds_write_b32 v19, v20
.LBB2516_77:
	s_or_b64 exec, exec, s[0:1]
	v_cmp_gt_u32_e32 vcc, 64, v0
	v_cmp_lt_u32_e64 s[0:1], 63, v0
	s_waitcnt lgkmcnt(0)
	s_barrier
	s_waitcnt lgkmcnt(0)
                                        ; implicit-def: $vgpr105
	s_and_saveexec_b64 s[16:17], s[0:1]
	s_cbranch_execz .LBB2516_79
; %bb.78:
	v_lshl_add_u32 v19, v103, 2, -4
	ds_read_b32 v105, v19
	s_waitcnt lgkmcnt(0)
	v_add_u32_e32 v18, v105, v18
.LBB2516_79:
	s_or_b64 exec, exec, s[16:17]
	v_add_u32_e32 v19, -1, v102
	v_and_b32_e32 v20, 64, v102
	v_cmp_lt_i32_e64 s[0:1], v19, v20
	v_cmp_eq_u32_e64 s[16:17], 0, v102
	s_nop 0
	v_cndmask_b32_e64 v19, v19, v102, s[0:1]
	v_lshlrev_b32_e32 v19, 2, v19
	ds_bpermute_b32 v106, v19, v18
	s_and_saveexec_b64 s[0:1], vcc
	s_cbranch_execz .LBB2516_98
; %bb.80:
	v_mov_b32_e32 v25, 0
	ds_read_b32 v18, v25 offset:28
	s_and_saveexec_b64 s[26:27], s[16:17]
	s_cbranch_execz .LBB2516_82
; %bb.81:
	s_add_i32 s28, s30, 64
	s_mov_b32 s29, 0
	s_lshl_b64 s[28:29], s[28:29], 3
	s_add_u32 s28, s24, s28
	v_mov_b32_e32 v19, 1
	s_addc_u32 s29, s25, s29
	s_waitcnt lgkmcnt(0)
	global_store_dwordx2 v25, v[18:19], s[28:29] sc1
.LBB2516_82:
	s_or_b64 exec, exec, s[26:27]
	v_xad_u32 v20, v102, -1, s30
	v_add_u32_e32 v24, 64, v20
	v_lshl_add_u64 v[26:27], v[24:25], 3, s[24:25]
	global_load_dwordx2 v[22:23], v[26:27], off sc1
	s_waitcnt vmcnt(0)
	v_cmp_eq_u16_sdwa s[28:29], v23, v25 src0_sel:BYTE_0 src1_sel:DWORD
	s_and_saveexec_b64 s[26:27], s[28:29]
	s_cbranch_execz .LBB2516_86
; %bb.83:
	s_mov_b64 s[28:29], 0
	v_mov_b32_e32 v19, 0
.LBB2516_84:                            ; =>This Inner Loop Header: Depth=1
	global_load_dwordx2 v[22:23], v[26:27], off sc1
	s_waitcnt vmcnt(0)
	v_cmp_ne_u16_sdwa s[34:35], v23, v19 src0_sel:BYTE_0 src1_sel:DWORD
	s_or_b64 s[28:29], s[34:35], s[28:29]
	s_andn2_b64 exec, exec, s[28:29]
	s_cbranch_execnz .LBB2516_84
; %bb.85:
	s_or_b64 exec, exec, s[28:29]
.LBB2516_86:
	s_or_b64 exec, exec, s[26:27]
	v_and_b32_e32 v108, 63, v102
	v_mov_b32_e32 v107, 2
	v_cmp_ne_u32_e32 vcc, 63, v108
	v_cmp_eq_u16_sdwa s[26:27], v23, v107 src0_sel:BYTE_0 src1_sel:DWORD
	v_lshlrev_b64 v[24:25], v102, -1
	v_addc_co_u32_e32 v26, vcc, 0, v102, vcc
	v_and_b32_e32 v19, s27, v25
	v_lshlrev_b32_e32 v109, 2, v26
	v_or_b32_e32 v19, 0x80000000, v19
	ds_bpermute_b32 v26, v109, v22
	v_and_b32_e32 v21, s26, v24
	v_ffbl_b32_e32 v19, v19
	v_add_u32_e32 v19, 32, v19
	v_ffbl_b32_e32 v21, v21
	v_min_u32_e32 v19, v21, v19
	v_cmp_lt_u32_e32 vcc, v108, v19
	v_add_u32_e32 v111, 2, v108
	v_add_u32_e32 v113, 4, v108
	s_waitcnt lgkmcnt(0)
	v_cndmask_b32_e32 v21, 0, v26, vcc
	v_cmp_gt_u32_e32 vcc, 62, v108
	v_add_u32_e32 v21, v21, v22
	v_add_u32_e32 v115, 8, v108
	v_cndmask_b32_e64 v22, 0, 1, vcc
	v_lshlrev_b32_e32 v22, 1, v22
	v_add_lshl_u32 v110, v22, v102, 2
	ds_bpermute_b32 v22, v110, v21
	v_cmp_le_u32_e32 vcc, v111, v19
	v_add_u32_e32 v117, 16, v108
	v_add_u32_e32 v119, 32, v108
	s_waitcnt lgkmcnt(0)
	v_cndmask_b32_e32 v22, 0, v22, vcc
	v_cmp_gt_u32_e32 vcc, 60, v108
	v_add_u32_e32 v21, v21, v22
	s_nop 0
	v_cndmask_b32_e64 v22, 0, 1, vcc
	v_lshlrev_b32_e32 v22, 2, v22
	v_add_lshl_u32 v112, v22, v102, 2
	ds_bpermute_b32 v22, v112, v21
	v_cmp_le_u32_e32 vcc, v113, v19
	s_waitcnt lgkmcnt(0)
	s_nop 0
	v_cndmask_b32_e32 v22, 0, v22, vcc
	v_cmp_gt_u32_e32 vcc, 56, v108
	v_add_u32_e32 v21, v21, v22
	s_nop 0
	v_cndmask_b32_e64 v22, 0, 1, vcc
	v_lshlrev_b32_e32 v22, 3, v22
	v_add_lshl_u32 v114, v22, v102, 2
	ds_bpermute_b32 v22, v114, v21
	v_cmp_le_u32_e32 vcc, v115, v19
	s_waitcnt lgkmcnt(0)
	s_nop 0
	;; [unrolled: 11-line block ×4, first 2 shown]
	v_cndmask_b32_e32 v19, 0, v22, vcc
	v_add_u32_e32 v22, v21, v19
	v_mov_b32_e32 v21, 0
	s_branch .LBB2516_88
.LBB2516_87:                            ;   in Loop: Header=BB2516_88 Depth=1
	s_or_b64 exec, exec, s[26:27]
	v_cmp_eq_u16_sdwa s[26:27], v23, v107 src0_sel:BYTE_0 src1_sel:DWORD
	ds_bpermute_b32 v120, v109, v22
	v_subrev_u32_e32 v20, 64, v20
	v_and_b32_e32 v26, s27, v25
	v_or_b32_e32 v26, 0x80000000, v26
	v_and_b32_e32 v27, s26, v24
	v_ffbl_b32_e32 v26, v26
	v_add_u32_e32 v26, 32, v26
	v_ffbl_b32_e32 v27, v27
	v_min_u32_e32 v26, v27, v26
	v_cmp_lt_u32_e32 vcc, v108, v26
	s_waitcnt lgkmcnt(0)
	s_nop 0
	v_cndmask_b32_e32 v27, 0, v120, vcc
	v_add_u32_e32 v22, v27, v22
	ds_bpermute_b32 v27, v110, v22
	v_cmp_le_u32_e32 vcc, v111, v26
	s_waitcnt lgkmcnt(0)
	s_nop 0
	v_cndmask_b32_e32 v27, 0, v27, vcc
	v_add_u32_e32 v22, v22, v27
	ds_bpermute_b32 v27, v112, v22
	v_cmp_le_u32_e32 vcc, v113, v26
	;; [unrolled: 6-line block ×5, first 2 shown]
	s_waitcnt lgkmcnt(0)
	s_nop 0
	v_cndmask_b32_e32 v26, 0, v27, vcc
	v_add3_u32 v22, v26, v19, v22
.LBB2516_88:                            ; =>This Loop Header: Depth=1
                                        ;     Child Loop BB2516_91 Depth 2
	v_cmp_ne_u16_sdwa s[26:27], v23, v107 src0_sel:BYTE_0 src1_sel:DWORD
	s_nop 1
	v_cndmask_b32_e64 v19, 0, 1, s[26:27]
	;;#ASMSTART
	;;#ASMEND
	s_nop 0
	v_cmp_ne_u32_e32 vcc, 0, v19
	s_cmp_lg_u64 vcc, exec
	v_mov_b32_e32 v19, v22
	s_cbranch_scc1 .LBB2516_93
; %bb.89:                               ;   in Loop: Header=BB2516_88 Depth=1
	v_lshl_add_u64 v[26:27], v[20:21], 3, s[24:25]
	global_load_dwordx2 v[22:23], v[26:27], off sc1
	s_waitcnt vmcnt(0)
	v_cmp_eq_u16_sdwa s[28:29], v23, v21 src0_sel:BYTE_0 src1_sel:DWORD
	s_and_saveexec_b64 s[26:27], s[28:29]
	s_cbranch_execz .LBB2516_87
; %bb.90:                               ;   in Loop: Header=BB2516_88 Depth=1
	s_mov_b64 s[28:29], 0
.LBB2516_91:                            ;   Parent Loop BB2516_88 Depth=1
                                        ; =>  This Inner Loop Header: Depth=2
	global_load_dwordx2 v[22:23], v[26:27], off sc1
	s_waitcnt vmcnt(0)
	v_cmp_ne_u16_sdwa s[34:35], v23, v21 src0_sel:BYTE_0 src1_sel:DWORD
	s_or_b64 s[28:29], s[34:35], s[28:29]
	s_andn2_b64 exec, exec, s[28:29]
	s_cbranch_execnz .LBB2516_91
; %bb.92:                               ;   in Loop: Header=BB2516_88 Depth=1
	s_or_b64 exec, exec, s[28:29]
	s_branch .LBB2516_87
.LBB2516_93:                            ;   in Loop: Header=BB2516_88 Depth=1
                                        ; implicit-def: $vgpr22
                                        ; implicit-def: $vgpr23
	s_cbranch_execz .LBB2516_88
; %bb.94:
	s_and_saveexec_b64 s[26:27], s[16:17]
	s_cbranch_execz .LBB2516_96
; %bb.95:
	s_add_i32 s28, s30, 64
	s_mov_b32 s29, 0
	s_lshl_b64 s[28:29], s[28:29], 3
	s_add_u32 s28, s24, s28
	v_add_u32_e32 v20, v19, v18
	v_mov_b32_e32 v21, 2
	s_addc_u32 s29, s25, s29
	v_mov_b32_e32 v22, 0
	global_store_dwordx2 v22, v[20:21], s[28:29] sc1
	ds_write_b64 v22, v[18:19] offset:30720
.LBB2516_96:
	s_or_b64 exec, exec, s[26:27]
	s_and_b64 exec, exec, s[18:19]
	s_cbranch_execz .LBB2516_98
; %bb.97:
	v_mov_b32_e32 v18, 0
	ds_write_b32 v18, v19 offset:28
.LBB2516_98:
	s_or_b64 exec, exec, s[0:1]
	v_mov_b32_e32 v18, 0
	s_waitcnt lgkmcnt(0)
	s_barrier
	ds_read_b32 v20, v18 offset:28
	s_waitcnt lgkmcnt(0)
	s_barrier
	ds_read_b64 v[18:19], v18 offset:30720
	v_cndmask_b32_e64 v21, v106, v105, s[16:17]
	v_cndmask_b32_e64 v21, v21, 0, s[18:19]
	v_add_u32_e32 v20, v20, v21
	s_branch .LBB2516_109
.LBB2516_99:
                                        ; implicit-def: $vgpr19
                                        ; implicit-def: $vgpr20
	s_cbranch_execz .LBB2516_109
; %bb.100:
	s_waitcnt lgkmcnt(0)
	v_mov_b32_dpp v18, v104 row_shr:1 row_mask:0xf bank_mask:0xf
	v_cndmask_b32_e64 v18, v18, 0, s[14:15]
	v_add_u32_e32 v18, v18, v104
	s_nop 1
	v_mov_b32_dpp v19, v18 row_shr:2 row_mask:0xf bank_mask:0xf
	v_cndmask_b32_e64 v19, 0, v19, s[12:13]
	v_add_u32_e32 v18, v18, v19
	s_nop 1
	;; [unrolled: 4-line block ×4, first 2 shown]
	v_mov_b32_dpp v19, v18 row_bcast:15 row_mask:0xf bank_mask:0xf
	v_cndmask_b32_e64 v19, v19, 0, s[6:7]
	v_add_u32_e32 v18, v18, v19
	s_nop 1
	v_mov_b32_dpp v19, v18 row_bcast:31 row_mask:0xf bank_mask:0xf
	v_cndmask_b32_e64 v19, 0, v19, s[2:3]
	v_add_u32_e32 v18, v18, v19
	s_and_saveexec_b64 s[0:1], s[4:5]
	s_cbranch_execz .LBB2516_102
; %bb.101:
	v_lshlrev_b32_e32 v19, 2, v103
	ds_write_b32 v19, v18
.LBB2516_102:
	s_or_b64 exec, exec, s[0:1]
	v_cmp_gt_u32_e32 vcc, 8, v0
	s_waitcnt lgkmcnt(0)
	s_barrier
	s_and_saveexec_b64 s[0:1], vcc
	s_cbranch_execz .LBB2516_104
; %bb.103:
	v_lshlrev_b32_e32 v19, 2, v0
	ds_read_b32 v20, v19
	v_and_b32_e32 v21, 7, v102
	v_cmp_ne_u32_e32 vcc, 0, v21
	s_waitcnt lgkmcnt(0)
	v_mov_b32_dpp v22, v20 row_shr:1 row_mask:0xf bank_mask:0xf
	v_cndmask_b32_e32 v22, 0, v22, vcc
	v_add_u32_e32 v20, v22, v20
	v_cmp_lt_u32_e32 vcc, 1, v21
	s_nop 0
	v_mov_b32_dpp v22, v20 row_shr:2 row_mask:0xf bank_mask:0xf
	v_cndmask_b32_e32 v22, 0, v22, vcc
	v_add_u32_e32 v20, v20, v22
	v_cmp_lt_u32_e32 vcc, 3, v21
	s_nop 0
	v_mov_b32_dpp v22, v20 row_shr:4 row_mask:0xf bank_mask:0xf
	v_cndmask_b32_e32 v21, 0, v22, vcc
	v_add_u32_e32 v20, v20, v21
	ds_write_b32 v19, v20
.LBB2516_104:
	s_or_b64 exec, exec, s[0:1]
	v_cmp_lt_u32_e32 vcc, 63, v0
	v_mov_b32_e32 v19, 0
	v_mov_b32_e32 v0, 0
	s_waitcnt lgkmcnt(0)
	s_barrier
	s_and_saveexec_b64 s[0:1], vcc
	s_cbranch_execz .LBB2516_106
; %bb.105:
	v_lshl_add_u32 v0, v103, 2, -4
	ds_read_b32 v0, v0
.LBB2516_106:
	s_or_b64 exec, exec, s[0:1]
	v_add_u32_e32 v20, -1, v102
	v_and_b32_e32 v21, 64, v102
	v_cmp_lt_i32_e32 vcc, v20, v21
	s_waitcnt lgkmcnt(0)
	v_add_u32_e32 v18, v0, v18
	v_cndmask_b32_e32 v20, v20, v102, vcc
	v_lshlrev_b32_e32 v20, 2, v20
	ds_bpermute_b32 v20, v20, v18
	ds_read_b32 v18, v19 offset:28
	s_and_saveexec_b64 s[0:1], s[18:19]
	s_cbranch_execz .LBB2516_108
; %bb.107:
	v_mov_b32_e32 v21, 0
	v_mov_b32_e32 v19, 2
	s_waitcnt lgkmcnt(0)
	global_store_dwordx2 v21, v[18:19], s[24:25] offset:512 sc1
.LBB2516_108:
	s_or_b64 exec, exec, s[0:1]
	v_cmp_eq_u32_e32 vcc, 0, v102
	v_mov_b32_e32 v19, 0
	s_waitcnt lgkmcnt(0)
	v_cndmask_b32_e32 v0, v20, v0, vcc
	v_cndmask_b32_e64 v20, v0, 0, s[18:19]
	s_barrier
.LBB2516_109:
	v_add_u32_e32 v0, v20, v74
	v_add_u32_e32 v21, v0, v75
	;; [unrolled: 1-line block ×20, first 2 shown]
	s_waitcnt lgkmcnt(0)
	v_add_u32_e32 v41, v18, v41
	v_sub_u32_e32 v20, v20, v19
	v_and_b32_e32 v73, 1, v73
	v_add_u32_e32 v86, v85, v94
	v_sub_u32_e32 v94, v41, v20
	v_cmp_eq_u32_e32 vcc, 1, v73
	v_sub_u32_e32 v0, v0, v19
	v_add_u32_e32 v87, v86, v95
	v_cndmask_b32_e32 v20, v94, v20, vcc
	v_lshlrev_b32_e32 v20, 1, v20
	ds_write_b16 v20, v16
	v_sub_u32_e32 v16, v41, v0
	v_and_b32_e32 v20, 1, v72
	v_add_u32_e32 v16, 1, v16
	v_cmp_eq_u32_e32 vcc, 1, v20
	v_and_b32_e32 v20, 1, v71
	v_add_u32_e32 v88, v87, v96
	v_cndmask_b32_e32 v0, v16, v0, vcc
	v_lshlrev_b32_e32 v0, 1, v0
	ds_write_b16 v0, v43
	v_sub_u32_e32 v0, v21, v19
	v_sub_u32_e32 v16, v41, v0
	v_add_u32_e32 v16, 2, v16
	v_cmp_eq_u32_e32 vcc, 1, v20
	v_add_u32_e32 v89, v88, v97
	v_add_u32_e32 v90, v89, v98
	v_cndmask_b32_e32 v0, v16, v0, vcc
	v_lshlrev_b32_e32 v0, 1, v0
	ds_write_b16 v0, v17
	v_sub_u32_e32 v0, v22, v19
	v_sub_u32_e32 v16, v41, v0
	v_and_b32_e32 v17, 1, v70
	v_add_u32_e32 v16, 3, v16
	v_cmp_eq_u32_e32 vcc, 1, v17
	v_and_b32_e32 v17, 1, v69
	v_add_u32_e32 v91, v90, v99
	v_cndmask_b32_e32 v0, v16, v0, vcc
	v_lshlrev_b32_e32 v0, 1, v0
	ds_write_b16 v0, v42
	v_sub_u32_e32 v0, v23, v19
	v_sub_u32_e32 v16, v41, v0
	v_add_u32_e32 v16, 4, v16
	v_cmp_eq_u32_e32 vcc, 1, v17
	v_add_u32_e32 v92, v91, v100
	v_add_u32_e32 v93, v92, v101
	v_cndmask_b32_e32 v0, v16, v0, vcc
	v_lshlrev_b32_e32 v0, 1, v0
	ds_write_b16 v0, v14
	v_sub_u32_e32 v0, v24, v19
	v_sub_u32_e32 v14, v41, v0
	v_and_b32_e32 v16, 1, v68
	v_add_u32_e32 v14, 5, v14
	v_cmp_eq_u32_e32 vcc, 1, v16
	v_and_b32_e32 v16, 1, v67
	s_and_b64 s[0:1], s[18:19], s[22:23]
	v_cndmask_b32_e32 v0, v14, v0, vcc
	v_lshlrev_b32_e32 v0, 1, v0
	ds_write_b16 v0, v40
	v_sub_u32_e32 v0, v25, v19
	v_sub_u32_e32 v14, v41, v0
	v_add_u32_e32 v14, 6, v14
	v_cmp_eq_u32_e32 vcc, 1, v16
	s_nop 1
	v_cndmask_b32_e32 v0, v14, v0, vcc
	v_lshlrev_b32_e32 v0, 1, v0
	ds_write_b16 v0, v15
	v_sub_u32_e32 v0, v26, v19
	v_sub_u32_e32 v14, v41, v0
	v_and_b32_e32 v15, 1, v66
	v_add_u32_e32 v14, 7, v14
	v_cmp_eq_u32_e32 vcc, 1, v15
	v_and_b32_e32 v15, 1, v65
	s_nop 0
	v_cndmask_b32_e32 v0, v14, v0, vcc
	v_lshlrev_b32_e32 v0, 1, v0
	ds_write_b16 v0, v39
	v_sub_u32_e32 v0, v27, v19
	v_sub_u32_e32 v14, v41, v0
	v_add_u32_e32 v14, 8, v14
	v_cmp_eq_u32_e32 vcc, 1, v15
	s_nop 1
	v_cndmask_b32_e32 v0, v14, v0, vcc
	v_lshlrev_b32_e32 v0, 1, v0
	ds_write_b16 v0, v12
	v_sub_u32_e32 v0, v74, v19
	v_sub_u32_e32 v12, v41, v0
	v_and_b32_e32 v14, 1, v64
	v_add_u32_e32 v12, 9, v12
	v_cmp_eq_u32_e32 vcc, 1, v14
	v_and_b32_e32 v14, 1, v63
	s_nop 0
	;; [unrolled: 18-line block ×11, first 2 shown]
	v_cndmask_b32_e32 v0, v4, v0, vcc
	v_lshlrev_b32_e32 v0, 1, v0
	ds_write_b16 v0, v29
	v_sub_u32_e32 v0, v93, v19
	v_sub_u32_e32 v4, v41, v0
	v_add_u32_e32 v4, 28, v4
	v_cmp_eq_u32_e32 vcc, 1, v5
	v_and_b32_e32 v5, 1, v45
	s_nop 0
	v_cndmask_b32_e32 v0, v4, v0, vcc
	v_lshlrev_b32_e32 v0, 1, v0
	ds_write_b16 v0, v28
	v_sub_u32_sdwa v0, v44, v19 dst_sel:DWORD dst_unused:UNUSED_PAD src0_sel:BYTE_0 src1_sel:DWORD
	v_add_u32_e32 v0, v93, v0
	v_sub_u32_e32 v4, v41, v0
	v_add_u32_e32 v4, 29, v4
	v_cmp_eq_u32_e32 vcc, 1, v5
	s_nop 1
	v_cndmask_b32_e32 v0, v4, v0, vcc
	v_lshlrev_b32_e32 v0, 1, v0
	ds_write_b16 v0, v1
	s_waitcnt lgkmcnt(0)
	s_barrier
	s_and_saveexec_b64 s[2:3], s[0:1]
	s_cbranch_execz .LBB2516_111
; %bb.110:
	v_mov_b32_e32 v1, 0
	v_mov_b32_e32 v0, v18
	s_waitcnt vmcnt(0)
	v_lshl_add_u64 v[2:3], v[2:3], 0, v[0:1]
	v_mov_b32_e32 v0, v19
	v_lshl_add_u64 v[2:3], v[2:3], 0, v[0:1]
	global_store_dwordx2 v1, v[2:3], s[20:21]
.LBB2516_111:
	s_endpgm
	.section	.rodata,"a",@progbits
	.p2align	6, 0x0
	.amdhsa_kernel _ZN7rocprim17ROCPRIM_400000_NS6detail17trampoline_kernelINS0_14default_configENS1_25partition_config_selectorILNS1_17partition_subalgoE0EtNS0_10empty_typeEbEEZZNS1_14partition_implILS5_0ELb0ES3_jN6thrust23THRUST_200600_302600_NS6detail15normal_iteratorINSA_10device_ptrItEEEEPS6_SG_NS0_5tupleIJNSA_16discard_iteratorINSA_11use_defaultEEESK_EEENSH_IJSG_SG_EEES6_PlJ7is_evenItEEEE10hipError_tPvRmT3_T4_T5_T6_T7_T9_mT8_P12ihipStream_tbDpT10_ENKUlT_T0_E_clISt17integral_constantIbLb0EES18_IbLb1EEEEDaS14_S15_EUlS14_E_NS1_11comp_targetILNS1_3genE5ELNS1_11target_archE942ELNS1_3gpuE9ELNS1_3repE0EEENS1_30default_config_static_selectorELNS0_4arch9wavefront6targetE1EEEvT1_
		.amdhsa_group_segment_fixed_size 30728
		.amdhsa_private_segment_fixed_size 0
		.amdhsa_kernarg_size 152
		.amdhsa_user_sgpr_count 2
		.amdhsa_user_sgpr_dispatch_ptr 0
		.amdhsa_user_sgpr_queue_ptr 0
		.amdhsa_user_sgpr_kernarg_segment_ptr 1
		.amdhsa_user_sgpr_dispatch_id 0
		.amdhsa_user_sgpr_kernarg_preload_length 0
		.amdhsa_user_sgpr_kernarg_preload_offset 0
		.amdhsa_user_sgpr_private_segment_size 0
		.amdhsa_uses_dynamic_stack 0
		.amdhsa_enable_private_segment 0
		.amdhsa_system_sgpr_workgroup_id_x 1
		.amdhsa_system_sgpr_workgroup_id_y 0
		.amdhsa_system_sgpr_workgroup_id_z 0
		.amdhsa_system_sgpr_workgroup_info 0
		.amdhsa_system_vgpr_workitem_id 0
		.amdhsa_next_free_vgpr 121
		.amdhsa_next_free_sgpr 36
		.amdhsa_accum_offset 124
		.amdhsa_reserve_vcc 1
		.amdhsa_float_round_mode_32 0
		.amdhsa_float_round_mode_16_64 0
		.amdhsa_float_denorm_mode_32 3
		.amdhsa_float_denorm_mode_16_64 3
		.amdhsa_dx10_clamp 1
		.amdhsa_ieee_mode 1
		.amdhsa_fp16_overflow 0
		.amdhsa_tg_split 0
		.amdhsa_exception_fp_ieee_invalid_op 0
		.amdhsa_exception_fp_denorm_src 0
		.amdhsa_exception_fp_ieee_div_zero 0
		.amdhsa_exception_fp_ieee_overflow 0
		.amdhsa_exception_fp_ieee_underflow 0
		.amdhsa_exception_fp_ieee_inexact 0
		.amdhsa_exception_int_div_zero 0
	.end_amdhsa_kernel
	.section	.text._ZN7rocprim17ROCPRIM_400000_NS6detail17trampoline_kernelINS0_14default_configENS1_25partition_config_selectorILNS1_17partition_subalgoE0EtNS0_10empty_typeEbEEZZNS1_14partition_implILS5_0ELb0ES3_jN6thrust23THRUST_200600_302600_NS6detail15normal_iteratorINSA_10device_ptrItEEEEPS6_SG_NS0_5tupleIJNSA_16discard_iteratorINSA_11use_defaultEEESK_EEENSH_IJSG_SG_EEES6_PlJ7is_evenItEEEE10hipError_tPvRmT3_T4_T5_T6_T7_T9_mT8_P12ihipStream_tbDpT10_ENKUlT_T0_E_clISt17integral_constantIbLb0EES18_IbLb1EEEEDaS14_S15_EUlS14_E_NS1_11comp_targetILNS1_3genE5ELNS1_11target_archE942ELNS1_3gpuE9ELNS1_3repE0EEENS1_30default_config_static_selectorELNS0_4arch9wavefront6targetE1EEEvT1_,"axG",@progbits,_ZN7rocprim17ROCPRIM_400000_NS6detail17trampoline_kernelINS0_14default_configENS1_25partition_config_selectorILNS1_17partition_subalgoE0EtNS0_10empty_typeEbEEZZNS1_14partition_implILS5_0ELb0ES3_jN6thrust23THRUST_200600_302600_NS6detail15normal_iteratorINSA_10device_ptrItEEEEPS6_SG_NS0_5tupleIJNSA_16discard_iteratorINSA_11use_defaultEEESK_EEENSH_IJSG_SG_EEES6_PlJ7is_evenItEEEE10hipError_tPvRmT3_T4_T5_T6_T7_T9_mT8_P12ihipStream_tbDpT10_ENKUlT_T0_E_clISt17integral_constantIbLb0EES18_IbLb1EEEEDaS14_S15_EUlS14_E_NS1_11comp_targetILNS1_3genE5ELNS1_11target_archE942ELNS1_3gpuE9ELNS1_3repE0EEENS1_30default_config_static_selectorELNS0_4arch9wavefront6targetE1EEEvT1_,comdat
.Lfunc_end2516:
	.size	_ZN7rocprim17ROCPRIM_400000_NS6detail17trampoline_kernelINS0_14default_configENS1_25partition_config_selectorILNS1_17partition_subalgoE0EtNS0_10empty_typeEbEEZZNS1_14partition_implILS5_0ELb0ES3_jN6thrust23THRUST_200600_302600_NS6detail15normal_iteratorINSA_10device_ptrItEEEEPS6_SG_NS0_5tupleIJNSA_16discard_iteratorINSA_11use_defaultEEESK_EEENSH_IJSG_SG_EEES6_PlJ7is_evenItEEEE10hipError_tPvRmT3_T4_T5_T6_T7_T9_mT8_P12ihipStream_tbDpT10_ENKUlT_T0_E_clISt17integral_constantIbLb0EES18_IbLb1EEEEDaS14_S15_EUlS14_E_NS1_11comp_targetILNS1_3genE5ELNS1_11target_archE942ELNS1_3gpuE9ELNS1_3repE0EEENS1_30default_config_static_selectorELNS0_4arch9wavefront6targetE1EEEvT1_, .Lfunc_end2516-_ZN7rocprim17ROCPRIM_400000_NS6detail17trampoline_kernelINS0_14default_configENS1_25partition_config_selectorILNS1_17partition_subalgoE0EtNS0_10empty_typeEbEEZZNS1_14partition_implILS5_0ELb0ES3_jN6thrust23THRUST_200600_302600_NS6detail15normal_iteratorINSA_10device_ptrItEEEEPS6_SG_NS0_5tupleIJNSA_16discard_iteratorINSA_11use_defaultEEESK_EEENSH_IJSG_SG_EEES6_PlJ7is_evenItEEEE10hipError_tPvRmT3_T4_T5_T6_T7_T9_mT8_P12ihipStream_tbDpT10_ENKUlT_T0_E_clISt17integral_constantIbLb0EES18_IbLb1EEEEDaS14_S15_EUlS14_E_NS1_11comp_targetILNS1_3genE5ELNS1_11target_archE942ELNS1_3gpuE9ELNS1_3repE0EEENS1_30default_config_static_selectorELNS0_4arch9wavefront6targetE1EEEvT1_
                                        ; -- End function
	.section	.AMDGPU.csdata,"",@progbits
; Kernel info:
; codeLenInByte = 7320
; NumSgprs: 42
; NumVgprs: 121
; NumAgprs: 0
; TotalNumVgprs: 121
; ScratchSize: 0
; MemoryBound: 0
; FloatMode: 240
; IeeeMode: 1
; LDSByteSize: 30728 bytes/workgroup (compile time only)
; SGPRBlocks: 5
; VGPRBlocks: 15
; NumSGPRsForWavesPerEU: 42
; NumVGPRsForWavesPerEU: 121
; AccumOffset: 124
; Occupancy: 4
; WaveLimiterHint : 1
; COMPUTE_PGM_RSRC2:SCRATCH_EN: 0
; COMPUTE_PGM_RSRC2:USER_SGPR: 2
; COMPUTE_PGM_RSRC2:TRAP_HANDLER: 0
; COMPUTE_PGM_RSRC2:TGID_X_EN: 1
; COMPUTE_PGM_RSRC2:TGID_Y_EN: 0
; COMPUTE_PGM_RSRC2:TGID_Z_EN: 0
; COMPUTE_PGM_RSRC2:TIDIG_COMP_CNT: 0
; COMPUTE_PGM_RSRC3_GFX90A:ACCUM_OFFSET: 30
; COMPUTE_PGM_RSRC3_GFX90A:TG_SPLIT: 0
	.section	.text._ZN7rocprim17ROCPRIM_400000_NS6detail17trampoline_kernelINS0_14default_configENS1_25partition_config_selectorILNS1_17partition_subalgoE0EtNS0_10empty_typeEbEEZZNS1_14partition_implILS5_0ELb0ES3_jN6thrust23THRUST_200600_302600_NS6detail15normal_iteratorINSA_10device_ptrItEEEEPS6_SG_NS0_5tupleIJNSA_16discard_iteratorINSA_11use_defaultEEESK_EEENSH_IJSG_SG_EEES6_PlJ7is_evenItEEEE10hipError_tPvRmT3_T4_T5_T6_T7_T9_mT8_P12ihipStream_tbDpT10_ENKUlT_T0_E_clISt17integral_constantIbLb0EES18_IbLb1EEEEDaS14_S15_EUlS14_E_NS1_11comp_targetILNS1_3genE4ELNS1_11target_archE910ELNS1_3gpuE8ELNS1_3repE0EEENS1_30default_config_static_selectorELNS0_4arch9wavefront6targetE1EEEvT1_,"axG",@progbits,_ZN7rocprim17ROCPRIM_400000_NS6detail17trampoline_kernelINS0_14default_configENS1_25partition_config_selectorILNS1_17partition_subalgoE0EtNS0_10empty_typeEbEEZZNS1_14partition_implILS5_0ELb0ES3_jN6thrust23THRUST_200600_302600_NS6detail15normal_iteratorINSA_10device_ptrItEEEEPS6_SG_NS0_5tupleIJNSA_16discard_iteratorINSA_11use_defaultEEESK_EEENSH_IJSG_SG_EEES6_PlJ7is_evenItEEEE10hipError_tPvRmT3_T4_T5_T6_T7_T9_mT8_P12ihipStream_tbDpT10_ENKUlT_T0_E_clISt17integral_constantIbLb0EES18_IbLb1EEEEDaS14_S15_EUlS14_E_NS1_11comp_targetILNS1_3genE4ELNS1_11target_archE910ELNS1_3gpuE8ELNS1_3repE0EEENS1_30default_config_static_selectorELNS0_4arch9wavefront6targetE1EEEvT1_,comdat
	.protected	_ZN7rocprim17ROCPRIM_400000_NS6detail17trampoline_kernelINS0_14default_configENS1_25partition_config_selectorILNS1_17partition_subalgoE0EtNS0_10empty_typeEbEEZZNS1_14partition_implILS5_0ELb0ES3_jN6thrust23THRUST_200600_302600_NS6detail15normal_iteratorINSA_10device_ptrItEEEEPS6_SG_NS0_5tupleIJNSA_16discard_iteratorINSA_11use_defaultEEESK_EEENSH_IJSG_SG_EEES6_PlJ7is_evenItEEEE10hipError_tPvRmT3_T4_T5_T6_T7_T9_mT8_P12ihipStream_tbDpT10_ENKUlT_T0_E_clISt17integral_constantIbLb0EES18_IbLb1EEEEDaS14_S15_EUlS14_E_NS1_11comp_targetILNS1_3genE4ELNS1_11target_archE910ELNS1_3gpuE8ELNS1_3repE0EEENS1_30default_config_static_selectorELNS0_4arch9wavefront6targetE1EEEvT1_ ; -- Begin function _ZN7rocprim17ROCPRIM_400000_NS6detail17trampoline_kernelINS0_14default_configENS1_25partition_config_selectorILNS1_17partition_subalgoE0EtNS0_10empty_typeEbEEZZNS1_14partition_implILS5_0ELb0ES3_jN6thrust23THRUST_200600_302600_NS6detail15normal_iteratorINSA_10device_ptrItEEEEPS6_SG_NS0_5tupleIJNSA_16discard_iteratorINSA_11use_defaultEEESK_EEENSH_IJSG_SG_EEES6_PlJ7is_evenItEEEE10hipError_tPvRmT3_T4_T5_T6_T7_T9_mT8_P12ihipStream_tbDpT10_ENKUlT_T0_E_clISt17integral_constantIbLb0EES18_IbLb1EEEEDaS14_S15_EUlS14_E_NS1_11comp_targetILNS1_3genE4ELNS1_11target_archE910ELNS1_3gpuE8ELNS1_3repE0EEENS1_30default_config_static_selectorELNS0_4arch9wavefront6targetE1EEEvT1_
	.globl	_ZN7rocprim17ROCPRIM_400000_NS6detail17trampoline_kernelINS0_14default_configENS1_25partition_config_selectorILNS1_17partition_subalgoE0EtNS0_10empty_typeEbEEZZNS1_14partition_implILS5_0ELb0ES3_jN6thrust23THRUST_200600_302600_NS6detail15normal_iteratorINSA_10device_ptrItEEEEPS6_SG_NS0_5tupleIJNSA_16discard_iteratorINSA_11use_defaultEEESK_EEENSH_IJSG_SG_EEES6_PlJ7is_evenItEEEE10hipError_tPvRmT3_T4_T5_T6_T7_T9_mT8_P12ihipStream_tbDpT10_ENKUlT_T0_E_clISt17integral_constantIbLb0EES18_IbLb1EEEEDaS14_S15_EUlS14_E_NS1_11comp_targetILNS1_3genE4ELNS1_11target_archE910ELNS1_3gpuE8ELNS1_3repE0EEENS1_30default_config_static_selectorELNS0_4arch9wavefront6targetE1EEEvT1_
	.p2align	8
	.type	_ZN7rocprim17ROCPRIM_400000_NS6detail17trampoline_kernelINS0_14default_configENS1_25partition_config_selectorILNS1_17partition_subalgoE0EtNS0_10empty_typeEbEEZZNS1_14partition_implILS5_0ELb0ES3_jN6thrust23THRUST_200600_302600_NS6detail15normal_iteratorINSA_10device_ptrItEEEEPS6_SG_NS0_5tupleIJNSA_16discard_iteratorINSA_11use_defaultEEESK_EEENSH_IJSG_SG_EEES6_PlJ7is_evenItEEEE10hipError_tPvRmT3_T4_T5_T6_T7_T9_mT8_P12ihipStream_tbDpT10_ENKUlT_T0_E_clISt17integral_constantIbLb0EES18_IbLb1EEEEDaS14_S15_EUlS14_E_NS1_11comp_targetILNS1_3genE4ELNS1_11target_archE910ELNS1_3gpuE8ELNS1_3repE0EEENS1_30default_config_static_selectorELNS0_4arch9wavefront6targetE1EEEvT1_,@function
_ZN7rocprim17ROCPRIM_400000_NS6detail17trampoline_kernelINS0_14default_configENS1_25partition_config_selectorILNS1_17partition_subalgoE0EtNS0_10empty_typeEbEEZZNS1_14partition_implILS5_0ELb0ES3_jN6thrust23THRUST_200600_302600_NS6detail15normal_iteratorINSA_10device_ptrItEEEEPS6_SG_NS0_5tupleIJNSA_16discard_iteratorINSA_11use_defaultEEESK_EEENSH_IJSG_SG_EEES6_PlJ7is_evenItEEEE10hipError_tPvRmT3_T4_T5_T6_T7_T9_mT8_P12ihipStream_tbDpT10_ENKUlT_T0_E_clISt17integral_constantIbLb0EES18_IbLb1EEEEDaS14_S15_EUlS14_E_NS1_11comp_targetILNS1_3genE4ELNS1_11target_archE910ELNS1_3gpuE8ELNS1_3repE0EEENS1_30default_config_static_selectorELNS0_4arch9wavefront6targetE1EEEvT1_: ; @_ZN7rocprim17ROCPRIM_400000_NS6detail17trampoline_kernelINS0_14default_configENS1_25partition_config_selectorILNS1_17partition_subalgoE0EtNS0_10empty_typeEbEEZZNS1_14partition_implILS5_0ELb0ES3_jN6thrust23THRUST_200600_302600_NS6detail15normal_iteratorINSA_10device_ptrItEEEEPS6_SG_NS0_5tupleIJNSA_16discard_iteratorINSA_11use_defaultEEESK_EEENSH_IJSG_SG_EEES6_PlJ7is_evenItEEEE10hipError_tPvRmT3_T4_T5_T6_T7_T9_mT8_P12ihipStream_tbDpT10_ENKUlT_T0_E_clISt17integral_constantIbLb0EES18_IbLb1EEEEDaS14_S15_EUlS14_E_NS1_11comp_targetILNS1_3genE4ELNS1_11target_archE910ELNS1_3gpuE8ELNS1_3repE0EEENS1_30default_config_static_selectorELNS0_4arch9wavefront6targetE1EEEvT1_
; %bb.0:
	.section	.rodata,"a",@progbits
	.p2align	6, 0x0
	.amdhsa_kernel _ZN7rocprim17ROCPRIM_400000_NS6detail17trampoline_kernelINS0_14default_configENS1_25partition_config_selectorILNS1_17partition_subalgoE0EtNS0_10empty_typeEbEEZZNS1_14partition_implILS5_0ELb0ES3_jN6thrust23THRUST_200600_302600_NS6detail15normal_iteratorINSA_10device_ptrItEEEEPS6_SG_NS0_5tupleIJNSA_16discard_iteratorINSA_11use_defaultEEESK_EEENSH_IJSG_SG_EEES6_PlJ7is_evenItEEEE10hipError_tPvRmT3_T4_T5_T6_T7_T9_mT8_P12ihipStream_tbDpT10_ENKUlT_T0_E_clISt17integral_constantIbLb0EES18_IbLb1EEEEDaS14_S15_EUlS14_E_NS1_11comp_targetILNS1_3genE4ELNS1_11target_archE910ELNS1_3gpuE8ELNS1_3repE0EEENS1_30default_config_static_selectorELNS0_4arch9wavefront6targetE1EEEvT1_
		.amdhsa_group_segment_fixed_size 0
		.amdhsa_private_segment_fixed_size 0
		.amdhsa_kernarg_size 152
		.amdhsa_user_sgpr_count 2
		.amdhsa_user_sgpr_dispatch_ptr 0
		.amdhsa_user_sgpr_queue_ptr 0
		.amdhsa_user_sgpr_kernarg_segment_ptr 1
		.amdhsa_user_sgpr_dispatch_id 0
		.amdhsa_user_sgpr_kernarg_preload_length 0
		.amdhsa_user_sgpr_kernarg_preload_offset 0
		.amdhsa_user_sgpr_private_segment_size 0
		.amdhsa_uses_dynamic_stack 0
		.amdhsa_enable_private_segment 0
		.amdhsa_system_sgpr_workgroup_id_x 1
		.amdhsa_system_sgpr_workgroup_id_y 0
		.amdhsa_system_sgpr_workgroup_id_z 0
		.amdhsa_system_sgpr_workgroup_info 0
		.amdhsa_system_vgpr_workitem_id 0
		.amdhsa_next_free_vgpr 1
		.amdhsa_next_free_sgpr 0
		.amdhsa_accum_offset 4
		.amdhsa_reserve_vcc 0
		.amdhsa_float_round_mode_32 0
		.amdhsa_float_round_mode_16_64 0
		.amdhsa_float_denorm_mode_32 3
		.amdhsa_float_denorm_mode_16_64 3
		.amdhsa_dx10_clamp 1
		.amdhsa_ieee_mode 1
		.amdhsa_fp16_overflow 0
		.amdhsa_tg_split 0
		.amdhsa_exception_fp_ieee_invalid_op 0
		.amdhsa_exception_fp_denorm_src 0
		.amdhsa_exception_fp_ieee_div_zero 0
		.amdhsa_exception_fp_ieee_overflow 0
		.amdhsa_exception_fp_ieee_underflow 0
		.amdhsa_exception_fp_ieee_inexact 0
		.amdhsa_exception_int_div_zero 0
	.end_amdhsa_kernel
	.section	.text._ZN7rocprim17ROCPRIM_400000_NS6detail17trampoline_kernelINS0_14default_configENS1_25partition_config_selectorILNS1_17partition_subalgoE0EtNS0_10empty_typeEbEEZZNS1_14partition_implILS5_0ELb0ES3_jN6thrust23THRUST_200600_302600_NS6detail15normal_iteratorINSA_10device_ptrItEEEEPS6_SG_NS0_5tupleIJNSA_16discard_iteratorINSA_11use_defaultEEESK_EEENSH_IJSG_SG_EEES6_PlJ7is_evenItEEEE10hipError_tPvRmT3_T4_T5_T6_T7_T9_mT8_P12ihipStream_tbDpT10_ENKUlT_T0_E_clISt17integral_constantIbLb0EES18_IbLb1EEEEDaS14_S15_EUlS14_E_NS1_11comp_targetILNS1_3genE4ELNS1_11target_archE910ELNS1_3gpuE8ELNS1_3repE0EEENS1_30default_config_static_selectorELNS0_4arch9wavefront6targetE1EEEvT1_,"axG",@progbits,_ZN7rocprim17ROCPRIM_400000_NS6detail17trampoline_kernelINS0_14default_configENS1_25partition_config_selectorILNS1_17partition_subalgoE0EtNS0_10empty_typeEbEEZZNS1_14partition_implILS5_0ELb0ES3_jN6thrust23THRUST_200600_302600_NS6detail15normal_iteratorINSA_10device_ptrItEEEEPS6_SG_NS0_5tupleIJNSA_16discard_iteratorINSA_11use_defaultEEESK_EEENSH_IJSG_SG_EEES6_PlJ7is_evenItEEEE10hipError_tPvRmT3_T4_T5_T6_T7_T9_mT8_P12ihipStream_tbDpT10_ENKUlT_T0_E_clISt17integral_constantIbLb0EES18_IbLb1EEEEDaS14_S15_EUlS14_E_NS1_11comp_targetILNS1_3genE4ELNS1_11target_archE910ELNS1_3gpuE8ELNS1_3repE0EEENS1_30default_config_static_selectorELNS0_4arch9wavefront6targetE1EEEvT1_,comdat
.Lfunc_end2517:
	.size	_ZN7rocprim17ROCPRIM_400000_NS6detail17trampoline_kernelINS0_14default_configENS1_25partition_config_selectorILNS1_17partition_subalgoE0EtNS0_10empty_typeEbEEZZNS1_14partition_implILS5_0ELb0ES3_jN6thrust23THRUST_200600_302600_NS6detail15normal_iteratorINSA_10device_ptrItEEEEPS6_SG_NS0_5tupleIJNSA_16discard_iteratorINSA_11use_defaultEEESK_EEENSH_IJSG_SG_EEES6_PlJ7is_evenItEEEE10hipError_tPvRmT3_T4_T5_T6_T7_T9_mT8_P12ihipStream_tbDpT10_ENKUlT_T0_E_clISt17integral_constantIbLb0EES18_IbLb1EEEEDaS14_S15_EUlS14_E_NS1_11comp_targetILNS1_3genE4ELNS1_11target_archE910ELNS1_3gpuE8ELNS1_3repE0EEENS1_30default_config_static_selectorELNS0_4arch9wavefront6targetE1EEEvT1_, .Lfunc_end2517-_ZN7rocprim17ROCPRIM_400000_NS6detail17trampoline_kernelINS0_14default_configENS1_25partition_config_selectorILNS1_17partition_subalgoE0EtNS0_10empty_typeEbEEZZNS1_14partition_implILS5_0ELb0ES3_jN6thrust23THRUST_200600_302600_NS6detail15normal_iteratorINSA_10device_ptrItEEEEPS6_SG_NS0_5tupleIJNSA_16discard_iteratorINSA_11use_defaultEEESK_EEENSH_IJSG_SG_EEES6_PlJ7is_evenItEEEE10hipError_tPvRmT3_T4_T5_T6_T7_T9_mT8_P12ihipStream_tbDpT10_ENKUlT_T0_E_clISt17integral_constantIbLb0EES18_IbLb1EEEEDaS14_S15_EUlS14_E_NS1_11comp_targetILNS1_3genE4ELNS1_11target_archE910ELNS1_3gpuE8ELNS1_3repE0EEENS1_30default_config_static_selectorELNS0_4arch9wavefront6targetE1EEEvT1_
                                        ; -- End function
	.section	.AMDGPU.csdata,"",@progbits
; Kernel info:
; codeLenInByte = 0
; NumSgprs: 6
; NumVgprs: 0
; NumAgprs: 0
; TotalNumVgprs: 0
; ScratchSize: 0
; MemoryBound: 0
; FloatMode: 240
; IeeeMode: 1
; LDSByteSize: 0 bytes/workgroup (compile time only)
; SGPRBlocks: 0
; VGPRBlocks: 0
; NumSGPRsForWavesPerEU: 6
; NumVGPRsForWavesPerEU: 1
; AccumOffset: 4
; Occupancy: 8
; WaveLimiterHint : 0
; COMPUTE_PGM_RSRC2:SCRATCH_EN: 0
; COMPUTE_PGM_RSRC2:USER_SGPR: 2
; COMPUTE_PGM_RSRC2:TRAP_HANDLER: 0
; COMPUTE_PGM_RSRC2:TGID_X_EN: 1
; COMPUTE_PGM_RSRC2:TGID_Y_EN: 0
; COMPUTE_PGM_RSRC2:TGID_Z_EN: 0
; COMPUTE_PGM_RSRC2:TIDIG_COMP_CNT: 0
; COMPUTE_PGM_RSRC3_GFX90A:ACCUM_OFFSET: 0
; COMPUTE_PGM_RSRC3_GFX90A:TG_SPLIT: 0
	.section	.text._ZN7rocprim17ROCPRIM_400000_NS6detail17trampoline_kernelINS0_14default_configENS1_25partition_config_selectorILNS1_17partition_subalgoE0EtNS0_10empty_typeEbEEZZNS1_14partition_implILS5_0ELb0ES3_jN6thrust23THRUST_200600_302600_NS6detail15normal_iteratorINSA_10device_ptrItEEEEPS6_SG_NS0_5tupleIJNSA_16discard_iteratorINSA_11use_defaultEEESK_EEENSH_IJSG_SG_EEES6_PlJ7is_evenItEEEE10hipError_tPvRmT3_T4_T5_T6_T7_T9_mT8_P12ihipStream_tbDpT10_ENKUlT_T0_E_clISt17integral_constantIbLb0EES18_IbLb1EEEEDaS14_S15_EUlS14_E_NS1_11comp_targetILNS1_3genE3ELNS1_11target_archE908ELNS1_3gpuE7ELNS1_3repE0EEENS1_30default_config_static_selectorELNS0_4arch9wavefront6targetE1EEEvT1_,"axG",@progbits,_ZN7rocprim17ROCPRIM_400000_NS6detail17trampoline_kernelINS0_14default_configENS1_25partition_config_selectorILNS1_17partition_subalgoE0EtNS0_10empty_typeEbEEZZNS1_14partition_implILS5_0ELb0ES3_jN6thrust23THRUST_200600_302600_NS6detail15normal_iteratorINSA_10device_ptrItEEEEPS6_SG_NS0_5tupleIJNSA_16discard_iteratorINSA_11use_defaultEEESK_EEENSH_IJSG_SG_EEES6_PlJ7is_evenItEEEE10hipError_tPvRmT3_T4_T5_T6_T7_T9_mT8_P12ihipStream_tbDpT10_ENKUlT_T0_E_clISt17integral_constantIbLb0EES18_IbLb1EEEEDaS14_S15_EUlS14_E_NS1_11comp_targetILNS1_3genE3ELNS1_11target_archE908ELNS1_3gpuE7ELNS1_3repE0EEENS1_30default_config_static_selectorELNS0_4arch9wavefront6targetE1EEEvT1_,comdat
	.protected	_ZN7rocprim17ROCPRIM_400000_NS6detail17trampoline_kernelINS0_14default_configENS1_25partition_config_selectorILNS1_17partition_subalgoE0EtNS0_10empty_typeEbEEZZNS1_14partition_implILS5_0ELb0ES3_jN6thrust23THRUST_200600_302600_NS6detail15normal_iteratorINSA_10device_ptrItEEEEPS6_SG_NS0_5tupleIJNSA_16discard_iteratorINSA_11use_defaultEEESK_EEENSH_IJSG_SG_EEES6_PlJ7is_evenItEEEE10hipError_tPvRmT3_T4_T5_T6_T7_T9_mT8_P12ihipStream_tbDpT10_ENKUlT_T0_E_clISt17integral_constantIbLb0EES18_IbLb1EEEEDaS14_S15_EUlS14_E_NS1_11comp_targetILNS1_3genE3ELNS1_11target_archE908ELNS1_3gpuE7ELNS1_3repE0EEENS1_30default_config_static_selectorELNS0_4arch9wavefront6targetE1EEEvT1_ ; -- Begin function _ZN7rocprim17ROCPRIM_400000_NS6detail17trampoline_kernelINS0_14default_configENS1_25partition_config_selectorILNS1_17partition_subalgoE0EtNS0_10empty_typeEbEEZZNS1_14partition_implILS5_0ELb0ES3_jN6thrust23THRUST_200600_302600_NS6detail15normal_iteratorINSA_10device_ptrItEEEEPS6_SG_NS0_5tupleIJNSA_16discard_iteratorINSA_11use_defaultEEESK_EEENSH_IJSG_SG_EEES6_PlJ7is_evenItEEEE10hipError_tPvRmT3_T4_T5_T6_T7_T9_mT8_P12ihipStream_tbDpT10_ENKUlT_T0_E_clISt17integral_constantIbLb0EES18_IbLb1EEEEDaS14_S15_EUlS14_E_NS1_11comp_targetILNS1_3genE3ELNS1_11target_archE908ELNS1_3gpuE7ELNS1_3repE0EEENS1_30default_config_static_selectorELNS0_4arch9wavefront6targetE1EEEvT1_
	.globl	_ZN7rocprim17ROCPRIM_400000_NS6detail17trampoline_kernelINS0_14default_configENS1_25partition_config_selectorILNS1_17partition_subalgoE0EtNS0_10empty_typeEbEEZZNS1_14partition_implILS5_0ELb0ES3_jN6thrust23THRUST_200600_302600_NS6detail15normal_iteratorINSA_10device_ptrItEEEEPS6_SG_NS0_5tupleIJNSA_16discard_iteratorINSA_11use_defaultEEESK_EEENSH_IJSG_SG_EEES6_PlJ7is_evenItEEEE10hipError_tPvRmT3_T4_T5_T6_T7_T9_mT8_P12ihipStream_tbDpT10_ENKUlT_T0_E_clISt17integral_constantIbLb0EES18_IbLb1EEEEDaS14_S15_EUlS14_E_NS1_11comp_targetILNS1_3genE3ELNS1_11target_archE908ELNS1_3gpuE7ELNS1_3repE0EEENS1_30default_config_static_selectorELNS0_4arch9wavefront6targetE1EEEvT1_
	.p2align	8
	.type	_ZN7rocprim17ROCPRIM_400000_NS6detail17trampoline_kernelINS0_14default_configENS1_25partition_config_selectorILNS1_17partition_subalgoE0EtNS0_10empty_typeEbEEZZNS1_14partition_implILS5_0ELb0ES3_jN6thrust23THRUST_200600_302600_NS6detail15normal_iteratorINSA_10device_ptrItEEEEPS6_SG_NS0_5tupleIJNSA_16discard_iteratorINSA_11use_defaultEEESK_EEENSH_IJSG_SG_EEES6_PlJ7is_evenItEEEE10hipError_tPvRmT3_T4_T5_T6_T7_T9_mT8_P12ihipStream_tbDpT10_ENKUlT_T0_E_clISt17integral_constantIbLb0EES18_IbLb1EEEEDaS14_S15_EUlS14_E_NS1_11comp_targetILNS1_3genE3ELNS1_11target_archE908ELNS1_3gpuE7ELNS1_3repE0EEENS1_30default_config_static_selectorELNS0_4arch9wavefront6targetE1EEEvT1_,@function
_ZN7rocprim17ROCPRIM_400000_NS6detail17trampoline_kernelINS0_14default_configENS1_25partition_config_selectorILNS1_17partition_subalgoE0EtNS0_10empty_typeEbEEZZNS1_14partition_implILS5_0ELb0ES3_jN6thrust23THRUST_200600_302600_NS6detail15normal_iteratorINSA_10device_ptrItEEEEPS6_SG_NS0_5tupleIJNSA_16discard_iteratorINSA_11use_defaultEEESK_EEENSH_IJSG_SG_EEES6_PlJ7is_evenItEEEE10hipError_tPvRmT3_T4_T5_T6_T7_T9_mT8_P12ihipStream_tbDpT10_ENKUlT_T0_E_clISt17integral_constantIbLb0EES18_IbLb1EEEEDaS14_S15_EUlS14_E_NS1_11comp_targetILNS1_3genE3ELNS1_11target_archE908ELNS1_3gpuE7ELNS1_3repE0EEENS1_30default_config_static_selectorELNS0_4arch9wavefront6targetE1EEEvT1_: ; @_ZN7rocprim17ROCPRIM_400000_NS6detail17trampoline_kernelINS0_14default_configENS1_25partition_config_selectorILNS1_17partition_subalgoE0EtNS0_10empty_typeEbEEZZNS1_14partition_implILS5_0ELb0ES3_jN6thrust23THRUST_200600_302600_NS6detail15normal_iteratorINSA_10device_ptrItEEEEPS6_SG_NS0_5tupleIJNSA_16discard_iteratorINSA_11use_defaultEEESK_EEENSH_IJSG_SG_EEES6_PlJ7is_evenItEEEE10hipError_tPvRmT3_T4_T5_T6_T7_T9_mT8_P12ihipStream_tbDpT10_ENKUlT_T0_E_clISt17integral_constantIbLb0EES18_IbLb1EEEEDaS14_S15_EUlS14_E_NS1_11comp_targetILNS1_3genE3ELNS1_11target_archE908ELNS1_3gpuE7ELNS1_3repE0EEENS1_30default_config_static_selectorELNS0_4arch9wavefront6targetE1EEEvT1_
; %bb.0:
	.section	.rodata,"a",@progbits
	.p2align	6, 0x0
	.amdhsa_kernel _ZN7rocprim17ROCPRIM_400000_NS6detail17trampoline_kernelINS0_14default_configENS1_25partition_config_selectorILNS1_17partition_subalgoE0EtNS0_10empty_typeEbEEZZNS1_14partition_implILS5_0ELb0ES3_jN6thrust23THRUST_200600_302600_NS6detail15normal_iteratorINSA_10device_ptrItEEEEPS6_SG_NS0_5tupleIJNSA_16discard_iteratorINSA_11use_defaultEEESK_EEENSH_IJSG_SG_EEES6_PlJ7is_evenItEEEE10hipError_tPvRmT3_T4_T5_T6_T7_T9_mT8_P12ihipStream_tbDpT10_ENKUlT_T0_E_clISt17integral_constantIbLb0EES18_IbLb1EEEEDaS14_S15_EUlS14_E_NS1_11comp_targetILNS1_3genE3ELNS1_11target_archE908ELNS1_3gpuE7ELNS1_3repE0EEENS1_30default_config_static_selectorELNS0_4arch9wavefront6targetE1EEEvT1_
		.amdhsa_group_segment_fixed_size 0
		.amdhsa_private_segment_fixed_size 0
		.amdhsa_kernarg_size 152
		.amdhsa_user_sgpr_count 2
		.amdhsa_user_sgpr_dispatch_ptr 0
		.amdhsa_user_sgpr_queue_ptr 0
		.amdhsa_user_sgpr_kernarg_segment_ptr 1
		.amdhsa_user_sgpr_dispatch_id 0
		.amdhsa_user_sgpr_kernarg_preload_length 0
		.amdhsa_user_sgpr_kernarg_preload_offset 0
		.amdhsa_user_sgpr_private_segment_size 0
		.amdhsa_uses_dynamic_stack 0
		.amdhsa_enable_private_segment 0
		.amdhsa_system_sgpr_workgroup_id_x 1
		.amdhsa_system_sgpr_workgroup_id_y 0
		.amdhsa_system_sgpr_workgroup_id_z 0
		.amdhsa_system_sgpr_workgroup_info 0
		.amdhsa_system_vgpr_workitem_id 0
		.amdhsa_next_free_vgpr 1
		.amdhsa_next_free_sgpr 0
		.amdhsa_accum_offset 4
		.amdhsa_reserve_vcc 0
		.amdhsa_float_round_mode_32 0
		.amdhsa_float_round_mode_16_64 0
		.amdhsa_float_denorm_mode_32 3
		.amdhsa_float_denorm_mode_16_64 3
		.amdhsa_dx10_clamp 1
		.amdhsa_ieee_mode 1
		.amdhsa_fp16_overflow 0
		.amdhsa_tg_split 0
		.amdhsa_exception_fp_ieee_invalid_op 0
		.amdhsa_exception_fp_denorm_src 0
		.amdhsa_exception_fp_ieee_div_zero 0
		.amdhsa_exception_fp_ieee_overflow 0
		.amdhsa_exception_fp_ieee_underflow 0
		.amdhsa_exception_fp_ieee_inexact 0
		.amdhsa_exception_int_div_zero 0
	.end_amdhsa_kernel
	.section	.text._ZN7rocprim17ROCPRIM_400000_NS6detail17trampoline_kernelINS0_14default_configENS1_25partition_config_selectorILNS1_17partition_subalgoE0EtNS0_10empty_typeEbEEZZNS1_14partition_implILS5_0ELb0ES3_jN6thrust23THRUST_200600_302600_NS6detail15normal_iteratorINSA_10device_ptrItEEEEPS6_SG_NS0_5tupleIJNSA_16discard_iteratorINSA_11use_defaultEEESK_EEENSH_IJSG_SG_EEES6_PlJ7is_evenItEEEE10hipError_tPvRmT3_T4_T5_T6_T7_T9_mT8_P12ihipStream_tbDpT10_ENKUlT_T0_E_clISt17integral_constantIbLb0EES18_IbLb1EEEEDaS14_S15_EUlS14_E_NS1_11comp_targetILNS1_3genE3ELNS1_11target_archE908ELNS1_3gpuE7ELNS1_3repE0EEENS1_30default_config_static_selectorELNS0_4arch9wavefront6targetE1EEEvT1_,"axG",@progbits,_ZN7rocprim17ROCPRIM_400000_NS6detail17trampoline_kernelINS0_14default_configENS1_25partition_config_selectorILNS1_17partition_subalgoE0EtNS0_10empty_typeEbEEZZNS1_14partition_implILS5_0ELb0ES3_jN6thrust23THRUST_200600_302600_NS6detail15normal_iteratorINSA_10device_ptrItEEEEPS6_SG_NS0_5tupleIJNSA_16discard_iteratorINSA_11use_defaultEEESK_EEENSH_IJSG_SG_EEES6_PlJ7is_evenItEEEE10hipError_tPvRmT3_T4_T5_T6_T7_T9_mT8_P12ihipStream_tbDpT10_ENKUlT_T0_E_clISt17integral_constantIbLb0EES18_IbLb1EEEEDaS14_S15_EUlS14_E_NS1_11comp_targetILNS1_3genE3ELNS1_11target_archE908ELNS1_3gpuE7ELNS1_3repE0EEENS1_30default_config_static_selectorELNS0_4arch9wavefront6targetE1EEEvT1_,comdat
.Lfunc_end2518:
	.size	_ZN7rocprim17ROCPRIM_400000_NS6detail17trampoline_kernelINS0_14default_configENS1_25partition_config_selectorILNS1_17partition_subalgoE0EtNS0_10empty_typeEbEEZZNS1_14partition_implILS5_0ELb0ES3_jN6thrust23THRUST_200600_302600_NS6detail15normal_iteratorINSA_10device_ptrItEEEEPS6_SG_NS0_5tupleIJNSA_16discard_iteratorINSA_11use_defaultEEESK_EEENSH_IJSG_SG_EEES6_PlJ7is_evenItEEEE10hipError_tPvRmT3_T4_T5_T6_T7_T9_mT8_P12ihipStream_tbDpT10_ENKUlT_T0_E_clISt17integral_constantIbLb0EES18_IbLb1EEEEDaS14_S15_EUlS14_E_NS1_11comp_targetILNS1_3genE3ELNS1_11target_archE908ELNS1_3gpuE7ELNS1_3repE0EEENS1_30default_config_static_selectorELNS0_4arch9wavefront6targetE1EEEvT1_, .Lfunc_end2518-_ZN7rocprim17ROCPRIM_400000_NS6detail17trampoline_kernelINS0_14default_configENS1_25partition_config_selectorILNS1_17partition_subalgoE0EtNS0_10empty_typeEbEEZZNS1_14partition_implILS5_0ELb0ES3_jN6thrust23THRUST_200600_302600_NS6detail15normal_iteratorINSA_10device_ptrItEEEEPS6_SG_NS0_5tupleIJNSA_16discard_iteratorINSA_11use_defaultEEESK_EEENSH_IJSG_SG_EEES6_PlJ7is_evenItEEEE10hipError_tPvRmT3_T4_T5_T6_T7_T9_mT8_P12ihipStream_tbDpT10_ENKUlT_T0_E_clISt17integral_constantIbLb0EES18_IbLb1EEEEDaS14_S15_EUlS14_E_NS1_11comp_targetILNS1_3genE3ELNS1_11target_archE908ELNS1_3gpuE7ELNS1_3repE0EEENS1_30default_config_static_selectorELNS0_4arch9wavefront6targetE1EEEvT1_
                                        ; -- End function
	.section	.AMDGPU.csdata,"",@progbits
; Kernel info:
; codeLenInByte = 0
; NumSgprs: 6
; NumVgprs: 0
; NumAgprs: 0
; TotalNumVgprs: 0
; ScratchSize: 0
; MemoryBound: 0
; FloatMode: 240
; IeeeMode: 1
; LDSByteSize: 0 bytes/workgroup (compile time only)
; SGPRBlocks: 0
; VGPRBlocks: 0
; NumSGPRsForWavesPerEU: 6
; NumVGPRsForWavesPerEU: 1
; AccumOffset: 4
; Occupancy: 8
; WaveLimiterHint : 0
; COMPUTE_PGM_RSRC2:SCRATCH_EN: 0
; COMPUTE_PGM_RSRC2:USER_SGPR: 2
; COMPUTE_PGM_RSRC2:TRAP_HANDLER: 0
; COMPUTE_PGM_RSRC2:TGID_X_EN: 1
; COMPUTE_PGM_RSRC2:TGID_Y_EN: 0
; COMPUTE_PGM_RSRC2:TGID_Z_EN: 0
; COMPUTE_PGM_RSRC2:TIDIG_COMP_CNT: 0
; COMPUTE_PGM_RSRC3_GFX90A:ACCUM_OFFSET: 0
; COMPUTE_PGM_RSRC3_GFX90A:TG_SPLIT: 0
	.section	.text._ZN7rocprim17ROCPRIM_400000_NS6detail17trampoline_kernelINS0_14default_configENS1_25partition_config_selectorILNS1_17partition_subalgoE0EtNS0_10empty_typeEbEEZZNS1_14partition_implILS5_0ELb0ES3_jN6thrust23THRUST_200600_302600_NS6detail15normal_iteratorINSA_10device_ptrItEEEEPS6_SG_NS0_5tupleIJNSA_16discard_iteratorINSA_11use_defaultEEESK_EEENSH_IJSG_SG_EEES6_PlJ7is_evenItEEEE10hipError_tPvRmT3_T4_T5_T6_T7_T9_mT8_P12ihipStream_tbDpT10_ENKUlT_T0_E_clISt17integral_constantIbLb0EES18_IbLb1EEEEDaS14_S15_EUlS14_E_NS1_11comp_targetILNS1_3genE2ELNS1_11target_archE906ELNS1_3gpuE6ELNS1_3repE0EEENS1_30default_config_static_selectorELNS0_4arch9wavefront6targetE1EEEvT1_,"axG",@progbits,_ZN7rocprim17ROCPRIM_400000_NS6detail17trampoline_kernelINS0_14default_configENS1_25partition_config_selectorILNS1_17partition_subalgoE0EtNS0_10empty_typeEbEEZZNS1_14partition_implILS5_0ELb0ES3_jN6thrust23THRUST_200600_302600_NS6detail15normal_iteratorINSA_10device_ptrItEEEEPS6_SG_NS0_5tupleIJNSA_16discard_iteratorINSA_11use_defaultEEESK_EEENSH_IJSG_SG_EEES6_PlJ7is_evenItEEEE10hipError_tPvRmT3_T4_T5_T6_T7_T9_mT8_P12ihipStream_tbDpT10_ENKUlT_T0_E_clISt17integral_constantIbLb0EES18_IbLb1EEEEDaS14_S15_EUlS14_E_NS1_11comp_targetILNS1_3genE2ELNS1_11target_archE906ELNS1_3gpuE6ELNS1_3repE0EEENS1_30default_config_static_selectorELNS0_4arch9wavefront6targetE1EEEvT1_,comdat
	.protected	_ZN7rocprim17ROCPRIM_400000_NS6detail17trampoline_kernelINS0_14default_configENS1_25partition_config_selectorILNS1_17partition_subalgoE0EtNS0_10empty_typeEbEEZZNS1_14partition_implILS5_0ELb0ES3_jN6thrust23THRUST_200600_302600_NS6detail15normal_iteratorINSA_10device_ptrItEEEEPS6_SG_NS0_5tupleIJNSA_16discard_iteratorINSA_11use_defaultEEESK_EEENSH_IJSG_SG_EEES6_PlJ7is_evenItEEEE10hipError_tPvRmT3_T4_T5_T6_T7_T9_mT8_P12ihipStream_tbDpT10_ENKUlT_T0_E_clISt17integral_constantIbLb0EES18_IbLb1EEEEDaS14_S15_EUlS14_E_NS1_11comp_targetILNS1_3genE2ELNS1_11target_archE906ELNS1_3gpuE6ELNS1_3repE0EEENS1_30default_config_static_selectorELNS0_4arch9wavefront6targetE1EEEvT1_ ; -- Begin function _ZN7rocprim17ROCPRIM_400000_NS6detail17trampoline_kernelINS0_14default_configENS1_25partition_config_selectorILNS1_17partition_subalgoE0EtNS0_10empty_typeEbEEZZNS1_14partition_implILS5_0ELb0ES3_jN6thrust23THRUST_200600_302600_NS6detail15normal_iteratorINSA_10device_ptrItEEEEPS6_SG_NS0_5tupleIJNSA_16discard_iteratorINSA_11use_defaultEEESK_EEENSH_IJSG_SG_EEES6_PlJ7is_evenItEEEE10hipError_tPvRmT3_T4_T5_T6_T7_T9_mT8_P12ihipStream_tbDpT10_ENKUlT_T0_E_clISt17integral_constantIbLb0EES18_IbLb1EEEEDaS14_S15_EUlS14_E_NS1_11comp_targetILNS1_3genE2ELNS1_11target_archE906ELNS1_3gpuE6ELNS1_3repE0EEENS1_30default_config_static_selectorELNS0_4arch9wavefront6targetE1EEEvT1_
	.globl	_ZN7rocprim17ROCPRIM_400000_NS6detail17trampoline_kernelINS0_14default_configENS1_25partition_config_selectorILNS1_17partition_subalgoE0EtNS0_10empty_typeEbEEZZNS1_14partition_implILS5_0ELb0ES3_jN6thrust23THRUST_200600_302600_NS6detail15normal_iteratorINSA_10device_ptrItEEEEPS6_SG_NS0_5tupleIJNSA_16discard_iteratorINSA_11use_defaultEEESK_EEENSH_IJSG_SG_EEES6_PlJ7is_evenItEEEE10hipError_tPvRmT3_T4_T5_T6_T7_T9_mT8_P12ihipStream_tbDpT10_ENKUlT_T0_E_clISt17integral_constantIbLb0EES18_IbLb1EEEEDaS14_S15_EUlS14_E_NS1_11comp_targetILNS1_3genE2ELNS1_11target_archE906ELNS1_3gpuE6ELNS1_3repE0EEENS1_30default_config_static_selectorELNS0_4arch9wavefront6targetE1EEEvT1_
	.p2align	8
	.type	_ZN7rocprim17ROCPRIM_400000_NS6detail17trampoline_kernelINS0_14default_configENS1_25partition_config_selectorILNS1_17partition_subalgoE0EtNS0_10empty_typeEbEEZZNS1_14partition_implILS5_0ELb0ES3_jN6thrust23THRUST_200600_302600_NS6detail15normal_iteratorINSA_10device_ptrItEEEEPS6_SG_NS0_5tupleIJNSA_16discard_iteratorINSA_11use_defaultEEESK_EEENSH_IJSG_SG_EEES6_PlJ7is_evenItEEEE10hipError_tPvRmT3_T4_T5_T6_T7_T9_mT8_P12ihipStream_tbDpT10_ENKUlT_T0_E_clISt17integral_constantIbLb0EES18_IbLb1EEEEDaS14_S15_EUlS14_E_NS1_11comp_targetILNS1_3genE2ELNS1_11target_archE906ELNS1_3gpuE6ELNS1_3repE0EEENS1_30default_config_static_selectorELNS0_4arch9wavefront6targetE1EEEvT1_,@function
_ZN7rocprim17ROCPRIM_400000_NS6detail17trampoline_kernelINS0_14default_configENS1_25partition_config_selectorILNS1_17partition_subalgoE0EtNS0_10empty_typeEbEEZZNS1_14partition_implILS5_0ELb0ES3_jN6thrust23THRUST_200600_302600_NS6detail15normal_iteratorINSA_10device_ptrItEEEEPS6_SG_NS0_5tupleIJNSA_16discard_iteratorINSA_11use_defaultEEESK_EEENSH_IJSG_SG_EEES6_PlJ7is_evenItEEEE10hipError_tPvRmT3_T4_T5_T6_T7_T9_mT8_P12ihipStream_tbDpT10_ENKUlT_T0_E_clISt17integral_constantIbLb0EES18_IbLb1EEEEDaS14_S15_EUlS14_E_NS1_11comp_targetILNS1_3genE2ELNS1_11target_archE906ELNS1_3gpuE6ELNS1_3repE0EEENS1_30default_config_static_selectorELNS0_4arch9wavefront6targetE1EEEvT1_: ; @_ZN7rocprim17ROCPRIM_400000_NS6detail17trampoline_kernelINS0_14default_configENS1_25partition_config_selectorILNS1_17partition_subalgoE0EtNS0_10empty_typeEbEEZZNS1_14partition_implILS5_0ELb0ES3_jN6thrust23THRUST_200600_302600_NS6detail15normal_iteratorINSA_10device_ptrItEEEEPS6_SG_NS0_5tupleIJNSA_16discard_iteratorINSA_11use_defaultEEESK_EEENSH_IJSG_SG_EEES6_PlJ7is_evenItEEEE10hipError_tPvRmT3_T4_T5_T6_T7_T9_mT8_P12ihipStream_tbDpT10_ENKUlT_T0_E_clISt17integral_constantIbLb0EES18_IbLb1EEEEDaS14_S15_EUlS14_E_NS1_11comp_targetILNS1_3genE2ELNS1_11target_archE906ELNS1_3gpuE6ELNS1_3repE0EEENS1_30default_config_static_selectorELNS0_4arch9wavefront6targetE1EEEvT1_
; %bb.0:
	.section	.rodata,"a",@progbits
	.p2align	6, 0x0
	.amdhsa_kernel _ZN7rocprim17ROCPRIM_400000_NS6detail17trampoline_kernelINS0_14default_configENS1_25partition_config_selectorILNS1_17partition_subalgoE0EtNS0_10empty_typeEbEEZZNS1_14partition_implILS5_0ELb0ES3_jN6thrust23THRUST_200600_302600_NS6detail15normal_iteratorINSA_10device_ptrItEEEEPS6_SG_NS0_5tupleIJNSA_16discard_iteratorINSA_11use_defaultEEESK_EEENSH_IJSG_SG_EEES6_PlJ7is_evenItEEEE10hipError_tPvRmT3_T4_T5_T6_T7_T9_mT8_P12ihipStream_tbDpT10_ENKUlT_T0_E_clISt17integral_constantIbLb0EES18_IbLb1EEEEDaS14_S15_EUlS14_E_NS1_11comp_targetILNS1_3genE2ELNS1_11target_archE906ELNS1_3gpuE6ELNS1_3repE0EEENS1_30default_config_static_selectorELNS0_4arch9wavefront6targetE1EEEvT1_
		.amdhsa_group_segment_fixed_size 0
		.amdhsa_private_segment_fixed_size 0
		.amdhsa_kernarg_size 152
		.amdhsa_user_sgpr_count 2
		.amdhsa_user_sgpr_dispatch_ptr 0
		.amdhsa_user_sgpr_queue_ptr 0
		.amdhsa_user_sgpr_kernarg_segment_ptr 1
		.amdhsa_user_sgpr_dispatch_id 0
		.amdhsa_user_sgpr_kernarg_preload_length 0
		.amdhsa_user_sgpr_kernarg_preload_offset 0
		.amdhsa_user_sgpr_private_segment_size 0
		.amdhsa_uses_dynamic_stack 0
		.amdhsa_enable_private_segment 0
		.amdhsa_system_sgpr_workgroup_id_x 1
		.amdhsa_system_sgpr_workgroup_id_y 0
		.amdhsa_system_sgpr_workgroup_id_z 0
		.amdhsa_system_sgpr_workgroup_info 0
		.amdhsa_system_vgpr_workitem_id 0
		.amdhsa_next_free_vgpr 1
		.amdhsa_next_free_sgpr 0
		.amdhsa_accum_offset 4
		.amdhsa_reserve_vcc 0
		.amdhsa_float_round_mode_32 0
		.amdhsa_float_round_mode_16_64 0
		.amdhsa_float_denorm_mode_32 3
		.amdhsa_float_denorm_mode_16_64 3
		.amdhsa_dx10_clamp 1
		.amdhsa_ieee_mode 1
		.amdhsa_fp16_overflow 0
		.amdhsa_tg_split 0
		.amdhsa_exception_fp_ieee_invalid_op 0
		.amdhsa_exception_fp_denorm_src 0
		.amdhsa_exception_fp_ieee_div_zero 0
		.amdhsa_exception_fp_ieee_overflow 0
		.amdhsa_exception_fp_ieee_underflow 0
		.amdhsa_exception_fp_ieee_inexact 0
		.amdhsa_exception_int_div_zero 0
	.end_amdhsa_kernel
	.section	.text._ZN7rocprim17ROCPRIM_400000_NS6detail17trampoline_kernelINS0_14default_configENS1_25partition_config_selectorILNS1_17partition_subalgoE0EtNS0_10empty_typeEbEEZZNS1_14partition_implILS5_0ELb0ES3_jN6thrust23THRUST_200600_302600_NS6detail15normal_iteratorINSA_10device_ptrItEEEEPS6_SG_NS0_5tupleIJNSA_16discard_iteratorINSA_11use_defaultEEESK_EEENSH_IJSG_SG_EEES6_PlJ7is_evenItEEEE10hipError_tPvRmT3_T4_T5_T6_T7_T9_mT8_P12ihipStream_tbDpT10_ENKUlT_T0_E_clISt17integral_constantIbLb0EES18_IbLb1EEEEDaS14_S15_EUlS14_E_NS1_11comp_targetILNS1_3genE2ELNS1_11target_archE906ELNS1_3gpuE6ELNS1_3repE0EEENS1_30default_config_static_selectorELNS0_4arch9wavefront6targetE1EEEvT1_,"axG",@progbits,_ZN7rocprim17ROCPRIM_400000_NS6detail17trampoline_kernelINS0_14default_configENS1_25partition_config_selectorILNS1_17partition_subalgoE0EtNS0_10empty_typeEbEEZZNS1_14partition_implILS5_0ELb0ES3_jN6thrust23THRUST_200600_302600_NS6detail15normal_iteratorINSA_10device_ptrItEEEEPS6_SG_NS0_5tupleIJNSA_16discard_iteratorINSA_11use_defaultEEESK_EEENSH_IJSG_SG_EEES6_PlJ7is_evenItEEEE10hipError_tPvRmT3_T4_T5_T6_T7_T9_mT8_P12ihipStream_tbDpT10_ENKUlT_T0_E_clISt17integral_constantIbLb0EES18_IbLb1EEEEDaS14_S15_EUlS14_E_NS1_11comp_targetILNS1_3genE2ELNS1_11target_archE906ELNS1_3gpuE6ELNS1_3repE0EEENS1_30default_config_static_selectorELNS0_4arch9wavefront6targetE1EEEvT1_,comdat
.Lfunc_end2519:
	.size	_ZN7rocprim17ROCPRIM_400000_NS6detail17trampoline_kernelINS0_14default_configENS1_25partition_config_selectorILNS1_17partition_subalgoE0EtNS0_10empty_typeEbEEZZNS1_14partition_implILS5_0ELb0ES3_jN6thrust23THRUST_200600_302600_NS6detail15normal_iteratorINSA_10device_ptrItEEEEPS6_SG_NS0_5tupleIJNSA_16discard_iteratorINSA_11use_defaultEEESK_EEENSH_IJSG_SG_EEES6_PlJ7is_evenItEEEE10hipError_tPvRmT3_T4_T5_T6_T7_T9_mT8_P12ihipStream_tbDpT10_ENKUlT_T0_E_clISt17integral_constantIbLb0EES18_IbLb1EEEEDaS14_S15_EUlS14_E_NS1_11comp_targetILNS1_3genE2ELNS1_11target_archE906ELNS1_3gpuE6ELNS1_3repE0EEENS1_30default_config_static_selectorELNS0_4arch9wavefront6targetE1EEEvT1_, .Lfunc_end2519-_ZN7rocprim17ROCPRIM_400000_NS6detail17trampoline_kernelINS0_14default_configENS1_25partition_config_selectorILNS1_17partition_subalgoE0EtNS0_10empty_typeEbEEZZNS1_14partition_implILS5_0ELb0ES3_jN6thrust23THRUST_200600_302600_NS6detail15normal_iteratorINSA_10device_ptrItEEEEPS6_SG_NS0_5tupleIJNSA_16discard_iteratorINSA_11use_defaultEEESK_EEENSH_IJSG_SG_EEES6_PlJ7is_evenItEEEE10hipError_tPvRmT3_T4_T5_T6_T7_T9_mT8_P12ihipStream_tbDpT10_ENKUlT_T0_E_clISt17integral_constantIbLb0EES18_IbLb1EEEEDaS14_S15_EUlS14_E_NS1_11comp_targetILNS1_3genE2ELNS1_11target_archE906ELNS1_3gpuE6ELNS1_3repE0EEENS1_30default_config_static_selectorELNS0_4arch9wavefront6targetE1EEEvT1_
                                        ; -- End function
	.section	.AMDGPU.csdata,"",@progbits
; Kernel info:
; codeLenInByte = 0
; NumSgprs: 6
; NumVgprs: 0
; NumAgprs: 0
; TotalNumVgprs: 0
; ScratchSize: 0
; MemoryBound: 0
; FloatMode: 240
; IeeeMode: 1
; LDSByteSize: 0 bytes/workgroup (compile time only)
; SGPRBlocks: 0
; VGPRBlocks: 0
; NumSGPRsForWavesPerEU: 6
; NumVGPRsForWavesPerEU: 1
; AccumOffset: 4
; Occupancy: 8
; WaveLimiterHint : 0
; COMPUTE_PGM_RSRC2:SCRATCH_EN: 0
; COMPUTE_PGM_RSRC2:USER_SGPR: 2
; COMPUTE_PGM_RSRC2:TRAP_HANDLER: 0
; COMPUTE_PGM_RSRC2:TGID_X_EN: 1
; COMPUTE_PGM_RSRC2:TGID_Y_EN: 0
; COMPUTE_PGM_RSRC2:TGID_Z_EN: 0
; COMPUTE_PGM_RSRC2:TIDIG_COMP_CNT: 0
; COMPUTE_PGM_RSRC3_GFX90A:ACCUM_OFFSET: 0
; COMPUTE_PGM_RSRC3_GFX90A:TG_SPLIT: 0
	.section	.text._ZN7rocprim17ROCPRIM_400000_NS6detail17trampoline_kernelINS0_14default_configENS1_25partition_config_selectorILNS1_17partition_subalgoE0EtNS0_10empty_typeEbEEZZNS1_14partition_implILS5_0ELb0ES3_jN6thrust23THRUST_200600_302600_NS6detail15normal_iteratorINSA_10device_ptrItEEEEPS6_SG_NS0_5tupleIJNSA_16discard_iteratorINSA_11use_defaultEEESK_EEENSH_IJSG_SG_EEES6_PlJ7is_evenItEEEE10hipError_tPvRmT3_T4_T5_T6_T7_T9_mT8_P12ihipStream_tbDpT10_ENKUlT_T0_E_clISt17integral_constantIbLb0EES18_IbLb1EEEEDaS14_S15_EUlS14_E_NS1_11comp_targetILNS1_3genE10ELNS1_11target_archE1200ELNS1_3gpuE4ELNS1_3repE0EEENS1_30default_config_static_selectorELNS0_4arch9wavefront6targetE1EEEvT1_,"axG",@progbits,_ZN7rocprim17ROCPRIM_400000_NS6detail17trampoline_kernelINS0_14default_configENS1_25partition_config_selectorILNS1_17partition_subalgoE0EtNS0_10empty_typeEbEEZZNS1_14partition_implILS5_0ELb0ES3_jN6thrust23THRUST_200600_302600_NS6detail15normal_iteratorINSA_10device_ptrItEEEEPS6_SG_NS0_5tupleIJNSA_16discard_iteratorINSA_11use_defaultEEESK_EEENSH_IJSG_SG_EEES6_PlJ7is_evenItEEEE10hipError_tPvRmT3_T4_T5_T6_T7_T9_mT8_P12ihipStream_tbDpT10_ENKUlT_T0_E_clISt17integral_constantIbLb0EES18_IbLb1EEEEDaS14_S15_EUlS14_E_NS1_11comp_targetILNS1_3genE10ELNS1_11target_archE1200ELNS1_3gpuE4ELNS1_3repE0EEENS1_30default_config_static_selectorELNS0_4arch9wavefront6targetE1EEEvT1_,comdat
	.protected	_ZN7rocprim17ROCPRIM_400000_NS6detail17trampoline_kernelINS0_14default_configENS1_25partition_config_selectorILNS1_17partition_subalgoE0EtNS0_10empty_typeEbEEZZNS1_14partition_implILS5_0ELb0ES3_jN6thrust23THRUST_200600_302600_NS6detail15normal_iteratorINSA_10device_ptrItEEEEPS6_SG_NS0_5tupleIJNSA_16discard_iteratorINSA_11use_defaultEEESK_EEENSH_IJSG_SG_EEES6_PlJ7is_evenItEEEE10hipError_tPvRmT3_T4_T5_T6_T7_T9_mT8_P12ihipStream_tbDpT10_ENKUlT_T0_E_clISt17integral_constantIbLb0EES18_IbLb1EEEEDaS14_S15_EUlS14_E_NS1_11comp_targetILNS1_3genE10ELNS1_11target_archE1200ELNS1_3gpuE4ELNS1_3repE0EEENS1_30default_config_static_selectorELNS0_4arch9wavefront6targetE1EEEvT1_ ; -- Begin function _ZN7rocprim17ROCPRIM_400000_NS6detail17trampoline_kernelINS0_14default_configENS1_25partition_config_selectorILNS1_17partition_subalgoE0EtNS0_10empty_typeEbEEZZNS1_14partition_implILS5_0ELb0ES3_jN6thrust23THRUST_200600_302600_NS6detail15normal_iteratorINSA_10device_ptrItEEEEPS6_SG_NS0_5tupleIJNSA_16discard_iteratorINSA_11use_defaultEEESK_EEENSH_IJSG_SG_EEES6_PlJ7is_evenItEEEE10hipError_tPvRmT3_T4_T5_T6_T7_T9_mT8_P12ihipStream_tbDpT10_ENKUlT_T0_E_clISt17integral_constantIbLb0EES18_IbLb1EEEEDaS14_S15_EUlS14_E_NS1_11comp_targetILNS1_3genE10ELNS1_11target_archE1200ELNS1_3gpuE4ELNS1_3repE0EEENS1_30default_config_static_selectorELNS0_4arch9wavefront6targetE1EEEvT1_
	.globl	_ZN7rocprim17ROCPRIM_400000_NS6detail17trampoline_kernelINS0_14default_configENS1_25partition_config_selectorILNS1_17partition_subalgoE0EtNS0_10empty_typeEbEEZZNS1_14partition_implILS5_0ELb0ES3_jN6thrust23THRUST_200600_302600_NS6detail15normal_iteratorINSA_10device_ptrItEEEEPS6_SG_NS0_5tupleIJNSA_16discard_iteratorINSA_11use_defaultEEESK_EEENSH_IJSG_SG_EEES6_PlJ7is_evenItEEEE10hipError_tPvRmT3_T4_T5_T6_T7_T9_mT8_P12ihipStream_tbDpT10_ENKUlT_T0_E_clISt17integral_constantIbLb0EES18_IbLb1EEEEDaS14_S15_EUlS14_E_NS1_11comp_targetILNS1_3genE10ELNS1_11target_archE1200ELNS1_3gpuE4ELNS1_3repE0EEENS1_30default_config_static_selectorELNS0_4arch9wavefront6targetE1EEEvT1_
	.p2align	8
	.type	_ZN7rocprim17ROCPRIM_400000_NS6detail17trampoline_kernelINS0_14default_configENS1_25partition_config_selectorILNS1_17partition_subalgoE0EtNS0_10empty_typeEbEEZZNS1_14partition_implILS5_0ELb0ES3_jN6thrust23THRUST_200600_302600_NS6detail15normal_iteratorINSA_10device_ptrItEEEEPS6_SG_NS0_5tupleIJNSA_16discard_iteratorINSA_11use_defaultEEESK_EEENSH_IJSG_SG_EEES6_PlJ7is_evenItEEEE10hipError_tPvRmT3_T4_T5_T6_T7_T9_mT8_P12ihipStream_tbDpT10_ENKUlT_T0_E_clISt17integral_constantIbLb0EES18_IbLb1EEEEDaS14_S15_EUlS14_E_NS1_11comp_targetILNS1_3genE10ELNS1_11target_archE1200ELNS1_3gpuE4ELNS1_3repE0EEENS1_30default_config_static_selectorELNS0_4arch9wavefront6targetE1EEEvT1_,@function
_ZN7rocprim17ROCPRIM_400000_NS6detail17trampoline_kernelINS0_14default_configENS1_25partition_config_selectorILNS1_17partition_subalgoE0EtNS0_10empty_typeEbEEZZNS1_14partition_implILS5_0ELb0ES3_jN6thrust23THRUST_200600_302600_NS6detail15normal_iteratorINSA_10device_ptrItEEEEPS6_SG_NS0_5tupleIJNSA_16discard_iteratorINSA_11use_defaultEEESK_EEENSH_IJSG_SG_EEES6_PlJ7is_evenItEEEE10hipError_tPvRmT3_T4_T5_T6_T7_T9_mT8_P12ihipStream_tbDpT10_ENKUlT_T0_E_clISt17integral_constantIbLb0EES18_IbLb1EEEEDaS14_S15_EUlS14_E_NS1_11comp_targetILNS1_3genE10ELNS1_11target_archE1200ELNS1_3gpuE4ELNS1_3repE0EEENS1_30default_config_static_selectorELNS0_4arch9wavefront6targetE1EEEvT1_: ; @_ZN7rocprim17ROCPRIM_400000_NS6detail17trampoline_kernelINS0_14default_configENS1_25partition_config_selectorILNS1_17partition_subalgoE0EtNS0_10empty_typeEbEEZZNS1_14partition_implILS5_0ELb0ES3_jN6thrust23THRUST_200600_302600_NS6detail15normal_iteratorINSA_10device_ptrItEEEEPS6_SG_NS0_5tupleIJNSA_16discard_iteratorINSA_11use_defaultEEESK_EEENSH_IJSG_SG_EEES6_PlJ7is_evenItEEEE10hipError_tPvRmT3_T4_T5_T6_T7_T9_mT8_P12ihipStream_tbDpT10_ENKUlT_T0_E_clISt17integral_constantIbLb0EES18_IbLb1EEEEDaS14_S15_EUlS14_E_NS1_11comp_targetILNS1_3genE10ELNS1_11target_archE1200ELNS1_3gpuE4ELNS1_3repE0EEENS1_30default_config_static_selectorELNS0_4arch9wavefront6targetE1EEEvT1_
; %bb.0:
	.section	.rodata,"a",@progbits
	.p2align	6, 0x0
	.amdhsa_kernel _ZN7rocprim17ROCPRIM_400000_NS6detail17trampoline_kernelINS0_14default_configENS1_25partition_config_selectorILNS1_17partition_subalgoE0EtNS0_10empty_typeEbEEZZNS1_14partition_implILS5_0ELb0ES3_jN6thrust23THRUST_200600_302600_NS6detail15normal_iteratorINSA_10device_ptrItEEEEPS6_SG_NS0_5tupleIJNSA_16discard_iteratorINSA_11use_defaultEEESK_EEENSH_IJSG_SG_EEES6_PlJ7is_evenItEEEE10hipError_tPvRmT3_T4_T5_T6_T7_T9_mT8_P12ihipStream_tbDpT10_ENKUlT_T0_E_clISt17integral_constantIbLb0EES18_IbLb1EEEEDaS14_S15_EUlS14_E_NS1_11comp_targetILNS1_3genE10ELNS1_11target_archE1200ELNS1_3gpuE4ELNS1_3repE0EEENS1_30default_config_static_selectorELNS0_4arch9wavefront6targetE1EEEvT1_
		.amdhsa_group_segment_fixed_size 0
		.amdhsa_private_segment_fixed_size 0
		.amdhsa_kernarg_size 152
		.amdhsa_user_sgpr_count 2
		.amdhsa_user_sgpr_dispatch_ptr 0
		.amdhsa_user_sgpr_queue_ptr 0
		.amdhsa_user_sgpr_kernarg_segment_ptr 1
		.amdhsa_user_sgpr_dispatch_id 0
		.amdhsa_user_sgpr_kernarg_preload_length 0
		.amdhsa_user_sgpr_kernarg_preload_offset 0
		.amdhsa_user_sgpr_private_segment_size 0
		.amdhsa_uses_dynamic_stack 0
		.amdhsa_enable_private_segment 0
		.amdhsa_system_sgpr_workgroup_id_x 1
		.amdhsa_system_sgpr_workgroup_id_y 0
		.amdhsa_system_sgpr_workgroup_id_z 0
		.amdhsa_system_sgpr_workgroup_info 0
		.amdhsa_system_vgpr_workitem_id 0
		.amdhsa_next_free_vgpr 1
		.amdhsa_next_free_sgpr 0
		.amdhsa_accum_offset 4
		.amdhsa_reserve_vcc 0
		.amdhsa_float_round_mode_32 0
		.amdhsa_float_round_mode_16_64 0
		.amdhsa_float_denorm_mode_32 3
		.amdhsa_float_denorm_mode_16_64 3
		.amdhsa_dx10_clamp 1
		.amdhsa_ieee_mode 1
		.amdhsa_fp16_overflow 0
		.amdhsa_tg_split 0
		.amdhsa_exception_fp_ieee_invalid_op 0
		.amdhsa_exception_fp_denorm_src 0
		.amdhsa_exception_fp_ieee_div_zero 0
		.amdhsa_exception_fp_ieee_overflow 0
		.amdhsa_exception_fp_ieee_underflow 0
		.amdhsa_exception_fp_ieee_inexact 0
		.amdhsa_exception_int_div_zero 0
	.end_amdhsa_kernel
	.section	.text._ZN7rocprim17ROCPRIM_400000_NS6detail17trampoline_kernelINS0_14default_configENS1_25partition_config_selectorILNS1_17partition_subalgoE0EtNS0_10empty_typeEbEEZZNS1_14partition_implILS5_0ELb0ES3_jN6thrust23THRUST_200600_302600_NS6detail15normal_iteratorINSA_10device_ptrItEEEEPS6_SG_NS0_5tupleIJNSA_16discard_iteratorINSA_11use_defaultEEESK_EEENSH_IJSG_SG_EEES6_PlJ7is_evenItEEEE10hipError_tPvRmT3_T4_T5_T6_T7_T9_mT8_P12ihipStream_tbDpT10_ENKUlT_T0_E_clISt17integral_constantIbLb0EES18_IbLb1EEEEDaS14_S15_EUlS14_E_NS1_11comp_targetILNS1_3genE10ELNS1_11target_archE1200ELNS1_3gpuE4ELNS1_3repE0EEENS1_30default_config_static_selectorELNS0_4arch9wavefront6targetE1EEEvT1_,"axG",@progbits,_ZN7rocprim17ROCPRIM_400000_NS6detail17trampoline_kernelINS0_14default_configENS1_25partition_config_selectorILNS1_17partition_subalgoE0EtNS0_10empty_typeEbEEZZNS1_14partition_implILS5_0ELb0ES3_jN6thrust23THRUST_200600_302600_NS6detail15normal_iteratorINSA_10device_ptrItEEEEPS6_SG_NS0_5tupleIJNSA_16discard_iteratorINSA_11use_defaultEEESK_EEENSH_IJSG_SG_EEES6_PlJ7is_evenItEEEE10hipError_tPvRmT3_T4_T5_T6_T7_T9_mT8_P12ihipStream_tbDpT10_ENKUlT_T0_E_clISt17integral_constantIbLb0EES18_IbLb1EEEEDaS14_S15_EUlS14_E_NS1_11comp_targetILNS1_3genE10ELNS1_11target_archE1200ELNS1_3gpuE4ELNS1_3repE0EEENS1_30default_config_static_selectorELNS0_4arch9wavefront6targetE1EEEvT1_,comdat
.Lfunc_end2520:
	.size	_ZN7rocprim17ROCPRIM_400000_NS6detail17trampoline_kernelINS0_14default_configENS1_25partition_config_selectorILNS1_17partition_subalgoE0EtNS0_10empty_typeEbEEZZNS1_14partition_implILS5_0ELb0ES3_jN6thrust23THRUST_200600_302600_NS6detail15normal_iteratorINSA_10device_ptrItEEEEPS6_SG_NS0_5tupleIJNSA_16discard_iteratorINSA_11use_defaultEEESK_EEENSH_IJSG_SG_EEES6_PlJ7is_evenItEEEE10hipError_tPvRmT3_T4_T5_T6_T7_T9_mT8_P12ihipStream_tbDpT10_ENKUlT_T0_E_clISt17integral_constantIbLb0EES18_IbLb1EEEEDaS14_S15_EUlS14_E_NS1_11comp_targetILNS1_3genE10ELNS1_11target_archE1200ELNS1_3gpuE4ELNS1_3repE0EEENS1_30default_config_static_selectorELNS0_4arch9wavefront6targetE1EEEvT1_, .Lfunc_end2520-_ZN7rocprim17ROCPRIM_400000_NS6detail17trampoline_kernelINS0_14default_configENS1_25partition_config_selectorILNS1_17partition_subalgoE0EtNS0_10empty_typeEbEEZZNS1_14partition_implILS5_0ELb0ES3_jN6thrust23THRUST_200600_302600_NS6detail15normal_iteratorINSA_10device_ptrItEEEEPS6_SG_NS0_5tupleIJNSA_16discard_iteratorINSA_11use_defaultEEESK_EEENSH_IJSG_SG_EEES6_PlJ7is_evenItEEEE10hipError_tPvRmT3_T4_T5_T6_T7_T9_mT8_P12ihipStream_tbDpT10_ENKUlT_T0_E_clISt17integral_constantIbLb0EES18_IbLb1EEEEDaS14_S15_EUlS14_E_NS1_11comp_targetILNS1_3genE10ELNS1_11target_archE1200ELNS1_3gpuE4ELNS1_3repE0EEENS1_30default_config_static_selectorELNS0_4arch9wavefront6targetE1EEEvT1_
                                        ; -- End function
	.section	.AMDGPU.csdata,"",@progbits
; Kernel info:
; codeLenInByte = 0
; NumSgprs: 6
; NumVgprs: 0
; NumAgprs: 0
; TotalNumVgprs: 0
; ScratchSize: 0
; MemoryBound: 0
; FloatMode: 240
; IeeeMode: 1
; LDSByteSize: 0 bytes/workgroup (compile time only)
; SGPRBlocks: 0
; VGPRBlocks: 0
; NumSGPRsForWavesPerEU: 6
; NumVGPRsForWavesPerEU: 1
; AccumOffset: 4
; Occupancy: 8
; WaveLimiterHint : 0
; COMPUTE_PGM_RSRC2:SCRATCH_EN: 0
; COMPUTE_PGM_RSRC2:USER_SGPR: 2
; COMPUTE_PGM_RSRC2:TRAP_HANDLER: 0
; COMPUTE_PGM_RSRC2:TGID_X_EN: 1
; COMPUTE_PGM_RSRC2:TGID_Y_EN: 0
; COMPUTE_PGM_RSRC2:TGID_Z_EN: 0
; COMPUTE_PGM_RSRC2:TIDIG_COMP_CNT: 0
; COMPUTE_PGM_RSRC3_GFX90A:ACCUM_OFFSET: 0
; COMPUTE_PGM_RSRC3_GFX90A:TG_SPLIT: 0
	.section	.text._ZN7rocprim17ROCPRIM_400000_NS6detail17trampoline_kernelINS0_14default_configENS1_25partition_config_selectorILNS1_17partition_subalgoE0EtNS0_10empty_typeEbEEZZNS1_14partition_implILS5_0ELb0ES3_jN6thrust23THRUST_200600_302600_NS6detail15normal_iteratorINSA_10device_ptrItEEEEPS6_SG_NS0_5tupleIJNSA_16discard_iteratorINSA_11use_defaultEEESK_EEENSH_IJSG_SG_EEES6_PlJ7is_evenItEEEE10hipError_tPvRmT3_T4_T5_T6_T7_T9_mT8_P12ihipStream_tbDpT10_ENKUlT_T0_E_clISt17integral_constantIbLb0EES18_IbLb1EEEEDaS14_S15_EUlS14_E_NS1_11comp_targetILNS1_3genE9ELNS1_11target_archE1100ELNS1_3gpuE3ELNS1_3repE0EEENS1_30default_config_static_selectorELNS0_4arch9wavefront6targetE1EEEvT1_,"axG",@progbits,_ZN7rocprim17ROCPRIM_400000_NS6detail17trampoline_kernelINS0_14default_configENS1_25partition_config_selectorILNS1_17partition_subalgoE0EtNS0_10empty_typeEbEEZZNS1_14partition_implILS5_0ELb0ES3_jN6thrust23THRUST_200600_302600_NS6detail15normal_iteratorINSA_10device_ptrItEEEEPS6_SG_NS0_5tupleIJNSA_16discard_iteratorINSA_11use_defaultEEESK_EEENSH_IJSG_SG_EEES6_PlJ7is_evenItEEEE10hipError_tPvRmT3_T4_T5_T6_T7_T9_mT8_P12ihipStream_tbDpT10_ENKUlT_T0_E_clISt17integral_constantIbLb0EES18_IbLb1EEEEDaS14_S15_EUlS14_E_NS1_11comp_targetILNS1_3genE9ELNS1_11target_archE1100ELNS1_3gpuE3ELNS1_3repE0EEENS1_30default_config_static_selectorELNS0_4arch9wavefront6targetE1EEEvT1_,comdat
	.protected	_ZN7rocprim17ROCPRIM_400000_NS6detail17trampoline_kernelINS0_14default_configENS1_25partition_config_selectorILNS1_17partition_subalgoE0EtNS0_10empty_typeEbEEZZNS1_14partition_implILS5_0ELb0ES3_jN6thrust23THRUST_200600_302600_NS6detail15normal_iteratorINSA_10device_ptrItEEEEPS6_SG_NS0_5tupleIJNSA_16discard_iteratorINSA_11use_defaultEEESK_EEENSH_IJSG_SG_EEES6_PlJ7is_evenItEEEE10hipError_tPvRmT3_T4_T5_T6_T7_T9_mT8_P12ihipStream_tbDpT10_ENKUlT_T0_E_clISt17integral_constantIbLb0EES18_IbLb1EEEEDaS14_S15_EUlS14_E_NS1_11comp_targetILNS1_3genE9ELNS1_11target_archE1100ELNS1_3gpuE3ELNS1_3repE0EEENS1_30default_config_static_selectorELNS0_4arch9wavefront6targetE1EEEvT1_ ; -- Begin function _ZN7rocprim17ROCPRIM_400000_NS6detail17trampoline_kernelINS0_14default_configENS1_25partition_config_selectorILNS1_17partition_subalgoE0EtNS0_10empty_typeEbEEZZNS1_14partition_implILS5_0ELb0ES3_jN6thrust23THRUST_200600_302600_NS6detail15normal_iteratorINSA_10device_ptrItEEEEPS6_SG_NS0_5tupleIJNSA_16discard_iteratorINSA_11use_defaultEEESK_EEENSH_IJSG_SG_EEES6_PlJ7is_evenItEEEE10hipError_tPvRmT3_T4_T5_T6_T7_T9_mT8_P12ihipStream_tbDpT10_ENKUlT_T0_E_clISt17integral_constantIbLb0EES18_IbLb1EEEEDaS14_S15_EUlS14_E_NS1_11comp_targetILNS1_3genE9ELNS1_11target_archE1100ELNS1_3gpuE3ELNS1_3repE0EEENS1_30default_config_static_selectorELNS0_4arch9wavefront6targetE1EEEvT1_
	.globl	_ZN7rocprim17ROCPRIM_400000_NS6detail17trampoline_kernelINS0_14default_configENS1_25partition_config_selectorILNS1_17partition_subalgoE0EtNS0_10empty_typeEbEEZZNS1_14partition_implILS5_0ELb0ES3_jN6thrust23THRUST_200600_302600_NS6detail15normal_iteratorINSA_10device_ptrItEEEEPS6_SG_NS0_5tupleIJNSA_16discard_iteratorINSA_11use_defaultEEESK_EEENSH_IJSG_SG_EEES6_PlJ7is_evenItEEEE10hipError_tPvRmT3_T4_T5_T6_T7_T9_mT8_P12ihipStream_tbDpT10_ENKUlT_T0_E_clISt17integral_constantIbLb0EES18_IbLb1EEEEDaS14_S15_EUlS14_E_NS1_11comp_targetILNS1_3genE9ELNS1_11target_archE1100ELNS1_3gpuE3ELNS1_3repE0EEENS1_30default_config_static_selectorELNS0_4arch9wavefront6targetE1EEEvT1_
	.p2align	8
	.type	_ZN7rocprim17ROCPRIM_400000_NS6detail17trampoline_kernelINS0_14default_configENS1_25partition_config_selectorILNS1_17partition_subalgoE0EtNS0_10empty_typeEbEEZZNS1_14partition_implILS5_0ELb0ES3_jN6thrust23THRUST_200600_302600_NS6detail15normal_iteratorINSA_10device_ptrItEEEEPS6_SG_NS0_5tupleIJNSA_16discard_iteratorINSA_11use_defaultEEESK_EEENSH_IJSG_SG_EEES6_PlJ7is_evenItEEEE10hipError_tPvRmT3_T4_T5_T6_T7_T9_mT8_P12ihipStream_tbDpT10_ENKUlT_T0_E_clISt17integral_constantIbLb0EES18_IbLb1EEEEDaS14_S15_EUlS14_E_NS1_11comp_targetILNS1_3genE9ELNS1_11target_archE1100ELNS1_3gpuE3ELNS1_3repE0EEENS1_30default_config_static_selectorELNS0_4arch9wavefront6targetE1EEEvT1_,@function
_ZN7rocprim17ROCPRIM_400000_NS6detail17trampoline_kernelINS0_14default_configENS1_25partition_config_selectorILNS1_17partition_subalgoE0EtNS0_10empty_typeEbEEZZNS1_14partition_implILS5_0ELb0ES3_jN6thrust23THRUST_200600_302600_NS6detail15normal_iteratorINSA_10device_ptrItEEEEPS6_SG_NS0_5tupleIJNSA_16discard_iteratorINSA_11use_defaultEEESK_EEENSH_IJSG_SG_EEES6_PlJ7is_evenItEEEE10hipError_tPvRmT3_T4_T5_T6_T7_T9_mT8_P12ihipStream_tbDpT10_ENKUlT_T0_E_clISt17integral_constantIbLb0EES18_IbLb1EEEEDaS14_S15_EUlS14_E_NS1_11comp_targetILNS1_3genE9ELNS1_11target_archE1100ELNS1_3gpuE3ELNS1_3repE0EEENS1_30default_config_static_selectorELNS0_4arch9wavefront6targetE1EEEvT1_: ; @_ZN7rocprim17ROCPRIM_400000_NS6detail17trampoline_kernelINS0_14default_configENS1_25partition_config_selectorILNS1_17partition_subalgoE0EtNS0_10empty_typeEbEEZZNS1_14partition_implILS5_0ELb0ES3_jN6thrust23THRUST_200600_302600_NS6detail15normal_iteratorINSA_10device_ptrItEEEEPS6_SG_NS0_5tupleIJNSA_16discard_iteratorINSA_11use_defaultEEESK_EEENSH_IJSG_SG_EEES6_PlJ7is_evenItEEEE10hipError_tPvRmT3_T4_T5_T6_T7_T9_mT8_P12ihipStream_tbDpT10_ENKUlT_T0_E_clISt17integral_constantIbLb0EES18_IbLb1EEEEDaS14_S15_EUlS14_E_NS1_11comp_targetILNS1_3genE9ELNS1_11target_archE1100ELNS1_3gpuE3ELNS1_3repE0EEENS1_30default_config_static_selectorELNS0_4arch9wavefront6targetE1EEEvT1_
; %bb.0:
	.section	.rodata,"a",@progbits
	.p2align	6, 0x0
	.amdhsa_kernel _ZN7rocprim17ROCPRIM_400000_NS6detail17trampoline_kernelINS0_14default_configENS1_25partition_config_selectorILNS1_17partition_subalgoE0EtNS0_10empty_typeEbEEZZNS1_14partition_implILS5_0ELb0ES3_jN6thrust23THRUST_200600_302600_NS6detail15normal_iteratorINSA_10device_ptrItEEEEPS6_SG_NS0_5tupleIJNSA_16discard_iteratorINSA_11use_defaultEEESK_EEENSH_IJSG_SG_EEES6_PlJ7is_evenItEEEE10hipError_tPvRmT3_T4_T5_T6_T7_T9_mT8_P12ihipStream_tbDpT10_ENKUlT_T0_E_clISt17integral_constantIbLb0EES18_IbLb1EEEEDaS14_S15_EUlS14_E_NS1_11comp_targetILNS1_3genE9ELNS1_11target_archE1100ELNS1_3gpuE3ELNS1_3repE0EEENS1_30default_config_static_selectorELNS0_4arch9wavefront6targetE1EEEvT1_
		.amdhsa_group_segment_fixed_size 0
		.amdhsa_private_segment_fixed_size 0
		.amdhsa_kernarg_size 152
		.amdhsa_user_sgpr_count 2
		.amdhsa_user_sgpr_dispatch_ptr 0
		.amdhsa_user_sgpr_queue_ptr 0
		.amdhsa_user_sgpr_kernarg_segment_ptr 1
		.amdhsa_user_sgpr_dispatch_id 0
		.amdhsa_user_sgpr_kernarg_preload_length 0
		.amdhsa_user_sgpr_kernarg_preload_offset 0
		.amdhsa_user_sgpr_private_segment_size 0
		.amdhsa_uses_dynamic_stack 0
		.amdhsa_enable_private_segment 0
		.amdhsa_system_sgpr_workgroup_id_x 1
		.amdhsa_system_sgpr_workgroup_id_y 0
		.amdhsa_system_sgpr_workgroup_id_z 0
		.amdhsa_system_sgpr_workgroup_info 0
		.amdhsa_system_vgpr_workitem_id 0
		.amdhsa_next_free_vgpr 1
		.amdhsa_next_free_sgpr 0
		.amdhsa_accum_offset 4
		.amdhsa_reserve_vcc 0
		.amdhsa_float_round_mode_32 0
		.amdhsa_float_round_mode_16_64 0
		.amdhsa_float_denorm_mode_32 3
		.amdhsa_float_denorm_mode_16_64 3
		.amdhsa_dx10_clamp 1
		.amdhsa_ieee_mode 1
		.amdhsa_fp16_overflow 0
		.amdhsa_tg_split 0
		.amdhsa_exception_fp_ieee_invalid_op 0
		.amdhsa_exception_fp_denorm_src 0
		.amdhsa_exception_fp_ieee_div_zero 0
		.amdhsa_exception_fp_ieee_overflow 0
		.amdhsa_exception_fp_ieee_underflow 0
		.amdhsa_exception_fp_ieee_inexact 0
		.amdhsa_exception_int_div_zero 0
	.end_amdhsa_kernel
	.section	.text._ZN7rocprim17ROCPRIM_400000_NS6detail17trampoline_kernelINS0_14default_configENS1_25partition_config_selectorILNS1_17partition_subalgoE0EtNS0_10empty_typeEbEEZZNS1_14partition_implILS5_0ELb0ES3_jN6thrust23THRUST_200600_302600_NS6detail15normal_iteratorINSA_10device_ptrItEEEEPS6_SG_NS0_5tupleIJNSA_16discard_iteratorINSA_11use_defaultEEESK_EEENSH_IJSG_SG_EEES6_PlJ7is_evenItEEEE10hipError_tPvRmT3_T4_T5_T6_T7_T9_mT8_P12ihipStream_tbDpT10_ENKUlT_T0_E_clISt17integral_constantIbLb0EES18_IbLb1EEEEDaS14_S15_EUlS14_E_NS1_11comp_targetILNS1_3genE9ELNS1_11target_archE1100ELNS1_3gpuE3ELNS1_3repE0EEENS1_30default_config_static_selectorELNS0_4arch9wavefront6targetE1EEEvT1_,"axG",@progbits,_ZN7rocprim17ROCPRIM_400000_NS6detail17trampoline_kernelINS0_14default_configENS1_25partition_config_selectorILNS1_17partition_subalgoE0EtNS0_10empty_typeEbEEZZNS1_14partition_implILS5_0ELb0ES3_jN6thrust23THRUST_200600_302600_NS6detail15normal_iteratorINSA_10device_ptrItEEEEPS6_SG_NS0_5tupleIJNSA_16discard_iteratorINSA_11use_defaultEEESK_EEENSH_IJSG_SG_EEES6_PlJ7is_evenItEEEE10hipError_tPvRmT3_T4_T5_T6_T7_T9_mT8_P12ihipStream_tbDpT10_ENKUlT_T0_E_clISt17integral_constantIbLb0EES18_IbLb1EEEEDaS14_S15_EUlS14_E_NS1_11comp_targetILNS1_3genE9ELNS1_11target_archE1100ELNS1_3gpuE3ELNS1_3repE0EEENS1_30default_config_static_selectorELNS0_4arch9wavefront6targetE1EEEvT1_,comdat
.Lfunc_end2521:
	.size	_ZN7rocprim17ROCPRIM_400000_NS6detail17trampoline_kernelINS0_14default_configENS1_25partition_config_selectorILNS1_17partition_subalgoE0EtNS0_10empty_typeEbEEZZNS1_14partition_implILS5_0ELb0ES3_jN6thrust23THRUST_200600_302600_NS6detail15normal_iteratorINSA_10device_ptrItEEEEPS6_SG_NS0_5tupleIJNSA_16discard_iteratorINSA_11use_defaultEEESK_EEENSH_IJSG_SG_EEES6_PlJ7is_evenItEEEE10hipError_tPvRmT3_T4_T5_T6_T7_T9_mT8_P12ihipStream_tbDpT10_ENKUlT_T0_E_clISt17integral_constantIbLb0EES18_IbLb1EEEEDaS14_S15_EUlS14_E_NS1_11comp_targetILNS1_3genE9ELNS1_11target_archE1100ELNS1_3gpuE3ELNS1_3repE0EEENS1_30default_config_static_selectorELNS0_4arch9wavefront6targetE1EEEvT1_, .Lfunc_end2521-_ZN7rocprim17ROCPRIM_400000_NS6detail17trampoline_kernelINS0_14default_configENS1_25partition_config_selectorILNS1_17partition_subalgoE0EtNS0_10empty_typeEbEEZZNS1_14partition_implILS5_0ELb0ES3_jN6thrust23THRUST_200600_302600_NS6detail15normal_iteratorINSA_10device_ptrItEEEEPS6_SG_NS0_5tupleIJNSA_16discard_iteratorINSA_11use_defaultEEESK_EEENSH_IJSG_SG_EEES6_PlJ7is_evenItEEEE10hipError_tPvRmT3_T4_T5_T6_T7_T9_mT8_P12ihipStream_tbDpT10_ENKUlT_T0_E_clISt17integral_constantIbLb0EES18_IbLb1EEEEDaS14_S15_EUlS14_E_NS1_11comp_targetILNS1_3genE9ELNS1_11target_archE1100ELNS1_3gpuE3ELNS1_3repE0EEENS1_30default_config_static_selectorELNS0_4arch9wavefront6targetE1EEEvT1_
                                        ; -- End function
	.section	.AMDGPU.csdata,"",@progbits
; Kernel info:
; codeLenInByte = 0
; NumSgprs: 6
; NumVgprs: 0
; NumAgprs: 0
; TotalNumVgprs: 0
; ScratchSize: 0
; MemoryBound: 0
; FloatMode: 240
; IeeeMode: 1
; LDSByteSize: 0 bytes/workgroup (compile time only)
; SGPRBlocks: 0
; VGPRBlocks: 0
; NumSGPRsForWavesPerEU: 6
; NumVGPRsForWavesPerEU: 1
; AccumOffset: 4
; Occupancy: 8
; WaveLimiterHint : 0
; COMPUTE_PGM_RSRC2:SCRATCH_EN: 0
; COMPUTE_PGM_RSRC2:USER_SGPR: 2
; COMPUTE_PGM_RSRC2:TRAP_HANDLER: 0
; COMPUTE_PGM_RSRC2:TGID_X_EN: 1
; COMPUTE_PGM_RSRC2:TGID_Y_EN: 0
; COMPUTE_PGM_RSRC2:TGID_Z_EN: 0
; COMPUTE_PGM_RSRC2:TIDIG_COMP_CNT: 0
; COMPUTE_PGM_RSRC3_GFX90A:ACCUM_OFFSET: 0
; COMPUTE_PGM_RSRC3_GFX90A:TG_SPLIT: 0
	.section	.text._ZN7rocprim17ROCPRIM_400000_NS6detail17trampoline_kernelINS0_14default_configENS1_25partition_config_selectorILNS1_17partition_subalgoE0EtNS0_10empty_typeEbEEZZNS1_14partition_implILS5_0ELb0ES3_jN6thrust23THRUST_200600_302600_NS6detail15normal_iteratorINSA_10device_ptrItEEEEPS6_SG_NS0_5tupleIJNSA_16discard_iteratorINSA_11use_defaultEEESK_EEENSH_IJSG_SG_EEES6_PlJ7is_evenItEEEE10hipError_tPvRmT3_T4_T5_T6_T7_T9_mT8_P12ihipStream_tbDpT10_ENKUlT_T0_E_clISt17integral_constantIbLb0EES18_IbLb1EEEEDaS14_S15_EUlS14_E_NS1_11comp_targetILNS1_3genE8ELNS1_11target_archE1030ELNS1_3gpuE2ELNS1_3repE0EEENS1_30default_config_static_selectorELNS0_4arch9wavefront6targetE1EEEvT1_,"axG",@progbits,_ZN7rocprim17ROCPRIM_400000_NS6detail17trampoline_kernelINS0_14default_configENS1_25partition_config_selectorILNS1_17partition_subalgoE0EtNS0_10empty_typeEbEEZZNS1_14partition_implILS5_0ELb0ES3_jN6thrust23THRUST_200600_302600_NS6detail15normal_iteratorINSA_10device_ptrItEEEEPS6_SG_NS0_5tupleIJNSA_16discard_iteratorINSA_11use_defaultEEESK_EEENSH_IJSG_SG_EEES6_PlJ7is_evenItEEEE10hipError_tPvRmT3_T4_T5_T6_T7_T9_mT8_P12ihipStream_tbDpT10_ENKUlT_T0_E_clISt17integral_constantIbLb0EES18_IbLb1EEEEDaS14_S15_EUlS14_E_NS1_11comp_targetILNS1_3genE8ELNS1_11target_archE1030ELNS1_3gpuE2ELNS1_3repE0EEENS1_30default_config_static_selectorELNS0_4arch9wavefront6targetE1EEEvT1_,comdat
	.protected	_ZN7rocprim17ROCPRIM_400000_NS6detail17trampoline_kernelINS0_14default_configENS1_25partition_config_selectorILNS1_17partition_subalgoE0EtNS0_10empty_typeEbEEZZNS1_14partition_implILS5_0ELb0ES3_jN6thrust23THRUST_200600_302600_NS6detail15normal_iteratorINSA_10device_ptrItEEEEPS6_SG_NS0_5tupleIJNSA_16discard_iteratorINSA_11use_defaultEEESK_EEENSH_IJSG_SG_EEES6_PlJ7is_evenItEEEE10hipError_tPvRmT3_T4_T5_T6_T7_T9_mT8_P12ihipStream_tbDpT10_ENKUlT_T0_E_clISt17integral_constantIbLb0EES18_IbLb1EEEEDaS14_S15_EUlS14_E_NS1_11comp_targetILNS1_3genE8ELNS1_11target_archE1030ELNS1_3gpuE2ELNS1_3repE0EEENS1_30default_config_static_selectorELNS0_4arch9wavefront6targetE1EEEvT1_ ; -- Begin function _ZN7rocprim17ROCPRIM_400000_NS6detail17trampoline_kernelINS0_14default_configENS1_25partition_config_selectorILNS1_17partition_subalgoE0EtNS0_10empty_typeEbEEZZNS1_14partition_implILS5_0ELb0ES3_jN6thrust23THRUST_200600_302600_NS6detail15normal_iteratorINSA_10device_ptrItEEEEPS6_SG_NS0_5tupleIJNSA_16discard_iteratorINSA_11use_defaultEEESK_EEENSH_IJSG_SG_EEES6_PlJ7is_evenItEEEE10hipError_tPvRmT3_T4_T5_T6_T7_T9_mT8_P12ihipStream_tbDpT10_ENKUlT_T0_E_clISt17integral_constantIbLb0EES18_IbLb1EEEEDaS14_S15_EUlS14_E_NS1_11comp_targetILNS1_3genE8ELNS1_11target_archE1030ELNS1_3gpuE2ELNS1_3repE0EEENS1_30default_config_static_selectorELNS0_4arch9wavefront6targetE1EEEvT1_
	.globl	_ZN7rocprim17ROCPRIM_400000_NS6detail17trampoline_kernelINS0_14default_configENS1_25partition_config_selectorILNS1_17partition_subalgoE0EtNS0_10empty_typeEbEEZZNS1_14partition_implILS5_0ELb0ES3_jN6thrust23THRUST_200600_302600_NS6detail15normal_iteratorINSA_10device_ptrItEEEEPS6_SG_NS0_5tupleIJNSA_16discard_iteratorINSA_11use_defaultEEESK_EEENSH_IJSG_SG_EEES6_PlJ7is_evenItEEEE10hipError_tPvRmT3_T4_T5_T6_T7_T9_mT8_P12ihipStream_tbDpT10_ENKUlT_T0_E_clISt17integral_constantIbLb0EES18_IbLb1EEEEDaS14_S15_EUlS14_E_NS1_11comp_targetILNS1_3genE8ELNS1_11target_archE1030ELNS1_3gpuE2ELNS1_3repE0EEENS1_30default_config_static_selectorELNS0_4arch9wavefront6targetE1EEEvT1_
	.p2align	8
	.type	_ZN7rocprim17ROCPRIM_400000_NS6detail17trampoline_kernelINS0_14default_configENS1_25partition_config_selectorILNS1_17partition_subalgoE0EtNS0_10empty_typeEbEEZZNS1_14partition_implILS5_0ELb0ES3_jN6thrust23THRUST_200600_302600_NS6detail15normal_iteratorINSA_10device_ptrItEEEEPS6_SG_NS0_5tupleIJNSA_16discard_iteratorINSA_11use_defaultEEESK_EEENSH_IJSG_SG_EEES6_PlJ7is_evenItEEEE10hipError_tPvRmT3_T4_T5_T6_T7_T9_mT8_P12ihipStream_tbDpT10_ENKUlT_T0_E_clISt17integral_constantIbLb0EES18_IbLb1EEEEDaS14_S15_EUlS14_E_NS1_11comp_targetILNS1_3genE8ELNS1_11target_archE1030ELNS1_3gpuE2ELNS1_3repE0EEENS1_30default_config_static_selectorELNS0_4arch9wavefront6targetE1EEEvT1_,@function
_ZN7rocprim17ROCPRIM_400000_NS6detail17trampoline_kernelINS0_14default_configENS1_25partition_config_selectorILNS1_17partition_subalgoE0EtNS0_10empty_typeEbEEZZNS1_14partition_implILS5_0ELb0ES3_jN6thrust23THRUST_200600_302600_NS6detail15normal_iteratorINSA_10device_ptrItEEEEPS6_SG_NS0_5tupleIJNSA_16discard_iteratorINSA_11use_defaultEEESK_EEENSH_IJSG_SG_EEES6_PlJ7is_evenItEEEE10hipError_tPvRmT3_T4_T5_T6_T7_T9_mT8_P12ihipStream_tbDpT10_ENKUlT_T0_E_clISt17integral_constantIbLb0EES18_IbLb1EEEEDaS14_S15_EUlS14_E_NS1_11comp_targetILNS1_3genE8ELNS1_11target_archE1030ELNS1_3gpuE2ELNS1_3repE0EEENS1_30default_config_static_selectorELNS0_4arch9wavefront6targetE1EEEvT1_: ; @_ZN7rocprim17ROCPRIM_400000_NS6detail17trampoline_kernelINS0_14default_configENS1_25partition_config_selectorILNS1_17partition_subalgoE0EtNS0_10empty_typeEbEEZZNS1_14partition_implILS5_0ELb0ES3_jN6thrust23THRUST_200600_302600_NS6detail15normal_iteratorINSA_10device_ptrItEEEEPS6_SG_NS0_5tupleIJNSA_16discard_iteratorINSA_11use_defaultEEESK_EEENSH_IJSG_SG_EEES6_PlJ7is_evenItEEEE10hipError_tPvRmT3_T4_T5_T6_T7_T9_mT8_P12ihipStream_tbDpT10_ENKUlT_T0_E_clISt17integral_constantIbLb0EES18_IbLb1EEEEDaS14_S15_EUlS14_E_NS1_11comp_targetILNS1_3genE8ELNS1_11target_archE1030ELNS1_3gpuE2ELNS1_3repE0EEENS1_30default_config_static_selectorELNS0_4arch9wavefront6targetE1EEEvT1_
; %bb.0:
	.section	.rodata,"a",@progbits
	.p2align	6, 0x0
	.amdhsa_kernel _ZN7rocprim17ROCPRIM_400000_NS6detail17trampoline_kernelINS0_14default_configENS1_25partition_config_selectorILNS1_17partition_subalgoE0EtNS0_10empty_typeEbEEZZNS1_14partition_implILS5_0ELb0ES3_jN6thrust23THRUST_200600_302600_NS6detail15normal_iteratorINSA_10device_ptrItEEEEPS6_SG_NS0_5tupleIJNSA_16discard_iteratorINSA_11use_defaultEEESK_EEENSH_IJSG_SG_EEES6_PlJ7is_evenItEEEE10hipError_tPvRmT3_T4_T5_T6_T7_T9_mT8_P12ihipStream_tbDpT10_ENKUlT_T0_E_clISt17integral_constantIbLb0EES18_IbLb1EEEEDaS14_S15_EUlS14_E_NS1_11comp_targetILNS1_3genE8ELNS1_11target_archE1030ELNS1_3gpuE2ELNS1_3repE0EEENS1_30default_config_static_selectorELNS0_4arch9wavefront6targetE1EEEvT1_
		.amdhsa_group_segment_fixed_size 0
		.amdhsa_private_segment_fixed_size 0
		.amdhsa_kernarg_size 152
		.amdhsa_user_sgpr_count 2
		.amdhsa_user_sgpr_dispatch_ptr 0
		.amdhsa_user_sgpr_queue_ptr 0
		.amdhsa_user_sgpr_kernarg_segment_ptr 1
		.amdhsa_user_sgpr_dispatch_id 0
		.amdhsa_user_sgpr_kernarg_preload_length 0
		.amdhsa_user_sgpr_kernarg_preload_offset 0
		.amdhsa_user_sgpr_private_segment_size 0
		.amdhsa_uses_dynamic_stack 0
		.amdhsa_enable_private_segment 0
		.amdhsa_system_sgpr_workgroup_id_x 1
		.amdhsa_system_sgpr_workgroup_id_y 0
		.amdhsa_system_sgpr_workgroup_id_z 0
		.amdhsa_system_sgpr_workgroup_info 0
		.amdhsa_system_vgpr_workitem_id 0
		.amdhsa_next_free_vgpr 1
		.amdhsa_next_free_sgpr 0
		.amdhsa_accum_offset 4
		.amdhsa_reserve_vcc 0
		.amdhsa_float_round_mode_32 0
		.amdhsa_float_round_mode_16_64 0
		.amdhsa_float_denorm_mode_32 3
		.amdhsa_float_denorm_mode_16_64 3
		.amdhsa_dx10_clamp 1
		.amdhsa_ieee_mode 1
		.amdhsa_fp16_overflow 0
		.amdhsa_tg_split 0
		.amdhsa_exception_fp_ieee_invalid_op 0
		.amdhsa_exception_fp_denorm_src 0
		.amdhsa_exception_fp_ieee_div_zero 0
		.amdhsa_exception_fp_ieee_overflow 0
		.amdhsa_exception_fp_ieee_underflow 0
		.amdhsa_exception_fp_ieee_inexact 0
		.amdhsa_exception_int_div_zero 0
	.end_amdhsa_kernel
	.section	.text._ZN7rocprim17ROCPRIM_400000_NS6detail17trampoline_kernelINS0_14default_configENS1_25partition_config_selectorILNS1_17partition_subalgoE0EtNS0_10empty_typeEbEEZZNS1_14partition_implILS5_0ELb0ES3_jN6thrust23THRUST_200600_302600_NS6detail15normal_iteratorINSA_10device_ptrItEEEEPS6_SG_NS0_5tupleIJNSA_16discard_iteratorINSA_11use_defaultEEESK_EEENSH_IJSG_SG_EEES6_PlJ7is_evenItEEEE10hipError_tPvRmT3_T4_T5_T6_T7_T9_mT8_P12ihipStream_tbDpT10_ENKUlT_T0_E_clISt17integral_constantIbLb0EES18_IbLb1EEEEDaS14_S15_EUlS14_E_NS1_11comp_targetILNS1_3genE8ELNS1_11target_archE1030ELNS1_3gpuE2ELNS1_3repE0EEENS1_30default_config_static_selectorELNS0_4arch9wavefront6targetE1EEEvT1_,"axG",@progbits,_ZN7rocprim17ROCPRIM_400000_NS6detail17trampoline_kernelINS0_14default_configENS1_25partition_config_selectorILNS1_17partition_subalgoE0EtNS0_10empty_typeEbEEZZNS1_14partition_implILS5_0ELb0ES3_jN6thrust23THRUST_200600_302600_NS6detail15normal_iteratorINSA_10device_ptrItEEEEPS6_SG_NS0_5tupleIJNSA_16discard_iteratorINSA_11use_defaultEEESK_EEENSH_IJSG_SG_EEES6_PlJ7is_evenItEEEE10hipError_tPvRmT3_T4_T5_T6_T7_T9_mT8_P12ihipStream_tbDpT10_ENKUlT_T0_E_clISt17integral_constantIbLb0EES18_IbLb1EEEEDaS14_S15_EUlS14_E_NS1_11comp_targetILNS1_3genE8ELNS1_11target_archE1030ELNS1_3gpuE2ELNS1_3repE0EEENS1_30default_config_static_selectorELNS0_4arch9wavefront6targetE1EEEvT1_,comdat
.Lfunc_end2522:
	.size	_ZN7rocprim17ROCPRIM_400000_NS6detail17trampoline_kernelINS0_14default_configENS1_25partition_config_selectorILNS1_17partition_subalgoE0EtNS0_10empty_typeEbEEZZNS1_14partition_implILS5_0ELb0ES3_jN6thrust23THRUST_200600_302600_NS6detail15normal_iteratorINSA_10device_ptrItEEEEPS6_SG_NS0_5tupleIJNSA_16discard_iteratorINSA_11use_defaultEEESK_EEENSH_IJSG_SG_EEES6_PlJ7is_evenItEEEE10hipError_tPvRmT3_T4_T5_T6_T7_T9_mT8_P12ihipStream_tbDpT10_ENKUlT_T0_E_clISt17integral_constantIbLb0EES18_IbLb1EEEEDaS14_S15_EUlS14_E_NS1_11comp_targetILNS1_3genE8ELNS1_11target_archE1030ELNS1_3gpuE2ELNS1_3repE0EEENS1_30default_config_static_selectorELNS0_4arch9wavefront6targetE1EEEvT1_, .Lfunc_end2522-_ZN7rocprim17ROCPRIM_400000_NS6detail17trampoline_kernelINS0_14default_configENS1_25partition_config_selectorILNS1_17partition_subalgoE0EtNS0_10empty_typeEbEEZZNS1_14partition_implILS5_0ELb0ES3_jN6thrust23THRUST_200600_302600_NS6detail15normal_iteratorINSA_10device_ptrItEEEEPS6_SG_NS0_5tupleIJNSA_16discard_iteratorINSA_11use_defaultEEESK_EEENSH_IJSG_SG_EEES6_PlJ7is_evenItEEEE10hipError_tPvRmT3_T4_T5_T6_T7_T9_mT8_P12ihipStream_tbDpT10_ENKUlT_T0_E_clISt17integral_constantIbLb0EES18_IbLb1EEEEDaS14_S15_EUlS14_E_NS1_11comp_targetILNS1_3genE8ELNS1_11target_archE1030ELNS1_3gpuE2ELNS1_3repE0EEENS1_30default_config_static_selectorELNS0_4arch9wavefront6targetE1EEEvT1_
                                        ; -- End function
	.section	.AMDGPU.csdata,"",@progbits
; Kernel info:
; codeLenInByte = 0
; NumSgprs: 6
; NumVgprs: 0
; NumAgprs: 0
; TotalNumVgprs: 0
; ScratchSize: 0
; MemoryBound: 0
; FloatMode: 240
; IeeeMode: 1
; LDSByteSize: 0 bytes/workgroup (compile time only)
; SGPRBlocks: 0
; VGPRBlocks: 0
; NumSGPRsForWavesPerEU: 6
; NumVGPRsForWavesPerEU: 1
; AccumOffset: 4
; Occupancy: 8
; WaveLimiterHint : 0
; COMPUTE_PGM_RSRC2:SCRATCH_EN: 0
; COMPUTE_PGM_RSRC2:USER_SGPR: 2
; COMPUTE_PGM_RSRC2:TRAP_HANDLER: 0
; COMPUTE_PGM_RSRC2:TGID_X_EN: 1
; COMPUTE_PGM_RSRC2:TGID_Y_EN: 0
; COMPUTE_PGM_RSRC2:TGID_Z_EN: 0
; COMPUTE_PGM_RSRC2:TIDIG_COMP_CNT: 0
; COMPUTE_PGM_RSRC3_GFX90A:ACCUM_OFFSET: 0
; COMPUTE_PGM_RSRC3_GFX90A:TG_SPLIT: 0
	.section	.text._ZN7rocprim17ROCPRIM_400000_NS6detail17trampoline_kernelINS0_14default_configENS1_25partition_config_selectorILNS1_17partition_subalgoE0EtNS0_10empty_typeEbEEZZNS1_14partition_implILS5_0ELb0ES3_jN6thrust23THRUST_200600_302600_NS6detail15normal_iteratorINSA_10device_ptrItEEEEPS6_SG_NS0_5tupleIJSF_NSA_16discard_iteratorINSA_11use_defaultEEEEEENSH_IJSG_SG_EEES6_PlJ7is_evenItEEEE10hipError_tPvRmT3_T4_T5_T6_T7_T9_mT8_P12ihipStream_tbDpT10_ENKUlT_T0_E_clISt17integral_constantIbLb0EES19_EEDaS14_S15_EUlS14_E_NS1_11comp_targetILNS1_3genE0ELNS1_11target_archE4294967295ELNS1_3gpuE0ELNS1_3repE0EEENS1_30default_config_static_selectorELNS0_4arch9wavefront6targetE1EEEvT1_,"axG",@progbits,_ZN7rocprim17ROCPRIM_400000_NS6detail17trampoline_kernelINS0_14default_configENS1_25partition_config_selectorILNS1_17partition_subalgoE0EtNS0_10empty_typeEbEEZZNS1_14partition_implILS5_0ELb0ES3_jN6thrust23THRUST_200600_302600_NS6detail15normal_iteratorINSA_10device_ptrItEEEEPS6_SG_NS0_5tupleIJSF_NSA_16discard_iteratorINSA_11use_defaultEEEEEENSH_IJSG_SG_EEES6_PlJ7is_evenItEEEE10hipError_tPvRmT3_T4_T5_T6_T7_T9_mT8_P12ihipStream_tbDpT10_ENKUlT_T0_E_clISt17integral_constantIbLb0EES19_EEDaS14_S15_EUlS14_E_NS1_11comp_targetILNS1_3genE0ELNS1_11target_archE4294967295ELNS1_3gpuE0ELNS1_3repE0EEENS1_30default_config_static_selectorELNS0_4arch9wavefront6targetE1EEEvT1_,comdat
	.protected	_ZN7rocprim17ROCPRIM_400000_NS6detail17trampoline_kernelINS0_14default_configENS1_25partition_config_selectorILNS1_17partition_subalgoE0EtNS0_10empty_typeEbEEZZNS1_14partition_implILS5_0ELb0ES3_jN6thrust23THRUST_200600_302600_NS6detail15normal_iteratorINSA_10device_ptrItEEEEPS6_SG_NS0_5tupleIJSF_NSA_16discard_iteratorINSA_11use_defaultEEEEEENSH_IJSG_SG_EEES6_PlJ7is_evenItEEEE10hipError_tPvRmT3_T4_T5_T6_T7_T9_mT8_P12ihipStream_tbDpT10_ENKUlT_T0_E_clISt17integral_constantIbLb0EES19_EEDaS14_S15_EUlS14_E_NS1_11comp_targetILNS1_3genE0ELNS1_11target_archE4294967295ELNS1_3gpuE0ELNS1_3repE0EEENS1_30default_config_static_selectorELNS0_4arch9wavefront6targetE1EEEvT1_ ; -- Begin function _ZN7rocprim17ROCPRIM_400000_NS6detail17trampoline_kernelINS0_14default_configENS1_25partition_config_selectorILNS1_17partition_subalgoE0EtNS0_10empty_typeEbEEZZNS1_14partition_implILS5_0ELb0ES3_jN6thrust23THRUST_200600_302600_NS6detail15normal_iteratorINSA_10device_ptrItEEEEPS6_SG_NS0_5tupleIJSF_NSA_16discard_iteratorINSA_11use_defaultEEEEEENSH_IJSG_SG_EEES6_PlJ7is_evenItEEEE10hipError_tPvRmT3_T4_T5_T6_T7_T9_mT8_P12ihipStream_tbDpT10_ENKUlT_T0_E_clISt17integral_constantIbLb0EES19_EEDaS14_S15_EUlS14_E_NS1_11comp_targetILNS1_3genE0ELNS1_11target_archE4294967295ELNS1_3gpuE0ELNS1_3repE0EEENS1_30default_config_static_selectorELNS0_4arch9wavefront6targetE1EEEvT1_
	.globl	_ZN7rocprim17ROCPRIM_400000_NS6detail17trampoline_kernelINS0_14default_configENS1_25partition_config_selectorILNS1_17partition_subalgoE0EtNS0_10empty_typeEbEEZZNS1_14partition_implILS5_0ELb0ES3_jN6thrust23THRUST_200600_302600_NS6detail15normal_iteratorINSA_10device_ptrItEEEEPS6_SG_NS0_5tupleIJSF_NSA_16discard_iteratorINSA_11use_defaultEEEEEENSH_IJSG_SG_EEES6_PlJ7is_evenItEEEE10hipError_tPvRmT3_T4_T5_T6_T7_T9_mT8_P12ihipStream_tbDpT10_ENKUlT_T0_E_clISt17integral_constantIbLb0EES19_EEDaS14_S15_EUlS14_E_NS1_11comp_targetILNS1_3genE0ELNS1_11target_archE4294967295ELNS1_3gpuE0ELNS1_3repE0EEENS1_30default_config_static_selectorELNS0_4arch9wavefront6targetE1EEEvT1_
	.p2align	8
	.type	_ZN7rocprim17ROCPRIM_400000_NS6detail17trampoline_kernelINS0_14default_configENS1_25partition_config_selectorILNS1_17partition_subalgoE0EtNS0_10empty_typeEbEEZZNS1_14partition_implILS5_0ELb0ES3_jN6thrust23THRUST_200600_302600_NS6detail15normal_iteratorINSA_10device_ptrItEEEEPS6_SG_NS0_5tupleIJSF_NSA_16discard_iteratorINSA_11use_defaultEEEEEENSH_IJSG_SG_EEES6_PlJ7is_evenItEEEE10hipError_tPvRmT3_T4_T5_T6_T7_T9_mT8_P12ihipStream_tbDpT10_ENKUlT_T0_E_clISt17integral_constantIbLb0EES19_EEDaS14_S15_EUlS14_E_NS1_11comp_targetILNS1_3genE0ELNS1_11target_archE4294967295ELNS1_3gpuE0ELNS1_3repE0EEENS1_30default_config_static_selectorELNS0_4arch9wavefront6targetE1EEEvT1_,@function
_ZN7rocprim17ROCPRIM_400000_NS6detail17trampoline_kernelINS0_14default_configENS1_25partition_config_selectorILNS1_17partition_subalgoE0EtNS0_10empty_typeEbEEZZNS1_14partition_implILS5_0ELb0ES3_jN6thrust23THRUST_200600_302600_NS6detail15normal_iteratorINSA_10device_ptrItEEEEPS6_SG_NS0_5tupleIJSF_NSA_16discard_iteratorINSA_11use_defaultEEEEEENSH_IJSG_SG_EEES6_PlJ7is_evenItEEEE10hipError_tPvRmT3_T4_T5_T6_T7_T9_mT8_P12ihipStream_tbDpT10_ENKUlT_T0_E_clISt17integral_constantIbLb0EES19_EEDaS14_S15_EUlS14_E_NS1_11comp_targetILNS1_3genE0ELNS1_11target_archE4294967295ELNS1_3gpuE0ELNS1_3repE0EEENS1_30default_config_static_selectorELNS0_4arch9wavefront6targetE1EEEvT1_: ; @_ZN7rocprim17ROCPRIM_400000_NS6detail17trampoline_kernelINS0_14default_configENS1_25partition_config_selectorILNS1_17partition_subalgoE0EtNS0_10empty_typeEbEEZZNS1_14partition_implILS5_0ELb0ES3_jN6thrust23THRUST_200600_302600_NS6detail15normal_iteratorINSA_10device_ptrItEEEEPS6_SG_NS0_5tupleIJSF_NSA_16discard_iteratorINSA_11use_defaultEEEEEENSH_IJSG_SG_EEES6_PlJ7is_evenItEEEE10hipError_tPvRmT3_T4_T5_T6_T7_T9_mT8_P12ihipStream_tbDpT10_ENKUlT_T0_E_clISt17integral_constantIbLb0EES19_EEDaS14_S15_EUlS14_E_NS1_11comp_targetILNS1_3genE0ELNS1_11target_archE4294967295ELNS1_3gpuE0ELNS1_3repE0EEENS1_30default_config_static_selectorELNS0_4arch9wavefront6targetE1EEEvT1_
; %bb.0:
	.section	.rodata,"a",@progbits
	.p2align	6, 0x0
	.amdhsa_kernel _ZN7rocprim17ROCPRIM_400000_NS6detail17trampoline_kernelINS0_14default_configENS1_25partition_config_selectorILNS1_17partition_subalgoE0EtNS0_10empty_typeEbEEZZNS1_14partition_implILS5_0ELb0ES3_jN6thrust23THRUST_200600_302600_NS6detail15normal_iteratorINSA_10device_ptrItEEEEPS6_SG_NS0_5tupleIJSF_NSA_16discard_iteratorINSA_11use_defaultEEEEEENSH_IJSG_SG_EEES6_PlJ7is_evenItEEEE10hipError_tPvRmT3_T4_T5_T6_T7_T9_mT8_P12ihipStream_tbDpT10_ENKUlT_T0_E_clISt17integral_constantIbLb0EES19_EEDaS14_S15_EUlS14_E_NS1_11comp_targetILNS1_3genE0ELNS1_11target_archE4294967295ELNS1_3gpuE0ELNS1_3repE0EEENS1_30default_config_static_selectorELNS0_4arch9wavefront6targetE1EEEvT1_
		.amdhsa_group_segment_fixed_size 0
		.amdhsa_private_segment_fixed_size 0
		.amdhsa_kernarg_size 128
		.amdhsa_user_sgpr_count 2
		.amdhsa_user_sgpr_dispatch_ptr 0
		.amdhsa_user_sgpr_queue_ptr 0
		.amdhsa_user_sgpr_kernarg_segment_ptr 1
		.amdhsa_user_sgpr_dispatch_id 0
		.amdhsa_user_sgpr_kernarg_preload_length 0
		.amdhsa_user_sgpr_kernarg_preload_offset 0
		.amdhsa_user_sgpr_private_segment_size 0
		.amdhsa_uses_dynamic_stack 0
		.amdhsa_enable_private_segment 0
		.amdhsa_system_sgpr_workgroup_id_x 1
		.amdhsa_system_sgpr_workgroup_id_y 0
		.amdhsa_system_sgpr_workgroup_id_z 0
		.amdhsa_system_sgpr_workgroup_info 0
		.amdhsa_system_vgpr_workitem_id 0
		.amdhsa_next_free_vgpr 1
		.amdhsa_next_free_sgpr 0
		.amdhsa_accum_offset 4
		.amdhsa_reserve_vcc 0
		.amdhsa_float_round_mode_32 0
		.amdhsa_float_round_mode_16_64 0
		.amdhsa_float_denorm_mode_32 3
		.amdhsa_float_denorm_mode_16_64 3
		.amdhsa_dx10_clamp 1
		.amdhsa_ieee_mode 1
		.amdhsa_fp16_overflow 0
		.amdhsa_tg_split 0
		.amdhsa_exception_fp_ieee_invalid_op 0
		.amdhsa_exception_fp_denorm_src 0
		.amdhsa_exception_fp_ieee_div_zero 0
		.amdhsa_exception_fp_ieee_overflow 0
		.amdhsa_exception_fp_ieee_underflow 0
		.amdhsa_exception_fp_ieee_inexact 0
		.amdhsa_exception_int_div_zero 0
	.end_amdhsa_kernel
	.section	.text._ZN7rocprim17ROCPRIM_400000_NS6detail17trampoline_kernelINS0_14default_configENS1_25partition_config_selectorILNS1_17partition_subalgoE0EtNS0_10empty_typeEbEEZZNS1_14partition_implILS5_0ELb0ES3_jN6thrust23THRUST_200600_302600_NS6detail15normal_iteratorINSA_10device_ptrItEEEEPS6_SG_NS0_5tupleIJSF_NSA_16discard_iteratorINSA_11use_defaultEEEEEENSH_IJSG_SG_EEES6_PlJ7is_evenItEEEE10hipError_tPvRmT3_T4_T5_T6_T7_T9_mT8_P12ihipStream_tbDpT10_ENKUlT_T0_E_clISt17integral_constantIbLb0EES19_EEDaS14_S15_EUlS14_E_NS1_11comp_targetILNS1_3genE0ELNS1_11target_archE4294967295ELNS1_3gpuE0ELNS1_3repE0EEENS1_30default_config_static_selectorELNS0_4arch9wavefront6targetE1EEEvT1_,"axG",@progbits,_ZN7rocprim17ROCPRIM_400000_NS6detail17trampoline_kernelINS0_14default_configENS1_25partition_config_selectorILNS1_17partition_subalgoE0EtNS0_10empty_typeEbEEZZNS1_14partition_implILS5_0ELb0ES3_jN6thrust23THRUST_200600_302600_NS6detail15normal_iteratorINSA_10device_ptrItEEEEPS6_SG_NS0_5tupleIJSF_NSA_16discard_iteratorINSA_11use_defaultEEEEEENSH_IJSG_SG_EEES6_PlJ7is_evenItEEEE10hipError_tPvRmT3_T4_T5_T6_T7_T9_mT8_P12ihipStream_tbDpT10_ENKUlT_T0_E_clISt17integral_constantIbLb0EES19_EEDaS14_S15_EUlS14_E_NS1_11comp_targetILNS1_3genE0ELNS1_11target_archE4294967295ELNS1_3gpuE0ELNS1_3repE0EEENS1_30default_config_static_selectorELNS0_4arch9wavefront6targetE1EEEvT1_,comdat
.Lfunc_end2523:
	.size	_ZN7rocprim17ROCPRIM_400000_NS6detail17trampoline_kernelINS0_14default_configENS1_25partition_config_selectorILNS1_17partition_subalgoE0EtNS0_10empty_typeEbEEZZNS1_14partition_implILS5_0ELb0ES3_jN6thrust23THRUST_200600_302600_NS6detail15normal_iteratorINSA_10device_ptrItEEEEPS6_SG_NS0_5tupleIJSF_NSA_16discard_iteratorINSA_11use_defaultEEEEEENSH_IJSG_SG_EEES6_PlJ7is_evenItEEEE10hipError_tPvRmT3_T4_T5_T6_T7_T9_mT8_P12ihipStream_tbDpT10_ENKUlT_T0_E_clISt17integral_constantIbLb0EES19_EEDaS14_S15_EUlS14_E_NS1_11comp_targetILNS1_3genE0ELNS1_11target_archE4294967295ELNS1_3gpuE0ELNS1_3repE0EEENS1_30default_config_static_selectorELNS0_4arch9wavefront6targetE1EEEvT1_, .Lfunc_end2523-_ZN7rocprim17ROCPRIM_400000_NS6detail17trampoline_kernelINS0_14default_configENS1_25partition_config_selectorILNS1_17partition_subalgoE0EtNS0_10empty_typeEbEEZZNS1_14partition_implILS5_0ELb0ES3_jN6thrust23THRUST_200600_302600_NS6detail15normal_iteratorINSA_10device_ptrItEEEEPS6_SG_NS0_5tupleIJSF_NSA_16discard_iteratorINSA_11use_defaultEEEEEENSH_IJSG_SG_EEES6_PlJ7is_evenItEEEE10hipError_tPvRmT3_T4_T5_T6_T7_T9_mT8_P12ihipStream_tbDpT10_ENKUlT_T0_E_clISt17integral_constantIbLb0EES19_EEDaS14_S15_EUlS14_E_NS1_11comp_targetILNS1_3genE0ELNS1_11target_archE4294967295ELNS1_3gpuE0ELNS1_3repE0EEENS1_30default_config_static_selectorELNS0_4arch9wavefront6targetE1EEEvT1_
                                        ; -- End function
	.section	.AMDGPU.csdata,"",@progbits
; Kernel info:
; codeLenInByte = 0
; NumSgprs: 6
; NumVgprs: 0
; NumAgprs: 0
; TotalNumVgprs: 0
; ScratchSize: 0
; MemoryBound: 0
; FloatMode: 240
; IeeeMode: 1
; LDSByteSize: 0 bytes/workgroup (compile time only)
; SGPRBlocks: 0
; VGPRBlocks: 0
; NumSGPRsForWavesPerEU: 6
; NumVGPRsForWavesPerEU: 1
; AccumOffset: 4
; Occupancy: 8
; WaveLimiterHint : 0
; COMPUTE_PGM_RSRC2:SCRATCH_EN: 0
; COMPUTE_PGM_RSRC2:USER_SGPR: 2
; COMPUTE_PGM_RSRC2:TRAP_HANDLER: 0
; COMPUTE_PGM_RSRC2:TGID_X_EN: 1
; COMPUTE_PGM_RSRC2:TGID_Y_EN: 0
; COMPUTE_PGM_RSRC2:TGID_Z_EN: 0
; COMPUTE_PGM_RSRC2:TIDIG_COMP_CNT: 0
; COMPUTE_PGM_RSRC3_GFX90A:ACCUM_OFFSET: 0
; COMPUTE_PGM_RSRC3_GFX90A:TG_SPLIT: 0
	.section	.text._ZN7rocprim17ROCPRIM_400000_NS6detail17trampoline_kernelINS0_14default_configENS1_25partition_config_selectorILNS1_17partition_subalgoE0EtNS0_10empty_typeEbEEZZNS1_14partition_implILS5_0ELb0ES3_jN6thrust23THRUST_200600_302600_NS6detail15normal_iteratorINSA_10device_ptrItEEEEPS6_SG_NS0_5tupleIJSF_NSA_16discard_iteratorINSA_11use_defaultEEEEEENSH_IJSG_SG_EEES6_PlJ7is_evenItEEEE10hipError_tPvRmT3_T4_T5_T6_T7_T9_mT8_P12ihipStream_tbDpT10_ENKUlT_T0_E_clISt17integral_constantIbLb0EES19_EEDaS14_S15_EUlS14_E_NS1_11comp_targetILNS1_3genE5ELNS1_11target_archE942ELNS1_3gpuE9ELNS1_3repE0EEENS1_30default_config_static_selectorELNS0_4arch9wavefront6targetE1EEEvT1_,"axG",@progbits,_ZN7rocprim17ROCPRIM_400000_NS6detail17trampoline_kernelINS0_14default_configENS1_25partition_config_selectorILNS1_17partition_subalgoE0EtNS0_10empty_typeEbEEZZNS1_14partition_implILS5_0ELb0ES3_jN6thrust23THRUST_200600_302600_NS6detail15normal_iteratorINSA_10device_ptrItEEEEPS6_SG_NS0_5tupleIJSF_NSA_16discard_iteratorINSA_11use_defaultEEEEEENSH_IJSG_SG_EEES6_PlJ7is_evenItEEEE10hipError_tPvRmT3_T4_T5_T6_T7_T9_mT8_P12ihipStream_tbDpT10_ENKUlT_T0_E_clISt17integral_constantIbLb0EES19_EEDaS14_S15_EUlS14_E_NS1_11comp_targetILNS1_3genE5ELNS1_11target_archE942ELNS1_3gpuE9ELNS1_3repE0EEENS1_30default_config_static_selectorELNS0_4arch9wavefront6targetE1EEEvT1_,comdat
	.protected	_ZN7rocprim17ROCPRIM_400000_NS6detail17trampoline_kernelINS0_14default_configENS1_25partition_config_selectorILNS1_17partition_subalgoE0EtNS0_10empty_typeEbEEZZNS1_14partition_implILS5_0ELb0ES3_jN6thrust23THRUST_200600_302600_NS6detail15normal_iteratorINSA_10device_ptrItEEEEPS6_SG_NS0_5tupleIJSF_NSA_16discard_iteratorINSA_11use_defaultEEEEEENSH_IJSG_SG_EEES6_PlJ7is_evenItEEEE10hipError_tPvRmT3_T4_T5_T6_T7_T9_mT8_P12ihipStream_tbDpT10_ENKUlT_T0_E_clISt17integral_constantIbLb0EES19_EEDaS14_S15_EUlS14_E_NS1_11comp_targetILNS1_3genE5ELNS1_11target_archE942ELNS1_3gpuE9ELNS1_3repE0EEENS1_30default_config_static_selectorELNS0_4arch9wavefront6targetE1EEEvT1_ ; -- Begin function _ZN7rocprim17ROCPRIM_400000_NS6detail17trampoline_kernelINS0_14default_configENS1_25partition_config_selectorILNS1_17partition_subalgoE0EtNS0_10empty_typeEbEEZZNS1_14partition_implILS5_0ELb0ES3_jN6thrust23THRUST_200600_302600_NS6detail15normal_iteratorINSA_10device_ptrItEEEEPS6_SG_NS0_5tupleIJSF_NSA_16discard_iteratorINSA_11use_defaultEEEEEENSH_IJSG_SG_EEES6_PlJ7is_evenItEEEE10hipError_tPvRmT3_T4_T5_T6_T7_T9_mT8_P12ihipStream_tbDpT10_ENKUlT_T0_E_clISt17integral_constantIbLb0EES19_EEDaS14_S15_EUlS14_E_NS1_11comp_targetILNS1_3genE5ELNS1_11target_archE942ELNS1_3gpuE9ELNS1_3repE0EEENS1_30default_config_static_selectorELNS0_4arch9wavefront6targetE1EEEvT1_
	.globl	_ZN7rocprim17ROCPRIM_400000_NS6detail17trampoline_kernelINS0_14default_configENS1_25partition_config_selectorILNS1_17partition_subalgoE0EtNS0_10empty_typeEbEEZZNS1_14partition_implILS5_0ELb0ES3_jN6thrust23THRUST_200600_302600_NS6detail15normal_iteratorINSA_10device_ptrItEEEEPS6_SG_NS0_5tupleIJSF_NSA_16discard_iteratorINSA_11use_defaultEEEEEENSH_IJSG_SG_EEES6_PlJ7is_evenItEEEE10hipError_tPvRmT3_T4_T5_T6_T7_T9_mT8_P12ihipStream_tbDpT10_ENKUlT_T0_E_clISt17integral_constantIbLb0EES19_EEDaS14_S15_EUlS14_E_NS1_11comp_targetILNS1_3genE5ELNS1_11target_archE942ELNS1_3gpuE9ELNS1_3repE0EEENS1_30default_config_static_selectorELNS0_4arch9wavefront6targetE1EEEvT1_
	.p2align	8
	.type	_ZN7rocprim17ROCPRIM_400000_NS6detail17trampoline_kernelINS0_14default_configENS1_25partition_config_selectorILNS1_17partition_subalgoE0EtNS0_10empty_typeEbEEZZNS1_14partition_implILS5_0ELb0ES3_jN6thrust23THRUST_200600_302600_NS6detail15normal_iteratorINSA_10device_ptrItEEEEPS6_SG_NS0_5tupleIJSF_NSA_16discard_iteratorINSA_11use_defaultEEEEEENSH_IJSG_SG_EEES6_PlJ7is_evenItEEEE10hipError_tPvRmT3_T4_T5_T6_T7_T9_mT8_P12ihipStream_tbDpT10_ENKUlT_T0_E_clISt17integral_constantIbLb0EES19_EEDaS14_S15_EUlS14_E_NS1_11comp_targetILNS1_3genE5ELNS1_11target_archE942ELNS1_3gpuE9ELNS1_3repE0EEENS1_30default_config_static_selectorELNS0_4arch9wavefront6targetE1EEEvT1_,@function
_ZN7rocprim17ROCPRIM_400000_NS6detail17trampoline_kernelINS0_14default_configENS1_25partition_config_selectorILNS1_17partition_subalgoE0EtNS0_10empty_typeEbEEZZNS1_14partition_implILS5_0ELb0ES3_jN6thrust23THRUST_200600_302600_NS6detail15normal_iteratorINSA_10device_ptrItEEEEPS6_SG_NS0_5tupleIJSF_NSA_16discard_iteratorINSA_11use_defaultEEEEEENSH_IJSG_SG_EEES6_PlJ7is_evenItEEEE10hipError_tPvRmT3_T4_T5_T6_T7_T9_mT8_P12ihipStream_tbDpT10_ENKUlT_T0_E_clISt17integral_constantIbLb0EES19_EEDaS14_S15_EUlS14_E_NS1_11comp_targetILNS1_3genE5ELNS1_11target_archE942ELNS1_3gpuE9ELNS1_3repE0EEENS1_30default_config_static_selectorELNS0_4arch9wavefront6targetE1EEEvT1_: ; @_ZN7rocprim17ROCPRIM_400000_NS6detail17trampoline_kernelINS0_14default_configENS1_25partition_config_selectorILNS1_17partition_subalgoE0EtNS0_10empty_typeEbEEZZNS1_14partition_implILS5_0ELb0ES3_jN6thrust23THRUST_200600_302600_NS6detail15normal_iteratorINSA_10device_ptrItEEEEPS6_SG_NS0_5tupleIJSF_NSA_16discard_iteratorINSA_11use_defaultEEEEEENSH_IJSG_SG_EEES6_PlJ7is_evenItEEEE10hipError_tPvRmT3_T4_T5_T6_T7_T9_mT8_P12ihipStream_tbDpT10_ENKUlT_T0_E_clISt17integral_constantIbLb0EES19_EEDaS14_S15_EUlS14_E_NS1_11comp_targetILNS1_3genE5ELNS1_11target_archE942ELNS1_3gpuE9ELNS1_3repE0EEENS1_30default_config_static_selectorELNS0_4arch9wavefront6targetE1EEEvT1_
; %bb.0:
	s_load_dwordx2 s[8:9], s[0:1], 0x60
	s_load_dwordx4 s[4:7], s[0:1], 0x8
	s_load_dwordx4 s[24:27], s[0:1], 0x50
	s_load_dword s3, s[0:1], 0x78
	s_waitcnt lgkmcnt(0)
	v_mov_b32_e32 v3, s9
	s_lshl_b64 s[10:11], s[6:7], 1
	s_add_u32 s9, s4, s10
	s_addc_u32 s12, s5, s11
	s_add_i32 s13, s3, -1
	s_mulk_i32 s3, 0x3c00
	s_add_i32 s4, s3, s6
	s_sub_i32 s33, s8, s4
	s_add_u32 s4, s6, s3
	s_addc_u32 s5, s7, 0
	s_cmp_eq_u32 s2, s13
	v_mov_b32_e32 v2, s8
	s_load_dwordx2 s[22:23], s[26:27], 0x0
	s_cselect_b64 s[26:27], -1, 0
	s_cmp_lg_u32 s2, s13
	s_mul_i32 s10, s2, 0x3c00
	s_mov_b32 s11, 0
	v_cmp_lt_u64_e32 vcc, s[4:5], v[2:3]
	s_cselect_b64 s[4:5], -1, 0
	s_or_b64 s[4:5], s[4:5], vcc
	s_lshl_b64 s[6:7], s[10:11], 1
	s_add_u32 s6, s9, s6
	s_addc_u32 s7, s12, s7
	s_mov_b64 s[8:9], -1
	s_and_b64 vcc, exec, s[4:5]
	v_lshlrev_b32_e32 v2, 1, v0
	s_cbranch_vccz .LBB2524_2
; %bb.1:
	v_mov_b32_e32 v3, 0
	v_lshl_add_u64 v[4:5], s[6:7], 0, v[2:3]
	v_add_co_u32_e32 v6, vcc, 0x1000, v4
	s_mov_b64 s[8:9], 0
	s_nop 0
	v_addc_co_u32_e32 v7, vcc, 0, v5, vcc
	flat_load_ushort v1, v[4:5]
	flat_load_ushort v3, v[4:5] offset:1024
	flat_load_ushort v10, v[4:5] offset:2048
	flat_load_ushort v11, v[4:5] offset:3072
	flat_load_ushort v12, v[6:7]
	flat_load_ushort v13, v[6:7] offset:1024
	flat_load_ushort v14, v[6:7] offset:2048
	flat_load_ushort v15, v[6:7] offset:3072
	v_add_co_u32_e32 v6, vcc, 0x2000, v4
	s_nop 1
	v_addc_co_u32_e32 v7, vcc, 0, v5, vcc
	v_add_co_u32_e32 v8, vcc, 0x3000, v4
	s_nop 1
	v_addc_co_u32_e32 v9, vcc, 0, v5, vcc
	flat_load_ushort v16, v[6:7]
	flat_load_ushort v17, v[6:7] offset:1024
	flat_load_ushort v18, v[6:7] offset:2048
	flat_load_ushort v19, v[6:7] offset:3072
	flat_load_ushort v20, v[8:9]
	flat_load_ushort v21, v[8:9] offset:1024
	flat_load_ushort v22, v[8:9] offset:2048
	flat_load_ushort v23, v[8:9] offset:3072
	v_add_co_u32_e32 v6, vcc, 0x4000, v4
	s_nop 1
	v_addc_co_u32_e32 v7, vcc, 0, v5, vcc
	v_add_co_u32_e32 v8, vcc, 0x5000, v4
	;; [unrolled: 14-line block ×3, first 2 shown]
	s_nop 1
	v_addc_co_u32_e32 v5, vcc, 0, v5, vcc
	flat_load_ushort v8, v[6:7]
	flat_load_ushort v9, v[6:7] offset:1024
	flat_load_ushort v32, v[6:7] offset:2048
	;; [unrolled: 1-line block ×3, first 2 shown]
	flat_load_ushort v34, v[4:5]
	flat_load_ushort v35, v[4:5] offset:1024
	s_waitcnt vmcnt(0) lgkmcnt(0)
	ds_write_b16 v2, v1
	ds_write_b16 v2, v3 offset:1024
	ds_write_b16 v2, v10 offset:2048
	;; [unrolled: 1-line block ×29, first 2 shown]
	s_waitcnt lgkmcnt(0)
	s_barrier
.LBB2524_2:
	s_andn2_b64 vcc, exec, s[8:9]
	s_addk_i32 s33, 0x3c00
	s_cbranch_vccnz .LBB2524_64
; %bb.3:
	v_cmp_gt_u32_e32 vcc, s33, v0
                                        ; implicit-def: $vgpr1
	s_and_saveexec_b64 s[8:9], vcc
	s_cbranch_execz .LBB2524_5
; %bb.4:
	v_mov_b32_e32 v3, 0
	v_lshl_add_u64 v[4:5], s[6:7], 0, v[2:3]
	flat_load_ushort v1, v[4:5]
.LBB2524_5:
	s_or_b64 exec, exec, s[8:9]
	v_or_b32_e32 v3, 0x200, v0
	v_cmp_gt_u32_e32 vcc, s33, v3
                                        ; implicit-def: $vgpr4
	s_and_saveexec_b64 s[8:9], vcc
	s_cbranch_execz .LBB2524_7
; %bb.6:
	v_mov_b32_e32 v3, 0
	v_lshl_add_u64 v[4:5], s[6:7], 0, v[2:3]
	flat_load_ushort v4, v[4:5] offset:1024
.LBB2524_7:
	s_or_b64 exec, exec, s[8:9]
	v_or_b32_e32 v3, 0x400, v0
	v_cmp_gt_u32_e32 vcc, s33, v3
                                        ; implicit-def: $vgpr5
	s_and_saveexec_b64 s[8:9], vcc
	s_cbranch_execz .LBB2524_9
; %bb.8:
	v_mov_b32_e32 v3, 0
	v_lshl_add_u64 v[6:7], s[6:7], 0, v[2:3]
	flat_load_ushort v5, v[6:7] offset:2048
.LBB2524_9:
	s_or_b64 exec, exec, s[8:9]
	v_or_b32_e32 v3, 0x600, v0
	v_cmp_gt_u32_e32 vcc, s33, v3
                                        ; implicit-def: $vgpr3
	s_and_saveexec_b64 s[8:9], vcc
	s_cbranch_execz .LBB2524_11
; %bb.10:
	v_mov_b32_e32 v3, 0
	v_lshl_add_u64 v[6:7], s[6:7], 0, v[2:3]
	flat_load_ushort v3, v[6:7] offset:3072
.LBB2524_11:
	s_or_b64 exec, exec, s[8:9]
	v_or_b32_e32 v7, 0x800, v0
	v_cmp_gt_u32_e32 vcc, s33, v7
                                        ; implicit-def: $vgpr6
	s_and_saveexec_b64 s[8:9], vcc
	s_cbranch_execz .LBB2524_13
; %bb.12:
	v_lshlrev_b32_e32 v6, 1, v7
	v_mov_b32_e32 v7, 0
	v_lshl_add_u64 v[6:7], s[6:7], 0, v[6:7]
	flat_load_ushort v6, v[6:7]
.LBB2524_13:
	s_or_b64 exec, exec, s[8:9]
	v_or_b32_e32 v8, 0xa00, v0
	v_cmp_gt_u32_e32 vcc, s33, v8
                                        ; implicit-def: $vgpr7
	s_and_saveexec_b64 s[8:9], vcc
	s_cbranch_execz .LBB2524_15
; %bb.14:
	v_lshlrev_b32_e32 v8, 1, v8
	v_mov_b32_e32 v9, 0
	v_lshl_add_u64 v[8:9], s[6:7], 0, v[8:9]
	flat_load_ushort v7, v[8:9]
.LBB2524_15:
	s_or_b64 exec, exec, s[8:9]
	v_or_b32_e32 v9, 0xc00, v0
	v_cmp_gt_u32_e32 vcc, s33, v9
                                        ; implicit-def: $vgpr8
	s_and_saveexec_b64 s[8:9], vcc
	s_cbranch_execz .LBB2524_17
; %bb.16:
	v_lshlrev_b32_e32 v8, 1, v9
	v_mov_b32_e32 v9, 0
	v_lshl_add_u64 v[8:9], s[6:7], 0, v[8:9]
	flat_load_ushort v8, v[8:9]
.LBB2524_17:
	s_or_b64 exec, exec, s[8:9]
	v_or_b32_e32 v10, 0xe00, v0
	v_cmp_gt_u32_e32 vcc, s33, v10
                                        ; implicit-def: $vgpr9
	s_and_saveexec_b64 s[8:9], vcc
	s_cbranch_execz .LBB2524_19
; %bb.18:
	v_lshlrev_b32_e32 v10, 1, v10
	v_mov_b32_e32 v11, 0
	v_lshl_add_u64 v[10:11], s[6:7], 0, v[10:11]
	flat_load_ushort v9, v[10:11]
.LBB2524_19:
	s_or_b64 exec, exec, s[8:9]
	v_or_b32_e32 v11, 0x1000, v0
	v_cmp_gt_u32_e32 vcc, s33, v11
                                        ; implicit-def: $vgpr10
	s_and_saveexec_b64 s[8:9], vcc
	s_cbranch_execz .LBB2524_21
; %bb.20:
	v_lshlrev_b32_e32 v10, 1, v11
	v_mov_b32_e32 v11, 0
	v_lshl_add_u64 v[10:11], s[6:7], 0, v[10:11]
	flat_load_ushort v10, v[10:11]
.LBB2524_21:
	s_or_b64 exec, exec, s[8:9]
	v_or_b32_e32 v12, 0x1200, v0
	v_cmp_gt_u32_e32 vcc, s33, v12
                                        ; implicit-def: $vgpr11
	s_and_saveexec_b64 s[8:9], vcc
	s_cbranch_execz .LBB2524_23
; %bb.22:
	v_lshlrev_b32_e32 v12, 1, v12
	v_mov_b32_e32 v13, 0
	v_lshl_add_u64 v[12:13], s[6:7], 0, v[12:13]
	flat_load_ushort v11, v[12:13]
.LBB2524_23:
	s_or_b64 exec, exec, s[8:9]
	v_or_b32_e32 v13, 0x1400, v0
	v_cmp_gt_u32_e32 vcc, s33, v13
                                        ; implicit-def: $vgpr12
	s_and_saveexec_b64 s[8:9], vcc
	s_cbranch_execz .LBB2524_25
; %bb.24:
	v_lshlrev_b32_e32 v12, 1, v13
	v_mov_b32_e32 v13, 0
	v_lshl_add_u64 v[12:13], s[6:7], 0, v[12:13]
	flat_load_ushort v12, v[12:13]
.LBB2524_25:
	s_or_b64 exec, exec, s[8:9]
	v_or_b32_e32 v14, 0x1600, v0
	v_cmp_gt_u32_e32 vcc, s33, v14
                                        ; implicit-def: $vgpr13
	s_and_saveexec_b64 s[8:9], vcc
	s_cbranch_execz .LBB2524_27
; %bb.26:
	v_lshlrev_b32_e32 v14, 1, v14
	v_mov_b32_e32 v15, 0
	v_lshl_add_u64 v[14:15], s[6:7], 0, v[14:15]
	flat_load_ushort v13, v[14:15]
.LBB2524_27:
	s_or_b64 exec, exec, s[8:9]
	v_or_b32_e32 v15, 0x1800, v0
	v_cmp_gt_u32_e32 vcc, s33, v15
                                        ; implicit-def: $vgpr14
	s_and_saveexec_b64 s[8:9], vcc
	s_cbranch_execz .LBB2524_29
; %bb.28:
	v_lshlrev_b32_e32 v14, 1, v15
	v_mov_b32_e32 v15, 0
	v_lshl_add_u64 v[14:15], s[6:7], 0, v[14:15]
	flat_load_ushort v14, v[14:15]
.LBB2524_29:
	s_or_b64 exec, exec, s[8:9]
	v_or_b32_e32 v16, 0x1a00, v0
	v_cmp_gt_u32_e32 vcc, s33, v16
                                        ; implicit-def: $vgpr15
	s_and_saveexec_b64 s[8:9], vcc
	s_cbranch_execz .LBB2524_31
; %bb.30:
	v_lshlrev_b32_e32 v16, 1, v16
	v_mov_b32_e32 v17, 0
	v_lshl_add_u64 v[16:17], s[6:7], 0, v[16:17]
	flat_load_ushort v15, v[16:17]
.LBB2524_31:
	s_or_b64 exec, exec, s[8:9]
	v_or_b32_e32 v17, 0x1c00, v0
	v_cmp_gt_u32_e32 vcc, s33, v17
                                        ; implicit-def: $vgpr16
	s_and_saveexec_b64 s[8:9], vcc
	s_cbranch_execz .LBB2524_33
; %bb.32:
	v_lshlrev_b32_e32 v16, 1, v17
	v_mov_b32_e32 v17, 0
	v_lshl_add_u64 v[16:17], s[6:7], 0, v[16:17]
	flat_load_ushort v16, v[16:17]
.LBB2524_33:
	s_or_b64 exec, exec, s[8:9]
	v_or_b32_e32 v18, 0x1e00, v0
	v_cmp_gt_u32_e32 vcc, s33, v18
                                        ; implicit-def: $vgpr17
	s_and_saveexec_b64 s[8:9], vcc
	s_cbranch_execz .LBB2524_35
; %bb.34:
	v_lshlrev_b32_e32 v18, 1, v18
	v_mov_b32_e32 v19, 0
	v_lshl_add_u64 v[18:19], s[6:7], 0, v[18:19]
	flat_load_ushort v17, v[18:19]
.LBB2524_35:
	s_or_b64 exec, exec, s[8:9]
	v_or_b32_e32 v19, 0x2000, v0
	v_cmp_gt_u32_e32 vcc, s33, v19
                                        ; implicit-def: $vgpr18
	s_and_saveexec_b64 s[8:9], vcc
	s_cbranch_execz .LBB2524_37
; %bb.36:
	v_lshlrev_b32_e32 v18, 1, v19
	v_mov_b32_e32 v19, 0
	v_lshl_add_u64 v[18:19], s[6:7], 0, v[18:19]
	flat_load_ushort v18, v[18:19]
.LBB2524_37:
	s_or_b64 exec, exec, s[8:9]
	v_or_b32_e32 v20, 0x2200, v0
	v_cmp_gt_u32_e32 vcc, s33, v20
                                        ; implicit-def: $vgpr19
	s_and_saveexec_b64 s[8:9], vcc
	s_cbranch_execz .LBB2524_39
; %bb.38:
	v_lshlrev_b32_e32 v20, 1, v20
	v_mov_b32_e32 v21, 0
	v_lshl_add_u64 v[20:21], s[6:7], 0, v[20:21]
	flat_load_ushort v19, v[20:21]
.LBB2524_39:
	s_or_b64 exec, exec, s[8:9]
	v_or_b32_e32 v21, 0x2400, v0
	v_cmp_gt_u32_e32 vcc, s33, v21
                                        ; implicit-def: $vgpr20
	s_and_saveexec_b64 s[8:9], vcc
	s_cbranch_execz .LBB2524_41
; %bb.40:
	v_lshlrev_b32_e32 v20, 1, v21
	v_mov_b32_e32 v21, 0
	v_lshl_add_u64 v[20:21], s[6:7], 0, v[20:21]
	flat_load_ushort v20, v[20:21]
.LBB2524_41:
	s_or_b64 exec, exec, s[8:9]
	v_or_b32_e32 v22, 0x2600, v0
	v_cmp_gt_u32_e32 vcc, s33, v22
                                        ; implicit-def: $vgpr21
	s_and_saveexec_b64 s[8:9], vcc
	s_cbranch_execz .LBB2524_43
; %bb.42:
	v_lshlrev_b32_e32 v22, 1, v22
	v_mov_b32_e32 v23, 0
	v_lshl_add_u64 v[22:23], s[6:7], 0, v[22:23]
	flat_load_ushort v21, v[22:23]
.LBB2524_43:
	s_or_b64 exec, exec, s[8:9]
	v_or_b32_e32 v23, 0x2800, v0
	v_cmp_gt_u32_e32 vcc, s33, v23
                                        ; implicit-def: $vgpr22
	s_and_saveexec_b64 s[8:9], vcc
	s_cbranch_execz .LBB2524_45
; %bb.44:
	v_lshlrev_b32_e32 v22, 1, v23
	v_mov_b32_e32 v23, 0
	v_lshl_add_u64 v[22:23], s[6:7], 0, v[22:23]
	flat_load_ushort v22, v[22:23]
.LBB2524_45:
	s_or_b64 exec, exec, s[8:9]
	v_or_b32_e32 v24, 0x2a00, v0
	v_cmp_gt_u32_e32 vcc, s33, v24
                                        ; implicit-def: $vgpr23
	s_and_saveexec_b64 s[8:9], vcc
	s_cbranch_execz .LBB2524_47
; %bb.46:
	v_lshlrev_b32_e32 v24, 1, v24
	v_mov_b32_e32 v25, 0
	v_lshl_add_u64 v[24:25], s[6:7], 0, v[24:25]
	flat_load_ushort v23, v[24:25]
.LBB2524_47:
	s_or_b64 exec, exec, s[8:9]
	v_or_b32_e32 v25, 0x2c00, v0
	v_cmp_gt_u32_e32 vcc, s33, v25
                                        ; implicit-def: $vgpr24
	s_and_saveexec_b64 s[8:9], vcc
	s_cbranch_execz .LBB2524_49
; %bb.48:
	v_lshlrev_b32_e32 v24, 1, v25
	v_mov_b32_e32 v25, 0
	v_lshl_add_u64 v[24:25], s[6:7], 0, v[24:25]
	flat_load_ushort v24, v[24:25]
.LBB2524_49:
	s_or_b64 exec, exec, s[8:9]
	v_or_b32_e32 v26, 0x2e00, v0
	v_cmp_gt_u32_e32 vcc, s33, v26
                                        ; implicit-def: $vgpr25
	s_and_saveexec_b64 s[8:9], vcc
	s_cbranch_execz .LBB2524_51
; %bb.50:
	v_lshlrev_b32_e32 v26, 1, v26
	v_mov_b32_e32 v27, 0
	v_lshl_add_u64 v[26:27], s[6:7], 0, v[26:27]
	flat_load_ushort v25, v[26:27]
.LBB2524_51:
	s_or_b64 exec, exec, s[8:9]
	v_or_b32_e32 v27, 0x3000, v0
	v_cmp_gt_u32_e32 vcc, s33, v27
                                        ; implicit-def: $vgpr26
	s_and_saveexec_b64 s[8:9], vcc
	s_cbranch_execz .LBB2524_53
; %bb.52:
	v_lshlrev_b32_e32 v26, 1, v27
	v_mov_b32_e32 v27, 0
	v_lshl_add_u64 v[26:27], s[6:7], 0, v[26:27]
	flat_load_ushort v26, v[26:27]
.LBB2524_53:
	s_or_b64 exec, exec, s[8:9]
	v_or_b32_e32 v28, 0x3200, v0
	v_cmp_gt_u32_e32 vcc, s33, v28
                                        ; implicit-def: $vgpr27
	s_and_saveexec_b64 s[8:9], vcc
	s_cbranch_execz .LBB2524_55
; %bb.54:
	v_lshlrev_b32_e32 v28, 1, v28
	v_mov_b32_e32 v29, 0
	v_lshl_add_u64 v[28:29], s[6:7], 0, v[28:29]
	flat_load_ushort v27, v[28:29]
.LBB2524_55:
	s_or_b64 exec, exec, s[8:9]
	v_or_b32_e32 v29, 0x3400, v0
	v_cmp_gt_u32_e32 vcc, s33, v29
                                        ; implicit-def: $vgpr28
	s_and_saveexec_b64 s[8:9], vcc
	s_cbranch_execz .LBB2524_57
; %bb.56:
	v_lshlrev_b32_e32 v28, 1, v29
	v_mov_b32_e32 v29, 0
	v_lshl_add_u64 v[28:29], s[6:7], 0, v[28:29]
	flat_load_ushort v28, v[28:29]
.LBB2524_57:
	s_or_b64 exec, exec, s[8:9]
	v_or_b32_e32 v30, 0x3600, v0
	v_cmp_gt_u32_e32 vcc, s33, v30
                                        ; implicit-def: $vgpr29
	s_and_saveexec_b64 s[8:9], vcc
	s_cbranch_execz .LBB2524_59
; %bb.58:
	v_lshlrev_b32_e32 v30, 1, v30
	v_mov_b32_e32 v31, 0
	v_lshl_add_u64 v[30:31], s[6:7], 0, v[30:31]
	flat_load_ushort v29, v[30:31]
.LBB2524_59:
	s_or_b64 exec, exec, s[8:9]
	v_or_b32_e32 v31, 0x3800, v0
	v_cmp_gt_u32_e32 vcc, s33, v31
                                        ; implicit-def: $vgpr30
	s_and_saveexec_b64 s[8:9], vcc
	s_cbranch_execz .LBB2524_61
; %bb.60:
	v_lshlrev_b32_e32 v30, 1, v31
	v_mov_b32_e32 v31, 0
	v_lshl_add_u64 v[30:31], s[6:7], 0, v[30:31]
	flat_load_ushort v30, v[30:31]
.LBB2524_61:
	s_or_b64 exec, exec, s[8:9]
	v_or_b32_e32 v32, 0x3a00, v0
	v_cmp_gt_u32_e32 vcc, s33, v32
                                        ; implicit-def: $vgpr31
	s_and_saveexec_b64 s[8:9], vcc
	s_cbranch_execz .LBB2524_63
; %bb.62:
	v_lshlrev_b32_e32 v32, 1, v32
	v_mov_b32_e32 v33, 0
	v_lshl_add_u64 v[32:33], s[6:7], 0, v[32:33]
	flat_load_ushort v31, v[32:33]
.LBB2524_63:
	s_or_b64 exec, exec, s[8:9]
	s_waitcnt vmcnt(0) lgkmcnt(0)
	ds_write_b16 v2, v1
	ds_write_b16 v2, v4 offset:1024
	ds_write_b16 v2, v5 offset:2048
	;; [unrolled: 1-line block ×29, first 2 shown]
	s_waitcnt lgkmcnt(0)
	s_barrier
.LBB2524_64:
	v_mul_u32_u24_e32 v40, 30, v0
	v_lshlrev_b32_e32 v4, 1, v40
	s_waitcnt lgkmcnt(0)
	ds_read_b32 v3, v4 offset:56
	ds_read2_b32 v[8:9], v4 offset0:12 offset1:13
	ds_read2_b32 v[10:11], v4 offset0:10 offset1:11
	;; [unrolled: 1-line block ×3, first 2 shown]
	ds_read2_b32 v[20:21], v4 offset1:1
	ds_read2_b32 v[18:19], v4 offset0:2 offset1:3
	ds_read2_b32 v[16:17], v4 offset0:4 offset1:5
	;; [unrolled: 1-line block ×3, first 2 shown]
	s_waitcnt lgkmcnt(7)
	v_lshrrev_b32_e32 v1, 16, v3
	s_waitcnt lgkmcnt(6)
	v_lshrrev_b32_e32 v29, 16, v8
	v_lshrrev_b32_e32 v28, 16, v9
	s_waitcnt lgkmcnt(5)
	v_lshrrev_b32_e32 v31, 16, v10
	;; [unrolled: 3-line block ×6, first 2 shown]
	v_lshrrev_b32_e32 v34, 16, v15
	v_lshrrev_b32_e32 v33, 16, v12
	;; [unrolled: 1-line block ×3, first 2 shown]
	v_cndmask_b32_e64 v4, 0, 1, s[4:5]
	v_cmp_ne_u32_e64 s[20:21], 1, v4
	s_andn2_b64 vcc, exec, s[4:5]
	v_xor_b32_e32 v92, -1, v20
	v_xor_b32_e32 v91, -1, v42
	;; [unrolled: 1-line block ×30, first 2 shown]
	s_barrier
	s_cbranch_vccnz .LBB2524_66
; %bb.65:
	v_and_b32_e32 v72, 1, v92
	v_and_b32_e32 v71, 1, v91
	;; [unrolled: 1-line block ×30, first 2 shown]
	s_load_dwordx2 s[28:29], s[0:1], 0x70
	s_cbranch_execz .LBB2524_67
	s_branch .LBB2524_68
.LBB2524_66:
                                        ; implicit-def: $vgpr72
                                        ; implicit-def: $vgpr71
                                        ; implicit-def: $vgpr70
                                        ; implicit-def: $vgpr69
                                        ; implicit-def: $vgpr68
                                        ; implicit-def: $vgpr67
                                        ; implicit-def: $vgpr66
                                        ; implicit-def: $vgpr65
                                        ; implicit-def: $vgpr64
                                        ; implicit-def: $vgpr63
                                        ; implicit-def: $vgpr62
                                        ; implicit-def: $vgpr61
                                        ; implicit-def: $vgpr60
                                        ; implicit-def: $vgpr59
                                        ; implicit-def: $vgpr58
                                        ; implicit-def: $vgpr57
                                        ; implicit-def: $vgpr56
                                        ; implicit-def: $vgpr55
                                        ; implicit-def: $vgpr54
                                        ; implicit-def: $vgpr53
                                        ; implicit-def: $vgpr52
                                        ; implicit-def: $vgpr51
                                        ; implicit-def: $vgpr50
                                        ; implicit-def: $vgpr49
                                        ; implicit-def: $vgpr48
                                        ; implicit-def: $vgpr47
                                        ; implicit-def: $vgpr46
                                        ; implicit-def: $vgpr45
                                        ; implicit-def: $vgpr43
                                        ; implicit-def: $vgpr44
	s_load_dwordx2 s[28:29], s[0:1], 0x70
.LBB2524_67:
	v_or_b32_e32 v52, 1, v40
	v_cmp_gt_u32_e32 vcc, s33, v40
	v_add_u32_e32 v53, 2, v40
	v_add_u32_e32 v54, 3, v40
	v_cndmask_b32_e64 v62, 0, 1, vcc
	v_cmp_gt_u32_e32 vcc, s33, v52
	v_add_u32_e32 v55, 4, v40
	v_add_u32_e32 v56, 5, v40
	v_cndmask_b32_e64 v52, 0, 1, vcc
	v_cmp_gt_u32_e32 vcc, s33, v53
	v_and_b32_e32 v71, v52, v91
	v_add_u32_e32 v57, 6, v40
	v_cndmask_b32_e64 v52, 0, 1, vcc
	v_cmp_gt_u32_e32 vcc, s33, v54
	v_and_b32_e32 v70, v52, v90
	v_add_u32_e32 v58, 7, v40
	v_cndmask_b32_e64 v52, 0, 1, vcc
	v_cmp_gt_u32_e32 vcc, s33, v55
	v_and_b32_e32 v69, v52, v89
	v_add_u32_e32 v59, 8, v40
	v_cndmask_b32_e64 v52, 0, 1, vcc
	v_cmp_gt_u32_e32 vcc, s33, v56
	v_and_b32_e32 v68, v52, v88
	v_add_u32_e32 v60, 9, v40
	v_cndmask_b32_e64 v52, 0, 1, vcc
	v_cmp_gt_u32_e32 vcc, s33, v57
	v_and_b32_e32 v67, v52, v87
	v_add_u32_e32 v61, 10, v40
	v_cndmask_b32_e64 v52, 0, 1, vcc
	v_cmp_gt_u32_e32 vcc, s33, v58
	v_and_b32_e32 v66, v52, v86
	v_add_u32_e32 v93, 11, v40
	v_cndmask_b32_e64 v52, 0, 1, vcc
	v_cmp_gt_u32_e32 vcc, s33, v59
	v_and_b32_e32 v65, v52, v85
	v_add_u32_e32 v94, 12, v40
	v_cndmask_b32_e64 v52, 0, 1, vcc
	v_cmp_gt_u32_e32 vcc, s33, v60
	v_and_b32_e32 v64, v52, v84
	v_add_u32_e32 v95, 13, v40
	v_cndmask_b32_e64 v52, 0, 1, vcc
	v_cmp_gt_u32_e32 vcc, s33, v61
	v_and_b32_e32 v63, v52, v83
	v_and_b32_e32 v72, v62, v92
	v_cndmask_b32_e64 v52, 0, 1, vcc
	v_cmp_gt_u32_e32 vcc, s33, v93
	v_and_b32_e32 v62, v52, v82
	v_add_u32_e32 v96, 14, v40
	v_cndmask_b32_e64 v52, 0, 1, vcc
	v_cmp_gt_u32_e32 vcc, s33, v94
	v_and_b32_e32 v61, v52, v81
	v_add_u32_e32 v97, 15, v40
	;; [unrolled: 4-line block ×16, first 2 shown]
	v_cndmask_b32_e64 v22, 0, 1, vcc
	v_cmp_gt_u32_e32 vcc, s33, v45
	v_and_b32_e32 v46, v22, v7
	s_nop 0
	v_cndmask_b32_e64 v7, 0, 1, vcc
	v_cmp_gt_u32_e32 vcc, s33, v43
	v_and_b32_e32 v45, v7, v6
	s_nop 0
	;; [unrolled: 4-line block ×3, first 2 shown]
	v_cndmask_b32_e64 v5, 0, 1, vcc
	v_and_b32_e32 v44, v5, v4
.LBB2524_68:
	v_and_b32_e32 v99, 0xff, v46
	v_and_b32_e32 v100, 0xff, v45
	v_add_u32_sdwa v4, v43, v44 dst_sel:DWORD dst_unused:UNUSED_PAD src0_sel:BYTE_0 src1_sel:BYTE_0
	v_and_b32_e32 v97, 0xff, v48
	v_and_b32_e32 v98, 0xff, v47
	v_add3_u32 v4, v4, v100, v99
	v_and_b32_e32 v95, 0xff, v50
	v_and_b32_e32 v96, 0xff, v49
	v_add3_u32 v4, v4, v98, v97
	;; [unrolled: 3-line block ×13, first 2 shown]
	v_add3_u32 v103, v4, v74, v73
	v_mbcnt_lo_u32_b32 v4, -1, 0
	v_mbcnt_hi_u32_b32 v101, -1, v4
	v_and_b32_e32 v4, 15, v101
	v_cmp_eq_u32_e64 s[16:17], 0, v4
	v_cmp_lt_u32_e64 s[14:15], 1, v4
	v_cmp_lt_u32_e64 s[12:13], 3, v4
	;; [unrolled: 1-line block ×3, first 2 shown]
	v_and_b32_e32 v4, 16, v101
	v_cmp_eq_u32_e64 s[8:9], 0, v4
	v_or_b32_e32 v4, 63, v0
	s_cmp_lg_u32 s2, 0
	v_cmp_lt_u32_e64 s[4:5], 31, v101
	v_lshrrev_b32_e32 v102, 6, v0
	v_cmp_eq_u32_e64 s[6:7], v4, v0
	s_cbranch_scc0 .LBB2524_95
; %bb.69:
	v_mov_b32_dpp v4, v103 row_shr:1 row_mask:0xf bank_mask:0xf
	v_cndmask_b32_e64 v4, v4, 0, s[16:17]
	v_add_u32_e32 v4, v4, v103
	s_nop 1
	v_mov_b32_dpp v5, v4 row_shr:2 row_mask:0xf bank_mask:0xf
	v_cndmask_b32_e64 v5, 0, v5, s[14:15]
	v_add_u32_e32 v4, v4, v5
	s_nop 1
	;; [unrolled: 4-line block ×4, first 2 shown]
	v_mov_b32_dpp v5, v4 row_bcast:15 row_mask:0xf bank_mask:0xf
	v_cndmask_b32_e64 v5, v5, 0, s[8:9]
	v_add_u32_e32 v4, v4, v5
	s_nop 1
	v_mov_b32_dpp v5, v4 row_bcast:31 row_mask:0xf bank_mask:0xf
	v_cndmask_b32_e64 v5, 0, v5, s[4:5]
	v_add_u32_e32 v4, v4, v5
	s_and_saveexec_b64 s[18:19], s[6:7]
	s_cbranch_execz .LBB2524_71
; %bb.70:
	v_lshlrev_b32_e32 v5, 2, v102
	ds_write_b32 v5, v4
.LBB2524_71:
	s_or_b64 exec, exec, s[18:19]
	v_cmp_gt_u32_e32 vcc, 8, v0
	s_waitcnt lgkmcnt(0)
	s_barrier
	s_and_saveexec_b64 s[18:19], vcc
	s_cbranch_execz .LBB2524_73
; %bb.72:
	v_lshlrev_b32_e32 v5, 2, v0
	ds_read_b32 v6, v5
	v_and_b32_e32 v7, 7, v101
	v_cmp_ne_u32_e32 vcc, 0, v7
	s_waitcnt lgkmcnt(0)
	v_mov_b32_dpp v22, v6 row_shr:1 row_mask:0xf bank_mask:0xf
	v_cndmask_b32_e32 v22, 0, v22, vcc
	v_add_u32_e32 v6, v22, v6
	v_cmp_lt_u32_e32 vcc, 1, v7
	s_nop 0
	v_mov_b32_dpp v22, v6 row_shr:2 row_mask:0xf bank_mask:0xf
	v_cndmask_b32_e32 v22, 0, v22, vcc
	v_add_u32_e32 v6, v6, v22
	v_cmp_lt_u32_e32 vcc, 3, v7
	s_nop 0
	v_mov_b32_dpp v22, v6 row_shr:4 row_mask:0xf bank_mask:0xf
	v_cndmask_b32_e32 v7, 0, v22, vcc
	v_add_u32_e32 v6, v6, v7
	ds_write_b32 v5, v6
.LBB2524_73:
	s_or_b64 exec, exec, s[18:19]
	v_cmp_gt_u32_e32 vcc, 64, v0
	v_cmp_lt_u32_e64 s[18:19], 63, v0
	s_waitcnt lgkmcnt(0)
	s_barrier
	s_waitcnt lgkmcnt(0)
                                        ; implicit-def: $vgpr104
	s_and_saveexec_b64 s[30:31], s[18:19]
	s_cbranch_execz .LBB2524_75
; %bb.74:
	v_lshl_add_u32 v5, v102, 2, -4
	ds_read_b32 v104, v5
	s_waitcnt lgkmcnt(0)
	v_add_u32_e32 v4, v104, v4
.LBB2524_75:
	s_or_b64 exec, exec, s[30:31]
	v_add_u32_e32 v5, -1, v101
	v_and_b32_e32 v6, 64, v101
	v_cmp_lt_i32_e64 s[18:19], v5, v6
	s_nop 1
	v_cndmask_b32_e64 v5, v5, v101, s[18:19]
	v_lshlrev_b32_e32 v5, 2, v5
	ds_bpermute_b32 v105, v5, v4
	v_cmp_eq_u32_e64 s[18:19], 0, v101
	s_and_saveexec_b64 s[30:31], vcc
	s_cbranch_execz .LBB2524_94
; %bb.76:
	v_mov_b32_e32 v25, 0
	ds_read_b32 v4, v25 offset:28
	s_and_saveexec_b64 s[34:35], s[18:19]
	s_cbranch_execz .LBB2524_78
; %bb.77:
	s_add_i32 s36, s2, 64
	s_mov_b32 s37, 0
	s_lshl_b64 s[36:37], s[36:37], 3
	s_add_u32 s36, s28, s36
	v_mov_b32_e32 v5, 1
	s_addc_u32 s37, s29, s37
	s_waitcnt lgkmcnt(0)
	global_store_dwordx2 v25, v[4:5], s[36:37] sc1
.LBB2524_78:
	s_or_b64 exec, exec, s[34:35]
	v_xad_u32 v6, v101, -1, s2
	v_add_u32_e32 v24, 64, v6
	v_lshl_add_u64 v[26:27], v[24:25], 3, s[28:29]
	global_load_dwordx2 v[22:23], v[26:27], off sc1
	s_waitcnt vmcnt(0)
	v_cmp_eq_u16_sdwa s[36:37], v23, v25 src0_sel:BYTE_0 src1_sel:DWORD
	s_and_saveexec_b64 s[34:35], s[36:37]
	s_cbranch_execz .LBB2524_82
; %bb.79:
	s_mov_b64 s[36:37], 0
	v_mov_b32_e32 v5, 0
.LBB2524_80:                            ; =>This Inner Loop Header: Depth=1
	global_load_dwordx2 v[22:23], v[26:27], off sc1
	s_waitcnt vmcnt(0)
	v_cmp_ne_u16_sdwa s[38:39], v23, v5 src0_sel:BYTE_0 src1_sel:DWORD
	s_or_b64 s[36:37], s[38:39], s[36:37]
	s_andn2_b64 exec, exec, s[36:37]
	s_cbranch_execnz .LBB2524_80
; %bb.81:
	s_or_b64 exec, exec, s[36:37]
.LBB2524_82:
	s_or_b64 exec, exec, s[34:35]
	v_and_b32_e32 v107, 63, v101
	v_mov_b32_e32 v106, 2
	v_cmp_ne_u32_e32 vcc, 63, v107
	v_cmp_eq_u16_sdwa s[34:35], v23, v106 src0_sel:BYTE_0 src1_sel:DWORD
	v_lshlrev_b64 v[24:25], v101, -1
	v_addc_co_u32_e32 v26, vcc, 0, v101, vcc
	v_and_b32_e32 v5, s35, v25
	v_lshlrev_b32_e32 v108, 2, v26
	v_or_b32_e32 v5, 0x80000000, v5
	ds_bpermute_b32 v26, v108, v22
	v_and_b32_e32 v7, s34, v24
	v_ffbl_b32_e32 v5, v5
	v_add_u32_e32 v5, 32, v5
	v_ffbl_b32_e32 v7, v7
	v_min_u32_e32 v5, v7, v5
	v_cmp_lt_u32_e32 vcc, v107, v5
	v_add_u32_e32 v110, 2, v107
	v_add_u32_e32 v112, 4, v107
	s_waitcnt lgkmcnt(0)
	v_cndmask_b32_e32 v7, 0, v26, vcc
	v_cmp_gt_u32_e32 vcc, 62, v107
	v_add_u32_e32 v7, v7, v22
	v_add_u32_e32 v114, 8, v107
	v_cndmask_b32_e64 v22, 0, 1, vcc
	v_lshlrev_b32_e32 v22, 1, v22
	v_add_lshl_u32 v109, v22, v101, 2
	ds_bpermute_b32 v22, v109, v7
	v_cmp_le_u32_e32 vcc, v110, v5
	v_add_u32_e32 v116, 16, v107
	v_add_u32_e32 v118, 32, v107
	s_waitcnt lgkmcnt(0)
	v_cndmask_b32_e32 v22, 0, v22, vcc
	v_cmp_gt_u32_e32 vcc, 60, v107
	v_add_u32_e32 v7, v7, v22
	s_nop 0
	v_cndmask_b32_e64 v22, 0, 1, vcc
	v_lshlrev_b32_e32 v22, 2, v22
	v_add_lshl_u32 v111, v22, v101, 2
	ds_bpermute_b32 v22, v111, v7
	v_cmp_le_u32_e32 vcc, v112, v5
	s_waitcnt lgkmcnt(0)
	s_nop 0
	v_cndmask_b32_e32 v22, 0, v22, vcc
	v_cmp_gt_u32_e32 vcc, 56, v107
	v_add_u32_e32 v7, v7, v22
	s_nop 0
	v_cndmask_b32_e64 v22, 0, 1, vcc
	v_lshlrev_b32_e32 v22, 3, v22
	v_add_lshl_u32 v113, v22, v101, 2
	ds_bpermute_b32 v22, v113, v7
	v_cmp_le_u32_e32 vcc, v114, v5
	s_waitcnt lgkmcnt(0)
	s_nop 0
	;; [unrolled: 11-line block ×4, first 2 shown]
	v_cndmask_b32_e32 v5, 0, v22, vcc
	v_add_u32_e32 v22, v7, v5
	v_mov_b32_e32 v7, 0
	s_branch .LBB2524_84
.LBB2524_83:                            ;   in Loop: Header=BB2524_84 Depth=1
	s_or_b64 exec, exec, s[34:35]
	v_cmp_eq_u16_sdwa s[34:35], v23, v106 src0_sel:BYTE_0 src1_sel:DWORD
	ds_bpermute_b32 v119, v108, v22
	v_subrev_u32_e32 v6, 64, v6
	v_and_b32_e32 v26, s35, v25
	v_or_b32_e32 v26, 0x80000000, v26
	v_and_b32_e32 v27, s34, v24
	v_ffbl_b32_e32 v26, v26
	v_add_u32_e32 v26, 32, v26
	v_ffbl_b32_e32 v27, v27
	v_min_u32_e32 v26, v27, v26
	v_cmp_lt_u32_e32 vcc, v107, v26
	s_waitcnt lgkmcnt(0)
	s_nop 0
	v_cndmask_b32_e32 v27, 0, v119, vcc
	v_add_u32_e32 v22, v27, v22
	ds_bpermute_b32 v27, v109, v22
	v_cmp_le_u32_e32 vcc, v110, v26
	s_waitcnt lgkmcnt(0)
	s_nop 0
	v_cndmask_b32_e32 v27, 0, v27, vcc
	v_add_u32_e32 v22, v22, v27
	ds_bpermute_b32 v27, v111, v22
	v_cmp_le_u32_e32 vcc, v112, v26
	;; [unrolled: 6-line block ×5, first 2 shown]
	s_waitcnt lgkmcnt(0)
	s_nop 0
	v_cndmask_b32_e32 v26, 0, v27, vcc
	v_add3_u32 v22, v26, v5, v22
.LBB2524_84:                            ; =>This Loop Header: Depth=1
                                        ;     Child Loop BB2524_87 Depth 2
	v_cmp_ne_u16_sdwa s[34:35], v23, v106 src0_sel:BYTE_0 src1_sel:DWORD
	s_nop 1
	v_cndmask_b32_e64 v5, 0, 1, s[34:35]
	;;#ASMSTART
	;;#ASMEND
	s_nop 0
	v_cmp_ne_u32_e32 vcc, 0, v5
	s_cmp_lg_u64 vcc, exec
	v_mov_b32_e32 v5, v22
	s_cbranch_scc1 .LBB2524_89
; %bb.85:                               ;   in Loop: Header=BB2524_84 Depth=1
	v_lshl_add_u64 v[26:27], v[6:7], 3, s[28:29]
	global_load_dwordx2 v[22:23], v[26:27], off sc1
	s_waitcnt vmcnt(0)
	v_cmp_eq_u16_sdwa s[36:37], v23, v7 src0_sel:BYTE_0 src1_sel:DWORD
	s_and_saveexec_b64 s[34:35], s[36:37]
	s_cbranch_execz .LBB2524_83
; %bb.86:                               ;   in Loop: Header=BB2524_84 Depth=1
	s_mov_b64 s[36:37], 0
.LBB2524_87:                            ;   Parent Loop BB2524_84 Depth=1
                                        ; =>  This Inner Loop Header: Depth=2
	global_load_dwordx2 v[22:23], v[26:27], off sc1
	s_waitcnt vmcnt(0)
	v_cmp_ne_u16_sdwa s[38:39], v23, v7 src0_sel:BYTE_0 src1_sel:DWORD
	s_or_b64 s[36:37], s[38:39], s[36:37]
	s_andn2_b64 exec, exec, s[36:37]
	s_cbranch_execnz .LBB2524_87
; %bb.88:                               ;   in Loop: Header=BB2524_84 Depth=1
	s_or_b64 exec, exec, s[36:37]
	s_branch .LBB2524_83
.LBB2524_89:                            ;   in Loop: Header=BB2524_84 Depth=1
                                        ; implicit-def: $vgpr22
                                        ; implicit-def: $vgpr23
	s_cbranch_execz .LBB2524_84
; %bb.90:
	s_and_saveexec_b64 s[34:35], s[18:19]
	s_cbranch_execz .LBB2524_92
; %bb.91:
	s_add_i32 s2, s2, 64
	s_mov_b32 s3, 0
	s_lshl_b64 s[2:3], s[2:3], 3
	s_add_u32 s2, s28, s2
	v_add_u32_e32 v6, v5, v4
	v_mov_b32_e32 v7, 2
	s_addc_u32 s3, s29, s3
	v_mov_b32_e32 v22, 0
	global_store_dwordx2 v22, v[6:7], s[2:3] sc1
	ds_write_b64 v22, v[4:5] offset:30720
.LBB2524_92:
	s_or_b64 exec, exec, s[34:35]
	v_cmp_eq_u32_e32 vcc, 0, v0
	s_and_b64 exec, exec, vcc
	s_cbranch_execz .LBB2524_94
; %bb.93:
	v_mov_b32_e32 v4, 0
	ds_write_b32 v4, v5 offset:28
.LBB2524_94:
	s_or_b64 exec, exec, s[30:31]
	v_mov_b32_e32 v4, 0
	s_waitcnt lgkmcnt(0)
	s_barrier
	ds_read_b32 v7, v4 offset:28
	s_waitcnt lgkmcnt(0)
	s_barrier
	ds_read_b64 v[4:5], v4 offset:30720
	v_cndmask_b32_e64 v6, v105, v104, s[18:19]
	v_cmp_ne_u32_e32 vcc, 0, v0
	s_nop 1
	v_cndmask_b32_e32 v6, 0, v6, vcc
	v_add_u32_e32 v7, v7, v6
	s_waitcnt lgkmcnt(0)
	v_mov_b32_e32 v6, v5
	s_load_dwordx2 s[2:3], s[0:1], 0x28
	s_branch .LBB2524_105
.LBB2524_95:
                                        ; implicit-def: $vgpr6
                                        ; implicit-def: $vgpr4
                                        ; implicit-def: $vgpr7
	s_load_dwordx2 s[2:3], s[0:1], 0x28
	s_cbranch_execz .LBB2524_105
; %bb.96:
	v_mov_b32_dpp v4, v103 row_shr:1 row_mask:0xf bank_mask:0xf
	v_cndmask_b32_e64 v4, v4, 0, s[16:17]
	v_add_u32_e32 v4, v4, v103
	s_nop 1
	v_mov_b32_dpp v5, v4 row_shr:2 row_mask:0xf bank_mask:0xf
	v_cndmask_b32_e64 v5, 0, v5, s[14:15]
	v_add_u32_e32 v4, v4, v5
	s_nop 1
	;; [unrolled: 4-line block ×4, first 2 shown]
	v_mov_b32_dpp v5, v4 row_bcast:15 row_mask:0xf bank_mask:0xf
	v_cndmask_b32_e64 v5, v5, 0, s[8:9]
	v_add_u32_e32 v4, v4, v5
	s_nop 1
	v_mov_b32_dpp v5, v4 row_bcast:31 row_mask:0xf bank_mask:0xf
	v_cndmask_b32_e64 v5, 0, v5, s[4:5]
	v_add_u32_e32 v4, v4, v5
	s_and_saveexec_b64 s[0:1], s[6:7]
	s_cbranch_execz .LBB2524_98
; %bb.97:
	v_lshlrev_b32_e32 v5, 2, v102
	ds_write_b32 v5, v4
.LBB2524_98:
	s_or_b64 exec, exec, s[0:1]
	v_cmp_gt_u32_e32 vcc, 8, v0
	s_waitcnt lgkmcnt(0)
	s_barrier
	s_and_saveexec_b64 s[0:1], vcc
	s_cbranch_execz .LBB2524_100
; %bb.99:
	v_lshlrev_b32_e32 v5, 2, v0
	ds_read_b32 v6, v5
	v_and_b32_e32 v7, 7, v101
	v_cmp_ne_u32_e32 vcc, 0, v7
	s_waitcnt lgkmcnt(0)
	v_mov_b32_dpp v22, v6 row_shr:1 row_mask:0xf bank_mask:0xf
	v_cndmask_b32_e32 v22, 0, v22, vcc
	v_add_u32_e32 v6, v22, v6
	v_cmp_lt_u32_e32 vcc, 1, v7
	s_nop 0
	v_mov_b32_dpp v22, v6 row_shr:2 row_mask:0xf bank_mask:0xf
	v_cndmask_b32_e32 v22, 0, v22, vcc
	v_add_u32_e32 v6, v6, v22
	v_cmp_lt_u32_e32 vcc, 3, v7
	s_nop 0
	v_mov_b32_dpp v22, v6 row_shr:4 row_mask:0xf bank_mask:0xf
	v_cndmask_b32_e32 v7, 0, v22, vcc
	v_add_u32_e32 v6, v6, v7
	ds_write_b32 v5, v6
.LBB2524_100:
	s_or_b64 exec, exec, s[0:1]
	v_cmp_lt_u32_e32 vcc, 63, v0
	v_mov_b32_e32 v5, 0
	v_mov_b32_e32 v6, 0
	s_waitcnt lgkmcnt(0)
	s_barrier
	s_and_saveexec_b64 s[0:1], vcc
	s_cbranch_execz .LBB2524_102
; %bb.101:
	v_lshl_add_u32 v6, v102, 2, -4
	ds_read_b32 v6, v6
.LBB2524_102:
	s_or_b64 exec, exec, s[0:1]
	v_add_u32_e32 v7, -1, v101
	v_and_b32_e32 v22, 64, v101
	v_cmp_lt_i32_e32 vcc, v7, v22
	s_waitcnt lgkmcnt(0)
	v_add_u32_e32 v4, v6, v4
	v_cndmask_b32_e32 v7, v7, v101, vcc
	v_lshlrev_b32_e32 v7, 2, v7
	ds_bpermute_b32 v7, v7, v4
	ds_read_b32 v4, v5 offset:28
	v_cmp_eq_u32_e32 vcc, 0, v0
	s_and_saveexec_b64 s[0:1], vcc
	s_cbranch_execz .LBB2524_104
; %bb.103:
	v_mov_b32_e32 v22, 0
	v_mov_b32_e32 v5, 2
	s_waitcnt lgkmcnt(0)
	global_store_dwordx2 v22, v[4:5], s[28:29] offset:512 sc1
.LBB2524_104:
	s_or_b64 exec, exec, s[0:1]
	v_cmp_eq_u32_e64 s[0:1], 0, v101
	s_waitcnt lgkmcnt(0)
	s_barrier
	v_cndmask_b32_e64 v5, v7, v6, s[0:1]
	v_mov_b32_e32 v6, 0
	v_cndmask_b32_e64 v7, v5, 0, vcc
.LBB2524_105:
	v_add_u32_e32 v5, v7, v73
	v_add_u32_e32 v22, v5, v74
	;; [unrolled: 1-line block ×22, first 2 shown]
	v_sub_u32_e32 v7, v7, v6
	v_and_b32_e32 v72, 1, v72
	v_add_u32_e32 v87, v86, v94
	v_sub_u32_e32 v94, v40, v7
	v_cmp_eq_u32_e32 vcc, 1, v72
	v_sub_u32_e32 v5, v5, v6
	v_add_u32_e32 v88, v87, v95
	v_cndmask_b32_e32 v7, v94, v7, vcc
	v_lshlrev_b32_e32 v7, 1, v7
	ds_write_b16 v7, v20
	v_sub_u32_e32 v7, v40, v5
	v_and_b32_e32 v20, 1, v71
	v_add_u32_e32 v7, 1, v7
	v_cmp_eq_u32_e32 vcc, 1, v20
	v_and_b32_e32 v20, 1, v70
	v_add_u32_e32 v89, v88, v96
	v_cndmask_b32_e32 v5, v7, v5, vcc
	v_lshlrev_b32_e32 v5, 1, v5
	ds_write_b16 v5, v42
	v_sub_u32_e32 v5, v22, v6
	v_sub_u32_e32 v7, v40, v5
	v_add_u32_e32 v7, 2, v7
	v_cmp_eq_u32_e32 vcc, 1, v20
	v_and_b32_e32 v20, 1, v69
	v_add_u32_e32 v90, v89, v97
	v_cndmask_b32_e32 v5, v7, v5, vcc
	v_lshlrev_b32_e32 v5, 1, v5
	ds_write_b16 v5, v21
	v_sub_u32_e32 v5, v23, v6
	v_sub_u32_e32 v7, v40, v5
	;; [unrolled: 9-line block ×3, first 2 shown]
	v_add_u32_e32 v7, 4, v7
	v_cmp_eq_u32_e32 vcc, 1, v20
	v_add_u32_e32 v92, v91, v99
	v_add_u32_e32 v93, v92, v100
	v_cndmask_b32_e32 v5, v7, v5, vcc
	v_lshlrev_b32_e32 v5, 1, v5
	ds_write_b16 v5, v18
	v_sub_u32_e32 v5, v25, v6
	v_sub_u32_e32 v7, v40, v5
	v_and_b32_e32 v18, 1, v67
	v_add_u32_e32 v7, 5, v7
	v_cmp_eq_u32_e32 vcc, 1, v18
	v_and_b32_e32 v18, 1, v66
	v_or_b32_e32 v41, 0x1800, v0
	v_cndmask_b32_e32 v5, v7, v5, vcc
	v_lshlrev_b32_e32 v5, 1, v5
	ds_write_b16 v5, v39
	v_sub_u32_e32 v5, v26, v6
	v_sub_u32_e32 v7, v40, v5
	v_add_u32_e32 v7, 6, v7
	v_cmp_eq_u32_e32 vcc, 1, v18
	v_and_b32_e32 v18, 1, v65
	v_or_b32_e32 v39, 0x1a00, v0
	v_cndmask_b32_e32 v5, v7, v5, vcc
	v_lshlrev_b32_e32 v5, 1, v5
	ds_write_b16 v5, v19
	v_sub_u32_e32 v5, v27, v6
	v_sub_u32_e32 v7, v40, v5
	v_add_u32_e32 v7, 7, v7
	v_cmp_eq_u32_e32 vcc, 1, v18
	v_and_b32_e32 v18, 1, v64
	v_or_b32_e32 v27, 0x2600, v0
	v_cndmask_b32_e32 v5, v7, v5, vcc
	v_lshlrev_b32_e32 v5, 1, v5
	ds_write_b16 v5, v38
	v_sub_u32_e32 v5, v73, v6
	v_sub_u32_e32 v7, v40, v5
	v_add_u32_e32 v7, 8, v7
	v_cmp_eq_u32_e32 vcc, 1, v18
	v_or_b32_e32 v25, 0x2800, v0
	v_or_b32_e32 v23, 0x2a00, v0
	v_cndmask_b32_e32 v5, v7, v5, vcc
	v_lshlrev_b32_e32 v5, 1, v5
	ds_write_b16 v5, v16
	v_sub_u32_e32 v5, v74, v6
	v_sub_u32_e32 v7, v40, v5
	v_and_b32_e32 v16, 1, v63
	v_add_u32_e32 v7, 9, v7
	v_cmp_eq_u32_e32 vcc, 1, v16
	v_and_b32_e32 v16, 1, v62
	v_or_b32_e32 v63, 0x200, v0
	v_cndmask_b32_e32 v5, v7, v5, vcc
	v_lshlrev_b32_e32 v5, 1, v5
	ds_write_b16 v5, v37
	v_sub_u32_e32 v5, v75, v6
	v_sub_u32_e32 v7, v40, v5
	v_add_u32_e32 v7, 10, v7
	v_cmp_eq_u32_e32 vcc, 1, v16
	v_and_b32_e32 v16, 1, v61
	v_or_b32_e32 v61, 0x400, v0
	v_cndmask_b32_e32 v5, v7, v5, vcc
	v_lshlrev_b32_e32 v5, 1, v5
	ds_write_b16 v5, v17
	v_sub_u32_e32 v5, v76, v6
	v_sub_u32_e32 v7, v40, v5
	v_add_u32_e32 v7, 11, v7
	v_cmp_eq_u32_e32 vcc, 1, v16
	v_and_b32_e32 v16, 1, v60
	v_or_b32_e32 v37, 0x1c00, v0
	v_cndmask_b32_e32 v5, v7, v5, vcc
	v_lshlrev_b32_e32 v5, 1, v5
	ds_write_b16 v5, v36
	v_sub_u32_e32 v5, v77, v6
	v_sub_u32_e32 v7, v40, v5
	v_add_u32_e32 v7, 12, v7
	v_cmp_eq_u32_e32 vcc, 1, v16
	v_or_b32_e32 v21, 0x2c00, v0
	v_or_b32_e32 v19, 0x2e00, v0
	;; [unrolled: 37-line block ×4, first 2 shown]
	v_cndmask_b32_e32 v5, v7, v5, vcc
	v_lshlrev_b32_e32 v5, 1, v5
	ds_write_b16 v5, v10
	v_sub_u32_e32 v5, v86, v6
	v_sub_u32_e32 v7, v40, v5
	v_and_b32_e32 v10, 1, v51
	v_add_u32_e32 v7, 21, v7
	v_cmp_eq_u32_e32 vcc, 1, v10
	v_and_b32_e32 v10, 1, v50
	v_or_b32_e32 v50, 0xe00, v0
	v_cndmask_b32_e32 v5, v7, v5, vcc
	v_lshlrev_b32_e32 v5, 1, v5
	ds_write_b16 v5, v31
	v_sub_u32_e32 v5, v87, v6
	v_sub_u32_e32 v7, v40, v5
	v_add_u32_e32 v7, 22, v7
	v_cmp_eq_u32_e32 vcc, 1, v10
	v_and_b32_e32 v10, 1, v49
	v_or_b32_e32 v49, 0x1000, v0
	v_cndmask_b32_e32 v5, v7, v5, vcc
	v_lshlrev_b32_e32 v5, 1, v5
	ds_write_b16 v5, v11
	v_sub_u32_e32 v5, v88, v6
	v_sub_u32_e32 v7, v40, v5
	;; [unrolled: 9-line block ×3, first 2 shown]
	v_add_u32_e32 v7, 24, v7
	v_cmp_eq_u32_e32 vcc, 1, v10
	v_or_b32_e32 v10, 0x3800, v0
	s_nop 0
	v_cndmask_b32_e32 v5, v7, v5, vcc
	v_lshlrev_b32_e32 v5, 1, v5
	ds_write_b16 v5, v8
	v_sub_u32_e32 v5, v90, v6
	v_sub_u32_e32 v7, v40, v5
	v_and_b32_e32 v8, 1, v47
	v_add_u32_e32 v7, 25, v7
	v_cmp_eq_u32_e32 vcc, 1, v8
	v_and_b32_e32 v8, 1, v46
	v_or_b32_e32 v47, 0x1200, v0
	v_cndmask_b32_e32 v5, v7, v5, vcc
	v_lshlrev_b32_e32 v5, 1, v5
	ds_write_b16 v5, v29
	v_sub_u32_e32 v5, v91, v6
	v_sub_u32_e32 v7, v40, v5
	v_add_u32_e32 v7, 26, v7
	v_cmp_eq_u32_e32 vcc, 1, v8
	v_and_b32_e32 v8, 1, v45
	v_or_b32_e32 v45, 0x1400, v0
	v_cndmask_b32_e32 v5, v7, v5, vcc
	v_lshlrev_b32_e32 v5, 1, v5
	ds_write_b16 v5, v9
	v_sub_u32_e32 v5, v92, v6
	v_sub_u32_e32 v7, v40, v5
	;; [unrolled: 9-line block ×3, first 2 shown]
	v_add_u32_e32 v7, 28, v7
	v_cmp_eq_u32_e32 vcc, 1, v8
	s_nop 1
	v_cndmask_b32_e32 v5, v7, v5, vcc
	v_lshlrev_b32_e32 v5, 1, v5
	ds_write_b16 v5, v3
	v_sub_u32_sdwa v3, v43, v6 dst_sel:DWORD dst_unused:UNUSED_PAD src0_sel:BYTE_0 src1_sel:DWORD
	v_add_u32_e32 v3, v93, v3
	v_sub_u32_e32 v5, v40, v3
	v_and_b32_e32 v7, 1, v44
	v_add_u32_e32 v5, 29, v5
	v_cmp_eq_u32_e32 vcc, 1, v7
	v_or_b32_e32 v43, 0x1600, v0
	s_nop 0
	v_cndmask_b32_e32 v3, v5, v3, vcc
	v_lshlrev_b32_e32 v3, 1, v3
	ds_write_b16 v3, v1
	s_waitcnt lgkmcnt(0)
	s_barrier
	ds_read_u16 v65, v2
	ds_read_u16 v64, v2 offset:1024
	ds_read_u16 v62, v2 offset:2048
	;; [unrolled: 1-line block ×29, first 2 shown]
	s_and_b64 vcc, exec, s[20:21]
	v_or_b32_e32 v3, 0x3a00, v0
	s_cbranch_vccnz .LBB2524_137
; %bb.106:
	s_lshl_b64 s[0:1], s[22:23], 1
	v_mov_b32_e32 v7, 0
	s_add_u32 s0, s2, s0
	s_addc_u32 s1, s3, s1
	v_lshlrev_b64 v[8:9], 1, v[6:7]
	v_lshl_add_u64 v[8:9], s[0:1], 0, v[8:9]
	v_cmp_lt_u32_e32 vcc, v0, v4
	s_and_saveexec_b64 s[0:1], vcc
	s_cbranch_execnz .LBB2524_174
; %bb.107:
	s_or_b64 exec, exec, s[0:1]
	v_cmp_lt_u32_e32 vcc, v63, v4
	s_and_saveexec_b64 s[0:1], vcc
	s_cbranch_execnz .LBB2524_175
.LBB2524_108:
	s_or_b64 exec, exec, s[0:1]
	v_cmp_lt_u32_e32 vcc, v61, v4
	s_and_saveexec_b64 s[0:1], vcc
	s_cbranch_execnz .LBB2524_176
.LBB2524_109:
	s_or_b64 exec, exec, s[0:1]
	v_cmp_lt_u32_e32 vcc, v59, v4
	s_and_saveexec_b64 s[0:1], vcc
	s_cbranch_execnz .LBB2524_177
.LBB2524_110:
	s_or_b64 exec, exec, s[0:1]
	v_cmp_lt_u32_e32 vcc, v57, v4
	s_and_saveexec_b64 s[0:1], vcc
	s_cbranch_execnz .LBB2524_178
.LBB2524_111:
	s_or_b64 exec, exec, s[0:1]
	v_cmp_lt_u32_e32 vcc, v55, v4
	s_and_saveexec_b64 s[0:1], vcc
	s_cbranch_execnz .LBB2524_179
.LBB2524_112:
	s_or_b64 exec, exec, s[0:1]
	v_cmp_lt_u32_e32 vcc, v53, v4
	s_and_saveexec_b64 s[0:1], vcc
	s_cbranch_execnz .LBB2524_180
.LBB2524_113:
	s_or_b64 exec, exec, s[0:1]
	v_cmp_lt_u32_e32 vcc, v50, v4
	s_and_saveexec_b64 s[0:1], vcc
	s_cbranch_execnz .LBB2524_181
.LBB2524_114:
	s_or_b64 exec, exec, s[0:1]
	v_cmp_lt_u32_e32 vcc, v49, v4
	s_and_saveexec_b64 s[0:1], vcc
	s_cbranch_execnz .LBB2524_182
.LBB2524_115:
	s_or_b64 exec, exec, s[0:1]
	v_cmp_lt_u32_e32 vcc, v47, v4
	s_and_saveexec_b64 s[0:1], vcc
	s_cbranch_execnz .LBB2524_183
.LBB2524_116:
	s_or_b64 exec, exec, s[0:1]
	v_cmp_lt_u32_e32 vcc, v45, v4
	s_and_saveexec_b64 s[0:1], vcc
	s_cbranch_execnz .LBB2524_184
.LBB2524_117:
	s_or_b64 exec, exec, s[0:1]
	v_cmp_lt_u32_e32 vcc, v43, v4
	s_and_saveexec_b64 s[0:1], vcc
	s_cbranch_execnz .LBB2524_185
.LBB2524_118:
	s_or_b64 exec, exec, s[0:1]
	v_cmp_lt_u32_e32 vcc, v41, v4
	s_and_saveexec_b64 s[0:1], vcc
	s_cbranch_execnz .LBB2524_186
.LBB2524_119:
	s_or_b64 exec, exec, s[0:1]
	v_cmp_lt_u32_e32 vcc, v39, v4
	s_and_saveexec_b64 s[0:1], vcc
	s_cbranch_execnz .LBB2524_187
.LBB2524_120:
	s_or_b64 exec, exec, s[0:1]
	v_cmp_lt_u32_e32 vcc, v37, v4
	s_and_saveexec_b64 s[0:1], vcc
	s_cbranch_execnz .LBB2524_188
.LBB2524_121:
	s_or_b64 exec, exec, s[0:1]
	v_cmp_lt_u32_e32 vcc, v34, v4
	s_and_saveexec_b64 s[0:1], vcc
	s_cbranch_execnz .LBB2524_189
.LBB2524_122:
	s_or_b64 exec, exec, s[0:1]
	v_cmp_lt_u32_e32 vcc, v33, v4
	s_and_saveexec_b64 s[0:1], vcc
	s_cbranch_execnz .LBB2524_190
.LBB2524_123:
	s_or_b64 exec, exec, s[0:1]
	v_cmp_lt_u32_e32 vcc, v31, v4
	s_and_saveexec_b64 s[0:1], vcc
	s_cbranch_execnz .LBB2524_191
.LBB2524_124:
	s_or_b64 exec, exec, s[0:1]
	v_cmp_lt_u32_e32 vcc, v29, v4
	s_and_saveexec_b64 s[0:1], vcc
	s_cbranch_execnz .LBB2524_192
.LBB2524_125:
	s_or_b64 exec, exec, s[0:1]
	v_cmp_lt_u32_e32 vcc, v27, v4
	s_and_saveexec_b64 s[0:1], vcc
	s_cbranch_execnz .LBB2524_193
.LBB2524_126:
	s_or_b64 exec, exec, s[0:1]
	v_cmp_lt_u32_e32 vcc, v25, v4
	s_and_saveexec_b64 s[0:1], vcc
	s_cbranch_execnz .LBB2524_194
.LBB2524_127:
	s_or_b64 exec, exec, s[0:1]
	v_cmp_lt_u32_e32 vcc, v23, v4
	s_and_saveexec_b64 s[0:1], vcc
	s_cbranch_execnz .LBB2524_195
.LBB2524_128:
	s_or_b64 exec, exec, s[0:1]
	v_cmp_lt_u32_e32 vcc, v21, v4
	s_and_saveexec_b64 s[0:1], vcc
	s_cbranch_execnz .LBB2524_196
.LBB2524_129:
	s_or_b64 exec, exec, s[0:1]
	v_cmp_lt_u32_e32 vcc, v19, v4
	s_and_saveexec_b64 s[0:1], vcc
	s_cbranch_execnz .LBB2524_197
.LBB2524_130:
	s_or_b64 exec, exec, s[0:1]
	v_cmp_lt_u32_e32 vcc, v18, v4
	s_and_saveexec_b64 s[0:1], vcc
	s_cbranch_execnz .LBB2524_198
.LBB2524_131:
	s_or_b64 exec, exec, s[0:1]
	v_cmp_lt_u32_e32 vcc, v16, v4
	s_and_saveexec_b64 s[0:1], vcc
	s_cbranch_execnz .LBB2524_199
.LBB2524_132:
	s_or_b64 exec, exec, s[0:1]
	v_cmp_lt_u32_e32 vcc, v14, v4
	s_and_saveexec_b64 s[0:1], vcc
	s_cbranch_execnz .LBB2524_200
.LBB2524_133:
	s_or_b64 exec, exec, s[0:1]
	v_cmp_lt_u32_e32 vcc, v12, v4
	s_and_saveexec_b64 s[0:1], vcc
	s_cbranch_execnz .LBB2524_201
.LBB2524_134:
	s_or_b64 exec, exec, s[0:1]
	v_cmp_lt_u32_e32 vcc, v10, v4
	s_and_saveexec_b64 s[0:1], vcc
	s_cbranch_execz .LBB2524_136
.LBB2524_135:
	v_lshlrev_b32_e32 v7, 1, v10
	v_readfirstlane_b32 s4, v8
	v_readfirstlane_b32 s5, v9
	s_waitcnt lgkmcnt(1)
	s_nop 3
	global_store_short v7, v5, s[4:5]
.LBB2524_136:
	s_or_b64 exec, exec, s[0:1]
	v_cmp_lt_u32_e64 s[0:1], v3, v4
	s_branch .LBB2524_169
.LBB2524_137:
	s_mov_b64 s[0:1], 0
                                        ; implicit-def: $vgpr8_vgpr9
	s_cbranch_execz .LBB2524_169
; %bb.138:
	s_lshl_b64 s[0:1], s[22:23], 1
	v_mov_b32_e32 v7, 0
	s_add_u32 s0, s2, s0
	v_min_u32_e32 v66, s33, v4
	s_addc_u32 s1, s3, s1
	v_lshlrev_b64 v[8:9], 1, v[6:7]
	v_lshl_add_u64 v[8:9], s[0:1], 0, v[8:9]
	v_cmp_gt_u32_e32 vcc, v66, v0
	s_and_saveexec_b64 s[0:1], vcc
	s_cbranch_execnz .LBB2524_202
; %bb.139:
	s_or_b64 exec, exec, s[0:1]
	v_cmp_lt_u32_e32 vcc, v63, v66
	s_and_saveexec_b64 s[0:1], vcc
	s_cbranch_execnz .LBB2524_203
.LBB2524_140:
	s_or_b64 exec, exec, s[0:1]
	v_cmp_lt_u32_e32 vcc, v61, v66
	s_and_saveexec_b64 s[0:1], vcc
	s_cbranch_execnz .LBB2524_204
.LBB2524_141:
	s_or_b64 exec, exec, s[0:1]
	v_cmp_lt_u32_e32 vcc, v59, v66
	s_and_saveexec_b64 s[0:1], vcc
	s_cbranch_execnz .LBB2524_205
.LBB2524_142:
	s_or_b64 exec, exec, s[0:1]
	v_cmp_lt_u32_e32 vcc, v57, v66
	s_and_saveexec_b64 s[0:1], vcc
	s_cbranch_execnz .LBB2524_206
.LBB2524_143:
	s_or_b64 exec, exec, s[0:1]
	v_cmp_lt_u32_e32 vcc, v55, v66
	s_and_saveexec_b64 s[0:1], vcc
	s_cbranch_execnz .LBB2524_207
.LBB2524_144:
	s_or_b64 exec, exec, s[0:1]
	v_cmp_lt_u32_e32 vcc, v53, v66
	s_and_saveexec_b64 s[0:1], vcc
	s_cbranch_execnz .LBB2524_208
.LBB2524_145:
	s_or_b64 exec, exec, s[0:1]
	v_cmp_lt_u32_e32 vcc, v50, v66
	s_and_saveexec_b64 s[0:1], vcc
	s_cbranch_execnz .LBB2524_209
.LBB2524_146:
	s_or_b64 exec, exec, s[0:1]
	v_cmp_lt_u32_e32 vcc, v49, v66
	s_and_saveexec_b64 s[0:1], vcc
	s_cbranch_execnz .LBB2524_210
.LBB2524_147:
	s_or_b64 exec, exec, s[0:1]
	v_cmp_lt_u32_e32 vcc, v47, v66
	s_and_saveexec_b64 s[0:1], vcc
	s_cbranch_execnz .LBB2524_211
.LBB2524_148:
	s_or_b64 exec, exec, s[0:1]
	v_cmp_lt_u32_e32 vcc, v45, v66
	s_and_saveexec_b64 s[0:1], vcc
	s_cbranch_execnz .LBB2524_212
.LBB2524_149:
	s_or_b64 exec, exec, s[0:1]
	v_cmp_lt_u32_e32 vcc, v43, v66
	s_and_saveexec_b64 s[0:1], vcc
	s_cbranch_execnz .LBB2524_213
.LBB2524_150:
	s_or_b64 exec, exec, s[0:1]
	v_cmp_lt_u32_e32 vcc, v41, v66
	s_and_saveexec_b64 s[0:1], vcc
	s_cbranch_execnz .LBB2524_214
.LBB2524_151:
	s_or_b64 exec, exec, s[0:1]
	v_cmp_lt_u32_e32 vcc, v39, v66
	s_and_saveexec_b64 s[0:1], vcc
	s_cbranch_execnz .LBB2524_215
.LBB2524_152:
	s_or_b64 exec, exec, s[0:1]
	v_cmp_lt_u32_e32 vcc, v37, v66
	s_and_saveexec_b64 s[0:1], vcc
	s_cbranch_execnz .LBB2524_216
.LBB2524_153:
	s_or_b64 exec, exec, s[0:1]
	v_cmp_lt_u32_e32 vcc, v34, v66
	s_and_saveexec_b64 s[0:1], vcc
	s_cbranch_execnz .LBB2524_217
.LBB2524_154:
	s_or_b64 exec, exec, s[0:1]
	v_cmp_lt_u32_e32 vcc, v33, v66
	s_and_saveexec_b64 s[0:1], vcc
	s_cbranch_execnz .LBB2524_218
.LBB2524_155:
	s_or_b64 exec, exec, s[0:1]
	v_cmp_lt_u32_e32 vcc, v31, v66
	s_and_saveexec_b64 s[0:1], vcc
	s_cbranch_execnz .LBB2524_219
.LBB2524_156:
	s_or_b64 exec, exec, s[0:1]
	v_cmp_lt_u32_e32 vcc, v29, v66
	s_and_saveexec_b64 s[0:1], vcc
	s_cbranch_execnz .LBB2524_220
.LBB2524_157:
	s_or_b64 exec, exec, s[0:1]
	v_cmp_lt_u32_e32 vcc, v27, v66
	s_and_saveexec_b64 s[0:1], vcc
	s_cbranch_execnz .LBB2524_221
.LBB2524_158:
	s_or_b64 exec, exec, s[0:1]
	v_cmp_lt_u32_e32 vcc, v25, v66
	s_and_saveexec_b64 s[0:1], vcc
	s_cbranch_execnz .LBB2524_222
.LBB2524_159:
	s_or_b64 exec, exec, s[0:1]
	v_cmp_lt_u32_e32 vcc, v23, v66
	s_and_saveexec_b64 s[0:1], vcc
	s_cbranch_execnz .LBB2524_223
.LBB2524_160:
	s_or_b64 exec, exec, s[0:1]
	v_cmp_lt_u32_e32 vcc, v21, v66
	s_and_saveexec_b64 s[0:1], vcc
	s_cbranch_execnz .LBB2524_224
.LBB2524_161:
	s_or_b64 exec, exec, s[0:1]
	v_cmp_lt_u32_e32 vcc, v19, v66
	s_and_saveexec_b64 s[0:1], vcc
	s_cbranch_execnz .LBB2524_225
.LBB2524_162:
	s_or_b64 exec, exec, s[0:1]
	v_cmp_lt_u32_e32 vcc, v18, v66
	s_and_saveexec_b64 s[0:1], vcc
	s_cbranch_execnz .LBB2524_226
.LBB2524_163:
	s_or_b64 exec, exec, s[0:1]
	v_cmp_lt_u32_e32 vcc, v16, v66
	s_and_saveexec_b64 s[0:1], vcc
	s_cbranch_execnz .LBB2524_227
.LBB2524_164:
	s_or_b64 exec, exec, s[0:1]
	v_cmp_lt_u32_e32 vcc, v14, v66
	s_and_saveexec_b64 s[0:1], vcc
	s_cbranch_execnz .LBB2524_228
.LBB2524_165:
	s_or_b64 exec, exec, s[0:1]
	v_cmp_lt_u32_e32 vcc, v12, v66
	s_and_saveexec_b64 s[0:1], vcc
	s_cbranch_execnz .LBB2524_229
.LBB2524_166:
	s_or_b64 exec, exec, s[0:1]
	v_cmp_lt_u32_e32 vcc, v10, v66
	s_and_saveexec_b64 s[0:1], vcc
	s_cbranch_execz .LBB2524_168
.LBB2524_167:
	v_lshlrev_b32_e32 v2, 1, v10
	v_readfirstlane_b32 s2, v8
	v_readfirstlane_b32 s3, v9
	s_waitcnt lgkmcnt(1)
	s_nop 3
	global_store_short v2, v5, s[2:3]
.LBB2524_168:
	s_or_b64 exec, exec, s[0:1]
	v_cmp_lt_u32_e64 s[0:1], v3, v66
.LBB2524_169:
	s_and_saveexec_b64 s[2:3], s[0:1]
	s_cbranch_execz .LBB2524_171
; %bb.170:
	v_lshlrev_b32_e32 v2, 1, v3
	v_readfirstlane_b32 s0, v8
	v_readfirstlane_b32 s1, v9
	s_waitcnt lgkmcnt(0)
	s_nop 3
	global_store_short v2, v1, s[0:1]
.LBB2524_171:
	s_or_b64 exec, exec, s[2:3]
	v_cmp_eq_u32_e32 vcc, 0, v0
	s_and_b64 s[0:1], vcc, s[26:27]
	s_and_saveexec_b64 s[2:3], s[0:1]
	s_cbranch_execz .LBB2524_173
; %bb.172:
	s_waitcnt lgkmcnt(1)
	v_mov_b32_e32 v5, 0
	s_waitcnt lgkmcnt(0)
	v_lshl_add_u64 v[0:1], s[22:23], 0, v[4:5]
	v_mov_b32_e32 v7, v5
	v_lshl_add_u64 v[0:1], v[0:1], 0, v[6:7]
	global_store_dwordx2 v5, v[0:1], s[24:25]
.LBB2524_173:
	s_endpgm
.LBB2524_174:
	v_readfirstlane_b32 s4, v8
	v_readfirstlane_b32 s5, v9
	s_waitcnt lgkmcnt(14)
	s_nop 3
	global_store_short v2, v65, s[4:5]
	s_or_b64 exec, exec, s[0:1]
	v_cmp_lt_u32_e32 vcc, v63, v4
	s_and_saveexec_b64 s[0:1], vcc
	s_cbranch_execz .LBB2524_108
.LBB2524_175:
	v_readfirstlane_b32 s4, v8
	v_readfirstlane_b32 s5, v9
	s_waitcnt lgkmcnt(14)
	s_nop 3
	global_store_short v2, v64, s[4:5] offset:1024
	s_or_b64 exec, exec, s[0:1]
	v_cmp_lt_u32_e32 vcc, v61, v4
	s_and_saveexec_b64 s[0:1], vcc
	s_cbranch_execz .LBB2524_109
.LBB2524_176:
	v_readfirstlane_b32 s4, v8
	v_readfirstlane_b32 s5, v9
	s_waitcnt lgkmcnt(14)
	s_nop 3
	global_store_short v2, v62, s[4:5] offset:2048
	s_or_b64 exec, exec, s[0:1]
	v_cmp_lt_u32_e32 vcc, v59, v4
	s_and_saveexec_b64 s[0:1], vcc
	s_cbranch_execz .LBB2524_110
.LBB2524_177:
	v_readfirstlane_b32 s4, v8
	v_readfirstlane_b32 s5, v9
	s_waitcnt lgkmcnt(14)
	s_nop 3
	global_store_short v2, v60, s[4:5] offset:3072
	s_or_b64 exec, exec, s[0:1]
	v_cmp_lt_u32_e32 vcc, v57, v4
	s_and_saveexec_b64 s[0:1], vcc
	s_cbranch_execz .LBB2524_111
.LBB2524_178:
	v_lshlrev_b32_e32 v7, 1, v57
	v_readfirstlane_b32 s4, v8
	v_readfirstlane_b32 s5, v9
	s_waitcnt lgkmcnt(14)
	s_nop 3
	global_store_short v7, v58, s[4:5]
	s_or_b64 exec, exec, s[0:1]
	v_cmp_lt_u32_e32 vcc, v55, v4
	s_and_saveexec_b64 s[0:1], vcc
	s_cbranch_execz .LBB2524_112
.LBB2524_179:
	v_lshlrev_b32_e32 v7, 1, v55
	v_readfirstlane_b32 s4, v8
	v_readfirstlane_b32 s5, v9
	s_waitcnt lgkmcnt(14)
	s_nop 3
	global_store_short v7, v56, s[4:5]
	s_or_b64 exec, exec, s[0:1]
	v_cmp_lt_u32_e32 vcc, v53, v4
	s_and_saveexec_b64 s[0:1], vcc
	s_cbranch_execz .LBB2524_113
.LBB2524_180:
	v_lshlrev_b32_e32 v7, 1, v53
	v_readfirstlane_b32 s4, v8
	v_readfirstlane_b32 s5, v9
	s_waitcnt lgkmcnt(14)
	s_nop 3
	global_store_short v7, v54, s[4:5]
	s_or_b64 exec, exec, s[0:1]
	v_cmp_lt_u32_e32 vcc, v50, v4
	s_and_saveexec_b64 s[0:1], vcc
	s_cbranch_execz .LBB2524_114
.LBB2524_181:
	v_lshlrev_b32_e32 v7, 1, v50
	v_readfirstlane_b32 s4, v8
	v_readfirstlane_b32 s5, v9
	s_waitcnt lgkmcnt(14)
	s_nop 3
	global_store_short v7, v51, s[4:5]
	s_or_b64 exec, exec, s[0:1]
	v_cmp_lt_u32_e32 vcc, v49, v4
	s_and_saveexec_b64 s[0:1], vcc
	s_cbranch_execz .LBB2524_115
.LBB2524_182:
	v_lshlrev_b32_e32 v7, 1, v49
	v_readfirstlane_b32 s4, v8
	v_readfirstlane_b32 s5, v9
	s_waitcnt lgkmcnt(14)
	s_nop 3
	global_store_short v7, v52, s[4:5]
	s_or_b64 exec, exec, s[0:1]
	v_cmp_lt_u32_e32 vcc, v47, v4
	s_and_saveexec_b64 s[0:1], vcc
	s_cbranch_execz .LBB2524_116
.LBB2524_183:
	v_lshlrev_b32_e32 v7, 1, v47
	v_readfirstlane_b32 s4, v8
	v_readfirstlane_b32 s5, v9
	s_waitcnt lgkmcnt(14)
	s_nop 3
	global_store_short v7, v48, s[4:5]
	s_or_b64 exec, exec, s[0:1]
	v_cmp_lt_u32_e32 vcc, v45, v4
	s_and_saveexec_b64 s[0:1], vcc
	s_cbranch_execz .LBB2524_117
.LBB2524_184:
	v_lshlrev_b32_e32 v7, 1, v45
	v_readfirstlane_b32 s4, v8
	v_readfirstlane_b32 s5, v9
	s_waitcnt lgkmcnt(14)
	s_nop 3
	global_store_short v7, v46, s[4:5]
	s_or_b64 exec, exec, s[0:1]
	v_cmp_lt_u32_e32 vcc, v43, v4
	s_and_saveexec_b64 s[0:1], vcc
	s_cbranch_execz .LBB2524_118
.LBB2524_185:
	v_lshlrev_b32_e32 v7, 1, v43
	v_readfirstlane_b32 s4, v8
	v_readfirstlane_b32 s5, v9
	s_waitcnt lgkmcnt(14)
	s_nop 3
	global_store_short v7, v44, s[4:5]
	s_or_b64 exec, exec, s[0:1]
	v_cmp_lt_u32_e32 vcc, v41, v4
	s_and_saveexec_b64 s[0:1], vcc
	s_cbranch_execz .LBB2524_119
.LBB2524_186:
	v_lshlrev_b32_e32 v7, 1, v41
	v_readfirstlane_b32 s4, v8
	v_readfirstlane_b32 s5, v9
	s_waitcnt lgkmcnt(14)
	s_nop 3
	global_store_short v7, v42, s[4:5]
	s_or_b64 exec, exec, s[0:1]
	v_cmp_lt_u32_e32 vcc, v39, v4
	s_and_saveexec_b64 s[0:1], vcc
	s_cbranch_execz .LBB2524_120
.LBB2524_187:
	v_lshlrev_b32_e32 v7, 1, v39
	v_readfirstlane_b32 s4, v8
	v_readfirstlane_b32 s5, v9
	s_waitcnt lgkmcnt(14)
	s_nop 3
	global_store_short v7, v40, s[4:5]
	s_or_b64 exec, exec, s[0:1]
	v_cmp_lt_u32_e32 vcc, v37, v4
	s_and_saveexec_b64 s[0:1], vcc
	s_cbranch_execz .LBB2524_121
.LBB2524_188:
	v_lshlrev_b32_e32 v7, 1, v37
	v_readfirstlane_b32 s4, v8
	v_readfirstlane_b32 s5, v9
	s_waitcnt lgkmcnt(14)
	s_nop 3
	global_store_short v7, v38, s[4:5]
	s_or_b64 exec, exec, s[0:1]
	v_cmp_lt_u32_e32 vcc, v34, v4
	s_and_saveexec_b64 s[0:1], vcc
	s_cbranch_execz .LBB2524_122
.LBB2524_189:
	v_lshlrev_b32_e32 v7, 1, v34
	v_readfirstlane_b32 s4, v8
	v_readfirstlane_b32 s5, v9
	s_waitcnt lgkmcnt(14)
	s_nop 3
	global_store_short v7, v35, s[4:5]
	s_or_b64 exec, exec, s[0:1]
	v_cmp_lt_u32_e32 vcc, v33, v4
	s_and_saveexec_b64 s[0:1], vcc
	s_cbranch_execz .LBB2524_123
.LBB2524_190:
	v_lshlrev_b32_e32 v7, 1, v33
	v_readfirstlane_b32 s4, v8
	v_readfirstlane_b32 s5, v9
	s_waitcnt lgkmcnt(13)
	s_nop 3
	global_store_short v7, v36, s[4:5]
	s_or_b64 exec, exec, s[0:1]
	v_cmp_lt_u32_e32 vcc, v31, v4
	s_and_saveexec_b64 s[0:1], vcc
	s_cbranch_execz .LBB2524_124
.LBB2524_191:
	v_lshlrev_b32_e32 v7, 1, v31
	v_readfirstlane_b32 s4, v8
	v_readfirstlane_b32 s5, v9
	s_waitcnt lgkmcnt(12)
	s_nop 3
	global_store_short v7, v32, s[4:5]
	s_or_b64 exec, exec, s[0:1]
	v_cmp_lt_u32_e32 vcc, v29, v4
	s_and_saveexec_b64 s[0:1], vcc
	s_cbranch_execz .LBB2524_125
.LBB2524_192:
	v_lshlrev_b32_e32 v7, 1, v29
	v_readfirstlane_b32 s4, v8
	v_readfirstlane_b32 s5, v9
	s_waitcnt lgkmcnt(11)
	s_nop 3
	global_store_short v7, v30, s[4:5]
	s_or_b64 exec, exec, s[0:1]
	v_cmp_lt_u32_e32 vcc, v27, v4
	s_and_saveexec_b64 s[0:1], vcc
	s_cbranch_execz .LBB2524_126
.LBB2524_193:
	v_lshlrev_b32_e32 v7, 1, v27
	v_readfirstlane_b32 s4, v8
	v_readfirstlane_b32 s5, v9
	s_waitcnt lgkmcnt(10)
	s_nop 3
	global_store_short v7, v28, s[4:5]
	s_or_b64 exec, exec, s[0:1]
	v_cmp_lt_u32_e32 vcc, v25, v4
	s_and_saveexec_b64 s[0:1], vcc
	s_cbranch_execz .LBB2524_127
.LBB2524_194:
	v_lshlrev_b32_e32 v7, 1, v25
	v_readfirstlane_b32 s4, v8
	v_readfirstlane_b32 s5, v9
	s_waitcnt lgkmcnt(9)
	s_nop 3
	global_store_short v7, v26, s[4:5]
	s_or_b64 exec, exec, s[0:1]
	v_cmp_lt_u32_e32 vcc, v23, v4
	s_and_saveexec_b64 s[0:1], vcc
	s_cbranch_execz .LBB2524_128
.LBB2524_195:
	v_lshlrev_b32_e32 v7, 1, v23
	v_readfirstlane_b32 s4, v8
	v_readfirstlane_b32 s5, v9
	s_waitcnt lgkmcnt(8)
	s_nop 3
	global_store_short v7, v24, s[4:5]
	s_or_b64 exec, exec, s[0:1]
	v_cmp_lt_u32_e32 vcc, v21, v4
	s_and_saveexec_b64 s[0:1], vcc
	s_cbranch_execz .LBB2524_129
.LBB2524_196:
	v_lshlrev_b32_e32 v7, 1, v21
	v_readfirstlane_b32 s4, v8
	v_readfirstlane_b32 s5, v9
	s_waitcnt lgkmcnt(7)
	s_nop 3
	global_store_short v7, v22, s[4:5]
	s_or_b64 exec, exec, s[0:1]
	v_cmp_lt_u32_e32 vcc, v19, v4
	s_and_saveexec_b64 s[0:1], vcc
	s_cbranch_execz .LBB2524_130
.LBB2524_197:
	v_lshlrev_b32_e32 v7, 1, v19
	v_readfirstlane_b32 s4, v8
	v_readfirstlane_b32 s5, v9
	s_waitcnt lgkmcnt(6)
	s_nop 3
	global_store_short v7, v20, s[4:5]
	s_or_b64 exec, exec, s[0:1]
	v_cmp_lt_u32_e32 vcc, v18, v4
	s_and_saveexec_b64 s[0:1], vcc
	s_cbranch_execz .LBB2524_131
.LBB2524_198:
	v_lshlrev_b32_e32 v7, 1, v18
	v_readfirstlane_b32 s4, v8
	v_readfirstlane_b32 s5, v9
	s_waitcnt lgkmcnt(5)
	s_nop 3
	global_store_short v7, v17, s[4:5]
	s_or_b64 exec, exec, s[0:1]
	v_cmp_lt_u32_e32 vcc, v16, v4
	s_and_saveexec_b64 s[0:1], vcc
	s_cbranch_execz .LBB2524_132
.LBB2524_199:
	v_lshlrev_b32_e32 v7, 1, v16
	v_readfirstlane_b32 s4, v8
	v_readfirstlane_b32 s5, v9
	s_waitcnt lgkmcnt(4)
	s_nop 3
	global_store_short v7, v15, s[4:5]
	s_or_b64 exec, exec, s[0:1]
	v_cmp_lt_u32_e32 vcc, v14, v4
	s_and_saveexec_b64 s[0:1], vcc
	s_cbranch_execz .LBB2524_133
.LBB2524_200:
	v_lshlrev_b32_e32 v7, 1, v14
	v_readfirstlane_b32 s4, v8
	v_readfirstlane_b32 s5, v9
	s_waitcnt lgkmcnt(3)
	s_nop 3
	global_store_short v7, v13, s[4:5]
	s_or_b64 exec, exec, s[0:1]
	v_cmp_lt_u32_e32 vcc, v12, v4
	s_and_saveexec_b64 s[0:1], vcc
	s_cbranch_execz .LBB2524_134
.LBB2524_201:
	v_lshlrev_b32_e32 v7, 1, v12
	v_readfirstlane_b32 s4, v8
	v_readfirstlane_b32 s5, v9
	s_waitcnt lgkmcnt(2)
	s_nop 3
	global_store_short v7, v11, s[4:5]
	s_or_b64 exec, exec, s[0:1]
	v_cmp_lt_u32_e32 vcc, v10, v4
	s_and_saveexec_b64 s[0:1], vcc
	s_cbranch_execnz .LBB2524_135
	s_branch .LBB2524_136
.LBB2524_202:
	v_readfirstlane_b32 s2, v8
	v_readfirstlane_b32 s3, v9
	s_waitcnt lgkmcnt(14)
	s_nop 3
	global_store_short v2, v65, s[2:3]
	s_or_b64 exec, exec, s[0:1]
	v_cmp_lt_u32_e32 vcc, v63, v66
	s_and_saveexec_b64 s[0:1], vcc
	s_cbranch_execz .LBB2524_140
.LBB2524_203:
	v_readfirstlane_b32 s2, v8
	v_readfirstlane_b32 s3, v9
	s_waitcnt lgkmcnt(14)
	s_nop 3
	global_store_short v2, v64, s[2:3] offset:1024
	s_or_b64 exec, exec, s[0:1]
	v_cmp_lt_u32_e32 vcc, v61, v66
	s_and_saveexec_b64 s[0:1], vcc
	s_cbranch_execz .LBB2524_141
.LBB2524_204:
	v_readfirstlane_b32 s2, v8
	v_readfirstlane_b32 s3, v9
	s_waitcnt lgkmcnt(14)
	s_nop 3
	global_store_short v2, v62, s[2:3] offset:2048
	s_or_b64 exec, exec, s[0:1]
	v_cmp_lt_u32_e32 vcc, v59, v66
	s_and_saveexec_b64 s[0:1], vcc
	s_cbranch_execz .LBB2524_142
.LBB2524_205:
	v_readfirstlane_b32 s2, v8
	v_readfirstlane_b32 s3, v9
	s_waitcnt lgkmcnt(14)
	s_nop 3
	global_store_short v2, v60, s[2:3] offset:3072
	s_or_b64 exec, exec, s[0:1]
	v_cmp_lt_u32_e32 vcc, v57, v66
	s_and_saveexec_b64 s[0:1], vcc
	s_cbranch_execz .LBB2524_143
.LBB2524_206:
	v_lshlrev_b32_e32 v2, 1, v57
	v_readfirstlane_b32 s2, v8
	v_readfirstlane_b32 s3, v9
	s_waitcnt lgkmcnt(14)
	s_nop 3
	global_store_short v2, v58, s[2:3]
	s_or_b64 exec, exec, s[0:1]
	v_cmp_lt_u32_e32 vcc, v55, v66
	s_and_saveexec_b64 s[0:1], vcc
	s_cbranch_execz .LBB2524_144
.LBB2524_207:
	v_lshlrev_b32_e32 v2, 1, v55
	v_readfirstlane_b32 s2, v8
	v_readfirstlane_b32 s3, v9
	s_waitcnt lgkmcnt(14)
	s_nop 3
	global_store_short v2, v56, s[2:3]
	s_or_b64 exec, exec, s[0:1]
	v_cmp_lt_u32_e32 vcc, v53, v66
	s_and_saveexec_b64 s[0:1], vcc
	s_cbranch_execz .LBB2524_145
.LBB2524_208:
	v_lshlrev_b32_e32 v2, 1, v53
	v_readfirstlane_b32 s2, v8
	v_readfirstlane_b32 s3, v9
	s_waitcnt lgkmcnt(14)
	s_nop 3
	global_store_short v2, v54, s[2:3]
	s_or_b64 exec, exec, s[0:1]
	v_cmp_lt_u32_e32 vcc, v50, v66
	s_and_saveexec_b64 s[0:1], vcc
	s_cbranch_execz .LBB2524_146
.LBB2524_209:
	v_lshlrev_b32_e32 v2, 1, v50
	v_readfirstlane_b32 s2, v8
	v_readfirstlane_b32 s3, v9
	s_waitcnt lgkmcnt(14)
	s_nop 3
	global_store_short v2, v51, s[2:3]
	s_or_b64 exec, exec, s[0:1]
	v_cmp_lt_u32_e32 vcc, v49, v66
	s_and_saveexec_b64 s[0:1], vcc
	s_cbranch_execz .LBB2524_147
.LBB2524_210:
	v_lshlrev_b32_e32 v2, 1, v49
	v_readfirstlane_b32 s2, v8
	v_readfirstlane_b32 s3, v9
	s_waitcnt lgkmcnt(14)
	s_nop 3
	global_store_short v2, v52, s[2:3]
	s_or_b64 exec, exec, s[0:1]
	v_cmp_lt_u32_e32 vcc, v47, v66
	s_and_saveexec_b64 s[0:1], vcc
	s_cbranch_execz .LBB2524_148
.LBB2524_211:
	v_lshlrev_b32_e32 v2, 1, v47
	v_readfirstlane_b32 s2, v8
	v_readfirstlane_b32 s3, v9
	s_waitcnt lgkmcnt(14)
	s_nop 3
	global_store_short v2, v48, s[2:3]
	s_or_b64 exec, exec, s[0:1]
	v_cmp_lt_u32_e32 vcc, v45, v66
	s_and_saveexec_b64 s[0:1], vcc
	s_cbranch_execz .LBB2524_149
.LBB2524_212:
	v_lshlrev_b32_e32 v2, 1, v45
	v_readfirstlane_b32 s2, v8
	v_readfirstlane_b32 s3, v9
	s_waitcnt lgkmcnt(14)
	s_nop 3
	global_store_short v2, v46, s[2:3]
	s_or_b64 exec, exec, s[0:1]
	v_cmp_lt_u32_e32 vcc, v43, v66
	s_and_saveexec_b64 s[0:1], vcc
	s_cbranch_execz .LBB2524_150
.LBB2524_213:
	v_lshlrev_b32_e32 v2, 1, v43
	v_readfirstlane_b32 s2, v8
	v_readfirstlane_b32 s3, v9
	s_waitcnt lgkmcnt(14)
	s_nop 3
	global_store_short v2, v44, s[2:3]
	s_or_b64 exec, exec, s[0:1]
	v_cmp_lt_u32_e32 vcc, v41, v66
	s_and_saveexec_b64 s[0:1], vcc
	s_cbranch_execz .LBB2524_151
.LBB2524_214:
	v_lshlrev_b32_e32 v2, 1, v41
	v_readfirstlane_b32 s2, v8
	v_readfirstlane_b32 s3, v9
	s_waitcnt lgkmcnt(14)
	s_nop 3
	global_store_short v2, v42, s[2:3]
	s_or_b64 exec, exec, s[0:1]
	v_cmp_lt_u32_e32 vcc, v39, v66
	s_and_saveexec_b64 s[0:1], vcc
	s_cbranch_execz .LBB2524_152
.LBB2524_215:
	v_lshlrev_b32_e32 v2, 1, v39
	v_readfirstlane_b32 s2, v8
	v_readfirstlane_b32 s3, v9
	s_waitcnt lgkmcnt(14)
	s_nop 3
	global_store_short v2, v40, s[2:3]
	s_or_b64 exec, exec, s[0:1]
	v_cmp_lt_u32_e32 vcc, v37, v66
	s_and_saveexec_b64 s[0:1], vcc
	s_cbranch_execz .LBB2524_153
.LBB2524_216:
	v_lshlrev_b32_e32 v2, 1, v37
	v_readfirstlane_b32 s2, v8
	v_readfirstlane_b32 s3, v9
	s_waitcnt lgkmcnt(14)
	s_nop 3
	global_store_short v2, v38, s[2:3]
	s_or_b64 exec, exec, s[0:1]
	v_cmp_lt_u32_e32 vcc, v34, v66
	s_and_saveexec_b64 s[0:1], vcc
	s_cbranch_execz .LBB2524_154
.LBB2524_217:
	v_lshlrev_b32_e32 v2, 1, v34
	v_readfirstlane_b32 s2, v8
	v_readfirstlane_b32 s3, v9
	s_waitcnt lgkmcnt(14)
	s_nop 3
	global_store_short v2, v35, s[2:3]
	s_or_b64 exec, exec, s[0:1]
	v_cmp_lt_u32_e32 vcc, v33, v66
	s_and_saveexec_b64 s[0:1], vcc
	s_cbranch_execz .LBB2524_155
.LBB2524_218:
	v_lshlrev_b32_e32 v2, 1, v33
	v_readfirstlane_b32 s2, v8
	v_readfirstlane_b32 s3, v9
	s_waitcnt lgkmcnt(13)
	s_nop 3
	global_store_short v2, v36, s[2:3]
	s_or_b64 exec, exec, s[0:1]
	v_cmp_lt_u32_e32 vcc, v31, v66
	s_and_saveexec_b64 s[0:1], vcc
	s_cbranch_execz .LBB2524_156
.LBB2524_219:
	v_lshlrev_b32_e32 v2, 1, v31
	v_readfirstlane_b32 s2, v8
	v_readfirstlane_b32 s3, v9
	s_waitcnt lgkmcnt(12)
	s_nop 3
	global_store_short v2, v32, s[2:3]
	s_or_b64 exec, exec, s[0:1]
	v_cmp_lt_u32_e32 vcc, v29, v66
	s_and_saveexec_b64 s[0:1], vcc
	s_cbranch_execz .LBB2524_157
.LBB2524_220:
	v_lshlrev_b32_e32 v2, 1, v29
	v_readfirstlane_b32 s2, v8
	v_readfirstlane_b32 s3, v9
	s_waitcnt lgkmcnt(11)
	s_nop 3
	global_store_short v2, v30, s[2:3]
	s_or_b64 exec, exec, s[0:1]
	v_cmp_lt_u32_e32 vcc, v27, v66
	s_and_saveexec_b64 s[0:1], vcc
	s_cbranch_execz .LBB2524_158
.LBB2524_221:
	v_lshlrev_b32_e32 v2, 1, v27
	v_readfirstlane_b32 s2, v8
	v_readfirstlane_b32 s3, v9
	s_waitcnt lgkmcnt(10)
	s_nop 3
	global_store_short v2, v28, s[2:3]
	s_or_b64 exec, exec, s[0:1]
	v_cmp_lt_u32_e32 vcc, v25, v66
	s_and_saveexec_b64 s[0:1], vcc
	s_cbranch_execz .LBB2524_159
.LBB2524_222:
	v_lshlrev_b32_e32 v2, 1, v25
	v_readfirstlane_b32 s2, v8
	v_readfirstlane_b32 s3, v9
	s_waitcnt lgkmcnt(9)
	s_nop 3
	global_store_short v2, v26, s[2:3]
	s_or_b64 exec, exec, s[0:1]
	v_cmp_lt_u32_e32 vcc, v23, v66
	s_and_saveexec_b64 s[0:1], vcc
	s_cbranch_execz .LBB2524_160
.LBB2524_223:
	v_lshlrev_b32_e32 v2, 1, v23
	v_readfirstlane_b32 s2, v8
	v_readfirstlane_b32 s3, v9
	s_waitcnt lgkmcnt(8)
	s_nop 3
	global_store_short v2, v24, s[2:3]
	s_or_b64 exec, exec, s[0:1]
	v_cmp_lt_u32_e32 vcc, v21, v66
	s_and_saveexec_b64 s[0:1], vcc
	s_cbranch_execz .LBB2524_161
.LBB2524_224:
	v_lshlrev_b32_e32 v2, 1, v21
	v_readfirstlane_b32 s2, v8
	v_readfirstlane_b32 s3, v9
	s_waitcnt lgkmcnt(7)
	s_nop 3
	global_store_short v2, v22, s[2:3]
	s_or_b64 exec, exec, s[0:1]
	v_cmp_lt_u32_e32 vcc, v19, v66
	s_and_saveexec_b64 s[0:1], vcc
	s_cbranch_execz .LBB2524_162
.LBB2524_225:
	v_lshlrev_b32_e32 v2, 1, v19
	v_readfirstlane_b32 s2, v8
	v_readfirstlane_b32 s3, v9
	s_waitcnt lgkmcnt(6)
	s_nop 3
	global_store_short v2, v20, s[2:3]
	s_or_b64 exec, exec, s[0:1]
	v_cmp_lt_u32_e32 vcc, v18, v66
	s_and_saveexec_b64 s[0:1], vcc
	s_cbranch_execz .LBB2524_163
.LBB2524_226:
	v_lshlrev_b32_e32 v2, 1, v18
	v_readfirstlane_b32 s2, v8
	v_readfirstlane_b32 s3, v9
	s_waitcnt lgkmcnt(5)
	s_nop 3
	global_store_short v2, v17, s[2:3]
	s_or_b64 exec, exec, s[0:1]
	v_cmp_lt_u32_e32 vcc, v16, v66
	s_and_saveexec_b64 s[0:1], vcc
	s_cbranch_execz .LBB2524_164
.LBB2524_227:
	v_lshlrev_b32_e32 v2, 1, v16
	v_readfirstlane_b32 s2, v8
	v_readfirstlane_b32 s3, v9
	s_waitcnt lgkmcnt(4)
	s_nop 3
	global_store_short v2, v15, s[2:3]
	s_or_b64 exec, exec, s[0:1]
	v_cmp_lt_u32_e32 vcc, v14, v66
	s_and_saveexec_b64 s[0:1], vcc
	s_cbranch_execz .LBB2524_165
.LBB2524_228:
	v_lshlrev_b32_e32 v2, 1, v14
	v_readfirstlane_b32 s2, v8
	v_readfirstlane_b32 s3, v9
	s_waitcnt lgkmcnt(3)
	s_nop 3
	global_store_short v2, v13, s[2:3]
	s_or_b64 exec, exec, s[0:1]
	v_cmp_lt_u32_e32 vcc, v12, v66
	s_and_saveexec_b64 s[0:1], vcc
	s_cbranch_execz .LBB2524_166
.LBB2524_229:
	v_lshlrev_b32_e32 v2, 1, v12
	v_readfirstlane_b32 s2, v8
	v_readfirstlane_b32 s3, v9
	s_waitcnt lgkmcnt(2)
	s_nop 3
	global_store_short v2, v11, s[2:3]
	s_or_b64 exec, exec, s[0:1]
	v_cmp_lt_u32_e32 vcc, v10, v66
	s_and_saveexec_b64 s[0:1], vcc
	s_cbranch_execnz .LBB2524_167
	s_branch .LBB2524_168
	.section	.rodata,"a",@progbits
	.p2align	6, 0x0
	.amdhsa_kernel _ZN7rocprim17ROCPRIM_400000_NS6detail17trampoline_kernelINS0_14default_configENS1_25partition_config_selectorILNS1_17partition_subalgoE0EtNS0_10empty_typeEbEEZZNS1_14partition_implILS5_0ELb0ES3_jN6thrust23THRUST_200600_302600_NS6detail15normal_iteratorINSA_10device_ptrItEEEEPS6_SG_NS0_5tupleIJSF_NSA_16discard_iteratorINSA_11use_defaultEEEEEENSH_IJSG_SG_EEES6_PlJ7is_evenItEEEE10hipError_tPvRmT3_T4_T5_T6_T7_T9_mT8_P12ihipStream_tbDpT10_ENKUlT_T0_E_clISt17integral_constantIbLb0EES19_EEDaS14_S15_EUlS14_E_NS1_11comp_targetILNS1_3genE5ELNS1_11target_archE942ELNS1_3gpuE9ELNS1_3repE0EEENS1_30default_config_static_selectorELNS0_4arch9wavefront6targetE1EEEvT1_
		.amdhsa_group_segment_fixed_size 30728
		.amdhsa_private_segment_fixed_size 0
		.amdhsa_kernarg_size 128
		.amdhsa_user_sgpr_count 2
		.amdhsa_user_sgpr_dispatch_ptr 0
		.amdhsa_user_sgpr_queue_ptr 0
		.amdhsa_user_sgpr_kernarg_segment_ptr 1
		.amdhsa_user_sgpr_dispatch_id 0
		.amdhsa_user_sgpr_kernarg_preload_length 0
		.amdhsa_user_sgpr_kernarg_preload_offset 0
		.amdhsa_user_sgpr_private_segment_size 0
		.amdhsa_uses_dynamic_stack 0
		.amdhsa_enable_private_segment 0
		.amdhsa_system_sgpr_workgroup_id_x 1
		.amdhsa_system_sgpr_workgroup_id_y 0
		.amdhsa_system_sgpr_workgroup_id_z 0
		.amdhsa_system_sgpr_workgroup_info 0
		.amdhsa_system_vgpr_workitem_id 0
		.amdhsa_next_free_vgpr 120
		.amdhsa_next_free_sgpr 40
		.amdhsa_accum_offset 120
		.amdhsa_reserve_vcc 1
		.amdhsa_float_round_mode_32 0
		.amdhsa_float_round_mode_16_64 0
		.amdhsa_float_denorm_mode_32 3
		.amdhsa_float_denorm_mode_16_64 3
		.amdhsa_dx10_clamp 1
		.amdhsa_ieee_mode 1
		.amdhsa_fp16_overflow 0
		.amdhsa_tg_split 0
		.amdhsa_exception_fp_ieee_invalid_op 0
		.amdhsa_exception_fp_denorm_src 0
		.amdhsa_exception_fp_ieee_div_zero 0
		.amdhsa_exception_fp_ieee_overflow 0
		.amdhsa_exception_fp_ieee_underflow 0
		.amdhsa_exception_fp_ieee_inexact 0
		.amdhsa_exception_int_div_zero 0
	.end_amdhsa_kernel
	.section	.text._ZN7rocprim17ROCPRIM_400000_NS6detail17trampoline_kernelINS0_14default_configENS1_25partition_config_selectorILNS1_17partition_subalgoE0EtNS0_10empty_typeEbEEZZNS1_14partition_implILS5_0ELb0ES3_jN6thrust23THRUST_200600_302600_NS6detail15normal_iteratorINSA_10device_ptrItEEEEPS6_SG_NS0_5tupleIJSF_NSA_16discard_iteratorINSA_11use_defaultEEEEEENSH_IJSG_SG_EEES6_PlJ7is_evenItEEEE10hipError_tPvRmT3_T4_T5_T6_T7_T9_mT8_P12ihipStream_tbDpT10_ENKUlT_T0_E_clISt17integral_constantIbLb0EES19_EEDaS14_S15_EUlS14_E_NS1_11comp_targetILNS1_3genE5ELNS1_11target_archE942ELNS1_3gpuE9ELNS1_3repE0EEENS1_30default_config_static_selectorELNS0_4arch9wavefront6targetE1EEEvT1_,"axG",@progbits,_ZN7rocprim17ROCPRIM_400000_NS6detail17trampoline_kernelINS0_14default_configENS1_25partition_config_selectorILNS1_17partition_subalgoE0EtNS0_10empty_typeEbEEZZNS1_14partition_implILS5_0ELb0ES3_jN6thrust23THRUST_200600_302600_NS6detail15normal_iteratorINSA_10device_ptrItEEEEPS6_SG_NS0_5tupleIJSF_NSA_16discard_iteratorINSA_11use_defaultEEEEEENSH_IJSG_SG_EEES6_PlJ7is_evenItEEEE10hipError_tPvRmT3_T4_T5_T6_T7_T9_mT8_P12ihipStream_tbDpT10_ENKUlT_T0_E_clISt17integral_constantIbLb0EES19_EEDaS14_S15_EUlS14_E_NS1_11comp_targetILNS1_3genE5ELNS1_11target_archE942ELNS1_3gpuE9ELNS1_3repE0EEENS1_30default_config_static_selectorELNS0_4arch9wavefront6targetE1EEEvT1_,comdat
.Lfunc_end2524:
	.size	_ZN7rocprim17ROCPRIM_400000_NS6detail17trampoline_kernelINS0_14default_configENS1_25partition_config_selectorILNS1_17partition_subalgoE0EtNS0_10empty_typeEbEEZZNS1_14partition_implILS5_0ELb0ES3_jN6thrust23THRUST_200600_302600_NS6detail15normal_iteratorINSA_10device_ptrItEEEEPS6_SG_NS0_5tupleIJSF_NSA_16discard_iteratorINSA_11use_defaultEEEEEENSH_IJSG_SG_EEES6_PlJ7is_evenItEEEE10hipError_tPvRmT3_T4_T5_T6_T7_T9_mT8_P12ihipStream_tbDpT10_ENKUlT_T0_E_clISt17integral_constantIbLb0EES19_EEDaS14_S15_EUlS14_E_NS1_11comp_targetILNS1_3genE5ELNS1_11target_archE942ELNS1_3gpuE9ELNS1_3repE0EEENS1_30default_config_static_selectorELNS0_4arch9wavefront6targetE1EEEvT1_, .Lfunc_end2524-_ZN7rocprim17ROCPRIM_400000_NS6detail17trampoline_kernelINS0_14default_configENS1_25partition_config_selectorILNS1_17partition_subalgoE0EtNS0_10empty_typeEbEEZZNS1_14partition_implILS5_0ELb0ES3_jN6thrust23THRUST_200600_302600_NS6detail15normal_iteratorINSA_10device_ptrItEEEEPS6_SG_NS0_5tupleIJSF_NSA_16discard_iteratorINSA_11use_defaultEEEEEENSH_IJSG_SG_EEES6_PlJ7is_evenItEEEE10hipError_tPvRmT3_T4_T5_T6_T7_T9_mT8_P12ihipStream_tbDpT10_ENKUlT_T0_E_clISt17integral_constantIbLb0EES19_EEDaS14_S15_EUlS14_E_NS1_11comp_targetILNS1_3genE5ELNS1_11target_archE942ELNS1_3gpuE9ELNS1_3repE0EEENS1_30default_config_static_selectorELNS0_4arch9wavefront6targetE1EEEvT1_
                                        ; -- End function
	.section	.AMDGPU.csdata,"",@progbits
; Kernel info:
; codeLenInByte = 11196
; NumSgprs: 46
; NumVgprs: 120
; NumAgprs: 0
; TotalNumVgprs: 120
; ScratchSize: 0
; MemoryBound: 0
; FloatMode: 240
; IeeeMode: 1
; LDSByteSize: 30728 bytes/workgroup (compile time only)
; SGPRBlocks: 5
; VGPRBlocks: 14
; NumSGPRsForWavesPerEU: 46
; NumVGPRsForWavesPerEU: 120
; AccumOffset: 120
; Occupancy: 4
; WaveLimiterHint : 1
; COMPUTE_PGM_RSRC2:SCRATCH_EN: 0
; COMPUTE_PGM_RSRC2:USER_SGPR: 2
; COMPUTE_PGM_RSRC2:TRAP_HANDLER: 0
; COMPUTE_PGM_RSRC2:TGID_X_EN: 1
; COMPUTE_PGM_RSRC2:TGID_Y_EN: 0
; COMPUTE_PGM_RSRC2:TGID_Z_EN: 0
; COMPUTE_PGM_RSRC2:TIDIG_COMP_CNT: 0
; COMPUTE_PGM_RSRC3_GFX90A:ACCUM_OFFSET: 29
; COMPUTE_PGM_RSRC3_GFX90A:TG_SPLIT: 0
	.section	.text._ZN7rocprim17ROCPRIM_400000_NS6detail17trampoline_kernelINS0_14default_configENS1_25partition_config_selectorILNS1_17partition_subalgoE0EtNS0_10empty_typeEbEEZZNS1_14partition_implILS5_0ELb0ES3_jN6thrust23THRUST_200600_302600_NS6detail15normal_iteratorINSA_10device_ptrItEEEEPS6_SG_NS0_5tupleIJSF_NSA_16discard_iteratorINSA_11use_defaultEEEEEENSH_IJSG_SG_EEES6_PlJ7is_evenItEEEE10hipError_tPvRmT3_T4_T5_T6_T7_T9_mT8_P12ihipStream_tbDpT10_ENKUlT_T0_E_clISt17integral_constantIbLb0EES19_EEDaS14_S15_EUlS14_E_NS1_11comp_targetILNS1_3genE4ELNS1_11target_archE910ELNS1_3gpuE8ELNS1_3repE0EEENS1_30default_config_static_selectorELNS0_4arch9wavefront6targetE1EEEvT1_,"axG",@progbits,_ZN7rocprim17ROCPRIM_400000_NS6detail17trampoline_kernelINS0_14default_configENS1_25partition_config_selectorILNS1_17partition_subalgoE0EtNS0_10empty_typeEbEEZZNS1_14partition_implILS5_0ELb0ES3_jN6thrust23THRUST_200600_302600_NS6detail15normal_iteratorINSA_10device_ptrItEEEEPS6_SG_NS0_5tupleIJSF_NSA_16discard_iteratorINSA_11use_defaultEEEEEENSH_IJSG_SG_EEES6_PlJ7is_evenItEEEE10hipError_tPvRmT3_T4_T5_T6_T7_T9_mT8_P12ihipStream_tbDpT10_ENKUlT_T0_E_clISt17integral_constantIbLb0EES19_EEDaS14_S15_EUlS14_E_NS1_11comp_targetILNS1_3genE4ELNS1_11target_archE910ELNS1_3gpuE8ELNS1_3repE0EEENS1_30default_config_static_selectorELNS0_4arch9wavefront6targetE1EEEvT1_,comdat
	.protected	_ZN7rocprim17ROCPRIM_400000_NS6detail17trampoline_kernelINS0_14default_configENS1_25partition_config_selectorILNS1_17partition_subalgoE0EtNS0_10empty_typeEbEEZZNS1_14partition_implILS5_0ELb0ES3_jN6thrust23THRUST_200600_302600_NS6detail15normal_iteratorINSA_10device_ptrItEEEEPS6_SG_NS0_5tupleIJSF_NSA_16discard_iteratorINSA_11use_defaultEEEEEENSH_IJSG_SG_EEES6_PlJ7is_evenItEEEE10hipError_tPvRmT3_T4_T5_T6_T7_T9_mT8_P12ihipStream_tbDpT10_ENKUlT_T0_E_clISt17integral_constantIbLb0EES19_EEDaS14_S15_EUlS14_E_NS1_11comp_targetILNS1_3genE4ELNS1_11target_archE910ELNS1_3gpuE8ELNS1_3repE0EEENS1_30default_config_static_selectorELNS0_4arch9wavefront6targetE1EEEvT1_ ; -- Begin function _ZN7rocprim17ROCPRIM_400000_NS6detail17trampoline_kernelINS0_14default_configENS1_25partition_config_selectorILNS1_17partition_subalgoE0EtNS0_10empty_typeEbEEZZNS1_14partition_implILS5_0ELb0ES3_jN6thrust23THRUST_200600_302600_NS6detail15normal_iteratorINSA_10device_ptrItEEEEPS6_SG_NS0_5tupleIJSF_NSA_16discard_iteratorINSA_11use_defaultEEEEEENSH_IJSG_SG_EEES6_PlJ7is_evenItEEEE10hipError_tPvRmT3_T4_T5_T6_T7_T9_mT8_P12ihipStream_tbDpT10_ENKUlT_T0_E_clISt17integral_constantIbLb0EES19_EEDaS14_S15_EUlS14_E_NS1_11comp_targetILNS1_3genE4ELNS1_11target_archE910ELNS1_3gpuE8ELNS1_3repE0EEENS1_30default_config_static_selectorELNS0_4arch9wavefront6targetE1EEEvT1_
	.globl	_ZN7rocprim17ROCPRIM_400000_NS6detail17trampoline_kernelINS0_14default_configENS1_25partition_config_selectorILNS1_17partition_subalgoE0EtNS0_10empty_typeEbEEZZNS1_14partition_implILS5_0ELb0ES3_jN6thrust23THRUST_200600_302600_NS6detail15normal_iteratorINSA_10device_ptrItEEEEPS6_SG_NS0_5tupleIJSF_NSA_16discard_iteratorINSA_11use_defaultEEEEEENSH_IJSG_SG_EEES6_PlJ7is_evenItEEEE10hipError_tPvRmT3_T4_T5_T6_T7_T9_mT8_P12ihipStream_tbDpT10_ENKUlT_T0_E_clISt17integral_constantIbLb0EES19_EEDaS14_S15_EUlS14_E_NS1_11comp_targetILNS1_3genE4ELNS1_11target_archE910ELNS1_3gpuE8ELNS1_3repE0EEENS1_30default_config_static_selectorELNS0_4arch9wavefront6targetE1EEEvT1_
	.p2align	8
	.type	_ZN7rocprim17ROCPRIM_400000_NS6detail17trampoline_kernelINS0_14default_configENS1_25partition_config_selectorILNS1_17partition_subalgoE0EtNS0_10empty_typeEbEEZZNS1_14partition_implILS5_0ELb0ES3_jN6thrust23THRUST_200600_302600_NS6detail15normal_iteratorINSA_10device_ptrItEEEEPS6_SG_NS0_5tupleIJSF_NSA_16discard_iteratorINSA_11use_defaultEEEEEENSH_IJSG_SG_EEES6_PlJ7is_evenItEEEE10hipError_tPvRmT3_T4_T5_T6_T7_T9_mT8_P12ihipStream_tbDpT10_ENKUlT_T0_E_clISt17integral_constantIbLb0EES19_EEDaS14_S15_EUlS14_E_NS1_11comp_targetILNS1_3genE4ELNS1_11target_archE910ELNS1_3gpuE8ELNS1_3repE0EEENS1_30default_config_static_selectorELNS0_4arch9wavefront6targetE1EEEvT1_,@function
_ZN7rocprim17ROCPRIM_400000_NS6detail17trampoline_kernelINS0_14default_configENS1_25partition_config_selectorILNS1_17partition_subalgoE0EtNS0_10empty_typeEbEEZZNS1_14partition_implILS5_0ELb0ES3_jN6thrust23THRUST_200600_302600_NS6detail15normal_iteratorINSA_10device_ptrItEEEEPS6_SG_NS0_5tupleIJSF_NSA_16discard_iteratorINSA_11use_defaultEEEEEENSH_IJSG_SG_EEES6_PlJ7is_evenItEEEE10hipError_tPvRmT3_T4_T5_T6_T7_T9_mT8_P12ihipStream_tbDpT10_ENKUlT_T0_E_clISt17integral_constantIbLb0EES19_EEDaS14_S15_EUlS14_E_NS1_11comp_targetILNS1_3genE4ELNS1_11target_archE910ELNS1_3gpuE8ELNS1_3repE0EEENS1_30default_config_static_selectorELNS0_4arch9wavefront6targetE1EEEvT1_: ; @_ZN7rocprim17ROCPRIM_400000_NS6detail17trampoline_kernelINS0_14default_configENS1_25partition_config_selectorILNS1_17partition_subalgoE0EtNS0_10empty_typeEbEEZZNS1_14partition_implILS5_0ELb0ES3_jN6thrust23THRUST_200600_302600_NS6detail15normal_iteratorINSA_10device_ptrItEEEEPS6_SG_NS0_5tupleIJSF_NSA_16discard_iteratorINSA_11use_defaultEEEEEENSH_IJSG_SG_EEES6_PlJ7is_evenItEEEE10hipError_tPvRmT3_T4_T5_T6_T7_T9_mT8_P12ihipStream_tbDpT10_ENKUlT_T0_E_clISt17integral_constantIbLb0EES19_EEDaS14_S15_EUlS14_E_NS1_11comp_targetILNS1_3genE4ELNS1_11target_archE910ELNS1_3gpuE8ELNS1_3repE0EEENS1_30default_config_static_selectorELNS0_4arch9wavefront6targetE1EEEvT1_
; %bb.0:
	.section	.rodata,"a",@progbits
	.p2align	6, 0x0
	.amdhsa_kernel _ZN7rocprim17ROCPRIM_400000_NS6detail17trampoline_kernelINS0_14default_configENS1_25partition_config_selectorILNS1_17partition_subalgoE0EtNS0_10empty_typeEbEEZZNS1_14partition_implILS5_0ELb0ES3_jN6thrust23THRUST_200600_302600_NS6detail15normal_iteratorINSA_10device_ptrItEEEEPS6_SG_NS0_5tupleIJSF_NSA_16discard_iteratorINSA_11use_defaultEEEEEENSH_IJSG_SG_EEES6_PlJ7is_evenItEEEE10hipError_tPvRmT3_T4_T5_T6_T7_T9_mT8_P12ihipStream_tbDpT10_ENKUlT_T0_E_clISt17integral_constantIbLb0EES19_EEDaS14_S15_EUlS14_E_NS1_11comp_targetILNS1_3genE4ELNS1_11target_archE910ELNS1_3gpuE8ELNS1_3repE0EEENS1_30default_config_static_selectorELNS0_4arch9wavefront6targetE1EEEvT1_
		.amdhsa_group_segment_fixed_size 0
		.amdhsa_private_segment_fixed_size 0
		.amdhsa_kernarg_size 128
		.amdhsa_user_sgpr_count 2
		.amdhsa_user_sgpr_dispatch_ptr 0
		.amdhsa_user_sgpr_queue_ptr 0
		.amdhsa_user_sgpr_kernarg_segment_ptr 1
		.amdhsa_user_sgpr_dispatch_id 0
		.amdhsa_user_sgpr_kernarg_preload_length 0
		.amdhsa_user_sgpr_kernarg_preload_offset 0
		.amdhsa_user_sgpr_private_segment_size 0
		.amdhsa_uses_dynamic_stack 0
		.amdhsa_enable_private_segment 0
		.amdhsa_system_sgpr_workgroup_id_x 1
		.amdhsa_system_sgpr_workgroup_id_y 0
		.amdhsa_system_sgpr_workgroup_id_z 0
		.amdhsa_system_sgpr_workgroup_info 0
		.amdhsa_system_vgpr_workitem_id 0
		.amdhsa_next_free_vgpr 1
		.amdhsa_next_free_sgpr 0
		.amdhsa_accum_offset 4
		.amdhsa_reserve_vcc 0
		.amdhsa_float_round_mode_32 0
		.amdhsa_float_round_mode_16_64 0
		.amdhsa_float_denorm_mode_32 3
		.amdhsa_float_denorm_mode_16_64 3
		.amdhsa_dx10_clamp 1
		.amdhsa_ieee_mode 1
		.amdhsa_fp16_overflow 0
		.amdhsa_tg_split 0
		.amdhsa_exception_fp_ieee_invalid_op 0
		.amdhsa_exception_fp_denorm_src 0
		.amdhsa_exception_fp_ieee_div_zero 0
		.amdhsa_exception_fp_ieee_overflow 0
		.amdhsa_exception_fp_ieee_underflow 0
		.amdhsa_exception_fp_ieee_inexact 0
		.amdhsa_exception_int_div_zero 0
	.end_amdhsa_kernel
	.section	.text._ZN7rocprim17ROCPRIM_400000_NS6detail17trampoline_kernelINS0_14default_configENS1_25partition_config_selectorILNS1_17partition_subalgoE0EtNS0_10empty_typeEbEEZZNS1_14partition_implILS5_0ELb0ES3_jN6thrust23THRUST_200600_302600_NS6detail15normal_iteratorINSA_10device_ptrItEEEEPS6_SG_NS0_5tupleIJSF_NSA_16discard_iteratorINSA_11use_defaultEEEEEENSH_IJSG_SG_EEES6_PlJ7is_evenItEEEE10hipError_tPvRmT3_T4_T5_T6_T7_T9_mT8_P12ihipStream_tbDpT10_ENKUlT_T0_E_clISt17integral_constantIbLb0EES19_EEDaS14_S15_EUlS14_E_NS1_11comp_targetILNS1_3genE4ELNS1_11target_archE910ELNS1_3gpuE8ELNS1_3repE0EEENS1_30default_config_static_selectorELNS0_4arch9wavefront6targetE1EEEvT1_,"axG",@progbits,_ZN7rocprim17ROCPRIM_400000_NS6detail17trampoline_kernelINS0_14default_configENS1_25partition_config_selectorILNS1_17partition_subalgoE0EtNS0_10empty_typeEbEEZZNS1_14partition_implILS5_0ELb0ES3_jN6thrust23THRUST_200600_302600_NS6detail15normal_iteratorINSA_10device_ptrItEEEEPS6_SG_NS0_5tupleIJSF_NSA_16discard_iteratorINSA_11use_defaultEEEEEENSH_IJSG_SG_EEES6_PlJ7is_evenItEEEE10hipError_tPvRmT3_T4_T5_T6_T7_T9_mT8_P12ihipStream_tbDpT10_ENKUlT_T0_E_clISt17integral_constantIbLb0EES19_EEDaS14_S15_EUlS14_E_NS1_11comp_targetILNS1_3genE4ELNS1_11target_archE910ELNS1_3gpuE8ELNS1_3repE0EEENS1_30default_config_static_selectorELNS0_4arch9wavefront6targetE1EEEvT1_,comdat
.Lfunc_end2525:
	.size	_ZN7rocprim17ROCPRIM_400000_NS6detail17trampoline_kernelINS0_14default_configENS1_25partition_config_selectorILNS1_17partition_subalgoE0EtNS0_10empty_typeEbEEZZNS1_14partition_implILS5_0ELb0ES3_jN6thrust23THRUST_200600_302600_NS6detail15normal_iteratorINSA_10device_ptrItEEEEPS6_SG_NS0_5tupleIJSF_NSA_16discard_iteratorINSA_11use_defaultEEEEEENSH_IJSG_SG_EEES6_PlJ7is_evenItEEEE10hipError_tPvRmT3_T4_T5_T6_T7_T9_mT8_P12ihipStream_tbDpT10_ENKUlT_T0_E_clISt17integral_constantIbLb0EES19_EEDaS14_S15_EUlS14_E_NS1_11comp_targetILNS1_3genE4ELNS1_11target_archE910ELNS1_3gpuE8ELNS1_3repE0EEENS1_30default_config_static_selectorELNS0_4arch9wavefront6targetE1EEEvT1_, .Lfunc_end2525-_ZN7rocprim17ROCPRIM_400000_NS6detail17trampoline_kernelINS0_14default_configENS1_25partition_config_selectorILNS1_17partition_subalgoE0EtNS0_10empty_typeEbEEZZNS1_14partition_implILS5_0ELb0ES3_jN6thrust23THRUST_200600_302600_NS6detail15normal_iteratorINSA_10device_ptrItEEEEPS6_SG_NS0_5tupleIJSF_NSA_16discard_iteratorINSA_11use_defaultEEEEEENSH_IJSG_SG_EEES6_PlJ7is_evenItEEEE10hipError_tPvRmT3_T4_T5_T6_T7_T9_mT8_P12ihipStream_tbDpT10_ENKUlT_T0_E_clISt17integral_constantIbLb0EES19_EEDaS14_S15_EUlS14_E_NS1_11comp_targetILNS1_3genE4ELNS1_11target_archE910ELNS1_3gpuE8ELNS1_3repE0EEENS1_30default_config_static_selectorELNS0_4arch9wavefront6targetE1EEEvT1_
                                        ; -- End function
	.section	.AMDGPU.csdata,"",@progbits
; Kernel info:
; codeLenInByte = 0
; NumSgprs: 6
; NumVgprs: 0
; NumAgprs: 0
; TotalNumVgprs: 0
; ScratchSize: 0
; MemoryBound: 0
; FloatMode: 240
; IeeeMode: 1
; LDSByteSize: 0 bytes/workgroup (compile time only)
; SGPRBlocks: 0
; VGPRBlocks: 0
; NumSGPRsForWavesPerEU: 6
; NumVGPRsForWavesPerEU: 1
; AccumOffset: 4
; Occupancy: 8
; WaveLimiterHint : 0
; COMPUTE_PGM_RSRC2:SCRATCH_EN: 0
; COMPUTE_PGM_RSRC2:USER_SGPR: 2
; COMPUTE_PGM_RSRC2:TRAP_HANDLER: 0
; COMPUTE_PGM_RSRC2:TGID_X_EN: 1
; COMPUTE_PGM_RSRC2:TGID_Y_EN: 0
; COMPUTE_PGM_RSRC2:TGID_Z_EN: 0
; COMPUTE_PGM_RSRC2:TIDIG_COMP_CNT: 0
; COMPUTE_PGM_RSRC3_GFX90A:ACCUM_OFFSET: 0
; COMPUTE_PGM_RSRC3_GFX90A:TG_SPLIT: 0
	.section	.text._ZN7rocprim17ROCPRIM_400000_NS6detail17trampoline_kernelINS0_14default_configENS1_25partition_config_selectorILNS1_17partition_subalgoE0EtNS0_10empty_typeEbEEZZNS1_14partition_implILS5_0ELb0ES3_jN6thrust23THRUST_200600_302600_NS6detail15normal_iteratorINSA_10device_ptrItEEEEPS6_SG_NS0_5tupleIJSF_NSA_16discard_iteratorINSA_11use_defaultEEEEEENSH_IJSG_SG_EEES6_PlJ7is_evenItEEEE10hipError_tPvRmT3_T4_T5_T6_T7_T9_mT8_P12ihipStream_tbDpT10_ENKUlT_T0_E_clISt17integral_constantIbLb0EES19_EEDaS14_S15_EUlS14_E_NS1_11comp_targetILNS1_3genE3ELNS1_11target_archE908ELNS1_3gpuE7ELNS1_3repE0EEENS1_30default_config_static_selectorELNS0_4arch9wavefront6targetE1EEEvT1_,"axG",@progbits,_ZN7rocprim17ROCPRIM_400000_NS6detail17trampoline_kernelINS0_14default_configENS1_25partition_config_selectorILNS1_17partition_subalgoE0EtNS0_10empty_typeEbEEZZNS1_14partition_implILS5_0ELb0ES3_jN6thrust23THRUST_200600_302600_NS6detail15normal_iteratorINSA_10device_ptrItEEEEPS6_SG_NS0_5tupleIJSF_NSA_16discard_iteratorINSA_11use_defaultEEEEEENSH_IJSG_SG_EEES6_PlJ7is_evenItEEEE10hipError_tPvRmT3_T4_T5_T6_T7_T9_mT8_P12ihipStream_tbDpT10_ENKUlT_T0_E_clISt17integral_constantIbLb0EES19_EEDaS14_S15_EUlS14_E_NS1_11comp_targetILNS1_3genE3ELNS1_11target_archE908ELNS1_3gpuE7ELNS1_3repE0EEENS1_30default_config_static_selectorELNS0_4arch9wavefront6targetE1EEEvT1_,comdat
	.protected	_ZN7rocprim17ROCPRIM_400000_NS6detail17trampoline_kernelINS0_14default_configENS1_25partition_config_selectorILNS1_17partition_subalgoE0EtNS0_10empty_typeEbEEZZNS1_14partition_implILS5_0ELb0ES3_jN6thrust23THRUST_200600_302600_NS6detail15normal_iteratorINSA_10device_ptrItEEEEPS6_SG_NS0_5tupleIJSF_NSA_16discard_iteratorINSA_11use_defaultEEEEEENSH_IJSG_SG_EEES6_PlJ7is_evenItEEEE10hipError_tPvRmT3_T4_T5_T6_T7_T9_mT8_P12ihipStream_tbDpT10_ENKUlT_T0_E_clISt17integral_constantIbLb0EES19_EEDaS14_S15_EUlS14_E_NS1_11comp_targetILNS1_3genE3ELNS1_11target_archE908ELNS1_3gpuE7ELNS1_3repE0EEENS1_30default_config_static_selectorELNS0_4arch9wavefront6targetE1EEEvT1_ ; -- Begin function _ZN7rocprim17ROCPRIM_400000_NS6detail17trampoline_kernelINS0_14default_configENS1_25partition_config_selectorILNS1_17partition_subalgoE0EtNS0_10empty_typeEbEEZZNS1_14partition_implILS5_0ELb0ES3_jN6thrust23THRUST_200600_302600_NS6detail15normal_iteratorINSA_10device_ptrItEEEEPS6_SG_NS0_5tupleIJSF_NSA_16discard_iteratorINSA_11use_defaultEEEEEENSH_IJSG_SG_EEES6_PlJ7is_evenItEEEE10hipError_tPvRmT3_T4_T5_T6_T7_T9_mT8_P12ihipStream_tbDpT10_ENKUlT_T0_E_clISt17integral_constantIbLb0EES19_EEDaS14_S15_EUlS14_E_NS1_11comp_targetILNS1_3genE3ELNS1_11target_archE908ELNS1_3gpuE7ELNS1_3repE0EEENS1_30default_config_static_selectorELNS0_4arch9wavefront6targetE1EEEvT1_
	.globl	_ZN7rocprim17ROCPRIM_400000_NS6detail17trampoline_kernelINS0_14default_configENS1_25partition_config_selectorILNS1_17partition_subalgoE0EtNS0_10empty_typeEbEEZZNS1_14partition_implILS5_0ELb0ES3_jN6thrust23THRUST_200600_302600_NS6detail15normal_iteratorINSA_10device_ptrItEEEEPS6_SG_NS0_5tupleIJSF_NSA_16discard_iteratorINSA_11use_defaultEEEEEENSH_IJSG_SG_EEES6_PlJ7is_evenItEEEE10hipError_tPvRmT3_T4_T5_T6_T7_T9_mT8_P12ihipStream_tbDpT10_ENKUlT_T0_E_clISt17integral_constantIbLb0EES19_EEDaS14_S15_EUlS14_E_NS1_11comp_targetILNS1_3genE3ELNS1_11target_archE908ELNS1_3gpuE7ELNS1_3repE0EEENS1_30default_config_static_selectorELNS0_4arch9wavefront6targetE1EEEvT1_
	.p2align	8
	.type	_ZN7rocprim17ROCPRIM_400000_NS6detail17trampoline_kernelINS0_14default_configENS1_25partition_config_selectorILNS1_17partition_subalgoE0EtNS0_10empty_typeEbEEZZNS1_14partition_implILS5_0ELb0ES3_jN6thrust23THRUST_200600_302600_NS6detail15normal_iteratorINSA_10device_ptrItEEEEPS6_SG_NS0_5tupleIJSF_NSA_16discard_iteratorINSA_11use_defaultEEEEEENSH_IJSG_SG_EEES6_PlJ7is_evenItEEEE10hipError_tPvRmT3_T4_T5_T6_T7_T9_mT8_P12ihipStream_tbDpT10_ENKUlT_T0_E_clISt17integral_constantIbLb0EES19_EEDaS14_S15_EUlS14_E_NS1_11comp_targetILNS1_3genE3ELNS1_11target_archE908ELNS1_3gpuE7ELNS1_3repE0EEENS1_30default_config_static_selectorELNS0_4arch9wavefront6targetE1EEEvT1_,@function
_ZN7rocprim17ROCPRIM_400000_NS6detail17trampoline_kernelINS0_14default_configENS1_25partition_config_selectorILNS1_17partition_subalgoE0EtNS0_10empty_typeEbEEZZNS1_14partition_implILS5_0ELb0ES3_jN6thrust23THRUST_200600_302600_NS6detail15normal_iteratorINSA_10device_ptrItEEEEPS6_SG_NS0_5tupleIJSF_NSA_16discard_iteratorINSA_11use_defaultEEEEEENSH_IJSG_SG_EEES6_PlJ7is_evenItEEEE10hipError_tPvRmT3_T4_T5_T6_T7_T9_mT8_P12ihipStream_tbDpT10_ENKUlT_T0_E_clISt17integral_constantIbLb0EES19_EEDaS14_S15_EUlS14_E_NS1_11comp_targetILNS1_3genE3ELNS1_11target_archE908ELNS1_3gpuE7ELNS1_3repE0EEENS1_30default_config_static_selectorELNS0_4arch9wavefront6targetE1EEEvT1_: ; @_ZN7rocprim17ROCPRIM_400000_NS6detail17trampoline_kernelINS0_14default_configENS1_25partition_config_selectorILNS1_17partition_subalgoE0EtNS0_10empty_typeEbEEZZNS1_14partition_implILS5_0ELb0ES3_jN6thrust23THRUST_200600_302600_NS6detail15normal_iteratorINSA_10device_ptrItEEEEPS6_SG_NS0_5tupleIJSF_NSA_16discard_iteratorINSA_11use_defaultEEEEEENSH_IJSG_SG_EEES6_PlJ7is_evenItEEEE10hipError_tPvRmT3_T4_T5_T6_T7_T9_mT8_P12ihipStream_tbDpT10_ENKUlT_T0_E_clISt17integral_constantIbLb0EES19_EEDaS14_S15_EUlS14_E_NS1_11comp_targetILNS1_3genE3ELNS1_11target_archE908ELNS1_3gpuE7ELNS1_3repE0EEENS1_30default_config_static_selectorELNS0_4arch9wavefront6targetE1EEEvT1_
; %bb.0:
	.section	.rodata,"a",@progbits
	.p2align	6, 0x0
	.amdhsa_kernel _ZN7rocprim17ROCPRIM_400000_NS6detail17trampoline_kernelINS0_14default_configENS1_25partition_config_selectorILNS1_17partition_subalgoE0EtNS0_10empty_typeEbEEZZNS1_14partition_implILS5_0ELb0ES3_jN6thrust23THRUST_200600_302600_NS6detail15normal_iteratorINSA_10device_ptrItEEEEPS6_SG_NS0_5tupleIJSF_NSA_16discard_iteratorINSA_11use_defaultEEEEEENSH_IJSG_SG_EEES6_PlJ7is_evenItEEEE10hipError_tPvRmT3_T4_T5_T6_T7_T9_mT8_P12ihipStream_tbDpT10_ENKUlT_T0_E_clISt17integral_constantIbLb0EES19_EEDaS14_S15_EUlS14_E_NS1_11comp_targetILNS1_3genE3ELNS1_11target_archE908ELNS1_3gpuE7ELNS1_3repE0EEENS1_30default_config_static_selectorELNS0_4arch9wavefront6targetE1EEEvT1_
		.amdhsa_group_segment_fixed_size 0
		.amdhsa_private_segment_fixed_size 0
		.amdhsa_kernarg_size 128
		.amdhsa_user_sgpr_count 2
		.amdhsa_user_sgpr_dispatch_ptr 0
		.amdhsa_user_sgpr_queue_ptr 0
		.amdhsa_user_sgpr_kernarg_segment_ptr 1
		.amdhsa_user_sgpr_dispatch_id 0
		.amdhsa_user_sgpr_kernarg_preload_length 0
		.amdhsa_user_sgpr_kernarg_preload_offset 0
		.amdhsa_user_sgpr_private_segment_size 0
		.amdhsa_uses_dynamic_stack 0
		.amdhsa_enable_private_segment 0
		.amdhsa_system_sgpr_workgroup_id_x 1
		.amdhsa_system_sgpr_workgroup_id_y 0
		.amdhsa_system_sgpr_workgroup_id_z 0
		.amdhsa_system_sgpr_workgroup_info 0
		.amdhsa_system_vgpr_workitem_id 0
		.amdhsa_next_free_vgpr 1
		.amdhsa_next_free_sgpr 0
		.amdhsa_accum_offset 4
		.amdhsa_reserve_vcc 0
		.amdhsa_float_round_mode_32 0
		.amdhsa_float_round_mode_16_64 0
		.amdhsa_float_denorm_mode_32 3
		.amdhsa_float_denorm_mode_16_64 3
		.amdhsa_dx10_clamp 1
		.amdhsa_ieee_mode 1
		.amdhsa_fp16_overflow 0
		.amdhsa_tg_split 0
		.amdhsa_exception_fp_ieee_invalid_op 0
		.amdhsa_exception_fp_denorm_src 0
		.amdhsa_exception_fp_ieee_div_zero 0
		.amdhsa_exception_fp_ieee_overflow 0
		.amdhsa_exception_fp_ieee_underflow 0
		.amdhsa_exception_fp_ieee_inexact 0
		.amdhsa_exception_int_div_zero 0
	.end_amdhsa_kernel
	.section	.text._ZN7rocprim17ROCPRIM_400000_NS6detail17trampoline_kernelINS0_14default_configENS1_25partition_config_selectorILNS1_17partition_subalgoE0EtNS0_10empty_typeEbEEZZNS1_14partition_implILS5_0ELb0ES3_jN6thrust23THRUST_200600_302600_NS6detail15normal_iteratorINSA_10device_ptrItEEEEPS6_SG_NS0_5tupleIJSF_NSA_16discard_iteratorINSA_11use_defaultEEEEEENSH_IJSG_SG_EEES6_PlJ7is_evenItEEEE10hipError_tPvRmT3_T4_T5_T6_T7_T9_mT8_P12ihipStream_tbDpT10_ENKUlT_T0_E_clISt17integral_constantIbLb0EES19_EEDaS14_S15_EUlS14_E_NS1_11comp_targetILNS1_3genE3ELNS1_11target_archE908ELNS1_3gpuE7ELNS1_3repE0EEENS1_30default_config_static_selectorELNS0_4arch9wavefront6targetE1EEEvT1_,"axG",@progbits,_ZN7rocprim17ROCPRIM_400000_NS6detail17trampoline_kernelINS0_14default_configENS1_25partition_config_selectorILNS1_17partition_subalgoE0EtNS0_10empty_typeEbEEZZNS1_14partition_implILS5_0ELb0ES3_jN6thrust23THRUST_200600_302600_NS6detail15normal_iteratorINSA_10device_ptrItEEEEPS6_SG_NS0_5tupleIJSF_NSA_16discard_iteratorINSA_11use_defaultEEEEEENSH_IJSG_SG_EEES6_PlJ7is_evenItEEEE10hipError_tPvRmT3_T4_T5_T6_T7_T9_mT8_P12ihipStream_tbDpT10_ENKUlT_T0_E_clISt17integral_constantIbLb0EES19_EEDaS14_S15_EUlS14_E_NS1_11comp_targetILNS1_3genE3ELNS1_11target_archE908ELNS1_3gpuE7ELNS1_3repE0EEENS1_30default_config_static_selectorELNS0_4arch9wavefront6targetE1EEEvT1_,comdat
.Lfunc_end2526:
	.size	_ZN7rocprim17ROCPRIM_400000_NS6detail17trampoline_kernelINS0_14default_configENS1_25partition_config_selectorILNS1_17partition_subalgoE0EtNS0_10empty_typeEbEEZZNS1_14partition_implILS5_0ELb0ES3_jN6thrust23THRUST_200600_302600_NS6detail15normal_iteratorINSA_10device_ptrItEEEEPS6_SG_NS0_5tupleIJSF_NSA_16discard_iteratorINSA_11use_defaultEEEEEENSH_IJSG_SG_EEES6_PlJ7is_evenItEEEE10hipError_tPvRmT3_T4_T5_T6_T7_T9_mT8_P12ihipStream_tbDpT10_ENKUlT_T0_E_clISt17integral_constantIbLb0EES19_EEDaS14_S15_EUlS14_E_NS1_11comp_targetILNS1_3genE3ELNS1_11target_archE908ELNS1_3gpuE7ELNS1_3repE0EEENS1_30default_config_static_selectorELNS0_4arch9wavefront6targetE1EEEvT1_, .Lfunc_end2526-_ZN7rocprim17ROCPRIM_400000_NS6detail17trampoline_kernelINS0_14default_configENS1_25partition_config_selectorILNS1_17partition_subalgoE0EtNS0_10empty_typeEbEEZZNS1_14partition_implILS5_0ELb0ES3_jN6thrust23THRUST_200600_302600_NS6detail15normal_iteratorINSA_10device_ptrItEEEEPS6_SG_NS0_5tupleIJSF_NSA_16discard_iteratorINSA_11use_defaultEEEEEENSH_IJSG_SG_EEES6_PlJ7is_evenItEEEE10hipError_tPvRmT3_T4_T5_T6_T7_T9_mT8_P12ihipStream_tbDpT10_ENKUlT_T0_E_clISt17integral_constantIbLb0EES19_EEDaS14_S15_EUlS14_E_NS1_11comp_targetILNS1_3genE3ELNS1_11target_archE908ELNS1_3gpuE7ELNS1_3repE0EEENS1_30default_config_static_selectorELNS0_4arch9wavefront6targetE1EEEvT1_
                                        ; -- End function
	.section	.AMDGPU.csdata,"",@progbits
; Kernel info:
; codeLenInByte = 0
; NumSgprs: 6
; NumVgprs: 0
; NumAgprs: 0
; TotalNumVgprs: 0
; ScratchSize: 0
; MemoryBound: 0
; FloatMode: 240
; IeeeMode: 1
; LDSByteSize: 0 bytes/workgroup (compile time only)
; SGPRBlocks: 0
; VGPRBlocks: 0
; NumSGPRsForWavesPerEU: 6
; NumVGPRsForWavesPerEU: 1
; AccumOffset: 4
; Occupancy: 8
; WaveLimiterHint : 0
; COMPUTE_PGM_RSRC2:SCRATCH_EN: 0
; COMPUTE_PGM_RSRC2:USER_SGPR: 2
; COMPUTE_PGM_RSRC2:TRAP_HANDLER: 0
; COMPUTE_PGM_RSRC2:TGID_X_EN: 1
; COMPUTE_PGM_RSRC2:TGID_Y_EN: 0
; COMPUTE_PGM_RSRC2:TGID_Z_EN: 0
; COMPUTE_PGM_RSRC2:TIDIG_COMP_CNT: 0
; COMPUTE_PGM_RSRC3_GFX90A:ACCUM_OFFSET: 0
; COMPUTE_PGM_RSRC3_GFX90A:TG_SPLIT: 0
	.section	.text._ZN7rocprim17ROCPRIM_400000_NS6detail17trampoline_kernelINS0_14default_configENS1_25partition_config_selectorILNS1_17partition_subalgoE0EtNS0_10empty_typeEbEEZZNS1_14partition_implILS5_0ELb0ES3_jN6thrust23THRUST_200600_302600_NS6detail15normal_iteratorINSA_10device_ptrItEEEEPS6_SG_NS0_5tupleIJSF_NSA_16discard_iteratorINSA_11use_defaultEEEEEENSH_IJSG_SG_EEES6_PlJ7is_evenItEEEE10hipError_tPvRmT3_T4_T5_T6_T7_T9_mT8_P12ihipStream_tbDpT10_ENKUlT_T0_E_clISt17integral_constantIbLb0EES19_EEDaS14_S15_EUlS14_E_NS1_11comp_targetILNS1_3genE2ELNS1_11target_archE906ELNS1_3gpuE6ELNS1_3repE0EEENS1_30default_config_static_selectorELNS0_4arch9wavefront6targetE1EEEvT1_,"axG",@progbits,_ZN7rocprim17ROCPRIM_400000_NS6detail17trampoline_kernelINS0_14default_configENS1_25partition_config_selectorILNS1_17partition_subalgoE0EtNS0_10empty_typeEbEEZZNS1_14partition_implILS5_0ELb0ES3_jN6thrust23THRUST_200600_302600_NS6detail15normal_iteratorINSA_10device_ptrItEEEEPS6_SG_NS0_5tupleIJSF_NSA_16discard_iteratorINSA_11use_defaultEEEEEENSH_IJSG_SG_EEES6_PlJ7is_evenItEEEE10hipError_tPvRmT3_T4_T5_T6_T7_T9_mT8_P12ihipStream_tbDpT10_ENKUlT_T0_E_clISt17integral_constantIbLb0EES19_EEDaS14_S15_EUlS14_E_NS1_11comp_targetILNS1_3genE2ELNS1_11target_archE906ELNS1_3gpuE6ELNS1_3repE0EEENS1_30default_config_static_selectorELNS0_4arch9wavefront6targetE1EEEvT1_,comdat
	.protected	_ZN7rocprim17ROCPRIM_400000_NS6detail17trampoline_kernelINS0_14default_configENS1_25partition_config_selectorILNS1_17partition_subalgoE0EtNS0_10empty_typeEbEEZZNS1_14partition_implILS5_0ELb0ES3_jN6thrust23THRUST_200600_302600_NS6detail15normal_iteratorINSA_10device_ptrItEEEEPS6_SG_NS0_5tupleIJSF_NSA_16discard_iteratorINSA_11use_defaultEEEEEENSH_IJSG_SG_EEES6_PlJ7is_evenItEEEE10hipError_tPvRmT3_T4_T5_T6_T7_T9_mT8_P12ihipStream_tbDpT10_ENKUlT_T0_E_clISt17integral_constantIbLb0EES19_EEDaS14_S15_EUlS14_E_NS1_11comp_targetILNS1_3genE2ELNS1_11target_archE906ELNS1_3gpuE6ELNS1_3repE0EEENS1_30default_config_static_selectorELNS0_4arch9wavefront6targetE1EEEvT1_ ; -- Begin function _ZN7rocprim17ROCPRIM_400000_NS6detail17trampoline_kernelINS0_14default_configENS1_25partition_config_selectorILNS1_17partition_subalgoE0EtNS0_10empty_typeEbEEZZNS1_14partition_implILS5_0ELb0ES3_jN6thrust23THRUST_200600_302600_NS6detail15normal_iteratorINSA_10device_ptrItEEEEPS6_SG_NS0_5tupleIJSF_NSA_16discard_iteratorINSA_11use_defaultEEEEEENSH_IJSG_SG_EEES6_PlJ7is_evenItEEEE10hipError_tPvRmT3_T4_T5_T6_T7_T9_mT8_P12ihipStream_tbDpT10_ENKUlT_T0_E_clISt17integral_constantIbLb0EES19_EEDaS14_S15_EUlS14_E_NS1_11comp_targetILNS1_3genE2ELNS1_11target_archE906ELNS1_3gpuE6ELNS1_3repE0EEENS1_30default_config_static_selectorELNS0_4arch9wavefront6targetE1EEEvT1_
	.globl	_ZN7rocprim17ROCPRIM_400000_NS6detail17trampoline_kernelINS0_14default_configENS1_25partition_config_selectorILNS1_17partition_subalgoE0EtNS0_10empty_typeEbEEZZNS1_14partition_implILS5_0ELb0ES3_jN6thrust23THRUST_200600_302600_NS6detail15normal_iteratorINSA_10device_ptrItEEEEPS6_SG_NS0_5tupleIJSF_NSA_16discard_iteratorINSA_11use_defaultEEEEEENSH_IJSG_SG_EEES6_PlJ7is_evenItEEEE10hipError_tPvRmT3_T4_T5_T6_T7_T9_mT8_P12ihipStream_tbDpT10_ENKUlT_T0_E_clISt17integral_constantIbLb0EES19_EEDaS14_S15_EUlS14_E_NS1_11comp_targetILNS1_3genE2ELNS1_11target_archE906ELNS1_3gpuE6ELNS1_3repE0EEENS1_30default_config_static_selectorELNS0_4arch9wavefront6targetE1EEEvT1_
	.p2align	8
	.type	_ZN7rocprim17ROCPRIM_400000_NS6detail17trampoline_kernelINS0_14default_configENS1_25partition_config_selectorILNS1_17partition_subalgoE0EtNS0_10empty_typeEbEEZZNS1_14partition_implILS5_0ELb0ES3_jN6thrust23THRUST_200600_302600_NS6detail15normal_iteratorINSA_10device_ptrItEEEEPS6_SG_NS0_5tupleIJSF_NSA_16discard_iteratorINSA_11use_defaultEEEEEENSH_IJSG_SG_EEES6_PlJ7is_evenItEEEE10hipError_tPvRmT3_T4_T5_T6_T7_T9_mT8_P12ihipStream_tbDpT10_ENKUlT_T0_E_clISt17integral_constantIbLb0EES19_EEDaS14_S15_EUlS14_E_NS1_11comp_targetILNS1_3genE2ELNS1_11target_archE906ELNS1_3gpuE6ELNS1_3repE0EEENS1_30default_config_static_selectorELNS0_4arch9wavefront6targetE1EEEvT1_,@function
_ZN7rocprim17ROCPRIM_400000_NS6detail17trampoline_kernelINS0_14default_configENS1_25partition_config_selectorILNS1_17partition_subalgoE0EtNS0_10empty_typeEbEEZZNS1_14partition_implILS5_0ELb0ES3_jN6thrust23THRUST_200600_302600_NS6detail15normal_iteratorINSA_10device_ptrItEEEEPS6_SG_NS0_5tupleIJSF_NSA_16discard_iteratorINSA_11use_defaultEEEEEENSH_IJSG_SG_EEES6_PlJ7is_evenItEEEE10hipError_tPvRmT3_T4_T5_T6_T7_T9_mT8_P12ihipStream_tbDpT10_ENKUlT_T0_E_clISt17integral_constantIbLb0EES19_EEDaS14_S15_EUlS14_E_NS1_11comp_targetILNS1_3genE2ELNS1_11target_archE906ELNS1_3gpuE6ELNS1_3repE0EEENS1_30default_config_static_selectorELNS0_4arch9wavefront6targetE1EEEvT1_: ; @_ZN7rocprim17ROCPRIM_400000_NS6detail17trampoline_kernelINS0_14default_configENS1_25partition_config_selectorILNS1_17partition_subalgoE0EtNS0_10empty_typeEbEEZZNS1_14partition_implILS5_0ELb0ES3_jN6thrust23THRUST_200600_302600_NS6detail15normal_iteratorINSA_10device_ptrItEEEEPS6_SG_NS0_5tupleIJSF_NSA_16discard_iteratorINSA_11use_defaultEEEEEENSH_IJSG_SG_EEES6_PlJ7is_evenItEEEE10hipError_tPvRmT3_T4_T5_T6_T7_T9_mT8_P12ihipStream_tbDpT10_ENKUlT_T0_E_clISt17integral_constantIbLb0EES19_EEDaS14_S15_EUlS14_E_NS1_11comp_targetILNS1_3genE2ELNS1_11target_archE906ELNS1_3gpuE6ELNS1_3repE0EEENS1_30default_config_static_selectorELNS0_4arch9wavefront6targetE1EEEvT1_
; %bb.0:
	.section	.rodata,"a",@progbits
	.p2align	6, 0x0
	.amdhsa_kernel _ZN7rocprim17ROCPRIM_400000_NS6detail17trampoline_kernelINS0_14default_configENS1_25partition_config_selectorILNS1_17partition_subalgoE0EtNS0_10empty_typeEbEEZZNS1_14partition_implILS5_0ELb0ES3_jN6thrust23THRUST_200600_302600_NS6detail15normal_iteratorINSA_10device_ptrItEEEEPS6_SG_NS0_5tupleIJSF_NSA_16discard_iteratorINSA_11use_defaultEEEEEENSH_IJSG_SG_EEES6_PlJ7is_evenItEEEE10hipError_tPvRmT3_T4_T5_T6_T7_T9_mT8_P12ihipStream_tbDpT10_ENKUlT_T0_E_clISt17integral_constantIbLb0EES19_EEDaS14_S15_EUlS14_E_NS1_11comp_targetILNS1_3genE2ELNS1_11target_archE906ELNS1_3gpuE6ELNS1_3repE0EEENS1_30default_config_static_selectorELNS0_4arch9wavefront6targetE1EEEvT1_
		.amdhsa_group_segment_fixed_size 0
		.amdhsa_private_segment_fixed_size 0
		.amdhsa_kernarg_size 128
		.amdhsa_user_sgpr_count 2
		.amdhsa_user_sgpr_dispatch_ptr 0
		.amdhsa_user_sgpr_queue_ptr 0
		.amdhsa_user_sgpr_kernarg_segment_ptr 1
		.amdhsa_user_sgpr_dispatch_id 0
		.amdhsa_user_sgpr_kernarg_preload_length 0
		.amdhsa_user_sgpr_kernarg_preload_offset 0
		.amdhsa_user_sgpr_private_segment_size 0
		.amdhsa_uses_dynamic_stack 0
		.amdhsa_enable_private_segment 0
		.amdhsa_system_sgpr_workgroup_id_x 1
		.amdhsa_system_sgpr_workgroup_id_y 0
		.amdhsa_system_sgpr_workgroup_id_z 0
		.amdhsa_system_sgpr_workgroup_info 0
		.amdhsa_system_vgpr_workitem_id 0
		.amdhsa_next_free_vgpr 1
		.amdhsa_next_free_sgpr 0
		.amdhsa_accum_offset 4
		.amdhsa_reserve_vcc 0
		.amdhsa_float_round_mode_32 0
		.amdhsa_float_round_mode_16_64 0
		.amdhsa_float_denorm_mode_32 3
		.amdhsa_float_denorm_mode_16_64 3
		.amdhsa_dx10_clamp 1
		.amdhsa_ieee_mode 1
		.amdhsa_fp16_overflow 0
		.amdhsa_tg_split 0
		.amdhsa_exception_fp_ieee_invalid_op 0
		.amdhsa_exception_fp_denorm_src 0
		.amdhsa_exception_fp_ieee_div_zero 0
		.amdhsa_exception_fp_ieee_overflow 0
		.amdhsa_exception_fp_ieee_underflow 0
		.amdhsa_exception_fp_ieee_inexact 0
		.amdhsa_exception_int_div_zero 0
	.end_amdhsa_kernel
	.section	.text._ZN7rocprim17ROCPRIM_400000_NS6detail17trampoline_kernelINS0_14default_configENS1_25partition_config_selectorILNS1_17partition_subalgoE0EtNS0_10empty_typeEbEEZZNS1_14partition_implILS5_0ELb0ES3_jN6thrust23THRUST_200600_302600_NS6detail15normal_iteratorINSA_10device_ptrItEEEEPS6_SG_NS0_5tupleIJSF_NSA_16discard_iteratorINSA_11use_defaultEEEEEENSH_IJSG_SG_EEES6_PlJ7is_evenItEEEE10hipError_tPvRmT3_T4_T5_T6_T7_T9_mT8_P12ihipStream_tbDpT10_ENKUlT_T0_E_clISt17integral_constantIbLb0EES19_EEDaS14_S15_EUlS14_E_NS1_11comp_targetILNS1_3genE2ELNS1_11target_archE906ELNS1_3gpuE6ELNS1_3repE0EEENS1_30default_config_static_selectorELNS0_4arch9wavefront6targetE1EEEvT1_,"axG",@progbits,_ZN7rocprim17ROCPRIM_400000_NS6detail17trampoline_kernelINS0_14default_configENS1_25partition_config_selectorILNS1_17partition_subalgoE0EtNS0_10empty_typeEbEEZZNS1_14partition_implILS5_0ELb0ES3_jN6thrust23THRUST_200600_302600_NS6detail15normal_iteratorINSA_10device_ptrItEEEEPS6_SG_NS0_5tupleIJSF_NSA_16discard_iteratorINSA_11use_defaultEEEEEENSH_IJSG_SG_EEES6_PlJ7is_evenItEEEE10hipError_tPvRmT3_T4_T5_T6_T7_T9_mT8_P12ihipStream_tbDpT10_ENKUlT_T0_E_clISt17integral_constantIbLb0EES19_EEDaS14_S15_EUlS14_E_NS1_11comp_targetILNS1_3genE2ELNS1_11target_archE906ELNS1_3gpuE6ELNS1_3repE0EEENS1_30default_config_static_selectorELNS0_4arch9wavefront6targetE1EEEvT1_,comdat
.Lfunc_end2527:
	.size	_ZN7rocprim17ROCPRIM_400000_NS6detail17trampoline_kernelINS0_14default_configENS1_25partition_config_selectorILNS1_17partition_subalgoE0EtNS0_10empty_typeEbEEZZNS1_14partition_implILS5_0ELb0ES3_jN6thrust23THRUST_200600_302600_NS6detail15normal_iteratorINSA_10device_ptrItEEEEPS6_SG_NS0_5tupleIJSF_NSA_16discard_iteratorINSA_11use_defaultEEEEEENSH_IJSG_SG_EEES6_PlJ7is_evenItEEEE10hipError_tPvRmT3_T4_T5_T6_T7_T9_mT8_P12ihipStream_tbDpT10_ENKUlT_T0_E_clISt17integral_constantIbLb0EES19_EEDaS14_S15_EUlS14_E_NS1_11comp_targetILNS1_3genE2ELNS1_11target_archE906ELNS1_3gpuE6ELNS1_3repE0EEENS1_30default_config_static_selectorELNS0_4arch9wavefront6targetE1EEEvT1_, .Lfunc_end2527-_ZN7rocprim17ROCPRIM_400000_NS6detail17trampoline_kernelINS0_14default_configENS1_25partition_config_selectorILNS1_17partition_subalgoE0EtNS0_10empty_typeEbEEZZNS1_14partition_implILS5_0ELb0ES3_jN6thrust23THRUST_200600_302600_NS6detail15normal_iteratorINSA_10device_ptrItEEEEPS6_SG_NS0_5tupleIJSF_NSA_16discard_iteratorINSA_11use_defaultEEEEEENSH_IJSG_SG_EEES6_PlJ7is_evenItEEEE10hipError_tPvRmT3_T4_T5_T6_T7_T9_mT8_P12ihipStream_tbDpT10_ENKUlT_T0_E_clISt17integral_constantIbLb0EES19_EEDaS14_S15_EUlS14_E_NS1_11comp_targetILNS1_3genE2ELNS1_11target_archE906ELNS1_3gpuE6ELNS1_3repE0EEENS1_30default_config_static_selectorELNS0_4arch9wavefront6targetE1EEEvT1_
                                        ; -- End function
	.section	.AMDGPU.csdata,"",@progbits
; Kernel info:
; codeLenInByte = 0
; NumSgprs: 6
; NumVgprs: 0
; NumAgprs: 0
; TotalNumVgprs: 0
; ScratchSize: 0
; MemoryBound: 0
; FloatMode: 240
; IeeeMode: 1
; LDSByteSize: 0 bytes/workgroup (compile time only)
; SGPRBlocks: 0
; VGPRBlocks: 0
; NumSGPRsForWavesPerEU: 6
; NumVGPRsForWavesPerEU: 1
; AccumOffset: 4
; Occupancy: 8
; WaveLimiterHint : 0
; COMPUTE_PGM_RSRC2:SCRATCH_EN: 0
; COMPUTE_PGM_RSRC2:USER_SGPR: 2
; COMPUTE_PGM_RSRC2:TRAP_HANDLER: 0
; COMPUTE_PGM_RSRC2:TGID_X_EN: 1
; COMPUTE_PGM_RSRC2:TGID_Y_EN: 0
; COMPUTE_PGM_RSRC2:TGID_Z_EN: 0
; COMPUTE_PGM_RSRC2:TIDIG_COMP_CNT: 0
; COMPUTE_PGM_RSRC3_GFX90A:ACCUM_OFFSET: 0
; COMPUTE_PGM_RSRC3_GFX90A:TG_SPLIT: 0
	.section	.text._ZN7rocprim17ROCPRIM_400000_NS6detail17trampoline_kernelINS0_14default_configENS1_25partition_config_selectorILNS1_17partition_subalgoE0EtNS0_10empty_typeEbEEZZNS1_14partition_implILS5_0ELb0ES3_jN6thrust23THRUST_200600_302600_NS6detail15normal_iteratorINSA_10device_ptrItEEEEPS6_SG_NS0_5tupleIJSF_NSA_16discard_iteratorINSA_11use_defaultEEEEEENSH_IJSG_SG_EEES6_PlJ7is_evenItEEEE10hipError_tPvRmT3_T4_T5_T6_T7_T9_mT8_P12ihipStream_tbDpT10_ENKUlT_T0_E_clISt17integral_constantIbLb0EES19_EEDaS14_S15_EUlS14_E_NS1_11comp_targetILNS1_3genE10ELNS1_11target_archE1200ELNS1_3gpuE4ELNS1_3repE0EEENS1_30default_config_static_selectorELNS0_4arch9wavefront6targetE1EEEvT1_,"axG",@progbits,_ZN7rocprim17ROCPRIM_400000_NS6detail17trampoline_kernelINS0_14default_configENS1_25partition_config_selectorILNS1_17partition_subalgoE0EtNS0_10empty_typeEbEEZZNS1_14partition_implILS5_0ELb0ES3_jN6thrust23THRUST_200600_302600_NS6detail15normal_iteratorINSA_10device_ptrItEEEEPS6_SG_NS0_5tupleIJSF_NSA_16discard_iteratorINSA_11use_defaultEEEEEENSH_IJSG_SG_EEES6_PlJ7is_evenItEEEE10hipError_tPvRmT3_T4_T5_T6_T7_T9_mT8_P12ihipStream_tbDpT10_ENKUlT_T0_E_clISt17integral_constantIbLb0EES19_EEDaS14_S15_EUlS14_E_NS1_11comp_targetILNS1_3genE10ELNS1_11target_archE1200ELNS1_3gpuE4ELNS1_3repE0EEENS1_30default_config_static_selectorELNS0_4arch9wavefront6targetE1EEEvT1_,comdat
	.protected	_ZN7rocprim17ROCPRIM_400000_NS6detail17trampoline_kernelINS0_14default_configENS1_25partition_config_selectorILNS1_17partition_subalgoE0EtNS0_10empty_typeEbEEZZNS1_14partition_implILS5_0ELb0ES3_jN6thrust23THRUST_200600_302600_NS6detail15normal_iteratorINSA_10device_ptrItEEEEPS6_SG_NS0_5tupleIJSF_NSA_16discard_iteratorINSA_11use_defaultEEEEEENSH_IJSG_SG_EEES6_PlJ7is_evenItEEEE10hipError_tPvRmT3_T4_T5_T6_T7_T9_mT8_P12ihipStream_tbDpT10_ENKUlT_T0_E_clISt17integral_constantIbLb0EES19_EEDaS14_S15_EUlS14_E_NS1_11comp_targetILNS1_3genE10ELNS1_11target_archE1200ELNS1_3gpuE4ELNS1_3repE0EEENS1_30default_config_static_selectorELNS0_4arch9wavefront6targetE1EEEvT1_ ; -- Begin function _ZN7rocprim17ROCPRIM_400000_NS6detail17trampoline_kernelINS0_14default_configENS1_25partition_config_selectorILNS1_17partition_subalgoE0EtNS0_10empty_typeEbEEZZNS1_14partition_implILS5_0ELb0ES3_jN6thrust23THRUST_200600_302600_NS6detail15normal_iteratorINSA_10device_ptrItEEEEPS6_SG_NS0_5tupleIJSF_NSA_16discard_iteratorINSA_11use_defaultEEEEEENSH_IJSG_SG_EEES6_PlJ7is_evenItEEEE10hipError_tPvRmT3_T4_T5_T6_T7_T9_mT8_P12ihipStream_tbDpT10_ENKUlT_T0_E_clISt17integral_constantIbLb0EES19_EEDaS14_S15_EUlS14_E_NS1_11comp_targetILNS1_3genE10ELNS1_11target_archE1200ELNS1_3gpuE4ELNS1_3repE0EEENS1_30default_config_static_selectorELNS0_4arch9wavefront6targetE1EEEvT1_
	.globl	_ZN7rocprim17ROCPRIM_400000_NS6detail17trampoline_kernelINS0_14default_configENS1_25partition_config_selectorILNS1_17partition_subalgoE0EtNS0_10empty_typeEbEEZZNS1_14partition_implILS5_0ELb0ES3_jN6thrust23THRUST_200600_302600_NS6detail15normal_iteratorINSA_10device_ptrItEEEEPS6_SG_NS0_5tupleIJSF_NSA_16discard_iteratorINSA_11use_defaultEEEEEENSH_IJSG_SG_EEES6_PlJ7is_evenItEEEE10hipError_tPvRmT3_T4_T5_T6_T7_T9_mT8_P12ihipStream_tbDpT10_ENKUlT_T0_E_clISt17integral_constantIbLb0EES19_EEDaS14_S15_EUlS14_E_NS1_11comp_targetILNS1_3genE10ELNS1_11target_archE1200ELNS1_3gpuE4ELNS1_3repE0EEENS1_30default_config_static_selectorELNS0_4arch9wavefront6targetE1EEEvT1_
	.p2align	8
	.type	_ZN7rocprim17ROCPRIM_400000_NS6detail17trampoline_kernelINS0_14default_configENS1_25partition_config_selectorILNS1_17partition_subalgoE0EtNS0_10empty_typeEbEEZZNS1_14partition_implILS5_0ELb0ES3_jN6thrust23THRUST_200600_302600_NS6detail15normal_iteratorINSA_10device_ptrItEEEEPS6_SG_NS0_5tupleIJSF_NSA_16discard_iteratorINSA_11use_defaultEEEEEENSH_IJSG_SG_EEES6_PlJ7is_evenItEEEE10hipError_tPvRmT3_T4_T5_T6_T7_T9_mT8_P12ihipStream_tbDpT10_ENKUlT_T0_E_clISt17integral_constantIbLb0EES19_EEDaS14_S15_EUlS14_E_NS1_11comp_targetILNS1_3genE10ELNS1_11target_archE1200ELNS1_3gpuE4ELNS1_3repE0EEENS1_30default_config_static_selectorELNS0_4arch9wavefront6targetE1EEEvT1_,@function
_ZN7rocprim17ROCPRIM_400000_NS6detail17trampoline_kernelINS0_14default_configENS1_25partition_config_selectorILNS1_17partition_subalgoE0EtNS0_10empty_typeEbEEZZNS1_14partition_implILS5_0ELb0ES3_jN6thrust23THRUST_200600_302600_NS6detail15normal_iteratorINSA_10device_ptrItEEEEPS6_SG_NS0_5tupleIJSF_NSA_16discard_iteratorINSA_11use_defaultEEEEEENSH_IJSG_SG_EEES6_PlJ7is_evenItEEEE10hipError_tPvRmT3_T4_T5_T6_T7_T9_mT8_P12ihipStream_tbDpT10_ENKUlT_T0_E_clISt17integral_constantIbLb0EES19_EEDaS14_S15_EUlS14_E_NS1_11comp_targetILNS1_3genE10ELNS1_11target_archE1200ELNS1_3gpuE4ELNS1_3repE0EEENS1_30default_config_static_selectorELNS0_4arch9wavefront6targetE1EEEvT1_: ; @_ZN7rocprim17ROCPRIM_400000_NS6detail17trampoline_kernelINS0_14default_configENS1_25partition_config_selectorILNS1_17partition_subalgoE0EtNS0_10empty_typeEbEEZZNS1_14partition_implILS5_0ELb0ES3_jN6thrust23THRUST_200600_302600_NS6detail15normal_iteratorINSA_10device_ptrItEEEEPS6_SG_NS0_5tupleIJSF_NSA_16discard_iteratorINSA_11use_defaultEEEEEENSH_IJSG_SG_EEES6_PlJ7is_evenItEEEE10hipError_tPvRmT3_T4_T5_T6_T7_T9_mT8_P12ihipStream_tbDpT10_ENKUlT_T0_E_clISt17integral_constantIbLb0EES19_EEDaS14_S15_EUlS14_E_NS1_11comp_targetILNS1_3genE10ELNS1_11target_archE1200ELNS1_3gpuE4ELNS1_3repE0EEENS1_30default_config_static_selectorELNS0_4arch9wavefront6targetE1EEEvT1_
; %bb.0:
	.section	.rodata,"a",@progbits
	.p2align	6, 0x0
	.amdhsa_kernel _ZN7rocprim17ROCPRIM_400000_NS6detail17trampoline_kernelINS0_14default_configENS1_25partition_config_selectorILNS1_17partition_subalgoE0EtNS0_10empty_typeEbEEZZNS1_14partition_implILS5_0ELb0ES3_jN6thrust23THRUST_200600_302600_NS6detail15normal_iteratorINSA_10device_ptrItEEEEPS6_SG_NS0_5tupleIJSF_NSA_16discard_iteratorINSA_11use_defaultEEEEEENSH_IJSG_SG_EEES6_PlJ7is_evenItEEEE10hipError_tPvRmT3_T4_T5_T6_T7_T9_mT8_P12ihipStream_tbDpT10_ENKUlT_T0_E_clISt17integral_constantIbLb0EES19_EEDaS14_S15_EUlS14_E_NS1_11comp_targetILNS1_3genE10ELNS1_11target_archE1200ELNS1_3gpuE4ELNS1_3repE0EEENS1_30default_config_static_selectorELNS0_4arch9wavefront6targetE1EEEvT1_
		.amdhsa_group_segment_fixed_size 0
		.amdhsa_private_segment_fixed_size 0
		.amdhsa_kernarg_size 128
		.amdhsa_user_sgpr_count 2
		.amdhsa_user_sgpr_dispatch_ptr 0
		.amdhsa_user_sgpr_queue_ptr 0
		.amdhsa_user_sgpr_kernarg_segment_ptr 1
		.amdhsa_user_sgpr_dispatch_id 0
		.amdhsa_user_sgpr_kernarg_preload_length 0
		.amdhsa_user_sgpr_kernarg_preload_offset 0
		.amdhsa_user_sgpr_private_segment_size 0
		.amdhsa_uses_dynamic_stack 0
		.amdhsa_enable_private_segment 0
		.amdhsa_system_sgpr_workgroup_id_x 1
		.amdhsa_system_sgpr_workgroup_id_y 0
		.amdhsa_system_sgpr_workgroup_id_z 0
		.amdhsa_system_sgpr_workgroup_info 0
		.amdhsa_system_vgpr_workitem_id 0
		.amdhsa_next_free_vgpr 1
		.amdhsa_next_free_sgpr 0
		.amdhsa_accum_offset 4
		.amdhsa_reserve_vcc 0
		.amdhsa_float_round_mode_32 0
		.amdhsa_float_round_mode_16_64 0
		.amdhsa_float_denorm_mode_32 3
		.amdhsa_float_denorm_mode_16_64 3
		.amdhsa_dx10_clamp 1
		.amdhsa_ieee_mode 1
		.amdhsa_fp16_overflow 0
		.amdhsa_tg_split 0
		.amdhsa_exception_fp_ieee_invalid_op 0
		.amdhsa_exception_fp_denorm_src 0
		.amdhsa_exception_fp_ieee_div_zero 0
		.amdhsa_exception_fp_ieee_overflow 0
		.amdhsa_exception_fp_ieee_underflow 0
		.amdhsa_exception_fp_ieee_inexact 0
		.amdhsa_exception_int_div_zero 0
	.end_amdhsa_kernel
	.section	.text._ZN7rocprim17ROCPRIM_400000_NS6detail17trampoline_kernelINS0_14default_configENS1_25partition_config_selectorILNS1_17partition_subalgoE0EtNS0_10empty_typeEbEEZZNS1_14partition_implILS5_0ELb0ES3_jN6thrust23THRUST_200600_302600_NS6detail15normal_iteratorINSA_10device_ptrItEEEEPS6_SG_NS0_5tupleIJSF_NSA_16discard_iteratorINSA_11use_defaultEEEEEENSH_IJSG_SG_EEES6_PlJ7is_evenItEEEE10hipError_tPvRmT3_T4_T5_T6_T7_T9_mT8_P12ihipStream_tbDpT10_ENKUlT_T0_E_clISt17integral_constantIbLb0EES19_EEDaS14_S15_EUlS14_E_NS1_11comp_targetILNS1_3genE10ELNS1_11target_archE1200ELNS1_3gpuE4ELNS1_3repE0EEENS1_30default_config_static_selectorELNS0_4arch9wavefront6targetE1EEEvT1_,"axG",@progbits,_ZN7rocprim17ROCPRIM_400000_NS6detail17trampoline_kernelINS0_14default_configENS1_25partition_config_selectorILNS1_17partition_subalgoE0EtNS0_10empty_typeEbEEZZNS1_14partition_implILS5_0ELb0ES3_jN6thrust23THRUST_200600_302600_NS6detail15normal_iteratorINSA_10device_ptrItEEEEPS6_SG_NS0_5tupleIJSF_NSA_16discard_iteratorINSA_11use_defaultEEEEEENSH_IJSG_SG_EEES6_PlJ7is_evenItEEEE10hipError_tPvRmT3_T4_T5_T6_T7_T9_mT8_P12ihipStream_tbDpT10_ENKUlT_T0_E_clISt17integral_constantIbLb0EES19_EEDaS14_S15_EUlS14_E_NS1_11comp_targetILNS1_3genE10ELNS1_11target_archE1200ELNS1_3gpuE4ELNS1_3repE0EEENS1_30default_config_static_selectorELNS0_4arch9wavefront6targetE1EEEvT1_,comdat
.Lfunc_end2528:
	.size	_ZN7rocprim17ROCPRIM_400000_NS6detail17trampoline_kernelINS0_14default_configENS1_25partition_config_selectorILNS1_17partition_subalgoE0EtNS0_10empty_typeEbEEZZNS1_14partition_implILS5_0ELb0ES3_jN6thrust23THRUST_200600_302600_NS6detail15normal_iteratorINSA_10device_ptrItEEEEPS6_SG_NS0_5tupleIJSF_NSA_16discard_iteratorINSA_11use_defaultEEEEEENSH_IJSG_SG_EEES6_PlJ7is_evenItEEEE10hipError_tPvRmT3_T4_T5_T6_T7_T9_mT8_P12ihipStream_tbDpT10_ENKUlT_T0_E_clISt17integral_constantIbLb0EES19_EEDaS14_S15_EUlS14_E_NS1_11comp_targetILNS1_3genE10ELNS1_11target_archE1200ELNS1_3gpuE4ELNS1_3repE0EEENS1_30default_config_static_selectorELNS0_4arch9wavefront6targetE1EEEvT1_, .Lfunc_end2528-_ZN7rocprim17ROCPRIM_400000_NS6detail17trampoline_kernelINS0_14default_configENS1_25partition_config_selectorILNS1_17partition_subalgoE0EtNS0_10empty_typeEbEEZZNS1_14partition_implILS5_0ELb0ES3_jN6thrust23THRUST_200600_302600_NS6detail15normal_iteratorINSA_10device_ptrItEEEEPS6_SG_NS0_5tupleIJSF_NSA_16discard_iteratorINSA_11use_defaultEEEEEENSH_IJSG_SG_EEES6_PlJ7is_evenItEEEE10hipError_tPvRmT3_T4_T5_T6_T7_T9_mT8_P12ihipStream_tbDpT10_ENKUlT_T0_E_clISt17integral_constantIbLb0EES19_EEDaS14_S15_EUlS14_E_NS1_11comp_targetILNS1_3genE10ELNS1_11target_archE1200ELNS1_3gpuE4ELNS1_3repE0EEENS1_30default_config_static_selectorELNS0_4arch9wavefront6targetE1EEEvT1_
                                        ; -- End function
	.section	.AMDGPU.csdata,"",@progbits
; Kernel info:
; codeLenInByte = 0
; NumSgprs: 6
; NumVgprs: 0
; NumAgprs: 0
; TotalNumVgprs: 0
; ScratchSize: 0
; MemoryBound: 0
; FloatMode: 240
; IeeeMode: 1
; LDSByteSize: 0 bytes/workgroup (compile time only)
; SGPRBlocks: 0
; VGPRBlocks: 0
; NumSGPRsForWavesPerEU: 6
; NumVGPRsForWavesPerEU: 1
; AccumOffset: 4
; Occupancy: 8
; WaveLimiterHint : 0
; COMPUTE_PGM_RSRC2:SCRATCH_EN: 0
; COMPUTE_PGM_RSRC2:USER_SGPR: 2
; COMPUTE_PGM_RSRC2:TRAP_HANDLER: 0
; COMPUTE_PGM_RSRC2:TGID_X_EN: 1
; COMPUTE_PGM_RSRC2:TGID_Y_EN: 0
; COMPUTE_PGM_RSRC2:TGID_Z_EN: 0
; COMPUTE_PGM_RSRC2:TIDIG_COMP_CNT: 0
; COMPUTE_PGM_RSRC3_GFX90A:ACCUM_OFFSET: 0
; COMPUTE_PGM_RSRC3_GFX90A:TG_SPLIT: 0
	.section	.text._ZN7rocprim17ROCPRIM_400000_NS6detail17trampoline_kernelINS0_14default_configENS1_25partition_config_selectorILNS1_17partition_subalgoE0EtNS0_10empty_typeEbEEZZNS1_14partition_implILS5_0ELb0ES3_jN6thrust23THRUST_200600_302600_NS6detail15normal_iteratorINSA_10device_ptrItEEEEPS6_SG_NS0_5tupleIJSF_NSA_16discard_iteratorINSA_11use_defaultEEEEEENSH_IJSG_SG_EEES6_PlJ7is_evenItEEEE10hipError_tPvRmT3_T4_T5_T6_T7_T9_mT8_P12ihipStream_tbDpT10_ENKUlT_T0_E_clISt17integral_constantIbLb0EES19_EEDaS14_S15_EUlS14_E_NS1_11comp_targetILNS1_3genE9ELNS1_11target_archE1100ELNS1_3gpuE3ELNS1_3repE0EEENS1_30default_config_static_selectorELNS0_4arch9wavefront6targetE1EEEvT1_,"axG",@progbits,_ZN7rocprim17ROCPRIM_400000_NS6detail17trampoline_kernelINS0_14default_configENS1_25partition_config_selectorILNS1_17partition_subalgoE0EtNS0_10empty_typeEbEEZZNS1_14partition_implILS5_0ELb0ES3_jN6thrust23THRUST_200600_302600_NS6detail15normal_iteratorINSA_10device_ptrItEEEEPS6_SG_NS0_5tupleIJSF_NSA_16discard_iteratorINSA_11use_defaultEEEEEENSH_IJSG_SG_EEES6_PlJ7is_evenItEEEE10hipError_tPvRmT3_T4_T5_T6_T7_T9_mT8_P12ihipStream_tbDpT10_ENKUlT_T0_E_clISt17integral_constantIbLb0EES19_EEDaS14_S15_EUlS14_E_NS1_11comp_targetILNS1_3genE9ELNS1_11target_archE1100ELNS1_3gpuE3ELNS1_3repE0EEENS1_30default_config_static_selectorELNS0_4arch9wavefront6targetE1EEEvT1_,comdat
	.protected	_ZN7rocprim17ROCPRIM_400000_NS6detail17trampoline_kernelINS0_14default_configENS1_25partition_config_selectorILNS1_17partition_subalgoE0EtNS0_10empty_typeEbEEZZNS1_14partition_implILS5_0ELb0ES3_jN6thrust23THRUST_200600_302600_NS6detail15normal_iteratorINSA_10device_ptrItEEEEPS6_SG_NS0_5tupleIJSF_NSA_16discard_iteratorINSA_11use_defaultEEEEEENSH_IJSG_SG_EEES6_PlJ7is_evenItEEEE10hipError_tPvRmT3_T4_T5_T6_T7_T9_mT8_P12ihipStream_tbDpT10_ENKUlT_T0_E_clISt17integral_constantIbLb0EES19_EEDaS14_S15_EUlS14_E_NS1_11comp_targetILNS1_3genE9ELNS1_11target_archE1100ELNS1_3gpuE3ELNS1_3repE0EEENS1_30default_config_static_selectorELNS0_4arch9wavefront6targetE1EEEvT1_ ; -- Begin function _ZN7rocprim17ROCPRIM_400000_NS6detail17trampoline_kernelINS0_14default_configENS1_25partition_config_selectorILNS1_17partition_subalgoE0EtNS0_10empty_typeEbEEZZNS1_14partition_implILS5_0ELb0ES3_jN6thrust23THRUST_200600_302600_NS6detail15normal_iteratorINSA_10device_ptrItEEEEPS6_SG_NS0_5tupleIJSF_NSA_16discard_iteratorINSA_11use_defaultEEEEEENSH_IJSG_SG_EEES6_PlJ7is_evenItEEEE10hipError_tPvRmT3_T4_T5_T6_T7_T9_mT8_P12ihipStream_tbDpT10_ENKUlT_T0_E_clISt17integral_constantIbLb0EES19_EEDaS14_S15_EUlS14_E_NS1_11comp_targetILNS1_3genE9ELNS1_11target_archE1100ELNS1_3gpuE3ELNS1_3repE0EEENS1_30default_config_static_selectorELNS0_4arch9wavefront6targetE1EEEvT1_
	.globl	_ZN7rocprim17ROCPRIM_400000_NS6detail17trampoline_kernelINS0_14default_configENS1_25partition_config_selectorILNS1_17partition_subalgoE0EtNS0_10empty_typeEbEEZZNS1_14partition_implILS5_0ELb0ES3_jN6thrust23THRUST_200600_302600_NS6detail15normal_iteratorINSA_10device_ptrItEEEEPS6_SG_NS0_5tupleIJSF_NSA_16discard_iteratorINSA_11use_defaultEEEEEENSH_IJSG_SG_EEES6_PlJ7is_evenItEEEE10hipError_tPvRmT3_T4_T5_T6_T7_T9_mT8_P12ihipStream_tbDpT10_ENKUlT_T0_E_clISt17integral_constantIbLb0EES19_EEDaS14_S15_EUlS14_E_NS1_11comp_targetILNS1_3genE9ELNS1_11target_archE1100ELNS1_3gpuE3ELNS1_3repE0EEENS1_30default_config_static_selectorELNS0_4arch9wavefront6targetE1EEEvT1_
	.p2align	8
	.type	_ZN7rocprim17ROCPRIM_400000_NS6detail17trampoline_kernelINS0_14default_configENS1_25partition_config_selectorILNS1_17partition_subalgoE0EtNS0_10empty_typeEbEEZZNS1_14partition_implILS5_0ELb0ES3_jN6thrust23THRUST_200600_302600_NS6detail15normal_iteratorINSA_10device_ptrItEEEEPS6_SG_NS0_5tupleIJSF_NSA_16discard_iteratorINSA_11use_defaultEEEEEENSH_IJSG_SG_EEES6_PlJ7is_evenItEEEE10hipError_tPvRmT3_T4_T5_T6_T7_T9_mT8_P12ihipStream_tbDpT10_ENKUlT_T0_E_clISt17integral_constantIbLb0EES19_EEDaS14_S15_EUlS14_E_NS1_11comp_targetILNS1_3genE9ELNS1_11target_archE1100ELNS1_3gpuE3ELNS1_3repE0EEENS1_30default_config_static_selectorELNS0_4arch9wavefront6targetE1EEEvT1_,@function
_ZN7rocprim17ROCPRIM_400000_NS6detail17trampoline_kernelINS0_14default_configENS1_25partition_config_selectorILNS1_17partition_subalgoE0EtNS0_10empty_typeEbEEZZNS1_14partition_implILS5_0ELb0ES3_jN6thrust23THRUST_200600_302600_NS6detail15normal_iteratorINSA_10device_ptrItEEEEPS6_SG_NS0_5tupleIJSF_NSA_16discard_iteratorINSA_11use_defaultEEEEEENSH_IJSG_SG_EEES6_PlJ7is_evenItEEEE10hipError_tPvRmT3_T4_T5_T6_T7_T9_mT8_P12ihipStream_tbDpT10_ENKUlT_T0_E_clISt17integral_constantIbLb0EES19_EEDaS14_S15_EUlS14_E_NS1_11comp_targetILNS1_3genE9ELNS1_11target_archE1100ELNS1_3gpuE3ELNS1_3repE0EEENS1_30default_config_static_selectorELNS0_4arch9wavefront6targetE1EEEvT1_: ; @_ZN7rocprim17ROCPRIM_400000_NS6detail17trampoline_kernelINS0_14default_configENS1_25partition_config_selectorILNS1_17partition_subalgoE0EtNS0_10empty_typeEbEEZZNS1_14partition_implILS5_0ELb0ES3_jN6thrust23THRUST_200600_302600_NS6detail15normal_iteratorINSA_10device_ptrItEEEEPS6_SG_NS0_5tupleIJSF_NSA_16discard_iteratorINSA_11use_defaultEEEEEENSH_IJSG_SG_EEES6_PlJ7is_evenItEEEE10hipError_tPvRmT3_T4_T5_T6_T7_T9_mT8_P12ihipStream_tbDpT10_ENKUlT_T0_E_clISt17integral_constantIbLb0EES19_EEDaS14_S15_EUlS14_E_NS1_11comp_targetILNS1_3genE9ELNS1_11target_archE1100ELNS1_3gpuE3ELNS1_3repE0EEENS1_30default_config_static_selectorELNS0_4arch9wavefront6targetE1EEEvT1_
; %bb.0:
	.section	.rodata,"a",@progbits
	.p2align	6, 0x0
	.amdhsa_kernel _ZN7rocprim17ROCPRIM_400000_NS6detail17trampoline_kernelINS0_14default_configENS1_25partition_config_selectorILNS1_17partition_subalgoE0EtNS0_10empty_typeEbEEZZNS1_14partition_implILS5_0ELb0ES3_jN6thrust23THRUST_200600_302600_NS6detail15normal_iteratorINSA_10device_ptrItEEEEPS6_SG_NS0_5tupleIJSF_NSA_16discard_iteratorINSA_11use_defaultEEEEEENSH_IJSG_SG_EEES6_PlJ7is_evenItEEEE10hipError_tPvRmT3_T4_T5_T6_T7_T9_mT8_P12ihipStream_tbDpT10_ENKUlT_T0_E_clISt17integral_constantIbLb0EES19_EEDaS14_S15_EUlS14_E_NS1_11comp_targetILNS1_3genE9ELNS1_11target_archE1100ELNS1_3gpuE3ELNS1_3repE0EEENS1_30default_config_static_selectorELNS0_4arch9wavefront6targetE1EEEvT1_
		.amdhsa_group_segment_fixed_size 0
		.amdhsa_private_segment_fixed_size 0
		.amdhsa_kernarg_size 128
		.amdhsa_user_sgpr_count 2
		.amdhsa_user_sgpr_dispatch_ptr 0
		.amdhsa_user_sgpr_queue_ptr 0
		.amdhsa_user_sgpr_kernarg_segment_ptr 1
		.amdhsa_user_sgpr_dispatch_id 0
		.amdhsa_user_sgpr_kernarg_preload_length 0
		.amdhsa_user_sgpr_kernarg_preload_offset 0
		.amdhsa_user_sgpr_private_segment_size 0
		.amdhsa_uses_dynamic_stack 0
		.amdhsa_enable_private_segment 0
		.amdhsa_system_sgpr_workgroup_id_x 1
		.amdhsa_system_sgpr_workgroup_id_y 0
		.amdhsa_system_sgpr_workgroup_id_z 0
		.amdhsa_system_sgpr_workgroup_info 0
		.amdhsa_system_vgpr_workitem_id 0
		.amdhsa_next_free_vgpr 1
		.amdhsa_next_free_sgpr 0
		.amdhsa_accum_offset 4
		.amdhsa_reserve_vcc 0
		.amdhsa_float_round_mode_32 0
		.amdhsa_float_round_mode_16_64 0
		.amdhsa_float_denorm_mode_32 3
		.amdhsa_float_denorm_mode_16_64 3
		.amdhsa_dx10_clamp 1
		.amdhsa_ieee_mode 1
		.amdhsa_fp16_overflow 0
		.amdhsa_tg_split 0
		.amdhsa_exception_fp_ieee_invalid_op 0
		.amdhsa_exception_fp_denorm_src 0
		.amdhsa_exception_fp_ieee_div_zero 0
		.amdhsa_exception_fp_ieee_overflow 0
		.amdhsa_exception_fp_ieee_underflow 0
		.amdhsa_exception_fp_ieee_inexact 0
		.amdhsa_exception_int_div_zero 0
	.end_amdhsa_kernel
	.section	.text._ZN7rocprim17ROCPRIM_400000_NS6detail17trampoline_kernelINS0_14default_configENS1_25partition_config_selectorILNS1_17partition_subalgoE0EtNS0_10empty_typeEbEEZZNS1_14partition_implILS5_0ELb0ES3_jN6thrust23THRUST_200600_302600_NS6detail15normal_iteratorINSA_10device_ptrItEEEEPS6_SG_NS0_5tupleIJSF_NSA_16discard_iteratorINSA_11use_defaultEEEEEENSH_IJSG_SG_EEES6_PlJ7is_evenItEEEE10hipError_tPvRmT3_T4_T5_T6_T7_T9_mT8_P12ihipStream_tbDpT10_ENKUlT_T0_E_clISt17integral_constantIbLb0EES19_EEDaS14_S15_EUlS14_E_NS1_11comp_targetILNS1_3genE9ELNS1_11target_archE1100ELNS1_3gpuE3ELNS1_3repE0EEENS1_30default_config_static_selectorELNS0_4arch9wavefront6targetE1EEEvT1_,"axG",@progbits,_ZN7rocprim17ROCPRIM_400000_NS6detail17trampoline_kernelINS0_14default_configENS1_25partition_config_selectorILNS1_17partition_subalgoE0EtNS0_10empty_typeEbEEZZNS1_14partition_implILS5_0ELb0ES3_jN6thrust23THRUST_200600_302600_NS6detail15normal_iteratorINSA_10device_ptrItEEEEPS6_SG_NS0_5tupleIJSF_NSA_16discard_iteratorINSA_11use_defaultEEEEEENSH_IJSG_SG_EEES6_PlJ7is_evenItEEEE10hipError_tPvRmT3_T4_T5_T6_T7_T9_mT8_P12ihipStream_tbDpT10_ENKUlT_T0_E_clISt17integral_constantIbLb0EES19_EEDaS14_S15_EUlS14_E_NS1_11comp_targetILNS1_3genE9ELNS1_11target_archE1100ELNS1_3gpuE3ELNS1_3repE0EEENS1_30default_config_static_selectorELNS0_4arch9wavefront6targetE1EEEvT1_,comdat
.Lfunc_end2529:
	.size	_ZN7rocprim17ROCPRIM_400000_NS6detail17trampoline_kernelINS0_14default_configENS1_25partition_config_selectorILNS1_17partition_subalgoE0EtNS0_10empty_typeEbEEZZNS1_14partition_implILS5_0ELb0ES3_jN6thrust23THRUST_200600_302600_NS6detail15normal_iteratorINSA_10device_ptrItEEEEPS6_SG_NS0_5tupleIJSF_NSA_16discard_iteratorINSA_11use_defaultEEEEEENSH_IJSG_SG_EEES6_PlJ7is_evenItEEEE10hipError_tPvRmT3_T4_T5_T6_T7_T9_mT8_P12ihipStream_tbDpT10_ENKUlT_T0_E_clISt17integral_constantIbLb0EES19_EEDaS14_S15_EUlS14_E_NS1_11comp_targetILNS1_3genE9ELNS1_11target_archE1100ELNS1_3gpuE3ELNS1_3repE0EEENS1_30default_config_static_selectorELNS0_4arch9wavefront6targetE1EEEvT1_, .Lfunc_end2529-_ZN7rocprim17ROCPRIM_400000_NS6detail17trampoline_kernelINS0_14default_configENS1_25partition_config_selectorILNS1_17partition_subalgoE0EtNS0_10empty_typeEbEEZZNS1_14partition_implILS5_0ELb0ES3_jN6thrust23THRUST_200600_302600_NS6detail15normal_iteratorINSA_10device_ptrItEEEEPS6_SG_NS0_5tupleIJSF_NSA_16discard_iteratorINSA_11use_defaultEEEEEENSH_IJSG_SG_EEES6_PlJ7is_evenItEEEE10hipError_tPvRmT3_T4_T5_T6_T7_T9_mT8_P12ihipStream_tbDpT10_ENKUlT_T0_E_clISt17integral_constantIbLb0EES19_EEDaS14_S15_EUlS14_E_NS1_11comp_targetILNS1_3genE9ELNS1_11target_archE1100ELNS1_3gpuE3ELNS1_3repE0EEENS1_30default_config_static_selectorELNS0_4arch9wavefront6targetE1EEEvT1_
                                        ; -- End function
	.section	.AMDGPU.csdata,"",@progbits
; Kernel info:
; codeLenInByte = 0
; NumSgprs: 6
; NumVgprs: 0
; NumAgprs: 0
; TotalNumVgprs: 0
; ScratchSize: 0
; MemoryBound: 0
; FloatMode: 240
; IeeeMode: 1
; LDSByteSize: 0 bytes/workgroup (compile time only)
; SGPRBlocks: 0
; VGPRBlocks: 0
; NumSGPRsForWavesPerEU: 6
; NumVGPRsForWavesPerEU: 1
; AccumOffset: 4
; Occupancy: 8
; WaveLimiterHint : 0
; COMPUTE_PGM_RSRC2:SCRATCH_EN: 0
; COMPUTE_PGM_RSRC2:USER_SGPR: 2
; COMPUTE_PGM_RSRC2:TRAP_HANDLER: 0
; COMPUTE_PGM_RSRC2:TGID_X_EN: 1
; COMPUTE_PGM_RSRC2:TGID_Y_EN: 0
; COMPUTE_PGM_RSRC2:TGID_Z_EN: 0
; COMPUTE_PGM_RSRC2:TIDIG_COMP_CNT: 0
; COMPUTE_PGM_RSRC3_GFX90A:ACCUM_OFFSET: 0
; COMPUTE_PGM_RSRC3_GFX90A:TG_SPLIT: 0
	.section	.text._ZN7rocprim17ROCPRIM_400000_NS6detail17trampoline_kernelINS0_14default_configENS1_25partition_config_selectorILNS1_17partition_subalgoE0EtNS0_10empty_typeEbEEZZNS1_14partition_implILS5_0ELb0ES3_jN6thrust23THRUST_200600_302600_NS6detail15normal_iteratorINSA_10device_ptrItEEEEPS6_SG_NS0_5tupleIJSF_NSA_16discard_iteratorINSA_11use_defaultEEEEEENSH_IJSG_SG_EEES6_PlJ7is_evenItEEEE10hipError_tPvRmT3_T4_T5_T6_T7_T9_mT8_P12ihipStream_tbDpT10_ENKUlT_T0_E_clISt17integral_constantIbLb0EES19_EEDaS14_S15_EUlS14_E_NS1_11comp_targetILNS1_3genE8ELNS1_11target_archE1030ELNS1_3gpuE2ELNS1_3repE0EEENS1_30default_config_static_selectorELNS0_4arch9wavefront6targetE1EEEvT1_,"axG",@progbits,_ZN7rocprim17ROCPRIM_400000_NS6detail17trampoline_kernelINS0_14default_configENS1_25partition_config_selectorILNS1_17partition_subalgoE0EtNS0_10empty_typeEbEEZZNS1_14partition_implILS5_0ELb0ES3_jN6thrust23THRUST_200600_302600_NS6detail15normal_iteratorINSA_10device_ptrItEEEEPS6_SG_NS0_5tupleIJSF_NSA_16discard_iteratorINSA_11use_defaultEEEEEENSH_IJSG_SG_EEES6_PlJ7is_evenItEEEE10hipError_tPvRmT3_T4_T5_T6_T7_T9_mT8_P12ihipStream_tbDpT10_ENKUlT_T0_E_clISt17integral_constantIbLb0EES19_EEDaS14_S15_EUlS14_E_NS1_11comp_targetILNS1_3genE8ELNS1_11target_archE1030ELNS1_3gpuE2ELNS1_3repE0EEENS1_30default_config_static_selectorELNS0_4arch9wavefront6targetE1EEEvT1_,comdat
	.protected	_ZN7rocprim17ROCPRIM_400000_NS6detail17trampoline_kernelINS0_14default_configENS1_25partition_config_selectorILNS1_17partition_subalgoE0EtNS0_10empty_typeEbEEZZNS1_14partition_implILS5_0ELb0ES3_jN6thrust23THRUST_200600_302600_NS6detail15normal_iteratorINSA_10device_ptrItEEEEPS6_SG_NS0_5tupleIJSF_NSA_16discard_iteratorINSA_11use_defaultEEEEEENSH_IJSG_SG_EEES6_PlJ7is_evenItEEEE10hipError_tPvRmT3_T4_T5_T6_T7_T9_mT8_P12ihipStream_tbDpT10_ENKUlT_T0_E_clISt17integral_constantIbLb0EES19_EEDaS14_S15_EUlS14_E_NS1_11comp_targetILNS1_3genE8ELNS1_11target_archE1030ELNS1_3gpuE2ELNS1_3repE0EEENS1_30default_config_static_selectorELNS0_4arch9wavefront6targetE1EEEvT1_ ; -- Begin function _ZN7rocprim17ROCPRIM_400000_NS6detail17trampoline_kernelINS0_14default_configENS1_25partition_config_selectorILNS1_17partition_subalgoE0EtNS0_10empty_typeEbEEZZNS1_14partition_implILS5_0ELb0ES3_jN6thrust23THRUST_200600_302600_NS6detail15normal_iteratorINSA_10device_ptrItEEEEPS6_SG_NS0_5tupleIJSF_NSA_16discard_iteratorINSA_11use_defaultEEEEEENSH_IJSG_SG_EEES6_PlJ7is_evenItEEEE10hipError_tPvRmT3_T4_T5_T6_T7_T9_mT8_P12ihipStream_tbDpT10_ENKUlT_T0_E_clISt17integral_constantIbLb0EES19_EEDaS14_S15_EUlS14_E_NS1_11comp_targetILNS1_3genE8ELNS1_11target_archE1030ELNS1_3gpuE2ELNS1_3repE0EEENS1_30default_config_static_selectorELNS0_4arch9wavefront6targetE1EEEvT1_
	.globl	_ZN7rocprim17ROCPRIM_400000_NS6detail17trampoline_kernelINS0_14default_configENS1_25partition_config_selectorILNS1_17partition_subalgoE0EtNS0_10empty_typeEbEEZZNS1_14partition_implILS5_0ELb0ES3_jN6thrust23THRUST_200600_302600_NS6detail15normal_iteratorINSA_10device_ptrItEEEEPS6_SG_NS0_5tupleIJSF_NSA_16discard_iteratorINSA_11use_defaultEEEEEENSH_IJSG_SG_EEES6_PlJ7is_evenItEEEE10hipError_tPvRmT3_T4_T5_T6_T7_T9_mT8_P12ihipStream_tbDpT10_ENKUlT_T0_E_clISt17integral_constantIbLb0EES19_EEDaS14_S15_EUlS14_E_NS1_11comp_targetILNS1_3genE8ELNS1_11target_archE1030ELNS1_3gpuE2ELNS1_3repE0EEENS1_30default_config_static_selectorELNS0_4arch9wavefront6targetE1EEEvT1_
	.p2align	8
	.type	_ZN7rocprim17ROCPRIM_400000_NS6detail17trampoline_kernelINS0_14default_configENS1_25partition_config_selectorILNS1_17partition_subalgoE0EtNS0_10empty_typeEbEEZZNS1_14partition_implILS5_0ELb0ES3_jN6thrust23THRUST_200600_302600_NS6detail15normal_iteratorINSA_10device_ptrItEEEEPS6_SG_NS0_5tupleIJSF_NSA_16discard_iteratorINSA_11use_defaultEEEEEENSH_IJSG_SG_EEES6_PlJ7is_evenItEEEE10hipError_tPvRmT3_T4_T5_T6_T7_T9_mT8_P12ihipStream_tbDpT10_ENKUlT_T0_E_clISt17integral_constantIbLb0EES19_EEDaS14_S15_EUlS14_E_NS1_11comp_targetILNS1_3genE8ELNS1_11target_archE1030ELNS1_3gpuE2ELNS1_3repE0EEENS1_30default_config_static_selectorELNS0_4arch9wavefront6targetE1EEEvT1_,@function
_ZN7rocprim17ROCPRIM_400000_NS6detail17trampoline_kernelINS0_14default_configENS1_25partition_config_selectorILNS1_17partition_subalgoE0EtNS0_10empty_typeEbEEZZNS1_14partition_implILS5_0ELb0ES3_jN6thrust23THRUST_200600_302600_NS6detail15normal_iteratorINSA_10device_ptrItEEEEPS6_SG_NS0_5tupleIJSF_NSA_16discard_iteratorINSA_11use_defaultEEEEEENSH_IJSG_SG_EEES6_PlJ7is_evenItEEEE10hipError_tPvRmT3_T4_T5_T6_T7_T9_mT8_P12ihipStream_tbDpT10_ENKUlT_T0_E_clISt17integral_constantIbLb0EES19_EEDaS14_S15_EUlS14_E_NS1_11comp_targetILNS1_3genE8ELNS1_11target_archE1030ELNS1_3gpuE2ELNS1_3repE0EEENS1_30default_config_static_selectorELNS0_4arch9wavefront6targetE1EEEvT1_: ; @_ZN7rocprim17ROCPRIM_400000_NS6detail17trampoline_kernelINS0_14default_configENS1_25partition_config_selectorILNS1_17partition_subalgoE0EtNS0_10empty_typeEbEEZZNS1_14partition_implILS5_0ELb0ES3_jN6thrust23THRUST_200600_302600_NS6detail15normal_iteratorINSA_10device_ptrItEEEEPS6_SG_NS0_5tupleIJSF_NSA_16discard_iteratorINSA_11use_defaultEEEEEENSH_IJSG_SG_EEES6_PlJ7is_evenItEEEE10hipError_tPvRmT3_T4_T5_T6_T7_T9_mT8_P12ihipStream_tbDpT10_ENKUlT_T0_E_clISt17integral_constantIbLb0EES19_EEDaS14_S15_EUlS14_E_NS1_11comp_targetILNS1_3genE8ELNS1_11target_archE1030ELNS1_3gpuE2ELNS1_3repE0EEENS1_30default_config_static_selectorELNS0_4arch9wavefront6targetE1EEEvT1_
; %bb.0:
	.section	.rodata,"a",@progbits
	.p2align	6, 0x0
	.amdhsa_kernel _ZN7rocprim17ROCPRIM_400000_NS6detail17trampoline_kernelINS0_14default_configENS1_25partition_config_selectorILNS1_17partition_subalgoE0EtNS0_10empty_typeEbEEZZNS1_14partition_implILS5_0ELb0ES3_jN6thrust23THRUST_200600_302600_NS6detail15normal_iteratorINSA_10device_ptrItEEEEPS6_SG_NS0_5tupleIJSF_NSA_16discard_iteratorINSA_11use_defaultEEEEEENSH_IJSG_SG_EEES6_PlJ7is_evenItEEEE10hipError_tPvRmT3_T4_T5_T6_T7_T9_mT8_P12ihipStream_tbDpT10_ENKUlT_T0_E_clISt17integral_constantIbLb0EES19_EEDaS14_S15_EUlS14_E_NS1_11comp_targetILNS1_3genE8ELNS1_11target_archE1030ELNS1_3gpuE2ELNS1_3repE0EEENS1_30default_config_static_selectorELNS0_4arch9wavefront6targetE1EEEvT1_
		.amdhsa_group_segment_fixed_size 0
		.amdhsa_private_segment_fixed_size 0
		.amdhsa_kernarg_size 128
		.amdhsa_user_sgpr_count 2
		.amdhsa_user_sgpr_dispatch_ptr 0
		.amdhsa_user_sgpr_queue_ptr 0
		.amdhsa_user_sgpr_kernarg_segment_ptr 1
		.amdhsa_user_sgpr_dispatch_id 0
		.amdhsa_user_sgpr_kernarg_preload_length 0
		.amdhsa_user_sgpr_kernarg_preload_offset 0
		.amdhsa_user_sgpr_private_segment_size 0
		.amdhsa_uses_dynamic_stack 0
		.amdhsa_enable_private_segment 0
		.amdhsa_system_sgpr_workgroup_id_x 1
		.amdhsa_system_sgpr_workgroup_id_y 0
		.amdhsa_system_sgpr_workgroup_id_z 0
		.amdhsa_system_sgpr_workgroup_info 0
		.amdhsa_system_vgpr_workitem_id 0
		.amdhsa_next_free_vgpr 1
		.amdhsa_next_free_sgpr 0
		.amdhsa_accum_offset 4
		.amdhsa_reserve_vcc 0
		.amdhsa_float_round_mode_32 0
		.amdhsa_float_round_mode_16_64 0
		.amdhsa_float_denorm_mode_32 3
		.amdhsa_float_denorm_mode_16_64 3
		.amdhsa_dx10_clamp 1
		.amdhsa_ieee_mode 1
		.amdhsa_fp16_overflow 0
		.amdhsa_tg_split 0
		.amdhsa_exception_fp_ieee_invalid_op 0
		.amdhsa_exception_fp_denorm_src 0
		.amdhsa_exception_fp_ieee_div_zero 0
		.amdhsa_exception_fp_ieee_overflow 0
		.amdhsa_exception_fp_ieee_underflow 0
		.amdhsa_exception_fp_ieee_inexact 0
		.amdhsa_exception_int_div_zero 0
	.end_amdhsa_kernel
	.section	.text._ZN7rocprim17ROCPRIM_400000_NS6detail17trampoline_kernelINS0_14default_configENS1_25partition_config_selectorILNS1_17partition_subalgoE0EtNS0_10empty_typeEbEEZZNS1_14partition_implILS5_0ELb0ES3_jN6thrust23THRUST_200600_302600_NS6detail15normal_iteratorINSA_10device_ptrItEEEEPS6_SG_NS0_5tupleIJSF_NSA_16discard_iteratorINSA_11use_defaultEEEEEENSH_IJSG_SG_EEES6_PlJ7is_evenItEEEE10hipError_tPvRmT3_T4_T5_T6_T7_T9_mT8_P12ihipStream_tbDpT10_ENKUlT_T0_E_clISt17integral_constantIbLb0EES19_EEDaS14_S15_EUlS14_E_NS1_11comp_targetILNS1_3genE8ELNS1_11target_archE1030ELNS1_3gpuE2ELNS1_3repE0EEENS1_30default_config_static_selectorELNS0_4arch9wavefront6targetE1EEEvT1_,"axG",@progbits,_ZN7rocprim17ROCPRIM_400000_NS6detail17trampoline_kernelINS0_14default_configENS1_25partition_config_selectorILNS1_17partition_subalgoE0EtNS0_10empty_typeEbEEZZNS1_14partition_implILS5_0ELb0ES3_jN6thrust23THRUST_200600_302600_NS6detail15normal_iteratorINSA_10device_ptrItEEEEPS6_SG_NS0_5tupleIJSF_NSA_16discard_iteratorINSA_11use_defaultEEEEEENSH_IJSG_SG_EEES6_PlJ7is_evenItEEEE10hipError_tPvRmT3_T4_T5_T6_T7_T9_mT8_P12ihipStream_tbDpT10_ENKUlT_T0_E_clISt17integral_constantIbLb0EES19_EEDaS14_S15_EUlS14_E_NS1_11comp_targetILNS1_3genE8ELNS1_11target_archE1030ELNS1_3gpuE2ELNS1_3repE0EEENS1_30default_config_static_selectorELNS0_4arch9wavefront6targetE1EEEvT1_,comdat
.Lfunc_end2530:
	.size	_ZN7rocprim17ROCPRIM_400000_NS6detail17trampoline_kernelINS0_14default_configENS1_25partition_config_selectorILNS1_17partition_subalgoE0EtNS0_10empty_typeEbEEZZNS1_14partition_implILS5_0ELb0ES3_jN6thrust23THRUST_200600_302600_NS6detail15normal_iteratorINSA_10device_ptrItEEEEPS6_SG_NS0_5tupleIJSF_NSA_16discard_iteratorINSA_11use_defaultEEEEEENSH_IJSG_SG_EEES6_PlJ7is_evenItEEEE10hipError_tPvRmT3_T4_T5_T6_T7_T9_mT8_P12ihipStream_tbDpT10_ENKUlT_T0_E_clISt17integral_constantIbLb0EES19_EEDaS14_S15_EUlS14_E_NS1_11comp_targetILNS1_3genE8ELNS1_11target_archE1030ELNS1_3gpuE2ELNS1_3repE0EEENS1_30default_config_static_selectorELNS0_4arch9wavefront6targetE1EEEvT1_, .Lfunc_end2530-_ZN7rocprim17ROCPRIM_400000_NS6detail17trampoline_kernelINS0_14default_configENS1_25partition_config_selectorILNS1_17partition_subalgoE0EtNS0_10empty_typeEbEEZZNS1_14partition_implILS5_0ELb0ES3_jN6thrust23THRUST_200600_302600_NS6detail15normal_iteratorINSA_10device_ptrItEEEEPS6_SG_NS0_5tupleIJSF_NSA_16discard_iteratorINSA_11use_defaultEEEEEENSH_IJSG_SG_EEES6_PlJ7is_evenItEEEE10hipError_tPvRmT3_T4_T5_T6_T7_T9_mT8_P12ihipStream_tbDpT10_ENKUlT_T0_E_clISt17integral_constantIbLb0EES19_EEDaS14_S15_EUlS14_E_NS1_11comp_targetILNS1_3genE8ELNS1_11target_archE1030ELNS1_3gpuE2ELNS1_3repE0EEENS1_30default_config_static_selectorELNS0_4arch9wavefront6targetE1EEEvT1_
                                        ; -- End function
	.section	.AMDGPU.csdata,"",@progbits
; Kernel info:
; codeLenInByte = 0
; NumSgprs: 6
; NumVgprs: 0
; NumAgprs: 0
; TotalNumVgprs: 0
; ScratchSize: 0
; MemoryBound: 0
; FloatMode: 240
; IeeeMode: 1
; LDSByteSize: 0 bytes/workgroup (compile time only)
; SGPRBlocks: 0
; VGPRBlocks: 0
; NumSGPRsForWavesPerEU: 6
; NumVGPRsForWavesPerEU: 1
; AccumOffset: 4
; Occupancy: 8
; WaveLimiterHint : 0
; COMPUTE_PGM_RSRC2:SCRATCH_EN: 0
; COMPUTE_PGM_RSRC2:USER_SGPR: 2
; COMPUTE_PGM_RSRC2:TRAP_HANDLER: 0
; COMPUTE_PGM_RSRC2:TGID_X_EN: 1
; COMPUTE_PGM_RSRC2:TGID_Y_EN: 0
; COMPUTE_PGM_RSRC2:TGID_Z_EN: 0
; COMPUTE_PGM_RSRC2:TIDIG_COMP_CNT: 0
; COMPUTE_PGM_RSRC3_GFX90A:ACCUM_OFFSET: 0
; COMPUTE_PGM_RSRC3_GFX90A:TG_SPLIT: 0
	.section	.text._ZN7rocprim17ROCPRIM_400000_NS6detail17trampoline_kernelINS0_14default_configENS1_25partition_config_selectorILNS1_17partition_subalgoE0EtNS0_10empty_typeEbEEZZNS1_14partition_implILS5_0ELb0ES3_jN6thrust23THRUST_200600_302600_NS6detail15normal_iteratorINSA_10device_ptrItEEEEPS6_SG_NS0_5tupleIJSF_NSA_16discard_iteratorINSA_11use_defaultEEEEEENSH_IJSG_SG_EEES6_PlJ7is_evenItEEEE10hipError_tPvRmT3_T4_T5_T6_T7_T9_mT8_P12ihipStream_tbDpT10_ENKUlT_T0_E_clISt17integral_constantIbLb1EES19_EEDaS14_S15_EUlS14_E_NS1_11comp_targetILNS1_3genE0ELNS1_11target_archE4294967295ELNS1_3gpuE0ELNS1_3repE0EEENS1_30default_config_static_selectorELNS0_4arch9wavefront6targetE1EEEvT1_,"axG",@progbits,_ZN7rocprim17ROCPRIM_400000_NS6detail17trampoline_kernelINS0_14default_configENS1_25partition_config_selectorILNS1_17partition_subalgoE0EtNS0_10empty_typeEbEEZZNS1_14partition_implILS5_0ELb0ES3_jN6thrust23THRUST_200600_302600_NS6detail15normal_iteratorINSA_10device_ptrItEEEEPS6_SG_NS0_5tupleIJSF_NSA_16discard_iteratorINSA_11use_defaultEEEEEENSH_IJSG_SG_EEES6_PlJ7is_evenItEEEE10hipError_tPvRmT3_T4_T5_T6_T7_T9_mT8_P12ihipStream_tbDpT10_ENKUlT_T0_E_clISt17integral_constantIbLb1EES19_EEDaS14_S15_EUlS14_E_NS1_11comp_targetILNS1_3genE0ELNS1_11target_archE4294967295ELNS1_3gpuE0ELNS1_3repE0EEENS1_30default_config_static_selectorELNS0_4arch9wavefront6targetE1EEEvT1_,comdat
	.protected	_ZN7rocprim17ROCPRIM_400000_NS6detail17trampoline_kernelINS0_14default_configENS1_25partition_config_selectorILNS1_17partition_subalgoE0EtNS0_10empty_typeEbEEZZNS1_14partition_implILS5_0ELb0ES3_jN6thrust23THRUST_200600_302600_NS6detail15normal_iteratorINSA_10device_ptrItEEEEPS6_SG_NS0_5tupleIJSF_NSA_16discard_iteratorINSA_11use_defaultEEEEEENSH_IJSG_SG_EEES6_PlJ7is_evenItEEEE10hipError_tPvRmT3_T4_T5_T6_T7_T9_mT8_P12ihipStream_tbDpT10_ENKUlT_T0_E_clISt17integral_constantIbLb1EES19_EEDaS14_S15_EUlS14_E_NS1_11comp_targetILNS1_3genE0ELNS1_11target_archE4294967295ELNS1_3gpuE0ELNS1_3repE0EEENS1_30default_config_static_selectorELNS0_4arch9wavefront6targetE1EEEvT1_ ; -- Begin function _ZN7rocprim17ROCPRIM_400000_NS6detail17trampoline_kernelINS0_14default_configENS1_25partition_config_selectorILNS1_17partition_subalgoE0EtNS0_10empty_typeEbEEZZNS1_14partition_implILS5_0ELb0ES3_jN6thrust23THRUST_200600_302600_NS6detail15normal_iteratorINSA_10device_ptrItEEEEPS6_SG_NS0_5tupleIJSF_NSA_16discard_iteratorINSA_11use_defaultEEEEEENSH_IJSG_SG_EEES6_PlJ7is_evenItEEEE10hipError_tPvRmT3_T4_T5_T6_T7_T9_mT8_P12ihipStream_tbDpT10_ENKUlT_T0_E_clISt17integral_constantIbLb1EES19_EEDaS14_S15_EUlS14_E_NS1_11comp_targetILNS1_3genE0ELNS1_11target_archE4294967295ELNS1_3gpuE0ELNS1_3repE0EEENS1_30default_config_static_selectorELNS0_4arch9wavefront6targetE1EEEvT1_
	.globl	_ZN7rocprim17ROCPRIM_400000_NS6detail17trampoline_kernelINS0_14default_configENS1_25partition_config_selectorILNS1_17partition_subalgoE0EtNS0_10empty_typeEbEEZZNS1_14partition_implILS5_0ELb0ES3_jN6thrust23THRUST_200600_302600_NS6detail15normal_iteratorINSA_10device_ptrItEEEEPS6_SG_NS0_5tupleIJSF_NSA_16discard_iteratorINSA_11use_defaultEEEEEENSH_IJSG_SG_EEES6_PlJ7is_evenItEEEE10hipError_tPvRmT3_T4_T5_T6_T7_T9_mT8_P12ihipStream_tbDpT10_ENKUlT_T0_E_clISt17integral_constantIbLb1EES19_EEDaS14_S15_EUlS14_E_NS1_11comp_targetILNS1_3genE0ELNS1_11target_archE4294967295ELNS1_3gpuE0ELNS1_3repE0EEENS1_30default_config_static_selectorELNS0_4arch9wavefront6targetE1EEEvT1_
	.p2align	8
	.type	_ZN7rocprim17ROCPRIM_400000_NS6detail17trampoline_kernelINS0_14default_configENS1_25partition_config_selectorILNS1_17partition_subalgoE0EtNS0_10empty_typeEbEEZZNS1_14partition_implILS5_0ELb0ES3_jN6thrust23THRUST_200600_302600_NS6detail15normal_iteratorINSA_10device_ptrItEEEEPS6_SG_NS0_5tupleIJSF_NSA_16discard_iteratorINSA_11use_defaultEEEEEENSH_IJSG_SG_EEES6_PlJ7is_evenItEEEE10hipError_tPvRmT3_T4_T5_T6_T7_T9_mT8_P12ihipStream_tbDpT10_ENKUlT_T0_E_clISt17integral_constantIbLb1EES19_EEDaS14_S15_EUlS14_E_NS1_11comp_targetILNS1_3genE0ELNS1_11target_archE4294967295ELNS1_3gpuE0ELNS1_3repE0EEENS1_30default_config_static_selectorELNS0_4arch9wavefront6targetE1EEEvT1_,@function
_ZN7rocprim17ROCPRIM_400000_NS6detail17trampoline_kernelINS0_14default_configENS1_25partition_config_selectorILNS1_17partition_subalgoE0EtNS0_10empty_typeEbEEZZNS1_14partition_implILS5_0ELb0ES3_jN6thrust23THRUST_200600_302600_NS6detail15normal_iteratorINSA_10device_ptrItEEEEPS6_SG_NS0_5tupleIJSF_NSA_16discard_iteratorINSA_11use_defaultEEEEEENSH_IJSG_SG_EEES6_PlJ7is_evenItEEEE10hipError_tPvRmT3_T4_T5_T6_T7_T9_mT8_P12ihipStream_tbDpT10_ENKUlT_T0_E_clISt17integral_constantIbLb1EES19_EEDaS14_S15_EUlS14_E_NS1_11comp_targetILNS1_3genE0ELNS1_11target_archE4294967295ELNS1_3gpuE0ELNS1_3repE0EEENS1_30default_config_static_selectorELNS0_4arch9wavefront6targetE1EEEvT1_: ; @_ZN7rocprim17ROCPRIM_400000_NS6detail17trampoline_kernelINS0_14default_configENS1_25partition_config_selectorILNS1_17partition_subalgoE0EtNS0_10empty_typeEbEEZZNS1_14partition_implILS5_0ELb0ES3_jN6thrust23THRUST_200600_302600_NS6detail15normal_iteratorINSA_10device_ptrItEEEEPS6_SG_NS0_5tupleIJSF_NSA_16discard_iteratorINSA_11use_defaultEEEEEENSH_IJSG_SG_EEES6_PlJ7is_evenItEEEE10hipError_tPvRmT3_T4_T5_T6_T7_T9_mT8_P12ihipStream_tbDpT10_ENKUlT_T0_E_clISt17integral_constantIbLb1EES19_EEDaS14_S15_EUlS14_E_NS1_11comp_targetILNS1_3genE0ELNS1_11target_archE4294967295ELNS1_3gpuE0ELNS1_3repE0EEENS1_30default_config_static_selectorELNS0_4arch9wavefront6targetE1EEEvT1_
; %bb.0:
	.section	.rodata,"a",@progbits
	.p2align	6, 0x0
	.amdhsa_kernel _ZN7rocprim17ROCPRIM_400000_NS6detail17trampoline_kernelINS0_14default_configENS1_25partition_config_selectorILNS1_17partition_subalgoE0EtNS0_10empty_typeEbEEZZNS1_14partition_implILS5_0ELb0ES3_jN6thrust23THRUST_200600_302600_NS6detail15normal_iteratorINSA_10device_ptrItEEEEPS6_SG_NS0_5tupleIJSF_NSA_16discard_iteratorINSA_11use_defaultEEEEEENSH_IJSG_SG_EEES6_PlJ7is_evenItEEEE10hipError_tPvRmT3_T4_T5_T6_T7_T9_mT8_P12ihipStream_tbDpT10_ENKUlT_T0_E_clISt17integral_constantIbLb1EES19_EEDaS14_S15_EUlS14_E_NS1_11comp_targetILNS1_3genE0ELNS1_11target_archE4294967295ELNS1_3gpuE0ELNS1_3repE0EEENS1_30default_config_static_selectorELNS0_4arch9wavefront6targetE1EEEvT1_
		.amdhsa_group_segment_fixed_size 0
		.amdhsa_private_segment_fixed_size 0
		.amdhsa_kernarg_size 144
		.amdhsa_user_sgpr_count 2
		.amdhsa_user_sgpr_dispatch_ptr 0
		.amdhsa_user_sgpr_queue_ptr 0
		.amdhsa_user_sgpr_kernarg_segment_ptr 1
		.amdhsa_user_sgpr_dispatch_id 0
		.amdhsa_user_sgpr_kernarg_preload_length 0
		.amdhsa_user_sgpr_kernarg_preload_offset 0
		.amdhsa_user_sgpr_private_segment_size 0
		.amdhsa_uses_dynamic_stack 0
		.amdhsa_enable_private_segment 0
		.amdhsa_system_sgpr_workgroup_id_x 1
		.amdhsa_system_sgpr_workgroup_id_y 0
		.amdhsa_system_sgpr_workgroup_id_z 0
		.amdhsa_system_sgpr_workgroup_info 0
		.amdhsa_system_vgpr_workitem_id 0
		.amdhsa_next_free_vgpr 1
		.amdhsa_next_free_sgpr 0
		.amdhsa_accum_offset 4
		.amdhsa_reserve_vcc 0
		.amdhsa_float_round_mode_32 0
		.amdhsa_float_round_mode_16_64 0
		.amdhsa_float_denorm_mode_32 3
		.amdhsa_float_denorm_mode_16_64 3
		.amdhsa_dx10_clamp 1
		.amdhsa_ieee_mode 1
		.amdhsa_fp16_overflow 0
		.amdhsa_tg_split 0
		.amdhsa_exception_fp_ieee_invalid_op 0
		.amdhsa_exception_fp_denorm_src 0
		.amdhsa_exception_fp_ieee_div_zero 0
		.amdhsa_exception_fp_ieee_overflow 0
		.amdhsa_exception_fp_ieee_underflow 0
		.amdhsa_exception_fp_ieee_inexact 0
		.amdhsa_exception_int_div_zero 0
	.end_amdhsa_kernel
	.section	.text._ZN7rocprim17ROCPRIM_400000_NS6detail17trampoline_kernelINS0_14default_configENS1_25partition_config_selectorILNS1_17partition_subalgoE0EtNS0_10empty_typeEbEEZZNS1_14partition_implILS5_0ELb0ES3_jN6thrust23THRUST_200600_302600_NS6detail15normal_iteratorINSA_10device_ptrItEEEEPS6_SG_NS0_5tupleIJSF_NSA_16discard_iteratorINSA_11use_defaultEEEEEENSH_IJSG_SG_EEES6_PlJ7is_evenItEEEE10hipError_tPvRmT3_T4_T5_T6_T7_T9_mT8_P12ihipStream_tbDpT10_ENKUlT_T0_E_clISt17integral_constantIbLb1EES19_EEDaS14_S15_EUlS14_E_NS1_11comp_targetILNS1_3genE0ELNS1_11target_archE4294967295ELNS1_3gpuE0ELNS1_3repE0EEENS1_30default_config_static_selectorELNS0_4arch9wavefront6targetE1EEEvT1_,"axG",@progbits,_ZN7rocprim17ROCPRIM_400000_NS6detail17trampoline_kernelINS0_14default_configENS1_25partition_config_selectorILNS1_17partition_subalgoE0EtNS0_10empty_typeEbEEZZNS1_14partition_implILS5_0ELb0ES3_jN6thrust23THRUST_200600_302600_NS6detail15normal_iteratorINSA_10device_ptrItEEEEPS6_SG_NS0_5tupleIJSF_NSA_16discard_iteratorINSA_11use_defaultEEEEEENSH_IJSG_SG_EEES6_PlJ7is_evenItEEEE10hipError_tPvRmT3_T4_T5_T6_T7_T9_mT8_P12ihipStream_tbDpT10_ENKUlT_T0_E_clISt17integral_constantIbLb1EES19_EEDaS14_S15_EUlS14_E_NS1_11comp_targetILNS1_3genE0ELNS1_11target_archE4294967295ELNS1_3gpuE0ELNS1_3repE0EEENS1_30default_config_static_selectorELNS0_4arch9wavefront6targetE1EEEvT1_,comdat
.Lfunc_end2531:
	.size	_ZN7rocprim17ROCPRIM_400000_NS6detail17trampoline_kernelINS0_14default_configENS1_25partition_config_selectorILNS1_17partition_subalgoE0EtNS0_10empty_typeEbEEZZNS1_14partition_implILS5_0ELb0ES3_jN6thrust23THRUST_200600_302600_NS6detail15normal_iteratorINSA_10device_ptrItEEEEPS6_SG_NS0_5tupleIJSF_NSA_16discard_iteratorINSA_11use_defaultEEEEEENSH_IJSG_SG_EEES6_PlJ7is_evenItEEEE10hipError_tPvRmT3_T4_T5_T6_T7_T9_mT8_P12ihipStream_tbDpT10_ENKUlT_T0_E_clISt17integral_constantIbLb1EES19_EEDaS14_S15_EUlS14_E_NS1_11comp_targetILNS1_3genE0ELNS1_11target_archE4294967295ELNS1_3gpuE0ELNS1_3repE0EEENS1_30default_config_static_selectorELNS0_4arch9wavefront6targetE1EEEvT1_, .Lfunc_end2531-_ZN7rocprim17ROCPRIM_400000_NS6detail17trampoline_kernelINS0_14default_configENS1_25partition_config_selectorILNS1_17partition_subalgoE0EtNS0_10empty_typeEbEEZZNS1_14partition_implILS5_0ELb0ES3_jN6thrust23THRUST_200600_302600_NS6detail15normal_iteratorINSA_10device_ptrItEEEEPS6_SG_NS0_5tupleIJSF_NSA_16discard_iteratorINSA_11use_defaultEEEEEENSH_IJSG_SG_EEES6_PlJ7is_evenItEEEE10hipError_tPvRmT3_T4_T5_T6_T7_T9_mT8_P12ihipStream_tbDpT10_ENKUlT_T0_E_clISt17integral_constantIbLb1EES19_EEDaS14_S15_EUlS14_E_NS1_11comp_targetILNS1_3genE0ELNS1_11target_archE4294967295ELNS1_3gpuE0ELNS1_3repE0EEENS1_30default_config_static_selectorELNS0_4arch9wavefront6targetE1EEEvT1_
                                        ; -- End function
	.section	.AMDGPU.csdata,"",@progbits
; Kernel info:
; codeLenInByte = 0
; NumSgprs: 6
; NumVgprs: 0
; NumAgprs: 0
; TotalNumVgprs: 0
; ScratchSize: 0
; MemoryBound: 0
; FloatMode: 240
; IeeeMode: 1
; LDSByteSize: 0 bytes/workgroup (compile time only)
; SGPRBlocks: 0
; VGPRBlocks: 0
; NumSGPRsForWavesPerEU: 6
; NumVGPRsForWavesPerEU: 1
; AccumOffset: 4
; Occupancy: 8
; WaveLimiterHint : 0
; COMPUTE_PGM_RSRC2:SCRATCH_EN: 0
; COMPUTE_PGM_RSRC2:USER_SGPR: 2
; COMPUTE_PGM_RSRC2:TRAP_HANDLER: 0
; COMPUTE_PGM_RSRC2:TGID_X_EN: 1
; COMPUTE_PGM_RSRC2:TGID_Y_EN: 0
; COMPUTE_PGM_RSRC2:TGID_Z_EN: 0
; COMPUTE_PGM_RSRC2:TIDIG_COMP_CNT: 0
; COMPUTE_PGM_RSRC3_GFX90A:ACCUM_OFFSET: 0
; COMPUTE_PGM_RSRC3_GFX90A:TG_SPLIT: 0
	.section	.text._ZN7rocprim17ROCPRIM_400000_NS6detail17trampoline_kernelINS0_14default_configENS1_25partition_config_selectorILNS1_17partition_subalgoE0EtNS0_10empty_typeEbEEZZNS1_14partition_implILS5_0ELb0ES3_jN6thrust23THRUST_200600_302600_NS6detail15normal_iteratorINSA_10device_ptrItEEEEPS6_SG_NS0_5tupleIJSF_NSA_16discard_iteratorINSA_11use_defaultEEEEEENSH_IJSG_SG_EEES6_PlJ7is_evenItEEEE10hipError_tPvRmT3_T4_T5_T6_T7_T9_mT8_P12ihipStream_tbDpT10_ENKUlT_T0_E_clISt17integral_constantIbLb1EES19_EEDaS14_S15_EUlS14_E_NS1_11comp_targetILNS1_3genE5ELNS1_11target_archE942ELNS1_3gpuE9ELNS1_3repE0EEENS1_30default_config_static_selectorELNS0_4arch9wavefront6targetE1EEEvT1_,"axG",@progbits,_ZN7rocprim17ROCPRIM_400000_NS6detail17trampoline_kernelINS0_14default_configENS1_25partition_config_selectorILNS1_17partition_subalgoE0EtNS0_10empty_typeEbEEZZNS1_14partition_implILS5_0ELb0ES3_jN6thrust23THRUST_200600_302600_NS6detail15normal_iteratorINSA_10device_ptrItEEEEPS6_SG_NS0_5tupleIJSF_NSA_16discard_iteratorINSA_11use_defaultEEEEEENSH_IJSG_SG_EEES6_PlJ7is_evenItEEEE10hipError_tPvRmT3_T4_T5_T6_T7_T9_mT8_P12ihipStream_tbDpT10_ENKUlT_T0_E_clISt17integral_constantIbLb1EES19_EEDaS14_S15_EUlS14_E_NS1_11comp_targetILNS1_3genE5ELNS1_11target_archE942ELNS1_3gpuE9ELNS1_3repE0EEENS1_30default_config_static_selectorELNS0_4arch9wavefront6targetE1EEEvT1_,comdat
	.protected	_ZN7rocprim17ROCPRIM_400000_NS6detail17trampoline_kernelINS0_14default_configENS1_25partition_config_selectorILNS1_17partition_subalgoE0EtNS0_10empty_typeEbEEZZNS1_14partition_implILS5_0ELb0ES3_jN6thrust23THRUST_200600_302600_NS6detail15normal_iteratorINSA_10device_ptrItEEEEPS6_SG_NS0_5tupleIJSF_NSA_16discard_iteratorINSA_11use_defaultEEEEEENSH_IJSG_SG_EEES6_PlJ7is_evenItEEEE10hipError_tPvRmT3_T4_T5_T6_T7_T9_mT8_P12ihipStream_tbDpT10_ENKUlT_T0_E_clISt17integral_constantIbLb1EES19_EEDaS14_S15_EUlS14_E_NS1_11comp_targetILNS1_3genE5ELNS1_11target_archE942ELNS1_3gpuE9ELNS1_3repE0EEENS1_30default_config_static_selectorELNS0_4arch9wavefront6targetE1EEEvT1_ ; -- Begin function _ZN7rocprim17ROCPRIM_400000_NS6detail17trampoline_kernelINS0_14default_configENS1_25partition_config_selectorILNS1_17partition_subalgoE0EtNS0_10empty_typeEbEEZZNS1_14partition_implILS5_0ELb0ES3_jN6thrust23THRUST_200600_302600_NS6detail15normal_iteratorINSA_10device_ptrItEEEEPS6_SG_NS0_5tupleIJSF_NSA_16discard_iteratorINSA_11use_defaultEEEEEENSH_IJSG_SG_EEES6_PlJ7is_evenItEEEE10hipError_tPvRmT3_T4_T5_T6_T7_T9_mT8_P12ihipStream_tbDpT10_ENKUlT_T0_E_clISt17integral_constantIbLb1EES19_EEDaS14_S15_EUlS14_E_NS1_11comp_targetILNS1_3genE5ELNS1_11target_archE942ELNS1_3gpuE9ELNS1_3repE0EEENS1_30default_config_static_selectorELNS0_4arch9wavefront6targetE1EEEvT1_
	.globl	_ZN7rocprim17ROCPRIM_400000_NS6detail17trampoline_kernelINS0_14default_configENS1_25partition_config_selectorILNS1_17partition_subalgoE0EtNS0_10empty_typeEbEEZZNS1_14partition_implILS5_0ELb0ES3_jN6thrust23THRUST_200600_302600_NS6detail15normal_iteratorINSA_10device_ptrItEEEEPS6_SG_NS0_5tupleIJSF_NSA_16discard_iteratorINSA_11use_defaultEEEEEENSH_IJSG_SG_EEES6_PlJ7is_evenItEEEE10hipError_tPvRmT3_T4_T5_T6_T7_T9_mT8_P12ihipStream_tbDpT10_ENKUlT_T0_E_clISt17integral_constantIbLb1EES19_EEDaS14_S15_EUlS14_E_NS1_11comp_targetILNS1_3genE5ELNS1_11target_archE942ELNS1_3gpuE9ELNS1_3repE0EEENS1_30default_config_static_selectorELNS0_4arch9wavefront6targetE1EEEvT1_
	.p2align	8
	.type	_ZN7rocprim17ROCPRIM_400000_NS6detail17trampoline_kernelINS0_14default_configENS1_25partition_config_selectorILNS1_17partition_subalgoE0EtNS0_10empty_typeEbEEZZNS1_14partition_implILS5_0ELb0ES3_jN6thrust23THRUST_200600_302600_NS6detail15normal_iteratorINSA_10device_ptrItEEEEPS6_SG_NS0_5tupleIJSF_NSA_16discard_iteratorINSA_11use_defaultEEEEEENSH_IJSG_SG_EEES6_PlJ7is_evenItEEEE10hipError_tPvRmT3_T4_T5_T6_T7_T9_mT8_P12ihipStream_tbDpT10_ENKUlT_T0_E_clISt17integral_constantIbLb1EES19_EEDaS14_S15_EUlS14_E_NS1_11comp_targetILNS1_3genE5ELNS1_11target_archE942ELNS1_3gpuE9ELNS1_3repE0EEENS1_30default_config_static_selectorELNS0_4arch9wavefront6targetE1EEEvT1_,@function
_ZN7rocprim17ROCPRIM_400000_NS6detail17trampoline_kernelINS0_14default_configENS1_25partition_config_selectorILNS1_17partition_subalgoE0EtNS0_10empty_typeEbEEZZNS1_14partition_implILS5_0ELb0ES3_jN6thrust23THRUST_200600_302600_NS6detail15normal_iteratorINSA_10device_ptrItEEEEPS6_SG_NS0_5tupleIJSF_NSA_16discard_iteratorINSA_11use_defaultEEEEEENSH_IJSG_SG_EEES6_PlJ7is_evenItEEEE10hipError_tPvRmT3_T4_T5_T6_T7_T9_mT8_P12ihipStream_tbDpT10_ENKUlT_T0_E_clISt17integral_constantIbLb1EES19_EEDaS14_S15_EUlS14_E_NS1_11comp_targetILNS1_3genE5ELNS1_11target_archE942ELNS1_3gpuE9ELNS1_3repE0EEENS1_30default_config_static_selectorELNS0_4arch9wavefront6targetE1EEEvT1_: ; @_ZN7rocprim17ROCPRIM_400000_NS6detail17trampoline_kernelINS0_14default_configENS1_25partition_config_selectorILNS1_17partition_subalgoE0EtNS0_10empty_typeEbEEZZNS1_14partition_implILS5_0ELb0ES3_jN6thrust23THRUST_200600_302600_NS6detail15normal_iteratorINSA_10device_ptrItEEEEPS6_SG_NS0_5tupleIJSF_NSA_16discard_iteratorINSA_11use_defaultEEEEEENSH_IJSG_SG_EEES6_PlJ7is_evenItEEEE10hipError_tPvRmT3_T4_T5_T6_T7_T9_mT8_P12ihipStream_tbDpT10_ENKUlT_T0_E_clISt17integral_constantIbLb1EES19_EEDaS14_S15_EUlS14_E_NS1_11comp_targetILNS1_3genE5ELNS1_11target_archE942ELNS1_3gpuE9ELNS1_3repE0EEENS1_30default_config_static_selectorELNS0_4arch9wavefront6targetE1EEEvT1_
; %bb.0:
	s_load_dwordx2 s[2:3], s[0:1], 0x60
	s_load_dwordx4 s[24:27], s[0:1], 0x50
	s_load_dwordx2 s[30:31], s[0:1], 0x70
	v_cmp_eq_u32_e64 s[20:21], 0, v0
	s_and_saveexec_b64 s[4:5], s[20:21]
	s_cbranch_execz .LBB2532_4
; %bb.1:
	s_mov_b64 s[8:9], exec
	v_mbcnt_lo_u32_b32 v1, s8, 0
	v_mbcnt_hi_u32_b32 v1, s9, v1
	v_cmp_eq_u32_e32 vcc, 0, v1
                                        ; implicit-def: $vgpr2
	s_and_saveexec_b64 s[6:7], vcc
	s_cbranch_execz .LBB2532_3
; %bb.2:
	s_load_dwordx2 s[10:11], s[0:1], 0x80
	s_bcnt1_i32_b64 s8, s[8:9]
	v_mov_b32_e32 v2, 0
	v_mov_b32_e32 v3, s8
	s_waitcnt lgkmcnt(0)
	global_atomic_add v2, v2, v3, s[10:11] sc0
.LBB2532_3:
	s_or_b64 exec, exec, s[6:7]
	s_waitcnt vmcnt(0)
	v_readfirstlane_b32 s6, v2
	v_mov_b32_e32 v2, 0
	s_nop 0
	v_add_u32_e32 v1, s6, v1
	ds_write_b32 v2, v1
.LBB2532_4:
	s_or_b64 exec, exec, s[4:5]
	v_mov_b32_e32 v5, 0
	s_load_dwordx4 s[4:7], s[0:1], 0x8
	s_load_dwordx2 s[28:29], s[0:1], 0x28
	s_load_dword s8, s[0:1], 0x78
	s_waitcnt lgkmcnt(0)
	s_barrier
	ds_read_b32 v1, v5
	s_waitcnt lgkmcnt(0)
	s_barrier
	global_load_dwordx2 v[2:3], v5, s[26:27]
	s_lshl_b64 s[0:1], s[6:7], 1
	s_add_u32 s4, s4, s0
	s_movk_i32 s0, 0x3c00
	v_mul_lo_u32 v4, v1, s0
	s_mul_i32 s0, s8, 0x3c00
	s_addc_u32 s5, s5, s1
	s_add_i32 s1, s0, s6
	v_mov_b32_e32 v7, s3
	s_add_i32 s3, s8, -1
	s_sub_i32 s33, s2, s1
	s_add_u32 s0, s6, s0
	v_readfirstlane_b32 s36, v1
	s_addc_u32 s1, s7, 0
	s_cmp_eq_u32 s36, s3
	v_mov_b32_e32 v6, s2
	s_cselect_b64 s[22:23], -1, 0
	s_cmp_lg_u32 s36, s3
	v_cmp_lt_u64_e32 vcc, s[0:1], v[6:7]
	s_cselect_b64 s[0:1], -1, 0
	s_or_b64 s[0:1], vcc, s[0:1]
	v_lshlrev_b64 v[6:7], 1, v[4:5]
	v_lshl_add_u64 v[6:7], s[4:5], 0, v[6:7]
	s_mov_b64 s[2:3], -1
	s_and_b64 vcc, exec, s[0:1]
	v_lshlrev_b32_e32 v4, 1, v0
	s_cbranch_vccz .LBB2532_6
; %bb.5:
	v_lshl_add_u64 v[8:9], v[6:7], 0, v[4:5]
	v_add_co_u32_e32 v10, vcc, 0x1000, v8
	s_mov_b64 s[2:3], 0
	s_nop 0
	v_addc_co_u32_e32 v11, vcc, 0, v9, vcc
	flat_load_ushort v1, v[8:9]
	flat_load_ushort v5, v[8:9] offset:1024
	flat_load_ushort v14, v[8:9] offset:2048
	flat_load_ushort v15, v[8:9] offset:3072
	flat_load_ushort v16, v[10:11]
	flat_load_ushort v17, v[10:11] offset:1024
	flat_load_ushort v18, v[10:11] offset:2048
	flat_load_ushort v19, v[10:11] offset:3072
	v_add_co_u32_e32 v10, vcc, 0x2000, v8
	s_nop 1
	v_addc_co_u32_e32 v11, vcc, 0, v9, vcc
	v_add_co_u32_e32 v12, vcc, 0x3000, v8
	s_nop 1
	v_addc_co_u32_e32 v13, vcc, 0, v9, vcc
	flat_load_ushort v20, v[10:11]
	flat_load_ushort v21, v[10:11] offset:1024
	flat_load_ushort v22, v[10:11] offset:2048
	flat_load_ushort v23, v[10:11] offset:3072
	flat_load_ushort v24, v[12:13]
	flat_load_ushort v25, v[12:13] offset:1024
	flat_load_ushort v26, v[12:13] offset:2048
	flat_load_ushort v27, v[12:13] offset:3072
	v_add_co_u32_e32 v10, vcc, 0x4000, v8
	s_nop 1
	v_addc_co_u32_e32 v11, vcc, 0, v9, vcc
	v_add_co_u32_e32 v12, vcc, 0x5000, v8
	;; [unrolled: 14-line block ×3, first 2 shown]
	s_nop 1
	v_addc_co_u32_e32 v9, vcc, 0, v9, vcc
	flat_load_ushort v12, v[10:11]
	flat_load_ushort v13, v[10:11] offset:1024
	flat_load_ushort v36, v[10:11] offset:2048
	;; [unrolled: 1-line block ×3, first 2 shown]
	flat_load_ushort v38, v[8:9]
	flat_load_ushort v39, v[8:9] offset:1024
	s_waitcnt vmcnt(0) lgkmcnt(0)
	ds_write_b16 v4, v1
	ds_write_b16 v4, v5 offset:1024
	ds_write_b16 v4, v14 offset:2048
	;; [unrolled: 1-line block ×29, first 2 shown]
	s_waitcnt lgkmcnt(0)
	s_barrier
.LBB2532_6:
	s_andn2_b64 vcc, exec, s[2:3]
	s_addk_i32 s33, 0x3c00
	s_cbranch_vccnz .LBB2532_68
; %bb.7:
	v_cmp_gt_u32_e32 vcc, s33, v0
                                        ; implicit-def: $vgpr1
	s_and_saveexec_b64 s[2:3], vcc
	s_cbranch_execz .LBB2532_9
; %bb.8:
	v_mov_b32_e32 v5, 0
	v_lshl_add_u64 v[8:9], v[6:7], 0, v[4:5]
	flat_load_ushort v1, v[8:9]
.LBB2532_9:
	s_or_b64 exec, exec, s[2:3]
	v_or_b32_e32 v5, 0x200, v0
	v_cmp_gt_u32_e32 vcc, s33, v5
                                        ; implicit-def: $vgpr8
	s_and_saveexec_b64 s[2:3], vcc
	s_cbranch_execz .LBB2532_11
; %bb.10:
	v_mov_b32_e32 v5, 0
	v_lshl_add_u64 v[8:9], v[6:7], 0, v[4:5]
	flat_load_ushort v8, v[8:9] offset:1024
.LBB2532_11:
	s_or_b64 exec, exec, s[2:3]
	v_or_b32_e32 v5, 0x400, v0
	v_cmp_gt_u32_e32 vcc, s33, v5
                                        ; implicit-def: $vgpr9
	s_and_saveexec_b64 s[2:3], vcc
	s_cbranch_execz .LBB2532_13
; %bb.12:
	v_mov_b32_e32 v5, 0
	v_lshl_add_u64 v[10:11], v[6:7], 0, v[4:5]
	flat_load_ushort v9, v[10:11] offset:2048
.LBB2532_13:
	s_or_b64 exec, exec, s[2:3]
	v_or_b32_e32 v5, 0x600, v0
	v_cmp_gt_u32_e32 vcc, s33, v5
                                        ; implicit-def: $vgpr5
	s_and_saveexec_b64 s[2:3], vcc
	s_cbranch_execz .LBB2532_15
; %bb.14:
	v_mov_b32_e32 v5, 0
	v_lshl_add_u64 v[10:11], v[6:7], 0, v[4:5]
	flat_load_ushort v5, v[10:11] offset:3072
.LBB2532_15:
	s_or_b64 exec, exec, s[2:3]
	v_or_b32_e32 v11, 0x800, v0
	v_cmp_gt_u32_e32 vcc, s33, v11
                                        ; implicit-def: $vgpr10
	s_and_saveexec_b64 s[2:3], vcc
	s_cbranch_execz .LBB2532_17
; %bb.16:
	v_lshlrev_b32_e32 v10, 1, v11
	v_mov_b32_e32 v11, 0
	v_lshl_add_u64 v[10:11], v[6:7], 0, v[10:11]
	flat_load_ushort v10, v[10:11]
.LBB2532_17:
	s_or_b64 exec, exec, s[2:3]
	v_or_b32_e32 v12, 0xa00, v0
	v_cmp_gt_u32_e32 vcc, s33, v12
                                        ; implicit-def: $vgpr11
	s_and_saveexec_b64 s[2:3], vcc
	s_cbranch_execz .LBB2532_19
; %bb.18:
	v_lshlrev_b32_e32 v12, 1, v12
	v_mov_b32_e32 v13, 0
	v_lshl_add_u64 v[12:13], v[6:7], 0, v[12:13]
	flat_load_ushort v11, v[12:13]
.LBB2532_19:
	s_or_b64 exec, exec, s[2:3]
	v_or_b32_e32 v13, 0xc00, v0
	v_cmp_gt_u32_e32 vcc, s33, v13
                                        ; implicit-def: $vgpr12
	s_and_saveexec_b64 s[2:3], vcc
	s_cbranch_execz .LBB2532_21
; %bb.20:
	v_lshlrev_b32_e32 v12, 1, v13
	v_mov_b32_e32 v13, 0
	v_lshl_add_u64 v[12:13], v[6:7], 0, v[12:13]
	flat_load_ushort v12, v[12:13]
.LBB2532_21:
	s_or_b64 exec, exec, s[2:3]
	v_or_b32_e32 v14, 0xe00, v0
	v_cmp_gt_u32_e32 vcc, s33, v14
                                        ; implicit-def: $vgpr13
	s_and_saveexec_b64 s[2:3], vcc
	s_cbranch_execz .LBB2532_23
; %bb.22:
	v_lshlrev_b32_e32 v14, 1, v14
	v_mov_b32_e32 v15, 0
	v_lshl_add_u64 v[14:15], v[6:7], 0, v[14:15]
	flat_load_ushort v13, v[14:15]
.LBB2532_23:
	s_or_b64 exec, exec, s[2:3]
	v_or_b32_e32 v15, 0x1000, v0
	v_cmp_gt_u32_e32 vcc, s33, v15
                                        ; implicit-def: $vgpr14
	s_and_saveexec_b64 s[2:3], vcc
	s_cbranch_execz .LBB2532_25
; %bb.24:
	v_lshlrev_b32_e32 v14, 1, v15
	v_mov_b32_e32 v15, 0
	v_lshl_add_u64 v[14:15], v[6:7], 0, v[14:15]
	flat_load_ushort v14, v[14:15]
.LBB2532_25:
	s_or_b64 exec, exec, s[2:3]
	v_or_b32_e32 v16, 0x1200, v0
	v_cmp_gt_u32_e32 vcc, s33, v16
                                        ; implicit-def: $vgpr15
	s_and_saveexec_b64 s[2:3], vcc
	s_cbranch_execz .LBB2532_27
; %bb.26:
	v_lshlrev_b32_e32 v16, 1, v16
	v_mov_b32_e32 v17, 0
	v_lshl_add_u64 v[16:17], v[6:7], 0, v[16:17]
	flat_load_ushort v15, v[16:17]
.LBB2532_27:
	s_or_b64 exec, exec, s[2:3]
	v_or_b32_e32 v17, 0x1400, v0
	v_cmp_gt_u32_e32 vcc, s33, v17
                                        ; implicit-def: $vgpr16
	s_and_saveexec_b64 s[2:3], vcc
	s_cbranch_execz .LBB2532_29
; %bb.28:
	v_lshlrev_b32_e32 v16, 1, v17
	v_mov_b32_e32 v17, 0
	v_lshl_add_u64 v[16:17], v[6:7], 0, v[16:17]
	flat_load_ushort v16, v[16:17]
.LBB2532_29:
	s_or_b64 exec, exec, s[2:3]
	v_or_b32_e32 v18, 0x1600, v0
	v_cmp_gt_u32_e32 vcc, s33, v18
                                        ; implicit-def: $vgpr17
	s_and_saveexec_b64 s[2:3], vcc
	s_cbranch_execz .LBB2532_31
; %bb.30:
	v_lshlrev_b32_e32 v18, 1, v18
	v_mov_b32_e32 v19, 0
	v_lshl_add_u64 v[18:19], v[6:7], 0, v[18:19]
	flat_load_ushort v17, v[18:19]
.LBB2532_31:
	s_or_b64 exec, exec, s[2:3]
	v_or_b32_e32 v19, 0x1800, v0
	v_cmp_gt_u32_e32 vcc, s33, v19
                                        ; implicit-def: $vgpr18
	s_and_saveexec_b64 s[2:3], vcc
	s_cbranch_execz .LBB2532_33
; %bb.32:
	v_lshlrev_b32_e32 v18, 1, v19
	v_mov_b32_e32 v19, 0
	v_lshl_add_u64 v[18:19], v[6:7], 0, v[18:19]
	flat_load_ushort v18, v[18:19]
.LBB2532_33:
	s_or_b64 exec, exec, s[2:3]
	v_or_b32_e32 v20, 0x1a00, v0
	v_cmp_gt_u32_e32 vcc, s33, v20
                                        ; implicit-def: $vgpr19
	s_and_saveexec_b64 s[2:3], vcc
	s_cbranch_execz .LBB2532_35
; %bb.34:
	v_lshlrev_b32_e32 v20, 1, v20
	v_mov_b32_e32 v21, 0
	v_lshl_add_u64 v[20:21], v[6:7], 0, v[20:21]
	flat_load_ushort v19, v[20:21]
.LBB2532_35:
	s_or_b64 exec, exec, s[2:3]
	v_or_b32_e32 v21, 0x1c00, v0
	v_cmp_gt_u32_e32 vcc, s33, v21
                                        ; implicit-def: $vgpr20
	s_and_saveexec_b64 s[2:3], vcc
	s_cbranch_execz .LBB2532_37
; %bb.36:
	v_lshlrev_b32_e32 v20, 1, v21
	v_mov_b32_e32 v21, 0
	v_lshl_add_u64 v[20:21], v[6:7], 0, v[20:21]
	flat_load_ushort v20, v[20:21]
.LBB2532_37:
	s_or_b64 exec, exec, s[2:3]
	v_or_b32_e32 v22, 0x1e00, v0
	v_cmp_gt_u32_e32 vcc, s33, v22
                                        ; implicit-def: $vgpr21
	s_and_saveexec_b64 s[2:3], vcc
	s_cbranch_execz .LBB2532_39
; %bb.38:
	v_lshlrev_b32_e32 v22, 1, v22
	v_mov_b32_e32 v23, 0
	v_lshl_add_u64 v[22:23], v[6:7], 0, v[22:23]
	flat_load_ushort v21, v[22:23]
.LBB2532_39:
	s_or_b64 exec, exec, s[2:3]
	v_or_b32_e32 v23, 0x2000, v0
	v_cmp_gt_u32_e32 vcc, s33, v23
                                        ; implicit-def: $vgpr22
	s_and_saveexec_b64 s[2:3], vcc
	s_cbranch_execz .LBB2532_41
; %bb.40:
	v_lshlrev_b32_e32 v22, 1, v23
	v_mov_b32_e32 v23, 0
	v_lshl_add_u64 v[22:23], v[6:7], 0, v[22:23]
	flat_load_ushort v22, v[22:23]
.LBB2532_41:
	s_or_b64 exec, exec, s[2:3]
	v_or_b32_e32 v24, 0x2200, v0
	v_cmp_gt_u32_e32 vcc, s33, v24
                                        ; implicit-def: $vgpr23
	s_and_saveexec_b64 s[2:3], vcc
	s_cbranch_execz .LBB2532_43
; %bb.42:
	v_lshlrev_b32_e32 v24, 1, v24
	v_mov_b32_e32 v25, 0
	v_lshl_add_u64 v[24:25], v[6:7], 0, v[24:25]
	flat_load_ushort v23, v[24:25]
.LBB2532_43:
	s_or_b64 exec, exec, s[2:3]
	v_or_b32_e32 v25, 0x2400, v0
	v_cmp_gt_u32_e32 vcc, s33, v25
                                        ; implicit-def: $vgpr24
	s_and_saveexec_b64 s[2:3], vcc
	s_cbranch_execz .LBB2532_45
; %bb.44:
	v_lshlrev_b32_e32 v24, 1, v25
	v_mov_b32_e32 v25, 0
	v_lshl_add_u64 v[24:25], v[6:7], 0, v[24:25]
	flat_load_ushort v24, v[24:25]
.LBB2532_45:
	s_or_b64 exec, exec, s[2:3]
	v_or_b32_e32 v26, 0x2600, v0
	v_cmp_gt_u32_e32 vcc, s33, v26
                                        ; implicit-def: $vgpr25
	s_and_saveexec_b64 s[2:3], vcc
	s_cbranch_execz .LBB2532_47
; %bb.46:
	v_lshlrev_b32_e32 v26, 1, v26
	v_mov_b32_e32 v27, 0
	v_lshl_add_u64 v[26:27], v[6:7], 0, v[26:27]
	flat_load_ushort v25, v[26:27]
.LBB2532_47:
	s_or_b64 exec, exec, s[2:3]
	v_or_b32_e32 v27, 0x2800, v0
	v_cmp_gt_u32_e32 vcc, s33, v27
                                        ; implicit-def: $vgpr26
	s_and_saveexec_b64 s[2:3], vcc
	s_cbranch_execz .LBB2532_49
; %bb.48:
	v_lshlrev_b32_e32 v26, 1, v27
	v_mov_b32_e32 v27, 0
	v_lshl_add_u64 v[26:27], v[6:7], 0, v[26:27]
	flat_load_ushort v26, v[26:27]
.LBB2532_49:
	s_or_b64 exec, exec, s[2:3]
	v_or_b32_e32 v28, 0x2a00, v0
	v_cmp_gt_u32_e32 vcc, s33, v28
                                        ; implicit-def: $vgpr27
	s_and_saveexec_b64 s[2:3], vcc
	s_cbranch_execz .LBB2532_51
; %bb.50:
	v_lshlrev_b32_e32 v28, 1, v28
	v_mov_b32_e32 v29, 0
	v_lshl_add_u64 v[28:29], v[6:7], 0, v[28:29]
	flat_load_ushort v27, v[28:29]
.LBB2532_51:
	s_or_b64 exec, exec, s[2:3]
	v_or_b32_e32 v29, 0x2c00, v0
	v_cmp_gt_u32_e32 vcc, s33, v29
                                        ; implicit-def: $vgpr28
	s_and_saveexec_b64 s[2:3], vcc
	s_cbranch_execz .LBB2532_53
; %bb.52:
	v_lshlrev_b32_e32 v28, 1, v29
	v_mov_b32_e32 v29, 0
	v_lshl_add_u64 v[28:29], v[6:7], 0, v[28:29]
	flat_load_ushort v28, v[28:29]
.LBB2532_53:
	s_or_b64 exec, exec, s[2:3]
	v_or_b32_e32 v30, 0x2e00, v0
	v_cmp_gt_u32_e32 vcc, s33, v30
                                        ; implicit-def: $vgpr29
	s_and_saveexec_b64 s[2:3], vcc
	s_cbranch_execz .LBB2532_55
; %bb.54:
	v_lshlrev_b32_e32 v30, 1, v30
	v_mov_b32_e32 v31, 0
	v_lshl_add_u64 v[30:31], v[6:7], 0, v[30:31]
	flat_load_ushort v29, v[30:31]
.LBB2532_55:
	s_or_b64 exec, exec, s[2:3]
	v_or_b32_e32 v31, 0x3000, v0
	v_cmp_gt_u32_e32 vcc, s33, v31
                                        ; implicit-def: $vgpr30
	s_and_saveexec_b64 s[2:3], vcc
	s_cbranch_execz .LBB2532_57
; %bb.56:
	v_lshlrev_b32_e32 v30, 1, v31
	v_mov_b32_e32 v31, 0
	v_lshl_add_u64 v[30:31], v[6:7], 0, v[30:31]
	flat_load_ushort v30, v[30:31]
.LBB2532_57:
	s_or_b64 exec, exec, s[2:3]
	v_or_b32_e32 v32, 0x3200, v0
	v_cmp_gt_u32_e32 vcc, s33, v32
                                        ; implicit-def: $vgpr31
	s_and_saveexec_b64 s[2:3], vcc
	s_cbranch_execz .LBB2532_59
; %bb.58:
	v_lshlrev_b32_e32 v32, 1, v32
	v_mov_b32_e32 v33, 0
	v_lshl_add_u64 v[32:33], v[6:7], 0, v[32:33]
	flat_load_ushort v31, v[32:33]
.LBB2532_59:
	s_or_b64 exec, exec, s[2:3]
	v_or_b32_e32 v33, 0x3400, v0
	v_cmp_gt_u32_e32 vcc, s33, v33
                                        ; implicit-def: $vgpr32
	s_and_saveexec_b64 s[2:3], vcc
	s_cbranch_execz .LBB2532_61
; %bb.60:
	v_lshlrev_b32_e32 v32, 1, v33
	v_mov_b32_e32 v33, 0
	v_lshl_add_u64 v[32:33], v[6:7], 0, v[32:33]
	flat_load_ushort v32, v[32:33]
.LBB2532_61:
	s_or_b64 exec, exec, s[2:3]
	v_or_b32_e32 v34, 0x3600, v0
	v_cmp_gt_u32_e32 vcc, s33, v34
                                        ; implicit-def: $vgpr33
	s_and_saveexec_b64 s[2:3], vcc
	s_cbranch_execz .LBB2532_63
; %bb.62:
	v_lshlrev_b32_e32 v34, 1, v34
	v_mov_b32_e32 v35, 0
	v_lshl_add_u64 v[34:35], v[6:7], 0, v[34:35]
	flat_load_ushort v33, v[34:35]
.LBB2532_63:
	s_or_b64 exec, exec, s[2:3]
	v_or_b32_e32 v35, 0x3800, v0
	v_cmp_gt_u32_e32 vcc, s33, v35
                                        ; implicit-def: $vgpr34
	s_and_saveexec_b64 s[2:3], vcc
	s_cbranch_execz .LBB2532_65
; %bb.64:
	v_lshlrev_b32_e32 v34, 1, v35
	v_mov_b32_e32 v35, 0
	v_lshl_add_u64 v[34:35], v[6:7], 0, v[34:35]
	flat_load_ushort v34, v[34:35]
.LBB2532_65:
	s_or_b64 exec, exec, s[2:3]
	v_or_b32_e32 v36, 0x3a00, v0
	v_cmp_gt_u32_e32 vcc, s33, v36
                                        ; implicit-def: $vgpr35
	s_and_saveexec_b64 s[2:3], vcc
	s_cbranch_execz .LBB2532_67
; %bb.66:
	v_lshlrev_b32_e32 v36, 1, v36
	v_mov_b32_e32 v37, 0
	v_lshl_add_u64 v[6:7], v[6:7], 0, v[36:37]
	flat_load_ushort v35, v[6:7]
.LBB2532_67:
	s_or_b64 exec, exec, s[2:3]
	s_waitcnt vmcnt(0) lgkmcnt(0)
	ds_write_b16 v4, v1
	ds_write_b16 v4, v8 offset:1024
	ds_write_b16 v4, v9 offset:2048
	;; [unrolled: 1-line block ×29, first 2 shown]
	s_waitcnt lgkmcnt(0)
	s_barrier
.LBB2532_68:
	v_mul_u32_u24_e32 v42, 30, v0
	v_lshlrev_b32_e32 v6, 1, v42
	ds_read_b32 v5, v6 offset:56
	ds_read2_b32 v[10:11], v6 offset0:12 offset1:13
	ds_read2_b32 v[12:13], v6 offset0:10 offset1:11
	;; [unrolled: 1-line block ×3, first 2 shown]
	ds_read2_b32 v[22:23], v6 offset1:1
	ds_read2_b32 v[20:21], v6 offset0:2 offset1:3
	ds_read2_b32 v[18:19], v6 offset0:4 offset1:5
	;; [unrolled: 1-line block ×3, first 2 shown]
	s_waitcnt lgkmcnt(7)
	v_lshrrev_b32_e32 v1, 16, v5
	s_waitcnt lgkmcnt(6)
	v_lshrrev_b32_e32 v31, 16, v10
	v_lshrrev_b32_e32 v30, 16, v11
	s_waitcnt lgkmcnt(5)
	v_lshrrev_b32_e32 v33, 16, v12
	;; [unrolled: 3-line block ×6, first 2 shown]
	v_lshrrev_b32_e32 v36, 16, v17
	v_lshrrev_b32_e32 v35, 16, v14
	;; [unrolled: 1-line block ×3, first 2 shown]
	v_cndmask_b32_e64 v6, 0, 1, s[0:1]
	v_cmp_ne_u32_e64 s[2:3], 1, v6
	s_andn2_b64 vcc, exec, s[0:1]
	v_xor_b32_e32 v94, -1, v22
	v_xor_b32_e32 v93, -1, v44
	;; [unrolled: 1-line block ×30, first 2 shown]
	s_barrier
	s_cbranch_vccnz .LBB2532_70
; %bb.69:
	v_and_b32_e32 v74, 1, v94
	v_and_b32_e32 v73, 1, v93
	;; [unrolled: 1-line block ×30, first 2 shown]
	s_cbranch_execz .LBB2532_71
	s_branch .LBB2532_72
.LBB2532_70:
                                        ; implicit-def: $vgpr74
                                        ; implicit-def: $vgpr73
                                        ; implicit-def: $vgpr72
                                        ; implicit-def: $vgpr71
                                        ; implicit-def: $vgpr70
                                        ; implicit-def: $vgpr69
                                        ; implicit-def: $vgpr68
                                        ; implicit-def: $vgpr67
                                        ; implicit-def: $vgpr66
                                        ; implicit-def: $vgpr65
                                        ; implicit-def: $vgpr64
                                        ; implicit-def: $vgpr63
                                        ; implicit-def: $vgpr62
                                        ; implicit-def: $vgpr61
                                        ; implicit-def: $vgpr60
                                        ; implicit-def: $vgpr59
                                        ; implicit-def: $vgpr58
                                        ; implicit-def: $vgpr57
                                        ; implicit-def: $vgpr56
                                        ; implicit-def: $vgpr55
                                        ; implicit-def: $vgpr54
                                        ; implicit-def: $vgpr53
                                        ; implicit-def: $vgpr52
                                        ; implicit-def: $vgpr51
                                        ; implicit-def: $vgpr50
                                        ; implicit-def: $vgpr49
                                        ; implicit-def: $vgpr48
                                        ; implicit-def: $vgpr47
                                        ; implicit-def: $vgpr45
                                        ; implicit-def: $vgpr46
.LBB2532_71:
	v_or_b32_e32 v54, 1, v42
	v_cmp_gt_u32_e32 vcc, s33, v42
	v_add_u32_e32 v55, 2, v42
	v_add_u32_e32 v56, 3, v42
	v_cndmask_b32_e64 v64, 0, 1, vcc
	v_cmp_gt_u32_e32 vcc, s33, v54
	v_add_u32_e32 v57, 4, v42
	v_add_u32_e32 v58, 5, v42
	v_cndmask_b32_e64 v54, 0, 1, vcc
	v_cmp_gt_u32_e32 vcc, s33, v55
	v_and_b32_e32 v73, v54, v93
	v_add_u32_e32 v59, 6, v42
	v_cndmask_b32_e64 v54, 0, 1, vcc
	v_cmp_gt_u32_e32 vcc, s33, v56
	v_and_b32_e32 v72, v54, v92
	;; [unrolled: 4-line block ×9, first 2 shown]
	v_and_b32_e32 v74, v64, v94
	v_cndmask_b32_e64 v54, 0, 1, vcc
	v_cmp_gt_u32_e32 vcc, s33, v95
	v_and_b32_e32 v64, v54, v84
	v_add_u32_e32 v98, 14, v42
	v_cndmask_b32_e64 v54, 0, 1, vcc
	v_cmp_gt_u32_e32 vcc, s33, v96
	v_and_b32_e32 v63, v54, v83
	v_add_u32_e32 v99, 15, v42
	;; [unrolled: 4-line block ×16, first 2 shown]
	v_cndmask_b32_e64 v24, 0, 1, vcc
	v_cmp_gt_u32_e32 vcc, s33, v47
	v_and_b32_e32 v48, v24, v9
	s_nop 0
	v_cndmask_b32_e64 v9, 0, 1, vcc
	v_cmp_gt_u32_e32 vcc, s33, v45
	v_and_b32_e32 v47, v9, v8
	s_nop 0
	;; [unrolled: 4-line block ×3, first 2 shown]
	v_cndmask_b32_e64 v7, 0, 1, vcc
	v_and_b32_e32 v46, v7, v6
.LBB2532_72:
	v_and_b32_e32 v101, 0xff, v48
	v_and_b32_e32 v102, 0xff, v47
	v_add_u32_sdwa v6, v45, v46 dst_sel:DWORD dst_unused:UNUSED_PAD src0_sel:BYTE_0 src1_sel:BYTE_0
	v_and_b32_e32 v99, 0xff, v50
	v_and_b32_e32 v100, 0xff, v49
	v_add3_u32 v6, v6, v102, v101
	v_and_b32_e32 v97, 0xff, v52
	v_and_b32_e32 v98, 0xff, v51
	v_add3_u32 v6, v6, v100, v99
	;; [unrolled: 3-line block ×13, first 2 shown]
	v_add3_u32 v105, v6, v76, v75
	v_mbcnt_lo_u32_b32 v6, -1, 0
	v_mbcnt_hi_u32_b32 v103, -1, v6
	v_and_b32_e32 v6, 15, v103
	v_cmp_eq_u32_e64 s[16:17], 0, v6
	v_cmp_lt_u32_e64 s[14:15], 1, v6
	v_cmp_lt_u32_e64 s[12:13], 3, v6
	;; [unrolled: 1-line block ×3, first 2 shown]
	v_and_b32_e32 v6, 16, v103
	v_cmp_eq_u32_e64 s[8:9], 0, v6
	v_or_b32_e32 v6, 63, v0
	s_cmp_lg_u32 s36, 0
	v_cmp_lt_u32_e64 s[4:5], 31, v103
	v_lshrrev_b32_e32 v104, 6, v0
	v_cmp_eq_u32_e64 s[6:7], v6, v0
	s_cbranch_scc0 .LBB2532_103
; %bb.73:
	v_mov_b32_dpp v6, v105 row_shr:1 row_mask:0xf bank_mask:0xf
	v_cndmask_b32_e64 v6, v6, 0, s[16:17]
	v_add_u32_e32 v6, v6, v105
	s_nop 1
	v_mov_b32_dpp v7, v6 row_shr:2 row_mask:0xf bank_mask:0xf
	v_cndmask_b32_e64 v7, 0, v7, s[14:15]
	v_add_u32_e32 v6, v6, v7
	s_nop 1
	;; [unrolled: 4-line block ×4, first 2 shown]
	v_mov_b32_dpp v7, v6 row_bcast:15 row_mask:0xf bank_mask:0xf
	v_cndmask_b32_e64 v7, v7, 0, s[8:9]
	v_add_u32_e32 v6, v6, v7
	s_nop 1
	v_mov_b32_dpp v7, v6 row_bcast:31 row_mask:0xf bank_mask:0xf
	v_cndmask_b32_e64 v7, 0, v7, s[4:5]
	v_add_u32_e32 v6, v6, v7
	s_and_saveexec_b64 s[0:1], s[6:7]
	s_cbranch_execz .LBB2532_75
; %bb.74:
	v_lshlrev_b32_e32 v7, 2, v104
	ds_write_b32 v7, v6
.LBB2532_75:
	s_or_b64 exec, exec, s[0:1]
	v_cmp_gt_u32_e32 vcc, 8, v0
	s_waitcnt lgkmcnt(0)
	s_barrier
	s_and_saveexec_b64 s[0:1], vcc
	s_cbranch_execz .LBB2532_77
; %bb.76:
	v_lshlrev_b32_e32 v7, 2, v0
	ds_read_b32 v8, v7
	v_and_b32_e32 v9, 7, v103
	v_cmp_ne_u32_e32 vcc, 0, v9
	s_waitcnt lgkmcnt(0)
	v_mov_b32_dpp v24, v8 row_shr:1 row_mask:0xf bank_mask:0xf
	v_cndmask_b32_e32 v24, 0, v24, vcc
	v_add_u32_e32 v8, v24, v8
	v_cmp_lt_u32_e32 vcc, 1, v9
	s_nop 0
	v_mov_b32_dpp v24, v8 row_shr:2 row_mask:0xf bank_mask:0xf
	v_cndmask_b32_e32 v24, 0, v24, vcc
	v_add_u32_e32 v8, v8, v24
	v_cmp_lt_u32_e32 vcc, 3, v9
	s_nop 0
	v_mov_b32_dpp v24, v8 row_shr:4 row_mask:0xf bank_mask:0xf
	v_cndmask_b32_e32 v9, 0, v24, vcc
	v_add_u32_e32 v8, v8, v9
	ds_write_b32 v7, v8
.LBB2532_77:
	s_or_b64 exec, exec, s[0:1]
	v_cmp_gt_u32_e32 vcc, 64, v0
	v_cmp_lt_u32_e64 s[0:1], 63, v0
	s_waitcnt lgkmcnt(0)
	s_barrier
	s_waitcnt lgkmcnt(0)
                                        ; implicit-def: $vgpr106
	s_and_saveexec_b64 s[18:19], s[0:1]
	s_cbranch_execz .LBB2532_79
; %bb.78:
	v_lshl_add_u32 v7, v104, 2, -4
	ds_read_b32 v106, v7
	s_waitcnt lgkmcnt(0)
	v_add_u32_e32 v6, v106, v6
.LBB2532_79:
	s_or_b64 exec, exec, s[18:19]
	v_add_u32_e32 v7, -1, v103
	v_and_b32_e32 v8, 64, v103
	v_cmp_lt_i32_e64 s[0:1], v7, v8
	v_cmp_eq_u32_e64 s[18:19], 0, v103
	s_nop 0
	v_cndmask_b32_e64 v7, v7, v103, s[0:1]
	v_lshlrev_b32_e32 v7, 2, v7
	ds_bpermute_b32 v107, v7, v6
	s_and_saveexec_b64 s[0:1], vcc
	s_cbranch_execz .LBB2532_102
; %bb.80:
	v_mov_b32_e32 v29, 0
	ds_read_b32 v6, v29 offset:28
	s_and_saveexec_b64 s[26:27], s[18:19]
	s_cbranch_execz .LBB2532_82
; %bb.81:
	s_add_i32 s34, s36, 64
	s_mov_b32 s35, 0
	s_lshl_b64 s[34:35], s[34:35], 3
	s_add_u32 s34, s30, s34
	v_mov_b32_e32 v7, 1
	s_addc_u32 s35, s31, s35
	s_waitcnt lgkmcnt(0)
	global_store_dwordx2 v29, v[6:7], s[34:35] sc1
.LBB2532_82:
	s_or_b64 exec, exec, s[26:27]
	v_xad_u32 v8, v103, -1, s36
	v_add_u32_e32 v28, 64, v8
	v_lshl_add_u64 v[24:25], v[28:29], 3, s[30:31]
	global_load_dwordx2 v[26:27], v[24:25], off sc1
	s_waitcnt vmcnt(0)
	v_cmp_eq_u16_sdwa s[34:35], v27, v29 src0_sel:BYTE_0 src1_sel:DWORD
	s_and_saveexec_b64 s[26:27], s[34:35]
	s_cbranch_execz .LBB2532_88
; %bb.83:
	s_mov_b32 s37, 1
	s_mov_b64 s[34:35], 0
	v_mov_b32_e32 v7, 0
.LBB2532_84:                            ; =>This Loop Header: Depth=1
                                        ;     Child Loop BB2532_85 Depth 2
	s_max_u32 s38, s37, 1
.LBB2532_85:                            ;   Parent Loop BB2532_84 Depth=1
                                        ; =>  This Inner Loop Header: Depth=2
	s_add_i32 s38, s38, -1
	s_cmp_eq_u32 s38, 0
	s_sleep 1
	s_cbranch_scc0 .LBB2532_85
; %bb.86:                               ;   in Loop: Header=BB2532_84 Depth=1
	global_load_dwordx2 v[26:27], v[24:25], off sc1
	s_cmp_lt_u32 s37, 32
	s_cselect_b64 s[38:39], -1, 0
	s_cmp_lg_u64 s[38:39], 0
	s_addc_u32 s37, s37, 0
	s_waitcnt vmcnt(0)
	v_cmp_ne_u16_sdwa s[38:39], v27, v7 src0_sel:BYTE_0 src1_sel:DWORD
	s_or_b64 s[34:35], s[38:39], s[34:35]
	s_andn2_b64 exec, exec, s[34:35]
	s_cbranch_execnz .LBB2532_84
; %bb.87:
	s_or_b64 exec, exec, s[34:35]
.LBB2532_88:
	s_or_b64 exec, exec, s[26:27]
	v_and_b32_e32 v109, 63, v103
	v_mov_b32_e32 v108, 2
	v_cmp_ne_u32_e32 vcc, 63, v109
	v_cmp_eq_u16_sdwa s[26:27], v27, v108 src0_sel:BYTE_0 src1_sel:DWORD
	v_lshlrev_b64 v[24:25], v103, -1
	v_addc_co_u32_e32 v28, vcc, 0, v103, vcc
	v_and_b32_e32 v7, s27, v25
	v_lshlrev_b32_e32 v110, 2, v28
	v_or_b32_e32 v7, 0x80000000, v7
	ds_bpermute_b32 v28, v110, v26
	v_and_b32_e32 v9, s26, v24
	v_ffbl_b32_e32 v7, v7
	v_add_u32_e32 v7, 32, v7
	v_ffbl_b32_e32 v9, v9
	v_min_u32_e32 v7, v9, v7
	v_cmp_lt_u32_e32 vcc, v109, v7
	v_add_u32_e32 v112, 2, v109
	v_add_u32_e32 v114, 4, v109
	s_waitcnt lgkmcnt(0)
	v_cndmask_b32_e32 v9, 0, v28, vcc
	v_cmp_gt_u32_e32 vcc, 62, v109
	v_add_u32_e32 v9, v9, v26
	v_add_u32_e32 v116, 8, v109
	v_cndmask_b32_e64 v26, 0, 1, vcc
	v_lshlrev_b32_e32 v26, 1, v26
	v_add_lshl_u32 v111, v26, v103, 2
	ds_bpermute_b32 v26, v111, v9
	v_cmp_le_u32_e32 vcc, v112, v7
	v_add_u32_e32 v118, 16, v109
	v_add_u32_e32 v120, 32, v109
	s_waitcnt lgkmcnt(0)
	v_cndmask_b32_e32 v26, 0, v26, vcc
	v_cmp_gt_u32_e32 vcc, 60, v109
	v_add_u32_e32 v9, v9, v26
	s_nop 0
	v_cndmask_b32_e64 v26, 0, 1, vcc
	v_lshlrev_b32_e32 v26, 2, v26
	v_add_lshl_u32 v113, v26, v103, 2
	ds_bpermute_b32 v26, v113, v9
	v_cmp_le_u32_e32 vcc, v114, v7
	s_waitcnt lgkmcnt(0)
	s_nop 0
	v_cndmask_b32_e32 v26, 0, v26, vcc
	v_cmp_gt_u32_e32 vcc, 56, v109
	v_add_u32_e32 v9, v9, v26
	s_nop 0
	v_cndmask_b32_e64 v26, 0, 1, vcc
	v_lshlrev_b32_e32 v26, 3, v26
	v_add_lshl_u32 v115, v26, v103, 2
	ds_bpermute_b32 v26, v115, v9
	v_cmp_le_u32_e32 vcc, v116, v7
	s_waitcnt lgkmcnt(0)
	s_nop 0
	v_cndmask_b32_e32 v26, 0, v26, vcc
	v_cmp_gt_u32_e32 vcc, 48, v109
	v_add_u32_e32 v9, v9, v26
	s_nop 0
	v_cndmask_b32_e64 v26, 0, 1, vcc
	v_lshlrev_b32_e32 v26, 4, v26
	v_add_lshl_u32 v117, v26, v103, 2
	ds_bpermute_b32 v26, v117, v9
	v_cmp_le_u32_e32 vcc, v118, v7
	s_waitcnt lgkmcnt(0)
	s_nop 0
	v_cndmask_b32_e32 v26, 0, v26, vcc
	v_cmp_gt_u32_e32 vcc, 32, v109
	v_add_u32_e32 v9, v9, v26
	s_nop 0
	v_cndmask_b32_e64 v26, 0, 1, vcc
	v_lshlrev_b32_e32 v26, 5, v26
	v_add_lshl_u32 v119, v26, v103, 2
	ds_bpermute_b32 v26, v119, v9
	v_cmp_le_u32_e32 vcc, v120, v7
	s_waitcnt lgkmcnt(0)
	s_nop 0
	v_cndmask_b32_e32 v7, 0, v26, vcc
	v_add_u32_e32 v26, v9, v7
	v_mov_b32_e32 v9, 0
	s_branch .LBB2532_90
.LBB2532_89:                            ;   in Loop: Header=BB2532_90 Depth=1
	s_or_b64 exec, exec, s[26:27]
	v_cmp_eq_u16_sdwa s[26:27], v27, v108 src0_sel:BYTE_0 src1_sel:DWORD
	ds_bpermute_b32 v121, v110, v26
	v_subrev_u32_e32 v8, 64, v8
	v_and_b32_e32 v28, s27, v25
	v_or_b32_e32 v28, 0x80000000, v28
	v_and_b32_e32 v29, s26, v24
	v_ffbl_b32_e32 v28, v28
	v_add_u32_e32 v28, 32, v28
	v_ffbl_b32_e32 v29, v29
	v_min_u32_e32 v28, v29, v28
	v_cmp_lt_u32_e32 vcc, v109, v28
	s_waitcnt lgkmcnt(0)
	s_nop 0
	v_cndmask_b32_e32 v29, 0, v121, vcc
	v_add_u32_e32 v26, v29, v26
	ds_bpermute_b32 v29, v111, v26
	v_cmp_le_u32_e32 vcc, v112, v28
	s_waitcnt lgkmcnt(0)
	s_nop 0
	v_cndmask_b32_e32 v29, 0, v29, vcc
	v_add_u32_e32 v26, v26, v29
	ds_bpermute_b32 v29, v113, v26
	v_cmp_le_u32_e32 vcc, v114, v28
	;; [unrolled: 6-line block ×5, first 2 shown]
	s_waitcnt lgkmcnt(0)
	s_nop 0
	v_cndmask_b32_e32 v28, 0, v29, vcc
	v_add3_u32 v26, v28, v7, v26
.LBB2532_90:                            ; =>This Loop Header: Depth=1
                                        ;     Child Loop BB2532_93 Depth 2
                                        ;       Child Loop BB2532_94 Depth 3
	v_cmp_ne_u16_sdwa s[26:27], v27, v108 src0_sel:BYTE_0 src1_sel:DWORD
	s_nop 1
	v_cndmask_b32_e64 v7, 0, 1, s[26:27]
	;;#ASMSTART
	;;#ASMEND
	s_nop 0
	v_cmp_ne_u32_e32 vcc, 0, v7
	s_cmp_lg_u64 vcc, exec
	v_mov_b32_e32 v7, v26
	s_cbranch_scc1 .LBB2532_97
; %bb.91:                               ;   in Loop: Header=BB2532_90 Depth=1
	v_lshl_add_u64 v[28:29], v[8:9], 3, s[30:31]
	global_load_dwordx2 v[26:27], v[28:29], off sc1
	s_waitcnt vmcnt(0)
	v_cmp_eq_u16_sdwa s[34:35], v27, v9 src0_sel:BYTE_0 src1_sel:DWORD
	s_and_saveexec_b64 s[26:27], s[34:35]
	s_cbranch_execz .LBB2532_89
; %bb.92:                               ;   in Loop: Header=BB2532_90 Depth=1
	s_mov_b32 s37, 1
	s_mov_b64 s[34:35], 0
.LBB2532_93:                            ;   Parent Loop BB2532_90 Depth=1
                                        ; =>  This Loop Header: Depth=2
                                        ;       Child Loop BB2532_94 Depth 3
	s_max_u32 s38, s37, 1
.LBB2532_94:                            ;   Parent Loop BB2532_90 Depth=1
                                        ;     Parent Loop BB2532_93 Depth=2
                                        ; =>    This Inner Loop Header: Depth=3
	s_add_i32 s38, s38, -1
	s_cmp_eq_u32 s38, 0
	s_sleep 1
	s_cbranch_scc0 .LBB2532_94
; %bb.95:                               ;   in Loop: Header=BB2532_93 Depth=2
	global_load_dwordx2 v[26:27], v[28:29], off sc1
	s_cmp_lt_u32 s37, 32
	s_cselect_b64 s[38:39], -1, 0
	s_cmp_lg_u64 s[38:39], 0
	s_addc_u32 s37, s37, 0
	s_waitcnt vmcnt(0)
	v_cmp_ne_u16_sdwa s[38:39], v27, v9 src0_sel:BYTE_0 src1_sel:DWORD
	s_or_b64 s[34:35], s[38:39], s[34:35]
	s_andn2_b64 exec, exec, s[34:35]
	s_cbranch_execnz .LBB2532_93
; %bb.96:                               ;   in Loop: Header=BB2532_90 Depth=1
	s_or_b64 exec, exec, s[34:35]
	s_branch .LBB2532_89
.LBB2532_97:                            ;   in Loop: Header=BB2532_90 Depth=1
                                        ; implicit-def: $vgpr26
                                        ; implicit-def: $vgpr27
	s_cbranch_execz .LBB2532_90
; %bb.98:
	s_and_saveexec_b64 s[26:27], s[18:19]
	s_cbranch_execz .LBB2532_100
; %bb.99:
	s_add_i32 s34, s36, 64
	s_mov_b32 s35, 0
	s_lshl_b64 s[34:35], s[34:35], 3
	s_add_u32 s34, s30, s34
	v_add_u32_e32 v8, v7, v6
	v_mov_b32_e32 v9, 2
	s_addc_u32 s35, s31, s35
	v_mov_b32_e32 v24, 0
	global_store_dwordx2 v24, v[8:9], s[34:35] sc1
	ds_write_b64 v24, v[6:7] offset:30720
.LBB2532_100:
	s_or_b64 exec, exec, s[26:27]
	s_and_b64 exec, exec, s[20:21]
	s_cbranch_execz .LBB2532_102
; %bb.101:
	v_mov_b32_e32 v6, 0
	ds_write_b32 v6, v7 offset:28
.LBB2532_102:
	s_or_b64 exec, exec, s[0:1]
	v_mov_b32_e32 v6, 0
	s_waitcnt lgkmcnt(0)
	s_barrier
	ds_read_b32 v8, v6 offset:28
	s_waitcnt lgkmcnt(0)
	s_barrier
	ds_read_b64 v[6:7], v6 offset:30720
	v_cndmask_b32_e64 v9, v107, v106, s[18:19]
	v_cndmask_b32_e64 v9, v9, 0, s[20:21]
	v_add_u32_e32 v9, v8, v9
	s_waitcnt lgkmcnt(0)
	v_mov_b32_e32 v8, v7
	s_branch .LBB2532_113
.LBB2532_103:
                                        ; implicit-def: $vgpr8
                                        ; implicit-def: $vgpr6
                                        ; implicit-def: $vgpr9
	s_cbranch_execz .LBB2532_113
; %bb.104:
	s_nop 0
	v_mov_b32_dpp v6, v105 row_shr:1 row_mask:0xf bank_mask:0xf
	v_cndmask_b32_e64 v6, v6, 0, s[16:17]
	v_add_u32_e32 v6, v6, v105
	s_nop 1
	v_mov_b32_dpp v7, v6 row_shr:2 row_mask:0xf bank_mask:0xf
	v_cndmask_b32_e64 v7, 0, v7, s[14:15]
	v_add_u32_e32 v6, v6, v7
	;; [unrolled: 4-line block ×4, first 2 shown]
	s_nop 1
	v_mov_b32_dpp v7, v6 row_bcast:15 row_mask:0xf bank_mask:0xf
	v_cndmask_b32_e64 v7, v7, 0, s[8:9]
	v_add_u32_e32 v6, v6, v7
	s_nop 1
	v_mov_b32_dpp v7, v6 row_bcast:31 row_mask:0xf bank_mask:0xf
	v_cndmask_b32_e64 v7, 0, v7, s[4:5]
	v_add_u32_e32 v6, v6, v7
	s_and_saveexec_b64 s[0:1], s[6:7]
	s_cbranch_execz .LBB2532_106
; %bb.105:
	v_lshlrev_b32_e32 v7, 2, v104
	ds_write_b32 v7, v6
.LBB2532_106:
	s_or_b64 exec, exec, s[0:1]
	v_cmp_gt_u32_e32 vcc, 8, v0
	s_waitcnt lgkmcnt(0)
	s_barrier
	s_and_saveexec_b64 s[0:1], vcc
	s_cbranch_execz .LBB2532_108
; %bb.107:
	v_lshlrev_b32_e32 v7, 2, v0
	ds_read_b32 v8, v7
	v_and_b32_e32 v9, 7, v103
	v_cmp_ne_u32_e32 vcc, 0, v9
	s_waitcnt lgkmcnt(0)
	v_mov_b32_dpp v24, v8 row_shr:1 row_mask:0xf bank_mask:0xf
	v_cndmask_b32_e32 v24, 0, v24, vcc
	v_add_u32_e32 v8, v24, v8
	v_cmp_lt_u32_e32 vcc, 1, v9
	s_nop 0
	v_mov_b32_dpp v24, v8 row_shr:2 row_mask:0xf bank_mask:0xf
	v_cndmask_b32_e32 v24, 0, v24, vcc
	v_add_u32_e32 v8, v8, v24
	v_cmp_lt_u32_e32 vcc, 3, v9
	s_nop 0
	v_mov_b32_dpp v24, v8 row_shr:4 row_mask:0xf bank_mask:0xf
	v_cndmask_b32_e32 v9, 0, v24, vcc
	v_add_u32_e32 v8, v8, v9
	ds_write_b32 v7, v8
.LBB2532_108:
	s_or_b64 exec, exec, s[0:1]
	v_cmp_lt_u32_e32 vcc, 63, v0
	v_mov_b32_e32 v7, 0
	v_mov_b32_e32 v8, 0
	s_waitcnt lgkmcnt(0)
	s_barrier
	s_and_saveexec_b64 s[0:1], vcc
	s_cbranch_execz .LBB2532_110
; %bb.109:
	v_lshl_add_u32 v8, v104, 2, -4
	ds_read_b32 v8, v8
.LBB2532_110:
	s_or_b64 exec, exec, s[0:1]
	v_add_u32_e32 v9, -1, v103
	v_and_b32_e32 v24, 64, v103
	v_cmp_lt_i32_e32 vcc, v9, v24
	s_waitcnt lgkmcnt(0)
	v_add_u32_e32 v6, v8, v6
	v_cndmask_b32_e32 v9, v9, v103, vcc
	v_lshlrev_b32_e32 v9, 2, v9
	ds_bpermute_b32 v9, v9, v6
	ds_read_b32 v6, v7 offset:28
	s_and_saveexec_b64 s[0:1], s[20:21]
	s_cbranch_execz .LBB2532_112
; %bb.111:
	v_mov_b32_e32 v24, 0
	v_mov_b32_e32 v7, 2
	s_waitcnt lgkmcnt(0)
	global_store_dwordx2 v24, v[6:7], s[30:31] offset:512 sc1
.LBB2532_112:
	s_or_b64 exec, exec, s[0:1]
	v_cmp_eq_u32_e32 vcc, 0, v103
	s_waitcnt lgkmcnt(0)
	s_barrier
	v_cndmask_b32_e32 v7, v9, v8, vcc
	v_mov_b32_e32 v8, 0
	v_cndmask_b32_e64 v9, v7, 0, s[20:21]
.LBB2532_113:
	v_add_u32_e32 v7, v9, v75
	v_add_u32_e32 v24, v7, v76
	;; [unrolled: 1-line block ×22, first 2 shown]
	v_sub_u32_e32 v9, v9, v8
	v_and_b32_e32 v74, 1, v74
	v_add_u32_e32 v89, v88, v96
	v_sub_u32_e32 v96, v42, v9
	v_cmp_eq_u32_e32 vcc, 1, v74
	v_sub_u32_e32 v7, v7, v8
	v_add_u32_e32 v90, v89, v97
	v_cndmask_b32_e32 v9, v96, v9, vcc
	v_lshlrev_b32_e32 v9, 1, v9
	ds_write_b16 v9, v22
	v_sub_u32_e32 v9, v42, v7
	v_and_b32_e32 v22, 1, v73
	v_add_u32_e32 v9, 1, v9
	v_cmp_eq_u32_e32 vcc, 1, v22
	v_and_b32_e32 v22, 1, v72
	v_add_u32_e32 v91, v90, v98
	v_cndmask_b32_e32 v7, v9, v7, vcc
	v_lshlrev_b32_e32 v7, 1, v7
	ds_write_b16 v7, v44
	v_sub_u32_e32 v7, v24, v8
	v_sub_u32_e32 v9, v42, v7
	v_add_u32_e32 v9, 2, v9
	v_cmp_eq_u32_e32 vcc, 1, v22
	v_and_b32_e32 v22, 1, v71
	v_add_u32_e32 v92, v91, v99
	v_cndmask_b32_e32 v7, v9, v7, vcc
	v_lshlrev_b32_e32 v7, 1, v7
	ds_write_b16 v7, v23
	v_sub_u32_e32 v7, v25, v8
	v_sub_u32_e32 v9, v42, v7
	v_add_u32_e32 v9, 3, v9
	v_cmp_eq_u32_e32 vcc, 1, v22
	v_and_b32_e32 v22, 1, v70
	v_add_u32_e32 v93, v92, v100
	v_cndmask_b32_e32 v7, v9, v7, vcc
	v_lshlrev_b32_e32 v7, 1, v7
	ds_write_b16 v7, v43
	v_sub_u32_e32 v7, v26, v8
	v_sub_u32_e32 v9, v42, v7
	v_add_u32_e32 v9, 4, v9
	v_cmp_eq_u32_e32 vcc, 1, v22
	v_add_u32_e32 v94, v93, v101
	v_add_u32_e32 v95, v94, v102
	v_cndmask_b32_e32 v7, v9, v7, vcc
	v_lshlrev_b32_e32 v7, 1, v7
	ds_write_b16 v7, v20
	v_sub_u32_e32 v7, v27, v8
	v_sub_u32_e32 v9, v42, v7
	v_and_b32_e32 v20, 1, v69
	v_add_u32_e32 v9, 5, v9
	v_cmp_eq_u32_e32 vcc, 1, v20
	v_and_b32_e32 v20, 1, v68
	v_or_b32_e32 v43, 0x1a00, v0
	v_cndmask_b32_e32 v7, v9, v7, vcc
	v_lshlrev_b32_e32 v7, 1, v7
	ds_write_b16 v7, v41
	v_sub_u32_e32 v7, v28, v8
	v_sub_u32_e32 v9, v42, v7
	v_add_u32_e32 v9, 6, v9
	v_cmp_eq_u32_e32 vcc, 1, v20
	v_and_b32_e32 v20, 1, v67
	v_or_b32_e32 v67, 0x200, v0
	v_cndmask_b32_e32 v7, v9, v7, vcc
	v_lshlrev_b32_e32 v7, 1, v7
	ds_write_b16 v7, v21
	v_sub_u32_e32 v7, v29, v8
	v_sub_u32_e32 v9, v42, v7
	v_add_u32_e32 v9, 7, v9
	v_cmp_eq_u32_e32 vcc, 1, v20
	v_and_b32_e32 v20, 1, v66
	v_or_b32_e32 v41, 0x1c00, v0
	v_cndmask_b32_e32 v7, v9, v7, vcc
	v_lshlrev_b32_e32 v7, 1, v7
	ds_write_b16 v7, v40
	v_sub_u32_e32 v7, v75, v8
	v_sub_u32_e32 v9, v42, v7
	v_add_u32_e32 v9, 8, v9
	v_cmp_eq_u32_e32 vcc, 1, v20
	v_or_b32_e32 v29, 0x2800, v0
	v_or_b32_e32 v27, 0x2a00, v0
	v_cndmask_b32_e32 v7, v9, v7, vcc
	v_lshlrev_b32_e32 v7, 1, v7
	ds_write_b16 v7, v18
	v_sub_u32_e32 v7, v76, v8
	v_sub_u32_e32 v9, v42, v7
	v_and_b32_e32 v18, 1, v65
	v_add_u32_e32 v9, 9, v9
	v_cmp_eq_u32_e32 vcc, 1, v18
	v_and_b32_e32 v18, 1, v64
	v_or_b32_e32 v65, 0x400, v0
	v_cndmask_b32_e32 v7, v9, v7, vcc
	v_lshlrev_b32_e32 v7, 1, v7
	ds_write_b16 v7, v39
	v_sub_u32_e32 v7, v77, v8
	v_sub_u32_e32 v9, v42, v7
	v_add_u32_e32 v9, 10, v9
	v_cmp_eq_u32_e32 vcc, 1, v18
	v_and_b32_e32 v18, 1, v63
	v_or_b32_e32 v63, 0x600, v0
	v_cndmask_b32_e32 v7, v9, v7, vcc
	v_lshlrev_b32_e32 v7, 1, v7
	ds_write_b16 v7, v19
	v_sub_u32_e32 v7, v78, v8
	v_sub_u32_e32 v9, v42, v7
	v_add_u32_e32 v9, 11, v9
	v_cmp_eq_u32_e32 vcc, 1, v18
	v_and_b32_e32 v18, 1, v62
	v_or_b32_e32 v25, 0x2c00, v0
	v_cndmask_b32_e32 v7, v9, v7, vcc
	v_lshlrev_b32_e32 v7, 1, v7
	ds_write_b16 v7, v38
	v_sub_u32_e32 v7, v79, v8
	v_sub_u32_e32 v9, v42, v7
	v_add_u32_e32 v9, 12, v9
	v_cmp_eq_u32_e32 vcc, 1, v18
	v_or_b32_e32 v38, 0x1e00, v0
	v_or_b32_e32 v23, 0x2e00, v0
	;; [unrolled: 37-line block ×4, first 2 shown]
	v_cndmask_b32_e32 v7, v9, v7, vcc
	v_lshlrev_b32_e32 v7, 1, v7
	ds_write_b16 v7, v12
	v_sub_u32_e32 v7, v88, v8
	v_sub_u32_e32 v9, v42, v7
	v_and_b32_e32 v12, 1, v53
	v_add_u32_e32 v9, 21, v9
	v_cmp_eq_u32_e32 vcc, 1, v12
	v_and_b32_e32 v12, 1, v52
	v_or_b32_e32 v53, 0x1000, v0
	v_cndmask_b32_e32 v7, v9, v7, vcc
	v_lshlrev_b32_e32 v7, 1, v7
	ds_write_b16 v7, v33
	v_sub_u32_e32 v7, v89, v8
	v_sub_u32_e32 v9, v42, v7
	v_add_u32_e32 v9, 22, v9
	v_cmp_eq_u32_e32 vcc, 1, v12
	v_and_b32_e32 v12, 1, v51
	v_or_b32_e32 v51, 0x1200, v0
	v_cndmask_b32_e32 v7, v9, v7, vcc
	v_lshlrev_b32_e32 v7, 1, v7
	ds_write_b16 v7, v13
	v_sub_u32_e32 v7, v90, v8
	v_sub_u32_e32 v9, v42, v7
	;; [unrolled: 9-line block ×3, first 2 shown]
	v_add_u32_e32 v9, 24, v9
	v_cmp_eq_u32_e32 vcc, 1, v12
	v_or_b32_e32 v14, 0x3800, v0
	s_waitcnt vmcnt(0)
	v_lshlrev_b64 v[12:13], 1, v[2:3]
	v_cndmask_b32_e32 v7, v9, v7, vcc
	v_lshlrev_b32_e32 v7, 1, v7
	ds_write_b16 v7, v10
	v_sub_u32_e32 v7, v92, v8
	v_sub_u32_e32 v9, v42, v7
	v_and_b32_e32 v10, 1, v49
	v_add_u32_e32 v9, 25, v9
	v_cmp_eq_u32_e32 vcc, 1, v10
	v_and_b32_e32 v10, 1, v48
	v_or_b32_e32 v49, 0x1400, v0
	v_cndmask_b32_e32 v7, v9, v7, vcc
	v_lshlrev_b32_e32 v7, 1, v7
	ds_write_b16 v7, v31
	v_sub_u32_e32 v7, v93, v8
	v_sub_u32_e32 v9, v42, v7
	v_add_u32_e32 v9, 26, v9
	v_cmp_eq_u32_e32 vcc, 1, v10
	v_and_b32_e32 v10, 1, v47
	v_or_b32_e32 v47, 0x1600, v0
	v_cndmask_b32_e32 v7, v9, v7, vcc
	v_lshlrev_b32_e32 v7, 1, v7
	ds_write_b16 v7, v11
	v_sub_u32_e32 v7, v94, v8
	v_sub_u32_e32 v9, v42, v7
	;; [unrolled: 9-line block ×3, first 2 shown]
	v_add_u32_e32 v9, 28, v9
	v_cmp_eq_u32_e32 vcc, 1, v10
	s_nop 1
	v_cndmask_b32_e32 v7, v9, v7, vcc
	v_lshlrev_b32_e32 v7, 1, v7
	ds_write_b16 v7, v5
	v_sub_u32_sdwa v5, v45, v8 dst_sel:DWORD dst_unused:UNUSED_PAD src0_sel:BYTE_0 src1_sel:DWORD
	v_add_u32_e32 v5, v95, v5
	v_sub_u32_e32 v7, v42, v5
	v_and_b32_e32 v9, 1, v46
	v_add_u32_e32 v7, 29, v7
	v_cmp_eq_u32_e32 vcc, 1, v9
	v_or_b32_e32 v45, 0x1800, v0
	s_nop 0
	v_cndmask_b32_e32 v5, v7, v5, vcc
	v_lshlrev_b32_e32 v5, 1, v5
	ds_write_b16 v5, v1
	s_waitcnt lgkmcnt(0)
	s_barrier
	ds_read_u16 v69, v4
	ds_read_u16 v68, v4 offset:1024
	ds_read_u16 v66, v4 offset:2048
	;; [unrolled: 1-line block ×29, first 2 shown]
	v_or_b32_e32 v5, 0x3a00, v0
	s_and_b64 vcc, exec, s[2:3]
	s_cbranch_vccnz .LBB2532_145
; %bb.114:
	v_mov_b32_e32 v9, 0
	v_lshl_add_u64 v[10:11], s[28:29], 0, v[12:13]
	v_lshlrev_b64 v[70:71], 1, v[8:9]
	v_lshl_add_u64 v[10:11], v[10:11], 0, v[70:71]
	v_cmp_lt_u32_e32 vcc, v0, v6
	s_and_saveexec_b64 s[0:1], vcc
	s_cbranch_execnz .LBB2532_182
; %bb.115:
	s_or_b64 exec, exec, s[0:1]
	v_cmp_lt_u32_e32 vcc, v67, v6
	s_and_saveexec_b64 s[0:1], vcc
	s_cbranch_execnz .LBB2532_183
.LBB2532_116:
	s_or_b64 exec, exec, s[0:1]
	v_cmp_lt_u32_e32 vcc, v65, v6
	s_and_saveexec_b64 s[0:1], vcc
	s_cbranch_execnz .LBB2532_184
.LBB2532_117:
	s_or_b64 exec, exec, s[0:1]
	v_cmp_lt_u32_e32 vcc, v63, v6
	s_and_saveexec_b64 s[0:1], vcc
	s_cbranch_execnz .LBB2532_185
.LBB2532_118:
	s_or_b64 exec, exec, s[0:1]
	v_cmp_lt_u32_e32 vcc, v61, v6
	s_and_saveexec_b64 s[0:1], vcc
	s_cbranch_execnz .LBB2532_186
.LBB2532_119:
	s_or_b64 exec, exec, s[0:1]
	v_cmp_lt_u32_e32 vcc, v59, v6
	s_and_saveexec_b64 s[0:1], vcc
	s_cbranch_execnz .LBB2532_187
.LBB2532_120:
	s_or_b64 exec, exec, s[0:1]
	v_cmp_lt_u32_e32 vcc, v57, v6
	s_and_saveexec_b64 s[0:1], vcc
	s_cbranch_execnz .LBB2532_188
.LBB2532_121:
	s_or_b64 exec, exec, s[0:1]
	v_cmp_lt_u32_e32 vcc, v54, v6
	s_and_saveexec_b64 s[0:1], vcc
	s_cbranch_execnz .LBB2532_189
.LBB2532_122:
	s_or_b64 exec, exec, s[0:1]
	v_cmp_lt_u32_e32 vcc, v53, v6
	s_and_saveexec_b64 s[0:1], vcc
	s_cbranch_execnz .LBB2532_190
.LBB2532_123:
	s_or_b64 exec, exec, s[0:1]
	v_cmp_lt_u32_e32 vcc, v51, v6
	s_and_saveexec_b64 s[0:1], vcc
	s_cbranch_execnz .LBB2532_191
.LBB2532_124:
	s_or_b64 exec, exec, s[0:1]
	v_cmp_lt_u32_e32 vcc, v49, v6
	s_and_saveexec_b64 s[0:1], vcc
	s_cbranch_execnz .LBB2532_192
.LBB2532_125:
	s_or_b64 exec, exec, s[0:1]
	v_cmp_lt_u32_e32 vcc, v47, v6
	s_and_saveexec_b64 s[0:1], vcc
	s_cbranch_execnz .LBB2532_193
.LBB2532_126:
	s_or_b64 exec, exec, s[0:1]
	v_cmp_lt_u32_e32 vcc, v45, v6
	s_and_saveexec_b64 s[0:1], vcc
	s_cbranch_execnz .LBB2532_194
.LBB2532_127:
	s_or_b64 exec, exec, s[0:1]
	v_cmp_lt_u32_e32 vcc, v43, v6
	s_and_saveexec_b64 s[0:1], vcc
	s_cbranch_execnz .LBB2532_195
.LBB2532_128:
	s_or_b64 exec, exec, s[0:1]
	v_cmp_lt_u32_e32 vcc, v41, v6
	s_and_saveexec_b64 s[0:1], vcc
	s_cbranch_execnz .LBB2532_196
.LBB2532_129:
	s_or_b64 exec, exec, s[0:1]
	v_cmp_lt_u32_e32 vcc, v38, v6
	s_and_saveexec_b64 s[0:1], vcc
	s_cbranch_execnz .LBB2532_197
.LBB2532_130:
	s_or_b64 exec, exec, s[0:1]
	v_cmp_lt_u32_e32 vcc, v37, v6
	s_and_saveexec_b64 s[0:1], vcc
	s_cbranch_execnz .LBB2532_198
.LBB2532_131:
	s_or_b64 exec, exec, s[0:1]
	v_cmp_lt_u32_e32 vcc, v35, v6
	s_and_saveexec_b64 s[0:1], vcc
	s_cbranch_execnz .LBB2532_199
.LBB2532_132:
	s_or_b64 exec, exec, s[0:1]
	v_cmp_lt_u32_e32 vcc, v33, v6
	s_and_saveexec_b64 s[0:1], vcc
	s_cbranch_execnz .LBB2532_200
.LBB2532_133:
	s_or_b64 exec, exec, s[0:1]
	v_cmp_lt_u32_e32 vcc, v31, v6
	s_and_saveexec_b64 s[0:1], vcc
	s_cbranch_execnz .LBB2532_201
.LBB2532_134:
	s_or_b64 exec, exec, s[0:1]
	v_cmp_lt_u32_e32 vcc, v29, v6
	s_and_saveexec_b64 s[0:1], vcc
	s_cbranch_execnz .LBB2532_202
.LBB2532_135:
	s_or_b64 exec, exec, s[0:1]
	v_cmp_lt_u32_e32 vcc, v27, v6
	s_and_saveexec_b64 s[0:1], vcc
	s_cbranch_execnz .LBB2532_203
.LBB2532_136:
	s_or_b64 exec, exec, s[0:1]
	v_cmp_lt_u32_e32 vcc, v25, v6
	s_and_saveexec_b64 s[0:1], vcc
	s_cbranch_execnz .LBB2532_204
.LBB2532_137:
	s_or_b64 exec, exec, s[0:1]
	v_cmp_lt_u32_e32 vcc, v23, v6
	s_and_saveexec_b64 s[0:1], vcc
	s_cbranch_execnz .LBB2532_205
.LBB2532_138:
	s_or_b64 exec, exec, s[0:1]
	v_cmp_lt_u32_e32 vcc, v21, v6
	s_and_saveexec_b64 s[0:1], vcc
	s_cbranch_execnz .LBB2532_206
.LBB2532_139:
	s_or_b64 exec, exec, s[0:1]
	v_cmp_lt_u32_e32 vcc, v19, v6
	s_and_saveexec_b64 s[0:1], vcc
	s_cbranch_execnz .LBB2532_207
.LBB2532_140:
	s_or_b64 exec, exec, s[0:1]
	v_cmp_lt_u32_e32 vcc, v18, v6
	s_and_saveexec_b64 s[0:1], vcc
	s_cbranch_execnz .LBB2532_208
.LBB2532_141:
	s_or_b64 exec, exec, s[0:1]
	v_cmp_lt_u32_e32 vcc, v16, v6
	s_and_saveexec_b64 s[0:1], vcc
	s_cbranch_execnz .LBB2532_209
.LBB2532_142:
	s_or_b64 exec, exec, s[0:1]
	v_cmp_lt_u32_e32 vcc, v14, v6
	s_and_saveexec_b64 s[0:1], vcc
	s_cbranch_execz .LBB2532_144
.LBB2532_143:
	v_lshlrev_b32_e32 v9, 1, v14
	v_readfirstlane_b32 s2, v10
	v_readfirstlane_b32 s3, v11
	s_waitcnt lgkmcnt(1)
	s_nop 3
	global_store_short v9, v7, s[2:3]
.LBB2532_144:
	s_or_b64 exec, exec, s[0:1]
	v_cmp_lt_u32_e64 s[0:1], v5, v6
	s_branch .LBB2532_177
.LBB2532_145:
	s_mov_b64 s[0:1], 0
                                        ; implicit-def: $vgpr10_vgpr11
	s_cbranch_execz .LBB2532_177
; %bb.146:
	v_mov_b32_e32 v9, 0
	v_min_u32_e32 v70, s33, v6
	v_lshl_add_u64 v[10:11], s[28:29], 0, v[12:13]
	v_lshlrev_b64 v[12:13], 1, v[8:9]
	v_lshl_add_u64 v[10:11], v[10:11], 0, v[12:13]
	v_cmp_gt_u32_e32 vcc, v70, v0
	s_and_saveexec_b64 s[0:1], vcc
	s_cbranch_execnz .LBB2532_210
; %bb.147:
	s_or_b64 exec, exec, s[0:1]
	v_cmp_lt_u32_e32 vcc, v67, v70
	s_and_saveexec_b64 s[0:1], vcc
	s_cbranch_execnz .LBB2532_211
.LBB2532_148:
	s_or_b64 exec, exec, s[0:1]
	v_cmp_lt_u32_e32 vcc, v65, v70
	s_and_saveexec_b64 s[0:1], vcc
	s_cbranch_execnz .LBB2532_212
.LBB2532_149:
	s_or_b64 exec, exec, s[0:1]
	v_cmp_lt_u32_e32 vcc, v63, v70
	s_and_saveexec_b64 s[0:1], vcc
	s_cbranch_execnz .LBB2532_213
.LBB2532_150:
	s_or_b64 exec, exec, s[0:1]
	v_cmp_lt_u32_e32 vcc, v61, v70
	s_and_saveexec_b64 s[0:1], vcc
	s_cbranch_execnz .LBB2532_214
.LBB2532_151:
	s_or_b64 exec, exec, s[0:1]
	v_cmp_lt_u32_e32 vcc, v59, v70
	s_and_saveexec_b64 s[0:1], vcc
	s_cbranch_execnz .LBB2532_215
.LBB2532_152:
	s_or_b64 exec, exec, s[0:1]
	v_cmp_lt_u32_e32 vcc, v57, v70
	s_and_saveexec_b64 s[0:1], vcc
	s_cbranch_execnz .LBB2532_216
.LBB2532_153:
	s_or_b64 exec, exec, s[0:1]
	v_cmp_lt_u32_e32 vcc, v54, v70
	s_and_saveexec_b64 s[0:1], vcc
	s_cbranch_execnz .LBB2532_217
.LBB2532_154:
	s_or_b64 exec, exec, s[0:1]
	v_cmp_lt_u32_e32 vcc, v53, v70
	s_and_saveexec_b64 s[0:1], vcc
	s_cbranch_execnz .LBB2532_218
.LBB2532_155:
	s_or_b64 exec, exec, s[0:1]
	v_cmp_lt_u32_e32 vcc, v51, v70
	s_and_saveexec_b64 s[0:1], vcc
	s_cbranch_execnz .LBB2532_219
.LBB2532_156:
	s_or_b64 exec, exec, s[0:1]
	v_cmp_lt_u32_e32 vcc, v49, v70
	s_and_saveexec_b64 s[0:1], vcc
	s_cbranch_execnz .LBB2532_220
.LBB2532_157:
	s_or_b64 exec, exec, s[0:1]
	v_cmp_lt_u32_e32 vcc, v47, v70
	s_and_saveexec_b64 s[0:1], vcc
	s_cbranch_execnz .LBB2532_221
.LBB2532_158:
	s_or_b64 exec, exec, s[0:1]
	v_cmp_lt_u32_e32 vcc, v45, v70
	s_and_saveexec_b64 s[0:1], vcc
	s_cbranch_execnz .LBB2532_222
.LBB2532_159:
	s_or_b64 exec, exec, s[0:1]
	v_cmp_lt_u32_e32 vcc, v43, v70
	s_and_saveexec_b64 s[0:1], vcc
	s_cbranch_execnz .LBB2532_223
.LBB2532_160:
	s_or_b64 exec, exec, s[0:1]
	v_cmp_lt_u32_e32 vcc, v41, v70
	s_and_saveexec_b64 s[0:1], vcc
	s_cbranch_execnz .LBB2532_224
.LBB2532_161:
	s_or_b64 exec, exec, s[0:1]
	v_cmp_lt_u32_e32 vcc, v38, v70
	s_and_saveexec_b64 s[0:1], vcc
	s_cbranch_execnz .LBB2532_225
.LBB2532_162:
	s_or_b64 exec, exec, s[0:1]
	v_cmp_lt_u32_e32 vcc, v37, v70
	s_and_saveexec_b64 s[0:1], vcc
	s_cbranch_execnz .LBB2532_226
.LBB2532_163:
	s_or_b64 exec, exec, s[0:1]
	v_cmp_lt_u32_e32 vcc, v35, v70
	s_and_saveexec_b64 s[0:1], vcc
	s_cbranch_execnz .LBB2532_227
.LBB2532_164:
	s_or_b64 exec, exec, s[0:1]
	v_cmp_lt_u32_e32 vcc, v33, v70
	s_and_saveexec_b64 s[0:1], vcc
	s_cbranch_execnz .LBB2532_228
.LBB2532_165:
	s_or_b64 exec, exec, s[0:1]
	v_cmp_lt_u32_e32 vcc, v31, v70
	s_and_saveexec_b64 s[0:1], vcc
	s_cbranch_execnz .LBB2532_229
.LBB2532_166:
	s_or_b64 exec, exec, s[0:1]
	v_cmp_lt_u32_e32 vcc, v29, v70
	s_and_saveexec_b64 s[0:1], vcc
	s_cbranch_execnz .LBB2532_230
.LBB2532_167:
	s_or_b64 exec, exec, s[0:1]
	v_cmp_lt_u32_e32 vcc, v27, v70
	s_and_saveexec_b64 s[0:1], vcc
	s_cbranch_execnz .LBB2532_231
.LBB2532_168:
	s_or_b64 exec, exec, s[0:1]
	v_cmp_lt_u32_e32 vcc, v25, v70
	s_and_saveexec_b64 s[0:1], vcc
	s_cbranch_execnz .LBB2532_232
.LBB2532_169:
	s_or_b64 exec, exec, s[0:1]
	v_cmp_lt_u32_e32 vcc, v23, v70
	s_and_saveexec_b64 s[0:1], vcc
	s_cbranch_execnz .LBB2532_233
.LBB2532_170:
	s_or_b64 exec, exec, s[0:1]
	v_cmp_lt_u32_e32 vcc, v21, v70
	s_and_saveexec_b64 s[0:1], vcc
	s_cbranch_execnz .LBB2532_234
.LBB2532_171:
	s_or_b64 exec, exec, s[0:1]
	v_cmp_lt_u32_e32 vcc, v19, v70
	s_and_saveexec_b64 s[0:1], vcc
	s_cbranch_execnz .LBB2532_235
.LBB2532_172:
	s_or_b64 exec, exec, s[0:1]
	v_cmp_lt_u32_e32 vcc, v18, v70
	s_and_saveexec_b64 s[0:1], vcc
	s_cbranch_execnz .LBB2532_236
.LBB2532_173:
	s_or_b64 exec, exec, s[0:1]
	v_cmp_lt_u32_e32 vcc, v16, v70
	s_and_saveexec_b64 s[0:1], vcc
	s_cbranch_execnz .LBB2532_237
.LBB2532_174:
	s_or_b64 exec, exec, s[0:1]
	v_cmp_lt_u32_e32 vcc, v14, v70
	s_and_saveexec_b64 s[0:1], vcc
	s_cbranch_execz .LBB2532_176
.LBB2532_175:
	v_lshlrev_b32_e32 v0, 1, v14
	v_readfirstlane_b32 s2, v10
	v_readfirstlane_b32 s3, v11
	s_waitcnt lgkmcnt(1)
	s_nop 3
	global_store_short v0, v7, s[2:3]
.LBB2532_176:
	s_or_b64 exec, exec, s[0:1]
	v_cmp_lt_u32_e64 s[0:1], v5, v70
.LBB2532_177:
	s_and_saveexec_b64 s[2:3], s[0:1]
	s_cbranch_execnz .LBB2532_180
; %bb.178:
	s_or_b64 exec, exec, s[2:3]
	s_and_b64 s[0:1], s[20:21], s[22:23]
	s_and_saveexec_b64 s[2:3], s[0:1]
	s_cbranch_execnz .LBB2532_181
.LBB2532_179:
	s_endpgm
.LBB2532_180:
	v_lshlrev_b32_e32 v0, 1, v5
	v_readfirstlane_b32 s0, v10
	v_readfirstlane_b32 s1, v11
	s_waitcnt lgkmcnt(0)
	s_nop 3
	global_store_short v0, v1, s[0:1]
	s_or_b64 exec, exec, s[2:3]
	s_and_b64 s[0:1], s[20:21], s[22:23]
	s_and_saveexec_b64 s[2:3], s[0:1]
	s_cbranch_execz .LBB2532_179
.LBB2532_181:
	s_waitcnt lgkmcnt(1)
	v_mov_b32_e32 v7, 0
	s_waitcnt lgkmcnt(0)
	v_lshl_add_u64 v[0:1], v[2:3], 0, v[6:7]
	v_mov_b32_e32 v9, v7
	v_lshl_add_u64 v[0:1], v[0:1], 0, v[8:9]
	global_store_dwordx2 v7, v[0:1], s[24:25]
	s_endpgm
.LBB2532_182:
	v_readfirstlane_b32 s2, v10
	v_readfirstlane_b32 s3, v11
	s_waitcnt lgkmcnt(14)
	s_nop 3
	global_store_short v4, v69, s[2:3]
	s_or_b64 exec, exec, s[0:1]
	v_cmp_lt_u32_e32 vcc, v67, v6
	s_and_saveexec_b64 s[0:1], vcc
	s_cbranch_execz .LBB2532_116
.LBB2532_183:
	v_readfirstlane_b32 s2, v10
	v_readfirstlane_b32 s3, v11
	s_waitcnt lgkmcnt(14)
	s_nop 3
	global_store_short v4, v68, s[2:3] offset:1024
	s_or_b64 exec, exec, s[0:1]
	v_cmp_lt_u32_e32 vcc, v65, v6
	s_and_saveexec_b64 s[0:1], vcc
	s_cbranch_execz .LBB2532_117
.LBB2532_184:
	v_readfirstlane_b32 s2, v10
	v_readfirstlane_b32 s3, v11
	s_waitcnt lgkmcnt(14)
	s_nop 3
	global_store_short v4, v66, s[2:3] offset:2048
	s_or_b64 exec, exec, s[0:1]
	v_cmp_lt_u32_e32 vcc, v63, v6
	s_and_saveexec_b64 s[0:1], vcc
	s_cbranch_execz .LBB2532_118
.LBB2532_185:
	v_readfirstlane_b32 s2, v10
	v_readfirstlane_b32 s3, v11
	s_waitcnt lgkmcnt(14)
	s_nop 3
	global_store_short v4, v64, s[2:3] offset:3072
	s_or_b64 exec, exec, s[0:1]
	v_cmp_lt_u32_e32 vcc, v61, v6
	s_and_saveexec_b64 s[0:1], vcc
	s_cbranch_execz .LBB2532_119
.LBB2532_186:
	v_lshlrev_b32_e32 v9, 1, v61
	v_readfirstlane_b32 s2, v10
	v_readfirstlane_b32 s3, v11
	s_waitcnt lgkmcnt(14)
	s_nop 3
	global_store_short v9, v62, s[2:3]
	s_or_b64 exec, exec, s[0:1]
	v_cmp_lt_u32_e32 vcc, v59, v6
	s_and_saveexec_b64 s[0:1], vcc
	s_cbranch_execz .LBB2532_120
.LBB2532_187:
	v_lshlrev_b32_e32 v9, 1, v59
	v_readfirstlane_b32 s2, v10
	v_readfirstlane_b32 s3, v11
	s_waitcnt lgkmcnt(14)
	s_nop 3
	global_store_short v9, v60, s[2:3]
	s_or_b64 exec, exec, s[0:1]
	v_cmp_lt_u32_e32 vcc, v57, v6
	s_and_saveexec_b64 s[0:1], vcc
	s_cbranch_execz .LBB2532_121
.LBB2532_188:
	v_lshlrev_b32_e32 v9, 1, v57
	v_readfirstlane_b32 s2, v10
	v_readfirstlane_b32 s3, v11
	s_waitcnt lgkmcnt(14)
	s_nop 3
	global_store_short v9, v58, s[2:3]
	s_or_b64 exec, exec, s[0:1]
	v_cmp_lt_u32_e32 vcc, v54, v6
	s_and_saveexec_b64 s[0:1], vcc
	s_cbranch_execz .LBB2532_122
.LBB2532_189:
	v_lshlrev_b32_e32 v9, 1, v54
	v_readfirstlane_b32 s2, v10
	v_readfirstlane_b32 s3, v11
	s_waitcnt lgkmcnt(14)
	s_nop 3
	global_store_short v9, v55, s[2:3]
	s_or_b64 exec, exec, s[0:1]
	v_cmp_lt_u32_e32 vcc, v53, v6
	s_and_saveexec_b64 s[0:1], vcc
	s_cbranch_execz .LBB2532_123
.LBB2532_190:
	v_lshlrev_b32_e32 v9, 1, v53
	v_readfirstlane_b32 s2, v10
	v_readfirstlane_b32 s3, v11
	s_waitcnt lgkmcnt(14)
	s_nop 3
	global_store_short v9, v56, s[2:3]
	s_or_b64 exec, exec, s[0:1]
	v_cmp_lt_u32_e32 vcc, v51, v6
	s_and_saveexec_b64 s[0:1], vcc
	s_cbranch_execz .LBB2532_124
.LBB2532_191:
	v_lshlrev_b32_e32 v9, 1, v51
	v_readfirstlane_b32 s2, v10
	v_readfirstlane_b32 s3, v11
	s_waitcnt lgkmcnt(14)
	s_nop 3
	global_store_short v9, v52, s[2:3]
	s_or_b64 exec, exec, s[0:1]
	v_cmp_lt_u32_e32 vcc, v49, v6
	s_and_saveexec_b64 s[0:1], vcc
	s_cbranch_execz .LBB2532_125
.LBB2532_192:
	v_lshlrev_b32_e32 v9, 1, v49
	v_readfirstlane_b32 s2, v10
	v_readfirstlane_b32 s3, v11
	s_waitcnt lgkmcnt(14)
	s_nop 3
	global_store_short v9, v50, s[2:3]
	s_or_b64 exec, exec, s[0:1]
	v_cmp_lt_u32_e32 vcc, v47, v6
	s_and_saveexec_b64 s[0:1], vcc
	s_cbranch_execz .LBB2532_126
.LBB2532_193:
	v_lshlrev_b32_e32 v9, 1, v47
	v_readfirstlane_b32 s2, v10
	v_readfirstlane_b32 s3, v11
	s_waitcnt lgkmcnt(14)
	s_nop 3
	global_store_short v9, v48, s[2:3]
	s_or_b64 exec, exec, s[0:1]
	v_cmp_lt_u32_e32 vcc, v45, v6
	s_and_saveexec_b64 s[0:1], vcc
	s_cbranch_execz .LBB2532_127
.LBB2532_194:
	v_lshlrev_b32_e32 v9, 1, v45
	v_readfirstlane_b32 s2, v10
	v_readfirstlane_b32 s3, v11
	s_waitcnt lgkmcnt(14)
	s_nop 3
	global_store_short v9, v46, s[2:3]
	s_or_b64 exec, exec, s[0:1]
	v_cmp_lt_u32_e32 vcc, v43, v6
	s_and_saveexec_b64 s[0:1], vcc
	s_cbranch_execz .LBB2532_128
.LBB2532_195:
	v_lshlrev_b32_e32 v9, 1, v43
	v_readfirstlane_b32 s2, v10
	v_readfirstlane_b32 s3, v11
	s_waitcnt lgkmcnt(14)
	s_nop 3
	global_store_short v9, v44, s[2:3]
	s_or_b64 exec, exec, s[0:1]
	v_cmp_lt_u32_e32 vcc, v41, v6
	s_and_saveexec_b64 s[0:1], vcc
	s_cbranch_execz .LBB2532_129
.LBB2532_196:
	v_lshlrev_b32_e32 v9, 1, v41
	v_readfirstlane_b32 s2, v10
	v_readfirstlane_b32 s3, v11
	s_waitcnt lgkmcnt(14)
	s_nop 3
	global_store_short v9, v42, s[2:3]
	s_or_b64 exec, exec, s[0:1]
	v_cmp_lt_u32_e32 vcc, v38, v6
	s_and_saveexec_b64 s[0:1], vcc
	s_cbranch_execz .LBB2532_130
.LBB2532_197:
	v_lshlrev_b32_e32 v9, 1, v38
	v_readfirstlane_b32 s2, v10
	v_readfirstlane_b32 s3, v11
	s_waitcnt lgkmcnt(14)
	s_nop 3
	global_store_short v9, v39, s[2:3]
	s_or_b64 exec, exec, s[0:1]
	v_cmp_lt_u32_e32 vcc, v37, v6
	s_and_saveexec_b64 s[0:1], vcc
	s_cbranch_execz .LBB2532_131
.LBB2532_198:
	v_lshlrev_b32_e32 v9, 1, v37
	v_readfirstlane_b32 s2, v10
	v_readfirstlane_b32 s3, v11
	s_waitcnt lgkmcnt(13)
	s_nop 3
	global_store_short v9, v40, s[2:3]
	s_or_b64 exec, exec, s[0:1]
	v_cmp_lt_u32_e32 vcc, v35, v6
	s_and_saveexec_b64 s[0:1], vcc
	s_cbranch_execz .LBB2532_132
.LBB2532_199:
	v_lshlrev_b32_e32 v9, 1, v35
	v_readfirstlane_b32 s2, v10
	v_readfirstlane_b32 s3, v11
	s_waitcnt lgkmcnt(12)
	s_nop 3
	global_store_short v9, v36, s[2:3]
	s_or_b64 exec, exec, s[0:1]
	v_cmp_lt_u32_e32 vcc, v33, v6
	s_and_saveexec_b64 s[0:1], vcc
	s_cbranch_execz .LBB2532_133
.LBB2532_200:
	v_lshlrev_b32_e32 v9, 1, v33
	v_readfirstlane_b32 s2, v10
	v_readfirstlane_b32 s3, v11
	s_waitcnt lgkmcnt(11)
	s_nop 3
	global_store_short v9, v34, s[2:3]
	s_or_b64 exec, exec, s[0:1]
	v_cmp_lt_u32_e32 vcc, v31, v6
	s_and_saveexec_b64 s[0:1], vcc
	s_cbranch_execz .LBB2532_134
.LBB2532_201:
	v_lshlrev_b32_e32 v9, 1, v31
	v_readfirstlane_b32 s2, v10
	v_readfirstlane_b32 s3, v11
	s_waitcnt lgkmcnt(10)
	s_nop 3
	global_store_short v9, v32, s[2:3]
	s_or_b64 exec, exec, s[0:1]
	v_cmp_lt_u32_e32 vcc, v29, v6
	s_and_saveexec_b64 s[0:1], vcc
	s_cbranch_execz .LBB2532_135
.LBB2532_202:
	v_lshlrev_b32_e32 v9, 1, v29
	v_readfirstlane_b32 s2, v10
	v_readfirstlane_b32 s3, v11
	s_waitcnt lgkmcnt(9)
	s_nop 3
	global_store_short v9, v30, s[2:3]
	s_or_b64 exec, exec, s[0:1]
	v_cmp_lt_u32_e32 vcc, v27, v6
	s_and_saveexec_b64 s[0:1], vcc
	s_cbranch_execz .LBB2532_136
.LBB2532_203:
	v_lshlrev_b32_e32 v9, 1, v27
	v_readfirstlane_b32 s2, v10
	v_readfirstlane_b32 s3, v11
	s_waitcnt lgkmcnt(8)
	s_nop 3
	global_store_short v9, v28, s[2:3]
	s_or_b64 exec, exec, s[0:1]
	v_cmp_lt_u32_e32 vcc, v25, v6
	s_and_saveexec_b64 s[0:1], vcc
	s_cbranch_execz .LBB2532_137
.LBB2532_204:
	v_lshlrev_b32_e32 v9, 1, v25
	v_readfirstlane_b32 s2, v10
	v_readfirstlane_b32 s3, v11
	s_waitcnt lgkmcnt(7)
	s_nop 3
	global_store_short v9, v26, s[2:3]
	s_or_b64 exec, exec, s[0:1]
	v_cmp_lt_u32_e32 vcc, v23, v6
	s_and_saveexec_b64 s[0:1], vcc
	s_cbranch_execz .LBB2532_138
.LBB2532_205:
	v_lshlrev_b32_e32 v9, 1, v23
	v_readfirstlane_b32 s2, v10
	v_readfirstlane_b32 s3, v11
	s_waitcnt lgkmcnt(6)
	s_nop 3
	global_store_short v9, v24, s[2:3]
	s_or_b64 exec, exec, s[0:1]
	v_cmp_lt_u32_e32 vcc, v21, v6
	s_and_saveexec_b64 s[0:1], vcc
	s_cbranch_execz .LBB2532_139
.LBB2532_206:
	v_lshlrev_b32_e32 v9, 1, v21
	v_readfirstlane_b32 s2, v10
	v_readfirstlane_b32 s3, v11
	s_waitcnt lgkmcnt(5)
	s_nop 3
	global_store_short v9, v22, s[2:3]
	s_or_b64 exec, exec, s[0:1]
	v_cmp_lt_u32_e32 vcc, v19, v6
	s_and_saveexec_b64 s[0:1], vcc
	s_cbranch_execz .LBB2532_140
.LBB2532_207:
	v_lshlrev_b32_e32 v9, 1, v19
	v_readfirstlane_b32 s2, v10
	v_readfirstlane_b32 s3, v11
	s_waitcnt lgkmcnt(4)
	s_nop 3
	global_store_short v9, v20, s[2:3]
	s_or_b64 exec, exec, s[0:1]
	v_cmp_lt_u32_e32 vcc, v18, v6
	s_and_saveexec_b64 s[0:1], vcc
	s_cbranch_execz .LBB2532_141
.LBB2532_208:
	v_lshlrev_b32_e32 v9, 1, v18
	v_readfirstlane_b32 s2, v10
	v_readfirstlane_b32 s3, v11
	s_waitcnt lgkmcnt(3)
	s_nop 3
	global_store_short v9, v17, s[2:3]
	s_or_b64 exec, exec, s[0:1]
	v_cmp_lt_u32_e32 vcc, v16, v6
	s_and_saveexec_b64 s[0:1], vcc
	s_cbranch_execz .LBB2532_142
.LBB2532_209:
	v_lshlrev_b32_e32 v9, 1, v16
	v_readfirstlane_b32 s2, v10
	v_readfirstlane_b32 s3, v11
	s_waitcnt lgkmcnt(2)
	s_nop 3
	global_store_short v9, v15, s[2:3]
	s_or_b64 exec, exec, s[0:1]
	v_cmp_lt_u32_e32 vcc, v14, v6
	s_and_saveexec_b64 s[0:1], vcc
	s_cbranch_execnz .LBB2532_143
	s_branch .LBB2532_144
.LBB2532_210:
	v_readfirstlane_b32 s2, v10
	v_readfirstlane_b32 s3, v11
	s_waitcnt lgkmcnt(14)
	s_nop 3
	global_store_short v4, v69, s[2:3]
	s_or_b64 exec, exec, s[0:1]
	v_cmp_lt_u32_e32 vcc, v67, v70
	s_and_saveexec_b64 s[0:1], vcc
	s_cbranch_execz .LBB2532_148
.LBB2532_211:
	v_readfirstlane_b32 s2, v10
	v_readfirstlane_b32 s3, v11
	s_waitcnt lgkmcnt(14)
	s_nop 3
	global_store_short v4, v68, s[2:3] offset:1024
	s_or_b64 exec, exec, s[0:1]
	v_cmp_lt_u32_e32 vcc, v65, v70
	s_and_saveexec_b64 s[0:1], vcc
	s_cbranch_execz .LBB2532_149
.LBB2532_212:
	v_readfirstlane_b32 s2, v10
	v_readfirstlane_b32 s3, v11
	s_waitcnt lgkmcnt(14)
	s_nop 3
	global_store_short v4, v66, s[2:3] offset:2048
	s_or_b64 exec, exec, s[0:1]
	v_cmp_lt_u32_e32 vcc, v63, v70
	s_and_saveexec_b64 s[0:1], vcc
	s_cbranch_execz .LBB2532_150
.LBB2532_213:
	v_readfirstlane_b32 s2, v10
	v_readfirstlane_b32 s3, v11
	s_waitcnt lgkmcnt(14)
	s_nop 3
	global_store_short v4, v64, s[2:3] offset:3072
	s_or_b64 exec, exec, s[0:1]
	v_cmp_lt_u32_e32 vcc, v61, v70
	s_and_saveexec_b64 s[0:1], vcc
	s_cbranch_execz .LBB2532_151
.LBB2532_214:
	v_lshlrev_b32_e32 v0, 1, v61
	v_readfirstlane_b32 s2, v10
	v_readfirstlane_b32 s3, v11
	s_waitcnt lgkmcnt(14)
	s_nop 3
	global_store_short v0, v62, s[2:3]
	s_or_b64 exec, exec, s[0:1]
	v_cmp_lt_u32_e32 vcc, v59, v70
	s_and_saveexec_b64 s[0:1], vcc
	s_cbranch_execz .LBB2532_152
.LBB2532_215:
	v_lshlrev_b32_e32 v0, 1, v59
	v_readfirstlane_b32 s2, v10
	v_readfirstlane_b32 s3, v11
	s_waitcnt lgkmcnt(14)
	s_nop 3
	global_store_short v0, v60, s[2:3]
	s_or_b64 exec, exec, s[0:1]
	v_cmp_lt_u32_e32 vcc, v57, v70
	s_and_saveexec_b64 s[0:1], vcc
	s_cbranch_execz .LBB2532_153
.LBB2532_216:
	v_lshlrev_b32_e32 v0, 1, v57
	v_readfirstlane_b32 s2, v10
	v_readfirstlane_b32 s3, v11
	s_waitcnt lgkmcnt(14)
	s_nop 3
	global_store_short v0, v58, s[2:3]
	s_or_b64 exec, exec, s[0:1]
	v_cmp_lt_u32_e32 vcc, v54, v70
	s_and_saveexec_b64 s[0:1], vcc
	s_cbranch_execz .LBB2532_154
.LBB2532_217:
	v_lshlrev_b32_e32 v0, 1, v54
	v_readfirstlane_b32 s2, v10
	v_readfirstlane_b32 s3, v11
	s_waitcnt lgkmcnt(14)
	s_nop 3
	global_store_short v0, v55, s[2:3]
	s_or_b64 exec, exec, s[0:1]
	v_cmp_lt_u32_e32 vcc, v53, v70
	s_and_saveexec_b64 s[0:1], vcc
	s_cbranch_execz .LBB2532_155
.LBB2532_218:
	v_lshlrev_b32_e32 v0, 1, v53
	v_readfirstlane_b32 s2, v10
	v_readfirstlane_b32 s3, v11
	s_waitcnt lgkmcnt(14)
	s_nop 3
	global_store_short v0, v56, s[2:3]
	s_or_b64 exec, exec, s[0:1]
	v_cmp_lt_u32_e32 vcc, v51, v70
	s_and_saveexec_b64 s[0:1], vcc
	s_cbranch_execz .LBB2532_156
.LBB2532_219:
	v_lshlrev_b32_e32 v0, 1, v51
	v_readfirstlane_b32 s2, v10
	v_readfirstlane_b32 s3, v11
	s_waitcnt lgkmcnt(14)
	s_nop 3
	global_store_short v0, v52, s[2:3]
	s_or_b64 exec, exec, s[0:1]
	v_cmp_lt_u32_e32 vcc, v49, v70
	s_and_saveexec_b64 s[0:1], vcc
	s_cbranch_execz .LBB2532_157
.LBB2532_220:
	v_lshlrev_b32_e32 v0, 1, v49
	v_readfirstlane_b32 s2, v10
	v_readfirstlane_b32 s3, v11
	s_waitcnt lgkmcnt(14)
	s_nop 3
	global_store_short v0, v50, s[2:3]
	s_or_b64 exec, exec, s[0:1]
	v_cmp_lt_u32_e32 vcc, v47, v70
	s_and_saveexec_b64 s[0:1], vcc
	s_cbranch_execz .LBB2532_158
.LBB2532_221:
	v_lshlrev_b32_e32 v0, 1, v47
	v_readfirstlane_b32 s2, v10
	v_readfirstlane_b32 s3, v11
	s_waitcnt lgkmcnt(14)
	s_nop 3
	global_store_short v0, v48, s[2:3]
	s_or_b64 exec, exec, s[0:1]
	v_cmp_lt_u32_e32 vcc, v45, v70
	s_and_saveexec_b64 s[0:1], vcc
	s_cbranch_execz .LBB2532_159
.LBB2532_222:
	v_lshlrev_b32_e32 v0, 1, v45
	v_readfirstlane_b32 s2, v10
	v_readfirstlane_b32 s3, v11
	s_waitcnt lgkmcnt(14)
	s_nop 3
	global_store_short v0, v46, s[2:3]
	s_or_b64 exec, exec, s[0:1]
	v_cmp_lt_u32_e32 vcc, v43, v70
	s_and_saveexec_b64 s[0:1], vcc
	s_cbranch_execz .LBB2532_160
.LBB2532_223:
	v_lshlrev_b32_e32 v0, 1, v43
	v_readfirstlane_b32 s2, v10
	v_readfirstlane_b32 s3, v11
	s_waitcnt lgkmcnt(14)
	s_nop 3
	global_store_short v0, v44, s[2:3]
	s_or_b64 exec, exec, s[0:1]
	v_cmp_lt_u32_e32 vcc, v41, v70
	s_and_saveexec_b64 s[0:1], vcc
	s_cbranch_execz .LBB2532_161
.LBB2532_224:
	v_lshlrev_b32_e32 v0, 1, v41
	v_readfirstlane_b32 s2, v10
	v_readfirstlane_b32 s3, v11
	s_waitcnt lgkmcnt(14)
	s_nop 3
	global_store_short v0, v42, s[2:3]
	s_or_b64 exec, exec, s[0:1]
	v_cmp_lt_u32_e32 vcc, v38, v70
	s_and_saveexec_b64 s[0:1], vcc
	s_cbranch_execz .LBB2532_162
.LBB2532_225:
	v_lshlrev_b32_e32 v0, 1, v38
	v_readfirstlane_b32 s2, v10
	v_readfirstlane_b32 s3, v11
	s_waitcnt lgkmcnt(14)
	s_nop 3
	global_store_short v0, v39, s[2:3]
	s_or_b64 exec, exec, s[0:1]
	v_cmp_lt_u32_e32 vcc, v37, v70
	s_and_saveexec_b64 s[0:1], vcc
	s_cbranch_execz .LBB2532_163
.LBB2532_226:
	v_lshlrev_b32_e32 v0, 1, v37
	v_readfirstlane_b32 s2, v10
	v_readfirstlane_b32 s3, v11
	s_waitcnt lgkmcnt(13)
	s_nop 3
	global_store_short v0, v40, s[2:3]
	s_or_b64 exec, exec, s[0:1]
	v_cmp_lt_u32_e32 vcc, v35, v70
	s_and_saveexec_b64 s[0:1], vcc
	s_cbranch_execz .LBB2532_164
.LBB2532_227:
	v_lshlrev_b32_e32 v0, 1, v35
	v_readfirstlane_b32 s2, v10
	v_readfirstlane_b32 s3, v11
	s_waitcnt lgkmcnt(12)
	s_nop 3
	global_store_short v0, v36, s[2:3]
	s_or_b64 exec, exec, s[0:1]
	v_cmp_lt_u32_e32 vcc, v33, v70
	s_and_saveexec_b64 s[0:1], vcc
	s_cbranch_execz .LBB2532_165
.LBB2532_228:
	v_lshlrev_b32_e32 v0, 1, v33
	v_readfirstlane_b32 s2, v10
	v_readfirstlane_b32 s3, v11
	s_waitcnt lgkmcnt(11)
	s_nop 3
	global_store_short v0, v34, s[2:3]
	s_or_b64 exec, exec, s[0:1]
	v_cmp_lt_u32_e32 vcc, v31, v70
	s_and_saveexec_b64 s[0:1], vcc
	s_cbranch_execz .LBB2532_166
.LBB2532_229:
	v_lshlrev_b32_e32 v0, 1, v31
	v_readfirstlane_b32 s2, v10
	v_readfirstlane_b32 s3, v11
	s_waitcnt lgkmcnt(10)
	s_nop 3
	global_store_short v0, v32, s[2:3]
	s_or_b64 exec, exec, s[0:1]
	v_cmp_lt_u32_e32 vcc, v29, v70
	s_and_saveexec_b64 s[0:1], vcc
	s_cbranch_execz .LBB2532_167
.LBB2532_230:
	v_lshlrev_b32_e32 v0, 1, v29
	v_readfirstlane_b32 s2, v10
	v_readfirstlane_b32 s3, v11
	s_waitcnt lgkmcnt(9)
	s_nop 3
	global_store_short v0, v30, s[2:3]
	s_or_b64 exec, exec, s[0:1]
	v_cmp_lt_u32_e32 vcc, v27, v70
	s_and_saveexec_b64 s[0:1], vcc
	s_cbranch_execz .LBB2532_168
.LBB2532_231:
	v_lshlrev_b32_e32 v0, 1, v27
	v_readfirstlane_b32 s2, v10
	v_readfirstlane_b32 s3, v11
	s_waitcnt lgkmcnt(8)
	s_nop 3
	global_store_short v0, v28, s[2:3]
	s_or_b64 exec, exec, s[0:1]
	v_cmp_lt_u32_e32 vcc, v25, v70
	s_and_saveexec_b64 s[0:1], vcc
	s_cbranch_execz .LBB2532_169
.LBB2532_232:
	v_lshlrev_b32_e32 v0, 1, v25
	v_readfirstlane_b32 s2, v10
	v_readfirstlane_b32 s3, v11
	s_waitcnt lgkmcnt(7)
	s_nop 3
	global_store_short v0, v26, s[2:3]
	s_or_b64 exec, exec, s[0:1]
	v_cmp_lt_u32_e32 vcc, v23, v70
	s_and_saveexec_b64 s[0:1], vcc
	s_cbranch_execz .LBB2532_170
.LBB2532_233:
	v_lshlrev_b32_e32 v0, 1, v23
	v_readfirstlane_b32 s2, v10
	v_readfirstlane_b32 s3, v11
	s_waitcnt lgkmcnt(6)
	s_nop 3
	global_store_short v0, v24, s[2:3]
	s_or_b64 exec, exec, s[0:1]
	v_cmp_lt_u32_e32 vcc, v21, v70
	s_and_saveexec_b64 s[0:1], vcc
	s_cbranch_execz .LBB2532_171
.LBB2532_234:
	v_lshlrev_b32_e32 v0, 1, v21
	v_readfirstlane_b32 s2, v10
	v_readfirstlane_b32 s3, v11
	s_waitcnt lgkmcnt(5)
	s_nop 3
	global_store_short v0, v22, s[2:3]
	s_or_b64 exec, exec, s[0:1]
	v_cmp_lt_u32_e32 vcc, v19, v70
	s_and_saveexec_b64 s[0:1], vcc
	s_cbranch_execz .LBB2532_172
.LBB2532_235:
	v_lshlrev_b32_e32 v0, 1, v19
	v_readfirstlane_b32 s2, v10
	v_readfirstlane_b32 s3, v11
	s_waitcnt lgkmcnt(4)
	s_nop 3
	global_store_short v0, v20, s[2:3]
	s_or_b64 exec, exec, s[0:1]
	v_cmp_lt_u32_e32 vcc, v18, v70
	s_and_saveexec_b64 s[0:1], vcc
	s_cbranch_execz .LBB2532_173
.LBB2532_236:
	v_lshlrev_b32_e32 v0, 1, v18
	v_readfirstlane_b32 s2, v10
	v_readfirstlane_b32 s3, v11
	s_waitcnt lgkmcnt(3)
	s_nop 3
	global_store_short v0, v17, s[2:3]
	s_or_b64 exec, exec, s[0:1]
	v_cmp_lt_u32_e32 vcc, v16, v70
	s_and_saveexec_b64 s[0:1], vcc
	s_cbranch_execz .LBB2532_174
.LBB2532_237:
	v_lshlrev_b32_e32 v0, 1, v16
	v_readfirstlane_b32 s2, v10
	v_readfirstlane_b32 s3, v11
	s_waitcnt lgkmcnt(2)
	s_nop 3
	global_store_short v0, v15, s[2:3]
	s_or_b64 exec, exec, s[0:1]
	v_cmp_lt_u32_e32 vcc, v14, v70
	s_and_saveexec_b64 s[0:1], vcc
	s_cbranch_execnz .LBB2532_175
	s_branch .LBB2532_176
	.section	.rodata,"a",@progbits
	.p2align	6, 0x0
	.amdhsa_kernel _ZN7rocprim17ROCPRIM_400000_NS6detail17trampoline_kernelINS0_14default_configENS1_25partition_config_selectorILNS1_17partition_subalgoE0EtNS0_10empty_typeEbEEZZNS1_14partition_implILS5_0ELb0ES3_jN6thrust23THRUST_200600_302600_NS6detail15normal_iteratorINSA_10device_ptrItEEEEPS6_SG_NS0_5tupleIJSF_NSA_16discard_iteratorINSA_11use_defaultEEEEEENSH_IJSG_SG_EEES6_PlJ7is_evenItEEEE10hipError_tPvRmT3_T4_T5_T6_T7_T9_mT8_P12ihipStream_tbDpT10_ENKUlT_T0_E_clISt17integral_constantIbLb1EES19_EEDaS14_S15_EUlS14_E_NS1_11comp_targetILNS1_3genE5ELNS1_11target_archE942ELNS1_3gpuE9ELNS1_3repE0EEENS1_30default_config_static_selectorELNS0_4arch9wavefront6targetE1EEEvT1_
		.amdhsa_group_segment_fixed_size 30728
		.amdhsa_private_segment_fixed_size 0
		.amdhsa_kernarg_size 144
		.amdhsa_user_sgpr_count 2
		.amdhsa_user_sgpr_dispatch_ptr 0
		.amdhsa_user_sgpr_queue_ptr 0
		.amdhsa_user_sgpr_kernarg_segment_ptr 1
		.amdhsa_user_sgpr_dispatch_id 0
		.amdhsa_user_sgpr_kernarg_preload_length 0
		.amdhsa_user_sgpr_kernarg_preload_offset 0
		.amdhsa_user_sgpr_private_segment_size 0
		.amdhsa_uses_dynamic_stack 0
		.amdhsa_enable_private_segment 0
		.amdhsa_system_sgpr_workgroup_id_x 1
		.amdhsa_system_sgpr_workgroup_id_y 0
		.amdhsa_system_sgpr_workgroup_id_z 0
		.amdhsa_system_sgpr_workgroup_info 0
		.amdhsa_system_vgpr_workitem_id 0
		.amdhsa_next_free_vgpr 122
		.amdhsa_next_free_sgpr 40
		.amdhsa_accum_offset 124
		.amdhsa_reserve_vcc 1
		.amdhsa_float_round_mode_32 0
		.amdhsa_float_round_mode_16_64 0
		.amdhsa_float_denorm_mode_32 3
		.amdhsa_float_denorm_mode_16_64 3
		.amdhsa_dx10_clamp 1
		.amdhsa_ieee_mode 1
		.amdhsa_fp16_overflow 0
		.amdhsa_tg_split 0
		.amdhsa_exception_fp_ieee_invalid_op 0
		.amdhsa_exception_fp_denorm_src 0
		.amdhsa_exception_fp_ieee_div_zero 0
		.amdhsa_exception_fp_ieee_overflow 0
		.amdhsa_exception_fp_ieee_underflow 0
		.amdhsa_exception_fp_ieee_inexact 0
		.amdhsa_exception_int_div_zero 0
	.end_amdhsa_kernel
	.section	.text._ZN7rocprim17ROCPRIM_400000_NS6detail17trampoline_kernelINS0_14default_configENS1_25partition_config_selectorILNS1_17partition_subalgoE0EtNS0_10empty_typeEbEEZZNS1_14partition_implILS5_0ELb0ES3_jN6thrust23THRUST_200600_302600_NS6detail15normal_iteratorINSA_10device_ptrItEEEEPS6_SG_NS0_5tupleIJSF_NSA_16discard_iteratorINSA_11use_defaultEEEEEENSH_IJSG_SG_EEES6_PlJ7is_evenItEEEE10hipError_tPvRmT3_T4_T5_T6_T7_T9_mT8_P12ihipStream_tbDpT10_ENKUlT_T0_E_clISt17integral_constantIbLb1EES19_EEDaS14_S15_EUlS14_E_NS1_11comp_targetILNS1_3genE5ELNS1_11target_archE942ELNS1_3gpuE9ELNS1_3repE0EEENS1_30default_config_static_selectorELNS0_4arch9wavefront6targetE1EEEvT1_,"axG",@progbits,_ZN7rocprim17ROCPRIM_400000_NS6detail17trampoline_kernelINS0_14default_configENS1_25partition_config_selectorILNS1_17partition_subalgoE0EtNS0_10empty_typeEbEEZZNS1_14partition_implILS5_0ELb0ES3_jN6thrust23THRUST_200600_302600_NS6detail15normal_iteratorINSA_10device_ptrItEEEEPS6_SG_NS0_5tupleIJSF_NSA_16discard_iteratorINSA_11use_defaultEEEEEENSH_IJSG_SG_EEES6_PlJ7is_evenItEEEE10hipError_tPvRmT3_T4_T5_T6_T7_T9_mT8_P12ihipStream_tbDpT10_ENKUlT_T0_E_clISt17integral_constantIbLb1EES19_EEDaS14_S15_EUlS14_E_NS1_11comp_targetILNS1_3genE5ELNS1_11target_archE942ELNS1_3gpuE9ELNS1_3repE0EEENS1_30default_config_static_selectorELNS0_4arch9wavefront6targetE1EEEvT1_,comdat
.Lfunc_end2532:
	.size	_ZN7rocprim17ROCPRIM_400000_NS6detail17trampoline_kernelINS0_14default_configENS1_25partition_config_selectorILNS1_17partition_subalgoE0EtNS0_10empty_typeEbEEZZNS1_14partition_implILS5_0ELb0ES3_jN6thrust23THRUST_200600_302600_NS6detail15normal_iteratorINSA_10device_ptrItEEEEPS6_SG_NS0_5tupleIJSF_NSA_16discard_iteratorINSA_11use_defaultEEEEEENSH_IJSG_SG_EEES6_PlJ7is_evenItEEEE10hipError_tPvRmT3_T4_T5_T6_T7_T9_mT8_P12ihipStream_tbDpT10_ENKUlT_T0_E_clISt17integral_constantIbLb1EES19_EEDaS14_S15_EUlS14_E_NS1_11comp_targetILNS1_3genE5ELNS1_11target_archE942ELNS1_3gpuE9ELNS1_3repE0EEENS1_30default_config_static_selectorELNS0_4arch9wavefront6targetE1EEEvT1_, .Lfunc_end2532-_ZN7rocprim17ROCPRIM_400000_NS6detail17trampoline_kernelINS0_14default_configENS1_25partition_config_selectorILNS1_17partition_subalgoE0EtNS0_10empty_typeEbEEZZNS1_14partition_implILS5_0ELb0ES3_jN6thrust23THRUST_200600_302600_NS6detail15normal_iteratorINSA_10device_ptrItEEEEPS6_SG_NS0_5tupleIJSF_NSA_16discard_iteratorINSA_11use_defaultEEEEEENSH_IJSG_SG_EEES6_PlJ7is_evenItEEEE10hipError_tPvRmT3_T4_T5_T6_T7_T9_mT8_P12ihipStream_tbDpT10_ENKUlT_T0_E_clISt17integral_constantIbLb1EES19_EEDaS14_S15_EUlS14_E_NS1_11comp_targetILNS1_3genE5ELNS1_11target_archE942ELNS1_3gpuE9ELNS1_3repE0EEENS1_30default_config_static_selectorELNS0_4arch9wavefront6targetE1EEEvT1_
                                        ; -- End function
	.section	.AMDGPU.csdata,"",@progbits
; Kernel info:
; codeLenInByte = 11404
; NumSgprs: 46
; NumVgprs: 122
; NumAgprs: 0
; TotalNumVgprs: 122
; ScratchSize: 0
; MemoryBound: 0
; FloatMode: 240
; IeeeMode: 1
; LDSByteSize: 30728 bytes/workgroup (compile time only)
; SGPRBlocks: 5
; VGPRBlocks: 15
; NumSGPRsForWavesPerEU: 46
; NumVGPRsForWavesPerEU: 122
; AccumOffset: 124
; Occupancy: 4
; WaveLimiterHint : 1
; COMPUTE_PGM_RSRC2:SCRATCH_EN: 0
; COMPUTE_PGM_RSRC2:USER_SGPR: 2
; COMPUTE_PGM_RSRC2:TRAP_HANDLER: 0
; COMPUTE_PGM_RSRC2:TGID_X_EN: 1
; COMPUTE_PGM_RSRC2:TGID_Y_EN: 0
; COMPUTE_PGM_RSRC2:TGID_Z_EN: 0
; COMPUTE_PGM_RSRC2:TIDIG_COMP_CNT: 0
; COMPUTE_PGM_RSRC3_GFX90A:ACCUM_OFFSET: 30
; COMPUTE_PGM_RSRC3_GFX90A:TG_SPLIT: 0
	.section	.text._ZN7rocprim17ROCPRIM_400000_NS6detail17trampoline_kernelINS0_14default_configENS1_25partition_config_selectorILNS1_17partition_subalgoE0EtNS0_10empty_typeEbEEZZNS1_14partition_implILS5_0ELb0ES3_jN6thrust23THRUST_200600_302600_NS6detail15normal_iteratorINSA_10device_ptrItEEEEPS6_SG_NS0_5tupleIJSF_NSA_16discard_iteratorINSA_11use_defaultEEEEEENSH_IJSG_SG_EEES6_PlJ7is_evenItEEEE10hipError_tPvRmT3_T4_T5_T6_T7_T9_mT8_P12ihipStream_tbDpT10_ENKUlT_T0_E_clISt17integral_constantIbLb1EES19_EEDaS14_S15_EUlS14_E_NS1_11comp_targetILNS1_3genE4ELNS1_11target_archE910ELNS1_3gpuE8ELNS1_3repE0EEENS1_30default_config_static_selectorELNS0_4arch9wavefront6targetE1EEEvT1_,"axG",@progbits,_ZN7rocprim17ROCPRIM_400000_NS6detail17trampoline_kernelINS0_14default_configENS1_25partition_config_selectorILNS1_17partition_subalgoE0EtNS0_10empty_typeEbEEZZNS1_14partition_implILS5_0ELb0ES3_jN6thrust23THRUST_200600_302600_NS6detail15normal_iteratorINSA_10device_ptrItEEEEPS6_SG_NS0_5tupleIJSF_NSA_16discard_iteratorINSA_11use_defaultEEEEEENSH_IJSG_SG_EEES6_PlJ7is_evenItEEEE10hipError_tPvRmT3_T4_T5_T6_T7_T9_mT8_P12ihipStream_tbDpT10_ENKUlT_T0_E_clISt17integral_constantIbLb1EES19_EEDaS14_S15_EUlS14_E_NS1_11comp_targetILNS1_3genE4ELNS1_11target_archE910ELNS1_3gpuE8ELNS1_3repE0EEENS1_30default_config_static_selectorELNS0_4arch9wavefront6targetE1EEEvT1_,comdat
	.protected	_ZN7rocprim17ROCPRIM_400000_NS6detail17trampoline_kernelINS0_14default_configENS1_25partition_config_selectorILNS1_17partition_subalgoE0EtNS0_10empty_typeEbEEZZNS1_14partition_implILS5_0ELb0ES3_jN6thrust23THRUST_200600_302600_NS6detail15normal_iteratorINSA_10device_ptrItEEEEPS6_SG_NS0_5tupleIJSF_NSA_16discard_iteratorINSA_11use_defaultEEEEEENSH_IJSG_SG_EEES6_PlJ7is_evenItEEEE10hipError_tPvRmT3_T4_T5_T6_T7_T9_mT8_P12ihipStream_tbDpT10_ENKUlT_T0_E_clISt17integral_constantIbLb1EES19_EEDaS14_S15_EUlS14_E_NS1_11comp_targetILNS1_3genE4ELNS1_11target_archE910ELNS1_3gpuE8ELNS1_3repE0EEENS1_30default_config_static_selectorELNS0_4arch9wavefront6targetE1EEEvT1_ ; -- Begin function _ZN7rocprim17ROCPRIM_400000_NS6detail17trampoline_kernelINS0_14default_configENS1_25partition_config_selectorILNS1_17partition_subalgoE0EtNS0_10empty_typeEbEEZZNS1_14partition_implILS5_0ELb0ES3_jN6thrust23THRUST_200600_302600_NS6detail15normal_iteratorINSA_10device_ptrItEEEEPS6_SG_NS0_5tupleIJSF_NSA_16discard_iteratorINSA_11use_defaultEEEEEENSH_IJSG_SG_EEES6_PlJ7is_evenItEEEE10hipError_tPvRmT3_T4_T5_T6_T7_T9_mT8_P12ihipStream_tbDpT10_ENKUlT_T0_E_clISt17integral_constantIbLb1EES19_EEDaS14_S15_EUlS14_E_NS1_11comp_targetILNS1_3genE4ELNS1_11target_archE910ELNS1_3gpuE8ELNS1_3repE0EEENS1_30default_config_static_selectorELNS0_4arch9wavefront6targetE1EEEvT1_
	.globl	_ZN7rocprim17ROCPRIM_400000_NS6detail17trampoline_kernelINS0_14default_configENS1_25partition_config_selectorILNS1_17partition_subalgoE0EtNS0_10empty_typeEbEEZZNS1_14partition_implILS5_0ELb0ES3_jN6thrust23THRUST_200600_302600_NS6detail15normal_iteratorINSA_10device_ptrItEEEEPS6_SG_NS0_5tupleIJSF_NSA_16discard_iteratorINSA_11use_defaultEEEEEENSH_IJSG_SG_EEES6_PlJ7is_evenItEEEE10hipError_tPvRmT3_T4_T5_T6_T7_T9_mT8_P12ihipStream_tbDpT10_ENKUlT_T0_E_clISt17integral_constantIbLb1EES19_EEDaS14_S15_EUlS14_E_NS1_11comp_targetILNS1_3genE4ELNS1_11target_archE910ELNS1_3gpuE8ELNS1_3repE0EEENS1_30default_config_static_selectorELNS0_4arch9wavefront6targetE1EEEvT1_
	.p2align	8
	.type	_ZN7rocprim17ROCPRIM_400000_NS6detail17trampoline_kernelINS0_14default_configENS1_25partition_config_selectorILNS1_17partition_subalgoE0EtNS0_10empty_typeEbEEZZNS1_14partition_implILS5_0ELb0ES3_jN6thrust23THRUST_200600_302600_NS6detail15normal_iteratorINSA_10device_ptrItEEEEPS6_SG_NS0_5tupleIJSF_NSA_16discard_iteratorINSA_11use_defaultEEEEEENSH_IJSG_SG_EEES6_PlJ7is_evenItEEEE10hipError_tPvRmT3_T4_T5_T6_T7_T9_mT8_P12ihipStream_tbDpT10_ENKUlT_T0_E_clISt17integral_constantIbLb1EES19_EEDaS14_S15_EUlS14_E_NS1_11comp_targetILNS1_3genE4ELNS1_11target_archE910ELNS1_3gpuE8ELNS1_3repE0EEENS1_30default_config_static_selectorELNS0_4arch9wavefront6targetE1EEEvT1_,@function
_ZN7rocprim17ROCPRIM_400000_NS6detail17trampoline_kernelINS0_14default_configENS1_25partition_config_selectorILNS1_17partition_subalgoE0EtNS0_10empty_typeEbEEZZNS1_14partition_implILS5_0ELb0ES3_jN6thrust23THRUST_200600_302600_NS6detail15normal_iteratorINSA_10device_ptrItEEEEPS6_SG_NS0_5tupleIJSF_NSA_16discard_iteratorINSA_11use_defaultEEEEEENSH_IJSG_SG_EEES6_PlJ7is_evenItEEEE10hipError_tPvRmT3_T4_T5_T6_T7_T9_mT8_P12ihipStream_tbDpT10_ENKUlT_T0_E_clISt17integral_constantIbLb1EES19_EEDaS14_S15_EUlS14_E_NS1_11comp_targetILNS1_3genE4ELNS1_11target_archE910ELNS1_3gpuE8ELNS1_3repE0EEENS1_30default_config_static_selectorELNS0_4arch9wavefront6targetE1EEEvT1_: ; @_ZN7rocprim17ROCPRIM_400000_NS6detail17trampoline_kernelINS0_14default_configENS1_25partition_config_selectorILNS1_17partition_subalgoE0EtNS0_10empty_typeEbEEZZNS1_14partition_implILS5_0ELb0ES3_jN6thrust23THRUST_200600_302600_NS6detail15normal_iteratorINSA_10device_ptrItEEEEPS6_SG_NS0_5tupleIJSF_NSA_16discard_iteratorINSA_11use_defaultEEEEEENSH_IJSG_SG_EEES6_PlJ7is_evenItEEEE10hipError_tPvRmT3_T4_T5_T6_T7_T9_mT8_P12ihipStream_tbDpT10_ENKUlT_T0_E_clISt17integral_constantIbLb1EES19_EEDaS14_S15_EUlS14_E_NS1_11comp_targetILNS1_3genE4ELNS1_11target_archE910ELNS1_3gpuE8ELNS1_3repE0EEENS1_30default_config_static_selectorELNS0_4arch9wavefront6targetE1EEEvT1_
; %bb.0:
	.section	.rodata,"a",@progbits
	.p2align	6, 0x0
	.amdhsa_kernel _ZN7rocprim17ROCPRIM_400000_NS6detail17trampoline_kernelINS0_14default_configENS1_25partition_config_selectorILNS1_17partition_subalgoE0EtNS0_10empty_typeEbEEZZNS1_14partition_implILS5_0ELb0ES3_jN6thrust23THRUST_200600_302600_NS6detail15normal_iteratorINSA_10device_ptrItEEEEPS6_SG_NS0_5tupleIJSF_NSA_16discard_iteratorINSA_11use_defaultEEEEEENSH_IJSG_SG_EEES6_PlJ7is_evenItEEEE10hipError_tPvRmT3_T4_T5_T6_T7_T9_mT8_P12ihipStream_tbDpT10_ENKUlT_T0_E_clISt17integral_constantIbLb1EES19_EEDaS14_S15_EUlS14_E_NS1_11comp_targetILNS1_3genE4ELNS1_11target_archE910ELNS1_3gpuE8ELNS1_3repE0EEENS1_30default_config_static_selectorELNS0_4arch9wavefront6targetE1EEEvT1_
		.amdhsa_group_segment_fixed_size 0
		.amdhsa_private_segment_fixed_size 0
		.amdhsa_kernarg_size 144
		.amdhsa_user_sgpr_count 2
		.amdhsa_user_sgpr_dispatch_ptr 0
		.amdhsa_user_sgpr_queue_ptr 0
		.amdhsa_user_sgpr_kernarg_segment_ptr 1
		.amdhsa_user_sgpr_dispatch_id 0
		.amdhsa_user_sgpr_kernarg_preload_length 0
		.amdhsa_user_sgpr_kernarg_preload_offset 0
		.amdhsa_user_sgpr_private_segment_size 0
		.amdhsa_uses_dynamic_stack 0
		.amdhsa_enable_private_segment 0
		.amdhsa_system_sgpr_workgroup_id_x 1
		.amdhsa_system_sgpr_workgroup_id_y 0
		.amdhsa_system_sgpr_workgroup_id_z 0
		.amdhsa_system_sgpr_workgroup_info 0
		.amdhsa_system_vgpr_workitem_id 0
		.amdhsa_next_free_vgpr 1
		.amdhsa_next_free_sgpr 0
		.amdhsa_accum_offset 4
		.amdhsa_reserve_vcc 0
		.amdhsa_float_round_mode_32 0
		.amdhsa_float_round_mode_16_64 0
		.amdhsa_float_denorm_mode_32 3
		.amdhsa_float_denorm_mode_16_64 3
		.amdhsa_dx10_clamp 1
		.amdhsa_ieee_mode 1
		.amdhsa_fp16_overflow 0
		.amdhsa_tg_split 0
		.amdhsa_exception_fp_ieee_invalid_op 0
		.amdhsa_exception_fp_denorm_src 0
		.amdhsa_exception_fp_ieee_div_zero 0
		.amdhsa_exception_fp_ieee_overflow 0
		.amdhsa_exception_fp_ieee_underflow 0
		.amdhsa_exception_fp_ieee_inexact 0
		.amdhsa_exception_int_div_zero 0
	.end_amdhsa_kernel
	.section	.text._ZN7rocprim17ROCPRIM_400000_NS6detail17trampoline_kernelINS0_14default_configENS1_25partition_config_selectorILNS1_17partition_subalgoE0EtNS0_10empty_typeEbEEZZNS1_14partition_implILS5_0ELb0ES3_jN6thrust23THRUST_200600_302600_NS6detail15normal_iteratorINSA_10device_ptrItEEEEPS6_SG_NS0_5tupleIJSF_NSA_16discard_iteratorINSA_11use_defaultEEEEEENSH_IJSG_SG_EEES6_PlJ7is_evenItEEEE10hipError_tPvRmT3_T4_T5_T6_T7_T9_mT8_P12ihipStream_tbDpT10_ENKUlT_T0_E_clISt17integral_constantIbLb1EES19_EEDaS14_S15_EUlS14_E_NS1_11comp_targetILNS1_3genE4ELNS1_11target_archE910ELNS1_3gpuE8ELNS1_3repE0EEENS1_30default_config_static_selectorELNS0_4arch9wavefront6targetE1EEEvT1_,"axG",@progbits,_ZN7rocprim17ROCPRIM_400000_NS6detail17trampoline_kernelINS0_14default_configENS1_25partition_config_selectorILNS1_17partition_subalgoE0EtNS0_10empty_typeEbEEZZNS1_14partition_implILS5_0ELb0ES3_jN6thrust23THRUST_200600_302600_NS6detail15normal_iteratorINSA_10device_ptrItEEEEPS6_SG_NS0_5tupleIJSF_NSA_16discard_iteratorINSA_11use_defaultEEEEEENSH_IJSG_SG_EEES6_PlJ7is_evenItEEEE10hipError_tPvRmT3_T4_T5_T6_T7_T9_mT8_P12ihipStream_tbDpT10_ENKUlT_T0_E_clISt17integral_constantIbLb1EES19_EEDaS14_S15_EUlS14_E_NS1_11comp_targetILNS1_3genE4ELNS1_11target_archE910ELNS1_3gpuE8ELNS1_3repE0EEENS1_30default_config_static_selectorELNS0_4arch9wavefront6targetE1EEEvT1_,comdat
.Lfunc_end2533:
	.size	_ZN7rocprim17ROCPRIM_400000_NS6detail17trampoline_kernelINS0_14default_configENS1_25partition_config_selectorILNS1_17partition_subalgoE0EtNS0_10empty_typeEbEEZZNS1_14partition_implILS5_0ELb0ES3_jN6thrust23THRUST_200600_302600_NS6detail15normal_iteratorINSA_10device_ptrItEEEEPS6_SG_NS0_5tupleIJSF_NSA_16discard_iteratorINSA_11use_defaultEEEEEENSH_IJSG_SG_EEES6_PlJ7is_evenItEEEE10hipError_tPvRmT3_T4_T5_T6_T7_T9_mT8_P12ihipStream_tbDpT10_ENKUlT_T0_E_clISt17integral_constantIbLb1EES19_EEDaS14_S15_EUlS14_E_NS1_11comp_targetILNS1_3genE4ELNS1_11target_archE910ELNS1_3gpuE8ELNS1_3repE0EEENS1_30default_config_static_selectorELNS0_4arch9wavefront6targetE1EEEvT1_, .Lfunc_end2533-_ZN7rocprim17ROCPRIM_400000_NS6detail17trampoline_kernelINS0_14default_configENS1_25partition_config_selectorILNS1_17partition_subalgoE0EtNS0_10empty_typeEbEEZZNS1_14partition_implILS5_0ELb0ES3_jN6thrust23THRUST_200600_302600_NS6detail15normal_iteratorINSA_10device_ptrItEEEEPS6_SG_NS0_5tupleIJSF_NSA_16discard_iteratorINSA_11use_defaultEEEEEENSH_IJSG_SG_EEES6_PlJ7is_evenItEEEE10hipError_tPvRmT3_T4_T5_T6_T7_T9_mT8_P12ihipStream_tbDpT10_ENKUlT_T0_E_clISt17integral_constantIbLb1EES19_EEDaS14_S15_EUlS14_E_NS1_11comp_targetILNS1_3genE4ELNS1_11target_archE910ELNS1_3gpuE8ELNS1_3repE0EEENS1_30default_config_static_selectorELNS0_4arch9wavefront6targetE1EEEvT1_
                                        ; -- End function
	.section	.AMDGPU.csdata,"",@progbits
; Kernel info:
; codeLenInByte = 0
; NumSgprs: 6
; NumVgprs: 0
; NumAgprs: 0
; TotalNumVgprs: 0
; ScratchSize: 0
; MemoryBound: 0
; FloatMode: 240
; IeeeMode: 1
; LDSByteSize: 0 bytes/workgroup (compile time only)
; SGPRBlocks: 0
; VGPRBlocks: 0
; NumSGPRsForWavesPerEU: 6
; NumVGPRsForWavesPerEU: 1
; AccumOffset: 4
; Occupancy: 8
; WaveLimiterHint : 0
; COMPUTE_PGM_RSRC2:SCRATCH_EN: 0
; COMPUTE_PGM_RSRC2:USER_SGPR: 2
; COMPUTE_PGM_RSRC2:TRAP_HANDLER: 0
; COMPUTE_PGM_RSRC2:TGID_X_EN: 1
; COMPUTE_PGM_RSRC2:TGID_Y_EN: 0
; COMPUTE_PGM_RSRC2:TGID_Z_EN: 0
; COMPUTE_PGM_RSRC2:TIDIG_COMP_CNT: 0
; COMPUTE_PGM_RSRC3_GFX90A:ACCUM_OFFSET: 0
; COMPUTE_PGM_RSRC3_GFX90A:TG_SPLIT: 0
	.section	.text._ZN7rocprim17ROCPRIM_400000_NS6detail17trampoline_kernelINS0_14default_configENS1_25partition_config_selectorILNS1_17partition_subalgoE0EtNS0_10empty_typeEbEEZZNS1_14partition_implILS5_0ELb0ES3_jN6thrust23THRUST_200600_302600_NS6detail15normal_iteratorINSA_10device_ptrItEEEEPS6_SG_NS0_5tupleIJSF_NSA_16discard_iteratorINSA_11use_defaultEEEEEENSH_IJSG_SG_EEES6_PlJ7is_evenItEEEE10hipError_tPvRmT3_T4_T5_T6_T7_T9_mT8_P12ihipStream_tbDpT10_ENKUlT_T0_E_clISt17integral_constantIbLb1EES19_EEDaS14_S15_EUlS14_E_NS1_11comp_targetILNS1_3genE3ELNS1_11target_archE908ELNS1_3gpuE7ELNS1_3repE0EEENS1_30default_config_static_selectorELNS0_4arch9wavefront6targetE1EEEvT1_,"axG",@progbits,_ZN7rocprim17ROCPRIM_400000_NS6detail17trampoline_kernelINS0_14default_configENS1_25partition_config_selectorILNS1_17partition_subalgoE0EtNS0_10empty_typeEbEEZZNS1_14partition_implILS5_0ELb0ES3_jN6thrust23THRUST_200600_302600_NS6detail15normal_iteratorINSA_10device_ptrItEEEEPS6_SG_NS0_5tupleIJSF_NSA_16discard_iteratorINSA_11use_defaultEEEEEENSH_IJSG_SG_EEES6_PlJ7is_evenItEEEE10hipError_tPvRmT3_T4_T5_T6_T7_T9_mT8_P12ihipStream_tbDpT10_ENKUlT_T0_E_clISt17integral_constantIbLb1EES19_EEDaS14_S15_EUlS14_E_NS1_11comp_targetILNS1_3genE3ELNS1_11target_archE908ELNS1_3gpuE7ELNS1_3repE0EEENS1_30default_config_static_selectorELNS0_4arch9wavefront6targetE1EEEvT1_,comdat
	.protected	_ZN7rocprim17ROCPRIM_400000_NS6detail17trampoline_kernelINS0_14default_configENS1_25partition_config_selectorILNS1_17partition_subalgoE0EtNS0_10empty_typeEbEEZZNS1_14partition_implILS5_0ELb0ES3_jN6thrust23THRUST_200600_302600_NS6detail15normal_iteratorINSA_10device_ptrItEEEEPS6_SG_NS0_5tupleIJSF_NSA_16discard_iteratorINSA_11use_defaultEEEEEENSH_IJSG_SG_EEES6_PlJ7is_evenItEEEE10hipError_tPvRmT3_T4_T5_T6_T7_T9_mT8_P12ihipStream_tbDpT10_ENKUlT_T0_E_clISt17integral_constantIbLb1EES19_EEDaS14_S15_EUlS14_E_NS1_11comp_targetILNS1_3genE3ELNS1_11target_archE908ELNS1_3gpuE7ELNS1_3repE0EEENS1_30default_config_static_selectorELNS0_4arch9wavefront6targetE1EEEvT1_ ; -- Begin function _ZN7rocprim17ROCPRIM_400000_NS6detail17trampoline_kernelINS0_14default_configENS1_25partition_config_selectorILNS1_17partition_subalgoE0EtNS0_10empty_typeEbEEZZNS1_14partition_implILS5_0ELb0ES3_jN6thrust23THRUST_200600_302600_NS6detail15normal_iteratorINSA_10device_ptrItEEEEPS6_SG_NS0_5tupleIJSF_NSA_16discard_iteratorINSA_11use_defaultEEEEEENSH_IJSG_SG_EEES6_PlJ7is_evenItEEEE10hipError_tPvRmT3_T4_T5_T6_T7_T9_mT8_P12ihipStream_tbDpT10_ENKUlT_T0_E_clISt17integral_constantIbLb1EES19_EEDaS14_S15_EUlS14_E_NS1_11comp_targetILNS1_3genE3ELNS1_11target_archE908ELNS1_3gpuE7ELNS1_3repE0EEENS1_30default_config_static_selectorELNS0_4arch9wavefront6targetE1EEEvT1_
	.globl	_ZN7rocprim17ROCPRIM_400000_NS6detail17trampoline_kernelINS0_14default_configENS1_25partition_config_selectorILNS1_17partition_subalgoE0EtNS0_10empty_typeEbEEZZNS1_14partition_implILS5_0ELb0ES3_jN6thrust23THRUST_200600_302600_NS6detail15normal_iteratorINSA_10device_ptrItEEEEPS6_SG_NS0_5tupleIJSF_NSA_16discard_iteratorINSA_11use_defaultEEEEEENSH_IJSG_SG_EEES6_PlJ7is_evenItEEEE10hipError_tPvRmT3_T4_T5_T6_T7_T9_mT8_P12ihipStream_tbDpT10_ENKUlT_T0_E_clISt17integral_constantIbLb1EES19_EEDaS14_S15_EUlS14_E_NS1_11comp_targetILNS1_3genE3ELNS1_11target_archE908ELNS1_3gpuE7ELNS1_3repE0EEENS1_30default_config_static_selectorELNS0_4arch9wavefront6targetE1EEEvT1_
	.p2align	8
	.type	_ZN7rocprim17ROCPRIM_400000_NS6detail17trampoline_kernelINS0_14default_configENS1_25partition_config_selectorILNS1_17partition_subalgoE0EtNS0_10empty_typeEbEEZZNS1_14partition_implILS5_0ELb0ES3_jN6thrust23THRUST_200600_302600_NS6detail15normal_iteratorINSA_10device_ptrItEEEEPS6_SG_NS0_5tupleIJSF_NSA_16discard_iteratorINSA_11use_defaultEEEEEENSH_IJSG_SG_EEES6_PlJ7is_evenItEEEE10hipError_tPvRmT3_T4_T5_T6_T7_T9_mT8_P12ihipStream_tbDpT10_ENKUlT_T0_E_clISt17integral_constantIbLb1EES19_EEDaS14_S15_EUlS14_E_NS1_11comp_targetILNS1_3genE3ELNS1_11target_archE908ELNS1_3gpuE7ELNS1_3repE0EEENS1_30default_config_static_selectorELNS0_4arch9wavefront6targetE1EEEvT1_,@function
_ZN7rocprim17ROCPRIM_400000_NS6detail17trampoline_kernelINS0_14default_configENS1_25partition_config_selectorILNS1_17partition_subalgoE0EtNS0_10empty_typeEbEEZZNS1_14partition_implILS5_0ELb0ES3_jN6thrust23THRUST_200600_302600_NS6detail15normal_iteratorINSA_10device_ptrItEEEEPS6_SG_NS0_5tupleIJSF_NSA_16discard_iteratorINSA_11use_defaultEEEEEENSH_IJSG_SG_EEES6_PlJ7is_evenItEEEE10hipError_tPvRmT3_T4_T5_T6_T7_T9_mT8_P12ihipStream_tbDpT10_ENKUlT_T0_E_clISt17integral_constantIbLb1EES19_EEDaS14_S15_EUlS14_E_NS1_11comp_targetILNS1_3genE3ELNS1_11target_archE908ELNS1_3gpuE7ELNS1_3repE0EEENS1_30default_config_static_selectorELNS0_4arch9wavefront6targetE1EEEvT1_: ; @_ZN7rocprim17ROCPRIM_400000_NS6detail17trampoline_kernelINS0_14default_configENS1_25partition_config_selectorILNS1_17partition_subalgoE0EtNS0_10empty_typeEbEEZZNS1_14partition_implILS5_0ELb0ES3_jN6thrust23THRUST_200600_302600_NS6detail15normal_iteratorINSA_10device_ptrItEEEEPS6_SG_NS0_5tupleIJSF_NSA_16discard_iteratorINSA_11use_defaultEEEEEENSH_IJSG_SG_EEES6_PlJ7is_evenItEEEE10hipError_tPvRmT3_T4_T5_T6_T7_T9_mT8_P12ihipStream_tbDpT10_ENKUlT_T0_E_clISt17integral_constantIbLb1EES19_EEDaS14_S15_EUlS14_E_NS1_11comp_targetILNS1_3genE3ELNS1_11target_archE908ELNS1_3gpuE7ELNS1_3repE0EEENS1_30default_config_static_selectorELNS0_4arch9wavefront6targetE1EEEvT1_
; %bb.0:
	.section	.rodata,"a",@progbits
	.p2align	6, 0x0
	.amdhsa_kernel _ZN7rocprim17ROCPRIM_400000_NS6detail17trampoline_kernelINS0_14default_configENS1_25partition_config_selectorILNS1_17partition_subalgoE0EtNS0_10empty_typeEbEEZZNS1_14partition_implILS5_0ELb0ES3_jN6thrust23THRUST_200600_302600_NS6detail15normal_iteratorINSA_10device_ptrItEEEEPS6_SG_NS0_5tupleIJSF_NSA_16discard_iteratorINSA_11use_defaultEEEEEENSH_IJSG_SG_EEES6_PlJ7is_evenItEEEE10hipError_tPvRmT3_T4_T5_T6_T7_T9_mT8_P12ihipStream_tbDpT10_ENKUlT_T0_E_clISt17integral_constantIbLb1EES19_EEDaS14_S15_EUlS14_E_NS1_11comp_targetILNS1_3genE3ELNS1_11target_archE908ELNS1_3gpuE7ELNS1_3repE0EEENS1_30default_config_static_selectorELNS0_4arch9wavefront6targetE1EEEvT1_
		.amdhsa_group_segment_fixed_size 0
		.amdhsa_private_segment_fixed_size 0
		.amdhsa_kernarg_size 144
		.amdhsa_user_sgpr_count 2
		.amdhsa_user_sgpr_dispatch_ptr 0
		.amdhsa_user_sgpr_queue_ptr 0
		.amdhsa_user_sgpr_kernarg_segment_ptr 1
		.amdhsa_user_sgpr_dispatch_id 0
		.amdhsa_user_sgpr_kernarg_preload_length 0
		.amdhsa_user_sgpr_kernarg_preload_offset 0
		.amdhsa_user_sgpr_private_segment_size 0
		.amdhsa_uses_dynamic_stack 0
		.amdhsa_enable_private_segment 0
		.amdhsa_system_sgpr_workgroup_id_x 1
		.amdhsa_system_sgpr_workgroup_id_y 0
		.amdhsa_system_sgpr_workgroup_id_z 0
		.amdhsa_system_sgpr_workgroup_info 0
		.amdhsa_system_vgpr_workitem_id 0
		.amdhsa_next_free_vgpr 1
		.amdhsa_next_free_sgpr 0
		.amdhsa_accum_offset 4
		.amdhsa_reserve_vcc 0
		.amdhsa_float_round_mode_32 0
		.amdhsa_float_round_mode_16_64 0
		.amdhsa_float_denorm_mode_32 3
		.amdhsa_float_denorm_mode_16_64 3
		.amdhsa_dx10_clamp 1
		.amdhsa_ieee_mode 1
		.amdhsa_fp16_overflow 0
		.amdhsa_tg_split 0
		.amdhsa_exception_fp_ieee_invalid_op 0
		.amdhsa_exception_fp_denorm_src 0
		.amdhsa_exception_fp_ieee_div_zero 0
		.amdhsa_exception_fp_ieee_overflow 0
		.amdhsa_exception_fp_ieee_underflow 0
		.amdhsa_exception_fp_ieee_inexact 0
		.amdhsa_exception_int_div_zero 0
	.end_amdhsa_kernel
	.section	.text._ZN7rocprim17ROCPRIM_400000_NS6detail17trampoline_kernelINS0_14default_configENS1_25partition_config_selectorILNS1_17partition_subalgoE0EtNS0_10empty_typeEbEEZZNS1_14partition_implILS5_0ELb0ES3_jN6thrust23THRUST_200600_302600_NS6detail15normal_iteratorINSA_10device_ptrItEEEEPS6_SG_NS0_5tupleIJSF_NSA_16discard_iteratorINSA_11use_defaultEEEEEENSH_IJSG_SG_EEES6_PlJ7is_evenItEEEE10hipError_tPvRmT3_T4_T5_T6_T7_T9_mT8_P12ihipStream_tbDpT10_ENKUlT_T0_E_clISt17integral_constantIbLb1EES19_EEDaS14_S15_EUlS14_E_NS1_11comp_targetILNS1_3genE3ELNS1_11target_archE908ELNS1_3gpuE7ELNS1_3repE0EEENS1_30default_config_static_selectorELNS0_4arch9wavefront6targetE1EEEvT1_,"axG",@progbits,_ZN7rocprim17ROCPRIM_400000_NS6detail17trampoline_kernelINS0_14default_configENS1_25partition_config_selectorILNS1_17partition_subalgoE0EtNS0_10empty_typeEbEEZZNS1_14partition_implILS5_0ELb0ES3_jN6thrust23THRUST_200600_302600_NS6detail15normal_iteratorINSA_10device_ptrItEEEEPS6_SG_NS0_5tupleIJSF_NSA_16discard_iteratorINSA_11use_defaultEEEEEENSH_IJSG_SG_EEES6_PlJ7is_evenItEEEE10hipError_tPvRmT3_T4_T5_T6_T7_T9_mT8_P12ihipStream_tbDpT10_ENKUlT_T0_E_clISt17integral_constantIbLb1EES19_EEDaS14_S15_EUlS14_E_NS1_11comp_targetILNS1_3genE3ELNS1_11target_archE908ELNS1_3gpuE7ELNS1_3repE0EEENS1_30default_config_static_selectorELNS0_4arch9wavefront6targetE1EEEvT1_,comdat
.Lfunc_end2534:
	.size	_ZN7rocprim17ROCPRIM_400000_NS6detail17trampoline_kernelINS0_14default_configENS1_25partition_config_selectorILNS1_17partition_subalgoE0EtNS0_10empty_typeEbEEZZNS1_14partition_implILS5_0ELb0ES3_jN6thrust23THRUST_200600_302600_NS6detail15normal_iteratorINSA_10device_ptrItEEEEPS6_SG_NS0_5tupleIJSF_NSA_16discard_iteratorINSA_11use_defaultEEEEEENSH_IJSG_SG_EEES6_PlJ7is_evenItEEEE10hipError_tPvRmT3_T4_T5_T6_T7_T9_mT8_P12ihipStream_tbDpT10_ENKUlT_T0_E_clISt17integral_constantIbLb1EES19_EEDaS14_S15_EUlS14_E_NS1_11comp_targetILNS1_3genE3ELNS1_11target_archE908ELNS1_3gpuE7ELNS1_3repE0EEENS1_30default_config_static_selectorELNS0_4arch9wavefront6targetE1EEEvT1_, .Lfunc_end2534-_ZN7rocprim17ROCPRIM_400000_NS6detail17trampoline_kernelINS0_14default_configENS1_25partition_config_selectorILNS1_17partition_subalgoE0EtNS0_10empty_typeEbEEZZNS1_14partition_implILS5_0ELb0ES3_jN6thrust23THRUST_200600_302600_NS6detail15normal_iteratorINSA_10device_ptrItEEEEPS6_SG_NS0_5tupleIJSF_NSA_16discard_iteratorINSA_11use_defaultEEEEEENSH_IJSG_SG_EEES6_PlJ7is_evenItEEEE10hipError_tPvRmT3_T4_T5_T6_T7_T9_mT8_P12ihipStream_tbDpT10_ENKUlT_T0_E_clISt17integral_constantIbLb1EES19_EEDaS14_S15_EUlS14_E_NS1_11comp_targetILNS1_3genE3ELNS1_11target_archE908ELNS1_3gpuE7ELNS1_3repE0EEENS1_30default_config_static_selectorELNS0_4arch9wavefront6targetE1EEEvT1_
                                        ; -- End function
	.section	.AMDGPU.csdata,"",@progbits
; Kernel info:
; codeLenInByte = 0
; NumSgprs: 6
; NumVgprs: 0
; NumAgprs: 0
; TotalNumVgprs: 0
; ScratchSize: 0
; MemoryBound: 0
; FloatMode: 240
; IeeeMode: 1
; LDSByteSize: 0 bytes/workgroup (compile time only)
; SGPRBlocks: 0
; VGPRBlocks: 0
; NumSGPRsForWavesPerEU: 6
; NumVGPRsForWavesPerEU: 1
; AccumOffset: 4
; Occupancy: 8
; WaveLimiterHint : 0
; COMPUTE_PGM_RSRC2:SCRATCH_EN: 0
; COMPUTE_PGM_RSRC2:USER_SGPR: 2
; COMPUTE_PGM_RSRC2:TRAP_HANDLER: 0
; COMPUTE_PGM_RSRC2:TGID_X_EN: 1
; COMPUTE_PGM_RSRC2:TGID_Y_EN: 0
; COMPUTE_PGM_RSRC2:TGID_Z_EN: 0
; COMPUTE_PGM_RSRC2:TIDIG_COMP_CNT: 0
; COMPUTE_PGM_RSRC3_GFX90A:ACCUM_OFFSET: 0
; COMPUTE_PGM_RSRC3_GFX90A:TG_SPLIT: 0
	.section	.text._ZN7rocprim17ROCPRIM_400000_NS6detail17trampoline_kernelINS0_14default_configENS1_25partition_config_selectorILNS1_17partition_subalgoE0EtNS0_10empty_typeEbEEZZNS1_14partition_implILS5_0ELb0ES3_jN6thrust23THRUST_200600_302600_NS6detail15normal_iteratorINSA_10device_ptrItEEEEPS6_SG_NS0_5tupleIJSF_NSA_16discard_iteratorINSA_11use_defaultEEEEEENSH_IJSG_SG_EEES6_PlJ7is_evenItEEEE10hipError_tPvRmT3_T4_T5_T6_T7_T9_mT8_P12ihipStream_tbDpT10_ENKUlT_T0_E_clISt17integral_constantIbLb1EES19_EEDaS14_S15_EUlS14_E_NS1_11comp_targetILNS1_3genE2ELNS1_11target_archE906ELNS1_3gpuE6ELNS1_3repE0EEENS1_30default_config_static_selectorELNS0_4arch9wavefront6targetE1EEEvT1_,"axG",@progbits,_ZN7rocprim17ROCPRIM_400000_NS6detail17trampoline_kernelINS0_14default_configENS1_25partition_config_selectorILNS1_17partition_subalgoE0EtNS0_10empty_typeEbEEZZNS1_14partition_implILS5_0ELb0ES3_jN6thrust23THRUST_200600_302600_NS6detail15normal_iteratorINSA_10device_ptrItEEEEPS6_SG_NS0_5tupleIJSF_NSA_16discard_iteratorINSA_11use_defaultEEEEEENSH_IJSG_SG_EEES6_PlJ7is_evenItEEEE10hipError_tPvRmT3_T4_T5_T6_T7_T9_mT8_P12ihipStream_tbDpT10_ENKUlT_T0_E_clISt17integral_constantIbLb1EES19_EEDaS14_S15_EUlS14_E_NS1_11comp_targetILNS1_3genE2ELNS1_11target_archE906ELNS1_3gpuE6ELNS1_3repE0EEENS1_30default_config_static_selectorELNS0_4arch9wavefront6targetE1EEEvT1_,comdat
	.protected	_ZN7rocprim17ROCPRIM_400000_NS6detail17trampoline_kernelINS0_14default_configENS1_25partition_config_selectorILNS1_17partition_subalgoE0EtNS0_10empty_typeEbEEZZNS1_14partition_implILS5_0ELb0ES3_jN6thrust23THRUST_200600_302600_NS6detail15normal_iteratorINSA_10device_ptrItEEEEPS6_SG_NS0_5tupleIJSF_NSA_16discard_iteratorINSA_11use_defaultEEEEEENSH_IJSG_SG_EEES6_PlJ7is_evenItEEEE10hipError_tPvRmT3_T4_T5_T6_T7_T9_mT8_P12ihipStream_tbDpT10_ENKUlT_T0_E_clISt17integral_constantIbLb1EES19_EEDaS14_S15_EUlS14_E_NS1_11comp_targetILNS1_3genE2ELNS1_11target_archE906ELNS1_3gpuE6ELNS1_3repE0EEENS1_30default_config_static_selectorELNS0_4arch9wavefront6targetE1EEEvT1_ ; -- Begin function _ZN7rocprim17ROCPRIM_400000_NS6detail17trampoline_kernelINS0_14default_configENS1_25partition_config_selectorILNS1_17partition_subalgoE0EtNS0_10empty_typeEbEEZZNS1_14partition_implILS5_0ELb0ES3_jN6thrust23THRUST_200600_302600_NS6detail15normal_iteratorINSA_10device_ptrItEEEEPS6_SG_NS0_5tupleIJSF_NSA_16discard_iteratorINSA_11use_defaultEEEEEENSH_IJSG_SG_EEES6_PlJ7is_evenItEEEE10hipError_tPvRmT3_T4_T5_T6_T7_T9_mT8_P12ihipStream_tbDpT10_ENKUlT_T0_E_clISt17integral_constantIbLb1EES19_EEDaS14_S15_EUlS14_E_NS1_11comp_targetILNS1_3genE2ELNS1_11target_archE906ELNS1_3gpuE6ELNS1_3repE0EEENS1_30default_config_static_selectorELNS0_4arch9wavefront6targetE1EEEvT1_
	.globl	_ZN7rocprim17ROCPRIM_400000_NS6detail17trampoline_kernelINS0_14default_configENS1_25partition_config_selectorILNS1_17partition_subalgoE0EtNS0_10empty_typeEbEEZZNS1_14partition_implILS5_0ELb0ES3_jN6thrust23THRUST_200600_302600_NS6detail15normal_iteratorINSA_10device_ptrItEEEEPS6_SG_NS0_5tupleIJSF_NSA_16discard_iteratorINSA_11use_defaultEEEEEENSH_IJSG_SG_EEES6_PlJ7is_evenItEEEE10hipError_tPvRmT3_T4_T5_T6_T7_T9_mT8_P12ihipStream_tbDpT10_ENKUlT_T0_E_clISt17integral_constantIbLb1EES19_EEDaS14_S15_EUlS14_E_NS1_11comp_targetILNS1_3genE2ELNS1_11target_archE906ELNS1_3gpuE6ELNS1_3repE0EEENS1_30default_config_static_selectorELNS0_4arch9wavefront6targetE1EEEvT1_
	.p2align	8
	.type	_ZN7rocprim17ROCPRIM_400000_NS6detail17trampoline_kernelINS0_14default_configENS1_25partition_config_selectorILNS1_17partition_subalgoE0EtNS0_10empty_typeEbEEZZNS1_14partition_implILS5_0ELb0ES3_jN6thrust23THRUST_200600_302600_NS6detail15normal_iteratorINSA_10device_ptrItEEEEPS6_SG_NS0_5tupleIJSF_NSA_16discard_iteratorINSA_11use_defaultEEEEEENSH_IJSG_SG_EEES6_PlJ7is_evenItEEEE10hipError_tPvRmT3_T4_T5_T6_T7_T9_mT8_P12ihipStream_tbDpT10_ENKUlT_T0_E_clISt17integral_constantIbLb1EES19_EEDaS14_S15_EUlS14_E_NS1_11comp_targetILNS1_3genE2ELNS1_11target_archE906ELNS1_3gpuE6ELNS1_3repE0EEENS1_30default_config_static_selectorELNS0_4arch9wavefront6targetE1EEEvT1_,@function
_ZN7rocprim17ROCPRIM_400000_NS6detail17trampoline_kernelINS0_14default_configENS1_25partition_config_selectorILNS1_17partition_subalgoE0EtNS0_10empty_typeEbEEZZNS1_14partition_implILS5_0ELb0ES3_jN6thrust23THRUST_200600_302600_NS6detail15normal_iteratorINSA_10device_ptrItEEEEPS6_SG_NS0_5tupleIJSF_NSA_16discard_iteratorINSA_11use_defaultEEEEEENSH_IJSG_SG_EEES6_PlJ7is_evenItEEEE10hipError_tPvRmT3_T4_T5_T6_T7_T9_mT8_P12ihipStream_tbDpT10_ENKUlT_T0_E_clISt17integral_constantIbLb1EES19_EEDaS14_S15_EUlS14_E_NS1_11comp_targetILNS1_3genE2ELNS1_11target_archE906ELNS1_3gpuE6ELNS1_3repE0EEENS1_30default_config_static_selectorELNS0_4arch9wavefront6targetE1EEEvT1_: ; @_ZN7rocprim17ROCPRIM_400000_NS6detail17trampoline_kernelINS0_14default_configENS1_25partition_config_selectorILNS1_17partition_subalgoE0EtNS0_10empty_typeEbEEZZNS1_14partition_implILS5_0ELb0ES3_jN6thrust23THRUST_200600_302600_NS6detail15normal_iteratorINSA_10device_ptrItEEEEPS6_SG_NS0_5tupleIJSF_NSA_16discard_iteratorINSA_11use_defaultEEEEEENSH_IJSG_SG_EEES6_PlJ7is_evenItEEEE10hipError_tPvRmT3_T4_T5_T6_T7_T9_mT8_P12ihipStream_tbDpT10_ENKUlT_T0_E_clISt17integral_constantIbLb1EES19_EEDaS14_S15_EUlS14_E_NS1_11comp_targetILNS1_3genE2ELNS1_11target_archE906ELNS1_3gpuE6ELNS1_3repE0EEENS1_30default_config_static_selectorELNS0_4arch9wavefront6targetE1EEEvT1_
; %bb.0:
	.section	.rodata,"a",@progbits
	.p2align	6, 0x0
	.amdhsa_kernel _ZN7rocprim17ROCPRIM_400000_NS6detail17trampoline_kernelINS0_14default_configENS1_25partition_config_selectorILNS1_17partition_subalgoE0EtNS0_10empty_typeEbEEZZNS1_14partition_implILS5_0ELb0ES3_jN6thrust23THRUST_200600_302600_NS6detail15normal_iteratorINSA_10device_ptrItEEEEPS6_SG_NS0_5tupleIJSF_NSA_16discard_iteratorINSA_11use_defaultEEEEEENSH_IJSG_SG_EEES6_PlJ7is_evenItEEEE10hipError_tPvRmT3_T4_T5_T6_T7_T9_mT8_P12ihipStream_tbDpT10_ENKUlT_T0_E_clISt17integral_constantIbLb1EES19_EEDaS14_S15_EUlS14_E_NS1_11comp_targetILNS1_3genE2ELNS1_11target_archE906ELNS1_3gpuE6ELNS1_3repE0EEENS1_30default_config_static_selectorELNS0_4arch9wavefront6targetE1EEEvT1_
		.amdhsa_group_segment_fixed_size 0
		.amdhsa_private_segment_fixed_size 0
		.amdhsa_kernarg_size 144
		.amdhsa_user_sgpr_count 2
		.amdhsa_user_sgpr_dispatch_ptr 0
		.amdhsa_user_sgpr_queue_ptr 0
		.amdhsa_user_sgpr_kernarg_segment_ptr 1
		.amdhsa_user_sgpr_dispatch_id 0
		.amdhsa_user_sgpr_kernarg_preload_length 0
		.amdhsa_user_sgpr_kernarg_preload_offset 0
		.amdhsa_user_sgpr_private_segment_size 0
		.amdhsa_uses_dynamic_stack 0
		.amdhsa_enable_private_segment 0
		.amdhsa_system_sgpr_workgroup_id_x 1
		.amdhsa_system_sgpr_workgroup_id_y 0
		.amdhsa_system_sgpr_workgroup_id_z 0
		.amdhsa_system_sgpr_workgroup_info 0
		.amdhsa_system_vgpr_workitem_id 0
		.amdhsa_next_free_vgpr 1
		.amdhsa_next_free_sgpr 0
		.amdhsa_accum_offset 4
		.amdhsa_reserve_vcc 0
		.amdhsa_float_round_mode_32 0
		.amdhsa_float_round_mode_16_64 0
		.amdhsa_float_denorm_mode_32 3
		.amdhsa_float_denorm_mode_16_64 3
		.amdhsa_dx10_clamp 1
		.amdhsa_ieee_mode 1
		.amdhsa_fp16_overflow 0
		.amdhsa_tg_split 0
		.amdhsa_exception_fp_ieee_invalid_op 0
		.amdhsa_exception_fp_denorm_src 0
		.amdhsa_exception_fp_ieee_div_zero 0
		.amdhsa_exception_fp_ieee_overflow 0
		.amdhsa_exception_fp_ieee_underflow 0
		.amdhsa_exception_fp_ieee_inexact 0
		.amdhsa_exception_int_div_zero 0
	.end_amdhsa_kernel
	.section	.text._ZN7rocprim17ROCPRIM_400000_NS6detail17trampoline_kernelINS0_14default_configENS1_25partition_config_selectorILNS1_17partition_subalgoE0EtNS0_10empty_typeEbEEZZNS1_14partition_implILS5_0ELb0ES3_jN6thrust23THRUST_200600_302600_NS6detail15normal_iteratorINSA_10device_ptrItEEEEPS6_SG_NS0_5tupleIJSF_NSA_16discard_iteratorINSA_11use_defaultEEEEEENSH_IJSG_SG_EEES6_PlJ7is_evenItEEEE10hipError_tPvRmT3_T4_T5_T6_T7_T9_mT8_P12ihipStream_tbDpT10_ENKUlT_T0_E_clISt17integral_constantIbLb1EES19_EEDaS14_S15_EUlS14_E_NS1_11comp_targetILNS1_3genE2ELNS1_11target_archE906ELNS1_3gpuE6ELNS1_3repE0EEENS1_30default_config_static_selectorELNS0_4arch9wavefront6targetE1EEEvT1_,"axG",@progbits,_ZN7rocprim17ROCPRIM_400000_NS6detail17trampoline_kernelINS0_14default_configENS1_25partition_config_selectorILNS1_17partition_subalgoE0EtNS0_10empty_typeEbEEZZNS1_14partition_implILS5_0ELb0ES3_jN6thrust23THRUST_200600_302600_NS6detail15normal_iteratorINSA_10device_ptrItEEEEPS6_SG_NS0_5tupleIJSF_NSA_16discard_iteratorINSA_11use_defaultEEEEEENSH_IJSG_SG_EEES6_PlJ7is_evenItEEEE10hipError_tPvRmT3_T4_T5_T6_T7_T9_mT8_P12ihipStream_tbDpT10_ENKUlT_T0_E_clISt17integral_constantIbLb1EES19_EEDaS14_S15_EUlS14_E_NS1_11comp_targetILNS1_3genE2ELNS1_11target_archE906ELNS1_3gpuE6ELNS1_3repE0EEENS1_30default_config_static_selectorELNS0_4arch9wavefront6targetE1EEEvT1_,comdat
.Lfunc_end2535:
	.size	_ZN7rocprim17ROCPRIM_400000_NS6detail17trampoline_kernelINS0_14default_configENS1_25partition_config_selectorILNS1_17partition_subalgoE0EtNS0_10empty_typeEbEEZZNS1_14partition_implILS5_0ELb0ES3_jN6thrust23THRUST_200600_302600_NS6detail15normal_iteratorINSA_10device_ptrItEEEEPS6_SG_NS0_5tupleIJSF_NSA_16discard_iteratorINSA_11use_defaultEEEEEENSH_IJSG_SG_EEES6_PlJ7is_evenItEEEE10hipError_tPvRmT3_T4_T5_T6_T7_T9_mT8_P12ihipStream_tbDpT10_ENKUlT_T0_E_clISt17integral_constantIbLb1EES19_EEDaS14_S15_EUlS14_E_NS1_11comp_targetILNS1_3genE2ELNS1_11target_archE906ELNS1_3gpuE6ELNS1_3repE0EEENS1_30default_config_static_selectorELNS0_4arch9wavefront6targetE1EEEvT1_, .Lfunc_end2535-_ZN7rocprim17ROCPRIM_400000_NS6detail17trampoline_kernelINS0_14default_configENS1_25partition_config_selectorILNS1_17partition_subalgoE0EtNS0_10empty_typeEbEEZZNS1_14partition_implILS5_0ELb0ES3_jN6thrust23THRUST_200600_302600_NS6detail15normal_iteratorINSA_10device_ptrItEEEEPS6_SG_NS0_5tupleIJSF_NSA_16discard_iteratorINSA_11use_defaultEEEEEENSH_IJSG_SG_EEES6_PlJ7is_evenItEEEE10hipError_tPvRmT3_T4_T5_T6_T7_T9_mT8_P12ihipStream_tbDpT10_ENKUlT_T0_E_clISt17integral_constantIbLb1EES19_EEDaS14_S15_EUlS14_E_NS1_11comp_targetILNS1_3genE2ELNS1_11target_archE906ELNS1_3gpuE6ELNS1_3repE0EEENS1_30default_config_static_selectorELNS0_4arch9wavefront6targetE1EEEvT1_
                                        ; -- End function
	.section	.AMDGPU.csdata,"",@progbits
; Kernel info:
; codeLenInByte = 0
; NumSgprs: 6
; NumVgprs: 0
; NumAgprs: 0
; TotalNumVgprs: 0
; ScratchSize: 0
; MemoryBound: 0
; FloatMode: 240
; IeeeMode: 1
; LDSByteSize: 0 bytes/workgroup (compile time only)
; SGPRBlocks: 0
; VGPRBlocks: 0
; NumSGPRsForWavesPerEU: 6
; NumVGPRsForWavesPerEU: 1
; AccumOffset: 4
; Occupancy: 8
; WaveLimiterHint : 0
; COMPUTE_PGM_RSRC2:SCRATCH_EN: 0
; COMPUTE_PGM_RSRC2:USER_SGPR: 2
; COMPUTE_PGM_RSRC2:TRAP_HANDLER: 0
; COMPUTE_PGM_RSRC2:TGID_X_EN: 1
; COMPUTE_PGM_RSRC2:TGID_Y_EN: 0
; COMPUTE_PGM_RSRC2:TGID_Z_EN: 0
; COMPUTE_PGM_RSRC2:TIDIG_COMP_CNT: 0
; COMPUTE_PGM_RSRC3_GFX90A:ACCUM_OFFSET: 0
; COMPUTE_PGM_RSRC3_GFX90A:TG_SPLIT: 0
	.section	.text._ZN7rocprim17ROCPRIM_400000_NS6detail17trampoline_kernelINS0_14default_configENS1_25partition_config_selectorILNS1_17partition_subalgoE0EtNS0_10empty_typeEbEEZZNS1_14partition_implILS5_0ELb0ES3_jN6thrust23THRUST_200600_302600_NS6detail15normal_iteratorINSA_10device_ptrItEEEEPS6_SG_NS0_5tupleIJSF_NSA_16discard_iteratorINSA_11use_defaultEEEEEENSH_IJSG_SG_EEES6_PlJ7is_evenItEEEE10hipError_tPvRmT3_T4_T5_T6_T7_T9_mT8_P12ihipStream_tbDpT10_ENKUlT_T0_E_clISt17integral_constantIbLb1EES19_EEDaS14_S15_EUlS14_E_NS1_11comp_targetILNS1_3genE10ELNS1_11target_archE1200ELNS1_3gpuE4ELNS1_3repE0EEENS1_30default_config_static_selectorELNS0_4arch9wavefront6targetE1EEEvT1_,"axG",@progbits,_ZN7rocprim17ROCPRIM_400000_NS6detail17trampoline_kernelINS0_14default_configENS1_25partition_config_selectorILNS1_17partition_subalgoE0EtNS0_10empty_typeEbEEZZNS1_14partition_implILS5_0ELb0ES3_jN6thrust23THRUST_200600_302600_NS6detail15normal_iteratorINSA_10device_ptrItEEEEPS6_SG_NS0_5tupleIJSF_NSA_16discard_iteratorINSA_11use_defaultEEEEEENSH_IJSG_SG_EEES6_PlJ7is_evenItEEEE10hipError_tPvRmT3_T4_T5_T6_T7_T9_mT8_P12ihipStream_tbDpT10_ENKUlT_T0_E_clISt17integral_constantIbLb1EES19_EEDaS14_S15_EUlS14_E_NS1_11comp_targetILNS1_3genE10ELNS1_11target_archE1200ELNS1_3gpuE4ELNS1_3repE0EEENS1_30default_config_static_selectorELNS0_4arch9wavefront6targetE1EEEvT1_,comdat
	.protected	_ZN7rocprim17ROCPRIM_400000_NS6detail17trampoline_kernelINS0_14default_configENS1_25partition_config_selectorILNS1_17partition_subalgoE0EtNS0_10empty_typeEbEEZZNS1_14partition_implILS5_0ELb0ES3_jN6thrust23THRUST_200600_302600_NS6detail15normal_iteratorINSA_10device_ptrItEEEEPS6_SG_NS0_5tupleIJSF_NSA_16discard_iteratorINSA_11use_defaultEEEEEENSH_IJSG_SG_EEES6_PlJ7is_evenItEEEE10hipError_tPvRmT3_T4_T5_T6_T7_T9_mT8_P12ihipStream_tbDpT10_ENKUlT_T0_E_clISt17integral_constantIbLb1EES19_EEDaS14_S15_EUlS14_E_NS1_11comp_targetILNS1_3genE10ELNS1_11target_archE1200ELNS1_3gpuE4ELNS1_3repE0EEENS1_30default_config_static_selectorELNS0_4arch9wavefront6targetE1EEEvT1_ ; -- Begin function _ZN7rocprim17ROCPRIM_400000_NS6detail17trampoline_kernelINS0_14default_configENS1_25partition_config_selectorILNS1_17partition_subalgoE0EtNS0_10empty_typeEbEEZZNS1_14partition_implILS5_0ELb0ES3_jN6thrust23THRUST_200600_302600_NS6detail15normal_iteratorINSA_10device_ptrItEEEEPS6_SG_NS0_5tupleIJSF_NSA_16discard_iteratorINSA_11use_defaultEEEEEENSH_IJSG_SG_EEES6_PlJ7is_evenItEEEE10hipError_tPvRmT3_T4_T5_T6_T7_T9_mT8_P12ihipStream_tbDpT10_ENKUlT_T0_E_clISt17integral_constantIbLb1EES19_EEDaS14_S15_EUlS14_E_NS1_11comp_targetILNS1_3genE10ELNS1_11target_archE1200ELNS1_3gpuE4ELNS1_3repE0EEENS1_30default_config_static_selectorELNS0_4arch9wavefront6targetE1EEEvT1_
	.globl	_ZN7rocprim17ROCPRIM_400000_NS6detail17trampoline_kernelINS0_14default_configENS1_25partition_config_selectorILNS1_17partition_subalgoE0EtNS0_10empty_typeEbEEZZNS1_14partition_implILS5_0ELb0ES3_jN6thrust23THRUST_200600_302600_NS6detail15normal_iteratorINSA_10device_ptrItEEEEPS6_SG_NS0_5tupleIJSF_NSA_16discard_iteratorINSA_11use_defaultEEEEEENSH_IJSG_SG_EEES6_PlJ7is_evenItEEEE10hipError_tPvRmT3_T4_T5_T6_T7_T9_mT8_P12ihipStream_tbDpT10_ENKUlT_T0_E_clISt17integral_constantIbLb1EES19_EEDaS14_S15_EUlS14_E_NS1_11comp_targetILNS1_3genE10ELNS1_11target_archE1200ELNS1_3gpuE4ELNS1_3repE0EEENS1_30default_config_static_selectorELNS0_4arch9wavefront6targetE1EEEvT1_
	.p2align	8
	.type	_ZN7rocprim17ROCPRIM_400000_NS6detail17trampoline_kernelINS0_14default_configENS1_25partition_config_selectorILNS1_17partition_subalgoE0EtNS0_10empty_typeEbEEZZNS1_14partition_implILS5_0ELb0ES3_jN6thrust23THRUST_200600_302600_NS6detail15normal_iteratorINSA_10device_ptrItEEEEPS6_SG_NS0_5tupleIJSF_NSA_16discard_iteratorINSA_11use_defaultEEEEEENSH_IJSG_SG_EEES6_PlJ7is_evenItEEEE10hipError_tPvRmT3_T4_T5_T6_T7_T9_mT8_P12ihipStream_tbDpT10_ENKUlT_T0_E_clISt17integral_constantIbLb1EES19_EEDaS14_S15_EUlS14_E_NS1_11comp_targetILNS1_3genE10ELNS1_11target_archE1200ELNS1_3gpuE4ELNS1_3repE0EEENS1_30default_config_static_selectorELNS0_4arch9wavefront6targetE1EEEvT1_,@function
_ZN7rocprim17ROCPRIM_400000_NS6detail17trampoline_kernelINS0_14default_configENS1_25partition_config_selectorILNS1_17partition_subalgoE0EtNS0_10empty_typeEbEEZZNS1_14partition_implILS5_0ELb0ES3_jN6thrust23THRUST_200600_302600_NS6detail15normal_iteratorINSA_10device_ptrItEEEEPS6_SG_NS0_5tupleIJSF_NSA_16discard_iteratorINSA_11use_defaultEEEEEENSH_IJSG_SG_EEES6_PlJ7is_evenItEEEE10hipError_tPvRmT3_T4_T5_T6_T7_T9_mT8_P12ihipStream_tbDpT10_ENKUlT_T0_E_clISt17integral_constantIbLb1EES19_EEDaS14_S15_EUlS14_E_NS1_11comp_targetILNS1_3genE10ELNS1_11target_archE1200ELNS1_3gpuE4ELNS1_3repE0EEENS1_30default_config_static_selectorELNS0_4arch9wavefront6targetE1EEEvT1_: ; @_ZN7rocprim17ROCPRIM_400000_NS6detail17trampoline_kernelINS0_14default_configENS1_25partition_config_selectorILNS1_17partition_subalgoE0EtNS0_10empty_typeEbEEZZNS1_14partition_implILS5_0ELb0ES3_jN6thrust23THRUST_200600_302600_NS6detail15normal_iteratorINSA_10device_ptrItEEEEPS6_SG_NS0_5tupleIJSF_NSA_16discard_iteratorINSA_11use_defaultEEEEEENSH_IJSG_SG_EEES6_PlJ7is_evenItEEEE10hipError_tPvRmT3_T4_T5_T6_T7_T9_mT8_P12ihipStream_tbDpT10_ENKUlT_T0_E_clISt17integral_constantIbLb1EES19_EEDaS14_S15_EUlS14_E_NS1_11comp_targetILNS1_3genE10ELNS1_11target_archE1200ELNS1_3gpuE4ELNS1_3repE0EEENS1_30default_config_static_selectorELNS0_4arch9wavefront6targetE1EEEvT1_
; %bb.0:
	.section	.rodata,"a",@progbits
	.p2align	6, 0x0
	.amdhsa_kernel _ZN7rocprim17ROCPRIM_400000_NS6detail17trampoline_kernelINS0_14default_configENS1_25partition_config_selectorILNS1_17partition_subalgoE0EtNS0_10empty_typeEbEEZZNS1_14partition_implILS5_0ELb0ES3_jN6thrust23THRUST_200600_302600_NS6detail15normal_iteratorINSA_10device_ptrItEEEEPS6_SG_NS0_5tupleIJSF_NSA_16discard_iteratorINSA_11use_defaultEEEEEENSH_IJSG_SG_EEES6_PlJ7is_evenItEEEE10hipError_tPvRmT3_T4_T5_T6_T7_T9_mT8_P12ihipStream_tbDpT10_ENKUlT_T0_E_clISt17integral_constantIbLb1EES19_EEDaS14_S15_EUlS14_E_NS1_11comp_targetILNS1_3genE10ELNS1_11target_archE1200ELNS1_3gpuE4ELNS1_3repE0EEENS1_30default_config_static_selectorELNS0_4arch9wavefront6targetE1EEEvT1_
		.amdhsa_group_segment_fixed_size 0
		.amdhsa_private_segment_fixed_size 0
		.amdhsa_kernarg_size 144
		.amdhsa_user_sgpr_count 2
		.amdhsa_user_sgpr_dispatch_ptr 0
		.amdhsa_user_sgpr_queue_ptr 0
		.amdhsa_user_sgpr_kernarg_segment_ptr 1
		.amdhsa_user_sgpr_dispatch_id 0
		.amdhsa_user_sgpr_kernarg_preload_length 0
		.amdhsa_user_sgpr_kernarg_preload_offset 0
		.amdhsa_user_sgpr_private_segment_size 0
		.amdhsa_uses_dynamic_stack 0
		.amdhsa_enable_private_segment 0
		.amdhsa_system_sgpr_workgroup_id_x 1
		.amdhsa_system_sgpr_workgroup_id_y 0
		.amdhsa_system_sgpr_workgroup_id_z 0
		.amdhsa_system_sgpr_workgroup_info 0
		.amdhsa_system_vgpr_workitem_id 0
		.amdhsa_next_free_vgpr 1
		.amdhsa_next_free_sgpr 0
		.amdhsa_accum_offset 4
		.amdhsa_reserve_vcc 0
		.amdhsa_float_round_mode_32 0
		.amdhsa_float_round_mode_16_64 0
		.amdhsa_float_denorm_mode_32 3
		.amdhsa_float_denorm_mode_16_64 3
		.amdhsa_dx10_clamp 1
		.amdhsa_ieee_mode 1
		.amdhsa_fp16_overflow 0
		.amdhsa_tg_split 0
		.amdhsa_exception_fp_ieee_invalid_op 0
		.amdhsa_exception_fp_denorm_src 0
		.amdhsa_exception_fp_ieee_div_zero 0
		.amdhsa_exception_fp_ieee_overflow 0
		.amdhsa_exception_fp_ieee_underflow 0
		.amdhsa_exception_fp_ieee_inexact 0
		.amdhsa_exception_int_div_zero 0
	.end_amdhsa_kernel
	.section	.text._ZN7rocprim17ROCPRIM_400000_NS6detail17trampoline_kernelINS0_14default_configENS1_25partition_config_selectorILNS1_17partition_subalgoE0EtNS0_10empty_typeEbEEZZNS1_14partition_implILS5_0ELb0ES3_jN6thrust23THRUST_200600_302600_NS6detail15normal_iteratorINSA_10device_ptrItEEEEPS6_SG_NS0_5tupleIJSF_NSA_16discard_iteratorINSA_11use_defaultEEEEEENSH_IJSG_SG_EEES6_PlJ7is_evenItEEEE10hipError_tPvRmT3_T4_T5_T6_T7_T9_mT8_P12ihipStream_tbDpT10_ENKUlT_T0_E_clISt17integral_constantIbLb1EES19_EEDaS14_S15_EUlS14_E_NS1_11comp_targetILNS1_3genE10ELNS1_11target_archE1200ELNS1_3gpuE4ELNS1_3repE0EEENS1_30default_config_static_selectorELNS0_4arch9wavefront6targetE1EEEvT1_,"axG",@progbits,_ZN7rocprim17ROCPRIM_400000_NS6detail17trampoline_kernelINS0_14default_configENS1_25partition_config_selectorILNS1_17partition_subalgoE0EtNS0_10empty_typeEbEEZZNS1_14partition_implILS5_0ELb0ES3_jN6thrust23THRUST_200600_302600_NS6detail15normal_iteratorINSA_10device_ptrItEEEEPS6_SG_NS0_5tupleIJSF_NSA_16discard_iteratorINSA_11use_defaultEEEEEENSH_IJSG_SG_EEES6_PlJ7is_evenItEEEE10hipError_tPvRmT3_T4_T5_T6_T7_T9_mT8_P12ihipStream_tbDpT10_ENKUlT_T0_E_clISt17integral_constantIbLb1EES19_EEDaS14_S15_EUlS14_E_NS1_11comp_targetILNS1_3genE10ELNS1_11target_archE1200ELNS1_3gpuE4ELNS1_3repE0EEENS1_30default_config_static_selectorELNS0_4arch9wavefront6targetE1EEEvT1_,comdat
.Lfunc_end2536:
	.size	_ZN7rocprim17ROCPRIM_400000_NS6detail17trampoline_kernelINS0_14default_configENS1_25partition_config_selectorILNS1_17partition_subalgoE0EtNS0_10empty_typeEbEEZZNS1_14partition_implILS5_0ELb0ES3_jN6thrust23THRUST_200600_302600_NS6detail15normal_iteratorINSA_10device_ptrItEEEEPS6_SG_NS0_5tupleIJSF_NSA_16discard_iteratorINSA_11use_defaultEEEEEENSH_IJSG_SG_EEES6_PlJ7is_evenItEEEE10hipError_tPvRmT3_T4_T5_T6_T7_T9_mT8_P12ihipStream_tbDpT10_ENKUlT_T0_E_clISt17integral_constantIbLb1EES19_EEDaS14_S15_EUlS14_E_NS1_11comp_targetILNS1_3genE10ELNS1_11target_archE1200ELNS1_3gpuE4ELNS1_3repE0EEENS1_30default_config_static_selectorELNS0_4arch9wavefront6targetE1EEEvT1_, .Lfunc_end2536-_ZN7rocprim17ROCPRIM_400000_NS6detail17trampoline_kernelINS0_14default_configENS1_25partition_config_selectorILNS1_17partition_subalgoE0EtNS0_10empty_typeEbEEZZNS1_14partition_implILS5_0ELb0ES3_jN6thrust23THRUST_200600_302600_NS6detail15normal_iteratorINSA_10device_ptrItEEEEPS6_SG_NS0_5tupleIJSF_NSA_16discard_iteratorINSA_11use_defaultEEEEEENSH_IJSG_SG_EEES6_PlJ7is_evenItEEEE10hipError_tPvRmT3_T4_T5_T6_T7_T9_mT8_P12ihipStream_tbDpT10_ENKUlT_T0_E_clISt17integral_constantIbLb1EES19_EEDaS14_S15_EUlS14_E_NS1_11comp_targetILNS1_3genE10ELNS1_11target_archE1200ELNS1_3gpuE4ELNS1_3repE0EEENS1_30default_config_static_selectorELNS0_4arch9wavefront6targetE1EEEvT1_
                                        ; -- End function
	.section	.AMDGPU.csdata,"",@progbits
; Kernel info:
; codeLenInByte = 0
; NumSgprs: 6
; NumVgprs: 0
; NumAgprs: 0
; TotalNumVgprs: 0
; ScratchSize: 0
; MemoryBound: 0
; FloatMode: 240
; IeeeMode: 1
; LDSByteSize: 0 bytes/workgroup (compile time only)
; SGPRBlocks: 0
; VGPRBlocks: 0
; NumSGPRsForWavesPerEU: 6
; NumVGPRsForWavesPerEU: 1
; AccumOffset: 4
; Occupancy: 8
; WaveLimiterHint : 0
; COMPUTE_PGM_RSRC2:SCRATCH_EN: 0
; COMPUTE_PGM_RSRC2:USER_SGPR: 2
; COMPUTE_PGM_RSRC2:TRAP_HANDLER: 0
; COMPUTE_PGM_RSRC2:TGID_X_EN: 1
; COMPUTE_PGM_RSRC2:TGID_Y_EN: 0
; COMPUTE_PGM_RSRC2:TGID_Z_EN: 0
; COMPUTE_PGM_RSRC2:TIDIG_COMP_CNT: 0
; COMPUTE_PGM_RSRC3_GFX90A:ACCUM_OFFSET: 0
; COMPUTE_PGM_RSRC3_GFX90A:TG_SPLIT: 0
	.section	.text._ZN7rocprim17ROCPRIM_400000_NS6detail17trampoline_kernelINS0_14default_configENS1_25partition_config_selectorILNS1_17partition_subalgoE0EtNS0_10empty_typeEbEEZZNS1_14partition_implILS5_0ELb0ES3_jN6thrust23THRUST_200600_302600_NS6detail15normal_iteratorINSA_10device_ptrItEEEEPS6_SG_NS0_5tupleIJSF_NSA_16discard_iteratorINSA_11use_defaultEEEEEENSH_IJSG_SG_EEES6_PlJ7is_evenItEEEE10hipError_tPvRmT3_T4_T5_T6_T7_T9_mT8_P12ihipStream_tbDpT10_ENKUlT_T0_E_clISt17integral_constantIbLb1EES19_EEDaS14_S15_EUlS14_E_NS1_11comp_targetILNS1_3genE9ELNS1_11target_archE1100ELNS1_3gpuE3ELNS1_3repE0EEENS1_30default_config_static_selectorELNS0_4arch9wavefront6targetE1EEEvT1_,"axG",@progbits,_ZN7rocprim17ROCPRIM_400000_NS6detail17trampoline_kernelINS0_14default_configENS1_25partition_config_selectorILNS1_17partition_subalgoE0EtNS0_10empty_typeEbEEZZNS1_14partition_implILS5_0ELb0ES3_jN6thrust23THRUST_200600_302600_NS6detail15normal_iteratorINSA_10device_ptrItEEEEPS6_SG_NS0_5tupleIJSF_NSA_16discard_iteratorINSA_11use_defaultEEEEEENSH_IJSG_SG_EEES6_PlJ7is_evenItEEEE10hipError_tPvRmT3_T4_T5_T6_T7_T9_mT8_P12ihipStream_tbDpT10_ENKUlT_T0_E_clISt17integral_constantIbLb1EES19_EEDaS14_S15_EUlS14_E_NS1_11comp_targetILNS1_3genE9ELNS1_11target_archE1100ELNS1_3gpuE3ELNS1_3repE0EEENS1_30default_config_static_selectorELNS0_4arch9wavefront6targetE1EEEvT1_,comdat
	.protected	_ZN7rocprim17ROCPRIM_400000_NS6detail17trampoline_kernelINS0_14default_configENS1_25partition_config_selectorILNS1_17partition_subalgoE0EtNS0_10empty_typeEbEEZZNS1_14partition_implILS5_0ELb0ES3_jN6thrust23THRUST_200600_302600_NS6detail15normal_iteratorINSA_10device_ptrItEEEEPS6_SG_NS0_5tupleIJSF_NSA_16discard_iteratorINSA_11use_defaultEEEEEENSH_IJSG_SG_EEES6_PlJ7is_evenItEEEE10hipError_tPvRmT3_T4_T5_T6_T7_T9_mT8_P12ihipStream_tbDpT10_ENKUlT_T0_E_clISt17integral_constantIbLb1EES19_EEDaS14_S15_EUlS14_E_NS1_11comp_targetILNS1_3genE9ELNS1_11target_archE1100ELNS1_3gpuE3ELNS1_3repE0EEENS1_30default_config_static_selectorELNS0_4arch9wavefront6targetE1EEEvT1_ ; -- Begin function _ZN7rocprim17ROCPRIM_400000_NS6detail17trampoline_kernelINS0_14default_configENS1_25partition_config_selectorILNS1_17partition_subalgoE0EtNS0_10empty_typeEbEEZZNS1_14partition_implILS5_0ELb0ES3_jN6thrust23THRUST_200600_302600_NS6detail15normal_iteratorINSA_10device_ptrItEEEEPS6_SG_NS0_5tupleIJSF_NSA_16discard_iteratorINSA_11use_defaultEEEEEENSH_IJSG_SG_EEES6_PlJ7is_evenItEEEE10hipError_tPvRmT3_T4_T5_T6_T7_T9_mT8_P12ihipStream_tbDpT10_ENKUlT_T0_E_clISt17integral_constantIbLb1EES19_EEDaS14_S15_EUlS14_E_NS1_11comp_targetILNS1_3genE9ELNS1_11target_archE1100ELNS1_3gpuE3ELNS1_3repE0EEENS1_30default_config_static_selectorELNS0_4arch9wavefront6targetE1EEEvT1_
	.globl	_ZN7rocprim17ROCPRIM_400000_NS6detail17trampoline_kernelINS0_14default_configENS1_25partition_config_selectorILNS1_17partition_subalgoE0EtNS0_10empty_typeEbEEZZNS1_14partition_implILS5_0ELb0ES3_jN6thrust23THRUST_200600_302600_NS6detail15normal_iteratorINSA_10device_ptrItEEEEPS6_SG_NS0_5tupleIJSF_NSA_16discard_iteratorINSA_11use_defaultEEEEEENSH_IJSG_SG_EEES6_PlJ7is_evenItEEEE10hipError_tPvRmT3_T4_T5_T6_T7_T9_mT8_P12ihipStream_tbDpT10_ENKUlT_T0_E_clISt17integral_constantIbLb1EES19_EEDaS14_S15_EUlS14_E_NS1_11comp_targetILNS1_3genE9ELNS1_11target_archE1100ELNS1_3gpuE3ELNS1_3repE0EEENS1_30default_config_static_selectorELNS0_4arch9wavefront6targetE1EEEvT1_
	.p2align	8
	.type	_ZN7rocprim17ROCPRIM_400000_NS6detail17trampoline_kernelINS0_14default_configENS1_25partition_config_selectorILNS1_17partition_subalgoE0EtNS0_10empty_typeEbEEZZNS1_14partition_implILS5_0ELb0ES3_jN6thrust23THRUST_200600_302600_NS6detail15normal_iteratorINSA_10device_ptrItEEEEPS6_SG_NS0_5tupleIJSF_NSA_16discard_iteratorINSA_11use_defaultEEEEEENSH_IJSG_SG_EEES6_PlJ7is_evenItEEEE10hipError_tPvRmT3_T4_T5_T6_T7_T9_mT8_P12ihipStream_tbDpT10_ENKUlT_T0_E_clISt17integral_constantIbLb1EES19_EEDaS14_S15_EUlS14_E_NS1_11comp_targetILNS1_3genE9ELNS1_11target_archE1100ELNS1_3gpuE3ELNS1_3repE0EEENS1_30default_config_static_selectorELNS0_4arch9wavefront6targetE1EEEvT1_,@function
_ZN7rocprim17ROCPRIM_400000_NS6detail17trampoline_kernelINS0_14default_configENS1_25partition_config_selectorILNS1_17partition_subalgoE0EtNS0_10empty_typeEbEEZZNS1_14partition_implILS5_0ELb0ES3_jN6thrust23THRUST_200600_302600_NS6detail15normal_iteratorINSA_10device_ptrItEEEEPS6_SG_NS0_5tupleIJSF_NSA_16discard_iteratorINSA_11use_defaultEEEEEENSH_IJSG_SG_EEES6_PlJ7is_evenItEEEE10hipError_tPvRmT3_T4_T5_T6_T7_T9_mT8_P12ihipStream_tbDpT10_ENKUlT_T0_E_clISt17integral_constantIbLb1EES19_EEDaS14_S15_EUlS14_E_NS1_11comp_targetILNS1_3genE9ELNS1_11target_archE1100ELNS1_3gpuE3ELNS1_3repE0EEENS1_30default_config_static_selectorELNS0_4arch9wavefront6targetE1EEEvT1_: ; @_ZN7rocprim17ROCPRIM_400000_NS6detail17trampoline_kernelINS0_14default_configENS1_25partition_config_selectorILNS1_17partition_subalgoE0EtNS0_10empty_typeEbEEZZNS1_14partition_implILS5_0ELb0ES3_jN6thrust23THRUST_200600_302600_NS6detail15normal_iteratorINSA_10device_ptrItEEEEPS6_SG_NS0_5tupleIJSF_NSA_16discard_iteratorINSA_11use_defaultEEEEEENSH_IJSG_SG_EEES6_PlJ7is_evenItEEEE10hipError_tPvRmT3_T4_T5_T6_T7_T9_mT8_P12ihipStream_tbDpT10_ENKUlT_T0_E_clISt17integral_constantIbLb1EES19_EEDaS14_S15_EUlS14_E_NS1_11comp_targetILNS1_3genE9ELNS1_11target_archE1100ELNS1_3gpuE3ELNS1_3repE0EEENS1_30default_config_static_selectorELNS0_4arch9wavefront6targetE1EEEvT1_
; %bb.0:
	.section	.rodata,"a",@progbits
	.p2align	6, 0x0
	.amdhsa_kernel _ZN7rocprim17ROCPRIM_400000_NS6detail17trampoline_kernelINS0_14default_configENS1_25partition_config_selectorILNS1_17partition_subalgoE0EtNS0_10empty_typeEbEEZZNS1_14partition_implILS5_0ELb0ES3_jN6thrust23THRUST_200600_302600_NS6detail15normal_iteratorINSA_10device_ptrItEEEEPS6_SG_NS0_5tupleIJSF_NSA_16discard_iteratorINSA_11use_defaultEEEEEENSH_IJSG_SG_EEES6_PlJ7is_evenItEEEE10hipError_tPvRmT3_T4_T5_T6_T7_T9_mT8_P12ihipStream_tbDpT10_ENKUlT_T0_E_clISt17integral_constantIbLb1EES19_EEDaS14_S15_EUlS14_E_NS1_11comp_targetILNS1_3genE9ELNS1_11target_archE1100ELNS1_3gpuE3ELNS1_3repE0EEENS1_30default_config_static_selectorELNS0_4arch9wavefront6targetE1EEEvT1_
		.amdhsa_group_segment_fixed_size 0
		.amdhsa_private_segment_fixed_size 0
		.amdhsa_kernarg_size 144
		.amdhsa_user_sgpr_count 2
		.amdhsa_user_sgpr_dispatch_ptr 0
		.amdhsa_user_sgpr_queue_ptr 0
		.amdhsa_user_sgpr_kernarg_segment_ptr 1
		.amdhsa_user_sgpr_dispatch_id 0
		.amdhsa_user_sgpr_kernarg_preload_length 0
		.amdhsa_user_sgpr_kernarg_preload_offset 0
		.amdhsa_user_sgpr_private_segment_size 0
		.amdhsa_uses_dynamic_stack 0
		.amdhsa_enable_private_segment 0
		.amdhsa_system_sgpr_workgroup_id_x 1
		.amdhsa_system_sgpr_workgroup_id_y 0
		.amdhsa_system_sgpr_workgroup_id_z 0
		.amdhsa_system_sgpr_workgroup_info 0
		.amdhsa_system_vgpr_workitem_id 0
		.amdhsa_next_free_vgpr 1
		.amdhsa_next_free_sgpr 0
		.amdhsa_accum_offset 4
		.amdhsa_reserve_vcc 0
		.amdhsa_float_round_mode_32 0
		.amdhsa_float_round_mode_16_64 0
		.amdhsa_float_denorm_mode_32 3
		.amdhsa_float_denorm_mode_16_64 3
		.amdhsa_dx10_clamp 1
		.amdhsa_ieee_mode 1
		.amdhsa_fp16_overflow 0
		.amdhsa_tg_split 0
		.amdhsa_exception_fp_ieee_invalid_op 0
		.amdhsa_exception_fp_denorm_src 0
		.amdhsa_exception_fp_ieee_div_zero 0
		.amdhsa_exception_fp_ieee_overflow 0
		.amdhsa_exception_fp_ieee_underflow 0
		.amdhsa_exception_fp_ieee_inexact 0
		.amdhsa_exception_int_div_zero 0
	.end_amdhsa_kernel
	.section	.text._ZN7rocprim17ROCPRIM_400000_NS6detail17trampoline_kernelINS0_14default_configENS1_25partition_config_selectorILNS1_17partition_subalgoE0EtNS0_10empty_typeEbEEZZNS1_14partition_implILS5_0ELb0ES3_jN6thrust23THRUST_200600_302600_NS6detail15normal_iteratorINSA_10device_ptrItEEEEPS6_SG_NS0_5tupleIJSF_NSA_16discard_iteratorINSA_11use_defaultEEEEEENSH_IJSG_SG_EEES6_PlJ7is_evenItEEEE10hipError_tPvRmT3_T4_T5_T6_T7_T9_mT8_P12ihipStream_tbDpT10_ENKUlT_T0_E_clISt17integral_constantIbLb1EES19_EEDaS14_S15_EUlS14_E_NS1_11comp_targetILNS1_3genE9ELNS1_11target_archE1100ELNS1_3gpuE3ELNS1_3repE0EEENS1_30default_config_static_selectorELNS0_4arch9wavefront6targetE1EEEvT1_,"axG",@progbits,_ZN7rocprim17ROCPRIM_400000_NS6detail17trampoline_kernelINS0_14default_configENS1_25partition_config_selectorILNS1_17partition_subalgoE0EtNS0_10empty_typeEbEEZZNS1_14partition_implILS5_0ELb0ES3_jN6thrust23THRUST_200600_302600_NS6detail15normal_iteratorINSA_10device_ptrItEEEEPS6_SG_NS0_5tupleIJSF_NSA_16discard_iteratorINSA_11use_defaultEEEEEENSH_IJSG_SG_EEES6_PlJ7is_evenItEEEE10hipError_tPvRmT3_T4_T5_T6_T7_T9_mT8_P12ihipStream_tbDpT10_ENKUlT_T0_E_clISt17integral_constantIbLb1EES19_EEDaS14_S15_EUlS14_E_NS1_11comp_targetILNS1_3genE9ELNS1_11target_archE1100ELNS1_3gpuE3ELNS1_3repE0EEENS1_30default_config_static_selectorELNS0_4arch9wavefront6targetE1EEEvT1_,comdat
.Lfunc_end2537:
	.size	_ZN7rocprim17ROCPRIM_400000_NS6detail17trampoline_kernelINS0_14default_configENS1_25partition_config_selectorILNS1_17partition_subalgoE0EtNS0_10empty_typeEbEEZZNS1_14partition_implILS5_0ELb0ES3_jN6thrust23THRUST_200600_302600_NS6detail15normal_iteratorINSA_10device_ptrItEEEEPS6_SG_NS0_5tupleIJSF_NSA_16discard_iteratorINSA_11use_defaultEEEEEENSH_IJSG_SG_EEES6_PlJ7is_evenItEEEE10hipError_tPvRmT3_T4_T5_T6_T7_T9_mT8_P12ihipStream_tbDpT10_ENKUlT_T0_E_clISt17integral_constantIbLb1EES19_EEDaS14_S15_EUlS14_E_NS1_11comp_targetILNS1_3genE9ELNS1_11target_archE1100ELNS1_3gpuE3ELNS1_3repE0EEENS1_30default_config_static_selectorELNS0_4arch9wavefront6targetE1EEEvT1_, .Lfunc_end2537-_ZN7rocprim17ROCPRIM_400000_NS6detail17trampoline_kernelINS0_14default_configENS1_25partition_config_selectorILNS1_17partition_subalgoE0EtNS0_10empty_typeEbEEZZNS1_14partition_implILS5_0ELb0ES3_jN6thrust23THRUST_200600_302600_NS6detail15normal_iteratorINSA_10device_ptrItEEEEPS6_SG_NS0_5tupleIJSF_NSA_16discard_iteratorINSA_11use_defaultEEEEEENSH_IJSG_SG_EEES6_PlJ7is_evenItEEEE10hipError_tPvRmT3_T4_T5_T6_T7_T9_mT8_P12ihipStream_tbDpT10_ENKUlT_T0_E_clISt17integral_constantIbLb1EES19_EEDaS14_S15_EUlS14_E_NS1_11comp_targetILNS1_3genE9ELNS1_11target_archE1100ELNS1_3gpuE3ELNS1_3repE0EEENS1_30default_config_static_selectorELNS0_4arch9wavefront6targetE1EEEvT1_
                                        ; -- End function
	.section	.AMDGPU.csdata,"",@progbits
; Kernel info:
; codeLenInByte = 0
; NumSgprs: 6
; NumVgprs: 0
; NumAgprs: 0
; TotalNumVgprs: 0
; ScratchSize: 0
; MemoryBound: 0
; FloatMode: 240
; IeeeMode: 1
; LDSByteSize: 0 bytes/workgroup (compile time only)
; SGPRBlocks: 0
; VGPRBlocks: 0
; NumSGPRsForWavesPerEU: 6
; NumVGPRsForWavesPerEU: 1
; AccumOffset: 4
; Occupancy: 8
; WaveLimiterHint : 0
; COMPUTE_PGM_RSRC2:SCRATCH_EN: 0
; COMPUTE_PGM_RSRC2:USER_SGPR: 2
; COMPUTE_PGM_RSRC2:TRAP_HANDLER: 0
; COMPUTE_PGM_RSRC2:TGID_X_EN: 1
; COMPUTE_PGM_RSRC2:TGID_Y_EN: 0
; COMPUTE_PGM_RSRC2:TGID_Z_EN: 0
; COMPUTE_PGM_RSRC2:TIDIG_COMP_CNT: 0
; COMPUTE_PGM_RSRC3_GFX90A:ACCUM_OFFSET: 0
; COMPUTE_PGM_RSRC3_GFX90A:TG_SPLIT: 0
	.section	.text._ZN7rocprim17ROCPRIM_400000_NS6detail17trampoline_kernelINS0_14default_configENS1_25partition_config_selectorILNS1_17partition_subalgoE0EtNS0_10empty_typeEbEEZZNS1_14partition_implILS5_0ELb0ES3_jN6thrust23THRUST_200600_302600_NS6detail15normal_iteratorINSA_10device_ptrItEEEEPS6_SG_NS0_5tupleIJSF_NSA_16discard_iteratorINSA_11use_defaultEEEEEENSH_IJSG_SG_EEES6_PlJ7is_evenItEEEE10hipError_tPvRmT3_T4_T5_T6_T7_T9_mT8_P12ihipStream_tbDpT10_ENKUlT_T0_E_clISt17integral_constantIbLb1EES19_EEDaS14_S15_EUlS14_E_NS1_11comp_targetILNS1_3genE8ELNS1_11target_archE1030ELNS1_3gpuE2ELNS1_3repE0EEENS1_30default_config_static_selectorELNS0_4arch9wavefront6targetE1EEEvT1_,"axG",@progbits,_ZN7rocprim17ROCPRIM_400000_NS6detail17trampoline_kernelINS0_14default_configENS1_25partition_config_selectorILNS1_17partition_subalgoE0EtNS0_10empty_typeEbEEZZNS1_14partition_implILS5_0ELb0ES3_jN6thrust23THRUST_200600_302600_NS6detail15normal_iteratorINSA_10device_ptrItEEEEPS6_SG_NS0_5tupleIJSF_NSA_16discard_iteratorINSA_11use_defaultEEEEEENSH_IJSG_SG_EEES6_PlJ7is_evenItEEEE10hipError_tPvRmT3_T4_T5_T6_T7_T9_mT8_P12ihipStream_tbDpT10_ENKUlT_T0_E_clISt17integral_constantIbLb1EES19_EEDaS14_S15_EUlS14_E_NS1_11comp_targetILNS1_3genE8ELNS1_11target_archE1030ELNS1_3gpuE2ELNS1_3repE0EEENS1_30default_config_static_selectorELNS0_4arch9wavefront6targetE1EEEvT1_,comdat
	.protected	_ZN7rocprim17ROCPRIM_400000_NS6detail17trampoline_kernelINS0_14default_configENS1_25partition_config_selectorILNS1_17partition_subalgoE0EtNS0_10empty_typeEbEEZZNS1_14partition_implILS5_0ELb0ES3_jN6thrust23THRUST_200600_302600_NS6detail15normal_iteratorINSA_10device_ptrItEEEEPS6_SG_NS0_5tupleIJSF_NSA_16discard_iteratorINSA_11use_defaultEEEEEENSH_IJSG_SG_EEES6_PlJ7is_evenItEEEE10hipError_tPvRmT3_T4_T5_T6_T7_T9_mT8_P12ihipStream_tbDpT10_ENKUlT_T0_E_clISt17integral_constantIbLb1EES19_EEDaS14_S15_EUlS14_E_NS1_11comp_targetILNS1_3genE8ELNS1_11target_archE1030ELNS1_3gpuE2ELNS1_3repE0EEENS1_30default_config_static_selectorELNS0_4arch9wavefront6targetE1EEEvT1_ ; -- Begin function _ZN7rocprim17ROCPRIM_400000_NS6detail17trampoline_kernelINS0_14default_configENS1_25partition_config_selectorILNS1_17partition_subalgoE0EtNS0_10empty_typeEbEEZZNS1_14partition_implILS5_0ELb0ES3_jN6thrust23THRUST_200600_302600_NS6detail15normal_iteratorINSA_10device_ptrItEEEEPS6_SG_NS0_5tupleIJSF_NSA_16discard_iteratorINSA_11use_defaultEEEEEENSH_IJSG_SG_EEES6_PlJ7is_evenItEEEE10hipError_tPvRmT3_T4_T5_T6_T7_T9_mT8_P12ihipStream_tbDpT10_ENKUlT_T0_E_clISt17integral_constantIbLb1EES19_EEDaS14_S15_EUlS14_E_NS1_11comp_targetILNS1_3genE8ELNS1_11target_archE1030ELNS1_3gpuE2ELNS1_3repE0EEENS1_30default_config_static_selectorELNS0_4arch9wavefront6targetE1EEEvT1_
	.globl	_ZN7rocprim17ROCPRIM_400000_NS6detail17trampoline_kernelINS0_14default_configENS1_25partition_config_selectorILNS1_17partition_subalgoE0EtNS0_10empty_typeEbEEZZNS1_14partition_implILS5_0ELb0ES3_jN6thrust23THRUST_200600_302600_NS6detail15normal_iteratorINSA_10device_ptrItEEEEPS6_SG_NS0_5tupleIJSF_NSA_16discard_iteratorINSA_11use_defaultEEEEEENSH_IJSG_SG_EEES6_PlJ7is_evenItEEEE10hipError_tPvRmT3_T4_T5_T6_T7_T9_mT8_P12ihipStream_tbDpT10_ENKUlT_T0_E_clISt17integral_constantIbLb1EES19_EEDaS14_S15_EUlS14_E_NS1_11comp_targetILNS1_3genE8ELNS1_11target_archE1030ELNS1_3gpuE2ELNS1_3repE0EEENS1_30default_config_static_selectorELNS0_4arch9wavefront6targetE1EEEvT1_
	.p2align	8
	.type	_ZN7rocprim17ROCPRIM_400000_NS6detail17trampoline_kernelINS0_14default_configENS1_25partition_config_selectorILNS1_17partition_subalgoE0EtNS0_10empty_typeEbEEZZNS1_14partition_implILS5_0ELb0ES3_jN6thrust23THRUST_200600_302600_NS6detail15normal_iteratorINSA_10device_ptrItEEEEPS6_SG_NS0_5tupleIJSF_NSA_16discard_iteratorINSA_11use_defaultEEEEEENSH_IJSG_SG_EEES6_PlJ7is_evenItEEEE10hipError_tPvRmT3_T4_T5_T6_T7_T9_mT8_P12ihipStream_tbDpT10_ENKUlT_T0_E_clISt17integral_constantIbLb1EES19_EEDaS14_S15_EUlS14_E_NS1_11comp_targetILNS1_3genE8ELNS1_11target_archE1030ELNS1_3gpuE2ELNS1_3repE0EEENS1_30default_config_static_selectorELNS0_4arch9wavefront6targetE1EEEvT1_,@function
_ZN7rocprim17ROCPRIM_400000_NS6detail17trampoline_kernelINS0_14default_configENS1_25partition_config_selectorILNS1_17partition_subalgoE0EtNS0_10empty_typeEbEEZZNS1_14partition_implILS5_0ELb0ES3_jN6thrust23THRUST_200600_302600_NS6detail15normal_iteratorINSA_10device_ptrItEEEEPS6_SG_NS0_5tupleIJSF_NSA_16discard_iteratorINSA_11use_defaultEEEEEENSH_IJSG_SG_EEES6_PlJ7is_evenItEEEE10hipError_tPvRmT3_T4_T5_T6_T7_T9_mT8_P12ihipStream_tbDpT10_ENKUlT_T0_E_clISt17integral_constantIbLb1EES19_EEDaS14_S15_EUlS14_E_NS1_11comp_targetILNS1_3genE8ELNS1_11target_archE1030ELNS1_3gpuE2ELNS1_3repE0EEENS1_30default_config_static_selectorELNS0_4arch9wavefront6targetE1EEEvT1_: ; @_ZN7rocprim17ROCPRIM_400000_NS6detail17trampoline_kernelINS0_14default_configENS1_25partition_config_selectorILNS1_17partition_subalgoE0EtNS0_10empty_typeEbEEZZNS1_14partition_implILS5_0ELb0ES3_jN6thrust23THRUST_200600_302600_NS6detail15normal_iteratorINSA_10device_ptrItEEEEPS6_SG_NS0_5tupleIJSF_NSA_16discard_iteratorINSA_11use_defaultEEEEEENSH_IJSG_SG_EEES6_PlJ7is_evenItEEEE10hipError_tPvRmT3_T4_T5_T6_T7_T9_mT8_P12ihipStream_tbDpT10_ENKUlT_T0_E_clISt17integral_constantIbLb1EES19_EEDaS14_S15_EUlS14_E_NS1_11comp_targetILNS1_3genE8ELNS1_11target_archE1030ELNS1_3gpuE2ELNS1_3repE0EEENS1_30default_config_static_selectorELNS0_4arch9wavefront6targetE1EEEvT1_
; %bb.0:
	.section	.rodata,"a",@progbits
	.p2align	6, 0x0
	.amdhsa_kernel _ZN7rocprim17ROCPRIM_400000_NS6detail17trampoline_kernelINS0_14default_configENS1_25partition_config_selectorILNS1_17partition_subalgoE0EtNS0_10empty_typeEbEEZZNS1_14partition_implILS5_0ELb0ES3_jN6thrust23THRUST_200600_302600_NS6detail15normal_iteratorINSA_10device_ptrItEEEEPS6_SG_NS0_5tupleIJSF_NSA_16discard_iteratorINSA_11use_defaultEEEEEENSH_IJSG_SG_EEES6_PlJ7is_evenItEEEE10hipError_tPvRmT3_T4_T5_T6_T7_T9_mT8_P12ihipStream_tbDpT10_ENKUlT_T0_E_clISt17integral_constantIbLb1EES19_EEDaS14_S15_EUlS14_E_NS1_11comp_targetILNS1_3genE8ELNS1_11target_archE1030ELNS1_3gpuE2ELNS1_3repE0EEENS1_30default_config_static_selectorELNS0_4arch9wavefront6targetE1EEEvT1_
		.amdhsa_group_segment_fixed_size 0
		.amdhsa_private_segment_fixed_size 0
		.amdhsa_kernarg_size 144
		.amdhsa_user_sgpr_count 2
		.amdhsa_user_sgpr_dispatch_ptr 0
		.amdhsa_user_sgpr_queue_ptr 0
		.amdhsa_user_sgpr_kernarg_segment_ptr 1
		.amdhsa_user_sgpr_dispatch_id 0
		.amdhsa_user_sgpr_kernarg_preload_length 0
		.amdhsa_user_sgpr_kernarg_preload_offset 0
		.amdhsa_user_sgpr_private_segment_size 0
		.amdhsa_uses_dynamic_stack 0
		.amdhsa_enable_private_segment 0
		.amdhsa_system_sgpr_workgroup_id_x 1
		.amdhsa_system_sgpr_workgroup_id_y 0
		.amdhsa_system_sgpr_workgroup_id_z 0
		.amdhsa_system_sgpr_workgroup_info 0
		.amdhsa_system_vgpr_workitem_id 0
		.amdhsa_next_free_vgpr 1
		.amdhsa_next_free_sgpr 0
		.amdhsa_accum_offset 4
		.amdhsa_reserve_vcc 0
		.amdhsa_float_round_mode_32 0
		.amdhsa_float_round_mode_16_64 0
		.amdhsa_float_denorm_mode_32 3
		.amdhsa_float_denorm_mode_16_64 3
		.amdhsa_dx10_clamp 1
		.amdhsa_ieee_mode 1
		.amdhsa_fp16_overflow 0
		.amdhsa_tg_split 0
		.amdhsa_exception_fp_ieee_invalid_op 0
		.amdhsa_exception_fp_denorm_src 0
		.amdhsa_exception_fp_ieee_div_zero 0
		.amdhsa_exception_fp_ieee_overflow 0
		.amdhsa_exception_fp_ieee_underflow 0
		.amdhsa_exception_fp_ieee_inexact 0
		.amdhsa_exception_int_div_zero 0
	.end_amdhsa_kernel
	.section	.text._ZN7rocprim17ROCPRIM_400000_NS6detail17trampoline_kernelINS0_14default_configENS1_25partition_config_selectorILNS1_17partition_subalgoE0EtNS0_10empty_typeEbEEZZNS1_14partition_implILS5_0ELb0ES3_jN6thrust23THRUST_200600_302600_NS6detail15normal_iteratorINSA_10device_ptrItEEEEPS6_SG_NS0_5tupleIJSF_NSA_16discard_iteratorINSA_11use_defaultEEEEEENSH_IJSG_SG_EEES6_PlJ7is_evenItEEEE10hipError_tPvRmT3_T4_T5_T6_T7_T9_mT8_P12ihipStream_tbDpT10_ENKUlT_T0_E_clISt17integral_constantIbLb1EES19_EEDaS14_S15_EUlS14_E_NS1_11comp_targetILNS1_3genE8ELNS1_11target_archE1030ELNS1_3gpuE2ELNS1_3repE0EEENS1_30default_config_static_selectorELNS0_4arch9wavefront6targetE1EEEvT1_,"axG",@progbits,_ZN7rocprim17ROCPRIM_400000_NS6detail17trampoline_kernelINS0_14default_configENS1_25partition_config_selectorILNS1_17partition_subalgoE0EtNS0_10empty_typeEbEEZZNS1_14partition_implILS5_0ELb0ES3_jN6thrust23THRUST_200600_302600_NS6detail15normal_iteratorINSA_10device_ptrItEEEEPS6_SG_NS0_5tupleIJSF_NSA_16discard_iteratorINSA_11use_defaultEEEEEENSH_IJSG_SG_EEES6_PlJ7is_evenItEEEE10hipError_tPvRmT3_T4_T5_T6_T7_T9_mT8_P12ihipStream_tbDpT10_ENKUlT_T0_E_clISt17integral_constantIbLb1EES19_EEDaS14_S15_EUlS14_E_NS1_11comp_targetILNS1_3genE8ELNS1_11target_archE1030ELNS1_3gpuE2ELNS1_3repE0EEENS1_30default_config_static_selectorELNS0_4arch9wavefront6targetE1EEEvT1_,comdat
.Lfunc_end2538:
	.size	_ZN7rocprim17ROCPRIM_400000_NS6detail17trampoline_kernelINS0_14default_configENS1_25partition_config_selectorILNS1_17partition_subalgoE0EtNS0_10empty_typeEbEEZZNS1_14partition_implILS5_0ELb0ES3_jN6thrust23THRUST_200600_302600_NS6detail15normal_iteratorINSA_10device_ptrItEEEEPS6_SG_NS0_5tupleIJSF_NSA_16discard_iteratorINSA_11use_defaultEEEEEENSH_IJSG_SG_EEES6_PlJ7is_evenItEEEE10hipError_tPvRmT3_T4_T5_T6_T7_T9_mT8_P12ihipStream_tbDpT10_ENKUlT_T0_E_clISt17integral_constantIbLb1EES19_EEDaS14_S15_EUlS14_E_NS1_11comp_targetILNS1_3genE8ELNS1_11target_archE1030ELNS1_3gpuE2ELNS1_3repE0EEENS1_30default_config_static_selectorELNS0_4arch9wavefront6targetE1EEEvT1_, .Lfunc_end2538-_ZN7rocprim17ROCPRIM_400000_NS6detail17trampoline_kernelINS0_14default_configENS1_25partition_config_selectorILNS1_17partition_subalgoE0EtNS0_10empty_typeEbEEZZNS1_14partition_implILS5_0ELb0ES3_jN6thrust23THRUST_200600_302600_NS6detail15normal_iteratorINSA_10device_ptrItEEEEPS6_SG_NS0_5tupleIJSF_NSA_16discard_iteratorINSA_11use_defaultEEEEEENSH_IJSG_SG_EEES6_PlJ7is_evenItEEEE10hipError_tPvRmT3_T4_T5_T6_T7_T9_mT8_P12ihipStream_tbDpT10_ENKUlT_T0_E_clISt17integral_constantIbLb1EES19_EEDaS14_S15_EUlS14_E_NS1_11comp_targetILNS1_3genE8ELNS1_11target_archE1030ELNS1_3gpuE2ELNS1_3repE0EEENS1_30default_config_static_selectorELNS0_4arch9wavefront6targetE1EEEvT1_
                                        ; -- End function
	.section	.AMDGPU.csdata,"",@progbits
; Kernel info:
; codeLenInByte = 0
; NumSgprs: 6
; NumVgprs: 0
; NumAgprs: 0
; TotalNumVgprs: 0
; ScratchSize: 0
; MemoryBound: 0
; FloatMode: 240
; IeeeMode: 1
; LDSByteSize: 0 bytes/workgroup (compile time only)
; SGPRBlocks: 0
; VGPRBlocks: 0
; NumSGPRsForWavesPerEU: 6
; NumVGPRsForWavesPerEU: 1
; AccumOffset: 4
; Occupancy: 8
; WaveLimiterHint : 0
; COMPUTE_PGM_RSRC2:SCRATCH_EN: 0
; COMPUTE_PGM_RSRC2:USER_SGPR: 2
; COMPUTE_PGM_RSRC2:TRAP_HANDLER: 0
; COMPUTE_PGM_RSRC2:TGID_X_EN: 1
; COMPUTE_PGM_RSRC2:TGID_Y_EN: 0
; COMPUTE_PGM_RSRC2:TGID_Z_EN: 0
; COMPUTE_PGM_RSRC2:TIDIG_COMP_CNT: 0
; COMPUTE_PGM_RSRC3_GFX90A:ACCUM_OFFSET: 0
; COMPUTE_PGM_RSRC3_GFX90A:TG_SPLIT: 0
	.section	.text._ZN7rocprim17ROCPRIM_400000_NS6detail17trampoline_kernelINS0_14default_configENS1_25partition_config_selectorILNS1_17partition_subalgoE0EtNS0_10empty_typeEbEEZZNS1_14partition_implILS5_0ELb0ES3_jN6thrust23THRUST_200600_302600_NS6detail15normal_iteratorINSA_10device_ptrItEEEEPS6_SG_NS0_5tupleIJSF_NSA_16discard_iteratorINSA_11use_defaultEEEEEENSH_IJSG_SG_EEES6_PlJ7is_evenItEEEE10hipError_tPvRmT3_T4_T5_T6_T7_T9_mT8_P12ihipStream_tbDpT10_ENKUlT_T0_E_clISt17integral_constantIbLb1EES18_IbLb0EEEEDaS14_S15_EUlS14_E_NS1_11comp_targetILNS1_3genE0ELNS1_11target_archE4294967295ELNS1_3gpuE0ELNS1_3repE0EEENS1_30default_config_static_selectorELNS0_4arch9wavefront6targetE1EEEvT1_,"axG",@progbits,_ZN7rocprim17ROCPRIM_400000_NS6detail17trampoline_kernelINS0_14default_configENS1_25partition_config_selectorILNS1_17partition_subalgoE0EtNS0_10empty_typeEbEEZZNS1_14partition_implILS5_0ELb0ES3_jN6thrust23THRUST_200600_302600_NS6detail15normal_iteratorINSA_10device_ptrItEEEEPS6_SG_NS0_5tupleIJSF_NSA_16discard_iteratorINSA_11use_defaultEEEEEENSH_IJSG_SG_EEES6_PlJ7is_evenItEEEE10hipError_tPvRmT3_T4_T5_T6_T7_T9_mT8_P12ihipStream_tbDpT10_ENKUlT_T0_E_clISt17integral_constantIbLb1EES18_IbLb0EEEEDaS14_S15_EUlS14_E_NS1_11comp_targetILNS1_3genE0ELNS1_11target_archE4294967295ELNS1_3gpuE0ELNS1_3repE0EEENS1_30default_config_static_selectorELNS0_4arch9wavefront6targetE1EEEvT1_,comdat
	.protected	_ZN7rocprim17ROCPRIM_400000_NS6detail17trampoline_kernelINS0_14default_configENS1_25partition_config_selectorILNS1_17partition_subalgoE0EtNS0_10empty_typeEbEEZZNS1_14partition_implILS5_0ELb0ES3_jN6thrust23THRUST_200600_302600_NS6detail15normal_iteratorINSA_10device_ptrItEEEEPS6_SG_NS0_5tupleIJSF_NSA_16discard_iteratorINSA_11use_defaultEEEEEENSH_IJSG_SG_EEES6_PlJ7is_evenItEEEE10hipError_tPvRmT3_T4_T5_T6_T7_T9_mT8_P12ihipStream_tbDpT10_ENKUlT_T0_E_clISt17integral_constantIbLb1EES18_IbLb0EEEEDaS14_S15_EUlS14_E_NS1_11comp_targetILNS1_3genE0ELNS1_11target_archE4294967295ELNS1_3gpuE0ELNS1_3repE0EEENS1_30default_config_static_selectorELNS0_4arch9wavefront6targetE1EEEvT1_ ; -- Begin function _ZN7rocprim17ROCPRIM_400000_NS6detail17trampoline_kernelINS0_14default_configENS1_25partition_config_selectorILNS1_17partition_subalgoE0EtNS0_10empty_typeEbEEZZNS1_14partition_implILS5_0ELb0ES3_jN6thrust23THRUST_200600_302600_NS6detail15normal_iteratorINSA_10device_ptrItEEEEPS6_SG_NS0_5tupleIJSF_NSA_16discard_iteratorINSA_11use_defaultEEEEEENSH_IJSG_SG_EEES6_PlJ7is_evenItEEEE10hipError_tPvRmT3_T4_T5_T6_T7_T9_mT8_P12ihipStream_tbDpT10_ENKUlT_T0_E_clISt17integral_constantIbLb1EES18_IbLb0EEEEDaS14_S15_EUlS14_E_NS1_11comp_targetILNS1_3genE0ELNS1_11target_archE4294967295ELNS1_3gpuE0ELNS1_3repE0EEENS1_30default_config_static_selectorELNS0_4arch9wavefront6targetE1EEEvT1_
	.globl	_ZN7rocprim17ROCPRIM_400000_NS6detail17trampoline_kernelINS0_14default_configENS1_25partition_config_selectorILNS1_17partition_subalgoE0EtNS0_10empty_typeEbEEZZNS1_14partition_implILS5_0ELb0ES3_jN6thrust23THRUST_200600_302600_NS6detail15normal_iteratorINSA_10device_ptrItEEEEPS6_SG_NS0_5tupleIJSF_NSA_16discard_iteratorINSA_11use_defaultEEEEEENSH_IJSG_SG_EEES6_PlJ7is_evenItEEEE10hipError_tPvRmT3_T4_T5_T6_T7_T9_mT8_P12ihipStream_tbDpT10_ENKUlT_T0_E_clISt17integral_constantIbLb1EES18_IbLb0EEEEDaS14_S15_EUlS14_E_NS1_11comp_targetILNS1_3genE0ELNS1_11target_archE4294967295ELNS1_3gpuE0ELNS1_3repE0EEENS1_30default_config_static_selectorELNS0_4arch9wavefront6targetE1EEEvT1_
	.p2align	8
	.type	_ZN7rocprim17ROCPRIM_400000_NS6detail17trampoline_kernelINS0_14default_configENS1_25partition_config_selectorILNS1_17partition_subalgoE0EtNS0_10empty_typeEbEEZZNS1_14partition_implILS5_0ELb0ES3_jN6thrust23THRUST_200600_302600_NS6detail15normal_iteratorINSA_10device_ptrItEEEEPS6_SG_NS0_5tupleIJSF_NSA_16discard_iteratorINSA_11use_defaultEEEEEENSH_IJSG_SG_EEES6_PlJ7is_evenItEEEE10hipError_tPvRmT3_T4_T5_T6_T7_T9_mT8_P12ihipStream_tbDpT10_ENKUlT_T0_E_clISt17integral_constantIbLb1EES18_IbLb0EEEEDaS14_S15_EUlS14_E_NS1_11comp_targetILNS1_3genE0ELNS1_11target_archE4294967295ELNS1_3gpuE0ELNS1_3repE0EEENS1_30default_config_static_selectorELNS0_4arch9wavefront6targetE1EEEvT1_,@function
_ZN7rocprim17ROCPRIM_400000_NS6detail17trampoline_kernelINS0_14default_configENS1_25partition_config_selectorILNS1_17partition_subalgoE0EtNS0_10empty_typeEbEEZZNS1_14partition_implILS5_0ELb0ES3_jN6thrust23THRUST_200600_302600_NS6detail15normal_iteratorINSA_10device_ptrItEEEEPS6_SG_NS0_5tupleIJSF_NSA_16discard_iteratorINSA_11use_defaultEEEEEENSH_IJSG_SG_EEES6_PlJ7is_evenItEEEE10hipError_tPvRmT3_T4_T5_T6_T7_T9_mT8_P12ihipStream_tbDpT10_ENKUlT_T0_E_clISt17integral_constantIbLb1EES18_IbLb0EEEEDaS14_S15_EUlS14_E_NS1_11comp_targetILNS1_3genE0ELNS1_11target_archE4294967295ELNS1_3gpuE0ELNS1_3repE0EEENS1_30default_config_static_selectorELNS0_4arch9wavefront6targetE1EEEvT1_: ; @_ZN7rocprim17ROCPRIM_400000_NS6detail17trampoline_kernelINS0_14default_configENS1_25partition_config_selectorILNS1_17partition_subalgoE0EtNS0_10empty_typeEbEEZZNS1_14partition_implILS5_0ELb0ES3_jN6thrust23THRUST_200600_302600_NS6detail15normal_iteratorINSA_10device_ptrItEEEEPS6_SG_NS0_5tupleIJSF_NSA_16discard_iteratorINSA_11use_defaultEEEEEENSH_IJSG_SG_EEES6_PlJ7is_evenItEEEE10hipError_tPvRmT3_T4_T5_T6_T7_T9_mT8_P12ihipStream_tbDpT10_ENKUlT_T0_E_clISt17integral_constantIbLb1EES18_IbLb0EEEEDaS14_S15_EUlS14_E_NS1_11comp_targetILNS1_3genE0ELNS1_11target_archE4294967295ELNS1_3gpuE0ELNS1_3repE0EEENS1_30default_config_static_selectorELNS0_4arch9wavefront6targetE1EEEvT1_
; %bb.0:
	.section	.rodata,"a",@progbits
	.p2align	6, 0x0
	.amdhsa_kernel _ZN7rocprim17ROCPRIM_400000_NS6detail17trampoline_kernelINS0_14default_configENS1_25partition_config_selectorILNS1_17partition_subalgoE0EtNS0_10empty_typeEbEEZZNS1_14partition_implILS5_0ELb0ES3_jN6thrust23THRUST_200600_302600_NS6detail15normal_iteratorINSA_10device_ptrItEEEEPS6_SG_NS0_5tupleIJSF_NSA_16discard_iteratorINSA_11use_defaultEEEEEENSH_IJSG_SG_EEES6_PlJ7is_evenItEEEE10hipError_tPvRmT3_T4_T5_T6_T7_T9_mT8_P12ihipStream_tbDpT10_ENKUlT_T0_E_clISt17integral_constantIbLb1EES18_IbLb0EEEEDaS14_S15_EUlS14_E_NS1_11comp_targetILNS1_3genE0ELNS1_11target_archE4294967295ELNS1_3gpuE0ELNS1_3repE0EEENS1_30default_config_static_selectorELNS0_4arch9wavefront6targetE1EEEvT1_
		.amdhsa_group_segment_fixed_size 0
		.amdhsa_private_segment_fixed_size 0
		.amdhsa_kernarg_size 128
		.amdhsa_user_sgpr_count 2
		.amdhsa_user_sgpr_dispatch_ptr 0
		.amdhsa_user_sgpr_queue_ptr 0
		.amdhsa_user_sgpr_kernarg_segment_ptr 1
		.amdhsa_user_sgpr_dispatch_id 0
		.amdhsa_user_sgpr_kernarg_preload_length 0
		.amdhsa_user_sgpr_kernarg_preload_offset 0
		.amdhsa_user_sgpr_private_segment_size 0
		.amdhsa_uses_dynamic_stack 0
		.amdhsa_enable_private_segment 0
		.amdhsa_system_sgpr_workgroup_id_x 1
		.amdhsa_system_sgpr_workgroup_id_y 0
		.amdhsa_system_sgpr_workgroup_id_z 0
		.amdhsa_system_sgpr_workgroup_info 0
		.amdhsa_system_vgpr_workitem_id 0
		.amdhsa_next_free_vgpr 1
		.amdhsa_next_free_sgpr 0
		.amdhsa_accum_offset 4
		.amdhsa_reserve_vcc 0
		.amdhsa_float_round_mode_32 0
		.amdhsa_float_round_mode_16_64 0
		.amdhsa_float_denorm_mode_32 3
		.amdhsa_float_denorm_mode_16_64 3
		.amdhsa_dx10_clamp 1
		.amdhsa_ieee_mode 1
		.amdhsa_fp16_overflow 0
		.amdhsa_tg_split 0
		.amdhsa_exception_fp_ieee_invalid_op 0
		.amdhsa_exception_fp_denorm_src 0
		.amdhsa_exception_fp_ieee_div_zero 0
		.amdhsa_exception_fp_ieee_overflow 0
		.amdhsa_exception_fp_ieee_underflow 0
		.amdhsa_exception_fp_ieee_inexact 0
		.amdhsa_exception_int_div_zero 0
	.end_amdhsa_kernel
	.section	.text._ZN7rocprim17ROCPRIM_400000_NS6detail17trampoline_kernelINS0_14default_configENS1_25partition_config_selectorILNS1_17partition_subalgoE0EtNS0_10empty_typeEbEEZZNS1_14partition_implILS5_0ELb0ES3_jN6thrust23THRUST_200600_302600_NS6detail15normal_iteratorINSA_10device_ptrItEEEEPS6_SG_NS0_5tupleIJSF_NSA_16discard_iteratorINSA_11use_defaultEEEEEENSH_IJSG_SG_EEES6_PlJ7is_evenItEEEE10hipError_tPvRmT3_T4_T5_T6_T7_T9_mT8_P12ihipStream_tbDpT10_ENKUlT_T0_E_clISt17integral_constantIbLb1EES18_IbLb0EEEEDaS14_S15_EUlS14_E_NS1_11comp_targetILNS1_3genE0ELNS1_11target_archE4294967295ELNS1_3gpuE0ELNS1_3repE0EEENS1_30default_config_static_selectorELNS0_4arch9wavefront6targetE1EEEvT1_,"axG",@progbits,_ZN7rocprim17ROCPRIM_400000_NS6detail17trampoline_kernelINS0_14default_configENS1_25partition_config_selectorILNS1_17partition_subalgoE0EtNS0_10empty_typeEbEEZZNS1_14partition_implILS5_0ELb0ES3_jN6thrust23THRUST_200600_302600_NS6detail15normal_iteratorINSA_10device_ptrItEEEEPS6_SG_NS0_5tupleIJSF_NSA_16discard_iteratorINSA_11use_defaultEEEEEENSH_IJSG_SG_EEES6_PlJ7is_evenItEEEE10hipError_tPvRmT3_T4_T5_T6_T7_T9_mT8_P12ihipStream_tbDpT10_ENKUlT_T0_E_clISt17integral_constantIbLb1EES18_IbLb0EEEEDaS14_S15_EUlS14_E_NS1_11comp_targetILNS1_3genE0ELNS1_11target_archE4294967295ELNS1_3gpuE0ELNS1_3repE0EEENS1_30default_config_static_selectorELNS0_4arch9wavefront6targetE1EEEvT1_,comdat
.Lfunc_end2539:
	.size	_ZN7rocprim17ROCPRIM_400000_NS6detail17trampoline_kernelINS0_14default_configENS1_25partition_config_selectorILNS1_17partition_subalgoE0EtNS0_10empty_typeEbEEZZNS1_14partition_implILS5_0ELb0ES3_jN6thrust23THRUST_200600_302600_NS6detail15normal_iteratorINSA_10device_ptrItEEEEPS6_SG_NS0_5tupleIJSF_NSA_16discard_iteratorINSA_11use_defaultEEEEEENSH_IJSG_SG_EEES6_PlJ7is_evenItEEEE10hipError_tPvRmT3_T4_T5_T6_T7_T9_mT8_P12ihipStream_tbDpT10_ENKUlT_T0_E_clISt17integral_constantIbLb1EES18_IbLb0EEEEDaS14_S15_EUlS14_E_NS1_11comp_targetILNS1_3genE0ELNS1_11target_archE4294967295ELNS1_3gpuE0ELNS1_3repE0EEENS1_30default_config_static_selectorELNS0_4arch9wavefront6targetE1EEEvT1_, .Lfunc_end2539-_ZN7rocprim17ROCPRIM_400000_NS6detail17trampoline_kernelINS0_14default_configENS1_25partition_config_selectorILNS1_17partition_subalgoE0EtNS0_10empty_typeEbEEZZNS1_14partition_implILS5_0ELb0ES3_jN6thrust23THRUST_200600_302600_NS6detail15normal_iteratorINSA_10device_ptrItEEEEPS6_SG_NS0_5tupleIJSF_NSA_16discard_iteratorINSA_11use_defaultEEEEEENSH_IJSG_SG_EEES6_PlJ7is_evenItEEEE10hipError_tPvRmT3_T4_T5_T6_T7_T9_mT8_P12ihipStream_tbDpT10_ENKUlT_T0_E_clISt17integral_constantIbLb1EES18_IbLb0EEEEDaS14_S15_EUlS14_E_NS1_11comp_targetILNS1_3genE0ELNS1_11target_archE4294967295ELNS1_3gpuE0ELNS1_3repE0EEENS1_30default_config_static_selectorELNS0_4arch9wavefront6targetE1EEEvT1_
                                        ; -- End function
	.section	.AMDGPU.csdata,"",@progbits
; Kernel info:
; codeLenInByte = 0
; NumSgprs: 6
; NumVgprs: 0
; NumAgprs: 0
; TotalNumVgprs: 0
; ScratchSize: 0
; MemoryBound: 0
; FloatMode: 240
; IeeeMode: 1
; LDSByteSize: 0 bytes/workgroup (compile time only)
; SGPRBlocks: 0
; VGPRBlocks: 0
; NumSGPRsForWavesPerEU: 6
; NumVGPRsForWavesPerEU: 1
; AccumOffset: 4
; Occupancy: 8
; WaveLimiterHint : 0
; COMPUTE_PGM_RSRC2:SCRATCH_EN: 0
; COMPUTE_PGM_RSRC2:USER_SGPR: 2
; COMPUTE_PGM_RSRC2:TRAP_HANDLER: 0
; COMPUTE_PGM_RSRC2:TGID_X_EN: 1
; COMPUTE_PGM_RSRC2:TGID_Y_EN: 0
; COMPUTE_PGM_RSRC2:TGID_Z_EN: 0
; COMPUTE_PGM_RSRC2:TIDIG_COMP_CNT: 0
; COMPUTE_PGM_RSRC3_GFX90A:ACCUM_OFFSET: 0
; COMPUTE_PGM_RSRC3_GFX90A:TG_SPLIT: 0
	.section	.text._ZN7rocprim17ROCPRIM_400000_NS6detail17trampoline_kernelINS0_14default_configENS1_25partition_config_selectorILNS1_17partition_subalgoE0EtNS0_10empty_typeEbEEZZNS1_14partition_implILS5_0ELb0ES3_jN6thrust23THRUST_200600_302600_NS6detail15normal_iteratorINSA_10device_ptrItEEEEPS6_SG_NS0_5tupleIJSF_NSA_16discard_iteratorINSA_11use_defaultEEEEEENSH_IJSG_SG_EEES6_PlJ7is_evenItEEEE10hipError_tPvRmT3_T4_T5_T6_T7_T9_mT8_P12ihipStream_tbDpT10_ENKUlT_T0_E_clISt17integral_constantIbLb1EES18_IbLb0EEEEDaS14_S15_EUlS14_E_NS1_11comp_targetILNS1_3genE5ELNS1_11target_archE942ELNS1_3gpuE9ELNS1_3repE0EEENS1_30default_config_static_selectorELNS0_4arch9wavefront6targetE1EEEvT1_,"axG",@progbits,_ZN7rocprim17ROCPRIM_400000_NS6detail17trampoline_kernelINS0_14default_configENS1_25partition_config_selectorILNS1_17partition_subalgoE0EtNS0_10empty_typeEbEEZZNS1_14partition_implILS5_0ELb0ES3_jN6thrust23THRUST_200600_302600_NS6detail15normal_iteratorINSA_10device_ptrItEEEEPS6_SG_NS0_5tupleIJSF_NSA_16discard_iteratorINSA_11use_defaultEEEEEENSH_IJSG_SG_EEES6_PlJ7is_evenItEEEE10hipError_tPvRmT3_T4_T5_T6_T7_T9_mT8_P12ihipStream_tbDpT10_ENKUlT_T0_E_clISt17integral_constantIbLb1EES18_IbLb0EEEEDaS14_S15_EUlS14_E_NS1_11comp_targetILNS1_3genE5ELNS1_11target_archE942ELNS1_3gpuE9ELNS1_3repE0EEENS1_30default_config_static_selectorELNS0_4arch9wavefront6targetE1EEEvT1_,comdat
	.protected	_ZN7rocprim17ROCPRIM_400000_NS6detail17trampoline_kernelINS0_14default_configENS1_25partition_config_selectorILNS1_17partition_subalgoE0EtNS0_10empty_typeEbEEZZNS1_14partition_implILS5_0ELb0ES3_jN6thrust23THRUST_200600_302600_NS6detail15normal_iteratorINSA_10device_ptrItEEEEPS6_SG_NS0_5tupleIJSF_NSA_16discard_iteratorINSA_11use_defaultEEEEEENSH_IJSG_SG_EEES6_PlJ7is_evenItEEEE10hipError_tPvRmT3_T4_T5_T6_T7_T9_mT8_P12ihipStream_tbDpT10_ENKUlT_T0_E_clISt17integral_constantIbLb1EES18_IbLb0EEEEDaS14_S15_EUlS14_E_NS1_11comp_targetILNS1_3genE5ELNS1_11target_archE942ELNS1_3gpuE9ELNS1_3repE0EEENS1_30default_config_static_selectorELNS0_4arch9wavefront6targetE1EEEvT1_ ; -- Begin function _ZN7rocprim17ROCPRIM_400000_NS6detail17trampoline_kernelINS0_14default_configENS1_25partition_config_selectorILNS1_17partition_subalgoE0EtNS0_10empty_typeEbEEZZNS1_14partition_implILS5_0ELb0ES3_jN6thrust23THRUST_200600_302600_NS6detail15normal_iteratorINSA_10device_ptrItEEEEPS6_SG_NS0_5tupleIJSF_NSA_16discard_iteratorINSA_11use_defaultEEEEEENSH_IJSG_SG_EEES6_PlJ7is_evenItEEEE10hipError_tPvRmT3_T4_T5_T6_T7_T9_mT8_P12ihipStream_tbDpT10_ENKUlT_T0_E_clISt17integral_constantIbLb1EES18_IbLb0EEEEDaS14_S15_EUlS14_E_NS1_11comp_targetILNS1_3genE5ELNS1_11target_archE942ELNS1_3gpuE9ELNS1_3repE0EEENS1_30default_config_static_selectorELNS0_4arch9wavefront6targetE1EEEvT1_
	.globl	_ZN7rocprim17ROCPRIM_400000_NS6detail17trampoline_kernelINS0_14default_configENS1_25partition_config_selectorILNS1_17partition_subalgoE0EtNS0_10empty_typeEbEEZZNS1_14partition_implILS5_0ELb0ES3_jN6thrust23THRUST_200600_302600_NS6detail15normal_iteratorINSA_10device_ptrItEEEEPS6_SG_NS0_5tupleIJSF_NSA_16discard_iteratorINSA_11use_defaultEEEEEENSH_IJSG_SG_EEES6_PlJ7is_evenItEEEE10hipError_tPvRmT3_T4_T5_T6_T7_T9_mT8_P12ihipStream_tbDpT10_ENKUlT_T0_E_clISt17integral_constantIbLb1EES18_IbLb0EEEEDaS14_S15_EUlS14_E_NS1_11comp_targetILNS1_3genE5ELNS1_11target_archE942ELNS1_3gpuE9ELNS1_3repE0EEENS1_30default_config_static_selectorELNS0_4arch9wavefront6targetE1EEEvT1_
	.p2align	8
	.type	_ZN7rocprim17ROCPRIM_400000_NS6detail17trampoline_kernelINS0_14default_configENS1_25partition_config_selectorILNS1_17partition_subalgoE0EtNS0_10empty_typeEbEEZZNS1_14partition_implILS5_0ELb0ES3_jN6thrust23THRUST_200600_302600_NS6detail15normal_iteratorINSA_10device_ptrItEEEEPS6_SG_NS0_5tupleIJSF_NSA_16discard_iteratorINSA_11use_defaultEEEEEENSH_IJSG_SG_EEES6_PlJ7is_evenItEEEE10hipError_tPvRmT3_T4_T5_T6_T7_T9_mT8_P12ihipStream_tbDpT10_ENKUlT_T0_E_clISt17integral_constantIbLb1EES18_IbLb0EEEEDaS14_S15_EUlS14_E_NS1_11comp_targetILNS1_3genE5ELNS1_11target_archE942ELNS1_3gpuE9ELNS1_3repE0EEENS1_30default_config_static_selectorELNS0_4arch9wavefront6targetE1EEEvT1_,@function
_ZN7rocprim17ROCPRIM_400000_NS6detail17trampoline_kernelINS0_14default_configENS1_25partition_config_selectorILNS1_17partition_subalgoE0EtNS0_10empty_typeEbEEZZNS1_14partition_implILS5_0ELb0ES3_jN6thrust23THRUST_200600_302600_NS6detail15normal_iteratorINSA_10device_ptrItEEEEPS6_SG_NS0_5tupleIJSF_NSA_16discard_iteratorINSA_11use_defaultEEEEEENSH_IJSG_SG_EEES6_PlJ7is_evenItEEEE10hipError_tPvRmT3_T4_T5_T6_T7_T9_mT8_P12ihipStream_tbDpT10_ENKUlT_T0_E_clISt17integral_constantIbLb1EES18_IbLb0EEEEDaS14_S15_EUlS14_E_NS1_11comp_targetILNS1_3genE5ELNS1_11target_archE942ELNS1_3gpuE9ELNS1_3repE0EEENS1_30default_config_static_selectorELNS0_4arch9wavefront6targetE1EEEvT1_: ; @_ZN7rocprim17ROCPRIM_400000_NS6detail17trampoline_kernelINS0_14default_configENS1_25partition_config_selectorILNS1_17partition_subalgoE0EtNS0_10empty_typeEbEEZZNS1_14partition_implILS5_0ELb0ES3_jN6thrust23THRUST_200600_302600_NS6detail15normal_iteratorINSA_10device_ptrItEEEEPS6_SG_NS0_5tupleIJSF_NSA_16discard_iteratorINSA_11use_defaultEEEEEENSH_IJSG_SG_EEES6_PlJ7is_evenItEEEE10hipError_tPvRmT3_T4_T5_T6_T7_T9_mT8_P12ihipStream_tbDpT10_ENKUlT_T0_E_clISt17integral_constantIbLb1EES18_IbLb0EEEEDaS14_S15_EUlS14_E_NS1_11comp_targetILNS1_3genE5ELNS1_11target_archE942ELNS1_3gpuE9ELNS1_3repE0EEENS1_30default_config_static_selectorELNS0_4arch9wavefront6targetE1EEEvT1_
; %bb.0:
	s_load_dwordx2 s[8:9], s[0:1], 0x60
	s_load_dwordx4 s[4:7], s[0:1], 0x8
	s_load_dwordx4 s[24:27], s[0:1], 0x50
	s_load_dword s3, s[0:1], 0x78
	s_waitcnt lgkmcnt(0)
	v_mov_b32_e32 v3, s9
	s_lshl_b64 s[10:11], s[6:7], 1
	s_add_u32 s9, s4, s10
	s_addc_u32 s12, s5, s11
	s_add_i32 s13, s3, -1
	s_mulk_i32 s3, 0x3c00
	s_add_i32 s4, s3, s6
	s_sub_i32 s33, s8, s4
	s_add_u32 s4, s6, s3
	s_addc_u32 s5, s7, 0
	s_cmp_eq_u32 s2, s13
	v_mov_b32_e32 v2, s8
	s_load_dwordx2 s[22:23], s[26:27], 0x0
	s_cselect_b64 s[26:27], -1, 0
	s_cmp_lg_u32 s2, s13
	s_mul_i32 s10, s2, 0x3c00
	s_mov_b32 s11, 0
	v_cmp_lt_u64_e32 vcc, s[4:5], v[2:3]
	s_cselect_b64 s[4:5], -1, 0
	s_or_b64 s[4:5], s[4:5], vcc
	s_lshl_b64 s[6:7], s[10:11], 1
	s_add_u32 s6, s9, s6
	s_addc_u32 s7, s12, s7
	s_mov_b64 s[8:9], -1
	s_and_b64 vcc, exec, s[4:5]
	v_lshlrev_b32_e32 v2, 1, v0
	s_cbranch_vccz .LBB2540_2
; %bb.1:
	v_mov_b32_e32 v3, 0
	v_lshl_add_u64 v[4:5], s[6:7], 0, v[2:3]
	v_add_co_u32_e32 v6, vcc, 0x1000, v4
	s_mov_b64 s[8:9], 0
	s_nop 0
	v_addc_co_u32_e32 v7, vcc, 0, v5, vcc
	flat_load_ushort v1, v[4:5]
	flat_load_ushort v3, v[4:5] offset:1024
	flat_load_ushort v10, v[4:5] offset:2048
	flat_load_ushort v11, v[4:5] offset:3072
	flat_load_ushort v12, v[6:7]
	flat_load_ushort v13, v[6:7] offset:1024
	flat_load_ushort v14, v[6:7] offset:2048
	flat_load_ushort v15, v[6:7] offset:3072
	v_add_co_u32_e32 v6, vcc, 0x2000, v4
	s_nop 1
	v_addc_co_u32_e32 v7, vcc, 0, v5, vcc
	v_add_co_u32_e32 v8, vcc, 0x3000, v4
	s_nop 1
	v_addc_co_u32_e32 v9, vcc, 0, v5, vcc
	flat_load_ushort v16, v[6:7]
	flat_load_ushort v17, v[6:7] offset:1024
	flat_load_ushort v18, v[6:7] offset:2048
	flat_load_ushort v19, v[6:7] offset:3072
	flat_load_ushort v20, v[8:9]
	flat_load_ushort v21, v[8:9] offset:1024
	flat_load_ushort v22, v[8:9] offset:2048
	flat_load_ushort v23, v[8:9] offset:3072
	v_add_co_u32_e32 v6, vcc, 0x4000, v4
	s_nop 1
	v_addc_co_u32_e32 v7, vcc, 0, v5, vcc
	v_add_co_u32_e32 v8, vcc, 0x5000, v4
	s_nop 1
	v_addc_co_u32_e32 v9, vcc, 0, v5, vcc
	flat_load_ushort v24, v[6:7]
	flat_load_ushort v25, v[6:7] offset:1024
	flat_load_ushort v26, v[6:7] offset:2048
	flat_load_ushort v27, v[6:7] offset:3072
	flat_load_ushort v28, v[8:9]
	flat_load_ushort v29, v[8:9] offset:1024
	flat_load_ushort v30, v[8:9] offset:2048
	flat_load_ushort v31, v[8:9] offset:3072
	v_add_co_u32_e32 v6, vcc, 0x6000, v4
	s_nop 1
	v_addc_co_u32_e32 v7, vcc, 0, v5, vcc
	v_add_co_u32_e32 v4, vcc, 0x7000, v4
	s_nop 1
	v_addc_co_u32_e32 v5, vcc, 0, v5, vcc
	flat_load_ushort v8, v[6:7]
	flat_load_ushort v9, v[6:7] offset:1024
	flat_load_ushort v32, v[6:7] offset:2048
	;; [unrolled: 1-line block ×3, first 2 shown]
	flat_load_ushort v34, v[4:5]
	flat_load_ushort v35, v[4:5] offset:1024
	s_waitcnt vmcnt(0) lgkmcnt(0)
	ds_write_b16 v2, v1
	ds_write_b16 v2, v3 offset:1024
	ds_write_b16 v2, v10 offset:2048
	;; [unrolled: 1-line block ×29, first 2 shown]
	s_waitcnt lgkmcnt(0)
	s_barrier
.LBB2540_2:
	s_andn2_b64 vcc, exec, s[8:9]
	s_addk_i32 s33, 0x3c00
	s_cbranch_vccnz .LBB2540_64
; %bb.3:
	v_cmp_gt_u32_e32 vcc, s33, v0
                                        ; implicit-def: $vgpr1
	s_and_saveexec_b64 s[8:9], vcc
	s_cbranch_execz .LBB2540_5
; %bb.4:
	v_mov_b32_e32 v3, 0
	v_lshl_add_u64 v[4:5], s[6:7], 0, v[2:3]
	flat_load_ushort v1, v[4:5]
.LBB2540_5:
	s_or_b64 exec, exec, s[8:9]
	v_or_b32_e32 v3, 0x200, v0
	v_cmp_gt_u32_e32 vcc, s33, v3
                                        ; implicit-def: $vgpr4
	s_and_saveexec_b64 s[8:9], vcc
	s_cbranch_execz .LBB2540_7
; %bb.6:
	v_mov_b32_e32 v3, 0
	v_lshl_add_u64 v[4:5], s[6:7], 0, v[2:3]
	flat_load_ushort v4, v[4:5] offset:1024
.LBB2540_7:
	s_or_b64 exec, exec, s[8:9]
	v_or_b32_e32 v3, 0x400, v0
	v_cmp_gt_u32_e32 vcc, s33, v3
                                        ; implicit-def: $vgpr5
	s_and_saveexec_b64 s[8:9], vcc
	s_cbranch_execz .LBB2540_9
; %bb.8:
	v_mov_b32_e32 v3, 0
	v_lshl_add_u64 v[6:7], s[6:7], 0, v[2:3]
	flat_load_ushort v5, v[6:7] offset:2048
.LBB2540_9:
	s_or_b64 exec, exec, s[8:9]
	v_or_b32_e32 v3, 0x600, v0
	v_cmp_gt_u32_e32 vcc, s33, v3
                                        ; implicit-def: $vgpr3
	s_and_saveexec_b64 s[8:9], vcc
	s_cbranch_execz .LBB2540_11
; %bb.10:
	v_mov_b32_e32 v3, 0
	v_lshl_add_u64 v[6:7], s[6:7], 0, v[2:3]
	flat_load_ushort v3, v[6:7] offset:3072
.LBB2540_11:
	s_or_b64 exec, exec, s[8:9]
	v_or_b32_e32 v7, 0x800, v0
	v_cmp_gt_u32_e32 vcc, s33, v7
                                        ; implicit-def: $vgpr6
	s_and_saveexec_b64 s[8:9], vcc
	s_cbranch_execz .LBB2540_13
; %bb.12:
	v_lshlrev_b32_e32 v6, 1, v7
	v_mov_b32_e32 v7, 0
	v_lshl_add_u64 v[6:7], s[6:7], 0, v[6:7]
	flat_load_ushort v6, v[6:7]
.LBB2540_13:
	s_or_b64 exec, exec, s[8:9]
	v_or_b32_e32 v8, 0xa00, v0
	v_cmp_gt_u32_e32 vcc, s33, v8
                                        ; implicit-def: $vgpr7
	s_and_saveexec_b64 s[8:9], vcc
	s_cbranch_execz .LBB2540_15
; %bb.14:
	v_lshlrev_b32_e32 v8, 1, v8
	v_mov_b32_e32 v9, 0
	v_lshl_add_u64 v[8:9], s[6:7], 0, v[8:9]
	flat_load_ushort v7, v[8:9]
.LBB2540_15:
	s_or_b64 exec, exec, s[8:9]
	v_or_b32_e32 v9, 0xc00, v0
	v_cmp_gt_u32_e32 vcc, s33, v9
                                        ; implicit-def: $vgpr8
	s_and_saveexec_b64 s[8:9], vcc
	s_cbranch_execz .LBB2540_17
; %bb.16:
	v_lshlrev_b32_e32 v8, 1, v9
	v_mov_b32_e32 v9, 0
	v_lshl_add_u64 v[8:9], s[6:7], 0, v[8:9]
	flat_load_ushort v8, v[8:9]
.LBB2540_17:
	s_or_b64 exec, exec, s[8:9]
	v_or_b32_e32 v10, 0xe00, v0
	v_cmp_gt_u32_e32 vcc, s33, v10
                                        ; implicit-def: $vgpr9
	s_and_saveexec_b64 s[8:9], vcc
	s_cbranch_execz .LBB2540_19
; %bb.18:
	v_lshlrev_b32_e32 v10, 1, v10
	v_mov_b32_e32 v11, 0
	v_lshl_add_u64 v[10:11], s[6:7], 0, v[10:11]
	flat_load_ushort v9, v[10:11]
.LBB2540_19:
	s_or_b64 exec, exec, s[8:9]
	v_or_b32_e32 v11, 0x1000, v0
	v_cmp_gt_u32_e32 vcc, s33, v11
                                        ; implicit-def: $vgpr10
	s_and_saveexec_b64 s[8:9], vcc
	s_cbranch_execz .LBB2540_21
; %bb.20:
	v_lshlrev_b32_e32 v10, 1, v11
	v_mov_b32_e32 v11, 0
	v_lshl_add_u64 v[10:11], s[6:7], 0, v[10:11]
	flat_load_ushort v10, v[10:11]
.LBB2540_21:
	s_or_b64 exec, exec, s[8:9]
	v_or_b32_e32 v12, 0x1200, v0
	v_cmp_gt_u32_e32 vcc, s33, v12
                                        ; implicit-def: $vgpr11
	s_and_saveexec_b64 s[8:9], vcc
	s_cbranch_execz .LBB2540_23
; %bb.22:
	v_lshlrev_b32_e32 v12, 1, v12
	v_mov_b32_e32 v13, 0
	v_lshl_add_u64 v[12:13], s[6:7], 0, v[12:13]
	flat_load_ushort v11, v[12:13]
.LBB2540_23:
	s_or_b64 exec, exec, s[8:9]
	v_or_b32_e32 v13, 0x1400, v0
	v_cmp_gt_u32_e32 vcc, s33, v13
                                        ; implicit-def: $vgpr12
	s_and_saveexec_b64 s[8:9], vcc
	s_cbranch_execz .LBB2540_25
; %bb.24:
	v_lshlrev_b32_e32 v12, 1, v13
	v_mov_b32_e32 v13, 0
	v_lshl_add_u64 v[12:13], s[6:7], 0, v[12:13]
	flat_load_ushort v12, v[12:13]
.LBB2540_25:
	s_or_b64 exec, exec, s[8:9]
	v_or_b32_e32 v14, 0x1600, v0
	v_cmp_gt_u32_e32 vcc, s33, v14
                                        ; implicit-def: $vgpr13
	s_and_saveexec_b64 s[8:9], vcc
	s_cbranch_execz .LBB2540_27
; %bb.26:
	v_lshlrev_b32_e32 v14, 1, v14
	v_mov_b32_e32 v15, 0
	v_lshl_add_u64 v[14:15], s[6:7], 0, v[14:15]
	flat_load_ushort v13, v[14:15]
.LBB2540_27:
	s_or_b64 exec, exec, s[8:9]
	v_or_b32_e32 v15, 0x1800, v0
	v_cmp_gt_u32_e32 vcc, s33, v15
                                        ; implicit-def: $vgpr14
	s_and_saveexec_b64 s[8:9], vcc
	s_cbranch_execz .LBB2540_29
; %bb.28:
	v_lshlrev_b32_e32 v14, 1, v15
	v_mov_b32_e32 v15, 0
	v_lshl_add_u64 v[14:15], s[6:7], 0, v[14:15]
	flat_load_ushort v14, v[14:15]
.LBB2540_29:
	s_or_b64 exec, exec, s[8:9]
	v_or_b32_e32 v16, 0x1a00, v0
	v_cmp_gt_u32_e32 vcc, s33, v16
                                        ; implicit-def: $vgpr15
	s_and_saveexec_b64 s[8:9], vcc
	s_cbranch_execz .LBB2540_31
; %bb.30:
	v_lshlrev_b32_e32 v16, 1, v16
	v_mov_b32_e32 v17, 0
	v_lshl_add_u64 v[16:17], s[6:7], 0, v[16:17]
	flat_load_ushort v15, v[16:17]
.LBB2540_31:
	s_or_b64 exec, exec, s[8:9]
	v_or_b32_e32 v17, 0x1c00, v0
	v_cmp_gt_u32_e32 vcc, s33, v17
                                        ; implicit-def: $vgpr16
	s_and_saveexec_b64 s[8:9], vcc
	s_cbranch_execz .LBB2540_33
; %bb.32:
	v_lshlrev_b32_e32 v16, 1, v17
	v_mov_b32_e32 v17, 0
	v_lshl_add_u64 v[16:17], s[6:7], 0, v[16:17]
	flat_load_ushort v16, v[16:17]
.LBB2540_33:
	s_or_b64 exec, exec, s[8:9]
	v_or_b32_e32 v18, 0x1e00, v0
	v_cmp_gt_u32_e32 vcc, s33, v18
                                        ; implicit-def: $vgpr17
	s_and_saveexec_b64 s[8:9], vcc
	s_cbranch_execz .LBB2540_35
; %bb.34:
	v_lshlrev_b32_e32 v18, 1, v18
	v_mov_b32_e32 v19, 0
	v_lshl_add_u64 v[18:19], s[6:7], 0, v[18:19]
	flat_load_ushort v17, v[18:19]
.LBB2540_35:
	s_or_b64 exec, exec, s[8:9]
	v_or_b32_e32 v19, 0x2000, v0
	v_cmp_gt_u32_e32 vcc, s33, v19
                                        ; implicit-def: $vgpr18
	s_and_saveexec_b64 s[8:9], vcc
	s_cbranch_execz .LBB2540_37
; %bb.36:
	v_lshlrev_b32_e32 v18, 1, v19
	v_mov_b32_e32 v19, 0
	v_lshl_add_u64 v[18:19], s[6:7], 0, v[18:19]
	flat_load_ushort v18, v[18:19]
.LBB2540_37:
	s_or_b64 exec, exec, s[8:9]
	v_or_b32_e32 v20, 0x2200, v0
	v_cmp_gt_u32_e32 vcc, s33, v20
                                        ; implicit-def: $vgpr19
	s_and_saveexec_b64 s[8:9], vcc
	s_cbranch_execz .LBB2540_39
; %bb.38:
	v_lshlrev_b32_e32 v20, 1, v20
	v_mov_b32_e32 v21, 0
	v_lshl_add_u64 v[20:21], s[6:7], 0, v[20:21]
	flat_load_ushort v19, v[20:21]
.LBB2540_39:
	s_or_b64 exec, exec, s[8:9]
	v_or_b32_e32 v21, 0x2400, v0
	v_cmp_gt_u32_e32 vcc, s33, v21
                                        ; implicit-def: $vgpr20
	s_and_saveexec_b64 s[8:9], vcc
	s_cbranch_execz .LBB2540_41
; %bb.40:
	v_lshlrev_b32_e32 v20, 1, v21
	v_mov_b32_e32 v21, 0
	v_lshl_add_u64 v[20:21], s[6:7], 0, v[20:21]
	flat_load_ushort v20, v[20:21]
.LBB2540_41:
	s_or_b64 exec, exec, s[8:9]
	v_or_b32_e32 v22, 0x2600, v0
	v_cmp_gt_u32_e32 vcc, s33, v22
                                        ; implicit-def: $vgpr21
	s_and_saveexec_b64 s[8:9], vcc
	s_cbranch_execz .LBB2540_43
; %bb.42:
	v_lshlrev_b32_e32 v22, 1, v22
	v_mov_b32_e32 v23, 0
	v_lshl_add_u64 v[22:23], s[6:7], 0, v[22:23]
	flat_load_ushort v21, v[22:23]
.LBB2540_43:
	s_or_b64 exec, exec, s[8:9]
	v_or_b32_e32 v23, 0x2800, v0
	v_cmp_gt_u32_e32 vcc, s33, v23
                                        ; implicit-def: $vgpr22
	s_and_saveexec_b64 s[8:9], vcc
	s_cbranch_execz .LBB2540_45
; %bb.44:
	v_lshlrev_b32_e32 v22, 1, v23
	v_mov_b32_e32 v23, 0
	v_lshl_add_u64 v[22:23], s[6:7], 0, v[22:23]
	flat_load_ushort v22, v[22:23]
.LBB2540_45:
	s_or_b64 exec, exec, s[8:9]
	v_or_b32_e32 v24, 0x2a00, v0
	v_cmp_gt_u32_e32 vcc, s33, v24
                                        ; implicit-def: $vgpr23
	s_and_saveexec_b64 s[8:9], vcc
	s_cbranch_execz .LBB2540_47
; %bb.46:
	v_lshlrev_b32_e32 v24, 1, v24
	v_mov_b32_e32 v25, 0
	v_lshl_add_u64 v[24:25], s[6:7], 0, v[24:25]
	flat_load_ushort v23, v[24:25]
.LBB2540_47:
	s_or_b64 exec, exec, s[8:9]
	v_or_b32_e32 v25, 0x2c00, v0
	v_cmp_gt_u32_e32 vcc, s33, v25
                                        ; implicit-def: $vgpr24
	s_and_saveexec_b64 s[8:9], vcc
	s_cbranch_execz .LBB2540_49
; %bb.48:
	v_lshlrev_b32_e32 v24, 1, v25
	v_mov_b32_e32 v25, 0
	v_lshl_add_u64 v[24:25], s[6:7], 0, v[24:25]
	flat_load_ushort v24, v[24:25]
.LBB2540_49:
	s_or_b64 exec, exec, s[8:9]
	v_or_b32_e32 v26, 0x2e00, v0
	v_cmp_gt_u32_e32 vcc, s33, v26
                                        ; implicit-def: $vgpr25
	s_and_saveexec_b64 s[8:9], vcc
	s_cbranch_execz .LBB2540_51
; %bb.50:
	v_lshlrev_b32_e32 v26, 1, v26
	v_mov_b32_e32 v27, 0
	v_lshl_add_u64 v[26:27], s[6:7], 0, v[26:27]
	flat_load_ushort v25, v[26:27]
.LBB2540_51:
	s_or_b64 exec, exec, s[8:9]
	v_or_b32_e32 v27, 0x3000, v0
	v_cmp_gt_u32_e32 vcc, s33, v27
                                        ; implicit-def: $vgpr26
	s_and_saveexec_b64 s[8:9], vcc
	s_cbranch_execz .LBB2540_53
; %bb.52:
	v_lshlrev_b32_e32 v26, 1, v27
	v_mov_b32_e32 v27, 0
	v_lshl_add_u64 v[26:27], s[6:7], 0, v[26:27]
	flat_load_ushort v26, v[26:27]
.LBB2540_53:
	s_or_b64 exec, exec, s[8:9]
	v_or_b32_e32 v28, 0x3200, v0
	v_cmp_gt_u32_e32 vcc, s33, v28
                                        ; implicit-def: $vgpr27
	s_and_saveexec_b64 s[8:9], vcc
	s_cbranch_execz .LBB2540_55
; %bb.54:
	v_lshlrev_b32_e32 v28, 1, v28
	v_mov_b32_e32 v29, 0
	v_lshl_add_u64 v[28:29], s[6:7], 0, v[28:29]
	flat_load_ushort v27, v[28:29]
.LBB2540_55:
	s_or_b64 exec, exec, s[8:9]
	v_or_b32_e32 v29, 0x3400, v0
	v_cmp_gt_u32_e32 vcc, s33, v29
                                        ; implicit-def: $vgpr28
	s_and_saveexec_b64 s[8:9], vcc
	s_cbranch_execz .LBB2540_57
; %bb.56:
	v_lshlrev_b32_e32 v28, 1, v29
	v_mov_b32_e32 v29, 0
	v_lshl_add_u64 v[28:29], s[6:7], 0, v[28:29]
	flat_load_ushort v28, v[28:29]
.LBB2540_57:
	s_or_b64 exec, exec, s[8:9]
	v_or_b32_e32 v30, 0x3600, v0
	v_cmp_gt_u32_e32 vcc, s33, v30
                                        ; implicit-def: $vgpr29
	s_and_saveexec_b64 s[8:9], vcc
	s_cbranch_execz .LBB2540_59
; %bb.58:
	v_lshlrev_b32_e32 v30, 1, v30
	v_mov_b32_e32 v31, 0
	v_lshl_add_u64 v[30:31], s[6:7], 0, v[30:31]
	flat_load_ushort v29, v[30:31]
.LBB2540_59:
	s_or_b64 exec, exec, s[8:9]
	v_or_b32_e32 v31, 0x3800, v0
	v_cmp_gt_u32_e32 vcc, s33, v31
                                        ; implicit-def: $vgpr30
	s_and_saveexec_b64 s[8:9], vcc
	s_cbranch_execz .LBB2540_61
; %bb.60:
	v_lshlrev_b32_e32 v30, 1, v31
	v_mov_b32_e32 v31, 0
	v_lshl_add_u64 v[30:31], s[6:7], 0, v[30:31]
	flat_load_ushort v30, v[30:31]
.LBB2540_61:
	s_or_b64 exec, exec, s[8:9]
	v_or_b32_e32 v32, 0x3a00, v0
	v_cmp_gt_u32_e32 vcc, s33, v32
                                        ; implicit-def: $vgpr31
	s_and_saveexec_b64 s[8:9], vcc
	s_cbranch_execz .LBB2540_63
; %bb.62:
	v_lshlrev_b32_e32 v32, 1, v32
	v_mov_b32_e32 v33, 0
	v_lshl_add_u64 v[32:33], s[6:7], 0, v[32:33]
	flat_load_ushort v31, v[32:33]
.LBB2540_63:
	s_or_b64 exec, exec, s[8:9]
	s_waitcnt vmcnt(0) lgkmcnt(0)
	ds_write_b16 v2, v1
	ds_write_b16 v2, v4 offset:1024
	ds_write_b16 v2, v5 offset:2048
	;; [unrolled: 1-line block ×29, first 2 shown]
	s_waitcnt lgkmcnt(0)
	s_barrier
.LBB2540_64:
	v_mul_u32_u24_e32 v40, 30, v0
	v_lshlrev_b32_e32 v4, 1, v40
	s_waitcnt lgkmcnt(0)
	ds_read_b32 v3, v4 offset:56
	ds_read2_b32 v[8:9], v4 offset0:12 offset1:13
	ds_read2_b32 v[10:11], v4 offset0:10 offset1:11
	;; [unrolled: 1-line block ×3, first 2 shown]
	ds_read2_b32 v[20:21], v4 offset1:1
	ds_read2_b32 v[18:19], v4 offset0:2 offset1:3
	ds_read2_b32 v[16:17], v4 offset0:4 offset1:5
	;; [unrolled: 1-line block ×3, first 2 shown]
	s_waitcnt lgkmcnt(7)
	v_lshrrev_b32_e32 v1, 16, v3
	s_waitcnt lgkmcnt(6)
	v_lshrrev_b32_e32 v29, 16, v8
	v_lshrrev_b32_e32 v28, 16, v9
	s_waitcnt lgkmcnt(5)
	v_lshrrev_b32_e32 v31, 16, v10
	;; [unrolled: 3-line block ×6, first 2 shown]
	v_lshrrev_b32_e32 v34, 16, v15
	v_lshrrev_b32_e32 v33, 16, v12
	;; [unrolled: 1-line block ×3, first 2 shown]
	v_cndmask_b32_e64 v4, 0, 1, s[4:5]
	v_cmp_ne_u32_e64 s[20:21], 1, v4
	s_andn2_b64 vcc, exec, s[4:5]
	v_xor_b32_e32 v92, -1, v20
	v_xor_b32_e32 v91, -1, v42
	v_xor_b32_e32 v90, -1, v21
	v_xor_b32_e32 v89, -1, v41
	v_xor_b32_e32 v88, -1, v18
	v_xor_b32_e32 v87, -1, v39
	v_xor_b32_e32 v86, -1, v19
	v_xor_b32_e32 v85, -1, v38
	v_xor_b32_e32 v84, -1, v16
	v_xor_b32_e32 v83, -1, v37
	v_xor_b32_e32 v82, -1, v17
	v_xor_b32_e32 v81, -1, v36
	v_xor_b32_e32 v80, -1, v14
	v_xor_b32_e32 v79, -1, v35
	v_xor_b32_e32 v78, -1, v15
	v_xor_b32_e32 v77, -1, v34
	v_xor_b32_e32 v76, -1, v12
	v_xor_b32_e32 v75, -1, v33
	v_xor_b32_e32 v74, -1, v13
	v_xor_b32_e32 v73, -1, v32
	v_xor_b32_e32 v27, -1, v10
	v_xor_b32_e32 v26, -1, v31
	v_xor_b32_e32 v25, -1, v11
	v_xor_b32_e32 v24, -1, v30
	v_xor_b32_e32 v23, -1, v8
	v_xor_b32_e32 v22, -1, v29
	v_xor_b32_e32 v7, -1, v9
	v_xor_b32_e32 v6, -1, v28
	v_xor_b32_e32 v5, -1, v3
	v_xor_b32_e32 v4, -1, v1
	s_barrier
	s_cbranch_vccnz .LBB2540_66
; %bb.65:
	v_and_b32_e32 v72, 1, v92
	v_and_b32_e32 v71, 1, v91
	;; [unrolled: 1-line block ×30, first 2 shown]
	s_load_dwordx2 s[28:29], s[0:1], 0x70
	s_cbranch_execz .LBB2540_67
	s_branch .LBB2540_68
.LBB2540_66:
                                        ; implicit-def: $vgpr72
                                        ; implicit-def: $vgpr71
                                        ; implicit-def: $vgpr70
                                        ; implicit-def: $vgpr69
                                        ; implicit-def: $vgpr68
                                        ; implicit-def: $vgpr67
                                        ; implicit-def: $vgpr66
                                        ; implicit-def: $vgpr65
                                        ; implicit-def: $vgpr64
                                        ; implicit-def: $vgpr63
                                        ; implicit-def: $vgpr62
                                        ; implicit-def: $vgpr61
                                        ; implicit-def: $vgpr60
                                        ; implicit-def: $vgpr59
                                        ; implicit-def: $vgpr58
                                        ; implicit-def: $vgpr57
                                        ; implicit-def: $vgpr56
                                        ; implicit-def: $vgpr55
                                        ; implicit-def: $vgpr54
                                        ; implicit-def: $vgpr53
                                        ; implicit-def: $vgpr52
                                        ; implicit-def: $vgpr51
                                        ; implicit-def: $vgpr50
                                        ; implicit-def: $vgpr49
                                        ; implicit-def: $vgpr48
                                        ; implicit-def: $vgpr47
                                        ; implicit-def: $vgpr46
                                        ; implicit-def: $vgpr45
                                        ; implicit-def: $vgpr43
                                        ; implicit-def: $vgpr44
	s_load_dwordx2 s[28:29], s[0:1], 0x70
.LBB2540_67:
	v_or_b32_e32 v52, 1, v40
	v_cmp_gt_u32_e32 vcc, s33, v40
	v_add_u32_e32 v53, 2, v40
	v_add_u32_e32 v54, 3, v40
	v_cndmask_b32_e64 v62, 0, 1, vcc
	v_cmp_gt_u32_e32 vcc, s33, v52
	v_add_u32_e32 v55, 4, v40
	v_add_u32_e32 v56, 5, v40
	v_cndmask_b32_e64 v52, 0, 1, vcc
	v_cmp_gt_u32_e32 vcc, s33, v53
	v_and_b32_e32 v71, v52, v91
	v_add_u32_e32 v57, 6, v40
	v_cndmask_b32_e64 v52, 0, 1, vcc
	v_cmp_gt_u32_e32 vcc, s33, v54
	v_and_b32_e32 v70, v52, v90
	;; [unrolled: 4-line block ×9, first 2 shown]
	v_and_b32_e32 v72, v62, v92
	v_cndmask_b32_e64 v52, 0, 1, vcc
	v_cmp_gt_u32_e32 vcc, s33, v93
	v_and_b32_e32 v62, v52, v82
	v_add_u32_e32 v96, 14, v40
	v_cndmask_b32_e64 v52, 0, 1, vcc
	v_cmp_gt_u32_e32 vcc, s33, v94
	v_and_b32_e32 v61, v52, v81
	v_add_u32_e32 v97, 15, v40
	;; [unrolled: 4-line block ×16, first 2 shown]
	v_cndmask_b32_e64 v22, 0, 1, vcc
	v_cmp_gt_u32_e32 vcc, s33, v45
	v_and_b32_e32 v46, v22, v7
	s_nop 0
	v_cndmask_b32_e64 v7, 0, 1, vcc
	v_cmp_gt_u32_e32 vcc, s33, v43
	v_and_b32_e32 v45, v7, v6
	s_nop 0
	v_cndmask_b32_e64 v6, 0, 1, vcc
	v_cmp_gt_u32_e32 vcc, s33, v44
	v_and_b32_e32 v43, v6, v5
	s_nop 0
	v_cndmask_b32_e64 v5, 0, 1, vcc
	v_and_b32_e32 v44, v5, v4
.LBB2540_68:
	v_and_b32_e32 v99, 0xff, v46
	v_and_b32_e32 v100, 0xff, v45
	v_add_u32_sdwa v4, v43, v44 dst_sel:DWORD dst_unused:UNUSED_PAD src0_sel:BYTE_0 src1_sel:BYTE_0
	v_and_b32_e32 v97, 0xff, v48
	v_and_b32_e32 v98, 0xff, v47
	v_add3_u32 v4, v4, v100, v99
	v_and_b32_e32 v95, 0xff, v50
	v_and_b32_e32 v96, 0xff, v49
	v_add3_u32 v4, v4, v98, v97
	;; [unrolled: 3-line block ×13, first 2 shown]
	v_add3_u32 v103, v4, v74, v73
	v_mbcnt_lo_u32_b32 v4, -1, 0
	v_mbcnt_hi_u32_b32 v101, -1, v4
	v_and_b32_e32 v4, 15, v101
	v_cmp_eq_u32_e64 s[16:17], 0, v4
	v_cmp_lt_u32_e64 s[14:15], 1, v4
	v_cmp_lt_u32_e64 s[12:13], 3, v4
	;; [unrolled: 1-line block ×3, first 2 shown]
	v_and_b32_e32 v4, 16, v101
	v_cmp_eq_u32_e64 s[8:9], 0, v4
	v_or_b32_e32 v4, 63, v0
	s_cmp_lg_u32 s2, 0
	v_cmp_lt_u32_e64 s[4:5], 31, v101
	v_lshrrev_b32_e32 v102, 6, v0
	v_cmp_eq_u32_e64 s[6:7], v4, v0
	s_cbranch_scc0 .LBB2540_99
; %bb.69:
	v_mov_b32_dpp v4, v103 row_shr:1 row_mask:0xf bank_mask:0xf
	v_cndmask_b32_e64 v4, v4, 0, s[16:17]
	v_add_u32_e32 v4, v4, v103
	s_nop 1
	v_mov_b32_dpp v5, v4 row_shr:2 row_mask:0xf bank_mask:0xf
	v_cndmask_b32_e64 v5, 0, v5, s[14:15]
	v_add_u32_e32 v4, v4, v5
	s_nop 1
	;; [unrolled: 4-line block ×4, first 2 shown]
	v_mov_b32_dpp v5, v4 row_bcast:15 row_mask:0xf bank_mask:0xf
	v_cndmask_b32_e64 v5, v5, 0, s[8:9]
	v_add_u32_e32 v4, v4, v5
	s_nop 1
	v_mov_b32_dpp v5, v4 row_bcast:31 row_mask:0xf bank_mask:0xf
	v_cndmask_b32_e64 v5, 0, v5, s[4:5]
	v_add_u32_e32 v4, v4, v5
	s_and_saveexec_b64 s[18:19], s[6:7]
	s_cbranch_execz .LBB2540_71
; %bb.70:
	v_lshlrev_b32_e32 v5, 2, v102
	ds_write_b32 v5, v4
.LBB2540_71:
	s_or_b64 exec, exec, s[18:19]
	v_cmp_gt_u32_e32 vcc, 8, v0
	s_waitcnt lgkmcnt(0)
	s_barrier
	s_and_saveexec_b64 s[18:19], vcc
	s_cbranch_execz .LBB2540_73
; %bb.72:
	v_lshlrev_b32_e32 v5, 2, v0
	ds_read_b32 v6, v5
	v_and_b32_e32 v7, 7, v101
	v_cmp_ne_u32_e32 vcc, 0, v7
	s_waitcnt lgkmcnt(0)
	v_mov_b32_dpp v22, v6 row_shr:1 row_mask:0xf bank_mask:0xf
	v_cndmask_b32_e32 v22, 0, v22, vcc
	v_add_u32_e32 v6, v22, v6
	v_cmp_lt_u32_e32 vcc, 1, v7
	s_nop 0
	v_mov_b32_dpp v22, v6 row_shr:2 row_mask:0xf bank_mask:0xf
	v_cndmask_b32_e32 v22, 0, v22, vcc
	v_add_u32_e32 v6, v6, v22
	v_cmp_lt_u32_e32 vcc, 3, v7
	s_nop 0
	v_mov_b32_dpp v22, v6 row_shr:4 row_mask:0xf bank_mask:0xf
	v_cndmask_b32_e32 v7, 0, v22, vcc
	v_add_u32_e32 v6, v6, v7
	ds_write_b32 v5, v6
.LBB2540_73:
	s_or_b64 exec, exec, s[18:19]
	v_cmp_gt_u32_e32 vcc, 64, v0
	v_cmp_lt_u32_e64 s[18:19], 63, v0
	s_waitcnt lgkmcnt(0)
	s_barrier
	s_waitcnt lgkmcnt(0)
                                        ; implicit-def: $vgpr104
	s_and_saveexec_b64 s[30:31], s[18:19]
	s_cbranch_execz .LBB2540_75
; %bb.74:
	v_lshl_add_u32 v5, v102, 2, -4
	ds_read_b32 v104, v5
	s_waitcnt lgkmcnt(0)
	v_add_u32_e32 v4, v104, v4
.LBB2540_75:
	s_or_b64 exec, exec, s[30:31]
	v_add_u32_e32 v5, -1, v101
	v_and_b32_e32 v6, 64, v101
	v_cmp_lt_i32_e64 s[18:19], v5, v6
	s_nop 1
	v_cndmask_b32_e64 v5, v5, v101, s[18:19]
	v_lshlrev_b32_e32 v5, 2, v5
	ds_bpermute_b32 v105, v5, v4
	v_cmp_eq_u32_e64 s[18:19], 0, v101
	s_and_saveexec_b64 s[30:31], vcc
	s_cbranch_execz .LBB2540_98
; %bb.76:
	v_mov_b32_e32 v27, 0
	ds_read_b32 v4, v27 offset:28
	s_and_saveexec_b64 s[34:35], s[18:19]
	s_cbranch_execz .LBB2540_78
; %bb.77:
	s_add_i32 s36, s2, 64
	s_mov_b32 s37, 0
	s_lshl_b64 s[36:37], s[36:37], 3
	s_add_u32 s36, s28, s36
	v_mov_b32_e32 v5, 1
	s_addc_u32 s37, s29, s37
	s_waitcnt lgkmcnt(0)
	global_store_dwordx2 v27, v[4:5], s[36:37] sc1
.LBB2540_78:
	s_or_b64 exec, exec, s[34:35]
	v_xad_u32 v6, v101, -1, s2
	v_add_u32_e32 v26, 64, v6
	v_lshl_add_u64 v[22:23], v[26:27], 3, s[28:29]
	global_load_dwordx2 v[24:25], v[22:23], off sc1
	s_waitcnt vmcnt(0)
	v_cmp_eq_u16_sdwa s[36:37], v25, v27 src0_sel:BYTE_0 src1_sel:DWORD
	s_and_saveexec_b64 s[34:35], s[36:37]
	s_cbranch_execz .LBB2540_84
; %bb.79:
	s_mov_b32 s3, 1
	s_mov_b64 s[36:37], 0
	v_mov_b32_e32 v5, 0
.LBB2540_80:                            ; =>This Loop Header: Depth=1
                                        ;     Child Loop BB2540_81 Depth 2
	s_max_u32 s38, s3, 1
.LBB2540_81:                            ;   Parent Loop BB2540_80 Depth=1
                                        ; =>  This Inner Loop Header: Depth=2
	s_add_i32 s38, s38, -1
	s_cmp_eq_u32 s38, 0
	s_sleep 1
	s_cbranch_scc0 .LBB2540_81
; %bb.82:                               ;   in Loop: Header=BB2540_80 Depth=1
	global_load_dwordx2 v[24:25], v[22:23], off sc1
	s_cmp_lt_u32 s3, 32
	s_cselect_b64 s[38:39], -1, 0
	s_cmp_lg_u64 s[38:39], 0
	s_addc_u32 s3, s3, 0
	s_waitcnt vmcnt(0)
	v_cmp_ne_u16_sdwa s[38:39], v25, v5 src0_sel:BYTE_0 src1_sel:DWORD
	s_or_b64 s[36:37], s[38:39], s[36:37]
	s_andn2_b64 exec, exec, s[36:37]
	s_cbranch_execnz .LBB2540_80
; %bb.83:
	s_or_b64 exec, exec, s[36:37]
.LBB2540_84:
	s_or_b64 exec, exec, s[34:35]
	v_and_b32_e32 v107, 63, v101
	v_mov_b32_e32 v106, 2
	v_cmp_ne_u32_e32 vcc, 63, v107
	v_cmp_eq_u16_sdwa s[34:35], v25, v106 src0_sel:BYTE_0 src1_sel:DWORD
	v_lshlrev_b64 v[22:23], v101, -1
	v_addc_co_u32_e32 v26, vcc, 0, v101, vcc
	v_and_b32_e32 v5, s35, v23
	v_lshlrev_b32_e32 v108, 2, v26
	v_or_b32_e32 v5, 0x80000000, v5
	ds_bpermute_b32 v26, v108, v24
	v_and_b32_e32 v7, s34, v22
	v_ffbl_b32_e32 v5, v5
	v_add_u32_e32 v5, 32, v5
	v_ffbl_b32_e32 v7, v7
	v_min_u32_e32 v5, v7, v5
	v_cmp_lt_u32_e32 vcc, v107, v5
	v_add_u32_e32 v110, 2, v107
	v_add_u32_e32 v112, 4, v107
	s_waitcnt lgkmcnt(0)
	v_cndmask_b32_e32 v7, 0, v26, vcc
	v_cmp_gt_u32_e32 vcc, 62, v107
	v_add_u32_e32 v7, v7, v24
	v_add_u32_e32 v114, 8, v107
	v_cndmask_b32_e64 v24, 0, 1, vcc
	v_lshlrev_b32_e32 v24, 1, v24
	v_add_lshl_u32 v109, v24, v101, 2
	ds_bpermute_b32 v24, v109, v7
	v_cmp_le_u32_e32 vcc, v110, v5
	v_add_u32_e32 v116, 16, v107
	v_add_u32_e32 v118, 32, v107
	s_waitcnt lgkmcnt(0)
	v_cndmask_b32_e32 v24, 0, v24, vcc
	v_cmp_gt_u32_e32 vcc, 60, v107
	v_add_u32_e32 v7, v7, v24
	s_nop 0
	v_cndmask_b32_e64 v24, 0, 1, vcc
	v_lshlrev_b32_e32 v24, 2, v24
	v_add_lshl_u32 v111, v24, v101, 2
	ds_bpermute_b32 v24, v111, v7
	v_cmp_le_u32_e32 vcc, v112, v5
	s_waitcnt lgkmcnt(0)
	s_nop 0
	v_cndmask_b32_e32 v24, 0, v24, vcc
	v_cmp_gt_u32_e32 vcc, 56, v107
	v_add_u32_e32 v7, v7, v24
	s_nop 0
	v_cndmask_b32_e64 v24, 0, 1, vcc
	v_lshlrev_b32_e32 v24, 3, v24
	v_add_lshl_u32 v113, v24, v101, 2
	ds_bpermute_b32 v24, v113, v7
	v_cmp_le_u32_e32 vcc, v114, v5
	s_waitcnt lgkmcnt(0)
	s_nop 0
	;; [unrolled: 11-line block ×4, first 2 shown]
	v_cndmask_b32_e32 v5, 0, v24, vcc
	v_add_u32_e32 v24, v7, v5
	v_mov_b32_e32 v7, 0
	s_branch .LBB2540_86
.LBB2540_85:                            ;   in Loop: Header=BB2540_86 Depth=1
	s_or_b64 exec, exec, s[34:35]
	v_cmp_eq_u16_sdwa s[34:35], v25, v106 src0_sel:BYTE_0 src1_sel:DWORD
	ds_bpermute_b32 v119, v108, v24
	v_subrev_u32_e32 v6, 64, v6
	v_and_b32_e32 v26, s35, v23
	v_or_b32_e32 v26, 0x80000000, v26
	v_and_b32_e32 v27, s34, v22
	v_ffbl_b32_e32 v26, v26
	v_add_u32_e32 v26, 32, v26
	v_ffbl_b32_e32 v27, v27
	v_min_u32_e32 v26, v27, v26
	v_cmp_lt_u32_e32 vcc, v107, v26
	s_waitcnt lgkmcnt(0)
	s_nop 0
	v_cndmask_b32_e32 v27, 0, v119, vcc
	v_add_u32_e32 v24, v27, v24
	ds_bpermute_b32 v27, v109, v24
	v_cmp_le_u32_e32 vcc, v110, v26
	s_waitcnt lgkmcnt(0)
	s_nop 0
	v_cndmask_b32_e32 v27, 0, v27, vcc
	v_add_u32_e32 v24, v24, v27
	ds_bpermute_b32 v27, v111, v24
	v_cmp_le_u32_e32 vcc, v112, v26
	;; [unrolled: 6-line block ×5, first 2 shown]
	s_waitcnt lgkmcnt(0)
	s_nop 0
	v_cndmask_b32_e32 v26, 0, v27, vcc
	v_add3_u32 v24, v26, v5, v24
.LBB2540_86:                            ; =>This Loop Header: Depth=1
                                        ;     Child Loop BB2540_89 Depth 2
                                        ;       Child Loop BB2540_90 Depth 3
	v_cmp_ne_u16_sdwa s[34:35], v25, v106 src0_sel:BYTE_0 src1_sel:DWORD
	s_nop 1
	v_cndmask_b32_e64 v5, 0, 1, s[34:35]
	;;#ASMSTART
	;;#ASMEND
	s_nop 0
	v_cmp_ne_u32_e32 vcc, 0, v5
	s_cmp_lg_u64 vcc, exec
	v_mov_b32_e32 v5, v24
	s_cbranch_scc1 .LBB2540_93
; %bb.87:                               ;   in Loop: Header=BB2540_86 Depth=1
	v_lshl_add_u64 v[26:27], v[6:7], 3, s[28:29]
	global_load_dwordx2 v[24:25], v[26:27], off sc1
	s_waitcnt vmcnt(0)
	v_cmp_eq_u16_sdwa s[36:37], v25, v7 src0_sel:BYTE_0 src1_sel:DWORD
	s_and_saveexec_b64 s[34:35], s[36:37]
	s_cbranch_execz .LBB2540_85
; %bb.88:                               ;   in Loop: Header=BB2540_86 Depth=1
	s_mov_b32 s3, 1
	s_mov_b64 s[36:37], 0
.LBB2540_89:                            ;   Parent Loop BB2540_86 Depth=1
                                        ; =>  This Loop Header: Depth=2
                                        ;       Child Loop BB2540_90 Depth 3
	s_max_u32 s38, s3, 1
.LBB2540_90:                            ;   Parent Loop BB2540_86 Depth=1
                                        ;     Parent Loop BB2540_89 Depth=2
                                        ; =>    This Inner Loop Header: Depth=3
	s_add_i32 s38, s38, -1
	s_cmp_eq_u32 s38, 0
	s_sleep 1
	s_cbranch_scc0 .LBB2540_90
; %bb.91:                               ;   in Loop: Header=BB2540_89 Depth=2
	global_load_dwordx2 v[24:25], v[26:27], off sc1
	s_cmp_lt_u32 s3, 32
	s_cselect_b64 s[38:39], -1, 0
	s_cmp_lg_u64 s[38:39], 0
	s_addc_u32 s3, s3, 0
	s_waitcnt vmcnt(0)
	v_cmp_ne_u16_sdwa s[38:39], v25, v7 src0_sel:BYTE_0 src1_sel:DWORD
	s_or_b64 s[36:37], s[38:39], s[36:37]
	s_andn2_b64 exec, exec, s[36:37]
	s_cbranch_execnz .LBB2540_89
; %bb.92:                               ;   in Loop: Header=BB2540_86 Depth=1
	s_or_b64 exec, exec, s[36:37]
	s_branch .LBB2540_85
.LBB2540_93:                            ;   in Loop: Header=BB2540_86 Depth=1
                                        ; implicit-def: $vgpr24
                                        ; implicit-def: $vgpr25
	s_cbranch_execz .LBB2540_86
; %bb.94:
	s_and_saveexec_b64 s[34:35], s[18:19]
	s_cbranch_execz .LBB2540_96
; %bb.95:
	s_add_i32 s2, s2, 64
	s_mov_b32 s3, 0
	s_lshl_b64 s[2:3], s[2:3], 3
	s_add_u32 s2, s28, s2
	v_add_u32_e32 v6, v5, v4
	v_mov_b32_e32 v7, 2
	s_addc_u32 s3, s29, s3
	v_mov_b32_e32 v22, 0
	global_store_dwordx2 v22, v[6:7], s[2:3] sc1
	ds_write_b64 v22, v[4:5] offset:30720
.LBB2540_96:
	s_or_b64 exec, exec, s[34:35]
	v_cmp_eq_u32_e32 vcc, 0, v0
	s_and_b64 exec, exec, vcc
	s_cbranch_execz .LBB2540_98
; %bb.97:
	v_mov_b32_e32 v4, 0
	ds_write_b32 v4, v5 offset:28
.LBB2540_98:
	s_or_b64 exec, exec, s[30:31]
	v_mov_b32_e32 v4, 0
	s_waitcnt lgkmcnt(0)
	s_barrier
	ds_read_b32 v7, v4 offset:28
	s_waitcnt lgkmcnt(0)
	s_barrier
	ds_read_b64 v[4:5], v4 offset:30720
	v_cndmask_b32_e64 v6, v105, v104, s[18:19]
	v_cmp_ne_u32_e32 vcc, 0, v0
	s_nop 1
	v_cndmask_b32_e32 v6, 0, v6, vcc
	v_add_u32_e32 v7, v7, v6
	s_waitcnt lgkmcnt(0)
	v_mov_b32_e32 v6, v5
	s_load_dwordx2 s[2:3], s[0:1], 0x28
	s_branch .LBB2540_109
.LBB2540_99:
                                        ; implicit-def: $vgpr6
                                        ; implicit-def: $vgpr4
                                        ; implicit-def: $vgpr7
	s_load_dwordx2 s[2:3], s[0:1], 0x28
	s_cbranch_execz .LBB2540_109
; %bb.100:
	v_mov_b32_dpp v4, v103 row_shr:1 row_mask:0xf bank_mask:0xf
	v_cndmask_b32_e64 v4, v4, 0, s[16:17]
	v_add_u32_e32 v4, v4, v103
	s_nop 1
	v_mov_b32_dpp v5, v4 row_shr:2 row_mask:0xf bank_mask:0xf
	v_cndmask_b32_e64 v5, 0, v5, s[14:15]
	v_add_u32_e32 v4, v4, v5
	s_nop 1
	;; [unrolled: 4-line block ×4, first 2 shown]
	v_mov_b32_dpp v5, v4 row_bcast:15 row_mask:0xf bank_mask:0xf
	v_cndmask_b32_e64 v5, v5, 0, s[8:9]
	v_add_u32_e32 v4, v4, v5
	s_nop 1
	v_mov_b32_dpp v5, v4 row_bcast:31 row_mask:0xf bank_mask:0xf
	v_cndmask_b32_e64 v5, 0, v5, s[4:5]
	v_add_u32_e32 v4, v4, v5
	s_and_saveexec_b64 s[0:1], s[6:7]
	s_cbranch_execz .LBB2540_102
; %bb.101:
	v_lshlrev_b32_e32 v5, 2, v102
	ds_write_b32 v5, v4
.LBB2540_102:
	s_or_b64 exec, exec, s[0:1]
	v_cmp_gt_u32_e32 vcc, 8, v0
	s_waitcnt lgkmcnt(0)
	s_barrier
	s_and_saveexec_b64 s[0:1], vcc
	s_cbranch_execz .LBB2540_104
; %bb.103:
	v_lshlrev_b32_e32 v5, 2, v0
	ds_read_b32 v6, v5
	v_and_b32_e32 v7, 7, v101
	v_cmp_ne_u32_e32 vcc, 0, v7
	s_waitcnt lgkmcnt(0)
	v_mov_b32_dpp v22, v6 row_shr:1 row_mask:0xf bank_mask:0xf
	v_cndmask_b32_e32 v22, 0, v22, vcc
	v_add_u32_e32 v6, v22, v6
	v_cmp_lt_u32_e32 vcc, 1, v7
	s_nop 0
	v_mov_b32_dpp v22, v6 row_shr:2 row_mask:0xf bank_mask:0xf
	v_cndmask_b32_e32 v22, 0, v22, vcc
	v_add_u32_e32 v6, v6, v22
	v_cmp_lt_u32_e32 vcc, 3, v7
	s_nop 0
	v_mov_b32_dpp v22, v6 row_shr:4 row_mask:0xf bank_mask:0xf
	v_cndmask_b32_e32 v7, 0, v22, vcc
	v_add_u32_e32 v6, v6, v7
	ds_write_b32 v5, v6
.LBB2540_104:
	s_or_b64 exec, exec, s[0:1]
	v_cmp_lt_u32_e32 vcc, 63, v0
	v_mov_b32_e32 v5, 0
	v_mov_b32_e32 v6, 0
	s_waitcnt lgkmcnt(0)
	s_barrier
	s_and_saveexec_b64 s[0:1], vcc
	s_cbranch_execz .LBB2540_106
; %bb.105:
	v_lshl_add_u32 v6, v102, 2, -4
	ds_read_b32 v6, v6
.LBB2540_106:
	s_or_b64 exec, exec, s[0:1]
	v_add_u32_e32 v7, -1, v101
	v_and_b32_e32 v22, 64, v101
	v_cmp_lt_i32_e32 vcc, v7, v22
	s_waitcnt lgkmcnt(0)
	v_add_u32_e32 v4, v6, v4
	v_cndmask_b32_e32 v7, v7, v101, vcc
	v_lshlrev_b32_e32 v7, 2, v7
	ds_bpermute_b32 v7, v7, v4
	ds_read_b32 v4, v5 offset:28
	v_cmp_eq_u32_e32 vcc, 0, v0
	s_and_saveexec_b64 s[0:1], vcc
	s_cbranch_execz .LBB2540_108
; %bb.107:
	v_mov_b32_e32 v22, 0
	v_mov_b32_e32 v5, 2
	s_waitcnt lgkmcnt(0)
	global_store_dwordx2 v22, v[4:5], s[28:29] offset:512 sc1
.LBB2540_108:
	s_or_b64 exec, exec, s[0:1]
	v_cmp_eq_u32_e64 s[0:1], 0, v101
	s_waitcnt lgkmcnt(0)
	s_barrier
	v_cndmask_b32_e64 v5, v7, v6, s[0:1]
	v_mov_b32_e32 v6, 0
	v_cndmask_b32_e64 v7, v5, 0, vcc
.LBB2540_109:
	v_add_u32_e32 v5, v7, v73
	v_add_u32_e32 v22, v5, v74
	;; [unrolled: 1-line block ×22, first 2 shown]
	v_sub_u32_e32 v7, v7, v6
	v_and_b32_e32 v72, 1, v72
	v_add_u32_e32 v87, v86, v94
	v_sub_u32_e32 v94, v40, v7
	v_cmp_eq_u32_e32 vcc, 1, v72
	v_sub_u32_e32 v5, v5, v6
	v_add_u32_e32 v88, v87, v95
	v_cndmask_b32_e32 v7, v94, v7, vcc
	v_lshlrev_b32_e32 v7, 1, v7
	ds_write_b16 v7, v20
	v_sub_u32_e32 v7, v40, v5
	v_and_b32_e32 v20, 1, v71
	v_add_u32_e32 v7, 1, v7
	v_cmp_eq_u32_e32 vcc, 1, v20
	v_and_b32_e32 v20, 1, v70
	v_add_u32_e32 v89, v88, v96
	v_cndmask_b32_e32 v5, v7, v5, vcc
	v_lshlrev_b32_e32 v5, 1, v5
	ds_write_b16 v5, v42
	v_sub_u32_e32 v5, v22, v6
	v_sub_u32_e32 v7, v40, v5
	v_add_u32_e32 v7, 2, v7
	v_cmp_eq_u32_e32 vcc, 1, v20
	v_and_b32_e32 v20, 1, v69
	v_add_u32_e32 v90, v89, v97
	v_cndmask_b32_e32 v5, v7, v5, vcc
	v_lshlrev_b32_e32 v5, 1, v5
	ds_write_b16 v5, v21
	v_sub_u32_e32 v5, v23, v6
	v_sub_u32_e32 v7, v40, v5
	;; [unrolled: 9-line block ×3, first 2 shown]
	v_add_u32_e32 v7, 4, v7
	v_cmp_eq_u32_e32 vcc, 1, v20
	v_add_u32_e32 v92, v91, v99
	v_add_u32_e32 v93, v92, v100
	v_cndmask_b32_e32 v5, v7, v5, vcc
	v_lshlrev_b32_e32 v5, 1, v5
	ds_write_b16 v5, v18
	v_sub_u32_e32 v5, v25, v6
	v_sub_u32_e32 v7, v40, v5
	v_and_b32_e32 v18, 1, v67
	v_add_u32_e32 v7, 5, v7
	v_cmp_eq_u32_e32 vcc, 1, v18
	v_and_b32_e32 v18, 1, v66
	v_or_b32_e32 v41, 0x1800, v0
	v_cndmask_b32_e32 v5, v7, v5, vcc
	v_lshlrev_b32_e32 v5, 1, v5
	ds_write_b16 v5, v39
	v_sub_u32_e32 v5, v26, v6
	v_sub_u32_e32 v7, v40, v5
	v_add_u32_e32 v7, 6, v7
	v_cmp_eq_u32_e32 vcc, 1, v18
	v_and_b32_e32 v18, 1, v65
	v_or_b32_e32 v39, 0x1a00, v0
	v_cndmask_b32_e32 v5, v7, v5, vcc
	v_lshlrev_b32_e32 v5, 1, v5
	ds_write_b16 v5, v19
	v_sub_u32_e32 v5, v27, v6
	v_sub_u32_e32 v7, v40, v5
	v_add_u32_e32 v7, 7, v7
	v_cmp_eq_u32_e32 vcc, 1, v18
	v_and_b32_e32 v18, 1, v64
	v_or_b32_e32 v27, 0x2600, v0
	v_cndmask_b32_e32 v5, v7, v5, vcc
	v_lshlrev_b32_e32 v5, 1, v5
	ds_write_b16 v5, v38
	v_sub_u32_e32 v5, v73, v6
	v_sub_u32_e32 v7, v40, v5
	v_add_u32_e32 v7, 8, v7
	v_cmp_eq_u32_e32 vcc, 1, v18
	v_or_b32_e32 v25, 0x2800, v0
	v_or_b32_e32 v23, 0x2a00, v0
	v_cndmask_b32_e32 v5, v7, v5, vcc
	v_lshlrev_b32_e32 v5, 1, v5
	ds_write_b16 v5, v16
	v_sub_u32_e32 v5, v74, v6
	v_sub_u32_e32 v7, v40, v5
	v_and_b32_e32 v16, 1, v63
	v_add_u32_e32 v7, 9, v7
	v_cmp_eq_u32_e32 vcc, 1, v16
	v_and_b32_e32 v16, 1, v62
	v_or_b32_e32 v63, 0x200, v0
	v_cndmask_b32_e32 v5, v7, v5, vcc
	v_lshlrev_b32_e32 v5, 1, v5
	ds_write_b16 v5, v37
	v_sub_u32_e32 v5, v75, v6
	v_sub_u32_e32 v7, v40, v5
	v_add_u32_e32 v7, 10, v7
	v_cmp_eq_u32_e32 vcc, 1, v16
	v_and_b32_e32 v16, 1, v61
	v_or_b32_e32 v61, 0x400, v0
	v_cndmask_b32_e32 v5, v7, v5, vcc
	v_lshlrev_b32_e32 v5, 1, v5
	ds_write_b16 v5, v17
	v_sub_u32_e32 v5, v76, v6
	v_sub_u32_e32 v7, v40, v5
	v_add_u32_e32 v7, 11, v7
	v_cmp_eq_u32_e32 vcc, 1, v16
	v_and_b32_e32 v16, 1, v60
	v_or_b32_e32 v37, 0x1c00, v0
	v_cndmask_b32_e32 v5, v7, v5, vcc
	v_lshlrev_b32_e32 v5, 1, v5
	ds_write_b16 v5, v36
	v_sub_u32_e32 v5, v77, v6
	v_sub_u32_e32 v7, v40, v5
	v_add_u32_e32 v7, 12, v7
	v_cmp_eq_u32_e32 vcc, 1, v16
	v_or_b32_e32 v21, 0x2c00, v0
	v_or_b32_e32 v19, 0x2e00, v0
	;; [unrolled: 37-line block ×4, first 2 shown]
	v_cndmask_b32_e32 v5, v7, v5, vcc
	v_lshlrev_b32_e32 v5, 1, v5
	ds_write_b16 v5, v10
	v_sub_u32_e32 v5, v86, v6
	v_sub_u32_e32 v7, v40, v5
	v_and_b32_e32 v10, 1, v51
	v_add_u32_e32 v7, 21, v7
	v_cmp_eq_u32_e32 vcc, 1, v10
	v_and_b32_e32 v10, 1, v50
	v_or_b32_e32 v50, 0xe00, v0
	v_cndmask_b32_e32 v5, v7, v5, vcc
	v_lshlrev_b32_e32 v5, 1, v5
	ds_write_b16 v5, v31
	v_sub_u32_e32 v5, v87, v6
	v_sub_u32_e32 v7, v40, v5
	v_add_u32_e32 v7, 22, v7
	v_cmp_eq_u32_e32 vcc, 1, v10
	v_and_b32_e32 v10, 1, v49
	v_or_b32_e32 v49, 0x1000, v0
	v_cndmask_b32_e32 v5, v7, v5, vcc
	v_lshlrev_b32_e32 v5, 1, v5
	ds_write_b16 v5, v11
	v_sub_u32_e32 v5, v88, v6
	v_sub_u32_e32 v7, v40, v5
	;; [unrolled: 9-line block ×3, first 2 shown]
	v_add_u32_e32 v7, 24, v7
	v_cmp_eq_u32_e32 vcc, 1, v10
	v_or_b32_e32 v10, 0x3800, v0
	s_nop 0
	v_cndmask_b32_e32 v5, v7, v5, vcc
	v_lshlrev_b32_e32 v5, 1, v5
	ds_write_b16 v5, v8
	v_sub_u32_e32 v5, v90, v6
	v_sub_u32_e32 v7, v40, v5
	v_and_b32_e32 v8, 1, v47
	v_add_u32_e32 v7, 25, v7
	v_cmp_eq_u32_e32 vcc, 1, v8
	v_and_b32_e32 v8, 1, v46
	v_or_b32_e32 v47, 0x1200, v0
	v_cndmask_b32_e32 v5, v7, v5, vcc
	v_lshlrev_b32_e32 v5, 1, v5
	ds_write_b16 v5, v29
	v_sub_u32_e32 v5, v91, v6
	v_sub_u32_e32 v7, v40, v5
	v_add_u32_e32 v7, 26, v7
	v_cmp_eq_u32_e32 vcc, 1, v8
	v_and_b32_e32 v8, 1, v45
	v_or_b32_e32 v45, 0x1400, v0
	v_cndmask_b32_e32 v5, v7, v5, vcc
	v_lshlrev_b32_e32 v5, 1, v5
	ds_write_b16 v5, v9
	v_sub_u32_e32 v5, v92, v6
	v_sub_u32_e32 v7, v40, v5
	;; [unrolled: 9-line block ×3, first 2 shown]
	v_add_u32_e32 v7, 28, v7
	v_cmp_eq_u32_e32 vcc, 1, v8
	s_nop 1
	v_cndmask_b32_e32 v5, v7, v5, vcc
	v_lshlrev_b32_e32 v5, 1, v5
	ds_write_b16 v5, v3
	v_sub_u32_sdwa v3, v43, v6 dst_sel:DWORD dst_unused:UNUSED_PAD src0_sel:BYTE_0 src1_sel:DWORD
	v_add_u32_e32 v3, v93, v3
	v_sub_u32_e32 v5, v40, v3
	v_and_b32_e32 v7, 1, v44
	v_add_u32_e32 v5, 29, v5
	v_cmp_eq_u32_e32 vcc, 1, v7
	v_or_b32_e32 v43, 0x1600, v0
	s_nop 0
	v_cndmask_b32_e32 v3, v5, v3, vcc
	v_lshlrev_b32_e32 v3, 1, v3
	ds_write_b16 v3, v1
	s_waitcnt lgkmcnt(0)
	s_barrier
	ds_read_u16 v65, v2
	ds_read_u16 v64, v2 offset:1024
	ds_read_u16 v62, v2 offset:2048
	ds_read_u16 v60, v2 offset:3072
	ds_read_u16 v58, v2 offset:4096
	ds_read_u16 v56, v2 offset:5120
	ds_read_u16 v54, v2 offset:6144
	ds_read_u16 v51, v2 offset:7168
	ds_read_u16 v52, v2 offset:8192
	ds_read_u16 v48, v2 offset:9216
	ds_read_u16 v46, v2 offset:10240
	ds_read_u16 v44, v2 offset:11264
	ds_read_u16 v42, v2 offset:12288
	ds_read_u16 v40, v2 offset:13312
	ds_read_u16 v38, v2 offset:14336
	ds_read_u16 v35, v2 offset:15360
	ds_read_u16 v36, v2 offset:16384
	ds_read_u16 v32, v2 offset:17408
	ds_read_u16 v30, v2 offset:18432
	ds_read_u16 v28, v2 offset:19456
	ds_read_u16 v26, v2 offset:20480
	ds_read_u16 v24, v2 offset:21504
	ds_read_u16 v22, v2 offset:22528
	ds_read_u16 v20, v2 offset:23552
	ds_read_u16 v17, v2 offset:24576
	ds_read_u16 v15, v2 offset:25600
	ds_read_u16 v13, v2 offset:26624
	ds_read_u16 v11, v2 offset:27648
	ds_read_u16 v5, v2 offset:28672
	ds_read_u16 v1, v2 offset:29696
	s_and_b64 vcc, exec, s[20:21]
	v_or_b32_e32 v3, 0x3a00, v0
	s_cbranch_vccnz .LBB2540_141
; %bb.110:
	s_lshl_b64 s[0:1], s[22:23], 1
	v_mov_b32_e32 v7, 0
	s_add_u32 s0, s2, s0
	s_addc_u32 s1, s3, s1
	v_lshlrev_b64 v[8:9], 1, v[6:7]
	v_lshl_add_u64 v[8:9], s[0:1], 0, v[8:9]
	v_cmp_lt_u32_e32 vcc, v0, v4
	s_and_saveexec_b64 s[0:1], vcc
	s_cbranch_execnz .LBB2540_178
; %bb.111:
	s_or_b64 exec, exec, s[0:1]
	v_cmp_lt_u32_e32 vcc, v63, v4
	s_and_saveexec_b64 s[0:1], vcc
	s_cbranch_execnz .LBB2540_179
.LBB2540_112:
	s_or_b64 exec, exec, s[0:1]
	v_cmp_lt_u32_e32 vcc, v61, v4
	s_and_saveexec_b64 s[0:1], vcc
	s_cbranch_execnz .LBB2540_180
.LBB2540_113:
	s_or_b64 exec, exec, s[0:1]
	v_cmp_lt_u32_e32 vcc, v59, v4
	s_and_saveexec_b64 s[0:1], vcc
	s_cbranch_execnz .LBB2540_181
.LBB2540_114:
	s_or_b64 exec, exec, s[0:1]
	v_cmp_lt_u32_e32 vcc, v57, v4
	s_and_saveexec_b64 s[0:1], vcc
	s_cbranch_execnz .LBB2540_182
.LBB2540_115:
	s_or_b64 exec, exec, s[0:1]
	v_cmp_lt_u32_e32 vcc, v55, v4
	s_and_saveexec_b64 s[0:1], vcc
	s_cbranch_execnz .LBB2540_183
.LBB2540_116:
	s_or_b64 exec, exec, s[0:1]
	v_cmp_lt_u32_e32 vcc, v53, v4
	s_and_saveexec_b64 s[0:1], vcc
	s_cbranch_execnz .LBB2540_184
.LBB2540_117:
	s_or_b64 exec, exec, s[0:1]
	v_cmp_lt_u32_e32 vcc, v50, v4
	s_and_saveexec_b64 s[0:1], vcc
	s_cbranch_execnz .LBB2540_185
.LBB2540_118:
	s_or_b64 exec, exec, s[0:1]
	v_cmp_lt_u32_e32 vcc, v49, v4
	s_and_saveexec_b64 s[0:1], vcc
	s_cbranch_execnz .LBB2540_186
.LBB2540_119:
	s_or_b64 exec, exec, s[0:1]
	v_cmp_lt_u32_e32 vcc, v47, v4
	s_and_saveexec_b64 s[0:1], vcc
	s_cbranch_execnz .LBB2540_187
.LBB2540_120:
	s_or_b64 exec, exec, s[0:1]
	v_cmp_lt_u32_e32 vcc, v45, v4
	s_and_saveexec_b64 s[0:1], vcc
	s_cbranch_execnz .LBB2540_188
.LBB2540_121:
	s_or_b64 exec, exec, s[0:1]
	v_cmp_lt_u32_e32 vcc, v43, v4
	s_and_saveexec_b64 s[0:1], vcc
	s_cbranch_execnz .LBB2540_189
.LBB2540_122:
	s_or_b64 exec, exec, s[0:1]
	v_cmp_lt_u32_e32 vcc, v41, v4
	s_and_saveexec_b64 s[0:1], vcc
	s_cbranch_execnz .LBB2540_190
.LBB2540_123:
	s_or_b64 exec, exec, s[0:1]
	v_cmp_lt_u32_e32 vcc, v39, v4
	s_and_saveexec_b64 s[0:1], vcc
	s_cbranch_execnz .LBB2540_191
.LBB2540_124:
	s_or_b64 exec, exec, s[0:1]
	v_cmp_lt_u32_e32 vcc, v37, v4
	s_and_saveexec_b64 s[0:1], vcc
	s_cbranch_execnz .LBB2540_192
.LBB2540_125:
	s_or_b64 exec, exec, s[0:1]
	v_cmp_lt_u32_e32 vcc, v34, v4
	s_and_saveexec_b64 s[0:1], vcc
	s_cbranch_execnz .LBB2540_193
.LBB2540_126:
	s_or_b64 exec, exec, s[0:1]
	v_cmp_lt_u32_e32 vcc, v33, v4
	s_and_saveexec_b64 s[0:1], vcc
	s_cbranch_execnz .LBB2540_194
.LBB2540_127:
	s_or_b64 exec, exec, s[0:1]
	v_cmp_lt_u32_e32 vcc, v31, v4
	s_and_saveexec_b64 s[0:1], vcc
	s_cbranch_execnz .LBB2540_195
.LBB2540_128:
	s_or_b64 exec, exec, s[0:1]
	v_cmp_lt_u32_e32 vcc, v29, v4
	s_and_saveexec_b64 s[0:1], vcc
	s_cbranch_execnz .LBB2540_196
.LBB2540_129:
	s_or_b64 exec, exec, s[0:1]
	v_cmp_lt_u32_e32 vcc, v27, v4
	s_and_saveexec_b64 s[0:1], vcc
	s_cbranch_execnz .LBB2540_197
.LBB2540_130:
	s_or_b64 exec, exec, s[0:1]
	v_cmp_lt_u32_e32 vcc, v25, v4
	s_and_saveexec_b64 s[0:1], vcc
	s_cbranch_execnz .LBB2540_198
.LBB2540_131:
	s_or_b64 exec, exec, s[0:1]
	v_cmp_lt_u32_e32 vcc, v23, v4
	s_and_saveexec_b64 s[0:1], vcc
	s_cbranch_execnz .LBB2540_199
.LBB2540_132:
	s_or_b64 exec, exec, s[0:1]
	v_cmp_lt_u32_e32 vcc, v21, v4
	s_and_saveexec_b64 s[0:1], vcc
	s_cbranch_execnz .LBB2540_200
.LBB2540_133:
	s_or_b64 exec, exec, s[0:1]
	v_cmp_lt_u32_e32 vcc, v19, v4
	s_and_saveexec_b64 s[0:1], vcc
	s_cbranch_execnz .LBB2540_201
.LBB2540_134:
	s_or_b64 exec, exec, s[0:1]
	v_cmp_lt_u32_e32 vcc, v18, v4
	s_and_saveexec_b64 s[0:1], vcc
	s_cbranch_execnz .LBB2540_202
.LBB2540_135:
	s_or_b64 exec, exec, s[0:1]
	v_cmp_lt_u32_e32 vcc, v16, v4
	s_and_saveexec_b64 s[0:1], vcc
	s_cbranch_execnz .LBB2540_203
.LBB2540_136:
	s_or_b64 exec, exec, s[0:1]
	v_cmp_lt_u32_e32 vcc, v14, v4
	s_and_saveexec_b64 s[0:1], vcc
	s_cbranch_execnz .LBB2540_204
.LBB2540_137:
	s_or_b64 exec, exec, s[0:1]
	v_cmp_lt_u32_e32 vcc, v12, v4
	s_and_saveexec_b64 s[0:1], vcc
	s_cbranch_execnz .LBB2540_205
.LBB2540_138:
	s_or_b64 exec, exec, s[0:1]
	v_cmp_lt_u32_e32 vcc, v10, v4
	s_and_saveexec_b64 s[0:1], vcc
	s_cbranch_execz .LBB2540_140
.LBB2540_139:
	v_lshlrev_b32_e32 v7, 1, v10
	v_readfirstlane_b32 s4, v8
	v_readfirstlane_b32 s5, v9
	s_waitcnt lgkmcnt(1)
	s_nop 3
	global_store_short v7, v5, s[4:5]
.LBB2540_140:
	s_or_b64 exec, exec, s[0:1]
	v_cmp_lt_u32_e64 s[0:1], v3, v4
	s_branch .LBB2540_173
.LBB2540_141:
	s_mov_b64 s[0:1], 0
                                        ; implicit-def: $vgpr8_vgpr9
	s_cbranch_execz .LBB2540_173
; %bb.142:
	s_lshl_b64 s[0:1], s[22:23], 1
	v_mov_b32_e32 v7, 0
	s_add_u32 s0, s2, s0
	v_min_u32_e32 v66, s33, v4
	s_addc_u32 s1, s3, s1
	v_lshlrev_b64 v[8:9], 1, v[6:7]
	v_lshl_add_u64 v[8:9], s[0:1], 0, v[8:9]
	v_cmp_gt_u32_e32 vcc, v66, v0
	s_and_saveexec_b64 s[0:1], vcc
	s_cbranch_execnz .LBB2540_206
; %bb.143:
	s_or_b64 exec, exec, s[0:1]
	v_cmp_lt_u32_e32 vcc, v63, v66
	s_and_saveexec_b64 s[0:1], vcc
	s_cbranch_execnz .LBB2540_207
.LBB2540_144:
	s_or_b64 exec, exec, s[0:1]
	v_cmp_lt_u32_e32 vcc, v61, v66
	s_and_saveexec_b64 s[0:1], vcc
	s_cbranch_execnz .LBB2540_208
.LBB2540_145:
	s_or_b64 exec, exec, s[0:1]
	v_cmp_lt_u32_e32 vcc, v59, v66
	s_and_saveexec_b64 s[0:1], vcc
	s_cbranch_execnz .LBB2540_209
.LBB2540_146:
	s_or_b64 exec, exec, s[0:1]
	v_cmp_lt_u32_e32 vcc, v57, v66
	s_and_saveexec_b64 s[0:1], vcc
	s_cbranch_execnz .LBB2540_210
.LBB2540_147:
	s_or_b64 exec, exec, s[0:1]
	v_cmp_lt_u32_e32 vcc, v55, v66
	s_and_saveexec_b64 s[0:1], vcc
	s_cbranch_execnz .LBB2540_211
.LBB2540_148:
	s_or_b64 exec, exec, s[0:1]
	v_cmp_lt_u32_e32 vcc, v53, v66
	s_and_saveexec_b64 s[0:1], vcc
	s_cbranch_execnz .LBB2540_212
.LBB2540_149:
	s_or_b64 exec, exec, s[0:1]
	v_cmp_lt_u32_e32 vcc, v50, v66
	s_and_saveexec_b64 s[0:1], vcc
	s_cbranch_execnz .LBB2540_213
.LBB2540_150:
	s_or_b64 exec, exec, s[0:1]
	v_cmp_lt_u32_e32 vcc, v49, v66
	s_and_saveexec_b64 s[0:1], vcc
	s_cbranch_execnz .LBB2540_214
.LBB2540_151:
	s_or_b64 exec, exec, s[0:1]
	v_cmp_lt_u32_e32 vcc, v47, v66
	s_and_saveexec_b64 s[0:1], vcc
	s_cbranch_execnz .LBB2540_215
.LBB2540_152:
	s_or_b64 exec, exec, s[0:1]
	v_cmp_lt_u32_e32 vcc, v45, v66
	s_and_saveexec_b64 s[0:1], vcc
	s_cbranch_execnz .LBB2540_216
.LBB2540_153:
	s_or_b64 exec, exec, s[0:1]
	v_cmp_lt_u32_e32 vcc, v43, v66
	s_and_saveexec_b64 s[0:1], vcc
	s_cbranch_execnz .LBB2540_217
.LBB2540_154:
	s_or_b64 exec, exec, s[0:1]
	v_cmp_lt_u32_e32 vcc, v41, v66
	s_and_saveexec_b64 s[0:1], vcc
	s_cbranch_execnz .LBB2540_218
.LBB2540_155:
	s_or_b64 exec, exec, s[0:1]
	v_cmp_lt_u32_e32 vcc, v39, v66
	s_and_saveexec_b64 s[0:1], vcc
	s_cbranch_execnz .LBB2540_219
.LBB2540_156:
	s_or_b64 exec, exec, s[0:1]
	v_cmp_lt_u32_e32 vcc, v37, v66
	s_and_saveexec_b64 s[0:1], vcc
	s_cbranch_execnz .LBB2540_220
.LBB2540_157:
	s_or_b64 exec, exec, s[0:1]
	v_cmp_lt_u32_e32 vcc, v34, v66
	s_and_saveexec_b64 s[0:1], vcc
	s_cbranch_execnz .LBB2540_221
.LBB2540_158:
	s_or_b64 exec, exec, s[0:1]
	v_cmp_lt_u32_e32 vcc, v33, v66
	s_and_saveexec_b64 s[0:1], vcc
	s_cbranch_execnz .LBB2540_222
.LBB2540_159:
	s_or_b64 exec, exec, s[0:1]
	v_cmp_lt_u32_e32 vcc, v31, v66
	s_and_saveexec_b64 s[0:1], vcc
	s_cbranch_execnz .LBB2540_223
.LBB2540_160:
	s_or_b64 exec, exec, s[0:1]
	v_cmp_lt_u32_e32 vcc, v29, v66
	s_and_saveexec_b64 s[0:1], vcc
	s_cbranch_execnz .LBB2540_224
.LBB2540_161:
	s_or_b64 exec, exec, s[0:1]
	v_cmp_lt_u32_e32 vcc, v27, v66
	s_and_saveexec_b64 s[0:1], vcc
	s_cbranch_execnz .LBB2540_225
.LBB2540_162:
	s_or_b64 exec, exec, s[0:1]
	v_cmp_lt_u32_e32 vcc, v25, v66
	s_and_saveexec_b64 s[0:1], vcc
	s_cbranch_execnz .LBB2540_226
.LBB2540_163:
	s_or_b64 exec, exec, s[0:1]
	v_cmp_lt_u32_e32 vcc, v23, v66
	s_and_saveexec_b64 s[0:1], vcc
	s_cbranch_execnz .LBB2540_227
.LBB2540_164:
	s_or_b64 exec, exec, s[0:1]
	v_cmp_lt_u32_e32 vcc, v21, v66
	s_and_saveexec_b64 s[0:1], vcc
	s_cbranch_execnz .LBB2540_228
.LBB2540_165:
	s_or_b64 exec, exec, s[0:1]
	v_cmp_lt_u32_e32 vcc, v19, v66
	s_and_saveexec_b64 s[0:1], vcc
	s_cbranch_execnz .LBB2540_229
.LBB2540_166:
	s_or_b64 exec, exec, s[0:1]
	v_cmp_lt_u32_e32 vcc, v18, v66
	s_and_saveexec_b64 s[0:1], vcc
	s_cbranch_execnz .LBB2540_230
.LBB2540_167:
	s_or_b64 exec, exec, s[0:1]
	v_cmp_lt_u32_e32 vcc, v16, v66
	s_and_saveexec_b64 s[0:1], vcc
	s_cbranch_execnz .LBB2540_231
.LBB2540_168:
	s_or_b64 exec, exec, s[0:1]
	v_cmp_lt_u32_e32 vcc, v14, v66
	s_and_saveexec_b64 s[0:1], vcc
	s_cbranch_execnz .LBB2540_232
.LBB2540_169:
	s_or_b64 exec, exec, s[0:1]
	v_cmp_lt_u32_e32 vcc, v12, v66
	s_and_saveexec_b64 s[0:1], vcc
	s_cbranch_execnz .LBB2540_233
.LBB2540_170:
	s_or_b64 exec, exec, s[0:1]
	v_cmp_lt_u32_e32 vcc, v10, v66
	s_and_saveexec_b64 s[0:1], vcc
	s_cbranch_execz .LBB2540_172
.LBB2540_171:
	v_lshlrev_b32_e32 v2, 1, v10
	v_readfirstlane_b32 s2, v8
	v_readfirstlane_b32 s3, v9
	s_waitcnt lgkmcnt(1)
	s_nop 3
	global_store_short v2, v5, s[2:3]
.LBB2540_172:
	s_or_b64 exec, exec, s[0:1]
	v_cmp_lt_u32_e64 s[0:1], v3, v66
.LBB2540_173:
	s_and_saveexec_b64 s[2:3], s[0:1]
	s_cbranch_execz .LBB2540_175
; %bb.174:
	v_lshlrev_b32_e32 v2, 1, v3
	v_readfirstlane_b32 s0, v8
	v_readfirstlane_b32 s1, v9
	s_waitcnt lgkmcnt(0)
	s_nop 3
	global_store_short v2, v1, s[0:1]
.LBB2540_175:
	s_or_b64 exec, exec, s[2:3]
	v_cmp_eq_u32_e32 vcc, 0, v0
	s_and_b64 s[0:1], vcc, s[26:27]
	s_and_saveexec_b64 s[2:3], s[0:1]
	s_cbranch_execz .LBB2540_177
; %bb.176:
	s_waitcnt lgkmcnt(1)
	v_mov_b32_e32 v5, 0
	s_waitcnt lgkmcnt(0)
	v_lshl_add_u64 v[0:1], s[22:23], 0, v[4:5]
	v_mov_b32_e32 v7, v5
	v_lshl_add_u64 v[0:1], v[0:1], 0, v[6:7]
	global_store_dwordx2 v5, v[0:1], s[24:25]
.LBB2540_177:
	s_endpgm
.LBB2540_178:
	v_readfirstlane_b32 s4, v8
	v_readfirstlane_b32 s5, v9
	s_waitcnt lgkmcnt(14)
	s_nop 3
	global_store_short v2, v65, s[4:5]
	s_or_b64 exec, exec, s[0:1]
	v_cmp_lt_u32_e32 vcc, v63, v4
	s_and_saveexec_b64 s[0:1], vcc
	s_cbranch_execz .LBB2540_112
.LBB2540_179:
	v_readfirstlane_b32 s4, v8
	v_readfirstlane_b32 s5, v9
	s_waitcnt lgkmcnt(14)
	s_nop 3
	global_store_short v2, v64, s[4:5] offset:1024
	s_or_b64 exec, exec, s[0:1]
	v_cmp_lt_u32_e32 vcc, v61, v4
	s_and_saveexec_b64 s[0:1], vcc
	s_cbranch_execz .LBB2540_113
.LBB2540_180:
	v_readfirstlane_b32 s4, v8
	v_readfirstlane_b32 s5, v9
	s_waitcnt lgkmcnt(14)
	s_nop 3
	global_store_short v2, v62, s[4:5] offset:2048
	s_or_b64 exec, exec, s[0:1]
	v_cmp_lt_u32_e32 vcc, v59, v4
	s_and_saveexec_b64 s[0:1], vcc
	s_cbranch_execz .LBB2540_114
.LBB2540_181:
	v_readfirstlane_b32 s4, v8
	v_readfirstlane_b32 s5, v9
	s_waitcnt lgkmcnt(14)
	s_nop 3
	global_store_short v2, v60, s[4:5] offset:3072
	s_or_b64 exec, exec, s[0:1]
	v_cmp_lt_u32_e32 vcc, v57, v4
	s_and_saveexec_b64 s[0:1], vcc
	s_cbranch_execz .LBB2540_115
.LBB2540_182:
	v_lshlrev_b32_e32 v7, 1, v57
	v_readfirstlane_b32 s4, v8
	v_readfirstlane_b32 s5, v9
	s_waitcnt lgkmcnt(14)
	s_nop 3
	global_store_short v7, v58, s[4:5]
	s_or_b64 exec, exec, s[0:1]
	v_cmp_lt_u32_e32 vcc, v55, v4
	s_and_saveexec_b64 s[0:1], vcc
	s_cbranch_execz .LBB2540_116
.LBB2540_183:
	v_lshlrev_b32_e32 v7, 1, v55
	v_readfirstlane_b32 s4, v8
	v_readfirstlane_b32 s5, v9
	s_waitcnt lgkmcnt(14)
	s_nop 3
	global_store_short v7, v56, s[4:5]
	s_or_b64 exec, exec, s[0:1]
	v_cmp_lt_u32_e32 vcc, v53, v4
	s_and_saveexec_b64 s[0:1], vcc
	s_cbranch_execz .LBB2540_117
.LBB2540_184:
	v_lshlrev_b32_e32 v7, 1, v53
	v_readfirstlane_b32 s4, v8
	v_readfirstlane_b32 s5, v9
	s_waitcnt lgkmcnt(14)
	s_nop 3
	global_store_short v7, v54, s[4:5]
	s_or_b64 exec, exec, s[0:1]
	v_cmp_lt_u32_e32 vcc, v50, v4
	s_and_saveexec_b64 s[0:1], vcc
	s_cbranch_execz .LBB2540_118
.LBB2540_185:
	v_lshlrev_b32_e32 v7, 1, v50
	v_readfirstlane_b32 s4, v8
	v_readfirstlane_b32 s5, v9
	s_waitcnt lgkmcnt(14)
	s_nop 3
	global_store_short v7, v51, s[4:5]
	s_or_b64 exec, exec, s[0:1]
	v_cmp_lt_u32_e32 vcc, v49, v4
	s_and_saveexec_b64 s[0:1], vcc
	s_cbranch_execz .LBB2540_119
.LBB2540_186:
	v_lshlrev_b32_e32 v7, 1, v49
	v_readfirstlane_b32 s4, v8
	v_readfirstlane_b32 s5, v9
	s_waitcnt lgkmcnt(14)
	s_nop 3
	global_store_short v7, v52, s[4:5]
	s_or_b64 exec, exec, s[0:1]
	v_cmp_lt_u32_e32 vcc, v47, v4
	s_and_saveexec_b64 s[0:1], vcc
	s_cbranch_execz .LBB2540_120
.LBB2540_187:
	v_lshlrev_b32_e32 v7, 1, v47
	v_readfirstlane_b32 s4, v8
	v_readfirstlane_b32 s5, v9
	s_waitcnt lgkmcnt(14)
	s_nop 3
	global_store_short v7, v48, s[4:5]
	s_or_b64 exec, exec, s[0:1]
	v_cmp_lt_u32_e32 vcc, v45, v4
	s_and_saveexec_b64 s[0:1], vcc
	s_cbranch_execz .LBB2540_121
.LBB2540_188:
	v_lshlrev_b32_e32 v7, 1, v45
	v_readfirstlane_b32 s4, v8
	v_readfirstlane_b32 s5, v9
	s_waitcnt lgkmcnt(14)
	s_nop 3
	global_store_short v7, v46, s[4:5]
	s_or_b64 exec, exec, s[0:1]
	v_cmp_lt_u32_e32 vcc, v43, v4
	s_and_saveexec_b64 s[0:1], vcc
	s_cbranch_execz .LBB2540_122
.LBB2540_189:
	v_lshlrev_b32_e32 v7, 1, v43
	v_readfirstlane_b32 s4, v8
	v_readfirstlane_b32 s5, v9
	s_waitcnt lgkmcnt(14)
	s_nop 3
	global_store_short v7, v44, s[4:5]
	s_or_b64 exec, exec, s[0:1]
	v_cmp_lt_u32_e32 vcc, v41, v4
	s_and_saveexec_b64 s[0:1], vcc
	s_cbranch_execz .LBB2540_123
.LBB2540_190:
	v_lshlrev_b32_e32 v7, 1, v41
	v_readfirstlane_b32 s4, v8
	v_readfirstlane_b32 s5, v9
	s_waitcnt lgkmcnt(14)
	s_nop 3
	global_store_short v7, v42, s[4:5]
	s_or_b64 exec, exec, s[0:1]
	v_cmp_lt_u32_e32 vcc, v39, v4
	s_and_saveexec_b64 s[0:1], vcc
	s_cbranch_execz .LBB2540_124
.LBB2540_191:
	v_lshlrev_b32_e32 v7, 1, v39
	v_readfirstlane_b32 s4, v8
	v_readfirstlane_b32 s5, v9
	s_waitcnt lgkmcnt(14)
	s_nop 3
	global_store_short v7, v40, s[4:5]
	s_or_b64 exec, exec, s[0:1]
	v_cmp_lt_u32_e32 vcc, v37, v4
	s_and_saveexec_b64 s[0:1], vcc
	s_cbranch_execz .LBB2540_125
.LBB2540_192:
	v_lshlrev_b32_e32 v7, 1, v37
	v_readfirstlane_b32 s4, v8
	v_readfirstlane_b32 s5, v9
	s_waitcnt lgkmcnt(14)
	s_nop 3
	global_store_short v7, v38, s[4:5]
	s_or_b64 exec, exec, s[0:1]
	v_cmp_lt_u32_e32 vcc, v34, v4
	s_and_saveexec_b64 s[0:1], vcc
	s_cbranch_execz .LBB2540_126
.LBB2540_193:
	v_lshlrev_b32_e32 v7, 1, v34
	v_readfirstlane_b32 s4, v8
	v_readfirstlane_b32 s5, v9
	s_waitcnt lgkmcnt(14)
	s_nop 3
	global_store_short v7, v35, s[4:5]
	s_or_b64 exec, exec, s[0:1]
	v_cmp_lt_u32_e32 vcc, v33, v4
	s_and_saveexec_b64 s[0:1], vcc
	s_cbranch_execz .LBB2540_127
.LBB2540_194:
	v_lshlrev_b32_e32 v7, 1, v33
	v_readfirstlane_b32 s4, v8
	v_readfirstlane_b32 s5, v9
	s_waitcnt lgkmcnt(13)
	s_nop 3
	global_store_short v7, v36, s[4:5]
	s_or_b64 exec, exec, s[0:1]
	v_cmp_lt_u32_e32 vcc, v31, v4
	s_and_saveexec_b64 s[0:1], vcc
	s_cbranch_execz .LBB2540_128
.LBB2540_195:
	v_lshlrev_b32_e32 v7, 1, v31
	v_readfirstlane_b32 s4, v8
	v_readfirstlane_b32 s5, v9
	s_waitcnt lgkmcnt(12)
	s_nop 3
	global_store_short v7, v32, s[4:5]
	s_or_b64 exec, exec, s[0:1]
	v_cmp_lt_u32_e32 vcc, v29, v4
	s_and_saveexec_b64 s[0:1], vcc
	s_cbranch_execz .LBB2540_129
.LBB2540_196:
	v_lshlrev_b32_e32 v7, 1, v29
	v_readfirstlane_b32 s4, v8
	v_readfirstlane_b32 s5, v9
	s_waitcnt lgkmcnt(11)
	s_nop 3
	global_store_short v7, v30, s[4:5]
	s_or_b64 exec, exec, s[0:1]
	v_cmp_lt_u32_e32 vcc, v27, v4
	s_and_saveexec_b64 s[0:1], vcc
	s_cbranch_execz .LBB2540_130
.LBB2540_197:
	v_lshlrev_b32_e32 v7, 1, v27
	v_readfirstlane_b32 s4, v8
	v_readfirstlane_b32 s5, v9
	s_waitcnt lgkmcnt(10)
	s_nop 3
	global_store_short v7, v28, s[4:5]
	s_or_b64 exec, exec, s[0:1]
	v_cmp_lt_u32_e32 vcc, v25, v4
	s_and_saveexec_b64 s[0:1], vcc
	s_cbranch_execz .LBB2540_131
.LBB2540_198:
	v_lshlrev_b32_e32 v7, 1, v25
	v_readfirstlane_b32 s4, v8
	v_readfirstlane_b32 s5, v9
	s_waitcnt lgkmcnt(9)
	s_nop 3
	global_store_short v7, v26, s[4:5]
	s_or_b64 exec, exec, s[0:1]
	v_cmp_lt_u32_e32 vcc, v23, v4
	s_and_saveexec_b64 s[0:1], vcc
	s_cbranch_execz .LBB2540_132
.LBB2540_199:
	v_lshlrev_b32_e32 v7, 1, v23
	v_readfirstlane_b32 s4, v8
	v_readfirstlane_b32 s5, v9
	s_waitcnt lgkmcnt(8)
	s_nop 3
	global_store_short v7, v24, s[4:5]
	s_or_b64 exec, exec, s[0:1]
	v_cmp_lt_u32_e32 vcc, v21, v4
	s_and_saveexec_b64 s[0:1], vcc
	s_cbranch_execz .LBB2540_133
.LBB2540_200:
	v_lshlrev_b32_e32 v7, 1, v21
	v_readfirstlane_b32 s4, v8
	v_readfirstlane_b32 s5, v9
	s_waitcnt lgkmcnt(7)
	s_nop 3
	global_store_short v7, v22, s[4:5]
	s_or_b64 exec, exec, s[0:1]
	v_cmp_lt_u32_e32 vcc, v19, v4
	s_and_saveexec_b64 s[0:1], vcc
	s_cbranch_execz .LBB2540_134
.LBB2540_201:
	v_lshlrev_b32_e32 v7, 1, v19
	v_readfirstlane_b32 s4, v8
	v_readfirstlane_b32 s5, v9
	s_waitcnt lgkmcnt(6)
	s_nop 3
	global_store_short v7, v20, s[4:5]
	s_or_b64 exec, exec, s[0:1]
	v_cmp_lt_u32_e32 vcc, v18, v4
	s_and_saveexec_b64 s[0:1], vcc
	s_cbranch_execz .LBB2540_135
.LBB2540_202:
	v_lshlrev_b32_e32 v7, 1, v18
	v_readfirstlane_b32 s4, v8
	v_readfirstlane_b32 s5, v9
	s_waitcnt lgkmcnt(5)
	s_nop 3
	global_store_short v7, v17, s[4:5]
	s_or_b64 exec, exec, s[0:1]
	v_cmp_lt_u32_e32 vcc, v16, v4
	s_and_saveexec_b64 s[0:1], vcc
	s_cbranch_execz .LBB2540_136
.LBB2540_203:
	v_lshlrev_b32_e32 v7, 1, v16
	v_readfirstlane_b32 s4, v8
	v_readfirstlane_b32 s5, v9
	s_waitcnt lgkmcnt(4)
	s_nop 3
	global_store_short v7, v15, s[4:5]
	s_or_b64 exec, exec, s[0:1]
	v_cmp_lt_u32_e32 vcc, v14, v4
	s_and_saveexec_b64 s[0:1], vcc
	s_cbranch_execz .LBB2540_137
.LBB2540_204:
	v_lshlrev_b32_e32 v7, 1, v14
	v_readfirstlane_b32 s4, v8
	v_readfirstlane_b32 s5, v9
	s_waitcnt lgkmcnt(3)
	s_nop 3
	global_store_short v7, v13, s[4:5]
	s_or_b64 exec, exec, s[0:1]
	v_cmp_lt_u32_e32 vcc, v12, v4
	s_and_saveexec_b64 s[0:1], vcc
	s_cbranch_execz .LBB2540_138
.LBB2540_205:
	v_lshlrev_b32_e32 v7, 1, v12
	v_readfirstlane_b32 s4, v8
	v_readfirstlane_b32 s5, v9
	s_waitcnt lgkmcnt(2)
	s_nop 3
	global_store_short v7, v11, s[4:5]
	s_or_b64 exec, exec, s[0:1]
	v_cmp_lt_u32_e32 vcc, v10, v4
	s_and_saveexec_b64 s[0:1], vcc
	s_cbranch_execnz .LBB2540_139
	s_branch .LBB2540_140
.LBB2540_206:
	v_readfirstlane_b32 s2, v8
	v_readfirstlane_b32 s3, v9
	s_waitcnt lgkmcnt(14)
	s_nop 3
	global_store_short v2, v65, s[2:3]
	s_or_b64 exec, exec, s[0:1]
	v_cmp_lt_u32_e32 vcc, v63, v66
	s_and_saveexec_b64 s[0:1], vcc
	s_cbranch_execz .LBB2540_144
.LBB2540_207:
	v_readfirstlane_b32 s2, v8
	v_readfirstlane_b32 s3, v9
	s_waitcnt lgkmcnt(14)
	s_nop 3
	global_store_short v2, v64, s[2:3] offset:1024
	s_or_b64 exec, exec, s[0:1]
	v_cmp_lt_u32_e32 vcc, v61, v66
	s_and_saveexec_b64 s[0:1], vcc
	s_cbranch_execz .LBB2540_145
.LBB2540_208:
	v_readfirstlane_b32 s2, v8
	v_readfirstlane_b32 s3, v9
	s_waitcnt lgkmcnt(14)
	s_nop 3
	global_store_short v2, v62, s[2:3] offset:2048
	s_or_b64 exec, exec, s[0:1]
	v_cmp_lt_u32_e32 vcc, v59, v66
	s_and_saveexec_b64 s[0:1], vcc
	s_cbranch_execz .LBB2540_146
.LBB2540_209:
	v_readfirstlane_b32 s2, v8
	v_readfirstlane_b32 s3, v9
	s_waitcnt lgkmcnt(14)
	s_nop 3
	global_store_short v2, v60, s[2:3] offset:3072
	s_or_b64 exec, exec, s[0:1]
	v_cmp_lt_u32_e32 vcc, v57, v66
	s_and_saveexec_b64 s[0:1], vcc
	s_cbranch_execz .LBB2540_147
.LBB2540_210:
	v_lshlrev_b32_e32 v2, 1, v57
	v_readfirstlane_b32 s2, v8
	v_readfirstlane_b32 s3, v9
	s_waitcnt lgkmcnt(14)
	s_nop 3
	global_store_short v2, v58, s[2:3]
	s_or_b64 exec, exec, s[0:1]
	v_cmp_lt_u32_e32 vcc, v55, v66
	s_and_saveexec_b64 s[0:1], vcc
	s_cbranch_execz .LBB2540_148
.LBB2540_211:
	v_lshlrev_b32_e32 v2, 1, v55
	v_readfirstlane_b32 s2, v8
	v_readfirstlane_b32 s3, v9
	s_waitcnt lgkmcnt(14)
	s_nop 3
	global_store_short v2, v56, s[2:3]
	s_or_b64 exec, exec, s[0:1]
	v_cmp_lt_u32_e32 vcc, v53, v66
	s_and_saveexec_b64 s[0:1], vcc
	s_cbranch_execz .LBB2540_149
.LBB2540_212:
	v_lshlrev_b32_e32 v2, 1, v53
	v_readfirstlane_b32 s2, v8
	v_readfirstlane_b32 s3, v9
	s_waitcnt lgkmcnt(14)
	s_nop 3
	global_store_short v2, v54, s[2:3]
	s_or_b64 exec, exec, s[0:1]
	v_cmp_lt_u32_e32 vcc, v50, v66
	s_and_saveexec_b64 s[0:1], vcc
	s_cbranch_execz .LBB2540_150
.LBB2540_213:
	v_lshlrev_b32_e32 v2, 1, v50
	v_readfirstlane_b32 s2, v8
	v_readfirstlane_b32 s3, v9
	s_waitcnt lgkmcnt(14)
	s_nop 3
	global_store_short v2, v51, s[2:3]
	s_or_b64 exec, exec, s[0:1]
	v_cmp_lt_u32_e32 vcc, v49, v66
	s_and_saveexec_b64 s[0:1], vcc
	s_cbranch_execz .LBB2540_151
.LBB2540_214:
	v_lshlrev_b32_e32 v2, 1, v49
	v_readfirstlane_b32 s2, v8
	v_readfirstlane_b32 s3, v9
	s_waitcnt lgkmcnt(14)
	s_nop 3
	global_store_short v2, v52, s[2:3]
	s_or_b64 exec, exec, s[0:1]
	v_cmp_lt_u32_e32 vcc, v47, v66
	s_and_saveexec_b64 s[0:1], vcc
	s_cbranch_execz .LBB2540_152
.LBB2540_215:
	v_lshlrev_b32_e32 v2, 1, v47
	v_readfirstlane_b32 s2, v8
	v_readfirstlane_b32 s3, v9
	s_waitcnt lgkmcnt(14)
	s_nop 3
	global_store_short v2, v48, s[2:3]
	s_or_b64 exec, exec, s[0:1]
	v_cmp_lt_u32_e32 vcc, v45, v66
	s_and_saveexec_b64 s[0:1], vcc
	s_cbranch_execz .LBB2540_153
.LBB2540_216:
	v_lshlrev_b32_e32 v2, 1, v45
	v_readfirstlane_b32 s2, v8
	v_readfirstlane_b32 s3, v9
	s_waitcnt lgkmcnt(14)
	s_nop 3
	global_store_short v2, v46, s[2:3]
	s_or_b64 exec, exec, s[0:1]
	v_cmp_lt_u32_e32 vcc, v43, v66
	s_and_saveexec_b64 s[0:1], vcc
	s_cbranch_execz .LBB2540_154
.LBB2540_217:
	v_lshlrev_b32_e32 v2, 1, v43
	v_readfirstlane_b32 s2, v8
	v_readfirstlane_b32 s3, v9
	s_waitcnt lgkmcnt(14)
	s_nop 3
	global_store_short v2, v44, s[2:3]
	s_or_b64 exec, exec, s[0:1]
	v_cmp_lt_u32_e32 vcc, v41, v66
	s_and_saveexec_b64 s[0:1], vcc
	s_cbranch_execz .LBB2540_155
.LBB2540_218:
	v_lshlrev_b32_e32 v2, 1, v41
	v_readfirstlane_b32 s2, v8
	v_readfirstlane_b32 s3, v9
	s_waitcnt lgkmcnt(14)
	s_nop 3
	global_store_short v2, v42, s[2:3]
	s_or_b64 exec, exec, s[0:1]
	v_cmp_lt_u32_e32 vcc, v39, v66
	s_and_saveexec_b64 s[0:1], vcc
	s_cbranch_execz .LBB2540_156
.LBB2540_219:
	v_lshlrev_b32_e32 v2, 1, v39
	v_readfirstlane_b32 s2, v8
	v_readfirstlane_b32 s3, v9
	s_waitcnt lgkmcnt(14)
	s_nop 3
	global_store_short v2, v40, s[2:3]
	s_or_b64 exec, exec, s[0:1]
	v_cmp_lt_u32_e32 vcc, v37, v66
	s_and_saveexec_b64 s[0:1], vcc
	s_cbranch_execz .LBB2540_157
.LBB2540_220:
	v_lshlrev_b32_e32 v2, 1, v37
	v_readfirstlane_b32 s2, v8
	v_readfirstlane_b32 s3, v9
	s_waitcnt lgkmcnt(14)
	s_nop 3
	global_store_short v2, v38, s[2:3]
	s_or_b64 exec, exec, s[0:1]
	v_cmp_lt_u32_e32 vcc, v34, v66
	s_and_saveexec_b64 s[0:1], vcc
	s_cbranch_execz .LBB2540_158
.LBB2540_221:
	v_lshlrev_b32_e32 v2, 1, v34
	v_readfirstlane_b32 s2, v8
	v_readfirstlane_b32 s3, v9
	s_waitcnt lgkmcnt(14)
	s_nop 3
	global_store_short v2, v35, s[2:3]
	s_or_b64 exec, exec, s[0:1]
	v_cmp_lt_u32_e32 vcc, v33, v66
	s_and_saveexec_b64 s[0:1], vcc
	s_cbranch_execz .LBB2540_159
.LBB2540_222:
	v_lshlrev_b32_e32 v2, 1, v33
	v_readfirstlane_b32 s2, v8
	v_readfirstlane_b32 s3, v9
	s_waitcnt lgkmcnt(13)
	s_nop 3
	global_store_short v2, v36, s[2:3]
	s_or_b64 exec, exec, s[0:1]
	v_cmp_lt_u32_e32 vcc, v31, v66
	s_and_saveexec_b64 s[0:1], vcc
	s_cbranch_execz .LBB2540_160
.LBB2540_223:
	v_lshlrev_b32_e32 v2, 1, v31
	v_readfirstlane_b32 s2, v8
	v_readfirstlane_b32 s3, v9
	s_waitcnt lgkmcnt(12)
	s_nop 3
	global_store_short v2, v32, s[2:3]
	s_or_b64 exec, exec, s[0:1]
	v_cmp_lt_u32_e32 vcc, v29, v66
	s_and_saveexec_b64 s[0:1], vcc
	s_cbranch_execz .LBB2540_161
.LBB2540_224:
	v_lshlrev_b32_e32 v2, 1, v29
	v_readfirstlane_b32 s2, v8
	v_readfirstlane_b32 s3, v9
	s_waitcnt lgkmcnt(11)
	s_nop 3
	global_store_short v2, v30, s[2:3]
	s_or_b64 exec, exec, s[0:1]
	v_cmp_lt_u32_e32 vcc, v27, v66
	s_and_saveexec_b64 s[0:1], vcc
	s_cbranch_execz .LBB2540_162
.LBB2540_225:
	v_lshlrev_b32_e32 v2, 1, v27
	v_readfirstlane_b32 s2, v8
	v_readfirstlane_b32 s3, v9
	s_waitcnt lgkmcnt(10)
	s_nop 3
	global_store_short v2, v28, s[2:3]
	s_or_b64 exec, exec, s[0:1]
	v_cmp_lt_u32_e32 vcc, v25, v66
	s_and_saveexec_b64 s[0:1], vcc
	s_cbranch_execz .LBB2540_163
.LBB2540_226:
	v_lshlrev_b32_e32 v2, 1, v25
	v_readfirstlane_b32 s2, v8
	v_readfirstlane_b32 s3, v9
	s_waitcnt lgkmcnt(9)
	s_nop 3
	global_store_short v2, v26, s[2:3]
	s_or_b64 exec, exec, s[0:1]
	v_cmp_lt_u32_e32 vcc, v23, v66
	s_and_saveexec_b64 s[0:1], vcc
	s_cbranch_execz .LBB2540_164
.LBB2540_227:
	v_lshlrev_b32_e32 v2, 1, v23
	v_readfirstlane_b32 s2, v8
	v_readfirstlane_b32 s3, v9
	s_waitcnt lgkmcnt(8)
	s_nop 3
	global_store_short v2, v24, s[2:3]
	s_or_b64 exec, exec, s[0:1]
	v_cmp_lt_u32_e32 vcc, v21, v66
	s_and_saveexec_b64 s[0:1], vcc
	s_cbranch_execz .LBB2540_165
.LBB2540_228:
	v_lshlrev_b32_e32 v2, 1, v21
	v_readfirstlane_b32 s2, v8
	v_readfirstlane_b32 s3, v9
	s_waitcnt lgkmcnt(7)
	s_nop 3
	global_store_short v2, v22, s[2:3]
	s_or_b64 exec, exec, s[0:1]
	v_cmp_lt_u32_e32 vcc, v19, v66
	s_and_saveexec_b64 s[0:1], vcc
	s_cbranch_execz .LBB2540_166
.LBB2540_229:
	v_lshlrev_b32_e32 v2, 1, v19
	v_readfirstlane_b32 s2, v8
	v_readfirstlane_b32 s3, v9
	s_waitcnt lgkmcnt(6)
	s_nop 3
	global_store_short v2, v20, s[2:3]
	s_or_b64 exec, exec, s[0:1]
	v_cmp_lt_u32_e32 vcc, v18, v66
	s_and_saveexec_b64 s[0:1], vcc
	s_cbranch_execz .LBB2540_167
.LBB2540_230:
	v_lshlrev_b32_e32 v2, 1, v18
	v_readfirstlane_b32 s2, v8
	v_readfirstlane_b32 s3, v9
	s_waitcnt lgkmcnt(5)
	s_nop 3
	global_store_short v2, v17, s[2:3]
	s_or_b64 exec, exec, s[0:1]
	v_cmp_lt_u32_e32 vcc, v16, v66
	s_and_saveexec_b64 s[0:1], vcc
	s_cbranch_execz .LBB2540_168
.LBB2540_231:
	v_lshlrev_b32_e32 v2, 1, v16
	v_readfirstlane_b32 s2, v8
	v_readfirstlane_b32 s3, v9
	s_waitcnt lgkmcnt(4)
	s_nop 3
	global_store_short v2, v15, s[2:3]
	s_or_b64 exec, exec, s[0:1]
	v_cmp_lt_u32_e32 vcc, v14, v66
	s_and_saveexec_b64 s[0:1], vcc
	s_cbranch_execz .LBB2540_169
.LBB2540_232:
	v_lshlrev_b32_e32 v2, 1, v14
	v_readfirstlane_b32 s2, v8
	v_readfirstlane_b32 s3, v9
	s_waitcnt lgkmcnt(3)
	s_nop 3
	global_store_short v2, v13, s[2:3]
	s_or_b64 exec, exec, s[0:1]
	v_cmp_lt_u32_e32 vcc, v12, v66
	s_and_saveexec_b64 s[0:1], vcc
	s_cbranch_execz .LBB2540_170
.LBB2540_233:
	v_lshlrev_b32_e32 v2, 1, v12
	v_readfirstlane_b32 s2, v8
	v_readfirstlane_b32 s3, v9
	s_waitcnt lgkmcnt(2)
	s_nop 3
	global_store_short v2, v11, s[2:3]
	s_or_b64 exec, exec, s[0:1]
	v_cmp_lt_u32_e32 vcc, v10, v66
	s_and_saveexec_b64 s[0:1], vcc
	s_cbranch_execnz .LBB2540_171
	s_branch .LBB2540_172
	.section	.rodata,"a",@progbits
	.p2align	6, 0x0
	.amdhsa_kernel _ZN7rocprim17ROCPRIM_400000_NS6detail17trampoline_kernelINS0_14default_configENS1_25partition_config_selectorILNS1_17partition_subalgoE0EtNS0_10empty_typeEbEEZZNS1_14partition_implILS5_0ELb0ES3_jN6thrust23THRUST_200600_302600_NS6detail15normal_iteratorINSA_10device_ptrItEEEEPS6_SG_NS0_5tupleIJSF_NSA_16discard_iteratorINSA_11use_defaultEEEEEENSH_IJSG_SG_EEES6_PlJ7is_evenItEEEE10hipError_tPvRmT3_T4_T5_T6_T7_T9_mT8_P12ihipStream_tbDpT10_ENKUlT_T0_E_clISt17integral_constantIbLb1EES18_IbLb0EEEEDaS14_S15_EUlS14_E_NS1_11comp_targetILNS1_3genE5ELNS1_11target_archE942ELNS1_3gpuE9ELNS1_3repE0EEENS1_30default_config_static_selectorELNS0_4arch9wavefront6targetE1EEEvT1_
		.amdhsa_group_segment_fixed_size 30728
		.amdhsa_private_segment_fixed_size 0
		.amdhsa_kernarg_size 128
		.amdhsa_user_sgpr_count 2
		.amdhsa_user_sgpr_dispatch_ptr 0
		.amdhsa_user_sgpr_queue_ptr 0
		.amdhsa_user_sgpr_kernarg_segment_ptr 1
		.amdhsa_user_sgpr_dispatch_id 0
		.amdhsa_user_sgpr_kernarg_preload_length 0
		.amdhsa_user_sgpr_kernarg_preload_offset 0
		.amdhsa_user_sgpr_private_segment_size 0
		.amdhsa_uses_dynamic_stack 0
		.amdhsa_enable_private_segment 0
		.amdhsa_system_sgpr_workgroup_id_x 1
		.amdhsa_system_sgpr_workgroup_id_y 0
		.amdhsa_system_sgpr_workgroup_id_z 0
		.amdhsa_system_sgpr_workgroup_info 0
		.amdhsa_system_vgpr_workitem_id 0
		.amdhsa_next_free_vgpr 120
		.amdhsa_next_free_sgpr 40
		.amdhsa_accum_offset 120
		.amdhsa_reserve_vcc 1
		.amdhsa_float_round_mode_32 0
		.amdhsa_float_round_mode_16_64 0
		.amdhsa_float_denorm_mode_32 3
		.amdhsa_float_denorm_mode_16_64 3
		.amdhsa_dx10_clamp 1
		.amdhsa_ieee_mode 1
		.amdhsa_fp16_overflow 0
		.amdhsa_tg_split 0
		.amdhsa_exception_fp_ieee_invalid_op 0
		.amdhsa_exception_fp_denorm_src 0
		.amdhsa_exception_fp_ieee_div_zero 0
		.amdhsa_exception_fp_ieee_overflow 0
		.amdhsa_exception_fp_ieee_underflow 0
		.amdhsa_exception_fp_ieee_inexact 0
		.amdhsa_exception_int_div_zero 0
	.end_amdhsa_kernel
	.section	.text._ZN7rocprim17ROCPRIM_400000_NS6detail17trampoline_kernelINS0_14default_configENS1_25partition_config_selectorILNS1_17partition_subalgoE0EtNS0_10empty_typeEbEEZZNS1_14partition_implILS5_0ELb0ES3_jN6thrust23THRUST_200600_302600_NS6detail15normal_iteratorINSA_10device_ptrItEEEEPS6_SG_NS0_5tupleIJSF_NSA_16discard_iteratorINSA_11use_defaultEEEEEENSH_IJSG_SG_EEES6_PlJ7is_evenItEEEE10hipError_tPvRmT3_T4_T5_T6_T7_T9_mT8_P12ihipStream_tbDpT10_ENKUlT_T0_E_clISt17integral_constantIbLb1EES18_IbLb0EEEEDaS14_S15_EUlS14_E_NS1_11comp_targetILNS1_3genE5ELNS1_11target_archE942ELNS1_3gpuE9ELNS1_3repE0EEENS1_30default_config_static_selectorELNS0_4arch9wavefront6targetE1EEEvT1_,"axG",@progbits,_ZN7rocprim17ROCPRIM_400000_NS6detail17trampoline_kernelINS0_14default_configENS1_25partition_config_selectorILNS1_17partition_subalgoE0EtNS0_10empty_typeEbEEZZNS1_14partition_implILS5_0ELb0ES3_jN6thrust23THRUST_200600_302600_NS6detail15normal_iteratorINSA_10device_ptrItEEEEPS6_SG_NS0_5tupleIJSF_NSA_16discard_iteratorINSA_11use_defaultEEEEEENSH_IJSG_SG_EEES6_PlJ7is_evenItEEEE10hipError_tPvRmT3_T4_T5_T6_T7_T9_mT8_P12ihipStream_tbDpT10_ENKUlT_T0_E_clISt17integral_constantIbLb1EES18_IbLb0EEEEDaS14_S15_EUlS14_E_NS1_11comp_targetILNS1_3genE5ELNS1_11target_archE942ELNS1_3gpuE9ELNS1_3repE0EEENS1_30default_config_static_selectorELNS0_4arch9wavefront6targetE1EEEvT1_,comdat
.Lfunc_end2540:
	.size	_ZN7rocprim17ROCPRIM_400000_NS6detail17trampoline_kernelINS0_14default_configENS1_25partition_config_selectorILNS1_17partition_subalgoE0EtNS0_10empty_typeEbEEZZNS1_14partition_implILS5_0ELb0ES3_jN6thrust23THRUST_200600_302600_NS6detail15normal_iteratorINSA_10device_ptrItEEEEPS6_SG_NS0_5tupleIJSF_NSA_16discard_iteratorINSA_11use_defaultEEEEEENSH_IJSG_SG_EEES6_PlJ7is_evenItEEEE10hipError_tPvRmT3_T4_T5_T6_T7_T9_mT8_P12ihipStream_tbDpT10_ENKUlT_T0_E_clISt17integral_constantIbLb1EES18_IbLb0EEEEDaS14_S15_EUlS14_E_NS1_11comp_targetILNS1_3genE5ELNS1_11target_archE942ELNS1_3gpuE9ELNS1_3repE0EEENS1_30default_config_static_selectorELNS0_4arch9wavefront6targetE1EEEvT1_, .Lfunc_end2540-_ZN7rocprim17ROCPRIM_400000_NS6detail17trampoline_kernelINS0_14default_configENS1_25partition_config_selectorILNS1_17partition_subalgoE0EtNS0_10empty_typeEbEEZZNS1_14partition_implILS5_0ELb0ES3_jN6thrust23THRUST_200600_302600_NS6detail15normal_iteratorINSA_10device_ptrItEEEEPS6_SG_NS0_5tupleIJSF_NSA_16discard_iteratorINSA_11use_defaultEEEEEENSH_IJSG_SG_EEES6_PlJ7is_evenItEEEE10hipError_tPvRmT3_T4_T5_T6_T7_T9_mT8_P12ihipStream_tbDpT10_ENKUlT_T0_E_clISt17integral_constantIbLb1EES18_IbLb0EEEEDaS14_S15_EUlS14_E_NS1_11comp_targetILNS1_3genE5ELNS1_11target_archE942ELNS1_3gpuE9ELNS1_3repE0EEENS1_30default_config_static_selectorELNS0_4arch9wavefront6targetE1EEEvT1_
                                        ; -- End function
	.section	.AMDGPU.csdata,"",@progbits
; Kernel info:
; codeLenInByte = 11276
; NumSgprs: 46
; NumVgprs: 120
; NumAgprs: 0
; TotalNumVgprs: 120
; ScratchSize: 0
; MemoryBound: 0
; FloatMode: 240
; IeeeMode: 1
; LDSByteSize: 30728 bytes/workgroup (compile time only)
; SGPRBlocks: 5
; VGPRBlocks: 14
; NumSGPRsForWavesPerEU: 46
; NumVGPRsForWavesPerEU: 120
; AccumOffset: 120
; Occupancy: 4
; WaveLimiterHint : 1
; COMPUTE_PGM_RSRC2:SCRATCH_EN: 0
; COMPUTE_PGM_RSRC2:USER_SGPR: 2
; COMPUTE_PGM_RSRC2:TRAP_HANDLER: 0
; COMPUTE_PGM_RSRC2:TGID_X_EN: 1
; COMPUTE_PGM_RSRC2:TGID_Y_EN: 0
; COMPUTE_PGM_RSRC2:TGID_Z_EN: 0
; COMPUTE_PGM_RSRC2:TIDIG_COMP_CNT: 0
; COMPUTE_PGM_RSRC3_GFX90A:ACCUM_OFFSET: 29
; COMPUTE_PGM_RSRC3_GFX90A:TG_SPLIT: 0
	.section	.text._ZN7rocprim17ROCPRIM_400000_NS6detail17trampoline_kernelINS0_14default_configENS1_25partition_config_selectorILNS1_17partition_subalgoE0EtNS0_10empty_typeEbEEZZNS1_14partition_implILS5_0ELb0ES3_jN6thrust23THRUST_200600_302600_NS6detail15normal_iteratorINSA_10device_ptrItEEEEPS6_SG_NS0_5tupleIJSF_NSA_16discard_iteratorINSA_11use_defaultEEEEEENSH_IJSG_SG_EEES6_PlJ7is_evenItEEEE10hipError_tPvRmT3_T4_T5_T6_T7_T9_mT8_P12ihipStream_tbDpT10_ENKUlT_T0_E_clISt17integral_constantIbLb1EES18_IbLb0EEEEDaS14_S15_EUlS14_E_NS1_11comp_targetILNS1_3genE4ELNS1_11target_archE910ELNS1_3gpuE8ELNS1_3repE0EEENS1_30default_config_static_selectorELNS0_4arch9wavefront6targetE1EEEvT1_,"axG",@progbits,_ZN7rocprim17ROCPRIM_400000_NS6detail17trampoline_kernelINS0_14default_configENS1_25partition_config_selectorILNS1_17partition_subalgoE0EtNS0_10empty_typeEbEEZZNS1_14partition_implILS5_0ELb0ES3_jN6thrust23THRUST_200600_302600_NS6detail15normal_iteratorINSA_10device_ptrItEEEEPS6_SG_NS0_5tupleIJSF_NSA_16discard_iteratorINSA_11use_defaultEEEEEENSH_IJSG_SG_EEES6_PlJ7is_evenItEEEE10hipError_tPvRmT3_T4_T5_T6_T7_T9_mT8_P12ihipStream_tbDpT10_ENKUlT_T0_E_clISt17integral_constantIbLb1EES18_IbLb0EEEEDaS14_S15_EUlS14_E_NS1_11comp_targetILNS1_3genE4ELNS1_11target_archE910ELNS1_3gpuE8ELNS1_3repE0EEENS1_30default_config_static_selectorELNS0_4arch9wavefront6targetE1EEEvT1_,comdat
	.protected	_ZN7rocprim17ROCPRIM_400000_NS6detail17trampoline_kernelINS0_14default_configENS1_25partition_config_selectorILNS1_17partition_subalgoE0EtNS0_10empty_typeEbEEZZNS1_14partition_implILS5_0ELb0ES3_jN6thrust23THRUST_200600_302600_NS6detail15normal_iteratorINSA_10device_ptrItEEEEPS6_SG_NS0_5tupleIJSF_NSA_16discard_iteratorINSA_11use_defaultEEEEEENSH_IJSG_SG_EEES6_PlJ7is_evenItEEEE10hipError_tPvRmT3_T4_T5_T6_T7_T9_mT8_P12ihipStream_tbDpT10_ENKUlT_T0_E_clISt17integral_constantIbLb1EES18_IbLb0EEEEDaS14_S15_EUlS14_E_NS1_11comp_targetILNS1_3genE4ELNS1_11target_archE910ELNS1_3gpuE8ELNS1_3repE0EEENS1_30default_config_static_selectorELNS0_4arch9wavefront6targetE1EEEvT1_ ; -- Begin function _ZN7rocprim17ROCPRIM_400000_NS6detail17trampoline_kernelINS0_14default_configENS1_25partition_config_selectorILNS1_17partition_subalgoE0EtNS0_10empty_typeEbEEZZNS1_14partition_implILS5_0ELb0ES3_jN6thrust23THRUST_200600_302600_NS6detail15normal_iteratorINSA_10device_ptrItEEEEPS6_SG_NS0_5tupleIJSF_NSA_16discard_iteratorINSA_11use_defaultEEEEEENSH_IJSG_SG_EEES6_PlJ7is_evenItEEEE10hipError_tPvRmT3_T4_T5_T6_T7_T9_mT8_P12ihipStream_tbDpT10_ENKUlT_T0_E_clISt17integral_constantIbLb1EES18_IbLb0EEEEDaS14_S15_EUlS14_E_NS1_11comp_targetILNS1_3genE4ELNS1_11target_archE910ELNS1_3gpuE8ELNS1_3repE0EEENS1_30default_config_static_selectorELNS0_4arch9wavefront6targetE1EEEvT1_
	.globl	_ZN7rocprim17ROCPRIM_400000_NS6detail17trampoline_kernelINS0_14default_configENS1_25partition_config_selectorILNS1_17partition_subalgoE0EtNS0_10empty_typeEbEEZZNS1_14partition_implILS5_0ELb0ES3_jN6thrust23THRUST_200600_302600_NS6detail15normal_iteratorINSA_10device_ptrItEEEEPS6_SG_NS0_5tupleIJSF_NSA_16discard_iteratorINSA_11use_defaultEEEEEENSH_IJSG_SG_EEES6_PlJ7is_evenItEEEE10hipError_tPvRmT3_T4_T5_T6_T7_T9_mT8_P12ihipStream_tbDpT10_ENKUlT_T0_E_clISt17integral_constantIbLb1EES18_IbLb0EEEEDaS14_S15_EUlS14_E_NS1_11comp_targetILNS1_3genE4ELNS1_11target_archE910ELNS1_3gpuE8ELNS1_3repE0EEENS1_30default_config_static_selectorELNS0_4arch9wavefront6targetE1EEEvT1_
	.p2align	8
	.type	_ZN7rocprim17ROCPRIM_400000_NS6detail17trampoline_kernelINS0_14default_configENS1_25partition_config_selectorILNS1_17partition_subalgoE0EtNS0_10empty_typeEbEEZZNS1_14partition_implILS5_0ELb0ES3_jN6thrust23THRUST_200600_302600_NS6detail15normal_iteratorINSA_10device_ptrItEEEEPS6_SG_NS0_5tupleIJSF_NSA_16discard_iteratorINSA_11use_defaultEEEEEENSH_IJSG_SG_EEES6_PlJ7is_evenItEEEE10hipError_tPvRmT3_T4_T5_T6_T7_T9_mT8_P12ihipStream_tbDpT10_ENKUlT_T0_E_clISt17integral_constantIbLb1EES18_IbLb0EEEEDaS14_S15_EUlS14_E_NS1_11comp_targetILNS1_3genE4ELNS1_11target_archE910ELNS1_3gpuE8ELNS1_3repE0EEENS1_30default_config_static_selectorELNS0_4arch9wavefront6targetE1EEEvT1_,@function
_ZN7rocprim17ROCPRIM_400000_NS6detail17trampoline_kernelINS0_14default_configENS1_25partition_config_selectorILNS1_17partition_subalgoE0EtNS0_10empty_typeEbEEZZNS1_14partition_implILS5_0ELb0ES3_jN6thrust23THRUST_200600_302600_NS6detail15normal_iteratorINSA_10device_ptrItEEEEPS6_SG_NS0_5tupleIJSF_NSA_16discard_iteratorINSA_11use_defaultEEEEEENSH_IJSG_SG_EEES6_PlJ7is_evenItEEEE10hipError_tPvRmT3_T4_T5_T6_T7_T9_mT8_P12ihipStream_tbDpT10_ENKUlT_T0_E_clISt17integral_constantIbLb1EES18_IbLb0EEEEDaS14_S15_EUlS14_E_NS1_11comp_targetILNS1_3genE4ELNS1_11target_archE910ELNS1_3gpuE8ELNS1_3repE0EEENS1_30default_config_static_selectorELNS0_4arch9wavefront6targetE1EEEvT1_: ; @_ZN7rocprim17ROCPRIM_400000_NS6detail17trampoline_kernelINS0_14default_configENS1_25partition_config_selectorILNS1_17partition_subalgoE0EtNS0_10empty_typeEbEEZZNS1_14partition_implILS5_0ELb0ES3_jN6thrust23THRUST_200600_302600_NS6detail15normal_iteratorINSA_10device_ptrItEEEEPS6_SG_NS0_5tupleIJSF_NSA_16discard_iteratorINSA_11use_defaultEEEEEENSH_IJSG_SG_EEES6_PlJ7is_evenItEEEE10hipError_tPvRmT3_T4_T5_T6_T7_T9_mT8_P12ihipStream_tbDpT10_ENKUlT_T0_E_clISt17integral_constantIbLb1EES18_IbLb0EEEEDaS14_S15_EUlS14_E_NS1_11comp_targetILNS1_3genE4ELNS1_11target_archE910ELNS1_3gpuE8ELNS1_3repE0EEENS1_30default_config_static_selectorELNS0_4arch9wavefront6targetE1EEEvT1_
; %bb.0:
	.section	.rodata,"a",@progbits
	.p2align	6, 0x0
	.amdhsa_kernel _ZN7rocprim17ROCPRIM_400000_NS6detail17trampoline_kernelINS0_14default_configENS1_25partition_config_selectorILNS1_17partition_subalgoE0EtNS0_10empty_typeEbEEZZNS1_14partition_implILS5_0ELb0ES3_jN6thrust23THRUST_200600_302600_NS6detail15normal_iteratorINSA_10device_ptrItEEEEPS6_SG_NS0_5tupleIJSF_NSA_16discard_iteratorINSA_11use_defaultEEEEEENSH_IJSG_SG_EEES6_PlJ7is_evenItEEEE10hipError_tPvRmT3_T4_T5_T6_T7_T9_mT8_P12ihipStream_tbDpT10_ENKUlT_T0_E_clISt17integral_constantIbLb1EES18_IbLb0EEEEDaS14_S15_EUlS14_E_NS1_11comp_targetILNS1_3genE4ELNS1_11target_archE910ELNS1_3gpuE8ELNS1_3repE0EEENS1_30default_config_static_selectorELNS0_4arch9wavefront6targetE1EEEvT1_
		.amdhsa_group_segment_fixed_size 0
		.amdhsa_private_segment_fixed_size 0
		.amdhsa_kernarg_size 128
		.amdhsa_user_sgpr_count 2
		.amdhsa_user_sgpr_dispatch_ptr 0
		.amdhsa_user_sgpr_queue_ptr 0
		.amdhsa_user_sgpr_kernarg_segment_ptr 1
		.amdhsa_user_sgpr_dispatch_id 0
		.amdhsa_user_sgpr_kernarg_preload_length 0
		.amdhsa_user_sgpr_kernarg_preload_offset 0
		.amdhsa_user_sgpr_private_segment_size 0
		.amdhsa_uses_dynamic_stack 0
		.amdhsa_enable_private_segment 0
		.amdhsa_system_sgpr_workgroup_id_x 1
		.amdhsa_system_sgpr_workgroup_id_y 0
		.amdhsa_system_sgpr_workgroup_id_z 0
		.amdhsa_system_sgpr_workgroup_info 0
		.amdhsa_system_vgpr_workitem_id 0
		.amdhsa_next_free_vgpr 1
		.amdhsa_next_free_sgpr 0
		.amdhsa_accum_offset 4
		.amdhsa_reserve_vcc 0
		.amdhsa_float_round_mode_32 0
		.amdhsa_float_round_mode_16_64 0
		.amdhsa_float_denorm_mode_32 3
		.amdhsa_float_denorm_mode_16_64 3
		.amdhsa_dx10_clamp 1
		.amdhsa_ieee_mode 1
		.amdhsa_fp16_overflow 0
		.amdhsa_tg_split 0
		.amdhsa_exception_fp_ieee_invalid_op 0
		.amdhsa_exception_fp_denorm_src 0
		.amdhsa_exception_fp_ieee_div_zero 0
		.amdhsa_exception_fp_ieee_overflow 0
		.amdhsa_exception_fp_ieee_underflow 0
		.amdhsa_exception_fp_ieee_inexact 0
		.amdhsa_exception_int_div_zero 0
	.end_amdhsa_kernel
	.section	.text._ZN7rocprim17ROCPRIM_400000_NS6detail17trampoline_kernelINS0_14default_configENS1_25partition_config_selectorILNS1_17partition_subalgoE0EtNS0_10empty_typeEbEEZZNS1_14partition_implILS5_0ELb0ES3_jN6thrust23THRUST_200600_302600_NS6detail15normal_iteratorINSA_10device_ptrItEEEEPS6_SG_NS0_5tupleIJSF_NSA_16discard_iteratorINSA_11use_defaultEEEEEENSH_IJSG_SG_EEES6_PlJ7is_evenItEEEE10hipError_tPvRmT3_T4_T5_T6_T7_T9_mT8_P12ihipStream_tbDpT10_ENKUlT_T0_E_clISt17integral_constantIbLb1EES18_IbLb0EEEEDaS14_S15_EUlS14_E_NS1_11comp_targetILNS1_3genE4ELNS1_11target_archE910ELNS1_3gpuE8ELNS1_3repE0EEENS1_30default_config_static_selectorELNS0_4arch9wavefront6targetE1EEEvT1_,"axG",@progbits,_ZN7rocprim17ROCPRIM_400000_NS6detail17trampoline_kernelINS0_14default_configENS1_25partition_config_selectorILNS1_17partition_subalgoE0EtNS0_10empty_typeEbEEZZNS1_14partition_implILS5_0ELb0ES3_jN6thrust23THRUST_200600_302600_NS6detail15normal_iteratorINSA_10device_ptrItEEEEPS6_SG_NS0_5tupleIJSF_NSA_16discard_iteratorINSA_11use_defaultEEEEEENSH_IJSG_SG_EEES6_PlJ7is_evenItEEEE10hipError_tPvRmT3_T4_T5_T6_T7_T9_mT8_P12ihipStream_tbDpT10_ENKUlT_T0_E_clISt17integral_constantIbLb1EES18_IbLb0EEEEDaS14_S15_EUlS14_E_NS1_11comp_targetILNS1_3genE4ELNS1_11target_archE910ELNS1_3gpuE8ELNS1_3repE0EEENS1_30default_config_static_selectorELNS0_4arch9wavefront6targetE1EEEvT1_,comdat
.Lfunc_end2541:
	.size	_ZN7rocprim17ROCPRIM_400000_NS6detail17trampoline_kernelINS0_14default_configENS1_25partition_config_selectorILNS1_17partition_subalgoE0EtNS0_10empty_typeEbEEZZNS1_14partition_implILS5_0ELb0ES3_jN6thrust23THRUST_200600_302600_NS6detail15normal_iteratorINSA_10device_ptrItEEEEPS6_SG_NS0_5tupleIJSF_NSA_16discard_iteratorINSA_11use_defaultEEEEEENSH_IJSG_SG_EEES6_PlJ7is_evenItEEEE10hipError_tPvRmT3_T4_T5_T6_T7_T9_mT8_P12ihipStream_tbDpT10_ENKUlT_T0_E_clISt17integral_constantIbLb1EES18_IbLb0EEEEDaS14_S15_EUlS14_E_NS1_11comp_targetILNS1_3genE4ELNS1_11target_archE910ELNS1_3gpuE8ELNS1_3repE0EEENS1_30default_config_static_selectorELNS0_4arch9wavefront6targetE1EEEvT1_, .Lfunc_end2541-_ZN7rocprim17ROCPRIM_400000_NS6detail17trampoline_kernelINS0_14default_configENS1_25partition_config_selectorILNS1_17partition_subalgoE0EtNS0_10empty_typeEbEEZZNS1_14partition_implILS5_0ELb0ES3_jN6thrust23THRUST_200600_302600_NS6detail15normal_iteratorINSA_10device_ptrItEEEEPS6_SG_NS0_5tupleIJSF_NSA_16discard_iteratorINSA_11use_defaultEEEEEENSH_IJSG_SG_EEES6_PlJ7is_evenItEEEE10hipError_tPvRmT3_T4_T5_T6_T7_T9_mT8_P12ihipStream_tbDpT10_ENKUlT_T0_E_clISt17integral_constantIbLb1EES18_IbLb0EEEEDaS14_S15_EUlS14_E_NS1_11comp_targetILNS1_3genE4ELNS1_11target_archE910ELNS1_3gpuE8ELNS1_3repE0EEENS1_30default_config_static_selectorELNS0_4arch9wavefront6targetE1EEEvT1_
                                        ; -- End function
	.section	.AMDGPU.csdata,"",@progbits
; Kernel info:
; codeLenInByte = 0
; NumSgprs: 6
; NumVgprs: 0
; NumAgprs: 0
; TotalNumVgprs: 0
; ScratchSize: 0
; MemoryBound: 0
; FloatMode: 240
; IeeeMode: 1
; LDSByteSize: 0 bytes/workgroup (compile time only)
; SGPRBlocks: 0
; VGPRBlocks: 0
; NumSGPRsForWavesPerEU: 6
; NumVGPRsForWavesPerEU: 1
; AccumOffset: 4
; Occupancy: 8
; WaveLimiterHint : 0
; COMPUTE_PGM_RSRC2:SCRATCH_EN: 0
; COMPUTE_PGM_RSRC2:USER_SGPR: 2
; COMPUTE_PGM_RSRC2:TRAP_HANDLER: 0
; COMPUTE_PGM_RSRC2:TGID_X_EN: 1
; COMPUTE_PGM_RSRC2:TGID_Y_EN: 0
; COMPUTE_PGM_RSRC2:TGID_Z_EN: 0
; COMPUTE_PGM_RSRC2:TIDIG_COMP_CNT: 0
; COMPUTE_PGM_RSRC3_GFX90A:ACCUM_OFFSET: 0
; COMPUTE_PGM_RSRC3_GFX90A:TG_SPLIT: 0
	.section	.text._ZN7rocprim17ROCPRIM_400000_NS6detail17trampoline_kernelINS0_14default_configENS1_25partition_config_selectorILNS1_17partition_subalgoE0EtNS0_10empty_typeEbEEZZNS1_14partition_implILS5_0ELb0ES3_jN6thrust23THRUST_200600_302600_NS6detail15normal_iteratorINSA_10device_ptrItEEEEPS6_SG_NS0_5tupleIJSF_NSA_16discard_iteratorINSA_11use_defaultEEEEEENSH_IJSG_SG_EEES6_PlJ7is_evenItEEEE10hipError_tPvRmT3_T4_T5_T6_T7_T9_mT8_P12ihipStream_tbDpT10_ENKUlT_T0_E_clISt17integral_constantIbLb1EES18_IbLb0EEEEDaS14_S15_EUlS14_E_NS1_11comp_targetILNS1_3genE3ELNS1_11target_archE908ELNS1_3gpuE7ELNS1_3repE0EEENS1_30default_config_static_selectorELNS0_4arch9wavefront6targetE1EEEvT1_,"axG",@progbits,_ZN7rocprim17ROCPRIM_400000_NS6detail17trampoline_kernelINS0_14default_configENS1_25partition_config_selectorILNS1_17partition_subalgoE0EtNS0_10empty_typeEbEEZZNS1_14partition_implILS5_0ELb0ES3_jN6thrust23THRUST_200600_302600_NS6detail15normal_iteratorINSA_10device_ptrItEEEEPS6_SG_NS0_5tupleIJSF_NSA_16discard_iteratorINSA_11use_defaultEEEEEENSH_IJSG_SG_EEES6_PlJ7is_evenItEEEE10hipError_tPvRmT3_T4_T5_T6_T7_T9_mT8_P12ihipStream_tbDpT10_ENKUlT_T0_E_clISt17integral_constantIbLb1EES18_IbLb0EEEEDaS14_S15_EUlS14_E_NS1_11comp_targetILNS1_3genE3ELNS1_11target_archE908ELNS1_3gpuE7ELNS1_3repE0EEENS1_30default_config_static_selectorELNS0_4arch9wavefront6targetE1EEEvT1_,comdat
	.protected	_ZN7rocprim17ROCPRIM_400000_NS6detail17trampoline_kernelINS0_14default_configENS1_25partition_config_selectorILNS1_17partition_subalgoE0EtNS0_10empty_typeEbEEZZNS1_14partition_implILS5_0ELb0ES3_jN6thrust23THRUST_200600_302600_NS6detail15normal_iteratorINSA_10device_ptrItEEEEPS6_SG_NS0_5tupleIJSF_NSA_16discard_iteratorINSA_11use_defaultEEEEEENSH_IJSG_SG_EEES6_PlJ7is_evenItEEEE10hipError_tPvRmT3_T4_T5_T6_T7_T9_mT8_P12ihipStream_tbDpT10_ENKUlT_T0_E_clISt17integral_constantIbLb1EES18_IbLb0EEEEDaS14_S15_EUlS14_E_NS1_11comp_targetILNS1_3genE3ELNS1_11target_archE908ELNS1_3gpuE7ELNS1_3repE0EEENS1_30default_config_static_selectorELNS0_4arch9wavefront6targetE1EEEvT1_ ; -- Begin function _ZN7rocprim17ROCPRIM_400000_NS6detail17trampoline_kernelINS0_14default_configENS1_25partition_config_selectorILNS1_17partition_subalgoE0EtNS0_10empty_typeEbEEZZNS1_14partition_implILS5_0ELb0ES3_jN6thrust23THRUST_200600_302600_NS6detail15normal_iteratorINSA_10device_ptrItEEEEPS6_SG_NS0_5tupleIJSF_NSA_16discard_iteratorINSA_11use_defaultEEEEEENSH_IJSG_SG_EEES6_PlJ7is_evenItEEEE10hipError_tPvRmT3_T4_T5_T6_T7_T9_mT8_P12ihipStream_tbDpT10_ENKUlT_T0_E_clISt17integral_constantIbLb1EES18_IbLb0EEEEDaS14_S15_EUlS14_E_NS1_11comp_targetILNS1_3genE3ELNS1_11target_archE908ELNS1_3gpuE7ELNS1_3repE0EEENS1_30default_config_static_selectorELNS0_4arch9wavefront6targetE1EEEvT1_
	.globl	_ZN7rocprim17ROCPRIM_400000_NS6detail17trampoline_kernelINS0_14default_configENS1_25partition_config_selectorILNS1_17partition_subalgoE0EtNS0_10empty_typeEbEEZZNS1_14partition_implILS5_0ELb0ES3_jN6thrust23THRUST_200600_302600_NS6detail15normal_iteratorINSA_10device_ptrItEEEEPS6_SG_NS0_5tupleIJSF_NSA_16discard_iteratorINSA_11use_defaultEEEEEENSH_IJSG_SG_EEES6_PlJ7is_evenItEEEE10hipError_tPvRmT3_T4_T5_T6_T7_T9_mT8_P12ihipStream_tbDpT10_ENKUlT_T0_E_clISt17integral_constantIbLb1EES18_IbLb0EEEEDaS14_S15_EUlS14_E_NS1_11comp_targetILNS1_3genE3ELNS1_11target_archE908ELNS1_3gpuE7ELNS1_3repE0EEENS1_30default_config_static_selectorELNS0_4arch9wavefront6targetE1EEEvT1_
	.p2align	8
	.type	_ZN7rocprim17ROCPRIM_400000_NS6detail17trampoline_kernelINS0_14default_configENS1_25partition_config_selectorILNS1_17partition_subalgoE0EtNS0_10empty_typeEbEEZZNS1_14partition_implILS5_0ELb0ES3_jN6thrust23THRUST_200600_302600_NS6detail15normal_iteratorINSA_10device_ptrItEEEEPS6_SG_NS0_5tupleIJSF_NSA_16discard_iteratorINSA_11use_defaultEEEEEENSH_IJSG_SG_EEES6_PlJ7is_evenItEEEE10hipError_tPvRmT3_T4_T5_T6_T7_T9_mT8_P12ihipStream_tbDpT10_ENKUlT_T0_E_clISt17integral_constantIbLb1EES18_IbLb0EEEEDaS14_S15_EUlS14_E_NS1_11comp_targetILNS1_3genE3ELNS1_11target_archE908ELNS1_3gpuE7ELNS1_3repE0EEENS1_30default_config_static_selectorELNS0_4arch9wavefront6targetE1EEEvT1_,@function
_ZN7rocprim17ROCPRIM_400000_NS6detail17trampoline_kernelINS0_14default_configENS1_25partition_config_selectorILNS1_17partition_subalgoE0EtNS0_10empty_typeEbEEZZNS1_14partition_implILS5_0ELb0ES3_jN6thrust23THRUST_200600_302600_NS6detail15normal_iteratorINSA_10device_ptrItEEEEPS6_SG_NS0_5tupleIJSF_NSA_16discard_iteratorINSA_11use_defaultEEEEEENSH_IJSG_SG_EEES6_PlJ7is_evenItEEEE10hipError_tPvRmT3_T4_T5_T6_T7_T9_mT8_P12ihipStream_tbDpT10_ENKUlT_T0_E_clISt17integral_constantIbLb1EES18_IbLb0EEEEDaS14_S15_EUlS14_E_NS1_11comp_targetILNS1_3genE3ELNS1_11target_archE908ELNS1_3gpuE7ELNS1_3repE0EEENS1_30default_config_static_selectorELNS0_4arch9wavefront6targetE1EEEvT1_: ; @_ZN7rocprim17ROCPRIM_400000_NS6detail17trampoline_kernelINS0_14default_configENS1_25partition_config_selectorILNS1_17partition_subalgoE0EtNS0_10empty_typeEbEEZZNS1_14partition_implILS5_0ELb0ES3_jN6thrust23THRUST_200600_302600_NS6detail15normal_iteratorINSA_10device_ptrItEEEEPS6_SG_NS0_5tupleIJSF_NSA_16discard_iteratorINSA_11use_defaultEEEEEENSH_IJSG_SG_EEES6_PlJ7is_evenItEEEE10hipError_tPvRmT3_T4_T5_T6_T7_T9_mT8_P12ihipStream_tbDpT10_ENKUlT_T0_E_clISt17integral_constantIbLb1EES18_IbLb0EEEEDaS14_S15_EUlS14_E_NS1_11comp_targetILNS1_3genE3ELNS1_11target_archE908ELNS1_3gpuE7ELNS1_3repE0EEENS1_30default_config_static_selectorELNS0_4arch9wavefront6targetE1EEEvT1_
; %bb.0:
	.section	.rodata,"a",@progbits
	.p2align	6, 0x0
	.amdhsa_kernel _ZN7rocprim17ROCPRIM_400000_NS6detail17trampoline_kernelINS0_14default_configENS1_25partition_config_selectorILNS1_17partition_subalgoE0EtNS0_10empty_typeEbEEZZNS1_14partition_implILS5_0ELb0ES3_jN6thrust23THRUST_200600_302600_NS6detail15normal_iteratorINSA_10device_ptrItEEEEPS6_SG_NS0_5tupleIJSF_NSA_16discard_iteratorINSA_11use_defaultEEEEEENSH_IJSG_SG_EEES6_PlJ7is_evenItEEEE10hipError_tPvRmT3_T4_T5_T6_T7_T9_mT8_P12ihipStream_tbDpT10_ENKUlT_T0_E_clISt17integral_constantIbLb1EES18_IbLb0EEEEDaS14_S15_EUlS14_E_NS1_11comp_targetILNS1_3genE3ELNS1_11target_archE908ELNS1_3gpuE7ELNS1_3repE0EEENS1_30default_config_static_selectorELNS0_4arch9wavefront6targetE1EEEvT1_
		.amdhsa_group_segment_fixed_size 0
		.amdhsa_private_segment_fixed_size 0
		.amdhsa_kernarg_size 128
		.amdhsa_user_sgpr_count 2
		.amdhsa_user_sgpr_dispatch_ptr 0
		.amdhsa_user_sgpr_queue_ptr 0
		.amdhsa_user_sgpr_kernarg_segment_ptr 1
		.amdhsa_user_sgpr_dispatch_id 0
		.amdhsa_user_sgpr_kernarg_preload_length 0
		.amdhsa_user_sgpr_kernarg_preload_offset 0
		.amdhsa_user_sgpr_private_segment_size 0
		.amdhsa_uses_dynamic_stack 0
		.amdhsa_enable_private_segment 0
		.amdhsa_system_sgpr_workgroup_id_x 1
		.amdhsa_system_sgpr_workgroup_id_y 0
		.amdhsa_system_sgpr_workgroup_id_z 0
		.amdhsa_system_sgpr_workgroup_info 0
		.amdhsa_system_vgpr_workitem_id 0
		.amdhsa_next_free_vgpr 1
		.amdhsa_next_free_sgpr 0
		.amdhsa_accum_offset 4
		.amdhsa_reserve_vcc 0
		.amdhsa_float_round_mode_32 0
		.amdhsa_float_round_mode_16_64 0
		.amdhsa_float_denorm_mode_32 3
		.amdhsa_float_denorm_mode_16_64 3
		.amdhsa_dx10_clamp 1
		.amdhsa_ieee_mode 1
		.amdhsa_fp16_overflow 0
		.amdhsa_tg_split 0
		.amdhsa_exception_fp_ieee_invalid_op 0
		.amdhsa_exception_fp_denorm_src 0
		.amdhsa_exception_fp_ieee_div_zero 0
		.amdhsa_exception_fp_ieee_overflow 0
		.amdhsa_exception_fp_ieee_underflow 0
		.amdhsa_exception_fp_ieee_inexact 0
		.amdhsa_exception_int_div_zero 0
	.end_amdhsa_kernel
	.section	.text._ZN7rocprim17ROCPRIM_400000_NS6detail17trampoline_kernelINS0_14default_configENS1_25partition_config_selectorILNS1_17partition_subalgoE0EtNS0_10empty_typeEbEEZZNS1_14partition_implILS5_0ELb0ES3_jN6thrust23THRUST_200600_302600_NS6detail15normal_iteratorINSA_10device_ptrItEEEEPS6_SG_NS0_5tupleIJSF_NSA_16discard_iteratorINSA_11use_defaultEEEEEENSH_IJSG_SG_EEES6_PlJ7is_evenItEEEE10hipError_tPvRmT3_T4_T5_T6_T7_T9_mT8_P12ihipStream_tbDpT10_ENKUlT_T0_E_clISt17integral_constantIbLb1EES18_IbLb0EEEEDaS14_S15_EUlS14_E_NS1_11comp_targetILNS1_3genE3ELNS1_11target_archE908ELNS1_3gpuE7ELNS1_3repE0EEENS1_30default_config_static_selectorELNS0_4arch9wavefront6targetE1EEEvT1_,"axG",@progbits,_ZN7rocprim17ROCPRIM_400000_NS6detail17trampoline_kernelINS0_14default_configENS1_25partition_config_selectorILNS1_17partition_subalgoE0EtNS0_10empty_typeEbEEZZNS1_14partition_implILS5_0ELb0ES3_jN6thrust23THRUST_200600_302600_NS6detail15normal_iteratorINSA_10device_ptrItEEEEPS6_SG_NS0_5tupleIJSF_NSA_16discard_iteratorINSA_11use_defaultEEEEEENSH_IJSG_SG_EEES6_PlJ7is_evenItEEEE10hipError_tPvRmT3_T4_T5_T6_T7_T9_mT8_P12ihipStream_tbDpT10_ENKUlT_T0_E_clISt17integral_constantIbLb1EES18_IbLb0EEEEDaS14_S15_EUlS14_E_NS1_11comp_targetILNS1_3genE3ELNS1_11target_archE908ELNS1_3gpuE7ELNS1_3repE0EEENS1_30default_config_static_selectorELNS0_4arch9wavefront6targetE1EEEvT1_,comdat
.Lfunc_end2542:
	.size	_ZN7rocprim17ROCPRIM_400000_NS6detail17trampoline_kernelINS0_14default_configENS1_25partition_config_selectorILNS1_17partition_subalgoE0EtNS0_10empty_typeEbEEZZNS1_14partition_implILS5_0ELb0ES3_jN6thrust23THRUST_200600_302600_NS6detail15normal_iteratorINSA_10device_ptrItEEEEPS6_SG_NS0_5tupleIJSF_NSA_16discard_iteratorINSA_11use_defaultEEEEEENSH_IJSG_SG_EEES6_PlJ7is_evenItEEEE10hipError_tPvRmT3_T4_T5_T6_T7_T9_mT8_P12ihipStream_tbDpT10_ENKUlT_T0_E_clISt17integral_constantIbLb1EES18_IbLb0EEEEDaS14_S15_EUlS14_E_NS1_11comp_targetILNS1_3genE3ELNS1_11target_archE908ELNS1_3gpuE7ELNS1_3repE0EEENS1_30default_config_static_selectorELNS0_4arch9wavefront6targetE1EEEvT1_, .Lfunc_end2542-_ZN7rocprim17ROCPRIM_400000_NS6detail17trampoline_kernelINS0_14default_configENS1_25partition_config_selectorILNS1_17partition_subalgoE0EtNS0_10empty_typeEbEEZZNS1_14partition_implILS5_0ELb0ES3_jN6thrust23THRUST_200600_302600_NS6detail15normal_iteratorINSA_10device_ptrItEEEEPS6_SG_NS0_5tupleIJSF_NSA_16discard_iteratorINSA_11use_defaultEEEEEENSH_IJSG_SG_EEES6_PlJ7is_evenItEEEE10hipError_tPvRmT3_T4_T5_T6_T7_T9_mT8_P12ihipStream_tbDpT10_ENKUlT_T0_E_clISt17integral_constantIbLb1EES18_IbLb0EEEEDaS14_S15_EUlS14_E_NS1_11comp_targetILNS1_3genE3ELNS1_11target_archE908ELNS1_3gpuE7ELNS1_3repE0EEENS1_30default_config_static_selectorELNS0_4arch9wavefront6targetE1EEEvT1_
                                        ; -- End function
	.section	.AMDGPU.csdata,"",@progbits
; Kernel info:
; codeLenInByte = 0
; NumSgprs: 6
; NumVgprs: 0
; NumAgprs: 0
; TotalNumVgprs: 0
; ScratchSize: 0
; MemoryBound: 0
; FloatMode: 240
; IeeeMode: 1
; LDSByteSize: 0 bytes/workgroup (compile time only)
; SGPRBlocks: 0
; VGPRBlocks: 0
; NumSGPRsForWavesPerEU: 6
; NumVGPRsForWavesPerEU: 1
; AccumOffset: 4
; Occupancy: 8
; WaveLimiterHint : 0
; COMPUTE_PGM_RSRC2:SCRATCH_EN: 0
; COMPUTE_PGM_RSRC2:USER_SGPR: 2
; COMPUTE_PGM_RSRC2:TRAP_HANDLER: 0
; COMPUTE_PGM_RSRC2:TGID_X_EN: 1
; COMPUTE_PGM_RSRC2:TGID_Y_EN: 0
; COMPUTE_PGM_RSRC2:TGID_Z_EN: 0
; COMPUTE_PGM_RSRC2:TIDIG_COMP_CNT: 0
; COMPUTE_PGM_RSRC3_GFX90A:ACCUM_OFFSET: 0
; COMPUTE_PGM_RSRC3_GFX90A:TG_SPLIT: 0
	.section	.text._ZN7rocprim17ROCPRIM_400000_NS6detail17trampoline_kernelINS0_14default_configENS1_25partition_config_selectorILNS1_17partition_subalgoE0EtNS0_10empty_typeEbEEZZNS1_14partition_implILS5_0ELb0ES3_jN6thrust23THRUST_200600_302600_NS6detail15normal_iteratorINSA_10device_ptrItEEEEPS6_SG_NS0_5tupleIJSF_NSA_16discard_iteratorINSA_11use_defaultEEEEEENSH_IJSG_SG_EEES6_PlJ7is_evenItEEEE10hipError_tPvRmT3_T4_T5_T6_T7_T9_mT8_P12ihipStream_tbDpT10_ENKUlT_T0_E_clISt17integral_constantIbLb1EES18_IbLb0EEEEDaS14_S15_EUlS14_E_NS1_11comp_targetILNS1_3genE2ELNS1_11target_archE906ELNS1_3gpuE6ELNS1_3repE0EEENS1_30default_config_static_selectorELNS0_4arch9wavefront6targetE1EEEvT1_,"axG",@progbits,_ZN7rocprim17ROCPRIM_400000_NS6detail17trampoline_kernelINS0_14default_configENS1_25partition_config_selectorILNS1_17partition_subalgoE0EtNS0_10empty_typeEbEEZZNS1_14partition_implILS5_0ELb0ES3_jN6thrust23THRUST_200600_302600_NS6detail15normal_iteratorINSA_10device_ptrItEEEEPS6_SG_NS0_5tupleIJSF_NSA_16discard_iteratorINSA_11use_defaultEEEEEENSH_IJSG_SG_EEES6_PlJ7is_evenItEEEE10hipError_tPvRmT3_T4_T5_T6_T7_T9_mT8_P12ihipStream_tbDpT10_ENKUlT_T0_E_clISt17integral_constantIbLb1EES18_IbLb0EEEEDaS14_S15_EUlS14_E_NS1_11comp_targetILNS1_3genE2ELNS1_11target_archE906ELNS1_3gpuE6ELNS1_3repE0EEENS1_30default_config_static_selectorELNS0_4arch9wavefront6targetE1EEEvT1_,comdat
	.protected	_ZN7rocprim17ROCPRIM_400000_NS6detail17trampoline_kernelINS0_14default_configENS1_25partition_config_selectorILNS1_17partition_subalgoE0EtNS0_10empty_typeEbEEZZNS1_14partition_implILS5_0ELb0ES3_jN6thrust23THRUST_200600_302600_NS6detail15normal_iteratorINSA_10device_ptrItEEEEPS6_SG_NS0_5tupleIJSF_NSA_16discard_iteratorINSA_11use_defaultEEEEEENSH_IJSG_SG_EEES6_PlJ7is_evenItEEEE10hipError_tPvRmT3_T4_T5_T6_T7_T9_mT8_P12ihipStream_tbDpT10_ENKUlT_T0_E_clISt17integral_constantIbLb1EES18_IbLb0EEEEDaS14_S15_EUlS14_E_NS1_11comp_targetILNS1_3genE2ELNS1_11target_archE906ELNS1_3gpuE6ELNS1_3repE0EEENS1_30default_config_static_selectorELNS0_4arch9wavefront6targetE1EEEvT1_ ; -- Begin function _ZN7rocprim17ROCPRIM_400000_NS6detail17trampoline_kernelINS0_14default_configENS1_25partition_config_selectorILNS1_17partition_subalgoE0EtNS0_10empty_typeEbEEZZNS1_14partition_implILS5_0ELb0ES3_jN6thrust23THRUST_200600_302600_NS6detail15normal_iteratorINSA_10device_ptrItEEEEPS6_SG_NS0_5tupleIJSF_NSA_16discard_iteratorINSA_11use_defaultEEEEEENSH_IJSG_SG_EEES6_PlJ7is_evenItEEEE10hipError_tPvRmT3_T4_T5_T6_T7_T9_mT8_P12ihipStream_tbDpT10_ENKUlT_T0_E_clISt17integral_constantIbLb1EES18_IbLb0EEEEDaS14_S15_EUlS14_E_NS1_11comp_targetILNS1_3genE2ELNS1_11target_archE906ELNS1_3gpuE6ELNS1_3repE0EEENS1_30default_config_static_selectorELNS0_4arch9wavefront6targetE1EEEvT1_
	.globl	_ZN7rocprim17ROCPRIM_400000_NS6detail17trampoline_kernelINS0_14default_configENS1_25partition_config_selectorILNS1_17partition_subalgoE0EtNS0_10empty_typeEbEEZZNS1_14partition_implILS5_0ELb0ES3_jN6thrust23THRUST_200600_302600_NS6detail15normal_iteratorINSA_10device_ptrItEEEEPS6_SG_NS0_5tupleIJSF_NSA_16discard_iteratorINSA_11use_defaultEEEEEENSH_IJSG_SG_EEES6_PlJ7is_evenItEEEE10hipError_tPvRmT3_T4_T5_T6_T7_T9_mT8_P12ihipStream_tbDpT10_ENKUlT_T0_E_clISt17integral_constantIbLb1EES18_IbLb0EEEEDaS14_S15_EUlS14_E_NS1_11comp_targetILNS1_3genE2ELNS1_11target_archE906ELNS1_3gpuE6ELNS1_3repE0EEENS1_30default_config_static_selectorELNS0_4arch9wavefront6targetE1EEEvT1_
	.p2align	8
	.type	_ZN7rocprim17ROCPRIM_400000_NS6detail17trampoline_kernelINS0_14default_configENS1_25partition_config_selectorILNS1_17partition_subalgoE0EtNS0_10empty_typeEbEEZZNS1_14partition_implILS5_0ELb0ES3_jN6thrust23THRUST_200600_302600_NS6detail15normal_iteratorINSA_10device_ptrItEEEEPS6_SG_NS0_5tupleIJSF_NSA_16discard_iteratorINSA_11use_defaultEEEEEENSH_IJSG_SG_EEES6_PlJ7is_evenItEEEE10hipError_tPvRmT3_T4_T5_T6_T7_T9_mT8_P12ihipStream_tbDpT10_ENKUlT_T0_E_clISt17integral_constantIbLb1EES18_IbLb0EEEEDaS14_S15_EUlS14_E_NS1_11comp_targetILNS1_3genE2ELNS1_11target_archE906ELNS1_3gpuE6ELNS1_3repE0EEENS1_30default_config_static_selectorELNS0_4arch9wavefront6targetE1EEEvT1_,@function
_ZN7rocprim17ROCPRIM_400000_NS6detail17trampoline_kernelINS0_14default_configENS1_25partition_config_selectorILNS1_17partition_subalgoE0EtNS0_10empty_typeEbEEZZNS1_14partition_implILS5_0ELb0ES3_jN6thrust23THRUST_200600_302600_NS6detail15normal_iteratorINSA_10device_ptrItEEEEPS6_SG_NS0_5tupleIJSF_NSA_16discard_iteratorINSA_11use_defaultEEEEEENSH_IJSG_SG_EEES6_PlJ7is_evenItEEEE10hipError_tPvRmT3_T4_T5_T6_T7_T9_mT8_P12ihipStream_tbDpT10_ENKUlT_T0_E_clISt17integral_constantIbLb1EES18_IbLb0EEEEDaS14_S15_EUlS14_E_NS1_11comp_targetILNS1_3genE2ELNS1_11target_archE906ELNS1_3gpuE6ELNS1_3repE0EEENS1_30default_config_static_selectorELNS0_4arch9wavefront6targetE1EEEvT1_: ; @_ZN7rocprim17ROCPRIM_400000_NS6detail17trampoline_kernelINS0_14default_configENS1_25partition_config_selectorILNS1_17partition_subalgoE0EtNS0_10empty_typeEbEEZZNS1_14partition_implILS5_0ELb0ES3_jN6thrust23THRUST_200600_302600_NS6detail15normal_iteratorINSA_10device_ptrItEEEEPS6_SG_NS0_5tupleIJSF_NSA_16discard_iteratorINSA_11use_defaultEEEEEENSH_IJSG_SG_EEES6_PlJ7is_evenItEEEE10hipError_tPvRmT3_T4_T5_T6_T7_T9_mT8_P12ihipStream_tbDpT10_ENKUlT_T0_E_clISt17integral_constantIbLb1EES18_IbLb0EEEEDaS14_S15_EUlS14_E_NS1_11comp_targetILNS1_3genE2ELNS1_11target_archE906ELNS1_3gpuE6ELNS1_3repE0EEENS1_30default_config_static_selectorELNS0_4arch9wavefront6targetE1EEEvT1_
; %bb.0:
	.section	.rodata,"a",@progbits
	.p2align	6, 0x0
	.amdhsa_kernel _ZN7rocprim17ROCPRIM_400000_NS6detail17trampoline_kernelINS0_14default_configENS1_25partition_config_selectorILNS1_17partition_subalgoE0EtNS0_10empty_typeEbEEZZNS1_14partition_implILS5_0ELb0ES3_jN6thrust23THRUST_200600_302600_NS6detail15normal_iteratorINSA_10device_ptrItEEEEPS6_SG_NS0_5tupleIJSF_NSA_16discard_iteratorINSA_11use_defaultEEEEEENSH_IJSG_SG_EEES6_PlJ7is_evenItEEEE10hipError_tPvRmT3_T4_T5_T6_T7_T9_mT8_P12ihipStream_tbDpT10_ENKUlT_T0_E_clISt17integral_constantIbLb1EES18_IbLb0EEEEDaS14_S15_EUlS14_E_NS1_11comp_targetILNS1_3genE2ELNS1_11target_archE906ELNS1_3gpuE6ELNS1_3repE0EEENS1_30default_config_static_selectorELNS0_4arch9wavefront6targetE1EEEvT1_
		.amdhsa_group_segment_fixed_size 0
		.amdhsa_private_segment_fixed_size 0
		.amdhsa_kernarg_size 128
		.amdhsa_user_sgpr_count 2
		.amdhsa_user_sgpr_dispatch_ptr 0
		.amdhsa_user_sgpr_queue_ptr 0
		.amdhsa_user_sgpr_kernarg_segment_ptr 1
		.amdhsa_user_sgpr_dispatch_id 0
		.amdhsa_user_sgpr_kernarg_preload_length 0
		.amdhsa_user_sgpr_kernarg_preload_offset 0
		.amdhsa_user_sgpr_private_segment_size 0
		.amdhsa_uses_dynamic_stack 0
		.amdhsa_enable_private_segment 0
		.amdhsa_system_sgpr_workgroup_id_x 1
		.amdhsa_system_sgpr_workgroup_id_y 0
		.amdhsa_system_sgpr_workgroup_id_z 0
		.amdhsa_system_sgpr_workgroup_info 0
		.amdhsa_system_vgpr_workitem_id 0
		.amdhsa_next_free_vgpr 1
		.amdhsa_next_free_sgpr 0
		.amdhsa_accum_offset 4
		.amdhsa_reserve_vcc 0
		.amdhsa_float_round_mode_32 0
		.amdhsa_float_round_mode_16_64 0
		.amdhsa_float_denorm_mode_32 3
		.amdhsa_float_denorm_mode_16_64 3
		.amdhsa_dx10_clamp 1
		.amdhsa_ieee_mode 1
		.amdhsa_fp16_overflow 0
		.amdhsa_tg_split 0
		.amdhsa_exception_fp_ieee_invalid_op 0
		.amdhsa_exception_fp_denorm_src 0
		.amdhsa_exception_fp_ieee_div_zero 0
		.amdhsa_exception_fp_ieee_overflow 0
		.amdhsa_exception_fp_ieee_underflow 0
		.amdhsa_exception_fp_ieee_inexact 0
		.amdhsa_exception_int_div_zero 0
	.end_amdhsa_kernel
	.section	.text._ZN7rocprim17ROCPRIM_400000_NS6detail17trampoline_kernelINS0_14default_configENS1_25partition_config_selectorILNS1_17partition_subalgoE0EtNS0_10empty_typeEbEEZZNS1_14partition_implILS5_0ELb0ES3_jN6thrust23THRUST_200600_302600_NS6detail15normal_iteratorINSA_10device_ptrItEEEEPS6_SG_NS0_5tupleIJSF_NSA_16discard_iteratorINSA_11use_defaultEEEEEENSH_IJSG_SG_EEES6_PlJ7is_evenItEEEE10hipError_tPvRmT3_T4_T5_T6_T7_T9_mT8_P12ihipStream_tbDpT10_ENKUlT_T0_E_clISt17integral_constantIbLb1EES18_IbLb0EEEEDaS14_S15_EUlS14_E_NS1_11comp_targetILNS1_3genE2ELNS1_11target_archE906ELNS1_3gpuE6ELNS1_3repE0EEENS1_30default_config_static_selectorELNS0_4arch9wavefront6targetE1EEEvT1_,"axG",@progbits,_ZN7rocprim17ROCPRIM_400000_NS6detail17trampoline_kernelINS0_14default_configENS1_25partition_config_selectorILNS1_17partition_subalgoE0EtNS0_10empty_typeEbEEZZNS1_14partition_implILS5_0ELb0ES3_jN6thrust23THRUST_200600_302600_NS6detail15normal_iteratorINSA_10device_ptrItEEEEPS6_SG_NS0_5tupleIJSF_NSA_16discard_iteratorINSA_11use_defaultEEEEEENSH_IJSG_SG_EEES6_PlJ7is_evenItEEEE10hipError_tPvRmT3_T4_T5_T6_T7_T9_mT8_P12ihipStream_tbDpT10_ENKUlT_T0_E_clISt17integral_constantIbLb1EES18_IbLb0EEEEDaS14_S15_EUlS14_E_NS1_11comp_targetILNS1_3genE2ELNS1_11target_archE906ELNS1_3gpuE6ELNS1_3repE0EEENS1_30default_config_static_selectorELNS0_4arch9wavefront6targetE1EEEvT1_,comdat
.Lfunc_end2543:
	.size	_ZN7rocprim17ROCPRIM_400000_NS6detail17trampoline_kernelINS0_14default_configENS1_25partition_config_selectorILNS1_17partition_subalgoE0EtNS0_10empty_typeEbEEZZNS1_14partition_implILS5_0ELb0ES3_jN6thrust23THRUST_200600_302600_NS6detail15normal_iteratorINSA_10device_ptrItEEEEPS6_SG_NS0_5tupleIJSF_NSA_16discard_iteratorINSA_11use_defaultEEEEEENSH_IJSG_SG_EEES6_PlJ7is_evenItEEEE10hipError_tPvRmT3_T4_T5_T6_T7_T9_mT8_P12ihipStream_tbDpT10_ENKUlT_T0_E_clISt17integral_constantIbLb1EES18_IbLb0EEEEDaS14_S15_EUlS14_E_NS1_11comp_targetILNS1_3genE2ELNS1_11target_archE906ELNS1_3gpuE6ELNS1_3repE0EEENS1_30default_config_static_selectorELNS0_4arch9wavefront6targetE1EEEvT1_, .Lfunc_end2543-_ZN7rocprim17ROCPRIM_400000_NS6detail17trampoline_kernelINS0_14default_configENS1_25partition_config_selectorILNS1_17partition_subalgoE0EtNS0_10empty_typeEbEEZZNS1_14partition_implILS5_0ELb0ES3_jN6thrust23THRUST_200600_302600_NS6detail15normal_iteratorINSA_10device_ptrItEEEEPS6_SG_NS0_5tupleIJSF_NSA_16discard_iteratorINSA_11use_defaultEEEEEENSH_IJSG_SG_EEES6_PlJ7is_evenItEEEE10hipError_tPvRmT3_T4_T5_T6_T7_T9_mT8_P12ihipStream_tbDpT10_ENKUlT_T0_E_clISt17integral_constantIbLb1EES18_IbLb0EEEEDaS14_S15_EUlS14_E_NS1_11comp_targetILNS1_3genE2ELNS1_11target_archE906ELNS1_3gpuE6ELNS1_3repE0EEENS1_30default_config_static_selectorELNS0_4arch9wavefront6targetE1EEEvT1_
                                        ; -- End function
	.section	.AMDGPU.csdata,"",@progbits
; Kernel info:
; codeLenInByte = 0
; NumSgprs: 6
; NumVgprs: 0
; NumAgprs: 0
; TotalNumVgprs: 0
; ScratchSize: 0
; MemoryBound: 0
; FloatMode: 240
; IeeeMode: 1
; LDSByteSize: 0 bytes/workgroup (compile time only)
; SGPRBlocks: 0
; VGPRBlocks: 0
; NumSGPRsForWavesPerEU: 6
; NumVGPRsForWavesPerEU: 1
; AccumOffset: 4
; Occupancy: 8
; WaveLimiterHint : 0
; COMPUTE_PGM_RSRC2:SCRATCH_EN: 0
; COMPUTE_PGM_RSRC2:USER_SGPR: 2
; COMPUTE_PGM_RSRC2:TRAP_HANDLER: 0
; COMPUTE_PGM_RSRC2:TGID_X_EN: 1
; COMPUTE_PGM_RSRC2:TGID_Y_EN: 0
; COMPUTE_PGM_RSRC2:TGID_Z_EN: 0
; COMPUTE_PGM_RSRC2:TIDIG_COMP_CNT: 0
; COMPUTE_PGM_RSRC3_GFX90A:ACCUM_OFFSET: 0
; COMPUTE_PGM_RSRC3_GFX90A:TG_SPLIT: 0
	.section	.text._ZN7rocprim17ROCPRIM_400000_NS6detail17trampoline_kernelINS0_14default_configENS1_25partition_config_selectorILNS1_17partition_subalgoE0EtNS0_10empty_typeEbEEZZNS1_14partition_implILS5_0ELb0ES3_jN6thrust23THRUST_200600_302600_NS6detail15normal_iteratorINSA_10device_ptrItEEEEPS6_SG_NS0_5tupleIJSF_NSA_16discard_iteratorINSA_11use_defaultEEEEEENSH_IJSG_SG_EEES6_PlJ7is_evenItEEEE10hipError_tPvRmT3_T4_T5_T6_T7_T9_mT8_P12ihipStream_tbDpT10_ENKUlT_T0_E_clISt17integral_constantIbLb1EES18_IbLb0EEEEDaS14_S15_EUlS14_E_NS1_11comp_targetILNS1_3genE10ELNS1_11target_archE1200ELNS1_3gpuE4ELNS1_3repE0EEENS1_30default_config_static_selectorELNS0_4arch9wavefront6targetE1EEEvT1_,"axG",@progbits,_ZN7rocprim17ROCPRIM_400000_NS6detail17trampoline_kernelINS0_14default_configENS1_25partition_config_selectorILNS1_17partition_subalgoE0EtNS0_10empty_typeEbEEZZNS1_14partition_implILS5_0ELb0ES3_jN6thrust23THRUST_200600_302600_NS6detail15normal_iteratorINSA_10device_ptrItEEEEPS6_SG_NS0_5tupleIJSF_NSA_16discard_iteratorINSA_11use_defaultEEEEEENSH_IJSG_SG_EEES6_PlJ7is_evenItEEEE10hipError_tPvRmT3_T4_T5_T6_T7_T9_mT8_P12ihipStream_tbDpT10_ENKUlT_T0_E_clISt17integral_constantIbLb1EES18_IbLb0EEEEDaS14_S15_EUlS14_E_NS1_11comp_targetILNS1_3genE10ELNS1_11target_archE1200ELNS1_3gpuE4ELNS1_3repE0EEENS1_30default_config_static_selectorELNS0_4arch9wavefront6targetE1EEEvT1_,comdat
	.protected	_ZN7rocprim17ROCPRIM_400000_NS6detail17trampoline_kernelINS0_14default_configENS1_25partition_config_selectorILNS1_17partition_subalgoE0EtNS0_10empty_typeEbEEZZNS1_14partition_implILS5_0ELb0ES3_jN6thrust23THRUST_200600_302600_NS6detail15normal_iteratorINSA_10device_ptrItEEEEPS6_SG_NS0_5tupleIJSF_NSA_16discard_iteratorINSA_11use_defaultEEEEEENSH_IJSG_SG_EEES6_PlJ7is_evenItEEEE10hipError_tPvRmT3_T4_T5_T6_T7_T9_mT8_P12ihipStream_tbDpT10_ENKUlT_T0_E_clISt17integral_constantIbLb1EES18_IbLb0EEEEDaS14_S15_EUlS14_E_NS1_11comp_targetILNS1_3genE10ELNS1_11target_archE1200ELNS1_3gpuE4ELNS1_3repE0EEENS1_30default_config_static_selectorELNS0_4arch9wavefront6targetE1EEEvT1_ ; -- Begin function _ZN7rocprim17ROCPRIM_400000_NS6detail17trampoline_kernelINS0_14default_configENS1_25partition_config_selectorILNS1_17partition_subalgoE0EtNS0_10empty_typeEbEEZZNS1_14partition_implILS5_0ELb0ES3_jN6thrust23THRUST_200600_302600_NS6detail15normal_iteratorINSA_10device_ptrItEEEEPS6_SG_NS0_5tupleIJSF_NSA_16discard_iteratorINSA_11use_defaultEEEEEENSH_IJSG_SG_EEES6_PlJ7is_evenItEEEE10hipError_tPvRmT3_T4_T5_T6_T7_T9_mT8_P12ihipStream_tbDpT10_ENKUlT_T0_E_clISt17integral_constantIbLb1EES18_IbLb0EEEEDaS14_S15_EUlS14_E_NS1_11comp_targetILNS1_3genE10ELNS1_11target_archE1200ELNS1_3gpuE4ELNS1_3repE0EEENS1_30default_config_static_selectorELNS0_4arch9wavefront6targetE1EEEvT1_
	.globl	_ZN7rocprim17ROCPRIM_400000_NS6detail17trampoline_kernelINS0_14default_configENS1_25partition_config_selectorILNS1_17partition_subalgoE0EtNS0_10empty_typeEbEEZZNS1_14partition_implILS5_0ELb0ES3_jN6thrust23THRUST_200600_302600_NS6detail15normal_iteratorINSA_10device_ptrItEEEEPS6_SG_NS0_5tupleIJSF_NSA_16discard_iteratorINSA_11use_defaultEEEEEENSH_IJSG_SG_EEES6_PlJ7is_evenItEEEE10hipError_tPvRmT3_T4_T5_T6_T7_T9_mT8_P12ihipStream_tbDpT10_ENKUlT_T0_E_clISt17integral_constantIbLb1EES18_IbLb0EEEEDaS14_S15_EUlS14_E_NS1_11comp_targetILNS1_3genE10ELNS1_11target_archE1200ELNS1_3gpuE4ELNS1_3repE0EEENS1_30default_config_static_selectorELNS0_4arch9wavefront6targetE1EEEvT1_
	.p2align	8
	.type	_ZN7rocprim17ROCPRIM_400000_NS6detail17trampoline_kernelINS0_14default_configENS1_25partition_config_selectorILNS1_17partition_subalgoE0EtNS0_10empty_typeEbEEZZNS1_14partition_implILS5_0ELb0ES3_jN6thrust23THRUST_200600_302600_NS6detail15normal_iteratorINSA_10device_ptrItEEEEPS6_SG_NS0_5tupleIJSF_NSA_16discard_iteratorINSA_11use_defaultEEEEEENSH_IJSG_SG_EEES6_PlJ7is_evenItEEEE10hipError_tPvRmT3_T4_T5_T6_T7_T9_mT8_P12ihipStream_tbDpT10_ENKUlT_T0_E_clISt17integral_constantIbLb1EES18_IbLb0EEEEDaS14_S15_EUlS14_E_NS1_11comp_targetILNS1_3genE10ELNS1_11target_archE1200ELNS1_3gpuE4ELNS1_3repE0EEENS1_30default_config_static_selectorELNS0_4arch9wavefront6targetE1EEEvT1_,@function
_ZN7rocprim17ROCPRIM_400000_NS6detail17trampoline_kernelINS0_14default_configENS1_25partition_config_selectorILNS1_17partition_subalgoE0EtNS0_10empty_typeEbEEZZNS1_14partition_implILS5_0ELb0ES3_jN6thrust23THRUST_200600_302600_NS6detail15normal_iteratorINSA_10device_ptrItEEEEPS6_SG_NS0_5tupleIJSF_NSA_16discard_iteratorINSA_11use_defaultEEEEEENSH_IJSG_SG_EEES6_PlJ7is_evenItEEEE10hipError_tPvRmT3_T4_T5_T6_T7_T9_mT8_P12ihipStream_tbDpT10_ENKUlT_T0_E_clISt17integral_constantIbLb1EES18_IbLb0EEEEDaS14_S15_EUlS14_E_NS1_11comp_targetILNS1_3genE10ELNS1_11target_archE1200ELNS1_3gpuE4ELNS1_3repE0EEENS1_30default_config_static_selectorELNS0_4arch9wavefront6targetE1EEEvT1_: ; @_ZN7rocprim17ROCPRIM_400000_NS6detail17trampoline_kernelINS0_14default_configENS1_25partition_config_selectorILNS1_17partition_subalgoE0EtNS0_10empty_typeEbEEZZNS1_14partition_implILS5_0ELb0ES3_jN6thrust23THRUST_200600_302600_NS6detail15normal_iteratorINSA_10device_ptrItEEEEPS6_SG_NS0_5tupleIJSF_NSA_16discard_iteratorINSA_11use_defaultEEEEEENSH_IJSG_SG_EEES6_PlJ7is_evenItEEEE10hipError_tPvRmT3_T4_T5_T6_T7_T9_mT8_P12ihipStream_tbDpT10_ENKUlT_T0_E_clISt17integral_constantIbLb1EES18_IbLb0EEEEDaS14_S15_EUlS14_E_NS1_11comp_targetILNS1_3genE10ELNS1_11target_archE1200ELNS1_3gpuE4ELNS1_3repE0EEENS1_30default_config_static_selectorELNS0_4arch9wavefront6targetE1EEEvT1_
; %bb.0:
	.section	.rodata,"a",@progbits
	.p2align	6, 0x0
	.amdhsa_kernel _ZN7rocprim17ROCPRIM_400000_NS6detail17trampoline_kernelINS0_14default_configENS1_25partition_config_selectorILNS1_17partition_subalgoE0EtNS0_10empty_typeEbEEZZNS1_14partition_implILS5_0ELb0ES3_jN6thrust23THRUST_200600_302600_NS6detail15normal_iteratorINSA_10device_ptrItEEEEPS6_SG_NS0_5tupleIJSF_NSA_16discard_iteratorINSA_11use_defaultEEEEEENSH_IJSG_SG_EEES6_PlJ7is_evenItEEEE10hipError_tPvRmT3_T4_T5_T6_T7_T9_mT8_P12ihipStream_tbDpT10_ENKUlT_T0_E_clISt17integral_constantIbLb1EES18_IbLb0EEEEDaS14_S15_EUlS14_E_NS1_11comp_targetILNS1_3genE10ELNS1_11target_archE1200ELNS1_3gpuE4ELNS1_3repE0EEENS1_30default_config_static_selectorELNS0_4arch9wavefront6targetE1EEEvT1_
		.amdhsa_group_segment_fixed_size 0
		.amdhsa_private_segment_fixed_size 0
		.amdhsa_kernarg_size 128
		.amdhsa_user_sgpr_count 2
		.amdhsa_user_sgpr_dispatch_ptr 0
		.amdhsa_user_sgpr_queue_ptr 0
		.amdhsa_user_sgpr_kernarg_segment_ptr 1
		.amdhsa_user_sgpr_dispatch_id 0
		.amdhsa_user_sgpr_kernarg_preload_length 0
		.amdhsa_user_sgpr_kernarg_preload_offset 0
		.amdhsa_user_sgpr_private_segment_size 0
		.amdhsa_uses_dynamic_stack 0
		.amdhsa_enable_private_segment 0
		.amdhsa_system_sgpr_workgroup_id_x 1
		.amdhsa_system_sgpr_workgroup_id_y 0
		.amdhsa_system_sgpr_workgroup_id_z 0
		.amdhsa_system_sgpr_workgroup_info 0
		.amdhsa_system_vgpr_workitem_id 0
		.amdhsa_next_free_vgpr 1
		.amdhsa_next_free_sgpr 0
		.amdhsa_accum_offset 4
		.amdhsa_reserve_vcc 0
		.amdhsa_float_round_mode_32 0
		.amdhsa_float_round_mode_16_64 0
		.amdhsa_float_denorm_mode_32 3
		.amdhsa_float_denorm_mode_16_64 3
		.amdhsa_dx10_clamp 1
		.amdhsa_ieee_mode 1
		.amdhsa_fp16_overflow 0
		.amdhsa_tg_split 0
		.amdhsa_exception_fp_ieee_invalid_op 0
		.amdhsa_exception_fp_denorm_src 0
		.amdhsa_exception_fp_ieee_div_zero 0
		.amdhsa_exception_fp_ieee_overflow 0
		.amdhsa_exception_fp_ieee_underflow 0
		.amdhsa_exception_fp_ieee_inexact 0
		.amdhsa_exception_int_div_zero 0
	.end_amdhsa_kernel
	.section	.text._ZN7rocprim17ROCPRIM_400000_NS6detail17trampoline_kernelINS0_14default_configENS1_25partition_config_selectorILNS1_17partition_subalgoE0EtNS0_10empty_typeEbEEZZNS1_14partition_implILS5_0ELb0ES3_jN6thrust23THRUST_200600_302600_NS6detail15normal_iteratorINSA_10device_ptrItEEEEPS6_SG_NS0_5tupleIJSF_NSA_16discard_iteratorINSA_11use_defaultEEEEEENSH_IJSG_SG_EEES6_PlJ7is_evenItEEEE10hipError_tPvRmT3_T4_T5_T6_T7_T9_mT8_P12ihipStream_tbDpT10_ENKUlT_T0_E_clISt17integral_constantIbLb1EES18_IbLb0EEEEDaS14_S15_EUlS14_E_NS1_11comp_targetILNS1_3genE10ELNS1_11target_archE1200ELNS1_3gpuE4ELNS1_3repE0EEENS1_30default_config_static_selectorELNS0_4arch9wavefront6targetE1EEEvT1_,"axG",@progbits,_ZN7rocprim17ROCPRIM_400000_NS6detail17trampoline_kernelINS0_14default_configENS1_25partition_config_selectorILNS1_17partition_subalgoE0EtNS0_10empty_typeEbEEZZNS1_14partition_implILS5_0ELb0ES3_jN6thrust23THRUST_200600_302600_NS6detail15normal_iteratorINSA_10device_ptrItEEEEPS6_SG_NS0_5tupleIJSF_NSA_16discard_iteratorINSA_11use_defaultEEEEEENSH_IJSG_SG_EEES6_PlJ7is_evenItEEEE10hipError_tPvRmT3_T4_T5_T6_T7_T9_mT8_P12ihipStream_tbDpT10_ENKUlT_T0_E_clISt17integral_constantIbLb1EES18_IbLb0EEEEDaS14_S15_EUlS14_E_NS1_11comp_targetILNS1_3genE10ELNS1_11target_archE1200ELNS1_3gpuE4ELNS1_3repE0EEENS1_30default_config_static_selectorELNS0_4arch9wavefront6targetE1EEEvT1_,comdat
.Lfunc_end2544:
	.size	_ZN7rocprim17ROCPRIM_400000_NS6detail17trampoline_kernelINS0_14default_configENS1_25partition_config_selectorILNS1_17partition_subalgoE0EtNS0_10empty_typeEbEEZZNS1_14partition_implILS5_0ELb0ES3_jN6thrust23THRUST_200600_302600_NS6detail15normal_iteratorINSA_10device_ptrItEEEEPS6_SG_NS0_5tupleIJSF_NSA_16discard_iteratorINSA_11use_defaultEEEEEENSH_IJSG_SG_EEES6_PlJ7is_evenItEEEE10hipError_tPvRmT3_T4_T5_T6_T7_T9_mT8_P12ihipStream_tbDpT10_ENKUlT_T0_E_clISt17integral_constantIbLb1EES18_IbLb0EEEEDaS14_S15_EUlS14_E_NS1_11comp_targetILNS1_3genE10ELNS1_11target_archE1200ELNS1_3gpuE4ELNS1_3repE0EEENS1_30default_config_static_selectorELNS0_4arch9wavefront6targetE1EEEvT1_, .Lfunc_end2544-_ZN7rocprim17ROCPRIM_400000_NS6detail17trampoline_kernelINS0_14default_configENS1_25partition_config_selectorILNS1_17partition_subalgoE0EtNS0_10empty_typeEbEEZZNS1_14partition_implILS5_0ELb0ES3_jN6thrust23THRUST_200600_302600_NS6detail15normal_iteratorINSA_10device_ptrItEEEEPS6_SG_NS0_5tupleIJSF_NSA_16discard_iteratorINSA_11use_defaultEEEEEENSH_IJSG_SG_EEES6_PlJ7is_evenItEEEE10hipError_tPvRmT3_T4_T5_T6_T7_T9_mT8_P12ihipStream_tbDpT10_ENKUlT_T0_E_clISt17integral_constantIbLb1EES18_IbLb0EEEEDaS14_S15_EUlS14_E_NS1_11comp_targetILNS1_3genE10ELNS1_11target_archE1200ELNS1_3gpuE4ELNS1_3repE0EEENS1_30default_config_static_selectorELNS0_4arch9wavefront6targetE1EEEvT1_
                                        ; -- End function
	.section	.AMDGPU.csdata,"",@progbits
; Kernel info:
; codeLenInByte = 0
; NumSgprs: 6
; NumVgprs: 0
; NumAgprs: 0
; TotalNumVgprs: 0
; ScratchSize: 0
; MemoryBound: 0
; FloatMode: 240
; IeeeMode: 1
; LDSByteSize: 0 bytes/workgroup (compile time only)
; SGPRBlocks: 0
; VGPRBlocks: 0
; NumSGPRsForWavesPerEU: 6
; NumVGPRsForWavesPerEU: 1
; AccumOffset: 4
; Occupancy: 8
; WaveLimiterHint : 0
; COMPUTE_PGM_RSRC2:SCRATCH_EN: 0
; COMPUTE_PGM_RSRC2:USER_SGPR: 2
; COMPUTE_PGM_RSRC2:TRAP_HANDLER: 0
; COMPUTE_PGM_RSRC2:TGID_X_EN: 1
; COMPUTE_PGM_RSRC2:TGID_Y_EN: 0
; COMPUTE_PGM_RSRC2:TGID_Z_EN: 0
; COMPUTE_PGM_RSRC2:TIDIG_COMP_CNT: 0
; COMPUTE_PGM_RSRC3_GFX90A:ACCUM_OFFSET: 0
; COMPUTE_PGM_RSRC3_GFX90A:TG_SPLIT: 0
	.section	.text._ZN7rocprim17ROCPRIM_400000_NS6detail17trampoline_kernelINS0_14default_configENS1_25partition_config_selectorILNS1_17partition_subalgoE0EtNS0_10empty_typeEbEEZZNS1_14partition_implILS5_0ELb0ES3_jN6thrust23THRUST_200600_302600_NS6detail15normal_iteratorINSA_10device_ptrItEEEEPS6_SG_NS0_5tupleIJSF_NSA_16discard_iteratorINSA_11use_defaultEEEEEENSH_IJSG_SG_EEES6_PlJ7is_evenItEEEE10hipError_tPvRmT3_T4_T5_T6_T7_T9_mT8_P12ihipStream_tbDpT10_ENKUlT_T0_E_clISt17integral_constantIbLb1EES18_IbLb0EEEEDaS14_S15_EUlS14_E_NS1_11comp_targetILNS1_3genE9ELNS1_11target_archE1100ELNS1_3gpuE3ELNS1_3repE0EEENS1_30default_config_static_selectorELNS0_4arch9wavefront6targetE1EEEvT1_,"axG",@progbits,_ZN7rocprim17ROCPRIM_400000_NS6detail17trampoline_kernelINS0_14default_configENS1_25partition_config_selectorILNS1_17partition_subalgoE0EtNS0_10empty_typeEbEEZZNS1_14partition_implILS5_0ELb0ES3_jN6thrust23THRUST_200600_302600_NS6detail15normal_iteratorINSA_10device_ptrItEEEEPS6_SG_NS0_5tupleIJSF_NSA_16discard_iteratorINSA_11use_defaultEEEEEENSH_IJSG_SG_EEES6_PlJ7is_evenItEEEE10hipError_tPvRmT3_T4_T5_T6_T7_T9_mT8_P12ihipStream_tbDpT10_ENKUlT_T0_E_clISt17integral_constantIbLb1EES18_IbLb0EEEEDaS14_S15_EUlS14_E_NS1_11comp_targetILNS1_3genE9ELNS1_11target_archE1100ELNS1_3gpuE3ELNS1_3repE0EEENS1_30default_config_static_selectorELNS0_4arch9wavefront6targetE1EEEvT1_,comdat
	.protected	_ZN7rocprim17ROCPRIM_400000_NS6detail17trampoline_kernelINS0_14default_configENS1_25partition_config_selectorILNS1_17partition_subalgoE0EtNS0_10empty_typeEbEEZZNS1_14partition_implILS5_0ELb0ES3_jN6thrust23THRUST_200600_302600_NS6detail15normal_iteratorINSA_10device_ptrItEEEEPS6_SG_NS0_5tupleIJSF_NSA_16discard_iteratorINSA_11use_defaultEEEEEENSH_IJSG_SG_EEES6_PlJ7is_evenItEEEE10hipError_tPvRmT3_T4_T5_T6_T7_T9_mT8_P12ihipStream_tbDpT10_ENKUlT_T0_E_clISt17integral_constantIbLb1EES18_IbLb0EEEEDaS14_S15_EUlS14_E_NS1_11comp_targetILNS1_3genE9ELNS1_11target_archE1100ELNS1_3gpuE3ELNS1_3repE0EEENS1_30default_config_static_selectorELNS0_4arch9wavefront6targetE1EEEvT1_ ; -- Begin function _ZN7rocprim17ROCPRIM_400000_NS6detail17trampoline_kernelINS0_14default_configENS1_25partition_config_selectorILNS1_17partition_subalgoE0EtNS0_10empty_typeEbEEZZNS1_14partition_implILS5_0ELb0ES3_jN6thrust23THRUST_200600_302600_NS6detail15normal_iteratorINSA_10device_ptrItEEEEPS6_SG_NS0_5tupleIJSF_NSA_16discard_iteratorINSA_11use_defaultEEEEEENSH_IJSG_SG_EEES6_PlJ7is_evenItEEEE10hipError_tPvRmT3_T4_T5_T6_T7_T9_mT8_P12ihipStream_tbDpT10_ENKUlT_T0_E_clISt17integral_constantIbLb1EES18_IbLb0EEEEDaS14_S15_EUlS14_E_NS1_11comp_targetILNS1_3genE9ELNS1_11target_archE1100ELNS1_3gpuE3ELNS1_3repE0EEENS1_30default_config_static_selectorELNS0_4arch9wavefront6targetE1EEEvT1_
	.globl	_ZN7rocprim17ROCPRIM_400000_NS6detail17trampoline_kernelINS0_14default_configENS1_25partition_config_selectorILNS1_17partition_subalgoE0EtNS0_10empty_typeEbEEZZNS1_14partition_implILS5_0ELb0ES3_jN6thrust23THRUST_200600_302600_NS6detail15normal_iteratorINSA_10device_ptrItEEEEPS6_SG_NS0_5tupleIJSF_NSA_16discard_iteratorINSA_11use_defaultEEEEEENSH_IJSG_SG_EEES6_PlJ7is_evenItEEEE10hipError_tPvRmT3_T4_T5_T6_T7_T9_mT8_P12ihipStream_tbDpT10_ENKUlT_T0_E_clISt17integral_constantIbLb1EES18_IbLb0EEEEDaS14_S15_EUlS14_E_NS1_11comp_targetILNS1_3genE9ELNS1_11target_archE1100ELNS1_3gpuE3ELNS1_3repE0EEENS1_30default_config_static_selectorELNS0_4arch9wavefront6targetE1EEEvT1_
	.p2align	8
	.type	_ZN7rocprim17ROCPRIM_400000_NS6detail17trampoline_kernelINS0_14default_configENS1_25partition_config_selectorILNS1_17partition_subalgoE0EtNS0_10empty_typeEbEEZZNS1_14partition_implILS5_0ELb0ES3_jN6thrust23THRUST_200600_302600_NS6detail15normal_iteratorINSA_10device_ptrItEEEEPS6_SG_NS0_5tupleIJSF_NSA_16discard_iteratorINSA_11use_defaultEEEEEENSH_IJSG_SG_EEES6_PlJ7is_evenItEEEE10hipError_tPvRmT3_T4_T5_T6_T7_T9_mT8_P12ihipStream_tbDpT10_ENKUlT_T0_E_clISt17integral_constantIbLb1EES18_IbLb0EEEEDaS14_S15_EUlS14_E_NS1_11comp_targetILNS1_3genE9ELNS1_11target_archE1100ELNS1_3gpuE3ELNS1_3repE0EEENS1_30default_config_static_selectorELNS0_4arch9wavefront6targetE1EEEvT1_,@function
_ZN7rocprim17ROCPRIM_400000_NS6detail17trampoline_kernelINS0_14default_configENS1_25partition_config_selectorILNS1_17partition_subalgoE0EtNS0_10empty_typeEbEEZZNS1_14partition_implILS5_0ELb0ES3_jN6thrust23THRUST_200600_302600_NS6detail15normal_iteratorINSA_10device_ptrItEEEEPS6_SG_NS0_5tupleIJSF_NSA_16discard_iteratorINSA_11use_defaultEEEEEENSH_IJSG_SG_EEES6_PlJ7is_evenItEEEE10hipError_tPvRmT3_T4_T5_T6_T7_T9_mT8_P12ihipStream_tbDpT10_ENKUlT_T0_E_clISt17integral_constantIbLb1EES18_IbLb0EEEEDaS14_S15_EUlS14_E_NS1_11comp_targetILNS1_3genE9ELNS1_11target_archE1100ELNS1_3gpuE3ELNS1_3repE0EEENS1_30default_config_static_selectorELNS0_4arch9wavefront6targetE1EEEvT1_: ; @_ZN7rocprim17ROCPRIM_400000_NS6detail17trampoline_kernelINS0_14default_configENS1_25partition_config_selectorILNS1_17partition_subalgoE0EtNS0_10empty_typeEbEEZZNS1_14partition_implILS5_0ELb0ES3_jN6thrust23THRUST_200600_302600_NS6detail15normal_iteratorINSA_10device_ptrItEEEEPS6_SG_NS0_5tupleIJSF_NSA_16discard_iteratorINSA_11use_defaultEEEEEENSH_IJSG_SG_EEES6_PlJ7is_evenItEEEE10hipError_tPvRmT3_T4_T5_T6_T7_T9_mT8_P12ihipStream_tbDpT10_ENKUlT_T0_E_clISt17integral_constantIbLb1EES18_IbLb0EEEEDaS14_S15_EUlS14_E_NS1_11comp_targetILNS1_3genE9ELNS1_11target_archE1100ELNS1_3gpuE3ELNS1_3repE0EEENS1_30default_config_static_selectorELNS0_4arch9wavefront6targetE1EEEvT1_
; %bb.0:
	.section	.rodata,"a",@progbits
	.p2align	6, 0x0
	.amdhsa_kernel _ZN7rocprim17ROCPRIM_400000_NS6detail17trampoline_kernelINS0_14default_configENS1_25partition_config_selectorILNS1_17partition_subalgoE0EtNS0_10empty_typeEbEEZZNS1_14partition_implILS5_0ELb0ES3_jN6thrust23THRUST_200600_302600_NS6detail15normal_iteratorINSA_10device_ptrItEEEEPS6_SG_NS0_5tupleIJSF_NSA_16discard_iteratorINSA_11use_defaultEEEEEENSH_IJSG_SG_EEES6_PlJ7is_evenItEEEE10hipError_tPvRmT3_T4_T5_T6_T7_T9_mT8_P12ihipStream_tbDpT10_ENKUlT_T0_E_clISt17integral_constantIbLb1EES18_IbLb0EEEEDaS14_S15_EUlS14_E_NS1_11comp_targetILNS1_3genE9ELNS1_11target_archE1100ELNS1_3gpuE3ELNS1_3repE0EEENS1_30default_config_static_selectorELNS0_4arch9wavefront6targetE1EEEvT1_
		.amdhsa_group_segment_fixed_size 0
		.amdhsa_private_segment_fixed_size 0
		.amdhsa_kernarg_size 128
		.amdhsa_user_sgpr_count 2
		.amdhsa_user_sgpr_dispatch_ptr 0
		.amdhsa_user_sgpr_queue_ptr 0
		.amdhsa_user_sgpr_kernarg_segment_ptr 1
		.amdhsa_user_sgpr_dispatch_id 0
		.amdhsa_user_sgpr_kernarg_preload_length 0
		.amdhsa_user_sgpr_kernarg_preload_offset 0
		.amdhsa_user_sgpr_private_segment_size 0
		.amdhsa_uses_dynamic_stack 0
		.amdhsa_enable_private_segment 0
		.amdhsa_system_sgpr_workgroup_id_x 1
		.amdhsa_system_sgpr_workgroup_id_y 0
		.amdhsa_system_sgpr_workgroup_id_z 0
		.amdhsa_system_sgpr_workgroup_info 0
		.amdhsa_system_vgpr_workitem_id 0
		.amdhsa_next_free_vgpr 1
		.amdhsa_next_free_sgpr 0
		.amdhsa_accum_offset 4
		.amdhsa_reserve_vcc 0
		.amdhsa_float_round_mode_32 0
		.amdhsa_float_round_mode_16_64 0
		.amdhsa_float_denorm_mode_32 3
		.amdhsa_float_denorm_mode_16_64 3
		.amdhsa_dx10_clamp 1
		.amdhsa_ieee_mode 1
		.amdhsa_fp16_overflow 0
		.amdhsa_tg_split 0
		.amdhsa_exception_fp_ieee_invalid_op 0
		.amdhsa_exception_fp_denorm_src 0
		.amdhsa_exception_fp_ieee_div_zero 0
		.amdhsa_exception_fp_ieee_overflow 0
		.amdhsa_exception_fp_ieee_underflow 0
		.amdhsa_exception_fp_ieee_inexact 0
		.amdhsa_exception_int_div_zero 0
	.end_amdhsa_kernel
	.section	.text._ZN7rocprim17ROCPRIM_400000_NS6detail17trampoline_kernelINS0_14default_configENS1_25partition_config_selectorILNS1_17partition_subalgoE0EtNS0_10empty_typeEbEEZZNS1_14partition_implILS5_0ELb0ES3_jN6thrust23THRUST_200600_302600_NS6detail15normal_iteratorINSA_10device_ptrItEEEEPS6_SG_NS0_5tupleIJSF_NSA_16discard_iteratorINSA_11use_defaultEEEEEENSH_IJSG_SG_EEES6_PlJ7is_evenItEEEE10hipError_tPvRmT3_T4_T5_T6_T7_T9_mT8_P12ihipStream_tbDpT10_ENKUlT_T0_E_clISt17integral_constantIbLb1EES18_IbLb0EEEEDaS14_S15_EUlS14_E_NS1_11comp_targetILNS1_3genE9ELNS1_11target_archE1100ELNS1_3gpuE3ELNS1_3repE0EEENS1_30default_config_static_selectorELNS0_4arch9wavefront6targetE1EEEvT1_,"axG",@progbits,_ZN7rocprim17ROCPRIM_400000_NS6detail17trampoline_kernelINS0_14default_configENS1_25partition_config_selectorILNS1_17partition_subalgoE0EtNS0_10empty_typeEbEEZZNS1_14partition_implILS5_0ELb0ES3_jN6thrust23THRUST_200600_302600_NS6detail15normal_iteratorINSA_10device_ptrItEEEEPS6_SG_NS0_5tupleIJSF_NSA_16discard_iteratorINSA_11use_defaultEEEEEENSH_IJSG_SG_EEES6_PlJ7is_evenItEEEE10hipError_tPvRmT3_T4_T5_T6_T7_T9_mT8_P12ihipStream_tbDpT10_ENKUlT_T0_E_clISt17integral_constantIbLb1EES18_IbLb0EEEEDaS14_S15_EUlS14_E_NS1_11comp_targetILNS1_3genE9ELNS1_11target_archE1100ELNS1_3gpuE3ELNS1_3repE0EEENS1_30default_config_static_selectorELNS0_4arch9wavefront6targetE1EEEvT1_,comdat
.Lfunc_end2545:
	.size	_ZN7rocprim17ROCPRIM_400000_NS6detail17trampoline_kernelINS0_14default_configENS1_25partition_config_selectorILNS1_17partition_subalgoE0EtNS0_10empty_typeEbEEZZNS1_14partition_implILS5_0ELb0ES3_jN6thrust23THRUST_200600_302600_NS6detail15normal_iteratorINSA_10device_ptrItEEEEPS6_SG_NS0_5tupleIJSF_NSA_16discard_iteratorINSA_11use_defaultEEEEEENSH_IJSG_SG_EEES6_PlJ7is_evenItEEEE10hipError_tPvRmT3_T4_T5_T6_T7_T9_mT8_P12ihipStream_tbDpT10_ENKUlT_T0_E_clISt17integral_constantIbLb1EES18_IbLb0EEEEDaS14_S15_EUlS14_E_NS1_11comp_targetILNS1_3genE9ELNS1_11target_archE1100ELNS1_3gpuE3ELNS1_3repE0EEENS1_30default_config_static_selectorELNS0_4arch9wavefront6targetE1EEEvT1_, .Lfunc_end2545-_ZN7rocprim17ROCPRIM_400000_NS6detail17trampoline_kernelINS0_14default_configENS1_25partition_config_selectorILNS1_17partition_subalgoE0EtNS0_10empty_typeEbEEZZNS1_14partition_implILS5_0ELb0ES3_jN6thrust23THRUST_200600_302600_NS6detail15normal_iteratorINSA_10device_ptrItEEEEPS6_SG_NS0_5tupleIJSF_NSA_16discard_iteratorINSA_11use_defaultEEEEEENSH_IJSG_SG_EEES6_PlJ7is_evenItEEEE10hipError_tPvRmT3_T4_T5_T6_T7_T9_mT8_P12ihipStream_tbDpT10_ENKUlT_T0_E_clISt17integral_constantIbLb1EES18_IbLb0EEEEDaS14_S15_EUlS14_E_NS1_11comp_targetILNS1_3genE9ELNS1_11target_archE1100ELNS1_3gpuE3ELNS1_3repE0EEENS1_30default_config_static_selectorELNS0_4arch9wavefront6targetE1EEEvT1_
                                        ; -- End function
	.section	.AMDGPU.csdata,"",@progbits
; Kernel info:
; codeLenInByte = 0
; NumSgprs: 6
; NumVgprs: 0
; NumAgprs: 0
; TotalNumVgprs: 0
; ScratchSize: 0
; MemoryBound: 0
; FloatMode: 240
; IeeeMode: 1
; LDSByteSize: 0 bytes/workgroup (compile time only)
; SGPRBlocks: 0
; VGPRBlocks: 0
; NumSGPRsForWavesPerEU: 6
; NumVGPRsForWavesPerEU: 1
; AccumOffset: 4
; Occupancy: 8
; WaveLimiterHint : 0
; COMPUTE_PGM_RSRC2:SCRATCH_EN: 0
; COMPUTE_PGM_RSRC2:USER_SGPR: 2
; COMPUTE_PGM_RSRC2:TRAP_HANDLER: 0
; COMPUTE_PGM_RSRC2:TGID_X_EN: 1
; COMPUTE_PGM_RSRC2:TGID_Y_EN: 0
; COMPUTE_PGM_RSRC2:TGID_Z_EN: 0
; COMPUTE_PGM_RSRC2:TIDIG_COMP_CNT: 0
; COMPUTE_PGM_RSRC3_GFX90A:ACCUM_OFFSET: 0
; COMPUTE_PGM_RSRC3_GFX90A:TG_SPLIT: 0
	.section	.text._ZN7rocprim17ROCPRIM_400000_NS6detail17trampoline_kernelINS0_14default_configENS1_25partition_config_selectorILNS1_17partition_subalgoE0EtNS0_10empty_typeEbEEZZNS1_14partition_implILS5_0ELb0ES3_jN6thrust23THRUST_200600_302600_NS6detail15normal_iteratorINSA_10device_ptrItEEEEPS6_SG_NS0_5tupleIJSF_NSA_16discard_iteratorINSA_11use_defaultEEEEEENSH_IJSG_SG_EEES6_PlJ7is_evenItEEEE10hipError_tPvRmT3_T4_T5_T6_T7_T9_mT8_P12ihipStream_tbDpT10_ENKUlT_T0_E_clISt17integral_constantIbLb1EES18_IbLb0EEEEDaS14_S15_EUlS14_E_NS1_11comp_targetILNS1_3genE8ELNS1_11target_archE1030ELNS1_3gpuE2ELNS1_3repE0EEENS1_30default_config_static_selectorELNS0_4arch9wavefront6targetE1EEEvT1_,"axG",@progbits,_ZN7rocprim17ROCPRIM_400000_NS6detail17trampoline_kernelINS0_14default_configENS1_25partition_config_selectorILNS1_17partition_subalgoE0EtNS0_10empty_typeEbEEZZNS1_14partition_implILS5_0ELb0ES3_jN6thrust23THRUST_200600_302600_NS6detail15normal_iteratorINSA_10device_ptrItEEEEPS6_SG_NS0_5tupleIJSF_NSA_16discard_iteratorINSA_11use_defaultEEEEEENSH_IJSG_SG_EEES6_PlJ7is_evenItEEEE10hipError_tPvRmT3_T4_T5_T6_T7_T9_mT8_P12ihipStream_tbDpT10_ENKUlT_T0_E_clISt17integral_constantIbLb1EES18_IbLb0EEEEDaS14_S15_EUlS14_E_NS1_11comp_targetILNS1_3genE8ELNS1_11target_archE1030ELNS1_3gpuE2ELNS1_3repE0EEENS1_30default_config_static_selectorELNS0_4arch9wavefront6targetE1EEEvT1_,comdat
	.protected	_ZN7rocprim17ROCPRIM_400000_NS6detail17trampoline_kernelINS0_14default_configENS1_25partition_config_selectorILNS1_17partition_subalgoE0EtNS0_10empty_typeEbEEZZNS1_14partition_implILS5_0ELb0ES3_jN6thrust23THRUST_200600_302600_NS6detail15normal_iteratorINSA_10device_ptrItEEEEPS6_SG_NS0_5tupleIJSF_NSA_16discard_iteratorINSA_11use_defaultEEEEEENSH_IJSG_SG_EEES6_PlJ7is_evenItEEEE10hipError_tPvRmT3_T4_T5_T6_T7_T9_mT8_P12ihipStream_tbDpT10_ENKUlT_T0_E_clISt17integral_constantIbLb1EES18_IbLb0EEEEDaS14_S15_EUlS14_E_NS1_11comp_targetILNS1_3genE8ELNS1_11target_archE1030ELNS1_3gpuE2ELNS1_3repE0EEENS1_30default_config_static_selectorELNS0_4arch9wavefront6targetE1EEEvT1_ ; -- Begin function _ZN7rocprim17ROCPRIM_400000_NS6detail17trampoline_kernelINS0_14default_configENS1_25partition_config_selectorILNS1_17partition_subalgoE0EtNS0_10empty_typeEbEEZZNS1_14partition_implILS5_0ELb0ES3_jN6thrust23THRUST_200600_302600_NS6detail15normal_iteratorINSA_10device_ptrItEEEEPS6_SG_NS0_5tupleIJSF_NSA_16discard_iteratorINSA_11use_defaultEEEEEENSH_IJSG_SG_EEES6_PlJ7is_evenItEEEE10hipError_tPvRmT3_T4_T5_T6_T7_T9_mT8_P12ihipStream_tbDpT10_ENKUlT_T0_E_clISt17integral_constantIbLb1EES18_IbLb0EEEEDaS14_S15_EUlS14_E_NS1_11comp_targetILNS1_3genE8ELNS1_11target_archE1030ELNS1_3gpuE2ELNS1_3repE0EEENS1_30default_config_static_selectorELNS0_4arch9wavefront6targetE1EEEvT1_
	.globl	_ZN7rocprim17ROCPRIM_400000_NS6detail17trampoline_kernelINS0_14default_configENS1_25partition_config_selectorILNS1_17partition_subalgoE0EtNS0_10empty_typeEbEEZZNS1_14partition_implILS5_0ELb0ES3_jN6thrust23THRUST_200600_302600_NS6detail15normal_iteratorINSA_10device_ptrItEEEEPS6_SG_NS0_5tupleIJSF_NSA_16discard_iteratorINSA_11use_defaultEEEEEENSH_IJSG_SG_EEES6_PlJ7is_evenItEEEE10hipError_tPvRmT3_T4_T5_T6_T7_T9_mT8_P12ihipStream_tbDpT10_ENKUlT_T0_E_clISt17integral_constantIbLb1EES18_IbLb0EEEEDaS14_S15_EUlS14_E_NS1_11comp_targetILNS1_3genE8ELNS1_11target_archE1030ELNS1_3gpuE2ELNS1_3repE0EEENS1_30default_config_static_selectorELNS0_4arch9wavefront6targetE1EEEvT1_
	.p2align	8
	.type	_ZN7rocprim17ROCPRIM_400000_NS6detail17trampoline_kernelINS0_14default_configENS1_25partition_config_selectorILNS1_17partition_subalgoE0EtNS0_10empty_typeEbEEZZNS1_14partition_implILS5_0ELb0ES3_jN6thrust23THRUST_200600_302600_NS6detail15normal_iteratorINSA_10device_ptrItEEEEPS6_SG_NS0_5tupleIJSF_NSA_16discard_iteratorINSA_11use_defaultEEEEEENSH_IJSG_SG_EEES6_PlJ7is_evenItEEEE10hipError_tPvRmT3_T4_T5_T6_T7_T9_mT8_P12ihipStream_tbDpT10_ENKUlT_T0_E_clISt17integral_constantIbLb1EES18_IbLb0EEEEDaS14_S15_EUlS14_E_NS1_11comp_targetILNS1_3genE8ELNS1_11target_archE1030ELNS1_3gpuE2ELNS1_3repE0EEENS1_30default_config_static_selectorELNS0_4arch9wavefront6targetE1EEEvT1_,@function
_ZN7rocprim17ROCPRIM_400000_NS6detail17trampoline_kernelINS0_14default_configENS1_25partition_config_selectorILNS1_17partition_subalgoE0EtNS0_10empty_typeEbEEZZNS1_14partition_implILS5_0ELb0ES3_jN6thrust23THRUST_200600_302600_NS6detail15normal_iteratorINSA_10device_ptrItEEEEPS6_SG_NS0_5tupleIJSF_NSA_16discard_iteratorINSA_11use_defaultEEEEEENSH_IJSG_SG_EEES6_PlJ7is_evenItEEEE10hipError_tPvRmT3_T4_T5_T6_T7_T9_mT8_P12ihipStream_tbDpT10_ENKUlT_T0_E_clISt17integral_constantIbLb1EES18_IbLb0EEEEDaS14_S15_EUlS14_E_NS1_11comp_targetILNS1_3genE8ELNS1_11target_archE1030ELNS1_3gpuE2ELNS1_3repE0EEENS1_30default_config_static_selectorELNS0_4arch9wavefront6targetE1EEEvT1_: ; @_ZN7rocprim17ROCPRIM_400000_NS6detail17trampoline_kernelINS0_14default_configENS1_25partition_config_selectorILNS1_17partition_subalgoE0EtNS0_10empty_typeEbEEZZNS1_14partition_implILS5_0ELb0ES3_jN6thrust23THRUST_200600_302600_NS6detail15normal_iteratorINSA_10device_ptrItEEEEPS6_SG_NS0_5tupleIJSF_NSA_16discard_iteratorINSA_11use_defaultEEEEEENSH_IJSG_SG_EEES6_PlJ7is_evenItEEEE10hipError_tPvRmT3_T4_T5_T6_T7_T9_mT8_P12ihipStream_tbDpT10_ENKUlT_T0_E_clISt17integral_constantIbLb1EES18_IbLb0EEEEDaS14_S15_EUlS14_E_NS1_11comp_targetILNS1_3genE8ELNS1_11target_archE1030ELNS1_3gpuE2ELNS1_3repE0EEENS1_30default_config_static_selectorELNS0_4arch9wavefront6targetE1EEEvT1_
; %bb.0:
	.section	.rodata,"a",@progbits
	.p2align	6, 0x0
	.amdhsa_kernel _ZN7rocprim17ROCPRIM_400000_NS6detail17trampoline_kernelINS0_14default_configENS1_25partition_config_selectorILNS1_17partition_subalgoE0EtNS0_10empty_typeEbEEZZNS1_14partition_implILS5_0ELb0ES3_jN6thrust23THRUST_200600_302600_NS6detail15normal_iteratorINSA_10device_ptrItEEEEPS6_SG_NS0_5tupleIJSF_NSA_16discard_iteratorINSA_11use_defaultEEEEEENSH_IJSG_SG_EEES6_PlJ7is_evenItEEEE10hipError_tPvRmT3_T4_T5_T6_T7_T9_mT8_P12ihipStream_tbDpT10_ENKUlT_T0_E_clISt17integral_constantIbLb1EES18_IbLb0EEEEDaS14_S15_EUlS14_E_NS1_11comp_targetILNS1_3genE8ELNS1_11target_archE1030ELNS1_3gpuE2ELNS1_3repE0EEENS1_30default_config_static_selectorELNS0_4arch9wavefront6targetE1EEEvT1_
		.amdhsa_group_segment_fixed_size 0
		.amdhsa_private_segment_fixed_size 0
		.amdhsa_kernarg_size 128
		.amdhsa_user_sgpr_count 2
		.amdhsa_user_sgpr_dispatch_ptr 0
		.amdhsa_user_sgpr_queue_ptr 0
		.amdhsa_user_sgpr_kernarg_segment_ptr 1
		.amdhsa_user_sgpr_dispatch_id 0
		.amdhsa_user_sgpr_kernarg_preload_length 0
		.amdhsa_user_sgpr_kernarg_preload_offset 0
		.amdhsa_user_sgpr_private_segment_size 0
		.amdhsa_uses_dynamic_stack 0
		.amdhsa_enable_private_segment 0
		.amdhsa_system_sgpr_workgroup_id_x 1
		.amdhsa_system_sgpr_workgroup_id_y 0
		.amdhsa_system_sgpr_workgroup_id_z 0
		.amdhsa_system_sgpr_workgroup_info 0
		.amdhsa_system_vgpr_workitem_id 0
		.amdhsa_next_free_vgpr 1
		.amdhsa_next_free_sgpr 0
		.amdhsa_accum_offset 4
		.amdhsa_reserve_vcc 0
		.amdhsa_float_round_mode_32 0
		.amdhsa_float_round_mode_16_64 0
		.amdhsa_float_denorm_mode_32 3
		.amdhsa_float_denorm_mode_16_64 3
		.amdhsa_dx10_clamp 1
		.amdhsa_ieee_mode 1
		.amdhsa_fp16_overflow 0
		.amdhsa_tg_split 0
		.amdhsa_exception_fp_ieee_invalid_op 0
		.amdhsa_exception_fp_denorm_src 0
		.amdhsa_exception_fp_ieee_div_zero 0
		.amdhsa_exception_fp_ieee_overflow 0
		.amdhsa_exception_fp_ieee_underflow 0
		.amdhsa_exception_fp_ieee_inexact 0
		.amdhsa_exception_int_div_zero 0
	.end_amdhsa_kernel
	.section	.text._ZN7rocprim17ROCPRIM_400000_NS6detail17trampoline_kernelINS0_14default_configENS1_25partition_config_selectorILNS1_17partition_subalgoE0EtNS0_10empty_typeEbEEZZNS1_14partition_implILS5_0ELb0ES3_jN6thrust23THRUST_200600_302600_NS6detail15normal_iteratorINSA_10device_ptrItEEEEPS6_SG_NS0_5tupleIJSF_NSA_16discard_iteratorINSA_11use_defaultEEEEEENSH_IJSG_SG_EEES6_PlJ7is_evenItEEEE10hipError_tPvRmT3_T4_T5_T6_T7_T9_mT8_P12ihipStream_tbDpT10_ENKUlT_T0_E_clISt17integral_constantIbLb1EES18_IbLb0EEEEDaS14_S15_EUlS14_E_NS1_11comp_targetILNS1_3genE8ELNS1_11target_archE1030ELNS1_3gpuE2ELNS1_3repE0EEENS1_30default_config_static_selectorELNS0_4arch9wavefront6targetE1EEEvT1_,"axG",@progbits,_ZN7rocprim17ROCPRIM_400000_NS6detail17trampoline_kernelINS0_14default_configENS1_25partition_config_selectorILNS1_17partition_subalgoE0EtNS0_10empty_typeEbEEZZNS1_14partition_implILS5_0ELb0ES3_jN6thrust23THRUST_200600_302600_NS6detail15normal_iteratorINSA_10device_ptrItEEEEPS6_SG_NS0_5tupleIJSF_NSA_16discard_iteratorINSA_11use_defaultEEEEEENSH_IJSG_SG_EEES6_PlJ7is_evenItEEEE10hipError_tPvRmT3_T4_T5_T6_T7_T9_mT8_P12ihipStream_tbDpT10_ENKUlT_T0_E_clISt17integral_constantIbLb1EES18_IbLb0EEEEDaS14_S15_EUlS14_E_NS1_11comp_targetILNS1_3genE8ELNS1_11target_archE1030ELNS1_3gpuE2ELNS1_3repE0EEENS1_30default_config_static_selectorELNS0_4arch9wavefront6targetE1EEEvT1_,comdat
.Lfunc_end2546:
	.size	_ZN7rocprim17ROCPRIM_400000_NS6detail17trampoline_kernelINS0_14default_configENS1_25partition_config_selectorILNS1_17partition_subalgoE0EtNS0_10empty_typeEbEEZZNS1_14partition_implILS5_0ELb0ES3_jN6thrust23THRUST_200600_302600_NS6detail15normal_iteratorINSA_10device_ptrItEEEEPS6_SG_NS0_5tupleIJSF_NSA_16discard_iteratorINSA_11use_defaultEEEEEENSH_IJSG_SG_EEES6_PlJ7is_evenItEEEE10hipError_tPvRmT3_T4_T5_T6_T7_T9_mT8_P12ihipStream_tbDpT10_ENKUlT_T0_E_clISt17integral_constantIbLb1EES18_IbLb0EEEEDaS14_S15_EUlS14_E_NS1_11comp_targetILNS1_3genE8ELNS1_11target_archE1030ELNS1_3gpuE2ELNS1_3repE0EEENS1_30default_config_static_selectorELNS0_4arch9wavefront6targetE1EEEvT1_, .Lfunc_end2546-_ZN7rocprim17ROCPRIM_400000_NS6detail17trampoline_kernelINS0_14default_configENS1_25partition_config_selectorILNS1_17partition_subalgoE0EtNS0_10empty_typeEbEEZZNS1_14partition_implILS5_0ELb0ES3_jN6thrust23THRUST_200600_302600_NS6detail15normal_iteratorINSA_10device_ptrItEEEEPS6_SG_NS0_5tupleIJSF_NSA_16discard_iteratorINSA_11use_defaultEEEEEENSH_IJSG_SG_EEES6_PlJ7is_evenItEEEE10hipError_tPvRmT3_T4_T5_T6_T7_T9_mT8_P12ihipStream_tbDpT10_ENKUlT_T0_E_clISt17integral_constantIbLb1EES18_IbLb0EEEEDaS14_S15_EUlS14_E_NS1_11comp_targetILNS1_3genE8ELNS1_11target_archE1030ELNS1_3gpuE2ELNS1_3repE0EEENS1_30default_config_static_selectorELNS0_4arch9wavefront6targetE1EEEvT1_
                                        ; -- End function
	.section	.AMDGPU.csdata,"",@progbits
; Kernel info:
; codeLenInByte = 0
; NumSgprs: 6
; NumVgprs: 0
; NumAgprs: 0
; TotalNumVgprs: 0
; ScratchSize: 0
; MemoryBound: 0
; FloatMode: 240
; IeeeMode: 1
; LDSByteSize: 0 bytes/workgroup (compile time only)
; SGPRBlocks: 0
; VGPRBlocks: 0
; NumSGPRsForWavesPerEU: 6
; NumVGPRsForWavesPerEU: 1
; AccumOffset: 4
; Occupancy: 8
; WaveLimiterHint : 0
; COMPUTE_PGM_RSRC2:SCRATCH_EN: 0
; COMPUTE_PGM_RSRC2:USER_SGPR: 2
; COMPUTE_PGM_RSRC2:TRAP_HANDLER: 0
; COMPUTE_PGM_RSRC2:TGID_X_EN: 1
; COMPUTE_PGM_RSRC2:TGID_Y_EN: 0
; COMPUTE_PGM_RSRC2:TGID_Z_EN: 0
; COMPUTE_PGM_RSRC2:TIDIG_COMP_CNT: 0
; COMPUTE_PGM_RSRC3_GFX90A:ACCUM_OFFSET: 0
; COMPUTE_PGM_RSRC3_GFX90A:TG_SPLIT: 0
	.section	.text._ZN7rocprim17ROCPRIM_400000_NS6detail17trampoline_kernelINS0_14default_configENS1_25partition_config_selectorILNS1_17partition_subalgoE0EtNS0_10empty_typeEbEEZZNS1_14partition_implILS5_0ELb0ES3_jN6thrust23THRUST_200600_302600_NS6detail15normal_iteratorINSA_10device_ptrItEEEEPS6_SG_NS0_5tupleIJSF_NSA_16discard_iteratorINSA_11use_defaultEEEEEENSH_IJSG_SG_EEES6_PlJ7is_evenItEEEE10hipError_tPvRmT3_T4_T5_T6_T7_T9_mT8_P12ihipStream_tbDpT10_ENKUlT_T0_E_clISt17integral_constantIbLb0EES18_IbLb1EEEEDaS14_S15_EUlS14_E_NS1_11comp_targetILNS1_3genE0ELNS1_11target_archE4294967295ELNS1_3gpuE0ELNS1_3repE0EEENS1_30default_config_static_selectorELNS0_4arch9wavefront6targetE1EEEvT1_,"axG",@progbits,_ZN7rocprim17ROCPRIM_400000_NS6detail17trampoline_kernelINS0_14default_configENS1_25partition_config_selectorILNS1_17partition_subalgoE0EtNS0_10empty_typeEbEEZZNS1_14partition_implILS5_0ELb0ES3_jN6thrust23THRUST_200600_302600_NS6detail15normal_iteratorINSA_10device_ptrItEEEEPS6_SG_NS0_5tupleIJSF_NSA_16discard_iteratorINSA_11use_defaultEEEEEENSH_IJSG_SG_EEES6_PlJ7is_evenItEEEE10hipError_tPvRmT3_T4_T5_T6_T7_T9_mT8_P12ihipStream_tbDpT10_ENKUlT_T0_E_clISt17integral_constantIbLb0EES18_IbLb1EEEEDaS14_S15_EUlS14_E_NS1_11comp_targetILNS1_3genE0ELNS1_11target_archE4294967295ELNS1_3gpuE0ELNS1_3repE0EEENS1_30default_config_static_selectorELNS0_4arch9wavefront6targetE1EEEvT1_,comdat
	.protected	_ZN7rocprim17ROCPRIM_400000_NS6detail17trampoline_kernelINS0_14default_configENS1_25partition_config_selectorILNS1_17partition_subalgoE0EtNS0_10empty_typeEbEEZZNS1_14partition_implILS5_0ELb0ES3_jN6thrust23THRUST_200600_302600_NS6detail15normal_iteratorINSA_10device_ptrItEEEEPS6_SG_NS0_5tupleIJSF_NSA_16discard_iteratorINSA_11use_defaultEEEEEENSH_IJSG_SG_EEES6_PlJ7is_evenItEEEE10hipError_tPvRmT3_T4_T5_T6_T7_T9_mT8_P12ihipStream_tbDpT10_ENKUlT_T0_E_clISt17integral_constantIbLb0EES18_IbLb1EEEEDaS14_S15_EUlS14_E_NS1_11comp_targetILNS1_3genE0ELNS1_11target_archE4294967295ELNS1_3gpuE0ELNS1_3repE0EEENS1_30default_config_static_selectorELNS0_4arch9wavefront6targetE1EEEvT1_ ; -- Begin function _ZN7rocprim17ROCPRIM_400000_NS6detail17trampoline_kernelINS0_14default_configENS1_25partition_config_selectorILNS1_17partition_subalgoE0EtNS0_10empty_typeEbEEZZNS1_14partition_implILS5_0ELb0ES3_jN6thrust23THRUST_200600_302600_NS6detail15normal_iteratorINSA_10device_ptrItEEEEPS6_SG_NS0_5tupleIJSF_NSA_16discard_iteratorINSA_11use_defaultEEEEEENSH_IJSG_SG_EEES6_PlJ7is_evenItEEEE10hipError_tPvRmT3_T4_T5_T6_T7_T9_mT8_P12ihipStream_tbDpT10_ENKUlT_T0_E_clISt17integral_constantIbLb0EES18_IbLb1EEEEDaS14_S15_EUlS14_E_NS1_11comp_targetILNS1_3genE0ELNS1_11target_archE4294967295ELNS1_3gpuE0ELNS1_3repE0EEENS1_30default_config_static_selectorELNS0_4arch9wavefront6targetE1EEEvT1_
	.globl	_ZN7rocprim17ROCPRIM_400000_NS6detail17trampoline_kernelINS0_14default_configENS1_25partition_config_selectorILNS1_17partition_subalgoE0EtNS0_10empty_typeEbEEZZNS1_14partition_implILS5_0ELb0ES3_jN6thrust23THRUST_200600_302600_NS6detail15normal_iteratorINSA_10device_ptrItEEEEPS6_SG_NS0_5tupleIJSF_NSA_16discard_iteratorINSA_11use_defaultEEEEEENSH_IJSG_SG_EEES6_PlJ7is_evenItEEEE10hipError_tPvRmT3_T4_T5_T6_T7_T9_mT8_P12ihipStream_tbDpT10_ENKUlT_T0_E_clISt17integral_constantIbLb0EES18_IbLb1EEEEDaS14_S15_EUlS14_E_NS1_11comp_targetILNS1_3genE0ELNS1_11target_archE4294967295ELNS1_3gpuE0ELNS1_3repE0EEENS1_30default_config_static_selectorELNS0_4arch9wavefront6targetE1EEEvT1_
	.p2align	8
	.type	_ZN7rocprim17ROCPRIM_400000_NS6detail17trampoline_kernelINS0_14default_configENS1_25partition_config_selectorILNS1_17partition_subalgoE0EtNS0_10empty_typeEbEEZZNS1_14partition_implILS5_0ELb0ES3_jN6thrust23THRUST_200600_302600_NS6detail15normal_iteratorINSA_10device_ptrItEEEEPS6_SG_NS0_5tupleIJSF_NSA_16discard_iteratorINSA_11use_defaultEEEEEENSH_IJSG_SG_EEES6_PlJ7is_evenItEEEE10hipError_tPvRmT3_T4_T5_T6_T7_T9_mT8_P12ihipStream_tbDpT10_ENKUlT_T0_E_clISt17integral_constantIbLb0EES18_IbLb1EEEEDaS14_S15_EUlS14_E_NS1_11comp_targetILNS1_3genE0ELNS1_11target_archE4294967295ELNS1_3gpuE0ELNS1_3repE0EEENS1_30default_config_static_selectorELNS0_4arch9wavefront6targetE1EEEvT1_,@function
_ZN7rocprim17ROCPRIM_400000_NS6detail17trampoline_kernelINS0_14default_configENS1_25partition_config_selectorILNS1_17partition_subalgoE0EtNS0_10empty_typeEbEEZZNS1_14partition_implILS5_0ELb0ES3_jN6thrust23THRUST_200600_302600_NS6detail15normal_iteratorINSA_10device_ptrItEEEEPS6_SG_NS0_5tupleIJSF_NSA_16discard_iteratorINSA_11use_defaultEEEEEENSH_IJSG_SG_EEES6_PlJ7is_evenItEEEE10hipError_tPvRmT3_T4_T5_T6_T7_T9_mT8_P12ihipStream_tbDpT10_ENKUlT_T0_E_clISt17integral_constantIbLb0EES18_IbLb1EEEEDaS14_S15_EUlS14_E_NS1_11comp_targetILNS1_3genE0ELNS1_11target_archE4294967295ELNS1_3gpuE0ELNS1_3repE0EEENS1_30default_config_static_selectorELNS0_4arch9wavefront6targetE1EEEvT1_: ; @_ZN7rocprim17ROCPRIM_400000_NS6detail17trampoline_kernelINS0_14default_configENS1_25partition_config_selectorILNS1_17partition_subalgoE0EtNS0_10empty_typeEbEEZZNS1_14partition_implILS5_0ELb0ES3_jN6thrust23THRUST_200600_302600_NS6detail15normal_iteratorINSA_10device_ptrItEEEEPS6_SG_NS0_5tupleIJSF_NSA_16discard_iteratorINSA_11use_defaultEEEEEENSH_IJSG_SG_EEES6_PlJ7is_evenItEEEE10hipError_tPvRmT3_T4_T5_T6_T7_T9_mT8_P12ihipStream_tbDpT10_ENKUlT_T0_E_clISt17integral_constantIbLb0EES18_IbLb1EEEEDaS14_S15_EUlS14_E_NS1_11comp_targetILNS1_3genE0ELNS1_11target_archE4294967295ELNS1_3gpuE0ELNS1_3repE0EEENS1_30default_config_static_selectorELNS0_4arch9wavefront6targetE1EEEvT1_
; %bb.0:
	.section	.rodata,"a",@progbits
	.p2align	6, 0x0
	.amdhsa_kernel _ZN7rocprim17ROCPRIM_400000_NS6detail17trampoline_kernelINS0_14default_configENS1_25partition_config_selectorILNS1_17partition_subalgoE0EtNS0_10empty_typeEbEEZZNS1_14partition_implILS5_0ELb0ES3_jN6thrust23THRUST_200600_302600_NS6detail15normal_iteratorINSA_10device_ptrItEEEEPS6_SG_NS0_5tupleIJSF_NSA_16discard_iteratorINSA_11use_defaultEEEEEENSH_IJSG_SG_EEES6_PlJ7is_evenItEEEE10hipError_tPvRmT3_T4_T5_T6_T7_T9_mT8_P12ihipStream_tbDpT10_ENKUlT_T0_E_clISt17integral_constantIbLb0EES18_IbLb1EEEEDaS14_S15_EUlS14_E_NS1_11comp_targetILNS1_3genE0ELNS1_11target_archE4294967295ELNS1_3gpuE0ELNS1_3repE0EEENS1_30default_config_static_selectorELNS0_4arch9wavefront6targetE1EEEvT1_
		.amdhsa_group_segment_fixed_size 0
		.amdhsa_private_segment_fixed_size 0
		.amdhsa_kernarg_size 144
		.amdhsa_user_sgpr_count 2
		.amdhsa_user_sgpr_dispatch_ptr 0
		.amdhsa_user_sgpr_queue_ptr 0
		.amdhsa_user_sgpr_kernarg_segment_ptr 1
		.amdhsa_user_sgpr_dispatch_id 0
		.amdhsa_user_sgpr_kernarg_preload_length 0
		.amdhsa_user_sgpr_kernarg_preload_offset 0
		.amdhsa_user_sgpr_private_segment_size 0
		.amdhsa_uses_dynamic_stack 0
		.amdhsa_enable_private_segment 0
		.amdhsa_system_sgpr_workgroup_id_x 1
		.amdhsa_system_sgpr_workgroup_id_y 0
		.amdhsa_system_sgpr_workgroup_id_z 0
		.amdhsa_system_sgpr_workgroup_info 0
		.amdhsa_system_vgpr_workitem_id 0
		.amdhsa_next_free_vgpr 1
		.amdhsa_next_free_sgpr 0
		.amdhsa_accum_offset 4
		.amdhsa_reserve_vcc 0
		.amdhsa_float_round_mode_32 0
		.amdhsa_float_round_mode_16_64 0
		.amdhsa_float_denorm_mode_32 3
		.amdhsa_float_denorm_mode_16_64 3
		.amdhsa_dx10_clamp 1
		.amdhsa_ieee_mode 1
		.amdhsa_fp16_overflow 0
		.amdhsa_tg_split 0
		.amdhsa_exception_fp_ieee_invalid_op 0
		.amdhsa_exception_fp_denorm_src 0
		.amdhsa_exception_fp_ieee_div_zero 0
		.amdhsa_exception_fp_ieee_overflow 0
		.amdhsa_exception_fp_ieee_underflow 0
		.amdhsa_exception_fp_ieee_inexact 0
		.amdhsa_exception_int_div_zero 0
	.end_amdhsa_kernel
	.section	.text._ZN7rocprim17ROCPRIM_400000_NS6detail17trampoline_kernelINS0_14default_configENS1_25partition_config_selectorILNS1_17partition_subalgoE0EtNS0_10empty_typeEbEEZZNS1_14partition_implILS5_0ELb0ES3_jN6thrust23THRUST_200600_302600_NS6detail15normal_iteratorINSA_10device_ptrItEEEEPS6_SG_NS0_5tupleIJSF_NSA_16discard_iteratorINSA_11use_defaultEEEEEENSH_IJSG_SG_EEES6_PlJ7is_evenItEEEE10hipError_tPvRmT3_T4_T5_T6_T7_T9_mT8_P12ihipStream_tbDpT10_ENKUlT_T0_E_clISt17integral_constantIbLb0EES18_IbLb1EEEEDaS14_S15_EUlS14_E_NS1_11comp_targetILNS1_3genE0ELNS1_11target_archE4294967295ELNS1_3gpuE0ELNS1_3repE0EEENS1_30default_config_static_selectorELNS0_4arch9wavefront6targetE1EEEvT1_,"axG",@progbits,_ZN7rocprim17ROCPRIM_400000_NS6detail17trampoline_kernelINS0_14default_configENS1_25partition_config_selectorILNS1_17partition_subalgoE0EtNS0_10empty_typeEbEEZZNS1_14partition_implILS5_0ELb0ES3_jN6thrust23THRUST_200600_302600_NS6detail15normal_iteratorINSA_10device_ptrItEEEEPS6_SG_NS0_5tupleIJSF_NSA_16discard_iteratorINSA_11use_defaultEEEEEENSH_IJSG_SG_EEES6_PlJ7is_evenItEEEE10hipError_tPvRmT3_T4_T5_T6_T7_T9_mT8_P12ihipStream_tbDpT10_ENKUlT_T0_E_clISt17integral_constantIbLb0EES18_IbLb1EEEEDaS14_S15_EUlS14_E_NS1_11comp_targetILNS1_3genE0ELNS1_11target_archE4294967295ELNS1_3gpuE0ELNS1_3repE0EEENS1_30default_config_static_selectorELNS0_4arch9wavefront6targetE1EEEvT1_,comdat
.Lfunc_end2547:
	.size	_ZN7rocprim17ROCPRIM_400000_NS6detail17trampoline_kernelINS0_14default_configENS1_25partition_config_selectorILNS1_17partition_subalgoE0EtNS0_10empty_typeEbEEZZNS1_14partition_implILS5_0ELb0ES3_jN6thrust23THRUST_200600_302600_NS6detail15normal_iteratorINSA_10device_ptrItEEEEPS6_SG_NS0_5tupleIJSF_NSA_16discard_iteratorINSA_11use_defaultEEEEEENSH_IJSG_SG_EEES6_PlJ7is_evenItEEEE10hipError_tPvRmT3_T4_T5_T6_T7_T9_mT8_P12ihipStream_tbDpT10_ENKUlT_T0_E_clISt17integral_constantIbLb0EES18_IbLb1EEEEDaS14_S15_EUlS14_E_NS1_11comp_targetILNS1_3genE0ELNS1_11target_archE4294967295ELNS1_3gpuE0ELNS1_3repE0EEENS1_30default_config_static_selectorELNS0_4arch9wavefront6targetE1EEEvT1_, .Lfunc_end2547-_ZN7rocprim17ROCPRIM_400000_NS6detail17trampoline_kernelINS0_14default_configENS1_25partition_config_selectorILNS1_17partition_subalgoE0EtNS0_10empty_typeEbEEZZNS1_14partition_implILS5_0ELb0ES3_jN6thrust23THRUST_200600_302600_NS6detail15normal_iteratorINSA_10device_ptrItEEEEPS6_SG_NS0_5tupleIJSF_NSA_16discard_iteratorINSA_11use_defaultEEEEEENSH_IJSG_SG_EEES6_PlJ7is_evenItEEEE10hipError_tPvRmT3_T4_T5_T6_T7_T9_mT8_P12ihipStream_tbDpT10_ENKUlT_T0_E_clISt17integral_constantIbLb0EES18_IbLb1EEEEDaS14_S15_EUlS14_E_NS1_11comp_targetILNS1_3genE0ELNS1_11target_archE4294967295ELNS1_3gpuE0ELNS1_3repE0EEENS1_30default_config_static_selectorELNS0_4arch9wavefront6targetE1EEEvT1_
                                        ; -- End function
	.section	.AMDGPU.csdata,"",@progbits
; Kernel info:
; codeLenInByte = 0
; NumSgprs: 6
; NumVgprs: 0
; NumAgprs: 0
; TotalNumVgprs: 0
; ScratchSize: 0
; MemoryBound: 0
; FloatMode: 240
; IeeeMode: 1
; LDSByteSize: 0 bytes/workgroup (compile time only)
; SGPRBlocks: 0
; VGPRBlocks: 0
; NumSGPRsForWavesPerEU: 6
; NumVGPRsForWavesPerEU: 1
; AccumOffset: 4
; Occupancy: 8
; WaveLimiterHint : 0
; COMPUTE_PGM_RSRC2:SCRATCH_EN: 0
; COMPUTE_PGM_RSRC2:USER_SGPR: 2
; COMPUTE_PGM_RSRC2:TRAP_HANDLER: 0
; COMPUTE_PGM_RSRC2:TGID_X_EN: 1
; COMPUTE_PGM_RSRC2:TGID_Y_EN: 0
; COMPUTE_PGM_RSRC2:TGID_Z_EN: 0
; COMPUTE_PGM_RSRC2:TIDIG_COMP_CNT: 0
; COMPUTE_PGM_RSRC3_GFX90A:ACCUM_OFFSET: 0
; COMPUTE_PGM_RSRC3_GFX90A:TG_SPLIT: 0
	.section	.text._ZN7rocprim17ROCPRIM_400000_NS6detail17trampoline_kernelINS0_14default_configENS1_25partition_config_selectorILNS1_17partition_subalgoE0EtNS0_10empty_typeEbEEZZNS1_14partition_implILS5_0ELb0ES3_jN6thrust23THRUST_200600_302600_NS6detail15normal_iteratorINSA_10device_ptrItEEEEPS6_SG_NS0_5tupleIJSF_NSA_16discard_iteratorINSA_11use_defaultEEEEEENSH_IJSG_SG_EEES6_PlJ7is_evenItEEEE10hipError_tPvRmT3_T4_T5_T6_T7_T9_mT8_P12ihipStream_tbDpT10_ENKUlT_T0_E_clISt17integral_constantIbLb0EES18_IbLb1EEEEDaS14_S15_EUlS14_E_NS1_11comp_targetILNS1_3genE5ELNS1_11target_archE942ELNS1_3gpuE9ELNS1_3repE0EEENS1_30default_config_static_selectorELNS0_4arch9wavefront6targetE1EEEvT1_,"axG",@progbits,_ZN7rocprim17ROCPRIM_400000_NS6detail17trampoline_kernelINS0_14default_configENS1_25partition_config_selectorILNS1_17partition_subalgoE0EtNS0_10empty_typeEbEEZZNS1_14partition_implILS5_0ELb0ES3_jN6thrust23THRUST_200600_302600_NS6detail15normal_iteratorINSA_10device_ptrItEEEEPS6_SG_NS0_5tupleIJSF_NSA_16discard_iteratorINSA_11use_defaultEEEEEENSH_IJSG_SG_EEES6_PlJ7is_evenItEEEE10hipError_tPvRmT3_T4_T5_T6_T7_T9_mT8_P12ihipStream_tbDpT10_ENKUlT_T0_E_clISt17integral_constantIbLb0EES18_IbLb1EEEEDaS14_S15_EUlS14_E_NS1_11comp_targetILNS1_3genE5ELNS1_11target_archE942ELNS1_3gpuE9ELNS1_3repE0EEENS1_30default_config_static_selectorELNS0_4arch9wavefront6targetE1EEEvT1_,comdat
	.protected	_ZN7rocprim17ROCPRIM_400000_NS6detail17trampoline_kernelINS0_14default_configENS1_25partition_config_selectorILNS1_17partition_subalgoE0EtNS0_10empty_typeEbEEZZNS1_14partition_implILS5_0ELb0ES3_jN6thrust23THRUST_200600_302600_NS6detail15normal_iteratorINSA_10device_ptrItEEEEPS6_SG_NS0_5tupleIJSF_NSA_16discard_iteratorINSA_11use_defaultEEEEEENSH_IJSG_SG_EEES6_PlJ7is_evenItEEEE10hipError_tPvRmT3_T4_T5_T6_T7_T9_mT8_P12ihipStream_tbDpT10_ENKUlT_T0_E_clISt17integral_constantIbLb0EES18_IbLb1EEEEDaS14_S15_EUlS14_E_NS1_11comp_targetILNS1_3genE5ELNS1_11target_archE942ELNS1_3gpuE9ELNS1_3repE0EEENS1_30default_config_static_selectorELNS0_4arch9wavefront6targetE1EEEvT1_ ; -- Begin function _ZN7rocprim17ROCPRIM_400000_NS6detail17trampoline_kernelINS0_14default_configENS1_25partition_config_selectorILNS1_17partition_subalgoE0EtNS0_10empty_typeEbEEZZNS1_14partition_implILS5_0ELb0ES3_jN6thrust23THRUST_200600_302600_NS6detail15normal_iteratorINSA_10device_ptrItEEEEPS6_SG_NS0_5tupleIJSF_NSA_16discard_iteratorINSA_11use_defaultEEEEEENSH_IJSG_SG_EEES6_PlJ7is_evenItEEEE10hipError_tPvRmT3_T4_T5_T6_T7_T9_mT8_P12ihipStream_tbDpT10_ENKUlT_T0_E_clISt17integral_constantIbLb0EES18_IbLb1EEEEDaS14_S15_EUlS14_E_NS1_11comp_targetILNS1_3genE5ELNS1_11target_archE942ELNS1_3gpuE9ELNS1_3repE0EEENS1_30default_config_static_selectorELNS0_4arch9wavefront6targetE1EEEvT1_
	.globl	_ZN7rocprim17ROCPRIM_400000_NS6detail17trampoline_kernelINS0_14default_configENS1_25partition_config_selectorILNS1_17partition_subalgoE0EtNS0_10empty_typeEbEEZZNS1_14partition_implILS5_0ELb0ES3_jN6thrust23THRUST_200600_302600_NS6detail15normal_iteratorINSA_10device_ptrItEEEEPS6_SG_NS0_5tupleIJSF_NSA_16discard_iteratorINSA_11use_defaultEEEEEENSH_IJSG_SG_EEES6_PlJ7is_evenItEEEE10hipError_tPvRmT3_T4_T5_T6_T7_T9_mT8_P12ihipStream_tbDpT10_ENKUlT_T0_E_clISt17integral_constantIbLb0EES18_IbLb1EEEEDaS14_S15_EUlS14_E_NS1_11comp_targetILNS1_3genE5ELNS1_11target_archE942ELNS1_3gpuE9ELNS1_3repE0EEENS1_30default_config_static_selectorELNS0_4arch9wavefront6targetE1EEEvT1_
	.p2align	8
	.type	_ZN7rocprim17ROCPRIM_400000_NS6detail17trampoline_kernelINS0_14default_configENS1_25partition_config_selectorILNS1_17partition_subalgoE0EtNS0_10empty_typeEbEEZZNS1_14partition_implILS5_0ELb0ES3_jN6thrust23THRUST_200600_302600_NS6detail15normal_iteratorINSA_10device_ptrItEEEEPS6_SG_NS0_5tupleIJSF_NSA_16discard_iteratorINSA_11use_defaultEEEEEENSH_IJSG_SG_EEES6_PlJ7is_evenItEEEE10hipError_tPvRmT3_T4_T5_T6_T7_T9_mT8_P12ihipStream_tbDpT10_ENKUlT_T0_E_clISt17integral_constantIbLb0EES18_IbLb1EEEEDaS14_S15_EUlS14_E_NS1_11comp_targetILNS1_3genE5ELNS1_11target_archE942ELNS1_3gpuE9ELNS1_3repE0EEENS1_30default_config_static_selectorELNS0_4arch9wavefront6targetE1EEEvT1_,@function
_ZN7rocprim17ROCPRIM_400000_NS6detail17trampoline_kernelINS0_14default_configENS1_25partition_config_selectorILNS1_17partition_subalgoE0EtNS0_10empty_typeEbEEZZNS1_14partition_implILS5_0ELb0ES3_jN6thrust23THRUST_200600_302600_NS6detail15normal_iteratorINSA_10device_ptrItEEEEPS6_SG_NS0_5tupleIJSF_NSA_16discard_iteratorINSA_11use_defaultEEEEEENSH_IJSG_SG_EEES6_PlJ7is_evenItEEEE10hipError_tPvRmT3_T4_T5_T6_T7_T9_mT8_P12ihipStream_tbDpT10_ENKUlT_T0_E_clISt17integral_constantIbLb0EES18_IbLb1EEEEDaS14_S15_EUlS14_E_NS1_11comp_targetILNS1_3genE5ELNS1_11target_archE942ELNS1_3gpuE9ELNS1_3repE0EEENS1_30default_config_static_selectorELNS0_4arch9wavefront6targetE1EEEvT1_: ; @_ZN7rocprim17ROCPRIM_400000_NS6detail17trampoline_kernelINS0_14default_configENS1_25partition_config_selectorILNS1_17partition_subalgoE0EtNS0_10empty_typeEbEEZZNS1_14partition_implILS5_0ELb0ES3_jN6thrust23THRUST_200600_302600_NS6detail15normal_iteratorINSA_10device_ptrItEEEEPS6_SG_NS0_5tupleIJSF_NSA_16discard_iteratorINSA_11use_defaultEEEEEENSH_IJSG_SG_EEES6_PlJ7is_evenItEEEE10hipError_tPvRmT3_T4_T5_T6_T7_T9_mT8_P12ihipStream_tbDpT10_ENKUlT_T0_E_clISt17integral_constantIbLb0EES18_IbLb1EEEEDaS14_S15_EUlS14_E_NS1_11comp_targetILNS1_3genE5ELNS1_11target_archE942ELNS1_3gpuE9ELNS1_3repE0EEENS1_30default_config_static_selectorELNS0_4arch9wavefront6targetE1EEEvT1_
; %bb.0:
	s_load_dwordx2 s[2:3], s[0:1], 0x60
	s_load_dwordx4 s[24:27], s[0:1], 0x50
	s_load_dwordx2 s[30:31], s[0:1], 0x70
	v_cmp_eq_u32_e64 s[20:21], 0, v0
	s_and_saveexec_b64 s[4:5], s[20:21]
	s_cbranch_execz .LBB2548_4
; %bb.1:
	s_mov_b64 s[8:9], exec
	v_mbcnt_lo_u32_b32 v1, s8, 0
	v_mbcnt_hi_u32_b32 v1, s9, v1
	v_cmp_eq_u32_e32 vcc, 0, v1
                                        ; implicit-def: $vgpr2
	s_and_saveexec_b64 s[6:7], vcc
	s_cbranch_execz .LBB2548_3
; %bb.2:
	s_load_dwordx2 s[10:11], s[0:1], 0x80
	s_bcnt1_i32_b64 s8, s[8:9]
	v_mov_b32_e32 v2, 0
	v_mov_b32_e32 v3, s8
	s_waitcnt lgkmcnt(0)
	global_atomic_add v2, v2, v3, s[10:11] sc0
.LBB2548_3:
	s_or_b64 exec, exec, s[6:7]
	s_waitcnt vmcnt(0)
	v_readfirstlane_b32 s6, v2
	v_mov_b32_e32 v2, 0
	s_nop 0
	v_add_u32_e32 v1, s6, v1
	ds_write_b32 v2, v1
.LBB2548_4:
	s_or_b64 exec, exec, s[4:5]
	v_mov_b32_e32 v5, 0
	s_load_dwordx4 s[4:7], s[0:1], 0x8
	s_load_dwordx2 s[28:29], s[0:1], 0x28
	s_load_dword s8, s[0:1], 0x78
	s_waitcnt lgkmcnt(0)
	s_barrier
	ds_read_b32 v1, v5
	s_waitcnt lgkmcnt(0)
	s_barrier
	global_load_dwordx2 v[2:3], v5, s[26:27]
	s_lshl_b64 s[0:1], s[6:7], 1
	s_add_u32 s4, s4, s0
	s_movk_i32 s0, 0x3c00
	v_mul_lo_u32 v4, v1, s0
	s_mul_i32 s0, s8, 0x3c00
	s_addc_u32 s5, s5, s1
	s_add_i32 s1, s0, s6
	v_mov_b32_e32 v7, s3
	s_add_i32 s3, s8, -1
	s_sub_i32 s33, s2, s1
	s_add_u32 s0, s6, s0
	v_readfirstlane_b32 s36, v1
	s_addc_u32 s1, s7, 0
	s_cmp_eq_u32 s36, s3
	v_mov_b32_e32 v6, s2
	s_cselect_b64 s[22:23], -1, 0
	s_cmp_lg_u32 s36, s3
	v_cmp_lt_u64_e32 vcc, s[0:1], v[6:7]
	s_cselect_b64 s[0:1], -1, 0
	s_or_b64 s[0:1], vcc, s[0:1]
	v_lshlrev_b64 v[6:7], 1, v[4:5]
	v_lshl_add_u64 v[6:7], s[4:5], 0, v[6:7]
	s_mov_b64 s[2:3], -1
	s_and_b64 vcc, exec, s[0:1]
	v_lshlrev_b32_e32 v4, 1, v0
	s_cbranch_vccz .LBB2548_6
; %bb.5:
	v_lshl_add_u64 v[8:9], v[6:7], 0, v[4:5]
	v_add_co_u32_e32 v10, vcc, 0x1000, v8
	s_mov_b64 s[2:3], 0
	s_nop 0
	v_addc_co_u32_e32 v11, vcc, 0, v9, vcc
	flat_load_ushort v1, v[8:9]
	flat_load_ushort v5, v[8:9] offset:1024
	flat_load_ushort v14, v[8:9] offset:2048
	flat_load_ushort v15, v[8:9] offset:3072
	flat_load_ushort v16, v[10:11]
	flat_load_ushort v17, v[10:11] offset:1024
	flat_load_ushort v18, v[10:11] offset:2048
	flat_load_ushort v19, v[10:11] offset:3072
	v_add_co_u32_e32 v10, vcc, 0x2000, v8
	s_nop 1
	v_addc_co_u32_e32 v11, vcc, 0, v9, vcc
	v_add_co_u32_e32 v12, vcc, 0x3000, v8
	s_nop 1
	v_addc_co_u32_e32 v13, vcc, 0, v9, vcc
	flat_load_ushort v20, v[10:11]
	flat_load_ushort v21, v[10:11] offset:1024
	flat_load_ushort v22, v[10:11] offset:2048
	flat_load_ushort v23, v[10:11] offset:3072
	flat_load_ushort v24, v[12:13]
	flat_load_ushort v25, v[12:13] offset:1024
	flat_load_ushort v26, v[12:13] offset:2048
	flat_load_ushort v27, v[12:13] offset:3072
	v_add_co_u32_e32 v10, vcc, 0x4000, v8
	s_nop 1
	v_addc_co_u32_e32 v11, vcc, 0, v9, vcc
	v_add_co_u32_e32 v12, vcc, 0x5000, v8
	;; [unrolled: 14-line block ×3, first 2 shown]
	s_nop 1
	v_addc_co_u32_e32 v9, vcc, 0, v9, vcc
	flat_load_ushort v12, v[10:11]
	flat_load_ushort v13, v[10:11] offset:1024
	flat_load_ushort v36, v[10:11] offset:2048
	;; [unrolled: 1-line block ×3, first 2 shown]
	flat_load_ushort v38, v[8:9]
	flat_load_ushort v39, v[8:9] offset:1024
	s_waitcnt vmcnt(0) lgkmcnt(0)
	ds_write_b16 v4, v1
	ds_write_b16 v4, v5 offset:1024
	ds_write_b16 v4, v14 offset:2048
	;; [unrolled: 1-line block ×29, first 2 shown]
	s_waitcnt lgkmcnt(0)
	s_barrier
.LBB2548_6:
	s_andn2_b64 vcc, exec, s[2:3]
	s_addk_i32 s33, 0x3c00
	s_cbranch_vccnz .LBB2548_68
; %bb.7:
	v_cmp_gt_u32_e32 vcc, s33, v0
                                        ; implicit-def: $vgpr1
	s_and_saveexec_b64 s[2:3], vcc
	s_cbranch_execz .LBB2548_9
; %bb.8:
	v_mov_b32_e32 v5, 0
	v_lshl_add_u64 v[8:9], v[6:7], 0, v[4:5]
	flat_load_ushort v1, v[8:9]
.LBB2548_9:
	s_or_b64 exec, exec, s[2:3]
	v_or_b32_e32 v5, 0x200, v0
	v_cmp_gt_u32_e32 vcc, s33, v5
                                        ; implicit-def: $vgpr8
	s_and_saveexec_b64 s[2:3], vcc
	s_cbranch_execz .LBB2548_11
; %bb.10:
	v_mov_b32_e32 v5, 0
	v_lshl_add_u64 v[8:9], v[6:7], 0, v[4:5]
	flat_load_ushort v8, v[8:9] offset:1024
.LBB2548_11:
	s_or_b64 exec, exec, s[2:3]
	v_or_b32_e32 v5, 0x400, v0
	v_cmp_gt_u32_e32 vcc, s33, v5
                                        ; implicit-def: $vgpr9
	s_and_saveexec_b64 s[2:3], vcc
	s_cbranch_execz .LBB2548_13
; %bb.12:
	v_mov_b32_e32 v5, 0
	v_lshl_add_u64 v[10:11], v[6:7], 0, v[4:5]
	flat_load_ushort v9, v[10:11] offset:2048
.LBB2548_13:
	s_or_b64 exec, exec, s[2:3]
	v_or_b32_e32 v5, 0x600, v0
	v_cmp_gt_u32_e32 vcc, s33, v5
                                        ; implicit-def: $vgpr5
	s_and_saveexec_b64 s[2:3], vcc
	s_cbranch_execz .LBB2548_15
; %bb.14:
	v_mov_b32_e32 v5, 0
	v_lshl_add_u64 v[10:11], v[6:7], 0, v[4:5]
	flat_load_ushort v5, v[10:11] offset:3072
.LBB2548_15:
	s_or_b64 exec, exec, s[2:3]
	v_or_b32_e32 v11, 0x800, v0
	v_cmp_gt_u32_e32 vcc, s33, v11
                                        ; implicit-def: $vgpr10
	s_and_saveexec_b64 s[2:3], vcc
	s_cbranch_execz .LBB2548_17
; %bb.16:
	v_lshlrev_b32_e32 v10, 1, v11
	v_mov_b32_e32 v11, 0
	v_lshl_add_u64 v[10:11], v[6:7], 0, v[10:11]
	flat_load_ushort v10, v[10:11]
.LBB2548_17:
	s_or_b64 exec, exec, s[2:3]
	v_or_b32_e32 v12, 0xa00, v0
	v_cmp_gt_u32_e32 vcc, s33, v12
                                        ; implicit-def: $vgpr11
	s_and_saveexec_b64 s[2:3], vcc
	s_cbranch_execz .LBB2548_19
; %bb.18:
	v_lshlrev_b32_e32 v12, 1, v12
	v_mov_b32_e32 v13, 0
	v_lshl_add_u64 v[12:13], v[6:7], 0, v[12:13]
	flat_load_ushort v11, v[12:13]
.LBB2548_19:
	s_or_b64 exec, exec, s[2:3]
	v_or_b32_e32 v13, 0xc00, v0
	v_cmp_gt_u32_e32 vcc, s33, v13
                                        ; implicit-def: $vgpr12
	s_and_saveexec_b64 s[2:3], vcc
	s_cbranch_execz .LBB2548_21
; %bb.20:
	v_lshlrev_b32_e32 v12, 1, v13
	v_mov_b32_e32 v13, 0
	v_lshl_add_u64 v[12:13], v[6:7], 0, v[12:13]
	flat_load_ushort v12, v[12:13]
.LBB2548_21:
	s_or_b64 exec, exec, s[2:3]
	v_or_b32_e32 v14, 0xe00, v0
	v_cmp_gt_u32_e32 vcc, s33, v14
                                        ; implicit-def: $vgpr13
	s_and_saveexec_b64 s[2:3], vcc
	s_cbranch_execz .LBB2548_23
; %bb.22:
	v_lshlrev_b32_e32 v14, 1, v14
	v_mov_b32_e32 v15, 0
	v_lshl_add_u64 v[14:15], v[6:7], 0, v[14:15]
	flat_load_ushort v13, v[14:15]
.LBB2548_23:
	s_or_b64 exec, exec, s[2:3]
	v_or_b32_e32 v15, 0x1000, v0
	v_cmp_gt_u32_e32 vcc, s33, v15
                                        ; implicit-def: $vgpr14
	s_and_saveexec_b64 s[2:3], vcc
	s_cbranch_execz .LBB2548_25
; %bb.24:
	v_lshlrev_b32_e32 v14, 1, v15
	v_mov_b32_e32 v15, 0
	v_lshl_add_u64 v[14:15], v[6:7], 0, v[14:15]
	flat_load_ushort v14, v[14:15]
.LBB2548_25:
	s_or_b64 exec, exec, s[2:3]
	v_or_b32_e32 v16, 0x1200, v0
	v_cmp_gt_u32_e32 vcc, s33, v16
                                        ; implicit-def: $vgpr15
	s_and_saveexec_b64 s[2:3], vcc
	s_cbranch_execz .LBB2548_27
; %bb.26:
	v_lshlrev_b32_e32 v16, 1, v16
	v_mov_b32_e32 v17, 0
	v_lshl_add_u64 v[16:17], v[6:7], 0, v[16:17]
	flat_load_ushort v15, v[16:17]
.LBB2548_27:
	s_or_b64 exec, exec, s[2:3]
	v_or_b32_e32 v17, 0x1400, v0
	v_cmp_gt_u32_e32 vcc, s33, v17
                                        ; implicit-def: $vgpr16
	s_and_saveexec_b64 s[2:3], vcc
	s_cbranch_execz .LBB2548_29
; %bb.28:
	v_lshlrev_b32_e32 v16, 1, v17
	v_mov_b32_e32 v17, 0
	v_lshl_add_u64 v[16:17], v[6:7], 0, v[16:17]
	flat_load_ushort v16, v[16:17]
.LBB2548_29:
	s_or_b64 exec, exec, s[2:3]
	v_or_b32_e32 v18, 0x1600, v0
	v_cmp_gt_u32_e32 vcc, s33, v18
                                        ; implicit-def: $vgpr17
	s_and_saveexec_b64 s[2:3], vcc
	s_cbranch_execz .LBB2548_31
; %bb.30:
	v_lshlrev_b32_e32 v18, 1, v18
	v_mov_b32_e32 v19, 0
	v_lshl_add_u64 v[18:19], v[6:7], 0, v[18:19]
	flat_load_ushort v17, v[18:19]
.LBB2548_31:
	s_or_b64 exec, exec, s[2:3]
	v_or_b32_e32 v19, 0x1800, v0
	v_cmp_gt_u32_e32 vcc, s33, v19
                                        ; implicit-def: $vgpr18
	s_and_saveexec_b64 s[2:3], vcc
	s_cbranch_execz .LBB2548_33
; %bb.32:
	v_lshlrev_b32_e32 v18, 1, v19
	v_mov_b32_e32 v19, 0
	v_lshl_add_u64 v[18:19], v[6:7], 0, v[18:19]
	flat_load_ushort v18, v[18:19]
.LBB2548_33:
	s_or_b64 exec, exec, s[2:3]
	v_or_b32_e32 v20, 0x1a00, v0
	v_cmp_gt_u32_e32 vcc, s33, v20
                                        ; implicit-def: $vgpr19
	s_and_saveexec_b64 s[2:3], vcc
	s_cbranch_execz .LBB2548_35
; %bb.34:
	v_lshlrev_b32_e32 v20, 1, v20
	v_mov_b32_e32 v21, 0
	v_lshl_add_u64 v[20:21], v[6:7], 0, v[20:21]
	flat_load_ushort v19, v[20:21]
.LBB2548_35:
	s_or_b64 exec, exec, s[2:3]
	v_or_b32_e32 v21, 0x1c00, v0
	v_cmp_gt_u32_e32 vcc, s33, v21
                                        ; implicit-def: $vgpr20
	s_and_saveexec_b64 s[2:3], vcc
	s_cbranch_execz .LBB2548_37
; %bb.36:
	v_lshlrev_b32_e32 v20, 1, v21
	v_mov_b32_e32 v21, 0
	v_lshl_add_u64 v[20:21], v[6:7], 0, v[20:21]
	flat_load_ushort v20, v[20:21]
.LBB2548_37:
	s_or_b64 exec, exec, s[2:3]
	v_or_b32_e32 v22, 0x1e00, v0
	v_cmp_gt_u32_e32 vcc, s33, v22
                                        ; implicit-def: $vgpr21
	s_and_saveexec_b64 s[2:3], vcc
	s_cbranch_execz .LBB2548_39
; %bb.38:
	v_lshlrev_b32_e32 v22, 1, v22
	v_mov_b32_e32 v23, 0
	v_lshl_add_u64 v[22:23], v[6:7], 0, v[22:23]
	flat_load_ushort v21, v[22:23]
.LBB2548_39:
	s_or_b64 exec, exec, s[2:3]
	v_or_b32_e32 v23, 0x2000, v0
	v_cmp_gt_u32_e32 vcc, s33, v23
                                        ; implicit-def: $vgpr22
	s_and_saveexec_b64 s[2:3], vcc
	s_cbranch_execz .LBB2548_41
; %bb.40:
	v_lshlrev_b32_e32 v22, 1, v23
	v_mov_b32_e32 v23, 0
	v_lshl_add_u64 v[22:23], v[6:7], 0, v[22:23]
	flat_load_ushort v22, v[22:23]
.LBB2548_41:
	s_or_b64 exec, exec, s[2:3]
	v_or_b32_e32 v24, 0x2200, v0
	v_cmp_gt_u32_e32 vcc, s33, v24
                                        ; implicit-def: $vgpr23
	s_and_saveexec_b64 s[2:3], vcc
	s_cbranch_execz .LBB2548_43
; %bb.42:
	v_lshlrev_b32_e32 v24, 1, v24
	v_mov_b32_e32 v25, 0
	v_lshl_add_u64 v[24:25], v[6:7], 0, v[24:25]
	flat_load_ushort v23, v[24:25]
.LBB2548_43:
	s_or_b64 exec, exec, s[2:3]
	v_or_b32_e32 v25, 0x2400, v0
	v_cmp_gt_u32_e32 vcc, s33, v25
                                        ; implicit-def: $vgpr24
	s_and_saveexec_b64 s[2:3], vcc
	s_cbranch_execz .LBB2548_45
; %bb.44:
	v_lshlrev_b32_e32 v24, 1, v25
	v_mov_b32_e32 v25, 0
	v_lshl_add_u64 v[24:25], v[6:7], 0, v[24:25]
	flat_load_ushort v24, v[24:25]
.LBB2548_45:
	s_or_b64 exec, exec, s[2:3]
	v_or_b32_e32 v26, 0x2600, v0
	v_cmp_gt_u32_e32 vcc, s33, v26
                                        ; implicit-def: $vgpr25
	s_and_saveexec_b64 s[2:3], vcc
	s_cbranch_execz .LBB2548_47
; %bb.46:
	v_lshlrev_b32_e32 v26, 1, v26
	v_mov_b32_e32 v27, 0
	v_lshl_add_u64 v[26:27], v[6:7], 0, v[26:27]
	flat_load_ushort v25, v[26:27]
.LBB2548_47:
	s_or_b64 exec, exec, s[2:3]
	v_or_b32_e32 v27, 0x2800, v0
	v_cmp_gt_u32_e32 vcc, s33, v27
                                        ; implicit-def: $vgpr26
	s_and_saveexec_b64 s[2:3], vcc
	s_cbranch_execz .LBB2548_49
; %bb.48:
	v_lshlrev_b32_e32 v26, 1, v27
	v_mov_b32_e32 v27, 0
	v_lshl_add_u64 v[26:27], v[6:7], 0, v[26:27]
	flat_load_ushort v26, v[26:27]
.LBB2548_49:
	s_or_b64 exec, exec, s[2:3]
	v_or_b32_e32 v28, 0x2a00, v0
	v_cmp_gt_u32_e32 vcc, s33, v28
                                        ; implicit-def: $vgpr27
	s_and_saveexec_b64 s[2:3], vcc
	s_cbranch_execz .LBB2548_51
; %bb.50:
	v_lshlrev_b32_e32 v28, 1, v28
	v_mov_b32_e32 v29, 0
	v_lshl_add_u64 v[28:29], v[6:7], 0, v[28:29]
	flat_load_ushort v27, v[28:29]
.LBB2548_51:
	s_or_b64 exec, exec, s[2:3]
	v_or_b32_e32 v29, 0x2c00, v0
	v_cmp_gt_u32_e32 vcc, s33, v29
                                        ; implicit-def: $vgpr28
	s_and_saveexec_b64 s[2:3], vcc
	s_cbranch_execz .LBB2548_53
; %bb.52:
	v_lshlrev_b32_e32 v28, 1, v29
	v_mov_b32_e32 v29, 0
	v_lshl_add_u64 v[28:29], v[6:7], 0, v[28:29]
	flat_load_ushort v28, v[28:29]
.LBB2548_53:
	s_or_b64 exec, exec, s[2:3]
	v_or_b32_e32 v30, 0x2e00, v0
	v_cmp_gt_u32_e32 vcc, s33, v30
                                        ; implicit-def: $vgpr29
	s_and_saveexec_b64 s[2:3], vcc
	s_cbranch_execz .LBB2548_55
; %bb.54:
	v_lshlrev_b32_e32 v30, 1, v30
	v_mov_b32_e32 v31, 0
	v_lshl_add_u64 v[30:31], v[6:7], 0, v[30:31]
	flat_load_ushort v29, v[30:31]
.LBB2548_55:
	s_or_b64 exec, exec, s[2:3]
	v_or_b32_e32 v31, 0x3000, v0
	v_cmp_gt_u32_e32 vcc, s33, v31
                                        ; implicit-def: $vgpr30
	s_and_saveexec_b64 s[2:3], vcc
	s_cbranch_execz .LBB2548_57
; %bb.56:
	v_lshlrev_b32_e32 v30, 1, v31
	v_mov_b32_e32 v31, 0
	v_lshl_add_u64 v[30:31], v[6:7], 0, v[30:31]
	flat_load_ushort v30, v[30:31]
.LBB2548_57:
	s_or_b64 exec, exec, s[2:3]
	v_or_b32_e32 v32, 0x3200, v0
	v_cmp_gt_u32_e32 vcc, s33, v32
                                        ; implicit-def: $vgpr31
	s_and_saveexec_b64 s[2:3], vcc
	s_cbranch_execz .LBB2548_59
; %bb.58:
	v_lshlrev_b32_e32 v32, 1, v32
	v_mov_b32_e32 v33, 0
	v_lshl_add_u64 v[32:33], v[6:7], 0, v[32:33]
	flat_load_ushort v31, v[32:33]
.LBB2548_59:
	s_or_b64 exec, exec, s[2:3]
	v_or_b32_e32 v33, 0x3400, v0
	v_cmp_gt_u32_e32 vcc, s33, v33
                                        ; implicit-def: $vgpr32
	s_and_saveexec_b64 s[2:3], vcc
	s_cbranch_execz .LBB2548_61
; %bb.60:
	v_lshlrev_b32_e32 v32, 1, v33
	v_mov_b32_e32 v33, 0
	v_lshl_add_u64 v[32:33], v[6:7], 0, v[32:33]
	flat_load_ushort v32, v[32:33]
.LBB2548_61:
	s_or_b64 exec, exec, s[2:3]
	v_or_b32_e32 v34, 0x3600, v0
	v_cmp_gt_u32_e32 vcc, s33, v34
                                        ; implicit-def: $vgpr33
	s_and_saveexec_b64 s[2:3], vcc
	s_cbranch_execz .LBB2548_63
; %bb.62:
	v_lshlrev_b32_e32 v34, 1, v34
	v_mov_b32_e32 v35, 0
	v_lshl_add_u64 v[34:35], v[6:7], 0, v[34:35]
	flat_load_ushort v33, v[34:35]
.LBB2548_63:
	s_or_b64 exec, exec, s[2:3]
	v_or_b32_e32 v35, 0x3800, v0
	v_cmp_gt_u32_e32 vcc, s33, v35
                                        ; implicit-def: $vgpr34
	s_and_saveexec_b64 s[2:3], vcc
	s_cbranch_execz .LBB2548_65
; %bb.64:
	v_lshlrev_b32_e32 v34, 1, v35
	v_mov_b32_e32 v35, 0
	v_lshl_add_u64 v[34:35], v[6:7], 0, v[34:35]
	flat_load_ushort v34, v[34:35]
.LBB2548_65:
	s_or_b64 exec, exec, s[2:3]
	v_or_b32_e32 v36, 0x3a00, v0
	v_cmp_gt_u32_e32 vcc, s33, v36
                                        ; implicit-def: $vgpr35
	s_and_saveexec_b64 s[2:3], vcc
	s_cbranch_execz .LBB2548_67
; %bb.66:
	v_lshlrev_b32_e32 v36, 1, v36
	v_mov_b32_e32 v37, 0
	v_lshl_add_u64 v[6:7], v[6:7], 0, v[36:37]
	flat_load_ushort v35, v[6:7]
.LBB2548_67:
	s_or_b64 exec, exec, s[2:3]
	s_waitcnt vmcnt(0) lgkmcnt(0)
	ds_write_b16 v4, v1
	ds_write_b16 v4, v8 offset:1024
	ds_write_b16 v4, v9 offset:2048
	;; [unrolled: 1-line block ×29, first 2 shown]
	s_waitcnt lgkmcnt(0)
	s_barrier
.LBB2548_68:
	v_mul_u32_u24_e32 v42, 30, v0
	v_lshlrev_b32_e32 v6, 1, v42
	ds_read_b32 v5, v6 offset:56
	ds_read2_b32 v[10:11], v6 offset0:12 offset1:13
	ds_read2_b32 v[12:13], v6 offset0:10 offset1:11
	;; [unrolled: 1-line block ×3, first 2 shown]
	ds_read2_b32 v[22:23], v6 offset1:1
	ds_read2_b32 v[20:21], v6 offset0:2 offset1:3
	ds_read2_b32 v[18:19], v6 offset0:4 offset1:5
	;; [unrolled: 1-line block ×3, first 2 shown]
	s_waitcnt lgkmcnt(7)
	v_lshrrev_b32_e32 v1, 16, v5
	s_waitcnt lgkmcnt(6)
	v_lshrrev_b32_e32 v31, 16, v10
	v_lshrrev_b32_e32 v30, 16, v11
	s_waitcnt lgkmcnt(5)
	v_lshrrev_b32_e32 v33, 16, v12
	;; [unrolled: 3-line block ×6, first 2 shown]
	v_lshrrev_b32_e32 v36, 16, v17
	v_lshrrev_b32_e32 v35, 16, v14
	;; [unrolled: 1-line block ×3, first 2 shown]
	v_cndmask_b32_e64 v6, 0, 1, s[0:1]
	v_cmp_ne_u32_e64 s[2:3], 1, v6
	s_andn2_b64 vcc, exec, s[0:1]
	v_xor_b32_e32 v94, -1, v22
	v_xor_b32_e32 v93, -1, v44
	;; [unrolled: 1-line block ×30, first 2 shown]
	s_barrier
	s_cbranch_vccnz .LBB2548_70
; %bb.69:
	v_and_b32_e32 v74, 1, v94
	v_and_b32_e32 v73, 1, v93
	;; [unrolled: 1-line block ×30, first 2 shown]
	s_cbranch_execz .LBB2548_71
	s_branch .LBB2548_72
.LBB2548_70:
                                        ; implicit-def: $vgpr74
                                        ; implicit-def: $vgpr73
                                        ; implicit-def: $vgpr72
                                        ; implicit-def: $vgpr71
                                        ; implicit-def: $vgpr70
                                        ; implicit-def: $vgpr69
                                        ; implicit-def: $vgpr68
                                        ; implicit-def: $vgpr67
                                        ; implicit-def: $vgpr66
                                        ; implicit-def: $vgpr65
                                        ; implicit-def: $vgpr64
                                        ; implicit-def: $vgpr63
                                        ; implicit-def: $vgpr62
                                        ; implicit-def: $vgpr61
                                        ; implicit-def: $vgpr60
                                        ; implicit-def: $vgpr59
                                        ; implicit-def: $vgpr58
                                        ; implicit-def: $vgpr57
                                        ; implicit-def: $vgpr56
                                        ; implicit-def: $vgpr55
                                        ; implicit-def: $vgpr54
                                        ; implicit-def: $vgpr53
                                        ; implicit-def: $vgpr52
                                        ; implicit-def: $vgpr51
                                        ; implicit-def: $vgpr50
                                        ; implicit-def: $vgpr49
                                        ; implicit-def: $vgpr48
                                        ; implicit-def: $vgpr47
                                        ; implicit-def: $vgpr45
                                        ; implicit-def: $vgpr46
.LBB2548_71:
	v_or_b32_e32 v54, 1, v42
	v_cmp_gt_u32_e32 vcc, s33, v42
	v_add_u32_e32 v55, 2, v42
	v_add_u32_e32 v56, 3, v42
	v_cndmask_b32_e64 v64, 0, 1, vcc
	v_cmp_gt_u32_e32 vcc, s33, v54
	v_add_u32_e32 v57, 4, v42
	v_add_u32_e32 v58, 5, v42
	v_cndmask_b32_e64 v54, 0, 1, vcc
	v_cmp_gt_u32_e32 vcc, s33, v55
	v_and_b32_e32 v73, v54, v93
	v_add_u32_e32 v59, 6, v42
	v_cndmask_b32_e64 v54, 0, 1, vcc
	v_cmp_gt_u32_e32 vcc, s33, v56
	v_and_b32_e32 v72, v54, v92
	;; [unrolled: 4-line block ×9, first 2 shown]
	v_and_b32_e32 v74, v64, v94
	v_cndmask_b32_e64 v54, 0, 1, vcc
	v_cmp_gt_u32_e32 vcc, s33, v95
	v_and_b32_e32 v64, v54, v84
	v_add_u32_e32 v98, 14, v42
	v_cndmask_b32_e64 v54, 0, 1, vcc
	v_cmp_gt_u32_e32 vcc, s33, v96
	v_and_b32_e32 v63, v54, v83
	v_add_u32_e32 v99, 15, v42
	;; [unrolled: 4-line block ×16, first 2 shown]
	v_cndmask_b32_e64 v24, 0, 1, vcc
	v_cmp_gt_u32_e32 vcc, s33, v47
	v_and_b32_e32 v48, v24, v9
	s_nop 0
	v_cndmask_b32_e64 v9, 0, 1, vcc
	v_cmp_gt_u32_e32 vcc, s33, v45
	v_and_b32_e32 v47, v9, v8
	s_nop 0
	;; [unrolled: 4-line block ×3, first 2 shown]
	v_cndmask_b32_e64 v7, 0, 1, vcc
	v_and_b32_e32 v46, v7, v6
.LBB2548_72:
	v_and_b32_e32 v101, 0xff, v48
	v_and_b32_e32 v102, 0xff, v47
	v_add_u32_sdwa v6, v45, v46 dst_sel:DWORD dst_unused:UNUSED_PAD src0_sel:BYTE_0 src1_sel:BYTE_0
	v_and_b32_e32 v99, 0xff, v50
	v_and_b32_e32 v100, 0xff, v49
	v_add3_u32 v6, v6, v102, v101
	v_and_b32_e32 v97, 0xff, v52
	v_and_b32_e32 v98, 0xff, v51
	v_add3_u32 v6, v6, v100, v99
	;; [unrolled: 3-line block ×13, first 2 shown]
	v_add3_u32 v105, v6, v76, v75
	v_mbcnt_lo_u32_b32 v6, -1, 0
	v_mbcnt_hi_u32_b32 v103, -1, v6
	v_and_b32_e32 v6, 15, v103
	v_cmp_eq_u32_e64 s[16:17], 0, v6
	v_cmp_lt_u32_e64 s[14:15], 1, v6
	v_cmp_lt_u32_e64 s[12:13], 3, v6
	;; [unrolled: 1-line block ×3, first 2 shown]
	v_and_b32_e32 v6, 16, v103
	v_cmp_eq_u32_e64 s[8:9], 0, v6
	v_or_b32_e32 v6, 63, v0
	s_cmp_lg_u32 s36, 0
	v_cmp_lt_u32_e64 s[4:5], 31, v103
	v_lshrrev_b32_e32 v104, 6, v0
	v_cmp_eq_u32_e64 s[6:7], v6, v0
	s_cbranch_scc0 .LBB2548_99
; %bb.73:
	v_mov_b32_dpp v6, v105 row_shr:1 row_mask:0xf bank_mask:0xf
	v_cndmask_b32_e64 v6, v6, 0, s[16:17]
	v_add_u32_e32 v6, v6, v105
	s_nop 1
	v_mov_b32_dpp v7, v6 row_shr:2 row_mask:0xf bank_mask:0xf
	v_cndmask_b32_e64 v7, 0, v7, s[14:15]
	v_add_u32_e32 v6, v6, v7
	s_nop 1
	;; [unrolled: 4-line block ×4, first 2 shown]
	v_mov_b32_dpp v7, v6 row_bcast:15 row_mask:0xf bank_mask:0xf
	v_cndmask_b32_e64 v7, v7, 0, s[8:9]
	v_add_u32_e32 v6, v6, v7
	s_nop 1
	v_mov_b32_dpp v7, v6 row_bcast:31 row_mask:0xf bank_mask:0xf
	v_cndmask_b32_e64 v7, 0, v7, s[4:5]
	v_add_u32_e32 v6, v6, v7
	s_and_saveexec_b64 s[0:1], s[6:7]
	s_cbranch_execz .LBB2548_75
; %bb.74:
	v_lshlrev_b32_e32 v7, 2, v104
	ds_write_b32 v7, v6
.LBB2548_75:
	s_or_b64 exec, exec, s[0:1]
	v_cmp_gt_u32_e32 vcc, 8, v0
	s_waitcnt lgkmcnt(0)
	s_barrier
	s_and_saveexec_b64 s[0:1], vcc
	s_cbranch_execz .LBB2548_77
; %bb.76:
	v_lshlrev_b32_e32 v7, 2, v0
	ds_read_b32 v8, v7
	v_and_b32_e32 v9, 7, v103
	v_cmp_ne_u32_e32 vcc, 0, v9
	s_waitcnt lgkmcnt(0)
	v_mov_b32_dpp v24, v8 row_shr:1 row_mask:0xf bank_mask:0xf
	v_cndmask_b32_e32 v24, 0, v24, vcc
	v_add_u32_e32 v8, v24, v8
	v_cmp_lt_u32_e32 vcc, 1, v9
	s_nop 0
	v_mov_b32_dpp v24, v8 row_shr:2 row_mask:0xf bank_mask:0xf
	v_cndmask_b32_e32 v24, 0, v24, vcc
	v_add_u32_e32 v8, v8, v24
	v_cmp_lt_u32_e32 vcc, 3, v9
	s_nop 0
	v_mov_b32_dpp v24, v8 row_shr:4 row_mask:0xf bank_mask:0xf
	v_cndmask_b32_e32 v9, 0, v24, vcc
	v_add_u32_e32 v8, v8, v9
	ds_write_b32 v7, v8
.LBB2548_77:
	s_or_b64 exec, exec, s[0:1]
	v_cmp_gt_u32_e32 vcc, 64, v0
	v_cmp_lt_u32_e64 s[0:1], 63, v0
	s_waitcnt lgkmcnt(0)
	s_barrier
	s_waitcnt lgkmcnt(0)
                                        ; implicit-def: $vgpr106
	s_and_saveexec_b64 s[18:19], s[0:1]
	s_cbranch_execz .LBB2548_79
; %bb.78:
	v_lshl_add_u32 v7, v104, 2, -4
	ds_read_b32 v106, v7
	s_waitcnt lgkmcnt(0)
	v_add_u32_e32 v6, v106, v6
.LBB2548_79:
	s_or_b64 exec, exec, s[18:19]
	v_add_u32_e32 v7, -1, v103
	v_and_b32_e32 v8, 64, v103
	v_cmp_lt_i32_e64 s[0:1], v7, v8
	v_cmp_eq_u32_e64 s[18:19], 0, v103
	s_nop 0
	v_cndmask_b32_e64 v7, v7, v103, s[0:1]
	v_lshlrev_b32_e32 v7, 2, v7
	ds_bpermute_b32 v107, v7, v6
	s_and_saveexec_b64 s[0:1], vcc
	s_cbranch_execz .LBB2548_98
; %bb.80:
	v_mov_b32_e32 v27, 0
	ds_read_b32 v6, v27 offset:28
	s_and_saveexec_b64 s[26:27], s[18:19]
	s_cbranch_execz .LBB2548_82
; %bb.81:
	s_add_i32 s34, s36, 64
	s_mov_b32 s35, 0
	s_lshl_b64 s[34:35], s[34:35], 3
	s_add_u32 s34, s30, s34
	v_mov_b32_e32 v7, 1
	s_addc_u32 s35, s31, s35
	s_waitcnt lgkmcnt(0)
	global_store_dwordx2 v27, v[6:7], s[34:35] sc1
.LBB2548_82:
	s_or_b64 exec, exec, s[26:27]
	v_xad_u32 v8, v103, -1, s36
	v_add_u32_e32 v26, 64, v8
	v_lshl_add_u64 v[28:29], v[26:27], 3, s[30:31]
	global_load_dwordx2 v[24:25], v[28:29], off sc1
	s_waitcnt vmcnt(0)
	v_cmp_eq_u16_sdwa s[34:35], v25, v27 src0_sel:BYTE_0 src1_sel:DWORD
	s_and_saveexec_b64 s[26:27], s[34:35]
	s_cbranch_execz .LBB2548_86
; %bb.83:
	s_mov_b64 s[34:35], 0
	v_mov_b32_e32 v7, 0
.LBB2548_84:                            ; =>This Inner Loop Header: Depth=1
	global_load_dwordx2 v[24:25], v[28:29], off sc1
	s_waitcnt vmcnt(0)
	v_cmp_ne_u16_sdwa s[38:39], v25, v7 src0_sel:BYTE_0 src1_sel:DWORD
	s_or_b64 s[34:35], s[38:39], s[34:35]
	s_andn2_b64 exec, exec, s[34:35]
	s_cbranch_execnz .LBB2548_84
; %bb.85:
	s_or_b64 exec, exec, s[34:35]
.LBB2548_86:
	s_or_b64 exec, exec, s[26:27]
	v_and_b32_e32 v109, 63, v103
	v_mov_b32_e32 v108, 2
	v_cmp_ne_u32_e32 vcc, 63, v109
	v_cmp_eq_u16_sdwa s[26:27], v25, v108 src0_sel:BYTE_0 src1_sel:DWORD
	v_lshlrev_b64 v[26:27], v103, -1
	v_addc_co_u32_e32 v28, vcc, 0, v103, vcc
	v_and_b32_e32 v7, s27, v27
	v_lshlrev_b32_e32 v110, 2, v28
	v_or_b32_e32 v7, 0x80000000, v7
	ds_bpermute_b32 v28, v110, v24
	v_and_b32_e32 v9, s26, v26
	v_ffbl_b32_e32 v7, v7
	v_add_u32_e32 v7, 32, v7
	v_ffbl_b32_e32 v9, v9
	v_min_u32_e32 v7, v9, v7
	v_cmp_lt_u32_e32 vcc, v109, v7
	v_add_u32_e32 v112, 2, v109
	v_add_u32_e32 v114, 4, v109
	s_waitcnt lgkmcnt(0)
	v_cndmask_b32_e32 v9, 0, v28, vcc
	v_cmp_gt_u32_e32 vcc, 62, v109
	v_add_u32_e32 v9, v9, v24
	v_add_u32_e32 v116, 8, v109
	v_cndmask_b32_e64 v24, 0, 1, vcc
	v_lshlrev_b32_e32 v24, 1, v24
	v_add_lshl_u32 v111, v24, v103, 2
	ds_bpermute_b32 v24, v111, v9
	v_cmp_le_u32_e32 vcc, v112, v7
	v_add_u32_e32 v118, 16, v109
	v_add_u32_e32 v120, 32, v109
	s_waitcnt lgkmcnt(0)
	v_cndmask_b32_e32 v24, 0, v24, vcc
	v_cmp_gt_u32_e32 vcc, 60, v109
	v_add_u32_e32 v9, v9, v24
	s_nop 0
	v_cndmask_b32_e64 v24, 0, 1, vcc
	v_lshlrev_b32_e32 v24, 2, v24
	v_add_lshl_u32 v113, v24, v103, 2
	ds_bpermute_b32 v24, v113, v9
	v_cmp_le_u32_e32 vcc, v114, v7
	s_waitcnt lgkmcnt(0)
	s_nop 0
	v_cndmask_b32_e32 v24, 0, v24, vcc
	v_cmp_gt_u32_e32 vcc, 56, v109
	v_add_u32_e32 v9, v9, v24
	s_nop 0
	v_cndmask_b32_e64 v24, 0, 1, vcc
	v_lshlrev_b32_e32 v24, 3, v24
	v_add_lshl_u32 v115, v24, v103, 2
	ds_bpermute_b32 v24, v115, v9
	v_cmp_le_u32_e32 vcc, v116, v7
	s_waitcnt lgkmcnt(0)
	s_nop 0
	;; [unrolled: 11-line block ×4, first 2 shown]
	v_cndmask_b32_e32 v7, 0, v24, vcc
	v_add_u32_e32 v24, v9, v7
	v_mov_b32_e32 v9, 0
	s_branch .LBB2548_88
.LBB2548_87:                            ;   in Loop: Header=BB2548_88 Depth=1
	s_or_b64 exec, exec, s[26:27]
	v_cmp_eq_u16_sdwa s[26:27], v25, v108 src0_sel:BYTE_0 src1_sel:DWORD
	ds_bpermute_b32 v121, v110, v24
	v_subrev_u32_e32 v8, 64, v8
	v_and_b32_e32 v28, s27, v27
	v_or_b32_e32 v28, 0x80000000, v28
	v_and_b32_e32 v29, s26, v26
	v_ffbl_b32_e32 v28, v28
	v_add_u32_e32 v28, 32, v28
	v_ffbl_b32_e32 v29, v29
	v_min_u32_e32 v28, v29, v28
	v_cmp_lt_u32_e32 vcc, v109, v28
	s_waitcnt lgkmcnt(0)
	s_nop 0
	v_cndmask_b32_e32 v29, 0, v121, vcc
	v_add_u32_e32 v24, v29, v24
	ds_bpermute_b32 v29, v111, v24
	v_cmp_le_u32_e32 vcc, v112, v28
	s_waitcnt lgkmcnt(0)
	s_nop 0
	v_cndmask_b32_e32 v29, 0, v29, vcc
	v_add_u32_e32 v24, v24, v29
	ds_bpermute_b32 v29, v113, v24
	v_cmp_le_u32_e32 vcc, v114, v28
	;; [unrolled: 6-line block ×5, first 2 shown]
	s_waitcnt lgkmcnt(0)
	s_nop 0
	v_cndmask_b32_e32 v28, 0, v29, vcc
	v_add3_u32 v24, v28, v7, v24
.LBB2548_88:                            ; =>This Loop Header: Depth=1
                                        ;     Child Loop BB2548_91 Depth 2
	v_cmp_ne_u16_sdwa s[26:27], v25, v108 src0_sel:BYTE_0 src1_sel:DWORD
	s_nop 1
	v_cndmask_b32_e64 v7, 0, 1, s[26:27]
	;;#ASMSTART
	;;#ASMEND
	s_nop 0
	v_cmp_ne_u32_e32 vcc, 0, v7
	s_cmp_lg_u64 vcc, exec
	v_mov_b32_e32 v7, v24
	s_cbranch_scc1 .LBB2548_93
; %bb.89:                               ;   in Loop: Header=BB2548_88 Depth=1
	v_lshl_add_u64 v[28:29], v[8:9], 3, s[30:31]
	global_load_dwordx2 v[24:25], v[28:29], off sc1
	s_waitcnt vmcnt(0)
	v_cmp_eq_u16_sdwa s[34:35], v25, v9 src0_sel:BYTE_0 src1_sel:DWORD
	s_and_saveexec_b64 s[26:27], s[34:35]
	s_cbranch_execz .LBB2548_87
; %bb.90:                               ;   in Loop: Header=BB2548_88 Depth=1
	s_mov_b64 s[34:35], 0
.LBB2548_91:                            ;   Parent Loop BB2548_88 Depth=1
                                        ; =>  This Inner Loop Header: Depth=2
	global_load_dwordx2 v[24:25], v[28:29], off sc1
	s_waitcnt vmcnt(0)
	v_cmp_ne_u16_sdwa s[38:39], v25, v9 src0_sel:BYTE_0 src1_sel:DWORD
	s_or_b64 s[34:35], s[38:39], s[34:35]
	s_andn2_b64 exec, exec, s[34:35]
	s_cbranch_execnz .LBB2548_91
; %bb.92:                               ;   in Loop: Header=BB2548_88 Depth=1
	s_or_b64 exec, exec, s[34:35]
	s_branch .LBB2548_87
.LBB2548_93:                            ;   in Loop: Header=BB2548_88 Depth=1
                                        ; implicit-def: $vgpr24
                                        ; implicit-def: $vgpr25
	s_cbranch_execz .LBB2548_88
; %bb.94:
	s_and_saveexec_b64 s[26:27], s[18:19]
	s_cbranch_execz .LBB2548_96
; %bb.95:
	s_add_i32 s34, s36, 64
	s_mov_b32 s35, 0
	s_lshl_b64 s[34:35], s[34:35], 3
	s_add_u32 s34, s30, s34
	v_add_u32_e32 v8, v7, v6
	v_mov_b32_e32 v9, 2
	s_addc_u32 s35, s31, s35
	v_mov_b32_e32 v24, 0
	global_store_dwordx2 v24, v[8:9], s[34:35] sc1
	ds_write_b64 v24, v[6:7] offset:30720
.LBB2548_96:
	s_or_b64 exec, exec, s[26:27]
	s_and_b64 exec, exec, s[20:21]
	s_cbranch_execz .LBB2548_98
; %bb.97:
	v_mov_b32_e32 v6, 0
	ds_write_b32 v6, v7 offset:28
.LBB2548_98:
	s_or_b64 exec, exec, s[0:1]
	v_mov_b32_e32 v6, 0
	s_waitcnt lgkmcnt(0)
	s_barrier
	ds_read_b32 v8, v6 offset:28
	s_waitcnt lgkmcnt(0)
	s_barrier
	ds_read_b64 v[6:7], v6 offset:30720
	v_cndmask_b32_e64 v9, v107, v106, s[18:19]
	v_cndmask_b32_e64 v9, v9, 0, s[20:21]
	v_add_u32_e32 v9, v8, v9
	s_waitcnt lgkmcnt(0)
	v_mov_b32_e32 v8, v7
	s_branch .LBB2548_109
.LBB2548_99:
                                        ; implicit-def: $vgpr8
                                        ; implicit-def: $vgpr6
                                        ; implicit-def: $vgpr9
	s_cbranch_execz .LBB2548_109
; %bb.100:
	s_nop 0
	v_mov_b32_dpp v6, v105 row_shr:1 row_mask:0xf bank_mask:0xf
	v_cndmask_b32_e64 v6, v6, 0, s[16:17]
	v_add_u32_e32 v6, v6, v105
	s_nop 1
	v_mov_b32_dpp v7, v6 row_shr:2 row_mask:0xf bank_mask:0xf
	v_cndmask_b32_e64 v7, 0, v7, s[14:15]
	v_add_u32_e32 v6, v6, v7
	;; [unrolled: 4-line block ×4, first 2 shown]
	s_nop 1
	v_mov_b32_dpp v7, v6 row_bcast:15 row_mask:0xf bank_mask:0xf
	v_cndmask_b32_e64 v7, v7, 0, s[8:9]
	v_add_u32_e32 v6, v6, v7
	s_nop 1
	v_mov_b32_dpp v7, v6 row_bcast:31 row_mask:0xf bank_mask:0xf
	v_cndmask_b32_e64 v7, 0, v7, s[4:5]
	v_add_u32_e32 v6, v6, v7
	s_and_saveexec_b64 s[0:1], s[6:7]
	s_cbranch_execz .LBB2548_102
; %bb.101:
	v_lshlrev_b32_e32 v7, 2, v104
	ds_write_b32 v7, v6
.LBB2548_102:
	s_or_b64 exec, exec, s[0:1]
	v_cmp_gt_u32_e32 vcc, 8, v0
	s_waitcnt lgkmcnt(0)
	s_barrier
	s_and_saveexec_b64 s[0:1], vcc
	s_cbranch_execz .LBB2548_104
; %bb.103:
	v_lshlrev_b32_e32 v7, 2, v0
	ds_read_b32 v8, v7
	v_and_b32_e32 v9, 7, v103
	v_cmp_ne_u32_e32 vcc, 0, v9
	s_waitcnt lgkmcnt(0)
	v_mov_b32_dpp v24, v8 row_shr:1 row_mask:0xf bank_mask:0xf
	v_cndmask_b32_e32 v24, 0, v24, vcc
	v_add_u32_e32 v8, v24, v8
	v_cmp_lt_u32_e32 vcc, 1, v9
	s_nop 0
	v_mov_b32_dpp v24, v8 row_shr:2 row_mask:0xf bank_mask:0xf
	v_cndmask_b32_e32 v24, 0, v24, vcc
	v_add_u32_e32 v8, v8, v24
	v_cmp_lt_u32_e32 vcc, 3, v9
	s_nop 0
	v_mov_b32_dpp v24, v8 row_shr:4 row_mask:0xf bank_mask:0xf
	v_cndmask_b32_e32 v9, 0, v24, vcc
	v_add_u32_e32 v8, v8, v9
	ds_write_b32 v7, v8
.LBB2548_104:
	s_or_b64 exec, exec, s[0:1]
	v_cmp_lt_u32_e32 vcc, 63, v0
	v_mov_b32_e32 v7, 0
	v_mov_b32_e32 v8, 0
	s_waitcnt lgkmcnt(0)
	s_barrier
	s_and_saveexec_b64 s[0:1], vcc
	s_cbranch_execz .LBB2548_106
; %bb.105:
	v_lshl_add_u32 v8, v104, 2, -4
	ds_read_b32 v8, v8
.LBB2548_106:
	s_or_b64 exec, exec, s[0:1]
	v_add_u32_e32 v9, -1, v103
	v_and_b32_e32 v24, 64, v103
	v_cmp_lt_i32_e32 vcc, v9, v24
	s_waitcnt lgkmcnt(0)
	v_add_u32_e32 v6, v8, v6
	v_cndmask_b32_e32 v9, v9, v103, vcc
	v_lshlrev_b32_e32 v9, 2, v9
	ds_bpermute_b32 v9, v9, v6
	ds_read_b32 v6, v7 offset:28
	s_and_saveexec_b64 s[0:1], s[20:21]
	s_cbranch_execz .LBB2548_108
; %bb.107:
	v_mov_b32_e32 v24, 0
	v_mov_b32_e32 v7, 2
	s_waitcnt lgkmcnt(0)
	global_store_dwordx2 v24, v[6:7], s[30:31] offset:512 sc1
.LBB2548_108:
	s_or_b64 exec, exec, s[0:1]
	v_cmp_eq_u32_e32 vcc, 0, v103
	s_waitcnt lgkmcnt(0)
	s_barrier
	v_cndmask_b32_e32 v7, v9, v8, vcc
	v_mov_b32_e32 v8, 0
	v_cndmask_b32_e64 v9, v7, 0, s[20:21]
.LBB2548_109:
	v_add_u32_e32 v7, v9, v75
	v_add_u32_e32 v24, v7, v76
	;; [unrolled: 1-line block ×22, first 2 shown]
	v_sub_u32_e32 v9, v9, v8
	v_and_b32_e32 v74, 1, v74
	v_add_u32_e32 v89, v88, v96
	v_sub_u32_e32 v96, v42, v9
	v_cmp_eq_u32_e32 vcc, 1, v74
	v_sub_u32_e32 v7, v7, v8
	v_add_u32_e32 v90, v89, v97
	v_cndmask_b32_e32 v9, v96, v9, vcc
	v_lshlrev_b32_e32 v9, 1, v9
	ds_write_b16 v9, v22
	v_sub_u32_e32 v9, v42, v7
	v_and_b32_e32 v22, 1, v73
	v_add_u32_e32 v9, 1, v9
	v_cmp_eq_u32_e32 vcc, 1, v22
	v_and_b32_e32 v22, 1, v72
	v_add_u32_e32 v91, v90, v98
	v_cndmask_b32_e32 v7, v9, v7, vcc
	v_lshlrev_b32_e32 v7, 1, v7
	ds_write_b16 v7, v44
	v_sub_u32_e32 v7, v24, v8
	v_sub_u32_e32 v9, v42, v7
	v_add_u32_e32 v9, 2, v9
	v_cmp_eq_u32_e32 vcc, 1, v22
	v_and_b32_e32 v22, 1, v71
	v_add_u32_e32 v92, v91, v99
	v_cndmask_b32_e32 v7, v9, v7, vcc
	v_lshlrev_b32_e32 v7, 1, v7
	ds_write_b16 v7, v23
	v_sub_u32_e32 v7, v25, v8
	v_sub_u32_e32 v9, v42, v7
	v_add_u32_e32 v9, 3, v9
	v_cmp_eq_u32_e32 vcc, 1, v22
	v_and_b32_e32 v22, 1, v70
	v_add_u32_e32 v93, v92, v100
	v_cndmask_b32_e32 v7, v9, v7, vcc
	v_lshlrev_b32_e32 v7, 1, v7
	ds_write_b16 v7, v43
	v_sub_u32_e32 v7, v26, v8
	v_sub_u32_e32 v9, v42, v7
	v_add_u32_e32 v9, 4, v9
	v_cmp_eq_u32_e32 vcc, 1, v22
	v_add_u32_e32 v94, v93, v101
	v_add_u32_e32 v95, v94, v102
	v_cndmask_b32_e32 v7, v9, v7, vcc
	v_lshlrev_b32_e32 v7, 1, v7
	ds_write_b16 v7, v20
	v_sub_u32_e32 v7, v27, v8
	v_sub_u32_e32 v9, v42, v7
	v_and_b32_e32 v20, 1, v69
	v_add_u32_e32 v9, 5, v9
	v_cmp_eq_u32_e32 vcc, 1, v20
	v_and_b32_e32 v20, 1, v68
	v_or_b32_e32 v43, 0x1a00, v0
	v_cndmask_b32_e32 v7, v9, v7, vcc
	v_lshlrev_b32_e32 v7, 1, v7
	ds_write_b16 v7, v41
	v_sub_u32_e32 v7, v28, v8
	v_sub_u32_e32 v9, v42, v7
	v_add_u32_e32 v9, 6, v9
	v_cmp_eq_u32_e32 vcc, 1, v20
	v_and_b32_e32 v20, 1, v67
	v_or_b32_e32 v67, 0x200, v0
	v_cndmask_b32_e32 v7, v9, v7, vcc
	v_lshlrev_b32_e32 v7, 1, v7
	ds_write_b16 v7, v21
	v_sub_u32_e32 v7, v29, v8
	v_sub_u32_e32 v9, v42, v7
	v_add_u32_e32 v9, 7, v9
	v_cmp_eq_u32_e32 vcc, 1, v20
	v_and_b32_e32 v20, 1, v66
	v_or_b32_e32 v41, 0x1c00, v0
	v_cndmask_b32_e32 v7, v9, v7, vcc
	v_lshlrev_b32_e32 v7, 1, v7
	ds_write_b16 v7, v40
	v_sub_u32_e32 v7, v75, v8
	v_sub_u32_e32 v9, v42, v7
	v_add_u32_e32 v9, 8, v9
	v_cmp_eq_u32_e32 vcc, 1, v20
	v_or_b32_e32 v29, 0x2800, v0
	v_or_b32_e32 v27, 0x2a00, v0
	v_cndmask_b32_e32 v7, v9, v7, vcc
	v_lshlrev_b32_e32 v7, 1, v7
	ds_write_b16 v7, v18
	v_sub_u32_e32 v7, v76, v8
	v_sub_u32_e32 v9, v42, v7
	v_and_b32_e32 v18, 1, v65
	v_add_u32_e32 v9, 9, v9
	v_cmp_eq_u32_e32 vcc, 1, v18
	v_and_b32_e32 v18, 1, v64
	v_or_b32_e32 v65, 0x400, v0
	v_cndmask_b32_e32 v7, v9, v7, vcc
	v_lshlrev_b32_e32 v7, 1, v7
	ds_write_b16 v7, v39
	v_sub_u32_e32 v7, v77, v8
	v_sub_u32_e32 v9, v42, v7
	v_add_u32_e32 v9, 10, v9
	v_cmp_eq_u32_e32 vcc, 1, v18
	v_and_b32_e32 v18, 1, v63
	v_or_b32_e32 v63, 0x600, v0
	v_cndmask_b32_e32 v7, v9, v7, vcc
	v_lshlrev_b32_e32 v7, 1, v7
	ds_write_b16 v7, v19
	v_sub_u32_e32 v7, v78, v8
	v_sub_u32_e32 v9, v42, v7
	v_add_u32_e32 v9, 11, v9
	v_cmp_eq_u32_e32 vcc, 1, v18
	v_and_b32_e32 v18, 1, v62
	v_or_b32_e32 v25, 0x2c00, v0
	v_cndmask_b32_e32 v7, v9, v7, vcc
	v_lshlrev_b32_e32 v7, 1, v7
	ds_write_b16 v7, v38
	v_sub_u32_e32 v7, v79, v8
	v_sub_u32_e32 v9, v42, v7
	v_add_u32_e32 v9, 12, v9
	v_cmp_eq_u32_e32 vcc, 1, v18
	v_or_b32_e32 v38, 0x1e00, v0
	v_or_b32_e32 v23, 0x2e00, v0
	;; [unrolled: 37-line block ×4, first 2 shown]
	v_cndmask_b32_e32 v7, v9, v7, vcc
	v_lshlrev_b32_e32 v7, 1, v7
	ds_write_b16 v7, v12
	v_sub_u32_e32 v7, v88, v8
	v_sub_u32_e32 v9, v42, v7
	v_and_b32_e32 v12, 1, v53
	v_add_u32_e32 v9, 21, v9
	v_cmp_eq_u32_e32 vcc, 1, v12
	v_and_b32_e32 v12, 1, v52
	v_or_b32_e32 v53, 0x1000, v0
	v_cndmask_b32_e32 v7, v9, v7, vcc
	v_lshlrev_b32_e32 v7, 1, v7
	ds_write_b16 v7, v33
	v_sub_u32_e32 v7, v89, v8
	v_sub_u32_e32 v9, v42, v7
	v_add_u32_e32 v9, 22, v9
	v_cmp_eq_u32_e32 vcc, 1, v12
	v_and_b32_e32 v12, 1, v51
	v_or_b32_e32 v51, 0x1200, v0
	v_cndmask_b32_e32 v7, v9, v7, vcc
	v_lshlrev_b32_e32 v7, 1, v7
	ds_write_b16 v7, v13
	v_sub_u32_e32 v7, v90, v8
	v_sub_u32_e32 v9, v42, v7
	;; [unrolled: 9-line block ×3, first 2 shown]
	v_add_u32_e32 v9, 24, v9
	v_cmp_eq_u32_e32 vcc, 1, v12
	v_or_b32_e32 v14, 0x3800, v0
	s_waitcnt vmcnt(0)
	v_lshlrev_b64 v[12:13], 1, v[2:3]
	v_cndmask_b32_e32 v7, v9, v7, vcc
	v_lshlrev_b32_e32 v7, 1, v7
	ds_write_b16 v7, v10
	v_sub_u32_e32 v7, v92, v8
	v_sub_u32_e32 v9, v42, v7
	v_and_b32_e32 v10, 1, v49
	v_add_u32_e32 v9, 25, v9
	v_cmp_eq_u32_e32 vcc, 1, v10
	v_and_b32_e32 v10, 1, v48
	v_or_b32_e32 v49, 0x1400, v0
	v_cndmask_b32_e32 v7, v9, v7, vcc
	v_lshlrev_b32_e32 v7, 1, v7
	ds_write_b16 v7, v31
	v_sub_u32_e32 v7, v93, v8
	v_sub_u32_e32 v9, v42, v7
	v_add_u32_e32 v9, 26, v9
	v_cmp_eq_u32_e32 vcc, 1, v10
	v_and_b32_e32 v10, 1, v47
	v_or_b32_e32 v47, 0x1600, v0
	v_cndmask_b32_e32 v7, v9, v7, vcc
	v_lshlrev_b32_e32 v7, 1, v7
	ds_write_b16 v7, v11
	v_sub_u32_e32 v7, v94, v8
	v_sub_u32_e32 v9, v42, v7
	v_add_u32_e32 v9, 27, v9
	v_cmp_eq_u32_e32 vcc, 1, v10
	v_and_b32_e32 v10, 1, v45
	v_or_b32_e32 v31, 0x2600, v0
	v_cndmask_b32_e32 v7, v9, v7, vcc
	v_lshlrev_b32_e32 v7, 1, v7
	ds_write_b16 v7, v30
	v_sub_u32_e32 v7, v95, v8
	v_sub_u32_e32 v9, v42, v7
	v_add_u32_e32 v9, 28, v9
	v_cmp_eq_u32_e32 vcc, 1, v10
	s_nop 1
	v_cndmask_b32_e32 v7, v9, v7, vcc
	v_lshlrev_b32_e32 v7, 1, v7
	ds_write_b16 v7, v5
	v_sub_u32_sdwa v5, v45, v8 dst_sel:DWORD dst_unused:UNUSED_PAD src0_sel:BYTE_0 src1_sel:DWORD
	v_add_u32_e32 v5, v95, v5
	v_sub_u32_e32 v7, v42, v5
	v_and_b32_e32 v9, 1, v46
	v_add_u32_e32 v7, 29, v7
	v_cmp_eq_u32_e32 vcc, 1, v9
	v_or_b32_e32 v45, 0x1800, v0
	s_nop 0
	v_cndmask_b32_e32 v5, v7, v5, vcc
	v_lshlrev_b32_e32 v5, 1, v5
	ds_write_b16 v5, v1
	s_waitcnt lgkmcnt(0)
	s_barrier
	ds_read_u16 v69, v4
	ds_read_u16 v68, v4 offset:1024
	ds_read_u16 v66, v4 offset:2048
	;; [unrolled: 1-line block ×29, first 2 shown]
	v_or_b32_e32 v5, 0x3a00, v0
	s_and_b64 vcc, exec, s[2:3]
	s_cbranch_vccnz .LBB2548_141
; %bb.110:
	v_mov_b32_e32 v9, 0
	v_lshl_add_u64 v[10:11], s[28:29], 0, v[12:13]
	v_lshlrev_b64 v[70:71], 1, v[8:9]
	v_lshl_add_u64 v[10:11], v[10:11], 0, v[70:71]
	v_cmp_lt_u32_e32 vcc, v0, v6
	s_and_saveexec_b64 s[0:1], vcc
	s_cbranch_execnz .LBB2548_178
; %bb.111:
	s_or_b64 exec, exec, s[0:1]
	v_cmp_lt_u32_e32 vcc, v67, v6
	s_and_saveexec_b64 s[0:1], vcc
	s_cbranch_execnz .LBB2548_179
.LBB2548_112:
	s_or_b64 exec, exec, s[0:1]
	v_cmp_lt_u32_e32 vcc, v65, v6
	s_and_saveexec_b64 s[0:1], vcc
	s_cbranch_execnz .LBB2548_180
.LBB2548_113:
	s_or_b64 exec, exec, s[0:1]
	v_cmp_lt_u32_e32 vcc, v63, v6
	s_and_saveexec_b64 s[0:1], vcc
	s_cbranch_execnz .LBB2548_181
.LBB2548_114:
	s_or_b64 exec, exec, s[0:1]
	v_cmp_lt_u32_e32 vcc, v61, v6
	s_and_saveexec_b64 s[0:1], vcc
	s_cbranch_execnz .LBB2548_182
.LBB2548_115:
	s_or_b64 exec, exec, s[0:1]
	v_cmp_lt_u32_e32 vcc, v59, v6
	s_and_saveexec_b64 s[0:1], vcc
	s_cbranch_execnz .LBB2548_183
.LBB2548_116:
	s_or_b64 exec, exec, s[0:1]
	v_cmp_lt_u32_e32 vcc, v57, v6
	s_and_saveexec_b64 s[0:1], vcc
	s_cbranch_execnz .LBB2548_184
.LBB2548_117:
	s_or_b64 exec, exec, s[0:1]
	v_cmp_lt_u32_e32 vcc, v54, v6
	s_and_saveexec_b64 s[0:1], vcc
	s_cbranch_execnz .LBB2548_185
.LBB2548_118:
	s_or_b64 exec, exec, s[0:1]
	v_cmp_lt_u32_e32 vcc, v53, v6
	s_and_saveexec_b64 s[0:1], vcc
	s_cbranch_execnz .LBB2548_186
.LBB2548_119:
	s_or_b64 exec, exec, s[0:1]
	v_cmp_lt_u32_e32 vcc, v51, v6
	s_and_saveexec_b64 s[0:1], vcc
	s_cbranch_execnz .LBB2548_187
.LBB2548_120:
	s_or_b64 exec, exec, s[0:1]
	v_cmp_lt_u32_e32 vcc, v49, v6
	s_and_saveexec_b64 s[0:1], vcc
	s_cbranch_execnz .LBB2548_188
.LBB2548_121:
	s_or_b64 exec, exec, s[0:1]
	v_cmp_lt_u32_e32 vcc, v47, v6
	s_and_saveexec_b64 s[0:1], vcc
	s_cbranch_execnz .LBB2548_189
.LBB2548_122:
	s_or_b64 exec, exec, s[0:1]
	v_cmp_lt_u32_e32 vcc, v45, v6
	s_and_saveexec_b64 s[0:1], vcc
	s_cbranch_execnz .LBB2548_190
.LBB2548_123:
	s_or_b64 exec, exec, s[0:1]
	v_cmp_lt_u32_e32 vcc, v43, v6
	s_and_saveexec_b64 s[0:1], vcc
	s_cbranch_execnz .LBB2548_191
.LBB2548_124:
	s_or_b64 exec, exec, s[0:1]
	v_cmp_lt_u32_e32 vcc, v41, v6
	s_and_saveexec_b64 s[0:1], vcc
	s_cbranch_execnz .LBB2548_192
.LBB2548_125:
	s_or_b64 exec, exec, s[0:1]
	v_cmp_lt_u32_e32 vcc, v38, v6
	s_and_saveexec_b64 s[0:1], vcc
	s_cbranch_execnz .LBB2548_193
.LBB2548_126:
	s_or_b64 exec, exec, s[0:1]
	v_cmp_lt_u32_e32 vcc, v37, v6
	s_and_saveexec_b64 s[0:1], vcc
	s_cbranch_execnz .LBB2548_194
.LBB2548_127:
	s_or_b64 exec, exec, s[0:1]
	v_cmp_lt_u32_e32 vcc, v35, v6
	s_and_saveexec_b64 s[0:1], vcc
	s_cbranch_execnz .LBB2548_195
.LBB2548_128:
	s_or_b64 exec, exec, s[0:1]
	v_cmp_lt_u32_e32 vcc, v33, v6
	s_and_saveexec_b64 s[0:1], vcc
	s_cbranch_execnz .LBB2548_196
.LBB2548_129:
	s_or_b64 exec, exec, s[0:1]
	v_cmp_lt_u32_e32 vcc, v31, v6
	s_and_saveexec_b64 s[0:1], vcc
	s_cbranch_execnz .LBB2548_197
.LBB2548_130:
	s_or_b64 exec, exec, s[0:1]
	v_cmp_lt_u32_e32 vcc, v29, v6
	s_and_saveexec_b64 s[0:1], vcc
	s_cbranch_execnz .LBB2548_198
.LBB2548_131:
	s_or_b64 exec, exec, s[0:1]
	v_cmp_lt_u32_e32 vcc, v27, v6
	s_and_saveexec_b64 s[0:1], vcc
	s_cbranch_execnz .LBB2548_199
.LBB2548_132:
	s_or_b64 exec, exec, s[0:1]
	v_cmp_lt_u32_e32 vcc, v25, v6
	s_and_saveexec_b64 s[0:1], vcc
	s_cbranch_execnz .LBB2548_200
.LBB2548_133:
	s_or_b64 exec, exec, s[0:1]
	v_cmp_lt_u32_e32 vcc, v23, v6
	s_and_saveexec_b64 s[0:1], vcc
	s_cbranch_execnz .LBB2548_201
.LBB2548_134:
	s_or_b64 exec, exec, s[0:1]
	v_cmp_lt_u32_e32 vcc, v21, v6
	s_and_saveexec_b64 s[0:1], vcc
	s_cbranch_execnz .LBB2548_202
.LBB2548_135:
	s_or_b64 exec, exec, s[0:1]
	v_cmp_lt_u32_e32 vcc, v19, v6
	s_and_saveexec_b64 s[0:1], vcc
	s_cbranch_execnz .LBB2548_203
.LBB2548_136:
	s_or_b64 exec, exec, s[0:1]
	v_cmp_lt_u32_e32 vcc, v18, v6
	s_and_saveexec_b64 s[0:1], vcc
	s_cbranch_execnz .LBB2548_204
.LBB2548_137:
	s_or_b64 exec, exec, s[0:1]
	v_cmp_lt_u32_e32 vcc, v16, v6
	s_and_saveexec_b64 s[0:1], vcc
	s_cbranch_execnz .LBB2548_205
.LBB2548_138:
	s_or_b64 exec, exec, s[0:1]
	v_cmp_lt_u32_e32 vcc, v14, v6
	s_and_saveexec_b64 s[0:1], vcc
	s_cbranch_execz .LBB2548_140
.LBB2548_139:
	v_lshlrev_b32_e32 v9, 1, v14
	v_readfirstlane_b32 s2, v10
	v_readfirstlane_b32 s3, v11
	s_waitcnt lgkmcnt(1)
	s_nop 3
	global_store_short v9, v7, s[2:3]
.LBB2548_140:
	s_or_b64 exec, exec, s[0:1]
	v_cmp_lt_u32_e64 s[0:1], v5, v6
	s_branch .LBB2548_173
.LBB2548_141:
	s_mov_b64 s[0:1], 0
                                        ; implicit-def: $vgpr10_vgpr11
	s_cbranch_execz .LBB2548_173
; %bb.142:
	v_mov_b32_e32 v9, 0
	v_min_u32_e32 v70, s33, v6
	v_lshl_add_u64 v[10:11], s[28:29], 0, v[12:13]
	v_lshlrev_b64 v[12:13], 1, v[8:9]
	v_lshl_add_u64 v[10:11], v[10:11], 0, v[12:13]
	v_cmp_gt_u32_e32 vcc, v70, v0
	s_and_saveexec_b64 s[0:1], vcc
	s_cbranch_execnz .LBB2548_206
; %bb.143:
	s_or_b64 exec, exec, s[0:1]
	v_cmp_lt_u32_e32 vcc, v67, v70
	s_and_saveexec_b64 s[0:1], vcc
	s_cbranch_execnz .LBB2548_207
.LBB2548_144:
	s_or_b64 exec, exec, s[0:1]
	v_cmp_lt_u32_e32 vcc, v65, v70
	s_and_saveexec_b64 s[0:1], vcc
	s_cbranch_execnz .LBB2548_208
.LBB2548_145:
	s_or_b64 exec, exec, s[0:1]
	v_cmp_lt_u32_e32 vcc, v63, v70
	s_and_saveexec_b64 s[0:1], vcc
	s_cbranch_execnz .LBB2548_209
.LBB2548_146:
	s_or_b64 exec, exec, s[0:1]
	v_cmp_lt_u32_e32 vcc, v61, v70
	s_and_saveexec_b64 s[0:1], vcc
	s_cbranch_execnz .LBB2548_210
.LBB2548_147:
	s_or_b64 exec, exec, s[0:1]
	v_cmp_lt_u32_e32 vcc, v59, v70
	s_and_saveexec_b64 s[0:1], vcc
	s_cbranch_execnz .LBB2548_211
.LBB2548_148:
	s_or_b64 exec, exec, s[0:1]
	v_cmp_lt_u32_e32 vcc, v57, v70
	s_and_saveexec_b64 s[0:1], vcc
	s_cbranch_execnz .LBB2548_212
.LBB2548_149:
	s_or_b64 exec, exec, s[0:1]
	v_cmp_lt_u32_e32 vcc, v54, v70
	s_and_saveexec_b64 s[0:1], vcc
	s_cbranch_execnz .LBB2548_213
.LBB2548_150:
	s_or_b64 exec, exec, s[0:1]
	v_cmp_lt_u32_e32 vcc, v53, v70
	s_and_saveexec_b64 s[0:1], vcc
	s_cbranch_execnz .LBB2548_214
.LBB2548_151:
	s_or_b64 exec, exec, s[0:1]
	v_cmp_lt_u32_e32 vcc, v51, v70
	s_and_saveexec_b64 s[0:1], vcc
	s_cbranch_execnz .LBB2548_215
.LBB2548_152:
	s_or_b64 exec, exec, s[0:1]
	v_cmp_lt_u32_e32 vcc, v49, v70
	s_and_saveexec_b64 s[0:1], vcc
	s_cbranch_execnz .LBB2548_216
.LBB2548_153:
	s_or_b64 exec, exec, s[0:1]
	v_cmp_lt_u32_e32 vcc, v47, v70
	s_and_saveexec_b64 s[0:1], vcc
	s_cbranch_execnz .LBB2548_217
.LBB2548_154:
	s_or_b64 exec, exec, s[0:1]
	v_cmp_lt_u32_e32 vcc, v45, v70
	s_and_saveexec_b64 s[0:1], vcc
	s_cbranch_execnz .LBB2548_218
.LBB2548_155:
	s_or_b64 exec, exec, s[0:1]
	v_cmp_lt_u32_e32 vcc, v43, v70
	s_and_saveexec_b64 s[0:1], vcc
	s_cbranch_execnz .LBB2548_219
.LBB2548_156:
	s_or_b64 exec, exec, s[0:1]
	v_cmp_lt_u32_e32 vcc, v41, v70
	s_and_saveexec_b64 s[0:1], vcc
	s_cbranch_execnz .LBB2548_220
.LBB2548_157:
	s_or_b64 exec, exec, s[0:1]
	v_cmp_lt_u32_e32 vcc, v38, v70
	s_and_saveexec_b64 s[0:1], vcc
	s_cbranch_execnz .LBB2548_221
.LBB2548_158:
	s_or_b64 exec, exec, s[0:1]
	v_cmp_lt_u32_e32 vcc, v37, v70
	s_and_saveexec_b64 s[0:1], vcc
	s_cbranch_execnz .LBB2548_222
.LBB2548_159:
	s_or_b64 exec, exec, s[0:1]
	v_cmp_lt_u32_e32 vcc, v35, v70
	s_and_saveexec_b64 s[0:1], vcc
	s_cbranch_execnz .LBB2548_223
.LBB2548_160:
	s_or_b64 exec, exec, s[0:1]
	v_cmp_lt_u32_e32 vcc, v33, v70
	s_and_saveexec_b64 s[0:1], vcc
	s_cbranch_execnz .LBB2548_224
.LBB2548_161:
	s_or_b64 exec, exec, s[0:1]
	v_cmp_lt_u32_e32 vcc, v31, v70
	s_and_saveexec_b64 s[0:1], vcc
	s_cbranch_execnz .LBB2548_225
.LBB2548_162:
	s_or_b64 exec, exec, s[0:1]
	v_cmp_lt_u32_e32 vcc, v29, v70
	s_and_saveexec_b64 s[0:1], vcc
	s_cbranch_execnz .LBB2548_226
.LBB2548_163:
	s_or_b64 exec, exec, s[0:1]
	v_cmp_lt_u32_e32 vcc, v27, v70
	s_and_saveexec_b64 s[0:1], vcc
	s_cbranch_execnz .LBB2548_227
.LBB2548_164:
	s_or_b64 exec, exec, s[0:1]
	v_cmp_lt_u32_e32 vcc, v25, v70
	s_and_saveexec_b64 s[0:1], vcc
	s_cbranch_execnz .LBB2548_228
.LBB2548_165:
	s_or_b64 exec, exec, s[0:1]
	v_cmp_lt_u32_e32 vcc, v23, v70
	s_and_saveexec_b64 s[0:1], vcc
	s_cbranch_execnz .LBB2548_229
.LBB2548_166:
	s_or_b64 exec, exec, s[0:1]
	v_cmp_lt_u32_e32 vcc, v21, v70
	s_and_saveexec_b64 s[0:1], vcc
	s_cbranch_execnz .LBB2548_230
.LBB2548_167:
	s_or_b64 exec, exec, s[0:1]
	v_cmp_lt_u32_e32 vcc, v19, v70
	s_and_saveexec_b64 s[0:1], vcc
	s_cbranch_execnz .LBB2548_231
.LBB2548_168:
	s_or_b64 exec, exec, s[0:1]
	v_cmp_lt_u32_e32 vcc, v18, v70
	s_and_saveexec_b64 s[0:1], vcc
	s_cbranch_execnz .LBB2548_232
.LBB2548_169:
	s_or_b64 exec, exec, s[0:1]
	v_cmp_lt_u32_e32 vcc, v16, v70
	s_and_saveexec_b64 s[0:1], vcc
	s_cbranch_execnz .LBB2548_233
.LBB2548_170:
	s_or_b64 exec, exec, s[0:1]
	v_cmp_lt_u32_e32 vcc, v14, v70
	s_and_saveexec_b64 s[0:1], vcc
	s_cbranch_execz .LBB2548_172
.LBB2548_171:
	v_lshlrev_b32_e32 v0, 1, v14
	v_readfirstlane_b32 s2, v10
	v_readfirstlane_b32 s3, v11
	s_waitcnt lgkmcnt(1)
	s_nop 3
	global_store_short v0, v7, s[2:3]
.LBB2548_172:
	s_or_b64 exec, exec, s[0:1]
	v_cmp_lt_u32_e64 s[0:1], v5, v70
.LBB2548_173:
	s_and_saveexec_b64 s[2:3], s[0:1]
	s_cbranch_execnz .LBB2548_176
; %bb.174:
	s_or_b64 exec, exec, s[2:3]
	s_and_b64 s[0:1], s[20:21], s[22:23]
	s_and_saveexec_b64 s[2:3], s[0:1]
	s_cbranch_execnz .LBB2548_177
.LBB2548_175:
	s_endpgm
.LBB2548_176:
	v_lshlrev_b32_e32 v0, 1, v5
	v_readfirstlane_b32 s0, v10
	v_readfirstlane_b32 s1, v11
	s_waitcnt lgkmcnt(0)
	s_nop 3
	global_store_short v0, v1, s[0:1]
	s_or_b64 exec, exec, s[2:3]
	s_and_b64 s[0:1], s[20:21], s[22:23]
	s_and_saveexec_b64 s[2:3], s[0:1]
	s_cbranch_execz .LBB2548_175
.LBB2548_177:
	s_waitcnt lgkmcnt(1)
	v_mov_b32_e32 v7, 0
	s_waitcnt lgkmcnt(0)
	v_lshl_add_u64 v[0:1], v[2:3], 0, v[6:7]
	v_mov_b32_e32 v9, v7
	v_lshl_add_u64 v[0:1], v[0:1], 0, v[8:9]
	global_store_dwordx2 v7, v[0:1], s[24:25]
	s_endpgm
.LBB2548_178:
	v_readfirstlane_b32 s2, v10
	v_readfirstlane_b32 s3, v11
	s_waitcnt lgkmcnt(14)
	s_nop 3
	global_store_short v4, v69, s[2:3]
	s_or_b64 exec, exec, s[0:1]
	v_cmp_lt_u32_e32 vcc, v67, v6
	s_and_saveexec_b64 s[0:1], vcc
	s_cbranch_execz .LBB2548_112
.LBB2548_179:
	v_readfirstlane_b32 s2, v10
	v_readfirstlane_b32 s3, v11
	s_waitcnt lgkmcnt(14)
	s_nop 3
	global_store_short v4, v68, s[2:3] offset:1024
	s_or_b64 exec, exec, s[0:1]
	v_cmp_lt_u32_e32 vcc, v65, v6
	s_and_saveexec_b64 s[0:1], vcc
	s_cbranch_execz .LBB2548_113
.LBB2548_180:
	v_readfirstlane_b32 s2, v10
	v_readfirstlane_b32 s3, v11
	s_waitcnt lgkmcnt(14)
	s_nop 3
	global_store_short v4, v66, s[2:3] offset:2048
	s_or_b64 exec, exec, s[0:1]
	v_cmp_lt_u32_e32 vcc, v63, v6
	s_and_saveexec_b64 s[0:1], vcc
	s_cbranch_execz .LBB2548_114
.LBB2548_181:
	v_readfirstlane_b32 s2, v10
	v_readfirstlane_b32 s3, v11
	s_waitcnt lgkmcnt(14)
	s_nop 3
	global_store_short v4, v64, s[2:3] offset:3072
	s_or_b64 exec, exec, s[0:1]
	v_cmp_lt_u32_e32 vcc, v61, v6
	s_and_saveexec_b64 s[0:1], vcc
	s_cbranch_execz .LBB2548_115
.LBB2548_182:
	v_lshlrev_b32_e32 v9, 1, v61
	v_readfirstlane_b32 s2, v10
	v_readfirstlane_b32 s3, v11
	s_waitcnt lgkmcnt(14)
	s_nop 3
	global_store_short v9, v62, s[2:3]
	s_or_b64 exec, exec, s[0:1]
	v_cmp_lt_u32_e32 vcc, v59, v6
	s_and_saveexec_b64 s[0:1], vcc
	s_cbranch_execz .LBB2548_116
.LBB2548_183:
	v_lshlrev_b32_e32 v9, 1, v59
	v_readfirstlane_b32 s2, v10
	v_readfirstlane_b32 s3, v11
	s_waitcnt lgkmcnt(14)
	s_nop 3
	global_store_short v9, v60, s[2:3]
	s_or_b64 exec, exec, s[0:1]
	v_cmp_lt_u32_e32 vcc, v57, v6
	s_and_saveexec_b64 s[0:1], vcc
	s_cbranch_execz .LBB2548_117
.LBB2548_184:
	v_lshlrev_b32_e32 v9, 1, v57
	v_readfirstlane_b32 s2, v10
	v_readfirstlane_b32 s3, v11
	s_waitcnt lgkmcnt(14)
	s_nop 3
	global_store_short v9, v58, s[2:3]
	s_or_b64 exec, exec, s[0:1]
	v_cmp_lt_u32_e32 vcc, v54, v6
	s_and_saveexec_b64 s[0:1], vcc
	s_cbranch_execz .LBB2548_118
.LBB2548_185:
	v_lshlrev_b32_e32 v9, 1, v54
	v_readfirstlane_b32 s2, v10
	v_readfirstlane_b32 s3, v11
	s_waitcnt lgkmcnt(14)
	s_nop 3
	global_store_short v9, v55, s[2:3]
	s_or_b64 exec, exec, s[0:1]
	v_cmp_lt_u32_e32 vcc, v53, v6
	s_and_saveexec_b64 s[0:1], vcc
	s_cbranch_execz .LBB2548_119
.LBB2548_186:
	v_lshlrev_b32_e32 v9, 1, v53
	v_readfirstlane_b32 s2, v10
	v_readfirstlane_b32 s3, v11
	s_waitcnt lgkmcnt(14)
	s_nop 3
	global_store_short v9, v56, s[2:3]
	s_or_b64 exec, exec, s[0:1]
	v_cmp_lt_u32_e32 vcc, v51, v6
	s_and_saveexec_b64 s[0:1], vcc
	s_cbranch_execz .LBB2548_120
.LBB2548_187:
	v_lshlrev_b32_e32 v9, 1, v51
	v_readfirstlane_b32 s2, v10
	v_readfirstlane_b32 s3, v11
	s_waitcnt lgkmcnt(14)
	s_nop 3
	global_store_short v9, v52, s[2:3]
	s_or_b64 exec, exec, s[0:1]
	v_cmp_lt_u32_e32 vcc, v49, v6
	s_and_saveexec_b64 s[0:1], vcc
	s_cbranch_execz .LBB2548_121
.LBB2548_188:
	v_lshlrev_b32_e32 v9, 1, v49
	v_readfirstlane_b32 s2, v10
	v_readfirstlane_b32 s3, v11
	s_waitcnt lgkmcnt(14)
	s_nop 3
	global_store_short v9, v50, s[2:3]
	s_or_b64 exec, exec, s[0:1]
	v_cmp_lt_u32_e32 vcc, v47, v6
	s_and_saveexec_b64 s[0:1], vcc
	s_cbranch_execz .LBB2548_122
.LBB2548_189:
	v_lshlrev_b32_e32 v9, 1, v47
	v_readfirstlane_b32 s2, v10
	v_readfirstlane_b32 s3, v11
	s_waitcnt lgkmcnt(14)
	s_nop 3
	global_store_short v9, v48, s[2:3]
	s_or_b64 exec, exec, s[0:1]
	v_cmp_lt_u32_e32 vcc, v45, v6
	s_and_saveexec_b64 s[0:1], vcc
	s_cbranch_execz .LBB2548_123
.LBB2548_190:
	v_lshlrev_b32_e32 v9, 1, v45
	v_readfirstlane_b32 s2, v10
	v_readfirstlane_b32 s3, v11
	s_waitcnt lgkmcnt(14)
	s_nop 3
	global_store_short v9, v46, s[2:3]
	s_or_b64 exec, exec, s[0:1]
	v_cmp_lt_u32_e32 vcc, v43, v6
	s_and_saveexec_b64 s[0:1], vcc
	s_cbranch_execz .LBB2548_124
.LBB2548_191:
	v_lshlrev_b32_e32 v9, 1, v43
	v_readfirstlane_b32 s2, v10
	v_readfirstlane_b32 s3, v11
	s_waitcnt lgkmcnt(14)
	s_nop 3
	global_store_short v9, v44, s[2:3]
	s_or_b64 exec, exec, s[0:1]
	v_cmp_lt_u32_e32 vcc, v41, v6
	s_and_saveexec_b64 s[0:1], vcc
	s_cbranch_execz .LBB2548_125
.LBB2548_192:
	v_lshlrev_b32_e32 v9, 1, v41
	v_readfirstlane_b32 s2, v10
	v_readfirstlane_b32 s3, v11
	s_waitcnt lgkmcnt(14)
	s_nop 3
	global_store_short v9, v42, s[2:3]
	s_or_b64 exec, exec, s[0:1]
	v_cmp_lt_u32_e32 vcc, v38, v6
	s_and_saveexec_b64 s[0:1], vcc
	s_cbranch_execz .LBB2548_126
.LBB2548_193:
	v_lshlrev_b32_e32 v9, 1, v38
	v_readfirstlane_b32 s2, v10
	v_readfirstlane_b32 s3, v11
	s_waitcnt lgkmcnt(14)
	s_nop 3
	global_store_short v9, v39, s[2:3]
	s_or_b64 exec, exec, s[0:1]
	v_cmp_lt_u32_e32 vcc, v37, v6
	s_and_saveexec_b64 s[0:1], vcc
	s_cbranch_execz .LBB2548_127
.LBB2548_194:
	v_lshlrev_b32_e32 v9, 1, v37
	v_readfirstlane_b32 s2, v10
	v_readfirstlane_b32 s3, v11
	s_waitcnt lgkmcnt(13)
	s_nop 3
	global_store_short v9, v40, s[2:3]
	s_or_b64 exec, exec, s[0:1]
	v_cmp_lt_u32_e32 vcc, v35, v6
	s_and_saveexec_b64 s[0:1], vcc
	s_cbranch_execz .LBB2548_128
.LBB2548_195:
	v_lshlrev_b32_e32 v9, 1, v35
	v_readfirstlane_b32 s2, v10
	v_readfirstlane_b32 s3, v11
	s_waitcnt lgkmcnt(12)
	s_nop 3
	global_store_short v9, v36, s[2:3]
	s_or_b64 exec, exec, s[0:1]
	v_cmp_lt_u32_e32 vcc, v33, v6
	s_and_saveexec_b64 s[0:1], vcc
	s_cbranch_execz .LBB2548_129
.LBB2548_196:
	v_lshlrev_b32_e32 v9, 1, v33
	v_readfirstlane_b32 s2, v10
	v_readfirstlane_b32 s3, v11
	s_waitcnt lgkmcnt(11)
	s_nop 3
	global_store_short v9, v34, s[2:3]
	s_or_b64 exec, exec, s[0:1]
	v_cmp_lt_u32_e32 vcc, v31, v6
	s_and_saveexec_b64 s[0:1], vcc
	s_cbranch_execz .LBB2548_130
.LBB2548_197:
	v_lshlrev_b32_e32 v9, 1, v31
	v_readfirstlane_b32 s2, v10
	v_readfirstlane_b32 s3, v11
	s_waitcnt lgkmcnt(10)
	s_nop 3
	global_store_short v9, v32, s[2:3]
	s_or_b64 exec, exec, s[0:1]
	v_cmp_lt_u32_e32 vcc, v29, v6
	s_and_saveexec_b64 s[0:1], vcc
	s_cbranch_execz .LBB2548_131
.LBB2548_198:
	v_lshlrev_b32_e32 v9, 1, v29
	v_readfirstlane_b32 s2, v10
	v_readfirstlane_b32 s3, v11
	s_waitcnt lgkmcnt(9)
	s_nop 3
	global_store_short v9, v30, s[2:3]
	s_or_b64 exec, exec, s[0:1]
	v_cmp_lt_u32_e32 vcc, v27, v6
	s_and_saveexec_b64 s[0:1], vcc
	s_cbranch_execz .LBB2548_132
.LBB2548_199:
	v_lshlrev_b32_e32 v9, 1, v27
	v_readfirstlane_b32 s2, v10
	v_readfirstlane_b32 s3, v11
	s_waitcnt lgkmcnt(8)
	s_nop 3
	global_store_short v9, v28, s[2:3]
	s_or_b64 exec, exec, s[0:1]
	v_cmp_lt_u32_e32 vcc, v25, v6
	s_and_saveexec_b64 s[0:1], vcc
	s_cbranch_execz .LBB2548_133
.LBB2548_200:
	v_lshlrev_b32_e32 v9, 1, v25
	v_readfirstlane_b32 s2, v10
	v_readfirstlane_b32 s3, v11
	s_waitcnt lgkmcnt(7)
	s_nop 3
	global_store_short v9, v26, s[2:3]
	s_or_b64 exec, exec, s[0:1]
	v_cmp_lt_u32_e32 vcc, v23, v6
	s_and_saveexec_b64 s[0:1], vcc
	s_cbranch_execz .LBB2548_134
.LBB2548_201:
	v_lshlrev_b32_e32 v9, 1, v23
	v_readfirstlane_b32 s2, v10
	v_readfirstlane_b32 s3, v11
	s_waitcnt lgkmcnt(6)
	s_nop 3
	global_store_short v9, v24, s[2:3]
	s_or_b64 exec, exec, s[0:1]
	v_cmp_lt_u32_e32 vcc, v21, v6
	s_and_saveexec_b64 s[0:1], vcc
	s_cbranch_execz .LBB2548_135
.LBB2548_202:
	v_lshlrev_b32_e32 v9, 1, v21
	v_readfirstlane_b32 s2, v10
	v_readfirstlane_b32 s3, v11
	s_waitcnt lgkmcnt(5)
	s_nop 3
	global_store_short v9, v22, s[2:3]
	s_or_b64 exec, exec, s[0:1]
	v_cmp_lt_u32_e32 vcc, v19, v6
	s_and_saveexec_b64 s[0:1], vcc
	s_cbranch_execz .LBB2548_136
.LBB2548_203:
	v_lshlrev_b32_e32 v9, 1, v19
	v_readfirstlane_b32 s2, v10
	v_readfirstlane_b32 s3, v11
	s_waitcnt lgkmcnt(4)
	s_nop 3
	global_store_short v9, v20, s[2:3]
	s_or_b64 exec, exec, s[0:1]
	v_cmp_lt_u32_e32 vcc, v18, v6
	s_and_saveexec_b64 s[0:1], vcc
	s_cbranch_execz .LBB2548_137
.LBB2548_204:
	v_lshlrev_b32_e32 v9, 1, v18
	v_readfirstlane_b32 s2, v10
	v_readfirstlane_b32 s3, v11
	s_waitcnt lgkmcnt(3)
	s_nop 3
	global_store_short v9, v17, s[2:3]
	s_or_b64 exec, exec, s[0:1]
	v_cmp_lt_u32_e32 vcc, v16, v6
	s_and_saveexec_b64 s[0:1], vcc
	s_cbranch_execz .LBB2548_138
.LBB2548_205:
	v_lshlrev_b32_e32 v9, 1, v16
	v_readfirstlane_b32 s2, v10
	v_readfirstlane_b32 s3, v11
	s_waitcnt lgkmcnt(2)
	s_nop 3
	global_store_short v9, v15, s[2:3]
	s_or_b64 exec, exec, s[0:1]
	v_cmp_lt_u32_e32 vcc, v14, v6
	s_and_saveexec_b64 s[0:1], vcc
	s_cbranch_execnz .LBB2548_139
	s_branch .LBB2548_140
.LBB2548_206:
	v_readfirstlane_b32 s2, v10
	v_readfirstlane_b32 s3, v11
	s_waitcnt lgkmcnt(14)
	s_nop 3
	global_store_short v4, v69, s[2:3]
	s_or_b64 exec, exec, s[0:1]
	v_cmp_lt_u32_e32 vcc, v67, v70
	s_and_saveexec_b64 s[0:1], vcc
	s_cbranch_execz .LBB2548_144
.LBB2548_207:
	v_readfirstlane_b32 s2, v10
	v_readfirstlane_b32 s3, v11
	s_waitcnt lgkmcnt(14)
	s_nop 3
	global_store_short v4, v68, s[2:3] offset:1024
	s_or_b64 exec, exec, s[0:1]
	v_cmp_lt_u32_e32 vcc, v65, v70
	s_and_saveexec_b64 s[0:1], vcc
	s_cbranch_execz .LBB2548_145
.LBB2548_208:
	v_readfirstlane_b32 s2, v10
	v_readfirstlane_b32 s3, v11
	s_waitcnt lgkmcnt(14)
	s_nop 3
	global_store_short v4, v66, s[2:3] offset:2048
	s_or_b64 exec, exec, s[0:1]
	v_cmp_lt_u32_e32 vcc, v63, v70
	s_and_saveexec_b64 s[0:1], vcc
	s_cbranch_execz .LBB2548_146
.LBB2548_209:
	v_readfirstlane_b32 s2, v10
	v_readfirstlane_b32 s3, v11
	s_waitcnt lgkmcnt(14)
	s_nop 3
	global_store_short v4, v64, s[2:3] offset:3072
	s_or_b64 exec, exec, s[0:1]
	v_cmp_lt_u32_e32 vcc, v61, v70
	s_and_saveexec_b64 s[0:1], vcc
	s_cbranch_execz .LBB2548_147
.LBB2548_210:
	v_lshlrev_b32_e32 v0, 1, v61
	v_readfirstlane_b32 s2, v10
	v_readfirstlane_b32 s3, v11
	s_waitcnt lgkmcnt(14)
	s_nop 3
	global_store_short v0, v62, s[2:3]
	s_or_b64 exec, exec, s[0:1]
	v_cmp_lt_u32_e32 vcc, v59, v70
	s_and_saveexec_b64 s[0:1], vcc
	s_cbranch_execz .LBB2548_148
.LBB2548_211:
	v_lshlrev_b32_e32 v0, 1, v59
	v_readfirstlane_b32 s2, v10
	v_readfirstlane_b32 s3, v11
	s_waitcnt lgkmcnt(14)
	s_nop 3
	global_store_short v0, v60, s[2:3]
	s_or_b64 exec, exec, s[0:1]
	v_cmp_lt_u32_e32 vcc, v57, v70
	s_and_saveexec_b64 s[0:1], vcc
	s_cbranch_execz .LBB2548_149
.LBB2548_212:
	v_lshlrev_b32_e32 v0, 1, v57
	v_readfirstlane_b32 s2, v10
	v_readfirstlane_b32 s3, v11
	s_waitcnt lgkmcnt(14)
	s_nop 3
	global_store_short v0, v58, s[2:3]
	s_or_b64 exec, exec, s[0:1]
	v_cmp_lt_u32_e32 vcc, v54, v70
	s_and_saveexec_b64 s[0:1], vcc
	s_cbranch_execz .LBB2548_150
.LBB2548_213:
	v_lshlrev_b32_e32 v0, 1, v54
	v_readfirstlane_b32 s2, v10
	v_readfirstlane_b32 s3, v11
	s_waitcnt lgkmcnt(14)
	s_nop 3
	global_store_short v0, v55, s[2:3]
	s_or_b64 exec, exec, s[0:1]
	v_cmp_lt_u32_e32 vcc, v53, v70
	s_and_saveexec_b64 s[0:1], vcc
	s_cbranch_execz .LBB2548_151
.LBB2548_214:
	v_lshlrev_b32_e32 v0, 1, v53
	v_readfirstlane_b32 s2, v10
	v_readfirstlane_b32 s3, v11
	s_waitcnt lgkmcnt(14)
	s_nop 3
	global_store_short v0, v56, s[2:3]
	s_or_b64 exec, exec, s[0:1]
	v_cmp_lt_u32_e32 vcc, v51, v70
	s_and_saveexec_b64 s[0:1], vcc
	s_cbranch_execz .LBB2548_152
.LBB2548_215:
	v_lshlrev_b32_e32 v0, 1, v51
	v_readfirstlane_b32 s2, v10
	v_readfirstlane_b32 s3, v11
	s_waitcnt lgkmcnt(14)
	s_nop 3
	global_store_short v0, v52, s[2:3]
	s_or_b64 exec, exec, s[0:1]
	v_cmp_lt_u32_e32 vcc, v49, v70
	s_and_saveexec_b64 s[0:1], vcc
	s_cbranch_execz .LBB2548_153
.LBB2548_216:
	v_lshlrev_b32_e32 v0, 1, v49
	v_readfirstlane_b32 s2, v10
	v_readfirstlane_b32 s3, v11
	s_waitcnt lgkmcnt(14)
	s_nop 3
	global_store_short v0, v50, s[2:3]
	s_or_b64 exec, exec, s[0:1]
	v_cmp_lt_u32_e32 vcc, v47, v70
	s_and_saveexec_b64 s[0:1], vcc
	s_cbranch_execz .LBB2548_154
.LBB2548_217:
	v_lshlrev_b32_e32 v0, 1, v47
	v_readfirstlane_b32 s2, v10
	v_readfirstlane_b32 s3, v11
	s_waitcnt lgkmcnt(14)
	s_nop 3
	global_store_short v0, v48, s[2:3]
	s_or_b64 exec, exec, s[0:1]
	v_cmp_lt_u32_e32 vcc, v45, v70
	s_and_saveexec_b64 s[0:1], vcc
	s_cbranch_execz .LBB2548_155
.LBB2548_218:
	v_lshlrev_b32_e32 v0, 1, v45
	v_readfirstlane_b32 s2, v10
	v_readfirstlane_b32 s3, v11
	s_waitcnt lgkmcnt(14)
	s_nop 3
	global_store_short v0, v46, s[2:3]
	s_or_b64 exec, exec, s[0:1]
	v_cmp_lt_u32_e32 vcc, v43, v70
	s_and_saveexec_b64 s[0:1], vcc
	s_cbranch_execz .LBB2548_156
.LBB2548_219:
	v_lshlrev_b32_e32 v0, 1, v43
	v_readfirstlane_b32 s2, v10
	v_readfirstlane_b32 s3, v11
	s_waitcnt lgkmcnt(14)
	s_nop 3
	global_store_short v0, v44, s[2:3]
	s_or_b64 exec, exec, s[0:1]
	v_cmp_lt_u32_e32 vcc, v41, v70
	s_and_saveexec_b64 s[0:1], vcc
	s_cbranch_execz .LBB2548_157
.LBB2548_220:
	v_lshlrev_b32_e32 v0, 1, v41
	v_readfirstlane_b32 s2, v10
	v_readfirstlane_b32 s3, v11
	s_waitcnt lgkmcnt(14)
	s_nop 3
	global_store_short v0, v42, s[2:3]
	s_or_b64 exec, exec, s[0:1]
	v_cmp_lt_u32_e32 vcc, v38, v70
	s_and_saveexec_b64 s[0:1], vcc
	s_cbranch_execz .LBB2548_158
.LBB2548_221:
	v_lshlrev_b32_e32 v0, 1, v38
	v_readfirstlane_b32 s2, v10
	v_readfirstlane_b32 s3, v11
	s_waitcnt lgkmcnt(14)
	s_nop 3
	global_store_short v0, v39, s[2:3]
	s_or_b64 exec, exec, s[0:1]
	v_cmp_lt_u32_e32 vcc, v37, v70
	s_and_saveexec_b64 s[0:1], vcc
	s_cbranch_execz .LBB2548_159
.LBB2548_222:
	v_lshlrev_b32_e32 v0, 1, v37
	v_readfirstlane_b32 s2, v10
	v_readfirstlane_b32 s3, v11
	s_waitcnt lgkmcnt(13)
	s_nop 3
	global_store_short v0, v40, s[2:3]
	s_or_b64 exec, exec, s[0:1]
	v_cmp_lt_u32_e32 vcc, v35, v70
	s_and_saveexec_b64 s[0:1], vcc
	s_cbranch_execz .LBB2548_160
.LBB2548_223:
	v_lshlrev_b32_e32 v0, 1, v35
	v_readfirstlane_b32 s2, v10
	v_readfirstlane_b32 s3, v11
	s_waitcnt lgkmcnt(12)
	s_nop 3
	global_store_short v0, v36, s[2:3]
	s_or_b64 exec, exec, s[0:1]
	v_cmp_lt_u32_e32 vcc, v33, v70
	s_and_saveexec_b64 s[0:1], vcc
	s_cbranch_execz .LBB2548_161
.LBB2548_224:
	v_lshlrev_b32_e32 v0, 1, v33
	v_readfirstlane_b32 s2, v10
	v_readfirstlane_b32 s3, v11
	s_waitcnt lgkmcnt(11)
	s_nop 3
	global_store_short v0, v34, s[2:3]
	s_or_b64 exec, exec, s[0:1]
	v_cmp_lt_u32_e32 vcc, v31, v70
	s_and_saveexec_b64 s[0:1], vcc
	s_cbranch_execz .LBB2548_162
.LBB2548_225:
	v_lshlrev_b32_e32 v0, 1, v31
	v_readfirstlane_b32 s2, v10
	v_readfirstlane_b32 s3, v11
	s_waitcnt lgkmcnt(10)
	s_nop 3
	global_store_short v0, v32, s[2:3]
	s_or_b64 exec, exec, s[0:1]
	v_cmp_lt_u32_e32 vcc, v29, v70
	s_and_saveexec_b64 s[0:1], vcc
	s_cbranch_execz .LBB2548_163
.LBB2548_226:
	v_lshlrev_b32_e32 v0, 1, v29
	v_readfirstlane_b32 s2, v10
	v_readfirstlane_b32 s3, v11
	s_waitcnt lgkmcnt(9)
	s_nop 3
	global_store_short v0, v30, s[2:3]
	s_or_b64 exec, exec, s[0:1]
	v_cmp_lt_u32_e32 vcc, v27, v70
	s_and_saveexec_b64 s[0:1], vcc
	s_cbranch_execz .LBB2548_164
.LBB2548_227:
	v_lshlrev_b32_e32 v0, 1, v27
	v_readfirstlane_b32 s2, v10
	v_readfirstlane_b32 s3, v11
	s_waitcnt lgkmcnt(8)
	s_nop 3
	global_store_short v0, v28, s[2:3]
	s_or_b64 exec, exec, s[0:1]
	v_cmp_lt_u32_e32 vcc, v25, v70
	s_and_saveexec_b64 s[0:1], vcc
	s_cbranch_execz .LBB2548_165
.LBB2548_228:
	v_lshlrev_b32_e32 v0, 1, v25
	v_readfirstlane_b32 s2, v10
	v_readfirstlane_b32 s3, v11
	s_waitcnt lgkmcnt(7)
	s_nop 3
	global_store_short v0, v26, s[2:3]
	s_or_b64 exec, exec, s[0:1]
	v_cmp_lt_u32_e32 vcc, v23, v70
	s_and_saveexec_b64 s[0:1], vcc
	s_cbranch_execz .LBB2548_166
.LBB2548_229:
	v_lshlrev_b32_e32 v0, 1, v23
	v_readfirstlane_b32 s2, v10
	v_readfirstlane_b32 s3, v11
	s_waitcnt lgkmcnt(6)
	s_nop 3
	global_store_short v0, v24, s[2:3]
	s_or_b64 exec, exec, s[0:1]
	v_cmp_lt_u32_e32 vcc, v21, v70
	s_and_saveexec_b64 s[0:1], vcc
	s_cbranch_execz .LBB2548_167
.LBB2548_230:
	v_lshlrev_b32_e32 v0, 1, v21
	v_readfirstlane_b32 s2, v10
	v_readfirstlane_b32 s3, v11
	s_waitcnt lgkmcnt(5)
	s_nop 3
	global_store_short v0, v22, s[2:3]
	s_or_b64 exec, exec, s[0:1]
	v_cmp_lt_u32_e32 vcc, v19, v70
	s_and_saveexec_b64 s[0:1], vcc
	s_cbranch_execz .LBB2548_168
.LBB2548_231:
	v_lshlrev_b32_e32 v0, 1, v19
	v_readfirstlane_b32 s2, v10
	v_readfirstlane_b32 s3, v11
	s_waitcnt lgkmcnt(4)
	s_nop 3
	global_store_short v0, v20, s[2:3]
	s_or_b64 exec, exec, s[0:1]
	v_cmp_lt_u32_e32 vcc, v18, v70
	s_and_saveexec_b64 s[0:1], vcc
	s_cbranch_execz .LBB2548_169
.LBB2548_232:
	v_lshlrev_b32_e32 v0, 1, v18
	v_readfirstlane_b32 s2, v10
	v_readfirstlane_b32 s3, v11
	s_waitcnt lgkmcnt(3)
	s_nop 3
	global_store_short v0, v17, s[2:3]
	s_or_b64 exec, exec, s[0:1]
	v_cmp_lt_u32_e32 vcc, v16, v70
	s_and_saveexec_b64 s[0:1], vcc
	s_cbranch_execz .LBB2548_170
.LBB2548_233:
	v_lshlrev_b32_e32 v0, 1, v16
	v_readfirstlane_b32 s2, v10
	v_readfirstlane_b32 s3, v11
	s_waitcnt lgkmcnt(2)
	s_nop 3
	global_store_short v0, v15, s[2:3]
	s_or_b64 exec, exec, s[0:1]
	v_cmp_lt_u32_e32 vcc, v14, v70
	s_and_saveexec_b64 s[0:1], vcc
	s_cbranch_execnz .LBB2548_171
	s_branch .LBB2548_172
	.section	.rodata,"a",@progbits
	.p2align	6, 0x0
	.amdhsa_kernel _ZN7rocprim17ROCPRIM_400000_NS6detail17trampoline_kernelINS0_14default_configENS1_25partition_config_selectorILNS1_17partition_subalgoE0EtNS0_10empty_typeEbEEZZNS1_14partition_implILS5_0ELb0ES3_jN6thrust23THRUST_200600_302600_NS6detail15normal_iteratorINSA_10device_ptrItEEEEPS6_SG_NS0_5tupleIJSF_NSA_16discard_iteratorINSA_11use_defaultEEEEEENSH_IJSG_SG_EEES6_PlJ7is_evenItEEEE10hipError_tPvRmT3_T4_T5_T6_T7_T9_mT8_P12ihipStream_tbDpT10_ENKUlT_T0_E_clISt17integral_constantIbLb0EES18_IbLb1EEEEDaS14_S15_EUlS14_E_NS1_11comp_targetILNS1_3genE5ELNS1_11target_archE942ELNS1_3gpuE9ELNS1_3repE0EEENS1_30default_config_static_selectorELNS0_4arch9wavefront6targetE1EEEvT1_
		.amdhsa_group_segment_fixed_size 30728
		.amdhsa_private_segment_fixed_size 0
		.amdhsa_kernarg_size 144
		.amdhsa_user_sgpr_count 2
		.amdhsa_user_sgpr_dispatch_ptr 0
		.amdhsa_user_sgpr_queue_ptr 0
		.amdhsa_user_sgpr_kernarg_segment_ptr 1
		.amdhsa_user_sgpr_dispatch_id 0
		.amdhsa_user_sgpr_kernarg_preload_length 0
		.amdhsa_user_sgpr_kernarg_preload_offset 0
		.amdhsa_user_sgpr_private_segment_size 0
		.amdhsa_uses_dynamic_stack 0
		.amdhsa_enable_private_segment 0
		.amdhsa_system_sgpr_workgroup_id_x 1
		.amdhsa_system_sgpr_workgroup_id_y 0
		.amdhsa_system_sgpr_workgroup_id_z 0
		.amdhsa_system_sgpr_workgroup_info 0
		.amdhsa_system_vgpr_workitem_id 0
		.amdhsa_next_free_vgpr 122
		.amdhsa_next_free_sgpr 40
		.amdhsa_accum_offset 124
		.amdhsa_reserve_vcc 1
		.amdhsa_float_round_mode_32 0
		.amdhsa_float_round_mode_16_64 0
		.amdhsa_float_denorm_mode_32 3
		.amdhsa_float_denorm_mode_16_64 3
		.amdhsa_dx10_clamp 1
		.amdhsa_ieee_mode 1
		.amdhsa_fp16_overflow 0
		.amdhsa_tg_split 0
		.amdhsa_exception_fp_ieee_invalid_op 0
		.amdhsa_exception_fp_denorm_src 0
		.amdhsa_exception_fp_ieee_div_zero 0
		.amdhsa_exception_fp_ieee_overflow 0
		.amdhsa_exception_fp_ieee_underflow 0
		.amdhsa_exception_fp_ieee_inexact 0
		.amdhsa_exception_int_div_zero 0
	.end_amdhsa_kernel
	.section	.text._ZN7rocprim17ROCPRIM_400000_NS6detail17trampoline_kernelINS0_14default_configENS1_25partition_config_selectorILNS1_17partition_subalgoE0EtNS0_10empty_typeEbEEZZNS1_14partition_implILS5_0ELb0ES3_jN6thrust23THRUST_200600_302600_NS6detail15normal_iteratorINSA_10device_ptrItEEEEPS6_SG_NS0_5tupleIJSF_NSA_16discard_iteratorINSA_11use_defaultEEEEEENSH_IJSG_SG_EEES6_PlJ7is_evenItEEEE10hipError_tPvRmT3_T4_T5_T6_T7_T9_mT8_P12ihipStream_tbDpT10_ENKUlT_T0_E_clISt17integral_constantIbLb0EES18_IbLb1EEEEDaS14_S15_EUlS14_E_NS1_11comp_targetILNS1_3genE5ELNS1_11target_archE942ELNS1_3gpuE9ELNS1_3repE0EEENS1_30default_config_static_selectorELNS0_4arch9wavefront6targetE1EEEvT1_,"axG",@progbits,_ZN7rocprim17ROCPRIM_400000_NS6detail17trampoline_kernelINS0_14default_configENS1_25partition_config_selectorILNS1_17partition_subalgoE0EtNS0_10empty_typeEbEEZZNS1_14partition_implILS5_0ELb0ES3_jN6thrust23THRUST_200600_302600_NS6detail15normal_iteratorINSA_10device_ptrItEEEEPS6_SG_NS0_5tupleIJSF_NSA_16discard_iteratorINSA_11use_defaultEEEEEENSH_IJSG_SG_EEES6_PlJ7is_evenItEEEE10hipError_tPvRmT3_T4_T5_T6_T7_T9_mT8_P12ihipStream_tbDpT10_ENKUlT_T0_E_clISt17integral_constantIbLb0EES18_IbLb1EEEEDaS14_S15_EUlS14_E_NS1_11comp_targetILNS1_3genE5ELNS1_11target_archE942ELNS1_3gpuE9ELNS1_3repE0EEENS1_30default_config_static_selectorELNS0_4arch9wavefront6targetE1EEEvT1_,comdat
.Lfunc_end2548:
	.size	_ZN7rocprim17ROCPRIM_400000_NS6detail17trampoline_kernelINS0_14default_configENS1_25partition_config_selectorILNS1_17partition_subalgoE0EtNS0_10empty_typeEbEEZZNS1_14partition_implILS5_0ELb0ES3_jN6thrust23THRUST_200600_302600_NS6detail15normal_iteratorINSA_10device_ptrItEEEEPS6_SG_NS0_5tupleIJSF_NSA_16discard_iteratorINSA_11use_defaultEEEEEENSH_IJSG_SG_EEES6_PlJ7is_evenItEEEE10hipError_tPvRmT3_T4_T5_T6_T7_T9_mT8_P12ihipStream_tbDpT10_ENKUlT_T0_E_clISt17integral_constantIbLb0EES18_IbLb1EEEEDaS14_S15_EUlS14_E_NS1_11comp_targetILNS1_3genE5ELNS1_11target_archE942ELNS1_3gpuE9ELNS1_3repE0EEENS1_30default_config_static_selectorELNS0_4arch9wavefront6targetE1EEEvT1_, .Lfunc_end2548-_ZN7rocprim17ROCPRIM_400000_NS6detail17trampoline_kernelINS0_14default_configENS1_25partition_config_selectorILNS1_17partition_subalgoE0EtNS0_10empty_typeEbEEZZNS1_14partition_implILS5_0ELb0ES3_jN6thrust23THRUST_200600_302600_NS6detail15normal_iteratorINSA_10device_ptrItEEEEPS6_SG_NS0_5tupleIJSF_NSA_16discard_iteratorINSA_11use_defaultEEEEEENSH_IJSG_SG_EEES6_PlJ7is_evenItEEEE10hipError_tPvRmT3_T4_T5_T6_T7_T9_mT8_P12ihipStream_tbDpT10_ENKUlT_T0_E_clISt17integral_constantIbLb0EES18_IbLb1EEEEDaS14_S15_EUlS14_E_NS1_11comp_targetILNS1_3genE5ELNS1_11target_archE942ELNS1_3gpuE9ELNS1_3repE0EEENS1_30default_config_static_selectorELNS0_4arch9wavefront6targetE1EEEvT1_
                                        ; -- End function
	.section	.AMDGPU.csdata,"",@progbits
; Kernel info:
; codeLenInByte = 11324
; NumSgprs: 46
; NumVgprs: 122
; NumAgprs: 0
; TotalNumVgprs: 122
; ScratchSize: 0
; MemoryBound: 0
; FloatMode: 240
; IeeeMode: 1
; LDSByteSize: 30728 bytes/workgroup (compile time only)
; SGPRBlocks: 5
; VGPRBlocks: 15
; NumSGPRsForWavesPerEU: 46
; NumVGPRsForWavesPerEU: 122
; AccumOffset: 124
; Occupancy: 4
; WaveLimiterHint : 1
; COMPUTE_PGM_RSRC2:SCRATCH_EN: 0
; COMPUTE_PGM_RSRC2:USER_SGPR: 2
; COMPUTE_PGM_RSRC2:TRAP_HANDLER: 0
; COMPUTE_PGM_RSRC2:TGID_X_EN: 1
; COMPUTE_PGM_RSRC2:TGID_Y_EN: 0
; COMPUTE_PGM_RSRC2:TGID_Z_EN: 0
; COMPUTE_PGM_RSRC2:TIDIG_COMP_CNT: 0
; COMPUTE_PGM_RSRC3_GFX90A:ACCUM_OFFSET: 30
; COMPUTE_PGM_RSRC3_GFX90A:TG_SPLIT: 0
	.section	.text._ZN7rocprim17ROCPRIM_400000_NS6detail17trampoline_kernelINS0_14default_configENS1_25partition_config_selectorILNS1_17partition_subalgoE0EtNS0_10empty_typeEbEEZZNS1_14partition_implILS5_0ELb0ES3_jN6thrust23THRUST_200600_302600_NS6detail15normal_iteratorINSA_10device_ptrItEEEEPS6_SG_NS0_5tupleIJSF_NSA_16discard_iteratorINSA_11use_defaultEEEEEENSH_IJSG_SG_EEES6_PlJ7is_evenItEEEE10hipError_tPvRmT3_T4_T5_T6_T7_T9_mT8_P12ihipStream_tbDpT10_ENKUlT_T0_E_clISt17integral_constantIbLb0EES18_IbLb1EEEEDaS14_S15_EUlS14_E_NS1_11comp_targetILNS1_3genE4ELNS1_11target_archE910ELNS1_3gpuE8ELNS1_3repE0EEENS1_30default_config_static_selectorELNS0_4arch9wavefront6targetE1EEEvT1_,"axG",@progbits,_ZN7rocprim17ROCPRIM_400000_NS6detail17trampoline_kernelINS0_14default_configENS1_25partition_config_selectorILNS1_17partition_subalgoE0EtNS0_10empty_typeEbEEZZNS1_14partition_implILS5_0ELb0ES3_jN6thrust23THRUST_200600_302600_NS6detail15normal_iteratorINSA_10device_ptrItEEEEPS6_SG_NS0_5tupleIJSF_NSA_16discard_iteratorINSA_11use_defaultEEEEEENSH_IJSG_SG_EEES6_PlJ7is_evenItEEEE10hipError_tPvRmT3_T4_T5_T6_T7_T9_mT8_P12ihipStream_tbDpT10_ENKUlT_T0_E_clISt17integral_constantIbLb0EES18_IbLb1EEEEDaS14_S15_EUlS14_E_NS1_11comp_targetILNS1_3genE4ELNS1_11target_archE910ELNS1_3gpuE8ELNS1_3repE0EEENS1_30default_config_static_selectorELNS0_4arch9wavefront6targetE1EEEvT1_,comdat
	.protected	_ZN7rocprim17ROCPRIM_400000_NS6detail17trampoline_kernelINS0_14default_configENS1_25partition_config_selectorILNS1_17partition_subalgoE0EtNS0_10empty_typeEbEEZZNS1_14partition_implILS5_0ELb0ES3_jN6thrust23THRUST_200600_302600_NS6detail15normal_iteratorINSA_10device_ptrItEEEEPS6_SG_NS0_5tupleIJSF_NSA_16discard_iteratorINSA_11use_defaultEEEEEENSH_IJSG_SG_EEES6_PlJ7is_evenItEEEE10hipError_tPvRmT3_T4_T5_T6_T7_T9_mT8_P12ihipStream_tbDpT10_ENKUlT_T0_E_clISt17integral_constantIbLb0EES18_IbLb1EEEEDaS14_S15_EUlS14_E_NS1_11comp_targetILNS1_3genE4ELNS1_11target_archE910ELNS1_3gpuE8ELNS1_3repE0EEENS1_30default_config_static_selectorELNS0_4arch9wavefront6targetE1EEEvT1_ ; -- Begin function _ZN7rocprim17ROCPRIM_400000_NS6detail17trampoline_kernelINS0_14default_configENS1_25partition_config_selectorILNS1_17partition_subalgoE0EtNS0_10empty_typeEbEEZZNS1_14partition_implILS5_0ELb0ES3_jN6thrust23THRUST_200600_302600_NS6detail15normal_iteratorINSA_10device_ptrItEEEEPS6_SG_NS0_5tupleIJSF_NSA_16discard_iteratorINSA_11use_defaultEEEEEENSH_IJSG_SG_EEES6_PlJ7is_evenItEEEE10hipError_tPvRmT3_T4_T5_T6_T7_T9_mT8_P12ihipStream_tbDpT10_ENKUlT_T0_E_clISt17integral_constantIbLb0EES18_IbLb1EEEEDaS14_S15_EUlS14_E_NS1_11comp_targetILNS1_3genE4ELNS1_11target_archE910ELNS1_3gpuE8ELNS1_3repE0EEENS1_30default_config_static_selectorELNS0_4arch9wavefront6targetE1EEEvT1_
	.globl	_ZN7rocprim17ROCPRIM_400000_NS6detail17trampoline_kernelINS0_14default_configENS1_25partition_config_selectorILNS1_17partition_subalgoE0EtNS0_10empty_typeEbEEZZNS1_14partition_implILS5_0ELb0ES3_jN6thrust23THRUST_200600_302600_NS6detail15normal_iteratorINSA_10device_ptrItEEEEPS6_SG_NS0_5tupleIJSF_NSA_16discard_iteratorINSA_11use_defaultEEEEEENSH_IJSG_SG_EEES6_PlJ7is_evenItEEEE10hipError_tPvRmT3_T4_T5_T6_T7_T9_mT8_P12ihipStream_tbDpT10_ENKUlT_T0_E_clISt17integral_constantIbLb0EES18_IbLb1EEEEDaS14_S15_EUlS14_E_NS1_11comp_targetILNS1_3genE4ELNS1_11target_archE910ELNS1_3gpuE8ELNS1_3repE0EEENS1_30default_config_static_selectorELNS0_4arch9wavefront6targetE1EEEvT1_
	.p2align	8
	.type	_ZN7rocprim17ROCPRIM_400000_NS6detail17trampoline_kernelINS0_14default_configENS1_25partition_config_selectorILNS1_17partition_subalgoE0EtNS0_10empty_typeEbEEZZNS1_14partition_implILS5_0ELb0ES3_jN6thrust23THRUST_200600_302600_NS6detail15normal_iteratorINSA_10device_ptrItEEEEPS6_SG_NS0_5tupleIJSF_NSA_16discard_iteratorINSA_11use_defaultEEEEEENSH_IJSG_SG_EEES6_PlJ7is_evenItEEEE10hipError_tPvRmT3_T4_T5_T6_T7_T9_mT8_P12ihipStream_tbDpT10_ENKUlT_T0_E_clISt17integral_constantIbLb0EES18_IbLb1EEEEDaS14_S15_EUlS14_E_NS1_11comp_targetILNS1_3genE4ELNS1_11target_archE910ELNS1_3gpuE8ELNS1_3repE0EEENS1_30default_config_static_selectorELNS0_4arch9wavefront6targetE1EEEvT1_,@function
_ZN7rocprim17ROCPRIM_400000_NS6detail17trampoline_kernelINS0_14default_configENS1_25partition_config_selectorILNS1_17partition_subalgoE0EtNS0_10empty_typeEbEEZZNS1_14partition_implILS5_0ELb0ES3_jN6thrust23THRUST_200600_302600_NS6detail15normal_iteratorINSA_10device_ptrItEEEEPS6_SG_NS0_5tupleIJSF_NSA_16discard_iteratorINSA_11use_defaultEEEEEENSH_IJSG_SG_EEES6_PlJ7is_evenItEEEE10hipError_tPvRmT3_T4_T5_T6_T7_T9_mT8_P12ihipStream_tbDpT10_ENKUlT_T0_E_clISt17integral_constantIbLb0EES18_IbLb1EEEEDaS14_S15_EUlS14_E_NS1_11comp_targetILNS1_3genE4ELNS1_11target_archE910ELNS1_3gpuE8ELNS1_3repE0EEENS1_30default_config_static_selectorELNS0_4arch9wavefront6targetE1EEEvT1_: ; @_ZN7rocprim17ROCPRIM_400000_NS6detail17trampoline_kernelINS0_14default_configENS1_25partition_config_selectorILNS1_17partition_subalgoE0EtNS0_10empty_typeEbEEZZNS1_14partition_implILS5_0ELb0ES3_jN6thrust23THRUST_200600_302600_NS6detail15normal_iteratorINSA_10device_ptrItEEEEPS6_SG_NS0_5tupleIJSF_NSA_16discard_iteratorINSA_11use_defaultEEEEEENSH_IJSG_SG_EEES6_PlJ7is_evenItEEEE10hipError_tPvRmT3_T4_T5_T6_T7_T9_mT8_P12ihipStream_tbDpT10_ENKUlT_T0_E_clISt17integral_constantIbLb0EES18_IbLb1EEEEDaS14_S15_EUlS14_E_NS1_11comp_targetILNS1_3genE4ELNS1_11target_archE910ELNS1_3gpuE8ELNS1_3repE0EEENS1_30default_config_static_selectorELNS0_4arch9wavefront6targetE1EEEvT1_
; %bb.0:
	.section	.rodata,"a",@progbits
	.p2align	6, 0x0
	.amdhsa_kernel _ZN7rocprim17ROCPRIM_400000_NS6detail17trampoline_kernelINS0_14default_configENS1_25partition_config_selectorILNS1_17partition_subalgoE0EtNS0_10empty_typeEbEEZZNS1_14partition_implILS5_0ELb0ES3_jN6thrust23THRUST_200600_302600_NS6detail15normal_iteratorINSA_10device_ptrItEEEEPS6_SG_NS0_5tupleIJSF_NSA_16discard_iteratorINSA_11use_defaultEEEEEENSH_IJSG_SG_EEES6_PlJ7is_evenItEEEE10hipError_tPvRmT3_T4_T5_T6_T7_T9_mT8_P12ihipStream_tbDpT10_ENKUlT_T0_E_clISt17integral_constantIbLb0EES18_IbLb1EEEEDaS14_S15_EUlS14_E_NS1_11comp_targetILNS1_3genE4ELNS1_11target_archE910ELNS1_3gpuE8ELNS1_3repE0EEENS1_30default_config_static_selectorELNS0_4arch9wavefront6targetE1EEEvT1_
		.amdhsa_group_segment_fixed_size 0
		.amdhsa_private_segment_fixed_size 0
		.amdhsa_kernarg_size 144
		.amdhsa_user_sgpr_count 2
		.amdhsa_user_sgpr_dispatch_ptr 0
		.amdhsa_user_sgpr_queue_ptr 0
		.amdhsa_user_sgpr_kernarg_segment_ptr 1
		.amdhsa_user_sgpr_dispatch_id 0
		.amdhsa_user_sgpr_kernarg_preload_length 0
		.amdhsa_user_sgpr_kernarg_preload_offset 0
		.amdhsa_user_sgpr_private_segment_size 0
		.amdhsa_uses_dynamic_stack 0
		.amdhsa_enable_private_segment 0
		.amdhsa_system_sgpr_workgroup_id_x 1
		.amdhsa_system_sgpr_workgroup_id_y 0
		.amdhsa_system_sgpr_workgroup_id_z 0
		.amdhsa_system_sgpr_workgroup_info 0
		.amdhsa_system_vgpr_workitem_id 0
		.amdhsa_next_free_vgpr 1
		.amdhsa_next_free_sgpr 0
		.amdhsa_accum_offset 4
		.amdhsa_reserve_vcc 0
		.amdhsa_float_round_mode_32 0
		.amdhsa_float_round_mode_16_64 0
		.amdhsa_float_denorm_mode_32 3
		.amdhsa_float_denorm_mode_16_64 3
		.amdhsa_dx10_clamp 1
		.amdhsa_ieee_mode 1
		.amdhsa_fp16_overflow 0
		.amdhsa_tg_split 0
		.amdhsa_exception_fp_ieee_invalid_op 0
		.amdhsa_exception_fp_denorm_src 0
		.amdhsa_exception_fp_ieee_div_zero 0
		.amdhsa_exception_fp_ieee_overflow 0
		.amdhsa_exception_fp_ieee_underflow 0
		.amdhsa_exception_fp_ieee_inexact 0
		.amdhsa_exception_int_div_zero 0
	.end_amdhsa_kernel
	.section	.text._ZN7rocprim17ROCPRIM_400000_NS6detail17trampoline_kernelINS0_14default_configENS1_25partition_config_selectorILNS1_17partition_subalgoE0EtNS0_10empty_typeEbEEZZNS1_14partition_implILS5_0ELb0ES3_jN6thrust23THRUST_200600_302600_NS6detail15normal_iteratorINSA_10device_ptrItEEEEPS6_SG_NS0_5tupleIJSF_NSA_16discard_iteratorINSA_11use_defaultEEEEEENSH_IJSG_SG_EEES6_PlJ7is_evenItEEEE10hipError_tPvRmT3_T4_T5_T6_T7_T9_mT8_P12ihipStream_tbDpT10_ENKUlT_T0_E_clISt17integral_constantIbLb0EES18_IbLb1EEEEDaS14_S15_EUlS14_E_NS1_11comp_targetILNS1_3genE4ELNS1_11target_archE910ELNS1_3gpuE8ELNS1_3repE0EEENS1_30default_config_static_selectorELNS0_4arch9wavefront6targetE1EEEvT1_,"axG",@progbits,_ZN7rocprim17ROCPRIM_400000_NS6detail17trampoline_kernelINS0_14default_configENS1_25partition_config_selectorILNS1_17partition_subalgoE0EtNS0_10empty_typeEbEEZZNS1_14partition_implILS5_0ELb0ES3_jN6thrust23THRUST_200600_302600_NS6detail15normal_iteratorINSA_10device_ptrItEEEEPS6_SG_NS0_5tupleIJSF_NSA_16discard_iteratorINSA_11use_defaultEEEEEENSH_IJSG_SG_EEES6_PlJ7is_evenItEEEE10hipError_tPvRmT3_T4_T5_T6_T7_T9_mT8_P12ihipStream_tbDpT10_ENKUlT_T0_E_clISt17integral_constantIbLb0EES18_IbLb1EEEEDaS14_S15_EUlS14_E_NS1_11comp_targetILNS1_3genE4ELNS1_11target_archE910ELNS1_3gpuE8ELNS1_3repE0EEENS1_30default_config_static_selectorELNS0_4arch9wavefront6targetE1EEEvT1_,comdat
.Lfunc_end2549:
	.size	_ZN7rocprim17ROCPRIM_400000_NS6detail17trampoline_kernelINS0_14default_configENS1_25partition_config_selectorILNS1_17partition_subalgoE0EtNS0_10empty_typeEbEEZZNS1_14partition_implILS5_0ELb0ES3_jN6thrust23THRUST_200600_302600_NS6detail15normal_iteratorINSA_10device_ptrItEEEEPS6_SG_NS0_5tupleIJSF_NSA_16discard_iteratorINSA_11use_defaultEEEEEENSH_IJSG_SG_EEES6_PlJ7is_evenItEEEE10hipError_tPvRmT3_T4_T5_T6_T7_T9_mT8_P12ihipStream_tbDpT10_ENKUlT_T0_E_clISt17integral_constantIbLb0EES18_IbLb1EEEEDaS14_S15_EUlS14_E_NS1_11comp_targetILNS1_3genE4ELNS1_11target_archE910ELNS1_3gpuE8ELNS1_3repE0EEENS1_30default_config_static_selectorELNS0_4arch9wavefront6targetE1EEEvT1_, .Lfunc_end2549-_ZN7rocprim17ROCPRIM_400000_NS6detail17trampoline_kernelINS0_14default_configENS1_25partition_config_selectorILNS1_17partition_subalgoE0EtNS0_10empty_typeEbEEZZNS1_14partition_implILS5_0ELb0ES3_jN6thrust23THRUST_200600_302600_NS6detail15normal_iteratorINSA_10device_ptrItEEEEPS6_SG_NS0_5tupleIJSF_NSA_16discard_iteratorINSA_11use_defaultEEEEEENSH_IJSG_SG_EEES6_PlJ7is_evenItEEEE10hipError_tPvRmT3_T4_T5_T6_T7_T9_mT8_P12ihipStream_tbDpT10_ENKUlT_T0_E_clISt17integral_constantIbLb0EES18_IbLb1EEEEDaS14_S15_EUlS14_E_NS1_11comp_targetILNS1_3genE4ELNS1_11target_archE910ELNS1_3gpuE8ELNS1_3repE0EEENS1_30default_config_static_selectorELNS0_4arch9wavefront6targetE1EEEvT1_
                                        ; -- End function
	.section	.AMDGPU.csdata,"",@progbits
; Kernel info:
; codeLenInByte = 0
; NumSgprs: 6
; NumVgprs: 0
; NumAgprs: 0
; TotalNumVgprs: 0
; ScratchSize: 0
; MemoryBound: 0
; FloatMode: 240
; IeeeMode: 1
; LDSByteSize: 0 bytes/workgroup (compile time only)
; SGPRBlocks: 0
; VGPRBlocks: 0
; NumSGPRsForWavesPerEU: 6
; NumVGPRsForWavesPerEU: 1
; AccumOffset: 4
; Occupancy: 8
; WaveLimiterHint : 0
; COMPUTE_PGM_RSRC2:SCRATCH_EN: 0
; COMPUTE_PGM_RSRC2:USER_SGPR: 2
; COMPUTE_PGM_RSRC2:TRAP_HANDLER: 0
; COMPUTE_PGM_RSRC2:TGID_X_EN: 1
; COMPUTE_PGM_RSRC2:TGID_Y_EN: 0
; COMPUTE_PGM_RSRC2:TGID_Z_EN: 0
; COMPUTE_PGM_RSRC2:TIDIG_COMP_CNT: 0
; COMPUTE_PGM_RSRC3_GFX90A:ACCUM_OFFSET: 0
; COMPUTE_PGM_RSRC3_GFX90A:TG_SPLIT: 0
	.section	.text._ZN7rocprim17ROCPRIM_400000_NS6detail17trampoline_kernelINS0_14default_configENS1_25partition_config_selectorILNS1_17partition_subalgoE0EtNS0_10empty_typeEbEEZZNS1_14partition_implILS5_0ELb0ES3_jN6thrust23THRUST_200600_302600_NS6detail15normal_iteratorINSA_10device_ptrItEEEEPS6_SG_NS0_5tupleIJSF_NSA_16discard_iteratorINSA_11use_defaultEEEEEENSH_IJSG_SG_EEES6_PlJ7is_evenItEEEE10hipError_tPvRmT3_T4_T5_T6_T7_T9_mT8_P12ihipStream_tbDpT10_ENKUlT_T0_E_clISt17integral_constantIbLb0EES18_IbLb1EEEEDaS14_S15_EUlS14_E_NS1_11comp_targetILNS1_3genE3ELNS1_11target_archE908ELNS1_3gpuE7ELNS1_3repE0EEENS1_30default_config_static_selectorELNS0_4arch9wavefront6targetE1EEEvT1_,"axG",@progbits,_ZN7rocprim17ROCPRIM_400000_NS6detail17trampoline_kernelINS0_14default_configENS1_25partition_config_selectorILNS1_17partition_subalgoE0EtNS0_10empty_typeEbEEZZNS1_14partition_implILS5_0ELb0ES3_jN6thrust23THRUST_200600_302600_NS6detail15normal_iteratorINSA_10device_ptrItEEEEPS6_SG_NS0_5tupleIJSF_NSA_16discard_iteratorINSA_11use_defaultEEEEEENSH_IJSG_SG_EEES6_PlJ7is_evenItEEEE10hipError_tPvRmT3_T4_T5_T6_T7_T9_mT8_P12ihipStream_tbDpT10_ENKUlT_T0_E_clISt17integral_constantIbLb0EES18_IbLb1EEEEDaS14_S15_EUlS14_E_NS1_11comp_targetILNS1_3genE3ELNS1_11target_archE908ELNS1_3gpuE7ELNS1_3repE0EEENS1_30default_config_static_selectorELNS0_4arch9wavefront6targetE1EEEvT1_,comdat
	.protected	_ZN7rocprim17ROCPRIM_400000_NS6detail17trampoline_kernelINS0_14default_configENS1_25partition_config_selectorILNS1_17partition_subalgoE0EtNS0_10empty_typeEbEEZZNS1_14partition_implILS5_0ELb0ES3_jN6thrust23THRUST_200600_302600_NS6detail15normal_iteratorINSA_10device_ptrItEEEEPS6_SG_NS0_5tupleIJSF_NSA_16discard_iteratorINSA_11use_defaultEEEEEENSH_IJSG_SG_EEES6_PlJ7is_evenItEEEE10hipError_tPvRmT3_T4_T5_T6_T7_T9_mT8_P12ihipStream_tbDpT10_ENKUlT_T0_E_clISt17integral_constantIbLb0EES18_IbLb1EEEEDaS14_S15_EUlS14_E_NS1_11comp_targetILNS1_3genE3ELNS1_11target_archE908ELNS1_3gpuE7ELNS1_3repE0EEENS1_30default_config_static_selectorELNS0_4arch9wavefront6targetE1EEEvT1_ ; -- Begin function _ZN7rocprim17ROCPRIM_400000_NS6detail17trampoline_kernelINS0_14default_configENS1_25partition_config_selectorILNS1_17partition_subalgoE0EtNS0_10empty_typeEbEEZZNS1_14partition_implILS5_0ELb0ES3_jN6thrust23THRUST_200600_302600_NS6detail15normal_iteratorINSA_10device_ptrItEEEEPS6_SG_NS0_5tupleIJSF_NSA_16discard_iteratorINSA_11use_defaultEEEEEENSH_IJSG_SG_EEES6_PlJ7is_evenItEEEE10hipError_tPvRmT3_T4_T5_T6_T7_T9_mT8_P12ihipStream_tbDpT10_ENKUlT_T0_E_clISt17integral_constantIbLb0EES18_IbLb1EEEEDaS14_S15_EUlS14_E_NS1_11comp_targetILNS1_3genE3ELNS1_11target_archE908ELNS1_3gpuE7ELNS1_3repE0EEENS1_30default_config_static_selectorELNS0_4arch9wavefront6targetE1EEEvT1_
	.globl	_ZN7rocprim17ROCPRIM_400000_NS6detail17trampoline_kernelINS0_14default_configENS1_25partition_config_selectorILNS1_17partition_subalgoE0EtNS0_10empty_typeEbEEZZNS1_14partition_implILS5_0ELb0ES3_jN6thrust23THRUST_200600_302600_NS6detail15normal_iteratorINSA_10device_ptrItEEEEPS6_SG_NS0_5tupleIJSF_NSA_16discard_iteratorINSA_11use_defaultEEEEEENSH_IJSG_SG_EEES6_PlJ7is_evenItEEEE10hipError_tPvRmT3_T4_T5_T6_T7_T9_mT8_P12ihipStream_tbDpT10_ENKUlT_T0_E_clISt17integral_constantIbLb0EES18_IbLb1EEEEDaS14_S15_EUlS14_E_NS1_11comp_targetILNS1_3genE3ELNS1_11target_archE908ELNS1_3gpuE7ELNS1_3repE0EEENS1_30default_config_static_selectorELNS0_4arch9wavefront6targetE1EEEvT1_
	.p2align	8
	.type	_ZN7rocprim17ROCPRIM_400000_NS6detail17trampoline_kernelINS0_14default_configENS1_25partition_config_selectorILNS1_17partition_subalgoE0EtNS0_10empty_typeEbEEZZNS1_14partition_implILS5_0ELb0ES3_jN6thrust23THRUST_200600_302600_NS6detail15normal_iteratorINSA_10device_ptrItEEEEPS6_SG_NS0_5tupleIJSF_NSA_16discard_iteratorINSA_11use_defaultEEEEEENSH_IJSG_SG_EEES6_PlJ7is_evenItEEEE10hipError_tPvRmT3_T4_T5_T6_T7_T9_mT8_P12ihipStream_tbDpT10_ENKUlT_T0_E_clISt17integral_constantIbLb0EES18_IbLb1EEEEDaS14_S15_EUlS14_E_NS1_11comp_targetILNS1_3genE3ELNS1_11target_archE908ELNS1_3gpuE7ELNS1_3repE0EEENS1_30default_config_static_selectorELNS0_4arch9wavefront6targetE1EEEvT1_,@function
_ZN7rocprim17ROCPRIM_400000_NS6detail17trampoline_kernelINS0_14default_configENS1_25partition_config_selectorILNS1_17partition_subalgoE0EtNS0_10empty_typeEbEEZZNS1_14partition_implILS5_0ELb0ES3_jN6thrust23THRUST_200600_302600_NS6detail15normal_iteratorINSA_10device_ptrItEEEEPS6_SG_NS0_5tupleIJSF_NSA_16discard_iteratorINSA_11use_defaultEEEEEENSH_IJSG_SG_EEES6_PlJ7is_evenItEEEE10hipError_tPvRmT3_T4_T5_T6_T7_T9_mT8_P12ihipStream_tbDpT10_ENKUlT_T0_E_clISt17integral_constantIbLb0EES18_IbLb1EEEEDaS14_S15_EUlS14_E_NS1_11comp_targetILNS1_3genE3ELNS1_11target_archE908ELNS1_3gpuE7ELNS1_3repE0EEENS1_30default_config_static_selectorELNS0_4arch9wavefront6targetE1EEEvT1_: ; @_ZN7rocprim17ROCPRIM_400000_NS6detail17trampoline_kernelINS0_14default_configENS1_25partition_config_selectorILNS1_17partition_subalgoE0EtNS0_10empty_typeEbEEZZNS1_14partition_implILS5_0ELb0ES3_jN6thrust23THRUST_200600_302600_NS6detail15normal_iteratorINSA_10device_ptrItEEEEPS6_SG_NS0_5tupleIJSF_NSA_16discard_iteratorINSA_11use_defaultEEEEEENSH_IJSG_SG_EEES6_PlJ7is_evenItEEEE10hipError_tPvRmT3_T4_T5_T6_T7_T9_mT8_P12ihipStream_tbDpT10_ENKUlT_T0_E_clISt17integral_constantIbLb0EES18_IbLb1EEEEDaS14_S15_EUlS14_E_NS1_11comp_targetILNS1_3genE3ELNS1_11target_archE908ELNS1_3gpuE7ELNS1_3repE0EEENS1_30default_config_static_selectorELNS0_4arch9wavefront6targetE1EEEvT1_
; %bb.0:
	.section	.rodata,"a",@progbits
	.p2align	6, 0x0
	.amdhsa_kernel _ZN7rocprim17ROCPRIM_400000_NS6detail17trampoline_kernelINS0_14default_configENS1_25partition_config_selectorILNS1_17partition_subalgoE0EtNS0_10empty_typeEbEEZZNS1_14partition_implILS5_0ELb0ES3_jN6thrust23THRUST_200600_302600_NS6detail15normal_iteratorINSA_10device_ptrItEEEEPS6_SG_NS0_5tupleIJSF_NSA_16discard_iteratorINSA_11use_defaultEEEEEENSH_IJSG_SG_EEES6_PlJ7is_evenItEEEE10hipError_tPvRmT3_T4_T5_T6_T7_T9_mT8_P12ihipStream_tbDpT10_ENKUlT_T0_E_clISt17integral_constantIbLb0EES18_IbLb1EEEEDaS14_S15_EUlS14_E_NS1_11comp_targetILNS1_3genE3ELNS1_11target_archE908ELNS1_3gpuE7ELNS1_3repE0EEENS1_30default_config_static_selectorELNS0_4arch9wavefront6targetE1EEEvT1_
		.amdhsa_group_segment_fixed_size 0
		.amdhsa_private_segment_fixed_size 0
		.amdhsa_kernarg_size 144
		.amdhsa_user_sgpr_count 2
		.amdhsa_user_sgpr_dispatch_ptr 0
		.amdhsa_user_sgpr_queue_ptr 0
		.amdhsa_user_sgpr_kernarg_segment_ptr 1
		.amdhsa_user_sgpr_dispatch_id 0
		.amdhsa_user_sgpr_kernarg_preload_length 0
		.amdhsa_user_sgpr_kernarg_preload_offset 0
		.amdhsa_user_sgpr_private_segment_size 0
		.amdhsa_uses_dynamic_stack 0
		.amdhsa_enable_private_segment 0
		.amdhsa_system_sgpr_workgroup_id_x 1
		.amdhsa_system_sgpr_workgroup_id_y 0
		.amdhsa_system_sgpr_workgroup_id_z 0
		.amdhsa_system_sgpr_workgroup_info 0
		.amdhsa_system_vgpr_workitem_id 0
		.amdhsa_next_free_vgpr 1
		.amdhsa_next_free_sgpr 0
		.amdhsa_accum_offset 4
		.amdhsa_reserve_vcc 0
		.amdhsa_float_round_mode_32 0
		.amdhsa_float_round_mode_16_64 0
		.amdhsa_float_denorm_mode_32 3
		.amdhsa_float_denorm_mode_16_64 3
		.amdhsa_dx10_clamp 1
		.amdhsa_ieee_mode 1
		.amdhsa_fp16_overflow 0
		.amdhsa_tg_split 0
		.amdhsa_exception_fp_ieee_invalid_op 0
		.amdhsa_exception_fp_denorm_src 0
		.amdhsa_exception_fp_ieee_div_zero 0
		.amdhsa_exception_fp_ieee_overflow 0
		.amdhsa_exception_fp_ieee_underflow 0
		.amdhsa_exception_fp_ieee_inexact 0
		.amdhsa_exception_int_div_zero 0
	.end_amdhsa_kernel
	.section	.text._ZN7rocprim17ROCPRIM_400000_NS6detail17trampoline_kernelINS0_14default_configENS1_25partition_config_selectorILNS1_17partition_subalgoE0EtNS0_10empty_typeEbEEZZNS1_14partition_implILS5_0ELb0ES3_jN6thrust23THRUST_200600_302600_NS6detail15normal_iteratorINSA_10device_ptrItEEEEPS6_SG_NS0_5tupleIJSF_NSA_16discard_iteratorINSA_11use_defaultEEEEEENSH_IJSG_SG_EEES6_PlJ7is_evenItEEEE10hipError_tPvRmT3_T4_T5_T6_T7_T9_mT8_P12ihipStream_tbDpT10_ENKUlT_T0_E_clISt17integral_constantIbLb0EES18_IbLb1EEEEDaS14_S15_EUlS14_E_NS1_11comp_targetILNS1_3genE3ELNS1_11target_archE908ELNS1_3gpuE7ELNS1_3repE0EEENS1_30default_config_static_selectorELNS0_4arch9wavefront6targetE1EEEvT1_,"axG",@progbits,_ZN7rocprim17ROCPRIM_400000_NS6detail17trampoline_kernelINS0_14default_configENS1_25partition_config_selectorILNS1_17partition_subalgoE0EtNS0_10empty_typeEbEEZZNS1_14partition_implILS5_0ELb0ES3_jN6thrust23THRUST_200600_302600_NS6detail15normal_iteratorINSA_10device_ptrItEEEEPS6_SG_NS0_5tupleIJSF_NSA_16discard_iteratorINSA_11use_defaultEEEEEENSH_IJSG_SG_EEES6_PlJ7is_evenItEEEE10hipError_tPvRmT3_T4_T5_T6_T7_T9_mT8_P12ihipStream_tbDpT10_ENKUlT_T0_E_clISt17integral_constantIbLb0EES18_IbLb1EEEEDaS14_S15_EUlS14_E_NS1_11comp_targetILNS1_3genE3ELNS1_11target_archE908ELNS1_3gpuE7ELNS1_3repE0EEENS1_30default_config_static_selectorELNS0_4arch9wavefront6targetE1EEEvT1_,comdat
.Lfunc_end2550:
	.size	_ZN7rocprim17ROCPRIM_400000_NS6detail17trampoline_kernelINS0_14default_configENS1_25partition_config_selectorILNS1_17partition_subalgoE0EtNS0_10empty_typeEbEEZZNS1_14partition_implILS5_0ELb0ES3_jN6thrust23THRUST_200600_302600_NS6detail15normal_iteratorINSA_10device_ptrItEEEEPS6_SG_NS0_5tupleIJSF_NSA_16discard_iteratorINSA_11use_defaultEEEEEENSH_IJSG_SG_EEES6_PlJ7is_evenItEEEE10hipError_tPvRmT3_T4_T5_T6_T7_T9_mT8_P12ihipStream_tbDpT10_ENKUlT_T0_E_clISt17integral_constantIbLb0EES18_IbLb1EEEEDaS14_S15_EUlS14_E_NS1_11comp_targetILNS1_3genE3ELNS1_11target_archE908ELNS1_3gpuE7ELNS1_3repE0EEENS1_30default_config_static_selectorELNS0_4arch9wavefront6targetE1EEEvT1_, .Lfunc_end2550-_ZN7rocprim17ROCPRIM_400000_NS6detail17trampoline_kernelINS0_14default_configENS1_25partition_config_selectorILNS1_17partition_subalgoE0EtNS0_10empty_typeEbEEZZNS1_14partition_implILS5_0ELb0ES3_jN6thrust23THRUST_200600_302600_NS6detail15normal_iteratorINSA_10device_ptrItEEEEPS6_SG_NS0_5tupleIJSF_NSA_16discard_iteratorINSA_11use_defaultEEEEEENSH_IJSG_SG_EEES6_PlJ7is_evenItEEEE10hipError_tPvRmT3_T4_T5_T6_T7_T9_mT8_P12ihipStream_tbDpT10_ENKUlT_T0_E_clISt17integral_constantIbLb0EES18_IbLb1EEEEDaS14_S15_EUlS14_E_NS1_11comp_targetILNS1_3genE3ELNS1_11target_archE908ELNS1_3gpuE7ELNS1_3repE0EEENS1_30default_config_static_selectorELNS0_4arch9wavefront6targetE1EEEvT1_
                                        ; -- End function
	.section	.AMDGPU.csdata,"",@progbits
; Kernel info:
; codeLenInByte = 0
; NumSgprs: 6
; NumVgprs: 0
; NumAgprs: 0
; TotalNumVgprs: 0
; ScratchSize: 0
; MemoryBound: 0
; FloatMode: 240
; IeeeMode: 1
; LDSByteSize: 0 bytes/workgroup (compile time only)
; SGPRBlocks: 0
; VGPRBlocks: 0
; NumSGPRsForWavesPerEU: 6
; NumVGPRsForWavesPerEU: 1
; AccumOffset: 4
; Occupancy: 8
; WaveLimiterHint : 0
; COMPUTE_PGM_RSRC2:SCRATCH_EN: 0
; COMPUTE_PGM_RSRC2:USER_SGPR: 2
; COMPUTE_PGM_RSRC2:TRAP_HANDLER: 0
; COMPUTE_PGM_RSRC2:TGID_X_EN: 1
; COMPUTE_PGM_RSRC2:TGID_Y_EN: 0
; COMPUTE_PGM_RSRC2:TGID_Z_EN: 0
; COMPUTE_PGM_RSRC2:TIDIG_COMP_CNT: 0
; COMPUTE_PGM_RSRC3_GFX90A:ACCUM_OFFSET: 0
; COMPUTE_PGM_RSRC3_GFX90A:TG_SPLIT: 0
	.section	.text._ZN7rocprim17ROCPRIM_400000_NS6detail17trampoline_kernelINS0_14default_configENS1_25partition_config_selectorILNS1_17partition_subalgoE0EtNS0_10empty_typeEbEEZZNS1_14partition_implILS5_0ELb0ES3_jN6thrust23THRUST_200600_302600_NS6detail15normal_iteratorINSA_10device_ptrItEEEEPS6_SG_NS0_5tupleIJSF_NSA_16discard_iteratorINSA_11use_defaultEEEEEENSH_IJSG_SG_EEES6_PlJ7is_evenItEEEE10hipError_tPvRmT3_T4_T5_T6_T7_T9_mT8_P12ihipStream_tbDpT10_ENKUlT_T0_E_clISt17integral_constantIbLb0EES18_IbLb1EEEEDaS14_S15_EUlS14_E_NS1_11comp_targetILNS1_3genE2ELNS1_11target_archE906ELNS1_3gpuE6ELNS1_3repE0EEENS1_30default_config_static_selectorELNS0_4arch9wavefront6targetE1EEEvT1_,"axG",@progbits,_ZN7rocprim17ROCPRIM_400000_NS6detail17trampoline_kernelINS0_14default_configENS1_25partition_config_selectorILNS1_17partition_subalgoE0EtNS0_10empty_typeEbEEZZNS1_14partition_implILS5_0ELb0ES3_jN6thrust23THRUST_200600_302600_NS6detail15normal_iteratorINSA_10device_ptrItEEEEPS6_SG_NS0_5tupleIJSF_NSA_16discard_iteratorINSA_11use_defaultEEEEEENSH_IJSG_SG_EEES6_PlJ7is_evenItEEEE10hipError_tPvRmT3_T4_T5_T6_T7_T9_mT8_P12ihipStream_tbDpT10_ENKUlT_T0_E_clISt17integral_constantIbLb0EES18_IbLb1EEEEDaS14_S15_EUlS14_E_NS1_11comp_targetILNS1_3genE2ELNS1_11target_archE906ELNS1_3gpuE6ELNS1_3repE0EEENS1_30default_config_static_selectorELNS0_4arch9wavefront6targetE1EEEvT1_,comdat
	.protected	_ZN7rocprim17ROCPRIM_400000_NS6detail17trampoline_kernelINS0_14default_configENS1_25partition_config_selectorILNS1_17partition_subalgoE0EtNS0_10empty_typeEbEEZZNS1_14partition_implILS5_0ELb0ES3_jN6thrust23THRUST_200600_302600_NS6detail15normal_iteratorINSA_10device_ptrItEEEEPS6_SG_NS0_5tupleIJSF_NSA_16discard_iteratorINSA_11use_defaultEEEEEENSH_IJSG_SG_EEES6_PlJ7is_evenItEEEE10hipError_tPvRmT3_T4_T5_T6_T7_T9_mT8_P12ihipStream_tbDpT10_ENKUlT_T0_E_clISt17integral_constantIbLb0EES18_IbLb1EEEEDaS14_S15_EUlS14_E_NS1_11comp_targetILNS1_3genE2ELNS1_11target_archE906ELNS1_3gpuE6ELNS1_3repE0EEENS1_30default_config_static_selectorELNS0_4arch9wavefront6targetE1EEEvT1_ ; -- Begin function _ZN7rocprim17ROCPRIM_400000_NS6detail17trampoline_kernelINS0_14default_configENS1_25partition_config_selectorILNS1_17partition_subalgoE0EtNS0_10empty_typeEbEEZZNS1_14partition_implILS5_0ELb0ES3_jN6thrust23THRUST_200600_302600_NS6detail15normal_iteratorINSA_10device_ptrItEEEEPS6_SG_NS0_5tupleIJSF_NSA_16discard_iteratorINSA_11use_defaultEEEEEENSH_IJSG_SG_EEES6_PlJ7is_evenItEEEE10hipError_tPvRmT3_T4_T5_T6_T7_T9_mT8_P12ihipStream_tbDpT10_ENKUlT_T0_E_clISt17integral_constantIbLb0EES18_IbLb1EEEEDaS14_S15_EUlS14_E_NS1_11comp_targetILNS1_3genE2ELNS1_11target_archE906ELNS1_3gpuE6ELNS1_3repE0EEENS1_30default_config_static_selectorELNS0_4arch9wavefront6targetE1EEEvT1_
	.globl	_ZN7rocprim17ROCPRIM_400000_NS6detail17trampoline_kernelINS0_14default_configENS1_25partition_config_selectorILNS1_17partition_subalgoE0EtNS0_10empty_typeEbEEZZNS1_14partition_implILS5_0ELb0ES3_jN6thrust23THRUST_200600_302600_NS6detail15normal_iteratorINSA_10device_ptrItEEEEPS6_SG_NS0_5tupleIJSF_NSA_16discard_iteratorINSA_11use_defaultEEEEEENSH_IJSG_SG_EEES6_PlJ7is_evenItEEEE10hipError_tPvRmT3_T4_T5_T6_T7_T9_mT8_P12ihipStream_tbDpT10_ENKUlT_T0_E_clISt17integral_constantIbLb0EES18_IbLb1EEEEDaS14_S15_EUlS14_E_NS1_11comp_targetILNS1_3genE2ELNS1_11target_archE906ELNS1_3gpuE6ELNS1_3repE0EEENS1_30default_config_static_selectorELNS0_4arch9wavefront6targetE1EEEvT1_
	.p2align	8
	.type	_ZN7rocprim17ROCPRIM_400000_NS6detail17trampoline_kernelINS0_14default_configENS1_25partition_config_selectorILNS1_17partition_subalgoE0EtNS0_10empty_typeEbEEZZNS1_14partition_implILS5_0ELb0ES3_jN6thrust23THRUST_200600_302600_NS6detail15normal_iteratorINSA_10device_ptrItEEEEPS6_SG_NS0_5tupleIJSF_NSA_16discard_iteratorINSA_11use_defaultEEEEEENSH_IJSG_SG_EEES6_PlJ7is_evenItEEEE10hipError_tPvRmT3_T4_T5_T6_T7_T9_mT8_P12ihipStream_tbDpT10_ENKUlT_T0_E_clISt17integral_constantIbLb0EES18_IbLb1EEEEDaS14_S15_EUlS14_E_NS1_11comp_targetILNS1_3genE2ELNS1_11target_archE906ELNS1_3gpuE6ELNS1_3repE0EEENS1_30default_config_static_selectorELNS0_4arch9wavefront6targetE1EEEvT1_,@function
_ZN7rocprim17ROCPRIM_400000_NS6detail17trampoline_kernelINS0_14default_configENS1_25partition_config_selectorILNS1_17partition_subalgoE0EtNS0_10empty_typeEbEEZZNS1_14partition_implILS5_0ELb0ES3_jN6thrust23THRUST_200600_302600_NS6detail15normal_iteratorINSA_10device_ptrItEEEEPS6_SG_NS0_5tupleIJSF_NSA_16discard_iteratorINSA_11use_defaultEEEEEENSH_IJSG_SG_EEES6_PlJ7is_evenItEEEE10hipError_tPvRmT3_T4_T5_T6_T7_T9_mT8_P12ihipStream_tbDpT10_ENKUlT_T0_E_clISt17integral_constantIbLb0EES18_IbLb1EEEEDaS14_S15_EUlS14_E_NS1_11comp_targetILNS1_3genE2ELNS1_11target_archE906ELNS1_3gpuE6ELNS1_3repE0EEENS1_30default_config_static_selectorELNS0_4arch9wavefront6targetE1EEEvT1_: ; @_ZN7rocprim17ROCPRIM_400000_NS6detail17trampoline_kernelINS0_14default_configENS1_25partition_config_selectorILNS1_17partition_subalgoE0EtNS0_10empty_typeEbEEZZNS1_14partition_implILS5_0ELb0ES3_jN6thrust23THRUST_200600_302600_NS6detail15normal_iteratorINSA_10device_ptrItEEEEPS6_SG_NS0_5tupleIJSF_NSA_16discard_iteratorINSA_11use_defaultEEEEEENSH_IJSG_SG_EEES6_PlJ7is_evenItEEEE10hipError_tPvRmT3_T4_T5_T6_T7_T9_mT8_P12ihipStream_tbDpT10_ENKUlT_T0_E_clISt17integral_constantIbLb0EES18_IbLb1EEEEDaS14_S15_EUlS14_E_NS1_11comp_targetILNS1_3genE2ELNS1_11target_archE906ELNS1_3gpuE6ELNS1_3repE0EEENS1_30default_config_static_selectorELNS0_4arch9wavefront6targetE1EEEvT1_
; %bb.0:
	.section	.rodata,"a",@progbits
	.p2align	6, 0x0
	.amdhsa_kernel _ZN7rocprim17ROCPRIM_400000_NS6detail17trampoline_kernelINS0_14default_configENS1_25partition_config_selectorILNS1_17partition_subalgoE0EtNS0_10empty_typeEbEEZZNS1_14partition_implILS5_0ELb0ES3_jN6thrust23THRUST_200600_302600_NS6detail15normal_iteratorINSA_10device_ptrItEEEEPS6_SG_NS0_5tupleIJSF_NSA_16discard_iteratorINSA_11use_defaultEEEEEENSH_IJSG_SG_EEES6_PlJ7is_evenItEEEE10hipError_tPvRmT3_T4_T5_T6_T7_T9_mT8_P12ihipStream_tbDpT10_ENKUlT_T0_E_clISt17integral_constantIbLb0EES18_IbLb1EEEEDaS14_S15_EUlS14_E_NS1_11comp_targetILNS1_3genE2ELNS1_11target_archE906ELNS1_3gpuE6ELNS1_3repE0EEENS1_30default_config_static_selectorELNS0_4arch9wavefront6targetE1EEEvT1_
		.amdhsa_group_segment_fixed_size 0
		.amdhsa_private_segment_fixed_size 0
		.amdhsa_kernarg_size 144
		.amdhsa_user_sgpr_count 2
		.amdhsa_user_sgpr_dispatch_ptr 0
		.amdhsa_user_sgpr_queue_ptr 0
		.amdhsa_user_sgpr_kernarg_segment_ptr 1
		.amdhsa_user_sgpr_dispatch_id 0
		.amdhsa_user_sgpr_kernarg_preload_length 0
		.amdhsa_user_sgpr_kernarg_preload_offset 0
		.amdhsa_user_sgpr_private_segment_size 0
		.amdhsa_uses_dynamic_stack 0
		.amdhsa_enable_private_segment 0
		.amdhsa_system_sgpr_workgroup_id_x 1
		.amdhsa_system_sgpr_workgroup_id_y 0
		.amdhsa_system_sgpr_workgroup_id_z 0
		.amdhsa_system_sgpr_workgroup_info 0
		.amdhsa_system_vgpr_workitem_id 0
		.amdhsa_next_free_vgpr 1
		.amdhsa_next_free_sgpr 0
		.amdhsa_accum_offset 4
		.amdhsa_reserve_vcc 0
		.amdhsa_float_round_mode_32 0
		.amdhsa_float_round_mode_16_64 0
		.amdhsa_float_denorm_mode_32 3
		.amdhsa_float_denorm_mode_16_64 3
		.amdhsa_dx10_clamp 1
		.amdhsa_ieee_mode 1
		.amdhsa_fp16_overflow 0
		.amdhsa_tg_split 0
		.amdhsa_exception_fp_ieee_invalid_op 0
		.amdhsa_exception_fp_denorm_src 0
		.amdhsa_exception_fp_ieee_div_zero 0
		.amdhsa_exception_fp_ieee_overflow 0
		.amdhsa_exception_fp_ieee_underflow 0
		.amdhsa_exception_fp_ieee_inexact 0
		.amdhsa_exception_int_div_zero 0
	.end_amdhsa_kernel
	.section	.text._ZN7rocprim17ROCPRIM_400000_NS6detail17trampoline_kernelINS0_14default_configENS1_25partition_config_selectorILNS1_17partition_subalgoE0EtNS0_10empty_typeEbEEZZNS1_14partition_implILS5_0ELb0ES3_jN6thrust23THRUST_200600_302600_NS6detail15normal_iteratorINSA_10device_ptrItEEEEPS6_SG_NS0_5tupleIJSF_NSA_16discard_iteratorINSA_11use_defaultEEEEEENSH_IJSG_SG_EEES6_PlJ7is_evenItEEEE10hipError_tPvRmT3_T4_T5_T6_T7_T9_mT8_P12ihipStream_tbDpT10_ENKUlT_T0_E_clISt17integral_constantIbLb0EES18_IbLb1EEEEDaS14_S15_EUlS14_E_NS1_11comp_targetILNS1_3genE2ELNS1_11target_archE906ELNS1_3gpuE6ELNS1_3repE0EEENS1_30default_config_static_selectorELNS0_4arch9wavefront6targetE1EEEvT1_,"axG",@progbits,_ZN7rocprim17ROCPRIM_400000_NS6detail17trampoline_kernelINS0_14default_configENS1_25partition_config_selectorILNS1_17partition_subalgoE0EtNS0_10empty_typeEbEEZZNS1_14partition_implILS5_0ELb0ES3_jN6thrust23THRUST_200600_302600_NS6detail15normal_iteratorINSA_10device_ptrItEEEEPS6_SG_NS0_5tupleIJSF_NSA_16discard_iteratorINSA_11use_defaultEEEEEENSH_IJSG_SG_EEES6_PlJ7is_evenItEEEE10hipError_tPvRmT3_T4_T5_T6_T7_T9_mT8_P12ihipStream_tbDpT10_ENKUlT_T0_E_clISt17integral_constantIbLb0EES18_IbLb1EEEEDaS14_S15_EUlS14_E_NS1_11comp_targetILNS1_3genE2ELNS1_11target_archE906ELNS1_3gpuE6ELNS1_3repE0EEENS1_30default_config_static_selectorELNS0_4arch9wavefront6targetE1EEEvT1_,comdat
.Lfunc_end2551:
	.size	_ZN7rocprim17ROCPRIM_400000_NS6detail17trampoline_kernelINS0_14default_configENS1_25partition_config_selectorILNS1_17partition_subalgoE0EtNS0_10empty_typeEbEEZZNS1_14partition_implILS5_0ELb0ES3_jN6thrust23THRUST_200600_302600_NS6detail15normal_iteratorINSA_10device_ptrItEEEEPS6_SG_NS0_5tupleIJSF_NSA_16discard_iteratorINSA_11use_defaultEEEEEENSH_IJSG_SG_EEES6_PlJ7is_evenItEEEE10hipError_tPvRmT3_T4_T5_T6_T7_T9_mT8_P12ihipStream_tbDpT10_ENKUlT_T0_E_clISt17integral_constantIbLb0EES18_IbLb1EEEEDaS14_S15_EUlS14_E_NS1_11comp_targetILNS1_3genE2ELNS1_11target_archE906ELNS1_3gpuE6ELNS1_3repE0EEENS1_30default_config_static_selectorELNS0_4arch9wavefront6targetE1EEEvT1_, .Lfunc_end2551-_ZN7rocprim17ROCPRIM_400000_NS6detail17trampoline_kernelINS0_14default_configENS1_25partition_config_selectorILNS1_17partition_subalgoE0EtNS0_10empty_typeEbEEZZNS1_14partition_implILS5_0ELb0ES3_jN6thrust23THRUST_200600_302600_NS6detail15normal_iteratorINSA_10device_ptrItEEEEPS6_SG_NS0_5tupleIJSF_NSA_16discard_iteratorINSA_11use_defaultEEEEEENSH_IJSG_SG_EEES6_PlJ7is_evenItEEEE10hipError_tPvRmT3_T4_T5_T6_T7_T9_mT8_P12ihipStream_tbDpT10_ENKUlT_T0_E_clISt17integral_constantIbLb0EES18_IbLb1EEEEDaS14_S15_EUlS14_E_NS1_11comp_targetILNS1_3genE2ELNS1_11target_archE906ELNS1_3gpuE6ELNS1_3repE0EEENS1_30default_config_static_selectorELNS0_4arch9wavefront6targetE1EEEvT1_
                                        ; -- End function
	.section	.AMDGPU.csdata,"",@progbits
; Kernel info:
; codeLenInByte = 0
; NumSgprs: 6
; NumVgprs: 0
; NumAgprs: 0
; TotalNumVgprs: 0
; ScratchSize: 0
; MemoryBound: 0
; FloatMode: 240
; IeeeMode: 1
; LDSByteSize: 0 bytes/workgroup (compile time only)
; SGPRBlocks: 0
; VGPRBlocks: 0
; NumSGPRsForWavesPerEU: 6
; NumVGPRsForWavesPerEU: 1
; AccumOffset: 4
; Occupancy: 8
; WaveLimiterHint : 0
; COMPUTE_PGM_RSRC2:SCRATCH_EN: 0
; COMPUTE_PGM_RSRC2:USER_SGPR: 2
; COMPUTE_PGM_RSRC2:TRAP_HANDLER: 0
; COMPUTE_PGM_RSRC2:TGID_X_EN: 1
; COMPUTE_PGM_RSRC2:TGID_Y_EN: 0
; COMPUTE_PGM_RSRC2:TGID_Z_EN: 0
; COMPUTE_PGM_RSRC2:TIDIG_COMP_CNT: 0
; COMPUTE_PGM_RSRC3_GFX90A:ACCUM_OFFSET: 0
; COMPUTE_PGM_RSRC3_GFX90A:TG_SPLIT: 0
	.section	.text._ZN7rocprim17ROCPRIM_400000_NS6detail17trampoline_kernelINS0_14default_configENS1_25partition_config_selectorILNS1_17partition_subalgoE0EtNS0_10empty_typeEbEEZZNS1_14partition_implILS5_0ELb0ES3_jN6thrust23THRUST_200600_302600_NS6detail15normal_iteratorINSA_10device_ptrItEEEEPS6_SG_NS0_5tupleIJSF_NSA_16discard_iteratorINSA_11use_defaultEEEEEENSH_IJSG_SG_EEES6_PlJ7is_evenItEEEE10hipError_tPvRmT3_T4_T5_T6_T7_T9_mT8_P12ihipStream_tbDpT10_ENKUlT_T0_E_clISt17integral_constantIbLb0EES18_IbLb1EEEEDaS14_S15_EUlS14_E_NS1_11comp_targetILNS1_3genE10ELNS1_11target_archE1200ELNS1_3gpuE4ELNS1_3repE0EEENS1_30default_config_static_selectorELNS0_4arch9wavefront6targetE1EEEvT1_,"axG",@progbits,_ZN7rocprim17ROCPRIM_400000_NS6detail17trampoline_kernelINS0_14default_configENS1_25partition_config_selectorILNS1_17partition_subalgoE0EtNS0_10empty_typeEbEEZZNS1_14partition_implILS5_0ELb0ES3_jN6thrust23THRUST_200600_302600_NS6detail15normal_iteratorINSA_10device_ptrItEEEEPS6_SG_NS0_5tupleIJSF_NSA_16discard_iteratorINSA_11use_defaultEEEEEENSH_IJSG_SG_EEES6_PlJ7is_evenItEEEE10hipError_tPvRmT3_T4_T5_T6_T7_T9_mT8_P12ihipStream_tbDpT10_ENKUlT_T0_E_clISt17integral_constantIbLb0EES18_IbLb1EEEEDaS14_S15_EUlS14_E_NS1_11comp_targetILNS1_3genE10ELNS1_11target_archE1200ELNS1_3gpuE4ELNS1_3repE0EEENS1_30default_config_static_selectorELNS0_4arch9wavefront6targetE1EEEvT1_,comdat
	.protected	_ZN7rocprim17ROCPRIM_400000_NS6detail17trampoline_kernelINS0_14default_configENS1_25partition_config_selectorILNS1_17partition_subalgoE0EtNS0_10empty_typeEbEEZZNS1_14partition_implILS5_0ELb0ES3_jN6thrust23THRUST_200600_302600_NS6detail15normal_iteratorINSA_10device_ptrItEEEEPS6_SG_NS0_5tupleIJSF_NSA_16discard_iteratorINSA_11use_defaultEEEEEENSH_IJSG_SG_EEES6_PlJ7is_evenItEEEE10hipError_tPvRmT3_T4_T5_T6_T7_T9_mT8_P12ihipStream_tbDpT10_ENKUlT_T0_E_clISt17integral_constantIbLb0EES18_IbLb1EEEEDaS14_S15_EUlS14_E_NS1_11comp_targetILNS1_3genE10ELNS1_11target_archE1200ELNS1_3gpuE4ELNS1_3repE0EEENS1_30default_config_static_selectorELNS0_4arch9wavefront6targetE1EEEvT1_ ; -- Begin function _ZN7rocprim17ROCPRIM_400000_NS6detail17trampoline_kernelINS0_14default_configENS1_25partition_config_selectorILNS1_17partition_subalgoE0EtNS0_10empty_typeEbEEZZNS1_14partition_implILS5_0ELb0ES3_jN6thrust23THRUST_200600_302600_NS6detail15normal_iteratorINSA_10device_ptrItEEEEPS6_SG_NS0_5tupleIJSF_NSA_16discard_iteratorINSA_11use_defaultEEEEEENSH_IJSG_SG_EEES6_PlJ7is_evenItEEEE10hipError_tPvRmT3_T4_T5_T6_T7_T9_mT8_P12ihipStream_tbDpT10_ENKUlT_T0_E_clISt17integral_constantIbLb0EES18_IbLb1EEEEDaS14_S15_EUlS14_E_NS1_11comp_targetILNS1_3genE10ELNS1_11target_archE1200ELNS1_3gpuE4ELNS1_3repE0EEENS1_30default_config_static_selectorELNS0_4arch9wavefront6targetE1EEEvT1_
	.globl	_ZN7rocprim17ROCPRIM_400000_NS6detail17trampoline_kernelINS0_14default_configENS1_25partition_config_selectorILNS1_17partition_subalgoE0EtNS0_10empty_typeEbEEZZNS1_14partition_implILS5_0ELb0ES3_jN6thrust23THRUST_200600_302600_NS6detail15normal_iteratorINSA_10device_ptrItEEEEPS6_SG_NS0_5tupleIJSF_NSA_16discard_iteratorINSA_11use_defaultEEEEEENSH_IJSG_SG_EEES6_PlJ7is_evenItEEEE10hipError_tPvRmT3_T4_T5_T6_T7_T9_mT8_P12ihipStream_tbDpT10_ENKUlT_T0_E_clISt17integral_constantIbLb0EES18_IbLb1EEEEDaS14_S15_EUlS14_E_NS1_11comp_targetILNS1_3genE10ELNS1_11target_archE1200ELNS1_3gpuE4ELNS1_3repE0EEENS1_30default_config_static_selectorELNS0_4arch9wavefront6targetE1EEEvT1_
	.p2align	8
	.type	_ZN7rocprim17ROCPRIM_400000_NS6detail17trampoline_kernelINS0_14default_configENS1_25partition_config_selectorILNS1_17partition_subalgoE0EtNS0_10empty_typeEbEEZZNS1_14partition_implILS5_0ELb0ES3_jN6thrust23THRUST_200600_302600_NS6detail15normal_iteratorINSA_10device_ptrItEEEEPS6_SG_NS0_5tupleIJSF_NSA_16discard_iteratorINSA_11use_defaultEEEEEENSH_IJSG_SG_EEES6_PlJ7is_evenItEEEE10hipError_tPvRmT3_T4_T5_T6_T7_T9_mT8_P12ihipStream_tbDpT10_ENKUlT_T0_E_clISt17integral_constantIbLb0EES18_IbLb1EEEEDaS14_S15_EUlS14_E_NS1_11comp_targetILNS1_3genE10ELNS1_11target_archE1200ELNS1_3gpuE4ELNS1_3repE0EEENS1_30default_config_static_selectorELNS0_4arch9wavefront6targetE1EEEvT1_,@function
_ZN7rocprim17ROCPRIM_400000_NS6detail17trampoline_kernelINS0_14default_configENS1_25partition_config_selectorILNS1_17partition_subalgoE0EtNS0_10empty_typeEbEEZZNS1_14partition_implILS5_0ELb0ES3_jN6thrust23THRUST_200600_302600_NS6detail15normal_iteratorINSA_10device_ptrItEEEEPS6_SG_NS0_5tupleIJSF_NSA_16discard_iteratorINSA_11use_defaultEEEEEENSH_IJSG_SG_EEES6_PlJ7is_evenItEEEE10hipError_tPvRmT3_T4_T5_T6_T7_T9_mT8_P12ihipStream_tbDpT10_ENKUlT_T0_E_clISt17integral_constantIbLb0EES18_IbLb1EEEEDaS14_S15_EUlS14_E_NS1_11comp_targetILNS1_3genE10ELNS1_11target_archE1200ELNS1_3gpuE4ELNS1_3repE0EEENS1_30default_config_static_selectorELNS0_4arch9wavefront6targetE1EEEvT1_: ; @_ZN7rocprim17ROCPRIM_400000_NS6detail17trampoline_kernelINS0_14default_configENS1_25partition_config_selectorILNS1_17partition_subalgoE0EtNS0_10empty_typeEbEEZZNS1_14partition_implILS5_0ELb0ES3_jN6thrust23THRUST_200600_302600_NS6detail15normal_iteratorINSA_10device_ptrItEEEEPS6_SG_NS0_5tupleIJSF_NSA_16discard_iteratorINSA_11use_defaultEEEEEENSH_IJSG_SG_EEES6_PlJ7is_evenItEEEE10hipError_tPvRmT3_T4_T5_T6_T7_T9_mT8_P12ihipStream_tbDpT10_ENKUlT_T0_E_clISt17integral_constantIbLb0EES18_IbLb1EEEEDaS14_S15_EUlS14_E_NS1_11comp_targetILNS1_3genE10ELNS1_11target_archE1200ELNS1_3gpuE4ELNS1_3repE0EEENS1_30default_config_static_selectorELNS0_4arch9wavefront6targetE1EEEvT1_
; %bb.0:
	.section	.rodata,"a",@progbits
	.p2align	6, 0x0
	.amdhsa_kernel _ZN7rocprim17ROCPRIM_400000_NS6detail17trampoline_kernelINS0_14default_configENS1_25partition_config_selectorILNS1_17partition_subalgoE0EtNS0_10empty_typeEbEEZZNS1_14partition_implILS5_0ELb0ES3_jN6thrust23THRUST_200600_302600_NS6detail15normal_iteratorINSA_10device_ptrItEEEEPS6_SG_NS0_5tupleIJSF_NSA_16discard_iteratorINSA_11use_defaultEEEEEENSH_IJSG_SG_EEES6_PlJ7is_evenItEEEE10hipError_tPvRmT3_T4_T5_T6_T7_T9_mT8_P12ihipStream_tbDpT10_ENKUlT_T0_E_clISt17integral_constantIbLb0EES18_IbLb1EEEEDaS14_S15_EUlS14_E_NS1_11comp_targetILNS1_3genE10ELNS1_11target_archE1200ELNS1_3gpuE4ELNS1_3repE0EEENS1_30default_config_static_selectorELNS0_4arch9wavefront6targetE1EEEvT1_
		.amdhsa_group_segment_fixed_size 0
		.amdhsa_private_segment_fixed_size 0
		.amdhsa_kernarg_size 144
		.amdhsa_user_sgpr_count 2
		.amdhsa_user_sgpr_dispatch_ptr 0
		.amdhsa_user_sgpr_queue_ptr 0
		.amdhsa_user_sgpr_kernarg_segment_ptr 1
		.amdhsa_user_sgpr_dispatch_id 0
		.amdhsa_user_sgpr_kernarg_preload_length 0
		.amdhsa_user_sgpr_kernarg_preload_offset 0
		.amdhsa_user_sgpr_private_segment_size 0
		.amdhsa_uses_dynamic_stack 0
		.amdhsa_enable_private_segment 0
		.amdhsa_system_sgpr_workgroup_id_x 1
		.amdhsa_system_sgpr_workgroup_id_y 0
		.amdhsa_system_sgpr_workgroup_id_z 0
		.amdhsa_system_sgpr_workgroup_info 0
		.amdhsa_system_vgpr_workitem_id 0
		.amdhsa_next_free_vgpr 1
		.amdhsa_next_free_sgpr 0
		.amdhsa_accum_offset 4
		.amdhsa_reserve_vcc 0
		.amdhsa_float_round_mode_32 0
		.amdhsa_float_round_mode_16_64 0
		.amdhsa_float_denorm_mode_32 3
		.amdhsa_float_denorm_mode_16_64 3
		.amdhsa_dx10_clamp 1
		.amdhsa_ieee_mode 1
		.amdhsa_fp16_overflow 0
		.amdhsa_tg_split 0
		.amdhsa_exception_fp_ieee_invalid_op 0
		.amdhsa_exception_fp_denorm_src 0
		.amdhsa_exception_fp_ieee_div_zero 0
		.amdhsa_exception_fp_ieee_overflow 0
		.amdhsa_exception_fp_ieee_underflow 0
		.amdhsa_exception_fp_ieee_inexact 0
		.amdhsa_exception_int_div_zero 0
	.end_amdhsa_kernel
	.section	.text._ZN7rocprim17ROCPRIM_400000_NS6detail17trampoline_kernelINS0_14default_configENS1_25partition_config_selectorILNS1_17partition_subalgoE0EtNS0_10empty_typeEbEEZZNS1_14partition_implILS5_0ELb0ES3_jN6thrust23THRUST_200600_302600_NS6detail15normal_iteratorINSA_10device_ptrItEEEEPS6_SG_NS0_5tupleIJSF_NSA_16discard_iteratorINSA_11use_defaultEEEEEENSH_IJSG_SG_EEES6_PlJ7is_evenItEEEE10hipError_tPvRmT3_T4_T5_T6_T7_T9_mT8_P12ihipStream_tbDpT10_ENKUlT_T0_E_clISt17integral_constantIbLb0EES18_IbLb1EEEEDaS14_S15_EUlS14_E_NS1_11comp_targetILNS1_3genE10ELNS1_11target_archE1200ELNS1_3gpuE4ELNS1_3repE0EEENS1_30default_config_static_selectorELNS0_4arch9wavefront6targetE1EEEvT1_,"axG",@progbits,_ZN7rocprim17ROCPRIM_400000_NS6detail17trampoline_kernelINS0_14default_configENS1_25partition_config_selectorILNS1_17partition_subalgoE0EtNS0_10empty_typeEbEEZZNS1_14partition_implILS5_0ELb0ES3_jN6thrust23THRUST_200600_302600_NS6detail15normal_iteratorINSA_10device_ptrItEEEEPS6_SG_NS0_5tupleIJSF_NSA_16discard_iteratorINSA_11use_defaultEEEEEENSH_IJSG_SG_EEES6_PlJ7is_evenItEEEE10hipError_tPvRmT3_T4_T5_T6_T7_T9_mT8_P12ihipStream_tbDpT10_ENKUlT_T0_E_clISt17integral_constantIbLb0EES18_IbLb1EEEEDaS14_S15_EUlS14_E_NS1_11comp_targetILNS1_3genE10ELNS1_11target_archE1200ELNS1_3gpuE4ELNS1_3repE0EEENS1_30default_config_static_selectorELNS0_4arch9wavefront6targetE1EEEvT1_,comdat
.Lfunc_end2552:
	.size	_ZN7rocprim17ROCPRIM_400000_NS6detail17trampoline_kernelINS0_14default_configENS1_25partition_config_selectorILNS1_17partition_subalgoE0EtNS0_10empty_typeEbEEZZNS1_14partition_implILS5_0ELb0ES3_jN6thrust23THRUST_200600_302600_NS6detail15normal_iteratorINSA_10device_ptrItEEEEPS6_SG_NS0_5tupleIJSF_NSA_16discard_iteratorINSA_11use_defaultEEEEEENSH_IJSG_SG_EEES6_PlJ7is_evenItEEEE10hipError_tPvRmT3_T4_T5_T6_T7_T9_mT8_P12ihipStream_tbDpT10_ENKUlT_T0_E_clISt17integral_constantIbLb0EES18_IbLb1EEEEDaS14_S15_EUlS14_E_NS1_11comp_targetILNS1_3genE10ELNS1_11target_archE1200ELNS1_3gpuE4ELNS1_3repE0EEENS1_30default_config_static_selectorELNS0_4arch9wavefront6targetE1EEEvT1_, .Lfunc_end2552-_ZN7rocprim17ROCPRIM_400000_NS6detail17trampoline_kernelINS0_14default_configENS1_25partition_config_selectorILNS1_17partition_subalgoE0EtNS0_10empty_typeEbEEZZNS1_14partition_implILS5_0ELb0ES3_jN6thrust23THRUST_200600_302600_NS6detail15normal_iteratorINSA_10device_ptrItEEEEPS6_SG_NS0_5tupleIJSF_NSA_16discard_iteratorINSA_11use_defaultEEEEEENSH_IJSG_SG_EEES6_PlJ7is_evenItEEEE10hipError_tPvRmT3_T4_T5_T6_T7_T9_mT8_P12ihipStream_tbDpT10_ENKUlT_T0_E_clISt17integral_constantIbLb0EES18_IbLb1EEEEDaS14_S15_EUlS14_E_NS1_11comp_targetILNS1_3genE10ELNS1_11target_archE1200ELNS1_3gpuE4ELNS1_3repE0EEENS1_30default_config_static_selectorELNS0_4arch9wavefront6targetE1EEEvT1_
                                        ; -- End function
	.section	.AMDGPU.csdata,"",@progbits
; Kernel info:
; codeLenInByte = 0
; NumSgprs: 6
; NumVgprs: 0
; NumAgprs: 0
; TotalNumVgprs: 0
; ScratchSize: 0
; MemoryBound: 0
; FloatMode: 240
; IeeeMode: 1
; LDSByteSize: 0 bytes/workgroup (compile time only)
; SGPRBlocks: 0
; VGPRBlocks: 0
; NumSGPRsForWavesPerEU: 6
; NumVGPRsForWavesPerEU: 1
; AccumOffset: 4
; Occupancy: 8
; WaveLimiterHint : 0
; COMPUTE_PGM_RSRC2:SCRATCH_EN: 0
; COMPUTE_PGM_RSRC2:USER_SGPR: 2
; COMPUTE_PGM_RSRC2:TRAP_HANDLER: 0
; COMPUTE_PGM_RSRC2:TGID_X_EN: 1
; COMPUTE_PGM_RSRC2:TGID_Y_EN: 0
; COMPUTE_PGM_RSRC2:TGID_Z_EN: 0
; COMPUTE_PGM_RSRC2:TIDIG_COMP_CNT: 0
; COMPUTE_PGM_RSRC3_GFX90A:ACCUM_OFFSET: 0
; COMPUTE_PGM_RSRC3_GFX90A:TG_SPLIT: 0
	.section	.text._ZN7rocprim17ROCPRIM_400000_NS6detail17trampoline_kernelINS0_14default_configENS1_25partition_config_selectorILNS1_17partition_subalgoE0EtNS0_10empty_typeEbEEZZNS1_14partition_implILS5_0ELb0ES3_jN6thrust23THRUST_200600_302600_NS6detail15normal_iteratorINSA_10device_ptrItEEEEPS6_SG_NS0_5tupleIJSF_NSA_16discard_iteratorINSA_11use_defaultEEEEEENSH_IJSG_SG_EEES6_PlJ7is_evenItEEEE10hipError_tPvRmT3_T4_T5_T6_T7_T9_mT8_P12ihipStream_tbDpT10_ENKUlT_T0_E_clISt17integral_constantIbLb0EES18_IbLb1EEEEDaS14_S15_EUlS14_E_NS1_11comp_targetILNS1_3genE9ELNS1_11target_archE1100ELNS1_3gpuE3ELNS1_3repE0EEENS1_30default_config_static_selectorELNS0_4arch9wavefront6targetE1EEEvT1_,"axG",@progbits,_ZN7rocprim17ROCPRIM_400000_NS6detail17trampoline_kernelINS0_14default_configENS1_25partition_config_selectorILNS1_17partition_subalgoE0EtNS0_10empty_typeEbEEZZNS1_14partition_implILS5_0ELb0ES3_jN6thrust23THRUST_200600_302600_NS6detail15normal_iteratorINSA_10device_ptrItEEEEPS6_SG_NS0_5tupleIJSF_NSA_16discard_iteratorINSA_11use_defaultEEEEEENSH_IJSG_SG_EEES6_PlJ7is_evenItEEEE10hipError_tPvRmT3_T4_T5_T6_T7_T9_mT8_P12ihipStream_tbDpT10_ENKUlT_T0_E_clISt17integral_constantIbLb0EES18_IbLb1EEEEDaS14_S15_EUlS14_E_NS1_11comp_targetILNS1_3genE9ELNS1_11target_archE1100ELNS1_3gpuE3ELNS1_3repE0EEENS1_30default_config_static_selectorELNS0_4arch9wavefront6targetE1EEEvT1_,comdat
	.protected	_ZN7rocprim17ROCPRIM_400000_NS6detail17trampoline_kernelINS0_14default_configENS1_25partition_config_selectorILNS1_17partition_subalgoE0EtNS0_10empty_typeEbEEZZNS1_14partition_implILS5_0ELb0ES3_jN6thrust23THRUST_200600_302600_NS6detail15normal_iteratorINSA_10device_ptrItEEEEPS6_SG_NS0_5tupleIJSF_NSA_16discard_iteratorINSA_11use_defaultEEEEEENSH_IJSG_SG_EEES6_PlJ7is_evenItEEEE10hipError_tPvRmT3_T4_T5_T6_T7_T9_mT8_P12ihipStream_tbDpT10_ENKUlT_T0_E_clISt17integral_constantIbLb0EES18_IbLb1EEEEDaS14_S15_EUlS14_E_NS1_11comp_targetILNS1_3genE9ELNS1_11target_archE1100ELNS1_3gpuE3ELNS1_3repE0EEENS1_30default_config_static_selectorELNS0_4arch9wavefront6targetE1EEEvT1_ ; -- Begin function _ZN7rocprim17ROCPRIM_400000_NS6detail17trampoline_kernelINS0_14default_configENS1_25partition_config_selectorILNS1_17partition_subalgoE0EtNS0_10empty_typeEbEEZZNS1_14partition_implILS5_0ELb0ES3_jN6thrust23THRUST_200600_302600_NS6detail15normal_iteratorINSA_10device_ptrItEEEEPS6_SG_NS0_5tupleIJSF_NSA_16discard_iteratorINSA_11use_defaultEEEEEENSH_IJSG_SG_EEES6_PlJ7is_evenItEEEE10hipError_tPvRmT3_T4_T5_T6_T7_T9_mT8_P12ihipStream_tbDpT10_ENKUlT_T0_E_clISt17integral_constantIbLb0EES18_IbLb1EEEEDaS14_S15_EUlS14_E_NS1_11comp_targetILNS1_3genE9ELNS1_11target_archE1100ELNS1_3gpuE3ELNS1_3repE0EEENS1_30default_config_static_selectorELNS0_4arch9wavefront6targetE1EEEvT1_
	.globl	_ZN7rocprim17ROCPRIM_400000_NS6detail17trampoline_kernelINS0_14default_configENS1_25partition_config_selectorILNS1_17partition_subalgoE0EtNS0_10empty_typeEbEEZZNS1_14partition_implILS5_0ELb0ES3_jN6thrust23THRUST_200600_302600_NS6detail15normal_iteratorINSA_10device_ptrItEEEEPS6_SG_NS0_5tupleIJSF_NSA_16discard_iteratorINSA_11use_defaultEEEEEENSH_IJSG_SG_EEES6_PlJ7is_evenItEEEE10hipError_tPvRmT3_T4_T5_T6_T7_T9_mT8_P12ihipStream_tbDpT10_ENKUlT_T0_E_clISt17integral_constantIbLb0EES18_IbLb1EEEEDaS14_S15_EUlS14_E_NS1_11comp_targetILNS1_3genE9ELNS1_11target_archE1100ELNS1_3gpuE3ELNS1_3repE0EEENS1_30default_config_static_selectorELNS0_4arch9wavefront6targetE1EEEvT1_
	.p2align	8
	.type	_ZN7rocprim17ROCPRIM_400000_NS6detail17trampoline_kernelINS0_14default_configENS1_25partition_config_selectorILNS1_17partition_subalgoE0EtNS0_10empty_typeEbEEZZNS1_14partition_implILS5_0ELb0ES3_jN6thrust23THRUST_200600_302600_NS6detail15normal_iteratorINSA_10device_ptrItEEEEPS6_SG_NS0_5tupleIJSF_NSA_16discard_iteratorINSA_11use_defaultEEEEEENSH_IJSG_SG_EEES6_PlJ7is_evenItEEEE10hipError_tPvRmT3_T4_T5_T6_T7_T9_mT8_P12ihipStream_tbDpT10_ENKUlT_T0_E_clISt17integral_constantIbLb0EES18_IbLb1EEEEDaS14_S15_EUlS14_E_NS1_11comp_targetILNS1_3genE9ELNS1_11target_archE1100ELNS1_3gpuE3ELNS1_3repE0EEENS1_30default_config_static_selectorELNS0_4arch9wavefront6targetE1EEEvT1_,@function
_ZN7rocprim17ROCPRIM_400000_NS6detail17trampoline_kernelINS0_14default_configENS1_25partition_config_selectorILNS1_17partition_subalgoE0EtNS0_10empty_typeEbEEZZNS1_14partition_implILS5_0ELb0ES3_jN6thrust23THRUST_200600_302600_NS6detail15normal_iteratorINSA_10device_ptrItEEEEPS6_SG_NS0_5tupleIJSF_NSA_16discard_iteratorINSA_11use_defaultEEEEEENSH_IJSG_SG_EEES6_PlJ7is_evenItEEEE10hipError_tPvRmT3_T4_T5_T6_T7_T9_mT8_P12ihipStream_tbDpT10_ENKUlT_T0_E_clISt17integral_constantIbLb0EES18_IbLb1EEEEDaS14_S15_EUlS14_E_NS1_11comp_targetILNS1_3genE9ELNS1_11target_archE1100ELNS1_3gpuE3ELNS1_3repE0EEENS1_30default_config_static_selectorELNS0_4arch9wavefront6targetE1EEEvT1_: ; @_ZN7rocprim17ROCPRIM_400000_NS6detail17trampoline_kernelINS0_14default_configENS1_25partition_config_selectorILNS1_17partition_subalgoE0EtNS0_10empty_typeEbEEZZNS1_14partition_implILS5_0ELb0ES3_jN6thrust23THRUST_200600_302600_NS6detail15normal_iteratorINSA_10device_ptrItEEEEPS6_SG_NS0_5tupleIJSF_NSA_16discard_iteratorINSA_11use_defaultEEEEEENSH_IJSG_SG_EEES6_PlJ7is_evenItEEEE10hipError_tPvRmT3_T4_T5_T6_T7_T9_mT8_P12ihipStream_tbDpT10_ENKUlT_T0_E_clISt17integral_constantIbLb0EES18_IbLb1EEEEDaS14_S15_EUlS14_E_NS1_11comp_targetILNS1_3genE9ELNS1_11target_archE1100ELNS1_3gpuE3ELNS1_3repE0EEENS1_30default_config_static_selectorELNS0_4arch9wavefront6targetE1EEEvT1_
; %bb.0:
	.section	.rodata,"a",@progbits
	.p2align	6, 0x0
	.amdhsa_kernel _ZN7rocprim17ROCPRIM_400000_NS6detail17trampoline_kernelINS0_14default_configENS1_25partition_config_selectorILNS1_17partition_subalgoE0EtNS0_10empty_typeEbEEZZNS1_14partition_implILS5_0ELb0ES3_jN6thrust23THRUST_200600_302600_NS6detail15normal_iteratorINSA_10device_ptrItEEEEPS6_SG_NS0_5tupleIJSF_NSA_16discard_iteratorINSA_11use_defaultEEEEEENSH_IJSG_SG_EEES6_PlJ7is_evenItEEEE10hipError_tPvRmT3_T4_T5_T6_T7_T9_mT8_P12ihipStream_tbDpT10_ENKUlT_T0_E_clISt17integral_constantIbLb0EES18_IbLb1EEEEDaS14_S15_EUlS14_E_NS1_11comp_targetILNS1_3genE9ELNS1_11target_archE1100ELNS1_3gpuE3ELNS1_3repE0EEENS1_30default_config_static_selectorELNS0_4arch9wavefront6targetE1EEEvT1_
		.amdhsa_group_segment_fixed_size 0
		.amdhsa_private_segment_fixed_size 0
		.amdhsa_kernarg_size 144
		.amdhsa_user_sgpr_count 2
		.amdhsa_user_sgpr_dispatch_ptr 0
		.amdhsa_user_sgpr_queue_ptr 0
		.amdhsa_user_sgpr_kernarg_segment_ptr 1
		.amdhsa_user_sgpr_dispatch_id 0
		.amdhsa_user_sgpr_kernarg_preload_length 0
		.amdhsa_user_sgpr_kernarg_preload_offset 0
		.amdhsa_user_sgpr_private_segment_size 0
		.amdhsa_uses_dynamic_stack 0
		.amdhsa_enable_private_segment 0
		.amdhsa_system_sgpr_workgroup_id_x 1
		.amdhsa_system_sgpr_workgroup_id_y 0
		.amdhsa_system_sgpr_workgroup_id_z 0
		.amdhsa_system_sgpr_workgroup_info 0
		.amdhsa_system_vgpr_workitem_id 0
		.amdhsa_next_free_vgpr 1
		.amdhsa_next_free_sgpr 0
		.amdhsa_accum_offset 4
		.amdhsa_reserve_vcc 0
		.amdhsa_float_round_mode_32 0
		.amdhsa_float_round_mode_16_64 0
		.amdhsa_float_denorm_mode_32 3
		.amdhsa_float_denorm_mode_16_64 3
		.amdhsa_dx10_clamp 1
		.amdhsa_ieee_mode 1
		.amdhsa_fp16_overflow 0
		.amdhsa_tg_split 0
		.amdhsa_exception_fp_ieee_invalid_op 0
		.amdhsa_exception_fp_denorm_src 0
		.amdhsa_exception_fp_ieee_div_zero 0
		.amdhsa_exception_fp_ieee_overflow 0
		.amdhsa_exception_fp_ieee_underflow 0
		.amdhsa_exception_fp_ieee_inexact 0
		.amdhsa_exception_int_div_zero 0
	.end_amdhsa_kernel
	.section	.text._ZN7rocprim17ROCPRIM_400000_NS6detail17trampoline_kernelINS0_14default_configENS1_25partition_config_selectorILNS1_17partition_subalgoE0EtNS0_10empty_typeEbEEZZNS1_14partition_implILS5_0ELb0ES3_jN6thrust23THRUST_200600_302600_NS6detail15normal_iteratorINSA_10device_ptrItEEEEPS6_SG_NS0_5tupleIJSF_NSA_16discard_iteratorINSA_11use_defaultEEEEEENSH_IJSG_SG_EEES6_PlJ7is_evenItEEEE10hipError_tPvRmT3_T4_T5_T6_T7_T9_mT8_P12ihipStream_tbDpT10_ENKUlT_T0_E_clISt17integral_constantIbLb0EES18_IbLb1EEEEDaS14_S15_EUlS14_E_NS1_11comp_targetILNS1_3genE9ELNS1_11target_archE1100ELNS1_3gpuE3ELNS1_3repE0EEENS1_30default_config_static_selectorELNS0_4arch9wavefront6targetE1EEEvT1_,"axG",@progbits,_ZN7rocprim17ROCPRIM_400000_NS6detail17trampoline_kernelINS0_14default_configENS1_25partition_config_selectorILNS1_17partition_subalgoE0EtNS0_10empty_typeEbEEZZNS1_14partition_implILS5_0ELb0ES3_jN6thrust23THRUST_200600_302600_NS6detail15normal_iteratorINSA_10device_ptrItEEEEPS6_SG_NS0_5tupleIJSF_NSA_16discard_iteratorINSA_11use_defaultEEEEEENSH_IJSG_SG_EEES6_PlJ7is_evenItEEEE10hipError_tPvRmT3_T4_T5_T6_T7_T9_mT8_P12ihipStream_tbDpT10_ENKUlT_T0_E_clISt17integral_constantIbLb0EES18_IbLb1EEEEDaS14_S15_EUlS14_E_NS1_11comp_targetILNS1_3genE9ELNS1_11target_archE1100ELNS1_3gpuE3ELNS1_3repE0EEENS1_30default_config_static_selectorELNS0_4arch9wavefront6targetE1EEEvT1_,comdat
.Lfunc_end2553:
	.size	_ZN7rocprim17ROCPRIM_400000_NS6detail17trampoline_kernelINS0_14default_configENS1_25partition_config_selectorILNS1_17partition_subalgoE0EtNS0_10empty_typeEbEEZZNS1_14partition_implILS5_0ELb0ES3_jN6thrust23THRUST_200600_302600_NS6detail15normal_iteratorINSA_10device_ptrItEEEEPS6_SG_NS0_5tupleIJSF_NSA_16discard_iteratorINSA_11use_defaultEEEEEENSH_IJSG_SG_EEES6_PlJ7is_evenItEEEE10hipError_tPvRmT3_T4_T5_T6_T7_T9_mT8_P12ihipStream_tbDpT10_ENKUlT_T0_E_clISt17integral_constantIbLb0EES18_IbLb1EEEEDaS14_S15_EUlS14_E_NS1_11comp_targetILNS1_3genE9ELNS1_11target_archE1100ELNS1_3gpuE3ELNS1_3repE0EEENS1_30default_config_static_selectorELNS0_4arch9wavefront6targetE1EEEvT1_, .Lfunc_end2553-_ZN7rocprim17ROCPRIM_400000_NS6detail17trampoline_kernelINS0_14default_configENS1_25partition_config_selectorILNS1_17partition_subalgoE0EtNS0_10empty_typeEbEEZZNS1_14partition_implILS5_0ELb0ES3_jN6thrust23THRUST_200600_302600_NS6detail15normal_iteratorINSA_10device_ptrItEEEEPS6_SG_NS0_5tupleIJSF_NSA_16discard_iteratorINSA_11use_defaultEEEEEENSH_IJSG_SG_EEES6_PlJ7is_evenItEEEE10hipError_tPvRmT3_T4_T5_T6_T7_T9_mT8_P12ihipStream_tbDpT10_ENKUlT_T0_E_clISt17integral_constantIbLb0EES18_IbLb1EEEEDaS14_S15_EUlS14_E_NS1_11comp_targetILNS1_3genE9ELNS1_11target_archE1100ELNS1_3gpuE3ELNS1_3repE0EEENS1_30default_config_static_selectorELNS0_4arch9wavefront6targetE1EEEvT1_
                                        ; -- End function
	.section	.AMDGPU.csdata,"",@progbits
; Kernel info:
; codeLenInByte = 0
; NumSgprs: 6
; NumVgprs: 0
; NumAgprs: 0
; TotalNumVgprs: 0
; ScratchSize: 0
; MemoryBound: 0
; FloatMode: 240
; IeeeMode: 1
; LDSByteSize: 0 bytes/workgroup (compile time only)
; SGPRBlocks: 0
; VGPRBlocks: 0
; NumSGPRsForWavesPerEU: 6
; NumVGPRsForWavesPerEU: 1
; AccumOffset: 4
; Occupancy: 8
; WaveLimiterHint : 0
; COMPUTE_PGM_RSRC2:SCRATCH_EN: 0
; COMPUTE_PGM_RSRC2:USER_SGPR: 2
; COMPUTE_PGM_RSRC2:TRAP_HANDLER: 0
; COMPUTE_PGM_RSRC2:TGID_X_EN: 1
; COMPUTE_PGM_RSRC2:TGID_Y_EN: 0
; COMPUTE_PGM_RSRC2:TGID_Z_EN: 0
; COMPUTE_PGM_RSRC2:TIDIG_COMP_CNT: 0
; COMPUTE_PGM_RSRC3_GFX90A:ACCUM_OFFSET: 0
; COMPUTE_PGM_RSRC3_GFX90A:TG_SPLIT: 0
	.section	.text._ZN7rocprim17ROCPRIM_400000_NS6detail17trampoline_kernelINS0_14default_configENS1_25partition_config_selectorILNS1_17partition_subalgoE0EtNS0_10empty_typeEbEEZZNS1_14partition_implILS5_0ELb0ES3_jN6thrust23THRUST_200600_302600_NS6detail15normal_iteratorINSA_10device_ptrItEEEEPS6_SG_NS0_5tupleIJSF_NSA_16discard_iteratorINSA_11use_defaultEEEEEENSH_IJSG_SG_EEES6_PlJ7is_evenItEEEE10hipError_tPvRmT3_T4_T5_T6_T7_T9_mT8_P12ihipStream_tbDpT10_ENKUlT_T0_E_clISt17integral_constantIbLb0EES18_IbLb1EEEEDaS14_S15_EUlS14_E_NS1_11comp_targetILNS1_3genE8ELNS1_11target_archE1030ELNS1_3gpuE2ELNS1_3repE0EEENS1_30default_config_static_selectorELNS0_4arch9wavefront6targetE1EEEvT1_,"axG",@progbits,_ZN7rocprim17ROCPRIM_400000_NS6detail17trampoline_kernelINS0_14default_configENS1_25partition_config_selectorILNS1_17partition_subalgoE0EtNS0_10empty_typeEbEEZZNS1_14partition_implILS5_0ELb0ES3_jN6thrust23THRUST_200600_302600_NS6detail15normal_iteratorINSA_10device_ptrItEEEEPS6_SG_NS0_5tupleIJSF_NSA_16discard_iteratorINSA_11use_defaultEEEEEENSH_IJSG_SG_EEES6_PlJ7is_evenItEEEE10hipError_tPvRmT3_T4_T5_T6_T7_T9_mT8_P12ihipStream_tbDpT10_ENKUlT_T0_E_clISt17integral_constantIbLb0EES18_IbLb1EEEEDaS14_S15_EUlS14_E_NS1_11comp_targetILNS1_3genE8ELNS1_11target_archE1030ELNS1_3gpuE2ELNS1_3repE0EEENS1_30default_config_static_selectorELNS0_4arch9wavefront6targetE1EEEvT1_,comdat
	.protected	_ZN7rocprim17ROCPRIM_400000_NS6detail17trampoline_kernelINS0_14default_configENS1_25partition_config_selectorILNS1_17partition_subalgoE0EtNS0_10empty_typeEbEEZZNS1_14partition_implILS5_0ELb0ES3_jN6thrust23THRUST_200600_302600_NS6detail15normal_iteratorINSA_10device_ptrItEEEEPS6_SG_NS0_5tupleIJSF_NSA_16discard_iteratorINSA_11use_defaultEEEEEENSH_IJSG_SG_EEES6_PlJ7is_evenItEEEE10hipError_tPvRmT3_T4_T5_T6_T7_T9_mT8_P12ihipStream_tbDpT10_ENKUlT_T0_E_clISt17integral_constantIbLb0EES18_IbLb1EEEEDaS14_S15_EUlS14_E_NS1_11comp_targetILNS1_3genE8ELNS1_11target_archE1030ELNS1_3gpuE2ELNS1_3repE0EEENS1_30default_config_static_selectorELNS0_4arch9wavefront6targetE1EEEvT1_ ; -- Begin function _ZN7rocprim17ROCPRIM_400000_NS6detail17trampoline_kernelINS0_14default_configENS1_25partition_config_selectorILNS1_17partition_subalgoE0EtNS0_10empty_typeEbEEZZNS1_14partition_implILS5_0ELb0ES3_jN6thrust23THRUST_200600_302600_NS6detail15normal_iteratorINSA_10device_ptrItEEEEPS6_SG_NS0_5tupleIJSF_NSA_16discard_iteratorINSA_11use_defaultEEEEEENSH_IJSG_SG_EEES6_PlJ7is_evenItEEEE10hipError_tPvRmT3_T4_T5_T6_T7_T9_mT8_P12ihipStream_tbDpT10_ENKUlT_T0_E_clISt17integral_constantIbLb0EES18_IbLb1EEEEDaS14_S15_EUlS14_E_NS1_11comp_targetILNS1_3genE8ELNS1_11target_archE1030ELNS1_3gpuE2ELNS1_3repE0EEENS1_30default_config_static_selectorELNS0_4arch9wavefront6targetE1EEEvT1_
	.globl	_ZN7rocprim17ROCPRIM_400000_NS6detail17trampoline_kernelINS0_14default_configENS1_25partition_config_selectorILNS1_17partition_subalgoE0EtNS0_10empty_typeEbEEZZNS1_14partition_implILS5_0ELb0ES3_jN6thrust23THRUST_200600_302600_NS6detail15normal_iteratorINSA_10device_ptrItEEEEPS6_SG_NS0_5tupleIJSF_NSA_16discard_iteratorINSA_11use_defaultEEEEEENSH_IJSG_SG_EEES6_PlJ7is_evenItEEEE10hipError_tPvRmT3_T4_T5_T6_T7_T9_mT8_P12ihipStream_tbDpT10_ENKUlT_T0_E_clISt17integral_constantIbLb0EES18_IbLb1EEEEDaS14_S15_EUlS14_E_NS1_11comp_targetILNS1_3genE8ELNS1_11target_archE1030ELNS1_3gpuE2ELNS1_3repE0EEENS1_30default_config_static_selectorELNS0_4arch9wavefront6targetE1EEEvT1_
	.p2align	8
	.type	_ZN7rocprim17ROCPRIM_400000_NS6detail17trampoline_kernelINS0_14default_configENS1_25partition_config_selectorILNS1_17partition_subalgoE0EtNS0_10empty_typeEbEEZZNS1_14partition_implILS5_0ELb0ES3_jN6thrust23THRUST_200600_302600_NS6detail15normal_iteratorINSA_10device_ptrItEEEEPS6_SG_NS0_5tupleIJSF_NSA_16discard_iteratorINSA_11use_defaultEEEEEENSH_IJSG_SG_EEES6_PlJ7is_evenItEEEE10hipError_tPvRmT3_T4_T5_T6_T7_T9_mT8_P12ihipStream_tbDpT10_ENKUlT_T0_E_clISt17integral_constantIbLb0EES18_IbLb1EEEEDaS14_S15_EUlS14_E_NS1_11comp_targetILNS1_3genE8ELNS1_11target_archE1030ELNS1_3gpuE2ELNS1_3repE0EEENS1_30default_config_static_selectorELNS0_4arch9wavefront6targetE1EEEvT1_,@function
_ZN7rocprim17ROCPRIM_400000_NS6detail17trampoline_kernelINS0_14default_configENS1_25partition_config_selectorILNS1_17partition_subalgoE0EtNS0_10empty_typeEbEEZZNS1_14partition_implILS5_0ELb0ES3_jN6thrust23THRUST_200600_302600_NS6detail15normal_iteratorINSA_10device_ptrItEEEEPS6_SG_NS0_5tupleIJSF_NSA_16discard_iteratorINSA_11use_defaultEEEEEENSH_IJSG_SG_EEES6_PlJ7is_evenItEEEE10hipError_tPvRmT3_T4_T5_T6_T7_T9_mT8_P12ihipStream_tbDpT10_ENKUlT_T0_E_clISt17integral_constantIbLb0EES18_IbLb1EEEEDaS14_S15_EUlS14_E_NS1_11comp_targetILNS1_3genE8ELNS1_11target_archE1030ELNS1_3gpuE2ELNS1_3repE0EEENS1_30default_config_static_selectorELNS0_4arch9wavefront6targetE1EEEvT1_: ; @_ZN7rocprim17ROCPRIM_400000_NS6detail17trampoline_kernelINS0_14default_configENS1_25partition_config_selectorILNS1_17partition_subalgoE0EtNS0_10empty_typeEbEEZZNS1_14partition_implILS5_0ELb0ES3_jN6thrust23THRUST_200600_302600_NS6detail15normal_iteratorINSA_10device_ptrItEEEEPS6_SG_NS0_5tupleIJSF_NSA_16discard_iteratorINSA_11use_defaultEEEEEENSH_IJSG_SG_EEES6_PlJ7is_evenItEEEE10hipError_tPvRmT3_T4_T5_T6_T7_T9_mT8_P12ihipStream_tbDpT10_ENKUlT_T0_E_clISt17integral_constantIbLb0EES18_IbLb1EEEEDaS14_S15_EUlS14_E_NS1_11comp_targetILNS1_3genE8ELNS1_11target_archE1030ELNS1_3gpuE2ELNS1_3repE0EEENS1_30default_config_static_selectorELNS0_4arch9wavefront6targetE1EEEvT1_
; %bb.0:
	.section	.rodata,"a",@progbits
	.p2align	6, 0x0
	.amdhsa_kernel _ZN7rocprim17ROCPRIM_400000_NS6detail17trampoline_kernelINS0_14default_configENS1_25partition_config_selectorILNS1_17partition_subalgoE0EtNS0_10empty_typeEbEEZZNS1_14partition_implILS5_0ELb0ES3_jN6thrust23THRUST_200600_302600_NS6detail15normal_iteratorINSA_10device_ptrItEEEEPS6_SG_NS0_5tupleIJSF_NSA_16discard_iteratorINSA_11use_defaultEEEEEENSH_IJSG_SG_EEES6_PlJ7is_evenItEEEE10hipError_tPvRmT3_T4_T5_T6_T7_T9_mT8_P12ihipStream_tbDpT10_ENKUlT_T0_E_clISt17integral_constantIbLb0EES18_IbLb1EEEEDaS14_S15_EUlS14_E_NS1_11comp_targetILNS1_3genE8ELNS1_11target_archE1030ELNS1_3gpuE2ELNS1_3repE0EEENS1_30default_config_static_selectorELNS0_4arch9wavefront6targetE1EEEvT1_
		.amdhsa_group_segment_fixed_size 0
		.amdhsa_private_segment_fixed_size 0
		.amdhsa_kernarg_size 144
		.amdhsa_user_sgpr_count 2
		.amdhsa_user_sgpr_dispatch_ptr 0
		.amdhsa_user_sgpr_queue_ptr 0
		.amdhsa_user_sgpr_kernarg_segment_ptr 1
		.amdhsa_user_sgpr_dispatch_id 0
		.amdhsa_user_sgpr_kernarg_preload_length 0
		.amdhsa_user_sgpr_kernarg_preload_offset 0
		.amdhsa_user_sgpr_private_segment_size 0
		.amdhsa_uses_dynamic_stack 0
		.amdhsa_enable_private_segment 0
		.amdhsa_system_sgpr_workgroup_id_x 1
		.amdhsa_system_sgpr_workgroup_id_y 0
		.amdhsa_system_sgpr_workgroup_id_z 0
		.amdhsa_system_sgpr_workgroup_info 0
		.amdhsa_system_vgpr_workitem_id 0
		.amdhsa_next_free_vgpr 1
		.amdhsa_next_free_sgpr 0
		.amdhsa_accum_offset 4
		.amdhsa_reserve_vcc 0
		.amdhsa_float_round_mode_32 0
		.amdhsa_float_round_mode_16_64 0
		.amdhsa_float_denorm_mode_32 3
		.amdhsa_float_denorm_mode_16_64 3
		.amdhsa_dx10_clamp 1
		.amdhsa_ieee_mode 1
		.amdhsa_fp16_overflow 0
		.amdhsa_tg_split 0
		.amdhsa_exception_fp_ieee_invalid_op 0
		.amdhsa_exception_fp_denorm_src 0
		.amdhsa_exception_fp_ieee_div_zero 0
		.amdhsa_exception_fp_ieee_overflow 0
		.amdhsa_exception_fp_ieee_underflow 0
		.amdhsa_exception_fp_ieee_inexact 0
		.amdhsa_exception_int_div_zero 0
	.end_amdhsa_kernel
	.section	.text._ZN7rocprim17ROCPRIM_400000_NS6detail17trampoline_kernelINS0_14default_configENS1_25partition_config_selectorILNS1_17partition_subalgoE0EtNS0_10empty_typeEbEEZZNS1_14partition_implILS5_0ELb0ES3_jN6thrust23THRUST_200600_302600_NS6detail15normal_iteratorINSA_10device_ptrItEEEEPS6_SG_NS0_5tupleIJSF_NSA_16discard_iteratorINSA_11use_defaultEEEEEENSH_IJSG_SG_EEES6_PlJ7is_evenItEEEE10hipError_tPvRmT3_T4_T5_T6_T7_T9_mT8_P12ihipStream_tbDpT10_ENKUlT_T0_E_clISt17integral_constantIbLb0EES18_IbLb1EEEEDaS14_S15_EUlS14_E_NS1_11comp_targetILNS1_3genE8ELNS1_11target_archE1030ELNS1_3gpuE2ELNS1_3repE0EEENS1_30default_config_static_selectorELNS0_4arch9wavefront6targetE1EEEvT1_,"axG",@progbits,_ZN7rocprim17ROCPRIM_400000_NS6detail17trampoline_kernelINS0_14default_configENS1_25partition_config_selectorILNS1_17partition_subalgoE0EtNS0_10empty_typeEbEEZZNS1_14partition_implILS5_0ELb0ES3_jN6thrust23THRUST_200600_302600_NS6detail15normal_iteratorINSA_10device_ptrItEEEEPS6_SG_NS0_5tupleIJSF_NSA_16discard_iteratorINSA_11use_defaultEEEEEENSH_IJSG_SG_EEES6_PlJ7is_evenItEEEE10hipError_tPvRmT3_T4_T5_T6_T7_T9_mT8_P12ihipStream_tbDpT10_ENKUlT_T0_E_clISt17integral_constantIbLb0EES18_IbLb1EEEEDaS14_S15_EUlS14_E_NS1_11comp_targetILNS1_3genE8ELNS1_11target_archE1030ELNS1_3gpuE2ELNS1_3repE0EEENS1_30default_config_static_selectorELNS0_4arch9wavefront6targetE1EEEvT1_,comdat
.Lfunc_end2554:
	.size	_ZN7rocprim17ROCPRIM_400000_NS6detail17trampoline_kernelINS0_14default_configENS1_25partition_config_selectorILNS1_17partition_subalgoE0EtNS0_10empty_typeEbEEZZNS1_14partition_implILS5_0ELb0ES3_jN6thrust23THRUST_200600_302600_NS6detail15normal_iteratorINSA_10device_ptrItEEEEPS6_SG_NS0_5tupleIJSF_NSA_16discard_iteratorINSA_11use_defaultEEEEEENSH_IJSG_SG_EEES6_PlJ7is_evenItEEEE10hipError_tPvRmT3_T4_T5_T6_T7_T9_mT8_P12ihipStream_tbDpT10_ENKUlT_T0_E_clISt17integral_constantIbLb0EES18_IbLb1EEEEDaS14_S15_EUlS14_E_NS1_11comp_targetILNS1_3genE8ELNS1_11target_archE1030ELNS1_3gpuE2ELNS1_3repE0EEENS1_30default_config_static_selectorELNS0_4arch9wavefront6targetE1EEEvT1_, .Lfunc_end2554-_ZN7rocprim17ROCPRIM_400000_NS6detail17trampoline_kernelINS0_14default_configENS1_25partition_config_selectorILNS1_17partition_subalgoE0EtNS0_10empty_typeEbEEZZNS1_14partition_implILS5_0ELb0ES3_jN6thrust23THRUST_200600_302600_NS6detail15normal_iteratorINSA_10device_ptrItEEEEPS6_SG_NS0_5tupleIJSF_NSA_16discard_iteratorINSA_11use_defaultEEEEEENSH_IJSG_SG_EEES6_PlJ7is_evenItEEEE10hipError_tPvRmT3_T4_T5_T6_T7_T9_mT8_P12ihipStream_tbDpT10_ENKUlT_T0_E_clISt17integral_constantIbLb0EES18_IbLb1EEEEDaS14_S15_EUlS14_E_NS1_11comp_targetILNS1_3genE8ELNS1_11target_archE1030ELNS1_3gpuE2ELNS1_3repE0EEENS1_30default_config_static_selectorELNS0_4arch9wavefront6targetE1EEEvT1_
                                        ; -- End function
	.section	.AMDGPU.csdata,"",@progbits
; Kernel info:
; codeLenInByte = 0
; NumSgprs: 6
; NumVgprs: 0
; NumAgprs: 0
; TotalNumVgprs: 0
; ScratchSize: 0
; MemoryBound: 0
; FloatMode: 240
; IeeeMode: 1
; LDSByteSize: 0 bytes/workgroup (compile time only)
; SGPRBlocks: 0
; VGPRBlocks: 0
; NumSGPRsForWavesPerEU: 6
; NumVGPRsForWavesPerEU: 1
; AccumOffset: 4
; Occupancy: 8
; WaveLimiterHint : 0
; COMPUTE_PGM_RSRC2:SCRATCH_EN: 0
; COMPUTE_PGM_RSRC2:USER_SGPR: 2
; COMPUTE_PGM_RSRC2:TRAP_HANDLER: 0
; COMPUTE_PGM_RSRC2:TGID_X_EN: 1
; COMPUTE_PGM_RSRC2:TGID_Y_EN: 0
; COMPUTE_PGM_RSRC2:TGID_Z_EN: 0
; COMPUTE_PGM_RSRC2:TIDIG_COMP_CNT: 0
; COMPUTE_PGM_RSRC3_GFX90A:ACCUM_OFFSET: 0
; COMPUTE_PGM_RSRC3_GFX90A:TG_SPLIT: 0
	.section	.text._ZN7rocprim17ROCPRIM_400000_NS6detail17trampoline_kernelINS0_14default_configENS1_25partition_config_selectorILNS1_17partition_subalgoE0EtNS0_10empty_typeEbEEZZNS1_14partition_implILS5_0ELb0ES3_jN6thrust23THRUST_200600_302600_NS6detail15normal_iteratorINSA_10device_ptrItEEEEPS6_SG_NS0_5tupleIJNSA_16discard_iteratorINSA_11use_defaultEEESF_EEENSH_IJSG_SG_EEES6_PlJ7is_evenItEEEE10hipError_tPvRmT3_T4_T5_T6_T7_T9_mT8_P12ihipStream_tbDpT10_ENKUlT_T0_E_clISt17integral_constantIbLb0EES19_EEDaS14_S15_EUlS14_E_NS1_11comp_targetILNS1_3genE0ELNS1_11target_archE4294967295ELNS1_3gpuE0ELNS1_3repE0EEENS1_30default_config_static_selectorELNS0_4arch9wavefront6targetE1EEEvT1_,"axG",@progbits,_ZN7rocprim17ROCPRIM_400000_NS6detail17trampoline_kernelINS0_14default_configENS1_25partition_config_selectorILNS1_17partition_subalgoE0EtNS0_10empty_typeEbEEZZNS1_14partition_implILS5_0ELb0ES3_jN6thrust23THRUST_200600_302600_NS6detail15normal_iteratorINSA_10device_ptrItEEEEPS6_SG_NS0_5tupleIJNSA_16discard_iteratorINSA_11use_defaultEEESF_EEENSH_IJSG_SG_EEES6_PlJ7is_evenItEEEE10hipError_tPvRmT3_T4_T5_T6_T7_T9_mT8_P12ihipStream_tbDpT10_ENKUlT_T0_E_clISt17integral_constantIbLb0EES19_EEDaS14_S15_EUlS14_E_NS1_11comp_targetILNS1_3genE0ELNS1_11target_archE4294967295ELNS1_3gpuE0ELNS1_3repE0EEENS1_30default_config_static_selectorELNS0_4arch9wavefront6targetE1EEEvT1_,comdat
	.protected	_ZN7rocprim17ROCPRIM_400000_NS6detail17trampoline_kernelINS0_14default_configENS1_25partition_config_selectorILNS1_17partition_subalgoE0EtNS0_10empty_typeEbEEZZNS1_14partition_implILS5_0ELb0ES3_jN6thrust23THRUST_200600_302600_NS6detail15normal_iteratorINSA_10device_ptrItEEEEPS6_SG_NS0_5tupleIJNSA_16discard_iteratorINSA_11use_defaultEEESF_EEENSH_IJSG_SG_EEES6_PlJ7is_evenItEEEE10hipError_tPvRmT3_T4_T5_T6_T7_T9_mT8_P12ihipStream_tbDpT10_ENKUlT_T0_E_clISt17integral_constantIbLb0EES19_EEDaS14_S15_EUlS14_E_NS1_11comp_targetILNS1_3genE0ELNS1_11target_archE4294967295ELNS1_3gpuE0ELNS1_3repE0EEENS1_30default_config_static_selectorELNS0_4arch9wavefront6targetE1EEEvT1_ ; -- Begin function _ZN7rocprim17ROCPRIM_400000_NS6detail17trampoline_kernelINS0_14default_configENS1_25partition_config_selectorILNS1_17partition_subalgoE0EtNS0_10empty_typeEbEEZZNS1_14partition_implILS5_0ELb0ES3_jN6thrust23THRUST_200600_302600_NS6detail15normal_iteratorINSA_10device_ptrItEEEEPS6_SG_NS0_5tupleIJNSA_16discard_iteratorINSA_11use_defaultEEESF_EEENSH_IJSG_SG_EEES6_PlJ7is_evenItEEEE10hipError_tPvRmT3_T4_T5_T6_T7_T9_mT8_P12ihipStream_tbDpT10_ENKUlT_T0_E_clISt17integral_constantIbLb0EES19_EEDaS14_S15_EUlS14_E_NS1_11comp_targetILNS1_3genE0ELNS1_11target_archE4294967295ELNS1_3gpuE0ELNS1_3repE0EEENS1_30default_config_static_selectorELNS0_4arch9wavefront6targetE1EEEvT1_
	.globl	_ZN7rocprim17ROCPRIM_400000_NS6detail17trampoline_kernelINS0_14default_configENS1_25partition_config_selectorILNS1_17partition_subalgoE0EtNS0_10empty_typeEbEEZZNS1_14partition_implILS5_0ELb0ES3_jN6thrust23THRUST_200600_302600_NS6detail15normal_iteratorINSA_10device_ptrItEEEEPS6_SG_NS0_5tupleIJNSA_16discard_iteratorINSA_11use_defaultEEESF_EEENSH_IJSG_SG_EEES6_PlJ7is_evenItEEEE10hipError_tPvRmT3_T4_T5_T6_T7_T9_mT8_P12ihipStream_tbDpT10_ENKUlT_T0_E_clISt17integral_constantIbLb0EES19_EEDaS14_S15_EUlS14_E_NS1_11comp_targetILNS1_3genE0ELNS1_11target_archE4294967295ELNS1_3gpuE0ELNS1_3repE0EEENS1_30default_config_static_selectorELNS0_4arch9wavefront6targetE1EEEvT1_
	.p2align	8
	.type	_ZN7rocprim17ROCPRIM_400000_NS6detail17trampoline_kernelINS0_14default_configENS1_25partition_config_selectorILNS1_17partition_subalgoE0EtNS0_10empty_typeEbEEZZNS1_14partition_implILS5_0ELb0ES3_jN6thrust23THRUST_200600_302600_NS6detail15normal_iteratorINSA_10device_ptrItEEEEPS6_SG_NS0_5tupleIJNSA_16discard_iteratorINSA_11use_defaultEEESF_EEENSH_IJSG_SG_EEES6_PlJ7is_evenItEEEE10hipError_tPvRmT3_T4_T5_T6_T7_T9_mT8_P12ihipStream_tbDpT10_ENKUlT_T0_E_clISt17integral_constantIbLb0EES19_EEDaS14_S15_EUlS14_E_NS1_11comp_targetILNS1_3genE0ELNS1_11target_archE4294967295ELNS1_3gpuE0ELNS1_3repE0EEENS1_30default_config_static_selectorELNS0_4arch9wavefront6targetE1EEEvT1_,@function
_ZN7rocprim17ROCPRIM_400000_NS6detail17trampoline_kernelINS0_14default_configENS1_25partition_config_selectorILNS1_17partition_subalgoE0EtNS0_10empty_typeEbEEZZNS1_14partition_implILS5_0ELb0ES3_jN6thrust23THRUST_200600_302600_NS6detail15normal_iteratorINSA_10device_ptrItEEEEPS6_SG_NS0_5tupleIJNSA_16discard_iteratorINSA_11use_defaultEEESF_EEENSH_IJSG_SG_EEES6_PlJ7is_evenItEEEE10hipError_tPvRmT3_T4_T5_T6_T7_T9_mT8_P12ihipStream_tbDpT10_ENKUlT_T0_E_clISt17integral_constantIbLb0EES19_EEDaS14_S15_EUlS14_E_NS1_11comp_targetILNS1_3genE0ELNS1_11target_archE4294967295ELNS1_3gpuE0ELNS1_3repE0EEENS1_30default_config_static_selectorELNS0_4arch9wavefront6targetE1EEEvT1_: ; @_ZN7rocprim17ROCPRIM_400000_NS6detail17trampoline_kernelINS0_14default_configENS1_25partition_config_selectorILNS1_17partition_subalgoE0EtNS0_10empty_typeEbEEZZNS1_14partition_implILS5_0ELb0ES3_jN6thrust23THRUST_200600_302600_NS6detail15normal_iteratorINSA_10device_ptrItEEEEPS6_SG_NS0_5tupleIJNSA_16discard_iteratorINSA_11use_defaultEEESF_EEENSH_IJSG_SG_EEES6_PlJ7is_evenItEEEE10hipError_tPvRmT3_T4_T5_T6_T7_T9_mT8_P12ihipStream_tbDpT10_ENKUlT_T0_E_clISt17integral_constantIbLb0EES19_EEDaS14_S15_EUlS14_E_NS1_11comp_targetILNS1_3genE0ELNS1_11target_archE4294967295ELNS1_3gpuE0ELNS1_3repE0EEENS1_30default_config_static_selectorELNS0_4arch9wavefront6targetE1EEEvT1_
; %bb.0:
	.section	.rodata,"a",@progbits
	.p2align	6, 0x0
	.amdhsa_kernel _ZN7rocprim17ROCPRIM_400000_NS6detail17trampoline_kernelINS0_14default_configENS1_25partition_config_selectorILNS1_17partition_subalgoE0EtNS0_10empty_typeEbEEZZNS1_14partition_implILS5_0ELb0ES3_jN6thrust23THRUST_200600_302600_NS6detail15normal_iteratorINSA_10device_ptrItEEEEPS6_SG_NS0_5tupleIJNSA_16discard_iteratorINSA_11use_defaultEEESF_EEENSH_IJSG_SG_EEES6_PlJ7is_evenItEEEE10hipError_tPvRmT3_T4_T5_T6_T7_T9_mT8_P12ihipStream_tbDpT10_ENKUlT_T0_E_clISt17integral_constantIbLb0EES19_EEDaS14_S15_EUlS14_E_NS1_11comp_targetILNS1_3genE0ELNS1_11target_archE4294967295ELNS1_3gpuE0ELNS1_3repE0EEENS1_30default_config_static_selectorELNS0_4arch9wavefront6targetE1EEEvT1_
		.amdhsa_group_segment_fixed_size 0
		.amdhsa_private_segment_fixed_size 0
		.amdhsa_kernarg_size 128
		.amdhsa_user_sgpr_count 2
		.amdhsa_user_sgpr_dispatch_ptr 0
		.amdhsa_user_sgpr_queue_ptr 0
		.amdhsa_user_sgpr_kernarg_segment_ptr 1
		.amdhsa_user_sgpr_dispatch_id 0
		.amdhsa_user_sgpr_kernarg_preload_length 0
		.amdhsa_user_sgpr_kernarg_preload_offset 0
		.amdhsa_user_sgpr_private_segment_size 0
		.amdhsa_uses_dynamic_stack 0
		.amdhsa_enable_private_segment 0
		.amdhsa_system_sgpr_workgroup_id_x 1
		.amdhsa_system_sgpr_workgroup_id_y 0
		.amdhsa_system_sgpr_workgroup_id_z 0
		.amdhsa_system_sgpr_workgroup_info 0
		.amdhsa_system_vgpr_workitem_id 0
		.amdhsa_next_free_vgpr 1
		.amdhsa_next_free_sgpr 0
		.amdhsa_accum_offset 4
		.amdhsa_reserve_vcc 0
		.amdhsa_float_round_mode_32 0
		.amdhsa_float_round_mode_16_64 0
		.amdhsa_float_denorm_mode_32 3
		.amdhsa_float_denorm_mode_16_64 3
		.amdhsa_dx10_clamp 1
		.amdhsa_ieee_mode 1
		.amdhsa_fp16_overflow 0
		.amdhsa_tg_split 0
		.amdhsa_exception_fp_ieee_invalid_op 0
		.amdhsa_exception_fp_denorm_src 0
		.amdhsa_exception_fp_ieee_div_zero 0
		.amdhsa_exception_fp_ieee_overflow 0
		.amdhsa_exception_fp_ieee_underflow 0
		.amdhsa_exception_fp_ieee_inexact 0
		.amdhsa_exception_int_div_zero 0
	.end_amdhsa_kernel
	.section	.text._ZN7rocprim17ROCPRIM_400000_NS6detail17trampoline_kernelINS0_14default_configENS1_25partition_config_selectorILNS1_17partition_subalgoE0EtNS0_10empty_typeEbEEZZNS1_14partition_implILS5_0ELb0ES3_jN6thrust23THRUST_200600_302600_NS6detail15normal_iteratorINSA_10device_ptrItEEEEPS6_SG_NS0_5tupleIJNSA_16discard_iteratorINSA_11use_defaultEEESF_EEENSH_IJSG_SG_EEES6_PlJ7is_evenItEEEE10hipError_tPvRmT3_T4_T5_T6_T7_T9_mT8_P12ihipStream_tbDpT10_ENKUlT_T0_E_clISt17integral_constantIbLb0EES19_EEDaS14_S15_EUlS14_E_NS1_11comp_targetILNS1_3genE0ELNS1_11target_archE4294967295ELNS1_3gpuE0ELNS1_3repE0EEENS1_30default_config_static_selectorELNS0_4arch9wavefront6targetE1EEEvT1_,"axG",@progbits,_ZN7rocprim17ROCPRIM_400000_NS6detail17trampoline_kernelINS0_14default_configENS1_25partition_config_selectorILNS1_17partition_subalgoE0EtNS0_10empty_typeEbEEZZNS1_14partition_implILS5_0ELb0ES3_jN6thrust23THRUST_200600_302600_NS6detail15normal_iteratorINSA_10device_ptrItEEEEPS6_SG_NS0_5tupleIJNSA_16discard_iteratorINSA_11use_defaultEEESF_EEENSH_IJSG_SG_EEES6_PlJ7is_evenItEEEE10hipError_tPvRmT3_T4_T5_T6_T7_T9_mT8_P12ihipStream_tbDpT10_ENKUlT_T0_E_clISt17integral_constantIbLb0EES19_EEDaS14_S15_EUlS14_E_NS1_11comp_targetILNS1_3genE0ELNS1_11target_archE4294967295ELNS1_3gpuE0ELNS1_3repE0EEENS1_30default_config_static_selectorELNS0_4arch9wavefront6targetE1EEEvT1_,comdat
.Lfunc_end2555:
	.size	_ZN7rocprim17ROCPRIM_400000_NS6detail17trampoline_kernelINS0_14default_configENS1_25partition_config_selectorILNS1_17partition_subalgoE0EtNS0_10empty_typeEbEEZZNS1_14partition_implILS5_0ELb0ES3_jN6thrust23THRUST_200600_302600_NS6detail15normal_iteratorINSA_10device_ptrItEEEEPS6_SG_NS0_5tupleIJNSA_16discard_iteratorINSA_11use_defaultEEESF_EEENSH_IJSG_SG_EEES6_PlJ7is_evenItEEEE10hipError_tPvRmT3_T4_T5_T6_T7_T9_mT8_P12ihipStream_tbDpT10_ENKUlT_T0_E_clISt17integral_constantIbLb0EES19_EEDaS14_S15_EUlS14_E_NS1_11comp_targetILNS1_3genE0ELNS1_11target_archE4294967295ELNS1_3gpuE0ELNS1_3repE0EEENS1_30default_config_static_selectorELNS0_4arch9wavefront6targetE1EEEvT1_, .Lfunc_end2555-_ZN7rocprim17ROCPRIM_400000_NS6detail17trampoline_kernelINS0_14default_configENS1_25partition_config_selectorILNS1_17partition_subalgoE0EtNS0_10empty_typeEbEEZZNS1_14partition_implILS5_0ELb0ES3_jN6thrust23THRUST_200600_302600_NS6detail15normal_iteratorINSA_10device_ptrItEEEEPS6_SG_NS0_5tupleIJNSA_16discard_iteratorINSA_11use_defaultEEESF_EEENSH_IJSG_SG_EEES6_PlJ7is_evenItEEEE10hipError_tPvRmT3_T4_T5_T6_T7_T9_mT8_P12ihipStream_tbDpT10_ENKUlT_T0_E_clISt17integral_constantIbLb0EES19_EEDaS14_S15_EUlS14_E_NS1_11comp_targetILNS1_3genE0ELNS1_11target_archE4294967295ELNS1_3gpuE0ELNS1_3repE0EEENS1_30default_config_static_selectorELNS0_4arch9wavefront6targetE1EEEvT1_
                                        ; -- End function
	.section	.AMDGPU.csdata,"",@progbits
; Kernel info:
; codeLenInByte = 0
; NumSgprs: 6
; NumVgprs: 0
; NumAgprs: 0
; TotalNumVgprs: 0
; ScratchSize: 0
; MemoryBound: 0
; FloatMode: 240
; IeeeMode: 1
; LDSByteSize: 0 bytes/workgroup (compile time only)
; SGPRBlocks: 0
; VGPRBlocks: 0
; NumSGPRsForWavesPerEU: 6
; NumVGPRsForWavesPerEU: 1
; AccumOffset: 4
; Occupancy: 8
; WaveLimiterHint : 0
; COMPUTE_PGM_RSRC2:SCRATCH_EN: 0
; COMPUTE_PGM_RSRC2:USER_SGPR: 2
; COMPUTE_PGM_RSRC2:TRAP_HANDLER: 0
; COMPUTE_PGM_RSRC2:TGID_X_EN: 1
; COMPUTE_PGM_RSRC2:TGID_Y_EN: 0
; COMPUTE_PGM_RSRC2:TGID_Z_EN: 0
; COMPUTE_PGM_RSRC2:TIDIG_COMP_CNT: 0
; COMPUTE_PGM_RSRC3_GFX90A:ACCUM_OFFSET: 0
; COMPUTE_PGM_RSRC3_GFX90A:TG_SPLIT: 0
	.section	.text._ZN7rocprim17ROCPRIM_400000_NS6detail17trampoline_kernelINS0_14default_configENS1_25partition_config_selectorILNS1_17partition_subalgoE0EtNS0_10empty_typeEbEEZZNS1_14partition_implILS5_0ELb0ES3_jN6thrust23THRUST_200600_302600_NS6detail15normal_iteratorINSA_10device_ptrItEEEEPS6_SG_NS0_5tupleIJNSA_16discard_iteratorINSA_11use_defaultEEESF_EEENSH_IJSG_SG_EEES6_PlJ7is_evenItEEEE10hipError_tPvRmT3_T4_T5_T6_T7_T9_mT8_P12ihipStream_tbDpT10_ENKUlT_T0_E_clISt17integral_constantIbLb0EES19_EEDaS14_S15_EUlS14_E_NS1_11comp_targetILNS1_3genE5ELNS1_11target_archE942ELNS1_3gpuE9ELNS1_3repE0EEENS1_30default_config_static_selectorELNS0_4arch9wavefront6targetE1EEEvT1_,"axG",@progbits,_ZN7rocprim17ROCPRIM_400000_NS6detail17trampoline_kernelINS0_14default_configENS1_25partition_config_selectorILNS1_17partition_subalgoE0EtNS0_10empty_typeEbEEZZNS1_14partition_implILS5_0ELb0ES3_jN6thrust23THRUST_200600_302600_NS6detail15normal_iteratorINSA_10device_ptrItEEEEPS6_SG_NS0_5tupleIJNSA_16discard_iteratorINSA_11use_defaultEEESF_EEENSH_IJSG_SG_EEES6_PlJ7is_evenItEEEE10hipError_tPvRmT3_T4_T5_T6_T7_T9_mT8_P12ihipStream_tbDpT10_ENKUlT_T0_E_clISt17integral_constantIbLb0EES19_EEDaS14_S15_EUlS14_E_NS1_11comp_targetILNS1_3genE5ELNS1_11target_archE942ELNS1_3gpuE9ELNS1_3repE0EEENS1_30default_config_static_selectorELNS0_4arch9wavefront6targetE1EEEvT1_,comdat
	.protected	_ZN7rocprim17ROCPRIM_400000_NS6detail17trampoline_kernelINS0_14default_configENS1_25partition_config_selectorILNS1_17partition_subalgoE0EtNS0_10empty_typeEbEEZZNS1_14partition_implILS5_0ELb0ES3_jN6thrust23THRUST_200600_302600_NS6detail15normal_iteratorINSA_10device_ptrItEEEEPS6_SG_NS0_5tupleIJNSA_16discard_iteratorINSA_11use_defaultEEESF_EEENSH_IJSG_SG_EEES6_PlJ7is_evenItEEEE10hipError_tPvRmT3_T4_T5_T6_T7_T9_mT8_P12ihipStream_tbDpT10_ENKUlT_T0_E_clISt17integral_constantIbLb0EES19_EEDaS14_S15_EUlS14_E_NS1_11comp_targetILNS1_3genE5ELNS1_11target_archE942ELNS1_3gpuE9ELNS1_3repE0EEENS1_30default_config_static_selectorELNS0_4arch9wavefront6targetE1EEEvT1_ ; -- Begin function _ZN7rocprim17ROCPRIM_400000_NS6detail17trampoline_kernelINS0_14default_configENS1_25partition_config_selectorILNS1_17partition_subalgoE0EtNS0_10empty_typeEbEEZZNS1_14partition_implILS5_0ELb0ES3_jN6thrust23THRUST_200600_302600_NS6detail15normal_iteratorINSA_10device_ptrItEEEEPS6_SG_NS0_5tupleIJNSA_16discard_iteratorINSA_11use_defaultEEESF_EEENSH_IJSG_SG_EEES6_PlJ7is_evenItEEEE10hipError_tPvRmT3_T4_T5_T6_T7_T9_mT8_P12ihipStream_tbDpT10_ENKUlT_T0_E_clISt17integral_constantIbLb0EES19_EEDaS14_S15_EUlS14_E_NS1_11comp_targetILNS1_3genE5ELNS1_11target_archE942ELNS1_3gpuE9ELNS1_3repE0EEENS1_30default_config_static_selectorELNS0_4arch9wavefront6targetE1EEEvT1_
	.globl	_ZN7rocprim17ROCPRIM_400000_NS6detail17trampoline_kernelINS0_14default_configENS1_25partition_config_selectorILNS1_17partition_subalgoE0EtNS0_10empty_typeEbEEZZNS1_14partition_implILS5_0ELb0ES3_jN6thrust23THRUST_200600_302600_NS6detail15normal_iteratorINSA_10device_ptrItEEEEPS6_SG_NS0_5tupleIJNSA_16discard_iteratorINSA_11use_defaultEEESF_EEENSH_IJSG_SG_EEES6_PlJ7is_evenItEEEE10hipError_tPvRmT3_T4_T5_T6_T7_T9_mT8_P12ihipStream_tbDpT10_ENKUlT_T0_E_clISt17integral_constantIbLb0EES19_EEDaS14_S15_EUlS14_E_NS1_11comp_targetILNS1_3genE5ELNS1_11target_archE942ELNS1_3gpuE9ELNS1_3repE0EEENS1_30default_config_static_selectorELNS0_4arch9wavefront6targetE1EEEvT1_
	.p2align	8
	.type	_ZN7rocprim17ROCPRIM_400000_NS6detail17trampoline_kernelINS0_14default_configENS1_25partition_config_selectorILNS1_17partition_subalgoE0EtNS0_10empty_typeEbEEZZNS1_14partition_implILS5_0ELb0ES3_jN6thrust23THRUST_200600_302600_NS6detail15normal_iteratorINSA_10device_ptrItEEEEPS6_SG_NS0_5tupleIJNSA_16discard_iteratorINSA_11use_defaultEEESF_EEENSH_IJSG_SG_EEES6_PlJ7is_evenItEEEE10hipError_tPvRmT3_T4_T5_T6_T7_T9_mT8_P12ihipStream_tbDpT10_ENKUlT_T0_E_clISt17integral_constantIbLb0EES19_EEDaS14_S15_EUlS14_E_NS1_11comp_targetILNS1_3genE5ELNS1_11target_archE942ELNS1_3gpuE9ELNS1_3repE0EEENS1_30default_config_static_selectorELNS0_4arch9wavefront6targetE1EEEvT1_,@function
_ZN7rocprim17ROCPRIM_400000_NS6detail17trampoline_kernelINS0_14default_configENS1_25partition_config_selectorILNS1_17partition_subalgoE0EtNS0_10empty_typeEbEEZZNS1_14partition_implILS5_0ELb0ES3_jN6thrust23THRUST_200600_302600_NS6detail15normal_iteratorINSA_10device_ptrItEEEEPS6_SG_NS0_5tupleIJNSA_16discard_iteratorINSA_11use_defaultEEESF_EEENSH_IJSG_SG_EEES6_PlJ7is_evenItEEEE10hipError_tPvRmT3_T4_T5_T6_T7_T9_mT8_P12ihipStream_tbDpT10_ENKUlT_T0_E_clISt17integral_constantIbLb0EES19_EEDaS14_S15_EUlS14_E_NS1_11comp_targetILNS1_3genE5ELNS1_11target_archE942ELNS1_3gpuE9ELNS1_3repE0EEENS1_30default_config_static_selectorELNS0_4arch9wavefront6targetE1EEEvT1_: ; @_ZN7rocprim17ROCPRIM_400000_NS6detail17trampoline_kernelINS0_14default_configENS1_25partition_config_selectorILNS1_17partition_subalgoE0EtNS0_10empty_typeEbEEZZNS1_14partition_implILS5_0ELb0ES3_jN6thrust23THRUST_200600_302600_NS6detail15normal_iteratorINSA_10device_ptrItEEEEPS6_SG_NS0_5tupleIJNSA_16discard_iteratorINSA_11use_defaultEEESF_EEENSH_IJSG_SG_EEES6_PlJ7is_evenItEEEE10hipError_tPvRmT3_T4_T5_T6_T7_T9_mT8_P12ihipStream_tbDpT10_ENKUlT_T0_E_clISt17integral_constantIbLb0EES19_EEDaS14_S15_EUlS14_E_NS1_11comp_targetILNS1_3genE5ELNS1_11target_archE942ELNS1_3gpuE9ELNS1_3repE0EEENS1_30default_config_static_selectorELNS0_4arch9wavefront6targetE1EEEvT1_
; %bb.0:
	s_load_dwordx2 s[4:5], s[0:1], 0x60
	s_load_dwordx4 s[20:23], s[0:1], 0x8
	s_load_dwordx4 s[24:27], s[0:1], 0x50
	s_load_dword s3, s[0:1], 0x78
	s_mul_i32 s8, s2, 0x3c00
	s_waitcnt lgkmcnt(0)
	v_mov_b32_e32 v3, s5
	s_lshl_b64 s[6:7], s[22:23], 1
	s_add_u32 s10, s20, s6
	s_addc_u32 s11, s21, s7
	s_add_i32 s6, s3, -1
	s_mulk_i32 s3, 0x3c00
	s_add_i32 s5, s3, s22
	s_sub_i32 s33, s4, s5
	s_addk_i32 s33, 0x3c00
	v_mov_b32_e32 v2, s4
	s_add_u32 s4, s22, s3
	s_addc_u32 s5, s23, 0
	s_cmp_eq_u32 s2, s6
	s_load_dwordx2 s[28:29], s[26:27], 0x0
	s_cselect_b64 s[26:27], -1, 0
	s_cmp_lg_u32 s2, s6
	s_mov_b32 s9, 0
	v_cmp_lt_u64_e32 vcc, s[4:5], v[2:3]
	s_cselect_b64 s[4:5], -1, 0
	s_or_b64 s[6:7], s[4:5], vcc
	s_lshl_b64 s[30:31], s[8:9], 1
	s_add_u32 s8, s10, s30
	s_addc_u32 s9, s11, s31
	s_mov_b64 s[4:5], -1
	s_and_b64 vcc, exec, s[6:7]
	v_lshlrev_b32_e32 v2, 1, v0
	s_cbranch_vccz .LBB2556_2
; %bb.1:
	v_mov_b32_e32 v3, 0
	v_lshl_add_u64 v[4:5], s[8:9], 0, v[2:3]
	v_add_co_u32_e32 v6, vcc, 0x1000, v4
	s_mov_b64 s[4:5], 0
	s_nop 0
	v_addc_co_u32_e32 v7, vcc, 0, v5, vcc
	flat_load_ushort v1, v[4:5]
	flat_load_ushort v3, v[4:5] offset:1024
	flat_load_ushort v10, v[4:5] offset:2048
	flat_load_ushort v11, v[4:5] offset:3072
	flat_load_ushort v12, v[6:7]
	flat_load_ushort v13, v[6:7] offset:1024
	flat_load_ushort v14, v[6:7] offset:2048
	flat_load_ushort v15, v[6:7] offset:3072
	v_add_co_u32_e32 v6, vcc, 0x2000, v4
	s_nop 1
	v_addc_co_u32_e32 v7, vcc, 0, v5, vcc
	v_add_co_u32_e32 v8, vcc, 0x3000, v4
	s_nop 1
	v_addc_co_u32_e32 v9, vcc, 0, v5, vcc
	flat_load_ushort v16, v[6:7]
	flat_load_ushort v17, v[6:7] offset:1024
	flat_load_ushort v18, v[6:7] offset:2048
	flat_load_ushort v19, v[6:7] offset:3072
	flat_load_ushort v20, v[8:9]
	flat_load_ushort v21, v[8:9] offset:1024
	flat_load_ushort v22, v[8:9] offset:2048
	flat_load_ushort v23, v[8:9] offset:3072
	v_add_co_u32_e32 v6, vcc, 0x4000, v4
	s_nop 1
	v_addc_co_u32_e32 v7, vcc, 0, v5, vcc
	v_add_co_u32_e32 v8, vcc, 0x5000, v4
	;; [unrolled: 14-line block ×3, first 2 shown]
	s_nop 1
	v_addc_co_u32_e32 v5, vcc, 0, v5, vcc
	flat_load_ushort v8, v[6:7]
	flat_load_ushort v9, v[6:7] offset:1024
	flat_load_ushort v32, v[6:7] offset:2048
	;; [unrolled: 1-line block ×3, first 2 shown]
	flat_load_ushort v34, v[4:5]
	flat_load_ushort v35, v[4:5] offset:1024
	s_waitcnt vmcnt(0) lgkmcnt(0)
	ds_write_b16 v2, v1
	ds_write_b16 v2, v3 offset:1024
	ds_write_b16 v2, v10 offset:2048
	;; [unrolled: 1-line block ×29, first 2 shown]
	s_waitcnt lgkmcnt(0)
	s_barrier
.LBB2556_2:
	s_andn2_b64 vcc, exec, s[4:5]
	v_cmp_gt_u32_e64 s[4:5], s33, v0
	s_cbranch_vccnz .LBB2556_64
; %bb.3:
                                        ; implicit-def: $vgpr1
	s_and_saveexec_b64 s[10:11], s[4:5]
	s_cbranch_execz .LBB2556_5
; %bb.4:
	v_mov_b32_e32 v3, 0
	v_lshl_add_u64 v[4:5], s[8:9], 0, v[2:3]
	flat_load_ushort v1, v[4:5]
.LBB2556_5:
	s_or_b64 exec, exec, s[10:11]
	v_or_b32_e32 v3, 0x200, v0
	v_cmp_gt_u32_e32 vcc, s33, v3
                                        ; implicit-def: $vgpr4
	s_and_saveexec_b64 s[4:5], vcc
	s_cbranch_execz .LBB2556_7
; %bb.6:
	v_mov_b32_e32 v3, 0
	v_lshl_add_u64 v[4:5], s[8:9], 0, v[2:3]
	flat_load_ushort v4, v[4:5] offset:1024
.LBB2556_7:
	s_or_b64 exec, exec, s[4:5]
	v_or_b32_e32 v3, 0x400, v0
	v_cmp_gt_u32_e32 vcc, s33, v3
                                        ; implicit-def: $vgpr5
	s_and_saveexec_b64 s[4:5], vcc
	s_cbranch_execz .LBB2556_9
; %bb.8:
	v_mov_b32_e32 v3, 0
	v_lshl_add_u64 v[6:7], s[8:9], 0, v[2:3]
	flat_load_ushort v5, v[6:7] offset:2048
.LBB2556_9:
	s_or_b64 exec, exec, s[4:5]
	v_or_b32_e32 v3, 0x600, v0
	v_cmp_gt_u32_e32 vcc, s33, v3
                                        ; implicit-def: $vgpr3
	s_and_saveexec_b64 s[4:5], vcc
	s_cbranch_execz .LBB2556_11
; %bb.10:
	v_mov_b32_e32 v3, 0
	v_lshl_add_u64 v[6:7], s[8:9], 0, v[2:3]
	flat_load_ushort v3, v[6:7] offset:3072
.LBB2556_11:
	s_or_b64 exec, exec, s[4:5]
	v_or_b32_e32 v7, 0x800, v0
	v_cmp_gt_u32_e32 vcc, s33, v7
                                        ; implicit-def: $vgpr6
	s_and_saveexec_b64 s[4:5], vcc
	s_cbranch_execz .LBB2556_13
; %bb.12:
	v_lshlrev_b32_e32 v6, 1, v7
	v_mov_b32_e32 v7, 0
	v_lshl_add_u64 v[6:7], s[8:9], 0, v[6:7]
	flat_load_ushort v6, v[6:7]
.LBB2556_13:
	s_or_b64 exec, exec, s[4:5]
	v_or_b32_e32 v8, 0xa00, v0
	v_cmp_gt_u32_e32 vcc, s33, v8
                                        ; implicit-def: $vgpr7
	s_and_saveexec_b64 s[4:5], vcc
	s_cbranch_execz .LBB2556_15
; %bb.14:
	v_lshlrev_b32_e32 v8, 1, v8
	v_mov_b32_e32 v9, 0
	v_lshl_add_u64 v[8:9], s[8:9], 0, v[8:9]
	flat_load_ushort v7, v[8:9]
.LBB2556_15:
	s_or_b64 exec, exec, s[4:5]
	v_or_b32_e32 v9, 0xc00, v0
	v_cmp_gt_u32_e32 vcc, s33, v9
                                        ; implicit-def: $vgpr8
	s_and_saveexec_b64 s[4:5], vcc
	s_cbranch_execz .LBB2556_17
; %bb.16:
	v_lshlrev_b32_e32 v8, 1, v9
	v_mov_b32_e32 v9, 0
	v_lshl_add_u64 v[8:9], s[8:9], 0, v[8:9]
	flat_load_ushort v8, v[8:9]
.LBB2556_17:
	s_or_b64 exec, exec, s[4:5]
	v_or_b32_e32 v10, 0xe00, v0
	v_cmp_gt_u32_e32 vcc, s33, v10
                                        ; implicit-def: $vgpr9
	s_and_saveexec_b64 s[4:5], vcc
	s_cbranch_execz .LBB2556_19
; %bb.18:
	v_lshlrev_b32_e32 v10, 1, v10
	v_mov_b32_e32 v11, 0
	v_lshl_add_u64 v[10:11], s[8:9], 0, v[10:11]
	flat_load_ushort v9, v[10:11]
.LBB2556_19:
	s_or_b64 exec, exec, s[4:5]
	v_or_b32_e32 v11, 0x1000, v0
	v_cmp_gt_u32_e32 vcc, s33, v11
                                        ; implicit-def: $vgpr10
	s_and_saveexec_b64 s[4:5], vcc
	s_cbranch_execz .LBB2556_21
; %bb.20:
	v_lshlrev_b32_e32 v10, 1, v11
	v_mov_b32_e32 v11, 0
	v_lshl_add_u64 v[10:11], s[8:9], 0, v[10:11]
	flat_load_ushort v10, v[10:11]
.LBB2556_21:
	s_or_b64 exec, exec, s[4:5]
	v_or_b32_e32 v12, 0x1200, v0
	v_cmp_gt_u32_e32 vcc, s33, v12
                                        ; implicit-def: $vgpr11
	s_and_saveexec_b64 s[4:5], vcc
	s_cbranch_execz .LBB2556_23
; %bb.22:
	v_lshlrev_b32_e32 v12, 1, v12
	v_mov_b32_e32 v13, 0
	v_lshl_add_u64 v[12:13], s[8:9], 0, v[12:13]
	flat_load_ushort v11, v[12:13]
.LBB2556_23:
	s_or_b64 exec, exec, s[4:5]
	v_or_b32_e32 v13, 0x1400, v0
	v_cmp_gt_u32_e32 vcc, s33, v13
                                        ; implicit-def: $vgpr12
	s_and_saveexec_b64 s[4:5], vcc
	s_cbranch_execz .LBB2556_25
; %bb.24:
	v_lshlrev_b32_e32 v12, 1, v13
	v_mov_b32_e32 v13, 0
	v_lshl_add_u64 v[12:13], s[8:9], 0, v[12:13]
	flat_load_ushort v12, v[12:13]
.LBB2556_25:
	s_or_b64 exec, exec, s[4:5]
	v_or_b32_e32 v14, 0x1600, v0
	v_cmp_gt_u32_e32 vcc, s33, v14
                                        ; implicit-def: $vgpr13
	s_and_saveexec_b64 s[4:5], vcc
	s_cbranch_execz .LBB2556_27
; %bb.26:
	v_lshlrev_b32_e32 v14, 1, v14
	v_mov_b32_e32 v15, 0
	v_lshl_add_u64 v[14:15], s[8:9], 0, v[14:15]
	flat_load_ushort v13, v[14:15]
.LBB2556_27:
	s_or_b64 exec, exec, s[4:5]
	v_or_b32_e32 v15, 0x1800, v0
	v_cmp_gt_u32_e32 vcc, s33, v15
                                        ; implicit-def: $vgpr14
	s_and_saveexec_b64 s[4:5], vcc
	s_cbranch_execz .LBB2556_29
; %bb.28:
	v_lshlrev_b32_e32 v14, 1, v15
	v_mov_b32_e32 v15, 0
	v_lshl_add_u64 v[14:15], s[8:9], 0, v[14:15]
	flat_load_ushort v14, v[14:15]
.LBB2556_29:
	s_or_b64 exec, exec, s[4:5]
	v_or_b32_e32 v16, 0x1a00, v0
	v_cmp_gt_u32_e32 vcc, s33, v16
                                        ; implicit-def: $vgpr15
	s_and_saveexec_b64 s[4:5], vcc
	s_cbranch_execz .LBB2556_31
; %bb.30:
	v_lshlrev_b32_e32 v16, 1, v16
	v_mov_b32_e32 v17, 0
	v_lshl_add_u64 v[16:17], s[8:9], 0, v[16:17]
	flat_load_ushort v15, v[16:17]
.LBB2556_31:
	s_or_b64 exec, exec, s[4:5]
	v_or_b32_e32 v17, 0x1c00, v0
	v_cmp_gt_u32_e32 vcc, s33, v17
                                        ; implicit-def: $vgpr16
	s_and_saveexec_b64 s[4:5], vcc
	s_cbranch_execz .LBB2556_33
; %bb.32:
	v_lshlrev_b32_e32 v16, 1, v17
	v_mov_b32_e32 v17, 0
	v_lshl_add_u64 v[16:17], s[8:9], 0, v[16:17]
	flat_load_ushort v16, v[16:17]
.LBB2556_33:
	s_or_b64 exec, exec, s[4:5]
	v_or_b32_e32 v18, 0x1e00, v0
	v_cmp_gt_u32_e32 vcc, s33, v18
                                        ; implicit-def: $vgpr17
	s_and_saveexec_b64 s[4:5], vcc
	s_cbranch_execz .LBB2556_35
; %bb.34:
	v_lshlrev_b32_e32 v18, 1, v18
	v_mov_b32_e32 v19, 0
	v_lshl_add_u64 v[18:19], s[8:9], 0, v[18:19]
	flat_load_ushort v17, v[18:19]
.LBB2556_35:
	s_or_b64 exec, exec, s[4:5]
	v_or_b32_e32 v19, 0x2000, v0
	v_cmp_gt_u32_e32 vcc, s33, v19
                                        ; implicit-def: $vgpr18
	s_and_saveexec_b64 s[4:5], vcc
	s_cbranch_execz .LBB2556_37
; %bb.36:
	v_lshlrev_b32_e32 v18, 1, v19
	v_mov_b32_e32 v19, 0
	v_lshl_add_u64 v[18:19], s[8:9], 0, v[18:19]
	flat_load_ushort v18, v[18:19]
.LBB2556_37:
	s_or_b64 exec, exec, s[4:5]
	v_or_b32_e32 v20, 0x2200, v0
	v_cmp_gt_u32_e32 vcc, s33, v20
                                        ; implicit-def: $vgpr19
	s_and_saveexec_b64 s[4:5], vcc
	s_cbranch_execz .LBB2556_39
; %bb.38:
	v_lshlrev_b32_e32 v20, 1, v20
	v_mov_b32_e32 v21, 0
	v_lshl_add_u64 v[20:21], s[8:9], 0, v[20:21]
	flat_load_ushort v19, v[20:21]
.LBB2556_39:
	s_or_b64 exec, exec, s[4:5]
	v_or_b32_e32 v21, 0x2400, v0
	v_cmp_gt_u32_e32 vcc, s33, v21
                                        ; implicit-def: $vgpr20
	s_and_saveexec_b64 s[4:5], vcc
	s_cbranch_execz .LBB2556_41
; %bb.40:
	v_lshlrev_b32_e32 v20, 1, v21
	v_mov_b32_e32 v21, 0
	v_lshl_add_u64 v[20:21], s[8:9], 0, v[20:21]
	flat_load_ushort v20, v[20:21]
.LBB2556_41:
	s_or_b64 exec, exec, s[4:5]
	v_or_b32_e32 v22, 0x2600, v0
	v_cmp_gt_u32_e32 vcc, s33, v22
                                        ; implicit-def: $vgpr21
	s_and_saveexec_b64 s[4:5], vcc
	s_cbranch_execz .LBB2556_43
; %bb.42:
	v_lshlrev_b32_e32 v22, 1, v22
	v_mov_b32_e32 v23, 0
	v_lshl_add_u64 v[22:23], s[8:9], 0, v[22:23]
	flat_load_ushort v21, v[22:23]
.LBB2556_43:
	s_or_b64 exec, exec, s[4:5]
	v_or_b32_e32 v23, 0x2800, v0
	v_cmp_gt_u32_e32 vcc, s33, v23
                                        ; implicit-def: $vgpr22
	s_and_saveexec_b64 s[4:5], vcc
	s_cbranch_execz .LBB2556_45
; %bb.44:
	v_lshlrev_b32_e32 v22, 1, v23
	v_mov_b32_e32 v23, 0
	v_lshl_add_u64 v[22:23], s[8:9], 0, v[22:23]
	flat_load_ushort v22, v[22:23]
.LBB2556_45:
	s_or_b64 exec, exec, s[4:5]
	v_or_b32_e32 v24, 0x2a00, v0
	v_cmp_gt_u32_e32 vcc, s33, v24
                                        ; implicit-def: $vgpr23
	s_and_saveexec_b64 s[4:5], vcc
	s_cbranch_execz .LBB2556_47
; %bb.46:
	v_lshlrev_b32_e32 v24, 1, v24
	v_mov_b32_e32 v25, 0
	v_lshl_add_u64 v[24:25], s[8:9], 0, v[24:25]
	flat_load_ushort v23, v[24:25]
.LBB2556_47:
	s_or_b64 exec, exec, s[4:5]
	v_or_b32_e32 v25, 0x2c00, v0
	v_cmp_gt_u32_e32 vcc, s33, v25
                                        ; implicit-def: $vgpr24
	s_and_saveexec_b64 s[4:5], vcc
	s_cbranch_execz .LBB2556_49
; %bb.48:
	v_lshlrev_b32_e32 v24, 1, v25
	v_mov_b32_e32 v25, 0
	v_lshl_add_u64 v[24:25], s[8:9], 0, v[24:25]
	flat_load_ushort v24, v[24:25]
.LBB2556_49:
	s_or_b64 exec, exec, s[4:5]
	v_or_b32_e32 v26, 0x2e00, v0
	v_cmp_gt_u32_e32 vcc, s33, v26
                                        ; implicit-def: $vgpr25
	s_and_saveexec_b64 s[4:5], vcc
	s_cbranch_execz .LBB2556_51
; %bb.50:
	v_lshlrev_b32_e32 v26, 1, v26
	v_mov_b32_e32 v27, 0
	v_lshl_add_u64 v[26:27], s[8:9], 0, v[26:27]
	flat_load_ushort v25, v[26:27]
.LBB2556_51:
	s_or_b64 exec, exec, s[4:5]
	v_or_b32_e32 v27, 0x3000, v0
	v_cmp_gt_u32_e32 vcc, s33, v27
                                        ; implicit-def: $vgpr26
	s_and_saveexec_b64 s[4:5], vcc
	s_cbranch_execz .LBB2556_53
; %bb.52:
	v_lshlrev_b32_e32 v26, 1, v27
	v_mov_b32_e32 v27, 0
	v_lshl_add_u64 v[26:27], s[8:9], 0, v[26:27]
	flat_load_ushort v26, v[26:27]
.LBB2556_53:
	s_or_b64 exec, exec, s[4:5]
	v_or_b32_e32 v28, 0x3200, v0
	v_cmp_gt_u32_e32 vcc, s33, v28
                                        ; implicit-def: $vgpr27
	s_and_saveexec_b64 s[4:5], vcc
	s_cbranch_execz .LBB2556_55
; %bb.54:
	v_lshlrev_b32_e32 v28, 1, v28
	v_mov_b32_e32 v29, 0
	v_lshl_add_u64 v[28:29], s[8:9], 0, v[28:29]
	flat_load_ushort v27, v[28:29]
.LBB2556_55:
	s_or_b64 exec, exec, s[4:5]
	v_or_b32_e32 v29, 0x3400, v0
	v_cmp_gt_u32_e32 vcc, s33, v29
                                        ; implicit-def: $vgpr28
	s_and_saveexec_b64 s[4:5], vcc
	s_cbranch_execz .LBB2556_57
; %bb.56:
	v_lshlrev_b32_e32 v28, 1, v29
	v_mov_b32_e32 v29, 0
	v_lshl_add_u64 v[28:29], s[8:9], 0, v[28:29]
	flat_load_ushort v28, v[28:29]
.LBB2556_57:
	s_or_b64 exec, exec, s[4:5]
	v_or_b32_e32 v30, 0x3600, v0
	v_cmp_gt_u32_e32 vcc, s33, v30
                                        ; implicit-def: $vgpr29
	s_and_saveexec_b64 s[4:5], vcc
	s_cbranch_execz .LBB2556_59
; %bb.58:
	v_lshlrev_b32_e32 v30, 1, v30
	v_mov_b32_e32 v31, 0
	v_lshl_add_u64 v[30:31], s[8:9], 0, v[30:31]
	flat_load_ushort v29, v[30:31]
.LBB2556_59:
	s_or_b64 exec, exec, s[4:5]
	v_or_b32_e32 v31, 0x3800, v0
	v_cmp_gt_u32_e32 vcc, s33, v31
                                        ; implicit-def: $vgpr30
	s_and_saveexec_b64 s[4:5], vcc
	s_cbranch_execz .LBB2556_61
; %bb.60:
	v_lshlrev_b32_e32 v30, 1, v31
	v_mov_b32_e32 v31, 0
	v_lshl_add_u64 v[30:31], s[8:9], 0, v[30:31]
	flat_load_ushort v30, v[30:31]
.LBB2556_61:
	s_or_b64 exec, exec, s[4:5]
	v_or_b32_e32 v32, 0x3a00, v0
	v_cmp_gt_u32_e32 vcc, s33, v32
                                        ; implicit-def: $vgpr31
	s_and_saveexec_b64 s[4:5], vcc
	s_cbranch_execz .LBB2556_63
; %bb.62:
	v_lshlrev_b32_e32 v32, 1, v32
	v_mov_b32_e32 v33, 0
	v_lshl_add_u64 v[32:33], s[8:9], 0, v[32:33]
	flat_load_ushort v31, v[32:33]
.LBB2556_63:
	s_or_b64 exec, exec, s[4:5]
	s_waitcnt vmcnt(0) lgkmcnt(0)
	ds_write_b16 v2, v1
	ds_write_b16 v2, v4 offset:1024
	ds_write_b16 v2, v5 offset:2048
	;; [unrolled: 1-line block ×29, first 2 shown]
	s_waitcnt lgkmcnt(0)
	s_barrier
.LBB2556_64:
	v_mul_u32_u24_e32 v40, 30, v0
	v_lshlrev_b32_e32 v4, 1, v40
	s_waitcnt lgkmcnt(0)
	ds_read_b32 v3, v4 offset:56
	ds_read2_b32 v[6:7], v4 offset0:12 offset1:13
	ds_read2_b32 v[8:9], v4 offset0:10 offset1:11
	;; [unrolled: 1-line block ×3, first 2 shown]
	ds_read2_b32 v[18:19], v4 offset1:1
	ds_read2_b32 v[16:17], v4 offset0:2 offset1:3
	ds_read2_b32 v[14:15], v4 offset0:4 offset1:5
	;; [unrolled: 1-line block ×3, first 2 shown]
	s_waitcnt lgkmcnt(7)
	v_lshrrev_b32_e32 v1, 16, v3
	s_waitcnt lgkmcnt(6)
	v_lshrrev_b32_e32 v29, 16, v6
	v_lshrrev_b32_e32 v28, 16, v7
	s_waitcnt lgkmcnt(5)
	v_lshrrev_b32_e32 v31, 16, v8
	;; [unrolled: 3-line block ×6, first 2 shown]
	v_lshrrev_b32_e32 v34, 16, v13
	v_lshrrev_b32_e32 v33, 16, v10
	;; [unrolled: 1-line block ×3, first 2 shown]
	v_cndmask_b32_e64 v4, 0, 1, s[6:7]
	v_cmp_ne_u32_e64 s[20:21], 1, v4
	s_andn2_b64 vcc, exec, s[6:7]
	v_xor_b32_e32 v92, -1, v18
	v_xor_b32_e32 v91, -1, v42
	v_xor_b32_e32 v90, -1, v19
	v_xor_b32_e32 v89, -1, v41
	v_xor_b32_e32 v88, -1, v16
	v_xor_b32_e32 v87, -1, v39
	v_xor_b32_e32 v86, -1, v17
	v_xor_b32_e32 v85, -1, v38
	v_xor_b32_e32 v84, -1, v14
	v_xor_b32_e32 v83, -1, v37
	v_xor_b32_e32 v82, -1, v15
	v_xor_b32_e32 v81, -1, v36
	v_xor_b32_e32 v80, -1, v12
	v_xor_b32_e32 v79, -1, v35
	v_xor_b32_e32 v78, -1, v13
	v_xor_b32_e32 v77, -1, v34
	v_xor_b32_e32 v76, -1, v10
	v_xor_b32_e32 v75, -1, v33
	v_xor_b32_e32 v74, -1, v11
	v_xor_b32_e32 v73, -1, v32
	v_xor_b32_e32 v27, -1, v8
	v_xor_b32_e32 v26, -1, v31
	v_xor_b32_e32 v25, -1, v9
	v_xor_b32_e32 v24, -1, v30
	v_xor_b32_e32 v23, -1, v6
	v_xor_b32_e32 v22, -1, v29
	v_xor_b32_e32 v21, -1, v7
	v_xor_b32_e32 v20, -1, v28
	v_xor_b32_e32 v5, -1, v3
	v_xor_b32_e32 v4, -1, v1
	s_barrier
	s_cbranch_vccnz .LBB2556_66
; %bb.65:
	v_and_b32_e32 v72, 1, v92
	v_and_b32_e32 v71, 1, v91
	;; [unrolled: 1-line block ×30, first 2 shown]
	s_load_dwordx2 s[34:35], s[0:1], 0x70
	s_cbranch_execz .LBB2556_67
	s_branch .LBB2556_68
.LBB2556_66:
                                        ; implicit-def: $vgpr72
                                        ; implicit-def: $vgpr71
                                        ; implicit-def: $vgpr70
                                        ; implicit-def: $vgpr69
                                        ; implicit-def: $vgpr68
                                        ; implicit-def: $vgpr67
                                        ; implicit-def: $vgpr66
                                        ; implicit-def: $vgpr65
                                        ; implicit-def: $vgpr64
                                        ; implicit-def: $vgpr63
                                        ; implicit-def: $vgpr62
                                        ; implicit-def: $vgpr61
                                        ; implicit-def: $vgpr60
                                        ; implicit-def: $vgpr59
                                        ; implicit-def: $vgpr58
                                        ; implicit-def: $vgpr57
                                        ; implicit-def: $vgpr56
                                        ; implicit-def: $vgpr55
                                        ; implicit-def: $vgpr54
                                        ; implicit-def: $vgpr53
                                        ; implicit-def: $vgpr52
                                        ; implicit-def: $vgpr51
                                        ; implicit-def: $vgpr50
                                        ; implicit-def: $vgpr49
                                        ; implicit-def: $vgpr48
                                        ; implicit-def: $vgpr47
                                        ; implicit-def: $vgpr46
                                        ; implicit-def: $vgpr45
                                        ; implicit-def: $vgpr43
                                        ; implicit-def: $vgpr44
	s_load_dwordx2 s[34:35], s[0:1], 0x70
.LBB2556_67:
	v_or_b32_e32 v52, 1, v40
	v_cmp_gt_u32_e32 vcc, s33, v40
	v_add_u32_e32 v53, 2, v40
	v_add_u32_e32 v54, 3, v40
	v_cndmask_b32_e64 v62, 0, 1, vcc
	v_cmp_gt_u32_e32 vcc, s33, v52
	v_add_u32_e32 v55, 4, v40
	v_add_u32_e32 v56, 5, v40
	v_cndmask_b32_e64 v52, 0, 1, vcc
	v_cmp_gt_u32_e32 vcc, s33, v53
	v_and_b32_e32 v71, v52, v91
	v_add_u32_e32 v57, 6, v40
	v_cndmask_b32_e64 v52, 0, 1, vcc
	v_cmp_gt_u32_e32 vcc, s33, v54
	v_and_b32_e32 v70, v52, v90
	;; [unrolled: 4-line block ×9, first 2 shown]
	v_and_b32_e32 v72, v62, v92
	v_cndmask_b32_e64 v52, 0, 1, vcc
	v_cmp_gt_u32_e32 vcc, s33, v93
	v_and_b32_e32 v62, v52, v82
	v_add_u32_e32 v96, 14, v40
	v_cndmask_b32_e64 v52, 0, 1, vcc
	v_cmp_gt_u32_e32 vcc, s33, v94
	v_and_b32_e32 v61, v52, v81
	v_add_u32_e32 v97, 15, v40
	;; [unrolled: 4-line block ×16, first 2 shown]
	v_cndmask_b32_e64 v22, 0, 1, vcc
	v_cmp_gt_u32_e32 vcc, s33, v45
	v_and_b32_e32 v46, v22, v21
	s_nop 0
	v_cndmask_b32_e64 v21, 0, 1, vcc
	v_cmp_gt_u32_e32 vcc, s33, v43
	v_and_b32_e32 v45, v21, v20
	s_nop 0
	;; [unrolled: 4-line block ×3, first 2 shown]
	v_cndmask_b32_e64 v5, 0, 1, vcc
	v_and_b32_e32 v44, v5, v4
.LBB2556_68:
	v_and_b32_e32 v99, 0xff, v46
	v_and_b32_e32 v100, 0xff, v45
	v_add_u32_sdwa v4, v43, v44 dst_sel:DWORD dst_unused:UNUSED_PAD src0_sel:BYTE_0 src1_sel:BYTE_0
	v_and_b32_e32 v97, 0xff, v48
	v_and_b32_e32 v98, 0xff, v47
	v_add3_u32 v4, v4, v100, v99
	v_and_b32_e32 v95, 0xff, v50
	v_and_b32_e32 v96, 0xff, v49
	v_add3_u32 v4, v4, v98, v97
	;; [unrolled: 3-line block ×13, first 2 shown]
	v_add3_u32 v103, v4, v74, v73
	v_mbcnt_lo_u32_b32 v4, -1, 0
	v_mbcnt_hi_u32_b32 v101, -1, v4
	v_and_b32_e32 v4, 15, v101
	v_cmp_eq_u32_e64 s[16:17], 0, v4
	v_cmp_lt_u32_e64 s[14:15], 1, v4
	v_cmp_lt_u32_e64 s[12:13], 3, v4
	;; [unrolled: 1-line block ×3, first 2 shown]
	v_and_b32_e32 v4, 16, v101
	v_cmp_eq_u32_e64 s[8:9], 0, v4
	v_or_b32_e32 v4, 63, v0
	s_cmp_lg_u32 s2, 0
	v_cmp_lt_u32_e64 s[4:5], 31, v101
	v_lshrrev_b32_e32 v102, 6, v0
	v_cmp_eq_u32_e64 s[6:7], v4, v0
	s_cbranch_scc0 .LBB2556_95
; %bb.69:
	v_mov_b32_dpp v4, v103 row_shr:1 row_mask:0xf bank_mask:0xf
	v_cndmask_b32_e64 v4, v4, 0, s[16:17]
	v_add_u32_e32 v4, v4, v103
	s_nop 1
	v_mov_b32_dpp v5, v4 row_shr:2 row_mask:0xf bank_mask:0xf
	v_cndmask_b32_e64 v5, 0, v5, s[14:15]
	v_add_u32_e32 v4, v4, v5
	s_nop 1
	;; [unrolled: 4-line block ×4, first 2 shown]
	v_mov_b32_dpp v5, v4 row_bcast:15 row_mask:0xf bank_mask:0xf
	v_cndmask_b32_e64 v5, v5, 0, s[8:9]
	v_add_u32_e32 v4, v4, v5
	s_nop 1
	v_mov_b32_dpp v5, v4 row_bcast:31 row_mask:0xf bank_mask:0xf
	v_cndmask_b32_e64 v5, 0, v5, s[4:5]
	v_add_u32_e32 v4, v4, v5
	s_and_saveexec_b64 s[18:19], s[6:7]
	s_cbranch_execz .LBB2556_71
; %bb.70:
	v_lshlrev_b32_e32 v5, 2, v102
	ds_write_b32 v5, v4
.LBB2556_71:
	s_or_b64 exec, exec, s[18:19]
	v_cmp_gt_u32_e32 vcc, 8, v0
	s_waitcnt lgkmcnt(0)
	s_barrier
	s_and_saveexec_b64 s[18:19], vcc
	s_cbranch_execz .LBB2556_73
; %bb.72:
	v_lshlrev_b32_e32 v5, 2, v0
	ds_read_b32 v20, v5
	v_and_b32_e32 v21, 7, v101
	v_cmp_ne_u32_e32 vcc, 0, v21
	s_waitcnt lgkmcnt(0)
	v_mov_b32_dpp v22, v20 row_shr:1 row_mask:0xf bank_mask:0xf
	v_cndmask_b32_e32 v22, 0, v22, vcc
	v_add_u32_e32 v20, v22, v20
	v_cmp_lt_u32_e32 vcc, 1, v21
	s_nop 0
	v_mov_b32_dpp v22, v20 row_shr:2 row_mask:0xf bank_mask:0xf
	v_cndmask_b32_e32 v22, 0, v22, vcc
	v_add_u32_e32 v20, v20, v22
	v_cmp_lt_u32_e32 vcc, 3, v21
	s_nop 0
	v_mov_b32_dpp v22, v20 row_shr:4 row_mask:0xf bank_mask:0xf
	v_cndmask_b32_e32 v21, 0, v22, vcc
	v_add_u32_e32 v20, v20, v21
	ds_write_b32 v5, v20
.LBB2556_73:
	s_or_b64 exec, exec, s[18:19]
	v_cmp_gt_u32_e32 vcc, 64, v0
	v_cmp_lt_u32_e64 s[18:19], 63, v0
	s_waitcnt lgkmcnt(0)
	s_barrier
	s_waitcnt lgkmcnt(0)
                                        ; implicit-def: $vgpr104
	s_and_saveexec_b64 s[36:37], s[18:19]
	s_cbranch_execz .LBB2556_75
; %bb.74:
	v_lshl_add_u32 v5, v102, 2, -4
	ds_read_b32 v104, v5
	s_waitcnt lgkmcnt(0)
	v_add_u32_e32 v4, v104, v4
.LBB2556_75:
	s_or_b64 exec, exec, s[36:37]
	v_add_u32_e32 v5, -1, v101
	v_and_b32_e32 v20, 64, v101
	v_cmp_lt_i32_e64 s[18:19], v5, v20
	s_nop 1
	v_cndmask_b32_e64 v5, v5, v101, s[18:19]
	v_lshlrev_b32_e32 v5, 2, v5
	ds_bpermute_b32 v105, v5, v4
	v_cmp_eq_u32_e64 s[18:19], 0, v101
	s_and_saveexec_b64 s[36:37], vcc
	s_cbranch_execz .LBB2556_94
; %bb.76:
	v_mov_b32_e32 v25, 0
	ds_read_b32 v4, v25 offset:28
	s_and_saveexec_b64 s[38:39], s[18:19]
	s_cbranch_execz .LBB2556_78
; %bb.77:
	s_add_i32 s40, s2, 64
	s_mov_b32 s41, 0
	s_lshl_b64 s[40:41], s[40:41], 3
	s_add_u32 s40, s34, s40
	v_mov_b32_e32 v5, 1
	s_addc_u32 s41, s35, s41
	s_waitcnt lgkmcnt(0)
	global_store_dwordx2 v25, v[4:5], s[40:41] sc1
.LBB2556_78:
	s_or_b64 exec, exec, s[38:39]
	v_xad_u32 v20, v101, -1, s2
	v_add_u32_e32 v24, 64, v20
	v_lshl_add_u64 v[26:27], v[24:25], 3, s[34:35]
	global_load_dwordx2 v[22:23], v[26:27], off sc1
	s_waitcnt vmcnt(0)
	v_cmp_eq_u16_sdwa s[40:41], v23, v25 src0_sel:BYTE_0 src1_sel:DWORD
	s_and_saveexec_b64 s[38:39], s[40:41]
	s_cbranch_execz .LBB2556_82
; %bb.79:
	s_mov_b64 s[40:41], 0
	v_mov_b32_e32 v5, 0
.LBB2556_80:                            ; =>This Inner Loop Header: Depth=1
	global_load_dwordx2 v[22:23], v[26:27], off sc1
	s_waitcnt vmcnt(0)
	v_cmp_ne_u16_sdwa s[42:43], v23, v5 src0_sel:BYTE_0 src1_sel:DWORD
	s_or_b64 s[40:41], s[42:43], s[40:41]
	s_andn2_b64 exec, exec, s[40:41]
	s_cbranch_execnz .LBB2556_80
; %bb.81:
	s_or_b64 exec, exec, s[40:41]
.LBB2556_82:
	s_or_b64 exec, exec, s[38:39]
	v_and_b32_e32 v107, 63, v101
	v_mov_b32_e32 v106, 2
	v_cmp_ne_u32_e32 vcc, 63, v107
	v_cmp_eq_u16_sdwa s[38:39], v23, v106 src0_sel:BYTE_0 src1_sel:DWORD
	v_lshlrev_b64 v[24:25], v101, -1
	v_addc_co_u32_e32 v26, vcc, 0, v101, vcc
	v_and_b32_e32 v5, s39, v25
	v_lshlrev_b32_e32 v108, 2, v26
	v_or_b32_e32 v5, 0x80000000, v5
	ds_bpermute_b32 v26, v108, v22
	v_and_b32_e32 v21, s38, v24
	v_ffbl_b32_e32 v5, v5
	v_add_u32_e32 v5, 32, v5
	v_ffbl_b32_e32 v21, v21
	v_min_u32_e32 v5, v21, v5
	v_cmp_lt_u32_e32 vcc, v107, v5
	v_add_u32_e32 v110, 2, v107
	v_add_u32_e32 v112, 4, v107
	s_waitcnt lgkmcnt(0)
	v_cndmask_b32_e32 v21, 0, v26, vcc
	v_cmp_gt_u32_e32 vcc, 62, v107
	v_add_u32_e32 v21, v21, v22
	v_add_u32_e32 v114, 8, v107
	v_cndmask_b32_e64 v22, 0, 1, vcc
	v_lshlrev_b32_e32 v22, 1, v22
	v_add_lshl_u32 v109, v22, v101, 2
	ds_bpermute_b32 v22, v109, v21
	v_cmp_le_u32_e32 vcc, v110, v5
	v_add_u32_e32 v116, 16, v107
	v_add_u32_e32 v118, 32, v107
	s_waitcnt lgkmcnt(0)
	v_cndmask_b32_e32 v22, 0, v22, vcc
	v_cmp_gt_u32_e32 vcc, 60, v107
	v_add_u32_e32 v21, v21, v22
	s_nop 0
	v_cndmask_b32_e64 v22, 0, 1, vcc
	v_lshlrev_b32_e32 v22, 2, v22
	v_add_lshl_u32 v111, v22, v101, 2
	ds_bpermute_b32 v22, v111, v21
	v_cmp_le_u32_e32 vcc, v112, v5
	s_waitcnt lgkmcnt(0)
	s_nop 0
	v_cndmask_b32_e32 v22, 0, v22, vcc
	v_cmp_gt_u32_e32 vcc, 56, v107
	v_add_u32_e32 v21, v21, v22
	s_nop 0
	v_cndmask_b32_e64 v22, 0, 1, vcc
	v_lshlrev_b32_e32 v22, 3, v22
	v_add_lshl_u32 v113, v22, v101, 2
	ds_bpermute_b32 v22, v113, v21
	v_cmp_le_u32_e32 vcc, v114, v5
	s_waitcnt lgkmcnt(0)
	s_nop 0
	;; [unrolled: 11-line block ×4, first 2 shown]
	v_cndmask_b32_e32 v5, 0, v22, vcc
	v_add_u32_e32 v22, v21, v5
	v_mov_b32_e32 v21, 0
	s_branch .LBB2556_84
.LBB2556_83:                            ;   in Loop: Header=BB2556_84 Depth=1
	s_or_b64 exec, exec, s[38:39]
	v_cmp_eq_u16_sdwa s[38:39], v23, v106 src0_sel:BYTE_0 src1_sel:DWORD
	ds_bpermute_b32 v119, v108, v22
	v_subrev_u32_e32 v20, 64, v20
	v_and_b32_e32 v26, s39, v25
	v_or_b32_e32 v26, 0x80000000, v26
	v_and_b32_e32 v27, s38, v24
	v_ffbl_b32_e32 v26, v26
	v_add_u32_e32 v26, 32, v26
	v_ffbl_b32_e32 v27, v27
	v_min_u32_e32 v26, v27, v26
	v_cmp_lt_u32_e32 vcc, v107, v26
	s_waitcnt lgkmcnt(0)
	s_nop 0
	v_cndmask_b32_e32 v27, 0, v119, vcc
	v_add_u32_e32 v22, v27, v22
	ds_bpermute_b32 v27, v109, v22
	v_cmp_le_u32_e32 vcc, v110, v26
	s_waitcnt lgkmcnt(0)
	s_nop 0
	v_cndmask_b32_e32 v27, 0, v27, vcc
	v_add_u32_e32 v22, v22, v27
	ds_bpermute_b32 v27, v111, v22
	v_cmp_le_u32_e32 vcc, v112, v26
	;; [unrolled: 6-line block ×5, first 2 shown]
	s_waitcnt lgkmcnt(0)
	s_nop 0
	v_cndmask_b32_e32 v26, 0, v27, vcc
	v_add3_u32 v22, v26, v5, v22
.LBB2556_84:                            ; =>This Loop Header: Depth=1
                                        ;     Child Loop BB2556_87 Depth 2
	v_cmp_ne_u16_sdwa s[38:39], v23, v106 src0_sel:BYTE_0 src1_sel:DWORD
	s_nop 1
	v_cndmask_b32_e64 v5, 0, 1, s[38:39]
	;;#ASMSTART
	;;#ASMEND
	s_nop 0
	v_cmp_ne_u32_e32 vcc, 0, v5
	s_cmp_lg_u64 vcc, exec
	v_mov_b32_e32 v5, v22
	s_cbranch_scc1 .LBB2556_89
; %bb.85:                               ;   in Loop: Header=BB2556_84 Depth=1
	v_lshl_add_u64 v[26:27], v[20:21], 3, s[34:35]
	global_load_dwordx2 v[22:23], v[26:27], off sc1
	s_waitcnt vmcnt(0)
	v_cmp_eq_u16_sdwa s[40:41], v23, v21 src0_sel:BYTE_0 src1_sel:DWORD
	s_and_saveexec_b64 s[38:39], s[40:41]
	s_cbranch_execz .LBB2556_83
; %bb.86:                               ;   in Loop: Header=BB2556_84 Depth=1
	s_mov_b64 s[40:41], 0
.LBB2556_87:                            ;   Parent Loop BB2556_84 Depth=1
                                        ; =>  This Inner Loop Header: Depth=2
	global_load_dwordx2 v[22:23], v[26:27], off sc1
	s_waitcnt vmcnt(0)
	v_cmp_ne_u16_sdwa s[42:43], v23, v21 src0_sel:BYTE_0 src1_sel:DWORD
	s_or_b64 s[40:41], s[42:43], s[40:41]
	s_andn2_b64 exec, exec, s[40:41]
	s_cbranch_execnz .LBB2556_87
; %bb.88:                               ;   in Loop: Header=BB2556_84 Depth=1
	s_or_b64 exec, exec, s[40:41]
	s_branch .LBB2556_83
.LBB2556_89:                            ;   in Loop: Header=BB2556_84 Depth=1
                                        ; implicit-def: $vgpr22
                                        ; implicit-def: $vgpr23
	s_cbranch_execz .LBB2556_84
; %bb.90:
	s_and_saveexec_b64 s[38:39], s[18:19]
	s_cbranch_execz .LBB2556_92
; %bb.91:
	s_add_i32 s2, s2, 64
	s_mov_b32 s3, 0
	s_lshl_b64 s[2:3], s[2:3], 3
	s_add_u32 s2, s34, s2
	v_add_u32_e32 v20, v5, v4
	v_mov_b32_e32 v21, 2
	s_addc_u32 s3, s35, s3
	v_mov_b32_e32 v22, 0
	global_store_dwordx2 v22, v[20:21], s[2:3] sc1
	ds_write_b64 v22, v[4:5] offset:30720
.LBB2556_92:
	s_or_b64 exec, exec, s[38:39]
	v_cmp_eq_u32_e32 vcc, 0, v0
	s_and_b64 exec, exec, vcc
	s_cbranch_execz .LBB2556_94
; %bb.93:
	v_mov_b32_e32 v4, 0
	ds_write_b32 v4, v5 offset:28
.LBB2556_94:
	s_or_b64 exec, exec, s[36:37]
	v_mov_b32_e32 v4, 0
	s_waitcnt lgkmcnt(0)
	s_barrier
	ds_read_b32 v21, v4 offset:28
	s_waitcnt lgkmcnt(0)
	s_barrier
	ds_read_b64 v[4:5], v4 offset:30720
	v_cndmask_b32_e64 v20, v105, v104, s[18:19]
	v_cmp_ne_u32_e32 vcc, 0, v0
	s_nop 1
	v_cndmask_b32_e32 v20, 0, v20, vcc
	v_add_u32_e32 v21, v21, v20
	s_waitcnt lgkmcnt(0)
	v_mov_b32_e32 v20, v5
	s_branch .LBB2556_105
.LBB2556_95:
                                        ; implicit-def: $vgpr20
                                        ; implicit-def: $vgpr4
                                        ; implicit-def: $vgpr21
	s_cbranch_execz .LBB2556_105
; %bb.96:
	s_nop 0
	v_mov_b32_dpp v4, v103 row_shr:1 row_mask:0xf bank_mask:0xf
	v_cndmask_b32_e64 v4, v4, 0, s[16:17]
	v_add_u32_e32 v4, v4, v103
	s_nop 1
	v_mov_b32_dpp v5, v4 row_shr:2 row_mask:0xf bank_mask:0xf
	v_cndmask_b32_e64 v5, 0, v5, s[14:15]
	v_add_u32_e32 v4, v4, v5
	;; [unrolled: 4-line block ×4, first 2 shown]
	s_nop 1
	v_mov_b32_dpp v5, v4 row_bcast:15 row_mask:0xf bank_mask:0xf
	v_cndmask_b32_e64 v5, v5, 0, s[8:9]
	v_add_u32_e32 v4, v4, v5
	s_nop 1
	v_mov_b32_dpp v5, v4 row_bcast:31 row_mask:0xf bank_mask:0xf
	v_cndmask_b32_e64 v5, 0, v5, s[4:5]
	v_add_u32_e32 v4, v4, v5
	s_and_saveexec_b64 s[2:3], s[6:7]
	s_cbranch_execz .LBB2556_98
; %bb.97:
	v_lshlrev_b32_e32 v5, 2, v102
	ds_write_b32 v5, v4
.LBB2556_98:
	s_or_b64 exec, exec, s[2:3]
	v_cmp_gt_u32_e32 vcc, 8, v0
	s_waitcnt lgkmcnt(0)
	s_barrier
	s_and_saveexec_b64 s[2:3], vcc
	s_cbranch_execz .LBB2556_100
; %bb.99:
	v_lshlrev_b32_e32 v5, 2, v0
	ds_read_b32 v20, v5
	v_and_b32_e32 v21, 7, v101
	v_cmp_ne_u32_e32 vcc, 0, v21
	s_waitcnt lgkmcnt(0)
	v_mov_b32_dpp v22, v20 row_shr:1 row_mask:0xf bank_mask:0xf
	v_cndmask_b32_e32 v22, 0, v22, vcc
	v_add_u32_e32 v20, v22, v20
	v_cmp_lt_u32_e32 vcc, 1, v21
	s_nop 0
	v_mov_b32_dpp v22, v20 row_shr:2 row_mask:0xf bank_mask:0xf
	v_cndmask_b32_e32 v22, 0, v22, vcc
	v_add_u32_e32 v20, v20, v22
	v_cmp_lt_u32_e32 vcc, 3, v21
	s_nop 0
	v_mov_b32_dpp v22, v20 row_shr:4 row_mask:0xf bank_mask:0xf
	v_cndmask_b32_e32 v21, 0, v22, vcc
	v_add_u32_e32 v20, v20, v21
	ds_write_b32 v5, v20
.LBB2556_100:
	s_or_b64 exec, exec, s[2:3]
	v_cmp_lt_u32_e32 vcc, 63, v0
	v_mov_b32_e32 v5, 0
	v_mov_b32_e32 v20, 0
	s_waitcnt lgkmcnt(0)
	s_barrier
	s_and_saveexec_b64 s[2:3], vcc
	s_cbranch_execz .LBB2556_102
; %bb.101:
	v_lshl_add_u32 v20, v102, 2, -4
	ds_read_b32 v20, v20
.LBB2556_102:
	s_or_b64 exec, exec, s[2:3]
	v_add_u32_e32 v21, -1, v101
	v_and_b32_e32 v22, 64, v101
	v_cmp_lt_i32_e32 vcc, v21, v22
	s_waitcnt lgkmcnt(0)
	v_add_u32_e32 v4, v20, v4
	v_cndmask_b32_e32 v21, v21, v101, vcc
	v_lshlrev_b32_e32 v21, 2, v21
	ds_bpermute_b32 v21, v21, v4
	ds_read_b32 v4, v5 offset:28
	v_cmp_eq_u32_e32 vcc, 0, v0
	s_and_saveexec_b64 s[2:3], vcc
	s_cbranch_execz .LBB2556_104
; %bb.103:
	v_mov_b32_e32 v22, 0
	v_mov_b32_e32 v5, 2
	s_waitcnt lgkmcnt(0)
	global_store_dwordx2 v22, v[4:5], s[34:35] offset:512 sc1
.LBB2556_104:
	s_or_b64 exec, exec, s[2:3]
	v_cmp_eq_u32_e64 s[2:3], 0, v101
	s_waitcnt lgkmcnt(0)
	s_barrier
	v_cndmask_b32_e64 v5, v21, v20, s[2:3]
	v_mov_b32_e32 v20, 0
	v_cndmask_b32_e64 v21, v5, 0, vcc
.LBB2556_105:
	v_add_u32_e32 v5, v21, v73
	v_add_u32_e32 v22, v5, v74
	;; [unrolled: 1-line block ×22, first 2 shown]
	v_sub_u32_e32 v21, v21, v20
	v_and_b32_e32 v72, 1, v72
	v_add_u32_e32 v87, v86, v94
	v_sub_u32_e32 v94, v40, v21
	v_cmp_eq_u32_e32 vcc, 1, v72
	v_sub_u32_e32 v5, v5, v20
	v_add_u32_e32 v88, v87, v95
	v_cndmask_b32_e32 v21, v94, v21, vcc
	v_lshlrev_b32_e32 v21, 1, v21
	ds_write_b16 v21, v18
	v_sub_u32_e32 v18, v40, v5
	v_and_b32_e32 v21, 1, v71
	v_add_u32_e32 v18, 1, v18
	v_cmp_eq_u32_e32 vcc, 1, v21
	v_and_b32_e32 v21, 1, v70
	v_add_u32_e32 v89, v88, v96
	v_cndmask_b32_e32 v5, v18, v5, vcc
	v_lshlrev_b32_e32 v5, 1, v5
	ds_write_b16 v5, v42
	v_sub_u32_e32 v5, v22, v20
	v_sub_u32_e32 v18, v40, v5
	v_add_u32_e32 v18, 2, v18
	v_cmp_eq_u32_e32 vcc, 1, v21
	v_add_u32_e32 v90, v89, v97
	v_add_u32_e32 v91, v90, v98
	v_cndmask_b32_e32 v5, v18, v5, vcc
	v_lshlrev_b32_e32 v5, 1, v5
	ds_write_b16 v5, v19
	v_sub_u32_e32 v5, v23, v20
	v_sub_u32_e32 v18, v40, v5
	v_and_b32_e32 v19, 1, v69
	v_add_u32_e32 v18, 3, v18
	v_cmp_eq_u32_e32 vcc, 1, v19
	v_and_b32_e32 v19, 1, v68
	v_add_u32_e32 v92, v91, v99
	v_cndmask_b32_e32 v5, v18, v5, vcc
	v_lshlrev_b32_e32 v5, 1, v5
	ds_write_b16 v5, v41
	v_sub_u32_e32 v5, v24, v20
	v_sub_u32_e32 v18, v40, v5
	v_add_u32_e32 v18, 4, v18
	v_cmp_eq_u32_e32 vcc, 1, v19
	v_add_u32_e32 v93, v92, v100
	v_mov_b32_e32 v21, 0
	v_cndmask_b32_e32 v5, v18, v5, vcc
	v_lshlrev_b32_e32 v5, 1, v5
	ds_write_b16 v5, v16
	v_sub_u32_e32 v5, v25, v20
	v_sub_u32_e32 v16, v40, v5
	v_and_b32_e32 v18, 1, v67
	v_add_u32_e32 v16, 5, v16
	v_cmp_eq_u32_e32 vcc, 1, v18
	v_and_b32_e32 v18, 1, v66
	s_load_dwordx2 s[0:1], s[0:1], 0x38
	v_cndmask_b32_e32 v5, v16, v5, vcc
	v_lshlrev_b32_e32 v5, 1, v5
	ds_write_b16 v5, v39
	v_sub_u32_e32 v5, v26, v20
	v_sub_u32_e32 v16, v40, v5
	v_add_u32_e32 v16, 6, v16
	v_cmp_eq_u32_e32 vcc, 1, v18
	v_or_b32_e32 v66, 0x200, v0
	v_or_b32_e32 v42, 0x1a00, v0
	v_cndmask_b32_e32 v5, v16, v5, vcc
	v_lshlrev_b32_e32 v5, 1, v5
	ds_write_b16 v5, v17
	v_sub_u32_e32 v5, v27, v20
	v_sub_u32_e32 v16, v40, v5
	v_and_b32_e32 v17, 1, v65
	v_add_u32_e32 v16, 7, v16
	v_cmp_eq_u32_e32 vcc, 1, v17
	v_and_b32_e32 v17, 1, v64
	v_or_b32_e32 v64, 0x400, v0
	v_cndmask_b32_e32 v5, v16, v5, vcc
	v_lshlrev_b32_e32 v5, 1, v5
	ds_write_b16 v5, v38
	v_sub_u32_e32 v5, v73, v20
	v_sub_u32_e32 v16, v40, v5
	v_add_u32_e32 v16, 8, v16
	v_cmp_eq_u32_e32 vcc, 1, v17
	v_or_b32_e32 v26, 0x2a00, v0
	v_or_b32_e32 v24, 0x2c00, v0
	v_cndmask_b32_e32 v5, v16, v5, vcc
	v_lshlrev_b32_e32 v5, 1, v5
	ds_write_b16 v5, v14
	v_sub_u32_e32 v5, v74, v20
	v_sub_u32_e32 v14, v40, v5
	v_and_b32_e32 v16, 1, v63
	v_add_u32_e32 v14, 9, v14
	v_cmp_eq_u32_e32 vcc, 1, v16
	v_and_b32_e32 v16, 1, v62
	v_or_b32_e32 v62, 0x600, v0
	;; [unrolled: 19-line block ×5, first 2 shown]
	v_cndmask_b32_e32 v5, v12, v5, vcc
	v_lshlrev_b32_e32 v5, 1, v5
	ds_write_b16 v5, v34
	v_sub_u32_e32 v5, v81, v20
	v_sub_u32_e32 v12, v40, v5
	v_add_u32_e32 v12, 16, v12
	v_cmp_eq_u32_e32 vcc, 1, v13
	v_or_b32_e32 v34, 0x2200, v0
	s_nop 0
	v_cndmask_b32_e32 v5, v12, v5, vcc
	v_lshlrev_b32_e32 v5, 1, v5
	ds_write_b16 v5, v10
	v_sub_u32_e32 v5, v82, v20
	v_sub_u32_e32 v10, v40, v5
	v_and_b32_e32 v12, 1, v55
	v_add_u32_e32 v10, 17, v10
	v_cmp_eq_u32_e32 vcc, 1, v12
	v_and_b32_e32 v12, 1, v54
	s_nop 0
	v_cndmask_b32_e32 v5, v10, v5, vcc
	v_lshlrev_b32_e32 v5, 1, v5
	ds_write_b16 v5, v33
	v_sub_u32_e32 v5, v83, v20
	v_sub_u32_e32 v10, v40, v5
	v_add_u32_e32 v10, 18, v10
	v_cmp_eq_u32_e32 vcc, 1, v12
	v_or_b32_e32 v12, 0x3600, v0
	s_nop 0
	v_cndmask_b32_e32 v5, v10, v5, vcc
	v_lshlrev_b32_e32 v5, 1, v5
	ds_write_b16 v5, v11
	v_sub_u32_e32 v5, v84, v20
	v_sub_u32_e32 v10, v40, v5
	v_and_b32_e32 v11, 1, v53
	v_add_u32_e32 v10, 19, v10
	v_cmp_eq_u32_e32 vcc, 1, v11
	v_and_b32_e32 v11, 1, v52
	v_or_b32_e32 v53, 0xe00, v0
	v_cndmask_b32_e32 v5, v10, v5, vcc
	v_lshlrev_b32_e32 v5, 1, v5
	ds_write_b16 v5, v32
	v_sub_u32_e32 v5, v85, v20
	v_sub_u32_e32 v10, v40, v5
	v_add_u32_e32 v10, 20, v10
	v_cmp_eq_u32_e32 vcc, 1, v11
	v_or_b32_e32 v52, 0x1000, v0
	v_or_b32_e32 v32, 0x2400, v0
	v_cndmask_b32_e32 v5, v10, v5, vcc
	v_lshlrev_b32_e32 v5, 1, v5
	ds_write_b16 v5, v8
	v_sub_u32_e32 v5, v86, v20
	v_sub_u32_e32 v8, v40, v5
	v_and_b32_e32 v10, 1, v51
	v_add_u32_e32 v8, 21, v8
	v_cmp_eq_u32_e32 vcc, 1, v10
	v_and_b32_e32 v10, 1, v50
	v_or_b32_e32 v50, 0x1200, v0
	v_cndmask_b32_e32 v5, v8, v5, vcc
	v_lshlrev_b32_e32 v5, 1, v5
	ds_write_b16 v5, v31
	v_sub_u32_e32 v5, v87, v20
	v_sub_u32_e32 v8, v40, v5
	v_add_u32_e32 v8, 22, v8
	v_cmp_eq_u32_e32 vcc, 1, v10
	v_or_b32_e32 v10, 0x3800, v0
	s_nop 0
	v_cndmask_b32_e32 v5, v8, v5, vcc
	v_lshlrev_b32_e32 v5, 1, v5
	ds_write_b16 v5, v9
	v_sub_u32_e32 v5, v88, v20
	v_sub_u32_e32 v8, v40, v5
	v_and_b32_e32 v9, 1, v49
	v_add_u32_e32 v8, 23, v8
	v_cmp_eq_u32_e32 vcc, 1, v9
	v_and_b32_e32 v9, 1, v48
	v_or_b32_e32 v48, 0x1400, v0
	v_cndmask_b32_e32 v5, v8, v5, vcc
	v_lshlrev_b32_e32 v5, 1, v5
	ds_write_b16 v5, v30
	v_sub_u32_e32 v5, v89, v20
	v_sub_u32_e32 v8, v40, v5
	v_add_u32_e32 v8, 24, v8
	v_cmp_eq_u32_e32 vcc, 1, v9
	v_or_b32_e32 v30, 0x2600, v0
	s_nop 0
	v_cndmask_b32_e32 v5, v8, v5, vcc
	v_lshlrev_b32_e32 v5, 1, v5
	ds_write_b16 v5, v6
	v_sub_u32_e32 v5, v90, v20
	v_sub_u32_e32 v6, v40, v5
	v_and_b32_e32 v8, 1, v47
	v_add_u32_e32 v6, 25, v6
	v_cmp_eq_u32_e32 vcc, 1, v8
	v_and_b32_e32 v8, 1, v46
	v_or_b32_e32 v46, 0x1600, v0
	v_cndmask_b32_e32 v5, v6, v5, vcc
	v_lshlrev_b32_e32 v5, 1, v5
	ds_write_b16 v5, v29
	v_sub_u32_e32 v5, v91, v20
	v_sub_u32_e32 v6, v40, v5
	v_add_u32_e32 v6, 26, v6
	v_cmp_eq_u32_e32 vcc, 1, v8
	s_nop 1
	v_cndmask_b32_e32 v5, v6, v5, vcc
	v_lshlrev_b32_e32 v5, 1, v5
	ds_write_b16 v5, v7
	v_sub_u32_e32 v5, v92, v20
	v_sub_u32_e32 v6, v40, v5
	v_and_b32_e32 v7, 1, v45
	v_add_u32_e32 v6, 27, v6
	v_cmp_eq_u32_e32 vcc, 1, v7
	v_and_b32_e32 v7, 1, v43
	s_nop 0
	v_cndmask_b32_e32 v5, v6, v5, vcc
	v_lshlrev_b32_e32 v5, 1, v5
	ds_write_b16 v5, v28
	v_sub_u32_e32 v5, v93, v20
	v_sub_u32_e32 v6, v40, v5
	v_add_u32_e32 v6, 28, v6
	v_cmp_eq_u32_e32 vcc, 1, v7
	v_or_b32_e32 v28, 0x2800, v0
	s_nop 0
	v_cndmask_b32_e32 v5, v6, v5, vcc
	v_lshlrev_b32_e32 v5, 1, v5
	ds_write_b16 v5, v3
	v_sub_u32_sdwa v3, v43, v20 dst_sel:DWORD dst_unused:UNUSED_PAD src0_sel:BYTE_0 src1_sel:DWORD
	v_add_u32_e32 v3, v93, v3
	v_sub_u32_e32 v5, v40, v3
	v_and_b32_e32 v6, 1, v44
	v_add_u32_e32 v5, 29, v5
	v_cmp_eq_u32_e32 vcc, 1, v6
	v_or_b32_e32 v44, 0x1800, v0
	v_or_b32_e32 v40, 0x1c00, v0
	v_cndmask_b32_e32 v3, v5, v3, vcc
	v_lshlrev_b32_e32 v3, 1, v3
	ds_write_b16 v3, v1
	s_waitcnt lgkmcnt(0)
	s_barrier
	ds_read_u16 v68, v2
	ds_read_u16 v67, v2 offset:1024
	ds_read_u16 v65, v2 offset:2048
	;; [unrolled: 1-line block ×29, first 2 shown]
	v_mov_b32_e32 v5, v21
	v_lshl_add_u64 v[6:7], s[28:29], 0, v[4:5]
	v_lshl_add_u64 v[6:7], v[6:7], 0, v[20:21]
	v_mov_b32_e32 v5, s23
	v_sub_co_u32_e32 v8, vcc, s22, v6
	v_or_b32_e32 v1, 0x3a00, v0
	s_nop 0
	v_subb_co_u32_e32 v9, vcc, v5, v7, vcc
	v_lshlrev_b64 v[8:9], 1, v[8:9]
	v_lshl_add_u64 v[8:9], s[0:1], 0, v[8:9]
	v_lshl_add_u64 v[8:9], v[8:9], 0, s[30:31]
	s_and_b64 vcc, exec, s[20:21]
	v_cmp_ge_u32_e64 s[0:1], v0, v4
	s_cbranch_vccnz .LBB2556_137
; %bb.106:
	s_and_saveexec_b64 s[2:3], s[0:1]
	s_cbranch_execnz .LBB2556_202
; %bb.107:
	s_or_b64 exec, exec, s[2:3]
	v_cmp_ge_u32_e32 vcc, v66, v4
	s_and_saveexec_b64 s[0:1], vcc
	s_cbranch_execnz .LBB2556_203
.LBB2556_108:
	s_or_b64 exec, exec, s[0:1]
	v_cmp_ge_u32_e32 vcc, v64, v4
	s_and_saveexec_b64 s[0:1], vcc
	s_cbranch_execnz .LBB2556_204
.LBB2556_109:
	s_or_b64 exec, exec, s[0:1]
	v_cmp_ge_u32_e32 vcc, v62, v4
	s_and_saveexec_b64 s[0:1], vcc
	s_cbranch_execnz .LBB2556_205
.LBB2556_110:
	s_or_b64 exec, exec, s[0:1]
	v_cmp_ge_u32_e32 vcc, v60, v4
	s_and_saveexec_b64 s[0:1], vcc
	s_cbranch_execnz .LBB2556_206
.LBB2556_111:
	s_or_b64 exec, exec, s[0:1]
	v_cmp_ge_u32_e32 vcc, v58, v4
	s_and_saveexec_b64 s[0:1], vcc
	s_cbranch_execnz .LBB2556_207
.LBB2556_112:
	s_or_b64 exec, exec, s[0:1]
	v_cmp_ge_u32_e32 vcc, v56, v4
	s_and_saveexec_b64 s[0:1], vcc
	s_cbranch_execnz .LBB2556_208
.LBB2556_113:
	s_or_b64 exec, exec, s[0:1]
	v_cmp_ge_u32_e32 vcc, v53, v4
	s_and_saveexec_b64 s[0:1], vcc
	s_cbranch_execnz .LBB2556_209
.LBB2556_114:
	s_or_b64 exec, exec, s[0:1]
	v_cmp_ge_u32_e32 vcc, v52, v4
	s_and_saveexec_b64 s[0:1], vcc
	s_cbranch_execnz .LBB2556_210
.LBB2556_115:
	s_or_b64 exec, exec, s[0:1]
	v_cmp_ge_u32_e32 vcc, v50, v4
	s_and_saveexec_b64 s[0:1], vcc
	s_cbranch_execnz .LBB2556_211
.LBB2556_116:
	s_or_b64 exec, exec, s[0:1]
	v_cmp_ge_u32_e32 vcc, v48, v4
	s_and_saveexec_b64 s[0:1], vcc
	s_cbranch_execnz .LBB2556_212
.LBB2556_117:
	s_or_b64 exec, exec, s[0:1]
	v_cmp_ge_u32_e32 vcc, v46, v4
	s_and_saveexec_b64 s[0:1], vcc
	s_cbranch_execnz .LBB2556_213
.LBB2556_118:
	s_or_b64 exec, exec, s[0:1]
	v_cmp_ge_u32_e32 vcc, v44, v4
	s_and_saveexec_b64 s[0:1], vcc
	s_cbranch_execnz .LBB2556_214
.LBB2556_119:
	s_or_b64 exec, exec, s[0:1]
	v_cmp_ge_u32_e32 vcc, v42, v4
	s_and_saveexec_b64 s[0:1], vcc
	s_cbranch_execnz .LBB2556_215
.LBB2556_120:
	s_or_b64 exec, exec, s[0:1]
	v_cmp_ge_u32_e32 vcc, v40, v4
	s_and_saveexec_b64 s[0:1], vcc
	s_cbranch_execnz .LBB2556_216
.LBB2556_121:
	s_or_b64 exec, exec, s[0:1]
	v_cmp_ge_u32_e32 vcc, v37, v4
	s_and_saveexec_b64 s[0:1], vcc
	s_cbranch_execnz .LBB2556_217
.LBB2556_122:
	s_or_b64 exec, exec, s[0:1]
	v_cmp_ge_u32_e32 vcc, v36, v4
	s_and_saveexec_b64 s[0:1], vcc
	s_cbranch_execnz .LBB2556_218
.LBB2556_123:
	s_or_b64 exec, exec, s[0:1]
	v_cmp_ge_u32_e32 vcc, v34, v4
	s_and_saveexec_b64 s[0:1], vcc
	s_cbranch_execnz .LBB2556_219
.LBB2556_124:
	s_or_b64 exec, exec, s[0:1]
	v_cmp_ge_u32_e32 vcc, v32, v4
	s_and_saveexec_b64 s[0:1], vcc
	s_cbranch_execnz .LBB2556_220
.LBB2556_125:
	s_or_b64 exec, exec, s[0:1]
	v_cmp_ge_u32_e32 vcc, v30, v4
	s_and_saveexec_b64 s[0:1], vcc
	s_cbranch_execnz .LBB2556_221
.LBB2556_126:
	s_or_b64 exec, exec, s[0:1]
	v_cmp_ge_u32_e32 vcc, v28, v4
	s_and_saveexec_b64 s[0:1], vcc
	s_cbranch_execnz .LBB2556_222
.LBB2556_127:
	s_or_b64 exec, exec, s[0:1]
	v_cmp_ge_u32_e32 vcc, v26, v4
	s_and_saveexec_b64 s[0:1], vcc
	s_cbranch_execnz .LBB2556_223
.LBB2556_128:
	s_or_b64 exec, exec, s[0:1]
	v_cmp_ge_u32_e32 vcc, v24, v4
	s_and_saveexec_b64 s[0:1], vcc
	s_cbranch_execnz .LBB2556_224
.LBB2556_129:
	s_or_b64 exec, exec, s[0:1]
	v_cmp_ge_u32_e32 vcc, v22, v4
	s_and_saveexec_b64 s[0:1], vcc
	s_cbranch_execnz .LBB2556_225
.LBB2556_130:
	s_or_b64 exec, exec, s[0:1]
	v_cmp_ge_u32_e32 vcc, v18, v4
	s_and_saveexec_b64 s[0:1], vcc
	s_cbranch_execnz .LBB2556_226
.LBB2556_131:
	s_or_b64 exec, exec, s[0:1]
	v_cmp_ge_u32_e32 vcc, v16, v4
	s_and_saveexec_b64 s[0:1], vcc
	s_cbranch_execnz .LBB2556_227
.LBB2556_132:
	s_or_b64 exec, exec, s[0:1]
	v_cmp_ge_u32_e32 vcc, v14, v4
	s_and_saveexec_b64 s[0:1], vcc
	s_cbranch_execnz .LBB2556_228
.LBB2556_133:
	s_or_b64 exec, exec, s[0:1]
	v_cmp_ge_u32_e32 vcc, v12, v4
	s_and_saveexec_b64 s[0:1], vcc
	s_cbranch_execnz .LBB2556_229
.LBB2556_134:
	s_or_b64 exec, exec, s[0:1]
	v_cmp_ge_u32_e32 vcc, v10, v4
	s_and_saveexec_b64 s[0:1], vcc
	s_cbranch_execz .LBB2556_136
.LBB2556_135:
	v_lshlrev_b32_e32 v5, 1, v10
	v_readfirstlane_b32 s2, v8
	v_readfirstlane_b32 s3, v9
	s_waitcnt lgkmcnt(1)
	s_nop 3
	global_store_short v5, v11, s[2:3]
.LBB2556_136:
	s_or_b64 exec, exec, s[0:1]
	v_cmp_ge_u32_e64 s[0:1], v1, v4
	s_branch .LBB2556_197
.LBB2556_137:
	s_mov_b64 s[0:1], 0
	s_cbranch_execz .LBB2556_197
; %bb.138:
	v_cmp_gt_u32_e32 vcc, s33, v0
	v_cmp_ge_u32_e64 s[0:1], v0, v4
	s_and_b64 s[2:3], vcc, s[0:1]
	s_and_saveexec_b64 s[0:1], s[2:3]
	s_cbranch_execz .LBB2556_140
; %bb.139:
	v_readfirstlane_b32 s2, v8
	v_readfirstlane_b32 s3, v9
	s_waitcnt lgkmcnt(14)
	s_nop 3
	global_store_short v2, v68, s[2:3]
.LBB2556_140:
	s_or_b64 exec, exec, s[0:1]
	v_cmp_gt_u32_e32 vcc, s33, v66
	v_cmp_ge_u32_e64 s[0:1], v66, v4
	s_and_b64 s[2:3], vcc, s[0:1]
	s_and_saveexec_b64 s[0:1], s[2:3]
	s_cbranch_execz .LBB2556_142
; %bb.141:
	v_readfirstlane_b32 s2, v8
	v_readfirstlane_b32 s3, v9
	s_waitcnt lgkmcnt(14)
	s_nop 3
	global_store_short v2, v67, s[2:3] offset:1024
.LBB2556_142:
	s_or_b64 exec, exec, s[0:1]
	v_cmp_gt_u32_e32 vcc, s33, v64
	v_cmp_ge_u32_e64 s[0:1], v64, v4
	s_and_b64 s[2:3], vcc, s[0:1]
	s_and_saveexec_b64 s[0:1], s[2:3]
	s_cbranch_execz .LBB2556_144
; %bb.143:
	v_readfirstlane_b32 s2, v8
	v_readfirstlane_b32 s3, v9
	s_waitcnt lgkmcnt(14)
	s_nop 3
	global_store_short v2, v65, s[2:3] offset:2048
.LBB2556_144:
	;; [unrolled: 13-line block ×3, first 2 shown]
	s_or_b64 exec, exec, s[0:1]
	v_cmp_gt_u32_e32 vcc, s33, v60
	v_cmp_ge_u32_e64 s[0:1], v60, v4
	s_and_b64 s[2:3], vcc, s[0:1]
	s_and_saveexec_b64 s[0:1], s[2:3]
	s_cbranch_execz .LBB2556_148
; %bb.147:
	v_lshlrev_b32_e32 v2, 1, v60
	v_readfirstlane_b32 s2, v8
	v_readfirstlane_b32 s3, v9
	s_waitcnt lgkmcnt(14)
	s_nop 3
	global_store_short v2, v61, s[2:3]
.LBB2556_148:
	s_or_b64 exec, exec, s[0:1]
	v_cmp_gt_u32_e32 vcc, s33, v58
	v_cmp_ge_u32_e64 s[0:1], v58, v4
	s_and_b64 s[2:3], vcc, s[0:1]
	s_and_saveexec_b64 s[0:1], s[2:3]
	s_cbranch_execz .LBB2556_150
; %bb.149:
	v_lshlrev_b32_e32 v2, 1, v58
	v_readfirstlane_b32 s2, v8
	v_readfirstlane_b32 s3, v9
	s_waitcnt lgkmcnt(14)
	s_nop 3
	global_store_short v2, v59, s[2:3]
.LBB2556_150:
	s_or_b64 exec, exec, s[0:1]
	v_cmp_gt_u32_e32 vcc, s33, v56
	v_cmp_ge_u32_e64 s[0:1], v56, v4
	s_and_b64 s[2:3], vcc, s[0:1]
	s_and_saveexec_b64 s[0:1], s[2:3]
	s_cbranch_execz .LBB2556_152
; %bb.151:
	v_lshlrev_b32_e32 v2, 1, v56
	v_readfirstlane_b32 s2, v8
	v_readfirstlane_b32 s3, v9
	s_waitcnt lgkmcnt(14)
	s_nop 3
	global_store_short v2, v57, s[2:3]
.LBB2556_152:
	s_or_b64 exec, exec, s[0:1]
	v_cmp_gt_u32_e32 vcc, s33, v53
	v_cmp_ge_u32_e64 s[0:1], v53, v4
	s_and_b64 s[2:3], vcc, s[0:1]
	s_and_saveexec_b64 s[0:1], s[2:3]
	s_cbranch_execz .LBB2556_154
; %bb.153:
	v_lshlrev_b32_e32 v2, 1, v53
	v_readfirstlane_b32 s2, v8
	v_readfirstlane_b32 s3, v9
	s_waitcnt lgkmcnt(14)
	s_nop 3
	global_store_short v2, v55, s[2:3]
.LBB2556_154:
	s_or_b64 exec, exec, s[0:1]
	v_cmp_gt_u32_e32 vcc, s33, v52
	v_cmp_ge_u32_e64 s[0:1], v52, v4
	s_and_b64 s[2:3], vcc, s[0:1]
	s_and_saveexec_b64 s[0:1], s[2:3]
	s_cbranch_execz .LBB2556_156
; %bb.155:
	v_lshlrev_b32_e32 v2, 1, v52
	v_readfirstlane_b32 s2, v8
	v_readfirstlane_b32 s3, v9
	s_waitcnt lgkmcnt(14)
	s_nop 3
	global_store_short v2, v54, s[2:3]
.LBB2556_156:
	s_or_b64 exec, exec, s[0:1]
	v_cmp_gt_u32_e32 vcc, s33, v50
	v_cmp_ge_u32_e64 s[0:1], v50, v4
	s_and_b64 s[2:3], vcc, s[0:1]
	s_and_saveexec_b64 s[0:1], s[2:3]
	s_cbranch_execz .LBB2556_158
; %bb.157:
	v_lshlrev_b32_e32 v2, 1, v50
	v_readfirstlane_b32 s2, v8
	v_readfirstlane_b32 s3, v9
	s_waitcnt lgkmcnt(14)
	s_nop 3
	global_store_short v2, v51, s[2:3]
.LBB2556_158:
	s_or_b64 exec, exec, s[0:1]
	v_cmp_gt_u32_e32 vcc, s33, v48
	v_cmp_ge_u32_e64 s[0:1], v48, v4
	s_and_b64 s[2:3], vcc, s[0:1]
	s_and_saveexec_b64 s[0:1], s[2:3]
	s_cbranch_execz .LBB2556_160
; %bb.159:
	v_lshlrev_b32_e32 v2, 1, v48
	v_readfirstlane_b32 s2, v8
	v_readfirstlane_b32 s3, v9
	s_waitcnt lgkmcnt(14)
	s_nop 3
	global_store_short v2, v49, s[2:3]
.LBB2556_160:
	s_or_b64 exec, exec, s[0:1]
	v_cmp_gt_u32_e32 vcc, s33, v46
	v_cmp_ge_u32_e64 s[0:1], v46, v4
	s_and_b64 s[2:3], vcc, s[0:1]
	s_and_saveexec_b64 s[0:1], s[2:3]
	s_cbranch_execz .LBB2556_162
; %bb.161:
	v_lshlrev_b32_e32 v2, 1, v46
	v_readfirstlane_b32 s2, v8
	v_readfirstlane_b32 s3, v9
	s_waitcnt lgkmcnt(14)
	s_nop 3
	global_store_short v2, v47, s[2:3]
.LBB2556_162:
	s_or_b64 exec, exec, s[0:1]
	v_cmp_gt_u32_e32 vcc, s33, v44
	v_cmp_ge_u32_e64 s[0:1], v44, v4
	s_and_b64 s[2:3], vcc, s[0:1]
	s_and_saveexec_b64 s[0:1], s[2:3]
	s_cbranch_execz .LBB2556_164
; %bb.163:
	v_lshlrev_b32_e32 v2, 1, v44
	v_readfirstlane_b32 s2, v8
	v_readfirstlane_b32 s3, v9
	s_waitcnt lgkmcnt(14)
	s_nop 3
	global_store_short v2, v45, s[2:3]
.LBB2556_164:
	s_or_b64 exec, exec, s[0:1]
	v_cmp_gt_u32_e32 vcc, s33, v42
	v_cmp_ge_u32_e64 s[0:1], v42, v4
	s_and_b64 s[2:3], vcc, s[0:1]
	s_and_saveexec_b64 s[0:1], s[2:3]
	s_cbranch_execz .LBB2556_166
; %bb.165:
	v_lshlrev_b32_e32 v2, 1, v42
	v_readfirstlane_b32 s2, v8
	v_readfirstlane_b32 s3, v9
	s_waitcnt lgkmcnt(14)
	s_nop 3
	global_store_short v2, v43, s[2:3]
.LBB2556_166:
	s_or_b64 exec, exec, s[0:1]
	v_cmp_gt_u32_e32 vcc, s33, v40
	v_cmp_ge_u32_e64 s[0:1], v40, v4
	s_and_b64 s[2:3], vcc, s[0:1]
	s_and_saveexec_b64 s[0:1], s[2:3]
	s_cbranch_execz .LBB2556_168
; %bb.167:
	v_lshlrev_b32_e32 v2, 1, v40
	v_readfirstlane_b32 s2, v8
	v_readfirstlane_b32 s3, v9
	s_waitcnt lgkmcnt(14)
	s_nop 3
	global_store_short v2, v41, s[2:3]
.LBB2556_168:
	s_or_b64 exec, exec, s[0:1]
	v_cmp_gt_u32_e32 vcc, s33, v37
	v_cmp_ge_u32_e64 s[0:1], v37, v4
	s_and_b64 s[2:3], vcc, s[0:1]
	s_and_saveexec_b64 s[0:1], s[2:3]
	s_cbranch_execz .LBB2556_170
; %bb.169:
	v_lshlrev_b32_e32 v2, 1, v37
	v_readfirstlane_b32 s2, v8
	v_readfirstlane_b32 s3, v9
	s_waitcnt lgkmcnt(14)
	s_nop 3
	global_store_short v2, v39, s[2:3]
.LBB2556_170:
	s_or_b64 exec, exec, s[0:1]
	v_cmp_gt_u32_e32 vcc, s33, v36
	v_cmp_ge_u32_e64 s[0:1], v36, v4
	s_and_b64 s[2:3], vcc, s[0:1]
	s_and_saveexec_b64 s[0:1], s[2:3]
	s_cbranch_execz .LBB2556_172
; %bb.171:
	v_lshlrev_b32_e32 v2, 1, v36
	v_readfirstlane_b32 s2, v8
	v_readfirstlane_b32 s3, v9
	s_waitcnt lgkmcnt(13)
	s_nop 3
	global_store_short v2, v38, s[2:3]
.LBB2556_172:
	s_or_b64 exec, exec, s[0:1]
	v_cmp_gt_u32_e32 vcc, s33, v34
	v_cmp_ge_u32_e64 s[0:1], v34, v4
	s_and_b64 s[2:3], vcc, s[0:1]
	s_and_saveexec_b64 s[0:1], s[2:3]
	s_cbranch_execz .LBB2556_174
; %bb.173:
	v_lshlrev_b32_e32 v2, 1, v34
	v_readfirstlane_b32 s2, v8
	v_readfirstlane_b32 s3, v9
	s_waitcnt lgkmcnt(12)
	s_nop 3
	global_store_short v2, v35, s[2:3]
.LBB2556_174:
	s_or_b64 exec, exec, s[0:1]
	v_cmp_gt_u32_e32 vcc, s33, v32
	v_cmp_ge_u32_e64 s[0:1], v32, v4
	s_and_b64 s[2:3], vcc, s[0:1]
	s_and_saveexec_b64 s[0:1], s[2:3]
	s_cbranch_execz .LBB2556_176
; %bb.175:
	v_lshlrev_b32_e32 v2, 1, v32
	v_readfirstlane_b32 s2, v8
	v_readfirstlane_b32 s3, v9
	s_waitcnt lgkmcnt(11)
	s_nop 3
	global_store_short v2, v33, s[2:3]
.LBB2556_176:
	s_or_b64 exec, exec, s[0:1]
	v_cmp_gt_u32_e32 vcc, s33, v30
	v_cmp_ge_u32_e64 s[0:1], v30, v4
	s_and_b64 s[2:3], vcc, s[0:1]
	s_and_saveexec_b64 s[0:1], s[2:3]
	s_cbranch_execz .LBB2556_178
; %bb.177:
	v_lshlrev_b32_e32 v2, 1, v30
	v_readfirstlane_b32 s2, v8
	v_readfirstlane_b32 s3, v9
	s_waitcnt lgkmcnt(10)
	s_nop 3
	global_store_short v2, v31, s[2:3]
.LBB2556_178:
	s_or_b64 exec, exec, s[0:1]
	v_cmp_gt_u32_e32 vcc, s33, v28
	v_cmp_ge_u32_e64 s[0:1], v28, v4
	s_and_b64 s[2:3], vcc, s[0:1]
	s_and_saveexec_b64 s[0:1], s[2:3]
	s_cbranch_execz .LBB2556_180
; %bb.179:
	v_lshlrev_b32_e32 v2, 1, v28
	v_readfirstlane_b32 s2, v8
	v_readfirstlane_b32 s3, v9
	s_waitcnt lgkmcnt(9)
	s_nop 3
	global_store_short v2, v29, s[2:3]
.LBB2556_180:
	s_or_b64 exec, exec, s[0:1]
	v_cmp_gt_u32_e32 vcc, s33, v26
	v_cmp_ge_u32_e64 s[0:1], v26, v4
	s_and_b64 s[2:3], vcc, s[0:1]
	s_and_saveexec_b64 s[0:1], s[2:3]
	s_cbranch_execz .LBB2556_182
; %bb.181:
	v_lshlrev_b32_e32 v2, 1, v26
	v_readfirstlane_b32 s2, v8
	v_readfirstlane_b32 s3, v9
	s_waitcnt lgkmcnt(8)
	s_nop 3
	global_store_short v2, v27, s[2:3]
.LBB2556_182:
	s_or_b64 exec, exec, s[0:1]
	v_cmp_gt_u32_e32 vcc, s33, v24
	v_cmp_ge_u32_e64 s[0:1], v24, v4
	s_and_b64 s[2:3], vcc, s[0:1]
	s_and_saveexec_b64 s[0:1], s[2:3]
	s_cbranch_execz .LBB2556_184
; %bb.183:
	v_lshlrev_b32_e32 v2, 1, v24
	v_readfirstlane_b32 s2, v8
	v_readfirstlane_b32 s3, v9
	s_waitcnt lgkmcnt(7)
	s_nop 3
	global_store_short v2, v25, s[2:3]
.LBB2556_184:
	s_or_b64 exec, exec, s[0:1]
	v_cmp_gt_u32_e32 vcc, s33, v22
	v_cmp_ge_u32_e64 s[0:1], v22, v4
	s_and_b64 s[2:3], vcc, s[0:1]
	s_and_saveexec_b64 s[0:1], s[2:3]
	s_cbranch_execz .LBB2556_186
; %bb.185:
	v_lshlrev_b32_e32 v2, 1, v22
	v_readfirstlane_b32 s2, v8
	v_readfirstlane_b32 s3, v9
	s_waitcnt lgkmcnt(6)
	s_nop 3
	global_store_short v2, v23, s[2:3]
.LBB2556_186:
	s_or_b64 exec, exec, s[0:1]
	v_cmp_gt_u32_e32 vcc, s33, v18
	v_cmp_ge_u32_e64 s[0:1], v18, v4
	s_and_b64 s[2:3], vcc, s[0:1]
	s_and_saveexec_b64 s[0:1], s[2:3]
	s_cbranch_execz .LBB2556_188
; %bb.187:
	v_lshlrev_b32_e32 v2, 1, v18
	v_readfirstlane_b32 s2, v8
	v_readfirstlane_b32 s3, v9
	s_waitcnt lgkmcnt(5)
	s_nop 3
	global_store_short v2, v19, s[2:3]
.LBB2556_188:
	s_or_b64 exec, exec, s[0:1]
	v_cmp_gt_u32_e32 vcc, s33, v16
	v_cmp_ge_u32_e64 s[0:1], v16, v4
	s_and_b64 s[2:3], vcc, s[0:1]
	s_and_saveexec_b64 s[0:1], s[2:3]
	s_cbranch_execz .LBB2556_190
; %bb.189:
	v_lshlrev_b32_e32 v2, 1, v16
	v_readfirstlane_b32 s2, v8
	v_readfirstlane_b32 s3, v9
	s_waitcnt lgkmcnt(4)
	s_nop 3
	global_store_short v2, v17, s[2:3]
.LBB2556_190:
	s_or_b64 exec, exec, s[0:1]
	v_cmp_gt_u32_e32 vcc, s33, v14
	v_cmp_ge_u32_e64 s[0:1], v14, v4
	s_and_b64 s[2:3], vcc, s[0:1]
	s_and_saveexec_b64 s[0:1], s[2:3]
	s_cbranch_execz .LBB2556_192
; %bb.191:
	v_lshlrev_b32_e32 v2, 1, v14
	v_readfirstlane_b32 s2, v8
	v_readfirstlane_b32 s3, v9
	s_waitcnt lgkmcnt(3)
	s_nop 3
	global_store_short v2, v15, s[2:3]
.LBB2556_192:
	s_or_b64 exec, exec, s[0:1]
	v_cmp_gt_u32_e32 vcc, s33, v12
	v_cmp_ge_u32_e64 s[0:1], v12, v4
	s_and_b64 s[2:3], vcc, s[0:1]
	s_and_saveexec_b64 s[0:1], s[2:3]
	s_cbranch_execz .LBB2556_194
; %bb.193:
	v_lshlrev_b32_e32 v2, 1, v12
	v_readfirstlane_b32 s2, v8
	v_readfirstlane_b32 s3, v9
	s_waitcnt lgkmcnt(2)
	s_nop 3
	global_store_short v2, v13, s[2:3]
.LBB2556_194:
	s_or_b64 exec, exec, s[0:1]
	v_cmp_gt_u32_e32 vcc, s33, v10
	v_cmp_ge_u32_e64 s[0:1], v10, v4
	s_and_b64 s[2:3], vcc, s[0:1]
	s_and_saveexec_b64 s[0:1], s[2:3]
	s_cbranch_execz .LBB2556_196
; %bb.195:
	v_lshlrev_b32_e32 v2, 1, v10
	v_readfirstlane_b32 s2, v8
	v_readfirstlane_b32 s3, v9
	s_waitcnt lgkmcnt(1)
	s_nop 3
	global_store_short v2, v11, s[2:3]
.LBB2556_196:
	s_or_b64 exec, exec, s[0:1]
	v_cmp_gt_u32_e32 vcc, s33, v1
	v_cmp_ge_u32_e64 s[0:1], v1, v4
	s_and_b64 s[0:1], vcc, s[0:1]
.LBB2556_197:
	s_and_saveexec_b64 s[2:3], s[0:1]
	s_cbranch_execz .LBB2556_199
; %bb.198:
	v_lshlrev_b32_e32 v1, 1, v1
	v_readfirstlane_b32 s0, v8
	v_readfirstlane_b32 s1, v9
	s_waitcnt lgkmcnt(0)
	s_nop 3
	global_store_short v1, v3, s[0:1]
.LBB2556_199:
	s_or_b64 exec, exec, s[2:3]
	v_cmp_eq_u32_e32 vcc, 0, v0
	s_and_b64 s[0:1], vcc, s[26:27]
	s_and_saveexec_b64 s[2:3], s[0:1]
	s_cbranch_execz .LBB2556_201
; %bb.200:
	v_mov_b32_e32 v0, 0
	global_store_dwordx2 v0, v[6:7], s[24:25]
.LBB2556_201:
	s_endpgm
.LBB2556_202:
	v_readfirstlane_b32 s0, v8
	v_readfirstlane_b32 s1, v9
	s_waitcnt lgkmcnt(14)
	s_nop 3
	global_store_short v2, v68, s[0:1]
	s_or_b64 exec, exec, s[2:3]
	v_cmp_ge_u32_e32 vcc, v66, v4
	s_and_saveexec_b64 s[0:1], vcc
	s_cbranch_execz .LBB2556_108
.LBB2556_203:
	v_readfirstlane_b32 s2, v8
	v_readfirstlane_b32 s3, v9
	s_waitcnt lgkmcnt(14)
	s_nop 3
	global_store_short v2, v67, s[2:3] offset:1024
	s_or_b64 exec, exec, s[0:1]
	v_cmp_ge_u32_e32 vcc, v64, v4
	s_and_saveexec_b64 s[0:1], vcc
	s_cbranch_execz .LBB2556_109
.LBB2556_204:
	v_readfirstlane_b32 s2, v8
	v_readfirstlane_b32 s3, v9
	s_waitcnt lgkmcnt(14)
	s_nop 3
	global_store_short v2, v65, s[2:3] offset:2048
	s_or_b64 exec, exec, s[0:1]
	v_cmp_ge_u32_e32 vcc, v62, v4
	s_and_saveexec_b64 s[0:1], vcc
	s_cbranch_execz .LBB2556_110
.LBB2556_205:
	v_readfirstlane_b32 s2, v8
	v_readfirstlane_b32 s3, v9
	s_waitcnt lgkmcnt(14)
	s_nop 3
	global_store_short v2, v63, s[2:3] offset:3072
	s_or_b64 exec, exec, s[0:1]
	v_cmp_ge_u32_e32 vcc, v60, v4
	s_and_saveexec_b64 s[0:1], vcc
	s_cbranch_execz .LBB2556_111
.LBB2556_206:
	v_lshlrev_b32_e32 v5, 1, v60
	v_readfirstlane_b32 s2, v8
	v_readfirstlane_b32 s3, v9
	s_waitcnt lgkmcnt(14)
	s_nop 3
	global_store_short v5, v61, s[2:3]
	s_or_b64 exec, exec, s[0:1]
	v_cmp_ge_u32_e32 vcc, v58, v4
	s_and_saveexec_b64 s[0:1], vcc
	s_cbranch_execz .LBB2556_112
.LBB2556_207:
	v_lshlrev_b32_e32 v5, 1, v58
	v_readfirstlane_b32 s2, v8
	v_readfirstlane_b32 s3, v9
	s_waitcnt lgkmcnt(14)
	s_nop 3
	global_store_short v5, v59, s[2:3]
	s_or_b64 exec, exec, s[0:1]
	v_cmp_ge_u32_e32 vcc, v56, v4
	s_and_saveexec_b64 s[0:1], vcc
	s_cbranch_execz .LBB2556_113
.LBB2556_208:
	v_lshlrev_b32_e32 v5, 1, v56
	v_readfirstlane_b32 s2, v8
	v_readfirstlane_b32 s3, v9
	s_waitcnt lgkmcnt(14)
	s_nop 3
	global_store_short v5, v57, s[2:3]
	s_or_b64 exec, exec, s[0:1]
	v_cmp_ge_u32_e32 vcc, v53, v4
	s_and_saveexec_b64 s[0:1], vcc
	s_cbranch_execz .LBB2556_114
.LBB2556_209:
	v_lshlrev_b32_e32 v5, 1, v53
	v_readfirstlane_b32 s2, v8
	v_readfirstlane_b32 s3, v9
	s_waitcnt lgkmcnt(14)
	s_nop 3
	global_store_short v5, v55, s[2:3]
	s_or_b64 exec, exec, s[0:1]
	v_cmp_ge_u32_e32 vcc, v52, v4
	s_and_saveexec_b64 s[0:1], vcc
	s_cbranch_execz .LBB2556_115
.LBB2556_210:
	v_lshlrev_b32_e32 v5, 1, v52
	v_readfirstlane_b32 s2, v8
	v_readfirstlane_b32 s3, v9
	s_waitcnt lgkmcnt(14)
	s_nop 3
	global_store_short v5, v54, s[2:3]
	s_or_b64 exec, exec, s[0:1]
	v_cmp_ge_u32_e32 vcc, v50, v4
	s_and_saveexec_b64 s[0:1], vcc
	s_cbranch_execz .LBB2556_116
.LBB2556_211:
	v_lshlrev_b32_e32 v5, 1, v50
	v_readfirstlane_b32 s2, v8
	v_readfirstlane_b32 s3, v9
	s_waitcnt lgkmcnt(14)
	s_nop 3
	global_store_short v5, v51, s[2:3]
	s_or_b64 exec, exec, s[0:1]
	v_cmp_ge_u32_e32 vcc, v48, v4
	s_and_saveexec_b64 s[0:1], vcc
	s_cbranch_execz .LBB2556_117
.LBB2556_212:
	v_lshlrev_b32_e32 v5, 1, v48
	v_readfirstlane_b32 s2, v8
	v_readfirstlane_b32 s3, v9
	s_waitcnt lgkmcnt(14)
	s_nop 3
	global_store_short v5, v49, s[2:3]
	s_or_b64 exec, exec, s[0:1]
	v_cmp_ge_u32_e32 vcc, v46, v4
	s_and_saveexec_b64 s[0:1], vcc
	s_cbranch_execz .LBB2556_118
.LBB2556_213:
	v_lshlrev_b32_e32 v5, 1, v46
	v_readfirstlane_b32 s2, v8
	v_readfirstlane_b32 s3, v9
	s_waitcnt lgkmcnt(14)
	s_nop 3
	global_store_short v5, v47, s[2:3]
	s_or_b64 exec, exec, s[0:1]
	v_cmp_ge_u32_e32 vcc, v44, v4
	s_and_saveexec_b64 s[0:1], vcc
	s_cbranch_execz .LBB2556_119
.LBB2556_214:
	v_lshlrev_b32_e32 v5, 1, v44
	v_readfirstlane_b32 s2, v8
	v_readfirstlane_b32 s3, v9
	s_waitcnt lgkmcnt(14)
	s_nop 3
	global_store_short v5, v45, s[2:3]
	s_or_b64 exec, exec, s[0:1]
	v_cmp_ge_u32_e32 vcc, v42, v4
	s_and_saveexec_b64 s[0:1], vcc
	s_cbranch_execz .LBB2556_120
.LBB2556_215:
	v_lshlrev_b32_e32 v5, 1, v42
	v_readfirstlane_b32 s2, v8
	v_readfirstlane_b32 s3, v9
	s_waitcnt lgkmcnt(14)
	s_nop 3
	global_store_short v5, v43, s[2:3]
	s_or_b64 exec, exec, s[0:1]
	v_cmp_ge_u32_e32 vcc, v40, v4
	s_and_saveexec_b64 s[0:1], vcc
	s_cbranch_execz .LBB2556_121
.LBB2556_216:
	v_lshlrev_b32_e32 v5, 1, v40
	v_readfirstlane_b32 s2, v8
	v_readfirstlane_b32 s3, v9
	s_waitcnt lgkmcnt(14)
	s_nop 3
	global_store_short v5, v41, s[2:3]
	s_or_b64 exec, exec, s[0:1]
	v_cmp_ge_u32_e32 vcc, v37, v4
	s_and_saveexec_b64 s[0:1], vcc
	s_cbranch_execz .LBB2556_122
.LBB2556_217:
	v_lshlrev_b32_e32 v5, 1, v37
	v_readfirstlane_b32 s2, v8
	v_readfirstlane_b32 s3, v9
	s_waitcnt lgkmcnt(14)
	s_nop 3
	global_store_short v5, v39, s[2:3]
	s_or_b64 exec, exec, s[0:1]
	v_cmp_ge_u32_e32 vcc, v36, v4
	s_and_saveexec_b64 s[0:1], vcc
	s_cbranch_execz .LBB2556_123
.LBB2556_218:
	v_lshlrev_b32_e32 v5, 1, v36
	v_readfirstlane_b32 s2, v8
	v_readfirstlane_b32 s3, v9
	s_waitcnt lgkmcnt(13)
	s_nop 3
	global_store_short v5, v38, s[2:3]
	s_or_b64 exec, exec, s[0:1]
	v_cmp_ge_u32_e32 vcc, v34, v4
	s_and_saveexec_b64 s[0:1], vcc
	s_cbranch_execz .LBB2556_124
.LBB2556_219:
	v_lshlrev_b32_e32 v5, 1, v34
	v_readfirstlane_b32 s2, v8
	v_readfirstlane_b32 s3, v9
	s_waitcnt lgkmcnt(12)
	s_nop 3
	global_store_short v5, v35, s[2:3]
	s_or_b64 exec, exec, s[0:1]
	v_cmp_ge_u32_e32 vcc, v32, v4
	s_and_saveexec_b64 s[0:1], vcc
	s_cbranch_execz .LBB2556_125
.LBB2556_220:
	v_lshlrev_b32_e32 v5, 1, v32
	v_readfirstlane_b32 s2, v8
	v_readfirstlane_b32 s3, v9
	s_waitcnt lgkmcnt(11)
	s_nop 3
	global_store_short v5, v33, s[2:3]
	s_or_b64 exec, exec, s[0:1]
	v_cmp_ge_u32_e32 vcc, v30, v4
	s_and_saveexec_b64 s[0:1], vcc
	s_cbranch_execz .LBB2556_126
.LBB2556_221:
	v_lshlrev_b32_e32 v5, 1, v30
	v_readfirstlane_b32 s2, v8
	v_readfirstlane_b32 s3, v9
	s_waitcnt lgkmcnt(10)
	s_nop 3
	global_store_short v5, v31, s[2:3]
	s_or_b64 exec, exec, s[0:1]
	v_cmp_ge_u32_e32 vcc, v28, v4
	s_and_saveexec_b64 s[0:1], vcc
	s_cbranch_execz .LBB2556_127
.LBB2556_222:
	v_lshlrev_b32_e32 v5, 1, v28
	v_readfirstlane_b32 s2, v8
	v_readfirstlane_b32 s3, v9
	s_waitcnt lgkmcnt(9)
	s_nop 3
	global_store_short v5, v29, s[2:3]
	s_or_b64 exec, exec, s[0:1]
	v_cmp_ge_u32_e32 vcc, v26, v4
	s_and_saveexec_b64 s[0:1], vcc
	s_cbranch_execz .LBB2556_128
.LBB2556_223:
	v_lshlrev_b32_e32 v5, 1, v26
	v_readfirstlane_b32 s2, v8
	v_readfirstlane_b32 s3, v9
	s_waitcnt lgkmcnt(8)
	s_nop 3
	global_store_short v5, v27, s[2:3]
	s_or_b64 exec, exec, s[0:1]
	v_cmp_ge_u32_e32 vcc, v24, v4
	s_and_saveexec_b64 s[0:1], vcc
	s_cbranch_execz .LBB2556_129
.LBB2556_224:
	v_lshlrev_b32_e32 v5, 1, v24
	v_readfirstlane_b32 s2, v8
	v_readfirstlane_b32 s3, v9
	s_waitcnt lgkmcnt(7)
	s_nop 3
	global_store_short v5, v25, s[2:3]
	s_or_b64 exec, exec, s[0:1]
	v_cmp_ge_u32_e32 vcc, v22, v4
	s_and_saveexec_b64 s[0:1], vcc
	s_cbranch_execz .LBB2556_130
.LBB2556_225:
	v_lshlrev_b32_e32 v5, 1, v22
	v_readfirstlane_b32 s2, v8
	v_readfirstlane_b32 s3, v9
	s_waitcnt lgkmcnt(6)
	s_nop 3
	global_store_short v5, v23, s[2:3]
	s_or_b64 exec, exec, s[0:1]
	v_cmp_ge_u32_e32 vcc, v18, v4
	s_and_saveexec_b64 s[0:1], vcc
	s_cbranch_execz .LBB2556_131
.LBB2556_226:
	v_lshlrev_b32_e32 v5, 1, v18
	v_readfirstlane_b32 s2, v8
	v_readfirstlane_b32 s3, v9
	s_waitcnt lgkmcnt(5)
	s_nop 3
	global_store_short v5, v19, s[2:3]
	s_or_b64 exec, exec, s[0:1]
	v_cmp_ge_u32_e32 vcc, v16, v4
	s_and_saveexec_b64 s[0:1], vcc
	s_cbranch_execz .LBB2556_132
.LBB2556_227:
	v_lshlrev_b32_e32 v5, 1, v16
	v_readfirstlane_b32 s2, v8
	v_readfirstlane_b32 s3, v9
	s_waitcnt lgkmcnt(4)
	s_nop 3
	global_store_short v5, v17, s[2:3]
	s_or_b64 exec, exec, s[0:1]
	v_cmp_ge_u32_e32 vcc, v14, v4
	s_and_saveexec_b64 s[0:1], vcc
	s_cbranch_execz .LBB2556_133
.LBB2556_228:
	v_lshlrev_b32_e32 v5, 1, v14
	v_readfirstlane_b32 s2, v8
	v_readfirstlane_b32 s3, v9
	s_waitcnt lgkmcnt(3)
	s_nop 3
	global_store_short v5, v15, s[2:3]
	s_or_b64 exec, exec, s[0:1]
	v_cmp_ge_u32_e32 vcc, v12, v4
	s_and_saveexec_b64 s[0:1], vcc
	s_cbranch_execz .LBB2556_134
.LBB2556_229:
	v_lshlrev_b32_e32 v5, 1, v12
	v_readfirstlane_b32 s2, v8
	v_readfirstlane_b32 s3, v9
	s_waitcnt lgkmcnt(2)
	s_nop 3
	global_store_short v5, v13, s[2:3]
	s_or_b64 exec, exec, s[0:1]
	v_cmp_ge_u32_e32 vcc, v10, v4
	s_and_saveexec_b64 s[0:1], vcc
	s_cbranch_execnz .LBB2556_135
	s_branch .LBB2556_136
	.section	.rodata,"a",@progbits
	.p2align	6, 0x0
	.amdhsa_kernel _ZN7rocprim17ROCPRIM_400000_NS6detail17trampoline_kernelINS0_14default_configENS1_25partition_config_selectorILNS1_17partition_subalgoE0EtNS0_10empty_typeEbEEZZNS1_14partition_implILS5_0ELb0ES3_jN6thrust23THRUST_200600_302600_NS6detail15normal_iteratorINSA_10device_ptrItEEEEPS6_SG_NS0_5tupleIJNSA_16discard_iteratorINSA_11use_defaultEEESF_EEENSH_IJSG_SG_EEES6_PlJ7is_evenItEEEE10hipError_tPvRmT3_T4_T5_T6_T7_T9_mT8_P12ihipStream_tbDpT10_ENKUlT_T0_E_clISt17integral_constantIbLb0EES19_EEDaS14_S15_EUlS14_E_NS1_11comp_targetILNS1_3genE5ELNS1_11target_archE942ELNS1_3gpuE9ELNS1_3repE0EEENS1_30default_config_static_selectorELNS0_4arch9wavefront6targetE1EEEvT1_
		.amdhsa_group_segment_fixed_size 30728
		.amdhsa_private_segment_fixed_size 0
		.amdhsa_kernarg_size 128
		.amdhsa_user_sgpr_count 2
		.amdhsa_user_sgpr_dispatch_ptr 0
		.amdhsa_user_sgpr_queue_ptr 0
		.amdhsa_user_sgpr_kernarg_segment_ptr 1
		.amdhsa_user_sgpr_dispatch_id 0
		.amdhsa_user_sgpr_kernarg_preload_length 0
		.amdhsa_user_sgpr_kernarg_preload_offset 0
		.amdhsa_user_sgpr_private_segment_size 0
		.amdhsa_uses_dynamic_stack 0
		.amdhsa_enable_private_segment 0
		.amdhsa_system_sgpr_workgroup_id_x 1
		.amdhsa_system_sgpr_workgroup_id_y 0
		.amdhsa_system_sgpr_workgroup_id_z 0
		.amdhsa_system_sgpr_workgroup_info 0
		.amdhsa_system_vgpr_workitem_id 0
		.amdhsa_next_free_vgpr 120
		.amdhsa_next_free_sgpr 44
		.amdhsa_accum_offset 120
		.amdhsa_reserve_vcc 1
		.amdhsa_float_round_mode_32 0
		.amdhsa_float_round_mode_16_64 0
		.amdhsa_float_denorm_mode_32 3
		.amdhsa_float_denorm_mode_16_64 3
		.amdhsa_dx10_clamp 1
		.amdhsa_ieee_mode 1
		.amdhsa_fp16_overflow 0
		.amdhsa_tg_split 0
		.amdhsa_exception_fp_ieee_invalid_op 0
		.amdhsa_exception_fp_denorm_src 0
		.amdhsa_exception_fp_ieee_div_zero 0
		.amdhsa_exception_fp_ieee_overflow 0
		.amdhsa_exception_fp_ieee_underflow 0
		.amdhsa_exception_fp_ieee_inexact 0
		.amdhsa_exception_int_div_zero 0
	.end_amdhsa_kernel
	.section	.text._ZN7rocprim17ROCPRIM_400000_NS6detail17trampoline_kernelINS0_14default_configENS1_25partition_config_selectorILNS1_17partition_subalgoE0EtNS0_10empty_typeEbEEZZNS1_14partition_implILS5_0ELb0ES3_jN6thrust23THRUST_200600_302600_NS6detail15normal_iteratorINSA_10device_ptrItEEEEPS6_SG_NS0_5tupleIJNSA_16discard_iteratorINSA_11use_defaultEEESF_EEENSH_IJSG_SG_EEES6_PlJ7is_evenItEEEE10hipError_tPvRmT3_T4_T5_T6_T7_T9_mT8_P12ihipStream_tbDpT10_ENKUlT_T0_E_clISt17integral_constantIbLb0EES19_EEDaS14_S15_EUlS14_E_NS1_11comp_targetILNS1_3genE5ELNS1_11target_archE942ELNS1_3gpuE9ELNS1_3repE0EEENS1_30default_config_static_selectorELNS0_4arch9wavefront6targetE1EEEvT1_,"axG",@progbits,_ZN7rocprim17ROCPRIM_400000_NS6detail17trampoline_kernelINS0_14default_configENS1_25partition_config_selectorILNS1_17partition_subalgoE0EtNS0_10empty_typeEbEEZZNS1_14partition_implILS5_0ELb0ES3_jN6thrust23THRUST_200600_302600_NS6detail15normal_iteratorINSA_10device_ptrItEEEEPS6_SG_NS0_5tupleIJNSA_16discard_iteratorINSA_11use_defaultEEESF_EEENSH_IJSG_SG_EEES6_PlJ7is_evenItEEEE10hipError_tPvRmT3_T4_T5_T6_T7_T9_mT8_P12ihipStream_tbDpT10_ENKUlT_T0_E_clISt17integral_constantIbLb0EES19_EEDaS14_S15_EUlS14_E_NS1_11comp_targetILNS1_3genE5ELNS1_11target_archE942ELNS1_3gpuE9ELNS1_3repE0EEENS1_30default_config_static_selectorELNS0_4arch9wavefront6targetE1EEEvT1_,comdat
.Lfunc_end2556:
	.size	_ZN7rocprim17ROCPRIM_400000_NS6detail17trampoline_kernelINS0_14default_configENS1_25partition_config_selectorILNS1_17partition_subalgoE0EtNS0_10empty_typeEbEEZZNS1_14partition_implILS5_0ELb0ES3_jN6thrust23THRUST_200600_302600_NS6detail15normal_iteratorINSA_10device_ptrItEEEEPS6_SG_NS0_5tupleIJNSA_16discard_iteratorINSA_11use_defaultEEESF_EEENSH_IJSG_SG_EEES6_PlJ7is_evenItEEEE10hipError_tPvRmT3_T4_T5_T6_T7_T9_mT8_P12ihipStream_tbDpT10_ENKUlT_T0_E_clISt17integral_constantIbLb0EES19_EEDaS14_S15_EUlS14_E_NS1_11comp_targetILNS1_3genE5ELNS1_11target_archE942ELNS1_3gpuE9ELNS1_3repE0EEENS1_30default_config_static_selectorELNS0_4arch9wavefront6targetE1EEEvT1_, .Lfunc_end2556-_ZN7rocprim17ROCPRIM_400000_NS6detail17trampoline_kernelINS0_14default_configENS1_25partition_config_selectorILNS1_17partition_subalgoE0EtNS0_10empty_typeEbEEZZNS1_14partition_implILS5_0ELb0ES3_jN6thrust23THRUST_200600_302600_NS6detail15normal_iteratorINSA_10device_ptrItEEEEPS6_SG_NS0_5tupleIJNSA_16discard_iteratorINSA_11use_defaultEEESF_EEENSH_IJSG_SG_EEES6_PlJ7is_evenItEEEE10hipError_tPvRmT3_T4_T5_T6_T7_T9_mT8_P12ihipStream_tbDpT10_ENKUlT_T0_E_clISt17integral_constantIbLb0EES19_EEDaS14_S15_EUlS14_E_NS1_11comp_targetILNS1_3genE5ELNS1_11target_archE942ELNS1_3gpuE9ELNS1_3repE0EEENS1_30default_config_static_selectorELNS0_4arch9wavefront6targetE1EEEvT1_
                                        ; -- End function
	.section	.AMDGPU.csdata,"",@progbits
; Kernel info:
; codeLenInByte = 11092
; NumSgprs: 50
; NumVgprs: 120
; NumAgprs: 0
; TotalNumVgprs: 120
; ScratchSize: 0
; MemoryBound: 0
; FloatMode: 240
; IeeeMode: 1
; LDSByteSize: 30728 bytes/workgroup (compile time only)
; SGPRBlocks: 6
; VGPRBlocks: 14
; NumSGPRsForWavesPerEU: 50
; NumVGPRsForWavesPerEU: 120
; AccumOffset: 120
; Occupancy: 4
; WaveLimiterHint : 1
; COMPUTE_PGM_RSRC2:SCRATCH_EN: 0
; COMPUTE_PGM_RSRC2:USER_SGPR: 2
; COMPUTE_PGM_RSRC2:TRAP_HANDLER: 0
; COMPUTE_PGM_RSRC2:TGID_X_EN: 1
; COMPUTE_PGM_RSRC2:TGID_Y_EN: 0
; COMPUTE_PGM_RSRC2:TGID_Z_EN: 0
; COMPUTE_PGM_RSRC2:TIDIG_COMP_CNT: 0
; COMPUTE_PGM_RSRC3_GFX90A:ACCUM_OFFSET: 29
; COMPUTE_PGM_RSRC3_GFX90A:TG_SPLIT: 0
	.section	.text._ZN7rocprim17ROCPRIM_400000_NS6detail17trampoline_kernelINS0_14default_configENS1_25partition_config_selectorILNS1_17partition_subalgoE0EtNS0_10empty_typeEbEEZZNS1_14partition_implILS5_0ELb0ES3_jN6thrust23THRUST_200600_302600_NS6detail15normal_iteratorINSA_10device_ptrItEEEEPS6_SG_NS0_5tupleIJNSA_16discard_iteratorINSA_11use_defaultEEESF_EEENSH_IJSG_SG_EEES6_PlJ7is_evenItEEEE10hipError_tPvRmT3_T4_T5_T6_T7_T9_mT8_P12ihipStream_tbDpT10_ENKUlT_T0_E_clISt17integral_constantIbLb0EES19_EEDaS14_S15_EUlS14_E_NS1_11comp_targetILNS1_3genE4ELNS1_11target_archE910ELNS1_3gpuE8ELNS1_3repE0EEENS1_30default_config_static_selectorELNS0_4arch9wavefront6targetE1EEEvT1_,"axG",@progbits,_ZN7rocprim17ROCPRIM_400000_NS6detail17trampoline_kernelINS0_14default_configENS1_25partition_config_selectorILNS1_17partition_subalgoE0EtNS0_10empty_typeEbEEZZNS1_14partition_implILS5_0ELb0ES3_jN6thrust23THRUST_200600_302600_NS6detail15normal_iteratorINSA_10device_ptrItEEEEPS6_SG_NS0_5tupleIJNSA_16discard_iteratorINSA_11use_defaultEEESF_EEENSH_IJSG_SG_EEES6_PlJ7is_evenItEEEE10hipError_tPvRmT3_T4_T5_T6_T7_T9_mT8_P12ihipStream_tbDpT10_ENKUlT_T0_E_clISt17integral_constantIbLb0EES19_EEDaS14_S15_EUlS14_E_NS1_11comp_targetILNS1_3genE4ELNS1_11target_archE910ELNS1_3gpuE8ELNS1_3repE0EEENS1_30default_config_static_selectorELNS0_4arch9wavefront6targetE1EEEvT1_,comdat
	.protected	_ZN7rocprim17ROCPRIM_400000_NS6detail17trampoline_kernelINS0_14default_configENS1_25partition_config_selectorILNS1_17partition_subalgoE0EtNS0_10empty_typeEbEEZZNS1_14partition_implILS5_0ELb0ES3_jN6thrust23THRUST_200600_302600_NS6detail15normal_iteratorINSA_10device_ptrItEEEEPS6_SG_NS0_5tupleIJNSA_16discard_iteratorINSA_11use_defaultEEESF_EEENSH_IJSG_SG_EEES6_PlJ7is_evenItEEEE10hipError_tPvRmT3_T4_T5_T6_T7_T9_mT8_P12ihipStream_tbDpT10_ENKUlT_T0_E_clISt17integral_constantIbLb0EES19_EEDaS14_S15_EUlS14_E_NS1_11comp_targetILNS1_3genE4ELNS1_11target_archE910ELNS1_3gpuE8ELNS1_3repE0EEENS1_30default_config_static_selectorELNS0_4arch9wavefront6targetE1EEEvT1_ ; -- Begin function _ZN7rocprim17ROCPRIM_400000_NS6detail17trampoline_kernelINS0_14default_configENS1_25partition_config_selectorILNS1_17partition_subalgoE0EtNS0_10empty_typeEbEEZZNS1_14partition_implILS5_0ELb0ES3_jN6thrust23THRUST_200600_302600_NS6detail15normal_iteratorINSA_10device_ptrItEEEEPS6_SG_NS0_5tupleIJNSA_16discard_iteratorINSA_11use_defaultEEESF_EEENSH_IJSG_SG_EEES6_PlJ7is_evenItEEEE10hipError_tPvRmT3_T4_T5_T6_T7_T9_mT8_P12ihipStream_tbDpT10_ENKUlT_T0_E_clISt17integral_constantIbLb0EES19_EEDaS14_S15_EUlS14_E_NS1_11comp_targetILNS1_3genE4ELNS1_11target_archE910ELNS1_3gpuE8ELNS1_3repE0EEENS1_30default_config_static_selectorELNS0_4arch9wavefront6targetE1EEEvT1_
	.globl	_ZN7rocprim17ROCPRIM_400000_NS6detail17trampoline_kernelINS0_14default_configENS1_25partition_config_selectorILNS1_17partition_subalgoE0EtNS0_10empty_typeEbEEZZNS1_14partition_implILS5_0ELb0ES3_jN6thrust23THRUST_200600_302600_NS6detail15normal_iteratorINSA_10device_ptrItEEEEPS6_SG_NS0_5tupleIJNSA_16discard_iteratorINSA_11use_defaultEEESF_EEENSH_IJSG_SG_EEES6_PlJ7is_evenItEEEE10hipError_tPvRmT3_T4_T5_T6_T7_T9_mT8_P12ihipStream_tbDpT10_ENKUlT_T0_E_clISt17integral_constantIbLb0EES19_EEDaS14_S15_EUlS14_E_NS1_11comp_targetILNS1_3genE4ELNS1_11target_archE910ELNS1_3gpuE8ELNS1_3repE0EEENS1_30default_config_static_selectorELNS0_4arch9wavefront6targetE1EEEvT1_
	.p2align	8
	.type	_ZN7rocprim17ROCPRIM_400000_NS6detail17trampoline_kernelINS0_14default_configENS1_25partition_config_selectorILNS1_17partition_subalgoE0EtNS0_10empty_typeEbEEZZNS1_14partition_implILS5_0ELb0ES3_jN6thrust23THRUST_200600_302600_NS6detail15normal_iteratorINSA_10device_ptrItEEEEPS6_SG_NS0_5tupleIJNSA_16discard_iteratorINSA_11use_defaultEEESF_EEENSH_IJSG_SG_EEES6_PlJ7is_evenItEEEE10hipError_tPvRmT3_T4_T5_T6_T7_T9_mT8_P12ihipStream_tbDpT10_ENKUlT_T0_E_clISt17integral_constantIbLb0EES19_EEDaS14_S15_EUlS14_E_NS1_11comp_targetILNS1_3genE4ELNS1_11target_archE910ELNS1_3gpuE8ELNS1_3repE0EEENS1_30default_config_static_selectorELNS0_4arch9wavefront6targetE1EEEvT1_,@function
_ZN7rocprim17ROCPRIM_400000_NS6detail17trampoline_kernelINS0_14default_configENS1_25partition_config_selectorILNS1_17partition_subalgoE0EtNS0_10empty_typeEbEEZZNS1_14partition_implILS5_0ELb0ES3_jN6thrust23THRUST_200600_302600_NS6detail15normal_iteratorINSA_10device_ptrItEEEEPS6_SG_NS0_5tupleIJNSA_16discard_iteratorINSA_11use_defaultEEESF_EEENSH_IJSG_SG_EEES6_PlJ7is_evenItEEEE10hipError_tPvRmT3_T4_T5_T6_T7_T9_mT8_P12ihipStream_tbDpT10_ENKUlT_T0_E_clISt17integral_constantIbLb0EES19_EEDaS14_S15_EUlS14_E_NS1_11comp_targetILNS1_3genE4ELNS1_11target_archE910ELNS1_3gpuE8ELNS1_3repE0EEENS1_30default_config_static_selectorELNS0_4arch9wavefront6targetE1EEEvT1_: ; @_ZN7rocprim17ROCPRIM_400000_NS6detail17trampoline_kernelINS0_14default_configENS1_25partition_config_selectorILNS1_17partition_subalgoE0EtNS0_10empty_typeEbEEZZNS1_14partition_implILS5_0ELb0ES3_jN6thrust23THRUST_200600_302600_NS6detail15normal_iteratorINSA_10device_ptrItEEEEPS6_SG_NS0_5tupleIJNSA_16discard_iteratorINSA_11use_defaultEEESF_EEENSH_IJSG_SG_EEES6_PlJ7is_evenItEEEE10hipError_tPvRmT3_T4_T5_T6_T7_T9_mT8_P12ihipStream_tbDpT10_ENKUlT_T0_E_clISt17integral_constantIbLb0EES19_EEDaS14_S15_EUlS14_E_NS1_11comp_targetILNS1_3genE4ELNS1_11target_archE910ELNS1_3gpuE8ELNS1_3repE0EEENS1_30default_config_static_selectorELNS0_4arch9wavefront6targetE1EEEvT1_
; %bb.0:
	.section	.rodata,"a",@progbits
	.p2align	6, 0x0
	.amdhsa_kernel _ZN7rocprim17ROCPRIM_400000_NS6detail17trampoline_kernelINS0_14default_configENS1_25partition_config_selectorILNS1_17partition_subalgoE0EtNS0_10empty_typeEbEEZZNS1_14partition_implILS5_0ELb0ES3_jN6thrust23THRUST_200600_302600_NS6detail15normal_iteratorINSA_10device_ptrItEEEEPS6_SG_NS0_5tupleIJNSA_16discard_iteratorINSA_11use_defaultEEESF_EEENSH_IJSG_SG_EEES6_PlJ7is_evenItEEEE10hipError_tPvRmT3_T4_T5_T6_T7_T9_mT8_P12ihipStream_tbDpT10_ENKUlT_T0_E_clISt17integral_constantIbLb0EES19_EEDaS14_S15_EUlS14_E_NS1_11comp_targetILNS1_3genE4ELNS1_11target_archE910ELNS1_3gpuE8ELNS1_3repE0EEENS1_30default_config_static_selectorELNS0_4arch9wavefront6targetE1EEEvT1_
		.amdhsa_group_segment_fixed_size 0
		.amdhsa_private_segment_fixed_size 0
		.amdhsa_kernarg_size 128
		.amdhsa_user_sgpr_count 2
		.amdhsa_user_sgpr_dispatch_ptr 0
		.amdhsa_user_sgpr_queue_ptr 0
		.amdhsa_user_sgpr_kernarg_segment_ptr 1
		.amdhsa_user_sgpr_dispatch_id 0
		.amdhsa_user_sgpr_kernarg_preload_length 0
		.amdhsa_user_sgpr_kernarg_preload_offset 0
		.amdhsa_user_sgpr_private_segment_size 0
		.amdhsa_uses_dynamic_stack 0
		.amdhsa_enable_private_segment 0
		.amdhsa_system_sgpr_workgroup_id_x 1
		.amdhsa_system_sgpr_workgroup_id_y 0
		.amdhsa_system_sgpr_workgroup_id_z 0
		.amdhsa_system_sgpr_workgroup_info 0
		.amdhsa_system_vgpr_workitem_id 0
		.amdhsa_next_free_vgpr 1
		.amdhsa_next_free_sgpr 0
		.amdhsa_accum_offset 4
		.amdhsa_reserve_vcc 0
		.amdhsa_float_round_mode_32 0
		.amdhsa_float_round_mode_16_64 0
		.amdhsa_float_denorm_mode_32 3
		.amdhsa_float_denorm_mode_16_64 3
		.amdhsa_dx10_clamp 1
		.amdhsa_ieee_mode 1
		.amdhsa_fp16_overflow 0
		.amdhsa_tg_split 0
		.amdhsa_exception_fp_ieee_invalid_op 0
		.amdhsa_exception_fp_denorm_src 0
		.amdhsa_exception_fp_ieee_div_zero 0
		.amdhsa_exception_fp_ieee_overflow 0
		.amdhsa_exception_fp_ieee_underflow 0
		.amdhsa_exception_fp_ieee_inexact 0
		.amdhsa_exception_int_div_zero 0
	.end_amdhsa_kernel
	.section	.text._ZN7rocprim17ROCPRIM_400000_NS6detail17trampoline_kernelINS0_14default_configENS1_25partition_config_selectorILNS1_17partition_subalgoE0EtNS0_10empty_typeEbEEZZNS1_14partition_implILS5_0ELb0ES3_jN6thrust23THRUST_200600_302600_NS6detail15normal_iteratorINSA_10device_ptrItEEEEPS6_SG_NS0_5tupleIJNSA_16discard_iteratorINSA_11use_defaultEEESF_EEENSH_IJSG_SG_EEES6_PlJ7is_evenItEEEE10hipError_tPvRmT3_T4_T5_T6_T7_T9_mT8_P12ihipStream_tbDpT10_ENKUlT_T0_E_clISt17integral_constantIbLb0EES19_EEDaS14_S15_EUlS14_E_NS1_11comp_targetILNS1_3genE4ELNS1_11target_archE910ELNS1_3gpuE8ELNS1_3repE0EEENS1_30default_config_static_selectorELNS0_4arch9wavefront6targetE1EEEvT1_,"axG",@progbits,_ZN7rocprim17ROCPRIM_400000_NS6detail17trampoline_kernelINS0_14default_configENS1_25partition_config_selectorILNS1_17partition_subalgoE0EtNS0_10empty_typeEbEEZZNS1_14partition_implILS5_0ELb0ES3_jN6thrust23THRUST_200600_302600_NS6detail15normal_iteratorINSA_10device_ptrItEEEEPS6_SG_NS0_5tupleIJNSA_16discard_iteratorINSA_11use_defaultEEESF_EEENSH_IJSG_SG_EEES6_PlJ7is_evenItEEEE10hipError_tPvRmT3_T4_T5_T6_T7_T9_mT8_P12ihipStream_tbDpT10_ENKUlT_T0_E_clISt17integral_constantIbLb0EES19_EEDaS14_S15_EUlS14_E_NS1_11comp_targetILNS1_3genE4ELNS1_11target_archE910ELNS1_3gpuE8ELNS1_3repE0EEENS1_30default_config_static_selectorELNS0_4arch9wavefront6targetE1EEEvT1_,comdat
.Lfunc_end2557:
	.size	_ZN7rocprim17ROCPRIM_400000_NS6detail17trampoline_kernelINS0_14default_configENS1_25partition_config_selectorILNS1_17partition_subalgoE0EtNS0_10empty_typeEbEEZZNS1_14partition_implILS5_0ELb0ES3_jN6thrust23THRUST_200600_302600_NS6detail15normal_iteratorINSA_10device_ptrItEEEEPS6_SG_NS0_5tupleIJNSA_16discard_iteratorINSA_11use_defaultEEESF_EEENSH_IJSG_SG_EEES6_PlJ7is_evenItEEEE10hipError_tPvRmT3_T4_T5_T6_T7_T9_mT8_P12ihipStream_tbDpT10_ENKUlT_T0_E_clISt17integral_constantIbLb0EES19_EEDaS14_S15_EUlS14_E_NS1_11comp_targetILNS1_3genE4ELNS1_11target_archE910ELNS1_3gpuE8ELNS1_3repE0EEENS1_30default_config_static_selectorELNS0_4arch9wavefront6targetE1EEEvT1_, .Lfunc_end2557-_ZN7rocprim17ROCPRIM_400000_NS6detail17trampoline_kernelINS0_14default_configENS1_25partition_config_selectorILNS1_17partition_subalgoE0EtNS0_10empty_typeEbEEZZNS1_14partition_implILS5_0ELb0ES3_jN6thrust23THRUST_200600_302600_NS6detail15normal_iteratorINSA_10device_ptrItEEEEPS6_SG_NS0_5tupleIJNSA_16discard_iteratorINSA_11use_defaultEEESF_EEENSH_IJSG_SG_EEES6_PlJ7is_evenItEEEE10hipError_tPvRmT3_T4_T5_T6_T7_T9_mT8_P12ihipStream_tbDpT10_ENKUlT_T0_E_clISt17integral_constantIbLb0EES19_EEDaS14_S15_EUlS14_E_NS1_11comp_targetILNS1_3genE4ELNS1_11target_archE910ELNS1_3gpuE8ELNS1_3repE0EEENS1_30default_config_static_selectorELNS0_4arch9wavefront6targetE1EEEvT1_
                                        ; -- End function
	.section	.AMDGPU.csdata,"",@progbits
; Kernel info:
; codeLenInByte = 0
; NumSgprs: 6
; NumVgprs: 0
; NumAgprs: 0
; TotalNumVgprs: 0
; ScratchSize: 0
; MemoryBound: 0
; FloatMode: 240
; IeeeMode: 1
; LDSByteSize: 0 bytes/workgroup (compile time only)
; SGPRBlocks: 0
; VGPRBlocks: 0
; NumSGPRsForWavesPerEU: 6
; NumVGPRsForWavesPerEU: 1
; AccumOffset: 4
; Occupancy: 8
; WaveLimiterHint : 0
; COMPUTE_PGM_RSRC2:SCRATCH_EN: 0
; COMPUTE_PGM_RSRC2:USER_SGPR: 2
; COMPUTE_PGM_RSRC2:TRAP_HANDLER: 0
; COMPUTE_PGM_RSRC2:TGID_X_EN: 1
; COMPUTE_PGM_RSRC2:TGID_Y_EN: 0
; COMPUTE_PGM_RSRC2:TGID_Z_EN: 0
; COMPUTE_PGM_RSRC2:TIDIG_COMP_CNT: 0
; COMPUTE_PGM_RSRC3_GFX90A:ACCUM_OFFSET: 0
; COMPUTE_PGM_RSRC3_GFX90A:TG_SPLIT: 0
	.section	.text._ZN7rocprim17ROCPRIM_400000_NS6detail17trampoline_kernelINS0_14default_configENS1_25partition_config_selectorILNS1_17partition_subalgoE0EtNS0_10empty_typeEbEEZZNS1_14partition_implILS5_0ELb0ES3_jN6thrust23THRUST_200600_302600_NS6detail15normal_iteratorINSA_10device_ptrItEEEEPS6_SG_NS0_5tupleIJNSA_16discard_iteratorINSA_11use_defaultEEESF_EEENSH_IJSG_SG_EEES6_PlJ7is_evenItEEEE10hipError_tPvRmT3_T4_T5_T6_T7_T9_mT8_P12ihipStream_tbDpT10_ENKUlT_T0_E_clISt17integral_constantIbLb0EES19_EEDaS14_S15_EUlS14_E_NS1_11comp_targetILNS1_3genE3ELNS1_11target_archE908ELNS1_3gpuE7ELNS1_3repE0EEENS1_30default_config_static_selectorELNS0_4arch9wavefront6targetE1EEEvT1_,"axG",@progbits,_ZN7rocprim17ROCPRIM_400000_NS6detail17trampoline_kernelINS0_14default_configENS1_25partition_config_selectorILNS1_17partition_subalgoE0EtNS0_10empty_typeEbEEZZNS1_14partition_implILS5_0ELb0ES3_jN6thrust23THRUST_200600_302600_NS6detail15normal_iteratorINSA_10device_ptrItEEEEPS6_SG_NS0_5tupleIJNSA_16discard_iteratorINSA_11use_defaultEEESF_EEENSH_IJSG_SG_EEES6_PlJ7is_evenItEEEE10hipError_tPvRmT3_T4_T5_T6_T7_T9_mT8_P12ihipStream_tbDpT10_ENKUlT_T0_E_clISt17integral_constantIbLb0EES19_EEDaS14_S15_EUlS14_E_NS1_11comp_targetILNS1_3genE3ELNS1_11target_archE908ELNS1_3gpuE7ELNS1_3repE0EEENS1_30default_config_static_selectorELNS0_4arch9wavefront6targetE1EEEvT1_,comdat
	.protected	_ZN7rocprim17ROCPRIM_400000_NS6detail17trampoline_kernelINS0_14default_configENS1_25partition_config_selectorILNS1_17partition_subalgoE0EtNS0_10empty_typeEbEEZZNS1_14partition_implILS5_0ELb0ES3_jN6thrust23THRUST_200600_302600_NS6detail15normal_iteratorINSA_10device_ptrItEEEEPS6_SG_NS0_5tupleIJNSA_16discard_iteratorINSA_11use_defaultEEESF_EEENSH_IJSG_SG_EEES6_PlJ7is_evenItEEEE10hipError_tPvRmT3_T4_T5_T6_T7_T9_mT8_P12ihipStream_tbDpT10_ENKUlT_T0_E_clISt17integral_constantIbLb0EES19_EEDaS14_S15_EUlS14_E_NS1_11comp_targetILNS1_3genE3ELNS1_11target_archE908ELNS1_3gpuE7ELNS1_3repE0EEENS1_30default_config_static_selectorELNS0_4arch9wavefront6targetE1EEEvT1_ ; -- Begin function _ZN7rocprim17ROCPRIM_400000_NS6detail17trampoline_kernelINS0_14default_configENS1_25partition_config_selectorILNS1_17partition_subalgoE0EtNS0_10empty_typeEbEEZZNS1_14partition_implILS5_0ELb0ES3_jN6thrust23THRUST_200600_302600_NS6detail15normal_iteratorINSA_10device_ptrItEEEEPS6_SG_NS0_5tupleIJNSA_16discard_iteratorINSA_11use_defaultEEESF_EEENSH_IJSG_SG_EEES6_PlJ7is_evenItEEEE10hipError_tPvRmT3_T4_T5_T6_T7_T9_mT8_P12ihipStream_tbDpT10_ENKUlT_T0_E_clISt17integral_constantIbLb0EES19_EEDaS14_S15_EUlS14_E_NS1_11comp_targetILNS1_3genE3ELNS1_11target_archE908ELNS1_3gpuE7ELNS1_3repE0EEENS1_30default_config_static_selectorELNS0_4arch9wavefront6targetE1EEEvT1_
	.globl	_ZN7rocprim17ROCPRIM_400000_NS6detail17trampoline_kernelINS0_14default_configENS1_25partition_config_selectorILNS1_17partition_subalgoE0EtNS0_10empty_typeEbEEZZNS1_14partition_implILS5_0ELb0ES3_jN6thrust23THRUST_200600_302600_NS6detail15normal_iteratorINSA_10device_ptrItEEEEPS6_SG_NS0_5tupleIJNSA_16discard_iteratorINSA_11use_defaultEEESF_EEENSH_IJSG_SG_EEES6_PlJ7is_evenItEEEE10hipError_tPvRmT3_T4_T5_T6_T7_T9_mT8_P12ihipStream_tbDpT10_ENKUlT_T0_E_clISt17integral_constantIbLb0EES19_EEDaS14_S15_EUlS14_E_NS1_11comp_targetILNS1_3genE3ELNS1_11target_archE908ELNS1_3gpuE7ELNS1_3repE0EEENS1_30default_config_static_selectorELNS0_4arch9wavefront6targetE1EEEvT1_
	.p2align	8
	.type	_ZN7rocprim17ROCPRIM_400000_NS6detail17trampoline_kernelINS0_14default_configENS1_25partition_config_selectorILNS1_17partition_subalgoE0EtNS0_10empty_typeEbEEZZNS1_14partition_implILS5_0ELb0ES3_jN6thrust23THRUST_200600_302600_NS6detail15normal_iteratorINSA_10device_ptrItEEEEPS6_SG_NS0_5tupleIJNSA_16discard_iteratorINSA_11use_defaultEEESF_EEENSH_IJSG_SG_EEES6_PlJ7is_evenItEEEE10hipError_tPvRmT3_T4_T5_T6_T7_T9_mT8_P12ihipStream_tbDpT10_ENKUlT_T0_E_clISt17integral_constantIbLb0EES19_EEDaS14_S15_EUlS14_E_NS1_11comp_targetILNS1_3genE3ELNS1_11target_archE908ELNS1_3gpuE7ELNS1_3repE0EEENS1_30default_config_static_selectorELNS0_4arch9wavefront6targetE1EEEvT1_,@function
_ZN7rocprim17ROCPRIM_400000_NS6detail17trampoline_kernelINS0_14default_configENS1_25partition_config_selectorILNS1_17partition_subalgoE0EtNS0_10empty_typeEbEEZZNS1_14partition_implILS5_0ELb0ES3_jN6thrust23THRUST_200600_302600_NS6detail15normal_iteratorINSA_10device_ptrItEEEEPS6_SG_NS0_5tupleIJNSA_16discard_iteratorINSA_11use_defaultEEESF_EEENSH_IJSG_SG_EEES6_PlJ7is_evenItEEEE10hipError_tPvRmT3_T4_T5_T6_T7_T9_mT8_P12ihipStream_tbDpT10_ENKUlT_T0_E_clISt17integral_constantIbLb0EES19_EEDaS14_S15_EUlS14_E_NS1_11comp_targetILNS1_3genE3ELNS1_11target_archE908ELNS1_3gpuE7ELNS1_3repE0EEENS1_30default_config_static_selectorELNS0_4arch9wavefront6targetE1EEEvT1_: ; @_ZN7rocprim17ROCPRIM_400000_NS6detail17trampoline_kernelINS0_14default_configENS1_25partition_config_selectorILNS1_17partition_subalgoE0EtNS0_10empty_typeEbEEZZNS1_14partition_implILS5_0ELb0ES3_jN6thrust23THRUST_200600_302600_NS6detail15normal_iteratorINSA_10device_ptrItEEEEPS6_SG_NS0_5tupleIJNSA_16discard_iteratorINSA_11use_defaultEEESF_EEENSH_IJSG_SG_EEES6_PlJ7is_evenItEEEE10hipError_tPvRmT3_T4_T5_T6_T7_T9_mT8_P12ihipStream_tbDpT10_ENKUlT_T0_E_clISt17integral_constantIbLb0EES19_EEDaS14_S15_EUlS14_E_NS1_11comp_targetILNS1_3genE3ELNS1_11target_archE908ELNS1_3gpuE7ELNS1_3repE0EEENS1_30default_config_static_selectorELNS0_4arch9wavefront6targetE1EEEvT1_
; %bb.0:
	.section	.rodata,"a",@progbits
	.p2align	6, 0x0
	.amdhsa_kernel _ZN7rocprim17ROCPRIM_400000_NS6detail17trampoline_kernelINS0_14default_configENS1_25partition_config_selectorILNS1_17partition_subalgoE0EtNS0_10empty_typeEbEEZZNS1_14partition_implILS5_0ELb0ES3_jN6thrust23THRUST_200600_302600_NS6detail15normal_iteratorINSA_10device_ptrItEEEEPS6_SG_NS0_5tupleIJNSA_16discard_iteratorINSA_11use_defaultEEESF_EEENSH_IJSG_SG_EEES6_PlJ7is_evenItEEEE10hipError_tPvRmT3_T4_T5_T6_T7_T9_mT8_P12ihipStream_tbDpT10_ENKUlT_T0_E_clISt17integral_constantIbLb0EES19_EEDaS14_S15_EUlS14_E_NS1_11comp_targetILNS1_3genE3ELNS1_11target_archE908ELNS1_3gpuE7ELNS1_3repE0EEENS1_30default_config_static_selectorELNS0_4arch9wavefront6targetE1EEEvT1_
		.amdhsa_group_segment_fixed_size 0
		.amdhsa_private_segment_fixed_size 0
		.amdhsa_kernarg_size 128
		.amdhsa_user_sgpr_count 2
		.amdhsa_user_sgpr_dispatch_ptr 0
		.amdhsa_user_sgpr_queue_ptr 0
		.amdhsa_user_sgpr_kernarg_segment_ptr 1
		.amdhsa_user_sgpr_dispatch_id 0
		.amdhsa_user_sgpr_kernarg_preload_length 0
		.amdhsa_user_sgpr_kernarg_preload_offset 0
		.amdhsa_user_sgpr_private_segment_size 0
		.amdhsa_uses_dynamic_stack 0
		.amdhsa_enable_private_segment 0
		.amdhsa_system_sgpr_workgroup_id_x 1
		.amdhsa_system_sgpr_workgroup_id_y 0
		.amdhsa_system_sgpr_workgroup_id_z 0
		.amdhsa_system_sgpr_workgroup_info 0
		.amdhsa_system_vgpr_workitem_id 0
		.amdhsa_next_free_vgpr 1
		.amdhsa_next_free_sgpr 0
		.amdhsa_accum_offset 4
		.amdhsa_reserve_vcc 0
		.amdhsa_float_round_mode_32 0
		.amdhsa_float_round_mode_16_64 0
		.amdhsa_float_denorm_mode_32 3
		.amdhsa_float_denorm_mode_16_64 3
		.amdhsa_dx10_clamp 1
		.amdhsa_ieee_mode 1
		.amdhsa_fp16_overflow 0
		.amdhsa_tg_split 0
		.amdhsa_exception_fp_ieee_invalid_op 0
		.amdhsa_exception_fp_denorm_src 0
		.amdhsa_exception_fp_ieee_div_zero 0
		.amdhsa_exception_fp_ieee_overflow 0
		.amdhsa_exception_fp_ieee_underflow 0
		.amdhsa_exception_fp_ieee_inexact 0
		.amdhsa_exception_int_div_zero 0
	.end_amdhsa_kernel
	.section	.text._ZN7rocprim17ROCPRIM_400000_NS6detail17trampoline_kernelINS0_14default_configENS1_25partition_config_selectorILNS1_17partition_subalgoE0EtNS0_10empty_typeEbEEZZNS1_14partition_implILS5_0ELb0ES3_jN6thrust23THRUST_200600_302600_NS6detail15normal_iteratorINSA_10device_ptrItEEEEPS6_SG_NS0_5tupleIJNSA_16discard_iteratorINSA_11use_defaultEEESF_EEENSH_IJSG_SG_EEES6_PlJ7is_evenItEEEE10hipError_tPvRmT3_T4_T5_T6_T7_T9_mT8_P12ihipStream_tbDpT10_ENKUlT_T0_E_clISt17integral_constantIbLb0EES19_EEDaS14_S15_EUlS14_E_NS1_11comp_targetILNS1_3genE3ELNS1_11target_archE908ELNS1_3gpuE7ELNS1_3repE0EEENS1_30default_config_static_selectorELNS0_4arch9wavefront6targetE1EEEvT1_,"axG",@progbits,_ZN7rocprim17ROCPRIM_400000_NS6detail17trampoline_kernelINS0_14default_configENS1_25partition_config_selectorILNS1_17partition_subalgoE0EtNS0_10empty_typeEbEEZZNS1_14partition_implILS5_0ELb0ES3_jN6thrust23THRUST_200600_302600_NS6detail15normal_iteratorINSA_10device_ptrItEEEEPS6_SG_NS0_5tupleIJNSA_16discard_iteratorINSA_11use_defaultEEESF_EEENSH_IJSG_SG_EEES6_PlJ7is_evenItEEEE10hipError_tPvRmT3_T4_T5_T6_T7_T9_mT8_P12ihipStream_tbDpT10_ENKUlT_T0_E_clISt17integral_constantIbLb0EES19_EEDaS14_S15_EUlS14_E_NS1_11comp_targetILNS1_3genE3ELNS1_11target_archE908ELNS1_3gpuE7ELNS1_3repE0EEENS1_30default_config_static_selectorELNS0_4arch9wavefront6targetE1EEEvT1_,comdat
.Lfunc_end2558:
	.size	_ZN7rocprim17ROCPRIM_400000_NS6detail17trampoline_kernelINS0_14default_configENS1_25partition_config_selectorILNS1_17partition_subalgoE0EtNS0_10empty_typeEbEEZZNS1_14partition_implILS5_0ELb0ES3_jN6thrust23THRUST_200600_302600_NS6detail15normal_iteratorINSA_10device_ptrItEEEEPS6_SG_NS0_5tupleIJNSA_16discard_iteratorINSA_11use_defaultEEESF_EEENSH_IJSG_SG_EEES6_PlJ7is_evenItEEEE10hipError_tPvRmT3_T4_T5_T6_T7_T9_mT8_P12ihipStream_tbDpT10_ENKUlT_T0_E_clISt17integral_constantIbLb0EES19_EEDaS14_S15_EUlS14_E_NS1_11comp_targetILNS1_3genE3ELNS1_11target_archE908ELNS1_3gpuE7ELNS1_3repE0EEENS1_30default_config_static_selectorELNS0_4arch9wavefront6targetE1EEEvT1_, .Lfunc_end2558-_ZN7rocprim17ROCPRIM_400000_NS6detail17trampoline_kernelINS0_14default_configENS1_25partition_config_selectorILNS1_17partition_subalgoE0EtNS0_10empty_typeEbEEZZNS1_14partition_implILS5_0ELb0ES3_jN6thrust23THRUST_200600_302600_NS6detail15normal_iteratorINSA_10device_ptrItEEEEPS6_SG_NS0_5tupleIJNSA_16discard_iteratorINSA_11use_defaultEEESF_EEENSH_IJSG_SG_EEES6_PlJ7is_evenItEEEE10hipError_tPvRmT3_T4_T5_T6_T7_T9_mT8_P12ihipStream_tbDpT10_ENKUlT_T0_E_clISt17integral_constantIbLb0EES19_EEDaS14_S15_EUlS14_E_NS1_11comp_targetILNS1_3genE3ELNS1_11target_archE908ELNS1_3gpuE7ELNS1_3repE0EEENS1_30default_config_static_selectorELNS0_4arch9wavefront6targetE1EEEvT1_
                                        ; -- End function
	.section	.AMDGPU.csdata,"",@progbits
; Kernel info:
; codeLenInByte = 0
; NumSgprs: 6
; NumVgprs: 0
; NumAgprs: 0
; TotalNumVgprs: 0
; ScratchSize: 0
; MemoryBound: 0
; FloatMode: 240
; IeeeMode: 1
; LDSByteSize: 0 bytes/workgroup (compile time only)
; SGPRBlocks: 0
; VGPRBlocks: 0
; NumSGPRsForWavesPerEU: 6
; NumVGPRsForWavesPerEU: 1
; AccumOffset: 4
; Occupancy: 8
; WaveLimiterHint : 0
; COMPUTE_PGM_RSRC2:SCRATCH_EN: 0
; COMPUTE_PGM_RSRC2:USER_SGPR: 2
; COMPUTE_PGM_RSRC2:TRAP_HANDLER: 0
; COMPUTE_PGM_RSRC2:TGID_X_EN: 1
; COMPUTE_PGM_RSRC2:TGID_Y_EN: 0
; COMPUTE_PGM_RSRC2:TGID_Z_EN: 0
; COMPUTE_PGM_RSRC2:TIDIG_COMP_CNT: 0
; COMPUTE_PGM_RSRC3_GFX90A:ACCUM_OFFSET: 0
; COMPUTE_PGM_RSRC3_GFX90A:TG_SPLIT: 0
	.section	.text._ZN7rocprim17ROCPRIM_400000_NS6detail17trampoline_kernelINS0_14default_configENS1_25partition_config_selectorILNS1_17partition_subalgoE0EtNS0_10empty_typeEbEEZZNS1_14partition_implILS5_0ELb0ES3_jN6thrust23THRUST_200600_302600_NS6detail15normal_iteratorINSA_10device_ptrItEEEEPS6_SG_NS0_5tupleIJNSA_16discard_iteratorINSA_11use_defaultEEESF_EEENSH_IJSG_SG_EEES6_PlJ7is_evenItEEEE10hipError_tPvRmT3_T4_T5_T6_T7_T9_mT8_P12ihipStream_tbDpT10_ENKUlT_T0_E_clISt17integral_constantIbLb0EES19_EEDaS14_S15_EUlS14_E_NS1_11comp_targetILNS1_3genE2ELNS1_11target_archE906ELNS1_3gpuE6ELNS1_3repE0EEENS1_30default_config_static_selectorELNS0_4arch9wavefront6targetE1EEEvT1_,"axG",@progbits,_ZN7rocprim17ROCPRIM_400000_NS6detail17trampoline_kernelINS0_14default_configENS1_25partition_config_selectorILNS1_17partition_subalgoE0EtNS0_10empty_typeEbEEZZNS1_14partition_implILS5_0ELb0ES3_jN6thrust23THRUST_200600_302600_NS6detail15normal_iteratorINSA_10device_ptrItEEEEPS6_SG_NS0_5tupleIJNSA_16discard_iteratorINSA_11use_defaultEEESF_EEENSH_IJSG_SG_EEES6_PlJ7is_evenItEEEE10hipError_tPvRmT3_T4_T5_T6_T7_T9_mT8_P12ihipStream_tbDpT10_ENKUlT_T0_E_clISt17integral_constantIbLb0EES19_EEDaS14_S15_EUlS14_E_NS1_11comp_targetILNS1_3genE2ELNS1_11target_archE906ELNS1_3gpuE6ELNS1_3repE0EEENS1_30default_config_static_selectorELNS0_4arch9wavefront6targetE1EEEvT1_,comdat
	.protected	_ZN7rocprim17ROCPRIM_400000_NS6detail17trampoline_kernelINS0_14default_configENS1_25partition_config_selectorILNS1_17partition_subalgoE0EtNS0_10empty_typeEbEEZZNS1_14partition_implILS5_0ELb0ES3_jN6thrust23THRUST_200600_302600_NS6detail15normal_iteratorINSA_10device_ptrItEEEEPS6_SG_NS0_5tupleIJNSA_16discard_iteratorINSA_11use_defaultEEESF_EEENSH_IJSG_SG_EEES6_PlJ7is_evenItEEEE10hipError_tPvRmT3_T4_T5_T6_T7_T9_mT8_P12ihipStream_tbDpT10_ENKUlT_T0_E_clISt17integral_constantIbLb0EES19_EEDaS14_S15_EUlS14_E_NS1_11comp_targetILNS1_3genE2ELNS1_11target_archE906ELNS1_3gpuE6ELNS1_3repE0EEENS1_30default_config_static_selectorELNS0_4arch9wavefront6targetE1EEEvT1_ ; -- Begin function _ZN7rocprim17ROCPRIM_400000_NS6detail17trampoline_kernelINS0_14default_configENS1_25partition_config_selectorILNS1_17partition_subalgoE0EtNS0_10empty_typeEbEEZZNS1_14partition_implILS5_0ELb0ES3_jN6thrust23THRUST_200600_302600_NS6detail15normal_iteratorINSA_10device_ptrItEEEEPS6_SG_NS0_5tupleIJNSA_16discard_iteratorINSA_11use_defaultEEESF_EEENSH_IJSG_SG_EEES6_PlJ7is_evenItEEEE10hipError_tPvRmT3_T4_T5_T6_T7_T9_mT8_P12ihipStream_tbDpT10_ENKUlT_T0_E_clISt17integral_constantIbLb0EES19_EEDaS14_S15_EUlS14_E_NS1_11comp_targetILNS1_3genE2ELNS1_11target_archE906ELNS1_3gpuE6ELNS1_3repE0EEENS1_30default_config_static_selectorELNS0_4arch9wavefront6targetE1EEEvT1_
	.globl	_ZN7rocprim17ROCPRIM_400000_NS6detail17trampoline_kernelINS0_14default_configENS1_25partition_config_selectorILNS1_17partition_subalgoE0EtNS0_10empty_typeEbEEZZNS1_14partition_implILS5_0ELb0ES3_jN6thrust23THRUST_200600_302600_NS6detail15normal_iteratorINSA_10device_ptrItEEEEPS6_SG_NS0_5tupleIJNSA_16discard_iteratorINSA_11use_defaultEEESF_EEENSH_IJSG_SG_EEES6_PlJ7is_evenItEEEE10hipError_tPvRmT3_T4_T5_T6_T7_T9_mT8_P12ihipStream_tbDpT10_ENKUlT_T0_E_clISt17integral_constantIbLb0EES19_EEDaS14_S15_EUlS14_E_NS1_11comp_targetILNS1_3genE2ELNS1_11target_archE906ELNS1_3gpuE6ELNS1_3repE0EEENS1_30default_config_static_selectorELNS0_4arch9wavefront6targetE1EEEvT1_
	.p2align	8
	.type	_ZN7rocprim17ROCPRIM_400000_NS6detail17trampoline_kernelINS0_14default_configENS1_25partition_config_selectorILNS1_17partition_subalgoE0EtNS0_10empty_typeEbEEZZNS1_14partition_implILS5_0ELb0ES3_jN6thrust23THRUST_200600_302600_NS6detail15normal_iteratorINSA_10device_ptrItEEEEPS6_SG_NS0_5tupleIJNSA_16discard_iteratorINSA_11use_defaultEEESF_EEENSH_IJSG_SG_EEES6_PlJ7is_evenItEEEE10hipError_tPvRmT3_T4_T5_T6_T7_T9_mT8_P12ihipStream_tbDpT10_ENKUlT_T0_E_clISt17integral_constantIbLb0EES19_EEDaS14_S15_EUlS14_E_NS1_11comp_targetILNS1_3genE2ELNS1_11target_archE906ELNS1_3gpuE6ELNS1_3repE0EEENS1_30default_config_static_selectorELNS0_4arch9wavefront6targetE1EEEvT1_,@function
_ZN7rocprim17ROCPRIM_400000_NS6detail17trampoline_kernelINS0_14default_configENS1_25partition_config_selectorILNS1_17partition_subalgoE0EtNS0_10empty_typeEbEEZZNS1_14partition_implILS5_0ELb0ES3_jN6thrust23THRUST_200600_302600_NS6detail15normal_iteratorINSA_10device_ptrItEEEEPS6_SG_NS0_5tupleIJNSA_16discard_iteratorINSA_11use_defaultEEESF_EEENSH_IJSG_SG_EEES6_PlJ7is_evenItEEEE10hipError_tPvRmT3_T4_T5_T6_T7_T9_mT8_P12ihipStream_tbDpT10_ENKUlT_T0_E_clISt17integral_constantIbLb0EES19_EEDaS14_S15_EUlS14_E_NS1_11comp_targetILNS1_3genE2ELNS1_11target_archE906ELNS1_3gpuE6ELNS1_3repE0EEENS1_30default_config_static_selectorELNS0_4arch9wavefront6targetE1EEEvT1_: ; @_ZN7rocprim17ROCPRIM_400000_NS6detail17trampoline_kernelINS0_14default_configENS1_25partition_config_selectorILNS1_17partition_subalgoE0EtNS0_10empty_typeEbEEZZNS1_14partition_implILS5_0ELb0ES3_jN6thrust23THRUST_200600_302600_NS6detail15normal_iteratorINSA_10device_ptrItEEEEPS6_SG_NS0_5tupleIJNSA_16discard_iteratorINSA_11use_defaultEEESF_EEENSH_IJSG_SG_EEES6_PlJ7is_evenItEEEE10hipError_tPvRmT3_T4_T5_T6_T7_T9_mT8_P12ihipStream_tbDpT10_ENKUlT_T0_E_clISt17integral_constantIbLb0EES19_EEDaS14_S15_EUlS14_E_NS1_11comp_targetILNS1_3genE2ELNS1_11target_archE906ELNS1_3gpuE6ELNS1_3repE0EEENS1_30default_config_static_selectorELNS0_4arch9wavefront6targetE1EEEvT1_
; %bb.0:
	.section	.rodata,"a",@progbits
	.p2align	6, 0x0
	.amdhsa_kernel _ZN7rocprim17ROCPRIM_400000_NS6detail17trampoline_kernelINS0_14default_configENS1_25partition_config_selectorILNS1_17partition_subalgoE0EtNS0_10empty_typeEbEEZZNS1_14partition_implILS5_0ELb0ES3_jN6thrust23THRUST_200600_302600_NS6detail15normal_iteratorINSA_10device_ptrItEEEEPS6_SG_NS0_5tupleIJNSA_16discard_iteratorINSA_11use_defaultEEESF_EEENSH_IJSG_SG_EEES6_PlJ7is_evenItEEEE10hipError_tPvRmT3_T4_T5_T6_T7_T9_mT8_P12ihipStream_tbDpT10_ENKUlT_T0_E_clISt17integral_constantIbLb0EES19_EEDaS14_S15_EUlS14_E_NS1_11comp_targetILNS1_3genE2ELNS1_11target_archE906ELNS1_3gpuE6ELNS1_3repE0EEENS1_30default_config_static_selectorELNS0_4arch9wavefront6targetE1EEEvT1_
		.amdhsa_group_segment_fixed_size 0
		.amdhsa_private_segment_fixed_size 0
		.amdhsa_kernarg_size 128
		.amdhsa_user_sgpr_count 2
		.amdhsa_user_sgpr_dispatch_ptr 0
		.amdhsa_user_sgpr_queue_ptr 0
		.amdhsa_user_sgpr_kernarg_segment_ptr 1
		.amdhsa_user_sgpr_dispatch_id 0
		.amdhsa_user_sgpr_kernarg_preload_length 0
		.amdhsa_user_sgpr_kernarg_preload_offset 0
		.amdhsa_user_sgpr_private_segment_size 0
		.amdhsa_uses_dynamic_stack 0
		.amdhsa_enable_private_segment 0
		.amdhsa_system_sgpr_workgroup_id_x 1
		.amdhsa_system_sgpr_workgroup_id_y 0
		.amdhsa_system_sgpr_workgroup_id_z 0
		.amdhsa_system_sgpr_workgroup_info 0
		.amdhsa_system_vgpr_workitem_id 0
		.amdhsa_next_free_vgpr 1
		.amdhsa_next_free_sgpr 0
		.amdhsa_accum_offset 4
		.amdhsa_reserve_vcc 0
		.amdhsa_float_round_mode_32 0
		.amdhsa_float_round_mode_16_64 0
		.amdhsa_float_denorm_mode_32 3
		.amdhsa_float_denorm_mode_16_64 3
		.amdhsa_dx10_clamp 1
		.amdhsa_ieee_mode 1
		.amdhsa_fp16_overflow 0
		.amdhsa_tg_split 0
		.amdhsa_exception_fp_ieee_invalid_op 0
		.amdhsa_exception_fp_denorm_src 0
		.amdhsa_exception_fp_ieee_div_zero 0
		.amdhsa_exception_fp_ieee_overflow 0
		.amdhsa_exception_fp_ieee_underflow 0
		.amdhsa_exception_fp_ieee_inexact 0
		.amdhsa_exception_int_div_zero 0
	.end_amdhsa_kernel
	.section	.text._ZN7rocprim17ROCPRIM_400000_NS6detail17trampoline_kernelINS0_14default_configENS1_25partition_config_selectorILNS1_17partition_subalgoE0EtNS0_10empty_typeEbEEZZNS1_14partition_implILS5_0ELb0ES3_jN6thrust23THRUST_200600_302600_NS6detail15normal_iteratorINSA_10device_ptrItEEEEPS6_SG_NS0_5tupleIJNSA_16discard_iteratorINSA_11use_defaultEEESF_EEENSH_IJSG_SG_EEES6_PlJ7is_evenItEEEE10hipError_tPvRmT3_T4_T5_T6_T7_T9_mT8_P12ihipStream_tbDpT10_ENKUlT_T0_E_clISt17integral_constantIbLb0EES19_EEDaS14_S15_EUlS14_E_NS1_11comp_targetILNS1_3genE2ELNS1_11target_archE906ELNS1_3gpuE6ELNS1_3repE0EEENS1_30default_config_static_selectorELNS0_4arch9wavefront6targetE1EEEvT1_,"axG",@progbits,_ZN7rocprim17ROCPRIM_400000_NS6detail17trampoline_kernelINS0_14default_configENS1_25partition_config_selectorILNS1_17partition_subalgoE0EtNS0_10empty_typeEbEEZZNS1_14partition_implILS5_0ELb0ES3_jN6thrust23THRUST_200600_302600_NS6detail15normal_iteratorINSA_10device_ptrItEEEEPS6_SG_NS0_5tupleIJNSA_16discard_iteratorINSA_11use_defaultEEESF_EEENSH_IJSG_SG_EEES6_PlJ7is_evenItEEEE10hipError_tPvRmT3_T4_T5_T6_T7_T9_mT8_P12ihipStream_tbDpT10_ENKUlT_T0_E_clISt17integral_constantIbLb0EES19_EEDaS14_S15_EUlS14_E_NS1_11comp_targetILNS1_3genE2ELNS1_11target_archE906ELNS1_3gpuE6ELNS1_3repE0EEENS1_30default_config_static_selectorELNS0_4arch9wavefront6targetE1EEEvT1_,comdat
.Lfunc_end2559:
	.size	_ZN7rocprim17ROCPRIM_400000_NS6detail17trampoline_kernelINS0_14default_configENS1_25partition_config_selectorILNS1_17partition_subalgoE0EtNS0_10empty_typeEbEEZZNS1_14partition_implILS5_0ELb0ES3_jN6thrust23THRUST_200600_302600_NS6detail15normal_iteratorINSA_10device_ptrItEEEEPS6_SG_NS0_5tupleIJNSA_16discard_iteratorINSA_11use_defaultEEESF_EEENSH_IJSG_SG_EEES6_PlJ7is_evenItEEEE10hipError_tPvRmT3_T4_T5_T6_T7_T9_mT8_P12ihipStream_tbDpT10_ENKUlT_T0_E_clISt17integral_constantIbLb0EES19_EEDaS14_S15_EUlS14_E_NS1_11comp_targetILNS1_3genE2ELNS1_11target_archE906ELNS1_3gpuE6ELNS1_3repE0EEENS1_30default_config_static_selectorELNS0_4arch9wavefront6targetE1EEEvT1_, .Lfunc_end2559-_ZN7rocprim17ROCPRIM_400000_NS6detail17trampoline_kernelINS0_14default_configENS1_25partition_config_selectorILNS1_17partition_subalgoE0EtNS0_10empty_typeEbEEZZNS1_14partition_implILS5_0ELb0ES3_jN6thrust23THRUST_200600_302600_NS6detail15normal_iteratorINSA_10device_ptrItEEEEPS6_SG_NS0_5tupleIJNSA_16discard_iteratorINSA_11use_defaultEEESF_EEENSH_IJSG_SG_EEES6_PlJ7is_evenItEEEE10hipError_tPvRmT3_T4_T5_T6_T7_T9_mT8_P12ihipStream_tbDpT10_ENKUlT_T0_E_clISt17integral_constantIbLb0EES19_EEDaS14_S15_EUlS14_E_NS1_11comp_targetILNS1_3genE2ELNS1_11target_archE906ELNS1_3gpuE6ELNS1_3repE0EEENS1_30default_config_static_selectorELNS0_4arch9wavefront6targetE1EEEvT1_
                                        ; -- End function
	.section	.AMDGPU.csdata,"",@progbits
; Kernel info:
; codeLenInByte = 0
; NumSgprs: 6
; NumVgprs: 0
; NumAgprs: 0
; TotalNumVgprs: 0
; ScratchSize: 0
; MemoryBound: 0
; FloatMode: 240
; IeeeMode: 1
; LDSByteSize: 0 bytes/workgroup (compile time only)
; SGPRBlocks: 0
; VGPRBlocks: 0
; NumSGPRsForWavesPerEU: 6
; NumVGPRsForWavesPerEU: 1
; AccumOffset: 4
; Occupancy: 8
; WaveLimiterHint : 0
; COMPUTE_PGM_RSRC2:SCRATCH_EN: 0
; COMPUTE_PGM_RSRC2:USER_SGPR: 2
; COMPUTE_PGM_RSRC2:TRAP_HANDLER: 0
; COMPUTE_PGM_RSRC2:TGID_X_EN: 1
; COMPUTE_PGM_RSRC2:TGID_Y_EN: 0
; COMPUTE_PGM_RSRC2:TGID_Z_EN: 0
; COMPUTE_PGM_RSRC2:TIDIG_COMP_CNT: 0
; COMPUTE_PGM_RSRC3_GFX90A:ACCUM_OFFSET: 0
; COMPUTE_PGM_RSRC3_GFX90A:TG_SPLIT: 0
	.section	.text._ZN7rocprim17ROCPRIM_400000_NS6detail17trampoline_kernelINS0_14default_configENS1_25partition_config_selectorILNS1_17partition_subalgoE0EtNS0_10empty_typeEbEEZZNS1_14partition_implILS5_0ELb0ES3_jN6thrust23THRUST_200600_302600_NS6detail15normal_iteratorINSA_10device_ptrItEEEEPS6_SG_NS0_5tupleIJNSA_16discard_iteratorINSA_11use_defaultEEESF_EEENSH_IJSG_SG_EEES6_PlJ7is_evenItEEEE10hipError_tPvRmT3_T4_T5_T6_T7_T9_mT8_P12ihipStream_tbDpT10_ENKUlT_T0_E_clISt17integral_constantIbLb0EES19_EEDaS14_S15_EUlS14_E_NS1_11comp_targetILNS1_3genE10ELNS1_11target_archE1200ELNS1_3gpuE4ELNS1_3repE0EEENS1_30default_config_static_selectorELNS0_4arch9wavefront6targetE1EEEvT1_,"axG",@progbits,_ZN7rocprim17ROCPRIM_400000_NS6detail17trampoline_kernelINS0_14default_configENS1_25partition_config_selectorILNS1_17partition_subalgoE0EtNS0_10empty_typeEbEEZZNS1_14partition_implILS5_0ELb0ES3_jN6thrust23THRUST_200600_302600_NS6detail15normal_iteratorINSA_10device_ptrItEEEEPS6_SG_NS0_5tupleIJNSA_16discard_iteratorINSA_11use_defaultEEESF_EEENSH_IJSG_SG_EEES6_PlJ7is_evenItEEEE10hipError_tPvRmT3_T4_T5_T6_T7_T9_mT8_P12ihipStream_tbDpT10_ENKUlT_T0_E_clISt17integral_constantIbLb0EES19_EEDaS14_S15_EUlS14_E_NS1_11comp_targetILNS1_3genE10ELNS1_11target_archE1200ELNS1_3gpuE4ELNS1_3repE0EEENS1_30default_config_static_selectorELNS0_4arch9wavefront6targetE1EEEvT1_,comdat
	.protected	_ZN7rocprim17ROCPRIM_400000_NS6detail17trampoline_kernelINS0_14default_configENS1_25partition_config_selectorILNS1_17partition_subalgoE0EtNS0_10empty_typeEbEEZZNS1_14partition_implILS5_0ELb0ES3_jN6thrust23THRUST_200600_302600_NS6detail15normal_iteratorINSA_10device_ptrItEEEEPS6_SG_NS0_5tupleIJNSA_16discard_iteratorINSA_11use_defaultEEESF_EEENSH_IJSG_SG_EEES6_PlJ7is_evenItEEEE10hipError_tPvRmT3_T4_T5_T6_T7_T9_mT8_P12ihipStream_tbDpT10_ENKUlT_T0_E_clISt17integral_constantIbLb0EES19_EEDaS14_S15_EUlS14_E_NS1_11comp_targetILNS1_3genE10ELNS1_11target_archE1200ELNS1_3gpuE4ELNS1_3repE0EEENS1_30default_config_static_selectorELNS0_4arch9wavefront6targetE1EEEvT1_ ; -- Begin function _ZN7rocprim17ROCPRIM_400000_NS6detail17trampoline_kernelINS0_14default_configENS1_25partition_config_selectorILNS1_17partition_subalgoE0EtNS0_10empty_typeEbEEZZNS1_14partition_implILS5_0ELb0ES3_jN6thrust23THRUST_200600_302600_NS6detail15normal_iteratorINSA_10device_ptrItEEEEPS6_SG_NS0_5tupleIJNSA_16discard_iteratorINSA_11use_defaultEEESF_EEENSH_IJSG_SG_EEES6_PlJ7is_evenItEEEE10hipError_tPvRmT3_T4_T5_T6_T7_T9_mT8_P12ihipStream_tbDpT10_ENKUlT_T0_E_clISt17integral_constantIbLb0EES19_EEDaS14_S15_EUlS14_E_NS1_11comp_targetILNS1_3genE10ELNS1_11target_archE1200ELNS1_3gpuE4ELNS1_3repE0EEENS1_30default_config_static_selectorELNS0_4arch9wavefront6targetE1EEEvT1_
	.globl	_ZN7rocprim17ROCPRIM_400000_NS6detail17trampoline_kernelINS0_14default_configENS1_25partition_config_selectorILNS1_17partition_subalgoE0EtNS0_10empty_typeEbEEZZNS1_14partition_implILS5_0ELb0ES3_jN6thrust23THRUST_200600_302600_NS6detail15normal_iteratorINSA_10device_ptrItEEEEPS6_SG_NS0_5tupleIJNSA_16discard_iteratorINSA_11use_defaultEEESF_EEENSH_IJSG_SG_EEES6_PlJ7is_evenItEEEE10hipError_tPvRmT3_T4_T5_T6_T7_T9_mT8_P12ihipStream_tbDpT10_ENKUlT_T0_E_clISt17integral_constantIbLb0EES19_EEDaS14_S15_EUlS14_E_NS1_11comp_targetILNS1_3genE10ELNS1_11target_archE1200ELNS1_3gpuE4ELNS1_3repE0EEENS1_30default_config_static_selectorELNS0_4arch9wavefront6targetE1EEEvT1_
	.p2align	8
	.type	_ZN7rocprim17ROCPRIM_400000_NS6detail17trampoline_kernelINS0_14default_configENS1_25partition_config_selectorILNS1_17partition_subalgoE0EtNS0_10empty_typeEbEEZZNS1_14partition_implILS5_0ELb0ES3_jN6thrust23THRUST_200600_302600_NS6detail15normal_iteratorINSA_10device_ptrItEEEEPS6_SG_NS0_5tupleIJNSA_16discard_iteratorINSA_11use_defaultEEESF_EEENSH_IJSG_SG_EEES6_PlJ7is_evenItEEEE10hipError_tPvRmT3_T4_T5_T6_T7_T9_mT8_P12ihipStream_tbDpT10_ENKUlT_T0_E_clISt17integral_constantIbLb0EES19_EEDaS14_S15_EUlS14_E_NS1_11comp_targetILNS1_3genE10ELNS1_11target_archE1200ELNS1_3gpuE4ELNS1_3repE0EEENS1_30default_config_static_selectorELNS0_4arch9wavefront6targetE1EEEvT1_,@function
_ZN7rocprim17ROCPRIM_400000_NS6detail17trampoline_kernelINS0_14default_configENS1_25partition_config_selectorILNS1_17partition_subalgoE0EtNS0_10empty_typeEbEEZZNS1_14partition_implILS5_0ELb0ES3_jN6thrust23THRUST_200600_302600_NS6detail15normal_iteratorINSA_10device_ptrItEEEEPS6_SG_NS0_5tupleIJNSA_16discard_iteratorINSA_11use_defaultEEESF_EEENSH_IJSG_SG_EEES6_PlJ7is_evenItEEEE10hipError_tPvRmT3_T4_T5_T6_T7_T9_mT8_P12ihipStream_tbDpT10_ENKUlT_T0_E_clISt17integral_constantIbLb0EES19_EEDaS14_S15_EUlS14_E_NS1_11comp_targetILNS1_3genE10ELNS1_11target_archE1200ELNS1_3gpuE4ELNS1_3repE0EEENS1_30default_config_static_selectorELNS0_4arch9wavefront6targetE1EEEvT1_: ; @_ZN7rocprim17ROCPRIM_400000_NS6detail17trampoline_kernelINS0_14default_configENS1_25partition_config_selectorILNS1_17partition_subalgoE0EtNS0_10empty_typeEbEEZZNS1_14partition_implILS5_0ELb0ES3_jN6thrust23THRUST_200600_302600_NS6detail15normal_iteratorINSA_10device_ptrItEEEEPS6_SG_NS0_5tupleIJNSA_16discard_iteratorINSA_11use_defaultEEESF_EEENSH_IJSG_SG_EEES6_PlJ7is_evenItEEEE10hipError_tPvRmT3_T4_T5_T6_T7_T9_mT8_P12ihipStream_tbDpT10_ENKUlT_T0_E_clISt17integral_constantIbLb0EES19_EEDaS14_S15_EUlS14_E_NS1_11comp_targetILNS1_3genE10ELNS1_11target_archE1200ELNS1_3gpuE4ELNS1_3repE0EEENS1_30default_config_static_selectorELNS0_4arch9wavefront6targetE1EEEvT1_
; %bb.0:
	.section	.rodata,"a",@progbits
	.p2align	6, 0x0
	.amdhsa_kernel _ZN7rocprim17ROCPRIM_400000_NS6detail17trampoline_kernelINS0_14default_configENS1_25partition_config_selectorILNS1_17partition_subalgoE0EtNS0_10empty_typeEbEEZZNS1_14partition_implILS5_0ELb0ES3_jN6thrust23THRUST_200600_302600_NS6detail15normal_iteratorINSA_10device_ptrItEEEEPS6_SG_NS0_5tupleIJNSA_16discard_iteratorINSA_11use_defaultEEESF_EEENSH_IJSG_SG_EEES6_PlJ7is_evenItEEEE10hipError_tPvRmT3_T4_T5_T6_T7_T9_mT8_P12ihipStream_tbDpT10_ENKUlT_T0_E_clISt17integral_constantIbLb0EES19_EEDaS14_S15_EUlS14_E_NS1_11comp_targetILNS1_3genE10ELNS1_11target_archE1200ELNS1_3gpuE4ELNS1_3repE0EEENS1_30default_config_static_selectorELNS0_4arch9wavefront6targetE1EEEvT1_
		.amdhsa_group_segment_fixed_size 0
		.amdhsa_private_segment_fixed_size 0
		.amdhsa_kernarg_size 128
		.amdhsa_user_sgpr_count 2
		.amdhsa_user_sgpr_dispatch_ptr 0
		.amdhsa_user_sgpr_queue_ptr 0
		.amdhsa_user_sgpr_kernarg_segment_ptr 1
		.amdhsa_user_sgpr_dispatch_id 0
		.amdhsa_user_sgpr_kernarg_preload_length 0
		.amdhsa_user_sgpr_kernarg_preload_offset 0
		.amdhsa_user_sgpr_private_segment_size 0
		.amdhsa_uses_dynamic_stack 0
		.amdhsa_enable_private_segment 0
		.amdhsa_system_sgpr_workgroup_id_x 1
		.amdhsa_system_sgpr_workgroup_id_y 0
		.amdhsa_system_sgpr_workgroup_id_z 0
		.amdhsa_system_sgpr_workgroup_info 0
		.amdhsa_system_vgpr_workitem_id 0
		.amdhsa_next_free_vgpr 1
		.amdhsa_next_free_sgpr 0
		.amdhsa_accum_offset 4
		.amdhsa_reserve_vcc 0
		.amdhsa_float_round_mode_32 0
		.amdhsa_float_round_mode_16_64 0
		.amdhsa_float_denorm_mode_32 3
		.amdhsa_float_denorm_mode_16_64 3
		.amdhsa_dx10_clamp 1
		.amdhsa_ieee_mode 1
		.amdhsa_fp16_overflow 0
		.amdhsa_tg_split 0
		.amdhsa_exception_fp_ieee_invalid_op 0
		.amdhsa_exception_fp_denorm_src 0
		.amdhsa_exception_fp_ieee_div_zero 0
		.amdhsa_exception_fp_ieee_overflow 0
		.amdhsa_exception_fp_ieee_underflow 0
		.amdhsa_exception_fp_ieee_inexact 0
		.amdhsa_exception_int_div_zero 0
	.end_amdhsa_kernel
	.section	.text._ZN7rocprim17ROCPRIM_400000_NS6detail17trampoline_kernelINS0_14default_configENS1_25partition_config_selectorILNS1_17partition_subalgoE0EtNS0_10empty_typeEbEEZZNS1_14partition_implILS5_0ELb0ES3_jN6thrust23THRUST_200600_302600_NS6detail15normal_iteratorINSA_10device_ptrItEEEEPS6_SG_NS0_5tupleIJNSA_16discard_iteratorINSA_11use_defaultEEESF_EEENSH_IJSG_SG_EEES6_PlJ7is_evenItEEEE10hipError_tPvRmT3_T4_T5_T6_T7_T9_mT8_P12ihipStream_tbDpT10_ENKUlT_T0_E_clISt17integral_constantIbLb0EES19_EEDaS14_S15_EUlS14_E_NS1_11comp_targetILNS1_3genE10ELNS1_11target_archE1200ELNS1_3gpuE4ELNS1_3repE0EEENS1_30default_config_static_selectorELNS0_4arch9wavefront6targetE1EEEvT1_,"axG",@progbits,_ZN7rocprim17ROCPRIM_400000_NS6detail17trampoline_kernelINS0_14default_configENS1_25partition_config_selectorILNS1_17partition_subalgoE0EtNS0_10empty_typeEbEEZZNS1_14partition_implILS5_0ELb0ES3_jN6thrust23THRUST_200600_302600_NS6detail15normal_iteratorINSA_10device_ptrItEEEEPS6_SG_NS0_5tupleIJNSA_16discard_iteratorINSA_11use_defaultEEESF_EEENSH_IJSG_SG_EEES6_PlJ7is_evenItEEEE10hipError_tPvRmT3_T4_T5_T6_T7_T9_mT8_P12ihipStream_tbDpT10_ENKUlT_T0_E_clISt17integral_constantIbLb0EES19_EEDaS14_S15_EUlS14_E_NS1_11comp_targetILNS1_3genE10ELNS1_11target_archE1200ELNS1_3gpuE4ELNS1_3repE0EEENS1_30default_config_static_selectorELNS0_4arch9wavefront6targetE1EEEvT1_,comdat
.Lfunc_end2560:
	.size	_ZN7rocprim17ROCPRIM_400000_NS6detail17trampoline_kernelINS0_14default_configENS1_25partition_config_selectorILNS1_17partition_subalgoE0EtNS0_10empty_typeEbEEZZNS1_14partition_implILS5_0ELb0ES3_jN6thrust23THRUST_200600_302600_NS6detail15normal_iteratorINSA_10device_ptrItEEEEPS6_SG_NS0_5tupleIJNSA_16discard_iteratorINSA_11use_defaultEEESF_EEENSH_IJSG_SG_EEES6_PlJ7is_evenItEEEE10hipError_tPvRmT3_T4_T5_T6_T7_T9_mT8_P12ihipStream_tbDpT10_ENKUlT_T0_E_clISt17integral_constantIbLb0EES19_EEDaS14_S15_EUlS14_E_NS1_11comp_targetILNS1_3genE10ELNS1_11target_archE1200ELNS1_3gpuE4ELNS1_3repE0EEENS1_30default_config_static_selectorELNS0_4arch9wavefront6targetE1EEEvT1_, .Lfunc_end2560-_ZN7rocprim17ROCPRIM_400000_NS6detail17trampoline_kernelINS0_14default_configENS1_25partition_config_selectorILNS1_17partition_subalgoE0EtNS0_10empty_typeEbEEZZNS1_14partition_implILS5_0ELb0ES3_jN6thrust23THRUST_200600_302600_NS6detail15normal_iteratorINSA_10device_ptrItEEEEPS6_SG_NS0_5tupleIJNSA_16discard_iteratorINSA_11use_defaultEEESF_EEENSH_IJSG_SG_EEES6_PlJ7is_evenItEEEE10hipError_tPvRmT3_T4_T5_T6_T7_T9_mT8_P12ihipStream_tbDpT10_ENKUlT_T0_E_clISt17integral_constantIbLb0EES19_EEDaS14_S15_EUlS14_E_NS1_11comp_targetILNS1_3genE10ELNS1_11target_archE1200ELNS1_3gpuE4ELNS1_3repE0EEENS1_30default_config_static_selectorELNS0_4arch9wavefront6targetE1EEEvT1_
                                        ; -- End function
	.section	.AMDGPU.csdata,"",@progbits
; Kernel info:
; codeLenInByte = 0
; NumSgprs: 6
; NumVgprs: 0
; NumAgprs: 0
; TotalNumVgprs: 0
; ScratchSize: 0
; MemoryBound: 0
; FloatMode: 240
; IeeeMode: 1
; LDSByteSize: 0 bytes/workgroup (compile time only)
; SGPRBlocks: 0
; VGPRBlocks: 0
; NumSGPRsForWavesPerEU: 6
; NumVGPRsForWavesPerEU: 1
; AccumOffset: 4
; Occupancy: 8
; WaveLimiterHint : 0
; COMPUTE_PGM_RSRC2:SCRATCH_EN: 0
; COMPUTE_PGM_RSRC2:USER_SGPR: 2
; COMPUTE_PGM_RSRC2:TRAP_HANDLER: 0
; COMPUTE_PGM_RSRC2:TGID_X_EN: 1
; COMPUTE_PGM_RSRC2:TGID_Y_EN: 0
; COMPUTE_PGM_RSRC2:TGID_Z_EN: 0
; COMPUTE_PGM_RSRC2:TIDIG_COMP_CNT: 0
; COMPUTE_PGM_RSRC3_GFX90A:ACCUM_OFFSET: 0
; COMPUTE_PGM_RSRC3_GFX90A:TG_SPLIT: 0
	.section	.text._ZN7rocprim17ROCPRIM_400000_NS6detail17trampoline_kernelINS0_14default_configENS1_25partition_config_selectorILNS1_17partition_subalgoE0EtNS0_10empty_typeEbEEZZNS1_14partition_implILS5_0ELb0ES3_jN6thrust23THRUST_200600_302600_NS6detail15normal_iteratorINSA_10device_ptrItEEEEPS6_SG_NS0_5tupleIJNSA_16discard_iteratorINSA_11use_defaultEEESF_EEENSH_IJSG_SG_EEES6_PlJ7is_evenItEEEE10hipError_tPvRmT3_T4_T5_T6_T7_T9_mT8_P12ihipStream_tbDpT10_ENKUlT_T0_E_clISt17integral_constantIbLb0EES19_EEDaS14_S15_EUlS14_E_NS1_11comp_targetILNS1_3genE9ELNS1_11target_archE1100ELNS1_3gpuE3ELNS1_3repE0EEENS1_30default_config_static_selectorELNS0_4arch9wavefront6targetE1EEEvT1_,"axG",@progbits,_ZN7rocprim17ROCPRIM_400000_NS6detail17trampoline_kernelINS0_14default_configENS1_25partition_config_selectorILNS1_17partition_subalgoE0EtNS0_10empty_typeEbEEZZNS1_14partition_implILS5_0ELb0ES3_jN6thrust23THRUST_200600_302600_NS6detail15normal_iteratorINSA_10device_ptrItEEEEPS6_SG_NS0_5tupleIJNSA_16discard_iteratorINSA_11use_defaultEEESF_EEENSH_IJSG_SG_EEES6_PlJ7is_evenItEEEE10hipError_tPvRmT3_T4_T5_T6_T7_T9_mT8_P12ihipStream_tbDpT10_ENKUlT_T0_E_clISt17integral_constantIbLb0EES19_EEDaS14_S15_EUlS14_E_NS1_11comp_targetILNS1_3genE9ELNS1_11target_archE1100ELNS1_3gpuE3ELNS1_3repE0EEENS1_30default_config_static_selectorELNS0_4arch9wavefront6targetE1EEEvT1_,comdat
	.protected	_ZN7rocprim17ROCPRIM_400000_NS6detail17trampoline_kernelINS0_14default_configENS1_25partition_config_selectorILNS1_17partition_subalgoE0EtNS0_10empty_typeEbEEZZNS1_14partition_implILS5_0ELb0ES3_jN6thrust23THRUST_200600_302600_NS6detail15normal_iteratorINSA_10device_ptrItEEEEPS6_SG_NS0_5tupleIJNSA_16discard_iteratorINSA_11use_defaultEEESF_EEENSH_IJSG_SG_EEES6_PlJ7is_evenItEEEE10hipError_tPvRmT3_T4_T5_T6_T7_T9_mT8_P12ihipStream_tbDpT10_ENKUlT_T0_E_clISt17integral_constantIbLb0EES19_EEDaS14_S15_EUlS14_E_NS1_11comp_targetILNS1_3genE9ELNS1_11target_archE1100ELNS1_3gpuE3ELNS1_3repE0EEENS1_30default_config_static_selectorELNS0_4arch9wavefront6targetE1EEEvT1_ ; -- Begin function _ZN7rocprim17ROCPRIM_400000_NS6detail17trampoline_kernelINS0_14default_configENS1_25partition_config_selectorILNS1_17partition_subalgoE0EtNS0_10empty_typeEbEEZZNS1_14partition_implILS5_0ELb0ES3_jN6thrust23THRUST_200600_302600_NS6detail15normal_iteratorINSA_10device_ptrItEEEEPS6_SG_NS0_5tupleIJNSA_16discard_iteratorINSA_11use_defaultEEESF_EEENSH_IJSG_SG_EEES6_PlJ7is_evenItEEEE10hipError_tPvRmT3_T4_T5_T6_T7_T9_mT8_P12ihipStream_tbDpT10_ENKUlT_T0_E_clISt17integral_constantIbLb0EES19_EEDaS14_S15_EUlS14_E_NS1_11comp_targetILNS1_3genE9ELNS1_11target_archE1100ELNS1_3gpuE3ELNS1_3repE0EEENS1_30default_config_static_selectorELNS0_4arch9wavefront6targetE1EEEvT1_
	.globl	_ZN7rocprim17ROCPRIM_400000_NS6detail17trampoline_kernelINS0_14default_configENS1_25partition_config_selectorILNS1_17partition_subalgoE0EtNS0_10empty_typeEbEEZZNS1_14partition_implILS5_0ELb0ES3_jN6thrust23THRUST_200600_302600_NS6detail15normal_iteratorINSA_10device_ptrItEEEEPS6_SG_NS0_5tupleIJNSA_16discard_iteratorINSA_11use_defaultEEESF_EEENSH_IJSG_SG_EEES6_PlJ7is_evenItEEEE10hipError_tPvRmT3_T4_T5_T6_T7_T9_mT8_P12ihipStream_tbDpT10_ENKUlT_T0_E_clISt17integral_constantIbLb0EES19_EEDaS14_S15_EUlS14_E_NS1_11comp_targetILNS1_3genE9ELNS1_11target_archE1100ELNS1_3gpuE3ELNS1_3repE0EEENS1_30default_config_static_selectorELNS0_4arch9wavefront6targetE1EEEvT1_
	.p2align	8
	.type	_ZN7rocprim17ROCPRIM_400000_NS6detail17trampoline_kernelINS0_14default_configENS1_25partition_config_selectorILNS1_17partition_subalgoE0EtNS0_10empty_typeEbEEZZNS1_14partition_implILS5_0ELb0ES3_jN6thrust23THRUST_200600_302600_NS6detail15normal_iteratorINSA_10device_ptrItEEEEPS6_SG_NS0_5tupleIJNSA_16discard_iteratorINSA_11use_defaultEEESF_EEENSH_IJSG_SG_EEES6_PlJ7is_evenItEEEE10hipError_tPvRmT3_T4_T5_T6_T7_T9_mT8_P12ihipStream_tbDpT10_ENKUlT_T0_E_clISt17integral_constantIbLb0EES19_EEDaS14_S15_EUlS14_E_NS1_11comp_targetILNS1_3genE9ELNS1_11target_archE1100ELNS1_3gpuE3ELNS1_3repE0EEENS1_30default_config_static_selectorELNS0_4arch9wavefront6targetE1EEEvT1_,@function
_ZN7rocprim17ROCPRIM_400000_NS6detail17trampoline_kernelINS0_14default_configENS1_25partition_config_selectorILNS1_17partition_subalgoE0EtNS0_10empty_typeEbEEZZNS1_14partition_implILS5_0ELb0ES3_jN6thrust23THRUST_200600_302600_NS6detail15normal_iteratorINSA_10device_ptrItEEEEPS6_SG_NS0_5tupleIJNSA_16discard_iteratorINSA_11use_defaultEEESF_EEENSH_IJSG_SG_EEES6_PlJ7is_evenItEEEE10hipError_tPvRmT3_T4_T5_T6_T7_T9_mT8_P12ihipStream_tbDpT10_ENKUlT_T0_E_clISt17integral_constantIbLb0EES19_EEDaS14_S15_EUlS14_E_NS1_11comp_targetILNS1_3genE9ELNS1_11target_archE1100ELNS1_3gpuE3ELNS1_3repE0EEENS1_30default_config_static_selectorELNS0_4arch9wavefront6targetE1EEEvT1_: ; @_ZN7rocprim17ROCPRIM_400000_NS6detail17trampoline_kernelINS0_14default_configENS1_25partition_config_selectorILNS1_17partition_subalgoE0EtNS0_10empty_typeEbEEZZNS1_14partition_implILS5_0ELb0ES3_jN6thrust23THRUST_200600_302600_NS6detail15normal_iteratorINSA_10device_ptrItEEEEPS6_SG_NS0_5tupleIJNSA_16discard_iteratorINSA_11use_defaultEEESF_EEENSH_IJSG_SG_EEES6_PlJ7is_evenItEEEE10hipError_tPvRmT3_T4_T5_T6_T7_T9_mT8_P12ihipStream_tbDpT10_ENKUlT_T0_E_clISt17integral_constantIbLb0EES19_EEDaS14_S15_EUlS14_E_NS1_11comp_targetILNS1_3genE9ELNS1_11target_archE1100ELNS1_3gpuE3ELNS1_3repE0EEENS1_30default_config_static_selectorELNS0_4arch9wavefront6targetE1EEEvT1_
; %bb.0:
	.section	.rodata,"a",@progbits
	.p2align	6, 0x0
	.amdhsa_kernel _ZN7rocprim17ROCPRIM_400000_NS6detail17trampoline_kernelINS0_14default_configENS1_25partition_config_selectorILNS1_17partition_subalgoE0EtNS0_10empty_typeEbEEZZNS1_14partition_implILS5_0ELb0ES3_jN6thrust23THRUST_200600_302600_NS6detail15normal_iteratorINSA_10device_ptrItEEEEPS6_SG_NS0_5tupleIJNSA_16discard_iteratorINSA_11use_defaultEEESF_EEENSH_IJSG_SG_EEES6_PlJ7is_evenItEEEE10hipError_tPvRmT3_T4_T5_T6_T7_T9_mT8_P12ihipStream_tbDpT10_ENKUlT_T0_E_clISt17integral_constantIbLb0EES19_EEDaS14_S15_EUlS14_E_NS1_11comp_targetILNS1_3genE9ELNS1_11target_archE1100ELNS1_3gpuE3ELNS1_3repE0EEENS1_30default_config_static_selectorELNS0_4arch9wavefront6targetE1EEEvT1_
		.amdhsa_group_segment_fixed_size 0
		.amdhsa_private_segment_fixed_size 0
		.amdhsa_kernarg_size 128
		.amdhsa_user_sgpr_count 2
		.amdhsa_user_sgpr_dispatch_ptr 0
		.amdhsa_user_sgpr_queue_ptr 0
		.amdhsa_user_sgpr_kernarg_segment_ptr 1
		.amdhsa_user_sgpr_dispatch_id 0
		.amdhsa_user_sgpr_kernarg_preload_length 0
		.amdhsa_user_sgpr_kernarg_preload_offset 0
		.amdhsa_user_sgpr_private_segment_size 0
		.amdhsa_uses_dynamic_stack 0
		.amdhsa_enable_private_segment 0
		.amdhsa_system_sgpr_workgroup_id_x 1
		.amdhsa_system_sgpr_workgroup_id_y 0
		.amdhsa_system_sgpr_workgroup_id_z 0
		.amdhsa_system_sgpr_workgroup_info 0
		.amdhsa_system_vgpr_workitem_id 0
		.amdhsa_next_free_vgpr 1
		.amdhsa_next_free_sgpr 0
		.amdhsa_accum_offset 4
		.amdhsa_reserve_vcc 0
		.amdhsa_float_round_mode_32 0
		.amdhsa_float_round_mode_16_64 0
		.amdhsa_float_denorm_mode_32 3
		.amdhsa_float_denorm_mode_16_64 3
		.amdhsa_dx10_clamp 1
		.amdhsa_ieee_mode 1
		.amdhsa_fp16_overflow 0
		.amdhsa_tg_split 0
		.amdhsa_exception_fp_ieee_invalid_op 0
		.amdhsa_exception_fp_denorm_src 0
		.amdhsa_exception_fp_ieee_div_zero 0
		.amdhsa_exception_fp_ieee_overflow 0
		.amdhsa_exception_fp_ieee_underflow 0
		.amdhsa_exception_fp_ieee_inexact 0
		.amdhsa_exception_int_div_zero 0
	.end_amdhsa_kernel
	.section	.text._ZN7rocprim17ROCPRIM_400000_NS6detail17trampoline_kernelINS0_14default_configENS1_25partition_config_selectorILNS1_17partition_subalgoE0EtNS0_10empty_typeEbEEZZNS1_14partition_implILS5_0ELb0ES3_jN6thrust23THRUST_200600_302600_NS6detail15normal_iteratorINSA_10device_ptrItEEEEPS6_SG_NS0_5tupleIJNSA_16discard_iteratorINSA_11use_defaultEEESF_EEENSH_IJSG_SG_EEES6_PlJ7is_evenItEEEE10hipError_tPvRmT3_T4_T5_T6_T7_T9_mT8_P12ihipStream_tbDpT10_ENKUlT_T0_E_clISt17integral_constantIbLb0EES19_EEDaS14_S15_EUlS14_E_NS1_11comp_targetILNS1_3genE9ELNS1_11target_archE1100ELNS1_3gpuE3ELNS1_3repE0EEENS1_30default_config_static_selectorELNS0_4arch9wavefront6targetE1EEEvT1_,"axG",@progbits,_ZN7rocprim17ROCPRIM_400000_NS6detail17trampoline_kernelINS0_14default_configENS1_25partition_config_selectorILNS1_17partition_subalgoE0EtNS0_10empty_typeEbEEZZNS1_14partition_implILS5_0ELb0ES3_jN6thrust23THRUST_200600_302600_NS6detail15normal_iteratorINSA_10device_ptrItEEEEPS6_SG_NS0_5tupleIJNSA_16discard_iteratorINSA_11use_defaultEEESF_EEENSH_IJSG_SG_EEES6_PlJ7is_evenItEEEE10hipError_tPvRmT3_T4_T5_T6_T7_T9_mT8_P12ihipStream_tbDpT10_ENKUlT_T0_E_clISt17integral_constantIbLb0EES19_EEDaS14_S15_EUlS14_E_NS1_11comp_targetILNS1_3genE9ELNS1_11target_archE1100ELNS1_3gpuE3ELNS1_3repE0EEENS1_30default_config_static_selectorELNS0_4arch9wavefront6targetE1EEEvT1_,comdat
.Lfunc_end2561:
	.size	_ZN7rocprim17ROCPRIM_400000_NS6detail17trampoline_kernelINS0_14default_configENS1_25partition_config_selectorILNS1_17partition_subalgoE0EtNS0_10empty_typeEbEEZZNS1_14partition_implILS5_0ELb0ES3_jN6thrust23THRUST_200600_302600_NS6detail15normal_iteratorINSA_10device_ptrItEEEEPS6_SG_NS0_5tupleIJNSA_16discard_iteratorINSA_11use_defaultEEESF_EEENSH_IJSG_SG_EEES6_PlJ7is_evenItEEEE10hipError_tPvRmT3_T4_T5_T6_T7_T9_mT8_P12ihipStream_tbDpT10_ENKUlT_T0_E_clISt17integral_constantIbLb0EES19_EEDaS14_S15_EUlS14_E_NS1_11comp_targetILNS1_3genE9ELNS1_11target_archE1100ELNS1_3gpuE3ELNS1_3repE0EEENS1_30default_config_static_selectorELNS0_4arch9wavefront6targetE1EEEvT1_, .Lfunc_end2561-_ZN7rocprim17ROCPRIM_400000_NS6detail17trampoline_kernelINS0_14default_configENS1_25partition_config_selectorILNS1_17partition_subalgoE0EtNS0_10empty_typeEbEEZZNS1_14partition_implILS5_0ELb0ES3_jN6thrust23THRUST_200600_302600_NS6detail15normal_iteratorINSA_10device_ptrItEEEEPS6_SG_NS0_5tupleIJNSA_16discard_iteratorINSA_11use_defaultEEESF_EEENSH_IJSG_SG_EEES6_PlJ7is_evenItEEEE10hipError_tPvRmT3_T4_T5_T6_T7_T9_mT8_P12ihipStream_tbDpT10_ENKUlT_T0_E_clISt17integral_constantIbLb0EES19_EEDaS14_S15_EUlS14_E_NS1_11comp_targetILNS1_3genE9ELNS1_11target_archE1100ELNS1_3gpuE3ELNS1_3repE0EEENS1_30default_config_static_selectorELNS0_4arch9wavefront6targetE1EEEvT1_
                                        ; -- End function
	.section	.AMDGPU.csdata,"",@progbits
; Kernel info:
; codeLenInByte = 0
; NumSgprs: 6
; NumVgprs: 0
; NumAgprs: 0
; TotalNumVgprs: 0
; ScratchSize: 0
; MemoryBound: 0
; FloatMode: 240
; IeeeMode: 1
; LDSByteSize: 0 bytes/workgroup (compile time only)
; SGPRBlocks: 0
; VGPRBlocks: 0
; NumSGPRsForWavesPerEU: 6
; NumVGPRsForWavesPerEU: 1
; AccumOffset: 4
; Occupancy: 8
; WaveLimiterHint : 0
; COMPUTE_PGM_RSRC2:SCRATCH_EN: 0
; COMPUTE_PGM_RSRC2:USER_SGPR: 2
; COMPUTE_PGM_RSRC2:TRAP_HANDLER: 0
; COMPUTE_PGM_RSRC2:TGID_X_EN: 1
; COMPUTE_PGM_RSRC2:TGID_Y_EN: 0
; COMPUTE_PGM_RSRC2:TGID_Z_EN: 0
; COMPUTE_PGM_RSRC2:TIDIG_COMP_CNT: 0
; COMPUTE_PGM_RSRC3_GFX90A:ACCUM_OFFSET: 0
; COMPUTE_PGM_RSRC3_GFX90A:TG_SPLIT: 0
	.section	.text._ZN7rocprim17ROCPRIM_400000_NS6detail17trampoline_kernelINS0_14default_configENS1_25partition_config_selectorILNS1_17partition_subalgoE0EtNS0_10empty_typeEbEEZZNS1_14partition_implILS5_0ELb0ES3_jN6thrust23THRUST_200600_302600_NS6detail15normal_iteratorINSA_10device_ptrItEEEEPS6_SG_NS0_5tupleIJNSA_16discard_iteratorINSA_11use_defaultEEESF_EEENSH_IJSG_SG_EEES6_PlJ7is_evenItEEEE10hipError_tPvRmT3_T4_T5_T6_T7_T9_mT8_P12ihipStream_tbDpT10_ENKUlT_T0_E_clISt17integral_constantIbLb0EES19_EEDaS14_S15_EUlS14_E_NS1_11comp_targetILNS1_3genE8ELNS1_11target_archE1030ELNS1_3gpuE2ELNS1_3repE0EEENS1_30default_config_static_selectorELNS0_4arch9wavefront6targetE1EEEvT1_,"axG",@progbits,_ZN7rocprim17ROCPRIM_400000_NS6detail17trampoline_kernelINS0_14default_configENS1_25partition_config_selectorILNS1_17partition_subalgoE0EtNS0_10empty_typeEbEEZZNS1_14partition_implILS5_0ELb0ES3_jN6thrust23THRUST_200600_302600_NS6detail15normal_iteratorINSA_10device_ptrItEEEEPS6_SG_NS0_5tupleIJNSA_16discard_iteratorINSA_11use_defaultEEESF_EEENSH_IJSG_SG_EEES6_PlJ7is_evenItEEEE10hipError_tPvRmT3_T4_T5_T6_T7_T9_mT8_P12ihipStream_tbDpT10_ENKUlT_T0_E_clISt17integral_constantIbLb0EES19_EEDaS14_S15_EUlS14_E_NS1_11comp_targetILNS1_3genE8ELNS1_11target_archE1030ELNS1_3gpuE2ELNS1_3repE0EEENS1_30default_config_static_selectorELNS0_4arch9wavefront6targetE1EEEvT1_,comdat
	.protected	_ZN7rocprim17ROCPRIM_400000_NS6detail17trampoline_kernelINS0_14default_configENS1_25partition_config_selectorILNS1_17partition_subalgoE0EtNS0_10empty_typeEbEEZZNS1_14partition_implILS5_0ELb0ES3_jN6thrust23THRUST_200600_302600_NS6detail15normal_iteratorINSA_10device_ptrItEEEEPS6_SG_NS0_5tupleIJNSA_16discard_iteratorINSA_11use_defaultEEESF_EEENSH_IJSG_SG_EEES6_PlJ7is_evenItEEEE10hipError_tPvRmT3_T4_T5_T6_T7_T9_mT8_P12ihipStream_tbDpT10_ENKUlT_T0_E_clISt17integral_constantIbLb0EES19_EEDaS14_S15_EUlS14_E_NS1_11comp_targetILNS1_3genE8ELNS1_11target_archE1030ELNS1_3gpuE2ELNS1_3repE0EEENS1_30default_config_static_selectorELNS0_4arch9wavefront6targetE1EEEvT1_ ; -- Begin function _ZN7rocprim17ROCPRIM_400000_NS6detail17trampoline_kernelINS0_14default_configENS1_25partition_config_selectorILNS1_17partition_subalgoE0EtNS0_10empty_typeEbEEZZNS1_14partition_implILS5_0ELb0ES3_jN6thrust23THRUST_200600_302600_NS6detail15normal_iteratorINSA_10device_ptrItEEEEPS6_SG_NS0_5tupleIJNSA_16discard_iteratorINSA_11use_defaultEEESF_EEENSH_IJSG_SG_EEES6_PlJ7is_evenItEEEE10hipError_tPvRmT3_T4_T5_T6_T7_T9_mT8_P12ihipStream_tbDpT10_ENKUlT_T0_E_clISt17integral_constantIbLb0EES19_EEDaS14_S15_EUlS14_E_NS1_11comp_targetILNS1_3genE8ELNS1_11target_archE1030ELNS1_3gpuE2ELNS1_3repE0EEENS1_30default_config_static_selectorELNS0_4arch9wavefront6targetE1EEEvT1_
	.globl	_ZN7rocprim17ROCPRIM_400000_NS6detail17trampoline_kernelINS0_14default_configENS1_25partition_config_selectorILNS1_17partition_subalgoE0EtNS0_10empty_typeEbEEZZNS1_14partition_implILS5_0ELb0ES3_jN6thrust23THRUST_200600_302600_NS6detail15normal_iteratorINSA_10device_ptrItEEEEPS6_SG_NS0_5tupleIJNSA_16discard_iteratorINSA_11use_defaultEEESF_EEENSH_IJSG_SG_EEES6_PlJ7is_evenItEEEE10hipError_tPvRmT3_T4_T5_T6_T7_T9_mT8_P12ihipStream_tbDpT10_ENKUlT_T0_E_clISt17integral_constantIbLb0EES19_EEDaS14_S15_EUlS14_E_NS1_11comp_targetILNS1_3genE8ELNS1_11target_archE1030ELNS1_3gpuE2ELNS1_3repE0EEENS1_30default_config_static_selectorELNS0_4arch9wavefront6targetE1EEEvT1_
	.p2align	8
	.type	_ZN7rocprim17ROCPRIM_400000_NS6detail17trampoline_kernelINS0_14default_configENS1_25partition_config_selectorILNS1_17partition_subalgoE0EtNS0_10empty_typeEbEEZZNS1_14partition_implILS5_0ELb0ES3_jN6thrust23THRUST_200600_302600_NS6detail15normal_iteratorINSA_10device_ptrItEEEEPS6_SG_NS0_5tupleIJNSA_16discard_iteratorINSA_11use_defaultEEESF_EEENSH_IJSG_SG_EEES6_PlJ7is_evenItEEEE10hipError_tPvRmT3_T4_T5_T6_T7_T9_mT8_P12ihipStream_tbDpT10_ENKUlT_T0_E_clISt17integral_constantIbLb0EES19_EEDaS14_S15_EUlS14_E_NS1_11comp_targetILNS1_3genE8ELNS1_11target_archE1030ELNS1_3gpuE2ELNS1_3repE0EEENS1_30default_config_static_selectorELNS0_4arch9wavefront6targetE1EEEvT1_,@function
_ZN7rocprim17ROCPRIM_400000_NS6detail17trampoline_kernelINS0_14default_configENS1_25partition_config_selectorILNS1_17partition_subalgoE0EtNS0_10empty_typeEbEEZZNS1_14partition_implILS5_0ELb0ES3_jN6thrust23THRUST_200600_302600_NS6detail15normal_iteratorINSA_10device_ptrItEEEEPS6_SG_NS0_5tupleIJNSA_16discard_iteratorINSA_11use_defaultEEESF_EEENSH_IJSG_SG_EEES6_PlJ7is_evenItEEEE10hipError_tPvRmT3_T4_T5_T6_T7_T9_mT8_P12ihipStream_tbDpT10_ENKUlT_T0_E_clISt17integral_constantIbLb0EES19_EEDaS14_S15_EUlS14_E_NS1_11comp_targetILNS1_3genE8ELNS1_11target_archE1030ELNS1_3gpuE2ELNS1_3repE0EEENS1_30default_config_static_selectorELNS0_4arch9wavefront6targetE1EEEvT1_: ; @_ZN7rocprim17ROCPRIM_400000_NS6detail17trampoline_kernelINS0_14default_configENS1_25partition_config_selectorILNS1_17partition_subalgoE0EtNS0_10empty_typeEbEEZZNS1_14partition_implILS5_0ELb0ES3_jN6thrust23THRUST_200600_302600_NS6detail15normal_iteratorINSA_10device_ptrItEEEEPS6_SG_NS0_5tupleIJNSA_16discard_iteratorINSA_11use_defaultEEESF_EEENSH_IJSG_SG_EEES6_PlJ7is_evenItEEEE10hipError_tPvRmT3_T4_T5_T6_T7_T9_mT8_P12ihipStream_tbDpT10_ENKUlT_T0_E_clISt17integral_constantIbLb0EES19_EEDaS14_S15_EUlS14_E_NS1_11comp_targetILNS1_3genE8ELNS1_11target_archE1030ELNS1_3gpuE2ELNS1_3repE0EEENS1_30default_config_static_selectorELNS0_4arch9wavefront6targetE1EEEvT1_
; %bb.0:
	.section	.rodata,"a",@progbits
	.p2align	6, 0x0
	.amdhsa_kernel _ZN7rocprim17ROCPRIM_400000_NS6detail17trampoline_kernelINS0_14default_configENS1_25partition_config_selectorILNS1_17partition_subalgoE0EtNS0_10empty_typeEbEEZZNS1_14partition_implILS5_0ELb0ES3_jN6thrust23THRUST_200600_302600_NS6detail15normal_iteratorINSA_10device_ptrItEEEEPS6_SG_NS0_5tupleIJNSA_16discard_iteratorINSA_11use_defaultEEESF_EEENSH_IJSG_SG_EEES6_PlJ7is_evenItEEEE10hipError_tPvRmT3_T4_T5_T6_T7_T9_mT8_P12ihipStream_tbDpT10_ENKUlT_T0_E_clISt17integral_constantIbLb0EES19_EEDaS14_S15_EUlS14_E_NS1_11comp_targetILNS1_3genE8ELNS1_11target_archE1030ELNS1_3gpuE2ELNS1_3repE0EEENS1_30default_config_static_selectorELNS0_4arch9wavefront6targetE1EEEvT1_
		.amdhsa_group_segment_fixed_size 0
		.amdhsa_private_segment_fixed_size 0
		.amdhsa_kernarg_size 128
		.amdhsa_user_sgpr_count 2
		.amdhsa_user_sgpr_dispatch_ptr 0
		.amdhsa_user_sgpr_queue_ptr 0
		.amdhsa_user_sgpr_kernarg_segment_ptr 1
		.amdhsa_user_sgpr_dispatch_id 0
		.amdhsa_user_sgpr_kernarg_preload_length 0
		.amdhsa_user_sgpr_kernarg_preload_offset 0
		.amdhsa_user_sgpr_private_segment_size 0
		.amdhsa_uses_dynamic_stack 0
		.amdhsa_enable_private_segment 0
		.amdhsa_system_sgpr_workgroup_id_x 1
		.amdhsa_system_sgpr_workgroup_id_y 0
		.amdhsa_system_sgpr_workgroup_id_z 0
		.amdhsa_system_sgpr_workgroup_info 0
		.amdhsa_system_vgpr_workitem_id 0
		.amdhsa_next_free_vgpr 1
		.amdhsa_next_free_sgpr 0
		.amdhsa_accum_offset 4
		.amdhsa_reserve_vcc 0
		.amdhsa_float_round_mode_32 0
		.amdhsa_float_round_mode_16_64 0
		.amdhsa_float_denorm_mode_32 3
		.amdhsa_float_denorm_mode_16_64 3
		.amdhsa_dx10_clamp 1
		.amdhsa_ieee_mode 1
		.amdhsa_fp16_overflow 0
		.amdhsa_tg_split 0
		.amdhsa_exception_fp_ieee_invalid_op 0
		.amdhsa_exception_fp_denorm_src 0
		.amdhsa_exception_fp_ieee_div_zero 0
		.amdhsa_exception_fp_ieee_overflow 0
		.amdhsa_exception_fp_ieee_underflow 0
		.amdhsa_exception_fp_ieee_inexact 0
		.amdhsa_exception_int_div_zero 0
	.end_amdhsa_kernel
	.section	.text._ZN7rocprim17ROCPRIM_400000_NS6detail17trampoline_kernelINS0_14default_configENS1_25partition_config_selectorILNS1_17partition_subalgoE0EtNS0_10empty_typeEbEEZZNS1_14partition_implILS5_0ELb0ES3_jN6thrust23THRUST_200600_302600_NS6detail15normal_iteratorINSA_10device_ptrItEEEEPS6_SG_NS0_5tupleIJNSA_16discard_iteratorINSA_11use_defaultEEESF_EEENSH_IJSG_SG_EEES6_PlJ7is_evenItEEEE10hipError_tPvRmT3_T4_T5_T6_T7_T9_mT8_P12ihipStream_tbDpT10_ENKUlT_T0_E_clISt17integral_constantIbLb0EES19_EEDaS14_S15_EUlS14_E_NS1_11comp_targetILNS1_3genE8ELNS1_11target_archE1030ELNS1_3gpuE2ELNS1_3repE0EEENS1_30default_config_static_selectorELNS0_4arch9wavefront6targetE1EEEvT1_,"axG",@progbits,_ZN7rocprim17ROCPRIM_400000_NS6detail17trampoline_kernelINS0_14default_configENS1_25partition_config_selectorILNS1_17partition_subalgoE0EtNS0_10empty_typeEbEEZZNS1_14partition_implILS5_0ELb0ES3_jN6thrust23THRUST_200600_302600_NS6detail15normal_iteratorINSA_10device_ptrItEEEEPS6_SG_NS0_5tupleIJNSA_16discard_iteratorINSA_11use_defaultEEESF_EEENSH_IJSG_SG_EEES6_PlJ7is_evenItEEEE10hipError_tPvRmT3_T4_T5_T6_T7_T9_mT8_P12ihipStream_tbDpT10_ENKUlT_T0_E_clISt17integral_constantIbLb0EES19_EEDaS14_S15_EUlS14_E_NS1_11comp_targetILNS1_3genE8ELNS1_11target_archE1030ELNS1_3gpuE2ELNS1_3repE0EEENS1_30default_config_static_selectorELNS0_4arch9wavefront6targetE1EEEvT1_,comdat
.Lfunc_end2562:
	.size	_ZN7rocprim17ROCPRIM_400000_NS6detail17trampoline_kernelINS0_14default_configENS1_25partition_config_selectorILNS1_17partition_subalgoE0EtNS0_10empty_typeEbEEZZNS1_14partition_implILS5_0ELb0ES3_jN6thrust23THRUST_200600_302600_NS6detail15normal_iteratorINSA_10device_ptrItEEEEPS6_SG_NS0_5tupleIJNSA_16discard_iteratorINSA_11use_defaultEEESF_EEENSH_IJSG_SG_EEES6_PlJ7is_evenItEEEE10hipError_tPvRmT3_T4_T5_T6_T7_T9_mT8_P12ihipStream_tbDpT10_ENKUlT_T0_E_clISt17integral_constantIbLb0EES19_EEDaS14_S15_EUlS14_E_NS1_11comp_targetILNS1_3genE8ELNS1_11target_archE1030ELNS1_3gpuE2ELNS1_3repE0EEENS1_30default_config_static_selectorELNS0_4arch9wavefront6targetE1EEEvT1_, .Lfunc_end2562-_ZN7rocprim17ROCPRIM_400000_NS6detail17trampoline_kernelINS0_14default_configENS1_25partition_config_selectorILNS1_17partition_subalgoE0EtNS0_10empty_typeEbEEZZNS1_14partition_implILS5_0ELb0ES3_jN6thrust23THRUST_200600_302600_NS6detail15normal_iteratorINSA_10device_ptrItEEEEPS6_SG_NS0_5tupleIJNSA_16discard_iteratorINSA_11use_defaultEEESF_EEENSH_IJSG_SG_EEES6_PlJ7is_evenItEEEE10hipError_tPvRmT3_T4_T5_T6_T7_T9_mT8_P12ihipStream_tbDpT10_ENKUlT_T0_E_clISt17integral_constantIbLb0EES19_EEDaS14_S15_EUlS14_E_NS1_11comp_targetILNS1_3genE8ELNS1_11target_archE1030ELNS1_3gpuE2ELNS1_3repE0EEENS1_30default_config_static_selectorELNS0_4arch9wavefront6targetE1EEEvT1_
                                        ; -- End function
	.section	.AMDGPU.csdata,"",@progbits
; Kernel info:
; codeLenInByte = 0
; NumSgprs: 6
; NumVgprs: 0
; NumAgprs: 0
; TotalNumVgprs: 0
; ScratchSize: 0
; MemoryBound: 0
; FloatMode: 240
; IeeeMode: 1
; LDSByteSize: 0 bytes/workgroup (compile time only)
; SGPRBlocks: 0
; VGPRBlocks: 0
; NumSGPRsForWavesPerEU: 6
; NumVGPRsForWavesPerEU: 1
; AccumOffset: 4
; Occupancy: 8
; WaveLimiterHint : 0
; COMPUTE_PGM_RSRC2:SCRATCH_EN: 0
; COMPUTE_PGM_RSRC2:USER_SGPR: 2
; COMPUTE_PGM_RSRC2:TRAP_HANDLER: 0
; COMPUTE_PGM_RSRC2:TGID_X_EN: 1
; COMPUTE_PGM_RSRC2:TGID_Y_EN: 0
; COMPUTE_PGM_RSRC2:TGID_Z_EN: 0
; COMPUTE_PGM_RSRC2:TIDIG_COMP_CNT: 0
; COMPUTE_PGM_RSRC3_GFX90A:ACCUM_OFFSET: 0
; COMPUTE_PGM_RSRC3_GFX90A:TG_SPLIT: 0
	.section	.text._ZN7rocprim17ROCPRIM_400000_NS6detail17trampoline_kernelINS0_14default_configENS1_25partition_config_selectorILNS1_17partition_subalgoE0EtNS0_10empty_typeEbEEZZNS1_14partition_implILS5_0ELb0ES3_jN6thrust23THRUST_200600_302600_NS6detail15normal_iteratorINSA_10device_ptrItEEEEPS6_SG_NS0_5tupleIJNSA_16discard_iteratorINSA_11use_defaultEEESF_EEENSH_IJSG_SG_EEES6_PlJ7is_evenItEEEE10hipError_tPvRmT3_T4_T5_T6_T7_T9_mT8_P12ihipStream_tbDpT10_ENKUlT_T0_E_clISt17integral_constantIbLb1EES19_EEDaS14_S15_EUlS14_E_NS1_11comp_targetILNS1_3genE0ELNS1_11target_archE4294967295ELNS1_3gpuE0ELNS1_3repE0EEENS1_30default_config_static_selectorELNS0_4arch9wavefront6targetE1EEEvT1_,"axG",@progbits,_ZN7rocprim17ROCPRIM_400000_NS6detail17trampoline_kernelINS0_14default_configENS1_25partition_config_selectorILNS1_17partition_subalgoE0EtNS0_10empty_typeEbEEZZNS1_14partition_implILS5_0ELb0ES3_jN6thrust23THRUST_200600_302600_NS6detail15normal_iteratorINSA_10device_ptrItEEEEPS6_SG_NS0_5tupleIJNSA_16discard_iteratorINSA_11use_defaultEEESF_EEENSH_IJSG_SG_EEES6_PlJ7is_evenItEEEE10hipError_tPvRmT3_T4_T5_T6_T7_T9_mT8_P12ihipStream_tbDpT10_ENKUlT_T0_E_clISt17integral_constantIbLb1EES19_EEDaS14_S15_EUlS14_E_NS1_11comp_targetILNS1_3genE0ELNS1_11target_archE4294967295ELNS1_3gpuE0ELNS1_3repE0EEENS1_30default_config_static_selectorELNS0_4arch9wavefront6targetE1EEEvT1_,comdat
	.protected	_ZN7rocprim17ROCPRIM_400000_NS6detail17trampoline_kernelINS0_14default_configENS1_25partition_config_selectorILNS1_17partition_subalgoE0EtNS0_10empty_typeEbEEZZNS1_14partition_implILS5_0ELb0ES3_jN6thrust23THRUST_200600_302600_NS6detail15normal_iteratorINSA_10device_ptrItEEEEPS6_SG_NS0_5tupleIJNSA_16discard_iteratorINSA_11use_defaultEEESF_EEENSH_IJSG_SG_EEES6_PlJ7is_evenItEEEE10hipError_tPvRmT3_T4_T5_T6_T7_T9_mT8_P12ihipStream_tbDpT10_ENKUlT_T0_E_clISt17integral_constantIbLb1EES19_EEDaS14_S15_EUlS14_E_NS1_11comp_targetILNS1_3genE0ELNS1_11target_archE4294967295ELNS1_3gpuE0ELNS1_3repE0EEENS1_30default_config_static_selectorELNS0_4arch9wavefront6targetE1EEEvT1_ ; -- Begin function _ZN7rocprim17ROCPRIM_400000_NS6detail17trampoline_kernelINS0_14default_configENS1_25partition_config_selectorILNS1_17partition_subalgoE0EtNS0_10empty_typeEbEEZZNS1_14partition_implILS5_0ELb0ES3_jN6thrust23THRUST_200600_302600_NS6detail15normal_iteratorINSA_10device_ptrItEEEEPS6_SG_NS0_5tupleIJNSA_16discard_iteratorINSA_11use_defaultEEESF_EEENSH_IJSG_SG_EEES6_PlJ7is_evenItEEEE10hipError_tPvRmT3_T4_T5_T6_T7_T9_mT8_P12ihipStream_tbDpT10_ENKUlT_T0_E_clISt17integral_constantIbLb1EES19_EEDaS14_S15_EUlS14_E_NS1_11comp_targetILNS1_3genE0ELNS1_11target_archE4294967295ELNS1_3gpuE0ELNS1_3repE0EEENS1_30default_config_static_selectorELNS0_4arch9wavefront6targetE1EEEvT1_
	.globl	_ZN7rocprim17ROCPRIM_400000_NS6detail17trampoline_kernelINS0_14default_configENS1_25partition_config_selectorILNS1_17partition_subalgoE0EtNS0_10empty_typeEbEEZZNS1_14partition_implILS5_0ELb0ES3_jN6thrust23THRUST_200600_302600_NS6detail15normal_iteratorINSA_10device_ptrItEEEEPS6_SG_NS0_5tupleIJNSA_16discard_iteratorINSA_11use_defaultEEESF_EEENSH_IJSG_SG_EEES6_PlJ7is_evenItEEEE10hipError_tPvRmT3_T4_T5_T6_T7_T9_mT8_P12ihipStream_tbDpT10_ENKUlT_T0_E_clISt17integral_constantIbLb1EES19_EEDaS14_S15_EUlS14_E_NS1_11comp_targetILNS1_3genE0ELNS1_11target_archE4294967295ELNS1_3gpuE0ELNS1_3repE0EEENS1_30default_config_static_selectorELNS0_4arch9wavefront6targetE1EEEvT1_
	.p2align	8
	.type	_ZN7rocprim17ROCPRIM_400000_NS6detail17trampoline_kernelINS0_14default_configENS1_25partition_config_selectorILNS1_17partition_subalgoE0EtNS0_10empty_typeEbEEZZNS1_14partition_implILS5_0ELb0ES3_jN6thrust23THRUST_200600_302600_NS6detail15normal_iteratorINSA_10device_ptrItEEEEPS6_SG_NS0_5tupleIJNSA_16discard_iteratorINSA_11use_defaultEEESF_EEENSH_IJSG_SG_EEES6_PlJ7is_evenItEEEE10hipError_tPvRmT3_T4_T5_T6_T7_T9_mT8_P12ihipStream_tbDpT10_ENKUlT_T0_E_clISt17integral_constantIbLb1EES19_EEDaS14_S15_EUlS14_E_NS1_11comp_targetILNS1_3genE0ELNS1_11target_archE4294967295ELNS1_3gpuE0ELNS1_3repE0EEENS1_30default_config_static_selectorELNS0_4arch9wavefront6targetE1EEEvT1_,@function
_ZN7rocprim17ROCPRIM_400000_NS6detail17trampoline_kernelINS0_14default_configENS1_25partition_config_selectorILNS1_17partition_subalgoE0EtNS0_10empty_typeEbEEZZNS1_14partition_implILS5_0ELb0ES3_jN6thrust23THRUST_200600_302600_NS6detail15normal_iteratorINSA_10device_ptrItEEEEPS6_SG_NS0_5tupleIJNSA_16discard_iteratorINSA_11use_defaultEEESF_EEENSH_IJSG_SG_EEES6_PlJ7is_evenItEEEE10hipError_tPvRmT3_T4_T5_T6_T7_T9_mT8_P12ihipStream_tbDpT10_ENKUlT_T0_E_clISt17integral_constantIbLb1EES19_EEDaS14_S15_EUlS14_E_NS1_11comp_targetILNS1_3genE0ELNS1_11target_archE4294967295ELNS1_3gpuE0ELNS1_3repE0EEENS1_30default_config_static_selectorELNS0_4arch9wavefront6targetE1EEEvT1_: ; @_ZN7rocprim17ROCPRIM_400000_NS6detail17trampoline_kernelINS0_14default_configENS1_25partition_config_selectorILNS1_17partition_subalgoE0EtNS0_10empty_typeEbEEZZNS1_14partition_implILS5_0ELb0ES3_jN6thrust23THRUST_200600_302600_NS6detail15normal_iteratorINSA_10device_ptrItEEEEPS6_SG_NS0_5tupleIJNSA_16discard_iteratorINSA_11use_defaultEEESF_EEENSH_IJSG_SG_EEES6_PlJ7is_evenItEEEE10hipError_tPvRmT3_T4_T5_T6_T7_T9_mT8_P12ihipStream_tbDpT10_ENKUlT_T0_E_clISt17integral_constantIbLb1EES19_EEDaS14_S15_EUlS14_E_NS1_11comp_targetILNS1_3genE0ELNS1_11target_archE4294967295ELNS1_3gpuE0ELNS1_3repE0EEENS1_30default_config_static_selectorELNS0_4arch9wavefront6targetE1EEEvT1_
; %bb.0:
	.section	.rodata,"a",@progbits
	.p2align	6, 0x0
	.amdhsa_kernel _ZN7rocprim17ROCPRIM_400000_NS6detail17trampoline_kernelINS0_14default_configENS1_25partition_config_selectorILNS1_17partition_subalgoE0EtNS0_10empty_typeEbEEZZNS1_14partition_implILS5_0ELb0ES3_jN6thrust23THRUST_200600_302600_NS6detail15normal_iteratorINSA_10device_ptrItEEEEPS6_SG_NS0_5tupleIJNSA_16discard_iteratorINSA_11use_defaultEEESF_EEENSH_IJSG_SG_EEES6_PlJ7is_evenItEEEE10hipError_tPvRmT3_T4_T5_T6_T7_T9_mT8_P12ihipStream_tbDpT10_ENKUlT_T0_E_clISt17integral_constantIbLb1EES19_EEDaS14_S15_EUlS14_E_NS1_11comp_targetILNS1_3genE0ELNS1_11target_archE4294967295ELNS1_3gpuE0ELNS1_3repE0EEENS1_30default_config_static_selectorELNS0_4arch9wavefront6targetE1EEEvT1_
		.amdhsa_group_segment_fixed_size 0
		.amdhsa_private_segment_fixed_size 0
		.amdhsa_kernarg_size 144
		.amdhsa_user_sgpr_count 2
		.amdhsa_user_sgpr_dispatch_ptr 0
		.amdhsa_user_sgpr_queue_ptr 0
		.amdhsa_user_sgpr_kernarg_segment_ptr 1
		.amdhsa_user_sgpr_dispatch_id 0
		.amdhsa_user_sgpr_kernarg_preload_length 0
		.amdhsa_user_sgpr_kernarg_preload_offset 0
		.amdhsa_user_sgpr_private_segment_size 0
		.amdhsa_uses_dynamic_stack 0
		.amdhsa_enable_private_segment 0
		.amdhsa_system_sgpr_workgroup_id_x 1
		.amdhsa_system_sgpr_workgroup_id_y 0
		.amdhsa_system_sgpr_workgroup_id_z 0
		.amdhsa_system_sgpr_workgroup_info 0
		.amdhsa_system_vgpr_workitem_id 0
		.amdhsa_next_free_vgpr 1
		.amdhsa_next_free_sgpr 0
		.amdhsa_accum_offset 4
		.amdhsa_reserve_vcc 0
		.amdhsa_float_round_mode_32 0
		.amdhsa_float_round_mode_16_64 0
		.amdhsa_float_denorm_mode_32 3
		.amdhsa_float_denorm_mode_16_64 3
		.amdhsa_dx10_clamp 1
		.amdhsa_ieee_mode 1
		.amdhsa_fp16_overflow 0
		.amdhsa_tg_split 0
		.amdhsa_exception_fp_ieee_invalid_op 0
		.amdhsa_exception_fp_denorm_src 0
		.amdhsa_exception_fp_ieee_div_zero 0
		.amdhsa_exception_fp_ieee_overflow 0
		.amdhsa_exception_fp_ieee_underflow 0
		.amdhsa_exception_fp_ieee_inexact 0
		.amdhsa_exception_int_div_zero 0
	.end_amdhsa_kernel
	.section	.text._ZN7rocprim17ROCPRIM_400000_NS6detail17trampoline_kernelINS0_14default_configENS1_25partition_config_selectorILNS1_17partition_subalgoE0EtNS0_10empty_typeEbEEZZNS1_14partition_implILS5_0ELb0ES3_jN6thrust23THRUST_200600_302600_NS6detail15normal_iteratorINSA_10device_ptrItEEEEPS6_SG_NS0_5tupleIJNSA_16discard_iteratorINSA_11use_defaultEEESF_EEENSH_IJSG_SG_EEES6_PlJ7is_evenItEEEE10hipError_tPvRmT3_T4_T5_T6_T7_T9_mT8_P12ihipStream_tbDpT10_ENKUlT_T0_E_clISt17integral_constantIbLb1EES19_EEDaS14_S15_EUlS14_E_NS1_11comp_targetILNS1_3genE0ELNS1_11target_archE4294967295ELNS1_3gpuE0ELNS1_3repE0EEENS1_30default_config_static_selectorELNS0_4arch9wavefront6targetE1EEEvT1_,"axG",@progbits,_ZN7rocprim17ROCPRIM_400000_NS6detail17trampoline_kernelINS0_14default_configENS1_25partition_config_selectorILNS1_17partition_subalgoE0EtNS0_10empty_typeEbEEZZNS1_14partition_implILS5_0ELb0ES3_jN6thrust23THRUST_200600_302600_NS6detail15normal_iteratorINSA_10device_ptrItEEEEPS6_SG_NS0_5tupleIJNSA_16discard_iteratorINSA_11use_defaultEEESF_EEENSH_IJSG_SG_EEES6_PlJ7is_evenItEEEE10hipError_tPvRmT3_T4_T5_T6_T7_T9_mT8_P12ihipStream_tbDpT10_ENKUlT_T0_E_clISt17integral_constantIbLb1EES19_EEDaS14_S15_EUlS14_E_NS1_11comp_targetILNS1_3genE0ELNS1_11target_archE4294967295ELNS1_3gpuE0ELNS1_3repE0EEENS1_30default_config_static_selectorELNS0_4arch9wavefront6targetE1EEEvT1_,comdat
.Lfunc_end2563:
	.size	_ZN7rocprim17ROCPRIM_400000_NS6detail17trampoline_kernelINS0_14default_configENS1_25partition_config_selectorILNS1_17partition_subalgoE0EtNS0_10empty_typeEbEEZZNS1_14partition_implILS5_0ELb0ES3_jN6thrust23THRUST_200600_302600_NS6detail15normal_iteratorINSA_10device_ptrItEEEEPS6_SG_NS0_5tupleIJNSA_16discard_iteratorINSA_11use_defaultEEESF_EEENSH_IJSG_SG_EEES6_PlJ7is_evenItEEEE10hipError_tPvRmT3_T4_T5_T6_T7_T9_mT8_P12ihipStream_tbDpT10_ENKUlT_T0_E_clISt17integral_constantIbLb1EES19_EEDaS14_S15_EUlS14_E_NS1_11comp_targetILNS1_3genE0ELNS1_11target_archE4294967295ELNS1_3gpuE0ELNS1_3repE0EEENS1_30default_config_static_selectorELNS0_4arch9wavefront6targetE1EEEvT1_, .Lfunc_end2563-_ZN7rocprim17ROCPRIM_400000_NS6detail17trampoline_kernelINS0_14default_configENS1_25partition_config_selectorILNS1_17partition_subalgoE0EtNS0_10empty_typeEbEEZZNS1_14partition_implILS5_0ELb0ES3_jN6thrust23THRUST_200600_302600_NS6detail15normal_iteratorINSA_10device_ptrItEEEEPS6_SG_NS0_5tupleIJNSA_16discard_iteratorINSA_11use_defaultEEESF_EEENSH_IJSG_SG_EEES6_PlJ7is_evenItEEEE10hipError_tPvRmT3_T4_T5_T6_T7_T9_mT8_P12ihipStream_tbDpT10_ENKUlT_T0_E_clISt17integral_constantIbLb1EES19_EEDaS14_S15_EUlS14_E_NS1_11comp_targetILNS1_3genE0ELNS1_11target_archE4294967295ELNS1_3gpuE0ELNS1_3repE0EEENS1_30default_config_static_selectorELNS0_4arch9wavefront6targetE1EEEvT1_
                                        ; -- End function
	.section	.AMDGPU.csdata,"",@progbits
; Kernel info:
; codeLenInByte = 0
; NumSgprs: 6
; NumVgprs: 0
; NumAgprs: 0
; TotalNumVgprs: 0
; ScratchSize: 0
; MemoryBound: 0
; FloatMode: 240
; IeeeMode: 1
; LDSByteSize: 0 bytes/workgroup (compile time only)
; SGPRBlocks: 0
; VGPRBlocks: 0
; NumSGPRsForWavesPerEU: 6
; NumVGPRsForWavesPerEU: 1
; AccumOffset: 4
; Occupancy: 8
; WaveLimiterHint : 0
; COMPUTE_PGM_RSRC2:SCRATCH_EN: 0
; COMPUTE_PGM_RSRC2:USER_SGPR: 2
; COMPUTE_PGM_RSRC2:TRAP_HANDLER: 0
; COMPUTE_PGM_RSRC2:TGID_X_EN: 1
; COMPUTE_PGM_RSRC2:TGID_Y_EN: 0
; COMPUTE_PGM_RSRC2:TGID_Z_EN: 0
; COMPUTE_PGM_RSRC2:TIDIG_COMP_CNT: 0
; COMPUTE_PGM_RSRC3_GFX90A:ACCUM_OFFSET: 0
; COMPUTE_PGM_RSRC3_GFX90A:TG_SPLIT: 0
	.section	.text._ZN7rocprim17ROCPRIM_400000_NS6detail17trampoline_kernelINS0_14default_configENS1_25partition_config_selectorILNS1_17partition_subalgoE0EtNS0_10empty_typeEbEEZZNS1_14partition_implILS5_0ELb0ES3_jN6thrust23THRUST_200600_302600_NS6detail15normal_iteratorINSA_10device_ptrItEEEEPS6_SG_NS0_5tupleIJNSA_16discard_iteratorINSA_11use_defaultEEESF_EEENSH_IJSG_SG_EEES6_PlJ7is_evenItEEEE10hipError_tPvRmT3_T4_T5_T6_T7_T9_mT8_P12ihipStream_tbDpT10_ENKUlT_T0_E_clISt17integral_constantIbLb1EES19_EEDaS14_S15_EUlS14_E_NS1_11comp_targetILNS1_3genE5ELNS1_11target_archE942ELNS1_3gpuE9ELNS1_3repE0EEENS1_30default_config_static_selectorELNS0_4arch9wavefront6targetE1EEEvT1_,"axG",@progbits,_ZN7rocprim17ROCPRIM_400000_NS6detail17trampoline_kernelINS0_14default_configENS1_25partition_config_selectorILNS1_17partition_subalgoE0EtNS0_10empty_typeEbEEZZNS1_14partition_implILS5_0ELb0ES3_jN6thrust23THRUST_200600_302600_NS6detail15normal_iteratorINSA_10device_ptrItEEEEPS6_SG_NS0_5tupleIJNSA_16discard_iteratorINSA_11use_defaultEEESF_EEENSH_IJSG_SG_EEES6_PlJ7is_evenItEEEE10hipError_tPvRmT3_T4_T5_T6_T7_T9_mT8_P12ihipStream_tbDpT10_ENKUlT_T0_E_clISt17integral_constantIbLb1EES19_EEDaS14_S15_EUlS14_E_NS1_11comp_targetILNS1_3genE5ELNS1_11target_archE942ELNS1_3gpuE9ELNS1_3repE0EEENS1_30default_config_static_selectorELNS0_4arch9wavefront6targetE1EEEvT1_,comdat
	.protected	_ZN7rocprim17ROCPRIM_400000_NS6detail17trampoline_kernelINS0_14default_configENS1_25partition_config_selectorILNS1_17partition_subalgoE0EtNS0_10empty_typeEbEEZZNS1_14partition_implILS5_0ELb0ES3_jN6thrust23THRUST_200600_302600_NS6detail15normal_iteratorINSA_10device_ptrItEEEEPS6_SG_NS0_5tupleIJNSA_16discard_iteratorINSA_11use_defaultEEESF_EEENSH_IJSG_SG_EEES6_PlJ7is_evenItEEEE10hipError_tPvRmT3_T4_T5_T6_T7_T9_mT8_P12ihipStream_tbDpT10_ENKUlT_T0_E_clISt17integral_constantIbLb1EES19_EEDaS14_S15_EUlS14_E_NS1_11comp_targetILNS1_3genE5ELNS1_11target_archE942ELNS1_3gpuE9ELNS1_3repE0EEENS1_30default_config_static_selectorELNS0_4arch9wavefront6targetE1EEEvT1_ ; -- Begin function _ZN7rocprim17ROCPRIM_400000_NS6detail17trampoline_kernelINS0_14default_configENS1_25partition_config_selectorILNS1_17partition_subalgoE0EtNS0_10empty_typeEbEEZZNS1_14partition_implILS5_0ELb0ES3_jN6thrust23THRUST_200600_302600_NS6detail15normal_iteratorINSA_10device_ptrItEEEEPS6_SG_NS0_5tupleIJNSA_16discard_iteratorINSA_11use_defaultEEESF_EEENSH_IJSG_SG_EEES6_PlJ7is_evenItEEEE10hipError_tPvRmT3_T4_T5_T6_T7_T9_mT8_P12ihipStream_tbDpT10_ENKUlT_T0_E_clISt17integral_constantIbLb1EES19_EEDaS14_S15_EUlS14_E_NS1_11comp_targetILNS1_3genE5ELNS1_11target_archE942ELNS1_3gpuE9ELNS1_3repE0EEENS1_30default_config_static_selectorELNS0_4arch9wavefront6targetE1EEEvT1_
	.globl	_ZN7rocprim17ROCPRIM_400000_NS6detail17trampoline_kernelINS0_14default_configENS1_25partition_config_selectorILNS1_17partition_subalgoE0EtNS0_10empty_typeEbEEZZNS1_14partition_implILS5_0ELb0ES3_jN6thrust23THRUST_200600_302600_NS6detail15normal_iteratorINSA_10device_ptrItEEEEPS6_SG_NS0_5tupleIJNSA_16discard_iteratorINSA_11use_defaultEEESF_EEENSH_IJSG_SG_EEES6_PlJ7is_evenItEEEE10hipError_tPvRmT3_T4_T5_T6_T7_T9_mT8_P12ihipStream_tbDpT10_ENKUlT_T0_E_clISt17integral_constantIbLb1EES19_EEDaS14_S15_EUlS14_E_NS1_11comp_targetILNS1_3genE5ELNS1_11target_archE942ELNS1_3gpuE9ELNS1_3repE0EEENS1_30default_config_static_selectorELNS0_4arch9wavefront6targetE1EEEvT1_
	.p2align	8
	.type	_ZN7rocprim17ROCPRIM_400000_NS6detail17trampoline_kernelINS0_14default_configENS1_25partition_config_selectorILNS1_17partition_subalgoE0EtNS0_10empty_typeEbEEZZNS1_14partition_implILS5_0ELb0ES3_jN6thrust23THRUST_200600_302600_NS6detail15normal_iteratorINSA_10device_ptrItEEEEPS6_SG_NS0_5tupleIJNSA_16discard_iteratorINSA_11use_defaultEEESF_EEENSH_IJSG_SG_EEES6_PlJ7is_evenItEEEE10hipError_tPvRmT3_T4_T5_T6_T7_T9_mT8_P12ihipStream_tbDpT10_ENKUlT_T0_E_clISt17integral_constantIbLb1EES19_EEDaS14_S15_EUlS14_E_NS1_11comp_targetILNS1_3genE5ELNS1_11target_archE942ELNS1_3gpuE9ELNS1_3repE0EEENS1_30default_config_static_selectorELNS0_4arch9wavefront6targetE1EEEvT1_,@function
_ZN7rocprim17ROCPRIM_400000_NS6detail17trampoline_kernelINS0_14default_configENS1_25partition_config_selectorILNS1_17partition_subalgoE0EtNS0_10empty_typeEbEEZZNS1_14partition_implILS5_0ELb0ES3_jN6thrust23THRUST_200600_302600_NS6detail15normal_iteratorINSA_10device_ptrItEEEEPS6_SG_NS0_5tupleIJNSA_16discard_iteratorINSA_11use_defaultEEESF_EEENSH_IJSG_SG_EEES6_PlJ7is_evenItEEEE10hipError_tPvRmT3_T4_T5_T6_T7_T9_mT8_P12ihipStream_tbDpT10_ENKUlT_T0_E_clISt17integral_constantIbLb1EES19_EEDaS14_S15_EUlS14_E_NS1_11comp_targetILNS1_3genE5ELNS1_11target_archE942ELNS1_3gpuE9ELNS1_3repE0EEENS1_30default_config_static_selectorELNS0_4arch9wavefront6targetE1EEEvT1_: ; @_ZN7rocprim17ROCPRIM_400000_NS6detail17trampoline_kernelINS0_14default_configENS1_25partition_config_selectorILNS1_17partition_subalgoE0EtNS0_10empty_typeEbEEZZNS1_14partition_implILS5_0ELb0ES3_jN6thrust23THRUST_200600_302600_NS6detail15normal_iteratorINSA_10device_ptrItEEEEPS6_SG_NS0_5tupleIJNSA_16discard_iteratorINSA_11use_defaultEEESF_EEENSH_IJSG_SG_EEES6_PlJ7is_evenItEEEE10hipError_tPvRmT3_T4_T5_T6_T7_T9_mT8_P12ihipStream_tbDpT10_ENKUlT_T0_E_clISt17integral_constantIbLb1EES19_EEDaS14_S15_EUlS14_E_NS1_11comp_targetILNS1_3genE5ELNS1_11target_archE942ELNS1_3gpuE9ELNS1_3repE0EEENS1_30default_config_static_selectorELNS0_4arch9wavefront6targetE1EEEvT1_
; %bb.0:
	s_load_dwordx2 s[2:3], s[0:1], 0x60
	s_load_dwordx4 s[24:27], s[0:1], 0x50
	s_load_dwordx2 s[36:37], s[0:1], 0x70
	v_cmp_eq_u32_e64 s[20:21], 0, v0
	s_and_saveexec_b64 s[4:5], s[20:21]
	s_cbranch_execz .LBB2564_4
; %bb.1:
	s_mov_b64 s[8:9], exec
	v_mbcnt_lo_u32_b32 v1, s8, 0
	v_mbcnt_hi_u32_b32 v1, s9, v1
	v_cmp_eq_u32_e32 vcc, 0, v1
                                        ; implicit-def: $vgpr2
	s_and_saveexec_b64 s[6:7], vcc
	s_cbranch_execz .LBB2564_3
; %bb.2:
	s_load_dwordx2 s[10:11], s[0:1], 0x80
	s_bcnt1_i32_b64 s8, s[8:9]
	v_mov_b32_e32 v2, 0
	v_mov_b32_e32 v3, s8
	s_waitcnt lgkmcnt(0)
	global_atomic_add v2, v2, v3, s[10:11] sc0
.LBB2564_3:
	s_or_b64 exec, exec, s[6:7]
	s_waitcnt vmcnt(0)
	v_readfirstlane_b32 s6, v2
	v_mov_b32_e32 v2, 0
	s_nop 0
	v_add_u32_e32 v1, s6, v1
	ds_write_b32 v2, v1
.LBB2564_4:
	s_or_b64 exec, exec, s[4:5]
	v_mov_b32_e32 v3, 0
	s_load_dwordx4 s[28:31], s[0:1], 0x8
	s_load_dwordx2 s[34:35], s[0:1], 0x38
	s_load_dword s4, s[0:1], 0x78
	s_waitcnt lgkmcnt(0)
	s_barrier
	ds_read_b32 v1, v3
	s_waitcnt lgkmcnt(0)
	s_barrier
	global_load_dwordx2 v[4:5], v3, s[26:27]
	v_mov_b32_e32 v7, s3
	s_lshl_b64 s[0:1], s[30:31], 1
	s_movk_i32 s3, 0x3c00
	s_add_u32 s0, s28, s0
	v_mul_lo_u32 v2, v1, s3
	s_mul_i32 s3, s4, 0x3c00
	s_addc_u32 s1, s29, s1
	s_add_i32 s5, s4, -1
	s_add_i32 s4, s3, s30
	s_sub_i32 s33, s2, s4
	s_addk_i32 s33, 0x3c00
	v_mov_b32_e32 v6, s2
	s_add_u32 s2, s30, s3
	v_readfirstlane_b32 s38, v1
	s_addc_u32 s3, s31, 0
	s_cmp_eq_u32 s38, s5
	s_cselect_b64 s[22:23], -1, 0
	s_cmp_lg_u32 s38, s5
	v_cmp_lt_u64_e32 vcc, s[2:3], v[6:7]
	s_cselect_b64 s[2:3], -1, 0
	s_or_b64 s[4:5], vcc, s[2:3]
	v_lshlrev_b64 v[6:7], 1, v[2:3]
	v_lshl_add_u64 v[8:9], s[0:1], 0, v[6:7]
	s_mov_b64 s[0:1], -1
	s_and_b64 vcc, exec, s[4:5]
	v_lshlrev_b32_e32 v2, 1, v0
	s_cbranch_vccz .LBB2564_6
; %bb.5:
	v_lshl_add_u64 v[10:11], v[8:9], 0, v[2:3]
	v_add_co_u32_e32 v12, vcc, 0x1000, v10
	s_mov_b64 s[0:1], 0
	s_nop 0
	v_addc_co_u32_e32 v13, vcc, 0, v11, vcc
	flat_load_ushort v1, v[10:11]
	flat_load_ushort v3, v[10:11] offset:1024
	flat_load_ushort v16, v[10:11] offset:2048
	flat_load_ushort v17, v[10:11] offset:3072
	flat_load_ushort v18, v[12:13]
	flat_load_ushort v19, v[12:13] offset:1024
	flat_load_ushort v20, v[12:13] offset:2048
	flat_load_ushort v21, v[12:13] offset:3072
	v_add_co_u32_e32 v12, vcc, 0x2000, v10
	s_nop 1
	v_addc_co_u32_e32 v13, vcc, 0, v11, vcc
	v_add_co_u32_e32 v14, vcc, 0x3000, v10
	s_nop 1
	v_addc_co_u32_e32 v15, vcc, 0, v11, vcc
	flat_load_ushort v22, v[12:13]
	flat_load_ushort v23, v[12:13] offset:1024
	flat_load_ushort v24, v[12:13] offset:2048
	flat_load_ushort v25, v[12:13] offset:3072
	flat_load_ushort v26, v[14:15]
	flat_load_ushort v27, v[14:15] offset:1024
	flat_load_ushort v28, v[14:15] offset:2048
	flat_load_ushort v29, v[14:15] offset:3072
	v_add_co_u32_e32 v12, vcc, 0x4000, v10
	s_nop 1
	v_addc_co_u32_e32 v13, vcc, 0, v11, vcc
	v_add_co_u32_e32 v14, vcc, 0x5000, v10
	;; [unrolled: 14-line block ×3, first 2 shown]
	s_nop 1
	v_addc_co_u32_e32 v11, vcc, 0, v11, vcc
	flat_load_ushort v14, v[12:13]
	flat_load_ushort v15, v[12:13] offset:1024
	flat_load_ushort v38, v[12:13] offset:2048
	flat_load_ushort v39, v[12:13] offset:3072
	flat_load_ushort v40, v[10:11]
	flat_load_ushort v41, v[10:11] offset:1024
	s_waitcnt vmcnt(0) lgkmcnt(0)
	ds_write_b16 v2, v1
	ds_write_b16 v2, v3 offset:1024
	ds_write_b16 v2, v16 offset:2048
	;; [unrolled: 1-line block ×29, first 2 shown]
	s_waitcnt lgkmcnt(0)
	s_barrier
.LBB2564_6:
	s_andn2_b64 vcc, exec, s[0:1]
	v_cmp_gt_u32_e64 s[0:1], s33, v0
	s_cbranch_vccnz .LBB2564_68
; %bb.7:
                                        ; implicit-def: $vgpr1
	s_and_saveexec_b64 s[2:3], s[0:1]
	s_cbranch_execz .LBB2564_9
; %bb.8:
	v_mov_b32_e32 v3, 0
	v_lshl_add_u64 v[10:11], v[8:9], 0, v[2:3]
	flat_load_ushort v1, v[10:11]
.LBB2564_9:
	s_or_b64 exec, exec, s[2:3]
	v_or_b32_e32 v3, 0x200, v0
	v_cmp_gt_u32_e32 vcc, s33, v3
                                        ; implicit-def: $vgpr10
	s_and_saveexec_b64 s[0:1], vcc
	s_cbranch_execz .LBB2564_11
; %bb.10:
	v_mov_b32_e32 v3, 0
	v_lshl_add_u64 v[10:11], v[8:9], 0, v[2:3]
	flat_load_ushort v10, v[10:11] offset:1024
.LBB2564_11:
	s_or_b64 exec, exec, s[0:1]
	v_or_b32_e32 v3, 0x400, v0
	v_cmp_gt_u32_e32 vcc, s33, v3
                                        ; implicit-def: $vgpr11
	s_and_saveexec_b64 s[0:1], vcc
	s_cbranch_execz .LBB2564_13
; %bb.12:
	v_mov_b32_e32 v3, 0
	v_lshl_add_u64 v[12:13], v[8:9], 0, v[2:3]
	flat_load_ushort v11, v[12:13] offset:2048
.LBB2564_13:
	s_or_b64 exec, exec, s[0:1]
	v_or_b32_e32 v3, 0x600, v0
	v_cmp_gt_u32_e32 vcc, s33, v3
                                        ; implicit-def: $vgpr3
	s_and_saveexec_b64 s[0:1], vcc
	s_cbranch_execz .LBB2564_15
; %bb.14:
	v_mov_b32_e32 v3, 0
	v_lshl_add_u64 v[12:13], v[8:9], 0, v[2:3]
	flat_load_ushort v3, v[12:13] offset:3072
.LBB2564_15:
	s_or_b64 exec, exec, s[0:1]
	v_or_b32_e32 v13, 0x800, v0
	v_cmp_gt_u32_e32 vcc, s33, v13
                                        ; implicit-def: $vgpr12
	s_and_saveexec_b64 s[0:1], vcc
	s_cbranch_execz .LBB2564_17
; %bb.16:
	v_lshlrev_b32_e32 v12, 1, v13
	v_mov_b32_e32 v13, 0
	v_lshl_add_u64 v[12:13], v[8:9], 0, v[12:13]
	flat_load_ushort v12, v[12:13]
.LBB2564_17:
	s_or_b64 exec, exec, s[0:1]
	v_or_b32_e32 v14, 0xa00, v0
	v_cmp_gt_u32_e32 vcc, s33, v14
                                        ; implicit-def: $vgpr13
	s_and_saveexec_b64 s[0:1], vcc
	s_cbranch_execz .LBB2564_19
; %bb.18:
	v_lshlrev_b32_e32 v14, 1, v14
	v_mov_b32_e32 v15, 0
	v_lshl_add_u64 v[14:15], v[8:9], 0, v[14:15]
	flat_load_ushort v13, v[14:15]
.LBB2564_19:
	s_or_b64 exec, exec, s[0:1]
	v_or_b32_e32 v15, 0xc00, v0
	v_cmp_gt_u32_e32 vcc, s33, v15
                                        ; implicit-def: $vgpr14
	s_and_saveexec_b64 s[0:1], vcc
	s_cbranch_execz .LBB2564_21
; %bb.20:
	v_lshlrev_b32_e32 v14, 1, v15
	v_mov_b32_e32 v15, 0
	v_lshl_add_u64 v[14:15], v[8:9], 0, v[14:15]
	flat_load_ushort v14, v[14:15]
.LBB2564_21:
	s_or_b64 exec, exec, s[0:1]
	v_or_b32_e32 v16, 0xe00, v0
	v_cmp_gt_u32_e32 vcc, s33, v16
                                        ; implicit-def: $vgpr15
	s_and_saveexec_b64 s[0:1], vcc
	s_cbranch_execz .LBB2564_23
; %bb.22:
	v_lshlrev_b32_e32 v16, 1, v16
	v_mov_b32_e32 v17, 0
	v_lshl_add_u64 v[16:17], v[8:9], 0, v[16:17]
	flat_load_ushort v15, v[16:17]
.LBB2564_23:
	s_or_b64 exec, exec, s[0:1]
	v_or_b32_e32 v17, 0x1000, v0
	v_cmp_gt_u32_e32 vcc, s33, v17
                                        ; implicit-def: $vgpr16
	s_and_saveexec_b64 s[0:1], vcc
	s_cbranch_execz .LBB2564_25
; %bb.24:
	v_lshlrev_b32_e32 v16, 1, v17
	v_mov_b32_e32 v17, 0
	v_lshl_add_u64 v[16:17], v[8:9], 0, v[16:17]
	flat_load_ushort v16, v[16:17]
.LBB2564_25:
	s_or_b64 exec, exec, s[0:1]
	v_or_b32_e32 v18, 0x1200, v0
	v_cmp_gt_u32_e32 vcc, s33, v18
                                        ; implicit-def: $vgpr17
	s_and_saveexec_b64 s[0:1], vcc
	s_cbranch_execz .LBB2564_27
; %bb.26:
	v_lshlrev_b32_e32 v18, 1, v18
	v_mov_b32_e32 v19, 0
	v_lshl_add_u64 v[18:19], v[8:9], 0, v[18:19]
	flat_load_ushort v17, v[18:19]
.LBB2564_27:
	s_or_b64 exec, exec, s[0:1]
	v_or_b32_e32 v19, 0x1400, v0
	v_cmp_gt_u32_e32 vcc, s33, v19
                                        ; implicit-def: $vgpr18
	s_and_saveexec_b64 s[0:1], vcc
	s_cbranch_execz .LBB2564_29
; %bb.28:
	v_lshlrev_b32_e32 v18, 1, v19
	v_mov_b32_e32 v19, 0
	v_lshl_add_u64 v[18:19], v[8:9], 0, v[18:19]
	flat_load_ushort v18, v[18:19]
.LBB2564_29:
	s_or_b64 exec, exec, s[0:1]
	v_or_b32_e32 v20, 0x1600, v0
	v_cmp_gt_u32_e32 vcc, s33, v20
                                        ; implicit-def: $vgpr19
	s_and_saveexec_b64 s[0:1], vcc
	s_cbranch_execz .LBB2564_31
; %bb.30:
	v_lshlrev_b32_e32 v20, 1, v20
	v_mov_b32_e32 v21, 0
	v_lshl_add_u64 v[20:21], v[8:9], 0, v[20:21]
	flat_load_ushort v19, v[20:21]
.LBB2564_31:
	s_or_b64 exec, exec, s[0:1]
	v_or_b32_e32 v21, 0x1800, v0
	v_cmp_gt_u32_e32 vcc, s33, v21
                                        ; implicit-def: $vgpr20
	s_and_saveexec_b64 s[0:1], vcc
	s_cbranch_execz .LBB2564_33
; %bb.32:
	v_lshlrev_b32_e32 v20, 1, v21
	v_mov_b32_e32 v21, 0
	v_lshl_add_u64 v[20:21], v[8:9], 0, v[20:21]
	flat_load_ushort v20, v[20:21]
.LBB2564_33:
	s_or_b64 exec, exec, s[0:1]
	v_or_b32_e32 v22, 0x1a00, v0
	v_cmp_gt_u32_e32 vcc, s33, v22
                                        ; implicit-def: $vgpr21
	s_and_saveexec_b64 s[0:1], vcc
	s_cbranch_execz .LBB2564_35
; %bb.34:
	v_lshlrev_b32_e32 v22, 1, v22
	v_mov_b32_e32 v23, 0
	v_lshl_add_u64 v[22:23], v[8:9], 0, v[22:23]
	flat_load_ushort v21, v[22:23]
.LBB2564_35:
	s_or_b64 exec, exec, s[0:1]
	v_or_b32_e32 v23, 0x1c00, v0
	v_cmp_gt_u32_e32 vcc, s33, v23
                                        ; implicit-def: $vgpr22
	s_and_saveexec_b64 s[0:1], vcc
	s_cbranch_execz .LBB2564_37
; %bb.36:
	v_lshlrev_b32_e32 v22, 1, v23
	v_mov_b32_e32 v23, 0
	v_lshl_add_u64 v[22:23], v[8:9], 0, v[22:23]
	flat_load_ushort v22, v[22:23]
.LBB2564_37:
	s_or_b64 exec, exec, s[0:1]
	v_or_b32_e32 v24, 0x1e00, v0
	v_cmp_gt_u32_e32 vcc, s33, v24
                                        ; implicit-def: $vgpr23
	s_and_saveexec_b64 s[0:1], vcc
	s_cbranch_execz .LBB2564_39
; %bb.38:
	v_lshlrev_b32_e32 v24, 1, v24
	v_mov_b32_e32 v25, 0
	v_lshl_add_u64 v[24:25], v[8:9], 0, v[24:25]
	flat_load_ushort v23, v[24:25]
.LBB2564_39:
	s_or_b64 exec, exec, s[0:1]
	v_or_b32_e32 v25, 0x2000, v0
	v_cmp_gt_u32_e32 vcc, s33, v25
                                        ; implicit-def: $vgpr24
	s_and_saveexec_b64 s[0:1], vcc
	s_cbranch_execz .LBB2564_41
; %bb.40:
	v_lshlrev_b32_e32 v24, 1, v25
	v_mov_b32_e32 v25, 0
	v_lshl_add_u64 v[24:25], v[8:9], 0, v[24:25]
	flat_load_ushort v24, v[24:25]
.LBB2564_41:
	s_or_b64 exec, exec, s[0:1]
	v_or_b32_e32 v26, 0x2200, v0
	v_cmp_gt_u32_e32 vcc, s33, v26
                                        ; implicit-def: $vgpr25
	s_and_saveexec_b64 s[0:1], vcc
	s_cbranch_execz .LBB2564_43
; %bb.42:
	v_lshlrev_b32_e32 v26, 1, v26
	v_mov_b32_e32 v27, 0
	v_lshl_add_u64 v[26:27], v[8:9], 0, v[26:27]
	flat_load_ushort v25, v[26:27]
.LBB2564_43:
	s_or_b64 exec, exec, s[0:1]
	v_or_b32_e32 v27, 0x2400, v0
	v_cmp_gt_u32_e32 vcc, s33, v27
                                        ; implicit-def: $vgpr26
	s_and_saveexec_b64 s[0:1], vcc
	s_cbranch_execz .LBB2564_45
; %bb.44:
	v_lshlrev_b32_e32 v26, 1, v27
	v_mov_b32_e32 v27, 0
	v_lshl_add_u64 v[26:27], v[8:9], 0, v[26:27]
	flat_load_ushort v26, v[26:27]
.LBB2564_45:
	s_or_b64 exec, exec, s[0:1]
	v_or_b32_e32 v28, 0x2600, v0
	v_cmp_gt_u32_e32 vcc, s33, v28
                                        ; implicit-def: $vgpr27
	s_and_saveexec_b64 s[0:1], vcc
	s_cbranch_execz .LBB2564_47
; %bb.46:
	v_lshlrev_b32_e32 v28, 1, v28
	v_mov_b32_e32 v29, 0
	v_lshl_add_u64 v[28:29], v[8:9], 0, v[28:29]
	flat_load_ushort v27, v[28:29]
.LBB2564_47:
	s_or_b64 exec, exec, s[0:1]
	v_or_b32_e32 v29, 0x2800, v0
	v_cmp_gt_u32_e32 vcc, s33, v29
                                        ; implicit-def: $vgpr28
	s_and_saveexec_b64 s[0:1], vcc
	s_cbranch_execz .LBB2564_49
; %bb.48:
	v_lshlrev_b32_e32 v28, 1, v29
	v_mov_b32_e32 v29, 0
	v_lshl_add_u64 v[28:29], v[8:9], 0, v[28:29]
	flat_load_ushort v28, v[28:29]
.LBB2564_49:
	s_or_b64 exec, exec, s[0:1]
	v_or_b32_e32 v30, 0x2a00, v0
	v_cmp_gt_u32_e32 vcc, s33, v30
                                        ; implicit-def: $vgpr29
	s_and_saveexec_b64 s[0:1], vcc
	s_cbranch_execz .LBB2564_51
; %bb.50:
	v_lshlrev_b32_e32 v30, 1, v30
	v_mov_b32_e32 v31, 0
	v_lshl_add_u64 v[30:31], v[8:9], 0, v[30:31]
	flat_load_ushort v29, v[30:31]
.LBB2564_51:
	s_or_b64 exec, exec, s[0:1]
	v_or_b32_e32 v31, 0x2c00, v0
	v_cmp_gt_u32_e32 vcc, s33, v31
                                        ; implicit-def: $vgpr30
	s_and_saveexec_b64 s[0:1], vcc
	s_cbranch_execz .LBB2564_53
; %bb.52:
	v_lshlrev_b32_e32 v30, 1, v31
	v_mov_b32_e32 v31, 0
	v_lshl_add_u64 v[30:31], v[8:9], 0, v[30:31]
	flat_load_ushort v30, v[30:31]
.LBB2564_53:
	s_or_b64 exec, exec, s[0:1]
	v_or_b32_e32 v32, 0x2e00, v0
	v_cmp_gt_u32_e32 vcc, s33, v32
                                        ; implicit-def: $vgpr31
	s_and_saveexec_b64 s[0:1], vcc
	s_cbranch_execz .LBB2564_55
; %bb.54:
	v_lshlrev_b32_e32 v32, 1, v32
	v_mov_b32_e32 v33, 0
	v_lshl_add_u64 v[32:33], v[8:9], 0, v[32:33]
	flat_load_ushort v31, v[32:33]
.LBB2564_55:
	s_or_b64 exec, exec, s[0:1]
	v_or_b32_e32 v33, 0x3000, v0
	v_cmp_gt_u32_e32 vcc, s33, v33
                                        ; implicit-def: $vgpr32
	s_and_saveexec_b64 s[0:1], vcc
	s_cbranch_execz .LBB2564_57
; %bb.56:
	v_lshlrev_b32_e32 v32, 1, v33
	v_mov_b32_e32 v33, 0
	v_lshl_add_u64 v[32:33], v[8:9], 0, v[32:33]
	flat_load_ushort v32, v[32:33]
.LBB2564_57:
	s_or_b64 exec, exec, s[0:1]
	v_or_b32_e32 v34, 0x3200, v0
	v_cmp_gt_u32_e32 vcc, s33, v34
                                        ; implicit-def: $vgpr33
	s_and_saveexec_b64 s[0:1], vcc
	s_cbranch_execz .LBB2564_59
; %bb.58:
	v_lshlrev_b32_e32 v34, 1, v34
	v_mov_b32_e32 v35, 0
	v_lshl_add_u64 v[34:35], v[8:9], 0, v[34:35]
	flat_load_ushort v33, v[34:35]
.LBB2564_59:
	s_or_b64 exec, exec, s[0:1]
	v_or_b32_e32 v35, 0x3400, v0
	v_cmp_gt_u32_e32 vcc, s33, v35
                                        ; implicit-def: $vgpr34
	s_and_saveexec_b64 s[0:1], vcc
	s_cbranch_execz .LBB2564_61
; %bb.60:
	v_lshlrev_b32_e32 v34, 1, v35
	v_mov_b32_e32 v35, 0
	v_lshl_add_u64 v[34:35], v[8:9], 0, v[34:35]
	flat_load_ushort v34, v[34:35]
.LBB2564_61:
	s_or_b64 exec, exec, s[0:1]
	v_or_b32_e32 v36, 0x3600, v0
	v_cmp_gt_u32_e32 vcc, s33, v36
                                        ; implicit-def: $vgpr35
	s_and_saveexec_b64 s[0:1], vcc
	s_cbranch_execz .LBB2564_63
; %bb.62:
	v_lshlrev_b32_e32 v36, 1, v36
	v_mov_b32_e32 v37, 0
	v_lshl_add_u64 v[36:37], v[8:9], 0, v[36:37]
	flat_load_ushort v35, v[36:37]
.LBB2564_63:
	s_or_b64 exec, exec, s[0:1]
	v_or_b32_e32 v37, 0x3800, v0
	v_cmp_gt_u32_e32 vcc, s33, v37
                                        ; implicit-def: $vgpr36
	s_and_saveexec_b64 s[0:1], vcc
	s_cbranch_execz .LBB2564_65
; %bb.64:
	v_lshlrev_b32_e32 v36, 1, v37
	v_mov_b32_e32 v37, 0
	v_lshl_add_u64 v[36:37], v[8:9], 0, v[36:37]
	flat_load_ushort v36, v[36:37]
.LBB2564_65:
	s_or_b64 exec, exec, s[0:1]
	v_or_b32_e32 v38, 0x3a00, v0
	v_cmp_gt_u32_e32 vcc, s33, v38
                                        ; implicit-def: $vgpr37
	s_and_saveexec_b64 s[0:1], vcc
	s_cbranch_execz .LBB2564_67
; %bb.66:
	v_lshlrev_b32_e32 v38, 1, v38
	v_mov_b32_e32 v39, 0
	v_lshl_add_u64 v[8:9], v[8:9], 0, v[38:39]
	flat_load_ushort v37, v[8:9]
.LBB2564_67:
	s_or_b64 exec, exec, s[0:1]
	s_waitcnt vmcnt(0) lgkmcnt(0)
	ds_write_b16 v2, v1
	ds_write_b16 v2, v10 offset:1024
	ds_write_b16 v2, v11 offset:2048
	;; [unrolled: 1-line block ×29, first 2 shown]
	s_waitcnt lgkmcnt(0)
	s_barrier
.LBB2564_68:
	v_mul_u32_u24_e32 v44, 30, v0
	v_lshlrev_b32_e32 v8, 1, v44
	ds_read_b32 v3, v8 offset:56
	ds_read2_b32 v[10:11], v8 offset0:12 offset1:13
	ds_read2_b32 v[12:13], v8 offset0:10 offset1:11
	;; [unrolled: 1-line block ×3, first 2 shown]
	ds_read2_b32 v[22:23], v8 offset1:1
	ds_read2_b32 v[20:21], v8 offset0:2 offset1:3
	ds_read2_b32 v[18:19], v8 offset0:4 offset1:5
	;; [unrolled: 1-line block ×3, first 2 shown]
	s_waitcnt lgkmcnt(7)
	v_lshrrev_b32_e32 v1, 16, v3
	s_waitcnt lgkmcnt(6)
	v_lshrrev_b32_e32 v33, 16, v10
	v_lshrrev_b32_e32 v32, 16, v11
	s_waitcnt lgkmcnt(5)
	v_lshrrev_b32_e32 v35, 16, v12
	;; [unrolled: 3-line block ×6, first 2 shown]
	v_lshrrev_b32_e32 v38, 16, v17
	v_lshrrev_b32_e32 v37, 16, v14
	;; [unrolled: 1-line block ×3, first 2 shown]
	v_cndmask_b32_e64 v8, 0, 1, s[4:5]
	v_cmp_ne_u32_e64 s[2:3], 1, v8
	s_andn2_b64 vcc, exec, s[4:5]
	v_xor_b32_e32 v96, -1, v22
	v_xor_b32_e32 v95, -1, v46
	;; [unrolled: 1-line block ×30, first 2 shown]
	s_barrier
	s_cbranch_vccnz .LBB2564_70
; %bb.69:
	v_and_b32_e32 v76, 1, v96
	v_and_b32_e32 v75, 1, v95
	;; [unrolled: 1-line block ×30, first 2 shown]
	s_cbranch_execz .LBB2564_71
	s_branch .LBB2564_72
.LBB2564_70:
                                        ; implicit-def: $vgpr76
                                        ; implicit-def: $vgpr75
                                        ; implicit-def: $vgpr74
                                        ; implicit-def: $vgpr73
                                        ; implicit-def: $vgpr72
                                        ; implicit-def: $vgpr71
                                        ; implicit-def: $vgpr70
                                        ; implicit-def: $vgpr69
                                        ; implicit-def: $vgpr68
                                        ; implicit-def: $vgpr67
                                        ; implicit-def: $vgpr66
                                        ; implicit-def: $vgpr65
                                        ; implicit-def: $vgpr64
                                        ; implicit-def: $vgpr63
                                        ; implicit-def: $vgpr62
                                        ; implicit-def: $vgpr61
                                        ; implicit-def: $vgpr60
                                        ; implicit-def: $vgpr59
                                        ; implicit-def: $vgpr58
                                        ; implicit-def: $vgpr57
                                        ; implicit-def: $vgpr56
                                        ; implicit-def: $vgpr55
                                        ; implicit-def: $vgpr54
                                        ; implicit-def: $vgpr53
                                        ; implicit-def: $vgpr52
                                        ; implicit-def: $vgpr51
                                        ; implicit-def: $vgpr50
                                        ; implicit-def: $vgpr49
                                        ; implicit-def: $vgpr47
                                        ; implicit-def: $vgpr48
.LBB2564_71:
	v_or_b32_e32 v56, 1, v44
	v_cmp_gt_u32_e32 vcc, s33, v44
	v_add_u32_e32 v57, 2, v44
	v_add_u32_e32 v58, 3, v44
	v_cndmask_b32_e64 v66, 0, 1, vcc
	v_cmp_gt_u32_e32 vcc, s33, v56
	v_add_u32_e32 v59, 4, v44
	v_add_u32_e32 v60, 5, v44
	v_cndmask_b32_e64 v56, 0, 1, vcc
	v_cmp_gt_u32_e32 vcc, s33, v57
	v_and_b32_e32 v75, v56, v95
	v_add_u32_e32 v61, 6, v44
	v_cndmask_b32_e64 v56, 0, 1, vcc
	v_cmp_gt_u32_e32 vcc, s33, v58
	v_and_b32_e32 v74, v56, v94
	;; [unrolled: 4-line block ×9, first 2 shown]
	v_and_b32_e32 v76, v66, v96
	v_cndmask_b32_e64 v56, 0, 1, vcc
	v_cmp_gt_u32_e32 vcc, s33, v97
	v_and_b32_e32 v66, v56, v86
	v_add_u32_e32 v100, 14, v44
	v_cndmask_b32_e64 v56, 0, 1, vcc
	v_cmp_gt_u32_e32 vcc, s33, v98
	v_and_b32_e32 v65, v56, v85
	v_add_u32_e32 v101, 15, v44
	;; [unrolled: 4-line block ×16, first 2 shown]
	v_cndmask_b32_e64 v26, 0, 1, vcc
	v_cmp_gt_u32_e32 vcc, s33, v49
	v_and_b32_e32 v50, v26, v25
	s_nop 0
	v_cndmask_b32_e64 v25, 0, 1, vcc
	v_cmp_gt_u32_e32 vcc, s33, v47
	v_and_b32_e32 v49, v25, v24
	s_nop 0
	;; [unrolled: 4-line block ×3, first 2 shown]
	v_cndmask_b32_e64 v9, 0, 1, vcc
	v_and_b32_e32 v48, v9, v8
.LBB2564_72:
	v_and_b32_e32 v103, 0xff, v50
	v_and_b32_e32 v104, 0xff, v49
	v_add_u32_sdwa v8, v47, v48 dst_sel:DWORD dst_unused:UNUSED_PAD src0_sel:BYTE_0 src1_sel:BYTE_0
	v_and_b32_e32 v101, 0xff, v52
	v_and_b32_e32 v102, 0xff, v51
	v_add3_u32 v8, v8, v104, v103
	v_and_b32_e32 v99, 0xff, v54
	v_and_b32_e32 v100, 0xff, v53
	v_add3_u32 v8, v8, v102, v101
	;; [unrolled: 3-line block ×13, first 2 shown]
	v_add3_u32 v107, v8, v78, v77
	v_mbcnt_lo_u32_b32 v8, -1, 0
	v_mbcnt_hi_u32_b32 v105, -1, v8
	v_and_b32_e32 v8, 15, v105
	v_cmp_eq_u32_e64 s[16:17], 0, v8
	v_cmp_lt_u32_e64 s[14:15], 1, v8
	v_cmp_lt_u32_e64 s[12:13], 3, v8
	;; [unrolled: 1-line block ×3, first 2 shown]
	v_and_b32_e32 v8, 16, v105
	v_cmp_eq_u32_e64 s[8:9], 0, v8
	v_or_b32_e32 v8, 63, v0
	s_cmp_lg_u32 s38, 0
	v_cmp_lt_u32_e64 s[4:5], 31, v105
	v_lshrrev_b32_e32 v106, 6, v0
	v_cmp_eq_u32_e64 s[6:7], v8, v0
	s_cbranch_scc0 .LBB2564_103
; %bb.73:
	v_mov_b32_dpp v8, v107 row_shr:1 row_mask:0xf bank_mask:0xf
	v_cndmask_b32_e64 v8, v8, 0, s[16:17]
	v_add_u32_e32 v8, v8, v107
	s_nop 1
	v_mov_b32_dpp v9, v8 row_shr:2 row_mask:0xf bank_mask:0xf
	v_cndmask_b32_e64 v9, 0, v9, s[14:15]
	v_add_u32_e32 v8, v8, v9
	s_nop 1
	;; [unrolled: 4-line block ×4, first 2 shown]
	v_mov_b32_dpp v9, v8 row_bcast:15 row_mask:0xf bank_mask:0xf
	v_cndmask_b32_e64 v9, v9, 0, s[8:9]
	v_add_u32_e32 v8, v8, v9
	s_nop 1
	v_mov_b32_dpp v9, v8 row_bcast:31 row_mask:0xf bank_mask:0xf
	v_cndmask_b32_e64 v9, 0, v9, s[4:5]
	v_add_u32_e32 v8, v8, v9
	s_and_saveexec_b64 s[0:1], s[6:7]
	s_cbranch_execz .LBB2564_75
; %bb.74:
	v_lshlrev_b32_e32 v9, 2, v106
	ds_write_b32 v9, v8
.LBB2564_75:
	s_or_b64 exec, exec, s[0:1]
	v_cmp_gt_u32_e32 vcc, 8, v0
	s_waitcnt lgkmcnt(0)
	s_barrier
	s_and_saveexec_b64 s[0:1], vcc
	s_cbranch_execz .LBB2564_77
; %bb.76:
	v_lshlrev_b32_e32 v9, 2, v0
	ds_read_b32 v24, v9
	v_and_b32_e32 v25, 7, v105
	v_cmp_ne_u32_e32 vcc, 0, v25
	s_waitcnt lgkmcnt(0)
	v_mov_b32_dpp v26, v24 row_shr:1 row_mask:0xf bank_mask:0xf
	v_cndmask_b32_e32 v26, 0, v26, vcc
	v_add_u32_e32 v24, v26, v24
	v_cmp_lt_u32_e32 vcc, 1, v25
	s_nop 0
	v_mov_b32_dpp v26, v24 row_shr:2 row_mask:0xf bank_mask:0xf
	v_cndmask_b32_e32 v26, 0, v26, vcc
	v_add_u32_e32 v24, v24, v26
	v_cmp_lt_u32_e32 vcc, 3, v25
	s_nop 0
	v_mov_b32_dpp v26, v24 row_shr:4 row_mask:0xf bank_mask:0xf
	v_cndmask_b32_e32 v25, 0, v26, vcc
	v_add_u32_e32 v24, v24, v25
	ds_write_b32 v9, v24
.LBB2564_77:
	s_or_b64 exec, exec, s[0:1]
	v_cmp_gt_u32_e32 vcc, 64, v0
	v_cmp_lt_u32_e64 s[0:1], 63, v0
	s_waitcnt lgkmcnt(0)
	s_barrier
	s_waitcnt lgkmcnt(0)
                                        ; implicit-def: $vgpr108
	s_and_saveexec_b64 s[18:19], s[0:1]
	s_cbranch_execz .LBB2564_79
; %bb.78:
	v_lshl_add_u32 v9, v106, 2, -4
	ds_read_b32 v108, v9
	s_waitcnt lgkmcnt(0)
	v_add_u32_e32 v8, v108, v8
.LBB2564_79:
	s_or_b64 exec, exec, s[18:19]
	v_add_u32_e32 v9, -1, v105
	v_and_b32_e32 v24, 64, v105
	v_cmp_lt_i32_e64 s[0:1], v9, v24
	v_cmp_eq_u32_e64 s[18:19], 0, v105
	s_nop 0
	v_cndmask_b32_e64 v9, v9, v105, s[0:1]
	v_lshlrev_b32_e32 v9, 2, v9
	ds_bpermute_b32 v109, v9, v8
	s_and_saveexec_b64 s[0:1], vcc
	s_cbranch_execz .LBB2564_102
; %bb.80:
	v_mov_b32_e32 v31, 0
	ds_read_b32 v8, v31 offset:28
	s_and_saveexec_b64 s[26:27], s[18:19]
	s_cbranch_execz .LBB2564_82
; %bb.81:
	s_add_i32 s28, s38, 64
	s_mov_b32 s29, 0
	s_lshl_b64 s[28:29], s[28:29], 3
	s_add_u32 s28, s36, s28
	v_mov_b32_e32 v9, 1
	s_addc_u32 s29, s37, s29
	s_waitcnt lgkmcnt(0)
	global_store_dwordx2 v31, v[8:9], s[28:29] sc1
.LBB2564_82:
	s_or_b64 exec, exec, s[26:27]
	v_xad_u32 v24, v105, -1, s38
	v_add_u32_e32 v30, 64, v24
	v_lshl_add_u64 v[26:27], v[30:31], 3, s[36:37]
	global_load_dwordx2 v[28:29], v[26:27], off sc1
	s_waitcnt vmcnt(0)
	v_cmp_eq_u16_sdwa s[28:29], v29, v31 src0_sel:BYTE_0 src1_sel:DWORD
	s_and_saveexec_b64 s[26:27], s[28:29]
	s_cbranch_execz .LBB2564_88
; %bb.83:
	s_mov_b32 s39, 1
	s_mov_b64 s[28:29], 0
	v_mov_b32_e32 v9, 0
.LBB2564_84:                            ; =>This Loop Header: Depth=1
                                        ;     Child Loop BB2564_85 Depth 2
	s_max_u32 s40, s39, 1
.LBB2564_85:                            ;   Parent Loop BB2564_84 Depth=1
                                        ; =>  This Inner Loop Header: Depth=2
	s_add_i32 s40, s40, -1
	s_cmp_eq_u32 s40, 0
	s_sleep 1
	s_cbranch_scc0 .LBB2564_85
; %bb.86:                               ;   in Loop: Header=BB2564_84 Depth=1
	global_load_dwordx2 v[28:29], v[26:27], off sc1
	s_cmp_lt_u32 s39, 32
	s_cselect_b64 s[40:41], -1, 0
	s_cmp_lg_u64 s[40:41], 0
	s_addc_u32 s39, s39, 0
	s_waitcnt vmcnt(0)
	v_cmp_ne_u16_sdwa s[40:41], v29, v9 src0_sel:BYTE_0 src1_sel:DWORD
	s_or_b64 s[28:29], s[40:41], s[28:29]
	s_andn2_b64 exec, exec, s[28:29]
	s_cbranch_execnz .LBB2564_84
; %bb.87:
	s_or_b64 exec, exec, s[28:29]
.LBB2564_88:
	s_or_b64 exec, exec, s[26:27]
	v_and_b32_e32 v111, 63, v105
	v_mov_b32_e32 v110, 2
	v_cmp_ne_u32_e32 vcc, 63, v111
	v_cmp_eq_u16_sdwa s[26:27], v29, v110 src0_sel:BYTE_0 src1_sel:DWORD
	v_lshlrev_b64 v[26:27], v105, -1
	v_addc_co_u32_e32 v30, vcc, 0, v105, vcc
	v_and_b32_e32 v9, s27, v27
	v_lshlrev_b32_e32 v112, 2, v30
	v_or_b32_e32 v9, 0x80000000, v9
	ds_bpermute_b32 v30, v112, v28
	v_and_b32_e32 v25, s26, v26
	v_ffbl_b32_e32 v9, v9
	v_add_u32_e32 v9, 32, v9
	v_ffbl_b32_e32 v25, v25
	v_min_u32_e32 v9, v25, v9
	v_cmp_lt_u32_e32 vcc, v111, v9
	v_add_u32_e32 v114, 2, v111
	v_add_u32_e32 v116, 4, v111
	s_waitcnt lgkmcnt(0)
	v_cndmask_b32_e32 v25, 0, v30, vcc
	v_cmp_gt_u32_e32 vcc, 62, v111
	v_add_u32_e32 v25, v25, v28
	v_add_u32_e32 v118, 8, v111
	v_cndmask_b32_e64 v28, 0, 1, vcc
	v_lshlrev_b32_e32 v28, 1, v28
	v_add_lshl_u32 v113, v28, v105, 2
	ds_bpermute_b32 v28, v113, v25
	v_cmp_le_u32_e32 vcc, v114, v9
	v_add_u32_e32 v120, 16, v111
	v_add_u32_e32 v122, 32, v111
	s_waitcnt lgkmcnt(0)
	v_cndmask_b32_e32 v28, 0, v28, vcc
	v_cmp_gt_u32_e32 vcc, 60, v111
	v_add_u32_e32 v25, v25, v28
	s_nop 0
	v_cndmask_b32_e64 v28, 0, 1, vcc
	v_lshlrev_b32_e32 v28, 2, v28
	v_add_lshl_u32 v115, v28, v105, 2
	ds_bpermute_b32 v28, v115, v25
	v_cmp_le_u32_e32 vcc, v116, v9
	s_waitcnt lgkmcnt(0)
	s_nop 0
	v_cndmask_b32_e32 v28, 0, v28, vcc
	v_cmp_gt_u32_e32 vcc, 56, v111
	v_add_u32_e32 v25, v25, v28
	s_nop 0
	v_cndmask_b32_e64 v28, 0, 1, vcc
	v_lshlrev_b32_e32 v28, 3, v28
	v_add_lshl_u32 v117, v28, v105, 2
	ds_bpermute_b32 v28, v117, v25
	v_cmp_le_u32_e32 vcc, v118, v9
	s_waitcnt lgkmcnt(0)
	s_nop 0
	;; [unrolled: 11-line block ×4, first 2 shown]
	v_cndmask_b32_e32 v9, 0, v28, vcc
	v_add_u32_e32 v28, v25, v9
	v_mov_b32_e32 v25, 0
	s_branch .LBB2564_90
.LBB2564_89:                            ;   in Loop: Header=BB2564_90 Depth=1
	s_or_b64 exec, exec, s[26:27]
	v_cmp_eq_u16_sdwa s[26:27], v29, v110 src0_sel:BYTE_0 src1_sel:DWORD
	ds_bpermute_b32 v123, v112, v28
	v_subrev_u32_e32 v24, 64, v24
	v_and_b32_e32 v30, s27, v27
	v_or_b32_e32 v30, 0x80000000, v30
	v_and_b32_e32 v31, s26, v26
	v_ffbl_b32_e32 v30, v30
	v_add_u32_e32 v30, 32, v30
	v_ffbl_b32_e32 v31, v31
	v_min_u32_e32 v30, v31, v30
	v_cmp_lt_u32_e32 vcc, v111, v30
	s_waitcnt lgkmcnt(0)
	s_nop 0
	v_cndmask_b32_e32 v31, 0, v123, vcc
	v_add_u32_e32 v28, v31, v28
	ds_bpermute_b32 v31, v113, v28
	v_cmp_le_u32_e32 vcc, v114, v30
	s_waitcnt lgkmcnt(0)
	s_nop 0
	v_cndmask_b32_e32 v31, 0, v31, vcc
	v_add_u32_e32 v28, v28, v31
	ds_bpermute_b32 v31, v115, v28
	v_cmp_le_u32_e32 vcc, v116, v30
	;; [unrolled: 6-line block ×5, first 2 shown]
	s_waitcnt lgkmcnt(0)
	s_nop 0
	v_cndmask_b32_e32 v30, 0, v31, vcc
	v_add3_u32 v28, v30, v9, v28
.LBB2564_90:                            ; =>This Loop Header: Depth=1
                                        ;     Child Loop BB2564_93 Depth 2
                                        ;       Child Loop BB2564_94 Depth 3
	v_cmp_ne_u16_sdwa s[26:27], v29, v110 src0_sel:BYTE_0 src1_sel:DWORD
	s_nop 1
	v_cndmask_b32_e64 v9, 0, 1, s[26:27]
	;;#ASMSTART
	;;#ASMEND
	s_nop 0
	v_cmp_ne_u32_e32 vcc, 0, v9
	s_cmp_lg_u64 vcc, exec
	v_mov_b32_e32 v9, v28
	s_cbranch_scc1 .LBB2564_97
; %bb.91:                               ;   in Loop: Header=BB2564_90 Depth=1
	v_lshl_add_u64 v[30:31], v[24:25], 3, s[36:37]
	global_load_dwordx2 v[28:29], v[30:31], off sc1
	s_waitcnt vmcnt(0)
	v_cmp_eq_u16_sdwa s[28:29], v29, v25 src0_sel:BYTE_0 src1_sel:DWORD
	s_and_saveexec_b64 s[26:27], s[28:29]
	s_cbranch_execz .LBB2564_89
; %bb.92:                               ;   in Loop: Header=BB2564_90 Depth=1
	s_mov_b32 s39, 1
	s_mov_b64 s[28:29], 0
.LBB2564_93:                            ;   Parent Loop BB2564_90 Depth=1
                                        ; =>  This Loop Header: Depth=2
                                        ;       Child Loop BB2564_94 Depth 3
	s_max_u32 s40, s39, 1
.LBB2564_94:                            ;   Parent Loop BB2564_90 Depth=1
                                        ;     Parent Loop BB2564_93 Depth=2
                                        ; =>    This Inner Loop Header: Depth=3
	s_add_i32 s40, s40, -1
	s_cmp_eq_u32 s40, 0
	s_sleep 1
	s_cbranch_scc0 .LBB2564_94
; %bb.95:                               ;   in Loop: Header=BB2564_93 Depth=2
	global_load_dwordx2 v[28:29], v[30:31], off sc1
	s_cmp_lt_u32 s39, 32
	s_cselect_b64 s[40:41], -1, 0
	s_cmp_lg_u64 s[40:41], 0
	s_addc_u32 s39, s39, 0
	s_waitcnt vmcnt(0)
	v_cmp_ne_u16_sdwa s[40:41], v29, v25 src0_sel:BYTE_0 src1_sel:DWORD
	s_or_b64 s[28:29], s[40:41], s[28:29]
	s_andn2_b64 exec, exec, s[28:29]
	s_cbranch_execnz .LBB2564_93
; %bb.96:                               ;   in Loop: Header=BB2564_90 Depth=1
	s_or_b64 exec, exec, s[28:29]
	s_branch .LBB2564_89
.LBB2564_97:                            ;   in Loop: Header=BB2564_90 Depth=1
                                        ; implicit-def: $vgpr28
                                        ; implicit-def: $vgpr29
	s_cbranch_execz .LBB2564_90
; %bb.98:
	s_and_saveexec_b64 s[26:27], s[18:19]
	s_cbranch_execz .LBB2564_100
; %bb.99:
	s_add_i32 s28, s38, 64
	s_mov_b32 s29, 0
	s_lshl_b64 s[28:29], s[28:29], 3
	s_add_u32 s28, s36, s28
	v_add_u32_e32 v24, v9, v8
	v_mov_b32_e32 v25, 2
	s_addc_u32 s29, s37, s29
	v_mov_b32_e32 v26, 0
	global_store_dwordx2 v26, v[24:25], s[28:29] sc1
	ds_write_b64 v26, v[8:9] offset:30720
.LBB2564_100:
	s_or_b64 exec, exec, s[26:27]
	s_and_b64 exec, exec, s[20:21]
	s_cbranch_execz .LBB2564_102
; %bb.101:
	v_mov_b32_e32 v8, 0
	ds_write_b32 v8, v9 offset:28
.LBB2564_102:
	s_or_b64 exec, exec, s[0:1]
	v_mov_b32_e32 v8, 0
	s_waitcnt lgkmcnt(0)
	s_barrier
	ds_read_b32 v24, v8 offset:28
	s_waitcnt lgkmcnt(0)
	s_barrier
	ds_read_b64 v[8:9], v8 offset:30720
	v_cndmask_b32_e64 v25, v109, v108, s[18:19]
	v_cndmask_b32_e64 v25, v25, 0, s[20:21]
	v_add_u32_e32 v25, v24, v25
	s_waitcnt lgkmcnt(0)
	v_mov_b32_e32 v24, v9
	s_branch .LBB2564_113
.LBB2564_103:
                                        ; implicit-def: $vgpr24
                                        ; implicit-def: $vgpr8
                                        ; implicit-def: $vgpr25
	s_cbranch_execz .LBB2564_113
; %bb.104:
	s_nop 0
	v_mov_b32_dpp v8, v107 row_shr:1 row_mask:0xf bank_mask:0xf
	v_cndmask_b32_e64 v8, v8, 0, s[16:17]
	v_add_u32_e32 v8, v8, v107
	s_nop 1
	v_mov_b32_dpp v9, v8 row_shr:2 row_mask:0xf bank_mask:0xf
	v_cndmask_b32_e64 v9, 0, v9, s[14:15]
	v_add_u32_e32 v8, v8, v9
	;; [unrolled: 4-line block ×4, first 2 shown]
	s_nop 1
	v_mov_b32_dpp v9, v8 row_bcast:15 row_mask:0xf bank_mask:0xf
	v_cndmask_b32_e64 v9, v9, 0, s[8:9]
	v_add_u32_e32 v8, v8, v9
	s_nop 1
	v_mov_b32_dpp v9, v8 row_bcast:31 row_mask:0xf bank_mask:0xf
	v_cndmask_b32_e64 v9, 0, v9, s[4:5]
	v_add_u32_e32 v8, v8, v9
	s_and_saveexec_b64 s[0:1], s[6:7]
	s_cbranch_execz .LBB2564_106
; %bb.105:
	v_lshlrev_b32_e32 v9, 2, v106
	ds_write_b32 v9, v8
.LBB2564_106:
	s_or_b64 exec, exec, s[0:1]
	v_cmp_gt_u32_e32 vcc, 8, v0
	s_waitcnt lgkmcnt(0)
	s_barrier
	s_and_saveexec_b64 s[0:1], vcc
	s_cbranch_execz .LBB2564_108
; %bb.107:
	v_lshlrev_b32_e32 v9, 2, v0
	ds_read_b32 v24, v9
	v_and_b32_e32 v25, 7, v105
	v_cmp_ne_u32_e32 vcc, 0, v25
	s_waitcnt lgkmcnt(0)
	v_mov_b32_dpp v26, v24 row_shr:1 row_mask:0xf bank_mask:0xf
	v_cndmask_b32_e32 v26, 0, v26, vcc
	v_add_u32_e32 v24, v26, v24
	v_cmp_lt_u32_e32 vcc, 1, v25
	s_nop 0
	v_mov_b32_dpp v26, v24 row_shr:2 row_mask:0xf bank_mask:0xf
	v_cndmask_b32_e32 v26, 0, v26, vcc
	v_add_u32_e32 v24, v24, v26
	v_cmp_lt_u32_e32 vcc, 3, v25
	s_nop 0
	v_mov_b32_dpp v26, v24 row_shr:4 row_mask:0xf bank_mask:0xf
	v_cndmask_b32_e32 v25, 0, v26, vcc
	v_add_u32_e32 v24, v24, v25
	ds_write_b32 v9, v24
.LBB2564_108:
	s_or_b64 exec, exec, s[0:1]
	v_cmp_lt_u32_e32 vcc, 63, v0
	v_mov_b32_e32 v9, 0
	v_mov_b32_e32 v24, 0
	s_waitcnt lgkmcnt(0)
	s_barrier
	s_and_saveexec_b64 s[0:1], vcc
	s_cbranch_execz .LBB2564_110
; %bb.109:
	v_lshl_add_u32 v24, v106, 2, -4
	ds_read_b32 v24, v24
.LBB2564_110:
	s_or_b64 exec, exec, s[0:1]
	v_add_u32_e32 v25, -1, v105
	v_and_b32_e32 v26, 64, v105
	v_cmp_lt_i32_e32 vcc, v25, v26
	s_waitcnt lgkmcnt(0)
	v_add_u32_e32 v8, v24, v8
	v_cndmask_b32_e32 v25, v25, v105, vcc
	v_lshlrev_b32_e32 v25, 2, v25
	ds_bpermute_b32 v25, v25, v8
	ds_read_b32 v8, v9 offset:28
	s_and_saveexec_b64 s[0:1], s[20:21]
	s_cbranch_execz .LBB2564_112
; %bb.111:
	v_mov_b32_e32 v26, 0
	v_mov_b32_e32 v9, 2
	s_waitcnt lgkmcnt(0)
	global_store_dwordx2 v26, v[8:9], s[36:37] offset:512 sc1
.LBB2564_112:
	s_or_b64 exec, exec, s[0:1]
	v_cmp_eq_u32_e32 vcc, 0, v105
	s_waitcnt lgkmcnt(0)
	s_barrier
	v_cndmask_b32_e32 v9, v25, v24, vcc
	v_mov_b32_e32 v24, 0
	v_cndmask_b32_e64 v25, v9, 0, s[20:21]
.LBB2564_113:
	v_add_u32_e32 v9, v25, v77
	v_add_u32_e32 v26, v9, v78
	;; [unrolled: 1-line block ×22, first 2 shown]
	v_sub_u32_e32 v25, v25, v24
	v_and_b32_e32 v76, 1, v76
	v_add_u32_e32 v91, v90, v98
	v_sub_u32_e32 v98, v44, v25
	v_cmp_eq_u32_e32 vcc, 1, v76
	v_sub_u32_e32 v9, v9, v24
	v_add_u32_e32 v92, v91, v99
	v_cndmask_b32_e32 v25, v98, v25, vcc
	v_lshlrev_b32_e32 v25, 1, v25
	ds_write_b16 v25, v22
	v_sub_u32_e32 v22, v44, v9
	v_and_b32_e32 v25, 1, v75
	v_add_u32_e32 v22, 1, v22
	v_cmp_eq_u32_e32 vcc, 1, v25
	v_and_b32_e32 v25, 1, v74
	v_add_u32_e32 v93, v92, v100
	v_cndmask_b32_e32 v9, v22, v9, vcc
	v_lshlrev_b32_e32 v9, 1, v9
	ds_write_b16 v9, v46
	v_sub_u32_e32 v9, v26, v24
	v_sub_u32_e32 v22, v44, v9
	v_add_u32_e32 v22, 2, v22
	v_cmp_eq_u32_e32 vcc, 1, v25
	v_add_u32_e32 v94, v93, v101
	v_add_u32_e32 v95, v94, v102
	v_cndmask_b32_e32 v9, v22, v9, vcc
	v_lshlrev_b32_e32 v9, 1, v9
	ds_write_b16 v9, v23
	v_sub_u32_e32 v9, v27, v24
	v_sub_u32_e32 v22, v44, v9
	v_and_b32_e32 v23, 1, v73
	v_add_u32_e32 v22, 3, v22
	v_cmp_eq_u32_e32 vcc, 1, v23
	v_and_b32_e32 v23, 1, v72
	v_add_u32_e32 v96, v95, v103
	v_cndmask_b32_e32 v9, v22, v9, vcc
	v_lshlrev_b32_e32 v9, 1, v9
	ds_write_b16 v9, v45
	v_sub_u32_e32 v9, v28, v24
	v_sub_u32_e32 v22, v44, v9
	v_add_u32_e32 v22, 4, v22
	v_cmp_eq_u32_e32 vcc, 1, v23
	v_add_u32_e32 v97, v96, v104
	v_mov_b32_e32 v25, 0
	v_cndmask_b32_e32 v9, v22, v9, vcc
	v_lshlrev_b32_e32 v9, 1, v9
	ds_write_b16 v9, v20
	v_sub_u32_e32 v9, v29, v24
	v_sub_u32_e32 v20, v44, v9
	v_and_b32_e32 v22, 1, v71
	v_add_u32_e32 v20, 5, v20
	v_cmp_eq_u32_e32 vcc, 1, v22
	v_and_b32_e32 v22, 1, v70
	v_or_b32_e32 v46, 0x1600, v0
	v_cndmask_b32_e32 v9, v20, v9, vcc
	v_lshlrev_b32_e32 v9, 1, v9
	ds_write_b16 v9, v43
	v_sub_u32_e32 v9, v30, v24
	v_sub_u32_e32 v20, v44, v9
	v_add_u32_e32 v20, 6, v20
	v_cmp_eq_u32_e32 vcc, 1, v22
	v_or_b32_e32 v30, 0x2600, v0
	v_or_b32_e32 v28, 0x2800, v0
	v_cndmask_b32_e32 v9, v20, v9, vcc
	v_lshlrev_b32_e32 v9, 1, v9
	ds_write_b16 v9, v21
	v_sub_u32_e32 v9, v31, v24
	v_sub_u32_e32 v20, v44, v9
	v_and_b32_e32 v21, 1, v69
	v_add_u32_e32 v20, 7, v20
	v_cmp_eq_u32_e32 vcc, 1, v21
	v_and_b32_e32 v21, 1, v68
	v_or_b32_e32 v26, 0x2a00, v0
	v_cndmask_b32_e32 v9, v20, v9, vcc
	v_lshlrev_b32_e32 v9, 1, v9
	ds_write_b16 v9, v42
	v_sub_u32_e32 v9, v77, v24
	v_sub_u32_e32 v20, v44, v9
	v_add_u32_e32 v20, 8, v20
	v_cmp_eq_u32_e32 vcc, 1, v21
	v_or_b32_e32 v42, 0x1a00, v0
	v_or_b32_e32 v22, 0x2c00, v0
	v_cndmask_b32_e32 v9, v20, v9, vcc
	v_lshlrev_b32_e32 v9, 1, v9
	ds_write_b16 v9, v18
	v_sub_u32_e32 v9, v78, v24
	v_sub_u32_e32 v18, v44, v9
	v_and_b32_e32 v20, 1, v67
	v_add_u32_e32 v18, 9, v18
	v_cmp_eq_u32_e32 vcc, 1, v20
	v_and_b32_e32 v20, 1, v66
	v_or_b32_e32 v66, 0x200, v0
	v_cndmask_b32_e32 v9, v18, v9, vcc
	v_lshlrev_b32_e32 v9, 1, v9
	ds_write_b16 v9, v41
	v_sub_u32_e32 v9, v79, v24
	v_sub_u32_e32 v18, v44, v9
	v_add_u32_e32 v18, 10, v18
	v_cmp_eq_u32_e32 vcc, 1, v20
	v_or_b32_e32 v20, 0x2e00, v0
	v_cmp_ge_u32_e64 s[0:1], v0, v8
	v_cndmask_b32_e32 v9, v18, v9, vcc
	v_lshlrev_b32_e32 v9, 1, v9
	ds_write_b16 v9, v19
	v_sub_u32_e32 v9, v80, v24
	v_sub_u32_e32 v18, v44, v9
	v_and_b32_e32 v19, 1, v65
	v_add_u32_e32 v18, 11, v18
	v_cmp_eq_u32_e32 vcc, 1, v19
	v_and_b32_e32 v19, 1, v64
	v_or_b32_e32 v64, 0x400, v0
	v_cndmask_b32_e32 v9, v18, v9, vcc
	v_lshlrev_b32_e32 v9, 1, v9
	ds_write_b16 v9, v40
	v_sub_u32_e32 v9, v81, v24
	v_sub_u32_e32 v18, v44, v9
	v_add_u32_e32 v18, 12, v18
	v_cmp_eq_u32_e32 vcc, 1, v19
	v_or_b32_e32 v40, 0x1c00, v0
	s_nop 0
	v_cndmask_b32_e32 v9, v18, v9, vcc
	v_lshlrev_b32_e32 v9, 1, v9
	ds_write_b16 v9, v16
	v_sub_u32_e32 v9, v82, v24
	v_sub_u32_e32 v16, v44, v9
	v_and_b32_e32 v18, 1, v63
	v_add_u32_e32 v16, 13, v16
	v_cmp_eq_u32_e32 vcc, 1, v18
	v_and_b32_e32 v18, 1, v62
	v_or_b32_e32 v62, 0x600, v0
	v_cndmask_b32_e32 v9, v16, v9, vcc
	v_lshlrev_b32_e32 v9, 1, v9
	ds_write_b16 v9, v39
	v_sub_u32_e32 v9, v83, v24
	v_sub_u32_e32 v16, v44, v9
	v_add_u32_e32 v16, 14, v16
	v_cmp_eq_u32_e32 vcc, 1, v18
	v_or_b32_e32 v18, 0x3000, v0
	s_nop 0
	v_cndmask_b32_e32 v9, v16, v9, vcc
	v_lshlrev_b32_e32 v9, 1, v9
	ds_write_b16 v9, v17
	v_sub_u32_e32 v9, v84, v24
	v_sub_u32_e32 v16, v44, v9
	v_and_b32_e32 v17, 1, v61
	v_add_u32_e32 v16, 15, v16
	v_cmp_eq_u32_e32 vcc, 1, v17
	v_and_b32_e32 v17, 1, v60
	v_or_b32_e32 v60, 0x800, v0
	v_cndmask_b32_e32 v9, v16, v9, vcc
	v_lshlrev_b32_e32 v9, 1, v9
	ds_write_b16 v9, v38
	v_sub_u32_e32 v9, v85, v24
	v_sub_u32_e32 v16, v44, v9
	v_add_u32_e32 v16, 16, v16
	v_cmp_eq_u32_e32 vcc, 1, v17
	s_nop 1
	v_cndmask_b32_e32 v9, v16, v9, vcc
	v_lshlrev_b32_e32 v9, 1, v9
	ds_write_b16 v9, v14
	v_sub_u32_e32 v9, v86, v24
	v_sub_u32_e32 v14, v44, v9
	v_and_b32_e32 v16, 1, v59
	v_add_u32_e32 v14, 17, v14
	v_cmp_eq_u32_e32 vcc, 1, v16
	v_and_b32_e32 v16, 1, v58
	v_or_b32_e32 v58, 0xa00, v0
	v_cndmask_b32_e32 v9, v14, v9, vcc
	v_lshlrev_b32_e32 v9, 1, v9
	ds_write_b16 v9, v37
	v_sub_u32_e32 v9, v87, v24
	v_sub_u32_e32 v14, v44, v9
	v_add_u32_e32 v14, 18, v14
	v_cmp_eq_u32_e32 vcc, 1, v16
	v_or_b32_e32 v37, 0x1e00, v0
	v_or_b32_e32 v16, 0x3200, v0
	v_cndmask_b32_e32 v9, v14, v9, vcc
	v_lshlrev_b32_e32 v9, 1, v9
	ds_write_b16 v9, v15
	v_sub_u32_e32 v9, v88, v24
	v_sub_u32_e32 v14, v44, v9
	v_and_b32_e32 v15, 1, v57
	v_add_u32_e32 v14, 19, v14
	v_cmp_eq_u32_e32 vcc, 1, v15
	v_and_b32_e32 v15, 1, v56
	v_or_b32_e32 v56, 0xc00, v0
	v_cndmask_b32_e32 v9, v14, v9, vcc
	v_lshlrev_b32_e32 v9, 1, v9
	ds_write_b16 v9, v36
	v_sub_u32_e32 v9, v89, v24
	v_sub_u32_e32 v14, v44, v9
	v_add_u32_e32 v14, 20, v14
	v_cmp_eq_u32_e32 vcc, 1, v15
	v_or_b32_e32 v36, 0x2000, v0
	s_nop 0
	v_cndmask_b32_e32 v9, v14, v9, vcc
	v_lshlrev_b32_e32 v9, 1, v9
	ds_write_b16 v9, v12
	v_sub_u32_e32 v9, v90, v24
	v_sub_u32_e32 v12, v44, v9
	v_and_b32_e32 v14, 1, v55
	v_add_u32_e32 v12, 21, v12
	v_cmp_eq_u32_e32 vcc, 1, v14
	v_and_b32_e32 v14, 1, v54
	s_nop 0
	v_cndmask_b32_e32 v9, v12, v9, vcc
	v_lshlrev_b32_e32 v9, 1, v9
	ds_write_b16 v9, v35
	v_sub_u32_e32 v9, v91, v24
	v_sub_u32_e32 v12, v44, v9
	v_add_u32_e32 v12, 22, v12
	v_cmp_eq_u32_e32 vcc, 1, v14
	v_or_b32_e32 v14, 0x3400, v0
	s_nop 0
	v_cndmask_b32_e32 v9, v12, v9, vcc
	v_lshlrev_b32_e32 v9, 1, v9
	ds_write_b16 v9, v13
	v_sub_u32_e32 v9, v92, v24
	v_sub_u32_e32 v12, v44, v9
	v_and_b32_e32 v13, 1, v53
	v_add_u32_e32 v12, 23, v12
	v_cmp_eq_u32_e32 vcc, 1, v13
	v_and_b32_e32 v13, 1, v52
	v_or_b32_e32 v53, 0xe00, v0
	v_cndmask_b32_e32 v9, v12, v9, vcc
	v_lshlrev_b32_e32 v9, 1, v9
	ds_write_b16 v9, v34
	v_sub_u32_e32 v9, v93, v24
	v_sub_u32_e32 v12, v44, v9
	v_add_u32_e32 v12, 24, v12
	v_cmp_eq_u32_e32 vcc, 1, v13
	v_or_b32_e32 v52, 0x1000, v0
	v_or_b32_e32 v34, 0x2200, v0
	v_cndmask_b32_e32 v9, v12, v9, vcc
	v_lshlrev_b32_e32 v9, 1, v9
	ds_write_b16 v9, v10
	v_sub_u32_e32 v9, v94, v24
	v_sub_u32_e32 v10, v44, v9
	v_and_b32_e32 v12, 1, v51
	v_add_u32_e32 v10, 25, v10
	v_cmp_eq_u32_e32 vcc, 1, v12
	v_and_b32_e32 v12, 1, v50
	v_or_b32_e32 v50, 0x1200, v0
	v_cndmask_b32_e32 v9, v10, v9, vcc
	v_lshlrev_b32_e32 v9, 1, v9
	ds_write_b16 v9, v33
	v_sub_u32_e32 v9, v95, v24
	v_sub_u32_e32 v10, v44, v9
	v_add_u32_e32 v10, 26, v10
	v_cmp_eq_u32_e32 vcc, 1, v12
	v_or_b32_e32 v12, 0x3600, v0
	s_nop 0
	v_cndmask_b32_e32 v9, v10, v9, vcc
	v_lshlrev_b32_e32 v9, 1, v9
	ds_write_b16 v9, v11
	v_sub_u32_e32 v9, v96, v24
	v_sub_u32_e32 v10, v44, v9
	v_and_b32_e32 v11, 1, v49
	v_add_u32_e32 v10, 27, v10
	v_cmp_eq_u32_e32 vcc, 1, v11
	v_and_b32_e32 v11, 1, v47
	s_nop 0
	v_cndmask_b32_e32 v9, v10, v9, vcc
	v_lshlrev_b32_e32 v9, 1, v9
	ds_write_b16 v9, v32
	v_sub_u32_e32 v9, v97, v24
	v_sub_u32_e32 v10, v44, v9
	v_add_u32_e32 v10, 28, v10
	v_cmp_eq_u32_e32 vcc, 1, v11
	v_or_b32_e32 v32, 0x2400, v0
	s_nop 0
	v_cndmask_b32_e32 v9, v10, v9, vcc
	v_lshlrev_b32_e32 v9, 1, v9
	ds_write_b16 v9, v3
	v_sub_u32_sdwa v3, v47, v24 dst_sel:DWORD dst_unused:UNUSED_PAD src0_sel:BYTE_0 src1_sel:DWORD
	v_add_u32_e32 v3, v97, v3
	v_sub_u32_e32 v9, v44, v3
	v_and_b32_e32 v10, 1, v48
	v_add_u32_e32 v9, 29, v9
	v_cmp_eq_u32_e32 vcc, 1, v10
	v_or_b32_e32 v48, 0x1400, v0
	v_or_b32_e32 v44, 0x1800, v0
	v_cndmask_b32_e32 v3, v9, v3, vcc
	v_lshlrev_b32_e32 v3, 1, v3
	ds_write_b16 v3, v1
	s_waitcnt lgkmcnt(0)
	s_barrier
	ds_read_u16 v68, v2
	ds_read_u16 v67, v2 offset:1024
	ds_read_u16 v65, v2 offset:2048
	;; [unrolled: 1-line block ×29, first 2 shown]
	v_mov_b32_e32 v9, v25
	s_waitcnt vmcnt(0)
	v_lshl_add_u64 v[4:5], v[4:5], 0, v[8:9]
	v_lshl_add_u64 v[4:5], v[4:5], 0, v[24:25]
	v_mov_b32_e32 v9, s31
	v_sub_co_u32_e32 v24, vcc, s30, v4
	v_or_b32_e32 v10, 0x3800, v0
	s_nop 0
	v_subb_co_u32_e32 v25, vcc, v9, v5, vcc
	v_lshlrev_b64 v[24:25], 1, v[24:25]
	v_lshl_add_u64 v[24:25], s[34:35], 0, v[24:25]
	v_or_b32_e32 v1, 0x3a00, v0
	v_lshl_add_u64 v[6:7], v[24:25], 0, v[6:7]
	s_and_b64 vcc, exec, s[2:3]
	s_cbranch_vccnz .LBB2564_145
; %bb.114:
	s_and_saveexec_b64 s[2:3], s[0:1]
	s_cbranch_execnz .LBB2564_210
; %bb.115:
	s_or_b64 exec, exec, s[2:3]
	v_cmp_ge_u32_e32 vcc, v66, v8
	s_and_saveexec_b64 s[0:1], vcc
	s_cbranch_execnz .LBB2564_211
.LBB2564_116:
	s_or_b64 exec, exec, s[0:1]
	v_cmp_ge_u32_e32 vcc, v64, v8
	s_and_saveexec_b64 s[0:1], vcc
	s_cbranch_execnz .LBB2564_212
.LBB2564_117:
	s_or_b64 exec, exec, s[0:1]
	v_cmp_ge_u32_e32 vcc, v62, v8
	s_and_saveexec_b64 s[0:1], vcc
	s_cbranch_execnz .LBB2564_213
.LBB2564_118:
	s_or_b64 exec, exec, s[0:1]
	v_cmp_ge_u32_e32 vcc, v60, v8
	s_and_saveexec_b64 s[0:1], vcc
	s_cbranch_execnz .LBB2564_214
.LBB2564_119:
	s_or_b64 exec, exec, s[0:1]
	v_cmp_ge_u32_e32 vcc, v58, v8
	s_and_saveexec_b64 s[0:1], vcc
	s_cbranch_execnz .LBB2564_215
.LBB2564_120:
	s_or_b64 exec, exec, s[0:1]
	v_cmp_ge_u32_e32 vcc, v56, v8
	s_and_saveexec_b64 s[0:1], vcc
	s_cbranch_execnz .LBB2564_216
.LBB2564_121:
	s_or_b64 exec, exec, s[0:1]
	v_cmp_ge_u32_e32 vcc, v53, v8
	s_and_saveexec_b64 s[0:1], vcc
	s_cbranch_execnz .LBB2564_217
.LBB2564_122:
	s_or_b64 exec, exec, s[0:1]
	v_cmp_ge_u32_e32 vcc, v52, v8
	s_and_saveexec_b64 s[0:1], vcc
	s_cbranch_execnz .LBB2564_218
.LBB2564_123:
	s_or_b64 exec, exec, s[0:1]
	v_cmp_ge_u32_e32 vcc, v50, v8
	s_and_saveexec_b64 s[0:1], vcc
	s_cbranch_execnz .LBB2564_219
.LBB2564_124:
	s_or_b64 exec, exec, s[0:1]
	v_cmp_ge_u32_e32 vcc, v48, v8
	s_and_saveexec_b64 s[0:1], vcc
	s_cbranch_execnz .LBB2564_220
.LBB2564_125:
	s_or_b64 exec, exec, s[0:1]
	v_cmp_ge_u32_e32 vcc, v46, v8
	s_and_saveexec_b64 s[0:1], vcc
	s_cbranch_execnz .LBB2564_221
.LBB2564_126:
	s_or_b64 exec, exec, s[0:1]
	v_cmp_ge_u32_e32 vcc, v44, v8
	s_and_saveexec_b64 s[0:1], vcc
	s_cbranch_execnz .LBB2564_222
.LBB2564_127:
	s_or_b64 exec, exec, s[0:1]
	v_cmp_ge_u32_e32 vcc, v42, v8
	s_and_saveexec_b64 s[0:1], vcc
	s_cbranch_execnz .LBB2564_223
.LBB2564_128:
	s_or_b64 exec, exec, s[0:1]
	v_cmp_ge_u32_e32 vcc, v40, v8
	s_and_saveexec_b64 s[0:1], vcc
	s_cbranch_execnz .LBB2564_224
.LBB2564_129:
	s_or_b64 exec, exec, s[0:1]
	v_cmp_ge_u32_e32 vcc, v37, v8
	s_and_saveexec_b64 s[0:1], vcc
	s_cbranch_execnz .LBB2564_225
.LBB2564_130:
	s_or_b64 exec, exec, s[0:1]
	v_cmp_ge_u32_e32 vcc, v36, v8
	s_and_saveexec_b64 s[0:1], vcc
	s_cbranch_execnz .LBB2564_226
.LBB2564_131:
	s_or_b64 exec, exec, s[0:1]
	v_cmp_ge_u32_e32 vcc, v34, v8
	s_and_saveexec_b64 s[0:1], vcc
	s_cbranch_execnz .LBB2564_227
.LBB2564_132:
	s_or_b64 exec, exec, s[0:1]
	v_cmp_ge_u32_e32 vcc, v32, v8
	s_and_saveexec_b64 s[0:1], vcc
	s_cbranch_execnz .LBB2564_228
.LBB2564_133:
	s_or_b64 exec, exec, s[0:1]
	v_cmp_ge_u32_e32 vcc, v30, v8
	s_and_saveexec_b64 s[0:1], vcc
	s_cbranch_execnz .LBB2564_229
.LBB2564_134:
	s_or_b64 exec, exec, s[0:1]
	v_cmp_ge_u32_e32 vcc, v28, v8
	s_and_saveexec_b64 s[0:1], vcc
	s_cbranch_execnz .LBB2564_230
.LBB2564_135:
	s_or_b64 exec, exec, s[0:1]
	v_cmp_ge_u32_e32 vcc, v26, v8
	s_and_saveexec_b64 s[0:1], vcc
	s_cbranch_execnz .LBB2564_231
.LBB2564_136:
	s_or_b64 exec, exec, s[0:1]
	v_cmp_ge_u32_e32 vcc, v22, v8
	s_and_saveexec_b64 s[0:1], vcc
	s_cbranch_execnz .LBB2564_232
.LBB2564_137:
	s_or_b64 exec, exec, s[0:1]
	v_cmp_ge_u32_e32 vcc, v20, v8
	s_and_saveexec_b64 s[0:1], vcc
	s_cbranch_execnz .LBB2564_233
.LBB2564_138:
	s_or_b64 exec, exec, s[0:1]
	v_cmp_ge_u32_e32 vcc, v18, v8
	s_and_saveexec_b64 s[0:1], vcc
	s_cbranch_execnz .LBB2564_234
.LBB2564_139:
	s_or_b64 exec, exec, s[0:1]
	v_cmp_ge_u32_e32 vcc, v16, v8
	s_and_saveexec_b64 s[0:1], vcc
	s_cbranch_execnz .LBB2564_235
.LBB2564_140:
	s_or_b64 exec, exec, s[0:1]
	v_cmp_ge_u32_e32 vcc, v14, v8
	s_and_saveexec_b64 s[0:1], vcc
	s_cbranch_execnz .LBB2564_236
.LBB2564_141:
	s_or_b64 exec, exec, s[0:1]
	v_cmp_ge_u32_e32 vcc, v12, v8
	s_and_saveexec_b64 s[0:1], vcc
	s_cbranch_execnz .LBB2564_237
.LBB2564_142:
	s_or_b64 exec, exec, s[0:1]
	v_cmp_ge_u32_e32 vcc, v10, v8
	s_and_saveexec_b64 s[0:1], vcc
	s_cbranch_execz .LBB2564_144
.LBB2564_143:
	v_lshlrev_b32_e32 v9, 1, v10
	v_readfirstlane_b32 s2, v6
	v_readfirstlane_b32 s3, v7
	s_waitcnt lgkmcnt(1)
	s_nop 3
	global_store_short v9, v11, s[2:3]
.LBB2564_144:
	s_or_b64 exec, exec, s[0:1]
	v_cmp_ge_u32_e64 s[0:1], v1, v8
	s_branch .LBB2564_205
.LBB2564_145:
	s_mov_b64 s[0:1], 0
	s_cbranch_execz .LBB2564_205
; %bb.146:
	v_cmp_gt_u32_e32 vcc, s33, v0
	v_cmp_ge_u32_e64 s[0:1], v0, v8
	s_and_b64 s[2:3], vcc, s[0:1]
	s_and_saveexec_b64 s[0:1], s[2:3]
	s_cbranch_execz .LBB2564_148
; %bb.147:
	v_readfirstlane_b32 s2, v6
	v_readfirstlane_b32 s3, v7
	s_waitcnt lgkmcnt(14)
	s_nop 3
	global_store_short v2, v68, s[2:3]
.LBB2564_148:
	s_or_b64 exec, exec, s[0:1]
	v_cmp_gt_u32_e32 vcc, s33, v66
	v_cmp_ge_u32_e64 s[0:1], v66, v8
	s_and_b64 s[2:3], vcc, s[0:1]
	s_and_saveexec_b64 s[0:1], s[2:3]
	s_cbranch_execz .LBB2564_150
; %bb.149:
	v_readfirstlane_b32 s2, v6
	v_readfirstlane_b32 s3, v7
	s_waitcnt lgkmcnt(14)
	s_nop 3
	global_store_short v2, v67, s[2:3] offset:1024
.LBB2564_150:
	s_or_b64 exec, exec, s[0:1]
	v_cmp_gt_u32_e32 vcc, s33, v64
	v_cmp_ge_u32_e64 s[0:1], v64, v8
	s_and_b64 s[2:3], vcc, s[0:1]
	s_and_saveexec_b64 s[0:1], s[2:3]
	s_cbranch_execz .LBB2564_152
; %bb.151:
	v_readfirstlane_b32 s2, v6
	v_readfirstlane_b32 s3, v7
	s_waitcnt lgkmcnt(14)
	s_nop 3
	global_store_short v2, v65, s[2:3] offset:2048
.LBB2564_152:
	;; [unrolled: 13-line block ×3, first 2 shown]
	s_or_b64 exec, exec, s[0:1]
	v_cmp_gt_u32_e32 vcc, s33, v60
	v_cmp_ge_u32_e64 s[0:1], v60, v8
	s_and_b64 s[2:3], vcc, s[0:1]
	s_and_saveexec_b64 s[0:1], s[2:3]
	s_cbranch_execz .LBB2564_156
; %bb.155:
	v_lshlrev_b32_e32 v0, 1, v60
	v_readfirstlane_b32 s2, v6
	v_readfirstlane_b32 s3, v7
	s_waitcnt lgkmcnt(14)
	s_nop 3
	global_store_short v0, v61, s[2:3]
.LBB2564_156:
	s_or_b64 exec, exec, s[0:1]
	v_cmp_gt_u32_e32 vcc, s33, v58
	v_cmp_ge_u32_e64 s[0:1], v58, v8
	s_and_b64 s[2:3], vcc, s[0:1]
	s_and_saveexec_b64 s[0:1], s[2:3]
	s_cbranch_execz .LBB2564_158
; %bb.157:
	v_lshlrev_b32_e32 v0, 1, v58
	v_readfirstlane_b32 s2, v6
	v_readfirstlane_b32 s3, v7
	s_waitcnt lgkmcnt(14)
	s_nop 3
	global_store_short v0, v59, s[2:3]
.LBB2564_158:
	;; [unrolled: 14-line block ×25, first 2 shown]
	s_or_b64 exec, exec, s[0:1]
	v_cmp_gt_u32_e32 vcc, s33, v1
	v_cmp_ge_u32_e64 s[0:1], v1, v8
	s_and_b64 s[0:1], vcc, s[0:1]
.LBB2564_205:
	s_and_saveexec_b64 s[2:3], s[0:1]
	s_cbranch_execnz .LBB2564_208
; %bb.206:
	s_or_b64 exec, exec, s[2:3]
	s_and_b64 s[0:1], s[20:21], s[22:23]
	s_and_saveexec_b64 s[2:3], s[0:1]
	s_cbranch_execnz .LBB2564_209
.LBB2564_207:
	s_endpgm
.LBB2564_208:
	v_lshlrev_b32_e32 v0, 1, v1
	v_readfirstlane_b32 s0, v6
	v_readfirstlane_b32 s1, v7
	s_waitcnt lgkmcnt(0)
	s_nop 3
	global_store_short v0, v3, s[0:1]
	s_or_b64 exec, exec, s[2:3]
	s_and_b64 s[0:1], s[20:21], s[22:23]
	s_and_saveexec_b64 s[2:3], s[0:1]
	s_cbranch_execz .LBB2564_207
.LBB2564_209:
	v_mov_b32_e32 v0, 0
	global_store_dwordx2 v0, v[4:5], s[24:25]
	s_endpgm
.LBB2564_210:
	v_readfirstlane_b32 s0, v6
	v_readfirstlane_b32 s1, v7
	s_waitcnt lgkmcnt(14)
	s_nop 3
	global_store_short v2, v68, s[0:1]
	s_or_b64 exec, exec, s[2:3]
	v_cmp_ge_u32_e32 vcc, v66, v8
	s_and_saveexec_b64 s[0:1], vcc
	s_cbranch_execz .LBB2564_116
.LBB2564_211:
	v_readfirstlane_b32 s2, v6
	v_readfirstlane_b32 s3, v7
	s_waitcnt lgkmcnt(14)
	s_nop 3
	global_store_short v2, v67, s[2:3] offset:1024
	s_or_b64 exec, exec, s[0:1]
	v_cmp_ge_u32_e32 vcc, v64, v8
	s_and_saveexec_b64 s[0:1], vcc
	s_cbranch_execz .LBB2564_117
.LBB2564_212:
	v_readfirstlane_b32 s2, v6
	v_readfirstlane_b32 s3, v7
	s_waitcnt lgkmcnt(14)
	s_nop 3
	global_store_short v2, v65, s[2:3] offset:2048
	s_or_b64 exec, exec, s[0:1]
	v_cmp_ge_u32_e32 vcc, v62, v8
	s_and_saveexec_b64 s[0:1], vcc
	s_cbranch_execz .LBB2564_118
.LBB2564_213:
	v_readfirstlane_b32 s2, v6
	v_readfirstlane_b32 s3, v7
	s_waitcnt lgkmcnt(14)
	s_nop 3
	global_store_short v2, v63, s[2:3] offset:3072
	s_or_b64 exec, exec, s[0:1]
	v_cmp_ge_u32_e32 vcc, v60, v8
	s_and_saveexec_b64 s[0:1], vcc
	s_cbranch_execz .LBB2564_119
.LBB2564_214:
	v_lshlrev_b32_e32 v9, 1, v60
	v_readfirstlane_b32 s2, v6
	v_readfirstlane_b32 s3, v7
	s_waitcnt lgkmcnt(14)
	s_nop 3
	global_store_short v9, v61, s[2:3]
	s_or_b64 exec, exec, s[0:1]
	v_cmp_ge_u32_e32 vcc, v58, v8
	s_and_saveexec_b64 s[0:1], vcc
	s_cbranch_execz .LBB2564_120
.LBB2564_215:
	v_lshlrev_b32_e32 v9, 1, v58
	v_readfirstlane_b32 s2, v6
	v_readfirstlane_b32 s3, v7
	s_waitcnt lgkmcnt(14)
	s_nop 3
	global_store_short v9, v59, s[2:3]
	s_or_b64 exec, exec, s[0:1]
	v_cmp_ge_u32_e32 vcc, v56, v8
	s_and_saveexec_b64 s[0:1], vcc
	s_cbranch_execz .LBB2564_121
.LBB2564_216:
	v_lshlrev_b32_e32 v9, 1, v56
	v_readfirstlane_b32 s2, v6
	v_readfirstlane_b32 s3, v7
	s_waitcnt lgkmcnt(14)
	s_nop 3
	global_store_short v9, v57, s[2:3]
	s_or_b64 exec, exec, s[0:1]
	v_cmp_ge_u32_e32 vcc, v53, v8
	s_and_saveexec_b64 s[0:1], vcc
	s_cbranch_execz .LBB2564_122
.LBB2564_217:
	v_lshlrev_b32_e32 v9, 1, v53
	v_readfirstlane_b32 s2, v6
	v_readfirstlane_b32 s3, v7
	s_waitcnt lgkmcnt(14)
	s_nop 3
	global_store_short v9, v55, s[2:3]
	s_or_b64 exec, exec, s[0:1]
	v_cmp_ge_u32_e32 vcc, v52, v8
	s_and_saveexec_b64 s[0:1], vcc
	s_cbranch_execz .LBB2564_123
.LBB2564_218:
	v_lshlrev_b32_e32 v9, 1, v52
	v_readfirstlane_b32 s2, v6
	v_readfirstlane_b32 s3, v7
	s_waitcnt lgkmcnt(14)
	s_nop 3
	global_store_short v9, v54, s[2:3]
	s_or_b64 exec, exec, s[0:1]
	v_cmp_ge_u32_e32 vcc, v50, v8
	s_and_saveexec_b64 s[0:1], vcc
	s_cbranch_execz .LBB2564_124
.LBB2564_219:
	v_lshlrev_b32_e32 v9, 1, v50
	v_readfirstlane_b32 s2, v6
	v_readfirstlane_b32 s3, v7
	s_waitcnt lgkmcnt(14)
	s_nop 3
	global_store_short v9, v51, s[2:3]
	s_or_b64 exec, exec, s[0:1]
	v_cmp_ge_u32_e32 vcc, v48, v8
	s_and_saveexec_b64 s[0:1], vcc
	s_cbranch_execz .LBB2564_125
.LBB2564_220:
	v_lshlrev_b32_e32 v9, 1, v48
	v_readfirstlane_b32 s2, v6
	v_readfirstlane_b32 s3, v7
	s_waitcnt lgkmcnt(14)
	s_nop 3
	global_store_short v9, v49, s[2:3]
	s_or_b64 exec, exec, s[0:1]
	v_cmp_ge_u32_e32 vcc, v46, v8
	s_and_saveexec_b64 s[0:1], vcc
	s_cbranch_execz .LBB2564_126
.LBB2564_221:
	v_lshlrev_b32_e32 v9, 1, v46
	v_readfirstlane_b32 s2, v6
	v_readfirstlane_b32 s3, v7
	s_waitcnt lgkmcnt(14)
	s_nop 3
	global_store_short v9, v47, s[2:3]
	s_or_b64 exec, exec, s[0:1]
	v_cmp_ge_u32_e32 vcc, v44, v8
	s_and_saveexec_b64 s[0:1], vcc
	s_cbranch_execz .LBB2564_127
.LBB2564_222:
	v_lshlrev_b32_e32 v9, 1, v44
	v_readfirstlane_b32 s2, v6
	v_readfirstlane_b32 s3, v7
	s_waitcnt lgkmcnt(14)
	s_nop 3
	global_store_short v9, v45, s[2:3]
	s_or_b64 exec, exec, s[0:1]
	v_cmp_ge_u32_e32 vcc, v42, v8
	s_and_saveexec_b64 s[0:1], vcc
	s_cbranch_execz .LBB2564_128
.LBB2564_223:
	v_lshlrev_b32_e32 v9, 1, v42
	v_readfirstlane_b32 s2, v6
	v_readfirstlane_b32 s3, v7
	s_waitcnt lgkmcnt(14)
	s_nop 3
	global_store_short v9, v43, s[2:3]
	s_or_b64 exec, exec, s[0:1]
	v_cmp_ge_u32_e32 vcc, v40, v8
	s_and_saveexec_b64 s[0:1], vcc
	s_cbranch_execz .LBB2564_129
.LBB2564_224:
	v_lshlrev_b32_e32 v9, 1, v40
	v_readfirstlane_b32 s2, v6
	v_readfirstlane_b32 s3, v7
	s_waitcnt lgkmcnt(14)
	s_nop 3
	global_store_short v9, v41, s[2:3]
	s_or_b64 exec, exec, s[0:1]
	v_cmp_ge_u32_e32 vcc, v37, v8
	s_and_saveexec_b64 s[0:1], vcc
	s_cbranch_execz .LBB2564_130
.LBB2564_225:
	v_lshlrev_b32_e32 v9, 1, v37
	v_readfirstlane_b32 s2, v6
	v_readfirstlane_b32 s3, v7
	s_waitcnt lgkmcnt(14)
	s_nop 3
	global_store_short v9, v39, s[2:3]
	s_or_b64 exec, exec, s[0:1]
	v_cmp_ge_u32_e32 vcc, v36, v8
	s_and_saveexec_b64 s[0:1], vcc
	s_cbranch_execz .LBB2564_131
.LBB2564_226:
	v_lshlrev_b32_e32 v9, 1, v36
	v_readfirstlane_b32 s2, v6
	v_readfirstlane_b32 s3, v7
	s_waitcnt lgkmcnt(13)
	s_nop 3
	global_store_short v9, v38, s[2:3]
	s_or_b64 exec, exec, s[0:1]
	v_cmp_ge_u32_e32 vcc, v34, v8
	s_and_saveexec_b64 s[0:1], vcc
	s_cbranch_execz .LBB2564_132
.LBB2564_227:
	v_lshlrev_b32_e32 v9, 1, v34
	v_readfirstlane_b32 s2, v6
	v_readfirstlane_b32 s3, v7
	s_waitcnt lgkmcnt(12)
	s_nop 3
	global_store_short v9, v35, s[2:3]
	s_or_b64 exec, exec, s[0:1]
	v_cmp_ge_u32_e32 vcc, v32, v8
	s_and_saveexec_b64 s[0:1], vcc
	s_cbranch_execz .LBB2564_133
.LBB2564_228:
	v_lshlrev_b32_e32 v9, 1, v32
	v_readfirstlane_b32 s2, v6
	v_readfirstlane_b32 s3, v7
	s_waitcnt lgkmcnt(11)
	s_nop 3
	global_store_short v9, v33, s[2:3]
	s_or_b64 exec, exec, s[0:1]
	v_cmp_ge_u32_e32 vcc, v30, v8
	s_and_saveexec_b64 s[0:1], vcc
	s_cbranch_execz .LBB2564_134
.LBB2564_229:
	v_lshlrev_b32_e32 v9, 1, v30
	v_readfirstlane_b32 s2, v6
	v_readfirstlane_b32 s3, v7
	s_waitcnt lgkmcnt(10)
	s_nop 3
	global_store_short v9, v31, s[2:3]
	s_or_b64 exec, exec, s[0:1]
	v_cmp_ge_u32_e32 vcc, v28, v8
	s_and_saveexec_b64 s[0:1], vcc
	s_cbranch_execz .LBB2564_135
.LBB2564_230:
	v_lshlrev_b32_e32 v9, 1, v28
	v_readfirstlane_b32 s2, v6
	v_readfirstlane_b32 s3, v7
	s_waitcnt lgkmcnt(9)
	s_nop 3
	global_store_short v9, v29, s[2:3]
	s_or_b64 exec, exec, s[0:1]
	v_cmp_ge_u32_e32 vcc, v26, v8
	s_and_saveexec_b64 s[0:1], vcc
	s_cbranch_execz .LBB2564_136
.LBB2564_231:
	v_lshlrev_b32_e32 v9, 1, v26
	v_readfirstlane_b32 s2, v6
	v_readfirstlane_b32 s3, v7
	s_waitcnt lgkmcnt(8)
	s_nop 3
	global_store_short v9, v27, s[2:3]
	s_or_b64 exec, exec, s[0:1]
	v_cmp_ge_u32_e32 vcc, v22, v8
	s_and_saveexec_b64 s[0:1], vcc
	s_cbranch_execz .LBB2564_137
.LBB2564_232:
	v_lshlrev_b32_e32 v9, 1, v22
	v_readfirstlane_b32 s2, v6
	v_readfirstlane_b32 s3, v7
	s_waitcnt lgkmcnt(7)
	s_nop 3
	global_store_short v9, v23, s[2:3]
	s_or_b64 exec, exec, s[0:1]
	v_cmp_ge_u32_e32 vcc, v20, v8
	s_and_saveexec_b64 s[0:1], vcc
	s_cbranch_execz .LBB2564_138
.LBB2564_233:
	v_lshlrev_b32_e32 v9, 1, v20
	v_readfirstlane_b32 s2, v6
	v_readfirstlane_b32 s3, v7
	s_waitcnt lgkmcnt(6)
	s_nop 3
	global_store_short v9, v21, s[2:3]
	s_or_b64 exec, exec, s[0:1]
	v_cmp_ge_u32_e32 vcc, v18, v8
	s_and_saveexec_b64 s[0:1], vcc
	s_cbranch_execz .LBB2564_139
.LBB2564_234:
	v_lshlrev_b32_e32 v9, 1, v18
	v_readfirstlane_b32 s2, v6
	v_readfirstlane_b32 s3, v7
	s_waitcnt lgkmcnt(5)
	s_nop 3
	global_store_short v9, v19, s[2:3]
	s_or_b64 exec, exec, s[0:1]
	v_cmp_ge_u32_e32 vcc, v16, v8
	s_and_saveexec_b64 s[0:1], vcc
	s_cbranch_execz .LBB2564_140
.LBB2564_235:
	v_lshlrev_b32_e32 v9, 1, v16
	v_readfirstlane_b32 s2, v6
	v_readfirstlane_b32 s3, v7
	s_waitcnt lgkmcnt(4)
	s_nop 3
	global_store_short v9, v17, s[2:3]
	s_or_b64 exec, exec, s[0:1]
	v_cmp_ge_u32_e32 vcc, v14, v8
	s_and_saveexec_b64 s[0:1], vcc
	s_cbranch_execz .LBB2564_141
.LBB2564_236:
	v_lshlrev_b32_e32 v9, 1, v14
	v_readfirstlane_b32 s2, v6
	v_readfirstlane_b32 s3, v7
	s_waitcnt lgkmcnt(3)
	s_nop 3
	global_store_short v9, v15, s[2:3]
	s_or_b64 exec, exec, s[0:1]
	v_cmp_ge_u32_e32 vcc, v12, v8
	s_and_saveexec_b64 s[0:1], vcc
	s_cbranch_execz .LBB2564_142
.LBB2564_237:
	v_lshlrev_b32_e32 v9, 1, v12
	v_readfirstlane_b32 s2, v6
	v_readfirstlane_b32 s3, v7
	s_waitcnt lgkmcnt(2)
	s_nop 3
	global_store_short v9, v13, s[2:3]
	s_or_b64 exec, exec, s[0:1]
	v_cmp_ge_u32_e32 vcc, v10, v8
	s_and_saveexec_b64 s[0:1], vcc
	s_cbranch_execnz .LBB2564_143
	s_branch .LBB2564_144
	.section	.rodata,"a",@progbits
	.p2align	6, 0x0
	.amdhsa_kernel _ZN7rocprim17ROCPRIM_400000_NS6detail17trampoline_kernelINS0_14default_configENS1_25partition_config_selectorILNS1_17partition_subalgoE0EtNS0_10empty_typeEbEEZZNS1_14partition_implILS5_0ELb0ES3_jN6thrust23THRUST_200600_302600_NS6detail15normal_iteratorINSA_10device_ptrItEEEEPS6_SG_NS0_5tupleIJNSA_16discard_iteratorINSA_11use_defaultEEESF_EEENSH_IJSG_SG_EEES6_PlJ7is_evenItEEEE10hipError_tPvRmT3_T4_T5_T6_T7_T9_mT8_P12ihipStream_tbDpT10_ENKUlT_T0_E_clISt17integral_constantIbLb1EES19_EEDaS14_S15_EUlS14_E_NS1_11comp_targetILNS1_3genE5ELNS1_11target_archE942ELNS1_3gpuE9ELNS1_3repE0EEENS1_30default_config_static_selectorELNS0_4arch9wavefront6targetE1EEEvT1_
		.amdhsa_group_segment_fixed_size 30728
		.amdhsa_private_segment_fixed_size 0
		.amdhsa_kernarg_size 144
		.amdhsa_user_sgpr_count 2
		.amdhsa_user_sgpr_dispatch_ptr 0
		.amdhsa_user_sgpr_queue_ptr 0
		.amdhsa_user_sgpr_kernarg_segment_ptr 1
		.amdhsa_user_sgpr_dispatch_id 0
		.amdhsa_user_sgpr_kernarg_preload_length 0
		.amdhsa_user_sgpr_kernarg_preload_offset 0
		.amdhsa_user_sgpr_private_segment_size 0
		.amdhsa_uses_dynamic_stack 0
		.amdhsa_enable_private_segment 0
		.amdhsa_system_sgpr_workgroup_id_x 1
		.amdhsa_system_sgpr_workgroup_id_y 0
		.amdhsa_system_sgpr_workgroup_id_z 0
		.amdhsa_system_sgpr_workgroup_info 0
		.amdhsa_system_vgpr_workitem_id 0
		.amdhsa_next_free_vgpr 124
		.amdhsa_next_free_sgpr 42
		.amdhsa_accum_offset 124
		.amdhsa_reserve_vcc 1
		.amdhsa_float_round_mode_32 0
		.amdhsa_float_round_mode_16_64 0
		.amdhsa_float_denorm_mode_32 3
		.amdhsa_float_denorm_mode_16_64 3
		.amdhsa_dx10_clamp 1
		.amdhsa_ieee_mode 1
		.amdhsa_fp16_overflow 0
		.amdhsa_tg_split 0
		.amdhsa_exception_fp_ieee_invalid_op 0
		.amdhsa_exception_fp_denorm_src 0
		.amdhsa_exception_fp_ieee_div_zero 0
		.amdhsa_exception_fp_ieee_overflow 0
		.amdhsa_exception_fp_ieee_underflow 0
		.amdhsa_exception_fp_ieee_inexact 0
		.amdhsa_exception_int_div_zero 0
	.end_amdhsa_kernel
	.section	.text._ZN7rocprim17ROCPRIM_400000_NS6detail17trampoline_kernelINS0_14default_configENS1_25partition_config_selectorILNS1_17partition_subalgoE0EtNS0_10empty_typeEbEEZZNS1_14partition_implILS5_0ELb0ES3_jN6thrust23THRUST_200600_302600_NS6detail15normal_iteratorINSA_10device_ptrItEEEEPS6_SG_NS0_5tupleIJNSA_16discard_iteratorINSA_11use_defaultEEESF_EEENSH_IJSG_SG_EEES6_PlJ7is_evenItEEEE10hipError_tPvRmT3_T4_T5_T6_T7_T9_mT8_P12ihipStream_tbDpT10_ENKUlT_T0_E_clISt17integral_constantIbLb1EES19_EEDaS14_S15_EUlS14_E_NS1_11comp_targetILNS1_3genE5ELNS1_11target_archE942ELNS1_3gpuE9ELNS1_3repE0EEENS1_30default_config_static_selectorELNS0_4arch9wavefront6targetE1EEEvT1_,"axG",@progbits,_ZN7rocprim17ROCPRIM_400000_NS6detail17trampoline_kernelINS0_14default_configENS1_25partition_config_selectorILNS1_17partition_subalgoE0EtNS0_10empty_typeEbEEZZNS1_14partition_implILS5_0ELb0ES3_jN6thrust23THRUST_200600_302600_NS6detail15normal_iteratorINSA_10device_ptrItEEEEPS6_SG_NS0_5tupleIJNSA_16discard_iteratorINSA_11use_defaultEEESF_EEENSH_IJSG_SG_EEES6_PlJ7is_evenItEEEE10hipError_tPvRmT3_T4_T5_T6_T7_T9_mT8_P12ihipStream_tbDpT10_ENKUlT_T0_E_clISt17integral_constantIbLb1EES19_EEDaS14_S15_EUlS14_E_NS1_11comp_targetILNS1_3genE5ELNS1_11target_archE942ELNS1_3gpuE9ELNS1_3repE0EEENS1_30default_config_static_selectorELNS0_4arch9wavefront6targetE1EEEvT1_,comdat
.Lfunc_end2564:
	.size	_ZN7rocprim17ROCPRIM_400000_NS6detail17trampoline_kernelINS0_14default_configENS1_25partition_config_selectorILNS1_17partition_subalgoE0EtNS0_10empty_typeEbEEZZNS1_14partition_implILS5_0ELb0ES3_jN6thrust23THRUST_200600_302600_NS6detail15normal_iteratorINSA_10device_ptrItEEEEPS6_SG_NS0_5tupleIJNSA_16discard_iteratorINSA_11use_defaultEEESF_EEENSH_IJSG_SG_EEES6_PlJ7is_evenItEEEE10hipError_tPvRmT3_T4_T5_T6_T7_T9_mT8_P12ihipStream_tbDpT10_ENKUlT_T0_E_clISt17integral_constantIbLb1EES19_EEDaS14_S15_EUlS14_E_NS1_11comp_targetILNS1_3genE5ELNS1_11target_archE942ELNS1_3gpuE9ELNS1_3repE0EEENS1_30default_config_static_selectorELNS0_4arch9wavefront6targetE1EEEvT1_, .Lfunc_end2564-_ZN7rocprim17ROCPRIM_400000_NS6detail17trampoline_kernelINS0_14default_configENS1_25partition_config_selectorILNS1_17partition_subalgoE0EtNS0_10empty_typeEbEEZZNS1_14partition_implILS5_0ELb0ES3_jN6thrust23THRUST_200600_302600_NS6detail15normal_iteratorINSA_10device_ptrItEEEEPS6_SG_NS0_5tupleIJNSA_16discard_iteratorINSA_11use_defaultEEESF_EEENSH_IJSG_SG_EEES6_PlJ7is_evenItEEEE10hipError_tPvRmT3_T4_T5_T6_T7_T9_mT8_P12ihipStream_tbDpT10_ENKUlT_T0_E_clISt17integral_constantIbLb1EES19_EEDaS14_S15_EUlS14_E_NS1_11comp_targetILNS1_3genE5ELNS1_11target_archE942ELNS1_3gpuE9ELNS1_3repE0EEENS1_30default_config_static_selectorELNS0_4arch9wavefront6targetE1EEEvT1_
                                        ; -- End function
	.section	.AMDGPU.csdata,"",@progbits
; Kernel info:
; codeLenInByte = 11312
; NumSgprs: 48
; NumVgprs: 124
; NumAgprs: 0
; TotalNumVgprs: 124
; ScratchSize: 0
; MemoryBound: 0
; FloatMode: 240
; IeeeMode: 1
; LDSByteSize: 30728 bytes/workgroup (compile time only)
; SGPRBlocks: 5
; VGPRBlocks: 15
; NumSGPRsForWavesPerEU: 48
; NumVGPRsForWavesPerEU: 124
; AccumOffset: 124
; Occupancy: 4
; WaveLimiterHint : 1
; COMPUTE_PGM_RSRC2:SCRATCH_EN: 0
; COMPUTE_PGM_RSRC2:USER_SGPR: 2
; COMPUTE_PGM_RSRC2:TRAP_HANDLER: 0
; COMPUTE_PGM_RSRC2:TGID_X_EN: 1
; COMPUTE_PGM_RSRC2:TGID_Y_EN: 0
; COMPUTE_PGM_RSRC2:TGID_Z_EN: 0
; COMPUTE_PGM_RSRC2:TIDIG_COMP_CNT: 0
; COMPUTE_PGM_RSRC3_GFX90A:ACCUM_OFFSET: 30
; COMPUTE_PGM_RSRC3_GFX90A:TG_SPLIT: 0
	.section	.text._ZN7rocprim17ROCPRIM_400000_NS6detail17trampoline_kernelINS0_14default_configENS1_25partition_config_selectorILNS1_17partition_subalgoE0EtNS0_10empty_typeEbEEZZNS1_14partition_implILS5_0ELb0ES3_jN6thrust23THRUST_200600_302600_NS6detail15normal_iteratorINSA_10device_ptrItEEEEPS6_SG_NS0_5tupleIJNSA_16discard_iteratorINSA_11use_defaultEEESF_EEENSH_IJSG_SG_EEES6_PlJ7is_evenItEEEE10hipError_tPvRmT3_T4_T5_T6_T7_T9_mT8_P12ihipStream_tbDpT10_ENKUlT_T0_E_clISt17integral_constantIbLb1EES19_EEDaS14_S15_EUlS14_E_NS1_11comp_targetILNS1_3genE4ELNS1_11target_archE910ELNS1_3gpuE8ELNS1_3repE0EEENS1_30default_config_static_selectorELNS0_4arch9wavefront6targetE1EEEvT1_,"axG",@progbits,_ZN7rocprim17ROCPRIM_400000_NS6detail17trampoline_kernelINS0_14default_configENS1_25partition_config_selectorILNS1_17partition_subalgoE0EtNS0_10empty_typeEbEEZZNS1_14partition_implILS5_0ELb0ES3_jN6thrust23THRUST_200600_302600_NS6detail15normal_iteratorINSA_10device_ptrItEEEEPS6_SG_NS0_5tupleIJNSA_16discard_iteratorINSA_11use_defaultEEESF_EEENSH_IJSG_SG_EEES6_PlJ7is_evenItEEEE10hipError_tPvRmT3_T4_T5_T6_T7_T9_mT8_P12ihipStream_tbDpT10_ENKUlT_T0_E_clISt17integral_constantIbLb1EES19_EEDaS14_S15_EUlS14_E_NS1_11comp_targetILNS1_3genE4ELNS1_11target_archE910ELNS1_3gpuE8ELNS1_3repE0EEENS1_30default_config_static_selectorELNS0_4arch9wavefront6targetE1EEEvT1_,comdat
	.protected	_ZN7rocprim17ROCPRIM_400000_NS6detail17trampoline_kernelINS0_14default_configENS1_25partition_config_selectorILNS1_17partition_subalgoE0EtNS0_10empty_typeEbEEZZNS1_14partition_implILS5_0ELb0ES3_jN6thrust23THRUST_200600_302600_NS6detail15normal_iteratorINSA_10device_ptrItEEEEPS6_SG_NS0_5tupleIJNSA_16discard_iteratorINSA_11use_defaultEEESF_EEENSH_IJSG_SG_EEES6_PlJ7is_evenItEEEE10hipError_tPvRmT3_T4_T5_T6_T7_T9_mT8_P12ihipStream_tbDpT10_ENKUlT_T0_E_clISt17integral_constantIbLb1EES19_EEDaS14_S15_EUlS14_E_NS1_11comp_targetILNS1_3genE4ELNS1_11target_archE910ELNS1_3gpuE8ELNS1_3repE0EEENS1_30default_config_static_selectorELNS0_4arch9wavefront6targetE1EEEvT1_ ; -- Begin function _ZN7rocprim17ROCPRIM_400000_NS6detail17trampoline_kernelINS0_14default_configENS1_25partition_config_selectorILNS1_17partition_subalgoE0EtNS0_10empty_typeEbEEZZNS1_14partition_implILS5_0ELb0ES3_jN6thrust23THRUST_200600_302600_NS6detail15normal_iteratorINSA_10device_ptrItEEEEPS6_SG_NS0_5tupleIJNSA_16discard_iteratorINSA_11use_defaultEEESF_EEENSH_IJSG_SG_EEES6_PlJ7is_evenItEEEE10hipError_tPvRmT3_T4_T5_T6_T7_T9_mT8_P12ihipStream_tbDpT10_ENKUlT_T0_E_clISt17integral_constantIbLb1EES19_EEDaS14_S15_EUlS14_E_NS1_11comp_targetILNS1_3genE4ELNS1_11target_archE910ELNS1_3gpuE8ELNS1_3repE0EEENS1_30default_config_static_selectorELNS0_4arch9wavefront6targetE1EEEvT1_
	.globl	_ZN7rocprim17ROCPRIM_400000_NS6detail17trampoline_kernelINS0_14default_configENS1_25partition_config_selectorILNS1_17partition_subalgoE0EtNS0_10empty_typeEbEEZZNS1_14partition_implILS5_0ELb0ES3_jN6thrust23THRUST_200600_302600_NS6detail15normal_iteratorINSA_10device_ptrItEEEEPS6_SG_NS0_5tupleIJNSA_16discard_iteratorINSA_11use_defaultEEESF_EEENSH_IJSG_SG_EEES6_PlJ7is_evenItEEEE10hipError_tPvRmT3_T4_T5_T6_T7_T9_mT8_P12ihipStream_tbDpT10_ENKUlT_T0_E_clISt17integral_constantIbLb1EES19_EEDaS14_S15_EUlS14_E_NS1_11comp_targetILNS1_3genE4ELNS1_11target_archE910ELNS1_3gpuE8ELNS1_3repE0EEENS1_30default_config_static_selectorELNS0_4arch9wavefront6targetE1EEEvT1_
	.p2align	8
	.type	_ZN7rocprim17ROCPRIM_400000_NS6detail17trampoline_kernelINS0_14default_configENS1_25partition_config_selectorILNS1_17partition_subalgoE0EtNS0_10empty_typeEbEEZZNS1_14partition_implILS5_0ELb0ES3_jN6thrust23THRUST_200600_302600_NS6detail15normal_iteratorINSA_10device_ptrItEEEEPS6_SG_NS0_5tupleIJNSA_16discard_iteratorINSA_11use_defaultEEESF_EEENSH_IJSG_SG_EEES6_PlJ7is_evenItEEEE10hipError_tPvRmT3_T4_T5_T6_T7_T9_mT8_P12ihipStream_tbDpT10_ENKUlT_T0_E_clISt17integral_constantIbLb1EES19_EEDaS14_S15_EUlS14_E_NS1_11comp_targetILNS1_3genE4ELNS1_11target_archE910ELNS1_3gpuE8ELNS1_3repE0EEENS1_30default_config_static_selectorELNS0_4arch9wavefront6targetE1EEEvT1_,@function
_ZN7rocprim17ROCPRIM_400000_NS6detail17trampoline_kernelINS0_14default_configENS1_25partition_config_selectorILNS1_17partition_subalgoE0EtNS0_10empty_typeEbEEZZNS1_14partition_implILS5_0ELb0ES3_jN6thrust23THRUST_200600_302600_NS6detail15normal_iteratorINSA_10device_ptrItEEEEPS6_SG_NS0_5tupleIJNSA_16discard_iteratorINSA_11use_defaultEEESF_EEENSH_IJSG_SG_EEES6_PlJ7is_evenItEEEE10hipError_tPvRmT3_T4_T5_T6_T7_T9_mT8_P12ihipStream_tbDpT10_ENKUlT_T0_E_clISt17integral_constantIbLb1EES19_EEDaS14_S15_EUlS14_E_NS1_11comp_targetILNS1_3genE4ELNS1_11target_archE910ELNS1_3gpuE8ELNS1_3repE0EEENS1_30default_config_static_selectorELNS0_4arch9wavefront6targetE1EEEvT1_: ; @_ZN7rocprim17ROCPRIM_400000_NS6detail17trampoline_kernelINS0_14default_configENS1_25partition_config_selectorILNS1_17partition_subalgoE0EtNS0_10empty_typeEbEEZZNS1_14partition_implILS5_0ELb0ES3_jN6thrust23THRUST_200600_302600_NS6detail15normal_iteratorINSA_10device_ptrItEEEEPS6_SG_NS0_5tupleIJNSA_16discard_iteratorINSA_11use_defaultEEESF_EEENSH_IJSG_SG_EEES6_PlJ7is_evenItEEEE10hipError_tPvRmT3_T4_T5_T6_T7_T9_mT8_P12ihipStream_tbDpT10_ENKUlT_T0_E_clISt17integral_constantIbLb1EES19_EEDaS14_S15_EUlS14_E_NS1_11comp_targetILNS1_3genE4ELNS1_11target_archE910ELNS1_3gpuE8ELNS1_3repE0EEENS1_30default_config_static_selectorELNS0_4arch9wavefront6targetE1EEEvT1_
; %bb.0:
	.section	.rodata,"a",@progbits
	.p2align	6, 0x0
	.amdhsa_kernel _ZN7rocprim17ROCPRIM_400000_NS6detail17trampoline_kernelINS0_14default_configENS1_25partition_config_selectorILNS1_17partition_subalgoE0EtNS0_10empty_typeEbEEZZNS1_14partition_implILS5_0ELb0ES3_jN6thrust23THRUST_200600_302600_NS6detail15normal_iteratorINSA_10device_ptrItEEEEPS6_SG_NS0_5tupleIJNSA_16discard_iteratorINSA_11use_defaultEEESF_EEENSH_IJSG_SG_EEES6_PlJ7is_evenItEEEE10hipError_tPvRmT3_T4_T5_T6_T7_T9_mT8_P12ihipStream_tbDpT10_ENKUlT_T0_E_clISt17integral_constantIbLb1EES19_EEDaS14_S15_EUlS14_E_NS1_11comp_targetILNS1_3genE4ELNS1_11target_archE910ELNS1_3gpuE8ELNS1_3repE0EEENS1_30default_config_static_selectorELNS0_4arch9wavefront6targetE1EEEvT1_
		.amdhsa_group_segment_fixed_size 0
		.amdhsa_private_segment_fixed_size 0
		.amdhsa_kernarg_size 144
		.amdhsa_user_sgpr_count 2
		.amdhsa_user_sgpr_dispatch_ptr 0
		.amdhsa_user_sgpr_queue_ptr 0
		.amdhsa_user_sgpr_kernarg_segment_ptr 1
		.amdhsa_user_sgpr_dispatch_id 0
		.amdhsa_user_sgpr_kernarg_preload_length 0
		.amdhsa_user_sgpr_kernarg_preload_offset 0
		.amdhsa_user_sgpr_private_segment_size 0
		.amdhsa_uses_dynamic_stack 0
		.amdhsa_enable_private_segment 0
		.amdhsa_system_sgpr_workgroup_id_x 1
		.amdhsa_system_sgpr_workgroup_id_y 0
		.amdhsa_system_sgpr_workgroup_id_z 0
		.amdhsa_system_sgpr_workgroup_info 0
		.amdhsa_system_vgpr_workitem_id 0
		.amdhsa_next_free_vgpr 1
		.amdhsa_next_free_sgpr 0
		.amdhsa_accum_offset 4
		.amdhsa_reserve_vcc 0
		.amdhsa_float_round_mode_32 0
		.amdhsa_float_round_mode_16_64 0
		.amdhsa_float_denorm_mode_32 3
		.amdhsa_float_denorm_mode_16_64 3
		.amdhsa_dx10_clamp 1
		.amdhsa_ieee_mode 1
		.amdhsa_fp16_overflow 0
		.amdhsa_tg_split 0
		.amdhsa_exception_fp_ieee_invalid_op 0
		.amdhsa_exception_fp_denorm_src 0
		.amdhsa_exception_fp_ieee_div_zero 0
		.amdhsa_exception_fp_ieee_overflow 0
		.amdhsa_exception_fp_ieee_underflow 0
		.amdhsa_exception_fp_ieee_inexact 0
		.amdhsa_exception_int_div_zero 0
	.end_amdhsa_kernel
	.section	.text._ZN7rocprim17ROCPRIM_400000_NS6detail17trampoline_kernelINS0_14default_configENS1_25partition_config_selectorILNS1_17partition_subalgoE0EtNS0_10empty_typeEbEEZZNS1_14partition_implILS5_0ELb0ES3_jN6thrust23THRUST_200600_302600_NS6detail15normal_iteratorINSA_10device_ptrItEEEEPS6_SG_NS0_5tupleIJNSA_16discard_iteratorINSA_11use_defaultEEESF_EEENSH_IJSG_SG_EEES6_PlJ7is_evenItEEEE10hipError_tPvRmT3_T4_T5_T6_T7_T9_mT8_P12ihipStream_tbDpT10_ENKUlT_T0_E_clISt17integral_constantIbLb1EES19_EEDaS14_S15_EUlS14_E_NS1_11comp_targetILNS1_3genE4ELNS1_11target_archE910ELNS1_3gpuE8ELNS1_3repE0EEENS1_30default_config_static_selectorELNS0_4arch9wavefront6targetE1EEEvT1_,"axG",@progbits,_ZN7rocprim17ROCPRIM_400000_NS6detail17trampoline_kernelINS0_14default_configENS1_25partition_config_selectorILNS1_17partition_subalgoE0EtNS0_10empty_typeEbEEZZNS1_14partition_implILS5_0ELb0ES3_jN6thrust23THRUST_200600_302600_NS6detail15normal_iteratorINSA_10device_ptrItEEEEPS6_SG_NS0_5tupleIJNSA_16discard_iteratorINSA_11use_defaultEEESF_EEENSH_IJSG_SG_EEES6_PlJ7is_evenItEEEE10hipError_tPvRmT3_T4_T5_T6_T7_T9_mT8_P12ihipStream_tbDpT10_ENKUlT_T0_E_clISt17integral_constantIbLb1EES19_EEDaS14_S15_EUlS14_E_NS1_11comp_targetILNS1_3genE4ELNS1_11target_archE910ELNS1_3gpuE8ELNS1_3repE0EEENS1_30default_config_static_selectorELNS0_4arch9wavefront6targetE1EEEvT1_,comdat
.Lfunc_end2565:
	.size	_ZN7rocprim17ROCPRIM_400000_NS6detail17trampoline_kernelINS0_14default_configENS1_25partition_config_selectorILNS1_17partition_subalgoE0EtNS0_10empty_typeEbEEZZNS1_14partition_implILS5_0ELb0ES3_jN6thrust23THRUST_200600_302600_NS6detail15normal_iteratorINSA_10device_ptrItEEEEPS6_SG_NS0_5tupleIJNSA_16discard_iteratorINSA_11use_defaultEEESF_EEENSH_IJSG_SG_EEES6_PlJ7is_evenItEEEE10hipError_tPvRmT3_T4_T5_T6_T7_T9_mT8_P12ihipStream_tbDpT10_ENKUlT_T0_E_clISt17integral_constantIbLb1EES19_EEDaS14_S15_EUlS14_E_NS1_11comp_targetILNS1_3genE4ELNS1_11target_archE910ELNS1_3gpuE8ELNS1_3repE0EEENS1_30default_config_static_selectorELNS0_4arch9wavefront6targetE1EEEvT1_, .Lfunc_end2565-_ZN7rocprim17ROCPRIM_400000_NS6detail17trampoline_kernelINS0_14default_configENS1_25partition_config_selectorILNS1_17partition_subalgoE0EtNS0_10empty_typeEbEEZZNS1_14partition_implILS5_0ELb0ES3_jN6thrust23THRUST_200600_302600_NS6detail15normal_iteratorINSA_10device_ptrItEEEEPS6_SG_NS0_5tupleIJNSA_16discard_iteratorINSA_11use_defaultEEESF_EEENSH_IJSG_SG_EEES6_PlJ7is_evenItEEEE10hipError_tPvRmT3_T4_T5_T6_T7_T9_mT8_P12ihipStream_tbDpT10_ENKUlT_T0_E_clISt17integral_constantIbLb1EES19_EEDaS14_S15_EUlS14_E_NS1_11comp_targetILNS1_3genE4ELNS1_11target_archE910ELNS1_3gpuE8ELNS1_3repE0EEENS1_30default_config_static_selectorELNS0_4arch9wavefront6targetE1EEEvT1_
                                        ; -- End function
	.section	.AMDGPU.csdata,"",@progbits
; Kernel info:
; codeLenInByte = 0
; NumSgprs: 6
; NumVgprs: 0
; NumAgprs: 0
; TotalNumVgprs: 0
; ScratchSize: 0
; MemoryBound: 0
; FloatMode: 240
; IeeeMode: 1
; LDSByteSize: 0 bytes/workgroup (compile time only)
; SGPRBlocks: 0
; VGPRBlocks: 0
; NumSGPRsForWavesPerEU: 6
; NumVGPRsForWavesPerEU: 1
; AccumOffset: 4
; Occupancy: 8
; WaveLimiterHint : 0
; COMPUTE_PGM_RSRC2:SCRATCH_EN: 0
; COMPUTE_PGM_RSRC2:USER_SGPR: 2
; COMPUTE_PGM_RSRC2:TRAP_HANDLER: 0
; COMPUTE_PGM_RSRC2:TGID_X_EN: 1
; COMPUTE_PGM_RSRC2:TGID_Y_EN: 0
; COMPUTE_PGM_RSRC2:TGID_Z_EN: 0
; COMPUTE_PGM_RSRC2:TIDIG_COMP_CNT: 0
; COMPUTE_PGM_RSRC3_GFX90A:ACCUM_OFFSET: 0
; COMPUTE_PGM_RSRC3_GFX90A:TG_SPLIT: 0
	.section	.text._ZN7rocprim17ROCPRIM_400000_NS6detail17trampoline_kernelINS0_14default_configENS1_25partition_config_selectorILNS1_17partition_subalgoE0EtNS0_10empty_typeEbEEZZNS1_14partition_implILS5_0ELb0ES3_jN6thrust23THRUST_200600_302600_NS6detail15normal_iteratorINSA_10device_ptrItEEEEPS6_SG_NS0_5tupleIJNSA_16discard_iteratorINSA_11use_defaultEEESF_EEENSH_IJSG_SG_EEES6_PlJ7is_evenItEEEE10hipError_tPvRmT3_T4_T5_T6_T7_T9_mT8_P12ihipStream_tbDpT10_ENKUlT_T0_E_clISt17integral_constantIbLb1EES19_EEDaS14_S15_EUlS14_E_NS1_11comp_targetILNS1_3genE3ELNS1_11target_archE908ELNS1_3gpuE7ELNS1_3repE0EEENS1_30default_config_static_selectorELNS0_4arch9wavefront6targetE1EEEvT1_,"axG",@progbits,_ZN7rocprim17ROCPRIM_400000_NS6detail17trampoline_kernelINS0_14default_configENS1_25partition_config_selectorILNS1_17partition_subalgoE0EtNS0_10empty_typeEbEEZZNS1_14partition_implILS5_0ELb0ES3_jN6thrust23THRUST_200600_302600_NS6detail15normal_iteratorINSA_10device_ptrItEEEEPS6_SG_NS0_5tupleIJNSA_16discard_iteratorINSA_11use_defaultEEESF_EEENSH_IJSG_SG_EEES6_PlJ7is_evenItEEEE10hipError_tPvRmT3_T4_T5_T6_T7_T9_mT8_P12ihipStream_tbDpT10_ENKUlT_T0_E_clISt17integral_constantIbLb1EES19_EEDaS14_S15_EUlS14_E_NS1_11comp_targetILNS1_3genE3ELNS1_11target_archE908ELNS1_3gpuE7ELNS1_3repE0EEENS1_30default_config_static_selectorELNS0_4arch9wavefront6targetE1EEEvT1_,comdat
	.protected	_ZN7rocprim17ROCPRIM_400000_NS6detail17trampoline_kernelINS0_14default_configENS1_25partition_config_selectorILNS1_17partition_subalgoE0EtNS0_10empty_typeEbEEZZNS1_14partition_implILS5_0ELb0ES3_jN6thrust23THRUST_200600_302600_NS6detail15normal_iteratorINSA_10device_ptrItEEEEPS6_SG_NS0_5tupleIJNSA_16discard_iteratorINSA_11use_defaultEEESF_EEENSH_IJSG_SG_EEES6_PlJ7is_evenItEEEE10hipError_tPvRmT3_T4_T5_T6_T7_T9_mT8_P12ihipStream_tbDpT10_ENKUlT_T0_E_clISt17integral_constantIbLb1EES19_EEDaS14_S15_EUlS14_E_NS1_11comp_targetILNS1_3genE3ELNS1_11target_archE908ELNS1_3gpuE7ELNS1_3repE0EEENS1_30default_config_static_selectorELNS0_4arch9wavefront6targetE1EEEvT1_ ; -- Begin function _ZN7rocprim17ROCPRIM_400000_NS6detail17trampoline_kernelINS0_14default_configENS1_25partition_config_selectorILNS1_17partition_subalgoE0EtNS0_10empty_typeEbEEZZNS1_14partition_implILS5_0ELb0ES3_jN6thrust23THRUST_200600_302600_NS6detail15normal_iteratorINSA_10device_ptrItEEEEPS6_SG_NS0_5tupleIJNSA_16discard_iteratorINSA_11use_defaultEEESF_EEENSH_IJSG_SG_EEES6_PlJ7is_evenItEEEE10hipError_tPvRmT3_T4_T5_T6_T7_T9_mT8_P12ihipStream_tbDpT10_ENKUlT_T0_E_clISt17integral_constantIbLb1EES19_EEDaS14_S15_EUlS14_E_NS1_11comp_targetILNS1_3genE3ELNS1_11target_archE908ELNS1_3gpuE7ELNS1_3repE0EEENS1_30default_config_static_selectorELNS0_4arch9wavefront6targetE1EEEvT1_
	.globl	_ZN7rocprim17ROCPRIM_400000_NS6detail17trampoline_kernelINS0_14default_configENS1_25partition_config_selectorILNS1_17partition_subalgoE0EtNS0_10empty_typeEbEEZZNS1_14partition_implILS5_0ELb0ES3_jN6thrust23THRUST_200600_302600_NS6detail15normal_iteratorINSA_10device_ptrItEEEEPS6_SG_NS0_5tupleIJNSA_16discard_iteratorINSA_11use_defaultEEESF_EEENSH_IJSG_SG_EEES6_PlJ7is_evenItEEEE10hipError_tPvRmT3_T4_T5_T6_T7_T9_mT8_P12ihipStream_tbDpT10_ENKUlT_T0_E_clISt17integral_constantIbLb1EES19_EEDaS14_S15_EUlS14_E_NS1_11comp_targetILNS1_3genE3ELNS1_11target_archE908ELNS1_3gpuE7ELNS1_3repE0EEENS1_30default_config_static_selectorELNS0_4arch9wavefront6targetE1EEEvT1_
	.p2align	8
	.type	_ZN7rocprim17ROCPRIM_400000_NS6detail17trampoline_kernelINS0_14default_configENS1_25partition_config_selectorILNS1_17partition_subalgoE0EtNS0_10empty_typeEbEEZZNS1_14partition_implILS5_0ELb0ES3_jN6thrust23THRUST_200600_302600_NS6detail15normal_iteratorINSA_10device_ptrItEEEEPS6_SG_NS0_5tupleIJNSA_16discard_iteratorINSA_11use_defaultEEESF_EEENSH_IJSG_SG_EEES6_PlJ7is_evenItEEEE10hipError_tPvRmT3_T4_T5_T6_T7_T9_mT8_P12ihipStream_tbDpT10_ENKUlT_T0_E_clISt17integral_constantIbLb1EES19_EEDaS14_S15_EUlS14_E_NS1_11comp_targetILNS1_3genE3ELNS1_11target_archE908ELNS1_3gpuE7ELNS1_3repE0EEENS1_30default_config_static_selectorELNS0_4arch9wavefront6targetE1EEEvT1_,@function
_ZN7rocprim17ROCPRIM_400000_NS6detail17trampoline_kernelINS0_14default_configENS1_25partition_config_selectorILNS1_17partition_subalgoE0EtNS0_10empty_typeEbEEZZNS1_14partition_implILS5_0ELb0ES3_jN6thrust23THRUST_200600_302600_NS6detail15normal_iteratorINSA_10device_ptrItEEEEPS6_SG_NS0_5tupleIJNSA_16discard_iteratorINSA_11use_defaultEEESF_EEENSH_IJSG_SG_EEES6_PlJ7is_evenItEEEE10hipError_tPvRmT3_T4_T5_T6_T7_T9_mT8_P12ihipStream_tbDpT10_ENKUlT_T0_E_clISt17integral_constantIbLb1EES19_EEDaS14_S15_EUlS14_E_NS1_11comp_targetILNS1_3genE3ELNS1_11target_archE908ELNS1_3gpuE7ELNS1_3repE0EEENS1_30default_config_static_selectorELNS0_4arch9wavefront6targetE1EEEvT1_: ; @_ZN7rocprim17ROCPRIM_400000_NS6detail17trampoline_kernelINS0_14default_configENS1_25partition_config_selectorILNS1_17partition_subalgoE0EtNS0_10empty_typeEbEEZZNS1_14partition_implILS5_0ELb0ES3_jN6thrust23THRUST_200600_302600_NS6detail15normal_iteratorINSA_10device_ptrItEEEEPS6_SG_NS0_5tupleIJNSA_16discard_iteratorINSA_11use_defaultEEESF_EEENSH_IJSG_SG_EEES6_PlJ7is_evenItEEEE10hipError_tPvRmT3_T4_T5_T6_T7_T9_mT8_P12ihipStream_tbDpT10_ENKUlT_T0_E_clISt17integral_constantIbLb1EES19_EEDaS14_S15_EUlS14_E_NS1_11comp_targetILNS1_3genE3ELNS1_11target_archE908ELNS1_3gpuE7ELNS1_3repE0EEENS1_30default_config_static_selectorELNS0_4arch9wavefront6targetE1EEEvT1_
; %bb.0:
	.section	.rodata,"a",@progbits
	.p2align	6, 0x0
	.amdhsa_kernel _ZN7rocprim17ROCPRIM_400000_NS6detail17trampoline_kernelINS0_14default_configENS1_25partition_config_selectorILNS1_17partition_subalgoE0EtNS0_10empty_typeEbEEZZNS1_14partition_implILS5_0ELb0ES3_jN6thrust23THRUST_200600_302600_NS6detail15normal_iteratorINSA_10device_ptrItEEEEPS6_SG_NS0_5tupleIJNSA_16discard_iteratorINSA_11use_defaultEEESF_EEENSH_IJSG_SG_EEES6_PlJ7is_evenItEEEE10hipError_tPvRmT3_T4_T5_T6_T7_T9_mT8_P12ihipStream_tbDpT10_ENKUlT_T0_E_clISt17integral_constantIbLb1EES19_EEDaS14_S15_EUlS14_E_NS1_11comp_targetILNS1_3genE3ELNS1_11target_archE908ELNS1_3gpuE7ELNS1_3repE0EEENS1_30default_config_static_selectorELNS0_4arch9wavefront6targetE1EEEvT1_
		.amdhsa_group_segment_fixed_size 0
		.amdhsa_private_segment_fixed_size 0
		.amdhsa_kernarg_size 144
		.amdhsa_user_sgpr_count 2
		.amdhsa_user_sgpr_dispatch_ptr 0
		.amdhsa_user_sgpr_queue_ptr 0
		.amdhsa_user_sgpr_kernarg_segment_ptr 1
		.amdhsa_user_sgpr_dispatch_id 0
		.amdhsa_user_sgpr_kernarg_preload_length 0
		.amdhsa_user_sgpr_kernarg_preload_offset 0
		.amdhsa_user_sgpr_private_segment_size 0
		.amdhsa_uses_dynamic_stack 0
		.amdhsa_enable_private_segment 0
		.amdhsa_system_sgpr_workgroup_id_x 1
		.amdhsa_system_sgpr_workgroup_id_y 0
		.amdhsa_system_sgpr_workgroup_id_z 0
		.amdhsa_system_sgpr_workgroup_info 0
		.amdhsa_system_vgpr_workitem_id 0
		.amdhsa_next_free_vgpr 1
		.amdhsa_next_free_sgpr 0
		.amdhsa_accum_offset 4
		.amdhsa_reserve_vcc 0
		.amdhsa_float_round_mode_32 0
		.amdhsa_float_round_mode_16_64 0
		.amdhsa_float_denorm_mode_32 3
		.amdhsa_float_denorm_mode_16_64 3
		.amdhsa_dx10_clamp 1
		.amdhsa_ieee_mode 1
		.amdhsa_fp16_overflow 0
		.amdhsa_tg_split 0
		.amdhsa_exception_fp_ieee_invalid_op 0
		.amdhsa_exception_fp_denorm_src 0
		.amdhsa_exception_fp_ieee_div_zero 0
		.amdhsa_exception_fp_ieee_overflow 0
		.amdhsa_exception_fp_ieee_underflow 0
		.amdhsa_exception_fp_ieee_inexact 0
		.amdhsa_exception_int_div_zero 0
	.end_amdhsa_kernel
	.section	.text._ZN7rocprim17ROCPRIM_400000_NS6detail17trampoline_kernelINS0_14default_configENS1_25partition_config_selectorILNS1_17partition_subalgoE0EtNS0_10empty_typeEbEEZZNS1_14partition_implILS5_0ELb0ES3_jN6thrust23THRUST_200600_302600_NS6detail15normal_iteratorINSA_10device_ptrItEEEEPS6_SG_NS0_5tupleIJNSA_16discard_iteratorINSA_11use_defaultEEESF_EEENSH_IJSG_SG_EEES6_PlJ7is_evenItEEEE10hipError_tPvRmT3_T4_T5_T6_T7_T9_mT8_P12ihipStream_tbDpT10_ENKUlT_T0_E_clISt17integral_constantIbLb1EES19_EEDaS14_S15_EUlS14_E_NS1_11comp_targetILNS1_3genE3ELNS1_11target_archE908ELNS1_3gpuE7ELNS1_3repE0EEENS1_30default_config_static_selectorELNS0_4arch9wavefront6targetE1EEEvT1_,"axG",@progbits,_ZN7rocprim17ROCPRIM_400000_NS6detail17trampoline_kernelINS0_14default_configENS1_25partition_config_selectorILNS1_17partition_subalgoE0EtNS0_10empty_typeEbEEZZNS1_14partition_implILS5_0ELb0ES3_jN6thrust23THRUST_200600_302600_NS6detail15normal_iteratorINSA_10device_ptrItEEEEPS6_SG_NS0_5tupleIJNSA_16discard_iteratorINSA_11use_defaultEEESF_EEENSH_IJSG_SG_EEES6_PlJ7is_evenItEEEE10hipError_tPvRmT3_T4_T5_T6_T7_T9_mT8_P12ihipStream_tbDpT10_ENKUlT_T0_E_clISt17integral_constantIbLb1EES19_EEDaS14_S15_EUlS14_E_NS1_11comp_targetILNS1_3genE3ELNS1_11target_archE908ELNS1_3gpuE7ELNS1_3repE0EEENS1_30default_config_static_selectorELNS0_4arch9wavefront6targetE1EEEvT1_,comdat
.Lfunc_end2566:
	.size	_ZN7rocprim17ROCPRIM_400000_NS6detail17trampoline_kernelINS0_14default_configENS1_25partition_config_selectorILNS1_17partition_subalgoE0EtNS0_10empty_typeEbEEZZNS1_14partition_implILS5_0ELb0ES3_jN6thrust23THRUST_200600_302600_NS6detail15normal_iteratorINSA_10device_ptrItEEEEPS6_SG_NS0_5tupleIJNSA_16discard_iteratorINSA_11use_defaultEEESF_EEENSH_IJSG_SG_EEES6_PlJ7is_evenItEEEE10hipError_tPvRmT3_T4_T5_T6_T7_T9_mT8_P12ihipStream_tbDpT10_ENKUlT_T0_E_clISt17integral_constantIbLb1EES19_EEDaS14_S15_EUlS14_E_NS1_11comp_targetILNS1_3genE3ELNS1_11target_archE908ELNS1_3gpuE7ELNS1_3repE0EEENS1_30default_config_static_selectorELNS0_4arch9wavefront6targetE1EEEvT1_, .Lfunc_end2566-_ZN7rocprim17ROCPRIM_400000_NS6detail17trampoline_kernelINS0_14default_configENS1_25partition_config_selectorILNS1_17partition_subalgoE0EtNS0_10empty_typeEbEEZZNS1_14partition_implILS5_0ELb0ES3_jN6thrust23THRUST_200600_302600_NS6detail15normal_iteratorINSA_10device_ptrItEEEEPS6_SG_NS0_5tupleIJNSA_16discard_iteratorINSA_11use_defaultEEESF_EEENSH_IJSG_SG_EEES6_PlJ7is_evenItEEEE10hipError_tPvRmT3_T4_T5_T6_T7_T9_mT8_P12ihipStream_tbDpT10_ENKUlT_T0_E_clISt17integral_constantIbLb1EES19_EEDaS14_S15_EUlS14_E_NS1_11comp_targetILNS1_3genE3ELNS1_11target_archE908ELNS1_3gpuE7ELNS1_3repE0EEENS1_30default_config_static_selectorELNS0_4arch9wavefront6targetE1EEEvT1_
                                        ; -- End function
	.section	.AMDGPU.csdata,"",@progbits
; Kernel info:
; codeLenInByte = 0
; NumSgprs: 6
; NumVgprs: 0
; NumAgprs: 0
; TotalNumVgprs: 0
; ScratchSize: 0
; MemoryBound: 0
; FloatMode: 240
; IeeeMode: 1
; LDSByteSize: 0 bytes/workgroup (compile time only)
; SGPRBlocks: 0
; VGPRBlocks: 0
; NumSGPRsForWavesPerEU: 6
; NumVGPRsForWavesPerEU: 1
; AccumOffset: 4
; Occupancy: 8
; WaveLimiterHint : 0
; COMPUTE_PGM_RSRC2:SCRATCH_EN: 0
; COMPUTE_PGM_RSRC2:USER_SGPR: 2
; COMPUTE_PGM_RSRC2:TRAP_HANDLER: 0
; COMPUTE_PGM_RSRC2:TGID_X_EN: 1
; COMPUTE_PGM_RSRC2:TGID_Y_EN: 0
; COMPUTE_PGM_RSRC2:TGID_Z_EN: 0
; COMPUTE_PGM_RSRC2:TIDIG_COMP_CNT: 0
; COMPUTE_PGM_RSRC3_GFX90A:ACCUM_OFFSET: 0
; COMPUTE_PGM_RSRC3_GFX90A:TG_SPLIT: 0
	.section	.text._ZN7rocprim17ROCPRIM_400000_NS6detail17trampoline_kernelINS0_14default_configENS1_25partition_config_selectorILNS1_17partition_subalgoE0EtNS0_10empty_typeEbEEZZNS1_14partition_implILS5_0ELb0ES3_jN6thrust23THRUST_200600_302600_NS6detail15normal_iteratorINSA_10device_ptrItEEEEPS6_SG_NS0_5tupleIJNSA_16discard_iteratorINSA_11use_defaultEEESF_EEENSH_IJSG_SG_EEES6_PlJ7is_evenItEEEE10hipError_tPvRmT3_T4_T5_T6_T7_T9_mT8_P12ihipStream_tbDpT10_ENKUlT_T0_E_clISt17integral_constantIbLb1EES19_EEDaS14_S15_EUlS14_E_NS1_11comp_targetILNS1_3genE2ELNS1_11target_archE906ELNS1_3gpuE6ELNS1_3repE0EEENS1_30default_config_static_selectorELNS0_4arch9wavefront6targetE1EEEvT1_,"axG",@progbits,_ZN7rocprim17ROCPRIM_400000_NS6detail17trampoline_kernelINS0_14default_configENS1_25partition_config_selectorILNS1_17partition_subalgoE0EtNS0_10empty_typeEbEEZZNS1_14partition_implILS5_0ELb0ES3_jN6thrust23THRUST_200600_302600_NS6detail15normal_iteratorINSA_10device_ptrItEEEEPS6_SG_NS0_5tupleIJNSA_16discard_iteratorINSA_11use_defaultEEESF_EEENSH_IJSG_SG_EEES6_PlJ7is_evenItEEEE10hipError_tPvRmT3_T4_T5_T6_T7_T9_mT8_P12ihipStream_tbDpT10_ENKUlT_T0_E_clISt17integral_constantIbLb1EES19_EEDaS14_S15_EUlS14_E_NS1_11comp_targetILNS1_3genE2ELNS1_11target_archE906ELNS1_3gpuE6ELNS1_3repE0EEENS1_30default_config_static_selectorELNS0_4arch9wavefront6targetE1EEEvT1_,comdat
	.protected	_ZN7rocprim17ROCPRIM_400000_NS6detail17trampoline_kernelINS0_14default_configENS1_25partition_config_selectorILNS1_17partition_subalgoE0EtNS0_10empty_typeEbEEZZNS1_14partition_implILS5_0ELb0ES3_jN6thrust23THRUST_200600_302600_NS6detail15normal_iteratorINSA_10device_ptrItEEEEPS6_SG_NS0_5tupleIJNSA_16discard_iteratorINSA_11use_defaultEEESF_EEENSH_IJSG_SG_EEES6_PlJ7is_evenItEEEE10hipError_tPvRmT3_T4_T5_T6_T7_T9_mT8_P12ihipStream_tbDpT10_ENKUlT_T0_E_clISt17integral_constantIbLb1EES19_EEDaS14_S15_EUlS14_E_NS1_11comp_targetILNS1_3genE2ELNS1_11target_archE906ELNS1_3gpuE6ELNS1_3repE0EEENS1_30default_config_static_selectorELNS0_4arch9wavefront6targetE1EEEvT1_ ; -- Begin function _ZN7rocprim17ROCPRIM_400000_NS6detail17trampoline_kernelINS0_14default_configENS1_25partition_config_selectorILNS1_17partition_subalgoE0EtNS0_10empty_typeEbEEZZNS1_14partition_implILS5_0ELb0ES3_jN6thrust23THRUST_200600_302600_NS6detail15normal_iteratorINSA_10device_ptrItEEEEPS6_SG_NS0_5tupleIJNSA_16discard_iteratorINSA_11use_defaultEEESF_EEENSH_IJSG_SG_EEES6_PlJ7is_evenItEEEE10hipError_tPvRmT3_T4_T5_T6_T7_T9_mT8_P12ihipStream_tbDpT10_ENKUlT_T0_E_clISt17integral_constantIbLb1EES19_EEDaS14_S15_EUlS14_E_NS1_11comp_targetILNS1_3genE2ELNS1_11target_archE906ELNS1_3gpuE6ELNS1_3repE0EEENS1_30default_config_static_selectorELNS0_4arch9wavefront6targetE1EEEvT1_
	.globl	_ZN7rocprim17ROCPRIM_400000_NS6detail17trampoline_kernelINS0_14default_configENS1_25partition_config_selectorILNS1_17partition_subalgoE0EtNS0_10empty_typeEbEEZZNS1_14partition_implILS5_0ELb0ES3_jN6thrust23THRUST_200600_302600_NS6detail15normal_iteratorINSA_10device_ptrItEEEEPS6_SG_NS0_5tupleIJNSA_16discard_iteratorINSA_11use_defaultEEESF_EEENSH_IJSG_SG_EEES6_PlJ7is_evenItEEEE10hipError_tPvRmT3_T4_T5_T6_T7_T9_mT8_P12ihipStream_tbDpT10_ENKUlT_T0_E_clISt17integral_constantIbLb1EES19_EEDaS14_S15_EUlS14_E_NS1_11comp_targetILNS1_3genE2ELNS1_11target_archE906ELNS1_3gpuE6ELNS1_3repE0EEENS1_30default_config_static_selectorELNS0_4arch9wavefront6targetE1EEEvT1_
	.p2align	8
	.type	_ZN7rocprim17ROCPRIM_400000_NS6detail17trampoline_kernelINS0_14default_configENS1_25partition_config_selectorILNS1_17partition_subalgoE0EtNS0_10empty_typeEbEEZZNS1_14partition_implILS5_0ELb0ES3_jN6thrust23THRUST_200600_302600_NS6detail15normal_iteratorINSA_10device_ptrItEEEEPS6_SG_NS0_5tupleIJNSA_16discard_iteratorINSA_11use_defaultEEESF_EEENSH_IJSG_SG_EEES6_PlJ7is_evenItEEEE10hipError_tPvRmT3_T4_T5_T6_T7_T9_mT8_P12ihipStream_tbDpT10_ENKUlT_T0_E_clISt17integral_constantIbLb1EES19_EEDaS14_S15_EUlS14_E_NS1_11comp_targetILNS1_3genE2ELNS1_11target_archE906ELNS1_3gpuE6ELNS1_3repE0EEENS1_30default_config_static_selectorELNS0_4arch9wavefront6targetE1EEEvT1_,@function
_ZN7rocprim17ROCPRIM_400000_NS6detail17trampoline_kernelINS0_14default_configENS1_25partition_config_selectorILNS1_17partition_subalgoE0EtNS0_10empty_typeEbEEZZNS1_14partition_implILS5_0ELb0ES3_jN6thrust23THRUST_200600_302600_NS6detail15normal_iteratorINSA_10device_ptrItEEEEPS6_SG_NS0_5tupleIJNSA_16discard_iteratorINSA_11use_defaultEEESF_EEENSH_IJSG_SG_EEES6_PlJ7is_evenItEEEE10hipError_tPvRmT3_T4_T5_T6_T7_T9_mT8_P12ihipStream_tbDpT10_ENKUlT_T0_E_clISt17integral_constantIbLb1EES19_EEDaS14_S15_EUlS14_E_NS1_11comp_targetILNS1_3genE2ELNS1_11target_archE906ELNS1_3gpuE6ELNS1_3repE0EEENS1_30default_config_static_selectorELNS0_4arch9wavefront6targetE1EEEvT1_: ; @_ZN7rocprim17ROCPRIM_400000_NS6detail17trampoline_kernelINS0_14default_configENS1_25partition_config_selectorILNS1_17partition_subalgoE0EtNS0_10empty_typeEbEEZZNS1_14partition_implILS5_0ELb0ES3_jN6thrust23THRUST_200600_302600_NS6detail15normal_iteratorINSA_10device_ptrItEEEEPS6_SG_NS0_5tupleIJNSA_16discard_iteratorINSA_11use_defaultEEESF_EEENSH_IJSG_SG_EEES6_PlJ7is_evenItEEEE10hipError_tPvRmT3_T4_T5_T6_T7_T9_mT8_P12ihipStream_tbDpT10_ENKUlT_T0_E_clISt17integral_constantIbLb1EES19_EEDaS14_S15_EUlS14_E_NS1_11comp_targetILNS1_3genE2ELNS1_11target_archE906ELNS1_3gpuE6ELNS1_3repE0EEENS1_30default_config_static_selectorELNS0_4arch9wavefront6targetE1EEEvT1_
; %bb.0:
	.section	.rodata,"a",@progbits
	.p2align	6, 0x0
	.amdhsa_kernel _ZN7rocprim17ROCPRIM_400000_NS6detail17trampoline_kernelINS0_14default_configENS1_25partition_config_selectorILNS1_17partition_subalgoE0EtNS0_10empty_typeEbEEZZNS1_14partition_implILS5_0ELb0ES3_jN6thrust23THRUST_200600_302600_NS6detail15normal_iteratorINSA_10device_ptrItEEEEPS6_SG_NS0_5tupleIJNSA_16discard_iteratorINSA_11use_defaultEEESF_EEENSH_IJSG_SG_EEES6_PlJ7is_evenItEEEE10hipError_tPvRmT3_T4_T5_T6_T7_T9_mT8_P12ihipStream_tbDpT10_ENKUlT_T0_E_clISt17integral_constantIbLb1EES19_EEDaS14_S15_EUlS14_E_NS1_11comp_targetILNS1_3genE2ELNS1_11target_archE906ELNS1_3gpuE6ELNS1_3repE0EEENS1_30default_config_static_selectorELNS0_4arch9wavefront6targetE1EEEvT1_
		.amdhsa_group_segment_fixed_size 0
		.amdhsa_private_segment_fixed_size 0
		.amdhsa_kernarg_size 144
		.amdhsa_user_sgpr_count 2
		.amdhsa_user_sgpr_dispatch_ptr 0
		.amdhsa_user_sgpr_queue_ptr 0
		.amdhsa_user_sgpr_kernarg_segment_ptr 1
		.amdhsa_user_sgpr_dispatch_id 0
		.amdhsa_user_sgpr_kernarg_preload_length 0
		.amdhsa_user_sgpr_kernarg_preload_offset 0
		.amdhsa_user_sgpr_private_segment_size 0
		.amdhsa_uses_dynamic_stack 0
		.amdhsa_enable_private_segment 0
		.amdhsa_system_sgpr_workgroup_id_x 1
		.amdhsa_system_sgpr_workgroup_id_y 0
		.amdhsa_system_sgpr_workgroup_id_z 0
		.amdhsa_system_sgpr_workgroup_info 0
		.amdhsa_system_vgpr_workitem_id 0
		.amdhsa_next_free_vgpr 1
		.amdhsa_next_free_sgpr 0
		.amdhsa_accum_offset 4
		.amdhsa_reserve_vcc 0
		.amdhsa_float_round_mode_32 0
		.amdhsa_float_round_mode_16_64 0
		.amdhsa_float_denorm_mode_32 3
		.amdhsa_float_denorm_mode_16_64 3
		.amdhsa_dx10_clamp 1
		.amdhsa_ieee_mode 1
		.amdhsa_fp16_overflow 0
		.amdhsa_tg_split 0
		.amdhsa_exception_fp_ieee_invalid_op 0
		.amdhsa_exception_fp_denorm_src 0
		.amdhsa_exception_fp_ieee_div_zero 0
		.amdhsa_exception_fp_ieee_overflow 0
		.amdhsa_exception_fp_ieee_underflow 0
		.amdhsa_exception_fp_ieee_inexact 0
		.amdhsa_exception_int_div_zero 0
	.end_amdhsa_kernel
	.section	.text._ZN7rocprim17ROCPRIM_400000_NS6detail17trampoline_kernelINS0_14default_configENS1_25partition_config_selectorILNS1_17partition_subalgoE0EtNS0_10empty_typeEbEEZZNS1_14partition_implILS5_0ELb0ES3_jN6thrust23THRUST_200600_302600_NS6detail15normal_iteratorINSA_10device_ptrItEEEEPS6_SG_NS0_5tupleIJNSA_16discard_iteratorINSA_11use_defaultEEESF_EEENSH_IJSG_SG_EEES6_PlJ7is_evenItEEEE10hipError_tPvRmT3_T4_T5_T6_T7_T9_mT8_P12ihipStream_tbDpT10_ENKUlT_T0_E_clISt17integral_constantIbLb1EES19_EEDaS14_S15_EUlS14_E_NS1_11comp_targetILNS1_3genE2ELNS1_11target_archE906ELNS1_3gpuE6ELNS1_3repE0EEENS1_30default_config_static_selectorELNS0_4arch9wavefront6targetE1EEEvT1_,"axG",@progbits,_ZN7rocprim17ROCPRIM_400000_NS6detail17trampoline_kernelINS0_14default_configENS1_25partition_config_selectorILNS1_17partition_subalgoE0EtNS0_10empty_typeEbEEZZNS1_14partition_implILS5_0ELb0ES3_jN6thrust23THRUST_200600_302600_NS6detail15normal_iteratorINSA_10device_ptrItEEEEPS6_SG_NS0_5tupleIJNSA_16discard_iteratorINSA_11use_defaultEEESF_EEENSH_IJSG_SG_EEES6_PlJ7is_evenItEEEE10hipError_tPvRmT3_T4_T5_T6_T7_T9_mT8_P12ihipStream_tbDpT10_ENKUlT_T0_E_clISt17integral_constantIbLb1EES19_EEDaS14_S15_EUlS14_E_NS1_11comp_targetILNS1_3genE2ELNS1_11target_archE906ELNS1_3gpuE6ELNS1_3repE0EEENS1_30default_config_static_selectorELNS0_4arch9wavefront6targetE1EEEvT1_,comdat
.Lfunc_end2567:
	.size	_ZN7rocprim17ROCPRIM_400000_NS6detail17trampoline_kernelINS0_14default_configENS1_25partition_config_selectorILNS1_17partition_subalgoE0EtNS0_10empty_typeEbEEZZNS1_14partition_implILS5_0ELb0ES3_jN6thrust23THRUST_200600_302600_NS6detail15normal_iteratorINSA_10device_ptrItEEEEPS6_SG_NS0_5tupleIJNSA_16discard_iteratorINSA_11use_defaultEEESF_EEENSH_IJSG_SG_EEES6_PlJ7is_evenItEEEE10hipError_tPvRmT3_T4_T5_T6_T7_T9_mT8_P12ihipStream_tbDpT10_ENKUlT_T0_E_clISt17integral_constantIbLb1EES19_EEDaS14_S15_EUlS14_E_NS1_11comp_targetILNS1_3genE2ELNS1_11target_archE906ELNS1_3gpuE6ELNS1_3repE0EEENS1_30default_config_static_selectorELNS0_4arch9wavefront6targetE1EEEvT1_, .Lfunc_end2567-_ZN7rocprim17ROCPRIM_400000_NS6detail17trampoline_kernelINS0_14default_configENS1_25partition_config_selectorILNS1_17partition_subalgoE0EtNS0_10empty_typeEbEEZZNS1_14partition_implILS5_0ELb0ES3_jN6thrust23THRUST_200600_302600_NS6detail15normal_iteratorINSA_10device_ptrItEEEEPS6_SG_NS0_5tupleIJNSA_16discard_iteratorINSA_11use_defaultEEESF_EEENSH_IJSG_SG_EEES6_PlJ7is_evenItEEEE10hipError_tPvRmT3_T4_T5_T6_T7_T9_mT8_P12ihipStream_tbDpT10_ENKUlT_T0_E_clISt17integral_constantIbLb1EES19_EEDaS14_S15_EUlS14_E_NS1_11comp_targetILNS1_3genE2ELNS1_11target_archE906ELNS1_3gpuE6ELNS1_3repE0EEENS1_30default_config_static_selectorELNS0_4arch9wavefront6targetE1EEEvT1_
                                        ; -- End function
	.section	.AMDGPU.csdata,"",@progbits
; Kernel info:
; codeLenInByte = 0
; NumSgprs: 6
; NumVgprs: 0
; NumAgprs: 0
; TotalNumVgprs: 0
; ScratchSize: 0
; MemoryBound: 0
; FloatMode: 240
; IeeeMode: 1
; LDSByteSize: 0 bytes/workgroup (compile time only)
; SGPRBlocks: 0
; VGPRBlocks: 0
; NumSGPRsForWavesPerEU: 6
; NumVGPRsForWavesPerEU: 1
; AccumOffset: 4
; Occupancy: 8
; WaveLimiterHint : 0
; COMPUTE_PGM_RSRC2:SCRATCH_EN: 0
; COMPUTE_PGM_RSRC2:USER_SGPR: 2
; COMPUTE_PGM_RSRC2:TRAP_HANDLER: 0
; COMPUTE_PGM_RSRC2:TGID_X_EN: 1
; COMPUTE_PGM_RSRC2:TGID_Y_EN: 0
; COMPUTE_PGM_RSRC2:TGID_Z_EN: 0
; COMPUTE_PGM_RSRC2:TIDIG_COMP_CNT: 0
; COMPUTE_PGM_RSRC3_GFX90A:ACCUM_OFFSET: 0
; COMPUTE_PGM_RSRC3_GFX90A:TG_SPLIT: 0
	.section	.text._ZN7rocprim17ROCPRIM_400000_NS6detail17trampoline_kernelINS0_14default_configENS1_25partition_config_selectorILNS1_17partition_subalgoE0EtNS0_10empty_typeEbEEZZNS1_14partition_implILS5_0ELb0ES3_jN6thrust23THRUST_200600_302600_NS6detail15normal_iteratorINSA_10device_ptrItEEEEPS6_SG_NS0_5tupleIJNSA_16discard_iteratorINSA_11use_defaultEEESF_EEENSH_IJSG_SG_EEES6_PlJ7is_evenItEEEE10hipError_tPvRmT3_T4_T5_T6_T7_T9_mT8_P12ihipStream_tbDpT10_ENKUlT_T0_E_clISt17integral_constantIbLb1EES19_EEDaS14_S15_EUlS14_E_NS1_11comp_targetILNS1_3genE10ELNS1_11target_archE1200ELNS1_3gpuE4ELNS1_3repE0EEENS1_30default_config_static_selectorELNS0_4arch9wavefront6targetE1EEEvT1_,"axG",@progbits,_ZN7rocprim17ROCPRIM_400000_NS6detail17trampoline_kernelINS0_14default_configENS1_25partition_config_selectorILNS1_17partition_subalgoE0EtNS0_10empty_typeEbEEZZNS1_14partition_implILS5_0ELb0ES3_jN6thrust23THRUST_200600_302600_NS6detail15normal_iteratorINSA_10device_ptrItEEEEPS6_SG_NS0_5tupleIJNSA_16discard_iteratorINSA_11use_defaultEEESF_EEENSH_IJSG_SG_EEES6_PlJ7is_evenItEEEE10hipError_tPvRmT3_T4_T5_T6_T7_T9_mT8_P12ihipStream_tbDpT10_ENKUlT_T0_E_clISt17integral_constantIbLb1EES19_EEDaS14_S15_EUlS14_E_NS1_11comp_targetILNS1_3genE10ELNS1_11target_archE1200ELNS1_3gpuE4ELNS1_3repE0EEENS1_30default_config_static_selectorELNS0_4arch9wavefront6targetE1EEEvT1_,comdat
	.protected	_ZN7rocprim17ROCPRIM_400000_NS6detail17trampoline_kernelINS0_14default_configENS1_25partition_config_selectorILNS1_17partition_subalgoE0EtNS0_10empty_typeEbEEZZNS1_14partition_implILS5_0ELb0ES3_jN6thrust23THRUST_200600_302600_NS6detail15normal_iteratorINSA_10device_ptrItEEEEPS6_SG_NS0_5tupleIJNSA_16discard_iteratorINSA_11use_defaultEEESF_EEENSH_IJSG_SG_EEES6_PlJ7is_evenItEEEE10hipError_tPvRmT3_T4_T5_T6_T7_T9_mT8_P12ihipStream_tbDpT10_ENKUlT_T0_E_clISt17integral_constantIbLb1EES19_EEDaS14_S15_EUlS14_E_NS1_11comp_targetILNS1_3genE10ELNS1_11target_archE1200ELNS1_3gpuE4ELNS1_3repE0EEENS1_30default_config_static_selectorELNS0_4arch9wavefront6targetE1EEEvT1_ ; -- Begin function _ZN7rocprim17ROCPRIM_400000_NS6detail17trampoline_kernelINS0_14default_configENS1_25partition_config_selectorILNS1_17partition_subalgoE0EtNS0_10empty_typeEbEEZZNS1_14partition_implILS5_0ELb0ES3_jN6thrust23THRUST_200600_302600_NS6detail15normal_iteratorINSA_10device_ptrItEEEEPS6_SG_NS0_5tupleIJNSA_16discard_iteratorINSA_11use_defaultEEESF_EEENSH_IJSG_SG_EEES6_PlJ7is_evenItEEEE10hipError_tPvRmT3_T4_T5_T6_T7_T9_mT8_P12ihipStream_tbDpT10_ENKUlT_T0_E_clISt17integral_constantIbLb1EES19_EEDaS14_S15_EUlS14_E_NS1_11comp_targetILNS1_3genE10ELNS1_11target_archE1200ELNS1_3gpuE4ELNS1_3repE0EEENS1_30default_config_static_selectorELNS0_4arch9wavefront6targetE1EEEvT1_
	.globl	_ZN7rocprim17ROCPRIM_400000_NS6detail17trampoline_kernelINS0_14default_configENS1_25partition_config_selectorILNS1_17partition_subalgoE0EtNS0_10empty_typeEbEEZZNS1_14partition_implILS5_0ELb0ES3_jN6thrust23THRUST_200600_302600_NS6detail15normal_iteratorINSA_10device_ptrItEEEEPS6_SG_NS0_5tupleIJNSA_16discard_iteratorINSA_11use_defaultEEESF_EEENSH_IJSG_SG_EEES6_PlJ7is_evenItEEEE10hipError_tPvRmT3_T4_T5_T6_T7_T9_mT8_P12ihipStream_tbDpT10_ENKUlT_T0_E_clISt17integral_constantIbLb1EES19_EEDaS14_S15_EUlS14_E_NS1_11comp_targetILNS1_3genE10ELNS1_11target_archE1200ELNS1_3gpuE4ELNS1_3repE0EEENS1_30default_config_static_selectorELNS0_4arch9wavefront6targetE1EEEvT1_
	.p2align	8
	.type	_ZN7rocprim17ROCPRIM_400000_NS6detail17trampoline_kernelINS0_14default_configENS1_25partition_config_selectorILNS1_17partition_subalgoE0EtNS0_10empty_typeEbEEZZNS1_14partition_implILS5_0ELb0ES3_jN6thrust23THRUST_200600_302600_NS6detail15normal_iteratorINSA_10device_ptrItEEEEPS6_SG_NS0_5tupleIJNSA_16discard_iteratorINSA_11use_defaultEEESF_EEENSH_IJSG_SG_EEES6_PlJ7is_evenItEEEE10hipError_tPvRmT3_T4_T5_T6_T7_T9_mT8_P12ihipStream_tbDpT10_ENKUlT_T0_E_clISt17integral_constantIbLb1EES19_EEDaS14_S15_EUlS14_E_NS1_11comp_targetILNS1_3genE10ELNS1_11target_archE1200ELNS1_3gpuE4ELNS1_3repE0EEENS1_30default_config_static_selectorELNS0_4arch9wavefront6targetE1EEEvT1_,@function
_ZN7rocprim17ROCPRIM_400000_NS6detail17trampoline_kernelINS0_14default_configENS1_25partition_config_selectorILNS1_17partition_subalgoE0EtNS0_10empty_typeEbEEZZNS1_14partition_implILS5_0ELb0ES3_jN6thrust23THRUST_200600_302600_NS6detail15normal_iteratorINSA_10device_ptrItEEEEPS6_SG_NS0_5tupleIJNSA_16discard_iteratorINSA_11use_defaultEEESF_EEENSH_IJSG_SG_EEES6_PlJ7is_evenItEEEE10hipError_tPvRmT3_T4_T5_T6_T7_T9_mT8_P12ihipStream_tbDpT10_ENKUlT_T0_E_clISt17integral_constantIbLb1EES19_EEDaS14_S15_EUlS14_E_NS1_11comp_targetILNS1_3genE10ELNS1_11target_archE1200ELNS1_3gpuE4ELNS1_3repE0EEENS1_30default_config_static_selectorELNS0_4arch9wavefront6targetE1EEEvT1_: ; @_ZN7rocprim17ROCPRIM_400000_NS6detail17trampoline_kernelINS0_14default_configENS1_25partition_config_selectorILNS1_17partition_subalgoE0EtNS0_10empty_typeEbEEZZNS1_14partition_implILS5_0ELb0ES3_jN6thrust23THRUST_200600_302600_NS6detail15normal_iteratorINSA_10device_ptrItEEEEPS6_SG_NS0_5tupleIJNSA_16discard_iteratorINSA_11use_defaultEEESF_EEENSH_IJSG_SG_EEES6_PlJ7is_evenItEEEE10hipError_tPvRmT3_T4_T5_T6_T7_T9_mT8_P12ihipStream_tbDpT10_ENKUlT_T0_E_clISt17integral_constantIbLb1EES19_EEDaS14_S15_EUlS14_E_NS1_11comp_targetILNS1_3genE10ELNS1_11target_archE1200ELNS1_3gpuE4ELNS1_3repE0EEENS1_30default_config_static_selectorELNS0_4arch9wavefront6targetE1EEEvT1_
; %bb.0:
	.section	.rodata,"a",@progbits
	.p2align	6, 0x0
	.amdhsa_kernel _ZN7rocprim17ROCPRIM_400000_NS6detail17trampoline_kernelINS0_14default_configENS1_25partition_config_selectorILNS1_17partition_subalgoE0EtNS0_10empty_typeEbEEZZNS1_14partition_implILS5_0ELb0ES3_jN6thrust23THRUST_200600_302600_NS6detail15normal_iteratorINSA_10device_ptrItEEEEPS6_SG_NS0_5tupleIJNSA_16discard_iteratorINSA_11use_defaultEEESF_EEENSH_IJSG_SG_EEES6_PlJ7is_evenItEEEE10hipError_tPvRmT3_T4_T5_T6_T7_T9_mT8_P12ihipStream_tbDpT10_ENKUlT_T0_E_clISt17integral_constantIbLb1EES19_EEDaS14_S15_EUlS14_E_NS1_11comp_targetILNS1_3genE10ELNS1_11target_archE1200ELNS1_3gpuE4ELNS1_3repE0EEENS1_30default_config_static_selectorELNS0_4arch9wavefront6targetE1EEEvT1_
		.amdhsa_group_segment_fixed_size 0
		.amdhsa_private_segment_fixed_size 0
		.amdhsa_kernarg_size 144
		.amdhsa_user_sgpr_count 2
		.amdhsa_user_sgpr_dispatch_ptr 0
		.amdhsa_user_sgpr_queue_ptr 0
		.amdhsa_user_sgpr_kernarg_segment_ptr 1
		.amdhsa_user_sgpr_dispatch_id 0
		.amdhsa_user_sgpr_kernarg_preload_length 0
		.amdhsa_user_sgpr_kernarg_preload_offset 0
		.amdhsa_user_sgpr_private_segment_size 0
		.amdhsa_uses_dynamic_stack 0
		.amdhsa_enable_private_segment 0
		.amdhsa_system_sgpr_workgroup_id_x 1
		.amdhsa_system_sgpr_workgroup_id_y 0
		.amdhsa_system_sgpr_workgroup_id_z 0
		.amdhsa_system_sgpr_workgroup_info 0
		.amdhsa_system_vgpr_workitem_id 0
		.amdhsa_next_free_vgpr 1
		.amdhsa_next_free_sgpr 0
		.amdhsa_accum_offset 4
		.amdhsa_reserve_vcc 0
		.amdhsa_float_round_mode_32 0
		.amdhsa_float_round_mode_16_64 0
		.amdhsa_float_denorm_mode_32 3
		.amdhsa_float_denorm_mode_16_64 3
		.amdhsa_dx10_clamp 1
		.amdhsa_ieee_mode 1
		.amdhsa_fp16_overflow 0
		.amdhsa_tg_split 0
		.amdhsa_exception_fp_ieee_invalid_op 0
		.amdhsa_exception_fp_denorm_src 0
		.amdhsa_exception_fp_ieee_div_zero 0
		.amdhsa_exception_fp_ieee_overflow 0
		.amdhsa_exception_fp_ieee_underflow 0
		.amdhsa_exception_fp_ieee_inexact 0
		.amdhsa_exception_int_div_zero 0
	.end_amdhsa_kernel
	.section	.text._ZN7rocprim17ROCPRIM_400000_NS6detail17trampoline_kernelINS0_14default_configENS1_25partition_config_selectorILNS1_17partition_subalgoE0EtNS0_10empty_typeEbEEZZNS1_14partition_implILS5_0ELb0ES3_jN6thrust23THRUST_200600_302600_NS6detail15normal_iteratorINSA_10device_ptrItEEEEPS6_SG_NS0_5tupleIJNSA_16discard_iteratorINSA_11use_defaultEEESF_EEENSH_IJSG_SG_EEES6_PlJ7is_evenItEEEE10hipError_tPvRmT3_T4_T5_T6_T7_T9_mT8_P12ihipStream_tbDpT10_ENKUlT_T0_E_clISt17integral_constantIbLb1EES19_EEDaS14_S15_EUlS14_E_NS1_11comp_targetILNS1_3genE10ELNS1_11target_archE1200ELNS1_3gpuE4ELNS1_3repE0EEENS1_30default_config_static_selectorELNS0_4arch9wavefront6targetE1EEEvT1_,"axG",@progbits,_ZN7rocprim17ROCPRIM_400000_NS6detail17trampoline_kernelINS0_14default_configENS1_25partition_config_selectorILNS1_17partition_subalgoE0EtNS0_10empty_typeEbEEZZNS1_14partition_implILS5_0ELb0ES3_jN6thrust23THRUST_200600_302600_NS6detail15normal_iteratorINSA_10device_ptrItEEEEPS6_SG_NS0_5tupleIJNSA_16discard_iteratorINSA_11use_defaultEEESF_EEENSH_IJSG_SG_EEES6_PlJ7is_evenItEEEE10hipError_tPvRmT3_T4_T5_T6_T7_T9_mT8_P12ihipStream_tbDpT10_ENKUlT_T0_E_clISt17integral_constantIbLb1EES19_EEDaS14_S15_EUlS14_E_NS1_11comp_targetILNS1_3genE10ELNS1_11target_archE1200ELNS1_3gpuE4ELNS1_3repE0EEENS1_30default_config_static_selectorELNS0_4arch9wavefront6targetE1EEEvT1_,comdat
.Lfunc_end2568:
	.size	_ZN7rocprim17ROCPRIM_400000_NS6detail17trampoline_kernelINS0_14default_configENS1_25partition_config_selectorILNS1_17partition_subalgoE0EtNS0_10empty_typeEbEEZZNS1_14partition_implILS5_0ELb0ES3_jN6thrust23THRUST_200600_302600_NS6detail15normal_iteratorINSA_10device_ptrItEEEEPS6_SG_NS0_5tupleIJNSA_16discard_iteratorINSA_11use_defaultEEESF_EEENSH_IJSG_SG_EEES6_PlJ7is_evenItEEEE10hipError_tPvRmT3_T4_T5_T6_T7_T9_mT8_P12ihipStream_tbDpT10_ENKUlT_T0_E_clISt17integral_constantIbLb1EES19_EEDaS14_S15_EUlS14_E_NS1_11comp_targetILNS1_3genE10ELNS1_11target_archE1200ELNS1_3gpuE4ELNS1_3repE0EEENS1_30default_config_static_selectorELNS0_4arch9wavefront6targetE1EEEvT1_, .Lfunc_end2568-_ZN7rocprim17ROCPRIM_400000_NS6detail17trampoline_kernelINS0_14default_configENS1_25partition_config_selectorILNS1_17partition_subalgoE0EtNS0_10empty_typeEbEEZZNS1_14partition_implILS5_0ELb0ES3_jN6thrust23THRUST_200600_302600_NS6detail15normal_iteratorINSA_10device_ptrItEEEEPS6_SG_NS0_5tupleIJNSA_16discard_iteratorINSA_11use_defaultEEESF_EEENSH_IJSG_SG_EEES6_PlJ7is_evenItEEEE10hipError_tPvRmT3_T4_T5_T6_T7_T9_mT8_P12ihipStream_tbDpT10_ENKUlT_T0_E_clISt17integral_constantIbLb1EES19_EEDaS14_S15_EUlS14_E_NS1_11comp_targetILNS1_3genE10ELNS1_11target_archE1200ELNS1_3gpuE4ELNS1_3repE0EEENS1_30default_config_static_selectorELNS0_4arch9wavefront6targetE1EEEvT1_
                                        ; -- End function
	.section	.AMDGPU.csdata,"",@progbits
; Kernel info:
; codeLenInByte = 0
; NumSgprs: 6
; NumVgprs: 0
; NumAgprs: 0
; TotalNumVgprs: 0
; ScratchSize: 0
; MemoryBound: 0
; FloatMode: 240
; IeeeMode: 1
; LDSByteSize: 0 bytes/workgroup (compile time only)
; SGPRBlocks: 0
; VGPRBlocks: 0
; NumSGPRsForWavesPerEU: 6
; NumVGPRsForWavesPerEU: 1
; AccumOffset: 4
; Occupancy: 8
; WaveLimiterHint : 0
; COMPUTE_PGM_RSRC2:SCRATCH_EN: 0
; COMPUTE_PGM_RSRC2:USER_SGPR: 2
; COMPUTE_PGM_RSRC2:TRAP_HANDLER: 0
; COMPUTE_PGM_RSRC2:TGID_X_EN: 1
; COMPUTE_PGM_RSRC2:TGID_Y_EN: 0
; COMPUTE_PGM_RSRC2:TGID_Z_EN: 0
; COMPUTE_PGM_RSRC2:TIDIG_COMP_CNT: 0
; COMPUTE_PGM_RSRC3_GFX90A:ACCUM_OFFSET: 0
; COMPUTE_PGM_RSRC3_GFX90A:TG_SPLIT: 0
	.section	.text._ZN7rocprim17ROCPRIM_400000_NS6detail17trampoline_kernelINS0_14default_configENS1_25partition_config_selectorILNS1_17partition_subalgoE0EtNS0_10empty_typeEbEEZZNS1_14partition_implILS5_0ELb0ES3_jN6thrust23THRUST_200600_302600_NS6detail15normal_iteratorINSA_10device_ptrItEEEEPS6_SG_NS0_5tupleIJNSA_16discard_iteratorINSA_11use_defaultEEESF_EEENSH_IJSG_SG_EEES6_PlJ7is_evenItEEEE10hipError_tPvRmT3_T4_T5_T6_T7_T9_mT8_P12ihipStream_tbDpT10_ENKUlT_T0_E_clISt17integral_constantIbLb1EES19_EEDaS14_S15_EUlS14_E_NS1_11comp_targetILNS1_3genE9ELNS1_11target_archE1100ELNS1_3gpuE3ELNS1_3repE0EEENS1_30default_config_static_selectorELNS0_4arch9wavefront6targetE1EEEvT1_,"axG",@progbits,_ZN7rocprim17ROCPRIM_400000_NS6detail17trampoline_kernelINS0_14default_configENS1_25partition_config_selectorILNS1_17partition_subalgoE0EtNS0_10empty_typeEbEEZZNS1_14partition_implILS5_0ELb0ES3_jN6thrust23THRUST_200600_302600_NS6detail15normal_iteratorINSA_10device_ptrItEEEEPS6_SG_NS0_5tupleIJNSA_16discard_iteratorINSA_11use_defaultEEESF_EEENSH_IJSG_SG_EEES6_PlJ7is_evenItEEEE10hipError_tPvRmT3_T4_T5_T6_T7_T9_mT8_P12ihipStream_tbDpT10_ENKUlT_T0_E_clISt17integral_constantIbLb1EES19_EEDaS14_S15_EUlS14_E_NS1_11comp_targetILNS1_3genE9ELNS1_11target_archE1100ELNS1_3gpuE3ELNS1_3repE0EEENS1_30default_config_static_selectorELNS0_4arch9wavefront6targetE1EEEvT1_,comdat
	.protected	_ZN7rocprim17ROCPRIM_400000_NS6detail17trampoline_kernelINS0_14default_configENS1_25partition_config_selectorILNS1_17partition_subalgoE0EtNS0_10empty_typeEbEEZZNS1_14partition_implILS5_0ELb0ES3_jN6thrust23THRUST_200600_302600_NS6detail15normal_iteratorINSA_10device_ptrItEEEEPS6_SG_NS0_5tupleIJNSA_16discard_iteratorINSA_11use_defaultEEESF_EEENSH_IJSG_SG_EEES6_PlJ7is_evenItEEEE10hipError_tPvRmT3_T4_T5_T6_T7_T9_mT8_P12ihipStream_tbDpT10_ENKUlT_T0_E_clISt17integral_constantIbLb1EES19_EEDaS14_S15_EUlS14_E_NS1_11comp_targetILNS1_3genE9ELNS1_11target_archE1100ELNS1_3gpuE3ELNS1_3repE0EEENS1_30default_config_static_selectorELNS0_4arch9wavefront6targetE1EEEvT1_ ; -- Begin function _ZN7rocprim17ROCPRIM_400000_NS6detail17trampoline_kernelINS0_14default_configENS1_25partition_config_selectorILNS1_17partition_subalgoE0EtNS0_10empty_typeEbEEZZNS1_14partition_implILS5_0ELb0ES3_jN6thrust23THRUST_200600_302600_NS6detail15normal_iteratorINSA_10device_ptrItEEEEPS6_SG_NS0_5tupleIJNSA_16discard_iteratorINSA_11use_defaultEEESF_EEENSH_IJSG_SG_EEES6_PlJ7is_evenItEEEE10hipError_tPvRmT3_T4_T5_T6_T7_T9_mT8_P12ihipStream_tbDpT10_ENKUlT_T0_E_clISt17integral_constantIbLb1EES19_EEDaS14_S15_EUlS14_E_NS1_11comp_targetILNS1_3genE9ELNS1_11target_archE1100ELNS1_3gpuE3ELNS1_3repE0EEENS1_30default_config_static_selectorELNS0_4arch9wavefront6targetE1EEEvT1_
	.globl	_ZN7rocprim17ROCPRIM_400000_NS6detail17trampoline_kernelINS0_14default_configENS1_25partition_config_selectorILNS1_17partition_subalgoE0EtNS0_10empty_typeEbEEZZNS1_14partition_implILS5_0ELb0ES3_jN6thrust23THRUST_200600_302600_NS6detail15normal_iteratorINSA_10device_ptrItEEEEPS6_SG_NS0_5tupleIJNSA_16discard_iteratorINSA_11use_defaultEEESF_EEENSH_IJSG_SG_EEES6_PlJ7is_evenItEEEE10hipError_tPvRmT3_T4_T5_T6_T7_T9_mT8_P12ihipStream_tbDpT10_ENKUlT_T0_E_clISt17integral_constantIbLb1EES19_EEDaS14_S15_EUlS14_E_NS1_11comp_targetILNS1_3genE9ELNS1_11target_archE1100ELNS1_3gpuE3ELNS1_3repE0EEENS1_30default_config_static_selectorELNS0_4arch9wavefront6targetE1EEEvT1_
	.p2align	8
	.type	_ZN7rocprim17ROCPRIM_400000_NS6detail17trampoline_kernelINS0_14default_configENS1_25partition_config_selectorILNS1_17partition_subalgoE0EtNS0_10empty_typeEbEEZZNS1_14partition_implILS5_0ELb0ES3_jN6thrust23THRUST_200600_302600_NS6detail15normal_iteratorINSA_10device_ptrItEEEEPS6_SG_NS0_5tupleIJNSA_16discard_iteratorINSA_11use_defaultEEESF_EEENSH_IJSG_SG_EEES6_PlJ7is_evenItEEEE10hipError_tPvRmT3_T4_T5_T6_T7_T9_mT8_P12ihipStream_tbDpT10_ENKUlT_T0_E_clISt17integral_constantIbLb1EES19_EEDaS14_S15_EUlS14_E_NS1_11comp_targetILNS1_3genE9ELNS1_11target_archE1100ELNS1_3gpuE3ELNS1_3repE0EEENS1_30default_config_static_selectorELNS0_4arch9wavefront6targetE1EEEvT1_,@function
_ZN7rocprim17ROCPRIM_400000_NS6detail17trampoline_kernelINS0_14default_configENS1_25partition_config_selectorILNS1_17partition_subalgoE0EtNS0_10empty_typeEbEEZZNS1_14partition_implILS5_0ELb0ES3_jN6thrust23THRUST_200600_302600_NS6detail15normal_iteratorINSA_10device_ptrItEEEEPS6_SG_NS0_5tupleIJNSA_16discard_iteratorINSA_11use_defaultEEESF_EEENSH_IJSG_SG_EEES6_PlJ7is_evenItEEEE10hipError_tPvRmT3_T4_T5_T6_T7_T9_mT8_P12ihipStream_tbDpT10_ENKUlT_T0_E_clISt17integral_constantIbLb1EES19_EEDaS14_S15_EUlS14_E_NS1_11comp_targetILNS1_3genE9ELNS1_11target_archE1100ELNS1_3gpuE3ELNS1_3repE0EEENS1_30default_config_static_selectorELNS0_4arch9wavefront6targetE1EEEvT1_: ; @_ZN7rocprim17ROCPRIM_400000_NS6detail17trampoline_kernelINS0_14default_configENS1_25partition_config_selectorILNS1_17partition_subalgoE0EtNS0_10empty_typeEbEEZZNS1_14partition_implILS5_0ELb0ES3_jN6thrust23THRUST_200600_302600_NS6detail15normal_iteratorINSA_10device_ptrItEEEEPS6_SG_NS0_5tupleIJNSA_16discard_iteratorINSA_11use_defaultEEESF_EEENSH_IJSG_SG_EEES6_PlJ7is_evenItEEEE10hipError_tPvRmT3_T4_T5_T6_T7_T9_mT8_P12ihipStream_tbDpT10_ENKUlT_T0_E_clISt17integral_constantIbLb1EES19_EEDaS14_S15_EUlS14_E_NS1_11comp_targetILNS1_3genE9ELNS1_11target_archE1100ELNS1_3gpuE3ELNS1_3repE0EEENS1_30default_config_static_selectorELNS0_4arch9wavefront6targetE1EEEvT1_
; %bb.0:
	.section	.rodata,"a",@progbits
	.p2align	6, 0x0
	.amdhsa_kernel _ZN7rocprim17ROCPRIM_400000_NS6detail17trampoline_kernelINS0_14default_configENS1_25partition_config_selectorILNS1_17partition_subalgoE0EtNS0_10empty_typeEbEEZZNS1_14partition_implILS5_0ELb0ES3_jN6thrust23THRUST_200600_302600_NS6detail15normal_iteratorINSA_10device_ptrItEEEEPS6_SG_NS0_5tupleIJNSA_16discard_iteratorINSA_11use_defaultEEESF_EEENSH_IJSG_SG_EEES6_PlJ7is_evenItEEEE10hipError_tPvRmT3_T4_T5_T6_T7_T9_mT8_P12ihipStream_tbDpT10_ENKUlT_T0_E_clISt17integral_constantIbLb1EES19_EEDaS14_S15_EUlS14_E_NS1_11comp_targetILNS1_3genE9ELNS1_11target_archE1100ELNS1_3gpuE3ELNS1_3repE0EEENS1_30default_config_static_selectorELNS0_4arch9wavefront6targetE1EEEvT1_
		.amdhsa_group_segment_fixed_size 0
		.amdhsa_private_segment_fixed_size 0
		.amdhsa_kernarg_size 144
		.amdhsa_user_sgpr_count 2
		.amdhsa_user_sgpr_dispatch_ptr 0
		.amdhsa_user_sgpr_queue_ptr 0
		.amdhsa_user_sgpr_kernarg_segment_ptr 1
		.amdhsa_user_sgpr_dispatch_id 0
		.amdhsa_user_sgpr_kernarg_preload_length 0
		.amdhsa_user_sgpr_kernarg_preload_offset 0
		.amdhsa_user_sgpr_private_segment_size 0
		.amdhsa_uses_dynamic_stack 0
		.amdhsa_enable_private_segment 0
		.amdhsa_system_sgpr_workgroup_id_x 1
		.amdhsa_system_sgpr_workgroup_id_y 0
		.amdhsa_system_sgpr_workgroup_id_z 0
		.amdhsa_system_sgpr_workgroup_info 0
		.amdhsa_system_vgpr_workitem_id 0
		.amdhsa_next_free_vgpr 1
		.amdhsa_next_free_sgpr 0
		.amdhsa_accum_offset 4
		.amdhsa_reserve_vcc 0
		.amdhsa_float_round_mode_32 0
		.amdhsa_float_round_mode_16_64 0
		.amdhsa_float_denorm_mode_32 3
		.amdhsa_float_denorm_mode_16_64 3
		.amdhsa_dx10_clamp 1
		.amdhsa_ieee_mode 1
		.amdhsa_fp16_overflow 0
		.amdhsa_tg_split 0
		.amdhsa_exception_fp_ieee_invalid_op 0
		.amdhsa_exception_fp_denorm_src 0
		.amdhsa_exception_fp_ieee_div_zero 0
		.amdhsa_exception_fp_ieee_overflow 0
		.amdhsa_exception_fp_ieee_underflow 0
		.amdhsa_exception_fp_ieee_inexact 0
		.amdhsa_exception_int_div_zero 0
	.end_amdhsa_kernel
	.section	.text._ZN7rocprim17ROCPRIM_400000_NS6detail17trampoline_kernelINS0_14default_configENS1_25partition_config_selectorILNS1_17partition_subalgoE0EtNS0_10empty_typeEbEEZZNS1_14partition_implILS5_0ELb0ES3_jN6thrust23THRUST_200600_302600_NS6detail15normal_iteratorINSA_10device_ptrItEEEEPS6_SG_NS0_5tupleIJNSA_16discard_iteratorINSA_11use_defaultEEESF_EEENSH_IJSG_SG_EEES6_PlJ7is_evenItEEEE10hipError_tPvRmT3_T4_T5_T6_T7_T9_mT8_P12ihipStream_tbDpT10_ENKUlT_T0_E_clISt17integral_constantIbLb1EES19_EEDaS14_S15_EUlS14_E_NS1_11comp_targetILNS1_3genE9ELNS1_11target_archE1100ELNS1_3gpuE3ELNS1_3repE0EEENS1_30default_config_static_selectorELNS0_4arch9wavefront6targetE1EEEvT1_,"axG",@progbits,_ZN7rocprim17ROCPRIM_400000_NS6detail17trampoline_kernelINS0_14default_configENS1_25partition_config_selectorILNS1_17partition_subalgoE0EtNS0_10empty_typeEbEEZZNS1_14partition_implILS5_0ELb0ES3_jN6thrust23THRUST_200600_302600_NS6detail15normal_iteratorINSA_10device_ptrItEEEEPS6_SG_NS0_5tupleIJNSA_16discard_iteratorINSA_11use_defaultEEESF_EEENSH_IJSG_SG_EEES6_PlJ7is_evenItEEEE10hipError_tPvRmT3_T4_T5_T6_T7_T9_mT8_P12ihipStream_tbDpT10_ENKUlT_T0_E_clISt17integral_constantIbLb1EES19_EEDaS14_S15_EUlS14_E_NS1_11comp_targetILNS1_3genE9ELNS1_11target_archE1100ELNS1_3gpuE3ELNS1_3repE0EEENS1_30default_config_static_selectorELNS0_4arch9wavefront6targetE1EEEvT1_,comdat
.Lfunc_end2569:
	.size	_ZN7rocprim17ROCPRIM_400000_NS6detail17trampoline_kernelINS0_14default_configENS1_25partition_config_selectorILNS1_17partition_subalgoE0EtNS0_10empty_typeEbEEZZNS1_14partition_implILS5_0ELb0ES3_jN6thrust23THRUST_200600_302600_NS6detail15normal_iteratorINSA_10device_ptrItEEEEPS6_SG_NS0_5tupleIJNSA_16discard_iteratorINSA_11use_defaultEEESF_EEENSH_IJSG_SG_EEES6_PlJ7is_evenItEEEE10hipError_tPvRmT3_T4_T5_T6_T7_T9_mT8_P12ihipStream_tbDpT10_ENKUlT_T0_E_clISt17integral_constantIbLb1EES19_EEDaS14_S15_EUlS14_E_NS1_11comp_targetILNS1_3genE9ELNS1_11target_archE1100ELNS1_3gpuE3ELNS1_3repE0EEENS1_30default_config_static_selectorELNS0_4arch9wavefront6targetE1EEEvT1_, .Lfunc_end2569-_ZN7rocprim17ROCPRIM_400000_NS6detail17trampoline_kernelINS0_14default_configENS1_25partition_config_selectorILNS1_17partition_subalgoE0EtNS0_10empty_typeEbEEZZNS1_14partition_implILS5_0ELb0ES3_jN6thrust23THRUST_200600_302600_NS6detail15normal_iteratorINSA_10device_ptrItEEEEPS6_SG_NS0_5tupleIJNSA_16discard_iteratorINSA_11use_defaultEEESF_EEENSH_IJSG_SG_EEES6_PlJ7is_evenItEEEE10hipError_tPvRmT3_T4_T5_T6_T7_T9_mT8_P12ihipStream_tbDpT10_ENKUlT_T0_E_clISt17integral_constantIbLb1EES19_EEDaS14_S15_EUlS14_E_NS1_11comp_targetILNS1_3genE9ELNS1_11target_archE1100ELNS1_3gpuE3ELNS1_3repE0EEENS1_30default_config_static_selectorELNS0_4arch9wavefront6targetE1EEEvT1_
                                        ; -- End function
	.section	.AMDGPU.csdata,"",@progbits
; Kernel info:
; codeLenInByte = 0
; NumSgprs: 6
; NumVgprs: 0
; NumAgprs: 0
; TotalNumVgprs: 0
; ScratchSize: 0
; MemoryBound: 0
; FloatMode: 240
; IeeeMode: 1
; LDSByteSize: 0 bytes/workgroup (compile time only)
; SGPRBlocks: 0
; VGPRBlocks: 0
; NumSGPRsForWavesPerEU: 6
; NumVGPRsForWavesPerEU: 1
; AccumOffset: 4
; Occupancy: 8
; WaveLimiterHint : 0
; COMPUTE_PGM_RSRC2:SCRATCH_EN: 0
; COMPUTE_PGM_RSRC2:USER_SGPR: 2
; COMPUTE_PGM_RSRC2:TRAP_HANDLER: 0
; COMPUTE_PGM_RSRC2:TGID_X_EN: 1
; COMPUTE_PGM_RSRC2:TGID_Y_EN: 0
; COMPUTE_PGM_RSRC2:TGID_Z_EN: 0
; COMPUTE_PGM_RSRC2:TIDIG_COMP_CNT: 0
; COMPUTE_PGM_RSRC3_GFX90A:ACCUM_OFFSET: 0
; COMPUTE_PGM_RSRC3_GFX90A:TG_SPLIT: 0
	.section	.text._ZN7rocprim17ROCPRIM_400000_NS6detail17trampoline_kernelINS0_14default_configENS1_25partition_config_selectorILNS1_17partition_subalgoE0EtNS0_10empty_typeEbEEZZNS1_14partition_implILS5_0ELb0ES3_jN6thrust23THRUST_200600_302600_NS6detail15normal_iteratorINSA_10device_ptrItEEEEPS6_SG_NS0_5tupleIJNSA_16discard_iteratorINSA_11use_defaultEEESF_EEENSH_IJSG_SG_EEES6_PlJ7is_evenItEEEE10hipError_tPvRmT3_T4_T5_T6_T7_T9_mT8_P12ihipStream_tbDpT10_ENKUlT_T0_E_clISt17integral_constantIbLb1EES19_EEDaS14_S15_EUlS14_E_NS1_11comp_targetILNS1_3genE8ELNS1_11target_archE1030ELNS1_3gpuE2ELNS1_3repE0EEENS1_30default_config_static_selectorELNS0_4arch9wavefront6targetE1EEEvT1_,"axG",@progbits,_ZN7rocprim17ROCPRIM_400000_NS6detail17trampoline_kernelINS0_14default_configENS1_25partition_config_selectorILNS1_17partition_subalgoE0EtNS0_10empty_typeEbEEZZNS1_14partition_implILS5_0ELb0ES3_jN6thrust23THRUST_200600_302600_NS6detail15normal_iteratorINSA_10device_ptrItEEEEPS6_SG_NS0_5tupleIJNSA_16discard_iteratorINSA_11use_defaultEEESF_EEENSH_IJSG_SG_EEES6_PlJ7is_evenItEEEE10hipError_tPvRmT3_T4_T5_T6_T7_T9_mT8_P12ihipStream_tbDpT10_ENKUlT_T0_E_clISt17integral_constantIbLb1EES19_EEDaS14_S15_EUlS14_E_NS1_11comp_targetILNS1_3genE8ELNS1_11target_archE1030ELNS1_3gpuE2ELNS1_3repE0EEENS1_30default_config_static_selectorELNS0_4arch9wavefront6targetE1EEEvT1_,comdat
	.protected	_ZN7rocprim17ROCPRIM_400000_NS6detail17trampoline_kernelINS0_14default_configENS1_25partition_config_selectorILNS1_17partition_subalgoE0EtNS0_10empty_typeEbEEZZNS1_14partition_implILS5_0ELb0ES3_jN6thrust23THRUST_200600_302600_NS6detail15normal_iteratorINSA_10device_ptrItEEEEPS6_SG_NS0_5tupleIJNSA_16discard_iteratorINSA_11use_defaultEEESF_EEENSH_IJSG_SG_EEES6_PlJ7is_evenItEEEE10hipError_tPvRmT3_T4_T5_T6_T7_T9_mT8_P12ihipStream_tbDpT10_ENKUlT_T0_E_clISt17integral_constantIbLb1EES19_EEDaS14_S15_EUlS14_E_NS1_11comp_targetILNS1_3genE8ELNS1_11target_archE1030ELNS1_3gpuE2ELNS1_3repE0EEENS1_30default_config_static_selectorELNS0_4arch9wavefront6targetE1EEEvT1_ ; -- Begin function _ZN7rocprim17ROCPRIM_400000_NS6detail17trampoline_kernelINS0_14default_configENS1_25partition_config_selectorILNS1_17partition_subalgoE0EtNS0_10empty_typeEbEEZZNS1_14partition_implILS5_0ELb0ES3_jN6thrust23THRUST_200600_302600_NS6detail15normal_iteratorINSA_10device_ptrItEEEEPS6_SG_NS0_5tupleIJNSA_16discard_iteratorINSA_11use_defaultEEESF_EEENSH_IJSG_SG_EEES6_PlJ7is_evenItEEEE10hipError_tPvRmT3_T4_T5_T6_T7_T9_mT8_P12ihipStream_tbDpT10_ENKUlT_T0_E_clISt17integral_constantIbLb1EES19_EEDaS14_S15_EUlS14_E_NS1_11comp_targetILNS1_3genE8ELNS1_11target_archE1030ELNS1_3gpuE2ELNS1_3repE0EEENS1_30default_config_static_selectorELNS0_4arch9wavefront6targetE1EEEvT1_
	.globl	_ZN7rocprim17ROCPRIM_400000_NS6detail17trampoline_kernelINS0_14default_configENS1_25partition_config_selectorILNS1_17partition_subalgoE0EtNS0_10empty_typeEbEEZZNS1_14partition_implILS5_0ELb0ES3_jN6thrust23THRUST_200600_302600_NS6detail15normal_iteratorINSA_10device_ptrItEEEEPS6_SG_NS0_5tupleIJNSA_16discard_iteratorINSA_11use_defaultEEESF_EEENSH_IJSG_SG_EEES6_PlJ7is_evenItEEEE10hipError_tPvRmT3_T4_T5_T6_T7_T9_mT8_P12ihipStream_tbDpT10_ENKUlT_T0_E_clISt17integral_constantIbLb1EES19_EEDaS14_S15_EUlS14_E_NS1_11comp_targetILNS1_3genE8ELNS1_11target_archE1030ELNS1_3gpuE2ELNS1_3repE0EEENS1_30default_config_static_selectorELNS0_4arch9wavefront6targetE1EEEvT1_
	.p2align	8
	.type	_ZN7rocprim17ROCPRIM_400000_NS6detail17trampoline_kernelINS0_14default_configENS1_25partition_config_selectorILNS1_17partition_subalgoE0EtNS0_10empty_typeEbEEZZNS1_14partition_implILS5_0ELb0ES3_jN6thrust23THRUST_200600_302600_NS6detail15normal_iteratorINSA_10device_ptrItEEEEPS6_SG_NS0_5tupleIJNSA_16discard_iteratorINSA_11use_defaultEEESF_EEENSH_IJSG_SG_EEES6_PlJ7is_evenItEEEE10hipError_tPvRmT3_T4_T5_T6_T7_T9_mT8_P12ihipStream_tbDpT10_ENKUlT_T0_E_clISt17integral_constantIbLb1EES19_EEDaS14_S15_EUlS14_E_NS1_11comp_targetILNS1_3genE8ELNS1_11target_archE1030ELNS1_3gpuE2ELNS1_3repE0EEENS1_30default_config_static_selectorELNS0_4arch9wavefront6targetE1EEEvT1_,@function
_ZN7rocprim17ROCPRIM_400000_NS6detail17trampoline_kernelINS0_14default_configENS1_25partition_config_selectorILNS1_17partition_subalgoE0EtNS0_10empty_typeEbEEZZNS1_14partition_implILS5_0ELb0ES3_jN6thrust23THRUST_200600_302600_NS6detail15normal_iteratorINSA_10device_ptrItEEEEPS6_SG_NS0_5tupleIJNSA_16discard_iteratorINSA_11use_defaultEEESF_EEENSH_IJSG_SG_EEES6_PlJ7is_evenItEEEE10hipError_tPvRmT3_T4_T5_T6_T7_T9_mT8_P12ihipStream_tbDpT10_ENKUlT_T0_E_clISt17integral_constantIbLb1EES19_EEDaS14_S15_EUlS14_E_NS1_11comp_targetILNS1_3genE8ELNS1_11target_archE1030ELNS1_3gpuE2ELNS1_3repE0EEENS1_30default_config_static_selectorELNS0_4arch9wavefront6targetE1EEEvT1_: ; @_ZN7rocprim17ROCPRIM_400000_NS6detail17trampoline_kernelINS0_14default_configENS1_25partition_config_selectorILNS1_17partition_subalgoE0EtNS0_10empty_typeEbEEZZNS1_14partition_implILS5_0ELb0ES3_jN6thrust23THRUST_200600_302600_NS6detail15normal_iteratorINSA_10device_ptrItEEEEPS6_SG_NS0_5tupleIJNSA_16discard_iteratorINSA_11use_defaultEEESF_EEENSH_IJSG_SG_EEES6_PlJ7is_evenItEEEE10hipError_tPvRmT3_T4_T5_T6_T7_T9_mT8_P12ihipStream_tbDpT10_ENKUlT_T0_E_clISt17integral_constantIbLb1EES19_EEDaS14_S15_EUlS14_E_NS1_11comp_targetILNS1_3genE8ELNS1_11target_archE1030ELNS1_3gpuE2ELNS1_3repE0EEENS1_30default_config_static_selectorELNS0_4arch9wavefront6targetE1EEEvT1_
; %bb.0:
	.section	.rodata,"a",@progbits
	.p2align	6, 0x0
	.amdhsa_kernel _ZN7rocprim17ROCPRIM_400000_NS6detail17trampoline_kernelINS0_14default_configENS1_25partition_config_selectorILNS1_17partition_subalgoE0EtNS0_10empty_typeEbEEZZNS1_14partition_implILS5_0ELb0ES3_jN6thrust23THRUST_200600_302600_NS6detail15normal_iteratorINSA_10device_ptrItEEEEPS6_SG_NS0_5tupleIJNSA_16discard_iteratorINSA_11use_defaultEEESF_EEENSH_IJSG_SG_EEES6_PlJ7is_evenItEEEE10hipError_tPvRmT3_T4_T5_T6_T7_T9_mT8_P12ihipStream_tbDpT10_ENKUlT_T0_E_clISt17integral_constantIbLb1EES19_EEDaS14_S15_EUlS14_E_NS1_11comp_targetILNS1_3genE8ELNS1_11target_archE1030ELNS1_3gpuE2ELNS1_3repE0EEENS1_30default_config_static_selectorELNS0_4arch9wavefront6targetE1EEEvT1_
		.amdhsa_group_segment_fixed_size 0
		.amdhsa_private_segment_fixed_size 0
		.amdhsa_kernarg_size 144
		.amdhsa_user_sgpr_count 2
		.amdhsa_user_sgpr_dispatch_ptr 0
		.amdhsa_user_sgpr_queue_ptr 0
		.amdhsa_user_sgpr_kernarg_segment_ptr 1
		.amdhsa_user_sgpr_dispatch_id 0
		.amdhsa_user_sgpr_kernarg_preload_length 0
		.amdhsa_user_sgpr_kernarg_preload_offset 0
		.amdhsa_user_sgpr_private_segment_size 0
		.amdhsa_uses_dynamic_stack 0
		.amdhsa_enable_private_segment 0
		.amdhsa_system_sgpr_workgroup_id_x 1
		.amdhsa_system_sgpr_workgroup_id_y 0
		.amdhsa_system_sgpr_workgroup_id_z 0
		.amdhsa_system_sgpr_workgroup_info 0
		.amdhsa_system_vgpr_workitem_id 0
		.amdhsa_next_free_vgpr 1
		.amdhsa_next_free_sgpr 0
		.amdhsa_accum_offset 4
		.amdhsa_reserve_vcc 0
		.amdhsa_float_round_mode_32 0
		.amdhsa_float_round_mode_16_64 0
		.amdhsa_float_denorm_mode_32 3
		.amdhsa_float_denorm_mode_16_64 3
		.amdhsa_dx10_clamp 1
		.amdhsa_ieee_mode 1
		.amdhsa_fp16_overflow 0
		.amdhsa_tg_split 0
		.amdhsa_exception_fp_ieee_invalid_op 0
		.amdhsa_exception_fp_denorm_src 0
		.amdhsa_exception_fp_ieee_div_zero 0
		.amdhsa_exception_fp_ieee_overflow 0
		.amdhsa_exception_fp_ieee_underflow 0
		.amdhsa_exception_fp_ieee_inexact 0
		.amdhsa_exception_int_div_zero 0
	.end_amdhsa_kernel
	.section	.text._ZN7rocprim17ROCPRIM_400000_NS6detail17trampoline_kernelINS0_14default_configENS1_25partition_config_selectorILNS1_17partition_subalgoE0EtNS0_10empty_typeEbEEZZNS1_14partition_implILS5_0ELb0ES3_jN6thrust23THRUST_200600_302600_NS6detail15normal_iteratorINSA_10device_ptrItEEEEPS6_SG_NS0_5tupleIJNSA_16discard_iteratorINSA_11use_defaultEEESF_EEENSH_IJSG_SG_EEES6_PlJ7is_evenItEEEE10hipError_tPvRmT3_T4_T5_T6_T7_T9_mT8_P12ihipStream_tbDpT10_ENKUlT_T0_E_clISt17integral_constantIbLb1EES19_EEDaS14_S15_EUlS14_E_NS1_11comp_targetILNS1_3genE8ELNS1_11target_archE1030ELNS1_3gpuE2ELNS1_3repE0EEENS1_30default_config_static_selectorELNS0_4arch9wavefront6targetE1EEEvT1_,"axG",@progbits,_ZN7rocprim17ROCPRIM_400000_NS6detail17trampoline_kernelINS0_14default_configENS1_25partition_config_selectorILNS1_17partition_subalgoE0EtNS0_10empty_typeEbEEZZNS1_14partition_implILS5_0ELb0ES3_jN6thrust23THRUST_200600_302600_NS6detail15normal_iteratorINSA_10device_ptrItEEEEPS6_SG_NS0_5tupleIJNSA_16discard_iteratorINSA_11use_defaultEEESF_EEENSH_IJSG_SG_EEES6_PlJ7is_evenItEEEE10hipError_tPvRmT3_T4_T5_T6_T7_T9_mT8_P12ihipStream_tbDpT10_ENKUlT_T0_E_clISt17integral_constantIbLb1EES19_EEDaS14_S15_EUlS14_E_NS1_11comp_targetILNS1_3genE8ELNS1_11target_archE1030ELNS1_3gpuE2ELNS1_3repE0EEENS1_30default_config_static_selectorELNS0_4arch9wavefront6targetE1EEEvT1_,comdat
.Lfunc_end2570:
	.size	_ZN7rocprim17ROCPRIM_400000_NS6detail17trampoline_kernelINS0_14default_configENS1_25partition_config_selectorILNS1_17partition_subalgoE0EtNS0_10empty_typeEbEEZZNS1_14partition_implILS5_0ELb0ES3_jN6thrust23THRUST_200600_302600_NS6detail15normal_iteratorINSA_10device_ptrItEEEEPS6_SG_NS0_5tupleIJNSA_16discard_iteratorINSA_11use_defaultEEESF_EEENSH_IJSG_SG_EEES6_PlJ7is_evenItEEEE10hipError_tPvRmT3_T4_T5_T6_T7_T9_mT8_P12ihipStream_tbDpT10_ENKUlT_T0_E_clISt17integral_constantIbLb1EES19_EEDaS14_S15_EUlS14_E_NS1_11comp_targetILNS1_3genE8ELNS1_11target_archE1030ELNS1_3gpuE2ELNS1_3repE0EEENS1_30default_config_static_selectorELNS0_4arch9wavefront6targetE1EEEvT1_, .Lfunc_end2570-_ZN7rocprim17ROCPRIM_400000_NS6detail17trampoline_kernelINS0_14default_configENS1_25partition_config_selectorILNS1_17partition_subalgoE0EtNS0_10empty_typeEbEEZZNS1_14partition_implILS5_0ELb0ES3_jN6thrust23THRUST_200600_302600_NS6detail15normal_iteratorINSA_10device_ptrItEEEEPS6_SG_NS0_5tupleIJNSA_16discard_iteratorINSA_11use_defaultEEESF_EEENSH_IJSG_SG_EEES6_PlJ7is_evenItEEEE10hipError_tPvRmT3_T4_T5_T6_T7_T9_mT8_P12ihipStream_tbDpT10_ENKUlT_T0_E_clISt17integral_constantIbLb1EES19_EEDaS14_S15_EUlS14_E_NS1_11comp_targetILNS1_3genE8ELNS1_11target_archE1030ELNS1_3gpuE2ELNS1_3repE0EEENS1_30default_config_static_selectorELNS0_4arch9wavefront6targetE1EEEvT1_
                                        ; -- End function
	.section	.AMDGPU.csdata,"",@progbits
; Kernel info:
; codeLenInByte = 0
; NumSgprs: 6
; NumVgprs: 0
; NumAgprs: 0
; TotalNumVgprs: 0
; ScratchSize: 0
; MemoryBound: 0
; FloatMode: 240
; IeeeMode: 1
; LDSByteSize: 0 bytes/workgroup (compile time only)
; SGPRBlocks: 0
; VGPRBlocks: 0
; NumSGPRsForWavesPerEU: 6
; NumVGPRsForWavesPerEU: 1
; AccumOffset: 4
; Occupancy: 8
; WaveLimiterHint : 0
; COMPUTE_PGM_RSRC2:SCRATCH_EN: 0
; COMPUTE_PGM_RSRC2:USER_SGPR: 2
; COMPUTE_PGM_RSRC2:TRAP_HANDLER: 0
; COMPUTE_PGM_RSRC2:TGID_X_EN: 1
; COMPUTE_PGM_RSRC2:TGID_Y_EN: 0
; COMPUTE_PGM_RSRC2:TGID_Z_EN: 0
; COMPUTE_PGM_RSRC2:TIDIG_COMP_CNT: 0
; COMPUTE_PGM_RSRC3_GFX90A:ACCUM_OFFSET: 0
; COMPUTE_PGM_RSRC3_GFX90A:TG_SPLIT: 0
	.section	.text._ZN7rocprim17ROCPRIM_400000_NS6detail17trampoline_kernelINS0_14default_configENS1_25partition_config_selectorILNS1_17partition_subalgoE0EtNS0_10empty_typeEbEEZZNS1_14partition_implILS5_0ELb0ES3_jN6thrust23THRUST_200600_302600_NS6detail15normal_iteratorINSA_10device_ptrItEEEEPS6_SG_NS0_5tupleIJNSA_16discard_iteratorINSA_11use_defaultEEESF_EEENSH_IJSG_SG_EEES6_PlJ7is_evenItEEEE10hipError_tPvRmT3_T4_T5_T6_T7_T9_mT8_P12ihipStream_tbDpT10_ENKUlT_T0_E_clISt17integral_constantIbLb1EES18_IbLb0EEEEDaS14_S15_EUlS14_E_NS1_11comp_targetILNS1_3genE0ELNS1_11target_archE4294967295ELNS1_3gpuE0ELNS1_3repE0EEENS1_30default_config_static_selectorELNS0_4arch9wavefront6targetE1EEEvT1_,"axG",@progbits,_ZN7rocprim17ROCPRIM_400000_NS6detail17trampoline_kernelINS0_14default_configENS1_25partition_config_selectorILNS1_17partition_subalgoE0EtNS0_10empty_typeEbEEZZNS1_14partition_implILS5_0ELb0ES3_jN6thrust23THRUST_200600_302600_NS6detail15normal_iteratorINSA_10device_ptrItEEEEPS6_SG_NS0_5tupleIJNSA_16discard_iteratorINSA_11use_defaultEEESF_EEENSH_IJSG_SG_EEES6_PlJ7is_evenItEEEE10hipError_tPvRmT3_T4_T5_T6_T7_T9_mT8_P12ihipStream_tbDpT10_ENKUlT_T0_E_clISt17integral_constantIbLb1EES18_IbLb0EEEEDaS14_S15_EUlS14_E_NS1_11comp_targetILNS1_3genE0ELNS1_11target_archE4294967295ELNS1_3gpuE0ELNS1_3repE0EEENS1_30default_config_static_selectorELNS0_4arch9wavefront6targetE1EEEvT1_,comdat
	.protected	_ZN7rocprim17ROCPRIM_400000_NS6detail17trampoline_kernelINS0_14default_configENS1_25partition_config_selectorILNS1_17partition_subalgoE0EtNS0_10empty_typeEbEEZZNS1_14partition_implILS5_0ELb0ES3_jN6thrust23THRUST_200600_302600_NS6detail15normal_iteratorINSA_10device_ptrItEEEEPS6_SG_NS0_5tupleIJNSA_16discard_iteratorINSA_11use_defaultEEESF_EEENSH_IJSG_SG_EEES6_PlJ7is_evenItEEEE10hipError_tPvRmT3_T4_T5_T6_T7_T9_mT8_P12ihipStream_tbDpT10_ENKUlT_T0_E_clISt17integral_constantIbLb1EES18_IbLb0EEEEDaS14_S15_EUlS14_E_NS1_11comp_targetILNS1_3genE0ELNS1_11target_archE4294967295ELNS1_3gpuE0ELNS1_3repE0EEENS1_30default_config_static_selectorELNS0_4arch9wavefront6targetE1EEEvT1_ ; -- Begin function _ZN7rocprim17ROCPRIM_400000_NS6detail17trampoline_kernelINS0_14default_configENS1_25partition_config_selectorILNS1_17partition_subalgoE0EtNS0_10empty_typeEbEEZZNS1_14partition_implILS5_0ELb0ES3_jN6thrust23THRUST_200600_302600_NS6detail15normal_iteratorINSA_10device_ptrItEEEEPS6_SG_NS0_5tupleIJNSA_16discard_iteratorINSA_11use_defaultEEESF_EEENSH_IJSG_SG_EEES6_PlJ7is_evenItEEEE10hipError_tPvRmT3_T4_T5_T6_T7_T9_mT8_P12ihipStream_tbDpT10_ENKUlT_T0_E_clISt17integral_constantIbLb1EES18_IbLb0EEEEDaS14_S15_EUlS14_E_NS1_11comp_targetILNS1_3genE0ELNS1_11target_archE4294967295ELNS1_3gpuE0ELNS1_3repE0EEENS1_30default_config_static_selectorELNS0_4arch9wavefront6targetE1EEEvT1_
	.globl	_ZN7rocprim17ROCPRIM_400000_NS6detail17trampoline_kernelINS0_14default_configENS1_25partition_config_selectorILNS1_17partition_subalgoE0EtNS0_10empty_typeEbEEZZNS1_14partition_implILS5_0ELb0ES3_jN6thrust23THRUST_200600_302600_NS6detail15normal_iteratorINSA_10device_ptrItEEEEPS6_SG_NS0_5tupleIJNSA_16discard_iteratorINSA_11use_defaultEEESF_EEENSH_IJSG_SG_EEES6_PlJ7is_evenItEEEE10hipError_tPvRmT3_T4_T5_T6_T7_T9_mT8_P12ihipStream_tbDpT10_ENKUlT_T0_E_clISt17integral_constantIbLb1EES18_IbLb0EEEEDaS14_S15_EUlS14_E_NS1_11comp_targetILNS1_3genE0ELNS1_11target_archE4294967295ELNS1_3gpuE0ELNS1_3repE0EEENS1_30default_config_static_selectorELNS0_4arch9wavefront6targetE1EEEvT1_
	.p2align	8
	.type	_ZN7rocprim17ROCPRIM_400000_NS6detail17trampoline_kernelINS0_14default_configENS1_25partition_config_selectorILNS1_17partition_subalgoE0EtNS0_10empty_typeEbEEZZNS1_14partition_implILS5_0ELb0ES3_jN6thrust23THRUST_200600_302600_NS6detail15normal_iteratorINSA_10device_ptrItEEEEPS6_SG_NS0_5tupleIJNSA_16discard_iteratorINSA_11use_defaultEEESF_EEENSH_IJSG_SG_EEES6_PlJ7is_evenItEEEE10hipError_tPvRmT3_T4_T5_T6_T7_T9_mT8_P12ihipStream_tbDpT10_ENKUlT_T0_E_clISt17integral_constantIbLb1EES18_IbLb0EEEEDaS14_S15_EUlS14_E_NS1_11comp_targetILNS1_3genE0ELNS1_11target_archE4294967295ELNS1_3gpuE0ELNS1_3repE0EEENS1_30default_config_static_selectorELNS0_4arch9wavefront6targetE1EEEvT1_,@function
_ZN7rocprim17ROCPRIM_400000_NS6detail17trampoline_kernelINS0_14default_configENS1_25partition_config_selectorILNS1_17partition_subalgoE0EtNS0_10empty_typeEbEEZZNS1_14partition_implILS5_0ELb0ES3_jN6thrust23THRUST_200600_302600_NS6detail15normal_iteratorINSA_10device_ptrItEEEEPS6_SG_NS0_5tupleIJNSA_16discard_iteratorINSA_11use_defaultEEESF_EEENSH_IJSG_SG_EEES6_PlJ7is_evenItEEEE10hipError_tPvRmT3_T4_T5_T6_T7_T9_mT8_P12ihipStream_tbDpT10_ENKUlT_T0_E_clISt17integral_constantIbLb1EES18_IbLb0EEEEDaS14_S15_EUlS14_E_NS1_11comp_targetILNS1_3genE0ELNS1_11target_archE4294967295ELNS1_3gpuE0ELNS1_3repE0EEENS1_30default_config_static_selectorELNS0_4arch9wavefront6targetE1EEEvT1_: ; @_ZN7rocprim17ROCPRIM_400000_NS6detail17trampoline_kernelINS0_14default_configENS1_25partition_config_selectorILNS1_17partition_subalgoE0EtNS0_10empty_typeEbEEZZNS1_14partition_implILS5_0ELb0ES3_jN6thrust23THRUST_200600_302600_NS6detail15normal_iteratorINSA_10device_ptrItEEEEPS6_SG_NS0_5tupleIJNSA_16discard_iteratorINSA_11use_defaultEEESF_EEENSH_IJSG_SG_EEES6_PlJ7is_evenItEEEE10hipError_tPvRmT3_T4_T5_T6_T7_T9_mT8_P12ihipStream_tbDpT10_ENKUlT_T0_E_clISt17integral_constantIbLb1EES18_IbLb0EEEEDaS14_S15_EUlS14_E_NS1_11comp_targetILNS1_3genE0ELNS1_11target_archE4294967295ELNS1_3gpuE0ELNS1_3repE0EEENS1_30default_config_static_selectorELNS0_4arch9wavefront6targetE1EEEvT1_
; %bb.0:
	.section	.rodata,"a",@progbits
	.p2align	6, 0x0
	.amdhsa_kernel _ZN7rocprim17ROCPRIM_400000_NS6detail17trampoline_kernelINS0_14default_configENS1_25partition_config_selectorILNS1_17partition_subalgoE0EtNS0_10empty_typeEbEEZZNS1_14partition_implILS5_0ELb0ES3_jN6thrust23THRUST_200600_302600_NS6detail15normal_iteratorINSA_10device_ptrItEEEEPS6_SG_NS0_5tupleIJNSA_16discard_iteratorINSA_11use_defaultEEESF_EEENSH_IJSG_SG_EEES6_PlJ7is_evenItEEEE10hipError_tPvRmT3_T4_T5_T6_T7_T9_mT8_P12ihipStream_tbDpT10_ENKUlT_T0_E_clISt17integral_constantIbLb1EES18_IbLb0EEEEDaS14_S15_EUlS14_E_NS1_11comp_targetILNS1_3genE0ELNS1_11target_archE4294967295ELNS1_3gpuE0ELNS1_3repE0EEENS1_30default_config_static_selectorELNS0_4arch9wavefront6targetE1EEEvT1_
		.amdhsa_group_segment_fixed_size 0
		.amdhsa_private_segment_fixed_size 0
		.amdhsa_kernarg_size 128
		.amdhsa_user_sgpr_count 2
		.amdhsa_user_sgpr_dispatch_ptr 0
		.amdhsa_user_sgpr_queue_ptr 0
		.amdhsa_user_sgpr_kernarg_segment_ptr 1
		.amdhsa_user_sgpr_dispatch_id 0
		.amdhsa_user_sgpr_kernarg_preload_length 0
		.amdhsa_user_sgpr_kernarg_preload_offset 0
		.amdhsa_user_sgpr_private_segment_size 0
		.amdhsa_uses_dynamic_stack 0
		.amdhsa_enable_private_segment 0
		.amdhsa_system_sgpr_workgroup_id_x 1
		.amdhsa_system_sgpr_workgroup_id_y 0
		.amdhsa_system_sgpr_workgroup_id_z 0
		.amdhsa_system_sgpr_workgroup_info 0
		.amdhsa_system_vgpr_workitem_id 0
		.amdhsa_next_free_vgpr 1
		.amdhsa_next_free_sgpr 0
		.amdhsa_accum_offset 4
		.amdhsa_reserve_vcc 0
		.amdhsa_float_round_mode_32 0
		.amdhsa_float_round_mode_16_64 0
		.amdhsa_float_denorm_mode_32 3
		.amdhsa_float_denorm_mode_16_64 3
		.amdhsa_dx10_clamp 1
		.amdhsa_ieee_mode 1
		.amdhsa_fp16_overflow 0
		.amdhsa_tg_split 0
		.amdhsa_exception_fp_ieee_invalid_op 0
		.amdhsa_exception_fp_denorm_src 0
		.amdhsa_exception_fp_ieee_div_zero 0
		.amdhsa_exception_fp_ieee_overflow 0
		.amdhsa_exception_fp_ieee_underflow 0
		.amdhsa_exception_fp_ieee_inexact 0
		.amdhsa_exception_int_div_zero 0
	.end_amdhsa_kernel
	.section	.text._ZN7rocprim17ROCPRIM_400000_NS6detail17trampoline_kernelINS0_14default_configENS1_25partition_config_selectorILNS1_17partition_subalgoE0EtNS0_10empty_typeEbEEZZNS1_14partition_implILS5_0ELb0ES3_jN6thrust23THRUST_200600_302600_NS6detail15normal_iteratorINSA_10device_ptrItEEEEPS6_SG_NS0_5tupleIJNSA_16discard_iteratorINSA_11use_defaultEEESF_EEENSH_IJSG_SG_EEES6_PlJ7is_evenItEEEE10hipError_tPvRmT3_T4_T5_T6_T7_T9_mT8_P12ihipStream_tbDpT10_ENKUlT_T0_E_clISt17integral_constantIbLb1EES18_IbLb0EEEEDaS14_S15_EUlS14_E_NS1_11comp_targetILNS1_3genE0ELNS1_11target_archE4294967295ELNS1_3gpuE0ELNS1_3repE0EEENS1_30default_config_static_selectorELNS0_4arch9wavefront6targetE1EEEvT1_,"axG",@progbits,_ZN7rocprim17ROCPRIM_400000_NS6detail17trampoline_kernelINS0_14default_configENS1_25partition_config_selectorILNS1_17partition_subalgoE0EtNS0_10empty_typeEbEEZZNS1_14partition_implILS5_0ELb0ES3_jN6thrust23THRUST_200600_302600_NS6detail15normal_iteratorINSA_10device_ptrItEEEEPS6_SG_NS0_5tupleIJNSA_16discard_iteratorINSA_11use_defaultEEESF_EEENSH_IJSG_SG_EEES6_PlJ7is_evenItEEEE10hipError_tPvRmT3_T4_T5_T6_T7_T9_mT8_P12ihipStream_tbDpT10_ENKUlT_T0_E_clISt17integral_constantIbLb1EES18_IbLb0EEEEDaS14_S15_EUlS14_E_NS1_11comp_targetILNS1_3genE0ELNS1_11target_archE4294967295ELNS1_3gpuE0ELNS1_3repE0EEENS1_30default_config_static_selectorELNS0_4arch9wavefront6targetE1EEEvT1_,comdat
.Lfunc_end2571:
	.size	_ZN7rocprim17ROCPRIM_400000_NS6detail17trampoline_kernelINS0_14default_configENS1_25partition_config_selectorILNS1_17partition_subalgoE0EtNS0_10empty_typeEbEEZZNS1_14partition_implILS5_0ELb0ES3_jN6thrust23THRUST_200600_302600_NS6detail15normal_iteratorINSA_10device_ptrItEEEEPS6_SG_NS0_5tupleIJNSA_16discard_iteratorINSA_11use_defaultEEESF_EEENSH_IJSG_SG_EEES6_PlJ7is_evenItEEEE10hipError_tPvRmT3_T4_T5_T6_T7_T9_mT8_P12ihipStream_tbDpT10_ENKUlT_T0_E_clISt17integral_constantIbLb1EES18_IbLb0EEEEDaS14_S15_EUlS14_E_NS1_11comp_targetILNS1_3genE0ELNS1_11target_archE4294967295ELNS1_3gpuE0ELNS1_3repE0EEENS1_30default_config_static_selectorELNS0_4arch9wavefront6targetE1EEEvT1_, .Lfunc_end2571-_ZN7rocprim17ROCPRIM_400000_NS6detail17trampoline_kernelINS0_14default_configENS1_25partition_config_selectorILNS1_17partition_subalgoE0EtNS0_10empty_typeEbEEZZNS1_14partition_implILS5_0ELb0ES3_jN6thrust23THRUST_200600_302600_NS6detail15normal_iteratorINSA_10device_ptrItEEEEPS6_SG_NS0_5tupleIJNSA_16discard_iteratorINSA_11use_defaultEEESF_EEENSH_IJSG_SG_EEES6_PlJ7is_evenItEEEE10hipError_tPvRmT3_T4_T5_T6_T7_T9_mT8_P12ihipStream_tbDpT10_ENKUlT_T0_E_clISt17integral_constantIbLb1EES18_IbLb0EEEEDaS14_S15_EUlS14_E_NS1_11comp_targetILNS1_3genE0ELNS1_11target_archE4294967295ELNS1_3gpuE0ELNS1_3repE0EEENS1_30default_config_static_selectorELNS0_4arch9wavefront6targetE1EEEvT1_
                                        ; -- End function
	.section	.AMDGPU.csdata,"",@progbits
; Kernel info:
; codeLenInByte = 0
; NumSgprs: 6
; NumVgprs: 0
; NumAgprs: 0
; TotalNumVgprs: 0
; ScratchSize: 0
; MemoryBound: 0
; FloatMode: 240
; IeeeMode: 1
; LDSByteSize: 0 bytes/workgroup (compile time only)
; SGPRBlocks: 0
; VGPRBlocks: 0
; NumSGPRsForWavesPerEU: 6
; NumVGPRsForWavesPerEU: 1
; AccumOffset: 4
; Occupancy: 8
; WaveLimiterHint : 0
; COMPUTE_PGM_RSRC2:SCRATCH_EN: 0
; COMPUTE_PGM_RSRC2:USER_SGPR: 2
; COMPUTE_PGM_RSRC2:TRAP_HANDLER: 0
; COMPUTE_PGM_RSRC2:TGID_X_EN: 1
; COMPUTE_PGM_RSRC2:TGID_Y_EN: 0
; COMPUTE_PGM_RSRC2:TGID_Z_EN: 0
; COMPUTE_PGM_RSRC2:TIDIG_COMP_CNT: 0
; COMPUTE_PGM_RSRC3_GFX90A:ACCUM_OFFSET: 0
; COMPUTE_PGM_RSRC3_GFX90A:TG_SPLIT: 0
	.section	.text._ZN7rocprim17ROCPRIM_400000_NS6detail17trampoline_kernelINS0_14default_configENS1_25partition_config_selectorILNS1_17partition_subalgoE0EtNS0_10empty_typeEbEEZZNS1_14partition_implILS5_0ELb0ES3_jN6thrust23THRUST_200600_302600_NS6detail15normal_iteratorINSA_10device_ptrItEEEEPS6_SG_NS0_5tupleIJNSA_16discard_iteratorINSA_11use_defaultEEESF_EEENSH_IJSG_SG_EEES6_PlJ7is_evenItEEEE10hipError_tPvRmT3_T4_T5_T6_T7_T9_mT8_P12ihipStream_tbDpT10_ENKUlT_T0_E_clISt17integral_constantIbLb1EES18_IbLb0EEEEDaS14_S15_EUlS14_E_NS1_11comp_targetILNS1_3genE5ELNS1_11target_archE942ELNS1_3gpuE9ELNS1_3repE0EEENS1_30default_config_static_selectorELNS0_4arch9wavefront6targetE1EEEvT1_,"axG",@progbits,_ZN7rocprim17ROCPRIM_400000_NS6detail17trampoline_kernelINS0_14default_configENS1_25partition_config_selectorILNS1_17partition_subalgoE0EtNS0_10empty_typeEbEEZZNS1_14partition_implILS5_0ELb0ES3_jN6thrust23THRUST_200600_302600_NS6detail15normal_iteratorINSA_10device_ptrItEEEEPS6_SG_NS0_5tupleIJNSA_16discard_iteratorINSA_11use_defaultEEESF_EEENSH_IJSG_SG_EEES6_PlJ7is_evenItEEEE10hipError_tPvRmT3_T4_T5_T6_T7_T9_mT8_P12ihipStream_tbDpT10_ENKUlT_T0_E_clISt17integral_constantIbLb1EES18_IbLb0EEEEDaS14_S15_EUlS14_E_NS1_11comp_targetILNS1_3genE5ELNS1_11target_archE942ELNS1_3gpuE9ELNS1_3repE0EEENS1_30default_config_static_selectorELNS0_4arch9wavefront6targetE1EEEvT1_,comdat
	.protected	_ZN7rocprim17ROCPRIM_400000_NS6detail17trampoline_kernelINS0_14default_configENS1_25partition_config_selectorILNS1_17partition_subalgoE0EtNS0_10empty_typeEbEEZZNS1_14partition_implILS5_0ELb0ES3_jN6thrust23THRUST_200600_302600_NS6detail15normal_iteratorINSA_10device_ptrItEEEEPS6_SG_NS0_5tupleIJNSA_16discard_iteratorINSA_11use_defaultEEESF_EEENSH_IJSG_SG_EEES6_PlJ7is_evenItEEEE10hipError_tPvRmT3_T4_T5_T6_T7_T9_mT8_P12ihipStream_tbDpT10_ENKUlT_T0_E_clISt17integral_constantIbLb1EES18_IbLb0EEEEDaS14_S15_EUlS14_E_NS1_11comp_targetILNS1_3genE5ELNS1_11target_archE942ELNS1_3gpuE9ELNS1_3repE0EEENS1_30default_config_static_selectorELNS0_4arch9wavefront6targetE1EEEvT1_ ; -- Begin function _ZN7rocprim17ROCPRIM_400000_NS6detail17trampoline_kernelINS0_14default_configENS1_25partition_config_selectorILNS1_17partition_subalgoE0EtNS0_10empty_typeEbEEZZNS1_14partition_implILS5_0ELb0ES3_jN6thrust23THRUST_200600_302600_NS6detail15normal_iteratorINSA_10device_ptrItEEEEPS6_SG_NS0_5tupleIJNSA_16discard_iteratorINSA_11use_defaultEEESF_EEENSH_IJSG_SG_EEES6_PlJ7is_evenItEEEE10hipError_tPvRmT3_T4_T5_T6_T7_T9_mT8_P12ihipStream_tbDpT10_ENKUlT_T0_E_clISt17integral_constantIbLb1EES18_IbLb0EEEEDaS14_S15_EUlS14_E_NS1_11comp_targetILNS1_3genE5ELNS1_11target_archE942ELNS1_3gpuE9ELNS1_3repE0EEENS1_30default_config_static_selectorELNS0_4arch9wavefront6targetE1EEEvT1_
	.globl	_ZN7rocprim17ROCPRIM_400000_NS6detail17trampoline_kernelINS0_14default_configENS1_25partition_config_selectorILNS1_17partition_subalgoE0EtNS0_10empty_typeEbEEZZNS1_14partition_implILS5_0ELb0ES3_jN6thrust23THRUST_200600_302600_NS6detail15normal_iteratorINSA_10device_ptrItEEEEPS6_SG_NS0_5tupleIJNSA_16discard_iteratorINSA_11use_defaultEEESF_EEENSH_IJSG_SG_EEES6_PlJ7is_evenItEEEE10hipError_tPvRmT3_T4_T5_T6_T7_T9_mT8_P12ihipStream_tbDpT10_ENKUlT_T0_E_clISt17integral_constantIbLb1EES18_IbLb0EEEEDaS14_S15_EUlS14_E_NS1_11comp_targetILNS1_3genE5ELNS1_11target_archE942ELNS1_3gpuE9ELNS1_3repE0EEENS1_30default_config_static_selectorELNS0_4arch9wavefront6targetE1EEEvT1_
	.p2align	8
	.type	_ZN7rocprim17ROCPRIM_400000_NS6detail17trampoline_kernelINS0_14default_configENS1_25partition_config_selectorILNS1_17partition_subalgoE0EtNS0_10empty_typeEbEEZZNS1_14partition_implILS5_0ELb0ES3_jN6thrust23THRUST_200600_302600_NS6detail15normal_iteratorINSA_10device_ptrItEEEEPS6_SG_NS0_5tupleIJNSA_16discard_iteratorINSA_11use_defaultEEESF_EEENSH_IJSG_SG_EEES6_PlJ7is_evenItEEEE10hipError_tPvRmT3_T4_T5_T6_T7_T9_mT8_P12ihipStream_tbDpT10_ENKUlT_T0_E_clISt17integral_constantIbLb1EES18_IbLb0EEEEDaS14_S15_EUlS14_E_NS1_11comp_targetILNS1_3genE5ELNS1_11target_archE942ELNS1_3gpuE9ELNS1_3repE0EEENS1_30default_config_static_selectorELNS0_4arch9wavefront6targetE1EEEvT1_,@function
_ZN7rocprim17ROCPRIM_400000_NS6detail17trampoline_kernelINS0_14default_configENS1_25partition_config_selectorILNS1_17partition_subalgoE0EtNS0_10empty_typeEbEEZZNS1_14partition_implILS5_0ELb0ES3_jN6thrust23THRUST_200600_302600_NS6detail15normal_iteratorINSA_10device_ptrItEEEEPS6_SG_NS0_5tupleIJNSA_16discard_iteratorINSA_11use_defaultEEESF_EEENSH_IJSG_SG_EEES6_PlJ7is_evenItEEEE10hipError_tPvRmT3_T4_T5_T6_T7_T9_mT8_P12ihipStream_tbDpT10_ENKUlT_T0_E_clISt17integral_constantIbLb1EES18_IbLb0EEEEDaS14_S15_EUlS14_E_NS1_11comp_targetILNS1_3genE5ELNS1_11target_archE942ELNS1_3gpuE9ELNS1_3repE0EEENS1_30default_config_static_selectorELNS0_4arch9wavefront6targetE1EEEvT1_: ; @_ZN7rocprim17ROCPRIM_400000_NS6detail17trampoline_kernelINS0_14default_configENS1_25partition_config_selectorILNS1_17partition_subalgoE0EtNS0_10empty_typeEbEEZZNS1_14partition_implILS5_0ELb0ES3_jN6thrust23THRUST_200600_302600_NS6detail15normal_iteratorINSA_10device_ptrItEEEEPS6_SG_NS0_5tupleIJNSA_16discard_iteratorINSA_11use_defaultEEESF_EEENSH_IJSG_SG_EEES6_PlJ7is_evenItEEEE10hipError_tPvRmT3_T4_T5_T6_T7_T9_mT8_P12ihipStream_tbDpT10_ENKUlT_T0_E_clISt17integral_constantIbLb1EES18_IbLb0EEEEDaS14_S15_EUlS14_E_NS1_11comp_targetILNS1_3genE5ELNS1_11target_archE942ELNS1_3gpuE9ELNS1_3repE0EEENS1_30default_config_static_selectorELNS0_4arch9wavefront6targetE1EEEvT1_
; %bb.0:
	s_load_dwordx2 s[4:5], s[0:1], 0x60
	s_load_dwordx4 s[20:23], s[0:1], 0x8
	s_load_dwordx4 s[24:27], s[0:1], 0x50
	s_load_dword s3, s[0:1], 0x78
	s_mul_i32 s8, s2, 0x3c00
	s_waitcnt lgkmcnt(0)
	v_mov_b32_e32 v3, s5
	s_lshl_b64 s[6:7], s[22:23], 1
	s_add_u32 s10, s20, s6
	s_addc_u32 s11, s21, s7
	s_add_i32 s6, s3, -1
	s_mulk_i32 s3, 0x3c00
	s_add_i32 s5, s3, s22
	s_sub_i32 s33, s4, s5
	s_addk_i32 s33, 0x3c00
	v_mov_b32_e32 v2, s4
	s_add_u32 s4, s22, s3
	s_addc_u32 s5, s23, 0
	s_cmp_eq_u32 s2, s6
	s_load_dwordx2 s[28:29], s[26:27], 0x0
	s_cselect_b64 s[26:27], -1, 0
	s_cmp_lg_u32 s2, s6
	s_mov_b32 s9, 0
	v_cmp_lt_u64_e32 vcc, s[4:5], v[2:3]
	s_cselect_b64 s[4:5], -1, 0
	s_or_b64 s[6:7], s[4:5], vcc
	s_lshl_b64 s[30:31], s[8:9], 1
	s_add_u32 s8, s10, s30
	s_addc_u32 s9, s11, s31
	s_mov_b64 s[4:5], -1
	s_and_b64 vcc, exec, s[6:7]
	v_lshlrev_b32_e32 v2, 1, v0
	s_cbranch_vccz .LBB2572_2
; %bb.1:
	v_mov_b32_e32 v3, 0
	v_lshl_add_u64 v[4:5], s[8:9], 0, v[2:3]
	v_add_co_u32_e32 v6, vcc, 0x1000, v4
	s_mov_b64 s[4:5], 0
	s_nop 0
	v_addc_co_u32_e32 v7, vcc, 0, v5, vcc
	flat_load_ushort v1, v[4:5]
	flat_load_ushort v3, v[4:5] offset:1024
	flat_load_ushort v10, v[4:5] offset:2048
	flat_load_ushort v11, v[4:5] offset:3072
	flat_load_ushort v12, v[6:7]
	flat_load_ushort v13, v[6:7] offset:1024
	flat_load_ushort v14, v[6:7] offset:2048
	flat_load_ushort v15, v[6:7] offset:3072
	v_add_co_u32_e32 v6, vcc, 0x2000, v4
	s_nop 1
	v_addc_co_u32_e32 v7, vcc, 0, v5, vcc
	v_add_co_u32_e32 v8, vcc, 0x3000, v4
	s_nop 1
	v_addc_co_u32_e32 v9, vcc, 0, v5, vcc
	flat_load_ushort v16, v[6:7]
	flat_load_ushort v17, v[6:7] offset:1024
	flat_load_ushort v18, v[6:7] offset:2048
	flat_load_ushort v19, v[6:7] offset:3072
	flat_load_ushort v20, v[8:9]
	flat_load_ushort v21, v[8:9] offset:1024
	flat_load_ushort v22, v[8:9] offset:2048
	flat_load_ushort v23, v[8:9] offset:3072
	v_add_co_u32_e32 v6, vcc, 0x4000, v4
	s_nop 1
	v_addc_co_u32_e32 v7, vcc, 0, v5, vcc
	v_add_co_u32_e32 v8, vcc, 0x5000, v4
	s_nop 1
	v_addc_co_u32_e32 v9, vcc, 0, v5, vcc
	flat_load_ushort v24, v[6:7]
	flat_load_ushort v25, v[6:7] offset:1024
	flat_load_ushort v26, v[6:7] offset:2048
	flat_load_ushort v27, v[6:7] offset:3072
	flat_load_ushort v28, v[8:9]
	flat_load_ushort v29, v[8:9] offset:1024
	flat_load_ushort v30, v[8:9] offset:2048
	flat_load_ushort v31, v[8:9] offset:3072
	v_add_co_u32_e32 v6, vcc, 0x6000, v4
	s_nop 1
	v_addc_co_u32_e32 v7, vcc, 0, v5, vcc
	v_add_co_u32_e32 v4, vcc, 0x7000, v4
	s_nop 1
	v_addc_co_u32_e32 v5, vcc, 0, v5, vcc
	flat_load_ushort v8, v[6:7]
	flat_load_ushort v9, v[6:7] offset:1024
	flat_load_ushort v32, v[6:7] offset:2048
	;; [unrolled: 1-line block ×3, first 2 shown]
	flat_load_ushort v34, v[4:5]
	flat_load_ushort v35, v[4:5] offset:1024
	s_waitcnt vmcnt(0) lgkmcnt(0)
	ds_write_b16 v2, v1
	ds_write_b16 v2, v3 offset:1024
	ds_write_b16 v2, v10 offset:2048
	;; [unrolled: 1-line block ×29, first 2 shown]
	s_waitcnt lgkmcnt(0)
	s_barrier
.LBB2572_2:
	s_andn2_b64 vcc, exec, s[4:5]
	v_cmp_gt_u32_e64 s[4:5], s33, v0
	s_cbranch_vccnz .LBB2572_64
; %bb.3:
                                        ; implicit-def: $vgpr1
	s_and_saveexec_b64 s[10:11], s[4:5]
	s_cbranch_execz .LBB2572_5
; %bb.4:
	v_mov_b32_e32 v3, 0
	v_lshl_add_u64 v[4:5], s[8:9], 0, v[2:3]
	flat_load_ushort v1, v[4:5]
.LBB2572_5:
	s_or_b64 exec, exec, s[10:11]
	v_or_b32_e32 v3, 0x200, v0
	v_cmp_gt_u32_e32 vcc, s33, v3
                                        ; implicit-def: $vgpr4
	s_and_saveexec_b64 s[4:5], vcc
	s_cbranch_execz .LBB2572_7
; %bb.6:
	v_mov_b32_e32 v3, 0
	v_lshl_add_u64 v[4:5], s[8:9], 0, v[2:3]
	flat_load_ushort v4, v[4:5] offset:1024
.LBB2572_7:
	s_or_b64 exec, exec, s[4:5]
	v_or_b32_e32 v3, 0x400, v0
	v_cmp_gt_u32_e32 vcc, s33, v3
                                        ; implicit-def: $vgpr5
	s_and_saveexec_b64 s[4:5], vcc
	s_cbranch_execz .LBB2572_9
; %bb.8:
	v_mov_b32_e32 v3, 0
	v_lshl_add_u64 v[6:7], s[8:9], 0, v[2:3]
	flat_load_ushort v5, v[6:7] offset:2048
.LBB2572_9:
	s_or_b64 exec, exec, s[4:5]
	v_or_b32_e32 v3, 0x600, v0
	v_cmp_gt_u32_e32 vcc, s33, v3
                                        ; implicit-def: $vgpr3
	s_and_saveexec_b64 s[4:5], vcc
	s_cbranch_execz .LBB2572_11
; %bb.10:
	v_mov_b32_e32 v3, 0
	v_lshl_add_u64 v[6:7], s[8:9], 0, v[2:3]
	flat_load_ushort v3, v[6:7] offset:3072
.LBB2572_11:
	s_or_b64 exec, exec, s[4:5]
	v_or_b32_e32 v7, 0x800, v0
	v_cmp_gt_u32_e32 vcc, s33, v7
                                        ; implicit-def: $vgpr6
	s_and_saveexec_b64 s[4:5], vcc
	s_cbranch_execz .LBB2572_13
; %bb.12:
	v_lshlrev_b32_e32 v6, 1, v7
	v_mov_b32_e32 v7, 0
	v_lshl_add_u64 v[6:7], s[8:9], 0, v[6:7]
	flat_load_ushort v6, v[6:7]
.LBB2572_13:
	s_or_b64 exec, exec, s[4:5]
	v_or_b32_e32 v8, 0xa00, v0
	v_cmp_gt_u32_e32 vcc, s33, v8
                                        ; implicit-def: $vgpr7
	s_and_saveexec_b64 s[4:5], vcc
	s_cbranch_execz .LBB2572_15
; %bb.14:
	v_lshlrev_b32_e32 v8, 1, v8
	v_mov_b32_e32 v9, 0
	v_lshl_add_u64 v[8:9], s[8:9], 0, v[8:9]
	flat_load_ushort v7, v[8:9]
.LBB2572_15:
	s_or_b64 exec, exec, s[4:5]
	v_or_b32_e32 v9, 0xc00, v0
	v_cmp_gt_u32_e32 vcc, s33, v9
                                        ; implicit-def: $vgpr8
	s_and_saveexec_b64 s[4:5], vcc
	s_cbranch_execz .LBB2572_17
; %bb.16:
	v_lshlrev_b32_e32 v8, 1, v9
	v_mov_b32_e32 v9, 0
	v_lshl_add_u64 v[8:9], s[8:9], 0, v[8:9]
	flat_load_ushort v8, v[8:9]
.LBB2572_17:
	s_or_b64 exec, exec, s[4:5]
	v_or_b32_e32 v10, 0xe00, v0
	v_cmp_gt_u32_e32 vcc, s33, v10
                                        ; implicit-def: $vgpr9
	s_and_saveexec_b64 s[4:5], vcc
	s_cbranch_execz .LBB2572_19
; %bb.18:
	v_lshlrev_b32_e32 v10, 1, v10
	v_mov_b32_e32 v11, 0
	v_lshl_add_u64 v[10:11], s[8:9], 0, v[10:11]
	flat_load_ushort v9, v[10:11]
.LBB2572_19:
	s_or_b64 exec, exec, s[4:5]
	v_or_b32_e32 v11, 0x1000, v0
	v_cmp_gt_u32_e32 vcc, s33, v11
                                        ; implicit-def: $vgpr10
	s_and_saveexec_b64 s[4:5], vcc
	s_cbranch_execz .LBB2572_21
; %bb.20:
	v_lshlrev_b32_e32 v10, 1, v11
	v_mov_b32_e32 v11, 0
	v_lshl_add_u64 v[10:11], s[8:9], 0, v[10:11]
	flat_load_ushort v10, v[10:11]
.LBB2572_21:
	s_or_b64 exec, exec, s[4:5]
	v_or_b32_e32 v12, 0x1200, v0
	v_cmp_gt_u32_e32 vcc, s33, v12
                                        ; implicit-def: $vgpr11
	s_and_saveexec_b64 s[4:5], vcc
	s_cbranch_execz .LBB2572_23
; %bb.22:
	v_lshlrev_b32_e32 v12, 1, v12
	v_mov_b32_e32 v13, 0
	v_lshl_add_u64 v[12:13], s[8:9], 0, v[12:13]
	flat_load_ushort v11, v[12:13]
.LBB2572_23:
	s_or_b64 exec, exec, s[4:5]
	v_or_b32_e32 v13, 0x1400, v0
	v_cmp_gt_u32_e32 vcc, s33, v13
                                        ; implicit-def: $vgpr12
	s_and_saveexec_b64 s[4:5], vcc
	s_cbranch_execz .LBB2572_25
; %bb.24:
	v_lshlrev_b32_e32 v12, 1, v13
	v_mov_b32_e32 v13, 0
	v_lshl_add_u64 v[12:13], s[8:9], 0, v[12:13]
	flat_load_ushort v12, v[12:13]
.LBB2572_25:
	s_or_b64 exec, exec, s[4:5]
	v_or_b32_e32 v14, 0x1600, v0
	v_cmp_gt_u32_e32 vcc, s33, v14
                                        ; implicit-def: $vgpr13
	s_and_saveexec_b64 s[4:5], vcc
	s_cbranch_execz .LBB2572_27
; %bb.26:
	v_lshlrev_b32_e32 v14, 1, v14
	v_mov_b32_e32 v15, 0
	v_lshl_add_u64 v[14:15], s[8:9], 0, v[14:15]
	flat_load_ushort v13, v[14:15]
.LBB2572_27:
	s_or_b64 exec, exec, s[4:5]
	v_or_b32_e32 v15, 0x1800, v0
	v_cmp_gt_u32_e32 vcc, s33, v15
                                        ; implicit-def: $vgpr14
	s_and_saveexec_b64 s[4:5], vcc
	s_cbranch_execz .LBB2572_29
; %bb.28:
	v_lshlrev_b32_e32 v14, 1, v15
	v_mov_b32_e32 v15, 0
	v_lshl_add_u64 v[14:15], s[8:9], 0, v[14:15]
	flat_load_ushort v14, v[14:15]
.LBB2572_29:
	s_or_b64 exec, exec, s[4:5]
	v_or_b32_e32 v16, 0x1a00, v0
	v_cmp_gt_u32_e32 vcc, s33, v16
                                        ; implicit-def: $vgpr15
	s_and_saveexec_b64 s[4:5], vcc
	s_cbranch_execz .LBB2572_31
; %bb.30:
	v_lshlrev_b32_e32 v16, 1, v16
	v_mov_b32_e32 v17, 0
	v_lshl_add_u64 v[16:17], s[8:9], 0, v[16:17]
	flat_load_ushort v15, v[16:17]
.LBB2572_31:
	s_or_b64 exec, exec, s[4:5]
	v_or_b32_e32 v17, 0x1c00, v0
	v_cmp_gt_u32_e32 vcc, s33, v17
                                        ; implicit-def: $vgpr16
	s_and_saveexec_b64 s[4:5], vcc
	s_cbranch_execz .LBB2572_33
; %bb.32:
	v_lshlrev_b32_e32 v16, 1, v17
	v_mov_b32_e32 v17, 0
	v_lshl_add_u64 v[16:17], s[8:9], 0, v[16:17]
	flat_load_ushort v16, v[16:17]
.LBB2572_33:
	s_or_b64 exec, exec, s[4:5]
	v_or_b32_e32 v18, 0x1e00, v0
	v_cmp_gt_u32_e32 vcc, s33, v18
                                        ; implicit-def: $vgpr17
	s_and_saveexec_b64 s[4:5], vcc
	s_cbranch_execz .LBB2572_35
; %bb.34:
	v_lshlrev_b32_e32 v18, 1, v18
	v_mov_b32_e32 v19, 0
	v_lshl_add_u64 v[18:19], s[8:9], 0, v[18:19]
	flat_load_ushort v17, v[18:19]
.LBB2572_35:
	s_or_b64 exec, exec, s[4:5]
	v_or_b32_e32 v19, 0x2000, v0
	v_cmp_gt_u32_e32 vcc, s33, v19
                                        ; implicit-def: $vgpr18
	s_and_saveexec_b64 s[4:5], vcc
	s_cbranch_execz .LBB2572_37
; %bb.36:
	v_lshlrev_b32_e32 v18, 1, v19
	v_mov_b32_e32 v19, 0
	v_lshl_add_u64 v[18:19], s[8:9], 0, v[18:19]
	flat_load_ushort v18, v[18:19]
.LBB2572_37:
	s_or_b64 exec, exec, s[4:5]
	v_or_b32_e32 v20, 0x2200, v0
	v_cmp_gt_u32_e32 vcc, s33, v20
                                        ; implicit-def: $vgpr19
	s_and_saveexec_b64 s[4:5], vcc
	s_cbranch_execz .LBB2572_39
; %bb.38:
	v_lshlrev_b32_e32 v20, 1, v20
	v_mov_b32_e32 v21, 0
	v_lshl_add_u64 v[20:21], s[8:9], 0, v[20:21]
	flat_load_ushort v19, v[20:21]
.LBB2572_39:
	s_or_b64 exec, exec, s[4:5]
	v_or_b32_e32 v21, 0x2400, v0
	v_cmp_gt_u32_e32 vcc, s33, v21
                                        ; implicit-def: $vgpr20
	s_and_saveexec_b64 s[4:5], vcc
	s_cbranch_execz .LBB2572_41
; %bb.40:
	v_lshlrev_b32_e32 v20, 1, v21
	v_mov_b32_e32 v21, 0
	v_lshl_add_u64 v[20:21], s[8:9], 0, v[20:21]
	flat_load_ushort v20, v[20:21]
.LBB2572_41:
	s_or_b64 exec, exec, s[4:5]
	v_or_b32_e32 v22, 0x2600, v0
	v_cmp_gt_u32_e32 vcc, s33, v22
                                        ; implicit-def: $vgpr21
	s_and_saveexec_b64 s[4:5], vcc
	s_cbranch_execz .LBB2572_43
; %bb.42:
	v_lshlrev_b32_e32 v22, 1, v22
	v_mov_b32_e32 v23, 0
	v_lshl_add_u64 v[22:23], s[8:9], 0, v[22:23]
	flat_load_ushort v21, v[22:23]
.LBB2572_43:
	s_or_b64 exec, exec, s[4:5]
	v_or_b32_e32 v23, 0x2800, v0
	v_cmp_gt_u32_e32 vcc, s33, v23
                                        ; implicit-def: $vgpr22
	s_and_saveexec_b64 s[4:5], vcc
	s_cbranch_execz .LBB2572_45
; %bb.44:
	v_lshlrev_b32_e32 v22, 1, v23
	v_mov_b32_e32 v23, 0
	v_lshl_add_u64 v[22:23], s[8:9], 0, v[22:23]
	flat_load_ushort v22, v[22:23]
.LBB2572_45:
	s_or_b64 exec, exec, s[4:5]
	v_or_b32_e32 v24, 0x2a00, v0
	v_cmp_gt_u32_e32 vcc, s33, v24
                                        ; implicit-def: $vgpr23
	s_and_saveexec_b64 s[4:5], vcc
	s_cbranch_execz .LBB2572_47
; %bb.46:
	v_lshlrev_b32_e32 v24, 1, v24
	v_mov_b32_e32 v25, 0
	v_lshl_add_u64 v[24:25], s[8:9], 0, v[24:25]
	flat_load_ushort v23, v[24:25]
.LBB2572_47:
	s_or_b64 exec, exec, s[4:5]
	v_or_b32_e32 v25, 0x2c00, v0
	v_cmp_gt_u32_e32 vcc, s33, v25
                                        ; implicit-def: $vgpr24
	s_and_saveexec_b64 s[4:5], vcc
	s_cbranch_execz .LBB2572_49
; %bb.48:
	v_lshlrev_b32_e32 v24, 1, v25
	v_mov_b32_e32 v25, 0
	v_lshl_add_u64 v[24:25], s[8:9], 0, v[24:25]
	flat_load_ushort v24, v[24:25]
.LBB2572_49:
	s_or_b64 exec, exec, s[4:5]
	v_or_b32_e32 v26, 0x2e00, v0
	v_cmp_gt_u32_e32 vcc, s33, v26
                                        ; implicit-def: $vgpr25
	s_and_saveexec_b64 s[4:5], vcc
	s_cbranch_execz .LBB2572_51
; %bb.50:
	v_lshlrev_b32_e32 v26, 1, v26
	v_mov_b32_e32 v27, 0
	v_lshl_add_u64 v[26:27], s[8:9], 0, v[26:27]
	flat_load_ushort v25, v[26:27]
.LBB2572_51:
	s_or_b64 exec, exec, s[4:5]
	v_or_b32_e32 v27, 0x3000, v0
	v_cmp_gt_u32_e32 vcc, s33, v27
                                        ; implicit-def: $vgpr26
	s_and_saveexec_b64 s[4:5], vcc
	s_cbranch_execz .LBB2572_53
; %bb.52:
	v_lshlrev_b32_e32 v26, 1, v27
	v_mov_b32_e32 v27, 0
	v_lshl_add_u64 v[26:27], s[8:9], 0, v[26:27]
	flat_load_ushort v26, v[26:27]
.LBB2572_53:
	s_or_b64 exec, exec, s[4:5]
	v_or_b32_e32 v28, 0x3200, v0
	v_cmp_gt_u32_e32 vcc, s33, v28
                                        ; implicit-def: $vgpr27
	s_and_saveexec_b64 s[4:5], vcc
	s_cbranch_execz .LBB2572_55
; %bb.54:
	v_lshlrev_b32_e32 v28, 1, v28
	v_mov_b32_e32 v29, 0
	v_lshl_add_u64 v[28:29], s[8:9], 0, v[28:29]
	flat_load_ushort v27, v[28:29]
.LBB2572_55:
	s_or_b64 exec, exec, s[4:5]
	v_or_b32_e32 v29, 0x3400, v0
	v_cmp_gt_u32_e32 vcc, s33, v29
                                        ; implicit-def: $vgpr28
	s_and_saveexec_b64 s[4:5], vcc
	s_cbranch_execz .LBB2572_57
; %bb.56:
	v_lshlrev_b32_e32 v28, 1, v29
	v_mov_b32_e32 v29, 0
	v_lshl_add_u64 v[28:29], s[8:9], 0, v[28:29]
	flat_load_ushort v28, v[28:29]
.LBB2572_57:
	s_or_b64 exec, exec, s[4:5]
	v_or_b32_e32 v30, 0x3600, v0
	v_cmp_gt_u32_e32 vcc, s33, v30
                                        ; implicit-def: $vgpr29
	s_and_saveexec_b64 s[4:5], vcc
	s_cbranch_execz .LBB2572_59
; %bb.58:
	v_lshlrev_b32_e32 v30, 1, v30
	v_mov_b32_e32 v31, 0
	v_lshl_add_u64 v[30:31], s[8:9], 0, v[30:31]
	flat_load_ushort v29, v[30:31]
.LBB2572_59:
	s_or_b64 exec, exec, s[4:5]
	v_or_b32_e32 v31, 0x3800, v0
	v_cmp_gt_u32_e32 vcc, s33, v31
                                        ; implicit-def: $vgpr30
	s_and_saveexec_b64 s[4:5], vcc
	s_cbranch_execz .LBB2572_61
; %bb.60:
	v_lshlrev_b32_e32 v30, 1, v31
	v_mov_b32_e32 v31, 0
	v_lshl_add_u64 v[30:31], s[8:9], 0, v[30:31]
	flat_load_ushort v30, v[30:31]
.LBB2572_61:
	s_or_b64 exec, exec, s[4:5]
	v_or_b32_e32 v32, 0x3a00, v0
	v_cmp_gt_u32_e32 vcc, s33, v32
                                        ; implicit-def: $vgpr31
	s_and_saveexec_b64 s[4:5], vcc
	s_cbranch_execz .LBB2572_63
; %bb.62:
	v_lshlrev_b32_e32 v32, 1, v32
	v_mov_b32_e32 v33, 0
	v_lshl_add_u64 v[32:33], s[8:9], 0, v[32:33]
	flat_load_ushort v31, v[32:33]
.LBB2572_63:
	s_or_b64 exec, exec, s[4:5]
	s_waitcnt vmcnt(0) lgkmcnt(0)
	ds_write_b16 v2, v1
	ds_write_b16 v2, v4 offset:1024
	ds_write_b16 v2, v5 offset:2048
	;; [unrolled: 1-line block ×29, first 2 shown]
	s_waitcnt lgkmcnt(0)
	s_barrier
.LBB2572_64:
	v_mul_u32_u24_e32 v40, 30, v0
	v_lshlrev_b32_e32 v4, 1, v40
	s_waitcnt lgkmcnt(0)
	ds_read_b32 v3, v4 offset:56
	ds_read2_b32 v[6:7], v4 offset0:12 offset1:13
	ds_read2_b32 v[8:9], v4 offset0:10 offset1:11
	;; [unrolled: 1-line block ×3, first 2 shown]
	ds_read2_b32 v[18:19], v4 offset1:1
	ds_read2_b32 v[16:17], v4 offset0:2 offset1:3
	ds_read2_b32 v[14:15], v4 offset0:4 offset1:5
	ds_read2_b32 v[12:13], v4 offset0:6 offset1:7
	s_waitcnt lgkmcnt(7)
	v_lshrrev_b32_e32 v1, 16, v3
	s_waitcnt lgkmcnt(6)
	v_lshrrev_b32_e32 v29, 16, v6
	v_lshrrev_b32_e32 v28, 16, v7
	s_waitcnt lgkmcnt(5)
	v_lshrrev_b32_e32 v31, 16, v8
	;; [unrolled: 3-line block ×6, first 2 shown]
	v_lshrrev_b32_e32 v34, 16, v13
	v_lshrrev_b32_e32 v33, 16, v10
	;; [unrolled: 1-line block ×3, first 2 shown]
	v_cndmask_b32_e64 v4, 0, 1, s[6:7]
	v_cmp_ne_u32_e64 s[20:21], 1, v4
	s_andn2_b64 vcc, exec, s[6:7]
	v_xor_b32_e32 v92, -1, v18
	v_xor_b32_e32 v91, -1, v42
	;; [unrolled: 1-line block ×30, first 2 shown]
	s_barrier
	s_cbranch_vccnz .LBB2572_66
; %bb.65:
	v_and_b32_e32 v72, 1, v92
	v_and_b32_e32 v71, 1, v91
	;; [unrolled: 1-line block ×30, first 2 shown]
	s_load_dwordx2 s[34:35], s[0:1], 0x70
	s_cbranch_execz .LBB2572_67
	s_branch .LBB2572_68
.LBB2572_66:
                                        ; implicit-def: $vgpr72
                                        ; implicit-def: $vgpr71
                                        ; implicit-def: $vgpr70
                                        ; implicit-def: $vgpr69
                                        ; implicit-def: $vgpr68
                                        ; implicit-def: $vgpr67
                                        ; implicit-def: $vgpr66
                                        ; implicit-def: $vgpr65
                                        ; implicit-def: $vgpr64
                                        ; implicit-def: $vgpr63
                                        ; implicit-def: $vgpr62
                                        ; implicit-def: $vgpr61
                                        ; implicit-def: $vgpr60
                                        ; implicit-def: $vgpr59
                                        ; implicit-def: $vgpr58
                                        ; implicit-def: $vgpr57
                                        ; implicit-def: $vgpr56
                                        ; implicit-def: $vgpr55
                                        ; implicit-def: $vgpr54
                                        ; implicit-def: $vgpr53
                                        ; implicit-def: $vgpr52
                                        ; implicit-def: $vgpr51
                                        ; implicit-def: $vgpr50
                                        ; implicit-def: $vgpr49
                                        ; implicit-def: $vgpr48
                                        ; implicit-def: $vgpr47
                                        ; implicit-def: $vgpr46
                                        ; implicit-def: $vgpr45
                                        ; implicit-def: $vgpr43
                                        ; implicit-def: $vgpr44
	s_load_dwordx2 s[34:35], s[0:1], 0x70
.LBB2572_67:
	v_or_b32_e32 v52, 1, v40
	v_cmp_gt_u32_e32 vcc, s33, v40
	v_add_u32_e32 v53, 2, v40
	v_add_u32_e32 v54, 3, v40
	v_cndmask_b32_e64 v62, 0, 1, vcc
	v_cmp_gt_u32_e32 vcc, s33, v52
	v_add_u32_e32 v55, 4, v40
	v_add_u32_e32 v56, 5, v40
	v_cndmask_b32_e64 v52, 0, 1, vcc
	v_cmp_gt_u32_e32 vcc, s33, v53
	v_and_b32_e32 v71, v52, v91
	v_add_u32_e32 v57, 6, v40
	v_cndmask_b32_e64 v52, 0, 1, vcc
	v_cmp_gt_u32_e32 vcc, s33, v54
	v_and_b32_e32 v70, v52, v90
	;; [unrolled: 4-line block ×9, first 2 shown]
	v_and_b32_e32 v72, v62, v92
	v_cndmask_b32_e64 v52, 0, 1, vcc
	v_cmp_gt_u32_e32 vcc, s33, v93
	v_and_b32_e32 v62, v52, v82
	v_add_u32_e32 v96, 14, v40
	v_cndmask_b32_e64 v52, 0, 1, vcc
	v_cmp_gt_u32_e32 vcc, s33, v94
	v_and_b32_e32 v61, v52, v81
	v_add_u32_e32 v97, 15, v40
	;; [unrolled: 4-line block ×16, first 2 shown]
	v_cndmask_b32_e64 v22, 0, 1, vcc
	v_cmp_gt_u32_e32 vcc, s33, v45
	v_and_b32_e32 v46, v22, v21
	s_nop 0
	v_cndmask_b32_e64 v21, 0, 1, vcc
	v_cmp_gt_u32_e32 vcc, s33, v43
	v_and_b32_e32 v45, v21, v20
	s_nop 0
	v_cndmask_b32_e64 v20, 0, 1, vcc
	v_cmp_gt_u32_e32 vcc, s33, v44
	v_and_b32_e32 v43, v20, v5
	s_nop 0
	v_cndmask_b32_e64 v5, 0, 1, vcc
	v_and_b32_e32 v44, v5, v4
.LBB2572_68:
	v_and_b32_e32 v99, 0xff, v46
	v_and_b32_e32 v100, 0xff, v45
	v_add_u32_sdwa v4, v43, v44 dst_sel:DWORD dst_unused:UNUSED_PAD src0_sel:BYTE_0 src1_sel:BYTE_0
	v_and_b32_e32 v97, 0xff, v48
	v_and_b32_e32 v98, 0xff, v47
	v_add3_u32 v4, v4, v100, v99
	v_and_b32_e32 v95, 0xff, v50
	v_and_b32_e32 v96, 0xff, v49
	v_add3_u32 v4, v4, v98, v97
	;; [unrolled: 3-line block ×13, first 2 shown]
	v_add3_u32 v103, v4, v74, v73
	v_mbcnt_lo_u32_b32 v4, -1, 0
	v_mbcnt_hi_u32_b32 v101, -1, v4
	v_and_b32_e32 v4, 15, v101
	v_cmp_eq_u32_e64 s[16:17], 0, v4
	v_cmp_lt_u32_e64 s[14:15], 1, v4
	v_cmp_lt_u32_e64 s[12:13], 3, v4
	;; [unrolled: 1-line block ×3, first 2 shown]
	v_and_b32_e32 v4, 16, v101
	v_cmp_eq_u32_e64 s[8:9], 0, v4
	v_or_b32_e32 v4, 63, v0
	s_cmp_lg_u32 s2, 0
	v_cmp_lt_u32_e64 s[4:5], 31, v101
	v_lshrrev_b32_e32 v102, 6, v0
	v_cmp_eq_u32_e64 s[6:7], v4, v0
	s_cbranch_scc0 .LBB2572_99
; %bb.69:
	v_mov_b32_dpp v4, v103 row_shr:1 row_mask:0xf bank_mask:0xf
	v_cndmask_b32_e64 v4, v4, 0, s[16:17]
	v_add_u32_e32 v4, v4, v103
	s_nop 1
	v_mov_b32_dpp v5, v4 row_shr:2 row_mask:0xf bank_mask:0xf
	v_cndmask_b32_e64 v5, 0, v5, s[14:15]
	v_add_u32_e32 v4, v4, v5
	s_nop 1
	;; [unrolled: 4-line block ×4, first 2 shown]
	v_mov_b32_dpp v5, v4 row_bcast:15 row_mask:0xf bank_mask:0xf
	v_cndmask_b32_e64 v5, v5, 0, s[8:9]
	v_add_u32_e32 v4, v4, v5
	s_nop 1
	v_mov_b32_dpp v5, v4 row_bcast:31 row_mask:0xf bank_mask:0xf
	v_cndmask_b32_e64 v5, 0, v5, s[4:5]
	v_add_u32_e32 v4, v4, v5
	s_and_saveexec_b64 s[18:19], s[6:7]
	s_cbranch_execz .LBB2572_71
; %bb.70:
	v_lshlrev_b32_e32 v5, 2, v102
	ds_write_b32 v5, v4
.LBB2572_71:
	s_or_b64 exec, exec, s[18:19]
	v_cmp_gt_u32_e32 vcc, 8, v0
	s_waitcnt lgkmcnt(0)
	s_barrier
	s_and_saveexec_b64 s[18:19], vcc
	s_cbranch_execz .LBB2572_73
; %bb.72:
	v_lshlrev_b32_e32 v5, 2, v0
	ds_read_b32 v20, v5
	v_and_b32_e32 v21, 7, v101
	v_cmp_ne_u32_e32 vcc, 0, v21
	s_waitcnt lgkmcnt(0)
	v_mov_b32_dpp v22, v20 row_shr:1 row_mask:0xf bank_mask:0xf
	v_cndmask_b32_e32 v22, 0, v22, vcc
	v_add_u32_e32 v20, v22, v20
	v_cmp_lt_u32_e32 vcc, 1, v21
	s_nop 0
	v_mov_b32_dpp v22, v20 row_shr:2 row_mask:0xf bank_mask:0xf
	v_cndmask_b32_e32 v22, 0, v22, vcc
	v_add_u32_e32 v20, v20, v22
	v_cmp_lt_u32_e32 vcc, 3, v21
	s_nop 0
	v_mov_b32_dpp v22, v20 row_shr:4 row_mask:0xf bank_mask:0xf
	v_cndmask_b32_e32 v21, 0, v22, vcc
	v_add_u32_e32 v20, v20, v21
	ds_write_b32 v5, v20
.LBB2572_73:
	s_or_b64 exec, exec, s[18:19]
	v_cmp_gt_u32_e32 vcc, 64, v0
	v_cmp_lt_u32_e64 s[18:19], 63, v0
	s_waitcnt lgkmcnt(0)
	s_barrier
	s_waitcnt lgkmcnt(0)
                                        ; implicit-def: $vgpr104
	s_and_saveexec_b64 s[36:37], s[18:19]
	s_cbranch_execz .LBB2572_75
; %bb.74:
	v_lshl_add_u32 v5, v102, 2, -4
	ds_read_b32 v104, v5
	s_waitcnt lgkmcnt(0)
	v_add_u32_e32 v4, v104, v4
.LBB2572_75:
	s_or_b64 exec, exec, s[36:37]
	v_add_u32_e32 v5, -1, v101
	v_and_b32_e32 v20, 64, v101
	v_cmp_lt_i32_e64 s[18:19], v5, v20
	s_nop 1
	v_cndmask_b32_e64 v5, v5, v101, s[18:19]
	v_lshlrev_b32_e32 v5, 2, v5
	ds_bpermute_b32 v105, v5, v4
	v_cmp_eq_u32_e64 s[18:19], 0, v101
	s_and_saveexec_b64 s[36:37], vcc
	s_cbranch_execz .LBB2572_98
; %bb.76:
	v_mov_b32_e32 v27, 0
	ds_read_b32 v4, v27 offset:28
	s_and_saveexec_b64 s[38:39], s[18:19]
	s_cbranch_execz .LBB2572_78
; %bb.77:
	s_add_i32 s40, s2, 64
	s_mov_b32 s41, 0
	s_lshl_b64 s[40:41], s[40:41], 3
	s_add_u32 s40, s34, s40
	v_mov_b32_e32 v5, 1
	s_addc_u32 s41, s35, s41
	s_waitcnt lgkmcnt(0)
	global_store_dwordx2 v27, v[4:5], s[40:41] sc1
.LBB2572_78:
	s_or_b64 exec, exec, s[38:39]
	v_xad_u32 v20, v101, -1, s2
	v_add_u32_e32 v26, 64, v20
	v_lshl_add_u64 v[22:23], v[26:27], 3, s[34:35]
	global_load_dwordx2 v[24:25], v[22:23], off sc1
	s_waitcnt vmcnt(0)
	v_cmp_eq_u16_sdwa s[40:41], v25, v27 src0_sel:BYTE_0 src1_sel:DWORD
	s_and_saveexec_b64 s[38:39], s[40:41]
	s_cbranch_execz .LBB2572_84
; %bb.79:
	s_mov_b32 s3, 1
	s_mov_b64 s[40:41], 0
	v_mov_b32_e32 v5, 0
.LBB2572_80:                            ; =>This Loop Header: Depth=1
                                        ;     Child Loop BB2572_81 Depth 2
	s_max_u32 s42, s3, 1
.LBB2572_81:                            ;   Parent Loop BB2572_80 Depth=1
                                        ; =>  This Inner Loop Header: Depth=2
	s_add_i32 s42, s42, -1
	s_cmp_eq_u32 s42, 0
	s_sleep 1
	s_cbranch_scc0 .LBB2572_81
; %bb.82:                               ;   in Loop: Header=BB2572_80 Depth=1
	global_load_dwordx2 v[24:25], v[22:23], off sc1
	s_cmp_lt_u32 s3, 32
	s_cselect_b64 s[42:43], -1, 0
	s_cmp_lg_u64 s[42:43], 0
	s_addc_u32 s3, s3, 0
	s_waitcnt vmcnt(0)
	v_cmp_ne_u16_sdwa s[42:43], v25, v5 src0_sel:BYTE_0 src1_sel:DWORD
	s_or_b64 s[40:41], s[42:43], s[40:41]
	s_andn2_b64 exec, exec, s[40:41]
	s_cbranch_execnz .LBB2572_80
; %bb.83:
	s_or_b64 exec, exec, s[40:41]
.LBB2572_84:
	s_or_b64 exec, exec, s[38:39]
	v_and_b32_e32 v107, 63, v101
	v_mov_b32_e32 v106, 2
	v_cmp_ne_u32_e32 vcc, 63, v107
	v_cmp_eq_u16_sdwa s[38:39], v25, v106 src0_sel:BYTE_0 src1_sel:DWORD
	v_lshlrev_b64 v[22:23], v101, -1
	v_addc_co_u32_e32 v26, vcc, 0, v101, vcc
	v_and_b32_e32 v5, s39, v23
	v_lshlrev_b32_e32 v108, 2, v26
	v_or_b32_e32 v5, 0x80000000, v5
	ds_bpermute_b32 v26, v108, v24
	v_and_b32_e32 v21, s38, v22
	v_ffbl_b32_e32 v5, v5
	v_add_u32_e32 v5, 32, v5
	v_ffbl_b32_e32 v21, v21
	v_min_u32_e32 v5, v21, v5
	v_cmp_lt_u32_e32 vcc, v107, v5
	v_add_u32_e32 v110, 2, v107
	v_add_u32_e32 v112, 4, v107
	s_waitcnt lgkmcnt(0)
	v_cndmask_b32_e32 v21, 0, v26, vcc
	v_cmp_gt_u32_e32 vcc, 62, v107
	v_add_u32_e32 v21, v21, v24
	v_add_u32_e32 v114, 8, v107
	v_cndmask_b32_e64 v24, 0, 1, vcc
	v_lshlrev_b32_e32 v24, 1, v24
	v_add_lshl_u32 v109, v24, v101, 2
	ds_bpermute_b32 v24, v109, v21
	v_cmp_le_u32_e32 vcc, v110, v5
	v_add_u32_e32 v116, 16, v107
	v_add_u32_e32 v118, 32, v107
	s_waitcnt lgkmcnt(0)
	v_cndmask_b32_e32 v24, 0, v24, vcc
	v_cmp_gt_u32_e32 vcc, 60, v107
	v_add_u32_e32 v21, v21, v24
	s_nop 0
	v_cndmask_b32_e64 v24, 0, 1, vcc
	v_lshlrev_b32_e32 v24, 2, v24
	v_add_lshl_u32 v111, v24, v101, 2
	ds_bpermute_b32 v24, v111, v21
	v_cmp_le_u32_e32 vcc, v112, v5
	s_waitcnt lgkmcnt(0)
	s_nop 0
	v_cndmask_b32_e32 v24, 0, v24, vcc
	v_cmp_gt_u32_e32 vcc, 56, v107
	v_add_u32_e32 v21, v21, v24
	s_nop 0
	v_cndmask_b32_e64 v24, 0, 1, vcc
	v_lshlrev_b32_e32 v24, 3, v24
	v_add_lshl_u32 v113, v24, v101, 2
	ds_bpermute_b32 v24, v113, v21
	v_cmp_le_u32_e32 vcc, v114, v5
	s_waitcnt lgkmcnt(0)
	s_nop 0
	;; [unrolled: 11-line block ×4, first 2 shown]
	v_cndmask_b32_e32 v5, 0, v24, vcc
	v_add_u32_e32 v24, v21, v5
	v_mov_b32_e32 v21, 0
	s_branch .LBB2572_86
.LBB2572_85:                            ;   in Loop: Header=BB2572_86 Depth=1
	s_or_b64 exec, exec, s[38:39]
	v_cmp_eq_u16_sdwa s[38:39], v25, v106 src0_sel:BYTE_0 src1_sel:DWORD
	ds_bpermute_b32 v119, v108, v24
	v_subrev_u32_e32 v20, 64, v20
	v_and_b32_e32 v26, s39, v23
	v_or_b32_e32 v26, 0x80000000, v26
	v_and_b32_e32 v27, s38, v22
	v_ffbl_b32_e32 v26, v26
	v_add_u32_e32 v26, 32, v26
	v_ffbl_b32_e32 v27, v27
	v_min_u32_e32 v26, v27, v26
	v_cmp_lt_u32_e32 vcc, v107, v26
	s_waitcnt lgkmcnt(0)
	s_nop 0
	v_cndmask_b32_e32 v27, 0, v119, vcc
	v_add_u32_e32 v24, v27, v24
	ds_bpermute_b32 v27, v109, v24
	v_cmp_le_u32_e32 vcc, v110, v26
	s_waitcnt lgkmcnt(0)
	s_nop 0
	v_cndmask_b32_e32 v27, 0, v27, vcc
	v_add_u32_e32 v24, v24, v27
	ds_bpermute_b32 v27, v111, v24
	v_cmp_le_u32_e32 vcc, v112, v26
	;; [unrolled: 6-line block ×5, first 2 shown]
	s_waitcnt lgkmcnt(0)
	s_nop 0
	v_cndmask_b32_e32 v26, 0, v27, vcc
	v_add3_u32 v24, v26, v5, v24
.LBB2572_86:                            ; =>This Loop Header: Depth=1
                                        ;     Child Loop BB2572_89 Depth 2
                                        ;       Child Loop BB2572_90 Depth 3
	v_cmp_ne_u16_sdwa s[38:39], v25, v106 src0_sel:BYTE_0 src1_sel:DWORD
	s_nop 1
	v_cndmask_b32_e64 v5, 0, 1, s[38:39]
	;;#ASMSTART
	;;#ASMEND
	s_nop 0
	v_cmp_ne_u32_e32 vcc, 0, v5
	s_cmp_lg_u64 vcc, exec
	v_mov_b32_e32 v5, v24
	s_cbranch_scc1 .LBB2572_93
; %bb.87:                               ;   in Loop: Header=BB2572_86 Depth=1
	v_lshl_add_u64 v[26:27], v[20:21], 3, s[34:35]
	global_load_dwordx2 v[24:25], v[26:27], off sc1
	s_waitcnt vmcnt(0)
	v_cmp_eq_u16_sdwa s[40:41], v25, v21 src0_sel:BYTE_0 src1_sel:DWORD
	s_and_saveexec_b64 s[38:39], s[40:41]
	s_cbranch_execz .LBB2572_85
; %bb.88:                               ;   in Loop: Header=BB2572_86 Depth=1
	s_mov_b32 s3, 1
	s_mov_b64 s[40:41], 0
.LBB2572_89:                            ;   Parent Loop BB2572_86 Depth=1
                                        ; =>  This Loop Header: Depth=2
                                        ;       Child Loop BB2572_90 Depth 3
	s_max_u32 s42, s3, 1
.LBB2572_90:                            ;   Parent Loop BB2572_86 Depth=1
                                        ;     Parent Loop BB2572_89 Depth=2
                                        ; =>    This Inner Loop Header: Depth=3
	s_add_i32 s42, s42, -1
	s_cmp_eq_u32 s42, 0
	s_sleep 1
	s_cbranch_scc0 .LBB2572_90
; %bb.91:                               ;   in Loop: Header=BB2572_89 Depth=2
	global_load_dwordx2 v[24:25], v[26:27], off sc1
	s_cmp_lt_u32 s3, 32
	s_cselect_b64 s[42:43], -1, 0
	s_cmp_lg_u64 s[42:43], 0
	s_addc_u32 s3, s3, 0
	s_waitcnt vmcnt(0)
	v_cmp_ne_u16_sdwa s[42:43], v25, v21 src0_sel:BYTE_0 src1_sel:DWORD
	s_or_b64 s[40:41], s[42:43], s[40:41]
	s_andn2_b64 exec, exec, s[40:41]
	s_cbranch_execnz .LBB2572_89
; %bb.92:                               ;   in Loop: Header=BB2572_86 Depth=1
	s_or_b64 exec, exec, s[40:41]
	s_branch .LBB2572_85
.LBB2572_93:                            ;   in Loop: Header=BB2572_86 Depth=1
                                        ; implicit-def: $vgpr24
                                        ; implicit-def: $vgpr25
	s_cbranch_execz .LBB2572_86
; %bb.94:
	s_and_saveexec_b64 s[38:39], s[18:19]
	s_cbranch_execz .LBB2572_96
; %bb.95:
	s_add_i32 s2, s2, 64
	s_mov_b32 s3, 0
	s_lshl_b64 s[2:3], s[2:3], 3
	s_add_u32 s2, s34, s2
	v_add_u32_e32 v20, v5, v4
	v_mov_b32_e32 v21, 2
	s_addc_u32 s3, s35, s3
	v_mov_b32_e32 v22, 0
	global_store_dwordx2 v22, v[20:21], s[2:3] sc1
	ds_write_b64 v22, v[4:5] offset:30720
.LBB2572_96:
	s_or_b64 exec, exec, s[38:39]
	v_cmp_eq_u32_e32 vcc, 0, v0
	s_and_b64 exec, exec, vcc
	s_cbranch_execz .LBB2572_98
; %bb.97:
	v_mov_b32_e32 v4, 0
	ds_write_b32 v4, v5 offset:28
.LBB2572_98:
	s_or_b64 exec, exec, s[36:37]
	v_mov_b32_e32 v4, 0
	s_waitcnt lgkmcnt(0)
	s_barrier
	ds_read_b32 v21, v4 offset:28
	s_waitcnt lgkmcnt(0)
	s_barrier
	ds_read_b64 v[4:5], v4 offset:30720
	v_cndmask_b32_e64 v20, v105, v104, s[18:19]
	v_cmp_ne_u32_e32 vcc, 0, v0
	s_nop 1
	v_cndmask_b32_e32 v20, 0, v20, vcc
	v_add_u32_e32 v21, v21, v20
	s_waitcnt lgkmcnt(0)
	v_mov_b32_e32 v20, v5
	s_branch .LBB2572_109
.LBB2572_99:
                                        ; implicit-def: $vgpr20
                                        ; implicit-def: $vgpr4
                                        ; implicit-def: $vgpr21
	s_cbranch_execz .LBB2572_109
; %bb.100:
	s_nop 0
	v_mov_b32_dpp v4, v103 row_shr:1 row_mask:0xf bank_mask:0xf
	v_cndmask_b32_e64 v4, v4, 0, s[16:17]
	v_add_u32_e32 v4, v4, v103
	s_nop 1
	v_mov_b32_dpp v5, v4 row_shr:2 row_mask:0xf bank_mask:0xf
	v_cndmask_b32_e64 v5, 0, v5, s[14:15]
	v_add_u32_e32 v4, v4, v5
	s_nop 1
	v_mov_b32_dpp v5, v4 row_shr:4 row_mask:0xf bank_mask:0xf
	v_cndmask_b32_e64 v5, 0, v5, s[12:13]
	v_add_u32_e32 v4, v4, v5
	s_nop 1
	v_mov_b32_dpp v5, v4 row_shr:8 row_mask:0xf bank_mask:0xf
	v_cndmask_b32_e64 v5, 0, v5, s[10:11]
	v_add_u32_e32 v4, v4, v5
	s_nop 1
	v_mov_b32_dpp v5, v4 row_bcast:15 row_mask:0xf bank_mask:0xf
	v_cndmask_b32_e64 v5, v5, 0, s[8:9]
	v_add_u32_e32 v4, v4, v5
	s_nop 1
	v_mov_b32_dpp v5, v4 row_bcast:31 row_mask:0xf bank_mask:0xf
	v_cndmask_b32_e64 v5, 0, v5, s[4:5]
	v_add_u32_e32 v4, v4, v5
	s_and_saveexec_b64 s[2:3], s[6:7]
	s_cbranch_execz .LBB2572_102
; %bb.101:
	v_lshlrev_b32_e32 v5, 2, v102
	ds_write_b32 v5, v4
.LBB2572_102:
	s_or_b64 exec, exec, s[2:3]
	v_cmp_gt_u32_e32 vcc, 8, v0
	s_waitcnt lgkmcnt(0)
	s_barrier
	s_and_saveexec_b64 s[2:3], vcc
	s_cbranch_execz .LBB2572_104
; %bb.103:
	v_lshlrev_b32_e32 v5, 2, v0
	ds_read_b32 v20, v5
	v_and_b32_e32 v21, 7, v101
	v_cmp_ne_u32_e32 vcc, 0, v21
	s_waitcnt lgkmcnt(0)
	v_mov_b32_dpp v22, v20 row_shr:1 row_mask:0xf bank_mask:0xf
	v_cndmask_b32_e32 v22, 0, v22, vcc
	v_add_u32_e32 v20, v22, v20
	v_cmp_lt_u32_e32 vcc, 1, v21
	s_nop 0
	v_mov_b32_dpp v22, v20 row_shr:2 row_mask:0xf bank_mask:0xf
	v_cndmask_b32_e32 v22, 0, v22, vcc
	v_add_u32_e32 v20, v20, v22
	v_cmp_lt_u32_e32 vcc, 3, v21
	s_nop 0
	v_mov_b32_dpp v22, v20 row_shr:4 row_mask:0xf bank_mask:0xf
	v_cndmask_b32_e32 v21, 0, v22, vcc
	v_add_u32_e32 v20, v20, v21
	ds_write_b32 v5, v20
.LBB2572_104:
	s_or_b64 exec, exec, s[2:3]
	v_cmp_lt_u32_e32 vcc, 63, v0
	v_mov_b32_e32 v5, 0
	v_mov_b32_e32 v20, 0
	s_waitcnt lgkmcnt(0)
	s_barrier
	s_and_saveexec_b64 s[2:3], vcc
	s_cbranch_execz .LBB2572_106
; %bb.105:
	v_lshl_add_u32 v20, v102, 2, -4
	ds_read_b32 v20, v20
.LBB2572_106:
	s_or_b64 exec, exec, s[2:3]
	v_add_u32_e32 v21, -1, v101
	v_and_b32_e32 v22, 64, v101
	v_cmp_lt_i32_e32 vcc, v21, v22
	s_waitcnt lgkmcnt(0)
	v_add_u32_e32 v4, v20, v4
	v_cndmask_b32_e32 v21, v21, v101, vcc
	v_lshlrev_b32_e32 v21, 2, v21
	ds_bpermute_b32 v21, v21, v4
	ds_read_b32 v4, v5 offset:28
	v_cmp_eq_u32_e32 vcc, 0, v0
	s_and_saveexec_b64 s[2:3], vcc
	s_cbranch_execz .LBB2572_108
; %bb.107:
	v_mov_b32_e32 v22, 0
	v_mov_b32_e32 v5, 2
	s_waitcnt lgkmcnt(0)
	global_store_dwordx2 v22, v[4:5], s[34:35] offset:512 sc1
.LBB2572_108:
	s_or_b64 exec, exec, s[2:3]
	v_cmp_eq_u32_e64 s[2:3], 0, v101
	s_waitcnt lgkmcnt(0)
	s_barrier
	v_cndmask_b32_e64 v5, v21, v20, s[2:3]
	v_mov_b32_e32 v20, 0
	v_cndmask_b32_e64 v21, v5, 0, vcc
.LBB2572_109:
	v_add_u32_e32 v5, v21, v73
	v_add_u32_e32 v22, v5, v74
	;; [unrolled: 1-line block ×22, first 2 shown]
	v_sub_u32_e32 v21, v21, v20
	v_and_b32_e32 v72, 1, v72
	v_add_u32_e32 v87, v86, v94
	v_sub_u32_e32 v94, v40, v21
	v_cmp_eq_u32_e32 vcc, 1, v72
	v_sub_u32_e32 v5, v5, v20
	v_add_u32_e32 v88, v87, v95
	v_cndmask_b32_e32 v21, v94, v21, vcc
	v_lshlrev_b32_e32 v21, 1, v21
	ds_write_b16 v21, v18
	v_sub_u32_e32 v18, v40, v5
	v_and_b32_e32 v21, 1, v71
	v_add_u32_e32 v18, 1, v18
	v_cmp_eq_u32_e32 vcc, 1, v21
	v_and_b32_e32 v21, 1, v70
	v_add_u32_e32 v89, v88, v96
	v_cndmask_b32_e32 v5, v18, v5, vcc
	v_lshlrev_b32_e32 v5, 1, v5
	ds_write_b16 v5, v42
	v_sub_u32_e32 v5, v22, v20
	v_sub_u32_e32 v18, v40, v5
	v_add_u32_e32 v18, 2, v18
	v_cmp_eq_u32_e32 vcc, 1, v21
	v_add_u32_e32 v90, v89, v97
	v_add_u32_e32 v91, v90, v98
	v_cndmask_b32_e32 v5, v18, v5, vcc
	v_lshlrev_b32_e32 v5, 1, v5
	ds_write_b16 v5, v19
	v_sub_u32_e32 v5, v23, v20
	v_sub_u32_e32 v18, v40, v5
	v_and_b32_e32 v19, 1, v69
	v_add_u32_e32 v18, 3, v18
	v_cmp_eq_u32_e32 vcc, 1, v19
	v_and_b32_e32 v19, 1, v68
	v_add_u32_e32 v92, v91, v99
	v_cndmask_b32_e32 v5, v18, v5, vcc
	v_lshlrev_b32_e32 v5, 1, v5
	ds_write_b16 v5, v41
	v_sub_u32_e32 v5, v24, v20
	v_sub_u32_e32 v18, v40, v5
	v_add_u32_e32 v18, 4, v18
	v_cmp_eq_u32_e32 vcc, 1, v19
	v_add_u32_e32 v93, v92, v100
	v_mov_b32_e32 v21, 0
	v_cndmask_b32_e32 v5, v18, v5, vcc
	v_lshlrev_b32_e32 v5, 1, v5
	ds_write_b16 v5, v16
	v_sub_u32_e32 v5, v25, v20
	v_sub_u32_e32 v16, v40, v5
	v_and_b32_e32 v18, 1, v67
	v_add_u32_e32 v16, 5, v16
	v_cmp_eq_u32_e32 vcc, 1, v18
	v_and_b32_e32 v18, 1, v66
	s_load_dwordx2 s[0:1], s[0:1], 0x38
	v_cndmask_b32_e32 v5, v16, v5, vcc
	v_lshlrev_b32_e32 v5, 1, v5
	ds_write_b16 v5, v39
	v_sub_u32_e32 v5, v26, v20
	v_sub_u32_e32 v16, v40, v5
	v_add_u32_e32 v16, 6, v16
	v_cmp_eq_u32_e32 vcc, 1, v18
	v_or_b32_e32 v66, 0x200, v0
	v_or_b32_e32 v42, 0x1a00, v0
	v_cndmask_b32_e32 v5, v16, v5, vcc
	v_lshlrev_b32_e32 v5, 1, v5
	ds_write_b16 v5, v17
	v_sub_u32_e32 v5, v27, v20
	v_sub_u32_e32 v16, v40, v5
	v_and_b32_e32 v17, 1, v65
	v_add_u32_e32 v16, 7, v16
	v_cmp_eq_u32_e32 vcc, 1, v17
	v_and_b32_e32 v17, 1, v64
	v_or_b32_e32 v64, 0x400, v0
	v_cndmask_b32_e32 v5, v16, v5, vcc
	v_lshlrev_b32_e32 v5, 1, v5
	ds_write_b16 v5, v38
	v_sub_u32_e32 v5, v73, v20
	v_sub_u32_e32 v16, v40, v5
	v_add_u32_e32 v16, 8, v16
	v_cmp_eq_u32_e32 vcc, 1, v17
	v_or_b32_e32 v26, 0x2a00, v0
	v_or_b32_e32 v24, 0x2c00, v0
	v_cndmask_b32_e32 v5, v16, v5, vcc
	v_lshlrev_b32_e32 v5, 1, v5
	ds_write_b16 v5, v14
	v_sub_u32_e32 v5, v74, v20
	v_sub_u32_e32 v14, v40, v5
	v_and_b32_e32 v16, 1, v63
	v_add_u32_e32 v14, 9, v14
	v_cmp_eq_u32_e32 vcc, 1, v16
	v_and_b32_e32 v16, 1, v62
	v_or_b32_e32 v62, 0x600, v0
	;; [unrolled: 19-line block ×5, first 2 shown]
	v_cndmask_b32_e32 v5, v12, v5, vcc
	v_lshlrev_b32_e32 v5, 1, v5
	ds_write_b16 v5, v34
	v_sub_u32_e32 v5, v81, v20
	v_sub_u32_e32 v12, v40, v5
	v_add_u32_e32 v12, 16, v12
	v_cmp_eq_u32_e32 vcc, 1, v13
	v_or_b32_e32 v34, 0x2200, v0
	s_nop 0
	v_cndmask_b32_e32 v5, v12, v5, vcc
	v_lshlrev_b32_e32 v5, 1, v5
	ds_write_b16 v5, v10
	v_sub_u32_e32 v5, v82, v20
	v_sub_u32_e32 v10, v40, v5
	v_and_b32_e32 v12, 1, v55
	v_add_u32_e32 v10, 17, v10
	v_cmp_eq_u32_e32 vcc, 1, v12
	v_and_b32_e32 v12, 1, v54
	s_nop 0
	v_cndmask_b32_e32 v5, v10, v5, vcc
	v_lshlrev_b32_e32 v5, 1, v5
	ds_write_b16 v5, v33
	v_sub_u32_e32 v5, v83, v20
	v_sub_u32_e32 v10, v40, v5
	v_add_u32_e32 v10, 18, v10
	v_cmp_eq_u32_e32 vcc, 1, v12
	v_or_b32_e32 v12, 0x3600, v0
	s_nop 0
	v_cndmask_b32_e32 v5, v10, v5, vcc
	v_lshlrev_b32_e32 v5, 1, v5
	ds_write_b16 v5, v11
	v_sub_u32_e32 v5, v84, v20
	v_sub_u32_e32 v10, v40, v5
	v_and_b32_e32 v11, 1, v53
	v_add_u32_e32 v10, 19, v10
	v_cmp_eq_u32_e32 vcc, 1, v11
	v_and_b32_e32 v11, 1, v52
	v_or_b32_e32 v53, 0xe00, v0
	v_cndmask_b32_e32 v5, v10, v5, vcc
	v_lshlrev_b32_e32 v5, 1, v5
	ds_write_b16 v5, v32
	v_sub_u32_e32 v5, v85, v20
	v_sub_u32_e32 v10, v40, v5
	v_add_u32_e32 v10, 20, v10
	v_cmp_eq_u32_e32 vcc, 1, v11
	v_or_b32_e32 v52, 0x1000, v0
	v_or_b32_e32 v32, 0x2400, v0
	v_cndmask_b32_e32 v5, v10, v5, vcc
	v_lshlrev_b32_e32 v5, 1, v5
	ds_write_b16 v5, v8
	v_sub_u32_e32 v5, v86, v20
	v_sub_u32_e32 v8, v40, v5
	v_and_b32_e32 v10, 1, v51
	v_add_u32_e32 v8, 21, v8
	v_cmp_eq_u32_e32 vcc, 1, v10
	v_and_b32_e32 v10, 1, v50
	v_or_b32_e32 v50, 0x1200, v0
	v_cndmask_b32_e32 v5, v8, v5, vcc
	v_lshlrev_b32_e32 v5, 1, v5
	ds_write_b16 v5, v31
	v_sub_u32_e32 v5, v87, v20
	v_sub_u32_e32 v8, v40, v5
	v_add_u32_e32 v8, 22, v8
	v_cmp_eq_u32_e32 vcc, 1, v10
	v_or_b32_e32 v10, 0x3800, v0
	s_nop 0
	v_cndmask_b32_e32 v5, v8, v5, vcc
	v_lshlrev_b32_e32 v5, 1, v5
	ds_write_b16 v5, v9
	v_sub_u32_e32 v5, v88, v20
	v_sub_u32_e32 v8, v40, v5
	v_and_b32_e32 v9, 1, v49
	v_add_u32_e32 v8, 23, v8
	v_cmp_eq_u32_e32 vcc, 1, v9
	v_and_b32_e32 v9, 1, v48
	v_or_b32_e32 v48, 0x1400, v0
	v_cndmask_b32_e32 v5, v8, v5, vcc
	v_lshlrev_b32_e32 v5, 1, v5
	ds_write_b16 v5, v30
	v_sub_u32_e32 v5, v89, v20
	v_sub_u32_e32 v8, v40, v5
	v_add_u32_e32 v8, 24, v8
	v_cmp_eq_u32_e32 vcc, 1, v9
	v_or_b32_e32 v30, 0x2600, v0
	s_nop 0
	v_cndmask_b32_e32 v5, v8, v5, vcc
	v_lshlrev_b32_e32 v5, 1, v5
	ds_write_b16 v5, v6
	v_sub_u32_e32 v5, v90, v20
	v_sub_u32_e32 v6, v40, v5
	v_and_b32_e32 v8, 1, v47
	v_add_u32_e32 v6, 25, v6
	v_cmp_eq_u32_e32 vcc, 1, v8
	v_and_b32_e32 v8, 1, v46
	v_or_b32_e32 v46, 0x1600, v0
	v_cndmask_b32_e32 v5, v6, v5, vcc
	v_lshlrev_b32_e32 v5, 1, v5
	ds_write_b16 v5, v29
	v_sub_u32_e32 v5, v91, v20
	v_sub_u32_e32 v6, v40, v5
	v_add_u32_e32 v6, 26, v6
	v_cmp_eq_u32_e32 vcc, 1, v8
	s_nop 1
	v_cndmask_b32_e32 v5, v6, v5, vcc
	v_lshlrev_b32_e32 v5, 1, v5
	ds_write_b16 v5, v7
	v_sub_u32_e32 v5, v92, v20
	v_sub_u32_e32 v6, v40, v5
	v_and_b32_e32 v7, 1, v45
	v_add_u32_e32 v6, 27, v6
	v_cmp_eq_u32_e32 vcc, 1, v7
	v_and_b32_e32 v7, 1, v43
	s_nop 0
	v_cndmask_b32_e32 v5, v6, v5, vcc
	v_lshlrev_b32_e32 v5, 1, v5
	ds_write_b16 v5, v28
	v_sub_u32_e32 v5, v93, v20
	v_sub_u32_e32 v6, v40, v5
	v_add_u32_e32 v6, 28, v6
	v_cmp_eq_u32_e32 vcc, 1, v7
	v_or_b32_e32 v28, 0x2800, v0
	s_nop 0
	v_cndmask_b32_e32 v5, v6, v5, vcc
	v_lshlrev_b32_e32 v5, 1, v5
	ds_write_b16 v5, v3
	v_sub_u32_sdwa v3, v43, v20 dst_sel:DWORD dst_unused:UNUSED_PAD src0_sel:BYTE_0 src1_sel:DWORD
	v_add_u32_e32 v3, v93, v3
	v_sub_u32_e32 v5, v40, v3
	v_and_b32_e32 v6, 1, v44
	v_add_u32_e32 v5, 29, v5
	v_cmp_eq_u32_e32 vcc, 1, v6
	v_or_b32_e32 v44, 0x1800, v0
	v_or_b32_e32 v40, 0x1c00, v0
	v_cndmask_b32_e32 v3, v5, v3, vcc
	v_lshlrev_b32_e32 v3, 1, v3
	ds_write_b16 v3, v1
	s_waitcnt lgkmcnt(0)
	s_barrier
	ds_read_u16 v68, v2
	ds_read_u16 v67, v2 offset:1024
	ds_read_u16 v65, v2 offset:2048
	;; [unrolled: 1-line block ×29, first 2 shown]
	v_mov_b32_e32 v5, v21
	v_lshl_add_u64 v[6:7], s[28:29], 0, v[4:5]
	v_lshl_add_u64 v[6:7], v[6:7], 0, v[20:21]
	v_mov_b32_e32 v5, s23
	v_sub_co_u32_e32 v8, vcc, s22, v6
	v_or_b32_e32 v1, 0x3a00, v0
	s_nop 0
	v_subb_co_u32_e32 v9, vcc, v5, v7, vcc
	v_lshlrev_b64 v[8:9], 1, v[8:9]
	v_lshl_add_u64 v[8:9], s[0:1], 0, v[8:9]
	v_lshl_add_u64 v[8:9], v[8:9], 0, s[30:31]
	s_and_b64 vcc, exec, s[20:21]
	v_cmp_ge_u32_e64 s[0:1], v0, v4
	s_cbranch_vccnz .LBB2572_141
; %bb.110:
	s_and_saveexec_b64 s[2:3], s[0:1]
	s_cbranch_execnz .LBB2572_206
; %bb.111:
	s_or_b64 exec, exec, s[2:3]
	v_cmp_ge_u32_e32 vcc, v66, v4
	s_and_saveexec_b64 s[0:1], vcc
	s_cbranch_execnz .LBB2572_207
.LBB2572_112:
	s_or_b64 exec, exec, s[0:1]
	v_cmp_ge_u32_e32 vcc, v64, v4
	s_and_saveexec_b64 s[0:1], vcc
	s_cbranch_execnz .LBB2572_208
.LBB2572_113:
	s_or_b64 exec, exec, s[0:1]
	v_cmp_ge_u32_e32 vcc, v62, v4
	s_and_saveexec_b64 s[0:1], vcc
	s_cbranch_execnz .LBB2572_209
.LBB2572_114:
	s_or_b64 exec, exec, s[0:1]
	v_cmp_ge_u32_e32 vcc, v60, v4
	s_and_saveexec_b64 s[0:1], vcc
	s_cbranch_execnz .LBB2572_210
.LBB2572_115:
	s_or_b64 exec, exec, s[0:1]
	v_cmp_ge_u32_e32 vcc, v58, v4
	s_and_saveexec_b64 s[0:1], vcc
	s_cbranch_execnz .LBB2572_211
.LBB2572_116:
	s_or_b64 exec, exec, s[0:1]
	v_cmp_ge_u32_e32 vcc, v56, v4
	s_and_saveexec_b64 s[0:1], vcc
	s_cbranch_execnz .LBB2572_212
.LBB2572_117:
	s_or_b64 exec, exec, s[0:1]
	v_cmp_ge_u32_e32 vcc, v53, v4
	s_and_saveexec_b64 s[0:1], vcc
	s_cbranch_execnz .LBB2572_213
.LBB2572_118:
	s_or_b64 exec, exec, s[0:1]
	v_cmp_ge_u32_e32 vcc, v52, v4
	s_and_saveexec_b64 s[0:1], vcc
	s_cbranch_execnz .LBB2572_214
.LBB2572_119:
	s_or_b64 exec, exec, s[0:1]
	v_cmp_ge_u32_e32 vcc, v50, v4
	s_and_saveexec_b64 s[0:1], vcc
	s_cbranch_execnz .LBB2572_215
.LBB2572_120:
	s_or_b64 exec, exec, s[0:1]
	v_cmp_ge_u32_e32 vcc, v48, v4
	s_and_saveexec_b64 s[0:1], vcc
	s_cbranch_execnz .LBB2572_216
.LBB2572_121:
	s_or_b64 exec, exec, s[0:1]
	v_cmp_ge_u32_e32 vcc, v46, v4
	s_and_saveexec_b64 s[0:1], vcc
	s_cbranch_execnz .LBB2572_217
.LBB2572_122:
	s_or_b64 exec, exec, s[0:1]
	v_cmp_ge_u32_e32 vcc, v44, v4
	s_and_saveexec_b64 s[0:1], vcc
	s_cbranch_execnz .LBB2572_218
.LBB2572_123:
	s_or_b64 exec, exec, s[0:1]
	v_cmp_ge_u32_e32 vcc, v42, v4
	s_and_saveexec_b64 s[0:1], vcc
	s_cbranch_execnz .LBB2572_219
.LBB2572_124:
	s_or_b64 exec, exec, s[0:1]
	v_cmp_ge_u32_e32 vcc, v40, v4
	s_and_saveexec_b64 s[0:1], vcc
	s_cbranch_execnz .LBB2572_220
.LBB2572_125:
	s_or_b64 exec, exec, s[0:1]
	v_cmp_ge_u32_e32 vcc, v37, v4
	s_and_saveexec_b64 s[0:1], vcc
	s_cbranch_execnz .LBB2572_221
.LBB2572_126:
	s_or_b64 exec, exec, s[0:1]
	v_cmp_ge_u32_e32 vcc, v36, v4
	s_and_saveexec_b64 s[0:1], vcc
	s_cbranch_execnz .LBB2572_222
.LBB2572_127:
	s_or_b64 exec, exec, s[0:1]
	v_cmp_ge_u32_e32 vcc, v34, v4
	s_and_saveexec_b64 s[0:1], vcc
	s_cbranch_execnz .LBB2572_223
.LBB2572_128:
	s_or_b64 exec, exec, s[0:1]
	v_cmp_ge_u32_e32 vcc, v32, v4
	s_and_saveexec_b64 s[0:1], vcc
	s_cbranch_execnz .LBB2572_224
.LBB2572_129:
	s_or_b64 exec, exec, s[0:1]
	v_cmp_ge_u32_e32 vcc, v30, v4
	s_and_saveexec_b64 s[0:1], vcc
	s_cbranch_execnz .LBB2572_225
.LBB2572_130:
	s_or_b64 exec, exec, s[0:1]
	v_cmp_ge_u32_e32 vcc, v28, v4
	s_and_saveexec_b64 s[0:1], vcc
	s_cbranch_execnz .LBB2572_226
.LBB2572_131:
	s_or_b64 exec, exec, s[0:1]
	v_cmp_ge_u32_e32 vcc, v26, v4
	s_and_saveexec_b64 s[0:1], vcc
	s_cbranch_execnz .LBB2572_227
.LBB2572_132:
	s_or_b64 exec, exec, s[0:1]
	v_cmp_ge_u32_e32 vcc, v24, v4
	s_and_saveexec_b64 s[0:1], vcc
	s_cbranch_execnz .LBB2572_228
.LBB2572_133:
	s_or_b64 exec, exec, s[0:1]
	v_cmp_ge_u32_e32 vcc, v22, v4
	s_and_saveexec_b64 s[0:1], vcc
	s_cbranch_execnz .LBB2572_229
.LBB2572_134:
	s_or_b64 exec, exec, s[0:1]
	v_cmp_ge_u32_e32 vcc, v18, v4
	s_and_saveexec_b64 s[0:1], vcc
	s_cbranch_execnz .LBB2572_230
.LBB2572_135:
	s_or_b64 exec, exec, s[0:1]
	v_cmp_ge_u32_e32 vcc, v16, v4
	s_and_saveexec_b64 s[0:1], vcc
	s_cbranch_execnz .LBB2572_231
.LBB2572_136:
	s_or_b64 exec, exec, s[0:1]
	v_cmp_ge_u32_e32 vcc, v14, v4
	s_and_saveexec_b64 s[0:1], vcc
	s_cbranch_execnz .LBB2572_232
.LBB2572_137:
	s_or_b64 exec, exec, s[0:1]
	v_cmp_ge_u32_e32 vcc, v12, v4
	s_and_saveexec_b64 s[0:1], vcc
	s_cbranch_execnz .LBB2572_233
.LBB2572_138:
	s_or_b64 exec, exec, s[0:1]
	v_cmp_ge_u32_e32 vcc, v10, v4
	s_and_saveexec_b64 s[0:1], vcc
	s_cbranch_execz .LBB2572_140
.LBB2572_139:
	v_lshlrev_b32_e32 v5, 1, v10
	v_readfirstlane_b32 s2, v8
	v_readfirstlane_b32 s3, v9
	s_waitcnt lgkmcnt(1)
	s_nop 3
	global_store_short v5, v11, s[2:3]
.LBB2572_140:
	s_or_b64 exec, exec, s[0:1]
	v_cmp_ge_u32_e64 s[0:1], v1, v4
	s_branch .LBB2572_201
.LBB2572_141:
	s_mov_b64 s[0:1], 0
	s_cbranch_execz .LBB2572_201
; %bb.142:
	v_cmp_gt_u32_e32 vcc, s33, v0
	v_cmp_ge_u32_e64 s[0:1], v0, v4
	s_and_b64 s[2:3], vcc, s[0:1]
	s_and_saveexec_b64 s[0:1], s[2:3]
	s_cbranch_execz .LBB2572_144
; %bb.143:
	v_readfirstlane_b32 s2, v8
	v_readfirstlane_b32 s3, v9
	s_waitcnt lgkmcnt(14)
	s_nop 3
	global_store_short v2, v68, s[2:3]
.LBB2572_144:
	s_or_b64 exec, exec, s[0:1]
	v_cmp_gt_u32_e32 vcc, s33, v66
	v_cmp_ge_u32_e64 s[0:1], v66, v4
	s_and_b64 s[2:3], vcc, s[0:1]
	s_and_saveexec_b64 s[0:1], s[2:3]
	s_cbranch_execz .LBB2572_146
; %bb.145:
	v_readfirstlane_b32 s2, v8
	v_readfirstlane_b32 s3, v9
	s_waitcnt lgkmcnt(14)
	s_nop 3
	global_store_short v2, v67, s[2:3] offset:1024
.LBB2572_146:
	s_or_b64 exec, exec, s[0:1]
	v_cmp_gt_u32_e32 vcc, s33, v64
	v_cmp_ge_u32_e64 s[0:1], v64, v4
	s_and_b64 s[2:3], vcc, s[0:1]
	s_and_saveexec_b64 s[0:1], s[2:3]
	s_cbranch_execz .LBB2572_148
; %bb.147:
	v_readfirstlane_b32 s2, v8
	v_readfirstlane_b32 s3, v9
	s_waitcnt lgkmcnt(14)
	s_nop 3
	global_store_short v2, v65, s[2:3] offset:2048
.LBB2572_148:
	;; [unrolled: 13-line block ×3, first 2 shown]
	s_or_b64 exec, exec, s[0:1]
	v_cmp_gt_u32_e32 vcc, s33, v60
	v_cmp_ge_u32_e64 s[0:1], v60, v4
	s_and_b64 s[2:3], vcc, s[0:1]
	s_and_saveexec_b64 s[0:1], s[2:3]
	s_cbranch_execz .LBB2572_152
; %bb.151:
	v_lshlrev_b32_e32 v2, 1, v60
	v_readfirstlane_b32 s2, v8
	v_readfirstlane_b32 s3, v9
	s_waitcnt lgkmcnt(14)
	s_nop 3
	global_store_short v2, v61, s[2:3]
.LBB2572_152:
	s_or_b64 exec, exec, s[0:1]
	v_cmp_gt_u32_e32 vcc, s33, v58
	v_cmp_ge_u32_e64 s[0:1], v58, v4
	s_and_b64 s[2:3], vcc, s[0:1]
	s_and_saveexec_b64 s[0:1], s[2:3]
	s_cbranch_execz .LBB2572_154
; %bb.153:
	v_lshlrev_b32_e32 v2, 1, v58
	v_readfirstlane_b32 s2, v8
	v_readfirstlane_b32 s3, v9
	s_waitcnt lgkmcnt(14)
	s_nop 3
	global_store_short v2, v59, s[2:3]
.LBB2572_154:
	;; [unrolled: 14-line block ×25, first 2 shown]
	s_or_b64 exec, exec, s[0:1]
	v_cmp_gt_u32_e32 vcc, s33, v1
	v_cmp_ge_u32_e64 s[0:1], v1, v4
	s_and_b64 s[0:1], vcc, s[0:1]
.LBB2572_201:
	s_and_saveexec_b64 s[2:3], s[0:1]
	s_cbranch_execz .LBB2572_203
; %bb.202:
	v_lshlrev_b32_e32 v1, 1, v1
	v_readfirstlane_b32 s0, v8
	v_readfirstlane_b32 s1, v9
	s_waitcnt lgkmcnt(0)
	s_nop 3
	global_store_short v1, v3, s[0:1]
.LBB2572_203:
	s_or_b64 exec, exec, s[2:3]
	v_cmp_eq_u32_e32 vcc, 0, v0
	s_and_b64 s[0:1], vcc, s[26:27]
	s_and_saveexec_b64 s[2:3], s[0:1]
	s_cbranch_execz .LBB2572_205
; %bb.204:
	v_mov_b32_e32 v0, 0
	global_store_dwordx2 v0, v[6:7], s[24:25]
.LBB2572_205:
	s_endpgm
.LBB2572_206:
	v_readfirstlane_b32 s0, v8
	v_readfirstlane_b32 s1, v9
	s_waitcnt lgkmcnt(14)
	s_nop 3
	global_store_short v2, v68, s[0:1]
	s_or_b64 exec, exec, s[2:3]
	v_cmp_ge_u32_e32 vcc, v66, v4
	s_and_saveexec_b64 s[0:1], vcc
	s_cbranch_execz .LBB2572_112
.LBB2572_207:
	v_readfirstlane_b32 s2, v8
	v_readfirstlane_b32 s3, v9
	s_waitcnt lgkmcnt(14)
	s_nop 3
	global_store_short v2, v67, s[2:3] offset:1024
	s_or_b64 exec, exec, s[0:1]
	v_cmp_ge_u32_e32 vcc, v64, v4
	s_and_saveexec_b64 s[0:1], vcc
	s_cbranch_execz .LBB2572_113
.LBB2572_208:
	v_readfirstlane_b32 s2, v8
	v_readfirstlane_b32 s3, v9
	s_waitcnt lgkmcnt(14)
	s_nop 3
	global_store_short v2, v65, s[2:3] offset:2048
	s_or_b64 exec, exec, s[0:1]
	v_cmp_ge_u32_e32 vcc, v62, v4
	s_and_saveexec_b64 s[0:1], vcc
	s_cbranch_execz .LBB2572_114
.LBB2572_209:
	v_readfirstlane_b32 s2, v8
	v_readfirstlane_b32 s3, v9
	s_waitcnt lgkmcnt(14)
	s_nop 3
	global_store_short v2, v63, s[2:3] offset:3072
	s_or_b64 exec, exec, s[0:1]
	v_cmp_ge_u32_e32 vcc, v60, v4
	s_and_saveexec_b64 s[0:1], vcc
	s_cbranch_execz .LBB2572_115
.LBB2572_210:
	v_lshlrev_b32_e32 v5, 1, v60
	v_readfirstlane_b32 s2, v8
	v_readfirstlane_b32 s3, v9
	s_waitcnt lgkmcnt(14)
	s_nop 3
	global_store_short v5, v61, s[2:3]
	s_or_b64 exec, exec, s[0:1]
	v_cmp_ge_u32_e32 vcc, v58, v4
	s_and_saveexec_b64 s[0:1], vcc
	s_cbranch_execz .LBB2572_116
.LBB2572_211:
	v_lshlrev_b32_e32 v5, 1, v58
	v_readfirstlane_b32 s2, v8
	v_readfirstlane_b32 s3, v9
	s_waitcnt lgkmcnt(14)
	s_nop 3
	global_store_short v5, v59, s[2:3]
	s_or_b64 exec, exec, s[0:1]
	v_cmp_ge_u32_e32 vcc, v56, v4
	s_and_saveexec_b64 s[0:1], vcc
	s_cbranch_execz .LBB2572_117
.LBB2572_212:
	v_lshlrev_b32_e32 v5, 1, v56
	v_readfirstlane_b32 s2, v8
	v_readfirstlane_b32 s3, v9
	s_waitcnt lgkmcnt(14)
	s_nop 3
	global_store_short v5, v57, s[2:3]
	s_or_b64 exec, exec, s[0:1]
	v_cmp_ge_u32_e32 vcc, v53, v4
	s_and_saveexec_b64 s[0:1], vcc
	s_cbranch_execz .LBB2572_118
.LBB2572_213:
	v_lshlrev_b32_e32 v5, 1, v53
	v_readfirstlane_b32 s2, v8
	v_readfirstlane_b32 s3, v9
	s_waitcnt lgkmcnt(14)
	s_nop 3
	global_store_short v5, v55, s[2:3]
	s_or_b64 exec, exec, s[0:1]
	v_cmp_ge_u32_e32 vcc, v52, v4
	s_and_saveexec_b64 s[0:1], vcc
	s_cbranch_execz .LBB2572_119
.LBB2572_214:
	v_lshlrev_b32_e32 v5, 1, v52
	v_readfirstlane_b32 s2, v8
	v_readfirstlane_b32 s3, v9
	s_waitcnt lgkmcnt(14)
	s_nop 3
	global_store_short v5, v54, s[2:3]
	s_or_b64 exec, exec, s[0:1]
	v_cmp_ge_u32_e32 vcc, v50, v4
	s_and_saveexec_b64 s[0:1], vcc
	s_cbranch_execz .LBB2572_120
.LBB2572_215:
	v_lshlrev_b32_e32 v5, 1, v50
	v_readfirstlane_b32 s2, v8
	v_readfirstlane_b32 s3, v9
	s_waitcnt lgkmcnt(14)
	s_nop 3
	global_store_short v5, v51, s[2:3]
	s_or_b64 exec, exec, s[0:1]
	v_cmp_ge_u32_e32 vcc, v48, v4
	s_and_saveexec_b64 s[0:1], vcc
	s_cbranch_execz .LBB2572_121
.LBB2572_216:
	v_lshlrev_b32_e32 v5, 1, v48
	v_readfirstlane_b32 s2, v8
	v_readfirstlane_b32 s3, v9
	s_waitcnt lgkmcnt(14)
	s_nop 3
	global_store_short v5, v49, s[2:3]
	s_or_b64 exec, exec, s[0:1]
	v_cmp_ge_u32_e32 vcc, v46, v4
	s_and_saveexec_b64 s[0:1], vcc
	s_cbranch_execz .LBB2572_122
.LBB2572_217:
	v_lshlrev_b32_e32 v5, 1, v46
	v_readfirstlane_b32 s2, v8
	v_readfirstlane_b32 s3, v9
	s_waitcnt lgkmcnt(14)
	s_nop 3
	global_store_short v5, v47, s[2:3]
	s_or_b64 exec, exec, s[0:1]
	v_cmp_ge_u32_e32 vcc, v44, v4
	s_and_saveexec_b64 s[0:1], vcc
	s_cbranch_execz .LBB2572_123
.LBB2572_218:
	v_lshlrev_b32_e32 v5, 1, v44
	v_readfirstlane_b32 s2, v8
	v_readfirstlane_b32 s3, v9
	s_waitcnt lgkmcnt(14)
	s_nop 3
	global_store_short v5, v45, s[2:3]
	s_or_b64 exec, exec, s[0:1]
	v_cmp_ge_u32_e32 vcc, v42, v4
	s_and_saveexec_b64 s[0:1], vcc
	s_cbranch_execz .LBB2572_124
.LBB2572_219:
	v_lshlrev_b32_e32 v5, 1, v42
	v_readfirstlane_b32 s2, v8
	v_readfirstlane_b32 s3, v9
	s_waitcnt lgkmcnt(14)
	s_nop 3
	global_store_short v5, v43, s[2:3]
	s_or_b64 exec, exec, s[0:1]
	v_cmp_ge_u32_e32 vcc, v40, v4
	s_and_saveexec_b64 s[0:1], vcc
	s_cbranch_execz .LBB2572_125
.LBB2572_220:
	v_lshlrev_b32_e32 v5, 1, v40
	v_readfirstlane_b32 s2, v8
	v_readfirstlane_b32 s3, v9
	s_waitcnt lgkmcnt(14)
	s_nop 3
	global_store_short v5, v41, s[2:3]
	s_or_b64 exec, exec, s[0:1]
	v_cmp_ge_u32_e32 vcc, v37, v4
	s_and_saveexec_b64 s[0:1], vcc
	s_cbranch_execz .LBB2572_126
.LBB2572_221:
	v_lshlrev_b32_e32 v5, 1, v37
	v_readfirstlane_b32 s2, v8
	v_readfirstlane_b32 s3, v9
	s_waitcnt lgkmcnt(14)
	s_nop 3
	global_store_short v5, v39, s[2:3]
	s_or_b64 exec, exec, s[0:1]
	v_cmp_ge_u32_e32 vcc, v36, v4
	s_and_saveexec_b64 s[0:1], vcc
	s_cbranch_execz .LBB2572_127
.LBB2572_222:
	v_lshlrev_b32_e32 v5, 1, v36
	v_readfirstlane_b32 s2, v8
	v_readfirstlane_b32 s3, v9
	s_waitcnt lgkmcnt(13)
	s_nop 3
	global_store_short v5, v38, s[2:3]
	s_or_b64 exec, exec, s[0:1]
	v_cmp_ge_u32_e32 vcc, v34, v4
	s_and_saveexec_b64 s[0:1], vcc
	s_cbranch_execz .LBB2572_128
.LBB2572_223:
	v_lshlrev_b32_e32 v5, 1, v34
	v_readfirstlane_b32 s2, v8
	v_readfirstlane_b32 s3, v9
	s_waitcnt lgkmcnt(12)
	s_nop 3
	global_store_short v5, v35, s[2:3]
	s_or_b64 exec, exec, s[0:1]
	v_cmp_ge_u32_e32 vcc, v32, v4
	s_and_saveexec_b64 s[0:1], vcc
	s_cbranch_execz .LBB2572_129
.LBB2572_224:
	v_lshlrev_b32_e32 v5, 1, v32
	v_readfirstlane_b32 s2, v8
	v_readfirstlane_b32 s3, v9
	s_waitcnt lgkmcnt(11)
	s_nop 3
	global_store_short v5, v33, s[2:3]
	s_or_b64 exec, exec, s[0:1]
	v_cmp_ge_u32_e32 vcc, v30, v4
	s_and_saveexec_b64 s[0:1], vcc
	s_cbranch_execz .LBB2572_130
.LBB2572_225:
	v_lshlrev_b32_e32 v5, 1, v30
	v_readfirstlane_b32 s2, v8
	v_readfirstlane_b32 s3, v9
	s_waitcnt lgkmcnt(10)
	s_nop 3
	global_store_short v5, v31, s[2:3]
	s_or_b64 exec, exec, s[0:1]
	v_cmp_ge_u32_e32 vcc, v28, v4
	s_and_saveexec_b64 s[0:1], vcc
	s_cbranch_execz .LBB2572_131
.LBB2572_226:
	v_lshlrev_b32_e32 v5, 1, v28
	v_readfirstlane_b32 s2, v8
	v_readfirstlane_b32 s3, v9
	s_waitcnt lgkmcnt(9)
	s_nop 3
	global_store_short v5, v29, s[2:3]
	s_or_b64 exec, exec, s[0:1]
	v_cmp_ge_u32_e32 vcc, v26, v4
	s_and_saveexec_b64 s[0:1], vcc
	s_cbranch_execz .LBB2572_132
.LBB2572_227:
	v_lshlrev_b32_e32 v5, 1, v26
	v_readfirstlane_b32 s2, v8
	v_readfirstlane_b32 s3, v9
	s_waitcnt lgkmcnt(8)
	s_nop 3
	global_store_short v5, v27, s[2:3]
	s_or_b64 exec, exec, s[0:1]
	v_cmp_ge_u32_e32 vcc, v24, v4
	s_and_saveexec_b64 s[0:1], vcc
	s_cbranch_execz .LBB2572_133
.LBB2572_228:
	v_lshlrev_b32_e32 v5, 1, v24
	v_readfirstlane_b32 s2, v8
	v_readfirstlane_b32 s3, v9
	s_waitcnt lgkmcnt(7)
	s_nop 3
	global_store_short v5, v25, s[2:3]
	s_or_b64 exec, exec, s[0:1]
	v_cmp_ge_u32_e32 vcc, v22, v4
	s_and_saveexec_b64 s[0:1], vcc
	s_cbranch_execz .LBB2572_134
.LBB2572_229:
	v_lshlrev_b32_e32 v5, 1, v22
	v_readfirstlane_b32 s2, v8
	v_readfirstlane_b32 s3, v9
	s_waitcnt lgkmcnt(6)
	s_nop 3
	global_store_short v5, v23, s[2:3]
	s_or_b64 exec, exec, s[0:1]
	v_cmp_ge_u32_e32 vcc, v18, v4
	s_and_saveexec_b64 s[0:1], vcc
	s_cbranch_execz .LBB2572_135
.LBB2572_230:
	v_lshlrev_b32_e32 v5, 1, v18
	v_readfirstlane_b32 s2, v8
	v_readfirstlane_b32 s3, v9
	s_waitcnt lgkmcnt(5)
	s_nop 3
	global_store_short v5, v19, s[2:3]
	s_or_b64 exec, exec, s[0:1]
	v_cmp_ge_u32_e32 vcc, v16, v4
	s_and_saveexec_b64 s[0:1], vcc
	s_cbranch_execz .LBB2572_136
.LBB2572_231:
	v_lshlrev_b32_e32 v5, 1, v16
	v_readfirstlane_b32 s2, v8
	v_readfirstlane_b32 s3, v9
	s_waitcnt lgkmcnt(4)
	s_nop 3
	global_store_short v5, v17, s[2:3]
	s_or_b64 exec, exec, s[0:1]
	v_cmp_ge_u32_e32 vcc, v14, v4
	s_and_saveexec_b64 s[0:1], vcc
	s_cbranch_execz .LBB2572_137
.LBB2572_232:
	v_lshlrev_b32_e32 v5, 1, v14
	v_readfirstlane_b32 s2, v8
	v_readfirstlane_b32 s3, v9
	s_waitcnt lgkmcnt(3)
	s_nop 3
	global_store_short v5, v15, s[2:3]
	s_or_b64 exec, exec, s[0:1]
	v_cmp_ge_u32_e32 vcc, v12, v4
	s_and_saveexec_b64 s[0:1], vcc
	s_cbranch_execz .LBB2572_138
.LBB2572_233:
	v_lshlrev_b32_e32 v5, 1, v12
	v_readfirstlane_b32 s2, v8
	v_readfirstlane_b32 s3, v9
	s_waitcnt lgkmcnt(2)
	s_nop 3
	global_store_short v5, v13, s[2:3]
	s_or_b64 exec, exec, s[0:1]
	v_cmp_ge_u32_e32 vcc, v10, v4
	s_and_saveexec_b64 s[0:1], vcc
	s_cbranch_execnz .LBB2572_139
	s_branch .LBB2572_140
	.section	.rodata,"a",@progbits
	.p2align	6, 0x0
	.amdhsa_kernel _ZN7rocprim17ROCPRIM_400000_NS6detail17trampoline_kernelINS0_14default_configENS1_25partition_config_selectorILNS1_17partition_subalgoE0EtNS0_10empty_typeEbEEZZNS1_14partition_implILS5_0ELb0ES3_jN6thrust23THRUST_200600_302600_NS6detail15normal_iteratorINSA_10device_ptrItEEEEPS6_SG_NS0_5tupleIJNSA_16discard_iteratorINSA_11use_defaultEEESF_EEENSH_IJSG_SG_EEES6_PlJ7is_evenItEEEE10hipError_tPvRmT3_T4_T5_T6_T7_T9_mT8_P12ihipStream_tbDpT10_ENKUlT_T0_E_clISt17integral_constantIbLb1EES18_IbLb0EEEEDaS14_S15_EUlS14_E_NS1_11comp_targetILNS1_3genE5ELNS1_11target_archE942ELNS1_3gpuE9ELNS1_3repE0EEENS1_30default_config_static_selectorELNS0_4arch9wavefront6targetE1EEEvT1_
		.amdhsa_group_segment_fixed_size 30728
		.amdhsa_private_segment_fixed_size 0
		.amdhsa_kernarg_size 128
		.amdhsa_user_sgpr_count 2
		.amdhsa_user_sgpr_dispatch_ptr 0
		.amdhsa_user_sgpr_queue_ptr 0
		.amdhsa_user_sgpr_kernarg_segment_ptr 1
		.amdhsa_user_sgpr_dispatch_id 0
		.amdhsa_user_sgpr_kernarg_preload_length 0
		.amdhsa_user_sgpr_kernarg_preload_offset 0
		.amdhsa_user_sgpr_private_segment_size 0
		.amdhsa_uses_dynamic_stack 0
		.amdhsa_enable_private_segment 0
		.amdhsa_system_sgpr_workgroup_id_x 1
		.amdhsa_system_sgpr_workgroup_id_y 0
		.amdhsa_system_sgpr_workgroup_id_z 0
		.amdhsa_system_sgpr_workgroup_info 0
		.amdhsa_system_vgpr_workitem_id 0
		.amdhsa_next_free_vgpr 120
		.amdhsa_next_free_sgpr 44
		.amdhsa_accum_offset 120
		.amdhsa_reserve_vcc 1
		.amdhsa_float_round_mode_32 0
		.amdhsa_float_round_mode_16_64 0
		.amdhsa_float_denorm_mode_32 3
		.amdhsa_float_denorm_mode_16_64 3
		.amdhsa_dx10_clamp 1
		.amdhsa_ieee_mode 1
		.amdhsa_fp16_overflow 0
		.amdhsa_tg_split 0
		.amdhsa_exception_fp_ieee_invalid_op 0
		.amdhsa_exception_fp_denorm_src 0
		.amdhsa_exception_fp_ieee_div_zero 0
		.amdhsa_exception_fp_ieee_overflow 0
		.amdhsa_exception_fp_ieee_underflow 0
		.amdhsa_exception_fp_ieee_inexact 0
		.amdhsa_exception_int_div_zero 0
	.end_amdhsa_kernel
	.section	.text._ZN7rocprim17ROCPRIM_400000_NS6detail17trampoline_kernelINS0_14default_configENS1_25partition_config_selectorILNS1_17partition_subalgoE0EtNS0_10empty_typeEbEEZZNS1_14partition_implILS5_0ELb0ES3_jN6thrust23THRUST_200600_302600_NS6detail15normal_iteratorINSA_10device_ptrItEEEEPS6_SG_NS0_5tupleIJNSA_16discard_iteratorINSA_11use_defaultEEESF_EEENSH_IJSG_SG_EEES6_PlJ7is_evenItEEEE10hipError_tPvRmT3_T4_T5_T6_T7_T9_mT8_P12ihipStream_tbDpT10_ENKUlT_T0_E_clISt17integral_constantIbLb1EES18_IbLb0EEEEDaS14_S15_EUlS14_E_NS1_11comp_targetILNS1_3genE5ELNS1_11target_archE942ELNS1_3gpuE9ELNS1_3repE0EEENS1_30default_config_static_selectorELNS0_4arch9wavefront6targetE1EEEvT1_,"axG",@progbits,_ZN7rocprim17ROCPRIM_400000_NS6detail17trampoline_kernelINS0_14default_configENS1_25partition_config_selectorILNS1_17partition_subalgoE0EtNS0_10empty_typeEbEEZZNS1_14partition_implILS5_0ELb0ES3_jN6thrust23THRUST_200600_302600_NS6detail15normal_iteratorINSA_10device_ptrItEEEEPS6_SG_NS0_5tupleIJNSA_16discard_iteratorINSA_11use_defaultEEESF_EEENSH_IJSG_SG_EEES6_PlJ7is_evenItEEEE10hipError_tPvRmT3_T4_T5_T6_T7_T9_mT8_P12ihipStream_tbDpT10_ENKUlT_T0_E_clISt17integral_constantIbLb1EES18_IbLb0EEEEDaS14_S15_EUlS14_E_NS1_11comp_targetILNS1_3genE5ELNS1_11target_archE942ELNS1_3gpuE9ELNS1_3repE0EEENS1_30default_config_static_selectorELNS0_4arch9wavefront6targetE1EEEvT1_,comdat
.Lfunc_end2572:
	.size	_ZN7rocprim17ROCPRIM_400000_NS6detail17trampoline_kernelINS0_14default_configENS1_25partition_config_selectorILNS1_17partition_subalgoE0EtNS0_10empty_typeEbEEZZNS1_14partition_implILS5_0ELb0ES3_jN6thrust23THRUST_200600_302600_NS6detail15normal_iteratorINSA_10device_ptrItEEEEPS6_SG_NS0_5tupleIJNSA_16discard_iteratorINSA_11use_defaultEEESF_EEENSH_IJSG_SG_EEES6_PlJ7is_evenItEEEE10hipError_tPvRmT3_T4_T5_T6_T7_T9_mT8_P12ihipStream_tbDpT10_ENKUlT_T0_E_clISt17integral_constantIbLb1EES18_IbLb0EEEEDaS14_S15_EUlS14_E_NS1_11comp_targetILNS1_3genE5ELNS1_11target_archE942ELNS1_3gpuE9ELNS1_3repE0EEENS1_30default_config_static_selectorELNS0_4arch9wavefront6targetE1EEEvT1_, .Lfunc_end2572-_ZN7rocprim17ROCPRIM_400000_NS6detail17trampoline_kernelINS0_14default_configENS1_25partition_config_selectorILNS1_17partition_subalgoE0EtNS0_10empty_typeEbEEZZNS1_14partition_implILS5_0ELb0ES3_jN6thrust23THRUST_200600_302600_NS6detail15normal_iteratorINSA_10device_ptrItEEEEPS6_SG_NS0_5tupleIJNSA_16discard_iteratorINSA_11use_defaultEEESF_EEENSH_IJSG_SG_EEES6_PlJ7is_evenItEEEE10hipError_tPvRmT3_T4_T5_T6_T7_T9_mT8_P12ihipStream_tbDpT10_ENKUlT_T0_E_clISt17integral_constantIbLb1EES18_IbLb0EEEEDaS14_S15_EUlS14_E_NS1_11comp_targetILNS1_3genE5ELNS1_11target_archE942ELNS1_3gpuE9ELNS1_3repE0EEENS1_30default_config_static_selectorELNS0_4arch9wavefront6targetE1EEEvT1_
                                        ; -- End function
	.section	.AMDGPU.csdata,"",@progbits
; Kernel info:
; codeLenInByte = 11172
; NumSgprs: 50
; NumVgprs: 120
; NumAgprs: 0
; TotalNumVgprs: 120
; ScratchSize: 0
; MemoryBound: 0
; FloatMode: 240
; IeeeMode: 1
; LDSByteSize: 30728 bytes/workgroup (compile time only)
; SGPRBlocks: 6
; VGPRBlocks: 14
; NumSGPRsForWavesPerEU: 50
; NumVGPRsForWavesPerEU: 120
; AccumOffset: 120
; Occupancy: 4
; WaveLimiterHint : 1
; COMPUTE_PGM_RSRC2:SCRATCH_EN: 0
; COMPUTE_PGM_RSRC2:USER_SGPR: 2
; COMPUTE_PGM_RSRC2:TRAP_HANDLER: 0
; COMPUTE_PGM_RSRC2:TGID_X_EN: 1
; COMPUTE_PGM_RSRC2:TGID_Y_EN: 0
; COMPUTE_PGM_RSRC2:TGID_Z_EN: 0
; COMPUTE_PGM_RSRC2:TIDIG_COMP_CNT: 0
; COMPUTE_PGM_RSRC3_GFX90A:ACCUM_OFFSET: 29
; COMPUTE_PGM_RSRC3_GFX90A:TG_SPLIT: 0
	.section	.text._ZN7rocprim17ROCPRIM_400000_NS6detail17trampoline_kernelINS0_14default_configENS1_25partition_config_selectorILNS1_17partition_subalgoE0EtNS0_10empty_typeEbEEZZNS1_14partition_implILS5_0ELb0ES3_jN6thrust23THRUST_200600_302600_NS6detail15normal_iteratorINSA_10device_ptrItEEEEPS6_SG_NS0_5tupleIJNSA_16discard_iteratorINSA_11use_defaultEEESF_EEENSH_IJSG_SG_EEES6_PlJ7is_evenItEEEE10hipError_tPvRmT3_T4_T5_T6_T7_T9_mT8_P12ihipStream_tbDpT10_ENKUlT_T0_E_clISt17integral_constantIbLb1EES18_IbLb0EEEEDaS14_S15_EUlS14_E_NS1_11comp_targetILNS1_3genE4ELNS1_11target_archE910ELNS1_3gpuE8ELNS1_3repE0EEENS1_30default_config_static_selectorELNS0_4arch9wavefront6targetE1EEEvT1_,"axG",@progbits,_ZN7rocprim17ROCPRIM_400000_NS6detail17trampoline_kernelINS0_14default_configENS1_25partition_config_selectorILNS1_17partition_subalgoE0EtNS0_10empty_typeEbEEZZNS1_14partition_implILS5_0ELb0ES3_jN6thrust23THRUST_200600_302600_NS6detail15normal_iteratorINSA_10device_ptrItEEEEPS6_SG_NS0_5tupleIJNSA_16discard_iteratorINSA_11use_defaultEEESF_EEENSH_IJSG_SG_EEES6_PlJ7is_evenItEEEE10hipError_tPvRmT3_T4_T5_T6_T7_T9_mT8_P12ihipStream_tbDpT10_ENKUlT_T0_E_clISt17integral_constantIbLb1EES18_IbLb0EEEEDaS14_S15_EUlS14_E_NS1_11comp_targetILNS1_3genE4ELNS1_11target_archE910ELNS1_3gpuE8ELNS1_3repE0EEENS1_30default_config_static_selectorELNS0_4arch9wavefront6targetE1EEEvT1_,comdat
	.protected	_ZN7rocprim17ROCPRIM_400000_NS6detail17trampoline_kernelINS0_14default_configENS1_25partition_config_selectorILNS1_17partition_subalgoE0EtNS0_10empty_typeEbEEZZNS1_14partition_implILS5_0ELb0ES3_jN6thrust23THRUST_200600_302600_NS6detail15normal_iteratorINSA_10device_ptrItEEEEPS6_SG_NS0_5tupleIJNSA_16discard_iteratorINSA_11use_defaultEEESF_EEENSH_IJSG_SG_EEES6_PlJ7is_evenItEEEE10hipError_tPvRmT3_T4_T5_T6_T7_T9_mT8_P12ihipStream_tbDpT10_ENKUlT_T0_E_clISt17integral_constantIbLb1EES18_IbLb0EEEEDaS14_S15_EUlS14_E_NS1_11comp_targetILNS1_3genE4ELNS1_11target_archE910ELNS1_3gpuE8ELNS1_3repE0EEENS1_30default_config_static_selectorELNS0_4arch9wavefront6targetE1EEEvT1_ ; -- Begin function _ZN7rocprim17ROCPRIM_400000_NS6detail17trampoline_kernelINS0_14default_configENS1_25partition_config_selectorILNS1_17partition_subalgoE0EtNS0_10empty_typeEbEEZZNS1_14partition_implILS5_0ELb0ES3_jN6thrust23THRUST_200600_302600_NS6detail15normal_iteratorINSA_10device_ptrItEEEEPS6_SG_NS0_5tupleIJNSA_16discard_iteratorINSA_11use_defaultEEESF_EEENSH_IJSG_SG_EEES6_PlJ7is_evenItEEEE10hipError_tPvRmT3_T4_T5_T6_T7_T9_mT8_P12ihipStream_tbDpT10_ENKUlT_T0_E_clISt17integral_constantIbLb1EES18_IbLb0EEEEDaS14_S15_EUlS14_E_NS1_11comp_targetILNS1_3genE4ELNS1_11target_archE910ELNS1_3gpuE8ELNS1_3repE0EEENS1_30default_config_static_selectorELNS0_4arch9wavefront6targetE1EEEvT1_
	.globl	_ZN7rocprim17ROCPRIM_400000_NS6detail17trampoline_kernelINS0_14default_configENS1_25partition_config_selectorILNS1_17partition_subalgoE0EtNS0_10empty_typeEbEEZZNS1_14partition_implILS5_0ELb0ES3_jN6thrust23THRUST_200600_302600_NS6detail15normal_iteratorINSA_10device_ptrItEEEEPS6_SG_NS0_5tupleIJNSA_16discard_iteratorINSA_11use_defaultEEESF_EEENSH_IJSG_SG_EEES6_PlJ7is_evenItEEEE10hipError_tPvRmT3_T4_T5_T6_T7_T9_mT8_P12ihipStream_tbDpT10_ENKUlT_T0_E_clISt17integral_constantIbLb1EES18_IbLb0EEEEDaS14_S15_EUlS14_E_NS1_11comp_targetILNS1_3genE4ELNS1_11target_archE910ELNS1_3gpuE8ELNS1_3repE0EEENS1_30default_config_static_selectorELNS0_4arch9wavefront6targetE1EEEvT1_
	.p2align	8
	.type	_ZN7rocprim17ROCPRIM_400000_NS6detail17trampoline_kernelINS0_14default_configENS1_25partition_config_selectorILNS1_17partition_subalgoE0EtNS0_10empty_typeEbEEZZNS1_14partition_implILS5_0ELb0ES3_jN6thrust23THRUST_200600_302600_NS6detail15normal_iteratorINSA_10device_ptrItEEEEPS6_SG_NS0_5tupleIJNSA_16discard_iteratorINSA_11use_defaultEEESF_EEENSH_IJSG_SG_EEES6_PlJ7is_evenItEEEE10hipError_tPvRmT3_T4_T5_T6_T7_T9_mT8_P12ihipStream_tbDpT10_ENKUlT_T0_E_clISt17integral_constantIbLb1EES18_IbLb0EEEEDaS14_S15_EUlS14_E_NS1_11comp_targetILNS1_3genE4ELNS1_11target_archE910ELNS1_3gpuE8ELNS1_3repE0EEENS1_30default_config_static_selectorELNS0_4arch9wavefront6targetE1EEEvT1_,@function
_ZN7rocprim17ROCPRIM_400000_NS6detail17trampoline_kernelINS0_14default_configENS1_25partition_config_selectorILNS1_17partition_subalgoE0EtNS0_10empty_typeEbEEZZNS1_14partition_implILS5_0ELb0ES3_jN6thrust23THRUST_200600_302600_NS6detail15normal_iteratorINSA_10device_ptrItEEEEPS6_SG_NS0_5tupleIJNSA_16discard_iteratorINSA_11use_defaultEEESF_EEENSH_IJSG_SG_EEES6_PlJ7is_evenItEEEE10hipError_tPvRmT3_T4_T5_T6_T7_T9_mT8_P12ihipStream_tbDpT10_ENKUlT_T0_E_clISt17integral_constantIbLb1EES18_IbLb0EEEEDaS14_S15_EUlS14_E_NS1_11comp_targetILNS1_3genE4ELNS1_11target_archE910ELNS1_3gpuE8ELNS1_3repE0EEENS1_30default_config_static_selectorELNS0_4arch9wavefront6targetE1EEEvT1_: ; @_ZN7rocprim17ROCPRIM_400000_NS6detail17trampoline_kernelINS0_14default_configENS1_25partition_config_selectorILNS1_17partition_subalgoE0EtNS0_10empty_typeEbEEZZNS1_14partition_implILS5_0ELb0ES3_jN6thrust23THRUST_200600_302600_NS6detail15normal_iteratorINSA_10device_ptrItEEEEPS6_SG_NS0_5tupleIJNSA_16discard_iteratorINSA_11use_defaultEEESF_EEENSH_IJSG_SG_EEES6_PlJ7is_evenItEEEE10hipError_tPvRmT3_T4_T5_T6_T7_T9_mT8_P12ihipStream_tbDpT10_ENKUlT_T0_E_clISt17integral_constantIbLb1EES18_IbLb0EEEEDaS14_S15_EUlS14_E_NS1_11comp_targetILNS1_3genE4ELNS1_11target_archE910ELNS1_3gpuE8ELNS1_3repE0EEENS1_30default_config_static_selectorELNS0_4arch9wavefront6targetE1EEEvT1_
; %bb.0:
	.section	.rodata,"a",@progbits
	.p2align	6, 0x0
	.amdhsa_kernel _ZN7rocprim17ROCPRIM_400000_NS6detail17trampoline_kernelINS0_14default_configENS1_25partition_config_selectorILNS1_17partition_subalgoE0EtNS0_10empty_typeEbEEZZNS1_14partition_implILS5_0ELb0ES3_jN6thrust23THRUST_200600_302600_NS6detail15normal_iteratorINSA_10device_ptrItEEEEPS6_SG_NS0_5tupleIJNSA_16discard_iteratorINSA_11use_defaultEEESF_EEENSH_IJSG_SG_EEES6_PlJ7is_evenItEEEE10hipError_tPvRmT3_T4_T5_T6_T7_T9_mT8_P12ihipStream_tbDpT10_ENKUlT_T0_E_clISt17integral_constantIbLb1EES18_IbLb0EEEEDaS14_S15_EUlS14_E_NS1_11comp_targetILNS1_3genE4ELNS1_11target_archE910ELNS1_3gpuE8ELNS1_3repE0EEENS1_30default_config_static_selectorELNS0_4arch9wavefront6targetE1EEEvT1_
		.amdhsa_group_segment_fixed_size 0
		.amdhsa_private_segment_fixed_size 0
		.amdhsa_kernarg_size 128
		.amdhsa_user_sgpr_count 2
		.amdhsa_user_sgpr_dispatch_ptr 0
		.amdhsa_user_sgpr_queue_ptr 0
		.amdhsa_user_sgpr_kernarg_segment_ptr 1
		.amdhsa_user_sgpr_dispatch_id 0
		.amdhsa_user_sgpr_kernarg_preload_length 0
		.amdhsa_user_sgpr_kernarg_preload_offset 0
		.amdhsa_user_sgpr_private_segment_size 0
		.amdhsa_uses_dynamic_stack 0
		.amdhsa_enable_private_segment 0
		.amdhsa_system_sgpr_workgroup_id_x 1
		.amdhsa_system_sgpr_workgroup_id_y 0
		.amdhsa_system_sgpr_workgroup_id_z 0
		.amdhsa_system_sgpr_workgroup_info 0
		.amdhsa_system_vgpr_workitem_id 0
		.amdhsa_next_free_vgpr 1
		.amdhsa_next_free_sgpr 0
		.amdhsa_accum_offset 4
		.amdhsa_reserve_vcc 0
		.amdhsa_float_round_mode_32 0
		.amdhsa_float_round_mode_16_64 0
		.amdhsa_float_denorm_mode_32 3
		.amdhsa_float_denorm_mode_16_64 3
		.amdhsa_dx10_clamp 1
		.amdhsa_ieee_mode 1
		.amdhsa_fp16_overflow 0
		.amdhsa_tg_split 0
		.amdhsa_exception_fp_ieee_invalid_op 0
		.amdhsa_exception_fp_denorm_src 0
		.amdhsa_exception_fp_ieee_div_zero 0
		.amdhsa_exception_fp_ieee_overflow 0
		.amdhsa_exception_fp_ieee_underflow 0
		.amdhsa_exception_fp_ieee_inexact 0
		.amdhsa_exception_int_div_zero 0
	.end_amdhsa_kernel
	.section	.text._ZN7rocprim17ROCPRIM_400000_NS6detail17trampoline_kernelINS0_14default_configENS1_25partition_config_selectorILNS1_17partition_subalgoE0EtNS0_10empty_typeEbEEZZNS1_14partition_implILS5_0ELb0ES3_jN6thrust23THRUST_200600_302600_NS6detail15normal_iteratorINSA_10device_ptrItEEEEPS6_SG_NS0_5tupleIJNSA_16discard_iteratorINSA_11use_defaultEEESF_EEENSH_IJSG_SG_EEES6_PlJ7is_evenItEEEE10hipError_tPvRmT3_T4_T5_T6_T7_T9_mT8_P12ihipStream_tbDpT10_ENKUlT_T0_E_clISt17integral_constantIbLb1EES18_IbLb0EEEEDaS14_S15_EUlS14_E_NS1_11comp_targetILNS1_3genE4ELNS1_11target_archE910ELNS1_3gpuE8ELNS1_3repE0EEENS1_30default_config_static_selectorELNS0_4arch9wavefront6targetE1EEEvT1_,"axG",@progbits,_ZN7rocprim17ROCPRIM_400000_NS6detail17trampoline_kernelINS0_14default_configENS1_25partition_config_selectorILNS1_17partition_subalgoE0EtNS0_10empty_typeEbEEZZNS1_14partition_implILS5_0ELb0ES3_jN6thrust23THRUST_200600_302600_NS6detail15normal_iteratorINSA_10device_ptrItEEEEPS6_SG_NS0_5tupleIJNSA_16discard_iteratorINSA_11use_defaultEEESF_EEENSH_IJSG_SG_EEES6_PlJ7is_evenItEEEE10hipError_tPvRmT3_T4_T5_T6_T7_T9_mT8_P12ihipStream_tbDpT10_ENKUlT_T0_E_clISt17integral_constantIbLb1EES18_IbLb0EEEEDaS14_S15_EUlS14_E_NS1_11comp_targetILNS1_3genE4ELNS1_11target_archE910ELNS1_3gpuE8ELNS1_3repE0EEENS1_30default_config_static_selectorELNS0_4arch9wavefront6targetE1EEEvT1_,comdat
.Lfunc_end2573:
	.size	_ZN7rocprim17ROCPRIM_400000_NS6detail17trampoline_kernelINS0_14default_configENS1_25partition_config_selectorILNS1_17partition_subalgoE0EtNS0_10empty_typeEbEEZZNS1_14partition_implILS5_0ELb0ES3_jN6thrust23THRUST_200600_302600_NS6detail15normal_iteratorINSA_10device_ptrItEEEEPS6_SG_NS0_5tupleIJNSA_16discard_iteratorINSA_11use_defaultEEESF_EEENSH_IJSG_SG_EEES6_PlJ7is_evenItEEEE10hipError_tPvRmT3_T4_T5_T6_T7_T9_mT8_P12ihipStream_tbDpT10_ENKUlT_T0_E_clISt17integral_constantIbLb1EES18_IbLb0EEEEDaS14_S15_EUlS14_E_NS1_11comp_targetILNS1_3genE4ELNS1_11target_archE910ELNS1_3gpuE8ELNS1_3repE0EEENS1_30default_config_static_selectorELNS0_4arch9wavefront6targetE1EEEvT1_, .Lfunc_end2573-_ZN7rocprim17ROCPRIM_400000_NS6detail17trampoline_kernelINS0_14default_configENS1_25partition_config_selectorILNS1_17partition_subalgoE0EtNS0_10empty_typeEbEEZZNS1_14partition_implILS5_0ELb0ES3_jN6thrust23THRUST_200600_302600_NS6detail15normal_iteratorINSA_10device_ptrItEEEEPS6_SG_NS0_5tupleIJNSA_16discard_iteratorINSA_11use_defaultEEESF_EEENSH_IJSG_SG_EEES6_PlJ7is_evenItEEEE10hipError_tPvRmT3_T4_T5_T6_T7_T9_mT8_P12ihipStream_tbDpT10_ENKUlT_T0_E_clISt17integral_constantIbLb1EES18_IbLb0EEEEDaS14_S15_EUlS14_E_NS1_11comp_targetILNS1_3genE4ELNS1_11target_archE910ELNS1_3gpuE8ELNS1_3repE0EEENS1_30default_config_static_selectorELNS0_4arch9wavefront6targetE1EEEvT1_
                                        ; -- End function
	.section	.AMDGPU.csdata,"",@progbits
; Kernel info:
; codeLenInByte = 0
; NumSgprs: 6
; NumVgprs: 0
; NumAgprs: 0
; TotalNumVgprs: 0
; ScratchSize: 0
; MemoryBound: 0
; FloatMode: 240
; IeeeMode: 1
; LDSByteSize: 0 bytes/workgroup (compile time only)
; SGPRBlocks: 0
; VGPRBlocks: 0
; NumSGPRsForWavesPerEU: 6
; NumVGPRsForWavesPerEU: 1
; AccumOffset: 4
; Occupancy: 8
; WaveLimiterHint : 0
; COMPUTE_PGM_RSRC2:SCRATCH_EN: 0
; COMPUTE_PGM_RSRC2:USER_SGPR: 2
; COMPUTE_PGM_RSRC2:TRAP_HANDLER: 0
; COMPUTE_PGM_RSRC2:TGID_X_EN: 1
; COMPUTE_PGM_RSRC2:TGID_Y_EN: 0
; COMPUTE_PGM_RSRC2:TGID_Z_EN: 0
; COMPUTE_PGM_RSRC2:TIDIG_COMP_CNT: 0
; COMPUTE_PGM_RSRC3_GFX90A:ACCUM_OFFSET: 0
; COMPUTE_PGM_RSRC3_GFX90A:TG_SPLIT: 0
	.section	.text._ZN7rocprim17ROCPRIM_400000_NS6detail17trampoline_kernelINS0_14default_configENS1_25partition_config_selectorILNS1_17partition_subalgoE0EtNS0_10empty_typeEbEEZZNS1_14partition_implILS5_0ELb0ES3_jN6thrust23THRUST_200600_302600_NS6detail15normal_iteratorINSA_10device_ptrItEEEEPS6_SG_NS0_5tupleIJNSA_16discard_iteratorINSA_11use_defaultEEESF_EEENSH_IJSG_SG_EEES6_PlJ7is_evenItEEEE10hipError_tPvRmT3_T4_T5_T6_T7_T9_mT8_P12ihipStream_tbDpT10_ENKUlT_T0_E_clISt17integral_constantIbLb1EES18_IbLb0EEEEDaS14_S15_EUlS14_E_NS1_11comp_targetILNS1_3genE3ELNS1_11target_archE908ELNS1_3gpuE7ELNS1_3repE0EEENS1_30default_config_static_selectorELNS0_4arch9wavefront6targetE1EEEvT1_,"axG",@progbits,_ZN7rocprim17ROCPRIM_400000_NS6detail17trampoline_kernelINS0_14default_configENS1_25partition_config_selectorILNS1_17partition_subalgoE0EtNS0_10empty_typeEbEEZZNS1_14partition_implILS5_0ELb0ES3_jN6thrust23THRUST_200600_302600_NS6detail15normal_iteratorINSA_10device_ptrItEEEEPS6_SG_NS0_5tupleIJNSA_16discard_iteratorINSA_11use_defaultEEESF_EEENSH_IJSG_SG_EEES6_PlJ7is_evenItEEEE10hipError_tPvRmT3_T4_T5_T6_T7_T9_mT8_P12ihipStream_tbDpT10_ENKUlT_T0_E_clISt17integral_constantIbLb1EES18_IbLb0EEEEDaS14_S15_EUlS14_E_NS1_11comp_targetILNS1_3genE3ELNS1_11target_archE908ELNS1_3gpuE7ELNS1_3repE0EEENS1_30default_config_static_selectorELNS0_4arch9wavefront6targetE1EEEvT1_,comdat
	.protected	_ZN7rocprim17ROCPRIM_400000_NS6detail17trampoline_kernelINS0_14default_configENS1_25partition_config_selectorILNS1_17partition_subalgoE0EtNS0_10empty_typeEbEEZZNS1_14partition_implILS5_0ELb0ES3_jN6thrust23THRUST_200600_302600_NS6detail15normal_iteratorINSA_10device_ptrItEEEEPS6_SG_NS0_5tupleIJNSA_16discard_iteratorINSA_11use_defaultEEESF_EEENSH_IJSG_SG_EEES6_PlJ7is_evenItEEEE10hipError_tPvRmT3_T4_T5_T6_T7_T9_mT8_P12ihipStream_tbDpT10_ENKUlT_T0_E_clISt17integral_constantIbLb1EES18_IbLb0EEEEDaS14_S15_EUlS14_E_NS1_11comp_targetILNS1_3genE3ELNS1_11target_archE908ELNS1_3gpuE7ELNS1_3repE0EEENS1_30default_config_static_selectorELNS0_4arch9wavefront6targetE1EEEvT1_ ; -- Begin function _ZN7rocprim17ROCPRIM_400000_NS6detail17trampoline_kernelINS0_14default_configENS1_25partition_config_selectorILNS1_17partition_subalgoE0EtNS0_10empty_typeEbEEZZNS1_14partition_implILS5_0ELb0ES3_jN6thrust23THRUST_200600_302600_NS6detail15normal_iteratorINSA_10device_ptrItEEEEPS6_SG_NS0_5tupleIJNSA_16discard_iteratorINSA_11use_defaultEEESF_EEENSH_IJSG_SG_EEES6_PlJ7is_evenItEEEE10hipError_tPvRmT3_T4_T5_T6_T7_T9_mT8_P12ihipStream_tbDpT10_ENKUlT_T0_E_clISt17integral_constantIbLb1EES18_IbLb0EEEEDaS14_S15_EUlS14_E_NS1_11comp_targetILNS1_3genE3ELNS1_11target_archE908ELNS1_3gpuE7ELNS1_3repE0EEENS1_30default_config_static_selectorELNS0_4arch9wavefront6targetE1EEEvT1_
	.globl	_ZN7rocprim17ROCPRIM_400000_NS6detail17trampoline_kernelINS0_14default_configENS1_25partition_config_selectorILNS1_17partition_subalgoE0EtNS0_10empty_typeEbEEZZNS1_14partition_implILS5_0ELb0ES3_jN6thrust23THRUST_200600_302600_NS6detail15normal_iteratorINSA_10device_ptrItEEEEPS6_SG_NS0_5tupleIJNSA_16discard_iteratorINSA_11use_defaultEEESF_EEENSH_IJSG_SG_EEES6_PlJ7is_evenItEEEE10hipError_tPvRmT3_T4_T5_T6_T7_T9_mT8_P12ihipStream_tbDpT10_ENKUlT_T0_E_clISt17integral_constantIbLb1EES18_IbLb0EEEEDaS14_S15_EUlS14_E_NS1_11comp_targetILNS1_3genE3ELNS1_11target_archE908ELNS1_3gpuE7ELNS1_3repE0EEENS1_30default_config_static_selectorELNS0_4arch9wavefront6targetE1EEEvT1_
	.p2align	8
	.type	_ZN7rocprim17ROCPRIM_400000_NS6detail17trampoline_kernelINS0_14default_configENS1_25partition_config_selectorILNS1_17partition_subalgoE0EtNS0_10empty_typeEbEEZZNS1_14partition_implILS5_0ELb0ES3_jN6thrust23THRUST_200600_302600_NS6detail15normal_iteratorINSA_10device_ptrItEEEEPS6_SG_NS0_5tupleIJNSA_16discard_iteratorINSA_11use_defaultEEESF_EEENSH_IJSG_SG_EEES6_PlJ7is_evenItEEEE10hipError_tPvRmT3_T4_T5_T6_T7_T9_mT8_P12ihipStream_tbDpT10_ENKUlT_T0_E_clISt17integral_constantIbLb1EES18_IbLb0EEEEDaS14_S15_EUlS14_E_NS1_11comp_targetILNS1_3genE3ELNS1_11target_archE908ELNS1_3gpuE7ELNS1_3repE0EEENS1_30default_config_static_selectorELNS0_4arch9wavefront6targetE1EEEvT1_,@function
_ZN7rocprim17ROCPRIM_400000_NS6detail17trampoline_kernelINS0_14default_configENS1_25partition_config_selectorILNS1_17partition_subalgoE0EtNS0_10empty_typeEbEEZZNS1_14partition_implILS5_0ELb0ES3_jN6thrust23THRUST_200600_302600_NS6detail15normal_iteratorINSA_10device_ptrItEEEEPS6_SG_NS0_5tupleIJNSA_16discard_iteratorINSA_11use_defaultEEESF_EEENSH_IJSG_SG_EEES6_PlJ7is_evenItEEEE10hipError_tPvRmT3_T4_T5_T6_T7_T9_mT8_P12ihipStream_tbDpT10_ENKUlT_T0_E_clISt17integral_constantIbLb1EES18_IbLb0EEEEDaS14_S15_EUlS14_E_NS1_11comp_targetILNS1_3genE3ELNS1_11target_archE908ELNS1_3gpuE7ELNS1_3repE0EEENS1_30default_config_static_selectorELNS0_4arch9wavefront6targetE1EEEvT1_: ; @_ZN7rocprim17ROCPRIM_400000_NS6detail17trampoline_kernelINS0_14default_configENS1_25partition_config_selectorILNS1_17partition_subalgoE0EtNS0_10empty_typeEbEEZZNS1_14partition_implILS5_0ELb0ES3_jN6thrust23THRUST_200600_302600_NS6detail15normal_iteratorINSA_10device_ptrItEEEEPS6_SG_NS0_5tupleIJNSA_16discard_iteratorINSA_11use_defaultEEESF_EEENSH_IJSG_SG_EEES6_PlJ7is_evenItEEEE10hipError_tPvRmT3_T4_T5_T6_T7_T9_mT8_P12ihipStream_tbDpT10_ENKUlT_T0_E_clISt17integral_constantIbLb1EES18_IbLb0EEEEDaS14_S15_EUlS14_E_NS1_11comp_targetILNS1_3genE3ELNS1_11target_archE908ELNS1_3gpuE7ELNS1_3repE0EEENS1_30default_config_static_selectorELNS0_4arch9wavefront6targetE1EEEvT1_
; %bb.0:
	.section	.rodata,"a",@progbits
	.p2align	6, 0x0
	.amdhsa_kernel _ZN7rocprim17ROCPRIM_400000_NS6detail17trampoline_kernelINS0_14default_configENS1_25partition_config_selectorILNS1_17partition_subalgoE0EtNS0_10empty_typeEbEEZZNS1_14partition_implILS5_0ELb0ES3_jN6thrust23THRUST_200600_302600_NS6detail15normal_iteratorINSA_10device_ptrItEEEEPS6_SG_NS0_5tupleIJNSA_16discard_iteratorINSA_11use_defaultEEESF_EEENSH_IJSG_SG_EEES6_PlJ7is_evenItEEEE10hipError_tPvRmT3_T4_T5_T6_T7_T9_mT8_P12ihipStream_tbDpT10_ENKUlT_T0_E_clISt17integral_constantIbLb1EES18_IbLb0EEEEDaS14_S15_EUlS14_E_NS1_11comp_targetILNS1_3genE3ELNS1_11target_archE908ELNS1_3gpuE7ELNS1_3repE0EEENS1_30default_config_static_selectorELNS0_4arch9wavefront6targetE1EEEvT1_
		.amdhsa_group_segment_fixed_size 0
		.amdhsa_private_segment_fixed_size 0
		.amdhsa_kernarg_size 128
		.amdhsa_user_sgpr_count 2
		.amdhsa_user_sgpr_dispatch_ptr 0
		.amdhsa_user_sgpr_queue_ptr 0
		.amdhsa_user_sgpr_kernarg_segment_ptr 1
		.amdhsa_user_sgpr_dispatch_id 0
		.amdhsa_user_sgpr_kernarg_preload_length 0
		.amdhsa_user_sgpr_kernarg_preload_offset 0
		.amdhsa_user_sgpr_private_segment_size 0
		.amdhsa_uses_dynamic_stack 0
		.amdhsa_enable_private_segment 0
		.amdhsa_system_sgpr_workgroup_id_x 1
		.amdhsa_system_sgpr_workgroup_id_y 0
		.amdhsa_system_sgpr_workgroup_id_z 0
		.amdhsa_system_sgpr_workgroup_info 0
		.amdhsa_system_vgpr_workitem_id 0
		.amdhsa_next_free_vgpr 1
		.amdhsa_next_free_sgpr 0
		.amdhsa_accum_offset 4
		.amdhsa_reserve_vcc 0
		.amdhsa_float_round_mode_32 0
		.amdhsa_float_round_mode_16_64 0
		.amdhsa_float_denorm_mode_32 3
		.amdhsa_float_denorm_mode_16_64 3
		.amdhsa_dx10_clamp 1
		.amdhsa_ieee_mode 1
		.amdhsa_fp16_overflow 0
		.amdhsa_tg_split 0
		.amdhsa_exception_fp_ieee_invalid_op 0
		.amdhsa_exception_fp_denorm_src 0
		.amdhsa_exception_fp_ieee_div_zero 0
		.amdhsa_exception_fp_ieee_overflow 0
		.amdhsa_exception_fp_ieee_underflow 0
		.amdhsa_exception_fp_ieee_inexact 0
		.amdhsa_exception_int_div_zero 0
	.end_amdhsa_kernel
	.section	.text._ZN7rocprim17ROCPRIM_400000_NS6detail17trampoline_kernelINS0_14default_configENS1_25partition_config_selectorILNS1_17partition_subalgoE0EtNS0_10empty_typeEbEEZZNS1_14partition_implILS5_0ELb0ES3_jN6thrust23THRUST_200600_302600_NS6detail15normal_iteratorINSA_10device_ptrItEEEEPS6_SG_NS0_5tupleIJNSA_16discard_iteratorINSA_11use_defaultEEESF_EEENSH_IJSG_SG_EEES6_PlJ7is_evenItEEEE10hipError_tPvRmT3_T4_T5_T6_T7_T9_mT8_P12ihipStream_tbDpT10_ENKUlT_T0_E_clISt17integral_constantIbLb1EES18_IbLb0EEEEDaS14_S15_EUlS14_E_NS1_11comp_targetILNS1_3genE3ELNS1_11target_archE908ELNS1_3gpuE7ELNS1_3repE0EEENS1_30default_config_static_selectorELNS0_4arch9wavefront6targetE1EEEvT1_,"axG",@progbits,_ZN7rocprim17ROCPRIM_400000_NS6detail17trampoline_kernelINS0_14default_configENS1_25partition_config_selectorILNS1_17partition_subalgoE0EtNS0_10empty_typeEbEEZZNS1_14partition_implILS5_0ELb0ES3_jN6thrust23THRUST_200600_302600_NS6detail15normal_iteratorINSA_10device_ptrItEEEEPS6_SG_NS0_5tupleIJNSA_16discard_iteratorINSA_11use_defaultEEESF_EEENSH_IJSG_SG_EEES6_PlJ7is_evenItEEEE10hipError_tPvRmT3_T4_T5_T6_T7_T9_mT8_P12ihipStream_tbDpT10_ENKUlT_T0_E_clISt17integral_constantIbLb1EES18_IbLb0EEEEDaS14_S15_EUlS14_E_NS1_11comp_targetILNS1_3genE3ELNS1_11target_archE908ELNS1_3gpuE7ELNS1_3repE0EEENS1_30default_config_static_selectorELNS0_4arch9wavefront6targetE1EEEvT1_,comdat
.Lfunc_end2574:
	.size	_ZN7rocprim17ROCPRIM_400000_NS6detail17trampoline_kernelINS0_14default_configENS1_25partition_config_selectorILNS1_17partition_subalgoE0EtNS0_10empty_typeEbEEZZNS1_14partition_implILS5_0ELb0ES3_jN6thrust23THRUST_200600_302600_NS6detail15normal_iteratorINSA_10device_ptrItEEEEPS6_SG_NS0_5tupleIJNSA_16discard_iteratorINSA_11use_defaultEEESF_EEENSH_IJSG_SG_EEES6_PlJ7is_evenItEEEE10hipError_tPvRmT3_T4_T5_T6_T7_T9_mT8_P12ihipStream_tbDpT10_ENKUlT_T0_E_clISt17integral_constantIbLb1EES18_IbLb0EEEEDaS14_S15_EUlS14_E_NS1_11comp_targetILNS1_3genE3ELNS1_11target_archE908ELNS1_3gpuE7ELNS1_3repE0EEENS1_30default_config_static_selectorELNS0_4arch9wavefront6targetE1EEEvT1_, .Lfunc_end2574-_ZN7rocprim17ROCPRIM_400000_NS6detail17trampoline_kernelINS0_14default_configENS1_25partition_config_selectorILNS1_17partition_subalgoE0EtNS0_10empty_typeEbEEZZNS1_14partition_implILS5_0ELb0ES3_jN6thrust23THRUST_200600_302600_NS6detail15normal_iteratorINSA_10device_ptrItEEEEPS6_SG_NS0_5tupleIJNSA_16discard_iteratorINSA_11use_defaultEEESF_EEENSH_IJSG_SG_EEES6_PlJ7is_evenItEEEE10hipError_tPvRmT3_T4_T5_T6_T7_T9_mT8_P12ihipStream_tbDpT10_ENKUlT_T0_E_clISt17integral_constantIbLb1EES18_IbLb0EEEEDaS14_S15_EUlS14_E_NS1_11comp_targetILNS1_3genE3ELNS1_11target_archE908ELNS1_3gpuE7ELNS1_3repE0EEENS1_30default_config_static_selectorELNS0_4arch9wavefront6targetE1EEEvT1_
                                        ; -- End function
	.section	.AMDGPU.csdata,"",@progbits
; Kernel info:
; codeLenInByte = 0
; NumSgprs: 6
; NumVgprs: 0
; NumAgprs: 0
; TotalNumVgprs: 0
; ScratchSize: 0
; MemoryBound: 0
; FloatMode: 240
; IeeeMode: 1
; LDSByteSize: 0 bytes/workgroup (compile time only)
; SGPRBlocks: 0
; VGPRBlocks: 0
; NumSGPRsForWavesPerEU: 6
; NumVGPRsForWavesPerEU: 1
; AccumOffset: 4
; Occupancy: 8
; WaveLimiterHint : 0
; COMPUTE_PGM_RSRC2:SCRATCH_EN: 0
; COMPUTE_PGM_RSRC2:USER_SGPR: 2
; COMPUTE_PGM_RSRC2:TRAP_HANDLER: 0
; COMPUTE_PGM_RSRC2:TGID_X_EN: 1
; COMPUTE_PGM_RSRC2:TGID_Y_EN: 0
; COMPUTE_PGM_RSRC2:TGID_Z_EN: 0
; COMPUTE_PGM_RSRC2:TIDIG_COMP_CNT: 0
; COMPUTE_PGM_RSRC3_GFX90A:ACCUM_OFFSET: 0
; COMPUTE_PGM_RSRC3_GFX90A:TG_SPLIT: 0
	.section	.text._ZN7rocprim17ROCPRIM_400000_NS6detail17trampoline_kernelINS0_14default_configENS1_25partition_config_selectorILNS1_17partition_subalgoE0EtNS0_10empty_typeEbEEZZNS1_14partition_implILS5_0ELb0ES3_jN6thrust23THRUST_200600_302600_NS6detail15normal_iteratorINSA_10device_ptrItEEEEPS6_SG_NS0_5tupleIJNSA_16discard_iteratorINSA_11use_defaultEEESF_EEENSH_IJSG_SG_EEES6_PlJ7is_evenItEEEE10hipError_tPvRmT3_T4_T5_T6_T7_T9_mT8_P12ihipStream_tbDpT10_ENKUlT_T0_E_clISt17integral_constantIbLb1EES18_IbLb0EEEEDaS14_S15_EUlS14_E_NS1_11comp_targetILNS1_3genE2ELNS1_11target_archE906ELNS1_3gpuE6ELNS1_3repE0EEENS1_30default_config_static_selectorELNS0_4arch9wavefront6targetE1EEEvT1_,"axG",@progbits,_ZN7rocprim17ROCPRIM_400000_NS6detail17trampoline_kernelINS0_14default_configENS1_25partition_config_selectorILNS1_17partition_subalgoE0EtNS0_10empty_typeEbEEZZNS1_14partition_implILS5_0ELb0ES3_jN6thrust23THRUST_200600_302600_NS6detail15normal_iteratorINSA_10device_ptrItEEEEPS6_SG_NS0_5tupleIJNSA_16discard_iteratorINSA_11use_defaultEEESF_EEENSH_IJSG_SG_EEES6_PlJ7is_evenItEEEE10hipError_tPvRmT3_T4_T5_T6_T7_T9_mT8_P12ihipStream_tbDpT10_ENKUlT_T0_E_clISt17integral_constantIbLb1EES18_IbLb0EEEEDaS14_S15_EUlS14_E_NS1_11comp_targetILNS1_3genE2ELNS1_11target_archE906ELNS1_3gpuE6ELNS1_3repE0EEENS1_30default_config_static_selectorELNS0_4arch9wavefront6targetE1EEEvT1_,comdat
	.protected	_ZN7rocprim17ROCPRIM_400000_NS6detail17trampoline_kernelINS0_14default_configENS1_25partition_config_selectorILNS1_17partition_subalgoE0EtNS0_10empty_typeEbEEZZNS1_14partition_implILS5_0ELb0ES3_jN6thrust23THRUST_200600_302600_NS6detail15normal_iteratorINSA_10device_ptrItEEEEPS6_SG_NS0_5tupleIJNSA_16discard_iteratorINSA_11use_defaultEEESF_EEENSH_IJSG_SG_EEES6_PlJ7is_evenItEEEE10hipError_tPvRmT3_T4_T5_T6_T7_T9_mT8_P12ihipStream_tbDpT10_ENKUlT_T0_E_clISt17integral_constantIbLb1EES18_IbLb0EEEEDaS14_S15_EUlS14_E_NS1_11comp_targetILNS1_3genE2ELNS1_11target_archE906ELNS1_3gpuE6ELNS1_3repE0EEENS1_30default_config_static_selectorELNS0_4arch9wavefront6targetE1EEEvT1_ ; -- Begin function _ZN7rocprim17ROCPRIM_400000_NS6detail17trampoline_kernelINS0_14default_configENS1_25partition_config_selectorILNS1_17partition_subalgoE0EtNS0_10empty_typeEbEEZZNS1_14partition_implILS5_0ELb0ES3_jN6thrust23THRUST_200600_302600_NS6detail15normal_iteratorINSA_10device_ptrItEEEEPS6_SG_NS0_5tupleIJNSA_16discard_iteratorINSA_11use_defaultEEESF_EEENSH_IJSG_SG_EEES6_PlJ7is_evenItEEEE10hipError_tPvRmT3_T4_T5_T6_T7_T9_mT8_P12ihipStream_tbDpT10_ENKUlT_T0_E_clISt17integral_constantIbLb1EES18_IbLb0EEEEDaS14_S15_EUlS14_E_NS1_11comp_targetILNS1_3genE2ELNS1_11target_archE906ELNS1_3gpuE6ELNS1_3repE0EEENS1_30default_config_static_selectorELNS0_4arch9wavefront6targetE1EEEvT1_
	.globl	_ZN7rocprim17ROCPRIM_400000_NS6detail17trampoline_kernelINS0_14default_configENS1_25partition_config_selectorILNS1_17partition_subalgoE0EtNS0_10empty_typeEbEEZZNS1_14partition_implILS5_0ELb0ES3_jN6thrust23THRUST_200600_302600_NS6detail15normal_iteratorINSA_10device_ptrItEEEEPS6_SG_NS0_5tupleIJNSA_16discard_iteratorINSA_11use_defaultEEESF_EEENSH_IJSG_SG_EEES6_PlJ7is_evenItEEEE10hipError_tPvRmT3_T4_T5_T6_T7_T9_mT8_P12ihipStream_tbDpT10_ENKUlT_T0_E_clISt17integral_constantIbLb1EES18_IbLb0EEEEDaS14_S15_EUlS14_E_NS1_11comp_targetILNS1_3genE2ELNS1_11target_archE906ELNS1_3gpuE6ELNS1_3repE0EEENS1_30default_config_static_selectorELNS0_4arch9wavefront6targetE1EEEvT1_
	.p2align	8
	.type	_ZN7rocprim17ROCPRIM_400000_NS6detail17trampoline_kernelINS0_14default_configENS1_25partition_config_selectorILNS1_17partition_subalgoE0EtNS0_10empty_typeEbEEZZNS1_14partition_implILS5_0ELb0ES3_jN6thrust23THRUST_200600_302600_NS6detail15normal_iteratorINSA_10device_ptrItEEEEPS6_SG_NS0_5tupleIJNSA_16discard_iteratorINSA_11use_defaultEEESF_EEENSH_IJSG_SG_EEES6_PlJ7is_evenItEEEE10hipError_tPvRmT3_T4_T5_T6_T7_T9_mT8_P12ihipStream_tbDpT10_ENKUlT_T0_E_clISt17integral_constantIbLb1EES18_IbLb0EEEEDaS14_S15_EUlS14_E_NS1_11comp_targetILNS1_3genE2ELNS1_11target_archE906ELNS1_3gpuE6ELNS1_3repE0EEENS1_30default_config_static_selectorELNS0_4arch9wavefront6targetE1EEEvT1_,@function
_ZN7rocprim17ROCPRIM_400000_NS6detail17trampoline_kernelINS0_14default_configENS1_25partition_config_selectorILNS1_17partition_subalgoE0EtNS0_10empty_typeEbEEZZNS1_14partition_implILS5_0ELb0ES3_jN6thrust23THRUST_200600_302600_NS6detail15normal_iteratorINSA_10device_ptrItEEEEPS6_SG_NS0_5tupleIJNSA_16discard_iteratorINSA_11use_defaultEEESF_EEENSH_IJSG_SG_EEES6_PlJ7is_evenItEEEE10hipError_tPvRmT3_T4_T5_T6_T7_T9_mT8_P12ihipStream_tbDpT10_ENKUlT_T0_E_clISt17integral_constantIbLb1EES18_IbLb0EEEEDaS14_S15_EUlS14_E_NS1_11comp_targetILNS1_3genE2ELNS1_11target_archE906ELNS1_3gpuE6ELNS1_3repE0EEENS1_30default_config_static_selectorELNS0_4arch9wavefront6targetE1EEEvT1_: ; @_ZN7rocprim17ROCPRIM_400000_NS6detail17trampoline_kernelINS0_14default_configENS1_25partition_config_selectorILNS1_17partition_subalgoE0EtNS0_10empty_typeEbEEZZNS1_14partition_implILS5_0ELb0ES3_jN6thrust23THRUST_200600_302600_NS6detail15normal_iteratorINSA_10device_ptrItEEEEPS6_SG_NS0_5tupleIJNSA_16discard_iteratorINSA_11use_defaultEEESF_EEENSH_IJSG_SG_EEES6_PlJ7is_evenItEEEE10hipError_tPvRmT3_T4_T5_T6_T7_T9_mT8_P12ihipStream_tbDpT10_ENKUlT_T0_E_clISt17integral_constantIbLb1EES18_IbLb0EEEEDaS14_S15_EUlS14_E_NS1_11comp_targetILNS1_3genE2ELNS1_11target_archE906ELNS1_3gpuE6ELNS1_3repE0EEENS1_30default_config_static_selectorELNS0_4arch9wavefront6targetE1EEEvT1_
; %bb.0:
	.section	.rodata,"a",@progbits
	.p2align	6, 0x0
	.amdhsa_kernel _ZN7rocprim17ROCPRIM_400000_NS6detail17trampoline_kernelINS0_14default_configENS1_25partition_config_selectorILNS1_17partition_subalgoE0EtNS0_10empty_typeEbEEZZNS1_14partition_implILS5_0ELb0ES3_jN6thrust23THRUST_200600_302600_NS6detail15normal_iteratorINSA_10device_ptrItEEEEPS6_SG_NS0_5tupleIJNSA_16discard_iteratorINSA_11use_defaultEEESF_EEENSH_IJSG_SG_EEES6_PlJ7is_evenItEEEE10hipError_tPvRmT3_T4_T5_T6_T7_T9_mT8_P12ihipStream_tbDpT10_ENKUlT_T0_E_clISt17integral_constantIbLb1EES18_IbLb0EEEEDaS14_S15_EUlS14_E_NS1_11comp_targetILNS1_3genE2ELNS1_11target_archE906ELNS1_3gpuE6ELNS1_3repE0EEENS1_30default_config_static_selectorELNS0_4arch9wavefront6targetE1EEEvT1_
		.amdhsa_group_segment_fixed_size 0
		.amdhsa_private_segment_fixed_size 0
		.amdhsa_kernarg_size 128
		.amdhsa_user_sgpr_count 2
		.amdhsa_user_sgpr_dispatch_ptr 0
		.amdhsa_user_sgpr_queue_ptr 0
		.amdhsa_user_sgpr_kernarg_segment_ptr 1
		.amdhsa_user_sgpr_dispatch_id 0
		.amdhsa_user_sgpr_kernarg_preload_length 0
		.amdhsa_user_sgpr_kernarg_preload_offset 0
		.amdhsa_user_sgpr_private_segment_size 0
		.amdhsa_uses_dynamic_stack 0
		.amdhsa_enable_private_segment 0
		.amdhsa_system_sgpr_workgroup_id_x 1
		.amdhsa_system_sgpr_workgroup_id_y 0
		.amdhsa_system_sgpr_workgroup_id_z 0
		.amdhsa_system_sgpr_workgroup_info 0
		.amdhsa_system_vgpr_workitem_id 0
		.amdhsa_next_free_vgpr 1
		.amdhsa_next_free_sgpr 0
		.amdhsa_accum_offset 4
		.amdhsa_reserve_vcc 0
		.amdhsa_float_round_mode_32 0
		.amdhsa_float_round_mode_16_64 0
		.amdhsa_float_denorm_mode_32 3
		.amdhsa_float_denorm_mode_16_64 3
		.amdhsa_dx10_clamp 1
		.amdhsa_ieee_mode 1
		.amdhsa_fp16_overflow 0
		.amdhsa_tg_split 0
		.amdhsa_exception_fp_ieee_invalid_op 0
		.amdhsa_exception_fp_denorm_src 0
		.amdhsa_exception_fp_ieee_div_zero 0
		.amdhsa_exception_fp_ieee_overflow 0
		.amdhsa_exception_fp_ieee_underflow 0
		.amdhsa_exception_fp_ieee_inexact 0
		.amdhsa_exception_int_div_zero 0
	.end_amdhsa_kernel
	.section	.text._ZN7rocprim17ROCPRIM_400000_NS6detail17trampoline_kernelINS0_14default_configENS1_25partition_config_selectorILNS1_17partition_subalgoE0EtNS0_10empty_typeEbEEZZNS1_14partition_implILS5_0ELb0ES3_jN6thrust23THRUST_200600_302600_NS6detail15normal_iteratorINSA_10device_ptrItEEEEPS6_SG_NS0_5tupleIJNSA_16discard_iteratorINSA_11use_defaultEEESF_EEENSH_IJSG_SG_EEES6_PlJ7is_evenItEEEE10hipError_tPvRmT3_T4_T5_T6_T7_T9_mT8_P12ihipStream_tbDpT10_ENKUlT_T0_E_clISt17integral_constantIbLb1EES18_IbLb0EEEEDaS14_S15_EUlS14_E_NS1_11comp_targetILNS1_3genE2ELNS1_11target_archE906ELNS1_3gpuE6ELNS1_3repE0EEENS1_30default_config_static_selectorELNS0_4arch9wavefront6targetE1EEEvT1_,"axG",@progbits,_ZN7rocprim17ROCPRIM_400000_NS6detail17trampoline_kernelINS0_14default_configENS1_25partition_config_selectorILNS1_17partition_subalgoE0EtNS0_10empty_typeEbEEZZNS1_14partition_implILS5_0ELb0ES3_jN6thrust23THRUST_200600_302600_NS6detail15normal_iteratorINSA_10device_ptrItEEEEPS6_SG_NS0_5tupleIJNSA_16discard_iteratorINSA_11use_defaultEEESF_EEENSH_IJSG_SG_EEES6_PlJ7is_evenItEEEE10hipError_tPvRmT3_T4_T5_T6_T7_T9_mT8_P12ihipStream_tbDpT10_ENKUlT_T0_E_clISt17integral_constantIbLb1EES18_IbLb0EEEEDaS14_S15_EUlS14_E_NS1_11comp_targetILNS1_3genE2ELNS1_11target_archE906ELNS1_3gpuE6ELNS1_3repE0EEENS1_30default_config_static_selectorELNS0_4arch9wavefront6targetE1EEEvT1_,comdat
.Lfunc_end2575:
	.size	_ZN7rocprim17ROCPRIM_400000_NS6detail17trampoline_kernelINS0_14default_configENS1_25partition_config_selectorILNS1_17partition_subalgoE0EtNS0_10empty_typeEbEEZZNS1_14partition_implILS5_0ELb0ES3_jN6thrust23THRUST_200600_302600_NS6detail15normal_iteratorINSA_10device_ptrItEEEEPS6_SG_NS0_5tupleIJNSA_16discard_iteratorINSA_11use_defaultEEESF_EEENSH_IJSG_SG_EEES6_PlJ7is_evenItEEEE10hipError_tPvRmT3_T4_T5_T6_T7_T9_mT8_P12ihipStream_tbDpT10_ENKUlT_T0_E_clISt17integral_constantIbLb1EES18_IbLb0EEEEDaS14_S15_EUlS14_E_NS1_11comp_targetILNS1_3genE2ELNS1_11target_archE906ELNS1_3gpuE6ELNS1_3repE0EEENS1_30default_config_static_selectorELNS0_4arch9wavefront6targetE1EEEvT1_, .Lfunc_end2575-_ZN7rocprim17ROCPRIM_400000_NS6detail17trampoline_kernelINS0_14default_configENS1_25partition_config_selectorILNS1_17partition_subalgoE0EtNS0_10empty_typeEbEEZZNS1_14partition_implILS5_0ELb0ES3_jN6thrust23THRUST_200600_302600_NS6detail15normal_iteratorINSA_10device_ptrItEEEEPS6_SG_NS0_5tupleIJNSA_16discard_iteratorINSA_11use_defaultEEESF_EEENSH_IJSG_SG_EEES6_PlJ7is_evenItEEEE10hipError_tPvRmT3_T4_T5_T6_T7_T9_mT8_P12ihipStream_tbDpT10_ENKUlT_T0_E_clISt17integral_constantIbLb1EES18_IbLb0EEEEDaS14_S15_EUlS14_E_NS1_11comp_targetILNS1_3genE2ELNS1_11target_archE906ELNS1_3gpuE6ELNS1_3repE0EEENS1_30default_config_static_selectorELNS0_4arch9wavefront6targetE1EEEvT1_
                                        ; -- End function
	.section	.AMDGPU.csdata,"",@progbits
; Kernel info:
; codeLenInByte = 0
; NumSgprs: 6
; NumVgprs: 0
; NumAgprs: 0
; TotalNumVgprs: 0
; ScratchSize: 0
; MemoryBound: 0
; FloatMode: 240
; IeeeMode: 1
; LDSByteSize: 0 bytes/workgroup (compile time only)
; SGPRBlocks: 0
; VGPRBlocks: 0
; NumSGPRsForWavesPerEU: 6
; NumVGPRsForWavesPerEU: 1
; AccumOffset: 4
; Occupancy: 8
; WaveLimiterHint : 0
; COMPUTE_PGM_RSRC2:SCRATCH_EN: 0
; COMPUTE_PGM_RSRC2:USER_SGPR: 2
; COMPUTE_PGM_RSRC2:TRAP_HANDLER: 0
; COMPUTE_PGM_RSRC2:TGID_X_EN: 1
; COMPUTE_PGM_RSRC2:TGID_Y_EN: 0
; COMPUTE_PGM_RSRC2:TGID_Z_EN: 0
; COMPUTE_PGM_RSRC2:TIDIG_COMP_CNT: 0
; COMPUTE_PGM_RSRC3_GFX90A:ACCUM_OFFSET: 0
; COMPUTE_PGM_RSRC3_GFX90A:TG_SPLIT: 0
	.section	.text._ZN7rocprim17ROCPRIM_400000_NS6detail17trampoline_kernelINS0_14default_configENS1_25partition_config_selectorILNS1_17partition_subalgoE0EtNS0_10empty_typeEbEEZZNS1_14partition_implILS5_0ELb0ES3_jN6thrust23THRUST_200600_302600_NS6detail15normal_iteratorINSA_10device_ptrItEEEEPS6_SG_NS0_5tupleIJNSA_16discard_iteratorINSA_11use_defaultEEESF_EEENSH_IJSG_SG_EEES6_PlJ7is_evenItEEEE10hipError_tPvRmT3_T4_T5_T6_T7_T9_mT8_P12ihipStream_tbDpT10_ENKUlT_T0_E_clISt17integral_constantIbLb1EES18_IbLb0EEEEDaS14_S15_EUlS14_E_NS1_11comp_targetILNS1_3genE10ELNS1_11target_archE1200ELNS1_3gpuE4ELNS1_3repE0EEENS1_30default_config_static_selectorELNS0_4arch9wavefront6targetE1EEEvT1_,"axG",@progbits,_ZN7rocprim17ROCPRIM_400000_NS6detail17trampoline_kernelINS0_14default_configENS1_25partition_config_selectorILNS1_17partition_subalgoE0EtNS0_10empty_typeEbEEZZNS1_14partition_implILS5_0ELb0ES3_jN6thrust23THRUST_200600_302600_NS6detail15normal_iteratorINSA_10device_ptrItEEEEPS6_SG_NS0_5tupleIJNSA_16discard_iteratorINSA_11use_defaultEEESF_EEENSH_IJSG_SG_EEES6_PlJ7is_evenItEEEE10hipError_tPvRmT3_T4_T5_T6_T7_T9_mT8_P12ihipStream_tbDpT10_ENKUlT_T0_E_clISt17integral_constantIbLb1EES18_IbLb0EEEEDaS14_S15_EUlS14_E_NS1_11comp_targetILNS1_3genE10ELNS1_11target_archE1200ELNS1_3gpuE4ELNS1_3repE0EEENS1_30default_config_static_selectorELNS0_4arch9wavefront6targetE1EEEvT1_,comdat
	.protected	_ZN7rocprim17ROCPRIM_400000_NS6detail17trampoline_kernelINS0_14default_configENS1_25partition_config_selectorILNS1_17partition_subalgoE0EtNS0_10empty_typeEbEEZZNS1_14partition_implILS5_0ELb0ES3_jN6thrust23THRUST_200600_302600_NS6detail15normal_iteratorINSA_10device_ptrItEEEEPS6_SG_NS0_5tupleIJNSA_16discard_iteratorINSA_11use_defaultEEESF_EEENSH_IJSG_SG_EEES6_PlJ7is_evenItEEEE10hipError_tPvRmT3_T4_T5_T6_T7_T9_mT8_P12ihipStream_tbDpT10_ENKUlT_T0_E_clISt17integral_constantIbLb1EES18_IbLb0EEEEDaS14_S15_EUlS14_E_NS1_11comp_targetILNS1_3genE10ELNS1_11target_archE1200ELNS1_3gpuE4ELNS1_3repE0EEENS1_30default_config_static_selectorELNS0_4arch9wavefront6targetE1EEEvT1_ ; -- Begin function _ZN7rocprim17ROCPRIM_400000_NS6detail17trampoline_kernelINS0_14default_configENS1_25partition_config_selectorILNS1_17partition_subalgoE0EtNS0_10empty_typeEbEEZZNS1_14partition_implILS5_0ELb0ES3_jN6thrust23THRUST_200600_302600_NS6detail15normal_iteratorINSA_10device_ptrItEEEEPS6_SG_NS0_5tupleIJNSA_16discard_iteratorINSA_11use_defaultEEESF_EEENSH_IJSG_SG_EEES6_PlJ7is_evenItEEEE10hipError_tPvRmT3_T4_T5_T6_T7_T9_mT8_P12ihipStream_tbDpT10_ENKUlT_T0_E_clISt17integral_constantIbLb1EES18_IbLb0EEEEDaS14_S15_EUlS14_E_NS1_11comp_targetILNS1_3genE10ELNS1_11target_archE1200ELNS1_3gpuE4ELNS1_3repE0EEENS1_30default_config_static_selectorELNS0_4arch9wavefront6targetE1EEEvT1_
	.globl	_ZN7rocprim17ROCPRIM_400000_NS6detail17trampoline_kernelINS0_14default_configENS1_25partition_config_selectorILNS1_17partition_subalgoE0EtNS0_10empty_typeEbEEZZNS1_14partition_implILS5_0ELb0ES3_jN6thrust23THRUST_200600_302600_NS6detail15normal_iteratorINSA_10device_ptrItEEEEPS6_SG_NS0_5tupleIJNSA_16discard_iteratorINSA_11use_defaultEEESF_EEENSH_IJSG_SG_EEES6_PlJ7is_evenItEEEE10hipError_tPvRmT3_T4_T5_T6_T7_T9_mT8_P12ihipStream_tbDpT10_ENKUlT_T0_E_clISt17integral_constantIbLb1EES18_IbLb0EEEEDaS14_S15_EUlS14_E_NS1_11comp_targetILNS1_3genE10ELNS1_11target_archE1200ELNS1_3gpuE4ELNS1_3repE0EEENS1_30default_config_static_selectorELNS0_4arch9wavefront6targetE1EEEvT1_
	.p2align	8
	.type	_ZN7rocprim17ROCPRIM_400000_NS6detail17trampoline_kernelINS0_14default_configENS1_25partition_config_selectorILNS1_17partition_subalgoE0EtNS0_10empty_typeEbEEZZNS1_14partition_implILS5_0ELb0ES3_jN6thrust23THRUST_200600_302600_NS6detail15normal_iteratorINSA_10device_ptrItEEEEPS6_SG_NS0_5tupleIJNSA_16discard_iteratorINSA_11use_defaultEEESF_EEENSH_IJSG_SG_EEES6_PlJ7is_evenItEEEE10hipError_tPvRmT3_T4_T5_T6_T7_T9_mT8_P12ihipStream_tbDpT10_ENKUlT_T0_E_clISt17integral_constantIbLb1EES18_IbLb0EEEEDaS14_S15_EUlS14_E_NS1_11comp_targetILNS1_3genE10ELNS1_11target_archE1200ELNS1_3gpuE4ELNS1_3repE0EEENS1_30default_config_static_selectorELNS0_4arch9wavefront6targetE1EEEvT1_,@function
_ZN7rocprim17ROCPRIM_400000_NS6detail17trampoline_kernelINS0_14default_configENS1_25partition_config_selectorILNS1_17partition_subalgoE0EtNS0_10empty_typeEbEEZZNS1_14partition_implILS5_0ELb0ES3_jN6thrust23THRUST_200600_302600_NS6detail15normal_iteratorINSA_10device_ptrItEEEEPS6_SG_NS0_5tupleIJNSA_16discard_iteratorINSA_11use_defaultEEESF_EEENSH_IJSG_SG_EEES6_PlJ7is_evenItEEEE10hipError_tPvRmT3_T4_T5_T6_T7_T9_mT8_P12ihipStream_tbDpT10_ENKUlT_T0_E_clISt17integral_constantIbLb1EES18_IbLb0EEEEDaS14_S15_EUlS14_E_NS1_11comp_targetILNS1_3genE10ELNS1_11target_archE1200ELNS1_3gpuE4ELNS1_3repE0EEENS1_30default_config_static_selectorELNS0_4arch9wavefront6targetE1EEEvT1_: ; @_ZN7rocprim17ROCPRIM_400000_NS6detail17trampoline_kernelINS0_14default_configENS1_25partition_config_selectorILNS1_17partition_subalgoE0EtNS0_10empty_typeEbEEZZNS1_14partition_implILS5_0ELb0ES3_jN6thrust23THRUST_200600_302600_NS6detail15normal_iteratorINSA_10device_ptrItEEEEPS6_SG_NS0_5tupleIJNSA_16discard_iteratorINSA_11use_defaultEEESF_EEENSH_IJSG_SG_EEES6_PlJ7is_evenItEEEE10hipError_tPvRmT3_T4_T5_T6_T7_T9_mT8_P12ihipStream_tbDpT10_ENKUlT_T0_E_clISt17integral_constantIbLb1EES18_IbLb0EEEEDaS14_S15_EUlS14_E_NS1_11comp_targetILNS1_3genE10ELNS1_11target_archE1200ELNS1_3gpuE4ELNS1_3repE0EEENS1_30default_config_static_selectorELNS0_4arch9wavefront6targetE1EEEvT1_
; %bb.0:
	.section	.rodata,"a",@progbits
	.p2align	6, 0x0
	.amdhsa_kernel _ZN7rocprim17ROCPRIM_400000_NS6detail17trampoline_kernelINS0_14default_configENS1_25partition_config_selectorILNS1_17partition_subalgoE0EtNS0_10empty_typeEbEEZZNS1_14partition_implILS5_0ELb0ES3_jN6thrust23THRUST_200600_302600_NS6detail15normal_iteratorINSA_10device_ptrItEEEEPS6_SG_NS0_5tupleIJNSA_16discard_iteratorINSA_11use_defaultEEESF_EEENSH_IJSG_SG_EEES6_PlJ7is_evenItEEEE10hipError_tPvRmT3_T4_T5_T6_T7_T9_mT8_P12ihipStream_tbDpT10_ENKUlT_T0_E_clISt17integral_constantIbLb1EES18_IbLb0EEEEDaS14_S15_EUlS14_E_NS1_11comp_targetILNS1_3genE10ELNS1_11target_archE1200ELNS1_3gpuE4ELNS1_3repE0EEENS1_30default_config_static_selectorELNS0_4arch9wavefront6targetE1EEEvT1_
		.amdhsa_group_segment_fixed_size 0
		.amdhsa_private_segment_fixed_size 0
		.amdhsa_kernarg_size 128
		.amdhsa_user_sgpr_count 2
		.amdhsa_user_sgpr_dispatch_ptr 0
		.amdhsa_user_sgpr_queue_ptr 0
		.amdhsa_user_sgpr_kernarg_segment_ptr 1
		.amdhsa_user_sgpr_dispatch_id 0
		.amdhsa_user_sgpr_kernarg_preload_length 0
		.amdhsa_user_sgpr_kernarg_preload_offset 0
		.amdhsa_user_sgpr_private_segment_size 0
		.amdhsa_uses_dynamic_stack 0
		.amdhsa_enable_private_segment 0
		.amdhsa_system_sgpr_workgroup_id_x 1
		.amdhsa_system_sgpr_workgroup_id_y 0
		.amdhsa_system_sgpr_workgroup_id_z 0
		.amdhsa_system_sgpr_workgroup_info 0
		.amdhsa_system_vgpr_workitem_id 0
		.amdhsa_next_free_vgpr 1
		.amdhsa_next_free_sgpr 0
		.amdhsa_accum_offset 4
		.amdhsa_reserve_vcc 0
		.amdhsa_float_round_mode_32 0
		.amdhsa_float_round_mode_16_64 0
		.amdhsa_float_denorm_mode_32 3
		.amdhsa_float_denorm_mode_16_64 3
		.amdhsa_dx10_clamp 1
		.amdhsa_ieee_mode 1
		.amdhsa_fp16_overflow 0
		.amdhsa_tg_split 0
		.amdhsa_exception_fp_ieee_invalid_op 0
		.amdhsa_exception_fp_denorm_src 0
		.amdhsa_exception_fp_ieee_div_zero 0
		.amdhsa_exception_fp_ieee_overflow 0
		.amdhsa_exception_fp_ieee_underflow 0
		.amdhsa_exception_fp_ieee_inexact 0
		.amdhsa_exception_int_div_zero 0
	.end_amdhsa_kernel
	.section	.text._ZN7rocprim17ROCPRIM_400000_NS6detail17trampoline_kernelINS0_14default_configENS1_25partition_config_selectorILNS1_17partition_subalgoE0EtNS0_10empty_typeEbEEZZNS1_14partition_implILS5_0ELb0ES3_jN6thrust23THRUST_200600_302600_NS6detail15normal_iteratorINSA_10device_ptrItEEEEPS6_SG_NS0_5tupleIJNSA_16discard_iteratorINSA_11use_defaultEEESF_EEENSH_IJSG_SG_EEES6_PlJ7is_evenItEEEE10hipError_tPvRmT3_T4_T5_T6_T7_T9_mT8_P12ihipStream_tbDpT10_ENKUlT_T0_E_clISt17integral_constantIbLb1EES18_IbLb0EEEEDaS14_S15_EUlS14_E_NS1_11comp_targetILNS1_3genE10ELNS1_11target_archE1200ELNS1_3gpuE4ELNS1_3repE0EEENS1_30default_config_static_selectorELNS0_4arch9wavefront6targetE1EEEvT1_,"axG",@progbits,_ZN7rocprim17ROCPRIM_400000_NS6detail17trampoline_kernelINS0_14default_configENS1_25partition_config_selectorILNS1_17partition_subalgoE0EtNS0_10empty_typeEbEEZZNS1_14partition_implILS5_0ELb0ES3_jN6thrust23THRUST_200600_302600_NS6detail15normal_iteratorINSA_10device_ptrItEEEEPS6_SG_NS0_5tupleIJNSA_16discard_iteratorINSA_11use_defaultEEESF_EEENSH_IJSG_SG_EEES6_PlJ7is_evenItEEEE10hipError_tPvRmT3_T4_T5_T6_T7_T9_mT8_P12ihipStream_tbDpT10_ENKUlT_T0_E_clISt17integral_constantIbLb1EES18_IbLb0EEEEDaS14_S15_EUlS14_E_NS1_11comp_targetILNS1_3genE10ELNS1_11target_archE1200ELNS1_3gpuE4ELNS1_3repE0EEENS1_30default_config_static_selectorELNS0_4arch9wavefront6targetE1EEEvT1_,comdat
.Lfunc_end2576:
	.size	_ZN7rocprim17ROCPRIM_400000_NS6detail17trampoline_kernelINS0_14default_configENS1_25partition_config_selectorILNS1_17partition_subalgoE0EtNS0_10empty_typeEbEEZZNS1_14partition_implILS5_0ELb0ES3_jN6thrust23THRUST_200600_302600_NS6detail15normal_iteratorINSA_10device_ptrItEEEEPS6_SG_NS0_5tupleIJNSA_16discard_iteratorINSA_11use_defaultEEESF_EEENSH_IJSG_SG_EEES6_PlJ7is_evenItEEEE10hipError_tPvRmT3_T4_T5_T6_T7_T9_mT8_P12ihipStream_tbDpT10_ENKUlT_T0_E_clISt17integral_constantIbLb1EES18_IbLb0EEEEDaS14_S15_EUlS14_E_NS1_11comp_targetILNS1_3genE10ELNS1_11target_archE1200ELNS1_3gpuE4ELNS1_3repE0EEENS1_30default_config_static_selectorELNS0_4arch9wavefront6targetE1EEEvT1_, .Lfunc_end2576-_ZN7rocprim17ROCPRIM_400000_NS6detail17trampoline_kernelINS0_14default_configENS1_25partition_config_selectorILNS1_17partition_subalgoE0EtNS0_10empty_typeEbEEZZNS1_14partition_implILS5_0ELb0ES3_jN6thrust23THRUST_200600_302600_NS6detail15normal_iteratorINSA_10device_ptrItEEEEPS6_SG_NS0_5tupleIJNSA_16discard_iteratorINSA_11use_defaultEEESF_EEENSH_IJSG_SG_EEES6_PlJ7is_evenItEEEE10hipError_tPvRmT3_T4_T5_T6_T7_T9_mT8_P12ihipStream_tbDpT10_ENKUlT_T0_E_clISt17integral_constantIbLb1EES18_IbLb0EEEEDaS14_S15_EUlS14_E_NS1_11comp_targetILNS1_3genE10ELNS1_11target_archE1200ELNS1_3gpuE4ELNS1_3repE0EEENS1_30default_config_static_selectorELNS0_4arch9wavefront6targetE1EEEvT1_
                                        ; -- End function
	.section	.AMDGPU.csdata,"",@progbits
; Kernel info:
; codeLenInByte = 0
; NumSgprs: 6
; NumVgprs: 0
; NumAgprs: 0
; TotalNumVgprs: 0
; ScratchSize: 0
; MemoryBound: 0
; FloatMode: 240
; IeeeMode: 1
; LDSByteSize: 0 bytes/workgroup (compile time only)
; SGPRBlocks: 0
; VGPRBlocks: 0
; NumSGPRsForWavesPerEU: 6
; NumVGPRsForWavesPerEU: 1
; AccumOffset: 4
; Occupancy: 8
; WaveLimiterHint : 0
; COMPUTE_PGM_RSRC2:SCRATCH_EN: 0
; COMPUTE_PGM_RSRC2:USER_SGPR: 2
; COMPUTE_PGM_RSRC2:TRAP_HANDLER: 0
; COMPUTE_PGM_RSRC2:TGID_X_EN: 1
; COMPUTE_PGM_RSRC2:TGID_Y_EN: 0
; COMPUTE_PGM_RSRC2:TGID_Z_EN: 0
; COMPUTE_PGM_RSRC2:TIDIG_COMP_CNT: 0
; COMPUTE_PGM_RSRC3_GFX90A:ACCUM_OFFSET: 0
; COMPUTE_PGM_RSRC3_GFX90A:TG_SPLIT: 0
	.section	.text._ZN7rocprim17ROCPRIM_400000_NS6detail17trampoline_kernelINS0_14default_configENS1_25partition_config_selectorILNS1_17partition_subalgoE0EtNS0_10empty_typeEbEEZZNS1_14partition_implILS5_0ELb0ES3_jN6thrust23THRUST_200600_302600_NS6detail15normal_iteratorINSA_10device_ptrItEEEEPS6_SG_NS0_5tupleIJNSA_16discard_iteratorINSA_11use_defaultEEESF_EEENSH_IJSG_SG_EEES6_PlJ7is_evenItEEEE10hipError_tPvRmT3_T4_T5_T6_T7_T9_mT8_P12ihipStream_tbDpT10_ENKUlT_T0_E_clISt17integral_constantIbLb1EES18_IbLb0EEEEDaS14_S15_EUlS14_E_NS1_11comp_targetILNS1_3genE9ELNS1_11target_archE1100ELNS1_3gpuE3ELNS1_3repE0EEENS1_30default_config_static_selectorELNS0_4arch9wavefront6targetE1EEEvT1_,"axG",@progbits,_ZN7rocprim17ROCPRIM_400000_NS6detail17trampoline_kernelINS0_14default_configENS1_25partition_config_selectorILNS1_17partition_subalgoE0EtNS0_10empty_typeEbEEZZNS1_14partition_implILS5_0ELb0ES3_jN6thrust23THRUST_200600_302600_NS6detail15normal_iteratorINSA_10device_ptrItEEEEPS6_SG_NS0_5tupleIJNSA_16discard_iteratorINSA_11use_defaultEEESF_EEENSH_IJSG_SG_EEES6_PlJ7is_evenItEEEE10hipError_tPvRmT3_T4_T5_T6_T7_T9_mT8_P12ihipStream_tbDpT10_ENKUlT_T0_E_clISt17integral_constantIbLb1EES18_IbLb0EEEEDaS14_S15_EUlS14_E_NS1_11comp_targetILNS1_3genE9ELNS1_11target_archE1100ELNS1_3gpuE3ELNS1_3repE0EEENS1_30default_config_static_selectorELNS0_4arch9wavefront6targetE1EEEvT1_,comdat
	.protected	_ZN7rocprim17ROCPRIM_400000_NS6detail17trampoline_kernelINS0_14default_configENS1_25partition_config_selectorILNS1_17partition_subalgoE0EtNS0_10empty_typeEbEEZZNS1_14partition_implILS5_0ELb0ES3_jN6thrust23THRUST_200600_302600_NS6detail15normal_iteratorINSA_10device_ptrItEEEEPS6_SG_NS0_5tupleIJNSA_16discard_iteratorINSA_11use_defaultEEESF_EEENSH_IJSG_SG_EEES6_PlJ7is_evenItEEEE10hipError_tPvRmT3_T4_T5_T6_T7_T9_mT8_P12ihipStream_tbDpT10_ENKUlT_T0_E_clISt17integral_constantIbLb1EES18_IbLb0EEEEDaS14_S15_EUlS14_E_NS1_11comp_targetILNS1_3genE9ELNS1_11target_archE1100ELNS1_3gpuE3ELNS1_3repE0EEENS1_30default_config_static_selectorELNS0_4arch9wavefront6targetE1EEEvT1_ ; -- Begin function _ZN7rocprim17ROCPRIM_400000_NS6detail17trampoline_kernelINS0_14default_configENS1_25partition_config_selectorILNS1_17partition_subalgoE0EtNS0_10empty_typeEbEEZZNS1_14partition_implILS5_0ELb0ES3_jN6thrust23THRUST_200600_302600_NS6detail15normal_iteratorINSA_10device_ptrItEEEEPS6_SG_NS0_5tupleIJNSA_16discard_iteratorINSA_11use_defaultEEESF_EEENSH_IJSG_SG_EEES6_PlJ7is_evenItEEEE10hipError_tPvRmT3_T4_T5_T6_T7_T9_mT8_P12ihipStream_tbDpT10_ENKUlT_T0_E_clISt17integral_constantIbLb1EES18_IbLb0EEEEDaS14_S15_EUlS14_E_NS1_11comp_targetILNS1_3genE9ELNS1_11target_archE1100ELNS1_3gpuE3ELNS1_3repE0EEENS1_30default_config_static_selectorELNS0_4arch9wavefront6targetE1EEEvT1_
	.globl	_ZN7rocprim17ROCPRIM_400000_NS6detail17trampoline_kernelINS0_14default_configENS1_25partition_config_selectorILNS1_17partition_subalgoE0EtNS0_10empty_typeEbEEZZNS1_14partition_implILS5_0ELb0ES3_jN6thrust23THRUST_200600_302600_NS6detail15normal_iteratorINSA_10device_ptrItEEEEPS6_SG_NS0_5tupleIJNSA_16discard_iteratorINSA_11use_defaultEEESF_EEENSH_IJSG_SG_EEES6_PlJ7is_evenItEEEE10hipError_tPvRmT3_T4_T5_T6_T7_T9_mT8_P12ihipStream_tbDpT10_ENKUlT_T0_E_clISt17integral_constantIbLb1EES18_IbLb0EEEEDaS14_S15_EUlS14_E_NS1_11comp_targetILNS1_3genE9ELNS1_11target_archE1100ELNS1_3gpuE3ELNS1_3repE0EEENS1_30default_config_static_selectorELNS0_4arch9wavefront6targetE1EEEvT1_
	.p2align	8
	.type	_ZN7rocprim17ROCPRIM_400000_NS6detail17trampoline_kernelINS0_14default_configENS1_25partition_config_selectorILNS1_17partition_subalgoE0EtNS0_10empty_typeEbEEZZNS1_14partition_implILS5_0ELb0ES3_jN6thrust23THRUST_200600_302600_NS6detail15normal_iteratorINSA_10device_ptrItEEEEPS6_SG_NS0_5tupleIJNSA_16discard_iteratorINSA_11use_defaultEEESF_EEENSH_IJSG_SG_EEES6_PlJ7is_evenItEEEE10hipError_tPvRmT3_T4_T5_T6_T7_T9_mT8_P12ihipStream_tbDpT10_ENKUlT_T0_E_clISt17integral_constantIbLb1EES18_IbLb0EEEEDaS14_S15_EUlS14_E_NS1_11comp_targetILNS1_3genE9ELNS1_11target_archE1100ELNS1_3gpuE3ELNS1_3repE0EEENS1_30default_config_static_selectorELNS0_4arch9wavefront6targetE1EEEvT1_,@function
_ZN7rocprim17ROCPRIM_400000_NS6detail17trampoline_kernelINS0_14default_configENS1_25partition_config_selectorILNS1_17partition_subalgoE0EtNS0_10empty_typeEbEEZZNS1_14partition_implILS5_0ELb0ES3_jN6thrust23THRUST_200600_302600_NS6detail15normal_iteratorINSA_10device_ptrItEEEEPS6_SG_NS0_5tupleIJNSA_16discard_iteratorINSA_11use_defaultEEESF_EEENSH_IJSG_SG_EEES6_PlJ7is_evenItEEEE10hipError_tPvRmT3_T4_T5_T6_T7_T9_mT8_P12ihipStream_tbDpT10_ENKUlT_T0_E_clISt17integral_constantIbLb1EES18_IbLb0EEEEDaS14_S15_EUlS14_E_NS1_11comp_targetILNS1_3genE9ELNS1_11target_archE1100ELNS1_3gpuE3ELNS1_3repE0EEENS1_30default_config_static_selectorELNS0_4arch9wavefront6targetE1EEEvT1_: ; @_ZN7rocprim17ROCPRIM_400000_NS6detail17trampoline_kernelINS0_14default_configENS1_25partition_config_selectorILNS1_17partition_subalgoE0EtNS0_10empty_typeEbEEZZNS1_14partition_implILS5_0ELb0ES3_jN6thrust23THRUST_200600_302600_NS6detail15normal_iteratorINSA_10device_ptrItEEEEPS6_SG_NS0_5tupleIJNSA_16discard_iteratorINSA_11use_defaultEEESF_EEENSH_IJSG_SG_EEES6_PlJ7is_evenItEEEE10hipError_tPvRmT3_T4_T5_T6_T7_T9_mT8_P12ihipStream_tbDpT10_ENKUlT_T0_E_clISt17integral_constantIbLb1EES18_IbLb0EEEEDaS14_S15_EUlS14_E_NS1_11comp_targetILNS1_3genE9ELNS1_11target_archE1100ELNS1_3gpuE3ELNS1_3repE0EEENS1_30default_config_static_selectorELNS0_4arch9wavefront6targetE1EEEvT1_
; %bb.0:
	.section	.rodata,"a",@progbits
	.p2align	6, 0x0
	.amdhsa_kernel _ZN7rocprim17ROCPRIM_400000_NS6detail17trampoline_kernelINS0_14default_configENS1_25partition_config_selectorILNS1_17partition_subalgoE0EtNS0_10empty_typeEbEEZZNS1_14partition_implILS5_0ELb0ES3_jN6thrust23THRUST_200600_302600_NS6detail15normal_iteratorINSA_10device_ptrItEEEEPS6_SG_NS0_5tupleIJNSA_16discard_iteratorINSA_11use_defaultEEESF_EEENSH_IJSG_SG_EEES6_PlJ7is_evenItEEEE10hipError_tPvRmT3_T4_T5_T6_T7_T9_mT8_P12ihipStream_tbDpT10_ENKUlT_T0_E_clISt17integral_constantIbLb1EES18_IbLb0EEEEDaS14_S15_EUlS14_E_NS1_11comp_targetILNS1_3genE9ELNS1_11target_archE1100ELNS1_3gpuE3ELNS1_3repE0EEENS1_30default_config_static_selectorELNS0_4arch9wavefront6targetE1EEEvT1_
		.amdhsa_group_segment_fixed_size 0
		.amdhsa_private_segment_fixed_size 0
		.amdhsa_kernarg_size 128
		.amdhsa_user_sgpr_count 2
		.amdhsa_user_sgpr_dispatch_ptr 0
		.amdhsa_user_sgpr_queue_ptr 0
		.amdhsa_user_sgpr_kernarg_segment_ptr 1
		.amdhsa_user_sgpr_dispatch_id 0
		.amdhsa_user_sgpr_kernarg_preload_length 0
		.amdhsa_user_sgpr_kernarg_preload_offset 0
		.amdhsa_user_sgpr_private_segment_size 0
		.amdhsa_uses_dynamic_stack 0
		.amdhsa_enable_private_segment 0
		.amdhsa_system_sgpr_workgroup_id_x 1
		.amdhsa_system_sgpr_workgroup_id_y 0
		.amdhsa_system_sgpr_workgroup_id_z 0
		.amdhsa_system_sgpr_workgroup_info 0
		.amdhsa_system_vgpr_workitem_id 0
		.amdhsa_next_free_vgpr 1
		.amdhsa_next_free_sgpr 0
		.amdhsa_accum_offset 4
		.amdhsa_reserve_vcc 0
		.amdhsa_float_round_mode_32 0
		.amdhsa_float_round_mode_16_64 0
		.amdhsa_float_denorm_mode_32 3
		.amdhsa_float_denorm_mode_16_64 3
		.amdhsa_dx10_clamp 1
		.amdhsa_ieee_mode 1
		.amdhsa_fp16_overflow 0
		.amdhsa_tg_split 0
		.amdhsa_exception_fp_ieee_invalid_op 0
		.amdhsa_exception_fp_denorm_src 0
		.amdhsa_exception_fp_ieee_div_zero 0
		.amdhsa_exception_fp_ieee_overflow 0
		.amdhsa_exception_fp_ieee_underflow 0
		.amdhsa_exception_fp_ieee_inexact 0
		.amdhsa_exception_int_div_zero 0
	.end_amdhsa_kernel
	.section	.text._ZN7rocprim17ROCPRIM_400000_NS6detail17trampoline_kernelINS0_14default_configENS1_25partition_config_selectorILNS1_17partition_subalgoE0EtNS0_10empty_typeEbEEZZNS1_14partition_implILS5_0ELb0ES3_jN6thrust23THRUST_200600_302600_NS6detail15normal_iteratorINSA_10device_ptrItEEEEPS6_SG_NS0_5tupleIJNSA_16discard_iteratorINSA_11use_defaultEEESF_EEENSH_IJSG_SG_EEES6_PlJ7is_evenItEEEE10hipError_tPvRmT3_T4_T5_T6_T7_T9_mT8_P12ihipStream_tbDpT10_ENKUlT_T0_E_clISt17integral_constantIbLb1EES18_IbLb0EEEEDaS14_S15_EUlS14_E_NS1_11comp_targetILNS1_3genE9ELNS1_11target_archE1100ELNS1_3gpuE3ELNS1_3repE0EEENS1_30default_config_static_selectorELNS0_4arch9wavefront6targetE1EEEvT1_,"axG",@progbits,_ZN7rocprim17ROCPRIM_400000_NS6detail17trampoline_kernelINS0_14default_configENS1_25partition_config_selectorILNS1_17partition_subalgoE0EtNS0_10empty_typeEbEEZZNS1_14partition_implILS5_0ELb0ES3_jN6thrust23THRUST_200600_302600_NS6detail15normal_iteratorINSA_10device_ptrItEEEEPS6_SG_NS0_5tupleIJNSA_16discard_iteratorINSA_11use_defaultEEESF_EEENSH_IJSG_SG_EEES6_PlJ7is_evenItEEEE10hipError_tPvRmT3_T4_T5_T6_T7_T9_mT8_P12ihipStream_tbDpT10_ENKUlT_T0_E_clISt17integral_constantIbLb1EES18_IbLb0EEEEDaS14_S15_EUlS14_E_NS1_11comp_targetILNS1_3genE9ELNS1_11target_archE1100ELNS1_3gpuE3ELNS1_3repE0EEENS1_30default_config_static_selectorELNS0_4arch9wavefront6targetE1EEEvT1_,comdat
.Lfunc_end2577:
	.size	_ZN7rocprim17ROCPRIM_400000_NS6detail17trampoline_kernelINS0_14default_configENS1_25partition_config_selectorILNS1_17partition_subalgoE0EtNS0_10empty_typeEbEEZZNS1_14partition_implILS5_0ELb0ES3_jN6thrust23THRUST_200600_302600_NS6detail15normal_iteratorINSA_10device_ptrItEEEEPS6_SG_NS0_5tupleIJNSA_16discard_iteratorINSA_11use_defaultEEESF_EEENSH_IJSG_SG_EEES6_PlJ7is_evenItEEEE10hipError_tPvRmT3_T4_T5_T6_T7_T9_mT8_P12ihipStream_tbDpT10_ENKUlT_T0_E_clISt17integral_constantIbLb1EES18_IbLb0EEEEDaS14_S15_EUlS14_E_NS1_11comp_targetILNS1_3genE9ELNS1_11target_archE1100ELNS1_3gpuE3ELNS1_3repE0EEENS1_30default_config_static_selectorELNS0_4arch9wavefront6targetE1EEEvT1_, .Lfunc_end2577-_ZN7rocprim17ROCPRIM_400000_NS6detail17trampoline_kernelINS0_14default_configENS1_25partition_config_selectorILNS1_17partition_subalgoE0EtNS0_10empty_typeEbEEZZNS1_14partition_implILS5_0ELb0ES3_jN6thrust23THRUST_200600_302600_NS6detail15normal_iteratorINSA_10device_ptrItEEEEPS6_SG_NS0_5tupleIJNSA_16discard_iteratorINSA_11use_defaultEEESF_EEENSH_IJSG_SG_EEES6_PlJ7is_evenItEEEE10hipError_tPvRmT3_T4_T5_T6_T7_T9_mT8_P12ihipStream_tbDpT10_ENKUlT_T0_E_clISt17integral_constantIbLb1EES18_IbLb0EEEEDaS14_S15_EUlS14_E_NS1_11comp_targetILNS1_3genE9ELNS1_11target_archE1100ELNS1_3gpuE3ELNS1_3repE0EEENS1_30default_config_static_selectorELNS0_4arch9wavefront6targetE1EEEvT1_
                                        ; -- End function
	.section	.AMDGPU.csdata,"",@progbits
; Kernel info:
; codeLenInByte = 0
; NumSgprs: 6
; NumVgprs: 0
; NumAgprs: 0
; TotalNumVgprs: 0
; ScratchSize: 0
; MemoryBound: 0
; FloatMode: 240
; IeeeMode: 1
; LDSByteSize: 0 bytes/workgroup (compile time only)
; SGPRBlocks: 0
; VGPRBlocks: 0
; NumSGPRsForWavesPerEU: 6
; NumVGPRsForWavesPerEU: 1
; AccumOffset: 4
; Occupancy: 8
; WaveLimiterHint : 0
; COMPUTE_PGM_RSRC2:SCRATCH_EN: 0
; COMPUTE_PGM_RSRC2:USER_SGPR: 2
; COMPUTE_PGM_RSRC2:TRAP_HANDLER: 0
; COMPUTE_PGM_RSRC2:TGID_X_EN: 1
; COMPUTE_PGM_RSRC2:TGID_Y_EN: 0
; COMPUTE_PGM_RSRC2:TGID_Z_EN: 0
; COMPUTE_PGM_RSRC2:TIDIG_COMP_CNT: 0
; COMPUTE_PGM_RSRC3_GFX90A:ACCUM_OFFSET: 0
; COMPUTE_PGM_RSRC3_GFX90A:TG_SPLIT: 0
	.section	.text._ZN7rocprim17ROCPRIM_400000_NS6detail17trampoline_kernelINS0_14default_configENS1_25partition_config_selectorILNS1_17partition_subalgoE0EtNS0_10empty_typeEbEEZZNS1_14partition_implILS5_0ELb0ES3_jN6thrust23THRUST_200600_302600_NS6detail15normal_iteratorINSA_10device_ptrItEEEEPS6_SG_NS0_5tupleIJNSA_16discard_iteratorINSA_11use_defaultEEESF_EEENSH_IJSG_SG_EEES6_PlJ7is_evenItEEEE10hipError_tPvRmT3_T4_T5_T6_T7_T9_mT8_P12ihipStream_tbDpT10_ENKUlT_T0_E_clISt17integral_constantIbLb1EES18_IbLb0EEEEDaS14_S15_EUlS14_E_NS1_11comp_targetILNS1_3genE8ELNS1_11target_archE1030ELNS1_3gpuE2ELNS1_3repE0EEENS1_30default_config_static_selectorELNS0_4arch9wavefront6targetE1EEEvT1_,"axG",@progbits,_ZN7rocprim17ROCPRIM_400000_NS6detail17trampoline_kernelINS0_14default_configENS1_25partition_config_selectorILNS1_17partition_subalgoE0EtNS0_10empty_typeEbEEZZNS1_14partition_implILS5_0ELb0ES3_jN6thrust23THRUST_200600_302600_NS6detail15normal_iteratorINSA_10device_ptrItEEEEPS6_SG_NS0_5tupleIJNSA_16discard_iteratorINSA_11use_defaultEEESF_EEENSH_IJSG_SG_EEES6_PlJ7is_evenItEEEE10hipError_tPvRmT3_T4_T5_T6_T7_T9_mT8_P12ihipStream_tbDpT10_ENKUlT_T0_E_clISt17integral_constantIbLb1EES18_IbLb0EEEEDaS14_S15_EUlS14_E_NS1_11comp_targetILNS1_3genE8ELNS1_11target_archE1030ELNS1_3gpuE2ELNS1_3repE0EEENS1_30default_config_static_selectorELNS0_4arch9wavefront6targetE1EEEvT1_,comdat
	.protected	_ZN7rocprim17ROCPRIM_400000_NS6detail17trampoline_kernelINS0_14default_configENS1_25partition_config_selectorILNS1_17partition_subalgoE0EtNS0_10empty_typeEbEEZZNS1_14partition_implILS5_0ELb0ES3_jN6thrust23THRUST_200600_302600_NS6detail15normal_iteratorINSA_10device_ptrItEEEEPS6_SG_NS0_5tupleIJNSA_16discard_iteratorINSA_11use_defaultEEESF_EEENSH_IJSG_SG_EEES6_PlJ7is_evenItEEEE10hipError_tPvRmT3_T4_T5_T6_T7_T9_mT8_P12ihipStream_tbDpT10_ENKUlT_T0_E_clISt17integral_constantIbLb1EES18_IbLb0EEEEDaS14_S15_EUlS14_E_NS1_11comp_targetILNS1_3genE8ELNS1_11target_archE1030ELNS1_3gpuE2ELNS1_3repE0EEENS1_30default_config_static_selectorELNS0_4arch9wavefront6targetE1EEEvT1_ ; -- Begin function _ZN7rocprim17ROCPRIM_400000_NS6detail17trampoline_kernelINS0_14default_configENS1_25partition_config_selectorILNS1_17partition_subalgoE0EtNS0_10empty_typeEbEEZZNS1_14partition_implILS5_0ELb0ES3_jN6thrust23THRUST_200600_302600_NS6detail15normal_iteratorINSA_10device_ptrItEEEEPS6_SG_NS0_5tupleIJNSA_16discard_iteratorINSA_11use_defaultEEESF_EEENSH_IJSG_SG_EEES6_PlJ7is_evenItEEEE10hipError_tPvRmT3_T4_T5_T6_T7_T9_mT8_P12ihipStream_tbDpT10_ENKUlT_T0_E_clISt17integral_constantIbLb1EES18_IbLb0EEEEDaS14_S15_EUlS14_E_NS1_11comp_targetILNS1_3genE8ELNS1_11target_archE1030ELNS1_3gpuE2ELNS1_3repE0EEENS1_30default_config_static_selectorELNS0_4arch9wavefront6targetE1EEEvT1_
	.globl	_ZN7rocprim17ROCPRIM_400000_NS6detail17trampoline_kernelINS0_14default_configENS1_25partition_config_selectorILNS1_17partition_subalgoE0EtNS0_10empty_typeEbEEZZNS1_14partition_implILS5_0ELb0ES3_jN6thrust23THRUST_200600_302600_NS6detail15normal_iteratorINSA_10device_ptrItEEEEPS6_SG_NS0_5tupleIJNSA_16discard_iteratorINSA_11use_defaultEEESF_EEENSH_IJSG_SG_EEES6_PlJ7is_evenItEEEE10hipError_tPvRmT3_T4_T5_T6_T7_T9_mT8_P12ihipStream_tbDpT10_ENKUlT_T0_E_clISt17integral_constantIbLb1EES18_IbLb0EEEEDaS14_S15_EUlS14_E_NS1_11comp_targetILNS1_3genE8ELNS1_11target_archE1030ELNS1_3gpuE2ELNS1_3repE0EEENS1_30default_config_static_selectorELNS0_4arch9wavefront6targetE1EEEvT1_
	.p2align	8
	.type	_ZN7rocprim17ROCPRIM_400000_NS6detail17trampoline_kernelINS0_14default_configENS1_25partition_config_selectorILNS1_17partition_subalgoE0EtNS0_10empty_typeEbEEZZNS1_14partition_implILS5_0ELb0ES3_jN6thrust23THRUST_200600_302600_NS6detail15normal_iteratorINSA_10device_ptrItEEEEPS6_SG_NS0_5tupleIJNSA_16discard_iteratorINSA_11use_defaultEEESF_EEENSH_IJSG_SG_EEES6_PlJ7is_evenItEEEE10hipError_tPvRmT3_T4_T5_T6_T7_T9_mT8_P12ihipStream_tbDpT10_ENKUlT_T0_E_clISt17integral_constantIbLb1EES18_IbLb0EEEEDaS14_S15_EUlS14_E_NS1_11comp_targetILNS1_3genE8ELNS1_11target_archE1030ELNS1_3gpuE2ELNS1_3repE0EEENS1_30default_config_static_selectorELNS0_4arch9wavefront6targetE1EEEvT1_,@function
_ZN7rocprim17ROCPRIM_400000_NS6detail17trampoline_kernelINS0_14default_configENS1_25partition_config_selectorILNS1_17partition_subalgoE0EtNS0_10empty_typeEbEEZZNS1_14partition_implILS5_0ELb0ES3_jN6thrust23THRUST_200600_302600_NS6detail15normal_iteratorINSA_10device_ptrItEEEEPS6_SG_NS0_5tupleIJNSA_16discard_iteratorINSA_11use_defaultEEESF_EEENSH_IJSG_SG_EEES6_PlJ7is_evenItEEEE10hipError_tPvRmT3_T4_T5_T6_T7_T9_mT8_P12ihipStream_tbDpT10_ENKUlT_T0_E_clISt17integral_constantIbLb1EES18_IbLb0EEEEDaS14_S15_EUlS14_E_NS1_11comp_targetILNS1_3genE8ELNS1_11target_archE1030ELNS1_3gpuE2ELNS1_3repE0EEENS1_30default_config_static_selectorELNS0_4arch9wavefront6targetE1EEEvT1_: ; @_ZN7rocprim17ROCPRIM_400000_NS6detail17trampoline_kernelINS0_14default_configENS1_25partition_config_selectorILNS1_17partition_subalgoE0EtNS0_10empty_typeEbEEZZNS1_14partition_implILS5_0ELb0ES3_jN6thrust23THRUST_200600_302600_NS6detail15normal_iteratorINSA_10device_ptrItEEEEPS6_SG_NS0_5tupleIJNSA_16discard_iteratorINSA_11use_defaultEEESF_EEENSH_IJSG_SG_EEES6_PlJ7is_evenItEEEE10hipError_tPvRmT3_T4_T5_T6_T7_T9_mT8_P12ihipStream_tbDpT10_ENKUlT_T0_E_clISt17integral_constantIbLb1EES18_IbLb0EEEEDaS14_S15_EUlS14_E_NS1_11comp_targetILNS1_3genE8ELNS1_11target_archE1030ELNS1_3gpuE2ELNS1_3repE0EEENS1_30default_config_static_selectorELNS0_4arch9wavefront6targetE1EEEvT1_
; %bb.0:
	.section	.rodata,"a",@progbits
	.p2align	6, 0x0
	.amdhsa_kernel _ZN7rocprim17ROCPRIM_400000_NS6detail17trampoline_kernelINS0_14default_configENS1_25partition_config_selectorILNS1_17partition_subalgoE0EtNS0_10empty_typeEbEEZZNS1_14partition_implILS5_0ELb0ES3_jN6thrust23THRUST_200600_302600_NS6detail15normal_iteratorINSA_10device_ptrItEEEEPS6_SG_NS0_5tupleIJNSA_16discard_iteratorINSA_11use_defaultEEESF_EEENSH_IJSG_SG_EEES6_PlJ7is_evenItEEEE10hipError_tPvRmT3_T4_T5_T6_T7_T9_mT8_P12ihipStream_tbDpT10_ENKUlT_T0_E_clISt17integral_constantIbLb1EES18_IbLb0EEEEDaS14_S15_EUlS14_E_NS1_11comp_targetILNS1_3genE8ELNS1_11target_archE1030ELNS1_3gpuE2ELNS1_3repE0EEENS1_30default_config_static_selectorELNS0_4arch9wavefront6targetE1EEEvT1_
		.amdhsa_group_segment_fixed_size 0
		.amdhsa_private_segment_fixed_size 0
		.amdhsa_kernarg_size 128
		.amdhsa_user_sgpr_count 2
		.amdhsa_user_sgpr_dispatch_ptr 0
		.amdhsa_user_sgpr_queue_ptr 0
		.amdhsa_user_sgpr_kernarg_segment_ptr 1
		.amdhsa_user_sgpr_dispatch_id 0
		.amdhsa_user_sgpr_kernarg_preload_length 0
		.amdhsa_user_sgpr_kernarg_preload_offset 0
		.amdhsa_user_sgpr_private_segment_size 0
		.amdhsa_uses_dynamic_stack 0
		.amdhsa_enable_private_segment 0
		.amdhsa_system_sgpr_workgroup_id_x 1
		.amdhsa_system_sgpr_workgroup_id_y 0
		.amdhsa_system_sgpr_workgroup_id_z 0
		.amdhsa_system_sgpr_workgroup_info 0
		.amdhsa_system_vgpr_workitem_id 0
		.amdhsa_next_free_vgpr 1
		.amdhsa_next_free_sgpr 0
		.amdhsa_accum_offset 4
		.amdhsa_reserve_vcc 0
		.amdhsa_float_round_mode_32 0
		.amdhsa_float_round_mode_16_64 0
		.amdhsa_float_denorm_mode_32 3
		.amdhsa_float_denorm_mode_16_64 3
		.amdhsa_dx10_clamp 1
		.amdhsa_ieee_mode 1
		.amdhsa_fp16_overflow 0
		.amdhsa_tg_split 0
		.amdhsa_exception_fp_ieee_invalid_op 0
		.amdhsa_exception_fp_denorm_src 0
		.amdhsa_exception_fp_ieee_div_zero 0
		.amdhsa_exception_fp_ieee_overflow 0
		.amdhsa_exception_fp_ieee_underflow 0
		.amdhsa_exception_fp_ieee_inexact 0
		.amdhsa_exception_int_div_zero 0
	.end_amdhsa_kernel
	.section	.text._ZN7rocprim17ROCPRIM_400000_NS6detail17trampoline_kernelINS0_14default_configENS1_25partition_config_selectorILNS1_17partition_subalgoE0EtNS0_10empty_typeEbEEZZNS1_14partition_implILS5_0ELb0ES3_jN6thrust23THRUST_200600_302600_NS6detail15normal_iteratorINSA_10device_ptrItEEEEPS6_SG_NS0_5tupleIJNSA_16discard_iteratorINSA_11use_defaultEEESF_EEENSH_IJSG_SG_EEES6_PlJ7is_evenItEEEE10hipError_tPvRmT3_T4_T5_T6_T7_T9_mT8_P12ihipStream_tbDpT10_ENKUlT_T0_E_clISt17integral_constantIbLb1EES18_IbLb0EEEEDaS14_S15_EUlS14_E_NS1_11comp_targetILNS1_3genE8ELNS1_11target_archE1030ELNS1_3gpuE2ELNS1_3repE0EEENS1_30default_config_static_selectorELNS0_4arch9wavefront6targetE1EEEvT1_,"axG",@progbits,_ZN7rocprim17ROCPRIM_400000_NS6detail17trampoline_kernelINS0_14default_configENS1_25partition_config_selectorILNS1_17partition_subalgoE0EtNS0_10empty_typeEbEEZZNS1_14partition_implILS5_0ELb0ES3_jN6thrust23THRUST_200600_302600_NS6detail15normal_iteratorINSA_10device_ptrItEEEEPS6_SG_NS0_5tupleIJNSA_16discard_iteratorINSA_11use_defaultEEESF_EEENSH_IJSG_SG_EEES6_PlJ7is_evenItEEEE10hipError_tPvRmT3_T4_T5_T6_T7_T9_mT8_P12ihipStream_tbDpT10_ENKUlT_T0_E_clISt17integral_constantIbLb1EES18_IbLb0EEEEDaS14_S15_EUlS14_E_NS1_11comp_targetILNS1_3genE8ELNS1_11target_archE1030ELNS1_3gpuE2ELNS1_3repE0EEENS1_30default_config_static_selectorELNS0_4arch9wavefront6targetE1EEEvT1_,comdat
.Lfunc_end2578:
	.size	_ZN7rocprim17ROCPRIM_400000_NS6detail17trampoline_kernelINS0_14default_configENS1_25partition_config_selectorILNS1_17partition_subalgoE0EtNS0_10empty_typeEbEEZZNS1_14partition_implILS5_0ELb0ES3_jN6thrust23THRUST_200600_302600_NS6detail15normal_iteratorINSA_10device_ptrItEEEEPS6_SG_NS0_5tupleIJNSA_16discard_iteratorINSA_11use_defaultEEESF_EEENSH_IJSG_SG_EEES6_PlJ7is_evenItEEEE10hipError_tPvRmT3_T4_T5_T6_T7_T9_mT8_P12ihipStream_tbDpT10_ENKUlT_T0_E_clISt17integral_constantIbLb1EES18_IbLb0EEEEDaS14_S15_EUlS14_E_NS1_11comp_targetILNS1_3genE8ELNS1_11target_archE1030ELNS1_3gpuE2ELNS1_3repE0EEENS1_30default_config_static_selectorELNS0_4arch9wavefront6targetE1EEEvT1_, .Lfunc_end2578-_ZN7rocprim17ROCPRIM_400000_NS6detail17trampoline_kernelINS0_14default_configENS1_25partition_config_selectorILNS1_17partition_subalgoE0EtNS0_10empty_typeEbEEZZNS1_14partition_implILS5_0ELb0ES3_jN6thrust23THRUST_200600_302600_NS6detail15normal_iteratorINSA_10device_ptrItEEEEPS6_SG_NS0_5tupleIJNSA_16discard_iteratorINSA_11use_defaultEEESF_EEENSH_IJSG_SG_EEES6_PlJ7is_evenItEEEE10hipError_tPvRmT3_T4_T5_T6_T7_T9_mT8_P12ihipStream_tbDpT10_ENKUlT_T0_E_clISt17integral_constantIbLb1EES18_IbLb0EEEEDaS14_S15_EUlS14_E_NS1_11comp_targetILNS1_3genE8ELNS1_11target_archE1030ELNS1_3gpuE2ELNS1_3repE0EEENS1_30default_config_static_selectorELNS0_4arch9wavefront6targetE1EEEvT1_
                                        ; -- End function
	.section	.AMDGPU.csdata,"",@progbits
; Kernel info:
; codeLenInByte = 0
; NumSgprs: 6
; NumVgprs: 0
; NumAgprs: 0
; TotalNumVgprs: 0
; ScratchSize: 0
; MemoryBound: 0
; FloatMode: 240
; IeeeMode: 1
; LDSByteSize: 0 bytes/workgroup (compile time only)
; SGPRBlocks: 0
; VGPRBlocks: 0
; NumSGPRsForWavesPerEU: 6
; NumVGPRsForWavesPerEU: 1
; AccumOffset: 4
; Occupancy: 8
; WaveLimiterHint : 0
; COMPUTE_PGM_RSRC2:SCRATCH_EN: 0
; COMPUTE_PGM_RSRC2:USER_SGPR: 2
; COMPUTE_PGM_RSRC2:TRAP_HANDLER: 0
; COMPUTE_PGM_RSRC2:TGID_X_EN: 1
; COMPUTE_PGM_RSRC2:TGID_Y_EN: 0
; COMPUTE_PGM_RSRC2:TGID_Z_EN: 0
; COMPUTE_PGM_RSRC2:TIDIG_COMP_CNT: 0
; COMPUTE_PGM_RSRC3_GFX90A:ACCUM_OFFSET: 0
; COMPUTE_PGM_RSRC3_GFX90A:TG_SPLIT: 0
	.section	.text._ZN7rocprim17ROCPRIM_400000_NS6detail17trampoline_kernelINS0_14default_configENS1_25partition_config_selectorILNS1_17partition_subalgoE0EtNS0_10empty_typeEbEEZZNS1_14partition_implILS5_0ELb0ES3_jN6thrust23THRUST_200600_302600_NS6detail15normal_iteratorINSA_10device_ptrItEEEEPS6_SG_NS0_5tupleIJNSA_16discard_iteratorINSA_11use_defaultEEESF_EEENSH_IJSG_SG_EEES6_PlJ7is_evenItEEEE10hipError_tPvRmT3_T4_T5_T6_T7_T9_mT8_P12ihipStream_tbDpT10_ENKUlT_T0_E_clISt17integral_constantIbLb0EES18_IbLb1EEEEDaS14_S15_EUlS14_E_NS1_11comp_targetILNS1_3genE0ELNS1_11target_archE4294967295ELNS1_3gpuE0ELNS1_3repE0EEENS1_30default_config_static_selectorELNS0_4arch9wavefront6targetE1EEEvT1_,"axG",@progbits,_ZN7rocprim17ROCPRIM_400000_NS6detail17trampoline_kernelINS0_14default_configENS1_25partition_config_selectorILNS1_17partition_subalgoE0EtNS0_10empty_typeEbEEZZNS1_14partition_implILS5_0ELb0ES3_jN6thrust23THRUST_200600_302600_NS6detail15normal_iteratorINSA_10device_ptrItEEEEPS6_SG_NS0_5tupleIJNSA_16discard_iteratorINSA_11use_defaultEEESF_EEENSH_IJSG_SG_EEES6_PlJ7is_evenItEEEE10hipError_tPvRmT3_T4_T5_T6_T7_T9_mT8_P12ihipStream_tbDpT10_ENKUlT_T0_E_clISt17integral_constantIbLb0EES18_IbLb1EEEEDaS14_S15_EUlS14_E_NS1_11comp_targetILNS1_3genE0ELNS1_11target_archE4294967295ELNS1_3gpuE0ELNS1_3repE0EEENS1_30default_config_static_selectorELNS0_4arch9wavefront6targetE1EEEvT1_,comdat
	.protected	_ZN7rocprim17ROCPRIM_400000_NS6detail17trampoline_kernelINS0_14default_configENS1_25partition_config_selectorILNS1_17partition_subalgoE0EtNS0_10empty_typeEbEEZZNS1_14partition_implILS5_0ELb0ES3_jN6thrust23THRUST_200600_302600_NS6detail15normal_iteratorINSA_10device_ptrItEEEEPS6_SG_NS0_5tupleIJNSA_16discard_iteratorINSA_11use_defaultEEESF_EEENSH_IJSG_SG_EEES6_PlJ7is_evenItEEEE10hipError_tPvRmT3_T4_T5_T6_T7_T9_mT8_P12ihipStream_tbDpT10_ENKUlT_T0_E_clISt17integral_constantIbLb0EES18_IbLb1EEEEDaS14_S15_EUlS14_E_NS1_11comp_targetILNS1_3genE0ELNS1_11target_archE4294967295ELNS1_3gpuE0ELNS1_3repE0EEENS1_30default_config_static_selectorELNS0_4arch9wavefront6targetE1EEEvT1_ ; -- Begin function _ZN7rocprim17ROCPRIM_400000_NS6detail17trampoline_kernelINS0_14default_configENS1_25partition_config_selectorILNS1_17partition_subalgoE0EtNS0_10empty_typeEbEEZZNS1_14partition_implILS5_0ELb0ES3_jN6thrust23THRUST_200600_302600_NS6detail15normal_iteratorINSA_10device_ptrItEEEEPS6_SG_NS0_5tupleIJNSA_16discard_iteratorINSA_11use_defaultEEESF_EEENSH_IJSG_SG_EEES6_PlJ7is_evenItEEEE10hipError_tPvRmT3_T4_T5_T6_T7_T9_mT8_P12ihipStream_tbDpT10_ENKUlT_T0_E_clISt17integral_constantIbLb0EES18_IbLb1EEEEDaS14_S15_EUlS14_E_NS1_11comp_targetILNS1_3genE0ELNS1_11target_archE4294967295ELNS1_3gpuE0ELNS1_3repE0EEENS1_30default_config_static_selectorELNS0_4arch9wavefront6targetE1EEEvT1_
	.globl	_ZN7rocprim17ROCPRIM_400000_NS6detail17trampoline_kernelINS0_14default_configENS1_25partition_config_selectorILNS1_17partition_subalgoE0EtNS0_10empty_typeEbEEZZNS1_14partition_implILS5_0ELb0ES3_jN6thrust23THRUST_200600_302600_NS6detail15normal_iteratorINSA_10device_ptrItEEEEPS6_SG_NS0_5tupleIJNSA_16discard_iteratorINSA_11use_defaultEEESF_EEENSH_IJSG_SG_EEES6_PlJ7is_evenItEEEE10hipError_tPvRmT3_T4_T5_T6_T7_T9_mT8_P12ihipStream_tbDpT10_ENKUlT_T0_E_clISt17integral_constantIbLb0EES18_IbLb1EEEEDaS14_S15_EUlS14_E_NS1_11comp_targetILNS1_3genE0ELNS1_11target_archE4294967295ELNS1_3gpuE0ELNS1_3repE0EEENS1_30default_config_static_selectorELNS0_4arch9wavefront6targetE1EEEvT1_
	.p2align	8
	.type	_ZN7rocprim17ROCPRIM_400000_NS6detail17trampoline_kernelINS0_14default_configENS1_25partition_config_selectorILNS1_17partition_subalgoE0EtNS0_10empty_typeEbEEZZNS1_14partition_implILS5_0ELb0ES3_jN6thrust23THRUST_200600_302600_NS6detail15normal_iteratorINSA_10device_ptrItEEEEPS6_SG_NS0_5tupleIJNSA_16discard_iteratorINSA_11use_defaultEEESF_EEENSH_IJSG_SG_EEES6_PlJ7is_evenItEEEE10hipError_tPvRmT3_T4_T5_T6_T7_T9_mT8_P12ihipStream_tbDpT10_ENKUlT_T0_E_clISt17integral_constantIbLb0EES18_IbLb1EEEEDaS14_S15_EUlS14_E_NS1_11comp_targetILNS1_3genE0ELNS1_11target_archE4294967295ELNS1_3gpuE0ELNS1_3repE0EEENS1_30default_config_static_selectorELNS0_4arch9wavefront6targetE1EEEvT1_,@function
_ZN7rocprim17ROCPRIM_400000_NS6detail17trampoline_kernelINS0_14default_configENS1_25partition_config_selectorILNS1_17partition_subalgoE0EtNS0_10empty_typeEbEEZZNS1_14partition_implILS5_0ELb0ES3_jN6thrust23THRUST_200600_302600_NS6detail15normal_iteratorINSA_10device_ptrItEEEEPS6_SG_NS0_5tupleIJNSA_16discard_iteratorINSA_11use_defaultEEESF_EEENSH_IJSG_SG_EEES6_PlJ7is_evenItEEEE10hipError_tPvRmT3_T4_T5_T6_T7_T9_mT8_P12ihipStream_tbDpT10_ENKUlT_T0_E_clISt17integral_constantIbLb0EES18_IbLb1EEEEDaS14_S15_EUlS14_E_NS1_11comp_targetILNS1_3genE0ELNS1_11target_archE4294967295ELNS1_3gpuE0ELNS1_3repE0EEENS1_30default_config_static_selectorELNS0_4arch9wavefront6targetE1EEEvT1_: ; @_ZN7rocprim17ROCPRIM_400000_NS6detail17trampoline_kernelINS0_14default_configENS1_25partition_config_selectorILNS1_17partition_subalgoE0EtNS0_10empty_typeEbEEZZNS1_14partition_implILS5_0ELb0ES3_jN6thrust23THRUST_200600_302600_NS6detail15normal_iteratorINSA_10device_ptrItEEEEPS6_SG_NS0_5tupleIJNSA_16discard_iteratorINSA_11use_defaultEEESF_EEENSH_IJSG_SG_EEES6_PlJ7is_evenItEEEE10hipError_tPvRmT3_T4_T5_T6_T7_T9_mT8_P12ihipStream_tbDpT10_ENKUlT_T0_E_clISt17integral_constantIbLb0EES18_IbLb1EEEEDaS14_S15_EUlS14_E_NS1_11comp_targetILNS1_3genE0ELNS1_11target_archE4294967295ELNS1_3gpuE0ELNS1_3repE0EEENS1_30default_config_static_selectorELNS0_4arch9wavefront6targetE1EEEvT1_
; %bb.0:
	.section	.rodata,"a",@progbits
	.p2align	6, 0x0
	.amdhsa_kernel _ZN7rocprim17ROCPRIM_400000_NS6detail17trampoline_kernelINS0_14default_configENS1_25partition_config_selectorILNS1_17partition_subalgoE0EtNS0_10empty_typeEbEEZZNS1_14partition_implILS5_0ELb0ES3_jN6thrust23THRUST_200600_302600_NS6detail15normal_iteratorINSA_10device_ptrItEEEEPS6_SG_NS0_5tupleIJNSA_16discard_iteratorINSA_11use_defaultEEESF_EEENSH_IJSG_SG_EEES6_PlJ7is_evenItEEEE10hipError_tPvRmT3_T4_T5_T6_T7_T9_mT8_P12ihipStream_tbDpT10_ENKUlT_T0_E_clISt17integral_constantIbLb0EES18_IbLb1EEEEDaS14_S15_EUlS14_E_NS1_11comp_targetILNS1_3genE0ELNS1_11target_archE4294967295ELNS1_3gpuE0ELNS1_3repE0EEENS1_30default_config_static_selectorELNS0_4arch9wavefront6targetE1EEEvT1_
		.amdhsa_group_segment_fixed_size 0
		.amdhsa_private_segment_fixed_size 0
		.amdhsa_kernarg_size 144
		.amdhsa_user_sgpr_count 2
		.amdhsa_user_sgpr_dispatch_ptr 0
		.amdhsa_user_sgpr_queue_ptr 0
		.amdhsa_user_sgpr_kernarg_segment_ptr 1
		.amdhsa_user_sgpr_dispatch_id 0
		.amdhsa_user_sgpr_kernarg_preload_length 0
		.amdhsa_user_sgpr_kernarg_preload_offset 0
		.amdhsa_user_sgpr_private_segment_size 0
		.amdhsa_uses_dynamic_stack 0
		.amdhsa_enable_private_segment 0
		.amdhsa_system_sgpr_workgroup_id_x 1
		.amdhsa_system_sgpr_workgroup_id_y 0
		.amdhsa_system_sgpr_workgroup_id_z 0
		.amdhsa_system_sgpr_workgroup_info 0
		.amdhsa_system_vgpr_workitem_id 0
		.amdhsa_next_free_vgpr 1
		.amdhsa_next_free_sgpr 0
		.amdhsa_accum_offset 4
		.amdhsa_reserve_vcc 0
		.amdhsa_float_round_mode_32 0
		.amdhsa_float_round_mode_16_64 0
		.amdhsa_float_denorm_mode_32 3
		.amdhsa_float_denorm_mode_16_64 3
		.amdhsa_dx10_clamp 1
		.amdhsa_ieee_mode 1
		.amdhsa_fp16_overflow 0
		.amdhsa_tg_split 0
		.amdhsa_exception_fp_ieee_invalid_op 0
		.amdhsa_exception_fp_denorm_src 0
		.amdhsa_exception_fp_ieee_div_zero 0
		.amdhsa_exception_fp_ieee_overflow 0
		.amdhsa_exception_fp_ieee_underflow 0
		.amdhsa_exception_fp_ieee_inexact 0
		.amdhsa_exception_int_div_zero 0
	.end_amdhsa_kernel
	.section	.text._ZN7rocprim17ROCPRIM_400000_NS6detail17trampoline_kernelINS0_14default_configENS1_25partition_config_selectorILNS1_17partition_subalgoE0EtNS0_10empty_typeEbEEZZNS1_14partition_implILS5_0ELb0ES3_jN6thrust23THRUST_200600_302600_NS6detail15normal_iteratorINSA_10device_ptrItEEEEPS6_SG_NS0_5tupleIJNSA_16discard_iteratorINSA_11use_defaultEEESF_EEENSH_IJSG_SG_EEES6_PlJ7is_evenItEEEE10hipError_tPvRmT3_T4_T5_T6_T7_T9_mT8_P12ihipStream_tbDpT10_ENKUlT_T0_E_clISt17integral_constantIbLb0EES18_IbLb1EEEEDaS14_S15_EUlS14_E_NS1_11comp_targetILNS1_3genE0ELNS1_11target_archE4294967295ELNS1_3gpuE0ELNS1_3repE0EEENS1_30default_config_static_selectorELNS0_4arch9wavefront6targetE1EEEvT1_,"axG",@progbits,_ZN7rocprim17ROCPRIM_400000_NS6detail17trampoline_kernelINS0_14default_configENS1_25partition_config_selectorILNS1_17partition_subalgoE0EtNS0_10empty_typeEbEEZZNS1_14partition_implILS5_0ELb0ES3_jN6thrust23THRUST_200600_302600_NS6detail15normal_iteratorINSA_10device_ptrItEEEEPS6_SG_NS0_5tupleIJNSA_16discard_iteratorINSA_11use_defaultEEESF_EEENSH_IJSG_SG_EEES6_PlJ7is_evenItEEEE10hipError_tPvRmT3_T4_T5_T6_T7_T9_mT8_P12ihipStream_tbDpT10_ENKUlT_T0_E_clISt17integral_constantIbLb0EES18_IbLb1EEEEDaS14_S15_EUlS14_E_NS1_11comp_targetILNS1_3genE0ELNS1_11target_archE4294967295ELNS1_3gpuE0ELNS1_3repE0EEENS1_30default_config_static_selectorELNS0_4arch9wavefront6targetE1EEEvT1_,comdat
.Lfunc_end2579:
	.size	_ZN7rocprim17ROCPRIM_400000_NS6detail17trampoline_kernelINS0_14default_configENS1_25partition_config_selectorILNS1_17partition_subalgoE0EtNS0_10empty_typeEbEEZZNS1_14partition_implILS5_0ELb0ES3_jN6thrust23THRUST_200600_302600_NS6detail15normal_iteratorINSA_10device_ptrItEEEEPS6_SG_NS0_5tupleIJNSA_16discard_iteratorINSA_11use_defaultEEESF_EEENSH_IJSG_SG_EEES6_PlJ7is_evenItEEEE10hipError_tPvRmT3_T4_T5_T6_T7_T9_mT8_P12ihipStream_tbDpT10_ENKUlT_T0_E_clISt17integral_constantIbLb0EES18_IbLb1EEEEDaS14_S15_EUlS14_E_NS1_11comp_targetILNS1_3genE0ELNS1_11target_archE4294967295ELNS1_3gpuE0ELNS1_3repE0EEENS1_30default_config_static_selectorELNS0_4arch9wavefront6targetE1EEEvT1_, .Lfunc_end2579-_ZN7rocprim17ROCPRIM_400000_NS6detail17trampoline_kernelINS0_14default_configENS1_25partition_config_selectorILNS1_17partition_subalgoE0EtNS0_10empty_typeEbEEZZNS1_14partition_implILS5_0ELb0ES3_jN6thrust23THRUST_200600_302600_NS6detail15normal_iteratorINSA_10device_ptrItEEEEPS6_SG_NS0_5tupleIJNSA_16discard_iteratorINSA_11use_defaultEEESF_EEENSH_IJSG_SG_EEES6_PlJ7is_evenItEEEE10hipError_tPvRmT3_T4_T5_T6_T7_T9_mT8_P12ihipStream_tbDpT10_ENKUlT_T0_E_clISt17integral_constantIbLb0EES18_IbLb1EEEEDaS14_S15_EUlS14_E_NS1_11comp_targetILNS1_3genE0ELNS1_11target_archE4294967295ELNS1_3gpuE0ELNS1_3repE0EEENS1_30default_config_static_selectorELNS0_4arch9wavefront6targetE1EEEvT1_
                                        ; -- End function
	.section	.AMDGPU.csdata,"",@progbits
; Kernel info:
; codeLenInByte = 0
; NumSgprs: 6
; NumVgprs: 0
; NumAgprs: 0
; TotalNumVgprs: 0
; ScratchSize: 0
; MemoryBound: 0
; FloatMode: 240
; IeeeMode: 1
; LDSByteSize: 0 bytes/workgroup (compile time only)
; SGPRBlocks: 0
; VGPRBlocks: 0
; NumSGPRsForWavesPerEU: 6
; NumVGPRsForWavesPerEU: 1
; AccumOffset: 4
; Occupancy: 8
; WaveLimiterHint : 0
; COMPUTE_PGM_RSRC2:SCRATCH_EN: 0
; COMPUTE_PGM_RSRC2:USER_SGPR: 2
; COMPUTE_PGM_RSRC2:TRAP_HANDLER: 0
; COMPUTE_PGM_RSRC2:TGID_X_EN: 1
; COMPUTE_PGM_RSRC2:TGID_Y_EN: 0
; COMPUTE_PGM_RSRC2:TGID_Z_EN: 0
; COMPUTE_PGM_RSRC2:TIDIG_COMP_CNT: 0
; COMPUTE_PGM_RSRC3_GFX90A:ACCUM_OFFSET: 0
; COMPUTE_PGM_RSRC3_GFX90A:TG_SPLIT: 0
	.section	.text._ZN7rocprim17ROCPRIM_400000_NS6detail17trampoline_kernelINS0_14default_configENS1_25partition_config_selectorILNS1_17partition_subalgoE0EtNS0_10empty_typeEbEEZZNS1_14partition_implILS5_0ELb0ES3_jN6thrust23THRUST_200600_302600_NS6detail15normal_iteratorINSA_10device_ptrItEEEEPS6_SG_NS0_5tupleIJNSA_16discard_iteratorINSA_11use_defaultEEESF_EEENSH_IJSG_SG_EEES6_PlJ7is_evenItEEEE10hipError_tPvRmT3_T4_T5_T6_T7_T9_mT8_P12ihipStream_tbDpT10_ENKUlT_T0_E_clISt17integral_constantIbLb0EES18_IbLb1EEEEDaS14_S15_EUlS14_E_NS1_11comp_targetILNS1_3genE5ELNS1_11target_archE942ELNS1_3gpuE9ELNS1_3repE0EEENS1_30default_config_static_selectorELNS0_4arch9wavefront6targetE1EEEvT1_,"axG",@progbits,_ZN7rocprim17ROCPRIM_400000_NS6detail17trampoline_kernelINS0_14default_configENS1_25partition_config_selectorILNS1_17partition_subalgoE0EtNS0_10empty_typeEbEEZZNS1_14partition_implILS5_0ELb0ES3_jN6thrust23THRUST_200600_302600_NS6detail15normal_iteratorINSA_10device_ptrItEEEEPS6_SG_NS0_5tupleIJNSA_16discard_iteratorINSA_11use_defaultEEESF_EEENSH_IJSG_SG_EEES6_PlJ7is_evenItEEEE10hipError_tPvRmT3_T4_T5_T6_T7_T9_mT8_P12ihipStream_tbDpT10_ENKUlT_T0_E_clISt17integral_constantIbLb0EES18_IbLb1EEEEDaS14_S15_EUlS14_E_NS1_11comp_targetILNS1_3genE5ELNS1_11target_archE942ELNS1_3gpuE9ELNS1_3repE0EEENS1_30default_config_static_selectorELNS0_4arch9wavefront6targetE1EEEvT1_,comdat
	.protected	_ZN7rocprim17ROCPRIM_400000_NS6detail17trampoline_kernelINS0_14default_configENS1_25partition_config_selectorILNS1_17partition_subalgoE0EtNS0_10empty_typeEbEEZZNS1_14partition_implILS5_0ELb0ES3_jN6thrust23THRUST_200600_302600_NS6detail15normal_iteratorINSA_10device_ptrItEEEEPS6_SG_NS0_5tupleIJNSA_16discard_iteratorINSA_11use_defaultEEESF_EEENSH_IJSG_SG_EEES6_PlJ7is_evenItEEEE10hipError_tPvRmT3_T4_T5_T6_T7_T9_mT8_P12ihipStream_tbDpT10_ENKUlT_T0_E_clISt17integral_constantIbLb0EES18_IbLb1EEEEDaS14_S15_EUlS14_E_NS1_11comp_targetILNS1_3genE5ELNS1_11target_archE942ELNS1_3gpuE9ELNS1_3repE0EEENS1_30default_config_static_selectorELNS0_4arch9wavefront6targetE1EEEvT1_ ; -- Begin function _ZN7rocprim17ROCPRIM_400000_NS6detail17trampoline_kernelINS0_14default_configENS1_25partition_config_selectorILNS1_17partition_subalgoE0EtNS0_10empty_typeEbEEZZNS1_14partition_implILS5_0ELb0ES3_jN6thrust23THRUST_200600_302600_NS6detail15normal_iteratorINSA_10device_ptrItEEEEPS6_SG_NS0_5tupleIJNSA_16discard_iteratorINSA_11use_defaultEEESF_EEENSH_IJSG_SG_EEES6_PlJ7is_evenItEEEE10hipError_tPvRmT3_T4_T5_T6_T7_T9_mT8_P12ihipStream_tbDpT10_ENKUlT_T0_E_clISt17integral_constantIbLb0EES18_IbLb1EEEEDaS14_S15_EUlS14_E_NS1_11comp_targetILNS1_3genE5ELNS1_11target_archE942ELNS1_3gpuE9ELNS1_3repE0EEENS1_30default_config_static_selectorELNS0_4arch9wavefront6targetE1EEEvT1_
	.globl	_ZN7rocprim17ROCPRIM_400000_NS6detail17trampoline_kernelINS0_14default_configENS1_25partition_config_selectorILNS1_17partition_subalgoE0EtNS0_10empty_typeEbEEZZNS1_14partition_implILS5_0ELb0ES3_jN6thrust23THRUST_200600_302600_NS6detail15normal_iteratorINSA_10device_ptrItEEEEPS6_SG_NS0_5tupleIJNSA_16discard_iteratorINSA_11use_defaultEEESF_EEENSH_IJSG_SG_EEES6_PlJ7is_evenItEEEE10hipError_tPvRmT3_T4_T5_T6_T7_T9_mT8_P12ihipStream_tbDpT10_ENKUlT_T0_E_clISt17integral_constantIbLb0EES18_IbLb1EEEEDaS14_S15_EUlS14_E_NS1_11comp_targetILNS1_3genE5ELNS1_11target_archE942ELNS1_3gpuE9ELNS1_3repE0EEENS1_30default_config_static_selectorELNS0_4arch9wavefront6targetE1EEEvT1_
	.p2align	8
	.type	_ZN7rocprim17ROCPRIM_400000_NS6detail17trampoline_kernelINS0_14default_configENS1_25partition_config_selectorILNS1_17partition_subalgoE0EtNS0_10empty_typeEbEEZZNS1_14partition_implILS5_0ELb0ES3_jN6thrust23THRUST_200600_302600_NS6detail15normal_iteratorINSA_10device_ptrItEEEEPS6_SG_NS0_5tupleIJNSA_16discard_iteratorINSA_11use_defaultEEESF_EEENSH_IJSG_SG_EEES6_PlJ7is_evenItEEEE10hipError_tPvRmT3_T4_T5_T6_T7_T9_mT8_P12ihipStream_tbDpT10_ENKUlT_T0_E_clISt17integral_constantIbLb0EES18_IbLb1EEEEDaS14_S15_EUlS14_E_NS1_11comp_targetILNS1_3genE5ELNS1_11target_archE942ELNS1_3gpuE9ELNS1_3repE0EEENS1_30default_config_static_selectorELNS0_4arch9wavefront6targetE1EEEvT1_,@function
_ZN7rocprim17ROCPRIM_400000_NS6detail17trampoline_kernelINS0_14default_configENS1_25partition_config_selectorILNS1_17partition_subalgoE0EtNS0_10empty_typeEbEEZZNS1_14partition_implILS5_0ELb0ES3_jN6thrust23THRUST_200600_302600_NS6detail15normal_iteratorINSA_10device_ptrItEEEEPS6_SG_NS0_5tupleIJNSA_16discard_iteratorINSA_11use_defaultEEESF_EEENSH_IJSG_SG_EEES6_PlJ7is_evenItEEEE10hipError_tPvRmT3_T4_T5_T6_T7_T9_mT8_P12ihipStream_tbDpT10_ENKUlT_T0_E_clISt17integral_constantIbLb0EES18_IbLb1EEEEDaS14_S15_EUlS14_E_NS1_11comp_targetILNS1_3genE5ELNS1_11target_archE942ELNS1_3gpuE9ELNS1_3repE0EEENS1_30default_config_static_selectorELNS0_4arch9wavefront6targetE1EEEvT1_: ; @_ZN7rocprim17ROCPRIM_400000_NS6detail17trampoline_kernelINS0_14default_configENS1_25partition_config_selectorILNS1_17partition_subalgoE0EtNS0_10empty_typeEbEEZZNS1_14partition_implILS5_0ELb0ES3_jN6thrust23THRUST_200600_302600_NS6detail15normal_iteratorINSA_10device_ptrItEEEEPS6_SG_NS0_5tupleIJNSA_16discard_iteratorINSA_11use_defaultEEESF_EEENSH_IJSG_SG_EEES6_PlJ7is_evenItEEEE10hipError_tPvRmT3_T4_T5_T6_T7_T9_mT8_P12ihipStream_tbDpT10_ENKUlT_T0_E_clISt17integral_constantIbLb0EES18_IbLb1EEEEDaS14_S15_EUlS14_E_NS1_11comp_targetILNS1_3genE5ELNS1_11target_archE942ELNS1_3gpuE9ELNS1_3repE0EEENS1_30default_config_static_selectorELNS0_4arch9wavefront6targetE1EEEvT1_
; %bb.0:
	s_load_dwordx2 s[2:3], s[0:1], 0x60
	s_load_dwordx4 s[24:27], s[0:1], 0x50
	s_load_dwordx2 s[36:37], s[0:1], 0x70
	v_cmp_eq_u32_e64 s[20:21], 0, v0
	s_and_saveexec_b64 s[4:5], s[20:21]
	s_cbranch_execz .LBB2580_4
; %bb.1:
	s_mov_b64 s[8:9], exec
	v_mbcnt_lo_u32_b32 v1, s8, 0
	v_mbcnt_hi_u32_b32 v1, s9, v1
	v_cmp_eq_u32_e32 vcc, 0, v1
                                        ; implicit-def: $vgpr2
	s_and_saveexec_b64 s[6:7], vcc
	s_cbranch_execz .LBB2580_3
; %bb.2:
	s_load_dwordx2 s[10:11], s[0:1], 0x80
	s_bcnt1_i32_b64 s8, s[8:9]
	v_mov_b32_e32 v2, 0
	v_mov_b32_e32 v3, s8
	s_waitcnt lgkmcnt(0)
	global_atomic_add v2, v2, v3, s[10:11] sc0
.LBB2580_3:
	s_or_b64 exec, exec, s[6:7]
	s_waitcnt vmcnt(0)
	v_readfirstlane_b32 s6, v2
	v_mov_b32_e32 v2, 0
	s_nop 0
	v_add_u32_e32 v1, s6, v1
	ds_write_b32 v2, v1
.LBB2580_4:
	s_or_b64 exec, exec, s[4:5]
	v_mov_b32_e32 v3, 0
	s_load_dwordx4 s[28:31], s[0:1], 0x8
	s_load_dwordx2 s[34:35], s[0:1], 0x38
	s_load_dword s4, s[0:1], 0x78
	s_waitcnt lgkmcnt(0)
	s_barrier
	ds_read_b32 v1, v3
	s_waitcnt lgkmcnt(0)
	s_barrier
	global_load_dwordx2 v[4:5], v3, s[26:27]
	v_mov_b32_e32 v7, s3
	s_lshl_b64 s[0:1], s[30:31], 1
	s_movk_i32 s3, 0x3c00
	s_add_u32 s0, s28, s0
	v_mul_lo_u32 v2, v1, s3
	s_mul_i32 s3, s4, 0x3c00
	s_addc_u32 s1, s29, s1
	s_add_i32 s5, s4, -1
	s_add_i32 s4, s3, s30
	s_sub_i32 s33, s2, s4
	s_addk_i32 s33, 0x3c00
	v_mov_b32_e32 v6, s2
	s_add_u32 s2, s30, s3
	v_readfirstlane_b32 s38, v1
	s_addc_u32 s3, s31, 0
	s_cmp_eq_u32 s38, s5
	s_cselect_b64 s[22:23], -1, 0
	s_cmp_lg_u32 s38, s5
	v_cmp_lt_u64_e32 vcc, s[2:3], v[6:7]
	s_cselect_b64 s[2:3], -1, 0
	s_or_b64 s[4:5], vcc, s[2:3]
	v_lshlrev_b64 v[6:7], 1, v[2:3]
	v_lshl_add_u64 v[8:9], s[0:1], 0, v[6:7]
	s_mov_b64 s[0:1], -1
	s_and_b64 vcc, exec, s[4:5]
	v_lshlrev_b32_e32 v2, 1, v0
	s_cbranch_vccz .LBB2580_6
; %bb.5:
	v_lshl_add_u64 v[10:11], v[8:9], 0, v[2:3]
	v_add_co_u32_e32 v12, vcc, 0x1000, v10
	s_mov_b64 s[0:1], 0
	s_nop 0
	v_addc_co_u32_e32 v13, vcc, 0, v11, vcc
	flat_load_ushort v1, v[10:11]
	flat_load_ushort v3, v[10:11] offset:1024
	flat_load_ushort v16, v[10:11] offset:2048
	flat_load_ushort v17, v[10:11] offset:3072
	flat_load_ushort v18, v[12:13]
	flat_load_ushort v19, v[12:13] offset:1024
	flat_load_ushort v20, v[12:13] offset:2048
	flat_load_ushort v21, v[12:13] offset:3072
	v_add_co_u32_e32 v12, vcc, 0x2000, v10
	s_nop 1
	v_addc_co_u32_e32 v13, vcc, 0, v11, vcc
	v_add_co_u32_e32 v14, vcc, 0x3000, v10
	s_nop 1
	v_addc_co_u32_e32 v15, vcc, 0, v11, vcc
	flat_load_ushort v22, v[12:13]
	flat_load_ushort v23, v[12:13] offset:1024
	flat_load_ushort v24, v[12:13] offset:2048
	flat_load_ushort v25, v[12:13] offset:3072
	flat_load_ushort v26, v[14:15]
	flat_load_ushort v27, v[14:15] offset:1024
	flat_load_ushort v28, v[14:15] offset:2048
	flat_load_ushort v29, v[14:15] offset:3072
	v_add_co_u32_e32 v12, vcc, 0x4000, v10
	s_nop 1
	v_addc_co_u32_e32 v13, vcc, 0, v11, vcc
	v_add_co_u32_e32 v14, vcc, 0x5000, v10
	;; [unrolled: 14-line block ×3, first 2 shown]
	s_nop 1
	v_addc_co_u32_e32 v11, vcc, 0, v11, vcc
	flat_load_ushort v14, v[12:13]
	flat_load_ushort v15, v[12:13] offset:1024
	flat_load_ushort v38, v[12:13] offset:2048
	;; [unrolled: 1-line block ×3, first 2 shown]
	flat_load_ushort v40, v[10:11]
	flat_load_ushort v41, v[10:11] offset:1024
	s_waitcnt vmcnt(0) lgkmcnt(0)
	ds_write_b16 v2, v1
	ds_write_b16 v2, v3 offset:1024
	ds_write_b16 v2, v16 offset:2048
	;; [unrolled: 1-line block ×29, first 2 shown]
	s_waitcnt lgkmcnt(0)
	s_barrier
.LBB2580_6:
	s_andn2_b64 vcc, exec, s[0:1]
	v_cmp_gt_u32_e64 s[0:1], s33, v0
	s_cbranch_vccnz .LBB2580_68
; %bb.7:
                                        ; implicit-def: $vgpr1
	s_and_saveexec_b64 s[2:3], s[0:1]
	s_cbranch_execz .LBB2580_9
; %bb.8:
	v_mov_b32_e32 v3, 0
	v_lshl_add_u64 v[10:11], v[8:9], 0, v[2:3]
	flat_load_ushort v1, v[10:11]
.LBB2580_9:
	s_or_b64 exec, exec, s[2:3]
	v_or_b32_e32 v3, 0x200, v0
	v_cmp_gt_u32_e32 vcc, s33, v3
                                        ; implicit-def: $vgpr10
	s_and_saveexec_b64 s[0:1], vcc
	s_cbranch_execz .LBB2580_11
; %bb.10:
	v_mov_b32_e32 v3, 0
	v_lshl_add_u64 v[10:11], v[8:9], 0, v[2:3]
	flat_load_ushort v10, v[10:11] offset:1024
.LBB2580_11:
	s_or_b64 exec, exec, s[0:1]
	v_or_b32_e32 v3, 0x400, v0
	v_cmp_gt_u32_e32 vcc, s33, v3
                                        ; implicit-def: $vgpr11
	s_and_saveexec_b64 s[0:1], vcc
	s_cbranch_execz .LBB2580_13
; %bb.12:
	v_mov_b32_e32 v3, 0
	v_lshl_add_u64 v[12:13], v[8:9], 0, v[2:3]
	flat_load_ushort v11, v[12:13] offset:2048
.LBB2580_13:
	s_or_b64 exec, exec, s[0:1]
	v_or_b32_e32 v3, 0x600, v0
	v_cmp_gt_u32_e32 vcc, s33, v3
                                        ; implicit-def: $vgpr3
	s_and_saveexec_b64 s[0:1], vcc
	s_cbranch_execz .LBB2580_15
; %bb.14:
	v_mov_b32_e32 v3, 0
	v_lshl_add_u64 v[12:13], v[8:9], 0, v[2:3]
	flat_load_ushort v3, v[12:13] offset:3072
.LBB2580_15:
	s_or_b64 exec, exec, s[0:1]
	v_or_b32_e32 v13, 0x800, v0
	v_cmp_gt_u32_e32 vcc, s33, v13
                                        ; implicit-def: $vgpr12
	s_and_saveexec_b64 s[0:1], vcc
	s_cbranch_execz .LBB2580_17
; %bb.16:
	v_lshlrev_b32_e32 v12, 1, v13
	v_mov_b32_e32 v13, 0
	v_lshl_add_u64 v[12:13], v[8:9], 0, v[12:13]
	flat_load_ushort v12, v[12:13]
.LBB2580_17:
	s_or_b64 exec, exec, s[0:1]
	v_or_b32_e32 v14, 0xa00, v0
	v_cmp_gt_u32_e32 vcc, s33, v14
                                        ; implicit-def: $vgpr13
	s_and_saveexec_b64 s[0:1], vcc
	s_cbranch_execz .LBB2580_19
; %bb.18:
	v_lshlrev_b32_e32 v14, 1, v14
	v_mov_b32_e32 v15, 0
	v_lshl_add_u64 v[14:15], v[8:9], 0, v[14:15]
	flat_load_ushort v13, v[14:15]
.LBB2580_19:
	s_or_b64 exec, exec, s[0:1]
	v_or_b32_e32 v15, 0xc00, v0
	v_cmp_gt_u32_e32 vcc, s33, v15
                                        ; implicit-def: $vgpr14
	s_and_saveexec_b64 s[0:1], vcc
	s_cbranch_execz .LBB2580_21
; %bb.20:
	v_lshlrev_b32_e32 v14, 1, v15
	v_mov_b32_e32 v15, 0
	v_lshl_add_u64 v[14:15], v[8:9], 0, v[14:15]
	flat_load_ushort v14, v[14:15]
.LBB2580_21:
	s_or_b64 exec, exec, s[0:1]
	v_or_b32_e32 v16, 0xe00, v0
	v_cmp_gt_u32_e32 vcc, s33, v16
                                        ; implicit-def: $vgpr15
	s_and_saveexec_b64 s[0:1], vcc
	s_cbranch_execz .LBB2580_23
; %bb.22:
	v_lshlrev_b32_e32 v16, 1, v16
	v_mov_b32_e32 v17, 0
	v_lshl_add_u64 v[16:17], v[8:9], 0, v[16:17]
	flat_load_ushort v15, v[16:17]
.LBB2580_23:
	s_or_b64 exec, exec, s[0:1]
	v_or_b32_e32 v17, 0x1000, v0
	v_cmp_gt_u32_e32 vcc, s33, v17
                                        ; implicit-def: $vgpr16
	s_and_saveexec_b64 s[0:1], vcc
	s_cbranch_execz .LBB2580_25
; %bb.24:
	v_lshlrev_b32_e32 v16, 1, v17
	v_mov_b32_e32 v17, 0
	v_lshl_add_u64 v[16:17], v[8:9], 0, v[16:17]
	flat_load_ushort v16, v[16:17]
.LBB2580_25:
	s_or_b64 exec, exec, s[0:1]
	v_or_b32_e32 v18, 0x1200, v0
	v_cmp_gt_u32_e32 vcc, s33, v18
                                        ; implicit-def: $vgpr17
	s_and_saveexec_b64 s[0:1], vcc
	s_cbranch_execz .LBB2580_27
; %bb.26:
	v_lshlrev_b32_e32 v18, 1, v18
	v_mov_b32_e32 v19, 0
	v_lshl_add_u64 v[18:19], v[8:9], 0, v[18:19]
	flat_load_ushort v17, v[18:19]
.LBB2580_27:
	s_or_b64 exec, exec, s[0:1]
	v_or_b32_e32 v19, 0x1400, v0
	v_cmp_gt_u32_e32 vcc, s33, v19
                                        ; implicit-def: $vgpr18
	s_and_saveexec_b64 s[0:1], vcc
	s_cbranch_execz .LBB2580_29
; %bb.28:
	v_lshlrev_b32_e32 v18, 1, v19
	v_mov_b32_e32 v19, 0
	v_lshl_add_u64 v[18:19], v[8:9], 0, v[18:19]
	flat_load_ushort v18, v[18:19]
.LBB2580_29:
	s_or_b64 exec, exec, s[0:1]
	v_or_b32_e32 v20, 0x1600, v0
	v_cmp_gt_u32_e32 vcc, s33, v20
                                        ; implicit-def: $vgpr19
	s_and_saveexec_b64 s[0:1], vcc
	s_cbranch_execz .LBB2580_31
; %bb.30:
	v_lshlrev_b32_e32 v20, 1, v20
	v_mov_b32_e32 v21, 0
	v_lshl_add_u64 v[20:21], v[8:9], 0, v[20:21]
	flat_load_ushort v19, v[20:21]
.LBB2580_31:
	s_or_b64 exec, exec, s[0:1]
	v_or_b32_e32 v21, 0x1800, v0
	v_cmp_gt_u32_e32 vcc, s33, v21
                                        ; implicit-def: $vgpr20
	s_and_saveexec_b64 s[0:1], vcc
	s_cbranch_execz .LBB2580_33
; %bb.32:
	v_lshlrev_b32_e32 v20, 1, v21
	v_mov_b32_e32 v21, 0
	v_lshl_add_u64 v[20:21], v[8:9], 0, v[20:21]
	flat_load_ushort v20, v[20:21]
.LBB2580_33:
	s_or_b64 exec, exec, s[0:1]
	v_or_b32_e32 v22, 0x1a00, v0
	v_cmp_gt_u32_e32 vcc, s33, v22
                                        ; implicit-def: $vgpr21
	s_and_saveexec_b64 s[0:1], vcc
	s_cbranch_execz .LBB2580_35
; %bb.34:
	v_lshlrev_b32_e32 v22, 1, v22
	v_mov_b32_e32 v23, 0
	v_lshl_add_u64 v[22:23], v[8:9], 0, v[22:23]
	flat_load_ushort v21, v[22:23]
.LBB2580_35:
	s_or_b64 exec, exec, s[0:1]
	v_or_b32_e32 v23, 0x1c00, v0
	v_cmp_gt_u32_e32 vcc, s33, v23
                                        ; implicit-def: $vgpr22
	s_and_saveexec_b64 s[0:1], vcc
	s_cbranch_execz .LBB2580_37
; %bb.36:
	v_lshlrev_b32_e32 v22, 1, v23
	v_mov_b32_e32 v23, 0
	v_lshl_add_u64 v[22:23], v[8:9], 0, v[22:23]
	flat_load_ushort v22, v[22:23]
.LBB2580_37:
	s_or_b64 exec, exec, s[0:1]
	v_or_b32_e32 v24, 0x1e00, v0
	v_cmp_gt_u32_e32 vcc, s33, v24
                                        ; implicit-def: $vgpr23
	s_and_saveexec_b64 s[0:1], vcc
	s_cbranch_execz .LBB2580_39
; %bb.38:
	v_lshlrev_b32_e32 v24, 1, v24
	v_mov_b32_e32 v25, 0
	v_lshl_add_u64 v[24:25], v[8:9], 0, v[24:25]
	flat_load_ushort v23, v[24:25]
.LBB2580_39:
	s_or_b64 exec, exec, s[0:1]
	v_or_b32_e32 v25, 0x2000, v0
	v_cmp_gt_u32_e32 vcc, s33, v25
                                        ; implicit-def: $vgpr24
	s_and_saveexec_b64 s[0:1], vcc
	s_cbranch_execz .LBB2580_41
; %bb.40:
	v_lshlrev_b32_e32 v24, 1, v25
	v_mov_b32_e32 v25, 0
	v_lshl_add_u64 v[24:25], v[8:9], 0, v[24:25]
	flat_load_ushort v24, v[24:25]
.LBB2580_41:
	s_or_b64 exec, exec, s[0:1]
	v_or_b32_e32 v26, 0x2200, v0
	v_cmp_gt_u32_e32 vcc, s33, v26
                                        ; implicit-def: $vgpr25
	s_and_saveexec_b64 s[0:1], vcc
	s_cbranch_execz .LBB2580_43
; %bb.42:
	v_lshlrev_b32_e32 v26, 1, v26
	v_mov_b32_e32 v27, 0
	v_lshl_add_u64 v[26:27], v[8:9], 0, v[26:27]
	flat_load_ushort v25, v[26:27]
.LBB2580_43:
	s_or_b64 exec, exec, s[0:1]
	v_or_b32_e32 v27, 0x2400, v0
	v_cmp_gt_u32_e32 vcc, s33, v27
                                        ; implicit-def: $vgpr26
	s_and_saveexec_b64 s[0:1], vcc
	s_cbranch_execz .LBB2580_45
; %bb.44:
	v_lshlrev_b32_e32 v26, 1, v27
	v_mov_b32_e32 v27, 0
	v_lshl_add_u64 v[26:27], v[8:9], 0, v[26:27]
	flat_load_ushort v26, v[26:27]
.LBB2580_45:
	s_or_b64 exec, exec, s[0:1]
	v_or_b32_e32 v28, 0x2600, v0
	v_cmp_gt_u32_e32 vcc, s33, v28
                                        ; implicit-def: $vgpr27
	s_and_saveexec_b64 s[0:1], vcc
	s_cbranch_execz .LBB2580_47
; %bb.46:
	v_lshlrev_b32_e32 v28, 1, v28
	v_mov_b32_e32 v29, 0
	v_lshl_add_u64 v[28:29], v[8:9], 0, v[28:29]
	flat_load_ushort v27, v[28:29]
.LBB2580_47:
	s_or_b64 exec, exec, s[0:1]
	v_or_b32_e32 v29, 0x2800, v0
	v_cmp_gt_u32_e32 vcc, s33, v29
                                        ; implicit-def: $vgpr28
	s_and_saveexec_b64 s[0:1], vcc
	s_cbranch_execz .LBB2580_49
; %bb.48:
	v_lshlrev_b32_e32 v28, 1, v29
	v_mov_b32_e32 v29, 0
	v_lshl_add_u64 v[28:29], v[8:9], 0, v[28:29]
	flat_load_ushort v28, v[28:29]
.LBB2580_49:
	s_or_b64 exec, exec, s[0:1]
	v_or_b32_e32 v30, 0x2a00, v0
	v_cmp_gt_u32_e32 vcc, s33, v30
                                        ; implicit-def: $vgpr29
	s_and_saveexec_b64 s[0:1], vcc
	s_cbranch_execz .LBB2580_51
; %bb.50:
	v_lshlrev_b32_e32 v30, 1, v30
	v_mov_b32_e32 v31, 0
	v_lshl_add_u64 v[30:31], v[8:9], 0, v[30:31]
	flat_load_ushort v29, v[30:31]
.LBB2580_51:
	s_or_b64 exec, exec, s[0:1]
	v_or_b32_e32 v31, 0x2c00, v0
	v_cmp_gt_u32_e32 vcc, s33, v31
                                        ; implicit-def: $vgpr30
	s_and_saveexec_b64 s[0:1], vcc
	s_cbranch_execz .LBB2580_53
; %bb.52:
	v_lshlrev_b32_e32 v30, 1, v31
	v_mov_b32_e32 v31, 0
	v_lshl_add_u64 v[30:31], v[8:9], 0, v[30:31]
	flat_load_ushort v30, v[30:31]
.LBB2580_53:
	s_or_b64 exec, exec, s[0:1]
	v_or_b32_e32 v32, 0x2e00, v0
	v_cmp_gt_u32_e32 vcc, s33, v32
                                        ; implicit-def: $vgpr31
	s_and_saveexec_b64 s[0:1], vcc
	s_cbranch_execz .LBB2580_55
; %bb.54:
	v_lshlrev_b32_e32 v32, 1, v32
	v_mov_b32_e32 v33, 0
	v_lshl_add_u64 v[32:33], v[8:9], 0, v[32:33]
	flat_load_ushort v31, v[32:33]
.LBB2580_55:
	s_or_b64 exec, exec, s[0:1]
	v_or_b32_e32 v33, 0x3000, v0
	v_cmp_gt_u32_e32 vcc, s33, v33
                                        ; implicit-def: $vgpr32
	s_and_saveexec_b64 s[0:1], vcc
	s_cbranch_execz .LBB2580_57
; %bb.56:
	v_lshlrev_b32_e32 v32, 1, v33
	v_mov_b32_e32 v33, 0
	v_lshl_add_u64 v[32:33], v[8:9], 0, v[32:33]
	flat_load_ushort v32, v[32:33]
.LBB2580_57:
	s_or_b64 exec, exec, s[0:1]
	v_or_b32_e32 v34, 0x3200, v0
	v_cmp_gt_u32_e32 vcc, s33, v34
                                        ; implicit-def: $vgpr33
	s_and_saveexec_b64 s[0:1], vcc
	s_cbranch_execz .LBB2580_59
; %bb.58:
	v_lshlrev_b32_e32 v34, 1, v34
	v_mov_b32_e32 v35, 0
	v_lshl_add_u64 v[34:35], v[8:9], 0, v[34:35]
	flat_load_ushort v33, v[34:35]
.LBB2580_59:
	s_or_b64 exec, exec, s[0:1]
	v_or_b32_e32 v35, 0x3400, v0
	v_cmp_gt_u32_e32 vcc, s33, v35
                                        ; implicit-def: $vgpr34
	s_and_saveexec_b64 s[0:1], vcc
	s_cbranch_execz .LBB2580_61
; %bb.60:
	v_lshlrev_b32_e32 v34, 1, v35
	v_mov_b32_e32 v35, 0
	v_lshl_add_u64 v[34:35], v[8:9], 0, v[34:35]
	flat_load_ushort v34, v[34:35]
.LBB2580_61:
	s_or_b64 exec, exec, s[0:1]
	v_or_b32_e32 v36, 0x3600, v0
	v_cmp_gt_u32_e32 vcc, s33, v36
                                        ; implicit-def: $vgpr35
	s_and_saveexec_b64 s[0:1], vcc
	s_cbranch_execz .LBB2580_63
; %bb.62:
	v_lshlrev_b32_e32 v36, 1, v36
	v_mov_b32_e32 v37, 0
	v_lshl_add_u64 v[36:37], v[8:9], 0, v[36:37]
	flat_load_ushort v35, v[36:37]
.LBB2580_63:
	s_or_b64 exec, exec, s[0:1]
	v_or_b32_e32 v37, 0x3800, v0
	v_cmp_gt_u32_e32 vcc, s33, v37
                                        ; implicit-def: $vgpr36
	s_and_saveexec_b64 s[0:1], vcc
	s_cbranch_execz .LBB2580_65
; %bb.64:
	v_lshlrev_b32_e32 v36, 1, v37
	v_mov_b32_e32 v37, 0
	v_lshl_add_u64 v[36:37], v[8:9], 0, v[36:37]
	flat_load_ushort v36, v[36:37]
.LBB2580_65:
	s_or_b64 exec, exec, s[0:1]
	v_or_b32_e32 v38, 0x3a00, v0
	v_cmp_gt_u32_e32 vcc, s33, v38
                                        ; implicit-def: $vgpr37
	s_and_saveexec_b64 s[0:1], vcc
	s_cbranch_execz .LBB2580_67
; %bb.66:
	v_lshlrev_b32_e32 v38, 1, v38
	v_mov_b32_e32 v39, 0
	v_lshl_add_u64 v[8:9], v[8:9], 0, v[38:39]
	flat_load_ushort v37, v[8:9]
.LBB2580_67:
	s_or_b64 exec, exec, s[0:1]
	s_waitcnt vmcnt(0) lgkmcnt(0)
	ds_write_b16 v2, v1
	ds_write_b16 v2, v10 offset:1024
	ds_write_b16 v2, v11 offset:2048
	;; [unrolled: 1-line block ×29, first 2 shown]
	s_waitcnt lgkmcnt(0)
	s_barrier
.LBB2580_68:
	v_mul_u32_u24_e32 v44, 30, v0
	v_lshlrev_b32_e32 v8, 1, v44
	ds_read_b32 v3, v8 offset:56
	ds_read2_b32 v[10:11], v8 offset0:12 offset1:13
	ds_read2_b32 v[12:13], v8 offset0:10 offset1:11
	;; [unrolled: 1-line block ×3, first 2 shown]
	ds_read2_b32 v[22:23], v8 offset1:1
	ds_read2_b32 v[20:21], v8 offset0:2 offset1:3
	ds_read2_b32 v[18:19], v8 offset0:4 offset1:5
	;; [unrolled: 1-line block ×3, first 2 shown]
	s_waitcnt lgkmcnt(7)
	v_lshrrev_b32_e32 v1, 16, v3
	s_waitcnt lgkmcnt(6)
	v_lshrrev_b32_e32 v33, 16, v10
	v_lshrrev_b32_e32 v32, 16, v11
	s_waitcnt lgkmcnt(5)
	v_lshrrev_b32_e32 v35, 16, v12
	;; [unrolled: 3-line block ×6, first 2 shown]
	v_lshrrev_b32_e32 v38, 16, v17
	v_lshrrev_b32_e32 v37, 16, v14
	;; [unrolled: 1-line block ×3, first 2 shown]
	v_cndmask_b32_e64 v8, 0, 1, s[4:5]
	v_cmp_ne_u32_e64 s[2:3], 1, v8
	s_andn2_b64 vcc, exec, s[4:5]
	v_xor_b32_e32 v96, -1, v22
	v_xor_b32_e32 v95, -1, v46
	;; [unrolled: 1-line block ×30, first 2 shown]
	s_barrier
	s_cbranch_vccnz .LBB2580_70
; %bb.69:
	v_and_b32_e32 v76, 1, v96
	v_and_b32_e32 v75, 1, v95
	;; [unrolled: 1-line block ×30, first 2 shown]
	s_cbranch_execz .LBB2580_71
	s_branch .LBB2580_72
.LBB2580_70:
                                        ; implicit-def: $vgpr76
                                        ; implicit-def: $vgpr75
                                        ; implicit-def: $vgpr74
                                        ; implicit-def: $vgpr73
                                        ; implicit-def: $vgpr72
                                        ; implicit-def: $vgpr71
                                        ; implicit-def: $vgpr70
                                        ; implicit-def: $vgpr69
                                        ; implicit-def: $vgpr68
                                        ; implicit-def: $vgpr67
                                        ; implicit-def: $vgpr66
                                        ; implicit-def: $vgpr65
                                        ; implicit-def: $vgpr64
                                        ; implicit-def: $vgpr63
                                        ; implicit-def: $vgpr62
                                        ; implicit-def: $vgpr61
                                        ; implicit-def: $vgpr60
                                        ; implicit-def: $vgpr59
                                        ; implicit-def: $vgpr58
                                        ; implicit-def: $vgpr57
                                        ; implicit-def: $vgpr56
                                        ; implicit-def: $vgpr55
                                        ; implicit-def: $vgpr54
                                        ; implicit-def: $vgpr53
                                        ; implicit-def: $vgpr52
                                        ; implicit-def: $vgpr51
                                        ; implicit-def: $vgpr50
                                        ; implicit-def: $vgpr49
                                        ; implicit-def: $vgpr47
                                        ; implicit-def: $vgpr48
.LBB2580_71:
	v_or_b32_e32 v56, 1, v44
	v_cmp_gt_u32_e32 vcc, s33, v44
	v_add_u32_e32 v57, 2, v44
	v_add_u32_e32 v58, 3, v44
	v_cndmask_b32_e64 v66, 0, 1, vcc
	v_cmp_gt_u32_e32 vcc, s33, v56
	v_add_u32_e32 v59, 4, v44
	v_add_u32_e32 v60, 5, v44
	v_cndmask_b32_e64 v56, 0, 1, vcc
	v_cmp_gt_u32_e32 vcc, s33, v57
	v_and_b32_e32 v75, v56, v95
	v_add_u32_e32 v61, 6, v44
	v_cndmask_b32_e64 v56, 0, 1, vcc
	v_cmp_gt_u32_e32 vcc, s33, v58
	v_and_b32_e32 v74, v56, v94
	;; [unrolled: 4-line block ×9, first 2 shown]
	v_and_b32_e32 v76, v66, v96
	v_cndmask_b32_e64 v56, 0, 1, vcc
	v_cmp_gt_u32_e32 vcc, s33, v97
	v_and_b32_e32 v66, v56, v86
	v_add_u32_e32 v100, 14, v44
	v_cndmask_b32_e64 v56, 0, 1, vcc
	v_cmp_gt_u32_e32 vcc, s33, v98
	v_and_b32_e32 v65, v56, v85
	v_add_u32_e32 v101, 15, v44
	;; [unrolled: 4-line block ×16, first 2 shown]
	v_cndmask_b32_e64 v26, 0, 1, vcc
	v_cmp_gt_u32_e32 vcc, s33, v49
	v_and_b32_e32 v50, v26, v25
	s_nop 0
	v_cndmask_b32_e64 v25, 0, 1, vcc
	v_cmp_gt_u32_e32 vcc, s33, v47
	v_and_b32_e32 v49, v25, v24
	s_nop 0
	;; [unrolled: 4-line block ×3, first 2 shown]
	v_cndmask_b32_e64 v9, 0, 1, vcc
	v_and_b32_e32 v48, v9, v8
.LBB2580_72:
	v_and_b32_e32 v103, 0xff, v50
	v_and_b32_e32 v104, 0xff, v49
	v_add_u32_sdwa v8, v47, v48 dst_sel:DWORD dst_unused:UNUSED_PAD src0_sel:BYTE_0 src1_sel:BYTE_0
	v_and_b32_e32 v101, 0xff, v52
	v_and_b32_e32 v102, 0xff, v51
	v_add3_u32 v8, v8, v104, v103
	v_and_b32_e32 v99, 0xff, v54
	v_and_b32_e32 v100, 0xff, v53
	v_add3_u32 v8, v8, v102, v101
	;; [unrolled: 3-line block ×13, first 2 shown]
	v_add3_u32 v107, v8, v78, v77
	v_mbcnt_lo_u32_b32 v8, -1, 0
	v_mbcnt_hi_u32_b32 v105, -1, v8
	v_and_b32_e32 v8, 15, v105
	v_cmp_eq_u32_e64 s[16:17], 0, v8
	v_cmp_lt_u32_e64 s[14:15], 1, v8
	v_cmp_lt_u32_e64 s[12:13], 3, v8
	;; [unrolled: 1-line block ×3, first 2 shown]
	v_and_b32_e32 v8, 16, v105
	v_cmp_eq_u32_e64 s[8:9], 0, v8
	v_or_b32_e32 v8, 63, v0
	s_cmp_lg_u32 s38, 0
	v_cmp_lt_u32_e64 s[4:5], 31, v105
	v_lshrrev_b32_e32 v106, 6, v0
	v_cmp_eq_u32_e64 s[6:7], v8, v0
	s_cbranch_scc0 .LBB2580_99
; %bb.73:
	v_mov_b32_dpp v8, v107 row_shr:1 row_mask:0xf bank_mask:0xf
	v_cndmask_b32_e64 v8, v8, 0, s[16:17]
	v_add_u32_e32 v8, v8, v107
	s_nop 1
	v_mov_b32_dpp v9, v8 row_shr:2 row_mask:0xf bank_mask:0xf
	v_cndmask_b32_e64 v9, 0, v9, s[14:15]
	v_add_u32_e32 v8, v8, v9
	s_nop 1
	;; [unrolled: 4-line block ×4, first 2 shown]
	v_mov_b32_dpp v9, v8 row_bcast:15 row_mask:0xf bank_mask:0xf
	v_cndmask_b32_e64 v9, v9, 0, s[8:9]
	v_add_u32_e32 v8, v8, v9
	s_nop 1
	v_mov_b32_dpp v9, v8 row_bcast:31 row_mask:0xf bank_mask:0xf
	v_cndmask_b32_e64 v9, 0, v9, s[4:5]
	v_add_u32_e32 v8, v8, v9
	s_and_saveexec_b64 s[0:1], s[6:7]
	s_cbranch_execz .LBB2580_75
; %bb.74:
	v_lshlrev_b32_e32 v9, 2, v106
	ds_write_b32 v9, v8
.LBB2580_75:
	s_or_b64 exec, exec, s[0:1]
	v_cmp_gt_u32_e32 vcc, 8, v0
	s_waitcnt lgkmcnt(0)
	s_barrier
	s_and_saveexec_b64 s[0:1], vcc
	s_cbranch_execz .LBB2580_77
; %bb.76:
	v_lshlrev_b32_e32 v9, 2, v0
	ds_read_b32 v24, v9
	v_and_b32_e32 v25, 7, v105
	v_cmp_ne_u32_e32 vcc, 0, v25
	s_waitcnt lgkmcnt(0)
	v_mov_b32_dpp v26, v24 row_shr:1 row_mask:0xf bank_mask:0xf
	v_cndmask_b32_e32 v26, 0, v26, vcc
	v_add_u32_e32 v24, v26, v24
	v_cmp_lt_u32_e32 vcc, 1, v25
	s_nop 0
	v_mov_b32_dpp v26, v24 row_shr:2 row_mask:0xf bank_mask:0xf
	v_cndmask_b32_e32 v26, 0, v26, vcc
	v_add_u32_e32 v24, v24, v26
	v_cmp_lt_u32_e32 vcc, 3, v25
	s_nop 0
	v_mov_b32_dpp v26, v24 row_shr:4 row_mask:0xf bank_mask:0xf
	v_cndmask_b32_e32 v25, 0, v26, vcc
	v_add_u32_e32 v24, v24, v25
	ds_write_b32 v9, v24
.LBB2580_77:
	s_or_b64 exec, exec, s[0:1]
	v_cmp_gt_u32_e32 vcc, 64, v0
	v_cmp_lt_u32_e64 s[0:1], 63, v0
	s_waitcnt lgkmcnt(0)
	s_barrier
	s_waitcnt lgkmcnt(0)
                                        ; implicit-def: $vgpr108
	s_and_saveexec_b64 s[18:19], s[0:1]
	s_cbranch_execz .LBB2580_79
; %bb.78:
	v_lshl_add_u32 v9, v106, 2, -4
	ds_read_b32 v108, v9
	s_waitcnt lgkmcnt(0)
	v_add_u32_e32 v8, v108, v8
.LBB2580_79:
	s_or_b64 exec, exec, s[18:19]
	v_add_u32_e32 v9, -1, v105
	v_and_b32_e32 v24, 64, v105
	v_cmp_lt_i32_e64 s[0:1], v9, v24
	v_cmp_eq_u32_e64 s[18:19], 0, v105
	s_nop 0
	v_cndmask_b32_e64 v9, v9, v105, s[0:1]
	v_lshlrev_b32_e32 v9, 2, v9
	ds_bpermute_b32 v109, v9, v8
	s_and_saveexec_b64 s[0:1], vcc
	s_cbranch_execz .LBB2580_98
; %bb.80:
	v_mov_b32_e32 v29, 0
	ds_read_b32 v8, v29 offset:28
	s_and_saveexec_b64 s[26:27], s[18:19]
	s_cbranch_execz .LBB2580_82
; %bb.81:
	s_add_i32 s28, s38, 64
	s_mov_b32 s29, 0
	s_lshl_b64 s[28:29], s[28:29], 3
	s_add_u32 s28, s36, s28
	v_mov_b32_e32 v9, 1
	s_addc_u32 s29, s37, s29
	s_waitcnt lgkmcnt(0)
	global_store_dwordx2 v29, v[8:9], s[28:29] sc1
.LBB2580_82:
	s_or_b64 exec, exec, s[26:27]
	v_xad_u32 v24, v105, -1, s38
	v_add_u32_e32 v28, 64, v24
	v_lshl_add_u64 v[30:31], v[28:29], 3, s[36:37]
	global_load_dwordx2 v[26:27], v[30:31], off sc1
	s_waitcnt vmcnt(0)
	v_cmp_eq_u16_sdwa s[28:29], v27, v29 src0_sel:BYTE_0 src1_sel:DWORD
	s_and_saveexec_b64 s[26:27], s[28:29]
	s_cbranch_execz .LBB2580_86
; %bb.83:
	s_mov_b64 s[28:29], 0
	v_mov_b32_e32 v9, 0
.LBB2580_84:                            ; =>This Inner Loop Header: Depth=1
	global_load_dwordx2 v[26:27], v[30:31], off sc1
	s_waitcnt vmcnt(0)
	v_cmp_ne_u16_sdwa s[40:41], v27, v9 src0_sel:BYTE_0 src1_sel:DWORD
	s_or_b64 s[28:29], s[40:41], s[28:29]
	s_andn2_b64 exec, exec, s[28:29]
	s_cbranch_execnz .LBB2580_84
; %bb.85:
	s_or_b64 exec, exec, s[28:29]
.LBB2580_86:
	s_or_b64 exec, exec, s[26:27]
	v_and_b32_e32 v111, 63, v105
	v_mov_b32_e32 v110, 2
	v_cmp_ne_u32_e32 vcc, 63, v111
	v_cmp_eq_u16_sdwa s[26:27], v27, v110 src0_sel:BYTE_0 src1_sel:DWORD
	v_lshlrev_b64 v[28:29], v105, -1
	v_addc_co_u32_e32 v30, vcc, 0, v105, vcc
	v_and_b32_e32 v9, s27, v29
	v_lshlrev_b32_e32 v112, 2, v30
	v_or_b32_e32 v9, 0x80000000, v9
	ds_bpermute_b32 v30, v112, v26
	v_and_b32_e32 v25, s26, v28
	v_ffbl_b32_e32 v9, v9
	v_add_u32_e32 v9, 32, v9
	v_ffbl_b32_e32 v25, v25
	v_min_u32_e32 v9, v25, v9
	v_cmp_lt_u32_e32 vcc, v111, v9
	v_add_u32_e32 v114, 2, v111
	v_add_u32_e32 v116, 4, v111
	s_waitcnt lgkmcnt(0)
	v_cndmask_b32_e32 v25, 0, v30, vcc
	v_cmp_gt_u32_e32 vcc, 62, v111
	v_add_u32_e32 v25, v25, v26
	v_add_u32_e32 v118, 8, v111
	v_cndmask_b32_e64 v26, 0, 1, vcc
	v_lshlrev_b32_e32 v26, 1, v26
	v_add_lshl_u32 v113, v26, v105, 2
	ds_bpermute_b32 v26, v113, v25
	v_cmp_le_u32_e32 vcc, v114, v9
	v_add_u32_e32 v120, 16, v111
	v_add_u32_e32 v122, 32, v111
	s_waitcnt lgkmcnt(0)
	v_cndmask_b32_e32 v26, 0, v26, vcc
	v_cmp_gt_u32_e32 vcc, 60, v111
	v_add_u32_e32 v25, v25, v26
	s_nop 0
	v_cndmask_b32_e64 v26, 0, 1, vcc
	v_lshlrev_b32_e32 v26, 2, v26
	v_add_lshl_u32 v115, v26, v105, 2
	ds_bpermute_b32 v26, v115, v25
	v_cmp_le_u32_e32 vcc, v116, v9
	s_waitcnt lgkmcnt(0)
	s_nop 0
	v_cndmask_b32_e32 v26, 0, v26, vcc
	v_cmp_gt_u32_e32 vcc, 56, v111
	v_add_u32_e32 v25, v25, v26
	s_nop 0
	v_cndmask_b32_e64 v26, 0, 1, vcc
	v_lshlrev_b32_e32 v26, 3, v26
	v_add_lshl_u32 v117, v26, v105, 2
	ds_bpermute_b32 v26, v117, v25
	v_cmp_le_u32_e32 vcc, v118, v9
	s_waitcnt lgkmcnt(0)
	s_nop 0
	;; [unrolled: 11-line block ×4, first 2 shown]
	v_cndmask_b32_e32 v9, 0, v26, vcc
	v_add_u32_e32 v26, v25, v9
	v_mov_b32_e32 v25, 0
	s_branch .LBB2580_88
.LBB2580_87:                            ;   in Loop: Header=BB2580_88 Depth=1
	s_or_b64 exec, exec, s[26:27]
	v_cmp_eq_u16_sdwa s[26:27], v27, v110 src0_sel:BYTE_0 src1_sel:DWORD
	ds_bpermute_b32 v123, v112, v26
	v_subrev_u32_e32 v24, 64, v24
	v_and_b32_e32 v30, s27, v29
	v_or_b32_e32 v30, 0x80000000, v30
	v_and_b32_e32 v31, s26, v28
	v_ffbl_b32_e32 v30, v30
	v_add_u32_e32 v30, 32, v30
	v_ffbl_b32_e32 v31, v31
	v_min_u32_e32 v30, v31, v30
	v_cmp_lt_u32_e32 vcc, v111, v30
	s_waitcnt lgkmcnt(0)
	s_nop 0
	v_cndmask_b32_e32 v31, 0, v123, vcc
	v_add_u32_e32 v26, v31, v26
	ds_bpermute_b32 v31, v113, v26
	v_cmp_le_u32_e32 vcc, v114, v30
	s_waitcnt lgkmcnt(0)
	s_nop 0
	v_cndmask_b32_e32 v31, 0, v31, vcc
	v_add_u32_e32 v26, v26, v31
	ds_bpermute_b32 v31, v115, v26
	v_cmp_le_u32_e32 vcc, v116, v30
	;; [unrolled: 6-line block ×5, first 2 shown]
	s_waitcnt lgkmcnt(0)
	s_nop 0
	v_cndmask_b32_e32 v30, 0, v31, vcc
	v_add3_u32 v26, v30, v9, v26
.LBB2580_88:                            ; =>This Loop Header: Depth=1
                                        ;     Child Loop BB2580_91 Depth 2
	v_cmp_ne_u16_sdwa s[26:27], v27, v110 src0_sel:BYTE_0 src1_sel:DWORD
	s_nop 1
	v_cndmask_b32_e64 v9, 0, 1, s[26:27]
	;;#ASMSTART
	;;#ASMEND
	s_nop 0
	v_cmp_ne_u32_e32 vcc, 0, v9
	s_cmp_lg_u64 vcc, exec
	v_mov_b32_e32 v9, v26
	s_cbranch_scc1 .LBB2580_93
; %bb.89:                               ;   in Loop: Header=BB2580_88 Depth=1
	v_lshl_add_u64 v[30:31], v[24:25], 3, s[36:37]
	global_load_dwordx2 v[26:27], v[30:31], off sc1
	s_waitcnt vmcnt(0)
	v_cmp_eq_u16_sdwa s[28:29], v27, v25 src0_sel:BYTE_0 src1_sel:DWORD
	s_and_saveexec_b64 s[26:27], s[28:29]
	s_cbranch_execz .LBB2580_87
; %bb.90:                               ;   in Loop: Header=BB2580_88 Depth=1
	s_mov_b64 s[28:29], 0
.LBB2580_91:                            ;   Parent Loop BB2580_88 Depth=1
                                        ; =>  This Inner Loop Header: Depth=2
	global_load_dwordx2 v[26:27], v[30:31], off sc1
	s_waitcnt vmcnt(0)
	v_cmp_ne_u16_sdwa s[40:41], v27, v25 src0_sel:BYTE_0 src1_sel:DWORD
	s_or_b64 s[28:29], s[40:41], s[28:29]
	s_andn2_b64 exec, exec, s[28:29]
	s_cbranch_execnz .LBB2580_91
; %bb.92:                               ;   in Loop: Header=BB2580_88 Depth=1
	s_or_b64 exec, exec, s[28:29]
	s_branch .LBB2580_87
.LBB2580_93:                            ;   in Loop: Header=BB2580_88 Depth=1
                                        ; implicit-def: $vgpr26
                                        ; implicit-def: $vgpr27
	s_cbranch_execz .LBB2580_88
; %bb.94:
	s_and_saveexec_b64 s[26:27], s[18:19]
	s_cbranch_execz .LBB2580_96
; %bb.95:
	s_add_i32 s28, s38, 64
	s_mov_b32 s29, 0
	s_lshl_b64 s[28:29], s[28:29], 3
	s_add_u32 s28, s36, s28
	v_add_u32_e32 v24, v9, v8
	v_mov_b32_e32 v25, 2
	s_addc_u32 s29, s37, s29
	v_mov_b32_e32 v26, 0
	global_store_dwordx2 v26, v[24:25], s[28:29] sc1
	ds_write_b64 v26, v[8:9] offset:30720
.LBB2580_96:
	s_or_b64 exec, exec, s[26:27]
	s_and_b64 exec, exec, s[20:21]
	s_cbranch_execz .LBB2580_98
; %bb.97:
	v_mov_b32_e32 v8, 0
	ds_write_b32 v8, v9 offset:28
.LBB2580_98:
	s_or_b64 exec, exec, s[0:1]
	v_mov_b32_e32 v8, 0
	s_waitcnt lgkmcnt(0)
	s_barrier
	ds_read_b32 v24, v8 offset:28
	s_waitcnt lgkmcnt(0)
	s_barrier
	ds_read_b64 v[8:9], v8 offset:30720
	v_cndmask_b32_e64 v25, v109, v108, s[18:19]
	v_cndmask_b32_e64 v25, v25, 0, s[20:21]
	v_add_u32_e32 v25, v24, v25
	s_waitcnt lgkmcnt(0)
	v_mov_b32_e32 v24, v9
	s_branch .LBB2580_109
.LBB2580_99:
                                        ; implicit-def: $vgpr24
                                        ; implicit-def: $vgpr8
                                        ; implicit-def: $vgpr25
	s_cbranch_execz .LBB2580_109
; %bb.100:
	s_nop 0
	v_mov_b32_dpp v8, v107 row_shr:1 row_mask:0xf bank_mask:0xf
	v_cndmask_b32_e64 v8, v8, 0, s[16:17]
	v_add_u32_e32 v8, v8, v107
	s_nop 1
	v_mov_b32_dpp v9, v8 row_shr:2 row_mask:0xf bank_mask:0xf
	v_cndmask_b32_e64 v9, 0, v9, s[14:15]
	v_add_u32_e32 v8, v8, v9
	;; [unrolled: 4-line block ×4, first 2 shown]
	s_nop 1
	v_mov_b32_dpp v9, v8 row_bcast:15 row_mask:0xf bank_mask:0xf
	v_cndmask_b32_e64 v9, v9, 0, s[8:9]
	v_add_u32_e32 v8, v8, v9
	s_nop 1
	v_mov_b32_dpp v9, v8 row_bcast:31 row_mask:0xf bank_mask:0xf
	v_cndmask_b32_e64 v9, 0, v9, s[4:5]
	v_add_u32_e32 v8, v8, v9
	s_and_saveexec_b64 s[0:1], s[6:7]
	s_cbranch_execz .LBB2580_102
; %bb.101:
	v_lshlrev_b32_e32 v9, 2, v106
	ds_write_b32 v9, v8
.LBB2580_102:
	s_or_b64 exec, exec, s[0:1]
	v_cmp_gt_u32_e32 vcc, 8, v0
	s_waitcnt lgkmcnt(0)
	s_barrier
	s_and_saveexec_b64 s[0:1], vcc
	s_cbranch_execz .LBB2580_104
; %bb.103:
	v_lshlrev_b32_e32 v9, 2, v0
	ds_read_b32 v24, v9
	v_and_b32_e32 v25, 7, v105
	v_cmp_ne_u32_e32 vcc, 0, v25
	s_waitcnt lgkmcnt(0)
	v_mov_b32_dpp v26, v24 row_shr:1 row_mask:0xf bank_mask:0xf
	v_cndmask_b32_e32 v26, 0, v26, vcc
	v_add_u32_e32 v24, v26, v24
	v_cmp_lt_u32_e32 vcc, 1, v25
	s_nop 0
	v_mov_b32_dpp v26, v24 row_shr:2 row_mask:0xf bank_mask:0xf
	v_cndmask_b32_e32 v26, 0, v26, vcc
	v_add_u32_e32 v24, v24, v26
	v_cmp_lt_u32_e32 vcc, 3, v25
	s_nop 0
	v_mov_b32_dpp v26, v24 row_shr:4 row_mask:0xf bank_mask:0xf
	v_cndmask_b32_e32 v25, 0, v26, vcc
	v_add_u32_e32 v24, v24, v25
	ds_write_b32 v9, v24
.LBB2580_104:
	s_or_b64 exec, exec, s[0:1]
	v_cmp_lt_u32_e32 vcc, 63, v0
	v_mov_b32_e32 v9, 0
	v_mov_b32_e32 v24, 0
	s_waitcnt lgkmcnt(0)
	s_barrier
	s_and_saveexec_b64 s[0:1], vcc
	s_cbranch_execz .LBB2580_106
; %bb.105:
	v_lshl_add_u32 v24, v106, 2, -4
	ds_read_b32 v24, v24
.LBB2580_106:
	s_or_b64 exec, exec, s[0:1]
	v_add_u32_e32 v25, -1, v105
	v_and_b32_e32 v26, 64, v105
	v_cmp_lt_i32_e32 vcc, v25, v26
	s_waitcnt lgkmcnt(0)
	v_add_u32_e32 v8, v24, v8
	v_cndmask_b32_e32 v25, v25, v105, vcc
	v_lshlrev_b32_e32 v25, 2, v25
	ds_bpermute_b32 v25, v25, v8
	ds_read_b32 v8, v9 offset:28
	s_and_saveexec_b64 s[0:1], s[20:21]
	s_cbranch_execz .LBB2580_108
; %bb.107:
	v_mov_b32_e32 v26, 0
	v_mov_b32_e32 v9, 2
	s_waitcnt lgkmcnt(0)
	global_store_dwordx2 v26, v[8:9], s[36:37] offset:512 sc1
.LBB2580_108:
	s_or_b64 exec, exec, s[0:1]
	v_cmp_eq_u32_e32 vcc, 0, v105
	s_waitcnt lgkmcnt(0)
	s_barrier
	v_cndmask_b32_e32 v9, v25, v24, vcc
	v_mov_b32_e32 v24, 0
	v_cndmask_b32_e64 v25, v9, 0, s[20:21]
.LBB2580_109:
	v_add_u32_e32 v9, v25, v77
	v_add_u32_e32 v26, v9, v78
	;; [unrolled: 1-line block ×22, first 2 shown]
	v_sub_u32_e32 v25, v25, v24
	v_and_b32_e32 v76, 1, v76
	v_add_u32_e32 v91, v90, v98
	v_sub_u32_e32 v98, v44, v25
	v_cmp_eq_u32_e32 vcc, 1, v76
	v_sub_u32_e32 v9, v9, v24
	v_add_u32_e32 v92, v91, v99
	v_cndmask_b32_e32 v25, v98, v25, vcc
	v_lshlrev_b32_e32 v25, 1, v25
	ds_write_b16 v25, v22
	v_sub_u32_e32 v22, v44, v9
	v_and_b32_e32 v25, 1, v75
	v_add_u32_e32 v22, 1, v22
	v_cmp_eq_u32_e32 vcc, 1, v25
	v_and_b32_e32 v25, 1, v74
	v_add_u32_e32 v93, v92, v100
	v_cndmask_b32_e32 v9, v22, v9, vcc
	v_lshlrev_b32_e32 v9, 1, v9
	ds_write_b16 v9, v46
	v_sub_u32_e32 v9, v26, v24
	v_sub_u32_e32 v22, v44, v9
	v_add_u32_e32 v22, 2, v22
	v_cmp_eq_u32_e32 vcc, 1, v25
	v_add_u32_e32 v94, v93, v101
	v_add_u32_e32 v95, v94, v102
	v_cndmask_b32_e32 v9, v22, v9, vcc
	v_lshlrev_b32_e32 v9, 1, v9
	ds_write_b16 v9, v23
	v_sub_u32_e32 v9, v27, v24
	v_sub_u32_e32 v22, v44, v9
	v_and_b32_e32 v23, 1, v73
	v_add_u32_e32 v22, 3, v22
	v_cmp_eq_u32_e32 vcc, 1, v23
	v_and_b32_e32 v23, 1, v72
	v_add_u32_e32 v96, v95, v103
	v_cndmask_b32_e32 v9, v22, v9, vcc
	v_lshlrev_b32_e32 v9, 1, v9
	ds_write_b16 v9, v45
	v_sub_u32_e32 v9, v28, v24
	v_sub_u32_e32 v22, v44, v9
	v_add_u32_e32 v22, 4, v22
	v_cmp_eq_u32_e32 vcc, 1, v23
	v_add_u32_e32 v97, v96, v104
	v_mov_b32_e32 v25, 0
	v_cndmask_b32_e32 v9, v22, v9, vcc
	v_lshlrev_b32_e32 v9, 1, v9
	ds_write_b16 v9, v20
	v_sub_u32_e32 v9, v29, v24
	v_sub_u32_e32 v20, v44, v9
	v_and_b32_e32 v22, 1, v71
	v_add_u32_e32 v20, 5, v20
	v_cmp_eq_u32_e32 vcc, 1, v22
	v_and_b32_e32 v22, 1, v70
	v_or_b32_e32 v46, 0x1600, v0
	v_cndmask_b32_e32 v9, v20, v9, vcc
	v_lshlrev_b32_e32 v9, 1, v9
	ds_write_b16 v9, v43
	v_sub_u32_e32 v9, v30, v24
	v_sub_u32_e32 v20, v44, v9
	v_add_u32_e32 v20, 6, v20
	v_cmp_eq_u32_e32 vcc, 1, v22
	v_or_b32_e32 v30, 0x2600, v0
	v_or_b32_e32 v28, 0x2800, v0
	v_cndmask_b32_e32 v9, v20, v9, vcc
	v_lshlrev_b32_e32 v9, 1, v9
	ds_write_b16 v9, v21
	v_sub_u32_e32 v9, v31, v24
	v_sub_u32_e32 v20, v44, v9
	v_and_b32_e32 v21, 1, v69
	v_add_u32_e32 v20, 7, v20
	v_cmp_eq_u32_e32 vcc, 1, v21
	v_and_b32_e32 v21, 1, v68
	v_or_b32_e32 v26, 0x2a00, v0
	v_cndmask_b32_e32 v9, v20, v9, vcc
	v_lshlrev_b32_e32 v9, 1, v9
	ds_write_b16 v9, v42
	v_sub_u32_e32 v9, v77, v24
	v_sub_u32_e32 v20, v44, v9
	v_add_u32_e32 v20, 8, v20
	v_cmp_eq_u32_e32 vcc, 1, v21
	v_or_b32_e32 v42, 0x1a00, v0
	v_or_b32_e32 v22, 0x2c00, v0
	v_cndmask_b32_e32 v9, v20, v9, vcc
	v_lshlrev_b32_e32 v9, 1, v9
	ds_write_b16 v9, v18
	v_sub_u32_e32 v9, v78, v24
	v_sub_u32_e32 v18, v44, v9
	v_and_b32_e32 v20, 1, v67
	v_add_u32_e32 v18, 9, v18
	v_cmp_eq_u32_e32 vcc, 1, v20
	v_and_b32_e32 v20, 1, v66
	v_or_b32_e32 v66, 0x200, v0
	v_cndmask_b32_e32 v9, v18, v9, vcc
	v_lshlrev_b32_e32 v9, 1, v9
	ds_write_b16 v9, v41
	v_sub_u32_e32 v9, v79, v24
	v_sub_u32_e32 v18, v44, v9
	v_add_u32_e32 v18, 10, v18
	v_cmp_eq_u32_e32 vcc, 1, v20
	v_or_b32_e32 v20, 0x2e00, v0
	v_cmp_ge_u32_e64 s[0:1], v0, v8
	v_cndmask_b32_e32 v9, v18, v9, vcc
	v_lshlrev_b32_e32 v9, 1, v9
	ds_write_b16 v9, v19
	v_sub_u32_e32 v9, v80, v24
	v_sub_u32_e32 v18, v44, v9
	v_and_b32_e32 v19, 1, v65
	v_add_u32_e32 v18, 11, v18
	v_cmp_eq_u32_e32 vcc, 1, v19
	v_and_b32_e32 v19, 1, v64
	v_or_b32_e32 v64, 0x400, v0
	v_cndmask_b32_e32 v9, v18, v9, vcc
	v_lshlrev_b32_e32 v9, 1, v9
	ds_write_b16 v9, v40
	v_sub_u32_e32 v9, v81, v24
	v_sub_u32_e32 v18, v44, v9
	v_add_u32_e32 v18, 12, v18
	v_cmp_eq_u32_e32 vcc, 1, v19
	v_or_b32_e32 v40, 0x1c00, v0
	s_nop 0
	v_cndmask_b32_e32 v9, v18, v9, vcc
	v_lshlrev_b32_e32 v9, 1, v9
	ds_write_b16 v9, v16
	v_sub_u32_e32 v9, v82, v24
	v_sub_u32_e32 v16, v44, v9
	v_and_b32_e32 v18, 1, v63
	v_add_u32_e32 v16, 13, v16
	v_cmp_eq_u32_e32 vcc, 1, v18
	v_and_b32_e32 v18, 1, v62
	v_or_b32_e32 v62, 0x600, v0
	v_cndmask_b32_e32 v9, v16, v9, vcc
	v_lshlrev_b32_e32 v9, 1, v9
	ds_write_b16 v9, v39
	v_sub_u32_e32 v9, v83, v24
	v_sub_u32_e32 v16, v44, v9
	v_add_u32_e32 v16, 14, v16
	v_cmp_eq_u32_e32 vcc, 1, v18
	v_or_b32_e32 v18, 0x3000, v0
	s_nop 0
	v_cndmask_b32_e32 v9, v16, v9, vcc
	v_lshlrev_b32_e32 v9, 1, v9
	ds_write_b16 v9, v17
	v_sub_u32_e32 v9, v84, v24
	v_sub_u32_e32 v16, v44, v9
	v_and_b32_e32 v17, 1, v61
	v_add_u32_e32 v16, 15, v16
	v_cmp_eq_u32_e32 vcc, 1, v17
	v_and_b32_e32 v17, 1, v60
	v_or_b32_e32 v60, 0x800, v0
	v_cndmask_b32_e32 v9, v16, v9, vcc
	v_lshlrev_b32_e32 v9, 1, v9
	ds_write_b16 v9, v38
	v_sub_u32_e32 v9, v85, v24
	v_sub_u32_e32 v16, v44, v9
	v_add_u32_e32 v16, 16, v16
	v_cmp_eq_u32_e32 vcc, 1, v17
	s_nop 1
	v_cndmask_b32_e32 v9, v16, v9, vcc
	v_lshlrev_b32_e32 v9, 1, v9
	ds_write_b16 v9, v14
	v_sub_u32_e32 v9, v86, v24
	v_sub_u32_e32 v14, v44, v9
	v_and_b32_e32 v16, 1, v59
	v_add_u32_e32 v14, 17, v14
	v_cmp_eq_u32_e32 vcc, 1, v16
	v_and_b32_e32 v16, 1, v58
	v_or_b32_e32 v58, 0xa00, v0
	v_cndmask_b32_e32 v9, v14, v9, vcc
	v_lshlrev_b32_e32 v9, 1, v9
	ds_write_b16 v9, v37
	v_sub_u32_e32 v9, v87, v24
	v_sub_u32_e32 v14, v44, v9
	v_add_u32_e32 v14, 18, v14
	v_cmp_eq_u32_e32 vcc, 1, v16
	v_or_b32_e32 v37, 0x1e00, v0
	v_or_b32_e32 v16, 0x3200, v0
	v_cndmask_b32_e32 v9, v14, v9, vcc
	v_lshlrev_b32_e32 v9, 1, v9
	ds_write_b16 v9, v15
	v_sub_u32_e32 v9, v88, v24
	v_sub_u32_e32 v14, v44, v9
	v_and_b32_e32 v15, 1, v57
	v_add_u32_e32 v14, 19, v14
	v_cmp_eq_u32_e32 vcc, 1, v15
	v_and_b32_e32 v15, 1, v56
	v_or_b32_e32 v56, 0xc00, v0
	v_cndmask_b32_e32 v9, v14, v9, vcc
	v_lshlrev_b32_e32 v9, 1, v9
	ds_write_b16 v9, v36
	v_sub_u32_e32 v9, v89, v24
	v_sub_u32_e32 v14, v44, v9
	v_add_u32_e32 v14, 20, v14
	v_cmp_eq_u32_e32 vcc, 1, v15
	v_or_b32_e32 v36, 0x2000, v0
	s_nop 0
	v_cndmask_b32_e32 v9, v14, v9, vcc
	v_lshlrev_b32_e32 v9, 1, v9
	ds_write_b16 v9, v12
	v_sub_u32_e32 v9, v90, v24
	v_sub_u32_e32 v12, v44, v9
	v_and_b32_e32 v14, 1, v55
	v_add_u32_e32 v12, 21, v12
	v_cmp_eq_u32_e32 vcc, 1, v14
	v_and_b32_e32 v14, 1, v54
	s_nop 0
	v_cndmask_b32_e32 v9, v12, v9, vcc
	v_lshlrev_b32_e32 v9, 1, v9
	ds_write_b16 v9, v35
	v_sub_u32_e32 v9, v91, v24
	v_sub_u32_e32 v12, v44, v9
	v_add_u32_e32 v12, 22, v12
	v_cmp_eq_u32_e32 vcc, 1, v14
	v_or_b32_e32 v14, 0x3400, v0
	s_nop 0
	v_cndmask_b32_e32 v9, v12, v9, vcc
	v_lshlrev_b32_e32 v9, 1, v9
	ds_write_b16 v9, v13
	v_sub_u32_e32 v9, v92, v24
	v_sub_u32_e32 v12, v44, v9
	v_and_b32_e32 v13, 1, v53
	v_add_u32_e32 v12, 23, v12
	v_cmp_eq_u32_e32 vcc, 1, v13
	v_and_b32_e32 v13, 1, v52
	v_or_b32_e32 v53, 0xe00, v0
	v_cndmask_b32_e32 v9, v12, v9, vcc
	v_lshlrev_b32_e32 v9, 1, v9
	ds_write_b16 v9, v34
	v_sub_u32_e32 v9, v93, v24
	v_sub_u32_e32 v12, v44, v9
	v_add_u32_e32 v12, 24, v12
	v_cmp_eq_u32_e32 vcc, 1, v13
	v_or_b32_e32 v52, 0x1000, v0
	v_or_b32_e32 v34, 0x2200, v0
	v_cndmask_b32_e32 v9, v12, v9, vcc
	v_lshlrev_b32_e32 v9, 1, v9
	ds_write_b16 v9, v10
	v_sub_u32_e32 v9, v94, v24
	v_sub_u32_e32 v10, v44, v9
	v_and_b32_e32 v12, 1, v51
	v_add_u32_e32 v10, 25, v10
	v_cmp_eq_u32_e32 vcc, 1, v12
	v_and_b32_e32 v12, 1, v50
	v_or_b32_e32 v50, 0x1200, v0
	v_cndmask_b32_e32 v9, v10, v9, vcc
	v_lshlrev_b32_e32 v9, 1, v9
	ds_write_b16 v9, v33
	v_sub_u32_e32 v9, v95, v24
	v_sub_u32_e32 v10, v44, v9
	v_add_u32_e32 v10, 26, v10
	v_cmp_eq_u32_e32 vcc, 1, v12
	v_or_b32_e32 v12, 0x3600, v0
	s_nop 0
	v_cndmask_b32_e32 v9, v10, v9, vcc
	v_lshlrev_b32_e32 v9, 1, v9
	ds_write_b16 v9, v11
	v_sub_u32_e32 v9, v96, v24
	v_sub_u32_e32 v10, v44, v9
	v_and_b32_e32 v11, 1, v49
	v_add_u32_e32 v10, 27, v10
	v_cmp_eq_u32_e32 vcc, 1, v11
	v_and_b32_e32 v11, 1, v47
	s_nop 0
	v_cndmask_b32_e32 v9, v10, v9, vcc
	v_lshlrev_b32_e32 v9, 1, v9
	ds_write_b16 v9, v32
	v_sub_u32_e32 v9, v97, v24
	v_sub_u32_e32 v10, v44, v9
	v_add_u32_e32 v10, 28, v10
	v_cmp_eq_u32_e32 vcc, 1, v11
	v_or_b32_e32 v32, 0x2400, v0
	s_nop 0
	v_cndmask_b32_e32 v9, v10, v9, vcc
	v_lshlrev_b32_e32 v9, 1, v9
	ds_write_b16 v9, v3
	v_sub_u32_sdwa v3, v47, v24 dst_sel:DWORD dst_unused:UNUSED_PAD src0_sel:BYTE_0 src1_sel:DWORD
	v_add_u32_e32 v3, v97, v3
	v_sub_u32_e32 v9, v44, v3
	v_and_b32_e32 v10, 1, v48
	v_add_u32_e32 v9, 29, v9
	v_cmp_eq_u32_e32 vcc, 1, v10
	v_or_b32_e32 v48, 0x1400, v0
	v_or_b32_e32 v44, 0x1800, v0
	v_cndmask_b32_e32 v3, v9, v3, vcc
	v_lshlrev_b32_e32 v3, 1, v3
	ds_write_b16 v3, v1
	s_waitcnt lgkmcnt(0)
	s_barrier
	ds_read_u16 v68, v2
	ds_read_u16 v67, v2 offset:1024
	ds_read_u16 v65, v2 offset:2048
	;; [unrolled: 1-line block ×29, first 2 shown]
	v_mov_b32_e32 v9, v25
	s_waitcnt vmcnt(0)
	v_lshl_add_u64 v[4:5], v[4:5], 0, v[8:9]
	v_lshl_add_u64 v[4:5], v[4:5], 0, v[24:25]
	v_mov_b32_e32 v9, s31
	v_sub_co_u32_e32 v24, vcc, s30, v4
	v_or_b32_e32 v10, 0x3800, v0
	s_nop 0
	v_subb_co_u32_e32 v25, vcc, v9, v5, vcc
	v_lshlrev_b64 v[24:25], 1, v[24:25]
	v_lshl_add_u64 v[24:25], s[34:35], 0, v[24:25]
	v_or_b32_e32 v1, 0x3a00, v0
	v_lshl_add_u64 v[6:7], v[24:25], 0, v[6:7]
	s_and_b64 vcc, exec, s[2:3]
	s_cbranch_vccnz .LBB2580_141
; %bb.110:
	s_and_saveexec_b64 s[2:3], s[0:1]
	s_cbranch_execnz .LBB2580_206
; %bb.111:
	s_or_b64 exec, exec, s[2:3]
	v_cmp_ge_u32_e32 vcc, v66, v8
	s_and_saveexec_b64 s[0:1], vcc
	s_cbranch_execnz .LBB2580_207
.LBB2580_112:
	s_or_b64 exec, exec, s[0:1]
	v_cmp_ge_u32_e32 vcc, v64, v8
	s_and_saveexec_b64 s[0:1], vcc
	s_cbranch_execnz .LBB2580_208
.LBB2580_113:
	s_or_b64 exec, exec, s[0:1]
	v_cmp_ge_u32_e32 vcc, v62, v8
	s_and_saveexec_b64 s[0:1], vcc
	s_cbranch_execnz .LBB2580_209
.LBB2580_114:
	s_or_b64 exec, exec, s[0:1]
	v_cmp_ge_u32_e32 vcc, v60, v8
	s_and_saveexec_b64 s[0:1], vcc
	s_cbranch_execnz .LBB2580_210
.LBB2580_115:
	s_or_b64 exec, exec, s[0:1]
	v_cmp_ge_u32_e32 vcc, v58, v8
	s_and_saveexec_b64 s[0:1], vcc
	s_cbranch_execnz .LBB2580_211
.LBB2580_116:
	s_or_b64 exec, exec, s[0:1]
	v_cmp_ge_u32_e32 vcc, v56, v8
	s_and_saveexec_b64 s[0:1], vcc
	s_cbranch_execnz .LBB2580_212
.LBB2580_117:
	s_or_b64 exec, exec, s[0:1]
	v_cmp_ge_u32_e32 vcc, v53, v8
	s_and_saveexec_b64 s[0:1], vcc
	s_cbranch_execnz .LBB2580_213
.LBB2580_118:
	s_or_b64 exec, exec, s[0:1]
	v_cmp_ge_u32_e32 vcc, v52, v8
	s_and_saveexec_b64 s[0:1], vcc
	s_cbranch_execnz .LBB2580_214
.LBB2580_119:
	s_or_b64 exec, exec, s[0:1]
	v_cmp_ge_u32_e32 vcc, v50, v8
	s_and_saveexec_b64 s[0:1], vcc
	s_cbranch_execnz .LBB2580_215
.LBB2580_120:
	s_or_b64 exec, exec, s[0:1]
	v_cmp_ge_u32_e32 vcc, v48, v8
	s_and_saveexec_b64 s[0:1], vcc
	s_cbranch_execnz .LBB2580_216
.LBB2580_121:
	s_or_b64 exec, exec, s[0:1]
	v_cmp_ge_u32_e32 vcc, v46, v8
	s_and_saveexec_b64 s[0:1], vcc
	s_cbranch_execnz .LBB2580_217
.LBB2580_122:
	s_or_b64 exec, exec, s[0:1]
	v_cmp_ge_u32_e32 vcc, v44, v8
	s_and_saveexec_b64 s[0:1], vcc
	s_cbranch_execnz .LBB2580_218
.LBB2580_123:
	s_or_b64 exec, exec, s[0:1]
	v_cmp_ge_u32_e32 vcc, v42, v8
	s_and_saveexec_b64 s[0:1], vcc
	s_cbranch_execnz .LBB2580_219
.LBB2580_124:
	s_or_b64 exec, exec, s[0:1]
	v_cmp_ge_u32_e32 vcc, v40, v8
	s_and_saveexec_b64 s[0:1], vcc
	s_cbranch_execnz .LBB2580_220
.LBB2580_125:
	s_or_b64 exec, exec, s[0:1]
	v_cmp_ge_u32_e32 vcc, v37, v8
	s_and_saveexec_b64 s[0:1], vcc
	s_cbranch_execnz .LBB2580_221
.LBB2580_126:
	s_or_b64 exec, exec, s[0:1]
	v_cmp_ge_u32_e32 vcc, v36, v8
	s_and_saveexec_b64 s[0:1], vcc
	s_cbranch_execnz .LBB2580_222
.LBB2580_127:
	s_or_b64 exec, exec, s[0:1]
	v_cmp_ge_u32_e32 vcc, v34, v8
	s_and_saveexec_b64 s[0:1], vcc
	s_cbranch_execnz .LBB2580_223
.LBB2580_128:
	s_or_b64 exec, exec, s[0:1]
	v_cmp_ge_u32_e32 vcc, v32, v8
	s_and_saveexec_b64 s[0:1], vcc
	s_cbranch_execnz .LBB2580_224
.LBB2580_129:
	s_or_b64 exec, exec, s[0:1]
	v_cmp_ge_u32_e32 vcc, v30, v8
	s_and_saveexec_b64 s[0:1], vcc
	s_cbranch_execnz .LBB2580_225
.LBB2580_130:
	s_or_b64 exec, exec, s[0:1]
	v_cmp_ge_u32_e32 vcc, v28, v8
	s_and_saveexec_b64 s[0:1], vcc
	s_cbranch_execnz .LBB2580_226
.LBB2580_131:
	s_or_b64 exec, exec, s[0:1]
	v_cmp_ge_u32_e32 vcc, v26, v8
	s_and_saveexec_b64 s[0:1], vcc
	s_cbranch_execnz .LBB2580_227
.LBB2580_132:
	s_or_b64 exec, exec, s[0:1]
	v_cmp_ge_u32_e32 vcc, v22, v8
	s_and_saveexec_b64 s[0:1], vcc
	s_cbranch_execnz .LBB2580_228
.LBB2580_133:
	s_or_b64 exec, exec, s[0:1]
	v_cmp_ge_u32_e32 vcc, v20, v8
	s_and_saveexec_b64 s[0:1], vcc
	s_cbranch_execnz .LBB2580_229
.LBB2580_134:
	s_or_b64 exec, exec, s[0:1]
	v_cmp_ge_u32_e32 vcc, v18, v8
	s_and_saveexec_b64 s[0:1], vcc
	s_cbranch_execnz .LBB2580_230
.LBB2580_135:
	s_or_b64 exec, exec, s[0:1]
	v_cmp_ge_u32_e32 vcc, v16, v8
	s_and_saveexec_b64 s[0:1], vcc
	s_cbranch_execnz .LBB2580_231
.LBB2580_136:
	s_or_b64 exec, exec, s[0:1]
	v_cmp_ge_u32_e32 vcc, v14, v8
	s_and_saveexec_b64 s[0:1], vcc
	s_cbranch_execnz .LBB2580_232
.LBB2580_137:
	s_or_b64 exec, exec, s[0:1]
	v_cmp_ge_u32_e32 vcc, v12, v8
	s_and_saveexec_b64 s[0:1], vcc
	s_cbranch_execnz .LBB2580_233
.LBB2580_138:
	s_or_b64 exec, exec, s[0:1]
	v_cmp_ge_u32_e32 vcc, v10, v8
	s_and_saveexec_b64 s[0:1], vcc
	s_cbranch_execz .LBB2580_140
.LBB2580_139:
	v_lshlrev_b32_e32 v9, 1, v10
	v_readfirstlane_b32 s2, v6
	v_readfirstlane_b32 s3, v7
	s_waitcnt lgkmcnt(1)
	s_nop 3
	global_store_short v9, v11, s[2:3]
.LBB2580_140:
	s_or_b64 exec, exec, s[0:1]
	v_cmp_ge_u32_e64 s[0:1], v1, v8
	s_branch .LBB2580_201
.LBB2580_141:
	s_mov_b64 s[0:1], 0
	s_cbranch_execz .LBB2580_201
; %bb.142:
	v_cmp_gt_u32_e32 vcc, s33, v0
	v_cmp_ge_u32_e64 s[0:1], v0, v8
	s_and_b64 s[2:3], vcc, s[0:1]
	s_and_saveexec_b64 s[0:1], s[2:3]
	s_cbranch_execz .LBB2580_144
; %bb.143:
	v_readfirstlane_b32 s2, v6
	v_readfirstlane_b32 s3, v7
	s_waitcnt lgkmcnt(14)
	s_nop 3
	global_store_short v2, v68, s[2:3]
.LBB2580_144:
	s_or_b64 exec, exec, s[0:1]
	v_cmp_gt_u32_e32 vcc, s33, v66
	v_cmp_ge_u32_e64 s[0:1], v66, v8
	s_and_b64 s[2:3], vcc, s[0:1]
	s_and_saveexec_b64 s[0:1], s[2:3]
	s_cbranch_execz .LBB2580_146
; %bb.145:
	v_readfirstlane_b32 s2, v6
	v_readfirstlane_b32 s3, v7
	s_waitcnt lgkmcnt(14)
	s_nop 3
	global_store_short v2, v67, s[2:3] offset:1024
.LBB2580_146:
	s_or_b64 exec, exec, s[0:1]
	v_cmp_gt_u32_e32 vcc, s33, v64
	v_cmp_ge_u32_e64 s[0:1], v64, v8
	s_and_b64 s[2:3], vcc, s[0:1]
	s_and_saveexec_b64 s[0:1], s[2:3]
	s_cbranch_execz .LBB2580_148
; %bb.147:
	v_readfirstlane_b32 s2, v6
	v_readfirstlane_b32 s3, v7
	s_waitcnt lgkmcnt(14)
	s_nop 3
	global_store_short v2, v65, s[2:3] offset:2048
.LBB2580_148:
	;; [unrolled: 13-line block ×3, first 2 shown]
	s_or_b64 exec, exec, s[0:1]
	v_cmp_gt_u32_e32 vcc, s33, v60
	v_cmp_ge_u32_e64 s[0:1], v60, v8
	s_and_b64 s[2:3], vcc, s[0:1]
	s_and_saveexec_b64 s[0:1], s[2:3]
	s_cbranch_execz .LBB2580_152
; %bb.151:
	v_lshlrev_b32_e32 v0, 1, v60
	v_readfirstlane_b32 s2, v6
	v_readfirstlane_b32 s3, v7
	s_waitcnt lgkmcnt(14)
	s_nop 3
	global_store_short v0, v61, s[2:3]
.LBB2580_152:
	s_or_b64 exec, exec, s[0:1]
	v_cmp_gt_u32_e32 vcc, s33, v58
	v_cmp_ge_u32_e64 s[0:1], v58, v8
	s_and_b64 s[2:3], vcc, s[0:1]
	s_and_saveexec_b64 s[0:1], s[2:3]
	s_cbranch_execz .LBB2580_154
; %bb.153:
	v_lshlrev_b32_e32 v0, 1, v58
	v_readfirstlane_b32 s2, v6
	v_readfirstlane_b32 s3, v7
	s_waitcnt lgkmcnt(14)
	s_nop 3
	global_store_short v0, v59, s[2:3]
.LBB2580_154:
	;; [unrolled: 14-line block ×25, first 2 shown]
	s_or_b64 exec, exec, s[0:1]
	v_cmp_gt_u32_e32 vcc, s33, v1
	v_cmp_ge_u32_e64 s[0:1], v1, v8
	s_and_b64 s[0:1], vcc, s[0:1]
.LBB2580_201:
	s_and_saveexec_b64 s[2:3], s[0:1]
	s_cbranch_execnz .LBB2580_204
; %bb.202:
	s_or_b64 exec, exec, s[2:3]
	s_and_b64 s[0:1], s[20:21], s[22:23]
	s_and_saveexec_b64 s[2:3], s[0:1]
	s_cbranch_execnz .LBB2580_205
.LBB2580_203:
	s_endpgm
.LBB2580_204:
	v_lshlrev_b32_e32 v0, 1, v1
	v_readfirstlane_b32 s0, v6
	v_readfirstlane_b32 s1, v7
	s_waitcnt lgkmcnt(0)
	s_nop 3
	global_store_short v0, v3, s[0:1]
	s_or_b64 exec, exec, s[2:3]
	s_and_b64 s[0:1], s[20:21], s[22:23]
	s_and_saveexec_b64 s[2:3], s[0:1]
	s_cbranch_execz .LBB2580_203
.LBB2580_205:
	v_mov_b32_e32 v0, 0
	global_store_dwordx2 v0, v[4:5], s[24:25]
	s_endpgm
.LBB2580_206:
	v_readfirstlane_b32 s0, v6
	v_readfirstlane_b32 s1, v7
	s_waitcnt lgkmcnt(14)
	s_nop 3
	global_store_short v2, v68, s[0:1]
	s_or_b64 exec, exec, s[2:3]
	v_cmp_ge_u32_e32 vcc, v66, v8
	s_and_saveexec_b64 s[0:1], vcc
	s_cbranch_execz .LBB2580_112
.LBB2580_207:
	v_readfirstlane_b32 s2, v6
	v_readfirstlane_b32 s3, v7
	s_waitcnt lgkmcnt(14)
	s_nop 3
	global_store_short v2, v67, s[2:3] offset:1024
	s_or_b64 exec, exec, s[0:1]
	v_cmp_ge_u32_e32 vcc, v64, v8
	s_and_saveexec_b64 s[0:1], vcc
	s_cbranch_execz .LBB2580_113
.LBB2580_208:
	v_readfirstlane_b32 s2, v6
	v_readfirstlane_b32 s3, v7
	s_waitcnt lgkmcnt(14)
	s_nop 3
	global_store_short v2, v65, s[2:3] offset:2048
	s_or_b64 exec, exec, s[0:1]
	v_cmp_ge_u32_e32 vcc, v62, v8
	s_and_saveexec_b64 s[0:1], vcc
	s_cbranch_execz .LBB2580_114
.LBB2580_209:
	v_readfirstlane_b32 s2, v6
	v_readfirstlane_b32 s3, v7
	s_waitcnt lgkmcnt(14)
	s_nop 3
	global_store_short v2, v63, s[2:3] offset:3072
	s_or_b64 exec, exec, s[0:1]
	v_cmp_ge_u32_e32 vcc, v60, v8
	s_and_saveexec_b64 s[0:1], vcc
	s_cbranch_execz .LBB2580_115
.LBB2580_210:
	v_lshlrev_b32_e32 v9, 1, v60
	v_readfirstlane_b32 s2, v6
	v_readfirstlane_b32 s3, v7
	s_waitcnt lgkmcnt(14)
	s_nop 3
	global_store_short v9, v61, s[2:3]
	s_or_b64 exec, exec, s[0:1]
	v_cmp_ge_u32_e32 vcc, v58, v8
	s_and_saveexec_b64 s[0:1], vcc
	s_cbranch_execz .LBB2580_116
.LBB2580_211:
	v_lshlrev_b32_e32 v9, 1, v58
	v_readfirstlane_b32 s2, v6
	v_readfirstlane_b32 s3, v7
	s_waitcnt lgkmcnt(14)
	s_nop 3
	global_store_short v9, v59, s[2:3]
	s_or_b64 exec, exec, s[0:1]
	v_cmp_ge_u32_e32 vcc, v56, v8
	s_and_saveexec_b64 s[0:1], vcc
	s_cbranch_execz .LBB2580_117
.LBB2580_212:
	v_lshlrev_b32_e32 v9, 1, v56
	v_readfirstlane_b32 s2, v6
	v_readfirstlane_b32 s3, v7
	s_waitcnt lgkmcnt(14)
	s_nop 3
	global_store_short v9, v57, s[2:3]
	s_or_b64 exec, exec, s[0:1]
	v_cmp_ge_u32_e32 vcc, v53, v8
	s_and_saveexec_b64 s[0:1], vcc
	s_cbranch_execz .LBB2580_118
.LBB2580_213:
	v_lshlrev_b32_e32 v9, 1, v53
	v_readfirstlane_b32 s2, v6
	v_readfirstlane_b32 s3, v7
	s_waitcnt lgkmcnt(14)
	s_nop 3
	global_store_short v9, v55, s[2:3]
	s_or_b64 exec, exec, s[0:1]
	v_cmp_ge_u32_e32 vcc, v52, v8
	s_and_saveexec_b64 s[0:1], vcc
	s_cbranch_execz .LBB2580_119
.LBB2580_214:
	v_lshlrev_b32_e32 v9, 1, v52
	v_readfirstlane_b32 s2, v6
	v_readfirstlane_b32 s3, v7
	s_waitcnt lgkmcnt(14)
	s_nop 3
	global_store_short v9, v54, s[2:3]
	s_or_b64 exec, exec, s[0:1]
	v_cmp_ge_u32_e32 vcc, v50, v8
	s_and_saveexec_b64 s[0:1], vcc
	s_cbranch_execz .LBB2580_120
.LBB2580_215:
	v_lshlrev_b32_e32 v9, 1, v50
	v_readfirstlane_b32 s2, v6
	v_readfirstlane_b32 s3, v7
	s_waitcnt lgkmcnt(14)
	s_nop 3
	global_store_short v9, v51, s[2:3]
	s_or_b64 exec, exec, s[0:1]
	v_cmp_ge_u32_e32 vcc, v48, v8
	s_and_saveexec_b64 s[0:1], vcc
	s_cbranch_execz .LBB2580_121
.LBB2580_216:
	v_lshlrev_b32_e32 v9, 1, v48
	v_readfirstlane_b32 s2, v6
	v_readfirstlane_b32 s3, v7
	s_waitcnt lgkmcnt(14)
	s_nop 3
	global_store_short v9, v49, s[2:3]
	s_or_b64 exec, exec, s[0:1]
	v_cmp_ge_u32_e32 vcc, v46, v8
	s_and_saveexec_b64 s[0:1], vcc
	s_cbranch_execz .LBB2580_122
.LBB2580_217:
	v_lshlrev_b32_e32 v9, 1, v46
	v_readfirstlane_b32 s2, v6
	v_readfirstlane_b32 s3, v7
	s_waitcnt lgkmcnt(14)
	s_nop 3
	global_store_short v9, v47, s[2:3]
	s_or_b64 exec, exec, s[0:1]
	v_cmp_ge_u32_e32 vcc, v44, v8
	s_and_saveexec_b64 s[0:1], vcc
	s_cbranch_execz .LBB2580_123
.LBB2580_218:
	v_lshlrev_b32_e32 v9, 1, v44
	v_readfirstlane_b32 s2, v6
	v_readfirstlane_b32 s3, v7
	s_waitcnt lgkmcnt(14)
	s_nop 3
	global_store_short v9, v45, s[2:3]
	s_or_b64 exec, exec, s[0:1]
	v_cmp_ge_u32_e32 vcc, v42, v8
	s_and_saveexec_b64 s[0:1], vcc
	s_cbranch_execz .LBB2580_124
.LBB2580_219:
	v_lshlrev_b32_e32 v9, 1, v42
	v_readfirstlane_b32 s2, v6
	v_readfirstlane_b32 s3, v7
	s_waitcnt lgkmcnt(14)
	s_nop 3
	global_store_short v9, v43, s[2:3]
	s_or_b64 exec, exec, s[0:1]
	v_cmp_ge_u32_e32 vcc, v40, v8
	s_and_saveexec_b64 s[0:1], vcc
	s_cbranch_execz .LBB2580_125
.LBB2580_220:
	v_lshlrev_b32_e32 v9, 1, v40
	v_readfirstlane_b32 s2, v6
	v_readfirstlane_b32 s3, v7
	s_waitcnt lgkmcnt(14)
	s_nop 3
	global_store_short v9, v41, s[2:3]
	s_or_b64 exec, exec, s[0:1]
	v_cmp_ge_u32_e32 vcc, v37, v8
	s_and_saveexec_b64 s[0:1], vcc
	s_cbranch_execz .LBB2580_126
.LBB2580_221:
	v_lshlrev_b32_e32 v9, 1, v37
	v_readfirstlane_b32 s2, v6
	v_readfirstlane_b32 s3, v7
	s_waitcnt lgkmcnt(14)
	s_nop 3
	global_store_short v9, v39, s[2:3]
	s_or_b64 exec, exec, s[0:1]
	v_cmp_ge_u32_e32 vcc, v36, v8
	s_and_saveexec_b64 s[0:1], vcc
	s_cbranch_execz .LBB2580_127
.LBB2580_222:
	v_lshlrev_b32_e32 v9, 1, v36
	v_readfirstlane_b32 s2, v6
	v_readfirstlane_b32 s3, v7
	s_waitcnt lgkmcnt(13)
	s_nop 3
	global_store_short v9, v38, s[2:3]
	s_or_b64 exec, exec, s[0:1]
	v_cmp_ge_u32_e32 vcc, v34, v8
	s_and_saveexec_b64 s[0:1], vcc
	s_cbranch_execz .LBB2580_128
.LBB2580_223:
	v_lshlrev_b32_e32 v9, 1, v34
	v_readfirstlane_b32 s2, v6
	v_readfirstlane_b32 s3, v7
	s_waitcnt lgkmcnt(12)
	s_nop 3
	global_store_short v9, v35, s[2:3]
	s_or_b64 exec, exec, s[0:1]
	v_cmp_ge_u32_e32 vcc, v32, v8
	s_and_saveexec_b64 s[0:1], vcc
	s_cbranch_execz .LBB2580_129
.LBB2580_224:
	v_lshlrev_b32_e32 v9, 1, v32
	v_readfirstlane_b32 s2, v6
	v_readfirstlane_b32 s3, v7
	s_waitcnt lgkmcnt(11)
	s_nop 3
	global_store_short v9, v33, s[2:3]
	s_or_b64 exec, exec, s[0:1]
	v_cmp_ge_u32_e32 vcc, v30, v8
	s_and_saveexec_b64 s[0:1], vcc
	s_cbranch_execz .LBB2580_130
.LBB2580_225:
	v_lshlrev_b32_e32 v9, 1, v30
	v_readfirstlane_b32 s2, v6
	v_readfirstlane_b32 s3, v7
	s_waitcnt lgkmcnt(10)
	s_nop 3
	global_store_short v9, v31, s[2:3]
	s_or_b64 exec, exec, s[0:1]
	v_cmp_ge_u32_e32 vcc, v28, v8
	s_and_saveexec_b64 s[0:1], vcc
	s_cbranch_execz .LBB2580_131
.LBB2580_226:
	v_lshlrev_b32_e32 v9, 1, v28
	v_readfirstlane_b32 s2, v6
	v_readfirstlane_b32 s3, v7
	s_waitcnt lgkmcnt(9)
	s_nop 3
	global_store_short v9, v29, s[2:3]
	s_or_b64 exec, exec, s[0:1]
	v_cmp_ge_u32_e32 vcc, v26, v8
	s_and_saveexec_b64 s[0:1], vcc
	s_cbranch_execz .LBB2580_132
.LBB2580_227:
	v_lshlrev_b32_e32 v9, 1, v26
	v_readfirstlane_b32 s2, v6
	v_readfirstlane_b32 s3, v7
	s_waitcnt lgkmcnt(8)
	s_nop 3
	global_store_short v9, v27, s[2:3]
	s_or_b64 exec, exec, s[0:1]
	v_cmp_ge_u32_e32 vcc, v22, v8
	s_and_saveexec_b64 s[0:1], vcc
	s_cbranch_execz .LBB2580_133
.LBB2580_228:
	v_lshlrev_b32_e32 v9, 1, v22
	v_readfirstlane_b32 s2, v6
	v_readfirstlane_b32 s3, v7
	s_waitcnt lgkmcnt(7)
	s_nop 3
	global_store_short v9, v23, s[2:3]
	s_or_b64 exec, exec, s[0:1]
	v_cmp_ge_u32_e32 vcc, v20, v8
	s_and_saveexec_b64 s[0:1], vcc
	s_cbranch_execz .LBB2580_134
.LBB2580_229:
	v_lshlrev_b32_e32 v9, 1, v20
	v_readfirstlane_b32 s2, v6
	v_readfirstlane_b32 s3, v7
	s_waitcnt lgkmcnt(6)
	s_nop 3
	global_store_short v9, v21, s[2:3]
	s_or_b64 exec, exec, s[0:1]
	v_cmp_ge_u32_e32 vcc, v18, v8
	s_and_saveexec_b64 s[0:1], vcc
	s_cbranch_execz .LBB2580_135
.LBB2580_230:
	v_lshlrev_b32_e32 v9, 1, v18
	v_readfirstlane_b32 s2, v6
	v_readfirstlane_b32 s3, v7
	s_waitcnt lgkmcnt(5)
	s_nop 3
	global_store_short v9, v19, s[2:3]
	s_or_b64 exec, exec, s[0:1]
	v_cmp_ge_u32_e32 vcc, v16, v8
	s_and_saveexec_b64 s[0:1], vcc
	s_cbranch_execz .LBB2580_136
.LBB2580_231:
	v_lshlrev_b32_e32 v9, 1, v16
	v_readfirstlane_b32 s2, v6
	v_readfirstlane_b32 s3, v7
	s_waitcnt lgkmcnt(4)
	s_nop 3
	global_store_short v9, v17, s[2:3]
	s_or_b64 exec, exec, s[0:1]
	v_cmp_ge_u32_e32 vcc, v14, v8
	s_and_saveexec_b64 s[0:1], vcc
	s_cbranch_execz .LBB2580_137
.LBB2580_232:
	v_lshlrev_b32_e32 v9, 1, v14
	v_readfirstlane_b32 s2, v6
	v_readfirstlane_b32 s3, v7
	s_waitcnt lgkmcnt(3)
	s_nop 3
	global_store_short v9, v15, s[2:3]
	s_or_b64 exec, exec, s[0:1]
	v_cmp_ge_u32_e32 vcc, v12, v8
	s_and_saveexec_b64 s[0:1], vcc
	s_cbranch_execz .LBB2580_138
.LBB2580_233:
	v_lshlrev_b32_e32 v9, 1, v12
	v_readfirstlane_b32 s2, v6
	v_readfirstlane_b32 s3, v7
	s_waitcnt lgkmcnt(2)
	s_nop 3
	global_store_short v9, v13, s[2:3]
	s_or_b64 exec, exec, s[0:1]
	v_cmp_ge_u32_e32 vcc, v10, v8
	s_and_saveexec_b64 s[0:1], vcc
	s_cbranch_execnz .LBB2580_139
	s_branch .LBB2580_140
	.section	.rodata,"a",@progbits
	.p2align	6, 0x0
	.amdhsa_kernel _ZN7rocprim17ROCPRIM_400000_NS6detail17trampoline_kernelINS0_14default_configENS1_25partition_config_selectorILNS1_17partition_subalgoE0EtNS0_10empty_typeEbEEZZNS1_14partition_implILS5_0ELb0ES3_jN6thrust23THRUST_200600_302600_NS6detail15normal_iteratorINSA_10device_ptrItEEEEPS6_SG_NS0_5tupleIJNSA_16discard_iteratorINSA_11use_defaultEEESF_EEENSH_IJSG_SG_EEES6_PlJ7is_evenItEEEE10hipError_tPvRmT3_T4_T5_T6_T7_T9_mT8_P12ihipStream_tbDpT10_ENKUlT_T0_E_clISt17integral_constantIbLb0EES18_IbLb1EEEEDaS14_S15_EUlS14_E_NS1_11comp_targetILNS1_3genE5ELNS1_11target_archE942ELNS1_3gpuE9ELNS1_3repE0EEENS1_30default_config_static_selectorELNS0_4arch9wavefront6targetE1EEEvT1_
		.amdhsa_group_segment_fixed_size 30728
		.amdhsa_private_segment_fixed_size 0
		.amdhsa_kernarg_size 144
		.amdhsa_user_sgpr_count 2
		.amdhsa_user_sgpr_dispatch_ptr 0
		.amdhsa_user_sgpr_queue_ptr 0
		.amdhsa_user_sgpr_kernarg_segment_ptr 1
		.amdhsa_user_sgpr_dispatch_id 0
		.amdhsa_user_sgpr_kernarg_preload_length 0
		.amdhsa_user_sgpr_kernarg_preload_offset 0
		.amdhsa_user_sgpr_private_segment_size 0
		.amdhsa_uses_dynamic_stack 0
		.amdhsa_enable_private_segment 0
		.amdhsa_system_sgpr_workgroup_id_x 1
		.amdhsa_system_sgpr_workgroup_id_y 0
		.amdhsa_system_sgpr_workgroup_id_z 0
		.amdhsa_system_sgpr_workgroup_info 0
		.amdhsa_system_vgpr_workitem_id 0
		.amdhsa_next_free_vgpr 124
		.amdhsa_next_free_sgpr 42
		.amdhsa_accum_offset 124
		.amdhsa_reserve_vcc 1
		.amdhsa_float_round_mode_32 0
		.amdhsa_float_round_mode_16_64 0
		.amdhsa_float_denorm_mode_32 3
		.amdhsa_float_denorm_mode_16_64 3
		.amdhsa_dx10_clamp 1
		.amdhsa_ieee_mode 1
		.amdhsa_fp16_overflow 0
		.amdhsa_tg_split 0
		.amdhsa_exception_fp_ieee_invalid_op 0
		.amdhsa_exception_fp_denorm_src 0
		.amdhsa_exception_fp_ieee_div_zero 0
		.amdhsa_exception_fp_ieee_overflow 0
		.amdhsa_exception_fp_ieee_underflow 0
		.amdhsa_exception_fp_ieee_inexact 0
		.amdhsa_exception_int_div_zero 0
	.end_amdhsa_kernel
	.section	.text._ZN7rocprim17ROCPRIM_400000_NS6detail17trampoline_kernelINS0_14default_configENS1_25partition_config_selectorILNS1_17partition_subalgoE0EtNS0_10empty_typeEbEEZZNS1_14partition_implILS5_0ELb0ES3_jN6thrust23THRUST_200600_302600_NS6detail15normal_iteratorINSA_10device_ptrItEEEEPS6_SG_NS0_5tupleIJNSA_16discard_iteratorINSA_11use_defaultEEESF_EEENSH_IJSG_SG_EEES6_PlJ7is_evenItEEEE10hipError_tPvRmT3_T4_T5_T6_T7_T9_mT8_P12ihipStream_tbDpT10_ENKUlT_T0_E_clISt17integral_constantIbLb0EES18_IbLb1EEEEDaS14_S15_EUlS14_E_NS1_11comp_targetILNS1_3genE5ELNS1_11target_archE942ELNS1_3gpuE9ELNS1_3repE0EEENS1_30default_config_static_selectorELNS0_4arch9wavefront6targetE1EEEvT1_,"axG",@progbits,_ZN7rocprim17ROCPRIM_400000_NS6detail17trampoline_kernelINS0_14default_configENS1_25partition_config_selectorILNS1_17partition_subalgoE0EtNS0_10empty_typeEbEEZZNS1_14partition_implILS5_0ELb0ES3_jN6thrust23THRUST_200600_302600_NS6detail15normal_iteratorINSA_10device_ptrItEEEEPS6_SG_NS0_5tupleIJNSA_16discard_iteratorINSA_11use_defaultEEESF_EEENSH_IJSG_SG_EEES6_PlJ7is_evenItEEEE10hipError_tPvRmT3_T4_T5_T6_T7_T9_mT8_P12ihipStream_tbDpT10_ENKUlT_T0_E_clISt17integral_constantIbLb0EES18_IbLb1EEEEDaS14_S15_EUlS14_E_NS1_11comp_targetILNS1_3genE5ELNS1_11target_archE942ELNS1_3gpuE9ELNS1_3repE0EEENS1_30default_config_static_selectorELNS0_4arch9wavefront6targetE1EEEvT1_,comdat
.Lfunc_end2580:
	.size	_ZN7rocprim17ROCPRIM_400000_NS6detail17trampoline_kernelINS0_14default_configENS1_25partition_config_selectorILNS1_17partition_subalgoE0EtNS0_10empty_typeEbEEZZNS1_14partition_implILS5_0ELb0ES3_jN6thrust23THRUST_200600_302600_NS6detail15normal_iteratorINSA_10device_ptrItEEEEPS6_SG_NS0_5tupleIJNSA_16discard_iteratorINSA_11use_defaultEEESF_EEENSH_IJSG_SG_EEES6_PlJ7is_evenItEEEE10hipError_tPvRmT3_T4_T5_T6_T7_T9_mT8_P12ihipStream_tbDpT10_ENKUlT_T0_E_clISt17integral_constantIbLb0EES18_IbLb1EEEEDaS14_S15_EUlS14_E_NS1_11comp_targetILNS1_3genE5ELNS1_11target_archE942ELNS1_3gpuE9ELNS1_3repE0EEENS1_30default_config_static_selectorELNS0_4arch9wavefront6targetE1EEEvT1_, .Lfunc_end2580-_ZN7rocprim17ROCPRIM_400000_NS6detail17trampoline_kernelINS0_14default_configENS1_25partition_config_selectorILNS1_17partition_subalgoE0EtNS0_10empty_typeEbEEZZNS1_14partition_implILS5_0ELb0ES3_jN6thrust23THRUST_200600_302600_NS6detail15normal_iteratorINSA_10device_ptrItEEEEPS6_SG_NS0_5tupleIJNSA_16discard_iteratorINSA_11use_defaultEEESF_EEENSH_IJSG_SG_EEES6_PlJ7is_evenItEEEE10hipError_tPvRmT3_T4_T5_T6_T7_T9_mT8_P12ihipStream_tbDpT10_ENKUlT_T0_E_clISt17integral_constantIbLb0EES18_IbLb1EEEEDaS14_S15_EUlS14_E_NS1_11comp_targetILNS1_3genE5ELNS1_11target_archE942ELNS1_3gpuE9ELNS1_3repE0EEENS1_30default_config_static_selectorELNS0_4arch9wavefront6targetE1EEEvT1_
                                        ; -- End function
	.section	.AMDGPU.csdata,"",@progbits
; Kernel info:
; codeLenInByte = 11232
; NumSgprs: 48
; NumVgprs: 124
; NumAgprs: 0
; TotalNumVgprs: 124
; ScratchSize: 0
; MemoryBound: 0
; FloatMode: 240
; IeeeMode: 1
; LDSByteSize: 30728 bytes/workgroup (compile time only)
; SGPRBlocks: 5
; VGPRBlocks: 15
; NumSGPRsForWavesPerEU: 48
; NumVGPRsForWavesPerEU: 124
; AccumOffset: 124
; Occupancy: 4
; WaveLimiterHint : 1
; COMPUTE_PGM_RSRC2:SCRATCH_EN: 0
; COMPUTE_PGM_RSRC2:USER_SGPR: 2
; COMPUTE_PGM_RSRC2:TRAP_HANDLER: 0
; COMPUTE_PGM_RSRC2:TGID_X_EN: 1
; COMPUTE_PGM_RSRC2:TGID_Y_EN: 0
; COMPUTE_PGM_RSRC2:TGID_Z_EN: 0
; COMPUTE_PGM_RSRC2:TIDIG_COMP_CNT: 0
; COMPUTE_PGM_RSRC3_GFX90A:ACCUM_OFFSET: 30
; COMPUTE_PGM_RSRC3_GFX90A:TG_SPLIT: 0
	.section	.text._ZN7rocprim17ROCPRIM_400000_NS6detail17trampoline_kernelINS0_14default_configENS1_25partition_config_selectorILNS1_17partition_subalgoE0EtNS0_10empty_typeEbEEZZNS1_14partition_implILS5_0ELb0ES3_jN6thrust23THRUST_200600_302600_NS6detail15normal_iteratorINSA_10device_ptrItEEEEPS6_SG_NS0_5tupleIJNSA_16discard_iteratorINSA_11use_defaultEEESF_EEENSH_IJSG_SG_EEES6_PlJ7is_evenItEEEE10hipError_tPvRmT3_T4_T5_T6_T7_T9_mT8_P12ihipStream_tbDpT10_ENKUlT_T0_E_clISt17integral_constantIbLb0EES18_IbLb1EEEEDaS14_S15_EUlS14_E_NS1_11comp_targetILNS1_3genE4ELNS1_11target_archE910ELNS1_3gpuE8ELNS1_3repE0EEENS1_30default_config_static_selectorELNS0_4arch9wavefront6targetE1EEEvT1_,"axG",@progbits,_ZN7rocprim17ROCPRIM_400000_NS6detail17trampoline_kernelINS0_14default_configENS1_25partition_config_selectorILNS1_17partition_subalgoE0EtNS0_10empty_typeEbEEZZNS1_14partition_implILS5_0ELb0ES3_jN6thrust23THRUST_200600_302600_NS6detail15normal_iteratorINSA_10device_ptrItEEEEPS6_SG_NS0_5tupleIJNSA_16discard_iteratorINSA_11use_defaultEEESF_EEENSH_IJSG_SG_EEES6_PlJ7is_evenItEEEE10hipError_tPvRmT3_T4_T5_T6_T7_T9_mT8_P12ihipStream_tbDpT10_ENKUlT_T0_E_clISt17integral_constantIbLb0EES18_IbLb1EEEEDaS14_S15_EUlS14_E_NS1_11comp_targetILNS1_3genE4ELNS1_11target_archE910ELNS1_3gpuE8ELNS1_3repE0EEENS1_30default_config_static_selectorELNS0_4arch9wavefront6targetE1EEEvT1_,comdat
	.protected	_ZN7rocprim17ROCPRIM_400000_NS6detail17trampoline_kernelINS0_14default_configENS1_25partition_config_selectorILNS1_17partition_subalgoE0EtNS0_10empty_typeEbEEZZNS1_14partition_implILS5_0ELb0ES3_jN6thrust23THRUST_200600_302600_NS6detail15normal_iteratorINSA_10device_ptrItEEEEPS6_SG_NS0_5tupleIJNSA_16discard_iteratorINSA_11use_defaultEEESF_EEENSH_IJSG_SG_EEES6_PlJ7is_evenItEEEE10hipError_tPvRmT3_T4_T5_T6_T7_T9_mT8_P12ihipStream_tbDpT10_ENKUlT_T0_E_clISt17integral_constantIbLb0EES18_IbLb1EEEEDaS14_S15_EUlS14_E_NS1_11comp_targetILNS1_3genE4ELNS1_11target_archE910ELNS1_3gpuE8ELNS1_3repE0EEENS1_30default_config_static_selectorELNS0_4arch9wavefront6targetE1EEEvT1_ ; -- Begin function _ZN7rocprim17ROCPRIM_400000_NS6detail17trampoline_kernelINS0_14default_configENS1_25partition_config_selectorILNS1_17partition_subalgoE0EtNS0_10empty_typeEbEEZZNS1_14partition_implILS5_0ELb0ES3_jN6thrust23THRUST_200600_302600_NS6detail15normal_iteratorINSA_10device_ptrItEEEEPS6_SG_NS0_5tupleIJNSA_16discard_iteratorINSA_11use_defaultEEESF_EEENSH_IJSG_SG_EEES6_PlJ7is_evenItEEEE10hipError_tPvRmT3_T4_T5_T6_T7_T9_mT8_P12ihipStream_tbDpT10_ENKUlT_T0_E_clISt17integral_constantIbLb0EES18_IbLb1EEEEDaS14_S15_EUlS14_E_NS1_11comp_targetILNS1_3genE4ELNS1_11target_archE910ELNS1_3gpuE8ELNS1_3repE0EEENS1_30default_config_static_selectorELNS0_4arch9wavefront6targetE1EEEvT1_
	.globl	_ZN7rocprim17ROCPRIM_400000_NS6detail17trampoline_kernelINS0_14default_configENS1_25partition_config_selectorILNS1_17partition_subalgoE0EtNS0_10empty_typeEbEEZZNS1_14partition_implILS5_0ELb0ES3_jN6thrust23THRUST_200600_302600_NS6detail15normal_iteratorINSA_10device_ptrItEEEEPS6_SG_NS0_5tupleIJNSA_16discard_iteratorINSA_11use_defaultEEESF_EEENSH_IJSG_SG_EEES6_PlJ7is_evenItEEEE10hipError_tPvRmT3_T4_T5_T6_T7_T9_mT8_P12ihipStream_tbDpT10_ENKUlT_T0_E_clISt17integral_constantIbLb0EES18_IbLb1EEEEDaS14_S15_EUlS14_E_NS1_11comp_targetILNS1_3genE4ELNS1_11target_archE910ELNS1_3gpuE8ELNS1_3repE0EEENS1_30default_config_static_selectorELNS0_4arch9wavefront6targetE1EEEvT1_
	.p2align	8
	.type	_ZN7rocprim17ROCPRIM_400000_NS6detail17trampoline_kernelINS0_14default_configENS1_25partition_config_selectorILNS1_17partition_subalgoE0EtNS0_10empty_typeEbEEZZNS1_14partition_implILS5_0ELb0ES3_jN6thrust23THRUST_200600_302600_NS6detail15normal_iteratorINSA_10device_ptrItEEEEPS6_SG_NS0_5tupleIJNSA_16discard_iteratorINSA_11use_defaultEEESF_EEENSH_IJSG_SG_EEES6_PlJ7is_evenItEEEE10hipError_tPvRmT3_T4_T5_T6_T7_T9_mT8_P12ihipStream_tbDpT10_ENKUlT_T0_E_clISt17integral_constantIbLb0EES18_IbLb1EEEEDaS14_S15_EUlS14_E_NS1_11comp_targetILNS1_3genE4ELNS1_11target_archE910ELNS1_3gpuE8ELNS1_3repE0EEENS1_30default_config_static_selectorELNS0_4arch9wavefront6targetE1EEEvT1_,@function
_ZN7rocprim17ROCPRIM_400000_NS6detail17trampoline_kernelINS0_14default_configENS1_25partition_config_selectorILNS1_17partition_subalgoE0EtNS0_10empty_typeEbEEZZNS1_14partition_implILS5_0ELb0ES3_jN6thrust23THRUST_200600_302600_NS6detail15normal_iteratorINSA_10device_ptrItEEEEPS6_SG_NS0_5tupleIJNSA_16discard_iteratorINSA_11use_defaultEEESF_EEENSH_IJSG_SG_EEES6_PlJ7is_evenItEEEE10hipError_tPvRmT3_T4_T5_T6_T7_T9_mT8_P12ihipStream_tbDpT10_ENKUlT_T0_E_clISt17integral_constantIbLb0EES18_IbLb1EEEEDaS14_S15_EUlS14_E_NS1_11comp_targetILNS1_3genE4ELNS1_11target_archE910ELNS1_3gpuE8ELNS1_3repE0EEENS1_30default_config_static_selectorELNS0_4arch9wavefront6targetE1EEEvT1_: ; @_ZN7rocprim17ROCPRIM_400000_NS6detail17trampoline_kernelINS0_14default_configENS1_25partition_config_selectorILNS1_17partition_subalgoE0EtNS0_10empty_typeEbEEZZNS1_14partition_implILS5_0ELb0ES3_jN6thrust23THRUST_200600_302600_NS6detail15normal_iteratorINSA_10device_ptrItEEEEPS6_SG_NS0_5tupleIJNSA_16discard_iteratorINSA_11use_defaultEEESF_EEENSH_IJSG_SG_EEES6_PlJ7is_evenItEEEE10hipError_tPvRmT3_T4_T5_T6_T7_T9_mT8_P12ihipStream_tbDpT10_ENKUlT_T0_E_clISt17integral_constantIbLb0EES18_IbLb1EEEEDaS14_S15_EUlS14_E_NS1_11comp_targetILNS1_3genE4ELNS1_11target_archE910ELNS1_3gpuE8ELNS1_3repE0EEENS1_30default_config_static_selectorELNS0_4arch9wavefront6targetE1EEEvT1_
; %bb.0:
	.section	.rodata,"a",@progbits
	.p2align	6, 0x0
	.amdhsa_kernel _ZN7rocprim17ROCPRIM_400000_NS6detail17trampoline_kernelINS0_14default_configENS1_25partition_config_selectorILNS1_17partition_subalgoE0EtNS0_10empty_typeEbEEZZNS1_14partition_implILS5_0ELb0ES3_jN6thrust23THRUST_200600_302600_NS6detail15normal_iteratorINSA_10device_ptrItEEEEPS6_SG_NS0_5tupleIJNSA_16discard_iteratorINSA_11use_defaultEEESF_EEENSH_IJSG_SG_EEES6_PlJ7is_evenItEEEE10hipError_tPvRmT3_T4_T5_T6_T7_T9_mT8_P12ihipStream_tbDpT10_ENKUlT_T0_E_clISt17integral_constantIbLb0EES18_IbLb1EEEEDaS14_S15_EUlS14_E_NS1_11comp_targetILNS1_3genE4ELNS1_11target_archE910ELNS1_3gpuE8ELNS1_3repE0EEENS1_30default_config_static_selectorELNS0_4arch9wavefront6targetE1EEEvT1_
		.amdhsa_group_segment_fixed_size 0
		.amdhsa_private_segment_fixed_size 0
		.amdhsa_kernarg_size 144
		.amdhsa_user_sgpr_count 2
		.amdhsa_user_sgpr_dispatch_ptr 0
		.amdhsa_user_sgpr_queue_ptr 0
		.amdhsa_user_sgpr_kernarg_segment_ptr 1
		.amdhsa_user_sgpr_dispatch_id 0
		.amdhsa_user_sgpr_kernarg_preload_length 0
		.amdhsa_user_sgpr_kernarg_preload_offset 0
		.amdhsa_user_sgpr_private_segment_size 0
		.amdhsa_uses_dynamic_stack 0
		.amdhsa_enable_private_segment 0
		.amdhsa_system_sgpr_workgroup_id_x 1
		.amdhsa_system_sgpr_workgroup_id_y 0
		.amdhsa_system_sgpr_workgroup_id_z 0
		.amdhsa_system_sgpr_workgroup_info 0
		.amdhsa_system_vgpr_workitem_id 0
		.amdhsa_next_free_vgpr 1
		.amdhsa_next_free_sgpr 0
		.amdhsa_accum_offset 4
		.amdhsa_reserve_vcc 0
		.amdhsa_float_round_mode_32 0
		.amdhsa_float_round_mode_16_64 0
		.amdhsa_float_denorm_mode_32 3
		.amdhsa_float_denorm_mode_16_64 3
		.amdhsa_dx10_clamp 1
		.amdhsa_ieee_mode 1
		.amdhsa_fp16_overflow 0
		.amdhsa_tg_split 0
		.amdhsa_exception_fp_ieee_invalid_op 0
		.amdhsa_exception_fp_denorm_src 0
		.amdhsa_exception_fp_ieee_div_zero 0
		.amdhsa_exception_fp_ieee_overflow 0
		.amdhsa_exception_fp_ieee_underflow 0
		.amdhsa_exception_fp_ieee_inexact 0
		.amdhsa_exception_int_div_zero 0
	.end_amdhsa_kernel
	.section	.text._ZN7rocprim17ROCPRIM_400000_NS6detail17trampoline_kernelINS0_14default_configENS1_25partition_config_selectorILNS1_17partition_subalgoE0EtNS0_10empty_typeEbEEZZNS1_14partition_implILS5_0ELb0ES3_jN6thrust23THRUST_200600_302600_NS6detail15normal_iteratorINSA_10device_ptrItEEEEPS6_SG_NS0_5tupleIJNSA_16discard_iteratorINSA_11use_defaultEEESF_EEENSH_IJSG_SG_EEES6_PlJ7is_evenItEEEE10hipError_tPvRmT3_T4_T5_T6_T7_T9_mT8_P12ihipStream_tbDpT10_ENKUlT_T0_E_clISt17integral_constantIbLb0EES18_IbLb1EEEEDaS14_S15_EUlS14_E_NS1_11comp_targetILNS1_3genE4ELNS1_11target_archE910ELNS1_3gpuE8ELNS1_3repE0EEENS1_30default_config_static_selectorELNS0_4arch9wavefront6targetE1EEEvT1_,"axG",@progbits,_ZN7rocprim17ROCPRIM_400000_NS6detail17trampoline_kernelINS0_14default_configENS1_25partition_config_selectorILNS1_17partition_subalgoE0EtNS0_10empty_typeEbEEZZNS1_14partition_implILS5_0ELb0ES3_jN6thrust23THRUST_200600_302600_NS6detail15normal_iteratorINSA_10device_ptrItEEEEPS6_SG_NS0_5tupleIJNSA_16discard_iteratorINSA_11use_defaultEEESF_EEENSH_IJSG_SG_EEES6_PlJ7is_evenItEEEE10hipError_tPvRmT3_T4_T5_T6_T7_T9_mT8_P12ihipStream_tbDpT10_ENKUlT_T0_E_clISt17integral_constantIbLb0EES18_IbLb1EEEEDaS14_S15_EUlS14_E_NS1_11comp_targetILNS1_3genE4ELNS1_11target_archE910ELNS1_3gpuE8ELNS1_3repE0EEENS1_30default_config_static_selectorELNS0_4arch9wavefront6targetE1EEEvT1_,comdat
.Lfunc_end2581:
	.size	_ZN7rocprim17ROCPRIM_400000_NS6detail17trampoline_kernelINS0_14default_configENS1_25partition_config_selectorILNS1_17partition_subalgoE0EtNS0_10empty_typeEbEEZZNS1_14partition_implILS5_0ELb0ES3_jN6thrust23THRUST_200600_302600_NS6detail15normal_iteratorINSA_10device_ptrItEEEEPS6_SG_NS0_5tupleIJNSA_16discard_iteratorINSA_11use_defaultEEESF_EEENSH_IJSG_SG_EEES6_PlJ7is_evenItEEEE10hipError_tPvRmT3_T4_T5_T6_T7_T9_mT8_P12ihipStream_tbDpT10_ENKUlT_T0_E_clISt17integral_constantIbLb0EES18_IbLb1EEEEDaS14_S15_EUlS14_E_NS1_11comp_targetILNS1_3genE4ELNS1_11target_archE910ELNS1_3gpuE8ELNS1_3repE0EEENS1_30default_config_static_selectorELNS0_4arch9wavefront6targetE1EEEvT1_, .Lfunc_end2581-_ZN7rocprim17ROCPRIM_400000_NS6detail17trampoline_kernelINS0_14default_configENS1_25partition_config_selectorILNS1_17partition_subalgoE0EtNS0_10empty_typeEbEEZZNS1_14partition_implILS5_0ELb0ES3_jN6thrust23THRUST_200600_302600_NS6detail15normal_iteratorINSA_10device_ptrItEEEEPS6_SG_NS0_5tupleIJNSA_16discard_iteratorINSA_11use_defaultEEESF_EEENSH_IJSG_SG_EEES6_PlJ7is_evenItEEEE10hipError_tPvRmT3_T4_T5_T6_T7_T9_mT8_P12ihipStream_tbDpT10_ENKUlT_T0_E_clISt17integral_constantIbLb0EES18_IbLb1EEEEDaS14_S15_EUlS14_E_NS1_11comp_targetILNS1_3genE4ELNS1_11target_archE910ELNS1_3gpuE8ELNS1_3repE0EEENS1_30default_config_static_selectorELNS0_4arch9wavefront6targetE1EEEvT1_
                                        ; -- End function
	.section	.AMDGPU.csdata,"",@progbits
; Kernel info:
; codeLenInByte = 0
; NumSgprs: 6
; NumVgprs: 0
; NumAgprs: 0
; TotalNumVgprs: 0
; ScratchSize: 0
; MemoryBound: 0
; FloatMode: 240
; IeeeMode: 1
; LDSByteSize: 0 bytes/workgroup (compile time only)
; SGPRBlocks: 0
; VGPRBlocks: 0
; NumSGPRsForWavesPerEU: 6
; NumVGPRsForWavesPerEU: 1
; AccumOffset: 4
; Occupancy: 8
; WaveLimiterHint : 0
; COMPUTE_PGM_RSRC2:SCRATCH_EN: 0
; COMPUTE_PGM_RSRC2:USER_SGPR: 2
; COMPUTE_PGM_RSRC2:TRAP_HANDLER: 0
; COMPUTE_PGM_RSRC2:TGID_X_EN: 1
; COMPUTE_PGM_RSRC2:TGID_Y_EN: 0
; COMPUTE_PGM_RSRC2:TGID_Z_EN: 0
; COMPUTE_PGM_RSRC2:TIDIG_COMP_CNT: 0
; COMPUTE_PGM_RSRC3_GFX90A:ACCUM_OFFSET: 0
; COMPUTE_PGM_RSRC3_GFX90A:TG_SPLIT: 0
	.section	.text._ZN7rocprim17ROCPRIM_400000_NS6detail17trampoline_kernelINS0_14default_configENS1_25partition_config_selectorILNS1_17partition_subalgoE0EtNS0_10empty_typeEbEEZZNS1_14partition_implILS5_0ELb0ES3_jN6thrust23THRUST_200600_302600_NS6detail15normal_iteratorINSA_10device_ptrItEEEEPS6_SG_NS0_5tupleIJNSA_16discard_iteratorINSA_11use_defaultEEESF_EEENSH_IJSG_SG_EEES6_PlJ7is_evenItEEEE10hipError_tPvRmT3_T4_T5_T6_T7_T9_mT8_P12ihipStream_tbDpT10_ENKUlT_T0_E_clISt17integral_constantIbLb0EES18_IbLb1EEEEDaS14_S15_EUlS14_E_NS1_11comp_targetILNS1_3genE3ELNS1_11target_archE908ELNS1_3gpuE7ELNS1_3repE0EEENS1_30default_config_static_selectorELNS0_4arch9wavefront6targetE1EEEvT1_,"axG",@progbits,_ZN7rocprim17ROCPRIM_400000_NS6detail17trampoline_kernelINS0_14default_configENS1_25partition_config_selectorILNS1_17partition_subalgoE0EtNS0_10empty_typeEbEEZZNS1_14partition_implILS5_0ELb0ES3_jN6thrust23THRUST_200600_302600_NS6detail15normal_iteratorINSA_10device_ptrItEEEEPS6_SG_NS0_5tupleIJNSA_16discard_iteratorINSA_11use_defaultEEESF_EEENSH_IJSG_SG_EEES6_PlJ7is_evenItEEEE10hipError_tPvRmT3_T4_T5_T6_T7_T9_mT8_P12ihipStream_tbDpT10_ENKUlT_T0_E_clISt17integral_constantIbLb0EES18_IbLb1EEEEDaS14_S15_EUlS14_E_NS1_11comp_targetILNS1_3genE3ELNS1_11target_archE908ELNS1_3gpuE7ELNS1_3repE0EEENS1_30default_config_static_selectorELNS0_4arch9wavefront6targetE1EEEvT1_,comdat
	.protected	_ZN7rocprim17ROCPRIM_400000_NS6detail17trampoline_kernelINS0_14default_configENS1_25partition_config_selectorILNS1_17partition_subalgoE0EtNS0_10empty_typeEbEEZZNS1_14partition_implILS5_0ELb0ES3_jN6thrust23THRUST_200600_302600_NS6detail15normal_iteratorINSA_10device_ptrItEEEEPS6_SG_NS0_5tupleIJNSA_16discard_iteratorINSA_11use_defaultEEESF_EEENSH_IJSG_SG_EEES6_PlJ7is_evenItEEEE10hipError_tPvRmT3_T4_T5_T6_T7_T9_mT8_P12ihipStream_tbDpT10_ENKUlT_T0_E_clISt17integral_constantIbLb0EES18_IbLb1EEEEDaS14_S15_EUlS14_E_NS1_11comp_targetILNS1_3genE3ELNS1_11target_archE908ELNS1_3gpuE7ELNS1_3repE0EEENS1_30default_config_static_selectorELNS0_4arch9wavefront6targetE1EEEvT1_ ; -- Begin function _ZN7rocprim17ROCPRIM_400000_NS6detail17trampoline_kernelINS0_14default_configENS1_25partition_config_selectorILNS1_17partition_subalgoE0EtNS0_10empty_typeEbEEZZNS1_14partition_implILS5_0ELb0ES3_jN6thrust23THRUST_200600_302600_NS6detail15normal_iteratorINSA_10device_ptrItEEEEPS6_SG_NS0_5tupleIJNSA_16discard_iteratorINSA_11use_defaultEEESF_EEENSH_IJSG_SG_EEES6_PlJ7is_evenItEEEE10hipError_tPvRmT3_T4_T5_T6_T7_T9_mT8_P12ihipStream_tbDpT10_ENKUlT_T0_E_clISt17integral_constantIbLb0EES18_IbLb1EEEEDaS14_S15_EUlS14_E_NS1_11comp_targetILNS1_3genE3ELNS1_11target_archE908ELNS1_3gpuE7ELNS1_3repE0EEENS1_30default_config_static_selectorELNS0_4arch9wavefront6targetE1EEEvT1_
	.globl	_ZN7rocprim17ROCPRIM_400000_NS6detail17trampoline_kernelINS0_14default_configENS1_25partition_config_selectorILNS1_17partition_subalgoE0EtNS0_10empty_typeEbEEZZNS1_14partition_implILS5_0ELb0ES3_jN6thrust23THRUST_200600_302600_NS6detail15normal_iteratorINSA_10device_ptrItEEEEPS6_SG_NS0_5tupleIJNSA_16discard_iteratorINSA_11use_defaultEEESF_EEENSH_IJSG_SG_EEES6_PlJ7is_evenItEEEE10hipError_tPvRmT3_T4_T5_T6_T7_T9_mT8_P12ihipStream_tbDpT10_ENKUlT_T0_E_clISt17integral_constantIbLb0EES18_IbLb1EEEEDaS14_S15_EUlS14_E_NS1_11comp_targetILNS1_3genE3ELNS1_11target_archE908ELNS1_3gpuE7ELNS1_3repE0EEENS1_30default_config_static_selectorELNS0_4arch9wavefront6targetE1EEEvT1_
	.p2align	8
	.type	_ZN7rocprim17ROCPRIM_400000_NS6detail17trampoline_kernelINS0_14default_configENS1_25partition_config_selectorILNS1_17partition_subalgoE0EtNS0_10empty_typeEbEEZZNS1_14partition_implILS5_0ELb0ES3_jN6thrust23THRUST_200600_302600_NS6detail15normal_iteratorINSA_10device_ptrItEEEEPS6_SG_NS0_5tupleIJNSA_16discard_iteratorINSA_11use_defaultEEESF_EEENSH_IJSG_SG_EEES6_PlJ7is_evenItEEEE10hipError_tPvRmT3_T4_T5_T6_T7_T9_mT8_P12ihipStream_tbDpT10_ENKUlT_T0_E_clISt17integral_constantIbLb0EES18_IbLb1EEEEDaS14_S15_EUlS14_E_NS1_11comp_targetILNS1_3genE3ELNS1_11target_archE908ELNS1_3gpuE7ELNS1_3repE0EEENS1_30default_config_static_selectorELNS0_4arch9wavefront6targetE1EEEvT1_,@function
_ZN7rocprim17ROCPRIM_400000_NS6detail17trampoline_kernelINS0_14default_configENS1_25partition_config_selectorILNS1_17partition_subalgoE0EtNS0_10empty_typeEbEEZZNS1_14partition_implILS5_0ELb0ES3_jN6thrust23THRUST_200600_302600_NS6detail15normal_iteratorINSA_10device_ptrItEEEEPS6_SG_NS0_5tupleIJNSA_16discard_iteratorINSA_11use_defaultEEESF_EEENSH_IJSG_SG_EEES6_PlJ7is_evenItEEEE10hipError_tPvRmT3_T4_T5_T6_T7_T9_mT8_P12ihipStream_tbDpT10_ENKUlT_T0_E_clISt17integral_constantIbLb0EES18_IbLb1EEEEDaS14_S15_EUlS14_E_NS1_11comp_targetILNS1_3genE3ELNS1_11target_archE908ELNS1_3gpuE7ELNS1_3repE0EEENS1_30default_config_static_selectorELNS0_4arch9wavefront6targetE1EEEvT1_: ; @_ZN7rocprim17ROCPRIM_400000_NS6detail17trampoline_kernelINS0_14default_configENS1_25partition_config_selectorILNS1_17partition_subalgoE0EtNS0_10empty_typeEbEEZZNS1_14partition_implILS5_0ELb0ES3_jN6thrust23THRUST_200600_302600_NS6detail15normal_iteratorINSA_10device_ptrItEEEEPS6_SG_NS0_5tupleIJNSA_16discard_iteratorINSA_11use_defaultEEESF_EEENSH_IJSG_SG_EEES6_PlJ7is_evenItEEEE10hipError_tPvRmT3_T4_T5_T6_T7_T9_mT8_P12ihipStream_tbDpT10_ENKUlT_T0_E_clISt17integral_constantIbLb0EES18_IbLb1EEEEDaS14_S15_EUlS14_E_NS1_11comp_targetILNS1_3genE3ELNS1_11target_archE908ELNS1_3gpuE7ELNS1_3repE0EEENS1_30default_config_static_selectorELNS0_4arch9wavefront6targetE1EEEvT1_
; %bb.0:
	.section	.rodata,"a",@progbits
	.p2align	6, 0x0
	.amdhsa_kernel _ZN7rocprim17ROCPRIM_400000_NS6detail17trampoline_kernelINS0_14default_configENS1_25partition_config_selectorILNS1_17partition_subalgoE0EtNS0_10empty_typeEbEEZZNS1_14partition_implILS5_0ELb0ES3_jN6thrust23THRUST_200600_302600_NS6detail15normal_iteratorINSA_10device_ptrItEEEEPS6_SG_NS0_5tupleIJNSA_16discard_iteratorINSA_11use_defaultEEESF_EEENSH_IJSG_SG_EEES6_PlJ7is_evenItEEEE10hipError_tPvRmT3_T4_T5_T6_T7_T9_mT8_P12ihipStream_tbDpT10_ENKUlT_T0_E_clISt17integral_constantIbLb0EES18_IbLb1EEEEDaS14_S15_EUlS14_E_NS1_11comp_targetILNS1_3genE3ELNS1_11target_archE908ELNS1_3gpuE7ELNS1_3repE0EEENS1_30default_config_static_selectorELNS0_4arch9wavefront6targetE1EEEvT1_
		.amdhsa_group_segment_fixed_size 0
		.amdhsa_private_segment_fixed_size 0
		.amdhsa_kernarg_size 144
		.amdhsa_user_sgpr_count 2
		.amdhsa_user_sgpr_dispatch_ptr 0
		.amdhsa_user_sgpr_queue_ptr 0
		.amdhsa_user_sgpr_kernarg_segment_ptr 1
		.amdhsa_user_sgpr_dispatch_id 0
		.amdhsa_user_sgpr_kernarg_preload_length 0
		.amdhsa_user_sgpr_kernarg_preload_offset 0
		.amdhsa_user_sgpr_private_segment_size 0
		.amdhsa_uses_dynamic_stack 0
		.amdhsa_enable_private_segment 0
		.amdhsa_system_sgpr_workgroup_id_x 1
		.amdhsa_system_sgpr_workgroup_id_y 0
		.amdhsa_system_sgpr_workgroup_id_z 0
		.amdhsa_system_sgpr_workgroup_info 0
		.amdhsa_system_vgpr_workitem_id 0
		.amdhsa_next_free_vgpr 1
		.amdhsa_next_free_sgpr 0
		.amdhsa_accum_offset 4
		.amdhsa_reserve_vcc 0
		.amdhsa_float_round_mode_32 0
		.amdhsa_float_round_mode_16_64 0
		.amdhsa_float_denorm_mode_32 3
		.amdhsa_float_denorm_mode_16_64 3
		.amdhsa_dx10_clamp 1
		.amdhsa_ieee_mode 1
		.amdhsa_fp16_overflow 0
		.amdhsa_tg_split 0
		.amdhsa_exception_fp_ieee_invalid_op 0
		.amdhsa_exception_fp_denorm_src 0
		.amdhsa_exception_fp_ieee_div_zero 0
		.amdhsa_exception_fp_ieee_overflow 0
		.amdhsa_exception_fp_ieee_underflow 0
		.amdhsa_exception_fp_ieee_inexact 0
		.amdhsa_exception_int_div_zero 0
	.end_amdhsa_kernel
	.section	.text._ZN7rocprim17ROCPRIM_400000_NS6detail17trampoline_kernelINS0_14default_configENS1_25partition_config_selectorILNS1_17partition_subalgoE0EtNS0_10empty_typeEbEEZZNS1_14partition_implILS5_0ELb0ES3_jN6thrust23THRUST_200600_302600_NS6detail15normal_iteratorINSA_10device_ptrItEEEEPS6_SG_NS0_5tupleIJNSA_16discard_iteratorINSA_11use_defaultEEESF_EEENSH_IJSG_SG_EEES6_PlJ7is_evenItEEEE10hipError_tPvRmT3_T4_T5_T6_T7_T9_mT8_P12ihipStream_tbDpT10_ENKUlT_T0_E_clISt17integral_constantIbLb0EES18_IbLb1EEEEDaS14_S15_EUlS14_E_NS1_11comp_targetILNS1_3genE3ELNS1_11target_archE908ELNS1_3gpuE7ELNS1_3repE0EEENS1_30default_config_static_selectorELNS0_4arch9wavefront6targetE1EEEvT1_,"axG",@progbits,_ZN7rocprim17ROCPRIM_400000_NS6detail17trampoline_kernelINS0_14default_configENS1_25partition_config_selectorILNS1_17partition_subalgoE0EtNS0_10empty_typeEbEEZZNS1_14partition_implILS5_0ELb0ES3_jN6thrust23THRUST_200600_302600_NS6detail15normal_iteratorINSA_10device_ptrItEEEEPS6_SG_NS0_5tupleIJNSA_16discard_iteratorINSA_11use_defaultEEESF_EEENSH_IJSG_SG_EEES6_PlJ7is_evenItEEEE10hipError_tPvRmT3_T4_T5_T6_T7_T9_mT8_P12ihipStream_tbDpT10_ENKUlT_T0_E_clISt17integral_constantIbLb0EES18_IbLb1EEEEDaS14_S15_EUlS14_E_NS1_11comp_targetILNS1_3genE3ELNS1_11target_archE908ELNS1_3gpuE7ELNS1_3repE0EEENS1_30default_config_static_selectorELNS0_4arch9wavefront6targetE1EEEvT1_,comdat
.Lfunc_end2582:
	.size	_ZN7rocprim17ROCPRIM_400000_NS6detail17trampoline_kernelINS0_14default_configENS1_25partition_config_selectorILNS1_17partition_subalgoE0EtNS0_10empty_typeEbEEZZNS1_14partition_implILS5_0ELb0ES3_jN6thrust23THRUST_200600_302600_NS6detail15normal_iteratorINSA_10device_ptrItEEEEPS6_SG_NS0_5tupleIJNSA_16discard_iteratorINSA_11use_defaultEEESF_EEENSH_IJSG_SG_EEES6_PlJ7is_evenItEEEE10hipError_tPvRmT3_T4_T5_T6_T7_T9_mT8_P12ihipStream_tbDpT10_ENKUlT_T0_E_clISt17integral_constantIbLb0EES18_IbLb1EEEEDaS14_S15_EUlS14_E_NS1_11comp_targetILNS1_3genE3ELNS1_11target_archE908ELNS1_3gpuE7ELNS1_3repE0EEENS1_30default_config_static_selectorELNS0_4arch9wavefront6targetE1EEEvT1_, .Lfunc_end2582-_ZN7rocprim17ROCPRIM_400000_NS6detail17trampoline_kernelINS0_14default_configENS1_25partition_config_selectorILNS1_17partition_subalgoE0EtNS0_10empty_typeEbEEZZNS1_14partition_implILS5_0ELb0ES3_jN6thrust23THRUST_200600_302600_NS6detail15normal_iteratorINSA_10device_ptrItEEEEPS6_SG_NS0_5tupleIJNSA_16discard_iteratorINSA_11use_defaultEEESF_EEENSH_IJSG_SG_EEES6_PlJ7is_evenItEEEE10hipError_tPvRmT3_T4_T5_T6_T7_T9_mT8_P12ihipStream_tbDpT10_ENKUlT_T0_E_clISt17integral_constantIbLb0EES18_IbLb1EEEEDaS14_S15_EUlS14_E_NS1_11comp_targetILNS1_3genE3ELNS1_11target_archE908ELNS1_3gpuE7ELNS1_3repE0EEENS1_30default_config_static_selectorELNS0_4arch9wavefront6targetE1EEEvT1_
                                        ; -- End function
	.section	.AMDGPU.csdata,"",@progbits
; Kernel info:
; codeLenInByte = 0
; NumSgprs: 6
; NumVgprs: 0
; NumAgprs: 0
; TotalNumVgprs: 0
; ScratchSize: 0
; MemoryBound: 0
; FloatMode: 240
; IeeeMode: 1
; LDSByteSize: 0 bytes/workgroup (compile time only)
; SGPRBlocks: 0
; VGPRBlocks: 0
; NumSGPRsForWavesPerEU: 6
; NumVGPRsForWavesPerEU: 1
; AccumOffset: 4
; Occupancy: 8
; WaveLimiterHint : 0
; COMPUTE_PGM_RSRC2:SCRATCH_EN: 0
; COMPUTE_PGM_RSRC2:USER_SGPR: 2
; COMPUTE_PGM_RSRC2:TRAP_HANDLER: 0
; COMPUTE_PGM_RSRC2:TGID_X_EN: 1
; COMPUTE_PGM_RSRC2:TGID_Y_EN: 0
; COMPUTE_PGM_RSRC2:TGID_Z_EN: 0
; COMPUTE_PGM_RSRC2:TIDIG_COMP_CNT: 0
; COMPUTE_PGM_RSRC3_GFX90A:ACCUM_OFFSET: 0
; COMPUTE_PGM_RSRC3_GFX90A:TG_SPLIT: 0
	.section	.text._ZN7rocprim17ROCPRIM_400000_NS6detail17trampoline_kernelINS0_14default_configENS1_25partition_config_selectorILNS1_17partition_subalgoE0EtNS0_10empty_typeEbEEZZNS1_14partition_implILS5_0ELb0ES3_jN6thrust23THRUST_200600_302600_NS6detail15normal_iteratorINSA_10device_ptrItEEEEPS6_SG_NS0_5tupleIJNSA_16discard_iteratorINSA_11use_defaultEEESF_EEENSH_IJSG_SG_EEES6_PlJ7is_evenItEEEE10hipError_tPvRmT3_T4_T5_T6_T7_T9_mT8_P12ihipStream_tbDpT10_ENKUlT_T0_E_clISt17integral_constantIbLb0EES18_IbLb1EEEEDaS14_S15_EUlS14_E_NS1_11comp_targetILNS1_3genE2ELNS1_11target_archE906ELNS1_3gpuE6ELNS1_3repE0EEENS1_30default_config_static_selectorELNS0_4arch9wavefront6targetE1EEEvT1_,"axG",@progbits,_ZN7rocprim17ROCPRIM_400000_NS6detail17trampoline_kernelINS0_14default_configENS1_25partition_config_selectorILNS1_17partition_subalgoE0EtNS0_10empty_typeEbEEZZNS1_14partition_implILS5_0ELb0ES3_jN6thrust23THRUST_200600_302600_NS6detail15normal_iteratorINSA_10device_ptrItEEEEPS6_SG_NS0_5tupleIJNSA_16discard_iteratorINSA_11use_defaultEEESF_EEENSH_IJSG_SG_EEES6_PlJ7is_evenItEEEE10hipError_tPvRmT3_T4_T5_T6_T7_T9_mT8_P12ihipStream_tbDpT10_ENKUlT_T0_E_clISt17integral_constantIbLb0EES18_IbLb1EEEEDaS14_S15_EUlS14_E_NS1_11comp_targetILNS1_3genE2ELNS1_11target_archE906ELNS1_3gpuE6ELNS1_3repE0EEENS1_30default_config_static_selectorELNS0_4arch9wavefront6targetE1EEEvT1_,comdat
	.protected	_ZN7rocprim17ROCPRIM_400000_NS6detail17trampoline_kernelINS0_14default_configENS1_25partition_config_selectorILNS1_17partition_subalgoE0EtNS0_10empty_typeEbEEZZNS1_14partition_implILS5_0ELb0ES3_jN6thrust23THRUST_200600_302600_NS6detail15normal_iteratorINSA_10device_ptrItEEEEPS6_SG_NS0_5tupleIJNSA_16discard_iteratorINSA_11use_defaultEEESF_EEENSH_IJSG_SG_EEES6_PlJ7is_evenItEEEE10hipError_tPvRmT3_T4_T5_T6_T7_T9_mT8_P12ihipStream_tbDpT10_ENKUlT_T0_E_clISt17integral_constantIbLb0EES18_IbLb1EEEEDaS14_S15_EUlS14_E_NS1_11comp_targetILNS1_3genE2ELNS1_11target_archE906ELNS1_3gpuE6ELNS1_3repE0EEENS1_30default_config_static_selectorELNS0_4arch9wavefront6targetE1EEEvT1_ ; -- Begin function _ZN7rocprim17ROCPRIM_400000_NS6detail17trampoline_kernelINS0_14default_configENS1_25partition_config_selectorILNS1_17partition_subalgoE0EtNS0_10empty_typeEbEEZZNS1_14partition_implILS5_0ELb0ES3_jN6thrust23THRUST_200600_302600_NS6detail15normal_iteratorINSA_10device_ptrItEEEEPS6_SG_NS0_5tupleIJNSA_16discard_iteratorINSA_11use_defaultEEESF_EEENSH_IJSG_SG_EEES6_PlJ7is_evenItEEEE10hipError_tPvRmT3_T4_T5_T6_T7_T9_mT8_P12ihipStream_tbDpT10_ENKUlT_T0_E_clISt17integral_constantIbLb0EES18_IbLb1EEEEDaS14_S15_EUlS14_E_NS1_11comp_targetILNS1_3genE2ELNS1_11target_archE906ELNS1_3gpuE6ELNS1_3repE0EEENS1_30default_config_static_selectorELNS0_4arch9wavefront6targetE1EEEvT1_
	.globl	_ZN7rocprim17ROCPRIM_400000_NS6detail17trampoline_kernelINS0_14default_configENS1_25partition_config_selectorILNS1_17partition_subalgoE0EtNS0_10empty_typeEbEEZZNS1_14partition_implILS5_0ELb0ES3_jN6thrust23THRUST_200600_302600_NS6detail15normal_iteratorINSA_10device_ptrItEEEEPS6_SG_NS0_5tupleIJNSA_16discard_iteratorINSA_11use_defaultEEESF_EEENSH_IJSG_SG_EEES6_PlJ7is_evenItEEEE10hipError_tPvRmT3_T4_T5_T6_T7_T9_mT8_P12ihipStream_tbDpT10_ENKUlT_T0_E_clISt17integral_constantIbLb0EES18_IbLb1EEEEDaS14_S15_EUlS14_E_NS1_11comp_targetILNS1_3genE2ELNS1_11target_archE906ELNS1_3gpuE6ELNS1_3repE0EEENS1_30default_config_static_selectorELNS0_4arch9wavefront6targetE1EEEvT1_
	.p2align	8
	.type	_ZN7rocprim17ROCPRIM_400000_NS6detail17trampoline_kernelINS0_14default_configENS1_25partition_config_selectorILNS1_17partition_subalgoE0EtNS0_10empty_typeEbEEZZNS1_14partition_implILS5_0ELb0ES3_jN6thrust23THRUST_200600_302600_NS6detail15normal_iteratorINSA_10device_ptrItEEEEPS6_SG_NS0_5tupleIJNSA_16discard_iteratorINSA_11use_defaultEEESF_EEENSH_IJSG_SG_EEES6_PlJ7is_evenItEEEE10hipError_tPvRmT3_T4_T5_T6_T7_T9_mT8_P12ihipStream_tbDpT10_ENKUlT_T0_E_clISt17integral_constantIbLb0EES18_IbLb1EEEEDaS14_S15_EUlS14_E_NS1_11comp_targetILNS1_3genE2ELNS1_11target_archE906ELNS1_3gpuE6ELNS1_3repE0EEENS1_30default_config_static_selectorELNS0_4arch9wavefront6targetE1EEEvT1_,@function
_ZN7rocprim17ROCPRIM_400000_NS6detail17trampoline_kernelINS0_14default_configENS1_25partition_config_selectorILNS1_17partition_subalgoE0EtNS0_10empty_typeEbEEZZNS1_14partition_implILS5_0ELb0ES3_jN6thrust23THRUST_200600_302600_NS6detail15normal_iteratorINSA_10device_ptrItEEEEPS6_SG_NS0_5tupleIJNSA_16discard_iteratorINSA_11use_defaultEEESF_EEENSH_IJSG_SG_EEES6_PlJ7is_evenItEEEE10hipError_tPvRmT3_T4_T5_T6_T7_T9_mT8_P12ihipStream_tbDpT10_ENKUlT_T0_E_clISt17integral_constantIbLb0EES18_IbLb1EEEEDaS14_S15_EUlS14_E_NS1_11comp_targetILNS1_3genE2ELNS1_11target_archE906ELNS1_3gpuE6ELNS1_3repE0EEENS1_30default_config_static_selectorELNS0_4arch9wavefront6targetE1EEEvT1_: ; @_ZN7rocprim17ROCPRIM_400000_NS6detail17trampoline_kernelINS0_14default_configENS1_25partition_config_selectorILNS1_17partition_subalgoE0EtNS0_10empty_typeEbEEZZNS1_14partition_implILS5_0ELb0ES3_jN6thrust23THRUST_200600_302600_NS6detail15normal_iteratorINSA_10device_ptrItEEEEPS6_SG_NS0_5tupleIJNSA_16discard_iteratorINSA_11use_defaultEEESF_EEENSH_IJSG_SG_EEES6_PlJ7is_evenItEEEE10hipError_tPvRmT3_T4_T5_T6_T7_T9_mT8_P12ihipStream_tbDpT10_ENKUlT_T0_E_clISt17integral_constantIbLb0EES18_IbLb1EEEEDaS14_S15_EUlS14_E_NS1_11comp_targetILNS1_3genE2ELNS1_11target_archE906ELNS1_3gpuE6ELNS1_3repE0EEENS1_30default_config_static_selectorELNS0_4arch9wavefront6targetE1EEEvT1_
; %bb.0:
	.section	.rodata,"a",@progbits
	.p2align	6, 0x0
	.amdhsa_kernel _ZN7rocprim17ROCPRIM_400000_NS6detail17trampoline_kernelINS0_14default_configENS1_25partition_config_selectorILNS1_17partition_subalgoE0EtNS0_10empty_typeEbEEZZNS1_14partition_implILS5_0ELb0ES3_jN6thrust23THRUST_200600_302600_NS6detail15normal_iteratorINSA_10device_ptrItEEEEPS6_SG_NS0_5tupleIJNSA_16discard_iteratorINSA_11use_defaultEEESF_EEENSH_IJSG_SG_EEES6_PlJ7is_evenItEEEE10hipError_tPvRmT3_T4_T5_T6_T7_T9_mT8_P12ihipStream_tbDpT10_ENKUlT_T0_E_clISt17integral_constantIbLb0EES18_IbLb1EEEEDaS14_S15_EUlS14_E_NS1_11comp_targetILNS1_3genE2ELNS1_11target_archE906ELNS1_3gpuE6ELNS1_3repE0EEENS1_30default_config_static_selectorELNS0_4arch9wavefront6targetE1EEEvT1_
		.amdhsa_group_segment_fixed_size 0
		.amdhsa_private_segment_fixed_size 0
		.amdhsa_kernarg_size 144
		.amdhsa_user_sgpr_count 2
		.amdhsa_user_sgpr_dispatch_ptr 0
		.amdhsa_user_sgpr_queue_ptr 0
		.amdhsa_user_sgpr_kernarg_segment_ptr 1
		.amdhsa_user_sgpr_dispatch_id 0
		.amdhsa_user_sgpr_kernarg_preload_length 0
		.amdhsa_user_sgpr_kernarg_preload_offset 0
		.amdhsa_user_sgpr_private_segment_size 0
		.amdhsa_uses_dynamic_stack 0
		.amdhsa_enable_private_segment 0
		.amdhsa_system_sgpr_workgroup_id_x 1
		.amdhsa_system_sgpr_workgroup_id_y 0
		.amdhsa_system_sgpr_workgroup_id_z 0
		.amdhsa_system_sgpr_workgroup_info 0
		.amdhsa_system_vgpr_workitem_id 0
		.amdhsa_next_free_vgpr 1
		.amdhsa_next_free_sgpr 0
		.amdhsa_accum_offset 4
		.amdhsa_reserve_vcc 0
		.amdhsa_float_round_mode_32 0
		.amdhsa_float_round_mode_16_64 0
		.amdhsa_float_denorm_mode_32 3
		.amdhsa_float_denorm_mode_16_64 3
		.amdhsa_dx10_clamp 1
		.amdhsa_ieee_mode 1
		.amdhsa_fp16_overflow 0
		.amdhsa_tg_split 0
		.amdhsa_exception_fp_ieee_invalid_op 0
		.amdhsa_exception_fp_denorm_src 0
		.amdhsa_exception_fp_ieee_div_zero 0
		.amdhsa_exception_fp_ieee_overflow 0
		.amdhsa_exception_fp_ieee_underflow 0
		.amdhsa_exception_fp_ieee_inexact 0
		.amdhsa_exception_int_div_zero 0
	.end_amdhsa_kernel
	.section	.text._ZN7rocprim17ROCPRIM_400000_NS6detail17trampoline_kernelINS0_14default_configENS1_25partition_config_selectorILNS1_17partition_subalgoE0EtNS0_10empty_typeEbEEZZNS1_14partition_implILS5_0ELb0ES3_jN6thrust23THRUST_200600_302600_NS6detail15normal_iteratorINSA_10device_ptrItEEEEPS6_SG_NS0_5tupleIJNSA_16discard_iteratorINSA_11use_defaultEEESF_EEENSH_IJSG_SG_EEES6_PlJ7is_evenItEEEE10hipError_tPvRmT3_T4_T5_T6_T7_T9_mT8_P12ihipStream_tbDpT10_ENKUlT_T0_E_clISt17integral_constantIbLb0EES18_IbLb1EEEEDaS14_S15_EUlS14_E_NS1_11comp_targetILNS1_3genE2ELNS1_11target_archE906ELNS1_3gpuE6ELNS1_3repE0EEENS1_30default_config_static_selectorELNS0_4arch9wavefront6targetE1EEEvT1_,"axG",@progbits,_ZN7rocprim17ROCPRIM_400000_NS6detail17trampoline_kernelINS0_14default_configENS1_25partition_config_selectorILNS1_17partition_subalgoE0EtNS0_10empty_typeEbEEZZNS1_14partition_implILS5_0ELb0ES3_jN6thrust23THRUST_200600_302600_NS6detail15normal_iteratorINSA_10device_ptrItEEEEPS6_SG_NS0_5tupleIJNSA_16discard_iteratorINSA_11use_defaultEEESF_EEENSH_IJSG_SG_EEES6_PlJ7is_evenItEEEE10hipError_tPvRmT3_T4_T5_T6_T7_T9_mT8_P12ihipStream_tbDpT10_ENKUlT_T0_E_clISt17integral_constantIbLb0EES18_IbLb1EEEEDaS14_S15_EUlS14_E_NS1_11comp_targetILNS1_3genE2ELNS1_11target_archE906ELNS1_3gpuE6ELNS1_3repE0EEENS1_30default_config_static_selectorELNS0_4arch9wavefront6targetE1EEEvT1_,comdat
.Lfunc_end2583:
	.size	_ZN7rocprim17ROCPRIM_400000_NS6detail17trampoline_kernelINS0_14default_configENS1_25partition_config_selectorILNS1_17partition_subalgoE0EtNS0_10empty_typeEbEEZZNS1_14partition_implILS5_0ELb0ES3_jN6thrust23THRUST_200600_302600_NS6detail15normal_iteratorINSA_10device_ptrItEEEEPS6_SG_NS0_5tupleIJNSA_16discard_iteratorINSA_11use_defaultEEESF_EEENSH_IJSG_SG_EEES6_PlJ7is_evenItEEEE10hipError_tPvRmT3_T4_T5_T6_T7_T9_mT8_P12ihipStream_tbDpT10_ENKUlT_T0_E_clISt17integral_constantIbLb0EES18_IbLb1EEEEDaS14_S15_EUlS14_E_NS1_11comp_targetILNS1_3genE2ELNS1_11target_archE906ELNS1_3gpuE6ELNS1_3repE0EEENS1_30default_config_static_selectorELNS0_4arch9wavefront6targetE1EEEvT1_, .Lfunc_end2583-_ZN7rocprim17ROCPRIM_400000_NS6detail17trampoline_kernelINS0_14default_configENS1_25partition_config_selectorILNS1_17partition_subalgoE0EtNS0_10empty_typeEbEEZZNS1_14partition_implILS5_0ELb0ES3_jN6thrust23THRUST_200600_302600_NS6detail15normal_iteratorINSA_10device_ptrItEEEEPS6_SG_NS0_5tupleIJNSA_16discard_iteratorINSA_11use_defaultEEESF_EEENSH_IJSG_SG_EEES6_PlJ7is_evenItEEEE10hipError_tPvRmT3_T4_T5_T6_T7_T9_mT8_P12ihipStream_tbDpT10_ENKUlT_T0_E_clISt17integral_constantIbLb0EES18_IbLb1EEEEDaS14_S15_EUlS14_E_NS1_11comp_targetILNS1_3genE2ELNS1_11target_archE906ELNS1_3gpuE6ELNS1_3repE0EEENS1_30default_config_static_selectorELNS0_4arch9wavefront6targetE1EEEvT1_
                                        ; -- End function
	.section	.AMDGPU.csdata,"",@progbits
; Kernel info:
; codeLenInByte = 0
; NumSgprs: 6
; NumVgprs: 0
; NumAgprs: 0
; TotalNumVgprs: 0
; ScratchSize: 0
; MemoryBound: 0
; FloatMode: 240
; IeeeMode: 1
; LDSByteSize: 0 bytes/workgroup (compile time only)
; SGPRBlocks: 0
; VGPRBlocks: 0
; NumSGPRsForWavesPerEU: 6
; NumVGPRsForWavesPerEU: 1
; AccumOffset: 4
; Occupancy: 8
; WaveLimiterHint : 0
; COMPUTE_PGM_RSRC2:SCRATCH_EN: 0
; COMPUTE_PGM_RSRC2:USER_SGPR: 2
; COMPUTE_PGM_RSRC2:TRAP_HANDLER: 0
; COMPUTE_PGM_RSRC2:TGID_X_EN: 1
; COMPUTE_PGM_RSRC2:TGID_Y_EN: 0
; COMPUTE_PGM_RSRC2:TGID_Z_EN: 0
; COMPUTE_PGM_RSRC2:TIDIG_COMP_CNT: 0
; COMPUTE_PGM_RSRC3_GFX90A:ACCUM_OFFSET: 0
; COMPUTE_PGM_RSRC3_GFX90A:TG_SPLIT: 0
	.section	.text._ZN7rocprim17ROCPRIM_400000_NS6detail17trampoline_kernelINS0_14default_configENS1_25partition_config_selectorILNS1_17partition_subalgoE0EtNS0_10empty_typeEbEEZZNS1_14partition_implILS5_0ELb0ES3_jN6thrust23THRUST_200600_302600_NS6detail15normal_iteratorINSA_10device_ptrItEEEEPS6_SG_NS0_5tupleIJNSA_16discard_iteratorINSA_11use_defaultEEESF_EEENSH_IJSG_SG_EEES6_PlJ7is_evenItEEEE10hipError_tPvRmT3_T4_T5_T6_T7_T9_mT8_P12ihipStream_tbDpT10_ENKUlT_T0_E_clISt17integral_constantIbLb0EES18_IbLb1EEEEDaS14_S15_EUlS14_E_NS1_11comp_targetILNS1_3genE10ELNS1_11target_archE1200ELNS1_3gpuE4ELNS1_3repE0EEENS1_30default_config_static_selectorELNS0_4arch9wavefront6targetE1EEEvT1_,"axG",@progbits,_ZN7rocprim17ROCPRIM_400000_NS6detail17trampoline_kernelINS0_14default_configENS1_25partition_config_selectorILNS1_17partition_subalgoE0EtNS0_10empty_typeEbEEZZNS1_14partition_implILS5_0ELb0ES3_jN6thrust23THRUST_200600_302600_NS6detail15normal_iteratorINSA_10device_ptrItEEEEPS6_SG_NS0_5tupleIJNSA_16discard_iteratorINSA_11use_defaultEEESF_EEENSH_IJSG_SG_EEES6_PlJ7is_evenItEEEE10hipError_tPvRmT3_T4_T5_T6_T7_T9_mT8_P12ihipStream_tbDpT10_ENKUlT_T0_E_clISt17integral_constantIbLb0EES18_IbLb1EEEEDaS14_S15_EUlS14_E_NS1_11comp_targetILNS1_3genE10ELNS1_11target_archE1200ELNS1_3gpuE4ELNS1_3repE0EEENS1_30default_config_static_selectorELNS0_4arch9wavefront6targetE1EEEvT1_,comdat
	.protected	_ZN7rocprim17ROCPRIM_400000_NS6detail17trampoline_kernelINS0_14default_configENS1_25partition_config_selectorILNS1_17partition_subalgoE0EtNS0_10empty_typeEbEEZZNS1_14partition_implILS5_0ELb0ES3_jN6thrust23THRUST_200600_302600_NS6detail15normal_iteratorINSA_10device_ptrItEEEEPS6_SG_NS0_5tupleIJNSA_16discard_iteratorINSA_11use_defaultEEESF_EEENSH_IJSG_SG_EEES6_PlJ7is_evenItEEEE10hipError_tPvRmT3_T4_T5_T6_T7_T9_mT8_P12ihipStream_tbDpT10_ENKUlT_T0_E_clISt17integral_constantIbLb0EES18_IbLb1EEEEDaS14_S15_EUlS14_E_NS1_11comp_targetILNS1_3genE10ELNS1_11target_archE1200ELNS1_3gpuE4ELNS1_3repE0EEENS1_30default_config_static_selectorELNS0_4arch9wavefront6targetE1EEEvT1_ ; -- Begin function _ZN7rocprim17ROCPRIM_400000_NS6detail17trampoline_kernelINS0_14default_configENS1_25partition_config_selectorILNS1_17partition_subalgoE0EtNS0_10empty_typeEbEEZZNS1_14partition_implILS5_0ELb0ES3_jN6thrust23THRUST_200600_302600_NS6detail15normal_iteratorINSA_10device_ptrItEEEEPS6_SG_NS0_5tupleIJNSA_16discard_iteratorINSA_11use_defaultEEESF_EEENSH_IJSG_SG_EEES6_PlJ7is_evenItEEEE10hipError_tPvRmT3_T4_T5_T6_T7_T9_mT8_P12ihipStream_tbDpT10_ENKUlT_T0_E_clISt17integral_constantIbLb0EES18_IbLb1EEEEDaS14_S15_EUlS14_E_NS1_11comp_targetILNS1_3genE10ELNS1_11target_archE1200ELNS1_3gpuE4ELNS1_3repE0EEENS1_30default_config_static_selectorELNS0_4arch9wavefront6targetE1EEEvT1_
	.globl	_ZN7rocprim17ROCPRIM_400000_NS6detail17trampoline_kernelINS0_14default_configENS1_25partition_config_selectorILNS1_17partition_subalgoE0EtNS0_10empty_typeEbEEZZNS1_14partition_implILS5_0ELb0ES3_jN6thrust23THRUST_200600_302600_NS6detail15normal_iteratorINSA_10device_ptrItEEEEPS6_SG_NS0_5tupleIJNSA_16discard_iteratorINSA_11use_defaultEEESF_EEENSH_IJSG_SG_EEES6_PlJ7is_evenItEEEE10hipError_tPvRmT3_T4_T5_T6_T7_T9_mT8_P12ihipStream_tbDpT10_ENKUlT_T0_E_clISt17integral_constantIbLb0EES18_IbLb1EEEEDaS14_S15_EUlS14_E_NS1_11comp_targetILNS1_3genE10ELNS1_11target_archE1200ELNS1_3gpuE4ELNS1_3repE0EEENS1_30default_config_static_selectorELNS0_4arch9wavefront6targetE1EEEvT1_
	.p2align	8
	.type	_ZN7rocprim17ROCPRIM_400000_NS6detail17trampoline_kernelINS0_14default_configENS1_25partition_config_selectorILNS1_17partition_subalgoE0EtNS0_10empty_typeEbEEZZNS1_14partition_implILS5_0ELb0ES3_jN6thrust23THRUST_200600_302600_NS6detail15normal_iteratorINSA_10device_ptrItEEEEPS6_SG_NS0_5tupleIJNSA_16discard_iteratorINSA_11use_defaultEEESF_EEENSH_IJSG_SG_EEES6_PlJ7is_evenItEEEE10hipError_tPvRmT3_T4_T5_T6_T7_T9_mT8_P12ihipStream_tbDpT10_ENKUlT_T0_E_clISt17integral_constantIbLb0EES18_IbLb1EEEEDaS14_S15_EUlS14_E_NS1_11comp_targetILNS1_3genE10ELNS1_11target_archE1200ELNS1_3gpuE4ELNS1_3repE0EEENS1_30default_config_static_selectorELNS0_4arch9wavefront6targetE1EEEvT1_,@function
_ZN7rocprim17ROCPRIM_400000_NS6detail17trampoline_kernelINS0_14default_configENS1_25partition_config_selectorILNS1_17partition_subalgoE0EtNS0_10empty_typeEbEEZZNS1_14partition_implILS5_0ELb0ES3_jN6thrust23THRUST_200600_302600_NS6detail15normal_iteratorINSA_10device_ptrItEEEEPS6_SG_NS0_5tupleIJNSA_16discard_iteratorINSA_11use_defaultEEESF_EEENSH_IJSG_SG_EEES6_PlJ7is_evenItEEEE10hipError_tPvRmT3_T4_T5_T6_T7_T9_mT8_P12ihipStream_tbDpT10_ENKUlT_T0_E_clISt17integral_constantIbLb0EES18_IbLb1EEEEDaS14_S15_EUlS14_E_NS1_11comp_targetILNS1_3genE10ELNS1_11target_archE1200ELNS1_3gpuE4ELNS1_3repE0EEENS1_30default_config_static_selectorELNS0_4arch9wavefront6targetE1EEEvT1_: ; @_ZN7rocprim17ROCPRIM_400000_NS6detail17trampoline_kernelINS0_14default_configENS1_25partition_config_selectorILNS1_17partition_subalgoE0EtNS0_10empty_typeEbEEZZNS1_14partition_implILS5_0ELb0ES3_jN6thrust23THRUST_200600_302600_NS6detail15normal_iteratorINSA_10device_ptrItEEEEPS6_SG_NS0_5tupleIJNSA_16discard_iteratorINSA_11use_defaultEEESF_EEENSH_IJSG_SG_EEES6_PlJ7is_evenItEEEE10hipError_tPvRmT3_T4_T5_T6_T7_T9_mT8_P12ihipStream_tbDpT10_ENKUlT_T0_E_clISt17integral_constantIbLb0EES18_IbLb1EEEEDaS14_S15_EUlS14_E_NS1_11comp_targetILNS1_3genE10ELNS1_11target_archE1200ELNS1_3gpuE4ELNS1_3repE0EEENS1_30default_config_static_selectorELNS0_4arch9wavefront6targetE1EEEvT1_
; %bb.0:
	.section	.rodata,"a",@progbits
	.p2align	6, 0x0
	.amdhsa_kernel _ZN7rocprim17ROCPRIM_400000_NS6detail17trampoline_kernelINS0_14default_configENS1_25partition_config_selectorILNS1_17partition_subalgoE0EtNS0_10empty_typeEbEEZZNS1_14partition_implILS5_0ELb0ES3_jN6thrust23THRUST_200600_302600_NS6detail15normal_iteratorINSA_10device_ptrItEEEEPS6_SG_NS0_5tupleIJNSA_16discard_iteratorINSA_11use_defaultEEESF_EEENSH_IJSG_SG_EEES6_PlJ7is_evenItEEEE10hipError_tPvRmT3_T4_T5_T6_T7_T9_mT8_P12ihipStream_tbDpT10_ENKUlT_T0_E_clISt17integral_constantIbLb0EES18_IbLb1EEEEDaS14_S15_EUlS14_E_NS1_11comp_targetILNS1_3genE10ELNS1_11target_archE1200ELNS1_3gpuE4ELNS1_3repE0EEENS1_30default_config_static_selectorELNS0_4arch9wavefront6targetE1EEEvT1_
		.amdhsa_group_segment_fixed_size 0
		.amdhsa_private_segment_fixed_size 0
		.amdhsa_kernarg_size 144
		.amdhsa_user_sgpr_count 2
		.amdhsa_user_sgpr_dispatch_ptr 0
		.amdhsa_user_sgpr_queue_ptr 0
		.amdhsa_user_sgpr_kernarg_segment_ptr 1
		.amdhsa_user_sgpr_dispatch_id 0
		.amdhsa_user_sgpr_kernarg_preload_length 0
		.amdhsa_user_sgpr_kernarg_preload_offset 0
		.amdhsa_user_sgpr_private_segment_size 0
		.amdhsa_uses_dynamic_stack 0
		.amdhsa_enable_private_segment 0
		.amdhsa_system_sgpr_workgroup_id_x 1
		.amdhsa_system_sgpr_workgroup_id_y 0
		.amdhsa_system_sgpr_workgroup_id_z 0
		.amdhsa_system_sgpr_workgroup_info 0
		.amdhsa_system_vgpr_workitem_id 0
		.amdhsa_next_free_vgpr 1
		.amdhsa_next_free_sgpr 0
		.amdhsa_accum_offset 4
		.amdhsa_reserve_vcc 0
		.amdhsa_float_round_mode_32 0
		.amdhsa_float_round_mode_16_64 0
		.amdhsa_float_denorm_mode_32 3
		.amdhsa_float_denorm_mode_16_64 3
		.amdhsa_dx10_clamp 1
		.amdhsa_ieee_mode 1
		.amdhsa_fp16_overflow 0
		.amdhsa_tg_split 0
		.amdhsa_exception_fp_ieee_invalid_op 0
		.amdhsa_exception_fp_denorm_src 0
		.amdhsa_exception_fp_ieee_div_zero 0
		.amdhsa_exception_fp_ieee_overflow 0
		.amdhsa_exception_fp_ieee_underflow 0
		.amdhsa_exception_fp_ieee_inexact 0
		.amdhsa_exception_int_div_zero 0
	.end_amdhsa_kernel
	.section	.text._ZN7rocprim17ROCPRIM_400000_NS6detail17trampoline_kernelINS0_14default_configENS1_25partition_config_selectorILNS1_17partition_subalgoE0EtNS0_10empty_typeEbEEZZNS1_14partition_implILS5_0ELb0ES3_jN6thrust23THRUST_200600_302600_NS6detail15normal_iteratorINSA_10device_ptrItEEEEPS6_SG_NS0_5tupleIJNSA_16discard_iteratorINSA_11use_defaultEEESF_EEENSH_IJSG_SG_EEES6_PlJ7is_evenItEEEE10hipError_tPvRmT3_T4_T5_T6_T7_T9_mT8_P12ihipStream_tbDpT10_ENKUlT_T0_E_clISt17integral_constantIbLb0EES18_IbLb1EEEEDaS14_S15_EUlS14_E_NS1_11comp_targetILNS1_3genE10ELNS1_11target_archE1200ELNS1_3gpuE4ELNS1_3repE0EEENS1_30default_config_static_selectorELNS0_4arch9wavefront6targetE1EEEvT1_,"axG",@progbits,_ZN7rocprim17ROCPRIM_400000_NS6detail17trampoline_kernelINS0_14default_configENS1_25partition_config_selectorILNS1_17partition_subalgoE0EtNS0_10empty_typeEbEEZZNS1_14partition_implILS5_0ELb0ES3_jN6thrust23THRUST_200600_302600_NS6detail15normal_iteratorINSA_10device_ptrItEEEEPS6_SG_NS0_5tupleIJNSA_16discard_iteratorINSA_11use_defaultEEESF_EEENSH_IJSG_SG_EEES6_PlJ7is_evenItEEEE10hipError_tPvRmT3_T4_T5_T6_T7_T9_mT8_P12ihipStream_tbDpT10_ENKUlT_T0_E_clISt17integral_constantIbLb0EES18_IbLb1EEEEDaS14_S15_EUlS14_E_NS1_11comp_targetILNS1_3genE10ELNS1_11target_archE1200ELNS1_3gpuE4ELNS1_3repE0EEENS1_30default_config_static_selectorELNS0_4arch9wavefront6targetE1EEEvT1_,comdat
.Lfunc_end2584:
	.size	_ZN7rocprim17ROCPRIM_400000_NS6detail17trampoline_kernelINS0_14default_configENS1_25partition_config_selectorILNS1_17partition_subalgoE0EtNS0_10empty_typeEbEEZZNS1_14partition_implILS5_0ELb0ES3_jN6thrust23THRUST_200600_302600_NS6detail15normal_iteratorINSA_10device_ptrItEEEEPS6_SG_NS0_5tupleIJNSA_16discard_iteratorINSA_11use_defaultEEESF_EEENSH_IJSG_SG_EEES6_PlJ7is_evenItEEEE10hipError_tPvRmT3_T4_T5_T6_T7_T9_mT8_P12ihipStream_tbDpT10_ENKUlT_T0_E_clISt17integral_constantIbLb0EES18_IbLb1EEEEDaS14_S15_EUlS14_E_NS1_11comp_targetILNS1_3genE10ELNS1_11target_archE1200ELNS1_3gpuE4ELNS1_3repE0EEENS1_30default_config_static_selectorELNS0_4arch9wavefront6targetE1EEEvT1_, .Lfunc_end2584-_ZN7rocprim17ROCPRIM_400000_NS6detail17trampoline_kernelINS0_14default_configENS1_25partition_config_selectorILNS1_17partition_subalgoE0EtNS0_10empty_typeEbEEZZNS1_14partition_implILS5_0ELb0ES3_jN6thrust23THRUST_200600_302600_NS6detail15normal_iteratorINSA_10device_ptrItEEEEPS6_SG_NS0_5tupleIJNSA_16discard_iteratorINSA_11use_defaultEEESF_EEENSH_IJSG_SG_EEES6_PlJ7is_evenItEEEE10hipError_tPvRmT3_T4_T5_T6_T7_T9_mT8_P12ihipStream_tbDpT10_ENKUlT_T0_E_clISt17integral_constantIbLb0EES18_IbLb1EEEEDaS14_S15_EUlS14_E_NS1_11comp_targetILNS1_3genE10ELNS1_11target_archE1200ELNS1_3gpuE4ELNS1_3repE0EEENS1_30default_config_static_selectorELNS0_4arch9wavefront6targetE1EEEvT1_
                                        ; -- End function
	.section	.AMDGPU.csdata,"",@progbits
; Kernel info:
; codeLenInByte = 0
; NumSgprs: 6
; NumVgprs: 0
; NumAgprs: 0
; TotalNumVgprs: 0
; ScratchSize: 0
; MemoryBound: 0
; FloatMode: 240
; IeeeMode: 1
; LDSByteSize: 0 bytes/workgroup (compile time only)
; SGPRBlocks: 0
; VGPRBlocks: 0
; NumSGPRsForWavesPerEU: 6
; NumVGPRsForWavesPerEU: 1
; AccumOffset: 4
; Occupancy: 8
; WaveLimiterHint : 0
; COMPUTE_PGM_RSRC2:SCRATCH_EN: 0
; COMPUTE_PGM_RSRC2:USER_SGPR: 2
; COMPUTE_PGM_RSRC2:TRAP_HANDLER: 0
; COMPUTE_PGM_RSRC2:TGID_X_EN: 1
; COMPUTE_PGM_RSRC2:TGID_Y_EN: 0
; COMPUTE_PGM_RSRC2:TGID_Z_EN: 0
; COMPUTE_PGM_RSRC2:TIDIG_COMP_CNT: 0
; COMPUTE_PGM_RSRC3_GFX90A:ACCUM_OFFSET: 0
; COMPUTE_PGM_RSRC3_GFX90A:TG_SPLIT: 0
	.section	.text._ZN7rocprim17ROCPRIM_400000_NS6detail17trampoline_kernelINS0_14default_configENS1_25partition_config_selectorILNS1_17partition_subalgoE0EtNS0_10empty_typeEbEEZZNS1_14partition_implILS5_0ELb0ES3_jN6thrust23THRUST_200600_302600_NS6detail15normal_iteratorINSA_10device_ptrItEEEEPS6_SG_NS0_5tupleIJNSA_16discard_iteratorINSA_11use_defaultEEESF_EEENSH_IJSG_SG_EEES6_PlJ7is_evenItEEEE10hipError_tPvRmT3_T4_T5_T6_T7_T9_mT8_P12ihipStream_tbDpT10_ENKUlT_T0_E_clISt17integral_constantIbLb0EES18_IbLb1EEEEDaS14_S15_EUlS14_E_NS1_11comp_targetILNS1_3genE9ELNS1_11target_archE1100ELNS1_3gpuE3ELNS1_3repE0EEENS1_30default_config_static_selectorELNS0_4arch9wavefront6targetE1EEEvT1_,"axG",@progbits,_ZN7rocprim17ROCPRIM_400000_NS6detail17trampoline_kernelINS0_14default_configENS1_25partition_config_selectorILNS1_17partition_subalgoE0EtNS0_10empty_typeEbEEZZNS1_14partition_implILS5_0ELb0ES3_jN6thrust23THRUST_200600_302600_NS6detail15normal_iteratorINSA_10device_ptrItEEEEPS6_SG_NS0_5tupleIJNSA_16discard_iteratorINSA_11use_defaultEEESF_EEENSH_IJSG_SG_EEES6_PlJ7is_evenItEEEE10hipError_tPvRmT3_T4_T5_T6_T7_T9_mT8_P12ihipStream_tbDpT10_ENKUlT_T0_E_clISt17integral_constantIbLb0EES18_IbLb1EEEEDaS14_S15_EUlS14_E_NS1_11comp_targetILNS1_3genE9ELNS1_11target_archE1100ELNS1_3gpuE3ELNS1_3repE0EEENS1_30default_config_static_selectorELNS0_4arch9wavefront6targetE1EEEvT1_,comdat
	.protected	_ZN7rocprim17ROCPRIM_400000_NS6detail17trampoline_kernelINS0_14default_configENS1_25partition_config_selectorILNS1_17partition_subalgoE0EtNS0_10empty_typeEbEEZZNS1_14partition_implILS5_0ELb0ES3_jN6thrust23THRUST_200600_302600_NS6detail15normal_iteratorINSA_10device_ptrItEEEEPS6_SG_NS0_5tupleIJNSA_16discard_iteratorINSA_11use_defaultEEESF_EEENSH_IJSG_SG_EEES6_PlJ7is_evenItEEEE10hipError_tPvRmT3_T4_T5_T6_T7_T9_mT8_P12ihipStream_tbDpT10_ENKUlT_T0_E_clISt17integral_constantIbLb0EES18_IbLb1EEEEDaS14_S15_EUlS14_E_NS1_11comp_targetILNS1_3genE9ELNS1_11target_archE1100ELNS1_3gpuE3ELNS1_3repE0EEENS1_30default_config_static_selectorELNS0_4arch9wavefront6targetE1EEEvT1_ ; -- Begin function _ZN7rocprim17ROCPRIM_400000_NS6detail17trampoline_kernelINS0_14default_configENS1_25partition_config_selectorILNS1_17partition_subalgoE0EtNS0_10empty_typeEbEEZZNS1_14partition_implILS5_0ELb0ES3_jN6thrust23THRUST_200600_302600_NS6detail15normal_iteratorINSA_10device_ptrItEEEEPS6_SG_NS0_5tupleIJNSA_16discard_iteratorINSA_11use_defaultEEESF_EEENSH_IJSG_SG_EEES6_PlJ7is_evenItEEEE10hipError_tPvRmT3_T4_T5_T6_T7_T9_mT8_P12ihipStream_tbDpT10_ENKUlT_T0_E_clISt17integral_constantIbLb0EES18_IbLb1EEEEDaS14_S15_EUlS14_E_NS1_11comp_targetILNS1_3genE9ELNS1_11target_archE1100ELNS1_3gpuE3ELNS1_3repE0EEENS1_30default_config_static_selectorELNS0_4arch9wavefront6targetE1EEEvT1_
	.globl	_ZN7rocprim17ROCPRIM_400000_NS6detail17trampoline_kernelINS0_14default_configENS1_25partition_config_selectorILNS1_17partition_subalgoE0EtNS0_10empty_typeEbEEZZNS1_14partition_implILS5_0ELb0ES3_jN6thrust23THRUST_200600_302600_NS6detail15normal_iteratorINSA_10device_ptrItEEEEPS6_SG_NS0_5tupleIJNSA_16discard_iteratorINSA_11use_defaultEEESF_EEENSH_IJSG_SG_EEES6_PlJ7is_evenItEEEE10hipError_tPvRmT3_T4_T5_T6_T7_T9_mT8_P12ihipStream_tbDpT10_ENKUlT_T0_E_clISt17integral_constantIbLb0EES18_IbLb1EEEEDaS14_S15_EUlS14_E_NS1_11comp_targetILNS1_3genE9ELNS1_11target_archE1100ELNS1_3gpuE3ELNS1_3repE0EEENS1_30default_config_static_selectorELNS0_4arch9wavefront6targetE1EEEvT1_
	.p2align	8
	.type	_ZN7rocprim17ROCPRIM_400000_NS6detail17trampoline_kernelINS0_14default_configENS1_25partition_config_selectorILNS1_17partition_subalgoE0EtNS0_10empty_typeEbEEZZNS1_14partition_implILS5_0ELb0ES3_jN6thrust23THRUST_200600_302600_NS6detail15normal_iteratorINSA_10device_ptrItEEEEPS6_SG_NS0_5tupleIJNSA_16discard_iteratorINSA_11use_defaultEEESF_EEENSH_IJSG_SG_EEES6_PlJ7is_evenItEEEE10hipError_tPvRmT3_T4_T5_T6_T7_T9_mT8_P12ihipStream_tbDpT10_ENKUlT_T0_E_clISt17integral_constantIbLb0EES18_IbLb1EEEEDaS14_S15_EUlS14_E_NS1_11comp_targetILNS1_3genE9ELNS1_11target_archE1100ELNS1_3gpuE3ELNS1_3repE0EEENS1_30default_config_static_selectorELNS0_4arch9wavefront6targetE1EEEvT1_,@function
_ZN7rocprim17ROCPRIM_400000_NS6detail17trampoline_kernelINS0_14default_configENS1_25partition_config_selectorILNS1_17partition_subalgoE0EtNS0_10empty_typeEbEEZZNS1_14partition_implILS5_0ELb0ES3_jN6thrust23THRUST_200600_302600_NS6detail15normal_iteratorINSA_10device_ptrItEEEEPS6_SG_NS0_5tupleIJNSA_16discard_iteratorINSA_11use_defaultEEESF_EEENSH_IJSG_SG_EEES6_PlJ7is_evenItEEEE10hipError_tPvRmT3_T4_T5_T6_T7_T9_mT8_P12ihipStream_tbDpT10_ENKUlT_T0_E_clISt17integral_constantIbLb0EES18_IbLb1EEEEDaS14_S15_EUlS14_E_NS1_11comp_targetILNS1_3genE9ELNS1_11target_archE1100ELNS1_3gpuE3ELNS1_3repE0EEENS1_30default_config_static_selectorELNS0_4arch9wavefront6targetE1EEEvT1_: ; @_ZN7rocprim17ROCPRIM_400000_NS6detail17trampoline_kernelINS0_14default_configENS1_25partition_config_selectorILNS1_17partition_subalgoE0EtNS0_10empty_typeEbEEZZNS1_14partition_implILS5_0ELb0ES3_jN6thrust23THRUST_200600_302600_NS6detail15normal_iteratorINSA_10device_ptrItEEEEPS6_SG_NS0_5tupleIJNSA_16discard_iteratorINSA_11use_defaultEEESF_EEENSH_IJSG_SG_EEES6_PlJ7is_evenItEEEE10hipError_tPvRmT3_T4_T5_T6_T7_T9_mT8_P12ihipStream_tbDpT10_ENKUlT_T0_E_clISt17integral_constantIbLb0EES18_IbLb1EEEEDaS14_S15_EUlS14_E_NS1_11comp_targetILNS1_3genE9ELNS1_11target_archE1100ELNS1_3gpuE3ELNS1_3repE0EEENS1_30default_config_static_selectorELNS0_4arch9wavefront6targetE1EEEvT1_
; %bb.0:
	.section	.rodata,"a",@progbits
	.p2align	6, 0x0
	.amdhsa_kernel _ZN7rocprim17ROCPRIM_400000_NS6detail17trampoline_kernelINS0_14default_configENS1_25partition_config_selectorILNS1_17partition_subalgoE0EtNS0_10empty_typeEbEEZZNS1_14partition_implILS5_0ELb0ES3_jN6thrust23THRUST_200600_302600_NS6detail15normal_iteratorINSA_10device_ptrItEEEEPS6_SG_NS0_5tupleIJNSA_16discard_iteratorINSA_11use_defaultEEESF_EEENSH_IJSG_SG_EEES6_PlJ7is_evenItEEEE10hipError_tPvRmT3_T4_T5_T6_T7_T9_mT8_P12ihipStream_tbDpT10_ENKUlT_T0_E_clISt17integral_constantIbLb0EES18_IbLb1EEEEDaS14_S15_EUlS14_E_NS1_11comp_targetILNS1_3genE9ELNS1_11target_archE1100ELNS1_3gpuE3ELNS1_3repE0EEENS1_30default_config_static_selectorELNS0_4arch9wavefront6targetE1EEEvT1_
		.amdhsa_group_segment_fixed_size 0
		.amdhsa_private_segment_fixed_size 0
		.amdhsa_kernarg_size 144
		.amdhsa_user_sgpr_count 2
		.amdhsa_user_sgpr_dispatch_ptr 0
		.amdhsa_user_sgpr_queue_ptr 0
		.amdhsa_user_sgpr_kernarg_segment_ptr 1
		.amdhsa_user_sgpr_dispatch_id 0
		.amdhsa_user_sgpr_kernarg_preload_length 0
		.amdhsa_user_sgpr_kernarg_preload_offset 0
		.amdhsa_user_sgpr_private_segment_size 0
		.amdhsa_uses_dynamic_stack 0
		.amdhsa_enable_private_segment 0
		.amdhsa_system_sgpr_workgroup_id_x 1
		.amdhsa_system_sgpr_workgroup_id_y 0
		.amdhsa_system_sgpr_workgroup_id_z 0
		.amdhsa_system_sgpr_workgroup_info 0
		.amdhsa_system_vgpr_workitem_id 0
		.amdhsa_next_free_vgpr 1
		.amdhsa_next_free_sgpr 0
		.amdhsa_accum_offset 4
		.amdhsa_reserve_vcc 0
		.amdhsa_float_round_mode_32 0
		.amdhsa_float_round_mode_16_64 0
		.amdhsa_float_denorm_mode_32 3
		.amdhsa_float_denorm_mode_16_64 3
		.amdhsa_dx10_clamp 1
		.amdhsa_ieee_mode 1
		.amdhsa_fp16_overflow 0
		.amdhsa_tg_split 0
		.amdhsa_exception_fp_ieee_invalid_op 0
		.amdhsa_exception_fp_denorm_src 0
		.amdhsa_exception_fp_ieee_div_zero 0
		.amdhsa_exception_fp_ieee_overflow 0
		.amdhsa_exception_fp_ieee_underflow 0
		.amdhsa_exception_fp_ieee_inexact 0
		.amdhsa_exception_int_div_zero 0
	.end_amdhsa_kernel
	.section	.text._ZN7rocprim17ROCPRIM_400000_NS6detail17trampoline_kernelINS0_14default_configENS1_25partition_config_selectorILNS1_17partition_subalgoE0EtNS0_10empty_typeEbEEZZNS1_14partition_implILS5_0ELb0ES3_jN6thrust23THRUST_200600_302600_NS6detail15normal_iteratorINSA_10device_ptrItEEEEPS6_SG_NS0_5tupleIJNSA_16discard_iteratorINSA_11use_defaultEEESF_EEENSH_IJSG_SG_EEES6_PlJ7is_evenItEEEE10hipError_tPvRmT3_T4_T5_T6_T7_T9_mT8_P12ihipStream_tbDpT10_ENKUlT_T0_E_clISt17integral_constantIbLb0EES18_IbLb1EEEEDaS14_S15_EUlS14_E_NS1_11comp_targetILNS1_3genE9ELNS1_11target_archE1100ELNS1_3gpuE3ELNS1_3repE0EEENS1_30default_config_static_selectorELNS0_4arch9wavefront6targetE1EEEvT1_,"axG",@progbits,_ZN7rocprim17ROCPRIM_400000_NS6detail17trampoline_kernelINS0_14default_configENS1_25partition_config_selectorILNS1_17partition_subalgoE0EtNS0_10empty_typeEbEEZZNS1_14partition_implILS5_0ELb0ES3_jN6thrust23THRUST_200600_302600_NS6detail15normal_iteratorINSA_10device_ptrItEEEEPS6_SG_NS0_5tupleIJNSA_16discard_iteratorINSA_11use_defaultEEESF_EEENSH_IJSG_SG_EEES6_PlJ7is_evenItEEEE10hipError_tPvRmT3_T4_T5_T6_T7_T9_mT8_P12ihipStream_tbDpT10_ENKUlT_T0_E_clISt17integral_constantIbLb0EES18_IbLb1EEEEDaS14_S15_EUlS14_E_NS1_11comp_targetILNS1_3genE9ELNS1_11target_archE1100ELNS1_3gpuE3ELNS1_3repE0EEENS1_30default_config_static_selectorELNS0_4arch9wavefront6targetE1EEEvT1_,comdat
.Lfunc_end2585:
	.size	_ZN7rocprim17ROCPRIM_400000_NS6detail17trampoline_kernelINS0_14default_configENS1_25partition_config_selectorILNS1_17partition_subalgoE0EtNS0_10empty_typeEbEEZZNS1_14partition_implILS5_0ELb0ES3_jN6thrust23THRUST_200600_302600_NS6detail15normal_iteratorINSA_10device_ptrItEEEEPS6_SG_NS0_5tupleIJNSA_16discard_iteratorINSA_11use_defaultEEESF_EEENSH_IJSG_SG_EEES6_PlJ7is_evenItEEEE10hipError_tPvRmT3_T4_T5_T6_T7_T9_mT8_P12ihipStream_tbDpT10_ENKUlT_T0_E_clISt17integral_constantIbLb0EES18_IbLb1EEEEDaS14_S15_EUlS14_E_NS1_11comp_targetILNS1_3genE9ELNS1_11target_archE1100ELNS1_3gpuE3ELNS1_3repE0EEENS1_30default_config_static_selectorELNS0_4arch9wavefront6targetE1EEEvT1_, .Lfunc_end2585-_ZN7rocprim17ROCPRIM_400000_NS6detail17trampoline_kernelINS0_14default_configENS1_25partition_config_selectorILNS1_17partition_subalgoE0EtNS0_10empty_typeEbEEZZNS1_14partition_implILS5_0ELb0ES3_jN6thrust23THRUST_200600_302600_NS6detail15normal_iteratorINSA_10device_ptrItEEEEPS6_SG_NS0_5tupleIJNSA_16discard_iteratorINSA_11use_defaultEEESF_EEENSH_IJSG_SG_EEES6_PlJ7is_evenItEEEE10hipError_tPvRmT3_T4_T5_T6_T7_T9_mT8_P12ihipStream_tbDpT10_ENKUlT_T0_E_clISt17integral_constantIbLb0EES18_IbLb1EEEEDaS14_S15_EUlS14_E_NS1_11comp_targetILNS1_3genE9ELNS1_11target_archE1100ELNS1_3gpuE3ELNS1_3repE0EEENS1_30default_config_static_selectorELNS0_4arch9wavefront6targetE1EEEvT1_
                                        ; -- End function
	.section	.AMDGPU.csdata,"",@progbits
; Kernel info:
; codeLenInByte = 0
; NumSgprs: 6
; NumVgprs: 0
; NumAgprs: 0
; TotalNumVgprs: 0
; ScratchSize: 0
; MemoryBound: 0
; FloatMode: 240
; IeeeMode: 1
; LDSByteSize: 0 bytes/workgroup (compile time only)
; SGPRBlocks: 0
; VGPRBlocks: 0
; NumSGPRsForWavesPerEU: 6
; NumVGPRsForWavesPerEU: 1
; AccumOffset: 4
; Occupancy: 8
; WaveLimiterHint : 0
; COMPUTE_PGM_RSRC2:SCRATCH_EN: 0
; COMPUTE_PGM_RSRC2:USER_SGPR: 2
; COMPUTE_PGM_RSRC2:TRAP_HANDLER: 0
; COMPUTE_PGM_RSRC2:TGID_X_EN: 1
; COMPUTE_PGM_RSRC2:TGID_Y_EN: 0
; COMPUTE_PGM_RSRC2:TGID_Z_EN: 0
; COMPUTE_PGM_RSRC2:TIDIG_COMP_CNT: 0
; COMPUTE_PGM_RSRC3_GFX90A:ACCUM_OFFSET: 0
; COMPUTE_PGM_RSRC3_GFX90A:TG_SPLIT: 0
	.section	.text._ZN7rocprim17ROCPRIM_400000_NS6detail17trampoline_kernelINS0_14default_configENS1_25partition_config_selectorILNS1_17partition_subalgoE0EtNS0_10empty_typeEbEEZZNS1_14partition_implILS5_0ELb0ES3_jN6thrust23THRUST_200600_302600_NS6detail15normal_iteratorINSA_10device_ptrItEEEEPS6_SG_NS0_5tupleIJNSA_16discard_iteratorINSA_11use_defaultEEESF_EEENSH_IJSG_SG_EEES6_PlJ7is_evenItEEEE10hipError_tPvRmT3_T4_T5_T6_T7_T9_mT8_P12ihipStream_tbDpT10_ENKUlT_T0_E_clISt17integral_constantIbLb0EES18_IbLb1EEEEDaS14_S15_EUlS14_E_NS1_11comp_targetILNS1_3genE8ELNS1_11target_archE1030ELNS1_3gpuE2ELNS1_3repE0EEENS1_30default_config_static_selectorELNS0_4arch9wavefront6targetE1EEEvT1_,"axG",@progbits,_ZN7rocprim17ROCPRIM_400000_NS6detail17trampoline_kernelINS0_14default_configENS1_25partition_config_selectorILNS1_17partition_subalgoE0EtNS0_10empty_typeEbEEZZNS1_14partition_implILS5_0ELb0ES3_jN6thrust23THRUST_200600_302600_NS6detail15normal_iteratorINSA_10device_ptrItEEEEPS6_SG_NS0_5tupleIJNSA_16discard_iteratorINSA_11use_defaultEEESF_EEENSH_IJSG_SG_EEES6_PlJ7is_evenItEEEE10hipError_tPvRmT3_T4_T5_T6_T7_T9_mT8_P12ihipStream_tbDpT10_ENKUlT_T0_E_clISt17integral_constantIbLb0EES18_IbLb1EEEEDaS14_S15_EUlS14_E_NS1_11comp_targetILNS1_3genE8ELNS1_11target_archE1030ELNS1_3gpuE2ELNS1_3repE0EEENS1_30default_config_static_selectorELNS0_4arch9wavefront6targetE1EEEvT1_,comdat
	.protected	_ZN7rocprim17ROCPRIM_400000_NS6detail17trampoline_kernelINS0_14default_configENS1_25partition_config_selectorILNS1_17partition_subalgoE0EtNS0_10empty_typeEbEEZZNS1_14partition_implILS5_0ELb0ES3_jN6thrust23THRUST_200600_302600_NS6detail15normal_iteratorINSA_10device_ptrItEEEEPS6_SG_NS0_5tupleIJNSA_16discard_iteratorINSA_11use_defaultEEESF_EEENSH_IJSG_SG_EEES6_PlJ7is_evenItEEEE10hipError_tPvRmT3_T4_T5_T6_T7_T9_mT8_P12ihipStream_tbDpT10_ENKUlT_T0_E_clISt17integral_constantIbLb0EES18_IbLb1EEEEDaS14_S15_EUlS14_E_NS1_11comp_targetILNS1_3genE8ELNS1_11target_archE1030ELNS1_3gpuE2ELNS1_3repE0EEENS1_30default_config_static_selectorELNS0_4arch9wavefront6targetE1EEEvT1_ ; -- Begin function _ZN7rocprim17ROCPRIM_400000_NS6detail17trampoline_kernelINS0_14default_configENS1_25partition_config_selectorILNS1_17partition_subalgoE0EtNS0_10empty_typeEbEEZZNS1_14partition_implILS5_0ELb0ES3_jN6thrust23THRUST_200600_302600_NS6detail15normal_iteratorINSA_10device_ptrItEEEEPS6_SG_NS0_5tupleIJNSA_16discard_iteratorINSA_11use_defaultEEESF_EEENSH_IJSG_SG_EEES6_PlJ7is_evenItEEEE10hipError_tPvRmT3_T4_T5_T6_T7_T9_mT8_P12ihipStream_tbDpT10_ENKUlT_T0_E_clISt17integral_constantIbLb0EES18_IbLb1EEEEDaS14_S15_EUlS14_E_NS1_11comp_targetILNS1_3genE8ELNS1_11target_archE1030ELNS1_3gpuE2ELNS1_3repE0EEENS1_30default_config_static_selectorELNS0_4arch9wavefront6targetE1EEEvT1_
	.globl	_ZN7rocprim17ROCPRIM_400000_NS6detail17trampoline_kernelINS0_14default_configENS1_25partition_config_selectorILNS1_17partition_subalgoE0EtNS0_10empty_typeEbEEZZNS1_14partition_implILS5_0ELb0ES3_jN6thrust23THRUST_200600_302600_NS6detail15normal_iteratorINSA_10device_ptrItEEEEPS6_SG_NS0_5tupleIJNSA_16discard_iteratorINSA_11use_defaultEEESF_EEENSH_IJSG_SG_EEES6_PlJ7is_evenItEEEE10hipError_tPvRmT3_T4_T5_T6_T7_T9_mT8_P12ihipStream_tbDpT10_ENKUlT_T0_E_clISt17integral_constantIbLb0EES18_IbLb1EEEEDaS14_S15_EUlS14_E_NS1_11comp_targetILNS1_3genE8ELNS1_11target_archE1030ELNS1_3gpuE2ELNS1_3repE0EEENS1_30default_config_static_selectorELNS0_4arch9wavefront6targetE1EEEvT1_
	.p2align	8
	.type	_ZN7rocprim17ROCPRIM_400000_NS6detail17trampoline_kernelINS0_14default_configENS1_25partition_config_selectorILNS1_17partition_subalgoE0EtNS0_10empty_typeEbEEZZNS1_14partition_implILS5_0ELb0ES3_jN6thrust23THRUST_200600_302600_NS6detail15normal_iteratorINSA_10device_ptrItEEEEPS6_SG_NS0_5tupleIJNSA_16discard_iteratorINSA_11use_defaultEEESF_EEENSH_IJSG_SG_EEES6_PlJ7is_evenItEEEE10hipError_tPvRmT3_T4_T5_T6_T7_T9_mT8_P12ihipStream_tbDpT10_ENKUlT_T0_E_clISt17integral_constantIbLb0EES18_IbLb1EEEEDaS14_S15_EUlS14_E_NS1_11comp_targetILNS1_3genE8ELNS1_11target_archE1030ELNS1_3gpuE2ELNS1_3repE0EEENS1_30default_config_static_selectorELNS0_4arch9wavefront6targetE1EEEvT1_,@function
_ZN7rocprim17ROCPRIM_400000_NS6detail17trampoline_kernelINS0_14default_configENS1_25partition_config_selectorILNS1_17partition_subalgoE0EtNS0_10empty_typeEbEEZZNS1_14partition_implILS5_0ELb0ES3_jN6thrust23THRUST_200600_302600_NS6detail15normal_iteratorINSA_10device_ptrItEEEEPS6_SG_NS0_5tupleIJNSA_16discard_iteratorINSA_11use_defaultEEESF_EEENSH_IJSG_SG_EEES6_PlJ7is_evenItEEEE10hipError_tPvRmT3_T4_T5_T6_T7_T9_mT8_P12ihipStream_tbDpT10_ENKUlT_T0_E_clISt17integral_constantIbLb0EES18_IbLb1EEEEDaS14_S15_EUlS14_E_NS1_11comp_targetILNS1_3genE8ELNS1_11target_archE1030ELNS1_3gpuE2ELNS1_3repE0EEENS1_30default_config_static_selectorELNS0_4arch9wavefront6targetE1EEEvT1_: ; @_ZN7rocprim17ROCPRIM_400000_NS6detail17trampoline_kernelINS0_14default_configENS1_25partition_config_selectorILNS1_17partition_subalgoE0EtNS0_10empty_typeEbEEZZNS1_14partition_implILS5_0ELb0ES3_jN6thrust23THRUST_200600_302600_NS6detail15normal_iteratorINSA_10device_ptrItEEEEPS6_SG_NS0_5tupleIJNSA_16discard_iteratorINSA_11use_defaultEEESF_EEENSH_IJSG_SG_EEES6_PlJ7is_evenItEEEE10hipError_tPvRmT3_T4_T5_T6_T7_T9_mT8_P12ihipStream_tbDpT10_ENKUlT_T0_E_clISt17integral_constantIbLb0EES18_IbLb1EEEEDaS14_S15_EUlS14_E_NS1_11comp_targetILNS1_3genE8ELNS1_11target_archE1030ELNS1_3gpuE2ELNS1_3repE0EEENS1_30default_config_static_selectorELNS0_4arch9wavefront6targetE1EEEvT1_
; %bb.0:
	.section	.rodata,"a",@progbits
	.p2align	6, 0x0
	.amdhsa_kernel _ZN7rocprim17ROCPRIM_400000_NS6detail17trampoline_kernelINS0_14default_configENS1_25partition_config_selectorILNS1_17partition_subalgoE0EtNS0_10empty_typeEbEEZZNS1_14partition_implILS5_0ELb0ES3_jN6thrust23THRUST_200600_302600_NS6detail15normal_iteratorINSA_10device_ptrItEEEEPS6_SG_NS0_5tupleIJNSA_16discard_iteratorINSA_11use_defaultEEESF_EEENSH_IJSG_SG_EEES6_PlJ7is_evenItEEEE10hipError_tPvRmT3_T4_T5_T6_T7_T9_mT8_P12ihipStream_tbDpT10_ENKUlT_T0_E_clISt17integral_constantIbLb0EES18_IbLb1EEEEDaS14_S15_EUlS14_E_NS1_11comp_targetILNS1_3genE8ELNS1_11target_archE1030ELNS1_3gpuE2ELNS1_3repE0EEENS1_30default_config_static_selectorELNS0_4arch9wavefront6targetE1EEEvT1_
		.amdhsa_group_segment_fixed_size 0
		.amdhsa_private_segment_fixed_size 0
		.amdhsa_kernarg_size 144
		.amdhsa_user_sgpr_count 2
		.amdhsa_user_sgpr_dispatch_ptr 0
		.amdhsa_user_sgpr_queue_ptr 0
		.amdhsa_user_sgpr_kernarg_segment_ptr 1
		.amdhsa_user_sgpr_dispatch_id 0
		.amdhsa_user_sgpr_kernarg_preload_length 0
		.amdhsa_user_sgpr_kernarg_preload_offset 0
		.amdhsa_user_sgpr_private_segment_size 0
		.amdhsa_uses_dynamic_stack 0
		.amdhsa_enable_private_segment 0
		.amdhsa_system_sgpr_workgroup_id_x 1
		.amdhsa_system_sgpr_workgroup_id_y 0
		.amdhsa_system_sgpr_workgroup_id_z 0
		.amdhsa_system_sgpr_workgroup_info 0
		.amdhsa_system_vgpr_workitem_id 0
		.amdhsa_next_free_vgpr 1
		.amdhsa_next_free_sgpr 0
		.amdhsa_accum_offset 4
		.amdhsa_reserve_vcc 0
		.amdhsa_float_round_mode_32 0
		.amdhsa_float_round_mode_16_64 0
		.amdhsa_float_denorm_mode_32 3
		.amdhsa_float_denorm_mode_16_64 3
		.amdhsa_dx10_clamp 1
		.amdhsa_ieee_mode 1
		.amdhsa_fp16_overflow 0
		.amdhsa_tg_split 0
		.amdhsa_exception_fp_ieee_invalid_op 0
		.amdhsa_exception_fp_denorm_src 0
		.amdhsa_exception_fp_ieee_div_zero 0
		.amdhsa_exception_fp_ieee_overflow 0
		.amdhsa_exception_fp_ieee_underflow 0
		.amdhsa_exception_fp_ieee_inexact 0
		.amdhsa_exception_int_div_zero 0
	.end_amdhsa_kernel
	.section	.text._ZN7rocprim17ROCPRIM_400000_NS6detail17trampoline_kernelINS0_14default_configENS1_25partition_config_selectorILNS1_17partition_subalgoE0EtNS0_10empty_typeEbEEZZNS1_14partition_implILS5_0ELb0ES3_jN6thrust23THRUST_200600_302600_NS6detail15normal_iteratorINSA_10device_ptrItEEEEPS6_SG_NS0_5tupleIJNSA_16discard_iteratorINSA_11use_defaultEEESF_EEENSH_IJSG_SG_EEES6_PlJ7is_evenItEEEE10hipError_tPvRmT3_T4_T5_T6_T7_T9_mT8_P12ihipStream_tbDpT10_ENKUlT_T0_E_clISt17integral_constantIbLb0EES18_IbLb1EEEEDaS14_S15_EUlS14_E_NS1_11comp_targetILNS1_3genE8ELNS1_11target_archE1030ELNS1_3gpuE2ELNS1_3repE0EEENS1_30default_config_static_selectorELNS0_4arch9wavefront6targetE1EEEvT1_,"axG",@progbits,_ZN7rocprim17ROCPRIM_400000_NS6detail17trampoline_kernelINS0_14default_configENS1_25partition_config_selectorILNS1_17partition_subalgoE0EtNS0_10empty_typeEbEEZZNS1_14partition_implILS5_0ELb0ES3_jN6thrust23THRUST_200600_302600_NS6detail15normal_iteratorINSA_10device_ptrItEEEEPS6_SG_NS0_5tupleIJNSA_16discard_iteratorINSA_11use_defaultEEESF_EEENSH_IJSG_SG_EEES6_PlJ7is_evenItEEEE10hipError_tPvRmT3_T4_T5_T6_T7_T9_mT8_P12ihipStream_tbDpT10_ENKUlT_T0_E_clISt17integral_constantIbLb0EES18_IbLb1EEEEDaS14_S15_EUlS14_E_NS1_11comp_targetILNS1_3genE8ELNS1_11target_archE1030ELNS1_3gpuE2ELNS1_3repE0EEENS1_30default_config_static_selectorELNS0_4arch9wavefront6targetE1EEEvT1_,comdat
.Lfunc_end2586:
	.size	_ZN7rocprim17ROCPRIM_400000_NS6detail17trampoline_kernelINS0_14default_configENS1_25partition_config_selectorILNS1_17partition_subalgoE0EtNS0_10empty_typeEbEEZZNS1_14partition_implILS5_0ELb0ES3_jN6thrust23THRUST_200600_302600_NS6detail15normal_iteratorINSA_10device_ptrItEEEEPS6_SG_NS0_5tupleIJNSA_16discard_iteratorINSA_11use_defaultEEESF_EEENSH_IJSG_SG_EEES6_PlJ7is_evenItEEEE10hipError_tPvRmT3_T4_T5_T6_T7_T9_mT8_P12ihipStream_tbDpT10_ENKUlT_T0_E_clISt17integral_constantIbLb0EES18_IbLb1EEEEDaS14_S15_EUlS14_E_NS1_11comp_targetILNS1_3genE8ELNS1_11target_archE1030ELNS1_3gpuE2ELNS1_3repE0EEENS1_30default_config_static_selectorELNS0_4arch9wavefront6targetE1EEEvT1_, .Lfunc_end2586-_ZN7rocprim17ROCPRIM_400000_NS6detail17trampoline_kernelINS0_14default_configENS1_25partition_config_selectorILNS1_17partition_subalgoE0EtNS0_10empty_typeEbEEZZNS1_14partition_implILS5_0ELb0ES3_jN6thrust23THRUST_200600_302600_NS6detail15normal_iteratorINSA_10device_ptrItEEEEPS6_SG_NS0_5tupleIJNSA_16discard_iteratorINSA_11use_defaultEEESF_EEENSH_IJSG_SG_EEES6_PlJ7is_evenItEEEE10hipError_tPvRmT3_T4_T5_T6_T7_T9_mT8_P12ihipStream_tbDpT10_ENKUlT_T0_E_clISt17integral_constantIbLb0EES18_IbLb1EEEEDaS14_S15_EUlS14_E_NS1_11comp_targetILNS1_3genE8ELNS1_11target_archE1030ELNS1_3gpuE2ELNS1_3repE0EEENS1_30default_config_static_selectorELNS0_4arch9wavefront6targetE1EEEvT1_
                                        ; -- End function
	.section	.AMDGPU.csdata,"",@progbits
; Kernel info:
; codeLenInByte = 0
; NumSgprs: 6
; NumVgprs: 0
; NumAgprs: 0
; TotalNumVgprs: 0
; ScratchSize: 0
; MemoryBound: 0
; FloatMode: 240
; IeeeMode: 1
; LDSByteSize: 0 bytes/workgroup (compile time only)
; SGPRBlocks: 0
; VGPRBlocks: 0
; NumSGPRsForWavesPerEU: 6
; NumVGPRsForWavesPerEU: 1
; AccumOffset: 4
; Occupancy: 8
; WaveLimiterHint : 0
; COMPUTE_PGM_RSRC2:SCRATCH_EN: 0
; COMPUTE_PGM_RSRC2:USER_SGPR: 2
; COMPUTE_PGM_RSRC2:TRAP_HANDLER: 0
; COMPUTE_PGM_RSRC2:TGID_X_EN: 1
; COMPUTE_PGM_RSRC2:TGID_Y_EN: 0
; COMPUTE_PGM_RSRC2:TGID_Z_EN: 0
; COMPUTE_PGM_RSRC2:TIDIG_COMP_CNT: 0
; COMPUTE_PGM_RSRC3_GFX90A:ACCUM_OFFSET: 0
; COMPUTE_PGM_RSRC3_GFX90A:TG_SPLIT: 0
	.section	.text._ZN7rocprim17ROCPRIM_400000_NS6detail17trampoline_kernelINS0_14default_configENS1_25partition_config_selectorILNS1_17partition_subalgoE0ExNS0_10empty_typeEbEEZZNS1_14partition_implILS5_0ELb0ES3_jN6thrust23THRUST_200600_302600_NS6detail15normal_iteratorINSA_10device_ptrIxEEEEPS6_SG_NS0_5tupleIJNSA_16discard_iteratorINSA_11use_defaultEEESK_EEENSH_IJSG_SG_EEES6_PlJ7is_evenIxEEEE10hipError_tPvRmT3_T4_T5_T6_T7_T9_mT8_P12ihipStream_tbDpT10_ENKUlT_T0_E_clISt17integral_constantIbLb0EES19_EEDaS14_S15_EUlS14_E_NS1_11comp_targetILNS1_3genE0ELNS1_11target_archE4294967295ELNS1_3gpuE0ELNS1_3repE0EEENS1_30default_config_static_selectorELNS0_4arch9wavefront6targetE1EEEvT1_,"axG",@progbits,_ZN7rocprim17ROCPRIM_400000_NS6detail17trampoline_kernelINS0_14default_configENS1_25partition_config_selectorILNS1_17partition_subalgoE0ExNS0_10empty_typeEbEEZZNS1_14partition_implILS5_0ELb0ES3_jN6thrust23THRUST_200600_302600_NS6detail15normal_iteratorINSA_10device_ptrIxEEEEPS6_SG_NS0_5tupleIJNSA_16discard_iteratorINSA_11use_defaultEEESK_EEENSH_IJSG_SG_EEES6_PlJ7is_evenIxEEEE10hipError_tPvRmT3_T4_T5_T6_T7_T9_mT8_P12ihipStream_tbDpT10_ENKUlT_T0_E_clISt17integral_constantIbLb0EES19_EEDaS14_S15_EUlS14_E_NS1_11comp_targetILNS1_3genE0ELNS1_11target_archE4294967295ELNS1_3gpuE0ELNS1_3repE0EEENS1_30default_config_static_selectorELNS0_4arch9wavefront6targetE1EEEvT1_,comdat
	.protected	_ZN7rocprim17ROCPRIM_400000_NS6detail17trampoline_kernelINS0_14default_configENS1_25partition_config_selectorILNS1_17partition_subalgoE0ExNS0_10empty_typeEbEEZZNS1_14partition_implILS5_0ELb0ES3_jN6thrust23THRUST_200600_302600_NS6detail15normal_iteratorINSA_10device_ptrIxEEEEPS6_SG_NS0_5tupleIJNSA_16discard_iteratorINSA_11use_defaultEEESK_EEENSH_IJSG_SG_EEES6_PlJ7is_evenIxEEEE10hipError_tPvRmT3_T4_T5_T6_T7_T9_mT8_P12ihipStream_tbDpT10_ENKUlT_T0_E_clISt17integral_constantIbLb0EES19_EEDaS14_S15_EUlS14_E_NS1_11comp_targetILNS1_3genE0ELNS1_11target_archE4294967295ELNS1_3gpuE0ELNS1_3repE0EEENS1_30default_config_static_selectorELNS0_4arch9wavefront6targetE1EEEvT1_ ; -- Begin function _ZN7rocprim17ROCPRIM_400000_NS6detail17trampoline_kernelINS0_14default_configENS1_25partition_config_selectorILNS1_17partition_subalgoE0ExNS0_10empty_typeEbEEZZNS1_14partition_implILS5_0ELb0ES3_jN6thrust23THRUST_200600_302600_NS6detail15normal_iteratorINSA_10device_ptrIxEEEEPS6_SG_NS0_5tupleIJNSA_16discard_iteratorINSA_11use_defaultEEESK_EEENSH_IJSG_SG_EEES6_PlJ7is_evenIxEEEE10hipError_tPvRmT3_T4_T5_T6_T7_T9_mT8_P12ihipStream_tbDpT10_ENKUlT_T0_E_clISt17integral_constantIbLb0EES19_EEDaS14_S15_EUlS14_E_NS1_11comp_targetILNS1_3genE0ELNS1_11target_archE4294967295ELNS1_3gpuE0ELNS1_3repE0EEENS1_30default_config_static_selectorELNS0_4arch9wavefront6targetE1EEEvT1_
	.globl	_ZN7rocprim17ROCPRIM_400000_NS6detail17trampoline_kernelINS0_14default_configENS1_25partition_config_selectorILNS1_17partition_subalgoE0ExNS0_10empty_typeEbEEZZNS1_14partition_implILS5_0ELb0ES3_jN6thrust23THRUST_200600_302600_NS6detail15normal_iteratorINSA_10device_ptrIxEEEEPS6_SG_NS0_5tupleIJNSA_16discard_iteratorINSA_11use_defaultEEESK_EEENSH_IJSG_SG_EEES6_PlJ7is_evenIxEEEE10hipError_tPvRmT3_T4_T5_T6_T7_T9_mT8_P12ihipStream_tbDpT10_ENKUlT_T0_E_clISt17integral_constantIbLb0EES19_EEDaS14_S15_EUlS14_E_NS1_11comp_targetILNS1_3genE0ELNS1_11target_archE4294967295ELNS1_3gpuE0ELNS1_3repE0EEENS1_30default_config_static_selectorELNS0_4arch9wavefront6targetE1EEEvT1_
	.p2align	8
	.type	_ZN7rocprim17ROCPRIM_400000_NS6detail17trampoline_kernelINS0_14default_configENS1_25partition_config_selectorILNS1_17partition_subalgoE0ExNS0_10empty_typeEbEEZZNS1_14partition_implILS5_0ELb0ES3_jN6thrust23THRUST_200600_302600_NS6detail15normal_iteratorINSA_10device_ptrIxEEEEPS6_SG_NS0_5tupleIJNSA_16discard_iteratorINSA_11use_defaultEEESK_EEENSH_IJSG_SG_EEES6_PlJ7is_evenIxEEEE10hipError_tPvRmT3_T4_T5_T6_T7_T9_mT8_P12ihipStream_tbDpT10_ENKUlT_T0_E_clISt17integral_constantIbLb0EES19_EEDaS14_S15_EUlS14_E_NS1_11comp_targetILNS1_3genE0ELNS1_11target_archE4294967295ELNS1_3gpuE0ELNS1_3repE0EEENS1_30default_config_static_selectorELNS0_4arch9wavefront6targetE1EEEvT1_,@function
_ZN7rocprim17ROCPRIM_400000_NS6detail17trampoline_kernelINS0_14default_configENS1_25partition_config_selectorILNS1_17partition_subalgoE0ExNS0_10empty_typeEbEEZZNS1_14partition_implILS5_0ELb0ES3_jN6thrust23THRUST_200600_302600_NS6detail15normal_iteratorINSA_10device_ptrIxEEEEPS6_SG_NS0_5tupleIJNSA_16discard_iteratorINSA_11use_defaultEEESK_EEENSH_IJSG_SG_EEES6_PlJ7is_evenIxEEEE10hipError_tPvRmT3_T4_T5_T6_T7_T9_mT8_P12ihipStream_tbDpT10_ENKUlT_T0_E_clISt17integral_constantIbLb0EES19_EEDaS14_S15_EUlS14_E_NS1_11comp_targetILNS1_3genE0ELNS1_11target_archE4294967295ELNS1_3gpuE0ELNS1_3repE0EEENS1_30default_config_static_selectorELNS0_4arch9wavefront6targetE1EEEvT1_: ; @_ZN7rocprim17ROCPRIM_400000_NS6detail17trampoline_kernelINS0_14default_configENS1_25partition_config_selectorILNS1_17partition_subalgoE0ExNS0_10empty_typeEbEEZZNS1_14partition_implILS5_0ELb0ES3_jN6thrust23THRUST_200600_302600_NS6detail15normal_iteratorINSA_10device_ptrIxEEEEPS6_SG_NS0_5tupleIJNSA_16discard_iteratorINSA_11use_defaultEEESK_EEENSH_IJSG_SG_EEES6_PlJ7is_evenIxEEEE10hipError_tPvRmT3_T4_T5_T6_T7_T9_mT8_P12ihipStream_tbDpT10_ENKUlT_T0_E_clISt17integral_constantIbLb0EES19_EEDaS14_S15_EUlS14_E_NS1_11comp_targetILNS1_3genE0ELNS1_11target_archE4294967295ELNS1_3gpuE0ELNS1_3repE0EEENS1_30default_config_static_selectorELNS0_4arch9wavefront6targetE1EEEvT1_
; %bb.0:
	.section	.rodata,"a",@progbits
	.p2align	6, 0x0
	.amdhsa_kernel _ZN7rocprim17ROCPRIM_400000_NS6detail17trampoline_kernelINS0_14default_configENS1_25partition_config_selectorILNS1_17partition_subalgoE0ExNS0_10empty_typeEbEEZZNS1_14partition_implILS5_0ELb0ES3_jN6thrust23THRUST_200600_302600_NS6detail15normal_iteratorINSA_10device_ptrIxEEEEPS6_SG_NS0_5tupleIJNSA_16discard_iteratorINSA_11use_defaultEEESK_EEENSH_IJSG_SG_EEES6_PlJ7is_evenIxEEEE10hipError_tPvRmT3_T4_T5_T6_T7_T9_mT8_P12ihipStream_tbDpT10_ENKUlT_T0_E_clISt17integral_constantIbLb0EES19_EEDaS14_S15_EUlS14_E_NS1_11comp_targetILNS1_3genE0ELNS1_11target_archE4294967295ELNS1_3gpuE0ELNS1_3repE0EEENS1_30default_config_static_selectorELNS0_4arch9wavefront6targetE1EEEvT1_
		.amdhsa_group_segment_fixed_size 0
		.amdhsa_private_segment_fixed_size 0
		.amdhsa_kernarg_size 136
		.amdhsa_user_sgpr_count 2
		.amdhsa_user_sgpr_dispatch_ptr 0
		.amdhsa_user_sgpr_queue_ptr 0
		.amdhsa_user_sgpr_kernarg_segment_ptr 1
		.amdhsa_user_sgpr_dispatch_id 0
		.amdhsa_user_sgpr_kernarg_preload_length 0
		.amdhsa_user_sgpr_kernarg_preload_offset 0
		.amdhsa_user_sgpr_private_segment_size 0
		.amdhsa_uses_dynamic_stack 0
		.amdhsa_enable_private_segment 0
		.amdhsa_system_sgpr_workgroup_id_x 1
		.amdhsa_system_sgpr_workgroup_id_y 0
		.amdhsa_system_sgpr_workgroup_id_z 0
		.amdhsa_system_sgpr_workgroup_info 0
		.amdhsa_system_vgpr_workitem_id 0
		.amdhsa_next_free_vgpr 1
		.amdhsa_next_free_sgpr 0
		.amdhsa_accum_offset 4
		.amdhsa_reserve_vcc 0
		.amdhsa_float_round_mode_32 0
		.amdhsa_float_round_mode_16_64 0
		.amdhsa_float_denorm_mode_32 3
		.amdhsa_float_denorm_mode_16_64 3
		.amdhsa_dx10_clamp 1
		.amdhsa_ieee_mode 1
		.amdhsa_fp16_overflow 0
		.amdhsa_tg_split 0
		.amdhsa_exception_fp_ieee_invalid_op 0
		.amdhsa_exception_fp_denorm_src 0
		.amdhsa_exception_fp_ieee_div_zero 0
		.amdhsa_exception_fp_ieee_overflow 0
		.amdhsa_exception_fp_ieee_underflow 0
		.amdhsa_exception_fp_ieee_inexact 0
		.amdhsa_exception_int_div_zero 0
	.end_amdhsa_kernel
	.section	.text._ZN7rocprim17ROCPRIM_400000_NS6detail17trampoline_kernelINS0_14default_configENS1_25partition_config_selectorILNS1_17partition_subalgoE0ExNS0_10empty_typeEbEEZZNS1_14partition_implILS5_0ELb0ES3_jN6thrust23THRUST_200600_302600_NS6detail15normal_iteratorINSA_10device_ptrIxEEEEPS6_SG_NS0_5tupleIJNSA_16discard_iteratorINSA_11use_defaultEEESK_EEENSH_IJSG_SG_EEES6_PlJ7is_evenIxEEEE10hipError_tPvRmT3_T4_T5_T6_T7_T9_mT8_P12ihipStream_tbDpT10_ENKUlT_T0_E_clISt17integral_constantIbLb0EES19_EEDaS14_S15_EUlS14_E_NS1_11comp_targetILNS1_3genE0ELNS1_11target_archE4294967295ELNS1_3gpuE0ELNS1_3repE0EEENS1_30default_config_static_selectorELNS0_4arch9wavefront6targetE1EEEvT1_,"axG",@progbits,_ZN7rocprim17ROCPRIM_400000_NS6detail17trampoline_kernelINS0_14default_configENS1_25partition_config_selectorILNS1_17partition_subalgoE0ExNS0_10empty_typeEbEEZZNS1_14partition_implILS5_0ELb0ES3_jN6thrust23THRUST_200600_302600_NS6detail15normal_iteratorINSA_10device_ptrIxEEEEPS6_SG_NS0_5tupleIJNSA_16discard_iteratorINSA_11use_defaultEEESK_EEENSH_IJSG_SG_EEES6_PlJ7is_evenIxEEEE10hipError_tPvRmT3_T4_T5_T6_T7_T9_mT8_P12ihipStream_tbDpT10_ENKUlT_T0_E_clISt17integral_constantIbLb0EES19_EEDaS14_S15_EUlS14_E_NS1_11comp_targetILNS1_3genE0ELNS1_11target_archE4294967295ELNS1_3gpuE0ELNS1_3repE0EEENS1_30default_config_static_selectorELNS0_4arch9wavefront6targetE1EEEvT1_,comdat
.Lfunc_end2587:
	.size	_ZN7rocprim17ROCPRIM_400000_NS6detail17trampoline_kernelINS0_14default_configENS1_25partition_config_selectorILNS1_17partition_subalgoE0ExNS0_10empty_typeEbEEZZNS1_14partition_implILS5_0ELb0ES3_jN6thrust23THRUST_200600_302600_NS6detail15normal_iteratorINSA_10device_ptrIxEEEEPS6_SG_NS0_5tupleIJNSA_16discard_iteratorINSA_11use_defaultEEESK_EEENSH_IJSG_SG_EEES6_PlJ7is_evenIxEEEE10hipError_tPvRmT3_T4_T5_T6_T7_T9_mT8_P12ihipStream_tbDpT10_ENKUlT_T0_E_clISt17integral_constantIbLb0EES19_EEDaS14_S15_EUlS14_E_NS1_11comp_targetILNS1_3genE0ELNS1_11target_archE4294967295ELNS1_3gpuE0ELNS1_3repE0EEENS1_30default_config_static_selectorELNS0_4arch9wavefront6targetE1EEEvT1_, .Lfunc_end2587-_ZN7rocprim17ROCPRIM_400000_NS6detail17trampoline_kernelINS0_14default_configENS1_25partition_config_selectorILNS1_17partition_subalgoE0ExNS0_10empty_typeEbEEZZNS1_14partition_implILS5_0ELb0ES3_jN6thrust23THRUST_200600_302600_NS6detail15normal_iteratorINSA_10device_ptrIxEEEEPS6_SG_NS0_5tupleIJNSA_16discard_iteratorINSA_11use_defaultEEESK_EEENSH_IJSG_SG_EEES6_PlJ7is_evenIxEEEE10hipError_tPvRmT3_T4_T5_T6_T7_T9_mT8_P12ihipStream_tbDpT10_ENKUlT_T0_E_clISt17integral_constantIbLb0EES19_EEDaS14_S15_EUlS14_E_NS1_11comp_targetILNS1_3genE0ELNS1_11target_archE4294967295ELNS1_3gpuE0ELNS1_3repE0EEENS1_30default_config_static_selectorELNS0_4arch9wavefront6targetE1EEEvT1_
                                        ; -- End function
	.section	.AMDGPU.csdata,"",@progbits
; Kernel info:
; codeLenInByte = 0
; NumSgprs: 6
; NumVgprs: 0
; NumAgprs: 0
; TotalNumVgprs: 0
; ScratchSize: 0
; MemoryBound: 0
; FloatMode: 240
; IeeeMode: 1
; LDSByteSize: 0 bytes/workgroup (compile time only)
; SGPRBlocks: 0
; VGPRBlocks: 0
; NumSGPRsForWavesPerEU: 6
; NumVGPRsForWavesPerEU: 1
; AccumOffset: 4
; Occupancy: 8
; WaveLimiterHint : 0
; COMPUTE_PGM_RSRC2:SCRATCH_EN: 0
; COMPUTE_PGM_RSRC2:USER_SGPR: 2
; COMPUTE_PGM_RSRC2:TRAP_HANDLER: 0
; COMPUTE_PGM_RSRC2:TGID_X_EN: 1
; COMPUTE_PGM_RSRC2:TGID_Y_EN: 0
; COMPUTE_PGM_RSRC2:TGID_Z_EN: 0
; COMPUTE_PGM_RSRC2:TIDIG_COMP_CNT: 0
; COMPUTE_PGM_RSRC3_GFX90A:ACCUM_OFFSET: 0
; COMPUTE_PGM_RSRC3_GFX90A:TG_SPLIT: 0
	.section	.text._ZN7rocprim17ROCPRIM_400000_NS6detail17trampoline_kernelINS0_14default_configENS1_25partition_config_selectorILNS1_17partition_subalgoE0ExNS0_10empty_typeEbEEZZNS1_14partition_implILS5_0ELb0ES3_jN6thrust23THRUST_200600_302600_NS6detail15normal_iteratorINSA_10device_ptrIxEEEEPS6_SG_NS0_5tupleIJNSA_16discard_iteratorINSA_11use_defaultEEESK_EEENSH_IJSG_SG_EEES6_PlJ7is_evenIxEEEE10hipError_tPvRmT3_T4_T5_T6_T7_T9_mT8_P12ihipStream_tbDpT10_ENKUlT_T0_E_clISt17integral_constantIbLb0EES19_EEDaS14_S15_EUlS14_E_NS1_11comp_targetILNS1_3genE5ELNS1_11target_archE942ELNS1_3gpuE9ELNS1_3repE0EEENS1_30default_config_static_selectorELNS0_4arch9wavefront6targetE1EEEvT1_,"axG",@progbits,_ZN7rocprim17ROCPRIM_400000_NS6detail17trampoline_kernelINS0_14default_configENS1_25partition_config_selectorILNS1_17partition_subalgoE0ExNS0_10empty_typeEbEEZZNS1_14partition_implILS5_0ELb0ES3_jN6thrust23THRUST_200600_302600_NS6detail15normal_iteratorINSA_10device_ptrIxEEEEPS6_SG_NS0_5tupleIJNSA_16discard_iteratorINSA_11use_defaultEEESK_EEENSH_IJSG_SG_EEES6_PlJ7is_evenIxEEEE10hipError_tPvRmT3_T4_T5_T6_T7_T9_mT8_P12ihipStream_tbDpT10_ENKUlT_T0_E_clISt17integral_constantIbLb0EES19_EEDaS14_S15_EUlS14_E_NS1_11comp_targetILNS1_3genE5ELNS1_11target_archE942ELNS1_3gpuE9ELNS1_3repE0EEENS1_30default_config_static_selectorELNS0_4arch9wavefront6targetE1EEEvT1_,comdat
	.protected	_ZN7rocprim17ROCPRIM_400000_NS6detail17trampoline_kernelINS0_14default_configENS1_25partition_config_selectorILNS1_17partition_subalgoE0ExNS0_10empty_typeEbEEZZNS1_14partition_implILS5_0ELb0ES3_jN6thrust23THRUST_200600_302600_NS6detail15normal_iteratorINSA_10device_ptrIxEEEEPS6_SG_NS0_5tupleIJNSA_16discard_iteratorINSA_11use_defaultEEESK_EEENSH_IJSG_SG_EEES6_PlJ7is_evenIxEEEE10hipError_tPvRmT3_T4_T5_T6_T7_T9_mT8_P12ihipStream_tbDpT10_ENKUlT_T0_E_clISt17integral_constantIbLb0EES19_EEDaS14_S15_EUlS14_E_NS1_11comp_targetILNS1_3genE5ELNS1_11target_archE942ELNS1_3gpuE9ELNS1_3repE0EEENS1_30default_config_static_selectorELNS0_4arch9wavefront6targetE1EEEvT1_ ; -- Begin function _ZN7rocprim17ROCPRIM_400000_NS6detail17trampoline_kernelINS0_14default_configENS1_25partition_config_selectorILNS1_17partition_subalgoE0ExNS0_10empty_typeEbEEZZNS1_14partition_implILS5_0ELb0ES3_jN6thrust23THRUST_200600_302600_NS6detail15normal_iteratorINSA_10device_ptrIxEEEEPS6_SG_NS0_5tupleIJNSA_16discard_iteratorINSA_11use_defaultEEESK_EEENSH_IJSG_SG_EEES6_PlJ7is_evenIxEEEE10hipError_tPvRmT3_T4_T5_T6_T7_T9_mT8_P12ihipStream_tbDpT10_ENKUlT_T0_E_clISt17integral_constantIbLb0EES19_EEDaS14_S15_EUlS14_E_NS1_11comp_targetILNS1_3genE5ELNS1_11target_archE942ELNS1_3gpuE9ELNS1_3repE0EEENS1_30default_config_static_selectorELNS0_4arch9wavefront6targetE1EEEvT1_
	.globl	_ZN7rocprim17ROCPRIM_400000_NS6detail17trampoline_kernelINS0_14default_configENS1_25partition_config_selectorILNS1_17partition_subalgoE0ExNS0_10empty_typeEbEEZZNS1_14partition_implILS5_0ELb0ES3_jN6thrust23THRUST_200600_302600_NS6detail15normal_iteratorINSA_10device_ptrIxEEEEPS6_SG_NS0_5tupleIJNSA_16discard_iteratorINSA_11use_defaultEEESK_EEENSH_IJSG_SG_EEES6_PlJ7is_evenIxEEEE10hipError_tPvRmT3_T4_T5_T6_T7_T9_mT8_P12ihipStream_tbDpT10_ENKUlT_T0_E_clISt17integral_constantIbLb0EES19_EEDaS14_S15_EUlS14_E_NS1_11comp_targetILNS1_3genE5ELNS1_11target_archE942ELNS1_3gpuE9ELNS1_3repE0EEENS1_30default_config_static_selectorELNS0_4arch9wavefront6targetE1EEEvT1_
	.p2align	8
	.type	_ZN7rocprim17ROCPRIM_400000_NS6detail17trampoline_kernelINS0_14default_configENS1_25partition_config_selectorILNS1_17partition_subalgoE0ExNS0_10empty_typeEbEEZZNS1_14partition_implILS5_0ELb0ES3_jN6thrust23THRUST_200600_302600_NS6detail15normal_iteratorINSA_10device_ptrIxEEEEPS6_SG_NS0_5tupleIJNSA_16discard_iteratorINSA_11use_defaultEEESK_EEENSH_IJSG_SG_EEES6_PlJ7is_evenIxEEEE10hipError_tPvRmT3_T4_T5_T6_T7_T9_mT8_P12ihipStream_tbDpT10_ENKUlT_T0_E_clISt17integral_constantIbLb0EES19_EEDaS14_S15_EUlS14_E_NS1_11comp_targetILNS1_3genE5ELNS1_11target_archE942ELNS1_3gpuE9ELNS1_3repE0EEENS1_30default_config_static_selectorELNS0_4arch9wavefront6targetE1EEEvT1_,@function
_ZN7rocprim17ROCPRIM_400000_NS6detail17trampoline_kernelINS0_14default_configENS1_25partition_config_selectorILNS1_17partition_subalgoE0ExNS0_10empty_typeEbEEZZNS1_14partition_implILS5_0ELb0ES3_jN6thrust23THRUST_200600_302600_NS6detail15normal_iteratorINSA_10device_ptrIxEEEEPS6_SG_NS0_5tupleIJNSA_16discard_iteratorINSA_11use_defaultEEESK_EEENSH_IJSG_SG_EEES6_PlJ7is_evenIxEEEE10hipError_tPvRmT3_T4_T5_T6_T7_T9_mT8_P12ihipStream_tbDpT10_ENKUlT_T0_E_clISt17integral_constantIbLb0EES19_EEDaS14_S15_EUlS14_E_NS1_11comp_targetILNS1_3genE5ELNS1_11target_archE942ELNS1_3gpuE9ELNS1_3repE0EEENS1_30default_config_static_selectorELNS0_4arch9wavefront6targetE1EEEvT1_: ; @_ZN7rocprim17ROCPRIM_400000_NS6detail17trampoline_kernelINS0_14default_configENS1_25partition_config_selectorILNS1_17partition_subalgoE0ExNS0_10empty_typeEbEEZZNS1_14partition_implILS5_0ELb0ES3_jN6thrust23THRUST_200600_302600_NS6detail15normal_iteratorINSA_10device_ptrIxEEEEPS6_SG_NS0_5tupleIJNSA_16discard_iteratorINSA_11use_defaultEEESK_EEENSH_IJSG_SG_EEES6_PlJ7is_evenIxEEEE10hipError_tPvRmT3_T4_T5_T6_T7_T9_mT8_P12ihipStream_tbDpT10_ENKUlT_T0_E_clISt17integral_constantIbLb0EES19_EEDaS14_S15_EUlS14_E_NS1_11comp_targetILNS1_3genE5ELNS1_11target_archE942ELNS1_3gpuE9ELNS1_3repE0EEENS1_30default_config_static_selectorELNS0_4arch9wavefront6targetE1EEEvT1_
; %bb.0:
	s_load_dwordx2 s[8:9], s[0:1], 0x68
	s_load_dwordx4 s[4:7], s[0:1], 0x8
	s_load_dwordx4 s[20:23], s[0:1], 0x58
	s_load_dword s3, s[0:1], 0x80
	v_lshlrev_b32_e32 v18, 3, v0
	s_waitcnt lgkmcnt(0)
	v_mov_b32_e32 v3, s9
	s_lshl_b64 s[10:11], s[6:7], 3
	s_add_u32 s9, s4, s10
	s_mul_i32 s4, s3, 0xe00
	s_addc_u32 s12, s5, s11
	s_add_i32 s13, s3, -1
	s_add_i32 s3, s4, s6
	s_sub_i32 s3, s8, s3
	s_add_u32 s4, s6, s4
	s_addc_u32 s5, s7, 0
	s_cmp_eq_u32 s2, s13
	v_mov_b32_e32 v2, s8
	s_load_dwordx2 s[18:19], s[22:23], 0x0
	s_cselect_b64 s[22:23], -1, 0
	s_cmp_lg_u32 s2, s13
	s_mul_i32 s10, s2, 0xe00
	s_mov_b32 s11, 0
	v_cmp_lt_u64_e32 vcc, s[4:5], v[2:3]
	s_cselect_b64 s[4:5], -1, 0
	s_or_b64 s[4:5], s[4:5], vcc
	s_lshl_b64 s[6:7], s[10:11], 3
	s_add_u32 s6, s9, s6
	s_addc_u32 s7, s12, s7
	s_mov_b64 s[8:9], -1
	s_and_b64 vcc, exec, s[4:5]
	s_cbranch_vccz .LBB2588_2
; %bb.1:
	v_mov_b32_e32 v19, 0
	v_lshl_add_u64 v[2:3], s[6:7], 0, v[18:19]
	v_add_co_u32_e32 v4, vcc, 0x1000, v2
	s_mov_b64 s[8:9], 0
	s_nop 0
	v_addc_co_u32_e32 v5, vcc, 0, v3, vcc
	v_add_co_u32_e32 v6, vcc, 0x2000, v2
	s_nop 1
	v_addc_co_u32_e32 v7, vcc, 0, v3, vcc
	v_add_co_u32_e32 v8, vcc, 0x3000, v2
	s_nop 1
	v_addc_co_u32_e32 v9, vcc, 0, v3, vcc
	flat_load_dwordx2 v[10:11], v[2:3]
	flat_load_dwordx2 v[12:13], v[4:5]
	;; [unrolled: 1-line block ×4, first 2 shown]
	v_add_co_u32_e32 v4, vcc, 0x4000, v2
	s_nop 1
	v_addc_co_u32_e32 v5, vcc, 0, v3, vcc
	v_add_co_u32_e32 v6, vcc, 0x5000, v2
	s_nop 1
	v_addc_co_u32_e32 v7, vcc, 0, v3, vcc
	;; [unrolled: 3-line block ×3, first 2 shown]
	flat_load_dwordx2 v[8:9], v[4:5]
	flat_load_dwordx2 v[20:21], v[6:7]
	;; [unrolled: 1-line block ×3, first 2 shown]
	s_waitcnt vmcnt(0) lgkmcnt(0)
	ds_write2st64_b64 v18, v[10:11], v[12:13] offset1:8
	ds_write2st64_b64 v18, v[14:15], v[16:17] offset0:16 offset1:24
	ds_write2st64_b64 v18, v[8:9], v[20:21] offset0:32 offset1:40
	ds_write_b64 v18, v[22:23] offset:24576
	s_waitcnt lgkmcnt(0)
	s_barrier
.LBB2588_2:
	s_andn2_b64 vcc, exec, s[8:9]
	s_addk_i32 s3, 0xe00
	s_cbranch_vccnz .LBB2588_18
; %bb.3:
	v_cmp_gt_u32_e32 vcc, s3, v0
                                        ; implicit-def: $vgpr2_vgpr3_vgpr4_vgpr5_vgpr6_vgpr7_vgpr8_vgpr9_vgpr10_vgpr11_vgpr12_vgpr13_vgpr14_vgpr15_vgpr16_vgpr17
	s_and_saveexec_b64 s[8:9], vcc
	s_cbranch_execz .LBB2588_5
; %bb.4:
	v_mov_b32_e32 v19, 0
	v_lshl_add_u64 v[2:3], s[6:7], 0, v[18:19]
	flat_load_dwordx2 v[2:3], v[2:3]
.LBB2588_5:
	s_or_b64 exec, exec, s[8:9]
	v_or_b32_e32 v1, 0x200, v0
	v_cmp_gt_u32_e32 vcc, s3, v1
	s_and_saveexec_b64 s[8:9], vcc
	s_cbranch_execz .LBB2588_7
; %bb.6:
	v_lshlrev_b32_e32 v4, 3, v1
	v_mov_b32_e32 v5, 0
	v_lshl_add_u64 v[4:5], s[6:7], 0, v[4:5]
	flat_load_dwordx2 v[4:5], v[4:5]
.LBB2588_7:
	s_or_b64 exec, exec, s[8:9]
	v_or_b32_e32 v1, 0x400, v0
	v_cmp_gt_u32_e32 vcc, s3, v1
	s_and_saveexec_b64 s[8:9], vcc
	s_cbranch_execz .LBB2588_9
; %bb.8:
	v_lshlrev_b32_e32 v6, 3, v1
	v_mov_b32_e32 v7, 0
	v_lshl_add_u64 v[6:7], s[6:7], 0, v[6:7]
	flat_load_dwordx2 v[6:7], v[6:7]
.LBB2588_9:
	;; [unrolled: 11-line block ×6, first 2 shown]
	s_or_b64 exec, exec, s[8:9]
	s_waitcnt vmcnt(0) lgkmcnt(0)
	ds_write2st64_b64 v18, v[2:3], v[4:5] offset1:8
	ds_write2st64_b64 v18, v[6:7], v[8:9] offset0:16 offset1:24
	ds_write2st64_b64 v18, v[10:11], v[12:13] offset0:32 offset1:40
	ds_write_b64 v18, v[14:15] offset:24576
	s_waitcnt lgkmcnt(0)
	s_barrier
.LBB2588_18:
	v_mul_u32_u24_e32 v1, 7, v0
	v_lshlrev_b32_e32 v31, 3, v1
	s_waitcnt lgkmcnt(0)
	ds_read2_b64 v[10:13], v31 offset1:1
	ds_read2_b64 v[6:9], v31 offset0:2 offset1:3
	ds_read2_b64 v[2:5], v31 offset0:4 offset1:5
	ds_read_b64 v[14:15], v31 offset:48
	s_andn2_b64 vcc, exec, s[4:5]
	s_waitcnt lgkmcnt(3)
	v_xor_b32_e32 v22, -1, v10
	v_xor_b32_e32 v21, -1, v12
	s_waitcnt lgkmcnt(2)
	v_xor_b32_e32 v20, -1, v6
	v_xor_b32_e32 v19, -1, v8
	;; [unrolled: 3-line block ×3, first 2 shown]
	s_waitcnt lgkmcnt(0)
	v_xor_b32_e32 v16, -1, v14
	s_barrier
	s_cbranch_vccnz .LBB2588_20
; %bb.19:
	v_mov_b32_e32 v24, 1
	v_and_b32_e32 v23, 1, v22
	v_and_b32_sdwa v25, v21, v24 dst_sel:BYTE_1 dst_unused:UNUSED_PAD src0_sel:DWORD src1_sel:DWORD
	v_and_b32_e32 v29, 1, v20
	v_and_b32_sdwa v24, v19, v24 dst_sel:BYTE_1 dst_unused:UNUSED_PAD src0_sel:DWORD src1_sel:DWORD
	v_or_b32_e32 v23, v23, v25
	v_or_b32_sdwa v24, v29, v24 dst_sel:WORD_1 dst_unused:UNUSED_PAD src0_sel:DWORD src1_sel:DWORD
	v_and_b32_e32 v28, 1, v18
	v_and_b32_e32 v27, 1, v17
	;; [unrolled: 1-line block ×3, first 2 shown]
	v_or_b32_sdwa v29, v23, v24 dst_sel:DWORD dst_unused:UNUSED_PAD src0_sel:WORD_0 src1_sel:DWORD
	s_load_dwordx2 s[24:25], s[0:1], 0x78
	s_cbranch_execz .LBB2588_21
	s_branch .LBB2588_22
.LBB2588_20:
                                        ; implicit-def: $vgpr26
                                        ; implicit-def: $vgpr27
                                        ; implicit-def: $vgpr28
                                        ; implicit-def: $vgpr29
	s_load_dwordx2 s[24:25], s[0:1], 0x78
.LBB2588_21:
	v_add_u32_e32 v23, 1, v1
	v_cmp_gt_u32_e32 vcc, s3, v1
	v_add_u32_e32 v24, 2, v1
	v_add_u32_e32 v25, 3, v1
	v_cndmask_b32_e64 v28, 0, 1, vcc
	v_cmp_gt_u32_e32 vcc, s3, v23
	v_add_u32_e32 v26, 4, v1
	v_add_u32_e32 v27, 5, v1
	v_cndmask_b32_e64 v23, 0, 1, vcc
	v_cmp_gt_u32_e32 vcc, s3, v24
	v_and_b32_sdwa v21, v23, v21 dst_sel:BYTE_1 dst_unused:UNUSED_PAD src0_sel:DWORD src1_sel:DWORD
	v_add_u32_e32 v29, 6, v1
	v_cndmask_b32_e64 v23, 0, 1, vcc
	v_cmp_gt_u32_e32 vcc, s3, v25
	v_and_b32_e32 v20, v23, v20
	v_and_b32_e32 v22, v28, v22
	v_cndmask_b32_e64 v23, 0, 1, vcc
	v_cmp_gt_u32_e32 vcc, s3, v26
	v_and_b32_sdwa v19, v23, v19 dst_sel:BYTE_1 dst_unused:UNUSED_PAD src0_sel:DWORD src1_sel:DWORD
	s_nop 0
	v_cndmask_b32_e64 v23, 0, 1, vcc
	v_cmp_gt_u32_e32 vcc, s3, v27
	v_and_b32_e32 v28, v23, v18
	s_nop 0
	v_cndmask_b32_e64 v18, 0, 1, vcc
	v_cmp_gt_u32_e32 vcc, s3, v29
	v_and_b32_e32 v27, v18, v17
	s_nop 0
	v_cndmask_b32_e64 v17, 0, 1, vcc
	v_and_b32_e32 v26, v17, v16
	v_or_b32_e32 v16, v22, v21
	v_or_b32_sdwa v17, v20, v19 dst_sel:WORD_1 dst_unused:UNUSED_PAD src0_sel:DWORD src1_sel:DWORD
	s_nop 0
	v_or_b32_sdwa v29, v16, v17 dst_sel:DWORD dst_unused:UNUSED_PAD src0_sel:WORD_0 src1_sel:DWORD
.LBB2588_22:
	v_and_b32_e32 v32, 0xff, v29
	v_bfe_u32 v33, v29, 8, 8
	v_bfe_u32 v34, v29, 16, 8
	v_lshrrev_b32_e32 v30, 24, v29
	v_and_b32_e32 v35, 0xff, v28
	v_add3_u32 v17, v33, v32, v34
	v_and_b32_e32 v36, 0xff, v27
	v_and_b32_e32 v16, 0xff, v26
	v_add3_u32 v17, v17, v30, v35
	v_add3_u32 v39, v17, v36, v16
	v_mbcnt_lo_u32_b32 v16, -1, 0
	v_mbcnt_hi_u32_b32 v37, -1, v16
	v_and_b32_e32 v16, 15, v37
	v_cmp_eq_u32_e64 s[12:13], 0, v16
	v_cmp_lt_u32_e64 s[10:11], 1, v16
	v_cmp_lt_u32_e64 s[8:9], 3, v16
	;; [unrolled: 1-line block ×3, first 2 shown]
	v_and_b32_e32 v16, 16, v37
	v_cmp_eq_u32_e64 s[4:5], 0, v16
	v_or_b32_e32 v16, 63, v0
	s_cmp_lg_u32 s2, 0
	v_cmp_lt_u32_e64 s[0:1], 31, v37
	v_lshrrev_b32_e32 v38, 6, v0
	v_cmp_eq_u32_e64 s[16:17], v16, v0
	s_cbranch_scc0 .LBB2588_49
; %bb.23:
	v_mov_b32_dpp v16, v39 row_shr:1 row_mask:0xf bank_mask:0xf
	v_cndmask_b32_e64 v16, v16, 0, s[12:13]
	v_add_u32_e32 v16, v16, v39
	s_nop 1
	v_mov_b32_dpp v17, v16 row_shr:2 row_mask:0xf bank_mask:0xf
	v_cndmask_b32_e64 v17, 0, v17, s[10:11]
	v_add_u32_e32 v16, v16, v17
	s_nop 1
	;; [unrolled: 4-line block ×4, first 2 shown]
	v_mov_b32_dpp v17, v16 row_bcast:15 row_mask:0xf bank_mask:0xf
	v_cndmask_b32_e64 v17, v17, 0, s[4:5]
	v_add_u32_e32 v16, v16, v17
	s_nop 1
	v_mov_b32_dpp v17, v16 row_bcast:31 row_mask:0xf bank_mask:0xf
	v_cndmask_b32_e64 v17, 0, v17, s[0:1]
	v_add_u32_e32 v16, v16, v17
	s_and_saveexec_b64 s[14:15], s[16:17]
	s_cbranch_execz .LBB2588_25
; %bb.24:
	v_lshlrev_b32_e32 v17, 2, v38
	ds_write_b32 v17, v16
.LBB2588_25:
	s_or_b64 exec, exec, s[14:15]
	v_cmp_gt_u32_e32 vcc, 8, v0
	s_waitcnt lgkmcnt(0)
	s_barrier
	s_and_saveexec_b64 s[14:15], vcc
	s_cbranch_execz .LBB2588_27
; %bb.26:
	v_lshlrev_b32_e32 v17, 2, v0
	ds_read_b32 v18, v17
	v_and_b32_e32 v19, 7, v37
	v_cmp_ne_u32_e32 vcc, 0, v19
	s_waitcnt lgkmcnt(0)
	v_mov_b32_dpp v20, v18 row_shr:1 row_mask:0xf bank_mask:0xf
	v_cndmask_b32_e32 v20, 0, v20, vcc
	v_add_u32_e32 v18, v20, v18
	v_cmp_lt_u32_e32 vcc, 1, v19
	s_nop 0
	v_mov_b32_dpp v20, v18 row_shr:2 row_mask:0xf bank_mask:0xf
	v_cndmask_b32_e32 v20, 0, v20, vcc
	v_add_u32_e32 v18, v18, v20
	v_cmp_lt_u32_e32 vcc, 3, v19
	s_nop 0
	v_mov_b32_dpp v20, v18 row_shr:4 row_mask:0xf bank_mask:0xf
	v_cndmask_b32_e32 v19, 0, v20, vcc
	v_add_u32_e32 v18, v18, v19
	ds_write_b32 v17, v18
.LBB2588_27:
	s_or_b64 exec, exec, s[14:15]
	v_cmp_gt_u32_e32 vcc, 64, v0
	v_cmp_lt_u32_e64 s[14:15], 63, v0
	s_waitcnt lgkmcnt(0)
	s_barrier
	s_waitcnt lgkmcnt(0)
                                        ; implicit-def: $vgpr40
	s_and_saveexec_b64 s[26:27], s[14:15]
	s_cbranch_execz .LBB2588_29
; %bb.28:
	v_lshl_add_u32 v17, v38, 2, -4
	ds_read_b32 v40, v17
	s_waitcnt lgkmcnt(0)
	v_add_u32_e32 v16, v40, v16
.LBB2588_29:
	s_or_b64 exec, exec, s[26:27]
	v_add_u32_e32 v17, -1, v37
	v_and_b32_e32 v18, 64, v37
	v_cmp_lt_i32_e64 s[14:15], v17, v18
	s_nop 1
	v_cndmask_b32_e64 v17, v17, v37, s[14:15]
	v_lshlrev_b32_e32 v17, 2, v17
	ds_bpermute_b32 v41, v17, v16
	v_cmp_eq_u32_e64 s[14:15], 0, v37
	s_and_saveexec_b64 s[26:27], vcc
	s_cbranch_execz .LBB2588_48
; %bb.30:
	v_mov_b32_e32 v23, 0
	ds_read_b32 v16, v23 offset:28
	s_and_saveexec_b64 s[28:29], s[14:15]
	s_cbranch_execz .LBB2588_32
; %bb.31:
	s_add_i32 s30, s2, 64
	s_mov_b32 s31, 0
	s_lshl_b64 s[30:31], s[30:31], 3
	s_add_u32 s30, s24, s30
	v_mov_b32_e32 v17, 1
	s_addc_u32 s31, s25, s31
	s_waitcnt lgkmcnt(0)
	global_store_dwordx2 v23, v[16:17], s[30:31] sc1
.LBB2588_32:
	s_or_b64 exec, exec, s[28:29]
	v_xad_u32 v18, v37, -1, s2
	v_add_u32_e32 v22, 64, v18
	v_lshl_add_u64 v[24:25], v[22:23], 3, s[24:25]
	global_load_dwordx2 v[20:21], v[24:25], off sc1
	s_waitcnt vmcnt(0)
	v_cmp_eq_u16_sdwa s[30:31], v21, v23 src0_sel:BYTE_0 src1_sel:DWORD
	s_and_saveexec_b64 s[28:29], s[30:31]
	s_cbranch_execz .LBB2588_36
; %bb.33:
	s_mov_b64 s[30:31], 0
	v_mov_b32_e32 v17, 0
.LBB2588_34:                            ; =>This Inner Loop Header: Depth=1
	global_load_dwordx2 v[20:21], v[24:25], off sc1
	s_waitcnt vmcnt(0)
	v_cmp_ne_u16_sdwa s[34:35], v21, v17 src0_sel:BYTE_0 src1_sel:DWORD
	s_or_b64 s[30:31], s[34:35], s[30:31]
	s_andn2_b64 exec, exec, s[30:31]
	s_cbranch_execnz .LBB2588_34
; %bb.35:
	s_or_b64 exec, exec, s[30:31]
.LBB2588_36:
	s_or_b64 exec, exec, s[28:29]
	v_and_b32_e32 v43, 63, v37
	v_mov_b32_e32 v42, 2
	v_cmp_ne_u32_e32 vcc, 63, v43
	v_cmp_eq_u16_sdwa s[28:29], v21, v42 src0_sel:BYTE_0 src1_sel:DWORD
	v_lshlrev_b64 v[22:23], v37, -1
	v_addc_co_u32_e32 v24, vcc, 0, v37, vcc
	v_and_b32_e32 v17, s29, v23
	v_lshlrev_b32_e32 v44, 2, v24
	v_or_b32_e32 v17, 0x80000000, v17
	ds_bpermute_b32 v24, v44, v20
	v_and_b32_e32 v19, s28, v22
	v_ffbl_b32_e32 v17, v17
	v_add_u32_e32 v17, 32, v17
	v_ffbl_b32_e32 v19, v19
	v_min_u32_e32 v17, v19, v17
	v_cmp_lt_u32_e32 vcc, v43, v17
	v_add_u32_e32 v46, 2, v43
	v_add_u32_e32 v48, 4, v43
	s_waitcnt lgkmcnt(0)
	v_cndmask_b32_e32 v19, 0, v24, vcc
	v_cmp_gt_u32_e32 vcc, 62, v43
	v_add_u32_e32 v19, v19, v20
	v_add_u32_e32 v50, 8, v43
	v_cndmask_b32_e64 v20, 0, 1, vcc
	v_lshlrev_b32_e32 v20, 1, v20
	v_add_lshl_u32 v45, v20, v37, 2
	ds_bpermute_b32 v20, v45, v19
	v_cmp_le_u32_e32 vcc, v46, v17
	v_add_u32_e32 v52, 16, v43
	v_add_u32_e32 v54, 32, v43
	s_waitcnt lgkmcnt(0)
	v_cndmask_b32_e32 v20, 0, v20, vcc
	v_cmp_gt_u32_e32 vcc, 60, v43
	v_add_u32_e32 v19, v19, v20
	s_nop 0
	v_cndmask_b32_e64 v20, 0, 1, vcc
	v_lshlrev_b32_e32 v20, 2, v20
	v_add_lshl_u32 v47, v20, v37, 2
	ds_bpermute_b32 v20, v47, v19
	v_cmp_le_u32_e32 vcc, v48, v17
	s_waitcnt lgkmcnt(0)
	s_nop 0
	v_cndmask_b32_e32 v20, 0, v20, vcc
	v_cmp_gt_u32_e32 vcc, 56, v43
	v_add_u32_e32 v19, v19, v20
	s_nop 0
	v_cndmask_b32_e64 v20, 0, 1, vcc
	v_lshlrev_b32_e32 v20, 3, v20
	v_add_lshl_u32 v49, v20, v37, 2
	ds_bpermute_b32 v20, v49, v19
	v_cmp_le_u32_e32 vcc, v50, v17
	s_waitcnt lgkmcnt(0)
	s_nop 0
	;; [unrolled: 11-line block ×4, first 2 shown]
	v_cndmask_b32_e32 v17, 0, v20, vcc
	v_add_u32_e32 v20, v19, v17
	v_mov_b32_e32 v19, 0
	s_branch .LBB2588_38
.LBB2588_37:                            ;   in Loop: Header=BB2588_38 Depth=1
	s_or_b64 exec, exec, s[28:29]
	v_cmp_eq_u16_sdwa s[28:29], v21, v42 src0_sel:BYTE_0 src1_sel:DWORD
	ds_bpermute_b32 v55, v44, v20
	v_subrev_u32_e32 v18, 64, v18
	v_and_b32_e32 v24, s29, v23
	v_or_b32_e32 v24, 0x80000000, v24
	v_and_b32_e32 v25, s28, v22
	v_ffbl_b32_e32 v24, v24
	v_add_u32_e32 v24, 32, v24
	v_ffbl_b32_e32 v25, v25
	v_min_u32_e32 v24, v25, v24
	v_cmp_lt_u32_e32 vcc, v43, v24
	s_waitcnt lgkmcnt(0)
	s_nop 0
	v_cndmask_b32_e32 v25, 0, v55, vcc
	v_add_u32_e32 v20, v25, v20
	ds_bpermute_b32 v25, v45, v20
	v_cmp_le_u32_e32 vcc, v46, v24
	s_waitcnt lgkmcnt(0)
	s_nop 0
	v_cndmask_b32_e32 v25, 0, v25, vcc
	v_add_u32_e32 v20, v20, v25
	ds_bpermute_b32 v25, v47, v20
	v_cmp_le_u32_e32 vcc, v48, v24
	;; [unrolled: 6-line block ×5, first 2 shown]
	s_waitcnt lgkmcnt(0)
	s_nop 0
	v_cndmask_b32_e32 v24, 0, v25, vcc
	v_add3_u32 v20, v24, v17, v20
.LBB2588_38:                            ; =>This Loop Header: Depth=1
                                        ;     Child Loop BB2588_41 Depth 2
	v_cmp_ne_u16_sdwa s[28:29], v21, v42 src0_sel:BYTE_0 src1_sel:DWORD
	s_nop 1
	v_cndmask_b32_e64 v17, 0, 1, s[28:29]
	;;#ASMSTART
	;;#ASMEND
	s_nop 0
	v_cmp_ne_u32_e32 vcc, 0, v17
	s_cmp_lg_u64 vcc, exec
	v_mov_b32_e32 v17, v20
	s_cbranch_scc1 .LBB2588_43
; %bb.39:                               ;   in Loop: Header=BB2588_38 Depth=1
	v_lshl_add_u64 v[24:25], v[18:19], 3, s[24:25]
	global_load_dwordx2 v[20:21], v[24:25], off sc1
	s_waitcnt vmcnt(0)
	v_cmp_eq_u16_sdwa s[30:31], v21, v19 src0_sel:BYTE_0 src1_sel:DWORD
	s_and_saveexec_b64 s[28:29], s[30:31]
	s_cbranch_execz .LBB2588_37
; %bb.40:                               ;   in Loop: Header=BB2588_38 Depth=1
	s_mov_b64 s[30:31], 0
.LBB2588_41:                            ;   Parent Loop BB2588_38 Depth=1
                                        ; =>  This Inner Loop Header: Depth=2
	global_load_dwordx2 v[20:21], v[24:25], off sc1
	s_waitcnt vmcnt(0)
	v_cmp_ne_u16_sdwa s[34:35], v21, v19 src0_sel:BYTE_0 src1_sel:DWORD
	s_or_b64 s[30:31], s[34:35], s[30:31]
	s_andn2_b64 exec, exec, s[30:31]
	s_cbranch_execnz .LBB2588_41
; %bb.42:                               ;   in Loop: Header=BB2588_38 Depth=1
	s_or_b64 exec, exec, s[30:31]
	s_branch .LBB2588_37
.LBB2588_43:                            ;   in Loop: Header=BB2588_38 Depth=1
                                        ; implicit-def: $vgpr20
                                        ; implicit-def: $vgpr21
	s_cbranch_execz .LBB2588_38
; %bb.44:
	s_and_saveexec_b64 s[28:29], s[14:15]
	s_cbranch_execz .LBB2588_46
; %bb.45:
	s_add_i32 s2, s2, 64
	s_mov_b32 s3, 0
	s_lshl_b64 s[2:3], s[2:3], 3
	s_add_u32 s2, s24, s2
	v_add_u32_e32 v18, v17, v16
	v_mov_b32_e32 v19, 2
	s_addc_u32 s3, s25, s3
	v_mov_b32_e32 v20, 0
	global_store_dwordx2 v20, v[18:19], s[2:3] sc1
	ds_write_b64 v20, v[16:17] offset:28672
.LBB2588_46:
	s_or_b64 exec, exec, s[28:29]
	v_cmp_eq_u32_e32 vcc, 0, v0
	s_and_b64 exec, exec, vcc
	s_cbranch_execz .LBB2588_48
; %bb.47:
	v_mov_b32_e32 v16, 0
	ds_write_b32 v16, v17 offset:28
.LBB2588_48:
	s_or_b64 exec, exec, s[26:27]
	v_mov_b32_e32 v16, 0
	s_waitcnt lgkmcnt(0)
	s_barrier
	ds_read_b32 v17, v16 offset:28
	v_cndmask_b32_e64 v18, v41, v40, s[14:15]
	v_cmp_ne_u32_e32 vcc, 0, v0
	s_waitcnt lgkmcnt(0)
	s_barrier
	v_cndmask_b32_e32 v18, 0, v18, vcc
	v_add_u32_e32 v24, v17, v18
	v_add_u32_e32 v23, v24, v32
	;; [unrolled: 1-line block ×3, first 2 shown]
	ds_read_b64 v[16:17], v16 offset:28672
	v_add_u32_e32 v21, v22, v34
	v_add_u32_e32 v20, v21, v30
	v_add_u32_e32 v19, v20, v35
	v_add_u32_e32 v18, v19, v36
	s_branch .LBB2588_59
.LBB2588_49:
                                        ; implicit-def: $vgpr17
                                        ; implicit-def: $vgpr18
                                        ; implicit-def: $vgpr19
                                        ; implicit-def: $vgpr20
                                        ; implicit-def: $vgpr21
                                        ; implicit-def: $vgpr22
                                        ; implicit-def: $vgpr23
                                        ; implicit-def: $vgpr24
	s_cbranch_execz .LBB2588_59
; %bb.50:
	s_waitcnt lgkmcnt(0)
	v_mov_b32_dpp v16, v39 row_shr:1 row_mask:0xf bank_mask:0xf
	v_cndmask_b32_e64 v16, v16, 0, s[12:13]
	v_add_u32_e32 v16, v16, v39
	s_nop 1
	v_mov_b32_dpp v17, v16 row_shr:2 row_mask:0xf bank_mask:0xf
	v_cndmask_b32_e64 v17, 0, v17, s[10:11]
	v_add_u32_e32 v16, v16, v17
	s_nop 1
	v_mov_b32_dpp v17, v16 row_shr:4 row_mask:0xf bank_mask:0xf
	v_cndmask_b32_e64 v17, 0, v17, s[8:9]
	v_add_u32_e32 v16, v16, v17
	s_nop 1
	v_mov_b32_dpp v17, v16 row_shr:8 row_mask:0xf bank_mask:0xf
	v_cndmask_b32_e64 v17, 0, v17, s[6:7]
	v_add_u32_e32 v16, v16, v17
	s_nop 1
	v_mov_b32_dpp v17, v16 row_bcast:15 row_mask:0xf bank_mask:0xf
	v_cndmask_b32_e64 v17, v17, 0, s[4:5]
	v_add_u32_e32 v16, v16, v17
	s_nop 1
	v_mov_b32_dpp v17, v16 row_bcast:31 row_mask:0xf bank_mask:0xf
	v_cndmask_b32_e64 v17, 0, v17, s[0:1]
	v_add_u32_e32 v16, v16, v17
	s_and_saveexec_b64 s[0:1], s[16:17]
	s_cbranch_execz .LBB2588_52
; %bb.51:
	v_lshlrev_b32_e32 v17, 2, v38
	ds_write_b32 v17, v16
.LBB2588_52:
	s_or_b64 exec, exec, s[0:1]
	v_cmp_gt_u32_e32 vcc, 8, v0
	s_waitcnt lgkmcnt(0)
	s_barrier
	s_and_saveexec_b64 s[0:1], vcc
	s_cbranch_execz .LBB2588_54
; %bb.53:
	s_movk_i32 s2, 0xffcc
	v_mad_i32_i24 v17, v0, s2, v31
	ds_read_b32 v18, v17
	v_and_b32_e32 v19, 7, v37
	v_cmp_ne_u32_e32 vcc, 0, v19
	s_waitcnt lgkmcnt(0)
	v_mov_b32_dpp v20, v18 row_shr:1 row_mask:0xf bank_mask:0xf
	v_cndmask_b32_e32 v20, 0, v20, vcc
	v_add_u32_e32 v18, v20, v18
	v_cmp_lt_u32_e32 vcc, 1, v19
	s_nop 0
	v_mov_b32_dpp v20, v18 row_shr:2 row_mask:0xf bank_mask:0xf
	v_cndmask_b32_e32 v20, 0, v20, vcc
	v_add_u32_e32 v18, v18, v20
	v_cmp_lt_u32_e32 vcc, 3, v19
	s_nop 0
	v_mov_b32_dpp v20, v18 row_shr:4 row_mask:0xf bank_mask:0xf
	v_cndmask_b32_e32 v19, 0, v20, vcc
	v_add_u32_e32 v18, v18, v19
	ds_write_b32 v17, v18
.LBB2588_54:
	s_or_b64 exec, exec, s[0:1]
	v_cmp_lt_u32_e32 vcc, 63, v0
	v_mov_b32_e32 v17, 0
	v_mov_b32_e32 v18, 0
	s_waitcnt lgkmcnt(0)
	s_barrier
	s_and_saveexec_b64 s[0:1], vcc
	s_cbranch_execz .LBB2588_56
; %bb.55:
	v_lshl_add_u32 v18, v38, 2, -4
	ds_read_b32 v18, v18
.LBB2588_56:
	s_or_b64 exec, exec, s[0:1]
	v_add_u32_e32 v19, -1, v37
	v_and_b32_e32 v20, 64, v37
	v_cmp_lt_i32_e32 vcc, v19, v20
	s_waitcnt lgkmcnt(0)
	v_add_u32_e32 v16, v18, v16
	v_cndmask_b32_e32 v19, v19, v37, vcc
	v_lshlrev_b32_e32 v19, 2, v19
	ds_bpermute_b32 v19, v19, v16
	ds_read_b32 v16, v17 offset:28
	v_cmp_eq_u32_e32 vcc, 0, v0
	s_and_saveexec_b64 s[0:1], vcc
	s_cbranch_execz .LBB2588_58
; %bb.57:
	v_mov_b32_e32 v20, 0
	v_mov_b32_e32 v17, 2
	s_waitcnt lgkmcnt(0)
	global_store_dwordx2 v20, v[16:17], s[24:25] offset:512 sc1
.LBB2588_58:
	s_or_b64 exec, exec, s[0:1]
	v_cmp_eq_u32_e64 s[0:1], 0, v37
	v_mov_b32_e32 v17, 0
	s_waitcnt lgkmcnt(0)
	v_cndmask_b32_e64 v18, v19, v18, s[0:1]
	v_cndmask_b32_e64 v24, v18, 0, vcc
	v_add_u32_e32 v23, v24, v32
	v_add_u32_e32 v22, v23, v33
	;; [unrolled: 1-line block ×6, first 2 shown]
	s_barrier
.LBB2588_59:
	s_waitcnt lgkmcnt(0)
	v_add_u32_e32 v1, v16, v1
	v_sub_u32_e32 v24, v24, v17
	v_and_b32_e32 v32, 1, v29
	v_sub_u32_e32 v31, v1, v24
	v_cmp_eq_u32_e32 vcc, 1, v32
	v_lshrrev_b32_e32 v25, 8, v29
	s_nop 0
	v_cndmask_b32_e32 v24, v31, v24, vcc
	v_lshlrev_b32_e32 v24, 3, v24
	ds_write_b64 v24, v[10:11]
	v_sub_u32_e32 v10, v23, v17
	v_sub_u32_e32 v11, v1, v10
	v_and_b32_e32 v23, 1, v25
	v_add_u32_e32 v11, 1, v11
	v_cmp_eq_u32_e32 vcc, 1, v23
	s_nop 1
	v_cndmask_b32_e32 v10, v11, v10, vcc
	v_lshlrev_b32_e32 v10, 3, v10
	ds_write_b64 v10, v[12:13]
	v_sub_u32_e32 v10, v22, v17
	v_mov_b32_e32 v12, 1
	v_sub_u32_e32 v11, v1, v10
	v_and_b32_sdwa v12, v12, v29 dst_sel:DWORD dst_unused:UNUSED_PAD src0_sel:DWORD src1_sel:WORD_1
	v_add_u32_e32 v11, 2, v11
	v_cmp_eq_u32_e32 vcc, 1, v12
	s_nop 1
	v_cndmask_b32_e32 v10, v11, v10, vcc
	v_lshlrev_b32_e32 v10, 3, v10
	ds_write_b64 v10, v[6:7]
	v_sub_u32_e32 v6, v21, v17
	v_sub_u32_e32 v7, v1, v6
	v_and_b32_e32 v10, 1, v30
	v_add_u32_e32 v7, 3, v7
	v_cmp_eq_u32_e32 vcc, 1, v10
	s_nop 1
	v_cndmask_b32_e32 v6, v7, v6, vcc
	v_lshlrev_b32_e32 v6, 3, v6
	ds_write_b64 v6, v[8:9]
	v_sub_u32_e32 v6, v20, v17
	v_sub_u32_e32 v7, v1, v6
	v_and_b32_e32 v8, 1, v28
	;; [unrolled: 9-line block ×4, first 2 shown]
	v_add_u32_e32 v1, 6, v1
	v_cmp_eq_u32_e32 vcc, 1, v3
	s_nop 1
	v_cndmask_b32_e32 v1, v1, v2, vcc
	v_cmp_eq_u32_e32 vcc, 0, v0
	v_lshlrev_b32_e32 v1, 3, v1
	s_and_b64 s[0:1], vcc, s[22:23]
	ds_write_b64 v1, v[14:15]
	s_waitcnt lgkmcnt(0)
	s_barrier
	s_and_saveexec_b64 s[2:3], s[0:1]
	s_cbranch_execz .LBB2588_61
; %bb.60:
	v_mov_b32_e32 v1, 0
	v_mov_b32_e32 v0, v16
	v_lshl_add_u64 v[2:3], s[18:19], 0, v[0:1]
	v_mov_b32_e32 v0, v17
	v_lshl_add_u64 v[2:3], v[2:3], 0, v[0:1]
	global_store_dwordx2 v1, v[2:3], s[20:21]
.LBB2588_61:
	s_endpgm
	.section	.rodata,"a",@progbits
	.p2align	6, 0x0
	.amdhsa_kernel _ZN7rocprim17ROCPRIM_400000_NS6detail17trampoline_kernelINS0_14default_configENS1_25partition_config_selectorILNS1_17partition_subalgoE0ExNS0_10empty_typeEbEEZZNS1_14partition_implILS5_0ELb0ES3_jN6thrust23THRUST_200600_302600_NS6detail15normal_iteratorINSA_10device_ptrIxEEEEPS6_SG_NS0_5tupleIJNSA_16discard_iteratorINSA_11use_defaultEEESK_EEENSH_IJSG_SG_EEES6_PlJ7is_evenIxEEEE10hipError_tPvRmT3_T4_T5_T6_T7_T9_mT8_P12ihipStream_tbDpT10_ENKUlT_T0_E_clISt17integral_constantIbLb0EES19_EEDaS14_S15_EUlS14_E_NS1_11comp_targetILNS1_3genE5ELNS1_11target_archE942ELNS1_3gpuE9ELNS1_3repE0EEENS1_30default_config_static_selectorELNS0_4arch9wavefront6targetE1EEEvT1_
		.amdhsa_group_segment_fixed_size 28680
		.amdhsa_private_segment_fixed_size 0
		.amdhsa_kernarg_size 136
		.amdhsa_user_sgpr_count 2
		.amdhsa_user_sgpr_dispatch_ptr 0
		.amdhsa_user_sgpr_queue_ptr 0
		.amdhsa_user_sgpr_kernarg_segment_ptr 1
		.amdhsa_user_sgpr_dispatch_id 0
		.amdhsa_user_sgpr_kernarg_preload_length 0
		.amdhsa_user_sgpr_kernarg_preload_offset 0
		.amdhsa_user_sgpr_private_segment_size 0
		.amdhsa_uses_dynamic_stack 0
		.amdhsa_enable_private_segment 0
		.amdhsa_system_sgpr_workgroup_id_x 1
		.amdhsa_system_sgpr_workgroup_id_y 0
		.amdhsa_system_sgpr_workgroup_id_z 0
		.amdhsa_system_sgpr_workgroup_info 0
		.amdhsa_system_vgpr_workitem_id 0
		.amdhsa_next_free_vgpr 56
		.amdhsa_next_free_sgpr 36
		.amdhsa_accum_offset 56
		.amdhsa_reserve_vcc 1
		.amdhsa_float_round_mode_32 0
		.amdhsa_float_round_mode_16_64 0
		.amdhsa_float_denorm_mode_32 3
		.amdhsa_float_denorm_mode_16_64 3
		.amdhsa_dx10_clamp 1
		.amdhsa_ieee_mode 1
		.amdhsa_fp16_overflow 0
		.amdhsa_tg_split 0
		.amdhsa_exception_fp_ieee_invalid_op 0
		.amdhsa_exception_fp_denorm_src 0
		.amdhsa_exception_fp_ieee_div_zero 0
		.amdhsa_exception_fp_ieee_overflow 0
		.amdhsa_exception_fp_ieee_underflow 0
		.amdhsa_exception_fp_ieee_inexact 0
		.amdhsa_exception_int_div_zero 0
	.end_amdhsa_kernel
	.section	.text._ZN7rocprim17ROCPRIM_400000_NS6detail17trampoline_kernelINS0_14default_configENS1_25partition_config_selectorILNS1_17partition_subalgoE0ExNS0_10empty_typeEbEEZZNS1_14partition_implILS5_0ELb0ES3_jN6thrust23THRUST_200600_302600_NS6detail15normal_iteratorINSA_10device_ptrIxEEEEPS6_SG_NS0_5tupleIJNSA_16discard_iteratorINSA_11use_defaultEEESK_EEENSH_IJSG_SG_EEES6_PlJ7is_evenIxEEEE10hipError_tPvRmT3_T4_T5_T6_T7_T9_mT8_P12ihipStream_tbDpT10_ENKUlT_T0_E_clISt17integral_constantIbLb0EES19_EEDaS14_S15_EUlS14_E_NS1_11comp_targetILNS1_3genE5ELNS1_11target_archE942ELNS1_3gpuE9ELNS1_3repE0EEENS1_30default_config_static_selectorELNS0_4arch9wavefront6targetE1EEEvT1_,"axG",@progbits,_ZN7rocprim17ROCPRIM_400000_NS6detail17trampoline_kernelINS0_14default_configENS1_25partition_config_selectorILNS1_17partition_subalgoE0ExNS0_10empty_typeEbEEZZNS1_14partition_implILS5_0ELb0ES3_jN6thrust23THRUST_200600_302600_NS6detail15normal_iteratorINSA_10device_ptrIxEEEEPS6_SG_NS0_5tupleIJNSA_16discard_iteratorINSA_11use_defaultEEESK_EEENSH_IJSG_SG_EEES6_PlJ7is_evenIxEEEE10hipError_tPvRmT3_T4_T5_T6_T7_T9_mT8_P12ihipStream_tbDpT10_ENKUlT_T0_E_clISt17integral_constantIbLb0EES19_EEDaS14_S15_EUlS14_E_NS1_11comp_targetILNS1_3genE5ELNS1_11target_archE942ELNS1_3gpuE9ELNS1_3repE0EEENS1_30default_config_static_selectorELNS0_4arch9wavefront6targetE1EEEvT1_,comdat
.Lfunc_end2588:
	.size	_ZN7rocprim17ROCPRIM_400000_NS6detail17trampoline_kernelINS0_14default_configENS1_25partition_config_selectorILNS1_17partition_subalgoE0ExNS0_10empty_typeEbEEZZNS1_14partition_implILS5_0ELb0ES3_jN6thrust23THRUST_200600_302600_NS6detail15normal_iteratorINSA_10device_ptrIxEEEEPS6_SG_NS0_5tupleIJNSA_16discard_iteratorINSA_11use_defaultEEESK_EEENSH_IJSG_SG_EEES6_PlJ7is_evenIxEEEE10hipError_tPvRmT3_T4_T5_T6_T7_T9_mT8_P12ihipStream_tbDpT10_ENKUlT_T0_E_clISt17integral_constantIbLb0EES19_EEDaS14_S15_EUlS14_E_NS1_11comp_targetILNS1_3genE5ELNS1_11target_archE942ELNS1_3gpuE9ELNS1_3repE0EEENS1_30default_config_static_selectorELNS0_4arch9wavefront6targetE1EEEvT1_, .Lfunc_end2588-_ZN7rocprim17ROCPRIM_400000_NS6detail17trampoline_kernelINS0_14default_configENS1_25partition_config_selectorILNS1_17partition_subalgoE0ExNS0_10empty_typeEbEEZZNS1_14partition_implILS5_0ELb0ES3_jN6thrust23THRUST_200600_302600_NS6detail15normal_iteratorINSA_10device_ptrIxEEEEPS6_SG_NS0_5tupleIJNSA_16discard_iteratorINSA_11use_defaultEEESK_EEENSH_IJSG_SG_EEES6_PlJ7is_evenIxEEEE10hipError_tPvRmT3_T4_T5_T6_T7_T9_mT8_P12ihipStream_tbDpT10_ENKUlT_T0_E_clISt17integral_constantIbLb0EES19_EEDaS14_S15_EUlS14_E_NS1_11comp_targetILNS1_3genE5ELNS1_11target_archE942ELNS1_3gpuE9ELNS1_3repE0EEENS1_30default_config_static_selectorELNS0_4arch9wavefront6targetE1EEEvT1_
                                        ; -- End function
	.section	.AMDGPU.csdata,"",@progbits
; Kernel info:
; codeLenInByte = 3596
; NumSgprs: 42
; NumVgprs: 56
; NumAgprs: 0
; TotalNumVgprs: 56
; ScratchSize: 0
; MemoryBound: 0
; FloatMode: 240
; IeeeMode: 1
; LDSByteSize: 28680 bytes/workgroup (compile time only)
; SGPRBlocks: 5
; VGPRBlocks: 6
; NumSGPRsForWavesPerEU: 42
; NumVGPRsForWavesPerEU: 56
; AccumOffset: 56
; Occupancy: 4
; WaveLimiterHint : 1
; COMPUTE_PGM_RSRC2:SCRATCH_EN: 0
; COMPUTE_PGM_RSRC2:USER_SGPR: 2
; COMPUTE_PGM_RSRC2:TRAP_HANDLER: 0
; COMPUTE_PGM_RSRC2:TGID_X_EN: 1
; COMPUTE_PGM_RSRC2:TGID_Y_EN: 0
; COMPUTE_PGM_RSRC2:TGID_Z_EN: 0
; COMPUTE_PGM_RSRC2:TIDIG_COMP_CNT: 0
; COMPUTE_PGM_RSRC3_GFX90A:ACCUM_OFFSET: 13
; COMPUTE_PGM_RSRC3_GFX90A:TG_SPLIT: 0
	.section	.text._ZN7rocprim17ROCPRIM_400000_NS6detail17trampoline_kernelINS0_14default_configENS1_25partition_config_selectorILNS1_17partition_subalgoE0ExNS0_10empty_typeEbEEZZNS1_14partition_implILS5_0ELb0ES3_jN6thrust23THRUST_200600_302600_NS6detail15normal_iteratorINSA_10device_ptrIxEEEEPS6_SG_NS0_5tupleIJNSA_16discard_iteratorINSA_11use_defaultEEESK_EEENSH_IJSG_SG_EEES6_PlJ7is_evenIxEEEE10hipError_tPvRmT3_T4_T5_T6_T7_T9_mT8_P12ihipStream_tbDpT10_ENKUlT_T0_E_clISt17integral_constantIbLb0EES19_EEDaS14_S15_EUlS14_E_NS1_11comp_targetILNS1_3genE4ELNS1_11target_archE910ELNS1_3gpuE8ELNS1_3repE0EEENS1_30default_config_static_selectorELNS0_4arch9wavefront6targetE1EEEvT1_,"axG",@progbits,_ZN7rocprim17ROCPRIM_400000_NS6detail17trampoline_kernelINS0_14default_configENS1_25partition_config_selectorILNS1_17partition_subalgoE0ExNS0_10empty_typeEbEEZZNS1_14partition_implILS5_0ELb0ES3_jN6thrust23THRUST_200600_302600_NS6detail15normal_iteratorINSA_10device_ptrIxEEEEPS6_SG_NS0_5tupleIJNSA_16discard_iteratorINSA_11use_defaultEEESK_EEENSH_IJSG_SG_EEES6_PlJ7is_evenIxEEEE10hipError_tPvRmT3_T4_T5_T6_T7_T9_mT8_P12ihipStream_tbDpT10_ENKUlT_T0_E_clISt17integral_constantIbLb0EES19_EEDaS14_S15_EUlS14_E_NS1_11comp_targetILNS1_3genE4ELNS1_11target_archE910ELNS1_3gpuE8ELNS1_3repE0EEENS1_30default_config_static_selectorELNS0_4arch9wavefront6targetE1EEEvT1_,comdat
	.protected	_ZN7rocprim17ROCPRIM_400000_NS6detail17trampoline_kernelINS0_14default_configENS1_25partition_config_selectorILNS1_17partition_subalgoE0ExNS0_10empty_typeEbEEZZNS1_14partition_implILS5_0ELb0ES3_jN6thrust23THRUST_200600_302600_NS6detail15normal_iteratorINSA_10device_ptrIxEEEEPS6_SG_NS0_5tupleIJNSA_16discard_iteratorINSA_11use_defaultEEESK_EEENSH_IJSG_SG_EEES6_PlJ7is_evenIxEEEE10hipError_tPvRmT3_T4_T5_T6_T7_T9_mT8_P12ihipStream_tbDpT10_ENKUlT_T0_E_clISt17integral_constantIbLb0EES19_EEDaS14_S15_EUlS14_E_NS1_11comp_targetILNS1_3genE4ELNS1_11target_archE910ELNS1_3gpuE8ELNS1_3repE0EEENS1_30default_config_static_selectorELNS0_4arch9wavefront6targetE1EEEvT1_ ; -- Begin function _ZN7rocprim17ROCPRIM_400000_NS6detail17trampoline_kernelINS0_14default_configENS1_25partition_config_selectorILNS1_17partition_subalgoE0ExNS0_10empty_typeEbEEZZNS1_14partition_implILS5_0ELb0ES3_jN6thrust23THRUST_200600_302600_NS6detail15normal_iteratorINSA_10device_ptrIxEEEEPS6_SG_NS0_5tupleIJNSA_16discard_iteratorINSA_11use_defaultEEESK_EEENSH_IJSG_SG_EEES6_PlJ7is_evenIxEEEE10hipError_tPvRmT3_T4_T5_T6_T7_T9_mT8_P12ihipStream_tbDpT10_ENKUlT_T0_E_clISt17integral_constantIbLb0EES19_EEDaS14_S15_EUlS14_E_NS1_11comp_targetILNS1_3genE4ELNS1_11target_archE910ELNS1_3gpuE8ELNS1_3repE0EEENS1_30default_config_static_selectorELNS0_4arch9wavefront6targetE1EEEvT1_
	.globl	_ZN7rocprim17ROCPRIM_400000_NS6detail17trampoline_kernelINS0_14default_configENS1_25partition_config_selectorILNS1_17partition_subalgoE0ExNS0_10empty_typeEbEEZZNS1_14partition_implILS5_0ELb0ES3_jN6thrust23THRUST_200600_302600_NS6detail15normal_iteratorINSA_10device_ptrIxEEEEPS6_SG_NS0_5tupleIJNSA_16discard_iteratorINSA_11use_defaultEEESK_EEENSH_IJSG_SG_EEES6_PlJ7is_evenIxEEEE10hipError_tPvRmT3_T4_T5_T6_T7_T9_mT8_P12ihipStream_tbDpT10_ENKUlT_T0_E_clISt17integral_constantIbLb0EES19_EEDaS14_S15_EUlS14_E_NS1_11comp_targetILNS1_3genE4ELNS1_11target_archE910ELNS1_3gpuE8ELNS1_3repE0EEENS1_30default_config_static_selectorELNS0_4arch9wavefront6targetE1EEEvT1_
	.p2align	8
	.type	_ZN7rocprim17ROCPRIM_400000_NS6detail17trampoline_kernelINS0_14default_configENS1_25partition_config_selectorILNS1_17partition_subalgoE0ExNS0_10empty_typeEbEEZZNS1_14partition_implILS5_0ELb0ES3_jN6thrust23THRUST_200600_302600_NS6detail15normal_iteratorINSA_10device_ptrIxEEEEPS6_SG_NS0_5tupleIJNSA_16discard_iteratorINSA_11use_defaultEEESK_EEENSH_IJSG_SG_EEES6_PlJ7is_evenIxEEEE10hipError_tPvRmT3_T4_T5_T6_T7_T9_mT8_P12ihipStream_tbDpT10_ENKUlT_T0_E_clISt17integral_constantIbLb0EES19_EEDaS14_S15_EUlS14_E_NS1_11comp_targetILNS1_3genE4ELNS1_11target_archE910ELNS1_3gpuE8ELNS1_3repE0EEENS1_30default_config_static_selectorELNS0_4arch9wavefront6targetE1EEEvT1_,@function
_ZN7rocprim17ROCPRIM_400000_NS6detail17trampoline_kernelINS0_14default_configENS1_25partition_config_selectorILNS1_17partition_subalgoE0ExNS0_10empty_typeEbEEZZNS1_14partition_implILS5_0ELb0ES3_jN6thrust23THRUST_200600_302600_NS6detail15normal_iteratorINSA_10device_ptrIxEEEEPS6_SG_NS0_5tupleIJNSA_16discard_iteratorINSA_11use_defaultEEESK_EEENSH_IJSG_SG_EEES6_PlJ7is_evenIxEEEE10hipError_tPvRmT3_T4_T5_T6_T7_T9_mT8_P12ihipStream_tbDpT10_ENKUlT_T0_E_clISt17integral_constantIbLb0EES19_EEDaS14_S15_EUlS14_E_NS1_11comp_targetILNS1_3genE4ELNS1_11target_archE910ELNS1_3gpuE8ELNS1_3repE0EEENS1_30default_config_static_selectorELNS0_4arch9wavefront6targetE1EEEvT1_: ; @_ZN7rocprim17ROCPRIM_400000_NS6detail17trampoline_kernelINS0_14default_configENS1_25partition_config_selectorILNS1_17partition_subalgoE0ExNS0_10empty_typeEbEEZZNS1_14partition_implILS5_0ELb0ES3_jN6thrust23THRUST_200600_302600_NS6detail15normal_iteratorINSA_10device_ptrIxEEEEPS6_SG_NS0_5tupleIJNSA_16discard_iteratorINSA_11use_defaultEEESK_EEENSH_IJSG_SG_EEES6_PlJ7is_evenIxEEEE10hipError_tPvRmT3_T4_T5_T6_T7_T9_mT8_P12ihipStream_tbDpT10_ENKUlT_T0_E_clISt17integral_constantIbLb0EES19_EEDaS14_S15_EUlS14_E_NS1_11comp_targetILNS1_3genE4ELNS1_11target_archE910ELNS1_3gpuE8ELNS1_3repE0EEENS1_30default_config_static_selectorELNS0_4arch9wavefront6targetE1EEEvT1_
; %bb.0:
	.section	.rodata,"a",@progbits
	.p2align	6, 0x0
	.amdhsa_kernel _ZN7rocprim17ROCPRIM_400000_NS6detail17trampoline_kernelINS0_14default_configENS1_25partition_config_selectorILNS1_17partition_subalgoE0ExNS0_10empty_typeEbEEZZNS1_14partition_implILS5_0ELb0ES3_jN6thrust23THRUST_200600_302600_NS6detail15normal_iteratorINSA_10device_ptrIxEEEEPS6_SG_NS0_5tupleIJNSA_16discard_iteratorINSA_11use_defaultEEESK_EEENSH_IJSG_SG_EEES6_PlJ7is_evenIxEEEE10hipError_tPvRmT3_T4_T5_T6_T7_T9_mT8_P12ihipStream_tbDpT10_ENKUlT_T0_E_clISt17integral_constantIbLb0EES19_EEDaS14_S15_EUlS14_E_NS1_11comp_targetILNS1_3genE4ELNS1_11target_archE910ELNS1_3gpuE8ELNS1_3repE0EEENS1_30default_config_static_selectorELNS0_4arch9wavefront6targetE1EEEvT1_
		.amdhsa_group_segment_fixed_size 0
		.amdhsa_private_segment_fixed_size 0
		.amdhsa_kernarg_size 136
		.amdhsa_user_sgpr_count 2
		.amdhsa_user_sgpr_dispatch_ptr 0
		.amdhsa_user_sgpr_queue_ptr 0
		.amdhsa_user_sgpr_kernarg_segment_ptr 1
		.amdhsa_user_sgpr_dispatch_id 0
		.amdhsa_user_sgpr_kernarg_preload_length 0
		.amdhsa_user_sgpr_kernarg_preload_offset 0
		.amdhsa_user_sgpr_private_segment_size 0
		.amdhsa_uses_dynamic_stack 0
		.amdhsa_enable_private_segment 0
		.amdhsa_system_sgpr_workgroup_id_x 1
		.amdhsa_system_sgpr_workgroup_id_y 0
		.amdhsa_system_sgpr_workgroup_id_z 0
		.amdhsa_system_sgpr_workgroup_info 0
		.amdhsa_system_vgpr_workitem_id 0
		.amdhsa_next_free_vgpr 1
		.amdhsa_next_free_sgpr 0
		.amdhsa_accum_offset 4
		.amdhsa_reserve_vcc 0
		.amdhsa_float_round_mode_32 0
		.amdhsa_float_round_mode_16_64 0
		.amdhsa_float_denorm_mode_32 3
		.amdhsa_float_denorm_mode_16_64 3
		.amdhsa_dx10_clamp 1
		.amdhsa_ieee_mode 1
		.amdhsa_fp16_overflow 0
		.amdhsa_tg_split 0
		.amdhsa_exception_fp_ieee_invalid_op 0
		.amdhsa_exception_fp_denorm_src 0
		.amdhsa_exception_fp_ieee_div_zero 0
		.amdhsa_exception_fp_ieee_overflow 0
		.amdhsa_exception_fp_ieee_underflow 0
		.amdhsa_exception_fp_ieee_inexact 0
		.amdhsa_exception_int_div_zero 0
	.end_amdhsa_kernel
	.section	.text._ZN7rocprim17ROCPRIM_400000_NS6detail17trampoline_kernelINS0_14default_configENS1_25partition_config_selectorILNS1_17partition_subalgoE0ExNS0_10empty_typeEbEEZZNS1_14partition_implILS5_0ELb0ES3_jN6thrust23THRUST_200600_302600_NS6detail15normal_iteratorINSA_10device_ptrIxEEEEPS6_SG_NS0_5tupleIJNSA_16discard_iteratorINSA_11use_defaultEEESK_EEENSH_IJSG_SG_EEES6_PlJ7is_evenIxEEEE10hipError_tPvRmT3_T4_T5_T6_T7_T9_mT8_P12ihipStream_tbDpT10_ENKUlT_T0_E_clISt17integral_constantIbLb0EES19_EEDaS14_S15_EUlS14_E_NS1_11comp_targetILNS1_3genE4ELNS1_11target_archE910ELNS1_3gpuE8ELNS1_3repE0EEENS1_30default_config_static_selectorELNS0_4arch9wavefront6targetE1EEEvT1_,"axG",@progbits,_ZN7rocprim17ROCPRIM_400000_NS6detail17trampoline_kernelINS0_14default_configENS1_25partition_config_selectorILNS1_17partition_subalgoE0ExNS0_10empty_typeEbEEZZNS1_14partition_implILS5_0ELb0ES3_jN6thrust23THRUST_200600_302600_NS6detail15normal_iteratorINSA_10device_ptrIxEEEEPS6_SG_NS0_5tupleIJNSA_16discard_iteratorINSA_11use_defaultEEESK_EEENSH_IJSG_SG_EEES6_PlJ7is_evenIxEEEE10hipError_tPvRmT3_T4_T5_T6_T7_T9_mT8_P12ihipStream_tbDpT10_ENKUlT_T0_E_clISt17integral_constantIbLb0EES19_EEDaS14_S15_EUlS14_E_NS1_11comp_targetILNS1_3genE4ELNS1_11target_archE910ELNS1_3gpuE8ELNS1_3repE0EEENS1_30default_config_static_selectorELNS0_4arch9wavefront6targetE1EEEvT1_,comdat
.Lfunc_end2589:
	.size	_ZN7rocprim17ROCPRIM_400000_NS6detail17trampoline_kernelINS0_14default_configENS1_25partition_config_selectorILNS1_17partition_subalgoE0ExNS0_10empty_typeEbEEZZNS1_14partition_implILS5_0ELb0ES3_jN6thrust23THRUST_200600_302600_NS6detail15normal_iteratorINSA_10device_ptrIxEEEEPS6_SG_NS0_5tupleIJNSA_16discard_iteratorINSA_11use_defaultEEESK_EEENSH_IJSG_SG_EEES6_PlJ7is_evenIxEEEE10hipError_tPvRmT3_T4_T5_T6_T7_T9_mT8_P12ihipStream_tbDpT10_ENKUlT_T0_E_clISt17integral_constantIbLb0EES19_EEDaS14_S15_EUlS14_E_NS1_11comp_targetILNS1_3genE4ELNS1_11target_archE910ELNS1_3gpuE8ELNS1_3repE0EEENS1_30default_config_static_selectorELNS0_4arch9wavefront6targetE1EEEvT1_, .Lfunc_end2589-_ZN7rocprim17ROCPRIM_400000_NS6detail17trampoline_kernelINS0_14default_configENS1_25partition_config_selectorILNS1_17partition_subalgoE0ExNS0_10empty_typeEbEEZZNS1_14partition_implILS5_0ELb0ES3_jN6thrust23THRUST_200600_302600_NS6detail15normal_iteratorINSA_10device_ptrIxEEEEPS6_SG_NS0_5tupleIJNSA_16discard_iteratorINSA_11use_defaultEEESK_EEENSH_IJSG_SG_EEES6_PlJ7is_evenIxEEEE10hipError_tPvRmT3_T4_T5_T6_T7_T9_mT8_P12ihipStream_tbDpT10_ENKUlT_T0_E_clISt17integral_constantIbLb0EES19_EEDaS14_S15_EUlS14_E_NS1_11comp_targetILNS1_3genE4ELNS1_11target_archE910ELNS1_3gpuE8ELNS1_3repE0EEENS1_30default_config_static_selectorELNS0_4arch9wavefront6targetE1EEEvT1_
                                        ; -- End function
	.section	.AMDGPU.csdata,"",@progbits
; Kernel info:
; codeLenInByte = 0
; NumSgprs: 6
; NumVgprs: 0
; NumAgprs: 0
; TotalNumVgprs: 0
; ScratchSize: 0
; MemoryBound: 0
; FloatMode: 240
; IeeeMode: 1
; LDSByteSize: 0 bytes/workgroup (compile time only)
; SGPRBlocks: 0
; VGPRBlocks: 0
; NumSGPRsForWavesPerEU: 6
; NumVGPRsForWavesPerEU: 1
; AccumOffset: 4
; Occupancy: 8
; WaveLimiterHint : 0
; COMPUTE_PGM_RSRC2:SCRATCH_EN: 0
; COMPUTE_PGM_RSRC2:USER_SGPR: 2
; COMPUTE_PGM_RSRC2:TRAP_HANDLER: 0
; COMPUTE_PGM_RSRC2:TGID_X_EN: 1
; COMPUTE_PGM_RSRC2:TGID_Y_EN: 0
; COMPUTE_PGM_RSRC2:TGID_Z_EN: 0
; COMPUTE_PGM_RSRC2:TIDIG_COMP_CNT: 0
; COMPUTE_PGM_RSRC3_GFX90A:ACCUM_OFFSET: 0
; COMPUTE_PGM_RSRC3_GFX90A:TG_SPLIT: 0
	.section	.text._ZN7rocprim17ROCPRIM_400000_NS6detail17trampoline_kernelINS0_14default_configENS1_25partition_config_selectorILNS1_17partition_subalgoE0ExNS0_10empty_typeEbEEZZNS1_14partition_implILS5_0ELb0ES3_jN6thrust23THRUST_200600_302600_NS6detail15normal_iteratorINSA_10device_ptrIxEEEEPS6_SG_NS0_5tupleIJNSA_16discard_iteratorINSA_11use_defaultEEESK_EEENSH_IJSG_SG_EEES6_PlJ7is_evenIxEEEE10hipError_tPvRmT3_T4_T5_T6_T7_T9_mT8_P12ihipStream_tbDpT10_ENKUlT_T0_E_clISt17integral_constantIbLb0EES19_EEDaS14_S15_EUlS14_E_NS1_11comp_targetILNS1_3genE3ELNS1_11target_archE908ELNS1_3gpuE7ELNS1_3repE0EEENS1_30default_config_static_selectorELNS0_4arch9wavefront6targetE1EEEvT1_,"axG",@progbits,_ZN7rocprim17ROCPRIM_400000_NS6detail17trampoline_kernelINS0_14default_configENS1_25partition_config_selectorILNS1_17partition_subalgoE0ExNS0_10empty_typeEbEEZZNS1_14partition_implILS5_0ELb0ES3_jN6thrust23THRUST_200600_302600_NS6detail15normal_iteratorINSA_10device_ptrIxEEEEPS6_SG_NS0_5tupleIJNSA_16discard_iteratorINSA_11use_defaultEEESK_EEENSH_IJSG_SG_EEES6_PlJ7is_evenIxEEEE10hipError_tPvRmT3_T4_T5_T6_T7_T9_mT8_P12ihipStream_tbDpT10_ENKUlT_T0_E_clISt17integral_constantIbLb0EES19_EEDaS14_S15_EUlS14_E_NS1_11comp_targetILNS1_3genE3ELNS1_11target_archE908ELNS1_3gpuE7ELNS1_3repE0EEENS1_30default_config_static_selectorELNS0_4arch9wavefront6targetE1EEEvT1_,comdat
	.protected	_ZN7rocprim17ROCPRIM_400000_NS6detail17trampoline_kernelINS0_14default_configENS1_25partition_config_selectorILNS1_17partition_subalgoE0ExNS0_10empty_typeEbEEZZNS1_14partition_implILS5_0ELb0ES3_jN6thrust23THRUST_200600_302600_NS6detail15normal_iteratorINSA_10device_ptrIxEEEEPS6_SG_NS0_5tupleIJNSA_16discard_iteratorINSA_11use_defaultEEESK_EEENSH_IJSG_SG_EEES6_PlJ7is_evenIxEEEE10hipError_tPvRmT3_T4_T5_T6_T7_T9_mT8_P12ihipStream_tbDpT10_ENKUlT_T0_E_clISt17integral_constantIbLb0EES19_EEDaS14_S15_EUlS14_E_NS1_11comp_targetILNS1_3genE3ELNS1_11target_archE908ELNS1_3gpuE7ELNS1_3repE0EEENS1_30default_config_static_selectorELNS0_4arch9wavefront6targetE1EEEvT1_ ; -- Begin function _ZN7rocprim17ROCPRIM_400000_NS6detail17trampoline_kernelINS0_14default_configENS1_25partition_config_selectorILNS1_17partition_subalgoE0ExNS0_10empty_typeEbEEZZNS1_14partition_implILS5_0ELb0ES3_jN6thrust23THRUST_200600_302600_NS6detail15normal_iteratorINSA_10device_ptrIxEEEEPS6_SG_NS0_5tupleIJNSA_16discard_iteratorINSA_11use_defaultEEESK_EEENSH_IJSG_SG_EEES6_PlJ7is_evenIxEEEE10hipError_tPvRmT3_T4_T5_T6_T7_T9_mT8_P12ihipStream_tbDpT10_ENKUlT_T0_E_clISt17integral_constantIbLb0EES19_EEDaS14_S15_EUlS14_E_NS1_11comp_targetILNS1_3genE3ELNS1_11target_archE908ELNS1_3gpuE7ELNS1_3repE0EEENS1_30default_config_static_selectorELNS0_4arch9wavefront6targetE1EEEvT1_
	.globl	_ZN7rocprim17ROCPRIM_400000_NS6detail17trampoline_kernelINS0_14default_configENS1_25partition_config_selectorILNS1_17partition_subalgoE0ExNS0_10empty_typeEbEEZZNS1_14partition_implILS5_0ELb0ES3_jN6thrust23THRUST_200600_302600_NS6detail15normal_iteratorINSA_10device_ptrIxEEEEPS6_SG_NS0_5tupleIJNSA_16discard_iteratorINSA_11use_defaultEEESK_EEENSH_IJSG_SG_EEES6_PlJ7is_evenIxEEEE10hipError_tPvRmT3_T4_T5_T6_T7_T9_mT8_P12ihipStream_tbDpT10_ENKUlT_T0_E_clISt17integral_constantIbLb0EES19_EEDaS14_S15_EUlS14_E_NS1_11comp_targetILNS1_3genE3ELNS1_11target_archE908ELNS1_3gpuE7ELNS1_3repE0EEENS1_30default_config_static_selectorELNS0_4arch9wavefront6targetE1EEEvT1_
	.p2align	8
	.type	_ZN7rocprim17ROCPRIM_400000_NS6detail17trampoline_kernelINS0_14default_configENS1_25partition_config_selectorILNS1_17partition_subalgoE0ExNS0_10empty_typeEbEEZZNS1_14partition_implILS5_0ELb0ES3_jN6thrust23THRUST_200600_302600_NS6detail15normal_iteratorINSA_10device_ptrIxEEEEPS6_SG_NS0_5tupleIJNSA_16discard_iteratorINSA_11use_defaultEEESK_EEENSH_IJSG_SG_EEES6_PlJ7is_evenIxEEEE10hipError_tPvRmT3_T4_T5_T6_T7_T9_mT8_P12ihipStream_tbDpT10_ENKUlT_T0_E_clISt17integral_constantIbLb0EES19_EEDaS14_S15_EUlS14_E_NS1_11comp_targetILNS1_3genE3ELNS1_11target_archE908ELNS1_3gpuE7ELNS1_3repE0EEENS1_30default_config_static_selectorELNS0_4arch9wavefront6targetE1EEEvT1_,@function
_ZN7rocprim17ROCPRIM_400000_NS6detail17trampoline_kernelINS0_14default_configENS1_25partition_config_selectorILNS1_17partition_subalgoE0ExNS0_10empty_typeEbEEZZNS1_14partition_implILS5_0ELb0ES3_jN6thrust23THRUST_200600_302600_NS6detail15normal_iteratorINSA_10device_ptrIxEEEEPS6_SG_NS0_5tupleIJNSA_16discard_iteratorINSA_11use_defaultEEESK_EEENSH_IJSG_SG_EEES6_PlJ7is_evenIxEEEE10hipError_tPvRmT3_T4_T5_T6_T7_T9_mT8_P12ihipStream_tbDpT10_ENKUlT_T0_E_clISt17integral_constantIbLb0EES19_EEDaS14_S15_EUlS14_E_NS1_11comp_targetILNS1_3genE3ELNS1_11target_archE908ELNS1_3gpuE7ELNS1_3repE0EEENS1_30default_config_static_selectorELNS0_4arch9wavefront6targetE1EEEvT1_: ; @_ZN7rocprim17ROCPRIM_400000_NS6detail17trampoline_kernelINS0_14default_configENS1_25partition_config_selectorILNS1_17partition_subalgoE0ExNS0_10empty_typeEbEEZZNS1_14partition_implILS5_0ELb0ES3_jN6thrust23THRUST_200600_302600_NS6detail15normal_iteratorINSA_10device_ptrIxEEEEPS6_SG_NS0_5tupleIJNSA_16discard_iteratorINSA_11use_defaultEEESK_EEENSH_IJSG_SG_EEES6_PlJ7is_evenIxEEEE10hipError_tPvRmT3_T4_T5_T6_T7_T9_mT8_P12ihipStream_tbDpT10_ENKUlT_T0_E_clISt17integral_constantIbLb0EES19_EEDaS14_S15_EUlS14_E_NS1_11comp_targetILNS1_3genE3ELNS1_11target_archE908ELNS1_3gpuE7ELNS1_3repE0EEENS1_30default_config_static_selectorELNS0_4arch9wavefront6targetE1EEEvT1_
; %bb.0:
	.section	.rodata,"a",@progbits
	.p2align	6, 0x0
	.amdhsa_kernel _ZN7rocprim17ROCPRIM_400000_NS6detail17trampoline_kernelINS0_14default_configENS1_25partition_config_selectorILNS1_17partition_subalgoE0ExNS0_10empty_typeEbEEZZNS1_14partition_implILS5_0ELb0ES3_jN6thrust23THRUST_200600_302600_NS6detail15normal_iteratorINSA_10device_ptrIxEEEEPS6_SG_NS0_5tupleIJNSA_16discard_iteratorINSA_11use_defaultEEESK_EEENSH_IJSG_SG_EEES6_PlJ7is_evenIxEEEE10hipError_tPvRmT3_T4_T5_T6_T7_T9_mT8_P12ihipStream_tbDpT10_ENKUlT_T0_E_clISt17integral_constantIbLb0EES19_EEDaS14_S15_EUlS14_E_NS1_11comp_targetILNS1_3genE3ELNS1_11target_archE908ELNS1_3gpuE7ELNS1_3repE0EEENS1_30default_config_static_selectorELNS0_4arch9wavefront6targetE1EEEvT1_
		.amdhsa_group_segment_fixed_size 0
		.amdhsa_private_segment_fixed_size 0
		.amdhsa_kernarg_size 136
		.amdhsa_user_sgpr_count 2
		.amdhsa_user_sgpr_dispatch_ptr 0
		.amdhsa_user_sgpr_queue_ptr 0
		.amdhsa_user_sgpr_kernarg_segment_ptr 1
		.amdhsa_user_sgpr_dispatch_id 0
		.amdhsa_user_sgpr_kernarg_preload_length 0
		.amdhsa_user_sgpr_kernarg_preload_offset 0
		.amdhsa_user_sgpr_private_segment_size 0
		.amdhsa_uses_dynamic_stack 0
		.amdhsa_enable_private_segment 0
		.amdhsa_system_sgpr_workgroup_id_x 1
		.amdhsa_system_sgpr_workgroup_id_y 0
		.amdhsa_system_sgpr_workgroup_id_z 0
		.amdhsa_system_sgpr_workgroup_info 0
		.amdhsa_system_vgpr_workitem_id 0
		.amdhsa_next_free_vgpr 1
		.amdhsa_next_free_sgpr 0
		.amdhsa_accum_offset 4
		.amdhsa_reserve_vcc 0
		.amdhsa_float_round_mode_32 0
		.amdhsa_float_round_mode_16_64 0
		.amdhsa_float_denorm_mode_32 3
		.amdhsa_float_denorm_mode_16_64 3
		.amdhsa_dx10_clamp 1
		.amdhsa_ieee_mode 1
		.amdhsa_fp16_overflow 0
		.amdhsa_tg_split 0
		.amdhsa_exception_fp_ieee_invalid_op 0
		.amdhsa_exception_fp_denorm_src 0
		.amdhsa_exception_fp_ieee_div_zero 0
		.amdhsa_exception_fp_ieee_overflow 0
		.amdhsa_exception_fp_ieee_underflow 0
		.amdhsa_exception_fp_ieee_inexact 0
		.amdhsa_exception_int_div_zero 0
	.end_amdhsa_kernel
	.section	.text._ZN7rocprim17ROCPRIM_400000_NS6detail17trampoline_kernelINS0_14default_configENS1_25partition_config_selectorILNS1_17partition_subalgoE0ExNS0_10empty_typeEbEEZZNS1_14partition_implILS5_0ELb0ES3_jN6thrust23THRUST_200600_302600_NS6detail15normal_iteratorINSA_10device_ptrIxEEEEPS6_SG_NS0_5tupleIJNSA_16discard_iteratorINSA_11use_defaultEEESK_EEENSH_IJSG_SG_EEES6_PlJ7is_evenIxEEEE10hipError_tPvRmT3_T4_T5_T6_T7_T9_mT8_P12ihipStream_tbDpT10_ENKUlT_T0_E_clISt17integral_constantIbLb0EES19_EEDaS14_S15_EUlS14_E_NS1_11comp_targetILNS1_3genE3ELNS1_11target_archE908ELNS1_3gpuE7ELNS1_3repE0EEENS1_30default_config_static_selectorELNS0_4arch9wavefront6targetE1EEEvT1_,"axG",@progbits,_ZN7rocprim17ROCPRIM_400000_NS6detail17trampoline_kernelINS0_14default_configENS1_25partition_config_selectorILNS1_17partition_subalgoE0ExNS0_10empty_typeEbEEZZNS1_14partition_implILS5_0ELb0ES3_jN6thrust23THRUST_200600_302600_NS6detail15normal_iteratorINSA_10device_ptrIxEEEEPS6_SG_NS0_5tupleIJNSA_16discard_iteratorINSA_11use_defaultEEESK_EEENSH_IJSG_SG_EEES6_PlJ7is_evenIxEEEE10hipError_tPvRmT3_T4_T5_T6_T7_T9_mT8_P12ihipStream_tbDpT10_ENKUlT_T0_E_clISt17integral_constantIbLb0EES19_EEDaS14_S15_EUlS14_E_NS1_11comp_targetILNS1_3genE3ELNS1_11target_archE908ELNS1_3gpuE7ELNS1_3repE0EEENS1_30default_config_static_selectorELNS0_4arch9wavefront6targetE1EEEvT1_,comdat
.Lfunc_end2590:
	.size	_ZN7rocprim17ROCPRIM_400000_NS6detail17trampoline_kernelINS0_14default_configENS1_25partition_config_selectorILNS1_17partition_subalgoE0ExNS0_10empty_typeEbEEZZNS1_14partition_implILS5_0ELb0ES3_jN6thrust23THRUST_200600_302600_NS6detail15normal_iteratorINSA_10device_ptrIxEEEEPS6_SG_NS0_5tupleIJNSA_16discard_iteratorINSA_11use_defaultEEESK_EEENSH_IJSG_SG_EEES6_PlJ7is_evenIxEEEE10hipError_tPvRmT3_T4_T5_T6_T7_T9_mT8_P12ihipStream_tbDpT10_ENKUlT_T0_E_clISt17integral_constantIbLb0EES19_EEDaS14_S15_EUlS14_E_NS1_11comp_targetILNS1_3genE3ELNS1_11target_archE908ELNS1_3gpuE7ELNS1_3repE0EEENS1_30default_config_static_selectorELNS0_4arch9wavefront6targetE1EEEvT1_, .Lfunc_end2590-_ZN7rocprim17ROCPRIM_400000_NS6detail17trampoline_kernelINS0_14default_configENS1_25partition_config_selectorILNS1_17partition_subalgoE0ExNS0_10empty_typeEbEEZZNS1_14partition_implILS5_0ELb0ES3_jN6thrust23THRUST_200600_302600_NS6detail15normal_iteratorINSA_10device_ptrIxEEEEPS6_SG_NS0_5tupleIJNSA_16discard_iteratorINSA_11use_defaultEEESK_EEENSH_IJSG_SG_EEES6_PlJ7is_evenIxEEEE10hipError_tPvRmT3_T4_T5_T6_T7_T9_mT8_P12ihipStream_tbDpT10_ENKUlT_T0_E_clISt17integral_constantIbLb0EES19_EEDaS14_S15_EUlS14_E_NS1_11comp_targetILNS1_3genE3ELNS1_11target_archE908ELNS1_3gpuE7ELNS1_3repE0EEENS1_30default_config_static_selectorELNS0_4arch9wavefront6targetE1EEEvT1_
                                        ; -- End function
	.section	.AMDGPU.csdata,"",@progbits
; Kernel info:
; codeLenInByte = 0
; NumSgprs: 6
; NumVgprs: 0
; NumAgprs: 0
; TotalNumVgprs: 0
; ScratchSize: 0
; MemoryBound: 0
; FloatMode: 240
; IeeeMode: 1
; LDSByteSize: 0 bytes/workgroup (compile time only)
; SGPRBlocks: 0
; VGPRBlocks: 0
; NumSGPRsForWavesPerEU: 6
; NumVGPRsForWavesPerEU: 1
; AccumOffset: 4
; Occupancy: 8
; WaveLimiterHint : 0
; COMPUTE_PGM_RSRC2:SCRATCH_EN: 0
; COMPUTE_PGM_RSRC2:USER_SGPR: 2
; COMPUTE_PGM_RSRC2:TRAP_HANDLER: 0
; COMPUTE_PGM_RSRC2:TGID_X_EN: 1
; COMPUTE_PGM_RSRC2:TGID_Y_EN: 0
; COMPUTE_PGM_RSRC2:TGID_Z_EN: 0
; COMPUTE_PGM_RSRC2:TIDIG_COMP_CNT: 0
; COMPUTE_PGM_RSRC3_GFX90A:ACCUM_OFFSET: 0
; COMPUTE_PGM_RSRC3_GFX90A:TG_SPLIT: 0
	.section	.text._ZN7rocprim17ROCPRIM_400000_NS6detail17trampoline_kernelINS0_14default_configENS1_25partition_config_selectorILNS1_17partition_subalgoE0ExNS0_10empty_typeEbEEZZNS1_14partition_implILS5_0ELb0ES3_jN6thrust23THRUST_200600_302600_NS6detail15normal_iteratorINSA_10device_ptrIxEEEEPS6_SG_NS0_5tupleIJNSA_16discard_iteratorINSA_11use_defaultEEESK_EEENSH_IJSG_SG_EEES6_PlJ7is_evenIxEEEE10hipError_tPvRmT3_T4_T5_T6_T7_T9_mT8_P12ihipStream_tbDpT10_ENKUlT_T0_E_clISt17integral_constantIbLb0EES19_EEDaS14_S15_EUlS14_E_NS1_11comp_targetILNS1_3genE2ELNS1_11target_archE906ELNS1_3gpuE6ELNS1_3repE0EEENS1_30default_config_static_selectorELNS0_4arch9wavefront6targetE1EEEvT1_,"axG",@progbits,_ZN7rocprim17ROCPRIM_400000_NS6detail17trampoline_kernelINS0_14default_configENS1_25partition_config_selectorILNS1_17partition_subalgoE0ExNS0_10empty_typeEbEEZZNS1_14partition_implILS5_0ELb0ES3_jN6thrust23THRUST_200600_302600_NS6detail15normal_iteratorINSA_10device_ptrIxEEEEPS6_SG_NS0_5tupleIJNSA_16discard_iteratorINSA_11use_defaultEEESK_EEENSH_IJSG_SG_EEES6_PlJ7is_evenIxEEEE10hipError_tPvRmT3_T4_T5_T6_T7_T9_mT8_P12ihipStream_tbDpT10_ENKUlT_T0_E_clISt17integral_constantIbLb0EES19_EEDaS14_S15_EUlS14_E_NS1_11comp_targetILNS1_3genE2ELNS1_11target_archE906ELNS1_3gpuE6ELNS1_3repE0EEENS1_30default_config_static_selectorELNS0_4arch9wavefront6targetE1EEEvT1_,comdat
	.protected	_ZN7rocprim17ROCPRIM_400000_NS6detail17trampoline_kernelINS0_14default_configENS1_25partition_config_selectorILNS1_17partition_subalgoE0ExNS0_10empty_typeEbEEZZNS1_14partition_implILS5_0ELb0ES3_jN6thrust23THRUST_200600_302600_NS6detail15normal_iteratorINSA_10device_ptrIxEEEEPS6_SG_NS0_5tupleIJNSA_16discard_iteratorINSA_11use_defaultEEESK_EEENSH_IJSG_SG_EEES6_PlJ7is_evenIxEEEE10hipError_tPvRmT3_T4_T5_T6_T7_T9_mT8_P12ihipStream_tbDpT10_ENKUlT_T0_E_clISt17integral_constantIbLb0EES19_EEDaS14_S15_EUlS14_E_NS1_11comp_targetILNS1_3genE2ELNS1_11target_archE906ELNS1_3gpuE6ELNS1_3repE0EEENS1_30default_config_static_selectorELNS0_4arch9wavefront6targetE1EEEvT1_ ; -- Begin function _ZN7rocprim17ROCPRIM_400000_NS6detail17trampoline_kernelINS0_14default_configENS1_25partition_config_selectorILNS1_17partition_subalgoE0ExNS0_10empty_typeEbEEZZNS1_14partition_implILS5_0ELb0ES3_jN6thrust23THRUST_200600_302600_NS6detail15normal_iteratorINSA_10device_ptrIxEEEEPS6_SG_NS0_5tupleIJNSA_16discard_iteratorINSA_11use_defaultEEESK_EEENSH_IJSG_SG_EEES6_PlJ7is_evenIxEEEE10hipError_tPvRmT3_T4_T5_T6_T7_T9_mT8_P12ihipStream_tbDpT10_ENKUlT_T0_E_clISt17integral_constantIbLb0EES19_EEDaS14_S15_EUlS14_E_NS1_11comp_targetILNS1_3genE2ELNS1_11target_archE906ELNS1_3gpuE6ELNS1_3repE0EEENS1_30default_config_static_selectorELNS0_4arch9wavefront6targetE1EEEvT1_
	.globl	_ZN7rocprim17ROCPRIM_400000_NS6detail17trampoline_kernelINS0_14default_configENS1_25partition_config_selectorILNS1_17partition_subalgoE0ExNS0_10empty_typeEbEEZZNS1_14partition_implILS5_0ELb0ES3_jN6thrust23THRUST_200600_302600_NS6detail15normal_iteratorINSA_10device_ptrIxEEEEPS6_SG_NS0_5tupleIJNSA_16discard_iteratorINSA_11use_defaultEEESK_EEENSH_IJSG_SG_EEES6_PlJ7is_evenIxEEEE10hipError_tPvRmT3_T4_T5_T6_T7_T9_mT8_P12ihipStream_tbDpT10_ENKUlT_T0_E_clISt17integral_constantIbLb0EES19_EEDaS14_S15_EUlS14_E_NS1_11comp_targetILNS1_3genE2ELNS1_11target_archE906ELNS1_3gpuE6ELNS1_3repE0EEENS1_30default_config_static_selectorELNS0_4arch9wavefront6targetE1EEEvT1_
	.p2align	8
	.type	_ZN7rocprim17ROCPRIM_400000_NS6detail17trampoline_kernelINS0_14default_configENS1_25partition_config_selectorILNS1_17partition_subalgoE0ExNS0_10empty_typeEbEEZZNS1_14partition_implILS5_0ELb0ES3_jN6thrust23THRUST_200600_302600_NS6detail15normal_iteratorINSA_10device_ptrIxEEEEPS6_SG_NS0_5tupleIJNSA_16discard_iteratorINSA_11use_defaultEEESK_EEENSH_IJSG_SG_EEES6_PlJ7is_evenIxEEEE10hipError_tPvRmT3_T4_T5_T6_T7_T9_mT8_P12ihipStream_tbDpT10_ENKUlT_T0_E_clISt17integral_constantIbLb0EES19_EEDaS14_S15_EUlS14_E_NS1_11comp_targetILNS1_3genE2ELNS1_11target_archE906ELNS1_3gpuE6ELNS1_3repE0EEENS1_30default_config_static_selectorELNS0_4arch9wavefront6targetE1EEEvT1_,@function
_ZN7rocprim17ROCPRIM_400000_NS6detail17trampoline_kernelINS0_14default_configENS1_25partition_config_selectorILNS1_17partition_subalgoE0ExNS0_10empty_typeEbEEZZNS1_14partition_implILS5_0ELb0ES3_jN6thrust23THRUST_200600_302600_NS6detail15normal_iteratorINSA_10device_ptrIxEEEEPS6_SG_NS0_5tupleIJNSA_16discard_iteratorINSA_11use_defaultEEESK_EEENSH_IJSG_SG_EEES6_PlJ7is_evenIxEEEE10hipError_tPvRmT3_T4_T5_T6_T7_T9_mT8_P12ihipStream_tbDpT10_ENKUlT_T0_E_clISt17integral_constantIbLb0EES19_EEDaS14_S15_EUlS14_E_NS1_11comp_targetILNS1_3genE2ELNS1_11target_archE906ELNS1_3gpuE6ELNS1_3repE0EEENS1_30default_config_static_selectorELNS0_4arch9wavefront6targetE1EEEvT1_: ; @_ZN7rocprim17ROCPRIM_400000_NS6detail17trampoline_kernelINS0_14default_configENS1_25partition_config_selectorILNS1_17partition_subalgoE0ExNS0_10empty_typeEbEEZZNS1_14partition_implILS5_0ELb0ES3_jN6thrust23THRUST_200600_302600_NS6detail15normal_iteratorINSA_10device_ptrIxEEEEPS6_SG_NS0_5tupleIJNSA_16discard_iteratorINSA_11use_defaultEEESK_EEENSH_IJSG_SG_EEES6_PlJ7is_evenIxEEEE10hipError_tPvRmT3_T4_T5_T6_T7_T9_mT8_P12ihipStream_tbDpT10_ENKUlT_T0_E_clISt17integral_constantIbLb0EES19_EEDaS14_S15_EUlS14_E_NS1_11comp_targetILNS1_3genE2ELNS1_11target_archE906ELNS1_3gpuE6ELNS1_3repE0EEENS1_30default_config_static_selectorELNS0_4arch9wavefront6targetE1EEEvT1_
; %bb.0:
	.section	.rodata,"a",@progbits
	.p2align	6, 0x0
	.amdhsa_kernel _ZN7rocprim17ROCPRIM_400000_NS6detail17trampoline_kernelINS0_14default_configENS1_25partition_config_selectorILNS1_17partition_subalgoE0ExNS0_10empty_typeEbEEZZNS1_14partition_implILS5_0ELb0ES3_jN6thrust23THRUST_200600_302600_NS6detail15normal_iteratorINSA_10device_ptrIxEEEEPS6_SG_NS0_5tupleIJNSA_16discard_iteratorINSA_11use_defaultEEESK_EEENSH_IJSG_SG_EEES6_PlJ7is_evenIxEEEE10hipError_tPvRmT3_T4_T5_T6_T7_T9_mT8_P12ihipStream_tbDpT10_ENKUlT_T0_E_clISt17integral_constantIbLb0EES19_EEDaS14_S15_EUlS14_E_NS1_11comp_targetILNS1_3genE2ELNS1_11target_archE906ELNS1_3gpuE6ELNS1_3repE0EEENS1_30default_config_static_selectorELNS0_4arch9wavefront6targetE1EEEvT1_
		.amdhsa_group_segment_fixed_size 0
		.amdhsa_private_segment_fixed_size 0
		.amdhsa_kernarg_size 136
		.amdhsa_user_sgpr_count 2
		.amdhsa_user_sgpr_dispatch_ptr 0
		.amdhsa_user_sgpr_queue_ptr 0
		.amdhsa_user_sgpr_kernarg_segment_ptr 1
		.amdhsa_user_sgpr_dispatch_id 0
		.amdhsa_user_sgpr_kernarg_preload_length 0
		.amdhsa_user_sgpr_kernarg_preload_offset 0
		.amdhsa_user_sgpr_private_segment_size 0
		.amdhsa_uses_dynamic_stack 0
		.amdhsa_enable_private_segment 0
		.amdhsa_system_sgpr_workgroup_id_x 1
		.amdhsa_system_sgpr_workgroup_id_y 0
		.amdhsa_system_sgpr_workgroup_id_z 0
		.amdhsa_system_sgpr_workgroup_info 0
		.amdhsa_system_vgpr_workitem_id 0
		.amdhsa_next_free_vgpr 1
		.amdhsa_next_free_sgpr 0
		.amdhsa_accum_offset 4
		.amdhsa_reserve_vcc 0
		.amdhsa_float_round_mode_32 0
		.amdhsa_float_round_mode_16_64 0
		.amdhsa_float_denorm_mode_32 3
		.amdhsa_float_denorm_mode_16_64 3
		.amdhsa_dx10_clamp 1
		.amdhsa_ieee_mode 1
		.amdhsa_fp16_overflow 0
		.amdhsa_tg_split 0
		.amdhsa_exception_fp_ieee_invalid_op 0
		.amdhsa_exception_fp_denorm_src 0
		.amdhsa_exception_fp_ieee_div_zero 0
		.amdhsa_exception_fp_ieee_overflow 0
		.amdhsa_exception_fp_ieee_underflow 0
		.amdhsa_exception_fp_ieee_inexact 0
		.amdhsa_exception_int_div_zero 0
	.end_amdhsa_kernel
	.section	.text._ZN7rocprim17ROCPRIM_400000_NS6detail17trampoline_kernelINS0_14default_configENS1_25partition_config_selectorILNS1_17partition_subalgoE0ExNS0_10empty_typeEbEEZZNS1_14partition_implILS5_0ELb0ES3_jN6thrust23THRUST_200600_302600_NS6detail15normal_iteratorINSA_10device_ptrIxEEEEPS6_SG_NS0_5tupleIJNSA_16discard_iteratorINSA_11use_defaultEEESK_EEENSH_IJSG_SG_EEES6_PlJ7is_evenIxEEEE10hipError_tPvRmT3_T4_T5_T6_T7_T9_mT8_P12ihipStream_tbDpT10_ENKUlT_T0_E_clISt17integral_constantIbLb0EES19_EEDaS14_S15_EUlS14_E_NS1_11comp_targetILNS1_3genE2ELNS1_11target_archE906ELNS1_3gpuE6ELNS1_3repE0EEENS1_30default_config_static_selectorELNS0_4arch9wavefront6targetE1EEEvT1_,"axG",@progbits,_ZN7rocprim17ROCPRIM_400000_NS6detail17trampoline_kernelINS0_14default_configENS1_25partition_config_selectorILNS1_17partition_subalgoE0ExNS0_10empty_typeEbEEZZNS1_14partition_implILS5_0ELb0ES3_jN6thrust23THRUST_200600_302600_NS6detail15normal_iteratorINSA_10device_ptrIxEEEEPS6_SG_NS0_5tupleIJNSA_16discard_iteratorINSA_11use_defaultEEESK_EEENSH_IJSG_SG_EEES6_PlJ7is_evenIxEEEE10hipError_tPvRmT3_T4_T5_T6_T7_T9_mT8_P12ihipStream_tbDpT10_ENKUlT_T0_E_clISt17integral_constantIbLb0EES19_EEDaS14_S15_EUlS14_E_NS1_11comp_targetILNS1_3genE2ELNS1_11target_archE906ELNS1_3gpuE6ELNS1_3repE0EEENS1_30default_config_static_selectorELNS0_4arch9wavefront6targetE1EEEvT1_,comdat
.Lfunc_end2591:
	.size	_ZN7rocprim17ROCPRIM_400000_NS6detail17trampoline_kernelINS0_14default_configENS1_25partition_config_selectorILNS1_17partition_subalgoE0ExNS0_10empty_typeEbEEZZNS1_14partition_implILS5_0ELb0ES3_jN6thrust23THRUST_200600_302600_NS6detail15normal_iteratorINSA_10device_ptrIxEEEEPS6_SG_NS0_5tupleIJNSA_16discard_iteratorINSA_11use_defaultEEESK_EEENSH_IJSG_SG_EEES6_PlJ7is_evenIxEEEE10hipError_tPvRmT3_T4_T5_T6_T7_T9_mT8_P12ihipStream_tbDpT10_ENKUlT_T0_E_clISt17integral_constantIbLb0EES19_EEDaS14_S15_EUlS14_E_NS1_11comp_targetILNS1_3genE2ELNS1_11target_archE906ELNS1_3gpuE6ELNS1_3repE0EEENS1_30default_config_static_selectorELNS0_4arch9wavefront6targetE1EEEvT1_, .Lfunc_end2591-_ZN7rocprim17ROCPRIM_400000_NS6detail17trampoline_kernelINS0_14default_configENS1_25partition_config_selectorILNS1_17partition_subalgoE0ExNS0_10empty_typeEbEEZZNS1_14partition_implILS5_0ELb0ES3_jN6thrust23THRUST_200600_302600_NS6detail15normal_iteratorINSA_10device_ptrIxEEEEPS6_SG_NS0_5tupleIJNSA_16discard_iteratorINSA_11use_defaultEEESK_EEENSH_IJSG_SG_EEES6_PlJ7is_evenIxEEEE10hipError_tPvRmT3_T4_T5_T6_T7_T9_mT8_P12ihipStream_tbDpT10_ENKUlT_T0_E_clISt17integral_constantIbLb0EES19_EEDaS14_S15_EUlS14_E_NS1_11comp_targetILNS1_3genE2ELNS1_11target_archE906ELNS1_3gpuE6ELNS1_3repE0EEENS1_30default_config_static_selectorELNS0_4arch9wavefront6targetE1EEEvT1_
                                        ; -- End function
	.section	.AMDGPU.csdata,"",@progbits
; Kernel info:
; codeLenInByte = 0
; NumSgprs: 6
; NumVgprs: 0
; NumAgprs: 0
; TotalNumVgprs: 0
; ScratchSize: 0
; MemoryBound: 0
; FloatMode: 240
; IeeeMode: 1
; LDSByteSize: 0 bytes/workgroup (compile time only)
; SGPRBlocks: 0
; VGPRBlocks: 0
; NumSGPRsForWavesPerEU: 6
; NumVGPRsForWavesPerEU: 1
; AccumOffset: 4
; Occupancy: 8
; WaveLimiterHint : 0
; COMPUTE_PGM_RSRC2:SCRATCH_EN: 0
; COMPUTE_PGM_RSRC2:USER_SGPR: 2
; COMPUTE_PGM_RSRC2:TRAP_HANDLER: 0
; COMPUTE_PGM_RSRC2:TGID_X_EN: 1
; COMPUTE_PGM_RSRC2:TGID_Y_EN: 0
; COMPUTE_PGM_RSRC2:TGID_Z_EN: 0
; COMPUTE_PGM_RSRC2:TIDIG_COMP_CNT: 0
; COMPUTE_PGM_RSRC3_GFX90A:ACCUM_OFFSET: 0
; COMPUTE_PGM_RSRC3_GFX90A:TG_SPLIT: 0
	.section	.text._ZN7rocprim17ROCPRIM_400000_NS6detail17trampoline_kernelINS0_14default_configENS1_25partition_config_selectorILNS1_17partition_subalgoE0ExNS0_10empty_typeEbEEZZNS1_14partition_implILS5_0ELb0ES3_jN6thrust23THRUST_200600_302600_NS6detail15normal_iteratorINSA_10device_ptrIxEEEEPS6_SG_NS0_5tupleIJNSA_16discard_iteratorINSA_11use_defaultEEESK_EEENSH_IJSG_SG_EEES6_PlJ7is_evenIxEEEE10hipError_tPvRmT3_T4_T5_T6_T7_T9_mT8_P12ihipStream_tbDpT10_ENKUlT_T0_E_clISt17integral_constantIbLb0EES19_EEDaS14_S15_EUlS14_E_NS1_11comp_targetILNS1_3genE10ELNS1_11target_archE1200ELNS1_3gpuE4ELNS1_3repE0EEENS1_30default_config_static_selectorELNS0_4arch9wavefront6targetE1EEEvT1_,"axG",@progbits,_ZN7rocprim17ROCPRIM_400000_NS6detail17trampoline_kernelINS0_14default_configENS1_25partition_config_selectorILNS1_17partition_subalgoE0ExNS0_10empty_typeEbEEZZNS1_14partition_implILS5_0ELb0ES3_jN6thrust23THRUST_200600_302600_NS6detail15normal_iteratorINSA_10device_ptrIxEEEEPS6_SG_NS0_5tupleIJNSA_16discard_iteratorINSA_11use_defaultEEESK_EEENSH_IJSG_SG_EEES6_PlJ7is_evenIxEEEE10hipError_tPvRmT3_T4_T5_T6_T7_T9_mT8_P12ihipStream_tbDpT10_ENKUlT_T0_E_clISt17integral_constantIbLb0EES19_EEDaS14_S15_EUlS14_E_NS1_11comp_targetILNS1_3genE10ELNS1_11target_archE1200ELNS1_3gpuE4ELNS1_3repE0EEENS1_30default_config_static_selectorELNS0_4arch9wavefront6targetE1EEEvT1_,comdat
	.protected	_ZN7rocprim17ROCPRIM_400000_NS6detail17trampoline_kernelINS0_14default_configENS1_25partition_config_selectorILNS1_17partition_subalgoE0ExNS0_10empty_typeEbEEZZNS1_14partition_implILS5_0ELb0ES3_jN6thrust23THRUST_200600_302600_NS6detail15normal_iteratorINSA_10device_ptrIxEEEEPS6_SG_NS0_5tupleIJNSA_16discard_iteratorINSA_11use_defaultEEESK_EEENSH_IJSG_SG_EEES6_PlJ7is_evenIxEEEE10hipError_tPvRmT3_T4_T5_T6_T7_T9_mT8_P12ihipStream_tbDpT10_ENKUlT_T0_E_clISt17integral_constantIbLb0EES19_EEDaS14_S15_EUlS14_E_NS1_11comp_targetILNS1_3genE10ELNS1_11target_archE1200ELNS1_3gpuE4ELNS1_3repE0EEENS1_30default_config_static_selectorELNS0_4arch9wavefront6targetE1EEEvT1_ ; -- Begin function _ZN7rocprim17ROCPRIM_400000_NS6detail17trampoline_kernelINS0_14default_configENS1_25partition_config_selectorILNS1_17partition_subalgoE0ExNS0_10empty_typeEbEEZZNS1_14partition_implILS5_0ELb0ES3_jN6thrust23THRUST_200600_302600_NS6detail15normal_iteratorINSA_10device_ptrIxEEEEPS6_SG_NS0_5tupleIJNSA_16discard_iteratorINSA_11use_defaultEEESK_EEENSH_IJSG_SG_EEES6_PlJ7is_evenIxEEEE10hipError_tPvRmT3_T4_T5_T6_T7_T9_mT8_P12ihipStream_tbDpT10_ENKUlT_T0_E_clISt17integral_constantIbLb0EES19_EEDaS14_S15_EUlS14_E_NS1_11comp_targetILNS1_3genE10ELNS1_11target_archE1200ELNS1_3gpuE4ELNS1_3repE0EEENS1_30default_config_static_selectorELNS0_4arch9wavefront6targetE1EEEvT1_
	.globl	_ZN7rocprim17ROCPRIM_400000_NS6detail17trampoline_kernelINS0_14default_configENS1_25partition_config_selectorILNS1_17partition_subalgoE0ExNS0_10empty_typeEbEEZZNS1_14partition_implILS5_0ELb0ES3_jN6thrust23THRUST_200600_302600_NS6detail15normal_iteratorINSA_10device_ptrIxEEEEPS6_SG_NS0_5tupleIJNSA_16discard_iteratorINSA_11use_defaultEEESK_EEENSH_IJSG_SG_EEES6_PlJ7is_evenIxEEEE10hipError_tPvRmT3_T4_T5_T6_T7_T9_mT8_P12ihipStream_tbDpT10_ENKUlT_T0_E_clISt17integral_constantIbLb0EES19_EEDaS14_S15_EUlS14_E_NS1_11comp_targetILNS1_3genE10ELNS1_11target_archE1200ELNS1_3gpuE4ELNS1_3repE0EEENS1_30default_config_static_selectorELNS0_4arch9wavefront6targetE1EEEvT1_
	.p2align	8
	.type	_ZN7rocprim17ROCPRIM_400000_NS6detail17trampoline_kernelINS0_14default_configENS1_25partition_config_selectorILNS1_17partition_subalgoE0ExNS0_10empty_typeEbEEZZNS1_14partition_implILS5_0ELb0ES3_jN6thrust23THRUST_200600_302600_NS6detail15normal_iteratorINSA_10device_ptrIxEEEEPS6_SG_NS0_5tupleIJNSA_16discard_iteratorINSA_11use_defaultEEESK_EEENSH_IJSG_SG_EEES6_PlJ7is_evenIxEEEE10hipError_tPvRmT3_T4_T5_T6_T7_T9_mT8_P12ihipStream_tbDpT10_ENKUlT_T0_E_clISt17integral_constantIbLb0EES19_EEDaS14_S15_EUlS14_E_NS1_11comp_targetILNS1_3genE10ELNS1_11target_archE1200ELNS1_3gpuE4ELNS1_3repE0EEENS1_30default_config_static_selectorELNS0_4arch9wavefront6targetE1EEEvT1_,@function
_ZN7rocprim17ROCPRIM_400000_NS6detail17trampoline_kernelINS0_14default_configENS1_25partition_config_selectorILNS1_17partition_subalgoE0ExNS0_10empty_typeEbEEZZNS1_14partition_implILS5_0ELb0ES3_jN6thrust23THRUST_200600_302600_NS6detail15normal_iteratorINSA_10device_ptrIxEEEEPS6_SG_NS0_5tupleIJNSA_16discard_iteratorINSA_11use_defaultEEESK_EEENSH_IJSG_SG_EEES6_PlJ7is_evenIxEEEE10hipError_tPvRmT3_T4_T5_T6_T7_T9_mT8_P12ihipStream_tbDpT10_ENKUlT_T0_E_clISt17integral_constantIbLb0EES19_EEDaS14_S15_EUlS14_E_NS1_11comp_targetILNS1_3genE10ELNS1_11target_archE1200ELNS1_3gpuE4ELNS1_3repE0EEENS1_30default_config_static_selectorELNS0_4arch9wavefront6targetE1EEEvT1_: ; @_ZN7rocprim17ROCPRIM_400000_NS6detail17trampoline_kernelINS0_14default_configENS1_25partition_config_selectorILNS1_17partition_subalgoE0ExNS0_10empty_typeEbEEZZNS1_14partition_implILS5_0ELb0ES3_jN6thrust23THRUST_200600_302600_NS6detail15normal_iteratorINSA_10device_ptrIxEEEEPS6_SG_NS0_5tupleIJNSA_16discard_iteratorINSA_11use_defaultEEESK_EEENSH_IJSG_SG_EEES6_PlJ7is_evenIxEEEE10hipError_tPvRmT3_T4_T5_T6_T7_T9_mT8_P12ihipStream_tbDpT10_ENKUlT_T0_E_clISt17integral_constantIbLb0EES19_EEDaS14_S15_EUlS14_E_NS1_11comp_targetILNS1_3genE10ELNS1_11target_archE1200ELNS1_3gpuE4ELNS1_3repE0EEENS1_30default_config_static_selectorELNS0_4arch9wavefront6targetE1EEEvT1_
; %bb.0:
	.section	.rodata,"a",@progbits
	.p2align	6, 0x0
	.amdhsa_kernel _ZN7rocprim17ROCPRIM_400000_NS6detail17trampoline_kernelINS0_14default_configENS1_25partition_config_selectorILNS1_17partition_subalgoE0ExNS0_10empty_typeEbEEZZNS1_14partition_implILS5_0ELb0ES3_jN6thrust23THRUST_200600_302600_NS6detail15normal_iteratorINSA_10device_ptrIxEEEEPS6_SG_NS0_5tupleIJNSA_16discard_iteratorINSA_11use_defaultEEESK_EEENSH_IJSG_SG_EEES6_PlJ7is_evenIxEEEE10hipError_tPvRmT3_T4_T5_T6_T7_T9_mT8_P12ihipStream_tbDpT10_ENKUlT_T0_E_clISt17integral_constantIbLb0EES19_EEDaS14_S15_EUlS14_E_NS1_11comp_targetILNS1_3genE10ELNS1_11target_archE1200ELNS1_3gpuE4ELNS1_3repE0EEENS1_30default_config_static_selectorELNS0_4arch9wavefront6targetE1EEEvT1_
		.amdhsa_group_segment_fixed_size 0
		.amdhsa_private_segment_fixed_size 0
		.amdhsa_kernarg_size 136
		.amdhsa_user_sgpr_count 2
		.amdhsa_user_sgpr_dispatch_ptr 0
		.amdhsa_user_sgpr_queue_ptr 0
		.amdhsa_user_sgpr_kernarg_segment_ptr 1
		.amdhsa_user_sgpr_dispatch_id 0
		.amdhsa_user_sgpr_kernarg_preload_length 0
		.amdhsa_user_sgpr_kernarg_preload_offset 0
		.amdhsa_user_sgpr_private_segment_size 0
		.amdhsa_uses_dynamic_stack 0
		.amdhsa_enable_private_segment 0
		.amdhsa_system_sgpr_workgroup_id_x 1
		.amdhsa_system_sgpr_workgroup_id_y 0
		.amdhsa_system_sgpr_workgroup_id_z 0
		.amdhsa_system_sgpr_workgroup_info 0
		.amdhsa_system_vgpr_workitem_id 0
		.amdhsa_next_free_vgpr 1
		.amdhsa_next_free_sgpr 0
		.amdhsa_accum_offset 4
		.amdhsa_reserve_vcc 0
		.amdhsa_float_round_mode_32 0
		.amdhsa_float_round_mode_16_64 0
		.amdhsa_float_denorm_mode_32 3
		.amdhsa_float_denorm_mode_16_64 3
		.amdhsa_dx10_clamp 1
		.amdhsa_ieee_mode 1
		.amdhsa_fp16_overflow 0
		.amdhsa_tg_split 0
		.amdhsa_exception_fp_ieee_invalid_op 0
		.amdhsa_exception_fp_denorm_src 0
		.amdhsa_exception_fp_ieee_div_zero 0
		.amdhsa_exception_fp_ieee_overflow 0
		.amdhsa_exception_fp_ieee_underflow 0
		.amdhsa_exception_fp_ieee_inexact 0
		.amdhsa_exception_int_div_zero 0
	.end_amdhsa_kernel
	.section	.text._ZN7rocprim17ROCPRIM_400000_NS6detail17trampoline_kernelINS0_14default_configENS1_25partition_config_selectorILNS1_17partition_subalgoE0ExNS0_10empty_typeEbEEZZNS1_14partition_implILS5_0ELb0ES3_jN6thrust23THRUST_200600_302600_NS6detail15normal_iteratorINSA_10device_ptrIxEEEEPS6_SG_NS0_5tupleIJNSA_16discard_iteratorINSA_11use_defaultEEESK_EEENSH_IJSG_SG_EEES6_PlJ7is_evenIxEEEE10hipError_tPvRmT3_T4_T5_T6_T7_T9_mT8_P12ihipStream_tbDpT10_ENKUlT_T0_E_clISt17integral_constantIbLb0EES19_EEDaS14_S15_EUlS14_E_NS1_11comp_targetILNS1_3genE10ELNS1_11target_archE1200ELNS1_3gpuE4ELNS1_3repE0EEENS1_30default_config_static_selectorELNS0_4arch9wavefront6targetE1EEEvT1_,"axG",@progbits,_ZN7rocprim17ROCPRIM_400000_NS6detail17trampoline_kernelINS0_14default_configENS1_25partition_config_selectorILNS1_17partition_subalgoE0ExNS0_10empty_typeEbEEZZNS1_14partition_implILS5_0ELb0ES3_jN6thrust23THRUST_200600_302600_NS6detail15normal_iteratorINSA_10device_ptrIxEEEEPS6_SG_NS0_5tupleIJNSA_16discard_iteratorINSA_11use_defaultEEESK_EEENSH_IJSG_SG_EEES6_PlJ7is_evenIxEEEE10hipError_tPvRmT3_T4_T5_T6_T7_T9_mT8_P12ihipStream_tbDpT10_ENKUlT_T0_E_clISt17integral_constantIbLb0EES19_EEDaS14_S15_EUlS14_E_NS1_11comp_targetILNS1_3genE10ELNS1_11target_archE1200ELNS1_3gpuE4ELNS1_3repE0EEENS1_30default_config_static_selectorELNS0_4arch9wavefront6targetE1EEEvT1_,comdat
.Lfunc_end2592:
	.size	_ZN7rocprim17ROCPRIM_400000_NS6detail17trampoline_kernelINS0_14default_configENS1_25partition_config_selectorILNS1_17partition_subalgoE0ExNS0_10empty_typeEbEEZZNS1_14partition_implILS5_0ELb0ES3_jN6thrust23THRUST_200600_302600_NS6detail15normal_iteratorINSA_10device_ptrIxEEEEPS6_SG_NS0_5tupleIJNSA_16discard_iteratorINSA_11use_defaultEEESK_EEENSH_IJSG_SG_EEES6_PlJ7is_evenIxEEEE10hipError_tPvRmT3_T4_T5_T6_T7_T9_mT8_P12ihipStream_tbDpT10_ENKUlT_T0_E_clISt17integral_constantIbLb0EES19_EEDaS14_S15_EUlS14_E_NS1_11comp_targetILNS1_3genE10ELNS1_11target_archE1200ELNS1_3gpuE4ELNS1_3repE0EEENS1_30default_config_static_selectorELNS0_4arch9wavefront6targetE1EEEvT1_, .Lfunc_end2592-_ZN7rocprim17ROCPRIM_400000_NS6detail17trampoline_kernelINS0_14default_configENS1_25partition_config_selectorILNS1_17partition_subalgoE0ExNS0_10empty_typeEbEEZZNS1_14partition_implILS5_0ELb0ES3_jN6thrust23THRUST_200600_302600_NS6detail15normal_iteratorINSA_10device_ptrIxEEEEPS6_SG_NS0_5tupleIJNSA_16discard_iteratorINSA_11use_defaultEEESK_EEENSH_IJSG_SG_EEES6_PlJ7is_evenIxEEEE10hipError_tPvRmT3_T4_T5_T6_T7_T9_mT8_P12ihipStream_tbDpT10_ENKUlT_T0_E_clISt17integral_constantIbLb0EES19_EEDaS14_S15_EUlS14_E_NS1_11comp_targetILNS1_3genE10ELNS1_11target_archE1200ELNS1_3gpuE4ELNS1_3repE0EEENS1_30default_config_static_selectorELNS0_4arch9wavefront6targetE1EEEvT1_
                                        ; -- End function
	.section	.AMDGPU.csdata,"",@progbits
; Kernel info:
; codeLenInByte = 0
; NumSgprs: 6
; NumVgprs: 0
; NumAgprs: 0
; TotalNumVgprs: 0
; ScratchSize: 0
; MemoryBound: 0
; FloatMode: 240
; IeeeMode: 1
; LDSByteSize: 0 bytes/workgroup (compile time only)
; SGPRBlocks: 0
; VGPRBlocks: 0
; NumSGPRsForWavesPerEU: 6
; NumVGPRsForWavesPerEU: 1
; AccumOffset: 4
; Occupancy: 8
; WaveLimiterHint : 0
; COMPUTE_PGM_RSRC2:SCRATCH_EN: 0
; COMPUTE_PGM_RSRC2:USER_SGPR: 2
; COMPUTE_PGM_RSRC2:TRAP_HANDLER: 0
; COMPUTE_PGM_RSRC2:TGID_X_EN: 1
; COMPUTE_PGM_RSRC2:TGID_Y_EN: 0
; COMPUTE_PGM_RSRC2:TGID_Z_EN: 0
; COMPUTE_PGM_RSRC2:TIDIG_COMP_CNT: 0
; COMPUTE_PGM_RSRC3_GFX90A:ACCUM_OFFSET: 0
; COMPUTE_PGM_RSRC3_GFX90A:TG_SPLIT: 0
	.section	.text._ZN7rocprim17ROCPRIM_400000_NS6detail17trampoline_kernelINS0_14default_configENS1_25partition_config_selectorILNS1_17partition_subalgoE0ExNS0_10empty_typeEbEEZZNS1_14partition_implILS5_0ELb0ES3_jN6thrust23THRUST_200600_302600_NS6detail15normal_iteratorINSA_10device_ptrIxEEEEPS6_SG_NS0_5tupleIJNSA_16discard_iteratorINSA_11use_defaultEEESK_EEENSH_IJSG_SG_EEES6_PlJ7is_evenIxEEEE10hipError_tPvRmT3_T4_T5_T6_T7_T9_mT8_P12ihipStream_tbDpT10_ENKUlT_T0_E_clISt17integral_constantIbLb0EES19_EEDaS14_S15_EUlS14_E_NS1_11comp_targetILNS1_3genE9ELNS1_11target_archE1100ELNS1_3gpuE3ELNS1_3repE0EEENS1_30default_config_static_selectorELNS0_4arch9wavefront6targetE1EEEvT1_,"axG",@progbits,_ZN7rocprim17ROCPRIM_400000_NS6detail17trampoline_kernelINS0_14default_configENS1_25partition_config_selectorILNS1_17partition_subalgoE0ExNS0_10empty_typeEbEEZZNS1_14partition_implILS5_0ELb0ES3_jN6thrust23THRUST_200600_302600_NS6detail15normal_iteratorINSA_10device_ptrIxEEEEPS6_SG_NS0_5tupleIJNSA_16discard_iteratorINSA_11use_defaultEEESK_EEENSH_IJSG_SG_EEES6_PlJ7is_evenIxEEEE10hipError_tPvRmT3_T4_T5_T6_T7_T9_mT8_P12ihipStream_tbDpT10_ENKUlT_T0_E_clISt17integral_constantIbLb0EES19_EEDaS14_S15_EUlS14_E_NS1_11comp_targetILNS1_3genE9ELNS1_11target_archE1100ELNS1_3gpuE3ELNS1_3repE0EEENS1_30default_config_static_selectorELNS0_4arch9wavefront6targetE1EEEvT1_,comdat
	.protected	_ZN7rocprim17ROCPRIM_400000_NS6detail17trampoline_kernelINS0_14default_configENS1_25partition_config_selectorILNS1_17partition_subalgoE0ExNS0_10empty_typeEbEEZZNS1_14partition_implILS5_0ELb0ES3_jN6thrust23THRUST_200600_302600_NS6detail15normal_iteratorINSA_10device_ptrIxEEEEPS6_SG_NS0_5tupleIJNSA_16discard_iteratorINSA_11use_defaultEEESK_EEENSH_IJSG_SG_EEES6_PlJ7is_evenIxEEEE10hipError_tPvRmT3_T4_T5_T6_T7_T9_mT8_P12ihipStream_tbDpT10_ENKUlT_T0_E_clISt17integral_constantIbLb0EES19_EEDaS14_S15_EUlS14_E_NS1_11comp_targetILNS1_3genE9ELNS1_11target_archE1100ELNS1_3gpuE3ELNS1_3repE0EEENS1_30default_config_static_selectorELNS0_4arch9wavefront6targetE1EEEvT1_ ; -- Begin function _ZN7rocprim17ROCPRIM_400000_NS6detail17trampoline_kernelINS0_14default_configENS1_25partition_config_selectorILNS1_17partition_subalgoE0ExNS0_10empty_typeEbEEZZNS1_14partition_implILS5_0ELb0ES3_jN6thrust23THRUST_200600_302600_NS6detail15normal_iteratorINSA_10device_ptrIxEEEEPS6_SG_NS0_5tupleIJNSA_16discard_iteratorINSA_11use_defaultEEESK_EEENSH_IJSG_SG_EEES6_PlJ7is_evenIxEEEE10hipError_tPvRmT3_T4_T5_T6_T7_T9_mT8_P12ihipStream_tbDpT10_ENKUlT_T0_E_clISt17integral_constantIbLb0EES19_EEDaS14_S15_EUlS14_E_NS1_11comp_targetILNS1_3genE9ELNS1_11target_archE1100ELNS1_3gpuE3ELNS1_3repE0EEENS1_30default_config_static_selectorELNS0_4arch9wavefront6targetE1EEEvT1_
	.globl	_ZN7rocprim17ROCPRIM_400000_NS6detail17trampoline_kernelINS0_14default_configENS1_25partition_config_selectorILNS1_17partition_subalgoE0ExNS0_10empty_typeEbEEZZNS1_14partition_implILS5_0ELb0ES3_jN6thrust23THRUST_200600_302600_NS6detail15normal_iteratorINSA_10device_ptrIxEEEEPS6_SG_NS0_5tupleIJNSA_16discard_iteratorINSA_11use_defaultEEESK_EEENSH_IJSG_SG_EEES6_PlJ7is_evenIxEEEE10hipError_tPvRmT3_T4_T5_T6_T7_T9_mT8_P12ihipStream_tbDpT10_ENKUlT_T0_E_clISt17integral_constantIbLb0EES19_EEDaS14_S15_EUlS14_E_NS1_11comp_targetILNS1_3genE9ELNS1_11target_archE1100ELNS1_3gpuE3ELNS1_3repE0EEENS1_30default_config_static_selectorELNS0_4arch9wavefront6targetE1EEEvT1_
	.p2align	8
	.type	_ZN7rocprim17ROCPRIM_400000_NS6detail17trampoline_kernelINS0_14default_configENS1_25partition_config_selectorILNS1_17partition_subalgoE0ExNS0_10empty_typeEbEEZZNS1_14partition_implILS5_0ELb0ES3_jN6thrust23THRUST_200600_302600_NS6detail15normal_iteratorINSA_10device_ptrIxEEEEPS6_SG_NS0_5tupleIJNSA_16discard_iteratorINSA_11use_defaultEEESK_EEENSH_IJSG_SG_EEES6_PlJ7is_evenIxEEEE10hipError_tPvRmT3_T4_T5_T6_T7_T9_mT8_P12ihipStream_tbDpT10_ENKUlT_T0_E_clISt17integral_constantIbLb0EES19_EEDaS14_S15_EUlS14_E_NS1_11comp_targetILNS1_3genE9ELNS1_11target_archE1100ELNS1_3gpuE3ELNS1_3repE0EEENS1_30default_config_static_selectorELNS0_4arch9wavefront6targetE1EEEvT1_,@function
_ZN7rocprim17ROCPRIM_400000_NS6detail17trampoline_kernelINS0_14default_configENS1_25partition_config_selectorILNS1_17partition_subalgoE0ExNS0_10empty_typeEbEEZZNS1_14partition_implILS5_0ELb0ES3_jN6thrust23THRUST_200600_302600_NS6detail15normal_iteratorINSA_10device_ptrIxEEEEPS6_SG_NS0_5tupleIJNSA_16discard_iteratorINSA_11use_defaultEEESK_EEENSH_IJSG_SG_EEES6_PlJ7is_evenIxEEEE10hipError_tPvRmT3_T4_T5_T6_T7_T9_mT8_P12ihipStream_tbDpT10_ENKUlT_T0_E_clISt17integral_constantIbLb0EES19_EEDaS14_S15_EUlS14_E_NS1_11comp_targetILNS1_3genE9ELNS1_11target_archE1100ELNS1_3gpuE3ELNS1_3repE0EEENS1_30default_config_static_selectorELNS0_4arch9wavefront6targetE1EEEvT1_: ; @_ZN7rocprim17ROCPRIM_400000_NS6detail17trampoline_kernelINS0_14default_configENS1_25partition_config_selectorILNS1_17partition_subalgoE0ExNS0_10empty_typeEbEEZZNS1_14partition_implILS5_0ELb0ES3_jN6thrust23THRUST_200600_302600_NS6detail15normal_iteratorINSA_10device_ptrIxEEEEPS6_SG_NS0_5tupleIJNSA_16discard_iteratorINSA_11use_defaultEEESK_EEENSH_IJSG_SG_EEES6_PlJ7is_evenIxEEEE10hipError_tPvRmT3_T4_T5_T6_T7_T9_mT8_P12ihipStream_tbDpT10_ENKUlT_T0_E_clISt17integral_constantIbLb0EES19_EEDaS14_S15_EUlS14_E_NS1_11comp_targetILNS1_3genE9ELNS1_11target_archE1100ELNS1_3gpuE3ELNS1_3repE0EEENS1_30default_config_static_selectorELNS0_4arch9wavefront6targetE1EEEvT1_
; %bb.0:
	.section	.rodata,"a",@progbits
	.p2align	6, 0x0
	.amdhsa_kernel _ZN7rocprim17ROCPRIM_400000_NS6detail17trampoline_kernelINS0_14default_configENS1_25partition_config_selectorILNS1_17partition_subalgoE0ExNS0_10empty_typeEbEEZZNS1_14partition_implILS5_0ELb0ES3_jN6thrust23THRUST_200600_302600_NS6detail15normal_iteratorINSA_10device_ptrIxEEEEPS6_SG_NS0_5tupleIJNSA_16discard_iteratorINSA_11use_defaultEEESK_EEENSH_IJSG_SG_EEES6_PlJ7is_evenIxEEEE10hipError_tPvRmT3_T4_T5_T6_T7_T9_mT8_P12ihipStream_tbDpT10_ENKUlT_T0_E_clISt17integral_constantIbLb0EES19_EEDaS14_S15_EUlS14_E_NS1_11comp_targetILNS1_3genE9ELNS1_11target_archE1100ELNS1_3gpuE3ELNS1_3repE0EEENS1_30default_config_static_selectorELNS0_4arch9wavefront6targetE1EEEvT1_
		.amdhsa_group_segment_fixed_size 0
		.amdhsa_private_segment_fixed_size 0
		.amdhsa_kernarg_size 136
		.amdhsa_user_sgpr_count 2
		.amdhsa_user_sgpr_dispatch_ptr 0
		.amdhsa_user_sgpr_queue_ptr 0
		.amdhsa_user_sgpr_kernarg_segment_ptr 1
		.amdhsa_user_sgpr_dispatch_id 0
		.amdhsa_user_sgpr_kernarg_preload_length 0
		.amdhsa_user_sgpr_kernarg_preload_offset 0
		.amdhsa_user_sgpr_private_segment_size 0
		.amdhsa_uses_dynamic_stack 0
		.amdhsa_enable_private_segment 0
		.amdhsa_system_sgpr_workgroup_id_x 1
		.amdhsa_system_sgpr_workgroup_id_y 0
		.amdhsa_system_sgpr_workgroup_id_z 0
		.amdhsa_system_sgpr_workgroup_info 0
		.amdhsa_system_vgpr_workitem_id 0
		.amdhsa_next_free_vgpr 1
		.amdhsa_next_free_sgpr 0
		.amdhsa_accum_offset 4
		.amdhsa_reserve_vcc 0
		.amdhsa_float_round_mode_32 0
		.amdhsa_float_round_mode_16_64 0
		.amdhsa_float_denorm_mode_32 3
		.amdhsa_float_denorm_mode_16_64 3
		.amdhsa_dx10_clamp 1
		.amdhsa_ieee_mode 1
		.amdhsa_fp16_overflow 0
		.amdhsa_tg_split 0
		.amdhsa_exception_fp_ieee_invalid_op 0
		.amdhsa_exception_fp_denorm_src 0
		.amdhsa_exception_fp_ieee_div_zero 0
		.amdhsa_exception_fp_ieee_overflow 0
		.amdhsa_exception_fp_ieee_underflow 0
		.amdhsa_exception_fp_ieee_inexact 0
		.amdhsa_exception_int_div_zero 0
	.end_amdhsa_kernel
	.section	.text._ZN7rocprim17ROCPRIM_400000_NS6detail17trampoline_kernelINS0_14default_configENS1_25partition_config_selectorILNS1_17partition_subalgoE0ExNS0_10empty_typeEbEEZZNS1_14partition_implILS5_0ELb0ES3_jN6thrust23THRUST_200600_302600_NS6detail15normal_iteratorINSA_10device_ptrIxEEEEPS6_SG_NS0_5tupleIJNSA_16discard_iteratorINSA_11use_defaultEEESK_EEENSH_IJSG_SG_EEES6_PlJ7is_evenIxEEEE10hipError_tPvRmT3_T4_T5_T6_T7_T9_mT8_P12ihipStream_tbDpT10_ENKUlT_T0_E_clISt17integral_constantIbLb0EES19_EEDaS14_S15_EUlS14_E_NS1_11comp_targetILNS1_3genE9ELNS1_11target_archE1100ELNS1_3gpuE3ELNS1_3repE0EEENS1_30default_config_static_selectorELNS0_4arch9wavefront6targetE1EEEvT1_,"axG",@progbits,_ZN7rocprim17ROCPRIM_400000_NS6detail17trampoline_kernelINS0_14default_configENS1_25partition_config_selectorILNS1_17partition_subalgoE0ExNS0_10empty_typeEbEEZZNS1_14partition_implILS5_0ELb0ES3_jN6thrust23THRUST_200600_302600_NS6detail15normal_iteratorINSA_10device_ptrIxEEEEPS6_SG_NS0_5tupleIJNSA_16discard_iteratorINSA_11use_defaultEEESK_EEENSH_IJSG_SG_EEES6_PlJ7is_evenIxEEEE10hipError_tPvRmT3_T4_T5_T6_T7_T9_mT8_P12ihipStream_tbDpT10_ENKUlT_T0_E_clISt17integral_constantIbLb0EES19_EEDaS14_S15_EUlS14_E_NS1_11comp_targetILNS1_3genE9ELNS1_11target_archE1100ELNS1_3gpuE3ELNS1_3repE0EEENS1_30default_config_static_selectorELNS0_4arch9wavefront6targetE1EEEvT1_,comdat
.Lfunc_end2593:
	.size	_ZN7rocprim17ROCPRIM_400000_NS6detail17trampoline_kernelINS0_14default_configENS1_25partition_config_selectorILNS1_17partition_subalgoE0ExNS0_10empty_typeEbEEZZNS1_14partition_implILS5_0ELb0ES3_jN6thrust23THRUST_200600_302600_NS6detail15normal_iteratorINSA_10device_ptrIxEEEEPS6_SG_NS0_5tupleIJNSA_16discard_iteratorINSA_11use_defaultEEESK_EEENSH_IJSG_SG_EEES6_PlJ7is_evenIxEEEE10hipError_tPvRmT3_T4_T5_T6_T7_T9_mT8_P12ihipStream_tbDpT10_ENKUlT_T0_E_clISt17integral_constantIbLb0EES19_EEDaS14_S15_EUlS14_E_NS1_11comp_targetILNS1_3genE9ELNS1_11target_archE1100ELNS1_3gpuE3ELNS1_3repE0EEENS1_30default_config_static_selectorELNS0_4arch9wavefront6targetE1EEEvT1_, .Lfunc_end2593-_ZN7rocprim17ROCPRIM_400000_NS6detail17trampoline_kernelINS0_14default_configENS1_25partition_config_selectorILNS1_17partition_subalgoE0ExNS0_10empty_typeEbEEZZNS1_14partition_implILS5_0ELb0ES3_jN6thrust23THRUST_200600_302600_NS6detail15normal_iteratorINSA_10device_ptrIxEEEEPS6_SG_NS0_5tupleIJNSA_16discard_iteratorINSA_11use_defaultEEESK_EEENSH_IJSG_SG_EEES6_PlJ7is_evenIxEEEE10hipError_tPvRmT3_T4_T5_T6_T7_T9_mT8_P12ihipStream_tbDpT10_ENKUlT_T0_E_clISt17integral_constantIbLb0EES19_EEDaS14_S15_EUlS14_E_NS1_11comp_targetILNS1_3genE9ELNS1_11target_archE1100ELNS1_3gpuE3ELNS1_3repE0EEENS1_30default_config_static_selectorELNS0_4arch9wavefront6targetE1EEEvT1_
                                        ; -- End function
	.section	.AMDGPU.csdata,"",@progbits
; Kernel info:
; codeLenInByte = 0
; NumSgprs: 6
; NumVgprs: 0
; NumAgprs: 0
; TotalNumVgprs: 0
; ScratchSize: 0
; MemoryBound: 0
; FloatMode: 240
; IeeeMode: 1
; LDSByteSize: 0 bytes/workgroup (compile time only)
; SGPRBlocks: 0
; VGPRBlocks: 0
; NumSGPRsForWavesPerEU: 6
; NumVGPRsForWavesPerEU: 1
; AccumOffset: 4
; Occupancy: 8
; WaveLimiterHint : 0
; COMPUTE_PGM_RSRC2:SCRATCH_EN: 0
; COMPUTE_PGM_RSRC2:USER_SGPR: 2
; COMPUTE_PGM_RSRC2:TRAP_HANDLER: 0
; COMPUTE_PGM_RSRC2:TGID_X_EN: 1
; COMPUTE_PGM_RSRC2:TGID_Y_EN: 0
; COMPUTE_PGM_RSRC2:TGID_Z_EN: 0
; COMPUTE_PGM_RSRC2:TIDIG_COMP_CNT: 0
; COMPUTE_PGM_RSRC3_GFX90A:ACCUM_OFFSET: 0
; COMPUTE_PGM_RSRC3_GFX90A:TG_SPLIT: 0
	.section	.text._ZN7rocprim17ROCPRIM_400000_NS6detail17trampoline_kernelINS0_14default_configENS1_25partition_config_selectorILNS1_17partition_subalgoE0ExNS0_10empty_typeEbEEZZNS1_14partition_implILS5_0ELb0ES3_jN6thrust23THRUST_200600_302600_NS6detail15normal_iteratorINSA_10device_ptrIxEEEEPS6_SG_NS0_5tupleIJNSA_16discard_iteratorINSA_11use_defaultEEESK_EEENSH_IJSG_SG_EEES6_PlJ7is_evenIxEEEE10hipError_tPvRmT3_T4_T5_T6_T7_T9_mT8_P12ihipStream_tbDpT10_ENKUlT_T0_E_clISt17integral_constantIbLb0EES19_EEDaS14_S15_EUlS14_E_NS1_11comp_targetILNS1_3genE8ELNS1_11target_archE1030ELNS1_3gpuE2ELNS1_3repE0EEENS1_30default_config_static_selectorELNS0_4arch9wavefront6targetE1EEEvT1_,"axG",@progbits,_ZN7rocprim17ROCPRIM_400000_NS6detail17trampoline_kernelINS0_14default_configENS1_25partition_config_selectorILNS1_17partition_subalgoE0ExNS0_10empty_typeEbEEZZNS1_14partition_implILS5_0ELb0ES3_jN6thrust23THRUST_200600_302600_NS6detail15normal_iteratorINSA_10device_ptrIxEEEEPS6_SG_NS0_5tupleIJNSA_16discard_iteratorINSA_11use_defaultEEESK_EEENSH_IJSG_SG_EEES6_PlJ7is_evenIxEEEE10hipError_tPvRmT3_T4_T5_T6_T7_T9_mT8_P12ihipStream_tbDpT10_ENKUlT_T0_E_clISt17integral_constantIbLb0EES19_EEDaS14_S15_EUlS14_E_NS1_11comp_targetILNS1_3genE8ELNS1_11target_archE1030ELNS1_3gpuE2ELNS1_3repE0EEENS1_30default_config_static_selectorELNS0_4arch9wavefront6targetE1EEEvT1_,comdat
	.protected	_ZN7rocprim17ROCPRIM_400000_NS6detail17trampoline_kernelINS0_14default_configENS1_25partition_config_selectorILNS1_17partition_subalgoE0ExNS0_10empty_typeEbEEZZNS1_14partition_implILS5_0ELb0ES3_jN6thrust23THRUST_200600_302600_NS6detail15normal_iteratorINSA_10device_ptrIxEEEEPS6_SG_NS0_5tupleIJNSA_16discard_iteratorINSA_11use_defaultEEESK_EEENSH_IJSG_SG_EEES6_PlJ7is_evenIxEEEE10hipError_tPvRmT3_T4_T5_T6_T7_T9_mT8_P12ihipStream_tbDpT10_ENKUlT_T0_E_clISt17integral_constantIbLb0EES19_EEDaS14_S15_EUlS14_E_NS1_11comp_targetILNS1_3genE8ELNS1_11target_archE1030ELNS1_3gpuE2ELNS1_3repE0EEENS1_30default_config_static_selectorELNS0_4arch9wavefront6targetE1EEEvT1_ ; -- Begin function _ZN7rocprim17ROCPRIM_400000_NS6detail17trampoline_kernelINS0_14default_configENS1_25partition_config_selectorILNS1_17partition_subalgoE0ExNS0_10empty_typeEbEEZZNS1_14partition_implILS5_0ELb0ES3_jN6thrust23THRUST_200600_302600_NS6detail15normal_iteratorINSA_10device_ptrIxEEEEPS6_SG_NS0_5tupleIJNSA_16discard_iteratorINSA_11use_defaultEEESK_EEENSH_IJSG_SG_EEES6_PlJ7is_evenIxEEEE10hipError_tPvRmT3_T4_T5_T6_T7_T9_mT8_P12ihipStream_tbDpT10_ENKUlT_T0_E_clISt17integral_constantIbLb0EES19_EEDaS14_S15_EUlS14_E_NS1_11comp_targetILNS1_3genE8ELNS1_11target_archE1030ELNS1_3gpuE2ELNS1_3repE0EEENS1_30default_config_static_selectorELNS0_4arch9wavefront6targetE1EEEvT1_
	.globl	_ZN7rocprim17ROCPRIM_400000_NS6detail17trampoline_kernelINS0_14default_configENS1_25partition_config_selectorILNS1_17partition_subalgoE0ExNS0_10empty_typeEbEEZZNS1_14partition_implILS5_0ELb0ES3_jN6thrust23THRUST_200600_302600_NS6detail15normal_iteratorINSA_10device_ptrIxEEEEPS6_SG_NS0_5tupleIJNSA_16discard_iteratorINSA_11use_defaultEEESK_EEENSH_IJSG_SG_EEES6_PlJ7is_evenIxEEEE10hipError_tPvRmT3_T4_T5_T6_T7_T9_mT8_P12ihipStream_tbDpT10_ENKUlT_T0_E_clISt17integral_constantIbLb0EES19_EEDaS14_S15_EUlS14_E_NS1_11comp_targetILNS1_3genE8ELNS1_11target_archE1030ELNS1_3gpuE2ELNS1_3repE0EEENS1_30default_config_static_selectorELNS0_4arch9wavefront6targetE1EEEvT1_
	.p2align	8
	.type	_ZN7rocprim17ROCPRIM_400000_NS6detail17trampoline_kernelINS0_14default_configENS1_25partition_config_selectorILNS1_17partition_subalgoE0ExNS0_10empty_typeEbEEZZNS1_14partition_implILS5_0ELb0ES3_jN6thrust23THRUST_200600_302600_NS6detail15normal_iteratorINSA_10device_ptrIxEEEEPS6_SG_NS0_5tupleIJNSA_16discard_iteratorINSA_11use_defaultEEESK_EEENSH_IJSG_SG_EEES6_PlJ7is_evenIxEEEE10hipError_tPvRmT3_T4_T5_T6_T7_T9_mT8_P12ihipStream_tbDpT10_ENKUlT_T0_E_clISt17integral_constantIbLb0EES19_EEDaS14_S15_EUlS14_E_NS1_11comp_targetILNS1_3genE8ELNS1_11target_archE1030ELNS1_3gpuE2ELNS1_3repE0EEENS1_30default_config_static_selectorELNS0_4arch9wavefront6targetE1EEEvT1_,@function
_ZN7rocprim17ROCPRIM_400000_NS6detail17trampoline_kernelINS0_14default_configENS1_25partition_config_selectorILNS1_17partition_subalgoE0ExNS0_10empty_typeEbEEZZNS1_14partition_implILS5_0ELb0ES3_jN6thrust23THRUST_200600_302600_NS6detail15normal_iteratorINSA_10device_ptrIxEEEEPS6_SG_NS0_5tupleIJNSA_16discard_iteratorINSA_11use_defaultEEESK_EEENSH_IJSG_SG_EEES6_PlJ7is_evenIxEEEE10hipError_tPvRmT3_T4_T5_T6_T7_T9_mT8_P12ihipStream_tbDpT10_ENKUlT_T0_E_clISt17integral_constantIbLb0EES19_EEDaS14_S15_EUlS14_E_NS1_11comp_targetILNS1_3genE8ELNS1_11target_archE1030ELNS1_3gpuE2ELNS1_3repE0EEENS1_30default_config_static_selectorELNS0_4arch9wavefront6targetE1EEEvT1_: ; @_ZN7rocprim17ROCPRIM_400000_NS6detail17trampoline_kernelINS0_14default_configENS1_25partition_config_selectorILNS1_17partition_subalgoE0ExNS0_10empty_typeEbEEZZNS1_14partition_implILS5_0ELb0ES3_jN6thrust23THRUST_200600_302600_NS6detail15normal_iteratorINSA_10device_ptrIxEEEEPS6_SG_NS0_5tupleIJNSA_16discard_iteratorINSA_11use_defaultEEESK_EEENSH_IJSG_SG_EEES6_PlJ7is_evenIxEEEE10hipError_tPvRmT3_T4_T5_T6_T7_T9_mT8_P12ihipStream_tbDpT10_ENKUlT_T0_E_clISt17integral_constantIbLb0EES19_EEDaS14_S15_EUlS14_E_NS1_11comp_targetILNS1_3genE8ELNS1_11target_archE1030ELNS1_3gpuE2ELNS1_3repE0EEENS1_30default_config_static_selectorELNS0_4arch9wavefront6targetE1EEEvT1_
; %bb.0:
	.section	.rodata,"a",@progbits
	.p2align	6, 0x0
	.amdhsa_kernel _ZN7rocprim17ROCPRIM_400000_NS6detail17trampoline_kernelINS0_14default_configENS1_25partition_config_selectorILNS1_17partition_subalgoE0ExNS0_10empty_typeEbEEZZNS1_14partition_implILS5_0ELb0ES3_jN6thrust23THRUST_200600_302600_NS6detail15normal_iteratorINSA_10device_ptrIxEEEEPS6_SG_NS0_5tupleIJNSA_16discard_iteratorINSA_11use_defaultEEESK_EEENSH_IJSG_SG_EEES6_PlJ7is_evenIxEEEE10hipError_tPvRmT3_T4_T5_T6_T7_T9_mT8_P12ihipStream_tbDpT10_ENKUlT_T0_E_clISt17integral_constantIbLb0EES19_EEDaS14_S15_EUlS14_E_NS1_11comp_targetILNS1_3genE8ELNS1_11target_archE1030ELNS1_3gpuE2ELNS1_3repE0EEENS1_30default_config_static_selectorELNS0_4arch9wavefront6targetE1EEEvT1_
		.amdhsa_group_segment_fixed_size 0
		.amdhsa_private_segment_fixed_size 0
		.amdhsa_kernarg_size 136
		.amdhsa_user_sgpr_count 2
		.amdhsa_user_sgpr_dispatch_ptr 0
		.amdhsa_user_sgpr_queue_ptr 0
		.amdhsa_user_sgpr_kernarg_segment_ptr 1
		.amdhsa_user_sgpr_dispatch_id 0
		.amdhsa_user_sgpr_kernarg_preload_length 0
		.amdhsa_user_sgpr_kernarg_preload_offset 0
		.amdhsa_user_sgpr_private_segment_size 0
		.amdhsa_uses_dynamic_stack 0
		.amdhsa_enable_private_segment 0
		.amdhsa_system_sgpr_workgroup_id_x 1
		.amdhsa_system_sgpr_workgroup_id_y 0
		.amdhsa_system_sgpr_workgroup_id_z 0
		.amdhsa_system_sgpr_workgroup_info 0
		.amdhsa_system_vgpr_workitem_id 0
		.amdhsa_next_free_vgpr 1
		.amdhsa_next_free_sgpr 0
		.amdhsa_accum_offset 4
		.amdhsa_reserve_vcc 0
		.amdhsa_float_round_mode_32 0
		.amdhsa_float_round_mode_16_64 0
		.amdhsa_float_denorm_mode_32 3
		.amdhsa_float_denorm_mode_16_64 3
		.amdhsa_dx10_clamp 1
		.amdhsa_ieee_mode 1
		.amdhsa_fp16_overflow 0
		.amdhsa_tg_split 0
		.amdhsa_exception_fp_ieee_invalid_op 0
		.amdhsa_exception_fp_denorm_src 0
		.amdhsa_exception_fp_ieee_div_zero 0
		.amdhsa_exception_fp_ieee_overflow 0
		.amdhsa_exception_fp_ieee_underflow 0
		.amdhsa_exception_fp_ieee_inexact 0
		.amdhsa_exception_int_div_zero 0
	.end_amdhsa_kernel
	.section	.text._ZN7rocprim17ROCPRIM_400000_NS6detail17trampoline_kernelINS0_14default_configENS1_25partition_config_selectorILNS1_17partition_subalgoE0ExNS0_10empty_typeEbEEZZNS1_14partition_implILS5_0ELb0ES3_jN6thrust23THRUST_200600_302600_NS6detail15normal_iteratorINSA_10device_ptrIxEEEEPS6_SG_NS0_5tupleIJNSA_16discard_iteratorINSA_11use_defaultEEESK_EEENSH_IJSG_SG_EEES6_PlJ7is_evenIxEEEE10hipError_tPvRmT3_T4_T5_T6_T7_T9_mT8_P12ihipStream_tbDpT10_ENKUlT_T0_E_clISt17integral_constantIbLb0EES19_EEDaS14_S15_EUlS14_E_NS1_11comp_targetILNS1_3genE8ELNS1_11target_archE1030ELNS1_3gpuE2ELNS1_3repE0EEENS1_30default_config_static_selectorELNS0_4arch9wavefront6targetE1EEEvT1_,"axG",@progbits,_ZN7rocprim17ROCPRIM_400000_NS6detail17trampoline_kernelINS0_14default_configENS1_25partition_config_selectorILNS1_17partition_subalgoE0ExNS0_10empty_typeEbEEZZNS1_14partition_implILS5_0ELb0ES3_jN6thrust23THRUST_200600_302600_NS6detail15normal_iteratorINSA_10device_ptrIxEEEEPS6_SG_NS0_5tupleIJNSA_16discard_iteratorINSA_11use_defaultEEESK_EEENSH_IJSG_SG_EEES6_PlJ7is_evenIxEEEE10hipError_tPvRmT3_T4_T5_T6_T7_T9_mT8_P12ihipStream_tbDpT10_ENKUlT_T0_E_clISt17integral_constantIbLb0EES19_EEDaS14_S15_EUlS14_E_NS1_11comp_targetILNS1_3genE8ELNS1_11target_archE1030ELNS1_3gpuE2ELNS1_3repE0EEENS1_30default_config_static_selectorELNS0_4arch9wavefront6targetE1EEEvT1_,comdat
.Lfunc_end2594:
	.size	_ZN7rocprim17ROCPRIM_400000_NS6detail17trampoline_kernelINS0_14default_configENS1_25partition_config_selectorILNS1_17partition_subalgoE0ExNS0_10empty_typeEbEEZZNS1_14partition_implILS5_0ELb0ES3_jN6thrust23THRUST_200600_302600_NS6detail15normal_iteratorINSA_10device_ptrIxEEEEPS6_SG_NS0_5tupleIJNSA_16discard_iteratorINSA_11use_defaultEEESK_EEENSH_IJSG_SG_EEES6_PlJ7is_evenIxEEEE10hipError_tPvRmT3_T4_T5_T6_T7_T9_mT8_P12ihipStream_tbDpT10_ENKUlT_T0_E_clISt17integral_constantIbLb0EES19_EEDaS14_S15_EUlS14_E_NS1_11comp_targetILNS1_3genE8ELNS1_11target_archE1030ELNS1_3gpuE2ELNS1_3repE0EEENS1_30default_config_static_selectorELNS0_4arch9wavefront6targetE1EEEvT1_, .Lfunc_end2594-_ZN7rocprim17ROCPRIM_400000_NS6detail17trampoline_kernelINS0_14default_configENS1_25partition_config_selectorILNS1_17partition_subalgoE0ExNS0_10empty_typeEbEEZZNS1_14partition_implILS5_0ELb0ES3_jN6thrust23THRUST_200600_302600_NS6detail15normal_iteratorINSA_10device_ptrIxEEEEPS6_SG_NS0_5tupleIJNSA_16discard_iteratorINSA_11use_defaultEEESK_EEENSH_IJSG_SG_EEES6_PlJ7is_evenIxEEEE10hipError_tPvRmT3_T4_T5_T6_T7_T9_mT8_P12ihipStream_tbDpT10_ENKUlT_T0_E_clISt17integral_constantIbLb0EES19_EEDaS14_S15_EUlS14_E_NS1_11comp_targetILNS1_3genE8ELNS1_11target_archE1030ELNS1_3gpuE2ELNS1_3repE0EEENS1_30default_config_static_selectorELNS0_4arch9wavefront6targetE1EEEvT1_
                                        ; -- End function
	.section	.AMDGPU.csdata,"",@progbits
; Kernel info:
; codeLenInByte = 0
; NumSgprs: 6
; NumVgprs: 0
; NumAgprs: 0
; TotalNumVgprs: 0
; ScratchSize: 0
; MemoryBound: 0
; FloatMode: 240
; IeeeMode: 1
; LDSByteSize: 0 bytes/workgroup (compile time only)
; SGPRBlocks: 0
; VGPRBlocks: 0
; NumSGPRsForWavesPerEU: 6
; NumVGPRsForWavesPerEU: 1
; AccumOffset: 4
; Occupancy: 8
; WaveLimiterHint : 0
; COMPUTE_PGM_RSRC2:SCRATCH_EN: 0
; COMPUTE_PGM_RSRC2:USER_SGPR: 2
; COMPUTE_PGM_RSRC2:TRAP_HANDLER: 0
; COMPUTE_PGM_RSRC2:TGID_X_EN: 1
; COMPUTE_PGM_RSRC2:TGID_Y_EN: 0
; COMPUTE_PGM_RSRC2:TGID_Z_EN: 0
; COMPUTE_PGM_RSRC2:TIDIG_COMP_CNT: 0
; COMPUTE_PGM_RSRC3_GFX90A:ACCUM_OFFSET: 0
; COMPUTE_PGM_RSRC3_GFX90A:TG_SPLIT: 0
	.section	.text._ZN7rocprim17ROCPRIM_400000_NS6detail17trampoline_kernelINS0_14default_configENS1_25partition_config_selectorILNS1_17partition_subalgoE0ExNS0_10empty_typeEbEEZZNS1_14partition_implILS5_0ELb0ES3_jN6thrust23THRUST_200600_302600_NS6detail15normal_iteratorINSA_10device_ptrIxEEEEPS6_SG_NS0_5tupleIJNSA_16discard_iteratorINSA_11use_defaultEEESK_EEENSH_IJSG_SG_EEES6_PlJ7is_evenIxEEEE10hipError_tPvRmT3_T4_T5_T6_T7_T9_mT8_P12ihipStream_tbDpT10_ENKUlT_T0_E_clISt17integral_constantIbLb1EES19_EEDaS14_S15_EUlS14_E_NS1_11comp_targetILNS1_3genE0ELNS1_11target_archE4294967295ELNS1_3gpuE0ELNS1_3repE0EEENS1_30default_config_static_selectorELNS0_4arch9wavefront6targetE1EEEvT1_,"axG",@progbits,_ZN7rocprim17ROCPRIM_400000_NS6detail17trampoline_kernelINS0_14default_configENS1_25partition_config_selectorILNS1_17partition_subalgoE0ExNS0_10empty_typeEbEEZZNS1_14partition_implILS5_0ELb0ES3_jN6thrust23THRUST_200600_302600_NS6detail15normal_iteratorINSA_10device_ptrIxEEEEPS6_SG_NS0_5tupleIJNSA_16discard_iteratorINSA_11use_defaultEEESK_EEENSH_IJSG_SG_EEES6_PlJ7is_evenIxEEEE10hipError_tPvRmT3_T4_T5_T6_T7_T9_mT8_P12ihipStream_tbDpT10_ENKUlT_T0_E_clISt17integral_constantIbLb1EES19_EEDaS14_S15_EUlS14_E_NS1_11comp_targetILNS1_3genE0ELNS1_11target_archE4294967295ELNS1_3gpuE0ELNS1_3repE0EEENS1_30default_config_static_selectorELNS0_4arch9wavefront6targetE1EEEvT1_,comdat
	.protected	_ZN7rocprim17ROCPRIM_400000_NS6detail17trampoline_kernelINS0_14default_configENS1_25partition_config_selectorILNS1_17partition_subalgoE0ExNS0_10empty_typeEbEEZZNS1_14partition_implILS5_0ELb0ES3_jN6thrust23THRUST_200600_302600_NS6detail15normal_iteratorINSA_10device_ptrIxEEEEPS6_SG_NS0_5tupleIJNSA_16discard_iteratorINSA_11use_defaultEEESK_EEENSH_IJSG_SG_EEES6_PlJ7is_evenIxEEEE10hipError_tPvRmT3_T4_T5_T6_T7_T9_mT8_P12ihipStream_tbDpT10_ENKUlT_T0_E_clISt17integral_constantIbLb1EES19_EEDaS14_S15_EUlS14_E_NS1_11comp_targetILNS1_3genE0ELNS1_11target_archE4294967295ELNS1_3gpuE0ELNS1_3repE0EEENS1_30default_config_static_selectorELNS0_4arch9wavefront6targetE1EEEvT1_ ; -- Begin function _ZN7rocprim17ROCPRIM_400000_NS6detail17trampoline_kernelINS0_14default_configENS1_25partition_config_selectorILNS1_17partition_subalgoE0ExNS0_10empty_typeEbEEZZNS1_14partition_implILS5_0ELb0ES3_jN6thrust23THRUST_200600_302600_NS6detail15normal_iteratorINSA_10device_ptrIxEEEEPS6_SG_NS0_5tupleIJNSA_16discard_iteratorINSA_11use_defaultEEESK_EEENSH_IJSG_SG_EEES6_PlJ7is_evenIxEEEE10hipError_tPvRmT3_T4_T5_T6_T7_T9_mT8_P12ihipStream_tbDpT10_ENKUlT_T0_E_clISt17integral_constantIbLb1EES19_EEDaS14_S15_EUlS14_E_NS1_11comp_targetILNS1_3genE0ELNS1_11target_archE4294967295ELNS1_3gpuE0ELNS1_3repE0EEENS1_30default_config_static_selectorELNS0_4arch9wavefront6targetE1EEEvT1_
	.globl	_ZN7rocprim17ROCPRIM_400000_NS6detail17trampoline_kernelINS0_14default_configENS1_25partition_config_selectorILNS1_17partition_subalgoE0ExNS0_10empty_typeEbEEZZNS1_14partition_implILS5_0ELb0ES3_jN6thrust23THRUST_200600_302600_NS6detail15normal_iteratorINSA_10device_ptrIxEEEEPS6_SG_NS0_5tupleIJNSA_16discard_iteratorINSA_11use_defaultEEESK_EEENSH_IJSG_SG_EEES6_PlJ7is_evenIxEEEE10hipError_tPvRmT3_T4_T5_T6_T7_T9_mT8_P12ihipStream_tbDpT10_ENKUlT_T0_E_clISt17integral_constantIbLb1EES19_EEDaS14_S15_EUlS14_E_NS1_11comp_targetILNS1_3genE0ELNS1_11target_archE4294967295ELNS1_3gpuE0ELNS1_3repE0EEENS1_30default_config_static_selectorELNS0_4arch9wavefront6targetE1EEEvT1_
	.p2align	8
	.type	_ZN7rocprim17ROCPRIM_400000_NS6detail17trampoline_kernelINS0_14default_configENS1_25partition_config_selectorILNS1_17partition_subalgoE0ExNS0_10empty_typeEbEEZZNS1_14partition_implILS5_0ELb0ES3_jN6thrust23THRUST_200600_302600_NS6detail15normal_iteratorINSA_10device_ptrIxEEEEPS6_SG_NS0_5tupleIJNSA_16discard_iteratorINSA_11use_defaultEEESK_EEENSH_IJSG_SG_EEES6_PlJ7is_evenIxEEEE10hipError_tPvRmT3_T4_T5_T6_T7_T9_mT8_P12ihipStream_tbDpT10_ENKUlT_T0_E_clISt17integral_constantIbLb1EES19_EEDaS14_S15_EUlS14_E_NS1_11comp_targetILNS1_3genE0ELNS1_11target_archE4294967295ELNS1_3gpuE0ELNS1_3repE0EEENS1_30default_config_static_selectorELNS0_4arch9wavefront6targetE1EEEvT1_,@function
_ZN7rocprim17ROCPRIM_400000_NS6detail17trampoline_kernelINS0_14default_configENS1_25partition_config_selectorILNS1_17partition_subalgoE0ExNS0_10empty_typeEbEEZZNS1_14partition_implILS5_0ELb0ES3_jN6thrust23THRUST_200600_302600_NS6detail15normal_iteratorINSA_10device_ptrIxEEEEPS6_SG_NS0_5tupleIJNSA_16discard_iteratorINSA_11use_defaultEEESK_EEENSH_IJSG_SG_EEES6_PlJ7is_evenIxEEEE10hipError_tPvRmT3_T4_T5_T6_T7_T9_mT8_P12ihipStream_tbDpT10_ENKUlT_T0_E_clISt17integral_constantIbLb1EES19_EEDaS14_S15_EUlS14_E_NS1_11comp_targetILNS1_3genE0ELNS1_11target_archE4294967295ELNS1_3gpuE0ELNS1_3repE0EEENS1_30default_config_static_selectorELNS0_4arch9wavefront6targetE1EEEvT1_: ; @_ZN7rocprim17ROCPRIM_400000_NS6detail17trampoline_kernelINS0_14default_configENS1_25partition_config_selectorILNS1_17partition_subalgoE0ExNS0_10empty_typeEbEEZZNS1_14partition_implILS5_0ELb0ES3_jN6thrust23THRUST_200600_302600_NS6detail15normal_iteratorINSA_10device_ptrIxEEEEPS6_SG_NS0_5tupleIJNSA_16discard_iteratorINSA_11use_defaultEEESK_EEENSH_IJSG_SG_EEES6_PlJ7is_evenIxEEEE10hipError_tPvRmT3_T4_T5_T6_T7_T9_mT8_P12ihipStream_tbDpT10_ENKUlT_T0_E_clISt17integral_constantIbLb1EES19_EEDaS14_S15_EUlS14_E_NS1_11comp_targetILNS1_3genE0ELNS1_11target_archE4294967295ELNS1_3gpuE0ELNS1_3repE0EEENS1_30default_config_static_selectorELNS0_4arch9wavefront6targetE1EEEvT1_
; %bb.0:
	.section	.rodata,"a",@progbits
	.p2align	6, 0x0
	.amdhsa_kernel _ZN7rocprim17ROCPRIM_400000_NS6detail17trampoline_kernelINS0_14default_configENS1_25partition_config_selectorILNS1_17partition_subalgoE0ExNS0_10empty_typeEbEEZZNS1_14partition_implILS5_0ELb0ES3_jN6thrust23THRUST_200600_302600_NS6detail15normal_iteratorINSA_10device_ptrIxEEEEPS6_SG_NS0_5tupleIJNSA_16discard_iteratorINSA_11use_defaultEEESK_EEENSH_IJSG_SG_EEES6_PlJ7is_evenIxEEEE10hipError_tPvRmT3_T4_T5_T6_T7_T9_mT8_P12ihipStream_tbDpT10_ENKUlT_T0_E_clISt17integral_constantIbLb1EES19_EEDaS14_S15_EUlS14_E_NS1_11comp_targetILNS1_3genE0ELNS1_11target_archE4294967295ELNS1_3gpuE0ELNS1_3repE0EEENS1_30default_config_static_selectorELNS0_4arch9wavefront6targetE1EEEvT1_
		.amdhsa_group_segment_fixed_size 0
		.amdhsa_private_segment_fixed_size 0
		.amdhsa_kernarg_size 152
		.amdhsa_user_sgpr_count 2
		.amdhsa_user_sgpr_dispatch_ptr 0
		.amdhsa_user_sgpr_queue_ptr 0
		.amdhsa_user_sgpr_kernarg_segment_ptr 1
		.amdhsa_user_sgpr_dispatch_id 0
		.amdhsa_user_sgpr_kernarg_preload_length 0
		.amdhsa_user_sgpr_kernarg_preload_offset 0
		.amdhsa_user_sgpr_private_segment_size 0
		.amdhsa_uses_dynamic_stack 0
		.amdhsa_enable_private_segment 0
		.amdhsa_system_sgpr_workgroup_id_x 1
		.amdhsa_system_sgpr_workgroup_id_y 0
		.amdhsa_system_sgpr_workgroup_id_z 0
		.amdhsa_system_sgpr_workgroup_info 0
		.amdhsa_system_vgpr_workitem_id 0
		.amdhsa_next_free_vgpr 1
		.amdhsa_next_free_sgpr 0
		.amdhsa_accum_offset 4
		.amdhsa_reserve_vcc 0
		.amdhsa_float_round_mode_32 0
		.amdhsa_float_round_mode_16_64 0
		.amdhsa_float_denorm_mode_32 3
		.amdhsa_float_denorm_mode_16_64 3
		.amdhsa_dx10_clamp 1
		.amdhsa_ieee_mode 1
		.amdhsa_fp16_overflow 0
		.amdhsa_tg_split 0
		.amdhsa_exception_fp_ieee_invalid_op 0
		.amdhsa_exception_fp_denorm_src 0
		.amdhsa_exception_fp_ieee_div_zero 0
		.amdhsa_exception_fp_ieee_overflow 0
		.amdhsa_exception_fp_ieee_underflow 0
		.amdhsa_exception_fp_ieee_inexact 0
		.amdhsa_exception_int_div_zero 0
	.end_amdhsa_kernel
	.section	.text._ZN7rocprim17ROCPRIM_400000_NS6detail17trampoline_kernelINS0_14default_configENS1_25partition_config_selectorILNS1_17partition_subalgoE0ExNS0_10empty_typeEbEEZZNS1_14partition_implILS5_0ELb0ES3_jN6thrust23THRUST_200600_302600_NS6detail15normal_iteratorINSA_10device_ptrIxEEEEPS6_SG_NS0_5tupleIJNSA_16discard_iteratorINSA_11use_defaultEEESK_EEENSH_IJSG_SG_EEES6_PlJ7is_evenIxEEEE10hipError_tPvRmT3_T4_T5_T6_T7_T9_mT8_P12ihipStream_tbDpT10_ENKUlT_T0_E_clISt17integral_constantIbLb1EES19_EEDaS14_S15_EUlS14_E_NS1_11comp_targetILNS1_3genE0ELNS1_11target_archE4294967295ELNS1_3gpuE0ELNS1_3repE0EEENS1_30default_config_static_selectorELNS0_4arch9wavefront6targetE1EEEvT1_,"axG",@progbits,_ZN7rocprim17ROCPRIM_400000_NS6detail17trampoline_kernelINS0_14default_configENS1_25partition_config_selectorILNS1_17partition_subalgoE0ExNS0_10empty_typeEbEEZZNS1_14partition_implILS5_0ELb0ES3_jN6thrust23THRUST_200600_302600_NS6detail15normal_iteratorINSA_10device_ptrIxEEEEPS6_SG_NS0_5tupleIJNSA_16discard_iteratorINSA_11use_defaultEEESK_EEENSH_IJSG_SG_EEES6_PlJ7is_evenIxEEEE10hipError_tPvRmT3_T4_T5_T6_T7_T9_mT8_P12ihipStream_tbDpT10_ENKUlT_T0_E_clISt17integral_constantIbLb1EES19_EEDaS14_S15_EUlS14_E_NS1_11comp_targetILNS1_3genE0ELNS1_11target_archE4294967295ELNS1_3gpuE0ELNS1_3repE0EEENS1_30default_config_static_selectorELNS0_4arch9wavefront6targetE1EEEvT1_,comdat
.Lfunc_end2595:
	.size	_ZN7rocprim17ROCPRIM_400000_NS6detail17trampoline_kernelINS0_14default_configENS1_25partition_config_selectorILNS1_17partition_subalgoE0ExNS0_10empty_typeEbEEZZNS1_14partition_implILS5_0ELb0ES3_jN6thrust23THRUST_200600_302600_NS6detail15normal_iteratorINSA_10device_ptrIxEEEEPS6_SG_NS0_5tupleIJNSA_16discard_iteratorINSA_11use_defaultEEESK_EEENSH_IJSG_SG_EEES6_PlJ7is_evenIxEEEE10hipError_tPvRmT3_T4_T5_T6_T7_T9_mT8_P12ihipStream_tbDpT10_ENKUlT_T0_E_clISt17integral_constantIbLb1EES19_EEDaS14_S15_EUlS14_E_NS1_11comp_targetILNS1_3genE0ELNS1_11target_archE4294967295ELNS1_3gpuE0ELNS1_3repE0EEENS1_30default_config_static_selectorELNS0_4arch9wavefront6targetE1EEEvT1_, .Lfunc_end2595-_ZN7rocprim17ROCPRIM_400000_NS6detail17trampoline_kernelINS0_14default_configENS1_25partition_config_selectorILNS1_17partition_subalgoE0ExNS0_10empty_typeEbEEZZNS1_14partition_implILS5_0ELb0ES3_jN6thrust23THRUST_200600_302600_NS6detail15normal_iteratorINSA_10device_ptrIxEEEEPS6_SG_NS0_5tupleIJNSA_16discard_iteratorINSA_11use_defaultEEESK_EEENSH_IJSG_SG_EEES6_PlJ7is_evenIxEEEE10hipError_tPvRmT3_T4_T5_T6_T7_T9_mT8_P12ihipStream_tbDpT10_ENKUlT_T0_E_clISt17integral_constantIbLb1EES19_EEDaS14_S15_EUlS14_E_NS1_11comp_targetILNS1_3genE0ELNS1_11target_archE4294967295ELNS1_3gpuE0ELNS1_3repE0EEENS1_30default_config_static_selectorELNS0_4arch9wavefront6targetE1EEEvT1_
                                        ; -- End function
	.section	.AMDGPU.csdata,"",@progbits
; Kernel info:
; codeLenInByte = 0
; NumSgprs: 6
; NumVgprs: 0
; NumAgprs: 0
; TotalNumVgprs: 0
; ScratchSize: 0
; MemoryBound: 0
; FloatMode: 240
; IeeeMode: 1
; LDSByteSize: 0 bytes/workgroup (compile time only)
; SGPRBlocks: 0
; VGPRBlocks: 0
; NumSGPRsForWavesPerEU: 6
; NumVGPRsForWavesPerEU: 1
; AccumOffset: 4
; Occupancy: 8
; WaveLimiterHint : 0
; COMPUTE_PGM_RSRC2:SCRATCH_EN: 0
; COMPUTE_PGM_RSRC2:USER_SGPR: 2
; COMPUTE_PGM_RSRC2:TRAP_HANDLER: 0
; COMPUTE_PGM_RSRC2:TGID_X_EN: 1
; COMPUTE_PGM_RSRC2:TGID_Y_EN: 0
; COMPUTE_PGM_RSRC2:TGID_Z_EN: 0
; COMPUTE_PGM_RSRC2:TIDIG_COMP_CNT: 0
; COMPUTE_PGM_RSRC3_GFX90A:ACCUM_OFFSET: 0
; COMPUTE_PGM_RSRC3_GFX90A:TG_SPLIT: 0
	.section	.text._ZN7rocprim17ROCPRIM_400000_NS6detail17trampoline_kernelINS0_14default_configENS1_25partition_config_selectorILNS1_17partition_subalgoE0ExNS0_10empty_typeEbEEZZNS1_14partition_implILS5_0ELb0ES3_jN6thrust23THRUST_200600_302600_NS6detail15normal_iteratorINSA_10device_ptrIxEEEEPS6_SG_NS0_5tupleIJNSA_16discard_iteratorINSA_11use_defaultEEESK_EEENSH_IJSG_SG_EEES6_PlJ7is_evenIxEEEE10hipError_tPvRmT3_T4_T5_T6_T7_T9_mT8_P12ihipStream_tbDpT10_ENKUlT_T0_E_clISt17integral_constantIbLb1EES19_EEDaS14_S15_EUlS14_E_NS1_11comp_targetILNS1_3genE5ELNS1_11target_archE942ELNS1_3gpuE9ELNS1_3repE0EEENS1_30default_config_static_selectorELNS0_4arch9wavefront6targetE1EEEvT1_,"axG",@progbits,_ZN7rocprim17ROCPRIM_400000_NS6detail17trampoline_kernelINS0_14default_configENS1_25partition_config_selectorILNS1_17partition_subalgoE0ExNS0_10empty_typeEbEEZZNS1_14partition_implILS5_0ELb0ES3_jN6thrust23THRUST_200600_302600_NS6detail15normal_iteratorINSA_10device_ptrIxEEEEPS6_SG_NS0_5tupleIJNSA_16discard_iteratorINSA_11use_defaultEEESK_EEENSH_IJSG_SG_EEES6_PlJ7is_evenIxEEEE10hipError_tPvRmT3_T4_T5_T6_T7_T9_mT8_P12ihipStream_tbDpT10_ENKUlT_T0_E_clISt17integral_constantIbLb1EES19_EEDaS14_S15_EUlS14_E_NS1_11comp_targetILNS1_3genE5ELNS1_11target_archE942ELNS1_3gpuE9ELNS1_3repE0EEENS1_30default_config_static_selectorELNS0_4arch9wavefront6targetE1EEEvT1_,comdat
	.protected	_ZN7rocprim17ROCPRIM_400000_NS6detail17trampoline_kernelINS0_14default_configENS1_25partition_config_selectorILNS1_17partition_subalgoE0ExNS0_10empty_typeEbEEZZNS1_14partition_implILS5_0ELb0ES3_jN6thrust23THRUST_200600_302600_NS6detail15normal_iteratorINSA_10device_ptrIxEEEEPS6_SG_NS0_5tupleIJNSA_16discard_iteratorINSA_11use_defaultEEESK_EEENSH_IJSG_SG_EEES6_PlJ7is_evenIxEEEE10hipError_tPvRmT3_T4_T5_T6_T7_T9_mT8_P12ihipStream_tbDpT10_ENKUlT_T0_E_clISt17integral_constantIbLb1EES19_EEDaS14_S15_EUlS14_E_NS1_11comp_targetILNS1_3genE5ELNS1_11target_archE942ELNS1_3gpuE9ELNS1_3repE0EEENS1_30default_config_static_selectorELNS0_4arch9wavefront6targetE1EEEvT1_ ; -- Begin function _ZN7rocprim17ROCPRIM_400000_NS6detail17trampoline_kernelINS0_14default_configENS1_25partition_config_selectorILNS1_17partition_subalgoE0ExNS0_10empty_typeEbEEZZNS1_14partition_implILS5_0ELb0ES3_jN6thrust23THRUST_200600_302600_NS6detail15normal_iteratorINSA_10device_ptrIxEEEEPS6_SG_NS0_5tupleIJNSA_16discard_iteratorINSA_11use_defaultEEESK_EEENSH_IJSG_SG_EEES6_PlJ7is_evenIxEEEE10hipError_tPvRmT3_T4_T5_T6_T7_T9_mT8_P12ihipStream_tbDpT10_ENKUlT_T0_E_clISt17integral_constantIbLb1EES19_EEDaS14_S15_EUlS14_E_NS1_11comp_targetILNS1_3genE5ELNS1_11target_archE942ELNS1_3gpuE9ELNS1_3repE0EEENS1_30default_config_static_selectorELNS0_4arch9wavefront6targetE1EEEvT1_
	.globl	_ZN7rocprim17ROCPRIM_400000_NS6detail17trampoline_kernelINS0_14default_configENS1_25partition_config_selectorILNS1_17partition_subalgoE0ExNS0_10empty_typeEbEEZZNS1_14partition_implILS5_0ELb0ES3_jN6thrust23THRUST_200600_302600_NS6detail15normal_iteratorINSA_10device_ptrIxEEEEPS6_SG_NS0_5tupleIJNSA_16discard_iteratorINSA_11use_defaultEEESK_EEENSH_IJSG_SG_EEES6_PlJ7is_evenIxEEEE10hipError_tPvRmT3_T4_T5_T6_T7_T9_mT8_P12ihipStream_tbDpT10_ENKUlT_T0_E_clISt17integral_constantIbLb1EES19_EEDaS14_S15_EUlS14_E_NS1_11comp_targetILNS1_3genE5ELNS1_11target_archE942ELNS1_3gpuE9ELNS1_3repE0EEENS1_30default_config_static_selectorELNS0_4arch9wavefront6targetE1EEEvT1_
	.p2align	8
	.type	_ZN7rocprim17ROCPRIM_400000_NS6detail17trampoline_kernelINS0_14default_configENS1_25partition_config_selectorILNS1_17partition_subalgoE0ExNS0_10empty_typeEbEEZZNS1_14partition_implILS5_0ELb0ES3_jN6thrust23THRUST_200600_302600_NS6detail15normal_iteratorINSA_10device_ptrIxEEEEPS6_SG_NS0_5tupleIJNSA_16discard_iteratorINSA_11use_defaultEEESK_EEENSH_IJSG_SG_EEES6_PlJ7is_evenIxEEEE10hipError_tPvRmT3_T4_T5_T6_T7_T9_mT8_P12ihipStream_tbDpT10_ENKUlT_T0_E_clISt17integral_constantIbLb1EES19_EEDaS14_S15_EUlS14_E_NS1_11comp_targetILNS1_3genE5ELNS1_11target_archE942ELNS1_3gpuE9ELNS1_3repE0EEENS1_30default_config_static_selectorELNS0_4arch9wavefront6targetE1EEEvT1_,@function
_ZN7rocprim17ROCPRIM_400000_NS6detail17trampoline_kernelINS0_14default_configENS1_25partition_config_selectorILNS1_17partition_subalgoE0ExNS0_10empty_typeEbEEZZNS1_14partition_implILS5_0ELb0ES3_jN6thrust23THRUST_200600_302600_NS6detail15normal_iteratorINSA_10device_ptrIxEEEEPS6_SG_NS0_5tupleIJNSA_16discard_iteratorINSA_11use_defaultEEESK_EEENSH_IJSG_SG_EEES6_PlJ7is_evenIxEEEE10hipError_tPvRmT3_T4_T5_T6_T7_T9_mT8_P12ihipStream_tbDpT10_ENKUlT_T0_E_clISt17integral_constantIbLb1EES19_EEDaS14_S15_EUlS14_E_NS1_11comp_targetILNS1_3genE5ELNS1_11target_archE942ELNS1_3gpuE9ELNS1_3repE0EEENS1_30default_config_static_selectorELNS0_4arch9wavefront6targetE1EEEvT1_: ; @_ZN7rocprim17ROCPRIM_400000_NS6detail17trampoline_kernelINS0_14default_configENS1_25partition_config_selectorILNS1_17partition_subalgoE0ExNS0_10empty_typeEbEEZZNS1_14partition_implILS5_0ELb0ES3_jN6thrust23THRUST_200600_302600_NS6detail15normal_iteratorINSA_10device_ptrIxEEEEPS6_SG_NS0_5tupleIJNSA_16discard_iteratorINSA_11use_defaultEEESK_EEENSH_IJSG_SG_EEES6_PlJ7is_evenIxEEEE10hipError_tPvRmT3_T4_T5_T6_T7_T9_mT8_P12ihipStream_tbDpT10_ENKUlT_T0_E_clISt17integral_constantIbLb1EES19_EEDaS14_S15_EUlS14_E_NS1_11comp_targetILNS1_3genE5ELNS1_11target_archE942ELNS1_3gpuE9ELNS1_3repE0EEENS1_30default_config_static_selectorELNS0_4arch9wavefront6targetE1EEEvT1_
; %bb.0:
	s_load_dwordx2 s[2:3], s[0:1], 0x68
	s_load_dwordx4 s[20:23], s[0:1], 0x58
	s_load_dwordx2 s[24:25], s[0:1], 0x78
	v_cmp_eq_u32_e64 s[18:19], 0, v0
	s_and_saveexec_b64 s[4:5], s[18:19]
	s_cbranch_execz .LBB2596_4
; %bb.1:
	s_mov_b64 s[8:9], exec
	v_mbcnt_lo_u32_b32 v1, s8, 0
	v_mbcnt_hi_u32_b32 v1, s9, v1
	v_cmp_eq_u32_e32 vcc, 0, v1
                                        ; implicit-def: $vgpr2
	s_and_saveexec_b64 s[6:7], vcc
	s_cbranch_execz .LBB2596_3
; %bb.2:
	s_load_dwordx2 s[10:11], s[0:1], 0x88
	s_bcnt1_i32_b64 s8, s[8:9]
	v_mov_b32_e32 v2, 0
	v_mov_b32_e32 v3, s8
	s_waitcnt lgkmcnt(0)
	global_atomic_add v2, v2, v3, s[10:11] sc0
.LBB2596_3:
	s_or_b64 exec, exec, s[6:7]
	s_waitcnt vmcnt(0)
	v_readfirstlane_b32 s6, v2
	v_mov_b32_e32 v2, 0
	s_nop 0
	v_add_u32_e32 v1, s6, v1
	ds_write_b32 v2, v1
.LBB2596_4:
	s_or_b64 exec, exec, s[4:5]
	v_mov_b32_e32 v21, 0
	s_load_dwordx4 s[4:7], s[0:1], 0x8
	s_load_dword s8, s[0:1], 0x80
	s_waitcnt lgkmcnt(0)
	s_barrier
	ds_read_b32 v1, v21
	s_waitcnt lgkmcnt(0)
	s_barrier
	global_load_dwordx2 v[18:19], v21, s[22:23]
	s_lshl_b64 s[0:1], s[6:7], 3
	s_add_u32 s10, s4, s0
	s_movk_i32 s0, 0xe00
	v_mul_lo_u32 v20, v1, s0
	s_mul_i32 s0, s8, 0xe00
	s_addc_u32 s11, s5, s1
	s_add_i32 s1, s0, s6
	v_mov_b32_e32 v3, s3
	s_add_i32 s3, s8, -1
	s_sub_i32 s4, s2, s1
	s_add_u32 s0, s6, s0
	v_readfirstlane_b32 s30, v1
	s_addc_u32 s1, s7, 0
	s_cmp_eq_u32 s30, s3
	v_mov_b32_e32 v2, s2
	s_cselect_b64 s[22:23], -1, 0
	s_cmp_lg_u32 s30, s3
	v_cmp_lt_u64_e32 vcc, s[0:1], v[2:3]
	s_cselect_b64 s[0:1], -1, 0
	s_or_b64 s[0:1], vcc, s[0:1]
	v_lshlrev_b64 v[2:3], 3, v[20:21]
	v_lshl_add_u64 v[22:23], s[10:11], 0, v[2:3]
	s_mov_b64 s[2:3], -1
	s_and_b64 vcc, exec, s[0:1]
	v_lshlrev_b32_e32 v20, 3, v0
	s_cbranch_vccz .LBB2596_6
; %bb.5:
	v_lshl_add_u64 v[2:3], v[22:23], 0, v[20:21]
	v_add_co_u32_e32 v4, vcc, 0x1000, v2
	s_mov_b64 s[2:3], 0
	s_nop 0
	v_addc_co_u32_e32 v5, vcc, 0, v3, vcc
	v_add_co_u32_e32 v6, vcc, 0x2000, v2
	s_nop 1
	v_addc_co_u32_e32 v7, vcc, 0, v3, vcc
	v_add_co_u32_e32 v8, vcc, 0x3000, v2
	s_nop 1
	v_addc_co_u32_e32 v9, vcc, 0, v3, vcc
	flat_load_dwordx2 v[10:11], v[2:3]
	flat_load_dwordx2 v[12:13], v[4:5]
	flat_load_dwordx2 v[14:15], v[6:7]
	flat_load_dwordx2 v[16:17], v[8:9]
	v_add_co_u32_e32 v4, vcc, 0x4000, v2
	s_nop 1
	v_addc_co_u32_e32 v5, vcc, 0, v3, vcc
	v_add_co_u32_e32 v6, vcc, 0x5000, v2
	s_nop 1
	v_addc_co_u32_e32 v7, vcc, 0, v3, vcc
	;; [unrolled: 3-line block ×3, first 2 shown]
	flat_load_dwordx2 v[8:9], v[4:5]
	flat_load_dwordx2 v[24:25], v[6:7]
	;; [unrolled: 1-line block ×3, first 2 shown]
	s_waitcnt vmcnt(0) lgkmcnt(0)
	ds_write2st64_b64 v20, v[10:11], v[12:13] offset1:8
	ds_write2st64_b64 v20, v[14:15], v[16:17] offset0:16 offset1:24
	ds_write2st64_b64 v20, v[8:9], v[24:25] offset0:32 offset1:40
	ds_write_b64 v20, v[26:27] offset:24576
	s_waitcnt lgkmcnt(0)
	s_barrier
.LBB2596_6:
	s_andn2_b64 vcc, exec, s[2:3]
	s_addk_i32 s4, 0xe00
	s_cbranch_vccnz .LBB2596_22
; %bb.7:
	v_cmp_gt_u32_e32 vcc, s4, v0
                                        ; implicit-def: $vgpr2_vgpr3_vgpr4_vgpr5_vgpr6_vgpr7_vgpr8_vgpr9_vgpr10_vgpr11_vgpr12_vgpr13_vgpr14_vgpr15_vgpr16_vgpr17
	s_and_saveexec_b64 s[2:3], vcc
	s_cbranch_execz .LBB2596_9
; %bb.8:
	v_mov_b32_e32 v21, 0
	v_lshl_add_u64 v[2:3], v[22:23], 0, v[20:21]
	flat_load_dwordx2 v[2:3], v[2:3]
.LBB2596_9:
	s_or_b64 exec, exec, s[2:3]
	v_or_b32_e32 v1, 0x200, v0
	v_cmp_gt_u32_e32 vcc, s4, v1
	s_and_saveexec_b64 s[2:3], vcc
	s_cbranch_execz .LBB2596_11
; %bb.10:
	v_lshlrev_b32_e32 v4, 3, v1
	v_mov_b32_e32 v5, 0
	v_lshl_add_u64 v[4:5], v[22:23], 0, v[4:5]
	flat_load_dwordx2 v[4:5], v[4:5]
.LBB2596_11:
	s_or_b64 exec, exec, s[2:3]
	v_or_b32_e32 v1, 0x400, v0
	v_cmp_gt_u32_e32 vcc, s4, v1
	s_and_saveexec_b64 s[2:3], vcc
	s_cbranch_execz .LBB2596_13
; %bb.12:
	v_lshlrev_b32_e32 v6, 3, v1
	v_mov_b32_e32 v7, 0
	v_lshl_add_u64 v[6:7], v[22:23], 0, v[6:7]
	flat_load_dwordx2 v[6:7], v[6:7]
.LBB2596_13:
	;; [unrolled: 11-line block ×6, first 2 shown]
	s_or_b64 exec, exec, s[2:3]
	s_waitcnt vmcnt(0) lgkmcnt(0)
	ds_write2st64_b64 v20, v[2:3], v[4:5] offset1:8
	ds_write2st64_b64 v20, v[6:7], v[8:9] offset0:16 offset1:24
	ds_write2st64_b64 v20, v[10:11], v[12:13] offset0:32 offset1:40
	ds_write_b64 v20, v[14:15] offset:24576
	s_waitcnt lgkmcnt(0)
	s_barrier
.LBB2596_22:
	v_mul_u32_u24_e32 v1, 7, v0
	v_lshlrev_b32_e32 v33, 3, v1
	ds_read2_b64 v[10:13], v33 offset1:1
	ds_read2_b64 v[6:9], v33 offset0:2 offset1:3
	ds_read2_b64 v[2:5], v33 offset0:4 offset1:5
	ds_read_b64 v[14:15], v33 offset:48
	s_andn2_b64 vcc, exec, s[0:1]
	s_waitcnt lgkmcnt(3)
	v_xor_b32_e32 v24, -1, v10
	v_xor_b32_e32 v23, -1, v12
	s_waitcnt lgkmcnt(2)
	v_xor_b32_e32 v22, -1, v6
	v_xor_b32_e32 v21, -1, v8
	;; [unrolled: 3-line block ×3, first 2 shown]
	s_waitcnt lgkmcnt(0)
	v_xor_b32_e32 v16, -1, v14
	s_barrier
	s_cbranch_vccnz .LBB2596_24
; %bb.23:
	v_mov_b32_e32 v26, 1
	v_and_b32_e32 v25, 1, v24
	v_and_b32_sdwa v27, v23, v26 dst_sel:BYTE_1 dst_unused:UNUSED_PAD src0_sel:DWORD src1_sel:DWORD
	v_and_b32_e32 v31, 1, v22
	v_and_b32_sdwa v26, v21, v26 dst_sel:BYTE_1 dst_unused:UNUSED_PAD src0_sel:DWORD src1_sel:DWORD
	v_or_b32_e32 v25, v25, v27
	v_or_b32_sdwa v26, v31, v26 dst_sel:WORD_1 dst_unused:UNUSED_PAD src0_sel:DWORD src1_sel:DWORD
	v_and_b32_e32 v30, 1, v20
	v_and_b32_e32 v29, 1, v17
	;; [unrolled: 1-line block ×3, first 2 shown]
	v_or_b32_sdwa v31, v25, v26 dst_sel:DWORD dst_unused:UNUSED_PAD src0_sel:WORD_0 src1_sel:DWORD
	s_cbranch_execz .LBB2596_25
	s_branch .LBB2596_26
.LBB2596_24:
                                        ; implicit-def: $vgpr28
                                        ; implicit-def: $vgpr29
                                        ; implicit-def: $vgpr30
                                        ; implicit-def: $vgpr31
.LBB2596_25:
	v_add_u32_e32 v25, 1, v1
	v_cmp_gt_u32_e32 vcc, s4, v1
	v_add_u32_e32 v26, 2, v1
	v_add_u32_e32 v27, 3, v1
	v_cndmask_b32_e64 v30, 0, 1, vcc
	v_cmp_gt_u32_e32 vcc, s4, v25
	v_add_u32_e32 v28, 4, v1
	v_add_u32_e32 v29, 5, v1
	v_cndmask_b32_e64 v25, 0, 1, vcc
	v_cmp_gt_u32_e32 vcc, s4, v26
	v_and_b32_sdwa v23, v25, v23 dst_sel:BYTE_1 dst_unused:UNUSED_PAD src0_sel:DWORD src1_sel:DWORD
	v_add_u32_e32 v31, 6, v1
	v_cndmask_b32_e64 v25, 0, 1, vcc
	v_cmp_gt_u32_e32 vcc, s4, v27
	v_and_b32_e32 v22, v25, v22
	v_and_b32_e32 v24, v30, v24
	v_cndmask_b32_e64 v25, 0, 1, vcc
	v_cmp_gt_u32_e32 vcc, s4, v28
	v_and_b32_sdwa v21, v25, v21 dst_sel:BYTE_1 dst_unused:UNUSED_PAD src0_sel:DWORD src1_sel:DWORD
	s_nop 0
	v_cndmask_b32_e64 v25, 0, 1, vcc
	v_cmp_gt_u32_e32 vcc, s4, v29
	v_and_b32_e32 v30, v25, v20
	s_nop 0
	v_cndmask_b32_e64 v20, 0, 1, vcc
	v_cmp_gt_u32_e32 vcc, s4, v31
	v_and_b32_e32 v29, v20, v17
	s_nop 0
	v_cndmask_b32_e64 v17, 0, 1, vcc
	v_and_b32_e32 v28, v17, v16
	v_or_b32_e32 v16, v24, v23
	v_or_b32_sdwa v17, v22, v21 dst_sel:WORD_1 dst_unused:UNUSED_PAD src0_sel:DWORD src1_sel:DWORD
	s_nop 0
	v_or_b32_sdwa v31, v16, v17 dst_sel:DWORD dst_unused:UNUSED_PAD src0_sel:WORD_0 src1_sel:DWORD
.LBB2596_26:
	v_and_b32_e32 v34, 0xff, v31
	v_bfe_u32 v35, v31, 8, 8
	v_bfe_u32 v36, v31, 16, 8
	v_lshrrev_b32_e32 v32, 24, v31
	v_and_b32_e32 v37, 0xff, v30
	v_add3_u32 v17, v35, v34, v36
	v_and_b32_e32 v38, 0xff, v29
	v_and_b32_e32 v16, 0xff, v28
	v_add3_u32 v17, v17, v32, v37
	v_add3_u32 v41, v17, v38, v16
	v_mbcnt_lo_u32_b32 v16, -1, 0
	v_mbcnt_hi_u32_b32 v39, -1, v16
	v_and_b32_e32 v16, 15, v39
	v_cmp_eq_u32_e64 s[14:15], 0, v16
	v_cmp_lt_u32_e64 s[12:13], 1, v16
	v_cmp_lt_u32_e64 s[10:11], 3, v16
	;; [unrolled: 1-line block ×3, first 2 shown]
	v_and_b32_e32 v16, 16, v39
	v_cmp_eq_u32_e64 s[6:7], 0, v16
	v_or_b32_e32 v16, 63, v0
	s_cmp_lg_u32 s30, 0
	v_cmp_lt_u32_e64 s[2:3], 31, v39
	v_lshrrev_b32_e32 v40, 6, v0
	v_cmp_eq_u32_e64 s[4:5], v16, v0
	s_cbranch_scc0 .LBB2596_57
; %bb.27:
	v_mov_b32_dpp v16, v41 row_shr:1 row_mask:0xf bank_mask:0xf
	v_cndmask_b32_e64 v16, v16, 0, s[14:15]
	v_add_u32_e32 v16, v16, v41
	s_nop 1
	v_mov_b32_dpp v17, v16 row_shr:2 row_mask:0xf bank_mask:0xf
	v_cndmask_b32_e64 v17, 0, v17, s[12:13]
	v_add_u32_e32 v16, v16, v17
	s_nop 1
	;; [unrolled: 4-line block ×4, first 2 shown]
	v_mov_b32_dpp v17, v16 row_bcast:15 row_mask:0xf bank_mask:0xf
	v_cndmask_b32_e64 v17, v17, 0, s[6:7]
	v_add_u32_e32 v16, v16, v17
	s_nop 1
	v_mov_b32_dpp v17, v16 row_bcast:31 row_mask:0xf bank_mask:0xf
	v_cndmask_b32_e64 v17, 0, v17, s[2:3]
	v_add_u32_e32 v16, v16, v17
	s_and_saveexec_b64 s[0:1], s[4:5]
	s_cbranch_execz .LBB2596_29
; %bb.28:
	v_lshlrev_b32_e32 v17, 2, v40
	ds_write_b32 v17, v16
.LBB2596_29:
	s_or_b64 exec, exec, s[0:1]
	v_cmp_gt_u32_e32 vcc, 8, v0
	s_waitcnt lgkmcnt(0)
	s_barrier
	s_and_saveexec_b64 s[0:1], vcc
	s_cbranch_execz .LBB2596_31
; %bb.30:
	v_lshlrev_b32_e32 v17, 2, v0
	ds_read_b32 v20, v17
	v_and_b32_e32 v21, 7, v39
	v_cmp_ne_u32_e32 vcc, 0, v21
	s_waitcnt lgkmcnt(0)
	v_mov_b32_dpp v22, v20 row_shr:1 row_mask:0xf bank_mask:0xf
	v_cndmask_b32_e32 v22, 0, v22, vcc
	v_add_u32_e32 v20, v22, v20
	v_cmp_lt_u32_e32 vcc, 1, v21
	s_nop 0
	v_mov_b32_dpp v22, v20 row_shr:2 row_mask:0xf bank_mask:0xf
	v_cndmask_b32_e32 v22, 0, v22, vcc
	v_add_u32_e32 v20, v20, v22
	v_cmp_lt_u32_e32 vcc, 3, v21
	s_nop 0
	v_mov_b32_dpp v22, v20 row_shr:4 row_mask:0xf bank_mask:0xf
	v_cndmask_b32_e32 v21, 0, v22, vcc
	v_add_u32_e32 v20, v20, v21
	ds_write_b32 v17, v20
.LBB2596_31:
	s_or_b64 exec, exec, s[0:1]
	v_cmp_gt_u32_e32 vcc, 64, v0
	v_cmp_lt_u32_e64 s[0:1], 63, v0
	s_waitcnt lgkmcnt(0)
	s_barrier
	s_waitcnt lgkmcnt(0)
                                        ; implicit-def: $vgpr42
	s_and_saveexec_b64 s[16:17], s[0:1]
	s_cbranch_execz .LBB2596_33
; %bb.32:
	v_lshl_add_u32 v17, v40, 2, -4
	ds_read_b32 v42, v17
	s_waitcnt lgkmcnt(0)
	v_add_u32_e32 v16, v42, v16
.LBB2596_33:
	s_or_b64 exec, exec, s[16:17]
	v_add_u32_e32 v17, -1, v39
	v_and_b32_e32 v20, 64, v39
	v_cmp_lt_i32_e64 s[0:1], v17, v20
	v_cmp_eq_u32_e64 s[16:17], 0, v39
	s_nop 0
	v_cndmask_b32_e64 v17, v17, v39, s[0:1]
	v_lshlrev_b32_e32 v17, 2, v17
	ds_bpermute_b32 v43, v17, v16
	s_and_saveexec_b64 s[0:1], vcc
	s_cbranch_execz .LBB2596_56
; %bb.34:
	v_mov_b32_e32 v27, 0
	ds_read_b32 v16, v27 offset:28
	s_and_saveexec_b64 s[26:27], s[16:17]
	s_cbranch_execz .LBB2596_36
; %bb.35:
	s_add_i32 s28, s30, 64
	s_mov_b32 s29, 0
	s_lshl_b64 s[28:29], s[28:29], 3
	s_add_u32 s28, s24, s28
	v_mov_b32_e32 v17, 1
	s_addc_u32 s29, s25, s29
	s_waitcnt lgkmcnt(0)
	global_store_dwordx2 v27, v[16:17], s[28:29] sc1
.LBB2596_36:
	s_or_b64 exec, exec, s[26:27]
	v_xad_u32 v20, v39, -1, s30
	v_add_u32_e32 v26, 64, v20
	v_lshl_add_u64 v[22:23], v[26:27], 3, s[24:25]
	global_load_dwordx2 v[24:25], v[22:23], off sc1
	s_waitcnt vmcnt(0)
	v_cmp_eq_u16_sdwa s[28:29], v25, v27 src0_sel:BYTE_0 src1_sel:DWORD
	s_and_saveexec_b64 s[26:27], s[28:29]
	s_cbranch_execz .LBB2596_42
; %bb.37:
	s_mov_b32 s31, 1
	s_mov_b64 s[28:29], 0
	v_mov_b32_e32 v17, 0
.LBB2596_38:                            ; =>This Loop Header: Depth=1
                                        ;     Child Loop BB2596_39 Depth 2
	s_max_u32 s33, s31, 1
.LBB2596_39:                            ;   Parent Loop BB2596_38 Depth=1
                                        ; =>  This Inner Loop Header: Depth=2
	s_add_i32 s33, s33, -1
	s_cmp_eq_u32 s33, 0
	s_sleep 1
	s_cbranch_scc0 .LBB2596_39
; %bb.40:                               ;   in Loop: Header=BB2596_38 Depth=1
	global_load_dwordx2 v[24:25], v[22:23], off sc1
	s_cmp_lt_u32 s31, 32
	s_cselect_b64 s[34:35], -1, 0
	s_cmp_lg_u64 s[34:35], 0
	s_addc_u32 s31, s31, 0
	s_waitcnt vmcnt(0)
	v_cmp_ne_u16_sdwa s[34:35], v25, v17 src0_sel:BYTE_0 src1_sel:DWORD
	s_or_b64 s[28:29], s[34:35], s[28:29]
	s_andn2_b64 exec, exec, s[28:29]
	s_cbranch_execnz .LBB2596_38
; %bb.41:
	s_or_b64 exec, exec, s[28:29]
.LBB2596_42:
	s_or_b64 exec, exec, s[26:27]
	v_and_b32_e32 v45, 63, v39
	v_mov_b32_e32 v44, 2
	v_cmp_ne_u32_e32 vcc, 63, v45
	v_cmp_eq_u16_sdwa s[26:27], v25, v44 src0_sel:BYTE_0 src1_sel:DWORD
	v_lshlrev_b64 v[22:23], v39, -1
	v_addc_co_u32_e32 v26, vcc, 0, v39, vcc
	v_and_b32_e32 v17, s27, v23
	v_lshlrev_b32_e32 v46, 2, v26
	v_or_b32_e32 v17, 0x80000000, v17
	ds_bpermute_b32 v26, v46, v24
	v_and_b32_e32 v21, s26, v22
	v_ffbl_b32_e32 v17, v17
	v_add_u32_e32 v17, 32, v17
	v_ffbl_b32_e32 v21, v21
	v_min_u32_e32 v17, v21, v17
	v_cmp_lt_u32_e32 vcc, v45, v17
	v_add_u32_e32 v48, 2, v45
	v_add_u32_e32 v50, 4, v45
	s_waitcnt lgkmcnt(0)
	v_cndmask_b32_e32 v21, 0, v26, vcc
	v_cmp_gt_u32_e32 vcc, 62, v45
	v_add_u32_e32 v21, v21, v24
	v_add_u32_e32 v52, 8, v45
	v_cndmask_b32_e64 v24, 0, 1, vcc
	v_lshlrev_b32_e32 v24, 1, v24
	v_add_lshl_u32 v47, v24, v39, 2
	ds_bpermute_b32 v24, v47, v21
	v_cmp_le_u32_e32 vcc, v48, v17
	v_add_u32_e32 v54, 16, v45
	v_add_u32_e32 v56, 32, v45
	s_waitcnt lgkmcnt(0)
	v_cndmask_b32_e32 v24, 0, v24, vcc
	v_cmp_gt_u32_e32 vcc, 60, v45
	v_add_u32_e32 v21, v21, v24
	s_nop 0
	v_cndmask_b32_e64 v24, 0, 1, vcc
	v_lshlrev_b32_e32 v24, 2, v24
	v_add_lshl_u32 v49, v24, v39, 2
	ds_bpermute_b32 v24, v49, v21
	v_cmp_le_u32_e32 vcc, v50, v17
	s_waitcnt lgkmcnt(0)
	s_nop 0
	v_cndmask_b32_e32 v24, 0, v24, vcc
	v_cmp_gt_u32_e32 vcc, 56, v45
	v_add_u32_e32 v21, v21, v24
	s_nop 0
	v_cndmask_b32_e64 v24, 0, 1, vcc
	v_lshlrev_b32_e32 v24, 3, v24
	v_add_lshl_u32 v51, v24, v39, 2
	ds_bpermute_b32 v24, v51, v21
	v_cmp_le_u32_e32 vcc, v52, v17
	s_waitcnt lgkmcnt(0)
	s_nop 0
	;; [unrolled: 11-line block ×4, first 2 shown]
	v_cndmask_b32_e32 v17, 0, v24, vcc
	v_add_u32_e32 v24, v21, v17
	v_mov_b32_e32 v21, 0
	s_branch .LBB2596_44
.LBB2596_43:                            ;   in Loop: Header=BB2596_44 Depth=1
	s_or_b64 exec, exec, s[26:27]
	v_cmp_eq_u16_sdwa s[26:27], v25, v44 src0_sel:BYTE_0 src1_sel:DWORD
	ds_bpermute_b32 v57, v46, v24
	v_subrev_u32_e32 v20, 64, v20
	v_and_b32_e32 v26, s27, v23
	v_or_b32_e32 v26, 0x80000000, v26
	v_and_b32_e32 v27, s26, v22
	v_ffbl_b32_e32 v26, v26
	v_add_u32_e32 v26, 32, v26
	v_ffbl_b32_e32 v27, v27
	v_min_u32_e32 v26, v27, v26
	v_cmp_lt_u32_e32 vcc, v45, v26
	s_waitcnt lgkmcnt(0)
	s_nop 0
	v_cndmask_b32_e32 v27, 0, v57, vcc
	v_add_u32_e32 v24, v27, v24
	ds_bpermute_b32 v27, v47, v24
	v_cmp_le_u32_e32 vcc, v48, v26
	s_waitcnt lgkmcnt(0)
	s_nop 0
	v_cndmask_b32_e32 v27, 0, v27, vcc
	v_add_u32_e32 v24, v24, v27
	ds_bpermute_b32 v27, v49, v24
	v_cmp_le_u32_e32 vcc, v50, v26
	;; [unrolled: 6-line block ×5, first 2 shown]
	s_waitcnt lgkmcnt(0)
	s_nop 0
	v_cndmask_b32_e32 v26, 0, v27, vcc
	v_add3_u32 v24, v26, v17, v24
.LBB2596_44:                            ; =>This Loop Header: Depth=1
                                        ;     Child Loop BB2596_47 Depth 2
                                        ;       Child Loop BB2596_48 Depth 3
	v_cmp_ne_u16_sdwa s[26:27], v25, v44 src0_sel:BYTE_0 src1_sel:DWORD
	s_nop 1
	v_cndmask_b32_e64 v17, 0, 1, s[26:27]
	;;#ASMSTART
	;;#ASMEND
	s_nop 0
	v_cmp_ne_u32_e32 vcc, 0, v17
	s_cmp_lg_u64 vcc, exec
	v_mov_b32_e32 v17, v24
	s_cbranch_scc1 .LBB2596_51
; %bb.45:                               ;   in Loop: Header=BB2596_44 Depth=1
	v_lshl_add_u64 v[26:27], v[20:21], 3, s[24:25]
	global_load_dwordx2 v[24:25], v[26:27], off sc1
	s_waitcnt vmcnt(0)
	v_cmp_eq_u16_sdwa s[28:29], v25, v21 src0_sel:BYTE_0 src1_sel:DWORD
	s_and_saveexec_b64 s[26:27], s[28:29]
	s_cbranch_execz .LBB2596_43
; %bb.46:                               ;   in Loop: Header=BB2596_44 Depth=1
	s_mov_b32 s31, 1
	s_mov_b64 s[28:29], 0
.LBB2596_47:                            ;   Parent Loop BB2596_44 Depth=1
                                        ; =>  This Loop Header: Depth=2
                                        ;       Child Loop BB2596_48 Depth 3
	s_max_u32 s33, s31, 1
.LBB2596_48:                            ;   Parent Loop BB2596_44 Depth=1
                                        ;     Parent Loop BB2596_47 Depth=2
                                        ; =>    This Inner Loop Header: Depth=3
	s_add_i32 s33, s33, -1
	s_cmp_eq_u32 s33, 0
	s_sleep 1
	s_cbranch_scc0 .LBB2596_48
; %bb.49:                               ;   in Loop: Header=BB2596_47 Depth=2
	global_load_dwordx2 v[24:25], v[26:27], off sc1
	s_cmp_lt_u32 s31, 32
	s_cselect_b64 s[34:35], -1, 0
	s_cmp_lg_u64 s[34:35], 0
	s_addc_u32 s31, s31, 0
	s_waitcnt vmcnt(0)
	v_cmp_ne_u16_sdwa s[34:35], v25, v21 src0_sel:BYTE_0 src1_sel:DWORD
	s_or_b64 s[28:29], s[34:35], s[28:29]
	s_andn2_b64 exec, exec, s[28:29]
	s_cbranch_execnz .LBB2596_47
; %bb.50:                               ;   in Loop: Header=BB2596_44 Depth=1
	s_or_b64 exec, exec, s[28:29]
	s_branch .LBB2596_43
.LBB2596_51:                            ;   in Loop: Header=BB2596_44 Depth=1
                                        ; implicit-def: $vgpr24
                                        ; implicit-def: $vgpr25
	s_cbranch_execz .LBB2596_44
; %bb.52:
	s_and_saveexec_b64 s[26:27], s[16:17]
	s_cbranch_execz .LBB2596_54
; %bb.53:
	s_add_i32 s28, s30, 64
	s_mov_b32 s29, 0
	s_lshl_b64 s[28:29], s[28:29], 3
	s_add_u32 s28, s24, s28
	v_add_u32_e32 v20, v17, v16
	v_mov_b32_e32 v21, 2
	s_addc_u32 s29, s25, s29
	v_mov_b32_e32 v22, 0
	global_store_dwordx2 v22, v[20:21], s[28:29] sc1
	ds_write_b64 v22, v[16:17] offset:28672
.LBB2596_54:
	s_or_b64 exec, exec, s[26:27]
	s_and_b64 exec, exec, s[18:19]
	s_cbranch_execz .LBB2596_56
; %bb.55:
	v_mov_b32_e32 v16, 0
	ds_write_b32 v16, v17 offset:28
.LBB2596_56:
	s_or_b64 exec, exec, s[0:1]
	v_mov_b32_e32 v16, 0
	s_waitcnt lgkmcnt(0)
	s_barrier
	ds_read_b32 v17, v16 offset:28
	v_cndmask_b32_e64 v20, v43, v42, s[16:17]
	v_cndmask_b32_e64 v20, v20, 0, s[18:19]
	s_waitcnt lgkmcnt(0)
	s_barrier
	v_add_u32_e32 v26, v17, v20
	v_add_u32_e32 v25, v26, v34
	;; [unrolled: 1-line block ×3, first 2 shown]
	ds_read_b64 v[16:17], v16 offset:28672
	v_add_u32_e32 v23, v24, v36
	v_add_u32_e32 v22, v23, v32
	;; [unrolled: 1-line block ×4, first 2 shown]
	s_branch .LBB2596_67
.LBB2596_57:
                                        ; implicit-def: $vgpr17
                                        ; implicit-def: $vgpr20
                                        ; implicit-def: $vgpr21
                                        ; implicit-def: $vgpr22
                                        ; implicit-def: $vgpr23
                                        ; implicit-def: $vgpr24
                                        ; implicit-def: $vgpr25
                                        ; implicit-def: $vgpr26
	s_cbranch_execz .LBB2596_67
; %bb.58:
	s_waitcnt lgkmcnt(0)
	v_mov_b32_dpp v16, v41 row_shr:1 row_mask:0xf bank_mask:0xf
	v_cndmask_b32_e64 v16, v16, 0, s[14:15]
	v_add_u32_e32 v16, v16, v41
	s_nop 1
	v_mov_b32_dpp v17, v16 row_shr:2 row_mask:0xf bank_mask:0xf
	v_cndmask_b32_e64 v17, 0, v17, s[12:13]
	v_add_u32_e32 v16, v16, v17
	s_nop 1
	;; [unrolled: 4-line block ×4, first 2 shown]
	v_mov_b32_dpp v17, v16 row_bcast:15 row_mask:0xf bank_mask:0xf
	v_cndmask_b32_e64 v17, v17, 0, s[6:7]
	v_add_u32_e32 v16, v16, v17
	s_nop 1
	v_mov_b32_dpp v17, v16 row_bcast:31 row_mask:0xf bank_mask:0xf
	v_cndmask_b32_e64 v17, 0, v17, s[2:3]
	v_add_u32_e32 v16, v16, v17
	s_and_saveexec_b64 s[0:1], s[4:5]
	s_cbranch_execz .LBB2596_60
; %bb.59:
	v_lshlrev_b32_e32 v17, 2, v40
	ds_write_b32 v17, v16
.LBB2596_60:
	s_or_b64 exec, exec, s[0:1]
	v_cmp_gt_u32_e32 vcc, 8, v0
	s_waitcnt lgkmcnt(0)
	s_barrier
	s_and_saveexec_b64 s[0:1], vcc
	s_cbranch_execz .LBB2596_62
; %bb.61:
	s_movk_i32 s2, 0xffcc
	v_mad_i32_i24 v17, v0, s2, v33
	ds_read_b32 v20, v17
	v_and_b32_e32 v21, 7, v39
	v_cmp_ne_u32_e32 vcc, 0, v21
	s_waitcnt lgkmcnt(0)
	v_mov_b32_dpp v22, v20 row_shr:1 row_mask:0xf bank_mask:0xf
	v_cndmask_b32_e32 v22, 0, v22, vcc
	v_add_u32_e32 v20, v22, v20
	v_cmp_lt_u32_e32 vcc, 1, v21
	s_nop 0
	v_mov_b32_dpp v22, v20 row_shr:2 row_mask:0xf bank_mask:0xf
	v_cndmask_b32_e32 v22, 0, v22, vcc
	v_add_u32_e32 v20, v20, v22
	v_cmp_lt_u32_e32 vcc, 3, v21
	s_nop 0
	v_mov_b32_dpp v22, v20 row_shr:4 row_mask:0xf bank_mask:0xf
	v_cndmask_b32_e32 v21, 0, v22, vcc
	v_add_u32_e32 v20, v20, v21
	ds_write_b32 v17, v20
.LBB2596_62:
	s_or_b64 exec, exec, s[0:1]
	v_cmp_lt_u32_e32 vcc, 63, v0
	v_mov_b32_e32 v17, 0
	v_mov_b32_e32 v0, 0
	s_waitcnt lgkmcnt(0)
	s_barrier
	s_and_saveexec_b64 s[0:1], vcc
	s_cbranch_execz .LBB2596_64
; %bb.63:
	v_lshl_add_u32 v0, v40, 2, -4
	ds_read_b32 v0, v0
.LBB2596_64:
	s_or_b64 exec, exec, s[0:1]
	v_add_u32_e32 v20, -1, v39
	v_and_b32_e32 v21, 64, v39
	v_cmp_lt_i32_e32 vcc, v20, v21
	s_waitcnt lgkmcnt(0)
	v_add_u32_e32 v16, v0, v16
	v_cndmask_b32_e32 v20, v20, v39, vcc
	v_lshlrev_b32_e32 v20, 2, v20
	ds_bpermute_b32 v20, v20, v16
	ds_read_b32 v16, v17 offset:28
	s_and_saveexec_b64 s[0:1], s[18:19]
	s_cbranch_execz .LBB2596_66
; %bb.65:
	v_mov_b32_e32 v21, 0
	v_mov_b32_e32 v17, 2
	s_waitcnt lgkmcnt(0)
	global_store_dwordx2 v21, v[16:17], s[24:25] offset:512 sc1
.LBB2596_66:
	s_or_b64 exec, exec, s[0:1]
	v_cmp_eq_u32_e32 vcc, 0, v39
	v_mov_b32_e32 v17, 0
	s_waitcnt lgkmcnt(0)
	v_cndmask_b32_e32 v0, v20, v0, vcc
	v_cndmask_b32_e64 v26, v0, 0, s[18:19]
	v_add_u32_e32 v25, v26, v34
	v_add_u32_e32 v24, v25, v35
	;; [unrolled: 1-line block ×6, first 2 shown]
	s_barrier
.LBB2596_67:
	s_waitcnt lgkmcnt(0)
	v_add_u32_e32 v1, v16, v1
	v_sub_u32_e32 v26, v26, v17
	v_and_b32_e32 v33, 1, v31
	v_sub_u32_e32 v27, v1, v26
	v_cmp_eq_u32_e32 vcc, 1, v33
	v_lshrrev_b32_e32 v0, 8, v31
	v_and_b32_e32 v0, 1, v0
	v_cndmask_b32_e32 v26, v27, v26, vcc
	v_lshlrev_b32_e32 v26, 3, v26
	ds_write_b64 v26, v[10:11]
	v_sub_u32_e32 v10, v25, v17
	v_sub_u32_e32 v11, v1, v10
	v_add_u32_e32 v11, 1, v11
	v_cmp_eq_u32_e32 vcc, 1, v0
	s_and_b64 s[0:1], s[18:19], s[22:23]
	s_nop 0
	v_cndmask_b32_e32 v0, v11, v10, vcc
	v_lshlrev_b32_e32 v0, 3, v0
	ds_write_b64 v0, v[12:13]
	v_sub_u32_e32 v0, v24, v17
	v_mov_b32_e32 v11, 1
	v_sub_u32_e32 v10, v1, v0
	v_and_b32_sdwa v11, v11, v31 dst_sel:DWORD dst_unused:UNUSED_PAD src0_sel:DWORD src1_sel:WORD_1
	v_add_u32_e32 v10, 2, v10
	v_cmp_eq_u32_e32 vcc, 1, v11
	s_nop 1
	v_cndmask_b32_e32 v0, v10, v0, vcc
	v_lshlrev_b32_e32 v0, 3, v0
	ds_write_b64 v0, v[6:7]
	v_sub_u32_e32 v0, v23, v17
	v_sub_u32_e32 v6, v1, v0
	v_and_b32_e32 v7, 1, v32
	v_add_u32_e32 v6, 3, v6
	v_cmp_eq_u32_e32 vcc, 1, v7
	v_and_b32_e32 v7, 1, v30
	s_nop 0
	v_cndmask_b32_e32 v0, v6, v0, vcc
	v_lshlrev_b32_e32 v0, 3, v0
	ds_write_b64 v0, v[8:9]
	v_sub_u32_e32 v0, v22, v17
	v_sub_u32_e32 v6, v1, v0
	v_add_u32_e32 v6, 4, v6
	v_cmp_eq_u32_e32 vcc, 1, v7
	s_nop 1
	v_cndmask_b32_e32 v0, v6, v0, vcc
	v_lshlrev_b32_e32 v0, 3, v0
	ds_write_b64 v0, v[2:3]
	v_sub_u32_e32 v0, v21, v17
	v_sub_u32_e32 v2, v1, v0
	v_and_b32_e32 v3, 1, v29
	v_add_u32_e32 v2, 5, v2
	v_cmp_eq_u32_e32 vcc, 1, v3
	s_nop 1
	v_cndmask_b32_e32 v0, v2, v0, vcc
	v_lshlrev_b32_e32 v0, 3, v0
	ds_write_b64 v0, v[4:5]
	v_sub_u32_e32 v0, v20, v17
	v_sub_u32_e32 v1, v1, v0
	v_and_b32_e32 v2, 1, v28
	v_add_u32_e32 v1, 6, v1
	v_cmp_eq_u32_e32 vcc, 1, v2
	s_nop 1
	v_cndmask_b32_e32 v0, v1, v0, vcc
	v_lshlrev_b32_e32 v0, 3, v0
	ds_write_b64 v0, v[14:15]
	s_waitcnt lgkmcnt(0)
	s_barrier
	s_and_saveexec_b64 s[2:3], s[0:1]
	s_cbranch_execz .LBB2596_69
; %bb.68:
	v_mov_b32_e32 v1, 0
	v_mov_b32_e32 v0, v16
	s_waitcnt vmcnt(0)
	v_lshl_add_u64 v[2:3], v[18:19], 0, v[0:1]
	v_mov_b32_e32 v0, v17
	v_lshl_add_u64 v[2:3], v[2:3], 0, v[0:1]
	global_store_dwordx2 v1, v[2:3], s[20:21]
.LBB2596_69:
	s_endpgm
	.section	.rodata,"a",@progbits
	.p2align	6, 0x0
	.amdhsa_kernel _ZN7rocprim17ROCPRIM_400000_NS6detail17trampoline_kernelINS0_14default_configENS1_25partition_config_selectorILNS1_17partition_subalgoE0ExNS0_10empty_typeEbEEZZNS1_14partition_implILS5_0ELb0ES3_jN6thrust23THRUST_200600_302600_NS6detail15normal_iteratorINSA_10device_ptrIxEEEEPS6_SG_NS0_5tupleIJNSA_16discard_iteratorINSA_11use_defaultEEESK_EEENSH_IJSG_SG_EEES6_PlJ7is_evenIxEEEE10hipError_tPvRmT3_T4_T5_T6_T7_T9_mT8_P12ihipStream_tbDpT10_ENKUlT_T0_E_clISt17integral_constantIbLb1EES19_EEDaS14_S15_EUlS14_E_NS1_11comp_targetILNS1_3genE5ELNS1_11target_archE942ELNS1_3gpuE9ELNS1_3repE0EEENS1_30default_config_static_selectorELNS0_4arch9wavefront6targetE1EEEvT1_
		.amdhsa_group_segment_fixed_size 28680
		.amdhsa_private_segment_fixed_size 0
		.amdhsa_kernarg_size 152
		.amdhsa_user_sgpr_count 2
		.amdhsa_user_sgpr_dispatch_ptr 0
		.amdhsa_user_sgpr_queue_ptr 0
		.amdhsa_user_sgpr_kernarg_segment_ptr 1
		.amdhsa_user_sgpr_dispatch_id 0
		.amdhsa_user_sgpr_kernarg_preload_length 0
		.amdhsa_user_sgpr_kernarg_preload_offset 0
		.amdhsa_user_sgpr_private_segment_size 0
		.amdhsa_uses_dynamic_stack 0
		.amdhsa_enable_private_segment 0
		.amdhsa_system_sgpr_workgroup_id_x 1
		.amdhsa_system_sgpr_workgroup_id_y 0
		.amdhsa_system_sgpr_workgroup_id_z 0
		.amdhsa_system_sgpr_workgroup_info 0
		.amdhsa_system_vgpr_workitem_id 0
		.amdhsa_next_free_vgpr 58
		.amdhsa_next_free_sgpr 36
		.amdhsa_accum_offset 60
		.amdhsa_reserve_vcc 1
		.amdhsa_float_round_mode_32 0
		.amdhsa_float_round_mode_16_64 0
		.amdhsa_float_denorm_mode_32 3
		.amdhsa_float_denorm_mode_16_64 3
		.amdhsa_dx10_clamp 1
		.amdhsa_ieee_mode 1
		.amdhsa_fp16_overflow 0
		.amdhsa_tg_split 0
		.amdhsa_exception_fp_ieee_invalid_op 0
		.amdhsa_exception_fp_denorm_src 0
		.amdhsa_exception_fp_ieee_div_zero 0
		.amdhsa_exception_fp_ieee_overflow 0
		.amdhsa_exception_fp_ieee_underflow 0
		.amdhsa_exception_fp_ieee_inexact 0
		.amdhsa_exception_int_div_zero 0
	.end_amdhsa_kernel
	.section	.text._ZN7rocprim17ROCPRIM_400000_NS6detail17trampoline_kernelINS0_14default_configENS1_25partition_config_selectorILNS1_17partition_subalgoE0ExNS0_10empty_typeEbEEZZNS1_14partition_implILS5_0ELb0ES3_jN6thrust23THRUST_200600_302600_NS6detail15normal_iteratorINSA_10device_ptrIxEEEEPS6_SG_NS0_5tupleIJNSA_16discard_iteratorINSA_11use_defaultEEESK_EEENSH_IJSG_SG_EEES6_PlJ7is_evenIxEEEE10hipError_tPvRmT3_T4_T5_T6_T7_T9_mT8_P12ihipStream_tbDpT10_ENKUlT_T0_E_clISt17integral_constantIbLb1EES19_EEDaS14_S15_EUlS14_E_NS1_11comp_targetILNS1_3genE5ELNS1_11target_archE942ELNS1_3gpuE9ELNS1_3repE0EEENS1_30default_config_static_selectorELNS0_4arch9wavefront6targetE1EEEvT1_,"axG",@progbits,_ZN7rocprim17ROCPRIM_400000_NS6detail17trampoline_kernelINS0_14default_configENS1_25partition_config_selectorILNS1_17partition_subalgoE0ExNS0_10empty_typeEbEEZZNS1_14partition_implILS5_0ELb0ES3_jN6thrust23THRUST_200600_302600_NS6detail15normal_iteratorINSA_10device_ptrIxEEEEPS6_SG_NS0_5tupleIJNSA_16discard_iteratorINSA_11use_defaultEEESK_EEENSH_IJSG_SG_EEES6_PlJ7is_evenIxEEEE10hipError_tPvRmT3_T4_T5_T6_T7_T9_mT8_P12ihipStream_tbDpT10_ENKUlT_T0_E_clISt17integral_constantIbLb1EES19_EEDaS14_S15_EUlS14_E_NS1_11comp_targetILNS1_3genE5ELNS1_11target_archE942ELNS1_3gpuE9ELNS1_3repE0EEENS1_30default_config_static_selectorELNS0_4arch9wavefront6targetE1EEEvT1_,comdat
.Lfunc_end2596:
	.size	_ZN7rocprim17ROCPRIM_400000_NS6detail17trampoline_kernelINS0_14default_configENS1_25partition_config_selectorILNS1_17partition_subalgoE0ExNS0_10empty_typeEbEEZZNS1_14partition_implILS5_0ELb0ES3_jN6thrust23THRUST_200600_302600_NS6detail15normal_iteratorINSA_10device_ptrIxEEEEPS6_SG_NS0_5tupleIJNSA_16discard_iteratorINSA_11use_defaultEEESK_EEENSH_IJSG_SG_EEES6_PlJ7is_evenIxEEEE10hipError_tPvRmT3_T4_T5_T6_T7_T9_mT8_P12ihipStream_tbDpT10_ENKUlT_T0_E_clISt17integral_constantIbLb1EES19_EEDaS14_S15_EUlS14_E_NS1_11comp_targetILNS1_3genE5ELNS1_11target_archE942ELNS1_3gpuE9ELNS1_3repE0EEENS1_30default_config_static_selectorELNS0_4arch9wavefront6targetE1EEEvT1_, .Lfunc_end2596-_ZN7rocprim17ROCPRIM_400000_NS6detail17trampoline_kernelINS0_14default_configENS1_25partition_config_selectorILNS1_17partition_subalgoE0ExNS0_10empty_typeEbEEZZNS1_14partition_implILS5_0ELb0ES3_jN6thrust23THRUST_200600_302600_NS6detail15normal_iteratorINSA_10device_ptrIxEEEEPS6_SG_NS0_5tupleIJNSA_16discard_iteratorINSA_11use_defaultEEESK_EEENSH_IJSG_SG_EEES6_PlJ7is_evenIxEEEE10hipError_tPvRmT3_T4_T5_T6_T7_T9_mT8_P12ihipStream_tbDpT10_ENKUlT_T0_E_clISt17integral_constantIbLb1EES19_EEDaS14_S15_EUlS14_E_NS1_11comp_targetILNS1_3genE5ELNS1_11target_archE942ELNS1_3gpuE9ELNS1_3repE0EEENS1_30default_config_static_selectorELNS0_4arch9wavefront6targetE1EEEvT1_
                                        ; -- End function
	.section	.AMDGPU.csdata,"",@progbits
; Kernel info:
; codeLenInByte = 3788
; NumSgprs: 42
; NumVgprs: 58
; NumAgprs: 0
; TotalNumVgprs: 58
; ScratchSize: 0
; MemoryBound: 0
; FloatMode: 240
; IeeeMode: 1
; LDSByteSize: 28680 bytes/workgroup (compile time only)
; SGPRBlocks: 5
; VGPRBlocks: 7
; NumSGPRsForWavesPerEU: 42
; NumVGPRsForWavesPerEU: 58
; AccumOffset: 60
; Occupancy: 4
; WaveLimiterHint : 1
; COMPUTE_PGM_RSRC2:SCRATCH_EN: 0
; COMPUTE_PGM_RSRC2:USER_SGPR: 2
; COMPUTE_PGM_RSRC2:TRAP_HANDLER: 0
; COMPUTE_PGM_RSRC2:TGID_X_EN: 1
; COMPUTE_PGM_RSRC2:TGID_Y_EN: 0
; COMPUTE_PGM_RSRC2:TGID_Z_EN: 0
; COMPUTE_PGM_RSRC2:TIDIG_COMP_CNT: 0
; COMPUTE_PGM_RSRC3_GFX90A:ACCUM_OFFSET: 14
; COMPUTE_PGM_RSRC3_GFX90A:TG_SPLIT: 0
	.section	.text._ZN7rocprim17ROCPRIM_400000_NS6detail17trampoline_kernelINS0_14default_configENS1_25partition_config_selectorILNS1_17partition_subalgoE0ExNS0_10empty_typeEbEEZZNS1_14partition_implILS5_0ELb0ES3_jN6thrust23THRUST_200600_302600_NS6detail15normal_iteratorINSA_10device_ptrIxEEEEPS6_SG_NS0_5tupleIJNSA_16discard_iteratorINSA_11use_defaultEEESK_EEENSH_IJSG_SG_EEES6_PlJ7is_evenIxEEEE10hipError_tPvRmT3_T4_T5_T6_T7_T9_mT8_P12ihipStream_tbDpT10_ENKUlT_T0_E_clISt17integral_constantIbLb1EES19_EEDaS14_S15_EUlS14_E_NS1_11comp_targetILNS1_3genE4ELNS1_11target_archE910ELNS1_3gpuE8ELNS1_3repE0EEENS1_30default_config_static_selectorELNS0_4arch9wavefront6targetE1EEEvT1_,"axG",@progbits,_ZN7rocprim17ROCPRIM_400000_NS6detail17trampoline_kernelINS0_14default_configENS1_25partition_config_selectorILNS1_17partition_subalgoE0ExNS0_10empty_typeEbEEZZNS1_14partition_implILS5_0ELb0ES3_jN6thrust23THRUST_200600_302600_NS6detail15normal_iteratorINSA_10device_ptrIxEEEEPS6_SG_NS0_5tupleIJNSA_16discard_iteratorINSA_11use_defaultEEESK_EEENSH_IJSG_SG_EEES6_PlJ7is_evenIxEEEE10hipError_tPvRmT3_T4_T5_T6_T7_T9_mT8_P12ihipStream_tbDpT10_ENKUlT_T0_E_clISt17integral_constantIbLb1EES19_EEDaS14_S15_EUlS14_E_NS1_11comp_targetILNS1_3genE4ELNS1_11target_archE910ELNS1_3gpuE8ELNS1_3repE0EEENS1_30default_config_static_selectorELNS0_4arch9wavefront6targetE1EEEvT1_,comdat
	.protected	_ZN7rocprim17ROCPRIM_400000_NS6detail17trampoline_kernelINS0_14default_configENS1_25partition_config_selectorILNS1_17partition_subalgoE0ExNS0_10empty_typeEbEEZZNS1_14partition_implILS5_0ELb0ES3_jN6thrust23THRUST_200600_302600_NS6detail15normal_iteratorINSA_10device_ptrIxEEEEPS6_SG_NS0_5tupleIJNSA_16discard_iteratorINSA_11use_defaultEEESK_EEENSH_IJSG_SG_EEES6_PlJ7is_evenIxEEEE10hipError_tPvRmT3_T4_T5_T6_T7_T9_mT8_P12ihipStream_tbDpT10_ENKUlT_T0_E_clISt17integral_constantIbLb1EES19_EEDaS14_S15_EUlS14_E_NS1_11comp_targetILNS1_3genE4ELNS1_11target_archE910ELNS1_3gpuE8ELNS1_3repE0EEENS1_30default_config_static_selectorELNS0_4arch9wavefront6targetE1EEEvT1_ ; -- Begin function _ZN7rocprim17ROCPRIM_400000_NS6detail17trampoline_kernelINS0_14default_configENS1_25partition_config_selectorILNS1_17partition_subalgoE0ExNS0_10empty_typeEbEEZZNS1_14partition_implILS5_0ELb0ES3_jN6thrust23THRUST_200600_302600_NS6detail15normal_iteratorINSA_10device_ptrIxEEEEPS6_SG_NS0_5tupleIJNSA_16discard_iteratorINSA_11use_defaultEEESK_EEENSH_IJSG_SG_EEES6_PlJ7is_evenIxEEEE10hipError_tPvRmT3_T4_T5_T6_T7_T9_mT8_P12ihipStream_tbDpT10_ENKUlT_T0_E_clISt17integral_constantIbLb1EES19_EEDaS14_S15_EUlS14_E_NS1_11comp_targetILNS1_3genE4ELNS1_11target_archE910ELNS1_3gpuE8ELNS1_3repE0EEENS1_30default_config_static_selectorELNS0_4arch9wavefront6targetE1EEEvT1_
	.globl	_ZN7rocprim17ROCPRIM_400000_NS6detail17trampoline_kernelINS0_14default_configENS1_25partition_config_selectorILNS1_17partition_subalgoE0ExNS0_10empty_typeEbEEZZNS1_14partition_implILS5_0ELb0ES3_jN6thrust23THRUST_200600_302600_NS6detail15normal_iteratorINSA_10device_ptrIxEEEEPS6_SG_NS0_5tupleIJNSA_16discard_iteratorINSA_11use_defaultEEESK_EEENSH_IJSG_SG_EEES6_PlJ7is_evenIxEEEE10hipError_tPvRmT3_T4_T5_T6_T7_T9_mT8_P12ihipStream_tbDpT10_ENKUlT_T0_E_clISt17integral_constantIbLb1EES19_EEDaS14_S15_EUlS14_E_NS1_11comp_targetILNS1_3genE4ELNS1_11target_archE910ELNS1_3gpuE8ELNS1_3repE0EEENS1_30default_config_static_selectorELNS0_4arch9wavefront6targetE1EEEvT1_
	.p2align	8
	.type	_ZN7rocprim17ROCPRIM_400000_NS6detail17trampoline_kernelINS0_14default_configENS1_25partition_config_selectorILNS1_17partition_subalgoE0ExNS0_10empty_typeEbEEZZNS1_14partition_implILS5_0ELb0ES3_jN6thrust23THRUST_200600_302600_NS6detail15normal_iteratorINSA_10device_ptrIxEEEEPS6_SG_NS0_5tupleIJNSA_16discard_iteratorINSA_11use_defaultEEESK_EEENSH_IJSG_SG_EEES6_PlJ7is_evenIxEEEE10hipError_tPvRmT3_T4_T5_T6_T7_T9_mT8_P12ihipStream_tbDpT10_ENKUlT_T0_E_clISt17integral_constantIbLb1EES19_EEDaS14_S15_EUlS14_E_NS1_11comp_targetILNS1_3genE4ELNS1_11target_archE910ELNS1_3gpuE8ELNS1_3repE0EEENS1_30default_config_static_selectorELNS0_4arch9wavefront6targetE1EEEvT1_,@function
_ZN7rocprim17ROCPRIM_400000_NS6detail17trampoline_kernelINS0_14default_configENS1_25partition_config_selectorILNS1_17partition_subalgoE0ExNS0_10empty_typeEbEEZZNS1_14partition_implILS5_0ELb0ES3_jN6thrust23THRUST_200600_302600_NS6detail15normal_iteratorINSA_10device_ptrIxEEEEPS6_SG_NS0_5tupleIJNSA_16discard_iteratorINSA_11use_defaultEEESK_EEENSH_IJSG_SG_EEES6_PlJ7is_evenIxEEEE10hipError_tPvRmT3_T4_T5_T6_T7_T9_mT8_P12ihipStream_tbDpT10_ENKUlT_T0_E_clISt17integral_constantIbLb1EES19_EEDaS14_S15_EUlS14_E_NS1_11comp_targetILNS1_3genE4ELNS1_11target_archE910ELNS1_3gpuE8ELNS1_3repE0EEENS1_30default_config_static_selectorELNS0_4arch9wavefront6targetE1EEEvT1_: ; @_ZN7rocprim17ROCPRIM_400000_NS6detail17trampoline_kernelINS0_14default_configENS1_25partition_config_selectorILNS1_17partition_subalgoE0ExNS0_10empty_typeEbEEZZNS1_14partition_implILS5_0ELb0ES3_jN6thrust23THRUST_200600_302600_NS6detail15normal_iteratorINSA_10device_ptrIxEEEEPS6_SG_NS0_5tupleIJNSA_16discard_iteratorINSA_11use_defaultEEESK_EEENSH_IJSG_SG_EEES6_PlJ7is_evenIxEEEE10hipError_tPvRmT3_T4_T5_T6_T7_T9_mT8_P12ihipStream_tbDpT10_ENKUlT_T0_E_clISt17integral_constantIbLb1EES19_EEDaS14_S15_EUlS14_E_NS1_11comp_targetILNS1_3genE4ELNS1_11target_archE910ELNS1_3gpuE8ELNS1_3repE0EEENS1_30default_config_static_selectorELNS0_4arch9wavefront6targetE1EEEvT1_
; %bb.0:
	.section	.rodata,"a",@progbits
	.p2align	6, 0x0
	.amdhsa_kernel _ZN7rocprim17ROCPRIM_400000_NS6detail17trampoline_kernelINS0_14default_configENS1_25partition_config_selectorILNS1_17partition_subalgoE0ExNS0_10empty_typeEbEEZZNS1_14partition_implILS5_0ELb0ES3_jN6thrust23THRUST_200600_302600_NS6detail15normal_iteratorINSA_10device_ptrIxEEEEPS6_SG_NS0_5tupleIJNSA_16discard_iteratorINSA_11use_defaultEEESK_EEENSH_IJSG_SG_EEES6_PlJ7is_evenIxEEEE10hipError_tPvRmT3_T4_T5_T6_T7_T9_mT8_P12ihipStream_tbDpT10_ENKUlT_T0_E_clISt17integral_constantIbLb1EES19_EEDaS14_S15_EUlS14_E_NS1_11comp_targetILNS1_3genE4ELNS1_11target_archE910ELNS1_3gpuE8ELNS1_3repE0EEENS1_30default_config_static_selectorELNS0_4arch9wavefront6targetE1EEEvT1_
		.amdhsa_group_segment_fixed_size 0
		.amdhsa_private_segment_fixed_size 0
		.amdhsa_kernarg_size 152
		.amdhsa_user_sgpr_count 2
		.amdhsa_user_sgpr_dispatch_ptr 0
		.amdhsa_user_sgpr_queue_ptr 0
		.amdhsa_user_sgpr_kernarg_segment_ptr 1
		.amdhsa_user_sgpr_dispatch_id 0
		.amdhsa_user_sgpr_kernarg_preload_length 0
		.amdhsa_user_sgpr_kernarg_preload_offset 0
		.amdhsa_user_sgpr_private_segment_size 0
		.amdhsa_uses_dynamic_stack 0
		.amdhsa_enable_private_segment 0
		.amdhsa_system_sgpr_workgroup_id_x 1
		.amdhsa_system_sgpr_workgroup_id_y 0
		.amdhsa_system_sgpr_workgroup_id_z 0
		.amdhsa_system_sgpr_workgroup_info 0
		.amdhsa_system_vgpr_workitem_id 0
		.amdhsa_next_free_vgpr 1
		.amdhsa_next_free_sgpr 0
		.amdhsa_accum_offset 4
		.amdhsa_reserve_vcc 0
		.amdhsa_float_round_mode_32 0
		.amdhsa_float_round_mode_16_64 0
		.amdhsa_float_denorm_mode_32 3
		.amdhsa_float_denorm_mode_16_64 3
		.amdhsa_dx10_clamp 1
		.amdhsa_ieee_mode 1
		.amdhsa_fp16_overflow 0
		.amdhsa_tg_split 0
		.amdhsa_exception_fp_ieee_invalid_op 0
		.amdhsa_exception_fp_denorm_src 0
		.amdhsa_exception_fp_ieee_div_zero 0
		.amdhsa_exception_fp_ieee_overflow 0
		.amdhsa_exception_fp_ieee_underflow 0
		.amdhsa_exception_fp_ieee_inexact 0
		.amdhsa_exception_int_div_zero 0
	.end_amdhsa_kernel
	.section	.text._ZN7rocprim17ROCPRIM_400000_NS6detail17trampoline_kernelINS0_14default_configENS1_25partition_config_selectorILNS1_17partition_subalgoE0ExNS0_10empty_typeEbEEZZNS1_14partition_implILS5_0ELb0ES3_jN6thrust23THRUST_200600_302600_NS6detail15normal_iteratorINSA_10device_ptrIxEEEEPS6_SG_NS0_5tupleIJNSA_16discard_iteratorINSA_11use_defaultEEESK_EEENSH_IJSG_SG_EEES6_PlJ7is_evenIxEEEE10hipError_tPvRmT3_T4_T5_T6_T7_T9_mT8_P12ihipStream_tbDpT10_ENKUlT_T0_E_clISt17integral_constantIbLb1EES19_EEDaS14_S15_EUlS14_E_NS1_11comp_targetILNS1_3genE4ELNS1_11target_archE910ELNS1_3gpuE8ELNS1_3repE0EEENS1_30default_config_static_selectorELNS0_4arch9wavefront6targetE1EEEvT1_,"axG",@progbits,_ZN7rocprim17ROCPRIM_400000_NS6detail17trampoline_kernelINS0_14default_configENS1_25partition_config_selectorILNS1_17partition_subalgoE0ExNS0_10empty_typeEbEEZZNS1_14partition_implILS5_0ELb0ES3_jN6thrust23THRUST_200600_302600_NS6detail15normal_iteratorINSA_10device_ptrIxEEEEPS6_SG_NS0_5tupleIJNSA_16discard_iteratorINSA_11use_defaultEEESK_EEENSH_IJSG_SG_EEES6_PlJ7is_evenIxEEEE10hipError_tPvRmT3_T4_T5_T6_T7_T9_mT8_P12ihipStream_tbDpT10_ENKUlT_T0_E_clISt17integral_constantIbLb1EES19_EEDaS14_S15_EUlS14_E_NS1_11comp_targetILNS1_3genE4ELNS1_11target_archE910ELNS1_3gpuE8ELNS1_3repE0EEENS1_30default_config_static_selectorELNS0_4arch9wavefront6targetE1EEEvT1_,comdat
.Lfunc_end2597:
	.size	_ZN7rocprim17ROCPRIM_400000_NS6detail17trampoline_kernelINS0_14default_configENS1_25partition_config_selectorILNS1_17partition_subalgoE0ExNS0_10empty_typeEbEEZZNS1_14partition_implILS5_0ELb0ES3_jN6thrust23THRUST_200600_302600_NS6detail15normal_iteratorINSA_10device_ptrIxEEEEPS6_SG_NS0_5tupleIJNSA_16discard_iteratorINSA_11use_defaultEEESK_EEENSH_IJSG_SG_EEES6_PlJ7is_evenIxEEEE10hipError_tPvRmT3_T4_T5_T6_T7_T9_mT8_P12ihipStream_tbDpT10_ENKUlT_T0_E_clISt17integral_constantIbLb1EES19_EEDaS14_S15_EUlS14_E_NS1_11comp_targetILNS1_3genE4ELNS1_11target_archE910ELNS1_3gpuE8ELNS1_3repE0EEENS1_30default_config_static_selectorELNS0_4arch9wavefront6targetE1EEEvT1_, .Lfunc_end2597-_ZN7rocprim17ROCPRIM_400000_NS6detail17trampoline_kernelINS0_14default_configENS1_25partition_config_selectorILNS1_17partition_subalgoE0ExNS0_10empty_typeEbEEZZNS1_14partition_implILS5_0ELb0ES3_jN6thrust23THRUST_200600_302600_NS6detail15normal_iteratorINSA_10device_ptrIxEEEEPS6_SG_NS0_5tupleIJNSA_16discard_iteratorINSA_11use_defaultEEESK_EEENSH_IJSG_SG_EEES6_PlJ7is_evenIxEEEE10hipError_tPvRmT3_T4_T5_T6_T7_T9_mT8_P12ihipStream_tbDpT10_ENKUlT_T0_E_clISt17integral_constantIbLb1EES19_EEDaS14_S15_EUlS14_E_NS1_11comp_targetILNS1_3genE4ELNS1_11target_archE910ELNS1_3gpuE8ELNS1_3repE0EEENS1_30default_config_static_selectorELNS0_4arch9wavefront6targetE1EEEvT1_
                                        ; -- End function
	.section	.AMDGPU.csdata,"",@progbits
; Kernel info:
; codeLenInByte = 0
; NumSgprs: 6
; NumVgprs: 0
; NumAgprs: 0
; TotalNumVgprs: 0
; ScratchSize: 0
; MemoryBound: 0
; FloatMode: 240
; IeeeMode: 1
; LDSByteSize: 0 bytes/workgroup (compile time only)
; SGPRBlocks: 0
; VGPRBlocks: 0
; NumSGPRsForWavesPerEU: 6
; NumVGPRsForWavesPerEU: 1
; AccumOffset: 4
; Occupancy: 8
; WaveLimiterHint : 0
; COMPUTE_PGM_RSRC2:SCRATCH_EN: 0
; COMPUTE_PGM_RSRC2:USER_SGPR: 2
; COMPUTE_PGM_RSRC2:TRAP_HANDLER: 0
; COMPUTE_PGM_RSRC2:TGID_X_EN: 1
; COMPUTE_PGM_RSRC2:TGID_Y_EN: 0
; COMPUTE_PGM_RSRC2:TGID_Z_EN: 0
; COMPUTE_PGM_RSRC2:TIDIG_COMP_CNT: 0
; COMPUTE_PGM_RSRC3_GFX90A:ACCUM_OFFSET: 0
; COMPUTE_PGM_RSRC3_GFX90A:TG_SPLIT: 0
	.section	.text._ZN7rocprim17ROCPRIM_400000_NS6detail17trampoline_kernelINS0_14default_configENS1_25partition_config_selectorILNS1_17partition_subalgoE0ExNS0_10empty_typeEbEEZZNS1_14partition_implILS5_0ELb0ES3_jN6thrust23THRUST_200600_302600_NS6detail15normal_iteratorINSA_10device_ptrIxEEEEPS6_SG_NS0_5tupleIJNSA_16discard_iteratorINSA_11use_defaultEEESK_EEENSH_IJSG_SG_EEES6_PlJ7is_evenIxEEEE10hipError_tPvRmT3_T4_T5_T6_T7_T9_mT8_P12ihipStream_tbDpT10_ENKUlT_T0_E_clISt17integral_constantIbLb1EES19_EEDaS14_S15_EUlS14_E_NS1_11comp_targetILNS1_3genE3ELNS1_11target_archE908ELNS1_3gpuE7ELNS1_3repE0EEENS1_30default_config_static_selectorELNS0_4arch9wavefront6targetE1EEEvT1_,"axG",@progbits,_ZN7rocprim17ROCPRIM_400000_NS6detail17trampoline_kernelINS0_14default_configENS1_25partition_config_selectorILNS1_17partition_subalgoE0ExNS0_10empty_typeEbEEZZNS1_14partition_implILS5_0ELb0ES3_jN6thrust23THRUST_200600_302600_NS6detail15normal_iteratorINSA_10device_ptrIxEEEEPS6_SG_NS0_5tupleIJNSA_16discard_iteratorINSA_11use_defaultEEESK_EEENSH_IJSG_SG_EEES6_PlJ7is_evenIxEEEE10hipError_tPvRmT3_T4_T5_T6_T7_T9_mT8_P12ihipStream_tbDpT10_ENKUlT_T0_E_clISt17integral_constantIbLb1EES19_EEDaS14_S15_EUlS14_E_NS1_11comp_targetILNS1_3genE3ELNS1_11target_archE908ELNS1_3gpuE7ELNS1_3repE0EEENS1_30default_config_static_selectorELNS0_4arch9wavefront6targetE1EEEvT1_,comdat
	.protected	_ZN7rocprim17ROCPRIM_400000_NS6detail17trampoline_kernelINS0_14default_configENS1_25partition_config_selectorILNS1_17partition_subalgoE0ExNS0_10empty_typeEbEEZZNS1_14partition_implILS5_0ELb0ES3_jN6thrust23THRUST_200600_302600_NS6detail15normal_iteratorINSA_10device_ptrIxEEEEPS6_SG_NS0_5tupleIJNSA_16discard_iteratorINSA_11use_defaultEEESK_EEENSH_IJSG_SG_EEES6_PlJ7is_evenIxEEEE10hipError_tPvRmT3_T4_T5_T6_T7_T9_mT8_P12ihipStream_tbDpT10_ENKUlT_T0_E_clISt17integral_constantIbLb1EES19_EEDaS14_S15_EUlS14_E_NS1_11comp_targetILNS1_3genE3ELNS1_11target_archE908ELNS1_3gpuE7ELNS1_3repE0EEENS1_30default_config_static_selectorELNS0_4arch9wavefront6targetE1EEEvT1_ ; -- Begin function _ZN7rocprim17ROCPRIM_400000_NS6detail17trampoline_kernelINS0_14default_configENS1_25partition_config_selectorILNS1_17partition_subalgoE0ExNS0_10empty_typeEbEEZZNS1_14partition_implILS5_0ELb0ES3_jN6thrust23THRUST_200600_302600_NS6detail15normal_iteratorINSA_10device_ptrIxEEEEPS6_SG_NS0_5tupleIJNSA_16discard_iteratorINSA_11use_defaultEEESK_EEENSH_IJSG_SG_EEES6_PlJ7is_evenIxEEEE10hipError_tPvRmT3_T4_T5_T6_T7_T9_mT8_P12ihipStream_tbDpT10_ENKUlT_T0_E_clISt17integral_constantIbLb1EES19_EEDaS14_S15_EUlS14_E_NS1_11comp_targetILNS1_3genE3ELNS1_11target_archE908ELNS1_3gpuE7ELNS1_3repE0EEENS1_30default_config_static_selectorELNS0_4arch9wavefront6targetE1EEEvT1_
	.globl	_ZN7rocprim17ROCPRIM_400000_NS6detail17trampoline_kernelINS0_14default_configENS1_25partition_config_selectorILNS1_17partition_subalgoE0ExNS0_10empty_typeEbEEZZNS1_14partition_implILS5_0ELb0ES3_jN6thrust23THRUST_200600_302600_NS6detail15normal_iteratorINSA_10device_ptrIxEEEEPS6_SG_NS0_5tupleIJNSA_16discard_iteratorINSA_11use_defaultEEESK_EEENSH_IJSG_SG_EEES6_PlJ7is_evenIxEEEE10hipError_tPvRmT3_T4_T5_T6_T7_T9_mT8_P12ihipStream_tbDpT10_ENKUlT_T0_E_clISt17integral_constantIbLb1EES19_EEDaS14_S15_EUlS14_E_NS1_11comp_targetILNS1_3genE3ELNS1_11target_archE908ELNS1_3gpuE7ELNS1_3repE0EEENS1_30default_config_static_selectorELNS0_4arch9wavefront6targetE1EEEvT1_
	.p2align	8
	.type	_ZN7rocprim17ROCPRIM_400000_NS6detail17trampoline_kernelINS0_14default_configENS1_25partition_config_selectorILNS1_17partition_subalgoE0ExNS0_10empty_typeEbEEZZNS1_14partition_implILS5_0ELb0ES3_jN6thrust23THRUST_200600_302600_NS6detail15normal_iteratorINSA_10device_ptrIxEEEEPS6_SG_NS0_5tupleIJNSA_16discard_iteratorINSA_11use_defaultEEESK_EEENSH_IJSG_SG_EEES6_PlJ7is_evenIxEEEE10hipError_tPvRmT3_T4_T5_T6_T7_T9_mT8_P12ihipStream_tbDpT10_ENKUlT_T0_E_clISt17integral_constantIbLb1EES19_EEDaS14_S15_EUlS14_E_NS1_11comp_targetILNS1_3genE3ELNS1_11target_archE908ELNS1_3gpuE7ELNS1_3repE0EEENS1_30default_config_static_selectorELNS0_4arch9wavefront6targetE1EEEvT1_,@function
_ZN7rocprim17ROCPRIM_400000_NS6detail17trampoline_kernelINS0_14default_configENS1_25partition_config_selectorILNS1_17partition_subalgoE0ExNS0_10empty_typeEbEEZZNS1_14partition_implILS5_0ELb0ES3_jN6thrust23THRUST_200600_302600_NS6detail15normal_iteratorINSA_10device_ptrIxEEEEPS6_SG_NS0_5tupleIJNSA_16discard_iteratorINSA_11use_defaultEEESK_EEENSH_IJSG_SG_EEES6_PlJ7is_evenIxEEEE10hipError_tPvRmT3_T4_T5_T6_T7_T9_mT8_P12ihipStream_tbDpT10_ENKUlT_T0_E_clISt17integral_constantIbLb1EES19_EEDaS14_S15_EUlS14_E_NS1_11comp_targetILNS1_3genE3ELNS1_11target_archE908ELNS1_3gpuE7ELNS1_3repE0EEENS1_30default_config_static_selectorELNS0_4arch9wavefront6targetE1EEEvT1_: ; @_ZN7rocprim17ROCPRIM_400000_NS6detail17trampoline_kernelINS0_14default_configENS1_25partition_config_selectorILNS1_17partition_subalgoE0ExNS0_10empty_typeEbEEZZNS1_14partition_implILS5_0ELb0ES3_jN6thrust23THRUST_200600_302600_NS6detail15normal_iteratorINSA_10device_ptrIxEEEEPS6_SG_NS0_5tupleIJNSA_16discard_iteratorINSA_11use_defaultEEESK_EEENSH_IJSG_SG_EEES6_PlJ7is_evenIxEEEE10hipError_tPvRmT3_T4_T5_T6_T7_T9_mT8_P12ihipStream_tbDpT10_ENKUlT_T0_E_clISt17integral_constantIbLb1EES19_EEDaS14_S15_EUlS14_E_NS1_11comp_targetILNS1_3genE3ELNS1_11target_archE908ELNS1_3gpuE7ELNS1_3repE0EEENS1_30default_config_static_selectorELNS0_4arch9wavefront6targetE1EEEvT1_
; %bb.0:
	.section	.rodata,"a",@progbits
	.p2align	6, 0x0
	.amdhsa_kernel _ZN7rocprim17ROCPRIM_400000_NS6detail17trampoline_kernelINS0_14default_configENS1_25partition_config_selectorILNS1_17partition_subalgoE0ExNS0_10empty_typeEbEEZZNS1_14partition_implILS5_0ELb0ES3_jN6thrust23THRUST_200600_302600_NS6detail15normal_iteratorINSA_10device_ptrIxEEEEPS6_SG_NS0_5tupleIJNSA_16discard_iteratorINSA_11use_defaultEEESK_EEENSH_IJSG_SG_EEES6_PlJ7is_evenIxEEEE10hipError_tPvRmT3_T4_T5_T6_T7_T9_mT8_P12ihipStream_tbDpT10_ENKUlT_T0_E_clISt17integral_constantIbLb1EES19_EEDaS14_S15_EUlS14_E_NS1_11comp_targetILNS1_3genE3ELNS1_11target_archE908ELNS1_3gpuE7ELNS1_3repE0EEENS1_30default_config_static_selectorELNS0_4arch9wavefront6targetE1EEEvT1_
		.amdhsa_group_segment_fixed_size 0
		.amdhsa_private_segment_fixed_size 0
		.amdhsa_kernarg_size 152
		.amdhsa_user_sgpr_count 2
		.amdhsa_user_sgpr_dispatch_ptr 0
		.amdhsa_user_sgpr_queue_ptr 0
		.amdhsa_user_sgpr_kernarg_segment_ptr 1
		.amdhsa_user_sgpr_dispatch_id 0
		.amdhsa_user_sgpr_kernarg_preload_length 0
		.amdhsa_user_sgpr_kernarg_preload_offset 0
		.amdhsa_user_sgpr_private_segment_size 0
		.amdhsa_uses_dynamic_stack 0
		.amdhsa_enable_private_segment 0
		.amdhsa_system_sgpr_workgroup_id_x 1
		.amdhsa_system_sgpr_workgroup_id_y 0
		.amdhsa_system_sgpr_workgroup_id_z 0
		.amdhsa_system_sgpr_workgroup_info 0
		.amdhsa_system_vgpr_workitem_id 0
		.amdhsa_next_free_vgpr 1
		.amdhsa_next_free_sgpr 0
		.amdhsa_accum_offset 4
		.amdhsa_reserve_vcc 0
		.amdhsa_float_round_mode_32 0
		.amdhsa_float_round_mode_16_64 0
		.amdhsa_float_denorm_mode_32 3
		.amdhsa_float_denorm_mode_16_64 3
		.amdhsa_dx10_clamp 1
		.amdhsa_ieee_mode 1
		.amdhsa_fp16_overflow 0
		.amdhsa_tg_split 0
		.amdhsa_exception_fp_ieee_invalid_op 0
		.amdhsa_exception_fp_denorm_src 0
		.amdhsa_exception_fp_ieee_div_zero 0
		.amdhsa_exception_fp_ieee_overflow 0
		.amdhsa_exception_fp_ieee_underflow 0
		.amdhsa_exception_fp_ieee_inexact 0
		.amdhsa_exception_int_div_zero 0
	.end_amdhsa_kernel
	.section	.text._ZN7rocprim17ROCPRIM_400000_NS6detail17trampoline_kernelINS0_14default_configENS1_25partition_config_selectorILNS1_17partition_subalgoE0ExNS0_10empty_typeEbEEZZNS1_14partition_implILS5_0ELb0ES3_jN6thrust23THRUST_200600_302600_NS6detail15normal_iteratorINSA_10device_ptrIxEEEEPS6_SG_NS0_5tupleIJNSA_16discard_iteratorINSA_11use_defaultEEESK_EEENSH_IJSG_SG_EEES6_PlJ7is_evenIxEEEE10hipError_tPvRmT3_T4_T5_T6_T7_T9_mT8_P12ihipStream_tbDpT10_ENKUlT_T0_E_clISt17integral_constantIbLb1EES19_EEDaS14_S15_EUlS14_E_NS1_11comp_targetILNS1_3genE3ELNS1_11target_archE908ELNS1_3gpuE7ELNS1_3repE0EEENS1_30default_config_static_selectorELNS0_4arch9wavefront6targetE1EEEvT1_,"axG",@progbits,_ZN7rocprim17ROCPRIM_400000_NS6detail17trampoline_kernelINS0_14default_configENS1_25partition_config_selectorILNS1_17partition_subalgoE0ExNS0_10empty_typeEbEEZZNS1_14partition_implILS5_0ELb0ES3_jN6thrust23THRUST_200600_302600_NS6detail15normal_iteratorINSA_10device_ptrIxEEEEPS6_SG_NS0_5tupleIJNSA_16discard_iteratorINSA_11use_defaultEEESK_EEENSH_IJSG_SG_EEES6_PlJ7is_evenIxEEEE10hipError_tPvRmT3_T4_T5_T6_T7_T9_mT8_P12ihipStream_tbDpT10_ENKUlT_T0_E_clISt17integral_constantIbLb1EES19_EEDaS14_S15_EUlS14_E_NS1_11comp_targetILNS1_3genE3ELNS1_11target_archE908ELNS1_3gpuE7ELNS1_3repE0EEENS1_30default_config_static_selectorELNS0_4arch9wavefront6targetE1EEEvT1_,comdat
.Lfunc_end2598:
	.size	_ZN7rocprim17ROCPRIM_400000_NS6detail17trampoline_kernelINS0_14default_configENS1_25partition_config_selectorILNS1_17partition_subalgoE0ExNS0_10empty_typeEbEEZZNS1_14partition_implILS5_0ELb0ES3_jN6thrust23THRUST_200600_302600_NS6detail15normal_iteratorINSA_10device_ptrIxEEEEPS6_SG_NS0_5tupleIJNSA_16discard_iteratorINSA_11use_defaultEEESK_EEENSH_IJSG_SG_EEES6_PlJ7is_evenIxEEEE10hipError_tPvRmT3_T4_T5_T6_T7_T9_mT8_P12ihipStream_tbDpT10_ENKUlT_T0_E_clISt17integral_constantIbLb1EES19_EEDaS14_S15_EUlS14_E_NS1_11comp_targetILNS1_3genE3ELNS1_11target_archE908ELNS1_3gpuE7ELNS1_3repE0EEENS1_30default_config_static_selectorELNS0_4arch9wavefront6targetE1EEEvT1_, .Lfunc_end2598-_ZN7rocprim17ROCPRIM_400000_NS6detail17trampoline_kernelINS0_14default_configENS1_25partition_config_selectorILNS1_17partition_subalgoE0ExNS0_10empty_typeEbEEZZNS1_14partition_implILS5_0ELb0ES3_jN6thrust23THRUST_200600_302600_NS6detail15normal_iteratorINSA_10device_ptrIxEEEEPS6_SG_NS0_5tupleIJNSA_16discard_iteratorINSA_11use_defaultEEESK_EEENSH_IJSG_SG_EEES6_PlJ7is_evenIxEEEE10hipError_tPvRmT3_T4_T5_T6_T7_T9_mT8_P12ihipStream_tbDpT10_ENKUlT_T0_E_clISt17integral_constantIbLb1EES19_EEDaS14_S15_EUlS14_E_NS1_11comp_targetILNS1_3genE3ELNS1_11target_archE908ELNS1_3gpuE7ELNS1_3repE0EEENS1_30default_config_static_selectorELNS0_4arch9wavefront6targetE1EEEvT1_
                                        ; -- End function
	.section	.AMDGPU.csdata,"",@progbits
; Kernel info:
; codeLenInByte = 0
; NumSgprs: 6
; NumVgprs: 0
; NumAgprs: 0
; TotalNumVgprs: 0
; ScratchSize: 0
; MemoryBound: 0
; FloatMode: 240
; IeeeMode: 1
; LDSByteSize: 0 bytes/workgroup (compile time only)
; SGPRBlocks: 0
; VGPRBlocks: 0
; NumSGPRsForWavesPerEU: 6
; NumVGPRsForWavesPerEU: 1
; AccumOffset: 4
; Occupancy: 8
; WaveLimiterHint : 0
; COMPUTE_PGM_RSRC2:SCRATCH_EN: 0
; COMPUTE_PGM_RSRC2:USER_SGPR: 2
; COMPUTE_PGM_RSRC2:TRAP_HANDLER: 0
; COMPUTE_PGM_RSRC2:TGID_X_EN: 1
; COMPUTE_PGM_RSRC2:TGID_Y_EN: 0
; COMPUTE_PGM_RSRC2:TGID_Z_EN: 0
; COMPUTE_PGM_RSRC2:TIDIG_COMP_CNT: 0
; COMPUTE_PGM_RSRC3_GFX90A:ACCUM_OFFSET: 0
; COMPUTE_PGM_RSRC3_GFX90A:TG_SPLIT: 0
	.section	.text._ZN7rocprim17ROCPRIM_400000_NS6detail17trampoline_kernelINS0_14default_configENS1_25partition_config_selectorILNS1_17partition_subalgoE0ExNS0_10empty_typeEbEEZZNS1_14partition_implILS5_0ELb0ES3_jN6thrust23THRUST_200600_302600_NS6detail15normal_iteratorINSA_10device_ptrIxEEEEPS6_SG_NS0_5tupleIJNSA_16discard_iteratorINSA_11use_defaultEEESK_EEENSH_IJSG_SG_EEES6_PlJ7is_evenIxEEEE10hipError_tPvRmT3_T4_T5_T6_T7_T9_mT8_P12ihipStream_tbDpT10_ENKUlT_T0_E_clISt17integral_constantIbLb1EES19_EEDaS14_S15_EUlS14_E_NS1_11comp_targetILNS1_3genE2ELNS1_11target_archE906ELNS1_3gpuE6ELNS1_3repE0EEENS1_30default_config_static_selectorELNS0_4arch9wavefront6targetE1EEEvT1_,"axG",@progbits,_ZN7rocprim17ROCPRIM_400000_NS6detail17trampoline_kernelINS0_14default_configENS1_25partition_config_selectorILNS1_17partition_subalgoE0ExNS0_10empty_typeEbEEZZNS1_14partition_implILS5_0ELb0ES3_jN6thrust23THRUST_200600_302600_NS6detail15normal_iteratorINSA_10device_ptrIxEEEEPS6_SG_NS0_5tupleIJNSA_16discard_iteratorINSA_11use_defaultEEESK_EEENSH_IJSG_SG_EEES6_PlJ7is_evenIxEEEE10hipError_tPvRmT3_T4_T5_T6_T7_T9_mT8_P12ihipStream_tbDpT10_ENKUlT_T0_E_clISt17integral_constantIbLb1EES19_EEDaS14_S15_EUlS14_E_NS1_11comp_targetILNS1_3genE2ELNS1_11target_archE906ELNS1_3gpuE6ELNS1_3repE0EEENS1_30default_config_static_selectorELNS0_4arch9wavefront6targetE1EEEvT1_,comdat
	.protected	_ZN7rocprim17ROCPRIM_400000_NS6detail17trampoline_kernelINS0_14default_configENS1_25partition_config_selectorILNS1_17partition_subalgoE0ExNS0_10empty_typeEbEEZZNS1_14partition_implILS5_0ELb0ES3_jN6thrust23THRUST_200600_302600_NS6detail15normal_iteratorINSA_10device_ptrIxEEEEPS6_SG_NS0_5tupleIJNSA_16discard_iteratorINSA_11use_defaultEEESK_EEENSH_IJSG_SG_EEES6_PlJ7is_evenIxEEEE10hipError_tPvRmT3_T4_T5_T6_T7_T9_mT8_P12ihipStream_tbDpT10_ENKUlT_T0_E_clISt17integral_constantIbLb1EES19_EEDaS14_S15_EUlS14_E_NS1_11comp_targetILNS1_3genE2ELNS1_11target_archE906ELNS1_3gpuE6ELNS1_3repE0EEENS1_30default_config_static_selectorELNS0_4arch9wavefront6targetE1EEEvT1_ ; -- Begin function _ZN7rocprim17ROCPRIM_400000_NS6detail17trampoline_kernelINS0_14default_configENS1_25partition_config_selectorILNS1_17partition_subalgoE0ExNS0_10empty_typeEbEEZZNS1_14partition_implILS5_0ELb0ES3_jN6thrust23THRUST_200600_302600_NS6detail15normal_iteratorINSA_10device_ptrIxEEEEPS6_SG_NS0_5tupleIJNSA_16discard_iteratorINSA_11use_defaultEEESK_EEENSH_IJSG_SG_EEES6_PlJ7is_evenIxEEEE10hipError_tPvRmT3_T4_T5_T6_T7_T9_mT8_P12ihipStream_tbDpT10_ENKUlT_T0_E_clISt17integral_constantIbLb1EES19_EEDaS14_S15_EUlS14_E_NS1_11comp_targetILNS1_3genE2ELNS1_11target_archE906ELNS1_3gpuE6ELNS1_3repE0EEENS1_30default_config_static_selectorELNS0_4arch9wavefront6targetE1EEEvT1_
	.globl	_ZN7rocprim17ROCPRIM_400000_NS6detail17trampoline_kernelINS0_14default_configENS1_25partition_config_selectorILNS1_17partition_subalgoE0ExNS0_10empty_typeEbEEZZNS1_14partition_implILS5_0ELb0ES3_jN6thrust23THRUST_200600_302600_NS6detail15normal_iteratorINSA_10device_ptrIxEEEEPS6_SG_NS0_5tupleIJNSA_16discard_iteratorINSA_11use_defaultEEESK_EEENSH_IJSG_SG_EEES6_PlJ7is_evenIxEEEE10hipError_tPvRmT3_T4_T5_T6_T7_T9_mT8_P12ihipStream_tbDpT10_ENKUlT_T0_E_clISt17integral_constantIbLb1EES19_EEDaS14_S15_EUlS14_E_NS1_11comp_targetILNS1_3genE2ELNS1_11target_archE906ELNS1_3gpuE6ELNS1_3repE0EEENS1_30default_config_static_selectorELNS0_4arch9wavefront6targetE1EEEvT1_
	.p2align	8
	.type	_ZN7rocprim17ROCPRIM_400000_NS6detail17trampoline_kernelINS0_14default_configENS1_25partition_config_selectorILNS1_17partition_subalgoE0ExNS0_10empty_typeEbEEZZNS1_14partition_implILS5_0ELb0ES3_jN6thrust23THRUST_200600_302600_NS6detail15normal_iteratorINSA_10device_ptrIxEEEEPS6_SG_NS0_5tupleIJNSA_16discard_iteratorINSA_11use_defaultEEESK_EEENSH_IJSG_SG_EEES6_PlJ7is_evenIxEEEE10hipError_tPvRmT3_T4_T5_T6_T7_T9_mT8_P12ihipStream_tbDpT10_ENKUlT_T0_E_clISt17integral_constantIbLb1EES19_EEDaS14_S15_EUlS14_E_NS1_11comp_targetILNS1_3genE2ELNS1_11target_archE906ELNS1_3gpuE6ELNS1_3repE0EEENS1_30default_config_static_selectorELNS0_4arch9wavefront6targetE1EEEvT1_,@function
_ZN7rocprim17ROCPRIM_400000_NS6detail17trampoline_kernelINS0_14default_configENS1_25partition_config_selectorILNS1_17partition_subalgoE0ExNS0_10empty_typeEbEEZZNS1_14partition_implILS5_0ELb0ES3_jN6thrust23THRUST_200600_302600_NS6detail15normal_iteratorINSA_10device_ptrIxEEEEPS6_SG_NS0_5tupleIJNSA_16discard_iteratorINSA_11use_defaultEEESK_EEENSH_IJSG_SG_EEES6_PlJ7is_evenIxEEEE10hipError_tPvRmT3_T4_T5_T6_T7_T9_mT8_P12ihipStream_tbDpT10_ENKUlT_T0_E_clISt17integral_constantIbLb1EES19_EEDaS14_S15_EUlS14_E_NS1_11comp_targetILNS1_3genE2ELNS1_11target_archE906ELNS1_3gpuE6ELNS1_3repE0EEENS1_30default_config_static_selectorELNS0_4arch9wavefront6targetE1EEEvT1_: ; @_ZN7rocprim17ROCPRIM_400000_NS6detail17trampoline_kernelINS0_14default_configENS1_25partition_config_selectorILNS1_17partition_subalgoE0ExNS0_10empty_typeEbEEZZNS1_14partition_implILS5_0ELb0ES3_jN6thrust23THRUST_200600_302600_NS6detail15normal_iteratorINSA_10device_ptrIxEEEEPS6_SG_NS0_5tupleIJNSA_16discard_iteratorINSA_11use_defaultEEESK_EEENSH_IJSG_SG_EEES6_PlJ7is_evenIxEEEE10hipError_tPvRmT3_T4_T5_T6_T7_T9_mT8_P12ihipStream_tbDpT10_ENKUlT_T0_E_clISt17integral_constantIbLb1EES19_EEDaS14_S15_EUlS14_E_NS1_11comp_targetILNS1_3genE2ELNS1_11target_archE906ELNS1_3gpuE6ELNS1_3repE0EEENS1_30default_config_static_selectorELNS0_4arch9wavefront6targetE1EEEvT1_
; %bb.0:
	.section	.rodata,"a",@progbits
	.p2align	6, 0x0
	.amdhsa_kernel _ZN7rocprim17ROCPRIM_400000_NS6detail17trampoline_kernelINS0_14default_configENS1_25partition_config_selectorILNS1_17partition_subalgoE0ExNS0_10empty_typeEbEEZZNS1_14partition_implILS5_0ELb0ES3_jN6thrust23THRUST_200600_302600_NS6detail15normal_iteratorINSA_10device_ptrIxEEEEPS6_SG_NS0_5tupleIJNSA_16discard_iteratorINSA_11use_defaultEEESK_EEENSH_IJSG_SG_EEES6_PlJ7is_evenIxEEEE10hipError_tPvRmT3_T4_T5_T6_T7_T9_mT8_P12ihipStream_tbDpT10_ENKUlT_T0_E_clISt17integral_constantIbLb1EES19_EEDaS14_S15_EUlS14_E_NS1_11comp_targetILNS1_3genE2ELNS1_11target_archE906ELNS1_3gpuE6ELNS1_3repE0EEENS1_30default_config_static_selectorELNS0_4arch9wavefront6targetE1EEEvT1_
		.amdhsa_group_segment_fixed_size 0
		.amdhsa_private_segment_fixed_size 0
		.amdhsa_kernarg_size 152
		.amdhsa_user_sgpr_count 2
		.amdhsa_user_sgpr_dispatch_ptr 0
		.amdhsa_user_sgpr_queue_ptr 0
		.amdhsa_user_sgpr_kernarg_segment_ptr 1
		.amdhsa_user_sgpr_dispatch_id 0
		.amdhsa_user_sgpr_kernarg_preload_length 0
		.amdhsa_user_sgpr_kernarg_preload_offset 0
		.amdhsa_user_sgpr_private_segment_size 0
		.amdhsa_uses_dynamic_stack 0
		.amdhsa_enable_private_segment 0
		.amdhsa_system_sgpr_workgroup_id_x 1
		.amdhsa_system_sgpr_workgroup_id_y 0
		.amdhsa_system_sgpr_workgroup_id_z 0
		.amdhsa_system_sgpr_workgroup_info 0
		.amdhsa_system_vgpr_workitem_id 0
		.amdhsa_next_free_vgpr 1
		.amdhsa_next_free_sgpr 0
		.amdhsa_accum_offset 4
		.amdhsa_reserve_vcc 0
		.amdhsa_float_round_mode_32 0
		.amdhsa_float_round_mode_16_64 0
		.amdhsa_float_denorm_mode_32 3
		.amdhsa_float_denorm_mode_16_64 3
		.amdhsa_dx10_clamp 1
		.amdhsa_ieee_mode 1
		.amdhsa_fp16_overflow 0
		.amdhsa_tg_split 0
		.amdhsa_exception_fp_ieee_invalid_op 0
		.amdhsa_exception_fp_denorm_src 0
		.amdhsa_exception_fp_ieee_div_zero 0
		.amdhsa_exception_fp_ieee_overflow 0
		.amdhsa_exception_fp_ieee_underflow 0
		.amdhsa_exception_fp_ieee_inexact 0
		.amdhsa_exception_int_div_zero 0
	.end_amdhsa_kernel
	.section	.text._ZN7rocprim17ROCPRIM_400000_NS6detail17trampoline_kernelINS0_14default_configENS1_25partition_config_selectorILNS1_17partition_subalgoE0ExNS0_10empty_typeEbEEZZNS1_14partition_implILS5_0ELb0ES3_jN6thrust23THRUST_200600_302600_NS6detail15normal_iteratorINSA_10device_ptrIxEEEEPS6_SG_NS0_5tupleIJNSA_16discard_iteratorINSA_11use_defaultEEESK_EEENSH_IJSG_SG_EEES6_PlJ7is_evenIxEEEE10hipError_tPvRmT3_T4_T5_T6_T7_T9_mT8_P12ihipStream_tbDpT10_ENKUlT_T0_E_clISt17integral_constantIbLb1EES19_EEDaS14_S15_EUlS14_E_NS1_11comp_targetILNS1_3genE2ELNS1_11target_archE906ELNS1_3gpuE6ELNS1_3repE0EEENS1_30default_config_static_selectorELNS0_4arch9wavefront6targetE1EEEvT1_,"axG",@progbits,_ZN7rocprim17ROCPRIM_400000_NS6detail17trampoline_kernelINS0_14default_configENS1_25partition_config_selectorILNS1_17partition_subalgoE0ExNS0_10empty_typeEbEEZZNS1_14partition_implILS5_0ELb0ES3_jN6thrust23THRUST_200600_302600_NS6detail15normal_iteratorINSA_10device_ptrIxEEEEPS6_SG_NS0_5tupleIJNSA_16discard_iteratorINSA_11use_defaultEEESK_EEENSH_IJSG_SG_EEES6_PlJ7is_evenIxEEEE10hipError_tPvRmT3_T4_T5_T6_T7_T9_mT8_P12ihipStream_tbDpT10_ENKUlT_T0_E_clISt17integral_constantIbLb1EES19_EEDaS14_S15_EUlS14_E_NS1_11comp_targetILNS1_3genE2ELNS1_11target_archE906ELNS1_3gpuE6ELNS1_3repE0EEENS1_30default_config_static_selectorELNS0_4arch9wavefront6targetE1EEEvT1_,comdat
.Lfunc_end2599:
	.size	_ZN7rocprim17ROCPRIM_400000_NS6detail17trampoline_kernelINS0_14default_configENS1_25partition_config_selectorILNS1_17partition_subalgoE0ExNS0_10empty_typeEbEEZZNS1_14partition_implILS5_0ELb0ES3_jN6thrust23THRUST_200600_302600_NS6detail15normal_iteratorINSA_10device_ptrIxEEEEPS6_SG_NS0_5tupleIJNSA_16discard_iteratorINSA_11use_defaultEEESK_EEENSH_IJSG_SG_EEES6_PlJ7is_evenIxEEEE10hipError_tPvRmT3_T4_T5_T6_T7_T9_mT8_P12ihipStream_tbDpT10_ENKUlT_T0_E_clISt17integral_constantIbLb1EES19_EEDaS14_S15_EUlS14_E_NS1_11comp_targetILNS1_3genE2ELNS1_11target_archE906ELNS1_3gpuE6ELNS1_3repE0EEENS1_30default_config_static_selectorELNS0_4arch9wavefront6targetE1EEEvT1_, .Lfunc_end2599-_ZN7rocprim17ROCPRIM_400000_NS6detail17trampoline_kernelINS0_14default_configENS1_25partition_config_selectorILNS1_17partition_subalgoE0ExNS0_10empty_typeEbEEZZNS1_14partition_implILS5_0ELb0ES3_jN6thrust23THRUST_200600_302600_NS6detail15normal_iteratorINSA_10device_ptrIxEEEEPS6_SG_NS0_5tupleIJNSA_16discard_iteratorINSA_11use_defaultEEESK_EEENSH_IJSG_SG_EEES6_PlJ7is_evenIxEEEE10hipError_tPvRmT3_T4_T5_T6_T7_T9_mT8_P12ihipStream_tbDpT10_ENKUlT_T0_E_clISt17integral_constantIbLb1EES19_EEDaS14_S15_EUlS14_E_NS1_11comp_targetILNS1_3genE2ELNS1_11target_archE906ELNS1_3gpuE6ELNS1_3repE0EEENS1_30default_config_static_selectorELNS0_4arch9wavefront6targetE1EEEvT1_
                                        ; -- End function
	.section	.AMDGPU.csdata,"",@progbits
; Kernel info:
; codeLenInByte = 0
; NumSgprs: 6
; NumVgprs: 0
; NumAgprs: 0
; TotalNumVgprs: 0
; ScratchSize: 0
; MemoryBound: 0
; FloatMode: 240
; IeeeMode: 1
; LDSByteSize: 0 bytes/workgroup (compile time only)
; SGPRBlocks: 0
; VGPRBlocks: 0
; NumSGPRsForWavesPerEU: 6
; NumVGPRsForWavesPerEU: 1
; AccumOffset: 4
; Occupancy: 8
; WaveLimiterHint : 0
; COMPUTE_PGM_RSRC2:SCRATCH_EN: 0
; COMPUTE_PGM_RSRC2:USER_SGPR: 2
; COMPUTE_PGM_RSRC2:TRAP_HANDLER: 0
; COMPUTE_PGM_RSRC2:TGID_X_EN: 1
; COMPUTE_PGM_RSRC2:TGID_Y_EN: 0
; COMPUTE_PGM_RSRC2:TGID_Z_EN: 0
; COMPUTE_PGM_RSRC2:TIDIG_COMP_CNT: 0
; COMPUTE_PGM_RSRC3_GFX90A:ACCUM_OFFSET: 0
; COMPUTE_PGM_RSRC3_GFX90A:TG_SPLIT: 0
	.section	.text._ZN7rocprim17ROCPRIM_400000_NS6detail17trampoline_kernelINS0_14default_configENS1_25partition_config_selectorILNS1_17partition_subalgoE0ExNS0_10empty_typeEbEEZZNS1_14partition_implILS5_0ELb0ES3_jN6thrust23THRUST_200600_302600_NS6detail15normal_iteratorINSA_10device_ptrIxEEEEPS6_SG_NS0_5tupleIJNSA_16discard_iteratorINSA_11use_defaultEEESK_EEENSH_IJSG_SG_EEES6_PlJ7is_evenIxEEEE10hipError_tPvRmT3_T4_T5_T6_T7_T9_mT8_P12ihipStream_tbDpT10_ENKUlT_T0_E_clISt17integral_constantIbLb1EES19_EEDaS14_S15_EUlS14_E_NS1_11comp_targetILNS1_3genE10ELNS1_11target_archE1200ELNS1_3gpuE4ELNS1_3repE0EEENS1_30default_config_static_selectorELNS0_4arch9wavefront6targetE1EEEvT1_,"axG",@progbits,_ZN7rocprim17ROCPRIM_400000_NS6detail17trampoline_kernelINS0_14default_configENS1_25partition_config_selectorILNS1_17partition_subalgoE0ExNS0_10empty_typeEbEEZZNS1_14partition_implILS5_0ELb0ES3_jN6thrust23THRUST_200600_302600_NS6detail15normal_iteratorINSA_10device_ptrIxEEEEPS6_SG_NS0_5tupleIJNSA_16discard_iteratorINSA_11use_defaultEEESK_EEENSH_IJSG_SG_EEES6_PlJ7is_evenIxEEEE10hipError_tPvRmT3_T4_T5_T6_T7_T9_mT8_P12ihipStream_tbDpT10_ENKUlT_T0_E_clISt17integral_constantIbLb1EES19_EEDaS14_S15_EUlS14_E_NS1_11comp_targetILNS1_3genE10ELNS1_11target_archE1200ELNS1_3gpuE4ELNS1_3repE0EEENS1_30default_config_static_selectorELNS0_4arch9wavefront6targetE1EEEvT1_,comdat
	.protected	_ZN7rocprim17ROCPRIM_400000_NS6detail17trampoline_kernelINS0_14default_configENS1_25partition_config_selectorILNS1_17partition_subalgoE0ExNS0_10empty_typeEbEEZZNS1_14partition_implILS5_0ELb0ES3_jN6thrust23THRUST_200600_302600_NS6detail15normal_iteratorINSA_10device_ptrIxEEEEPS6_SG_NS0_5tupleIJNSA_16discard_iteratorINSA_11use_defaultEEESK_EEENSH_IJSG_SG_EEES6_PlJ7is_evenIxEEEE10hipError_tPvRmT3_T4_T5_T6_T7_T9_mT8_P12ihipStream_tbDpT10_ENKUlT_T0_E_clISt17integral_constantIbLb1EES19_EEDaS14_S15_EUlS14_E_NS1_11comp_targetILNS1_3genE10ELNS1_11target_archE1200ELNS1_3gpuE4ELNS1_3repE0EEENS1_30default_config_static_selectorELNS0_4arch9wavefront6targetE1EEEvT1_ ; -- Begin function _ZN7rocprim17ROCPRIM_400000_NS6detail17trampoline_kernelINS0_14default_configENS1_25partition_config_selectorILNS1_17partition_subalgoE0ExNS0_10empty_typeEbEEZZNS1_14partition_implILS5_0ELb0ES3_jN6thrust23THRUST_200600_302600_NS6detail15normal_iteratorINSA_10device_ptrIxEEEEPS6_SG_NS0_5tupleIJNSA_16discard_iteratorINSA_11use_defaultEEESK_EEENSH_IJSG_SG_EEES6_PlJ7is_evenIxEEEE10hipError_tPvRmT3_T4_T5_T6_T7_T9_mT8_P12ihipStream_tbDpT10_ENKUlT_T0_E_clISt17integral_constantIbLb1EES19_EEDaS14_S15_EUlS14_E_NS1_11comp_targetILNS1_3genE10ELNS1_11target_archE1200ELNS1_3gpuE4ELNS1_3repE0EEENS1_30default_config_static_selectorELNS0_4arch9wavefront6targetE1EEEvT1_
	.globl	_ZN7rocprim17ROCPRIM_400000_NS6detail17trampoline_kernelINS0_14default_configENS1_25partition_config_selectorILNS1_17partition_subalgoE0ExNS0_10empty_typeEbEEZZNS1_14partition_implILS5_0ELb0ES3_jN6thrust23THRUST_200600_302600_NS6detail15normal_iteratorINSA_10device_ptrIxEEEEPS6_SG_NS0_5tupleIJNSA_16discard_iteratorINSA_11use_defaultEEESK_EEENSH_IJSG_SG_EEES6_PlJ7is_evenIxEEEE10hipError_tPvRmT3_T4_T5_T6_T7_T9_mT8_P12ihipStream_tbDpT10_ENKUlT_T0_E_clISt17integral_constantIbLb1EES19_EEDaS14_S15_EUlS14_E_NS1_11comp_targetILNS1_3genE10ELNS1_11target_archE1200ELNS1_3gpuE4ELNS1_3repE0EEENS1_30default_config_static_selectorELNS0_4arch9wavefront6targetE1EEEvT1_
	.p2align	8
	.type	_ZN7rocprim17ROCPRIM_400000_NS6detail17trampoline_kernelINS0_14default_configENS1_25partition_config_selectorILNS1_17partition_subalgoE0ExNS0_10empty_typeEbEEZZNS1_14partition_implILS5_0ELb0ES3_jN6thrust23THRUST_200600_302600_NS6detail15normal_iteratorINSA_10device_ptrIxEEEEPS6_SG_NS0_5tupleIJNSA_16discard_iteratorINSA_11use_defaultEEESK_EEENSH_IJSG_SG_EEES6_PlJ7is_evenIxEEEE10hipError_tPvRmT3_T4_T5_T6_T7_T9_mT8_P12ihipStream_tbDpT10_ENKUlT_T0_E_clISt17integral_constantIbLb1EES19_EEDaS14_S15_EUlS14_E_NS1_11comp_targetILNS1_3genE10ELNS1_11target_archE1200ELNS1_3gpuE4ELNS1_3repE0EEENS1_30default_config_static_selectorELNS0_4arch9wavefront6targetE1EEEvT1_,@function
_ZN7rocprim17ROCPRIM_400000_NS6detail17trampoline_kernelINS0_14default_configENS1_25partition_config_selectorILNS1_17partition_subalgoE0ExNS0_10empty_typeEbEEZZNS1_14partition_implILS5_0ELb0ES3_jN6thrust23THRUST_200600_302600_NS6detail15normal_iteratorINSA_10device_ptrIxEEEEPS6_SG_NS0_5tupleIJNSA_16discard_iteratorINSA_11use_defaultEEESK_EEENSH_IJSG_SG_EEES6_PlJ7is_evenIxEEEE10hipError_tPvRmT3_T4_T5_T6_T7_T9_mT8_P12ihipStream_tbDpT10_ENKUlT_T0_E_clISt17integral_constantIbLb1EES19_EEDaS14_S15_EUlS14_E_NS1_11comp_targetILNS1_3genE10ELNS1_11target_archE1200ELNS1_3gpuE4ELNS1_3repE0EEENS1_30default_config_static_selectorELNS0_4arch9wavefront6targetE1EEEvT1_: ; @_ZN7rocprim17ROCPRIM_400000_NS6detail17trampoline_kernelINS0_14default_configENS1_25partition_config_selectorILNS1_17partition_subalgoE0ExNS0_10empty_typeEbEEZZNS1_14partition_implILS5_0ELb0ES3_jN6thrust23THRUST_200600_302600_NS6detail15normal_iteratorINSA_10device_ptrIxEEEEPS6_SG_NS0_5tupleIJNSA_16discard_iteratorINSA_11use_defaultEEESK_EEENSH_IJSG_SG_EEES6_PlJ7is_evenIxEEEE10hipError_tPvRmT3_T4_T5_T6_T7_T9_mT8_P12ihipStream_tbDpT10_ENKUlT_T0_E_clISt17integral_constantIbLb1EES19_EEDaS14_S15_EUlS14_E_NS1_11comp_targetILNS1_3genE10ELNS1_11target_archE1200ELNS1_3gpuE4ELNS1_3repE0EEENS1_30default_config_static_selectorELNS0_4arch9wavefront6targetE1EEEvT1_
; %bb.0:
	.section	.rodata,"a",@progbits
	.p2align	6, 0x0
	.amdhsa_kernel _ZN7rocprim17ROCPRIM_400000_NS6detail17trampoline_kernelINS0_14default_configENS1_25partition_config_selectorILNS1_17partition_subalgoE0ExNS0_10empty_typeEbEEZZNS1_14partition_implILS5_0ELb0ES3_jN6thrust23THRUST_200600_302600_NS6detail15normal_iteratorINSA_10device_ptrIxEEEEPS6_SG_NS0_5tupleIJNSA_16discard_iteratorINSA_11use_defaultEEESK_EEENSH_IJSG_SG_EEES6_PlJ7is_evenIxEEEE10hipError_tPvRmT3_T4_T5_T6_T7_T9_mT8_P12ihipStream_tbDpT10_ENKUlT_T0_E_clISt17integral_constantIbLb1EES19_EEDaS14_S15_EUlS14_E_NS1_11comp_targetILNS1_3genE10ELNS1_11target_archE1200ELNS1_3gpuE4ELNS1_3repE0EEENS1_30default_config_static_selectorELNS0_4arch9wavefront6targetE1EEEvT1_
		.amdhsa_group_segment_fixed_size 0
		.amdhsa_private_segment_fixed_size 0
		.amdhsa_kernarg_size 152
		.amdhsa_user_sgpr_count 2
		.amdhsa_user_sgpr_dispatch_ptr 0
		.amdhsa_user_sgpr_queue_ptr 0
		.amdhsa_user_sgpr_kernarg_segment_ptr 1
		.amdhsa_user_sgpr_dispatch_id 0
		.amdhsa_user_sgpr_kernarg_preload_length 0
		.amdhsa_user_sgpr_kernarg_preload_offset 0
		.amdhsa_user_sgpr_private_segment_size 0
		.amdhsa_uses_dynamic_stack 0
		.amdhsa_enable_private_segment 0
		.amdhsa_system_sgpr_workgroup_id_x 1
		.amdhsa_system_sgpr_workgroup_id_y 0
		.amdhsa_system_sgpr_workgroup_id_z 0
		.amdhsa_system_sgpr_workgroup_info 0
		.amdhsa_system_vgpr_workitem_id 0
		.amdhsa_next_free_vgpr 1
		.amdhsa_next_free_sgpr 0
		.amdhsa_accum_offset 4
		.amdhsa_reserve_vcc 0
		.amdhsa_float_round_mode_32 0
		.amdhsa_float_round_mode_16_64 0
		.amdhsa_float_denorm_mode_32 3
		.amdhsa_float_denorm_mode_16_64 3
		.amdhsa_dx10_clamp 1
		.amdhsa_ieee_mode 1
		.amdhsa_fp16_overflow 0
		.amdhsa_tg_split 0
		.amdhsa_exception_fp_ieee_invalid_op 0
		.amdhsa_exception_fp_denorm_src 0
		.amdhsa_exception_fp_ieee_div_zero 0
		.amdhsa_exception_fp_ieee_overflow 0
		.amdhsa_exception_fp_ieee_underflow 0
		.amdhsa_exception_fp_ieee_inexact 0
		.amdhsa_exception_int_div_zero 0
	.end_amdhsa_kernel
	.section	.text._ZN7rocprim17ROCPRIM_400000_NS6detail17trampoline_kernelINS0_14default_configENS1_25partition_config_selectorILNS1_17partition_subalgoE0ExNS0_10empty_typeEbEEZZNS1_14partition_implILS5_0ELb0ES3_jN6thrust23THRUST_200600_302600_NS6detail15normal_iteratorINSA_10device_ptrIxEEEEPS6_SG_NS0_5tupleIJNSA_16discard_iteratorINSA_11use_defaultEEESK_EEENSH_IJSG_SG_EEES6_PlJ7is_evenIxEEEE10hipError_tPvRmT3_T4_T5_T6_T7_T9_mT8_P12ihipStream_tbDpT10_ENKUlT_T0_E_clISt17integral_constantIbLb1EES19_EEDaS14_S15_EUlS14_E_NS1_11comp_targetILNS1_3genE10ELNS1_11target_archE1200ELNS1_3gpuE4ELNS1_3repE0EEENS1_30default_config_static_selectorELNS0_4arch9wavefront6targetE1EEEvT1_,"axG",@progbits,_ZN7rocprim17ROCPRIM_400000_NS6detail17trampoline_kernelINS0_14default_configENS1_25partition_config_selectorILNS1_17partition_subalgoE0ExNS0_10empty_typeEbEEZZNS1_14partition_implILS5_0ELb0ES3_jN6thrust23THRUST_200600_302600_NS6detail15normal_iteratorINSA_10device_ptrIxEEEEPS6_SG_NS0_5tupleIJNSA_16discard_iteratorINSA_11use_defaultEEESK_EEENSH_IJSG_SG_EEES6_PlJ7is_evenIxEEEE10hipError_tPvRmT3_T4_T5_T6_T7_T9_mT8_P12ihipStream_tbDpT10_ENKUlT_T0_E_clISt17integral_constantIbLb1EES19_EEDaS14_S15_EUlS14_E_NS1_11comp_targetILNS1_3genE10ELNS1_11target_archE1200ELNS1_3gpuE4ELNS1_3repE0EEENS1_30default_config_static_selectorELNS0_4arch9wavefront6targetE1EEEvT1_,comdat
.Lfunc_end2600:
	.size	_ZN7rocprim17ROCPRIM_400000_NS6detail17trampoline_kernelINS0_14default_configENS1_25partition_config_selectorILNS1_17partition_subalgoE0ExNS0_10empty_typeEbEEZZNS1_14partition_implILS5_0ELb0ES3_jN6thrust23THRUST_200600_302600_NS6detail15normal_iteratorINSA_10device_ptrIxEEEEPS6_SG_NS0_5tupleIJNSA_16discard_iteratorINSA_11use_defaultEEESK_EEENSH_IJSG_SG_EEES6_PlJ7is_evenIxEEEE10hipError_tPvRmT3_T4_T5_T6_T7_T9_mT8_P12ihipStream_tbDpT10_ENKUlT_T0_E_clISt17integral_constantIbLb1EES19_EEDaS14_S15_EUlS14_E_NS1_11comp_targetILNS1_3genE10ELNS1_11target_archE1200ELNS1_3gpuE4ELNS1_3repE0EEENS1_30default_config_static_selectorELNS0_4arch9wavefront6targetE1EEEvT1_, .Lfunc_end2600-_ZN7rocprim17ROCPRIM_400000_NS6detail17trampoline_kernelINS0_14default_configENS1_25partition_config_selectorILNS1_17partition_subalgoE0ExNS0_10empty_typeEbEEZZNS1_14partition_implILS5_0ELb0ES3_jN6thrust23THRUST_200600_302600_NS6detail15normal_iteratorINSA_10device_ptrIxEEEEPS6_SG_NS0_5tupleIJNSA_16discard_iteratorINSA_11use_defaultEEESK_EEENSH_IJSG_SG_EEES6_PlJ7is_evenIxEEEE10hipError_tPvRmT3_T4_T5_T6_T7_T9_mT8_P12ihipStream_tbDpT10_ENKUlT_T0_E_clISt17integral_constantIbLb1EES19_EEDaS14_S15_EUlS14_E_NS1_11comp_targetILNS1_3genE10ELNS1_11target_archE1200ELNS1_3gpuE4ELNS1_3repE0EEENS1_30default_config_static_selectorELNS0_4arch9wavefront6targetE1EEEvT1_
                                        ; -- End function
	.section	.AMDGPU.csdata,"",@progbits
; Kernel info:
; codeLenInByte = 0
; NumSgprs: 6
; NumVgprs: 0
; NumAgprs: 0
; TotalNumVgprs: 0
; ScratchSize: 0
; MemoryBound: 0
; FloatMode: 240
; IeeeMode: 1
; LDSByteSize: 0 bytes/workgroup (compile time only)
; SGPRBlocks: 0
; VGPRBlocks: 0
; NumSGPRsForWavesPerEU: 6
; NumVGPRsForWavesPerEU: 1
; AccumOffset: 4
; Occupancy: 8
; WaveLimiterHint : 0
; COMPUTE_PGM_RSRC2:SCRATCH_EN: 0
; COMPUTE_PGM_RSRC2:USER_SGPR: 2
; COMPUTE_PGM_RSRC2:TRAP_HANDLER: 0
; COMPUTE_PGM_RSRC2:TGID_X_EN: 1
; COMPUTE_PGM_RSRC2:TGID_Y_EN: 0
; COMPUTE_PGM_RSRC2:TGID_Z_EN: 0
; COMPUTE_PGM_RSRC2:TIDIG_COMP_CNT: 0
; COMPUTE_PGM_RSRC3_GFX90A:ACCUM_OFFSET: 0
; COMPUTE_PGM_RSRC3_GFX90A:TG_SPLIT: 0
	.section	.text._ZN7rocprim17ROCPRIM_400000_NS6detail17trampoline_kernelINS0_14default_configENS1_25partition_config_selectorILNS1_17partition_subalgoE0ExNS0_10empty_typeEbEEZZNS1_14partition_implILS5_0ELb0ES3_jN6thrust23THRUST_200600_302600_NS6detail15normal_iteratorINSA_10device_ptrIxEEEEPS6_SG_NS0_5tupleIJNSA_16discard_iteratorINSA_11use_defaultEEESK_EEENSH_IJSG_SG_EEES6_PlJ7is_evenIxEEEE10hipError_tPvRmT3_T4_T5_T6_T7_T9_mT8_P12ihipStream_tbDpT10_ENKUlT_T0_E_clISt17integral_constantIbLb1EES19_EEDaS14_S15_EUlS14_E_NS1_11comp_targetILNS1_3genE9ELNS1_11target_archE1100ELNS1_3gpuE3ELNS1_3repE0EEENS1_30default_config_static_selectorELNS0_4arch9wavefront6targetE1EEEvT1_,"axG",@progbits,_ZN7rocprim17ROCPRIM_400000_NS6detail17trampoline_kernelINS0_14default_configENS1_25partition_config_selectorILNS1_17partition_subalgoE0ExNS0_10empty_typeEbEEZZNS1_14partition_implILS5_0ELb0ES3_jN6thrust23THRUST_200600_302600_NS6detail15normal_iteratorINSA_10device_ptrIxEEEEPS6_SG_NS0_5tupleIJNSA_16discard_iteratorINSA_11use_defaultEEESK_EEENSH_IJSG_SG_EEES6_PlJ7is_evenIxEEEE10hipError_tPvRmT3_T4_T5_T6_T7_T9_mT8_P12ihipStream_tbDpT10_ENKUlT_T0_E_clISt17integral_constantIbLb1EES19_EEDaS14_S15_EUlS14_E_NS1_11comp_targetILNS1_3genE9ELNS1_11target_archE1100ELNS1_3gpuE3ELNS1_3repE0EEENS1_30default_config_static_selectorELNS0_4arch9wavefront6targetE1EEEvT1_,comdat
	.protected	_ZN7rocprim17ROCPRIM_400000_NS6detail17trampoline_kernelINS0_14default_configENS1_25partition_config_selectorILNS1_17partition_subalgoE0ExNS0_10empty_typeEbEEZZNS1_14partition_implILS5_0ELb0ES3_jN6thrust23THRUST_200600_302600_NS6detail15normal_iteratorINSA_10device_ptrIxEEEEPS6_SG_NS0_5tupleIJNSA_16discard_iteratorINSA_11use_defaultEEESK_EEENSH_IJSG_SG_EEES6_PlJ7is_evenIxEEEE10hipError_tPvRmT3_T4_T5_T6_T7_T9_mT8_P12ihipStream_tbDpT10_ENKUlT_T0_E_clISt17integral_constantIbLb1EES19_EEDaS14_S15_EUlS14_E_NS1_11comp_targetILNS1_3genE9ELNS1_11target_archE1100ELNS1_3gpuE3ELNS1_3repE0EEENS1_30default_config_static_selectorELNS0_4arch9wavefront6targetE1EEEvT1_ ; -- Begin function _ZN7rocprim17ROCPRIM_400000_NS6detail17trampoline_kernelINS0_14default_configENS1_25partition_config_selectorILNS1_17partition_subalgoE0ExNS0_10empty_typeEbEEZZNS1_14partition_implILS5_0ELb0ES3_jN6thrust23THRUST_200600_302600_NS6detail15normal_iteratorINSA_10device_ptrIxEEEEPS6_SG_NS0_5tupleIJNSA_16discard_iteratorINSA_11use_defaultEEESK_EEENSH_IJSG_SG_EEES6_PlJ7is_evenIxEEEE10hipError_tPvRmT3_T4_T5_T6_T7_T9_mT8_P12ihipStream_tbDpT10_ENKUlT_T0_E_clISt17integral_constantIbLb1EES19_EEDaS14_S15_EUlS14_E_NS1_11comp_targetILNS1_3genE9ELNS1_11target_archE1100ELNS1_3gpuE3ELNS1_3repE0EEENS1_30default_config_static_selectorELNS0_4arch9wavefront6targetE1EEEvT1_
	.globl	_ZN7rocprim17ROCPRIM_400000_NS6detail17trampoline_kernelINS0_14default_configENS1_25partition_config_selectorILNS1_17partition_subalgoE0ExNS0_10empty_typeEbEEZZNS1_14partition_implILS5_0ELb0ES3_jN6thrust23THRUST_200600_302600_NS6detail15normal_iteratorINSA_10device_ptrIxEEEEPS6_SG_NS0_5tupleIJNSA_16discard_iteratorINSA_11use_defaultEEESK_EEENSH_IJSG_SG_EEES6_PlJ7is_evenIxEEEE10hipError_tPvRmT3_T4_T5_T6_T7_T9_mT8_P12ihipStream_tbDpT10_ENKUlT_T0_E_clISt17integral_constantIbLb1EES19_EEDaS14_S15_EUlS14_E_NS1_11comp_targetILNS1_3genE9ELNS1_11target_archE1100ELNS1_3gpuE3ELNS1_3repE0EEENS1_30default_config_static_selectorELNS0_4arch9wavefront6targetE1EEEvT1_
	.p2align	8
	.type	_ZN7rocprim17ROCPRIM_400000_NS6detail17trampoline_kernelINS0_14default_configENS1_25partition_config_selectorILNS1_17partition_subalgoE0ExNS0_10empty_typeEbEEZZNS1_14partition_implILS5_0ELb0ES3_jN6thrust23THRUST_200600_302600_NS6detail15normal_iteratorINSA_10device_ptrIxEEEEPS6_SG_NS0_5tupleIJNSA_16discard_iteratorINSA_11use_defaultEEESK_EEENSH_IJSG_SG_EEES6_PlJ7is_evenIxEEEE10hipError_tPvRmT3_T4_T5_T6_T7_T9_mT8_P12ihipStream_tbDpT10_ENKUlT_T0_E_clISt17integral_constantIbLb1EES19_EEDaS14_S15_EUlS14_E_NS1_11comp_targetILNS1_3genE9ELNS1_11target_archE1100ELNS1_3gpuE3ELNS1_3repE0EEENS1_30default_config_static_selectorELNS0_4arch9wavefront6targetE1EEEvT1_,@function
_ZN7rocprim17ROCPRIM_400000_NS6detail17trampoline_kernelINS0_14default_configENS1_25partition_config_selectorILNS1_17partition_subalgoE0ExNS0_10empty_typeEbEEZZNS1_14partition_implILS5_0ELb0ES3_jN6thrust23THRUST_200600_302600_NS6detail15normal_iteratorINSA_10device_ptrIxEEEEPS6_SG_NS0_5tupleIJNSA_16discard_iteratorINSA_11use_defaultEEESK_EEENSH_IJSG_SG_EEES6_PlJ7is_evenIxEEEE10hipError_tPvRmT3_T4_T5_T6_T7_T9_mT8_P12ihipStream_tbDpT10_ENKUlT_T0_E_clISt17integral_constantIbLb1EES19_EEDaS14_S15_EUlS14_E_NS1_11comp_targetILNS1_3genE9ELNS1_11target_archE1100ELNS1_3gpuE3ELNS1_3repE0EEENS1_30default_config_static_selectorELNS0_4arch9wavefront6targetE1EEEvT1_: ; @_ZN7rocprim17ROCPRIM_400000_NS6detail17trampoline_kernelINS0_14default_configENS1_25partition_config_selectorILNS1_17partition_subalgoE0ExNS0_10empty_typeEbEEZZNS1_14partition_implILS5_0ELb0ES3_jN6thrust23THRUST_200600_302600_NS6detail15normal_iteratorINSA_10device_ptrIxEEEEPS6_SG_NS0_5tupleIJNSA_16discard_iteratorINSA_11use_defaultEEESK_EEENSH_IJSG_SG_EEES6_PlJ7is_evenIxEEEE10hipError_tPvRmT3_T4_T5_T6_T7_T9_mT8_P12ihipStream_tbDpT10_ENKUlT_T0_E_clISt17integral_constantIbLb1EES19_EEDaS14_S15_EUlS14_E_NS1_11comp_targetILNS1_3genE9ELNS1_11target_archE1100ELNS1_3gpuE3ELNS1_3repE0EEENS1_30default_config_static_selectorELNS0_4arch9wavefront6targetE1EEEvT1_
; %bb.0:
	.section	.rodata,"a",@progbits
	.p2align	6, 0x0
	.amdhsa_kernel _ZN7rocprim17ROCPRIM_400000_NS6detail17trampoline_kernelINS0_14default_configENS1_25partition_config_selectorILNS1_17partition_subalgoE0ExNS0_10empty_typeEbEEZZNS1_14partition_implILS5_0ELb0ES3_jN6thrust23THRUST_200600_302600_NS6detail15normal_iteratorINSA_10device_ptrIxEEEEPS6_SG_NS0_5tupleIJNSA_16discard_iteratorINSA_11use_defaultEEESK_EEENSH_IJSG_SG_EEES6_PlJ7is_evenIxEEEE10hipError_tPvRmT3_T4_T5_T6_T7_T9_mT8_P12ihipStream_tbDpT10_ENKUlT_T0_E_clISt17integral_constantIbLb1EES19_EEDaS14_S15_EUlS14_E_NS1_11comp_targetILNS1_3genE9ELNS1_11target_archE1100ELNS1_3gpuE3ELNS1_3repE0EEENS1_30default_config_static_selectorELNS0_4arch9wavefront6targetE1EEEvT1_
		.amdhsa_group_segment_fixed_size 0
		.amdhsa_private_segment_fixed_size 0
		.amdhsa_kernarg_size 152
		.amdhsa_user_sgpr_count 2
		.amdhsa_user_sgpr_dispatch_ptr 0
		.amdhsa_user_sgpr_queue_ptr 0
		.amdhsa_user_sgpr_kernarg_segment_ptr 1
		.amdhsa_user_sgpr_dispatch_id 0
		.amdhsa_user_sgpr_kernarg_preload_length 0
		.amdhsa_user_sgpr_kernarg_preload_offset 0
		.amdhsa_user_sgpr_private_segment_size 0
		.amdhsa_uses_dynamic_stack 0
		.amdhsa_enable_private_segment 0
		.amdhsa_system_sgpr_workgroup_id_x 1
		.amdhsa_system_sgpr_workgroup_id_y 0
		.amdhsa_system_sgpr_workgroup_id_z 0
		.amdhsa_system_sgpr_workgroup_info 0
		.amdhsa_system_vgpr_workitem_id 0
		.amdhsa_next_free_vgpr 1
		.amdhsa_next_free_sgpr 0
		.amdhsa_accum_offset 4
		.amdhsa_reserve_vcc 0
		.amdhsa_float_round_mode_32 0
		.amdhsa_float_round_mode_16_64 0
		.amdhsa_float_denorm_mode_32 3
		.amdhsa_float_denorm_mode_16_64 3
		.amdhsa_dx10_clamp 1
		.amdhsa_ieee_mode 1
		.amdhsa_fp16_overflow 0
		.amdhsa_tg_split 0
		.amdhsa_exception_fp_ieee_invalid_op 0
		.amdhsa_exception_fp_denorm_src 0
		.amdhsa_exception_fp_ieee_div_zero 0
		.amdhsa_exception_fp_ieee_overflow 0
		.amdhsa_exception_fp_ieee_underflow 0
		.amdhsa_exception_fp_ieee_inexact 0
		.amdhsa_exception_int_div_zero 0
	.end_amdhsa_kernel
	.section	.text._ZN7rocprim17ROCPRIM_400000_NS6detail17trampoline_kernelINS0_14default_configENS1_25partition_config_selectorILNS1_17partition_subalgoE0ExNS0_10empty_typeEbEEZZNS1_14partition_implILS5_0ELb0ES3_jN6thrust23THRUST_200600_302600_NS6detail15normal_iteratorINSA_10device_ptrIxEEEEPS6_SG_NS0_5tupleIJNSA_16discard_iteratorINSA_11use_defaultEEESK_EEENSH_IJSG_SG_EEES6_PlJ7is_evenIxEEEE10hipError_tPvRmT3_T4_T5_T6_T7_T9_mT8_P12ihipStream_tbDpT10_ENKUlT_T0_E_clISt17integral_constantIbLb1EES19_EEDaS14_S15_EUlS14_E_NS1_11comp_targetILNS1_3genE9ELNS1_11target_archE1100ELNS1_3gpuE3ELNS1_3repE0EEENS1_30default_config_static_selectorELNS0_4arch9wavefront6targetE1EEEvT1_,"axG",@progbits,_ZN7rocprim17ROCPRIM_400000_NS6detail17trampoline_kernelINS0_14default_configENS1_25partition_config_selectorILNS1_17partition_subalgoE0ExNS0_10empty_typeEbEEZZNS1_14partition_implILS5_0ELb0ES3_jN6thrust23THRUST_200600_302600_NS6detail15normal_iteratorINSA_10device_ptrIxEEEEPS6_SG_NS0_5tupleIJNSA_16discard_iteratorINSA_11use_defaultEEESK_EEENSH_IJSG_SG_EEES6_PlJ7is_evenIxEEEE10hipError_tPvRmT3_T4_T5_T6_T7_T9_mT8_P12ihipStream_tbDpT10_ENKUlT_T0_E_clISt17integral_constantIbLb1EES19_EEDaS14_S15_EUlS14_E_NS1_11comp_targetILNS1_3genE9ELNS1_11target_archE1100ELNS1_3gpuE3ELNS1_3repE0EEENS1_30default_config_static_selectorELNS0_4arch9wavefront6targetE1EEEvT1_,comdat
.Lfunc_end2601:
	.size	_ZN7rocprim17ROCPRIM_400000_NS6detail17trampoline_kernelINS0_14default_configENS1_25partition_config_selectorILNS1_17partition_subalgoE0ExNS0_10empty_typeEbEEZZNS1_14partition_implILS5_0ELb0ES3_jN6thrust23THRUST_200600_302600_NS6detail15normal_iteratorINSA_10device_ptrIxEEEEPS6_SG_NS0_5tupleIJNSA_16discard_iteratorINSA_11use_defaultEEESK_EEENSH_IJSG_SG_EEES6_PlJ7is_evenIxEEEE10hipError_tPvRmT3_T4_T5_T6_T7_T9_mT8_P12ihipStream_tbDpT10_ENKUlT_T0_E_clISt17integral_constantIbLb1EES19_EEDaS14_S15_EUlS14_E_NS1_11comp_targetILNS1_3genE9ELNS1_11target_archE1100ELNS1_3gpuE3ELNS1_3repE0EEENS1_30default_config_static_selectorELNS0_4arch9wavefront6targetE1EEEvT1_, .Lfunc_end2601-_ZN7rocprim17ROCPRIM_400000_NS6detail17trampoline_kernelINS0_14default_configENS1_25partition_config_selectorILNS1_17partition_subalgoE0ExNS0_10empty_typeEbEEZZNS1_14partition_implILS5_0ELb0ES3_jN6thrust23THRUST_200600_302600_NS6detail15normal_iteratorINSA_10device_ptrIxEEEEPS6_SG_NS0_5tupleIJNSA_16discard_iteratorINSA_11use_defaultEEESK_EEENSH_IJSG_SG_EEES6_PlJ7is_evenIxEEEE10hipError_tPvRmT3_T4_T5_T6_T7_T9_mT8_P12ihipStream_tbDpT10_ENKUlT_T0_E_clISt17integral_constantIbLb1EES19_EEDaS14_S15_EUlS14_E_NS1_11comp_targetILNS1_3genE9ELNS1_11target_archE1100ELNS1_3gpuE3ELNS1_3repE0EEENS1_30default_config_static_selectorELNS0_4arch9wavefront6targetE1EEEvT1_
                                        ; -- End function
	.section	.AMDGPU.csdata,"",@progbits
; Kernel info:
; codeLenInByte = 0
; NumSgprs: 6
; NumVgprs: 0
; NumAgprs: 0
; TotalNumVgprs: 0
; ScratchSize: 0
; MemoryBound: 0
; FloatMode: 240
; IeeeMode: 1
; LDSByteSize: 0 bytes/workgroup (compile time only)
; SGPRBlocks: 0
; VGPRBlocks: 0
; NumSGPRsForWavesPerEU: 6
; NumVGPRsForWavesPerEU: 1
; AccumOffset: 4
; Occupancy: 8
; WaveLimiterHint : 0
; COMPUTE_PGM_RSRC2:SCRATCH_EN: 0
; COMPUTE_PGM_RSRC2:USER_SGPR: 2
; COMPUTE_PGM_RSRC2:TRAP_HANDLER: 0
; COMPUTE_PGM_RSRC2:TGID_X_EN: 1
; COMPUTE_PGM_RSRC2:TGID_Y_EN: 0
; COMPUTE_PGM_RSRC2:TGID_Z_EN: 0
; COMPUTE_PGM_RSRC2:TIDIG_COMP_CNT: 0
; COMPUTE_PGM_RSRC3_GFX90A:ACCUM_OFFSET: 0
; COMPUTE_PGM_RSRC3_GFX90A:TG_SPLIT: 0
	.section	.text._ZN7rocprim17ROCPRIM_400000_NS6detail17trampoline_kernelINS0_14default_configENS1_25partition_config_selectorILNS1_17partition_subalgoE0ExNS0_10empty_typeEbEEZZNS1_14partition_implILS5_0ELb0ES3_jN6thrust23THRUST_200600_302600_NS6detail15normal_iteratorINSA_10device_ptrIxEEEEPS6_SG_NS0_5tupleIJNSA_16discard_iteratorINSA_11use_defaultEEESK_EEENSH_IJSG_SG_EEES6_PlJ7is_evenIxEEEE10hipError_tPvRmT3_T4_T5_T6_T7_T9_mT8_P12ihipStream_tbDpT10_ENKUlT_T0_E_clISt17integral_constantIbLb1EES19_EEDaS14_S15_EUlS14_E_NS1_11comp_targetILNS1_3genE8ELNS1_11target_archE1030ELNS1_3gpuE2ELNS1_3repE0EEENS1_30default_config_static_selectorELNS0_4arch9wavefront6targetE1EEEvT1_,"axG",@progbits,_ZN7rocprim17ROCPRIM_400000_NS6detail17trampoline_kernelINS0_14default_configENS1_25partition_config_selectorILNS1_17partition_subalgoE0ExNS0_10empty_typeEbEEZZNS1_14partition_implILS5_0ELb0ES3_jN6thrust23THRUST_200600_302600_NS6detail15normal_iteratorINSA_10device_ptrIxEEEEPS6_SG_NS0_5tupleIJNSA_16discard_iteratorINSA_11use_defaultEEESK_EEENSH_IJSG_SG_EEES6_PlJ7is_evenIxEEEE10hipError_tPvRmT3_T4_T5_T6_T7_T9_mT8_P12ihipStream_tbDpT10_ENKUlT_T0_E_clISt17integral_constantIbLb1EES19_EEDaS14_S15_EUlS14_E_NS1_11comp_targetILNS1_3genE8ELNS1_11target_archE1030ELNS1_3gpuE2ELNS1_3repE0EEENS1_30default_config_static_selectorELNS0_4arch9wavefront6targetE1EEEvT1_,comdat
	.protected	_ZN7rocprim17ROCPRIM_400000_NS6detail17trampoline_kernelINS0_14default_configENS1_25partition_config_selectorILNS1_17partition_subalgoE0ExNS0_10empty_typeEbEEZZNS1_14partition_implILS5_0ELb0ES3_jN6thrust23THRUST_200600_302600_NS6detail15normal_iteratorINSA_10device_ptrIxEEEEPS6_SG_NS0_5tupleIJNSA_16discard_iteratorINSA_11use_defaultEEESK_EEENSH_IJSG_SG_EEES6_PlJ7is_evenIxEEEE10hipError_tPvRmT3_T4_T5_T6_T7_T9_mT8_P12ihipStream_tbDpT10_ENKUlT_T0_E_clISt17integral_constantIbLb1EES19_EEDaS14_S15_EUlS14_E_NS1_11comp_targetILNS1_3genE8ELNS1_11target_archE1030ELNS1_3gpuE2ELNS1_3repE0EEENS1_30default_config_static_selectorELNS0_4arch9wavefront6targetE1EEEvT1_ ; -- Begin function _ZN7rocprim17ROCPRIM_400000_NS6detail17trampoline_kernelINS0_14default_configENS1_25partition_config_selectorILNS1_17partition_subalgoE0ExNS0_10empty_typeEbEEZZNS1_14partition_implILS5_0ELb0ES3_jN6thrust23THRUST_200600_302600_NS6detail15normal_iteratorINSA_10device_ptrIxEEEEPS6_SG_NS0_5tupleIJNSA_16discard_iteratorINSA_11use_defaultEEESK_EEENSH_IJSG_SG_EEES6_PlJ7is_evenIxEEEE10hipError_tPvRmT3_T4_T5_T6_T7_T9_mT8_P12ihipStream_tbDpT10_ENKUlT_T0_E_clISt17integral_constantIbLb1EES19_EEDaS14_S15_EUlS14_E_NS1_11comp_targetILNS1_3genE8ELNS1_11target_archE1030ELNS1_3gpuE2ELNS1_3repE0EEENS1_30default_config_static_selectorELNS0_4arch9wavefront6targetE1EEEvT1_
	.globl	_ZN7rocprim17ROCPRIM_400000_NS6detail17trampoline_kernelINS0_14default_configENS1_25partition_config_selectorILNS1_17partition_subalgoE0ExNS0_10empty_typeEbEEZZNS1_14partition_implILS5_0ELb0ES3_jN6thrust23THRUST_200600_302600_NS6detail15normal_iteratorINSA_10device_ptrIxEEEEPS6_SG_NS0_5tupleIJNSA_16discard_iteratorINSA_11use_defaultEEESK_EEENSH_IJSG_SG_EEES6_PlJ7is_evenIxEEEE10hipError_tPvRmT3_T4_T5_T6_T7_T9_mT8_P12ihipStream_tbDpT10_ENKUlT_T0_E_clISt17integral_constantIbLb1EES19_EEDaS14_S15_EUlS14_E_NS1_11comp_targetILNS1_3genE8ELNS1_11target_archE1030ELNS1_3gpuE2ELNS1_3repE0EEENS1_30default_config_static_selectorELNS0_4arch9wavefront6targetE1EEEvT1_
	.p2align	8
	.type	_ZN7rocprim17ROCPRIM_400000_NS6detail17trampoline_kernelINS0_14default_configENS1_25partition_config_selectorILNS1_17partition_subalgoE0ExNS0_10empty_typeEbEEZZNS1_14partition_implILS5_0ELb0ES3_jN6thrust23THRUST_200600_302600_NS6detail15normal_iteratorINSA_10device_ptrIxEEEEPS6_SG_NS0_5tupleIJNSA_16discard_iteratorINSA_11use_defaultEEESK_EEENSH_IJSG_SG_EEES6_PlJ7is_evenIxEEEE10hipError_tPvRmT3_T4_T5_T6_T7_T9_mT8_P12ihipStream_tbDpT10_ENKUlT_T0_E_clISt17integral_constantIbLb1EES19_EEDaS14_S15_EUlS14_E_NS1_11comp_targetILNS1_3genE8ELNS1_11target_archE1030ELNS1_3gpuE2ELNS1_3repE0EEENS1_30default_config_static_selectorELNS0_4arch9wavefront6targetE1EEEvT1_,@function
_ZN7rocprim17ROCPRIM_400000_NS6detail17trampoline_kernelINS0_14default_configENS1_25partition_config_selectorILNS1_17partition_subalgoE0ExNS0_10empty_typeEbEEZZNS1_14partition_implILS5_0ELb0ES3_jN6thrust23THRUST_200600_302600_NS6detail15normal_iteratorINSA_10device_ptrIxEEEEPS6_SG_NS0_5tupleIJNSA_16discard_iteratorINSA_11use_defaultEEESK_EEENSH_IJSG_SG_EEES6_PlJ7is_evenIxEEEE10hipError_tPvRmT3_T4_T5_T6_T7_T9_mT8_P12ihipStream_tbDpT10_ENKUlT_T0_E_clISt17integral_constantIbLb1EES19_EEDaS14_S15_EUlS14_E_NS1_11comp_targetILNS1_3genE8ELNS1_11target_archE1030ELNS1_3gpuE2ELNS1_3repE0EEENS1_30default_config_static_selectorELNS0_4arch9wavefront6targetE1EEEvT1_: ; @_ZN7rocprim17ROCPRIM_400000_NS6detail17trampoline_kernelINS0_14default_configENS1_25partition_config_selectorILNS1_17partition_subalgoE0ExNS0_10empty_typeEbEEZZNS1_14partition_implILS5_0ELb0ES3_jN6thrust23THRUST_200600_302600_NS6detail15normal_iteratorINSA_10device_ptrIxEEEEPS6_SG_NS0_5tupleIJNSA_16discard_iteratorINSA_11use_defaultEEESK_EEENSH_IJSG_SG_EEES6_PlJ7is_evenIxEEEE10hipError_tPvRmT3_T4_T5_T6_T7_T9_mT8_P12ihipStream_tbDpT10_ENKUlT_T0_E_clISt17integral_constantIbLb1EES19_EEDaS14_S15_EUlS14_E_NS1_11comp_targetILNS1_3genE8ELNS1_11target_archE1030ELNS1_3gpuE2ELNS1_3repE0EEENS1_30default_config_static_selectorELNS0_4arch9wavefront6targetE1EEEvT1_
; %bb.0:
	.section	.rodata,"a",@progbits
	.p2align	6, 0x0
	.amdhsa_kernel _ZN7rocprim17ROCPRIM_400000_NS6detail17trampoline_kernelINS0_14default_configENS1_25partition_config_selectorILNS1_17partition_subalgoE0ExNS0_10empty_typeEbEEZZNS1_14partition_implILS5_0ELb0ES3_jN6thrust23THRUST_200600_302600_NS6detail15normal_iteratorINSA_10device_ptrIxEEEEPS6_SG_NS0_5tupleIJNSA_16discard_iteratorINSA_11use_defaultEEESK_EEENSH_IJSG_SG_EEES6_PlJ7is_evenIxEEEE10hipError_tPvRmT3_T4_T5_T6_T7_T9_mT8_P12ihipStream_tbDpT10_ENKUlT_T0_E_clISt17integral_constantIbLb1EES19_EEDaS14_S15_EUlS14_E_NS1_11comp_targetILNS1_3genE8ELNS1_11target_archE1030ELNS1_3gpuE2ELNS1_3repE0EEENS1_30default_config_static_selectorELNS0_4arch9wavefront6targetE1EEEvT1_
		.amdhsa_group_segment_fixed_size 0
		.amdhsa_private_segment_fixed_size 0
		.amdhsa_kernarg_size 152
		.amdhsa_user_sgpr_count 2
		.amdhsa_user_sgpr_dispatch_ptr 0
		.amdhsa_user_sgpr_queue_ptr 0
		.amdhsa_user_sgpr_kernarg_segment_ptr 1
		.amdhsa_user_sgpr_dispatch_id 0
		.amdhsa_user_sgpr_kernarg_preload_length 0
		.amdhsa_user_sgpr_kernarg_preload_offset 0
		.amdhsa_user_sgpr_private_segment_size 0
		.amdhsa_uses_dynamic_stack 0
		.amdhsa_enable_private_segment 0
		.amdhsa_system_sgpr_workgroup_id_x 1
		.amdhsa_system_sgpr_workgroup_id_y 0
		.amdhsa_system_sgpr_workgroup_id_z 0
		.amdhsa_system_sgpr_workgroup_info 0
		.amdhsa_system_vgpr_workitem_id 0
		.amdhsa_next_free_vgpr 1
		.amdhsa_next_free_sgpr 0
		.amdhsa_accum_offset 4
		.amdhsa_reserve_vcc 0
		.amdhsa_float_round_mode_32 0
		.amdhsa_float_round_mode_16_64 0
		.amdhsa_float_denorm_mode_32 3
		.amdhsa_float_denorm_mode_16_64 3
		.amdhsa_dx10_clamp 1
		.amdhsa_ieee_mode 1
		.amdhsa_fp16_overflow 0
		.amdhsa_tg_split 0
		.amdhsa_exception_fp_ieee_invalid_op 0
		.amdhsa_exception_fp_denorm_src 0
		.amdhsa_exception_fp_ieee_div_zero 0
		.amdhsa_exception_fp_ieee_overflow 0
		.amdhsa_exception_fp_ieee_underflow 0
		.amdhsa_exception_fp_ieee_inexact 0
		.amdhsa_exception_int_div_zero 0
	.end_amdhsa_kernel
	.section	.text._ZN7rocprim17ROCPRIM_400000_NS6detail17trampoline_kernelINS0_14default_configENS1_25partition_config_selectorILNS1_17partition_subalgoE0ExNS0_10empty_typeEbEEZZNS1_14partition_implILS5_0ELb0ES3_jN6thrust23THRUST_200600_302600_NS6detail15normal_iteratorINSA_10device_ptrIxEEEEPS6_SG_NS0_5tupleIJNSA_16discard_iteratorINSA_11use_defaultEEESK_EEENSH_IJSG_SG_EEES6_PlJ7is_evenIxEEEE10hipError_tPvRmT3_T4_T5_T6_T7_T9_mT8_P12ihipStream_tbDpT10_ENKUlT_T0_E_clISt17integral_constantIbLb1EES19_EEDaS14_S15_EUlS14_E_NS1_11comp_targetILNS1_3genE8ELNS1_11target_archE1030ELNS1_3gpuE2ELNS1_3repE0EEENS1_30default_config_static_selectorELNS0_4arch9wavefront6targetE1EEEvT1_,"axG",@progbits,_ZN7rocprim17ROCPRIM_400000_NS6detail17trampoline_kernelINS0_14default_configENS1_25partition_config_selectorILNS1_17partition_subalgoE0ExNS0_10empty_typeEbEEZZNS1_14partition_implILS5_0ELb0ES3_jN6thrust23THRUST_200600_302600_NS6detail15normal_iteratorINSA_10device_ptrIxEEEEPS6_SG_NS0_5tupleIJNSA_16discard_iteratorINSA_11use_defaultEEESK_EEENSH_IJSG_SG_EEES6_PlJ7is_evenIxEEEE10hipError_tPvRmT3_T4_T5_T6_T7_T9_mT8_P12ihipStream_tbDpT10_ENKUlT_T0_E_clISt17integral_constantIbLb1EES19_EEDaS14_S15_EUlS14_E_NS1_11comp_targetILNS1_3genE8ELNS1_11target_archE1030ELNS1_3gpuE2ELNS1_3repE0EEENS1_30default_config_static_selectorELNS0_4arch9wavefront6targetE1EEEvT1_,comdat
.Lfunc_end2602:
	.size	_ZN7rocprim17ROCPRIM_400000_NS6detail17trampoline_kernelINS0_14default_configENS1_25partition_config_selectorILNS1_17partition_subalgoE0ExNS0_10empty_typeEbEEZZNS1_14partition_implILS5_0ELb0ES3_jN6thrust23THRUST_200600_302600_NS6detail15normal_iteratorINSA_10device_ptrIxEEEEPS6_SG_NS0_5tupleIJNSA_16discard_iteratorINSA_11use_defaultEEESK_EEENSH_IJSG_SG_EEES6_PlJ7is_evenIxEEEE10hipError_tPvRmT3_T4_T5_T6_T7_T9_mT8_P12ihipStream_tbDpT10_ENKUlT_T0_E_clISt17integral_constantIbLb1EES19_EEDaS14_S15_EUlS14_E_NS1_11comp_targetILNS1_3genE8ELNS1_11target_archE1030ELNS1_3gpuE2ELNS1_3repE0EEENS1_30default_config_static_selectorELNS0_4arch9wavefront6targetE1EEEvT1_, .Lfunc_end2602-_ZN7rocprim17ROCPRIM_400000_NS6detail17trampoline_kernelINS0_14default_configENS1_25partition_config_selectorILNS1_17partition_subalgoE0ExNS0_10empty_typeEbEEZZNS1_14partition_implILS5_0ELb0ES3_jN6thrust23THRUST_200600_302600_NS6detail15normal_iteratorINSA_10device_ptrIxEEEEPS6_SG_NS0_5tupleIJNSA_16discard_iteratorINSA_11use_defaultEEESK_EEENSH_IJSG_SG_EEES6_PlJ7is_evenIxEEEE10hipError_tPvRmT3_T4_T5_T6_T7_T9_mT8_P12ihipStream_tbDpT10_ENKUlT_T0_E_clISt17integral_constantIbLb1EES19_EEDaS14_S15_EUlS14_E_NS1_11comp_targetILNS1_3genE8ELNS1_11target_archE1030ELNS1_3gpuE2ELNS1_3repE0EEENS1_30default_config_static_selectorELNS0_4arch9wavefront6targetE1EEEvT1_
                                        ; -- End function
	.section	.AMDGPU.csdata,"",@progbits
; Kernel info:
; codeLenInByte = 0
; NumSgprs: 6
; NumVgprs: 0
; NumAgprs: 0
; TotalNumVgprs: 0
; ScratchSize: 0
; MemoryBound: 0
; FloatMode: 240
; IeeeMode: 1
; LDSByteSize: 0 bytes/workgroup (compile time only)
; SGPRBlocks: 0
; VGPRBlocks: 0
; NumSGPRsForWavesPerEU: 6
; NumVGPRsForWavesPerEU: 1
; AccumOffset: 4
; Occupancy: 8
; WaveLimiterHint : 0
; COMPUTE_PGM_RSRC2:SCRATCH_EN: 0
; COMPUTE_PGM_RSRC2:USER_SGPR: 2
; COMPUTE_PGM_RSRC2:TRAP_HANDLER: 0
; COMPUTE_PGM_RSRC2:TGID_X_EN: 1
; COMPUTE_PGM_RSRC2:TGID_Y_EN: 0
; COMPUTE_PGM_RSRC2:TGID_Z_EN: 0
; COMPUTE_PGM_RSRC2:TIDIG_COMP_CNT: 0
; COMPUTE_PGM_RSRC3_GFX90A:ACCUM_OFFSET: 0
; COMPUTE_PGM_RSRC3_GFX90A:TG_SPLIT: 0
	.section	.text._ZN7rocprim17ROCPRIM_400000_NS6detail17trampoline_kernelINS0_14default_configENS1_25partition_config_selectorILNS1_17partition_subalgoE0ExNS0_10empty_typeEbEEZZNS1_14partition_implILS5_0ELb0ES3_jN6thrust23THRUST_200600_302600_NS6detail15normal_iteratorINSA_10device_ptrIxEEEEPS6_SG_NS0_5tupleIJNSA_16discard_iteratorINSA_11use_defaultEEESK_EEENSH_IJSG_SG_EEES6_PlJ7is_evenIxEEEE10hipError_tPvRmT3_T4_T5_T6_T7_T9_mT8_P12ihipStream_tbDpT10_ENKUlT_T0_E_clISt17integral_constantIbLb1EES18_IbLb0EEEEDaS14_S15_EUlS14_E_NS1_11comp_targetILNS1_3genE0ELNS1_11target_archE4294967295ELNS1_3gpuE0ELNS1_3repE0EEENS1_30default_config_static_selectorELNS0_4arch9wavefront6targetE1EEEvT1_,"axG",@progbits,_ZN7rocprim17ROCPRIM_400000_NS6detail17trampoline_kernelINS0_14default_configENS1_25partition_config_selectorILNS1_17partition_subalgoE0ExNS0_10empty_typeEbEEZZNS1_14partition_implILS5_0ELb0ES3_jN6thrust23THRUST_200600_302600_NS6detail15normal_iteratorINSA_10device_ptrIxEEEEPS6_SG_NS0_5tupleIJNSA_16discard_iteratorINSA_11use_defaultEEESK_EEENSH_IJSG_SG_EEES6_PlJ7is_evenIxEEEE10hipError_tPvRmT3_T4_T5_T6_T7_T9_mT8_P12ihipStream_tbDpT10_ENKUlT_T0_E_clISt17integral_constantIbLb1EES18_IbLb0EEEEDaS14_S15_EUlS14_E_NS1_11comp_targetILNS1_3genE0ELNS1_11target_archE4294967295ELNS1_3gpuE0ELNS1_3repE0EEENS1_30default_config_static_selectorELNS0_4arch9wavefront6targetE1EEEvT1_,comdat
	.protected	_ZN7rocprim17ROCPRIM_400000_NS6detail17trampoline_kernelINS0_14default_configENS1_25partition_config_selectorILNS1_17partition_subalgoE0ExNS0_10empty_typeEbEEZZNS1_14partition_implILS5_0ELb0ES3_jN6thrust23THRUST_200600_302600_NS6detail15normal_iteratorINSA_10device_ptrIxEEEEPS6_SG_NS0_5tupleIJNSA_16discard_iteratorINSA_11use_defaultEEESK_EEENSH_IJSG_SG_EEES6_PlJ7is_evenIxEEEE10hipError_tPvRmT3_T4_T5_T6_T7_T9_mT8_P12ihipStream_tbDpT10_ENKUlT_T0_E_clISt17integral_constantIbLb1EES18_IbLb0EEEEDaS14_S15_EUlS14_E_NS1_11comp_targetILNS1_3genE0ELNS1_11target_archE4294967295ELNS1_3gpuE0ELNS1_3repE0EEENS1_30default_config_static_selectorELNS0_4arch9wavefront6targetE1EEEvT1_ ; -- Begin function _ZN7rocprim17ROCPRIM_400000_NS6detail17trampoline_kernelINS0_14default_configENS1_25partition_config_selectorILNS1_17partition_subalgoE0ExNS0_10empty_typeEbEEZZNS1_14partition_implILS5_0ELb0ES3_jN6thrust23THRUST_200600_302600_NS6detail15normal_iteratorINSA_10device_ptrIxEEEEPS6_SG_NS0_5tupleIJNSA_16discard_iteratorINSA_11use_defaultEEESK_EEENSH_IJSG_SG_EEES6_PlJ7is_evenIxEEEE10hipError_tPvRmT3_T4_T5_T6_T7_T9_mT8_P12ihipStream_tbDpT10_ENKUlT_T0_E_clISt17integral_constantIbLb1EES18_IbLb0EEEEDaS14_S15_EUlS14_E_NS1_11comp_targetILNS1_3genE0ELNS1_11target_archE4294967295ELNS1_3gpuE0ELNS1_3repE0EEENS1_30default_config_static_selectorELNS0_4arch9wavefront6targetE1EEEvT1_
	.globl	_ZN7rocprim17ROCPRIM_400000_NS6detail17trampoline_kernelINS0_14default_configENS1_25partition_config_selectorILNS1_17partition_subalgoE0ExNS0_10empty_typeEbEEZZNS1_14partition_implILS5_0ELb0ES3_jN6thrust23THRUST_200600_302600_NS6detail15normal_iteratorINSA_10device_ptrIxEEEEPS6_SG_NS0_5tupleIJNSA_16discard_iteratorINSA_11use_defaultEEESK_EEENSH_IJSG_SG_EEES6_PlJ7is_evenIxEEEE10hipError_tPvRmT3_T4_T5_T6_T7_T9_mT8_P12ihipStream_tbDpT10_ENKUlT_T0_E_clISt17integral_constantIbLb1EES18_IbLb0EEEEDaS14_S15_EUlS14_E_NS1_11comp_targetILNS1_3genE0ELNS1_11target_archE4294967295ELNS1_3gpuE0ELNS1_3repE0EEENS1_30default_config_static_selectorELNS0_4arch9wavefront6targetE1EEEvT1_
	.p2align	8
	.type	_ZN7rocprim17ROCPRIM_400000_NS6detail17trampoline_kernelINS0_14default_configENS1_25partition_config_selectorILNS1_17partition_subalgoE0ExNS0_10empty_typeEbEEZZNS1_14partition_implILS5_0ELb0ES3_jN6thrust23THRUST_200600_302600_NS6detail15normal_iteratorINSA_10device_ptrIxEEEEPS6_SG_NS0_5tupleIJNSA_16discard_iteratorINSA_11use_defaultEEESK_EEENSH_IJSG_SG_EEES6_PlJ7is_evenIxEEEE10hipError_tPvRmT3_T4_T5_T6_T7_T9_mT8_P12ihipStream_tbDpT10_ENKUlT_T0_E_clISt17integral_constantIbLb1EES18_IbLb0EEEEDaS14_S15_EUlS14_E_NS1_11comp_targetILNS1_3genE0ELNS1_11target_archE4294967295ELNS1_3gpuE0ELNS1_3repE0EEENS1_30default_config_static_selectorELNS0_4arch9wavefront6targetE1EEEvT1_,@function
_ZN7rocprim17ROCPRIM_400000_NS6detail17trampoline_kernelINS0_14default_configENS1_25partition_config_selectorILNS1_17partition_subalgoE0ExNS0_10empty_typeEbEEZZNS1_14partition_implILS5_0ELb0ES3_jN6thrust23THRUST_200600_302600_NS6detail15normal_iteratorINSA_10device_ptrIxEEEEPS6_SG_NS0_5tupleIJNSA_16discard_iteratorINSA_11use_defaultEEESK_EEENSH_IJSG_SG_EEES6_PlJ7is_evenIxEEEE10hipError_tPvRmT3_T4_T5_T6_T7_T9_mT8_P12ihipStream_tbDpT10_ENKUlT_T0_E_clISt17integral_constantIbLb1EES18_IbLb0EEEEDaS14_S15_EUlS14_E_NS1_11comp_targetILNS1_3genE0ELNS1_11target_archE4294967295ELNS1_3gpuE0ELNS1_3repE0EEENS1_30default_config_static_selectorELNS0_4arch9wavefront6targetE1EEEvT1_: ; @_ZN7rocprim17ROCPRIM_400000_NS6detail17trampoline_kernelINS0_14default_configENS1_25partition_config_selectorILNS1_17partition_subalgoE0ExNS0_10empty_typeEbEEZZNS1_14partition_implILS5_0ELb0ES3_jN6thrust23THRUST_200600_302600_NS6detail15normal_iteratorINSA_10device_ptrIxEEEEPS6_SG_NS0_5tupleIJNSA_16discard_iteratorINSA_11use_defaultEEESK_EEENSH_IJSG_SG_EEES6_PlJ7is_evenIxEEEE10hipError_tPvRmT3_T4_T5_T6_T7_T9_mT8_P12ihipStream_tbDpT10_ENKUlT_T0_E_clISt17integral_constantIbLb1EES18_IbLb0EEEEDaS14_S15_EUlS14_E_NS1_11comp_targetILNS1_3genE0ELNS1_11target_archE4294967295ELNS1_3gpuE0ELNS1_3repE0EEENS1_30default_config_static_selectorELNS0_4arch9wavefront6targetE1EEEvT1_
; %bb.0:
	.section	.rodata,"a",@progbits
	.p2align	6, 0x0
	.amdhsa_kernel _ZN7rocprim17ROCPRIM_400000_NS6detail17trampoline_kernelINS0_14default_configENS1_25partition_config_selectorILNS1_17partition_subalgoE0ExNS0_10empty_typeEbEEZZNS1_14partition_implILS5_0ELb0ES3_jN6thrust23THRUST_200600_302600_NS6detail15normal_iteratorINSA_10device_ptrIxEEEEPS6_SG_NS0_5tupleIJNSA_16discard_iteratorINSA_11use_defaultEEESK_EEENSH_IJSG_SG_EEES6_PlJ7is_evenIxEEEE10hipError_tPvRmT3_T4_T5_T6_T7_T9_mT8_P12ihipStream_tbDpT10_ENKUlT_T0_E_clISt17integral_constantIbLb1EES18_IbLb0EEEEDaS14_S15_EUlS14_E_NS1_11comp_targetILNS1_3genE0ELNS1_11target_archE4294967295ELNS1_3gpuE0ELNS1_3repE0EEENS1_30default_config_static_selectorELNS0_4arch9wavefront6targetE1EEEvT1_
		.amdhsa_group_segment_fixed_size 0
		.amdhsa_private_segment_fixed_size 0
		.amdhsa_kernarg_size 136
		.amdhsa_user_sgpr_count 2
		.amdhsa_user_sgpr_dispatch_ptr 0
		.amdhsa_user_sgpr_queue_ptr 0
		.amdhsa_user_sgpr_kernarg_segment_ptr 1
		.amdhsa_user_sgpr_dispatch_id 0
		.amdhsa_user_sgpr_kernarg_preload_length 0
		.amdhsa_user_sgpr_kernarg_preload_offset 0
		.amdhsa_user_sgpr_private_segment_size 0
		.amdhsa_uses_dynamic_stack 0
		.amdhsa_enable_private_segment 0
		.amdhsa_system_sgpr_workgroup_id_x 1
		.amdhsa_system_sgpr_workgroup_id_y 0
		.amdhsa_system_sgpr_workgroup_id_z 0
		.amdhsa_system_sgpr_workgroup_info 0
		.amdhsa_system_vgpr_workitem_id 0
		.amdhsa_next_free_vgpr 1
		.amdhsa_next_free_sgpr 0
		.amdhsa_accum_offset 4
		.amdhsa_reserve_vcc 0
		.amdhsa_float_round_mode_32 0
		.amdhsa_float_round_mode_16_64 0
		.amdhsa_float_denorm_mode_32 3
		.amdhsa_float_denorm_mode_16_64 3
		.amdhsa_dx10_clamp 1
		.amdhsa_ieee_mode 1
		.amdhsa_fp16_overflow 0
		.amdhsa_tg_split 0
		.amdhsa_exception_fp_ieee_invalid_op 0
		.amdhsa_exception_fp_denorm_src 0
		.amdhsa_exception_fp_ieee_div_zero 0
		.amdhsa_exception_fp_ieee_overflow 0
		.amdhsa_exception_fp_ieee_underflow 0
		.amdhsa_exception_fp_ieee_inexact 0
		.amdhsa_exception_int_div_zero 0
	.end_amdhsa_kernel
	.section	.text._ZN7rocprim17ROCPRIM_400000_NS6detail17trampoline_kernelINS0_14default_configENS1_25partition_config_selectorILNS1_17partition_subalgoE0ExNS0_10empty_typeEbEEZZNS1_14partition_implILS5_0ELb0ES3_jN6thrust23THRUST_200600_302600_NS6detail15normal_iteratorINSA_10device_ptrIxEEEEPS6_SG_NS0_5tupleIJNSA_16discard_iteratorINSA_11use_defaultEEESK_EEENSH_IJSG_SG_EEES6_PlJ7is_evenIxEEEE10hipError_tPvRmT3_T4_T5_T6_T7_T9_mT8_P12ihipStream_tbDpT10_ENKUlT_T0_E_clISt17integral_constantIbLb1EES18_IbLb0EEEEDaS14_S15_EUlS14_E_NS1_11comp_targetILNS1_3genE0ELNS1_11target_archE4294967295ELNS1_3gpuE0ELNS1_3repE0EEENS1_30default_config_static_selectorELNS0_4arch9wavefront6targetE1EEEvT1_,"axG",@progbits,_ZN7rocprim17ROCPRIM_400000_NS6detail17trampoline_kernelINS0_14default_configENS1_25partition_config_selectorILNS1_17partition_subalgoE0ExNS0_10empty_typeEbEEZZNS1_14partition_implILS5_0ELb0ES3_jN6thrust23THRUST_200600_302600_NS6detail15normal_iteratorINSA_10device_ptrIxEEEEPS6_SG_NS0_5tupleIJNSA_16discard_iteratorINSA_11use_defaultEEESK_EEENSH_IJSG_SG_EEES6_PlJ7is_evenIxEEEE10hipError_tPvRmT3_T4_T5_T6_T7_T9_mT8_P12ihipStream_tbDpT10_ENKUlT_T0_E_clISt17integral_constantIbLb1EES18_IbLb0EEEEDaS14_S15_EUlS14_E_NS1_11comp_targetILNS1_3genE0ELNS1_11target_archE4294967295ELNS1_3gpuE0ELNS1_3repE0EEENS1_30default_config_static_selectorELNS0_4arch9wavefront6targetE1EEEvT1_,comdat
.Lfunc_end2603:
	.size	_ZN7rocprim17ROCPRIM_400000_NS6detail17trampoline_kernelINS0_14default_configENS1_25partition_config_selectorILNS1_17partition_subalgoE0ExNS0_10empty_typeEbEEZZNS1_14partition_implILS5_0ELb0ES3_jN6thrust23THRUST_200600_302600_NS6detail15normal_iteratorINSA_10device_ptrIxEEEEPS6_SG_NS0_5tupleIJNSA_16discard_iteratorINSA_11use_defaultEEESK_EEENSH_IJSG_SG_EEES6_PlJ7is_evenIxEEEE10hipError_tPvRmT3_T4_T5_T6_T7_T9_mT8_P12ihipStream_tbDpT10_ENKUlT_T0_E_clISt17integral_constantIbLb1EES18_IbLb0EEEEDaS14_S15_EUlS14_E_NS1_11comp_targetILNS1_3genE0ELNS1_11target_archE4294967295ELNS1_3gpuE0ELNS1_3repE0EEENS1_30default_config_static_selectorELNS0_4arch9wavefront6targetE1EEEvT1_, .Lfunc_end2603-_ZN7rocprim17ROCPRIM_400000_NS6detail17trampoline_kernelINS0_14default_configENS1_25partition_config_selectorILNS1_17partition_subalgoE0ExNS0_10empty_typeEbEEZZNS1_14partition_implILS5_0ELb0ES3_jN6thrust23THRUST_200600_302600_NS6detail15normal_iteratorINSA_10device_ptrIxEEEEPS6_SG_NS0_5tupleIJNSA_16discard_iteratorINSA_11use_defaultEEESK_EEENSH_IJSG_SG_EEES6_PlJ7is_evenIxEEEE10hipError_tPvRmT3_T4_T5_T6_T7_T9_mT8_P12ihipStream_tbDpT10_ENKUlT_T0_E_clISt17integral_constantIbLb1EES18_IbLb0EEEEDaS14_S15_EUlS14_E_NS1_11comp_targetILNS1_3genE0ELNS1_11target_archE4294967295ELNS1_3gpuE0ELNS1_3repE0EEENS1_30default_config_static_selectorELNS0_4arch9wavefront6targetE1EEEvT1_
                                        ; -- End function
	.section	.AMDGPU.csdata,"",@progbits
; Kernel info:
; codeLenInByte = 0
; NumSgprs: 6
; NumVgprs: 0
; NumAgprs: 0
; TotalNumVgprs: 0
; ScratchSize: 0
; MemoryBound: 0
; FloatMode: 240
; IeeeMode: 1
; LDSByteSize: 0 bytes/workgroup (compile time only)
; SGPRBlocks: 0
; VGPRBlocks: 0
; NumSGPRsForWavesPerEU: 6
; NumVGPRsForWavesPerEU: 1
; AccumOffset: 4
; Occupancy: 8
; WaveLimiterHint : 0
; COMPUTE_PGM_RSRC2:SCRATCH_EN: 0
; COMPUTE_PGM_RSRC2:USER_SGPR: 2
; COMPUTE_PGM_RSRC2:TRAP_HANDLER: 0
; COMPUTE_PGM_RSRC2:TGID_X_EN: 1
; COMPUTE_PGM_RSRC2:TGID_Y_EN: 0
; COMPUTE_PGM_RSRC2:TGID_Z_EN: 0
; COMPUTE_PGM_RSRC2:TIDIG_COMP_CNT: 0
; COMPUTE_PGM_RSRC3_GFX90A:ACCUM_OFFSET: 0
; COMPUTE_PGM_RSRC3_GFX90A:TG_SPLIT: 0
	.section	.text._ZN7rocprim17ROCPRIM_400000_NS6detail17trampoline_kernelINS0_14default_configENS1_25partition_config_selectorILNS1_17partition_subalgoE0ExNS0_10empty_typeEbEEZZNS1_14partition_implILS5_0ELb0ES3_jN6thrust23THRUST_200600_302600_NS6detail15normal_iteratorINSA_10device_ptrIxEEEEPS6_SG_NS0_5tupleIJNSA_16discard_iteratorINSA_11use_defaultEEESK_EEENSH_IJSG_SG_EEES6_PlJ7is_evenIxEEEE10hipError_tPvRmT3_T4_T5_T6_T7_T9_mT8_P12ihipStream_tbDpT10_ENKUlT_T0_E_clISt17integral_constantIbLb1EES18_IbLb0EEEEDaS14_S15_EUlS14_E_NS1_11comp_targetILNS1_3genE5ELNS1_11target_archE942ELNS1_3gpuE9ELNS1_3repE0EEENS1_30default_config_static_selectorELNS0_4arch9wavefront6targetE1EEEvT1_,"axG",@progbits,_ZN7rocprim17ROCPRIM_400000_NS6detail17trampoline_kernelINS0_14default_configENS1_25partition_config_selectorILNS1_17partition_subalgoE0ExNS0_10empty_typeEbEEZZNS1_14partition_implILS5_0ELb0ES3_jN6thrust23THRUST_200600_302600_NS6detail15normal_iteratorINSA_10device_ptrIxEEEEPS6_SG_NS0_5tupleIJNSA_16discard_iteratorINSA_11use_defaultEEESK_EEENSH_IJSG_SG_EEES6_PlJ7is_evenIxEEEE10hipError_tPvRmT3_T4_T5_T6_T7_T9_mT8_P12ihipStream_tbDpT10_ENKUlT_T0_E_clISt17integral_constantIbLb1EES18_IbLb0EEEEDaS14_S15_EUlS14_E_NS1_11comp_targetILNS1_3genE5ELNS1_11target_archE942ELNS1_3gpuE9ELNS1_3repE0EEENS1_30default_config_static_selectorELNS0_4arch9wavefront6targetE1EEEvT1_,comdat
	.protected	_ZN7rocprim17ROCPRIM_400000_NS6detail17trampoline_kernelINS0_14default_configENS1_25partition_config_selectorILNS1_17partition_subalgoE0ExNS0_10empty_typeEbEEZZNS1_14partition_implILS5_0ELb0ES3_jN6thrust23THRUST_200600_302600_NS6detail15normal_iteratorINSA_10device_ptrIxEEEEPS6_SG_NS0_5tupleIJNSA_16discard_iteratorINSA_11use_defaultEEESK_EEENSH_IJSG_SG_EEES6_PlJ7is_evenIxEEEE10hipError_tPvRmT3_T4_T5_T6_T7_T9_mT8_P12ihipStream_tbDpT10_ENKUlT_T0_E_clISt17integral_constantIbLb1EES18_IbLb0EEEEDaS14_S15_EUlS14_E_NS1_11comp_targetILNS1_3genE5ELNS1_11target_archE942ELNS1_3gpuE9ELNS1_3repE0EEENS1_30default_config_static_selectorELNS0_4arch9wavefront6targetE1EEEvT1_ ; -- Begin function _ZN7rocprim17ROCPRIM_400000_NS6detail17trampoline_kernelINS0_14default_configENS1_25partition_config_selectorILNS1_17partition_subalgoE0ExNS0_10empty_typeEbEEZZNS1_14partition_implILS5_0ELb0ES3_jN6thrust23THRUST_200600_302600_NS6detail15normal_iteratorINSA_10device_ptrIxEEEEPS6_SG_NS0_5tupleIJNSA_16discard_iteratorINSA_11use_defaultEEESK_EEENSH_IJSG_SG_EEES6_PlJ7is_evenIxEEEE10hipError_tPvRmT3_T4_T5_T6_T7_T9_mT8_P12ihipStream_tbDpT10_ENKUlT_T0_E_clISt17integral_constantIbLb1EES18_IbLb0EEEEDaS14_S15_EUlS14_E_NS1_11comp_targetILNS1_3genE5ELNS1_11target_archE942ELNS1_3gpuE9ELNS1_3repE0EEENS1_30default_config_static_selectorELNS0_4arch9wavefront6targetE1EEEvT1_
	.globl	_ZN7rocprim17ROCPRIM_400000_NS6detail17trampoline_kernelINS0_14default_configENS1_25partition_config_selectorILNS1_17partition_subalgoE0ExNS0_10empty_typeEbEEZZNS1_14partition_implILS5_0ELb0ES3_jN6thrust23THRUST_200600_302600_NS6detail15normal_iteratorINSA_10device_ptrIxEEEEPS6_SG_NS0_5tupleIJNSA_16discard_iteratorINSA_11use_defaultEEESK_EEENSH_IJSG_SG_EEES6_PlJ7is_evenIxEEEE10hipError_tPvRmT3_T4_T5_T6_T7_T9_mT8_P12ihipStream_tbDpT10_ENKUlT_T0_E_clISt17integral_constantIbLb1EES18_IbLb0EEEEDaS14_S15_EUlS14_E_NS1_11comp_targetILNS1_3genE5ELNS1_11target_archE942ELNS1_3gpuE9ELNS1_3repE0EEENS1_30default_config_static_selectorELNS0_4arch9wavefront6targetE1EEEvT1_
	.p2align	8
	.type	_ZN7rocprim17ROCPRIM_400000_NS6detail17trampoline_kernelINS0_14default_configENS1_25partition_config_selectorILNS1_17partition_subalgoE0ExNS0_10empty_typeEbEEZZNS1_14partition_implILS5_0ELb0ES3_jN6thrust23THRUST_200600_302600_NS6detail15normal_iteratorINSA_10device_ptrIxEEEEPS6_SG_NS0_5tupleIJNSA_16discard_iteratorINSA_11use_defaultEEESK_EEENSH_IJSG_SG_EEES6_PlJ7is_evenIxEEEE10hipError_tPvRmT3_T4_T5_T6_T7_T9_mT8_P12ihipStream_tbDpT10_ENKUlT_T0_E_clISt17integral_constantIbLb1EES18_IbLb0EEEEDaS14_S15_EUlS14_E_NS1_11comp_targetILNS1_3genE5ELNS1_11target_archE942ELNS1_3gpuE9ELNS1_3repE0EEENS1_30default_config_static_selectorELNS0_4arch9wavefront6targetE1EEEvT1_,@function
_ZN7rocprim17ROCPRIM_400000_NS6detail17trampoline_kernelINS0_14default_configENS1_25partition_config_selectorILNS1_17partition_subalgoE0ExNS0_10empty_typeEbEEZZNS1_14partition_implILS5_0ELb0ES3_jN6thrust23THRUST_200600_302600_NS6detail15normal_iteratorINSA_10device_ptrIxEEEEPS6_SG_NS0_5tupleIJNSA_16discard_iteratorINSA_11use_defaultEEESK_EEENSH_IJSG_SG_EEES6_PlJ7is_evenIxEEEE10hipError_tPvRmT3_T4_T5_T6_T7_T9_mT8_P12ihipStream_tbDpT10_ENKUlT_T0_E_clISt17integral_constantIbLb1EES18_IbLb0EEEEDaS14_S15_EUlS14_E_NS1_11comp_targetILNS1_3genE5ELNS1_11target_archE942ELNS1_3gpuE9ELNS1_3repE0EEENS1_30default_config_static_selectorELNS0_4arch9wavefront6targetE1EEEvT1_: ; @_ZN7rocprim17ROCPRIM_400000_NS6detail17trampoline_kernelINS0_14default_configENS1_25partition_config_selectorILNS1_17partition_subalgoE0ExNS0_10empty_typeEbEEZZNS1_14partition_implILS5_0ELb0ES3_jN6thrust23THRUST_200600_302600_NS6detail15normal_iteratorINSA_10device_ptrIxEEEEPS6_SG_NS0_5tupleIJNSA_16discard_iteratorINSA_11use_defaultEEESK_EEENSH_IJSG_SG_EEES6_PlJ7is_evenIxEEEE10hipError_tPvRmT3_T4_T5_T6_T7_T9_mT8_P12ihipStream_tbDpT10_ENKUlT_T0_E_clISt17integral_constantIbLb1EES18_IbLb0EEEEDaS14_S15_EUlS14_E_NS1_11comp_targetILNS1_3genE5ELNS1_11target_archE942ELNS1_3gpuE9ELNS1_3repE0EEENS1_30default_config_static_selectorELNS0_4arch9wavefront6targetE1EEEvT1_
; %bb.0:
	s_load_dwordx2 s[8:9], s[0:1], 0x68
	s_load_dwordx4 s[4:7], s[0:1], 0x8
	s_load_dwordx4 s[20:23], s[0:1], 0x58
	s_load_dword s3, s[0:1], 0x80
	v_lshlrev_b32_e32 v18, 3, v0
	s_waitcnt lgkmcnt(0)
	v_mov_b32_e32 v3, s9
	s_lshl_b64 s[10:11], s[6:7], 3
	s_add_u32 s9, s4, s10
	s_mul_i32 s4, s3, 0xe00
	s_addc_u32 s12, s5, s11
	s_add_i32 s13, s3, -1
	s_add_i32 s3, s4, s6
	s_sub_i32 s3, s8, s3
	s_add_u32 s4, s6, s4
	s_addc_u32 s5, s7, 0
	s_cmp_eq_u32 s2, s13
	v_mov_b32_e32 v2, s8
	s_load_dwordx2 s[18:19], s[22:23], 0x0
	s_cselect_b64 s[22:23], -1, 0
	s_cmp_lg_u32 s2, s13
	s_mul_i32 s10, s2, 0xe00
	s_mov_b32 s11, 0
	v_cmp_lt_u64_e32 vcc, s[4:5], v[2:3]
	s_cselect_b64 s[4:5], -1, 0
	s_or_b64 s[4:5], s[4:5], vcc
	s_lshl_b64 s[6:7], s[10:11], 3
	s_add_u32 s6, s9, s6
	s_addc_u32 s7, s12, s7
	s_mov_b64 s[8:9], -1
	s_and_b64 vcc, exec, s[4:5]
	s_cbranch_vccz .LBB2604_2
; %bb.1:
	v_mov_b32_e32 v19, 0
	v_lshl_add_u64 v[2:3], s[6:7], 0, v[18:19]
	v_add_co_u32_e32 v4, vcc, 0x1000, v2
	s_mov_b64 s[8:9], 0
	s_nop 0
	v_addc_co_u32_e32 v5, vcc, 0, v3, vcc
	v_add_co_u32_e32 v6, vcc, 0x2000, v2
	s_nop 1
	v_addc_co_u32_e32 v7, vcc, 0, v3, vcc
	v_add_co_u32_e32 v8, vcc, 0x3000, v2
	s_nop 1
	v_addc_co_u32_e32 v9, vcc, 0, v3, vcc
	flat_load_dwordx2 v[10:11], v[2:3]
	flat_load_dwordx2 v[12:13], v[4:5]
	;; [unrolled: 1-line block ×4, first 2 shown]
	v_add_co_u32_e32 v4, vcc, 0x4000, v2
	s_nop 1
	v_addc_co_u32_e32 v5, vcc, 0, v3, vcc
	v_add_co_u32_e32 v6, vcc, 0x5000, v2
	s_nop 1
	v_addc_co_u32_e32 v7, vcc, 0, v3, vcc
	;; [unrolled: 3-line block ×3, first 2 shown]
	flat_load_dwordx2 v[8:9], v[4:5]
	flat_load_dwordx2 v[20:21], v[6:7]
	;; [unrolled: 1-line block ×3, first 2 shown]
	s_waitcnt vmcnt(0) lgkmcnt(0)
	ds_write2st64_b64 v18, v[10:11], v[12:13] offset1:8
	ds_write2st64_b64 v18, v[14:15], v[16:17] offset0:16 offset1:24
	ds_write2st64_b64 v18, v[8:9], v[20:21] offset0:32 offset1:40
	ds_write_b64 v18, v[22:23] offset:24576
	s_waitcnt lgkmcnt(0)
	s_barrier
.LBB2604_2:
	s_andn2_b64 vcc, exec, s[8:9]
	s_addk_i32 s3, 0xe00
	s_cbranch_vccnz .LBB2604_18
; %bb.3:
	v_cmp_gt_u32_e32 vcc, s3, v0
                                        ; implicit-def: $vgpr2_vgpr3_vgpr4_vgpr5_vgpr6_vgpr7_vgpr8_vgpr9_vgpr10_vgpr11_vgpr12_vgpr13_vgpr14_vgpr15_vgpr16_vgpr17
	s_and_saveexec_b64 s[8:9], vcc
	s_cbranch_execz .LBB2604_5
; %bb.4:
	v_mov_b32_e32 v19, 0
	v_lshl_add_u64 v[2:3], s[6:7], 0, v[18:19]
	flat_load_dwordx2 v[2:3], v[2:3]
.LBB2604_5:
	s_or_b64 exec, exec, s[8:9]
	v_or_b32_e32 v1, 0x200, v0
	v_cmp_gt_u32_e32 vcc, s3, v1
	s_and_saveexec_b64 s[8:9], vcc
	s_cbranch_execz .LBB2604_7
; %bb.6:
	v_lshlrev_b32_e32 v4, 3, v1
	v_mov_b32_e32 v5, 0
	v_lshl_add_u64 v[4:5], s[6:7], 0, v[4:5]
	flat_load_dwordx2 v[4:5], v[4:5]
.LBB2604_7:
	s_or_b64 exec, exec, s[8:9]
	v_or_b32_e32 v1, 0x400, v0
	v_cmp_gt_u32_e32 vcc, s3, v1
	s_and_saveexec_b64 s[8:9], vcc
	s_cbranch_execz .LBB2604_9
; %bb.8:
	v_lshlrev_b32_e32 v6, 3, v1
	v_mov_b32_e32 v7, 0
	v_lshl_add_u64 v[6:7], s[6:7], 0, v[6:7]
	flat_load_dwordx2 v[6:7], v[6:7]
.LBB2604_9:
	;; [unrolled: 11-line block ×6, first 2 shown]
	s_or_b64 exec, exec, s[8:9]
	s_waitcnt vmcnt(0) lgkmcnt(0)
	ds_write2st64_b64 v18, v[2:3], v[4:5] offset1:8
	ds_write2st64_b64 v18, v[6:7], v[8:9] offset0:16 offset1:24
	ds_write2st64_b64 v18, v[10:11], v[12:13] offset0:32 offset1:40
	ds_write_b64 v18, v[14:15] offset:24576
	s_waitcnt lgkmcnt(0)
	s_barrier
.LBB2604_18:
	v_mul_u32_u24_e32 v1, 7, v0
	v_lshlrev_b32_e32 v31, 3, v1
	s_waitcnt lgkmcnt(0)
	ds_read2_b64 v[10:13], v31 offset1:1
	ds_read2_b64 v[6:9], v31 offset0:2 offset1:3
	ds_read2_b64 v[2:5], v31 offset0:4 offset1:5
	ds_read_b64 v[14:15], v31 offset:48
	s_andn2_b64 vcc, exec, s[4:5]
	s_waitcnt lgkmcnt(3)
	v_xor_b32_e32 v22, -1, v10
	v_xor_b32_e32 v21, -1, v12
	s_waitcnt lgkmcnt(2)
	v_xor_b32_e32 v20, -1, v6
	v_xor_b32_e32 v19, -1, v8
	;; [unrolled: 3-line block ×3, first 2 shown]
	s_waitcnt lgkmcnt(0)
	v_xor_b32_e32 v16, -1, v14
	s_barrier
	s_cbranch_vccnz .LBB2604_20
; %bb.19:
	v_mov_b32_e32 v24, 1
	v_and_b32_e32 v23, 1, v22
	v_and_b32_sdwa v25, v21, v24 dst_sel:BYTE_1 dst_unused:UNUSED_PAD src0_sel:DWORD src1_sel:DWORD
	v_and_b32_e32 v29, 1, v20
	v_and_b32_sdwa v24, v19, v24 dst_sel:BYTE_1 dst_unused:UNUSED_PAD src0_sel:DWORD src1_sel:DWORD
	v_or_b32_e32 v23, v23, v25
	v_or_b32_sdwa v24, v29, v24 dst_sel:WORD_1 dst_unused:UNUSED_PAD src0_sel:DWORD src1_sel:DWORD
	v_and_b32_e32 v28, 1, v18
	v_and_b32_e32 v27, 1, v17
	;; [unrolled: 1-line block ×3, first 2 shown]
	v_or_b32_sdwa v29, v23, v24 dst_sel:DWORD dst_unused:UNUSED_PAD src0_sel:WORD_0 src1_sel:DWORD
	s_load_dwordx2 s[24:25], s[0:1], 0x78
	s_cbranch_execz .LBB2604_21
	s_branch .LBB2604_22
.LBB2604_20:
                                        ; implicit-def: $vgpr26
                                        ; implicit-def: $vgpr27
                                        ; implicit-def: $vgpr28
                                        ; implicit-def: $vgpr29
	s_load_dwordx2 s[24:25], s[0:1], 0x78
.LBB2604_21:
	v_add_u32_e32 v23, 1, v1
	v_cmp_gt_u32_e32 vcc, s3, v1
	v_add_u32_e32 v24, 2, v1
	v_add_u32_e32 v25, 3, v1
	v_cndmask_b32_e64 v28, 0, 1, vcc
	v_cmp_gt_u32_e32 vcc, s3, v23
	v_add_u32_e32 v26, 4, v1
	v_add_u32_e32 v27, 5, v1
	v_cndmask_b32_e64 v23, 0, 1, vcc
	v_cmp_gt_u32_e32 vcc, s3, v24
	v_and_b32_sdwa v21, v23, v21 dst_sel:BYTE_1 dst_unused:UNUSED_PAD src0_sel:DWORD src1_sel:DWORD
	v_add_u32_e32 v29, 6, v1
	v_cndmask_b32_e64 v23, 0, 1, vcc
	v_cmp_gt_u32_e32 vcc, s3, v25
	v_and_b32_e32 v20, v23, v20
	v_and_b32_e32 v22, v28, v22
	v_cndmask_b32_e64 v23, 0, 1, vcc
	v_cmp_gt_u32_e32 vcc, s3, v26
	v_and_b32_sdwa v19, v23, v19 dst_sel:BYTE_1 dst_unused:UNUSED_PAD src0_sel:DWORD src1_sel:DWORD
	s_nop 0
	v_cndmask_b32_e64 v23, 0, 1, vcc
	v_cmp_gt_u32_e32 vcc, s3, v27
	v_and_b32_e32 v28, v23, v18
	s_nop 0
	v_cndmask_b32_e64 v18, 0, 1, vcc
	v_cmp_gt_u32_e32 vcc, s3, v29
	v_and_b32_e32 v27, v18, v17
	s_nop 0
	v_cndmask_b32_e64 v17, 0, 1, vcc
	v_and_b32_e32 v26, v17, v16
	v_or_b32_e32 v16, v22, v21
	v_or_b32_sdwa v17, v20, v19 dst_sel:WORD_1 dst_unused:UNUSED_PAD src0_sel:DWORD src1_sel:DWORD
	s_nop 0
	v_or_b32_sdwa v29, v16, v17 dst_sel:DWORD dst_unused:UNUSED_PAD src0_sel:WORD_0 src1_sel:DWORD
.LBB2604_22:
	v_and_b32_e32 v32, 0xff, v29
	v_bfe_u32 v33, v29, 8, 8
	v_bfe_u32 v34, v29, 16, 8
	v_lshrrev_b32_e32 v30, 24, v29
	v_and_b32_e32 v35, 0xff, v28
	v_add3_u32 v17, v33, v32, v34
	v_and_b32_e32 v36, 0xff, v27
	v_and_b32_e32 v16, 0xff, v26
	v_add3_u32 v17, v17, v30, v35
	v_add3_u32 v39, v17, v36, v16
	v_mbcnt_lo_u32_b32 v16, -1, 0
	v_mbcnt_hi_u32_b32 v37, -1, v16
	v_and_b32_e32 v16, 15, v37
	v_cmp_eq_u32_e64 s[12:13], 0, v16
	v_cmp_lt_u32_e64 s[10:11], 1, v16
	v_cmp_lt_u32_e64 s[8:9], 3, v16
	;; [unrolled: 1-line block ×3, first 2 shown]
	v_and_b32_e32 v16, 16, v37
	v_cmp_eq_u32_e64 s[4:5], 0, v16
	v_or_b32_e32 v16, 63, v0
	s_cmp_lg_u32 s2, 0
	v_cmp_lt_u32_e64 s[0:1], 31, v37
	v_lshrrev_b32_e32 v38, 6, v0
	v_cmp_eq_u32_e64 s[16:17], v16, v0
	s_cbranch_scc0 .LBB2604_53
; %bb.23:
	v_mov_b32_dpp v16, v39 row_shr:1 row_mask:0xf bank_mask:0xf
	v_cndmask_b32_e64 v16, v16, 0, s[12:13]
	v_add_u32_e32 v16, v16, v39
	s_nop 1
	v_mov_b32_dpp v17, v16 row_shr:2 row_mask:0xf bank_mask:0xf
	v_cndmask_b32_e64 v17, 0, v17, s[10:11]
	v_add_u32_e32 v16, v16, v17
	s_nop 1
	v_mov_b32_dpp v17, v16 row_shr:4 row_mask:0xf bank_mask:0xf
	v_cndmask_b32_e64 v17, 0, v17, s[8:9]
	v_add_u32_e32 v16, v16, v17
	s_nop 1
	v_mov_b32_dpp v17, v16 row_shr:8 row_mask:0xf bank_mask:0xf
	v_cndmask_b32_e64 v17, 0, v17, s[6:7]
	v_add_u32_e32 v16, v16, v17
	s_nop 1
	v_mov_b32_dpp v17, v16 row_bcast:15 row_mask:0xf bank_mask:0xf
	v_cndmask_b32_e64 v17, v17, 0, s[4:5]
	v_add_u32_e32 v16, v16, v17
	s_nop 1
	v_mov_b32_dpp v17, v16 row_bcast:31 row_mask:0xf bank_mask:0xf
	v_cndmask_b32_e64 v17, 0, v17, s[0:1]
	v_add_u32_e32 v16, v16, v17
	s_and_saveexec_b64 s[14:15], s[16:17]
	s_cbranch_execz .LBB2604_25
; %bb.24:
	v_lshlrev_b32_e32 v17, 2, v38
	ds_write_b32 v17, v16
.LBB2604_25:
	s_or_b64 exec, exec, s[14:15]
	v_cmp_gt_u32_e32 vcc, 8, v0
	s_waitcnt lgkmcnt(0)
	s_barrier
	s_and_saveexec_b64 s[14:15], vcc
	s_cbranch_execz .LBB2604_27
; %bb.26:
	v_lshlrev_b32_e32 v17, 2, v0
	ds_read_b32 v18, v17
	v_and_b32_e32 v19, 7, v37
	v_cmp_ne_u32_e32 vcc, 0, v19
	s_waitcnt lgkmcnt(0)
	v_mov_b32_dpp v20, v18 row_shr:1 row_mask:0xf bank_mask:0xf
	v_cndmask_b32_e32 v20, 0, v20, vcc
	v_add_u32_e32 v18, v20, v18
	v_cmp_lt_u32_e32 vcc, 1, v19
	s_nop 0
	v_mov_b32_dpp v20, v18 row_shr:2 row_mask:0xf bank_mask:0xf
	v_cndmask_b32_e32 v20, 0, v20, vcc
	v_add_u32_e32 v18, v18, v20
	v_cmp_lt_u32_e32 vcc, 3, v19
	s_nop 0
	v_mov_b32_dpp v20, v18 row_shr:4 row_mask:0xf bank_mask:0xf
	v_cndmask_b32_e32 v19, 0, v20, vcc
	v_add_u32_e32 v18, v18, v19
	ds_write_b32 v17, v18
.LBB2604_27:
	s_or_b64 exec, exec, s[14:15]
	v_cmp_gt_u32_e32 vcc, 64, v0
	v_cmp_lt_u32_e64 s[14:15], 63, v0
	s_waitcnt lgkmcnt(0)
	s_barrier
	s_waitcnt lgkmcnt(0)
                                        ; implicit-def: $vgpr40
	s_and_saveexec_b64 s[26:27], s[14:15]
	s_cbranch_execz .LBB2604_29
; %bb.28:
	v_lshl_add_u32 v17, v38, 2, -4
	ds_read_b32 v40, v17
	s_waitcnt lgkmcnt(0)
	v_add_u32_e32 v16, v40, v16
.LBB2604_29:
	s_or_b64 exec, exec, s[26:27]
	v_add_u32_e32 v17, -1, v37
	v_and_b32_e32 v18, 64, v37
	v_cmp_lt_i32_e64 s[14:15], v17, v18
	s_nop 1
	v_cndmask_b32_e64 v17, v17, v37, s[14:15]
	v_lshlrev_b32_e32 v17, 2, v17
	ds_bpermute_b32 v41, v17, v16
	v_cmp_eq_u32_e64 s[14:15], 0, v37
	s_and_saveexec_b64 s[26:27], vcc
	s_cbranch_execz .LBB2604_52
; %bb.30:
	v_mov_b32_e32 v25, 0
	ds_read_b32 v16, v25 offset:28
	s_and_saveexec_b64 s[28:29], s[14:15]
	s_cbranch_execz .LBB2604_32
; %bb.31:
	s_add_i32 s30, s2, 64
	s_mov_b32 s31, 0
	s_lshl_b64 s[30:31], s[30:31], 3
	s_add_u32 s30, s24, s30
	v_mov_b32_e32 v17, 1
	s_addc_u32 s31, s25, s31
	s_waitcnt lgkmcnt(0)
	global_store_dwordx2 v25, v[16:17], s[30:31] sc1
.LBB2604_32:
	s_or_b64 exec, exec, s[28:29]
	v_xad_u32 v18, v37, -1, s2
	v_add_u32_e32 v24, 64, v18
	v_lshl_add_u64 v[20:21], v[24:25], 3, s[24:25]
	global_load_dwordx2 v[22:23], v[20:21], off sc1
	s_waitcnt vmcnt(0)
	v_cmp_eq_u16_sdwa s[30:31], v23, v25 src0_sel:BYTE_0 src1_sel:DWORD
	s_and_saveexec_b64 s[28:29], s[30:31]
	s_cbranch_execz .LBB2604_38
; %bb.33:
	s_mov_b32 s3, 1
	s_mov_b64 s[30:31], 0
	v_mov_b32_e32 v17, 0
.LBB2604_34:                            ; =>This Loop Header: Depth=1
                                        ;     Child Loop BB2604_35 Depth 2
	s_max_u32 s33, s3, 1
.LBB2604_35:                            ;   Parent Loop BB2604_34 Depth=1
                                        ; =>  This Inner Loop Header: Depth=2
	s_add_i32 s33, s33, -1
	s_cmp_eq_u32 s33, 0
	s_sleep 1
	s_cbranch_scc0 .LBB2604_35
; %bb.36:                               ;   in Loop: Header=BB2604_34 Depth=1
	global_load_dwordx2 v[22:23], v[20:21], off sc1
	s_cmp_lt_u32 s3, 32
	s_cselect_b64 s[34:35], -1, 0
	s_cmp_lg_u64 s[34:35], 0
	s_addc_u32 s3, s3, 0
	s_waitcnt vmcnt(0)
	v_cmp_ne_u16_sdwa s[34:35], v23, v17 src0_sel:BYTE_0 src1_sel:DWORD
	s_or_b64 s[30:31], s[34:35], s[30:31]
	s_andn2_b64 exec, exec, s[30:31]
	s_cbranch_execnz .LBB2604_34
; %bb.37:
	s_or_b64 exec, exec, s[30:31]
.LBB2604_38:
	s_or_b64 exec, exec, s[28:29]
	v_and_b32_e32 v43, 63, v37
	v_mov_b32_e32 v42, 2
	v_cmp_ne_u32_e32 vcc, 63, v43
	v_cmp_eq_u16_sdwa s[28:29], v23, v42 src0_sel:BYTE_0 src1_sel:DWORD
	v_lshlrev_b64 v[20:21], v37, -1
	v_addc_co_u32_e32 v24, vcc, 0, v37, vcc
	v_and_b32_e32 v17, s29, v21
	v_lshlrev_b32_e32 v44, 2, v24
	v_or_b32_e32 v17, 0x80000000, v17
	ds_bpermute_b32 v24, v44, v22
	v_and_b32_e32 v19, s28, v20
	v_ffbl_b32_e32 v17, v17
	v_add_u32_e32 v17, 32, v17
	v_ffbl_b32_e32 v19, v19
	v_min_u32_e32 v17, v19, v17
	v_cmp_lt_u32_e32 vcc, v43, v17
	v_add_u32_e32 v46, 2, v43
	v_add_u32_e32 v48, 4, v43
	s_waitcnt lgkmcnt(0)
	v_cndmask_b32_e32 v19, 0, v24, vcc
	v_cmp_gt_u32_e32 vcc, 62, v43
	v_add_u32_e32 v19, v19, v22
	v_add_u32_e32 v50, 8, v43
	v_cndmask_b32_e64 v22, 0, 1, vcc
	v_lshlrev_b32_e32 v22, 1, v22
	v_add_lshl_u32 v45, v22, v37, 2
	ds_bpermute_b32 v22, v45, v19
	v_cmp_le_u32_e32 vcc, v46, v17
	v_add_u32_e32 v52, 16, v43
	v_add_u32_e32 v54, 32, v43
	s_waitcnt lgkmcnt(0)
	v_cndmask_b32_e32 v22, 0, v22, vcc
	v_cmp_gt_u32_e32 vcc, 60, v43
	v_add_u32_e32 v19, v19, v22
	s_nop 0
	v_cndmask_b32_e64 v22, 0, 1, vcc
	v_lshlrev_b32_e32 v22, 2, v22
	v_add_lshl_u32 v47, v22, v37, 2
	ds_bpermute_b32 v22, v47, v19
	v_cmp_le_u32_e32 vcc, v48, v17
	s_waitcnt lgkmcnt(0)
	s_nop 0
	v_cndmask_b32_e32 v22, 0, v22, vcc
	v_cmp_gt_u32_e32 vcc, 56, v43
	v_add_u32_e32 v19, v19, v22
	s_nop 0
	v_cndmask_b32_e64 v22, 0, 1, vcc
	v_lshlrev_b32_e32 v22, 3, v22
	v_add_lshl_u32 v49, v22, v37, 2
	ds_bpermute_b32 v22, v49, v19
	v_cmp_le_u32_e32 vcc, v50, v17
	s_waitcnt lgkmcnt(0)
	s_nop 0
	v_cndmask_b32_e32 v22, 0, v22, vcc
	v_cmp_gt_u32_e32 vcc, 48, v43
	v_add_u32_e32 v19, v19, v22
	s_nop 0
	v_cndmask_b32_e64 v22, 0, 1, vcc
	v_lshlrev_b32_e32 v22, 4, v22
	v_add_lshl_u32 v51, v22, v37, 2
	ds_bpermute_b32 v22, v51, v19
	v_cmp_le_u32_e32 vcc, v52, v17
	s_waitcnt lgkmcnt(0)
	s_nop 0
	v_cndmask_b32_e32 v22, 0, v22, vcc
	v_cmp_gt_u32_e32 vcc, 32, v43
	v_add_u32_e32 v19, v19, v22
	s_nop 0
	v_cndmask_b32_e64 v22, 0, 1, vcc
	v_lshlrev_b32_e32 v22, 5, v22
	v_add_lshl_u32 v53, v22, v37, 2
	ds_bpermute_b32 v22, v53, v19
	v_cmp_le_u32_e32 vcc, v54, v17
	s_waitcnt lgkmcnt(0)
	s_nop 0
	v_cndmask_b32_e32 v17, 0, v22, vcc
	v_add_u32_e32 v22, v19, v17
	v_mov_b32_e32 v19, 0
	s_branch .LBB2604_40
.LBB2604_39:                            ;   in Loop: Header=BB2604_40 Depth=1
	s_or_b64 exec, exec, s[28:29]
	v_cmp_eq_u16_sdwa s[28:29], v23, v42 src0_sel:BYTE_0 src1_sel:DWORD
	ds_bpermute_b32 v55, v44, v22
	v_subrev_u32_e32 v18, 64, v18
	v_and_b32_e32 v24, s29, v21
	v_or_b32_e32 v24, 0x80000000, v24
	v_and_b32_e32 v25, s28, v20
	v_ffbl_b32_e32 v24, v24
	v_add_u32_e32 v24, 32, v24
	v_ffbl_b32_e32 v25, v25
	v_min_u32_e32 v24, v25, v24
	v_cmp_lt_u32_e32 vcc, v43, v24
	s_waitcnt lgkmcnt(0)
	s_nop 0
	v_cndmask_b32_e32 v25, 0, v55, vcc
	v_add_u32_e32 v22, v25, v22
	ds_bpermute_b32 v25, v45, v22
	v_cmp_le_u32_e32 vcc, v46, v24
	s_waitcnt lgkmcnt(0)
	s_nop 0
	v_cndmask_b32_e32 v25, 0, v25, vcc
	v_add_u32_e32 v22, v22, v25
	ds_bpermute_b32 v25, v47, v22
	v_cmp_le_u32_e32 vcc, v48, v24
	;; [unrolled: 6-line block ×5, first 2 shown]
	s_waitcnt lgkmcnt(0)
	s_nop 0
	v_cndmask_b32_e32 v24, 0, v25, vcc
	v_add3_u32 v22, v24, v17, v22
.LBB2604_40:                            ; =>This Loop Header: Depth=1
                                        ;     Child Loop BB2604_43 Depth 2
                                        ;       Child Loop BB2604_44 Depth 3
	v_cmp_ne_u16_sdwa s[28:29], v23, v42 src0_sel:BYTE_0 src1_sel:DWORD
	s_nop 1
	v_cndmask_b32_e64 v17, 0, 1, s[28:29]
	;;#ASMSTART
	;;#ASMEND
	s_nop 0
	v_cmp_ne_u32_e32 vcc, 0, v17
	s_cmp_lg_u64 vcc, exec
	v_mov_b32_e32 v17, v22
	s_cbranch_scc1 .LBB2604_47
; %bb.41:                               ;   in Loop: Header=BB2604_40 Depth=1
	v_lshl_add_u64 v[24:25], v[18:19], 3, s[24:25]
	global_load_dwordx2 v[22:23], v[24:25], off sc1
	s_waitcnt vmcnt(0)
	v_cmp_eq_u16_sdwa s[30:31], v23, v19 src0_sel:BYTE_0 src1_sel:DWORD
	s_and_saveexec_b64 s[28:29], s[30:31]
	s_cbranch_execz .LBB2604_39
; %bb.42:                               ;   in Loop: Header=BB2604_40 Depth=1
	s_mov_b32 s3, 1
	s_mov_b64 s[30:31], 0
.LBB2604_43:                            ;   Parent Loop BB2604_40 Depth=1
                                        ; =>  This Loop Header: Depth=2
                                        ;       Child Loop BB2604_44 Depth 3
	s_max_u32 s33, s3, 1
.LBB2604_44:                            ;   Parent Loop BB2604_40 Depth=1
                                        ;     Parent Loop BB2604_43 Depth=2
                                        ; =>    This Inner Loop Header: Depth=3
	s_add_i32 s33, s33, -1
	s_cmp_eq_u32 s33, 0
	s_sleep 1
	s_cbranch_scc0 .LBB2604_44
; %bb.45:                               ;   in Loop: Header=BB2604_43 Depth=2
	global_load_dwordx2 v[22:23], v[24:25], off sc1
	s_cmp_lt_u32 s3, 32
	s_cselect_b64 s[34:35], -1, 0
	s_cmp_lg_u64 s[34:35], 0
	s_addc_u32 s3, s3, 0
	s_waitcnt vmcnt(0)
	v_cmp_ne_u16_sdwa s[34:35], v23, v19 src0_sel:BYTE_0 src1_sel:DWORD
	s_or_b64 s[30:31], s[34:35], s[30:31]
	s_andn2_b64 exec, exec, s[30:31]
	s_cbranch_execnz .LBB2604_43
; %bb.46:                               ;   in Loop: Header=BB2604_40 Depth=1
	s_or_b64 exec, exec, s[30:31]
	s_branch .LBB2604_39
.LBB2604_47:                            ;   in Loop: Header=BB2604_40 Depth=1
                                        ; implicit-def: $vgpr22
                                        ; implicit-def: $vgpr23
	s_cbranch_execz .LBB2604_40
; %bb.48:
	s_and_saveexec_b64 s[28:29], s[14:15]
	s_cbranch_execz .LBB2604_50
; %bb.49:
	s_add_i32 s2, s2, 64
	s_mov_b32 s3, 0
	s_lshl_b64 s[2:3], s[2:3], 3
	s_add_u32 s2, s24, s2
	v_add_u32_e32 v18, v17, v16
	v_mov_b32_e32 v19, 2
	s_addc_u32 s3, s25, s3
	v_mov_b32_e32 v20, 0
	global_store_dwordx2 v20, v[18:19], s[2:3] sc1
	ds_write_b64 v20, v[16:17] offset:28672
.LBB2604_50:
	s_or_b64 exec, exec, s[28:29]
	v_cmp_eq_u32_e32 vcc, 0, v0
	s_and_b64 exec, exec, vcc
	s_cbranch_execz .LBB2604_52
; %bb.51:
	v_mov_b32_e32 v16, 0
	ds_write_b32 v16, v17 offset:28
.LBB2604_52:
	s_or_b64 exec, exec, s[26:27]
	v_mov_b32_e32 v16, 0
	s_waitcnt lgkmcnt(0)
	s_barrier
	ds_read_b32 v17, v16 offset:28
	v_cndmask_b32_e64 v18, v41, v40, s[14:15]
	v_cmp_ne_u32_e32 vcc, 0, v0
	s_waitcnt lgkmcnt(0)
	s_barrier
	v_cndmask_b32_e32 v18, 0, v18, vcc
	v_add_u32_e32 v24, v17, v18
	v_add_u32_e32 v23, v24, v32
	;; [unrolled: 1-line block ×3, first 2 shown]
	ds_read_b64 v[16:17], v16 offset:28672
	v_add_u32_e32 v21, v22, v34
	v_add_u32_e32 v20, v21, v30
	v_add_u32_e32 v19, v20, v35
	v_add_u32_e32 v18, v19, v36
	s_branch .LBB2604_63
.LBB2604_53:
                                        ; implicit-def: $vgpr17
                                        ; implicit-def: $vgpr18
                                        ; implicit-def: $vgpr19
                                        ; implicit-def: $vgpr20
                                        ; implicit-def: $vgpr21
                                        ; implicit-def: $vgpr22
                                        ; implicit-def: $vgpr23
                                        ; implicit-def: $vgpr24
	s_cbranch_execz .LBB2604_63
; %bb.54:
	s_waitcnt lgkmcnt(0)
	v_mov_b32_dpp v16, v39 row_shr:1 row_mask:0xf bank_mask:0xf
	v_cndmask_b32_e64 v16, v16, 0, s[12:13]
	v_add_u32_e32 v16, v16, v39
	s_nop 1
	v_mov_b32_dpp v17, v16 row_shr:2 row_mask:0xf bank_mask:0xf
	v_cndmask_b32_e64 v17, 0, v17, s[10:11]
	v_add_u32_e32 v16, v16, v17
	s_nop 1
	v_mov_b32_dpp v17, v16 row_shr:4 row_mask:0xf bank_mask:0xf
	v_cndmask_b32_e64 v17, 0, v17, s[8:9]
	v_add_u32_e32 v16, v16, v17
	s_nop 1
	v_mov_b32_dpp v17, v16 row_shr:8 row_mask:0xf bank_mask:0xf
	v_cndmask_b32_e64 v17, 0, v17, s[6:7]
	v_add_u32_e32 v16, v16, v17
	s_nop 1
	v_mov_b32_dpp v17, v16 row_bcast:15 row_mask:0xf bank_mask:0xf
	v_cndmask_b32_e64 v17, v17, 0, s[4:5]
	v_add_u32_e32 v16, v16, v17
	s_nop 1
	v_mov_b32_dpp v17, v16 row_bcast:31 row_mask:0xf bank_mask:0xf
	v_cndmask_b32_e64 v17, 0, v17, s[0:1]
	v_add_u32_e32 v16, v16, v17
	s_and_saveexec_b64 s[0:1], s[16:17]
	s_cbranch_execz .LBB2604_56
; %bb.55:
	v_lshlrev_b32_e32 v17, 2, v38
	ds_write_b32 v17, v16
.LBB2604_56:
	s_or_b64 exec, exec, s[0:1]
	v_cmp_gt_u32_e32 vcc, 8, v0
	s_waitcnt lgkmcnt(0)
	s_barrier
	s_and_saveexec_b64 s[0:1], vcc
	s_cbranch_execz .LBB2604_58
; %bb.57:
	s_movk_i32 s2, 0xffcc
	v_mad_i32_i24 v17, v0, s2, v31
	ds_read_b32 v18, v17
	v_and_b32_e32 v19, 7, v37
	v_cmp_ne_u32_e32 vcc, 0, v19
	s_waitcnt lgkmcnt(0)
	v_mov_b32_dpp v20, v18 row_shr:1 row_mask:0xf bank_mask:0xf
	v_cndmask_b32_e32 v20, 0, v20, vcc
	v_add_u32_e32 v18, v20, v18
	v_cmp_lt_u32_e32 vcc, 1, v19
	s_nop 0
	v_mov_b32_dpp v20, v18 row_shr:2 row_mask:0xf bank_mask:0xf
	v_cndmask_b32_e32 v20, 0, v20, vcc
	v_add_u32_e32 v18, v18, v20
	v_cmp_lt_u32_e32 vcc, 3, v19
	s_nop 0
	v_mov_b32_dpp v20, v18 row_shr:4 row_mask:0xf bank_mask:0xf
	v_cndmask_b32_e32 v19, 0, v20, vcc
	v_add_u32_e32 v18, v18, v19
	ds_write_b32 v17, v18
.LBB2604_58:
	s_or_b64 exec, exec, s[0:1]
	v_cmp_lt_u32_e32 vcc, 63, v0
	v_mov_b32_e32 v17, 0
	v_mov_b32_e32 v18, 0
	s_waitcnt lgkmcnt(0)
	s_barrier
	s_and_saveexec_b64 s[0:1], vcc
	s_cbranch_execz .LBB2604_60
; %bb.59:
	v_lshl_add_u32 v18, v38, 2, -4
	ds_read_b32 v18, v18
.LBB2604_60:
	s_or_b64 exec, exec, s[0:1]
	v_add_u32_e32 v19, -1, v37
	v_and_b32_e32 v20, 64, v37
	v_cmp_lt_i32_e32 vcc, v19, v20
	s_waitcnt lgkmcnt(0)
	v_add_u32_e32 v16, v18, v16
	v_cndmask_b32_e32 v19, v19, v37, vcc
	v_lshlrev_b32_e32 v19, 2, v19
	ds_bpermute_b32 v19, v19, v16
	ds_read_b32 v16, v17 offset:28
	v_cmp_eq_u32_e32 vcc, 0, v0
	s_and_saveexec_b64 s[0:1], vcc
	s_cbranch_execz .LBB2604_62
; %bb.61:
	v_mov_b32_e32 v20, 0
	v_mov_b32_e32 v17, 2
	s_waitcnt lgkmcnt(0)
	global_store_dwordx2 v20, v[16:17], s[24:25] offset:512 sc1
.LBB2604_62:
	s_or_b64 exec, exec, s[0:1]
	v_cmp_eq_u32_e64 s[0:1], 0, v37
	v_mov_b32_e32 v17, 0
	s_waitcnt lgkmcnt(0)
	v_cndmask_b32_e64 v18, v19, v18, s[0:1]
	v_cndmask_b32_e64 v24, v18, 0, vcc
	v_add_u32_e32 v23, v24, v32
	v_add_u32_e32 v22, v23, v33
	;; [unrolled: 1-line block ×6, first 2 shown]
	s_barrier
.LBB2604_63:
	s_waitcnt lgkmcnt(0)
	v_add_u32_e32 v1, v16, v1
	v_sub_u32_e32 v24, v24, v17
	v_and_b32_e32 v32, 1, v29
	v_sub_u32_e32 v31, v1, v24
	v_cmp_eq_u32_e32 vcc, 1, v32
	v_lshrrev_b32_e32 v25, 8, v29
	s_nop 0
	v_cndmask_b32_e32 v24, v31, v24, vcc
	v_lshlrev_b32_e32 v24, 3, v24
	ds_write_b64 v24, v[10:11]
	v_sub_u32_e32 v10, v23, v17
	v_sub_u32_e32 v11, v1, v10
	v_and_b32_e32 v23, 1, v25
	v_add_u32_e32 v11, 1, v11
	v_cmp_eq_u32_e32 vcc, 1, v23
	s_nop 1
	v_cndmask_b32_e32 v10, v11, v10, vcc
	v_lshlrev_b32_e32 v10, 3, v10
	ds_write_b64 v10, v[12:13]
	v_sub_u32_e32 v10, v22, v17
	v_mov_b32_e32 v12, 1
	v_sub_u32_e32 v11, v1, v10
	v_and_b32_sdwa v12, v12, v29 dst_sel:DWORD dst_unused:UNUSED_PAD src0_sel:DWORD src1_sel:WORD_1
	v_add_u32_e32 v11, 2, v11
	v_cmp_eq_u32_e32 vcc, 1, v12
	s_nop 1
	v_cndmask_b32_e32 v10, v11, v10, vcc
	v_lshlrev_b32_e32 v10, 3, v10
	ds_write_b64 v10, v[6:7]
	v_sub_u32_e32 v6, v21, v17
	v_sub_u32_e32 v7, v1, v6
	v_and_b32_e32 v10, 1, v30
	v_add_u32_e32 v7, 3, v7
	v_cmp_eq_u32_e32 vcc, 1, v10
	s_nop 1
	v_cndmask_b32_e32 v6, v7, v6, vcc
	v_lshlrev_b32_e32 v6, 3, v6
	ds_write_b64 v6, v[8:9]
	v_sub_u32_e32 v6, v20, v17
	v_sub_u32_e32 v7, v1, v6
	v_and_b32_e32 v8, 1, v28
	;; [unrolled: 9-line block ×4, first 2 shown]
	v_add_u32_e32 v1, 6, v1
	v_cmp_eq_u32_e32 vcc, 1, v3
	s_nop 1
	v_cndmask_b32_e32 v1, v1, v2, vcc
	v_cmp_eq_u32_e32 vcc, 0, v0
	v_lshlrev_b32_e32 v1, 3, v1
	s_and_b64 s[0:1], vcc, s[22:23]
	ds_write_b64 v1, v[14:15]
	s_waitcnt lgkmcnt(0)
	s_barrier
	s_and_saveexec_b64 s[2:3], s[0:1]
	s_cbranch_execz .LBB2604_65
; %bb.64:
	v_mov_b32_e32 v1, 0
	v_mov_b32_e32 v0, v16
	v_lshl_add_u64 v[2:3], s[18:19], 0, v[0:1]
	v_mov_b32_e32 v0, v17
	v_lshl_add_u64 v[2:3], v[2:3], 0, v[0:1]
	global_store_dwordx2 v1, v[2:3], s[20:21]
.LBB2604_65:
	s_endpgm
	.section	.rodata,"a",@progbits
	.p2align	6, 0x0
	.amdhsa_kernel _ZN7rocprim17ROCPRIM_400000_NS6detail17trampoline_kernelINS0_14default_configENS1_25partition_config_selectorILNS1_17partition_subalgoE0ExNS0_10empty_typeEbEEZZNS1_14partition_implILS5_0ELb0ES3_jN6thrust23THRUST_200600_302600_NS6detail15normal_iteratorINSA_10device_ptrIxEEEEPS6_SG_NS0_5tupleIJNSA_16discard_iteratorINSA_11use_defaultEEESK_EEENSH_IJSG_SG_EEES6_PlJ7is_evenIxEEEE10hipError_tPvRmT3_T4_T5_T6_T7_T9_mT8_P12ihipStream_tbDpT10_ENKUlT_T0_E_clISt17integral_constantIbLb1EES18_IbLb0EEEEDaS14_S15_EUlS14_E_NS1_11comp_targetILNS1_3genE5ELNS1_11target_archE942ELNS1_3gpuE9ELNS1_3repE0EEENS1_30default_config_static_selectorELNS0_4arch9wavefront6targetE1EEEvT1_
		.amdhsa_group_segment_fixed_size 28680
		.amdhsa_private_segment_fixed_size 0
		.amdhsa_kernarg_size 136
		.amdhsa_user_sgpr_count 2
		.amdhsa_user_sgpr_dispatch_ptr 0
		.amdhsa_user_sgpr_queue_ptr 0
		.amdhsa_user_sgpr_kernarg_segment_ptr 1
		.amdhsa_user_sgpr_dispatch_id 0
		.amdhsa_user_sgpr_kernarg_preload_length 0
		.amdhsa_user_sgpr_kernarg_preload_offset 0
		.amdhsa_user_sgpr_private_segment_size 0
		.amdhsa_uses_dynamic_stack 0
		.amdhsa_enable_private_segment 0
		.amdhsa_system_sgpr_workgroup_id_x 1
		.amdhsa_system_sgpr_workgroup_id_y 0
		.amdhsa_system_sgpr_workgroup_id_z 0
		.amdhsa_system_sgpr_workgroup_info 0
		.amdhsa_system_vgpr_workitem_id 0
		.amdhsa_next_free_vgpr 56
		.amdhsa_next_free_sgpr 36
		.amdhsa_accum_offset 56
		.amdhsa_reserve_vcc 1
		.amdhsa_float_round_mode_32 0
		.amdhsa_float_round_mode_16_64 0
		.amdhsa_float_denorm_mode_32 3
		.amdhsa_float_denorm_mode_16_64 3
		.amdhsa_dx10_clamp 1
		.amdhsa_ieee_mode 1
		.amdhsa_fp16_overflow 0
		.amdhsa_tg_split 0
		.amdhsa_exception_fp_ieee_invalid_op 0
		.amdhsa_exception_fp_denorm_src 0
		.amdhsa_exception_fp_ieee_div_zero 0
		.amdhsa_exception_fp_ieee_overflow 0
		.amdhsa_exception_fp_ieee_underflow 0
		.amdhsa_exception_fp_ieee_inexact 0
		.amdhsa_exception_int_div_zero 0
	.end_amdhsa_kernel
	.section	.text._ZN7rocprim17ROCPRIM_400000_NS6detail17trampoline_kernelINS0_14default_configENS1_25partition_config_selectorILNS1_17partition_subalgoE0ExNS0_10empty_typeEbEEZZNS1_14partition_implILS5_0ELb0ES3_jN6thrust23THRUST_200600_302600_NS6detail15normal_iteratorINSA_10device_ptrIxEEEEPS6_SG_NS0_5tupleIJNSA_16discard_iteratorINSA_11use_defaultEEESK_EEENSH_IJSG_SG_EEES6_PlJ7is_evenIxEEEE10hipError_tPvRmT3_T4_T5_T6_T7_T9_mT8_P12ihipStream_tbDpT10_ENKUlT_T0_E_clISt17integral_constantIbLb1EES18_IbLb0EEEEDaS14_S15_EUlS14_E_NS1_11comp_targetILNS1_3genE5ELNS1_11target_archE942ELNS1_3gpuE9ELNS1_3repE0EEENS1_30default_config_static_selectorELNS0_4arch9wavefront6targetE1EEEvT1_,"axG",@progbits,_ZN7rocprim17ROCPRIM_400000_NS6detail17trampoline_kernelINS0_14default_configENS1_25partition_config_selectorILNS1_17partition_subalgoE0ExNS0_10empty_typeEbEEZZNS1_14partition_implILS5_0ELb0ES3_jN6thrust23THRUST_200600_302600_NS6detail15normal_iteratorINSA_10device_ptrIxEEEEPS6_SG_NS0_5tupleIJNSA_16discard_iteratorINSA_11use_defaultEEESK_EEENSH_IJSG_SG_EEES6_PlJ7is_evenIxEEEE10hipError_tPvRmT3_T4_T5_T6_T7_T9_mT8_P12ihipStream_tbDpT10_ENKUlT_T0_E_clISt17integral_constantIbLb1EES18_IbLb0EEEEDaS14_S15_EUlS14_E_NS1_11comp_targetILNS1_3genE5ELNS1_11target_archE942ELNS1_3gpuE9ELNS1_3repE0EEENS1_30default_config_static_selectorELNS0_4arch9wavefront6targetE1EEEvT1_,comdat
.Lfunc_end2604:
	.size	_ZN7rocprim17ROCPRIM_400000_NS6detail17trampoline_kernelINS0_14default_configENS1_25partition_config_selectorILNS1_17partition_subalgoE0ExNS0_10empty_typeEbEEZZNS1_14partition_implILS5_0ELb0ES3_jN6thrust23THRUST_200600_302600_NS6detail15normal_iteratorINSA_10device_ptrIxEEEEPS6_SG_NS0_5tupleIJNSA_16discard_iteratorINSA_11use_defaultEEESK_EEENSH_IJSG_SG_EEES6_PlJ7is_evenIxEEEE10hipError_tPvRmT3_T4_T5_T6_T7_T9_mT8_P12ihipStream_tbDpT10_ENKUlT_T0_E_clISt17integral_constantIbLb1EES18_IbLb0EEEEDaS14_S15_EUlS14_E_NS1_11comp_targetILNS1_3genE5ELNS1_11target_archE942ELNS1_3gpuE9ELNS1_3repE0EEENS1_30default_config_static_selectorELNS0_4arch9wavefront6targetE1EEEvT1_, .Lfunc_end2604-_ZN7rocprim17ROCPRIM_400000_NS6detail17trampoline_kernelINS0_14default_configENS1_25partition_config_selectorILNS1_17partition_subalgoE0ExNS0_10empty_typeEbEEZZNS1_14partition_implILS5_0ELb0ES3_jN6thrust23THRUST_200600_302600_NS6detail15normal_iteratorINSA_10device_ptrIxEEEEPS6_SG_NS0_5tupleIJNSA_16discard_iteratorINSA_11use_defaultEEESK_EEENSH_IJSG_SG_EEES6_PlJ7is_evenIxEEEE10hipError_tPvRmT3_T4_T5_T6_T7_T9_mT8_P12ihipStream_tbDpT10_ENKUlT_T0_E_clISt17integral_constantIbLb1EES18_IbLb0EEEEDaS14_S15_EUlS14_E_NS1_11comp_targetILNS1_3genE5ELNS1_11target_archE942ELNS1_3gpuE9ELNS1_3repE0EEENS1_30default_config_static_selectorELNS0_4arch9wavefront6targetE1EEEvT1_
                                        ; -- End function
	.section	.AMDGPU.csdata,"",@progbits
; Kernel info:
; codeLenInByte = 3676
; NumSgprs: 42
; NumVgprs: 56
; NumAgprs: 0
; TotalNumVgprs: 56
; ScratchSize: 0
; MemoryBound: 0
; FloatMode: 240
; IeeeMode: 1
; LDSByteSize: 28680 bytes/workgroup (compile time only)
; SGPRBlocks: 5
; VGPRBlocks: 6
; NumSGPRsForWavesPerEU: 42
; NumVGPRsForWavesPerEU: 56
; AccumOffset: 56
; Occupancy: 4
; WaveLimiterHint : 1
; COMPUTE_PGM_RSRC2:SCRATCH_EN: 0
; COMPUTE_PGM_RSRC2:USER_SGPR: 2
; COMPUTE_PGM_RSRC2:TRAP_HANDLER: 0
; COMPUTE_PGM_RSRC2:TGID_X_EN: 1
; COMPUTE_PGM_RSRC2:TGID_Y_EN: 0
; COMPUTE_PGM_RSRC2:TGID_Z_EN: 0
; COMPUTE_PGM_RSRC2:TIDIG_COMP_CNT: 0
; COMPUTE_PGM_RSRC3_GFX90A:ACCUM_OFFSET: 13
; COMPUTE_PGM_RSRC3_GFX90A:TG_SPLIT: 0
	.section	.text._ZN7rocprim17ROCPRIM_400000_NS6detail17trampoline_kernelINS0_14default_configENS1_25partition_config_selectorILNS1_17partition_subalgoE0ExNS0_10empty_typeEbEEZZNS1_14partition_implILS5_0ELb0ES3_jN6thrust23THRUST_200600_302600_NS6detail15normal_iteratorINSA_10device_ptrIxEEEEPS6_SG_NS0_5tupleIJNSA_16discard_iteratorINSA_11use_defaultEEESK_EEENSH_IJSG_SG_EEES6_PlJ7is_evenIxEEEE10hipError_tPvRmT3_T4_T5_T6_T7_T9_mT8_P12ihipStream_tbDpT10_ENKUlT_T0_E_clISt17integral_constantIbLb1EES18_IbLb0EEEEDaS14_S15_EUlS14_E_NS1_11comp_targetILNS1_3genE4ELNS1_11target_archE910ELNS1_3gpuE8ELNS1_3repE0EEENS1_30default_config_static_selectorELNS0_4arch9wavefront6targetE1EEEvT1_,"axG",@progbits,_ZN7rocprim17ROCPRIM_400000_NS6detail17trampoline_kernelINS0_14default_configENS1_25partition_config_selectorILNS1_17partition_subalgoE0ExNS0_10empty_typeEbEEZZNS1_14partition_implILS5_0ELb0ES3_jN6thrust23THRUST_200600_302600_NS6detail15normal_iteratorINSA_10device_ptrIxEEEEPS6_SG_NS0_5tupleIJNSA_16discard_iteratorINSA_11use_defaultEEESK_EEENSH_IJSG_SG_EEES6_PlJ7is_evenIxEEEE10hipError_tPvRmT3_T4_T5_T6_T7_T9_mT8_P12ihipStream_tbDpT10_ENKUlT_T0_E_clISt17integral_constantIbLb1EES18_IbLb0EEEEDaS14_S15_EUlS14_E_NS1_11comp_targetILNS1_3genE4ELNS1_11target_archE910ELNS1_3gpuE8ELNS1_3repE0EEENS1_30default_config_static_selectorELNS0_4arch9wavefront6targetE1EEEvT1_,comdat
	.protected	_ZN7rocprim17ROCPRIM_400000_NS6detail17trampoline_kernelINS0_14default_configENS1_25partition_config_selectorILNS1_17partition_subalgoE0ExNS0_10empty_typeEbEEZZNS1_14partition_implILS5_0ELb0ES3_jN6thrust23THRUST_200600_302600_NS6detail15normal_iteratorINSA_10device_ptrIxEEEEPS6_SG_NS0_5tupleIJNSA_16discard_iteratorINSA_11use_defaultEEESK_EEENSH_IJSG_SG_EEES6_PlJ7is_evenIxEEEE10hipError_tPvRmT3_T4_T5_T6_T7_T9_mT8_P12ihipStream_tbDpT10_ENKUlT_T0_E_clISt17integral_constantIbLb1EES18_IbLb0EEEEDaS14_S15_EUlS14_E_NS1_11comp_targetILNS1_3genE4ELNS1_11target_archE910ELNS1_3gpuE8ELNS1_3repE0EEENS1_30default_config_static_selectorELNS0_4arch9wavefront6targetE1EEEvT1_ ; -- Begin function _ZN7rocprim17ROCPRIM_400000_NS6detail17trampoline_kernelINS0_14default_configENS1_25partition_config_selectorILNS1_17partition_subalgoE0ExNS0_10empty_typeEbEEZZNS1_14partition_implILS5_0ELb0ES3_jN6thrust23THRUST_200600_302600_NS6detail15normal_iteratorINSA_10device_ptrIxEEEEPS6_SG_NS0_5tupleIJNSA_16discard_iteratorINSA_11use_defaultEEESK_EEENSH_IJSG_SG_EEES6_PlJ7is_evenIxEEEE10hipError_tPvRmT3_T4_T5_T6_T7_T9_mT8_P12ihipStream_tbDpT10_ENKUlT_T0_E_clISt17integral_constantIbLb1EES18_IbLb0EEEEDaS14_S15_EUlS14_E_NS1_11comp_targetILNS1_3genE4ELNS1_11target_archE910ELNS1_3gpuE8ELNS1_3repE0EEENS1_30default_config_static_selectorELNS0_4arch9wavefront6targetE1EEEvT1_
	.globl	_ZN7rocprim17ROCPRIM_400000_NS6detail17trampoline_kernelINS0_14default_configENS1_25partition_config_selectorILNS1_17partition_subalgoE0ExNS0_10empty_typeEbEEZZNS1_14partition_implILS5_0ELb0ES3_jN6thrust23THRUST_200600_302600_NS6detail15normal_iteratorINSA_10device_ptrIxEEEEPS6_SG_NS0_5tupleIJNSA_16discard_iteratorINSA_11use_defaultEEESK_EEENSH_IJSG_SG_EEES6_PlJ7is_evenIxEEEE10hipError_tPvRmT3_T4_T5_T6_T7_T9_mT8_P12ihipStream_tbDpT10_ENKUlT_T0_E_clISt17integral_constantIbLb1EES18_IbLb0EEEEDaS14_S15_EUlS14_E_NS1_11comp_targetILNS1_3genE4ELNS1_11target_archE910ELNS1_3gpuE8ELNS1_3repE0EEENS1_30default_config_static_selectorELNS0_4arch9wavefront6targetE1EEEvT1_
	.p2align	8
	.type	_ZN7rocprim17ROCPRIM_400000_NS6detail17trampoline_kernelINS0_14default_configENS1_25partition_config_selectorILNS1_17partition_subalgoE0ExNS0_10empty_typeEbEEZZNS1_14partition_implILS5_0ELb0ES3_jN6thrust23THRUST_200600_302600_NS6detail15normal_iteratorINSA_10device_ptrIxEEEEPS6_SG_NS0_5tupleIJNSA_16discard_iteratorINSA_11use_defaultEEESK_EEENSH_IJSG_SG_EEES6_PlJ7is_evenIxEEEE10hipError_tPvRmT3_T4_T5_T6_T7_T9_mT8_P12ihipStream_tbDpT10_ENKUlT_T0_E_clISt17integral_constantIbLb1EES18_IbLb0EEEEDaS14_S15_EUlS14_E_NS1_11comp_targetILNS1_3genE4ELNS1_11target_archE910ELNS1_3gpuE8ELNS1_3repE0EEENS1_30default_config_static_selectorELNS0_4arch9wavefront6targetE1EEEvT1_,@function
_ZN7rocprim17ROCPRIM_400000_NS6detail17trampoline_kernelINS0_14default_configENS1_25partition_config_selectorILNS1_17partition_subalgoE0ExNS0_10empty_typeEbEEZZNS1_14partition_implILS5_0ELb0ES3_jN6thrust23THRUST_200600_302600_NS6detail15normal_iteratorINSA_10device_ptrIxEEEEPS6_SG_NS0_5tupleIJNSA_16discard_iteratorINSA_11use_defaultEEESK_EEENSH_IJSG_SG_EEES6_PlJ7is_evenIxEEEE10hipError_tPvRmT3_T4_T5_T6_T7_T9_mT8_P12ihipStream_tbDpT10_ENKUlT_T0_E_clISt17integral_constantIbLb1EES18_IbLb0EEEEDaS14_S15_EUlS14_E_NS1_11comp_targetILNS1_3genE4ELNS1_11target_archE910ELNS1_3gpuE8ELNS1_3repE0EEENS1_30default_config_static_selectorELNS0_4arch9wavefront6targetE1EEEvT1_: ; @_ZN7rocprim17ROCPRIM_400000_NS6detail17trampoline_kernelINS0_14default_configENS1_25partition_config_selectorILNS1_17partition_subalgoE0ExNS0_10empty_typeEbEEZZNS1_14partition_implILS5_0ELb0ES3_jN6thrust23THRUST_200600_302600_NS6detail15normal_iteratorINSA_10device_ptrIxEEEEPS6_SG_NS0_5tupleIJNSA_16discard_iteratorINSA_11use_defaultEEESK_EEENSH_IJSG_SG_EEES6_PlJ7is_evenIxEEEE10hipError_tPvRmT3_T4_T5_T6_T7_T9_mT8_P12ihipStream_tbDpT10_ENKUlT_T0_E_clISt17integral_constantIbLb1EES18_IbLb0EEEEDaS14_S15_EUlS14_E_NS1_11comp_targetILNS1_3genE4ELNS1_11target_archE910ELNS1_3gpuE8ELNS1_3repE0EEENS1_30default_config_static_selectorELNS0_4arch9wavefront6targetE1EEEvT1_
; %bb.0:
	.section	.rodata,"a",@progbits
	.p2align	6, 0x0
	.amdhsa_kernel _ZN7rocprim17ROCPRIM_400000_NS6detail17trampoline_kernelINS0_14default_configENS1_25partition_config_selectorILNS1_17partition_subalgoE0ExNS0_10empty_typeEbEEZZNS1_14partition_implILS5_0ELb0ES3_jN6thrust23THRUST_200600_302600_NS6detail15normal_iteratorINSA_10device_ptrIxEEEEPS6_SG_NS0_5tupleIJNSA_16discard_iteratorINSA_11use_defaultEEESK_EEENSH_IJSG_SG_EEES6_PlJ7is_evenIxEEEE10hipError_tPvRmT3_T4_T5_T6_T7_T9_mT8_P12ihipStream_tbDpT10_ENKUlT_T0_E_clISt17integral_constantIbLb1EES18_IbLb0EEEEDaS14_S15_EUlS14_E_NS1_11comp_targetILNS1_3genE4ELNS1_11target_archE910ELNS1_3gpuE8ELNS1_3repE0EEENS1_30default_config_static_selectorELNS0_4arch9wavefront6targetE1EEEvT1_
		.amdhsa_group_segment_fixed_size 0
		.amdhsa_private_segment_fixed_size 0
		.amdhsa_kernarg_size 136
		.amdhsa_user_sgpr_count 2
		.amdhsa_user_sgpr_dispatch_ptr 0
		.amdhsa_user_sgpr_queue_ptr 0
		.amdhsa_user_sgpr_kernarg_segment_ptr 1
		.amdhsa_user_sgpr_dispatch_id 0
		.amdhsa_user_sgpr_kernarg_preload_length 0
		.amdhsa_user_sgpr_kernarg_preload_offset 0
		.amdhsa_user_sgpr_private_segment_size 0
		.amdhsa_uses_dynamic_stack 0
		.amdhsa_enable_private_segment 0
		.amdhsa_system_sgpr_workgroup_id_x 1
		.amdhsa_system_sgpr_workgroup_id_y 0
		.amdhsa_system_sgpr_workgroup_id_z 0
		.amdhsa_system_sgpr_workgroup_info 0
		.amdhsa_system_vgpr_workitem_id 0
		.amdhsa_next_free_vgpr 1
		.amdhsa_next_free_sgpr 0
		.amdhsa_accum_offset 4
		.amdhsa_reserve_vcc 0
		.amdhsa_float_round_mode_32 0
		.amdhsa_float_round_mode_16_64 0
		.amdhsa_float_denorm_mode_32 3
		.amdhsa_float_denorm_mode_16_64 3
		.amdhsa_dx10_clamp 1
		.amdhsa_ieee_mode 1
		.amdhsa_fp16_overflow 0
		.amdhsa_tg_split 0
		.amdhsa_exception_fp_ieee_invalid_op 0
		.amdhsa_exception_fp_denorm_src 0
		.amdhsa_exception_fp_ieee_div_zero 0
		.amdhsa_exception_fp_ieee_overflow 0
		.amdhsa_exception_fp_ieee_underflow 0
		.amdhsa_exception_fp_ieee_inexact 0
		.amdhsa_exception_int_div_zero 0
	.end_amdhsa_kernel
	.section	.text._ZN7rocprim17ROCPRIM_400000_NS6detail17trampoline_kernelINS0_14default_configENS1_25partition_config_selectorILNS1_17partition_subalgoE0ExNS0_10empty_typeEbEEZZNS1_14partition_implILS5_0ELb0ES3_jN6thrust23THRUST_200600_302600_NS6detail15normal_iteratorINSA_10device_ptrIxEEEEPS6_SG_NS0_5tupleIJNSA_16discard_iteratorINSA_11use_defaultEEESK_EEENSH_IJSG_SG_EEES6_PlJ7is_evenIxEEEE10hipError_tPvRmT3_T4_T5_T6_T7_T9_mT8_P12ihipStream_tbDpT10_ENKUlT_T0_E_clISt17integral_constantIbLb1EES18_IbLb0EEEEDaS14_S15_EUlS14_E_NS1_11comp_targetILNS1_3genE4ELNS1_11target_archE910ELNS1_3gpuE8ELNS1_3repE0EEENS1_30default_config_static_selectorELNS0_4arch9wavefront6targetE1EEEvT1_,"axG",@progbits,_ZN7rocprim17ROCPRIM_400000_NS6detail17trampoline_kernelINS0_14default_configENS1_25partition_config_selectorILNS1_17partition_subalgoE0ExNS0_10empty_typeEbEEZZNS1_14partition_implILS5_0ELb0ES3_jN6thrust23THRUST_200600_302600_NS6detail15normal_iteratorINSA_10device_ptrIxEEEEPS6_SG_NS0_5tupleIJNSA_16discard_iteratorINSA_11use_defaultEEESK_EEENSH_IJSG_SG_EEES6_PlJ7is_evenIxEEEE10hipError_tPvRmT3_T4_T5_T6_T7_T9_mT8_P12ihipStream_tbDpT10_ENKUlT_T0_E_clISt17integral_constantIbLb1EES18_IbLb0EEEEDaS14_S15_EUlS14_E_NS1_11comp_targetILNS1_3genE4ELNS1_11target_archE910ELNS1_3gpuE8ELNS1_3repE0EEENS1_30default_config_static_selectorELNS0_4arch9wavefront6targetE1EEEvT1_,comdat
.Lfunc_end2605:
	.size	_ZN7rocprim17ROCPRIM_400000_NS6detail17trampoline_kernelINS0_14default_configENS1_25partition_config_selectorILNS1_17partition_subalgoE0ExNS0_10empty_typeEbEEZZNS1_14partition_implILS5_0ELb0ES3_jN6thrust23THRUST_200600_302600_NS6detail15normal_iteratorINSA_10device_ptrIxEEEEPS6_SG_NS0_5tupleIJNSA_16discard_iteratorINSA_11use_defaultEEESK_EEENSH_IJSG_SG_EEES6_PlJ7is_evenIxEEEE10hipError_tPvRmT3_T4_T5_T6_T7_T9_mT8_P12ihipStream_tbDpT10_ENKUlT_T0_E_clISt17integral_constantIbLb1EES18_IbLb0EEEEDaS14_S15_EUlS14_E_NS1_11comp_targetILNS1_3genE4ELNS1_11target_archE910ELNS1_3gpuE8ELNS1_3repE0EEENS1_30default_config_static_selectorELNS0_4arch9wavefront6targetE1EEEvT1_, .Lfunc_end2605-_ZN7rocprim17ROCPRIM_400000_NS6detail17trampoline_kernelINS0_14default_configENS1_25partition_config_selectorILNS1_17partition_subalgoE0ExNS0_10empty_typeEbEEZZNS1_14partition_implILS5_0ELb0ES3_jN6thrust23THRUST_200600_302600_NS6detail15normal_iteratorINSA_10device_ptrIxEEEEPS6_SG_NS0_5tupleIJNSA_16discard_iteratorINSA_11use_defaultEEESK_EEENSH_IJSG_SG_EEES6_PlJ7is_evenIxEEEE10hipError_tPvRmT3_T4_T5_T6_T7_T9_mT8_P12ihipStream_tbDpT10_ENKUlT_T0_E_clISt17integral_constantIbLb1EES18_IbLb0EEEEDaS14_S15_EUlS14_E_NS1_11comp_targetILNS1_3genE4ELNS1_11target_archE910ELNS1_3gpuE8ELNS1_3repE0EEENS1_30default_config_static_selectorELNS0_4arch9wavefront6targetE1EEEvT1_
                                        ; -- End function
	.section	.AMDGPU.csdata,"",@progbits
; Kernel info:
; codeLenInByte = 0
; NumSgprs: 6
; NumVgprs: 0
; NumAgprs: 0
; TotalNumVgprs: 0
; ScratchSize: 0
; MemoryBound: 0
; FloatMode: 240
; IeeeMode: 1
; LDSByteSize: 0 bytes/workgroup (compile time only)
; SGPRBlocks: 0
; VGPRBlocks: 0
; NumSGPRsForWavesPerEU: 6
; NumVGPRsForWavesPerEU: 1
; AccumOffset: 4
; Occupancy: 8
; WaveLimiterHint : 0
; COMPUTE_PGM_RSRC2:SCRATCH_EN: 0
; COMPUTE_PGM_RSRC2:USER_SGPR: 2
; COMPUTE_PGM_RSRC2:TRAP_HANDLER: 0
; COMPUTE_PGM_RSRC2:TGID_X_EN: 1
; COMPUTE_PGM_RSRC2:TGID_Y_EN: 0
; COMPUTE_PGM_RSRC2:TGID_Z_EN: 0
; COMPUTE_PGM_RSRC2:TIDIG_COMP_CNT: 0
; COMPUTE_PGM_RSRC3_GFX90A:ACCUM_OFFSET: 0
; COMPUTE_PGM_RSRC3_GFX90A:TG_SPLIT: 0
	.section	.text._ZN7rocprim17ROCPRIM_400000_NS6detail17trampoline_kernelINS0_14default_configENS1_25partition_config_selectorILNS1_17partition_subalgoE0ExNS0_10empty_typeEbEEZZNS1_14partition_implILS5_0ELb0ES3_jN6thrust23THRUST_200600_302600_NS6detail15normal_iteratorINSA_10device_ptrIxEEEEPS6_SG_NS0_5tupleIJNSA_16discard_iteratorINSA_11use_defaultEEESK_EEENSH_IJSG_SG_EEES6_PlJ7is_evenIxEEEE10hipError_tPvRmT3_T4_T5_T6_T7_T9_mT8_P12ihipStream_tbDpT10_ENKUlT_T0_E_clISt17integral_constantIbLb1EES18_IbLb0EEEEDaS14_S15_EUlS14_E_NS1_11comp_targetILNS1_3genE3ELNS1_11target_archE908ELNS1_3gpuE7ELNS1_3repE0EEENS1_30default_config_static_selectorELNS0_4arch9wavefront6targetE1EEEvT1_,"axG",@progbits,_ZN7rocprim17ROCPRIM_400000_NS6detail17trampoline_kernelINS0_14default_configENS1_25partition_config_selectorILNS1_17partition_subalgoE0ExNS0_10empty_typeEbEEZZNS1_14partition_implILS5_0ELb0ES3_jN6thrust23THRUST_200600_302600_NS6detail15normal_iteratorINSA_10device_ptrIxEEEEPS6_SG_NS0_5tupleIJNSA_16discard_iteratorINSA_11use_defaultEEESK_EEENSH_IJSG_SG_EEES6_PlJ7is_evenIxEEEE10hipError_tPvRmT3_T4_T5_T6_T7_T9_mT8_P12ihipStream_tbDpT10_ENKUlT_T0_E_clISt17integral_constantIbLb1EES18_IbLb0EEEEDaS14_S15_EUlS14_E_NS1_11comp_targetILNS1_3genE3ELNS1_11target_archE908ELNS1_3gpuE7ELNS1_3repE0EEENS1_30default_config_static_selectorELNS0_4arch9wavefront6targetE1EEEvT1_,comdat
	.protected	_ZN7rocprim17ROCPRIM_400000_NS6detail17trampoline_kernelINS0_14default_configENS1_25partition_config_selectorILNS1_17partition_subalgoE0ExNS0_10empty_typeEbEEZZNS1_14partition_implILS5_0ELb0ES3_jN6thrust23THRUST_200600_302600_NS6detail15normal_iteratorINSA_10device_ptrIxEEEEPS6_SG_NS0_5tupleIJNSA_16discard_iteratorINSA_11use_defaultEEESK_EEENSH_IJSG_SG_EEES6_PlJ7is_evenIxEEEE10hipError_tPvRmT3_T4_T5_T6_T7_T9_mT8_P12ihipStream_tbDpT10_ENKUlT_T0_E_clISt17integral_constantIbLb1EES18_IbLb0EEEEDaS14_S15_EUlS14_E_NS1_11comp_targetILNS1_3genE3ELNS1_11target_archE908ELNS1_3gpuE7ELNS1_3repE0EEENS1_30default_config_static_selectorELNS0_4arch9wavefront6targetE1EEEvT1_ ; -- Begin function _ZN7rocprim17ROCPRIM_400000_NS6detail17trampoline_kernelINS0_14default_configENS1_25partition_config_selectorILNS1_17partition_subalgoE0ExNS0_10empty_typeEbEEZZNS1_14partition_implILS5_0ELb0ES3_jN6thrust23THRUST_200600_302600_NS6detail15normal_iteratorINSA_10device_ptrIxEEEEPS6_SG_NS0_5tupleIJNSA_16discard_iteratorINSA_11use_defaultEEESK_EEENSH_IJSG_SG_EEES6_PlJ7is_evenIxEEEE10hipError_tPvRmT3_T4_T5_T6_T7_T9_mT8_P12ihipStream_tbDpT10_ENKUlT_T0_E_clISt17integral_constantIbLb1EES18_IbLb0EEEEDaS14_S15_EUlS14_E_NS1_11comp_targetILNS1_3genE3ELNS1_11target_archE908ELNS1_3gpuE7ELNS1_3repE0EEENS1_30default_config_static_selectorELNS0_4arch9wavefront6targetE1EEEvT1_
	.globl	_ZN7rocprim17ROCPRIM_400000_NS6detail17trampoline_kernelINS0_14default_configENS1_25partition_config_selectorILNS1_17partition_subalgoE0ExNS0_10empty_typeEbEEZZNS1_14partition_implILS5_0ELb0ES3_jN6thrust23THRUST_200600_302600_NS6detail15normal_iteratorINSA_10device_ptrIxEEEEPS6_SG_NS0_5tupleIJNSA_16discard_iteratorINSA_11use_defaultEEESK_EEENSH_IJSG_SG_EEES6_PlJ7is_evenIxEEEE10hipError_tPvRmT3_T4_T5_T6_T7_T9_mT8_P12ihipStream_tbDpT10_ENKUlT_T0_E_clISt17integral_constantIbLb1EES18_IbLb0EEEEDaS14_S15_EUlS14_E_NS1_11comp_targetILNS1_3genE3ELNS1_11target_archE908ELNS1_3gpuE7ELNS1_3repE0EEENS1_30default_config_static_selectorELNS0_4arch9wavefront6targetE1EEEvT1_
	.p2align	8
	.type	_ZN7rocprim17ROCPRIM_400000_NS6detail17trampoline_kernelINS0_14default_configENS1_25partition_config_selectorILNS1_17partition_subalgoE0ExNS0_10empty_typeEbEEZZNS1_14partition_implILS5_0ELb0ES3_jN6thrust23THRUST_200600_302600_NS6detail15normal_iteratorINSA_10device_ptrIxEEEEPS6_SG_NS0_5tupleIJNSA_16discard_iteratorINSA_11use_defaultEEESK_EEENSH_IJSG_SG_EEES6_PlJ7is_evenIxEEEE10hipError_tPvRmT3_T4_T5_T6_T7_T9_mT8_P12ihipStream_tbDpT10_ENKUlT_T0_E_clISt17integral_constantIbLb1EES18_IbLb0EEEEDaS14_S15_EUlS14_E_NS1_11comp_targetILNS1_3genE3ELNS1_11target_archE908ELNS1_3gpuE7ELNS1_3repE0EEENS1_30default_config_static_selectorELNS0_4arch9wavefront6targetE1EEEvT1_,@function
_ZN7rocprim17ROCPRIM_400000_NS6detail17trampoline_kernelINS0_14default_configENS1_25partition_config_selectorILNS1_17partition_subalgoE0ExNS0_10empty_typeEbEEZZNS1_14partition_implILS5_0ELb0ES3_jN6thrust23THRUST_200600_302600_NS6detail15normal_iteratorINSA_10device_ptrIxEEEEPS6_SG_NS0_5tupleIJNSA_16discard_iteratorINSA_11use_defaultEEESK_EEENSH_IJSG_SG_EEES6_PlJ7is_evenIxEEEE10hipError_tPvRmT3_T4_T5_T6_T7_T9_mT8_P12ihipStream_tbDpT10_ENKUlT_T0_E_clISt17integral_constantIbLb1EES18_IbLb0EEEEDaS14_S15_EUlS14_E_NS1_11comp_targetILNS1_3genE3ELNS1_11target_archE908ELNS1_3gpuE7ELNS1_3repE0EEENS1_30default_config_static_selectorELNS0_4arch9wavefront6targetE1EEEvT1_: ; @_ZN7rocprim17ROCPRIM_400000_NS6detail17trampoline_kernelINS0_14default_configENS1_25partition_config_selectorILNS1_17partition_subalgoE0ExNS0_10empty_typeEbEEZZNS1_14partition_implILS5_0ELb0ES3_jN6thrust23THRUST_200600_302600_NS6detail15normal_iteratorINSA_10device_ptrIxEEEEPS6_SG_NS0_5tupleIJNSA_16discard_iteratorINSA_11use_defaultEEESK_EEENSH_IJSG_SG_EEES6_PlJ7is_evenIxEEEE10hipError_tPvRmT3_T4_T5_T6_T7_T9_mT8_P12ihipStream_tbDpT10_ENKUlT_T0_E_clISt17integral_constantIbLb1EES18_IbLb0EEEEDaS14_S15_EUlS14_E_NS1_11comp_targetILNS1_3genE3ELNS1_11target_archE908ELNS1_3gpuE7ELNS1_3repE0EEENS1_30default_config_static_selectorELNS0_4arch9wavefront6targetE1EEEvT1_
; %bb.0:
	.section	.rodata,"a",@progbits
	.p2align	6, 0x0
	.amdhsa_kernel _ZN7rocprim17ROCPRIM_400000_NS6detail17trampoline_kernelINS0_14default_configENS1_25partition_config_selectorILNS1_17partition_subalgoE0ExNS0_10empty_typeEbEEZZNS1_14partition_implILS5_0ELb0ES3_jN6thrust23THRUST_200600_302600_NS6detail15normal_iteratorINSA_10device_ptrIxEEEEPS6_SG_NS0_5tupleIJNSA_16discard_iteratorINSA_11use_defaultEEESK_EEENSH_IJSG_SG_EEES6_PlJ7is_evenIxEEEE10hipError_tPvRmT3_T4_T5_T6_T7_T9_mT8_P12ihipStream_tbDpT10_ENKUlT_T0_E_clISt17integral_constantIbLb1EES18_IbLb0EEEEDaS14_S15_EUlS14_E_NS1_11comp_targetILNS1_3genE3ELNS1_11target_archE908ELNS1_3gpuE7ELNS1_3repE0EEENS1_30default_config_static_selectorELNS0_4arch9wavefront6targetE1EEEvT1_
		.amdhsa_group_segment_fixed_size 0
		.amdhsa_private_segment_fixed_size 0
		.amdhsa_kernarg_size 136
		.amdhsa_user_sgpr_count 2
		.amdhsa_user_sgpr_dispatch_ptr 0
		.amdhsa_user_sgpr_queue_ptr 0
		.amdhsa_user_sgpr_kernarg_segment_ptr 1
		.amdhsa_user_sgpr_dispatch_id 0
		.amdhsa_user_sgpr_kernarg_preload_length 0
		.amdhsa_user_sgpr_kernarg_preload_offset 0
		.amdhsa_user_sgpr_private_segment_size 0
		.amdhsa_uses_dynamic_stack 0
		.amdhsa_enable_private_segment 0
		.amdhsa_system_sgpr_workgroup_id_x 1
		.amdhsa_system_sgpr_workgroup_id_y 0
		.amdhsa_system_sgpr_workgroup_id_z 0
		.amdhsa_system_sgpr_workgroup_info 0
		.amdhsa_system_vgpr_workitem_id 0
		.amdhsa_next_free_vgpr 1
		.amdhsa_next_free_sgpr 0
		.amdhsa_accum_offset 4
		.amdhsa_reserve_vcc 0
		.amdhsa_float_round_mode_32 0
		.amdhsa_float_round_mode_16_64 0
		.amdhsa_float_denorm_mode_32 3
		.amdhsa_float_denorm_mode_16_64 3
		.amdhsa_dx10_clamp 1
		.amdhsa_ieee_mode 1
		.amdhsa_fp16_overflow 0
		.amdhsa_tg_split 0
		.amdhsa_exception_fp_ieee_invalid_op 0
		.amdhsa_exception_fp_denorm_src 0
		.amdhsa_exception_fp_ieee_div_zero 0
		.amdhsa_exception_fp_ieee_overflow 0
		.amdhsa_exception_fp_ieee_underflow 0
		.amdhsa_exception_fp_ieee_inexact 0
		.amdhsa_exception_int_div_zero 0
	.end_amdhsa_kernel
	.section	.text._ZN7rocprim17ROCPRIM_400000_NS6detail17trampoline_kernelINS0_14default_configENS1_25partition_config_selectorILNS1_17partition_subalgoE0ExNS0_10empty_typeEbEEZZNS1_14partition_implILS5_0ELb0ES3_jN6thrust23THRUST_200600_302600_NS6detail15normal_iteratorINSA_10device_ptrIxEEEEPS6_SG_NS0_5tupleIJNSA_16discard_iteratorINSA_11use_defaultEEESK_EEENSH_IJSG_SG_EEES6_PlJ7is_evenIxEEEE10hipError_tPvRmT3_T4_T5_T6_T7_T9_mT8_P12ihipStream_tbDpT10_ENKUlT_T0_E_clISt17integral_constantIbLb1EES18_IbLb0EEEEDaS14_S15_EUlS14_E_NS1_11comp_targetILNS1_3genE3ELNS1_11target_archE908ELNS1_3gpuE7ELNS1_3repE0EEENS1_30default_config_static_selectorELNS0_4arch9wavefront6targetE1EEEvT1_,"axG",@progbits,_ZN7rocprim17ROCPRIM_400000_NS6detail17trampoline_kernelINS0_14default_configENS1_25partition_config_selectorILNS1_17partition_subalgoE0ExNS0_10empty_typeEbEEZZNS1_14partition_implILS5_0ELb0ES3_jN6thrust23THRUST_200600_302600_NS6detail15normal_iteratorINSA_10device_ptrIxEEEEPS6_SG_NS0_5tupleIJNSA_16discard_iteratorINSA_11use_defaultEEESK_EEENSH_IJSG_SG_EEES6_PlJ7is_evenIxEEEE10hipError_tPvRmT3_T4_T5_T6_T7_T9_mT8_P12ihipStream_tbDpT10_ENKUlT_T0_E_clISt17integral_constantIbLb1EES18_IbLb0EEEEDaS14_S15_EUlS14_E_NS1_11comp_targetILNS1_3genE3ELNS1_11target_archE908ELNS1_3gpuE7ELNS1_3repE0EEENS1_30default_config_static_selectorELNS0_4arch9wavefront6targetE1EEEvT1_,comdat
.Lfunc_end2606:
	.size	_ZN7rocprim17ROCPRIM_400000_NS6detail17trampoline_kernelINS0_14default_configENS1_25partition_config_selectorILNS1_17partition_subalgoE0ExNS0_10empty_typeEbEEZZNS1_14partition_implILS5_0ELb0ES3_jN6thrust23THRUST_200600_302600_NS6detail15normal_iteratorINSA_10device_ptrIxEEEEPS6_SG_NS0_5tupleIJNSA_16discard_iteratorINSA_11use_defaultEEESK_EEENSH_IJSG_SG_EEES6_PlJ7is_evenIxEEEE10hipError_tPvRmT3_T4_T5_T6_T7_T9_mT8_P12ihipStream_tbDpT10_ENKUlT_T0_E_clISt17integral_constantIbLb1EES18_IbLb0EEEEDaS14_S15_EUlS14_E_NS1_11comp_targetILNS1_3genE3ELNS1_11target_archE908ELNS1_3gpuE7ELNS1_3repE0EEENS1_30default_config_static_selectorELNS0_4arch9wavefront6targetE1EEEvT1_, .Lfunc_end2606-_ZN7rocprim17ROCPRIM_400000_NS6detail17trampoline_kernelINS0_14default_configENS1_25partition_config_selectorILNS1_17partition_subalgoE0ExNS0_10empty_typeEbEEZZNS1_14partition_implILS5_0ELb0ES3_jN6thrust23THRUST_200600_302600_NS6detail15normal_iteratorINSA_10device_ptrIxEEEEPS6_SG_NS0_5tupleIJNSA_16discard_iteratorINSA_11use_defaultEEESK_EEENSH_IJSG_SG_EEES6_PlJ7is_evenIxEEEE10hipError_tPvRmT3_T4_T5_T6_T7_T9_mT8_P12ihipStream_tbDpT10_ENKUlT_T0_E_clISt17integral_constantIbLb1EES18_IbLb0EEEEDaS14_S15_EUlS14_E_NS1_11comp_targetILNS1_3genE3ELNS1_11target_archE908ELNS1_3gpuE7ELNS1_3repE0EEENS1_30default_config_static_selectorELNS0_4arch9wavefront6targetE1EEEvT1_
                                        ; -- End function
	.section	.AMDGPU.csdata,"",@progbits
; Kernel info:
; codeLenInByte = 0
; NumSgprs: 6
; NumVgprs: 0
; NumAgprs: 0
; TotalNumVgprs: 0
; ScratchSize: 0
; MemoryBound: 0
; FloatMode: 240
; IeeeMode: 1
; LDSByteSize: 0 bytes/workgroup (compile time only)
; SGPRBlocks: 0
; VGPRBlocks: 0
; NumSGPRsForWavesPerEU: 6
; NumVGPRsForWavesPerEU: 1
; AccumOffset: 4
; Occupancy: 8
; WaveLimiterHint : 0
; COMPUTE_PGM_RSRC2:SCRATCH_EN: 0
; COMPUTE_PGM_RSRC2:USER_SGPR: 2
; COMPUTE_PGM_RSRC2:TRAP_HANDLER: 0
; COMPUTE_PGM_RSRC2:TGID_X_EN: 1
; COMPUTE_PGM_RSRC2:TGID_Y_EN: 0
; COMPUTE_PGM_RSRC2:TGID_Z_EN: 0
; COMPUTE_PGM_RSRC2:TIDIG_COMP_CNT: 0
; COMPUTE_PGM_RSRC3_GFX90A:ACCUM_OFFSET: 0
; COMPUTE_PGM_RSRC3_GFX90A:TG_SPLIT: 0
	.section	.text._ZN7rocprim17ROCPRIM_400000_NS6detail17trampoline_kernelINS0_14default_configENS1_25partition_config_selectorILNS1_17partition_subalgoE0ExNS0_10empty_typeEbEEZZNS1_14partition_implILS5_0ELb0ES3_jN6thrust23THRUST_200600_302600_NS6detail15normal_iteratorINSA_10device_ptrIxEEEEPS6_SG_NS0_5tupleIJNSA_16discard_iteratorINSA_11use_defaultEEESK_EEENSH_IJSG_SG_EEES6_PlJ7is_evenIxEEEE10hipError_tPvRmT3_T4_T5_T6_T7_T9_mT8_P12ihipStream_tbDpT10_ENKUlT_T0_E_clISt17integral_constantIbLb1EES18_IbLb0EEEEDaS14_S15_EUlS14_E_NS1_11comp_targetILNS1_3genE2ELNS1_11target_archE906ELNS1_3gpuE6ELNS1_3repE0EEENS1_30default_config_static_selectorELNS0_4arch9wavefront6targetE1EEEvT1_,"axG",@progbits,_ZN7rocprim17ROCPRIM_400000_NS6detail17trampoline_kernelINS0_14default_configENS1_25partition_config_selectorILNS1_17partition_subalgoE0ExNS0_10empty_typeEbEEZZNS1_14partition_implILS5_0ELb0ES3_jN6thrust23THRUST_200600_302600_NS6detail15normal_iteratorINSA_10device_ptrIxEEEEPS6_SG_NS0_5tupleIJNSA_16discard_iteratorINSA_11use_defaultEEESK_EEENSH_IJSG_SG_EEES6_PlJ7is_evenIxEEEE10hipError_tPvRmT3_T4_T5_T6_T7_T9_mT8_P12ihipStream_tbDpT10_ENKUlT_T0_E_clISt17integral_constantIbLb1EES18_IbLb0EEEEDaS14_S15_EUlS14_E_NS1_11comp_targetILNS1_3genE2ELNS1_11target_archE906ELNS1_3gpuE6ELNS1_3repE0EEENS1_30default_config_static_selectorELNS0_4arch9wavefront6targetE1EEEvT1_,comdat
	.protected	_ZN7rocprim17ROCPRIM_400000_NS6detail17trampoline_kernelINS0_14default_configENS1_25partition_config_selectorILNS1_17partition_subalgoE0ExNS0_10empty_typeEbEEZZNS1_14partition_implILS5_0ELb0ES3_jN6thrust23THRUST_200600_302600_NS6detail15normal_iteratorINSA_10device_ptrIxEEEEPS6_SG_NS0_5tupleIJNSA_16discard_iteratorINSA_11use_defaultEEESK_EEENSH_IJSG_SG_EEES6_PlJ7is_evenIxEEEE10hipError_tPvRmT3_T4_T5_T6_T7_T9_mT8_P12ihipStream_tbDpT10_ENKUlT_T0_E_clISt17integral_constantIbLb1EES18_IbLb0EEEEDaS14_S15_EUlS14_E_NS1_11comp_targetILNS1_3genE2ELNS1_11target_archE906ELNS1_3gpuE6ELNS1_3repE0EEENS1_30default_config_static_selectorELNS0_4arch9wavefront6targetE1EEEvT1_ ; -- Begin function _ZN7rocprim17ROCPRIM_400000_NS6detail17trampoline_kernelINS0_14default_configENS1_25partition_config_selectorILNS1_17partition_subalgoE0ExNS0_10empty_typeEbEEZZNS1_14partition_implILS5_0ELb0ES3_jN6thrust23THRUST_200600_302600_NS6detail15normal_iteratorINSA_10device_ptrIxEEEEPS6_SG_NS0_5tupleIJNSA_16discard_iteratorINSA_11use_defaultEEESK_EEENSH_IJSG_SG_EEES6_PlJ7is_evenIxEEEE10hipError_tPvRmT3_T4_T5_T6_T7_T9_mT8_P12ihipStream_tbDpT10_ENKUlT_T0_E_clISt17integral_constantIbLb1EES18_IbLb0EEEEDaS14_S15_EUlS14_E_NS1_11comp_targetILNS1_3genE2ELNS1_11target_archE906ELNS1_3gpuE6ELNS1_3repE0EEENS1_30default_config_static_selectorELNS0_4arch9wavefront6targetE1EEEvT1_
	.globl	_ZN7rocprim17ROCPRIM_400000_NS6detail17trampoline_kernelINS0_14default_configENS1_25partition_config_selectorILNS1_17partition_subalgoE0ExNS0_10empty_typeEbEEZZNS1_14partition_implILS5_0ELb0ES3_jN6thrust23THRUST_200600_302600_NS6detail15normal_iteratorINSA_10device_ptrIxEEEEPS6_SG_NS0_5tupleIJNSA_16discard_iteratorINSA_11use_defaultEEESK_EEENSH_IJSG_SG_EEES6_PlJ7is_evenIxEEEE10hipError_tPvRmT3_T4_T5_T6_T7_T9_mT8_P12ihipStream_tbDpT10_ENKUlT_T0_E_clISt17integral_constantIbLb1EES18_IbLb0EEEEDaS14_S15_EUlS14_E_NS1_11comp_targetILNS1_3genE2ELNS1_11target_archE906ELNS1_3gpuE6ELNS1_3repE0EEENS1_30default_config_static_selectorELNS0_4arch9wavefront6targetE1EEEvT1_
	.p2align	8
	.type	_ZN7rocprim17ROCPRIM_400000_NS6detail17trampoline_kernelINS0_14default_configENS1_25partition_config_selectorILNS1_17partition_subalgoE0ExNS0_10empty_typeEbEEZZNS1_14partition_implILS5_0ELb0ES3_jN6thrust23THRUST_200600_302600_NS6detail15normal_iteratorINSA_10device_ptrIxEEEEPS6_SG_NS0_5tupleIJNSA_16discard_iteratorINSA_11use_defaultEEESK_EEENSH_IJSG_SG_EEES6_PlJ7is_evenIxEEEE10hipError_tPvRmT3_T4_T5_T6_T7_T9_mT8_P12ihipStream_tbDpT10_ENKUlT_T0_E_clISt17integral_constantIbLb1EES18_IbLb0EEEEDaS14_S15_EUlS14_E_NS1_11comp_targetILNS1_3genE2ELNS1_11target_archE906ELNS1_3gpuE6ELNS1_3repE0EEENS1_30default_config_static_selectorELNS0_4arch9wavefront6targetE1EEEvT1_,@function
_ZN7rocprim17ROCPRIM_400000_NS6detail17trampoline_kernelINS0_14default_configENS1_25partition_config_selectorILNS1_17partition_subalgoE0ExNS0_10empty_typeEbEEZZNS1_14partition_implILS5_0ELb0ES3_jN6thrust23THRUST_200600_302600_NS6detail15normal_iteratorINSA_10device_ptrIxEEEEPS6_SG_NS0_5tupleIJNSA_16discard_iteratorINSA_11use_defaultEEESK_EEENSH_IJSG_SG_EEES6_PlJ7is_evenIxEEEE10hipError_tPvRmT3_T4_T5_T6_T7_T9_mT8_P12ihipStream_tbDpT10_ENKUlT_T0_E_clISt17integral_constantIbLb1EES18_IbLb0EEEEDaS14_S15_EUlS14_E_NS1_11comp_targetILNS1_3genE2ELNS1_11target_archE906ELNS1_3gpuE6ELNS1_3repE0EEENS1_30default_config_static_selectorELNS0_4arch9wavefront6targetE1EEEvT1_: ; @_ZN7rocprim17ROCPRIM_400000_NS6detail17trampoline_kernelINS0_14default_configENS1_25partition_config_selectorILNS1_17partition_subalgoE0ExNS0_10empty_typeEbEEZZNS1_14partition_implILS5_0ELb0ES3_jN6thrust23THRUST_200600_302600_NS6detail15normal_iteratorINSA_10device_ptrIxEEEEPS6_SG_NS0_5tupleIJNSA_16discard_iteratorINSA_11use_defaultEEESK_EEENSH_IJSG_SG_EEES6_PlJ7is_evenIxEEEE10hipError_tPvRmT3_T4_T5_T6_T7_T9_mT8_P12ihipStream_tbDpT10_ENKUlT_T0_E_clISt17integral_constantIbLb1EES18_IbLb0EEEEDaS14_S15_EUlS14_E_NS1_11comp_targetILNS1_3genE2ELNS1_11target_archE906ELNS1_3gpuE6ELNS1_3repE0EEENS1_30default_config_static_selectorELNS0_4arch9wavefront6targetE1EEEvT1_
; %bb.0:
	.section	.rodata,"a",@progbits
	.p2align	6, 0x0
	.amdhsa_kernel _ZN7rocprim17ROCPRIM_400000_NS6detail17trampoline_kernelINS0_14default_configENS1_25partition_config_selectorILNS1_17partition_subalgoE0ExNS0_10empty_typeEbEEZZNS1_14partition_implILS5_0ELb0ES3_jN6thrust23THRUST_200600_302600_NS6detail15normal_iteratorINSA_10device_ptrIxEEEEPS6_SG_NS0_5tupleIJNSA_16discard_iteratorINSA_11use_defaultEEESK_EEENSH_IJSG_SG_EEES6_PlJ7is_evenIxEEEE10hipError_tPvRmT3_T4_T5_T6_T7_T9_mT8_P12ihipStream_tbDpT10_ENKUlT_T0_E_clISt17integral_constantIbLb1EES18_IbLb0EEEEDaS14_S15_EUlS14_E_NS1_11comp_targetILNS1_3genE2ELNS1_11target_archE906ELNS1_3gpuE6ELNS1_3repE0EEENS1_30default_config_static_selectorELNS0_4arch9wavefront6targetE1EEEvT1_
		.amdhsa_group_segment_fixed_size 0
		.amdhsa_private_segment_fixed_size 0
		.amdhsa_kernarg_size 136
		.amdhsa_user_sgpr_count 2
		.amdhsa_user_sgpr_dispatch_ptr 0
		.amdhsa_user_sgpr_queue_ptr 0
		.amdhsa_user_sgpr_kernarg_segment_ptr 1
		.amdhsa_user_sgpr_dispatch_id 0
		.amdhsa_user_sgpr_kernarg_preload_length 0
		.amdhsa_user_sgpr_kernarg_preload_offset 0
		.amdhsa_user_sgpr_private_segment_size 0
		.amdhsa_uses_dynamic_stack 0
		.amdhsa_enable_private_segment 0
		.amdhsa_system_sgpr_workgroup_id_x 1
		.amdhsa_system_sgpr_workgroup_id_y 0
		.amdhsa_system_sgpr_workgroup_id_z 0
		.amdhsa_system_sgpr_workgroup_info 0
		.amdhsa_system_vgpr_workitem_id 0
		.amdhsa_next_free_vgpr 1
		.amdhsa_next_free_sgpr 0
		.amdhsa_accum_offset 4
		.amdhsa_reserve_vcc 0
		.amdhsa_float_round_mode_32 0
		.amdhsa_float_round_mode_16_64 0
		.amdhsa_float_denorm_mode_32 3
		.amdhsa_float_denorm_mode_16_64 3
		.amdhsa_dx10_clamp 1
		.amdhsa_ieee_mode 1
		.amdhsa_fp16_overflow 0
		.amdhsa_tg_split 0
		.amdhsa_exception_fp_ieee_invalid_op 0
		.amdhsa_exception_fp_denorm_src 0
		.amdhsa_exception_fp_ieee_div_zero 0
		.amdhsa_exception_fp_ieee_overflow 0
		.amdhsa_exception_fp_ieee_underflow 0
		.amdhsa_exception_fp_ieee_inexact 0
		.amdhsa_exception_int_div_zero 0
	.end_amdhsa_kernel
	.section	.text._ZN7rocprim17ROCPRIM_400000_NS6detail17trampoline_kernelINS0_14default_configENS1_25partition_config_selectorILNS1_17partition_subalgoE0ExNS0_10empty_typeEbEEZZNS1_14partition_implILS5_0ELb0ES3_jN6thrust23THRUST_200600_302600_NS6detail15normal_iteratorINSA_10device_ptrIxEEEEPS6_SG_NS0_5tupleIJNSA_16discard_iteratorINSA_11use_defaultEEESK_EEENSH_IJSG_SG_EEES6_PlJ7is_evenIxEEEE10hipError_tPvRmT3_T4_T5_T6_T7_T9_mT8_P12ihipStream_tbDpT10_ENKUlT_T0_E_clISt17integral_constantIbLb1EES18_IbLb0EEEEDaS14_S15_EUlS14_E_NS1_11comp_targetILNS1_3genE2ELNS1_11target_archE906ELNS1_3gpuE6ELNS1_3repE0EEENS1_30default_config_static_selectorELNS0_4arch9wavefront6targetE1EEEvT1_,"axG",@progbits,_ZN7rocprim17ROCPRIM_400000_NS6detail17trampoline_kernelINS0_14default_configENS1_25partition_config_selectorILNS1_17partition_subalgoE0ExNS0_10empty_typeEbEEZZNS1_14partition_implILS5_0ELb0ES3_jN6thrust23THRUST_200600_302600_NS6detail15normal_iteratorINSA_10device_ptrIxEEEEPS6_SG_NS0_5tupleIJNSA_16discard_iteratorINSA_11use_defaultEEESK_EEENSH_IJSG_SG_EEES6_PlJ7is_evenIxEEEE10hipError_tPvRmT3_T4_T5_T6_T7_T9_mT8_P12ihipStream_tbDpT10_ENKUlT_T0_E_clISt17integral_constantIbLb1EES18_IbLb0EEEEDaS14_S15_EUlS14_E_NS1_11comp_targetILNS1_3genE2ELNS1_11target_archE906ELNS1_3gpuE6ELNS1_3repE0EEENS1_30default_config_static_selectorELNS0_4arch9wavefront6targetE1EEEvT1_,comdat
.Lfunc_end2607:
	.size	_ZN7rocprim17ROCPRIM_400000_NS6detail17trampoline_kernelINS0_14default_configENS1_25partition_config_selectorILNS1_17partition_subalgoE0ExNS0_10empty_typeEbEEZZNS1_14partition_implILS5_0ELb0ES3_jN6thrust23THRUST_200600_302600_NS6detail15normal_iteratorINSA_10device_ptrIxEEEEPS6_SG_NS0_5tupleIJNSA_16discard_iteratorINSA_11use_defaultEEESK_EEENSH_IJSG_SG_EEES6_PlJ7is_evenIxEEEE10hipError_tPvRmT3_T4_T5_T6_T7_T9_mT8_P12ihipStream_tbDpT10_ENKUlT_T0_E_clISt17integral_constantIbLb1EES18_IbLb0EEEEDaS14_S15_EUlS14_E_NS1_11comp_targetILNS1_3genE2ELNS1_11target_archE906ELNS1_3gpuE6ELNS1_3repE0EEENS1_30default_config_static_selectorELNS0_4arch9wavefront6targetE1EEEvT1_, .Lfunc_end2607-_ZN7rocprim17ROCPRIM_400000_NS6detail17trampoline_kernelINS0_14default_configENS1_25partition_config_selectorILNS1_17partition_subalgoE0ExNS0_10empty_typeEbEEZZNS1_14partition_implILS5_0ELb0ES3_jN6thrust23THRUST_200600_302600_NS6detail15normal_iteratorINSA_10device_ptrIxEEEEPS6_SG_NS0_5tupleIJNSA_16discard_iteratorINSA_11use_defaultEEESK_EEENSH_IJSG_SG_EEES6_PlJ7is_evenIxEEEE10hipError_tPvRmT3_T4_T5_T6_T7_T9_mT8_P12ihipStream_tbDpT10_ENKUlT_T0_E_clISt17integral_constantIbLb1EES18_IbLb0EEEEDaS14_S15_EUlS14_E_NS1_11comp_targetILNS1_3genE2ELNS1_11target_archE906ELNS1_3gpuE6ELNS1_3repE0EEENS1_30default_config_static_selectorELNS0_4arch9wavefront6targetE1EEEvT1_
                                        ; -- End function
	.section	.AMDGPU.csdata,"",@progbits
; Kernel info:
; codeLenInByte = 0
; NumSgprs: 6
; NumVgprs: 0
; NumAgprs: 0
; TotalNumVgprs: 0
; ScratchSize: 0
; MemoryBound: 0
; FloatMode: 240
; IeeeMode: 1
; LDSByteSize: 0 bytes/workgroup (compile time only)
; SGPRBlocks: 0
; VGPRBlocks: 0
; NumSGPRsForWavesPerEU: 6
; NumVGPRsForWavesPerEU: 1
; AccumOffset: 4
; Occupancy: 8
; WaveLimiterHint : 0
; COMPUTE_PGM_RSRC2:SCRATCH_EN: 0
; COMPUTE_PGM_RSRC2:USER_SGPR: 2
; COMPUTE_PGM_RSRC2:TRAP_HANDLER: 0
; COMPUTE_PGM_RSRC2:TGID_X_EN: 1
; COMPUTE_PGM_RSRC2:TGID_Y_EN: 0
; COMPUTE_PGM_RSRC2:TGID_Z_EN: 0
; COMPUTE_PGM_RSRC2:TIDIG_COMP_CNT: 0
; COMPUTE_PGM_RSRC3_GFX90A:ACCUM_OFFSET: 0
; COMPUTE_PGM_RSRC3_GFX90A:TG_SPLIT: 0
	.section	.text._ZN7rocprim17ROCPRIM_400000_NS6detail17trampoline_kernelINS0_14default_configENS1_25partition_config_selectorILNS1_17partition_subalgoE0ExNS0_10empty_typeEbEEZZNS1_14partition_implILS5_0ELb0ES3_jN6thrust23THRUST_200600_302600_NS6detail15normal_iteratorINSA_10device_ptrIxEEEEPS6_SG_NS0_5tupleIJNSA_16discard_iteratorINSA_11use_defaultEEESK_EEENSH_IJSG_SG_EEES6_PlJ7is_evenIxEEEE10hipError_tPvRmT3_T4_T5_T6_T7_T9_mT8_P12ihipStream_tbDpT10_ENKUlT_T0_E_clISt17integral_constantIbLb1EES18_IbLb0EEEEDaS14_S15_EUlS14_E_NS1_11comp_targetILNS1_3genE10ELNS1_11target_archE1200ELNS1_3gpuE4ELNS1_3repE0EEENS1_30default_config_static_selectorELNS0_4arch9wavefront6targetE1EEEvT1_,"axG",@progbits,_ZN7rocprim17ROCPRIM_400000_NS6detail17trampoline_kernelINS0_14default_configENS1_25partition_config_selectorILNS1_17partition_subalgoE0ExNS0_10empty_typeEbEEZZNS1_14partition_implILS5_0ELb0ES3_jN6thrust23THRUST_200600_302600_NS6detail15normal_iteratorINSA_10device_ptrIxEEEEPS6_SG_NS0_5tupleIJNSA_16discard_iteratorINSA_11use_defaultEEESK_EEENSH_IJSG_SG_EEES6_PlJ7is_evenIxEEEE10hipError_tPvRmT3_T4_T5_T6_T7_T9_mT8_P12ihipStream_tbDpT10_ENKUlT_T0_E_clISt17integral_constantIbLb1EES18_IbLb0EEEEDaS14_S15_EUlS14_E_NS1_11comp_targetILNS1_3genE10ELNS1_11target_archE1200ELNS1_3gpuE4ELNS1_3repE0EEENS1_30default_config_static_selectorELNS0_4arch9wavefront6targetE1EEEvT1_,comdat
	.protected	_ZN7rocprim17ROCPRIM_400000_NS6detail17trampoline_kernelINS0_14default_configENS1_25partition_config_selectorILNS1_17partition_subalgoE0ExNS0_10empty_typeEbEEZZNS1_14partition_implILS5_0ELb0ES3_jN6thrust23THRUST_200600_302600_NS6detail15normal_iteratorINSA_10device_ptrIxEEEEPS6_SG_NS0_5tupleIJNSA_16discard_iteratorINSA_11use_defaultEEESK_EEENSH_IJSG_SG_EEES6_PlJ7is_evenIxEEEE10hipError_tPvRmT3_T4_T5_T6_T7_T9_mT8_P12ihipStream_tbDpT10_ENKUlT_T0_E_clISt17integral_constantIbLb1EES18_IbLb0EEEEDaS14_S15_EUlS14_E_NS1_11comp_targetILNS1_3genE10ELNS1_11target_archE1200ELNS1_3gpuE4ELNS1_3repE0EEENS1_30default_config_static_selectorELNS0_4arch9wavefront6targetE1EEEvT1_ ; -- Begin function _ZN7rocprim17ROCPRIM_400000_NS6detail17trampoline_kernelINS0_14default_configENS1_25partition_config_selectorILNS1_17partition_subalgoE0ExNS0_10empty_typeEbEEZZNS1_14partition_implILS5_0ELb0ES3_jN6thrust23THRUST_200600_302600_NS6detail15normal_iteratorINSA_10device_ptrIxEEEEPS6_SG_NS0_5tupleIJNSA_16discard_iteratorINSA_11use_defaultEEESK_EEENSH_IJSG_SG_EEES6_PlJ7is_evenIxEEEE10hipError_tPvRmT3_T4_T5_T6_T7_T9_mT8_P12ihipStream_tbDpT10_ENKUlT_T0_E_clISt17integral_constantIbLb1EES18_IbLb0EEEEDaS14_S15_EUlS14_E_NS1_11comp_targetILNS1_3genE10ELNS1_11target_archE1200ELNS1_3gpuE4ELNS1_3repE0EEENS1_30default_config_static_selectorELNS0_4arch9wavefront6targetE1EEEvT1_
	.globl	_ZN7rocprim17ROCPRIM_400000_NS6detail17trampoline_kernelINS0_14default_configENS1_25partition_config_selectorILNS1_17partition_subalgoE0ExNS0_10empty_typeEbEEZZNS1_14partition_implILS5_0ELb0ES3_jN6thrust23THRUST_200600_302600_NS6detail15normal_iteratorINSA_10device_ptrIxEEEEPS6_SG_NS0_5tupleIJNSA_16discard_iteratorINSA_11use_defaultEEESK_EEENSH_IJSG_SG_EEES6_PlJ7is_evenIxEEEE10hipError_tPvRmT3_T4_T5_T6_T7_T9_mT8_P12ihipStream_tbDpT10_ENKUlT_T0_E_clISt17integral_constantIbLb1EES18_IbLb0EEEEDaS14_S15_EUlS14_E_NS1_11comp_targetILNS1_3genE10ELNS1_11target_archE1200ELNS1_3gpuE4ELNS1_3repE0EEENS1_30default_config_static_selectorELNS0_4arch9wavefront6targetE1EEEvT1_
	.p2align	8
	.type	_ZN7rocprim17ROCPRIM_400000_NS6detail17trampoline_kernelINS0_14default_configENS1_25partition_config_selectorILNS1_17partition_subalgoE0ExNS0_10empty_typeEbEEZZNS1_14partition_implILS5_0ELb0ES3_jN6thrust23THRUST_200600_302600_NS6detail15normal_iteratorINSA_10device_ptrIxEEEEPS6_SG_NS0_5tupleIJNSA_16discard_iteratorINSA_11use_defaultEEESK_EEENSH_IJSG_SG_EEES6_PlJ7is_evenIxEEEE10hipError_tPvRmT3_T4_T5_T6_T7_T9_mT8_P12ihipStream_tbDpT10_ENKUlT_T0_E_clISt17integral_constantIbLb1EES18_IbLb0EEEEDaS14_S15_EUlS14_E_NS1_11comp_targetILNS1_3genE10ELNS1_11target_archE1200ELNS1_3gpuE4ELNS1_3repE0EEENS1_30default_config_static_selectorELNS0_4arch9wavefront6targetE1EEEvT1_,@function
_ZN7rocprim17ROCPRIM_400000_NS6detail17trampoline_kernelINS0_14default_configENS1_25partition_config_selectorILNS1_17partition_subalgoE0ExNS0_10empty_typeEbEEZZNS1_14partition_implILS5_0ELb0ES3_jN6thrust23THRUST_200600_302600_NS6detail15normal_iteratorINSA_10device_ptrIxEEEEPS6_SG_NS0_5tupleIJNSA_16discard_iteratorINSA_11use_defaultEEESK_EEENSH_IJSG_SG_EEES6_PlJ7is_evenIxEEEE10hipError_tPvRmT3_T4_T5_T6_T7_T9_mT8_P12ihipStream_tbDpT10_ENKUlT_T0_E_clISt17integral_constantIbLb1EES18_IbLb0EEEEDaS14_S15_EUlS14_E_NS1_11comp_targetILNS1_3genE10ELNS1_11target_archE1200ELNS1_3gpuE4ELNS1_3repE0EEENS1_30default_config_static_selectorELNS0_4arch9wavefront6targetE1EEEvT1_: ; @_ZN7rocprim17ROCPRIM_400000_NS6detail17trampoline_kernelINS0_14default_configENS1_25partition_config_selectorILNS1_17partition_subalgoE0ExNS0_10empty_typeEbEEZZNS1_14partition_implILS5_0ELb0ES3_jN6thrust23THRUST_200600_302600_NS6detail15normal_iteratorINSA_10device_ptrIxEEEEPS6_SG_NS0_5tupleIJNSA_16discard_iteratorINSA_11use_defaultEEESK_EEENSH_IJSG_SG_EEES6_PlJ7is_evenIxEEEE10hipError_tPvRmT3_T4_T5_T6_T7_T9_mT8_P12ihipStream_tbDpT10_ENKUlT_T0_E_clISt17integral_constantIbLb1EES18_IbLb0EEEEDaS14_S15_EUlS14_E_NS1_11comp_targetILNS1_3genE10ELNS1_11target_archE1200ELNS1_3gpuE4ELNS1_3repE0EEENS1_30default_config_static_selectorELNS0_4arch9wavefront6targetE1EEEvT1_
; %bb.0:
	.section	.rodata,"a",@progbits
	.p2align	6, 0x0
	.amdhsa_kernel _ZN7rocprim17ROCPRIM_400000_NS6detail17trampoline_kernelINS0_14default_configENS1_25partition_config_selectorILNS1_17partition_subalgoE0ExNS0_10empty_typeEbEEZZNS1_14partition_implILS5_0ELb0ES3_jN6thrust23THRUST_200600_302600_NS6detail15normal_iteratorINSA_10device_ptrIxEEEEPS6_SG_NS0_5tupleIJNSA_16discard_iteratorINSA_11use_defaultEEESK_EEENSH_IJSG_SG_EEES6_PlJ7is_evenIxEEEE10hipError_tPvRmT3_T4_T5_T6_T7_T9_mT8_P12ihipStream_tbDpT10_ENKUlT_T0_E_clISt17integral_constantIbLb1EES18_IbLb0EEEEDaS14_S15_EUlS14_E_NS1_11comp_targetILNS1_3genE10ELNS1_11target_archE1200ELNS1_3gpuE4ELNS1_3repE0EEENS1_30default_config_static_selectorELNS0_4arch9wavefront6targetE1EEEvT1_
		.amdhsa_group_segment_fixed_size 0
		.amdhsa_private_segment_fixed_size 0
		.amdhsa_kernarg_size 136
		.amdhsa_user_sgpr_count 2
		.amdhsa_user_sgpr_dispatch_ptr 0
		.amdhsa_user_sgpr_queue_ptr 0
		.amdhsa_user_sgpr_kernarg_segment_ptr 1
		.amdhsa_user_sgpr_dispatch_id 0
		.amdhsa_user_sgpr_kernarg_preload_length 0
		.amdhsa_user_sgpr_kernarg_preload_offset 0
		.amdhsa_user_sgpr_private_segment_size 0
		.amdhsa_uses_dynamic_stack 0
		.amdhsa_enable_private_segment 0
		.amdhsa_system_sgpr_workgroup_id_x 1
		.amdhsa_system_sgpr_workgroup_id_y 0
		.amdhsa_system_sgpr_workgroup_id_z 0
		.amdhsa_system_sgpr_workgroup_info 0
		.amdhsa_system_vgpr_workitem_id 0
		.amdhsa_next_free_vgpr 1
		.amdhsa_next_free_sgpr 0
		.amdhsa_accum_offset 4
		.amdhsa_reserve_vcc 0
		.amdhsa_float_round_mode_32 0
		.amdhsa_float_round_mode_16_64 0
		.amdhsa_float_denorm_mode_32 3
		.amdhsa_float_denorm_mode_16_64 3
		.amdhsa_dx10_clamp 1
		.amdhsa_ieee_mode 1
		.amdhsa_fp16_overflow 0
		.amdhsa_tg_split 0
		.amdhsa_exception_fp_ieee_invalid_op 0
		.amdhsa_exception_fp_denorm_src 0
		.amdhsa_exception_fp_ieee_div_zero 0
		.amdhsa_exception_fp_ieee_overflow 0
		.amdhsa_exception_fp_ieee_underflow 0
		.amdhsa_exception_fp_ieee_inexact 0
		.amdhsa_exception_int_div_zero 0
	.end_amdhsa_kernel
	.section	.text._ZN7rocprim17ROCPRIM_400000_NS6detail17trampoline_kernelINS0_14default_configENS1_25partition_config_selectorILNS1_17partition_subalgoE0ExNS0_10empty_typeEbEEZZNS1_14partition_implILS5_0ELb0ES3_jN6thrust23THRUST_200600_302600_NS6detail15normal_iteratorINSA_10device_ptrIxEEEEPS6_SG_NS0_5tupleIJNSA_16discard_iteratorINSA_11use_defaultEEESK_EEENSH_IJSG_SG_EEES6_PlJ7is_evenIxEEEE10hipError_tPvRmT3_T4_T5_T6_T7_T9_mT8_P12ihipStream_tbDpT10_ENKUlT_T0_E_clISt17integral_constantIbLb1EES18_IbLb0EEEEDaS14_S15_EUlS14_E_NS1_11comp_targetILNS1_3genE10ELNS1_11target_archE1200ELNS1_3gpuE4ELNS1_3repE0EEENS1_30default_config_static_selectorELNS0_4arch9wavefront6targetE1EEEvT1_,"axG",@progbits,_ZN7rocprim17ROCPRIM_400000_NS6detail17trampoline_kernelINS0_14default_configENS1_25partition_config_selectorILNS1_17partition_subalgoE0ExNS0_10empty_typeEbEEZZNS1_14partition_implILS5_0ELb0ES3_jN6thrust23THRUST_200600_302600_NS6detail15normal_iteratorINSA_10device_ptrIxEEEEPS6_SG_NS0_5tupleIJNSA_16discard_iteratorINSA_11use_defaultEEESK_EEENSH_IJSG_SG_EEES6_PlJ7is_evenIxEEEE10hipError_tPvRmT3_T4_T5_T6_T7_T9_mT8_P12ihipStream_tbDpT10_ENKUlT_T0_E_clISt17integral_constantIbLb1EES18_IbLb0EEEEDaS14_S15_EUlS14_E_NS1_11comp_targetILNS1_3genE10ELNS1_11target_archE1200ELNS1_3gpuE4ELNS1_3repE0EEENS1_30default_config_static_selectorELNS0_4arch9wavefront6targetE1EEEvT1_,comdat
.Lfunc_end2608:
	.size	_ZN7rocprim17ROCPRIM_400000_NS6detail17trampoline_kernelINS0_14default_configENS1_25partition_config_selectorILNS1_17partition_subalgoE0ExNS0_10empty_typeEbEEZZNS1_14partition_implILS5_0ELb0ES3_jN6thrust23THRUST_200600_302600_NS6detail15normal_iteratorINSA_10device_ptrIxEEEEPS6_SG_NS0_5tupleIJNSA_16discard_iteratorINSA_11use_defaultEEESK_EEENSH_IJSG_SG_EEES6_PlJ7is_evenIxEEEE10hipError_tPvRmT3_T4_T5_T6_T7_T9_mT8_P12ihipStream_tbDpT10_ENKUlT_T0_E_clISt17integral_constantIbLb1EES18_IbLb0EEEEDaS14_S15_EUlS14_E_NS1_11comp_targetILNS1_3genE10ELNS1_11target_archE1200ELNS1_3gpuE4ELNS1_3repE0EEENS1_30default_config_static_selectorELNS0_4arch9wavefront6targetE1EEEvT1_, .Lfunc_end2608-_ZN7rocprim17ROCPRIM_400000_NS6detail17trampoline_kernelINS0_14default_configENS1_25partition_config_selectorILNS1_17partition_subalgoE0ExNS0_10empty_typeEbEEZZNS1_14partition_implILS5_0ELb0ES3_jN6thrust23THRUST_200600_302600_NS6detail15normal_iteratorINSA_10device_ptrIxEEEEPS6_SG_NS0_5tupleIJNSA_16discard_iteratorINSA_11use_defaultEEESK_EEENSH_IJSG_SG_EEES6_PlJ7is_evenIxEEEE10hipError_tPvRmT3_T4_T5_T6_T7_T9_mT8_P12ihipStream_tbDpT10_ENKUlT_T0_E_clISt17integral_constantIbLb1EES18_IbLb0EEEEDaS14_S15_EUlS14_E_NS1_11comp_targetILNS1_3genE10ELNS1_11target_archE1200ELNS1_3gpuE4ELNS1_3repE0EEENS1_30default_config_static_selectorELNS0_4arch9wavefront6targetE1EEEvT1_
                                        ; -- End function
	.section	.AMDGPU.csdata,"",@progbits
; Kernel info:
; codeLenInByte = 0
; NumSgprs: 6
; NumVgprs: 0
; NumAgprs: 0
; TotalNumVgprs: 0
; ScratchSize: 0
; MemoryBound: 0
; FloatMode: 240
; IeeeMode: 1
; LDSByteSize: 0 bytes/workgroup (compile time only)
; SGPRBlocks: 0
; VGPRBlocks: 0
; NumSGPRsForWavesPerEU: 6
; NumVGPRsForWavesPerEU: 1
; AccumOffset: 4
; Occupancy: 8
; WaveLimiterHint : 0
; COMPUTE_PGM_RSRC2:SCRATCH_EN: 0
; COMPUTE_PGM_RSRC2:USER_SGPR: 2
; COMPUTE_PGM_RSRC2:TRAP_HANDLER: 0
; COMPUTE_PGM_RSRC2:TGID_X_EN: 1
; COMPUTE_PGM_RSRC2:TGID_Y_EN: 0
; COMPUTE_PGM_RSRC2:TGID_Z_EN: 0
; COMPUTE_PGM_RSRC2:TIDIG_COMP_CNT: 0
; COMPUTE_PGM_RSRC3_GFX90A:ACCUM_OFFSET: 0
; COMPUTE_PGM_RSRC3_GFX90A:TG_SPLIT: 0
	.section	.text._ZN7rocprim17ROCPRIM_400000_NS6detail17trampoline_kernelINS0_14default_configENS1_25partition_config_selectorILNS1_17partition_subalgoE0ExNS0_10empty_typeEbEEZZNS1_14partition_implILS5_0ELb0ES3_jN6thrust23THRUST_200600_302600_NS6detail15normal_iteratorINSA_10device_ptrIxEEEEPS6_SG_NS0_5tupleIJNSA_16discard_iteratorINSA_11use_defaultEEESK_EEENSH_IJSG_SG_EEES6_PlJ7is_evenIxEEEE10hipError_tPvRmT3_T4_T5_T6_T7_T9_mT8_P12ihipStream_tbDpT10_ENKUlT_T0_E_clISt17integral_constantIbLb1EES18_IbLb0EEEEDaS14_S15_EUlS14_E_NS1_11comp_targetILNS1_3genE9ELNS1_11target_archE1100ELNS1_3gpuE3ELNS1_3repE0EEENS1_30default_config_static_selectorELNS0_4arch9wavefront6targetE1EEEvT1_,"axG",@progbits,_ZN7rocprim17ROCPRIM_400000_NS6detail17trampoline_kernelINS0_14default_configENS1_25partition_config_selectorILNS1_17partition_subalgoE0ExNS0_10empty_typeEbEEZZNS1_14partition_implILS5_0ELb0ES3_jN6thrust23THRUST_200600_302600_NS6detail15normal_iteratorINSA_10device_ptrIxEEEEPS6_SG_NS0_5tupleIJNSA_16discard_iteratorINSA_11use_defaultEEESK_EEENSH_IJSG_SG_EEES6_PlJ7is_evenIxEEEE10hipError_tPvRmT3_T4_T5_T6_T7_T9_mT8_P12ihipStream_tbDpT10_ENKUlT_T0_E_clISt17integral_constantIbLb1EES18_IbLb0EEEEDaS14_S15_EUlS14_E_NS1_11comp_targetILNS1_3genE9ELNS1_11target_archE1100ELNS1_3gpuE3ELNS1_3repE0EEENS1_30default_config_static_selectorELNS0_4arch9wavefront6targetE1EEEvT1_,comdat
	.protected	_ZN7rocprim17ROCPRIM_400000_NS6detail17trampoline_kernelINS0_14default_configENS1_25partition_config_selectorILNS1_17partition_subalgoE0ExNS0_10empty_typeEbEEZZNS1_14partition_implILS5_0ELb0ES3_jN6thrust23THRUST_200600_302600_NS6detail15normal_iteratorINSA_10device_ptrIxEEEEPS6_SG_NS0_5tupleIJNSA_16discard_iteratorINSA_11use_defaultEEESK_EEENSH_IJSG_SG_EEES6_PlJ7is_evenIxEEEE10hipError_tPvRmT3_T4_T5_T6_T7_T9_mT8_P12ihipStream_tbDpT10_ENKUlT_T0_E_clISt17integral_constantIbLb1EES18_IbLb0EEEEDaS14_S15_EUlS14_E_NS1_11comp_targetILNS1_3genE9ELNS1_11target_archE1100ELNS1_3gpuE3ELNS1_3repE0EEENS1_30default_config_static_selectorELNS0_4arch9wavefront6targetE1EEEvT1_ ; -- Begin function _ZN7rocprim17ROCPRIM_400000_NS6detail17trampoline_kernelINS0_14default_configENS1_25partition_config_selectorILNS1_17partition_subalgoE0ExNS0_10empty_typeEbEEZZNS1_14partition_implILS5_0ELb0ES3_jN6thrust23THRUST_200600_302600_NS6detail15normal_iteratorINSA_10device_ptrIxEEEEPS6_SG_NS0_5tupleIJNSA_16discard_iteratorINSA_11use_defaultEEESK_EEENSH_IJSG_SG_EEES6_PlJ7is_evenIxEEEE10hipError_tPvRmT3_T4_T5_T6_T7_T9_mT8_P12ihipStream_tbDpT10_ENKUlT_T0_E_clISt17integral_constantIbLb1EES18_IbLb0EEEEDaS14_S15_EUlS14_E_NS1_11comp_targetILNS1_3genE9ELNS1_11target_archE1100ELNS1_3gpuE3ELNS1_3repE0EEENS1_30default_config_static_selectorELNS0_4arch9wavefront6targetE1EEEvT1_
	.globl	_ZN7rocprim17ROCPRIM_400000_NS6detail17trampoline_kernelINS0_14default_configENS1_25partition_config_selectorILNS1_17partition_subalgoE0ExNS0_10empty_typeEbEEZZNS1_14partition_implILS5_0ELb0ES3_jN6thrust23THRUST_200600_302600_NS6detail15normal_iteratorINSA_10device_ptrIxEEEEPS6_SG_NS0_5tupleIJNSA_16discard_iteratorINSA_11use_defaultEEESK_EEENSH_IJSG_SG_EEES6_PlJ7is_evenIxEEEE10hipError_tPvRmT3_T4_T5_T6_T7_T9_mT8_P12ihipStream_tbDpT10_ENKUlT_T0_E_clISt17integral_constantIbLb1EES18_IbLb0EEEEDaS14_S15_EUlS14_E_NS1_11comp_targetILNS1_3genE9ELNS1_11target_archE1100ELNS1_3gpuE3ELNS1_3repE0EEENS1_30default_config_static_selectorELNS0_4arch9wavefront6targetE1EEEvT1_
	.p2align	8
	.type	_ZN7rocprim17ROCPRIM_400000_NS6detail17trampoline_kernelINS0_14default_configENS1_25partition_config_selectorILNS1_17partition_subalgoE0ExNS0_10empty_typeEbEEZZNS1_14partition_implILS5_0ELb0ES3_jN6thrust23THRUST_200600_302600_NS6detail15normal_iteratorINSA_10device_ptrIxEEEEPS6_SG_NS0_5tupleIJNSA_16discard_iteratorINSA_11use_defaultEEESK_EEENSH_IJSG_SG_EEES6_PlJ7is_evenIxEEEE10hipError_tPvRmT3_T4_T5_T6_T7_T9_mT8_P12ihipStream_tbDpT10_ENKUlT_T0_E_clISt17integral_constantIbLb1EES18_IbLb0EEEEDaS14_S15_EUlS14_E_NS1_11comp_targetILNS1_3genE9ELNS1_11target_archE1100ELNS1_3gpuE3ELNS1_3repE0EEENS1_30default_config_static_selectorELNS0_4arch9wavefront6targetE1EEEvT1_,@function
_ZN7rocprim17ROCPRIM_400000_NS6detail17trampoline_kernelINS0_14default_configENS1_25partition_config_selectorILNS1_17partition_subalgoE0ExNS0_10empty_typeEbEEZZNS1_14partition_implILS5_0ELb0ES3_jN6thrust23THRUST_200600_302600_NS6detail15normal_iteratorINSA_10device_ptrIxEEEEPS6_SG_NS0_5tupleIJNSA_16discard_iteratorINSA_11use_defaultEEESK_EEENSH_IJSG_SG_EEES6_PlJ7is_evenIxEEEE10hipError_tPvRmT3_T4_T5_T6_T7_T9_mT8_P12ihipStream_tbDpT10_ENKUlT_T0_E_clISt17integral_constantIbLb1EES18_IbLb0EEEEDaS14_S15_EUlS14_E_NS1_11comp_targetILNS1_3genE9ELNS1_11target_archE1100ELNS1_3gpuE3ELNS1_3repE0EEENS1_30default_config_static_selectorELNS0_4arch9wavefront6targetE1EEEvT1_: ; @_ZN7rocprim17ROCPRIM_400000_NS6detail17trampoline_kernelINS0_14default_configENS1_25partition_config_selectorILNS1_17partition_subalgoE0ExNS0_10empty_typeEbEEZZNS1_14partition_implILS5_0ELb0ES3_jN6thrust23THRUST_200600_302600_NS6detail15normal_iteratorINSA_10device_ptrIxEEEEPS6_SG_NS0_5tupleIJNSA_16discard_iteratorINSA_11use_defaultEEESK_EEENSH_IJSG_SG_EEES6_PlJ7is_evenIxEEEE10hipError_tPvRmT3_T4_T5_T6_T7_T9_mT8_P12ihipStream_tbDpT10_ENKUlT_T0_E_clISt17integral_constantIbLb1EES18_IbLb0EEEEDaS14_S15_EUlS14_E_NS1_11comp_targetILNS1_3genE9ELNS1_11target_archE1100ELNS1_3gpuE3ELNS1_3repE0EEENS1_30default_config_static_selectorELNS0_4arch9wavefront6targetE1EEEvT1_
; %bb.0:
	.section	.rodata,"a",@progbits
	.p2align	6, 0x0
	.amdhsa_kernel _ZN7rocprim17ROCPRIM_400000_NS6detail17trampoline_kernelINS0_14default_configENS1_25partition_config_selectorILNS1_17partition_subalgoE0ExNS0_10empty_typeEbEEZZNS1_14partition_implILS5_0ELb0ES3_jN6thrust23THRUST_200600_302600_NS6detail15normal_iteratorINSA_10device_ptrIxEEEEPS6_SG_NS0_5tupleIJNSA_16discard_iteratorINSA_11use_defaultEEESK_EEENSH_IJSG_SG_EEES6_PlJ7is_evenIxEEEE10hipError_tPvRmT3_T4_T5_T6_T7_T9_mT8_P12ihipStream_tbDpT10_ENKUlT_T0_E_clISt17integral_constantIbLb1EES18_IbLb0EEEEDaS14_S15_EUlS14_E_NS1_11comp_targetILNS1_3genE9ELNS1_11target_archE1100ELNS1_3gpuE3ELNS1_3repE0EEENS1_30default_config_static_selectorELNS0_4arch9wavefront6targetE1EEEvT1_
		.amdhsa_group_segment_fixed_size 0
		.amdhsa_private_segment_fixed_size 0
		.amdhsa_kernarg_size 136
		.amdhsa_user_sgpr_count 2
		.amdhsa_user_sgpr_dispatch_ptr 0
		.amdhsa_user_sgpr_queue_ptr 0
		.amdhsa_user_sgpr_kernarg_segment_ptr 1
		.amdhsa_user_sgpr_dispatch_id 0
		.amdhsa_user_sgpr_kernarg_preload_length 0
		.amdhsa_user_sgpr_kernarg_preload_offset 0
		.amdhsa_user_sgpr_private_segment_size 0
		.amdhsa_uses_dynamic_stack 0
		.amdhsa_enable_private_segment 0
		.amdhsa_system_sgpr_workgroup_id_x 1
		.amdhsa_system_sgpr_workgroup_id_y 0
		.amdhsa_system_sgpr_workgroup_id_z 0
		.amdhsa_system_sgpr_workgroup_info 0
		.amdhsa_system_vgpr_workitem_id 0
		.amdhsa_next_free_vgpr 1
		.amdhsa_next_free_sgpr 0
		.amdhsa_accum_offset 4
		.amdhsa_reserve_vcc 0
		.amdhsa_float_round_mode_32 0
		.amdhsa_float_round_mode_16_64 0
		.amdhsa_float_denorm_mode_32 3
		.amdhsa_float_denorm_mode_16_64 3
		.amdhsa_dx10_clamp 1
		.amdhsa_ieee_mode 1
		.amdhsa_fp16_overflow 0
		.amdhsa_tg_split 0
		.amdhsa_exception_fp_ieee_invalid_op 0
		.amdhsa_exception_fp_denorm_src 0
		.amdhsa_exception_fp_ieee_div_zero 0
		.amdhsa_exception_fp_ieee_overflow 0
		.amdhsa_exception_fp_ieee_underflow 0
		.amdhsa_exception_fp_ieee_inexact 0
		.amdhsa_exception_int_div_zero 0
	.end_amdhsa_kernel
	.section	.text._ZN7rocprim17ROCPRIM_400000_NS6detail17trampoline_kernelINS0_14default_configENS1_25partition_config_selectorILNS1_17partition_subalgoE0ExNS0_10empty_typeEbEEZZNS1_14partition_implILS5_0ELb0ES3_jN6thrust23THRUST_200600_302600_NS6detail15normal_iteratorINSA_10device_ptrIxEEEEPS6_SG_NS0_5tupleIJNSA_16discard_iteratorINSA_11use_defaultEEESK_EEENSH_IJSG_SG_EEES6_PlJ7is_evenIxEEEE10hipError_tPvRmT3_T4_T5_T6_T7_T9_mT8_P12ihipStream_tbDpT10_ENKUlT_T0_E_clISt17integral_constantIbLb1EES18_IbLb0EEEEDaS14_S15_EUlS14_E_NS1_11comp_targetILNS1_3genE9ELNS1_11target_archE1100ELNS1_3gpuE3ELNS1_3repE0EEENS1_30default_config_static_selectorELNS0_4arch9wavefront6targetE1EEEvT1_,"axG",@progbits,_ZN7rocprim17ROCPRIM_400000_NS6detail17trampoline_kernelINS0_14default_configENS1_25partition_config_selectorILNS1_17partition_subalgoE0ExNS0_10empty_typeEbEEZZNS1_14partition_implILS5_0ELb0ES3_jN6thrust23THRUST_200600_302600_NS6detail15normal_iteratorINSA_10device_ptrIxEEEEPS6_SG_NS0_5tupleIJNSA_16discard_iteratorINSA_11use_defaultEEESK_EEENSH_IJSG_SG_EEES6_PlJ7is_evenIxEEEE10hipError_tPvRmT3_T4_T5_T6_T7_T9_mT8_P12ihipStream_tbDpT10_ENKUlT_T0_E_clISt17integral_constantIbLb1EES18_IbLb0EEEEDaS14_S15_EUlS14_E_NS1_11comp_targetILNS1_3genE9ELNS1_11target_archE1100ELNS1_3gpuE3ELNS1_3repE0EEENS1_30default_config_static_selectorELNS0_4arch9wavefront6targetE1EEEvT1_,comdat
.Lfunc_end2609:
	.size	_ZN7rocprim17ROCPRIM_400000_NS6detail17trampoline_kernelINS0_14default_configENS1_25partition_config_selectorILNS1_17partition_subalgoE0ExNS0_10empty_typeEbEEZZNS1_14partition_implILS5_0ELb0ES3_jN6thrust23THRUST_200600_302600_NS6detail15normal_iteratorINSA_10device_ptrIxEEEEPS6_SG_NS0_5tupleIJNSA_16discard_iteratorINSA_11use_defaultEEESK_EEENSH_IJSG_SG_EEES6_PlJ7is_evenIxEEEE10hipError_tPvRmT3_T4_T5_T6_T7_T9_mT8_P12ihipStream_tbDpT10_ENKUlT_T0_E_clISt17integral_constantIbLb1EES18_IbLb0EEEEDaS14_S15_EUlS14_E_NS1_11comp_targetILNS1_3genE9ELNS1_11target_archE1100ELNS1_3gpuE3ELNS1_3repE0EEENS1_30default_config_static_selectorELNS0_4arch9wavefront6targetE1EEEvT1_, .Lfunc_end2609-_ZN7rocprim17ROCPRIM_400000_NS6detail17trampoline_kernelINS0_14default_configENS1_25partition_config_selectorILNS1_17partition_subalgoE0ExNS0_10empty_typeEbEEZZNS1_14partition_implILS5_0ELb0ES3_jN6thrust23THRUST_200600_302600_NS6detail15normal_iteratorINSA_10device_ptrIxEEEEPS6_SG_NS0_5tupleIJNSA_16discard_iteratorINSA_11use_defaultEEESK_EEENSH_IJSG_SG_EEES6_PlJ7is_evenIxEEEE10hipError_tPvRmT3_T4_T5_T6_T7_T9_mT8_P12ihipStream_tbDpT10_ENKUlT_T0_E_clISt17integral_constantIbLb1EES18_IbLb0EEEEDaS14_S15_EUlS14_E_NS1_11comp_targetILNS1_3genE9ELNS1_11target_archE1100ELNS1_3gpuE3ELNS1_3repE0EEENS1_30default_config_static_selectorELNS0_4arch9wavefront6targetE1EEEvT1_
                                        ; -- End function
	.section	.AMDGPU.csdata,"",@progbits
; Kernel info:
; codeLenInByte = 0
; NumSgprs: 6
; NumVgprs: 0
; NumAgprs: 0
; TotalNumVgprs: 0
; ScratchSize: 0
; MemoryBound: 0
; FloatMode: 240
; IeeeMode: 1
; LDSByteSize: 0 bytes/workgroup (compile time only)
; SGPRBlocks: 0
; VGPRBlocks: 0
; NumSGPRsForWavesPerEU: 6
; NumVGPRsForWavesPerEU: 1
; AccumOffset: 4
; Occupancy: 8
; WaveLimiterHint : 0
; COMPUTE_PGM_RSRC2:SCRATCH_EN: 0
; COMPUTE_PGM_RSRC2:USER_SGPR: 2
; COMPUTE_PGM_RSRC2:TRAP_HANDLER: 0
; COMPUTE_PGM_RSRC2:TGID_X_EN: 1
; COMPUTE_PGM_RSRC2:TGID_Y_EN: 0
; COMPUTE_PGM_RSRC2:TGID_Z_EN: 0
; COMPUTE_PGM_RSRC2:TIDIG_COMP_CNT: 0
; COMPUTE_PGM_RSRC3_GFX90A:ACCUM_OFFSET: 0
; COMPUTE_PGM_RSRC3_GFX90A:TG_SPLIT: 0
	.section	.text._ZN7rocprim17ROCPRIM_400000_NS6detail17trampoline_kernelINS0_14default_configENS1_25partition_config_selectorILNS1_17partition_subalgoE0ExNS0_10empty_typeEbEEZZNS1_14partition_implILS5_0ELb0ES3_jN6thrust23THRUST_200600_302600_NS6detail15normal_iteratorINSA_10device_ptrIxEEEEPS6_SG_NS0_5tupleIJNSA_16discard_iteratorINSA_11use_defaultEEESK_EEENSH_IJSG_SG_EEES6_PlJ7is_evenIxEEEE10hipError_tPvRmT3_T4_T5_T6_T7_T9_mT8_P12ihipStream_tbDpT10_ENKUlT_T0_E_clISt17integral_constantIbLb1EES18_IbLb0EEEEDaS14_S15_EUlS14_E_NS1_11comp_targetILNS1_3genE8ELNS1_11target_archE1030ELNS1_3gpuE2ELNS1_3repE0EEENS1_30default_config_static_selectorELNS0_4arch9wavefront6targetE1EEEvT1_,"axG",@progbits,_ZN7rocprim17ROCPRIM_400000_NS6detail17trampoline_kernelINS0_14default_configENS1_25partition_config_selectorILNS1_17partition_subalgoE0ExNS0_10empty_typeEbEEZZNS1_14partition_implILS5_0ELb0ES3_jN6thrust23THRUST_200600_302600_NS6detail15normal_iteratorINSA_10device_ptrIxEEEEPS6_SG_NS0_5tupleIJNSA_16discard_iteratorINSA_11use_defaultEEESK_EEENSH_IJSG_SG_EEES6_PlJ7is_evenIxEEEE10hipError_tPvRmT3_T4_T5_T6_T7_T9_mT8_P12ihipStream_tbDpT10_ENKUlT_T0_E_clISt17integral_constantIbLb1EES18_IbLb0EEEEDaS14_S15_EUlS14_E_NS1_11comp_targetILNS1_3genE8ELNS1_11target_archE1030ELNS1_3gpuE2ELNS1_3repE0EEENS1_30default_config_static_selectorELNS0_4arch9wavefront6targetE1EEEvT1_,comdat
	.protected	_ZN7rocprim17ROCPRIM_400000_NS6detail17trampoline_kernelINS0_14default_configENS1_25partition_config_selectorILNS1_17partition_subalgoE0ExNS0_10empty_typeEbEEZZNS1_14partition_implILS5_0ELb0ES3_jN6thrust23THRUST_200600_302600_NS6detail15normal_iteratorINSA_10device_ptrIxEEEEPS6_SG_NS0_5tupleIJNSA_16discard_iteratorINSA_11use_defaultEEESK_EEENSH_IJSG_SG_EEES6_PlJ7is_evenIxEEEE10hipError_tPvRmT3_T4_T5_T6_T7_T9_mT8_P12ihipStream_tbDpT10_ENKUlT_T0_E_clISt17integral_constantIbLb1EES18_IbLb0EEEEDaS14_S15_EUlS14_E_NS1_11comp_targetILNS1_3genE8ELNS1_11target_archE1030ELNS1_3gpuE2ELNS1_3repE0EEENS1_30default_config_static_selectorELNS0_4arch9wavefront6targetE1EEEvT1_ ; -- Begin function _ZN7rocprim17ROCPRIM_400000_NS6detail17trampoline_kernelINS0_14default_configENS1_25partition_config_selectorILNS1_17partition_subalgoE0ExNS0_10empty_typeEbEEZZNS1_14partition_implILS5_0ELb0ES3_jN6thrust23THRUST_200600_302600_NS6detail15normal_iteratorINSA_10device_ptrIxEEEEPS6_SG_NS0_5tupleIJNSA_16discard_iteratorINSA_11use_defaultEEESK_EEENSH_IJSG_SG_EEES6_PlJ7is_evenIxEEEE10hipError_tPvRmT3_T4_T5_T6_T7_T9_mT8_P12ihipStream_tbDpT10_ENKUlT_T0_E_clISt17integral_constantIbLb1EES18_IbLb0EEEEDaS14_S15_EUlS14_E_NS1_11comp_targetILNS1_3genE8ELNS1_11target_archE1030ELNS1_3gpuE2ELNS1_3repE0EEENS1_30default_config_static_selectorELNS0_4arch9wavefront6targetE1EEEvT1_
	.globl	_ZN7rocprim17ROCPRIM_400000_NS6detail17trampoline_kernelINS0_14default_configENS1_25partition_config_selectorILNS1_17partition_subalgoE0ExNS0_10empty_typeEbEEZZNS1_14partition_implILS5_0ELb0ES3_jN6thrust23THRUST_200600_302600_NS6detail15normal_iteratorINSA_10device_ptrIxEEEEPS6_SG_NS0_5tupleIJNSA_16discard_iteratorINSA_11use_defaultEEESK_EEENSH_IJSG_SG_EEES6_PlJ7is_evenIxEEEE10hipError_tPvRmT3_T4_T5_T6_T7_T9_mT8_P12ihipStream_tbDpT10_ENKUlT_T0_E_clISt17integral_constantIbLb1EES18_IbLb0EEEEDaS14_S15_EUlS14_E_NS1_11comp_targetILNS1_3genE8ELNS1_11target_archE1030ELNS1_3gpuE2ELNS1_3repE0EEENS1_30default_config_static_selectorELNS0_4arch9wavefront6targetE1EEEvT1_
	.p2align	8
	.type	_ZN7rocprim17ROCPRIM_400000_NS6detail17trampoline_kernelINS0_14default_configENS1_25partition_config_selectorILNS1_17partition_subalgoE0ExNS0_10empty_typeEbEEZZNS1_14partition_implILS5_0ELb0ES3_jN6thrust23THRUST_200600_302600_NS6detail15normal_iteratorINSA_10device_ptrIxEEEEPS6_SG_NS0_5tupleIJNSA_16discard_iteratorINSA_11use_defaultEEESK_EEENSH_IJSG_SG_EEES6_PlJ7is_evenIxEEEE10hipError_tPvRmT3_T4_T5_T6_T7_T9_mT8_P12ihipStream_tbDpT10_ENKUlT_T0_E_clISt17integral_constantIbLb1EES18_IbLb0EEEEDaS14_S15_EUlS14_E_NS1_11comp_targetILNS1_3genE8ELNS1_11target_archE1030ELNS1_3gpuE2ELNS1_3repE0EEENS1_30default_config_static_selectorELNS0_4arch9wavefront6targetE1EEEvT1_,@function
_ZN7rocprim17ROCPRIM_400000_NS6detail17trampoline_kernelINS0_14default_configENS1_25partition_config_selectorILNS1_17partition_subalgoE0ExNS0_10empty_typeEbEEZZNS1_14partition_implILS5_0ELb0ES3_jN6thrust23THRUST_200600_302600_NS6detail15normal_iteratorINSA_10device_ptrIxEEEEPS6_SG_NS0_5tupleIJNSA_16discard_iteratorINSA_11use_defaultEEESK_EEENSH_IJSG_SG_EEES6_PlJ7is_evenIxEEEE10hipError_tPvRmT3_T4_T5_T6_T7_T9_mT8_P12ihipStream_tbDpT10_ENKUlT_T0_E_clISt17integral_constantIbLb1EES18_IbLb0EEEEDaS14_S15_EUlS14_E_NS1_11comp_targetILNS1_3genE8ELNS1_11target_archE1030ELNS1_3gpuE2ELNS1_3repE0EEENS1_30default_config_static_selectorELNS0_4arch9wavefront6targetE1EEEvT1_: ; @_ZN7rocprim17ROCPRIM_400000_NS6detail17trampoline_kernelINS0_14default_configENS1_25partition_config_selectorILNS1_17partition_subalgoE0ExNS0_10empty_typeEbEEZZNS1_14partition_implILS5_0ELb0ES3_jN6thrust23THRUST_200600_302600_NS6detail15normal_iteratorINSA_10device_ptrIxEEEEPS6_SG_NS0_5tupleIJNSA_16discard_iteratorINSA_11use_defaultEEESK_EEENSH_IJSG_SG_EEES6_PlJ7is_evenIxEEEE10hipError_tPvRmT3_T4_T5_T6_T7_T9_mT8_P12ihipStream_tbDpT10_ENKUlT_T0_E_clISt17integral_constantIbLb1EES18_IbLb0EEEEDaS14_S15_EUlS14_E_NS1_11comp_targetILNS1_3genE8ELNS1_11target_archE1030ELNS1_3gpuE2ELNS1_3repE0EEENS1_30default_config_static_selectorELNS0_4arch9wavefront6targetE1EEEvT1_
; %bb.0:
	.section	.rodata,"a",@progbits
	.p2align	6, 0x0
	.amdhsa_kernel _ZN7rocprim17ROCPRIM_400000_NS6detail17trampoline_kernelINS0_14default_configENS1_25partition_config_selectorILNS1_17partition_subalgoE0ExNS0_10empty_typeEbEEZZNS1_14partition_implILS5_0ELb0ES3_jN6thrust23THRUST_200600_302600_NS6detail15normal_iteratorINSA_10device_ptrIxEEEEPS6_SG_NS0_5tupleIJNSA_16discard_iteratorINSA_11use_defaultEEESK_EEENSH_IJSG_SG_EEES6_PlJ7is_evenIxEEEE10hipError_tPvRmT3_T4_T5_T6_T7_T9_mT8_P12ihipStream_tbDpT10_ENKUlT_T0_E_clISt17integral_constantIbLb1EES18_IbLb0EEEEDaS14_S15_EUlS14_E_NS1_11comp_targetILNS1_3genE8ELNS1_11target_archE1030ELNS1_3gpuE2ELNS1_3repE0EEENS1_30default_config_static_selectorELNS0_4arch9wavefront6targetE1EEEvT1_
		.amdhsa_group_segment_fixed_size 0
		.amdhsa_private_segment_fixed_size 0
		.amdhsa_kernarg_size 136
		.amdhsa_user_sgpr_count 2
		.amdhsa_user_sgpr_dispatch_ptr 0
		.amdhsa_user_sgpr_queue_ptr 0
		.amdhsa_user_sgpr_kernarg_segment_ptr 1
		.amdhsa_user_sgpr_dispatch_id 0
		.amdhsa_user_sgpr_kernarg_preload_length 0
		.amdhsa_user_sgpr_kernarg_preload_offset 0
		.amdhsa_user_sgpr_private_segment_size 0
		.amdhsa_uses_dynamic_stack 0
		.amdhsa_enable_private_segment 0
		.amdhsa_system_sgpr_workgroup_id_x 1
		.amdhsa_system_sgpr_workgroup_id_y 0
		.amdhsa_system_sgpr_workgroup_id_z 0
		.amdhsa_system_sgpr_workgroup_info 0
		.amdhsa_system_vgpr_workitem_id 0
		.amdhsa_next_free_vgpr 1
		.amdhsa_next_free_sgpr 0
		.amdhsa_accum_offset 4
		.amdhsa_reserve_vcc 0
		.amdhsa_float_round_mode_32 0
		.amdhsa_float_round_mode_16_64 0
		.amdhsa_float_denorm_mode_32 3
		.amdhsa_float_denorm_mode_16_64 3
		.amdhsa_dx10_clamp 1
		.amdhsa_ieee_mode 1
		.amdhsa_fp16_overflow 0
		.amdhsa_tg_split 0
		.amdhsa_exception_fp_ieee_invalid_op 0
		.amdhsa_exception_fp_denorm_src 0
		.amdhsa_exception_fp_ieee_div_zero 0
		.amdhsa_exception_fp_ieee_overflow 0
		.amdhsa_exception_fp_ieee_underflow 0
		.amdhsa_exception_fp_ieee_inexact 0
		.amdhsa_exception_int_div_zero 0
	.end_amdhsa_kernel
	.section	.text._ZN7rocprim17ROCPRIM_400000_NS6detail17trampoline_kernelINS0_14default_configENS1_25partition_config_selectorILNS1_17partition_subalgoE0ExNS0_10empty_typeEbEEZZNS1_14partition_implILS5_0ELb0ES3_jN6thrust23THRUST_200600_302600_NS6detail15normal_iteratorINSA_10device_ptrIxEEEEPS6_SG_NS0_5tupleIJNSA_16discard_iteratorINSA_11use_defaultEEESK_EEENSH_IJSG_SG_EEES6_PlJ7is_evenIxEEEE10hipError_tPvRmT3_T4_T5_T6_T7_T9_mT8_P12ihipStream_tbDpT10_ENKUlT_T0_E_clISt17integral_constantIbLb1EES18_IbLb0EEEEDaS14_S15_EUlS14_E_NS1_11comp_targetILNS1_3genE8ELNS1_11target_archE1030ELNS1_3gpuE2ELNS1_3repE0EEENS1_30default_config_static_selectorELNS0_4arch9wavefront6targetE1EEEvT1_,"axG",@progbits,_ZN7rocprim17ROCPRIM_400000_NS6detail17trampoline_kernelINS0_14default_configENS1_25partition_config_selectorILNS1_17partition_subalgoE0ExNS0_10empty_typeEbEEZZNS1_14partition_implILS5_0ELb0ES3_jN6thrust23THRUST_200600_302600_NS6detail15normal_iteratorINSA_10device_ptrIxEEEEPS6_SG_NS0_5tupleIJNSA_16discard_iteratorINSA_11use_defaultEEESK_EEENSH_IJSG_SG_EEES6_PlJ7is_evenIxEEEE10hipError_tPvRmT3_T4_T5_T6_T7_T9_mT8_P12ihipStream_tbDpT10_ENKUlT_T0_E_clISt17integral_constantIbLb1EES18_IbLb0EEEEDaS14_S15_EUlS14_E_NS1_11comp_targetILNS1_3genE8ELNS1_11target_archE1030ELNS1_3gpuE2ELNS1_3repE0EEENS1_30default_config_static_selectorELNS0_4arch9wavefront6targetE1EEEvT1_,comdat
.Lfunc_end2610:
	.size	_ZN7rocprim17ROCPRIM_400000_NS6detail17trampoline_kernelINS0_14default_configENS1_25partition_config_selectorILNS1_17partition_subalgoE0ExNS0_10empty_typeEbEEZZNS1_14partition_implILS5_0ELb0ES3_jN6thrust23THRUST_200600_302600_NS6detail15normal_iteratorINSA_10device_ptrIxEEEEPS6_SG_NS0_5tupleIJNSA_16discard_iteratorINSA_11use_defaultEEESK_EEENSH_IJSG_SG_EEES6_PlJ7is_evenIxEEEE10hipError_tPvRmT3_T4_T5_T6_T7_T9_mT8_P12ihipStream_tbDpT10_ENKUlT_T0_E_clISt17integral_constantIbLb1EES18_IbLb0EEEEDaS14_S15_EUlS14_E_NS1_11comp_targetILNS1_3genE8ELNS1_11target_archE1030ELNS1_3gpuE2ELNS1_3repE0EEENS1_30default_config_static_selectorELNS0_4arch9wavefront6targetE1EEEvT1_, .Lfunc_end2610-_ZN7rocprim17ROCPRIM_400000_NS6detail17trampoline_kernelINS0_14default_configENS1_25partition_config_selectorILNS1_17partition_subalgoE0ExNS0_10empty_typeEbEEZZNS1_14partition_implILS5_0ELb0ES3_jN6thrust23THRUST_200600_302600_NS6detail15normal_iteratorINSA_10device_ptrIxEEEEPS6_SG_NS0_5tupleIJNSA_16discard_iteratorINSA_11use_defaultEEESK_EEENSH_IJSG_SG_EEES6_PlJ7is_evenIxEEEE10hipError_tPvRmT3_T4_T5_T6_T7_T9_mT8_P12ihipStream_tbDpT10_ENKUlT_T0_E_clISt17integral_constantIbLb1EES18_IbLb0EEEEDaS14_S15_EUlS14_E_NS1_11comp_targetILNS1_3genE8ELNS1_11target_archE1030ELNS1_3gpuE2ELNS1_3repE0EEENS1_30default_config_static_selectorELNS0_4arch9wavefront6targetE1EEEvT1_
                                        ; -- End function
	.section	.AMDGPU.csdata,"",@progbits
; Kernel info:
; codeLenInByte = 0
; NumSgprs: 6
; NumVgprs: 0
; NumAgprs: 0
; TotalNumVgprs: 0
; ScratchSize: 0
; MemoryBound: 0
; FloatMode: 240
; IeeeMode: 1
; LDSByteSize: 0 bytes/workgroup (compile time only)
; SGPRBlocks: 0
; VGPRBlocks: 0
; NumSGPRsForWavesPerEU: 6
; NumVGPRsForWavesPerEU: 1
; AccumOffset: 4
; Occupancy: 8
; WaveLimiterHint : 0
; COMPUTE_PGM_RSRC2:SCRATCH_EN: 0
; COMPUTE_PGM_RSRC2:USER_SGPR: 2
; COMPUTE_PGM_RSRC2:TRAP_HANDLER: 0
; COMPUTE_PGM_RSRC2:TGID_X_EN: 1
; COMPUTE_PGM_RSRC2:TGID_Y_EN: 0
; COMPUTE_PGM_RSRC2:TGID_Z_EN: 0
; COMPUTE_PGM_RSRC2:TIDIG_COMP_CNT: 0
; COMPUTE_PGM_RSRC3_GFX90A:ACCUM_OFFSET: 0
; COMPUTE_PGM_RSRC3_GFX90A:TG_SPLIT: 0
	.section	.text._ZN7rocprim17ROCPRIM_400000_NS6detail17trampoline_kernelINS0_14default_configENS1_25partition_config_selectorILNS1_17partition_subalgoE0ExNS0_10empty_typeEbEEZZNS1_14partition_implILS5_0ELb0ES3_jN6thrust23THRUST_200600_302600_NS6detail15normal_iteratorINSA_10device_ptrIxEEEEPS6_SG_NS0_5tupleIJNSA_16discard_iteratorINSA_11use_defaultEEESK_EEENSH_IJSG_SG_EEES6_PlJ7is_evenIxEEEE10hipError_tPvRmT3_T4_T5_T6_T7_T9_mT8_P12ihipStream_tbDpT10_ENKUlT_T0_E_clISt17integral_constantIbLb0EES18_IbLb1EEEEDaS14_S15_EUlS14_E_NS1_11comp_targetILNS1_3genE0ELNS1_11target_archE4294967295ELNS1_3gpuE0ELNS1_3repE0EEENS1_30default_config_static_selectorELNS0_4arch9wavefront6targetE1EEEvT1_,"axG",@progbits,_ZN7rocprim17ROCPRIM_400000_NS6detail17trampoline_kernelINS0_14default_configENS1_25partition_config_selectorILNS1_17partition_subalgoE0ExNS0_10empty_typeEbEEZZNS1_14partition_implILS5_0ELb0ES3_jN6thrust23THRUST_200600_302600_NS6detail15normal_iteratorINSA_10device_ptrIxEEEEPS6_SG_NS0_5tupleIJNSA_16discard_iteratorINSA_11use_defaultEEESK_EEENSH_IJSG_SG_EEES6_PlJ7is_evenIxEEEE10hipError_tPvRmT3_T4_T5_T6_T7_T9_mT8_P12ihipStream_tbDpT10_ENKUlT_T0_E_clISt17integral_constantIbLb0EES18_IbLb1EEEEDaS14_S15_EUlS14_E_NS1_11comp_targetILNS1_3genE0ELNS1_11target_archE4294967295ELNS1_3gpuE0ELNS1_3repE0EEENS1_30default_config_static_selectorELNS0_4arch9wavefront6targetE1EEEvT1_,comdat
	.protected	_ZN7rocprim17ROCPRIM_400000_NS6detail17trampoline_kernelINS0_14default_configENS1_25partition_config_selectorILNS1_17partition_subalgoE0ExNS0_10empty_typeEbEEZZNS1_14partition_implILS5_0ELb0ES3_jN6thrust23THRUST_200600_302600_NS6detail15normal_iteratorINSA_10device_ptrIxEEEEPS6_SG_NS0_5tupleIJNSA_16discard_iteratorINSA_11use_defaultEEESK_EEENSH_IJSG_SG_EEES6_PlJ7is_evenIxEEEE10hipError_tPvRmT3_T4_T5_T6_T7_T9_mT8_P12ihipStream_tbDpT10_ENKUlT_T0_E_clISt17integral_constantIbLb0EES18_IbLb1EEEEDaS14_S15_EUlS14_E_NS1_11comp_targetILNS1_3genE0ELNS1_11target_archE4294967295ELNS1_3gpuE0ELNS1_3repE0EEENS1_30default_config_static_selectorELNS0_4arch9wavefront6targetE1EEEvT1_ ; -- Begin function _ZN7rocprim17ROCPRIM_400000_NS6detail17trampoline_kernelINS0_14default_configENS1_25partition_config_selectorILNS1_17partition_subalgoE0ExNS0_10empty_typeEbEEZZNS1_14partition_implILS5_0ELb0ES3_jN6thrust23THRUST_200600_302600_NS6detail15normal_iteratorINSA_10device_ptrIxEEEEPS6_SG_NS0_5tupleIJNSA_16discard_iteratorINSA_11use_defaultEEESK_EEENSH_IJSG_SG_EEES6_PlJ7is_evenIxEEEE10hipError_tPvRmT3_T4_T5_T6_T7_T9_mT8_P12ihipStream_tbDpT10_ENKUlT_T0_E_clISt17integral_constantIbLb0EES18_IbLb1EEEEDaS14_S15_EUlS14_E_NS1_11comp_targetILNS1_3genE0ELNS1_11target_archE4294967295ELNS1_3gpuE0ELNS1_3repE0EEENS1_30default_config_static_selectorELNS0_4arch9wavefront6targetE1EEEvT1_
	.globl	_ZN7rocprim17ROCPRIM_400000_NS6detail17trampoline_kernelINS0_14default_configENS1_25partition_config_selectorILNS1_17partition_subalgoE0ExNS0_10empty_typeEbEEZZNS1_14partition_implILS5_0ELb0ES3_jN6thrust23THRUST_200600_302600_NS6detail15normal_iteratorINSA_10device_ptrIxEEEEPS6_SG_NS0_5tupleIJNSA_16discard_iteratorINSA_11use_defaultEEESK_EEENSH_IJSG_SG_EEES6_PlJ7is_evenIxEEEE10hipError_tPvRmT3_T4_T5_T6_T7_T9_mT8_P12ihipStream_tbDpT10_ENKUlT_T0_E_clISt17integral_constantIbLb0EES18_IbLb1EEEEDaS14_S15_EUlS14_E_NS1_11comp_targetILNS1_3genE0ELNS1_11target_archE4294967295ELNS1_3gpuE0ELNS1_3repE0EEENS1_30default_config_static_selectorELNS0_4arch9wavefront6targetE1EEEvT1_
	.p2align	8
	.type	_ZN7rocprim17ROCPRIM_400000_NS6detail17trampoline_kernelINS0_14default_configENS1_25partition_config_selectorILNS1_17partition_subalgoE0ExNS0_10empty_typeEbEEZZNS1_14partition_implILS5_0ELb0ES3_jN6thrust23THRUST_200600_302600_NS6detail15normal_iteratorINSA_10device_ptrIxEEEEPS6_SG_NS0_5tupleIJNSA_16discard_iteratorINSA_11use_defaultEEESK_EEENSH_IJSG_SG_EEES6_PlJ7is_evenIxEEEE10hipError_tPvRmT3_T4_T5_T6_T7_T9_mT8_P12ihipStream_tbDpT10_ENKUlT_T0_E_clISt17integral_constantIbLb0EES18_IbLb1EEEEDaS14_S15_EUlS14_E_NS1_11comp_targetILNS1_3genE0ELNS1_11target_archE4294967295ELNS1_3gpuE0ELNS1_3repE0EEENS1_30default_config_static_selectorELNS0_4arch9wavefront6targetE1EEEvT1_,@function
_ZN7rocprim17ROCPRIM_400000_NS6detail17trampoline_kernelINS0_14default_configENS1_25partition_config_selectorILNS1_17partition_subalgoE0ExNS0_10empty_typeEbEEZZNS1_14partition_implILS5_0ELb0ES3_jN6thrust23THRUST_200600_302600_NS6detail15normal_iteratorINSA_10device_ptrIxEEEEPS6_SG_NS0_5tupleIJNSA_16discard_iteratorINSA_11use_defaultEEESK_EEENSH_IJSG_SG_EEES6_PlJ7is_evenIxEEEE10hipError_tPvRmT3_T4_T5_T6_T7_T9_mT8_P12ihipStream_tbDpT10_ENKUlT_T0_E_clISt17integral_constantIbLb0EES18_IbLb1EEEEDaS14_S15_EUlS14_E_NS1_11comp_targetILNS1_3genE0ELNS1_11target_archE4294967295ELNS1_3gpuE0ELNS1_3repE0EEENS1_30default_config_static_selectorELNS0_4arch9wavefront6targetE1EEEvT1_: ; @_ZN7rocprim17ROCPRIM_400000_NS6detail17trampoline_kernelINS0_14default_configENS1_25partition_config_selectorILNS1_17partition_subalgoE0ExNS0_10empty_typeEbEEZZNS1_14partition_implILS5_0ELb0ES3_jN6thrust23THRUST_200600_302600_NS6detail15normal_iteratorINSA_10device_ptrIxEEEEPS6_SG_NS0_5tupleIJNSA_16discard_iteratorINSA_11use_defaultEEESK_EEENSH_IJSG_SG_EEES6_PlJ7is_evenIxEEEE10hipError_tPvRmT3_T4_T5_T6_T7_T9_mT8_P12ihipStream_tbDpT10_ENKUlT_T0_E_clISt17integral_constantIbLb0EES18_IbLb1EEEEDaS14_S15_EUlS14_E_NS1_11comp_targetILNS1_3genE0ELNS1_11target_archE4294967295ELNS1_3gpuE0ELNS1_3repE0EEENS1_30default_config_static_selectorELNS0_4arch9wavefront6targetE1EEEvT1_
; %bb.0:
	.section	.rodata,"a",@progbits
	.p2align	6, 0x0
	.amdhsa_kernel _ZN7rocprim17ROCPRIM_400000_NS6detail17trampoline_kernelINS0_14default_configENS1_25partition_config_selectorILNS1_17partition_subalgoE0ExNS0_10empty_typeEbEEZZNS1_14partition_implILS5_0ELb0ES3_jN6thrust23THRUST_200600_302600_NS6detail15normal_iteratorINSA_10device_ptrIxEEEEPS6_SG_NS0_5tupleIJNSA_16discard_iteratorINSA_11use_defaultEEESK_EEENSH_IJSG_SG_EEES6_PlJ7is_evenIxEEEE10hipError_tPvRmT3_T4_T5_T6_T7_T9_mT8_P12ihipStream_tbDpT10_ENKUlT_T0_E_clISt17integral_constantIbLb0EES18_IbLb1EEEEDaS14_S15_EUlS14_E_NS1_11comp_targetILNS1_3genE0ELNS1_11target_archE4294967295ELNS1_3gpuE0ELNS1_3repE0EEENS1_30default_config_static_selectorELNS0_4arch9wavefront6targetE1EEEvT1_
		.amdhsa_group_segment_fixed_size 0
		.amdhsa_private_segment_fixed_size 0
		.amdhsa_kernarg_size 152
		.amdhsa_user_sgpr_count 2
		.amdhsa_user_sgpr_dispatch_ptr 0
		.amdhsa_user_sgpr_queue_ptr 0
		.amdhsa_user_sgpr_kernarg_segment_ptr 1
		.amdhsa_user_sgpr_dispatch_id 0
		.amdhsa_user_sgpr_kernarg_preload_length 0
		.amdhsa_user_sgpr_kernarg_preload_offset 0
		.amdhsa_user_sgpr_private_segment_size 0
		.amdhsa_uses_dynamic_stack 0
		.amdhsa_enable_private_segment 0
		.amdhsa_system_sgpr_workgroup_id_x 1
		.amdhsa_system_sgpr_workgroup_id_y 0
		.amdhsa_system_sgpr_workgroup_id_z 0
		.amdhsa_system_sgpr_workgroup_info 0
		.amdhsa_system_vgpr_workitem_id 0
		.amdhsa_next_free_vgpr 1
		.amdhsa_next_free_sgpr 0
		.amdhsa_accum_offset 4
		.amdhsa_reserve_vcc 0
		.amdhsa_float_round_mode_32 0
		.amdhsa_float_round_mode_16_64 0
		.amdhsa_float_denorm_mode_32 3
		.amdhsa_float_denorm_mode_16_64 3
		.amdhsa_dx10_clamp 1
		.amdhsa_ieee_mode 1
		.amdhsa_fp16_overflow 0
		.amdhsa_tg_split 0
		.amdhsa_exception_fp_ieee_invalid_op 0
		.amdhsa_exception_fp_denorm_src 0
		.amdhsa_exception_fp_ieee_div_zero 0
		.amdhsa_exception_fp_ieee_overflow 0
		.amdhsa_exception_fp_ieee_underflow 0
		.amdhsa_exception_fp_ieee_inexact 0
		.amdhsa_exception_int_div_zero 0
	.end_amdhsa_kernel
	.section	.text._ZN7rocprim17ROCPRIM_400000_NS6detail17trampoline_kernelINS0_14default_configENS1_25partition_config_selectorILNS1_17partition_subalgoE0ExNS0_10empty_typeEbEEZZNS1_14partition_implILS5_0ELb0ES3_jN6thrust23THRUST_200600_302600_NS6detail15normal_iteratorINSA_10device_ptrIxEEEEPS6_SG_NS0_5tupleIJNSA_16discard_iteratorINSA_11use_defaultEEESK_EEENSH_IJSG_SG_EEES6_PlJ7is_evenIxEEEE10hipError_tPvRmT3_T4_T5_T6_T7_T9_mT8_P12ihipStream_tbDpT10_ENKUlT_T0_E_clISt17integral_constantIbLb0EES18_IbLb1EEEEDaS14_S15_EUlS14_E_NS1_11comp_targetILNS1_3genE0ELNS1_11target_archE4294967295ELNS1_3gpuE0ELNS1_3repE0EEENS1_30default_config_static_selectorELNS0_4arch9wavefront6targetE1EEEvT1_,"axG",@progbits,_ZN7rocprim17ROCPRIM_400000_NS6detail17trampoline_kernelINS0_14default_configENS1_25partition_config_selectorILNS1_17partition_subalgoE0ExNS0_10empty_typeEbEEZZNS1_14partition_implILS5_0ELb0ES3_jN6thrust23THRUST_200600_302600_NS6detail15normal_iteratorINSA_10device_ptrIxEEEEPS6_SG_NS0_5tupleIJNSA_16discard_iteratorINSA_11use_defaultEEESK_EEENSH_IJSG_SG_EEES6_PlJ7is_evenIxEEEE10hipError_tPvRmT3_T4_T5_T6_T7_T9_mT8_P12ihipStream_tbDpT10_ENKUlT_T0_E_clISt17integral_constantIbLb0EES18_IbLb1EEEEDaS14_S15_EUlS14_E_NS1_11comp_targetILNS1_3genE0ELNS1_11target_archE4294967295ELNS1_3gpuE0ELNS1_3repE0EEENS1_30default_config_static_selectorELNS0_4arch9wavefront6targetE1EEEvT1_,comdat
.Lfunc_end2611:
	.size	_ZN7rocprim17ROCPRIM_400000_NS6detail17trampoline_kernelINS0_14default_configENS1_25partition_config_selectorILNS1_17partition_subalgoE0ExNS0_10empty_typeEbEEZZNS1_14partition_implILS5_0ELb0ES3_jN6thrust23THRUST_200600_302600_NS6detail15normal_iteratorINSA_10device_ptrIxEEEEPS6_SG_NS0_5tupleIJNSA_16discard_iteratorINSA_11use_defaultEEESK_EEENSH_IJSG_SG_EEES6_PlJ7is_evenIxEEEE10hipError_tPvRmT3_T4_T5_T6_T7_T9_mT8_P12ihipStream_tbDpT10_ENKUlT_T0_E_clISt17integral_constantIbLb0EES18_IbLb1EEEEDaS14_S15_EUlS14_E_NS1_11comp_targetILNS1_3genE0ELNS1_11target_archE4294967295ELNS1_3gpuE0ELNS1_3repE0EEENS1_30default_config_static_selectorELNS0_4arch9wavefront6targetE1EEEvT1_, .Lfunc_end2611-_ZN7rocprim17ROCPRIM_400000_NS6detail17trampoline_kernelINS0_14default_configENS1_25partition_config_selectorILNS1_17partition_subalgoE0ExNS0_10empty_typeEbEEZZNS1_14partition_implILS5_0ELb0ES3_jN6thrust23THRUST_200600_302600_NS6detail15normal_iteratorINSA_10device_ptrIxEEEEPS6_SG_NS0_5tupleIJNSA_16discard_iteratorINSA_11use_defaultEEESK_EEENSH_IJSG_SG_EEES6_PlJ7is_evenIxEEEE10hipError_tPvRmT3_T4_T5_T6_T7_T9_mT8_P12ihipStream_tbDpT10_ENKUlT_T0_E_clISt17integral_constantIbLb0EES18_IbLb1EEEEDaS14_S15_EUlS14_E_NS1_11comp_targetILNS1_3genE0ELNS1_11target_archE4294967295ELNS1_3gpuE0ELNS1_3repE0EEENS1_30default_config_static_selectorELNS0_4arch9wavefront6targetE1EEEvT1_
                                        ; -- End function
	.section	.AMDGPU.csdata,"",@progbits
; Kernel info:
; codeLenInByte = 0
; NumSgprs: 6
; NumVgprs: 0
; NumAgprs: 0
; TotalNumVgprs: 0
; ScratchSize: 0
; MemoryBound: 0
; FloatMode: 240
; IeeeMode: 1
; LDSByteSize: 0 bytes/workgroup (compile time only)
; SGPRBlocks: 0
; VGPRBlocks: 0
; NumSGPRsForWavesPerEU: 6
; NumVGPRsForWavesPerEU: 1
; AccumOffset: 4
; Occupancy: 8
; WaveLimiterHint : 0
; COMPUTE_PGM_RSRC2:SCRATCH_EN: 0
; COMPUTE_PGM_RSRC2:USER_SGPR: 2
; COMPUTE_PGM_RSRC2:TRAP_HANDLER: 0
; COMPUTE_PGM_RSRC2:TGID_X_EN: 1
; COMPUTE_PGM_RSRC2:TGID_Y_EN: 0
; COMPUTE_PGM_RSRC2:TGID_Z_EN: 0
; COMPUTE_PGM_RSRC2:TIDIG_COMP_CNT: 0
; COMPUTE_PGM_RSRC3_GFX90A:ACCUM_OFFSET: 0
; COMPUTE_PGM_RSRC3_GFX90A:TG_SPLIT: 0
	.section	.text._ZN7rocprim17ROCPRIM_400000_NS6detail17trampoline_kernelINS0_14default_configENS1_25partition_config_selectorILNS1_17partition_subalgoE0ExNS0_10empty_typeEbEEZZNS1_14partition_implILS5_0ELb0ES3_jN6thrust23THRUST_200600_302600_NS6detail15normal_iteratorINSA_10device_ptrIxEEEEPS6_SG_NS0_5tupleIJNSA_16discard_iteratorINSA_11use_defaultEEESK_EEENSH_IJSG_SG_EEES6_PlJ7is_evenIxEEEE10hipError_tPvRmT3_T4_T5_T6_T7_T9_mT8_P12ihipStream_tbDpT10_ENKUlT_T0_E_clISt17integral_constantIbLb0EES18_IbLb1EEEEDaS14_S15_EUlS14_E_NS1_11comp_targetILNS1_3genE5ELNS1_11target_archE942ELNS1_3gpuE9ELNS1_3repE0EEENS1_30default_config_static_selectorELNS0_4arch9wavefront6targetE1EEEvT1_,"axG",@progbits,_ZN7rocprim17ROCPRIM_400000_NS6detail17trampoline_kernelINS0_14default_configENS1_25partition_config_selectorILNS1_17partition_subalgoE0ExNS0_10empty_typeEbEEZZNS1_14partition_implILS5_0ELb0ES3_jN6thrust23THRUST_200600_302600_NS6detail15normal_iteratorINSA_10device_ptrIxEEEEPS6_SG_NS0_5tupleIJNSA_16discard_iteratorINSA_11use_defaultEEESK_EEENSH_IJSG_SG_EEES6_PlJ7is_evenIxEEEE10hipError_tPvRmT3_T4_T5_T6_T7_T9_mT8_P12ihipStream_tbDpT10_ENKUlT_T0_E_clISt17integral_constantIbLb0EES18_IbLb1EEEEDaS14_S15_EUlS14_E_NS1_11comp_targetILNS1_3genE5ELNS1_11target_archE942ELNS1_3gpuE9ELNS1_3repE0EEENS1_30default_config_static_selectorELNS0_4arch9wavefront6targetE1EEEvT1_,comdat
	.protected	_ZN7rocprim17ROCPRIM_400000_NS6detail17trampoline_kernelINS0_14default_configENS1_25partition_config_selectorILNS1_17partition_subalgoE0ExNS0_10empty_typeEbEEZZNS1_14partition_implILS5_0ELb0ES3_jN6thrust23THRUST_200600_302600_NS6detail15normal_iteratorINSA_10device_ptrIxEEEEPS6_SG_NS0_5tupleIJNSA_16discard_iteratorINSA_11use_defaultEEESK_EEENSH_IJSG_SG_EEES6_PlJ7is_evenIxEEEE10hipError_tPvRmT3_T4_T5_T6_T7_T9_mT8_P12ihipStream_tbDpT10_ENKUlT_T0_E_clISt17integral_constantIbLb0EES18_IbLb1EEEEDaS14_S15_EUlS14_E_NS1_11comp_targetILNS1_3genE5ELNS1_11target_archE942ELNS1_3gpuE9ELNS1_3repE0EEENS1_30default_config_static_selectorELNS0_4arch9wavefront6targetE1EEEvT1_ ; -- Begin function _ZN7rocprim17ROCPRIM_400000_NS6detail17trampoline_kernelINS0_14default_configENS1_25partition_config_selectorILNS1_17partition_subalgoE0ExNS0_10empty_typeEbEEZZNS1_14partition_implILS5_0ELb0ES3_jN6thrust23THRUST_200600_302600_NS6detail15normal_iteratorINSA_10device_ptrIxEEEEPS6_SG_NS0_5tupleIJNSA_16discard_iteratorINSA_11use_defaultEEESK_EEENSH_IJSG_SG_EEES6_PlJ7is_evenIxEEEE10hipError_tPvRmT3_T4_T5_T6_T7_T9_mT8_P12ihipStream_tbDpT10_ENKUlT_T0_E_clISt17integral_constantIbLb0EES18_IbLb1EEEEDaS14_S15_EUlS14_E_NS1_11comp_targetILNS1_3genE5ELNS1_11target_archE942ELNS1_3gpuE9ELNS1_3repE0EEENS1_30default_config_static_selectorELNS0_4arch9wavefront6targetE1EEEvT1_
	.globl	_ZN7rocprim17ROCPRIM_400000_NS6detail17trampoline_kernelINS0_14default_configENS1_25partition_config_selectorILNS1_17partition_subalgoE0ExNS0_10empty_typeEbEEZZNS1_14partition_implILS5_0ELb0ES3_jN6thrust23THRUST_200600_302600_NS6detail15normal_iteratorINSA_10device_ptrIxEEEEPS6_SG_NS0_5tupleIJNSA_16discard_iteratorINSA_11use_defaultEEESK_EEENSH_IJSG_SG_EEES6_PlJ7is_evenIxEEEE10hipError_tPvRmT3_T4_T5_T6_T7_T9_mT8_P12ihipStream_tbDpT10_ENKUlT_T0_E_clISt17integral_constantIbLb0EES18_IbLb1EEEEDaS14_S15_EUlS14_E_NS1_11comp_targetILNS1_3genE5ELNS1_11target_archE942ELNS1_3gpuE9ELNS1_3repE0EEENS1_30default_config_static_selectorELNS0_4arch9wavefront6targetE1EEEvT1_
	.p2align	8
	.type	_ZN7rocprim17ROCPRIM_400000_NS6detail17trampoline_kernelINS0_14default_configENS1_25partition_config_selectorILNS1_17partition_subalgoE0ExNS0_10empty_typeEbEEZZNS1_14partition_implILS5_0ELb0ES3_jN6thrust23THRUST_200600_302600_NS6detail15normal_iteratorINSA_10device_ptrIxEEEEPS6_SG_NS0_5tupleIJNSA_16discard_iteratorINSA_11use_defaultEEESK_EEENSH_IJSG_SG_EEES6_PlJ7is_evenIxEEEE10hipError_tPvRmT3_T4_T5_T6_T7_T9_mT8_P12ihipStream_tbDpT10_ENKUlT_T0_E_clISt17integral_constantIbLb0EES18_IbLb1EEEEDaS14_S15_EUlS14_E_NS1_11comp_targetILNS1_3genE5ELNS1_11target_archE942ELNS1_3gpuE9ELNS1_3repE0EEENS1_30default_config_static_selectorELNS0_4arch9wavefront6targetE1EEEvT1_,@function
_ZN7rocprim17ROCPRIM_400000_NS6detail17trampoline_kernelINS0_14default_configENS1_25partition_config_selectorILNS1_17partition_subalgoE0ExNS0_10empty_typeEbEEZZNS1_14partition_implILS5_0ELb0ES3_jN6thrust23THRUST_200600_302600_NS6detail15normal_iteratorINSA_10device_ptrIxEEEEPS6_SG_NS0_5tupleIJNSA_16discard_iteratorINSA_11use_defaultEEESK_EEENSH_IJSG_SG_EEES6_PlJ7is_evenIxEEEE10hipError_tPvRmT3_T4_T5_T6_T7_T9_mT8_P12ihipStream_tbDpT10_ENKUlT_T0_E_clISt17integral_constantIbLb0EES18_IbLb1EEEEDaS14_S15_EUlS14_E_NS1_11comp_targetILNS1_3genE5ELNS1_11target_archE942ELNS1_3gpuE9ELNS1_3repE0EEENS1_30default_config_static_selectorELNS0_4arch9wavefront6targetE1EEEvT1_: ; @_ZN7rocprim17ROCPRIM_400000_NS6detail17trampoline_kernelINS0_14default_configENS1_25partition_config_selectorILNS1_17partition_subalgoE0ExNS0_10empty_typeEbEEZZNS1_14partition_implILS5_0ELb0ES3_jN6thrust23THRUST_200600_302600_NS6detail15normal_iteratorINSA_10device_ptrIxEEEEPS6_SG_NS0_5tupleIJNSA_16discard_iteratorINSA_11use_defaultEEESK_EEENSH_IJSG_SG_EEES6_PlJ7is_evenIxEEEE10hipError_tPvRmT3_T4_T5_T6_T7_T9_mT8_P12ihipStream_tbDpT10_ENKUlT_T0_E_clISt17integral_constantIbLb0EES18_IbLb1EEEEDaS14_S15_EUlS14_E_NS1_11comp_targetILNS1_3genE5ELNS1_11target_archE942ELNS1_3gpuE9ELNS1_3repE0EEENS1_30default_config_static_selectorELNS0_4arch9wavefront6targetE1EEEvT1_
; %bb.0:
	s_load_dwordx2 s[2:3], s[0:1], 0x68
	s_load_dwordx4 s[20:23], s[0:1], 0x58
	s_load_dwordx2 s[24:25], s[0:1], 0x78
	v_cmp_eq_u32_e64 s[18:19], 0, v0
	s_and_saveexec_b64 s[4:5], s[18:19]
	s_cbranch_execz .LBB2612_4
; %bb.1:
	s_mov_b64 s[8:9], exec
	v_mbcnt_lo_u32_b32 v1, s8, 0
	v_mbcnt_hi_u32_b32 v1, s9, v1
	v_cmp_eq_u32_e32 vcc, 0, v1
                                        ; implicit-def: $vgpr2
	s_and_saveexec_b64 s[6:7], vcc
	s_cbranch_execz .LBB2612_3
; %bb.2:
	s_load_dwordx2 s[10:11], s[0:1], 0x88
	s_bcnt1_i32_b64 s8, s[8:9]
	v_mov_b32_e32 v2, 0
	v_mov_b32_e32 v3, s8
	s_waitcnt lgkmcnt(0)
	global_atomic_add v2, v2, v3, s[10:11] sc0
.LBB2612_3:
	s_or_b64 exec, exec, s[6:7]
	s_waitcnt vmcnt(0)
	v_readfirstlane_b32 s6, v2
	v_mov_b32_e32 v2, 0
	s_nop 0
	v_add_u32_e32 v1, s6, v1
	ds_write_b32 v2, v1
.LBB2612_4:
	s_or_b64 exec, exec, s[4:5]
	v_mov_b32_e32 v21, 0
	s_load_dwordx4 s[4:7], s[0:1], 0x8
	s_load_dword s8, s[0:1], 0x80
	s_waitcnt lgkmcnt(0)
	s_barrier
	ds_read_b32 v1, v21
	s_waitcnt lgkmcnt(0)
	s_barrier
	global_load_dwordx2 v[18:19], v21, s[22:23]
	s_lshl_b64 s[0:1], s[6:7], 3
	s_add_u32 s10, s4, s0
	s_movk_i32 s0, 0xe00
	v_mul_lo_u32 v20, v1, s0
	s_mul_i32 s0, s8, 0xe00
	s_addc_u32 s11, s5, s1
	s_add_i32 s1, s0, s6
	v_mov_b32_e32 v3, s3
	s_add_i32 s3, s8, -1
	s_sub_i32 s4, s2, s1
	s_add_u32 s0, s6, s0
	v_readfirstlane_b32 s30, v1
	s_addc_u32 s1, s7, 0
	s_cmp_eq_u32 s30, s3
	v_mov_b32_e32 v2, s2
	s_cselect_b64 s[22:23], -1, 0
	s_cmp_lg_u32 s30, s3
	v_cmp_lt_u64_e32 vcc, s[0:1], v[2:3]
	s_cselect_b64 s[0:1], -1, 0
	s_or_b64 s[0:1], vcc, s[0:1]
	v_lshlrev_b64 v[2:3], 3, v[20:21]
	v_lshl_add_u64 v[22:23], s[10:11], 0, v[2:3]
	s_mov_b64 s[2:3], -1
	s_and_b64 vcc, exec, s[0:1]
	v_lshlrev_b32_e32 v20, 3, v0
	s_cbranch_vccz .LBB2612_6
; %bb.5:
	v_lshl_add_u64 v[2:3], v[22:23], 0, v[20:21]
	v_add_co_u32_e32 v4, vcc, 0x1000, v2
	s_mov_b64 s[2:3], 0
	s_nop 0
	v_addc_co_u32_e32 v5, vcc, 0, v3, vcc
	v_add_co_u32_e32 v6, vcc, 0x2000, v2
	s_nop 1
	v_addc_co_u32_e32 v7, vcc, 0, v3, vcc
	v_add_co_u32_e32 v8, vcc, 0x3000, v2
	s_nop 1
	v_addc_co_u32_e32 v9, vcc, 0, v3, vcc
	flat_load_dwordx2 v[10:11], v[2:3]
	flat_load_dwordx2 v[12:13], v[4:5]
	;; [unrolled: 1-line block ×4, first 2 shown]
	v_add_co_u32_e32 v4, vcc, 0x4000, v2
	s_nop 1
	v_addc_co_u32_e32 v5, vcc, 0, v3, vcc
	v_add_co_u32_e32 v6, vcc, 0x5000, v2
	s_nop 1
	v_addc_co_u32_e32 v7, vcc, 0, v3, vcc
	;; [unrolled: 3-line block ×3, first 2 shown]
	flat_load_dwordx2 v[8:9], v[4:5]
	flat_load_dwordx2 v[24:25], v[6:7]
	;; [unrolled: 1-line block ×3, first 2 shown]
	s_waitcnt vmcnt(0) lgkmcnt(0)
	ds_write2st64_b64 v20, v[10:11], v[12:13] offset1:8
	ds_write2st64_b64 v20, v[14:15], v[16:17] offset0:16 offset1:24
	ds_write2st64_b64 v20, v[8:9], v[24:25] offset0:32 offset1:40
	ds_write_b64 v20, v[26:27] offset:24576
	s_waitcnt lgkmcnt(0)
	s_barrier
.LBB2612_6:
	s_andn2_b64 vcc, exec, s[2:3]
	s_addk_i32 s4, 0xe00
	s_cbranch_vccnz .LBB2612_22
; %bb.7:
	v_cmp_gt_u32_e32 vcc, s4, v0
                                        ; implicit-def: $vgpr2_vgpr3_vgpr4_vgpr5_vgpr6_vgpr7_vgpr8_vgpr9_vgpr10_vgpr11_vgpr12_vgpr13_vgpr14_vgpr15_vgpr16_vgpr17
	s_and_saveexec_b64 s[2:3], vcc
	s_cbranch_execz .LBB2612_9
; %bb.8:
	v_mov_b32_e32 v21, 0
	v_lshl_add_u64 v[2:3], v[22:23], 0, v[20:21]
	flat_load_dwordx2 v[2:3], v[2:3]
.LBB2612_9:
	s_or_b64 exec, exec, s[2:3]
	v_or_b32_e32 v1, 0x200, v0
	v_cmp_gt_u32_e32 vcc, s4, v1
	s_and_saveexec_b64 s[2:3], vcc
	s_cbranch_execz .LBB2612_11
; %bb.10:
	v_lshlrev_b32_e32 v4, 3, v1
	v_mov_b32_e32 v5, 0
	v_lshl_add_u64 v[4:5], v[22:23], 0, v[4:5]
	flat_load_dwordx2 v[4:5], v[4:5]
.LBB2612_11:
	s_or_b64 exec, exec, s[2:3]
	v_or_b32_e32 v1, 0x400, v0
	v_cmp_gt_u32_e32 vcc, s4, v1
	s_and_saveexec_b64 s[2:3], vcc
	s_cbranch_execz .LBB2612_13
; %bb.12:
	v_lshlrev_b32_e32 v6, 3, v1
	v_mov_b32_e32 v7, 0
	v_lshl_add_u64 v[6:7], v[22:23], 0, v[6:7]
	flat_load_dwordx2 v[6:7], v[6:7]
.LBB2612_13:
	;; [unrolled: 11-line block ×6, first 2 shown]
	s_or_b64 exec, exec, s[2:3]
	s_waitcnt vmcnt(0) lgkmcnt(0)
	ds_write2st64_b64 v20, v[2:3], v[4:5] offset1:8
	ds_write2st64_b64 v20, v[6:7], v[8:9] offset0:16 offset1:24
	ds_write2st64_b64 v20, v[10:11], v[12:13] offset0:32 offset1:40
	ds_write_b64 v20, v[14:15] offset:24576
	s_waitcnt lgkmcnt(0)
	s_barrier
.LBB2612_22:
	v_mul_u32_u24_e32 v1, 7, v0
	v_lshlrev_b32_e32 v33, 3, v1
	ds_read2_b64 v[10:13], v33 offset1:1
	ds_read2_b64 v[6:9], v33 offset0:2 offset1:3
	ds_read2_b64 v[2:5], v33 offset0:4 offset1:5
	ds_read_b64 v[14:15], v33 offset:48
	s_andn2_b64 vcc, exec, s[0:1]
	s_waitcnt lgkmcnt(3)
	v_xor_b32_e32 v24, -1, v10
	v_xor_b32_e32 v23, -1, v12
	s_waitcnt lgkmcnt(2)
	v_xor_b32_e32 v22, -1, v6
	v_xor_b32_e32 v21, -1, v8
	;; [unrolled: 3-line block ×3, first 2 shown]
	s_waitcnt lgkmcnt(0)
	v_xor_b32_e32 v16, -1, v14
	s_barrier
	s_cbranch_vccnz .LBB2612_24
; %bb.23:
	v_mov_b32_e32 v26, 1
	v_and_b32_e32 v25, 1, v24
	v_and_b32_sdwa v27, v23, v26 dst_sel:BYTE_1 dst_unused:UNUSED_PAD src0_sel:DWORD src1_sel:DWORD
	v_and_b32_e32 v31, 1, v22
	v_and_b32_sdwa v26, v21, v26 dst_sel:BYTE_1 dst_unused:UNUSED_PAD src0_sel:DWORD src1_sel:DWORD
	v_or_b32_e32 v25, v25, v27
	v_or_b32_sdwa v26, v31, v26 dst_sel:WORD_1 dst_unused:UNUSED_PAD src0_sel:DWORD src1_sel:DWORD
	v_and_b32_e32 v30, 1, v20
	v_and_b32_e32 v29, 1, v17
	;; [unrolled: 1-line block ×3, first 2 shown]
	v_or_b32_sdwa v31, v25, v26 dst_sel:DWORD dst_unused:UNUSED_PAD src0_sel:WORD_0 src1_sel:DWORD
	s_cbranch_execz .LBB2612_25
	s_branch .LBB2612_26
.LBB2612_24:
                                        ; implicit-def: $vgpr28
                                        ; implicit-def: $vgpr29
                                        ; implicit-def: $vgpr30
                                        ; implicit-def: $vgpr31
.LBB2612_25:
	v_add_u32_e32 v25, 1, v1
	v_cmp_gt_u32_e32 vcc, s4, v1
	v_add_u32_e32 v26, 2, v1
	v_add_u32_e32 v27, 3, v1
	v_cndmask_b32_e64 v30, 0, 1, vcc
	v_cmp_gt_u32_e32 vcc, s4, v25
	v_add_u32_e32 v28, 4, v1
	v_add_u32_e32 v29, 5, v1
	v_cndmask_b32_e64 v25, 0, 1, vcc
	v_cmp_gt_u32_e32 vcc, s4, v26
	v_and_b32_sdwa v23, v25, v23 dst_sel:BYTE_1 dst_unused:UNUSED_PAD src0_sel:DWORD src1_sel:DWORD
	v_add_u32_e32 v31, 6, v1
	v_cndmask_b32_e64 v25, 0, 1, vcc
	v_cmp_gt_u32_e32 vcc, s4, v27
	v_and_b32_e32 v22, v25, v22
	v_and_b32_e32 v24, v30, v24
	v_cndmask_b32_e64 v25, 0, 1, vcc
	v_cmp_gt_u32_e32 vcc, s4, v28
	v_and_b32_sdwa v21, v25, v21 dst_sel:BYTE_1 dst_unused:UNUSED_PAD src0_sel:DWORD src1_sel:DWORD
	s_nop 0
	v_cndmask_b32_e64 v25, 0, 1, vcc
	v_cmp_gt_u32_e32 vcc, s4, v29
	v_and_b32_e32 v30, v25, v20
	s_nop 0
	v_cndmask_b32_e64 v20, 0, 1, vcc
	v_cmp_gt_u32_e32 vcc, s4, v31
	v_and_b32_e32 v29, v20, v17
	s_nop 0
	v_cndmask_b32_e64 v17, 0, 1, vcc
	v_and_b32_e32 v28, v17, v16
	v_or_b32_e32 v16, v24, v23
	v_or_b32_sdwa v17, v22, v21 dst_sel:WORD_1 dst_unused:UNUSED_PAD src0_sel:DWORD src1_sel:DWORD
	s_nop 0
	v_or_b32_sdwa v31, v16, v17 dst_sel:DWORD dst_unused:UNUSED_PAD src0_sel:WORD_0 src1_sel:DWORD
.LBB2612_26:
	v_and_b32_e32 v34, 0xff, v31
	v_bfe_u32 v35, v31, 8, 8
	v_bfe_u32 v36, v31, 16, 8
	v_lshrrev_b32_e32 v32, 24, v31
	v_and_b32_e32 v37, 0xff, v30
	v_add3_u32 v17, v35, v34, v36
	v_and_b32_e32 v38, 0xff, v29
	v_and_b32_e32 v16, 0xff, v28
	v_add3_u32 v17, v17, v32, v37
	v_add3_u32 v41, v17, v38, v16
	v_mbcnt_lo_u32_b32 v16, -1, 0
	v_mbcnt_hi_u32_b32 v39, -1, v16
	v_and_b32_e32 v16, 15, v39
	v_cmp_eq_u32_e64 s[14:15], 0, v16
	v_cmp_lt_u32_e64 s[12:13], 1, v16
	v_cmp_lt_u32_e64 s[10:11], 3, v16
	;; [unrolled: 1-line block ×3, first 2 shown]
	v_and_b32_e32 v16, 16, v39
	v_cmp_eq_u32_e64 s[6:7], 0, v16
	v_or_b32_e32 v16, 63, v0
	s_cmp_lg_u32 s30, 0
	v_cmp_lt_u32_e64 s[2:3], 31, v39
	v_lshrrev_b32_e32 v40, 6, v0
	v_cmp_eq_u32_e64 s[4:5], v16, v0
	s_cbranch_scc0 .LBB2612_53
; %bb.27:
	v_mov_b32_dpp v16, v41 row_shr:1 row_mask:0xf bank_mask:0xf
	v_cndmask_b32_e64 v16, v16, 0, s[14:15]
	v_add_u32_e32 v16, v16, v41
	s_nop 1
	v_mov_b32_dpp v17, v16 row_shr:2 row_mask:0xf bank_mask:0xf
	v_cndmask_b32_e64 v17, 0, v17, s[12:13]
	v_add_u32_e32 v16, v16, v17
	s_nop 1
	;; [unrolled: 4-line block ×4, first 2 shown]
	v_mov_b32_dpp v17, v16 row_bcast:15 row_mask:0xf bank_mask:0xf
	v_cndmask_b32_e64 v17, v17, 0, s[6:7]
	v_add_u32_e32 v16, v16, v17
	s_nop 1
	v_mov_b32_dpp v17, v16 row_bcast:31 row_mask:0xf bank_mask:0xf
	v_cndmask_b32_e64 v17, 0, v17, s[2:3]
	v_add_u32_e32 v16, v16, v17
	s_and_saveexec_b64 s[0:1], s[4:5]
	s_cbranch_execz .LBB2612_29
; %bb.28:
	v_lshlrev_b32_e32 v17, 2, v40
	ds_write_b32 v17, v16
.LBB2612_29:
	s_or_b64 exec, exec, s[0:1]
	v_cmp_gt_u32_e32 vcc, 8, v0
	s_waitcnt lgkmcnt(0)
	s_barrier
	s_and_saveexec_b64 s[0:1], vcc
	s_cbranch_execz .LBB2612_31
; %bb.30:
	v_lshlrev_b32_e32 v17, 2, v0
	ds_read_b32 v20, v17
	v_and_b32_e32 v21, 7, v39
	v_cmp_ne_u32_e32 vcc, 0, v21
	s_waitcnt lgkmcnt(0)
	v_mov_b32_dpp v22, v20 row_shr:1 row_mask:0xf bank_mask:0xf
	v_cndmask_b32_e32 v22, 0, v22, vcc
	v_add_u32_e32 v20, v22, v20
	v_cmp_lt_u32_e32 vcc, 1, v21
	s_nop 0
	v_mov_b32_dpp v22, v20 row_shr:2 row_mask:0xf bank_mask:0xf
	v_cndmask_b32_e32 v22, 0, v22, vcc
	v_add_u32_e32 v20, v20, v22
	v_cmp_lt_u32_e32 vcc, 3, v21
	s_nop 0
	v_mov_b32_dpp v22, v20 row_shr:4 row_mask:0xf bank_mask:0xf
	v_cndmask_b32_e32 v21, 0, v22, vcc
	v_add_u32_e32 v20, v20, v21
	ds_write_b32 v17, v20
.LBB2612_31:
	s_or_b64 exec, exec, s[0:1]
	v_cmp_gt_u32_e32 vcc, 64, v0
	v_cmp_lt_u32_e64 s[0:1], 63, v0
	s_waitcnt lgkmcnt(0)
	s_barrier
	s_waitcnt lgkmcnt(0)
                                        ; implicit-def: $vgpr42
	s_and_saveexec_b64 s[16:17], s[0:1]
	s_cbranch_execz .LBB2612_33
; %bb.32:
	v_lshl_add_u32 v17, v40, 2, -4
	ds_read_b32 v42, v17
	s_waitcnt lgkmcnt(0)
	v_add_u32_e32 v16, v42, v16
.LBB2612_33:
	s_or_b64 exec, exec, s[16:17]
	v_add_u32_e32 v17, -1, v39
	v_and_b32_e32 v20, 64, v39
	v_cmp_lt_i32_e64 s[0:1], v17, v20
	v_cmp_eq_u32_e64 s[16:17], 0, v39
	s_nop 0
	v_cndmask_b32_e64 v17, v17, v39, s[0:1]
	v_lshlrev_b32_e32 v17, 2, v17
	ds_bpermute_b32 v43, v17, v16
	s_and_saveexec_b64 s[0:1], vcc
	s_cbranch_execz .LBB2612_52
; %bb.34:
	v_mov_b32_e32 v25, 0
	ds_read_b32 v16, v25 offset:28
	s_and_saveexec_b64 s[26:27], s[16:17]
	s_cbranch_execz .LBB2612_36
; %bb.35:
	s_add_i32 s28, s30, 64
	s_mov_b32 s29, 0
	s_lshl_b64 s[28:29], s[28:29], 3
	s_add_u32 s28, s24, s28
	v_mov_b32_e32 v17, 1
	s_addc_u32 s29, s25, s29
	s_waitcnt lgkmcnt(0)
	global_store_dwordx2 v25, v[16:17], s[28:29] sc1
.LBB2612_36:
	s_or_b64 exec, exec, s[26:27]
	v_xad_u32 v20, v39, -1, s30
	v_add_u32_e32 v24, 64, v20
	v_lshl_add_u64 v[26:27], v[24:25], 3, s[24:25]
	global_load_dwordx2 v[22:23], v[26:27], off sc1
	s_waitcnt vmcnt(0)
	v_cmp_eq_u16_sdwa s[28:29], v23, v25 src0_sel:BYTE_0 src1_sel:DWORD
	s_and_saveexec_b64 s[26:27], s[28:29]
	s_cbranch_execz .LBB2612_40
; %bb.37:
	s_mov_b64 s[28:29], 0
	v_mov_b32_e32 v17, 0
.LBB2612_38:                            ; =>This Inner Loop Header: Depth=1
	global_load_dwordx2 v[22:23], v[26:27], off sc1
	s_waitcnt vmcnt(0)
	v_cmp_ne_u16_sdwa s[34:35], v23, v17 src0_sel:BYTE_0 src1_sel:DWORD
	s_or_b64 s[28:29], s[34:35], s[28:29]
	s_andn2_b64 exec, exec, s[28:29]
	s_cbranch_execnz .LBB2612_38
; %bb.39:
	s_or_b64 exec, exec, s[28:29]
.LBB2612_40:
	s_or_b64 exec, exec, s[26:27]
	v_and_b32_e32 v45, 63, v39
	v_mov_b32_e32 v44, 2
	v_cmp_ne_u32_e32 vcc, 63, v45
	v_cmp_eq_u16_sdwa s[26:27], v23, v44 src0_sel:BYTE_0 src1_sel:DWORD
	v_lshlrev_b64 v[24:25], v39, -1
	v_addc_co_u32_e32 v26, vcc, 0, v39, vcc
	v_and_b32_e32 v17, s27, v25
	v_lshlrev_b32_e32 v46, 2, v26
	v_or_b32_e32 v17, 0x80000000, v17
	ds_bpermute_b32 v26, v46, v22
	v_and_b32_e32 v21, s26, v24
	v_ffbl_b32_e32 v17, v17
	v_add_u32_e32 v17, 32, v17
	v_ffbl_b32_e32 v21, v21
	v_min_u32_e32 v17, v21, v17
	v_cmp_lt_u32_e32 vcc, v45, v17
	v_add_u32_e32 v48, 2, v45
	v_add_u32_e32 v50, 4, v45
	s_waitcnt lgkmcnt(0)
	v_cndmask_b32_e32 v21, 0, v26, vcc
	v_cmp_gt_u32_e32 vcc, 62, v45
	v_add_u32_e32 v21, v21, v22
	v_add_u32_e32 v52, 8, v45
	v_cndmask_b32_e64 v22, 0, 1, vcc
	v_lshlrev_b32_e32 v22, 1, v22
	v_add_lshl_u32 v47, v22, v39, 2
	ds_bpermute_b32 v22, v47, v21
	v_cmp_le_u32_e32 vcc, v48, v17
	v_add_u32_e32 v54, 16, v45
	v_add_u32_e32 v56, 32, v45
	s_waitcnt lgkmcnt(0)
	v_cndmask_b32_e32 v22, 0, v22, vcc
	v_cmp_gt_u32_e32 vcc, 60, v45
	v_add_u32_e32 v21, v21, v22
	s_nop 0
	v_cndmask_b32_e64 v22, 0, 1, vcc
	v_lshlrev_b32_e32 v22, 2, v22
	v_add_lshl_u32 v49, v22, v39, 2
	ds_bpermute_b32 v22, v49, v21
	v_cmp_le_u32_e32 vcc, v50, v17
	s_waitcnt lgkmcnt(0)
	s_nop 0
	v_cndmask_b32_e32 v22, 0, v22, vcc
	v_cmp_gt_u32_e32 vcc, 56, v45
	v_add_u32_e32 v21, v21, v22
	s_nop 0
	v_cndmask_b32_e64 v22, 0, 1, vcc
	v_lshlrev_b32_e32 v22, 3, v22
	v_add_lshl_u32 v51, v22, v39, 2
	ds_bpermute_b32 v22, v51, v21
	v_cmp_le_u32_e32 vcc, v52, v17
	s_waitcnt lgkmcnt(0)
	s_nop 0
	;; [unrolled: 11-line block ×4, first 2 shown]
	v_cndmask_b32_e32 v17, 0, v22, vcc
	v_add_u32_e32 v22, v21, v17
	v_mov_b32_e32 v21, 0
	s_branch .LBB2612_42
.LBB2612_41:                            ;   in Loop: Header=BB2612_42 Depth=1
	s_or_b64 exec, exec, s[26:27]
	v_cmp_eq_u16_sdwa s[26:27], v23, v44 src0_sel:BYTE_0 src1_sel:DWORD
	ds_bpermute_b32 v57, v46, v22
	v_subrev_u32_e32 v20, 64, v20
	v_and_b32_e32 v26, s27, v25
	v_or_b32_e32 v26, 0x80000000, v26
	v_and_b32_e32 v27, s26, v24
	v_ffbl_b32_e32 v26, v26
	v_add_u32_e32 v26, 32, v26
	v_ffbl_b32_e32 v27, v27
	v_min_u32_e32 v26, v27, v26
	v_cmp_lt_u32_e32 vcc, v45, v26
	s_waitcnt lgkmcnt(0)
	s_nop 0
	v_cndmask_b32_e32 v27, 0, v57, vcc
	v_add_u32_e32 v22, v27, v22
	ds_bpermute_b32 v27, v47, v22
	v_cmp_le_u32_e32 vcc, v48, v26
	s_waitcnt lgkmcnt(0)
	s_nop 0
	v_cndmask_b32_e32 v27, 0, v27, vcc
	v_add_u32_e32 v22, v22, v27
	ds_bpermute_b32 v27, v49, v22
	v_cmp_le_u32_e32 vcc, v50, v26
	;; [unrolled: 6-line block ×5, first 2 shown]
	s_waitcnt lgkmcnt(0)
	s_nop 0
	v_cndmask_b32_e32 v26, 0, v27, vcc
	v_add3_u32 v22, v26, v17, v22
.LBB2612_42:                            ; =>This Loop Header: Depth=1
                                        ;     Child Loop BB2612_45 Depth 2
	v_cmp_ne_u16_sdwa s[26:27], v23, v44 src0_sel:BYTE_0 src1_sel:DWORD
	s_nop 1
	v_cndmask_b32_e64 v17, 0, 1, s[26:27]
	;;#ASMSTART
	;;#ASMEND
	s_nop 0
	v_cmp_ne_u32_e32 vcc, 0, v17
	s_cmp_lg_u64 vcc, exec
	v_mov_b32_e32 v17, v22
	s_cbranch_scc1 .LBB2612_47
; %bb.43:                               ;   in Loop: Header=BB2612_42 Depth=1
	v_lshl_add_u64 v[26:27], v[20:21], 3, s[24:25]
	global_load_dwordx2 v[22:23], v[26:27], off sc1
	s_waitcnt vmcnt(0)
	v_cmp_eq_u16_sdwa s[28:29], v23, v21 src0_sel:BYTE_0 src1_sel:DWORD
	s_and_saveexec_b64 s[26:27], s[28:29]
	s_cbranch_execz .LBB2612_41
; %bb.44:                               ;   in Loop: Header=BB2612_42 Depth=1
	s_mov_b64 s[28:29], 0
.LBB2612_45:                            ;   Parent Loop BB2612_42 Depth=1
                                        ; =>  This Inner Loop Header: Depth=2
	global_load_dwordx2 v[22:23], v[26:27], off sc1
	s_waitcnt vmcnt(0)
	v_cmp_ne_u16_sdwa s[34:35], v23, v21 src0_sel:BYTE_0 src1_sel:DWORD
	s_or_b64 s[28:29], s[34:35], s[28:29]
	s_andn2_b64 exec, exec, s[28:29]
	s_cbranch_execnz .LBB2612_45
; %bb.46:                               ;   in Loop: Header=BB2612_42 Depth=1
	s_or_b64 exec, exec, s[28:29]
	s_branch .LBB2612_41
.LBB2612_47:                            ;   in Loop: Header=BB2612_42 Depth=1
                                        ; implicit-def: $vgpr22
                                        ; implicit-def: $vgpr23
	s_cbranch_execz .LBB2612_42
; %bb.48:
	s_and_saveexec_b64 s[26:27], s[16:17]
	s_cbranch_execz .LBB2612_50
; %bb.49:
	s_add_i32 s28, s30, 64
	s_mov_b32 s29, 0
	s_lshl_b64 s[28:29], s[28:29], 3
	s_add_u32 s28, s24, s28
	v_add_u32_e32 v20, v17, v16
	v_mov_b32_e32 v21, 2
	s_addc_u32 s29, s25, s29
	v_mov_b32_e32 v22, 0
	global_store_dwordx2 v22, v[20:21], s[28:29] sc1
	ds_write_b64 v22, v[16:17] offset:28672
.LBB2612_50:
	s_or_b64 exec, exec, s[26:27]
	s_and_b64 exec, exec, s[18:19]
	s_cbranch_execz .LBB2612_52
; %bb.51:
	v_mov_b32_e32 v16, 0
	ds_write_b32 v16, v17 offset:28
.LBB2612_52:
	s_or_b64 exec, exec, s[0:1]
	v_mov_b32_e32 v16, 0
	s_waitcnt lgkmcnt(0)
	s_barrier
	ds_read_b32 v17, v16 offset:28
	v_cndmask_b32_e64 v20, v43, v42, s[16:17]
	v_cndmask_b32_e64 v20, v20, 0, s[18:19]
	s_waitcnt lgkmcnt(0)
	s_barrier
	v_add_u32_e32 v26, v17, v20
	v_add_u32_e32 v25, v26, v34
	;; [unrolled: 1-line block ×3, first 2 shown]
	ds_read_b64 v[16:17], v16 offset:28672
	v_add_u32_e32 v23, v24, v36
	v_add_u32_e32 v22, v23, v32
	;; [unrolled: 1-line block ×4, first 2 shown]
	s_branch .LBB2612_63
.LBB2612_53:
                                        ; implicit-def: $vgpr17
                                        ; implicit-def: $vgpr20
                                        ; implicit-def: $vgpr21
                                        ; implicit-def: $vgpr22
                                        ; implicit-def: $vgpr23
                                        ; implicit-def: $vgpr24
                                        ; implicit-def: $vgpr25
                                        ; implicit-def: $vgpr26
	s_cbranch_execz .LBB2612_63
; %bb.54:
	s_waitcnt lgkmcnt(0)
	v_mov_b32_dpp v16, v41 row_shr:1 row_mask:0xf bank_mask:0xf
	v_cndmask_b32_e64 v16, v16, 0, s[14:15]
	v_add_u32_e32 v16, v16, v41
	s_nop 1
	v_mov_b32_dpp v17, v16 row_shr:2 row_mask:0xf bank_mask:0xf
	v_cndmask_b32_e64 v17, 0, v17, s[12:13]
	v_add_u32_e32 v16, v16, v17
	s_nop 1
	;; [unrolled: 4-line block ×4, first 2 shown]
	v_mov_b32_dpp v17, v16 row_bcast:15 row_mask:0xf bank_mask:0xf
	v_cndmask_b32_e64 v17, v17, 0, s[6:7]
	v_add_u32_e32 v16, v16, v17
	s_nop 1
	v_mov_b32_dpp v17, v16 row_bcast:31 row_mask:0xf bank_mask:0xf
	v_cndmask_b32_e64 v17, 0, v17, s[2:3]
	v_add_u32_e32 v16, v16, v17
	s_and_saveexec_b64 s[0:1], s[4:5]
	s_cbranch_execz .LBB2612_56
; %bb.55:
	v_lshlrev_b32_e32 v17, 2, v40
	ds_write_b32 v17, v16
.LBB2612_56:
	s_or_b64 exec, exec, s[0:1]
	v_cmp_gt_u32_e32 vcc, 8, v0
	s_waitcnt lgkmcnt(0)
	s_barrier
	s_and_saveexec_b64 s[0:1], vcc
	s_cbranch_execz .LBB2612_58
; %bb.57:
	s_movk_i32 s2, 0xffcc
	v_mad_i32_i24 v17, v0, s2, v33
	ds_read_b32 v20, v17
	v_and_b32_e32 v21, 7, v39
	v_cmp_ne_u32_e32 vcc, 0, v21
	s_waitcnt lgkmcnt(0)
	v_mov_b32_dpp v22, v20 row_shr:1 row_mask:0xf bank_mask:0xf
	v_cndmask_b32_e32 v22, 0, v22, vcc
	v_add_u32_e32 v20, v22, v20
	v_cmp_lt_u32_e32 vcc, 1, v21
	s_nop 0
	v_mov_b32_dpp v22, v20 row_shr:2 row_mask:0xf bank_mask:0xf
	v_cndmask_b32_e32 v22, 0, v22, vcc
	v_add_u32_e32 v20, v20, v22
	v_cmp_lt_u32_e32 vcc, 3, v21
	s_nop 0
	v_mov_b32_dpp v22, v20 row_shr:4 row_mask:0xf bank_mask:0xf
	v_cndmask_b32_e32 v21, 0, v22, vcc
	v_add_u32_e32 v20, v20, v21
	ds_write_b32 v17, v20
.LBB2612_58:
	s_or_b64 exec, exec, s[0:1]
	v_cmp_lt_u32_e32 vcc, 63, v0
	v_mov_b32_e32 v17, 0
	v_mov_b32_e32 v0, 0
	s_waitcnt lgkmcnt(0)
	s_barrier
	s_and_saveexec_b64 s[0:1], vcc
	s_cbranch_execz .LBB2612_60
; %bb.59:
	v_lshl_add_u32 v0, v40, 2, -4
	ds_read_b32 v0, v0
.LBB2612_60:
	s_or_b64 exec, exec, s[0:1]
	v_add_u32_e32 v20, -1, v39
	v_and_b32_e32 v21, 64, v39
	v_cmp_lt_i32_e32 vcc, v20, v21
	s_waitcnt lgkmcnt(0)
	v_add_u32_e32 v16, v0, v16
	v_cndmask_b32_e32 v20, v20, v39, vcc
	v_lshlrev_b32_e32 v20, 2, v20
	ds_bpermute_b32 v20, v20, v16
	ds_read_b32 v16, v17 offset:28
	s_and_saveexec_b64 s[0:1], s[18:19]
	s_cbranch_execz .LBB2612_62
; %bb.61:
	v_mov_b32_e32 v21, 0
	v_mov_b32_e32 v17, 2
	s_waitcnt lgkmcnt(0)
	global_store_dwordx2 v21, v[16:17], s[24:25] offset:512 sc1
.LBB2612_62:
	s_or_b64 exec, exec, s[0:1]
	v_cmp_eq_u32_e32 vcc, 0, v39
	v_mov_b32_e32 v17, 0
	s_waitcnt lgkmcnt(0)
	v_cndmask_b32_e32 v0, v20, v0, vcc
	v_cndmask_b32_e64 v26, v0, 0, s[18:19]
	v_add_u32_e32 v25, v26, v34
	v_add_u32_e32 v24, v25, v35
	;; [unrolled: 1-line block ×6, first 2 shown]
	s_barrier
.LBB2612_63:
	s_waitcnt lgkmcnt(0)
	v_add_u32_e32 v1, v16, v1
	v_sub_u32_e32 v26, v26, v17
	v_and_b32_e32 v33, 1, v31
	v_sub_u32_e32 v27, v1, v26
	v_cmp_eq_u32_e32 vcc, 1, v33
	v_lshrrev_b32_e32 v0, 8, v31
	v_and_b32_e32 v0, 1, v0
	v_cndmask_b32_e32 v26, v27, v26, vcc
	v_lshlrev_b32_e32 v26, 3, v26
	ds_write_b64 v26, v[10:11]
	v_sub_u32_e32 v10, v25, v17
	v_sub_u32_e32 v11, v1, v10
	v_add_u32_e32 v11, 1, v11
	v_cmp_eq_u32_e32 vcc, 1, v0
	s_and_b64 s[0:1], s[18:19], s[22:23]
	s_nop 0
	v_cndmask_b32_e32 v0, v11, v10, vcc
	v_lshlrev_b32_e32 v0, 3, v0
	ds_write_b64 v0, v[12:13]
	v_sub_u32_e32 v0, v24, v17
	v_mov_b32_e32 v11, 1
	v_sub_u32_e32 v10, v1, v0
	v_and_b32_sdwa v11, v11, v31 dst_sel:DWORD dst_unused:UNUSED_PAD src0_sel:DWORD src1_sel:WORD_1
	v_add_u32_e32 v10, 2, v10
	v_cmp_eq_u32_e32 vcc, 1, v11
	s_nop 1
	v_cndmask_b32_e32 v0, v10, v0, vcc
	v_lshlrev_b32_e32 v0, 3, v0
	ds_write_b64 v0, v[6:7]
	v_sub_u32_e32 v0, v23, v17
	v_sub_u32_e32 v6, v1, v0
	v_and_b32_e32 v7, 1, v32
	v_add_u32_e32 v6, 3, v6
	v_cmp_eq_u32_e32 vcc, 1, v7
	v_and_b32_e32 v7, 1, v30
	s_nop 0
	v_cndmask_b32_e32 v0, v6, v0, vcc
	v_lshlrev_b32_e32 v0, 3, v0
	ds_write_b64 v0, v[8:9]
	v_sub_u32_e32 v0, v22, v17
	v_sub_u32_e32 v6, v1, v0
	v_add_u32_e32 v6, 4, v6
	v_cmp_eq_u32_e32 vcc, 1, v7
	s_nop 1
	v_cndmask_b32_e32 v0, v6, v0, vcc
	v_lshlrev_b32_e32 v0, 3, v0
	ds_write_b64 v0, v[2:3]
	v_sub_u32_e32 v0, v21, v17
	v_sub_u32_e32 v2, v1, v0
	v_and_b32_e32 v3, 1, v29
	v_add_u32_e32 v2, 5, v2
	v_cmp_eq_u32_e32 vcc, 1, v3
	s_nop 1
	v_cndmask_b32_e32 v0, v2, v0, vcc
	v_lshlrev_b32_e32 v0, 3, v0
	ds_write_b64 v0, v[4:5]
	v_sub_u32_e32 v0, v20, v17
	v_sub_u32_e32 v1, v1, v0
	v_and_b32_e32 v2, 1, v28
	v_add_u32_e32 v1, 6, v1
	v_cmp_eq_u32_e32 vcc, 1, v2
	s_nop 1
	v_cndmask_b32_e32 v0, v1, v0, vcc
	v_lshlrev_b32_e32 v0, 3, v0
	ds_write_b64 v0, v[14:15]
	s_waitcnt lgkmcnt(0)
	s_barrier
	s_and_saveexec_b64 s[2:3], s[0:1]
	s_cbranch_execz .LBB2612_65
; %bb.64:
	v_mov_b32_e32 v1, 0
	v_mov_b32_e32 v0, v16
	s_waitcnt vmcnt(0)
	v_lshl_add_u64 v[2:3], v[18:19], 0, v[0:1]
	v_mov_b32_e32 v0, v17
	v_lshl_add_u64 v[2:3], v[2:3], 0, v[0:1]
	global_store_dwordx2 v1, v[2:3], s[20:21]
.LBB2612_65:
	s_endpgm
	.section	.rodata,"a",@progbits
	.p2align	6, 0x0
	.amdhsa_kernel _ZN7rocprim17ROCPRIM_400000_NS6detail17trampoline_kernelINS0_14default_configENS1_25partition_config_selectorILNS1_17partition_subalgoE0ExNS0_10empty_typeEbEEZZNS1_14partition_implILS5_0ELb0ES3_jN6thrust23THRUST_200600_302600_NS6detail15normal_iteratorINSA_10device_ptrIxEEEEPS6_SG_NS0_5tupleIJNSA_16discard_iteratorINSA_11use_defaultEEESK_EEENSH_IJSG_SG_EEES6_PlJ7is_evenIxEEEE10hipError_tPvRmT3_T4_T5_T6_T7_T9_mT8_P12ihipStream_tbDpT10_ENKUlT_T0_E_clISt17integral_constantIbLb0EES18_IbLb1EEEEDaS14_S15_EUlS14_E_NS1_11comp_targetILNS1_3genE5ELNS1_11target_archE942ELNS1_3gpuE9ELNS1_3repE0EEENS1_30default_config_static_selectorELNS0_4arch9wavefront6targetE1EEEvT1_
		.amdhsa_group_segment_fixed_size 28680
		.amdhsa_private_segment_fixed_size 0
		.amdhsa_kernarg_size 152
		.amdhsa_user_sgpr_count 2
		.amdhsa_user_sgpr_dispatch_ptr 0
		.amdhsa_user_sgpr_queue_ptr 0
		.amdhsa_user_sgpr_kernarg_segment_ptr 1
		.amdhsa_user_sgpr_dispatch_id 0
		.amdhsa_user_sgpr_kernarg_preload_length 0
		.amdhsa_user_sgpr_kernarg_preload_offset 0
		.amdhsa_user_sgpr_private_segment_size 0
		.amdhsa_uses_dynamic_stack 0
		.amdhsa_enable_private_segment 0
		.amdhsa_system_sgpr_workgroup_id_x 1
		.amdhsa_system_sgpr_workgroup_id_y 0
		.amdhsa_system_sgpr_workgroup_id_z 0
		.amdhsa_system_sgpr_workgroup_info 0
		.amdhsa_system_vgpr_workitem_id 0
		.amdhsa_next_free_vgpr 58
		.amdhsa_next_free_sgpr 36
		.amdhsa_accum_offset 60
		.amdhsa_reserve_vcc 1
		.amdhsa_float_round_mode_32 0
		.amdhsa_float_round_mode_16_64 0
		.amdhsa_float_denorm_mode_32 3
		.amdhsa_float_denorm_mode_16_64 3
		.amdhsa_dx10_clamp 1
		.amdhsa_ieee_mode 1
		.amdhsa_fp16_overflow 0
		.amdhsa_tg_split 0
		.amdhsa_exception_fp_ieee_invalid_op 0
		.amdhsa_exception_fp_denorm_src 0
		.amdhsa_exception_fp_ieee_div_zero 0
		.amdhsa_exception_fp_ieee_overflow 0
		.amdhsa_exception_fp_ieee_underflow 0
		.amdhsa_exception_fp_ieee_inexact 0
		.amdhsa_exception_int_div_zero 0
	.end_amdhsa_kernel
	.section	.text._ZN7rocprim17ROCPRIM_400000_NS6detail17trampoline_kernelINS0_14default_configENS1_25partition_config_selectorILNS1_17partition_subalgoE0ExNS0_10empty_typeEbEEZZNS1_14partition_implILS5_0ELb0ES3_jN6thrust23THRUST_200600_302600_NS6detail15normal_iteratorINSA_10device_ptrIxEEEEPS6_SG_NS0_5tupleIJNSA_16discard_iteratorINSA_11use_defaultEEESK_EEENSH_IJSG_SG_EEES6_PlJ7is_evenIxEEEE10hipError_tPvRmT3_T4_T5_T6_T7_T9_mT8_P12ihipStream_tbDpT10_ENKUlT_T0_E_clISt17integral_constantIbLb0EES18_IbLb1EEEEDaS14_S15_EUlS14_E_NS1_11comp_targetILNS1_3genE5ELNS1_11target_archE942ELNS1_3gpuE9ELNS1_3repE0EEENS1_30default_config_static_selectorELNS0_4arch9wavefront6targetE1EEEvT1_,"axG",@progbits,_ZN7rocprim17ROCPRIM_400000_NS6detail17trampoline_kernelINS0_14default_configENS1_25partition_config_selectorILNS1_17partition_subalgoE0ExNS0_10empty_typeEbEEZZNS1_14partition_implILS5_0ELb0ES3_jN6thrust23THRUST_200600_302600_NS6detail15normal_iteratorINSA_10device_ptrIxEEEEPS6_SG_NS0_5tupleIJNSA_16discard_iteratorINSA_11use_defaultEEESK_EEENSH_IJSG_SG_EEES6_PlJ7is_evenIxEEEE10hipError_tPvRmT3_T4_T5_T6_T7_T9_mT8_P12ihipStream_tbDpT10_ENKUlT_T0_E_clISt17integral_constantIbLb0EES18_IbLb1EEEEDaS14_S15_EUlS14_E_NS1_11comp_targetILNS1_3genE5ELNS1_11target_archE942ELNS1_3gpuE9ELNS1_3repE0EEENS1_30default_config_static_selectorELNS0_4arch9wavefront6targetE1EEEvT1_,comdat
.Lfunc_end2612:
	.size	_ZN7rocprim17ROCPRIM_400000_NS6detail17trampoline_kernelINS0_14default_configENS1_25partition_config_selectorILNS1_17partition_subalgoE0ExNS0_10empty_typeEbEEZZNS1_14partition_implILS5_0ELb0ES3_jN6thrust23THRUST_200600_302600_NS6detail15normal_iteratorINSA_10device_ptrIxEEEEPS6_SG_NS0_5tupleIJNSA_16discard_iteratorINSA_11use_defaultEEESK_EEENSH_IJSG_SG_EEES6_PlJ7is_evenIxEEEE10hipError_tPvRmT3_T4_T5_T6_T7_T9_mT8_P12ihipStream_tbDpT10_ENKUlT_T0_E_clISt17integral_constantIbLb0EES18_IbLb1EEEEDaS14_S15_EUlS14_E_NS1_11comp_targetILNS1_3genE5ELNS1_11target_archE942ELNS1_3gpuE9ELNS1_3repE0EEENS1_30default_config_static_selectorELNS0_4arch9wavefront6targetE1EEEvT1_, .Lfunc_end2612-_ZN7rocprim17ROCPRIM_400000_NS6detail17trampoline_kernelINS0_14default_configENS1_25partition_config_selectorILNS1_17partition_subalgoE0ExNS0_10empty_typeEbEEZZNS1_14partition_implILS5_0ELb0ES3_jN6thrust23THRUST_200600_302600_NS6detail15normal_iteratorINSA_10device_ptrIxEEEEPS6_SG_NS0_5tupleIJNSA_16discard_iteratorINSA_11use_defaultEEESK_EEENSH_IJSG_SG_EEES6_PlJ7is_evenIxEEEE10hipError_tPvRmT3_T4_T5_T6_T7_T9_mT8_P12ihipStream_tbDpT10_ENKUlT_T0_E_clISt17integral_constantIbLb0EES18_IbLb1EEEEDaS14_S15_EUlS14_E_NS1_11comp_targetILNS1_3genE5ELNS1_11target_archE942ELNS1_3gpuE9ELNS1_3repE0EEENS1_30default_config_static_selectorELNS0_4arch9wavefront6targetE1EEEvT1_
                                        ; -- End function
	.section	.AMDGPU.csdata,"",@progbits
; Kernel info:
; codeLenInByte = 3708
; NumSgprs: 42
; NumVgprs: 58
; NumAgprs: 0
; TotalNumVgprs: 58
; ScratchSize: 0
; MemoryBound: 0
; FloatMode: 240
; IeeeMode: 1
; LDSByteSize: 28680 bytes/workgroup (compile time only)
; SGPRBlocks: 5
; VGPRBlocks: 7
; NumSGPRsForWavesPerEU: 42
; NumVGPRsForWavesPerEU: 58
; AccumOffset: 60
; Occupancy: 4
; WaveLimiterHint : 1
; COMPUTE_PGM_RSRC2:SCRATCH_EN: 0
; COMPUTE_PGM_RSRC2:USER_SGPR: 2
; COMPUTE_PGM_RSRC2:TRAP_HANDLER: 0
; COMPUTE_PGM_RSRC2:TGID_X_EN: 1
; COMPUTE_PGM_RSRC2:TGID_Y_EN: 0
; COMPUTE_PGM_RSRC2:TGID_Z_EN: 0
; COMPUTE_PGM_RSRC2:TIDIG_COMP_CNT: 0
; COMPUTE_PGM_RSRC3_GFX90A:ACCUM_OFFSET: 14
; COMPUTE_PGM_RSRC3_GFX90A:TG_SPLIT: 0
	.section	.text._ZN7rocprim17ROCPRIM_400000_NS6detail17trampoline_kernelINS0_14default_configENS1_25partition_config_selectorILNS1_17partition_subalgoE0ExNS0_10empty_typeEbEEZZNS1_14partition_implILS5_0ELb0ES3_jN6thrust23THRUST_200600_302600_NS6detail15normal_iteratorINSA_10device_ptrIxEEEEPS6_SG_NS0_5tupleIJNSA_16discard_iteratorINSA_11use_defaultEEESK_EEENSH_IJSG_SG_EEES6_PlJ7is_evenIxEEEE10hipError_tPvRmT3_T4_T5_T6_T7_T9_mT8_P12ihipStream_tbDpT10_ENKUlT_T0_E_clISt17integral_constantIbLb0EES18_IbLb1EEEEDaS14_S15_EUlS14_E_NS1_11comp_targetILNS1_3genE4ELNS1_11target_archE910ELNS1_3gpuE8ELNS1_3repE0EEENS1_30default_config_static_selectorELNS0_4arch9wavefront6targetE1EEEvT1_,"axG",@progbits,_ZN7rocprim17ROCPRIM_400000_NS6detail17trampoline_kernelINS0_14default_configENS1_25partition_config_selectorILNS1_17partition_subalgoE0ExNS0_10empty_typeEbEEZZNS1_14partition_implILS5_0ELb0ES3_jN6thrust23THRUST_200600_302600_NS6detail15normal_iteratorINSA_10device_ptrIxEEEEPS6_SG_NS0_5tupleIJNSA_16discard_iteratorINSA_11use_defaultEEESK_EEENSH_IJSG_SG_EEES6_PlJ7is_evenIxEEEE10hipError_tPvRmT3_T4_T5_T6_T7_T9_mT8_P12ihipStream_tbDpT10_ENKUlT_T0_E_clISt17integral_constantIbLb0EES18_IbLb1EEEEDaS14_S15_EUlS14_E_NS1_11comp_targetILNS1_3genE4ELNS1_11target_archE910ELNS1_3gpuE8ELNS1_3repE0EEENS1_30default_config_static_selectorELNS0_4arch9wavefront6targetE1EEEvT1_,comdat
	.protected	_ZN7rocprim17ROCPRIM_400000_NS6detail17trampoline_kernelINS0_14default_configENS1_25partition_config_selectorILNS1_17partition_subalgoE0ExNS0_10empty_typeEbEEZZNS1_14partition_implILS5_0ELb0ES3_jN6thrust23THRUST_200600_302600_NS6detail15normal_iteratorINSA_10device_ptrIxEEEEPS6_SG_NS0_5tupleIJNSA_16discard_iteratorINSA_11use_defaultEEESK_EEENSH_IJSG_SG_EEES6_PlJ7is_evenIxEEEE10hipError_tPvRmT3_T4_T5_T6_T7_T9_mT8_P12ihipStream_tbDpT10_ENKUlT_T0_E_clISt17integral_constantIbLb0EES18_IbLb1EEEEDaS14_S15_EUlS14_E_NS1_11comp_targetILNS1_3genE4ELNS1_11target_archE910ELNS1_3gpuE8ELNS1_3repE0EEENS1_30default_config_static_selectorELNS0_4arch9wavefront6targetE1EEEvT1_ ; -- Begin function _ZN7rocprim17ROCPRIM_400000_NS6detail17trampoline_kernelINS0_14default_configENS1_25partition_config_selectorILNS1_17partition_subalgoE0ExNS0_10empty_typeEbEEZZNS1_14partition_implILS5_0ELb0ES3_jN6thrust23THRUST_200600_302600_NS6detail15normal_iteratorINSA_10device_ptrIxEEEEPS6_SG_NS0_5tupleIJNSA_16discard_iteratorINSA_11use_defaultEEESK_EEENSH_IJSG_SG_EEES6_PlJ7is_evenIxEEEE10hipError_tPvRmT3_T4_T5_T6_T7_T9_mT8_P12ihipStream_tbDpT10_ENKUlT_T0_E_clISt17integral_constantIbLb0EES18_IbLb1EEEEDaS14_S15_EUlS14_E_NS1_11comp_targetILNS1_3genE4ELNS1_11target_archE910ELNS1_3gpuE8ELNS1_3repE0EEENS1_30default_config_static_selectorELNS0_4arch9wavefront6targetE1EEEvT1_
	.globl	_ZN7rocprim17ROCPRIM_400000_NS6detail17trampoline_kernelINS0_14default_configENS1_25partition_config_selectorILNS1_17partition_subalgoE0ExNS0_10empty_typeEbEEZZNS1_14partition_implILS5_0ELb0ES3_jN6thrust23THRUST_200600_302600_NS6detail15normal_iteratorINSA_10device_ptrIxEEEEPS6_SG_NS0_5tupleIJNSA_16discard_iteratorINSA_11use_defaultEEESK_EEENSH_IJSG_SG_EEES6_PlJ7is_evenIxEEEE10hipError_tPvRmT3_T4_T5_T6_T7_T9_mT8_P12ihipStream_tbDpT10_ENKUlT_T0_E_clISt17integral_constantIbLb0EES18_IbLb1EEEEDaS14_S15_EUlS14_E_NS1_11comp_targetILNS1_3genE4ELNS1_11target_archE910ELNS1_3gpuE8ELNS1_3repE0EEENS1_30default_config_static_selectorELNS0_4arch9wavefront6targetE1EEEvT1_
	.p2align	8
	.type	_ZN7rocprim17ROCPRIM_400000_NS6detail17trampoline_kernelINS0_14default_configENS1_25partition_config_selectorILNS1_17partition_subalgoE0ExNS0_10empty_typeEbEEZZNS1_14partition_implILS5_0ELb0ES3_jN6thrust23THRUST_200600_302600_NS6detail15normal_iteratorINSA_10device_ptrIxEEEEPS6_SG_NS0_5tupleIJNSA_16discard_iteratorINSA_11use_defaultEEESK_EEENSH_IJSG_SG_EEES6_PlJ7is_evenIxEEEE10hipError_tPvRmT3_T4_T5_T6_T7_T9_mT8_P12ihipStream_tbDpT10_ENKUlT_T0_E_clISt17integral_constantIbLb0EES18_IbLb1EEEEDaS14_S15_EUlS14_E_NS1_11comp_targetILNS1_3genE4ELNS1_11target_archE910ELNS1_3gpuE8ELNS1_3repE0EEENS1_30default_config_static_selectorELNS0_4arch9wavefront6targetE1EEEvT1_,@function
_ZN7rocprim17ROCPRIM_400000_NS6detail17trampoline_kernelINS0_14default_configENS1_25partition_config_selectorILNS1_17partition_subalgoE0ExNS0_10empty_typeEbEEZZNS1_14partition_implILS5_0ELb0ES3_jN6thrust23THRUST_200600_302600_NS6detail15normal_iteratorINSA_10device_ptrIxEEEEPS6_SG_NS0_5tupleIJNSA_16discard_iteratorINSA_11use_defaultEEESK_EEENSH_IJSG_SG_EEES6_PlJ7is_evenIxEEEE10hipError_tPvRmT3_T4_T5_T6_T7_T9_mT8_P12ihipStream_tbDpT10_ENKUlT_T0_E_clISt17integral_constantIbLb0EES18_IbLb1EEEEDaS14_S15_EUlS14_E_NS1_11comp_targetILNS1_3genE4ELNS1_11target_archE910ELNS1_3gpuE8ELNS1_3repE0EEENS1_30default_config_static_selectorELNS0_4arch9wavefront6targetE1EEEvT1_: ; @_ZN7rocprim17ROCPRIM_400000_NS6detail17trampoline_kernelINS0_14default_configENS1_25partition_config_selectorILNS1_17partition_subalgoE0ExNS0_10empty_typeEbEEZZNS1_14partition_implILS5_0ELb0ES3_jN6thrust23THRUST_200600_302600_NS6detail15normal_iteratorINSA_10device_ptrIxEEEEPS6_SG_NS0_5tupleIJNSA_16discard_iteratorINSA_11use_defaultEEESK_EEENSH_IJSG_SG_EEES6_PlJ7is_evenIxEEEE10hipError_tPvRmT3_T4_T5_T6_T7_T9_mT8_P12ihipStream_tbDpT10_ENKUlT_T0_E_clISt17integral_constantIbLb0EES18_IbLb1EEEEDaS14_S15_EUlS14_E_NS1_11comp_targetILNS1_3genE4ELNS1_11target_archE910ELNS1_3gpuE8ELNS1_3repE0EEENS1_30default_config_static_selectorELNS0_4arch9wavefront6targetE1EEEvT1_
; %bb.0:
	.section	.rodata,"a",@progbits
	.p2align	6, 0x0
	.amdhsa_kernel _ZN7rocprim17ROCPRIM_400000_NS6detail17trampoline_kernelINS0_14default_configENS1_25partition_config_selectorILNS1_17partition_subalgoE0ExNS0_10empty_typeEbEEZZNS1_14partition_implILS5_0ELb0ES3_jN6thrust23THRUST_200600_302600_NS6detail15normal_iteratorINSA_10device_ptrIxEEEEPS6_SG_NS0_5tupleIJNSA_16discard_iteratorINSA_11use_defaultEEESK_EEENSH_IJSG_SG_EEES6_PlJ7is_evenIxEEEE10hipError_tPvRmT3_T4_T5_T6_T7_T9_mT8_P12ihipStream_tbDpT10_ENKUlT_T0_E_clISt17integral_constantIbLb0EES18_IbLb1EEEEDaS14_S15_EUlS14_E_NS1_11comp_targetILNS1_3genE4ELNS1_11target_archE910ELNS1_3gpuE8ELNS1_3repE0EEENS1_30default_config_static_selectorELNS0_4arch9wavefront6targetE1EEEvT1_
		.amdhsa_group_segment_fixed_size 0
		.amdhsa_private_segment_fixed_size 0
		.amdhsa_kernarg_size 152
		.amdhsa_user_sgpr_count 2
		.amdhsa_user_sgpr_dispatch_ptr 0
		.amdhsa_user_sgpr_queue_ptr 0
		.amdhsa_user_sgpr_kernarg_segment_ptr 1
		.amdhsa_user_sgpr_dispatch_id 0
		.amdhsa_user_sgpr_kernarg_preload_length 0
		.amdhsa_user_sgpr_kernarg_preload_offset 0
		.amdhsa_user_sgpr_private_segment_size 0
		.amdhsa_uses_dynamic_stack 0
		.amdhsa_enable_private_segment 0
		.amdhsa_system_sgpr_workgroup_id_x 1
		.amdhsa_system_sgpr_workgroup_id_y 0
		.amdhsa_system_sgpr_workgroup_id_z 0
		.amdhsa_system_sgpr_workgroup_info 0
		.amdhsa_system_vgpr_workitem_id 0
		.amdhsa_next_free_vgpr 1
		.amdhsa_next_free_sgpr 0
		.amdhsa_accum_offset 4
		.amdhsa_reserve_vcc 0
		.amdhsa_float_round_mode_32 0
		.amdhsa_float_round_mode_16_64 0
		.amdhsa_float_denorm_mode_32 3
		.amdhsa_float_denorm_mode_16_64 3
		.amdhsa_dx10_clamp 1
		.amdhsa_ieee_mode 1
		.amdhsa_fp16_overflow 0
		.amdhsa_tg_split 0
		.amdhsa_exception_fp_ieee_invalid_op 0
		.amdhsa_exception_fp_denorm_src 0
		.amdhsa_exception_fp_ieee_div_zero 0
		.amdhsa_exception_fp_ieee_overflow 0
		.amdhsa_exception_fp_ieee_underflow 0
		.amdhsa_exception_fp_ieee_inexact 0
		.amdhsa_exception_int_div_zero 0
	.end_amdhsa_kernel
	.section	.text._ZN7rocprim17ROCPRIM_400000_NS6detail17trampoline_kernelINS0_14default_configENS1_25partition_config_selectorILNS1_17partition_subalgoE0ExNS0_10empty_typeEbEEZZNS1_14partition_implILS5_0ELb0ES3_jN6thrust23THRUST_200600_302600_NS6detail15normal_iteratorINSA_10device_ptrIxEEEEPS6_SG_NS0_5tupleIJNSA_16discard_iteratorINSA_11use_defaultEEESK_EEENSH_IJSG_SG_EEES6_PlJ7is_evenIxEEEE10hipError_tPvRmT3_T4_T5_T6_T7_T9_mT8_P12ihipStream_tbDpT10_ENKUlT_T0_E_clISt17integral_constantIbLb0EES18_IbLb1EEEEDaS14_S15_EUlS14_E_NS1_11comp_targetILNS1_3genE4ELNS1_11target_archE910ELNS1_3gpuE8ELNS1_3repE0EEENS1_30default_config_static_selectorELNS0_4arch9wavefront6targetE1EEEvT1_,"axG",@progbits,_ZN7rocprim17ROCPRIM_400000_NS6detail17trampoline_kernelINS0_14default_configENS1_25partition_config_selectorILNS1_17partition_subalgoE0ExNS0_10empty_typeEbEEZZNS1_14partition_implILS5_0ELb0ES3_jN6thrust23THRUST_200600_302600_NS6detail15normal_iteratorINSA_10device_ptrIxEEEEPS6_SG_NS0_5tupleIJNSA_16discard_iteratorINSA_11use_defaultEEESK_EEENSH_IJSG_SG_EEES6_PlJ7is_evenIxEEEE10hipError_tPvRmT3_T4_T5_T6_T7_T9_mT8_P12ihipStream_tbDpT10_ENKUlT_T0_E_clISt17integral_constantIbLb0EES18_IbLb1EEEEDaS14_S15_EUlS14_E_NS1_11comp_targetILNS1_3genE4ELNS1_11target_archE910ELNS1_3gpuE8ELNS1_3repE0EEENS1_30default_config_static_selectorELNS0_4arch9wavefront6targetE1EEEvT1_,comdat
.Lfunc_end2613:
	.size	_ZN7rocprim17ROCPRIM_400000_NS6detail17trampoline_kernelINS0_14default_configENS1_25partition_config_selectorILNS1_17partition_subalgoE0ExNS0_10empty_typeEbEEZZNS1_14partition_implILS5_0ELb0ES3_jN6thrust23THRUST_200600_302600_NS6detail15normal_iteratorINSA_10device_ptrIxEEEEPS6_SG_NS0_5tupleIJNSA_16discard_iteratorINSA_11use_defaultEEESK_EEENSH_IJSG_SG_EEES6_PlJ7is_evenIxEEEE10hipError_tPvRmT3_T4_T5_T6_T7_T9_mT8_P12ihipStream_tbDpT10_ENKUlT_T0_E_clISt17integral_constantIbLb0EES18_IbLb1EEEEDaS14_S15_EUlS14_E_NS1_11comp_targetILNS1_3genE4ELNS1_11target_archE910ELNS1_3gpuE8ELNS1_3repE0EEENS1_30default_config_static_selectorELNS0_4arch9wavefront6targetE1EEEvT1_, .Lfunc_end2613-_ZN7rocprim17ROCPRIM_400000_NS6detail17trampoline_kernelINS0_14default_configENS1_25partition_config_selectorILNS1_17partition_subalgoE0ExNS0_10empty_typeEbEEZZNS1_14partition_implILS5_0ELb0ES3_jN6thrust23THRUST_200600_302600_NS6detail15normal_iteratorINSA_10device_ptrIxEEEEPS6_SG_NS0_5tupleIJNSA_16discard_iteratorINSA_11use_defaultEEESK_EEENSH_IJSG_SG_EEES6_PlJ7is_evenIxEEEE10hipError_tPvRmT3_T4_T5_T6_T7_T9_mT8_P12ihipStream_tbDpT10_ENKUlT_T0_E_clISt17integral_constantIbLb0EES18_IbLb1EEEEDaS14_S15_EUlS14_E_NS1_11comp_targetILNS1_3genE4ELNS1_11target_archE910ELNS1_3gpuE8ELNS1_3repE0EEENS1_30default_config_static_selectorELNS0_4arch9wavefront6targetE1EEEvT1_
                                        ; -- End function
	.section	.AMDGPU.csdata,"",@progbits
; Kernel info:
; codeLenInByte = 0
; NumSgprs: 6
; NumVgprs: 0
; NumAgprs: 0
; TotalNumVgprs: 0
; ScratchSize: 0
; MemoryBound: 0
; FloatMode: 240
; IeeeMode: 1
; LDSByteSize: 0 bytes/workgroup (compile time only)
; SGPRBlocks: 0
; VGPRBlocks: 0
; NumSGPRsForWavesPerEU: 6
; NumVGPRsForWavesPerEU: 1
; AccumOffset: 4
; Occupancy: 8
; WaveLimiterHint : 0
; COMPUTE_PGM_RSRC2:SCRATCH_EN: 0
; COMPUTE_PGM_RSRC2:USER_SGPR: 2
; COMPUTE_PGM_RSRC2:TRAP_HANDLER: 0
; COMPUTE_PGM_RSRC2:TGID_X_EN: 1
; COMPUTE_PGM_RSRC2:TGID_Y_EN: 0
; COMPUTE_PGM_RSRC2:TGID_Z_EN: 0
; COMPUTE_PGM_RSRC2:TIDIG_COMP_CNT: 0
; COMPUTE_PGM_RSRC3_GFX90A:ACCUM_OFFSET: 0
; COMPUTE_PGM_RSRC3_GFX90A:TG_SPLIT: 0
	.section	.text._ZN7rocprim17ROCPRIM_400000_NS6detail17trampoline_kernelINS0_14default_configENS1_25partition_config_selectorILNS1_17partition_subalgoE0ExNS0_10empty_typeEbEEZZNS1_14partition_implILS5_0ELb0ES3_jN6thrust23THRUST_200600_302600_NS6detail15normal_iteratorINSA_10device_ptrIxEEEEPS6_SG_NS0_5tupleIJNSA_16discard_iteratorINSA_11use_defaultEEESK_EEENSH_IJSG_SG_EEES6_PlJ7is_evenIxEEEE10hipError_tPvRmT3_T4_T5_T6_T7_T9_mT8_P12ihipStream_tbDpT10_ENKUlT_T0_E_clISt17integral_constantIbLb0EES18_IbLb1EEEEDaS14_S15_EUlS14_E_NS1_11comp_targetILNS1_3genE3ELNS1_11target_archE908ELNS1_3gpuE7ELNS1_3repE0EEENS1_30default_config_static_selectorELNS0_4arch9wavefront6targetE1EEEvT1_,"axG",@progbits,_ZN7rocprim17ROCPRIM_400000_NS6detail17trampoline_kernelINS0_14default_configENS1_25partition_config_selectorILNS1_17partition_subalgoE0ExNS0_10empty_typeEbEEZZNS1_14partition_implILS5_0ELb0ES3_jN6thrust23THRUST_200600_302600_NS6detail15normal_iteratorINSA_10device_ptrIxEEEEPS6_SG_NS0_5tupleIJNSA_16discard_iteratorINSA_11use_defaultEEESK_EEENSH_IJSG_SG_EEES6_PlJ7is_evenIxEEEE10hipError_tPvRmT3_T4_T5_T6_T7_T9_mT8_P12ihipStream_tbDpT10_ENKUlT_T0_E_clISt17integral_constantIbLb0EES18_IbLb1EEEEDaS14_S15_EUlS14_E_NS1_11comp_targetILNS1_3genE3ELNS1_11target_archE908ELNS1_3gpuE7ELNS1_3repE0EEENS1_30default_config_static_selectorELNS0_4arch9wavefront6targetE1EEEvT1_,comdat
	.protected	_ZN7rocprim17ROCPRIM_400000_NS6detail17trampoline_kernelINS0_14default_configENS1_25partition_config_selectorILNS1_17partition_subalgoE0ExNS0_10empty_typeEbEEZZNS1_14partition_implILS5_0ELb0ES3_jN6thrust23THRUST_200600_302600_NS6detail15normal_iteratorINSA_10device_ptrIxEEEEPS6_SG_NS0_5tupleIJNSA_16discard_iteratorINSA_11use_defaultEEESK_EEENSH_IJSG_SG_EEES6_PlJ7is_evenIxEEEE10hipError_tPvRmT3_T4_T5_T6_T7_T9_mT8_P12ihipStream_tbDpT10_ENKUlT_T0_E_clISt17integral_constantIbLb0EES18_IbLb1EEEEDaS14_S15_EUlS14_E_NS1_11comp_targetILNS1_3genE3ELNS1_11target_archE908ELNS1_3gpuE7ELNS1_3repE0EEENS1_30default_config_static_selectorELNS0_4arch9wavefront6targetE1EEEvT1_ ; -- Begin function _ZN7rocprim17ROCPRIM_400000_NS6detail17trampoline_kernelINS0_14default_configENS1_25partition_config_selectorILNS1_17partition_subalgoE0ExNS0_10empty_typeEbEEZZNS1_14partition_implILS5_0ELb0ES3_jN6thrust23THRUST_200600_302600_NS6detail15normal_iteratorINSA_10device_ptrIxEEEEPS6_SG_NS0_5tupleIJNSA_16discard_iteratorINSA_11use_defaultEEESK_EEENSH_IJSG_SG_EEES6_PlJ7is_evenIxEEEE10hipError_tPvRmT3_T4_T5_T6_T7_T9_mT8_P12ihipStream_tbDpT10_ENKUlT_T0_E_clISt17integral_constantIbLb0EES18_IbLb1EEEEDaS14_S15_EUlS14_E_NS1_11comp_targetILNS1_3genE3ELNS1_11target_archE908ELNS1_3gpuE7ELNS1_3repE0EEENS1_30default_config_static_selectorELNS0_4arch9wavefront6targetE1EEEvT1_
	.globl	_ZN7rocprim17ROCPRIM_400000_NS6detail17trampoline_kernelINS0_14default_configENS1_25partition_config_selectorILNS1_17partition_subalgoE0ExNS0_10empty_typeEbEEZZNS1_14partition_implILS5_0ELb0ES3_jN6thrust23THRUST_200600_302600_NS6detail15normal_iteratorINSA_10device_ptrIxEEEEPS6_SG_NS0_5tupleIJNSA_16discard_iteratorINSA_11use_defaultEEESK_EEENSH_IJSG_SG_EEES6_PlJ7is_evenIxEEEE10hipError_tPvRmT3_T4_T5_T6_T7_T9_mT8_P12ihipStream_tbDpT10_ENKUlT_T0_E_clISt17integral_constantIbLb0EES18_IbLb1EEEEDaS14_S15_EUlS14_E_NS1_11comp_targetILNS1_3genE3ELNS1_11target_archE908ELNS1_3gpuE7ELNS1_3repE0EEENS1_30default_config_static_selectorELNS0_4arch9wavefront6targetE1EEEvT1_
	.p2align	8
	.type	_ZN7rocprim17ROCPRIM_400000_NS6detail17trampoline_kernelINS0_14default_configENS1_25partition_config_selectorILNS1_17partition_subalgoE0ExNS0_10empty_typeEbEEZZNS1_14partition_implILS5_0ELb0ES3_jN6thrust23THRUST_200600_302600_NS6detail15normal_iteratorINSA_10device_ptrIxEEEEPS6_SG_NS0_5tupleIJNSA_16discard_iteratorINSA_11use_defaultEEESK_EEENSH_IJSG_SG_EEES6_PlJ7is_evenIxEEEE10hipError_tPvRmT3_T4_T5_T6_T7_T9_mT8_P12ihipStream_tbDpT10_ENKUlT_T0_E_clISt17integral_constantIbLb0EES18_IbLb1EEEEDaS14_S15_EUlS14_E_NS1_11comp_targetILNS1_3genE3ELNS1_11target_archE908ELNS1_3gpuE7ELNS1_3repE0EEENS1_30default_config_static_selectorELNS0_4arch9wavefront6targetE1EEEvT1_,@function
_ZN7rocprim17ROCPRIM_400000_NS6detail17trampoline_kernelINS0_14default_configENS1_25partition_config_selectorILNS1_17partition_subalgoE0ExNS0_10empty_typeEbEEZZNS1_14partition_implILS5_0ELb0ES3_jN6thrust23THRUST_200600_302600_NS6detail15normal_iteratorINSA_10device_ptrIxEEEEPS6_SG_NS0_5tupleIJNSA_16discard_iteratorINSA_11use_defaultEEESK_EEENSH_IJSG_SG_EEES6_PlJ7is_evenIxEEEE10hipError_tPvRmT3_T4_T5_T6_T7_T9_mT8_P12ihipStream_tbDpT10_ENKUlT_T0_E_clISt17integral_constantIbLb0EES18_IbLb1EEEEDaS14_S15_EUlS14_E_NS1_11comp_targetILNS1_3genE3ELNS1_11target_archE908ELNS1_3gpuE7ELNS1_3repE0EEENS1_30default_config_static_selectorELNS0_4arch9wavefront6targetE1EEEvT1_: ; @_ZN7rocprim17ROCPRIM_400000_NS6detail17trampoline_kernelINS0_14default_configENS1_25partition_config_selectorILNS1_17partition_subalgoE0ExNS0_10empty_typeEbEEZZNS1_14partition_implILS5_0ELb0ES3_jN6thrust23THRUST_200600_302600_NS6detail15normal_iteratorINSA_10device_ptrIxEEEEPS6_SG_NS0_5tupleIJNSA_16discard_iteratorINSA_11use_defaultEEESK_EEENSH_IJSG_SG_EEES6_PlJ7is_evenIxEEEE10hipError_tPvRmT3_T4_T5_T6_T7_T9_mT8_P12ihipStream_tbDpT10_ENKUlT_T0_E_clISt17integral_constantIbLb0EES18_IbLb1EEEEDaS14_S15_EUlS14_E_NS1_11comp_targetILNS1_3genE3ELNS1_11target_archE908ELNS1_3gpuE7ELNS1_3repE0EEENS1_30default_config_static_selectorELNS0_4arch9wavefront6targetE1EEEvT1_
; %bb.0:
	.section	.rodata,"a",@progbits
	.p2align	6, 0x0
	.amdhsa_kernel _ZN7rocprim17ROCPRIM_400000_NS6detail17trampoline_kernelINS0_14default_configENS1_25partition_config_selectorILNS1_17partition_subalgoE0ExNS0_10empty_typeEbEEZZNS1_14partition_implILS5_0ELb0ES3_jN6thrust23THRUST_200600_302600_NS6detail15normal_iteratorINSA_10device_ptrIxEEEEPS6_SG_NS0_5tupleIJNSA_16discard_iteratorINSA_11use_defaultEEESK_EEENSH_IJSG_SG_EEES6_PlJ7is_evenIxEEEE10hipError_tPvRmT3_T4_T5_T6_T7_T9_mT8_P12ihipStream_tbDpT10_ENKUlT_T0_E_clISt17integral_constantIbLb0EES18_IbLb1EEEEDaS14_S15_EUlS14_E_NS1_11comp_targetILNS1_3genE3ELNS1_11target_archE908ELNS1_3gpuE7ELNS1_3repE0EEENS1_30default_config_static_selectorELNS0_4arch9wavefront6targetE1EEEvT1_
		.amdhsa_group_segment_fixed_size 0
		.amdhsa_private_segment_fixed_size 0
		.amdhsa_kernarg_size 152
		.amdhsa_user_sgpr_count 2
		.amdhsa_user_sgpr_dispatch_ptr 0
		.amdhsa_user_sgpr_queue_ptr 0
		.amdhsa_user_sgpr_kernarg_segment_ptr 1
		.amdhsa_user_sgpr_dispatch_id 0
		.amdhsa_user_sgpr_kernarg_preload_length 0
		.amdhsa_user_sgpr_kernarg_preload_offset 0
		.amdhsa_user_sgpr_private_segment_size 0
		.amdhsa_uses_dynamic_stack 0
		.amdhsa_enable_private_segment 0
		.amdhsa_system_sgpr_workgroup_id_x 1
		.amdhsa_system_sgpr_workgroup_id_y 0
		.amdhsa_system_sgpr_workgroup_id_z 0
		.amdhsa_system_sgpr_workgroup_info 0
		.amdhsa_system_vgpr_workitem_id 0
		.amdhsa_next_free_vgpr 1
		.amdhsa_next_free_sgpr 0
		.amdhsa_accum_offset 4
		.amdhsa_reserve_vcc 0
		.amdhsa_float_round_mode_32 0
		.amdhsa_float_round_mode_16_64 0
		.amdhsa_float_denorm_mode_32 3
		.amdhsa_float_denorm_mode_16_64 3
		.amdhsa_dx10_clamp 1
		.amdhsa_ieee_mode 1
		.amdhsa_fp16_overflow 0
		.amdhsa_tg_split 0
		.amdhsa_exception_fp_ieee_invalid_op 0
		.amdhsa_exception_fp_denorm_src 0
		.amdhsa_exception_fp_ieee_div_zero 0
		.amdhsa_exception_fp_ieee_overflow 0
		.amdhsa_exception_fp_ieee_underflow 0
		.amdhsa_exception_fp_ieee_inexact 0
		.amdhsa_exception_int_div_zero 0
	.end_amdhsa_kernel
	.section	.text._ZN7rocprim17ROCPRIM_400000_NS6detail17trampoline_kernelINS0_14default_configENS1_25partition_config_selectorILNS1_17partition_subalgoE0ExNS0_10empty_typeEbEEZZNS1_14partition_implILS5_0ELb0ES3_jN6thrust23THRUST_200600_302600_NS6detail15normal_iteratorINSA_10device_ptrIxEEEEPS6_SG_NS0_5tupleIJNSA_16discard_iteratorINSA_11use_defaultEEESK_EEENSH_IJSG_SG_EEES6_PlJ7is_evenIxEEEE10hipError_tPvRmT3_T4_T5_T6_T7_T9_mT8_P12ihipStream_tbDpT10_ENKUlT_T0_E_clISt17integral_constantIbLb0EES18_IbLb1EEEEDaS14_S15_EUlS14_E_NS1_11comp_targetILNS1_3genE3ELNS1_11target_archE908ELNS1_3gpuE7ELNS1_3repE0EEENS1_30default_config_static_selectorELNS0_4arch9wavefront6targetE1EEEvT1_,"axG",@progbits,_ZN7rocprim17ROCPRIM_400000_NS6detail17trampoline_kernelINS0_14default_configENS1_25partition_config_selectorILNS1_17partition_subalgoE0ExNS0_10empty_typeEbEEZZNS1_14partition_implILS5_0ELb0ES3_jN6thrust23THRUST_200600_302600_NS6detail15normal_iteratorINSA_10device_ptrIxEEEEPS6_SG_NS0_5tupleIJNSA_16discard_iteratorINSA_11use_defaultEEESK_EEENSH_IJSG_SG_EEES6_PlJ7is_evenIxEEEE10hipError_tPvRmT3_T4_T5_T6_T7_T9_mT8_P12ihipStream_tbDpT10_ENKUlT_T0_E_clISt17integral_constantIbLb0EES18_IbLb1EEEEDaS14_S15_EUlS14_E_NS1_11comp_targetILNS1_3genE3ELNS1_11target_archE908ELNS1_3gpuE7ELNS1_3repE0EEENS1_30default_config_static_selectorELNS0_4arch9wavefront6targetE1EEEvT1_,comdat
.Lfunc_end2614:
	.size	_ZN7rocprim17ROCPRIM_400000_NS6detail17trampoline_kernelINS0_14default_configENS1_25partition_config_selectorILNS1_17partition_subalgoE0ExNS0_10empty_typeEbEEZZNS1_14partition_implILS5_0ELb0ES3_jN6thrust23THRUST_200600_302600_NS6detail15normal_iteratorINSA_10device_ptrIxEEEEPS6_SG_NS0_5tupleIJNSA_16discard_iteratorINSA_11use_defaultEEESK_EEENSH_IJSG_SG_EEES6_PlJ7is_evenIxEEEE10hipError_tPvRmT3_T4_T5_T6_T7_T9_mT8_P12ihipStream_tbDpT10_ENKUlT_T0_E_clISt17integral_constantIbLb0EES18_IbLb1EEEEDaS14_S15_EUlS14_E_NS1_11comp_targetILNS1_3genE3ELNS1_11target_archE908ELNS1_3gpuE7ELNS1_3repE0EEENS1_30default_config_static_selectorELNS0_4arch9wavefront6targetE1EEEvT1_, .Lfunc_end2614-_ZN7rocprim17ROCPRIM_400000_NS6detail17trampoline_kernelINS0_14default_configENS1_25partition_config_selectorILNS1_17partition_subalgoE0ExNS0_10empty_typeEbEEZZNS1_14partition_implILS5_0ELb0ES3_jN6thrust23THRUST_200600_302600_NS6detail15normal_iteratorINSA_10device_ptrIxEEEEPS6_SG_NS0_5tupleIJNSA_16discard_iteratorINSA_11use_defaultEEESK_EEENSH_IJSG_SG_EEES6_PlJ7is_evenIxEEEE10hipError_tPvRmT3_T4_T5_T6_T7_T9_mT8_P12ihipStream_tbDpT10_ENKUlT_T0_E_clISt17integral_constantIbLb0EES18_IbLb1EEEEDaS14_S15_EUlS14_E_NS1_11comp_targetILNS1_3genE3ELNS1_11target_archE908ELNS1_3gpuE7ELNS1_3repE0EEENS1_30default_config_static_selectorELNS0_4arch9wavefront6targetE1EEEvT1_
                                        ; -- End function
	.section	.AMDGPU.csdata,"",@progbits
; Kernel info:
; codeLenInByte = 0
; NumSgprs: 6
; NumVgprs: 0
; NumAgprs: 0
; TotalNumVgprs: 0
; ScratchSize: 0
; MemoryBound: 0
; FloatMode: 240
; IeeeMode: 1
; LDSByteSize: 0 bytes/workgroup (compile time only)
; SGPRBlocks: 0
; VGPRBlocks: 0
; NumSGPRsForWavesPerEU: 6
; NumVGPRsForWavesPerEU: 1
; AccumOffset: 4
; Occupancy: 8
; WaveLimiterHint : 0
; COMPUTE_PGM_RSRC2:SCRATCH_EN: 0
; COMPUTE_PGM_RSRC2:USER_SGPR: 2
; COMPUTE_PGM_RSRC2:TRAP_HANDLER: 0
; COMPUTE_PGM_RSRC2:TGID_X_EN: 1
; COMPUTE_PGM_RSRC2:TGID_Y_EN: 0
; COMPUTE_PGM_RSRC2:TGID_Z_EN: 0
; COMPUTE_PGM_RSRC2:TIDIG_COMP_CNT: 0
; COMPUTE_PGM_RSRC3_GFX90A:ACCUM_OFFSET: 0
; COMPUTE_PGM_RSRC3_GFX90A:TG_SPLIT: 0
	.section	.text._ZN7rocprim17ROCPRIM_400000_NS6detail17trampoline_kernelINS0_14default_configENS1_25partition_config_selectorILNS1_17partition_subalgoE0ExNS0_10empty_typeEbEEZZNS1_14partition_implILS5_0ELb0ES3_jN6thrust23THRUST_200600_302600_NS6detail15normal_iteratorINSA_10device_ptrIxEEEEPS6_SG_NS0_5tupleIJNSA_16discard_iteratorINSA_11use_defaultEEESK_EEENSH_IJSG_SG_EEES6_PlJ7is_evenIxEEEE10hipError_tPvRmT3_T4_T5_T6_T7_T9_mT8_P12ihipStream_tbDpT10_ENKUlT_T0_E_clISt17integral_constantIbLb0EES18_IbLb1EEEEDaS14_S15_EUlS14_E_NS1_11comp_targetILNS1_3genE2ELNS1_11target_archE906ELNS1_3gpuE6ELNS1_3repE0EEENS1_30default_config_static_selectorELNS0_4arch9wavefront6targetE1EEEvT1_,"axG",@progbits,_ZN7rocprim17ROCPRIM_400000_NS6detail17trampoline_kernelINS0_14default_configENS1_25partition_config_selectorILNS1_17partition_subalgoE0ExNS0_10empty_typeEbEEZZNS1_14partition_implILS5_0ELb0ES3_jN6thrust23THRUST_200600_302600_NS6detail15normal_iteratorINSA_10device_ptrIxEEEEPS6_SG_NS0_5tupleIJNSA_16discard_iteratorINSA_11use_defaultEEESK_EEENSH_IJSG_SG_EEES6_PlJ7is_evenIxEEEE10hipError_tPvRmT3_T4_T5_T6_T7_T9_mT8_P12ihipStream_tbDpT10_ENKUlT_T0_E_clISt17integral_constantIbLb0EES18_IbLb1EEEEDaS14_S15_EUlS14_E_NS1_11comp_targetILNS1_3genE2ELNS1_11target_archE906ELNS1_3gpuE6ELNS1_3repE0EEENS1_30default_config_static_selectorELNS0_4arch9wavefront6targetE1EEEvT1_,comdat
	.protected	_ZN7rocprim17ROCPRIM_400000_NS6detail17trampoline_kernelINS0_14default_configENS1_25partition_config_selectorILNS1_17partition_subalgoE0ExNS0_10empty_typeEbEEZZNS1_14partition_implILS5_0ELb0ES3_jN6thrust23THRUST_200600_302600_NS6detail15normal_iteratorINSA_10device_ptrIxEEEEPS6_SG_NS0_5tupleIJNSA_16discard_iteratorINSA_11use_defaultEEESK_EEENSH_IJSG_SG_EEES6_PlJ7is_evenIxEEEE10hipError_tPvRmT3_T4_T5_T6_T7_T9_mT8_P12ihipStream_tbDpT10_ENKUlT_T0_E_clISt17integral_constantIbLb0EES18_IbLb1EEEEDaS14_S15_EUlS14_E_NS1_11comp_targetILNS1_3genE2ELNS1_11target_archE906ELNS1_3gpuE6ELNS1_3repE0EEENS1_30default_config_static_selectorELNS0_4arch9wavefront6targetE1EEEvT1_ ; -- Begin function _ZN7rocprim17ROCPRIM_400000_NS6detail17trampoline_kernelINS0_14default_configENS1_25partition_config_selectorILNS1_17partition_subalgoE0ExNS0_10empty_typeEbEEZZNS1_14partition_implILS5_0ELb0ES3_jN6thrust23THRUST_200600_302600_NS6detail15normal_iteratorINSA_10device_ptrIxEEEEPS6_SG_NS0_5tupleIJNSA_16discard_iteratorINSA_11use_defaultEEESK_EEENSH_IJSG_SG_EEES6_PlJ7is_evenIxEEEE10hipError_tPvRmT3_T4_T5_T6_T7_T9_mT8_P12ihipStream_tbDpT10_ENKUlT_T0_E_clISt17integral_constantIbLb0EES18_IbLb1EEEEDaS14_S15_EUlS14_E_NS1_11comp_targetILNS1_3genE2ELNS1_11target_archE906ELNS1_3gpuE6ELNS1_3repE0EEENS1_30default_config_static_selectorELNS0_4arch9wavefront6targetE1EEEvT1_
	.globl	_ZN7rocprim17ROCPRIM_400000_NS6detail17trampoline_kernelINS0_14default_configENS1_25partition_config_selectorILNS1_17partition_subalgoE0ExNS0_10empty_typeEbEEZZNS1_14partition_implILS5_0ELb0ES3_jN6thrust23THRUST_200600_302600_NS6detail15normal_iteratorINSA_10device_ptrIxEEEEPS6_SG_NS0_5tupleIJNSA_16discard_iteratorINSA_11use_defaultEEESK_EEENSH_IJSG_SG_EEES6_PlJ7is_evenIxEEEE10hipError_tPvRmT3_T4_T5_T6_T7_T9_mT8_P12ihipStream_tbDpT10_ENKUlT_T0_E_clISt17integral_constantIbLb0EES18_IbLb1EEEEDaS14_S15_EUlS14_E_NS1_11comp_targetILNS1_3genE2ELNS1_11target_archE906ELNS1_3gpuE6ELNS1_3repE0EEENS1_30default_config_static_selectorELNS0_4arch9wavefront6targetE1EEEvT1_
	.p2align	8
	.type	_ZN7rocprim17ROCPRIM_400000_NS6detail17trampoline_kernelINS0_14default_configENS1_25partition_config_selectorILNS1_17partition_subalgoE0ExNS0_10empty_typeEbEEZZNS1_14partition_implILS5_0ELb0ES3_jN6thrust23THRUST_200600_302600_NS6detail15normal_iteratorINSA_10device_ptrIxEEEEPS6_SG_NS0_5tupleIJNSA_16discard_iteratorINSA_11use_defaultEEESK_EEENSH_IJSG_SG_EEES6_PlJ7is_evenIxEEEE10hipError_tPvRmT3_T4_T5_T6_T7_T9_mT8_P12ihipStream_tbDpT10_ENKUlT_T0_E_clISt17integral_constantIbLb0EES18_IbLb1EEEEDaS14_S15_EUlS14_E_NS1_11comp_targetILNS1_3genE2ELNS1_11target_archE906ELNS1_3gpuE6ELNS1_3repE0EEENS1_30default_config_static_selectorELNS0_4arch9wavefront6targetE1EEEvT1_,@function
_ZN7rocprim17ROCPRIM_400000_NS6detail17trampoline_kernelINS0_14default_configENS1_25partition_config_selectorILNS1_17partition_subalgoE0ExNS0_10empty_typeEbEEZZNS1_14partition_implILS5_0ELb0ES3_jN6thrust23THRUST_200600_302600_NS6detail15normal_iteratorINSA_10device_ptrIxEEEEPS6_SG_NS0_5tupleIJNSA_16discard_iteratorINSA_11use_defaultEEESK_EEENSH_IJSG_SG_EEES6_PlJ7is_evenIxEEEE10hipError_tPvRmT3_T4_T5_T6_T7_T9_mT8_P12ihipStream_tbDpT10_ENKUlT_T0_E_clISt17integral_constantIbLb0EES18_IbLb1EEEEDaS14_S15_EUlS14_E_NS1_11comp_targetILNS1_3genE2ELNS1_11target_archE906ELNS1_3gpuE6ELNS1_3repE0EEENS1_30default_config_static_selectorELNS0_4arch9wavefront6targetE1EEEvT1_: ; @_ZN7rocprim17ROCPRIM_400000_NS6detail17trampoline_kernelINS0_14default_configENS1_25partition_config_selectorILNS1_17partition_subalgoE0ExNS0_10empty_typeEbEEZZNS1_14partition_implILS5_0ELb0ES3_jN6thrust23THRUST_200600_302600_NS6detail15normal_iteratorINSA_10device_ptrIxEEEEPS6_SG_NS0_5tupleIJNSA_16discard_iteratorINSA_11use_defaultEEESK_EEENSH_IJSG_SG_EEES6_PlJ7is_evenIxEEEE10hipError_tPvRmT3_T4_T5_T6_T7_T9_mT8_P12ihipStream_tbDpT10_ENKUlT_T0_E_clISt17integral_constantIbLb0EES18_IbLb1EEEEDaS14_S15_EUlS14_E_NS1_11comp_targetILNS1_3genE2ELNS1_11target_archE906ELNS1_3gpuE6ELNS1_3repE0EEENS1_30default_config_static_selectorELNS0_4arch9wavefront6targetE1EEEvT1_
; %bb.0:
	.section	.rodata,"a",@progbits
	.p2align	6, 0x0
	.amdhsa_kernel _ZN7rocprim17ROCPRIM_400000_NS6detail17trampoline_kernelINS0_14default_configENS1_25partition_config_selectorILNS1_17partition_subalgoE0ExNS0_10empty_typeEbEEZZNS1_14partition_implILS5_0ELb0ES3_jN6thrust23THRUST_200600_302600_NS6detail15normal_iteratorINSA_10device_ptrIxEEEEPS6_SG_NS0_5tupleIJNSA_16discard_iteratorINSA_11use_defaultEEESK_EEENSH_IJSG_SG_EEES6_PlJ7is_evenIxEEEE10hipError_tPvRmT3_T4_T5_T6_T7_T9_mT8_P12ihipStream_tbDpT10_ENKUlT_T0_E_clISt17integral_constantIbLb0EES18_IbLb1EEEEDaS14_S15_EUlS14_E_NS1_11comp_targetILNS1_3genE2ELNS1_11target_archE906ELNS1_3gpuE6ELNS1_3repE0EEENS1_30default_config_static_selectorELNS0_4arch9wavefront6targetE1EEEvT1_
		.amdhsa_group_segment_fixed_size 0
		.amdhsa_private_segment_fixed_size 0
		.amdhsa_kernarg_size 152
		.amdhsa_user_sgpr_count 2
		.amdhsa_user_sgpr_dispatch_ptr 0
		.amdhsa_user_sgpr_queue_ptr 0
		.amdhsa_user_sgpr_kernarg_segment_ptr 1
		.amdhsa_user_sgpr_dispatch_id 0
		.amdhsa_user_sgpr_kernarg_preload_length 0
		.amdhsa_user_sgpr_kernarg_preload_offset 0
		.amdhsa_user_sgpr_private_segment_size 0
		.amdhsa_uses_dynamic_stack 0
		.amdhsa_enable_private_segment 0
		.amdhsa_system_sgpr_workgroup_id_x 1
		.amdhsa_system_sgpr_workgroup_id_y 0
		.amdhsa_system_sgpr_workgroup_id_z 0
		.amdhsa_system_sgpr_workgroup_info 0
		.amdhsa_system_vgpr_workitem_id 0
		.amdhsa_next_free_vgpr 1
		.amdhsa_next_free_sgpr 0
		.amdhsa_accum_offset 4
		.amdhsa_reserve_vcc 0
		.amdhsa_float_round_mode_32 0
		.amdhsa_float_round_mode_16_64 0
		.amdhsa_float_denorm_mode_32 3
		.amdhsa_float_denorm_mode_16_64 3
		.amdhsa_dx10_clamp 1
		.amdhsa_ieee_mode 1
		.amdhsa_fp16_overflow 0
		.amdhsa_tg_split 0
		.amdhsa_exception_fp_ieee_invalid_op 0
		.amdhsa_exception_fp_denorm_src 0
		.amdhsa_exception_fp_ieee_div_zero 0
		.amdhsa_exception_fp_ieee_overflow 0
		.amdhsa_exception_fp_ieee_underflow 0
		.amdhsa_exception_fp_ieee_inexact 0
		.amdhsa_exception_int_div_zero 0
	.end_amdhsa_kernel
	.section	.text._ZN7rocprim17ROCPRIM_400000_NS6detail17trampoline_kernelINS0_14default_configENS1_25partition_config_selectorILNS1_17partition_subalgoE0ExNS0_10empty_typeEbEEZZNS1_14partition_implILS5_0ELb0ES3_jN6thrust23THRUST_200600_302600_NS6detail15normal_iteratorINSA_10device_ptrIxEEEEPS6_SG_NS0_5tupleIJNSA_16discard_iteratorINSA_11use_defaultEEESK_EEENSH_IJSG_SG_EEES6_PlJ7is_evenIxEEEE10hipError_tPvRmT3_T4_T5_T6_T7_T9_mT8_P12ihipStream_tbDpT10_ENKUlT_T0_E_clISt17integral_constantIbLb0EES18_IbLb1EEEEDaS14_S15_EUlS14_E_NS1_11comp_targetILNS1_3genE2ELNS1_11target_archE906ELNS1_3gpuE6ELNS1_3repE0EEENS1_30default_config_static_selectorELNS0_4arch9wavefront6targetE1EEEvT1_,"axG",@progbits,_ZN7rocprim17ROCPRIM_400000_NS6detail17trampoline_kernelINS0_14default_configENS1_25partition_config_selectorILNS1_17partition_subalgoE0ExNS0_10empty_typeEbEEZZNS1_14partition_implILS5_0ELb0ES3_jN6thrust23THRUST_200600_302600_NS6detail15normal_iteratorINSA_10device_ptrIxEEEEPS6_SG_NS0_5tupleIJNSA_16discard_iteratorINSA_11use_defaultEEESK_EEENSH_IJSG_SG_EEES6_PlJ7is_evenIxEEEE10hipError_tPvRmT3_T4_T5_T6_T7_T9_mT8_P12ihipStream_tbDpT10_ENKUlT_T0_E_clISt17integral_constantIbLb0EES18_IbLb1EEEEDaS14_S15_EUlS14_E_NS1_11comp_targetILNS1_3genE2ELNS1_11target_archE906ELNS1_3gpuE6ELNS1_3repE0EEENS1_30default_config_static_selectorELNS0_4arch9wavefront6targetE1EEEvT1_,comdat
.Lfunc_end2615:
	.size	_ZN7rocprim17ROCPRIM_400000_NS6detail17trampoline_kernelINS0_14default_configENS1_25partition_config_selectorILNS1_17partition_subalgoE0ExNS0_10empty_typeEbEEZZNS1_14partition_implILS5_0ELb0ES3_jN6thrust23THRUST_200600_302600_NS6detail15normal_iteratorINSA_10device_ptrIxEEEEPS6_SG_NS0_5tupleIJNSA_16discard_iteratorINSA_11use_defaultEEESK_EEENSH_IJSG_SG_EEES6_PlJ7is_evenIxEEEE10hipError_tPvRmT3_T4_T5_T6_T7_T9_mT8_P12ihipStream_tbDpT10_ENKUlT_T0_E_clISt17integral_constantIbLb0EES18_IbLb1EEEEDaS14_S15_EUlS14_E_NS1_11comp_targetILNS1_3genE2ELNS1_11target_archE906ELNS1_3gpuE6ELNS1_3repE0EEENS1_30default_config_static_selectorELNS0_4arch9wavefront6targetE1EEEvT1_, .Lfunc_end2615-_ZN7rocprim17ROCPRIM_400000_NS6detail17trampoline_kernelINS0_14default_configENS1_25partition_config_selectorILNS1_17partition_subalgoE0ExNS0_10empty_typeEbEEZZNS1_14partition_implILS5_0ELb0ES3_jN6thrust23THRUST_200600_302600_NS6detail15normal_iteratorINSA_10device_ptrIxEEEEPS6_SG_NS0_5tupleIJNSA_16discard_iteratorINSA_11use_defaultEEESK_EEENSH_IJSG_SG_EEES6_PlJ7is_evenIxEEEE10hipError_tPvRmT3_T4_T5_T6_T7_T9_mT8_P12ihipStream_tbDpT10_ENKUlT_T0_E_clISt17integral_constantIbLb0EES18_IbLb1EEEEDaS14_S15_EUlS14_E_NS1_11comp_targetILNS1_3genE2ELNS1_11target_archE906ELNS1_3gpuE6ELNS1_3repE0EEENS1_30default_config_static_selectorELNS0_4arch9wavefront6targetE1EEEvT1_
                                        ; -- End function
	.section	.AMDGPU.csdata,"",@progbits
; Kernel info:
; codeLenInByte = 0
; NumSgprs: 6
; NumVgprs: 0
; NumAgprs: 0
; TotalNumVgprs: 0
; ScratchSize: 0
; MemoryBound: 0
; FloatMode: 240
; IeeeMode: 1
; LDSByteSize: 0 bytes/workgroup (compile time only)
; SGPRBlocks: 0
; VGPRBlocks: 0
; NumSGPRsForWavesPerEU: 6
; NumVGPRsForWavesPerEU: 1
; AccumOffset: 4
; Occupancy: 8
; WaveLimiterHint : 0
; COMPUTE_PGM_RSRC2:SCRATCH_EN: 0
; COMPUTE_PGM_RSRC2:USER_SGPR: 2
; COMPUTE_PGM_RSRC2:TRAP_HANDLER: 0
; COMPUTE_PGM_RSRC2:TGID_X_EN: 1
; COMPUTE_PGM_RSRC2:TGID_Y_EN: 0
; COMPUTE_PGM_RSRC2:TGID_Z_EN: 0
; COMPUTE_PGM_RSRC2:TIDIG_COMP_CNT: 0
; COMPUTE_PGM_RSRC3_GFX90A:ACCUM_OFFSET: 0
; COMPUTE_PGM_RSRC3_GFX90A:TG_SPLIT: 0
	.section	.text._ZN7rocprim17ROCPRIM_400000_NS6detail17trampoline_kernelINS0_14default_configENS1_25partition_config_selectorILNS1_17partition_subalgoE0ExNS0_10empty_typeEbEEZZNS1_14partition_implILS5_0ELb0ES3_jN6thrust23THRUST_200600_302600_NS6detail15normal_iteratorINSA_10device_ptrIxEEEEPS6_SG_NS0_5tupleIJNSA_16discard_iteratorINSA_11use_defaultEEESK_EEENSH_IJSG_SG_EEES6_PlJ7is_evenIxEEEE10hipError_tPvRmT3_T4_T5_T6_T7_T9_mT8_P12ihipStream_tbDpT10_ENKUlT_T0_E_clISt17integral_constantIbLb0EES18_IbLb1EEEEDaS14_S15_EUlS14_E_NS1_11comp_targetILNS1_3genE10ELNS1_11target_archE1200ELNS1_3gpuE4ELNS1_3repE0EEENS1_30default_config_static_selectorELNS0_4arch9wavefront6targetE1EEEvT1_,"axG",@progbits,_ZN7rocprim17ROCPRIM_400000_NS6detail17trampoline_kernelINS0_14default_configENS1_25partition_config_selectorILNS1_17partition_subalgoE0ExNS0_10empty_typeEbEEZZNS1_14partition_implILS5_0ELb0ES3_jN6thrust23THRUST_200600_302600_NS6detail15normal_iteratorINSA_10device_ptrIxEEEEPS6_SG_NS0_5tupleIJNSA_16discard_iteratorINSA_11use_defaultEEESK_EEENSH_IJSG_SG_EEES6_PlJ7is_evenIxEEEE10hipError_tPvRmT3_T4_T5_T6_T7_T9_mT8_P12ihipStream_tbDpT10_ENKUlT_T0_E_clISt17integral_constantIbLb0EES18_IbLb1EEEEDaS14_S15_EUlS14_E_NS1_11comp_targetILNS1_3genE10ELNS1_11target_archE1200ELNS1_3gpuE4ELNS1_3repE0EEENS1_30default_config_static_selectorELNS0_4arch9wavefront6targetE1EEEvT1_,comdat
	.protected	_ZN7rocprim17ROCPRIM_400000_NS6detail17trampoline_kernelINS0_14default_configENS1_25partition_config_selectorILNS1_17partition_subalgoE0ExNS0_10empty_typeEbEEZZNS1_14partition_implILS5_0ELb0ES3_jN6thrust23THRUST_200600_302600_NS6detail15normal_iteratorINSA_10device_ptrIxEEEEPS6_SG_NS0_5tupleIJNSA_16discard_iteratorINSA_11use_defaultEEESK_EEENSH_IJSG_SG_EEES6_PlJ7is_evenIxEEEE10hipError_tPvRmT3_T4_T5_T6_T7_T9_mT8_P12ihipStream_tbDpT10_ENKUlT_T0_E_clISt17integral_constantIbLb0EES18_IbLb1EEEEDaS14_S15_EUlS14_E_NS1_11comp_targetILNS1_3genE10ELNS1_11target_archE1200ELNS1_3gpuE4ELNS1_3repE0EEENS1_30default_config_static_selectorELNS0_4arch9wavefront6targetE1EEEvT1_ ; -- Begin function _ZN7rocprim17ROCPRIM_400000_NS6detail17trampoline_kernelINS0_14default_configENS1_25partition_config_selectorILNS1_17partition_subalgoE0ExNS0_10empty_typeEbEEZZNS1_14partition_implILS5_0ELb0ES3_jN6thrust23THRUST_200600_302600_NS6detail15normal_iteratorINSA_10device_ptrIxEEEEPS6_SG_NS0_5tupleIJNSA_16discard_iteratorINSA_11use_defaultEEESK_EEENSH_IJSG_SG_EEES6_PlJ7is_evenIxEEEE10hipError_tPvRmT3_T4_T5_T6_T7_T9_mT8_P12ihipStream_tbDpT10_ENKUlT_T0_E_clISt17integral_constantIbLb0EES18_IbLb1EEEEDaS14_S15_EUlS14_E_NS1_11comp_targetILNS1_3genE10ELNS1_11target_archE1200ELNS1_3gpuE4ELNS1_3repE0EEENS1_30default_config_static_selectorELNS0_4arch9wavefront6targetE1EEEvT1_
	.globl	_ZN7rocprim17ROCPRIM_400000_NS6detail17trampoline_kernelINS0_14default_configENS1_25partition_config_selectorILNS1_17partition_subalgoE0ExNS0_10empty_typeEbEEZZNS1_14partition_implILS5_0ELb0ES3_jN6thrust23THRUST_200600_302600_NS6detail15normal_iteratorINSA_10device_ptrIxEEEEPS6_SG_NS0_5tupleIJNSA_16discard_iteratorINSA_11use_defaultEEESK_EEENSH_IJSG_SG_EEES6_PlJ7is_evenIxEEEE10hipError_tPvRmT3_T4_T5_T6_T7_T9_mT8_P12ihipStream_tbDpT10_ENKUlT_T0_E_clISt17integral_constantIbLb0EES18_IbLb1EEEEDaS14_S15_EUlS14_E_NS1_11comp_targetILNS1_3genE10ELNS1_11target_archE1200ELNS1_3gpuE4ELNS1_3repE0EEENS1_30default_config_static_selectorELNS0_4arch9wavefront6targetE1EEEvT1_
	.p2align	8
	.type	_ZN7rocprim17ROCPRIM_400000_NS6detail17trampoline_kernelINS0_14default_configENS1_25partition_config_selectorILNS1_17partition_subalgoE0ExNS0_10empty_typeEbEEZZNS1_14partition_implILS5_0ELb0ES3_jN6thrust23THRUST_200600_302600_NS6detail15normal_iteratorINSA_10device_ptrIxEEEEPS6_SG_NS0_5tupleIJNSA_16discard_iteratorINSA_11use_defaultEEESK_EEENSH_IJSG_SG_EEES6_PlJ7is_evenIxEEEE10hipError_tPvRmT3_T4_T5_T6_T7_T9_mT8_P12ihipStream_tbDpT10_ENKUlT_T0_E_clISt17integral_constantIbLb0EES18_IbLb1EEEEDaS14_S15_EUlS14_E_NS1_11comp_targetILNS1_3genE10ELNS1_11target_archE1200ELNS1_3gpuE4ELNS1_3repE0EEENS1_30default_config_static_selectorELNS0_4arch9wavefront6targetE1EEEvT1_,@function
_ZN7rocprim17ROCPRIM_400000_NS6detail17trampoline_kernelINS0_14default_configENS1_25partition_config_selectorILNS1_17partition_subalgoE0ExNS0_10empty_typeEbEEZZNS1_14partition_implILS5_0ELb0ES3_jN6thrust23THRUST_200600_302600_NS6detail15normal_iteratorINSA_10device_ptrIxEEEEPS6_SG_NS0_5tupleIJNSA_16discard_iteratorINSA_11use_defaultEEESK_EEENSH_IJSG_SG_EEES6_PlJ7is_evenIxEEEE10hipError_tPvRmT3_T4_T5_T6_T7_T9_mT8_P12ihipStream_tbDpT10_ENKUlT_T0_E_clISt17integral_constantIbLb0EES18_IbLb1EEEEDaS14_S15_EUlS14_E_NS1_11comp_targetILNS1_3genE10ELNS1_11target_archE1200ELNS1_3gpuE4ELNS1_3repE0EEENS1_30default_config_static_selectorELNS0_4arch9wavefront6targetE1EEEvT1_: ; @_ZN7rocprim17ROCPRIM_400000_NS6detail17trampoline_kernelINS0_14default_configENS1_25partition_config_selectorILNS1_17partition_subalgoE0ExNS0_10empty_typeEbEEZZNS1_14partition_implILS5_0ELb0ES3_jN6thrust23THRUST_200600_302600_NS6detail15normal_iteratorINSA_10device_ptrIxEEEEPS6_SG_NS0_5tupleIJNSA_16discard_iteratorINSA_11use_defaultEEESK_EEENSH_IJSG_SG_EEES6_PlJ7is_evenIxEEEE10hipError_tPvRmT3_T4_T5_T6_T7_T9_mT8_P12ihipStream_tbDpT10_ENKUlT_T0_E_clISt17integral_constantIbLb0EES18_IbLb1EEEEDaS14_S15_EUlS14_E_NS1_11comp_targetILNS1_3genE10ELNS1_11target_archE1200ELNS1_3gpuE4ELNS1_3repE0EEENS1_30default_config_static_selectorELNS0_4arch9wavefront6targetE1EEEvT1_
; %bb.0:
	.section	.rodata,"a",@progbits
	.p2align	6, 0x0
	.amdhsa_kernel _ZN7rocprim17ROCPRIM_400000_NS6detail17trampoline_kernelINS0_14default_configENS1_25partition_config_selectorILNS1_17partition_subalgoE0ExNS0_10empty_typeEbEEZZNS1_14partition_implILS5_0ELb0ES3_jN6thrust23THRUST_200600_302600_NS6detail15normal_iteratorINSA_10device_ptrIxEEEEPS6_SG_NS0_5tupleIJNSA_16discard_iteratorINSA_11use_defaultEEESK_EEENSH_IJSG_SG_EEES6_PlJ7is_evenIxEEEE10hipError_tPvRmT3_T4_T5_T6_T7_T9_mT8_P12ihipStream_tbDpT10_ENKUlT_T0_E_clISt17integral_constantIbLb0EES18_IbLb1EEEEDaS14_S15_EUlS14_E_NS1_11comp_targetILNS1_3genE10ELNS1_11target_archE1200ELNS1_3gpuE4ELNS1_3repE0EEENS1_30default_config_static_selectorELNS0_4arch9wavefront6targetE1EEEvT1_
		.amdhsa_group_segment_fixed_size 0
		.amdhsa_private_segment_fixed_size 0
		.amdhsa_kernarg_size 152
		.amdhsa_user_sgpr_count 2
		.amdhsa_user_sgpr_dispatch_ptr 0
		.amdhsa_user_sgpr_queue_ptr 0
		.amdhsa_user_sgpr_kernarg_segment_ptr 1
		.amdhsa_user_sgpr_dispatch_id 0
		.amdhsa_user_sgpr_kernarg_preload_length 0
		.amdhsa_user_sgpr_kernarg_preload_offset 0
		.amdhsa_user_sgpr_private_segment_size 0
		.amdhsa_uses_dynamic_stack 0
		.amdhsa_enable_private_segment 0
		.amdhsa_system_sgpr_workgroup_id_x 1
		.amdhsa_system_sgpr_workgroup_id_y 0
		.amdhsa_system_sgpr_workgroup_id_z 0
		.amdhsa_system_sgpr_workgroup_info 0
		.amdhsa_system_vgpr_workitem_id 0
		.amdhsa_next_free_vgpr 1
		.amdhsa_next_free_sgpr 0
		.amdhsa_accum_offset 4
		.amdhsa_reserve_vcc 0
		.amdhsa_float_round_mode_32 0
		.amdhsa_float_round_mode_16_64 0
		.amdhsa_float_denorm_mode_32 3
		.amdhsa_float_denorm_mode_16_64 3
		.amdhsa_dx10_clamp 1
		.amdhsa_ieee_mode 1
		.amdhsa_fp16_overflow 0
		.amdhsa_tg_split 0
		.amdhsa_exception_fp_ieee_invalid_op 0
		.amdhsa_exception_fp_denorm_src 0
		.amdhsa_exception_fp_ieee_div_zero 0
		.amdhsa_exception_fp_ieee_overflow 0
		.amdhsa_exception_fp_ieee_underflow 0
		.amdhsa_exception_fp_ieee_inexact 0
		.amdhsa_exception_int_div_zero 0
	.end_amdhsa_kernel
	.section	.text._ZN7rocprim17ROCPRIM_400000_NS6detail17trampoline_kernelINS0_14default_configENS1_25partition_config_selectorILNS1_17partition_subalgoE0ExNS0_10empty_typeEbEEZZNS1_14partition_implILS5_0ELb0ES3_jN6thrust23THRUST_200600_302600_NS6detail15normal_iteratorINSA_10device_ptrIxEEEEPS6_SG_NS0_5tupleIJNSA_16discard_iteratorINSA_11use_defaultEEESK_EEENSH_IJSG_SG_EEES6_PlJ7is_evenIxEEEE10hipError_tPvRmT3_T4_T5_T6_T7_T9_mT8_P12ihipStream_tbDpT10_ENKUlT_T0_E_clISt17integral_constantIbLb0EES18_IbLb1EEEEDaS14_S15_EUlS14_E_NS1_11comp_targetILNS1_3genE10ELNS1_11target_archE1200ELNS1_3gpuE4ELNS1_3repE0EEENS1_30default_config_static_selectorELNS0_4arch9wavefront6targetE1EEEvT1_,"axG",@progbits,_ZN7rocprim17ROCPRIM_400000_NS6detail17trampoline_kernelINS0_14default_configENS1_25partition_config_selectorILNS1_17partition_subalgoE0ExNS0_10empty_typeEbEEZZNS1_14partition_implILS5_0ELb0ES3_jN6thrust23THRUST_200600_302600_NS6detail15normal_iteratorINSA_10device_ptrIxEEEEPS6_SG_NS0_5tupleIJNSA_16discard_iteratorINSA_11use_defaultEEESK_EEENSH_IJSG_SG_EEES6_PlJ7is_evenIxEEEE10hipError_tPvRmT3_T4_T5_T6_T7_T9_mT8_P12ihipStream_tbDpT10_ENKUlT_T0_E_clISt17integral_constantIbLb0EES18_IbLb1EEEEDaS14_S15_EUlS14_E_NS1_11comp_targetILNS1_3genE10ELNS1_11target_archE1200ELNS1_3gpuE4ELNS1_3repE0EEENS1_30default_config_static_selectorELNS0_4arch9wavefront6targetE1EEEvT1_,comdat
.Lfunc_end2616:
	.size	_ZN7rocprim17ROCPRIM_400000_NS6detail17trampoline_kernelINS0_14default_configENS1_25partition_config_selectorILNS1_17partition_subalgoE0ExNS0_10empty_typeEbEEZZNS1_14partition_implILS5_0ELb0ES3_jN6thrust23THRUST_200600_302600_NS6detail15normal_iteratorINSA_10device_ptrIxEEEEPS6_SG_NS0_5tupleIJNSA_16discard_iteratorINSA_11use_defaultEEESK_EEENSH_IJSG_SG_EEES6_PlJ7is_evenIxEEEE10hipError_tPvRmT3_T4_T5_T6_T7_T9_mT8_P12ihipStream_tbDpT10_ENKUlT_T0_E_clISt17integral_constantIbLb0EES18_IbLb1EEEEDaS14_S15_EUlS14_E_NS1_11comp_targetILNS1_3genE10ELNS1_11target_archE1200ELNS1_3gpuE4ELNS1_3repE0EEENS1_30default_config_static_selectorELNS0_4arch9wavefront6targetE1EEEvT1_, .Lfunc_end2616-_ZN7rocprim17ROCPRIM_400000_NS6detail17trampoline_kernelINS0_14default_configENS1_25partition_config_selectorILNS1_17partition_subalgoE0ExNS0_10empty_typeEbEEZZNS1_14partition_implILS5_0ELb0ES3_jN6thrust23THRUST_200600_302600_NS6detail15normal_iteratorINSA_10device_ptrIxEEEEPS6_SG_NS0_5tupleIJNSA_16discard_iteratorINSA_11use_defaultEEESK_EEENSH_IJSG_SG_EEES6_PlJ7is_evenIxEEEE10hipError_tPvRmT3_T4_T5_T6_T7_T9_mT8_P12ihipStream_tbDpT10_ENKUlT_T0_E_clISt17integral_constantIbLb0EES18_IbLb1EEEEDaS14_S15_EUlS14_E_NS1_11comp_targetILNS1_3genE10ELNS1_11target_archE1200ELNS1_3gpuE4ELNS1_3repE0EEENS1_30default_config_static_selectorELNS0_4arch9wavefront6targetE1EEEvT1_
                                        ; -- End function
	.section	.AMDGPU.csdata,"",@progbits
; Kernel info:
; codeLenInByte = 0
; NumSgprs: 6
; NumVgprs: 0
; NumAgprs: 0
; TotalNumVgprs: 0
; ScratchSize: 0
; MemoryBound: 0
; FloatMode: 240
; IeeeMode: 1
; LDSByteSize: 0 bytes/workgroup (compile time only)
; SGPRBlocks: 0
; VGPRBlocks: 0
; NumSGPRsForWavesPerEU: 6
; NumVGPRsForWavesPerEU: 1
; AccumOffset: 4
; Occupancy: 8
; WaveLimiterHint : 0
; COMPUTE_PGM_RSRC2:SCRATCH_EN: 0
; COMPUTE_PGM_RSRC2:USER_SGPR: 2
; COMPUTE_PGM_RSRC2:TRAP_HANDLER: 0
; COMPUTE_PGM_RSRC2:TGID_X_EN: 1
; COMPUTE_PGM_RSRC2:TGID_Y_EN: 0
; COMPUTE_PGM_RSRC2:TGID_Z_EN: 0
; COMPUTE_PGM_RSRC2:TIDIG_COMP_CNT: 0
; COMPUTE_PGM_RSRC3_GFX90A:ACCUM_OFFSET: 0
; COMPUTE_PGM_RSRC3_GFX90A:TG_SPLIT: 0
	.section	.text._ZN7rocprim17ROCPRIM_400000_NS6detail17trampoline_kernelINS0_14default_configENS1_25partition_config_selectorILNS1_17partition_subalgoE0ExNS0_10empty_typeEbEEZZNS1_14partition_implILS5_0ELb0ES3_jN6thrust23THRUST_200600_302600_NS6detail15normal_iteratorINSA_10device_ptrIxEEEEPS6_SG_NS0_5tupleIJNSA_16discard_iteratorINSA_11use_defaultEEESK_EEENSH_IJSG_SG_EEES6_PlJ7is_evenIxEEEE10hipError_tPvRmT3_T4_T5_T6_T7_T9_mT8_P12ihipStream_tbDpT10_ENKUlT_T0_E_clISt17integral_constantIbLb0EES18_IbLb1EEEEDaS14_S15_EUlS14_E_NS1_11comp_targetILNS1_3genE9ELNS1_11target_archE1100ELNS1_3gpuE3ELNS1_3repE0EEENS1_30default_config_static_selectorELNS0_4arch9wavefront6targetE1EEEvT1_,"axG",@progbits,_ZN7rocprim17ROCPRIM_400000_NS6detail17trampoline_kernelINS0_14default_configENS1_25partition_config_selectorILNS1_17partition_subalgoE0ExNS0_10empty_typeEbEEZZNS1_14partition_implILS5_0ELb0ES3_jN6thrust23THRUST_200600_302600_NS6detail15normal_iteratorINSA_10device_ptrIxEEEEPS6_SG_NS0_5tupleIJNSA_16discard_iteratorINSA_11use_defaultEEESK_EEENSH_IJSG_SG_EEES6_PlJ7is_evenIxEEEE10hipError_tPvRmT3_T4_T5_T6_T7_T9_mT8_P12ihipStream_tbDpT10_ENKUlT_T0_E_clISt17integral_constantIbLb0EES18_IbLb1EEEEDaS14_S15_EUlS14_E_NS1_11comp_targetILNS1_3genE9ELNS1_11target_archE1100ELNS1_3gpuE3ELNS1_3repE0EEENS1_30default_config_static_selectorELNS0_4arch9wavefront6targetE1EEEvT1_,comdat
	.protected	_ZN7rocprim17ROCPRIM_400000_NS6detail17trampoline_kernelINS0_14default_configENS1_25partition_config_selectorILNS1_17partition_subalgoE0ExNS0_10empty_typeEbEEZZNS1_14partition_implILS5_0ELb0ES3_jN6thrust23THRUST_200600_302600_NS6detail15normal_iteratorINSA_10device_ptrIxEEEEPS6_SG_NS0_5tupleIJNSA_16discard_iteratorINSA_11use_defaultEEESK_EEENSH_IJSG_SG_EEES6_PlJ7is_evenIxEEEE10hipError_tPvRmT3_T4_T5_T6_T7_T9_mT8_P12ihipStream_tbDpT10_ENKUlT_T0_E_clISt17integral_constantIbLb0EES18_IbLb1EEEEDaS14_S15_EUlS14_E_NS1_11comp_targetILNS1_3genE9ELNS1_11target_archE1100ELNS1_3gpuE3ELNS1_3repE0EEENS1_30default_config_static_selectorELNS0_4arch9wavefront6targetE1EEEvT1_ ; -- Begin function _ZN7rocprim17ROCPRIM_400000_NS6detail17trampoline_kernelINS0_14default_configENS1_25partition_config_selectorILNS1_17partition_subalgoE0ExNS0_10empty_typeEbEEZZNS1_14partition_implILS5_0ELb0ES3_jN6thrust23THRUST_200600_302600_NS6detail15normal_iteratorINSA_10device_ptrIxEEEEPS6_SG_NS0_5tupleIJNSA_16discard_iteratorINSA_11use_defaultEEESK_EEENSH_IJSG_SG_EEES6_PlJ7is_evenIxEEEE10hipError_tPvRmT3_T4_T5_T6_T7_T9_mT8_P12ihipStream_tbDpT10_ENKUlT_T0_E_clISt17integral_constantIbLb0EES18_IbLb1EEEEDaS14_S15_EUlS14_E_NS1_11comp_targetILNS1_3genE9ELNS1_11target_archE1100ELNS1_3gpuE3ELNS1_3repE0EEENS1_30default_config_static_selectorELNS0_4arch9wavefront6targetE1EEEvT1_
	.globl	_ZN7rocprim17ROCPRIM_400000_NS6detail17trampoline_kernelINS0_14default_configENS1_25partition_config_selectorILNS1_17partition_subalgoE0ExNS0_10empty_typeEbEEZZNS1_14partition_implILS5_0ELb0ES3_jN6thrust23THRUST_200600_302600_NS6detail15normal_iteratorINSA_10device_ptrIxEEEEPS6_SG_NS0_5tupleIJNSA_16discard_iteratorINSA_11use_defaultEEESK_EEENSH_IJSG_SG_EEES6_PlJ7is_evenIxEEEE10hipError_tPvRmT3_T4_T5_T6_T7_T9_mT8_P12ihipStream_tbDpT10_ENKUlT_T0_E_clISt17integral_constantIbLb0EES18_IbLb1EEEEDaS14_S15_EUlS14_E_NS1_11comp_targetILNS1_3genE9ELNS1_11target_archE1100ELNS1_3gpuE3ELNS1_3repE0EEENS1_30default_config_static_selectorELNS0_4arch9wavefront6targetE1EEEvT1_
	.p2align	8
	.type	_ZN7rocprim17ROCPRIM_400000_NS6detail17trampoline_kernelINS0_14default_configENS1_25partition_config_selectorILNS1_17partition_subalgoE0ExNS0_10empty_typeEbEEZZNS1_14partition_implILS5_0ELb0ES3_jN6thrust23THRUST_200600_302600_NS6detail15normal_iteratorINSA_10device_ptrIxEEEEPS6_SG_NS0_5tupleIJNSA_16discard_iteratorINSA_11use_defaultEEESK_EEENSH_IJSG_SG_EEES6_PlJ7is_evenIxEEEE10hipError_tPvRmT3_T4_T5_T6_T7_T9_mT8_P12ihipStream_tbDpT10_ENKUlT_T0_E_clISt17integral_constantIbLb0EES18_IbLb1EEEEDaS14_S15_EUlS14_E_NS1_11comp_targetILNS1_3genE9ELNS1_11target_archE1100ELNS1_3gpuE3ELNS1_3repE0EEENS1_30default_config_static_selectorELNS0_4arch9wavefront6targetE1EEEvT1_,@function
_ZN7rocprim17ROCPRIM_400000_NS6detail17trampoline_kernelINS0_14default_configENS1_25partition_config_selectorILNS1_17partition_subalgoE0ExNS0_10empty_typeEbEEZZNS1_14partition_implILS5_0ELb0ES3_jN6thrust23THRUST_200600_302600_NS6detail15normal_iteratorINSA_10device_ptrIxEEEEPS6_SG_NS0_5tupleIJNSA_16discard_iteratorINSA_11use_defaultEEESK_EEENSH_IJSG_SG_EEES6_PlJ7is_evenIxEEEE10hipError_tPvRmT3_T4_T5_T6_T7_T9_mT8_P12ihipStream_tbDpT10_ENKUlT_T0_E_clISt17integral_constantIbLb0EES18_IbLb1EEEEDaS14_S15_EUlS14_E_NS1_11comp_targetILNS1_3genE9ELNS1_11target_archE1100ELNS1_3gpuE3ELNS1_3repE0EEENS1_30default_config_static_selectorELNS0_4arch9wavefront6targetE1EEEvT1_: ; @_ZN7rocprim17ROCPRIM_400000_NS6detail17trampoline_kernelINS0_14default_configENS1_25partition_config_selectorILNS1_17partition_subalgoE0ExNS0_10empty_typeEbEEZZNS1_14partition_implILS5_0ELb0ES3_jN6thrust23THRUST_200600_302600_NS6detail15normal_iteratorINSA_10device_ptrIxEEEEPS6_SG_NS0_5tupleIJNSA_16discard_iteratorINSA_11use_defaultEEESK_EEENSH_IJSG_SG_EEES6_PlJ7is_evenIxEEEE10hipError_tPvRmT3_T4_T5_T6_T7_T9_mT8_P12ihipStream_tbDpT10_ENKUlT_T0_E_clISt17integral_constantIbLb0EES18_IbLb1EEEEDaS14_S15_EUlS14_E_NS1_11comp_targetILNS1_3genE9ELNS1_11target_archE1100ELNS1_3gpuE3ELNS1_3repE0EEENS1_30default_config_static_selectorELNS0_4arch9wavefront6targetE1EEEvT1_
; %bb.0:
	.section	.rodata,"a",@progbits
	.p2align	6, 0x0
	.amdhsa_kernel _ZN7rocprim17ROCPRIM_400000_NS6detail17trampoline_kernelINS0_14default_configENS1_25partition_config_selectorILNS1_17partition_subalgoE0ExNS0_10empty_typeEbEEZZNS1_14partition_implILS5_0ELb0ES3_jN6thrust23THRUST_200600_302600_NS6detail15normal_iteratorINSA_10device_ptrIxEEEEPS6_SG_NS0_5tupleIJNSA_16discard_iteratorINSA_11use_defaultEEESK_EEENSH_IJSG_SG_EEES6_PlJ7is_evenIxEEEE10hipError_tPvRmT3_T4_T5_T6_T7_T9_mT8_P12ihipStream_tbDpT10_ENKUlT_T0_E_clISt17integral_constantIbLb0EES18_IbLb1EEEEDaS14_S15_EUlS14_E_NS1_11comp_targetILNS1_3genE9ELNS1_11target_archE1100ELNS1_3gpuE3ELNS1_3repE0EEENS1_30default_config_static_selectorELNS0_4arch9wavefront6targetE1EEEvT1_
		.amdhsa_group_segment_fixed_size 0
		.amdhsa_private_segment_fixed_size 0
		.amdhsa_kernarg_size 152
		.amdhsa_user_sgpr_count 2
		.amdhsa_user_sgpr_dispatch_ptr 0
		.amdhsa_user_sgpr_queue_ptr 0
		.amdhsa_user_sgpr_kernarg_segment_ptr 1
		.amdhsa_user_sgpr_dispatch_id 0
		.amdhsa_user_sgpr_kernarg_preload_length 0
		.amdhsa_user_sgpr_kernarg_preload_offset 0
		.amdhsa_user_sgpr_private_segment_size 0
		.amdhsa_uses_dynamic_stack 0
		.amdhsa_enable_private_segment 0
		.amdhsa_system_sgpr_workgroup_id_x 1
		.amdhsa_system_sgpr_workgroup_id_y 0
		.amdhsa_system_sgpr_workgroup_id_z 0
		.amdhsa_system_sgpr_workgroup_info 0
		.amdhsa_system_vgpr_workitem_id 0
		.amdhsa_next_free_vgpr 1
		.amdhsa_next_free_sgpr 0
		.amdhsa_accum_offset 4
		.amdhsa_reserve_vcc 0
		.amdhsa_float_round_mode_32 0
		.amdhsa_float_round_mode_16_64 0
		.amdhsa_float_denorm_mode_32 3
		.amdhsa_float_denorm_mode_16_64 3
		.amdhsa_dx10_clamp 1
		.amdhsa_ieee_mode 1
		.amdhsa_fp16_overflow 0
		.amdhsa_tg_split 0
		.amdhsa_exception_fp_ieee_invalid_op 0
		.amdhsa_exception_fp_denorm_src 0
		.amdhsa_exception_fp_ieee_div_zero 0
		.amdhsa_exception_fp_ieee_overflow 0
		.amdhsa_exception_fp_ieee_underflow 0
		.amdhsa_exception_fp_ieee_inexact 0
		.amdhsa_exception_int_div_zero 0
	.end_amdhsa_kernel
	.section	.text._ZN7rocprim17ROCPRIM_400000_NS6detail17trampoline_kernelINS0_14default_configENS1_25partition_config_selectorILNS1_17partition_subalgoE0ExNS0_10empty_typeEbEEZZNS1_14partition_implILS5_0ELb0ES3_jN6thrust23THRUST_200600_302600_NS6detail15normal_iteratorINSA_10device_ptrIxEEEEPS6_SG_NS0_5tupleIJNSA_16discard_iteratorINSA_11use_defaultEEESK_EEENSH_IJSG_SG_EEES6_PlJ7is_evenIxEEEE10hipError_tPvRmT3_T4_T5_T6_T7_T9_mT8_P12ihipStream_tbDpT10_ENKUlT_T0_E_clISt17integral_constantIbLb0EES18_IbLb1EEEEDaS14_S15_EUlS14_E_NS1_11comp_targetILNS1_3genE9ELNS1_11target_archE1100ELNS1_3gpuE3ELNS1_3repE0EEENS1_30default_config_static_selectorELNS0_4arch9wavefront6targetE1EEEvT1_,"axG",@progbits,_ZN7rocprim17ROCPRIM_400000_NS6detail17trampoline_kernelINS0_14default_configENS1_25partition_config_selectorILNS1_17partition_subalgoE0ExNS0_10empty_typeEbEEZZNS1_14partition_implILS5_0ELb0ES3_jN6thrust23THRUST_200600_302600_NS6detail15normal_iteratorINSA_10device_ptrIxEEEEPS6_SG_NS0_5tupleIJNSA_16discard_iteratorINSA_11use_defaultEEESK_EEENSH_IJSG_SG_EEES6_PlJ7is_evenIxEEEE10hipError_tPvRmT3_T4_T5_T6_T7_T9_mT8_P12ihipStream_tbDpT10_ENKUlT_T0_E_clISt17integral_constantIbLb0EES18_IbLb1EEEEDaS14_S15_EUlS14_E_NS1_11comp_targetILNS1_3genE9ELNS1_11target_archE1100ELNS1_3gpuE3ELNS1_3repE0EEENS1_30default_config_static_selectorELNS0_4arch9wavefront6targetE1EEEvT1_,comdat
.Lfunc_end2617:
	.size	_ZN7rocprim17ROCPRIM_400000_NS6detail17trampoline_kernelINS0_14default_configENS1_25partition_config_selectorILNS1_17partition_subalgoE0ExNS0_10empty_typeEbEEZZNS1_14partition_implILS5_0ELb0ES3_jN6thrust23THRUST_200600_302600_NS6detail15normal_iteratorINSA_10device_ptrIxEEEEPS6_SG_NS0_5tupleIJNSA_16discard_iteratorINSA_11use_defaultEEESK_EEENSH_IJSG_SG_EEES6_PlJ7is_evenIxEEEE10hipError_tPvRmT3_T4_T5_T6_T7_T9_mT8_P12ihipStream_tbDpT10_ENKUlT_T0_E_clISt17integral_constantIbLb0EES18_IbLb1EEEEDaS14_S15_EUlS14_E_NS1_11comp_targetILNS1_3genE9ELNS1_11target_archE1100ELNS1_3gpuE3ELNS1_3repE0EEENS1_30default_config_static_selectorELNS0_4arch9wavefront6targetE1EEEvT1_, .Lfunc_end2617-_ZN7rocprim17ROCPRIM_400000_NS6detail17trampoline_kernelINS0_14default_configENS1_25partition_config_selectorILNS1_17partition_subalgoE0ExNS0_10empty_typeEbEEZZNS1_14partition_implILS5_0ELb0ES3_jN6thrust23THRUST_200600_302600_NS6detail15normal_iteratorINSA_10device_ptrIxEEEEPS6_SG_NS0_5tupleIJNSA_16discard_iteratorINSA_11use_defaultEEESK_EEENSH_IJSG_SG_EEES6_PlJ7is_evenIxEEEE10hipError_tPvRmT3_T4_T5_T6_T7_T9_mT8_P12ihipStream_tbDpT10_ENKUlT_T0_E_clISt17integral_constantIbLb0EES18_IbLb1EEEEDaS14_S15_EUlS14_E_NS1_11comp_targetILNS1_3genE9ELNS1_11target_archE1100ELNS1_3gpuE3ELNS1_3repE0EEENS1_30default_config_static_selectorELNS0_4arch9wavefront6targetE1EEEvT1_
                                        ; -- End function
	.section	.AMDGPU.csdata,"",@progbits
; Kernel info:
; codeLenInByte = 0
; NumSgprs: 6
; NumVgprs: 0
; NumAgprs: 0
; TotalNumVgprs: 0
; ScratchSize: 0
; MemoryBound: 0
; FloatMode: 240
; IeeeMode: 1
; LDSByteSize: 0 bytes/workgroup (compile time only)
; SGPRBlocks: 0
; VGPRBlocks: 0
; NumSGPRsForWavesPerEU: 6
; NumVGPRsForWavesPerEU: 1
; AccumOffset: 4
; Occupancy: 8
; WaveLimiterHint : 0
; COMPUTE_PGM_RSRC2:SCRATCH_EN: 0
; COMPUTE_PGM_RSRC2:USER_SGPR: 2
; COMPUTE_PGM_RSRC2:TRAP_HANDLER: 0
; COMPUTE_PGM_RSRC2:TGID_X_EN: 1
; COMPUTE_PGM_RSRC2:TGID_Y_EN: 0
; COMPUTE_PGM_RSRC2:TGID_Z_EN: 0
; COMPUTE_PGM_RSRC2:TIDIG_COMP_CNT: 0
; COMPUTE_PGM_RSRC3_GFX90A:ACCUM_OFFSET: 0
; COMPUTE_PGM_RSRC3_GFX90A:TG_SPLIT: 0
	.section	.text._ZN7rocprim17ROCPRIM_400000_NS6detail17trampoline_kernelINS0_14default_configENS1_25partition_config_selectorILNS1_17partition_subalgoE0ExNS0_10empty_typeEbEEZZNS1_14partition_implILS5_0ELb0ES3_jN6thrust23THRUST_200600_302600_NS6detail15normal_iteratorINSA_10device_ptrIxEEEEPS6_SG_NS0_5tupleIJNSA_16discard_iteratorINSA_11use_defaultEEESK_EEENSH_IJSG_SG_EEES6_PlJ7is_evenIxEEEE10hipError_tPvRmT3_T4_T5_T6_T7_T9_mT8_P12ihipStream_tbDpT10_ENKUlT_T0_E_clISt17integral_constantIbLb0EES18_IbLb1EEEEDaS14_S15_EUlS14_E_NS1_11comp_targetILNS1_3genE8ELNS1_11target_archE1030ELNS1_3gpuE2ELNS1_3repE0EEENS1_30default_config_static_selectorELNS0_4arch9wavefront6targetE1EEEvT1_,"axG",@progbits,_ZN7rocprim17ROCPRIM_400000_NS6detail17trampoline_kernelINS0_14default_configENS1_25partition_config_selectorILNS1_17partition_subalgoE0ExNS0_10empty_typeEbEEZZNS1_14partition_implILS5_0ELb0ES3_jN6thrust23THRUST_200600_302600_NS6detail15normal_iteratorINSA_10device_ptrIxEEEEPS6_SG_NS0_5tupleIJNSA_16discard_iteratorINSA_11use_defaultEEESK_EEENSH_IJSG_SG_EEES6_PlJ7is_evenIxEEEE10hipError_tPvRmT3_T4_T5_T6_T7_T9_mT8_P12ihipStream_tbDpT10_ENKUlT_T0_E_clISt17integral_constantIbLb0EES18_IbLb1EEEEDaS14_S15_EUlS14_E_NS1_11comp_targetILNS1_3genE8ELNS1_11target_archE1030ELNS1_3gpuE2ELNS1_3repE0EEENS1_30default_config_static_selectorELNS0_4arch9wavefront6targetE1EEEvT1_,comdat
	.protected	_ZN7rocprim17ROCPRIM_400000_NS6detail17trampoline_kernelINS0_14default_configENS1_25partition_config_selectorILNS1_17partition_subalgoE0ExNS0_10empty_typeEbEEZZNS1_14partition_implILS5_0ELb0ES3_jN6thrust23THRUST_200600_302600_NS6detail15normal_iteratorINSA_10device_ptrIxEEEEPS6_SG_NS0_5tupleIJNSA_16discard_iteratorINSA_11use_defaultEEESK_EEENSH_IJSG_SG_EEES6_PlJ7is_evenIxEEEE10hipError_tPvRmT3_T4_T5_T6_T7_T9_mT8_P12ihipStream_tbDpT10_ENKUlT_T0_E_clISt17integral_constantIbLb0EES18_IbLb1EEEEDaS14_S15_EUlS14_E_NS1_11comp_targetILNS1_3genE8ELNS1_11target_archE1030ELNS1_3gpuE2ELNS1_3repE0EEENS1_30default_config_static_selectorELNS0_4arch9wavefront6targetE1EEEvT1_ ; -- Begin function _ZN7rocprim17ROCPRIM_400000_NS6detail17trampoline_kernelINS0_14default_configENS1_25partition_config_selectorILNS1_17partition_subalgoE0ExNS0_10empty_typeEbEEZZNS1_14partition_implILS5_0ELb0ES3_jN6thrust23THRUST_200600_302600_NS6detail15normal_iteratorINSA_10device_ptrIxEEEEPS6_SG_NS0_5tupleIJNSA_16discard_iteratorINSA_11use_defaultEEESK_EEENSH_IJSG_SG_EEES6_PlJ7is_evenIxEEEE10hipError_tPvRmT3_T4_T5_T6_T7_T9_mT8_P12ihipStream_tbDpT10_ENKUlT_T0_E_clISt17integral_constantIbLb0EES18_IbLb1EEEEDaS14_S15_EUlS14_E_NS1_11comp_targetILNS1_3genE8ELNS1_11target_archE1030ELNS1_3gpuE2ELNS1_3repE0EEENS1_30default_config_static_selectorELNS0_4arch9wavefront6targetE1EEEvT1_
	.globl	_ZN7rocprim17ROCPRIM_400000_NS6detail17trampoline_kernelINS0_14default_configENS1_25partition_config_selectorILNS1_17partition_subalgoE0ExNS0_10empty_typeEbEEZZNS1_14partition_implILS5_0ELb0ES3_jN6thrust23THRUST_200600_302600_NS6detail15normal_iteratorINSA_10device_ptrIxEEEEPS6_SG_NS0_5tupleIJNSA_16discard_iteratorINSA_11use_defaultEEESK_EEENSH_IJSG_SG_EEES6_PlJ7is_evenIxEEEE10hipError_tPvRmT3_T4_T5_T6_T7_T9_mT8_P12ihipStream_tbDpT10_ENKUlT_T0_E_clISt17integral_constantIbLb0EES18_IbLb1EEEEDaS14_S15_EUlS14_E_NS1_11comp_targetILNS1_3genE8ELNS1_11target_archE1030ELNS1_3gpuE2ELNS1_3repE0EEENS1_30default_config_static_selectorELNS0_4arch9wavefront6targetE1EEEvT1_
	.p2align	8
	.type	_ZN7rocprim17ROCPRIM_400000_NS6detail17trampoline_kernelINS0_14default_configENS1_25partition_config_selectorILNS1_17partition_subalgoE0ExNS0_10empty_typeEbEEZZNS1_14partition_implILS5_0ELb0ES3_jN6thrust23THRUST_200600_302600_NS6detail15normal_iteratorINSA_10device_ptrIxEEEEPS6_SG_NS0_5tupleIJNSA_16discard_iteratorINSA_11use_defaultEEESK_EEENSH_IJSG_SG_EEES6_PlJ7is_evenIxEEEE10hipError_tPvRmT3_T4_T5_T6_T7_T9_mT8_P12ihipStream_tbDpT10_ENKUlT_T0_E_clISt17integral_constantIbLb0EES18_IbLb1EEEEDaS14_S15_EUlS14_E_NS1_11comp_targetILNS1_3genE8ELNS1_11target_archE1030ELNS1_3gpuE2ELNS1_3repE0EEENS1_30default_config_static_selectorELNS0_4arch9wavefront6targetE1EEEvT1_,@function
_ZN7rocprim17ROCPRIM_400000_NS6detail17trampoline_kernelINS0_14default_configENS1_25partition_config_selectorILNS1_17partition_subalgoE0ExNS0_10empty_typeEbEEZZNS1_14partition_implILS5_0ELb0ES3_jN6thrust23THRUST_200600_302600_NS6detail15normal_iteratorINSA_10device_ptrIxEEEEPS6_SG_NS0_5tupleIJNSA_16discard_iteratorINSA_11use_defaultEEESK_EEENSH_IJSG_SG_EEES6_PlJ7is_evenIxEEEE10hipError_tPvRmT3_T4_T5_T6_T7_T9_mT8_P12ihipStream_tbDpT10_ENKUlT_T0_E_clISt17integral_constantIbLb0EES18_IbLb1EEEEDaS14_S15_EUlS14_E_NS1_11comp_targetILNS1_3genE8ELNS1_11target_archE1030ELNS1_3gpuE2ELNS1_3repE0EEENS1_30default_config_static_selectorELNS0_4arch9wavefront6targetE1EEEvT1_: ; @_ZN7rocprim17ROCPRIM_400000_NS6detail17trampoline_kernelINS0_14default_configENS1_25partition_config_selectorILNS1_17partition_subalgoE0ExNS0_10empty_typeEbEEZZNS1_14partition_implILS5_0ELb0ES3_jN6thrust23THRUST_200600_302600_NS6detail15normal_iteratorINSA_10device_ptrIxEEEEPS6_SG_NS0_5tupleIJNSA_16discard_iteratorINSA_11use_defaultEEESK_EEENSH_IJSG_SG_EEES6_PlJ7is_evenIxEEEE10hipError_tPvRmT3_T4_T5_T6_T7_T9_mT8_P12ihipStream_tbDpT10_ENKUlT_T0_E_clISt17integral_constantIbLb0EES18_IbLb1EEEEDaS14_S15_EUlS14_E_NS1_11comp_targetILNS1_3genE8ELNS1_11target_archE1030ELNS1_3gpuE2ELNS1_3repE0EEENS1_30default_config_static_selectorELNS0_4arch9wavefront6targetE1EEEvT1_
; %bb.0:
	.section	.rodata,"a",@progbits
	.p2align	6, 0x0
	.amdhsa_kernel _ZN7rocprim17ROCPRIM_400000_NS6detail17trampoline_kernelINS0_14default_configENS1_25partition_config_selectorILNS1_17partition_subalgoE0ExNS0_10empty_typeEbEEZZNS1_14partition_implILS5_0ELb0ES3_jN6thrust23THRUST_200600_302600_NS6detail15normal_iteratorINSA_10device_ptrIxEEEEPS6_SG_NS0_5tupleIJNSA_16discard_iteratorINSA_11use_defaultEEESK_EEENSH_IJSG_SG_EEES6_PlJ7is_evenIxEEEE10hipError_tPvRmT3_T4_T5_T6_T7_T9_mT8_P12ihipStream_tbDpT10_ENKUlT_T0_E_clISt17integral_constantIbLb0EES18_IbLb1EEEEDaS14_S15_EUlS14_E_NS1_11comp_targetILNS1_3genE8ELNS1_11target_archE1030ELNS1_3gpuE2ELNS1_3repE0EEENS1_30default_config_static_selectorELNS0_4arch9wavefront6targetE1EEEvT1_
		.amdhsa_group_segment_fixed_size 0
		.amdhsa_private_segment_fixed_size 0
		.amdhsa_kernarg_size 152
		.amdhsa_user_sgpr_count 2
		.amdhsa_user_sgpr_dispatch_ptr 0
		.amdhsa_user_sgpr_queue_ptr 0
		.amdhsa_user_sgpr_kernarg_segment_ptr 1
		.amdhsa_user_sgpr_dispatch_id 0
		.amdhsa_user_sgpr_kernarg_preload_length 0
		.amdhsa_user_sgpr_kernarg_preload_offset 0
		.amdhsa_user_sgpr_private_segment_size 0
		.amdhsa_uses_dynamic_stack 0
		.amdhsa_enable_private_segment 0
		.amdhsa_system_sgpr_workgroup_id_x 1
		.amdhsa_system_sgpr_workgroup_id_y 0
		.amdhsa_system_sgpr_workgroup_id_z 0
		.amdhsa_system_sgpr_workgroup_info 0
		.amdhsa_system_vgpr_workitem_id 0
		.amdhsa_next_free_vgpr 1
		.amdhsa_next_free_sgpr 0
		.amdhsa_accum_offset 4
		.amdhsa_reserve_vcc 0
		.amdhsa_float_round_mode_32 0
		.amdhsa_float_round_mode_16_64 0
		.amdhsa_float_denorm_mode_32 3
		.amdhsa_float_denorm_mode_16_64 3
		.amdhsa_dx10_clamp 1
		.amdhsa_ieee_mode 1
		.amdhsa_fp16_overflow 0
		.amdhsa_tg_split 0
		.amdhsa_exception_fp_ieee_invalid_op 0
		.amdhsa_exception_fp_denorm_src 0
		.amdhsa_exception_fp_ieee_div_zero 0
		.amdhsa_exception_fp_ieee_overflow 0
		.amdhsa_exception_fp_ieee_underflow 0
		.amdhsa_exception_fp_ieee_inexact 0
		.amdhsa_exception_int_div_zero 0
	.end_amdhsa_kernel
	.section	.text._ZN7rocprim17ROCPRIM_400000_NS6detail17trampoline_kernelINS0_14default_configENS1_25partition_config_selectorILNS1_17partition_subalgoE0ExNS0_10empty_typeEbEEZZNS1_14partition_implILS5_0ELb0ES3_jN6thrust23THRUST_200600_302600_NS6detail15normal_iteratorINSA_10device_ptrIxEEEEPS6_SG_NS0_5tupleIJNSA_16discard_iteratorINSA_11use_defaultEEESK_EEENSH_IJSG_SG_EEES6_PlJ7is_evenIxEEEE10hipError_tPvRmT3_T4_T5_T6_T7_T9_mT8_P12ihipStream_tbDpT10_ENKUlT_T0_E_clISt17integral_constantIbLb0EES18_IbLb1EEEEDaS14_S15_EUlS14_E_NS1_11comp_targetILNS1_3genE8ELNS1_11target_archE1030ELNS1_3gpuE2ELNS1_3repE0EEENS1_30default_config_static_selectorELNS0_4arch9wavefront6targetE1EEEvT1_,"axG",@progbits,_ZN7rocprim17ROCPRIM_400000_NS6detail17trampoline_kernelINS0_14default_configENS1_25partition_config_selectorILNS1_17partition_subalgoE0ExNS0_10empty_typeEbEEZZNS1_14partition_implILS5_0ELb0ES3_jN6thrust23THRUST_200600_302600_NS6detail15normal_iteratorINSA_10device_ptrIxEEEEPS6_SG_NS0_5tupleIJNSA_16discard_iteratorINSA_11use_defaultEEESK_EEENSH_IJSG_SG_EEES6_PlJ7is_evenIxEEEE10hipError_tPvRmT3_T4_T5_T6_T7_T9_mT8_P12ihipStream_tbDpT10_ENKUlT_T0_E_clISt17integral_constantIbLb0EES18_IbLb1EEEEDaS14_S15_EUlS14_E_NS1_11comp_targetILNS1_3genE8ELNS1_11target_archE1030ELNS1_3gpuE2ELNS1_3repE0EEENS1_30default_config_static_selectorELNS0_4arch9wavefront6targetE1EEEvT1_,comdat
.Lfunc_end2618:
	.size	_ZN7rocprim17ROCPRIM_400000_NS6detail17trampoline_kernelINS0_14default_configENS1_25partition_config_selectorILNS1_17partition_subalgoE0ExNS0_10empty_typeEbEEZZNS1_14partition_implILS5_0ELb0ES3_jN6thrust23THRUST_200600_302600_NS6detail15normal_iteratorINSA_10device_ptrIxEEEEPS6_SG_NS0_5tupleIJNSA_16discard_iteratorINSA_11use_defaultEEESK_EEENSH_IJSG_SG_EEES6_PlJ7is_evenIxEEEE10hipError_tPvRmT3_T4_T5_T6_T7_T9_mT8_P12ihipStream_tbDpT10_ENKUlT_T0_E_clISt17integral_constantIbLb0EES18_IbLb1EEEEDaS14_S15_EUlS14_E_NS1_11comp_targetILNS1_3genE8ELNS1_11target_archE1030ELNS1_3gpuE2ELNS1_3repE0EEENS1_30default_config_static_selectorELNS0_4arch9wavefront6targetE1EEEvT1_, .Lfunc_end2618-_ZN7rocprim17ROCPRIM_400000_NS6detail17trampoline_kernelINS0_14default_configENS1_25partition_config_selectorILNS1_17partition_subalgoE0ExNS0_10empty_typeEbEEZZNS1_14partition_implILS5_0ELb0ES3_jN6thrust23THRUST_200600_302600_NS6detail15normal_iteratorINSA_10device_ptrIxEEEEPS6_SG_NS0_5tupleIJNSA_16discard_iteratorINSA_11use_defaultEEESK_EEENSH_IJSG_SG_EEES6_PlJ7is_evenIxEEEE10hipError_tPvRmT3_T4_T5_T6_T7_T9_mT8_P12ihipStream_tbDpT10_ENKUlT_T0_E_clISt17integral_constantIbLb0EES18_IbLb1EEEEDaS14_S15_EUlS14_E_NS1_11comp_targetILNS1_3genE8ELNS1_11target_archE1030ELNS1_3gpuE2ELNS1_3repE0EEENS1_30default_config_static_selectorELNS0_4arch9wavefront6targetE1EEEvT1_
                                        ; -- End function
	.section	.AMDGPU.csdata,"",@progbits
; Kernel info:
; codeLenInByte = 0
; NumSgprs: 6
; NumVgprs: 0
; NumAgprs: 0
; TotalNumVgprs: 0
; ScratchSize: 0
; MemoryBound: 0
; FloatMode: 240
; IeeeMode: 1
; LDSByteSize: 0 bytes/workgroup (compile time only)
; SGPRBlocks: 0
; VGPRBlocks: 0
; NumSGPRsForWavesPerEU: 6
; NumVGPRsForWavesPerEU: 1
; AccumOffset: 4
; Occupancy: 8
; WaveLimiterHint : 0
; COMPUTE_PGM_RSRC2:SCRATCH_EN: 0
; COMPUTE_PGM_RSRC2:USER_SGPR: 2
; COMPUTE_PGM_RSRC2:TRAP_HANDLER: 0
; COMPUTE_PGM_RSRC2:TGID_X_EN: 1
; COMPUTE_PGM_RSRC2:TGID_Y_EN: 0
; COMPUTE_PGM_RSRC2:TGID_Z_EN: 0
; COMPUTE_PGM_RSRC2:TIDIG_COMP_CNT: 0
; COMPUTE_PGM_RSRC3_GFX90A:ACCUM_OFFSET: 0
; COMPUTE_PGM_RSRC3_GFX90A:TG_SPLIT: 0
	.section	.text._ZN7rocprim17ROCPRIM_400000_NS6detail17trampoline_kernelINS0_14default_configENS1_25partition_config_selectorILNS1_17partition_subalgoE0ExNS0_10empty_typeEbEEZZNS1_14partition_implILS5_0ELb0ES3_jN6thrust23THRUST_200600_302600_NS6detail15normal_iteratorINSA_10device_ptrIxEEEEPS6_SG_NS0_5tupleIJSF_NSA_16discard_iteratorINSA_11use_defaultEEEEEENSH_IJSG_SG_EEES6_PlJ7is_evenIxEEEE10hipError_tPvRmT3_T4_T5_T6_T7_T9_mT8_P12ihipStream_tbDpT10_ENKUlT_T0_E_clISt17integral_constantIbLb0EES19_EEDaS14_S15_EUlS14_E_NS1_11comp_targetILNS1_3genE0ELNS1_11target_archE4294967295ELNS1_3gpuE0ELNS1_3repE0EEENS1_30default_config_static_selectorELNS0_4arch9wavefront6targetE1EEEvT1_,"axG",@progbits,_ZN7rocprim17ROCPRIM_400000_NS6detail17trampoline_kernelINS0_14default_configENS1_25partition_config_selectorILNS1_17partition_subalgoE0ExNS0_10empty_typeEbEEZZNS1_14partition_implILS5_0ELb0ES3_jN6thrust23THRUST_200600_302600_NS6detail15normal_iteratorINSA_10device_ptrIxEEEEPS6_SG_NS0_5tupleIJSF_NSA_16discard_iteratorINSA_11use_defaultEEEEEENSH_IJSG_SG_EEES6_PlJ7is_evenIxEEEE10hipError_tPvRmT3_T4_T5_T6_T7_T9_mT8_P12ihipStream_tbDpT10_ENKUlT_T0_E_clISt17integral_constantIbLb0EES19_EEDaS14_S15_EUlS14_E_NS1_11comp_targetILNS1_3genE0ELNS1_11target_archE4294967295ELNS1_3gpuE0ELNS1_3repE0EEENS1_30default_config_static_selectorELNS0_4arch9wavefront6targetE1EEEvT1_,comdat
	.protected	_ZN7rocprim17ROCPRIM_400000_NS6detail17trampoline_kernelINS0_14default_configENS1_25partition_config_selectorILNS1_17partition_subalgoE0ExNS0_10empty_typeEbEEZZNS1_14partition_implILS5_0ELb0ES3_jN6thrust23THRUST_200600_302600_NS6detail15normal_iteratorINSA_10device_ptrIxEEEEPS6_SG_NS0_5tupleIJSF_NSA_16discard_iteratorINSA_11use_defaultEEEEEENSH_IJSG_SG_EEES6_PlJ7is_evenIxEEEE10hipError_tPvRmT3_T4_T5_T6_T7_T9_mT8_P12ihipStream_tbDpT10_ENKUlT_T0_E_clISt17integral_constantIbLb0EES19_EEDaS14_S15_EUlS14_E_NS1_11comp_targetILNS1_3genE0ELNS1_11target_archE4294967295ELNS1_3gpuE0ELNS1_3repE0EEENS1_30default_config_static_selectorELNS0_4arch9wavefront6targetE1EEEvT1_ ; -- Begin function _ZN7rocprim17ROCPRIM_400000_NS6detail17trampoline_kernelINS0_14default_configENS1_25partition_config_selectorILNS1_17partition_subalgoE0ExNS0_10empty_typeEbEEZZNS1_14partition_implILS5_0ELb0ES3_jN6thrust23THRUST_200600_302600_NS6detail15normal_iteratorINSA_10device_ptrIxEEEEPS6_SG_NS0_5tupleIJSF_NSA_16discard_iteratorINSA_11use_defaultEEEEEENSH_IJSG_SG_EEES6_PlJ7is_evenIxEEEE10hipError_tPvRmT3_T4_T5_T6_T7_T9_mT8_P12ihipStream_tbDpT10_ENKUlT_T0_E_clISt17integral_constantIbLb0EES19_EEDaS14_S15_EUlS14_E_NS1_11comp_targetILNS1_3genE0ELNS1_11target_archE4294967295ELNS1_3gpuE0ELNS1_3repE0EEENS1_30default_config_static_selectorELNS0_4arch9wavefront6targetE1EEEvT1_
	.globl	_ZN7rocprim17ROCPRIM_400000_NS6detail17trampoline_kernelINS0_14default_configENS1_25partition_config_selectorILNS1_17partition_subalgoE0ExNS0_10empty_typeEbEEZZNS1_14partition_implILS5_0ELb0ES3_jN6thrust23THRUST_200600_302600_NS6detail15normal_iteratorINSA_10device_ptrIxEEEEPS6_SG_NS0_5tupleIJSF_NSA_16discard_iteratorINSA_11use_defaultEEEEEENSH_IJSG_SG_EEES6_PlJ7is_evenIxEEEE10hipError_tPvRmT3_T4_T5_T6_T7_T9_mT8_P12ihipStream_tbDpT10_ENKUlT_T0_E_clISt17integral_constantIbLb0EES19_EEDaS14_S15_EUlS14_E_NS1_11comp_targetILNS1_3genE0ELNS1_11target_archE4294967295ELNS1_3gpuE0ELNS1_3repE0EEENS1_30default_config_static_selectorELNS0_4arch9wavefront6targetE1EEEvT1_
	.p2align	8
	.type	_ZN7rocprim17ROCPRIM_400000_NS6detail17trampoline_kernelINS0_14default_configENS1_25partition_config_selectorILNS1_17partition_subalgoE0ExNS0_10empty_typeEbEEZZNS1_14partition_implILS5_0ELb0ES3_jN6thrust23THRUST_200600_302600_NS6detail15normal_iteratorINSA_10device_ptrIxEEEEPS6_SG_NS0_5tupleIJSF_NSA_16discard_iteratorINSA_11use_defaultEEEEEENSH_IJSG_SG_EEES6_PlJ7is_evenIxEEEE10hipError_tPvRmT3_T4_T5_T6_T7_T9_mT8_P12ihipStream_tbDpT10_ENKUlT_T0_E_clISt17integral_constantIbLb0EES19_EEDaS14_S15_EUlS14_E_NS1_11comp_targetILNS1_3genE0ELNS1_11target_archE4294967295ELNS1_3gpuE0ELNS1_3repE0EEENS1_30default_config_static_selectorELNS0_4arch9wavefront6targetE1EEEvT1_,@function
_ZN7rocprim17ROCPRIM_400000_NS6detail17trampoline_kernelINS0_14default_configENS1_25partition_config_selectorILNS1_17partition_subalgoE0ExNS0_10empty_typeEbEEZZNS1_14partition_implILS5_0ELb0ES3_jN6thrust23THRUST_200600_302600_NS6detail15normal_iteratorINSA_10device_ptrIxEEEEPS6_SG_NS0_5tupleIJSF_NSA_16discard_iteratorINSA_11use_defaultEEEEEENSH_IJSG_SG_EEES6_PlJ7is_evenIxEEEE10hipError_tPvRmT3_T4_T5_T6_T7_T9_mT8_P12ihipStream_tbDpT10_ENKUlT_T0_E_clISt17integral_constantIbLb0EES19_EEDaS14_S15_EUlS14_E_NS1_11comp_targetILNS1_3genE0ELNS1_11target_archE4294967295ELNS1_3gpuE0ELNS1_3repE0EEENS1_30default_config_static_selectorELNS0_4arch9wavefront6targetE1EEEvT1_: ; @_ZN7rocprim17ROCPRIM_400000_NS6detail17trampoline_kernelINS0_14default_configENS1_25partition_config_selectorILNS1_17partition_subalgoE0ExNS0_10empty_typeEbEEZZNS1_14partition_implILS5_0ELb0ES3_jN6thrust23THRUST_200600_302600_NS6detail15normal_iteratorINSA_10device_ptrIxEEEEPS6_SG_NS0_5tupleIJSF_NSA_16discard_iteratorINSA_11use_defaultEEEEEENSH_IJSG_SG_EEES6_PlJ7is_evenIxEEEE10hipError_tPvRmT3_T4_T5_T6_T7_T9_mT8_P12ihipStream_tbDpT10_ENKUlT_T0_E_clISt17integral_constantIbLb0EES19_EEDaS14_S15_EUlS14_E_NS1_11comp_targetILNS1_3genE0ELNS1_11target_archE4294967295ELNS1_3gpuE0ELNS1_3repE0EEENS1_30default_config_static_selectorELNS0_4arch9wavefront6targetE1EEEvT1_
; %bb.0:
	.section	.rodata,"a",@progbits
	.p2align	6, 0x0
	.amdhsa_kernel _ZN7rocprim17ROCPRIM_400000_NS6detail17trampoline_kernelINS0_14default_configENS1_25partition_config_selectorILNS1_17partition_subalgoE0ExNS0_10empty_typeEbEEZZNS1_14partition_implILS5_0ELb0ES3_jN6thrust23THRUST_200600_302600_NS6detail15normal_iteratorINSA_10device_ptrIxEEEEPS6_SG_NS0_5tupleIJSF_NSA_16discard_iteratorINSA_11use_defaultEEEEEENSH_IJSG_SG_EEES6_PlJ7is_evenIxEEEE10hipError_tPvRmT3_T4_T5_T6_T7_T9_mT8_P12ihipStream_tbDpT10_ENKUlT_T0_E_clISt17integral_constantIbLb0EES19_EEDaS14_S15_EUlS14_E_NS1_11comp_targetILNS1_3genE0ELNS1_11target_archE4294967295ELNS1_3gpuE0ELNS1_3repE0EEENS1_30default_config_static_selectorELNS0_4arch9wavefront6targetE1EEEvT1_
		.amdhsa_group_segment_fixed_size 0
		.amdhsa_private_segment_fixed_size 0
		.amdhsa_kernarg_size 128
		.amdhsa_user_sgpr_count 2
		.amdhsa_user_sgpr_dispatch_ptr 0
		.amdhsa_user_sgpr_queue_ptr 0
		.amdhsa_user_sgpr_kernarg_segment_ptr 1
		.amdhsa_user_sgpr_dispatch_id 0
		.amdhsa_user_sgpr_kernarg_preload_length 0
		.amdhsa_user_sgpr_kernarg_preload_offset 0
		.amdhsa_user_sgpr_private_segment_size 0
		.amdhsa_uses_dynamic_stack 0
		.amdhsa_enable_private_segment 0
		.amdhsa_system_sgpr_workgroup_id_x 1
		.amdhsa_system_sgpr_workgroup_id_y 0
		.amdhsa_system_sgpr_workgroup_id_z 0
		.amdhsa_system_sgpr_workgroup_info 0
		.amdhsa_system_vgpr_workitem_id 0
		.amdhsa_next_free_vgpr 1
		.amdhsa_next_free_sgpr 0
		.amdhsa_accum_offset 4
		.amdhsa_reserve_vcc 0
		.amdhsa_float_round_mode_32 0
		.amdhsa_float_round_mode_16_64 0
		.amdhsa_float_denorm_mode_32 3
		.amdhsa_float_denorm_mode_16_64 3
		.amdhsa_dx10_clamp 1
		.amdhsa_ieee_mode 1
		.amdhsa_fp16_overflow 0
		.amdhsa_tg_split 0
		.amdhsa_exception_fp_ieee_invalid_op 0
		.amdhsa_exception_fp_denorm_src 0
		.amdhsa_exception_fp_ieee_div_zero 0
		.amdhsa_exception_fp_ieee_overflow 0
		.amdhsa_exception_fp_ieee_underflow 0
		.amdhsa_exception_fp_ieee_inexact 0
		.amdhsa_exception_int_div_zero 0
	.end_amdhsa_kernel
	.section	.text._ZN7rocprim17ROCPRIM_400000_NS6detail17trampoline_kernelINS0_14default_configENS1_25partition_config_selectorILNS1_17partition_subalgoE0ExNS0_10empty_typeEbEEZZNS1_14partition_implILS5_0ELb0ES3_jN6thrust23THRUST_200600_302600_NS6detail15normal_iteratorINSA_10device_ptrIxEEEEPS6_SG_NS0_5tupleIJSF_NSA_16discard_iteratorINSA_11use_defaultEEEEEENSH_IJSG_SG_EEES6_PlJ7is_evenIxEEEE10hipError_tPvRmT3_T4_T5_T6_T7_T9_mT8_P12ihipStream_tbDpT10_ENKUlT_T0_E_clISt17integral_constantIbLb0EES19_EEDaS14_S15_EUlS14_E_NS1_11comp_targetILNS1_3genE0ELNS1_11target_archE4294967295ELNS1_3gpuE0ELNS1_3repE0EEENS1_30default_config_static_selectorELNS0_4arch9wavefront6targetE1EEEvT1_,"axG",@progbits,_ZN7rocprim17ROCPRIM_400000_NS6detail17trampoline_kernelINS0_14default_configENS1_25partition_config_selectorILNS1_17partition_subalgoE0ExNS0_10empty_typeEbEEZZNS1_14partition_implILS5_0ELb0ES3_jN6thrust23THRUST_200600_302600_NS6detail15normal_iteratorINSA_10device_ptrIxEEEEPS6_SG_NS0_5tupleIJSF_NSA_16discard_iteratorINSA_11use_defaultEEEEEENSH_IJSG_SG_EEES6_PlJ7is_evenIxEEEE10hipError_tPvRmT3_T4_T5_T6_T7_T9_mT8_P12ihipStream_tbDpT10_ENKUlT_T0_E_clISt17integral_constantIbLb0EES19_EEDaS14_S15_EUlS14_E_NS1_11comp_targetILNS1_3genE0ELNS1_11target_archE4294967295ELNS1_3gpuE0ELNS1_3repE0EEENS1_30default_config_static_selectorELNS0_4arch9wavefront6targetE1EEEvT1_,comdat
.Lfunc_end2619:
	.size	_ZN7rocprim17ROCPRIM_400000_NS6detail17trampoline_kernelINS0_14default_configENS1_25partition_config_selectorILNS1_17partition_subalgoE0ExNS0_10empty_typeEbEEZZNS1_14partition_implILS5_0ELb0ES3_jN6thrust23THRUST_200600_302600_NS6detail15normal_iteratorINSA_10device_ptrIxEEEEPS6_SG_NS0_5tupleIJSF_NSA_16discard_iteratorINSA_11use_defaultEEEEEENSH_IJSG_SG_EEES6_PlJ7is_evenIxEEEE10hipError_tPvRmT3_T4_T5_T6_T7_T9_mT8_P12ihipStream_tbDpT10_ENKUlT_T0_E_clISt17integral_constantIbLb0EES19_EEDaS14_S15_EUlS14_E_NS1_11comp_targetILNS1_3genE0ELNS1_11target_archE4294967295ELNS1_3gpuE0ELNS1_3repE0EEENS1_30default_config_static_selectorELNS0_4arch9wavefront6targetE1EEEvT1_, .Lfunc_end2619-_ZN7rocprim17ROCPRIM_400000_NS6detail17trampoline_kernelINS0_14default_configENS1_25partition_config_selectorILNS1_17partition_subalgoE0ExNS0_10empty_typeEbEEZZNS1_14partition_implILS5_0ELb0ES3_jN6thrust23THRUST_200600_302600_NS6detail15normal_iteratorINSA_10device_ptrIxEEEEPS6_SG_NS0_5tupleIJSF_NSA_16discard_iteratorINSA_11use_defaultEEEEEENSH_IJSG_SG_EEES6_PlJ7is_evenIxEEEE10hipError_tPvRmT3_T4_T5_T6_T7_T9_mT8_P12ihipStream_tbDpT10_ENKUlT_T0_E_clISt17integral_constantIbLb0EES19_EEDaS14_S15_EUlS14_E_NS1_11comp_targetILNS1_3genE0ELNS1_11target_archE4294967295ELNS1_3gpuE0ELNS1_3repE0EEENS1_30default_config_static_selectorELNS0_4arch9wavefront6targetE1EEEvT1_
                                        ; -- End function
	.section	.AMDGPU.csdata,"",@progbits
; Kernel info:
; codeLenInByte = 0
; NumSgprs: 6
; NumVgprs: 0
; NumAgprs: 0
; TotalNumVgprs: 0
; ScratchSize: 0
; MemoryBound: 0
; FloatMode: 240
; IeeeMode: 1
; LDSByteSize: 0 bytes/workgroup (compile time only)
; SGPRBlocks: 0
; VGPRBlocks: 0
; NumSGPRsForWavesPerEU: 6
; NumVGPRsForWavesPerEU: 1
; AccumOffset: 4
; Occupancy: 8
; WaveLimiterHint : 0
; COMPUTE_PGM_RSRC2:SCRATCH_EN: 0
; COMPUTE_PGM_RSRC2:USER_SGPR: 2
; COMPUTE_PGM_RSRC2:TRAP_HANDLER: 0
; COMPUTE_PGM_RSRC2:TGID_X_EN: 1
; COMPUTE_PGM_RSRC2:TGID_Y_EN: 0
; COMPUTE_PGM_RSRC2:TGID_Z_EN: 0
; COMPUTE_PGM_RSRC2:TIDIG_COMP_CNT: 0
; COMPUTE_PGM_RSRC3_GFX90A:ACCUM_OFFSET: 0
; COMPUTE_PGM_RSRC3_GFX90A:TG_SPLIT: 0
	.section	.text._ZN7rocprim17ROCPRIM_400000_NS6detail17trampoline_kernelINS0_14default_configENS1_25partition_config_selectorILNS1_17partition_subalgoE0ExNS0_10empty_typeEbEEZZNS1_14partition_implILS5_0ELb0ES3_jN6thrust23THRUST_200600_302600_NS6detail15normal_iteratorINSA_10device_ptrIxEEEEPS6_SG_NS0_5tupleIJSF_NSA_16discard_iteratorINSA_11use_defaultEEEEEENSH_IJSG_SG_EEES6_PlJ7is_evenIxEEEE10hipError_tPvRmT3_T4_T5_T6_T7_T9_mT8_P12ihipStream_tbDpT10_ENKUlT_T0_E_clISt17integral_constantIbLb0EES19_EEDaS14_S15_EUlS14_E_NS1_11comp_targetILNS1_3genE5ELNS1_11target_archE942ELNS1_3gpuE9ELNS1_3repE0EEENS1_30default_config_static_selectorELNS0_4arch9wavefront6targetE1EEEvT1_,"axG",@progbits,_ZN7rocprim17ROCPRIM_400000_NS6detail17trampoline_kernelINS0_14default_configENS1_25partition_config_selectorILNS1_17partition_subalgoE0ExNS0_10empty_typeEbEEZZNS1_14partition_implILS5_0ELb0ES3_jN6thrust23THRUST_200600_302600_NS6detail15normal_iteratorINSA_10device_ptrIxEEEEPS6_SG_NS0_5tupleIJSF_NSA_16discard_iteratorINSA_11use_defaultEEEEEENSH_IJSG_SG_EEES6_PlJ7is_evenIxEEEE10hipError_tPvRmT3_T4_T5_T6_T7_T9_mT8_P12ihipStream_tbDpT10_ENKUlT_T0_E_clISt17integral_constantIbLb0EES19_EEDaS14_S15_EUlS14_E_NS1_11comp_targetILNS1_3genE5ELNS1_11target_archE942ELNS1_3gpuE9ELNS1_3repE0EEENS1_30default_config_static_selectorELNS0_4arch9wavefront6targetE1EEEvT1_,comdat
	.protected	_ZN7rocprim17ROCPRIM_400000_NS6detail17trampoline_kernelINS0_14default_configENS1_25partition_config_selectorILNS1_17partition_subalgoE0ExNS0_10empty_typeEbEEZZNS1_14partition_implILS5_0ELb0ES3_jN6thrust23THRUST_200600_302600_NS6detail15normal_iteratorINSA_10device_ptrIxEEEEPS6_SG_NS0_5tupleIJSF_NSA_16discard_iteratorINSA_11use_defaultEEEEEENSH_IJSG_SG_EEES6_PlJ7is_evenIxEEEE10hipError_tPvRmT3_T4_T5_T6_T7_T9_mT8_P12ihipStream_tbDpT10_ENKUlT_T0_E_clISt17integral_constantIbLb0EES19_EEDaS14_S15_EUlS14_E_NS1_11comp_targetILNS1_3genE5ELNS1_11target_archE942ELNS1_3gpuE9ELNS1_3repE0EEENS1_30default_config_static_selectorELNS0_4arch9wavefront6targetE1EEEvT1_ ; -- Begin function _ZN7rocprim17ROCPRIM_400000_NS6detail17trampoline_kernelINS0_14default_configENS1_25partition_config_selectorILNS1_17partition_subalgoE0ExNS0_10empty_typeEbEEZZNS1_14partition_implILS5_0ELb0ES3_jN6thrust23THRUST_200600_302600_NS6detail15normal_iteratorINSA_10device_ptrIxEEEEPS6_SG_NS0_5tupleIJSF_NSA_16discard_iteratorINSA_11use_defaultEEEEEENSH_IJSG_SG_EEES6_PlJ7is_evenIxEEEE10hipError_tPvRmT3_T4_T5_T6_T7_T9_mT8_P12ihipStream_tbDpT10_ENKUlT_T0_E_clISt17integral_constantIbLb0EES19_EEDaS14_S15_EUlS14_E_NS1_11comp_targetILNS1_3genE5ELNS1_11target_archE942ELNS1_3gpuE9ELNS1_3repE0EEENS1_30default_config_static_selectorELNS0_4arch9wavefront6targetE1EEEvT1_
	.globl	_ZN7rocprim17ROCPRIM_400000_NS6detail17trampoline_kernelINS0_14default_configENS1_25partition_config_selectorILNS1_17partition_subalgoE0ExNS0_10empty_typeEbEEZZNS1_14partition_implILS5_0ELb0ES3_jN6thrust23THRUST_200600_302600_NS6detail15normal_iteratorINSA_10device_ptrIxEEEEPS6_SG_NS0_5tupleIJSF_NSA_16discard_iteratorINSA_11use_defaultEEEEEENSH_IJSG_SG_EEES6_PlJ7is_evenIxEEEE10hipError_tPvRmT3_T4_T5_T6_T7_T9_mT8_P12ihipStream_tbDpT10_ENKUlT_T0_E_clISt17integral_constantIbLb0EES19_EEDaS14_S15_EUlS14_E_NS1_11comp_targetILNS1_3genE5ELNS1_11target_archE942ELNS1_3gpuE9ELNS1_3repE0EEENS1_30default_config_static_selectorELNS0_4arch9wavefront6targetE1EEEvT1_
	.p2align	8
	.type	_ZN7rocprim17ROCPRIM_400000_NS6detail17trampoline_kernelINS0_14default_configENS1_25partition_config_selectorILNS1_17partition_subalgoE0ExNS0_10empty_typeEbEEZZNS1_14partition_implILS5_0ELb0ES3_jN6thrust23THRUST_200600_302600_NS6detail15normal_iteratorINSA_10device_ptrIxEEEEPS6_SG_NS0_5tupleIJSF_NSA_16discard_iteratorINSA_11use_defaultEEEEEENSH_IJSG_SG_EEES6_PlJ7is_evenIxEEEE10hipError_tPvRmT3_T4_T5_T6_T7_T9_mT8_P12ihipStream_tbDpT10_ENKUlT_T0_E_clISt17integral_constantIbLb0EES19_EEDaS14_S15_EUlS14_E_NS1_11comp_targetILNS1_3genE5ELNS1_11target_archE942ELNS1_3gpuE9ELNS1_3repE0EEENS1_30default_config_static_selectorELNS0_4arch9wavefront6targetE1EEEvT1_,@function
_ZN7rocprim17ROCPRIM_400000_NS6detail17trampoline_kernelINS0_14default_configENS1_25partition_config_selectorILNS1_17partition_subalgoE0ExNS0_10empty_typeEbEEZZNS1_14partition_implILS5_0ELb0ES3_jN6thrust23THRUST_200600_302600_NS6detail15normal_iteratorINSA_10device_ptrIxEEEEPS6_SG_NS0_5tupleIJSF_NSA_16discard_iteratorINSA_11use_defaultEEEEEENSH_IJSG_SG_EEES6_PlJ7is_evenIxEEEE10hipError_tPvRmT3_T4_T5_T6_T7_T9_mT8_P12ihipStream_tbDpT10_ENKUlT_T0_E_clISt17integral_constantIbLb0EES19_EEDaS14_S15_EUlS14_E_NS1_11comp_targetILNS1_3genE5ELNS1_11target_archE942ELNS1_3gpuE9ELNS1_3repE0EEENS1_30default_config_static_selectorELNS0_4arch9wavefront6targetE1EEEvT1_: ; @_ZN7rocprim17ROCPRIM_400000_NS6detail17trampoline_kernelINS0_14default_configENS1_25partition_config_selectorILNS1_17partition_subalgoE0ExNS0_10empty_typeEbEEZZNS1_14partition_implILS5_0ELb0ES3_jN6thrust23THRUST_200600_302600_NS6detail15normal_iteratorINSA_10device_ptrIxEEEEPS6_SG_NS0_5tupleIJSF_NSA_16discard_iteratorINSA_11use_defaultEEEEEENSH_IJSG_SG_EEES6_PlJ7is_evenIxEEEE10hipError_tPvRmT3_T4_T5_T6_T7_T9_mT8_P12ihipStream_tbDpT10_ENKUlT_T0_E_clISt17integral_constantIbLb0EES19_EEDaS14_S15_EUlS14_E_NS1_11comp_targetILNS1_3genE5ELNS1_11target_archE942ELNS1_3gpuE9ELNS1_3repE0EEENS1_30default_config_static_selectorELNS0_4arch9wavefront6targetE1EEEvT1_
; %bb.0:
	s_load_dwordx2 s[8:9], s[0:1], 0x60
	s_load_dwordx4 s[4:7], s[0:1], 0x8
	s_load_dwordx4 s[24:27], s[0:1], 0x50
	s_load_dword s3, s[0:1], 0x78
	v_lshlrev_b32_e32 v18, 3, v0
	s_waitcnt lgkmcnt(0)
	v_mov_b32_e32 v3, s9
	s_lshl_b64 s[10:11], s[6:7], 3
	s_add_u32 s9, s4, s10
	s_addc_u32 s12, s5, s11
	s_add_i32 s13, s3, -1
	s_mulk_i32 s3, 0xe00
	s_add_i32 s4, s3, s6
	s_sub_i32 s33, s8, s4
	s_add_u32 s4, s6, s3
	s_addc_u32 s5, s7, 0
	s_cmp_eq_u32 s2, s13
	v_mov_b32_e32 v2, s8
	s_load_dwordx2 s[22:23], s[26:27], 0x0
	s_cselect_b64 s[26:27], -1, 0
	s_cmp_lg_u32 s2, s13
	s_mul_i32 s10, s2, 0xe00
	s_mov_b32 s11, 0
	v_cmp_lt_u64_e32 vcc, s[4:5], v[2:3]
	s_cselect_b64 s[4:5], -1, 0
	s_or_b64 s[4:5], s[4:5], vcc
	s_lshl_b64 s[6:7], s[10:11], 3
	s_add_u32 s6, s9, s6
	s_addc_u32 s7, s12, s7
	s_mov_b64 s[8:9], -1
	s_and_b64 vcc, exec, s[4:5]
	s_cbranch_vccz .LBB2620_2
; %bb.1:
	v_mov_b32_e32 v19, 0
	v_lshl_add_u64 v[2:3], s[6:7], 0, v[18:19]
	v_add_co_u32_e32 v4, vcc, 0x1000, v2
	s_mov_b64 s[8:9], 0
	s_nop 0
	v_addc_co_u32_e32 v5, vcc, 0, v3, vcc
	v_add_co_u32_e32 v6, vcc, 0x2000, v2
	s_nop 1
	v_addc_co_u32_e32 v7, vcc, 0, v3, vcc
	v_add_co_u32_e32 v8, vcc, 0x3000, v2
	s_nop 1
	v_addc_co_u32_e32 v9, vcc, 0, v3, vcc
	flat_load_dwordx2 v[10:11], v[2:3]
	flat_load_dwordx2 v[12:13], v[4:5]
	;; [unrolled: 1-line block ×4, first 2 shown]
	v_add_co_u32_e32 v4, vcc, 0x4000, v2
	s_nop 1
	v_addc_co_u32_e32 v5, vcc, 0, v3, vcc
	v_add_co_u32_e32 v6, vcc, 0x5000, v2
	s_nop 1
	v_addc_co_u32_e32 v7, vcc, 0, v3, vcc
	v_add_co_u32_e32 v2, vcc, 0x6000, v2
	s_nop 1
	v_addc_co_u32_e32 v3, vcc, 0, v3, vcc
	flat_load_dwordx2 v[8:9], v[4:5]
	flat_load_dwordx2 v[20:21], v[6:7]
	flat_load_dwordx2 v[22:23], v[2:3]
	s_waitcnt vmcnt(0) lgkmcnt(0)
	ds_write2st64_b64 v18, v[10:11], v[12:13] offset1:8
	ds_write2st64_b64 v18, v[14:15], v[16:17] offset0:16 offset1:24
	ds_write2st64_b64 v18, v[8:9], v[20:21] offset0:32 offset1:40
	ds_write_b64 v18, v[22:23] offset:24576
	s_waitcnt lgkmcnt(0)
	s_barrier
.LBB2620_2:
	s_andn2_b64 vcc, exec, s[8:9]
	s_addk_i32 s33, 0xe00
	s_cbranch_vccnz .LBB2620_18
; %bb.3:
	v_cmp_gt_u32_e32 vcc, s33, v0
                                        ; implicit-def: $vgpr2_vgpr3_vgpr4_vgpr5_vgpr6_vgpr7_vgpr8_vgpr9_vgpr10_vgpr11_vgpr12_vgpr13_vgpr14_vgpr15_vgpr16_vgpr17
	s_and_saveexec_b64 s[8:9], vcc
	s_cbranch_execz .LBB2620_5
; %bb.4:
	v_mov_b32_e32 v19, 0
	v_lshl_add_u64 v[2:3], s[6:7], 0, v[18:19]
	flat_load_dwordx2 v[2:3], v[2:3]
.LBB2620_5:
	s_or_b64 exec, exec, s[8:9]
	v_or_b32_e32 v1, 0x200, v0
	v_cmp_gt_u32_e32 vcc, s33, v1
	s_and_saveexec_b64 s[8:9], vcc
	s_cbranch_execz .LBB2620_7
; %bb.6:
	v_lshlrev_b32_e32 v4, 3, v1
	v_mov_b32_e32 v5, 0
	v_lshl_add_u64 v[4:5], s[6:7], 0, v[4:5]
	flat_load_dwordx2 v[4:5], v[4:5]
.LBB2620_7:
	s_or_b64 exec, exec, s[8:9]
	v_or_b32_e32 v1, 0x400, v0
	v_cmp_gt_u32_e32 vcc, s33, v1
	s_and_saveexec_b64 s[8:9], vcc
	s_cbranch_execz .LBB2620_9
; %bb.8:
	v_lshlrev_b32_e32 v6, 3, v1
	v_mov_b32_e32 v7, 0
	v_lshl_add_u64 v[6:7], s[6:7], 0, v[6:7]
	flat_load_dwordx2 v[6:7], v[6:7]
.LBB2620_9:
	;; [unrolled: 11-line block ×6, first 2 shown]
	s_or_b64 exec, exec, s[8:9]
	s_waitcnt vmcnt(0) lgkmcnt(0)
	ds_write2st64_b64 v18, v[2:3], v[4:5] offset1:8
	ds_write2st64_b64 v18, v[6:7], v[8:9] offset0:16 offset1:24
	ds_write2st64_b64 v18, v[10:11], v[12:13] offset0:32 offset1:40
	ds_write_b64 v18, v[14:15] offset:24576
	s_waitcnt lgkmcnt(0)
	s_barrier
.LBB2620_18:
	v_mul_u32_u24_e32 v1, 7, v0
	v_lshlrev_b32_e32 v32, 3, v1
	s_waitcnt lgkmcnt(0)
	ds_read2_b64 v[10:13], v32 offset1:1
	ds_read2_b64 v[6:9], v32 offset0:2 offset1:3
	ds_read2_b64 v[2:5], v32 offset0:4 offset1:5
	ds_read_b64 v[14:15], v32 offset:48
	v_cndmask_b32_e64 v16, 0, 1, s[4:5]
	v_cmp_ne_u32_e64 s[20:21], 1, v16
	s_andn2_b64 vcc, exec, s[4:5]
	s_waitcnt lgkmcnt(3)
	v_xor_b32_e32 v24, -1, v10
	v_xor_b32_e32 v23, -1, v12
	s_waitcnt lgkmcnt(2)
	v_xor_b32_e32 v22, -1, v6
	v_xor_b32_e32 v21, -1, v8
	;; [unrolled: 3-line block ×3, first 2 shown]
	s_waitcnt lgkmcnt(0)
	v_xor_b32_e32 v16, -1, v14
	s_barrier
	s_cbranch_vccnz .LBB2620_20
; %bb.19:
	v_mov_b32_e32 v19, 1
	v_and_b32_e32 v25, 1, v24
	v_and_b32_sdwa v26, v23, v19 dst_sel:BYTE_1 dst_unused:UNUSED_PAD src0_sel:DWORD src1_sel:DWORD
	v_and_b32_e32 v27, 1, v22
	v_and_b32_sdwa v30, v21, v19 dst_sel:BYTE_1 dst_unused:UNUSED_PAD src0_sel:DWORD src1_sel:DWORD
	v_or_b32_e32 v25, v25, v26
	v_or_b32_sdwa v26, v27, v30 dst_sel:WORD_1 dst_unused:UNUSED_PAD src0_sel:DWORD src1_sel:DWORD
	v_and_b32_e32 v29, 1, v20
	v_and_b32_e32 v28, 1, v17
	v_and_b32_e32 v19, 1, v16
	v_or_b32_sdwa v30, v25, v26 dst_sel:DWORD dst_unused:UNUSED_PAD src0_sel:WORD_0 src1_sel:DWORD
	s_load_dwordx2 s[28:29], s[0:1], 0x70
	s_cbranch_execz .LBB2620_21
	s_branch .LBB2620_22
.LBB2620_20:
                                        ; implicit-def: $vgpr19
                                        ; implicit-def: $vgpr28
                                        ; implicit-def: $vgpr29
                                        ; implicit-def: $vgpr30
	s_load_dwordx2 s[28:29], s[0:1], 0x70
.LBB2620_21:
	v_add_u32_e32 v19, 1, v1
	v_cmp_gt_u32_e32 vcc, s33, v1
	v_add_u32_e32 v25, 2, v1
	v_add_u32_e32 v26, 3, v1
	v_cndmask_b32_e64 v29, 0, 1, vcc
	v_cmp_gt_u32_e32 vcc, s33, v19
	v_add_u32_e32 v27, 4, v1
	v_add_u32_e32 v28, 5, v1
	v_cndmask_b32_e64 v19, 0, 1, vcc
	v_cmp_gt_u32_e32 vcc, s33, v25
	v_and_b32_sdwa v23, v19, v23 dst_sel:BYTE_1 dst_unused:UNUSED_PAD src0_sel:DWORD src1_sel:DWORD
	v_add_u32_e32 v30, 6, v1
	v_cndmask_b32_e64 v19, 0, 1, vcc
	v_cmp_gt_u32_e32 vcc, s33, v26
	v_and_b32_e32 v22, v19, v22
	v_and_b32_e32 v24, v29, v24
	v_cndmask_b32_e64 v19, 0, 1, vcc
	v_cmp_gt_u32_e32 vcc, s33, v27
	v_and_b32_sdwa v21, v19, v21 dst_sel:BYTE_1 dst_unused:UNUSED_PAD src0_sel:DWORD src1_sel:DWORD
	s_nop 0
	v_cndmask_b32_e64 v19, 0, 1, vcc
	v_cmp_gt_u32_e32 vcc, s33, v28
	v_and_b32_e32 v29, v19, v20
	s_nop 0
	v_cndmask_b32_e64 v19, 0, 1, vcc
	v_cmp_gt_u32_e32 vcc, s33, v30
	v_and_b32_e32 v28, v19, v17
	s_nop 0
	v_cndmask_b32_e64 v17, 0, 1, vcc
	v_and_b32_e32 v19, v17, v16
	v_or_b32_e32 v16, v24, v23
	v_or_b32_sdwa v17, v22, v21 dst_sel:WORD_1 dst_unused:UNUSED_PAD src0_sel:DWORD src1_sel:DWORD
	s_nop 0
	v_or_b32_sdwa v30, v16, v17 dst_sel:DWORD dst_unused:UNUSED_PAD src0_sel:WORD_0 src1_sel:DWORD
.LBB2620_22:
	v_and_b32_e32 v33, 0xff, v30
	v_bfe_u32 v34, v30, 8, 8
	v_bfe_u32 v35, v30, 16, 8
	v_lshrrev_b32_e32 v31, 24, v30
	v_and_b32_e32 v36, 0xff, v29
	v_add3_u32 v17, v34, v33, v35
	v_and_b32_e32 v37, 0xff, v28
	v_and_b32_e32 v16, 0xff, v19
	v_add3_u32 v17, v17, v31, v36
	v_add3_u32 v40, v17, v37, v16
	v_mbcnt_lo_u32_b32 v16, -1, 0
	v_mbcnt_hi_u32_b32 v38, -1, v16
	v_and_b32_e32 v16, 15, v38
	v_cmp_eq_u32_e64 s[16:17], 0, v16
	v_cmp_lt_u32_e64 s[14:15], 1, v16
	v_cmp_lt_u32_e64 s[12:13], 3, v16
	;; [unrolled: 1-line block ×3, first 2 shown]
	v_and_b32_e32 v16, 16, v38
	v_cmp_eq_u32_e64 s[8:9], 0, v16
	v_or_b32_e32 v16, 63, v0
	s_cmp_lg_u32 s2, 0
	v_cmp_lt_u32_e64 s[4:5], 31, v38
	v_lshrrev_b32_e32 v39, 6, v0
	v_cmp_eq_u32_e64 s[6:7], v16, v0
	s_cbranch_scc0 .LBB2620_49
; %bb.23:
	v_mov_b32_dpp v16, v40 row_shr:1 row_mask:0xf bank_mask:0xf
	v_cndmask_b32_e64 v16, v16, 0, s[16:17]
	v_add_u32_e32 v16, v16, v40
	s_nop 1
	v_mov_b32_dpp v17, v16 row_shr:2 row_mask:0xf bank_mask:0xf
	v_cndmask_b32_e64 v17, 0, v17, s[14:15]
	v_add_u32_e32 v16, v16, v17
	s_nop 1
	;; [unrolled: 4-line block ×4, first 2 shown]
	v_mov_b32_dpp v17, v16 row_bcast:15 row_mask:0xf bank_mask:0xf
	v_cndmask_b32_e64 v17, v17, 0, s[8:9]
	v_add_u32_e32 v16, v16, v17
	s_nop 1
	v_mov_b32_dpp v17, v16 row_bcast:31 row_mask:0xf bank_mask:0xf
	v_cndmask_b32_e64 v17, 0, v17, s[4:5]
	v_add_u32_e32 v16, v16, v17
	s_and_saveexec_b64 s[18:19], s[6:7]
	s_cbranch_execz .LBB2620_25
; %bb.24:
	v_lshlrev_b32_e32 v17, 2, v39
	ds_write_b32 v17, v16
.LBB2620_25:
	s_or_b64 exec, exec, s[18:19]
	v_cmp_gt_u32_e32 vcc, 8, v0
	s_waitcnt lgkmcnt(0)
	s_barrier
	s_and_saveexec_b64 s[18:19], vcc
	s_cbranch_execz .LBB2620_27
; %bb.26:
	v_lshlrev_b32_e32 v17, 2, v0
	ds_read_b32 v20, v17
	v_and_b32_e32 v21, 7, v38
	v_cmp_ne_u32_e32 vcc, 0, v21
	s_waitcnt lgkmcnt(0)
	v_mov_b32_dpp v22, v20 row_shr:1 row_mask:0xf bank_mask:0xf
	v_cndmask_b32_e32 v22, 0, v22, vcc
	v_add_u32_e32 v20, v22, v20
	v_cmp_lt_u32_e32 vcc, 1, v21
	s_nop 0
	v_mov_b32_dpp v22, v20 row_shr:2 row_mask:0xf bank_mask:0xf
	v_cndmask_b32_e32 v22, 0, v22, vcc
	v_add_u32_e32 v20, v20, v22
	v_cmp_lt_u32_e32 vcc, 3, v21
	s_nop 0
	v_mov_b32_dpp v22, v20 row_shr:4 row_mask:0xf bank_mask:0xf
	v_cndmask_b32_e32 v21, 0, v22, vcc
	v_add_u32_e32 v20, v20, v21
	ds_write_b32 v17, v20
.LBB2620_27:
	s_or_b64 exec, exec, s[18:19]
	v_cmp_gt_u32_e32 vcc, 64, v0
	v_cmp_lt_u32_e64 s[18:19], 63, v0
	s_waitcnt lgkmcnt(0)
	s_barrier
	s_waitcnt lgkmcnt(0)
                                        ; implicit-def: $vgpr41
	s_and_saveexec_b64 s[30:31], s[18:19]
	s_cbranch_execz .LBB2620_29
; %bb.28:
	v_lshl_add_u32 v17, v39, 2, -4
	ds_read_b32 v41, v17
	s_waitcnt lgkmcnt(0)
	v_add_u32_e32 v16, v41, v16
.LBB2620_29:
	s_or_b64 exec, exec, s[30:31]
	v_add_u32_e32 v17, -1, v38
	v_and_b32_e32 v20, 64, v38
	v_cmp_lt_i32_e64 s[18:19], v17, v20
	s_nop 1
	v_cndmask_b32_e64 v17, v17, v38, s[18:19]
	v_lshlrev_b32_e32 v17, 2, v17
	ds_bpermute_b32 v42, v17, v16
	v_cmp_eq_u32_e64 s[18:19], 0, v38
	s_and_saveexec_b64 s[30:31], vcc
	s_cbranch_execz .LBB2620_48
; %bb.30:
	v_mov_b32_e32 v25, 0
	ds_read_b32 v16, v25 offset:28
	s_and_saveexec_b64 s[34:35], s[18:19]
	s_cbranch_execz .LBB2620_32
; %bb.31:
	s_add_i32 s36, s2, 64
	s_mov_b32 s37, 0
	s_lshl_b64 s[36:37], s[36:37], 3
	s_add_u32 s36, s28, s36
	v_mov_b32_e32 v17, 1
	s_addc_u32 s37, s29, s37
	s_waitcnt lgkmcnt(0)
	global_store_dwordx2 v25, v[16:17], s[36:37] sc1
.LBB2620_32:
	s_or_b64 exec, exec, s[34:35]
	v_xad_u32 v20, v38, -1, s2
	v_add_u32_e32 v24, 64, v20
	v_lshl_add_u64 v[26:27], v[24:25], 3, s[28:29]
	global_load_dwordx2 v[22:23], v[26:27], off sc1
	s_waitcnt vmcnt(0)
	v_cmp_eq_u16_sdwa s[36:37], v23, v25 src0_sel:BYTE_0 src1_sel:DWORD
	s_and_saveexec_b64 s[34:35], s[36:37]
	s_cbranch_execz .LBB2620_36
; %bb.33:
	s_mov_b64 s[36:37], 0
	v_mov_b32_e32 v17, 0
.LBB2620_34:                            ; =>This Inner Loop Header: Depth=1
	global_load_dwordx2 v[22:23], v[26:27], off sc1
	s_waitcnt vmcnt(0)
	v_cmp_ne_u16_sdwa s[38:39], v23, v17 src0_sel:BYTE_0 src1_sel:DWORD
	s_or_b64 s[36:37], s[38:39], s[36:37]
	s_andn2_b64 exec, exec, s[36:37]
	s_cbranch_execnz .LBB2620_34
; %bb.35:
	s_or_b64 exec, exec, s[36:37]
.LBB2620_36:
	s_or_b64 exec, exec, s[34:35]
	v_and_b32_e32 v44, 63, v38
	v_mov_b32_e32 v43, 2
	v_cmp_ne_u32_e32 vcc, 63, v44
	v_cmp_eq_u16_sdwa s[34:35], v23, v43 src0_sel:BYTE_0 src1_sel:DWORD
	v_lshlrev_b64 v[24:25], v38, -1
	v_addc_co_u32_e32 v26, vcc, 0, v38, vcc
	v_and_b32_e32 v17, s35, v25
	v_lshlrev_b32_e32 v45, 2, v26
	v_or_b32_e32 v17, 0x80000000, v17
	ds_bpermute_b32 v26, v45, v22
	v_and_b32_e32 v21, s34, v24
	v_ffbl_b32_e32 v17, v17
	v_add_u32_e32 v17, 32, v17
	v_ffbl_b32_e32 v21, v21
	v_min_u32_e32 v17, v21, v17
	v_cmp_lt_u32_e32 vcc, v44, v17
	v_add_u32_e32 v47, 2, v44
	v_add_u32_e32 v49, 4, v44
	s_waitcnt lgkmcnt(0)
	v_cndmask_b32_e32 v21, 0, v26, vcc
	v_cmp_gt_u32_e32 vcc, 62, v44
	v_add_u32_e32 v21, v21, v22
	v_add_u32_e32 v51, 8, v44
	v_cndmask_b32_e64 v22, 0, 1, vcc
	v_lshlrev_b32_e32 v22, 1, v22
	v_add_lshl_u32 v46, v22, v38, 2
	ds_bpermute_b32 v22, v46, v21
	v_cmp_le_u32_e32 vcc, v47, v17
	v_add_u32_e32 v53, 16, v44
	v_add_u32_e32 v55, 32, v44
	s_waitcnt lgkmcnt(0)
	v_cndmask_b32_e32 v22, 0, v22, vcc
	v_cmp_gt_u32_e32 vcc, 60, v44
	v_add_u32_e32 v21, v21, v22
	s_nop 0
	v_cndmask_b32_e64 v22, 0, 1, vcc
	v_lshlrev_b32_e32 v22, 2, v22
	v_add_lshl_u32 v48, v22, v38, 2
	ds_bpermute_b32 v22, v48, v21
	v_cmp_le_u32_e32 vcc, v49, v17
	s_waitcnt lgkmcnt(0)
	s_nop 0
	v_cndmask_b32_e32 v22, 0, v22, vcc
	v_cmp_gt_u32_e32 vcc, 56, v44
	v_add_u32_e32 v21, v21, v22
	s_nop 0
	v_cndmask_b32_e64 v22, 0, 1, vcc
	v_lshlrev_b32_e32 v22, 3, v22
	v_add_lshl_u32 v50, v22, v38, 2
	ds_bpermute_b32 v22, v50, v21
	v_cmp_le_u32_e32 vcc, v51, v17
	s_waitcnt lgkmcnt(0)
	s_nop 0
	;; [unrolled: 11-line block ×4, first 2 shown]
	v_cndmask_b32_e32 v17, 0, v22, vcc
	v_add_u32_e32 v22, v21, v17
	v_mov_b32_e32 v21, 0
	s_branch .LBB2620_38
.LBB2620_37:                            ;   in Loop: Header=BB2620_38 Depth=1
	s_or_b64 exec, exec, s[34:35]
	v_cmp_eq_u16_sdwa s[34:35], v23, v43 src0_sel:BYTE_0 src1_sel:DWORD
	ds_bpermute_b32 v56, v45, v22
	v_subrev_u32_e32 v20, 64, v20
	v_and_b32_e32 v26, s35, v25
	v_or_b32_e32 v26, 0x80000000, v26
	v_and_b32_e32 v27, s34, v24
	v_ffbl_b32_e32 v26, v26
	v_add_u32_e32 v26, 32, v26
	v_ffbl_b32_e32 v27, v27
	v_min_u32_e32 v26, v27, v26
	v_cmp_lt_u32_e32 vcc, v44, v26
	s_waitcnt lgkmcnt(0)
	s_nop 0
	v_cndmask_b32_e32 v27, 0, v56, vcc
	v_add_u32_e32 v22, v27, v22
	ds_bpermute_b32 v27, v46, v22
	v_cmp_le_u32_e32 vcc, v47, v26
	s_waitcnt lgkmcnt(0)
	s_nop 0
	v_cndmask_b32_e32 v27, 0, v27, vcc
	v_add_u32_e32 v22, v22, v27
	ds_bpermute_b32 v27, v48, v22
	v_cmp_le_u32_e32 vcc, v49, v26
	;; [unrolled: 6-line block ×5, first 2 shown]
	s_waitcnt lgkmcnt(0)
	s_nop 0
	v_cndmask_b32_e32 v26, 0, v27, vcc
	v_add3_u32 v22, v26, v17, v22
.LBB2620_38:                            ; =>This Loop Header: Depth=1
                                        ;     Child Loop BB2620_41 Depth 2
	v_cmp_ne_u16_sdwa s[34:35], v23, v43 src0_sel:BYTE_0 src1_sel:DWORD
	s_nop 1
	v_cndmask_b32_e64 v17, 0, 1, s[34:35]
	;;#ASMSTART
	;;#ASMEND
	s_nop 0
	v_cmp_ne_u32_e32 vcc, 0, v17
	s_cmp_lg_u64 vcc, exec
	v_mov_b32_e32 v17, v22
	s_cbranch_scc1 .LBB2620_43
; %bb.39:                               ;   in Loop: Header=BB2620_38 Depth=1
	v_lshl_add_u64 v[26:27], v[20:21], 3, s[28:29]
	global_load_dwordx2 v[22:23], v[26:27], off sc1
	s_waitcnt vmcnt(0)
	v_cmp_eq_u16_sdwa s[36:37], v23, v21 src0_sel:BYTE_0 src1_sel:DWORD
	s_and_saveexec_b64 s[34:35], s[36:37]
	s_cbranch_execz .LBB2620_37
; %bb.40:                               ;   in Loop: Header=BB2620_38 Depth=1
	s_mov_b64 s[36:37], 0
.LBB2620_41:                            ;   Parent Loop BB2620_38 Depth=1
                                        ; =>  This Inner Loop Header: Depth=2
	global_load_dwordx2 v[22:23], v[26:27], off sc1
	s_waitcnt vmcnt(0)
	v_cmp_ne_u16_sdwa s[38:39], v23, v21 src0_sel:BYTE_0 src1_sel:DWORD
	s_or_b64 s[36:37], s[38:39], s[36:37]
	s_andn2_b64 exec, exec, s[36:37]
	s_cbranch_execnz .LBB2620_41
; %bb.42:                               ;   in Loop: Header=BB2620_38 Depth=1
	s_or_b64 exec, exec, s[36:37]
	s_branch .LBB2620_37
.LBB2620_43:                            ;   in Loop: Header=BB2620_38 Depth=1
                                        ; implicit-def: $vgpr22
                                        ; implicit-def: $vgpr23
	s_cbranch_execz .LBB2620_38
; %bb.44:
	s_and_saveexec_b64 s[34:35], s[18:19]
	s_cbranch_execz .LBB2620_46
; %bb.45:
	s_add_i32 s2, s2, 64
	s_mov_b32 s3, 0
	s_lshl_b64 s[2:3], s[2:3], 3
	s_add_u32 s2, s28, s2
	v_add_u32_e32 v20, v17, v16
	v_mov_b32_e32 v21, 2
	s_addc_u32 s3, s29, s3
	v_mov_b32_e32 v22, 0
	global_store_dwordx2 v22, v[20:21], s[2:3] sc1
	ds_write_b64 v22, v[16:17] offset:28672
.LBB2620_46:
	s_or_b64 exec, exec, s[34:35]
	v_cmp_eq_u32_e32 vcc, 0, v0
	s_and_b64 exec, exec, vcc
	s_cbranch_execz .LBB2620_48
; %bb.47:
	v_mov_b32_e32 v16, 0
	ds_write_b32 v16, v17 offset:28
.LBB2620_48:
	s_or_b64 exec, exec, s[30:31]
	v_mov_b32_e32 v16, 0
	s_waitcnt lgkmcnt(0)
	s_barrier
	ds_read_b32 v17, v16 offset:28
	v_cndmask_b32_e64 v20, v42, v41, s[18:19]
	v_cmp_ne_u32_e32 vcc, 0, v0
	s_waitcnt lgkmcnt(0)
	s_barrier
	v_cndmask_b32_e32 v20, 0, v20, vcc
	v_add_u32_e32 v27, v17, v20
	v_add_u32_e32 v26, v27, v33
	ds_read_b64 v[16:17], v16 offset:28672
	v_add_u32_e32 v25, v26, v34
	v_add_u32_e32 v24, v25, v35
	;; [unrolled: 1-line block ×5, first 2 shown]
	s_waitcnt lgkmcnt(0)
	v_mov_b32_e32 v20, v17
	s_load_dwordx2 s[2:3], s[0:1], 0x28
	s_branch .LBB2620_59
.LBB2620_49:
                                        ; implicit-def: $vgpr20
                                        ; implicit-def: $vgpr16
                                        ; implicit-def: $vgpr21
                                        ; implicit-def: $vgpr22
                                        ; implicit-def: $vgpr23
                                        ; implicit-def: $vgpr24
                                        ; implicit-def: $vgpr25
                                        ; implicit-def: $vgpr26
                                        ; implicit-def: $vgpr27
	s_load_dwordx2 s[2:3], s[0:1], 0x28
	s_cbranch_execz .LBB2620_59
; %bb.50:
	v_mov_b32_dpp v16, v40 row_shr:1 row_mask:0xf bank_mask:0xf
	v_cndmask_b32_e64 v16, v16, 0, s[16:17]
	v_add_u32_e32 v16, v16, v40
	s_nop 1
	v_mov_b32_dpp v17, v16 row_shr:2 row_mask:0xf bank_mask:0xf
	v_cndmask_b32_e64 v17, 0, v17, s[14:15]
	v_add_u32_e32 v16, v16, v17
	s_nop 1
	;; [unrolled: 4-line block ×4, first 2 shown]
	v_mov_b32_dpp v17, v16 row_bcast:15 row_mask:0xf bank_mask:0xf
	v_cndmask_b32_e64 v17, v17, 0, s[8:9]
	v_add_u32_e32 v16, v16, v17
	s_nop 1
	v_mov_b32_dpp v17, v16 row_bcast:31 row_mask:0xf bank_mask:0xf
	v_cndmask_b32_e64 v17, 0, v17, s[4:5]
	v_add_u32_e32 v16, v16, v17
	s_and_saveexec_b64 s[0:1], s[6:7]
	s_cbranch_execz .LBB2620_52
; %bb.51:
	v_lshlrev_b32_e32 v17, 2, v39
	ds_write_b32 v17, v16
.LBB2620_52:
	s_or_b64 exec, exec, s[0:1]
	v_cmp_gt_u32_e32 vcc, 8, v0
	s_waitcnt lgkmcnt(0)
	s_barrier
	s_and_saveexec_b64 s[0:1], vcc
	s_cbranch_execz .LBB2620_54
; %bb.53:
	s_movk_i32 s4, 0xffcc
	v_mad_i32_i24 v17, v0, s4, v32
	ds_read_b32 v20, v17
	v_and_b32_e32 v21, 7, v38
	v_cmp_ne_u32_e32 vcc, 0, v21
	s_waitcnt lgkmcnt(0)
	v_mov_b32_dpp v22, v20 row_shr:1 row_mask:0xf bank_mask:0xf
	v_cndmask_b32_e32 v22, 0, v22, vcc
	v_add_u32_e32 v20, v22, v20
	v_cmp_lt_u32_e32 vcc, 1, v21
	s_nop 0
	v_mov_b32_dpp v22, v20 row_shr:2 row_mask:0xf bank_mask:0xf
	v_cndmask_b32_e32 v22, 0, v22, vcc
	v_add_u32_e32 v20, v20, v22
	v_cmp_lt_u32_e32 vcc, 3, v21
	s_nop 0
	v_mov_b32_dpp v22, v20 row_shr:4 row_mask:0xf bank_mask:0xf
	v_cndmask_b32_e32 v21, 0, v22, vcc
	v_add_u32_e32 v20, v20, v21
	ds_write_b32 v17, v20
.LBB2620_54:
	s_or_b64 exec, exec, s[0:1]
	v_cmp_lt_u32_e32 vcc, 63, v0
	v_mov_b32_e32 v17, 0
	v_mov_b32_e32 v20, 0
	s_waitcnt lgkmcnt(0)
	s_barrier
	s_and_saveexec_b64 s[0:1], vcc
	s_cbranch_execz .LBB2620_56
; %bb.55:
	v_lshl_add_u32 v20, v39, 2, -4
	ds_read_b32 v20, v20
.LBB2620_56:
	s_or_b64 exec, exec, s[0:1]
	v_add_u32_e32 v21, -1, v38
	v_and_b32_e32 v22, 64, v38
	v_cmp_lt_i32_e32 vcc, v21, v22
	s_waitcnt lgkmcnt(0)
	v_add_u32_e32 v16, v20, v16
	v_cndmask_b32_e32 v21, v21, v38, vcc
	v_lshlrev_b32_e32 v21, 2, v21
	ds_bpermute_b32 v21, v21, v16
	ds_read_b32 v16, v17 offset:28
	v_cmp_eq_u32_e32 vcc, 0, v0
	s_and_saveexec_b64 s[0:1], vcc
	s_cbranch_execz .LBB2620_58
; %bb.57:
	v_mov_b32_e32 v22, 0
	v_mov_b32_e32 v17, 2
	s_waitcnt lgkmcnt(0)
	global_store_dwordx2 v22, v[16:17], s[28:29] offset:512 sc1
.LBB2620_58:
	s_or_b64 exec, exec, s[0:1]
	v_cmp_eq_u32_e64 s[0:1], 0, v38
	s_waitcnt lgkmcnt(0)
	s_barrier
	v_cndmask_b32_e64 v17, v21, v20, s[0:1]
	v_cndmask_b32_e64 v27, v17, 0, vcc
	v_add_u32_e32 v26, v27, v33
	v_add_u32_e32 v25, v26, v34
	;; [unrolled: 1-line block ×5, first 2 shown]
	v_mov_b32_e32 v20, 0
	v_add_u32_e32 v21, v22, v37
.LBB2620_59:
	v_add_u32_e32 v1, v16, v1
	v_sub_u32_e32 v27, v27, v20
	v_and_b32_e32 v33, 1, v30
	v_sub_u32_e32 v32, v1, v27
	v_cmp_eq_u32_e32 vcc, 1, v33
	v_lshrrev_b32_e32 v17, 8, v30
	v_and_b32_e32 v17, 1, v17
	v_cndmask_b32_e32 v27, v32, v27, vcc
	v_lshlrev_b32_e32 v27, 3, v27
	ds_write_b64 v27, v[10:11]
	v_sub_u32_e32 v10, v26, v20
	v_sub_u32_e32 v11, v1, v10
	v_add_u32_e32 v11, 1, v11
	v_cmp_eq_u32_e32 vcc, 1, v17
	v_or_b32_e32 v26, 0x200, v0
	v_or_b32_e32 v17, 0xa00, v0
	v_cndmask_b32_e32 v10, v11, v10, vcc
	v_lshlrev_b32_e32 v10, 3, v10
	ds_write_b64 v10, v[12:13]
	v_sub_u32_e32 v10, v25, v20
	v_mov_b32_e32 v12, 1
	v_sub_u32_e32 v11, v1, v10
	v_and_b32_sdwa v12, v12, v30 dst_sel:DWORD dst_unused:UNUSED_PAD src0_sel:DWORD src1_sel:WORD_1
	v_add_u32_e32 v11, 2, v11
	v_cmp_eq_u32_e32 vcc, 1, v12
	v_or_b32_e32 v25, 0x400, v0
	s_nop 0
	v_cndmask_b32_e32 v10, v11, v10, vcc
	v_lshlrev_b32_e32 v10, 3, v10
	ds_write_b64 v10, v[6:7]
	v_sub_u32_e32 v6, v24, v20
	v_sub_u32_e32 v7, v1, v6
	v_and_b32_e32 v10, 1, v31
	v_add_u32_e32 v7, 3, v7
	v_cmp_eq_u32_e32 vcc, 1, v10
	v_or_b32_e32 v24, 0x600, v0
	s_nop 0
	v_cndmask_b32_e32 v6, v7, v6, vcc
	v_lshlrev_b32_e32 v6, 3, v6
	ds_write_b64 v6, v[8:9]
	v_sub_u32_e32 v6, v23, v20
	v_sub_u32_e32 v7, v1, v6
	v_and_b32_e32 v8, 1, v29
	v_add_u32_e32 v7, 4, v7
	v_cmp_eq_u32_e32 vcc, 1, v8
	s_nop 1
	v_cndmask_b32_e32 v6, v7, v6, vcc
	v_lshlrev_b32_e32 v6, 3, v6
	ds_write_b64 v6, v[2:3]
	v_sub_u32_e32 v2, v22, v20
	v_sub_u32_e32 v3, v1, v2
	v_and_b32_e32 v6, 1, v28
	v_add_u32_e32 v3, 5, v3
	v_cmp_eq_u32_e32 vcc, 1, v6
	;; [unrolled: 9-line block ×3, first 2 shown]
	v_or_b32_e32 v19, 0x800, v0
	s_nop 0
	v_cndmask_b32_e32 v1, v1, v2, vcc
	v_lshlrev_b32_e32 v1, 3, v1
	ds_write_b64 v1, v[14:15]
	s_waitcnt lgkmcnt(0)
	s_barrier
	ds_read2st64_b64 v[10:13], v18 offset1:8
	ds_read2st64_b64 v[6:9], v18 offset0:16 offset1:24
	ds_read2st64_b64 v[2:5], v18 offset0:32 offset1:40
	ds_read_b64 v[14:15], v18 offset:24576
	s_and_b64 vcc, exec, s[20:21]
	v_or_b32_e32 v1, 0xc00, v0
	s_cbranch_vccnz .LBB2620_68
; %bb.60:
	s_lshl_b64 s[0:1], s[22:23], 3
	v_mov_b32_e32 v21, 0
	s_add_u32 s0, s2, s0
	s_addc_u32 s1, s3, s1
	v_lshlrev_b64 v[22:23], 3, v[20:21]
	v_lshl_add_u64 v[22:23], s[0:1], 0, v[22:23]
	v_cmp_lt_u32_e32 vcc, v0, v16
	s_and_saveexec_b64 s[0:1], vcc
	s_cbranch_execnz .LBB2620_82
; %bb.61:
	s_or_b64 exec, exec, s[0:1]
	v_cmp_lt_u32_e32 vcc, v26, v16
	s_and_saveexec_b64 s[0:1], vcc
	s_cbranch_execnz .LBB2620_83
.LBB2620_62:
	s_or_b64 exec, exec, s[0:1]
	v_cmp_lt_u32_e32 vcc, v25, v16
	s_and_saveexec_b64 s[0:1], vcc
	s_cbranch_execnz .LBB2620_84
.LBB2620_63:
	s_or_b64 exec, exec, s[0:1]
	v_cmp_lt_u32_e32 vcc, v24, v16
	s_and_saveexec_b64 s[0:1], vcc
	s_cbranch_execnz .LBB2620_85
.LBB2620_64:
	s_or_b64 exec, exec, s[0:1]
	v_cmp_lt_u32_e32 vcc, v19, v16
	s_and_saveexec_b64 s[0:1], vcc
	s_cbranch_execnz .LBB2620_86
.LBB2620_65:
	s_or_b64 exec, exec, s[0:1]
	v_cmp_lt_u32_e32 vcc, v17, v16
	s_and_saveexec_b64 s[0:1], vcc
	s_cbranch_execz .LBB2620_67
.LBB2620_66:
	v_lshlrev_b32_e32 v21, 3, v17
	v_readfirstlane_b32 s4, v22
	v_readfirstlane_b32 s5, v23
	s_waitcnt lgkmcnt(1)
	s_nop 3
	global_store_dwordx2 v21, v[4:5], s[4:5]
.LBB2620_67:
	s_or_b64 exec, exec, s[0:1]
	v_cmp_lt_u32_e64 s[0:1], v1, v16
	s_branch .LBB2620_77
.LBB2620_68:
	s_mov_b64 s[0:1], 0
                                        ; implicit-def: $vgpr22_vgpr23
	s_cbranch_execz .LBB2620_77
; %bb.69:
	s_lshl_b64 s[0:1], s[22:23], 3
	v_mov_b32_e32 v21, 0
	s_add_u32 s0, s2, s0
	v_min_u32_e32 v27, s33, v16
	s_addc_u32 s1, s3, s1
	v_lshlrev_b64 v[22:23], 3, v[20:21]
	v_lshl_add_u64 v[22:23], s[0:1], 0, v[22:23]
	v_cmp_gt_u32_e32 vcc, v27, v0
	s_and_saveexec_b64 s[0:1], vcc
	s_cbranch_execnz .LBB2620_87
; %bb.70:
	s_or_b64 exec, exec, s[0:1]
	v_cmp_lt_u32_e32 vcc, v26, v27
	s_and_saveexec_b64 s[0:1], vcc
	s_cbranch_execnz .LBB2620_88
.LBB2620_71:
	s_or_b64 exec, exec, s[0:1]
	v_cmp_lt_u32_e32 vcc, v25, v27
	s_and_saveexec_b64 s[0:1], vcc
	s_cbranch_execnz .LBB2620_89
.LBB2620_72:
	s_or_b64 exec, exec, s[0:1]
	v_cmp_lt_u32_e32 vcc, v24, v27
	s_and_saveexec_b64 s[0:1], vcc
	s_cbranch_execnz .LBB2620_90
.LBB2620_73:
	s_or_b64 exec, exec, s[0:1]
	v_cmp_lt_u32_e32 vcc, v19, v27
	s_and_saveexec_b64 s[0:1], vcc
	s_cbranch_execnz .LBB2620_91
.LBB2620_74:
	s_or_b64 exec, exec, s[0:1]
	v_cmp_lt_u32_e32 vcc, v17, v27
	s_and_saveexec_b64 s[0:1], vcc
	s_cbranch_execz .LBB2620_76
.LBB2620_75:
	s_waitcnt lgkmcnt(1)
	v_lshlrev_b32_e32 v2, 3, v17
	v_readfirstlane_b32 s2, v22
	v_readfirstlane_b32 s3, v23
	s_nop 4
	global_store_dwordx2 v2, v[4:5], s[2:3]
.LBB2620_76:
	s_or_b64 exec, exec, s[0:1]
	v_cmp_lt_u32_e64 s[0:1], v1, v27
.LBB2620_77:
	s_and_saveexec_b64 s[2:3], s[0:1]
	s_cbranch_execz .LBB2620_79
; %bb.78:
	v_lshlrev_b32_e32 v1, 3, v1
	v_readfirstlane_b32 s0, v22
	v_readfirstlane_b32 s1, v23
	s_waitcnt lgkmcnt(0)
	s_nop 3
	global_store_dwordx2 v1, v[14:15], s[0:1]
.LBB2620_79:
	s_or_b64 exec, exec, s[2:3]
	v_cmp_eq_u32_e32 vcc, 0, v0
	s_and_b64 s[0:1], vcc, s[26:27]
	s_and_saveexec_b64 s[2:3], s[0:1]
	s_cbranch_execz .LBB2620_81
; %bb.80:
	v_mov_b32_e32 v17, 0
	v_lshl_add_u64 v[0:1], s[22:23], 0, v[16:17]
	v_mov_b32_e32 v21, v17
	v_lshl_add_u64 v[0:1], v[0:1], 0, v[20:21]
	global_store_dwordx2 v17, v[0:1], s[24:25]
.LBB2620_81:
	s_endpgm
.LBB2620_82:
	v_readfirstlane_b32 s4, v22
	v_readfirstlane_b32 s5, v23
	s_waitcnt lgkmcnt(3)
	s_nop 3
	global_store_dwordx2 v18, v[10:11], s[4:5]
	s_or_b64 exec, exec, s[0:1]
	v_cmp_lt_u32_e32 vcc, v26, v16
	s_and_saveexec_b64 s[0:1], vcc
	s_cbranch_execz .LBB2620_62
.LBB2620_83:
	v_lshlrev_b32_e32 v21, 3, v26
	v_readfirstlane_b32 s4, v22
	v_readfirstlane_b32 s5, v23
	s_waitcnt lgkmcnt(3)
	s_nop 3
	global_store_dwordx2 v21, v[12:13], s[4:5]
	s_or_b64 exec, exec, s[0:1]
	v_cmp_lt_u32_e32 vcc, v25, v16
	s_and_saveexec_b64 s[0:1], vcc
	s_cbranch_execz .LBB2620_63
.LBB2620_84:
	v_lshlrev_b32_e32 v21, 3, v25
	v_readfirstlane_b32 s4, v22
	v_readfirstlane_b32 s5, v23
	s_waitcnt lgkmcnt(2)
	s_nop 3
	global_store_dwordx2 v21, v[6:7], s[4:5]
	s_or_b64 exec, exec, s[0:1]
	v_cmp_lt_u32_e32 vcc, v24, v16
	s_and_saveexec_b64 s[0:1], vcc
	s_cbranch_execz .LBB2620_64
.LBB2620_85:
	v_lshlrev_b32_e32 v21, 3, v24
	v_readfirstlane_b32 s4, v22
	v_readfirstlane_b32 s5, v23
	s_waitcnt lgkmcnt(2)
	s_nop 3
	global_store_dwordx2 v21, v[8:9], s[4:5]
	s_or_b64 exec, exec, s[0:1]
	v_cmp_lt_u32_e32 vcc, v19, v16
	s_and_saveexec_b64 s[0:1], vcc
	s_cbranch_execz .LBB2620_65
.LBB2620_86:
	v_lshlrev_b32_e32 v21, 3, v19
	v_readfirstlane_b32 s4, v22
	v_readfirstlane_b32 s5, v23
	s_waitcnt lgkmcnt(1)
	s_nop 3
	global_store_dwordx2 v21, v[2:3], s[4:5]
	s_or_b64 exec, exec, s[0:1]
	v_cmp_lt_u32_e32 vcc, v17, v16
	s_and_saveexec_b64 s[0:1], vcc
	s_cbranch_execnz .LBB2620_66
	s_branch .LBB2620_67
.LBB2620_87:
	v_readfirstlane_b32 s2, v22
	v_readfirstlane_b32 s3, v23
	s_waitcnt lgkmcnt(3)
	s_nop 3
	global_store_dwordx2 v18, v[10:11], s[2:3]
	s_or_b64 exec, exec, s[0:1]
	v_cmp_lt_u32_e32 vcc, v26, v27
	s_and_saveexec_b64 s[0:1], vcc
	s_cbranch_execz .LBB2620_71
.LBB2620_88:
	s_waitcnt lgkmcnt(3)
	v_lshlrev_b32_e32 v10, 3, v26
	v_readfirstlane_b32 s2, v22
	v_readfirstlane_b32 s3, v23
	s_nop 4
	global_store_dwordx2 v10, v[12:13], s[2:3]
	s_or_b64 exec, exec, s[0:1]
	v_cmp_lt_u32_e32 vcc, v25, v27
	s_and_saveexec_b64 s[0:1], vcc
	s_cbranch_execz .LBB2620_72
.LBB2620_89:
	s_waitcnt lgkmcnt(3)
	v_lshlrev_b32_e32 v10, 3, v25
	v_readfirstlane_b32 s2, v22
	v_readfirstlane_b32 s3, v23
	s_waitcnt lgkmcnt(2)
	s_nop 3
	global_store_dwordx2 v10, v[6:7], s[2:3]
	s_or_b64 exec, exec, s[0:1]
	v_cmp_lt_u32_e32 vcc, v24, v27
	s_and_saveexec_b64 s[0:1], vcc
	s_cbranch_execz .LBB2620_73
.LBB2620_90:
	s_waitcnt lgkmcnt(2)
	v_lshlrev_b32_e32 v6, 3, v24
	v_readfirstlane_b32 s2, v22
	v_readfirstlane_b32 s3, v23
	s_nop 4
	global_store_dwordx2 v6, v[8:9], s[2:3]
	s_or_b64 exec, exec, s[0:1]
	v_cmp_lt_u32_e32 vcc, v19, v27
	s_and_saveexec_b64 s[0:1], vcc
	s_cbranch_execz .LBB2620_74
.LBB2620_91:
	s_waitcnt lgkmcnt(2)
	v_lshlrev_b32_e32 v6, 3, v19
	v_readfirstlane_b32 s2, v22
	v_readfirstlane_b32 s3, v23
	s_waitcnt lgkmcnt(1)
	s_nop 3
	global_store_dwordx2 v6, v[2:3], s[2:3]
	s_or_b64 exec, exec, s[0:1]
	v_cmp_lt_u32_e32 vcc, v17, v27
	s_and_saveexec_b64 s[0:1], vcc
	s_cbranch_execnz .LBB2620_75
	s_branch .LBB2620_76
	.section	.rodata,"a",@progbits
	.p2align	6, 0x0
	.amdhsa_kernel _ZN7rocprim17ROCPRIM_400000_NS6detail17trampoline_kernelINS0_14default_configENS1_25partition_config_selectorILNS1_17partition_subalgoE0ExNS0_10empty_typeEbEEZZNS1_14partition_implILS5_0ELb0ES3_jN6thrust23THRUST_200600_302600_NS6detail15normal_iteratorINSA_10device_ptrIxEEEEPS6_SG_NS0_5tupleIJSF_NSA_16discard_iteratorINSA_11use_defaultEEEEEENSH_IJSG_SG_EEES6_PlJ7is_evenIxEEEE10hipError_tPvRmT3_T4_T5_T6_T7_T9_mT8_P12ihipStream_tbDpT10_ENKUlT_T0_E_clISt17integral_constantIbLb0EES19_EEDaS14_S15_EUlS14_E_NS1_11comp_targetILNS1_3genE5ELNS1_11target_archE942ELNS1_3gpuE9ELNS1_3repE0EEENS1_30default_config_static_selectorELNS0_4arch9wavefront6targetE1EEEvT1_
		.amdhsa_group_segment_fixed_size 28680
		.amdhsa_private_segment_fixed_size 0
		.amdhsa_kernarg_size 128
		.amdhsa_user_sgpr_count 2
		.amdhsa_user_sgpr_dispatch_ptr 0
		.amdhsa_user_sgpr_queue_ptr 0
		.amdhsa_user_sgpr_kernarg_segment_ptr 1
		.amdhsa_user_sgpr_dispatch_id 0
		.amdhsa_user_sgpr_kernarg_preload_length 0
		.amdhsa_user_sgpr_kernarg_preload_offset 0
		.amdhsa_user_sgpr_private_segment_size 0
		.amdhsa_uses_dynamic_stack 0
		.amdhsa_enable_private_segment 0
		.amdhsa_system_sgpr_workgroup_id_x 1
		.amdhsa_system_sgpr_workgroup_id_y 0
		.amdhsa_system_sgpr_workgroup_id_z 0
		.amdhsa_system_sgpr_workgroup_info 0
		.amdhsa_system_vgpr_workitem_id 0
		.amdhsa_next_free_vgpr 57
		.amdhsa_next_free_sgpr 40
		.amdhsa_accum_offset 60
		.amdhsa_reserve_vcc 1
		.amdhsa_float_round_mode_32 0
		.amdhsa_float_round_mode_16_64 0
		.amdhsa_float_denorm_mode_32 3
		.amdhsa_float_denorm_mode_16_64 3
		.amdhsa_dx10_clamp 1
		.amdhsa_ieee_mode 1
		.amdhsa_fp16_overflow 0
		.amdhsa_tg_split 0
		.amdhsa_exception_fp_ieee_invalid_op 0
		.amdhsa_exception_fp_denorm_src 0
		.amdhsa_exception_fp_ieee_div_zero 0
		.amdhsa_exception_fp_ieee_overflow 0
		.amdhsa_exception_fp_ieee_underflow 0
		.amdhsa_exception_fp_ieee_inexact 0
		.amdhsa_exception_int_div_zero 0
	.end_amdhsa_kernel
	.section	.text._ZN7rocprim17ROCPRIM_400000_NS6detail17trampoline_kernelINS0_14default_configENS1_25partition_config_selectorILNS1_17partition_subalgoE0ExNS0_10empty_typeEbEEZZNS1_14partition_implILS5_0ELb0ES3_jN6thrust23THRUST_200600_302600_NS6detail15normal_iteratorINSA_10device_ptrIxEEEEPS6_SG_NS0_5tupleIJSF_NSA_16discard_iteratorINSA_11use_defaultEEEEEENSH_IJSG_SG_EEES6_PlJ7is_evenIxEEEE10hipError_tPvRmT3_T4_T5_T6_T7_T9_mT8_P12ihipStream_tbDpT10_ENKUlT_T0_E_clISt17integral_constantIbLb0EES19_EEDaS14_S15_EUlS14_E_NS1_11comp_targetILNS1_3genE5ELNS1_11target_archE942ELNS1_3gpuE9ELNS1_3repE0EEENS1_30default_config_static_selectorELNS0_4arch9wavefront6targetE1EEEvT1_,"axG",@progbits,_ZN7rocprim17ROCPRIM_400000_NS6detail17trampoline_kernelINS0_14default_configENS1_25partition_config_selectorILNS1_17partition_subalgoE0ExNS0_10empty_typeEbEEZZNS1_14partition_implILS5_0ELb0ES3_jN6thrust23THRUST_200600_302600_NS6detail15normal_iteratorINSA_10device_ptrIxEEEEPS6_SG_NS0_5tupleIJSF_NSA_16discard_iteratorINSA_11use_defaultEEEEEENSH_IJSG_SG_EEES6_PlJ7is_evenIxEEEE10hipError_tPvRmT3_T4_T5_T6_T7_T9_mT8_P12ihipStream_tbDpT10_ENKUlT_T0_E_clISt17integral_constantIbLb0EES19_EEDaS14_S15_EUlS14_E_NS1_11comp_targetILNS1_3genE5ELNS1_11target_archE942ELNS1_3gpuE9ELNS1_3repE0EEENS1_30default_config_static_selectorELNS0_4arch9wavefront6targetE1EEEvT1_,comdat
.Lfunc_end2620:
	.size	_ZN7rocprim17ROCPRIM_400000_NS6detail17trampoline_kernelINS0_14default_configENS1_25partition_config_selectorILNS1_17partition_subalgoE0ExNS0_10empty_typeEbEEZZNS1_14partition_implILS5_0ELb0ES3_jN6thrust23THRUST_200600_302600_NS6detail15normal_iteratorINSA_10device_ptrIxEEEEPS6_SG_NS0_5tupleIJSF_NSA_16discard_iteratorINSA_11use_defaultEEEEEENSH_IJSG_SG_EEES6_PlJ7is_evenIxEEEE10hipError_tPvRmT3_T4_T5_T6_T7_T9_mT8_P12ihipStream_tbDpT10_ENKUlT_T0_E_clISt17integral_constantIbLb0EES19_EEDaS14_S15_EUlS14_E_NS1_11comp_targetILNS1_3genE5ELNS1_11target_archE942ELNS1_3gpuE9ELNS1_3repE0EEENS1_30default_config_static_selectorELNS0_4arch9wavefront6targetE1EEEvT1_, .Lfunc_end2620-_ZN7rocprim17ROCPRIM_400000_NS6detail17trampoline_kernelINS0_14default_configENS1_25partition_config_selectorILNS1_17partition_subalgoE0ExNS0_10empty_typeEbEEZZNS1_14partition_implILS5_0ELb0ES3_jN6thrust23THRUST_200600_302600_NS6detail15normal_iteratorINSA_10device_ptrIxEEEEPS6_SG_NS0_5tupleIJSF_NSA_16discard_iteratorINSA_11use_defaultEEEEEENSH_IJSG_SG_EEES6_PlJ7is_evenIxEEEE10hipError_tPvRmT3_T4_T5_T6_T7_T9_mT8_P12ihipStream_tbDpT10_ENKUlT_T0_E_clISt17integral_constantIbLb0EES19_EEDaS14_S15_EUlS14_E_NS1_11comp_targetILNS1_3genE5ELNS1_11target_archE942ELNS1_3gpuE9ELNS1_3repE0EEENS1_30default_config_static_selectorELNS0_4arch9wavefront6targetE1EEEvT1_
                                        ; -- End function
	.section	.AMDGPU.csdata,"",@progbits
; Kernel info:
; codeLenInByte = 4532
; NumSgprs: 46
; NumVgprs: 57
; NumAgprs: 0
; TotalNumVgprs: 57
; ScratchSize: 0
; MemoryBound: 0
; FloatMode: 240
; IeeeMode: 1
; LDSByteSize: 28680 bytes/workgroup (compile time only)
; SGPRBlocks: 5
; VGPRBlocks: 7
; NumSGPRsForWavesPerEU: 46
; NumVGPRsForWavesPerEU: 57
; AccumOffset: 60
; Occupancy: 4
; WaveLimiterHint : 1
; COMPUTE_PGM_RSRC2:SCRATCH_EN: 0
; COMPUTE_PGM_RSRC2:USER_SGPR: 2
; COMPUTE_PGM_RSRC2:TRAP_HANDLER: 0
; COMPUTE_PGM_RSRC2:TGID_X_EN: 1
; COMPUTE_PGM_RSRC2:TGID_Y_EN: 0
; COMPUTE_PGM_RSRC2:TGID_Z_EN: 0
; COMPUTE_PGM_RSRC2:TIDIG_COMP_CNT: 0
; COMPUTE_PGM_RSRC3_GFX90A:ACCUM_OFFSET: 14
; COMPUTE_PGM_RSRC3_GFX90A:TG_SPLIT: 0
	.section	.text._ZN7rocprim17ROCPRIM_400000_NS6detail17trampoline_kernelINS0_14default_configENS1_25partition_config_selectorILNS1_17partition_subalgoE0ExNS0_10empty_typeEbEEZZNS1_14partition_implILS5_0ELb0ES3_jN6thrust23THRUST_200600_302600_NS6detail15normal_iteratorINSA_10device_ptrIxEEEEPS6_SG_NS0_5tupleIJSF_NSA_16discard_iteratorINSA_11use_defaultEEEEEENSH_IJSG_SG_EEES6_PlJ7is_evenIxEEEE10hipError_tPvRmT3_T4_T5_T6_T7_T9_mT8_P12ihipStream_tbDpT10_ENKUlT_T0_E_clISt17integral_constantIbLb0EES19_EEDaS14_S15_EUlS14_E_NS1_11comp_targetILNS1_3genE4ELNS1_11target_archE910ELNS1_3gpuE8ELNS1_3repE0EEENS1_30default_config_static_selectorELNS0_4arch9wavefront6targetE1EEEvT1_,"axG",@progbits,_ZN7rocprim17ROCPRIM_400000_NS6detail17trampoline_kernelINS0_14default_configENS1_25partition_config_selectorILNS1_17partition_subalgoE0ExNS0_10empty_typeEbEEZZNS1_14partition_implILS5_0ELb0ES3_jN6thrust23THRUST_200600_302600_NS6detail15normal_iteratorINSA_10device_ptrIxEEEEPS6_SG_NS0_5tupleIJSF_NSA_16discard_iteratorINSA_11use_defaultEEEEEENSH_IJSG_SG_EEES6_PlJ7is_evenIxEEEE10hipError_tPvRmT3_T4_T5_T6_T7_T9_mT8_P12ihipStream_tbDpT10_ENKUlT_T0_E_clISt17integral_constantIbLb0EES19_EEDaS14_S15_EUlS14_E_NS1_11comp_targetILNS1_3genE4ELNS1_11target_archE910ELNS1_3gpuE8ELNS1_3repE0EEENS1_30default_config_static_selectorELNS0_4arch9wavefront6targetE1EEEvT1_,comdat
	.protected	_ZN7rocprim17ROCPRIM_400000_NS6detail17trampoline_kernelINS0_14default_configENS1_25partition_config_selectorILNS1_17partition_subalgoE0ExNS0_10empty_typeEbEEZZNS1_14partition_implILS5_0ELb0ES3_jN6thrust23THRUST_200600_302600_NS6detail15normal_iteratorINSA_10device_ptrIxEEEEPS6_SG_NS0_5tupleIJSF_NSA_16discard_iteratorINSA_11use_defaultEEEEEENSH_IJSG_SG_EEES6_PlJ7is_evenIxEEEE10hipError_tPvRmT3_T4_T5_T6_T7_T9_mT8_P12ihipStream_tbDpT10_ENKUlT_T0_E_clISt17integral_constantIbLb0EES19_EEDaS14_S15_EUlS14_E_NS1_11comp_targetILNS1_3genE4ELNS1_11target_archE910ELNS1_3gpuE8ELNS1_3repE0EEENS1_30default_config_static_selectorELNS0_4arch9wavefront6targetE1EEEvT1_ ; -- Begin function _ZN7rocprim17ROCPRIM_400000_NS6detail17trampoline_kernelINS0_14default_configENS1_25partition_config_selectorILNS1_17partition_subalgoE0ExNS0_10empty_typeEbEEZZNS1_14partition_implILS5_0ELb0ES3_jN6thrust23THRUST_200600_302600_NS6detail15normal_iteratorINSA_10device_ptrIxEEEEPS6_SG_NS0_5tupleIJSF_NSA_16discard_iteratorINSA_11use_defaultEEEEEENSH_IJSG_SG_EEES6_PlJ7is_evenIxEEEE10hipError_tPvRmT3_T4_T5_T6_T7_T9_mT8_P12ihipStream_tbDpT10_ENKUlT_T0_E_clISt17integral_constantIbLb0EES19_EEDaS14_S15_EUlS14_E_NS1_11comp_targetILNS1_3genE4ELNS1_11target_archE910ELNS1_3gpuE8ELNS1_3repE0EEENS1_30default_config_static_selectorELNS0_4arch9wavefront6targetE1EEEvT1_
	.globl	_ZN7rocprim17ROCPRIM_400000_NS6detail17trampoline_kernelINS0_14default_configENS1_25partition_config_selectorILNS1_17partition_subalgoE0ExNS0_10empty_typeEbEEZZNS1_14partition_implILS5_0ELb0ES3_jN6thrust23THRUST_200600_302600_NS6detail15normal_iteratorINSA_10device_ptrIxEEEEPS6_SG_NS0_5tupleIJSF_NSA_16discard_iteratorINSA_11use_defaultEEEEEENSH_IJSG_SG_EEES6_PlJ7is_evenIxEEEE10hipError_tPvRmT3_T4_T5_T6_T7_T9_mT8_P12ihipStream_tbDpT10_ENKUlT_T0_E_clISt17integral_constantIbLb0EES19_EEDaS14_S15_EUlS14_E_NS1_11comp_targetILNS1_3genE4ELNS1_11target_archE910ELNS1_3gpuE8ELNS1_3repE0EEENS1_30default_config_static_selectorELNS0_4arch9wavefront6targetE1EEEvT1_
	.p2align	8
	.type	_ZN7rocprim17ROCPRIM_400000_NS6detail17trampoline_kernelINS0_14default_configENS1_25partition_config_selectorILNS1_17partition_subalgoE0ExNS0_10empty_typeEbEEZZNS1_14partition_implILS5_0ELb0ES3_jN6thrust23THRUST_200600_302600_NS6detail15normal_iteratorINSA_10device_ptrIxEEEEPS6_SG_NS0_5tupleIJSF_NSA_16discard_iteratorINSA_11use_defaultEEEEEENSH_IJSG_SG_EEES6_PlJ7is_evenIxEEEE10hipError_tPvRmT3_T4_T5_T6_T7_T9_mT8_P12ihipStream_tbDpT10_ENKUlT_T0_E_clISt17integral_constantIbLb0EES19_EEDaS14_S15_EUlS14_E_NS1_11comp_targetILNS1_3genE4ELNS1_11target_archE910ELNS1_3gpuE8ELNS1_3repE0EEENS1_30default_config_static_selectorELNS0_4arch9wavefront6targetE1EEEvT1_,@function
_ZN7rocprim17ROCPRIM_400000_NS6detail17trampoline_kernelINS0_14default_configENS1_25partition_config_selectorILNS1_17partition_subalgoE0ExNS0_10empty_typeEbEEZZNS1_14partition_implILS5_0ELb0ES3_jN6thrust23THRUST_200600_302600_NS6detail15normal_iteratorINSA_10device_ptrIxEEEEPS6_SG_NS0_5tupleIJSF_NSA_16discard_iteratorINSA_11use_defaultEEEEEENSH_IJSG_SG_EEES6_PlJ7is_evenIxEEEE10hipError_tPvRmT3_T4_T5_T6_T7_T9_mT8_P12ihipStream_tbDpT10_ENKUlT_T0_E_clISt17integral_constantIbLb0EES19_EEDaS14_S15_EUlS14_E_NS1_11comp_targetILNS1_3genE4ELNS1_11target_archE910ELNS1_3gpuE8ELNS1_3repE0EEENS1_30default_config_static_selectorELNS0_4arch9wavefront6targetE1EEEvT1_: ; @_ZN7rocprim17ROCPRIM_400000_NS6detail17trampoline_kernelINS0_14default_configENS1_25partition_config_selectorILNS1_17partition_subalgoE0ExNS0_10empty_typeEbEEZZNS1_14partition_implILS5_0ELb0ES3_jN6thrust23THRUST_200600_302600_NS6detail15normal_iteratorINSA_10device_ptrIxEEEEPS6_SG_NS0_5tupleIJSF_NSA_16discard_iteratorINSA_11use_defaultEEEEEENSH_IJSG_SG_EEES6_PlJ7is_evenIxEEEE10hipError_tPvRmT3_T4_T5_T6_T7_T9_mT8_P12ihipStream_tbDpT10_ENKUlT_T0_E_clISt17integral_constantIbLb0EES19_EEDaS14_S15_EUlS14_E_NS1_11comp_targetILNS1_3genE4ELNS1_11target_archE910ELNS1_3gpuE8ELNS1_3repE0EEENS1_30default_config_static_selectorELNS0_4arch9wavefront6targetE1EEEvT1_
; %bb.0:
	.section	.rodata,"a",@progbits
	.p2align	6, 0x0
	.amdhsa_kernel _ZN7rocprim17ROCPRIM_400000_NS6detail17trampoline_kernelINS0_14default_configENS1_25partition_config_selectorILNS1_17partition_subalgoE0ExNS0_10empty_typeEbEEZZNS1_14partition_implILS5_0ELb0ES3_jN6thrust23THRUST_200600_302600_NS6detail15normal_iteratorINSA_10device_ptrIxEEEEPS6_SG_NS0_5tupleIJSF_NSA_16discard_iteratorINSA_11use_defaultEEEEEENSH_IJSG_SG_EEES6_PlJ7is_evenIxEEEE10hipError_tPvRmT3_T4_T5_T6_T7_T9_mT8_P12ihipStream_tbDpT10_ENKUlT_T0_E_clISt17integral_constantIbLb0EES19_EEDaS14_S15_EUlS14_E_NS1_11comp_targetILNS1_3genE4ELNS1_11target_archE910ELNS1_3gpuE8ELNS1_3repE0EEENS1_30default_config_static_selectorELNS0_4arch9wavefront6targetE1EEEvT1_
		.amdhsa_group_segment_fixed_size 0
		.amdhsa_private_segment_fixed_size 0
		.amdhsa_kernarg_size 128
		.amdhsa_user_sgpr_count 2
		.amdhsa_user_sgpr_dispatch_ptr 0
		.amdhsa_user_sgpr_queue_ptr 0
		.amdhsa_user_sgpr_kernarg_segment_ptr 1
		.amdhsa_user_sgpr_dispatch_id 0
		.amdhsa_user_sgpr_kernarg_preload_length 0
		.amdhsa_user_sgpr_kernarg_preload_offset 0
		.amdhsa_user_sgpr_private_segment_size 0
		.amdhsa_uses_dynamic_stack 0
		.amdhsa_enable_private_segment 0
		.amdhsa_system_sgpr_workgroup_id_x 1
		.amdhsa_system_sgpr_workgroup_id_y 0
		.amdhsa_system_sgpr_workgroup_id_z 0
		.amdhsa_system_sgpr_workgroup_info 0
		.amdhsa_system_vgpr_workitem_id 0
		.amdhsa_next_free_vgpr 1
		.amdhsa_next_free_sgpr 0
		.amdhsa_accum_offset 4
		.amdhsa_reserve_vcc 0
		.amdhsa_float_round_mode_32 0
		.amdhsa_float_round_mode_16_64 0
		.amdhsa_float_denorm_mode_32 3
		.amdhsa_float_denorm_mode_16_64 3
		.amdhsa_dx10_clamp 1
		.amdhsa_ieee_mode 1
		.amdhsa_fp16_overflow 0
		.amdhsa_tg_split 0
		.amdhsa_exception_fp_ieee_invalid_op 0
		.amdhsa_exception_fp_denorm_src 0
		.amdhsa_exception_fp_ieee_div_zero 0
		.amdhsa_exception_fp_ieee_overflow 0
		.amdhsa_exception_fp_ieee_underflow 0
		.amdhsa_exception_fp_ieee_inexact 0
		.amdhsa_exception_int_div_zero 0
	.end_amdhsa_kernel
	.section	.text._ZN7rocprim17ROCPRIM_400000_NS6detail17trampoline_kernelINS0_14default_configENS1_25partition_config_selectorILNS1_17partition_subalgoE0ExNS0_10empty_typeEbEEZZNS1_14partition_implILS5_0ELb0ES3_jN6thrust23THRUST_200600_302600_NS6detail15normal_iteratorINSA_10device_ptrIxEEEEPS6_SG_NS0_5tupleIJSF_NSA_16discard_iteratorINSA_11use_defaultEEEEEENSH_IJSG_SG_EEES6_PlJ7is_evenIxEEEE10hipError_tPvRmT3_T4_T5_T6_T7_T9_mT8_P12ihipStream_tbDpT10_ENKUlT_T0_E_clISt17integral_constantIbLb0EES19_EEDaS14_S15_EUlS14_E_NS1_11comp_targetILNS1_3genE4ELNS1_11target_archE910ELNS1_3gpuE8ELNS1_3repE0EEENS1_30default_config_static_selectorELNS0_4arch9wavefront6targetE1EEEvT1_,"axG",@progbits,_ZN7rocprim17ROCPRIM_400000_NS6detail17trampoline_kernelINS0_14default_configENS1_25partition_config_selectorILNS1_17partition_subalgoE0ExNS0_10empty_typeEbEEZZNS1_14partition_implILS5_0ELb0ES3_jN6thrust23THRUST_200600_302600_NS6detail15normal_iteratorINSA_10device_ptrIxEEEEPS6_SG_NS0_5tupleIJSF_NSA_16discard_iteratorINSA_11use_defaultEEEEEENSH_IJSG_SG_EEES6_PlJ7is_evenIxEEEE10hipError_tPvRmT3_T4_T5_T6_T7_T9_mT8_P12ihipStream_tbDpT10_ENKUlT_T0_E_clISt17integral_constantIbLb0EES19_EEDaS14_S15_EUlS14_E_NS1_11comp_targetILNS1_3genE4ELNS1_11target_archE910ELNS1_3gpuE8ELNS1_3repE0EEENS1_30default_config_static_selectorELNS0_4arch9wavefront6targetE1EEEvT1_,comdat
.Lfunc_end2621:
	.size	_ZN7rocprim17ROCPRIM_400000_NS6detail17trampoline_kernelINS0_14default_configENS1_25partition_config_selectorILNS1_17partition_subalgoE0ExNS0_10empty_typeEbEEZZNS1_14partition_implILS5_0ELb0ES3_jN6thrust23THRUST_200600_302600_NS6detail15normal_iteratorINSA_10device_ptrIxEEEEPS6_SG_NS0_5tupleIJSF_NSA_16discard_iteratorINSA_11use_defaultEEEEEENSH_IJSG_SG_EEES6_PlJ7is_evenIxEEEE10hipError_tPvRmT3_T4_T5_T6_T7_T9_mT8_P12ihipStream_tbDpT10_ENKUlT_T0_E_clISt17integral_constantIbLb0EES19_EEDaS14_S15_EUlS14_E_NS1_11comp_targetILNS1_3genE4ELNS1_11target_archE910ELNS1_3gpuE8ELNS1_3repE0EEENS1_30default_config_static_selectorELNS0_4arch9wavefront6targetE1EEEvT1_, .Lfunc_end2621-_ZN7rocprim17ROCPRIM_400000_NS6detail17trampoline_kernelINS0_14default_configENS1_25partition_config_selectorILNS1_17partition_subalgoE0ExNS0_10empty_typeEbEEZZNS1_14partition_implILS5_0ELb0ES3_jN6thrust23THRUST_200600_302600_NS6detail15normal_iteratorINSA_10device_ptrIxEEEEPS6_SG_NS0_5tupleIJSF_NSA_16discard_iteratorINSA_11use_defaultEEEEEENSH_IJSG_SG_EEES6_PlJ7is_evenIxEEEE10hipError_tPvRmT3_T4_T5_T6_T7_T9_mT8_P12ihipStream_tbDpT10_ENKUlT_T0_E_clISt17integral_constantIbLb0EES19_EEDaS14_S15_EUlS14_E_NS1_11comp_targetILNS1_3genE4ELNS1_11target_archE910ELNS1_3gpuE8ELNS1_3repE0EEENS1_30default_config_static_selectorELNS0_4arch9wavefront6targetE1EEEvT1_
                                        ; -- End function
	.section	.AMDGPU.csdata,"",@progbits
; Kernel info:
; codeLenInByte = 0
; NumSgprs: 6
; NumVgprs: 0
; NumAgprs: 0
; TotalNumVgprs: 0
; ScratchSize: 0
; MemoryBound: 0
; FloatMode: 240
; IeeeMode: 1
; LDSByteSize: 0 bytes/workgroup (compile time only)
; SGPRBlocks: 0
; VGPRBlocks: 0
; NumSGPRsForWavesPerEU: 6
; NumVGPRsForWavesPerEU: 1
; AccumOffset: 4
; Occupancy: 8
; WaveLimiterHint : 0
; COMPUTE_PGM_RSRC2:SCRATCH_EN: 0
; COMPUTE_PGM_RSRC2:USER_SGPR: 2
; COMPUTE_PGM_RSRC2:TRAP_HANDLER: 0
; COMPUTE_PGM_RSRC2:TGID_X_EN: 1
; COMPUTE_PGM_RSRC2:TGID_Y_EN: 0
; COMPUTE_PGM_RSRC2:TGID_Z_EN: 0
; COMPUTE_PGM_RSRC2:TIDIG_COMP_CNT: 0
; COMPUTE_PGM_RSRC3_GFX90A:ACCUM_OFFSET: 0
; COMPUTE_PGM_RSRC3_GFX90A:TG_SPLIT: 0
	.section	.text._ZN7rocprim17ROCPRIM_400000_NS6detail17trampoline_kernelINS0_14default_configENS1_25partition_config_selectorILNS1_17partition_subalgoE0ExNS0_10empty_typeEbEEZZNS1_14partition_implILS5_0ELb0ES3_jN6thrust23THRUST_200600_302600_NS6detail15normal_iteratorINSA_10device_ptrIxEEEEPS6_SG_NS0_5tupleIJSF_NSA_16discard_iteratorINSA_11use_defaultEEEEEENSH_IJSG_SG_EEES6_PlJ7is_evenIxEEEE10hipError_tPvRmT3_T4_T5_T6_T7_T9_mT8_P12ihipStream_tbDpT10_ENKUlT_T0_E_clISt17integral_constantIbLb0EES19_EEDaS14_S15_EUlS14_E_NS1_11comp_targetILNS1_3genE3ELNS1_11target_archE908ELNS1_3gpuE7ELNS1_3repE0EEENS1_30default_config_static_selectorELNS0_4arch9wavefront6targetE1EEEvT1_,"axG",@progbits,_ZN7rocprim17ROCPRIM_400000_NS6detail17trampoline_kernelINS0_14default_configENS1_25partition_config_selectorILNS1_17partition_subalgoE0ExNS0_10empty_typeEbEEZZNS1_14partition_implILS5_0ELb0ES3_jN6thrust23THRUST_200600_302600_NS6detail15normal_iteratorINSA_10device_ptrIxEEEEPS6_SG_NS0_5tupleIJSF_NSA_16discard_iteratorINSA_11use_defaultEEEEEENSH_IJSG_SG_EEES6_PlJ7is_evenIxEEEE10hipError_tPvRmT3_T4_T5_T6_T7_T9_mT8_P12ihipStream_tbDpT10_ENKUlT_T0_E_clISt17integral_constantIbLb0EES19_EEDaS14_S15_EUlS14_E_NS1_11comp_targetILNS1_3genE3ELNS1_11target_archE908ELNS1_3gpuE7ELNS1_3repE0EEENS1_30default_config_static_selectorELNS0_4arch9wavefront6targetE1EEEvT1_,comdat
	.protected	_ZN7rocprim17ROCPRIM_400000_NS6detail17trampoline_kernelINS0_14default_configENS1_25partition_config_selectorILNS1_17partition_subalgoE0ExNS0_10empty_typeEbEEZZNS1_14partition_implILS5_0ELb0ES3_jN6thrust23THRUST_200600_302600_NS6detail15normal_iteratorINSA_10device_ptrIxEEEEPS6_SG_NS0_5tupleIJSF_NSA_16discard_iteratorINSA_11use_defaultEEEEEENSH_IJSG_SG_EEES6_PlJ7is_evenIxEEEE10hipError_tPvRmT3_T4_T5_T6_T7_T9_mT8_P12ihipStream_tbDpT10_ENKUlT_T0_E_clISt17integral_constantIbLb0EES19_EEDaS14_S15_EUlS14_E_NS1_11comp_targetILNS1_3genE3ELNS1_11target_archE908ELNS1_3gpuE7ELNS1_3repE0EEENS1_30default_config_static_selectorELNS0_4arch9wavefront6targetE1EEEvT1_ ; -- Begin function _ZN7rocprim17ROCPRIM_400000_NS6detail17trampoline_kernelINS0_14default_configENS1_25partition_config_selectorILNS1_17partition_subalgoE0ExNS0_10empty_typeEbEEZZNS1_14partition_implILS5_0ELb0ES3_jN6thrust23THRUST_200600_302600_NS6detail15normal_iteratorINSA_10device_ptrIxEEEEPS6_SG_NS0_5tupleIJSF_NSA_16discard_iteratorINSA_11use_defaultEEEEEENSH_IJSG_SG_EEES6_PlJ7is_evenIxEEEE10hipError_tPvRmT3_T4_T5_T6_T7_T9_mT8_P12ihipStream_tbDpT10_ENKUlT_T0_E_clISt17integral_constantIbLb0EES19_EEDaS14_S15_EUlS14_E_NS1_11comp_targetILNS1_3genE3ELNS1_11target_archE908ELNS1_3gpuE7ELNS1_3repE0EEENS1_30default_config_static_selectorELNS0_4arch9wavefront6targetE1EEEvT1_
	.globl	_ZN7rocprim17ROCPRIM_400000_NS6detail17trampoline_kernelINS0_14default_configENS1_25partition_config_selectorILNS1_17partition_subalgoE0ExNS0_10empty_typeEbEEZZNS1_14partition_implILS5_0ELb0ES3_jN6thrust23THRUST_200600_302600_NS6detail15normal_iteratorINSA_10device_ptrIxEEEEPS6_SG_NS0_5tupleIJSF_NSA_16discard_iteratorINSA_11use_defaultEEEEEENSH_IJSG_SG_EEES6_PlJ7is_evenIxEEEE10hipError_tPvRmT3_T4_T5_T6_T7_T9_mT8_P12ihipStream_tbDpT10_ENKUlT_T0_E_clISt17integral_constantIbLb0EES19_EEDaS14_S15_EUlS14_E_NS1_11comp_targetILNS1_3genE3ELNS1_11target_archE908ELNS1_3gpuE7ELNS1_3repE0EEENS1_30default_config_static_selectorELNS0_4arch9wavefront6targetE1EEEvT1_
	.p2align	8
	.type	_ZN7rocprim17ROCPRIM_400000_NS6detail17trampoline_kernelINS0_14default_configENS1_25partition_config_selectorILNS1_17partition_subalgoE0ExNS0_10empty_typeEbEEZZNS1_14partition_implILS5_0ELb0ES3_jN6thrust23THRUST_200600_302600_NS6detail15normal_iteratorINSA_10device_ptrIxEEEEPS6_SG_NS0_5tupleIJSF_NSA_16discard_iteratorINSA_11use_defaultEEEEEENSH_IJSG_SG_EEES6_PlJ7is_evenIxEEEE10hipError_tPvRmT3_T4_T5_T6_T7_T9_mT8_P12ihipStream_tbDpT10_ENKUlT_T0_E_clISt17integral_constantIbLb0EES19_EEDaS14_S15_EUlS14_E_NS1_11comp_targetILNS1_3genE3ELNS1_11target_archE908ELNS1_3gpuE7ELNS1_3repE0EEENS1_30default_config_static_selectorELNS0_4arch9wavefront6targetE1EEEvT1_,@function
_ZN7rocprim17ROCPRIM_400000_NS6detail17trampoline_kernelINS0_14default_configENS1_25partition_config_selectorILNS1_17partition_subalgoE0ExNS0_10empty_typeEbEEZZNS1_14partition_implILS5_0ELb0ES3_jN6thrust23THRUST_200600_302600_NS6detail15normal_iteratorINSA_10device_ptrIxEEEEPS6_SG_NS0_5tupleIJSF_NSA_16discard_iteratorINSA_11use_defaultEEEEEENSH_IJSG_SG_EEES6_PlJ7is_evenIxEEEE10hipError_tPvRmT3_T4_T5_T6_T7_T9_mT8_P12ihipStream_tbDpT10_ENKUlT_T0_E_clISt17integral_constantIbLb0EES19_EEDaS14_S15_EUlS14_E_NS1_11comp_targetILNS1_3genE3ELNS1_11target_archE908ELNS1_3gpuE7ELNS1_3repE0EEENS1_30default_config_static_selectorELNS0_4arch9wavefront6targetE1EEEvT1_: ; @_ZN7rocprim17ROCPRIM_400000_NS6detail17trampoline_kernelINS0_14default_configENS1_25partition_config_selectorILNS1_17partition_subalgoE0ExNS0_10empty_typeEbEEZZNS1_14partition_implILS5_0ELb0ES3_jN6thrust23THRUST_200600_302600_NS6detail15normal_iteratorINSA_10device_ptrIxEEEEPS6_SG_NS0_5tupleIJSF_NSA_16discard_iteratorINSA_11use_defaultEEEEEENSH_IJSG_SG_EEES6_PlJ7is_evenIxEEEE10hipError_tPvRmT3_T4_T5_T6_T7_T9_mT8_P12ihipStream_tbDpT10_ENKUlT_T0_E_clISt17integral_constantIbLb0EES19_EEDaS14_S15_EUlS14_E_NS1_11comp_targetILNS1_3genE3ELNS1_11target_archE908ELNS1_3gpuE7ELNS1_3repE0EEENS1_30default_config_static_selectorELNS0_4arch9wavefront6targetE1EEEvT1_
; %bb.0:
	.section	.rodata,"a",@progbits
	.p2align	6, 0x0
	.amdhsa_kernel _ZN7rocprim17ROCPRIM_400000_NS6detail17trampoline_kernelINS0_14default_configENS1_25partition_config_selectorILNS1_17partition_subalgoE0ExNS0_10empty_typeEbEEZZNS1_14partition_implILS5_0ELb0ES3_jN6thrust23THRUST_200600_302600_NS6detail15normal_iteratorINSA_10device_ptrIxEEEEPS6_SG_NS0_5tupleIJSF_NSA_16discard_iteratorINSA_11use_defaultEEEEEENSH_IJSG_SG_EEES6_PlJ7is_evenIxEEEE10hipError_tPvRmT3_T4_T5_T6_T7_T9_mT8_P12ihipStream_tbDpT10_ENKUlT_T0_E_clISt17integral_constantIbLb0EES19_EEDaS14_S15_EUlS14_E_NS1_11comp_targetILNS1_3genE3ELNS1_11target_archE908ELNS1_3gpuE7ELNS1_3repE0EEENS1_30default_config_static_selectorELNS0_4arch9wavefront6targetE1EEEvT1_
		.amdhsa_group_segment_fixed_size 0
		.amdhsa_private_segment_fixed_size 0
		.amdhsa_kernarg_size 128
		.amdhsa_user_sgpr_count 2
		.amdhsa_user_sgpr_dispatch_ptr 0
		.amdhsa_user_sgpr_queue_ptr 0
		.amdhsa_user_sgpr_kernarg_segment_ptr 1
		.amdhsa_user_sgpr_dispatch_id 0
		.amdhsa_user_sgpr_kernarg_preload_length 0
		.amdhsa_user_sgpr_kernarg_preload_offset 0
		.amdhsa_user_sgpr_private_segment_size 0
		.amdhsa_uses_dynamic_stack 0
		.amdhsa_enable_private_segment 0
		.amdhsa_system_sgpr_workgroup_id_x 1
		.amdhsa_system_sgpr_workgroup_id_y 0
		.amdhsa_system_sgpr_workgroup_id_z 0
		.amdhsa_system_sgpr_workgroup_info 0
		.amdhsa_system_vgpr_workitem_id 0
		.amdhsa_next_free_vgpr 1
		.amdhsa_next_free_sgpr 0
		.amdhsa_accum_offset 4
		.amdhsa_reserve_vcc 0
		.amdhsa_float_round_mode_32 0
		.amdhsa_float_round_mode_16_64 0
		.amdhsa_float_denorm_mode_32 3
		.amdhsa_float_denorm_mode_16_64 3
		.amdhsa_dx10_clamp 1
		.amdhsa_ieee_mode 1
		.amdhsa_fp16_overflow 0
		.amdhsa_tg_split 0
		.amdhsa_exception_fp_ieee_invalid_op 0
		.amdhsa_exception_fp_denorm_src 0
		.amdhsa_exception_fp_ieee_div_zero 0
		.amdhsa_exception_fp_ieee_overflow 0
		.amdhsa_exception_fp_ieee_underflow 0
		.amdhsa_exception_fp_ieee_inexact 0
		.amdhsa_exception_int_div_zero 0
	.end_amdhsa_kernel
	.section	.text._ZN7rocprim17ROCPRIM_400000_NS6detail17trampoline_kernelINS0_14default_configENS1_25partition_config_selectorILNS1_17partition_subalgoE0ExNS0_10empty_typeEbEEZZNS1_14partition_implILS5_0ELb0ES3_jN6thrust23THRUST_200600_302600_NS6detail15normal_iteratorINSA_10device_ptrIxEEEEPS6_SG_NS0_5tupleIJSF_NSA_16discard_iteratorINSA_11use_defaultEEEEEENSH_IJSG_SG_EEES6_PlJ7is_evenIxEEEE10hipError_tPvRmT3_T4_T5_T6_T7_T9_mT8_P12ihipStream_tbDpT10_ENKUlT_T0_E_clISt17integral_constantIbLb0EES19_EEDaS14_S15_EUlS14_E_NS1_11comp_targetILNS1_3genE3ELNS1_11target_archE908ELNS1_3gpuE7ELNS1_3repE0EEENS1_30default_config_static_selectorELNS0_4arch9wavefront6targetE1EEEvT1_,"axG",@progbits,_ZN7rocprim17ROCPRIM_400000_NS6detail17trampoline_kernelINS0_14default_configENS1_25partition_config_selectorILNS1_17partition_subalgoE0ExNS0_10empty_typeEbEEZZNS1_14partition_implILS5_0ELb0ES3_jN6thrust23THRUST_200600_302600_NS6detail15normal_iteratorINSA_10device_ptrIxEEEEPS6_SG_NS0_5tupleIJSF_NSA_16discard_iteratorINSA_11use_defaultEEEEEENSH_IJSG_SG_EEES6_PlJ7is_evenIxEEEE10hipError_tPvRmT3_T4_T5_T6_T7_T9_mT8_P12ihipStream_tbDpT10_ENKUlT_T0_E_clISt17integral_constantIbLb0EES19_EEDaS14_S15_EUlS14_E_NS1_11comp_targetILNS1_3genE3ELNS1_11target_archE908ELNS1_3gpuE7ELNS1_3repE0EEENS1_30default_config_static_selectorELNS0_4arch9wavefront6targetE1EEEvT1_,comdat
.Lfunc_end2622:
	.size	_ZN7rocprim17ROCPRIM_400000_NS6detail17trampoline_kernelINS0_14default_configENS1_25partition_config_selectorILNS1_17partition_subalgoE0ExNS0_10empty_typeEbEEZZNS1_14partition_implILS5_0ELb0ES3_jN6thrust23THRUST_200600_302600_NS6detail15normal_iteratorINSA_10device_ptrIxEEEEPS6_SG_NS0_5tupleIJSF_NSA_16discard_iteratorINSA_11use_defaultEEEEEENSH_IJSG_SG_EEES6_PlJ7is_evenIxEEEE10hipError_tPvRmT3_T4_T5_T6_T7_T9_mT8_P12ihipStream_tbDpT10_ENKUlT_T0_E_clISt17integral_constantIbLb0EES19_EEDaS14_S15_EUlS14_E_NS1_11comp_targetILNS1_3genE3ELNS1_11target_archE908ELNS1_3gpuE7ELNS1_3repE0EEENS1_30default_config_static_selectorELNS0_4arch9wavefront6targetE1EEEvT1_, .Lfunc_end2622-_ZN7rocprim17ROCPRIM_400000_NS6detail17trampoline_kernelINS0_14default_configENS1_25partition_config_selectorILNS1_17partition_subalgoE0ExNS0_10empty_typeEbEEZZNS1_14partition_implILS5_0ELb0ES3_jN6thrust23THRUST_200600_302600_NS6detail15normal_iteratorINSA_10device_ptrIxEEEEPS6_SG_NS0_5tupleIJSF_NSA_16discard_iteratorINSA_11use_defaultEEEEEENSH_IJSG_SG_EEES6_PlJ7is_evenIxEEEE10hipError_tPvRmT3_T4_T5_T6_T7_T9_mT8_P12ihipStream_tbDpT10_ENKUlT_T0_E_clISt17integral_constantIbLb0EES19_EEDaS14_S15_EUlS14_E_NS1_11comp_targetILNS1_3genE3ELNS1_11target_archE908ELNS1_3gpuE7ELNS1_3repE0EEENS1_30default_config_static_selectorELNS0_4arch9wavefront6targetE1EEEvT1_
                                        ; -- End function
	.section	.AMDGPU.csdata,"",@progbits
; Kernel info:
; codeLenInByte = 0
; NumSgprs: 6
; NumVgprs: 0
; NumAgprs: 0
; TotalNumVgprs: 0
; ScratchSize: 0
; MemoryBound: 0
; FloatMode: 240
; IeeeMode: 1
; LDSByteSize: 0 bytes/workgroup (compile time only)
; SGPRBlocks: 0
; VGPRBlocks: 0
; NumSGPRsForWavesPerEU: 6
; NumVGPRsForWavesPerEU: 1
; AccumOffset: 4
; Occupancy: 8
; WaveLimiterHint : 0
; COMPUTE_PGM_RSRC2:SCRATCH_EN: 0
; COMPUTE_PGM_RSRC2:USER_SGPR: 2
; COMPUTE_PGM_RSRC2:TRAP_HANDLER: 0
; COMPUTE_PGM_RSRC2:TGID_X_EN: 1
; COMPUTE_PGM_RSRC2:TGID_Y_EN: 0
; COMPUTE_PGM_RSRC2:TGID_Z_EN: 0
; COMPUTE_PGM_RSRC2:TIDIG_COMP_CNT: 0
; COMPUTE_PGM_RSRC3_GFX90A:ACCUM_OFFSET: 0
; COMPUTE_PGM_RSRC3_GFX90A:TG_SPLIT: 0
	.section	.text._ZN7rocprim17ROCPRIM_400000_NS6detail17trampoline_kernelINS0_14default_configENS1_25partition_config_selectorILNS1_17partition_subalgoE0ExNS0_10empty_typeEbEEZZNS1_14partition_implILS5_0ELb0ES3_jN6thrust23THRUST_200600_302600_NS6detail15normal_iteratorINSA_10device_ptrIxEEEEPS6_SG_NS0_5tupleIJSF_NSA_16discard_iteratorINSA_11use_defaultEEEEEENSH_IJSG_SG_EEES6_PlJ7is_evenIxEEEE10hipError_tPvRmT3_T4_T5_T6_T7_T9_mT8_P12ihipStream_tbDpT10_ENKUlT_T0_E_clISt17integral_constantIbLb0EES19_EEDaS14_S15_EUlS14_E_NS1_11comp_targetILNS1_3genE2ELNS1_11target_archE906ELNS1_3gpuE6ELNS1_3repE0EEENS1_30default_config_static_selectorELNS0_4arch9wavefront6targetE1EEEvT1_,"axG",@progbits,_ZN7rocprim17ROCPRIM_400000_NS6detail17trampoline_kernelINS0_14default_configENS1_25partition_config_selectorILNS1_17partition_subalgoE0ExNS0_10empty_typeEbEEZZNS1_14partition_implILS5_0ELb0ES3_jN6thrust23THRUST_200600_302600_NS6detail15normal_iteratorINSA_10device_ptrIxEEEEPS6_SG_NS0_5tupleIJSF_NSA_16discard_iteratorINSA_11use_defaultEEEEEENSH_IJSG_SG_EEES6_PlJ7is_evenIxEEEE10hipError_tPvRmT3_T4_T5_T6_T7_T9_mT8_P12ihipStream_tbDpT10_ENKUlT_T0_E_clISt17integral_constantIbLb0EES19_EEDaS14_S15_EUlS14_E_NS1_11comp_targetILNS1_3genE2ELNS1_11target_archE906ELNS1_3gpuE6ELNS1_3repE0EEENS1_30default_config_static_selectorELNS0_4arch9wavefront6targetE1EEEvT1_,comdat
	.protected	_ZN7rocprim17ROCPRIM_400000_NS6detail17trampoline_kernelINS0_14default_configENS1_25partition_config_selectorILNS1_17partition_subalgoE0ExNS0_10empty_typeEbEEZZNS1_14partition_implILS5_0ELb0ES3_jN6thrust23THRUST_200600_302600_NS6detail15normal_iteratorINSA_10device_ptrIxEEEEPS6_SG_NS0_5tupleIJSF_NSA_16discard_iteratorINSA_11use_defaultEEEEEENSH_IJSG_SG_EEES6_PlJ7is_evenIxEEEE10hipError_tPvRmT3_T4_T5_T6_T7_T9_mT8_P12ihipStream_tbDpT10_ENKUlT_T0_E_clISt17integral_constantIbLb0EES19_EEDaS14_S15_EUlS14_E_NS1_11comp_targetILNS1_3genE2ELNS1_11target_archE906ELNS1_3gpuE6ELNS1_3repE0EEENS1_30default_config_static_selectorELNS0_4arch9wavefront6targetE1EEEvT1_ ; -- Begin function _ZN7rocprim17ROCPRIM_400000_NS6detail17trampoline_kernelINS0_14default_configENS1_25partition_config_selectorILNS1_17partition_subalgoE0ExNS0_10empty_typeEbEEZZNS1_14partition_implILS5_0ELb0ES3_jN6thrust23THRUST_200600_302600_NS6detail15normal_iteratorINSA_10device_ptrIxEEEEPS6_SG_NS0_5tupleIJSF_NSA_16discard_iteratorINSA_11use_defaultEEEEEENSH_IJSG_SG_EEES6_PlJ7is_evenIxEEEE10hipError_tPvRmT3_T4_T5_T6_T7_T9_mT8_P12ihipStream_tbDpT10_ENKUlT_T0_E_clISt17integral_constantIbLb0EES19_EEDaS14_S15_EUlS14_E_NS1_11comp_targetILNS1_3genE2ELNS1_11target_archE906ELNS1_3gpuE6ELNS1_3repE0EEENS1_30default_config_static_selectorELNS0_4arch9wavefront6targetE1EEEvT1_
	.globl	_ZN7rocprim17ROCPRIM_400000_NS6detail17trampoline_kernelINS0_14default_configENS1_25partition_config_selectorILNS1_17partition_subalgoE0ExNS0_10empty_typeEbEEZZNS1_14partition_implILS5_0ELb0ES3_jN6thrust23THRUST_200600_302600_NS6detail15normal_iteratorINSA_10device_ptrIxEEEEPS6_SG_NS0_5tupleIJSF_NSA_16discard_iteratorINSA_11use_defaultEEEEEENSH_IJSG_SG_EEES6_PlJ7is_evenIxEEEE10hipError_tPvRmT3_T4_T5_T6_T7_T9_mT8_P12ihipStream_tbDpT10_ENKUlT_T0_E_clISt17integral_constantIbLb0EES19_EEDaS14_S15_EUlS14_E_NS1_11comp_targetILNS1_3genE2ELNS1_11target_archE906ELNS1_3gpuE6ELNS1_3repE0EEENS1_30default_config_static_selectorELNS0_4arch9wavefront6targetE1EEEvT1_
	.p2align	8
	.type	_ZN7rocprim17ROCPRIM_400000_NS6detail17trampoline_kernelINS0_14default_configENS1_25partition_config_selectorILNS1_17partition_subalgoE0ExNS0_10empty_typeEbEEZZNS1_14partition_implILS5_0ELb0ES3_jN6thrust23THRUST_200600_302600_NS6detail15normal_iteratorINSA_10device_ptrIxEEEEPS6_SG_NS0_5tupleIJSF_NSA_16discard_iteratorINSA_11use_defaultEEEEEENSH_IJSG_SG_EEES6_PlJ7is_evenIxEEEE10hipError_tPvRmT3_T4_T5_T6_T7_T9_mT8_P12ihipStream_tbDpT10_ENKUlT_T0_E_clISt17integral_constantIbLb0EES19_EEDaS14_S15_EUlS14_E_NS1_11comp_targetILNS1_3genE2ELNS1_11target_archE906ELNS1_3gpuE6ELNS1_3repE0EEENS1_30default_config_static_selectorELNS0_4arch9wavefront6targetE1EEEvT1_,@function
_ZN7rocprim17ROCPRIM_400000_NS6detail17trampoline_kernelINS0_14default_configENS1_25partition_config_selectorILNS1_17partition_subalgoE0ExNS0_10empty_typeEbEEZZNS1_14partition_implILS5_0ELb0ES3_jN6thrust23THRUST_200600_302600_NS6detail15normal_iteratorINSA_10device_ptrIxEEEEPS6_SG_NS0_5tupleIJSF_NSA_16discard_iteratorINSA_11use_defaultEEEEEENSH_IJSG_SG_EEES6_PlJ7is_evenIxEEEE10hipError_tPvRmT3_T4_T5_T6_T7_T9_mT8_P12ihipStream_tbDpT10_ENKUlT_T0_E_clISt17integral_constantIbLb0EES19_EEDaS14_S15_EUlS14_E_NS1_11comp_targetILNS1_3genE2ELNS1_11target_archE906ELNS1_3gpuE6ELNS1_3repE0EEENS1_30default_config_static_selectorELNS0_4arch9wavefront6targetE1EEEvT1_: ; @_ZN7rocprim17ROCPRIM_400000_NS6detail17trampoline_kernelINS0_14default_configENS1_25partition_config_selectorILNS1_17partition_subalgoE0ExNS0_10empty_typeEbEEZZNS1_14partition_implILS5_0ELb0ES3_jN6thrust23THRUST_200600_302600_NS6detail15normal_iteratorINSA_10device_ptrIxEEEEPS6_SG_NS0_5tupleIJSF_NSA_16discard_iteratorINSA_11use_defaultEEEEEENSH_IJSG_SG_EEES6_PlJ7is_evenIxEEEE10hipError_tPvRmT3_T4_T5_T6_T7_T9_mT8_P12ihipStream_tbDpT10_ENKUlT_T0_E_clISt17integral_constantIbLb0EES19_EEDaS14_S15_EUlS14_E_NS1_11comp_targetILNS1_3genE2ELNS1_11target_archE906ELNS1_3gpuE6ELNS1_3repE0EEENS1_30default_config_static_selectorELNS0_4arch9wavefront6targetE1EEEvT1_
; %bb.0:
	.section	.rodata,"a",@progbits
	.p2align	6, 0x0
	.amdhsa_kernel _ZN7rocprim17ROCPRIM_400000_NS6detail17trampoline_kernelINS0_14default_configENS1_25partition_config_selectorILNS1_17partition_subalgoE0ExNS0_10empty_typeEbEEZZNS1_14partition_implILS5_0ELb0ES3_jN6thrust23THRUST_200600_302600_NS6detail15normal_iteratorINSA_10device_ptrIxEEEEPS6_SG_NS0_5tupleIJSF_NSA_16discard_iteratorINSA_11use_defaultEEEEEENSH_IJSG_SG_EEES6_PlJ7is_evenIxEEEE10hipError_tPvRmT3_T4_T5_T6_T7_T9_mT8_P12ihipStream_tbDpT10_ENKUlT_T0_E_clISt17integral_constantIbLb0EES19_EEDaS14_S15_EUlS14_E_NS1_11comp_targetILNS1_3genE2ELNS1_11target_archE906ELNS1_3gpuE6ELNS1_3repE0EEENS1_30default_config_static_selectorELNS0_4arch9wavefront6targetE1EEEvT1_
		.amdhsa_group_segment_fixed_size 0
		.amdhsa_private_segment_fixed_size 0
		.amdhsa_kernarg_size 128
		.amdhsa_user_sgpr_count 2
		.amdhsa_user_sgpr_dispatch_ptr 0
		.amdhsa_user_sgpr_queue_ptr 0
		.amdhsa_user_sgpr_kernarg_segment_ptr 1
		.amdhsa_user_sgpr_dispatch_id 0
		.amdhsa_user_sgpr_kernarg_preload_length 0
		.amdhsa_user_sgpr_kernarg_preload_offset 0
		.amdhsa_user_sgpr_private_segment_size 0
		.amdhsa_uses_dynamic_stack 0
		.amdhsa_enable_private_segment 0
		.amdhsa_system_sgpr_workgroup_id_x 1
		.amdhsa_system_sgpr_workgroup_id_y 0
		.amdhsa_system_sgpr_workgroup_id_z 0
		.amdhsa_system_sgpr_workgroup_info 0
		.amdhsa_system_vgpr_workitem_id 0
		.amdhsa_next_free_vgpr 1
		.amdhsa_next_free_sgpr 0
		.amdhsa_accum_offset 4
		.amdhsa_reserve_vcc 0
		.amdhsa_float_round_mode_32 0
		.amdhsa_float_round_mode_16_64 0
		.amdhsa_float_denorm_mode_32 3
		.amdhsa_float_denorm_mode_16_64 3
		.amdhsa_dx10_clamp 1
		.amdhsa_ieee_mode 1
		.amdhsa_fp16_overflow 0
		.amdhsa_tg_split 0
		.amdhsa_exception_fp_ieee_invalid_op 0
		.amdhsa_exception_fp_denorm_src 0
		.amdhsa_exception_fp_ieee_div_zero 0
		.amdhsa_exception_fp_ieee_overflow 0
		.amdhsa_exception_fp_ieee_underflow 0
		.amdhsa_exception_fp_ieee_inexact 0
		.amdhsa_exception_int_div_zero 0
	.end_amdhsa_kernel
	.section	.text._ZN7rocprim17ROCPRIM_400000_NS6detail17trampoline_kernelINS0_14default_configENS1_25partition_config_selectorILNS1_17partition_subalgoE0ExNS0_10empty_typeEbEEZZNS1_14partition_implILS5_0ELb0ES3_jN6thrust23THRUST_200600_302600_NS6detail15normal_iteratorINSA_10device_ptrIxEEEEPS6_SG_NS0_5tupleIJSF_NSA_16discard_iteratorINSA_11use_defaultEEEEEENSH_IJSG_SG_EEES6_PlJ7is_evenIxEEEE10hipError_tPvRmT3_T4_T5_T6_T7_T9_mT8_P12ihipStream_tbDpT10_ENKUlT_T0_E_clISt17integral_constantIbLb0EES19_EEDaS14_S15_EUlS14_E_NS1_11comp_targetILNS1_3genE2ELNS1_11target_archE906ELNS1_3gpuE6ELNS1_3repE0EEENS1_30default_config_static_selectorELNS0_4arch9wavefront6targetE1EEEvT1_,"axG",@progbits,_ZN7rocprim17ROCPRIM_400000_NS6detail17trampoline_kernelINS0_14default_configENS1_25partition_config_selectorILNS1_17partition_subalgoE0ExNS0_10empty_typeEbEEZZNS1_14partition_implILS5_0ELb0ES3_jN6thrust23THRUST_200600_302600_NS6detail15normal_iteratorINSA_10device_ptrIxEEEEPS6_SG_NS0_5tupleIJSF_NSA_16discard_iteratorINSA_11use_defaultEEEEEENSH_IJSG_SG_EEES6_PlJ7is_evenIxEEEE10hipError_tPvRmT3_T4_T5_T6_T7_T9_mT8_P12ihipStream_tbDpT10_ENKUlT_T0_E_clISt17integral_constantIbLb0EES19_EEDaS14_S15_EUlS14_E_NS1_11comp_targetILNS1_3genE2ELNS1_11target_archE906ELNS1_3gpuE6ELNS1_3repE0EEENS1_30default_config_static_selectorELNS0_4arch9wavefront6targetE1EEEvT1_,comdat
.Lfunc_end2623:
	.size	_ZN7rocprim17ROCPRIM_400000_NS6detail17trampoline_kernelINS0_14default_configENS1_25partition_config_selectorILNS1_17partition_subalgoE0ExNS0_10empty_typeEbEEZZNS1_14partition_implILS5_0ELb0ES3_jN6thrust23THRUST_200600_302600_NS6detail15normal_iteratorINSA_10device_ptrIxEEEEPS6_SG_NS0_5tupleIJSF_NSA_16discard_iteratorINSA_11use_defaultEEEEEENSH_IJSG_SG_EEES6_PlJ7is_evenIxEEEE10hipError_tPvRmT3_T4_T5_T6_T7_T9_mT8_P12ihipStream_tbDpT10_ENKUlT_T0_E_clISt17integral_constantIbLb0EES19_EEDaS14_S15_EUlS14_E_NS1_11comp_targetILNS1_3genE2ELNS1_11target_archE906ELNS1_3gpuE6ELNS1_3repE0EEENS1_30default_config_static_selectorELNS0_4arch9wavefront6targetE1EEEvT1_, .Lfunc_end2623-_ZN7rocprim17ROCPRIM_400000_NS6detail17trampoline_kernelINS0_14default_configENS1_25partition_config_selectorILNS1_17partition_subalgoE0ExNS0_10empty_typeEbEEZZNS1_14partition_implILS5_0ELb0ES3_jN6thrust23THRUST_200600_302600_NS6detail15normal_iteratorINSA_10device_ptrIxEEEEPS6_SG_NS0_5tupleIJSF_NSA_16discard_iteratorINSA_11use_defaultEEEEEENSH_IJSG_SG_EEES6_PlJ7is_evenIxEEEE10hipError_tPvRmT3_T4_T5_T6_T7_T9_mT8_P12ihipStream_tbDpT10_ENKUlT_T0_E_clISt17integral_constantIbLb0EES19_EEDaS14_S15_EUlS14_E_NS1_11comp_targetILNS1_3genE2ELNS1_11target_archE906ELNS1_3gpuE6ELNS1_3repE0EEENS1_30default_config_static_selectorELNS0_4arch9wavefront6targetE1EEEvT1_
                                        ; -- End function
	.section	.AMDGPU.csdata,"",@progbits
; Kernel info:
; codeLenInByte = 0
; NumSgprs: 6
; NumVgprs: 0
; NumAgprs: 0
; TotalNumVgprs: 0
; ScratchSize: 0
; MemoryBound: 0
; FloatMode: 240
; IeeeMode: 1
; LDSByteSize: 0 bytes/workgroup (compile time only)
; SGPRBlocks: 0
; VGPRBlocks: 0
; NumSGPRsForWavesPerEU: 6
; NumVGPRsForWavesPerEU: 1
; AccumOffset: 4
; Occupancy: 8
; WaveLimiterHint : 0
; COMPUTE_PGM_RSRC2:SCRATCH_EN: 0
; COMPUTE_PGM_RSRC2:USER_SGPR: 2
; COMPUTE_PGM_RSRC2:TRAP_HANDLER: 0
; COMPUTE_PGM_RSRC2:TGID_X_EN: 1
; COMPUTE_PGM_RSRC2:TGID_Y_EN: 0
; COMPUTE_PGM_RSRC2:TGID_Z_EN: 0
; COMPUTE_PGM_RSRC2:TIDIG_COMP_CNT: 0
; COMPUTE_PGM_RSRC3_GFX90A:ACCUM_OFFSET: 0
; COMPUTE_PGM_RSRC3_GFX90A:TG_SPLIT: 0
	.section	.text._ZN7rocprim17ROCPRIM_400000_NS6detail17trampoline_kernelINS0_14default_configENS1_25partition_config_selectorILNS1_17partition_subalgoE0ExNS0_10empty_typeEbEEZZNS1_14partition_implILS5_0ELb0ES3_jN6thrust23THRUST_200600_302600_NS6detail15normal_iteratorINSA_10device_ptrIxEEEEPS6_SG_NS0_5tupleIJSF_NSA_16discard_iteratorINSA_11use_defaultEEEEEENSH_IJSG_SG_EEES6_PlJ7is_evenIxEEEE10hipError_tPvRmT3_T4_T5_T6_T7_T9_mT8_P12ihipStream_tbDpT10_ENKUlT_T0_E_clISt17integral_constantIbLb0EES19_EEDaS14_S15_EUlS14_E_NS1_11comp_targetILNS1_3genE10ELNS1_11target_archE1200ELNS1_3gpuE4ELNS1_3repE0EEENS1_30default_config_static_selectorELNS0_4arch9wavefront6targetE1EEEvT1_,"axG",@progbits,_ZN7rocprim17ROCPRIM_400000_NS6detail17trampoline_kernelINS0_14default_configENS1_25partition_config_selectorILNS1_17partition_subalgoE0ExNS0_10empty_typeEbEEZZNS1_14partition_implILS5_0ELb0ES3_jN6thrust23THRUST_200600_302600_NS6detail15normal_iteratorINSA_10device_ptrIxEEEEPS6_SG_NS0_5tupleIJSF_NSA_16discard_iteratorINSA_11use_defaultEEEEEENSH_IJSG_SG_EEES6_PlJ7is_evenIxEEEE10hipError_tPvRmT3_T4_T5_T6_T7_T9_mT8_P12ihipStream_tbDpT10_ENKUlT_T0_E_clISt17integral_constantIbLb0EES19_EEDaS14_S15_EUlS14_E_NS1_11comp_targetILNS1_3genE10ELNS1_11target_archE1200ELNS1_3gpuE4ELNS1_3repE0EEENS1_30default_config_static_selectorELNS0_4arch9wavefront6targetE1EEEvT1_,comdat
	.protected	_ZN7rocprim17ROCPRIM_400000_NS6detail17trampoline_kernelINS0_14default_configENS1_25partition_config_selectorILNS1_17partition_subalgoE0ExNS0_10empty_typeEbEEZZNS1_14partition_implILS5_0ELb0ES3_jN6thrust23THRUST_200600_302600_NS6detail15normal_iteratorINSA_10device_ptrIxEEEEPS6_SG_NS0_5tupleIJSF_NSA_16discard_iteratorINSA_11use_defaultEEEEEENSH_IJSG_SG_EEES6_PlJ7is_evenIxEEEE10hipError_tPvRmT3_T4_T5_T6_T7_T9_mT8_P12ihipStream_tbDpT10_ENKUlT_T0_E_clISt17integral_constantIbLb0EES19_EEDaS14_S15_EUlS14_E_NS1_11comp_targetILNS1_3genE10ELNS1_11target_archE1200ELNS1_3gpuE4ELNS1_3repE0EEENS1_30default_config_static_selectorELNS0_4arch9wavefront6targetE1EEEvT1_ ; -- Begin function _ZN7rocprim17ROCPRIM_400000_NS6detail17trampoline_kernelINS0_14default_configENS1_25partition_config_selectorILNS1_17partition_subalgoE0ExNS0_10empty_typeEbEEZZNS1_14partition_implILS5_0ELb0ES3_jN6thrust23THRUST_200600_302600_NS6detail15normal_iteratorINSA_10device_ptrIxEEEEPS6_SG_NS0_5tupleIJSF_NSA_16discard_iteratorINSA_11use_defaultEEEEEENSH_IJSG_SG_EEES6_PlJ7is_evenIxEEEE10hipError_tPvRmT3_T4_T5_T6_T7_T9_mT8_P12ihipStream_tbDpT10_ENKUlT_T0_E_clISt17integral_constantIbLb0EES19_EEDaS14_S15_EUlS14_E_NS1_11comp_targetILNS1_3genE10ELNS1_11target_archE1200ELNS1_3gpuE4ELNS1_3repE0EEENS1_30default_config_static_selectorELNS0_4arch9wavefront6targetE1EEEvT1_
	.globl	_ZN7rocprim17ROCPRIM_400000_NS6detail17trampoline_kernelINS0_14default_configENS1_25partition_config_selectorILNS1_17partition_subalgoE0ExNS0_10empty_typeEbEEZZNS1_14partition_implILS5_0ELb0ES3_jN6thrust23THRUST_200600_302600_NS6detail15normal_iteratorINSA_10device_ptrIxEEEEPS6_SG_NS0_5tupleIJSF_NSA_16discard_iteratorINSA_11use_defaultEEEEEENSH_IJSG_SG_EEES6_PlJ7is_evenIxEEEE10hipError_tPvRmT3_T4_T5_T6_T7_T9_mT8_P12ihipStream_tbDpT10_ENKUlT_T0_E_clISt17integral_constantIbLb0EES19_EEDaS14_S15_EUlS14_E_NS1_11comp_targetILNS1_3genE10ELNS1_11target_archE1200ELNS1_3gpuE4ELNS1_3repE0EEENS1_30default_config_static_selectorELNS0_4arch9wavefront6targetE1EEEvT1_
	.p2align	8
	.type	_ZN7rocprim17ROCPRIM_400000_NS6detail17trampoline_kernelINS0_14default_configENS1_25partition_config_selectorILNS1_17partition_subalgoE0ExNS0_10empty_typeEbEEZZNS1_14partition_implILS5_0ELb0ES3_jN6thrust23THRUST_200600_302600_NS6detail15normal_iteratorINSA_10device_ptrIxEEEEPS6_SG_NS0_5tupleIJSF_NSA_16discard_iteratorINSA_11use_defaultEEEEEENSH_IJSG_SG_EEES6_PlJ7is_evenIxEEEE10hipError_tPvRmT3_T4_T5_T6_T7_T9_mT8_P12ihipStream_tbDpT10_ENKUlT_T0_E_clISt17integral_constantIbLb0EES19_EEDaS14_S15_EUlS14_E_NS1_11comp_targetILNS1_3genE10ELNS1_11target_archE1200ELNS1_3gpuE4ELNS1_3repE0EEENS1_30default_config_static_selectorELNS0_4arch9wavefront6targetE1EEEvT1_,@function
_ZN7rocprim17ROCPRIM_400000_NS6detail17trampoline_kernelINS0_14default_configENS1_25partition_config_selectorILNS1_17partition_subalgoE0ExNS0_10empty_typeEbEEZZNS1_14partition_implILS5_0ELb0ES3_jN6thrust23THRUST_200600_302600_NS6detail15normal_iteratorINSA_10device_ptrIxEEEEPS6_SG_NS0_5tupleIJSF_NSA_16discard_iteratorINSA_11use_defaultEEEEEENSH_IJSG_SG_EEES6_PlJ7is_evenIxEEEE10hipError_tPvRmT3_T4_T5_T6_T7_T9_mT8_P12ihipStream_tbDpT10_ENKUlT_T0_E_clISt17integral_constantIbLb0EES19_EEDaS14_S15_EUlS14_E_NS1_11comp_targetILNS1_3genE10ELNS1_11target_archE1200ELNS1_3gpuE4ELNS1_3repE0EEENS1_30default_config_static_selectorELNS0_4arch9wavefront6targetE1EEEvT1_: ; @_ZN7rocprim17ROCPRIM_400000_NS6detail17trampoline_kernelINS0_14default_configENS1_25partition_config_selectorILNS1_17partition_subalgoE0ExNS0_10empty_typeEbEEZZNS1_14partition_implILS5_0ELb0ES3_jN6thrust23THRUST_200600_302600_NS6detail15normal_iteratorINSA_10device_ptrIxEEEEPS6_SG_NS0_5tupleIJSF_NSA_16discard_iteratorINSA_11use_defaultEEEEEENSH_IJSG_SG_EEES6_PlJ7is_evenIxEEEE10hipError_tPvRmT3_T4_T5_T6_T7_T9_mT8_P12ihipStream_tbDpT10_ENKUlT_T0_E_clISt17integral_constantIbLb0EES19_EEDaS14_S15_EUlS14_E_NS1_11comp_targetILNS1_3genE10ELNS1_11target_archE1200ELNS1_3gpuE4ELNS1_3repE0EEENS1_30default_config_static_selectorELNS0_4arch9wavefront6targetE1EEEvT1_
; %bb.0:
	.section	.rodata,"a",@progbits
	.p2align	6, 0x0
	.amdhsa_kernel _ZN7rocprim17ROCPRIM_400000_NS6detail17trampoline_kernelINS0_14default_configENS1_25partition_config_selectorILNS1_17partition_subalgoE0ExNS0_10empty_typeEbEEZZNS1_14partition_implILS5_0ELb0ES3_jN6thrust23THRUST_200600_302600_NS6detail15normal_iteratorINSA_10device_ptrIxEEEEPS6_SG_NS0_5tupleIJSF_NSA_16discard_iteratorINSA_11use_defaultEEEEEENSH_IJSG_SG_EEES6_PlJ7is_evenIxEEEE10hipError_tPvRmT3_T4_T5_T6_T7_T9_mT8_P12ihipStream_tbDpT10_ENKUlT_T0_E_clISt17integral_constantIbLb0EES19_EEDaS14_S15_EUlS14_E_NS1_11comp_targetILNS1_3genE10ELNS1_11target_archE1200ELNS1_3gpuE4ELNS1_3repE0EEENS1_30default_config_static_selectorELNS0_4arch9wavefront6targetE1EEEvT1_
		.amdhsa_group_segment_fixed_size 0
		.amdhsa_private_segment_fixed_size 0
		.amdhsa_kernarg_size 128
		.amdhsa_user_sgpr_count 2
		.amdhsa_user_sgpr_dispatch_ptr 0
		.amdhsa_user_sgpr_queue_ptr 0
		.amdhsa_user_sgpr_kernarg_segment_ptr 1
		.amdhsa_user_sgpr_dispatch_id 0
		.amdhsa_user_sgpr_kernarg_preload_length 0
		.amdhsa_user_sgpr_kernarg_preload_offset 0
		.amdhsa_user_sgpr_private_segment_size 0
		.amdhsa_uses_dynamic_stack 0
		.amdhsa_enable_private_segment 0
		.amdhsa_system_sgpr_workgroup_id_x 1
		.amdhsa_system_sgpr_workgroup_id_y 0
		.amdhsa_system_sgpr_workgroup_id_z 0
		.amdhsa_system_sgpr_workgroup_info 0
		.amdhsa_system_vgpr_workitem_id 0
		.amdhsa_next_free_vgpr 1
		.amdhsa_next_free_sgpr 0
		.amdhsa_accum_offset 4
		.amdhsa_reserve_vcc 0
		.amdhsa_float_round_mode_32 0
		.amdhsa_float_round_mode_16_64 0
		.amdhsa_float_denorm_mode_32 3
		.amdhsa_float_denorm_mode_16_64 3
		.amdhsa_dx10_clamp 1
		.amdhsa_ieee_mode 1
		.amdhsa_fp16_overflow 0
		.amdhsa_tg_split 0
		.amdhsa_exception_fp_ieee_invalid_op 0
		.amdhsa_exception_fp_denorm_src 0
		.amdhsa_exception_fp_ieee_div_zero 0
		.amdhsa_exception_fp_ieee_overflow 0
		.amdhsa_exception_fp_ieee_underflow 0
		.amdhsa_exception_fp_ieee_inexact 0
		.amdhsa_exception_int_div_zero 0
	.end_amdhsa_kernel
	.section	.text._ZN7rocprim17ROCPRIM_400000_NS6detail17trampoline_kernelINS0_14default_configENS1_25partition_config_selectorILNS1_17partition_subalgoE0ExNS0_10empty_typeEbEEZZNS1_14partition_implILS5_0ELb0ES3_jN6thrust23THRUST_200600_302600_NS6detail15normal_iteratorINSA_10device_ptrIxEEEEPS6_SG_NS0_5tupleIJSF_NSA_16discard_iteratorINSA_11use_defaultEEEEEENSH_IJSG_SG_EEES6_PlJ7is_evenIxEEEE10hipError_tPvRmT3_T4_T5_T6_T7_T9_mT8_P12ihipStream_tbDpT10_ENKUlT_T0_E_clISt17integral_constantIbLb0EES19_EEDaS14_S15_EUlS14_E_NS1_11comp_targetILNS1_3genE10ELNS1_11target_archE1200ELNS1_3gpuE4ELNS1_3repE0EEENS1_30default_config_static_selectorELNS0_4arch9wavefront6targetE1EEEvT1_,"axG",@progbits,_ZN7rocprim17ROCPRIM_400000_NS6detail17trampoline_kernelINS0_14default_configENS1_25partition_config_selectorILNS1_17partition_subalgoE0ExNS0_10empty_typeEbEEZZNS1_14partition_implILS5_0ELb0ES3_jN6thrust23THRUST_200600_302600_NS6detail15normal_iteratorINSA_10device_ptrIxEEEEPS6_SG_NS0_5tupleIJSF_NSA_16discard_iteratorINSA_11use_defaultEEEEEENSH_IJSG_SG_EEES6_PlJ7is_evenIxEEEE10hipError_tPvRmT3_T4_T5_T6_T7_T9_mT8_P12ihipStream_tbDpT10_ENKUlT_T0_E_clISt17integral_constantIbLb0EES19_EEDaS14_S15_EUlS14_E_NS1_11comp_targetILNS1_3genE10ELNS1_11target_archE1200ELNS1_3gpuE4ELNS1_3repE0EEENS1_30default_config_static_selectorELNS0_4arch9wavefront6targetE1EEEvT1_,comdat
.Lfunc_end2624:
	.size	_ZN7rocprim17ROCPRIM_400000_NS6detail17trampoline_kernelINS0_14default_configENS1_25partition_config_selectorILNS1_17partition_subalgoE0ExNS0_10empty_typeEbEEZZNS1_14partition_implILS5_0ELb0ES3_jN6thrust23THRUST_200600_302600_NS6detail15normal_iteratorINSA_10device_ptrIxEEEEPS6_SG_NS0_5tupleIJSF_NSA_16discard_iteratorINSA_11use_defaultEEEEEENSH_IJSG_SG_EEES6_PlJ7is_evenIxEEEE10hipError_tPvRmT3_T4_T5_T6_T7_T9_mT8_P12ihipStream_tbDpT10_ENKUlT_T0_E_clISt17integral_constantIbLb0EES19_EEDaS14_S15_EUlS14_E_NS1_11comp_targetILNS1_3genE10ELNS1_11target_archE1200ELNS1_3gpuE4ELNS1_3repE0EEENS1_30default_config_static_selectorELNS0_4arch9wavefront6targetE1EEEvT1_, .Lfunc_end2624-_ZN7rocprim17ROCPRIM_400000_NS6detail17trampoline_kernelINS0_14default_configENS1_25partition_config_selectorILNS1_17partition_subalgoE0ExNS0_10empty_typeEbEEZZNS1_14partition_implILS5_0ELb0ES3_jN6thrust23THRUST_200600_302600_NS6detail15normal_iteratorINSA_10device_ptrIxEEEEPS6_SG_NS0_5tupleIJSF_NSA_16discard_iteratorINSA_11use_defaultEEEEEENSH_IJSG_SG_EEES6_PlJ7is_evenIxEEEE10hipError_tPvRmT3_T4_T5_T6_T7_T9_mT8_P12ihipStream_tbDpT10_ENKUlT_T0_E_clISt17integral_constantIbLb0EES19_EEDaS14_S15_EUlS14_E_NS1_11comp_targetILNS1_3genE10ELNS1_11target_archE1200ELNS1_3gpuE4ELNS1_3repE0EEENS1_30default_config_static_selectorELNS0_4arch9wavefront6targetE1EEEvT1_
                                        ; -- End function
	.section	.AMDGPU.csdata,"",@progbits
; Kernel info:
; codeLenInByte = 0
; NumSgprs: 6
; NumVgprs: 0
; NumAgprs: 0
; TotalNumVgprs: 0
; ScratchSize: 0
; MemoryBound: 0
; FloatMode: 240
; IeeeMode: 1
; LDSByteSize: 0 bytes/workgroup (compile time only)
; SGPRBlocks: 0
; VGPRBlocks: 0
; NumSGPRsForWavesPerEU: 6
; NumVGPRsForWavesPerEU: 1
; AccumOffset: 4
; Occupancy: 8
; WaveLimiterHint : 0
; COMPUTE_PGM_RSRC2:SCRATCH_EN: 0
; COMPUTE_PGM_RSRC2:USER_SGPR: 2
; COMPUTE_PGM_RSRC2:TRAP_HANDLER: 0
; COMPUTE_PGM_RSRC2:TGID_X_EN: 1
; COMPUTE_PGM_RSRC2:TGID_Y_EN: 0
; COMPUTE_PGM_RSRC2:TGID_Z_EN: 0
; COMPUTE_PGM_RSRC2:TIDIG_COMP_CNT: 0
; COMPUTE_PGM_RSRC3_GFX90A:ACCUM_OFFSET: 0
; COMPUTE_PGM_RSRC3_GFX90A:TG_SPLIT: 0
	.section	.text._ZN7rocprim17ROCPRIM_400000_NS6detail17trampoline_kernelINS0_14default_configENS1_25partition_config_selectorILNS1_17partition_subalgoE0ExNS0_10empty_typeEbEEZZNS1_14partition_implILS5_0ELb0ES3_jN6thrust23THRUST_200600_302600_NS6detail15normal_iteratorINSA_10device_ptrIxEEEEPS6_SG_NS0_5tupleIJSF_NSA_16discard_iteratorINSA_11use_defaultEEEEEENSH_IJSG_SG_EEES6_PlJ7is_evenIxEEEE10hipError_tPvRmT3_T4_T5_T6_T7_T9_mT8_P12ihipStream_tbDpT10_ENKUlT_T0_E_clISt17integral_constantIbLb0EES19_EEDaS14_S15_EUlS14_E_NS1_11comp_targetILNS1_3genE9ELNS1_11target_archE1100ELNS1_3gpuE3ELNS1_3repE0EEENS1_30default_config_static_selectorELNS0_4arch9wavefront6targetE1EEEvT1_,"axG",@progbits,_ZN7rocprim17ROCPRIM_400000_NS6detail17trampoline_kernelINS0_14default_configENS1_25partition_config_selectorILNS1_17partition_subalgoE0ExNS0_10empty_typeEbEEZZNS1_14partition_implILS5_0ELb0ES3_jN6thrust23THRUST_200600_302600_NS6detail15normal_iteratorINSA_10device_ptrIxEEEEPS6_SG_NS0_5tupleIJSF_NSA_16discard_iteratorINSA_11use_defaultEEEEEENSH_IJSG_SG_EEES6_PlJ7is_evenIxEEEE10hipError_tPvRmT3_T4_T5_T6_T7_T9_mT8_P12ihipStream_tbDpT10_ENKUlT_T0_E_clISt17integral_constantIbLb0EES19_EEDaS14_S15_EUlS14_E_NS1_11comp_targetILNS1_3genE9ELNS1_11target_archE1100ELNS1_3gpuE3ELNS1_3repE0EEENS1_30default_config_static_selectorELNS0_4arch9wavefront6targetE1EEEvT1_,comdat
	.protected	_ZN7rocprim17ROCPRIM_400000_NS6detail17trampoline_kernelINS0_14default_configENS1_25partition_config_selectorILNS1_17partition_subalgoE0ExNS0_10empty_typeEbEEZZNS1_14partition_implILS5_0ELb0ES3_jN6thrust23THRUST_200600_302600_NS6detail15normal_iteratorINSA_10device_ptrIxEEEEPS6_SG_NS0_5tupleIJSF_NSA_16discard_iteratorINSA_11use_defaultEEEEEENSH_IJSG_SG_EEES6_PlJ7is_evenIxEEEE10hipError_tPvRmT3_T4_T5_T6_T7_T9_mT8_P12ihipStream_tbDpT10_ENKUlT_T0_E_clISt17integral_constantIbLb0EES19_EEDaS14_S15_EUlS14_E_NS1_11comp_targetILNS1_3genE9ELNS1_11target_archE1100ELNS1_3gpuE3ELNS1_3repE0EEENS1_30default_config_static_selectorELNS0_4arch9wavefront6targetE1EEEvT1_ ; -- Begin function _ZN7rocprim17ROCPRIM_400000_NS6detail17trampoline_kernelINS0_14default_configENS1_25partition_config_selectorILNS1_17partition_subalgoE0ExNS0_10empty_typeEbEEZZNS1_14partition_implILS5_0ELb0ES3_jN6thrust23THRUST_200600_302600_NS6detail15normal_iteratorINSA_10device_ptrIxEEEEPS6_SG_NS0_5tupleIJSF_NSA_16discard_iteratorINSA_11use_defaultEEEEEENSH_IJSG_SG_EEES6_PlJ7is_evenIxEEEE10hipError_tPvRmT3_T4_T5_T6_T7_T9_mT8_P12ihipStream_tbDpT10_ENKUlT_T0_E_clISt17integral_constantIbLb0EES19_EEDaS14_S15_EUlS14_E_NS1_11comp_targetILNS1_3genE9ELNS1_11target_archE1100ELNS1_3gpuE3ELNS1_3repE0EEENS1_30default_config_static_selectorELNS0_4arch9wavefront6targetE1EEEvT1_
	.globl	_ZN7rocprim17ROCPRIM_400000_NS6detail17trampoline_kernelINS0_14default_configENS1_25partition_config_selectorILNS1_17partition_subalgoE0ExNS0_10empty_typeEbEEZZNS1_14partition_implILS5_0ELb0ES3_jN6thrust23THRUST_200600_302600_NS6detail15normal_iteratorINSA_10device_ptrIxEEEEPS6_SG_NS0_5tupleIJSF_NSA_16discard_iteratorINSA_11use_defaultEEEEEENSH_IJSG_SG_EEES6_PlJ7is_evenIxEEEE10hipError_tPvRmT3_T4_T5_T6_T7_T9_mT8_P12ihipStream_tbDpT10_ENKUlT_T0_E_clISt17integral_constantIbLb0EES19_EEDaS14_S15_EUlS14_E_NS1_11comp_targetILNS1_3genE9ELNS1_11target_archE1100ELNS1_3gpuE3ELNS1_3repE0EEENS1_30default_config_static_selectorELNS0_4arch9wavefront6targetE1EEEvT1_
	.p2align	8
	.type	_ZN7rocprim17ROCPRIM_400000_NS6detail17trampoline_kernelINS0_14default_configENS1_25partition_config_selectorILNS1_17partition_subalgoE0ExNS0_10empty_typeEbEEZZNS1_14partition_implILS5_0ELb0ES3_jN6thrust23THRUST_200600_302600_NS6detail15normal_iteratorINSA_10device_ptrIxEEEEPS6_SG_NS0_5tupleIJSF_NSA_16discard_iteratorINSA_11use_defaultEEEEEENSH_IJSG_SG_EEES6_PlJ7is_evenIxEEEE10hipError_tPvRmT3_T4_T5_T6_T7_T9_mT8_P12ihipStream_tbDpT10_ENKUlT_T0_E_clISt17integral_constantIbLb0EES19_EEDaS14_S15_EUlS14_E_NS1_11comp_targetILNS1_3genE9ELNS1_11target_archE1100ELNS1_3gpuE3ELNS1_3repE0EEENS1_30default_config_static_selectorELNS0_4arch9wavefront6targetE1EEEvT1_,@function
_ZN7rocprim17ROCPRIM_400000_NS6detail17trampoline_kernelINS0_14default_configENS1_25partition_config_selectorILNS1_17partition_subalgoE0ExNS0_10empty_typeEbEEZZNS1_14partition_implILS5_0ELb0ES3_jN6thrust23THRUST_200600_302600_NS6detail15normal_iteratorINSA_10device_ptrIxEEEEPS6_SG_NS0_5tupleIJSF_NSA_16discard_iteratorINSA_11use_defaultEEEEEENSH_IJSG_SG_EEES6_PlJ7is_evenIxEEEE10hipError_tPvRmT3_T4_T5_T6_T7_T9_mT8_P12ihipStream_tbDpT10_ENKUlT_T0_E_clISt17integral_constantIbLb0EES19_EEDaS14_S15_EUlS14_E_NS1_11comp_targetILNS1_3genE9ELNS1_11target_archE1100ELNS1_3gpuE3ELNS1_3repE0EEENS1_30default_config_static_selectorELNS0_4arch9wavefront6targetE1EEEvT1_: ; @_ZN7rocprim17ROCPRIM_400000_NS6detail17trampoline_kernelINS0_14default_configENS1_25partition_config_selectorILNS1_17partition_subalgoE0ExNS0_10empty_typeEbEEZZNS1_14partition_implILS5_0ELb0ES3_jN6thrust23THRUST_200600_302600_NS6detail15normal_iteratorINSA_10device_ptrIxEEEEPS6_SG_NS0_5tupleIJSF_NSA_16discard_iteratorINSA_11use_defaultEEEEEENSH_IJSG_SG_EEES6_PlJ7is_evenIxEEEE10hipError_tPvRmT3_T4_T5_T6_T7_T9_mT8_P12ihipStream_tbDpT10_ENKUlT_T0_E_clISt17integral_constantIbLb0EES19_EEDaS14_S15_EUlS14_E_NS1_11comp_targetILNS1_3genE9ELNS1_11target_archE1100ELNS1_3gpuE3ELNS1_3repE0EEENS1_30default_config_static_selectorELNS0_4arch9wavefront6targetE1EEEvT1_
; %bb.0:
	.section	.rodata,"a",@progbits
	.p2align	6, 0x0
	.amdhsa_kernel _ZN7rocprim17ROCPRIM_400000_NS6detail17trampoline_kernelINS0_14default_configENS1_25partition_config_selectorILNS1_17partition_subalgoE0ExNS0_10empty_typeEbEEZZNS1_14partition_implILS5_0ELb0ES3_jN6thrust23THRUST_200600_302600_NS6detail15normal_iteratorINSA_10device_ptrIxEEEEPS6_SG_NS0_5tupleIJSF_NSA_16discard_iteratorINSA_11use_defaultEEEEEENSH_IJSG_SG_EEES6_PlJ7is_evenIxEEEE10hipError_tPvRmT3_T4_T5_T6_T7_T9_mT8_P12ihipStream_tbDpT10_ENKUlT_T0_E_clISt17integral_constantIbLb0EES19_EEDaS14_S15_EUlS14_E_NS1_11comp_targetILNS1_3genE9ELNS1_11target_archE1100ELNS1_3gpuE3ELNS1_3repE0EEENS1_30default_config_static_selectorELNS0_4arch9wavefront6targetE1EEEvT1_
		.amdhsa_group_segment_fixed_size 0
		.amdhsa_private_segment_fixed_size 0
		.amdhsa_kernarg_size 128
		.amdhsa_user_sgpr_count 2
		.amdhsa_user_sgpr_dispatch_ptr 0
		.amdhsa_user_sgpr_queue_ptr 0
		.amdhsa_user_sgpr_kernarg_segment_ptr 1
		.amdhsa_user_sgpr_dispatch_id 0
		.amdhsa_user_sgpr_kernarg_preload_length 0
		.amdhsa_user_sgpr_kernarg_preload_offset 0
		.amdhsa_user_sgpr_private_segment_size 0
		.amdhsa_uses_dynamic_stack 0
		.amdhsa_enable_private_segment 0
		.amdhsa_system_sgpr_workgroup_id_x 1
		.amdhsa_system_sgpr_workgroup_id_y 0
		.amdhsa_system_sgpr_workgroup_id_z 0
		.amdhsa_system_sgpr_workgroup_info 0
		.amdhsa_system_vgpr_workitem_id 0
		.amdhsa_next_free_vgpr 1
		.amdhsa_next_free_sgpr 0
		.amdhsa_accum_offset 4
		.amdhsa_reserve_vcc 0
		.amdhsa_float_round_mode_32 0
		.amdhsa_float_round_mode_16_64 0
		.amdhsa_float_denorm_mode_32 3
		.amdhsa_float_denorm_mode_16_64 3
		.amdhsa_dx10_clamp 1
		.amdhsa_ieee_mode 1
		.amdhsa_fp16_overflow 0
		.amdhsa_tg_split 0
		.amdhsa_exception_fp_ieee_invalid_op 0
		.amdhsa_exception_fp_denorm_src 0
		.amdhsa_exception_fp_ieee_div_zero 0
		.amdhsa_exception_fp_ieee_overflow 0
		.amdhsa_exception_fp_ieee_underflow 0
		.amdhsa_exception_fp_ieee_inexact 0
		.amdhsa_exception_int_div_zero 0
	.end_amdhsa_kernel
	.section	.text._ZN7rocprim17ROCPRIM_400000_NS6detail17trampoline_kernelINS0_14default_configENS1_25partition_config_selectorILNS1_17partition_subalgoE0ExNS0_10empty_typeEbEEZZNS1_14partition_implILS5_0ELb0ES3_jN6thrust23THRUST_200600_302600_NS6detail15normal_iteratorINSA_10device_ptrIxEEEEPS6_SG_NS0_5tupleIJSF_NSA_16discard_iteratorINSA_11use_defaultEEEEEENSH_IJSG_SG_EEES6_PlJ7is_evenIxEEEE10hipError_tPvRmT3_T4_T5_T6_T7_T9_mT8_P12ihipStream_tbDpT10_ENKUlT_T0_E_clISt17integral_constantIbLb0EES19_EEDaS14_S15_EUlS14_E_NS1_11comp_targetILNS1_3genE9ELNS1_11target_archE1100ELNS1_3gpuE3ELNS1_3repE0EEENS1_30default_config_static_selectorELNS0_4arch9wavefront6targetE1EEEvT1_,"axG",@progbits,_ZN7rocprim17ROCPRIM_400000_NS6detail17trampoline_kernelINS0_14default_configENS1_25partition_config_selectorILNS1_17partition_subalgoE0ExNS0_10empty_typeEbEEZZNS1_14partition_implILS5_0ELb0ES3_jN6thrust23THRUST_200600_302600_NS6detail15normal_iteratorINSA_10device_ptrIxEEEEPS6_SG_NS0_5tupleIJSF_NSA_16discard_iteratorINSA_11use_defaultEEEEEENSH_IJSG_SG_EEES6_PlJ7is_evenIxEEEE10hipError_tPvRmT3_T4_T5_T6_T7_T9_mT8_P12ihipStream_tbDpT10_ENKUlT_T0_E_clISt17integral_constantIbLb0EES19_EEDaS14_S15_EUlS14_E_NS1_11comp_targetILNS1_3genE9ELNS1_11target_archE1100ELNS1_3gpuE3ELNS1_3repE0EEENS1_30default_config_static_selectorELNS0_4arch9wavefront6targetE1EEEvT1_,comdat
.Lfunc_end2625:
	.size	_ZN7rocprim17ROCPRIM_400000_NS6detail17trampoline_kernelINS0_14default_configENS1_25partition_config_selectorILNS1_17partition_subalgoE0ExNS0_10empty_typeEbEEZZNS1_14partition_implILS5_0ELb0ES3_jN6thrust23THRUST_200600_302600_NS6detail15normal_iteratorINSA_10device_ptrIxEEEEPS6_SG_NS0_5tupleIJSF_NSA_16discard_iteratorINSA_11use_defaultEEEEEENSH_IJSG_SG_EEES6_PlJ7is_evenIxEEEE10hipError_tPvRmT3_T4_T5_T6_T7_T9_mT8_P12ihipStream_tbDpT10_ENKUlT_T0_E_clISt17integral_constantIbLb0EES19_EEDaS14_S15_EUlS14_E_NS1_11comp_targetILNS1_3genE9ELNS1_11target_archE1100ELNS1_3gpuE3ELNS1_3repE0EEENS1_30default_config_static_selectorELNS0_4arch9wavefront6targetE1EEEvT1_, .Lfunc_end2625-_ZN7rocprim17ROCPRIM_400000_NS6detail17trampoline_kernelINS0_14default_configENS1_25partition_config_selectorILNS1_17partition_subalgoE0ExNS0_10empty_typeEbEEZZNS1_14partition_implILS5_0ELb0ES3_jN6thrust23THRUST_200600_302600_NS6detail15normal_iteratorINSA_10device_ptrIxEEEEPS6_SG_NS0_5tupleIJSF_NSA_16discard_iteratorINSA_11use_defaultEEEEEENSH_IJSG_SG_EEES6_PlJ7is_evenIxEEEE10hipError_tPvRmT3_T4_T5_T6_T7_T9_mT8_P12ihipStream_tbDpT10_ENKUlT_T0_E_clISt17integral_constantIbLb0EES19_EEDaS14_S15_EUlS14_E_NS1_11comp_targetILNS1_3genE9ELNS1_11target_archE1100ELNS1_3gpuE3ELNS1_3repE0EEENS1_30default_config_static_selectorELNS0_4arch9wavefront6targetE1EEEvT1_
                                        ; -- End function
	.section	.AMDGPU.csdata,"",@progbits
; Kernel info:
; codeLenInByte = 0
; NumSgprs: 6
; NumVgprs: 0
; NumAgprs: 0
; TotalNumVgprs: 0
; ScratchSize: 0
; MemoryBound: 0
; FloatMode: 240
; IeeeMode: 1
; LDSByteSize: 0 bytes/workgroup (compile time only)
; SGPRBlocks: 0
; VGPRBlocks: 0
; NumSGPRsForWavesPerEU: 6
; NumVGPRsForWavesPerEU: 1
; AccumOffset: 4
; Occupancy: 8
; WaveLimiterHint : 0
; COMPUTE_PGM_RSRC2:SCRATCH_EN: 0
; COMPUTE_PGM_RSRC2:USER_SGPR: 2
; COMPUTE_PGM_RSRC2:TRAP_HANDLER: 0
; COMPUTE_PGM_RSRC2:TGID_X_EN: 1
; COMPUTE_PGM_RSRC2:TGID_Y_EN: 0
; COMPUTE_PGM_RSRC2:TGID_Z_EN: 0
; COMPUTE_PGM_RSRC2:TIDIG_COMP_CNT: 0
; COMPUTE_PGM_RSRC3_GFX90A:ACCUM_OFFSET: 0
; COMPUTE_PGM_RSRC3_GFX90A:TG_SPLIT: 0
	.section	.text._ZN7rocprim17ROCPRIM_400000_NS6detail17trampoline_kernelINS0_14default_configENS1_25partition_config_selectorILNS1_17partition_subalgoE0ExNS0_10empty_typeEbEEZZNS1_14partition_implILS5_0ELb0ES3_jN6thrust23THRUST_200600_302600_NS6detail15normal_iteratorINSA_10device_ptrIxEEEEPS6_SG_NS0_5tupleIJSF_NSA_16discard_iteratorINSA_11use_defaultEEEEEENSH_IJSG_SG_EEES6_PlJ7is_evenIxEEEE10hipError_tPvRmT3_T4_T5_T6_T7_T9_mT8_P12ihipStream_tbDpT10_ENKUlT_T0_E_clISt17integral_constantIbLb0EES19_EEDaS14_S15_EUlS14_E_NS1_11comp_targetILNS1_3genE8ELNS1_11target_archE1030ELNS1_3gpuE2ELNS1_3repE0EEENS1_30default_config_static_selectorELNS0_4arch9wavefront6targetE1EEEvT1_,"axG",@progbits,_ZN7rocprim17ROCPRIM_400000_NS6detail17trampoline_kernelINS0_14default_configENS1_25partition_config_selectorILNS1_17partition_subalgoE0ExNS0_10empty_typeEbEEZZNS1_14partition_implILS5_0ELb0ES3_jN6thrust23THRUST_200600_302600_NS6detail15normal_iteratorINSA_10device_ptrIxEEEEPS6_SG_NS0_5tupleIJSF_NSA_16discard_iteratorINSA_11use_defaultEEEEEENSH_IJSG_SG_EEES6_PlJ7is_evenIxEEEE10hipError_tPvRmT3_T4_T5_T6_T7_T9_mT8_P12ihipStream_tbDpT10_ENKUlT_T0_E_clISt17integral_constantIbLb0EES19_EEDaS14_S15_EUlS14_E_NS1_11comp_targetILNS1_3genE8ELNS1_11target_archE1030ELNS1_3gpuE2ELNS1_3repE0EEENS1_30default_config_static_selectorELNS0_4arch9wavefront6targetE1EEEvT1_,comdat
	.protected	_ZN7rocprim17ROCPRIM_400000_NS6detail17trampoline_kernelINS0_14default_configENS1_25partition_config_selectorILNS1_17partition_subalgoE0ExNS0_10empty_typeEbEEZZNS1_14partition_implILS5_0ELb0ES3_jN6thrust23THRUST_200600_302600_NS6detail15normal_iteratorINSA_10device_ptrIxEEEEPS6_SG_NS0_5tupleIJSF_NSA_16discard_iteratorINSA_11use_defaultEEEEEENSH_IJSG_SG_EEES6_PlJ7is_evenIxEEEE10hipError_tPvRmT3_T4_T5_T6_T7_T9_mT8_P12ihipStream_tbDpT10_ENKUlT_T0_E_clISt17integral_constantIbLb0EES19_EEDaS14_S15_EUlS14_E_NS1_11comp_targetILNS1_3genE8ELNS1_11target_archE1030ELNS1_3gpuE2ELNS1_3repE0EEENS1_30default_config_static_selectorELNS0_4arch9wavefront6targetE1EEEvT1_ ; -- Begin function _ZN7rocprim17ROCPRIM_400000_NS6detail17trampoline_kernelINS0_14default_configENS1_25partition_config_selectorILNS1_17partition_subalgoE0ExNS0_10empty_typeEbEEZZNS1_14partition_implILS5_0ELb0ES3_jN6thrust23THRUST_200600_302600_NS6detail15normal_iteratorINSA_10device_ptrIxEEEEPS6_SG_NS0_5tupleIJSF_NSA_16discard_iteratorINSA_11use_defaultEEEEEENSH_IJSG_SG_EEES6_PlJ7is_evenIxEEEE10hipError_tPvRmT3_T4_T5_T6_T7_T9_mT8_P12ihipStream_tbDpT10_ENKUlT_T0_E_clISt17integral_constantIbLb0EES19_EEDaS14_S15_EUlS14_E_NS1_11comp_targetILNS1_3genE8ELNS1_11target_archE1030ELNS1_3gpuE2ELNS1_3repE0EEENS1_30default_config_static_selectorELNS0_4arch9wavefront6targetE1EEEvT1_
	.globl	_ZN7rocprim17ROCPRIM_400000_NS6detail17trampoline_kernelINS0_14default_configENS1_25partition_config_selectorILNS1_17partition_subalgoE0ExNS0_10empty_typeEbEEZZNS1_14partition_implILS5_0ELb0ES3_jN6thrust23THRUST_200600_302600_NS6detail15normal_iteratorINSA_10device_ptrIxEEEEPS6_SG_NS0_5tupleIJSF_NSA_16discard_iteratorINSA_11use_defaultEEEEEENSH_IJSG_SG_EEES6_PlJ7is_evenIxEEEE10hipError_tPvRmT3_T4_T5_T6_T7_T9_mT8_P12ihipStream_tbDpT10_ENKUlT_T0_E_clISt17integral_constantIbLb0EES19_EEDaS14_S15_EUlS14_E_NS1_11comp_targetILNS1_3genE8ELNS1_11target_archE1030ELNS1_3gpuE2ELNS1_3repE0EEENS1_30default_config_static_selectorELNS0_4arch9wavefront6targetE1EEEvT1_
	.p2align	8
	.type	_ZN7rocprim17ROCPRIM_400000_NS6detail17trampoline_kernelINS0_14default_configENS1_25partition_config_selectorILNS1_17partition_subalgoE0ExNS0_10empty_typeEbEEZZNS1_14partition_implILS5_0ELb0ES3_jN6thrust23THRUST_200600_302600_NS6detail15normal_iteratorINSA_10device_ptrIxEEEEPS6_SG_NS0_5tupleIJSF_NSA_16discard_iteratorINSA_11use_defaultEEEEEENSH_IJSG_SG_EEES6_PlJ7is_evenIxEEEE10hipError_tPvRmT3_T4_T5_T6_T7_T9_mT8_P12ihipStream_tbDpT10_ENKUlT_T0_E_clISt17integral_constantIbLb0EES19_EEDaS14_S15_EUlS14_E_NS1_11comp_targetILNS1_3genE8ELNS1_11target_archE1030ELNS1_3gpuE2ELNS1_3repE0EEENS1_30default_config_static_selectorELNS0_4arch9wavefront6targetE1EEEvT1_,@function
_ZN7rocprim17ROCPRIM_400000_NS6detail17trampoline_kernelINS0_14default_configENS1_25partition_config_selectorILNS1_17partition_subalgoE0ExNS0_10empty_typeEbEEZZNS1_14partition_implILS5_0ELb0ES3_jN6thrust23THRUST_200600_302600_NS6detail15normal_iteratorINSA_10device_ptrIxEEEEPS6_SG_NS0_5tupleIJSF_NSA_16discard_iteratorINSA_11use_defaultEEEEEENSH_IJSG_SG_EEES6_PlJ7is_evenIxEEEE10hipError_tPvRmT3_T4_T5_T6_T7_T9_mT8_P12ihipStream_tbDpT10_ENKUlT_T0_E_clISt17integral_constantIbLb0EES19_EEDaS14_S15_EUlS14_E_NS1_11comp_targetILNS1_3genE8ELNS1_11target_archE1030ELNS1_3gpuE2ELNS1_3repE0EEENS1_30default_config_static_selectorELNS0_4arch9wavefront6targetE1EEEvT1_: ; @_ZN7rocprim17ROCPRIM_400000_NS6detail17trampoline_kernelINS0_14default_configENS1_25partition_config_selectorILNS1_17partition_subalgoE0ExNS0_10empty_typeEbEEZZNS1_14partition_implILS5_0ELb0ES3_jN6thrust23THRUST_200600_302600_NS6detail15normal_iteratorINSA_10device_ptrIxEEEEPS6_SG_NS0_5tupleIJSF_NSA_16discard_iteratorINSA_11use_defaultEEEEEENSH_IJSG_SG_EEES6_PlJ7is_evenIxEEEE10hipError_tPvRmT3_T4_T5_T6_T7_T9_mT8_P12ihipStream_tbDpT10_ENKUlT_T0_E_clISt17integral_constantIbLb0EES19_EEDaS14_S15_EUlS14_E_NS1_11comp_targetILNS1_3genE8ELNS1_11target_archE1030ELNS1_3gpuE2ELNS1_3repE0EEENS1_30default_config_static_selectorELNS0_4arch9wavefront6targetE1EEEvT1_
; %bb.0:
	.section	.rodata,"a",@progbits
	.p2align	6, 0x0
	.amdhsa_kernel _ZN7rocprim17ROCPRIM_400000_NS6detail17trampoline_kernelINS0_14default_configENS1_25partition_config_selectorILNS1_17partition_subalgoE0ExNS0_10empty_typeEbEEZZNS1_14partition_implILS5_0ELb0ES3_jN6thrust23THRUST_200600_302600_NS6detail15normal_iteratorINSA_10device_ptrIxEEEEPS6_SG_NS0_5tupleIJSF_NSA_16discard_iteratorINSA_11use_defaultEEEEEENSH_IJSG_SG_EEES6_PlJ7is_evenIxEEEE10hipError_tPvRmT3_T4_T5_T6_T7_T9_mT8_P12ihipStream_tbDpT10_ENKUlT_T0_E_clISt17integral_constantIbLb0EES19_EEDaS14_S15_EUlS14_E_NS1_11comp_targetILNS1_3genE8ELNS1_11target_archE1030ELNS1_3gpuE2ELNS1_3repE0EEENS1_30default_config_static_selectorELNS0_4arch9wavefront6targetE1EEEvT1_
		.amdhsa_group_segment_fixed_size 0
		.amdhsa_private_segment_fixed_size 0
		.amdhsa_kernarg_size 128
		.amdhsa_user_sgpr_count 2
		.amdhsa_user_sgpr_dispatch_ptr 0
		.amdhsa_user_sgpr_queue_ptr 0
		.amdhsa_user_sgpr_kernarg_segment_ptr 1
		.amdhsa_user_sgpr_dispatch_id 0
		.amdhsa_user_sgpr_kernarg_preload_length 0
		.amdhsa_user_sgpr_kernarg_preload_offset 0
		.amdhsa_user_sgpr_private_segment_size 0
		.amdhsa_uses_dynamic_stack 0
		.amdhsa_enable_private_segment 0
		.amdhsa_system_sgpr_workgroup_id_x 1
		.amdhsa_system_sgpr_workgroup_id_y 0
		.amdhsa_system_sgpr_workgroup_id_z 0
		.amdhsa_system_sgpr_workgroup_info 0
		.amdhsa_system_vgpr_workitem_id 0
		.amdhsa_next_free_vgpr 1
		.amdhsa_next_free_sgpr 0
		.amdhsa_accum_offset 4
		.amdhsa_reserve_vcc 0
		.amdhsa_float_round_mode_32 0
		.amdhsa_float_round_mode_16_64 0
		.amdhsa_float_denorm_mode_32 3
		.amdhsa_float_denorm_mode_16_64 3
		.amdhsa_dx10_clamp 1
		.amdhsa_ieee_mode 1
		.amdhsa_fp16_overflow 0
		.amdhsa_tg_split 0
		.amdhsa_exception_fp_ieee_invalid_op 0
		.amdhsa_exception_fp_denorm_src 0
		.amdhsa_exception_fp_ieee_div_zero 0
		.amdhsa_exception_fp_ieee_overflow 0
		.amdhsa_exception_fp_ieee_underflow 0
		.amdhsa_exception_fp_ieee_inexact 0
		.amdhsa_exception_int_div_zero 0
	.end_amdhsa_kernel
	.section	.text._ZN7rocprim17ROCPRIM_400000_NS6detail17trampoline_kernelINS0_14default_configENS1_25partition_config_selectorILNS1_17partition_subalgoE0ExNS0_10empty_typeEbEEZZNS1_14partition_implILS5_0ELb0ES3_jN6thrust23THRUST_200600_302600_NS6detail15normal_iteratorINSA_10device_ptrIxEEEEPS6_SG_NS0_5tupleIJSF_NSA_16discard_iteratorINSA_11use_defaultEEEEEENSH_IJSG_SG_EEES6_PlJ7is_evenIxEEEE10hipError_tPvRmT3_T4_T5_T6_T7_T9_mT8_P12ihipStream_tbDpT10_ENKUlT_T0_E_clISt17integral_constantIbLb0EES19_EEDaS14_S15_EUlS14_E_NS1_11comp_targetILNS1_3genE8ELNS1_11target_archE1030ELNS1_3gpuE2ELNS1_3repE0EEENS1_30default_config_static_selectorELNS0_4arch9wavefront6targetE1EEEvT1_,"axG",@progbits,_ZN7rocprim17ROCPRIM_400000_NS6detail17trampoline_kernelINS0_14default_configENS1_25partition_config_selectorILNS1_17partition_subalgoE0ExNS0_10empty_typeEbEEZZNS1_14partition_implILS5_0ELb0ES3_jN6thrust23THRUST_200600_302600_NS6detail15normal_iteratorINSA_10device_ptrIxEEEEPS6_SG_NS0_5tupleIJSF_NSA_16discard_iteratorINSA_11use_defaultEEEEEENSH_IJSG_SG_EEES6_PlJ7is_evenIxEEEE10hipError_tPvRmT3_T4_T5_T6_T7_T9_mT8_P12ihipStream_tbDpT10_ENKUlT_T0_E_clISt17integral_constantIbLb0EES19_EEDaS14_S15_EUlS14_E_NS1_11comp_targetILNS1_3genE8ELNS1_11target_archE1030ELNS1_3gpuE2ELNS1_3repE0EEENS1_30default_config_static_selectorELNS0_4arch9wavefront6targetE1EEEvT1_,comdat
.Lfunc_end2626:
	.size	_ZN7rocprim17ROCPRIM_400000_NS6detail17trampoline_kernelINS0_14default_configENS1_25partition_config_selectorILNS1_17partition_subalgoE0ExNS0_10empty_typeEbEEZZNS1_14partition_implILS5_0ELb0ES3_jN6thrust23THRUST_200600_302600_NS6detail15normal_iteratorINSA_10device_ptrIxEEEEPS6_SG_NS0_5tupleIJSF_NSA_16discard_iteratorINSA_11use_defaultEEEEEENSH_IJSG_SG_EEES6_PlJ7is_evenIxEEEE10hipError_tPvRmT3_T4_T5_T6_T7_T9_mT8_P12ihipStream_tbDpT10_ENKUlT_T0_E_clISt17integral_constantIbLb0EES19_EEDaS14_S15_EUlS14_E_NS1_11comp_targetILNS1_3genE8ELNS1_11target_archE1030ELNS1_3gpuE2ELNS1_3repE0EEENS1_30default_config_static_selectorELNS0_4arch9wavefront6targetE1EEEvT1_, .Lfunc_end2626-_ZN7rocprim17ROCPRIM_400000_NS6detail17trampoline_kernelINS0_14default_configENS1_25partition_config_selectorILNS1_17partition_subalgoE0ExNS0_10empty_typeEbEEZZNS1_14partition_implILS5_0ELb0ES3_jN6thrust23THRUST_200600_302600_NS6detail15normal_iteratorINSA_10device_ptrIxEEEEPS6_SG_NS0_5tupleIJSF_NSA_16discard_iteratorINSA_11use_defaultEEEEEENSH_IJSG_SG_EEES6_PlJ7is_evenIxEEEE10hipError_tPvRmT3_T4_T5_T6_T7_T9_mT8_P12ihipStream_tbDpT10_ENKUlT_T0_E_clISt17integral_constantIbLb0EES19_EEDaS14_S15_EUlS14_E_NS1_11comp_targetILNS1_3genE8ELNS1_11target_archE1030ELNS1_3gpuE2ELNS1_3repE0EEENS1_30default_config_static_selectorELNS0_4arch9wavefront6targetE1EEEvT1_
                                        ; -- End function
	.section	.AMDGPU.csdata,"",@progbits
; Kernel info:
; codeLenInByte = 0
; NumSgprs: 6
; NumVgprs: 0
; NumAgprs: 0
; TotalNumVgprs: 0
; ScratchSize: 0
; MemoryBound: 0
; FloatMode: 240
; IeeeMode: 1
; LDSByteSize: 0 bytes/workgroup (compile time only)
; SGPRBlocks: 0
; VGPRBlocks: 0
; NumSGPRsForWavesPerEU: 6
; NumVGPRsForWavesPerEU: 1
; AccumOffset: 4
; Occupancy: 8
; WaveLimiterHint : 0
; COMPUTE_PGM_RSRC2:SCRATCH_EN: 0
; COMPUTE_PGM_RSRC2:USER_SGPR: 2
; COMPUTE_PGM_RSRC2:TRAP_HANDLER: 0
; COMPUTE_PGM_RSRC2:TGID_X_EN: 1
; COMPUTE_PGM_RSRC2:TGID_Y_EN: 0
; COMPUTE_PGM_RSRC2:TGID_Z_EN: 0
; COMPUTE_PGM_RSRC2:TIDIG_COMP_CNT: 0
; COMPUTE_PGM_RSRC3_GFX90A:ACCUM_OFFSET: 0
; COMPUTE_PGM_RSRC3_GFX90A:TG_SPLIT: 0
	.section	.text._ZN7rocprim17ROCPRIM_400000_NS6detail17trampoline_kernelINS0_14default_configENS1_25partition_config_selectorILNS1_17partition_subalgoE0ExNS0_10empty_typeEbEEZZNS1_14partition_implILS5_0ELb0ES3_jN6thrust23THRUST_200600_302600_NS6detail15normal_iteratorINSA_10device_ptrIxEEEEPS6_SG_NS0_5tupleIJSF_NSA_16discard_iteratorINSA_11use_defaultEEEEEENSH_IJSG_SG_EEES6_PlJ7is_evenIxEEEE10hipError_tPvRmT3_T4_T5_T6_T7_T9_mT8_P12ihipStream_tbDpT10_ENKUlT_T0_E_clISt17integral_constantIbLb1EES19_EEDaS14_S15_EUlS14_E_NS1_11comp_targetILNS1_3genE0ELNS1_11target_archE4294967295ELNS1_3gpuE0ELNS1_3repE0EEENS1_30default_config_static_selectorELNS0_4arch9wavefront6targetE1EEEvT1_,"axG",@progbits,_ZN7rocprim17ROCPRIM_400000_NS6detail17trampoline_kernelINS0_14default_configENS1_25partition_config_selectorILNS1_17partition_subalgoE0ExNS0_10empty_typeEbEEZZNS1_14partition_implILS5_0ELb0ES3_jN6thrust23THRUST_200600_302600_NS6detail15normal_iteratorINSA_10device_ptrIxEEEEPS6_SG_NS0_5tupleIJSF_NSA_16discard_iteratorINSA_11use_defaultEEEEEENSH_IJSG_SG_EEES6_PlJ7is_evenIxEEEE10hipError_tPvRmT3_T4_T5_T6_T7_T9_mT8_P12ihipStream_tbDpT10_ENKUlT_T0_E_clISt17integral_constantIbLb1EES19_EEDaS14_S15_EUlS14_E_NS1_11comp_targetILNS1_3genE0ELNS1_11target_archE4294967295ELNS1_3gpuE0ELNS1_3repE0EEENS1_30default_config_static_selectorELNS0_4arch9wavefront6targetE1EEEvT1_,comdat
	.protected	_ZN7rocprim17ROCPRIM_400000_NS6detail17trampoline_kernelINS0_14default_configENS1_25partition_config_selectorILNS1_17partition_subalgoE0ExNS0_10empty_typeEbEEZZNS1_14partition_implILS5_0ELb0ES3_jN6thrust23THRUST_200600_302600_NS6detail15normal_iteratorINSA_10device_ptrIxEEEEPS6_SG_NS0_5tupleIJSF_NSA_16discard_iteratorINSA_11use_defaultEEEEEENSH_IJSG_SG_EEES6_PlJ7is_evenIxEEEE10hipError_tPvRmT3_T4_T5_T6_T7_T9_mT8_P12ihipStream_tbDpT10_ENKUlT_T0_E_clISt17integral_constantIbLb1EES19_EEDaS14_S15_EUlS14_E_NS1_11comp_targetILNS1_3genE0ELNS1_11target_archE4294967295ELNS1_3gpuE0ELNS1_3repE0EEENS1_30default_config_static_selectorELNS0_4arch9wavefront6targetE1EEEvT1_ ; -- Begin function _ZN7rocprim17ROCPRIM_400000_NS6detail17trampoline_kernelINS0_14default_configENS1_25partition_config_selectorILNS1_17partition_subalgoE0ExNS0_10empty_typeEbEEZZNS1_14partition_implILS5_0ELb0ES3_jN6thrust23THRUST_200600_302600_NS6detail15normal_iteratorINSA_10device_ptrIxEEEEPS6_SG_NS0_5tupleIJSF_NSA_16discard_iteratorINSA_11use_defaultEEEEEENSH_IJSG_SG_EEES6_PlJ7is_evenIxEEEE10hipError_tPvRmT3_T4_T5_T6_T7_T9_mT8_P12ihipStream_tbDpT10_ENKUlT_T0_E_clISt17integral_constantIbLb1EES19_EEDaS14_S15_EUlS14_E_NS1_11comp_targetILNS1_3genE0ELNS1_11target_archE4294967295ELNS1_3gpuE0ELNS1_3repE0EEENS1_30default_config_static_selectorELNS0_4arch9wavefront6targetE1EEEvT1_
	.globl	_ZN7rocprim17ROCPRIM_400000_NS6detail17trampoline_kernelINS0_14default_configENS1_25partition_config_selectorILNS1_17partition_subalgoE0ExNS0_10empty_typeEbEEZZNS1_14partition_implILS5_0ELb0ES3_jN6thrust23THRUST_200600_302600_NS6detail15normal_iteratorINSA_10device_ptrIxEEEEPS6_SG_NS0_5tupleIJSF_NSA_16discard_iteratorINSA_11use_defaultEEEEEENSH_IJSG_SG_EEES6_PlJ7is_evenIxEEEE10hipError_tPvRmT3_T4_T5_T6_T7_T9_mT8_P12ihipStream_tbDpT10_ENKUlT_T0_E_clISt17integral_constantIbLb1EES19_EEDaS14_S15_EUlS14_E_NS1_11comp_targetILNS1_3genE0ELNS1_11target_archE4294967295ELNS1_3gpuE0ELNS1_3repE0EEENS1_30default_config_static_selectorELNS0_4arch9wavefront6targetE1EEEvT1_
	.p2align	8
	.type	_ZN7rocprim17ROCPRIM_400000_NS6detail17trampoline_kernelINS0_14default_configENS1_25partition_config_selectorILNS1_17partition_subalgoE0ExNS0_10empty_typeEbEEZZNS1_14partition_implILS5_0ELb0ES3_jN6thrust23THRUST_200600_302600_NS6detail15normal_iteratorINSA_10device_ptrIxEEEEPS6_SG_NS0_5tupleIJSF_NSA_16discard_iteratorINSA_11use_defaultEEEEEENSH_IJSG_SG_EEES6_PlJ7is_evenIxEEEE10hipError_tPvRmT3_T4_T5_T6_T7_T9_mT8_P12ihipStream_tbDpT10_ENKUlT_T0_E_clISt17integral_constantIbLb1EES19_EEDaS14_S15_EUlS14_E_NS1_11comp_targetILNS1_3genE0ELNS1_11target_archE4294967295ELNS1_3gpuE0ELNS1_3repE0EEENS1_30default_config_static_selectorELNS0_4arch9wavefront6targetE1EEEvT1_,@function
_ZN7rocprim17ROCPRIM_400000_NS6detail17trampoline_kernelINS0_14default_configENS1_25partition_config_selectorILNS1_17partition_subalgoE0ExNS0_10empty_typeEbEEZZNS1_14partition_implILS5_0ELb0ES3_jN6thrust23THRUST_200600_302600_NS6detail15normal_iteratorINSA_10device_ptrIxEEEEPS6_SG_NS0_5tupleIJSF_NSA_16discard_iteratorINSA_11use_defaultEEEEEENSH_IJSG_SG_EEES6_PlJ7is_evenIxEEEE10hipError_tPvRmT3_T4_T5_T6_T7_T9_mT8_P12ihipStream_tbDpT10_ENKUlT_T0_E_clISt17integral_constantIbLb1EES19_EEDaS14_S15_EUlS14_E_NS1_11comp_targetILNS1_3genE0ELNS1_11target_archE4294967295ELNS1_3gpuE0ELNS1_3repE0EEENS1_30default_config_static_selectorELNS0_4arch9wavefront6targetE1EEEvT1_: ; @_ZN7rocprim17ROCPRIM_400000_NS6detail17trampoline_kernelINS0_14default_configENS1_25partition_config_selectorILNS1_17partition_subalgoE0ExNS0_10empty_typeEbEEZZNS1_14partition_implILS5_0ELb0ES3_jN6thrust23THRUST_200600_302600_NS6detail15normal_iteratorINSA_10device_ptrIxEEEEPS6_SG_NS0_5tupleIJSF_NSA_16discard_iteratorINSA_11use_defaultEEEEEENSH_IJSG_SG_EEES6_PlJ7is_evenIxEEEE10hipError_tPvRmT3_T4_T5_T6_T7_T9_mT8_P12ihipStream_tbDpT10_ENKUlT_T0_E_clISt17integral_constantIbLb1EES19_EEDaS14_S15_EUlS14_E_NS1_11comp_targetILNS1_3genE0ELNS1_11target_archE4294967295ELNS1_3gpuE0ELNS1_3repE0EEENS1_30default_config_static_selectorELNS0_4arch9wavefront6targetE1EEEvT1_
; %bb.0:
	.section	.rodata,"a",@progbits
	.p2align	6, 0x0
	.amdhsa_kernel _ZN7rocprim17ROCPRIM_400000_NS6detail17trampoline_kernelINS0_14default_configENS1_25partition_config_selectorILNS1_17partition_subalgoE0ExNS0_10empty_typeEbEEZZNS1_14partition_implILS5_0ELb0ES3_jN6thrust23THRUST_200600_302600_NS6detail15normal_iteratorINSA_10device_ptrIxEEEEPS6_SG_NS0_5tupleIJSF_NSA_16discard_iteratorINSA_11use_defaultEEEEEENSH_IJSG_SG_EEES6_PlJ7is_evenIxEEEE10hipError_tPvRmT3_T4_T5_T6_T7_T9_mT8_P12ihipStream_tbDpT10_ENKUlT_T0_E_clISt17integral_constantIbLb1EES19_EEDaS14_S15_EUlS14_E_NS1_11comp_targetILNS1_3genE0ELNS1_11target_archE4294967295ELNS1_3gpuE0ELNS1_3repE0EEENS1_30default_config_static_selectorELNS0_4arch9wavefront6targetE1EEEvT1_
		.amdhsa_group_segment_fixed_size 0
		.amdhsa_private_segment_fixed_size 0
		.amdhsa_kernarg_size 144
		.amdhsa_user_sgpr_count 2
		.amdhsa_user_sgpr_dispatch_ptr 0
		.amdhsa_user_sgpr_queue_ptr 0
		.amdhsa_user_sgpr_kernarg_segment_ptr 1
		.amdhsa_user_sgpr_dispatch_id 0
		.amdhsa_user_sgpr_kernarg_preload_length 0
		.amdhsa_user_sgpr_kernarg_preload_offset 0
		.amdhsa_user_sgpr_private_segment_size 0
		.amdhsa_uses_dynamic_stack 0
		.amdhsa_enable_private_segment 0
		.amdhsa_system_sgpr_workgroup_id_x 1
		.amdhsa_system_sgpr_workgroup_id_y 0
		.amdhsa_system_sgpr_workgroup_id_z 0
		.amdhsa_system_sgpr_workgroup_info 0
		.amdhsa_system_vgpr_workitem_id 0
		.amdhsa_next_free_vgpr 1
		.amdhsa_next_free_sgpr 0
		.amdhsa_accum_offset 4
		.amdhsa_reserve_vcc 0
		.amdhsa_float_round_mode_32 0
		.amdhsa_float_round_mode_16_64 0
		.amdhsa_float_denorm_mode_32 3
		.amdhsa_float_denorm_mode_16_64 3
		.amdhsa_dx10_clamp 1
		.amdhsa_ieee_mode 1
		.amdhsa_fp16_overflow 0
		.amdhsa_tg_split 0
		.amdhsa_exception_fp_ieee_invalid_op 0
		.amdhsa_exception_fp_denorm_src 0
		.amdhsa_exception_fp_ieee_div_zero 0
		.amdhsa_exception_fp_ieee_overflow 0
		.amdhsa_exception_fp_ieee_underflow 0
		.amdhsa_exception_fp_ieee_inexact 0
		.amdhsa_exception_int_div_zero 0
	.end_amdhsa_kernel
	.section	.text._ZN7rocprim17ROCPRIM_400000_NS6detail17trampoline_kernelINS0_14default_configENS1_25partition_config_selectorILNS1_17partition_subalgoE0ExNS0_10empty_typeEbEEZZNS1_14partition_implILS5_0ELb0ES3_jN6thrust23THRUST_200600_302600_NS6detail15normal_iteratorINSA_10device_ptrIxEEEEPS6_SG_NS0_5tupleIJSF_NSA_16discard_iteratorINSA_11use_defaultEEEEEENSH_IJSG_SG_EEES6_PlJ7is_evenIxEEEE10hipError_tPvRmT3_T4_T5_T6_T7_T9_mT8_P12ihipStream_tbDpT10_ENKUlT_T0_E_clISt17integral_constantIbLb1EES19_EEDaS14_S15_EUlS14_E_NS1_11comp_targetILNS1_3genE0ELNS1_11target_archE4294967295ELNS1_3gpuE0ELNS1_3repE0EEENS1_30default_config_static_selectorELNS0_4arch9wavefront6targetE1EEEvT1_,"axG",@progbits,_ZN7rocprim17ROCPRIM_400000_NS6detail17trampoline_kernelINS0_14default_configENS1_25partition_config_selectorILNS1_17partition_subalgoE0ExNS0_10empty_typeEbEEZZNS1_14partition_implILS5_0ELb0ES3_jN6thrust23THRUST_200600_302600_NS6detail15normal_iteratorINSA_10device_ptrIxEEEEPS6_SG_NS0_5tupleIJSF_NSA_16discard_iteratorINSA_11use_defaultEEEEEENSH_IJSG_SG_EEES6_PlJ7is_evenIxEEEE10hipError_tPvRmT3_T4_T5_T6_T7_T9_mT8_P12ihipStream_tbDpT10_ENKUlT_T0_E_clISt17integral_constantIbLb1EES19_EEDaS14_S15_EUlS14_E_NS1_11comp_targetILNS1_3genE0ELNS1_11target_archE4294967295ELNS1_3gpuE0ELNS1_3repE0EEENS1_30default_config_static_selectorELNS0_4arch9wavefront6targetE1EEEvT1_,comdat
.Lfunc_end2627:
	.size	_ZN7rocprim17ROCPRIM_400000_NS6detail17trampoline_kernelINS0_14default_configENS1_25partition_config_selectorILNS1_17partition_subalgoE0ExNS0_10empty_typeEbEEZZNS1_14partition_implILS5_0ELb0ES3_jN6thrust23THRUST_200600_302600_NS6detail15normal_iteratorINSA_10device_ptrIxEEEEPS6_SG_NS0_5tupleIJSF_NSA_16discard_iteratorINSA_11use_defaultEEEEEENSH_IJSG_SG_EEES6_PlJ7is_evenIxEEEE10hipError_tPvRmT3_T4_T5_T6_T7_T9_mT8_P12ihipStream_tbDpT10_ENKUlT_T0_E_clISt17integral_constantIbLb1EES19_EEDaS14_S15_EUlS14_E_NS1_11comp_targetILNS1_3genE0ELNS1_11target_archE4294967295ELNS1_3gpuE0ELNS1_3repE0EEENS1_30default_config_static_selectorELNS0_4arch9wavefront6targetE1EEEvT1_, .Lfunc_end2627-_ZN7rocprim17ROCPRIM_400000_NS6detail17trampoline_kernelINS0_14default_configENS1_25partition_config_selectorILNS1_17partition_subalgoE0ExNS0_10empty_typeEbEEZZNS1_14partition_implILS5_0ELb0ES3_jN6thrust23THRUST_200600_302600_NS6detail15normal_iteratorINSA_10device_ptrIxEEEEPS6_SG_NS0_5tupleIJSF_NSA_16discard_iteratorINSA_11use_defaultEEEEEENSH_IJSG_SG_EEES6_PlJ7is_evenIxEEEE10hipError_tPvRmT3_T4_T5_T6_T7_T9_mT8_P12ihipStream_tbDpT10_ENKUlT_T0_E_clISt17integral_constantIbLb1EES19_EEDaS14_S15_EUlS14_E_NS1_11comp_targetILNS1_3genE0ELNS1_11target_archE4294967295ELNS1_3gpuE0ELNS1_3repE0EEENS1_30default_config_static_selectorELNS0_4arch9wavefront6targetE1EEEvT1_
                                        ; -- End function
	.section	.AMDGPU.csdata,"",@progbits
; Kernel info:
; codeLenInByte = 0
; NumSgprs: 6
; NumVgprs: 0
; NumAgprs: 0
; TotalNumVgprs: 0
; ScratchSize: 0
; MemoryBound: 0
; FloatMode: 240
; IeeeMode: 1
; LDSByteSize: 0 bytes/workgroup (compile time only)
; SGPRBlocks: 0
; VGPRBlocks: 0
; NumSGPRsForWavesPerEU: 6
; NumVGPRsForWavesPerEU: 1
; AccumOffset: 4
; Occupancy: 8
; WaveLimiterHint : 0
; COMPUTE_PGM_RSRC2:SCRATCH_EN: 0
; COMPUTE_PGM_RSRC2:USER_SGPR: 2
; COMPUTE_PGM_RSRC2:TRAP_HANDLER: 0
; COMPUTE_PGM_RSRC2:TGID_X_EN: 1
; COMPUTE_PGM_RSRC2:TGID_Y_EN: 0
; COMPUTE_PGM_RSRC2:TGID_Z_EN: 0
; COMPUTE_PGM_RSRC2:TIDIG_COMP_CNT: 0
; COMPUTE_PGM_RSRC3_GFX90A:ACCUM_OFFSET: 0
; COMPUTE_PGM_RSRC3_GFX90A:TG_SPLIT: 0
	.section	.text._ZN7rocprim17ROCPRIM_400000_NS6detail17trampoline_kernelINS0_14default_configENS1_25partition_config_selectorILNS1_17partition_subalgoE0ExNS0_10empty_typeEbEEZZNS1_14partition_implILS5_0ELb0ES3_jN6thrust23THRUST_200600_302600_NS6detail15normal_iteratorINSA_10device_ptrIxEEEEPS6_SG_NS0_5tupleIJSF_NSA_16discard_iteratorINSA_11use_defaultEEEEEENSH_IJSG_SG_EEES6_PlJ7is_evenIxEEEE10hipError_tPvRmT3_T4_T5_T6_T7_T9_mT8_P12ihipStream_tbDpT10_ENKUlT_T0_E_clISt17integral_constantIbLb1EES19_EEDaS14_S15_EUlS14_E_NS1_11comp_targetILNS1_3genE5ELNS1_11target_archE942ELNS1_3gpuE9ELNS1_3repE0EEENS1_30default_config_static_selectorELNS0_4arch9wavefront6targetE1EEEvT1_,"axG",@progbits,_ZN7rocprim17ROCPRIM_400000_NS6detail17trampoline_kernelINS0_14default_configENS1_25partition_config_selectorILNS1_17partition_subalgoE0ExNS0_10empty_typeEbEEZZNS1_14partition_implILS5_0ELb0ES3_jN6thrust23THRUST_200600_302600_NS6detail15normal_iteratorINSA_10device_ptrIxEEEEPS6_SG_NS0_5tupleIJSF_NSA_16discard_iteratorINSA_11use_defaultEEEEEENSH_IJSG_SG_EEES6_PlJ7is_evenIxEEEE10hipError_tPvRmT3_T4_T5_T6_T7_T9_mT8_P12ihipStream_tbDpT10_ENKUlT_T0_E_clISt17integral_constantIbLb1EES19_EEDaS14_S15_EUlS14_E_NS1_11comp_targetILNS1_3genE5ELNS1_11target_archE942ELNS1_3gpuE9ELNS1_3repE0EEENS1_30default_config_static_selectorELNS0_4arch9wavefront6targetE1EEEvT1_,comdat
	.protected	_ZN7rocprim17ROCPRIM_400000_NS6detail17trampoline_kernelINS0_14default_configENS1_25partition_config_selectorILNS1_17partition_subalgoE0ExNS0_10empty_typeEbEEZZNS1_14partition_implILS5_0ELb0ES3_jN6thrust23THRUST_200600_302600_NS6detail15normal_iteratorINSA_10device_ptrIxEEEEPS6_SG_NS0_5tupleIJSF_NSA_16discard_iteratorINSA_11use_defaultEEEEEENSH_IJSG_SG_EEES6_PlJ7is_evenIxEEEE10hipError_tPvRmT3_T4_T5_T6_T7_T9_mT8_P12ihipStream_tbDpT10_ENKUlT_T0_E_clISt17integral_constantIbLb1EES19_EEDaS14_S15_EUlS14_E_NS1_11comp_targetILNS1_3genE5ELNS1_11target_archE942ELNS1_3gpuE9ELNS1_3repE0EEENS1_30default_config_static_selectorELNS0_4arch9wavefront6targetE1EEEvT1_ ; -- Begin function _ZN7rocprim17ROCPRIM_400000_NS6detail17trampoline_kernelINS0_14default_configENS1_25partition_config_selectorILNS1_17partition_subalgoE0ExNS0_10empty_typeEbEEZZNS1_14partition_implILS5_0ELb0ES3_jN6thrust23THRUST_200600_302600_NS6detail15normal_iteratorINSA_10device_ptrIxEEEEPS6_SG_NS0_5tupleIJSF_NSA_16discard_iteratorINSA_11use_defaultEEEEEENSH_IJSG_SG_EEES6_PlJ7is_evenIxEEEE10hipError_tPvRmT3_T4_T5_T6_T7_T9_mT8_P12ihipStream_tbDpT10_ENKUlT_T0_E_clISt17integral_constantIbLb1EES19_EEDaS14_S15_EUlS14_E_NS1_11comp_targetILNS1_3genE5ELNS1_11target_archE942ELNS1_3gpuE9ELNS1_3repE0EEENS1_30default_config_static_selectorELNS0_4arch9wavefront6targetE1EEEvT1_
	.globl	_ZN7rocprim17ROCPRIM_400000_NS6detail17trampoline_kernelINS0_14default_configENS1_25partition_config_selectorILNS1_17partition_subalgoE0ExNS0_10empty_typeEbEEZZNS1_14partition_implILS5_0ELb0ES3_jN6thrust23THRUST_200600_302600_NS6detail15normal_iteratorINSA_10device_ptrIxEEEEPS6_SG_NS0_5tupleIJSF_NSA_16discard_iteratorINSA_11use_defaultEEEEEENSH_IJSG_SG_EEES6_PlJ7is_evenIxEEEE10hipError_tPvRmT3_T4_T5_T6_T7_T9_mT8_P12ihipStream_tbDpT10_ENKUlT_T0_E_clISt17integral_constantIbLb1EES19_EEDaS14_S15_EUlS14_E_NS1_11comp_targetILNS1_3genE5ELNS1_11target_archE942ELNS1_3gpuE9ELNS1_3repE0EEENS1_30default_config_static_selectorELNS0_4arch9wavefront6targetE1EEEvT1_
	.p2align	8
	.type	_ZN7rocprim17ROCPRIM_400000_NS6detail17trampoline_kernelINS0_14default_configENS1_25partition_config_selectorILNS1_17partition_subalgoE0ExNS0_10empty_typeEbEEZZNS1_14partition_implILS5_0ELb0ES3_jN6thrust23THRUST_200600_302600_NS6detail15normal_iteratorINSA_10device_ptrIxEEEEPS6_SG_NS0_5tupleIJSF_NSA_16discard_iteratorINSA_11use_defaultEEEEEENSH_IJSG_SG_EEES6_PlJ7is_evenIxEEEE10hipError_tPvRmT3_T4_T5_T6_T7_T9_mT8_P12ihipStream_tbDpT10_ENKUlT_T0_E_clISt17integral_constantIbLb1EES19_EEDaS14_S15_EUlS14_E_NS1_11comp_targetILNS1_3genE5ELNS1_11target_archE942ELNS1_3gpuE9ELNS1_3repE0EEENS1_30default_config_static_selectorELNS0_4arch9wavefront6targetE1EEEvT1_,@function
_ZN7rocprim17ROCPRIM_400000_NS6detail17trampoline_kernelINS0_14default_configENS1_25partition_config_selectorILNS1_17partition_subalgoE0ExNS0_10empty_typeEbEEZZNS1_14partition_implILS5_0ELb0ES3_jN6thrust23THRUST_200600_302600_NS6detail15normal_iteratorINSA_10device_ptrIxEEEEPS6_SG_NS0_5tupleIJSF_NSA_16discard_iteratorINSA_11use_defaultEEEEEENSH_IJSG_SG_EEES6_PlJ7is_evenIxEEEE10hipError_tPvRmT3_T4_T5_T6_T7_T9_mT8_P12ihipStream_tbDpT10_ENKUlT_T0_E_clISt17integral_constantIbLb1EES19_EEDaS14_S15_EUlS14_E_NS1_11comp_targetILNS1_3genE5ELNS1_11target_archE942ELNS1_3gpuE9ELNS1_3repE0EEENS1_30default_config_static_selectorELNS0_4arch9wavefront6targetE1EEEvT1_: ; @_ZN7rocprim17ROCPRIM_400000_NS6detail17trampoline_kernelINS0_14default_configENS1_25partition_config_selectorILNS1_17partition_subalgoE0ExNS0_10empty_typeEbEEZZNS1_14partition_implILS5_0ELb0ES3_jN6thrust23THRUST_200600_302600_NS6detail15normal_iteratorINSA_10device_ptrIxEEEEPS6_SG_NS0_5tupleIJSF_NSA_16discard_iteratorINSA_11use_defaultEEEEEENSH_IJSG_SG_EEES6_PlJ7is_evenIxEEEE10hipError_tPvRmT3_T4_T5_T6_T7_T9_mT8_P12ihipStream_tbDpT10_ENKUlT_T0_E_clISt17integral_constantIbLb1EES19_EEDaS14_S15_EUlS14_E_NS1_11comp_targetILNS1_3genE5ELNS1_11target_archE942ELNS1_3gpuE9ELNS1_3repE0EEENS1_30default_config_static_selectorELNS0_4arch9wavefront6targetE1EEEvT1_
; %bb.0:
	s_load_dwordx2 s[2:3], s[0:1], 0x60
	s_load_dwordx4 s[24:27], s[0:1], 0x50
	s_load_dwordx2 s[30:31], s[0:1], 0x70
	v_cmp_eq_u32_e64 s[20:21], 0, v0
	s_and_saveexec_b64 s[4:5], s[20:21]
	s_cbranch_execz .LBB2628_4
; %bb.1:
	s_mov_b64 s[8:9], exec
	v_mbcnt_lo_u32_b32 v1, s8, 0
	v_mbcnt_hi_u32_b32 v1, s9, v1
	v_cmp_eq_u32_e32 vcc, 0, v1
                                        ; implicit-def: $vgpr2
	s_and_saveexec_b64 s[6:7], vcc
	s_cbranch_execz .LBB2628_3
; %bb.2:
	s_load_dwordx2 s[10:11], s[0:1], 0x80
	s_bcnt1_i32_b64 s8, s[8:9]
	v_mov_b32_e32 v2, 0
	v_mov_b32_e32 v3, s8
	s_waitcnt lgkmcnt(0)
	global_atomic_add v2, v2, v3, s[10:11] sc0
.LBB2628_3:
	s_or_b64 exec, exec, s[6:7]
	s_waitcnt vmcnt(0)
	v_readfirstlane_b32 s6, v2
	v_mov_b32_e32 v2, 0
	s_nop 0
	v_add_u32_e32 v1, s6, v1
	ds_write_b32 v2, v1
.LBB2628_4:
	s_or_b64 exec, exec, s[4:5]
	v_mov_b32_e32 v21, 0
	s_load_dwordx4 s[4:7], s[0:1], 0x8
	s_load_dwordx2 s[28:29], s[0:1], 0x28
	s_load_dword s8, s[0:1], 0x78
	s_waitcnt lgkmcnt(0)
	s_barrier
	ds_read_b32 v1, v21
	s_waitcnt lgkmcnt(0)
	s_barrier
	global_load_dwordx2 v[18:19], v21, s[26:27]
	s_lshl_b64 s[0:1], s[6:7], 3
	s_add_u32 s4, s4, s0
	s_movk_i32 s0, 0xe00
	v_mul_lo_u32 v20, v1, s0
	s_mul_i32 s0, s8, 0xe00
	s_addc_u32 s5, s5, s1
	s_add_i32 s1, s0, s6
	v_mov_b32_e32 v3, s3
	s_add_i32 s3, s8, -1
	s_sub_i32 s33, s2, s1
	s_add_u32 s0, s6, s0
	v_readfirstlane_b32 s36, v1
	s_addc_u32 s1, s7, 0
	s_cmp_eq_u32 s36, s3
	v_mov_b32_e32 v2, s2
	s_cselect_b64 s[22:23], -1, 0
	s_cmp_lg_u32 s36, s3
	v_cmp_lt_u64_e32 vcc, s[0:1], v[2:3]
	s_cselect_b64 s[0:1], -1, 0
	s_or_b64 s[0:1], vcc, s[0:1]
	v_lshlrev_b64 v[2:3], 3, v[20:21]
	v_lshl_add_u64 v[22:23], s[4:5], 0, v[2:3]
	s_mov_b64 s[2:3], -1
	s_and_b64 vcc, exec, s[0:1]
	v_lshlrev_b32_e32 v20, 3, v0
	s_cbranch_vccz .LBB2628_6
; %bb.5:
	v_lshl_add_u64 v[2:3], v[22:23], 0, v[20:21]
	v_add_co_u32_e32 v4, vcc, 0x1000, v2
	s_mov_b64 s[2:3], 0
	s_nop 0
	v_addc_co_u32_e32 v5, vcc, 0, v3, vcc
	v_add_co_u32_e32 v6, vcc, 0x2000, v2
	s_nop 1
	v_addc_co_u32_e32 v7, vcc, 0, v3, vcc
	v_add_co_u32_e32 v8, vcc, 0x3000, v2
	s_nop 1
	v_addc_co_u32_e32 v9, vcc, 0, v3, vcc
	flat_load_dwordx2 v[10:11], v[2:3]
	flat_load_dwordx2 v[12:13], v[4:5]
	;; [unrolled: 1-line block ×4, first 2 shown]
	v_add_co_u32_e32 v4, vcc, 0x4000, v2
	s_nop 1
	v_addc_co_u32_e32 v5, vcc, 0, v3, vcc
	v_add_co_u32_e32 v6, vcc, 0x5000, v2
	s_nop 1
	v_addc_co_u32_e32 v7, vcc, 0, v3, vcc
	;; [unrolled: 3-line block ×3, first 2 shown]
	flat_load_dwordx2 v[8:9], v[4:5]
	flat_load_dwordx2 v[24:25], v[6:7]
	;; [unrolled: 1-line block ×3, first 2 shown]
	s_waitcnt vmcnt(0) lgkmcnt(0)
	ds_write2st64_b64 v20, v[10:11], v[12:13] offset1:8
	ds_write2st64_b64 v20, v[14:15], v[16:17] offset0:16 offset1:24
	ds_write2st64_b64 v20, v[8:9], v[24:25] offset0:32 offset1:40
	ds_write_b64 v20, v[26:27] offset:24576
	s_waitcnt lgkmcnt(0)
	s_barrier
.LBB2628_6:
	s_andn2_b64 vcc, exec, s[2:3]
	s_addk_i32 s33, 0xe00
	s_cbranch_vccnz .LBB2628_22
; %bb.7:
	v_cmp_gt_u32_e32 vcc, s33, v0
                                        ; implicit-def: $vgpr2_vgpr3_vgpr4_vgpr5_vgpr6_vgpr7_vgpr8_vgpr9_vgpr10_vgpr11_vgpr12_vgpr13_vgpr14_vgpr15_vgpr16_vgpr17
	s_and_saveexec_b64 s[2:3], vcc
	s_cbranch_execz .LBB2628_9
; %bb.8:
	v_mov_b32_e32 v21, 0
	v_lshl_add_u64 v[2:3], v[22:23], 0, v[20:21]
	flat_load_dwordx2 v[2:3], v[2:3]
.LBB2628_9:
	s_or_b64 exec, exec, s[2:3]
	v_or_b32_e32 v1, 0x200, v0
	v_cmp_gt_u32_e32 vcc, s33, v1
	s_and_saveexec_b64 s[2:3], vcc
	s_cbranch_execz .LBB2628_11
; %bb.10:
	v_lshlrev_b32_e32 v4, 3, v1
	v_mov_b32_e32 v5, 0
	v_lshl_add_u64 v[4:5], v[22:23], 0, v[4:5]
	flat_load_dwordx2 v[4:5], v[4:5]
.LBB2628_11:
	s_or_b64 exec, exec, s[2:3]
	v_or_b32_e32 v1, 0x400, v0
	v_cmp_gt_u32_e32 vcc, s33, v1
	s_and_saveexec_b64 s[2:3], vcc
	s_cbranch_execz .LBB2628_13
; %bb.12:
	v_lshlrev_b32_e32 v6, 3, v1
	v_mov_b32_e32 v7, 0
	v_lshl_add_u64 v[6:7], v[22:23], 0, v[6:7]
	flat_load_dwordx2 v[6:7], v[6:7]
.LBB2628_13:
	;; [unrolled: 11-line block ×6, first 2 shown]
	s_or_b64 exec, exec, s[2:3]
	s_waitcnt vmcnt(0) lgkmcnt(0)
	ds_write2st64_b64 v20, v[2:3], v[4:5] offset1:8
	ds_write2st64_b64 v20, v[6:7], v[8:9] offset0:16 offset1:24
	ds_write2st64_b64 v20, v[10:11], v[12:13] offset0:32 offset1:40
	ds_write_b64 v20, v[14:15] offset:24576
	s_waitcnt lgkmcnt(0)
	s_barrier
.LBB2628_22:
	v_mul_u32_u24_e32 v1, 7, v0
	v_lshlrev_b32_e32 v34, 3, v1
	ds_read2_b64 v[10:13], v34 offset1:1
	ds_read2_b64 v[6:9], v34 offset0:2 offset1:3
	ds_read2_b64 v[2:5], v34 offset0:4 offset1:5
	ds_read_b64 v[14:15], v34 offset:48
	v_cndmask_b32_e64 v16, 0, 1, s[0:1]
	v_cmp_ne_u32_e64 s[2:3], 1, v16
	s_andn2_b64 vcc, exec, s[0:1]
	s_waitcnt lgkmcnt(3)
	v_xor_b32_e32 v26, -1, v10
	v_xor_b32_e32 v25, -1, v12
	s_waitcnt lgkmcnt(2)
	v_xor_b32_e32 v24, -1, v6
	v_xor_b32_e32 v23, -1, v8
	;; [unrolled: 3-line block ×3, first 2 shown]
	s_waitcnt lgkmcnt(0)
	v_xor_b32_e32 v16, -1, v14
	s_barrier
	s_cbranch_vccnz .LBB2628_24
; %bb.23:
	v_mov_b32_e32 v21, 1
	v_and_b32_e32 v27, 1, v26
	v_and_b32_sdwa v28, v25, v21 dst_sel:BYTE_1 dst_unused:UNUSED_PAD src0_sel:DWORD src1_sel:DWORD
	v_and_b32_e32 v29, 1, v24
	v_and_b32_sdwa v32, v23, v21 dst_sel:BYTE_1 dst_unused:UNUSED_PAD src0_sel:DWORD src1_sel:DWORD
	v_or_b32_e32 v27, v27, v28
	v_or_b32_sdwa v28, v29, v32 dst_sel:WORD_1 dst_unused:UNUSED_PAD src0_sel:DWORD src1_sel:DWORD
	v_and_b32_e32 v31, 1, v22
	v_and_b32_e32 v30, 1, v17
	;; [unrolled: 1-line block ×3, first 2 shown]
	v_or_b32_sdwa v32, v27, v28 dst_sel:DWORD dst_unused:UNUSED_PAD src0_sel:WORD_0 src1_sel:DWORD
	s_cbranch_execz .LBB2628_25
	s_branch .LBB2628_26
.LBB2628_24:
                                        ; implicit-def: $vgpr21
                                        ; implicit-def: $vgpr30
                                        ; implicit-def: $vgpr31
                                        ; implicit-def: $vgpr32
.LBB2628_25:
	v_add_u32_e32 v21, 1, v1
	v_cmp_gt_u32_e32 vcc, s33, v1
	v_add_u32_e32 v27, 2, v1
	v_add_u32_e32 v28, 3, v1
	v_cndmask_b32_e64 v31, 0, 1, vcc
	v_cmp_gt_u32_e32 vcc, s33, v21
	v_add_u32_e32 v29, 4, v1
	v_add_u32_e32 v30, 5, v1
	v_cndmask_b32_e64 v21, 0, 1, vcc
	v_cmp_gt_u32_e32 vcc, s33, v27
	v_and_b32_sdwa v25, v21, v25 dst_sel:BYTE_1 dst_unused:UNUSED_PAD src0_sel:DWORD src1_sel:DWORD
	v_add_u32_e32 v32, 6, v1
	v_cndmask_b32_e64 v21, 0, 1, vcc
	v_cmp_gt_u32_e32 vcc, s33, v28
	v_and_b32_e32 v24, v21, v24
	v_and_b32_e32 v26, v31, v26
	v_cndmask_b32_e64 v21, 0, 1, vcc
	v_cmp_gt_u32_e32 vcc, s33, v29
	v_and_b32_sdwa v23, v21, v23 dst_sel:BYTE_1 dst_unused:UNUSED_PAD src0_sel:DWORD src1_sel:DWORD
	s_nop 0
	v_cndmask_b32_e64 v21, 0, 1, vcc
	v_cmp_gt_u32_e32 vcc, s33, v30
	v_and_b32_e32 v31, v21, v22
	s_nop 0
	v_cndmask_b32_e64 v21, 0, 1, vcc
	v_cmp_gt_u32_e32 vcc, s33, v32
	v_and_b32_e32 v30, v21, v17
	s_nop 0
	v_cndmask_b32_e64 v17, 0, 1, vcc
	v_and_b32_e32 v21, v17, v16
	v_or_b32_e32 v16, v26, v25
	v_or_b32_sdwa v17, v24, v23 dst_sel:WORD_1 dst_unused:UNUSED_PAD src0_sel:DWORD src1_sel:DWORD
	s_nop 0
	v_or_b32_sdwa v32, v16, v17 dst_sel:DWORD dst_unused:UNUSED_PAD src0_sel:WORD_0 src1_sel:DWORD
.LBB2628_26:
	v_and_b32_e32 v35, 0xff, v32
	v_bfe_u32 v36, v32, 8, 8
	v_bfe_u32 v37, v32, 16, 8
	v_lshrrev_b32_e32 v33, 24, v32
	v_and_b32_e32 v38, 0xff, v31
	v_add3_u32 v17, v36, v35, v37
	v_and_b32_e32 v39, 0xff, v30
	v_and_b32_e32 v16, 0xff, v21
	v_add3_u32 v17, v17, v33, v38
	v_add3_u32 v42, v17, v39, v16
	v_mbcnt_lo_u32_b32 v16, -1, 0
	v_mbcnt_hi_u32_b32 v40, -1, v16
	v_and_b32_e32 v16, 15, v40
	v_cmp_eq_u32_e64 s[16:17], 0, v16
	v_cmp_lt_u32_e64 s[14:15], 1, v16
	v_cmp_lt_u32_e64 s[12:13], 3, v16
	;; [unrolled: 1-line block ×3, first 2 shown]
	v_and_b32_e32 v16, 16, v40
	v_cmp_eq_u32_e64 s[8:9], 0, v16
	v_or_b32_e32 v16, 63, v0
	s_cmp_lg_u32 s36, 0
	v_cmp_lt_u32_e64 s[4:5], 31, v40
	v_lshrrev_b32_e32 v41, 6, v0
	v_cmp_eq_u32_e64 s[6:7], v16, v0
	s_cbranch_scc0 .LBB2628_57
; %bb.27:
	v_mov_b32_dpp v16, v42 row_shr:1 row_mask:0xf bank_mask:0xf
	v_cndmask_b32_e64 v16, v16, 0, s[16:17]
	v_add_u32_e32 v16, v16, v42
	s_nop 1
	v_mov_b32_dpp v17, v16 row_shr:2 row_mask:0xf bank_mask:0xf
	v_cndmask_b32_e64 v17, 0, v17, s[14:15]
	v_add_u32_e32 v16, v16, v17
	s_nop 1
	;; [unrolled: 4-line block ×4, first 2 shown]
	v_mov_b32_dpp v17, v16 row_bcast:15 row_mask:0xf bank_mask:0xf
	v_cndmask_b32_e64 v17, v17, 0, s[8:9]
	v_add_u32_e32 v16, v16, v17
	s_nop 1
	v_mov_b32_dpp v17, v16 row_bcast:31 row_mask:0xf bank_mask:0xf
	v_cndmask_b32_e64 v17, 0, v17, s[4:5]
	v_add_u32_e32 v16, v16, v17
	s_and_saveexec_b64 s[0:1], s[6:7]
	s_cbranch_execz .LBB2628_29
; %bb.28:
	v_lshlrev_b32_e32 v17, 2, v41
	ds_write_b32 v17, v16
.LBB2628_29:
	s_or_b64 exec, exec, s[0:1]
	v_cmp_gt_u32_e32 vcc, 8, v0
	s_waitcnt lgkmcnt(0)
	s_barrier
	s_and_saveexec_b64 s[0:1], vcc
	s_cbranch_execz .LBB2628_31
; %bb.30:
	v_lshlrev_b32_e32 v17, 2, v0
	ds_read_b32 v22, v17
	v_and_b32_e32 v23, 7, v40
	v_cmp_ne_u32_e32 vcc, 0, v23
	s_waitcnt lgkmcnt(0)
	v_mov_b32_dpp v24, v22 row_shr:1 row_mask:0xf bank_mask:0xf
	v_cndmask_b32_e32 v24, 0, v24, vcc
	v_add_u32_e32 v22, v24, v22
	v_cmp_lt_u32_e32 vcc, 1, v23
	s_nop 0
	v_mov_b32_dpp v24, v22 row_shr:2 row_mask:0xf bank_mask:0xf
	v_cndmask_b32_e32 v24, 0, v24, vcc
	v_add_u32_e32 v22, v22, v24
	v_cmp_lt_u32_e32 vcc, 3, v23
	s_nop 0
	v_mov_b32_dpp v24, v22 row_shr:4 row_mask:0xf bank_mask:0xf
	v_cndmask_b32_e32 v23, 0, v24, vcc
	v_add_u32_e32 v22, v22, v23
	ds_write_b32 v17, v22
.LBB2628_31:
	s_or_b64 exec, exec, s[0:1]
	v_cmp_gt_u32_e32 vcc, 64, v0
	v_cmp_lt_u32_e64 s[0:1], 63, v0
	s_waitcnt lgkmcnt(0)
	s_barrier
	s_waitcnt lgkmcnt(0)
                                        ; implicit-def: $vgpr43
	s_and_saveexec_b64 s[18:19], s[0:1]
	s_cbranch_execz .LBB2628_33
; %bb.32:
	v_lshl_add_u32 v17, v41, 2, -4
	ds_read_b32 v43, v17
	s_waitcnt lgkmcnt(0)
	v_add_u32_e32 v16, v43, v16
.LBB2628_33:
	s_or_b64 exec, exec, s[18:19]
	v_add_u32_e32 v17, -1, v40
	v_and_b32_e32 v22, 64, v40
	v_cmp_lt_i32_e64 s[0:1], v17, v22
	v_cmp_eq_u32_e64 s[18:19], 0, v40
	s_nop 0
	v_cndmask_b32_e64 v17, v17, v40, s[0:1]
	v_lshlrev_b32_e32 v17, 2, v17
	ds_bpermute_b32 v44, v17, v16
	s_and_saveexec_b64 s[0:1], vcc
	s_cbranch_execz .LBB2628_56
; %bb.34:
	v_mov_b32_e32 v29, 0
	ds_read_b32 v16, v29 offset:28
	s_and_saveexec_b64 s[26:27], s[18:19]
	s_cbranch_execz .LBB2628_36
; %bb.35:
	s_add_i32 s34, s36, 64
	s_mov_b32 s35, 0
	s_lshl_b64 s[34:35], s[34:35], 3
	s_add_u32 s34, s30, s34
	v_mov_b32_e32 v17, 1
	s_addc_u32 s35, s31, s35
	s_waitcnt lgkmcnt(0)
	global_store_dwordx2 v29, v[16:17], s[34:35] sc1
.LBB2628_36:
	s_or_b64 exec, exec, s[26:27]
	v_xad_u32 v22, v40, -1, s36
	v_add_u32_e32 v28, 64, v22
	v_lshl_add_u64 v[24:25], v[28:29], 3, s[30:31]
	global_load_dwordx2 v[26:27], v[24:25], off sc1
	s_waitcnt vmcnt(0)
	v_cmp_eq_u16_sdwa s[34:35], v27, v29 src0_sel:BYTE_0 src1_sel:DWORD
	s_and_saveexec_b64 s[26:27], s[34:35]
	s_cbranch_execz .LBB2628_42
; %bb.37:
	s_mov_b32 s37, 1
	s_mov_b64 s[34:35], 0
	v_mov_b32_e32 v17, 0
.LBB2628_38:                            ; =>This Loop Header: Depth=1
                                        ;     Child Loop BB2628_39 Depth 2
	s_max_u32 s38, s37, 1
.LBB2628_39:                            ;   Parent Loop BB2628_38 Depth=1
                                        ; =>  This Inner Loop Header: Depth=2
	s_add_i32 s38, s38, -1
	s_cmp_eq_u32 s38, 0
	s_sleep 1
	s_cbranch_scc0 .LBB2628_39
; %bb.40:                               ;   in Loop: Header=BB2628_38 Depth=1
	global_load_dwordx2 v[26:27], v[24:25], off sc1
	s_cmp_lt_u32 s37, 32
	s_cselect_b64 s[38:39], -1, 0
	s_cmp_lg_u64 s[38:39], 0
	s_addc_u32 s37, s37, 0
	s_waitcnt vmcnt(0)
	v_cmp_ne_u16_sdwa s[38:39], v27, v17 src0_sel:BYTE_0 src1_sel:DWORD
	s_or_b64 s[34:35], s[38:39], s[34:35]
	s_andn2_b64 exec, exec, s[34:35]
	s_cbranch_execnz .LBB2628_38
; %bb.41:
	s_or_b64 exec, exec, s[34:35]
.LBB2628_42:
	s_or_b64 exec, exec, s[26:27]
	v_and_b32_e32 v46, 63, v40
	v_mov_b32_e32 v45, 2
	v_cmp_ne_u32_e32 vcc, 63, v46
	v_cmp_eq_u16_sdwa s[26:27], v27, v45 src0_sel:BYTE_0 src1_sel:DWORD
	v_lshlrev_b64 v[24:25], v40, -1
	v_addc_co_u32_e32 v28, vcc, 0, v40, vcc
	v_and_b32_e32 v17, s27, v25
	v_lshlrev_b32_e32 v47, 2, v28
	v_or_b32_e32 v17, 0x80000000, v17
	ds_bpermute_b32 v28, v47, v26
	v_and_b32_e32 v23, s26, v24
	v_ffbl_b32_e32 v17, v17
	v_add_u32_e32 v17, 32, v17
	v_ffbl_b32_e32 v23, v23
	v_min_u32_e32 v17, v23, v17
	v_cmp_lt_u32_e32 vcc, v46, v17
	v_add_u32_e32 v49, 2, v46
	v_add_u32_e32 v51, 4, v46
	s_waitcnt lgkmcnt(0)
	v_cndmask_b32_e32 v23, 0, v28, vcc
	v_cmp_gt_u32_e32 vcc, 62, v46
	v_add_u32_e32 v23, v23, v26
	v_add_u32_e32 v53, 8, v46
	v_cndmask_b32_e64 v26, 0, 1, vcc
	v_lshlrev_b32_e32 v26, 1, v26
	v_add_lshl_u32 v48, v26, v40, 2
	ds_bpermute_b32 v26, v48, v23
	v_cmp_le_u32_e32 vcc, v49, v17
	v_add_u32_e32 v55, 16, v46
	v_add_u32_e32 v57, 32, v46
	s_waitcnt lgkmcnt(0)
	v_cndmask_b32_e32 v26, 0, v26, vcc
	v_cmp_gt_u32_e32 vcc, 60, v46
	v_add_u32_e32 v23, v23, v26
	s_nop 0
	v_cndmask_b32_e64 v26, 0, 1, vcc
	v_lshlrev_b32_e32 v26, 2, v26
	v_add_lshl_u32 v50, v26, v40, 2
	ds_bpermute_b32 v26, v50, v23
	v_cmp_le_u32_e32 vcc, v51, v17
	s_waitcnt lgkmcnt(0)
	s_nop 0
	v_cndmask_b32_e32 v26, 0, v26, vcc
	v_cmp_gt_u32_e32 vcc, 56, v46
	v_add_u32_e32 v23, v23, v26
	s_nop 0
	v_cndmask_b32_e64 v26, 0, 1, vcc
	v_lshlrev_b32_e32 v26, 3, v26
	v_add_lshl_u32 v52, v26, v40, 2
	ds_bpermute_b32 v26, v52, v23
	v_cmp_le_u32_e32 vcc, v53, v17
	s_waitcnt lgkmcnt(0)
	s_nop 0
	;; [unrolled: 11-line block ×4, first 2 shown]
	v_cndmask_b32_e32 v17, 0, v26, vcc
	v_add_u32_e32 v26, v23, v17
	v_mov_b32_e32 v23, 0
	s_branch .LBB2628_44
.LBB2628_43:                            ;   in Loop: Header=BB2628_44 Depth=1
	s_or_b64 exec, exec, s[26:27]
	v_cmp_eq_u16_sdwa s[26:27], v27, v45 src0_sel:BYTE_0 src1_sel:DWORD
	ds_bpermute_b32 v58, v47, v26
	v_subrev_u32_e32 v22, 64, v22
	v_and_b32_e32 v28, s27, v25
	v_or_b32_e32 v28, 0x80000000, v28
	v_and_b32_e32 v29, s26, v24
	v_ffbl_b32_e32 v28, v28
	v_add_u32_e32 v28, 32, v28
	v_ffbl_b32_e32 v29, v29
	v_min_u32_e32 v28, v29, v28
	v_cmp_lt_u32_e32 vcc, v46, v28
	s_waitcnt lgkmcnt(0)
	s_nop 0
	v_cndmask_b32_e32 v29, 0, v58, vcc
	v_add_u32_e32 v26, v29, v26
	ds_bpermute_b32 v29, v48, v26
	v_cmp_le_u32_e32 vcc, v49, v28
	s_waitcnt lgkmcnt(0)
	s_nop 0
	v_cndmask_b32_e32 v29, 0, v29, vcc
	v_add_u32_e32 v26, v26, v29
	ds_bpermute_b32 v29, v50, v26
	v_cmp_le_u32_e32 vcc, v51, v28
	;; [unrolled: 6-line block ×5, first 2 shown]
	s_waitcnt lgkmcnt(0)
	s_nop 0
	v_cndmask_b32_e32 v28, 0, v29, vcc
	v_add3_u32 v26, v28, v17, v26
.LBB2628_44:                            ; =>This Loop Header: Depth=1
                                        ;     Child Loop BB2628_47 Depth 2
                                        ;       Child Loop BB2628_48 Depth 3
	v_cmp_ne_u16_sdwa s[26:27], v27, v45 src0_sel:BYTE_0 src1_sel:DWORD
	s_nop 1
	v_cndmask_b32_e64 v17, 0, 1, s[26:27]
	;;#ASMSTART
	;;#ASMEND
	s_nop 0
	v_cmp_ne_u32_e32 vcc, 0, v17
	s_cmp_lg_u64 vcc, exec
	v_mov_b32_e32 v17, v26
	s_cbranch_scc1 .LBB2628_51
; %bb.45:                               ;   in Loop: Header=BB2628_44 Depth=1
	v_lshl_add_u64 v[28:29], v[22:23], 3, s[30:31]
	global_load_dwordx2 v[26:27], v[28:29], off sc1
	s_waitcnt vmcnt(0)
	v_cmp_eq_u16_sdwa s[34:35], v27, v23 src0_sel:BYTE_0 src1_sel:DWORD
	s_and_saveexec_b64 s[26:27], s[34:35]
	s_cbranch_execz .LBB2628_43
; %bb.46:                               ;   in Loop: Header=BB2628_44 Depth=1
	s_mov_b32 s37, 1
	s_mov_b64 s[34:35], 0
.LBB2628_47:                            ;   Parent Loop BB2628_44 Depth=1
                                        ; =>  This Loop Header: Depth=2
                                        ;       Child Loop BB2628_48 Depth 3
	s_max_u32 s38, s37, 1
.LBB2628_48:                            ;   Parent Loop BB2628_44 Depth=1
                                        ;     Parent Loop BB2628_47 Depth=2
                                        ; =>    This Inner Loop Header: Depth=3
	s_add_i32 s38, s38, -1
	s_cmp_eq_u32 s38, 0
	s_sleep 1
	s_cbranch_scc0 .LBB2628_48
; %bb.49:                               ;   in Loop: Header=BB2628_47 Depth=2
	global_load_dwordx2 v[26:27], v[28:29], off sc1
	s_cmp_lt_u32 s37, 32
	s_cselect_b64 s[38:39], -1, 0
	s_cmp_lg_u64 s[38:39], 0
	s_addc_u32 s37, s37, 0
	s_waitcnt vmcnt(0)
	v_cmp_ne_u16_sdwa s[38:39], v27, v23 src0_sel:BYTE_0 src1_sel:DWORD
	s_or_b64 s[34:35], s[38:39], s[34:35]
	s_andn2_b64 exec, exec, s[34:35]
	s_cbranch_execnz .LBB2628_47
; %bb.50:                               ;   in Loop: Header=BB2628_44 Depth=1
	s_or_b64 exec, exec, s[34:35]
	s_branch .LBB2628_43
.LBB2628_51:                            ;   in Loop: Header=BB2628_44 Depth=1
                                        ; implicit-def: $vgpr26
                                        ; implicit-def: $vgpr27
	s_cbranch_execz .LBB2628_44
; %bb.52:
	s_and_saveexec_b64 s[26:27], s[18:19]
	s_cbranch_execz .LBB2628_54
; %bb.53:
	s_add_i32 s34, s36, 64
	s_mov_b32 s35, 0
	s_lshl_b64 s[34:35], s[34:35], 3
	s_add_u32 s34, s30, s34
	v_add_u32_e32 v22, v17, v16
	v_mov_b32_e32 v23, 2
	s_addc_u32 s35, s31, s35
	v_mov_b32_e32 v24, 0
	global_store_dwordx2 v24, v[22:23], s[34:35] sc1
	ds_write_b64 v24, v[16:17] offset:28672
.LBB2628_54:
	s_or_b64 exec, exec, s[26:27]
	s_and_b64 exec, exec, s[20:21]
	s_cbranch_execz .LBB2628_56
; %bb.55:
	v_mov_b32_e32 v16, 0
	ds_write_b32 v16, v17 offset:28
.LBB2628_56:
	s_or_b64 exec, exec, s[0:1]
	v_mov_b32_e32 v16, 0
	s_waitcnt lgkmcnt(0)
	s_barrier
	ds_read_b32 v17, v16 offset:28
	v_cndmask_b32_e64 v22, v44, v43, s[18:19]
	v_cndmask_b32_e64 v22, v22, 0, s[20:21]
	s_waitcnt lgkmcnt(0)
	s_barrier
	v_add_u32_e32 v29, v17, v22
	v_add_u32_e32 v28, v29, v35
	ds_read_b64 v[16:17], v16 offset:28672
	v_add_u32_e32 v27, v28, v36
	v_add_u32_e32 v26, v27, v37
	;; [unrolled: 1-line block ×5, first 2 shown]
	s_waitcnt lgkmcnt(0)
	v_mov_b32_e32 v22, v17
	s_branch .LBB2628_67
.LBB2628_57:
                                        ; implicit-def: $vgpr22
                                        ; implicit-def: $vgpr16
                                        ; implicit-def: $vgpr23
                                        ; implicit-def: $vgpr24
                                        ; implicit-def: $vgpr25
                                        ; implicit-def: $vgpr26
                                        ; implicit-def: $vgpr27
                                        ; implicit-def: $vgpr28
                                        ; implicit-def: $vgpr29
	s_cbranch_execz .LBB2628_67
; %bb.58:
	s_nop 0
	v_mov_b32_dpp v16, v42 row_shr:1 row_mask:0xf bank_mask:0xf
	v_cndmask_b32_e64 v16, v16, 0, s[16:17]
	v_add_u32_e32 v16, v16, v42
	s_nop 1
	v_mov_b32_dpp v17, v16 row_shr:2 row_mask:0xf bank_mask:0xf
	v_cndmask_b32_e64 v17, 0, v17, s[14:15]
	v_add_u32_e32 v16, v16, v17
	s_nop 1
	v_mov_b32_dpp v17, v16 row_shr:4 row_mask:0xf bank_mask:0xf
	v_cndmask_b32_e64 v17, 0, v17, s[12:13]
	v_add_u32_e32 v16, v16, v17
	s_nop 1
	v_mov_b32_dpp v17, v16 row_shr:8 row_mask:0xf bank_mask:0xf
	v_cndmask_b32_e64 v17, 0, v17, s[10:11]
	v_add_u32_e32 v16, v16, v17
	s_nop 1
	v_mov_b32_dpp v17, v16 row_bcast:15 row_mask:0xf bank_mask:0xf
	v_cndmask_b32_e64 v17, v17, 0, s[8:9]
	v_add_u32_e32 v16, v16, v17
	s_nop 1
	v_mov_b32_dpp v17, v16 row_bcast:31 row_mask:0xf bank_mask:0xf
	v_cndmask_b32_e64 v17, 0, v17, s[4:5]
	v_add_u32_e32 v16, v16, v17
	s_and_saveexec_b64 s[0:1], s[6:7]
	s_cbranch_execz .LBB2628_60
; %bb.59:
	v_lshlrev_b32_e32 v17, 2, v41
	ds_write_b32 v17, v16
.LBB2628_60:
	s_or_b64 exec, exec, s[0:1]
	v_cmp_gt_u32_e32 vcc, 8, v0
	s_waitcnt lgkmcnt(0)
	s_barrier
	s_and_saveexec_b64 s[0:1], vcc
	s_cbranch_execz .LBB2628_62
; %bb.61:
	s_movk_i32 s4, 0xffcc
	v_mad_i32_i24 v17, v0, s4, v34
	ds_read_b32 v22, v17
	v_and_b32_e32 v23, 7, v40
	v_cmp_ne_u32_e32 vcc, 0, v23
	s_waitcnt lgkmcnt(0)
	v_mov_b32_dpp v24, v22 row_shr:1 row_mask:0xf bank_mask:0xf
	v_cndmask_b32_e32 v24, 0, v24, vcc
	v_add_u32_e32 v22, v24, v22
	v_cmp_lt_u32_e32 vcc, 1, v23
	s_nop 0
	v_mov_b32_dpp v24, v22 row_shr:2 row_mask:0xf bank_mask:0xf
	v_cndmask_b32_e32 v24, 0, v24, vcc
	v_add_u32_e32 v22, v22, v24
	v_cmp_lt_u32_e32 vcc, 3, v23
	s_nop 0
	v_mov_b32_dpp v24, v22 row_shr:4 row_mask:0xf bank_mask:0xf
	v_cndmask_b32_e32 v23, 0, v24, vcc
	v_add_u32_e32 v22, v22, v23
	ds_write_b32 v17, v22
.LBB2628_62:
	s_or_b64 exec, exec, s[0:1]
	v_cmp_lt_u32_e32 vcc, 63, v0
	v_mov_b32_e32 v17, 0
	v_mov_b32_e32 v22, 0
	s_waitcnt lgkmcnt(0)
	s_barrier
	s_and_saveexec_b64 s[0:1], vcc
	s_cbranch_execz .LBB2628_64
; %bb.63:
	v_lshl_add_u32 v22, v41, 2, -4
	ds_read_b32 v22, v22
.LBB2628_64:
	s_or_b64 exec, exec, s[0:1]
	v_add_u32_e32 v23, -1, v40
	v_and_b32_e32 v24, 64, v40
	v_cmp_lt_i32_e32 vcc, v23, v24
	s_waitcnt lgkmcnt(0)
	v_add_u32_e32 v16, v22, v16
	v_cndmask_b32_e32 v23, v23, v40, vcc
	v_lshlrev_b32_e32 v23, 2, v23
	ds_bpermute_b32 v23, v23, v16
	ds_read_b32 v16, v17 offset:28
	s_and_saveexec_b64 s[0:1], s[20:21]
	s_cbranch_execz .LBB2628_66
; %bb.65:
	v_mov_b32_e32 v24, 0
	v_mov_b32_e32 v17, 2
	s_waitcnt lgkmcnt(0)
	global_store_dwordx2 v24, v[16:17], s[30:31] offset:512 sc1
.LBB2628_66:
	s_or_b64 exec, exec, s[0:1]
	v_cmp_eq_u32_e32 vcc, 0, v40
	s_waitcnt lgkmcnt(0)
	s_barrier
	v_cndmask_b32_e32 v17, v23, v22, vcc
	v_cndmask_b32_e64 v29, v17, 0, s[20:21]
	v_add_u32_e32 v28, v29, v35
	v_add_u32_e32 v27, v28, v36
	;; [unrolled: 1-line block ×5, first 2 shown]
	v_mov_b32_e32 v22, 0
	v_add_u32_e32 v23, v24, v39
.LBB2628_67:
	v_add_u32_e32 v1, v16, v1
	v_sub_u32_e32 v29, v29, v22
	v_and_b32_e32 v35, 1, v32
	v_sub_u32_e32 v34, v1, v29
	v_cmp_eq_u32_e32 vcc, 1, v35
	v_lshrrev_b32_e32 v17, 8, v32
	v_and_b32_e32 v17, 1, v17
	v_cndmask_b32_e32 v29, v34, v29, vcc
	v_lshlrev_b32_e32 v29, 3, v29
	ds_write_b64 v29, v[10:11]
	v_sub_u32_e32 v10, v28, v22
	v_sub_u32_e32 v11, v1, v10
	v_add_u32_e32 v11, 1, v11
	v_cmp_eq_u32_e32 vcc, 1, v17
	v_or_b32_e32 v29, 0x400, v0
	v_or_b32_e32 v28, 0x600, v0
	v_cndmask_b32_e32 v10, v11, v10, vcc
	v_lshlrev_b32_e32 v10, 3, v10
	ds_write_b64 v10, v[12:13]
	v_sub_u32_e32 v10, v27, v22
	v_mov_b32_e32 v12, 1
	v_sub_u32_e32 v11, v1, v10
	v_and_b32_sdwa v12, v12, v32 dst_sel:DWORD dst_unused:UNUSED_PAD src0_sel:DWORD src1_sel:WORD_1
	v_add_u32_e32 v11, 2, v11
	v_cmp_eq_u32_e32 vcc, 1, v12
	v_or_b32_e32 v17, 0xa00, v0
	s_nop 0
	v_cndmask_b32_e32 v10, v11, v10, vcc
	v_lshlrev_b32_e32 v10, 3, v10
	ds_write_b64 v10, v[6:7]
	v_sub_u32_e32 v6, v26, v22
	v_sub_u32_e32 v7, v1, v6
	v_and_b32_e32 v10, 1, v33
	v_add_u32_e32 v7, 3, v7
	v_cmp_eq_u32_e32 vcc, 1, v10
	s_waitcnt vmcnt(0)
	v_lshlrev_b64 v[26:27], 3, v[18:19]
	v_cndmask_b32_e32 v6, v7, v6, vcc
	v_lshlrev_b32_e32 v6, 3, v6
	ds_write_b64 v6, v[8:9]
	v_sub_u32_e32 v6, v25, v22
	v_sub_u32_e32 v7, v1, v6
	v_and_b32_e32 v8, 1, v31
	v_add_u32_e32 v7, 4, v7
	v_cmp_eq_u32_e32 vcc, 1, v8
	s_nop 1
	v_cndmask_b32_e32 v6, v7, v6, vcc
	v_lshlrev_b32_e32 v6, 3, v6
	ds_write_b64 v6, v[2:3]
	v_sub_u32_e32 v2, v24, v22
	v_sub_u32_e32 v3, v1, v2
	v_and_b32_e32 v6, 1, v30
	v_add_u32_e32 v3, 5, v3
	v_cmp_eq_u32_e32 vcc, 1, v6
	v_or_b32_e32 v30, 0x200, v0
	s_nop 0
	v_cndmask_b32_e32 v2, v3, v2, vcc
	v_lshlrev_b32_e32 v2, 3, v2
	ds_write_b64 v2, v[4:5]
	v_sub_u32_e32 v2, v23, v22
	v_sub_u32_e32 v1, v1, v2
	v_and_b32_e32 v3, 1, v21
	v_add_u32_e32 v1, 6, v1
	v_cmp_eq_u32_e32 vcc, 1, v3
	v_or_b32_e32 v21, 0x800, v0
	s_nop 0
	v_cndmask_b32_e32 v1, v1, v2, vcc
	v_lshlrev_b32_e32 v1, 3, v1
	ds_write_b64 v1, v[14:15]
	s_waitcnt lgkmcnt(0)
	s_barrier
	ds_read2st64_b64 v[10:13], v20 offset1:8
	ds_read2st64_b64 v[6:9], v20 offset0:16 offset1:24
	ds_read2st64_b64 v[2:5], v20 offset0:32 offset1:40
	ds_read_b64 v[14:15], v20 offset:24576
	v_or_b32_e32 v1, 0xc00, v0
	s_and_b64 vcc, exec, s[2:3]
	s_cbranch_vccnz .LBB2628_76
; %bb.68:
	v_mov_b32_e32 v23, 0
	v_lshl_add_u64 v[24:25], s[28:29], 0, v[26:27]
	v_lshlrev_b64 v[32:33], 3, v[22:23]
	v_lshl_add_u64 v[24:25], v[24:25], 0, v[32:33]
	v_cmp_lt_u32_e32 vcc, v0, v16
	s_and_saveexec_b64 s[0:1], vcc
	s_cbranch_execnz .LBB2628_90
; %bb.69:
	s_or_b64 exec, exec, s[0:1]
	v_cmp_lt_u32_e32 vcc, v30, v16
	s_and_saveexec_b64 s[0:1], vcc
	s_cbranch_execnz .LBB2628_91
.LBB2628_70:
	s_or_b64 exec, exec, s[0:1]
	v_cmp_lt_u32_e32 vcc, v29, v16
	s_and_saveexec_b64 s[0:1], vcc
	s_cbranch_execnz .LBB2628_92
.LBB2628_71:
	s_or_b64 exec, exec, s[0:1]
	v_cmp_lt_u32_e32 vcc, v28, v16
	s_and_saveexec_b64 s[0:1], vcc
	s_cbranch_execnz .LBB2628_93
.LBB2628_72:
	s_or_b64 exec, exec, s[0:1]
	v_cmp_lt_u32_e32 vcc, v21, v16
	s_and_saveexec_b64 s[0:1], vcc
	s_cbranch_execnz .LBB2628_94
.LBB2628_73:
	s_or_b64 exec, exec, s[0:1]
	v_cmp_lt_u32_e32 vcc, v17, v16
	s_and_saveexec_b64 s[0:1], vcc
	s_cbranch_execz .LBB2628_75
.LBB2628_74:
	v_lshlrev_b32_e32 v23, 3, v17
	v_readfirstlane_b32 s2, v24
	v_readfirstlane_b32 s3, v25
	s_waitcnt lgkmcnt(1)
	s_nop 3
	global_store_dwordx2 v23, v[4:5], s[2:3]
.LBB2628_75:
	s_or_b64 exec, exec, s[0:1]
	v_cmp_lt_u32_e64 s[0:1], v1, v16
	s_branch .LBB2628_85
.LBB2628_76:
	s_mov_b64 s[0:1], 0
                                        ; implicit-def: $vgpr24_vgpr25
	s_cbranch_execz .LBB2628_85
; %bb.77:
	v_mov_b32_e32 v23, 0
	v_min_u32_e32 v31, s33, v16
	v_lshl_add_u64 v[24:25], s[28:29], 0, v[26:27]
	v_lshlrev_b64 v[26:27], 3, v[22:23]
	v_lshl_add_u64 v[24:25], v[24:25], 0, v[26:27]
	v_cmp_gt_u32_e32 vcc, v31, v0
	s_and_saveexec_b64 s[0:1], vcc
	s_cbranch_execnz .LBB2628_95
; %bb.78:
	s_or_b64 exec, exec, s[0:1]
	v_cmp_lt_u32_e32 vcc, v30, v31
	s_and_saveexec_b64 s[0:1], vcc
	s_cbranch_execnz .LBB2628_96
.LBB2628_79:
	s_or_b64 exec, exec, s[0:1]
	v_cmp_lt_u32_e32 vcc, v29, v31
	s_and_saveexec_b64 s[0:1], vcc
	s_cbranch_execnz .LBB2628_97
.LBB2628_80:
	s_or_b64 exec, exec, s[0:1]
	v_cmp_lt_u32_e32 vcc, v28, v31
	s_and_saveexec_b64 s[0:1], vcc
	s_cbranch_execnz .LBB2628_98
.LBB2628_81:
	s_or_b64 exec, exec, s[0:1]
	v_cmp_lt_u32_e32 vcc, v21, v31
	s_and_saveexec_b64 s[0:1], vcc
	s_cbranch_execnz .LBB2628_99
.LBB2628_82:
	s_or_b64 exec, exec, s[0:1]
	v_cmp_lt_u32_e32 vcc, v17, v31
	s_and_saveexec_b64 s[0:1], vcc
	s_cbranch_execz .LBB2628_84
.LBB2628_83:
	v_lshlrev_b32_e32 v0, 3, v17
	v_readfirstlane_b32 s2, v24
	v_readfirstlane_b32 s3, v25
	s_waitcnt lgkmcnt(1)
	s_nop 3
	global_store_dwordx2 v0, v[4:5], s[2:3]
.LBB2628_84:
	s_or_b64 exec, exec, s[0:1]
	v_cmp_lt_u32_e64 s[0:1], v1, v31
.LBB2628_85:
	s_and_saveexec_b64 s[2:3], s[0:1]
	s_cbranch_execnz .LBB2628_88
; %bb.86:
	s_or_b64 exec, exec, s[2:3]
	s_and_b64 s[0:1], s[20:21], s[22:23]
	s_and_saveexec_b64 s[2:3], s[0:1]
	s_cbranch_execnz .LBB2628_89
.LBB2628_87:
	s_endpgm
.LBB2628_88:
	v_lshlrev_b32_e32 v0, 3, v1
	v_readfirstlane_b32 s0, v24
	v_readfirstlane_b32 s1, v25
	s_waitcnt lgkmcnt(0)
	s_nop 3
	global_store_dwordx2 v0, v[14:15], s[0:1]
	s_or_b64 exec, exec, s[2:3]
	s_and_b64 s[0:1], s[20:21], s[22:23]
	s_and_saveexec_b64 s[2:3], s[0:1]
	s_cbranch_execz .LBB2628_87
.LBB2628_89:
	v_mov_b32_e32 v17, 0
	v_lshl_add_u64 v[0:1], v[18:19], 0, v[16:17]
	v_mov_b32_e32 v23, v17
	v_lshl_add_u64 v[0:1], v[0:1], 0, v[22:23]
	global_store_dwordx2 v17, v[0:1], s[24:25]
	s_endpgm
.LBB2628_90:
	v_readfirstlane_b32 s2, v24
	v_readfirstlane_b32 s3, v25
	s_waitcnt lgkmcnt(3)
	s_nop 3
	global_store_dwordx2 v20, v[10:11], s[2:3]
	s_or_b64 exec, exec, s[0:1]
	v_cmp_lt_u32_e32 vcc, v30, v16
	s_and_saveexec_b64 s[0:1], vcc
	s_cbranch_execz .LBB2628_70
.LBB2628_91:
	v_lshlrev_b32_e32 v23, 3, v30
	v_readfirstlane_b32 s2, v24
	v_readfirstlane_b32 s3, v25
	s_waitcnt lgkmcnt(3)
	s_nop 3
	global_store_dwordx2 v23, v[12:13], s[2:3]
	s_or_b64 exec, exec, s[0:1]
	v_cmp_lt_u32_e32 vcc, v29, v16
	s_and_saveexec_b64 s[0:1], vcc
	s_cbranch_execz .LBB2628_71
.LBB2628_92:
	v_lshlrev_b32_e32 v23, 3, v29
	v_readfirstlane_b32 s2, v24
	v_readfirstlane_b32 s3, v25
	s_waitcnt lgkmcnt(2)
	s_nop 3
	global_store_dwordx2 v23, v[6:7], s[2:3]
	s_or_b64 exec, exec, s[0:1]
	v_cmp_lt_u32_e32 vcc, v28, v16
	s_and_saveexec_b64 s[0:1], vcc
	s_cbranch_execz .LBB2628_72
.LBB2628_93:
	v_lshlrev_b32_e32 v23, 3, v28
	v_readfirstlane_b32 s2, v24
	v_readfirstlane_b32 s3, v25
	s_waitcnt lgkmcnt(2)
	s_nop 3
	global_store_dwordx2 v23, v[8:9], s[2:3]
	s_or_b64 exec, exec, s[0:1]
	v_cmp_lt_u32_e32 vcc, v21, v16
	s_and_saveexec_b64 s[0:1], vcc
	s_cbranch_execz .LBB2628_73
.LBB2628_94:
	v_lshlrev_b32_e32 v23, 3, v21
	v_readfirstlane_b32 s2, v24
	v_readfirstlane_b32 s3, v25
	s_waitcnt lgkmcnt(1)
	s_nop 3
	global_store_dwordx2 v23, v[2:3], s[2:3]
	s_or_b64 exec, exec, s[0:1]
	v_cmp_lt_u32_e32 vcc, v17, v16
	s_and_saveexec_b64 s[0:1], vcc
	s_cbranch_execnz .LBB2628_74
	s_branch .LBB2628_75
.LBB2628_95:
	v_readfirstlane_b32 s2, v24
	v_readfirstlane_b32 s3, v25
	s_waitcnt lgkmcnt(3)
	s_nop 3
	global_store_dwordx2 v20, v[10:11], s[2:3]
	s_or_b64 exec, exec, s[0:1]
	v_cmp_lt_u32_e32 vcc, v30, v31
	s_and_saveexec_b64 s[0:1], vcc
	s_cbranch_execz .LBB2628_79
.LBB2628_96:
	v_lshlrev_b32_e32 v0, 3, v30
	v_readfirstlane_b32 s2, v24
	v_readfirstlane_b32 s3, v25
	s_waitcnt lgkmcnt(3)
	s_nop 3
	global_store_dwordx2 v0, v[12:13], s[2:3]
	s_or_b64 exec, exec, s[0:1]
	v_cmp_lt_u32_e32 vcc, v29, v31
	s_and_saveexec_b64 s[0:1], vcc
	s_cbranch_execz .LBB2628_80
.LBB2628_97:
	v_lshlrev_b32_e32 v0, 3, v29
	v_readfirstlane_b32 s2, v24
	v_readfirstlane_b32 s3, v25
	s_waitcnt lgkmcnt(2)
	s_nop 3
	global_store_dwordx2 v0, v[6:7], s[2:3]
	s_or_b64 exec, exec, s[0:1]
	v_cmp_lt_u32_e32 vcc, v28, v31
	s_and_saveexec_b64 s[0:1], vcc
	s_cbranch_execz .LBB2628_81
.LBB2628_98:
	v_lshlrev_b32_e32 v0, 3, v28
	v_readfirstlane_b32 s2, v24
	v_readfirstlane_b32 s3, v25
	s_waitcnt lgkmcnt(2)
	s_nop 3
	global_store_dwordx2 v0, v[8:9], s[2:3]
	s_or_b64 exec, exec, s[0:1]
	v_cmp_lt_u32_e32 vcc, v21, v31
	s_and_saveexec_b64 s[0:1], vcc
	s_cbranch_execz .LBB2628_82
.LBB2628_99:
	v_lshlrev_b32_e32 v0, 3, v21
	v_readfirstlane_b32 s2, v24
	v_readfirstlane_b32 s3, v25
	s_waitcnt lgkmcnt(1)
	s_nop 3
	global_store_dwordx2 v0, v[2:3], s[2:3]
	s_or_b64 exec, exec, s[0:1]
	v_cmp_lt_u32_e32 vcc, v17, v31
	s_and_saveexec_b64 s[0:1], vcc
	s_cbranch_execnz .LBB2628_83
	s_branch .LBB2628_84
	.section	.rodata,"a",@progbits
	.p2align	6, 0x0
	.amdhsa_kernel _ZN7rocprim17ROCPRIM_400000_NS6detail17trampoline_kernelINS0_14default_configENS1_25partition_config_selectorILNS1_17partition_subalgoE0ExNS0_10empty_typeEbEEZZNS1_14partition_implILS5_0ELb0ES3_jN6thrust23THRUST_200600_302600_NS6detail15normal_iteratorINSA_10device_ptrIxEEEEPS6_SG_NS0_5tupleIJSF_NSA_16discard_iteratorINSA_11use_defaultEEEEEENSH_IJSG_SG_EEES6_PlJ7is_evenIxEEEE10hipError_tPvRmT3_T4_T5_T6_T7_T9_mT8_P12ihipStream_tbDpT10_ENKUlT_T0_E_clISt17integral_constantIbLb1EES19_EEDaS14_S15_EUlS14_E_NS1_11comp_targetILNS1_3genE5ELNS1_11target_archE942ELNS1_3gpuE9ELNS1_3repE0EEENS1_30default_config_static_selectorELNS0_4arch9wavefront6targetE1EEEvT1_
		.amdhsa_group_segment_fixed_size 28680
		.amdhsa_private_segment_fixed_size 0
		.amdhsa_kernarg_size 144
		.amdhsa_user_sgpr_count 2
		.amdhsa_user_sgpr_dispatch_ptr 0
		.amdhsa_user_sgpr_queue_ptr 0
		.amdhsa_user_sgpr_kernarg_segment_ptr 1
		.amdhsa_user_sgpr_dispatch_id 0
		.amdhsa_user_sgpr_kernarg_preload_length 0
		.amdhsa_user_sgpr_kernarg_preload_offset 0
		.amdhsa_user_sgpr_private_segment_size 0
		.amdhsa_uses_dynamic_stack 0
		.amdhsa_enable_private_segment 0
		.amdhsa_system_sgpr_workgroup_id_x 1
		.amdhsa_system_sgpr_workgroup_id_y 0
		.amdhsa_system_sgpr_workgroup_id_z 0
		.amdhsa_system_sgpr_workgroup_info 0
		.amdhsa_system_vgpr_workitem_id 0
		.amdhsa_next_free_vgpr 59
		.amdhsa_next_free_sgpr 40
		.amdhsa_accum_offset 60
		.amdhsa_reserve_vcc 1
		.amdhsa_float_round_mode_32 0
		.amdhsa_float_round_mode_16_64 0
		.amdhsa_float_denorm_mode_32 3
		.amdhsa_float_denorm_mode_16_64 3
		.amdhsa_dx10_clamp 1
		.amdhsa_ieee_mode 1
		.amdhsa_fp16_overflow 0
		.amdhsa_tg_split 0
		.amdhsa_exception_fp_ieee_invalid_op 0
		.amdhsa_exception_fp_denorm_src 0
		.amdhsa_exception_fp_ieee_div_zero 0
		.amdhsa_exception_fp_ieee_overflow 0
		.amdhsa_exception_fp_ieee_underflow 0
		.amdhsa_exception_fp_ieee_inexact 0
		.amdhsa_exception_int_div_zero 0
	.end_amdhsa_kernel
	.section	.text._ZN7rocprim17ROCPRIM_400000_NS6detail17trampoline_kernelINS0_14default_configENS1_25partition_config_selectorILNS1_17partition_subalgoE0ExNS0_10empty_typeEbEEZZNS1_14partition_implILS5_0ELb0ES3_jN6thrust23THRUST_200600_302600_NS6detail15normal_iteratorINSA_10device_ptrIxEEEEPS6_SG_NS0_5tupleIJSF_NSA_16discard_iteratorINSA_11use_defaultEEEEEENSH_IJSG_SG_EEES6_PlJ7is_evenIxEEEE10hipError_tPvRmT3_T4_T5_T6_T7_T9_mT8_P12ihipStream_tbDpT10_ENKUlT_T0_E_clISt17integral_constantIbLb1EES19_EEDaS14_S15_EUlS14_E_NS1_11comp_targetILNS1_3genE5ELNS1_11target_archE942ELNS1_3gpuE9ELNS1_3repE0EEENS1_30default_config_static_selectorELNS0_4arch9wavefront6targetE1EEEvT1_,"axG",@progbits,_ZN7rocprim17ROCPRIM_400000_NS6detail17trampoline_kernelINS0_14default_configENS1_25partition_config_selectorILNS1_17partition_subalgoE0ExNS0_10empty_typeEbEEZZNS1_14partition_implILS5_0ELb0ES3_jN6thrust23THRUST_200600_302600_NS6detail15normal_iteratorINSA_10device_ptrIxEEEEPS6_SG_NS0_5tupleIJSF_NSA_16discard_iteratorINSA_11use_defaultEEEEEENSH_IJSG_SG_EEES6_PlJ7is_evenIxEEEE10hipError_tPvRmT3_T4_T5_T6_T7_T9_mT8_P12ihipStream_tbDpT10_ENKUlT_T0_E_clISt17integral_constantIbLb1EES19_EEDaS14_S15_EUlS14_E_NS1_11comp_targetILNS1_3genE5ELNS1_11target_archE942ELNS1_3gpuE9ELNS1_3repE0EEENS1_30default_config_static_selectorELNS0_4arch9wavefront6targetE1EEEvT1_,comdat
.Lfunc_end2628:
	.size	_ZN7rocprim17ROCPRIM_400000_NS6detail17trampoline_kernelINS0_14default_configENS1_25partition_config_selectorILNS1_17partition_subalgoE0ExNS0_10empty_typeEbEEZZNS1_14partition_implILS5_0ELb0ES3_jN6thrust23THRUST_200600_302600_NS6detail15normal_iteratorINSA_10device_ptrIxEEEEPS6_SG_NS0_5tupleIJSF_NSA_16discard_iteratorINSA_11use_defaultEEEEEENSH_IJSG_SG_EEES6_PlJ7is_evenIxEEEE10hipError_tPvRmT3_T4_T5_T6_T7_T9_mT8_P12ihipStream_tbDpT10_ENKUlT_T0_E_clISt17integral_constantIbLb1EES19_EEDaS14_S15_EUlS14_E_NS1_11comp_targetILNS1_3genE5ELNS1_11target_archE942ELNS1_3gpuE9ELNS1_3repE0EEENS1_30default_config_static_selectorELNS0_4arch9wavefront6targetE1EEEvT1_, .Lfunc_end2628-_ZN7rocprim17ROCPRIM_400000_NS6detail17trampoline_kernelINS0_14default_configENS1_25partition_config_selectorILNS1_17partition_subalgoE0ExNS0_10empty_typeEbEEZZNS1_14partition_implILS5_0ELb0ES3_jN6thrust23THRUST_200600_302600_NS6detail15normal_iteratorINSA_10device_ptrIxEEEEPS6_SG_NS0_5tupleIJSF_NSA_16discard_iteratorINSA_11use_defaultEEEEEENSH_IJSG_SG_EEES6_PlJ7is_evenIxEEEE10hipError_tPvRmT3_T4_T5_T6_T7_T9_mT8_P12ihipStream_tbDpT10_ENKUlT_T0_E_clISt17integral_constantIbLb1EES19_EEDaS14_S15_EUlS14_E_NS1_11comp_targetILNS1_3genE5ELNS1_11target_archE942ELNS1_3gpuE9ELNS1_3repE0EEENS1_30default_config_static_selectorELNS0_4arch9wavefront6targetE1EEEvT1_
                                        ; -- End function
	.section	.AMDGPU.csdata,"",@progbits
; Kernel info:
; codeLenInByte = 4736
; NumSgprs: 46
; NumVgprs: 59
; NumAgprs: 0
; TotalNumVgprs: 59
; ScratchSize: 0
; MemoryBound: 0
; FloatMode: 240
; IeeeMode: 1
; LDSByteSize: 28680 bytes/workgroup (compile time only)
; SGPRBlocks: 5
; VGPRBlocks: 7
; NumSGPRsForWavesPerEU: 46
; NumVGPRsForWavesPerEU: 59
; AccumOffset: 60
; Occupancy: 4
; WaveLimiterHint : 1
; COMPUTE_PGM_RSRC2:SCRATCH_EN: 0
; COMPUTE_PGM_RSRC2:USER_SGPR: 2
; COMPUTE_PGM_RSRC2:TRAP_HANDLER: 0
; COMPUTE_PGM_RSRC2:TGID_X_EN: 1
; COMPUTE_PGM_RSRC2:TGID_Y_EN: 0
; COMPUTE_PGM_RSRC2:TGID_Z_EN: 0
; COMPUTE_PGM_RSRC2:TIDIG_COMP_CNT: 0
; COMPUTE_PGM_RSRC3_GFX90A:ACCUM_OFFSET: 14
; COMPUTE_PGM_RSRC3_GFX90A:TG_SPLIT: 0
	.section	.text._ZN7rocprim17ROCPRIM_400000_NS6detail17trampoline_kernelINS0_14default_configENS1_25partition_config_selectorILNS1_17partition_subalgoE0ExNS0_10empty_typeEbEEZZNS1_14partition_implILS5_0ELb0ES3_jN6thrust23THRUST_200600_302600_NS6detail15normal_iteratorINSA_10device_ptrIxEEEEPS6_SG_NS0_5tupleIJSF_NSA_16discard_iteratorINSA_11use_defaultEEEEEENSH_IJSG_SG_EEES6_PlJ7is_evenIxEEEE10hipError_tPvRmT3_T4_T5_T6_T7_T9_mT8_P12ihipStream_tbDpT10_ENKUlT_T0_E_clISt17integral_constantIbLb1EES19_EEDaS14_S15_EUlS14_E_NS1_11comp_targetILNS1_3genE4ELNS1_11target_archE910ELNS1_3gpuE8ELNS1_3repE0EEENS1_30default_config_static_selectorELNS0_4arch9wavefront6targetE1EEEvT1_,"axG",@progbits,_ZN7rocprim17ROCPRIM_400000_NS6detail17trampoline_kernelINS0_14default_configENS1_25partition_config_selectorILNS1_17partition_subalgoE0ExNS0_10empty_typeEbEEZZNS1_14partition_implILS5_0ELb0ES3_jN6thrust23THRUST_200600_302600_NS6detail15normal_iteratorINSA_10device_ptrIxEEEEPS6_SG_NS0_5tupleIJSF_NSA_16discard_iteratorINSA_11use_defaultEEEEEENSH_IJSG_SG_EEES6_PlJ7is_evenIxEEEE10hipError_tPvRmT3_T4_T5_T6_T7_T9_mT8_P12ihipStream_tbDpT10_ENKUlT_T0_E_clISt17integral_constantIbLb1EES19_EEDaS14_S15_EUlS14_E_NS1_11comp_targetILNS1_3genE4ELNS1_11target_archE910ELNS1_3gpuE8ELNS1_3repE0EEENS1_30default_config_static_selectorELNS0_4arch9wavefront6targetE1EEEvT1_,comdat
	.protected	_ZN7rocprim17ROCPRIM_400000_NS6detail17trampoline_kernelINS0_14default_configENS1_25partition_config_selectorILNS1_17partition_subalgoE0ExNS0_10empty_typeEbEEZZNS1_14partition_implILS5_0ELb0ES3_jN6thrust23THRUST_200600_302600_NS6detail15normal_iteratorINSA_10device_ptrIxEEEEPS6_SG_NS0_5tupleIJSF_NSA_16discard_iteratorINSA_11use_defaultEEEEEENSH_IJSG_SG_EEES6_PlJ7is_evenIxEEEE10hipError_tPvRmT3_T4_T5_T6_T7_T9_mT8_P12ihipStream_tbDpT10_ENKUlT_T0_E_clISt17integral_constantIbLb1EES19_EEDaS14_S15_EUlS14_E_NS1_11comp_targetILNS1_3genE4ELNS1_11target_archE910ELNS1_3gpuE8ELNS1_3repE0EEENS1_30default_config_static_selectorELNS0_4arch9wavefront6targetE1EEEvT1_ ; -- Begin function _ZN7rocprim17ROCPRIM_400000_NS6detail17trampoline_kernelINS0_14default_configENS1_25partition_config_selectorILNS1_17partition_subalgoE0ExNS0_10empty_typeEbEEZZNS1_14partition_implILS5_0ELb0ES3_jN6thrust23THRUST_200600_302600_NS6detail15normal_iteratorINSA_10device_ptrIxEEEEPS6_SG_NS0_5tupleIJSF_NSA_16discard_iteratorINSA_11use_defaultEEEEEENSH_IJSG_SG_EEES6_PlJ7is_evenIxEEEE10hipError_tPvRmT3_T4_T5_T6_T7_T9_mT8_P12ihipStream_tbDpT10_ENKUlT_T0_E_clISt17integral_constantIbLb1EES19_EEDaS14_S15_EUlS14_E_NS1_11comp_targetILNS1_3genE4ELNS1_11target_archE910ELNS1_3gpuE8ELNS1_3repE0EEENS1_30default_config_static_selectorELNS0_4arch9wavefront6targetE1EEEvT1_
	.globl	_ZN7rocprim17ROCPRIM_400000_NS6detail17trampoline_kernelINS0_14default_configENS1_25partition_config_selectorILNS1_17partition_subalgoE0ExNS0_10empty_typeEbEEZZNS1_14partition_implILS5_0ELb0ES3_jN6thrust23THRUST_200600_302600_NS6detail15normal_iteratorINSA_10device_ptrIxEEEEPS6_SG_NS0_5tupleIJSF_NSA_16discard_iteratorINSA_11use_defaultEEEEEENSH_IJSG_SG_EEES6_PlJ7is_evenIxEEEE10hipError_tPvRmT3_T4_T5_T6_T7_T9_mT8_P12ihipStream_tbDpT10_ENKUlT_T0_E_clISt17integral_constantIbLb1EES19_EEDaS14_S15_EUlS14_E_NS1_11comp_targetILNS1_3genE4ELNS1_11target_archE910ELNS1_3gpuE8ELNS1_3repE0EEENS1_30default_config_static_selectorELNS0_4arch9wavefront6targetE1EEEvT1_
	.p2align	8
	.type	_ZN7rocprim17ROCPRIM_400000_NS6detail17trampoline_kernelINS0_14default_configENS1_25partition_config_selectorILNS1_17partition_subalgoE0ExNS0_10empty_typeEbEEZZNS1_14partition_implILS5_0ELb0ES3_jN6thrust23THRUST_200600_302600_NS6detail15normal_iteratorINSA_10device_ptrIxEEEEPS6_SG_NS0_5tupleIJSF_NSA_16discard_iteratorINSA_11use_defaultEEEEEENSH_IJSG_SG_EEES6_PlJ7is_evenIxEEEE10hipError_tPvRmT3_T4_T5_T6_T7_T9_mT8_P12ihipStream_tbDpT10_ENKUlT_T0_E_clISt17integral_constantIbLb1EES19_EEDaS14_S15_EUlS14_E_NS1_11comp_targetILNS1_3genE4ELNS1_11target_archE910ELNS1_3gpuE8ELNS1_3repE0EEENS1_30default_config_static_selectorELNS0_4arch9wavefront6targetE1EEEvT1_,@function
_ZN7rocprim17ROCPRIM_400000_NS6detail17trampoline_kernelINS0_14default_configENS1_25partition_config_selectorILNS1_17partition_subalgoE0ExNS0_10empty_typeEbEEZZNS1_14partition_implILS5_0ELb0ES3_jN6thrust23THRUST_200600_302600_NS6detail15normal_iteratorINSA_10device_ptrIxEEEEPS6_SG_NS0_5tupleIJSF_NSA_16discard_iteratorINSA_11use_defaultEEEEEENSH_IJSG_SG_EEES6_PlJ7is_evenIxEEEE10hipError_tPvRmT3_T4_T5_T6_T7_T9_mT8_P12ihipStream_tbDpT10_ENKUlT_T0_E_clISt17integral_constantIbLb1EES19_EEDaS14_S15_EUlS14_E_NS1_11comp_targetILNS1_3genE4ELNS1_11target_archE910ELNS1_3gpuE8ELNS1_3repE0EEENS1_30default_config_static_selectorELNS0_4arch9wavefront6targetE1EEEvT1_: ; @_ZN7rocprim17ROCPRIM_400000_NS6detail17trampoline_kernelINS0_14default_configENS1_25partition_config_selectorILNS1_17partition_subalgoE0ExNS0_10empty_typeEbEEZZNS1_14partition_implILS5_0ELb0ES3_jN6thrust23THRUST_200600_302600_NS6detail15normal_iteratorINSA_10device_ptrIxEEEEPS6_SG_NS0_5tupleIJSF_NSA_16discard_iteratorINSA_11use_defaultEEEEEENSH_IJSG_SG_EEES6_PlJ7is_evenIxEEEE10hipError_tPvRmT3_T4_T5_T6_T7_T9_mT8_P12ihipStream_tbDpT10_ENKUlT_T0_E_clISt17integral_constantIbLb1EES19_EEDaS14_S15_EUlS14_E_NS1_11comp_targetILNS1_3genE4ELNS1_11target_archE910ELNS1_3gpuE8ELNS1_3repE0EEENS1_30default_config_static_selectorELNS0_4arch9wavefront6targetE1EEEvT1_
; %bb.0:
	.section	.rodata,"a",@progbits
	.p2align	6, 0x0
	.amdhsa_kernel _ZN7rocprim17ROCPRIM_400000_NS6detail17trampoline_kernelINS0_14default_configENS1_25partition_config_selectorILNS1_17partition_subalgoE0ExNS0_10empty_typeEbEEZZNS1_14partition_implILS5_0ELb0ES3_jN6thrust23THRUST_200600_302600_NS6detail15normal_iteratorINSA_10device_ptrIxEEEEPS6_SG_NS0_5tupleIJSF_NSA_16discard_iteratorINSA_11use_defaultEEEEEENSH_IJSG_SG_EEES6_PlJ7is_evenIxEEEE10hipError_tPvRmT3_T4_T5_T6_T7_T9_mT8_P12ihipStream_tbDpT10_ENKUlT_T0_E_clISt17integral_constantIbLb1EES19_EEDaS14_S15_EUlS14_E_NS1_11comp_targetILNS1_3genE4ELNS1_11target_archE910ELNS1_3gpuE8ELNS1_3repE0EEENS1_30default_config_static_selectorELNS0_4arch9wavefront6targetE1EEEvT1_
		.amdhsa_group_segment_fixed_size 0
		.amdhsa_private_segment_fixed_size 0
		.amdhsa_kernarg_size 144
		.amdhsa_user_sgpr_count 2
		.amdhsa_user_sgpr_dispatch_ptr 0
		.amdhsa_user_sgpr_queue_ptr 0
		.amdhsa_user_sgpr_kernarg_segment_ptr 1
		.amdhsa_user_sgpr_dispatch_id 0
		.amdhsa_user_sgpr_kernarg_preload_length 0
		.amdhsa_user_sgpr_kernarg_preload_offset 0
		.amdhsa_user_sgpr_private_segment_size 0
		.amdhsa_uses_dynamic_stack 0
		.amdhsa_enable_private_segment 0
		.amdhsa_system_sgpr_workgroup_id_x 1
		.amdhsa_system_sgpr_workgroup_id_y 0
		.amdhsa_system_sgpr_workgroup_id_z 0
		.amdhsa_system_sgpr_workgroup_info 0
		.amdhsa_system_vgpr_workitem_id 0
		.amdhsa_next_free_vgpr 1
		.amdhsa_next_free_sgpr 0
		.amdhsa_accum_offset 4
		.amdhsa_reserve_vcc 0
		.amdhsa_float_round_mode_32 0
		.amdhsa_float_round_mode_16_64 0
		.amdhsa_float_denorm_mode_32 3
		.amdhsa_float_denorm_mode_16_64 3
		.amdhsa_dx10_clamp 1
		.amdhsa_ieee_mode 1
		.amdhsa_fp16_overflow 0
		.amdhsa_tg_split 0
		.amdhsa_exception_fp_ieee_invalid_op 0
		.amdhsa_exception_fp_denorm_src 0
		.amdhsa_exception_fp_ieee_div_zero 0
		.amdhsa_exception_fp_ieee_overflow 0
		.amdhsa_exception_fp_ieee_underflow 0
		.amdhsa_exception_fp_ieee_inexact 0
		.amdhsa_exception_int_div_zero 0
	.end_amdhsa_kernel
	.section	.text._ZN7rocprim17ROCPRIM_400000_NS6detail17trampoline_kernelINS0_14default_configENS1_25partition_config_selectorILNS1_17partition_subalgoE0ExNS0_10empty_typeEbEEZZNS1_14partition_implILS5_0ELb0ES3_jN6thrust23THRUST_200600_302600_NS6detail15normal_iteratorINSA_10device_ptrIxEEEEPS6_SG_NS0_5tupleIJSF_NSA_16discard_iteratorINSA_11use_defaultEEEEEENSH_IJSG_SG_EEES6_PlJ7is_evenIxEEEE10hipError_tPvRmT3_T4_T5_T6_T7_T9_mT8_P12ihipStream_tbDpT10_ENKUlT_T0_E_clISt17integral_constantIbLb1EES19_EEDaS14_S15_EUlS14_E_NS1_11comp_targetILNS1_3genE4ELNS1_11target_archE910ELNS1_3gpuE8ELNS1_3repE0EEENS1_30default_config_static_selectorELNS0_4arch9wavefront6targetE1EEEvT1_,"axG",@progbits,_ZN7rocprim17ROCPRIM_400000_NS6detail17trampoline_kernelINS0_14default_configENS1_25partition_config_selectorILNS1_17partition_subalgoE0ExNS0_10empty_typeEbEEZZNS1_14partition_implILS5_0ELb0ES3_jN6thrust23THRUST_200600_302600_NS6detail15normal_iteratorINSA_10device_ptrIxEEEEPS6_SG_NS0_5tupleIJSF_NSA_16discard_iteratorINSA_11use_defaultEEEEEENSH_IJSG_SG_EEES6_PlJ7is_evenIxEEEE10hipError_tPvRmT3_T4_T5_T6_T7_T9_mT8_P12ihipStream_tbDpT10_ENKUlT_T0_E_clISt17integral_constantIbLb1EES19_EEDaS14_S15_EUlS14_E_NS1_11comp_targetILNS1_3genE4ELNS1_11target_archE910ELNS1_3gpuE8ELNS1_3repE0EEENS1_30default_config_static_selectorELNS0_4arch9wavefront6targetE1EEEvT1_,comdat
.Lfunc_end2629:
	.size	_ZN7rocprim17ROCPRIM_400000_NS6detail17trampoline_kernelINS0_14default_configENS1_25partition_config_selectorILNS1_17partition_subalgoE0ExNS0_10empty_typeEbEEZZNS1_14partition_implILS5_0ELb0ES3_jN6thrust23THRUST_200600_302600_NS6detail15normal_iteratorINSA_10device_ptrIxEEEEPS6_SG_NS0_5tupleIJSF_NSA_16discard_iteratorINSA_11use_defaultEEEEEENSH_IJSG_SG_EEES6_PlJ7is_evenIxEEEE10hipError_tPvRmT3_T4_T5_T6_T7_T9_mT8_P12ihipStream_tbDpT10_ENKUlT_T0_E_clISt17integral_constantIbLb1EES19_EEDaS14_S15_EUlS14_E_NS1_11comp_targetILNS1_3genE4ELNS1_11target_archE910ELNS1_3gpuE8ELNS1_3repE0EEENS1_30default_config_static_selectorELNS0_4arch9wavefront6targetE1EEEvT1_, .Lfunc_end2629-_ZN7rocprim17ROCPRIM_400000_NS6detail17trampoline_kernelINS0_14default_configENS1_25partition_config_selectorILNS1_17partition_subalgoE0ExNS0_10empty_typeEbEEZZNS1_14partition_implILS5_0ELb0ES3_jN6thrust23THRUST_200600_302600_NS6detail15normal_iteratorINSA_10device_ptrIxEEEEPS6_SG_NS0_5tupleIJSF_NSA_16discard_iteratorINSA_11use_defaultEEEEEENSH_IJSG_SG_EEES6_PlJ7is_evenIxEEEE10hipError_tPvRmT3_T4_T5_T6_T7_T9_mT8_P12ihipStream_tbDpT10_ENKUlT_T0_E_clISt17integral_constantIbLb1EES19_EEDaS14_S15_EUlS14_E_NS1_11comp_targetILNS1_3genE4ELNS1_11target_archE910ELNS1_3gpuE8ELNS1_3repE0EEENS1_30default_config_static_selectorELNS0_4arch9wavefront6targetE1EEEvT1_
                                        ; -- End function
	.section	.AMDGPU.csdata,"",@progbits
; Kernel info:
; codeLenInByte = 0
; NumSgprs: 6
; NumVgprs: 0
; NumAgprs: 0
; TotalNumVgprs: 0
; ScratchSize: 0
; MemoryBound: 0
; FloatMode: 240
; IeeeMode: 1
; LDSByteSize: 0 bytes/workgroup (compile time only)
; SGPRBlocks: 0
; VGPRBlocks: 0
; NumSGPRsForWavesPerEU: 6
; NumVGPRsForWavesPerEU: 1
; AccumOffset: 4
; Occupancy: 8
; WaveLimiterHint : 0
; COMPUTE_PGM_RSRC2:SCRATCH_EN: 0
; COMPUTE_PGM_RSRC2:USER_SGPR: 2
; COMPUTE_PGM_RSRC2:TRAP_HANDLER: 0
; COMPUTE_PGM_RSRC2:TGID_X_EN: 1
; COMPUTE_PGM_RSRC2:TGID_Y_EN: 0
; COMPUTE_PGM_RSRC2:TGID_Z_EN: 0
; COMPUTE_PGM_RSRC2:TIDIG_COMP_CNT: 0
; COMPUTE_PGM_RSRC3_GFX90A:ACCUM_OFFSET: 0
; COMPUTE_PGM_RSRC3_GFX90A:TG_SPLIT: 0
	.section	.text._ZN7rocprim17ROCPRIM_400000_NS6detail17trampoline_kernelINS0_14default_configENS1_25partition_config_selectorILNS1_17partition_subalgoE0ExNS0_10empty_typeEbEEZZNS1_14partition_implILS5_0ELb0ES3_jN6thrust23THRUST_200600_302600_NS6detail15normal_iteratorINSA_10device_ptrIxEEEEPS6_SG_NS0_5tupleIJSF_NSA_16discard_iteratorINSA_11use_defaultEEEEEENSH_IJSG_SG_EEES6_PlJ7is_evenIxEEEE10hipError_tPvRmT3_T4_T5_T6_T7_T9_mT8_P12ihipStream_tbDpT10_ENKUlT_T0_E_clISt17integral_constantIbLb1EES19_EEDaS14_S15_EUlS14_E_NS1_11comp_targetILNS1_3genE3ELNS1_11target_archE908ELNS1_3gpuE7ELNS1_3repE0EEENS1_30default_config_static_selectorELNS0_4arch9wavefront6targetE1EEEvT1_,"axG",@progbits,_ZN7rocprim17ROCPRIM_400000_NS6detail17trampoline_kernelINS0_14default_configENS1_25partition_config_selectorILNS1_17partition_subalgoE0ExNS0_10empty_typeEbEEZZNS1_14partition_implILS5_0ELb0ES3_jN6thrust23THRUST_200600_302600_NS6detail15normal_iteratorINSA_10device_ptrIxEEEEPS6_SG_NS0_5tupleIJSF_NSA_16discard_iteratorINSA_11use_defaultEEEEEENSH_IJSG_SG_EEES6_PlJ7is_evenIxEEEE10hipError_tPvRmT3_T4_T5_T6_T7_T9_mT8_P12ihipStream_tbDpT10_ENKUlT_T0_E_clISt17integral_constantIbLb1EES19_EEDaS14_S15_EUlS14_E_NS1_11comp_targetILNS1_3genE3ELNS1_11target_archE908ELNS1_3gpuE7ELNS1_3repE0EEENS1_30default_config_static_selectorELNS0_4arch9wavefront6targetE1EEEvT1_,comdat
	.protected	_ZN7rocprim17ROCPRIM_400000_NS6detail17trampoline_kernelINS0_14default_configENS1_25partition_config_selectorILNS1_17partition_subalgoE0ExNS0_10empty_typeEbEEZZNS1_14partition_implILS5_0ELb0ES3_jN6thrust23THRUST_200600_302600_NS6detail15normal_iteratorINSA_10device_ptrIxEEEEPS6_SG_NS0_5tupleIJSF_NSA_16discard_iteratorINSA_11use_defaultEEEEEENSH_IJSG_SG_EEES6_PlJ7is_evenIxEEEE10hipError_tPvRmT3_T4_T5_T6_T7_T9_mT8_P12ihipStream_tbDpT10_ENKUlT_T0_E_clISt17integral_constantIbLb1EES19_EEDaS14_S15_EUlS14_E_NS1_11comp_targetILNS1_3genE3ELNS1_11target_archE908ELNS1_3gpuE7ELNS1_3repE0EEENS1_30default_config_static_selectorELNS0_4arch9wavefront6targetE1EEEvT1_ ; -- Begin function _ZN7rocprim17ROCPRIM_400000_NS6detail17trampoline_kernelINS0_14default_configENS1_25partition_config_selectorILNS1_17partition_subalgoE0ExNS0_10empty_typeEbEEZZNS1_14partition_implILS5_0ELb0ES3_jN6thrust23THRUST_200600_302600_NS6detail15normal_iteratorINSA_10device_ptrIxEEEEPS6_SG_NS0_5tupleIJSF_NSA_16discard_iteratorINSA_11use_defaultEEEEEENSH_IJSG_SG_EEES6_PlJ7is_evenIxEEEE10hipError_tPvRmT3_T4_T5_T6_T7_T9_mT8_P12ihipStream_tbDpT10_ENKUlT_T0_E_clISt17integral_constantIbLb1EES19_EEDaS14_S15_EUlS14_E_NS1_11comp_targetILNS1_3genE3ELNS1_11target_archE908ELNS1_3gpuE7ELNS1_3repE0EEENS1_30default_config_static_selectorELNS0_4arch9wavefront6targetE1EEEvT1_
	.globl	_ZN7rocprim17ROCPRIM_400000_NS6detail17trampoline_kernelINS0_14default_configENS1_25partition_config_selectorILNS1_17partition_subalgoE0ExNS0_10empty_typeEbEEZZNS1_14partition_implILS5_0ELb0ES3_jN6thrust23THRUST_200600_302600_NS6detail15normal_iteratorINSA_10device_ptrIxEEEEPS6_SG_NS0_5tupleIJSF_NSA_16discard_iteratorINSA_11use_defaultEEEEEENSH_IJSG_SG_EEES6_PlJ7is_evenIxEEEE10hipError_tPvRmT3_T4_T5_T6_T7_T9_mT8_P12ihipStream_tbDpT10_ENKUlT_T0_E_clISt17integral_constantIbLb1EES19_EEDaS14_S15_EUlS14_E_NS1_11comp_targetILNS1_3genE3ELNS1_11target_archE908ELNS1_3gpuE7ELNS1_3repE0EEENS1_30default_config_static_selectorELNS0_4arch9wavefront6targetE1EEEvT1_
	.p2align	8
	.type	_ZN7rocprim17ROCPRIM_400000_NS6detail17trampoline_kernelINS0_14default_configENS1_25partition_config_selectorILNS1_17partition_subalgoE0ExNS0_10empty_typeEbEEZZNS1_14partition_implILS5_0ELb0ES3_jN6thrust23THRUST_200600_302600_NS6detail15normal_iteratorINSA_10device_ptrIxEEEEPS6_SG_NS0_5tupleIJSF_NSA_16discard_iteratorINSA_11use_defaultEEEEEENSH_IJSG_SG_EEES6_PlJ7is_evenIxEEEE10hipError_tPvRmT3_T4_T5_T6_T7_T9_mT8_P12ihipStream_tbDpT10_ENKUlT_T0_E_clISt17integral_constantIbLb1EES19_EEDaS14_S15_EUlS14_E_NS1_11comp_targetILNS1_3genE3ELNS1_11target_archE908ELNS1_3gpuE7ELNS1_3repE0EEENS1_30default_config_static_selectorELNS0_4arch9wavefront6targetE1EEEvT1_,@function
_ZN7rocprim17ROCPRIM_400000_NS6detail17trampoline_kernelINS0_14default_configENS1_25partition_config_selectorILNS1_17partition_subalgoE0ExNS0_10empty_typeEbEEZZNS1_14partition_implILS5_0ELb0ES3_jN6thrust23THRUST_200600_302600_NS6detail15normal_iteratorINSA_10device_ptrIxEEEEPS6_SG_NS0_5tupleIJSF_NSA_16discard_iteratorINSA_11use_defaultEEEEEENSH_IJSG_SG_EEES6_PlJ7is_evenIxEEEE10hipError_tPvRmT3_T4_T5_T6_T7_T9_mT8_P12ihipStream_tbDpT10_ENKUlT_T0_E_clISt17integral_constantIbLb1EES19_EEDaS14_S15_EUlS14_E_NS1_11comp_targetILNS1_3genE3ELNS1_11target_archE908ELNS1_3gpuE7ELNS1_3repE0EEENS1_30default_config_static_selectorELNS0_4arch9wavefront6targetE1EEEvT1_: ; @_ZN7rocprim17ROCPRIM_400000_NS6detail17trampoline_kernelINS0_14default_configENS1_25partition_config_selectorILNS1_17partition_subalgoE0ExNS0_10empty_typeEbEEZZNS1_14partition_implILS5_0ELb0ES3_jN6thrust23THRUST_200600_302600_NS6detail15normal_iteratorINSA_10device_ptrIxEEEEPS6_SG_NS0_5tupleIJSF_NSA_16discard_iteratorINSA_11use_defaultEEEEEENSH_IJSG_SG_EEES6_PlJ7is_evenIxEEEE10hipError_tPvRmT3_T4_T5_T6_T7_T9_mT8_P12ihipStream_tbDpT10_ENKUlT_T0_E_clISt17integral_constantIbLb1EES19_EEDaS14_S15_EUlS14_E_NS1_11comp_targetILNS1_3genE3ELNS1_11target_archE908ELNS1_3gpuE7ELNS1_3repE0EEENS1_30default_config_static_selectorELNS0_4arch9wavefront6targetE1EEEvT1_
; %bb.0:
	.section	.rodata,"a",@progbits
	.p2align	6, 0x0
	.amdhsa_kernel _ZN7rocprim17ROCPRIM_400000_NS6detail17trampoline_kernelINS0_14default_configENS1_25partition_config_selectorILNS1_17partition_subalgoE0ExNS0_10empty_typeEbEEZZNS1_14partition_implILS5_0ELb0ES3_jN6thrust23THRUST_200600_302600_NS6detail15normal_iteratorINSA_10device_ptrIxEEEEPS6_SG_NS0_5tupleIJSF_NSA_16discard_iteratorINSA_11use_defaultEEEEEENSH_IJSG_SG_EEES6_PlJ7is_evenIxEEEE10hipError_tPvRmT3_T4_T5_T6_T7_T9_mT8_P12ihipStream_tbDpT10_ENKUlT_T0_E_clISt17integral_constantIbLb1EES19_EEDaS14_S15_EUlS14_E_NS1_11comp_targetILNS1_3genE3ELNS1_11target_archE908ELNS1_3gpuE7ELNS1_3repE0EEENS1_30default_config_static_selectorELNS0_4arch9wavefront6targetE1EEEvT1_
		.amdhsa_group_segment_fixed_size 0
		.amdhsa_private_segment_fixed_size 0
		.amdhsa_kernarg_size 144
		.amdhsa_user_sgpr_count 2
		.amdhsa_user_sgpr_dispatch_ptr 0
		.amdhsa_user_sgpr_queue_ptr 0
		.amdhsa_user_sgpr_kernarg_segment_ptr 1
		.amdhsa_user_sgpr_dispatch_id 0
		.amdhsa_user_sgpr_kernarg_preload_length 0
		.amdhsa_user_sgpr_kernarg_preload_offset 0
		.amdhsa_user_sgpr_private_segment_size 0
		.amdhsa_uses_dynamic_stack 0
		.amdhsa_enable_private_segment 0
		.amdhsa_system_sgpr_workgroup_id_x 1
		.amdhsa_system_sgpr_workgroup_id_y 0
		.amdhsa_system_sgpr_workgroup_id_z 0
		.amdhsa_system_sgpr_workgroup_info 0
		.amdhsa_system_vgpr_workitem_id 0
		.amdhsa_next_free_vgpr 1
		.amdhsa_next_free_sgpr 0
		.amdhsa_accum_offset 4
		.amdhsa_reserve_vcc 0
		.amdhsa_float_round_mode_32 0
		.amdhsa_float_round_mode_16_64 0
		.amdhsa_float_denorm_mode_32 3
		.amdhsa_float_denorm_mode_16_64 3
		.amdhsa_dx10_clamp 1
		.amdhsa_ieee_mode 1
		.amdhsa_fp16_overflow 0
		.amdhsa_tg_split 0
		.amdhsa_exception_fp_ieee_invalid_op 0
		.amdhsa_exception_fp_denorm_src 0
		.amdhsa_exception_fp_ieee_div_zero 0
		.amdhsa_exception_fp_ieee_overflow 0
		.amdhsa_exception_fp_ieee_underflow 0
		.amdhsa_exception_fp_ieee_inexact 0
		.amdhsa_exception_int_div_zero 0
	.end_amdhsa_kernel
	.section	.text._ZN7rocprim17ROCPRIM_400000_NS6detail17trampoline_kernelINS0_14default_configENS1_25partition_config_selectorILNS1_17partition_subalgoE0ExNS0_10empty_typeEbEEZZNS1_14partition_implILS5_0ELb0ES3_jN6thrust23THRUST_200600_302600_NS6detail15normal_iteratorINSA_10device_ptrIxEEEEPS6_SG_NS0_5tupleIJSF_NSA_16discard_iteratorINSA_11use_defaultEEEEEENSH_IJSG_SG_EEES6_PlJ7is_evenIxEEEE10hipError_tPvRmT3_T4_T5_T6_T7_T9_mT8_P12ihipStream_tbDpT10_ENKUlT_T0_E_clISt17integral_constantIbLb1EES19_EEDaS14_S15_EUlS14_E_NS1_11comp_targetILNS1_3genE3ELNS1_11target_archE908ELNS1_3gpuE7ELNS1_3repE0EEENS1_30default_config_static_selectorELNS0_4arch9wavefront6targetE1EEEvT1_,"axG",@progbits,_ZN7rocprim17ROCPRIM_400000_NS6detail17trampoline_kernelINS0_14default_configENS1_25partition_config_selectorILNS1_17partition_subalgoE0ExNS0_10empty_typeEbEEZZNS1_14partition_implILS5_0ELb0ES3_jN6thrust23THRUST_200600_302600_NS6detail15normal_iteratorINSA_10device_ptrIxEEEEPS6_SG_NS0_5tupleIJSF_NSA_16discard_iteratorINSA_11use_defaultEEEEEENSH_IJSG_SG_EEES6_PlJ7is_evenIxEEEE10hipError_tPvRmT3_T4_T5_T6_T7_T9_mT8_P12ihipStream_tbDpT10_ENKUlT_T0_E_clISt17integral_constantIbLb1EES19_EEDaS14_S15_EUlS14_E_NS1_11comp_targetILNS1_3genE3ELNS1_11target_archE908ELNS1_3gpuE7ELNS1_3repE0EEENS1_30default_config_static_selectorELNS0_4arch9wavefront6targetE1EEEvT1_,comdat
.Lfunc_end2630:
	.size	_ZN7rocprim17ROCPRIM_400000_NS6detail17trampoline_kernelINS0_14default_configENS1_25partition_config_selectorILNS1_17partition_subalgoE0ExNS0_10empty_typeEbEEZZNS1_14partition_implILS5_0ELb0ES3_jN6thrust23THRUST_200600_302600_NS6detail15normal_iteratorINSA_10device_ptrIxEEEEPS6_SG_NS0_5tupleIJSF_NSA_16discard_iteratorINSA_11use_defaultEEEEEENSH_IJSG_SG_EEES6_PlJ7is_evenIxEEEE10hipError_tPvRmT3_T4_T5_T6_T7_T9_mT8_P12ihipStream_tbDpT10_ENKUlT_T0_E_clISt17integral_constantIbLb1EES19_EEDaS14_S15_EUlS14_E_NS1_11comp_targetILNS1_3genE3ELNS1_11target_archE908ELNS1_3gpuE7ELNS1_3repE0EEENS1_30default_config_static_selectorELNS0_4arch9wavefront6targetE1EEEvT1_, .Lfunc_end2630-_ZN7rocprim17ROCPRIM_400000_NS6detail17trampoline_kernelINS0_14default_configENS1_25partition_config_selectorILNS1_17partition_subalgoE0ExNS0_10empty_typeEbEEZZNS1_14partition_implILS5_0ELb0ES3_jN6thrust23THRUST_200600_302600_NS6detail15normal_iteratorINSA_10device_ptrIxEEEEPS6_SG_NS0_5tupleIJSF_NSA_16discard_iteratorINSA_11use_defaultEEEEEENSH_IJSG_SG_EEES6_PlJ7is_evenIxEEEE10hipError_tPvRmT3_T4_T5_T6_T7_T9_mT8_P12ihipStream_tbDpT10_ENKUlT_T0_E_clISt17integral_constantIbLb1EES19_EEDaS14_S15_EUlS14_E_NS1_11comp_targetILNS1_3genE3ELNS1_11target_archE908ELNS1_3gpuE7ELNS1_3repE0EEENS1_30default_config_static_selectorELNS0_4arch9wavefront6targetE1EEEvT1_
                                        ; -- End function
	.section	.AMDGPU.csdata,"",@progbits
; Kernel info:
; codeLenInByte = 0
; NumSgprs: 6
; NumVgprs: 0
; NumAgprs: 0
; TotalNumVgprs: 0
; ScratchSize: 0
; MemoryBound: 0
; FloatMode: 240
; IeeeMode: 1
; LDSByteSize: 0 bytes/workgroup (compile time only)
; SGPRBlocks: 0
; VGPRBlocks: 0
; NumSGPRsForWavesPerEU: 6
; NumVGPRsForWavesPerEU: 1
; AccumOffset: 4
; Occupancy: 8
; WaveLimiterHint : 0
; COMPUTE_PGM_RSRC2:SCRATCH_EN: 0
; COMPUTE_PGM_RSRC2:USER_SGPR: 2
; COMPUTE_PGM_RSRC2:TRAP_HANDLER: 0
; COMPUTE_PGM_RSRC2:TGID_X_EN: 1
; COMPUTE_PGM_RSRC2:TGID_Y_EN: 0
; COMPUTE_PGM_RSRC2:TGID_Z_EN: 0
; COMPUTE_PGM_RSRC2:TIDIG_COMP_CNT: 0
; COMPUTE_PGM_RSRC3_GFX90A:ACCUM_OFFSET: 0
; COMPUTE_PGM_RSRC3_GFX90A:TG_SPLIT: 0
	.section	.text._ZN7rocprim17ROCPRIM_400000_NS6detail17trampoline_kernelINS0_14default_configENS1_25partition_config_selectorILNS1_17partition_subalgoE0ExNS0_10empty_typeEbEEZZNS1_14partition_implILS5_0ELb0ES3_jN6thrust23THRUST_200600_302600_NS6detail15normal_iteratorINSA_10device_ptrIxEEEEPS6_SG_NS0_5tupleIJSF_NSA_16discard_iteratorINSA_11use_defaultEEEEEENSH_IJSG_SG_EEES6_PlJ7is_evenIxEEEE10hipError_tPvRmT3_T4_T5_T6_T7_T9_mT8_P12ihipStream_tbDpT10_ENKUlT_T0_E_clISt17integral_constantIbLb1EES19_EEDaS14_S15_EUlS14_E_NS1_11comp_targetILNS1_3genE2ELNS1_11target_archE906ELNS1_3gpuE6ELNS1_3repE0EEENS1_30default_config_static_selectorELNS0_4arch9wavefront6targetE1EEEvT1_,"axG",@progbits,_ZN7rocprim17ROCPRIM_400000_NS6detail17trampoline_kernelINS0_14default_configENS1_25partition_config_selectorILNS1_17partition_subalgoE0ExNS0_10empty_typeEbEEZZNS1_14partition_implILS5_0ELb0ES3_jN6thrust23THRUST_200600_302600_NS6detail15normal_iteratorINSA_10device_ptrIxEEEEPS6_SG_NS0_5tupleIJSF_NSA_16discard_iteratorINSA_11use_defaultEEEEEENSH_IJSG_SG_EEES6_PlJ7is_evenIxEEEE10hipError_tPvRmT3_T4_T5_T6_T7_T9_mT8_P12ihipStream_tbDpT10_ENKUlT_T0_E_clISt17integral_constantIbLb1EES19_EEDaS14_S15_EUlS14_E_NS1_11comp_targetILNS1_3genE2ELNS1_11target_archE906ELNS1_3gpuE6ELNS1_3repE0EEENS1_30default_config_static_selectorELNS0_4arch9wavefront6targetE1EEEvT1_,comdat
	.protected	_ZN7rocprim17ROCPRIM_400000_NS6detail17trampoline_kernelINS0_14default_configENS1_25partition_config_selectorILNS1_17partition_subalgoE0ExNS0_10empty_typeEbEEZZNS1_14partition_implILS5_0ELb0ES3_jN6thrust23THRUST_200600_302600_NS6detail15normal_iteratorINSA_10device_ptrIxEEEEPS6_SG_NS0_5tupleIJSF_NSA_16discard_iteratorINSA_11use_defaultEEEEEENSH_IJSG_SG_EEES6_PlJ7is_evenIxEEEE10hipError_tPvRmT3_T4_T5_T6_T7_T9_mT8_P12ihipStream_tbDpT10_ENKUlT_T0_E_clISt17integral_constantIbLb1EES19_EEDaS14_S15_EUlS14_E_NS1_11comp_targetILNS1_3genE2ELNS1_11target_archE906ELNS1_3gpuE6ELNS1_3repE0EEENS1_30default_config_static_selectorELNS0_4arch9wavefront6targetE1EEEvT1_ ; -- Begin function _ZN7rocprim17ROCPRIM_400000_NS6detail17trampoline_kernelINS0_14default_configENS1_25partition_config_selectorILNS1_17partition_subalgoE0ExNS0_10empty_typeEbEEZZNS1_14partition_implILS5_0ELb0ES3_jN6thrust23THRUST_200600_302600_NS6detail15normal_iteratorINSA_10device_ptrIxEEEEPS6_SG_NS0_5tupleIJSF_NSA_16discard_iteratorINSA_11use_defaultEEEEEENSH_IJSG_SG_EEES6_PlJ7is_evenIxEEEE10hipError_tPvRmT3_T4_T5_T6_T7_T9_mT8_P12ihipStream_tbDpT10_ENKUlT_T0_E_clISt17integral_constantIbLb1EES19_EEDaS14_S15_EUlS14_E_NS1_11comp_targetILNS1_3genE2ELNS1_11target_archE906ELNS1_3gpuE6ELNS1_3repE0EEENS1_30default_config_static_selectorELNS0_4arch9wavefront6targetE1EEEvT1_
	.globl	_ZN7rocprim17ROCPRIM_400000_NS6detail17trampoline_kernelINS0_14default_configENS1_25partition_config_selectorILNS1_17partition_subalgoE0ExNS0_10empty_typeEbEEZZNS1_14partition_implILS5_0ELb0ES3_jN6thrust23THRUST_200600_302600_NS6detail15normal_iteratorINSA_10device_ptrIxEEEEPS6_SG_NS0_5tupleIJSF_NSA_16discard_iteratorINSA_11use_defaultEEEEEENSH_IJSG_SG_EEES6_PlJ7is_evenIxEEEE10hipError_tPvRmT3_T4_T5_T6_T7_T9_mT8_P12ihipStream_tbDpT10_ENKUlT_T0_E_clISt17integral_constantIbLb1EES19_EEDaS14_S15_EUlS14_E_NS1_11comp_targetILNS1_3genE2ELNS1_11target_archE906ELNS1_3gpuE6ELNS1_3repE0EEENS1_30default_config_static_selectorELNS0_4arch9wavefront6targetE1EEEvT1_
	.p2align	8
	.type	_ZN7rocprim17ROCPRIM_400000_NS6detail17trampoline_kernelINS0_14default_configENS1_25partition_config_selectorILNS1_17partition_subalgoE0ExNS0_10empty_typeEbEEZZNS1_14partition_implILS5_0ELb0ES3_jN6thrust23THRUST_200600_302600_NS6detail15normal_iteratorINSA_10device_ptrIxEEEEPS6_SG_NS0_5tupleIJSF_NSA_16discard_iteratorINSA_11use_defaultEEEEEENSH_IJSG_SG_EEES6_PlJ7is_evenIxEEEE10hipError_tPvRmT3_T4_T5_T6_T7_T9_mT8_P12ihipStream_tbDpT10_ENKUlT_T0_E_clISt17integral_constantIbLb1EES19_EEDaS14_S15_EUlS14_E_NS1_11comp_targetILNS1_3genE2ELNS1_11target_archE906ELNS1_3gpuE6ELNS1_3repE0EEENS1_30default_config_static_selectorELNS0_4arch9wavefront6targetE1EEEvT1_,@function
_ZN7rocprim17ROCPRIM_400000_NS6detail17trampoline_kernelINS0_14default_configENS1_25partition_config_selectorILNS1_17partition_subalgoE0ExNS0_10empty_typeEbEEZZNS1_14partition_implILS5_0ELb0ES3_jN6thrust23THRUST_200600_302600_NS6detail15normal_iteratorINSA_10device_ptrIxEEEEPS6_SG_NS0_5tupleIJSF_NSA_16discard_iteratorINSA_11use_defaultEEEEEENSH_IJSG_SG_EEES6_PlJ7is_evenIxEEEE10hipError_tPvRmT3_T4_T5_T6_T7_T9_mT8_P12ihipStream_tbDpT10_ENKUlT_T0_E_clISt17integral_constantIbLb1EES19_EEDaS14_S15_EUlS14_E_NS1_11comp_targetILNS1_3genE2ELNS1_11target_archE906ELNS1_3gpuE6ELNS1_3repE0EEENS1_30default_config_static_selectorELNS0_4arch9wavefront6targetE1EEEvT1_: ; @_ZN7rocprim17ROCPRIM_400000_NS6detail17trampoline_kernelINS0_14default_configENS1_25partition_config_selectorILNS1_17partition_subalgoE0ExNS0_10empty_typeEbEEZZNS1_14partition_implILS5_0ELb0ES3_jN6thrust23THRUST_200600_302600_NS6detail15normal_iteratorINSA_10device_ptrIxEEEEPS6_SG_NS0_5tupleIJSF_NSA_16discard_iteratorINSA_11use_defaultEEEEEENSH_IJSG_SG_EEES6_PlJ7is_evenIxEEEE10hipError_tPvRmT3_T4_T5_T6_T7_T9_mT8_P12ihipStream_tbDpT10_ENKUlT_T0_E_clISt17integral_constantIbLb1EES19_EEDaS14_S15_EUlS14_E_NS1_11comp_targetILNS1_3genE2ELNS1_11target_archE906ELNS1_3gpuE6ELNS1_3repE0EEENS1_30default_config_static_selectorELNS0_4arch9wavefront6targetE1EEEvT1_
; %bb.0:
	.section	.rodata,"a",@progbits
	.p2align	6, 0x0
	.amdhsa_kernel _ZN7rocprim17ROCPRIM_400000_NS6detail17trampoline_kernelINS0_14default_configENS1_25partition_config_selectorILNS1_17partition_subalgoE0ExNS0_10empty_typeEbEEZZNS1_14partition_implILS5_0ELb0ES3_jN6thrust23THRUST_200600_302600_NS6detail15normal_iteratorINSA_10device_ptrIxEEEEPS6_SG_NS0_5tupleIJSF_NSA_16discard_iteratorINSA_11use_defaultEEEEEENSH_IJSG_SG_EEES6_PlJ7is_evenIxEEEE10hipError_tPvRmT3_T4_T5_T6_T7_T9_mT8_P12ihipStream_tbDpT10_ENKUlT_T0_E_clISt17integral_constantIbLb1EES19_EEDaS14_S15_EUlS14_E_NS1_11comp_targetILNS1_3genE2ELNS1_11target_archE906ELNS1_3gpuE6ELNS1_3repE0EEENS1_30default_config_static_selectorELNS0_4arch9wavefront6targetE1EEEvT1_
		.amdhsa_group_segment_fixed_size 0
		.amdhsa_private_segment_fixed_size 0
		.amdhsa_kernarg_size 144
		.amdhsa_user_sgpr_count 2
		.amdhsa_user_sgpr_dispatch_ptr 0
		.amdhsa_user_sgpr_queue_ptr 0
		.amdhsa_user_sgpr_kernarg_segment_ptr 1
		.amdhsa_user_sgpr_dispatch_id 0
		.amdhsa_user_sgpr_kernarg_preload_length 0
		.amdhsa_user_sgpr_kernarg_preload_offset 0
		.amdhsa_user_sgpr_private_segment_size 0
		.amdhsa_uses_dynamic_stack 0
		.amdhsa_enable_private_segment 0
		.amdhsa_system_sgpr_workgroup_id_x 1
		.amdhsa_system_sgpr_workgroup_id_y 0
		.amdhsa_system_sgpr_workgroup_id_z 0
		.amdhsa_system_sgpr_workgroup_info 0
		.amdhsa_system_vgpr_workitem_id 0
		.amdhsa_next_free_vgpr 1
		.amdhsa_next_free_sgpr 0
		.amdhsa_accum_offset 4
		.amdhsa_reserve_vcc 0
		.amdhsa_float_round_mode_32 0
		.amdhsa_float_round_mode_16_64 0
		.amdhsa_float_denorm_mode_32 3
		.amdhsa_float_denorm_mode_16_64 3
		.amdhsa_dx10_clamp 1
		.amdhsa_ieee_mode 1
		.amdhsa_fp16_overflow 0
		.amdhsa_tg_split 0
		.amdhsa_exception_fp_ieee_invalid_op 0
		.amdhsa_exception_fp_denorm_src 0
		.amdhsa_exception_fp_ieee_div_zero 0
		.amdhsa_exception_fp_ieee_overflow 0
		.amdhsa_exception_fp_ieee_underflow 0
		.amdhsa_exception_fp_ieee_inexact 0
		.amdhsa_exception_int_div_zero 0
	.end_amdhsa_kernel
	.section	.text._ZN7rocprim17ROCPRIM_400000_NS6detail17trampoline_kernelINS0_14default_configENS1_25partition_config_selectorILNS1_17partition_subalgoE0ExNS0_10empty_typeEbEEZZNS1_14partition_implILS5_0ELb0ES3_jN6thrust23THRUST_200600_302600_NS6detail15normal_iteratorINSA_10device_ptrIxEEEEPS6_SG_NS0_5tupleIJSF_NSA_16discard_iteratorINSA_11use_defaultEEEEEENSH_IJSG_SG_EEES6_PlJ7is_evenIxEEEE10hipError_tPvRmT3_T4_T5_T6_T7_T9_mT8_P12ihipStream_tbDpT10_ENKUlT_T0_E_clISt17integral_constantIbLb1EES19_EEDaS14_S15_EUlS14_E_NS1_11comp_targetILNS1_3genE2ELNS1_11target_archE906ELNS1_3gpuE6ELNS1_3repE0EEENS1_30default_config_static_selectorELNS0_4arch9wavefront6targetE1EEEvT1_,"axG",@progbits,_ZN7rocprim17ROCPRIM_400000_NS6detail17trampoline_kernelINS0_14default_configENS1_25partition_config_selectorILNS1_17partition_subalgoE0ExNS0_10empty_typeEbEEZZNS1_14partition_implILS5_0ELb0ES3_jN6thrust23THRUST_200600_302600_NS6detail15normal_iteratorINSA_10device_ptrIxEEEEPS6_SG_NS0_5tupleIJSF_NSA_16discard_iteratorINSA_11use_defaultEEEEEENSH_IJSG_SG_EEES6_PlJ7is_evenIxEEEE10hipError_tPvRmT3_T4_T5_T6_T7_T9_mT8_P12ihipStream_tbDpT10_ENKUlT_T0_E_clISt17integral_constantIbLb1EES19_EEDaS14_S15_EUlS14_E_NS1_11comp_targetILNS1_3genE2ELNS1_11target_archE906ELNS1_3gpuE6ELNS1_3repE0EEENS1_30default_config_static_selectorELNS0_4arch9wavefront6targetE1EEEvT1_,comdat
.Lfunc_end2631:
	.size	_ZN7rocprim17ROCPRIM_400000_NS6detail17trampoline_kernelINS0_14default_configENS1_25partition_config_selectorILNS1_17partition_subalgoE0ExNS0_10empty_typeEbEEZZNS1_14partition_implILS5_0ELb0ES3_jN6thrust23THRUST_200600_302600_NS6detail15normal_iteratorINSA_10device_ptrIxEEEEPS6_SG_NS0_5tupleIJSF_NSA_16discard_iteratorINSA_11use_defaultEEEEEENSH_IJSG_SG_EEES6_PlJ7is_evenIxEEEE10hipError_tPvRmT3_T4_T5_T6_T7_T9_mT8_P12ihipStream_tbDpT10_ENKUlT_T0_E_clISt17integral_constantIbLb1EES19_EEDaS14_S15_EUlS14_E_NS1_11comp_targetILNS1_3genE2ELNS1_11target_archE906ELNS1_3gpuE6ELNS1_3repE0EEENS1_30default_config_static_selectorELNS0_4arch9wavefront6targetE1EEEvT1_, .Lfunc_end2631-_ZN7rocprim17ROCPRIM_400000_NS6detail17trampoline_kernelINS0_14default_configENS1_25partition_config_selectorILNS1_17partition_subalgoE0ExNS0_10empty_typeEbEEZZNS1_14partition_implILS5_0ELb0ES3_jN6thrust23THRUST_200600_302600_NS6detail15normal_iteratorINSA_10device_ptrIxEEEEPS6_SG_NS0_5tupleIJSF_NSA_16discard_iteratorINSA_11use_defaultEEEEEENSH_IJSG_SG_EEES6_PlJ7is_evenIxEEEE10hipError_tPvRmT3_T4_T5_T6_T7_T9_mT8_P12ihipStream_tbDpT10_ENKUlT_T0_E_clISt17integral_constantIbLb1EES19_EEDaS14_S15_EUlS14_E_NS1_11comp_targetILNS1_3genE2ELNS1_11target_archE906ELNS1_3gpuE6ELNS1_3repE0EEENS1_30default_config_static_selectorELNS0_4arch9wavefront6targetE1EEEvT1_
                                        ; -- End function
	.section	.AMDGPU.csdata,"",@progbits
; Kernel info:
; codeLenInByte = 0
; NumSgprs: 6
; NumVgprs: 0
; NumAgprs: 0
; TotalNumVgprs: 0
; ScratchSize: 0
; MemoryBound: 0
; FloatMode: 240
; IeeeMode: 1
; LDSByteSize: 0 bytes/workgroup (compile time only)
; SGPRBlocks: 0
; VGPRBlocks: 0
; NumSGPRsForWavesPerEU: 6
; NumVGPRsForWavesPerEU: 1
; AccumOffset: 4
; Occupancy: 8
; WaveLimiterHint : 0
; COMPUTE_PGM_RSRC2:SCRATCH_EN: 0
; COMPUTE_PGM_RSRC2:USER_SGPR: 2
; COMPUTE_PGM_RSRC2:TRAP_HANDLER: 0
; COMPUTE_PGM_RSRC2:TGID_X_EN: 1
; COMPUTE_PGM_RSRC2:TGID_Y_EN: 0
; COMPUTE_PGM_RSRC2:TGID_Z_EN: 0
; COMPUTE_PGM_RSRC2:TIDIG_COMP_CNT: 0
; COMPUTE_PGM_RSRC3_GFX90A:ACCUM_OFFSET: 0
; COMPUTE_PGM_RSRC3_GFX90A:TG_SPLIT: 0
	.section	.text._ZN7rocprim17ROCPRIM_400000_NS6detail17trampoline_kernelINS0_14default_configENS1_25partition_config_selectorILNS1_17partition_subalgoE0ExNS0_10empty_typeEbEEZZNS1_14partition_implILS5_0ELb0ES3_jN6thrust23THRUST_200600_302600_NS6detail15normal_iteratorINSA_10device_ptrIxEEEEPS6_SG_NS0_5tupleIJSF_NSA_16discard_iteratorINSA_11use_defaultEEEEEENSH_IJSG_SG_EEES6_PlJ7is_evenIxEEEE10hipError_tPvRmT3_T4_T5_T6_T7_T9_mT8_P12ihipStream_tbDpT10_ENKUlT_T0_E_clISt17integral_constantIbLb1EES19_EEDaS14_S15_EUlS14_E_NS1_11comp_targetILNS1_3genE10ELNS1_11target_archE1200ELNS1_3gpuE4ELNS1_3repE0EEENS1_30default_config_static_selectorELNS0_4arch9wavefront6targetE1EEEvT1_,"axG",@progbits,_ZN7rocprim17ROCPRIM_400000_NS6detail17trampoline_kernelINS0_14default_configENS1_25partition_config_selectorILNS1_17partition_subalgoE0ExNS0_10empty_typeEbEEZZNS1_14partition_implILS5_0ELb0ES3_jN6thrust23THRUST_200600_302600_NS6detail15normal_iteratorINSA_10device_ptrIxEEEEPS6_SG_NS0_5tupleIJSF_NSA_16discard_iteratorINSA_11use_defaultEEEEEENSH_IJSG_SG_EEES6_PlJ7is_evenIxEEEE10hipError_tPvRmT3_T4_T5_T6_T7_T9_mT8_P12ihipStream_tbDpT10_ENKUlT_T0_E_clISt17integral_constantIbLb1EES19_EEDaS14_S15_EUlS14_E_NS1_11comp_targetILNS1_3genE10ELNS1_11target_archE1200ELNS1_3gpuE4ELNS1_3repE0EEENS1_30default_config_static_selectorELNS0_4arch9wavefront6targetE1EEEvT1_,comdat
	.protected	_ZN7rocprim17ROCPRIM_400000_NS6detail17trampoline_kernelINS0_14default_configENS1_25partition_config_selectorILNS1_17partition_subalgoE0ExNS0_10empty_typeEbEEZZNS1_14partition_implILS5_0ELb0ES3_jN6thrust23THRUST_200600_302600_NS6detail15normal_iteratorINSA_10device_ptrIxEEEEPS6_SG_NS0_5tupleIJSF_NSA_16discard_iteratorINSA_11use_defaultEEEEEENSH_IJSG_SG_EEES6_PlJ7is_evenIxEEEE10hipError_tPvRmT3_T4_T5_T6_T7_T9_mT8_P12ihipStream_tbDpT10_ENKUlT_T0_E_clISt17integral_constantIbLb1EES19_EEDaS14_S15_EUlS14_E_NS1_11comp_targetILNS1_3genE10ELNS1_11target_archE1200ELNS1_3gpuE4ELNS1_3repE0EEENS1_30default_config_static_selectorELNS0_4arch9wavefront6targetE1EEEvT1_ ; -- Begin function _ZN7rocprim17ROCPRIM_400000_NS6detail17trampoline_kernelINS0_14default_configENS1_25partition_config_selectorILNS1_17partition_subalgoE0ExNS0_10empty_typeEbEEZZNS1_14partition_implILS5_0ELb0ES3_jN6thrust23THRUST_200600_302600_NS6detail15normal_iteratorINSA_10device_ptrIxEEEEPS6_SG_NS0_5tupleIJSF_NSA_16discard_iteratorINSA_11use_defaultEEEEEENSH_IJSG_SG_EEES6_PlJ7is_evenIxEEEE10hipError_tPvRmT3_T4_T5_T6_T7_T9_mT8_P12ihipStream_tbDpT10_ENKUlT_T0_E_clISt17integral_constantIbLb1EES19_EEDaS14_S15_EUlS14_E_NS1_11comp_targetILNS1_3genE10ELNS1_11target_archE1200ELNS1_3gpuE4ELNS1_3repE0EEENS1_30default_config_static_selectorELNS0_4arch9wavefront6targetE1EEEvT1_
	.globl	_ZN7rocprim17ROCPRIM_400000_NS6detail17trampoline_kernelINS0_14default_configENS1_25partition_config_selectorILNS1_17partition_subalgoE0ExNS0_10empty_typeEbEEZZNS1_14partition_implILS5_0ELb0ES3_jN6thrust23THRUST_200600_302600_NS6detail15normal_iteratorINSA_10device_ptrIxEEEEPS6_SG_NS0_5tupleIJSF_NSA_16discard_iteratorINSA_11use_defaultEEEEEENSH_IJSG_SG_EEES6_PlJ7is_evenIxEEEE10hipError_tPvRmT3_T4_T5_T6_T7_T9_mT8_P12ihipStream_tbDpT10_ENKUlT_T0_E_clISt17integral_constantIbLb1EES19_EEDaS14_S15_EUlS14_E_NS1_11comp_targetILNS1_3genE10ELNS1_11target_archE1200ELNS1_3gpuE4ELNS1_3repE0EEENS1_30default_config_static_selectorELNS0_4arch9wavefront6targetE1EEEvT1_
	.p2align	8
	.type	_ZN7rocprim17ROCPRIM_400000_NS6detail17trampoline_kernelINS0_14default_configENS1_25partition_config_selectorILNS1_17partition_subalgoE0ExNS0_10empty_typeEbEEZZNS1_14partition_implILS5_0ELb0ES3_jN6thrust23THRUST_200600_302600_NS6detail15normal_iteratorINSA_10device_ptrIxEEEEPS6_SG_NS0_5tupleIJSF_NSA_16discard_iteratorINSA_11use_defaultEEEEEENSH_IJSG_SG_EEES6_PlJ7is_evenIxEEEE10hipError_tPvRmT3_T4_T5_T6_T7_T9_mT8_P12ihipStream_tbDpT10_ENKUlT_T0_E_clISt17integral_constantIbLb1EES19_EEDaS14_S15_EUlS14_E_NS1_11comp_targetILNS1_3genE10ELNS1_11target_archE1200ELNS1_3gpuE4ELNS1_3repE0EEENS1_30default_config_static_selectorELNS0_4arch9wavefront6targetE1EEEvT1_,@function
_ZN7rocprim17ROCPRIM_400000_NS6detail17trampoline_kernelINS0_14default_configENS1_25partition_config_selectorILNS1_17partition_subalgoE0ExNS0_10empty_typeEbEEZZNS1_14partition_implILS5_0ELb0ES3_jN6thrust23THRUST_200600_302600_NS6detail15normal_iteratorINSA_10device_ptrIxEEEEPS6_SG_NS0_5tupleIJSF_NSA_16discard_iteratorINSA_11use_defaultEEEEEENSH_IJSG_SG_EEES6_PlJ7is_evenIxEEEE10hipError_tPvRmT3_T4_T5_T6_T7_T9_mT8_P12ihipStream_tbDpT10_ENKUlT_T0_E_clISt17integral_constantIbLb1EES19_EEDaS14_S15_EUlS14_E_NS1_11comp_targetILNS1_3genE10ELNS1_11target_archE1200ELNS1_3gpuE4ELNS1_3repE0EEENS1_30default_config_static_selectorELNS0_4arch9wavefront6targetE1EEEvT1_: ; @_ZN7rocprim17ROCPRIM_400000_NS6detail17trampoline_kernelINS0_14default_configENS1_25partition_config_selectorILNS1_17partition_subalgoE0ExNS0_10empty_typeEbEEZZNS1_14partition_implILS5_0ELb0ES3_jN6thrust23THRUST_200600_302600_NS6detail15normal_iteratorINSA_10device_ptrIxEEEEPS6_SG_NS0_5tupleIJSF_NSA_16discard_iteratorINSA_11use_defaultEEEEEENSH_IJSG_SG_EEES6_PlJ7is_evenIxEEEE10hipError_tPvRmT3_T4_T5_T6_T7_T9_mT8_P12ihipStream_tbDpT10_ENKUlT_T0_E_clISt17integral_constantIbLb1EES19_EEDaS14_S15_EUlS14_E_NS1_11comp_targetILNS1_3genE10ELNS1_11target_archE1200ELNS1_3gpuE4ELNS1_3repE0EEENS1_30default_config_static_selectorELNS0_4arch9wavefront6targetE1EEEvT1_
; %bb.0:
	.section	.rodata,"a",@progbits
	.p2align	6, 0x0
	.amdhsa_kernel _ZN7rocprim17ROCPRIM_400000_NS6detail17trampoline_kernelINS0_14default_configENS1_25partition_config_selectorILNS1_17partition_subalgoE0ExNS0_10empty_typeEbEEZZNS1_14partition_implILS5_0ELb0ES3_jN6thrust23THRUST_200600_302600_NS6detail15normal_iteratorINSA_10device_ptrIxEEEEPS6_SG_NS0_5tupleIJSF_NSA_16discard_iteratorINSA_11use_defaultEEEEEENSH_IJSG_SG_EEES6_PlJ7is_evenIxEEEE10hipError_tPvRmT3_T4_T5_T6_T7_T9_mT8_P12ihipStream_tbDpT10_ENKUlT_T0_E_clISt17integral_constantIbLb1EES19_EEDaS14_S15_EUlS14_E_NS1_11comp_targetILNS1_3genE10ELNS1_11target_archE1200ELNS1_3gpuE4ELNS1_3repE0EEENS1_30default_config_static_selectorELNS0_4arch9wavefront6targetE1EEEvT1_
		.amdhsa_group_segment_fixed_size 0
		.amdhsa_private_segment_fixed_size 0
		.amdhsa_kernarg_size 144
		.amdhsa_user_sgpr_count 2
		.amdhsa_user_sgpr_dispatch_ptr 0
		.amdhsa_user_sgpr_queue_ptr 0
		.amdhsa_user_sgpr_kernarg_segment_ptr 1
		.amdhsa_user_sgpr_dispatch_id 0
		.amdhsa_user_sgpr_kernarg_preload_length 0
		.amdhsa_user_sgpr_kernarg_preload_offset 0
		.amdhsa_user_sgpr_private_segment_size 0
		.amdhsa_uses_dynamic_stack 0
		.amdhsa_enable_private_segment 0
		.amdhsa_system_sgpr_workgroup_id_x 1
		.amdhsa_system_sgpr_workgroup_id_y 0
		.amdhsa_system_sgpr_workgroup_id_z 0
		.amdhsa_system_sgpr_workgroup_info 0
		.amdhsa_system_vgpr_workitem_id 0
		.amdhsa_next_free_vgpr 1
		.amdhsa_next_free_sgpr 0
		.amdhsa_accum_offset 4
		.amdhsa_reserve_vcc 0
		.amdhsa_float_round_mode_32 0
		.amdhsa_float_round_mode_16_64 0
		.amdhsa_float_denorm_mode_32 3
		.amdhsa_float_denorm_mode_16_64 3
		.amdhsa_dx10_clamp 1
		.amdhsa_ieee_mode 1
		.amdhsa_fp16_overflow 0
		.amdhsa_tg_split 0
		.amdhsa_exception_fp_ieee_invalid_op 0
		.amdhsa_exception_fp_denorm_src 0
		.amdhsa_exception_fp_ieee_div_zero 0
		.amdhsa_exception_fp_ieee_overflow 0
		.amdhsa_exception_fp_ieee_underflow 0
		.amdhsa_exception_fp_ieee_inexact 0
		.amdhsa_exception_int_div_zero 0
	.end_amdhsa_kernel
	.section	.text._ZN7rocprim17ROCPRIM_400000_NS6detail17trampoline_kernelINS0_14default_configENS1_25partition_config_selectorILNS1_17partition_subalgoE0ExNS0_10empty_typeEbEEZZNS1_14partition_implILS5_0ELb0ES3_jN6thrust23THRUST_200600_302600_NS6detail15normal_iteratorINSA_10device_ptrIxEEEEPS6_SG_NS0_5tupleIJSF_NSA_16discard_iteratorINSA_11use_defaultEEEEEENSH_IJSG_SG_EEES6_PlJ7is_evenIxEEEE10hipError_tPvRmT3_T4_T5_T6_T7_T9_mT8_P12ihipStream_tbDpT10_ENKUlT_T0_E_clISt17integral_constantIbLb1EES19_EEDaS14_S15_EUlS14_E_NS1_11comp_targetILNS1_3genE10ELNS1_11target_archE1200ELNS1_3gpuE4ELNS1_3repE0EEENS1_30default_config_static_selectorELNS0_4arch9wavefront6targetE1EEEvT1_,"axG",@progbits,_ZN7rocprim17ROCPRIM_400000_NS6detail17trampoline_kernelINS0_14default_configENS1_25partition_config_selectorILNS1_17partition_subalgoE0ExNS0_10empty_typeEbEEZZNS1_14partition_implILS5_0ELb0ES3_jN6thrust23THRUST_200600_302600_NS6detail15normal_iteratorINSA_10device_ptrIxEEEEPS6_SG_NS0_5tupleIJSF_NSA_16discard_iteratorINSA_11use_defaultEEEEEENSH_IJSG_SG_EEES6_PlJ7is_evenIxEEEE10hipError_tPvRmT3_T4_T5_T6_T7_T9_mT8_P12ihipStream_tbDpT10_ENKUlT_T0_E_clISt17integral_constantIbLb1EES19_EEDaS14_S15_EUlS14_E_NS1_11comp_targetILNS1_3genE10ELNS1_11target_archE1200ELNS1_3gpuE4ELNS1_3repE0EEENS1_30default_config_static_selectorELNS0_4arch9wavefront6targetE1EEEvT1_,comdat
.Lfunc_end2632:
	.size	_ZN7rocprim17ROCPRIM_400000_NS6detail17trampoline_kernelINS0_14default_configENS1_25partition_config_selectorILNS1_17partition_subalgoE0ExNS0_10empty_typeEbEEZZNS1_14partition_implILS5_0ELb0ES3_jN6thrust23THRUST_200600_302600_NS6detail15normal_iteratorINSA_10device_ptrIxEEEEPS6_SG_NS0_5tupleIJSF_NSA_16discard_iteratorINSA_11use_defaultEEEEEENSH_IJSG_SG_EEES6_PlJ7is_evenIxEEEE10hipError_tPvRmT3_T4_T5_T6_T7_T9_mT8_P12ihipStream_tbDpT10_ENKUlT_T0_E_clISt17integral_constantIbLb1EES19_EEDaS14_S15_EUlS14_E_NS1_11comp_targetILNS1_3genE10ELNS1_11target_archE1200ELNS1_3gpuE4ELNS1_3repE0EEENS1_30default_config_static_selectorELNS0_4arch9wavefront6targetE1EEEvT1_, .Lfunc_end2632-_ZN7rocprim17ROCPRIM_400000_NS6detail17trampoline_kernelINS0_14default_configENS1_25partition_config_selectorILNS1_17partition_subalgoE0ExNS0_10empty_typeEbEEZZNS1_14partition_implILS5_0ELb0ES3_jN6thrust23THRUST_200600_302600_NS6detail15normal_iteratorINSA_10device_ptrIxEEEEPS6_SG_NS0_5tupleIJSF_NSA_16discard_iteratorINSA_11use_defaultEEEEEENSH_IJSG_SG_EEES6_PlJ7is_evenIxEEEE10hipError_tPvRmT3_T4_T5_T6_T7_T9_mT8_P12ihipStream_tbDpT10_ENKUlT_T0_E_clISt17integral_constantIbLb1EES19_EEDaS14_S15_EUlS14_E_NS1_11comp_targetILNS1_3genE10ELNS1_11target_archE1200ELNS1_3gpuE4ELNS1_3repE0EEENS1_30default_config_static_selectorELNS0_4arch9wavefront6targetE1EEEvT1_
                                        ; -- End function
	.section	.AMDGPU.csdata,"",@progbits
; Kernel info:
; codeLenInByte = 0
; NumSgprs: 6
; NumVgprs: 0
; NumAgprs: 0
; TotalNumVgprs: 0
; ScratchSize: 0
; MemoryBound: 0
; FloatMode: 240
; IeeeMode: 1
; LDSByteSize: 0 bytes/workgroup (compile time only)
; SGPRBlocks: 0
; VGPRBlocks: 0
; NumSGPRsForWavesPerEU: 6
; NumVGPRsForWavesPerEU: 1
; AccumOffset: 4
; Occupancy: 8
; WaveLimiterHint : 0
; COMPUTE_PGM_RSRC2:SCRATCH_EN: 0
; COMPUTE_PGM_RSRC2:USER_SGPR: 2
; COMPUTE_PGM_RSRC2:TRAP_HANDLER: 0
; COMPUTE_PGM_RSRC2:TGID_X_EN: 1
; COMPUTE_PGM_RSRC2:TGID_Y_EN: 0
; COMPUTE_PGM_RSRC2:TGID_Z_EN: 0
; COMPUTE_PGM_RSRC2:TIDIG_COMP_CNT: 0
; COMPUTE_PGM_RSRC3_GFX90A:ACCUM_OFFSET: 0
; COMPUTE_PGM_RSRC3_GFX90A:TG_SPLIT: 0
	.section	.text._ZN7rocprim17ROCPRIM_400000_NS6detail17trampoline_kernelINS0_14default_configENS1_25partition_config_selectorILNS1_17partition_subalgoE0ExNS0_10empty_typeEbEEZZNS1_14partition_implILS5_0ELb0ES3_jN6thrust23THRUST_200600_302600_NS6detail15normal_iteratorINSA_10device_ptrIxEEEEPS6_SG_NS0_5tupleIJSF_NSA_16discard_iteratorINSA_11use_defaultEEEEEENSH_IJSG_SG_EEES6_PlJ7is_evenIxEEEE10hipError_tPvRmT3_T4_T5_T6_T7_T9_mT8_P12ihipStream_tbDpT10_ENKUlT_T0_E_clISt17integral_constantIbLb1EES19_EEDaS14_S15_EUlS14_E_NS1_11comp_targetILNS1_3genE9ELNS1_11target_archE1100ELNS1_3gpuE3ELNS1_3repE0EEENS1_30default_config_static_selectorELNS0_4arch9wavefront6targetE1EEEvT1_,"axG",@progbits,_ZN7rocprim17ROCPRIM_400000_NS6detail17trampoline_kernelINS0_14default_configENS1_25partition_config_selectorILNS1_17partition_subalgoE0ExNS0_10empty_typeEbEEZZNS1_14partition_implILS5_0ELb0ES3_jN6thrust23THRUST_200600_302600_NS6detail15normal_iteratorINSA_10device_ptrIxEEEEPS6_SG_NS0_5tupleIJSF_NSA_16discard_iteratorINSA_11use_defaultEEEEEENSH_IJSG_SG_EEES6_PlJ7is_evenIxEEEE10hipError_tPvRmT3_T4_T5_T6_T7_T9_mT8_P12ihipStream_tbDpT10_ENKUlT_T0_E_clISt17integral_constantIbLb1EES19_EEDaS14_S15_EUlS14_E_NS1_11comp_targetILNS1_3genE9ELNS1_11target_archE1100ELNS1_3gpuE3ELNS1_3repE0EEENS1_30default_config_static_selectorELNS0_4arch9wavefront6targetE1EEEvT1_,comdat
	.protected	_ZN7rocprim17ROCPRIM_400000_NS6detail17trampoline_kernelINS0_14default_configENS1_25partition_config_selectorILNS1_17partition_subalgoE0ExNS0_10empty_typeEbEEZZNS1_14partition_implILS5_0ELb0ES3_jN6thrust23THRUST_200600_302600_NS6detail15normal_iteratorINSA_10device_ptrIxEEEEPS6_SG_NS0_5tupleIJSF_NSA_16discard_iteratorINSA_11use_defaultEEEEEENSH_IJSG_SG_EEES6_PlJ7is_evenIxEEEE10hipError_tPvRmT3_T4_T5_T6_T7_T9_mT8_P12ihipStream_tbDpT10_ENKUlT_T0_E_clISt17integral_constantIbLb1EES19_EEDaS14_S15_EUlS14_E_NS1_11comp_targetILNS1_3genE9ELNS1_11target_archE1100ELNS1_3gpuE3ELNS1_3repE0EEENS1_30default_config_static_selectorELNS0_4arch9wavefront6targetE1EEEvT1_ ; -- Begin function _ZN7rocprim17ROCPRIM_400000_NS6detail17trampoline_kernelINS0_14default_configENS1_25partition_config_selectorILNS1_17partition_subalgoE0ExNS0_10empty_typeEbEEZZNS1_14partition_implILS5_0ELb0ES3_jN6thrust23THRUST_200600_302600_NS6detail15normal_iteratorINSA_10device_ptrIxEEEEPS6_SG_NS0_5tupleIJSF_NSA_16discard_iteratorINSA_11use_defaultEEEEEENSH_IJSG_SG_EEES6_PlJ7is_evenIxEEEE10hipError_tPvRmT3_T4_T5_T6_T7_T9_mT8_P12ihipStream_tbDpT10_ENKUlT_T0_E_clISt17integral_constantIbLb1EES19_EEDaS14_S15_EUlS14_E_NS1_11comp_targetILNS1_3genE9ELNS1_11target_archE1100ELNS1_3gpuE3ELNS1_3repE0EEENS1_30default_config_static_selectorELNS0_4arch9wavefront6targetE1EEEvT1_
	.globl	_ZN7rocprim17ROCPRIM_400000_NS6detail17trampoline_kernelINS0_14default_configENS1_25partition_config_selectorILNS1_17partition_subalgoE0ExNS0_10empty_typeEbEEZZNS1_14partition_implILS5_0ELb0ES3_jN6thrust23THRUST_200600_302600_NS6detail15normal_iteratorINSA_10device_ptrIxEEEEPS6_SG_NS0_5tupleIJSF_NSA_16discard_iteratorINSA_11use_defaultEEEEEENSH_IJSG_SG_EEES6_PlJ7is_evenIxEEEE10hipError_tPvRmT3_T4_T5_T6_T7_T9_mT8_P12ihipStream_tbDpT10_ENKUlT_T0_E_clISt17integral_constantIbLb1EES19_EEDaS14_S15_EUlS14_E_NS1_11comp_targetILNS1_3genE9ELNS1_11target_archE1100ELNS1_3gpuE3ELNS1_3repE0EEENS1_30default_config_static_selectorELNS0_4arch9wavefront6targetE1EEEvT1_
	.p2align	8
	.type	_ZN7rocprim17ROCPRIM_400000_NS6detail17trampoline_kernelINS0_14default_configENS1_25partition_config_selectorILNS1_17partition_subalgoE0ExNS0_10empty_typeEbEEZZNS1_14partition_implILS5_0ELb0ES3_jN6thrust23THRUST_200600_302600_NS6detail15normal_iteratorINSA_10device_ptrIxEEEEPS6_SG_NS0_5tupleIJSF_NSA_16discard_iteratorINSA_11use_defaultEEEEEENSH_IJSG_SG_EEES6_PlJ7is_evenIxEEEE10hipError_tPvRmT3_T4_T5_T6_T7_T9_mT8_P12ihipStream_tbDpT10_ENKUlT_T0_E_clISt17integral_constantIbLb1EES19_EEDaS14_S15_EUlS14_E_NS1_11comp_targetILNS1_3genE9ELNS1_11target_archE1100ELNS1_3gpuE3ELNS1_3repE0EEENS1_30default_config_static_selectorELNS0_4arch9wavefront6targetE1EEEvT1_,@function
_ZN7rocprim17ROCPRIM_400000_NS6detail17trampoline_kernelINS0_14default_configENS1_25partition_config_selectorILNS1_17partition_subalgoE0ExNS0_10empty_typeEbEEZZNS1_14partition_implILS5_0ELb0ES3_jN6thrust23THRUST_200600_302600_NS6detail15normal_iteratorINSA_10device_ptrIxEEEEPS6_SG_NS0_5tupleIJSF_NSA_16discard_iteratorINSA_11use_defaultEEEEEENSH_IJSG_SG_EEES6_PlJ7is_evenIxEEEE10hipError_tPvRmT3_T4_T5_T6_T7_T9_mT8_P12ihipStream_tbDpT10_ENKUlT_T0_E_clISt17integral_constantIbLb1EES19_EEDaS14_S15_EUlS14_E_NS1_11comp_targetILNS1_3genE9ELNS1_11target_archE1100ELNS1_3gpuE3ELNS1_3repE0EEENS1_30default_config_static_selectorELNS0_4arch9wavefront6targetE1EEEvT1_: ; @_ZN7rocprim17ROCPRIM_400000_NS6detail17trampoline_kernelINS0_14default_configENS1_25partition_config_selectorILNS1_17partition_subalgoE0ExNS0_10empty_typeEbEEZZNS1_14partition_implILS5_0ELb0ES3_jN6thrust23THRUST_200600_302600_NS6detail15normal_iteratorINSA_10device_ptrIxEEEEPS6_SG_NS0_5tupleIJSF_NSA_16discard_iteratorINSA_11use_defaultEEEEEENSH_IJSG_SG_EEES6_PlJ7is_evenIxEEEE10hipError_tPvRmT3_T4_T5_T6_T7_T9_mT8_P12ihipStream_tbDpT10_ENKUlT_T0_E_clISt17integral_constantIbLb1EES19_EEDaS14_S15_EUlS14_E_NS1_11comp_targetILNS1_3genE9ELNS1_11target_archE1100ELNS1_3gpuE3ELNS1_3repE0EEENS1_30default_config_static_selectorELNS0_4arch9wavefront6targetE1EEEvT1_
; %bb.0:
	.section	.rodata,"a",@progbits
	.p2align	6, 0x0
	.amdhsa_kernel _ZN7rocprim17ROCPRIM_400000_NS6detail17trampoline_kernelINS0_14default_configENS1_25partition_config_selectorILNS1_17partition_subalgoE0ExNS0_10empty_typeEbEEZZNS1_14partition_implILS5_0ELb0ES3_jN6thrust23THRUST_200600_302600_NS6detail15normal_iteratorINSA_10device_ptrIxEEEEPS6_SG_NS0_5tupleIJSF_NSA_16discard_iteratorINSA_11use_defaultEEEEEENSH_IJSG_SG_EEES6_PlJ7is_evenIxEEEE10hipError_tPvRmT3_T4_T5_T6_T7_T9_mT8_P12ihipStream_tbDpT10_ENKUlT_T0_E_clISt17integral_constantIbLb1EES19_EEDaS14_S15_EUlS14_E_NS1_11comp_targetILNS1_3genE9ELNS1_11target_archE1100ELNS1_3gpuE3ELNS1_3repE0EEENS1_30default_config_static_selectorELNS0_4arch9wavefront6targetE1EEEvT1_
		.amdhsa_group_segment_fixed_size 0
		.amdhsa_private_segment_fixed_size 0
		.amdhsa_kernarg_size 144
		.amdhsa_user_sgpr_count 2
		.amdhsa_user_sgpr_dispatch_ptr 0
		.amdhsa_user_sgpr_queue_ptr 0
		.amdhsa_user_sgpr_kernarg_segment_ptr 1
		.amdhsa_user_sgpr_dispatch_id 0
		.amdhsa_user_sgpr_kernarg_preload_length 0
		.amdhsa_user_sgpr_kernarg_preload_offset 0
		.amdhsa_user_sgpr_private_segment_size 0
		.amdhsa_uses_dynamic_stack 0
		.amdhsa_enable_private_segment 0
		.amdhsa_system_sgpr_workgroup_id_x 1
		.amdhsa_system_sgpr_workgroup_id_y 0
		.amdhsa_system_sgpr_workgroup_id_z 0
		.amdhsa_system_sgpr_workgroup_info 0
		.amdhsa_system_vgpr_workitem_id 0
		.amdhsa_next_free_vgpr 1
		.amdhsa_next_free_sgpr 0
		.amdhsa_accum_offset 4
		.amdhsa_reserve_vcc 0
		.amdhsa_float_round_mode_32 0
		.amdhsa_float_round_mode_16_64 0
		.amdhsa_float_denorm_mode_32 3
		.amdhsa_float_denorm_mode_16_64 3
		.amdhsa_dx10_clamp 1
		.amdhsa_ieee_mode 1
		.amdhsa_fp16_overflow 0
		.amdhsa_tg_split 0
		.amdhsa_exception_fp_ieee_invalid_op 0
		.amdhsa_exception_fp_denorm_src 0
		.amdhsa_exception_fp_ieee_div_zero 0
		.amdhsa_exception_fp_ieee_overflow 0
		.amdhsa_exception_fp_ieee_underflow 0
		.amdhsa_exception_fp_ieee_inexact 0
		.amdhsa_exception_int_div_zero 0
	.end_amdhsa_kernel
	.section	.text._ZN7rocprim17ROCPRIM_400000_NS6detail17trampoline_kernelINS0_14default_configENS1_25partition_config_selectorILNS1_17partition_subalgoE0ExNS0_10empty_typeEbEEZZNS1_14partition_implILS5_0ELb0ES3_jN6thrust23THRUST_200600_302600_NS6detail15normal_iteratorINSA_10device_ptrIxEEEEPS6_SG_NS0_5tupleIJSF_NSA_16discard_iteratorINSA_11use_defaultEEEEEENSH_IJSG_SG_EEES6_PlJ7is_evenIxEEEE10hipError_tPvRmT3_T4_T5_T6_T7_T9_mT8_P12ihipStream_tbDpT10_ENKUlT_T0_E_clISt17integral_constantIbLb1EES19_EEDaS14_S15_EUlS14_E_NS1_11comp_targetILNS1_3genE9ELNS1_11target_archE1100ELNS1_3gpuE3ELNS1_3repE0EEENS1_30default_config_static_selectorELNS0_4arch9wavefront6targetE1EEEvT1_,"axG",@progbits,_ZN7rocprim17ROCPRIM_400000_NS6detail17trampoline_kernelINS0_14default_configENS1_25partition_config_selectorILNS1_17partition_subalgoE0ExNS0_10empty_typeEbEEZZNS1_14partition_implILS5_0ELb0ES3_jN6thrust23THRUST_200600_302600_NS6detail15normal_iteratorINSA_10device_ptrIxEEEEPS6_SG_NS0_5tupleIJSF_NSA_16discard_iteratorINSA_11use_defaultEEEEEENSH_IJSG_SG_EEES6_PlJ7is_evenIxEEEE10hipError_tPvRmT3_T4_T5_T6_T7_T9_mT8_P12ihipStream_tbDpT10_ENKUlT_T0_E_clISt17integral_constantIbLb1EES19_EEDaS14_S15_EUlS14_E_NS1_11comp_targetILNS1_3genE9ELNS1_11target_archE1100ELNS1_3gpuE3ELNS1_3repE0EEENS1_30default_config_static_selectorELNS0_4arch9wavefront6targetE1EEEvT1_,comdat
.Lfunc_end2633:
	.size	_ZN7rocprim17ROCPRIM_400000_NS6detail17trampoline_kernelINS0_14default_configENS1_25partition_config_selectorILNS1_17partition_subalgoE0ExNS0_10empty_typeEbEEZZNS1_14partition_implILS5_0ELb0ES3_jN6thrust23THRUST_200600_302600_NS6detail15normal_iteratorINSA_10device_ptrIxEEEEPS6_SG_NS0_5tupleIJSF_NSA_16discard_iteratorINSA_11use_defaultEEEEEENSH_IJSG_SG_EEES6_PlJ7is_evenIxEEEE10hipError_tPvRmT3_T4_T5_T6_T7_T9_mT8_P12ihipStream_tbDpT10_ENKUlT_T0_E_clISt17integral_constantIbLb1EES19_EEDaS14_S15_EUlS14_E_NS1_11comp_targetILNS1_3genE9ELNS1_11target_archE1100ELNS1_3gpuE3ELNS1_3repE0EEENS1_30default_config_static_selectorELNS0_4arch9wavefront6targetE1EEEvT1_, .Lfunc_end2633-_ZN7rocprim17ROCPRIM_400000_NS6detail17trampoline_kernelINS0_14default_configENS1_25partition_config_selectorILNS1_17partition_subalgoE0ExNS0_10empty_typeEbEEZZNS1_14partition_implILS5_0ELb0ES3_jN6thrust23THRUST_200600_302600_NS6detail15normal_iteratorINSA_10device_ptrIxEEEEPS6_SG_NS0_5tupleIJSF_NSA_16discard_iteratorINSA_11use_defaultEEEEEENSH_IJSG_SG_EEES6_PlJ7is_evenIxEEEE10hipError_tPvRmT3_T4_T5_T6_T7_T9_mT8_P12ihipStream_tbDpT10_ENKUlT_T0_E_clISt17integral_constantIbLb1EES19_EEDaS14_S15_EUlS14_E_NS1_11comp_targetILNS1_3genE9ELNS1_11target_archE1100ELNS1_3gpuE3ELNS1_3repE0EEENS1_30default_config_static_selectorELNS0_4arch9wavefront6targetE1EEEvT1_
                                        ; -- End function
	.section	.AMDGPU.csdata,"",@progbits
; Kernel info:
; codeLenInByte = 0
; NumSgprs: 6
; NumVgprs: 0
; NumAgprs: 0
; TotalNumVgprs: 0
; ScratchSize: 0
; MemoryBound: 0
; FloatMode: 240
; IeeeMode: 1
; LDSByteSize: 0 bytes/workgroup (compile time only)
; SGPRBlocks: 0
; VGPRBlocks: 0
; NumSGPRsForWavesPerEU: 6
; NumVGPRsForWavesPerEU: 1
; AccumOffset: 4
; Occupancy: 8
; WaveLimiterHint : 0
; COMPUTE_PGM_RSRC2:SCRATCH_EN: 0
; COMPUTE_PGM_RSRC2:USER_SGPR: 2
; COMPUTE_PGM_RSRC2:TRAP_HANDLER: 0
; COMPUTE_PGM_RSRC2:TGID_X_EN: 1
; COMPUTE_PGM_RSRC2:TGID_Y_EN: 0
; COMPUTE_PGM_RSRC2:TGID_Z_EN: 0
; COMPUTE_PGM_RSRC2:TIDIG_COMP_CNT: 0
; COMPUTE_PGM_RSRC3_GFX90A:ACCUM_OFFSET: 0
; COMPUTE_PGM_RSRC3_GFX90A:TG_SPLIT: 0
	.section	.text._ZN7rocprim17ROCPRIM_400000_NS6detail17trampoline_kernelINS0_14default_configENS1_25partition_config_selectorILNS1_17partition_subalgoE0ExNS0_10empty_typeEbEEZZNS1_14partition_implILS5_0ELb0ES3_jN6thrust23THRUST_200600_302600_NS6detail15normal_iteratorINSA_10device_ptrIxEEEEPS6_SG_NS0_5tupleIJSF_NSA_16discard_iteratorINSA_11use_defaultEEEEEENSH_IJSG_SG_EEES6_PlJ7is_evenIxEEEE10hipError_tPvRmT3_T4_T5_T6_T7_T9_mT8_P12ihipStream_tbDpT10_ENKUlT_T0_E_clISt17integral_constantIbLb1EES19_EEDaS14_S15_EUlS14_E_NS1_11comp_targetILNS1_3genE8ELNS1_11target_archE1030ELNS1_3gpuE2ELNS1_3repE0EEENS1_30default_config_static_selectorELNS0_4arch9wavefront6targetE1EEEvT1_,"axG",@progbits,_ZN7rocprim17ROCPRIM_400000_NS6detail17trampoline_kernelINS0_14default_configENS1_25partition_config_selectorILNS1_17partition_subalgoE0ExNS0_10empty_typeEbEEZZNS1_14partition_implILS5_0ELb0ES3_jN6thrust23THRUST_200600_302600_NS6detail15normal_iteratorINSA_10device_ptrIxEEEEPS6_SG_NS0_5tupleIJSF_NSA_16discard_iteratorINSA_11use_defaultEEEEEENSH_IJSG_SG_EEES6_PlJ7is_evenIxEEEE10hipError_tPvRmT3_T4_T5_T6_T7_T9_mT8_P12ihipStream_tbDpT10_ENKUlT_T0_E_clISt17integral_constantIbLb1EES19_EEDaS14_S15_EUlS14_E_NS1_11comp_targetILNS1_3genE8ELNS1_11target_archE1030ELNS1_3gpuE2ELNS1_3repE0EEENS1_30default_config_static_selectorELNS0_4arch9wavefront6targetE1EEEvT1_,comdat
	.protected	_ZN7rocprim17ROCPRIM_400000_NS6detail17trampoline_kernelINS0_14default_configENS1_25partition_config_selectorILNS1_17partition_subalgoE0ExNS0_10empty_typeEbEEZZNS1_14partition_implILS5_0ELb0ES3_jN6thrust23THRUST_200600_302600_NS6detail15normal_iteratorINSA_10device_ptrIxEEEEPS6_SG_NS0_5tupleIJSF_NSA_16discard_iteratorINSA_11use_defaultEEEEEENSH_IJSG_SG_EEES6_PlJ7is_evenIxEEEE10hipError_tPvRmT3_T4_T5_T6_T7_T9_mT8_P12ihipStream_tbDpT10_ENKUlT_T0_E_clISt17integral_constantIbLb1EES19_EEDaS14_S15_EUlS14_E_NS1_11comp_targetILNS1_3genE8ELNS1_11target_archE1030ELNS1_3gpuE2ELNS1_3repE0EEENS1_30default_config_static_selectorELNS0_4arch9wavefront6targetE1EEEvT1_ ; -- Begin function _ZN7rocprim17ROCPRIM_400000_NS6detail17trampoline_kernelINS0_14default_configENS1_25partition_config_selectorILNS1_17partition_subalgoE0ExNS0_10empty_typeEbEEZZNS1_14partition_implILS5_0ELb0ES3_jN6thrust23THRUST_200600_302600_NS6detail15normal_iteratorINSA_10device_ptrIxEEEEPS6_SG_NS0_5tupleIJSF_NSA_16discard_iteratorINSA_11use_defaultEEEEEENSH_IJSG_SG_EEES6_PlJ7is_evenIxEEEE10hipError_tPvRmT3_T4_T5_T6_T7_T9_mT8_P12ihipStream_tbDpT10_ENKUlT_T0_E_clISt17integral_constantIbLb1EES19_EEDaS14_S15_EUlS14_E_NS1_11comp_targetILNS1_3genE8ELNS1_11target_archE1030ELNS1_3gpuE2ELNS1_3repE0EEENS1_30default_config_static_selectorELNS0_4arch9wavefront6targetE1EEEvT1_
	.globl	_ZN7rocprim17ROCPRIM_400000_NS6detail17trampoline_kernelINS0_14default_configENS1_25partition_config_selectorILNS1_17partition_subalgoE0ExNS0_10empty_typeEbEEZZNS1_14partition_implILS5_0ELb0ES3_jN6thrust23THRUST_200600_302600_NS6detail15normal_iteratorINSA_10device_ptrIxEEEEPS6_SG_NS0_5tupleIJSF_NSA_16discard_iteratorINSA_11use_defaultEEEEEENSH_IJSG_SG_EEES6_PlJ7is_evenIxEEEE10hipError_tPvRmT3_T4_T5_T6_T7_T9_mT8_P12ihipStream_tbDpT10_ENKUlT_T0_E_clISt17integral_constantIbLb1EES19_EEDaS14_S15_EUlS14_E_NS1_11comp_targetILNS1_3genE8ELNS1_11target_archE1030ELNS1_3gpuE2ELNS1_3repE0EEENS1_30default_config_static_selectorELNS0_4arch9wavefront6targetE1EEEvT1_
	.p2align	8
	.type	_ZN7rocprim17ROCPRIM_400000_NS6detail17trampoline_kernelINS0_14default_configENS1_25partition_config_selectorILNS1_17partition_subalgoE0ExNS0_10empty_typeEbEEZZNS1_14partition_implILS5_0ELb0ES3_jN6thrust23THRUST_200600_302600_NS6detail15normal_iteratorINSA_10device_ptrIxEEEEPS6_SG_NS0_5tupleIJSF_NSA_16discard_iteratorINSA_11use_defaultEEEEEENSH_IJSG_SG_EEES6_PlJ7is_evenIxEEEE10hipError_tPvRmT3_T4_T5_T6_T7_T9_mT8_P12ihipStream_tbDpT10_ENKUlT_T0_E_clISt17integral_constantIbLb1EES19_EEDaS14_S15_EUlS14_E_NS1_11comp_targetILNS1_3genE8ELNS1_11target_archE1030ELNS1_3gpuE2ELNS1_3repE0EEENS1_30default_config_static_selectorELNS0_4arch9wavefront6targetE1EEEvT1_,@function
_ZN7rocprim17ROCPRIM_400000_NS6detail17trampoline_kernelINS0_14default_configENS1_25partition_config_selectorILNS1_17partition_subalgoE0ExNS0_10empty_typeEbEEZZNS1_14partition_implILS5_0ELb0ES3_jN6thrust23THRUST_200600_302600_NS6detail15normal_iteratorINSA_10device_ptrIxEEEEPS6_SG_NS0_5tupleIJSF_NSA_16discard_iteratorINSA_11use_defaultEEEEEENSH_IJSG_SG_EEES6_PlJ7is_evenIxEEEE10hipError_tPvRmT3_T4_T5_T6_T7_T9_mT8_P12ihipStream_tbDpT10_ENKUlT_T0_E_clISt17integral_constantIbLb1EES19_EEDaS14_S15_EUlS14_E_NS1_11comp_targetILNS1_3genE8ELNS1_11target_archE1030ELNS1_3gpuE2ELNS1_3repE0EEENS1_30default_config_static_selectorELNS0_4arch9wavefront6targetE1EEEvT1_: ; @_ZN7rocprim17ROCPRIM_400000_NS6detail17trampoline_kernelINS0_14default_configENS1_25partition_config_selectorILNS1_17partition_subalgoE0ExNS0_10empty_typeEbEEZZNS1_14partition_implILS5_0ELb0ES3_jN6thrust23THRUST_200600_302600_NS6detail15normal_iteratorINSA_10device_ptrIxEEEEPS6_SG_NS0_5tupleIJSF_NSA_16discard_iteratorINSA_11use_defaultEEEEEENSH_IJSG_SG_EEES6_PlJ7is_evenIxEEEE10hipError_tPvRmT3_T4_T5_T6_T7_T9_mT8_P12ihipStream_tbDpT10_ENKUlT_T0_E_clISt17integral_constantIbLb1EES19_EEDaS14_S15_EUlS14_E_NS1_11comp_targetILNS1_3genE8ELNS1_11target_archE1030ELNS1_3gpuE2ELNS1_3repE0EEENS1_30default_config_static_selectorELNS0_4arch9wavefront6targetE1EEEvT1_
; %bb.0:
	.section	.rodata,"a",@progbits
	.p2align	6, 0x0
	.amdhsa_kernel _ZN7rocprim17ROCPRIM_400000_NS6detail17trampoline_kernelINS0_14default_configENS1_25partition_config_selectorILNS1_17partition_subalgoE0ExNS0_10empty_typeEbEEZZNS1_14partition_implILS5_0ELb0ES3_jN6thrust23THRUST_200600_302600_NS6detail15normal_iteratorINSA_10device_ptrIxEEEEPS6_SG_NS0_5tupleIJSF_NSA_16discard_iteratorINSA_11use_defaultEEEEEENSH_IJSG_SG_EEES6_PlJ7is_evenIxEEEE10hipError_tPvRmT3_T4_T5_T6_T7_T9_mT8_P12ihipStream_tbDpT10_ENKUlT_T0_E_clISt17integral_constantIbLb1EES19_EEDaS14_S15_EUlS14_E_NS1_11comp_targetILNS1_3genE8ELNS1_11target_archE1030ELNS1_3gpuE2ELNS1_3repE0EEENS1_30default_config_static_selectorELNS0_4arch9wavefront6targetE1EEEvT1_
		.amdhsa_group_segment_fixed_size 0
		.amdhsa_private_segment_fixed_size 0
		.amdhsa_kernarg_size 144
		.amdhsa_user_sgpr_count 2
		.amdhsa_user_sgpr_dispatch_ptr 0
		.amdhsa_user_sgpr_queue_ptr 0
		.amdhsa_user_sgpr_kernarg_segment_ptr 1
		.amdhsa_user_sgpr_dispatch_id 0
		.amdhsa_user_sgpr_kernarg_preload_length 0
		.amdhsa_user_sgpr_kernarg_preload_offset 0
		.amdhsa_user_sgpr_private_segment_size 0
		.amdhsa_uses_dynamic_stack 0
		.amdhsa_enable_private_segment 0
		.amdhsa_system_sgpr_workgroup_id_x 1
		.amdhsa_system_sgpr_workgroup_id_y 0
		.amdhsa_system_sgpr_workgroup_id_z 0
		.amdhsa_system_sgpr_workgroup_info 0
		.amdhsa_system_vgpr_workitem_id 0
		.amdhsa_next_free_vgpr 1
		.amdhsa_next_free_sgpr 0
		.amdhsa_accum_offset 4
		.amdhsa_reserve_vcc 0
		.amdhsa_float_round_mode_32 0
		.amdhsa_float_round_mode_16_64 0
		.amdhsa_float_denorm_mode_32 3
		.amdhsa_float_denorm_mode_16_64 3
		.amdhsa_dx10_clamp 1
		.amdhsa_ieee_mode 1
		.amdhsa_fp16_overflow 0
		.amdhsa_tg_split 0
		.amdhsa_exception_fp_ieee_invalid_op 0
		.amdhsa_exception_fp_denorm_src 0
		.amdhsa_exception_fp_ieee_div_zero 0
		.amdhsa_exception_fp_ieee_overflow 0
		.amdhsa_exception_fp_ieee_underflow 0
		.amdhsa_exception_fp_ieee_inexact 0
		.amdhsa_exception_int_div_zero 0
	.end_amdhsa_kernel
	.section	.text._ZN7rocprim17ROCPRIM_400000_NS6detail17trampoline_kernelINS0_14default_configENS1_25partition_config_selectorILNS1_17partition_subalgoE0ExNS0_10empty_typeEbEEZZNS1_14partition_implILS5_0ELb0ES3_jN6thrust23THRUST_200600_302600_NS6detail15normal_iteratorINSA_10device_ptrIxEEEEPS6_SG_NS0_5tupleIJSF_NSA_16discard_iteratorINSA_11use_defaultEEEEEENSH_IJSG_SG_EEES6_PlJ7is_evenIxEEEE10hipError_tPvRmT3_T4_T5_T6_T7_T9_mT8_P12ihipStream_tbDpT10_ENKUlT_T0_E_clISt17integral_constantIbLb1EES19_EEDaS14_S15_EUlS14_E_NS1_11comp_targetILNS1_3genE8ELNS1_11target_archE1030ELNS1_3gpuE2ELNS1_3repE0EEENS1_30default_config_static_selectorELNS0_4arch9wavefront6targetE1EEEvT1_,"axG",@progbits,_ZN7rocprim17ROCPRIM_400000_NS6detail17trampoline_kernelINS0_14default_configENS1_25partition_config_selectorILNS1_17partition_subalgoE0ExNS0_10empty_typeEbEEZZNS1_14partition_implILS5_0ELb0ES3_jN6thrust23THRUST_200600_302600_NS6detail15normal_iteratorINSA_10device_ptrIxEEEEPS6_SG_NS0_5tupleIJSF_NSA_16discard_iteratorINSA_11use_defaultEEEEEENSH_IJSG_SG_EEES6_PlJ7is_evenIxEEEE10hipError_tPvRmT3_T4_T5_T6_T7_T9_mT8_P12ihipStream_tbDpT10_ENKUlT_T0_E_clISt17integral_constantIbLb1EES19_EEDaS14_S15_EUlS14_E_NS1_11comp_targetILNS1_3genE8ELNS1_11target_archE1030ELNS1_3gpuE2ELNS1_3repE0EEENS1_30default_config_static_selectorELNS0_4arch9wavefront6targetE1EEEvT1_,comdat
.Lfunc_end2634:
	.size	_ZN7rocprim17ROCPRIM_400000_NS6detail17trampoline_kernelINS0_14default_configENS1_25partition_config_selectorILNS1_17partition_subalgoE0ExNS0_10empty_typeEbEEZZNS1_14partition_implILS5_0ELb0ES3_jN6thrust23THRUST_200600_302600_NS6detail15normal_iteratorINSA_10device_ptrIxEEEEPS6_SG_NS0_5tupleIJSF_NSA_16discard_iteratorINSA_11use_defaultEEEEEENSH_IJSG_SG_EEES6_PlJ7is_evenIxEEEE10hipError_tPvRmT3_T4_T5_T6_T7_T9_mT8_P12ihipStream_tbDpT10_ENKUlT_T0_E_clISt17integral_constantIbLb1EES19_EEDaS14_S15_EUlS14_E_NS1_11comp_targetILNS1_3genE8ELNS1_11target_archE1030ELNS1_3gpuE2ELNS1_3repE0EEENS1_30default_config_static_selectorELNS0_4arch9wavefront6targetE1EEEvT1_, .Lfunc_end2634-_ZN7rocprim17ROCPRIM_400000_NS6detail17trampoline_kernelINS0_14default_configENS1_25partition_config_selectorILNS1_17partition_subalgoE0ExNS0_10empty_typeEbEEZZNS1_14partition_implILS5_0ELb0ES3_jN6thrust23THRUST_200600_302600_NS6detail15normal_iteratorINSA_10device_ptrIxEEEEPS6_SG_NS0_5tupleIJSF_NSA_16discard_iteratorINSA_11use_defaultEEEEEENSH_IJSG_SG_EEES6_PlJ7is_evenIxEEEE10hipError_tPvRmT3_T4_T5_T6_T7_T9_mT8_P12ihipStream_tbDpT10_ENKUlT_T0_E_clISt17integral_constantIbLb1EES19_EEDaS14_S15_EUlS14_E_NS1_11comp_targetILNS1_3genE8ELNS1_11target_archE1030ELNS1_3gpuE2ELNS1_3repE0EEENS1_30default_config_static_selectorELNS0_4arch9wavefront6targetE1EEEvT1_
                                        ; -- End function
	.section	.AMDGPU.csdata,"",@progbits
; Kernel info:
; codeLenInByte = 0
; NumSgprs: 6
; NumVgprs: 0
; NumAgprs: 0
; TotalNumVgprs: 0
; ScratchSize: 0
; MemoryBound: 0
; FloatMode: 240
; IeeeMode: 1
; LDSByteSize: 0 bytes/workgroup (compile time only)
; SGPRBlocks: 0
; VGPRBlocks: 0
; NumSGPRsForWavesPerEU: 6
; NumVGPRsForWavesPerEU: 1
; AccumOffset: 4
; Occupancy: 8
; WaveLimiterHint : 0
; COMPUTE_PGM_RSRC2:SCRATCH_EN: 0
; COMPUTE_PGM_RSRC2:USER_SGPR: 2
; COMPUTE_PGM_RSRC2:TRAP_HANDLER: 0
; COMPUTE_PGM_RSRC2:TGID_X_EN: 1
; COMPUTE_PGM_RSRC2:TGID_Y_EN: 0
; COMPUTE_PGM_RSRC2:TGID_Z_EN: 0
; COMPUTE_PGM_RSRC2:TIDIG_COMP_CNT: 0
; COMPUTE_PGM_RSRC3_GFX90A:ACCUM_OFFSET: 0
; COMPUTE_PGM_RSRC3_GFX90A:TG_SPLIT: 0
	.section	.text._ZN7rocprim17ROCPRIM_400000_NS6detail17trampoline_kernelINS0_14default_configENS1_25partition_config_selectorILNS1_17partition_subalgoE0ExNS0_10empty_typeEbEEZZNS1_14partition_implILS5_0ELb0ES3_jN6thrust23THRUST_200600_302600_NS6detail15normal_iteratorINSA_10device_ptrIxEEEEPS6_SG_NS0_5tupleIJSF_NSA_16discard_iteratorINSA_11use_defaultEEEEEENSH_IJSG_SG_EEES6_PlJ7is_evenIxEEEE10hipError_tPvRmT3_T4_T5_T6_T7_T9_mT8_P12ihipStream_tbDpT10_ENKUlT_T0_E_clISt17integral_constantIbLb1EES18_IbLb0EEEEDaS14_S15_EUlS14_E_NS1_11comp_targetILNS1_3genE0ELNS1_11target_archE4294967295ELNS1_3gpuE0ELNS1_3repE0EEENS1_30default_config_static_selectorELNS0_4arch9wavefront6targetE1EEEvT1_,"axG",@progbits,_ZN7rocprim17ROCPRIM_400000_NS6detail17trampoline_kernelINS0_14default_configENS1_25partition_config_selectorILNS1_17partition_subalgoE0ExNS0_10empty_typeEbEEZZNS1_14partition_implILS5_0ELb0ES3_jN6thrust23THRUST_200600_302600_NS6detail15normal_iteratorINSA_10device_ptrIxEEEEPS6_SG_NS0_5tupleIJSF_NSA_16discard_iteratorINSA_11use_defaultEEEEEENSH_IJSG_SG_EEES6_PlJ7is_evenIxEEEE10hipError_tPvRmT3_T4_T5_T6_T7_T9_mT8_P12ihipStream_tbDpT10_ENKUlT_T0_E_clISt17integral_constantIbLb1EES18_IbLb0EEEEDaS14_S15_EUlS14_E_NS1_11comp_targetILNS1_3genE0ELNS1_11target_archE4294967295ELNS1_3gpuE0ELNS1_3repE0EEENS1_30default_config_static_selectorELNS0_4arch9wavefront6targetE1EEEvT1_,comdat
	.protected	_ZN7rocprim17ROCPRIM_400000_NS6detail17trampoline_kernelINS0_14default_configENS1_25partition_config_selectorILNS1_17partition_subalgoE0ExNS0_10empty_typeEbEEZZNS1_14partition_implILS5_0ELb0ES3_jN6thrust23THRUST_200600_302600_NS6detail15normal_iteratorINSA_10device_ptrIxEEEEPS6_SG_NS0_5tupleIJSF_NSA_16discard_iteratorINSA_11use_defaultEEEEEENSH_IJSG_SG_EEES6_PlJ7is_evenIxEEEE10hipError_tPvRmT3_T4_T5_T6_T7_T9_mT8_P12ihipStream_tbDpT10_ENKUlT_T0_E_clISt17integral_constantIbLb1EES18_IbLb0EEEEDaS14_S15_EUlS14_E_NS1_11comp_targetILNS1_3genE0ELNS1_11target_archE4294967295ELNS1_3gpuE0ELNS1_3repE0EEENS1_30default_config_static_selectorELNS0_4arch9wavefront6targetE1EEEvT1_ ; -- Begin function _ZN7rocprim17ROCPRIM_400000_NS6detail17trampoline_kernelINS0_14default_configENS1_25partition_config_selectorILNS1_17partition_subalgoE0ExNS0_10empty_typeEbEEZZNS1_14partition_implILS5_0ELb0ES3_jN6thrust23THRUST_200600_302600_NS6detail15normal_iteratorINSA_10device_ptrIxEEEEPS6_SG_NS0_5tupleIJSF_NSA_16discard_iteratorINSA_11use_defaultEEEEEENSH_IJSG_SG_EEES6_PlJ7is_evenIxEEEE10hipError_tPvRmT3_T4_T5_T6_T7_T9_mT8_P12ihipStream_tbDpT10_ENKUlT_T0_E_clISt17integral_constantIbLb1EES18_IbLb0EEEEDaS14_S15_EUlS14_E_NS1_11comp_targetILNS1_3genE0ELNS1_11target_archE4294967295ELNS1_3gpuE0ELNS1_3repE0EEENS1_30default_config_static_selectorELNS0_4arch9wavefront6targetE1EEEvT1_
	.globl	_ZN7rocprim17ROCPRIM_400000_NS6detail17trampoline_kernelINS0_14default_configENS1_25partition_config_selectorILNS1_17partition_subalgoE0ExNS0_10empty_typeEbEEZZNS1_14partition_implILS5_0ELb0ES3_jN6thrust23THRUST_200600_302600_NS6detail15normal_iteratorINSA_10device_ptrIxEEEEPS6_SG_NS0_5tupleIJSF_NSA_16discard_iteratorINSA_11use_defaultEEEEEENSH_IJSG_SG_EEES6_PlJ7is_evenIxEEEE10hipError_tPvRmT3_T4_T5_T6_T7_T9_mT8_P12ihipStream_tbDpT10_ENKUlT_T0_E_clISt17integral_constantIbLb1EES18_IbLb0EEEEDaS14_S15_EUlS14_E_NS1_11comp_targetILNS1_3genE0ELNS1_11target_archE4294967295ELNS1_3gpuE0ELNS1_3repE0EEENS1_30default_config_static_selectorELNS0_4arch9wavefront6targetE1EEEvT1_
	.p2align	8
	.type	_ZN7rocprim17ROCPRIM_400000_NS6detail17trampoline_kernelINS0_14default_configENS1_25partition_config_selectorILNS1_17partition_subalgoE0ExNS0_10empty_typeEbEEZZNS1_14partition_implILS5_0ELb0ES3_jN6thrust23THRUST_200600_302600_NS6detail15normal_iteratorINSA_10device_ptrIxEEEEPS6_SG_NS0_5tupleIJSF_NSA_16discard_iteratorINSA_11use_defaultEEEEEENSH_IJSG_SG_EEES6_PlJ7is_evenIxEEEE10hipError_tPvRmT3_T4_T5_T6_T7_T9_mT8_P12ihipStream_tbDpT10_ENKUlT_T0_E_clISt17integral_constantIbLb1EES18_IbLb0EEEEDaS14_S15_EUlS14_E_NS1_11comp_targetILNS1_3genE0ELNS1_11target_archE4294967295ELNS1_3gpuE0ELNS1_3repE0EEENS1_30default_config_static_selectorELNS0_4arch9wavefront6targetE1EEEvT1_,@function
_ZN7rocprim17ROCPRIM_400000_NS6detail17trampoline_kernelINS0_14default_configENS1_25partition_config_selectorILNS1_17partition_subalgoE0ExNS0_10empty_typeEbEEZZNS1_14partition_implILS5_0ELb0ES3_jN6thrust23THRUST_200600_302600_NS6detail15normal_iteratorINSA_10device_ptrIxEEEEPS6_SG_NS0_5tupleIJSF_NSA_16discard_iteratorINSA_11use_defaultEEEEEENSH_IJSG_SG_EEES6_PlJ7is_evenIxEEEE10hipError_tPvRmT3_T4_T5_T6_T7_T9_mT8_P12ihipStream_tbDpT10_ENKUlT_T0_E_clISt17integral_constantIbLb1EES18_IbLb0EEEEDaS14_S15_EUlS14_E_NS1_11comp_targetILNS1_3genE0ELNS1_11target_archE4294967295ELNS1_3gpuE0ELNS1_3repE0EEENS1_30default_config_static_selectorELNS0_4arch9wavefront6targetE1EEEvT1_: ; @_ZN7rocprim17ROCPRIM_400000_NS6detail17trampoline_kernelINS0_14default_configENS1_25partition_config_selectorILNS1_17partition_subalgoE0ExNS0_10empty_typeEbEEZZNS1_14partition_implILS5_0ELb0ES3_jN6thrust23THRUST_200600_302600_NS6detail15normal_iteratorINSA_10device_ptrIxEEEEPS6_SG_NS0_5tupleIJSF_NSA_16discard_iteratorINSA_11use_defaultEEEEEENSH_IJSG_SG_EEES6_PlJ7is_evenIxEEEE10hipError_tPvRmT3_T4_T5_T6_T7_T9_mT8_P12ihipStream_tbDpT10_ENKUlT_T0_E_clISt17integral_constantIbLb1EES18_IbLb0EEEEDaS14_S15_EUlS14_E_NS1_11comp_targetILNS1_3genE0ELNS1_11target_archE4294967295ELNS1_3gpuE0ELNS1_3repE0EEENS1_30default_config_static_selectorELNS0_4arch9wavefront6targetE1EEEvT1_
; %bb.0:
	.section	.rodata,"a",@progbits
	.p2align	6, 0x0
	.amdhsa_kernel _ZN7rocprim17ROCPRIM_400000_NS6detail17trampoline_kernelINS0_14default_configENS1_25partition_config_selectorILNS1_17partition_subalgoE0ExNS0_10empty_typeEbEEZZNS1_14partition_implILS5_0ELb0ES3_jN6thrust23THRUST_200600_302600_NS6detail15normal_iteratorINSA_10device_ptrIxEEEEPS6_SG_NS0_5tupleIJSF_NSA_16discard_iteratorINSA_11use_defaultEEEEEENSH_IJSG_SG_EEES6_PlJ7is_evenIxEEEE10hipError_tPvRmT3_T4_T5_T6_T7_T9_mT8_P12ihipStream_tbDpT10_ENKUlT_T0_E_clISt17integral_constantIbLb1EES18_IbLb0EEEEDaS14_S15_EUlS14_E_NS1_11comp_targetILNS1_3genE0ELNS1_11target_archE4294967295ELNS1_3gpuE0ELNS1_3repE0EEENS1_30default_config_static_selectorELNS0_4arch9wavefront6targetE1EEEvT1_
		.amdhsa_group_segment_fixed_size 0
		.amdhsa_private_segment_fixed_size 0
		.amdhsa_kernarg_size 128
		.amdhsa_user_sgpr_count 2
		.amdhsa_user_sgpr_dispatch_ptr 0
		.amdhsa_user_sgpr_queue_ptr 0
		.amdhsa_user_sgpr_kernarg_segment_ptr 1
		.amdhsa_user_sgpr_dispatch_id 0
		.amdhsa_user_sgpr_kernarg_preload_length 0
		.amdhsa_user_sgpr_kernarg_preload_offset 0
		.amdhsa_user_sgpr_private_segment_size 0
		.amdhsa_uses_dynamic_stack 0
		.amdhsa_enable_private_segment 0
		.amdhsa_system_sgpr_workgroup_id_x 1
		.amdhsa_system_sgpr_workgroup_id_y 0
		.amdhsa_system_sgpr_workgroup_id_z 0
		.amdhsa_system_sgpr_workgroup_info 0
		.amdhsa_system_vgpr_workitem_id 0
		.amdhsa_next_free_vgpr 1
		.amdhsa_next_free_sgpr 0
		.amdhsa_accum_offset 4
		.amdhsa_reserve_vcc 0
		.amdhsa_float_round_mode_32 0
		.amdhsa_float_round_mode_16_64 0
		.amdhsa_float_denorm_mode_32 3
		.amdhsa_float_denorm_mode_16_64 3
		.amdhsa_dx10_clamp 1
		.amdhsa_ieee_mode 1
		.amdhsa_fp16_overflow 0
		.amdhsa_tg_split 0
		.amdhsa_exception_fp_ieee_invalid_op 0
		.amdhsa_exception_fp_denorm_src 0
		.amdhsa_exception_fp_ieee_div_zero 0
		.amdhsa_exception_fp_ieee_overflow 0
		.amdhsa_exception_fp_ieee_underflow 0
		.amdhsa_exception_fp_ieee_inexact 0
		.amdhsa_exception_int_div_zero 0
	.end_amdhsa_kernel
	.section	.text._ZN7rocprim17ROCPRIM_400000_NS6detail17trampoline_kernelINS0_14default_configENS1_25partition_config_selectorILNS1_17partition_subalgoE0ExNS0_10empty_typeEbEEZZNS1_14partition_implILS5_0ELb0ES3_jN6thrust23THRUST_200600_302600_NS6detail15normal_iteratorINSA_10device_ptrIxEEEEPS6_SG_NS0_5tupleIJSF_NSA_16discard_iteratorINSA_11use_defaultEEEEEENSH_IJSG_SG_EEES6_PlJ7is_evenIxEEEE10hipError_tPvRmT3_T4_T5_T6_T7_T9_mT8_P12ihipStream_tbDpT10_ENKUlT_T0_E_clISt17integral_constantIbLb1EES18_IbLb0EEEEDaS14_S15_EUlS14_E_NS1_11comp_targetILNS1_3genE0ELNS1_11target_archE4294967295ELNS1_3gpuE0ELNS1_3repE0EEENS1_30default_config_static_selectorELNS0_4arch9wavefront6targetE1EEEvT1_,"axG",@progbits,_ZN7rocprim17ROCPRIM_400000_NS6detail17trampoline_kernelINS0_14default_configENS1_25partition_config_selectorILNS1_17partition_subalgoE0ExNS0_10empty_typeEbEEZZNS1_14partition_implILS5_0ELb0ES3_jN6thrust23THRUST_200600_302600_NS6detail15normal_iteratorINSA_10device_ptrIxEEEEPS6_SG_NS0_5tupleIJSF_NSA_16discard_iteratorINSA_11use_defaultEEEEEENSH_IJSG_SG_EEES6_PlJ7is_evenIxEEEE10hipError_tPvRmT3_T4_T5_T6_T7_T9_mT8_P12ihipStream_tbDpT10_ENKUlT_T0_E_clISt17integral_constantIbLb1EES18_IbLb0EEEEDaS14_S15_EUlS14_E_NS1_11comp_targetILNS1_3genE0ELNS1_11target_archE4294967295ELNS1_3gpuE0ELNS1_3repE0EEENS1_30default_config_static_selectorELNS0_4arch9wavefront6targetE1EEEvT1_,comdat
.Lfunc_end2635:
	.size	_ZN7rocprim17ROCPRIM_400000_NS6detail17trampoline_kernelINS0_14default_configENS1_25partition_config_selectorILNS1_17partition_subalgoE0ExNS0_10empty_typeEbEEZZNS1_14partition_implILS5_0ELb0ES3_jN6thrust23THRUST_200600_302600_NS6detail15normal_iteratorINSA_10device_ptrIxEEEEPS6_SG_NS0_5tupleIJSF_NSA_16discard_iteratorINSA_11use_defaultEEEEEENSH_IJSG_SG_EEES6_PlJ7is_evenIxEEEE10hipError_tPvRmT3_T4_T5_T6_T7_T9_mT8_P12ihipStream_tbDpT10_ENKUlT_T0_E_clISt17integral_constantIbLb1EES18_IbLb0EEEEDaS14_S15_EUlS14_E_NS1_11comp_targetILNS1_3genE0ELNS1_11target_archE4294967295ELNS1_3gpuE0ELNS1_3repE0EEENS1_30default_config_static_selectorELNS0_4arch9wavefront6targetE1EEEvT1_, .Lfunc_end2635-_ZN7rocprim17ROCPRIM_400000_NS6detail17trampoline_kernelINS0_14default_configENS1_25partition_config_selectorILNS1_17partition_subalgoE0ExNS0_10empty_typeEbEEZZNS1_14partition_implILS5_0ELb0ES3_jN6thrust23THRUST_200600_302600_NS6detail15normal_iteratorINSA_10device_ptrIxEEEEPS6_SG_NS0_5tupleIJSF_NSA_16discard_iteratorINSA_11use_defaultEEEEEENSH_IJSG_SG_EEES6_PlJ7is_evenIxEEEE10hipError_tPvRmT3_T4_T5_T6_T7_T9_mT8_P12ihipStream_tbDpT10_ENKUlT_T0_E_clISt17integral_constantIbLb1EES18_IbLb0EEEEDaS14_S15_EUlS14_E_NS1_11comp_targetILNS1_3genE0ELNS1_11target_archE4294967295ELNS1_3gpuE0ELNS1_3repE0EEENS1_30default_config_static_selectorELNS0_4arch9wavefront6targetE1EEEvT1_
                                        ; -- End function
	.section	.AMDGPU.csdata,"",@progbits
; Kernel info:
; codeLenInByte = 0
; NumSgprs: 6
; NumVgprs: 0
; NumAgprs: 0
; TotalNumVgprs: 0
; ScratchSize: 0
; MemoryBound: 0
; FloatMode: 240
; IeeeMode: 1
; LDSByteSize: 0 bytes/workgroup (compile time only)
; SGPRBlocks: 0
; VGPRBlocks: 0
; NumSGPRsForWavesPerEU: 6
; NumVGPRsForWavesPerEU: 1
; AccumOffset: 4
; Occupancy: 8
; WaveLimiterHint : 0
; COMPUTE_PGM_RSRC2:SCRATCH_EN: 0
; COMPUTE_PGM_RSRC2:USER_SGPR: 2
; COMPUTE_PGM_RSRC2:TRAP_HANDLER: 0
; COMPUTE_PGM_RSRC2:TGID_X_EN: 1
; COMPUTE_PGM_RSRC2:TGID_Y_EN: 0
; COMPUTE_PGM_RSRC2:TGID_Z_EN: 0
; COMPUTE_PGM_RSRC2:TIDIG_COMP_CNT: 0
; COMPUTE_PGM_RSRC3_GFX90A:ACCUM_OFFSET: 0
; COMPUTE_PGM_RSRC3_GFX90A:TG_SPLIT: 0
	.section	.text._ZN7rocprim17ROCPRIM_400000_NS6detail17trampoline_kernelINS0_14default_configENS1_25partition_config_selectorILNS1_17partition_subalgoE0ExNS0_10empty_typeEbEEZZNS1_14partition_implILS5_0ELb0ES3_jN6thrust23THRUST_200600_302600_NS6detail15normal_iteratorINSA_10device_ptrIxEEEEPS6_SG_NS0_5tupleIJSF_NSA_16discard_iteratorINSA_11use_defaultEEEEEENSH_IJSG_SG_EEES6_PlJ7is_evenIxEEEE10hipError_tPvRmT3_T4_T5_T6_T7_T9_mT8_P12ihipStream_tbDpT10_ENKUlT_T0_E_clISt17integral_constantIbLb1EES18_IbLb0EEEEDaS14_S15_EUlS14_E_NS1_11comp_targetILNS1_3genE5ELNS1_11target_archE942ELNS1_3gpuE9ELNS1_3repE0EEENS1_30default_config_static_selectorELNS0_4arch9wavefront6targetE1EEEvT1_,"axG",@progbits,_ZN7rocprim17ROCPRIM_400000_NS6detail17trampoline_kernelINS0_14default_configENS1_25partition_config_selectorILNS1_17partition_subalgoE0ExNS0_10empty_typeEbEEZZNS1_14partition_implILS5_0ELb0ES3_jN6thrust23THRUST_200600_302600_NS6detail15normal_iteratorINSA_10device_ptrIxEEEEPS6_SG_NS0_5tupleIJSF_NSA_16discard_iteratorINSA_11use_defaultEEEEEENSH_IJSG_SG_EEES6_PlJ7is_evenIxEEEE10hipError_tPvRmT3_T4_T5_T6_T7_T9_mT8_P12ihipStream_tbDpT10_ENKUlT_T0_E_clISt17integral_constantIbLb1EES18_IbLb0EEEEDaS14_S15_EUlS14_E_NS1_11comp_targetILNS1_3genE5ELNS1_11target_archE942ELNS1_3gpuE9ELNS1_3repE0EEENS1_30default_config_static_selectorELNS0_4arch9wavefront6targetE1EEEvT1_,comdat
	.protected	_ZN7rocprim17ROCPRIM_400000_NS6detail17trampoline_kernelINS0_14default_configENS1_25partition_config_selectorILNS1_17partition_subalgoE0ExNS0_10empty_typeEbEEZZNS1_14partition_implILS5_0ELb0ES3_jN6thrust23THRUST_200600_302600_NS6detail15normal_iteratorINSA_10device_ptrIxEEEEPS6_SG_NS0_5tupleIJSF_NSA_16discard_iteratorINSA_11use_defaultEEEEEENSH_IJSG_SG_EEES6_PlJ7is_evenIxEEEE10hipError_tPvRmT3_T4_T5_T6_T7_T9_mT8_P12ihipStream_tbDpT10_ENKUlT_T0_E_clISt17integral_constantIbLb1EES18_IbLb0EEEEDaS14_S15_EUlS14_E_NS1_11comp_targetILNS1_3genE5ELNS1_11target_archE942ELNS1_3gpuE9ELNS1_3repE0EEENS1_30default_config_static_selectorELNS0_4arch9wavefront6targetE1EEEvT1_ ; -- Begin function _ZN7rocprim17ROCPRIM_400000_NS6detail17trampoline_kernelINS0_14default_configENS1_25partition_config_selectorILNS1_17partition_subalgoE0ExNS0_10empty_typeEbEEZZNS1_14partition_implILS5_0ELb0ES3_jN6thrust23THRUST_200600_302600_NS6detail15normal_iteratorINSA_10device_ptrIxEEEEPS6_SG_NS0_5tupleIJSF_NSA_16discard_iteratorINSA_11use_defaultEEEEEENSH_IJSG_SG_EEES6_PlJ7is_evenIxEEEE10hipError_tPvRmT3_T4_T5_T6_T7_T9_mT8_P12ihipStream_tbDpT10_ENKUlT_T0_E_clISt17integral_constantIbLb1EES18_IbLb0EEEEDaS14_S15_EUlS14_E_NS1_11comp_targetILNS1_3genE5ELNS1_11target_archE942ELNS1_3gpuE9ELNS1_3repE0EEENS1_30default_config_static_selectorELNS0_4arch9wavefront6targetE1EEEvT1_
	.globl	_ZN7rocprim17ROCPRIM_400000_NS6detail17trampoline_kernelINS0_14default_configENS1_25partition_config_selectorILNS1_17partition_subalgoE0ExNS0_10empty_typeEbEEZZNS1_14partition_implILS5_0ELb0ES3_jN6thrust23THRUST_200600_302600_NS6detail15normal_iteratorINSA_10device_ptrIxEEEEPS6_SG_NS0_5tupleIJSF_NSA_16discard_iteratorINSA_11use_defaultEEEEEENSH_IJSG_SG_EEES6_PlJ7is_evenIxEEEE10hipError_tPvRmT3_T4_T5_T6_T7_T9_mT8_P12ihipStream_tbDpT10_ENKUlT_T0_E_clISt17integral_constantIbLb1EES18_IbLb0EEEEDaS14_S15_EUlS14_E_NS1_11comp_targetILNS1_3genE5ELNS1_11target_archE942ELNS1_3gpuE9ELNS1_3repE0EEENS1_30default_config_static_selectorELNS0_4arch9wavefront6targetE1EEEvT1_
	.p2align	8
	.type	_ZN7rocprim17ROCPRIM_400000_NS6detail17trampoline_kernelINS0_14default_configENS1_25partition_config_selectorILNS1_17partition_subalgoE0ExNS0_10empty_typeEbEEZZNS1_14partition_implILS5_0ELb0ES3_jN6thrust23THRUST_200600_302600_NS6detail15normal_iteratorINSA_10device_ptrIxEEEEPS6_SG_NS0_5tupleIJSF_NSA_16discard_iteratorINSA_11use_defaultEEEEEENSH_IJSG_SG_EEES6_PlJ7is_evenIxEEEE10hipError_tPvRmT3_T4_T5_T6_T7_T9_mT8_P12ihipStream_tbDpT10_ENKUlT_T0_E_clISt17integral_constantIbLb1EES18_IbLb0EEEEDaS14_S15_EUlS14_E_NS1_11comp_targetILNS1_3genE5ELNS1_11target_archE942ELNS1_3gpuE9ELNS1_3repE0EEENS1_30default_config_static_selectorELNS0_4arch9wavefront6targetE1EEEvT1_,@function
_ZN7rocprim17ROCPRIM_400000_NS6detail17trampoline_kernelINS0_14default_configENS1_25partition_config_selectorILNS1_17partition_subalgoE0ExNS0_10empty_typeEbEEZZNS1_14partition_implILS5_0ELb0ES3_jN6thrust23THRUST_200600_302600_NS6detail15normal_iteratorINSA_10device_ptrIxEEEEPS6_SG_NS0_5tupleIJSF_NSA_16discard_iteratorINSA_11use_defaultEEEEEENSH_IJSG_SG_EEES6_PlJ7is_evenIxEEEE10hipError_tPvRmT3_T4_T5_T6_T7_T9_mT8_P12ihipStream_tbDpT10_ENKUlT_T0_E_clISt17integral_constantIbLb1EES18_IbLb0EEEEDaS14_S15_EUlS14_E_NS1_11comp_targetILNS1_3genE5ELNS1_11target_archE942ELNS1_3gpuE9ELNS1_3repE0EEENS1_30default_config_static_selectorELNS0_4arch9wavefront6targetE1EEEvT1_: ; @_ZN7rocprim17ROCPRIM_400000_NS6detail17trampoline_kernelINS0_14default_configENS1_25partition_config_selectorILNS1_17partition_subalgoE0ExNS0_10empty_typeEbEEZZNS1_14partition_implILS5_0ELb0ES3_jN6thrust23THRUST_200600_302600_NS6detail15normal_iteratorINSA_10device_ptrIxEEEEPS6_SG_NS0_5tupleIJSF_NSA_16discard_iteratorINSA_11use_defaultEEEEEENSH_IJSG_SG_EEES6_PlJ7is_evenIxEEEE10hipError_tPvRmT3_T4_T5_T6_T7_T9_mT8_P12ihipStream_tbDpT10_ENKUlT_T0_E_clISt17integral_constantIbLb1EES18_IbLb0EEEEDaS14_S15_EUlS14_E_NS1_11comp_targetILNS1_3genE5ELNS1_11target_archE942ELNS1_3gpuE9ELNS1_3repE0EEENS1_30default_config_static_selectorELNS0_4arch9wavefront6targetE1EEEvT1_
; %bb.0:
	s_load_dwordx2 s[8:9], s[0:1], 0x60
	s_load_dwordx4 s[4:7], s[0:1], 0x8
	s_load_dwordx4 s[24:27], s[0:1], 0x50
	s_load_dword s3, s[0:1], 0x78
	v_lshlrev_b32_e32 v18, 3, v0
	s_waitcnt lgkmcnt(0)
	v_mov_b32_e32 v3, s9
	s_lshl_b64 s[10:11], s[6:7], 3
	s_add_u32 s9, s4, s10
	s_addc_u32 s12, s5, s11
	s_add_i32 s13, s3, -1
	s_mulk_i32 s3, 0xe00
	s_add_i32 s4, s3, s6
	s_sub_i32 s33, s8, s4
	s_add_u32 s4, s6, s3
	s_addc_u32 s5, s7, 0
	s_cmp_eq_u32 s2, s13
	v_mov_b32_e32 v2, s8
	s_load_dwordx2 s[22:23], s[26:27], 0x0
	s_cselect_b64 s[26:27], -1, 0
	s_cmp_lg_u32 s2, s13
	s_mul_i32 s10, s2, 0xe00
	s_mov_b32 s11, 0
	v_cmp_lt_u64_e32 vcc, s[4:5], v[2:3]
	s_cselect_b64 s[4:5], -1, 0
	s_or_b64 s[4:5], s[4:5], vcc
	s_lshl_b64 s[6:7], s[10:11], 3
	s_add_u32 s6, s9, s6
	s_addc_u32 s7, s12, s7
	s_mov_b64 s[8:9], -1
	s_and_b64 vcc, exec, s[4:5]
	s_cbranch_vccz .LBB2636_2
; %bb.1:
	v_mov_b32_e32 v19, 0
	v_lshl_add_u64 v[2:3], s[6:7], 0, v[18:19]
	v_add_co_u32_e32 v4, vcc, 0x1000, v2
	s_mov_b64 s[8:9], 0
	s_nop 0
	v_addc_co_u32_e32 v5, vcc, 0, v3, vcc
	v_add_co_u32_e32 v6, vcc, 0x2000, v2
	s_nop 1
	v_addc_co_u32_e32 v7, vcc, 0, v3, vcc
	v_add_co_u32_e32 v8, vcc, 0x3000, v2
	s_nop 1
	v_addc_co_u32_e32 v9, vcc, 0, v3, vcc
	flat_load_dwordx2 v[10:11], v[2:3]
	flat_load_dwordx2 v[12:13], v[4:5]
	;; [unrolled: 1-line block ×4, first 2 shown]
	v_add_co_u32_e32 v4, vcc, 0x4000, v2
	s_nop 1
	v_addc_co_u32_e32 v5, vcc, 0, v3, vcc
	v_add_co_u32_e32 v6, vcc, 0x5000, v2
	s_nop 1
	v_addc_co_u32_e32 v7, vcc, 0, v3, vcc
	;; [unrolled: 3-line block ×3, first 2 shown]
	flat_load_dwordx2 v[8:9], v[4:5]
	flat_load_dwordx2 v[20:21], v[6:7]
	;; [unrolled: 1-line block ×3, first 2 shown]
	s_waitcnt vmcnt(0) lgkmcnt(0)
	ds_write2st64_b64 v18, v[10:11], v[12:13] offset1:8
	ds_write2st64_b64 v18, v[14:15], v[16:17] offset0:16 offset1:24
	ds_write2st64_b64 v18, v[8:9], v[20:21] offset0:32 offset1:40
	ds_write_b64 v18, v[22:23] offset:24576
	s_waitcnt lgkmcnt(0)
	s_barrier
.LBB2636_2:
	s_andn2_b64 vcc, exec, s[8:9]
	s_addk_i32 s33, 0xe00
	s_cbranch_vccnz .LBB2636_18
; %bb.3:
	v_cmp_gt_u32_e32 vcc, s33, v0
                                        ; implicit-def: $vgpr2_vgpr3_vgpr4_vgpr5_vgpr6_vgpr7_vgpr8_vgpr9_vgpr10_vgpr11_vgpr12_vgpr13_vgpr14_vgpr15_vgpr16_vgpr17
	s_and_saveexec_b64 s[8:9], vcc
	s_cbranch_execz .LBB2636_5
; %bb.4:
	v_mov_b32_e32 v19, 0
	v_lshl_add_u64 v[2:3], s[6:7], 0, v[18:19]
	flat_load_dwordx2 v[2:3], v[2:3]
.LBB2636_5:
	s_or_b64 exec, exec, s[8:9]
	v_or_b32_e32 v1, 0x200, v0
	v_cmp_gt_u32_e32 vcc, s33, v1
	s_and_saveexec_b64 s[8:9], vcc
	s_cbranch_execz .LBB2636_7
; %bb.6:
	v_lshlrev_b32_e32 v4, 3, v1
	v_mov_b32_e32 v5, 0
	v_lshl_add_u64 v[4:5], s[6:7], 0, v[4:5]
	flat_load_dwordx2 v[4:5], v[4:5]
.LBB2636_7:
	s_or_b64 exec, exec, s[8:9]
	v_or_b32_e32 v1, 0x400, v0
	v_cmp_gt_u32_e32 vcc, s33, v1
	s_and_saveexec_b64 s[8:9], vcc
	s_cbranch_execz .LBB2636_9
; %bb.8:
	v_lshlrev_b32_e32 v6, 3, v1
	v_mov_b32_e32 v7, 0
	v_lshl_add_u64 v[6:7], s[6:7], 0, v[6:7]
	flat_load_dwordx2 v[6:7], v[6:7]
.LBB2636_9:
	;; [unrolled: 11-line block ×6, first 2 shown]
	s_or_b64 exec, exec, s[8:9]
	s_waitcnt vmcnt(0) lgkmcnt(0)
	ds_write2st64_b64 v18, v[2:3], v[4:5] offset1:8
	ds_write2st64_b64 v18, v[6:7], v[8:9] offset0:16 offset1:24
	ds_write2st64_b64 v18, v[10:11], v[12:13] offset0:32 offset1:40
	ds_write_b64 v18, v[14:15] offset:24576
	s_waitcnt lgkmcnt(0)
	s_barrier
.LBB2636_18:
	v_mul_u32_u24_e32 v1, 7, v0
	v_lshlrev_b32_e32 v32, 3, v1
	s_waitcnt lgkmcnt(0)
	ds_read2_b64 v[10:13], v32 offset1:1
	ds_read2_b64 v[6:9], v32 offset0:2 offset1:3
	ds_read2_b64 v[2:5], v32 offset0:4 offset1:5
	ds_read_b64 v[14:15], v32 offset:48
	v_cndmask_b32_e64 v16, 0, 1, s[4:5]
	v_cmp_ne_u32_e64 s[20:21], 1, v16
	s_andn2_b64 vcc, exec, s[4:5]
	s_waitcnt lgkmcnt(3)
	v_xor_b32_e32 v24, -1, v10
	v_xor_b32_e32 v23, -1, v12
	s_waitcnt lgkmcnt(2)
	v_xor_b32_e32 v22, -1, v6
	v_xor_b32_e32 v21, -1, v8
	;; [unrolled: 3-line block ×3, first 2 shown]
	s_waitcnt lgkmcnt(0)
	v_xor_b32_e32 v16, -1, v14
	s_barrier
	s_cbranch_vccnz .LBB2636_20
; %bb.19:
	v_mov_b32_e32 v19, 1
	v_and_b32_e32 v25, 1, v24
	v_and_b32_sdwa v26, v23, v19 dst_sel:BYTE_1 dst_unused:UNUSED_PAD src0_sel:DWORD src1_sel:DWORD
	v_and_b32_e32 v27, 1, v22
	v_and_b32_sdwa v30, v21, v19 dst_sel:BYTE_1 dst_unused:UNUSED_PAD src0_sel:DWORD src1_sel:DWORD
	v_or_b32_e32 v25, v25, v26
	v_or_b32_sdwa v26, v27, v30 dst_sel:WORD_1 dst_unused:UNUSED_PAD src0_sel:DWORD src1_sel:DWORD
	v_and_b32_e32 v29, 1, v20
	v_and_b32_e32 v28, 1, v17
	;; [unrolled: 1-line block ×3, first 2 shown]
	v_or_b32_sdwa v30, v25, v26 dst_sel:DWORD dst_unused:UNUSED_PAD src0_sel:WORD_0 src1_sel:DWORD
	s_load_dwordx2 s[28:29], s[0:1], 0x70
	s_cbranch_execz .LBB2636_21
	s_branch .LBB2636_22
.LBB2636_20:
                                        ; implicit-def: $vgpr19
                                        ; implicit-def: $vgpr28
                                        ; implicit-def: $vgpr29
                                        ; implicit-def: $vgpr30
	s_load_dwordx2 s[28:29], s[0:1], 0x70
.LBB2636_21:
	v_add_u32_e32 v19, 1, v1
	v_cmp_gt_u32_e32 vcc, s33, v1
	v_add_u32_e32 v25, 2, v1
	v_add_u32_e32 v26, 3, v1
	v_cndmask_b32_e64 v29, 0, 1, vcc
	v_cmp_gt_u32_e32 vcc, s33, v19
	v_add_u32_e32 v27, 4, v1
	v_add_u32_e32 v28, 5, v1
	v_cndmask_b32_e64 v19, 0, 1, vcc
	v_cmp_gt_u32_e32 vcc, s33, v25
	v_and_b32_sdwa v23, v19, v23 dst_sel:BYTE_1 dst_unused:UNUSED_PAD src0_sel:DWORD src1_sel:DWORD
	v_add_u32_e32 v30, 6, v1
	v_cndmask_b32_e64 v19, 0, 1, vcc
	v_cmp_gt_u32_e32 vcc, s33, v26
	v_and_b32_e32 v22, v19, v22
	v_and_b32_e32 v24, v29, v24
	v_cndmask_b32_e64 v19, 0, 1, vcc
	v_cmp_gt_u32_e32 vcc, s33, v27
	v_and_b32_sdwa v21, v19, v21 dst_sel:BYTE_1 dst_unused:UNUSED_PAD src0_sel:DWORD src1_sel:DWORD
	s_nop 0
	v_cndmask_b32_e64 v19, 0, 1, vcc
	v_cmp_gt_u32_e32 vcc, s33, v28
	v_and_b32_e32 v29, v19, v20
	s_nop 0
	v_cndmask_b32_e64 v19, 0, 1, vcc
	v_cmp_gt_u32_e32 vcc, s33, v30
	v_and_b32_e32 v28, v19, v17
	s_nop 0
	v_cndmask_b32_e64 v17, 0, 1, vcc
	v_and_b32_e32 v19, v17, v16
	v_or_b32_e32 v16, v24, v23
	v_or_b32_sdwa v17, v22, v21 dst_sel:WORD_1 dst_unused:UNUSED_PAD src0_sel:DWORD src1_sel:DWORD
	s_nop 0
	v_or_b32_sdwa v30, v16, v17 dst_sel:DWORD dst_unused:UNUSED_PAD src0_sel:WORD_0 src1_sel:DWORD
.LBB2636_22:
	v_and_b32_e32 v33, 0xff, v30
	v_bfe_u32 v34, v30, 8, 8
	v_bfe_u32 v35, v30, 16, 8
	v_lshrrev_b32_e32 v31, 24, v30
	v_and_b32_e32 v36, 0xff, v29
	v_add3_u32 v17, v34, v33, v35
	v_and_b32_e32 v37, 0xff, v28
	v_and_b32_e32 v16, 0xff, v19
	v_add3_u32 v17, v17, v31, v36
	v_add3_u32 v40, v17, v37, v16
	v_mbcnt_lo_u32_b32 v16, -1, 0
	v_mbcnt_hi_u32_b32 v38, -1, v16
	v_and_b32_e32 v16, 15, v38
	v_cmp_eq_u32_e64 s[16:17], 0, v16
	v_cmp_lt_u32_e64 s[14:15], 1, v16
	v_cmp_lt_u32_e64 s[12:13], 3, v16
	;; [unrolled: 1-line block ×3, first 2 shown]
	v_and_b32_e32 v16, 16, v38
	v_cmp_eq_u32_e64 s[8:9], 0, v16
	v_or_b32_e32 v16, 63, v0
	s_cmp_lg_u32 s2, 0
	v_cmp_lt_u32_e64 s[4:5], 31, v38
	v_lshrrev_b32_e32 v39, 6, v0
	v_cmp_eq_u32_e64 s[6:7], v16, v0
	s_cbranch_scc0 .LBB2636_53
; %bb.23:
	v_mov_b32_dpp v16, v40 row_shr:1 row_mask:0xf bank_mask:0xf
	v_cndmask_b32_e64 v16, v16, 0, s[16:17]
	v_add_u32_e32 v16, v16, v40
	s_nop 1
	v_mov_b32_dpp v17, v16 row_shr:2 row_mask:0xf bank_mask:0xf
	v_cndmask_b32_e64 v17, 0, v17, s[14:15]
	v_add_u32_e32 v16, v16, v17
	s_nop 1
	;; [unrolled: 4-line block ×4, first 2 shown]
	v_mov_b32_dpp v17, v16 row_bcast:15 row_mask:0xf bank_mask:0xf
	v_cndmask_b32_e64 v17, v17, 0, s[8:9]
	v_add_u32_e32 v16, v16, v17
	s_nop 1
	v_mov_b32_dpp v17, v16 row_bcast:31 row_mask:0xf bank_mask:0xf
	v_cndmask_b32_e64 v17, 0, v17, s[4:5]
	v_add_u32_e32 v16, v16, v17
	s_and_saveexec_b64 s[18:19], s[6:7]
	s_cbranch_execz .LBB2636_25
; %bb.24:
	v_lshlrev_b32_e32 v17, 2, v39
	ds_write_b32 v17, v16
.LBB2636_25:
	s_or_b64 exec, exec, s[18:19]
	v_cmp_gt_u32_e32 vcc, 8, v0
	s_waitcnt lgkmcnt(0)
	s_barrier
	s_and_saveexec_b64 s[18:19], vcc
	s_cbranch_execz .LBB2636_27
; %bb.26:
	v_lshlrev_b32_e32 v17, 2, v0
	ds_read_b32 v20, v17
	v_and_b32_e32 v21, 7, v38
	v_cmp_ne_u32_e32 vcc, 0, v21
	s_waitcnt lgkmcnt(0)
	v_mov_b32_dpp v22, v20 row_shr:1 row_mask:0xf bank_mask:0xf
	v_cndmask_b32_e32 v22, 0, v22, vcc
	v_add_u32_e32 v20, v22, v20
	v_cmp_lt_u32_e32 vcc, 1, v21
	s_nop 0
	v_mov_b32_dpp v22, v20 row_shr:2 row_mask:0xf bank_mask:0xf
	v_cndmask_b32_e32 v22, 0, v22, vcc
	v_add_u32_e32 v20, v20, v22
	v_cmp_lt_u32_e32 vcc, 3, v21
	s_nop 0
	v_mov_b32_dpp v22, v20 row_shr:4 row_mask:0xf bank_mask:0xf
	v_cndmask_b32_e32 v21, 0, v22, vcc
	v_add_u32_e32 v20, v20, v21
	ds_write_b32 v17, v20
.LBB2636_27:
	s_or_b64 exec, exec, s[18:19]
	v_cmp_gt_u32_e32 vcc, 64, v0
	v_cmp_lt_u32_e64 s[18:19], 63, v0
	s_waitcnt lgkmcnt(0)
	s_barrier
	s_waitcnt lgkmcnt(0)
                                        ; implicit-def: $vgpr41
	s_and_saveexec_b64 s[30:31], s[18:19]
	s_cbranch_execz .LBB2636_29
; %bb.28:
	v_lshl_add_u32 v17, v39, 2, -4
	ds_read_b32 v41, v17
	s_waitcnt lgkmcnt(0)
	v_add_u32_e32 v16, v41, v16
.LBB2636_29:
	s_or_b64 exec, exec, s[30:31]
	v_add_u32_e32 v17, -1, v38
	v_and_b32_e32 v20, 64, v38
	v_cmp_lt_i32_e64 s[18:19], v17, v20
	s_nop 1
	v_cndmask_b32_e64 v17, v17, v38, s[18:19]
	v_lshlrev_b32_e32 v17, 2, v17
	ds_bpermute_b32 v42, v17, v16
	v_cmp_eq_u32_e64 s[18:19], 0, v38
	s_and_saveexec_b64 s[30:31], vcc
	s_cbranch_execz .LBB2636_52
; %bb.30:
	v_mov_b32_e32 v27, 0
	ds_read_b32 v16, v27 offset:28
	s_and_saveexec_b64 s[34:35], s[18:19]
	s_cbranch_execz .LBB2636_32
; %bb.31:
	s_add_i32 s36, s2, 64
	s_mov_b32 s37, 0
	s_lshl_b64 s[36:37], s[36:37], 3
	s_add_u32 s36, s28, s36
	v_mov_b32_e32 v17, 1
	s_addc_u32 s37, s29, s37
	s_waitcnt lgkmcnt(0)
	global_store_dwordx2 v27, v[16:17], s[36:37] sc1
.LBB2636_32:
	s_or_b64 exec, exec, s[34:35]
	v_xad_u32 v20, v38, -1, s2
	v_add_u32_e32 v26, 64, v20
	v_lshl_add_u64 v[22:23], v[26:27], 3, s[28:29]
	global_load_dwordx2 v[24:25], v[22:23], off sc1
	s_waitcnt vmcnt(0)
	v_cmp_eq_u16_sdwa s[36:37], v25, v27 src0_sel:BYTE_0 src1_sel:DWORD
	s_and_saveexec_b64 s[34:35], s[36:37]
	s_cbranch_execz .LBB2636_38
; %bb.33:
	s_mov_b32 s3, 1
	s_mov_b64 s[36:37], 0
	v_mov_b32_e32 v17, 0
.LBB2636_34:                            ; =>This Loop Header: Depth=1
                                        ;     Child Loop BB2636_35 Depth 2
	s_max_u32 s38, s3, 1
.LBB2636_35:                            ;   Parent Loop BB2636_34 Depth=1
                                        ; =>  This Inner Loop Header: Depth=2
	s_add_i32 s38, s38, -1
	s_cmp_eq_u32 s38, 0
	s_sleep 1
	s_cbranch_scc0 .LBB2636_35
; %bb.36:                               ;   in Loop: Header=BB2636_34 Depth=1
	global_load_dwordx2 v[24:25], v[22:23], off sc1
	s_cmp_lt_u32 s3, 32
	s_cselect_b64 s[38:39], -1, 0
	s_cmp_lg_u64 s[38:39], 0
	s_addc_u32 s3, s3, 0
	s_waitcnt vmcnt(0)
	v_cmp_ne_u16_sdwa s[38:39], v25, v17 src0_sel:BYTE_0 src1_sel:DWORD
	s_or_b64 s[36:37], s[38:39], s[36:37]
	s_andn2_b64 exec, exec, s[36:37]
	s_cbranch_execnz .LBB2636_34
; %bb.37:
	s_or_b64 exec, exec, s[36:37]
.LBB2636_38:
	s_or_b64 exec, exec, s[34:35]
	v_and_b32_e32 v44, 63, v38
	v_mov_b32_e32 v43, 2
	v_cmp_ne_u32_e32 vcc, 63, v44
	v_cmp_eq_u16_sdwa s[34:35], v25, v43 src0_sel:BYTE_0 src1_sel:DWORD
	v_lshlrev_b64 v[22:23], v38, -1
	v_addc_co_u32_e32 v26, vcc, 0, v38, vcc
	v_and_b32_e32 v17, s35, v23
	v_lshlrev_b32_e32 v45, 2, v26
	v_or_b32_e32 v17, 0x80000000, v17
	ds_bpermute_b32 v26, v45, v24
	v_and_b32_e32 v21, s34, v22
	v_ffbl_b32_e32 v17, v17
	v_add_u32_e32 v17, 32, v17
	v_ffbl_b32_e32 v21, v21
	v_min_u32_e32 v17, v21, v17
	v_cmp_lt_u32_e32 vcc, v44, v17
	v_add_u32_e32 v47, 2, v44
	v_add_u32_e32 v49, 4, v44
	s_waitcnt lgkmcnt(0)
	v_cndmask_b32_e32 v21, 0, v26, vcc
	v_cmp_gt_u32_e32 vcc, 62, v44
	v_add_u32_e32 v21, v21, v24
	v_add_u32_e32 v51, 8, v44
	v_cndmask_b32_e64 v24, 0, 1, vcc
	v_lshlrev_b32_e32 v24, 1, v24
	v_add_lshl_u32 v46, v24, v38, 2
	ds_bpermute_b32 v24, v46, v21
	v_cmp_le_u32_e32 vcc, v47, v17
	v_add_u32_e32 v53, 16, v44
	v_add_u32_e32 v55, 32, v44
	s_waitcnt lgkmcnt(0)
	v_cndmask_b32_e32 v24, 0, v24, vcc
	v_cmp_gt_u32_e32 vcc, 60, v44
	v_add_u32_e32 v21, v21, v24
	s_nop 0
	v_cndmask_b32_e64 v24, 0, 1, vcc
	v_lshlrev_b32_e32 v24, 2, v24
	v_add_lshl_u32 v48, v24, v38, 2
	ds_bpermute_b32 v24, v48, v21
	v_cmp_le_u32_e32 vcc, v49, v17
	s_waitcnt lgkmcnt(0)
	s_nop 0
	v_cndmask_b32_e32 v24, 0, v24, vcc
	v_cmp_gt_u32_e32 vcc, 56, v44
	v_add_u32_e32 v21, v21, v24
	s_nop 0
	v_cndmask_b32_e64 v24, 0, 1, vcc
	v_lshlrev_b32_e32 v24, 3, v24
	v_add_lshl_u32 v50, v24, v38, 2
	ds_bpermute_b32 v24, v50, v21
	v_cmp_le_u32_e32 vcc, v51, v17
	s_waitcnt lgkmcnt(0)
	s_nop 0
	;; [unrolled: 11-line block ×4, first 2 shown]
	v_cndmask_b32_e32 v17, 0, v24, vcc
	v_add_u32_e32 v24, v21, v17
	v_mov_b32_e32 v21, 0
	s_branch .LBB2636_40
.LBB2636_39:                            ;   in Loop: Header=BB2636_40 Depth=1
	s_or_b64 exec, exec, s[34:35]
	v_cmp_eq_u16_sdwa s[34:35], v25, v43 src0_sel:BYTE_0 src1_sel:DWORD
	ds_bpermute_b32 v56, v45, v24
	v_subrev_u32_e32 v20, 64, v20
	v_and_b32_e32 v26, s35, v23
	v_or_b32_e32 v26, 0x80000000, v26
	v_and_b32_e32 v27, s34, v22
	v_ffbl_b32_e32 v26, v26
	v_add_u32_e32 v26, 32, v26
	v_ffbl_b32_e32 v27, v27
	v_min_u32_e32 v26, v27, v26
	v_cmp_lt_u32_e32 vcc, v44, v26
	s_waitcnt lgkmcnt(0)
	s_nop 0
	v_cndmask_b32_e32 v27, 0, v56, vcc
	v_add_u32_e32 v24, v27, v24
	ds_bpermute_b32 v27, v46, v24
	v_cmp_le_u32_e32 vcc, v47, v26
	s_waitcnt lgkmcnt(0)
	s_nop 0
	v_cndmask_b32_e32 v27, 0, v27, vcc
	v_add_u32_e32 v24, v24, v27
	ds_bpermute_b32 v27, v48, v24
	v_cmp_le_u32_e32 vcc, v49, v26
	;; [unrolled: 6-line block ×5, first 2 shown]
	s_waitcnt lgkmcnt(0)
	s_nop 0
	v_cndmask_b32_e32 v26, 0, v27, vcc
	v_add3_u32 v24, v26, v17, v24
.LBB2636_40:                            ; =>This Loop Header: Depth=1
                                        ;     Child Loop BB2636_43 Depth 2
                                        ;       Child Loop BB2636_44 Depth 3
	v_cmp_ne_u16_sdwa s[34:35], v25, v43 src0_sel:BYTE_0 src1_sel:DWORD
	s_nop 1
	v_cndmask_b32_e64 v17, 0, 1, s[34:35]
	;;#ASMSTART
	;;#ASMEND
	s_nop 0
	v_cmp_ne_u32_e32 vcc, 0, v17
	s_cmp_lg_u64 vcc, exec
	v_mov_b32_e32 v17, v24
	s_cbranch_scc1 .LBB2636_47
; %bb.41:                               ;   in Loop: Header=BB2636_40 Depth=1
	v_lshl_add_u64 v[26:27], v[20:21], 3, s[28:29]
	global_load_dwordx2 v[24:25], v[26:27], off sc1
	s_waitcnt vmcnt(0)
	v_cmp_eq_u16_sdwa s[36:37], v25, v21 src0_sel:BYTE_0 src1_sel:DWORD
	s_and_saveexec_b64 s[34:35], s[36:37]
	s_cbranch_execz .LBB2636_39
; %bb.42:                               ;   in Loop: Header=BB2636_40 Depth=1
	s_mov_b32 s3, 1
	s_mov_b64 s[36:37], 0
.LBB2636_43:                            ;   Parent Loop BB2636_40 Depth=1
                                        ; =>  This Loop Header: Depth=2
                                        ;       Child Loop BB2636_44 Depth 3
	s_max_u32 s38, s3, 1
.LBB2636_44:                            ;   Parent Loop BB2636_40 Depth=1
                                        ;     Parent Loop BB2636_43 Depth=2
                                        ; =>    This Inner Loop Header: Depth=3
	s_add_i32 s38, s38, -1
	s_cmp_eq_u32 s38, 0
	s_sleep 1
	s_cbranch_scc0 .LBB2636_44
; %bb.45:                               ;   in Loop: Header=BB2636_43 Depth=2
	global_load_dwordx2 v[24:25], v[26:27], off sc1
	s_cmp_lt_u32 s3, 32
	s_cselect_b64 s[38:39], -1, 0
	s_cmp_lg_u64 s[38:39], 0
	s_addc_u32 s3, s3, 0
	s_waitcnt vmcnt(0)
	v_cmp_ne_u16_sdwa s[38:39], v25, v21 src0_sel:BYTE_0 src1_sel:DWORD
	s_or_b64 s[36:37], s[38:39], s[36:37]
	s_andn2_b64 exec, exec, s[36:37]
	s_cbranch_execnz .LBB2636_43
; %bb.46:                               ;   in Loop: Header=BB2636_40 Depth=1
	s_or_b64 exec, exec, s[36:37]
	s_branch .LBB2636_39
.LBB2636_47:                            ;   in Loop: Header=BB2636_40 Depth=1
                                        ; implicit-def: $vgpr24
                                        ; implicit-def: $vgpr25
	s_cbranch_execz .LBB2636_40
; %bb.48:
	s_and_saveexec_b64 s[34:35], s[18:19]
	s_cbranch_execz .LBB2636_50
; %bb.49:
	s_add_i32 s2, s2, 64
	s_mov_b32 s3, 0
	s_lshl_b64 s[2:3], s[2:3], 3
	s_add_u32 s2, s28, s2
	v_add_u32_e32 v20, v17, v16
	v_mov_b32_e32 v21, 2
	s_addc_u32 s3, s29, s3
	v_mov_b32_e32 v22, 0
	global_store_dwordx2 v22, v[20:21], s[2:3] sc1
	ds_write_b64 v22, v[16:17] offset:28672
.LBB2636_50:
	s_or_b64 exec, exec, s[34:35]
	v_cmp_eq_u32_e32 vcc, 0, v0
	s_and_b64 exec, exec, vcc
	s_cbranch_execz .LBB2636_52
; %bb.51:
	v_mov_b32_e32 v16, 0
	ds_write_b32 v16, v17 offset:28
.LBB2636_52:
	s_or_b64 exec, exec, s[30:31]
	v_mov_b32_e32 v16, 0
	s_waitcnt lgkmcnt(0)
	s_barrier
	ds_read_b32 v17, v16 offset:28
	v_cndmask_b32_e64 v20, v42, v41, s[18:19]
	v_cmp_ne_u32_e32 vcc, 0, v0
	s_waitcnt lgkmcnt(0)
	s_barrier
	v_cndmask_b32_e32 v20, 0, v20, vcc
	v_add_u32_e32 v27, v17, v20
	v_add_u32_e32 v26, v27, v33
	ds_read_b64 v[16:17], v16 offset:28672
	v_add_u32_e32 v25, v26, v34
	v_add_u32_e32 v24, v25, v35
	;; [unrolled: 1-line block ×5, first 2 shown]
	s_waitcnt lgkmcnt(0)
	v_mov_b32_e32 v20, v17
	s_load_dwordx2 s[2:3], s[0:1], 0x28
	s_branch .LBB2636_63
.LBB2636_53:
                                        ; implicit-def: $vgpr20
                                        ; implicit-def: $vgpr16
                                        ; implicit-def: $vgpr21
                                        ; implicit-def: $vgpr22
                                        ; implicit-def: $vgpr23
                                        ; implicit-def: $vgpr24
                                        ; implicit-def: $vgpr25
                                        ; implicit-def: $vgpr26
                                        ; implicit-def: $vgpr27
	s_load_dwordx2 s[2:3], s[0:1], 0x28
	s_cbranch_execz .LBB2636_63
; %bb.54:
	v_mov_b32_dpp v16, v40 row_shr:1 row_mask:0xf bank_mask:0xf
	v_cndmask_b32_e64 v16, v16, 0, s[16:17]
	v_add_u32_e32 v16, v16, v40
	s_nop 1
	v_mov_b32_dpp v17, v16 row_shr:2 row_mask:0xf bank_mask:0xf
	v_cndmask_b32_e64 v17, 0, v17, s[14:15]
	v_add_u32_e32 v16, v16, v17
	s_nop 1
	v_mov_b32_dpp v17, v16 row_shr:4 row_mask:0xf bank_mask:0xf
	v_cndmask_b32_e64 v17, 0, v17, s[12:13]
	v_add_u32_e32 v16, v16, v17
	s_nop 1
	v_mov_b32_dpp v17, v16 row_shr:8 row_mask:0xf bank_mask:0xf
	v_cndmask_b32_e64 v17, 0, v17, s[10:11]
	v_add_u32_e32 v16, v16, v17
	s_nop 1
	v_mov_b32_dpp v17, v16 row_bcast:15 row_mask:0xf bank_mask:0xf
	v_cndmask_b32_e64 v17, v17, 0, s[8:9]
	v_add_u32_e32 v16, v16, v17
	s_nop 1
	v_mov_b32_dpp v17, v16 row_bcast:31 row_mask:0xf bank_mask:0xf
	v_cndmask_b32_e64 v17, 0, v17, s[4:5]
	v_add_u32_e32 v16, v16, v17
	s_and_saveexec_b64 s[0:1], s[6:7]
	s_cbranch_execz .LBB2636_56
; %bb.55:
	v_lshlrev_b32_e32 v17, 2, v39
	ds_write_b32 v17, v16
.LBB2636_56:
	s_or_b64 exec, exec, s[0:1]
	v_cmp_gt_u32_e32 vcc, 8, v0
	s_waitcnt lgkmcnt(0)
	s_barrier
	s_and_saveexec_b64 s[0:1], vcc
	s_cbranch_execz .LBB2636_58
; %bb.57:
	s_movk_i32 s4, 0xffcc
	v_mad_i32_i24 v17, v0, s4, v32
	ds_read_b32 v20, v17
	v_and_b32_e32 v21, 7, v38
	v_cmp_ne_u32_e32 vcc, 0, v21
	s_waitcnt lgkmcnt(0)
	v_mov_b32_dpp v22, v20 row_shr:1 row_mask:0xf bank_mask:0xf
	v_cndmask_b32_e32 v22, 0, v22, vcc
	v_add_u32_e32 v20, v22, v20
	v_cmp_lt_u32_e32 vcc, 1, v21
	s_nop 0
	v_mov_b32_dpp v22, v20 row_shr:2 row_mask:0xf bank_mask:0xf
	v_cndmask_b32_e32 v22, 0, v22, vcc
	v_add_u32_e32 v20, v20, v22
	v_cmp_lt_u32_e32 vcc, 3, v21
	s_nop 0
	v_mov_b32_dpp v22, v20 row_shr:4 row_mask:0xf bank_mask:0xf
	v_cndmask_b32_e32 v21, 0, v22, vcc
	v_add_u32_e32 v20, v20, v21
	ds_write_b32 v17, v20
.LBB2636_58:
	s_or_b64 exec, exec, s[0:1]
	v_cmp_lt_u32_e32 vcc, 63, v0
	v_mov_b32_e32 v17, 0
	v_mov_b32_e32 v20, 0
	s_waitcnt lgkmcnt(0)
	s_barrier
	s_and_saveexec_b64 s[0:1], vcc
	s_cbranch_execz .LBB2636_60
; %bb.59:
	v_lshl_add_u32 v20, v39, 2, -4
	ds_read_b32 v20, v20
.LBB2636_60:
	s_or_b64 exec, exec, s[0:1]
	v_add_u32_e32 v21, -1, v38
	v_and_b32_e32 v22, 64, v38
	v_cmp_lt_i32_e32 vcc, v21, v22
	s_waitcnt lgkmcnt(0)
	v_add_u32_e32 v16, v20, v16
	v_cndmask_b32_e32 v21, v21, v38, vcc
	v_lshlrev_b32_e32 v21, 2, v21
	ds_bpermute_b32 v21, v21, v16
	ds_read_b32 v16, v17 offset:28
	v_cmp_eq_u32_e32 vcc, 0, v0
	s_and_saveexec_b64 s[0:1], vcc
	s_cbranch_execz .LBB2636_62
; %bb.61:
	v_mov_b32_e32 v22, 0
	v_mov_b32_e32 v17, 2
	s_waitcnt lgkmcnt(0)
	global_store_dwordx2 v22, v[16:17], s[28:29] offset:512 sc1
.LBB2636_62:
	s_or_b64 exec, exec, s[0:1]
	v_cmp_eq_u32_e64 s[0:1], 0, v38
	s_waitcnt lgkmcnt(0)
	s_barrier
	v_cndmask_b32_e64 v17, v21, v20, s[0:1]
	v_cndmask_b32_e64 v27, v17, 0, vcc
	v_add_u32_e32 v26, v27, v33
	v_add_u32_e32 v25, v26, v34
	;; [unrolled: 1-line block ×5, first 2 shown]
	v_mov_b32_e32 v20, 0
	v_add_u32_e32 v21, v22, v37
.LBB2636_63:
	v_add_u32_e32 v1, v16, v1
	v_sub_u32_e32 v27, v27, v20
	v_and_b32_e32 v33, 1, v30
	v_sub_u32_e32 v32, v1, v27
	v_cmp_eq_u32_e32 vcc, 1, v33
	v_lshrrev_b32_e32 v17, 8, v30
	v_and_b32_e32 v17, 1, v17
	v_cndmask_b32_e32 v27, v32, v27, vcc
	v_lshlrev_b32_e32 v27, 3, v27
	ds_write_b64 v27, v[10:11]
	v_sub_u32_e32 v10, v26, v20
	v_sub_u32_e32 v11, v1, v10
	v_add_u32_e32 v11, 1, v11
	v_cmp_eq_u32_e32 vcc, 1, v17
	v_or_b32_e32 v26, 0x200, v0
	v_or_b32_e32 v17, 0xa00, v0
	v_cndmask_b32_e32 v10, v11, v10, vcc
	v_lshlrev_b32_e32 v10, 3, v10
	ds_write_b64 v10, v[12:13]
	v_sub_u32_e32 v10, v25, v20
	v_mov_b32_e32 v12, 1
	v_sub_u32_e32 v11, v1, v10
	v_and_b32_sdwa v12, v12, v30 dst_sel:DWORD dst_unused:UNUSED_PAD src0_sel:DWORD src1_sel:WORD_1
	v_add_u32_e32 v11, 2, v11
	v_cmp_eq_u32_e32 vcc, 1, v12
	v_or_b32_e32 v25, 0x400, v0
	s_nop 0
	v_cndmask_b32_e32 v10, v11, v10, vcc
	v_lshlrev_b32_e32 v10, 3, v10
	ds_write_b64 v10, v[6:7]
	v_sub_u32_e32 v6, v24, v20
	v_sub_u32_e32 v7, v1, v6
	v_and_b32_e32 v10, 1, v31
	v_add_u32_e32 v7, 3, v7
	v_cmp_eq_u32_e32 vcc, 1, v10
	v_or_b32_e32 v24, 0x600, v0
	s_nop 0
	v_cndmask_b32_e32 v6, v7, v6, vcc
	v_lshlrev_b32_e32 v6, 3, v6
	ds_write_b64 v6, v[8:9]
	v_sub_u32_e32 v6, v23, v20
	v_sub_u32_e32 v7, v1, v6
	v_and_b32_e32 v8, 1, v29
	v_add_u32_e32 v7, 4, v7
	v_cmp_eq_u32_e32 vcc, 1, v8
	s_nop 1
	v_cndmask_b32_e32 v6, v7, v6, vcc
	v_lshlrev_b32_e32 v6, 3, v6
	ds_write_b64 v6, v[2:3]
	v_sub_u32_e32 v2, v22, v20
	v_sub_u32_e32 v3, v1, v2
	v_and_b32_e32 v6, 1, v28
	v_add_u32_e32 v3, 5, v3
	v_cmp_eq_u32_e32 vcc, 1, v6
	;; [unrolled: 9-line block ×3, first 2 shown]
	v_or_b32_e32 v19, 0x800, v0
	s_nop 0
	v_cndmask_b32_e32 v1, v1, v2, vcc
	v_lshlrev_b32_e32 v1, 3, v1
	ds_write_b64 v1, v[14:15]
	s_waitcnt lgkmcnt(0)
	s_barrier
	ds_read2st64_b64 v[10:13], v18 offset1:8
	ds_read2st64_b64 v[6:9], v18 offset0:16 offset1:24
	ds_read2st64_b64 v[2:5], v18 offset0:32 offset1:40
	ds_read_b64 v[14:15], v18 offset:24576
	s_and_b64 vcc, exec, s[20:21]
	v_or_b32_e32 v1, 0xc00, v0
	s_cbranch_vccnz .LBB2636_72
; %bb.64:
	s_lshl_b64 s[0:1], s[22:23], 3
	v_mov_b32_e32 v21, 0
	s_add_u32 s0, s2, s0
	s_addc_u32 s1, s3, s1
	v_lshlrev_b64 v[22:23], 3, v[20:21]
	v_lshl_add_u64 v[22:23], s[0:1], 0, v[22:23]
	v_cmp_lt_u32_e32 vcc, v0, v16
	s_and_saveexec_b64 s[0:1], vcc
	s_cbranch_execnz .LBB2636_86
; %bb.65:
	s_or_b64 exec, exec, s[0:1]
	v_cmp_lt_u32_e32 vcc, v26, v16
	s_and_saveexec_b64 s[0:1], vcc
	s_cbranch_execnz .LBB2636_87
.LBB2636_66:
	s_or_b64 exec, exec, s[0:1]
	v_cmp_lt_u32_e32 vcc, v25, v16
	s_and_saveexec_b64 s[0:1], vcc
	s_cbranch_execnz .LBB2636_88
.LBB2636_67:
	s_or_b64 exec, exec, s[0:1]
	v_cmp_lt_u32_e32 vcc, v24, v16
	s_and_saveexec_b64 s[0:1], vcc
	s_cbranch_execnz .LBB2636_89
.LBB2636_68:
	s_or_b64 exec, exec, s[0:1]
	v_cmp_lt_u32_e32 vcc, v19, v16
	s_and_saveexec_b64 s[0:1], vcc
	s_cbranch_execnz .LBB2636_90
.LBB2636_69:
	s_or_b64 exec, exec, s[0:1]
	v_cmp_lt_u32_e32 vcc, v17, v16
	s_and_saveexec_b64 s[0:1], vcc
	s_cbranch_execz .LBB2636_71
.LBB2636_70:
	v_lshlrev_b32_e32 v21, 3, v17
	v_readfirstlane_b32 s4, v22
	v_readfirstlane_b32 s5, v23
	s_waitcnt lgkmcnt(1)
	s_nop 3
	global_store_dwordx2 v21, v[4:5], s[4:5]
.LBB2636_71:
	s_or_b64 exec, exec, s[0:1]
	v_cmp_lt_u32_e64 s[0:1], v1, v16
	s_branch .LBB2636_81
.LBB2636_72:
	s_mov_b64 s[0:1], 0
                                        ; implicit-def: $vgpr22_vgpr23
	s_cbranch_execz .LBB2636_81
; %bb.73:
	s_lshl_b64 s[0:1], s[22:23], 3
	v_mov_b32_e32 v21, 0
	s_add_u32 s0, s2, s0
	v_min_u32_e32 v27, s33, v16
	s_addc_u32 s1, s3, s1
	v_lshlrev_b64 v[22:23], 3, v[20:21]
	v_lshl_add_u64 v[22:23], s[0:1], 0, v[22:23]
	v_cmp_gt_u32_e32 vcc, v27, v0
	s_and_saveexec_b64 s[0:1], vcc
	s_cbranch_execnz .LBB2636_91
; %bb.74:
	s_or_b64 exec, exec, s[0:1]
	v_cmp_lt_u32_e32 vcc, v26, v27
	s_and_saveexec_b64 s[0:1], vcc
	s_cbranch_execnz .LBB2636_92
.LBB2636_75:
	s_or_b64 exec, exec, s[0:1]
	v_cmp_lt_u32_e32 vcc, v25, v27
	s_and_saveexec_b64 s[0:1], vcc
	s_cbranch_execnz .LBB2636_93
.LBB2636_76:
	s_or_b64 exec, exec, s[0:1]
	v_cmp_lt_u32_e32 vcc, v24, v27
	s_and_saveexec_b64 s[0:1], vcc
	s_cbranch_execnz .LBB2636_94
.LBB2636_77:
	s_or_b64 exec, exec, s[0:1]
	v_cmp_lt_u32_e32 vcc, v19, v27
	s_and_saveexec_b64 s[0:1], vcc
	s_cbranch_execnz .LBB2636_95
.LBB2636_78:
	s_or_b64 exec, exec, s[0:1]
	v_cmp_lt_u32_e32 vcc, v17, v27
	s_and_saveexec_b64 s[0:1], vcc
	s_cbranch_execz .LBB2636_80
.LBB2636_79:
	s_waitcnt lgkmcnt(1)
	v_lshlrev_b32_e32 v2, 3, v17
	v_readfirstlane_b32 s2, v22
	v_readfirstlane_b32 s3, v23
	s_nop 4
	global_store_dwordx2 v2, v[4:5], s[2:3]
.LBB2636_80:
	s_or_b64 exec, exec, s[0:1]
	v_cmp_lt_u32_e64 s[0:1], v1, v27
.LBB2636_81:
	s_and_saveexec_b64 s[2:3], s[0:1]
	s_cbranch_execz .LBB2636_83
; %bb.82:
	v_lshlrev_b32_e32 v1, 3, v1
	v_readfirstlane_b32 s0, v22
	v_readfirstlane_b32 s1, v23
	s_waitcnt lgkmcnt(0)
	s_nop 3
	global_store_dwordx2 v1, v[14:15], s[0:1]
.LBB2636_83:
	s_or_b64 exec, exec, s[2:3]
	v_cmp_eq_u32_e32 vcc, 0, v0
	s_and_b64 s[0:1], vcc, s[26:27]
	s_and_saveexec_b64 s[2:3], s[0:1]
	s_cbranch_execz .LBB2636_85
; %bb.84:
	v_mov_b32_e32 v17, 0
	v_lshl_add_u64 v[0:1], s[22:23], 0, v[16:17]
	v_mov_b32_e32 v21, v17
	v_lshl_add_u64 v[0:1], v[0:1], 0, v[20:21]
	global_store_dwordx2 v17, v[0:1], s[24:25]
.LBB2636_85:
	s_endpgm
.LBB2636_86:
	v_readfirstlane_b32 s4, v22
	v_readfirstlane_b32 s5, v23
	s_waitcnt lgkmcnt(3)
	s_nop 3
	global_store_dwordx2 v18, v[10:11], s[4:5]
	s_or_b64 exec, exec, s[0:1]
	v_cmp_lt_u32_e32 vcc, v26, v16
	s_and_saveexec_b64 s[0:1], vcc
	s_cbranch_execz .LBB2636_66
.LBB2636_87:
	v_lshlrev_b32_e32 v21, 3, v26
	v_readfirstlane_b32 s4, v22
	v_readfirstlane_b32 s5, v23
	s_waitcnt lgkmcnt(3)
	s_nop 3
	global_store_dwordx2 v21, v[12:13], s[4:5]
	s_or_b64 exec, exec, s[0:1]
	v_cmp_lt_u32_e32 vcc, v25, v16
	s_and_saveexec_b64 s[0:1], vcc
	s_cbranch_execz .LBB2636_67
.LBB2636_88:
	v_lshlrev_b32_e32 v21, 3, v25
	v_readfirstlane_b32 s4, v22
	v_readfirstlane_b32 s5, v23
	s_waitcnt lgkmcnt(2)
	s_nop 3
	global_store_dwordx2 v21, v[6:7], s[4:5]
	s_or_b64 exec, exec, s[0:1]
	v_cmp_lt_u32_e32 vcc, v24, v16
	s_and_saveexec_b64 s[0:1], vcc
	s_cbranch_execz .LBB2636_68
.LBB2636_89:
	v_lshlrev_b32_e32 v21, 3, v24
	v_readfirstlane_b32 s4, v22
	v_readfirstlane_b32 s5, v23
	s_waitcnt lgkmcnt(2)
	s_nop 3
	global_store_dwordx2 v21, v[8:9], s[4:5]
	s_or_b64 exec, exec, s[0:1]
	v_cmp_lt_u32_e32 vcc, v19, v16
	s_and_saveexec_b64 s[0:1], vcc
	s_cbranch_execz .LBB2636_69
.LBB2636_90:
	v_lshlrev_b32_e32 v21, 3, v19
	v_readfirstlane_b32 s4, v22
	v_readfirstlane_b32 s5, v23
	s_waitcnt lgkmcnt(1)
	s_nop 3
	global_store_dwordx2 v21, v[2:3], s[4:5]
	s_or_b64 exec, exec, s[0:1]
	v_cmp_lt_u32_e32 vcc, v17, v16
	s_and_saveexec_b64 s[0:1], vcc
	s_cbranch_execnz .LBB2636_70
	s_branch .LBB2636_71
.LBB2636_91:
	v_readfirstlane_b32 s2, v22
	v_readfirstlane_b32 s3, v23
	s_waitcnt lgkmcnt(3)
	s_nop 3
	global_store_dwordx2 v18, v[10:11], s[2:3]
	s_or_b64 exec, exec, s[0:1]
	v_cmp_lt_u32_e32 vcc, v26, v27
	s_and_saveexec_b64 s[0:1], vcc
	s_cbranch_execz .LBB2636_75
.LBB2636_92:
	s_waitcnt lgkmcnt(3)
	v_lshlrev_b32_e32 v10, 3, v26
	v_readfirstlane_b32 s2, v22
	v_readfirstlane_b32 s3, v23
	s_nop 4
	global_store_dwordx2 v10, v[12:13], s[2:3]
	s_or_b64 exec, exec, s[0:1]
	v_cmp_lt_u32_e32 vcc, v25, v27
	s_and_saveexec_b64 s[0:1], vcc
	s_cbranch_execz .LBB2636_76
.LBB2636_93:
	s_waitcnt lgkmcnt(3)
	v_lshlrev_b32_e32 v10, 3, v25
	v_readfirstlane_b32 s2, v22
	v_readfirstlane_b32 s3, v23
	s_waitcnt lgkmcnt(2)
	s_nop 3
	global_store_dwordx2 v10, v[6:7], s[2:3]
	s_or_b64 exec, exec, s[0:1]
	v_cmp_lt_u32_e32 vcc, v24, v27
	s_and_saveexec_b64 s[0:1], vcc
	s_cbranch_execz .LBB2636_77
.LBB2636_94:
	s_waitcnt lgkmcnt(2)
	v_lshlrev_b32_e32 v6, 3, v24
	v_readfirstlane_b32 s2, v22
	v_readfirstlane_b32 s3, v23
	s_nop 4
	global_store_dwordx2 v6, v[8:9], s[2:3]
	s_or_b64 exec, exec, s[0:1]
	v_cmp_lt_u32_e32 vcc, v19, v27
	s_and_saveexec_b64 s[0:1], vcc
	s_cbranch_execz .LBB2636_78
.LBB2636_95:
	s_waitcnt lgkmcnt(2)
	v_lshlrev_b32_e32 v6, 3, v19
	v_readfirstlane_b32 s2, v22
	v_readfirstlane_b32 s3, v23
	s_waitcnt lgkmcnt(1)
	s_nop 3
	global_store_dwordx2 v6, v[2:3], s[2:3]
	s_or_b64 exec, exec, s[0:1]
	v_cmp_lt_u32_e32 vcc, v17, v27
	s_and_saveexec_b64 s[0:1], vcc
	s_cbranch_execnz .LBB2636_79
	s_branch .LBB2636_80
	.section	.rodata,"a",@progbits
	.p2align	6, 0x0
	.amdhsa_kernel _ZN7rocprim17ROCPRIM_400000_NS6detail17trampoline_kernelINS0_14default_configENS1_25partition_config_selectorILNS1_17partition_subalgoE0ExNS0_10empty_typeEbEEZZNS1_14partition_implILS5_0ELb0ES3_jN6thrust23THRUST_200600_302600_NS6detail15normal_iteratorINSA_10device_ptrIxEEEEPS6_SG_NS0_5tupleIJSF_NSA_16discard_iteratorINSA_11use_defaultEEEEEENSH_IJSG_SG_EEES6_PlJ7is_evenIxEEEE10hipError_tPvRmT3_T4_T5_T6_T7_T9_mT8_P12ihipStream_tbDpT10_ENKUlT_T0_E_clISt17integral_constantIbLb1EES18_IbLb0EEEEDaS14_S15_EUlS14_E_NS1_11comp_targetILNS1_3genE5ELNS1_11target_archE942ELNS1_3gpuE9ELNS1_3repE0EEENS1_30default_config_static_selectorELNS0_4arch9wavefront6targetE1EEEvT1_
		.amdhsa_group_segment_fixed_size 28680
		.amdhsa_private_segment_fixed_size 0
		.amdhsa_kernarg_size 128
		.amdhsa_user_sgpr_count 2
		.amdhsa_user_sgpr_dispatch_ptr 0
		.amdhsa_user_sgpr_queue_ptr 0
		.amdhsa_user_sgpr_kernarg_segment_ptr 1
		.amdhsa_user_sgpr_dispatch_id 0
		.amdhsa_user_sgpr_kernarg_preload_length 0
		.amdhsa_user_sgpr_kernarg_preload_offset 0
		.amdhsa_user_sgpr_private_segment_size 0
		.amdhsa_uses_dynamic_stack 0
		.amdhsa_enable_private_segment 0
		.amdhsa_system_sgpr_workgroup_id_x 1
		.amdhsa_system_sgpr_workgroup_id_y 0
		.amdhsa_system_sgpr_workgroup_id_z 0
		.amdhsa_system_sgpr_workgroup_info 0
		.amdhsa_system_vgpr_workitem_id 0
		.amdhsa_next_free_vgpr 57
		.amdhsa_next_free_sgpr 40
		.amdhsa_accum_offset 60
		.amdhsa_reserve_vcc 1
		.amdhsa_float_round_mode_32 0
		.amdhsa_float_round_mode_16_64 0
		.amdhsa_float_denorm_mode_32 3
		.amdhsa_float_denorm_mode_16_64 3
		.amdhsa_dx10_clamp 1
		.amdhsa_ieee_mode 1
		.amdhsa_fp16_overflow 0
		.amdhsa_tg_split 0
		.amdhsa_exception_fp_ieee_invalid_op 0
		.amdhsa_exception_fp_denorm_src 0
		.amdhsa_exception_fp_ieee_div_zero 0
		.amdhsa_exception_fp_ieee_overflow 0
		.amdhsa_exception_fp_ieee_underflow 0
		.amdhsa_exception_fp_ieee_inexact 0
		.amdhsa_exception_int_div_zero 0
	.end_amdhsa_kernel
	.section	.text._ZN7rocprim17ROCPRIM_400000_NS6detail17trampoline_kernelINS0_14default_configENS1_25partition_config_selectorILNS1_17partition_subalgoE0ExNS0_10empty_typeEbEEZZNS1_14partition_implILS5_0ELb0ES3_jN6thrust23THRUST_200600_302600_NS6detail15normal_iteratorINSA_10device_ptrIxEEEEPS6_SG_NS0_5tupleIJSF_NSA_16discard_iteratorINSA_11use_defaultEEEEEENSH_IJSG_SG_EEES6_PlJ7is_evenIxEEEE10hipError_tPvRmT3_T4_T5_T6_T7_T9_mT8_P12ihipStream_tbDpT10_ENKUlT_T0_E_clISt17integral_constantIbLb1EES18_IbLb0EEEEDaS14_S15_EUlS14_E_NS1_11comp_targetILNS1_3genE5ELNS1_11target_archE942ELNS1_3gpuE9ELNS1_3repE0EEENS1_30default_config_static_selectorELNS0_4arch9wavefront6targetE1EEEvT1_,"axG",@progbits,_ZN7rocprim17ROCPRIM_400000_NS6detail17trampoline_kernelINS0_14default_configENS1_25partition_config_selectorILNS1_17partition_subalgoE0ExNS0_10empty_typeEbEEZZNS1_14partition_implILS5_0ELb0ES3_jN6thrust23THRUST_200600_302600_NS6detail15normal_iteratorINSA_10device_ptrIxEEEEPS6_SG_NS0_5tupleIJSF_NSA_16discard_iteratorINSA_11use_defaultEEEEEENSH_IJSG_SG_EEES6_PlJ7is_evenIxEEEE10hipError_tPvRmT3_T4_T5_T6_T7_T9_mT8_P12ihipStream_tbDpT10_ENKUlT_T0_E_clISt17integral_constantIbLb1EES18_IbLb0EEEEDaS14_S15_EUlS14_E_NS1_11comp_targetILNS1_3genE5ELNS1_11target_archE942ELNS1_3gpuE9ELNS1_3repE0EEENS1_30default_config_static_selectorELNS0_4arch9wavefront6targetE1EEEvT1_,comdat
.Lfunc_end2636:
	.size	_ZN7rocprim17ROCPRIM_400000_NS6detail17trampoline_kernelINS0_14default_configENS1_25partition_config_selectorILNS1_17partition_subalgoE0ExNS0_10empty_typeEbEEZZNS1_14partition_implILS5_0ELb0ES3_jN6thrust23THRUST_200600_302600_NS6detail15normal_iteratorINSA_10device_ptrIxEEEEPS6_SG_NS0_5tupleIJSF_NSA_16discard_iteratorINSA_11use_defaultEEEEEENSH_IJSG_SG_EEES6_PlJ7is_evenIxEEEE10hipError_tPvRmT3_T4_T5_T6_T7_T9_mT8_P12ihipStream_tbDpT10_ENKUlT_T0_E_clISt17integral_constantIbLb1EES18_IbLb0EEEEDaS14_S15_EUlS14_E_NS1_11comp_targetILNS1_3genE5ELNS1_11target_archE942ELNS1_3gpuE9ELNS1_3repE0EEENS1_30default_config_static_selectorELNS0_4arch9wavefront6targetE1EEEvT1_, .Lfunc_end2636-_ZN7rocprim17ROCPRIM_400000_NS6detail17trampoline_kernelINS0_14default_configENS1_25partition_config_selectorILNS1_17partition_subalgoE0ExNS0_10empty_typeEbEEZZNS1_14partition_implILS5_0ELb0ES3_jN6thrust23THRUST_200600_302600_NS6detail15normal_iteratorINSA_10device_ptrIxEEEEPS6_SG_NS0_5tupleIJSF_NSA_16discard_iteratorINSA_11use_defaultEEEEEENSH_IJSG_SG_EEES6_PlJ7is_evenIxEEEE10hipError_tPvRmT3_T4_T5_T6_T7_T9_mT8_P12ihipStream_tbDpT10_ENKUlT_T0_E_clISt17integral_constantIbLb1EES18_IbLb0EEEEDaS14_S15_EUlS14_E_NS1_11comp_targetILNS1_3genE5ELNS1_11target_archE942ELNS1_3gpuE9ELNS1_3repE0EEENS1_30default_config_static_selectorELNS0_4arch9wavefront6targetE1EEEvT1_
                                        ; -- End function
	.section	.AMDGPU.csdata,"",@progbits
; Kernel info:
; codeLenInByte = 4612
; NumSgprs: 46
; NumVgprs: 57
; NumAgprs: 0
; TotalNumVgprs: 57
; ScratchSize: 0
; MemoryBound: 0
; FloatMode: 240
; IeeeMode: 1
; LDSByteSize: 28680 bytes/workgroup (compile time only)
; SGPRBlocks: 5
; VGPRBlocks: 7
; NumSGPRsForWavesPerEU: 46
; NumVGPRsForWavesPerEU: 57
; AccumOffset: 60
; Occupancy: 4
; WaveLimiterHint : 1
; COMPUTE_PGM_RSRC2:SCRATCH_EN: 0
; COMPUTE_PGM_RSRC2:USER_SGPR: 2
; COMPUTE_PGM_RSRC2:TRAP_HANDLER: 0
; COMPUTE_PGM_RSRC2:TGID_X_EN: 1
; COMPUTE_PGM_RSRC2:TGID_Y_EN: 0
; COMPUTE_PGM_RSRC2:TGID_Z_EN: 0
; COMPUTE_PGM_RSRC2:TIDIG_COMP_CNT: 0
; COMPUTE_PGM_RSRC3_GFX90A:ACCUM_OFFSET: 14
; COMPUTE_PGM_RSRC3_GFX90A:TG_SPLIT: 0
	.section	.text._ZN7rocprim17ROCPRIM_400000_NS6detail17trampoline_kernelINS0_14default_configENS1_25partition_config_selectorILNS1_17partition_subalgoE0ExNS0_10empty_typeEbEEZZNS1_14partition_implILS5_0ELb0ES3_jN6thrust23THRUST_200600_302600_NS6detail15normal_iteratorINSA_10device_ptrIxEEEEPS6_SG_NS0_5tupleIJSF_NSA_16discard_iteratorINSA_11use_defaultEEEEEENSH_IJSG_SG_EEES6_PlJ7is_evenIxEEEE10hipError_tPvRmT3_T4_T5_T6_T7_T9_mT8_P12ihipStream_tbDpT10_ENKUlT_T0_E_clISt17integral_constantIbLb1EES18_IbLb0EEEEDaS14_S15_EUlS14_E_NS1_11comp_targetILNS1_3genE4ELNS1_11target_archE910ELNS1_3gpuE8ELNS1_3repE0EEENS1_30default_config_static_selectorELNS0_4arch9wavefront6targetE1EEEvT1_,"axG",@progbits,_ZN7rocprim17ROCPRIM_400000_NS6detail17trampoline_kernelINS0_14default_configENS1_25partition_config_selectorILNS1_17partition_subalgoE0ExNS0_10empty_typeEbEEZZNS1_14partition_implILS5_0ELb0ES3_jN6thrust23THRUST_200600_302600_NS6detail15normal_iteratorINSA_10device_ptrIxEEEEPS6_SG_NS0_5tupleIJSF_NSA_16discard_iteratorINSA_11use_defaultEEEEEENSH_IJSG_SG_EEES6_PlJ7is_evenIxEEEE10hipError_tPvRmT3_T4_T5_T6_T7_T9_mT8_P12ihipStream_tbDpT10_ENKUlT_T0_E_clISt17integral_constantIbLb1EES18_IbLb0EEEEDaS14_S15_EUlS14_E_NS1_11comp_targetILNS1_3genE4ELNS1_11target_archE910ELNS1_3gpuE8ELNS1_3repE0EEENS1_30default_config_static_selectorELNS0_4arch9wavefront6targetE1EEEvT1_,comdat
	.protected	_ZN7rocprim17ROCPRIM_400000_NS6detail17trampoline_kernelINS0_14default_configENS1_25partition_config_selectorILNS1_17partition_subalgoE0ExNS0_10empty_typeEbEEZZNS1_14partition_implILS5_0ELb0ES3_jN6thrust23THRUST_200600_302600_NS6detail15normal_iteratorINSA_10device_ptrIxEEEEPS6_SG_NS0_5tupleIJSF_NSA_16discard_iteratorINSA_11use_defaultEEEEEENSH_IJSG_SG_EEES6_PlJ7is_evenIxEEEE10hipError_tPvRmT3_T4_T5_T6_T7_T9_mT8_P12ihipStream_tbDpT10_ENKUlT_T0_E_clISt17integral_constantIbLb1EES18_IbLb0EEEEDaS14_S15_EUlS14_E_NS1_11comp_targetILNS1_3genE4ELNS1_11target_archE910ELNS1_3gpuE8ELNS1_3repE0EEENS1_30default_config_static_selectorELNS0_4arch9wavefront6targetE1EEEvT1_ ; -- Begin function _ZN7rocprim17ROCPRIM_400000_NS6detail17trampoline_kernelINS0_14default_configENS1_25partition_config_selectorILNS1_17partition_subalgoE0ExNS0_10empty_typeEbEEZZNS1_14partition_implILS5_0ELb0ES3_jN6thrust23THRUST_200600_302600_NS6detail15normal_iteratorINSA_10device_ptrIxEEEEPS6_SG_NS0_5tupleIJSF_NSA_16discard_iteratorINSA_11use_defaultEEEEEENSH_IJSG_SG_EEES6_PlJ7is_evenIxEEEE10hipError_tPvRmT3_T4_T5_T6_T7_T9_mT8_P12ihipStream_tbDpT10_ENKUlT_T0_E_clISt17integral_constantIbLb1EES18_IbLb0EEEEDaS14_S15_EUlS14_E_NS1_11comp_targetILNS1_3genE4ELNS1_11target_archE910ELNS1_3gpuE8ELNS1_3repE0EEENS1_30default_config_static_selectorELNS0_4arch9wavefront6targetE1EEEvT1_
	.globl	_ZN7rocprim17ROCPRIM_400000_NS6detail17trampoline_kernelINS0_14default_configENS1_25partition_config_selectorILNS1_17partition_subalgoE0ExNS0_10empty_typeEbEEZZNS1_14partition_implILS5_0ELb0ES3_jN6thrust23THRUST_200600_302600_NS6detail15normal_iteratorINSA_10device_ptrIxEEEEPS6_SG_NS0_5tupleIJSF_NSA_16discard_iteratorINSA_11use_defaultEEEEEENSH_IJSG_SG_EEES6_PlJ7is_evenIxEEEE10hipError_tPvRmT3_T4_T5_T6_T7_T9_mT8_P12ihipStream_tbDpT10_ENKUlT_T0_E_clISt17integral_constantIbLb1EES18_IbLb0EEEEDaS14_S15_EUlS14_E_NS1_11comp_targetILNS1_3genE4ELNS1_11target_archE910ELNS1_3gpuE8ELNS1_3repE0EEENS1_30default_config_static_selectorELNS0_4arch9wavefront6targetE1EEEvT1_
	.p2align	8
	.type	_ZN7rocprim17ROCPRIM_400000_NS6detail17trampoline_kernelINS0_14default_configENS1_25partition_config_selectorILNS1_17partition_subalgoE0ExNS0_10empty_typeEbEEZZNS1_14partition_implILS5_0ELb0ES3_jN6thrust23THRUST_200600_302600_NS6detail15normal_iteratorINSA_10device_ptrIxEEEEPS6_SG_NS0_5tupleIJSF_NSA_16discard_iteratorINSA_11use_defaultEEEEEENSH_IJSG_SG_EEES6_PlJ7is_evenIxEEEE10hipError_tPvRmT3_T4_T5_T6_T7_T9_mT8_P12ihipStream_tbDpT10_ENKUlT_T0_E_clISt17integral_constantIbLb1EES18_IbLb0EEEEDaS14_S15_EUlS14_E_NS1_11comp_targetILNS1_3genE4ELNS1_11target_archE910ELNS1_3gpuE8ELNS1_3repE0EEENS1_30default_config_static_selectorELNS0_4arch9wavefront6targetE1EEEvT1_,@function
_ZN7rocprim17ROCPRIM_400000_NS6detail17trampoline_kernelINS0_14default_configENS1_25partition_config_selectorILNS1_17partition_subalgoE0ExNS0_10empty_typeEbEEZZNS1_14partition_implILS5_0ELb0ES3_jN6thrust23THRUST_200600_302600_NS6detail15normal_iteratorINSA_10device_ptrIxEEEEPS6_SG_NS0_5tupleIJSF_NSA_16discard_iteratorINSA_11use_defaultEEEEEENSH_IJSG_SG_EEES6_PlJ7is_evenIxEEEE10hipError_tPvRmT3_T4_T5_T6_T7_T9_mT8_P12ihipStream_tbDpT10_ENKUlT_T0_E_clISt17integral_constantIbLb1EES18_IbLb0EEEEDaS14_S15_EUlS14_E_NS1_11comp_targetILNS1_3genE4ELNS1_11target_archE910ELNS1_3gpuE8ELNS1_3repE0EEENS1_30default_config_static_selectorELNS0_4arch9wavefront6targetE1EEEvT1_: ; @_ZN7rocprim17ROCPRIM_400000_NS6detail17trampoline_kernelINS0_14default_configENS1_25partition_config_selectorILNS1_17partition_subalgoE0ExNS0_10empty_typeEbEEZZNS1_14partition_implILS5_0ELb0ES3_jN6thrust23THRUST_200600_302600_NS6detail15normal_iteratorINSA_10device_ptrIxEEEEPS6_SG_NS0_5tupleIJSF_NSA_16discard_iteratorINSA_11use_defaultEEEEEENSH_IJSG_SG_EEES6_PlJ7is_evenIxEEEE10hipError_tPvRmT3_T4_T5_T6_T7_T9_mT8_P12ihipStream_tbDpT10_ENKUlT_T0_E_clISt17integral_constantIbLb1EES18_IbLb0EEEEDaS14_S15_EUlS14_E_NS1_11comp_targetILNS1_3genE4ELNS1_11target_archE910ELNS1_3gpuE8ELNS1_3repE0EEENS1_30default_config_static_selectorELNS0_4arch9wavefront6targetE1EEEvT1_
; %bb.0:
	.section	.rodata,"a",@progbits
	.p2align	6, 0x0
	.amdhsa_kernel _ZN7rocprim17ROCPRIM_400000_NS6detail17trampoline_kernelINS0_14default_configENS1_25partition_config_selectorILNS1_17partition_subalgoE0ExNS0_10empty_typeEbEEZZNS1_14partition_implILS5_0ELb0ES3_jN6thrust23THRUST_200600_302600_NS6detail15normal_iteratorINSA_10device_ptrIxEEEEPS6_SG_NS0_5tupleIJSF_NSA_16discard_iteratorINSA_11use_defaultEEEEEENSH_IJSG_SG_EEES6_PlJ7is_evenIxEEEE10hipError_tPvRmT3_T4_T5_T6_T7_T9_mT8_P12ihipStream_tbDpT10_ENKUlT_T0_E_clISt17integral_constantIbLb1EES18_IbLb0EEEEDaS14_S15_EUlS14_E_NS1_11comp_targetILNS1_3genE4ELNS1_11target_archE910ELNS1_3gpuE8ELNS1_3repE0EEENS1_30default_config_static_selectorELNS0_4arch9wavefront6targetE1EEEvT1_
		.amdhsa_group_segment_fixed_size 0
		.amdhsa_private_segment_fixed_size 0
		.amdhsa_kernarg_size 128
		.amdhsa_user_sgpr_count 2
		.amdhsa_user_sgpr_dispatch_ptr 0
		.amdhsa_user_sgpr_queue_ptr 0
		.amdhsa_user_sgpr_kernarg_segment_ptr 1
		.amdhsa_user_sgpr_dispatch_id 0
		.amdhsa_user_sgpr_kernarg_preload_length 0
		.amdhsa_user_sgpr_kernarg_preload_offset 0
		.amdhsa_user_sgpr_private_segment_size 0
		.amdhsa_uses_dynamic_stack 0
		.amdhsa_enable_private_segment 0
		.amdhsa_system_sgpr_workgroup_id_x 1
		.amdhsa_system_sgpr_workgroup_id_y 0
		.amdhsa_system_sgpr_workgroup_id_z 0
		.amdhsa_system_sgpr_workgroup_info 0
		.amdhsa_system_vgpr_workitem_id 0
		.amdhsa_next_free_vgpr 1
		.amdhsa_next_free_sgpr 0
		.amdhsa_accum_offset 4
		.amdhsa_reserve_vcc 0
		.amdhsa_float_round_mode_32 0
		.amdhsa_float_round_mode_16_64 0
		.amdhsa_float_denorm_mode_32 3
		.amdhsa_float_denorm_mode_16_64 3
		.amdhsa_dx10_clamp 1
		.amdhsa_ieee_mode 1
		.amdhsa_fp16_overflow 0
		.amdhsa_tg_split 0
		.amdhsa_exception_fp_ieee_invalid_op 0
		.amdhsa_exception_fp_denorm_src 0
		.amdhsa_exception_fp_ieee_div_zero 0
		.amdhsa_exception_fp_ieee_overflow 0
		.amdhsa_exception_fp_ieee_underflow 0
		.amdhsa_exception_fp_ieee_inexact 0
		.amdhsa_exception_int_div_zero 0
	.end_amdhsa_kernel
	.section	.text._ZN7rocprim17ROCPRIM_400000_NS6detail17trampoline_kernelINS0_14default_configENS1_25partition_config_selectorILNS1_17partition_subalgoE0ExNS0_10empty_typeEbEEZZNS1_14partition_implILS5_0ELb0ES3_jN6thrust23THRUST_200600_302600_NS6detail15normal_iteratorINSA_10device_ptrIxEEEEPS6_SG_NS0_5tupleIJSF_NSA_16discard_iteratorINSA_11use_defaultEEEEEENSH_IJSG_SG_EEES6_PlJ7is_evenIxEEEE10hipError_tPvRmT3_T4_T5_T6_T7_T9_mT8_P12ihipStream_tbDpT10_ENKUlT_T0_E_clISt17integral_constantIbLb1EES18_IbLb0EEEEDaS14_S15_EUlS14_E_NS1_11comp_targetILNS1_3genE4ELNS1_11target_archE910ELNS1_3gpuE8ELNS1_3repE0EEENS1_30default_config_static_selectorELNS0_4arch9wavefront6targetE1EEEvT1_,"axG",@progbits,_ZN7rocprim17ROCPRIM_400000_NS6detail17trampoline_kernelINS0_14default_configENS1_25partition_config_selectorILNS1_17partition_subalgoE0ExNS0_10empty_typeEbEEZZNS1_14partition_implILS5_0ELb0ES3_jN6thrust23THRUST_200600_302600_NS6detail15normal_iteratorINSA_10device_ptrIxEEEEPS6_SG_NS0_5tupleIJSF_NSA_16discard_iteratorINSA_11use_defaultEEEEEENSH_IJSG_SG_EEES6_PlJ7is_evenIxEEEE10hipError_tPvRmT3_T4_T5_T6_T7_T9_mT8_P12ihipStream_tbDpT10_ENKUlT_T0_E_clISt17integral_constantIbLb1EES18_IbLb0EEEEDaS14_S15_EUlS14_E_NS1_11comp_targetILNS1_3genE4ELNS1_11target_archE910ELNS1_3gpuE8ELNS1_3repE0EEENS1_30default_config_static_selectorELNS0_4arch9wavefront6targetE1EEEvT1_,comdat
.Lfunc_end2637:
	.size	_ZN7rocprim17ROCPRIM_400000_NS6detail17trampoline_kernelINS0_14default_configENS1_25partition_config_selectorILNS1_17partition_subalgoE0ExNS0_10empty_typeEbEEZZNS1_14partition_implILS5_0ELb0ES3_jN6thrust23THRUST_200600_302600_NS6detail15normal_iteratorINSA_10device_ptrIxEEEEPS6_SG_NS0_5tupleIJSF_NSA_16discard_iteratorINSA_11use_defaultEEEEEENSH_IJSG_SG_EEES6_PlJ7is_evenIxEEEE10hipError_tPvRmT3_T4_T5_T6_T7_T9_mT8_P12ihipStream_tbDpT10_ENKUlT_T0_E_clISt17integral_constantIbLb1EES18_IbLb0EEEEDaS14_S15_EUlS14_E_NS1_11comp_targetILNS1_3genE4ELNS1_11target_archE910ELNS1_3gpuE8ELNS1_3repE0EEENS1_30default_config_static_selectorELNS0_4arch9wavefront6targetE1EEEvT1_, .Lfunc_end2637-_ZN7rocprim17ROCPRIM_400000_NS6detail17trampoline_kernelINS0_14default_configENS1_25partition_config_selectorILNS1_17partition_subalgoE0ExNS0_10empty_typeEbEEZZNS1_14partition_implILS5_0ELb0ES3_jN6thrust23THRUST_200600_302600_NS6detail15normal_iteratorINSA_10device_ptrIxEEEEPS6_SG_NS0_5tupleIJSF_NSA_16discard_iteratorINSA_11use_defaultEEEEEENSH_IJSG_SG_EEES6_PlJ7is_evenIxEEEE10hipError_tPvRmT3_T4_T5_T6_T7_T9_mT8_P12ihipStream_tbDpT10_ENKUlT_T0_E_clISt17integral_constantIbLb1EES18_IbLb0EEEEDaS14_S15_EUlS14_E_NS1_11comp_targetILNS1_3genE4ELNS1_11target_archE910ELNS1_3gpuE8ELNS1_3repE0EEENS1_30default_config_static_selectorELNS0_4arch9wavefront6targetE1EEEvT1_
                                        ; -- End function
	.section	.AMDGPU.csdata,"",@progbits
; Kernel info:
; codeLenInByte = 0
; NumSgprs: 6
; NumVgprs: 0
; NumAgprs: 0
; TotalNumVgprs: 0
; ScratchSize: 0
; MemoryBound: 0
; FloatMode: 240
; IeeeMode: 1
; LDSByteSize: 0 bytes/workgroup (compile time only)
; SGPRBlocks: 0
; VGPRBlocks: 0
; NumSGPRsForWavesPerEU: 6
; NumVGPRsForWavesPerEU: 1
; AccumOffset: 4
; Occupancy: 8
; WaveLimiterHint : 0
; COMPUTE_PGM_RSRC2:SCRATCH_EN: 0
; COMPUTE_PGM_RSRC2:USER_SGPR: 2
; COMPUTE_PGM_RSRC2:TRAP_HANDLER: 0
; COMPUTE_PGM_RSRC2:TGID_X_EN: 1
; COMPUTE_PGM_RSRC2:TGID_Y_EN: 0
; COMPUTE_PGM_RSRC2:TGID_Z_EN: 0
; COMPUTE_PGM_RSRC2:TIDIG_COMP_CNT: 0
; COMPUTE_PGM_RSRC3_GFX90A:ACCUM_OFFSET: 0
; COMPUTE_PGM_RSRC3_GFX90A:TG_SPLIT: 0
	.section	.text._ZN7rocprim17ROCPRIM_400000_NS6detail17trampoline_kernelINS0_14default_configENS1_25partition_config_selectorILNS1_17partition_subalgoE0ExNS0_10empty_typeEbEEZZNS1_14partition_implILS5_0ELb0ES3_jN6thrust23THRUST_200600_302600_NS6detail15normal_iteratorINSA_10device_ptrIxEEEEPS6_SG_NS0_5tupleIJSF_NSA_16discard_iteratorINSA_11use_defaultEEEEEENSH_IJSG_SG_EEES6_PlJ7is_evenIxEEEE10hipError_tPvRmT3_T4_T5_T6_T7_T9_mT8_P12ihipStream_tbDpT10_ENKUlT_T0_E_clISt17integral_constantIbLb1EES18_IbLb0EEEEDaS14_S15_EUlS14_E_NS1_11comp_targetILNS1_3genE3ELNS1_11target_archE908ELNS1_3gpuE7ELNS1_3repE0EEENS1_30default_config_static_selectorELNS0_4arch9wavefront6targetE1EEEvT1_,"axG",@progbits,_ZN7rocprim17ROCPRIM_400000_NS6detail17trampoline_kernelINS0_14default_configENS1_25partition_config_selectorILNS1_17partition_subalgoE0ExNS0_10empty_typeEbEEZZNS1_14partition_implILS5_0ELb0ES3_jN6thrust23THRUST_200600_302600_NS6detail15normal_iteratorINSA_10device_ptrIxEEEEPS6_SG_NS0_5tupleIJSF_NSA_16discard_iteratorINSA_11use_defaultEEEEEENSH_IJSG_SG_EEES6_PlJ7is_evenIxEEEE10hipError_tPvRmT3_T4_T5_T6_T7_T9_mT8_P12ihipStream_tbDpT10_ENKUlT_T0_E_clISt17integral_constantIbLb1EES18_IbLb0EEEEDaS14_S15_EUlS14_E_NS1_11comp_targetILNS1_3genE3ELNS1_11target_archE908ELNS1_3gpuE7ELNS1_3repE0EEENS1_30default_config_static_selectorELNS0_4arch9wavefront6targetE1EEEvT1_,comdat
	.protected	_ZN7rocprim17ROCPRIM_400000_NS6detail17trampoline_kernelINS0_14default_configENS1_25partition_config_selectorILNS1_17partition_subalgoE0ExNS0_10empty_typeEbEEZZNS1_14partition_implILS5_0ELb0ES3_jN6thrust23THRUST_200600_302600_NS6detail15normal_iteratorINSA_10device_ptrIxEEEEPS6_SG_NS0_5tupleIJSF_NSA_16discard_iteratorINSA_11use_defaultEEEEEENSH_IJSG_SG_EEES6_PlJ7is_evenIxEEEE10hipError_tPvRmT3_T4_T5_T6_T7_T9_mT8_P12ihipStream_tbDpT10_ENKUlT_T0_E_clISt17integral_constantIbLb1EES18_IbLb0EEEEDaS14_S15_EUlS14_E_NS1_11comp_targetILNS1_3genE3ELNS1_11target_archE908ELNS1_3gpuE7ELNS1_3repE0EEENS1_30default_config_static_selectorELNS0_4arch9wavefront6targetE1EEEvT1_ ; -- Begin function _ZN7rocprim17ROCPRIM_400000_NS6detail17trampoline_kernelINS0_14default_configENS1_25partition_config_selectorILNS1_17partition_subalgoE0ExNS0_10empty_typeEbEEZZNS1_14partition_implILS5_0ELb0ES3_jN6thrust23THRUST_200600_302600_NS6detail15normal_iteratorINSA_10device_ptrIxEEEEPS6_SG_NS0_5tupleIJSF_NSA_16discard_iteratorINSA_11use_defaultEEEEEENSH_IJSG_SG_EEES6_PlJ7is_evenIxEEEE10hipError_tPvRmT3_T4_T5_T6_T7_T9_mT8_P12ihipStream_tbDpT10_ENKUlT_T0_E_clISt17integral_constantIbLb1EES18_IbLb0EEEEDaS14_S15_EUlS14_E_NS1_11comp_targetILNS1_3genE3ELNS1_11target_archE908ELNS1_3gpuE7ELNS1_3repE0EEENS1_30default_config_static_selectorELNS0_4arch9wavefront6targetE1EEEvT1_
	.globl	_ZN7rocprim17ROCPRIM_400000_NS6detail17trampoline_kernelINS0_14default_configENS1_25partition_config_selectorILNS1_17partition_subalgoE0ExNS0_10empty_typeEbEEZZNS1_14partition_implILS5_0ELb0ES3_jN6thrust23THRUST_200600_302600_NS6detail15normal_iteratorINSA_10device_ptrIxEEEEPS6_SG_NS0_5tupleIJSF_NSA_16discard_iteratorINSA_11use_defaultEEEEEENSH_IJSG_SG_EEES6_PlJ7is_evenIxEEEE10hipError_tPvRmT3_T4_T5_T6_T7_T9_mT8_P12ihipStream_tbDpT10_ENKUlT_T0_E_clISt17integral_constantIbLb1EES18_IbLb0EEEEDaS14_S15_EUlS14_E_NS1_11comp_targetILNS1_3genE3ELNS1_11target_archE908ELNS1_3gpuE7ELNS1_3repE0EEENS1_30default_config_static_selectorELNS0_4arch9wavefront6targetE1EEEvT1_
	.p2align	8
	.type	_ZN7rocprim17ROCPRIM_400000_NS6detail17trampoline_kernelINS0_14default_configENS1_25partition_config_selectorILNS1_17partition_subalgoE0ExNS0_10empty_typeEbEEZZNS1_14partition_implILS5_0ELb0ES3_jN6thrust23THRUST_200600_302600_NS6detail15normal_iteratorINSA_10device_ptrIxEEEEPS6_SG_NS0_5tupleIJSF_NSA_16discard_iteratorINSA_11use_defaultEEEEEENSH_IJSG_SG_EEES6_PlJ7is_evenIxEEEE10hipError_tPvRmT3_T4_T5_T6_T7_T9_mT8_P12ihipStream_tbDpT10_ENKUlT_T0_E_clISt17integral_constantIbLb1EES18_IbLb0EEEEDaS14_S15_EUlS14_E_NS1_11comp_targetILNS1_3genE3ELNS1_11target_archE908ELNS1_3gpuE7ELNS1_3repE0EEENS1_30default_config_static_selectorELNS0_4arch9wavefront6targetE1EEEvT1_,@function
_ZN7rocprim17ROCPRIM_400000_NS6detail17trampoline_kernelINS0_14default_configENS1_25partition_config_selectorILNS1_17partition_subalgoE0ExNS0_10empty_typeEbEEZZNS1_14partition_implILS5_0ELb0ES3_jN6thrust23THRUST_200600_302600_NS6detail15normal_iteratorINSA_10device_ptrIxEEEEPS6_SG_NS0_5tupleIJSF_NSA_16discard_iteratorINSA_11use_defaultEEEEEENSH_IJSG_SG_EEES6_PlJ7is_evenIxEEEE10hipError_tPvRmT3_T4_T5_T6_T7_T9_mT8_P12ihipStream_tbDpT10_ENKUlT_T0_E_clISt17integral_constantIbLb1EES18_IbLb0EEEEDaS14_S15_EUlS14_E_NS1_11comp_targetILNS1_3genE3ELNS1_11target_archE908ELNS1_3gpuE7ELNS1_3repE0EEENS1_30default_config_static_selectorELNS0_4arch9wavefront6targetE1EEEvT1_: ; @_ZN7rocprim17ROCPRIM_400000_NS6detail17trampoline_kernelINS0_14default_configENS1_25partition_config_selectorILNS1_17partition_subalgoE0ExNS0_10empty_typeEbEEZZNS1_14partition_implILS5_0ELb0ES3_jN6thrust23THRUST_200600_302600_NS6detail15normal_iteratorINSA_10device_ptrIxEEEEPS6_SG_NS0_5tupleIJSF_NSA_16discard_iteratorINSA_11use_defaultEEEEEENSH_IJSG_SG_EEES6_PlJ7is_evenIxEEEE10hipError_tPvRmT3_T4_T5_T6_T7_T9_mT8_P12ihipStream_tbDpT10_ENKUlT_T0_E_clISt17integral_constantIbLb1EES18_IbLb0EEEEDaS14_S15_EUlS14_E_NS1_11comp_targetILNS1_3genE3ELNS1_11target_archE908ELNS1_3gpuE7ELNS1_3repE0EEENS1_30default_config_static_selectorELNS0_4arch9wavefront6targetE1EEEvT1_
; %bb.0:
	.section	.rodata,"a",@progbits
	.p2align	6, 0x0
	.amdhsa_kernel _ZN7rocprim17ROCPRIM_400000_NS6detail17trampoline_kernelINS0_14default_configENS1_25partition_config_selectorILNS1_17partition_subalgoE0ExNS0_10empty_typeEbEEZZNS1_14partition_implILS5_0ELb0ES3_jN6thrust23THRUST_200600_302600_NS6detail15normal_iteratorINSA_10device_ptrIxEEEEPS6_SG_NS0_5tupleIJSF_NSA_16discard_iteratorINSA_11use_defaultEEEEEENSH_IJSG_SG_EEES6_PlJ7is_evenIxEEEE10hipError_tPvRmT3_T4_T5_T6_T7_T9_mT8_P12ihipStream_tbDpT10_ENKUlT_T0_E_clISt17integral_constantIbLb1EES18_IbLb0EEEEDaS14_S15_EUlS14_E_NS1_11comp_targetILNS1_3genE3ELNS1_11target_archE908ELNS1_3gpuE7ELNS1_3repE0EEENS1_30default_config_static_selectorELNS0_4arch9wavefront6targetE1EEEvT1_
		.amdhsa_group_segment_fixed_size 0
		.amdhsa_private_segment_fixed_size 0
		.amdhsa_kernarg_size 128
		.amdhsa_user_sgpr_count 2
		.amdhsa_user_sgpr_dispatch_ptr 0
		.amdhsa_user_sgpr_queue_ptr 0
		.amdhsa_user_sgpr_kernarg_segment_ptr 1
		.amdhsa_user_sgpr_dispatch_id 0
		.amdhsa_user_sgpr_kernarg_preload_length 0
		.amdhsa_user_sgpr_kernarg_preload_offset 0
		.amdhsa_user_sgpr_private_segment_size 0
		.amdhsa_uses_dynamic_stack 0
		.amdhsa_enable_private_segment 0
		.amdhsa_system_sgpr_workgroup_id_x 1
		.amdhsa_system_sgpr_workgroup_id_y 0
		.amdhsa_system_sgpr_workgroup_id_z 0
		.amdhsa_system_sgpr_workgroup_info 0
		.amdhsa_system_vgpr_workitem_id 0
		.amdhsa_next_free_vgpr 1
		.amdhsa_next_free_sgpr 0
		.amdhsa_accum_offset 4
		.amdhsa_reserve_vcc 0
		.amdhsa_float_round_mode_32 0
		.amdhsa_float_round_mode_16_64 0
		.amdhsa_float_denorm_mode_32 3
		.amdhsa_float_denorm_mode_16_64 3
		.amdhsa_dx10_clamp 1
		.amdhsa_ieee_mode 1
		.amdhsa_fp16_overflow 0
		.amdhsa_tg_split 0
		.amdhsa_exception_fp_ieee_invalid_op 0
		.amdhsa_exception_fp_denorm_src 0
		.amdhsa_exception_fp_ieee_div_zero 0
		.amdhsa_exception_fp_ieee_overflow 0
		.amdhsa_exception_fp_ieee_underflow 0
		.amdhsa_exception_fp_ieee_inexact 0
		.amdhsa_exception_int_div_zero 0
	.end_amdhsa_kernel
	.section	.text._ZN7rocprim17ROCPRIM_400000_NS6detail17trampoline_kernelINS0_14default_configENS1_25partition_config_selectorILNS1_17partition_subalgoE0ExNS0_10empty_typeEbEEZZNS1_14partition_implILS5_0ELb0ES3_jN6thrust23THRUST_200600_302600_NS6detail15normal_iteratorINSA_10device_ptrIxEEEEPS6_SG_NS0_5tupleIJSF_NSA_16discard_iteratorINSA_11use_defaultEEEEEENSH_IJSG_SG_EEES6_PlJ7is_evenIxEEEE10hipError_tPvRmT3_T4_T5_T6_T7_T9_mT8_P12ihipStream_tbDpT10_ENKUlT_T0_E_clISt17integral_constantIbLb1EES18_IbLb0EEEEDaS14_S15_EUlS14_E_NS1_11comp_targetILNS1_3genE3ELNS1_11target_archE908ELNS1_3gpuE7ELNS1_3repE0EEENS1_30default_config_static_selectorELNS0_4arch9wavefront6targetE1EEEvT1_,"axG",@progbits,_ZN7rocprim17ROCPRIM_400000_NS6detail17trampoline_kernelINS0_14default_configENS1_25partition_config_selectorILNS1_17partition_subalgoE0ExNS0_10empty_typeEbEEZZNS1_14partition_implILS5_0ELb0ES3_jN6thrust23THRUST_200600_302600_NS6detail15normal_iteratorINSA_10device_ptrIxEEEEPS6_SG_NS0_5tupleIJSF_NSA_16discard_iteratorINSA_11use_defaultEEEEEENSH_IJSG_SG_EEES6_PlJ7is_evenIxEEEE10hipError_tPvRmT3_T4_T5_T6_T7_T9_mT8_P12ihipStream_tbDpT10_ENKUlT_T0_E_clISt17integral_constantIbLb1EES18_IbLb0EEEEDaS14_S15_EUlS14_E_NS1_11comp_targetILNS1_3genE3ELNS1_11target_archE908ELNS1_3gpuE7ELNS1_3repE0EEENS1_30default_config_static_selectorELNS0_4arch9wavefront6targetE1EEEvT1_,comdat
.Lfunc_end2638:
	.size	_ZN7rocprim17ROCPRIM_400000_NS6detail17trampoline_kernelINS0_14default_configENS1_25partition_config_selectorILNS1_17partition_subalgoE0ExNS0_10empty_typeEbEEZZNS1_14partition_implILS5_0ELb0ES3_jN6thrust23THRUST_200600_302600_NS6detail15normal_iteratorINSA_10device_ptrIxEEEEPS6_SG_NS0_5tupleIJSF_NSA_16discard_iteratorINSA_11use_defaultEEEEEENSH_IJSG_SG_EEES6_PlJ7is_evenIxEEEE10hipError_tPvRmT3_T4_T5_T6_T7_T9_mT8_P12ihipStream_tbDpT10_ENKUlT_T0_E_clISt17integral_constantIbLb1EES18_IbLb0EEEEDaS14_S15_EUlS14_E_NS1_11comp_targetILNS1_3genE3ELNS1_11target_archE908ELNS1_3gpuE7ELNS1_3repE0EEENS1_30default_config_static_selectorELNS0_4arch9wavefront6targetE1EEEvT1_, .Lfunc_end2638-_ZN7rocprim17ROCPRIM_400000_NS6detail17trampoline_kernelINS0_14default_configENS1_25partition_config_selectorILNS1_17partition_subalgoE0ExNS0_10empty_typeEbEEZZNS1_14partition_implILS5_0ELb0ES3_jN6thrust23THRUST_200600_302600_NS6detail15normal_iteratorINSA_10device_ptrIxEEEEPS6_SG_NS0_5tupleIJSF_NSA_16discard_iteratorINSA_11use_defaultEEEEEENSH_IJSG_SG_EEES6_PlJ7is_evenIxEEEE10hipError_tPvRmT3_T4_T5_T6_T7_T9_mT8_P12ihipStream_tbDpT10_ENKUlT_T0_E_clISt17integral_constantIbLb1EES18_IbLb0EEEEDaS14_S15_EUlS14_E_NS1_11comp_targetILNS1_3genE3ELNS1_11target_archE908ELNS1_3gpuE7ELNS1_3repE0EEENS1_30default_config_static_selectorELNS0_4arch9wavefront6targetE1EEEvT1_
                                        ; -- End function
	.section	.AMDGPU.csdata,"",@progbits
; Kernel info:
; codeLenInByte = 0
; NumSgprs: 6
; NumVgprs: 0
; NumAgprs: 0
; TotalNumVgprs: 0
; ScratchSize: 0
; MemoryBound: 0
; FloatMode: 240
; IeeeMode: 1
; LDSByteSize: 0 bytes/workgroup (compile time only)
; SGPRBlocks: 0
; VGPRBlocks: 0
; NumSGPRsForWavesPerEU: 6
; NumVGPRsForWavesPerEU: 1
; AccumOffset: 4
; Occupancy: 8
; WaveLimiterHint : 0
; COMPUTE_PGM_RSRC2:SCRATCH_EN: 0
; COMPUTE_PGM_RSRC2:USER_SGPR: 2
; COMPUTE_PGM_RSRC2:TRAP_HANDLER: 0
; COMPUTE_PGM_RSRC2:TGID_X_EN: 1
; COMPUTE_PGM_RSRC2:TGID_Y_EN: 0
; COMPUTE_PGM_RSRC2:TGID_Z_EN: 0
; COMPUTE_PGM_RSRC2:TIDIG_COMP_CNT: 0
; COMPUTE_PGM_RSRC3_GFX90A:ACCUM_OFFSET: 0
; COMPUTE_PGM_RSRC3_GFX90A:TG_SPLIT: 0
	.section	.text._ZN7rocprim17ROCPRIM_400000_NS6detail17trampoline_kernelINS0_14default_configENS1_25partition_config_selectorILNS1_17partition_subalgoE0ExNS0_10empty_typeEbEEZZNS1_14partition_implILS5_0ELb0ES3_jN6thrust23THRUST_200600_302600_NS6detail15normal_iteratorINSA_10device_ptrIxEEEEPS6_SG_NS0_5tupleIJSF_NSA_16discard_iteratorINSA_11use_defaultEEEEEENSH_IJSG_SG_EEES6_PlJ7is_evenIxEEEE10hipError_tPvRmT3_T4_T5_T6_T7_T9_mT8_P12ihipStream_tbDpT10_ENKUlT_T0_E_clISt17integral_constantIbLb1EES18_IbLb0EEEEDaS14_S15_EUlS14_E_NS1_11comp_targetILNS1_3genE2ELNS1_11target_archE906ELNS1_3gpuE6ELNS1_3repE0EEENS1_30default_config_static_selectorELNS0_4arch9wavefront6targetE1EEEvT1_,"axG",@progbits,_ZN7rocprim17ROCPRIM_400000_NS6detail17trampoline_kernelINS0_14default_configENS1_25partition_config_selectorILNS1_17partition_subalgoE0ExNS0_10empty_typeEbEEZZNS1_14partition_implILS5_0ELb0ES3_jN6thrust23THRUST_200600_302600_NS6detail15normal_iteratorINSA_10device_ptrIxEEEEPS6_SG_NS0_5tupleIJSF_NSA_16discard_iteratorINSA_11use_defaultEEEEEENSH_IJSG_SG_EEES6_PlJ7is_evenIxEEEE10hipError_tPvRmT3_T4_T5_T6_T7_T9_mT8_P12ihipStream_tbDpT10_ENKUlT_T0_E_clISt17integral_constantIbLb1EES18_IbLb0EEEEDaS14_S15_EUlS14_E_NS1_11comp_targetILNS1_3genE2ELNS1_11target_archE906ELNS1_3gpuE6ELNS1_3repE0EEENS1_30default_config_static_selectorELNS0_4arch9wavefront6targetE1EEEvT1_,comdat
	.protected	_ZN7rocprim17ROCPRIM_400000_NS6detail17trampoline_kernelINS0_14default_configENS1_25partition_config_selectorILNS1_17partition_subalgoE0ExNS0_10empty_typeEbEEZZNS1_14partition_implILS5_0ELb0ES3_jN6thrust23THRUST_200600_302600_NS6detail15normal_iteratorINSA_10device_ptrIxEEEEPS6_SG_NS0_5tupleIJSF_NSA_16discard_iteratorINSA_11use_defaultEEEEEENSH_IJSG_SG_EEES6_PlJ7is_evenIxEEEE10hipError_tPvRmT3_T4_T5_T6_T7_T9_mT8_P12ihipStream_tbDpT10_ENKUlT_T0_E_clISt17integral_constantIbLb1EES18_IbLb0EEEEDaS14_S15_EUlS14_E_NS1_11comp_targetILNS1_3genE2ELNS1_11target_archE906ELNS1_3gpuE6ELNS1_3repE0EEENS1_30default_config_static_selectorELNS0_4arch9wavefront6targetE1EEEvT1_ ; -- Begin function _ZN7rocprim17ROCPRIM_400000_NS6detail17trampoline_kernelINS0_14default_configENS1_25partition_config_selectorILNS1_17partition_subalgoE0ExNS0_10empty_typeEbEEZZNS1_14partition_implILS5_0ELb0ES3_jN6thrust23THRUST_200600_302600_NS6detail15normal_iteratorINSA_10device_ptrIxEEEEPS6_SG_NS0_5tupleIJSF_NSA_16discard_iteratorINSA_11use_defaultEEEEEENSH_IJSG_SG_EEES6_PlJ7is_evenIxEEEE10hipError_tPvRmT3_T4_T5_T6_T7_T9_mT8_P12ihipStream_tbDpT10_ENKUlT_T0_E_clISt17integral_constantIbLb1EES18_IbLb0EEEEDaS14_S15_EUlS14_E_NS1_11comp_targetILNS1_3genE2ELNS1_11target_archE906ELNS1_3gpuE6ELNS1_3repE0EEENS1_30default_config_static_selectorELNS0_4arch9wavefront6targetE1EEEvT1_
	.globl	_ZN7rocprim17ROCPRIM_400000_NS6detail17trampoline_kernelINS0_14default_configENS1_25partition_config_selectorILNS1_17partition_subalgoE0ExNS0_10empty_typeEbEEZZNS1_14partition_implILS5_0ELb0ES3_jN6thrust23THRUST_200600_302600_NS6detail15normal_iteratorINSA_10device_ptrIxEEEEPS6_SG_NS0_5tupleIJSF_NSA_16discard_iteratorINSA_11use_defaultEEEEEENSH_IJSG_SG_EEES6_PlJ7is_evenIxEEEE10hipError_tPvRmT3_T4_T5_T6_T7_T9_mT8_P12ihipStream_tbDpT10_ENKUlT_T0_E_clISt17integral_constantIbLb1EES18_IbLb0EEEEDaS14_S15_EUlS14_E_NS1_11comp_targetILNS1_3genE2ELNS1_11target_archE906ELNS1_3gpuE6ELNS1_3repE0EEENS1_30default_config_static_selectorELNS0_4arch9wavefront6targetE1EEEvT1_
	.p2align	8
	.type	_ZN7rocprim17ROCPRIM_400000_NS6detail17trampoline_kernelINS0_14default_configENS1_25partition_config_selectorILNS1_17partition_subalgoE0ExNS0_10empty_typeEbEEZZNS1_14partition_implILS5_0ELb0ES3_jN6thrust23THRUST_200600_302600_NS6detail15normal_iteratorINSA_10device_ptrIxEEEEPS6_SG_NS0_5tupleIJSF_NSA_16discard_iteratorINSA_11use_defaultEEEEEENSH_IJSG_SG_EEES6_PlJ7is_evenIxEEEE10hipError_tPvRmT3_T4_T5_T6_T7_T9_mT8_P12ihipStream_tbDpT10_ENKUlT_T0_E_clISt17integral_constantIbLb1EES18_IbLb0EEEEDaS14_S15_EUlS14_E_NS1_11comp_targetILNS1_3genE2ELNS1_11target_archE906ELNS1_3gpuE6ELNS1_3repE0EEENS1_30default_config_static_selectorELNS0_4arch9wavefront6targetE1EEEvT1_,@function
_ZN7rocprim17ROCPRIM_400000_NS6detail17trampoline_kernelINS0_14default_configENS1_25partition_config_selectorILNS1_17partition_subalgoE0ExNS0_10empty_typeEbEEZZNS1_14partition_implILS5_0ELb0ES3_jN6thrust23THRUST_200600_302600_NS6detail15normal_iteratorINSA_10device_ptrIxEEEEPS6_SG_NS0_5tupleIJSF_NSA_16discard_iteratorINSA_11use_defaultEEEEEENSH_IJSG_SG_EEES6_PlJ7is_evenIxEEEE10hipError_tPvRmT3_T4_T5_T6_T7_T9_mT8_P12ihipStream_tbDpT10_ENKUlT_T0_E_clISt17integral_constantIbLb1EES18_IbLb0EEEEDaS14_S15_EUlS14_E_NS1_11comp_targetILNS1_3genE2ELNS1_11target_archE906ELNS1_3gpuE6ELNS1_3repE0EEENS1_30default_config_static_selectorELNS0_4arch9wavefront6targetE1EEEvT1_: ; @_ZN7rocprim17ROCPRIM_400000_NS6detail17trampoline_kernelINS0_14default_configENS1_25partition_config_selectorILNS1_17partition_subalgoE0ExNS0_10empty_typeEbEEZZNS1_14partition_implILS5_0ELb0ES3_jN6thrust23THRUST_200600_302600_NS6detail15normal_iteratorINSA_10device_ptrIxEEEEPS6_SG_NS0_5tupleIJSF_NSA_16discard_iteratorINSA_11use_defaultEEEEEENSH_IJSG_SG_EEES6_PlJ7is_evenIxEEEE10hipError_tPvRmT3_T4_T5_T6_T7_T9_mT8_P12ihipStream_tbDpT10_ENKUlT_T0_E_clISt17integral_constantIbLb1EES18_IbLb0EEEEDaS14_S15_EUlS14_E_NS1_11comp_targetILNS1_3genE2ELNS1_11target_archE906ELNS1_3gpuE6ELNS1_3repE0EEENS1_30default_config_static_selectorELNS0_4arch9wavefront6targetE1EEEvT1_
; %bb.0:
	.section	.rodata,"a",@progbits
	.p2align	6, 0x0
	.amdhsa_kernel _ZN7rocprim17ROCPRIM_400000_NS6detail17trampoline_kernelINS0_14default_configENS1_25partition_config_selectorILNS1_17partition_subalgoE0ExNS0_10empty_typeEbEEZZNS1_14partition_implILS5_0ELb0ES3_jN6thrust23THRUST_200600_302600_NS6detail15normal_iteratorINSA_10device_ptrIxEEEEPS6_SG_NS0_5tupleIJSF_NSA_16discard_iteratorINSA_11use_defaultEEEEEENSH_IJSG_SG_EEES6_PlJ7is_evenIxEEEE10hipError_tPvRmT3_T4_T5_T6_T7_T9_mT8_P12ihipStream_tbDpT10_ENKUlT_T0_E_clISt17integral_constantIbLb1EES18_IbLb0EEEEDaS14_S15_EUlS14_E_NS1_11comp_targetILNS1_3genE2ELNS1_11target_archE906ELNS1_3gpuE6ELNS1_3repE0EEENS1_30default_config_static_selectorELNS0_4arch9wavefront6targetE1EEEvT1_
		.amdhsa_group_segment_fixed_size 0
		.amdhsa_private_segment_fixed_size 0
		.amdhsa_kernarg_size 128
		.amdhsa_user_sgpr_count 2
		.amdhsa_user_sgpr_dispatch_ptr 0
		.amdhsa_user_sgpr_queue_ptr 0
		.amdhsa_user_sgpr_kernarg_segment_ptr 1
		.amdhsa_user_sgpr_dispatch_id 0
		.amdhsa_user_sgpr_kernarg_preload_length 0
		.amdhsa_user_sgpr_kernarg_preload_offset 0
		.amdhsa_user_sgpr_private_segment_size 0
		.amdhsa_uses_dynamic_stack 0
		.amdhsa_enable_private_segment 0
		.amdhsa_system_sgpr_workgroup_id_x 1
		.amdhsa_system_sgpr_workgroup_id_y 0
		.amdhsa_system_sgpr_workgroup_id_z 0
		.amdhsa_system_sgpr_workgroup_info 0
		.amdhsa_system_vgpr_workitem_id 0
		.amdhsa_next_free_vgpr 1
		.amdhsa_next_free_sgpr 0
		.amdhsa_accum_offset 4
		.amdhsa_reserve_vcc 0
		.amdhsa_float_round_mode_32 0
		.amdhsa_float_round_mode_16_64 0
		.amdhsa_float_denorm_mode_32 3
		.amdhsa_float_denorm_mode_16_64 3
		.amdhsa_dx10_clamp 1
		.amdhsa_ieee_mode 1
		.amdhsa_fp16_overflow 0
		.amdhsa_tg_split 0
		.amdhsa_exception_fp_ieee_invalid_op 0
		.amdhsa_exception_fp_denorm_src 0
		.amdhsa_exception_fp_ieee_div_zero 0
		.amdhsa_exception_fp_ieee_overflow 0
		.amdhsa_exception_fp_ieee_underflow 0
		.amdhsa_exception_fp_ieee_inexact 0
		.amdhsa_exception_int_div_zero 0
	.end_amdhsa_kernel
	.section	.text._ZN7rocprim17ROCPRIM_400000_NS6detail17trampoline_kernelINS0_14default_configENS1_25partition_config_selectorILNS1_17partition_subalgoE0ExNS0_10empty_typeEbEEZZNS1_14partition_implILS5_0ELb0ES3_jN6thrust23THRUST_200600_302600_NS6detail15normal_iteratorINSA_10device_ptrIxEEEEPS6_SG_NS0_5tupleIJSF_NSA_16discard_iteratorINSA_11use_defaultEEEEEENSH_IJSG_SG_EEES6_PlJ7is_evenIxEEEE10hipError_tPvRmT3_T4_T5_T6_T7_T9_mT8_P12ihipStream_tbDpT10_ENKUlT_T0_E_clISt17integral_constantIbLb1EES18_IbLb0EEEEDaS14_S15_EUlS14_E_NS1_11comp_targetILNS1_3genE2ELNS1_11target_archE906ELNS1_3gpuE6ELNS1_3repE0EEENS1_30default_config_static_selectorELNS0_4arch9wavefront6targetE1EEEvT1_,"axG",@progbits,_ZN7rocprim17ROCPRIM_400000_NS6detail17trampoline_kernelINS0_14default_configENS1_25partition_config_selectorILNS1_17partition_subalgoE0ExNS0_10empty_typeEbEEZZNS1_14partition_implILS5_0ELb0ES3_jN6thrust23THRUST_200600_302600_NS6detail15normal_iteratorINSA_10device_ptrIxEEEEPS6_SG_NS0_5tupleIJSF_NSA_16discard_iteratorINSA_11use_defaultEEEEEENSH_IJSG_SG_EEES6_PlJ7is_evenIxEEEE10hipError_tPvRmT3_T4_T5_T6_T7_T9_mT8_P12ihipStream_tbDpT10_ENKUlT_T0_E_clISt17integral_constantIbLb1EES18_IbLb0EEEEDaS14_S15_EUlS14_E_NS1_11comp_targetILNS1_3genE2ELNS1_11target_archE906ELNS1_3gpuE6ELNS1_3repE0EEENS1_30default_config_static_selectorELNS0_4arch9wavefront6targetE1EEEvT1_,comdat
.Lfunc_end2639:
	.size	_ZN7rocprim17ROCPRIM_400000_NS6detail17trampoline_kernelINS0_14default_configENS1_25partition_config_selectorILNS1_17partition_subalgoE0ExNS0_10empty_typeEbEEZZNS1_14partition_implILS5_0ELb0ES3_jN6thrust23THRUST_200600_302600_NS6detail15normal_iteratorINSA_10device_ptrIxEEEEPS6_SG_NS0_5tupleIJSF_NSA_16discard_iteratorINSA_11use_defaultEEEEEENSH_IJSG_SG_EEES6_PlJ7is_evenIxEEEE10hipError_tPvRmT3_T4_T5_T6_T7_T9_mT8_P12ihipStream_tbDpT10_ENKUlT_T0_E_clISt17integral_constantIbLb1EES18_IbLb0EEEEDaS14_S15_EUlS14_E_NS1_11comp_targetILNS1_3genE2ELNS1_11target_archE906ELNS1_3gpuE6ELNS1_3repE0EEENS1_30default_config_static_selectorELNS0_4arch9wavefront6targetE1EEEvT1_, .Lfunc_end2639-_ZN7rocprim17ROCPRIM_400000_NS6detail17trampoline_kernelINS0_14default_configENS1_25partition_config_selectorILNS1_17partition_subalgoE0ExNS0_10empty_typeEbEEZZNS1_14partition_implILS5_0ELb0ES3_jN6thrust23THRUST_200600_302600_NS6detail15normal_iteratorINSA_10device_ptrIxEEEEPS6_SG_NS0_5tupleIJSF_NSA_16discard_iteratorINSA_11use_defaultEEEEEENSH_IJSG_SG_EEES6_PlJ7is_evenIxEEEE10hipError_tPvRmT3_T4_T5_T6_T7_T9_mT8_P12ihipStream_tbDpT10_ENKUlT_T0_E_clISt17integral_constantIbLb1EES18_IbLb0EEEEDaS14_S15_EUlS14_E_NS1_11comp_targetILNS1_3genE2ELNS1_11target_archE906ELNS1_3gpuE6ELNS1_3repE0EEENS1_30default_config_static_selectorELNS0_4arch9wavefront6targetE1EEEvT1_
                                        ; -- End function
	.section	.AMDGPU.csdata,"",@progbits
; Kernel info:
; codeLenInByte = 0
; NumSgprs: 6
; NumVgprs: 0
; NumAgprs: 0
; TotalNumVgprs: 0
; ScratchSize: 0
; MemoryBound: 0
; FloatMode: 240
; IeeeMode: 1
; LDSByteSize: 0 bytes/workgroup (compile time only)
; SGPRBlocks: 0
; VGPRBlocks: 0
; NumSGPRsForWavesPerEU: 6
; NumVGPRsForWavesPerEU: 1
; AccumOffset: 4
; Occupancy: 8
; WaveLimiterHint : 0
; COMPUTE_PGM_RSRC2:SCRATCH_EN: 0
; COMPUTE_PGM_RSRC2:USER_SGPR: 2
; COMPUTE_PGM_RSRC2:TRAP_HANDLER: 0
; COMPUTE_PGM_RSRC2:TGID_X_EN: 1
; COMPUTE_PGM_RSRC2:TGID_Y_EN: 0
; COMPUTE_PGM_RSRC2:TGID_Z_EN: 0
; COMPUTE_PGM_RSRC2:TIDIG_COMP_CNT: 0
; COMPUTE_PGM_RSRC3_GFX90A:ACCUM_OFFSET: 0
; COMPUTE_PGM_RSRC3_GFX90A:TG_SPLIT: 0
	.section	.text._ZN7rocprim17ROCPRIM_400000_NS6detail17trampoline_kernelINS0_14default_configENS1_25partition_config_selectorILNS1_17partition_subalgoE0ExNS0_10empty_typeEbEEZZNS1_14partition_implILS5_0ELb0ES3_jN6thrust23THRUST_200600_302600_NS6detail15normal_iteratorINSA_10device_ptrIxEEEEPS6_SG_NS0_5tupleIJSF_NSA_16discard_iteratorINSA_11use_defaultEEEEEENSH_IJSG_SG_EEES6_PlJ7is_evenIxEEEE10hipError_tPvRmT3_T4_T5_T6_T7_T9_mT8_P12ihipStream_tbDpT10_ENKUlT_T0_E_clISt17integral_constantIbLb1EES18_IbLb0EEEEDaS14_S15_EUlS14_E_NS1_11comp_targetILNS1_3genE10ELNS1_11target_archE1200ELNS1_3gpuE4ELNS1_3repE0EEENS1_30default_config_static_selectorELNS0_4arch9wavefront6targetE1EEEvT1_,"axG",@progbits,_ZN7rocprim17ROCPRIM_400000_NS6detail17trampoline_kernelINS0_14default_configENS1_25partition_config_selectorILNS1_17partition_subalgoE0ExNS0_10empty_typeEbEEZZNS1_14partition_implILS5_0ELb0ES3_jN6thrust23THRUST_200600_302600_NS6detail15normal_iteratorINSA_10device_ptrIxEEEEPS6_SG_NS0_5tupleIJSF_NSA_16discard_iteratorINSA_11use_defaultEEEEEENSH_IJSG_SG_EEES6_PlJ7is_evenIxEEEE10hipError_tPvRmT3_T4_T5_T6_T7_T9_mT8_P12ihipStream_tbDpT10_ENKUlT_T0_E_clISt17integral_constantIbLb1EES18_IbLb0EEEEDaS14_S15_EUlS14_E_NS1_11comp_targetILNS1_3genE10ELNS1_11target_archE1200ELNS1_3gpuE4ELNS1_3repE0EEENS1_30default_config_static_selectorELNS0_4arch9wavefront6targetE1EEEvT1_,comdat
	.protected	_ZN7rocprim17ROCPRIM_400000_NS6detail17trampoline_kernelINS0_14default_configENS1_25partition_config_selectorILNS1_17partition_subalgoE0ExNS0_10empty_typeEbEEZZNS1_14partition_implILS5_0ELb0ES3_jN6thrust23THRUST_200600_302600_NS6detail15normal_iteratorINSA_10device_ptrIxEEEEPS6_SG_NS0_5tupleIJSF_NSA_16discard_iteratorINSA_11use_defaultEEEEEENSH_IJSG_SG_EEES6_PlJ7is_evenIxEEEE10hipError_tPvRmT3_T4_T5_T6_T7_T9_mT8_P12ihipStream_tbDpT10_ENKUlT_T0_E_clISt17integral_constantIbLb1EES18_IbLb0EEEEDaS14_S15_EUlS14_E_NS1_11comp_targetILNS1_3genE10ELNS1_11target_archE1200ELNS1_3gpuE4ELNS1_3repE0EEENS1_30default_config_static_selectorELNS0_4arch9wavefront6targetE1EEEvT1_ ; -- Begin function _ZN7rocprim17ROCPRIM_400000_NS6detail17trampoline_kernelINS0_14default_configENS1_25partition_config_selectorILNS1_17partition_subalgoE0ExNS0_10empty_typeEbEEZZNS1_14partition_implILS5_0ELb0ES3_jN6thrust23THRUST_200600_302600_NS6detail15normal_iteratorINSA_10device_ptrIxEEEEPS6_SG_NS0_5tupleIJSF_NSA_16discard_iteratorINSA_11use_defaultEEEEEENSH_IJSG_SG_EEES6_PlJ7is_evenIxEEEE10hipError_tPvRmT3_T4_T5_T6_T7_T9_mT8_P12ihipStream_tbDpT10_ENKUlT_T0_E_clISt17integral_constantIbLb1EES18_IbLb0EEEEDaS14_S15_EUlS14_E_NS1_11comp_targetILNS1_3genE10ELNS1_11target_archE1200ELNS1_3gpuE4ELNS1_3repE0EEENS1_30default_config_static_selectorELNS0_4arch9wavefront6targetE1EEEvT1_
	.globl	_ZN7rocprim17ROCPRIM_400000_NS6detail17trampoline_kernelINS0_14default_configENS1_25partition_config_selectorILNS1_17partition_subalgoE0ExNS0_10empty_typeEbEEZZNS1_14partition_implILS5_0ELb0ES3_jN6thrust23THRUST_200600_302600_NS6detail15normal_iteratorINSA_10device_ptrIxEEEEPS6_SG_NS0_5tupleIJSF_NSA_16discard_iteratorINSA_11use_defaultEEEEEENSH_IJSG_SG_EEES6_PlJ7is_evenIxEEEE10hipError_tPvRmT3_T4_T5_T6_T7_T9_mT8_P12ihipStream_tbDpT10_ENKUlT_T0_E_clISt17integral_constantIbLb1EES18_IbLb0EEEEDaS14_S15_EUlS14_E_NS1_11comp_targetILNS1_3genE10ELNS1_11target_archE1200ELNS1_3gpuE4ELNS1_3repE0EEENS1_30default_config_static_selectorELNS0_4arch9wavefront6targetE1EEEvT1_
	.p2align	8
	.type	_ZN7rocprim17ROCPRIM_400000_NS6detail17trampoline_kernelINS0_14default_configENS1_25partition_config_selectorILNS1_17partition_subalgoE0ExNS0_10empty_typeEbEEZZNS1_14partition_implILS5_0ELb0ES3_jN6thrust23THRUST_200600_302600_NS6detail15normal_iteratorINSA_10device_ptrIxEEEEPS6_SG_NS0_5tupleIJSF_NSA_16discard_iteratorINSA_11use_defaultEEEEEENSH_IJSG_SG_EEES6_PlJ7is_evenIxEEEE10hipError_tPvRmT3_T4_T5_T6_T7_T9_mT8_P12ihipStream_tbDpT10_ENKUlT_T0_E_clISt17integral_constantIbLb1EES18_IbLb0EEEEDaS14_S15_EUlS14_E_NS1_11comp_targetILNS1_3genE10ELNS1_11target_archE1200ELNS1_3gpuE4ELNS1_3repE0EEENS1_30default_config_static_selectorELNS0_4arch9wavefront6targetE1EEEvT1_,@function
_ZN7rocprim17ROCPRIM_400000_NS6detail17trampoline_kernelINS0_14default_configENS1_25partition_config_selectorILNS1_17partition_subalgoE0ExNS0_10empty_typeEbEEZZNS1_14partition_implILS5_0ELb0ES3_jN6thrust23THRUST_200600_302600_NS6detail15normal_iteratorINSA_10device_ptrIxEEEEPS6_SG_NS0_5tupleIJSF_NSA_16discard_iteratorINSA_11use_defaultEEEEEENSH_IJSG_SG_EEES6_PlJ7is_evenIxEEEE10hipError_tPvRmT3_T4_T5_T6_T7_T9_mT8_P12ihipStream_tbDpT10_ENKUlT_T0_E_clISt17integral_constantIbLb1EES18_IbLb0EEEEDaS14_S15_EUlS14_E_NS1_11comp_targetILNS1_3genE10ELNS1_11target_archE1200ELNS1_3gpuE4ELNS1_3repE0EEENS1_30default_config_static_selectorELNS0_4arch9wavefront6targetE1EEEvT1_: ; @_ZN7rocprim17ROCPRIM_400000_NS6detail17trampoline_kernelINS0_14default_configENS1_25partition_config_selectorILNS1_17partition_subalgoE0ExNS0_10empty_typeEbEEZZNS1_14partition_implILS5_0ELb0ES3_jN6thrust23THRUST_200600_302600_NS6detail15normal_iteratorINSA_10device_ptrIxEEEEPS6_SG_NS0_5tupleIJSF_NSA_16discard_iteratorINSA_11use_defaultEEEEEENSH_IJSG_SG_EEES6_PlJ7is_evenIxEEEE10hipError_tPvRmT3_T4_T5_T6_T7_T9_mT8_P12ihipStream_tbDpT10_ENKUlT_T0_E_clISt17integral_constantIbLb1EES18_IbLb0EEEEDaS14_S15_EUlS14_E_NS1_11comp_targetILNS1_3genE10ELNS1_11target_archE1200ELNS1_3gpuE4ELNS1_3repE0EEENS1_30default_config_static_selectorELNS0_4arch9wavefront6targetE1EEEvT1_
; %bb.0:
	.section	.rodata,"a",@progbits
	.p2align	6, 0x0
	.amdhsa_kernel _ZN7rocprim17ROCPRIM_400000_NS6detail17trampoline_kernelINS0_14default_configENS1_25partition_config_selectorILNS1_17partition_subalgoE0ExNS0_10empty_typeEbEEZZNS1_14partition_implILS5_0ELb0ES3_jN6thrust23THRUST_200600_302600_NS6detail15normal_iteratorINSA_10device_ptrIxEEEEPS6_SG_NS0_5tupleIJSF_NSA_16discard_iteratorINSA_11use_defaultEEEEEENSH_IJSG_SG_EEES6_PlJ7is_evenIxEEEE10hipError_tPvRmT3_T4_T5_T6_T7_T9_mT8_P12ihipStream_tbDpT10_ENKUlT_T0_E_clISt17integral_constantIbLb1EES18_IbLb0EEEEDaS14_S15_EUlS14_E_NS1_11comp_targetILNS1_3genE10ELNS1_11target_archE1200ELNS1_3gpuE4ELNS1_3repE0EEENS1_30default_config_static_selectorELNS0_4arch9wavefront6targetE1EEEvT1_
		.amdhsa_group_segment_fixed_size 0
		.amdhsa_private_segment_fixed_size 0
		.amdhsa_kernarg_size 128
		.amdhsa_user_sgpr_count 2
		.amdhsa_user_sgpr_dispatch_ptr 0
		.amdhsa_user_sgpr_queue_ptr 0
		.amdhsa_user_sgpr_kernarg_segment_ptr 1
		.amdhsa_user_sgpr_dispatch_id 0
		.amdhsa_user_sgpr_kernarg_preload_length 0
		.amdhsa_user_sgpr_kernarg_preload_offset 0
		.amdhsa_user_sgpr_private_segment_size 0
		.amdhsa_uses_dynamic_stack 0
		.amdhsa_enable_private_segment 0
		.amdhsa_system_sgpr_workgroup_id_x 1
		.amdhsa_system_sgpr_workgroup_id_y 0
		.amdhsa_system_sgpr_workgroup_id_z 0
		.amdhsa_system_sgpr_workgroup_info 0
		.amdhsa_system_vgpr_workitem_id 0
		.amdhsa_next_free_vgpr 1
		.amdhsa_next_free_sgpr 0
		.amdhsa_accum_offset 4
		.amdhsa_reserve_vcc 0
		.amdhsa_float_round_mode_32 0
		.amdhsa_float_round_mode_16_64 0
		.amdhsa_float_denorm_mode_32 3
		.amdhsa_float_denorm_mode_16_64 3
		.amdhsa_dx10_clamp 1
		.amdhsa_ieee_mode 1
		.amdhsa_fp16_overflow 0
		.amdhsa_tg_split 0
		.amdhsa_exception_fp_ieee_invalid_op 0
		.amdhsa_exception_fp_denorm_src 0
		.amdhsa_exception_fp_ieee_div_zero 0
		.amdhsa_exception_fp_ieee_overflow 0
		.amdhsa_exception_fp_ieee_underflow 0
		.amdhsa_exception_fp_ieee_inexact 0
		.amdhsa_exception_int_div_zero 0
	.end_amdhsa_kernel
	.section	.text._ZN7rocprim17ROCPRIM_400000_NS6detail17trampoline_kernelINS0_14default_configENS1_25partition_config_selectorILNS1_17partition_subalgoE0ExNS0_10empty_typeEbEEZZNS1_14partition_implILS5_0ELb0ES3_jN6thrust23THRUST_200600_302600_NS6detail15normal_iteratorINSA_10device_ptrIxEEEEPS6_SG_NS0_5tupleIJSF_NSA_16discard_iteratorINSA_11use_defaultEEEEEENSH_IJSG_SG_EEES6_PlJ7is_evenIxEEEE10hipError_tPvRmT3_T4_T5_T6_T7_T9_mT8_P12ihipStream_tbDpT10_ENKUlT_T0_E_clISt17integral_constantIbLb1EES18_IbLb0EEEEDaS14_S15_EUlS14_E_NS1_11comp_targetILNS1_3genE10ELNS1_11target_archE1200ELNS1_3gpuE4ELNS1_3repE0EEENS1_30default_config_static_selectorELNS0_4arch9wavefront6targetE1EEEvT1_,"axG",@progbits,_ZN7rocprim17ROCPRIM_400000_NS6detail17trampoline_kernelINS0_14default_configENS1_25partition_config_selectorILNS1_17partition_subalgoE0ExNS0_10empty_typeEbEEZZNS1_14partition_implILS5_0ELb0ES3_jN6thrust23THRUST_200600_302600_NS6detail15normal_iteratorINSA_10device_ptrIxEEEEPS6_SG_NS0_5tupleIJSF_NSA_16discard_iteratorINSA_11use_defaultEEEEEENSH_IJSG_SG_EEES6_PlJ7is_evenIxEEEE10hipError_tPvRmT3_T4_T5_T6_T7_T9_mT8_P12ihipStream_tbDpT10_ENKUlT_T0_E_clISt17integral_constantIbLb1EES18_IbLb0EEEEDaS14_S15_EUlS14_E_NS1_11comp_targetILNS1_3genE10ELNS1_11target_archE1200ELNS1_3gpuE4ELNS1_3repE0EEENS1_30default_config_static_selectorELNS0_4arch9wavefront6targetE1EEEvT1_,comdat
.Lfunc_end2640:
	.size	_ZN7rocprim17ROCPRIM_400000_NS6detail17trampoline_kernelINS0_14default_configENS1_25partition_config_selectorILNS1_17partition_subalgoE0ExNS0_10empty_typeEbEEZZNS1_14partition_implILS5_0ELb0ES3_jN6thrust23THRUST_200600_302600_NS6detail15normal_iteratorINSA_10device_ptrIxEEEEPS6_SG_NS0_5tupleIJSF_NSA_16discard_iteratorINSA_11use_defaultEEEEEENSH_IJSG_SG_EEES6_PlJ7is_evenIxEEEE10hipError_tPvRmT3_T4_T5_T6_T7_T9_mT8_P12ihipStream_tbDpT10_ENKUlT_T0_E_clISt17integral_constantIbLb1EES18_IbLb0EEEEDaS14_S15_EUlS14_E_NS1_11comp_targetILNS1_3genE10ELNS1_11target_archE1200ELNS1_3gpuE4ELNS1_3repE0EEENS1_30default_config_static_selectorELNS0_4arch9wavefront6targetE1EEEvT1_, .Lfunc_end2640-_ZN7rocprim17ROCPRIM_400000_NS6detail17trampoline_kernelINS0_14default_configENS1_25partition_config_selectorILNS1_17partition_subalgoE0ExNS0_10empty_typeEbEEZZNS1_14partition_implILS5_0ELb0ES3_jN6thrust23THRUST_200600_302600_NS6detail15normal_iteratorINSA_10device_ptrIxEEEEPS6_SG_NS0_5tupleIJSF_NSA_16discard_iteratorINSA_11use_defaultEEEEEENSH_IJSG_SG_EEES6_PlJ7is_evenIxEEEE10hipError_tPvRmT3_T4_T5_T6_T7_T9_mT8_P12ihipStream_tbDpT10_ENKUlT_T0_E_clISt17integral_constantIbLb1EES18_IbLb0EEEEDaS14_S15_EUlS14_E_NS1_11comp_targetILNS1_3genE10ELNS1_11target_archE1200ELNS1_3gpuE4ELNS1_3repE0EEENS1_30default_config_static_selectorELNS0_4arch9wavefront6targetE1EEEvT1_
                                        ; -- End function
	.section	.AMDGPU.csdata,"",@progbits
; Kernel info:
; codeLenInByte = 0
; NumSgprs: 6
; NumVgprs: 0
; NumAgprs: 0
; TotalNumVgprs: 0
; ScratchSize: 0
; MemoryBound: 0
; FloatMode: 240
; IeeeMode: 1
; LDSByteSize: 0 bytes/workgroup (compile time only)
; SGPRBlocks: 0
; VGPRBlocks: 0
; NumSGPRsForWavesPerEU: 6
; NumVGPRsForWavesPerEU: 1
; AccumOffset: 4
; Occupancy: 8
; WaveLimiterHint : 0
; COMPUTE_PGM_RSRC2:SCRATCH_EN: 0
; COMPUTE_PGM_RSRC2:USER_SGPR: 2
; COMPUTE_PGM_RSRC2:TRAP_HANDLER: 0
; COMPUTE_PGM_RSRC2:TGID_X_EN: 1
; COMPUTE_PGM_RSRC2:TGID_Y_EN: 0
; COMPUTE_PGM_RSRC2:TGID_Z_EN: 0
; COMPUTE_PGM_RSRC2:TIDIG_COMP_CNT: 0
; COMPUTE_PGM_RSRC3_GFX90A:ACCUM_OFFSET: 0
; COMPUTE_PGM_RSRC3_GFX90A:TG_SPLIT: 0
	.section	.text._ZN7rocprim17ROCPRIM_400000_NS6detail17trampoline_kernelINS0_14default_configENS1_25partition_config_selectorILNS1_17partition_subalgoE0ExNS0_10empty_typeEbEEZZNS1_14partition_implILS5_0ELb0ES3_jN6thrust23THRUST_200600_302600_NS6detail15normal_iteratorINSA_10device_ptrIxEEEEPS6_SG_NS0_5tupleIJSF_NSA_16discard_iteratorINSA_11use_defaultEEEEEENSH_IJSG_SG_EEES6_PlJ7is_evenIxEEEE10hipError_tPvRmT3_T4_T5_T6_T7_T9_mT8_P12ihipStream_tbDpT10_ENKUlT_T0_E_clISt17integral_constantIbLb1EES18_IbLb0EEEEDaS14_S15_EUlS14_E_NS1_11comp_targetILNS1_3genE9ELNS1_11target_archE1100ELNS1_3gpuE3ELNS1_3repE0EEENS1_30default_config_static_selectorELNS0_4arch9wavefront6targetE1EEEvT1_,"axG",@progbits,_ZN7rocprim17ROCPRIM_400000_NS6detail17trampoline_kernelINS0_14default_configENS1_25partition_config_selectorILNS1_17partition_subalgoE0ExNS0_10empty_typeEbEEZZNS1_14partition_implILS5_0ELb0ES3_jN6thrust23THRUST_200600_302600_NS6detail15normal_iteratorINSA_10device_ptrIxEEEEPS6_SG_NS0_5tupleIJSF_NSA_16discard_iteratorINSA_11use_defaultEEEEEENSH_IJSG_SG_EEES6_PlJ7is_evenIxEEEE10hipError_tPvRmT3_T4_T5_T6_T7_T9_mT8_P12ihipStream_tbDpT10_ENKUlT_T0_E_clISt17integral_constantIbLb1EES18_IbLb0EEEEDaS14_S15_EUlS14_E_NS1_11comp_targetILNS1_3genE9ELNS1_11target_archE1100ELNS1_3gpuE3ELNS1_3repE0EEENS1_30default_config_static_selectorELNS0_4arch9wavefront6targetE1EEEvT1_,comdat
	.protected	_ZN7rocprim17ROCPRIM_400000_NS6detail17trampoline_kernelINS0_14default_configENS1_25partition_config_selectorILNS1_17partition_subalgoE0ExNS0_10empty_typeEbEEZZNS1_14partition_implILS5_0ELb0ES3_jN6thrust23THRUST_200600_302600_NS6detail15normal_iteratorINSA_10device_ptrIxEEEEPS6_SG_NS0_5tupleIJSF_NSA_16discard_iteratorINSA_11use_defaultEEEEEENSH_IJSG_SG_EEES6_PlJ7is_evenIxEEEE10hipError_tPvRmT3_T4_T5_T6_T7_T9_mT8_P12ihipStream_tbDpT10_ENKUlT_T0_E_clISt17integral_constantIbLb1EES18_IbLb0EEEEDaS14_S15_EUlS14_E_NS1_11comp_targetILNS1_3genE9ELNS1_11target_archE1100ELNS1_3gpuE3ELNS1_3repE0EEENS1_30default_config_static_selectorELNS0_4arch9wavefront6targetE1EEEvT1_ ; -- Begin function _ZN7rocprim17ROCPRIM_400000_NS6detail17trampoline_kernelINS0_14default_configENS1_25partition_config_selectorILNS1_17partition_subalgoE0ExNS0_10empty_typeEbEEZZNS1_14partition_implILS5_0ELb0ES3_jN6thrust23THRUST_200600_302600_NS6detail15normal_iteratorINSA_10device_ptrIxEEEEPS6_SG_NS0_5tupleIJSF_NSA_16discard_iteratorINSA_11use_defaultEEEEEENSH_IJSG_SG_EEES6_PlJ7is_evenIxEEEE10hipError_tPvRmT3_T4_T5_T6_T7_T9_mT8_P12ihipStream_tbDpT10_ENKUlT_T0_E_clISt17integral_constantIbLb1EES18_IbLb0EEEEDaS14_S15_EUlS14_E_NS1_11comp_targetILNS1_3genE9ELNS1_11target_archE1100ELNS1_3gpuE3ELNS1_3repE0EEENS1_30default_config_static_selectorELNS0_4arch9wavefront6targetE1EEEvT1_
	.globl	_ZN7rocprim17ROCPRIM_400000_NS6detail17trampoline_kernelINS0_14default_configENS1_25partition_config_selectorILNS1_17partition_subalgoE0ExNS0_10empty_typeEbEEZZNS1_14partition_implILS5_0ELb0ES3_jN6thrust23THRUST_200600_302600_NS6detail15normal_iteratorINSA_10device_ptrIxEEEEPS6_SG_NS0_5tupleIJSF_NSA_16discard_iteratorINSA_11use_defaultEEEEEENSH_IJSG_SG_EEES6_PlJ7is_evenIxEEEE10hipError_tPvRmT3_T4_T5_T6_T7_T9_mT8_P12ihipStream_tbDpT10_ENKUlT_T0_E_clISt17integral_constantIbLb1EES18_IbLb0EEEEDaS14_S15_EUlS14_E_NS1_11comp_targetILNS1_3genE9ELNS1_11target_archE1100ELNS1_3gpuE3ELNS1_3repE0EEENS1_30default_config_static_selectorELNS0_4arch9wavefront6targetE1EEEvT1_
	.p2align	8
	.type	_ZN7rocprim17ROCPRIM_400000_NS6detail17trampoline_kernelINS0_14default_configENS1_25partition_config_selectorILNS1_17partition_subalgoE0ExNS0_10empty_typeEbEEZZNS1_14partition_implILS5_0ELb0ES3_jN6thrust23THRUST_200600_302600_NS6detail15normal_iteratorINSA_10device_ptrIxEEEEPS6_SG_NS0_5tupleIJSF_NSA_16discard_iteratorINSA_11use_defaultEEEEEENSH_IJSG_SG_EEES6_PlJ7is_evenIxEEEE10hipError_tPvRmT3_T4_T5_T6_T7_T9_mT8_P12ihipStream_tbDpT10_ENKUlT_T0_E_clISt17integral_constantIbLb1EES18_IbLb0EEEEDaS14_S15_EUlS14_E_NS1_11comp_targetILNS1_3genE9ELNS1_11target_archE1100ELNS1_3gpuE3ELNS1_3repE0EEENS1_30default_config_static_selectorELNS0_4arch9wavefront6targetE1EEEvT1_,@function
_ZN7rocprim17ROCPRIM_400000_NS6detail17trampoline_kernelINS0_14default_configENS1_25partition_config_selectorILNS1_17partition_subalgoE0ExNS0_10empty_typeEbEEZZNS1_14partition_implILS5_0ELb0ES3_jN6thrust23THRUST_200600_302600_NS6detail15normal_iteratorINSA_10device_ptrIxEEEEPS6_SG_NS0_5tupleIJSF_NSA_16discard_iteratorINSA_11use_defaultEEEEEENSH_IJSG_SG_EEES6_PlJ7is_evenIxEEEE10hipError_tPvRmT3_T4_T5_T6_T7_T9_mT8_P12ihipStream_tbDpT10_ENKUlT_T0_E_clISt17integral_constantIbLb1EES18_IbLb0EEEEDaS14_S15_EUlS14_E_NS1_11comp_targetILNS1_3genE9ELNS1_11target_archE1100ELNS1_3gpuE3ELNS1_3repE0EEENS1_30default_config_static_selectorELNS0_4arch9wavefront6targetE1EEEvT1_: ; @_ZN7rocprim17ROCPRIM_400000_NS6detail17trampoline_kernelINS0_14default_configENS1_25partition_config_selectorILNS1_17partition_subalgoE0ExNS0_10empty_typeEbEEZZNS1_14partition_implILS5_0ELb0ES3_jN6thrust23THRUST_200600_302600_NS6detail15normal_iteratorINSA_10device_ptrIxEEEEPS6_SG_NS0_5tupleIJSF_NSA_16discard_iteratorINSA_11use_defaultEEEEEENSH_IJSG_SG_EEES6_PlJ7is_evenIxEEEE10hipError_tPvRmT3_T4_T5_T6_T7_T9_mT8_P12ihipStream_tbDpT10_ENKUlT_T0_E_clISt17integral_constantIbLb1EES18_IbLb0EEEEDaS14_S15_EUlS14_E_NS1_11comp_targetILNS1_3genE9ELNS1_11target_archE1100ELNS1_3gpuE3ELNS1_3repE0EEENS1_30default_config_static_selectorELNS0_4arch9wavefront6targetE1EEEvT1_
; %bb.0:
	.section	.rodata,"a",@progbits
	.p2align	6, 0x0
	.amdhsa_kernel _ZN7rocprim17ROCPRIM_400000_NS6detail17trampoline_kernelINS0_14default_configENS1_25partition_config_selectorILNS1_17partition_subalgoE0ExNS0_10empty_typeEbEEZZNS1_14partition_implILS5_0ELb0ES3_jN6thrust23THRUST_200600_302600_NS6detail15normal_iteratorINSA_10device_ptrIxEEEEPS6_SG_NS0_5tupleIJSF_NSA_16discard_iteratorINSA_11use_defaultEEEEEENSH_IJSG_SG_EEES6_PlJ7is_evenIxEEEE10hipError_tPvRmT3_T4_T5_T6_T7_T9_mT8_P12ihipStream_tbDpT10_ENKUlT_T0_E_clISt17integral_constantIbLb1EES18_IbLb0EEEEDaS14_S15_EUlS14_E_NS1_11comp_targetILNS1_3genE9ELNS1_11target_archE1100ELNS1_3gpuE3ELNS1_3repE0EEENS1_30default_config_static_selectorELNS0_4arch9wavefront6targetE1EEEvT1_
		.amdhsa_group_segment_fixed_size 0
		.amdhsa_private_segment_fixed_size 0
		.amdhsa_kernarg_size 128
		.amdhsa_user_sgpr_count 2
		.amdhsa_user_sgpr_dispatch_ptr 0
		.amdhsa_user_sgpr_queue_ptr 0
		.amdhsa_user_sgpr_kernarg_segment_ptr 1
		.amdhsa_user_sgpr_dispatch_id 0
		.amdhsa_user_sgpr_kernarg_preload_length 0
		.amdhsa_user_sgpr_kernarg_preload_offset 0
		.amdhsa_user_sgpr_private_segment_size 0
		.amdhsa_uses_dynamic_stack 0
		.amdhsa_enable_private_segment 0
		.amdhsa_system_sgpr_workgroup_id_x 1
		.amdhsa_system_sgpr_workgroup_id_y 0
		.amdhsa_system_sgpr_workgroup_id_z 0
		.amdhsa_system_sgpr_workgroup_info 0
		.amdhsa_system_vgpr_workitem_id 0
		.amdhsa_next_free_vgpr 1
		.amdhsa_next_free_sgpr 0
		.amdhsa_accum_offset 4
		.amdhsa_reserve_vcc 0
		.amdhsa_float_round_mode_32 0
		.amdhsa_float_round_mode_16_64 0
		.amdhsa_float_denorm_mode_32 3
		.amdhsa_float_denorm_mode_16_64 3
		.amdhsa_dx10_clamp 1
		.amdhsa_ieee_mode 1
		.amdhsa_fp16_overflow 0
		.amdhsa_tg_split 0
		.amdhsa_exception_fp_ieee_invalid_op 0
		.amdhsa_exception_fp_denorm_src 0
		.amdhsa_exception_fp_ieee_div_zero 0
		.amdhsa_exception_fp_ieee_overflow 0
		.amdhsa_exception_fp_ieee_underflow 0
		.amdhsa_exception_fp_ieee_inexact 0
		.amdhsa_exception_int_div_zero 0
	.end_amdhsa_kernel
	.section	.text._ZN7rocprim17ROCPRIM_400000_NS6detail17trampoline_kernelINS0_14default_configENS1_25partition_config_selectorILNS1_17partition_subalgoE0ExNS0_10empty_typeEbEEZZNS1_14partition_implILS5_0ELb0ES3_jN6thrust23THRUST_200600_302600_NS6detail15normal_iteratorINSA_10device_ptrIxEEEEPS6_SG_NS0_5tupleIJSF_NSA_16discard_iteratorINSA_11use_defaultEEEEEENSH_IJSG_SG_EEES6_PlJ7is_evenIxEEEE10hipError_tPvRmT3_T4_T5_T6_T7_T9_mT8_P12ihipStream_tbDpT10_ENKUlT_T0_E_clISt17integral_constantIbLb1EES18_IbLb0EEEEDaS14_S15_EUlS14_E_NS1_11comp_targetILNS1_3genE9ELNS1_11target_archE1100ELNS1_3gpuE3ELNS1_3repE0EEENS1_30default_config_static_selectorELNS0_4arch9wavefront6targetE1EEEvT1_,"axG",@progbits,_ZN7rocprim17ROCPRIM_400000_NS6detail17trampoline_kernelINS0_14default_configENS1_25partition_config_selectorILNS1_17partition_subalgoE0ExNS0_10empty_typeEbEEZZNS1_14partition_implILS5_0ELb0ES3_jN6thrust23THRUST_200600_302600_NS6detail15normal_iteratorINSA_10device_ptrIxEEEEPS6_SG_NS0_5tupleIJSF_NSA_16discard_iteratorINSA_11use_defaultEEEEEENSH_IJSG_SG_EEES6_PlJ7is_evenIxEEEE10hipError_tPvRmT3_T4_T5_T6_T7_T9_mT8_P12ihipStream_tbDpT10_ENKUlT_T0_E_clISt17integral_constantIbLb1EES18_IbLb0EEEEDaS14_S15_EUlS14_E_NS1_11comp_targetILNS1_3genE9ELNS1_11target_archE1100ELNS1_3gpuE3ELNS1_3repE0EEENS1_30default_config_static_selectorELNS0_4arch9wavefront6targetE1EEEvT1_,comdat
.Lfunc_end2641:
	.size	_ZN7rocprim17ROCPRIM_400000_NS6detail17trampoline_kernelINS0_14default_configENS1_25partition_config_selectorILNS1_17partition_subalgoE0ExNS0_10empty_typeEbEEZZNS1_14partition_implILS5_0ELb0ES3_jN6thrust23THRUST_200600_302600_NS6detail15normal_iteratorINSA_10device_ptrIxEEEEPS6_SG_NS0_5tupleIJSF_NSA_16discard_iteratorINSA_11use_defaultEEEEEENSH_IJSG_SG_EEES6_PlJ7is_evenIxEEEE10hipError_tPvRmT3_T4_T5_T6_T7_T9_mT8_P12ihipStream_tbDpT10_ENKUlT_T0_E_clISt17integral_constantIbLb1EES18_IbLb0EEEEDaS14_S15_EUlS14_E_NS1_11comp_targetILNS1_3genE9ELNS1_11target_archE1100ELNS1_3gpuE3ELNS1_3repE0EEENS1_30default_config_static_selectorELNS0_4arch9wavefront6targetE1EEEvT1_, .Lfunc_end2641-_ZN7rocprim17ROCPRIM_400000_NS6detail17trampoline_kernelINS0_14default_configENS1_25partition_config_selectorILNS1_17partition_subalgoE0ExNS0_10empty_typeEbEEZZNS1_14partition_implILS5_0ELb0ES3_jN6thrust23THRUST_200600_302600_NS6detail15normal_iteratorINSA_10device_ptrIxEEEEPS6_SG_NS0_5tupleIJSF_NSA_16discard_iteratorINSA_11use_defaultEEEEEENSH_IJSG_SG_EEES6_PlJ7is_evenIxEEEE10hipError_tPvRmT3_T4_T5_T6_T7_T9_mT8_P12ihipStream_tbDpT10_ENKUlT_T0_E_clISt17integral_constantIbLb1EES18_IbLb0EEEEDaS14_S15_EUlS14_E_NS1_11comp_targetILNS1_3genE9ELNS1_11target_archE1100ELNS1_3gpuE3ELNS1_3repE0EEENS1_30default_config_static_selectorELNS0_4arch9wavefront6targetE1EEEvT1_
                                        ; -- End function
	.section	.AMDGPU.csdata,"",@progbits
; Kernel info:
; codeLenInByte = 0
; NumSgprs: 6
; NumVgprs: 0
; NumAgprs: 0
; TotalNumVgprs: 0
; ScratchSize: 0
; MemoryBound: 0
; FloatMode: 240
; IeeeMode: 1
; LDSByteSize: 0 bytes/workgroup (compile time only)
; SGPRBlocks: 0
; VGPRBlocks: 0
; NumSGPRsForWavesPerEU: 6
; NumVGPRsForWavesPerEU: 1
; AccumOffset: 4
; Occupancy: 8
; WaveLimiterHint : 0
; COMPUTE_PGM_RSRC2:SCRATCH_EN: 0
; COMPUTE_PGM_RSRC2:USER_SGPR: 2
; COMPUTE_PGM_RSRC2:TRAP_HANDLER: 0
; COMPUTE_PGM_RSRC2:TGID_X_EN: 1
; COMPUTE_PGM_RSRC2:TGID_Y_EN: 0
; COMPUTE_PGM_RSRC2:TGID_Z_EN: 0
; COMPUTE_PGM_RSRC2:TIDIG_COMP_CNT: 0
; COMPUTE_PGM_RSRC3_GFX90A:ACCUM_OFFSET: 0
; COMPUTE_PGM_RSRC3_GFX90A:TG_SPLIT: 0
	.section	.text._ZN7rocprim17ROCPRIM_400000_NS6detail17trampoline_kernelINS0_14default_configENS1_25partition_config_selectorILNS1_17partition_subalgoE0ExNS0_10empty_typeEbEEZZNS1_14partition_implILS5_0ELb0ES3_jN6thrust23THRUST_200600_302600_NS6detail15normal_iteratorINSA_10device_ptrIxEEEEPS6_SG_NS0_5tupleIJSF_NSA_16discard_iteratorINSA_11use_defaultEEEEEENSH_IJSG_SG_EEES6_PlJ7is_evenIxEEEE10hipError_tPvRmT3_T4_T5_T6_T7_T9_mT8_P12ihipStream_tbDpT10_ENKUlT_T0_E_clISt17integral_constantIbLb1EES18_IbLb0EEEEDaS14_S15_EUlS14_E_NS1_11comp_targetILNS1_3genE8ELNS1_11target_archE1030ELNS1_3gpuE2ELNS1_3repE0EEENS1_30default_config_static_selectorELNS0_4arch9wavefront6targetE1EEEvT1_,"axG",@progbits,_ZN7rocprim17ROCPRIM_400000_NS6detail17trampoline_kernelINS0_14default_configENS1_25partition_config_selectorILNS1_17partition_subalgoE0ExNS0_10empty_typeEbEEZZNS1_14partition_implILS5_0ELb0ES3_jN6thrust23THRUST_200600_302600_NS6detail15normal_iteratorINSA_10device_ptrIxEEEEPS6_SG_NS0_5tupleIJSF_NSA_16discard_iteratorINSA_11use_defaultEEEEEENSH_IJSG_SG_EEES6_PlJ7is_evenIxEEEE10hipError_tPvRmT3_T4_T5_T6_T7_T9_mT8_P12ihipStream_tbDpT10_ENKUlT_T0_E_clISt17integral_constantIbLb1EES18_IbLb0EEEEDaS14_S15_EUlS14_E_NS1_11comp_targetILNS1_3genE8ELNS1_11target_archE1030ELNS1_3gpuE2ELNS1_3repE0EEENS1_30default_config_static_selectorELNS0_4arch9wavefront6targetE1EEEvT1_,comdat
	.protected	_ZN7rocprim17ROCPRIM_400000_NS6detail17trampoline_kernelINS0_14default_configENS1_25partition_config_selectorILNS1_17partition_subalgoE0ExNS0_10empty_typeEbEEZZNS1_14partition_implILS5_0ELb0ES3_jN6thrust23THRUST_200600_302600_NS6detail15normal_iteratorINSA_10device_ptrIxEEEEPS6_SG_NS0_5tupleIJSF_NSA_16discard_iteratorINSA_11use_defaultEEEEEENSH_IJSG_SG_EEES6_PlJ7is_evenIxEEEE10hipError_tPvRmT3_T4_T5_T6_T7_T9_mT8_P12ihipStream_tbDpT10_ENKUlT_T0_E_clISt17integral_constantIbLb1EES18_IbLb0EEEEDaS14_S15_EUlS14_E_NS1_11comp_targetILNS1_3genE8ELNS1_11target_archE1030ELNS1_3gpuE2ELNS1_3repE0EEENS1_30default_config_static_selectorELNS0_4arch9wavefront6targetE1EEEvT1_ ; -- Begin function _ZN7rocprim17ROCPRIM_400000_NS6detail17trampoline_kernelINS0_14default_configENS1_25partition_config_selectorILNS1_17partition_subalgoE0ExNS0_10empty_typeEbEEZZNS1_14partition_implILS5_0ELb0ES3_jN6thrust23THRUST_200600_302600_NS6detail15normal_iteratorINSA_10device_ptrIxEEEEPS6_SG_NS0_5tupleIJSF_NSA_16discard_iteratorINSA_11use_defaultEEEEEENSH_IJSG_SG_EEES6_PlJ7is_evenIxEEEE10hipError_tPvRmT3_T4_T5_T6_T7_T9_mT8_P12ihipStream_tbDpT10_ENKUlT_T0_E_clISt17integral_constantIbLb1EES18_IbLb0EEEEDaS14_S15_EUlS14_E_NS1_11comp_targetILNS1_3genE8ELNS1_11target_archE1030ELNS1_3gpuE2ELNS1_3repE0EEENS1_30default_config_static_selectorELNS0_4arch9wavefront6targetE1EEEvT1_
	.globl	_ZN7rocprim17ROCPRIM_400000_NS6detail17trampoline_kernelINS0_14default_configENS1_25partition_config_selectorILNS1_17partition_subalgoE0ExNS0_10empty_typeEbEEZZNS1_14partition_implILS5_0ELb0ES3_jN6thrust23THRUST_200600_302600_NS6detail15normal_iteratorINSA_10device_ptrIxEEEEPS6_SG_NS0_5tupleIJSF_NSA_16discard_iteratorINSA_11use_defaultEEEEEENSH_IJSG_SG_EEES6_PlJ7is_evenIxEEEE10hipError_tPvRmT3_T4_T5_T6_T7_T9_mT8_P12ihipStream_tbDpT10_ENKUlT_T0_E_clISt17integral_constantIbLb1EES18_IbLb0EEEEDaS14_S15_EUlS14_E_NS1_11comp_targetILNS1_3genE8ELNS1_11target_archE1030ELNS1_3gpuE2ELNS1_3repE0EEENS1_30default_config_static_selectorELNS0_4arch9wavefront6targetE1EEEvT1_
	.p2align	8
	.type	_ZN7rocprim17ROCPRIM_400000_NS6detail17trampoline_kernelINS0_14default_configENS1_25partition_config_selectorILNS1_17partition_subalgoE0ExNS0_10empty_typeEbEEZZNS1_14partition_implILS5_0ELb0ES3_jN6thrust23THRUST_200600_302600_NS6detail15normal_iteratorINSA_10device_ptrIxEEEEPS6_SG_NS0_5tupleIJSF_NSA_16discard_iteratorINSA_11use_defaultEEEEEENSH_IJSG_SG_EEES6_PlJ7is_evenIxEEEE10hipError_tPvRmT3_T4_T5_T6_T7_T9_mT8_P12ihipStream_tbDpT10_ENKUlT_T0_E_clISt17integral_constantIbLb1EES18_IbLb0EEEEDaS14_S15_EUlS14_E_NS1_11comp_targetILNS1_3genE8ELNS1_11target_archE1030ELNS1_3gpuE2ELNS1_3repE0EEENS1_30default_config_static_selectorELNS0_4arch9wavefront6targetE1EEEvT1_,@function
_ZN7rocprim17ROCPRIM_400000_NS6detail17trampoline_kernelINS0_14default_configENS1_25partition_config_selectorILNS1_17partition_subalgoE0ExNS0_10empty_typeEbEEZZNS1_14partition_implILS5_0ELb0ES3_jN6thrust23THRUST_200600_302600_NS6detail15normal_iteratorINSA_10device_ptrIxEEEEPS6_SG_NS0_5tupleIJSF_NSA_16discard_iteratorINSA_11use_defaultEEEEEENSH_IJSG_SG_EEES6_PlJ7is_evenIxEEEE10hipError_tPvRmT3_T4_T5_T6_T7_T9_mT8_P12ihipStream_tbDpT10_ENKUlT_T0_E_clISt17integral_constantIbLb1EES18_IbLb0EEEEDaS14_S15_EUlS14_E_NS1_11comp_targetILNS1_3genE8ELNS1_11target_archE1030ELNS1_3gpuE2ELNS1_3repE0EEENS1_30default_config_static_selectorELNS0_4arch9wavefront6targetE1EEEvT1_: ; @_ZN7rocprim17ROCPRIM_400000_NS6detail17trampoline_kernelINS0_14default_configENS1_25partition_config_selectorILNS1_17partition_subalgoE0ExNS0_10empty_typeEbEEZZNS1_14partition_implILS5_0ELb0ES3_jN6thrust23THRUST_200600_302600_NS6detail15normal_iteratorINSA_10device_ptrIxEEEEPS6_SG_NS0_5tupleIJSF_NSA_16discard_iteratorINSA_11use_defaultEEEEEENSH_IJSG_SG_EEES6_PlJ7is_evenIxEEEE10hipError_tPvRmT3_T4_T5_T6_T7_T9_mT8_P12ihipStream_tbDpT10_ENKUlT_T0_E_clISt17integral_constantIbLb1EES18_IbLb0EEEEDaS14_S15_EUlS14_E_NS1_11comp_targetILNS1_3genE8ELNS1_11target_archE1030ELNS1_3gpuE2ELNS1_3repE0EEENS1_30default_config_static_selectorELNS0_4arch9wavefront6targetE1EEEvT1_
; %bb.0:
	.section	.rodata,"a",@progbits
	.p2align	6, 0x0
	.amdhsa_kernel _ZN7rocprim17ROCPRIM_400000_NS6detail17trampoline_kernelINS0_14default_configENS1_25partition_config_selectorILNS1_17partition_subalgoE0ExNS0_10empty_typeEbEEZZNS1_14partition_implILS5_0ELb0ES3_jN6thrust23THRUST_200600_302600_NS6detail15normal_iteratorINSA_10device_ptrIxEEEEPS6_SG_NS0_5tupleIJSF_NSA_16discard_iteratorINSA_11use_defaultEEEEEENSH_IJSG_SG_EEES6_PlJ7is_evenIxEEEE10hipError_tPvRmT3_T4_T5_T6_T7_T9_mT8_P12ihipStream_tbDpT10_ENKUlT_T0_E_clISt17integral_constantIbLb1EES18_IbLb0EEEEDaS14_S15_EUlS14_E_NS1_11comp_targetILNS1_3genE8ELNS1_11target_archE1030ELNS1_3gpuE2ELNS1_3repE0EEENS1_30default_config_static_selectorELNS0_4arch9wavefront6targetE1EEEvT1_
		.amdhsa_group_segment_fixed_size 0
		.amdhsa_private_segment_fixed_size 0
		.amdhsa_kernarg_size 128
		.amdhsa_user_sgpr_count 2
		.amdhsa_user_sgpr_dispatch_ptr 0
		.amdhsa_user_sgpr_queue_ptr 0
		.amdhsa_user_sgpr_kernarg_segment_ptr 1
		.amdhsa_user_sgpr_dispatch_id 0
		.amdhsa_user_sgpr_kernarg_preload_length 0
		.amdhsa_user_sgpr_kernarg_preload_offset 0
		.amdhsa_user_sgpr_private_segment_size 0
		.amdhsa_uses_dynamic_stack 0
		.amdhsa_enable_private_segment 0
		.amdhsa_system_sgpr_workgroup_id_x 1
		.amdhsa_system_sgpr_workgroup_id_y 0
		.amdhsa_system_sgpr_workgroup_id_z 0
		.amdhsa_system_sgpr_workgroup_info 0
		.amdhsa_system_vgpr_workitem_id 0
		.amdhsa_next_free_vgpr 1
		.amdhsa_next_free_sgpr 0
		.amdhsa_accum_offset 4
		.amdhsa_reserve_vcc 0
		.amdhsa_float_round_mode_32 0
		.amdhsa_float_round_mode_16_64 0
		.amdhsa_float_denorm_mode_32 3
		.amdhsa_float_denorm_mode_16_64 3
		.amdhsa_dx10_clamp 1
		.amdhsa_ieee_mode 1
		.amdhsa_fp16_overflow 0
		.amdhsa_tg_split 0
		.amdhsa_exception_fp_ieee_invalid_op 0
		.amdhsa_exception_fp_denorm_src 0
		.amdhsa_exception_fp_ieee_div_zero 0
		.amdhsa_exception_fp_ieee_overflow 0
		.amdhsa_exception_fp_ieee_underflow 0
		.amdhsa_exception_fp_ieee_inexact 0
		.amdhsa_exception_int_div_zero 0
	.end_amdhsa_kernel
	.section	.text._ZN7rocprim17ROCPRIM_400000_NS6detail17trampoline_kernelINS0_14default_configENS1_25partition_config_selectorILNS1_17partition_subalgoE0ExNS0_10empty_typeEbEEZZNS1_14partition_implILS5_0ELb0ES3_jN6thrust23THRUST_200600_302600_NS6detail15normal_iteratorINSA_10device_ptrIxEEEEPS6_SG_NS0_5tupleIJSF_NSA_16discard_iteratorINSA_11use_defaultEEEEEENSH_IJSG_SG_EEES6_PlJ7is_evenIxEEEE10hipError_tPvRmT3_T4_T5_T6_T7_T9_mT8_P12ihipStream_tbDpT10_ENKUlT_T0_E_clISt17integral_constantIbLb1EES18_IbLb0EEEEDaS14_S15_EUlS14_E_NS1_11comp_targetILNS1_3genE8ELNS1_11target_archE1030ELNS1_3gpuE2ELNS1_3repE0EEENS1_30default_config_static_selectorELNS0_4arch9wavefront6targetE1EEEvT1_,"axG",@progbits,_ZN7rocprim17ROCPRIM_400000_NS6detail17trampoline_kernelINS0_14default_configENS1_25partition_config_selectorILNS1_17partition_subalgoE0ExNS0_10empty_typeEbEEZZNS1_14partition_implILS5_0ELb0ES3_jN6thrust23THRUST_200600_302600_NS6detail15normal_iteratorINSA_10device_ptrIxEEEEPS6_SG_NS0_5tupleIJSF_NSA_16discard_iteratorINSA_11use_defaultEEEEEENSH_IJSG_SG_EEES6_PlJ7is_evenIxEEEE10hipError_tPvRmT3_T4_T5_T6_T7_T9_mT8_P12ihipStream_tbDpT10_ENKUlT_T0_E_clISt17integral_constantIbLb1EES18_IbLb0EEEEDaS14_S15_EUlS14_E_NS1_11comp_targetILNS1_3genE8ELNS1_11target_archE1030ELNS1_3gpuE2ELNS1_3repE0EEENS1_30default_config_static_selectorELNS0_4arch9wavefront6targetE1EEEvT1_,comdat
.Lfunc_end2642:
	.size	_ZN7rocprim17ROCPRIM_400000_NS6detail17trampoline_kernelINS0_14default_configENS1_25partition_config_selectorILNS1_17partition_subalgoE0ExNS0_10empty_typeEbEEZZNS1_14partition_implILS5_0ELb0ES3_jN6thrust23THRUST_200600_302600_NS6detail15normal_iteratorINSA_10device_ptrIxEEEEPS6_SG_NS0_5tupleIJSF_NSA_16discard_iteratorINSA_11use_defaultEEEEEENSH_IJSG_SG_EEES6_PlJ7is_evenIxEEEE10hipError_tPvRmT3_T4_T5_T6_T7_T9_mT8_P12ihipStream_tbDpT10_ENKUlT_T0_E_clISt17integral_constantIbLb1EES18_IbLb0EEEEDaS14_S15_EUlS14_E_NS1_11comp_targetILNS1_3genE8ELNS1_11target_archE1030ELNS1_3gpuE2ELNS1_3repE0EEENS1_30default_config_static_selectorELNS0_4arch9wavefront6targetE1EEEvT1_, .Lfunc_end2642-_ZN7rocprim17ROCPRIM_400000_NS6detail17trampoline_kernelINS0_14default_configENS1_25partition_config_selectorILNS1_17partition_subalgoE0ExNS0_10empty_typeEbEEZZNS1_14partition_implILS5_0ELb0ES3_jN6thrust23THRUST_200600_302600_NS6detail15normal_iteratorINSA_10device_ptrIxEEEEPS6_SG_NS0_5tupleIJSF_NSA_16discard_iteratorINSA_11use_defaultEEEEEENSH_IJSG_SG_EEES6_PlJ7is_evenIxEEEE10hipError_tPvRmT3_T4_T5_T6_T7_T9_mT8_P12ihipStream_tbDpT10_ENKUlT_T0_E_clISt17integral_constantIbLb1EES18_IbLb0EEEEDaS14_S15_EUlS14_E_NS1_11comp_targetILNS1_3genE8ELNS1_11target_archE1030ELNS1_3gpuE2ELNS1_3repE0EEENS1_30default_config_static_selectorELNS0_4arch9wavefront6targetE1EEEvT1_
                                        ; -- End function
	.section	.AMDGPU.csdata,"",@progbits
; Kernel info:
; codeLenInByte = 0
; NumSgprs: 6
; NumVgprs: 0
; NumAgprs: 0
; TotalNumVgprs: 0
; ScratchSize: 0
; MemoryBound: 0
; FloatMode: 240
; IeeeMode: 1
; LDSByteSize: 0 bytes/workgroup (compile time only)
; SGPRBlocks: 0
; VGPRBlocks: 0
; NumSGPRsForWavesPerEU: 6
; NumVGPRsForWavesPerEU: 1
; AccumOffset: 4
; Occupancy: 8
; WaveLimiterHint : 0
; COMPUTE_PGM_RSRC2:SCRATCH_EN: 0
; COMPUTE_PGM_RSRC2:USER_SGPR: 2
; COMPUTE_PGM_RSRC2:TRAP_HANDLER: 0
; COMPUTE_PGM_RSRC2:TGID_X_EN: 1
; COMPUTE_PGM_RSRC2:TGID_Y_EN: 0
; COMPUTE_PGM_RSRC2:TGID_Z_EN: 0
; COMPUTE_PGM_RSRC2:TIDIG_COMP_CNT: 0
; COMPUTE_PGM_RSRC3_GFX90A:ACCUM_OFFSET: 0
; COMPUTE_PGM_RSRC3_GFX90A:TG_SPLIT: 0
	.section	.text._ZN7rocprim17ROCPRIM_400000_NS6detail17trampoline_kernelINS0_14default_configENS1_25partition_config_selectorILNS1_17partition_subalgoE0ExNS0_10empty_typeEbEEZZNS1_14partition_implILS5_0ELb0ES3_jN6thrust23THRUST_200600_302600_NS6detail15normal_iteratorINSA_10device_ptrIxEEEEPS6_SG_NS0_5tupleIJSF_NSA_16discard_iteratorINSA_11use_defaultEEEEEENSH_IJSG_SG_EEES6_PlJ7is_evenIxEEEE10hipError_tPvRmT3_T4_T5_T6_T7_T9_mT8_P12ihipStream_tbDpT10_ENKUlT_T0_E_clISt17integral_constantIbLb0EES18_IbLb1EEEEDaS14_S15_EUlS14_E_NS1_11comp_targetILNS1_3genE0ELNS1_11target_archE4294967295ELNS1_3gpuE0ELNS1_3repE0EEENS1_30default_config_static_selectorELNS0_4arch9wavefront6targetE1EEEvT1_,"axG",@progbits,_ZN7rocprim17ROCPRIM_400000_NS6detail17trampoline_kernelINS0_14default_configENS1_25partition_config_selectorILNS1_17partition_subalgoE0ExNS0_10empty_typeEbEEZZNS1_14partition_implILS5_0ELb0ES3_jN6thrust23THRUST_200600_302600_NS6detail15normal_iteratorINSA_10device_ptrIxEEEEPS6_SG_NS0_5tupleIJSF_NSA_16discard_iteratorINSA_11use_defaultEEEEEENSH_IJSG_SG_EEES6_PlJ7is_evenIxEEEE10hipError_tPvRmT3_T4_T5_T6_T7_T9_mT8_P12ihipStream_tbDpT10_ENKUlT_T0_E_clISt17integral_constantIbLb0EES18_IbLb1EEEEDaS14_S15_EUlS14_E_NS1_11comp_targetILNS1_3genE0ELNS1_11target_archE4294967295ELNS1_3gpuE0ELNS1_3repE0EEENS1_30default_config_static_selectorELNS0_4arch9wavefront6targetE1EEEvT1_,comdat
	.protected	_ZN7rocprim17ROCPRIM_400000_NS6detail17trampoline_kernelINS0_14default_configENS1_25partition_config_selectorILNS1_17partition_subalgoE0ExNS0_10empty_typeEbEEZZNS1_14partition_implILS5_0ELb0ES3_jN6thrust23THRUST_200600_302600_NS6detail15normal_iteratorINSA_10device_ptrIxEEEEPS6_SG_NS0_5tupleIJSF_NSA_16discard_iteratorINSA_11use_defaultEEEEEENSH_IJSG_SG_EEES6_PlJ7is_evenIxEEEE10hipError_tPvRmT3_T4_T5_T6_T7_T9_mT8_P12ihipStream_tbDpT10_ENKUlT_T0_E_clISt17integral_constantIbLb0EES18_IbLb1EEEEDaS14_S15_EUlS14_E_NS1_11comp_targetILNS1_3genE0ELNS1_11target_archE4294967295ELNS1_3gpuE0ELNS1_3repE0EEENS1_30default_config_static_selectorELNS0_4arch9wavefront6targetE1EEEvT1_ ; -- Begin function _ZN7rocprim17ROCPRIM_400000_NS6detail17trampoline_kernelINS0_14default_configENS1_25partition_config_selectorILNS1_17partition_subalgoE0ExNS0_10empty_typeEbEEZZNS1_14partition_implILS5_0ELb0ES3_jN6thrust23THRUST_200600_302600_NS6detail15normal_iteratorINSA_10device_ptrIxEEEEPS6_SG_NS0_5tupleIJSF_NSA_16discard_iteratorINSA_11use_defaultEEEEEENSH_IJSG_SG_EEES6_PlJ7is_evenIxEEEE10hipError_tPvRmT3_T4_T5_T6_T7_T9_mT8_P12ihipStream_tbDpT10_ENKUlT_T0_E_clISt17integral_constantIbLb0EES18_IbLb1EEEEDaS14_S15_EUlS14_E_NS1_11comp_targetILNS1_3genE0ELNS1_11target_archE4294967295ELNS1_3gpuE0ELNS1_3repE0EEENS1_30default_config_static_selectorELNS0_4arch9wavefront6targetE1EEEvT1_
	.globl	_ZN7rocprim17ROCPRIM_400000_NS6detail17trampoline_kernelINS0_14default_configENS1_25partition_config_selectorILNS1_17partition_subalgoE0ExNS0_10empty_typeEbEEZZNS1_14partition_implILS5_0ELb0ES3_jN6thrust23THRUST_200600_302600_NS6detail15normal_iteratorINSA_10device_ptrIxEEEEPS6_SG_NS0_5tupleIJSF_NSA_16discard_iteratorINSA_11use_defaultEEEEEENSH_IJSG_SG_EEES6_PlJ7is_evenIxEEEE10hipError_tPvRmT3_T4_T5_T6_T7_T9_mT8_P12ihipStream_tbDpT10_ENKUlT_T0_E_clISt17integral_constantIbLb0EES18_IbLb1EEEEDaS14_S15_EUlS14_E_NS1_11comp_targetILNS1_3genE0ELNS1_11target_archE4294967295ELNS1_3gpuE0ELNS1_3repE0EEENS1_30default_config_static_selectorELNS0_4arch9wavefront6targetE1EEEvT1_
	.p2align	8
	.type	_ZN7rocprim17ROCPRIM_400000_NS6detail17trampoline_kernelINS0_14default_configENS1_25partition_config_selectorILNS1_17partition_subalgoE0ExNS0_10empty_typeEbEEZZNS1_14partition_implILS5_0ELb0ES3_jN6thrust23THRUST_200600_302600_NS6detail15normal_iteratorINSA_10device_ptrIxEEEEPS6_SG_NS0_5tupleIJSF_NSA_16discard_iteratorINSA_11use_defaultEEEEEENSH_IJSG_SG_EEES6_PlJ7is_evenIxEEEE10hipError_tPvRmT3_T4_T5_T6_T7_T9_mT8_P12ihipStream_tbDpT10_ENKUlT_T0_E_clISt17integral_constantIbLb0EES18_IbLb1EEEEDaS14_S15_EUlS14_E_NS1_11comp_targetILNS1_3genE0ELNS1_11target_archE4294967295ELNS1_3gpuE0ELNS1_3repE0EEENS1_30default_config_static_selectorELNS0_4arch9wavefront6targetE1EEEvT1_,@function
_ZN7rocprim17ROCPRIM_400000_NS6detail17trampoline_kernelINS0_14default_configENS1_25partition_config_selectorILNS1_17partition_subalgoE0ExNS0_10empty_typeEbEEZZNS1_14partition_implILS5_0ELb0ES3_jN6thrust23THRUST_200600_302600_NS6detail15normal_iteratorINSA_10device_ptrIxEEEEPS6_SG_NS0_5tupleIJSF_NSA_16discard_iteratorINSA_11use_defaultEEEEEENSH_IJSG_SG_EEES6_PlJ7is_evenIxEEEE10hipError_tPvRmT3_T4_T5_T6_T7_T9_mT8_P12ihipStream_tbDpT10_ENKUlT_T0_E_clISt17integral_constantIbLb0EES18_IbLb1EEEEDaS14_S15_EUlS14_E_NS1_11comp_targetILNS1_3genE0ELNS1_11target_archE4294967295ELNS1_3gpuE0ELNS1_3repE0EEENS1_30default_config_static_selectorELNS0_4arch9wavefront6targetE1EEEvT1_: ; @_ZN7rocprim17ROCPRIM_400000_NS6detail17trampoline_kernelINS0_14default_configENS1_25partition_config_selectorILNS1_17partition_subalgoE0ExNS0_10empty_typeEbEEZZNS1_14partition_implILS5_0ELb0ES3_jN6thrust23THRUST_200600_302600_NS6detail15normal_iteratorINSA_10device_ptrIxEEEEPS6_SG_NS0_5tupleIJSF_NSA_16discard_iteratorINSA_11use_defaultEEEEEENSH_IJSG_SG_EEES6_PlJ7is_evenIxEEEE10hipError_tPvRmT3_T4_T5_T6_T7_T9_mT8_P12ihipStream_tbDpT10_ENKUlT_T0_E_clISt17integral_constantIbLb0EES18_IbLb1EEEEDaS14_S15_EUlS14_E_NS1_11comp_targetILNS1_3genE0ELNS1_11target_archE4294967295ELNS1_3gpuE0ELNS1_3repE0EEENS1_30default_config_static_selectorELNS0_4arch9wavefront6targetE1EEEvT1_
; %bb.0:
	.section	.rodata,"a",@progbits
	.p2align	6, 0x0
	.amdhsa_kernel _ZN7rocprim17ROCPRIM_400000_NS6detail17trampoline_kernelINS0_14default_configENS1_25partition_config_selectorILNS1_17partition_subalgoE0ExNS0_10empty_typeEbEEZZNS1_14partition_implILS5_0ELb0ES3_jN6thrust23THRUST_200600_302600_NS6detail15normal_iteratorINSA_10device_ptrIxEEEEPS6_SG_NS0_5tupleIJSF_NSA_16discard_iteratorINSA_11use_defaultEEEEEENSH_IJSG_SG_EEES6_PlJ7is_evenIxEEEE10hipError_tPvRmT3_T4_T5_T6_T7_T9_mT8_P12ihipStream_tbDpT10_ENKUlT_T0_E_clISt17integral_constantIbLb0EES18_IbLb1EEEEDaS14_S15_EUlS14_E_NS1_11comp_targetILNS1_3genE0ELNS1_11target_archE4294967295ELNS1_3gpuE0ELNS1_3repE0EEENS1_30default_config_static_selectorELNS0_4arch9wavefront6targetE1EEEvT1_
		.amdhsa_group_segment_fixed_size 0
		.amdhsa_private_segment_fixed_size 0
		.amdhsa_kernarg_size 144
		.amdhsa_user_sgpr_count 2
		.amdhsa_user_sgpr_dispatch_ptr 0
		.amdhsa_user_sgpr_queue_ptr 0
		.amdhsa_user_sgpr_kernarg_segment_ptr 1
		.amdhsa_user_sgpr_dispatch_id 0
		.amdhsa_user_sgpr_kernarg_preload_length 0
		.amdhsa_user_sgpr_kernarg_preload_offset 0
		.amdhsa_user_sgpr_private_segment_size 0
		.amdhsa_uses_dynamic_stack 0
		.amdhsa_enable_private_segment 0
		.amdhsa_system_sgpr_workgroup_id_x 1
		.amdhsa_system_sgpr_workgroup_id_y 0
		.amdhsa_system_sgpr_workgroup_id_z 0
		.amdhsa_system_sgpr_workgroup_info 0
		.amdhsa_system_vgpr_workitem_id 0
		.amdhsa_next_free_vgpr 1
		.amdhsa_next_free_sgpr 0
		.amdhsa_accum_offset 4
		.amdhsa_reserve_vcc 0
		.amdhsa_float_round_mode_32 0
		.amdhsa_float_round_mode_16_64 0
		.amdhsa_float_denorm_mode_32 3
		.amdhsa_float_denorm_mode_16_64 3
		.amdhsa_dx10_clamp 1
		.amdhsa_ieee_mode 1
		.amdhsa_fp16_overflow 0
		.amdhsa_tg_split 0
		.amdhsa_exception_fp_ieee_invalid_op 0
		.amdhsa_exception_fp_denorm_src 0
		.amdhsa_exception_fp_ieee_div_zero 0
		.amdhsa_exception_fp_ieee_overflow 0
		.amdhsa_exception_fp_ieee_underflow 0
		.amdhsa_exception_fp_ieee_inexact 0
		.amdhsa_exception_int_div_zero 0
	.end_amdhsa_kernel
	.section	.text._ZN7rocprim17ROCPRIM_400000_NS6detail17trampoline_kernelINS0_14default_configENS1_25partition_config_selectorILNS1_17partition_subalgoE0ExNS0_10empty_typeEbEEZZNS1_14partition_implILS5_0ELb0ES3_jN6thrust23THRUST_200600_302600_NS6detail15normal_iteratorINSA_10device_ptrIxEEEEPS6_SG_NS0_5tupleIJSF_NSA_16discard_iteratorINSA_11use_defaultEEEEEENSH_IJSG_SG_EEES6_PlJ7is_evenIxEEEE10hipError_tPvRmT3_T4_T5_T6_T7_T9_mT8_P12ihipStream_tbDpT10_ENKUlT_T0_E_clISt17integral_constantIbLb0EES18_IbLb1EEEEDaS14_S15_EUlS14_E_NS1_11comp_targetILNS1_3genE0ELNS1_11target_archE4294967295ELNS1_3gpuE0ELNS1_3repE0EEENS1_30default_config_static_selectorELNS0_4arch9wavefront6targetE1EEEvT1_,"axG",@progbits,_ZN7rocprim17ROCPRIM_400000_NS6detail17trampoline_kernelINS0_14default_configENS1_25partition_config_selectorILNS1_17partition_subalgoE0ExNS0_10empty_typeEbEEZZNS1_14partition_implILS5_0ELb0ES3_jN6thrust23THRUST_200600_302600_NS6detail15normal_iteratorINSA_10device_ptrIxEEEEPS6_SG_NS0_5tupleIJSF_NSA_16discard_iteratorINSA_11use_defaultEEEEEENSH_IJSG_SG_EEES6_PlJ7is_evenIxEEEE10hipError_tPvRmT3_T4_T5_T6_T7_T9_mT8_P12ihipStream_tbDpT10_ENKUlT_T0_E_clISt17integral_constantIbLb0EES18_IbLb1EEEEDaS14_S15_EUlS14_E_NS1_11comp_targetILNS1_3genE0ELNS1_11target_archE4294967295ELNS1_3gpuE0ELNS1_3repE0EEENS1_30default_config_static_selectorELNS0_4arch9wavefront6targetE1EEEvT1_,comdat
.Lfunc_end2643:
	.size	_ZN7rocprim17ROCPRIM_400000_NS6detail17trampoline_kernelINS0_14default_configENS1_25partition_config_selectorILNS1_17partition_subalgoE0ExNS0_10empty_typeEbEEZZNS1_14partition_implILS5_0ELb0ES3_jN6thrust23THRUST_200600_302600_NS6detail15normal_iteratorINSA_10device_ptrIxEEEEPS6_SG_NS0_5tupleIJSF_NSA_16discard_iteratorINSA_11use_defaultEEEEEENSH_IJSG_SG_EEES6_PlJ7is_evenIxEEEE10hipError_tPvRmT3_T4_T5_T6_T7_T9_mT8_P12ihipStream_tbDpT10_ENKUlT_T0_E_clISt17integral_constantIbLb0EES18_IbLb1EEEEDaS14_S15_EUlS14_E_NS1_11comp_targetILNS1_3genE0ELNS1_11target_archE4294967295ELNS1_3gpuE0ELNS1_3repE0EEENS1_30default_config_static_selectorELNS0_4arch9wavefront6targetE1EEEvT1_, .Lfunc_end2643-_ZN7rocprim17ROCPRIM_400000_NS6detail17trampoline_kernelINS0_14default_configENS1_25partition_config_selectorILNS1_17partition_subalgoE0ExNS0_10empty_typeEbEEZZNS1_14partition_implILS5_0ELb0ES3_jN6thrust23THRUST_200600_302600_NS6detail15normal_iteratorINSA_10device_ptrIxEEEEPS6_SG_NS0_5tupleIJSF_NSA_16discard_iteratorINSA_11use_defaultEEEEEENSH_IJSG_SG_EEES6_PlJ7is_evenIxEEEE10hipError_tPvRmT3_T4_T5_T6_T7_T9_mT8_P12ihipStream_tbDpT10_ENKUlT_T0_E_clISt17integral_constantIbLb0EES18_IbLb1EEEEDaS14_S15_EUlS14_E_NS1_11comp_targetILNS1_3genE0ELNS1_11target_archE4294967295ELNS1_3gpuE0ELNS1_3repE0EEENS1_30default_config_static_selectorELNS0_4arch9wavefront6targetE1EEEvT1_
                                        ; -- End function
	.section	.AMDGPU.csdata,"",@progbits
; Kernel info:
; codeLenInByte = 0
; NumSgprs: 6
; NumVgprs: 0
; NumAgprs: 0
; TotalNumVgprs: 0
; ScratchSize: 0
; MemoryBound: 0
; FloatMode: 240
; IeeeMode: 1
; LDSByteSize: 0 bytes/workgroup (compile time only)
; SGPRBlocks: 0
; VGPRBlocks: 0
; NumSGPRsForWavesPerEU: 6
; NumVGPRsForWavesPerEU: 1
; AccumOffset: 4
; Occupancy: 8
; WaveLimiterHint : 0
; COMPUTE_PGM_RSRC2:SCRATCH_EN: 0
; COMPUTE_PGM_RSRC2:USER_SGPR: 2
; COMPUTE_PGM_RSRC2:TRAP_HANDLER: 0
; COMPUTE_PGM_RSRC2:TGID_X_EN: 1
; COMPUTE_PGM_RSRC2:TGID_Y_EN: 0
; COMPUTE_PGM_RSRC2:TGID_Z_EN: 0
; COMPUTE_PGM_RSRC2:TIDIG_COMP_CNT: 0
; COMPUTE_PGM_RSRC3_GFX90A:ACCUM_OFFSET: 0
; COMPUTE_PGM_RSRC3_GFX90A:TG_SPLIT: 0
	.section	.text._ZN7rocprim17ROCPRIM_400000_NS6detail17trampoline_kernelINS0_14default_configENS1_25partition_config_selectorILNS1_17partition_subalgoE0ExNS0_10empty_typeEbEEZZNS1_14partition_implILS5_0ELb0ES3_jN6thrust23THRUST_200600_302600_NS6detail15normal_iteratorINSA_10device_ptrIxEEEEPS6_SG_NS0_5tupleIJSF_NSA_16discard_iteratorINSA_11use_defaultEEEEEENSH_IJSG_SG_EEES6_PlJ7is_evenIxEEEE10hipError_tPvRmT3_T4_T5_T6_T7_T9_mT8_P12ihipStream_tbDpT10_ENKUlT_T0_E_clISt17integral_constantIbLb0EES18_IbLb1EEEEDaS14_S15_EUlS14_E_NS1_11comp_targetILNS1_3genE5ELNS1_11target_archE942ELNS1_3gpuE9ELNS1_3repE0EEENS1_30default_config_static_selectorELNS0_4arch9wavefront6targetE1EEEvT1_,"axG",@progbits,_ZN7rocprim17ROCPRIM_400000_NS6detail17trampoline_kernelINS0_14default_configENS1_25partition_config_selectorILNS1_17partition_subalgoE0ExNS0_10empty_typeEbEEZZNS1_14partition_implILS5_0ELb0ES3_jN6thrust23THRUST_200600_302600_NS6detail15normal_iteratorINSA_10device_ptrIxEEEEPS6_SG_NS0_5tupleIJSF_NSA_16discard_iteratorINSA_11use_defaultEEEEEENSH_IJSG_SG_EEES6_PlJ7is_evenIxEEEE10hipError_tPvRmT3_T4_T5_T6_T7_T9_mT8_P12ihipStream_tbDpT10_ENKUlT_T0_E_clISt17integral_constantIbLb0EES18_IbLb1EEEEDaS14_S15_EUlS14_E_NS1_11comp_targetILNS1_3genE5ELNS1_11target_archE942ELNS1_3gpuE9ELNS1_3repE0EEENS1_30default_config_static_selectorELNS0_4arch9wavefront6targetE1EEEvT1_,comdat
	.protected	_ZN7rocprim17ROCPRIM_400000_NS6detail17trampoline_kernelINS0_14default_configENS1_25partition_config_selectorILNS1_17partition_subalgoE0ExNS0_10empty_typeEbEEZZNS1_14partition_implILS5_0ELb0ES3_jN6thrust23THRUST_200600_302600_NS6detail15normal_iteratorINSA_10device_ptrIxEEEEPS6_SG_NS0_5tupleIJSF_NSA_16discard_iteratorINSA_11use_defaultEEEEEENSH_IJSG_SG_EEES6_PlJ7is_evenIxEEEE10hipError_tPvRmT3_T4_T5_T6_T7_T9_mT8_P12ihipStream_tbDpT10_ENKUlT_T0_E_clISt17integral_constantIbLb0EES18_IbLb1EEEEDaS14_S15_EUlS14_E_NS1_11comp_targetILNS1_3genE5ELNS1_11target_archE942ELNS1_3gpuE9ELNS1_3repE0EEENS1_30default_config_static_selectorELNS0_4arch9wavefront6targetE1EEEvT1_ ; -- Begin function _ZN7rocprim17ROCPRIM_400000_NS6detail17trampoline_kernelINS0_14default_configENS1_25partition_config_selectorILNS1_17partition_subalgoE0ExNS0_10empty_typeEbEEZZNS1_14partition_implILS5_0ELb0ES3_jN6thrust23THRUST_200600_302600_NS6detail15normal_iteratorINSA_10device_ptrIxEEEEPS6_SG_NS0_5tupleIJSF_NSA_16discard_iteratorINSA_11use_defaultEEEEEENSH_IJSG_SG_EEES6_PlJ7is_evenIxEEEE10hipError_tPvRmT3_T4_T5_T6_T7_T9_mT8_P12ihipStream_tbDpT10_ENKUlT_T0_E_clISt17integral_constantIbLb0EES18_IbLb1EEEEDaS14_S15_EUlS14_E_NS1_11comp_targetILNS1_3genE5ELNS1_11target_archE942ELNS1_3gpuE9ELNS1_3repE0EEENS1_30default_config_static_selectorELNS0_4arch9wavefront6targetE1EEEvT1_
	.globl	_ZN7rocprim17ROCPRIM_400000_NS6detail17trampoline_kernelINS0_14default_configENS1_25partition_config_selectorILNS1_17partition_subalgoE0ExNS0_10empty_typeEbEEZZNS1_14partition_implILS5_0ELb0ES3_jN6thrust23THRUST_200600_302600_NS6detail15normal_iteratorINSA_10device_ptrIxEEEEPS6_SG_NS0_5tupleIJSF_NSA_16discard_iteratorINSA_11use_defaultEEEEEENSH_IJSG_SG_EEES6_PlJ7is_evenIxEEEE10hipError_tPvRmT3_T4_T5_T6_T7_T9_mT8_P12ihipStream_tbDpT10_ENKUlT_T0_E_clISt17integral_constantIbLb0EES18_IbLb1EEEEDaS14_S15_EUlS14_E_NS1_11comp_targetILNS1_3genE5ELNS1_11target_archE942ELNS1_3gpuE9ELNS1_3repE0EEENS1_30default_config_static_selectorELNS0_4arch9wavefront6targetE1EEEvT1_
	.p2align	8
	.type	_ZN7rocprim17ROCPRIM_400000_NS6detail17trampoline_kernelINS0_14default_configENS1_25partition_config_selectorILNS1_17partition_subalgoE0ExNS0_10empty_typeEbEEZZNS1_14partition_implILS5_0ELb0ES3_jN6thrust23THRUST_200600_302600_NS6detail15normal_iteratorINSA_10device_ptrIxEEEEPS6_SG_NS0_5tupleIJSF_NSA_16discard_iteratorINSA_11use_defaultEEEEEENSH_IJSG_SG_EEES6_PlJ7is_evenIxEEEE10hipError_tPvRmT3_T4_T5_T6_T7_T9_mT8_P12ihipStream_tbDpT10_ENKUlT_T0_E_clISt17integral_constantIbLb0EES18_IbLb1EEEEDaS14_S15_EUlS14_E_NS1_11comp_targetILNS1_3genE5ELNS1_11target_archE942ELNS1_3gpuE9ELNS1_3repE0EEENS1_30default_config_static_selectorELNS0_4arch9wavefront6targetE1EEEvT1_,@function
_ZN7rocprim17ROCPRIM_400000_NS6detail17trampoline_kernelINS0_14default_configENS1_25partition_config_selectorILNS1_17partition_subalgoE0ExNS0_10empty_typeEbEEZZNS1_14partition_implILS5_0ELb0ES3_jN6thrust23THRUST_200600_302600_NS6detail15normal_iteratorINSA_10device_ptrIxEEEEPS6_SG_NS0_5tupleIJSF_NSA_16discard_iteratorINSA_11use_defaultEEEEEENSH_IJSG_SG_EEES6_PlJ7is_evenIxEEEE10hipError_tPvRmT3_T4_T5_T6_T7_T9_mT8_P12ihipStream_tbDpT10_ENKUlT_T0_E_clISt17integral_constantIbLb0EES18_IbLb1EEEEDaS14_S15_EUlS14_E_NS1_11comp_targetILNS1_3genE5ELNS1_11target_archE942ELNS1_3gpuE9ELNS1_3repE0EEENS1_30default_config_static_selectorELNS0_4arch9wavefront6targetE1EEEvT1_: ; @_ZN7rocprim17ROCPRIM_400000_NS6detail17trampoline_kernelINS0_14default_configENS1_25partition_config_selectorILNS1_17partition_subalgoE0ExNS0_10empty_typeEbEEZZNS1_14partition_implILS5_0ELb0ES3_jN6thrust23THRUST_200600_302600_NS6detail15normal_iteratorINSA_10device_ptrIxEEEEPS6_SG_NS0_5tupleIJSF_NSA_16discard_iteratorINSA_11use_defaultEEEEEENSH_IJSG_SG_EEES6_PlJ7is_evenIxEEEE10hipError_tPvRmT3_T4_T5_T6_T7_T9_mT8_P12ihipStream_tbDpT10_ENKUlT_T0_E_clISt17integral_constantIbLb0EES18_IbLb1EEEEDaS14_S15_EUlS14_E_NS1_11comp_targetILNS1_3genE5ELNS1_11target_archE942ELNS1_3gpuE9ELNS1_3repE0EEENS1_30default_config_static_selectorELNS0_4arch9wavefront6targetE1EEEvT1_
; %bb.0:
	s_load_dwordx2 s[2:3], s[0:1], 0x60
	s_load_dwordx4 s[24:27], s[0:1], 0x50
	s_load_dwordx2 s[30:31], s[0:1], 0x70
	v_cmp_eq_u32_e64 s[20:21], 0, v0
	s_and_saveexec_b64 s[4:5], s[20:21]
	s_cbranch_execz .LBB2644_4
; %bb.1:
	s_mov_b64 s[8:9], exec
	v_mbcnt_lo_u32_b32 v1, s8, 0
	v_mbcnt_hi_u32_b32 v1, s9, v1
	v_cmp_eq_u32_e32 vcc, 0, v1
                                        ; implicit-def: $vgpr2
	s_and_saveexec_b64 s[6:7], vcc
	s_cbranch_execz .LBB2644_3
; %bb.2:
	s_load_dwordx2 s[10:11], s[0:1], 0x80
	s_bcnt1_i32_b64 s8, s[8:9]
	v_mov_b32_e32 v2, 0
	v_mov_b32_e32 v3, s8
	s_waitcnt lgkmcnt(0)
	global_atomic_add v2, v2, v3, s[10:11] sc0
.LBB2644_3:
	s_or_b64 exec, exec, s[6:7]
	s_waitcnt vmcnt(0)
	v_readfirstlane_b32 s6, v2
	v_mov_b32_e32 v2, 0
	s_nop 0
	v_add_u32_e32 v1, s6, v1
	ds_write_b32 v2, v1
.LBB2644_4:
	s_or_b64 exec, exec, s[4:5]
	v_mov_b32_e32 v21, 0
	s_load_dwordx4 s[4:7], s[0:1], 0x8
	s_load_dwordx2 s[28:29], s[0:1], 0x28
	s_load_dword s8, s[0:1], 0x78
	s_waitcnt lgkmcnt(0)
	s_barrier
	ds_read_b32 v1, v21
	s_waitcnt lgkmcnt(0)
	s_barrier
	global_load_dwordx2 v[18:19], v21, s[26:27]
	s_lshl_b64 s[0:1], s[6:7], 3
	s_add_u32 s4, s4, s0
	s_movk_i32 s0, 0xe00
	v_mul_lo_u32 v20, v1, s0
	s_mul_i32 s0, s8, 0xe00
	s_addc_u32 s5, s5, s1
	s_add_i32 s1, s0, s6
	v_mov_b32_e32 v3, s3
	s_add_i32 s3, s8, -1
	s_sub_i32 s33, s2, s1
	s_add_u32 s0, s6, s0
	v_readfirstlane_b32 s36, v1
	s_addc_u32 s1, s7, 0
	s_cmp_eq_u32 s36, s3
	v_mov_b32_e32 v2, s2
	s_cselect_b64 s[22:23], -1, 0
	s_cmp_lg_u32 s36, s3
	v_cmp_lt_u64_e32 vcc, s[0:1], v[2:3]
	s_cselect_b64 s[0:1], -1, 0
	s_or_b64 s[0:1], vcc, s[0:1]
	v_lshlrev_b64 v[2:3], 3, v[20:21]
	v_lshl_add_u64 v[22:23], s[4:5], 0, v[2:3]
	s_mov_b64 s[2:3], -1
	s_and_b64 vcc, exec, s[0:1]
	v_lshlrev_b32_e32 v20, 3, v0
	s_cbranch_vccz .LBB2644_6
; %bb.5:
	v_lshl_add_u64 v[2:3], v[22:23], 0, v[20:21]
	v_add_co_u32_e32 v4, vcc, 0x1000, v2
	s_mov_b64 s[2:3], 0
	s_nop 0
	v_addc_co_u32_e32 v5, vcc, 0, v3, vcc
	v_add_co_u32_e32 v6, vcc, 0x2000, v2
	s_nop 1
	v_addc_co_u32_e32 v7, vcc, 0, v3, vcc
	v_add_co_u32_e32 v8, vcc, 0x3000, v2
	s_nop 1
	v_addc_co_u32_e32 v9, vcc, 0, v3, vcc
	flat_load_dwordx2 v[10:11], v[2:3]
	flat_load_dwordx2 v[12:13], v[4:5]
	;; [unrolled: 1-line block ×4, first 2 shown]
	v_add_co_u32_e32 v4, vcc, 0x4000, v2
	s_nop 1
	v_addc_co_u32_e32 v5, vcc, 0, v3, vcc
	v_add_co_u32_e32 v6, vcc, 0x5000, v2
	s_nop 1
	v_addc_co_u32_e32 v7, vcc, 0, v3, vcc
	;; [unrolled: 3-line block ×3, first 2 shown]
	flat_load_dwordx2 v[8:9], v[4:5]
	flat_load_dwordx2 v[24:25], v[6:7]
	;; [unrolled: 1-line block ×3, first 2 shown]
	s_waitcnt vmcnt(0) lgkmcnt(0)
	ds_write2st64_b64 v20, v[10:11], v[12:13] offset1:8
	ds_write2st64_b64 v20, v[14:15], v[16:17] offset0:16 offset1:24
	ds_write2st64_b64 v20, v[8:9], v[24:25] offset0:32 offset1:40
	ds_write_b64 v20, v[26:27] offset:24576
	s_waitcnt lgkmcnt(0)
	s_barrier
.LBB2644_6:
	s_andn2_b64 vcc, exec, s[2:3]
	s_addk_i32 s33, 0xe00
	s_cbranch_vccnz .LBB2644_22
; %bb.7:
	v_cmp_gt_u32_e32 vcc, s33, v0
                                        ; implicit-def: $vgpr2_vgpr3_vgpr4_vgpr5_vgpr6_vgpr7_vgpr8_vgpr9_vgpr10_vgpr11_vgpr12_vgpr13_vgpr14_vgpr15_vgpr16_vgpr17
	s_and_saveexec_b64 s[2:3], vcc
	s_cbranch_execz .LBB2644_9
; %bb.8:
	v_mov_b32_e32 v21, 0
	v_lshl_add_u64 v[2:3], v[22:23], 0, v[20:21]
	flat_load_dwordx2 v[2:3], v[2:3]
.LBB2644_9:
	s_or_b64 exec, exec, s[2:3]
	v_or_b32_e32 v1, 0x200, v0
	v_cmp_gt_u32_e32 vcc, s33, v1
	s_and_saveexec_b64 s[2:3], vcc
	s_cbranch_execz .LBB2644_11
; %bb.10:
	v_lshlrev_b32_e32 v4, 3, v1
	v_mov_b32_e32 v5, 0
	v_lshl_add_u64 v[4:5], v[22:23], 0, v[4:5]
	flat_load_dwordx2 v[4:5], v[4:5]
.LBB2644_11:
	s_or_b64 exec, exec, s[2:3]
	v_or_b32_e32 v1, 0x400, v0
	v_cmp_gt_u32_e32 vcc, s33, v1
	s_and_saveexec_b64 s[2:3], vcc
	s_cbranch_execz .LBB2644_13
; %bb.12:
	v_lshlrev_b32_e32 v6, 3, v1
	v_mov_b32_e32 v7, 0
	v_lshl_add_u64 v[6:7], v[22:23], 0, v[6:7]
	flat_load_dwordx2 v[6:7], v[6:7]
.LBB2644_13:
	;; [unrolled: 11-line block ×6, first 2 shown]
	s_or_b64 exec, exec, s[2:3]
	s_waitcnt vmcnt(0) lgkmcnt(0)
	ds_write2st64_b64 v20, v[2:3], v[4:5] offset1:8
	ds_write2st64_b64 v20, v[6:7], v[8:9] offset0:16 offset1:24
	ds_write2st64_b64 v20, v[10:11], v[12:13] offset0:32 offset1:40
	ds_write_b64 v20, v[14:15] offset:24576
	s_waitcnt lgkmcnt(0)
	s_barrier
.LBB2644_22:
	v_mul_u32_u24_e32 v1, 7, v0
	v_lshlrev_b32_e32 v34, 3, v1
	ds_read2_b64 v[10:13], v34 offset1:1
	ds_read2_b64 v[6:9], v34 offset0:2 offset1:3
	ds_read2_b64 v[2:5], v34 offset0:4 offset1:5
	ds_read_b64 v[14:15], v34 offset:48
	v_cndmask_b32_e64 v16, 0, 1, s[0:1]
	v_cmp_ne_u32_e64 s[2:3], 1, v16
	s_andn2_b64 vcc, exec, s[0:1]
	s_waitcnt lgkmcnt(3)
	v_xor_b32_e32 v26, -1, v10
	v_xor_b32_e32 v25, -1, v12
	s_waitcnt lgkmcnt(2)
	v_xor_b32_e32 v24, -1, v6
	v_xor_b32_e32 v23, -1, v8
	;; [unrolled: 3-line block ×3, first 2 shown]
	s_waitcnt lgkmcnt(0)
	v_xor_b32_e32 v16, -1, v14
	s_barrier
	s_cbranch_vccnz .LBB2644_24
; %bb.23:
	v_mov_b32_e32 v21, 1
	v_and_b32_e32 v27, 1, v26
	v_and_b32_sdwa v28, v25, v21 dst_sel:BYTE_1 dst_unused:UNUSED_PAD src0_sel:DWORD src1_sel:DWORD
	v_and_b32_e32 v29, 1, v24
	v_and_b32_sdwa v32, v23, v21 dst_sel:BYTE_1 dst_unused:UNUSED_PAD src0_sel:DWORD src1_sel:DWORD
	v_or_b32_e32 v27, v27, v28
	v_or_b32_sdwa v28, v29, v32 dst_sel:WORD_1 dst_unused:UNUSED_PAD src0_sel:DWORD src1_sel:DWORD
	v_and_b32_e32 v31, 1, v22
	v_and_b32_e32 v30, 1, v17
	;; [unrolled: 1-line block ×3, first 2 shown]
	v_or_b32_sdwa v32, v27, v28 dst_sel:DWORD dst_unused:UNUSED_PAD src0_sel:WORD_0 src1_sel:DWORD
	s_cbranch_execz .LBB2644_25
	s_branch .LBB2644_26
.LBB2644_24:
                                        ; implicit-def: $vgpr21
                                        ; implicit-def: $vgpr30
                                        ; implicit-def: $vgpr31
                                        ; implicit-def: $vgpr32
.LBB2644_25:
	v_add_u32_e32 v21, 1, v1
	v_cmp_gt_u32_e32 vcc, s33, v1
	v_add_u32_e32 v27, 2, v1
	v_add_u32_e32 v28, 3, v1
	v_cndmask_b32_e64 v31, 0, 1, vcc
	v_cmp_gt_u32_e32 vcc, s33, v21
	v_add_u32_e32 v29, 4, v1
	v_add_u32_e32 v30, 5, v1
	v_cndmask_b32_e64 v21, 0, 1, vcc
	v_cmp_gt_u32_e32 vcc, s33, v27
	v_and_b32_sdwa v25, v21, v25 dst_sel:BYTE_1 dst_unused:UNUSED_PAD src0_sel:DWORD src1_sel:DWORD
	v_add_u32_e32 v32, 6, v1
	v_cndmask_b32_e64 v21, 0, 1, vcc
	v_cmp_gt_u32_e32 vcc, s33, v28
	v_and_b32_e32 v24, v21, v24
	v_and_b32_e32 v26, v31, v26
	v_cndmask_b32_e64 v21, 0, 1, vcc
	v_cmp_gt_u32_e32 vcc, s33, v29
	v_and_b32_sdwa v23, v21, v23 dst_sel:BYTE_1 dst_unused:UNUSED_PAD src0_sel:DWORD src1_sel:DWORD
	s_nop 0
	v_cndmask_b32_e64 v21, 0, 1, vcc
	v_cmp_gt_u32_e32 vcc, s33, v30
	v_and_b32_e32 v31, v21, v22
	s_nop 0
	v_cndmask_b32_e64 v21, 0, 1, vcc
	v_cmp_gt_u32_e32 vcc, s33, v32
	v_and_b32_e32 v30, v21, v17
	s_nop 0
	v_cndmask_b32_e64 v17, 0, 1, vcc
	v_and_b32_e32 v21, v17, v16
	v_or_b32_e32 v16, v26, v25
	v_or_b32_sdwa v17, v24, v23 dst_sel:WORD_1 dst_unused:UNUSED_PAD src0_sel:DWORD src1_sel:DWORD
	s_nop 0
	v_or_b32_sdwa v32, v16, v17 dst_sel:DWORD dst_unused:UNUSED_PAD src0_sel:WORD_0 src1_sel:DWORD
.LBB2644_26:
	v_and_b32_e32 v35, 0xff, v32
	v_bfe_u32 v36, v32, 8, 8
	v_bfe_u32 v37, v32, 16, 8
	v_lshrrev_b32_e32 v33, 24, v32
	v_and_b32_e32 v38, 0xff, v31
	v_add3_u32 v17, v36, v35, v37
	v_and_b32_e32 v39, 0xff, v30
	v_and_b32_e32 v16, 0xff, v21
	v_add3_u32 v17, v17, v33, v38
	v_add3_u32 v42, v17, v39, v16
	v_mbcnt_lo_u32_b32 v16, -1, 0
	v_mbcnt_hi_u32_b32 v40, -1, v16
	v_and_b32_e32 v16, 15, v40
	v_cmp_eq_u32_e64 s[16:17], 0, v16
	v_cmp_lt_u32_e64 s[14:15], 1, v16
	v_cmp_lt_u32_e64 s[12:13], 3, v16
	;; [unrolled: 1-line block ×3, first 2 shown]
	v_and_b32_e32 v16, 16, v40
	v_cmp_eq_u32_e64 s[8:9], 0, v16
	v_or_b32_e32 v16, 63, v0
	s_cmp_lg_u32 s36, 0
	v_cmp_lt_u32_e64 s[4:5], 31, v40
	v_lshrrev_b32_e32 v41, 6, v0
	v_cmp_eq_u32_e64 s[6:7], v16, v0
	s_cbranch_scc0 .LBB2644_53
; %bb.27:
	v_mov_b32_dpp v16, v42 row_shr:1 row_mask:0xf bank_mask:0xf
	v_cndmask_b32_e64 v16, v16, 0, s[16:17]
	v_add_u32_e32 v16, v16, v42
	s_nop 1
	v_mov_b32_dpp v17, v16 row_shr:2 row_mask:0xf bank_mask:0xf
	v_cndmask_b32_e64 v17, 0, v17, s[14:15]
	v_add_u32_e32 v16, v16, v17
	s_nop 1
	;; [unrolled: 4-line block ×4, first 2 shown]
	v_mov_b32_dpp v17, v16 row_bcast:15 row_mask:0xf bank_mask:0xf
	v_cndmask_b32_e64 v17, v17, 0, s[8:9]
	v_add_u32_e32 v16, v16, v17
	s_nop 1
	v_mov_b32_dpp v17, v16 row_bcast:31 row_mask:0xf bank_mask:0xf
	v_cndmask_b32_e64 v17, 0, v17, s[4:5]
	v_add_u32_e32 v16, v16, v17
	s_and_saveexec_b64 s[0:1], s[6:7]
	s_cbranch_execz .LBB2644_29
; %bb.28:
	v_lshlrev_b32_e32 v17, 2, v41
	ds_write_b32 v17, v16
.LBB2644_29:
	s_or_b64 exec, exec, s[0:1]
	v_cmp_gt_u32_e32 vcc, 8, v0
	s_waitcnt lgkmcnt(0)
	s_barrier
	s_and_saveexec_b64 s[0:1], vcc
	s_cbranch_execz .LBB2644_31
; %bb.30:
	v_lshlrev_b32_e32 v17, 2, v0
	ds_read_b32 v22, v17
	v_and_b32_e32 v23, 7, v40
	v_cmp_ne_u32_e32 vcc, 0, v23
	s_waitcnt lgkmcnt(0)
	v_mov_b32_dpp v24, v22 row_shr:1 row_mask:0xf bank_mask:0xf
	v_cndmask_b32_e32 v24, 0, v24, vcc
	v_add_u32_e32 v22, v24, v22
	v_cmp_lt_u32_e32 vcc, 1, v23
	s_nop 0
	v_mov_b32_dpp v24, v22 row_shr:2 row_mask:0xf bank_mask:0xf
	v_cndmask_b32_e32 v24, 0, v24, vcc
	v_add_u32_e32 v22, v22, v24
	v_cmp_lt_u32_e32 vcc, 3, v23
	s_nop 0
	v_mov_b32_dpp v24, v22 row_shr:4 row_mask:0xf bank_mask:0xf
	v_cndmask_b32_e32 v23, 0, v24, vcc
	v_add_u32_e32 v22, v22, v23
	ds_write_b32 v17, v22
.LBB2644_31:
	s_or_b64 exec, exec, s[0:1]
	v_cmp_gt_u32_e32 vcc, 64, v0
	v_cmp_lt_u32_e64 s[0:1], 63, v0
	s_waitcnt lgkmcnt(0)
	s_barrier
	s_waitcnt lgkmcnt(0)
                                        ; implicit-def: $vgpr43
	s_and_saveexec_b64 s[18:19], s[0:1]
	s_cbranch_execz .LBB2644_33
; %bb.32:
	v_lshl_add_u32 v17, v41, 2, -4
	ds_read_b32 v43, v17
	s_waitcnt lgkmcnt(0)
	v_add_u32_e32 v16, v43, v16
.LBB2644_33:
	s_or_b64 exec, exec, s[18:19]
	v_add_u32_e32 v17, -1, v40
	v_and_b32_e32 v22, 64, v40
	v_cmp_lt_i32_e64 s[0:1], v17, v22
	v_cmp_eq_u32_e64 s[18:19], 0, v40
	s_nop 0
	v_cndmask_b32_e64 v17, v17, v40, s[0:1]
	v_lshlrev_b32_e32 v17, 2, v17
	ds_bpermute_b32 v44, v17, v16
	s_and_saveexec_b64 s[0:1], vcc
	s_cbranch_execz .LBB2644_52
; %bb.34:
	v_mov_b32_e32 v27, 0
	ds_read_b32 v16, v27 offset:28
	s_and_saveexec_b64 s[26:27], s[18:19]
	s_cbranch_execz .LBB2644_36
; %bb.35:
	s_add_i32 s34, s36, 64
	s_mov_b32 s35, 0
	s_lshl_b64 s[34:35], s[34:35], 3
	s_add_u32 s34, s30, s34
	v_mov_b32_e32 v17, 1
	s_addc_u32 s35, s31, s35
	s_waitcnt lgkmcnt(0)
	global_store_dwordx2 v27, v[16:17], s[34:35] sc1
.LBB2644_36:
	s_or_b64 exec, exec, s[26:27]
	v_xad_u32 v22, v40, -1, s36
	v_add_u32_e32 v26, 64, v22
	v_lshl_add_u64 v[28:29], v[26:27], 3, s[30:31]
	global_load_dwordx2 v[24:25], v[28:29], off sc1
	s_waitcnt vmcnt(0)
	v_cmp_eq_u16_sdwa s[34:35], v25, v27 src0_sel:BYTE_0 src1_sel:DWORD
	s_and_saveexec_b64 s[26:27], s[34:35]
	s_cbranch_execz .LBB2644_40
; %bb.37:
	s_mov_b64 s[34:35], 0
	v_mov_b32_e32 v17, 0
.LBB2644_38:                            ; =>This Inner Loop Header: Depth=1
	global_load_dwordx2 v[24:25], v[28:29], off sc1
	s_waitcnt vmcnt(0)
	v_cmp_ne_u16_sdwa s[38:39], v25, v17 src0_sel:BYTE_0 src1_sel:DWORD
	s_or_b64 s[34:35], s[38:39], s[34:35]
	s_andn2_b64 exec, exec, s[34:35]
	s_cbranch_execnz .LBB2644_38
; %bb.39:
	s_or_b64 exec, exec, s[34:35]
.LBB2644_40:
	s_or_b64 exec, exec, s[26:27]
	v_and_b32_e32 v46, 63, v40
	v_mov_b32_e32 v45, 2
	v_cmp_ne_u32_e32 vcc, 63, v46
	v_cmp_eq_u16_sdwa s[26:27], v25, v45 src0_sel:BYTE_0 src1_sel:DWORD
	v_lshlrev_b64 v[26:27], v40, -1
	v_addc_co_u32_e32 v28, vcc, 0, v40, vcc
	v_and_b32_e32 v17, s27, v27
	v_lshlrev_b32_e32 v47, 2, v28
	v_or_b32_e32 v17, 0x80000000, v17
	ds_bpermute_b32 v28, v47, v24
	v_and_b32_e32 v23, s26, v26
	v_ffbl_b32_e32 v17, v17
	v_add_u32_e32 v17, 32, v17
	v_ffbl_b32_e32 v23, v23
	v_min_u32_e32 v17, v23, v17
	v_cmp_lt_u32_e32 vcc, v46, v17
	v_add_u32_e32 v49, 2, v46
	v_add_u32_e32 v51, 4, v46
	s_waitcnt lgkmcnt(0)
	v_cndmask_b32_e32 v23, 0, v28, vcc
	v_cmp_gt_u32_e32 vcc, 62, v46
	v_add_u32_e32 v23, v23, v24
	v_add_u32_e32 v53, 8, v46
	v_cndmask_b32_e64 v24, 0, 1, vcc
	v_lshlrev_b32_e32 v24, 1, v24
	v_add_lshl_u32 v48, v24, v40, 2
	ds_bpermute_b32 v24, v48, v23
	v_cmp_le_u32_e32 vcc, v49, v17
	v_add_u32_e32 v55, 16, v46
	v_add_u32_e32 v57, 32, v46
	s_waitcnt lgkmcnt(0)
	v_cndmask_b32_e32 v24, 0, v24, vcc
	v_cmp_gt_u32_e32 vcc, 60, v46
	v_add_u32_e32 v23, v23, v24
	s_nop 0
	v_cndmask_b32_e64 v24, 0, 1, vcc
	v_lshlrev_b32_e32 v24, 2, v24
	v_add_lshl_u32 v50, v24, v40, 2
	ds_bpermute_b32 v24, v50, v23
	v_cmp_le_u32_e32 vcc, v51, v17
	s_waitcnt lgkmcnt(0)
	s_nop 0
	v_cndmask_b32_e32 v24, 0, v24, vcc
	v_cmp_gt_u32_e32 vcc, 56, v46
	v_add_u32_e32 v23, v23, v24
	s_nop 0
	v_cndmask_b32_e64 v24, 0, 1, vcc
	v_lshlrev_b32_e32 v24, 3, v24
	v_add_lshl_u32 v52, v24, v40, 2
	ds_bpermute_b32 v24, v52, v23
	v_cmp_le_u32_e32 vcc, v53, v17
	s_waitcnt lgkmcnt(0)
	s_nop 0
	;; [unrolled: 11-line block ×4, first 2 shown]
	v_cndmask_b32_e32 v17, 0, v24, vcc
	v_add_u32_e32 v24, v23, v17
	v_mov_b32_e32 v23, 0
	s_branch .LBB2644_42
.LBB2644_41:                            ;   in Loop: Header=BB2644_42 Depth=1
	s_or_b64 exec, exec, s[26:27]
	v_cmp_eq_u16_sdwa s[26:27], v25, v45 src0_sel:BYTE_0 src1_sel:DWORD
	ds_bpermute_b32 v58, v47, v24
	v_subrev_u32_e32 v22, 64, v22
	v_and_b32_e32 v28, s27, v27
	v_or_b32_e32 v28, 0x80000000, v28
	v_and_b32_e32 v29, s26, v26
	v_ffbl_b32_e32 v28, v28
	v_add_u32_e32 v28, 32, v28
	v_ffbl_b32_e32 v29, v29
	v_min_u32_e32 v28, v29, v28
	v_cmp_lt_u32_e32 vcc, v46, v28
	s_waitcnt lgkmcnt(0)
	s_nop 0
	v_cndmask_b32_e32 v29, 0, v58, vcc
	v_add_u32_e32 v24, v29, v24
	ds_bpermute_b32 v29, v48, v24
	v_cmp_le_u32_e32 vcc, v49, v28
	s_waitcnt lgkmcnt(0)
	s_nop 0
	v_cndmask_b32_e32 v29, 0, v29, vcc
	v_add_u32_e32 v24, v24, v29
	ds_bpermute_b32 v29, v50, v24
	v_cmp_le_u32_e32 vcc, v51, v28
	;; [unrolled: 6-line block ×5, first 2 shown]
	s_waitcnt lgkmcnt(0)
	s_nop 0
	v_cndmask_b32_e32 v28, 0, v29, vcc
	v_add3_u32 v24, v28, v17, v24
.LBB2644_42:                            ; =>This Loop Header: Depth=1
                                        ;     Child Loop BB2644_45 Depth 2
	v_cmp_ne_u16_sdwa s[26:27], v25, v45 src0_sel:BYTE_0 src1_sel:DWORD
	s_nop 1
	v_cndmask_b32_e64 v17, 0, 1, s[26:27]
	;;#ASMSTART
	;;#ASMEND
	s_nop 0
	v_cmp_ne_u32_e32 vcc, 0, v17
	s_cmp_lg_u64 vcc, exec
	v_mov_b32_e32 v17, v24
	s_cbranch_scc1 .LBB2644_47
; %bb.43:                               ;   in Loop: Header=BB2644_42 Depth=1
	v_lshl_add_u64 v[28:29], v[22:23], 3, s[30:31]
	global_load_dwordx2 v[24:25], v[28:29], off sc1
	s_waitcnt vmcnt(0)
	v_cmp_eq_u16_sdwa s[34:35], v25, v23 src0_sel:BYTE_0 src1_sel:DWORD
	s_and_saveexec_b64 s[26:27], s[34:35]
	s_cbranch_execz .LBB2644_41
; %bb.44:                               ;   in Loop: Header=BB2644_42 Depth=1
	s_mov_b64 s[34:35], 0
.LBB2644_45:                            ;   Parent Loop BB2644_42 Depth=1
                                        ; =>  This Inner Loop Header: Depth=2
	global_load_dwordx2 v[24:25], v[28:29], off sc1
	s_waitcnt vmcnt(0)
	v_cmp_ne_u16_sdwa s[38:39], v25, v23 src0_sel:BYTE_0 src1_sel:DWORD
	s_or_b64 s[34:35], s[38:39], s[34:35]
	s_andn2_b64 exec, exec, s[34:35]
	s_cbranch_execnz .LBB2644_45
; %bb.46:                               ;   in Loop: Header=BB2644_42 Depth=1
	s_or_b64 exec, exec, s[34:35]
	s_branch .LBB2644_41
.LBB2644_47:                            ;   in Loop: Header=BB2644_42 Depth=1
                                        ; implicit-def: $vgpr24
                                        ; implicit-def: $vgpr25
	s_cbranch_execz .LBB2644_42
; %bb.48:
	s_and_saveexec_b64 s[26:27], s[18:19]
	s_cbranch_execz .LBB2644_50
; %bb.49:
	s_add_i32 s34, s36, 64
	s_mov_b32 s35, 0
	s_lshl_b64 s[34:35], s[34:35], 3
	s_add_u32 s34, s30, s34
	v_add_u32_e32 v22, v17, v16
	v_mov_b32_e32 v23, 2
	s_addc_u32 s35, s31, s35
	v_mov_b32_e32 v24, 0
	global_store_dwordx2 v24, v[22:23], s[34:35] sc1
	ds_write_b64 v24, v[16:17] offset:28672
.LBB2644_50:
	s_or_b64 exec, exec, s[26:27]
	s_and_b64 exec, exec, s[20:21]
	s_cbranch_execz .LBB2644_52
; %bb.51:
	v_mov_b32_e32 v16, 0
	ds_write_b32 v16, v17 offset:28
.LBB2644_52:
	s_or_b64 exec, exec, s[0:1]
	v_mov_b32_e32 v16, 0
	s_waitcnt lgkmcnt(0)
	s_barrier
	ds_read_b32 v17, v16 offset:28
	v_cndmask_b32_e64 v22, v44, v43, s[18:19]
	v_cndmask_b32_e64 v22, v22, 0, s[20:21]
	s_waitcnt lgkmcnt(0)
	s_barrier
	v_add_u32_e32 v29, v17, v22
	v_add_u32_e32 v28, v29, v35
	ds_read_b64 v[16:17], v16 offset:28672
	v_add_u32_e32 v27, v28, v36
	v_add_u32_e32 v26, v27, v37
	;; [unrolled: 1-line block ×5, first 2 shown]
	s_waitcnt lgkmcnt(0)
	v_mov_b32_e32 v22, v17
	s_branch .LBB2644_63
.LBB2644_53:
                                        ; implicit-def: $vgpr22
                                        ; implicit-def: $vgpr16
                                        ; implicit-def: $vgpr23
                                        ; implicit-def: $vgpr24
                                        ; implicit-def: $vgpr25
                                        ; implicit-def: $vgpr26
                                        ; implicit-def: $vgpr27
                                        ; implicit-def: $vgpr28
                                        ; implicit-def: $vgpr29
	s_cbranch_execz .LBB2644_63
; %bb.54:
	s_nop 0
	v_mov_b32_dpp v16, v42 row_shr:1 row_mask:0xf bank_mask:0xf
	v_cndmask_b32_e64 v16, v16, 0, s[16:17]
	v_add_u32_e32 v16, v16, v42
	s_nop 1
	v_mov_b32_dpp v17, v16 row_shr:2 row_mask:0xf bank_mask:0xf
	v_cndmask_b32_e64 v17, 0, v17, s[14:15]
	v_add_u32_e32 v16, v16, v17
	;; [unrolled: 4-line block ×4, first 2 shown]
	s_nop 1
	v_mov_b32_dpp v17, v16 row_bcast:15 row_mask:0xf bank_mask:0xf
	v_cndmask_b32_e64 v17, v17, 0, s[8:9]
	v_add_u32_e32 v16, v16, v17
	s_nop 1
	v_mov_b32_dpp v17, v16 row_bcast:31 row_mask:0xf bank_mask:0xf
	v_cndmask_b32_e64 v17, 0, v17, s[4:5]
	v_add_u32_e32 v16, v16, v17
	s_and_saveexec_b64 s[0:1], s[6:7]
	s_cbranch_execz .LBB2644_56
; %bb.55:
	v_lshlrev_b32_e32 v17, 2, v41
	ds_write_b32 v17, v16
.LBB2644_56:
	s_or_b64 exec, exec, s[0:1]
	v_cmp_gt_u32_e32 vcc, 8, v0
	s_waitcnt lgkmcnt(0)
	s_barrier
	s_and_saveexec_b64 s[0:1], vcc
	s_cbranch_execz .LBB2644_58
; %bb.57:
	s_movk_i32 s4, 0xffcc
	v_mad_i32_i24 v17, v0, s4, v34
	ds_read_b32 v22, v17
	v_and_b32_e32 v23, 7, v40
	v_cmp_ne_u32_e32 vcc, 0, v23
	s_waitcnt lgkmcnt(0)
	v_mov_b32_dpp v24, v22 row_shr:1 row_mask:0xf bank_mask:0xf
	v_cndmask_b32_e32 v24, 0, v24, vcc
	v_add_u32_e32 v22, v24, v22
	v_cmp_lt_u32_e32 vcc, 1, v23
	s_nop 0
	v_mov_b32_dpp v24, v22 row_shr:2 row_mask:0xf bank_mask:0xf
	v_cndmask_b32_e32 v24, 0, v24, vcc
	v_add_u32_e32 v22, v22, v24
	v_cmp_lt_u32_e32 vcc, 3, v23
	s_nop 0
	v_mov_b32_dpp v24, v22 row_shr:4 row_mask:0xf bank_mask:0xf
	v_cndmask_b32_e32 v23, 0, v24, vcc
	v_add_u32_e32 v22, v22, v23
	ds_write_b32 v17, v22
.LBB2644_58:
	s_or_b64 exec, exec, s[0:1]
	v_cmp_lt_u32_e32 vcc, 63, v0
	v_mov_b32_e32 v17, 0
	v_mov_b32_e32 v22, 0
	s_waitcnt lgkmcnt(0)
	s_barrier
	s_and_saveexec_b64 s[0:1], vcc
	s_cbranch_execz .LBB2644_60
; %bb.59:
	v_lshl_add_u32 v22, v41, 2, -4
	ds_read_b32 v22, v22
.LBB2644_60:
	s_or_b64 exec, exec, s[0:1]
	v_add_u32_e32 v23, -1, v40
	v_and_b32_e32 v24, 64, v40
	v_cmp_lt_i32_e32 vcc, v23, v24
	s_waitcnt lgkmcnt(0)
	v_add_u32_e32 v16, v22, v16
	v_cndmask_b32_e32 v23, v23, v40, vcc
	v_lshlrev_b32_e32 v23, 2, v23
	ds_bpermute_b32 v23, v23, v16
	ds_read_b32 v16, v17 offset:28
	s_and_saveexec_b64 s[0:1], s[20:21]
	s_cbranch_execz .LBB2644_62
; %bb.61:
	v_mov_b32_e32 v24, 0
	v_mov_b32_e32 v17, 2
	s_waitcnt lgkmcnt(0)
	global_store_dwordx2 v24, v[16:17], s[30:31] offset:512 sc1
.LBB2644_62:
	s_or_b64 exec, exec, s[0:1]
	v_cmp_eq_u32_e32 vcc, 0, v40
	s_waitcnt lgkmcnt(0)
	s_barrier
	v_cndmask_b32_e32 v17, v23, v22, vcc
	v_cndmask_b32_e64 v29, v17, 0, s[20:21]
	v_add_u32_e32 v28, v29, v35
	v_add_u32_e32 v27, v28, v36
	;; [unrolled: 1-line block ×5, first 2 shown]
	v_mov_b32_e32 v22, 0
	v_add_u32_e32 v23, v24, v39
.LBB2644_63:
	v_add_u32_e32 v1, v16, v1
	v_sub_u32_e32 v29, v29, v22
	v_and_b32_e32 v35, 1, v32
	v_sub_u32_e32 v34, v1, v29
	v_cmp_eq_u32_e32 vcc, 1, v35
	v_lshrrev_b32_e32 v17, 8, v32
	v_and_b32_e32 v17, 1, v17
	v_cndmask_b32_e32 v29, v34, v29, vcc
	v_lshlrev_b32_e32 v29, 3, v29
	ds_write_b64 v29, v[10:11]
	v_sub_u32_e32 v10, v28, v22
	v_sub_u32_e32 v11, v1, v10
	v_add_u32_e32 v11, 1, v11
	v_cmp_eq_u32_e32 vcc, 1, v17
	v_or_b32_e32 v29, 0x400, v0
	v_or_b32_e32 v28, 0x600, v0
	v_cndmask_b32_e32 v10, v11, v10, vcc
	v_lshlrev_b32_e32 v10, 3, v10
	ds_write_b64 v10, v[12:13]
	v_sub_u32_e32 v10, v27, v22
	v_mov_b32_e32 v12, 1
	v_sub_u32_e32 v11, v1, v10
	v_and_b32_sdwa v12, v12, v32 dst_sel:DWORD dst_unused:UNUSED_PAD src0_sel:DWORD src1_sel:WORD_1
	v_add_u32_e32 v11, 2, v11
	v_cmp_eq_u32_e32 vcc, 1, v12
	v_or_b32_e32 v17, 0xa00, v0
	s_nop 0
	v_cndmask_b32_e32 v10, v11, v10, vcc
	v_lshlrev_b32_e32 v10, 3, v10
	ds_write_b64 v10, v[6:7]
	v_sub_u32_e32 v6, v26, v22
	v_sub_u32_e32 v7, v1, v6
	v_and_b32_e32 v10, 1, v33
	v_add_u32_e32 v7, 3, v7
	v_cmp_eq_u32_e32 vcc, 1, v10
	s_waitcnt vmcnt(0)
	v_lshlrev_b64 v[26:27], 3, v[18:19]
	v_cndmask_b32_e32 v6, v7, v6, vcc
	v_lshlrev_b32_e32 v6, 3, v6
	ds_write_b64 v6, v[8:9]
	v_sub_u32_e32 v6, v25, v22
	v_sub_u32_e32 v7, v1, v6
	v_and_b32_e32 v8, 1, v31
	v_add_u32_e32 v7, 4, v7
	v_cmp_eq_u32_e32 vcc, 1, v8
	s_nop 1
	v_cndmask_b32_e32 v6, v7, v6, vcc
	v_lshlrev_b32_e32 v6, 3, v6
	ds_write_b64 v6, v[2:3]
	v_sub_u32_e32 v2, v24, v22
	v_sub_u32_e32 v3, v1, v2
	v_and_b32_e32 v6, 1, v30
	v_add_u32_e32 v3, 5, v3
	v_cmp_eq_u32_e32 vcc, 1, v6
	v_or_b32_e32 v30, 0x200, v0
	s_nop 0
	v_cndmask_b32_e32 v2, v3, v2, vcc
	v_lshlrev_b32_e32 v2, 3, v2
	ds_write_b64 v2, v[4:5]
	v_sub_u32_e32 v2, v23, v22
	v_sub_u32_e32 v1, v1, v2
	v_and_b32_e32 v3, 1, v21
	v_add_u32_e32 v1, 6, v1
	v_cmp_eq_u32_e32 vcc, 1, v3
	v_or_b32_e32 v21, 0x800, v0
	s_nop 0
	v_cndmask_b32_e32 v1, v1, v2, vcc
	v_lshlrev_b32_e32 v1, 3, v1
	ds_write_b64 v1, v[14:15]
	s_waitcnt lgkmcnt(0)
	s_barrier
	ds_read2st64_b64 v[10:13], v20 offset1:8
	ds_read2st64_b64 v[6:9], v20 offset0:16 offset1:24
	ds_read2st64_b64 v[2:5], v20 offset0:32 offset1:40
	ds_read_b64 v[14:15], v20 offset:24576
	v_or_b32_e32 v1, 0xc00, v0
	s_and_b64 vcc, exec, s[2:3]
	s_cbranch_vccnz .LBB2644_72
; %bb.64:
	v_mov_b32_e32 v23, 0
	v_lshl_add_u64 v[24:25], s[28:29], 0, v[26:27]
	v_lshlrev_b64 v[32:33], 3, v[22:23]
	v_lshl_add_u64 v[24:25], v[24:25], 0, v[32:33]
	v_cmp_lt_u32_e32 vcc, v0, v16
	s_and_saveexec_b64 s[0:1], vcc
	s_cbranch_execnz .LBB2644_86
; %bb.65:
	s_or_b64 exec, exec, s[0:1]
	v_cmp_lt_u32_e32 vcc, v30, v16
	s_and_saveexec_b64 s[0:1], vcc
	s_cbranch_execnz .LBB2644_87
.LBB2644_66:
	s_or_b64 exec, exec, s[0:1]
	v_cmp_lt_u32_e32 vcc, v29, v16
	s_and_saveexec_b64 s[0:1], vcc
	s_cbranch_execnz .LBB2644_88
.LBB2644_67:
	s_or_b64 exec, exec, s[0:1]
	v_cmp_lt_u32_e32 vcc, v28, v16
	s_and_saveexec_b64 s[0:1], vcc
	s_cbranch_execnz .LBB2644_89
.LBB2644_68:
	s_or_b64 exec, exec, s[0:1]
	v_cmp_lt_u32_e32 vcc, v21, v16
	s_and_saveexec_b64 s[0:1], vcc
	s_cbranch_execnz .LBB2644_90
.LBB2644_69:
	s_or_b64 exec, exec, s[0:1]
	v_cmp_lt_u32_e32 vcc, v17, v16
	s_and_saveexec_b64 s[0:1], vcc
	s_cbranch_execz .LBB2644_71
.LBB2644_70:
	v_lshlrev_b32_e32 v23, 3, v17
	v_readfirstlane_b32 s2, v24
	v_readfirstlane_b32 s3, v25
	s_waitcnt lgkmcnt(1)
	s_nop 3
	global_store_dwordx2 v23, v[4:5], s[2:3]
.LBB2644_71:
	s_or_b64 exec, exec, s[0:1]
	v_cmp_lt_u32_e64 s[0:1], v1, v16
	s_branch .LBB2644_81
.LBB2644_72:
	s_mov_b64 s[0:1], 0
                                        ; implicit-def: $vgpr24_vgpr25
	s_cbranch_execz .LBB2644_81
; %bb.73:
	v_mov_b32_e32 v23, 0
	v_min_u32_e32 v31, s33, v16
	v_lshl_add_u64 v[24:25], s[28:29], 0, v[26:27]
	v_lshlrev_b64 v[26:27], 3, v[22:23]
	v_lshl_add_u64 v[24:25], v[24:25], 0, v[26:27]
	v_cmp_gt_u32_e32 vcc, v31, v0
	s_and_saveexec_b64 s[0:1], vcc
	s_cbranch_execnz .LBB2644_91
; %bb.74:
	s_or_b64 exec, exec, s[0:1]
	v_cmp_lt_u32_e32 vcc, v30, v31
	s_and_saveexec_b64 s[0:1], vcc
	s_cbranch_execnz .LBB2644_92
.LBB2644_75:
	s_or_b64 exec, exec, s[0:1]
	v_cmp_lt_u32_e32 vcc, v29, v31
	s_and_saveexec_b64 s[0:1], vcc
	s_cbranch_execnz .LBB2644_93
.LBB2644_76:
	s_or_b64 exec, exec, s[0:1]
	v_cmp_lt_u32_e32 vcc, v28, v31
	s_and_saveexec_b64 s[0:1], vcc
	s_cbranch_execnz .LBB2644_94
.LBB2644_77:
	s_or_b64 exec, exec, s[0:1]
	v_cmp_lt_u32_e32 vcc, v21, v31
	s_and_saveexec_b64 s[0:1], vcc
	s_cbranch_execnz .LBB2644_95
.LBB2644_78:
	s_or_b64 exec, exec, s[0:1]
	v_cmp_lt_u32_e32 vcc, v17, v31
	s_and_saveexec_b64 s[0:1], vcc
	s_cbranch_execz .LBB2644_80
.LBB2644_79:
	v_lshlrev_b32_e32 v0, 3, v17
	v_readfirstlane_b32 s2, v24
	v_readfirstlane_b32 s3, v25
	s_waitcnt lgkmcnt(1)
	s_nop 3
	global_store_dwordx2 v0, v[4:5], s[2:3]
.LBB2644_80:
	s_or_b64 exec, exec, s[0:1]
	v_cmp_lt_u32_e64 s[0:1], v1, v31
.LBB2644_81:
	s_and_saveexec_b64 s[2:3], s[0:1]
	s_cbranch_execnz .LBB2644_84
; %bb.82:
	s_or_b64 exec, exec, s[2:3]
	s_and_b64 s[0:1], s[20:21], s[22:23]
	s_and_saveexec_b64 s[2:3], s[0:1]
	s_cbranch_execnz .LBB2644_85
.LBB2644_83:
	s_endpgm
.LBB2644_84:
	v_lshlrev_b32_e32 v0, 3, v1
	v_readfirstlane_b32 s0, v24
	v_readfirstlane_b32 s1, v25
	s_waitcnt lgkmcnt(0)
	s_nop 3
	global_store_dwordx2 v0, v[14:15], s[0:1]
	s_or_b64 exec, exec, s[2:3]
	s_and_b64 s[0:1], s[20:21], s[22:23]
	s_and_saveexec_b64 s[2:3], s[0:1]
	s_cbranch_execz .LBB2644_83
.LBB2644_85:
	v_mov_b32_e32 v17, 0
	v_lshl_add_u64 v[0:1], v[18:19], 0, v[16:17]
	v_mov_b32_e32 v23, v17
	v_lshl_add_u64 v[0:1], v[0:1], 0, v[22:23]
	global_store_dwordx2 v17, v[0:1], s[24:25]
	s_endpgm
.LBB2644_86:
	v_readfirstlane_b32 s2, v24
	v_readfirstlane_b32 s3, v25
	s_waitcnt lgkmcnt(3)
	s_nop 3
	global_store_dwordx2 v20, v[10:11], s[2:3]
	s_or_b64 exec, exec, s[0:1]
	v_cmp_lt_u32_e32 vcc, v30, v16
	s_and_saveexec_b64 s[0:1], vcc
	s_cbranch_execz .LBB2644_66
.LBB2644_87:
	v_lshlrev_b32_e32 v23, 3, v30
	v_readfirstlane_b32 s2, v24
	v_readfirstlane_b32 s3, v25
	s_waitcnt lgkmcnt(3)
	s_nop 3
	global_store_dwordx2 v23, v[12:13], s[2:3]
	s_or_b64 exec, exec, s[0:1]
	v_cmp_lt_u32_e32 vcc, v29, v16
	s_and_saveexec_b64 s[0:1], vcc
	s_cbranch_execz .LBB2644_67
.LBB2644_88:
	v_lshlrev_b32_e32 v23, 3, v29
	v_readfirstlane_b32 s2, v24
	v_readfirstlane_b32 s3, v25
	s_waitcnt lgkmcnt(2)
	s_nop 3
	global_store_dwordx2 v23, v[6:7], s[2:3]
	s_or_b64 exec, exec, s[0:1]
	v_cmp_lt_u32_e32 vcc, v28, v16
	s_and_saveexec_b64 s[0:1], vcc
	s_cbranch_execz .LBB2644_68
.LBB2644_89:
	v_lshlrev_b32_e32 v23, 3, v28
	v_readfirstlane_b32 s2, v24
	v_readfirstlane_b32 s3, v25
	s_waitcnt lgkmcnt(2)
	s_nop 3
	global_store_dwordx2 v23, v[8:9], s[2:3]
	s_or_b64 exec, exec, s[0:1]
	v_cmp_lt_u32_e32 vcc, v21, v16
	s_and_saveexec_b64 s[0:1], vcc
	s_cbranch_execz .LBB2644_69
.LBB2644_90:
	v_lshlrev_b32_e32 v23, 3, v21
	v_readfirstlane_b32 s2, v24
	v_readfirstlane_b32 s3, v25
	s_waitcnt lgkmcnt(1)
	s_nop 3
	global_store_dwordx2 v23, v[2:3], s[2:3]
	s_or_b64 exec, exec, s[0:1]
	v_cmp_lt_u32_e32 vcc, v17, v16
	s_and_saveexec_b64 s[0:1], vcc
	s_cbranch_execnz .LBB2644_70
	s_branch .LBB2644_71
.LBB2644_91:
	v_readfirstlane_b32 s2, v24
	v_readfirstlane_b32 s3, v25
	s_waitcnt lgkmcnt(3)
	s_nop 3
	global_store_dwordx2 v20, v[10:11], s[2:3]
	s_or_b64 exec, exec, s[0:1]
	v_cmp_lt_u32_e32 vcc, v30, v31
	s_and_saveexec_b64 s[0:1], vcc
	s_cbranch_execz .LBB2644_75
.LBB2644_92:
	v_lshlrev_b32_e32 v0, 3, v30
	v_readfirstlane_b32 s2, v24
	v_readfirstlane_b32 s3, v25
	s_waitcnt lgkmcnt(3)
	s_nop 3
	global_store_dwordx2 v0, v[12:13], s[2:3]
	s_or_b64 exec, exec, s[0:1]
	v_cmp_lt_u32_e32 vcc, v29, v31
	s_and_saveexec_b64 s[0:1], vcc
	s_cbranch_execz .LBB2644_76
.LBB2644_93:
	v_lshlrev_b32_e32 v0, 3, v29
	v_readfirstlane_b32 s2, v24
	v_readfirstlane_b32 s3, v25
	s_waitcnt lgkmcnt(2)
	s_nop 3
	global_store_dwordx2 v0, v[6:7], s[2:3]
	s_or_b64 exec, exec, s[0:1]
	v_cmp_lt_u32_e32 vcc, v28, v31
	s_and_saveexec_b64 s[0:1], vcc
	s_cbranch_execz .LBB2644_77
.LBB2644_94:
	v_lshlrev_b32_e32 v0, 3, v28
	v_readfirstlane_b32 s2, v24
	v_readfirstlane_b32 s3, v25
	s_waitcnt lgkmcnt(2)
	s_nop 3
	global_store_dwordx2 v0, v[8:9], s[2:3]
	s_or_b64 exec, exec, s[0:1]
	v_cmp_lt_u32_e32 vcc, v21, v31
	s_and_saveexec_b64 s[0:1], vcc
	s_cbranch_execz .LBB2644_78
.LBB2644_95:
	v_lshlrev_b32_e32 v0, 3, v21
	v_readfirstlane_b32 s2, v24
	v_readfirstlane_b32 s3, v25
	s_waitcnt lgkmcnt(1)
	s_nop 3
	global_store_dwordx2 v0, v[2:3], s[2:3]
	s_or_b64 exec, exec, s[0:1]
	v_cmp_lt_u32_e32 vcc, v17, v31
	s_and_saveexec_b64 s[0:1], vcc
	s_cbranch_execnz .LBB2644_79
	s_branch .LBB2644_80
	.section	.rodata,"a",@progbits
	.p2align	6, 0x0
	.amdhsa_kernel _ZN7rocprim17ROCPRIM_400000_NS6detail17trampoline_kernelINS0_14default_configENS1_25partition_config_selectorILNS1_17partition_subalgoE0ExNS0_10empty_typeEbEEZZNS1_14partition_implILS5_0ELb0ES3_jN6thrust23THRUST_200600_302600_NS6detail15normal_iteratorINSA_10device_ptrIxEEEEPS6_SG_NS0_5tupleIJSF_NSA_16discard_iteratorINSA_11use_defaultEEEEEENSH_IJSG_SG_EEES6_PlJ7is_evenIxEEEE10hipError_tPvRmT3_T4_T5_T6_T7_T9_mT8_P12ihipStream_tbDpT10_ENKUlT_T0_E_clISt17integral_constantIbLb0EES18_IbLb1EEEEDaS14_S15_EUlS14_E_NS1_11comp_targetILNS1_3genE5ELNS1_11target_archE942ELNS1_3gpuE9ELNS1_3repE0EEENS1_30default_config_static_selectorELNS0_4arch9wavefront6targetE1EEEvT1_
		.amdhsa_group_segment_fixed_size 28680
		.amdhsa_private_segment_fixed_size 0
		.amdhsa_kernarg_size 144
		.amdhsa_user_sgpr_count 2
		.amdhsa_user_sgpr_dispatch_ptr 0
		.amdhsa_user_sgpr_queue_ptr 0
		.amdhsa_user_sgpr_kernarg_segment_ptr 1
		.amdhsa_user_sgpr_dispatch_id 0
		.amdhsa_user_sgpr_kernarg_preload_length 0
		.amdhsa_user_sgpr_kernarg_preload_offset 0
		.amdhsa_user_sgpr_private_segment_size 0
		.amdhsa_uses_dynamic_stack 0
		.amdhsa_enable_private_segment 0
		.amdhsa_system_sgpr_workgroup_id_x 1
		.amdhsa_system_sgpr_workgroup_id_y 0
		.amdhsa_system_sgpr_workgroup_id_z 0
		.amdhsa_system_sgpr_workgroup_info 0
		.amdhsa_system_vgpr_workitem_id 0
		.amdhsa_next_free_vgpr 59
		.amdhsa_next_free_sgpr 40
		.amdhsa_accum_offset 60
		.amdhsa_reserve_vcc 1
		.amdhsa_float_round_mode_32 0
		.amdhsa_float_round_mode_16_64 0
		.amdhsa_float_denorm_mode_32 3
		.amdhsa_float_denorm_mode_16_64 3
		.amdhsa_dx10_clamp 1
		.amdhsa_ieee_mode 1
		.amdhsa_fp16_overflow 0
		.amdhsa_tg_split 0
		.amdhsa_exception_fp_ieee_invalid_op 0
		.amdhsa_exception_fp_denorm_src 0
		.amdhsa_exception_fp_ieee_div_zero 0
		.amdhsa_exception_fp_ieee_overflow 0
		.amdhsa_exception_fp_ieee_underflow 0
		.amdhsa_exception_fp_ieee_inexact 0
		.amdhsa_exception_int_div_zero 0
	.end_amdhsa_kernel
	.section	.text._ZN7rocprim17ROCPRIM_400000_NS6detail17trampoline_kernelINS0_14default_configENS1_25partition_config_selectorILNS1_17partition_subalgoE0ExNS0_10empty_typeEbEEZZNS1_14partition_implILS5_0ELb0ES3_jN6thrust23THRUST_200600_302600_NS6detail15normal_iteratorINSA_10device_ptrIxEEEEPS6_SG_NS0_5tupleIJSF_NSA_16discard_iteratorINSA_11use_defaultEEEEEENSH_IJSG_SG_EEES6_PlJ7is_evenIxEEEE10hipError_tPvRmT3_T4_T5_T6_T7_T9_mT8_P12ihipStream_tbDpT10_ENKUlT_T0_E_clISt17integral_constantIbLb0EES18_IbLb1EEEEDaS14_S15_EUlS14_E_NS1_11comp_targetILNS1_3genE5ELNS1_11target_archE942ELNS1_3gpuE9ELNS1_3repE0EEENS1_30default_config_static_selectorELNS0_4arch9wavefront6targetE1EEEvT1_,"axG",@progbits,_ZN7rocprim17ROCPRIM_400000_NS6detail17trampoline_kernelINS0_14default_configENS1_25partition_config_selectorILNS1_17partition_subalgoE0ExNS0_10empty_typeEbEEZZNS1_14partition_implILS5_0ELb0ES3_jN6thrust23THRUST_200600_302600_NS6detail15normal_iteratorINSA_10device_ptrIxEEEEPS6_SG_NS0_5tupleIJSF_NSA_16discard_iteratorINSA_11use_defaultEEEEEENSH_IJSG_SG_EEES6_PlJ7is_evenIxEEEE10hipError_tPvRmT3_T4_T5_T6_T7_T9_mT8_P12ihipStream_tbDpT10_ENKUlT_T0_E_clISt17integral_constantIbLb0EES18_IbLb1EEEEDaS14_S15_EUlS14_E_NS1_11comp_targetILNS1_3genE5ELNS1_11target_archE942ELNS1_3gpuE9ELNS1_3repE0EEENS1_30default_config_static_selectorELNS0_4arch9wavefront6targetE1EEEvT1_,comdat
.Lfunc_end2644:
	.size	_ZN7rocprim17ROCPRIM_400000_NS6detail17trampoline_kernelINS0_14default_configENS1_25partition_config_selectorILNS1_17partition_subalgoE0ExNS0_10empty_typeEbEEZZNS1_14partition_implILS5_0ELb0ES3_jN6thrust23THRUST_200600_302600_NS6detail15normal_iteratorINSA_10device_ptrIxEEEEPS6_SG_NS0_5tupleIJSF_NSA_16discard_iteratorINSA_11use_defaultEEEEEENSH_IJSG_SG_EEES6_PlJ7is_evenIxEEEE10hipError_tPvRmT3_T4_T5_T6_T7_T9_mT8_P12ihipStream_tbDpT10_ENKUlT_T0_E_clISt17integral_constantIbLb0EES18_IbLb1EEEEDaS14_S15_EUlS14_E_NS1_11comp_targetILNS1_3genE5ELNS1_11target_archE942ELNS1_3gpuE9ELNS1_3repE0EEENS1_30default_config_static_selectorELNS0_4arch9wavefront6targetE1EEEvT1_, .Lfunc_end2644-_ZN7rocprim17ROCPRIM_400000_NS6detail17trampoline_kernelINS0_14default_configENS1_25partition_config_selectorILNS1_17partition_subalgoE0ExNS0_10empty_typeEbEEZZNS1_14partition_implILS5_0ELb0ES3_jN6thrust23THRUST_200600_302600_NS6detail15normal_iteratorINSA_10device_ptrIxEEEEPS6_SG_NS0_5tupleIJSF_NSA_16discard_iteratorINSA_11use_defaultEEEEEENSH_IJSG_SG_EEES6_PlJ7is_evenIxEEEE10hipError_tPvRmT3_T4_T5_T6_T7_T9_mT8_P12ihipStream_tbDpT10_ENKUlT_T0_E_clISt17integral_constantIbLb0EES18_IbLb1EEEEDaS14_S15_EUlS14_E_NS1_11comp_targetILNS1_3genE5ELNS1_11target_archE942ELNS1_3gpuE9ELNS1_3repE0EEENS1_30default_config_static_selectorELNS0_4arch9wavefront6targetE1EEEvT1_
                                        ; -- End function
	.section	.AMDGPU.csdata,"",@progbits
; Kernel info:
; codeLenInByte = 4656
; NumSgprs: 46
; NumVgprs: 59
; NumAgprs: 0
; TotalNumVgprs: 59
; ScratchSize: 0
; MemoryBound: 0
; FloatMode: 240
; IeeeMode: 1
; LDSByteSize: 28680 bytes/workgroup (compile time only)
; SGPRBlocks: 5
; VGPRBlocks: 7
; NumSGPRsForWavesPerEU: 46
; NumVGPRsForWavesPerEU: 59
; AccumOffset: 60
; Occupancy: 4
; WaveLimiterHint : 1
; COMPUTE_PGM_RSRC2:SCRATCH_EN: 0
; COMPUTE_PGM_RSRC2:USER_SGPR: 2
; COMPUTE_PGM_RSRC2:TRAP_HANDLER: 0
; COMPUTE_PGM_RSRC2:TGID_X_EN: 1
; COMPUTE_PGM_RSRC2:TGID_Y_EN: 0
; COMPUTE_PGM_RSRC2:TGID_Z_EN: 0
; COMPUTE_PGM_RSRC2:TIDIG_COMP_CNT: 0
; COMPUTE_PGM_RSRC3_GFX90A:ACCUM_OFFSET: 14
; COMPUTE_PGM_RSRC3_GFX90A:TG_SPLIT: 0
	.section	.text._ZN7rocprim17ROCPRIM_400000_NS6detail17trampoline_kernelINS0_14default_configENS1_25partition_config_selectorILNS1_17partition_subalgoE0ExNS0_10empty_typeEbEEZZNS1_14partition_implILS5_0ELb0ES3_jN6thrust23THRUST_200600_302600_NS6detail15normal_iteratorINSA_10device_ptrIxEEEEPS6_SG_NS0_5tupleIJSF_NSA_16discard_iteratorINSA_11use_defaultEEEEEENSH_IJSG_SG_EEES6_PlJ7is_evenIxEEEE10hipError_tPvRmT3_T4_T5_T6_T7_T9_mT8_P12ihipStream_tbDpT10_ENKUlT_T0_E_clISt17integral_constantIbLb0EES18_IbLb1EEEEDaS14_S15_EUlS14_E_NS1_11comp_targetILNS1_3genE4ELNS1_11target_archE910ELNS1_3gpuE8ELNS1_3repE0EEENS1_30default_config_static_selectorELNS0_4arch9wavefront6targetE1EEEvT1_,"axG",@progbits,_ZN7rocprim17ROCPRIM_400000_NS6detail17trampoline_kernelINS0_14default_configENS1_25partition_config_selectorILNS1_17partition_subalgoE0ExNS0_10empty_typeEbEEZZNS1_14partition_implILS5_0ELb0ES3_jN6thrust23THRUST_200600_302600_NS6detail15normal_iteratorINSA_10device_ptrIxEEEEPS6_SG_NS0_5tupleIJSF_NSA_16discard_iteratorINSA_11use_defaultEEEEEENSH_IJSG_SG_EEES6_PlJ7is_evenIxEEEE10hipError_tPvRmT3_T4_T5_T6_T7_T9_mT8_P12ihipStream_tbDpT10_ENKUlT_T0_E_clISt17integral_constantIbLb0EES18_IbLb1EEEEDaS14_S15_EUlS14_E_NS1_11comp_targetILNS1_3genE4ELNS1_11target_archE910ELNS1_3gpuE8ELNS1_3repE0EEENS1_30default_config_static_selectorELNS0_4arch9wavefront6targetE1EEEvT1_,comdat
	.protected	_ZN7rocprim17ROCPRIM_400000_NS6detail17trampoline_kernelINS0_14default_configENS1_25partition_config_selectorILNS1_17partition_subalgoE0ExNS0_10empty_typeEbEEZZNS1_14partition_implILS5_0ELb0ES3_jN6thrust23THRUST_200600_302600_NS6detail15normal_iteratorINSA_10device_ptrIxEEEEPS6_SG_NS0_5tupleIJSF_NSA_16discard_iteratorINSA_11use_defaultEEEEEENSH_IJSG_SG_EEES6_PlJ7is_evenIxEEEE10hipError_tPvRmT3_T4_T5_T6_T7_T9_mT8_P12ihipStream_tbDpT10_ENKUlT_T0_E_clISt17integral_constantIbLb0EES18_IbLb1EEEEDaS14_S15_EUlS14_E_NS1_11comp_targetILNS1_3genE4ELNS1_11target_archE910ELNS1_3gpuE8ELNS1_3repE0EEENS1_30default_config_static_selectorELNS0_4arch9wavefront6targetE1EEEvT1_ ; -- Begin function _ZN7rocprim17ROCPRIM_400000_NS6detail17trampoline_kernelINS0_14default_configENS1_25partition_config_selectorILNS1_17partition_subalgoE0ExNS0_10empty_typeEbEEZZNS1_14partition_implILS5_0ELb0ES3_jN6thrust23THRUST_200600_302600_NS6detail15normal_iteratorINSA_10device_ptrIxEEEEPS6_SG_NS0_5tupleIJSF_NSA_16discard_iteratorINSA_11use_defaultEEEEEENSH_IJSG_SG_EEES6_PlJ7is_evenIxEEEE10hipError_tPvRmT3_T4_T5_T6_T7_T9_mT8_P12ihipStream_tbDpT10_ENKUlT_T0_E_clISt17integral_constantIbLb0EES18_IbLb1EEEEDaS14_S15_EUlS14_E_NS1_11comp_targetILNS1_3genE4ELNS1_11target_archE910ELNS1_3gpuE8ELNS1_3repE0EEENS1_30default_config_static_selectorELNS0_4arch9wavefront6targetE1EEEvT1_
	.globl	_ZN7rocprim17ROCPRIM_400000_NS6detail17trampoline_kernelINS0_14default_configENS1_25partition_config_selectorILNS1_17partition_subalgoE0ExNS0_10empty_typeEbEEZZNS1_14partition_implILS5_0ELb0ES3_jN6thrust23THRUST_200600_302600_NS6detail15normal_iteratorINSA_10device_ptrIxEEEEPS6_SG_NS0_5tupleIJSF_NSA_16discard_iteratorINSA_11use_defaultEEEEEENSH_IJSG_SG_EEES6_PlJ7is_evenIxEEEE10hipError_tPvRmT3_T4_T5_T6_T7_T9_mT8_P12ihipStream_tbDpT10_ENKUlT_T0_E_clISt17integral_constantIbLb0EES18_IbLb1EEEEDaS14_S15_EUlS14_E_NS1_11comp_targetILNS1_3genE4ELNS1_11target_archE910ELNS1_3gpuE8ELNS1_3repE0EEENS1_30default_config_static_selectorELNS0_4arch9wavefront6targetE1EEEvT1_
	.p2align	8
	.type	_ZN7rocprim17ROCPRIM_400000_NS6detail17trampoline_kernelINS0_14default_configENS1_25partition_config_selectorILNS1_17partition_subalgoE0ExNS0_10empty_typeEbEEZZNS1_14partition_implILS5_0ELb0ES3_jN6thrust23THRUST_200600_302600_NS6detail15normal_iteratorINSA_10device_ptrIxEEEEPS6_SG_NS0_5tupleIJSF_NSA_16discard_iteratorINSA_11use_defaultEEEEEENSH_IJSG_SG_EEES6_PlJ7is_evenIxEEEE10hipError_tPvRmT3_T4_T5_T6_T7_T9_mT8_P12ihipStream_tbDpT10_ENKUlT_T0_E_clISt17integral_constantIbLb0EES18_IbLb1EEEEDaS14_S15_EUlS14_E_NS1_11comp_targetILNS1_3genE4ELNS1_11target_archE910ELNS1_3gpuE8ELNS1_3repE0EEENS1_30default_config_static_selectorELNS0_4arch9wavefront6targetE1EEEvT1_,@function
_ZN7rocprim17ROCPRIM_400000_NS6detail17trampoline_kernelINS0_14default_configENS1_25partition_config_selectorILNS1_17partition_subalgoE0ExNS0_10empty_typeEbEEZZNS1_14partition_implILS5_0ELb0ES3_jN6thrust23THRUST_200600_302600_NS6detail15normal_iteratorINSA_10device_ptrIxEEEEPS6_SG_NS0_5tupleIJSF_NSA_16discard_iteratorINSA_11use_defaultEEEEEENSH_IJSG_SG_EEES6_PlJ7is_evenIxEEEE10hipError_tPvRmT3_T4_T5_T6_T7_T9_mT8_P12ihipStream_tbDpT10_ENKUlT_T0_E_clISt17integral_constantIbLb0EES18_IbLb1EEEEDaS14_S15_EUlS14_E_NS1_11comp_targetILNS1_3genE4ELNS1_11target_archE910ELNS1_3gpuE8ELNS1_3repE0EEENS1_30default_config_static_selectorELNS0_4arch9wavefront6targetE1EEEvT1_: ; @_ZN7rocprim17ROCPRIM_400000_NS6detail17trampoline_kernelINS0_14default_configENS1_25partition_config_selectorILNS1_17partition_subalgoE0ExNS0_10empty_typeEbEEZZNS1_14partition_implILS5_0ELb0ES3_jN6thrust23THRUST_200600_302600_NS6detail15normal_iteratorINSA_10device_ptrIxEEEEPS6_SG_NS0_5tupleIJSF_NSA_16discard_iteratorINSA_11use_defaultEEEEEENSH_IJSG_SG_EEES6_PlJ7is_evenIxEEEE10hipError_tPvRmT3_T4_T5_T6_T7_T9_mT8_P12ihipStream_tbDpT10_ENKUlT_T0_E_clISt17integral_constantIbLb0EES18_IbLb1EEEEDaS14_S15_EUlS14_E_NS1_11comp_targetILNS1_3genE4ELNS1_11target_archE910ELNS1_3gpuE8ELNS1_3repE0EEENS1_30default_config_static_selectorELNS0_4arch9wavefront6targetE1EEEvT1_
; %bb.0:
	.section	.rodata,"a",@progbits
	.p2align	6, 0x0
	.amdhsa_kernel _ZN7rocprim17ROCPRIM_400000_NS6detail17trampoline_kernelINS0_14default_configENS1_25partition_config_selectorILNS1_17partition_subalgoE0ExNS0_10empty_typeEbEEZZNS1_14partition_implILS5_0ELb0ES3_jN6thrust23THRUST_200600_302600_NS6detail15normal_iteratorINSA_10device_ptrIxEEEEPS6_SG_NS0_5tupleIJSF_NSA_16discard_iteratorINSA_11use_defaultEEEEEENSH_IJSG_SG_EEES6_PlJ7is_evenIxEEEE10hipError_tPvRmT3_T4_T5_T6_T7_T9_mT8_P12ihipStream_tbDpT10_ENKUlT_T0_E_clISt17integral_constantIbLb0EES18_IbLb1EEEEDaS14_S15_EUlS14_E_NS1_11comp_targetILNS1_3genE4ELNS1_11target_archE910ELNS1_3gpuE8ELNS1_3repE0EEENS1_30default_config_static_selectorELNS0_4arch9wavefront6targetE1EEEvT1_
		.amdhsa_group_segment_fixed_size 0
		.amdhsa_private_segment_fixed_size 0
		.amdhsa_kernarg_size 144
		.amdhsa_user_sgpr_count 2
		.amdhsa_user_sgpr_dispatch_ptr 0
		.amdhsa_user_sgpr_queue_ptr 0
		.amdhsa_user_sgpr_kernarg_segment_ptr 1
		.amdhsa_user_sgpr_dispatch_id 0
		.amdhsa_user_sgpr_kernarg_preload_length 0
		.amdhsa_user_sgpr_kernarg_preload_offset 0
		.amdhsa_user_sgpr_private_segment_size 0
		.amdhsa_uses_dynamic_stack 0
		.amdhsa_enable_private_segment 0
		.amdhsa_system_sgpr_workgroup_id_x 1
		.amdhsa_system_sgpr_workgroup_id_y 0
		.amdhsa_system_sgpr_workgroup_id_z 0
		.amdhsa_system_sgpr_workgroup_info 0
		.amdhsa_system_vgpr_workitem_id 0
		.amdhsa_next_free_vgpr 1
		.amdhsa_next_free_sgpr 0
		.amdhsa_accum_offset 4
		.amdhsa_reserve_vcc 0
		.amdhsa_float_round_mode_32 0
		.amdhsa_float_round_mode_16_64 0
		.amdhsa_float_denorm_mode_32 3
		.amdhsa_float_denorm_mode_16_64 3
		.amdhsa_dx10_clamp 1
		.amdhsa_ieee_mode 1
		.amdhsa_fp16_overflow 0
		.amdhsa_tg_split 0
		.amdhsa_exception_fp_ieee_invalid_op 0
		.amdhsa_exception_fp_denorm_src 0
		.amdhsa_exception_fp_ieee_div_zero 0
		.amdhsa_exception_fp_ieee_overflow 0
		.amdhsa_exception_fp_ieee_underflow 0
		.amdhsa_exception_fp_ieee_inexact 0
		.amdhsa_exception_int_div_zero 0
	.end_amdhsa_kernel
	.section	.text._ZN7rocprim17ROCPRIM_400000_NS6detail17trampoline_kernelINS0_14default_configENS1_25partition_config_selectorILNS1_17partition_subalgoE0ExNS0_10empty_typeEbEEZZNS1_14partition_implILS5_0ELb0ES3_jN6thrust23THRUST_200600_302600_NS6detail15normal_iteratorINSA_10device_ptrIxEEEEPS6_SG_NS0_5tupleIJSF_NSA_16discard_iteratorINSA_11use_defaultEEEEEENSH_IJSG_SG_EEES6_PlJ7is_evenIxEEEE10hipError_tPvRmT3_T4_T5_T6_T7_T9_mT8_P12ihipStream_tbDpT10_ENKUlT_T0_E_clISt17integral_constantIbLb0EES18_IbLb1EEEEDaS14_S15_EUlS14_E_NS1_11comp_targetILNS1_3genE4ELNS1_11target_archE910ELNS1_3gpuE8ELNS1_3repE0EEENS1_30default_config_static_selectorELNS0_4arch9wavefront6targetE1EEEvT1_,"axG",@progbits,_ZN7rocprim17ROCPRIM_400000_NS6detail17trampoline_kernelINS0_14default_configENS1_25partition_config_selectorILNS1_17partition_subalgoE0ExNS0_10empty_typeEbEEZZNS1_14partition_implILS5_0ELb0ES3_jN6thrust23THRUST_200600_302600_NS6detail15normal_iteratorINSA_10device_ptrIxEEEEPS6_SG_NS0_5tupleIJSF_NSA_16discard_iteratorINSA_11use_defaultEEEEEENSH_IJSG_SG_EEES6_PlJ7is_evenIxEEEE10hipError_tPvRmT3_T4_T5_T6_T7_T9_mT8_P12ihipStream_tbDpT10_ENKUlT_T0_E_clISt17integral_constantIbLb0EES18_IbLb1EEEEDaS14_S15_EUlS14_E_NS1_11comp_targetILNS1_3genE4ELNS1_11target_archE910ELNS1_3gpuE8ELNS1_3repE0EEENS1_30default_config_static_selectorELNS0_4arch9wavefront6targetE1EEEvT1_,comdat
.Lfunc_end2645:
	.size	_ZN7rocprim17ROCPRIM_400000_NS6detail17trampoline_kernelINS0_14default_configENS1_25partition_config_selectorILNS1_17partition_subalgoE0ExNS0_10empty_typeEbEEZZNS1_14partition_implILS5_0ELb0ES3_jN6thrust23THRUST_200600_302600_NS6detail15normal_iteratorINSA_10device_ptrIxEEEEPS6_SG_NS0_5tupleIJSF_NSA_16discard_iteratorINSA_11use_defaultEEEEEENSH_IJSG_SG_EEES6_PlJ7is_evenIxEEEE10hipError_tPvRmT3_T4_T5_T6_T7_T9_mT8_P12ihipStream_tbDpT10_ENKUlT_T0_E_clISt17integral_constantIbLb0EES18_IbLb1EEEEDaS14_S15_EUlS14_E_NS1_11comp_targetILNS1_3genE4ELNS1_11target_archE910ELNS1_3gpuE8ELNS1_3repE0EEENS1_30default_config_static_selectorELNS0_4arch9wavefront6targetE1EEEvT1_, .Lfunc_end2645-_ZN7rocprim17ROCPRIM_400000_NS6detail17trampoline_kernelINS0_14default_configENS1_25partition_config_selectorILNS1_17partition_subalgoE0ExNS0_10empty_typeEbEEZZNS1_14partition_implILS5_0ELb0ES3_jN6thrust23THRUST_200600_302600_NS6detail15normal_iteratorINSA_10device_ptrIxEEEEPS6_SG_NS0_5tupleIJSF_NSA_16discard_iteratorINSA_11use_defaultEEEEEENSH_IJSG_SG_EEES6_PlJ7is_evenIxEEEE10hipError_tPvRmT3_T4_T5_T6_T7_T9_mT8_P12ihipStream_tbDpT10_ENKUlT_T0_E_clISt17integral_constantIbLb0EES18_IbLb1EEEEDaS14_S15_EUlS14_E_NS1_11comp_targetILNS1_3genE4ELNS1_11target_archE910ELNS1_3gpuE8ELNS1_3repE0EEENS1_30default_config_static_selectorELNS0_4arch9wavefront6targetE1EEEvT1_
                                        ; -- End function
	.section	.AMDGPU.csdata,"",@progbits
; Kernel info:
; codeLenInByte = 0
; NumSgprs: 6
; NumVgprs: 0
; NumAgprs: 0
; TotalNumVgprs: 0
; ScratchSize: 0
; MemoryBound: 0
; FloatMode: 240
; IeeeMode: 1
; LDSByteSize: 0 bytes/workgroup (compile time only)
; SGPRBlocks: 0
; VGPRBlocks: 0
; NumSGPRsForWavesPerEU: 6
; NumVGPRsForWavesPerEU: 1
; AccumOffset: 4
; Occupancy: 8
; WaveLimiterHint : 0
; COMPUTE_PGM_RSRC2:SCRATCH_EN: 0
; COMPUTE_PGM_RSRC2:USER_SGPR: 2
; COMPUTE_PGM_RSRC2:TRAP_HANDLER: 0
; COMPUTE_PGM_RSRC2:TGID_X_EN: 1
; COMPUTE_PGM_RSRC2:TGID_Y_EN: 0
; COMPUTE_PGM_RSRC2:TGID_Z_EN: 0
; COMPUTE_PGM_RSRC2:TIDIG_COMP_CNT: 0
; COMPUTE_PGM_RSRC3_GFX90A:ACCUM_OFFSET: 0
; COMPUTE_PGM_RSRC3_GFX90A:TG_SPLIT: 0
	.section	.text._ZN7rocprim17ROCPRIM_400000_NS6detail17trampoline_kernelINS0_14default_configENS1_25partition_config_selectorILNS1_17partition_subalgoE0ExNS0_10empty_typeEbEEZZNS1_14partition_implILS5_0ELb0ES3_jN6thrust23THRUST_200600_302600_NS6detail15normal_iteratorINSA_10device_ptrIxEEEEPS6_SG_NS0_5tupleIJSF_NSA_16discard_iteratorINSA_11use_defaultEEEEEENSH_IJSG_SG_EEES6_PlJ7is_evenIxEEEE10hipError_tPvRmT3_T4_T5_T6_T7_T9_mT8_P12ihipStream_tbDpT10_ENKUlT_T0_E_clISt17integral_constantIbLb0EES18_IbLb1EEEEDaS14_S15_EUlS14_E_NS1_11comp_targetILNS1_3genE3ELNS1_11target_archE908ELNS1_3gpuE7ELNS1_3repE0EEENS1_30default_config_static_selectorELNS0_4arch9wavefront6targetE1EEEvT1_,"axG",@progbits,_ZN7rocprim17ROCPRIM_400000_NS6detail17trampoline_kernelINS0_14default_configENS1_25partition_config_selectorILNS1_17partition_subalgoE0ExNS0_10empty_typeEbEEZZNS1_14partition_implILS5_0ELb0ES3_jN6thrust23THRUST_200600_302600_NS6detail15normal_iteratorINSA_10device_ptrIxEEEEPS6_SG_NS0_5tupleIJSF_NSA_16discard_iteratorINSA_11use_defaultEEEEEENSH_IJSG_SG_EEES6_PlJ7is_evenIxEEEE10hipError_tPvRmT3_T4_T5_T6_T7_T9_mT8_P12ihipStream_tbDpT10_ENKUlT_T0_E_clISt17integral_constantIbLb0EES18_IbLb1EEEEDaS14_S15_EUlS14_E_NS1_11comp_targetILNS1_3genE3ELNS1_11target_archE908ELNS1_3gpuE7ELNS1_3repE0EEENS1_30default_config_static_selectorELNS0_4arch9wavefront6targetE1EEEvT1_,comdat
	.protected	_ZN7rocprim17ROCPRIM_400000_NS6detail17trampoline_kernelINS0_14default_configENS1_25partition_config_selectorILNS1_17partition_subalgoE0ExNS0_10empty_typeEbEEZZNS1_14partition_implILS5_0ELb0ES3_jN6thrust23THRUST_200600_302600_NS6detail15normal_iteratorINSA_10device_ptrIxEEEEPS6_SG_NS0_5tupleIJSF_NSA_16discard_iteratorINSA_11use_defaultEEEEEENSH_IJSG_SG_EEES6_PlJ7is_evenIxEEEE10hipError_tPvRmT3_T4_T5_T6_T7_T9_mT8_P12ihipStream_tbDpT10_ENKUlT_T0_E_clISt17integral_constantIbLb0EES18_IbLb1EEEEDaS14_S15_EUlS14_E_NS1_11comp_targetILNS1_3genE3ELNS1_11target_archE908ELNS1_3gpuE7ELNS1_3repE0EEENS1_30default_config_static_selectorELNS0_4arch9wavefront6targetE1EEEvT1_ ; -- Begin function _ZN7rocprim17ROCPRIM_400000_NS6detail17trampoline_kernelINS0_14default_configENS1_25partition_config_selectorILNS1_17partition_subalgoE0ExNS0_10empty_typeEbEEZZNS1_14partition_implILS5_0ELb0ES3_jN6thrust23THRUST_200600_302600_NS6detail15normal_iteratorINSA_10device_ptrIxEEEEPS6_SG_NS0_5tupleIJSF_NSA_16discard_iteratorINSA_11use_defaultEEEEEENSH_IJSG_SG_EEES6_PlJ7is_evenIxEEEE10hipError_tPvRmT3_T4_T5_T6_T7_T9_mT8_P12ihipStream_tbDpT10_ENKUlT_T0_E_clISt17integral_constantIbLb0EES18_IbLb1EEEEDaS14_S15_EUlS14_E_NS1_11comp_targetILNS1_3genE3ELNS1_11target_archE908ELNS1_3gpuE7ELNS1_3repE0EEENS1_30default_config_static_selectorELNS0_4arch9wavefront6targetE1EEEvT1_
	.globl	_ZN7rocprim17ROCPRIM_400000_NS6detail17trampoline_kernelINS0_14default_configENS1_25partition_config_selectorILNS1_17partition_subalgoE0ExNS0_10empty_typeEbEEZZNS1_14partition_implILS5_0ELb0ES3_jN6thrust23THRUST_200600_302600_NS6detail15normal_iteratorINSA_10device_ptrIxEEEEPS6_SG_NS0_5tupleIJSF_NSA_16discard_iteratorINSA_11use_defaultEEEEEENSH_IJSG_SG_EEES6_PlJ7is_evenIxEEEE10hipError_tPvRmT3_T4_T5_T6_T7_T9_mT8_P12ihipStream_tbDpT10_ENKUlT_T0_E_clISt17integral_constantIbLb0EES18_IbLb1EEEEDaS14_S15_EUlS14_E_NS1_11comp_targetILNS1_3genE3ELNS1_11target_archE908ELNS1_3gpuE7ELNS1_3repE0EEENS1_30default_config_static_selectorELNS0_4arch9wavefront6targetE1EEEvT1_
	.p2align	8
	.type	_ZN7rocprim17ROCPRIM_400000_NS6detail17trampoline_kernelINS0_14default_configENS1_25partition_config_selectorILNS1_17partition_subalgoE0ExNS0_10empty_typeEbEEZZNS1_14partition_implILS5_0ELb0ES3_jN6thrust23THRUST_200600_302600_NS6detail15normal_iteratorINSA_10device_ptrIxEEEEPS6_SG_NS0_5tupleIJSF_NSA_16discard_iteratorINSA_11use_defaultEEEEEENSH_IJSG_SG_EEES6_PlJ7is_evenIxEEEE10hipError_tPvRmT3_T4_T5_T6_T7_T9_mT8_P12ihipStream_tbDpT10_ENKUlT_T0_E_clISt17integral_constantIbLb0EES18_IbLb1EEEEDaS14_S15_EUlS14_E_NS1_11comp_targetILNS1_3genE3ELNS1_11target_archE908ELNS1_3gpuE7ELNS1_3repE0EEENS1_30default_config_static_selectorELNS0_4arch9wavefront6targetE1EEEvT1_,@function
_ZN7rocprim17ROCPRIM_400000_NS6detail17trampoline_kernelINS0_14default_configENS1_25partition_config_selectorILNS1_17partition_subalgoE0ExNS0_10empty_typeEbEEZZNS1_14partition_implILS5_0ELb0ES3_jN6thrust23THRUST_200600_302600_NS6detail15normal_iteratorINSA_10device_ptrIxEEEEPS6_SG_NS0_5tupleIJSF_NSA_16discard_iteratorINSA_11use_defaultEEEEEENSH_IJSG_SG_EEES6_PlJ7is_evenIxEEEE10hipError_tPvRmT3_T4_T5_T6_T7_T9_mT8_P12ihipStream_tbDpT10_ENKUlT_T0_E_clISt17integral_constantIbLb0EES18_IbLb1EEEEDaS14_S15_EUlS14_E_NS1_11comp_targetILNS1_3genE3ELNS1_11target_archE908ELNS1_3gpuE7ELNS1_3repE0EEENS1_30default_config_static_selectorELNS0_4arch9wavefront6targetE1EEEvT1_: ; @_ZN7rocprim17ROCPRIM_400000_NS6detail17trampoline_kernelINS0_14default_configENS1_25partition_config_selectorILNS1_17partition_subalgoE0ExNS0_10empty_typeEbEEZZNS1_14partition_implILS5_0ELb0ES3_jN6thrust23THRUST_200600_302600_NS6detail15normal_iteratorINSA_10device_ptrIxEEEEPS6_SG_NS0_5tupleIJSF_NSA_16discard_iteratorINSA_11use_defaultEEEEEENSH_IJSG_SG_EEES6_PlJ7is_evenIxEEEE10hipError_tPvRmT3_T4_T5_T6_T7_T9_mT8_P12ihipStream_tbDpT10_ENKUlT_T0_E_clISt17integral_constantIbLb0EES18_IbLb1EEEEDaS14_S15_EUlS14_E_NS1_11comp_targetILNS1_3genE3ELNS1_11target_archE908ELNS1_3gpuE7ELNS1_3repE0EEENS1_30default_config_static_selectorELNS0_4arch9wavefront6targetE1EEEvT1_
; %bb.0:
	.section	.rodata,"a",@progbits
	.p2align	6, 0x0
	.amdhsa_kernel _ZN7rocprim17ROCPRIM_400000_NS6detail17trampoline_kernelINS0_14default_configENS1_25partition_config_selectorILNS1_17partition_subalgoE0ExNS0_10empty_typeEbEEZZNS1_14partition_implILS5_0ELb0ES3_jN6thrust23THRUST_200600_302600_NS6detail15normal_iteratorINSA_10device_ptrIxEEEEPS6_SG_NS0_5tupleIJSF_NSA_16discard_iteratorINSA_11use_defaultEEEEEENSH_IJSG_SG_EEES6_PlJ7is_evenIxEEEE10hipError_tPvRmT3_T4_T5_T6_T7_T9_mT8_P12ihipStream_tbDpT10_ENKUlT_T0_E_clISt17integral_constantIbLb0EES18_IbLb1EEEEDaS14_S15_EUlS14_E_NS1_11comp_targetILNS1_3genE3ELNS1_11target_archE908ELNS1_3gpuE7ELNS1_3repE0EEENS1_30default_config_static_selectorELNS0_4arch9wavefront6targetE1EEEvT1_
		.amdhsa_group_segment_fixed_size 0
		.amdhsa_private_segment_fixed_size 0
		.amdhsa_kernarg_size 144
		.amdhsa_user_sgpr_count 2
		.amdhsa_user_sgpr_dispatch_ptr 0
		.amdhsa_user_sgpr_queue_ptr 0
		.amdhsa_user_sgpr_kernarg_segment_ptr 1
		.amdhsa_user_sgpr_dispatch_id 0
		.amdhsa_user_sgpr_kernarg_preload_length 0
		.amdhsa_user_sgpr_kernarg_preload_offset 0
		.amdhsa_user_sgpr_private_segment_size 0
		.amdhsa_uses_dynamic_stack 0
		.amdhsa_enable_private_segment 0
		.amdhsa_system_sgpr_workgroup_id_x 1
		.amdhsa_system_sgpr_workgroup_id_y 0
		.amdhsa_system_sgpr_workgroup_id_z 0
		.amdhsa_system_sgpr_workgroup_info 0
		.amdhsa_system_vgpr_workitem_id 0
		.amdhsa_next_free_vgpr 1
		.amdhsa_next_free_sgpr 0
		.amdhsa_accum_offset 4
		.amdhsa_reserve_vcc 0
		.amdhsa_float_round_mode_32 0
		.amdhsa_float_round_mode_16_64 0
		.amdhsa_float_denorm_mode_32 3
		.amdhsa_float_denorm_mode_16_64 3
		.amdhsa_dx10_clamp 1
		.amdhsa_ieee_mode 1
		.amdhsa_fp16_overflow 0
		.amdhsa_tg_split 0
		.amdhsa_exception_fp_ieee_invalid_op 0
		.amdhsa_exception_fp_denorm_src 0
		.amdhsa_exception_fp_ieee_div_zero 0
		.amdhsa_exception_fp_ieee_overflow 0
		.amdhsa_exception_fp_ieee_underflow 0
		.amdhsa_exception_fp_ieee_inexact 0
		.amdhsa_exception_int_div_zero 0
	.end_amdhsa_kernel
	.section	.text._ZN7rocprim17ROCPRIM_400000_NS6detail17trampoline_kernelINS0_14default_configENS1_25partition_config_selectorILNS1_17partition_subalgoE0ExNS0_10empty_typeEbEEZZNS1_14partition_implILS5_0ELb0ES3_jN6thrust23THRUST_200600_302600_NS6detail15normal_iteratorINSA_10device_ptrIxEEEEPS6_SG_NS0_5tupleIJSF_NSA_16discard_iteratorINSA_11use_defaultEEEEEENSH_IJSG_SG_EEES6_PlJ7is_evenIxEEEE10hipError_tPvRmT3_T4_T5_T6_T7_T9_mT8_P12ihipStream_tbDpT10_ENKUlT_T0_E_clISt17integral_constantIbLb0EES18_IbLb1EEEEDaS14_S15_EUlS14_E_NS1_11comp_targetILNS1_3genE3ELNS1_11target_archE908ELNS1_3gpuE7ELNS1_3repE0EEENS1_30default_config_static_selectorELNS0_4arch9wavefront6targetE1EEEvT1_,"axG",@progbits,_ZN7rocprim17ROCPRIM_400000_NS6detail17trampoline_kernelINS0_14default_configENS1_25partition_config_selectorILNS1_17partition_subalgoE0ExNS0_10empty_typeEbEEZZNS1_14partition_implILS5_0ELb0ES3_jN6thrust23THRUST_200600_302600_NS6detail15normal_iteratorINSA_10device_ptrIxEEEEPS6_SG_NS0_5tupleIJSF_NSA_16discard_iteratorINSA_11use_defaultEEEEEENSH_IJSG_SG_EEES6_PlJ7is_evenIxEEEE10hipError_tPvRmT3_T4_T5_T6_T7_T9_mT8_P12ihipStream_tbDpT10_ENKUlT_T0_E_clISt17integral_constantIbLb0EES18_IbLb1EEEEDaS14_S15_EUlS14_E_NS1_11comp_targetILNS1_3genE3ELNS1_11target_archE908ELNS1_3gpuE7ELNS1_3repE0EEENS1_30default_config_static_selectorELNS0_4arch9wavefront6targetE1EEEvT1_,comdat
.Lfunc_end2646:
	.size	_ZN7rocprim17ROCPRIM_400000_NS6detail17trampoline_kernelINS0_14default_configENS1_25partition_config_selectorILNS1_17partition_subalgoE0ExNS0_10empty_typeEbEEZZNS1_14partition_implILS5_0ELb0ES3_jN6thrust23THRUST_200600_302600_NS6detail15normal_iteratorINSA_10device_ptrIxEEEEPS6_SG_NS0_5tupleIJSF_NSA_16discard_iteratorINSA_11use_defaultEEEEEENSH_IJSG_SG_EEES6_PlJ7is_evenIxEEEE10hipError_tPvRmT3_T4_T5_T6_T7_T9_mT8_P12ihipStream_tbDpT10_ENKUlT_T0_E_clISt17integral_constantIbLb0EES18_IbLb1EEEEDaS14_S15_EUlS14_E_NS1_11comp_targetILNS1_3genE3ELNS1_11target_archE908ELNS1_3gpuE7ELNS1_3repE0EEENS1_30default_config_static_selectorELNS0_4arch9wavefront6targetE1EEEvT1_, .Lfunc_end2646-_ZN7rocprim17ROCPRIM_400000_NS6detail17trampoline_kernelINS0_14default_configENS1_25partition_config_selectorILNS1_17partition_subalgoE0ExNS0_10empty_typeEbEEZZNS1_14partition_implILS5_0ELb0ES3_jN6thrust23THRUST_200600_302600_NS6detail15normal_iteratorINSA_10device_ptrIxEEEEPS6_SG_NS0_5tupleIJSF_NSA_16discard_iteratorINSA_11use_defaultEEEEEENSH_IJSG_SG_EEES6_PlJ7is_evenIxEEEE10hipError_tPvRmT3_T4_T5_T6_T7_T9_mT8_P12ihipStream_tbDpT10_ENKUlT_T0_E_clISt17integral_constantIbLb0EES18_IbLb1EEEEDaS14_S15_EUlS14_E_NS1_11comp_targetILNS1_3genE3ELNS1_11target_archE908ELNS1_3gpuE7ELNS1_3repE0EEENS1_30default_config_static_selectorELNS0_4arch9wavefront6targetE1EEEvT1_
                                        ; -- End function
	.section	.AMDGPU.csdata,"",@progbits
; Kernel info:
; codeLenInByte = 0
; NumSgprs: 6
; NumVgprs: 0
; NumAgprs: 0
; TotalNumVgprs: 0
; ScratchSize: 0
; MemoryBound: 0
; FloatMode: 240
; IeeeMode: 1
; LDSByteSize: 0 bytes/workgroup (compile time only)
; SGPRBlocks: 0
; VGPRBlocks: 0
; NumSGPRsForWavesPerEU: 6
; NumVGPRsForWavesPerEU: 1
; AccumOffset: 4
; Occupancy: 8
; WaveLimiterHint : 0
; COMPUTE_PGM_RSRC2:SCRATCH_EN: 0
; COMPUTE_PGM_RSRC2:USER_SGPR: 2
; COMPUTE_PGM_RSRC2:TRAP_HANDLER: 0
; COMPUTE_PGM_RSRC2:TGID_X_EN: 1
; COMPUTE_PGM_RSRC2:TGID_Y_EN: 0
; COMPUTE_PGM_RSRC2:TGID_Z_EN: 0
; COMPUTE_PGM_RSRC2:TIDIG_COMP_CNT: 0
; COMPUTE_PGM_RSRC3_GFX90A:ACCUM_OFFSET: 0
; COMPUTE_PGM_RSRC3_GFX90A:TG_SPLIT: 0
	.section	.text._ZN7rocprim17ROCPRIM_400000_NS6detail17trampoline_kernelINS0_14default_configENS1_25partition_config_selectorILNS1_17partition_subalgoE0ExNS0_10empty_typeEbEEZZNS1_14partition_implILS5_0ELb0ES3_jN6thrust23THRUST_200600_302600_NS6detail15normal_iteratorINSA_10device_ptrIxEEEEPS6_SG_NS0_5tupleIJSF_NSA_16discard_iteratorINSA_11use_defaultEEEEEENSH_IJSG_SG_EEES6_PlJ7is_evenIxEEEE10hipError_tPvRmT3_T4_T5_T6_T7_T9_mT8_P12ihipStream_tbDpT10_ENKUlT_T0_E_clISt17integral_constantIbLb0EES18_IbLb1EEEEDaS14_S15_EUlS14_E_NS1_11comp_targetILNS1_3genE2ELNS1_11target_archE906ELNS1_3gpuE6ELNS1_3repE0EEENS1_30default_config_static_selectorELNS0_4arch9wavefront6targetE1EEEvT1_,"axG",@progbits,_ZN7rocprim17ROCPRIM_400000_NS6detail17trampoline_kernelINS0_14default_configENS1_25partition_config_selectorILNS1_17partition_subalgoE0ExNS0_10empty_typeEbEEZZNS1_14partition_implILS5_0ELb0ES3_jN6thrust23THRUST_200600_302600_NS6detail15normal_iteratorINSA_10device_ptrIxEEEEPS6_SG_NS0_5tupleIJSF_NSA_16discard_iteratorINSA_11use_defaultEEEEEENSH_IJSG_SG_EEES6_PlJ7is_evenIxEEEE10hipError_tPvRmT3_T4_T5_T6_T7_T9_mT8_P12ihipStream_tbDpT10_ENKUlT_T0_E_clISt17integral_constantIbLb0EES18_IbLb1EEEEDaS14_S15_EUlS14_E_NS1_11comp_targetILNS1_3genE2ELNS1_11target_archE906ELNS1_3gpuE6ELNS1_3repE0EEENS1_30default_config_static_selectorELNS0_4arch9wavefront6targetE1EEEvT1_,comdat
	.protected	_ZN7rocprim17ROCPRIM_400000_NS6detail17trampoline_kernelINS0_14default_configENS1_25partition_config_selectorILNS1_17partition_subalgoE0ExNS0_10empty_typeEbEEZZNS1_14partition_implILS5_0ELb0ES3_jN6thrust23THRUST_200600_302600_NS6detail15normal_iteratorINSA_10device_ptrIxEEEEPS6_SG_NS0_5tupleIJSF_NSA_16discard_iteratorINSA_11use_defaultEEEEEENSH_IJSG_SG_EEES6_PlJ7is_evenIxEEEE10hipError_tPvRmT3_T4_T5_T6_T7_T9_mT8_P12ihipStream_tbDpT10_ENKUlT_T0_E_clISt17integral_constantIbLb0EES18_IbLb1EEEEDaS14_S15_EUlS14_E_NS1_11comp_targetILNS1_3genE2ELNS1_11target_archE906ELNS1_3gpuE6ELNS1_3repE0EEENS1_30default_config_static_selectorELNS0_4arch9wavefront6targetE1EEEvT1_ ; -- Begin function _ZN7rocprim17ROCPRIM_400000_NS6detail17trampoline_kernelINS0_14default_configENS1_25partition_config_selectorILNS1_17partition_subalgoE0ExNS0_10empty_typeEbEEZZNS1_14partition_implILS5_0ELb0ES3_jN6thrust23THRUST_200600_302600_NS6detail15normal_iteratorINSA_10device_ptrIxEEEEPS6_SG_NS0_5tupleIJSF_NSA_16discard_iteratorINSA_11use_defaultEEEEEENSH_IJSG_SG_EEES6_PlJ7is_evenIxEEEE10hipError_tPvRmT3_T4_T5_T6_T7_T9_mT8_P12ihipStream_tbDpT10_ENKUlT_T0_E_clISt17integral_constantIbLb0EES18_IbLb1EEEEDaS14_S15_EUlS14_E_NS1_11comp_targetILNS1_3genE2ELNS1_11target_archE906ELNS1_3gpuE6ELNS1_3repE0EEENS1_30default_config_static_selectorELNS0_4arch9wavefront6targetE1EEEvT1_
	.globl	_ZN7rocprim17ROCPRIM_400000_NS6detail17trampoline_kernelINS0_14default_configENS1_25partition_config_selectorILNS1_17partition_subalgoE0ExNS0_10empty_typeEbEEZZNS1_14partition_implILS5_0ELb0ES3_jN6thrust23THRUST_200600_302600_NS6detail15normal_iteratorINSA_10device_ptrIxEEEEPS6_SG_NS0_5tupleIJSF_NSA_16discard_iteratorINSA_11use_defaultEEEEEENSH_IJSG_SG_EEES6_PlJ7is_evenIxEEEE10hipError_tPvRmT3_T4_T5_T6_T7_T9_mT8_P12ihipStream_tbDpT10_ENKUlT_T0_E_clISt17integral_constantIbLb0EES18_IbLb1EEEEDaS14_S15_EUlS14_E_NS1_11comp_targetILNS1_3genE2ELNS1_11target_archE906ELNS1_3gpuE6ELNS1_3repE0EEENS1_30default_config_static_selectorELNS0_4arch9wavefront6targetE1EEEvT1_
	.p2align	8
	.type	_ZN7rocprim17ROCPRIM_400000_NS6detail17trampoline_kernelINS0_14default_configENS1_25partition_config_selectorILNS1_17partition_subalgoE0ExNS0_10empty_typeEbEEZZNS1_14partition_implILS5_0ELb0ES3_jN6thrust23THRUST_200600_302600_NS6detail15normal_iteratorINSA_10device_ptrIxEEEEPS6_SG_NS0_5tupleIJSF_NSA_16discard_iteratorINSA_11use_defaultEEEEEENSH_IJSG_SG_EEES6_PlJ7is_evenIxEEEE10hipError_tPvRmT3_T4_T5_T6_T7_T9_mT8_P12ihipStream_tbDpT10_ENKUlT_T0_E_clISt17integral_constantIbLb0EES18_IbLb1EEEEDaS14_S15_EUlS14_E_NS1_11comp_targetILNS1_3genE2ELNS1_11target_archE906ELNS1_3gpuE6ELNS1_3repE0EEENS1_30default_config_static_selectorELNS0_4arch9wavefront6targetE1EEEvT1_,@function
_ZN7rocprim17ROCPRIM_400000_NS6detail17trampoline_kernelINS0_14default_configENS1_25partition_config_selectorILNS1_17partition_subalgoE0ExNS0_10empty_typeEbEEZZNS1_14partition_implILS5_0ELb0ES3_jN6thrust23THRUST_200600_302600_NS6detail15normal_iteratorINSA_10device_ptrIxEEEEPS6_SG_NS0_5tupleIJSF_NSA_16discard_iteratorINSA_11use_defaultEEEEEENSH_IJSG_SG_EEES6_PlJ7is_evenIxEEEE10hipError_tPvRmT3_T4_T5_T6_T7_T9_mT8_P12ihipStream_tbDpT10_ENKUlT_T0_E_clISt17integral_constantIbLb0EES18_IbLb1EEEEDaS14_S15_EUlS14_E_NS1_11comp_targetILNS1_3genE2ELNS1_11target_archE906ELNS1_3gpuE6ELNS1_3repE0EEENS1_30default_config_static_selectorELNS0_4arch9wavefront6targetE1EEEvT1_: ; @_ZN7rocprim17ROCPRIM_400000_NS6detail17trampoline_kernelINS0_14default_configENS1_25partition_config_selectorILNS1_17partition_subalgoE0ExNS0_10empty_typeEbEEZZNS1_14partition_implILS5_0ELb0ES3_jN6thrust23THRUST_200600_302600_NS6detail15normal_iteratorINSA_10device_ptrIxEEEEPS6_SG_NS0_5tupleIJSF_NSA_16discard_iteratorINSA_11use_defaultEEEEEENSH_IJSG_SG_EEES6_PlJ7is_evenIxEEEE10hipError_tPvRmT3_T4_T5_T6_T7_T9_mT8_P12ihipStream_tbDpT10_ENKUlT_T0_E_clISt17integral_constantIbLb0EES18_IbLb1EEEEDaS14_S15_EUlS14_E_NS1_11comp_targetILNS1_3genE2ELNS1_11target_archE906ELNS1_3gpuE6ELNS1_3repE0EEENS1_30default_config_static_selectorELNS0_4arch9wavefront6targetE1EEEvT1_
; %bb.0:
	.section	.rodata,"a",@progbits
	.p2align	6, 0x0
	.amdhsa_kernel _ZN7rocprim17ROCPRIM_400000_NS6detail17trampoline_kernelINS0_14default_configENS1_25partition_config_selectorILNS1_17partition_subalgoE0ExNS0_10empty_typeEbEEZZNS1_14partition_implILS5_0ELb0ES3_jN6thrust23THRUST_200600_302600_NS6detail15normal_iteratorINSA_10device_ptrIxEEEEPS6_SG_NS0_5tupleIJSF_NSA_16discard_iteratorINSA_11use_defaultEEEEEENSH_IJSG_SG_EEES6_PlJ7is_evenIxEEEE10hipError_tPvRmT3_T4_T5_T6_T7_T9_mT8_P12ihipStream_tbDpT10_ENKUlT_T0_E_clISt17integral_constantIbLb0EES18_IbLb1EEEEDaS14_S15_EUlS14_E_NS1_11comp_targetILNS1_3genE2ELNS1_11target_archE906ELNS1_3gpuE6ELNS1_3repE0EEENS1_30default_config_static_selectorELNS0_4arch9wavefront6targetE1EEEvT1_
		.amdhsa_group_segment_fixed_size 0
		.amdhsa_private_segment_fixed_size 0
		.amdhsa_kernarg_size 144
		.amdhsa_user_sgpr_count 2
		.amdhsa_user_sgpr_dispatch_ptr 0
		.amdhsa_user_sgpr_queue_ptr 0
		.amdhsa_user_sgpr_kernarg_segment_ptr 1
		.amdhsa_user_sgpr_dispatch_id 0
		.amdhsa_user_sgpr_kernarg_preload_length 0
		.amdhsa_user_sgpr_kernarg_preload_offset 0
		.amdhsa_user_sgpr_private_segment_size 0
		.amdhsa_uses_dynamic_stack 0
		.amdhsa_enable_private_segment 0
		.amdhsa_system_sgpr_workgroup_id_x 1
		.amdhsa_system_sgpr_workgroup_id_y 0
		.amdhsa_system_sgpr_workgroup_id_z 0
		.amdhsa_system_sgpr_workgroup_info 0
		.amdhsa_system_vgpr_workitem_id 0
		.amdhsa_next_free_vgpr 1
		.amdhsa_next_free_sgpr 0
		.amdhsa_accum_offset 4
		.amdhsa_reserve_vcc 0
		.amdhsa_float_round_mode_32 0
		.amdhsa_float_round_mode_16_64 0
		.amdhsa_float_denorm_mode_32 3
		.amdhsa_float_denorm_mode_16_64 3
		.amdhsa_dx10_clamp 1
		.amdhsa_ieee_mode 1
		.amdhsa_fp16_overflow 0
		.amdhsa_tg_split 0
		.amdhsa_exception_fp_ieee_invalid_op 0
		.amdhsa_exception_fp_denorm_src 0
		.amdhsa_exception_fp_ieee_div_zero 0
		.amdhsa_exception_fp_ieee_overflow 0
		.amdhsa_exception_fp_ieee_underflow 0
		.amdhsa_exception_fp_ieee_inexact 0
		.amdhsa_exception_int_div_zero 0
	.end_amdhsa_kernel
	.section	.text._ZN7rocprim17ROCPRIM_400000_NS6detail17trampoline_kernelINS0_14default_configENS1_25partition_config_selectorILNS1_17partition_subalgoE0ExNS0_10empty_typeEbEEZZNS1_14partition_implILS5_0ELb0ES3_jN6thrust23THRUST_200600_302600_NS6detail15normal_iteratorINSA_10device_ptrIxEEEEPS6_SG_NS0_5tupleIJSF_NSA_16discard_iteratorINSA_11use_defaultEEEEEENSH_IJSG_SG_EEES6_PlJ7is_evenIxEEEE10hipError_tPvRmT3_T4_T5_T6_T7_T9_mT8_P12ihipStream_tbDpT10_ENKUlT_T0_E_clISt17integral_constantIbLb0EES18_IbLb1EEEEDaS14_S15_EUlS14_E_NS1_11comp_targetILNS1_3genE2ELNS1_11target_archE906ELNS1_3gpuE6ELNS1_3repE0EEENS1_30default_config_static_selectorELNS0_4arch9wavefront6targetE1EEEvT1_,"axG",@progbits,_ZN7rocprim17ROCPRIM_400000_NS6detail17trampoline_kernelINS0_14default_configENS1_25partition_config_selectorILNS1_17partition_subalgoE0ExNS0_10empty_typeEbEEZZNS1_14partition_implILS5_0ELb0ES3_jN6thrust23THRUST_200600_302600_NS6detail15normal_iteratorINSA_10device_ptrIxEEEEPS6_SG_NS0_5tupleIJSF_NSA_16discard_iteratorINSA_11use_defaultEEEEEENSH_IJSG_SG_EEES6_PlJ7is_evenIxEEEE10hipError_tPvRmT3_T4_T5_T6_T7_T9_mT8_P12ihipStream_tbDpT10_ENKUlT_T0_E_clISt17integral_constantIbLb0EES18_IbLb1EEEEDaS14_S15_EUlS14_E_NS1_11comp_targetILNS1_3genE2ELNS1_11target_archE906ELNS1_3gpuE6ELNS1_3repE0EEENS1_30default_config_static_selectorELNS0_4arch9wavefront6targetE1EEEvT1_,comdat
.Lfunc_end2647:
	.size	_ZN7rocprim17ROCPRIM_400000_NS6detail17trampoline_kernelINS0_14default_configENS1_25partition_config_selectorILNS1_17partition_subalgoE0ExNS0_10empty_typeEbEEZZNS1_14partition_implILS5_0ELb0ES3_jN6thrust23THRUST_200600_302600_NS6detail15normal_iteratorINSA_10device_ptrIxEEEEPS6_SG_NS0_5tupleIJSF_NSA_16discard_iteratorINSA_11use_defaultEEEEEENSH_IJSG_SG_EEES6_PlJ7is_evenIxEEEE10hipError_tPvRmT3_T4_T5_T6_T7_T9_mT8_P12ihipStream_tbDpT10_ENKUlT_T0_E_clISt17integral_constantIbLb0EES18_IbLb1EEEEDaS14_S15_EUlS14_E_NS1_11comp_targetILNS1_3genE2ELNS1_11target_archE906ELNS1_3gpuE6ELNS1_3repE0EEENS1_30default_config_static_selectorELNS0_4arch9wavefront6targetE1EEEvT1_, .Lfunc_end2647-_ZN7rocprim17ROCPRIM_400000_NS6detail17trampoline_kernelINS0_14default_configENS1_25partition_config_selectorILNS1_17partition_subalgoE0ExNS0_10empty_typeEbEEZZNS1_14partition_implILS5_0ELb0ES3_jN6thrust23THRUST_200600_302600_NS6detail15normal_iteratorINSA_10device_ptrIxEEEEPS6_SG_NS0_5tupleIJSF_NSA_16discard_iteratorINSA_11use_defaultEEEEEENSH_IJSG_SG_EEES6_PlJ7is_evenIxEEEE10hipError_tPvRmT3_T4_T5_T6_T7_T9_mT8_P12ihipStream_tbDpT10_ENKUlT_T0_E_clISt17integral_constantIbLb0EES18_IbLb1EEEEDaS14_S15_EUlS14_E_NS1_11comp_targetILNS1_3genE2ELNS1_11target_archE906ELNS1_3gpuE6ELNS1_3repE0EEENS1_30default_config_static_selectorELNS0_4arch9wavefront6targetE1EEEvT1_
                                        ; -- End function
	.section	.AMDGPU.csdata,"",@progbits
; Kernel info:
; codeLenInByte = 0
; NumSgprs: 6
; NumVgprs: 0
; NumAgprs: 0
; TotalNumVgprs: 0
; ScratchSize: 0
; MemoryBound: 0
; FloatMode: 240
; IeeeMode: 1
; LDSByteSize: 0 bytes/workgroup (compile time only)
; SGPRBlocks: 0
; VGPRBlocks: 0
; NumSGPRsForWavesPerEU: 6
; NumVGPRsForWavesPerEU: 1
; AccumOffset: 4
; Occupancy: 8
; WaveLimiterHint : 0
; COMPUTE_PGM_RSRC2:SCRATCH_EN: 0
; COMPUTE_PGM_RSRC2:USER_SGPR: 2
; COMPUTE_PGM_RSRC2:TRAP_HANDLER: 0
; COMPUTE_PGM_RSRC2:TGID_X_EN: 1
; COMPUTE_PGM_RSRC2:TGID_Y_EN: 0
; COMPUTE_PGM_RSRC2:TGID_Z_EN: 0
; COMPUTE_PGM_RSRC2:TIDIG_COMP_CNT: 0
; COMPUTE_PGM_RSRC3_GFX90A:ACCUM_OFFSET: 0
; COMPUTE_PGM_RSRC3_GFX90A:TG_SPLIT: 0
	.section	.text._ZN7rocprim17ROCPRIM_400000_NS6detail17trampoline_kernelINS0_14default_configENS1_25partition_config_selectorILNS1_17partition_subalgoE0ExNS0_10empty_typeEbEEZZNS1_14partition_implILS5_0ELb0ES3_jN6thrust23THRUST_200600_302600_NS6detail15normal_iteratorINSA_10device_ptrIxEEEEPS6_SG_NS0_5tupleIJSF_NSA_16discard_iteratorINSA_11use_defaultEEEEEENSH_IJSG_SG_EEES6_PlJ7is_evenIxEEEE10hipError_tPvRmT3_T4_T5_T6_T7_T9_mT8_P12ihipStream_tbDpT10_ENKUlT_T0_E_clISt17integral_constantIbLb0EES18_IbLb1EEEEDaS14_S15_EUlS14_E_NS1_11comp_targetILNS1_3genE10ELNS1_11target_archE1200ELNS1_3gpuE4ELNS1_3repE0EEENS1_30default_config_static_selectorELNS0_4arch9wavefront6targetE1EEEvT1_,"axG",@progbits,_ZN7rocprim17ROCPRIM_400000_NS6detail17trampoline_kernelINS0_14default_configENS1_25partition_config_selectorILNS1_17partition_subalgoE0ExNS0_10empty_typeEbEEZZNS1_14partition_implILS5_0ELb0ES3_jN6thrust23THRUST_200600_302600_NS6detail15normal_iteratorINSA_10device_ptrIxEEEEPS6_SG_NS0_5tupleIJSF_NSA_16discard_iteratorINSA_11use_defaultEEEEEENSH_IJSG_SG_EEES6_PlJ7is_evenIxEEEE10hipError_tPvRmT3_T4_T5_T6_T7_T9_mT8_P12ihipStream_tbDpT10_ENKUlT_T0_E_clISt17integral_constantIbLb0EES18_IbLb1EEEEDaS14_S15_EUlS14_E_NS1_11comp_targetILNS1_3genE10ELNS1_11target_archE1200ELNS1_3gpuE4ELNS1_3repE0EEENS1_30default_config_static_selectorELNS0_4arch9wavefront6targetE1EEEvT1_,comdat
	.protected	_ZN7rocprim17ROCPRIM_400000_NS6detail17trampoline_kernelINS0_14default_configENS1_25partition_config_selectorILNS1_17partition_subalgoE0ExNS0_10empty_typeEbEEZZNS1_14partition_implILS5_0ELb0ES3_jN6thrust23THRUST_200600_302600_NS6detail15normal_iteratorINSA_10device_ptrIxEEEEPS6_SG_NS0_5tupleIJSF_NSA_16discard_iteratorINSA_11use_defaultEEEEEENSH_IJSG_SG_EEES6_PlJ7is_evenIxEEEE10hipError_tPvRmT3_T4_T5_T6_T7_T9_mT8_P12ihipStream_tbDpT10_ENKUlT_T0_E_clISt17integral_constantIbLb0EES18_IbLb1EEEEDaS14_S15_EUlS14_E_NS1_11comp_targetILNS1_3genE10ELNS1_11target_archE1200ELNS1_3gpuE4ELNS1_3repE0EEENS1_30default_config_static_selectorELNS0_4arch9wavefront6targetE1EEEvT1_ ; -- Begin function _ZN7rocprim17ROCPRIM_400000_NS6detail17trampoline_kernelINS0_14default_configENS1_25partition_config_selectorILNS1_17partition_subalgoE0ExNS0_10empty_typeEbEEZZNS1_14partition_implILS5_0ELb0ES3_jN6thrust23THRUST_200600_302600_NS6detail15normal_iteratorINSA_10device_ptrIxEEEEPS6_SG_NS0_5tupleIJSF_NSA_16discard_iteratorINSA_11use_defaultEEEEEENSH_IJSG_SG_EEES6_PlJ7is_evenIxEEEE10hipError_tPvRmT3_T4_T5_T6_T7_T9_mT8_P12ihipStream_tbDpT10_ENKUlT_T0_E_clISt17integral_constantIbLb0EES18_IbLb1EEEEDaS14_S15_EUlS14_E_NS1_11comp_targetILNS1_3genE10ELNS1_11target_archE1200ELNS1_3gpuE4ELNS1_3repE0EEENS1_30default_config_static_selectorELNS0_4arch9wavefront6targetE1EEEvT1_
	.globl	_ZN7rocprim17ROCPRIM_400000_NS6detail17trampoline_kernelINS0_14default_configENS1_25partition_config_selectorILNS1_17partition_subalgoE0ExNS0_10empty_typeEbEEZZNS1_14partition_implILS5_0ELb0ES3_jN6thrust23THRUST_200600_302600_NS6detail15normal_iteratorINSA_10device_ptrIxEEEEPS6_SG_NS0_5tupleIJSF_NSA_16discard_iteratorINSA_11use_defaultEEEEEENSH_IJSG_SG_EEES6_PlJ7is_evenIxEEEE10hipError_tPvRmT3_T4_T5_T6_T7_T9_mT8_P12ihipStream_tbDpT10_ENKUlT_T0_E_clISt17integral_constantIbLb0EES18_IbLb1EEEEDaS14_S15_EUlS14_E_NS1_11comp_targetILNS1_3genE10ELNS1_11target_archE1200ELNS1_3gpuE4ELNS1_3repE0EEENS1_30default_config_static_selectorELNS0_4arch9wavefront6targetE1EEEvT1_
	.p2align	8
	.type	_ZN7rocprim17ROCPRIM_400000_NS6detail17trampoline_kernelINS0_14default_configENS1_25partition_config_selectorILNS1_17partition_subalgoE0ExNS0_10empty_typeEbEEZZNS1_14partition_implILS5_0ELb0ES3_jN6thrust23THRUST_200600_302600_NS6detail15normal_iteratorINSA_10device_ptrIxEEEEPS6_SG_NS0_5tupleIJSF_NSA_16discard_iteratorINSA_11use_defaultEEEEEENSH_IJSG_SG_EEES6_PlJ7is_evenIxEEEE10hipError_tPvRmT3_T4_T5_T6_T7_T9_mT8_P12ihipStream_tbDpT10_ENKUlT_T0_E_clISt17integral_constantIbLb0EES18_IbLb1EEEEDaS14_S15_EUlS14_E_NS1_11comp_targetILNS1_3genE10ELNS1_11target_archE1200ELNS1_3gpuE4ELNS1_3repE0EEENS1_30default_config_static_selectorELNS0_4arch9wavefront6targetE1EEEvT1_,@function
_ZN7rocprim17ROCPRIM_400000_NS6detail17trampoline_kernelINS0_14default_configENS1_25partition_config_selectorILNS1_17partition_subalgoE0ExNS0_10empty_typeEbEEZZNS1_14partition_implILS5_0ELb0ES3_jN6thrust23THRUST_200600_302600_NS6detail15normal_iteratorINSA_10device_ptrIxEEEEPS6_SG_NS0_5tupleIJSF_NSA_16discard_iteratorINSA_11use_defaultEEEEEENSH_IJSG_SG_EEES6_PlJ7is_evenIxEEEE10hipError_tPvRmT3_T4_T5_T6_T7_T9_mT8_P12ihipStream_tbDpT10_ENKUlT_T0_E_clISt17integral_constantIbLb0EES18_IbLb1EEEEDaS14_S15_EUlS14_E_NS1_11comp_targetILNS1_3genE10ELNS1_11target_archE1200ELNS1_3gpuE4ELNS1_3repE0EEENS1_30default_config_static_selectorELNS0_4arch9wavefront6targetE1EEEvT1_: ; @_ZN7rocprim17ROCPRIM_400000_NS6detail17trampoline_kernelINS0_14default_configENS1_25partition_config_selectorILNS1_17partition_subalgoE0ExNS0_10empty_typeEbEEZZNS1_14partition_implILS5_0ELb0ES3_jN6thrust23THRUST_200600_302600_NS6detail15normal_iteratorINSA_10device_ptrIxEEEEPS6_SG_NS0_5tupleIJSF_NSA_16discard_iteratorINSA_11use_defaultEEEEEENSH_IJSG_SG_EEES6_PlJ7is_evenIxEEEE10hipError_tPvRmT3_T4_T5_T6_T7_T9_mT8_P12ihipStream_tbDpT10_ENKUlT_T0_E_clISt17integral_constantIbLb0EES18_IbLb1EEEEDaS14_S15_EUlS14_E_NS1_11comp_targetILNS1_3genE10ELNS1_11target_archE1200ELNS1_3gpuE4ELNS1_3repE0EEENS1_30default_config_static_selectorELNS0_4arch9wavefront6targetE1EEEvT1_
; %bb.0:
	.section	.rodata,"a",@progbits
	.p2align	6, 0x0
	.amdhsa_kernel _ZN7rocprim17ROCPRIM_400000_NS6detail17trampoline_kernelINS0_14default_configENS1_25partition_config_selectorILNS1_17partition_subalgoE0ExNS0_10empty_typeEbEEZZNS1_14partition_implILS5_0ELb0ES3_jN6thrust23THRUST_200600_302600_NS6detail15normal_iteratorINSA_10device_ptrIxEEEEPS6_SG_NS0_5tupleIJSF_NSA_16discard_iteratorINSA_11use_defaultEEEEEENSH_IJSG_SG_EEES6_PlJ7is_evenIxEEEE10hipError_tPvRmT3_T4_T5_T6_T7_T9_mT8_P12ihipStream_tbDpT10_ENKUlT_T0_E_clISt17integral_constantIbLb0EES18_IbLb1EEEEDaS14_S15_EUlS14_E_NS1_11comp_targetILNS1_3genE10ELNS1_11target_archE1200ELNS1_3gpuE4ELNS1_3repE0EEENS1_30default_config_static_selectorELNS0_4arch9wavefront6targetE1EEEvT1_
		.amdhsa_group_segment_fixed_size 0
		.amdhsa_private_segment_fixed_size 0
		.amdhsa_kernarg_size 144
		.amdhsa_user_sgpr_count 2
		.amdhsa_user_sgpr_dispatch_ptr 0
		.amdhsa_user_sgpr_queue_ptr 0
		.amdhsa_user_sgpr_kernarg_segment_ptr 1
		.amdhsa_user_sgpr_dispatch_id 0
		.amdhsa_user_sgpr_kernarg_preload_length 0
		.amdhsa_user_sgpr_kernarg_preload_offset 0
		.amdhsa_user_sgpr_private_segment_size 0
		.amdhsa_uses_dynamic_stack 0
		.amdhsa_enable_private_segment 0
		.amdhsa_system_sgpr_workgroup_id_x 1
		.amdhsa_system_sgpr_workgroup_id_y 0
		.amdhsa_system_sgpr_workgroup_id_z 0
		.amdhsa_system_sgpr_workgroup_info 0
		.amdhsa_system_vgpr_workitem_id 0
		.amdhsa_next_free_vgpr 1
		.amdhsa_next_free_sgpr 0
		.amdhsa_accum_offset 4
		.amdhsa_reserve_vcc 0
		.amdhsa_float_round_mode_32 0
		.amdhsa_float_round_mode_16_64 0
		.amdhsa_float_denorm_mode_32 3
		.amdhsa_float_denorm_mode_16_64 3
		.amdhsa_dx10_clamp 1
		.amdhsa_ieee_mode 1
		.amdhsa_fp16_overflow 0
		.amdhsa_tg_split 0
		.amdhsa_exception_fp_ieee_invalid_op 0
		.amdhsa_exception_fp_denorm_src 0
		.amdhsa_exception_fp_ieee_div_zero 0
		.amdhsa_exception_fp_ieee_overflow 0
		.amdhsa_exception_fp_ieee_underflow 0
		.amdhsa_exception_fp_ieee_inexact 0
		.amdhsa_exception_int_div_zero 0
	.end_amdhsa_kernel
	.section	.text._ZN7rocprim17ROCPRIM_400000_NS6detail17trampoline_kernelINS0_14default_configENS1_25partition_config_selectorILNS1_17partition_subalgoE0ExNS0_10empty_typeEbEEZZNS1_14partition_implILS5_0ELb0ES3_jN6thrust23THRUST_200600_302600_NS6detail15normal_iteratorINSA_10device_ptrIxEEEEPS6_SG_NS0_5tupleIJSF_NSA_16discard_iteratorINSA_11use_defaultEEEEEENSH_IJSG_SG_EEES6_PlJ7is_evenIxEEEE10hipError_tPvRmT3_T4_T5_T6_T7_T9_mT8_P12ihipStream_tbDpT10_ENKUlT_T0_E_clISt17integral_constantIbLb0EES18_IbLb1EEEEDaS14_S15_EUlS14_E_NS1_11comp_targetILNS1_3genE10ELNS1_11target_archE1200ELNS1_3gpuE4ELNS1_3repE0EEENS1_30default_config_static_selectorELNS0_4arch9wavefront6targetE1EEEvT1_,"axG",@progbits,_ZN7rocprim17ROCPRIM_400000_NS6detail17trampoline_kernelINS0_14default_configENS1_25partition_config_selectorILNS1_17partition_subalgoE0ExNS0_10empty_typeEbEEZZNS1_14partition_implILS5_0ELb0ES3_jN6thrust23THRUST_200600_302600_NS6detail15normal_iteratorINSA_10device_ptrIxEEEEPS6_SG_NS0_5tupleIJSF_NSA_16discard_iteratorINSA_11use_defaultEEEEEENSH_IJSG_SG_EEES6_PlJ7is_evenIxEEEE10hipError_tPvRmT3_T4_T5_T6_T7_T9_mT8_P12ihipStream_tbDpT10_ENKUlT_T0_E_clISt17integral_constantIbLb0EES18_IbLb1EEEEDaS14_S15_EUlS14_E_NS1_11comp_targetILNS1_3genE10ELNS1_11target_archE1200ELNS1_3gpuE4ELNS1_3repE0EEENS1_30default_config_static_selectorELNS0_4arch9wavefront6targetE1EEEvT1_,comdat
.Lfunc_end2648:
	.size	_ZN7rocprim17ROCPRIM_400000_NS6detail17trampoline_kernelINS0_14default_configENS1_25partition_config_selectorILNS1_17partition_subalgoE0ExNS0_10empty_typeEbEEZZNS1_14partition_implILS5_0ELb0ES3_jN6thrust23THRUST_200600_302600_NS6detail15normal_iteratorINSA_10device_ptrIxEEEEPS6_SG_NS0_5tupleIJSF_NSA_16discard_iteratorINSA_11use_defaultEEEEEENSH_IJSG_SG_EEES6_PlJ7is_evenIxEEEE10hipError_tPvRmT3_T4_T5_T6_T7_T9_mT8_P12ihipStream_tbDpT10_ENKUlT_T0_E_clISt17integral_constantIbLb0EES18_IbLb1EEEEDaS14_S15_EUlS14_E_NS1_11comp_targetILNS1_3genE10ELNS1_11target_archE1200ELNS1_3gpuE4ELNS1_3repE0EEENS1_30default_config_static_selectorELNS0_4arch9wavefront6targetE1EEEvT1_, .Lfunc_end2648-_ZN7rocprim17ROCPRIM_400000_NS6detail17trampoline_kernelINS0_14default_configENS1_25partition_config_selectorILNS1_17partition_subalgoE0ExNS0_10empty_typeEbEEZZNS1_14partition_implILS5_0ELb0ES3_jN6thrust23THRUST_200600_302600_NS6detail15normal_iteratorINSA_10device_ptrIxEEEEPS6_SG_NS0_5tupleIJSF_NSA_16discard_iteratorINSA_11use_defaultEEEEEENSH_IJSG_SG_EEES6_PlJ7is_evenIxEEEE10hipError_tPvRmT3_T4_T5_T6_T7_T9_mT8_P12ihipStream_tbDpT10_ENKUlT_T0_E_clISt17integral_constantIbLb0EES18_IbLb1EEEEDaS14_S15_EUlS14_E_NS1_11comp_targetILNS1_3genE10ELNS1_11target_archE1200ELNS1_3gpuE4ELNS1_3repE0EEENS1_30default_config_static_selectorELNS0_4arch9wavefront6targetE1EEEvT1_
                                        ; -- End function
	.section	.AMDGPU.csdata,"",@progbits
; Kernel info:
; codeLenInByte = 0
; NumSgprs: 6
; NumVgprs: 0
; NumAgprs: 0
; TotalNumVgprs: 0
; ScratchSize: 0
; MemoryBound: 0
; FloatMode: 240
; IeeeMode: 1
; LDSByteSize: 0 bytes/workgroup (compile time only)
; SGPRBlocks: 0
; VGPRBlocks: 0
; NumSGPRsForWavesPerEU: 6
; NumVGPRsForWavesPerEU: 1
; AccumOffset: 4
; Occupancy: 8
; WaveLimiterHint : 0
; COMPUTE_PGM_RSRC2:SCRATCH_EN: 0
; COMPUTE_PGM_RSRC2:USER_SGPR: 2
; COMPUTE_PGM_RSRC2:TRAP_HANDLER: 0
; COMPUTE_PGM_RSRC2:TGID_X_EN: 1
; COMPUTE_PGM_RSRC2:TGID_Y_EN: 0
; COMPUTE_PGM_RSRC2:TGID_Z_EN: 0
; COMPUTE_PGM_RSRC2:TIDIG_COMP_CNT: 0
; COMPUTE_PGM_RSRC3_GFX90A:ACCUM_OFFSET: 0
; COMPUTE_PGM_RSRC3_GFX90A:TG_SPLIT: 0
	.section	.text._ZN7rocprim17ROCPRIM_400000_NS6detail17trampoline_kernelINS0_14default_configENS1_25partition_config_selectorILNS1_17partition_subalgoE0ExNS0_10empty_typeEbEEZZNS1_14partition_implILS5_0ELb0ES3_jN6thrust23THRUST_200600_302600_NS6detail15normal_iteratorINSA_10device_ptrIxEEEEPS6_SG_NS0_5tupleIJSF_NSA_16discard_iteratorINSA_11use_defaultEEEEEENSH_IJSG_SG_EEES6_PlJ7is_evenIxEEEE10hipError_tPvRmT3_T4_T5_T6_T7_T9_mT8_P12ihipStream_tbDpT10_ENKUlT_T0_E_clISt17integral_constantIbLb0EES18_IbLb1EEEEDaS14_S15_EUlS14_E_NS1_11comp_targetILNS1_3genE9ELNS1_11target_archE1100ELNS1_3gpuE3ELNS1_3repE0EEENS1_30default_config_static_selectorELNS0_4arch9wavefront6targetE1EEEvT1_,"axG",@progbits,_ZN7rocprim17ROCPRIM_400000_NS6detail17trampoline_kernelINS0_14default_configENS1_25partition_config_selectorILNS1_17partition_subalgoE0ExNS0_10empty_typeEbEEZZNS1_14partition_implILS5_0ELb0ES3_jN6thrust23THRUST_200600_302600_NS6detail15normal_iteratorINSA_10device_ptrIxEEEEPS6_SG_NS0_5tupleIJSF_NSA_16discard_iteratorINSA_11use_defaultEEEEEENSH_IJSG_SG_EEES6_PlJ7is_evenIxEEEE10hipError_tPvRmT3_T4_T5_T6_T7_T9_mT8_P12ihipStream_tbDpT10_ENKUlT_T0_E_clISt17integral_constantIbLb0EES18_IbLb1EEEEDaS14_S15_EUlS14_E_NS1_11comp_targetILNS1_3genE9ELNS1_11target_archE1100ELNS1_3gpuE3ELNS1_3repE0EEENS1_30default_config_static_selectorELNS0_4arch9wavefront6targetE1EEEvT1_,comdat
	.protected	_ZN7rocprim17ROCPRIM_400000_NS6detail17trampoline_kernelINS0_14default_configENS1_25partition_config_selectorILNS1_17partition_subalgoE0ExNS0_10empty_typeEbEEZZNS1_14partition_implILS5_0ELb0ES3_jN6thrust23THRUST_200600_302600_NS6detail15normal_iteratorINSA_10device_ptrIxEEEEPS6_SG_NS0_5tupleIJSF_NSA_16discard_iteratorINSA_11use_defaultEEEEEENSH_IJSG_SG_EEES6_PlJ7is_evenIxEEEE10hipError_tPvRmT3_T4_T5_T6_T7_T9_mT8_P12ihipStream_tbDpT10_ENKUlT_T0_E_clISt17integral_constantIbLb0EES18_IbLb1EEEEDaS14_S15_EUlS14_E_NS1_11comp_targetILNS1_3genE9ELNS1_11target_archE1100ELNS1_3gpuE3ELNS1_3repE0EEENS1_30default_config_static_selectorELNS0_4arch9wavefront6targetE1EEEvT1_ ; -- Begin function _ZN7rocprim17ROCPRIM_400000_NS6detail17trampoline_kernelINS0_14default_configENS1_25partition_config_selectorILNS1_17partition_subalgoE0ExNS0_10empty_typeEbEEZZNS1_14partition_implILS5_0ELb0ES3_jN6thrust23THRUST_200600_302600_NS6detail15normal_iteratorINSA_10device_ptrIxEEEEPS6_SG_NS0_5tupleIJSF_NSA_16discard_iteratorINSA_11use_defaultEEEEEENSH_IJSG_SG_EEES6_PlJ7is_evenIxEEEE10hipError_tPvRmT3_T4_T5_T6_T7_T9_mT8_P12ihipStream_tbDpT10_ENKUlT_T0_E_clISt17integral_constantIbLb0EES18_IbLb1EEEEDaS14_S15_EUlS14_E_NS1_11comp_targetILNS1_3genE9ELNS1_11target_archE1100ELNS1_3gpuE3ELNS1_3repE0EEENS1_30default_config_static_selectorELNS0_4arch9wavefront6targetE1EEEvT1_
	.globl	_ZN7rocprim17ROCPRIM_400000_NS6detail17trampoline_kernelINS0_14default_configENS1_25partition_config_selectorILNS1_17partition_subalgoE0ExNS0_10empty_typeEbEEZZNS1_14partition_implILS5_0ELb0ES3_jN6thrust23THRUST_200600_302600_NS6detail15normal_iteratorINSA_10device_ptrIxEEEEPS6_SG_NS0_5tupleIJSF_NSA_16discard_iteratorINSA_11use_defaultEEEEEENSH_IJSG_SG_EEES6_PlJ7is_evenIxEEEE10hipError_tPvRmT3_T4_T5_T6_T7_T9_mT8_P12ihipStream_tbDpT10_ENKUlT_T0_E_clISt17integral_constantIbLb0EES18_IbLb1EEEEDaS14_S15_EUlS14_E_NS1_11comp_targetILNS1_3genE9ELNS1_11target_archE1100ELNS1_3gpuE3ELNS1_3repE0EEENS1_30default_config_static_selectorELNS0_4arch9wavefront6targetE1EEEvT1_
	.p2align	8
	.type	_ZN7rocprim17ROCPRIM_400000_NS6detail17trampoline_kernelINS0_14default_configENS1_25partition_config_selectorILNS1_17partition_subalgoE0ExNS0_10empty_typeEbEEZZNS1_14partition_implILS5_0ELb0ES3_jN6thrust23THRUST_200600_302600_NS6detail15normal_iteratorINSA_10device_ptrIxEEEEPS6_SG_NS0_5tupleIJSF_NSA_16discard_iteratorINSA_11use_defaultEEEEEENSH_IJSG_SG_EEES6_PlJ7is_evenIxEEEE10hipError_tPvRmT3_T4_T5_T6_T7_T9_mT8_P12ihipStream_tbDpT10_ENKUlT_T0_E_clISt17integral_constantIbLb0EES18_IbLb1EEEEDaS14_S15_EUlS14_E_NS1_11comp_targetILNS1_3genE9ELNS1_11target_archE1100ELNS1_3gpuE3ELNS1_3repE0EEENS1_30default_config_static_selectorELNS0_4arch9wavefront6targetE1EEEvT1_,@function
_ZN7rocprim17ROCPRIM_400000_NS6detail17trampoline_kernelINS0_14default_configENS1_25partition_config_selectorILNS1_17partition_subalgoE0ExNS0_10empty_typeEbEEZZNS1_14partition_implILS5_0ELb0ES3_jN6thrust23THRUST_200600_302600_NS6detail15normal_iteratorINSA_10device_ptrIxEEEEPS6_SG_NS0_5tupleIJSF_NSA_16discard_iteratorINSA_11use_defaultEEEEEENSH_IJSG_SG_EEES6_PlJ7is_evenIxEEEE10hipError_tPvRmT3_T4_T5_T6_T7_T9_mT8_P12ihipStream_tbDpT10_ENKUlT_T0_E_clISt17integral_constantIbLb0EES18_IbLb1EEEEDaS14_S15_EUlS14_E_NS1_11comp_targetILNS1_3genE9ELNS1_11target_archE1100ELNS1_3gpuE3ELNS1_3repE0EEENS1_30default_config_static_selectorELNS0_4arch9wavefront6targetE1EEEvT1_: ; @_ZN7rocprim17ROCPRIM_400000_NS6detail17trampoline_kernelINS0_14default_configENS1_25partition_config_selectorILNS1_17partition_subalgoE0ExNS0_10empty_typeEbEEZZNS1_14partition_implILS5_0ELb0ES3_jN6thrust23THRUST_200600_302600_NS6detail15normal_iteratorINSA_10device_ptrIxEEEEPS6_SG_NS0_5tupleIJSF_NSA_16discard_iteratorINSA_11use_defaultEEEEEENSH_IJSG_SG_EEES6_PlJ7is_evenIxEEEE10hipError_tPvRmT3_T4_T5_T6_T7_T9_mT8_P12ihipStream_tbDpT10_ENKUlT_T0_E_clISt17integral_constantIbLb0EES18_IbLb1EEEEDaS14_S15_EUlS14_E_NS1_11comp_targetILNS1_3genE9ELNS1_11target_archE1100ELNS1_3gpuE3ELNS1_3repE0EEENS1_30default_config_static_selectorELNS0_4arch9wavefront6targetE1EEEvT1_
; %bb.0:
	.section	.rodata,"a",@progbits
	.p2align	6, 0x0
	.amdhsa_kernel _ZN7rocprim17ROCPRIM_400000_NS6detail17trampoline_kernelINS0_14default_configENS1_25partition_config_selectorILNS1_17partition_subalgoE0ExNS0_10empty_typeEbEEZZNS1_14partition_implILS5_0ELb0ES3_jN6thrust23THRUST_200600_302600_NS6detail15normal_iteratorINSA_10device_ptrIxEEEEPS6_SG_NS0_5tupleIJSF_NSA_16discard_iteratorINSA_11use_defaultEEEEEENSH_IJSG_SG_EEES6_PlJ7is_evenIxEEEE10hipError_tPvRmT3_T4_T5_T6_T7_T9_mT8_P12ihipStream_tbDpT10_ENKUlT_T0_E_clISt17integral_constantIbLb0EES18_IbLb1EEEEDaS14_S15_EUlS14_E_NS1_11comp_targetILNS1_3genE9ELNS1_11target_archE1100ELNS1_3gpuE3ELNS1_3repE0EEENS1_30default_config_static_selectorELNS0_4arch9wavefront6targetE1EEEvT1_
		.amdhsa_group_segment_fixed_size 0
		.amdhsa_private_segment_fixed_size 0
		.amdhsa_kernarg_size 144
		.amdhsa_user_sgpr_count 2
		.amdhsa_user_sgpr_dispatch_ptr 0
		.amdhsa_user_sgpr_queue_ptr 0
		.amdhsa_user_sgpr_kernarg_segment_ptr 1
		.amdhsa_user_sgpr_dispatch_id 0
		.amdhsa_user_sgpr_kernarg_preload_length 0
		.amdhsa_user_sgpr_kernarg_preload_offset 0
		.amdhsa_user_sgpr_private_segment_size 0
		.amdhsa_uses_dynamic_stack 0
		.amdhsa_enable_private_segment 0
		.amdhsa_system_sgpr_workgroup_id_x 1
		.amdhsa_system_sgpr_workgroup_id_y 0
		.amdhsa_system_sgpr_workgroup_id_z 0
		.amdhsa_system_sgpr_workgroup_info 0
		.amdhsa_system_vgpr_workitem_id 0
		.amdhsa_next_free_vgpr 1
		.amdhsa_next_free_sgpr 0
		.amdhsa_accum_offset 4
		.amdhsa_reserve_vcc 0
		.amdhsa_float_round_mode_32 0
		.amdhsa_float_round_mode_16_64 0
		.amdhsa_float_denorm_mode_32 3
		.amdhsa_float_denorm_mode_16_64 3
		.amdhsa_dx10_clamp 1
		.amdhsa_ieee_mode 1
		.amdhsa_fp16_overflow 0
		.amdhsa_tg_split 0
		.amdhsa_exception_fp_ieee_invalid_op 0
		.amdhsa_exception_fp_denorm_src 0
		.amdhsa_exception_fp_ieee_div_zero 0
		.amdhsa_exception_fp_ieee_overflow 0
		.amdhsa_exception_fp_ieee_underflow 0
		.amdhsa_exception_fp_ieee_inexact 0
		.amdhsa_exception_int_div_zero 0
	.end_amdhsa_kernel
	.section	.text._ZN7rocprim17ROCPRIM_400000_NS6detail17trampoline_kernelINS0_14default_configENS1_25partition_config_selectorILNS1_17partition_subalgoE0ExNS0_10empty_typeEbEEZZNS1_14partition_implILS5_0ELb0ES3_jN6thrust23THRUST_200600_302600_NS6detail15normal_iteratorINSA_10device_ptrIxEEEEPS6_SG_NS0_5tupleIJSF_NSA_16discard_iteratorINSA_11use_defaultEEEEEENSH_IJSG_SG_EEES6_PlJ7is_evenIxEEEE10hipError_tPvRmT3_T4_T5_T6_T7_T9_mT8_P12ihipStream_tbDpT10_ENKUlT_T0_E_clISt17integral_constantIbLb0EES18_IbLb1EEEEDaS14_S15_EUlS14_E_NS1_11comp_targetILNS1_3genE9ELNS1_11target_archE1100ELNS1_3gpuE3ELNS1_3repE0EEENS1_30default_config_static_selectorELNS0_4arch9wavefront6targetE1EEEvT1_,"axG",@progbits,_ZN7rocprim17ROCPRIM_400000_NS6detail17trampoline_kernelINS0_14default_configENS1_25partition_config_selectorILNS1_17partition_subalgoE0ExNS0_10empty_typeEbEEZZNS1_14partition_implILS5_0ELb0ES3_jN6thrust23THRUST_200600_302600_NS6detail15normal_iteratorINSA_10device_ptrIxEEEEPS6_SG_NS0_5tupleIJSF_NSA_16discard_iteratorINSA_11use_defaultEEEEEENSH_IJSG_SG_EEES6_PlJ7is_evenIxEEEE10hipError_tPvRmT3_T4_T5_T6_T7_T9_mT8_P12ihipStream_tbDpT10_ENKUlT_T0_E_clISt17integral_constantIbLb0EES18_IbLb1EEEEDaS14_S15_EUlS14_E_NS1_11comp_targetILNS1_3genE9ELNS1_11target_archE1100ELNS1_3gpuE3ELNS1_3repE0EEENS1_30default_config_static_selectorELNS0_4arch9wavefront6targetE1EEEvT1_,comdat
.Lfunc_end2649:
	.size	_ZN7rocprim17ROCPRIM_400000_NS6detail17trampoline_kernelINS0_14default_configENS1_25partition_config_selectorILNS1_17partition_subalgoE0ExNS0_10empty_typeEbEEZZNS1_14partition_implILS5_0ELb0ES3_jN6thrust23THRUST_200600_302600_NS6detail15normal_iteratorINSA_10device_ptrIxEEEEPS6_SG_NS0_5tupleIJSF_NSA_16discard_iteratorINSA_11use_defaultEEEEEENSH_IJSG_SG_EEES6_PlJ7is_evenIxEEEE10hipError_tPvRmT3_T4_T5_T6_T7_T9_mT8_P12ihipStream_tbDpT10_ENKUlT_T0_E_clISt17integral_constantIbLb0EES18_IbLb1EEEEDaS14_S15_EUlS14_E_NS1_11comp_targetILNS1_3genE9ELNS1_11target_archE1100ELNS1_3gpuE3ELNS1_3repE0EEENS1_30default_config_static_selectorELNS0_4arch9wavefront6targetE1EEEvT1_, .Lfunc_end2649-_ZN7rocprim17ROCPRIM_400000_NS6detail17trampoline_kernelINS0_14default_configENS1_25partition_config_selectorILNS1_17partition_subalgoE0ExNS0_10empty_typeEbEEZZNS1_14partition_implILS5_0ELb0ES3_jN6thrust23THRUST_200600_302600_NS6detail15normal_iteratorINSA_10device_ptrIxEEEEPS6_SG_NS0_5tupleIJSF_NSA_16discard_iteratorINSA_11use_defaultEEEEEENSH_IJSG_SG_EEES6_PlJ7is_evenIxEEEE10hipError_tPvRmT3_T4_T5_T6_T7_T9_mT8_P12ihipStream_tbDpT10_ENKUlT_T0_E_clISt17integral_constantIbLb0EES18_IbLb1EEEEDaS14_S15_EUlS14_E_NS1_11comp_targetILNS1_3genE9ELNS1_11target_archE1100ELNS1_3gpuE3ELNS1_3repE0EEENS1_30default_config_static_selectorELNS0_4arch9wavefront6targetE1EEEvT1_
                                        ; -- End function
	.section	.AMDGPU.csdata,"",@progbits
; Kernel info:
; codeLenInByte = 0
; NumSgprs: 6
; NumVgprs: 0
; NumAgprs: 0
; TotalNumVgprs: 0
; ScratchSize: 0
; MemoryBound: 0
; FloatMode: 240
; IeeeMode: 1
; LDSByteSize: 0 bytes/workgroup (compile time only)
; SGPRBlocks: 0
; VGPRBlocks: 0
; NumSGPRsForWavesPerEU: 6
; NumVGPRsForWavesPerEU: 1
; AccumOffset: 4
; Occupancy: 8
; WaveLimiterHint : 0
; COMPUTE_PGM_RSRC2:SCRATCH_EN: 0
; COMPUTE_PGM_RSRC2:USER_SGPR: 2
; COMPUTE_PGM_RSRC2:TRAP_HANDLER: 0
; COMPUTE_PGM_RSRC2:TGID_X_EN: 1
; COMPUTE_PGM_RSRC2:TGID_Y_EN: 0
; COMPUTE_PGM_RSRC2:TGID_Z_EN: 0
; COMPUTE_PGM_RSRC2:TIDIG_COMP_CNT: 0
; COMPUTE_PGM_RSRC3_GFX90A:ACCUM_OFFSET: 0
; COMPUTE_PGM_RSRC3_GFX90A:TG_SPLIT: 0
	.section	.text._ZN7rocprim17ROCPRIM_400000_NS6detail17trampoline_kernelINS0_14default_configENS1_25partition_config_selectorILNS1_17partition_subalgoE0ExNS0_10empty_typeEbEEZZNS1_14partition_implILS5_0ELb0ES3_jN6thrust23THRUST_200600_302600_NS6detail15normal_iteratorINSA_10device_ptrIxEEEEPS6_SG_NS0_5tupleIJSF_NSA_16discard_iteratorINSA_11use_defaultEEEEEENSH_IJSG_SG_EEES6_PlJ7is_evenIxEEEE10hipError_tPvRmT3_T4_T5_T6_T7_T9_mT8_P12ihipStream_tbDpT10_ENKUlT_T0_E_clISt17integral_constantIbLb0EES18_IbLb1EEEEDaS14_S15_EUlS14_E_NS1_11comp_targetILNS1_3genE8ELNS1_11target_archE1030ELNS1_3gpuE2ELNS1_3repE0EEENS1_30default_config_static_selectorELNS0_4arch9wavefront6targetE1EEEvT1_,"axG",@progbits,_ZN7rocprim17ROCPRIM_400000_NS6detail17trampoline_kernelINS0_14default_configENS1_25partition_config_selectorILNS1_17partition_subalgoE0ExNS0_10empty_typeEbEEZZNS1_14partition_implILS5_0ELb0ES3_jN6thrust23THRUST_200600_302600_NS6detail15normal_iteratorINSA_10device_ptrIxEEEEPS6_SG_NS0_5tupleIJSF_NSA_16discard_iteratorINSA_11use_defaultEEEEEENSH_IJSG_SG_EEES6_PlJ7is_evenIxEEEE10hipError_tPvRmT3_T4_T5_T6_T7_T9_mT8_P12ihipStream_tbDpT10_ENKUlT_T0_E_clISt17integral_constantIbLb0EES18_IbLb1EEEEDaS14_S15_EUlS14_E_NS1_11comp_targetILNS1_3genE8ELNS1_11target_archE1030ELNS1_3gpuE2ELNS1_3repE0EEENS1_30default_config_static_selectorELNS0_4arch9wavefront6targetE1EEEvT1_,comdat
	.protected	_ZN7rocprim17ROCPRIM_400000_NS6detail17trampoline_kernelINS0_14default_configENS1_25partition_config_selectorILNS1_17partition_subalgoE0ExNS0_10empty_typeEbEEZZNS1_14partition_implILS5_0ELb0ES3_jN6thrust23THRUST_200600_302600_NS6detail15normal_iteratorINSA_10device_ptrIxEEEEPS6_SG_NS0_5tupleIJSF_NSA_16discard_iteratorINSA_11use_defaultEEEEEENSH_IJSG_SG_EEES6_PlJ7is_evenIxEEEE10hipError_tPvRmT3_T4_T5_T6_T7_T9_mT8_P12ihipStream_tbDpT10_ENKUlT_T0_E_clISt17integral_constantIbLb0EES18_IbLb1EEEEDaS14_S15_EUlS14_E_NS1_11comp_targetILNS1_3genE8ELNS1_11target_archE1030ELNS1_3gpuE2ELNS1_3repE0EEENS1_30default_config_static_selectorELNS0_4arch9wavefront6targetE1EEEvT1_ ; -- Begin function _ZN7rocprim17ROCPRIM_400000_NS6detail17trampoline_kernelINS0_14default_configENS1_25partition_config_selectorILNS1_17partition_subalgoE0ExNS0_10empty_typeEbEEZZNS1_14partition_implILS5_0ELb0ES3_jN6thrust23THRUST_200600_302600_NS6detail15normal_iteratorINSA_10device_ptrIxEEEEPS6_SG_NS0_5tupleIJSF_NSA_16discard_iteratorINSA_11use_defaultEEEEEENSH_IJSG_SG_EEES6_PlJ7is_evenIxEEEE10hipError_tPvRmT3_T4_T5_T6_T7_T9_mT8_P12ihipStream_tbDpT10_ENKUlT_T0_E_clISt17integral_constantIbLb0EES18_IbLb1EEEEDaS14_S15_EUlS14_E_NS1_11comp_targetILNS1_3genE8ELNS1_11target_archE1030ELNS1_3gpuE2ELNS1_3repE0EEENS1_30default_config_static_selectorELNS0_4arch9wavefront6targetE1EEEvT1_
	.globl	_ZN7rocprim17ROCPRIM_400000_NS6detail17trampoline_kernelINS0_14default_configENS1_25partition_config_selectorILNS1_17partition_subalgoE0ExNS0_10empty_typeEbEEZZNS1_14partition_implILS5_0ELb0ES3_jN6thrust23THRUST_200600_302600_NS6detail15normal_iteratorINSA_10device_ptrIxEEEEPS6_SG_NS0_5tupleIJSF_NSA_16discard_iteratorINSA_11use_defaultEEEEEENSH_IJSG_SG_EEES6_PlJ7is_evenIxEEEE10hipError_tPvRmT3_T4_T5_T6_T7_T9_mT8_P12ihipStream_tbDpT10_ENKUlT_T0_E_clISt17integral_constantIbLb0EES18_IbLb1EEEEDaS14_S15_EUlS14_E_NS1_11comp_targetILNS1_3genE8ELNS1_11target_archE1030ELNS1_3gpuE2ELNS1_3repE0EEENS1_30default_config_static_selectorELNS0_4arch9wavefront6targetE1EEEvT1_
	.p2align	8
	.type	_ZN7rocprim17ROCPRIM_400000_NS6detail17trampoline_kernelINS0_14default_configENS1_25partition_config_selectorILNS1_17partition_subalgoE0ExNS0_10empty_typeEbEEZZNS1_14partition_implILS5_0ELb0ES3_jN6thrust23THRUST_200600_302600_NS6detail15normal_iteratorINSA_10device_ptrIxEEEEPS6_SG_NS0_5tupleIJSF_NSA_16discard_iteratorINSA_11use_defaultEEEEEENSH_IJSG_SG_EEES6_PlJ7is_evenIxEEEE10hipError_tPvRmT3_T4_T5_T6_T7_T9_mT8_P12ihipStream_tbDpT10_ENKUlT_T0_E_clISt17integral_constantIbLb0EES18_IbLb1EEEEDaS14_S15_EUlS14_E_NS1_11comp_targetILNS1_3genE8ELNS1_11target_archE1030ELNS1_3gpuE2ELNS1_3repE0EEENS1_30default_config_static_selectorELNS0_4arch9wavefront6targetE1EEEvT1_,@function
_ZN7rocprim17ROCPRIM_400000_NS6detail17trampoline_kernelINS0_14default_configENS1_25partition_config_selectorILNS1_17partition_subalgoE0ExNS0_10empty_typeEbEEZZNS1_14partition_implILS5_0ELb0ES3_jN6thrust23THRUST_200600_302600_NS6detail15normal_iteratorINSA_10device_ptrIxEEEEPS6_SG_NS0_5tupleIJSF_NSA_16discard_iteratorINSA_11use_defaultEEEEEENSH_IJSG_SG_EEES6_PlJ7is_evenIxEEEE10hipError_tPvRmT3_T4_T5_T6_T7_T9_mT8_P12ihipStream_tbDpT10_ENKUlT_T0_E_clISt17integral_constantIbLb0EES18_IbLb1EEEEDaS14_S15_EUlS14_E_NS1_11comp_targetILNS1_3genE8ELNS1_11target_archE1030ELNS1_3gpuE2ELNS1_3repE0EEENS1_30default_config_static_selectorELNS0_4arch9wavefront6targetE1EEEvT1_: ; @_ZN7rocprim17ROCPRIM_400000_NS6detail17trampoline_kernelINS0_14default_configENS1_25partition_config_selectorILNS1_17partition_subalgoE0ExNS0_10empty_typeEbEEZZNS1_14partition_implILS5_0ELb0ES3_jN6thrust23THRUST_200600_302600_NS6detail15normal_iteratorINSA_10device_ptrIxEEEEPS6_SG_NS0_5tupleIJSF_NSA_16discard_iteratorINSA_11use_defaultEEEEEENSH_IJSG_SG_EEES6_PlJ7is_evenIxEEEE10hipError_tPvRmT3_T4_T5_T6_T7_T9_mT8_P12ihipStream_tbDpT10_ENKUlT_T0_E_clISt17integral_constantIbLb0EES18_IbLb1EEEEDaS14_S15_EUlS14_E_NS1_11comp_targetILNS1_3genE8ELNS1_11target_archE1030ELNS1_3gpuE2ELNS1_3repE0EEENS1_30default_config_static_selectorELNS0_4arch9wavefront6targetE1EEEvT1_
; %bb.0:
	.section	.rodata,"a",@progbits
	.p2align	6, 0x0
	.amdhsa_kernel _ZN7rocprim17ROCPRIM_400000_NS6detail17trampoline_kernelINS0_14default_configENS1_25partition_config_selectorILNS1_17partition_subalgoE0ExNS0_10empty_typeEbEEZZNS1_14partition_implILS5_0ELb0ES3_jN6thrust23THRUST_200600_302600_NS6detail15normal_iteratorINSA_10device_ptrIxEEEEPS6_SG_NS0_5tupleIJSF_NSA_16discard_iteratorINSA_11use_defaultEEEEEENSH_IJSG_SG_EEES6_PlJ7is_evenIxEEEE10hipError_tPvRmT3_T4_T5_T6_T7_T9_mT8_P12ihipStream_tbDpT10_ENKUlT_T0_E_clISt17integral_constantIbLb0EES18_IbLb1EEEEDaS14_S15_EUlS14_E_NS1_11comp_targetILNS1_3genE8ELNS1_11target_archE1030ELNS1_3gpuE2ELNS1_3repE0EEENS1_30default_config_static_selectorELNS0_4arch9wavefront6targetE1EEEvT1_
		.amdhsa_group_segment_fixed_size 0
		.amdhsa_private_segment_fixed_size 0
		.amdhsa_kernarg_size 144
		.amdhsa_user_sgpr_count 2
		.amdhsa_user_sgpr_dispatch_ptr 0
		.amdhsa_user_sgpr_queue_ptr 0
		.amdhsa_user_sgpr_kernarg_segment_ptr 1
		.amdhsa_user_sgpr_dispatch_id 0
		.amdhsa_user_sgpr_kernarg_preload_length 0
		.amdhsa_user_sgpr_kernarg_preload_offset 0
		.amdhsa_user_sgpr_private_segment_size 0
		.amdhsa_uses_dynamic_stack 0
		.amdhsa_enable_private_segment 0
		.amdhsa_system_sgpr_workgroup_id_x 1
		.amdhsa_system_sgpr_workgroup_id_y 0
		.amdhsa_system_sgpr_workgroup_id_z 0
		.amdhsa_system_sgpr_workgroup_info 0
		.amdhsa_system_vgpr_workitem_id 0
		.amdhsa_next_free_vgpr 1
		.amdhsa_next_free_sgpr 0
		.amdhsa_accum_offset 4
		.amdhsa_reserve_vcc 0
		.amdhsa_float_round_mode_32 0
		.amdhsa_float_round_mode_16_64 0
		.amdhsa_float_denorm_mode_32 3
		.amdhsa_float_denorm_mode_16_64 3
		.amdhsa_dx10_clamp 1
		.amdhsa_ieee_mode 1
		.amdhsa_fp16_overflow 0
		.amdhsa_tg_split 0
		.amdhsa_exception_fp_ieee_invalid_op 0
		.amdhsa_exception_fp_denorm_src 0
		.amdhsa_exception_fp_ieee_div_zero 0
		.amdhsa_exception_fp_ieee_overflow 0
		.amdhsa_exception_fp_ieee_underflow 0
		.amdhsa_exception_fp_ieee_inexact 0
		.amdhsa_exception_int_div_zero 0
	.end_amdhsa_kernel
	.section	.text._ZN7rocprim17ROCPRIM_400000_NS6detail17trampoline_kernelINS0_14default_configENS1_25partition_config_selectorILNS1_17partition_subalgoE0ExNS0_10empty_typeEbEEZZNS1_14partition_implILS5_0ELb0ES3_jN6thrust23THRUST_200600_302600_NS6detail15normal_iteratorINSA_10device_ptrIxEEEEPS6_SG_NS0_5tupleIJSF_NSA_16discard_iteratorINSA_11use_defaultEEEEEENSH_IJSG_SG_EEES6_PlJ7is_evenIxEEEE10hipError_tPvRmT3_T4_T5_T6_T7_T9_mT8_P12ihipStream_tbDpT10_ENKUlT_T0_E_clISt17integral_constantIbLb0EES18_IbLb1EEEEDaS14_S15_EUlS14_E_NS1_11comp_targetILNS1_3genE8ELNS1_11target_archE1030ELNS1_3gpuE2ELNS1_3repE0EEENS1_30default_config_static_selectorELNS0_4arch9wavefront6targetE1EEEvT1_,"axG",@progbits,_ZN7rocprim17ROCPRIM_400000_NS6detail17trampoline_kernelINS0_14default_configENS1_25partition_config_selectorILNS1_17partition_subalgoE0ExNS0_10empty_typeEbEEZZNS1_14partition_implILS5_0ELb0ES3_jN6thrust23THRUST_200600_302600_NS6detail15normal_iteratorINSA_10device_ptrIxEEEEPS6_SG_NS0_5tupleIJSF_NSA_16discard_iteratorINSA_11use_defaultEEEEEENSH_IJSG_SG_EEES6_PlJ7is_evenIxEEEE10hipError_tPvRmT3_T4_T5_T6_T7_T9_mT8_P12ihipStream_tbDpT10_ENKUlT_T0_E_clISt17integral_constantIbLb0EES18_IbLb1EEEEDaS14_S15_EUlS14_E_NS1_11comp_targetILNS1_3genE8ELNS1_11target_archE1030ELNS1_3gpuE2ELNS1_3repE0EEENS1_30default_config_static_selectorELNS0_4arch9wavefront6targetE1EEEvT1_,comdat
.Lfunc_end2650:
	.size	_ZN7rocprim17ROCPRIM_400000_NS6detail17trampoline_kernelINS0_14default_configENS1_25partition_config_selectorILNS1_17partition_subalgoE0ExNS0_10empty_typeEbEEZZNS1_14partition_implILS5_0ELb0ES3_jN6thrust23THRUST_200600_302600_NS6detail15normal_iteratorINSA_10device_ptrIxEEEEPS6_SG_NS0_5tupleIJSF_NSA_16discard_iteratorINSA_11use_defaultEEEEEENSH_IJSG_SG_EEES6_PlJ7is_evenIxEEEE10hipError_tPvRmT3_T4_T5_T6_T7_T9_mT8_P12ihipStream_tbDpT10_ENKUlT_T0_E_clISt17integral_constantIbLb0EES18_IbLb1EEEEDaS14_S15_EUlS14_E_NS1_11comp_targetILNS1_3genE8ELNS1_11target_archE1030ELNS1_3gpuE2ELNS1_3repE0EEENS1_30default_config_static_selectorELNS0_4arch9wavefront6targetE1EEEvT1_, .Lfunc_end2650-_ZN7rocprim17ROCPRIM_400000_NS6detail17trampoline_kernelINS0_14default_configENS1_25partition_config_selectorILNS1_17partition_subalgoE0ExNS0_10empty_typeEbEEZZNS1_14partition_implILS5_0ELb0ES3_jN6thrust23THRUST_200600_302600_NS6detail15normal_iteratorINSA_10device_ptrIxEEEEPS6_SG_NS0_5tupleIJSF_NSA_16discard_iteratorINSA_11use_defaultEEEEEENSH_IJSG_SG_EEES6_PlJ7is_evenIxEEEE10hipError_tPvRmT3_T4_T5_T6_T7_T9_mT8_P12ihipStream_tbDpT10_ENKUlT_T0_E_clISt17integral_constantIbLb0EES18_IbLb1EEEEDaS14_S15_EUlS14_E_NS1_11comp_targetILNS1_3genE8ELNS1_11target_archE1030ELNS1_3gpuE2ELNS1_3repE0EEENS1_30default_config_static_selectorELNS0_4arch9wavefront6targetE1EEEvT1_
                                        ; -- End function
	.section	.AMDGPU.csdata,"",@progbits
; Kernel info:
; codeLenInByte = 0
; NumSgprs: 6
; NumVgprs: 0
; NumAgprs: 0
; TotalNumVgprs: 0
; ScratchSize: 0
; MemoryBound: 0
; FloatMode: 240
; IeeeMode: 1
; LDSByteSize: 0 bytes/workgroup (compile time only)
; SGPRBlocks: 0
; VGPRBlocks: 0
; NumSGPRsForWavesPerEU: 6
; NumVGPRsForWavesPerEU: 1
; AccumOffset: 4
; Occupancy: 8
; WaveLimiterHint : 0
; COMPUTE_PGM_RSRC2:SCRATCH_EN: 0
; COMPUTE_PGM_RSRC2:USER_SGPR: 2
; COMPUTE_PGM_RSRC2:TRAP_HANDLER: 0
; COMPUTE_PGM_RSRC2:TGID_X_EN: 1
; COMPUTE_PGM_RSRC2:TGID_Y_EN: 0
; COMPUTE_PGM_RSRC2:TGID_Z_EN: 0
; COMPUTE_PGM_RSRC2:TIDIG_COMP_CNT: 0
; COMPUTE_PGM_RSRC3_GFX90A:ACCUM_OFFSET: 0
; COMPUTE_PGM_RSRC3_GFX90A:TG_SPLIT: 0
	.section	.text._ZN7rocprim17ROCPRIM_400000_NS6detail17trampoline_kernelINS0_14default_configENS1_25partition_config_selectorILNS1_17partition_subalgoE0ExNS0_10empty_typeEbEEZZNS1_14partition_implILS5_0ELb0ES3_jN6thrust23THRUST_200600_302600_NS6detail15normal_iteratorINSA_10device_ptrIxEEEEPS6_SG_NS0_5tupleIJNSA_16discard_iteratorINSA_11use_defaultEEESF_EEENSH_IJSG_SG_EEES6_PlJ7is_evenIxEEEE10hipError_tPvRmT3_T4_T5_T6_T7_T9_mT8_P12ihipStream_tbDpT10_ENKUlT_T0_E_clISt17integral_constantIbLb0EES19_EEDaS14_S15_EUlS14_E_NS1_11comp_targetILNS1_3genE0ELNS1_11target_archE4294967295ELNS1_3gpuE0ELNS1_3repE0EEENS1_30default_config_static_selectorELNS0_4arch9wavefront6targetE1EEEvT1_,"axG",@progbits,_ZN7rocprim17ROCPRIM_400000_NS6detail17trampoline_kernelINS0_14default_configENS1_25partition_config_selectorILNS1_17partition_subalgoE0ExNS0_10empty_typeEbEEZZNS1_14partition_implILS5_0ELb0ES3_jN6thrust23THRUST_200600_302600_NS6detail15normal_iteratorINSA_10device_ptrIxEEEEPS6_SG_NS0_5tupleIJNSA_16discard_iteratorINSA_11use_defaultEEESF_EEENSH_IJSG_SG_EEES6_PlJ7is_evenIxEEEE10hipError_tPvRmT3_T4_T5_T6_T7_T9_mT8_P12ihipStream_tbDpT10_ENKUlT_T0_E_clISt17integral_constantIbLb0EES19_EEDaS14_S15_EUlS14_E_NS1_11comp_targetILNS1_3genE0ELNS1_11target_archE4294967295ELNS1_3gpuE0ELNS1_3repE0EEENS1_30default_config_static_selectorELNS0_4arch9wavefront6targetE1EEEvT1_,comdat
	.protected	_ZN7rocprim17ROCPRIM_400000_NS6detail17trampoline_kernelINS0_14default_configENS1_25partition_config_selectorILNS1_17partition_subalgoE0ExNS0_10empty_typeEbEEZZNS1_14partition_implILS5_0ELb0ES3_jN6thrust23THRUST_200600_302600_NS6detail15normal_iteratorINSA_10device_ptrIxEEEEPS6_SG_NS0_5tupleIJNSA_16discard_iteratorINSA_11use_defaultEEESF_EEENSH_IJSG_SG_EEES6_PlJ7is_evenIxEEEE10hipError_tPvRmT3_T4_T5_T6_T7_T9_mT8_P12ihipStream_tbDpT10_ENKUlT_T0_E_clISt17integral_constantIbLb0EES19_EEDaS14_S15_EUlS14_E_NS1_11comp_targetILNS1_3genE0ELNS1_11target_archE4294967295ELNS1_3gpuE0ELNS1_3repE0EEENS1_30default_config_static_selectorELNS0_4arch9wavefront6targetE1EEEvT1_ ; -- Begin function _ZN7rocprim17ROCPRIM_400000_NS6detail17trampoline_kernelINS0_14default_configENS1_25partition_config_selectorILNS1_17partition_subalgoE0ExNS0_10empty_typeEbEEZZNS1_14partition_implILS5_0ELb0ES3_jN6thrust23THRUST_200600_302600_NS6detail15normal_iteratorINSA_10device_ptrIxEEEEPS6_SG_NS0_5tupleIJNSA_16discard_iteratorINSA_11use_defaultEEESF_EEENSH_IJSG_SG_EEES6_PlJ7is_evenIxEEEE10hipError_tPvRmT3_T4_T5_T6_T7_T9_mT8_P12ihipStream_tbDpT10_ENKUlT_T0_E_clISt17integral_constantIbLb0EES19_EEDaS14_S15_EUlS14_E_NS1_11comp_targetILNS1_3genE0ELNS1_11target_archE4294967295ELNS1_3gpuE0ELNS1_3repE0EEENS1_30default_config_static_selectorELNS0_4arch9wavefront6targetE1EEEvT1_
	.globl	_ZN7rocprim17ROCPRIM_400000_NS6detail17trampoline_kernelINS0_14default_configENS1_25partition_config_selectorILNS1_17partition_subalgoE0ExNS0_10empty_typeEbEEZZNS1_14partition_implILS5_0ELb0ES3_jN6thrust23THRUST_200600_302600_NS6detail15normal_iteratorINSA_10device_ptrIxEEEEPS6_SG_NS0_5tupleIJNSA_16discard_iteratorINSA_11use_defaultEEESF_EEENSH_IJSG_SG_EEES6_PlJ7is_evenIxEEEE10hipError_tPvRmT3_T4_T5_T6_T7_T9_mT8_P12ihipStream_tbDpT10_ENKUlT_T0_E_clISt17integral_constantIbLb0EES19_EEDaS14_S15_EUlS14_E_NS1_11comp_targetILNS1_3genE0ELNS1_11target_archE4294967295ELNS1_3gpuE0ELNS1_3repE0EEENS1_30default_config_static_selectorELNS0_4arch9wavefront6targetE1EEEvT1_
	.p2align	8
	.type	_ZN7rocprim17ROCPRIM_400000_NS6detail17trampoline_kernelINS0_14default_configENS1_25partition_config_selectorILNS1_17partition_subalgoE0ExNS0_10empty_typeEbEEZZNS1_14partition_implILS5_0ELb0ES3_jN6thrust23THRUST_200600_302600_NS6detail15normal_iteratorINSA_10device_ptrIxEEEEPS6_SG_NS0_5tupleIJNSA_16discard_iteratorINSA_11use_defaultEEESF_EEENSH_IJSG_SG_EEES6_PlJ7is_evenIxEEEE10hipError_tPvRmT3_T4_T5_T6_T7_T9_mT8_P12ihipStream_tbDpT10_ENKUlT_T0_E_clISt17integral_constantIbLb0EES19_EEDaS14_S15_EUlS14_E_NS1_11comp_targetILNS1_3genE0ELNS1_11target_archE4294967295ELNS1_3gpuE0ELNS1_3repE0EEENS1_30default_config_static_selectorELNS0_4arch9wavefront6targetE1EEEvT1_,@function
_ZN7rocprim17ROCPRIM_400000_NS6detail17trampoline_kernelINS0_14default_configENS1_25partition_config_selectorILNS1_17partition_subalgoE0ExNS0_10empty_typeEbEEZZNS1_14partition_implILS5_0ELb0ES3_jN6thrust23THRUST_200600_302600_NS6detail15normal_iteratorINSA_10device_ptrIxEEEEPS6_SG_NS0_5tupleIJNSA_16discard_iteratorINSA_11use_defaultEEESF_EEENSH_IJSG_SG_EEES6_PlJ7is_evenIxEEEE10hipError_tPvRmT3_T4_T5_T6_T7_T9_mT8_P12ihipStream_tbDpT10_ENKUlT_T0_E_clISt17integral_constantIbLb0EES19_EEDaS14_S15_EUlS14_E_NS1_11comp_targetILNS1_3genE0ELNS1_11target_archE4294967295ELNS1_3gpuE0ELNS1_3repE0EEENS1_30default_config_static_selectorELNS0_4arch9wavefront6targetE1EEEvT1_: ; @_ZN7rocprim17ROCPRIM_400000_NS6detail17trampoline_kernelINS0_14default_configENS1_25partition_config_selectorILNS1_17partition_subalgoE0ExNS0_10empty_typeEbEEZZNS1_14partition_implILS5_0ELb0ES3_jN6thrust23THRUST_200600_302600_NS6detail15normal_iteratorINSA_10device_ptrIxEEEEPS6_SG_NS0_5tupleIJNSA_16discard_iteratorINSA_11use_defaultEEESF_EEENSH_IJSG_SG_EEES6_PlJ7is_evenIxEEEE10hipError_tPvRmT3_T4_T5_T6_T7_T9_mT8_P12ihipStream_tbDpT10_ENKUlT_T0_E_clISt17integral_constantIbLb0EES19_EEDaS14_S15_EUlS14_E_NS1_11comp_targetILNS1_3genE0ELNS1_11target_archE4294967295ELNS1_3gpuE0ELNS1_3repE0EEENS1_30default_config_static_selectorELNS0_4arch9wavefront6targetE1EEEvT1_
; %bb.0:
	.section	.rodata,"a",@progbits
	.p2align	6, 0x0
	.amdhsa_kernel _ZN7rocprim17ROCPRIM_400000_NS6detail17trampoline_kernelINS0_14default_configENS1_25partition_config_selectorILNS1_17partition_subalgoE0ExNS0_10empty_typeEbEEZZNS1_14partition_implILS5_0ELb0ES3_jN6thrust23THRUST_200600_302600_NS6detail15normal_iteratorINSA_10device_ptrIxEEEEPS6_SG_NS0_5tupleIJNSA_16discard_iteratorINSA_11use_defaultEEESF_EEENSH_IJSG_SG_EEES6_PlJ7is_evenIxEEEE10hipError_tPvRmT3_T4_T5_T6_T7_T9_mT8_P12ihipStream_tbDpT10_ENKUlT_T0_E_clISt17integral_constantIbLb0EES19_EEDaS14_S15_EUlS14_E_NS1_11comp_targetILNS1_3genE0ELNS1_11target_archE4294967295ELNS1_3gpuE0ELNS1_3repE0EEENS1_30default_config_static_selectorELNS0_4arch9wavefront6targetE1EEEvT1_
		.amdhsa_group_segment_fixed_size 0
		.amdhsa_private_segment_fixed_size 0
		.amdhsa_kernarg_size 128
		.amdhsa_user_sgpr_count 2
		.amdhsa_user_sgpr_dispatch_ptr 0
		.amdhsa_user_sgpr_queue_ptr 0
		.amdhsa_user_sgpr_kernarg_segment_ptr 1
		.amdhsa_user_sgpr_dispatch_id 0
		.amdhsa_user_sgpr_kernarg_preload_length 0
		.amdhsa_user_sgpr_kernarg_preload_offset 0
		.amdhsa_user_sgpr_private_segment_size 0
		.amdhsa_uses_dynamic_stack 0
		.amdhsa_enable_private_segment 0
		.amdhsa_system_sgpr_workgroup_id_x 1
		.amdhsa_system_sgpr_workgroup_id_y 0
		.amdhsa_system_sgpr_workgroup_id_z 0
		.amdhsa_system_sgpr_workgroup_info 0
		.amdhsa_system_vgpr_workitem_id 0
		.amdhsa_next_free_vgpr 1
		.amdhsa_next_free_sgpr 0
		.amdhsa_accum_offset 4
		.amdhsa_reserve_vcc 0
		.amdhsa_float_round_mode_32 0
		.amdhsa_float_round_mode_16_64 0
		.amdhsa_float_denorm_mode_32 3
		.amdhsa_float_denorm_mode_16_64 3
		.amdhsa_dx10_clamp 1
		.amdhsa_ieee_mode 1
		.amdhsa_fp16_overflow 0
		.amdhsa_tg_split 0
		.amdhsa_exception_fp_ieee_invalid_op 0
		.amdhsa_exception_fp_denorm_src 0
		.amdhsa_exception_fp_ieee_div_zero 0
		.amdhsa_exception_fp_ieee_overflow 0
		.amdhsa_exception_fp_ieee_underflow 0
		.amdhsa_exception_fp_ieee_inexact 0
		.amdhsa_exception_int_div_zero 0
	.end_amdhsa_kernel
	.section	.text._ZN7rocprim17ROCPRIM_400000_NS6detail17trampoline_kernelINS0_14default_configENS1_25partition_config_selectorILNS1_17partition_subalgoE0ExNS0_10empty_typeEbEEZZNS1_14partition_implILS5_0ELb0ES3_jN6thrust23THRUST_200600_302600_NS6detail15normal_iteratorINSA_10device_ptrIxEEEEPS6_SG_NS0_5tupleIJNSA_16discard_iteratorINSA_11use_defaultEEESF_EEENSH_IJSG_SG_EEES6_PlJ7is_evenIxEEEE10hipError_tPvRmT3_T4_T5_T6_T7_T9_mT8_P12ihipStream_tbDpT10_ENKUlT_T0_E_clISt17integral_constantIbLb0EES19_EEDaS14_S15_EUlS14_E_NS1_11comp_targetILNS1_3genE0ELNS1_11target_archE4294967295ELNS1_3gpuE0ELNS1_3repE0EEENS1_30default_config_static_selectorELNS0_4arch9wavefront6targetE1EEEvT1_,"axG",@progbits,_ZN7rocprim17ROCPRIM_400000_NS6detail17trampoline_kernelINS0_14default_configENS1_25partition_config_selectorILNS1_17partition_subalgoE0ExNS0_10empty_typeEbEEZZNS1_14partition_implILS5_0ELb0ES3_jN6thrust23THRUST_200600_302600_NS6detail15normal_iteratorINSA_10device_ptrIxEEEEPS6_SG_NS0_5tupleIJNSA_16discard_iteratorINSA_11use_defaultEEESF_EEENSH_IJSG_SG_EEES6_PlJ7is_evenIxEEEE10hipError_tPvRmT3_T4_T5_T6_T7_T9_mT8_P12ihipStream_tbDpT10_ENKUlT_T0_E_clISt17integral_constantIbLb0EES19_EEDaS14_S15_EUlS14_E_NS1_11comp_targetILNS1_3genE0ELNS1_11target_archE4294967295ELNS1_3gpuE0ELNS1_3repE0EEENS1_30default_config_static_selectorELNS0_4arch9wavefront6targetE1EEEvT1_,comdat
.Lfunc_end2651:
	.size	_ZN7rocprim17ROCPRIM_400000_NS6detail17trampoline_kernelINS0_14default_configENS1_25partition_config_selectorILNS1_17partition_subalgoE0ExNS0_10empty_typeEbEEZZNS1_14partition_implILS5_0ELb0ES3_jN6thrust23THRUST_200600_302600_NS6detail15normal_iteratorINSA_10device_ptrIxEEEEPS6_SG_NS0_5tupleIJNSA_16discard_iteratorINSA_11use_defaultEEESF_EEENSH_IJSG_SG_EEES6_PlJ7is_evenIxEEEE10hipError_tPvRmT3_T4_T5_T6_T7_T9_mT8_P12ihipStream_tbDpT10_ENKUlT_T0_E_clISt17integral_constantIbLb0EES19_EEDaS14_S15_EUlS14_E_NS1_11comp_targetILNS1_3genE0ELNS1_11target_archE4294967295ELNS1_3gpuE0ELNS1_3repE0EEENS1_30default_config_static_selectorELNS0_4arch9wavefront6targetE1EEEvT1_, .Lfunc_end2651-_ZN7rocprim17ROCPRIM_400000_NS6detail17trampoline_kernelINS0_14default_configENS1_25partition_config_selectorILNS1_17partition_subalgoE0ExNS0_10empty_typeEbEEZZNS1_14partition_implILS5_0ELb0ES3_jN6thrust23THRUST_200600_302600_NS6detail15normal_iteratorINSA_10device_ptrIxEEEEPS6_SG_NS0_5tupleIJNSA_16discard_iteratorINSA_11use_defaultEEESF_EEENSH_IJSG_SG_EEES6_PlJ7is_evenIxEEEE10hipError_tPvRmT3_T4_T5_T6_T7_T9_mT8_P12ihipStream_tbDpT10_ENKUlT_T0_E_clISt17integral_constantIbLb0EES19_EEDaS14_S15_EUlS14_E_NS1_11comp_targetILNS1_3genE0ELNS1_11target_archE4294967295ELNS1_3gpuE0ELNS1_3repE0EEENS1_30default_config_static_selectorELNS0_4arch9wavefront6targetE1EEEvT1_
                                        ; -- End function
	.section	.AMDGPU.csdata,"",@progbits
; Kernel info:
; codeLenInByte = 0
; NumSgprs: 6
; NumVgprs: 0
; NumAgprs: 0
; TotalNumVgprs: 0
; ScratchSize: 0
; MemoryBound: 0
; FloatMode: 240
; IeeeMode: 1
; LDSByteSize: 0 bytes/workgroup (compile time only)
; SGPRBlocks: 0
; VGPRBlocks: 0
; NumSGPRsForWavesPerEU: 6
; NumVGPRsForWavesPerEU: 1
; AccumOffset: 4
; Occupancy: 8
; WaveLimiterHint : 0
; COMPUTE_PGM_RSRC2:SCRATCH_EN: 0
; COMPUTE_PGM_RSRC2:USER_SGPR: 2
; COMPUTE_PGM_RSRC2:TRAP_HANDLER: 0
; COMPUTE_PGM_RSRC2:TGID_X_EN: 1
; COMPUTE_PGM_RSRC2:TGID_Y_EN: 0
; COMPUTE_PGM_RSRC2:TGID_Z_EN: 0
; COMPUTE_PGM_RSRC2:TIDIG_COMP_CNT: 0
; COMPUTE_PGM_RSRC3_GFX90A:ACCUM_OFFSET: 0
; COMPUTE_PGM_RSRC3_GFX90A:TG_SPLIT: 0
	.section	.text._ZN7rocprim17ROCPRIM_400000_NS6detail17trampoline_kernelINS0_14default_configENS1_25partition_config_selectorILNS1_17partition_subalgoE0ExNS0_10empty_typeEbEEZZNS1_14partition_implILS5_0ELb0ES3_jN6thrust23THRUST_200600_302600_NS6detail15normal_iteratorINSA_10device_ptrIxEEEEPS6_SG_NS0_5tupleIJNSA_16discard_iteratorINSA_11use_defaultEEESF_EEENSH_IJSG_SG_EEES6_PlJ7is_evenIxEEEE10hipError_tPvRmT3_T4_T5_T6_T7_T9_mT8_P12ihipStream_tbDpT10_ENKUlT_T0_E_clISt17integral_constantIbLb0EES19_EEDaS14_S15_EUlS14_E_NS1_11comp_targetILNS1_3genE5ELNS1_11target_archE942ELNS1_3gpuE9ELNS1_3repE0EEENS1_30default_config_static_selectorELNS0_4arch9wavefront6targetE1EEEvT1_,"axG",@progbits,_ZN7rocprim17ROCPRIM_400000_NS6detail17trampoline_kernelINS0_14default_configENS1_25partition_config_selectorILNS1_17partition_subalgoE0ExNS0_10empty_typeEbEEZZNS1_14partition_implILS5_0ELb0ES3_jN6thrust23THRUST_200600_302600_NS6detail15normal_iteratorINSA_10device_ptrIxEEEEPS6_SG_NS0_5tupleIJNSA_16discard_iteratorINSA_11use_defaultEEESF_EEENSH_IJSG_SG_EEES6_PlJ7is_evenIxEEEE10hipError_tPvRmT3_T4_T5_T6_T7_T9_mT8_P12ihipStream_tbDpT10_ENKUlT_T0_E_clISt17integral_constantIbLb0EES19_EEDaS14_S15_EUlS14_E_NS1_11comp_targetILNS1_3genE5ELNS1_11target_archE942ELNS1_3gpuE9ELNS1_3repE0EEENS1_30default_config_static_selectorELNS0_4arch9wavefront6targetE1EEEvT1_,comdat
	.protected	_ZN7rocprim17ROCPRIM_400000_NS6detail17trampoline_kernelINS0_14default_configENS1_25partition_config_selectorILNS1_17partition_subalgoE0ExNS0_10empty_typeEbEEZZNS1_14partition_implILS5_0ELb0ES3_jN6thrust23THRUST_200600_302600_NS6detail15normal_iteratorINSA_10device_ptrIxEEEEPS6_SG_NS0_5tupleIJNSA_16discard_iteratorINSA_11use_defaultEEESF_EEENSH_IJSG_SG_EEES6_PlJ7is_evenIxEEEE10hipError_tPvRmT3_T4_T5_T6_T7_T9_mT8_P12ihipStream_tbDpT10_ENKUlT_T0_E_clISt17integral_constantIbLb0EES19_EEDaS14_S15_EUlS14_E_NS1_11comp_targetILNS1_3genE5ELNS1_11target_archE942ELNS1_3gpuE9ELNS1_3repE0EEENS1_30default_config_static_selectorELNS0_4arch9wavefront6targetE1EEEvT1_ ; -- Begin function _ZN7rocprim17ROCPRIM_400000_NS6detail17trampoline_kernelINS0_14default_configENS1_25partition_config_selectorILNS1_17partition_subalgoE0ExNS0_10empty_typeEbEEZZNS1_14partition_implILS5_0ELb0ES3_jN6thrust23THRUST_200600_302600_NS6detail15normal_iteratorINSA_10device_ptrIxEEEEPS6_SG_NS0_5tupleIJNSA_16discard_iteratorINSA_11use_defaultEEESF_EEENSH_IJSG_SG_EEES6_PlJ7is_evenIxEEEE10hipError_tPvRmT3_T4_T5_T6_T7_T9_mT8_P12ihipStream_tbDpT10_ENKUlT_T0_E_clISt17integral_constantIbLb0EES19_EEDaS14_S15_EUlS14_E_NS1_11comp_targetILNS1_3genE5ELNS1_11target_archE942ELNS1_3gpuE9ELNS1_3repE0EEENS1_30default_config_static_selectorELNS0_4arch9wavefront6targetE1EEEvT1_
	.globl	_ZN7rocprim17ROCPRIM_400000_NS6detail17trampoline_kernelINS0_14default_configENS1_25partition_config_selectorILNS1_17partition_subalgoE0ExNS0_10empty_typeEbEEZZNS1_14partition_implILS5_0ELb0ES3_jN6thrust23THRUST_200600_302600_NS6detail15normal_iteratorINSA_10device_ptrIxEEEEPS6_SG_NS0_5tupleIJNSA_16discard_iteratorINSA_11use_defaultEEESF_EEENSH_IJSG_SG_EEES6_PlJ7is_evenIxEEEE10hipError_tPvRmT3_T4_T5_T6_T7_T9_mT8_P12ihipStream_tbDpT10_ENKUlT_T0_E_clISt17integral_constantIbLb0EES19_EEDaS14_S15_EUlS14_E_NS1_11comp_targetILNS1_3genE5ELNS1_11target_archE942ELNS1_3gpuE9ELNS1_3repE0EEENS1_30default_config_static_selectorELNS0_4arch9wavefront6targetE1EEEvT1_
	.p2align	8
	.type	_ZN7rocprim17ROCPRIM_400000_NS6detail17trampoline_kernelINS0_14default_configENS1_25partition_config_selectorILNS1_17partition_subalgoE0ExNS0_10empty_typeEbEEZZNS1_14partition_implILS5_0ELb0ES3_jN6thrust23THRUST_200600_302600_NS6detail15normal_iteratorINSA_10device_ptrIxEEEEPS6_SG_NS0_5tupleIJNSA_16discard_iteratorINSA_11use_defaultEEESF_EEENSH_IJSG_SG_EEES6_PlJ7is_evenIxEEEE10hipError_tPvRmT3_T4_T5_T6_T7_T9_mT8_P12ihipStream_tbDpT10_ENKUlT_T0_E_clISt17integral_constantIbLb0EES19_EEDaS14_S15_EUlS14_E_NS1_11comp_targetILNS1_3genE5ELNS1_11target_archE942ELNS1_3gpuE9ELNS1_3repE0EEENS1_30default_config_static_selectorELNS0_4arch9wavefront6targetE1EEEvT1_,@function
_ZN7rocprim17ROCPRIM_400000_NS6detail17trampoline_kernelINS0_14default_configENS1_25partition_config_selectorILNS1_17partition_subalgoE0ExNS0_10empty_typeEbEEZZNS1_14partition_implILS5_0ELb0ES3_jN6thrust23THRUST_200600_302600_NS6detail15normal_iteratorINSA_10device_ptrIxEEEEPS6_SG_NS0_5tupleIJNSA_16discard_iteratorINSA_11use_defaultEEESF_EEENSH_IJSG_SG_EEES6_PlJ7is_evenIxEEEE10hipError_tPvRmT3_T4_T5_T6_T7_T9_mT8_P12ihipStream_tbDpT10_ENKUlT_T0_E_clISt17integral_constantIbLb0EES19_EEDaS14_S15_EUlS14_E_NS1_11comp_targetILNS1_3genE5ELNS1_11target_archE942ELNS1_3gpuE9ELNS1_3repE0EEENS1_30default_config_static_selectorELNS0_4arch9wavefront6targetE1EEEvT1_: ; @_ZN7rocprim17ROCPRIM_400000_NS6detail17trampoline_kernelINS0_14default_configENS1_25partition_config_selectorILNS1_17partition_subalgoE0ExNS0_10empty_typeEbEEZZNS1_14partition_implILS5_0ELb0ES3_jN6thrust23THRUST_200600_302600_NS6detail15normal_iteratorINSA_10device_ptrIxEEEEPS6_SG_NS0_5tupleIJNSA_16discard_iteratorINSA_11use_defaultEEESF_EEENSH_IJSG_SG_EEES6_PlJ7is_evenIxEEEE10hipError_tPvRmT3_T4_T5_T6_T7_T9_mT8_P12ihipStream_tbDpT10_ENKUlT_T0_E_clISt17integral_constantIbLb0EES19_EEDaS14_S15_EUlS14_E_NS1_11comp_targetILNS1_3genE5ELNS1_11target_archE942ELNS1_3gpuE9ELNS1_3repE0EEENS1_30default_config_static_selectorELNS0_4arch9wavefront6targetE1EEEvT1_
; %bb.0:
	s_load_dwordx2 s[4:5], s[0:1], 0x60
	s_load_dwordx4 s[20:23], s[0:1], 0x8
	s_load_dwordx4 s[24:27], s[0:1], 0x50
	s_load_dword s3, s[0:1], 0x78
	s_mul_i32 s8, s2, 0xe00
	s_waitcnt lgkmcnt(0)
	v_mov_b32_e32 v3, s5
	s_lshl_b64 s[6:7], s[22:23], 3
	s_add_u32 s10, s20, s6
	s_addc_u32 s11, s21, s7
	s_add_i32 s6, s3, -1
	s_mulk_i32 s3, 0xe00
	s_add_i32 s5, s3, s22
	s_sub_i32 s33, s4, s5
	s_addk_i32 s33, 0xe00
	v_mov_b32_e32 v2, s4
	s_add_u32 s4, s22, s3
	s_addc_u32 s5, s23, 0
	s_cmp_eq_u32 s2, s6
	s_load_dwordx2 s[28:29], s[26:27], 0x0
	s_cselect_b64 s[26:27], -1, 0
	s_cmp_lg_u32 s2, s6
	s_mov_b32 s9, 0
	v_cmp_lt_u64_e32 vcc, s[4:5], v[2:3]
	s_cselect_b64 s[4:5], -1, 0
	s_or_b64 s[6:7], s[4:5], vcc
	s_lshl_b64 s[30:31], s[8:9], 3
	s_add_u32 s8, s10, s30
	s_addc_u32 s9, s11, s31
	s_mov_b64 s[4:5], -1
	s_and_b64 vcc, exec, s[6:7]
	v_lshlrev_b32_e32 v18, 3, v0
	s_cbranch_vccz .LBB2652_2
; %bb.1:
	v_mov_b32_e32 v19, 0
	v_lshl_add_u64 v[2:3], s[8:9], 0, v[18:19]
	v_add_co_u32_e32 v4, vcc, 0x1000, v2
	s_mov_b64 s[4:5], 0
	s_nop 0
	v_addc_co_u32_e32 v5, vcc, 0, v3, vcc
	v_add_co_u32_e32 v6, vcc, 0x2000, v2
	s_nop 1
	v_addc_co_u32_e32 v7, vcc, 0, v3, vcc
	v_add_co_u32_e32 v8, vcc, 0x3000, v2
	s_nop 1
	v_addc_co_u32_e32 v9, vcc, 0, v3, vcc
	flat_load_dwordx2 v[10:11], v[2:3]
	flat_load_dwordx2 v[12:13], v[4:5]
	flat_load_dwordx2 v[14:15], v[6:7]
	flat_load_dwordx2 v[16:17], v[8:9]
	v_add_co_u32_e32 v4, vcc, 0x4000, v2
	s_nop 1
	v_addc_co_u32_e32 v5, vcc, 0, v3, vcc
	v_add_co_u32_e32 v6, vcc, 0x5000, v2
	s_nop 1
	v_addc_co_u32_e32 v7, vcc, 0, v3, vcc
	;; [unrolled: 3-line block ×3, first 2 shown]
	flat_load_dwordx2 v[8:9], v[4:5]
	flat_load_dwordx2 v[20:21], v[6:7]
	flat_load_dwordx2 v[22:23], v[2:3]
	s_waitcnt vmcnt(0) lgkmcnt(0)
	ds_write2st64_b64 v18, v[10:11], v[12:13] offset1:8
	ds_write2st64_b64 v18, v[14:15], v[16:17] offset0:16 offset1:24
	ds_write2st64_b64 v18, v[8:9], v[20:21] offset0:32 offset1:40
	ds_write_b64 v18, v[22:23] offset:24576
	s_waitcnt lgkmcnt(0)
	s_barrier
.LBB2652_2:
	s_andn2_b64 vcc, exec, s[4:5]
	v_cmp_gt_u32_e64 s[4:5], s33, v0
	s_cbranch_vccnz .LBB2652_18
; %bb.3:
                                        ; implicit-def: $vgpr2_vgpr3_vgpr4_vgpr5_vgpr6_vgpr7_vgpr8_vgpr9_vgpr10_vgpr11_vgpr12_vgpr13_vgpr14_vgpr15_vgpr16_vgpr17
	s_and_saveexec_b64 s[10:11], s[4:5]
	s_cbranch_execz .LBB2652_5
; %bb.4:
	v_mov_b32_e32 v19, 0
	v_lshl_add_u64 v[2:3], s[8:9], 0, v[18:19]
	flat_load_dwordx2 v[2:3], v[2:3]
.LBB2652_5:
	s_or_b64 exec, exec, s[10:11]
	v_or_b32_e32 v1, 0x200, v0
	v_cmp_gt_u32_e32 vcc, s33, v1
	s_and_saveexec_b64 s[4:5], vcc
	s_cbranch_execz .LBB2652_7
; %bb.6:
	v_lshlrev_b32_e32 v4, 3, v1
	v_mov_b32_e32 v5, 0
	v_lshl_add_u64 v[4:5], s[8:9], 0, v[4:5]
	flat_load_dwordx2 v[4:5], v[4:5]
.LBB2652_7:
	s_or_b64 exec, exec, s[4:5]
	v_or_b32_e32 v1, 0x400, v0
	v_cmp_gt_u32_e32 vcc, s33, v1
	s_and_saveexec_b64 s[4:5], vcc
	s_cbranch_execz .LBB2652_9
; %bb.8:
	v_lshlrev_b32_e32 v6, 3, v1
	v_mov_b32_e32 v7, 0
	v_lshl_add_u64 v[6:7], s[8:9], 0, v[6:7]
	flat_load_dwordx2 v[6:7], v[6:7]
.LBB2652_9:
	;; [unrolled: 11-line block ×6, first 2 shown]
	s_or_b64 exec, exec, s[4:5]
	s_waitcnt vmcnt(0) lgkmcnt(0)
	ds_write2st64_b64 v18, v[2:3], v[4:5] offset1:8
	ds_write2st64_b64 v18, v[6:7], v[8:9] offset0:16 offset1:24
	ds_write2st64_b64 v18, v[10:11], v[12:13] offset0:32 offset1:40
	ds_write_b64 v18, v[14:15] offset:24576
	s_waitcnt lgkmcnt(0)
	s_barrier
.LBB2652_18:
	v_mul_u32_u24_e32 v1, 7, v0
	v_lshlrev_b32_e32 v32, 3, v1
	s_waitcnt lgkmcnt(0)
	ds_read2_b64 v[10:13], v32 offset1:1
	ds_read2_b64 v[6:9], v32 offset0:2 offset1:3
	ds_read2_b64 v[2:5], v32 offset0:4 offset1:5
	ds_read_b64 v[14:15], v32 offset:48
	v_cndmask_b32_e64 v16, 0, 1, s[6:7]
	v_cmp_ne_u32_e64 s[20:21], 1, v16
	s_andn2_b64 vcc, exec, s[6:7]
	s_waitcnt lgkmcnt(3)
	v_xor_b32_e32 v24, -1, v10
	v_xor_b32_e32 v23, -1, v12
	s_waitcnt lgkmcnt(2)
	v_xor_b32_e32 v22, -1, v6
	v_xor_b32_e32 v21, -1, v8
	s_waitcnt lgkmcnt(1)
	v_xor_b32_e32 v20, -1, v2
	v_xor_b32_e32 v17, -1, v4
	s_waitcnt lgkmcnt(0)
	v_xor_b32_e32 v16, -1, v14
	s_barrier
	s_cbranch_vccnz .LBB2652_20
; %bb.19:
	v_mov_b32_e32 v19, 1
	v_and_b32_e32 v25, 1, v24
	v_and_b32_sdwa v26, v23, v19 dst_sel:BYTE_1 dst_unused:UNUSED_PAD src0_sel:DWORD src1_sel:DWORD
	v_and_b32_e32 v27, 1, v22
	v_and_b32_sdwa v30, v21, v19 dst_sel:BYTE_1 dst_unused:UNUSED_PAD src0_sel:DWORD src1_sel:DWORD
	v_or_b32_e32 v25, v25, v26
	v_or_b32_sdwa v26, v27, v30 dst_sel:WORD_1 dst_unused:UNUSED_PAD src0_sel:DWORD src1_sel:DWORD
	v_and_b32_e32 v29, 1, v20
	v_and_b32_e32 v28, 1, v17
	;; [unrolled: 1-line block ×3, first 2 shown]
	v_or_b32_sdwa v30, v25, v26 dst_sel:DWORD dst_unused:UNUSED_PAD src0_sel:WORD_0 src1_sel:DWORD
	s_load_dwordx2 s[34:35], s[0:1], 0x70
	s_cbranch_execz .LBB2652_21
	s_branch .LBB2652_22
.LBB2652_20:
                                        ; implicit-def: $vgpr19
                                        ; implicit-def: $vgpr28
                                        ; implicit-def: $vgpr29
                                        ; implicit-def: $vgpr30
	s_load_dwordx2 s[34:35], s[0:1], 0x70
.LBB2652_21:
	v_add_u32_e32 v19, 1, v1
	v_cmp_gt_u32_e32 vcc, s33, v1
	v_add_u32_e32 v25, 2, v1
	v_add_u32_e32 v26, 3, v1
	v_cndmask_b32_e64 v29, 0, 1, vcc
	v_cmp_gt_u32_e32 vcc, s33, v19
	v_add_u32_e32 v27, 4, v1
	v_add_u32_e32 v28, 5, v1
	v_cndmask_b32_e64 v19, 0, 1, vcc
	v_cmp_gt_u32_e32 vcc, s33, v25
	v_and_b32_sdwa v23, v19, v23 dst_sel:BYTE_1 dst_unused:UNUSED_PAD src0_sel:DWORD src1_sel:DWORD
	v_add_u32_e32 v30, 6, v1
	v_cndmask_b32_e64 v19, 0, 1, vcc
	v_cmp_gt_u32_e32 vcc, s33, v26
	v_and_b32_e32 v22, v19, v22
	v_and_b32_e32 v24, v29, v24
	v_cndmask_b32_e64 v19, 0, 1, vcc
	v_cmp_gt_u32_e32 vcc, s33, v27
	v_and_b32_sdwa v21, v19, v21 dst_sel:BYTE_1 dst_unused:UNUSED_PAD src0_sel:DWORD src1_sel:DWORD
	s_nop 0
	v_cndmask_b32_e64 v19, 0, 1, vcc
	v_cmp_gt_u32_e32 vcc, s33, v28
	v_and_b32_e32 v29, v19, v20
	s_nop 0
	v_cndmask_b32_e64 v19, 0, 1, vcc
	v_cmp_gt_u32_e32 vcc, s33, v30
	v_and_b32_e32 v28, v19, v17
	s_nop 0
	v_cndmask_b32_e64 v17, 0, 1, vcc
	v_and_b32_e32 v19, v17, v16
	v_or_b32_e32 v16, v24, v23
	v_or_b32_sdwa v17, v22, v21 dst_sel:WORD_1 dst_unused:UNUSED_PAD src0_sel:DWORD src1_sel:DWORD
	s_nop 0
	v_or_b32_sdwa v30, v16, v17 dst_sel:DWORD dst_unused:UNUSED_PAD src0_sel:WORD_0 src1_sel:DWORD
.LBB2652_22:
	v_and_b32_e32 v33, 0xff, v30
	v_bfe_u32 v34, v30, 8, 8
	v_bfe_u32 v35, v30, 16, 8
	v_lshrrev_b32_e32 v31, 24, v30
	v_and_b32_e32 v36, 0xff, v29
	v_add3_u32 v17, v34, v33, v35
	v_and_b32_e32 v37, 0xff, v28
	v_and_b32_e32 v16, 0xff, v19
	v_add3_u32 v17, v17, v31, v36
	v_add3_u32 v40, v17, v37, v16
	v_mbcnt_lo_u32_b32 v16, -1, 0
	v_mbcnt_hi_u32_b32 v38, -1, v16
	v_and_b32_e32 v16, 15, v38
	v_cmp_eq_u32_e64 s[16:17], 0, v16
	v_cmp_lt_u32_e64 s[14:15], 1, v16
	v_cmp_lt_u32_e64 s[12:13], 3, v16
	v_cmp_lt_u32_e64 s[10:11], 7, v16
	v_and_b32_e32 v16, 16, v38
	v_cmp_eq_u32_e64 s[8:9], 0, v16
	v_or_b32_e32 v16, 63, v0
	s_cmp_lg_u32 s2, 0
	v_cmp_lt_u32_e64 s[4:5], 31, v38
	v_lshrrev_b32_e32 v39, 6, v0
	v_cmp_eq_u32_e64 s[6:7], v16, v0
	s_cbranch_scc0 .LBB2652_49
; %bb.23:
	v_mov_b32_dpp v16, v40 row_shr:1 row_mask:0xf bank_mask:0xf
	v_cndmask_b32_e64 v16, v16, 0, s[16:17]
	v_add_u32_e32 v16, v16, v40
	s_nop 1
	v_mov_b32_dpp v17, v16 row_shr:2 row_mask:0xf bank_mask:0xf
	v_cndmask_b32_e64 v17, 0, v17, s[14:15]
	v_add_u32_e32 v16, v16, v17
	s_nop 1
	v_mov_b32_dpp v17, v16 row_shr:4 row_mask:0xf bank_mask:0xf
	v_cndmask_b32_e64 v17, 0, v17, s[12:13]
	v_add_u32_e32 v16, v16, v17
	s_nop 1
	v_mov_b32_dpp v17, v16 row_shr:8 row_mask:0xf bank_mask:0xf
	v_cndmask_b32_e64 v17, 0, v17, s[10:11]
	v_add_u32_e32 v16, v16, v17
	s_nop 1
	v_mov_b32_dpp v17, v16 row_bcast:15 row_mask:0xf bank_mask:0xf
	v_cndmask_b32_e64 v17, v17, 0, s[8:9]
	v_add_u32_e32 v16, v16, v17
	s_nop 1
	v_mov_b32_dpp v17, v16 row_bcast:31 row_mask:0xf bank_mask:0xf
	v_cndmask_b32_e64 v17, 0, v17, s[4:5]
	v_add_u32_e32 v16, v16, v17
	s_and_saveexec_b64 s[18:19], s[6:7]
	s_cbranch_execz .LBB2652_25
; %bb.24:
	v_lshlrev_b32_e32 v17, 2, v39
	ds_write_b32 v17, v16
.LBB2652_25:
	s_or_b64 exec, exec, s[18:19]
	v_cmp_gt_u32_e32 vcc, 8, v0
	s_waitcnt lgkmcnt(0)
	s_barrier
	s_and_saveexec_b64 s[18:19], vcc
	s_cbranch_execz .LBB2652_27
; %bb.26:
	v_lshlrev_b32_e32 v17, 2, v0
	ds_read_b32 v20, v17
	v_and_b32_e32 v21, 7, v38
	v_cmp_ne_u32_e32 vcc, 0, v21
	s_waitcnt lgkmcnt(0)
	v_mov_b32_dpp v22, v20 row_shr:1 row_mask:0xf bank_mask:0xf
	v_cndmask_b32_e32 v22, 0, v22, vcc
	v_add_u32_e32 v20, v22, v20
	v_cmp_lt_u32_e32 vcc, 1, v21
	s_nop 0
	v_mov_b32_dpp v22, v20 row_shr:2 row_mask:0xf bank_mask:0xf
	v_cndmask_b32_e32 v22, 0, v22, vcc
	v_add_u32_e32 v20, v20, v22
	v_cmp_lt_u32_e32 vcc, 3, v21
	s_nop 0
	v_mov_b32_dpp v22, v20 row_shr:4 row_mask:0xf bank_mask:0xf
	v_cndmask_b32_e32 v21, 0, v22, vcc
	v_add_u32_e32 v20, v20, v21
	ds_write_b32 v17, v20
.LBB2652_27:
	s_or_b64 exec, exec, s[18:19]
	v_cmp_gt_u32_e32 vcc, 64, v0
	v_cmp_lt_u32_e64 s[18:19], 63, v0
	s_waitcnt lgkmcnt(0)
	s_barrier
	s_waitcnt lgkmcnt(0)
                                        ; implicit-def: $vgpr41
	s_and_saveexec_b64 s[36:37], s[18:19]
	s_cbranch_execz .LBB2652_29
; %bb.28:
	v_lshl_add_u32 v17, v39, 2, -4
	ds_read_b32 v41, v17
	s_waitcnt lgkmcnt(0)
	v_add_u32_e32 v16, v41, v16
.LBB2652_29:
	s_or_b64 exec, exec, s[36:37]
	v_add_u32_e32 v17, -1, v38
	v_and_b32_e32 v20, 64, v38
	v_cmp_lt_i32_e64 s[18:19], v17, v20
	s_nop 1
	v_cndmask_b32_e64 v17, v17, v38, s[18:19]
	v_lshlrev_b32_e32 v17, 2, v17
	ds_bpermute_b32 v42, v17, v16
	v_cmp_eq_u32_e64 s[18:19], 0, v38
	s_and_saveexec_b64 s[36:37], vcc
	s_cbranch_execz .LBB2652_48
; %bb.30:
	v_mov_b32_e32 v25, 0
	ds_read_b32 v16, v25 offset:28
	s_and_saveexec_b64 s[38:39], s[18:19]
	s_cbranch_execz .LBB2652_32
; %bb.31:
	s_add_i32 s40, s2, 64
	s_mov_b32 s41, 0
	s_lshl_b64 s[40:41], s[40:41], 3
	s_add_u32 s40, s34, s40
	v_mov_b32_e32 v17, 1
	s_addc_u32 s41, s35, s41
	s_waitcnt lgkmcnt(0)
	global_store_dwordx2 v25, v[16:17], s[40:41] sc1
.LBB2652_32:
	s_or_b64 exec, exec, s[38:39]
	v_xad_u32 v20, v38, -1, s2
	v_add_u32_e32 v24, 64, v20
	v_lshl_add_u64 v[26:27], v[24:25], 3, s[34:35]
	global_load_dwordx2 v[22:23], v[26:27], off sc1
	s_waitcnt vmcnt(0)
	v_cmp_eq_u16_sdwa s[40:41], v23, v25 src0_sel:BYTE_0 src1_sel:DWORD
	s_and_saveexec_b64 s[38:39], s[40:41]
	s_cbranch_execz .LBB2652_36
; %bb.33:
	s_mov_b64 s[40:41], 0
	v_mov_b32_e32 v17, 0
.LBB2652_34:                            ; =>This Inner Loop Header: Depth=1
	global_load_dwordx2 v[22:23], v[26:27], off sc1
	s_waitcnt vmcnt(0)
	v_cmp_ne_u16_sdwa s[42:43], v23, v17 src0_sel:BYTE_0 src1_sel:DWORD
	s_or_b64 s[40:41], s[42:43], s[40:41]
	s_andn2_b64 exec, exec, s[40:41]
	s_cbranch_execnz .LBB2652_34
; %bb.35:
	s_or_b64 exec, exec, s[40:41]
.LBB2652_36:
	s_or_b64 exec, exec, s[38:39]
	v_and_b32_e32 v44, 63, v38
	v_mov_b32_e32 v43, 2
	v_cmp_ne_u32_e32 vcc, 63, v44
	v_cmp_eq_u16_sdwa s[38:39], v23, v43 src0_sel:BYTE_0 src1_sel:DWORD
	v_lshlrev_b64 v[24:25], v38, -1
	v_addc_co_u32_e32 v26, vcc, 0, v38, vcc
	v_and_b32_e32 v17, s39, v25
	v_lshlrev_b32_e32 v45, 2, v26
	v_or_b32_e32 v17, 0x80000000, v17
	ds_bpermute_b32 v26, v45, v22
	v_and_b32_e32 v21, s38, v24
	v_ffbl_b32_e32 v17, v17
	v_add_u32_e32 v17, 32, v17
	v_ffbl_b32_e32 v21, v21
	v_min_u32_e32 v17, v21, v17
	v_cmp_lt_u32_e32 vcc, v44, v17
	v_add_u32_e32 v47, 2, v44
	v_add_u32_e32 v49, 4, v44
	s_waitcnt lgkmcnt(0)
	v_cndmask_b32_e32 v21, 0, v26, vcc
	v_cmp_gt_u32_e32 vcc, 62, v44
	v_add_u32_e32 v21, v21, v22
	v_add_u32_e32 v51, 8, v44
	v_cndmask_b32_e64 v22, 0, 1, vcc
	v_lshlrev_b32_e32 v22, 1, v22
	v_add_lshl_u32 v46, v22, v38, 2
	ds_bpermute_b32 v22, v46, v21
	v_cmp_le_u32_e32 vcc, v47, v17
	v_add_u32_e32 v53, 16, v44
	v_add_u32_e32 v55, 32, v44
	s_waitcnt lgkmcnt(0)
	v_cndmask_b32_e32 v22, 0, v22, vcc
	v_cmp_gt_u32_e32 vcc, 60, v44
	v_add_u32_e32 v21, v21, v22
	s_nop 0
	v_cndmask_b32_e64 v22, 0, 1, vcc
	v_lshlrev_b32_e32 v22, 2, v22
	v_add_lshl_u32 v48, v22, v38, 2
	ds_bpermute_b32 v22, v48, v21
	v_cmp_le_u32_e32 vcc, v49, v17
	s_waitcnt lgkmcnt(0)
	s_nop 0
	v_cndmask_b32_e32 v22, 0, v22, vcc
	v_cmp_gt_u32_e32 vcc, 56, v44
	v_add_u32_e32 v21, v21, v22
	s_nop 0
	v_cndmask_b32_e64 v22, 0, 1, vcc
	v_lshlrev_b32_e32 v22, 3, v22
	v_add_lshl_u32 v50, v22, v38, 2
	ds_bpermute_b32 v22, v50, v21
	v_cmp_le_u32_e32 vcc, v51, v17
	s_waitcnt lgkmcnt(0)
	s_nop 0
	;; [unrolled: 11-line block ×4, first 2 shown]
	v_cndmask_b32_e32 v17, 0, v22, vcc
	v_add_u32_e32 v22, v21, v17
	v_mov_b32_e32 v21, 0
	s_branch .LBB2652_38
.LBB2652_37:                            ;   in Loop: Header=BB2652_38 Depth=1
	s_or_b64 exec, exec, s[38:39]
	v_cmp_eq_u16_sdwa s[38:39], v23, v43 src0_sel:BYTE_0 src1_sel:DWORD
	ds_bpermute_b32 v56, v45, v22
	v_subrev_u32_e32 v20, 64, v20
	v_and_b32_e32 v26, s39, v25
	v_or_b32_e32 v26, 0x80000000, v26
	v_and_b32_e32 v27, s38, v24
	v_ffbl_b32_e32 v26, v26
	v_add_u32_e32 v26, 32, v26
	v_ffbl_b32_e32 v27, v27
	v_min_u32_e32 v26, v27, v26
	v_cmp_lt_u32_e32 vcc, v44, v26
	s_waitcnt lgkmcnt(0)
	s_nop 0
	v_cndmask_b32_e32 v27, 0, v56, vcc
	v_add_u32_e32 v22, v27, v22
	ds_bpermute_b32 v27, v46, v22
	v_cmp_le_u32_e32 vcc, v47, v26
	s_waitcnt lgkmcnt(0)
	s_nop 0
	v_cndmask_b32_e32 v27, 0, v27, vcc
	v_add_u32_e32 v22, v22, v27
	ds_bpermute_b32 v27, v48, v22
	v_cmp_le_u32_e32 vcc, v49, v26
	;; [unrolled: 6-line block ×5, first 2 shown]
	s_waitcnt lgkmcnt(0)
	s_nop 0
	v_cndmask_b32_e32 v26, 0, v27, vcc
	v_add3_u32 v22, v26, v17, v22
.LBB2652_38:                            ; =>This Loop Header: Depth=1
                                        ;     Child Loop BB2652_41 Depth 2
	v_cmp_ne_u16_sdwa s[38:39], v23, v43 src0_sel:BYTE_0 src1_sel:DWORD
	s_nop 1
	v_cndmask_b32_e64 v17, 0, 1, s[38:39]
	;;#ASMSTART
	;;#ASMEND
	s_nop 0
	v_cmp_ne_u32_e32 vcc, 0, v17
	s_cmp_lg_u64 vcc, exec
	v_mov_b32_e32 v17, v22
	s_cbranch_scc1 .LBB2652_43
; %bb.39:                               ;   in Loop: Header=BB2652_38 Depth=1
	v_lshl_add_u64 v[26:27], v[20:21], 3, s[34:35]
	global_load_dwordx2 v[22:23], v[26:27], off sc1
	s_waitcnt vmcnt(0)
	v_cmp_eq_u16_sdwa s[40:41], v23, v21 src0_sel:BYTE_0 src1_sel:DWORD
	s_and_saveexec_b64 s[38:39], s[40:41]
	s_cbranch_execz .LBB2652_37
; %bb.40:                               ;   in Loop: Header=BB2652_38 Depth=1
	s_mov_b64 s[40:41], 0
.LBB2652_41:                            ;   Parent Loop BB2652_38 Depth=1
                                        ; =>  This Inner Loop Header: Depth=2
	global_load_dwordx2 v[22:23], v[26:27], off sc1
	s_waitcnt vmcnt(0)
	v_cmp_ne_u16_sdwa s[42:43], v23, v21 src0_sel:BYTE_0 src1_sel:DWORD
	s_or_b64 s[40:41], s[42:43], s[40:41]
	s_andn2_b64 exec, exec, s[40:41]
	s_cbranch_execnz .LBB2652_41
; %bb.42:                               ;   in Loop: Header=BB2652_38 Depth=1
	s_or_b64 exec, exec, s[40:41]
	s_branch .LBB2652_37
.LBB2652_43:                            ;   in Loop: Header=BB2652_38 Depth=1
                                        ; implicit-def: $vgpr22
                                        ; implicit-def: $vgpr23
	s_cbranch_execz .LBB2652_38
; %bb.44:
	s_and_saveexec_b64 s[38:39], s[18:19]
	s_cbranch_execz .LBB2652_46
; %bb.45:
	s_add_i32 s2, s2, 64
	s_mov_b32 s3, 0
	s_lshl_b64 s[2:3], s[2:3], 3
	s_add_u32 s2, s34, s2
	v_add_u32_e32 v20, v17, v16
	v_mov_b32_e32 v21, 2
	s_addc_u32 s3, s35, s3
	v_mov_b32_e32 v22, 0
	global_store_dwordx2 v22, v[20:21], s[2:3] sc1
	ds_write_b64 v22, v[16:17] offset:28672
.LBB2652_46:
	s_or_b64 exec, exec, s[38:39]
	v_cmp_eq_u32_e32 vcc, 0, v0
	s_and_b64 exec, exec, vcc
	s_cbranch_execz .LBB2652_48
; %bb.47:
	v_mov_b32_e32 v16, 0
	ds_write_b32 v16, v17 offset:28
.LBB2652_48:
	s_or_b64 exec, exec, s[36:37]
	v_mov_b32_e32 v16, 0
	s_waitcnt lgkmcnt(0)
	s_barrier
	ds_read_b32 v17, v16 offset:28
	v_cndmask_b32_e64 v20, v42, v41, s[18:19]
	v_cmp_ne_u32_e32 vcc, 0, v0
	s_waitcnt lgkmcnt(0)
	s_barrier
	v_cndmask_b32_e32 v20, 0, v20, vcc
	v_add_u32_e32 v27, v17, v20
	v_add_u32_e32 v26, v27, v33
	ds_read_b64 v[16:17], v16 offset:28672
	v_add_u32_e32 v25, v26, v34
	v_add_u32_e32 v24, v25, v35
	;; [unrolled: 1-line block ×5, first 2 shown]
	s_waitcnt lgkmcnt(0)
	v_mov_b32_e32 v22, v17
	s_branch .LBB2652_59
.LBB2652_49:
                                        ; implicit-def: $vgpr22
                                        ; implicit-def: $vgpr16
                                        ; implicit-def: $vgpr20
                                        ; implicit-def: $vgpr21
                                        ; implicit-def: $vgpr23
                                        ; implicit-def: $vgpr24
                                        ; implicit-def: $vgpr25
                                        ; implicit-def: $vgpr26
                                        ; implicit-def: $vgpr27
	s_cbranch_execz .LBB2652_59
; %bb.50:
	s_nop 0
	v_mov_b32_dpp v16, v40 row_shr:1 row_mask:0xf bank_mask:0xf
	v_cndmask_b32_e64 v16, v16, 0, s[16:17]
	v_add_u32_e32 v16, v16, v40
	s_nop 1
	v_mov_b32_dpp v17, v16 row_shr:2 row_mask:0xf bank_mask:0xf
	v_cndmask_b32_e64 v17, 0, v17, s[14:15]
	v_add_u32_e32 v16, v16, v17
	;; [unrolled: 4-line block ×4, first 2 shown]
	s_nop 1
	v_mov_b32_dpp v17, v16 row_bcast:15 row_mask:0xf bank_mask:0xf
	v_cndmask_b32_e64 v17, v17, 0, s[8:9]
	v_add_u32_e32 v16, v16, v17
	s_nop 1
	v_mov_b32_dpp v17, v16 row_bcast:31 row_mask:0xf bank_mask:0xf
	v_cndmask_b32_e64 v17, 0, v17, s[4:5]
	v_add_u32_e32 v16, v16, v17
	s_and_saveexec_b64 s[2:3], s[6:7]
	s_cbranch_execz .LBB2652_52
; %bb.51:
	v_lshlrev_b32_e32 v17, 2, v39
	ds_write_b32 v17, v16
.LBB2652_52:
	s_or_b64 exec, exec, s[2:3]
	v_cmp_gt_u32_e32 vcc, 8, v0
	s_waitcnt lgkmcnt(0)
	s_barrier
	s_and_saveexec_b64 s[2:3], vcc
	s_cbranch_execz .LBB2652_54
; %bb.53:
	s_movk_i32 s4, 0xffcc
	v_mad_i32_i24 v17, v0, s4, v32
	ds_read_b32 v20, v17
	v_and_b32_e32 v21, 7, v38
	v_cmp_ne_u32_e32 vcc, 0, v21
	s_waitcnt lgkmcnt(0)
	v_mov_b32_dpp v22, v20 row_shr:1 row_mask:0xf bank_mask:0xf
	v_cndmask_b32_e32 v22, 0, v22, vcc
	v_add_u32_e32 v20, v22, v20
	v_cmp_lt_u32_e32 vcc, 1, v21
	s_nop 0
	v_mov_b32_dpp v22, v20 row_shr:2 row_mask:0xf bank_mask:0xf
	v_cndmask_b32_e32 v22, 0, v22, vcc
	v_add_u32_e32 v20, v20, v22
	v_cmp_lt_u32_e32 vcc, 3, v21
	s_nop 0
	v_mov_b32_dpp v22, v20 row_shr:4 row_mask:0xf bank_mask:0xf
	v_cndmask_b32_e32 v21, 0, v22, vcc
	v_add_u32_e32 v20, v20, v21
	ds_write_b32 v17, v20
.LBB2652_54:
	s_or_b64 exec, exec, s[2:3]
	v_cmp_lt_u32_e32 vcc, 63, v0
	v_mov_b32_e32 v17, 0
	v_mov_b32_e32 v20, 0
	s_waitcnt lgkmcnt(0)
	s_barrier
	s_and_saveexec_b64 s[2:3], vcc
	s_cbranch_execz .LBB2652_56
; %bb.55:
	v_lshl_add_u32 v20, v39, 2, -4
	ds_read_b32 v20, v20
.LBB2652_56:
	s_or_b64 exec, exec, s[2:3]
	v_add_u32_e32 v21, -1, v38
	v_and_b32_e32 v22, 64, v38
	v_cmp_lt_i32_e32 vcc, v21, v22
	s_waitcnt lgkmcnt(0)
	v_add_u32_e32 v16, v20, v16
	v_cndmask_b32_e32 v21, v21, v38, vcc
	v_lshlrev_b32_e32 v21, 2, v21
	ds_bpermute_b32 v21, v21, v16
	ds_read_b32 v16, v17 offset:28
	v_cmp_eq_u32_e32 vcc, 0, v0
	s_and_saveexec_b64 s[2:3], vcc
	s_cbranch_execz .LBB2652_58
; %bb.57:
	v_mov_b32_e32 v22, 0
	v_mov_b32_e32 v17, 2
	s_waitcnt lgkmcnt(0)
	global_store_dwordx2 v22, v[16:17], s[34:35] offset:512 sc1
.LBB2652_58:
	s_or_b64 exec, exec, s[2:3]
	v_cmp_eq_u32_e64 s[2:3], 0, v38
	v_mov_b32_e32 v22, 0
	s_waitcnt lgkmcnt(0)
	v_cndmask_b32_e64 v17, v21, v20, s[2:3]
	v_cndmask_b32_e64 v27, v17, 0, vcc
	v_add_u32_e32 v26, v27, v33
	v_add_u32_e32 v25, v26, v34
	;; [unrolled: 1-line block ×6, first 2 shown]
	s_barrier
.LBB2652_59:
	v_add_u32_e32 v1, v16, v1
	v_sub_u32_e32 v27, v27, v22
	v_and_b32_e32 v33, 1, v30
	v_sub_u32_e32 v32, v1, v27
	v_cmp_eq_u32_e32 vcc, 1, v33
	v_lshrrev_b32_e32 v17, 8, v30
	v_and_b32_e32 v17, 1, v17
	v_cndmask_b32_e32 v27, v32, v27, vcc
	v_lshlrev_b32_e32 v27, 3, v27
	ds_write_b64 v27, v[10:11]
	v_sub_u32_e32 v10, v26, v22
	v_sub_u32_e32 v11, v1, v10
	v_add_u32_e32 v11, 1, v11
	v_cmp_eq_u32_e32 vcc, 1, v17
	s_load_dwordx2 s[0:1], s[0:1], 0x38
	v_or_b32_e32 v27, 0x200, v0
	v_cndmask_b32_e32 v10, v11, v10, vcc
	v_lshlrev_b32_e32 v10, 3, v10
	ds_write_b64 v10, v[12:13]
	v_sub_u32_e32 v10, v25, v22
	v_mov_b32_e32 v12, 1
	v_sub_u32_e32 v11, v1, v10
	v_and_b32_sdwa v12, v12, v30 dst_sel:DWORD dst_unused:UNUSED_PAD src0_sel:DWORD src1_sel:WORD_1
	v_add_u32_e32 v11, 2, v11
	v_cmp_eq_u32_e32 vcc, 1, v12
	v_or_b32_e32 v26, 0x400, v0
	v_or_b32_e32 v25, 0x600, v0
	v_cndmask_b32_e32 v10, v11, v10, vcc
	v_lshlrev_b32_e32 v10, 3, v10
	ds_write_b64 v10, v[6:7]
	v_sub_u32_e32 v6, v24, v22
	v_sub_u32_e32 v7, v1, v6
	v_and_b32_e32 v10, 1, v31
	v_add_u32_e32 v7, 3, v7
	v_cmp_eq_u32_e32 vcc, 1, v10
	v_or_b32_e32 v24, 0x800, v0
	s_nop 0
	v_cndmask_b32_e32 v6, v7, v6, vcc
	v_lshlrev_b32_e32 v6, 3, v6
	ds_write_b64 v6, v[8:9]
	v_sub_u32_e32 v6, v23, v22
	v_sub_u32_e32 v7, v1, v6
	v_and_b32_e32 v8, 1, v29
	v_add_u32_e32 v7, 4, v7
	v_cmp_eq_u32_e32 vcc, 1, v8
	v_mov_b32_e32 v23, 0
	v_mov_b32_e32 v17, v23
	v_cndmask_b32_e32 v6, v7, v6, vcc
	v_lshlrev_b32_e32 v6, 3, v6
	ds_write_b64 v6, v[2:3]
	v_sub_u32_e32 v2, v21, v22
	v_sub_u32_e32 v3, v1, v2
	v_and_b32_e32 v6, 1, v28
	v_add_u32_e32 v3, 5, v3
	v_cmp_eq_u32_e32 vcc, 1, v6
	s_nop 1
	v_cndmask_b32_e32 v2, v3, v2, vcc
	v_lshlrev_b32_e32 v2, 3, v2
	ds_write_b64 v2, v[4:5]
	v_sub_u32_e32 v2, v20, v22
	v_sub_u32_e32 v1, v1, v2
	v_and_b32_e32 v3, 1, v19
	v_add_u32_e32 v1, 6, v1
	v_cmp_eq_u32_e32 vcc, 1, v3
	v_or_b32_e32 v19, 0xa00, v0
	s_nop 0
	v_cndmask_b32_e32 v1, v1, v2, vcc
	v_lshlrev_b32_e32 v1, 3, v1
	ds_write_b64 v1, v[14:15]
	v_lshl_add_u64 v[14:15], s[28:29], 0, v[16:17]
	v_lshl_add_u64 v[14:15], v[14:15], 0, v[22:23]
	s_waitcnt lgkmcnt(0)
	s_barrier
	ds_read2st64_b64 v[10:13], v18 offset1:8
	ds_read2st64_b64 v[6:9], v18 offset0:16 offset1:24
	ds_read2st64_b64 v[2:5], v18 offset0:32 offset1:40
	ds_read_b64 v[20:21], v18 offset:24576
	v_mov_b32_e32 v17, s23
	v_sub_co_u32_e32 v22, vcc, s22, v14
	v_or_b32_e32 v1, 0xc00, v0
	s_nop 0
	v_subb_co_u32_e32 v23, vcc, v17, v15, vcc
	v_lshlrev_b64 v[22:23], 3, v[22:23]
	v_lshl_add_u64 v[22:23], s[0:1], 0, v[22:23]
	v_lshl_add_u64 v[22:23], v[22:23], 0, s[30:31]
	s_and_b64 vcc, exec, s[20:21]
	v_cmp_ge_u32_e64 s[0:1], v0, v16
	s_cbranch_vccnz .LBB2652_68
; %bb.60:
	s_and_saveexec_b64 s[2:3], s[0:1]
	s_cbranch_execnz .LBB2652_87
; %bb.61:
	s_or_b64 exec, exec, s[2:3]
	v_cmp_ge_u32_e32 vcc, v27, v16
	s_and_saveexec_b64 s[0:1], vcc
	s_cbranch_execnz .LBB2652_88
.LBB2652_62:
	s_or_b64 exec, exec, s[0:1]
	v_cmp_ge_u32_e32 vcc, v26, v16
	s_and_saveexec_b64 s[0:1], vcc
	s_cbranch_execnz .LBB2652_89
.LBB2652_63:
	s_or_b64 exec, exec, s[0:1]
	v_cmp_ge_u32_e32 vcc, v25, v16
	s_and_saveexec_b64 s[0:1], vcc
	s_cbranch_execnz .LBB2652_90
.LBB2652_64:
	s_or_b64 exec, exec, s[0:1]
	v_cmp_ge_u32_e32 vcc, v24, v16
	s_and_saveexec_b64 s[0:1], vcc
	s_cbranch_execnz .LBB2652_91
.LBB2652_65:
	s_or_b64 exec, exec, s[0:1]
	v_cmp_ge_u32_e32 vcc, v19, v16
	s_and_saveexec_b64 s[0:1], vcc
	s_cbranch_execz .LBB2652_67
.LBB2652_66:
	v_lshlrev_b32_e32 v17, 3, v19
	v_readfirstlane_b32 s2, v22
	v_readfirstlane_b32 s3, v23
	s_waitcnt lgkmcnt(1)
	s_nop 3
	global_store_dwordx2 v17, v[4:5], s[2:3]
.LBB2652_67:
	s_or_b64 exec, exec, s[0:1]
	v_cmp_ge_u32_e64 s[0:1], v1, v16
	s_branch .LBB2652_82
.LBB2652_68:
	s_mov_b64 s[0:1], 0
	s_cbranch_execz .LBB2652_82
; %bb.69:
	v_cmp_gt_u32_e32 vcc, s33, v0
	v_cmp_ge_u32_e64 s[0:1], v0, v16
	s_and_b64 s[2:3], vcc, s[0:1]
	s_and_saveexec_b64 s[0:1], s[2:3]
	s_cbranch_execz .LBB2652_71
; %bb.70:
	v_readfirstlane_b32 s2, v22
	v_readfirstlane_b32 s3, v23
	s_waitcnt lgkmcnt(3)
	s_nop 3
	global_store_dwordx2 v18, v[10:11], s[2:3]
.LBB2652_71:
	s_or_b64 exec, exec, s[0:1]
	v_cmp_gt_u32_e32 vcc, s33, v27
	v_cmp_ge_u32_e64 s[0:1], v27, v16
	s_and_b64 s[2:3], vcc, s[0:1]
	s_and_saveexec_b64 s[0:1], s[2:3]
	s_cbranch_execz .LBB2652_73
; %bb.72:
	s_waitcnt lgkmcnt(3)
	v_lshlrev_b32_e32 v10, 3, v27
	v_readfirstlane_b32 s2, v22
	v_readfirstlane_b32 s3, v23
	s_nop 4
	global_store_dwordx2 v10, v[12:13], s[2:3]
.LBB2652_73:
	s_or_b64 exec, exec, s[0:1]
	v_cmp_gt_u32_e32 vcc, s33, v26
	v_cmp_ge_u32_e64 s[0:1], v26, v16
	s_and_b64 s[2:3], vcc, s[0:1]
	s_and_saveexec_b64 s[0:1], s[2:3]
	s_cbranch_execz .LBB2652_75
; %bb.74:
	s_waitcnt lgkmcnt(3)
	v_lshlrev_b32_e32 v10, 3, v26
	v_readfirstlane_b32 s2, v22
	v_readfirstlane_b32 s3, v23
	s_waitcnt lgkmcnt(2)
	s_nop 3
	global_store_dwordx2 v10, v[6:7], s[2:3]
.LBB2652_75:
	s_or_b64 exec, exec, s[0:1]
	v_cmp_gt_u32_e32 vcc, s33, v25
	v_cmp_ge_u32_e64 s[0:1], v25, v16
	s_and_b64 s[2:3], vcc, s[0:1]
	s_and_saveexec_b64 s[0:1], s[2:3]
	s_cbranch_execz .LBB2652_77
; %bb.76:
	s_waitcnt lgkmcnt(2)
	v_lshlrev_b32_e32 v6, 3, v25
	v_readfirstlane_b32 s2, v22
	v_readfirstlane_b32 s3, v23
	s_nop 4
	global_store_dwordx2 v6, v[8:9], s[2:3]
.LBB2652_77:
	s_or_b64 exec, exec, s[0:1]
	v_cmp_gt_u32_e32 vcc, s33, v24
	v_cmp_ge_u32_e64 s[0:1], v24, v16
	s_and_b64 s[2:3], vcc, s[0:1]
	s_and_saveexec_b64 s[0:1], s[2:3]
	s_cbranch_execz .LBB2652_79
; %bb.78:
	s_waitcnt lgkmcnt(2)
	v_lshlrev_b32_e32 v6, 3, v24
	v_readfirstlane_b32 s2, v22
	v_readfirstlane_b32 s3, v23
	s_waitcnt lgkmcnt(1)
	s_nop 3
	global_store_dwordx2 v6, v[2:3], s[2:3]
.LBB2652_79:
	s_or_b64 exec, exec, s[0:1]
	v_cmp_gt_u32_e32 vcc, s33, v19
	v_cmp_ge_u32_e64 s[0:1], v19, v16
	s_and_b64 s[2:3], vcc, s[0:1]
	s_and_saveexec_b64 s[0:1], s[2:3]
	s_cbranch_execz .LBB2652_81
; %bb.80:
	s_waitcnt lgkmcnt(1)
	v_lshlrev_b32_e32 v2, 3, v19
	v_readfirstlane_b32 s2, v22
	v_readfirstlane_b32 s3, v23
	s_nop 4
	global_store_dwordx2 v2, v[4:5], s[2:3]
.LBB2652_81:
	s_or_b64 exec, exec, s[0:1]
	v_cmp_gt_u32_e32 vcc, s33, v1
	v_cmp_ge_u32_e64 s[0:1], v1, v16
	s_and_b64 s[0:1], vcc, s[0:1]
.LBB2652_82:
	s_and_saveexec_b64 s[2:3], s[0:1]
	s_cbranch_execz .LBB2652_84
; %bb.83:
	v_lshlrev_b32_e32 v1, 3, v1
	v_readfirstlane_b32 s0, v22
	v_readfirstlane_b32 s1, v23
	s_waitcnt lgkmcnt(0)
	s_nop 3
	global_store_dwordx2 v1, v[20:21], s[0:1]
.LBB2652_84:
	s_or_b64 exec, exec, s[2:3]
	v_cmp_eq_u32_e32 vcc, 0, v0
	s_and_b64 s[0:1], vcc, s[26:27]
	s_and_saveexec_b64 s[2:3], s[0:1]
	s_cbranch_execz .LBB2652_86
; %bb.85:
	v_mov_b32_e32 v0, 0
	global_store_dwordx2 v0, v[14:15], s[24:25]
.LBB2652_86:
	s_endpgm
.LBB2652_87:
	v_readfirstlane_b32 s0, v22
	v_readfirstlane_b32 s1, v23
	s_waitcnt lgkmcnt(3)
	s_nop 3
	global_store_dwordx2 v18, v[10:11], s[0:1]
	s_or_b64 exec, exec, s[2:3]
	v_cmp_ge_u32_e32 vcc, v27, v16
	s_and_saveexec_b64 s[0:1], vcc
	s_cbranch_execz .LBB2652_62
.LBB2652_88:
	v_lshlrev_b32_e32 v17, 3, v27
	v_readfirstlane_b32 s2, v22
	v_readfirstlane_b32 s3, v23
	s_waitcnt lgkmcnt(3)
	s_nop 3
	global_store_dwordx2 v17, v[12:13], s[2:3]
	s_or_b64 exec, exec, s[0:1]
	v_cmp_ge_u32_e32 vcc, v26, v16
	s_and_saveexec_b64 s[0:1], vcc
	s_cbranch_execz .LBB2652_63
.LBB2652_89:
	v_lshlrev_b32_e32 v17, 3, v26
	v_readfirstlane_b32 s2, v22
	v_readfirstlane_b32 s3, v23
	s_waitcnt lgkmcnt(2)
	s_nop 3
	global_store_dwordx2 v17, v[6:7], s[2:3]
	s_or_b64 exec, exec, s[0:1]
	v_cmp_ge_u32_e32 vcc, v25, v16
	s_and_saveexec_b64 s[0:1], vcc
	s_cbranch_execz .LBB2652_64
.LBB2652_90:
	v_lshlrev_b32_e32 v17, 3, v25
	v_readfirstlane_b32 s2, v22
	v_readfirstlane_b32 s3, v23
	s_waitcnt lgkmcnt(2)
	s_nop 3
	global_store_dwordx2 v17, v[8:9], s[2:3]
	s_or_b64 exec, exec, s[0:1]
	v_cmp_ge_u32_e32 vcc, v24, v16
	s_and_saveexec_b64 s[0:1], vcc
	s_cbranch_execz .LBB2652_65
.LBB2652_91:
	v_lshlrev_b32_e32 v17, 3, v24
	v_readfirstlane_b32 s2, v22
	v_readfirstlane_b32 s3, v23
	s_waitcnt lgkmcnt(1)
	s_nop 3
	global_store_dwordx2 v17, v[2:3], s[2:3]
	s_or_b64 exec, exec, s[0:1]
	v_cmp_ge_u32_e32 vcc, v19, v16
	s_and_saveexec_b64 s[0:1], vcc
	s_cbranch_execnz .LBB2652_66
	s_branch .LBB2652_67
	.section	.rodata,"a",@progbits
	.p2align	6, 0x0
	.amdhsa_kernel _ZN7rocprim17ROCPRIM_400000_NS6detail17trampoline_kernelINS0_14default_configENS1_25partition_config_selectorILNS1_17partition_subalgoE0ExNS0_10empty_typeEbEEZZNS1_14partition_implILS5_0ELb0ES3_jN6thrust23THRUST_200600_302600_NS6detail15normal_iteratorINSA_10device_ptrIxEEEEPS6_SG_NS0_5tupleIJNSA_16discard_iteratorINSA_11use_defaultEEESF_EEENSH_IJSG_SG_EEES6_PlJ7is_evenIxEEEE10hipError_tPvRmT3_T4_T5_T6_T7_T9_mT8_P12ihipStream_tbDpT10_ENKUlT_T0_E_clISt17integral_constantIbLb0EES19_EEDaS14_S15_EUlS14_E_NS1_11comp_targetILNS1_3genE5ELNS1_11target_archE942ELNS1_3gpuE9ELNS1_3repE0EEENS1_30default_config_static_selectorELNS0_4arch9wavefront6targetE1EEEvT1_
		.amdhsa_group_segment_fixed_size 28680
		.amdhsa_private_segment_fixed_size 0
		.amdhsa_kernarg_size 128
		.amdhsa_user_sgpr_count 2
		.amdhsa_user_sgpr_dispatch_ptr 0
		.amdhsa_user_sgpr_queue_ptr 0
		.amdhsa_user_sgpr_kernarg_segment_ptr 1
		.amdhsa_user_sgpr_dispatch_id 0
		.amdhsa_user_sgpr_kernarg_preload_length 0
		.amdhsa_user_sgpr_kernarg_preload_offset 0
		.amdhsa_user_sgpr_private_segment_size 0
		.amdhsa_uses_dynamic_stack 0
		.amdhsa_enable_private_segment 0
		.amdhsa_system_sgpr_workgroup_id_x 1
		.amdhsa_system_sgpr_workgroup_id_y 0
		.amdhsa_system_sgpr_workgroup_id_z 0
		.amdhsa_system_sgpr_workgroup_info 0
		.amdhsa_system_vgpr_workitem_id 0
		.amdhsa_next_free_vgpr 57
		.amdhsa_next_free_sgpr 44
		.amdhsa_accum_offset 60
		.amdhsa_reserve_vcc 1
		.amdhsa_float_round_mode_32 0
		.amdhsa_float_round_mode_16_64 0
		.amdhsa_float_denorm_mode_32 3
		.amdhsa_float_denorm_mode_16_64 3
		.amdhsa_dx10_clamp 1
		.amdhsa_ieee_mode 1
		.amdhsa_fp16_overflow 0
		.amdhsa_tg_split 0
		.amdhsa_exception_fp_ieee_invalid_op 0
		.amdhsa_exception_fp_denorm_src 0
		.amdhsa_exception_fp_ieee_div_zero 0
		.amdhsa_exception_fp_ieee_overflow 0
		.amdhsa_exception_fp_ieee_underflow 0
		.amdhsa_exception_fp_ieee_inexact 0
		.amdhsa_exception_int_div_zero 0
	.end_amdhsa_kernel
	.section	.text._ZN7rocprim17ROCPRIM_400000_NS6detail17trampoline_kernelINS0_14default_configENS1_25partition_config_selectorILNS1_17partition_subalgoE0ExNS0_10empty_typeEbEEZZNS1_14partition_implILS5_0ELb0ES3_jN6thrust23THRUST_200600_302600_NS6detail15normal_iteratorINSA_10device_ptrIxEEEEPS6_SG_NS0_5tupleIJNSA_16discard_iteratorINSA_11use_defaultEEESF_EEENSH_IJSG_SG_EEES6_PlJ7is_evenIxEEEE10hipError_tPvRmT3_T4_T5_T6_T7_T9_mT8_P12ihipStream_tbDpT10_ENKUlT_T0_E_clISt17integral_constantIbLb0EES19_EEDaS14_S15_EUlS14_E_NS1_11comp_targetILNS1_3genE5ELNS1_11target_archE942ELNS1_3gpuE9ELNS1_3repE0EEENS1_30default_config_static_selectorELNS0_4arch9wavefront6targetE1EEEvT1_,"axG",@progbits,_ZN7rocprim17ROCPRIM_400000_NS6detail17trampoline_kernelINS0_14default_configENS1_25partition_config_selectorILNS1_17partition_subalgoE0ExNS0_10empty_typeEbEEZZNS1_14partition_implILS5_0ELb0ES3_jN6thrust23THRUST_200600_302600_NS6detail15normal_iteratorINSA_10device_ptrIxEEEEPS6_SG_NS0_5tupleIJNSA_16discard_iteratorINSA_11use_defaultEEESF_EEENSH_IJSG_SG_EEES6_PlJ7is_evenIxEEEE10hipError_tPvRmT3_T4_T5_T6_T7_T9_mT8_P12ihipStream_tbDpT10_ENKUlT_T0_E_clISt17integral_constantIbLb0EES19_EEDaS14_S15_EUlS14_E_NS1_11comp_targetILNS1_3genE5ELNS1_11target_archE942ELNS1_3gpuE9ELNS1_3repE0EEENS1_30default_config_static_selectorELNS0_4arch9wavefront6targetE1EEEvT1_,comdat
.Lfunc_end2652:
	.size	_ZN7rocprim17ROCPRIM_400000_NS6detail17trampoline_kernelINS0_14default_configENS1_25partition_config_selectorILNS1_17partition_subalgoE0ExNS0_10empty_typeEbEEZZNS1_14partition_implILS5_0ELb0ES3_jN6thrust23THRUST_200600_302600_NS6detail15normal_iteratorINSA_10device_ptrIxEEEEPS6_SG_NS0_5tupleIJNSA_16discard_iteratorINSA_11use_defaultEEESF_EEENSH_IJSG_SG_EEES6_PlJ7is_evenIxEEEE10hipError_tPvRmT3_T4_T5_T6_T7_T9_mT8_P12ihipStream_tbDpT10_ENKUlT_T0_E_clISt17integral_constantIbLb0EES19_EEDaS14_S15_EUlS14_E_NS1_11comp_targetILNS1_3genE5ELNS1_11target_archE942ELNS1_3gpuE9ELNS1_3repE0EEENS1_30default_config_static_selectorELNS0_4arch9wavefront6targetE1EEEvT1_, .Lfunc_end2652-_ZN7rocprim17ROCPRIM_400000_NS6detail17trampoline_kernelINS0_14default_configENS1_25partition_config_selectorILNS1_17partition_subalgoE0ExNS0_10empty_typeEbEEZZNS1_14partition_implILS5_0ELb0ES3_jN6thrust23THRUST_200600_302600_NS6detail15normal_iteratorINSA_10device_ptrIxEEEEPS6_SG_NS0_5tupleIJNSA_16discard_iteratorINSA_11use_defaultEEESF_EEENSH_IJSG_SG_EEES6_PlJ7is_evenIxEEEE10hipError_tPvRmT3_T4_T5_T6_T7_T9_mT8_P12ihipStream_tbDpT10_ENKUlT_T0_E_clISt17integral_constantIbLb0EES19_EEDaS14_S15_EUlS14_E_NS1_11comp_targetILNS1_3genE5ELNS1_11target_archE942ELNS1_3gpuE9ELNS1_3repE0EEENS1_30default_config_static_selectorELNS0_4arch9wavefront6targetE1EEEvT1_
                                        ; -- End function
	.section	.AMDGPU.csdata,"",@progbits
; Kernel info:
; codeLenInByte = 4500
; NumSgprs: 50
; NumVgprs: 57
; NumAgprs: 0
; TotalNumVgprs: 57
; ScratchSize: 0
; MemoryBound: 0
; FloatMode: 240
; IeeeMode: 1
; LDSByteSize: 28680 bytes/workgroup (compile time only)
; SGPRBlocks: 6
; VGPRBlocks: 7
; NumSGPRsForWavesPerEU: 50
; NumVGPRsForWavesPerEU: 57
; AccumOffset: 60
; Occupancy: 4
; WaveLimiterHint : 1
; COMPUTE_PGM_RSRC2:SCRATCH_EN: 0
; COMPUTE_PGM_RSRC2:USER_SGPR: 2
; COMPUTE_PGM_RSRC2:TRAP_HANDLER: 0
; COMPUTE_PGM_RSRC2:TGID_X_EN: 1
; COMPUTE_PGM_RSRC2:TGID_Y_EN: 0
; COMPUTE_PGM_RSRC2:TGID_Z_EN: 0
; COMPUTE_PGM_RSRC2:TIDIG_COMP_CNT: 0
; COMPUTE_PGM_RSRC3_GFX90A:ACCUM_OFFSET: 14
; COMPUTE_PGM_RSRC3_GFX90A:TG_SPLIT: 0
	.section	.text._ZN7rocprim17ROCPRIM_400000_NS6detail17trampoline_kernelINS0_14default_configENS1_25partition_config_selectorILNS1_17partition_subalgoE0ExNS0_10empty_typeEbEEZZNS1_14partition_implILS5_0ELb0ES3_jN6thrust23THRUST_200600_302600_NS6detail15normal_iteratorINSA_10device_ptrIxEEEEPS6_SG_NS0_5tupleIJNSA_16discard_iteratorINSA_11use_defaultEEESF_EEENSH_IJSG_SG_EEES6_PlJ7is_evenIxEEEE10hipError_tPvRmT3_T4_T5_T6_T7_T9_mT8_P12ihipStream_tbDpT10_ENKUlT_T0_E_clISt17integral_constantIbLb0EES19_EEDaS14_S15_EUlS14_E_NS1_11comp_targetILNS1_3genE4ELNS1_11target_archE910ELNS1_3gpuE8ELNS1_3repE0EEENS1_30default_config_static_selectorELNS0_4arch9wavefront6targetE1EEEvT1_,"axG",@progbits,_ZN7rocprim17ROCPRIM_400000_NS6detail17trampoline_kernelINS0_14default_configENS1_25partition_config_selectorILNS1_17partition_subalgoE0ExNS0_10empty_typeEbEEZZNS1_14partition_implILS5_0ELb0ES3_jN6thrust23THRUST_200600_302600_NS6detail15normal_iteratorINSA_10device_ptrIxEEEEPS6_SG_NS0_5tupleIJNSA_16discard_iteratorINSA_11use_defaultEEESF_EEENSH_IJSG_SG_EEES6_PlJ7is_evenIxEEEE10hipError_tPvRmT3_T4_T5_T6_T7_T9_mT8_P12ihipStream_tbDpT10_ENKUlT_T0_E_clISt17integral_constantIbLb0EES19_EEDaS14_S15_EUlS14_E_NS1_11comp_targetILNS1_3genE4ELNS1_11target_archE910ELNS1_3gpuE8ELNS1_3repE0EEENS1_30default_config_static_selectorELNS0_4arch9wavefront6targetE1EEEvT1_,comdat
	.protected	_ZN7rocprim17ROCPRIM_400000_NS6detail17trampoline_kernelINS0_14default_configENS1_25partition_config_selectorILNS1_17partition_subalgoE0ExNS0_10empty_typeEbEEZZNS1_14partition_implILS5_0ELb0ES3_jN6thrust23THRUST_200600_302600_NS6detail15normal_iteratorINSA_10device_ptrIxEEEEPS6_SG_NS0_5tupleIJNSA_16discard_iteratorINSA_11use_defaultEEESF_EEENSH_IJSG_SG_EEES6_PlJ7is_evenIxEEEE10hipError_tPvRmT3_T4_T5_T6_T7_T9_mT8_P12ihipStream_tbDpT10_ENKUlT_T0_E_clISt17integral_constantIbLb0EES19_EEDaS14_S15_EUlS14_E_NS1_11comp_targetILNS1_3genE4ELNS1_11target_archE910ELNS1_3gpuE8ELNS1_3repE0EEENS1_30default_config_static_selectorELNS0_4arch9wavefront6targetE1EEEvT1_ ; -- Begin function _ZN7rocprim17ROCPRIM_400000_NS6detail17trampoline_kernelINS0_14default_configENS1_25partition_config_selectorILNS1_17partition_subalgoE0ExNS0_10empty_typeEbEEZZNS1_14partition_implILS5_0ELb0ES3_jN6thrust23THRUST_200600_302600_NS6detail15normal_iteratorINSA_10device_ptrIxEEEEPS6_SG_NS0_5tupleIJNSA_16discard_iteratorINSA_11use_defaultEEESF_EEENSH_IJSG_SG_EEES6_PlJ7is_evenIxEEEE10hipError_tPvRmT3_T4_T5_T6_T7_T9_mT8_P12ihipStream_tbDpT10_ENKUlT_T0_E_clISt17integral_constantIbLb0EES19_EEDaS14_S15_EUlS14_E_NS1_11comp_targetILNS1_3genE4ELNS1_11target_archE910ELNS1_3gpuE8ELNS1_3repE0EEENS1_30default_config_static_selectorELNS0_4arch9wavefront6targetE1EEEvT1_
	.globl	_ZN7rocprim17ROCPRIM_400000_NS6detail17trampoline_kernelINS0_14default_configENS1_25partition_config_selectorILNS1_17partition_subalgoE0ExNS0_10empty_typeEbEEZZNS1_14partition_implILS5_0ELb0ES3_jN6thrust23THRUST_200600_302600_NS6detail15normal_iteratorINSA_10device_ptrIxEEEEPS6_SG_NS0_5tupleIJNSA_16discard_iteratorINSA_11use_defaultEEESF_EEENSH_IJSG_SG_EEES6_PlJ7is_evenIxEEEE10hipError_tPvRmT3_T4_T5_T6_T7_T9_mT8_P12ihipStream_tbDpT10_ENKUlT_T0_E_clISt17integral_constantIbLb0EES19_EEDaS14_S15_EUlS14_E_NS1_11comp_targetILNS1_3genE4ELNS1_11target_archE910ELNS1_3gpuE8ELNS1_3repE0EEENS1_30default_config_static_selectorELNS0_4arch9wavefront6targetE1EEEvT1_
	.p2align	8
	.type	_ZN7rocprim17ROCPRIM_400000_NS6detail17trampoline_kernelINS0_14default_configENS1_25partition_config_selectorILNS1_17partition_subalgoE0ExNS0_10empty_typeEbEEZZNS1_14partition_implILS5_0ELb0ES3_jN6thrust23THRUST_200600_302600_NS6detail15normal_iteratorINSA_10device_ptrIxEEEEPS6_SG_NS0_5tupleIJNSA_16discard_iteratorINSA_11use_defaultEEESF_EEENSH_IJSG_SG_EEES6_PlJ7is_evenIxEEEE10hipError_tPvRmT3_T4_T5_T6_T7_T9_mT8_P12ihipStream_tbDpT10_ENKUlT_T0_E_clISt17integral_constantIbLb0EES19_EEDaS14_S15_EUlS14_E_NS1_11comp_targetILNS1_3genE4ELNS1_11target_archE910ELNS1_3gpuE8ELNS1_3repE0EEENS1_30default_config_static_selectorELNS0_4arch9wavefront6targetE1EEEvT1_,@function
_ZN7rocprim17ROCPRIM_400000_NS6detail17trampoline_kernelINS0_14default_configENS1_25partition_config_selectorILNS1_17partition_subalgoE0ExNS0_10empty_typeEbEEZZNS1_14partition_implILS5_0ELb0ES3_jN6thrust23THRUST_200600_302600_NS6detail15normal_iteratorINSA_10device_ptrIxEEEEPS6_SG_NS0_5tupleIJNSA_16discard_iteratorINSA_11use_defaultEEESF_EEENSH_IJSG_SG_EEES6_PlJ7is_evenIxEEEE10hipError_tPvRmT3_T4_T5_T6_T7_T9_mT8_P12ihipStream_tbDpT10_ENKUlT_T0_E_clISt17integral_constantIbLb0EES19_EEDaS14_S15_EUlS14_E_NS1_11comp_targetILNS1_3genE4ELNS1_11target_archE910ELNS1_3gpuE8ELNS1_3repE0EEENS1_30default_config_static_selectorELNS0_4arch9wavefront6targetE1EEEvT1_: ; @_ZN7rocprim17ROCPRIM_400000_NS6detail17trampoline_kernelINS0_14default_configENS1_25partition_config_selectorILNS1_17partition_subalgoE0ExNS0_10empty_typeEbEEZZNS1_14partition_implILS5_0ELb0ES3_jN6thrust23THRUST_200600_302600_NS6detail15normal_iteratorINSA_10device_ptrIxEEEEPS6_SG_NS0_5tupleIJNSA_16discard_iteratorINSA_11use_defaultEEESF_EEENSH_IJSG_SG_EEES6_PlJ7is_evenIxEEEE10hipError_tPvRmT3_T4_T5_T6_T7_T9_mT8_P12ihipStream_tbDpT10_ENKUlT_T0_E_clISt17integral_constantIbLb0EES19_EEDaS14_S15_EUlS14_E_NS1_11comp_targetILNS1_3genE4ELNS1_11target_archE910ELNS1_3gpuE8ELNS1_3repE0EEENS1_30default_config_static_selectorELNS0_4arch9wavefront6targetE1EEEvT1_
; %bb.0:
	.section	.rodata,"a",@progbits
	.p2align	6, 0x0
	.amdhsa_kernel _ZN7rocprim17ROCPRIM_400000_NS6detail17trampoline_kernelINS0_14default_configENS1_25partition_config_selectorILNS1_17partition_subalgoE0ExNS0_10empty_typeEbEEZZNS1_14partition_implILS5_0ELb0ES3_jN6thrust23THRUST_200600_302600_NS6detail15normal_iteratorINSA_10device_ptrIxEEEEPS6_SG_NS0_5tupleIJNSA_16discard_iteratorINSA_11use_defaultEEESF_EEENSH_IJSG_SG_EEES6_PlJ7is_evenIxEEEE10hipError_tPvRmT3_T4_T5_T6_T7_T9_mT8_P12ihipStream_tbDpT10_ENKUlT_T0_E_clISt17integral_constantIbLb0EES19_EEDaS14_S15_EUlS14_E_NS1_11comp_targetILNS1_3genE4ELNS1_11target_archE910ELNS1_3gpuE8ELNS1_3repE0EEENS1_30default_config_static_selectorELNS0_4arch9wavefront6targetE1EEEvT1_
		.amdhsa_group_segment_fixed_size 0
		.amdhsa_private_segment_fixed_size 0
		.amdhsa_kernarg_size 128
		.amdhsa_user_sgpr_count 2
		.amdhsa_user_sgpr_dispatch_ptr 0
		.amdhsa_user_sgpr_queue_ptr 0
		.amdhsa_user_sgpr_kernarg_segment_ptr 1
		.amdhsa_user_sgpr_dispatch_id 0
		.amdhsa_user_sgpr_kernarg_preload_length 0
		.amdhsa_user_sgpr_kernarg_preload_offset 0
		.amdhsa_user_sgpr_private_segment_size 0
		.amdhsa_uses_dynamic_stack 0
		.amdhsa_enable_private_segment 0
		.amdhsa_system_sgpr_workgroup_id_x 1
		.amdhsa_system_sgpr_workgroup_id_y 0
		.amdhsa_system_sgpr_workgroup_id_z 0
		.amdhsa_system_sgpr_workgroup_info 0
		.amdhsa_system_vgpr_workitem_id 0
		.amdhsa_next_free_vgpr 1
		.amdhsa_next_free_sgpr 0
		.amdhsa_accum_offset 4
		.amdhsa_reserve_vcc 0
		.amdhsa_float_round_mode_32 0
		.amdhsa_float_round_mode_16_64 0
		.amdhsa_float_denorm_mode_32 3
		.amdhsa_float_denorm_mode_16_64 3
		.amdhsa_dx10_clamp 1
		.amdhsa_ieee_mode 1
		.amdhsa_fp16_overflow 0
		.amdhsa_tg_split 0
		.amdhsa_exception_fp_ieee_invalid_op 0
		.amdhsa_exception_fp_denorm_src 0
		.amdhsa_exception_fp_ieee_div_zero 0
		.amdhsa_exception_fp_ieee_overflow 0
		.amdhsa_exception_fp_ieee_underflow 0
		.amdhsa_exception_fp_ieee_inexact 0
		.amdhsa_exception_int_div_zero 0
	.end_amdhsa_kernel
	.section	.text._ZN7rocprim17ROCPRIM_400000_NS6detail17trampoline_kernelINS0_14default_configENS1_25partition_config_selectorILNS1_17partition_subalgoE0ExNS0_10empty_typeEbEEZZNS1_14partition_implILS5_0ELb0ES3_jN6thrust23THRUST_200600_302600_NS6detail15normal_iteratorINSA_10device_ptrIxEEEEPS6_SG_NS0_5tupleIJNSA_16discard_iteratorINSA_11use_defaultEEESF_EEENSH_IJSG_SG_EEES6_PlJ7is_evenIxEEEE10hipError_tPvRmT3_T4_T5_T6_T7_T9_mT8_P12ihipStream_tbDpT10_ENKUlT_T0_E_clISt17integral_constantIbLb0EES19_EEDaS14_S15_EUlS14_E_NS1_11comp_targetILNS1_3genE4ELNS1_11target_archE910ELNS1_3gpuE8ELNS1_3repE0EEENS1_30default_config_static_selectorELNS0_4arch9wavefront6targetE1EEEvT1_,"axG",@progbits,_ZN7rocprim17ROCPRIM_400000_NS6detail17trampoline_kernelINS0_14default_configENS1_25partition_config_selectorILNS1_17partition_subalgoE0ExNS0_10empty_typeEbEEZZNS1_14partition_implILS5_0ELb0ES3_jN6thrust23THRUST_200600_302600_NS6detail15normal_iteratorINSA_10device_ptrIxEEEEPS6_SG_NS0_5tupleIJNSA_16discard_iteratorINSA_11use_defaultEEESF_EEENSH_IJSG_SG_EEES6_PlJ7is_evenIxEEEE10hipError_tPvRmT3_T4_T5_T6_T7_T9_mT8_P12ihipStream_tbDpT10_ENKUlT_T0_E_clISt17integral_constantIbLb0EES19_EEDaS14_S15_EUlS14_E_NS1_11comp_targetILNS1_3genE4ELNS1_11target_archE910ELNS1_3gpuE8ELNS1_3repE0EEENS1_30default_config_static_selectorELNS0_4arch9wavefront6targetE1EEEvT1_,comdat
.Lfunc_end2653:
	.size	_ZN7rocprim17ROCPRIM_400000_NS6detail17trampoline_kernelINS0_14default_configENS1_25partition_config_selectorILNS1_17partition_subalgoE0ExNS0_10empty_typeEbEEZZNS1_14partition_implILS5_0ELb0ES3_jN6thrust23THRUST_200600_302600_NS6detail15normal_iteratorINSA_10device_ptrIxEEEEPS6_SG_NS0_5tupleIJNSA_16discard_iteratorINSA_11use_defaultEEESF_EEENSH_IJSG_SG_EEES6_PlJ7is_evenIxEEEE10hipError_tPvRmT3_T4_T5_T6_T7_T9_mT8_P12ihipStream_tbDpT10_ENKUlT_T0_E_clISt17integral_constantIbLb0EES19_EEDaS14_S15_EUlS14_E_NS1_11comp_targetILNS1_3genE4ELNS1_11target_archE910ELNS1_3gpuE8ELNS1_3repE0EEENS1_30default_config_static_selectorELNS0_4arch9wavefront6targetE1EEEvT1_, .Lfunc_end2653-_ZN7rocprim17ROCPRIM_400000_NS6detail17trampoline_kernelINS0_14default_configENS1_25partition_config_selectorILNS1_17partition_subalgoE0ExNS0_10empty_typeEbEEZZNS1_14partition_implILS5_0ELb0ES3_jN6thrust23THRUST_200600_302600_NS6detail15normal_iteratorINSA_10device_ptrIxEEEEPS6_SG_NS0_5tupleIJNSA_16discard_iteratorINSA_11use_defaultEEESF_EEENSH_IJSG_SG_EEES6_PlJ7is_evenIxEEEE10hipError_tPvRmT3_T4_T5_T6_T7_T9_mT8_P12ihipStream_tbDpT10_ENKUlT_T0_E_clISt17integral_constantIbLb0EES19_EEDaS14_S15_EUlS14_E_NS1_11comp_targetILNS1_3genE4ELNS1_11target_archE910ELNS1_3gpuE8ELNS1_3repE0EEENS1_30default_config_static_selectorELNS0_4arch9wavefront6targetE1EEEvT1_
                                        ; -- End function
	.section	.AMDGPU.csdata,"",@progbits
; Kernel info:
; codeLenInByte = 0
; NumSgprs: 6
; NumVgprs: 0
; NumAgprs: 0
; TotalNumVgprs: 0
; ScratchSize: 0
; MemoryBound: 0
; FloatMode: 240
; IeeeMode: 1
; LDSByteSize: 0 bytes/workgroup (compile time only)
; SGPRBlocks: 0
; VGPRBlocks: 0
; NumSGPRsForWavesPerEU: 6
; NumVGPRsForWavesPerEU: 1
; AccumOffset: 4
; Occupancy: 8
; WaveLimiterHint : 0
; COMPUTE_PGM_RSRC2:SCRATCH_EN: 0
; COMPUTE_PGM_RSRC2:USER_SGPR: 2
; COMPUTE_PGM_RSRC2:TRAP_HANDLER: 0
; COMPUTE_PGM_RSRC2:TGID_X_EN: 1
; COMPUTE_PGM_RSRC2:TGID_Y_EN: 0
; COMPUTE_PGM_RSRC2:TGID_Z_EN: 0
; COMPUTE_PGM_RSRC2:TIDIG_COMP_CNT: 0
; COMPUTE_PGM_RSRC3_GFX90A:ACCUM_OFFSET: 0
; COMPUTE_PGM_RSRC3_GFX90A:TG_SPLIT: 0
	.section	.text._ZN7rocprim17ROCPRIM_400000_NS6detail17trampoline_kernelINS0_14default_configENS1_25partition_config_selectorILNS1_17partition_subalgoE0ExNS0_10empty_typeEbEEZZNS1_14partition_implILS5_0ELb0ES3_jN6thrust23THRUST_200600_302600_NS6detail15normal_iteratorINSA_10device_ptrIxEEEEPS6_SG_NS0_5tupleIJNSA_16discard_iteratorINSA_11use_defaultEEESF_EEENSH_IJSG_SG_EEES6_PlJ7is_evenIxEEEE10hipError_tPvRmT3_T4_T5_T6_T7_T9_mT8_P12ihipStream_tbDpT10_ENKUlT_T0_E_clISt17integral_constantIbLb0EES19_EEDaS14_S15_EUlS14_E_NS1_11comp_targetILNS1_3genE3ELNS1_11target_archE908ELNS1_3gpuE7ELNS1_3repE0EEENS1_30default_config_static_selectorELNS0_4arch9wavefront6targetE1EEEvT1_,"axG",@progbits,_ZN7rocprim17ROCPRIM_400000_NS6detail17trampoline_kernelINS0_14default_configENS1_25partition_config_selectorILNS1_17partition_subalgoE0ExNS0_10empty_typeEbEEZZNS1_14partition_implILS5_0ELb0ES3_jN6thrust23THRUST_200600_302600_NS6detail15normal_iteratorINSA_10device_ptrIxEEEEPS6_SG_NS0_5tupleIJNSA_16discard_iteratorINSA_11use_defaultEEESF_EEENSH_IJSG_SG_EEES6_PlJ7is_evenIxEEEE10hipError_tPvRmT3_T4_T5_T6_T7_T9_mT8_P12ihipStream_tbDpT10_ENKUlT_T0_E_clISt17integral_constantIbLb0EES19_EEDaS14_S15_EUlS14_E_NS1_11comp_targetILNS1_3genE3ELNS1_11target_archE908ELNS1_3gpuE7ELNS1_3repE0EEENS1_30default_config_static_selectorELNS0_4arch9wavefront6targetE1EEEvT1_,comdat
	.protected	_ZN7rocprim17ROCPRIM_400000_NS6detail17trampoline_kernelINS0_14default_configENS1_25partition_config_selectorILNS1_17partition_subalgoE0ExNS0_10empty_typeEbEEZZNS1_14partition_implILS5_0ELb0ES3_jN6thrust23THRUST_200600_302600_NS6detail15normal_iteratorINSA_10device_ptrIxEEEEPS6_SG_NS0_5tupleIJNSA_16discard_iteratorINSA_11use_defaultEEESF_EEENSH_IJSG_SG_EEES6_PlJ7is_evenIxEEEE10hipError_tPvRmT3_T4_T5_T6_T7_T9_mT8_P12ihipStream_tbDpT10_ENKUlT_T0_E_clISt17integral_constantIbLb0EES19_EEDaS14_S15_EUlS14_E_NS1_11comp_targetILNS1_3genE3ELNS1_11target_archE908ELNS1_3gpuE7ELNS1_3repE0EEENS1_30default_config_static_selectorELNS0_4arch9wavefront6targetE1EEEvT1_ ; -- Begin function _ZN7rocprim17ROCPRIM_400000_NS6detail17trampoline_kernelINS0_14default_configENS1_25partition_config_selectorILNS1_17partition_subalgoE0ExNS0_10empty_typeEbEEZZNS1_14partition_implILS5_0ELb0ES3_jN6thrust23THRUST_200600_302600_NS6detail15normal_iteratorINSA_10device_ptrIxEEEEPS6_SG_NS0_5tupleIJNSA_16discard_iteratorINSA_11use_defaultEEESF_EEENSH_IJSG_SG_EEES6_PlJ7is_evenIxEEEE10hipError_tPvRmT3_T4_T5_T6_T7_T9_mT8_P12ihipStream_tbDpT10_ENKUlT_T0_E_clISt17integral_constantIbLb0EES19_EEDaS14_S15_EUlS14_E_NS1_11comp_targetILNS1_3genE3ELNS1_11target_archE908ELNS1_3gpuE7ELNS1_3repE0EEENS1_30default_config_static_selectorELNS0_4arch9wavefront6targetE1EEEvT1_
	.globl	_ZN7rocprim17ROCPRIM_400000_NS6detail17trampoline_kernelINS0_14default_configENS1_25partition_config_selectorILNS1_17partition_subalgoE0ExNS0_10empty_typeEbEEZZNS1_14partition_implILS5_0ELb0ES3_jN6thrust23THRUST_200600_302600_NS6detail15normal_iteratorINSA_10device_ptrIxEEEEPS6_SG_NS0_5tupleIJNSA_16discard_iteratorINSA_11use_defaultEEESF_EEENSH_IJSG_SG_EEES6_PlJ7is_evenIxEEEE10hipError_tPvRmT3_T4_T5_T6_T7_T9_mT8_P12ihipStream_tbDpT10_ENKUlT_T0_E_clISt17integral_constantIbLb0EES19_EEDaS14_S15_EUlS14_E_NS1_11comp_targetILNS1_3genE3ELNS1_11target_archE908ELNS1_3gpuE7ELNS1_3repE0EEENS1_30default_config_static_selectorELNS0_4arch9wavefront6targetE1EEEvT1_
	.p2align	8
	.type	_ZN7rocprim17ROCPRIM_400000_NS6detail17trampoline_kernelINS0_14default_configENS1_25partition_config_selectorILNS1_17partition_subalgoE0ExNS0_10empty_typeEbEEZZNS1_14partition_implILS5_0ELb0ES3_jN6thrust23THRUST_200600_302600_NS6detail15normal_iteratorINSA_10device_ptrIxEEEEPS6_SG_NS0_5tupleIJNSA_16discard_iteratorINSA_11use_defaultEEESF_EEENSH_IJSG_SG_EEES6_PlJ7is_evenIxEEEE10hipError_tPvRmT3_T4_T5_T6_T7_T9_mT8_P12ihipStream_tbDpT10_ENKUlT_T0_E_clISt17integral_constantIbLb0EES19_EEDaS14_S15_EUlS14_E_NS1_11comp_targetILNS1_3genE3ELNS1_11target_archE908ELNS1_3gpuE7ELNS1_3repE0EEENS1_30default_config_static_selectorELNS0_4arch9wavefront6targetE1EEEvT1_,@function
_ZN7rocprim17ROCPRIM_400000_NS6detail17trampoline_kernelINS0_14default_configENS1_25partition_config_selectorILNS1_17partition_subalgoE0ExNS0_10empty_typeEbEEZZNS1_14partition_implILS5_0ELb0ES3_jN6thrust23THRUST_200600_302600_NS6detail15normal_iteratorINSA_10device_ptrIxEEEEPS6_SG_NS0_5tupleIJNSA_16discard_iteratorINSA_11use_defaultEEESF_EEENSH_IJSG_SG_EEES6_PlJ7is_evenIxEEEE10hipError_tPvRmT3_T4_T5_T6_T7_T9_mT8_P12ihipStream_tbDpT10_ENKUlT_T0_E_clISt17integral_constantIbLb0EES19_EEDaS14_S15_EUlS14_E_NS1_11comp_targetILNS1_3genE3ELNS1_11target_archE908ELNS1_3gpuE7ELNS1_3repE0EEENS1_30default_config_static_selectorELNS0_4arch9wavefront6targetE1EEEvT1_: ; @_ZN7rocprim17ROCPRIM_400000_NS6detail17trampoline_kernelINS0_14default_configENS1_25partition_config_selectorILNS1_17partition_subalgoE0ExNS0_10empty_typeEbEEZZNS1_14partition_implILS5_0ELb0ES3_jN6thrust23THRUST_200600_302600_NS6detail15normal_iteratorINSA_10device_ptrIxEEEEPS6_SG_NS0_5tupleIJNSA_16discard_iteratorINSA_11use_defaultEEESF_EEENSH_IJSG_SG_EEES6_PlJ7is_evenIxEEEE10hipError_tPvRmT3_T4_T5_T6_T7_T9_mT8_P12ihipStream_tbDpT10_ENKUlT_T0_E_clISt17integral_constantIbLb0EES19_EEDaS14_S15_EUlS14_E_NS1_11comp_targetILNS1_3genE3ELNS1_11target_archE908ELNS1_3gpuE7ELNS1_3repE0EEENS1_30default_config_static_selectorELNS0_4arch9wavefront6targetE1EEEvT1_
; %bb.0:
	.section	.rodata,"a",@progbits
	.p2align	6, 0x0
	.amdhsa_kernel _ZN7rocprim17ROCPRIM_400000_NS6detail17trampoline_kernelINS0_14default_configENS1_25partition_config_selectorILNS1_17partition_subalgoE0ExNS0_10empty_typeEbEEZZNS1_14partition_implILS5_0ELb0ES3_jN6thrust23THRUST_200600_302600_NS6detail15normal_iteratorINSA_10device_ptrIxEEEEPS6_SG_NS0_5tupleIJNSA_16discard_iteratorINSA_11use_defaultEEESF_EEENSH_IJSG_SG_EEES6_PlJ7is_evenIxEEEE10hipError_tPvRmT3_T4_T5_T6_T7_T9_mT8_P12ihipStream_tbDpT10_ENKUlT_T0_E_clISt17integral_constantIbLb0EES19_EEDaS14_S15_EUlS14_E_NS1_11comp_targetILNS1_3genE3ELNS1_11target_archE908ELNS1_3gpuE7ELNS1_3repE0EEENS1_30default_config_static_selectorELNS0_4arch9wavefront6targetE1EEEvT1_
		.amdhsa_group_segment_fixed_size 0
		.amdhsa_private_segment_fixed_size 0
		.amdhsa_kernarg_size 128
		.amdhsa_user_sgpr_count 2
		.amdhsa_user_sgpr_dispatch_ptr 0
		.amdhsa_user_sgpr_queue_ptr 0
		.amdhsa_user_sgpr_kernarg_segment_ptr 1
		.amdhsa_user_sgpr_dispatch_id 0
		.amdhsa_user_sgpr_kernarg_preload_length 0
		.amdhsa_user_sgpr_kernarg_preload_offset 0
		.amdhsa_user_sgpr_private_segment_size 0
		.amdhsa_uses_dynamic_stack 0
		.amdhsa_enable_private_segment 0
		.amdhsa_system_sgpr_workgroup_id_x 1
		.amdhsa_system_sgpr_workgroup_id_y 0
		.amdhsa_system_sgpr_workgroup_id_z 0
		.amdhsa_system_sgpr_workgroup_info 0
		.amdhsa_system_vgpr_workitem_id 0
		.amdhsa_next_free_vgpr 1
		.amdhsa_next_free_sgpr 0
		.amdhsa_accum_offset 4
		.amdhsa_reserve_vcc 0
		.amdhsa_float_round_mode_32 0
		.amdhsa_float_round_mode_16_64 0
		.amdhsa_float_denorm_mode_32 3
		.amdhsa_float_denorm_mode_16_64 3
		.amdhsa_dx10_clamp 1
		.amdhsa_ieee_mode 1
		.amdhsa_fp16_overflow 0
		.amdhsa_tg_split 0
		.amdhsa_exception_fp_ieee_invalid_op 0
		.amdhsa_exception_fp_denorm_src 0
		.amdhsa_exception_fp_ieee_div_zero 0
		.amdhsa_exception_fp_ieee_overflow 0
		.amdhsa_exception_fp_ieee_underflow 0
		.amdhsa_exception_fp_ieee_inexact 0
		.amdhsa_exception_int_div_zero 0
	.end_amdhsa_kernel
	.section	.text._ZN7rocprim17ROCPRIM_400000_NS6detail17trampoline_kernelINS0_14default_configENS1_25partition_config_selectorILNS1_17partition_subalgoE0ExNS0_10empty_typeEbEEZZNS1_14partition_implILS5_0ELb0ES3_jN6thrust23THRUST_200600_302600_NS6detail15normal_iteratorINSA_10device_ptrIxEEEEPS6_SG_NS0_5tupleIJNSA_16discard_iteratorINSA_11use_defaultEEESF_EEENSH_IJSG_SG_EEES6_PlJ7is_evenIxEEEE10hipError_tPvRmT3_T4_T5_T6_T7_T9_mT8_P12ihipStream_tbDpT10_ENKUlT_T0_E_clISt17integral_constantIbLb0EES19_EEDaS14_S15_EUlS14_E_NS1_11comp_targetILNS1_3genE3ELNS1_11target_archE908ELNS1_3gpuE7ELNS1_3repE0EEENS1_30default_config_static_selectorELNS0_4arch9wavefront6targetE1EEEvT1_,"axG",@progbits,_ZN7rocprim17ROCPRIM_400000_NS6detail17trampoline_kernelINS0_14default_configENS1_25partition_config_selectorILNS1_17partition_subalgoE0ExNS0_10empty_typeEbEEZZNS1_14partition_implILS5_0ELb0ES3_jN6thrust23THRUST_200600_302600_NS6detail15normal_iteratorINSA_10device_ptrIxEEEEPS6_SG_NS0_5tupleIJNSA_16discard_iteratorINSA_11use_defaultEEESF_EEENSH_IJSG_SG_EEES6_PlJ7is_evenIxEEEE10hipError_tPvRmT3_T4_T5_T6_T7_T9_mT8_P12ihipStream_tbDpT10_ENKUlT_T0_E_clISt17integral_constantIbLb0EES19_EEDaS14_S15_EUlS14_E_NS1_11comp_targetILNS1_3genE3ELNS1_11target_archE908ELNS1_3gpuE7ELNS1_3repE0EEENS1_30default_config_static_selectorELNS0_4arch9wavefront6targetE1EEEvT1_,comdat
.Lfunc_end2654:
	.size	_ZN7rocprim17ROCPRIM_400000_NS6detail17trampoline_kernelINS0_14default_configENS1_25partition_config_selectorILNS1_17partition_subalgoE0ExNS0_10empty_typeEbEEZZNS1_14partition_implILS5_0ELb0ES3_jN6thrust23THRUST_200600_302600_NS6detail15normal_iteratorINSA_10device_ptrIxEEEEPS6_SG_NS0_5tupleIJNSA_16discard_iteratorINSA_11use_defaultEEESF_EEENSH_IJSG_SG_EEES6_PlJ7is_evenIxEEEE10hipError_tPvRmT3_T4_T5_T6_T7_T9_mT8_P12ihipStream_tbDpT10_ENKUlT_T0_E_clISt17integral_constantIbLb0EES19_EEDaS14_S15_EUlS14_E_NS1_11comp_targetILNS1_3genE3ELNS1_11target_archE908ELNS1_3gpuE7ELNS1_3repE0EEENS1_30default_config_static_selectorELNS0_4arch9wavefront6targetE1EEEvT1_, .Lfunc_end2654-_ZN7rocprim17ROCPRIM_400000_NS6detail17trampoline_kernelINS0_14default_configENS1_25partition_config_selectorILNS1_17partition_subalgoE0ExNS0_10empty_typeEbEEZZNS1_14partition_implILS5_0ELb0ES3_jN6thrust23THRUST_200600_302600_NS6detail15normal_iteratorINSA_10device_ptrIxEEEEPS6_SG_NS0_5tupleIJNSA_16discard_iteratorINSA_11use_defaultEEESF_EEENSH_IJSG_SG_EEES6_PlJ7is_evenIxEEEE10hipError_tPvRmT3_T4_T5_T6_T7_T9_mT8_P12ihipStream_tbDpT10_ENKUlT_T0_E_clISt17integral_constantIbLb0EES19_EEDaS14_S15_EUlS14_E_NS1_11comp_targetILNS1_3genE3ELNS1_11target_archE908ELNS1_3gpuE7ELNS1_3repE0EEENS1_30default_config_static_selectorELNS0_4arch9wavefront6targetE1EEEvT1_
                                        ; -- End function
	.section	.AMDGPU.csdata,"",@progbits
; Kernel info:
; codeLenInByte = 0
; NumSgprs: 6
; NumVgprs: 0
; NumAgprs: 0
; TotalNumVgprs: 0
; ScratchSize: 0
; MemoryBound: 0
; FloatMode: 240
; IeeeMode: 1
; LDSByteSize: 0 bytes/workgroup (compile time only)
; SGPRBlocks: 0
; VGPRBlocks: 0
; NumSGPRsForWavesPerEU: 6
; NumVGPRsForWavesPerEU: 1
; AccumOffset: 4
; Occupancy: 8
; WaveLimiterHint : 0
; COMPUTE_PGM_RSRC2:SCRATCH_EN: 0
; COMPUTE_PGM_RSRC2:USER_SGPR: 2
; COMPUTE_PGM_RSRC2:TRAP_HANDLER: 0
; COMPUTE_PGM_RSRC2:TGID_X_EN: 1
; COMPUTE_PGM_RSRC2:TGID_Y_EN: 0
; COMPUTE_PGM_RSRC2:TGID_Z_EN: 0
; COMPUTE_PGM_RSRC2:TIDIG_COMP_CNT: 0
; COMPUTE_PGM_RSRC3_GFX90A:ACCUM_OFFSET: 0
; COMPUTE_PGM_RSRC3_GFX90A:TG_SPLIT: 0
	.section	.text._ZN7rocprim17ROCPRIM_400000_NS6detail17trampoline_kernelINS0_14default_configENS1_25partition_config_selectorILNS1_17partition_subalgoE0ExNS0_10empty_typeEbEEZZNS1_14partition_implILS5_0ELb0ES3_jN6thrust23THRUST_200600_302600_NS6detail15normal_iteratorINSA_10device_ptrIxEEEEPS6_SG_NS0_5tupleIJNSA_16discard_iteratorINSA_11use_defaultEEESF_EEENSH_IJSG_SG_EEES6_PlJ7is_evenIxEEEE10hipError_tPvRmT3_T4_T5_T6_T7_T9_mT8_P12ihipStream_tbDpT10_ENKUlT_T0_E_clISt17integral_constantIbLb0EES19_EEDaS14_S15_EUlS14_E_NS1_11comp_targetILNS1_3genE2ELNS1_11target_archE906ELNS1_3gpuE6ELNS1_3repE0EEENS1_30default_config_static_selectorELNS0_4arch9wavefront6targetE1EEEvT1_,"axG",@progbits,_ZN7rocprim17ROCPRIM_400000_NS6detail17trampoline_kernelINS0_14default_configENS1_25partition_config_selectorILNS1_17partition_subalgoE0ExNS0_10empty_typeEbEEZZNS1_14partition_implILS5_0ELb0ES3_jN6thrust23THRUST_200600_302600_NS6detail15normal_iteratorINSA_10device_ptrIxEEEEPS6_SG_NS0_5tupleIJNSA_16discard_iteratorINSA_11use_defaultEEESF_EEENSH_IJSG_SG_EEES6_PlJ7is_evenIxEEEE10hipError_tPvRmT3_T4_T5_T6_T7_T9_mT8_P12ihipStream_tbDpT10_ENKUlT_T0_E_clISt17integral_constantIbLb0EES19_EEDaS14_S15_EUlS14_E_NS1_11comp_targetILNS1_3genE2ELNS1_11target_archE906ELNS1_3gpuE6ELNS1_3repE0EEENS1_30default_config_static_selectorELNS0_4arch9wavefront6targetE1EEEvT1_,comdat
	.protected	_ZN7rocprim17ROCPRIM_400000_NS6detail17trampoline_kernelINS0_14default_configENS1_25partition_config_selectorILNS1_17partition_subalgoE0ExNS0_10empty_typeEbEEZZNS1_14partition_implILS5_0ELb0ES3_jN6thrust23THRUST_200600_302600_NS6detail15normal_iteratorINSA_10device_ptrIxEEEEPS6_SG_NS0_5tupleIJNSA_16discard_iteratorINSA_11use_defaultEEESF_EEENSH_IJSG_SG_EEES6_PlJ7is_evenIxEEEE10hipError_tPvRmT3_T4_T5_T6_T7_T9_mT8_P12ihipStream_tbDpT10_ENKUlT_T0_E_clISt17integral_constantIbLb0EES19_EEDaS14_S15_EUlS14_E_NS1_11comp_targetILNS1_3genE2ELNS1_11target_archE906ELNS1_3gpuE6ELNS1_3repE0EEENS1_30default_config_static_selectorELNS0_4arch9wavefront6targetE1EEEvT1_ ; -- Begin function _ZN7rocprim17ROCPRIM_400000_NS6detail17trampoline_kernelINS0_14default_configENS1_25partition_config_selectorILNS1_17partition_subalgoE0ExNS0_10empty_typeEbEEZZNS1_14partition_implILS5_0ELb0ES3_jN6thrust23THRUST_200600_302600_NS6detail15normal_iteratorINSA_10device_ptrIxEEEEPS6_SG_NS0_5tupleIJNSA_16discard_iteratorINSA_11use_defaultEEESF_EEENSH_IJSG_SG_EEES6_PlJ7is_evenIxEEEE10hipError_tPvRmT3_T4_T5_T6_T7_T9_mT8_P12ihipStream_tbDpT10_ENKUlT_T0_E_clISt17integral_constantIbLb0EES19_EEDaS14_S15_EUlS14_E_NS1_11comp_targetILNS1_3genE2ELNS1_11target_archE906ELNS1_3gpuE6ELNS1_3repE0EEENS1_30default_config_static_selectorELNS0_4arch9wavefront6targetE1EEEvT1_
	.globl	_ZN7rocprim17ROCPRIM_400000_NS6detail17trampoline_kernelINS0_14default_configENS1_25partition_config_selectorILNS1_17partition_subalgoE0ExNS0_10empty_typeEbEEZZNS1_14partition_implILS5_0ELb0ES3_jN6thrust23THRUST_200600_302600_NS6detail15normal_iteratorINSA_10device_ptrIxEEEEPS6_SG_NS0_5tupleIJNSA_16discard_iteratorINSA_11use_defaultEEESF_EEENSH_IJSG_SG_EEES6_PlJ7is_evenIxEEEE10hipError_tPvRmT3_T4_T5_T6_T7_T9_mT8_P12ihipStream_tbDpT10_ENKUlT_T0_E_clISt17integral_constantIbLb0EES19_EEDaS14_S15_EUlS14_E_NS1_11comp_targetILNS1_3genE2ELNS1_11target_archE906ELNS1_3gpuE6ELNS1_3repE0EEENS1_30default_config_static_selectorELNS0_4arch9wavefront6targetE1EEEvT1_
	.p2align	8
	.type	_ZN7rocprim17ROCPRIM_400000_NS6detail17trampoline_kernelINS0_14default_configENS1_25partition_config_selectorILNS1_17partition_subalgoE0ExNS0_10empty_typeEbEEZZNS1_14partition_implILS5_0ELb0ES3_jN6thrust23THRUST_200600_302600_NS6detail15normal_iteratorINSA_10device_ptrIxEEEEPS6_SG_NS0_5tupleIJNSA_16discard_iteratorINSA_11use_defaultEEESF_EEENSH_IJSG_SG_EEES6_PlJ7is_evenIxEEEE10hipError_tPvRmT3_T4_T5_T6_T7_T9_mT8_P12ihipStream_tbDpT10_ENKUlT_T0_E_clISt17integral_constantIbLb0EES19_EEDaS14_S15_EUlS14_E_NS1_11comp_targetILNS1_3genE2ELNS1_11target_archE906ELNS1_3gpuE6ELNS1_3repE0EEENS1_30default_config_static_selectorELNS0_4arch9wavefront6targetE1EEEvT1_,@function
_ZN7rocprim17ROCPRIM_400000_NS6detail17trampoline_kernelINS0_14default_configENS1_25partition_config_selectorILNS1_17partition_subalgoE0ExNS0_10empty_typeEbEEZZNS1_14partition_implILS5_0ELb0ES3_jN6thrust23THRUST_200600_302600_NS6detail15normal_iteratorINSA_10device_ptrIxEEEEPS6_SG_NS0_5tupleIJNSA_16discard_iteratorINSA_11use_defaultEEESF_EEENSH_IJSG_SG_EEES6_PlJ7is_evenIxEEEE10hipError_tPvRmT3_T4_T5_T6_T7_T9_mT8_P12ihipStream_tbDpT10_ENKUlT_T0_E_clISt17integral_constantIbLb0EES19_EEDaS14_S15_EUlS14_E_NS1_11comp_targetILNS1_3genE2ELNS1_11target_archE906ELNS1_3gpuE6ELNS1_3repE0EEENS1_30default_config_static_selectorELNS0_4arch9wavefront6targetE1EEEvT1_: ; @_ZN7rocprim17ROCPRIM_400000_NS6detail17trampoline_kernelINS0_14default_configENS1_25partition_config_selectorILNS1_17partition_subalgoE0ExNS0_10empty_typeEbEEZZNS1_14partition_implILS5_0ELb0ES3_jN6thrust23THRUST_200600_302600_NS6detail15normal_iteratorINSA_10device_ptrIxEEEEPS6_SG_NS0_5tupleIJNSA_16discard_iteratorINSA_11use_defaultEEESF_EEENSH_IJSG_SG_EEES6_PlJ7is_evenIxEEEE10hipError_tPvRmT3_T4_T5_T6_T7_T9_mT8_P12ihipStream_tbDpT10_ENKUlT_T0_E_clISt17integral_constantIbLb0EES19_EEDaS14_S15_EUlS14_E_NS1_11comp_targetILNS1_3genE2ELNS1_11target_archE906ELNS1_3gpuE6ELNS1_3repE0EEENS1_30default_config_static_selectorELNS0_4arch9wavefront6targetE1EEEvT1_
; %bb.0:
	.section	.rodata,"a",@progbits
	.p2align	6, 0x0
	.amdhsa_kernel _ZN7rocprim17ROCPRIM_400000_NS6detail17trampoline_kernelINS0_14default_configENS1_25partition_config_selectorILNS1_17partition_subalgoE0ExNS0_10empty_typeEbEEZZNS1_14partition_implILS5_0ELb0ES3_jN6thrust23THRUST_200600_302600_NS6detail15normal_iteratorINSA_10device_ptrIxEEEEPS6_SG_NS0_5tupleIJNSA_16discard_iteratorINSA_11use_defaultEEESF_EEENSH_IJSG_SG_EEES6_PlJ7is_evenIxEEEE10hipError_tPvRmT3_T4_T5_T6_T7_T9_mT8_P12ihipStream_tbDpT10_ENKUlT_T0_E_clISt17integral_constantIbLb0EES19_EEDaS14_S15_EUlS14_E_NS1_11comp_targetILNS1_3genE2ELNS1_11target_archE906ELNS1_3gpuE6ELNS1_3repE0EEENS1_30default_config_static_selectorELNS0_4arch9wavefront6targetE1EEEvT1_
		.amdhsa_group_segment_fixed_size 0
		.amdhsa_private_segment_fixed_size 0
		.amdhsa_kernarg_size 128
		.amdhsa_user_sgpr_count 2
		.amdhsa_user_sgpr_dispatch_ptr 0
		.amdhsa_user_sgpr_queue_ptr 0
		.amdhsa_user_sgpr_kernarg_segment_ptr 1
		.amdhsa_user_sgpr_dispatch_id 0
		.amdhsa_user_sgpr_kernarg_preload_length 0
		.amdhsa_user_sgpr_kernarg_preload_offset 0
		.amdhsa_user_sgpr_private_segment_size 0
		.amdhsa_uses_dynamic_stack 0
		.amdhsa_enable_private_segment 0
		.amdhsa_system_sgpr_workgroup_id_x 1
		.amdhsa_system_sgpr_workgroup_id_y 0
		.amdhsa_system_sgpr_workgroup_id_z 0
		.amdhsa_system_sgpr_workgroup_info 0
		.amdhsa_system_vgpr_workitem_id 0
		.amdhsa_next_free_vgpr 1
		.amdhsa_next_free_sgpr 0
		.amdhsa_accum_offset 4
		.amdhsa_reserve_vcc 0
		.amdhsa_float_round_mode_32 0
		.amdhsa_float_round_mode_16_64 0
		.amdhsa_float_denorm_mode_32 3
		.amdhsa_float_denorm_mode_16_64 3
		.amdhsa_dx10_clamp 1
		.amdhsa_ieee_mode 1
		.amdhsa_fp16_overflow 0
		.amdhsa_tg_split 0
		.amdhsa_exception_fp_ieee_invalid_op 0
		.amdhsa_exception_fp_denorm_src 0
		.amdhsa_exception_fp_ieee_div_zero 0
		.amdhsa_exception_fp_ieee_overflow 0
		.amdhsa_exception_fp_ieee_underflow 0
		.amdhsa_exception_fp_ieee_inexact 0
		.amdhsa_exception_int_div_zero 0
	.end_amdhsa_kernel
	.section	.text._ZN7rocprim17ROCPRIM_400000_NS6detail17trampoline_kernelINS0_14default_configENS1_25partition_config_selectorILNS1_17partition_subalgoE0ExNS0_10empty_typeEbEEZZNS1_14partition_implILS5_0ELb0ES3_jN6thrust23THRUST_200600_302600_NS6detail15normal_iteratorINSA_10device_ptrIxEEEEPS6_SG_NS0_5tupleIJNSA_16discard_iteratorINSA_11use_defaultEEESF_EEENSH_IJSG_SG_EEES6_PlJ7is_evenIxEEEE10hipError_tPvRmT3_T4_T5_T6_T7_T9_mT8_P12ihipStream_tbDpT10_ENKUlT_T0_E_clISt17integral_constantIbLb0EES19_EEDaS14_S15_EUlS14_E_NS1_11comp_targetILNS1_3genE2ELNS1_11target_archE906ELNS1_3gpuE6ELNS1_3repE0EEENS1_30default_config_static_selectorELNS0_4arch9wavefront6targetE1EEEvT1_,"axG",@progbits,_ZN7rocprim17ROCPRIM_400000_NS6detail17trampoline_kernelINS0_14default_configENS1_25partition_config_selectorILNS1_17partition_subalgoE0ExNS0_10empty_typeEbEEZZNS1_14partition_implILS5_0ELb0ES3_jN6thrust23THRUST_200600_302600_NS6detail15normal_iteratorINSA_10device_ptrIxEEEEPS6_SG_NS0_5tupleIJNSA_16discard_iteratorINSA_11use_defaultEEESF_EEENSH_IJSG_SG_EEES6_PlJ7is_evenIxEEEE10hipError_tPvRmT3_T4_T5_T6_T7_T9_mT8_P12ihipStream_tbDpT10_ENKUlT_T0_E_clISt17integral_constantIbLb0EES19_EEDaS14_S15_EUlS14_E_NS1_11comp_targetILNS1_3genE2ELNS1_11target_archE906ELNS1_3gpuE6ELNS1_3repE0EEENS1_30default_config_static_selectorELNS0_4arch9wavefront6targetE1EEEvT1_,comdat
.Lfunc_end2655:
	.size	_ZN7rocprim17ROCPRIM_400000_NS6detail17trampoline_kernelINS0_14default_configENS1_25partition_config_selectorILNS1_17partition_subalgoE0ExNS0_10empty_typeEbEEZZNS1_14partition_implILS5_0ELb0ES3_jN6thrust23THRUST_200600_302600_NS6detail15normal_iteratorINSA_10device_ptrIxEEEEPS6_SG_NS0_5tupleIJNSA_16discard_iteratorINSA_11use_defaultEEESF_EEENSH_IJSG_SG_EEES6_PlJ7is_evenIxEEEE10hipError_tPvRmT3_T4_T5_T6_T7_T9_mT8_P12ihipStream_tbDpT10_ENKUlT_T0_E_clISt17integral_constantIbLb0EES19_EEDaS14_S15_EUlS14_E_NS1_11comp_targetILNS1_3genE2ELNS1_11target_archE906ELNS1_3gpuE6ELNS1_3repE0EEENS1_30default_config_static_selectorELNS0_4arch9wavefront6targetE1EEEvT1_, .Lfunc_end2655-_ZN7rocprim17ROCPRIM_400000_NS6detail17trampoline_kernelINS0_14default_configENS1_25partition_config_selectorILNS1_17partition_subalgoE0ExNS0_10empty_typeEbEEZZNS1_14partition_implILS5_0ELb0ES3_jN6thrust23THRUST_200600_302600_NS6detail15normal_iteratorINSA_10device_ptrIxEEEEPS6_SG_NS0_5tupleIJNSA_16discard_iteratorINSA_11use_defaultEEESF_EEENSH_IJSG_SG_EEES6_PlJ7is_evenIxEEEE10hipError_tPvRmT3_T4_T5_T6_T7_T9_mT8_P12ihipStream_tbDpT10_ENKUlT_T0_E_clISt17integral_constantIbLb0EES19_EEDaS14_S15_EUlS14_E_NS1_11comp_targetILNS1_3genE2ELNS1_11target_archE906ELNS1_3gpuE6ELNS1_3repE0EEENS1_30default_config_static_selectorELNS0_4arch9wavefront6targetE1EEEvT1_
                                        ; -- End function
	.section	.AMDGPU.csdata,"",@progbits
; Kernel info:
; codeLenInByte = 0
; NumSgprs: 6
; NumVgprs: 0
; NumAgprs: 0
; TotalNumVgprs: 0
; ScratchSize: 0
; MemoryBound: 0
; FloatMode: 240
; IeeeMode: 1
; LDSByteSize: 0 bytes/workgroup (compile time only)
; SGPRBlocks: 0
; VGPRBlocks: 0
; NumSGPRsForWavesPerEU: 6
; NumVGPRsForWavesPerEU: 1
; AccumOffset: 4
; Occupancy: 8
; WaveLimiterHint : 0
; COMPUTE_PGM_RSRC2:SCRATCH_EN: 0
; COMPUTE_PGM_RSRC2:USER_SGPR: 2
; COMPUTE_PGM_RSRC2:TRAP_HANDLER: 0
; COMPUTE_PGM_RSRC2:TGID_X_EN: 1
; COMPUTE_PGM_RSRC2:TGID_Y_EN: 0
; COMPUTE_PGM_RSRC2:TGID_Z_EN: 0
; COMPUTE_PGM_RSRC2:TIDIG_COMP_CNT: 0
; COMPUTE_PGM_RSRC3_GFX90A:ACCUM_OFFSET: 0
; COMPUTE_PGM_RSRC3_GFX90A:TG_SPLIT: 0
	.section	.text._ZN7rocprim17ROCPRIM_400000_NS6detail17trampoline_kernelINS0_14default_configENS1_25partition_config_selectorILNS1_17partition_subalgoE0ExNS0_10empty_typeEbEEZZNS1_14partition_implILS5_0ELb0ES3_jN6thrust23THRUST_200600_302600_NS6detail15normal_iteratorINSA_10device_ptrIxEEEEPS6_SG_NS0_5tupleIJNSA_16discard_iteratorINSA_11use_defaultEEESF_EEENSH_IJSG_SG_EEES6_PlJ7is_evenIxEEEE10hipError_tPvRmT3_T4_T5_T6_T7_T9_mT8_P12ihipStream_tbDpT10_ENKUlT_T0_E_clISt17integral_constantIbLb0EES19_EEDaS14_S15_EUlS14_E_NS1_11comp_targetILNS1_3genE10ELNS1_11target_archE1200ELNS1_3gpuE4ELNS1_3repE0EEENS1_30default_config_static_selectorELNS0_4arch9wavefront6targetE1EEEvT1_,"axG",@progbits,_ZN7rocprim17ROCPRIM_400000_NS6detail17trampoline_kernelINS0_14default_configENS1_25partition_config_selectorILNS1_17partition_subalgoE0ExNS0_10empty_typeEbEEZZNS1_14partition_implILS5_0ELb0ES3_jN6thrust23THRUST_200600_302600_NS6detail15normal_iteratorINSA_10device_ptrIxEEEEPS6_SG_NS0_5tupleIJNSA_16discard_iteratorINSA_11use_defaultEEESF_EEENSH_IJSG_SG_EEES6_PlJ7is_evenIxEEEE10hipError_tPvRmT3_T4_T5_T6_T7_T9_mT8_P12ihipStream_tbDpT10_ENKUlT_T0_E_clISt17integral_constantIbLb0EES19_EEDaS14_S15_EUlS14_E_NS1_11comp_targetILNS1_3genE10ELNS1_11target_archE1200ELNS1_3gpuE4ELNS1_3repE0EEENS1_30default_config_static_selectorELNS0_4arch9wavefront6targetE1EEEvT1_,comdat
	.protected	_ZN7rocprim17ROCPRIM_400000_NS6detail17trampoline_kernelINS0_14default_configENS1_25partition_config_selectorILNS1_17partition_subalgoE0ExNS0_10empty_typeEbEEZZNS1_14partition_implILS5_0ELb0ES3_jN6thrust23THRUST_200600_302600_NS6detail15normal_iteratorINSA_10device_ptrIxEEEEPS6_SG_NS0_5tupleIJNSA_16discard_iteratorINSA_11use_defaultEEESF_EEENSH_IJSG_SG_EEES6_PlJ7is_evenIxEEEE10hipError_tPvRmT3_T4_T5_T6_T7_T9_mT8_P12ihipStream_tbDpT10_ENKUlT_T0_E_clISt17integral_constantIbLb0EES19_EEDaS14_S15_EUlS14_E_NS1_11comp_targetILNS1_3genE10ELNS1_11target_archE1200ELNS1_3gpuE4ELNS1_3repE0EEENS1_30default_config_static_selectorELNS0_4arch9wavefront6targetE1EEEvT1_ ; -- Begin function _ZN7rocprim17ROCPRIM_400000_NS6detail17trampoline_kernelINS0_14default_configENS1_25partition_config_selectorILNS1_17partition_subalgoE0ExNS0_10empty_typeEbEEZZNS1_14partition_implILS5_0ELb0ES3_jN6thrust23THRUST_200600_302600_NS6detail15normal_iteratorINSA_10device_ptrIxEEEEPS6_SG_NS0_5tupleIJNSA_16discard_iteratorINSA_11use_defaultEEESF_EEENSH_IJSG_SG_EEES6_PlJ7is_evenIxEEEE10hipError_tPvRmT3_T4_T5_T6_T7_T9_mT8_P12ihipStream_tbDpT10_ENKUlT_T0_E_clISt17integral_constantIbLb0EES19_EEDaS14_S15_EUlS14_E_NS1_11comp_targetILNS1_3genE10ELNS1_11target_archE1200ELNS1_3gpuE4ELNS1_3repE0EEENS1_30default_config_static_selectorELNS0_4arch9wavefront6targetE1EEEvT1_
	.globl	_ZN7rocprim17ROCPRIM_400000_NS6detail17trampoline_kernelINS0_14default_configENS1_25partition_config_selectorILNS1_17partition_subalgoE0ExNS0_10empty_typeEbEEZZNS1_14partition_implILS5_0ELb0ES3_jN6thrust23THRUST_200600_302600_NS6detail15normal_iteratorINSA_10device_ptrIxEEEEPS6_SG_NS0_5tupleIJNSA_16discard_iteratorINSA_11use_defaultEEESF_EEENSH_IJSG_SG_EEES6_PlJ7is_evenIxEEEE10hipError_tPvRmT3_T4_T5_T6_T7_T9_mT8_P12ihipStream_tbDpT10_ENKUlT_T0_E_clISt17integral_constantIbLb0EES19_EEDaS14_S15_EUlS14_E_NS1_11comp_targetILNS1_3genE10ELNS1_11target_archE1200ELNS1_3gpuE4ELNS1_3repE0EEENS1_30default_config_static_selectorELNS0_4arch9wavefront6targetE1EEEvT1_
	.p2align	8
	.type	_ZN7rocprim17ROCPRIM_400000_NS6detail17trampoline_kernelINS0_14default_configENS1_25partition_config_selectorILNS1_17partition_subalgoE0ExNS0_10empty_typeEbEEZZNS1_14partition_implILS5_0ELb0ES3_jN6thrust23THRUST_200600_302600_NS6detail15normal_iteratorINSA_10device_ptrIxEEEEPS6_SG_NS0_5tupleIJNSA_16discard_iteratorINSA_11use_defaultEEESF_EEENSH_IJSG_SG_EEES6_PlJ7is_evenIxEEEE10hipError_tPvRmT3_T4_T5_T6_T7_T9_mT8_P12ihipStream_tbDpT10_ENKUlT_T0_E_clISt17integral_constantIbLb0EES19_EEDaS14_S15_EUlS14_E_NS1_11comp_targetILNS1_3genE10ELNS1_11target_archE1200ELNS1_3gpuE4ELNS1_3repE0EEENS1_30default_config_static_selectorELNS0_4arch9wavefront6targetE1EEEvT1_,@function
_ZN7rocprim17ROCPRIM_400000_NS6detail17trampoline_kernelINS0_14default_configENS1_25partition_config_selectorILNS1_17partition_subalgoE0ExNS0_10empty_typeEbEEZZNS1_14partition_implILS5_0ELb0ES3_jN6thrust23THRUST_200600_302600_NS6detail15normal_iteratorINSA_10device_ptrIxEEEEPS6_SG_NS0_5tupleIJNSA_16discard_iteratorINSA_11use_defaultEEESF_EEENSH_IJSG_SG_EEES6_PlJ7is_evenIxEEEE10hipError_tPvRmT3_T4_T5_T6_T7_T9_mT8_P12ihipStream_tbDpT10_ENKUlT_T0_E_clISt17integral_constantIbLb0EES19_EEDaS14_S15_EUlS14_E_NS1_11comp_targetILNS1_3genE10ELNS1_11target_archE1200ELNS1_3gpuE4ELNS1_3repE0EEENS1_30default_config_static_selectorELNS0_4arch9wavefront6targetE1EEEvT1_: ; @_ZN7rocprim17ROCPRIM_400000_NS6detail17trampoline_kernelINS0_14default_configENS1_25partition_config_selectorILNS1_17partition_subalgoE0ExNS0_10empty_typeEbEEZZNS1_14partition_implILS5_0ELb0ES3_jN6thrust23THRUST_200600_302600_NS6detail15normal_iteratorINSA_10device_ptrIxEEEEPS6_SG_NS0_5tupleIJNSA_16discard_iteratorINSA_11use_defaultEEESF_EEENSH_IJSG_SG_EEES6_PlJ7is_evenIxEEEE10hipError_tPvRmT3_T4_T5_T6_T7_T9_mT8_P12ihipStream_tbDpT10_ENKUlT_T0_E_clISt17integral_constantIbLb0EES19_EEDaS14_S15_EUlS14_E_NS1_11comp_targetILNS1_3genE10ELNS1_11target_archE1200ELNS1_3gpuE4ELNS1_3repE0EEENS1_30default_config_static_selectorELNS0_4arch9wavefront6targetE1EEEvT1_
; %bb.0:
	.section	.rodata,"a",@progbits
	.p2align	6, 0x0
	.amdhsa_kernel _ZN7rocprim17ROCPRIM_400000_NS6detail17trampoline_kernelINS0_14default_configENS1_25partition_config_selectorILNS1_17partition_subalgoE0ExNS0_10empty_typeEbEEZZNS1_14partition_implILS5_0ELb0ES3_jN6thrust23THRUST_200600_302600_NS6detail15normal_iteratorINSA_10device_ptrIxEEEEPS6_SG_NS0_5tupleIJNSA_16discard_iteratorINSA_11use_defaultEEESF_EEENSH_IJSG_SG_EEES6_PlJ7is_evenIxEEEE10hipError_tPvRmT3_T4_T5_T6_T7_T9_mT8_P12ihipStream_tbDpT10_ENKUlT_T0_E_clISt17integral_constantIbLb0EES19_EEDaS14_S15_EUlS14_E_NS1_11comp_targetILNS1_3genE10ELNS1_11target_archE1200ELNS1_3gpuE4ELNS1_3repE0EEENS1_30default_config_static_selectorELNS0_4arch9wavefront6targetE1EEEvT1_
		.amdhsa_group_segment_fixed_size 0
		.amdhsa_private_segment_fixed_size 0
		.amdhsa_kernarg_size 128
		.amdhsa_user_sgpr_count 2
		.amdhsa_user_sgpr_dispatch_ptr 0
		.amdhsa_user_sgpr_queue_ptr 0
		.amdhsa_user_sgpr_kernarg_segment_ptr 1
		.amdhsa_user_sgpr_dispatch_id 0
		.amdhsa_user_sgpr_kernarg_preload_length 0
		.amdhsa_user_sgpr_kernarg_preload_offset 0
		.amdhsa_user_sgpr_private_segment_size 0
		.amdhsa_uses_dynamic_stack 0
		.amdhsa_enable_private_segment 0
		.amdhsa_system_sgpr_workgroup_id_x 1
		.amdhsa_system_sgpr_workgroup_id_y 0
		.amdhsa_system_sgpr_workgroup_id_z 0
		.amdhsa_system_sgpr_workgroup_info 0
		.amdhsa_system_vgpr_workitem_id 0
		.amdhsa_next_free_vgpr 1
		.amdhsa_next_free_sgpr 0
		.amdhsa_accum_offset 4
		.amdhsa_reserve_vcc 0
		.amdhsa_float_round_mode_32 0
		.amdhsa_float_round_mode_16_64 0
		.amdhsa_float_denorm_mode_32 3
		.amdhsa_float_denorm_mode_16_64 3
		.amdhsa_dx10_clamp 1
		.amdhsa_ieee_mode 1
		.amdhsa_fp16_overflow 0
		.amdhsa_tg_split 0
		.amdhsa_exception_fp_ieee_invalid_op 0
		.amdhsa_exception_fp_denorm_src 0
		.amdhsa_exception_fp_ieee_div_zero 0
		.amdhsa_exception_fp_ieee_overflow 0
		.amdhsa_exception_fp_ieee_underflow 0
		.amdhsa_exception_fp_ieee_inexact 0
		.amdhsa_exception_int_div_zero 0
	.end_amdhsa_kernel
	.section	.text._ZN7rocprim17ROCPRIM_400000_NS6detail17trampoline_kernelINS0_14default_configENS1_25partition_config_selectorILNS1_17partition_subalgoE0ExNS0_10empty_typeEbEEZZNS1_14partition_implILS5_0ELb0ES3_jN6thrust23THRUST_200600_302600_NS6detail15normal_iteratorINSA_10device_ptrIxEEEEPS6_SG_NS0_5tupleIJNSA_16discard_iteratorINSA_11use_defaultEEESF_EEENSH_IJSG_SG_EEES6_PlJ7is_evenIxEEEE10hipError_tPvRmT3_T4_T5_T6_T7_T9_mT8_P12ihipStream_tbDpT10_ENKUlT_T0_E_clISt17integral_constantIbLb0EES19_EEDaS14_S15_EUlS14_E_NS1_11comp_targetILNS1_3genE10ELNS1_11target_archE1200ELNS1_3gpuE4ELNS1_3repE0EEENS1_30default_config_static_selectorELNS0_4arch9wavefront6targetE1EEEvT1_,"axG",@progbits,_ZN7rocprim17ROCPRIM_400000_NS6detail17trampoline_kernelINS0_14default_configENS1_25partition_config_selectorILNS1_17partition_subalgoE0ExNS0_10empty_typeEbEEZZNS1_14partition_implILS5_0ELb0ES3_jN6thrust23THRUST_200600_302600_NS6detail15normal_iteratorINSA_10device_ptrIxEEEEPS6_SG_NS0_5tupleIJNSA_16discard_iteratorINSA_11use_defaultEEESF_EEENSH_IJSG_SG_EEES6_PlJ7is_evenIxEEEE10hipError_tPvRmT3_T4_T5_T6_T7_T9_mT8_P12ihipStream_tbDpT10_ENKUlT_T0_E_clISt17integral_constantIbLb0EES19_EEDaS14_S15_EUlS14_E_NS1_11comp_targetILNS1_3genE10ELNS1_11target_archE1200ELNS1_3gpuE4ELNS1_3repE0EEENS1_30default_config_static_selectorELNS0_4arch9wavefront6targetE1EEEvT1_,comdat
.Lfunc_end2656:
	.size	_ZN7rocprim17ROCPRIM_400000_NS6detail17trampoline_kernelINS0_14default_configENS1_25partition_config_selectorILNS1_17partition_subalgoE0ExNS0_10empty_typeEbEEZZNS1_14partition_implILS5_0ELb0ES3_jN6thrust23THRUST_200600_302600_NS6detail15normal_iteratorINSA_10device_ptrIxEEEEPS6_SG_NS0_5tupleIJNSA_16discard_iteratorINSA_11use_defaultEEESF_EEENSH_IJSG_SG_EEES6_PlJ7is_evenIxEEEE10hipError_tPvRmT3_T4_T5_T6_T7_T9_mT8_P12ihipStream_tbDpT10_ENKUlT_T0_E_clISt17integral_constantIbLb0EES19_EEDaS14_S15_EUlS14_E_NS1_11comp_targetILNS1_3genE10ELNS1_11target_archE1200ELNS1_3gpuE4ELNS1_3repE0EEENS1_30default_config_static_selectorELNS0_4arch9wavefront6targetE1EEEvT1_, .Lfunc_end2656-_ZN7rocprim17ROCPRIM_400000_NS6detail17trampoline_kernelINS0_14default_configENS1_25partition_config_selectorILNS1_17partition_subalgoE0ExNS0_10empty_typeEbEEZZNS1_14partition_implILS5_0ELb0ES3_jN6thrust23THRUST_200600_302600_NS6detail15normal_iteratorINSA_10device_ptrIxEEEEPS6_SG_NS0_5tupleIJNSA_16discard_iteratorINSA_11use_defaultEEESF_EEENSH_IJSG_SG_EEES6_PlJ7is_evenIxEEEE10hipError_tPvRmT3_T4_T5_T6_T7_T9_mT8_P12ihipStream_tbDpT10_ENKUlT_T0_E_clISt17integral_constantIbLb0EES19_EEDaS14_S15_EUlS14_E_NS1_11comp_targetILNS1_3genE10ELNS1_11target_archE1200ELNS1_3gpuE4ELNS1_3repE0EEENS1_30default_config_static_selectorELNS0_4arch9wavefront6targetE1EEEvT1_
                                        ; -- End function
	.section	.AMDGPU.csdata,"",@progbits
; Kernel info:
; codeLenInByte = 0
; NumSgprs: 6
; NumVgprs: 0
; NumAgprs: 0
; TotalNumVgprs: 0
; ScratchSize: 0
; MemoryBound: 0
; FloatMode: 240
; IeeeMode: 1
; LDSByteSize: 0 bytes/workgroup (compile time only)
; SGPRBlocks: 0
; VGPRBlocks: 0
; NumSGPRsForWavesPerEU: 6
; NumVGPRsForWavesPerEU: 1
; AccumOffset: 4
; Occupancy: 8
; WaveLimiterHint : 0
; COMPUTE_PGM_RSRC2:SCRATCH_EN: 0
; COMPUTE_PGM_RSRC2:USER_SGPR: 2
; COMPUTE_PGM_RSRC2:TRAP_HANDLER: 0
; COMPUTE_PGM_RSRC2:TGID_X_EN: 1
; COMPUTE_PGM_RSRC2:TGID_Y_EN: 0
; COMPUTE_PGM_RSRC2:TGID_Z_EN: 0
; COMPUTE_PGM_RSRC2:TIDIG_COMP_CNT: 0
; COMPUTE_PGM_RSRC3_GFX90A:ACCUM_OFFSET: 0
; COMPUTE_PGM_RSRC3_GFX90A:TG_SPLIT: 0
	.section	.text._ZN7rocprim17ROCPRIM_400000_NS6detail17trampoline_kernelINS0_14default_configENS1_25partition_config_selectorILNS1_17partition_subalgoE0ExNS0_10empty_typeEbEEZZNS1_14partition_implILS5_0ELb0ES3_jN6thrust23THRUST_200600_302600_NS6detail15normal_iteratorINSA_10device_ptrIxEEEEPS6_SG_NS0_5tupleIJNSA_16discard_iteratorINSA_11use_defaultEEESF_EEENSH_IJSG_SG_EEES6_PlJ7is_evenIxEEEE10hipError_tPvRmT3_T4_T5_T6_T7_T9_mT8_P12ihipStream_tbDpT10_ENKUlT_T0_E_clISt17integral_constantIbLb0EES19_EEDaS14_S15_EUlS14_E_NS1_11comp_targetILNS1_3genE9ELNS1_11target_archE1100ELNS1_3gpuE3ELNS1_3repE0EEENS1_30default_config_static_selectorELNS0_4arch9wavefront6targetE1EEEvT1_,"axG",@progbits,_ZN7rocprim17ROCPRIM_400000_NS6detail17trampoline_kernelINS0_14default_configENS1_25partition_config_selectorILNS1_17partition_subalgoE0ExNS0_10empty_typeEbEEZZNS1_14partition_implILS5_0ELb0ES3_jN6thrust23THRUST_200600_302600_NS6detail15normal_iteratorINSA_10device_ptrIxEEEEPS6_SG_NS0_5tupleIJNSA_16discard_iteratorINSA_11use_defaultEEESF_EEENSH_IJSG_SG_EEES6_PlJ7is_evenIxEEEE10hipError_tPvRmT3_T4_T5_T6_T7_T9_mT8_P12ihipStream_tbDpT10_ENKUlT_T0_E_clISt17integral_constantIbLb0EES19_EEDaS14_S15_EUlS14_E_NS1_11comp_targetILNS1_3genE9ELNS1_11target_archE1100ELNS1_3gpuE3ELNS1_3repE0EEENS1_30default_config_static_selectorELNS0_4arch9wavefront6targetE1EEEvT1_,comdat
	.protected	_ZN7rocprim17ROCPRIM_400000_NS6detail17trampoline_kernelINS0_14default_configENS1_25partition_config_selectorILNS1_17partition_subalgoE0ExNS0_10empty_typeEbEEZZNS1_14partition_implILS5_0ELb0ES3_jN6thrust23THRUST_200600_302600_NS6detail15normal_iteratorINSA_10device_ptrIxEEEEPS6_SG_NS0_5tupleIJNSA_16discard_iteratorINSA_11use_defaultEEESF_EEENSH_IJSG_SG_EEES6_PlJ7is_evenIxEEEE10hipError_tPvRmT3_T4_T5_T6_T7_T9_mT8_P12ihipStream_tbDpT10_ENKUlT_T0_E_clISt17integral_constantIbLb0EES19_EEDaS14_S15_EUlS14_E_NS1_11comp_targetILNS1_3genE9ELNS1_11target_archE1100ELNS1_3gpuE3ELNS1_3repE0EEENS1_30default_config_static_selectorELNS0_4arch9wavefront6targetE1EEEvT1_ ; -- Begin function _ZN7rocprim17ROCPRIM_400000_NS6detail17trampoline_kernelINS0_14default_configENS1_25partition_config_selectorILNS1_17partition_subalgoE0ExNS0_10empty_typeEbEEZZNS1_14partition_implILS5_0ELb0ES3_jN6thrust23THRUST_200600_302600_NS6detail15normal_iteratorINSA_10device_ptrIxEEEEPS6_SG_NS0_5tupleIJNSA_16discard_iteratorINSA_11use_defaultEEESF_EEENSH_IJSG_SG_EEES6_PlJ7is_evenIxEEEE10hipError_tPvRmT3_T4_T5_T6_T7_T9_mT8_P12ihipStream_tbDpT10_ENKUlT_T0_E_clISt17integral_constantIbLb0EES19_EEDaS14_S15_EUlS14_E_NS1_11comp_targetILNS1_3genE9ELNS1_11target_archE1100ELNS1_3gpuE3ELNS1_3repE0EEENS1_30default_config_static_selectorELNS0_4arch9wavefront6targetE1EEEvT1_
	.globl	_ZN7rocprim17ROCPRIM_400000_NS6detail17trampoline_kernelINS0_14default_configENS1_25partition_config_selectorILNS1_17partition_subalgoE0ExNS0_10empty_typeEbEEZZNS1_14partition_implILS5_0ELb0ES3_jN6thrust23THRUST_200600_302600_NS6detail15normal_iteratorINSA_10device_ptrIxEEEEPS6_SG_NS0_5tupleIJNSA_16discard_iteratorINSA_11use_defaultEEESF_EEENSH_IJSG_SG_EEES6_PlJ7is_evenIxEEEE10hipError_tPvRmT3_T4_T5_T6_T7_T9_mT8_P12ihipStream_tbDpT10_ENKUlT_T0_E_clISt17integral_constantIbLb0EES19_EEDaS14_S15_EUlS14_E_NS1_11comp_targetILNS1_3genE9ELNS1_11target_archE1100ELNS1_3gpuE3ELNS1_3repE0EEENS1_30default_config_static_selectorELNS0_4arch9wavefront6targetE1EEEvT1_
	.p2align	8
	.type	_ZN7rocprim17ROCPRIM_400000_NS6detail17trampoline_kernelINS0_14default_configENS1_25partition_config_selectorILNS1_17partition_subalgoE0ExNS0_10empty_typeEbEEZZNS1_14partition_implILS5_0ELb0ES3_jN6thrust23THRUST_200600_302600_NS6detail15normal_iteratorINSA_10device_ptrIxEEEEPS6_SG_NS0_5tupleIJNSA_16discard_iteratorINSA_11use_defaultEEESF_EEENSH_IJSG_SG_EEES6_PlJ7is_evenIxEEEE10hipError_tPvRmT3_T4_T5_T6_T7_T9_mT8_P12ihipStream_tbDpT10_ENKUlT_T0_E_clISt17integral_constantIbLb0EES19_EEDaS14_S15_EUlS14_E_NS1_11comp_targetILNS1_3genE9ELNS1_11target_archE1100ELNS1_3gpuE3ELNS1_3repE0EEENS1_30default_config_static_selectorELNS0_4arch9wavefront6targetE1EEEvT1_,@function
_ZN7rocprim17ROCPRIM_400000_NS6detail17trampoline_kernelINS0_14default_configENS1_25partition_config_selectorILNS1_17partition_subalgoE0ExNS0_10empty_typeEbEEZZNS1_14partition_implILS5_0ELb0ES3_jN6thrust23THRUST_200600_302600_NS6detail15normal_iteratorINSA_10device_ptrIxEEEEPS6_SG_NS0_5tupleIJNSA_16discard_iteratorINSA_11use_defaultEEESF_EEENSH_IJSG_SG_EEES6_PlJ7is_evenIxEEEE10hipError_tPvRmT3_T4_T5_T6_T7_T9_mT8_P12ihipStream_tbDpT10_ENKUlT_T0_E_clISt17integral_constantIbLb0EES19_EEDaS14_S15_EUlS14_E_NS1_11comp_targetILNS1_3genE9ELNS1_11target_archE1100ELNS1_3gpuE3ELNS1_3repE0EEENS1_30default_config_static_selectorELNS0_4arch9wavefront6targetE1EEEvT1_: ; @_ZN7rocprim17ROCPRIM_400000_NS6detail17trampoline_kernelINS0_14default_configENS1_25partition_config_selectorILNS1_17partition_subalgoE0ExNS0_10empty_typeEbEEZZNS1_14partition_implILS5_0ELb0ES3_jN6thrust23THRUST_200600_302600_NS6detail15normal_iteratorINSA_10device_ptrIxEEEEPS6_SG_NS0_5tupleIJNSA_16discard_iteratorINSA_11use_defaultEEESF_EEENSH_IJSG_SG_EEES6_PlJ7is_evenIxEEEE10hipError_tPvRmT3_T4_T5_T6_T7_T9_mT8_P12ihipStream_tbDpT10_ENKUlT_T0_E_clISt17integral_constantIbLb0EES19_EEDaS14_S15_EUlS14_E_NS1_11comp_targetILNS1_3genE9ELNS1_11target_archE1100ELNS1_3gpuE3ELNS1_3repE0EEENS1_30default_config_static_selectorELNS0_4arch9wavefront6targetE1EEEvT1_
; %bb.0:
	.section	.rodata,"a",@progbits
	.p2align	6, 0x0
	.amdhsa_kernel _ZN7rocprim17ROCPRIM_400000_NS6detail17trampoline_kernelINS0_14default_configENS1_25partition_config_selectorILNS1_17partition_subalgoE0ExNS0_10empty_typeEbEEZZNS1_14partition_implILS5_0ELb0ES3_jN6thrust23THRUST_200600_302600_NS6detail15normal_iteratorINSA_10device_ptrIxEEEEPS6_SG_NS0_5tupleIJNSA_16discard_iteratorINSA_11use_defaultEEESF_EEENSH_IJSG_SG_EEES6_PlJ7is_evenIxEEEE10hipError_tPvRmT3_T4_T5_T6_T7_T9_mT8_P12ihipStream_tbDpT10_ENKUlT_T0_E_clISt17integral_constantIbLb0EES19_EEDaS14_S15_EUlS14_E_NS1_11comp_targetILNS1_3genE9ELNS1_11target_archE1100ELNS1_3gpuE3ELNS1_3repE0EEENS1_30default_config_static_selectorELNS0_4arch9wavefront6targetE1EEEvT1_
		.amdhsa_group_segment_fixed_size 0
		.amdhsa_private_segment_fixed_size 0
		.amdhsa_kernarg_size 128
		.amdhsa_user_sgpr_count 2
		.amdhsa_user_sgpr_dispatch_ptr 0
		.amdhsa_user_sgpr_queue_ptr 0
		.amdhsa_user_sgpr_kernarg_segment_ptr 1
		.amdhsa_user_sgpr_dispatch_id 0
		.amdhsa_user_sgpr_kernarg_preload_length 0
		.amdhsa_user_sgpr_kernarg_preload_offset 0
		.amdhsa_user_sgpr_private_segment_size 0
		.amdhsa_uses_dynamic_stack 0
		.amdhsa_enable_private_segment 0
		.amdhsa_system_sgpr_workgroup_id_x 1
		.amdhsa_system_sgpr_workgroup_id_y 0
		.amdhsa_system_sgpr_workgroup_id_z 0
		.amdhsa_system_sgpr_workgroup_info 0
		.amdhsa_system_vgpr_workitem_id 0
		.amdhsa_next_free_vgpr 1
		.amdhsa_next_free_sgpr 0
		.amdhsa_accum_offset 4
		.amdhsa_reserve_vcc 0
		.amdhsa_float_round_mode_32 0
		.amdhsa_float_round_mode_16_64 0
		.amdhsa_float_denorm_mode_32 3
		.amdhsa_float_denorm_mode_16_64 3
		.amdhsa_dx10_clamp 1
		.amdhsa_ieee_mode 1
		.amdhsa_fp16_overflow 0
		.amdhsa_tg_split 0
		.amdhsa_exception_fp_ieee_invalid_op 0
		.amdhsa_exception_fp_denorm_src 0
		.amdhsa_exception_fp_ieee_div_zero 0
		.amdhsa_exception_fp_ieee_overflow 0
		.amdhsa_exception_fp_ieee_underflow 0
		.amdhsa_exception_fp_ieee_inexact 0
		.amdhsa_exception_int_div_zero 0
	.end_amdhsa_kernel
	.section	.text._ZN7rocprim17ROCPRIM_400000_NS6detail17trampoline_kernelINS0_14default_configENS1_25partition_config_selectorILNS1_17partition_subalgoE0ExNS0_10empty_typeEbEEZZNS1_14partition_implILS5_0ELb0ES3_jN6thrust23THRUST_200600_302600_NS6detail15normal_iteratorINSA_10device_ptrIxEEEEPS6_SG_NS0_5tupleIJNSA_16discard_iteratorINSA_11use_defaultEEESF_EEENSH_IJSG_SG_EEES6_PlJ7is_evenIxEEEE10hipError_tPvRmT3_T4_T5_T6_T7_T9_mT8_P12ihipStream_tbDpT10_ENKUlT_T0_E_clISt17integral_constantIbLb0EES19_EEDaS14_S15_EUlS14_E_NS1_11comp_targetILNS1_3genE9ELNS1_11target_archE1100ELNS1_3gpuE3ELNS1_3repE0EEENS1_30default_config_static_selectorELNS0_4arch9wavefront6targetE1EEEvT1_,"axG",@progbits,_ZN7rocprim17ROCPRIM_400000_NS6detail17trampoline_kernelINS0_14default_configENS1_25partition_config_selectorILNS1_17partition_subalgoE0ExNS0_10empty_typeEbEEZZNS1_14partition_implILS5_0ELb0ES3_jN6thrust23THRUST_200600_302600_NS6detail15normal_iteratorINSA_10device_ptrIxEEEEPS6_SG_NS0_5tupleIJNSA_16discard_iteratorINSA_11use_defaultEEESF_EEENSH_IJSG_SG_EEES6_PlJ7is_evenIxEEEE10hipError_tPvRmT3_T4_T5_T6_T7_T9_mT8_P12ihipStream_tbDpT10_ENKUlT_T0_E_clISt17integral_constantIbLb0EES19_EEDaS14_S15_EUlS14_E_NS1_11comp_targetILNS1_3genE9ELNS1_11target_archE1100ELNS1_3gpuE3ELNS1_3repE0EEENS1_30default_config_static_selectorELNS0_4arch9wavefront6targetE1EEEvT1_,comdat
.Lfunc_end2657:
	.size	_ZN7rocprim17ROCPRIM_400000_NS6detail17trampoline_kernelINS0_14default_configENS1_25partition_config_selectorILNS1_17partition_subalgoE0ExNS0_10empty_typeEbEEZZNS1_14partition_implILS5_0ELb0ES3_jN6thrust23THRUST_200600_302600_NS6detail15normal_iteratorINSA_10device_ptrIxEEEEPS6_SG_NS0_5tupleIJNSA_16discard_iteratorINSA_11use_defaultEEESF_EEENSH_IJSG_SG_EEES6_PlJ7is_evenIxEEEE10hipError_tPvRmT3_T4_T5_T6_T7_T9_mT8_P12ihipStream_tbDpT10_ENKUlT_T0_E_clISt17integral_constantIbLb0EES19_EEDaS14_S15_EUlS14_E_NS1_11comp_targetILNS1_3genE9ELNS1_11target_archE1100ELNS1_3gpuE3ELNS1_3repE0EEENS1_30default_config_static_selectorELNS0_4arch9wavefront6targetE1EEEvT1_, .Lfunc_end2657-_ZN7rocprim17ROCPRIM_400000_NS6detail17trampoline_kernelINS0_14default_configENS1_25partition_config_selectorILNS1_17partition_subalgoE0ExNS0_10empty_typeEbEEZZNS1_14partition_implILS5_0ELb0ES3_jN6thrust23THRUST_200600_302600_NS6detail15normal_iteratorINSA_10device_ptrIxEEEEPS6_SG_NS0_5tupleIJNSA_16discard_iteratorINSA_11use_defaultEEESF_EEENSH_IJSG_SG_EEES6_PlJ7is_evenIxEEEE10hipError_tPvRmT3_T4_T5_T6_T7_T9_mT8_P12ihipStream_tbDpT10_ENKUlT_T0_E_clISt17integral_constantIbLb0EES19_EEDaS14_S15_EUlS14_E_NS1_11comp_targetILNS1_3genE9ELNS1_11target_archE1100ELNS1_3gpuE3ELNS1_3repE0EEENS1_30default_config_static_selectorELNS0_4arch9wavefront6targetE1EEEvT1_
                                        ; -- End function
	.section	.AMDGPU.csdata,"",@progbits
; Kernel info:
; codeLenInByte = 0
; NumSgprs: 6
; NumVgprs: 0
; NumAgprs: 0
; TotalNumVgprs: 0
; ScratchSize: 0
; MemoryBound: 0
; FloatMode: 240
; IeeeMode: 1
; LDSByteSize: 0 bytes/workgroup (compile time only)
; SGPRBlocks: 0
; VGPRBlocks: 0
; NumSGPRsForWavesPerEU: 6
; NumVGPRsForWavesPerEU: 1
; AccumOffset: 4
; Occupancy: 8
; WaveLimiterHint : 0
; COMPUTE_PGM_RSRC2:SCRATCH_EN: 0
; COMPUTE_PGM_RSRC2:USER_SGPR: 2
; COMPUTE_PGM_RSRC2:TRAP_HANDLER: 0
; COMPUTE_PGM_RSRC2:TGID_X_EN: 1
; COMPUTE_PGM_RSRC2:TGID_Y_EN: 0
; COMPUTE_PGM_RSRC2:TGID_Z_EN: 0
; COMPUTE_PGM_RSRC2:TIDIG_COMP_CNT: 0
; COMPUTE_PGM_RSRC3_GFX90A:ACCUM_OFFSET: 0
; COMPUTE_PGM_RSRC3_GFX90A:TG_SPLIT: 0
	.section	.text._ZN7rocprim17ROCPRIM_400000_NS6detail17trampoline_kernelINS0_14default_configENS1_25partition_config_selectorILNS1_17partition_subalgoE0ExNS0_10empty_typeEbEEZZNS1_14partition_implILS5_0ELb0ES3_jN6thrust23THRUST_200600_302600_NS6detail15normal_iteratorINSA_10device_ptrIxEEEEPS6_SG_NS0_5tupleIJNSA_16discard_iteratorINSA_11use_defaultEEESF_EEENSH_IJSG_SG_EEES6_PlJ7is_evenIxEEEE10hipError_tPvRmT3_T4_T5_T6_T7_T9_mT8_P12ihipStream_tbDpT10_ENKUlT_T0_E_clISt17integral_constantIbLb0EES19_EEDaS14_S15_EUlS14_E_NS1_11comp_targetILNS1_3genE8ELNS1_11target_archE1030ELNS1_3gpuE2ELNS1_3repE0EEENS1_30default_config_static_selectorELNS0_4arch9wavefront6targetE1EEEvT1_,"axG",@progbits,_ZN7rocprim17ROCPRIM_400000_NS6detail17trampoline_kernelINS0_14default_configENS1_25partition_config_selectorILNS1_17partition_subalgoE0ExNS0_10empty_typeEbEEZZNS1_14partition_implILS5_0ELb0ES3_jN6thrust23THRUST_200600_302600_NS6detail15normal_iteratorINSA_10device_ptrIxEEEEPS6_SG_NS0_5tupleIJNSA_16discard_iteratorINSA_11use_defaultEEESF_EEENSH_IJSG_SG_EEES6_PlJ7is_evenIxEEEE10hipError_tPvRmT3_T4_T5_T6_T7_T9_mT8_P12ihipStream_tbDpT10_ENKUlT_T0_E_clISt17integral_constantIbLb0EES19_EEDaS14_S15_EUlS14_E_NS1_11comp_targetILNS1_3genE8ELNS1_11target_archE1030ELNS1_3gpuE2ELNS1_3repE0EEENS1_30default_config_static_selectorELNS0_4arch9wavefront6targetE1EEEvT1_,comdat
	.protected	_ZN7rocprim17ROCPRIM_400000_NS6detail17trampoline_kernelINS0_14default_configENS1_25partition_config_selectorILNS1_17partition_subalgoE0ExNS0_10empty_typeEbEEZZNS1_14partition_implILS5_0ELb0ES3_jN6thrust23THRUST_200600_302600_NS6detail15normal_iteratorINSA_10device_ptrIxEEEEPS6_SG_NS0_5tupleIJNSA_16discard_iteratorINSA_11use_defaultEEESF_EEENSH_IJSG_SG_EEES6_PlJ7is_evenIxEEEE10hipError_tPvRmT3_T4_T5_T6_T7_T9_mT8_P12ihipStream_tbDpT10_ENKUlT_T0_E_clISt17integral_constantIbLb0EES19_EEDaS14_S15_EUlS14_E_NS1_11comp_targetILNS1_3genE8ELNS1_11target_archE1030ELNS1_3gpuE2ELNS1_3repE0EEENS1_30default_config_static_selectorELNS0_4arch9wavefront6targetE1EEEvT1_ ; -- Begin function _ZN7rocprim17ROCPRIM_400000_NS6detail17trampoline_kernelINS0_14default_configENS1_25partition_config_selectorILNS1_17partition_subalgoE0ExNS0_10empty_typeEbEEZZNS1_14partition_implILS5_0ELb0ES3_jN6thrust23THRUST_200600_302600_NS6detail15normal_iteratorINSA_10device_ptrIxEEEEPS6_SG_NS0_5tupleIJNSA_16discard_iteratorINSA_11use_defaultEEESF_EEENSH_IJSG_SG_EEES6_PlJ7is_evenIxEEEE10hipError_tPvRmT3_T4_T5_T6_T7_T9_mT8_P12ihipStream_tbDpT10_ENKUlT_T0_E_clISt17integral_constantIbLb0EES19_EEDaS14_S15_EUlS14_E_NS1_11comp_targetILNS1_3genE8ELNS1_11target_archE1030ELNS1_3gpuE2ELNS1_3repE0EEENS1_30default_config_static_selectorELNS0_4arch9wavefront6targetE1EEEvT1_
	.globl	_ZN7rocprim17ROCPRIM_400000_NS6detail17trampoline_kernelINS0_14default_configENS1_25partition_config_selectorILNS1_17partition_subalgoE0ExNS0_10empty_typeEbEEZZNS1_14partition_implILS5_0ELb0ES3_jN6thrust23THRUST_200600_302600_NS6detail15normal_iteratorINSA_10device_ptrIxEEEEPS6_SG_NS0_5tupleIJNSA_16discard_iteratorINSA_11use_defaultEEESF_EEENSH_IJSG_SG_EEES6_PlJ7is_evenIxEEEE10hipError_tPvRmT3_T4_T5_T6_T7_T9_mT8_P12ihipStream_tbDpT10_ENKUlT_T0_E_clISt17integral_constantIbLb0EES19_EEDaS14_S15_EUlS14_E_NS1_11comp_targetILNS1_3genE8ELNS1_11target_archE1030ELNS1_3gpuE2ELNS1_3repE0EEENS1_30default_config_static_selectorELNS0_4arch9wavefront6targetE1EEEvT1_
	.p2align	8
	.type	_ZN7rocprim17ROCPRIM_400000_NS6detail17trampoline_kernelINS0_14default_configENS1_25partition_config_selectorILNS1_17partition_subalgoE0ExNS0_10empty_typeEbEEZZNS1_14partition_implILS5_0ELb0ES3_jN6thrust23THRUST_200600_302600_NS6detail15normal_iteratorINSA_10device_ptrIxEEEEPS6_SG_NS0_5tupleIJNSA_16discard_iteratorINSA_11use_defaultEEESF_EEENSH_IJSG_SG_EEES6_PlJ7is_evenIxEEEE10hipError_tPvRmT3_T4_T5_T6_T7_T9_mT8_P12ihipStream_tbDpT10_ENKUlT_T0_E_clISt17integral_constantIbLb0EES19_EEDaS14_S15_EUlS14_E_NS1_11comp_targetILNS1_3genE8ELNS1_11target_archE1030ELNS1_3gpuE2ELNS1_3repE0EEENS1_30default_config_static_selectorELNS0_4arch9wavefront6targetE1EEEvT1_,@function
_ZN7rocprim17ROCPRIM_400000_NS6detail17trampoline_kernelINS0_14default_configENS1_25partition_config_selectorILNS1_17partition_subalgoE0ExNS0_10empty_typeEbEEZZNS1_14partition_implILS5_0ELb0ES3_jN6thrust23THRUST_200600_302600_NS6detail15normal_iteratorINSA_10device_ptrIxEEEEPS6_SG_NS0_5tupleIJNSA_16discard_iteratorINSA_11use_defaultEEESF_EEENSH_IJSG_SG_EEES6_PlJ7is_evenIxEEEE10hipError_tPvRmT3_T4_T5_T6_T7_T9_mT8_P12ihipStream_tbDpT10_ENKUlT_T0_E_clISt17integral_constantIbLb0EES19_EEDaS14_S15_EUlS14_E_NS1_11comp_targetILNS1_3genE8ELNS1_11target_archE1030ELNS1_3gpuE2ELNS1_3repE0EEENS1_30default_config_static_selectorELNS0_4arch9wavefront6targetE1EEEvT1_: ; @_ZN7rocprim17ROCPRIM_400000_NS6detail17trampoline_kernelINS0_14default_configENS1_25partition_config_selectorILNS1_17partition_subalgoE0ExNS0_10empty_typeEbEEZZNS1_14partition_implILS5_0ELb0ES3_jN6thrust23THRUST_200600_302600_NS6detail15normal_iteratorINSA_10device_ptrIxEEEEPS6_SG_NS0_5tupleIJNSA_16discard_iteratorINSA_11use_defaultEEESF_EEENSH_IJSG_SG_EEES6_PlJ7is_evenIxEEEE10hipError_tPvRmT3_T4_T5_T6_T7_T9_mT8_P12ihipStream_tbDpT10_ENKUlT_T0_E_clISt17integral_constantIbLb0EES19_EEDaS14_S15_EUlS14_E_NS1_11comp_targetILNS1_3genE8ELNS1_11target_archE1030ELNS1_3gpuE2ELNS1_3repE0EEENS1_30default_config_static_selectorELNS0_4arch9wavefront6targetE1EEEvT1_
; %bb.0:
	.section	.rodata,"a",@progbits
	.p2align	6, 0x0
	.amdhsa_kernel _ZN7rocprim17ROCPRIM_400000_NS6detail17trampoline_kernelINS0_14default_configENS1_25partition_config_selectorILNS1_17partition_subalgoE0ExNS0_10empty_typeEbEEZZNS1_14partition_implILS5_0ELb0ES3_jN6thrust23THRUST_200600_302600_NS6detail15normal_iteratorINSA_10device_ptrIxEEEEPS6_SG_NS0_5tupleIJNSA_16discard_iteratorINSA_11use_defaultEEESF_EEENSH_IJSG_SG_EEES6_PlJ7is_evenIxEEEE10hipError_tPvRmT3_T4_T5_T6_T7_T9_mT8_P12ihipStream_tbDpT10_ENKUlT_T0_E_clISt17integral_constantIbLb0EES19_EEDaS14_S15_EUlS14_E_NS1_11comp_targetILNS1_3genE8ELNS1_11target_archE1030ELNS1_3gpuE2ELNS1_3repE0EEENS1_30default_config_static_selectorELNS0_4arch9wavefront6targetE1EEEvT1_
		.amdhsa_group_segment_fixed_size 0
		.amdhsa_private_segment_fixed_size 0
		.amdhsa_kernarg_size 128
		.amdhsa_user_sgpr_count 2
		.amdhsa_user_sgpr_dispatch_ptr 0
		.amdhsa_user_sgpr_queue_ptr 0
		.amdhsa_user_sgpr_kernarg_segment_ptr 1
		.amdhsa_user_sgpr_dispatch_id 0
		.amdhsa_user_sgpr_kernarg_preload_length 0
		.amdhsa_user_sgpr_kernarg_preload_offset 0
		.amdhsa_user_sgpr_private_segment_size 0
		.amdhsa_uses_dynamic_stack 0
		.amdhsa_enable_private_segment 0
		.amdhsa_system_sgpr_workgroup_id_x 1
		.amdhsa_system_sgpr_workgroup_id_y 0
		.amdhsa_system_sgpr_workgroup_id_z 0
		.amdhsa_system_sgpr_workgroup_info 0
		.amdhsa_system_vgpr_workitem_id 0
		.amdhsa_next_free_vgpr 1
		.amdhsa_next_free_sgpr 0
		.amdhsa_accum_offset 4
		.amdhsa_reserve_vcc 0
		.amdhsa_float_round_mode_32 0
		.amdhsa_float_round_mode_16_64 0
		.amdhsa_float_denorm_mode_32 3
		.amdhsa_float_denorm_mode_16_64 3
		.amdhsa_dx10_clamp 1
		.amdhsa_ieee_mode 1
		.amdhsa_fp16_overflow 0
		.amdhsa_tg_split 0
		.amdhsa_exception_fp_ieee_invalid_op 0
		.amdhsa_exception_fp_denorm_src 0
		.amdhsa_exception_fp_ieee_div_zero 0
		.amdhsa_exception_fp_ieee_overflow 0
		.amdhsa_exception_fp_ieee_underflow 0
		.amdhsa_exception_fp_ieee_inexact 0
		.amdhsa_exception_int_div_zero 0
	.end_amdhsa_kernel
	.section	.text._ZN7rocprim17ROCPRIM_400000_NS6detail17trampoline_kernelINS0_14default_configENS1_25partition_config_selectorILNS1_17partition_subalgoE0ExNS0_10empty_typeEbEEZZNS1_14partition_implILS5_0ELb0ES3_jN6thrust23THRUST_200600_302600_NS6detail15normal_iteratorINSA_10device_ptrIxEEEEPS6_SG_NS0_5tupleIJNSA_16discard_iteratorINSA_11use_defaultEEESF_EEENSH_IJSG_SG_EEES6_PlJ7is_evenIxEEEE10hipError_tPvRmT3_T4_T5_T6_T7_T9_mT8_P12ihipStream_tbDpT10_ENKUlT_T0_E_clISt17integral_constantIbLb0EES19_EEDaS14_S15_EUlS14_E_NS1_11comp_targetILNS1_3genE8ELNS1_11target_archE1030ELNS1_3gpuE2ELNS1_3repE0EEENS1_30default_config_static_selectorELNS0_4arch9wavefront6targetE1EEEvT1_,"axG",@progbits,_ZN7rocprim17ROCPRIM_400000_NS6detail17trampoline_kernelINS0_14default_configENS1_25partition_config_selectorILNS1_17partition_subalgoE0ExNS0_10empty_typeEbEEZZNS1_14partition_implILS5_0ELb0ES3_jN6thrust23THRUST_200600_302600_NS6detail15normal_iteratorINSA_10device_ptrIxEEEEPS6_SG_NS0_5tupleIJNSA_16discard_iteratorINSA_11use_defaultEEESF_EEENSH_IJSG_SG_EEES6_PlJ7is_evenIxEEEE10hipError_tPvRmT3_T4_T5_T6_T7_T9_mT8_P12ihipStream_tbDpT10_ENKUlT_T0_E_clISt17integral_constantIbLb0EES19_EEDaS14_S15_EUlS14_E_NS1_11comp_targetILNS1_3genE8ELNS1_11target_archE1030ELNS1_3gpuE2ELNS1_3repE0EEENS1_30default_config_static_selectorELNS0_4arch9wavefront6targetE1EEEvT1_,comdat
.Lfunc_end2658:
	.size	_ZN7rocprim17ROCPRIM_400000_NS6detail17trampoline_kernelINS0_14default_configENS1_25partition_config_selectorILNS1_17partition_subalgoE0ExNS0_10empty_typeEbEEZZNS1_14partition_implILS5_0ELb0ES3_jN6thrust23THRUST_200600_302600_NS6detail15normal_iteratorINSA_10device_ptrIxEEEEPS6_SG_NS0_5tupleIJNSA_16discard_iteratorINSA_11use_defaultEEESF_EEENSH_IJSG_SG_EEES6_PlJ7is_evenIxEEEE10hipError_tPvRmT3_T4_T5_T6_T7_T9_mT8_P12ihipStream_tbDpT10_ENKUlT_T0_E_clISt17integral_constantIbLb0EES19_EEDaS14_S15_EUlS14_E_NS1_11comp_targetILNS1_3genE8ELNS1_11target_archE1030ELNS1_3gpuE2ELNS1_3repE0EEENS1_30default_config_static_selectorELNS0_4arch9wavefront6targetE1EEEvT1_, .Lfunc_end2658-_ZN7rocprim17ROCPRIM_400000_NS6detail17trampoline_kernelINS0_14default_configENS1_25partition_config_selectorILNS1_17partition_subalgoE0ExNS0_10empty_typeEbEEZZNS1_14partition_implILS5_0ELb0ES3_jN6thrust23THRUST_200600_302600_NS6detail15normal_iteratorINSA_10device_ptrIxEEEEPS6_SG_NS0_5tupleIJNSA_16discard_iteratorINSA_11use_defaultEEESF_EEENSH_IJSG_SG_EEES6_PlJ7is_evenIxEEEE10hipError_tPvRmT3_T4_T5_T6_T7_T9_mT8_P12ihipStream_tbDpT10_ENKUlT_T0_E_clISt17integral_constantIbLb0EES19_EEDaS14_S15_EUlS14_E_NS1_11comp_targetILNS1_3genE8ELNS1_11target_archE1030ELNS1_3gpuE2ELNS1_3repE0EEENS1_30default_config_static_selectorELNS0_4arch9wavefront6targetE1EEEvT1_
                                        ; -- End function
	.section	.AMDGPU.csdata,"",@progbits
; Kernel info:
; codeLenInByte = 0
; NumSgprs: 6
; NumVgprs: 0
; NumAgprs: 0
; TotalNumVgprs: 0
; ScratchSize: 0
; MemoryBound: 0
; FloatMode: 240
; IeeeMode: 1
; LDSByteSize: 0 bytes/workgroup (compile time only)
; SGPRBlocks: 0
; VGPRBlocks: 0
; NumSGPRsForWavesPerEU: 6
; NumVGPRsForWavesPerEU: 1
; AccumOffset: 4
; Occupancy: 8
; WaveLimiterHint : 0
; COMPUTE_PGM_RSRC2:SCRATCH_EN: 0
; COMPUTE_PGM_RSRC2:USER_SGPR: 2
; COMPUTE_PGM_RSRC2:TRAP_HANDLER: 0
; COMPUTE_PGM_RSRC2:TGID_X_EN: 1
; COMPUTE_PGM_RSRC2:TGID_Y_EN: 0
; COMPUTE_PGM_RSRC2:TGID_Z_EN: 0
; COMPUTE_PGM_RSRC2:TIDIG_COMP_CNT: 0
; COMPUTE_PGM_RSRC3_GFX90A:ACCUM_OFFSET: 0
; COMPUTE_PGM_RSRC3_GFX90A:TG_SPLIT: 0
	.section	.text._ZN7rocprim17ROCPRIM_400000_NS6detail17trampoline_kernelINS0_14default_configENS1_25partition_config_selectorILNS1_17partition_subalgoE0ExNS0_10empty_typeEbEEZZNS1_14partition_implILS5_0ELb0ES3_jN6thrust23THRUST_200600_302600_NS6detail15normal_iteratorINSA_10device_ptrIxEEEEPS6_SG_NS0_5tupleIJNSA_16discard_iteratorINSA_11use_defaultEEESF_EEENSH_IJSG_SG_EEES6_PlJ7is_evenIxEEEE10hipError_tPvRmT3_T4_T5_T6_T7_T9_mT8_P12ihipStream_tbDpT10_ENKUlT_T0_E_clISt17integral_constantIbLb1EES19_EEDaS14_S15_EUlS14_E_NS1_11comp_targetILNS1_3genE0ELNS1_11target_archE4294967295ELNS1_3gpuE0ELNS1_3repE0EEENS1_30default_config_static_selectorELNS0_4arch9wavefront6targetE1EEEvT1_,"axG",@progbits,_ZN7rocprim17ROCPRIM_400000_NS6detail17trampoline_kernelINS0_14default_configENS1_25partition_config_selectorILNS1_17partition_subalgoE0ExNS0_10empty_typeEbEEZZNS1_14partition_implILS5_0ELb0ES3_jN6thrust23THRUST_200600_302600_NS6detail15normal_iteratorINSA_10device_ptrIxEEEEPS6_SG_NS0_5tupleIJNSA_16discard_iteratorINSA_11use_defaultEEESF_EEENSH_IJSG_SG_EEES6_PlJ7is_evenIxEEEE10hipError_tPvRmT3_T4_T5_T6_T7_T9_mT8_P12ihipStream_tbDpT10_ENKUlT_T0_E_clISt17integral_constantIbLb1EES19_EEDaS14_S15_EUlS14_E_NS1_11comp_targetILNS1_3genE0ELNS1_11target_archE4294967295ELNS1_3gpuE0ELNS1_3repE0EEENS1_30default_config_static_selectorELNS0_4arch9wavefront6targetE1EEEvT1_,comdat
	.protected	_ZN7rocprim17ROCPRIM_400000_NS6detail17trampoline_kernelINS0_14default_configENS1_25partition_config_selectorILNS1_17partition_subalgoE0ExNS0_10empty_typeEbEEZZNS1_14partition_implILS5_0ELb0ES3_jN6thrust23THRUST_200600_302600_NS6detail15normal_iteratorINSA_10device_ptrIxEEEEPS6_SG_NS0_5tupleIJNSA_16discard_iteratorINSA_11use_defaultEEESF_EEENSH_IJSG_SG_EEES6_PlJ7is_evenIxEEEE10hipError_tPvRmT3_T4_T5_T6_T7_T9_mT8_P12ihipStream_tbDpT10_ENKUlT_T0_E_clISt17integral_constantIbLb1EES19_EEDaS14_S15_EUlS14_E_NS1_11comp_targetILNS1_3genE0ELNS1_11target_archE4294967295ELNS1_3gpuE0ELNS1_3repE0EEENS1_30default_config_static_selectorELNS0_4arch9wavefront6targetE1EEEvT1_ ; -- Begin function _ZN7rocprim17ROCPRIM_400000_NS6detail17trampoline_kernelINS0_14default_configENS1_25partition_config_selectorILNS1_17partition_subalgoE0ExNS0_10empty_typeEbEEZZNS1_14partition_implILS5_0ELb0ES3_jN6thrust23THRUST_200600_302600_NS6detail15normal_iteratorINSA_10device_ptrIxEEEEPS6_SG_NS0_5tupleIJNSA_16discard_iteratorINSA_11use_defaultEEESF_EEENSH_IJSG_SG_EEES6_PlJ7is_evenIxEEEE10hipError_tPvRmT3_T4_T5_T6_T7_T9_mT8_P12ihipStream_tbDpT10_ENKUlT_T0_E_clISt17integral_constantIbLb1EES19_EEDaS14_S15_EUlS14_E_NS1_11comp_targetILNS1_3genE0ELNS1_11target_archE4294967295ELNS1_3gpuE0ELNS1_3repE0EEENS1_30default_config_static_selectorELNS0_4arch9wavefront6targetE1EEEvT1_
	.globl	_ZN7rocprim17ROCPRIM_400000_NS6detail17trampoline_kernelINS0_14default_configENS1_25partition_config_selectorILNS1_17partition_subalgoE0ExNS0_10empty_typeEbEEZZNS1_14partition_implILS5_0ELb0ES3_jN6thrust23THRUST_200600_302600_NS6detail15normal_iteratorINSA_10device_ptrIxEEEEPS6_SG_NS0_5tupleIJNSA_16discard_iteratorINSA_11use_defaultEEESF_EEENSH_IJSG_SG_EEES6_PlJ7is_evenIxEEEE10hipError_tPvRmT3_T4_T5_T6_T7_T9_mT8_P12ihipStream_tbDpT10_ENKUlT_T0_E_clISt17integral_constantIbLb1EES19_EEDaS14_S15_EUlS14_E_NS1_11comp_targetILNS1_3genE0ELNS1_11target_archE4294967295ELNS1_3gpuE0ELNS1_3repE0EEENS1_30default_config_static_selectorELNS0_4arch9wavefront6targetE1EEEvT1_
	.p2align	8
	.type	_ZN7rocprim17ROCPRIM_400000_NS6detail17trampoline_kernelINS0_14default_configENS1_25partition_config_selectorILNS1_17partition_subalgoE0ExNS0_10empty_typeEbEEZZNS1_14partition_implILS5_0ELb0ES3_jN6thrust23THRUST_200600_302600_NS6detail15normal_iteratorINSA_10device_ptrIxEEEEPS6_SG_NS0_5tupleIJNSA_16discard_iteratorINSA_11use_defaultEEESF_EEENSH_IJSG_SG_EEES6_PlJ7is_evenIxEEEE10hipError_tPvRmT3_T4_T5_T6_T7_T9_mT8_P12ihipStream_tbDpT10_ENKUlT_T0_E_clISt17integral_constantIbLb1EES19_EEDaS14_S15_EUlS14_E_NS1_11comp_targetILNS1_3genE0ELNS1_11target_archE4294967295ELNS1_3gpuE0ELNS1_3repE0EEENS1_30default_config_static_selectorELNS0_4arch9wavefront6targetE1EEEvT1_,@function
_ZN7rocprim17ROCPRIM_400000_NS6detail17trampoline_kernelINS0_14default_configENS1_25partition_config_selectorILNS1_17partition_subalgoE0ExNS0_10empty_typeEbEEZZNS1_14partition_implILS5_0ELb0ES3_jN6thrust23THRUST_200600_302600_NS6detail15normal_iteratorINSA_10device_ptrIxEEEEPS6_SG_NS0_5tupleIJNSA_16discard_iteratorINSA_11use_defaultEEESF_EEENSH_IJSG_SG_EEES6_PlJ7is_evenIxEEEE10hipError_tPvRmT3_T4_T5_T6_T7_T9_mT8_P12ihipStream_tbDpT10_ENKUlT_T0_E_clISt17integral_constantIbLb1EES19_EEDaS14_S15_EUlS14_E_NS1_11comp_targetILNS1_3genE0ELNS1_11target_archE4294967295ELNS1_3gpuE0ELNS1_3repE0EEENS1_30default_config_static_selectorELNS0_4arch9wavefront6targetE1EEEvT1_: ; @_ZN7rocprim17ROCPRIM_400000_NS6detail17trampoline_kernelINS0_14default_configENS1_25partition_config_selectorILNS1_17partition_subalgoE0ExNS0_10empty_typeEbEEZZNS1_14partition_implILS5_0ELb0ES3_jN6thrust23THRUST_200600_302600_NS6detail15normal_iteratorINSA_10device_ptrIxEEEEPS6_SG_NS0_5tupleIJNSA_16discard_iteratorINSA_11use_defaultEEESF_EEENSH_IJSG_SG_EEES6_PlJ7is_evenIxEEEE10hipError_tPvRmT3_T4_T5_T6_T7_T9_mT8_P12ihipStream_tbDpT10_ENKUlT_T0_E_clISt17integral_constantIbLb1EES19_EEDaS14_S15_EUlS14_E_NS1_11comp_targetILNS1_3genE0ELNS1_11target_archE4294967295ELNS1_3gpuE0ELNS1_3repE0EEENS1_30default_config_static_selectorELNS0_4arch9wavefront6targetE1EEEvT1_
; %bb.0:
	.section	.rodata,"a",@progbits
	.p2align	6, 0x0
	.amdhsa_kernel _ZN7rocprim17ROCPRIM_400000_NS6detail17trampoline_kernelINS0_14default_configENS1_25partition_config_selectorILNS1_17partition_subalgoE0ExNS0_10empty_typeEbEEZZNS1_14partition_implILS5_0ELb0ES3_jN6thrust23THRUST_200600_302600_NS6detail15normal_iteratorINSA_10device_ptrIxEEEEPS6_SG_NS0_5tupleIJNSA_16discard_iteratorINSA_11use_defaultEEESF_EEENSH_IJSG_SG_EEES6_PlJ7is_evenIxEEEE10hipError_tPvRmT3_T4_T5_T6_T7_T9_mT8_P12ihipStream_tbDpT10_ENKUlT_T0_E_clISt17integral_constantIbLb1EES19_EEDaS14_S15_EUlS14_E_NS1_11comp_targetILNS1_3genE0ELNS1_11target_archE4294967295ELNS1_3gpuE0ELNS1_3repE0EEENS1_30default_config_static_selectorELNS0_4arch9wavefront6targetE1EEEvT1_
		.amdhsa_group_segment_fixed_size 0
		.amdhsa_private_segment_fixed_size 0
		.amdhsa_kernarg_size 144
		.amdhsa_user_sgpr_count 2
		.amdhsa_user_sgpr_dispatch_ptr 0
		.amdhsa_user_sgpr_queue_ptr 0
		.amdhsa_user_sgpr_kernarg_segment_ptr 1
		.amdhsa_user_sgpr_dispatch_id 0
		.amdhsa_user_sgpr_kernarg_preload_length 0
		.amdhsa_user_sgpr_kernarg_preload_offset 0
		.amdhsa_user_sgpr_private_segment_size 0
		.amdhsa_uses_dynamic_stack 0
		.amdhsa_enable_private_segment 0
		.amdhsa_system_sgpr_workgroup_id_x 1
		.amdhsa_system_sgpr_workgroup_id_y 0
		.amdhsa_system_sgpr_workgroup_id_z 0
		.amdhsa_system_sgpr_workgroup_info 0
		.amdhsa_system_vgpr_workitem_id 0
		.amdhsa_next_free_vgpr 1
		.amdhsa_next_free_sgpr 0
		.amdhsa_accum_offset 4
		.amdhsa_reserve_vcc 0
		.amdhsa_float_round_mode_32 0
		.amdhsa_float_round_mode_16_64 0
		.amdhsa_float_denorm_mode_32 3
		.amdhsa_float_denorm_mode_16_64 3
		.amdhsa_dx10_clamp 1
		.amdhsa_ieee_mode 1
		.amdhsa_fp16_overflow 0
		.amdhsa_tg_split 0
		.amdhsa_exception_fp_ieee_invalid_op 0
		.amdhsa_exception_fp_denorm_src 0
		.amdhsa_exception_fp_ieee_div_zero 0
		.amdhsa_exception_fp_ieee_overflow 0
		.amdhsa_exception_fp_ieee_underflow 0
		.amdhsa_exception_fp_ieee_inexact 0
		.amdhsa_exception_int_div_zero 0
	.end_amdhsa_kernel
	.section	.text._ZN7rocprim17ROCPRIM_400000_NS6detail17trampoline_kernelINS0_14default_configENS1_25partition_config_selectorILNS1_17partition_subalgoE0ExNS0_10empty_typeEbEEZZNS1_14partition_implILS5_0ELb0ES3_jN6thrust23THRUST_200600_302600_NS6detail15normal_iteratorINSA_10device_ptrIxEEEEPS6_SG_NS0_5tupleIJNSA_16discard_iteratorINSA_11use_defaultEEESF_EEENSH_IJSG_SG_EEES6_PlJ7is_evenIxEEEE10hipError_tPvRmT3_T4_T5_T6_T7_T9_mT8_P12ihipStream_tbDpT10_ENKUlT_T0_E_clISt17integral_constantIbLb1EES19_EEDaS14_S15_EUlS14_E_NS1_11comp_targetILNS1_3genE0ELNS1_11target_archE4294967295ELNS1_3gpuE0ELNS1_3repE0EEENS1_30default_config_static_selectorELNS0_4arch9wavefront6targetE1EEEvT1_,"axG",@progbits,_ZN7rocprim17ROCPRIM_400000_NS6detail17trampoline_kernelINS0_14default_configENS1_25partition_config_selectorILNS1_17partition_subalgoE0ExNS0_10empty_typeEbEEZZNS1_14partition_implILS5_0ELb0ES3_jN6thrust23THRUST_200600_302600_NS6detail15normal_iteratorINSA_10device_ptrIxEEEEPS6_SG_NS0_5tupleIJNSA_16discard_iteratorINSA_11use_defaultEEESF_EEENSH_IJSG_SG_EEES6_PlJ7is_evenIxEEEE10hipError_tPvRmT3_T4_T5_T6_T7_T9_mT8_P12ihipStream_tbDpT10_ENKUlT_T0_E_clISt17integral_constantIbLb1EES19_EEDaS14_S15_EUlS14_E_NS1_11comp_targetILNS1_3genE0ELNS1_11target_archE4294967295ELNS1_3gpuE0ELNS1_3repE0EEENS1_30default_config_static_selectorELNS0_4arch9wavefront6targetE1EEEvT1_,comdat
.Lfunc_end2659:
	.size	_ZN7rocprim17ROCPRIM_400000_NS6detail17trampoline_kernelINS0_14default_configENS1_25partition_config_selectorILNS1_17partition_subalgoE0ExNS0_10empty_typeEbEEZZNS1_14partition_implILS5_0ELb0ES3_jN6thrust23THRUST_200600_302600_NS6detail15normal_iteratorINSA_10device_ptrIxEEEEPS6_SG_NS0_5tupleIJNSA_16discard_iteratorINSA_11use_defaultEEESF_EEENSH_IJSG_SG_EEES6_PlJ7is_evenIxEEEE10hipError_tPvRmT3_T4_T5_T6_T7_T9_mT8_P12ihipStream_tbDpT10_ENKUlT_T0_E_clISt17integral_constantIbLb1EES19_EEDaS14_S15_EUlS14_E_NS1_11comp_targetILNS1_3genE0ELNS1_11target_archE4294967295ELNS1_3gpuE0ELNS1_3repE0EEENS1_30default_config_static_selectorELNS0_4arch9wavefront6targetE1EEEvT1_, .Lfunc_end2659-_ZN7rocprim17ROCPRIM_400000_NS6detail17trampoline_kernelINS0_14default_configENS1_25partition_config_selectorILNS1_17partition_subalgoE0ExNS0_10empty_typeEbEEZZNS1_14partition_implILS5_0ELb0ES3_jN6thrust23THRUST_200600_302600_NS6detail15normal_iteratorINSA_10device_ptrIxEEEEPS6_SG_NS0_5tupleIJNSA_16discard_iteratorINSA_11use_defaultEEESF_EEENSH_IJSG_SG_EEES6_PlJ7is_evenIxEEEE10hipError_tPvRmT3_T4_T5_T6_T7_T9_mT8_P12ihipStream_tbDpT10_ENKUlT_T0_E_clISt17integral_constantIbLb1EES19_EEDaS14_S15_EUlS14_E_NS1_11comp_targetILNS1_3genE0ELNS1_11target_archE4294967295ELNS1_3gpuE0ELNS1_3repE0EEENS1_30default_config_static_selectorELNS0_4arch9wavefront6targetE1EEEvT1_
                                        ; -- End function
	.section	.AMDGPU.csdata,"",@progbits
; Kernel info:
; codeLenInByte = 0
; NumSgprs: 6
; NumVgprs: 0
; NumAgprs: 0
; TotalNumVgprs: 0
; ScratchSize: 0
; MemoryBound: 0
; FloatMode: 240
; IeeeMode: 1
; LDSByteSize: 0 bytes/workgroup (compile time only)
; SGPRBlocks: 0
; VGPRBlocks: 0
; NumSGPRsForWavesPerEU: 6
; NumVGPRsForWavesPerEU: 1
; AccumOffset: 4
; Occupancy: 8
; WaveLimiterHint : 0
; COMPUTE_PGM_RSRC2:SCRATCH_EN: 0
; COMPUTE_PGM_RSRC2:USER_SGPR: 2
; COMPUTE_PGM_RSRC2:TRAP_HANDLER: 0
; COMPUTE_PGM_RSRC2:TGID_X_EN: 1
; COMPUTE_PGM_RSRC2:TGID_Y_EN: 0
; COMPUTE_PGM_RSRC2:TGID_Z_EN: 0
; COMPUTE_PGM_RSRC2:TIDIG_COMP_CNT: 0
; COMPUTE_PGM_RSRC3_GFX90A:ACCUM_OFFSET: 0
; COMPUTE_PGM_RSRC3_GFX90A:TG_SPLIT: 0
	.section	.text._ZN7rocprim17ROCPRIM_400000_NS6detail17trampoline_kernelINS0_14default_configENS1_25partition_config_selectorILNS1_17partition_subalgoE0ExNS0_10empty_typeEbEEZZNS1_14partition_implILS5_0ELb0ES3_jN6thrust23THRUST_200600_302600_NS6detail15normal_iteratorINSA_10device_ptrIxEEEEPS6_SG_NS0_5tupleIJNSA_16discard_iteratorINSA_11use_defaultEEESF_EEENSH_IJSG_SG_EEES6_PlJ7is_evenIxEEEE10hipError_tPvRmT3_T4_T5_T6_T7_T9_mT8_P12ihipStream_tbDpT10_ENKUlT_T0_E_clISt17integral_constantIbLb1EES19_EEDaS14_S15_EUlS14_E_NS1_11comp_targetILNS1_3genE5ELNS1_11target_archE942ELNS1_3gpuE9ELNS1_3repE0EEENS1_30default_config_static_selectorELNS0_4arch9wavefront6targetE1EEEvT1_,"axG",@progbits,_ZN7rocprim17ROCPRIM_400000_NS6detail17trampoline_kernelINS0_14default_configENS1_25partition_config_selectorILNS1_17partition_subalgoE0ExNS0_10empty_typeEbEEZZNS1_14partition_implILS5_0ELb0ES3_jN6thrust23THRUST_200600_302600_NS6detail15normal_iteratorINSA_10device_ptrIxEEEEPS6_SG_NS0_5tupleIJNSA_16discard_iteratorINSA_11use_defaultEEESF_EEENSH_IJSG_SG_EEES6_PlJ7is_evenIxEEEE10hipError_tPvRmT3_T4_T5_T6_T7_T9_mT8_P12ihipStream_tbDpT10_ENKUlT_T0_E_clISt17integral_constantIbLb1EES19_EEDaS14_S15_EUlS14_E_NS1_11comp_targetILNS1_3genE5ELNS1_11target_archE942ELNS1_3gpuE9ELNS1_3repE0EEENS1_30default_config_static_selectorELNS0_4arch9wavefront6targetE1EEEvT1_,comdat
	.protected	_ZN7rocprim17ROCPRIM_400000_NS6detail17trampoline_kernelINS0_14default_configENS1_25partition_config_selectorILNS1_17partition_subalgoE0ExNS0_10empty_typeEbEEZZNS1_14partition_implILS5_0ELb0ES3_jN6thrust23THRUST_200600_302600_NS6detail15normal_iteratorINSA_10device_ptrIxEEEEPS6_SG_NS0_5tupleIJNSA_16discard_iteratorINSA_11use_defaultEEESF_EEENSH_IJSG_SG_EEES6_PlJ7is_evenIxEEEE10hipError_tPvRmT3_T4_T5_T6_T7_T9_mT8_P12ihipStream_tbDpT10_ENKUlT_T0_E_clISt17integral_constantIbLb1EES19_EEDaS14_S15_EUlS14_E_NS1_11comp_targetILNS1_3genE5ELNS1_11target_archE942ELNS1_3gpuE9ELNS1_3repE0EEENS1_30default_config_static_selectorELNS0_4arch9wavefront6targetE1EEEvT1_ ; -- Begin function _ZN7rocprim17ROCPRIM_400000_NS6detail17trampoline_kernelINS0_14default_configENS1_25partition_config_selectorILNS1_17partition_subalgoE0ExNS0_10empty_typeEbEEZZNS1_14partition_implILS5_0ELb0ES3_jN6thrust23THRUST_200600_302600_NS6detail15normal_iteratorINSA_10device_ptrIxEEEEPS6_SG_NS0_5tupleIJNSA_16discard_iteratorINSA_11use_defaultEEESF_EEENSH_IJSG_SG_EEES6_PlJ7is_evenIxEEEE10hipError_tPvRmT3_T4_T5_T6_T7_T9_mT8_P12ihipStream_tbDpT10_ENKUlT_T0_E_clISt17integral_constantIbLb1EES19_EEDaS14_S15_EUlS14_E_NS1_11comp_targetILNS1_3genE5ELNS1_11target_archE942ELNS1_3gpuE9ELNS1_3repE0EEENS1_30default_config_static_selectorELNS0_4arch9wavefront6targetE1EEEvT1_
	.globl	_ZN7rocprim17ROCPRIM_400000_NS6detail17trampoline_kernelINS0_14default_configENS1_25partition_config_selectorILNS1_17partition_subalgoE0ExNS0_10empty_typeEbEEZZNS1_14partition_implILS5_0ELb0ES3_jN6thrust23THRUST_200600_302600_NS6detail15normal_iteratorINSA_10device_ptrIxEEEEPS6_SG_NS0_5tupleIJNSA_16discard_iteratorINSA_11use_defaultEEESF_EEENSH_IJSG_SG_EEES6_PlJ7is_evenIxEEEE10hipError_tPvRmT3_T4_T5_T6_T7_T9_mT8_P12ihipStream_tbDpT10_ENKUlT_T0_E_clISt17integral_constantIbLb1EES19_EEDaS14_S15_EUlS14_E_NS1_11comp_targetILNS1_3genE5ELNS1_11target_archE942ELNS1_3gpuE9ELNS1_3repE0EEENS1_30default_config_static_selectorELNS0_4arch9wavefront6targetE1EEEvT1_
	.p2align	8
	.type	_ZN7rocprim17ROCPRIM_400000_NS6detail17trampoline_kernelINS0_14default_configENS1_25partition_config_selectorILNS1_17partition_subalgoE0ExNS0_10empty_typeEbEEZZNS1_14partition_implILS5_0ELb0ES3_jN6thrust23THRUST_200600_302600_NS6detail15normal_iteratorINSA_10device_ptrIxEEEEPS6_SG_NS0_5tupleIJNSA_16discard_iteratorINSA_11use_defaultEEESF_EEENSH_IJSG_SG_EEES6_PlJ7is_evenIxEEEE10hipError_tPvRmT3_T4_T5_T6_T7_T9_mT8_P12ihipStream_tbDpT10_ENKUlT_T0_E_clISt17integral_constantIbLb1EES19_EEDaS14_S15_EUlS14_E_NS1_11comp_targetILNS1_3genE5ELNS1_11target_archE942ELNS1_3gpuE9ELNS1_3repE0EEENS1_30default_config_static_selectorELNS0_4arch9wavefront6targetE1EEEvT1_,@function
_ZN7rocprim17ROCPRIM_400000_NS6detail17trampoline_kernelINS0_14default_configENS1_25partition_config_selectorILNS1_17partition_subalgoE0ExNS0_10empty_typeEbEEZZNS1_14partition_implILS5_0ELb0ES3_jN6thrust23THRUST_200600_302600_NS6detail15normal_iteratorINSA_10device_ptrIxEEEEPS6_SG_NS0_5tupleIJNSA_16discard_iteratorINSA_11use_defaultEEESF_EEENSH_IJSG_SG_EEES6_PlJ7is_evenIxEEEE10hipError_tPvRmT3_T4_T5_T6_T7_T9_mT8_P12ihipStream_tbDpT10_ENKUlT_T0_E_clISt17integral_constantIbLb1EES19_EEDaS14_S15_EUlS14_E_NS1_11comp_targetILNS1_3genE5ELNS1_11target_archE942ELNS1_3gpuE9ELNS1_3repE0EEENS1_30default_config_static_selectorELNS0_4arch9wavefront6targetE1EEEvT1_: ; @_ZN7rocprim17ROCPRIM_400000_NS6detail17trampoline_kernelINS0_14default_configENS1_25partition_config_selectorILNS1_17partition_subalgoE0ExNS0_10empty_typeEbEEZZNS1_14partition_implILS5_0ELb0ES3_jN6thrust23THRUST_200600_302600_NS6detail15normal_iteratorINSA_10device_ptrIxEEEEPS6_SG_NS0_5tupleIJNSA_16discard_iteratorINSA_11use_defaultEEESF_EEENSH_IJSG_SG_EEES6_PlJ7is_evenIxEEEE10hipError_tPvRmT3_T4_T5_T6_T7_T9_mT8_P12ihipStream_tbDpT10_ENKUlT_T0_E_clISt17integral_constantIbLb1EES19_EEDaS14_S15_EUlS14_E_NS1_11comp_targetILNS1_3genE5ELNS1_11target_archE942ELNS1_3gpuE9ELNS1_3repE0EEENS1_30default_config_static_selectorELNS0_4arch9wavefront6targetE1EEEvT1_
; %bb.0:
	s_load_dwordx2 s[2:3], s[0:1], 0x60
	s_load_dwordx4 s[24:27], s[0:1], 0x50
	s_load_dwordx2 s[36:37], s[0:1], 0x70
	v_cmp_eq_u32_e64 s[20:21], 0, v0
	s_and_saveexec_b64 s[4:5], s[20:21]
	s_cbranch_execz .LBB2660_4
; %bb.1:
	s_mov_b64 s[8:9], exec
	v_mbcnt_lo_u32_b32 v1, s8, 0
	v_mbcnt_hi_u32_b32 v1, s9, v1
	v_cmp_eq_u32_e32 vcc, 0, v1
                                        ; implicit-def: $vgpr2
	s_and_saveexec_b64 s[6:7], vcc
	s_cbranch_execz .LBB2660_3
; %bb.2:
	s_load_dwordx2 s[10:11], s[0:1], 0x80
	s_bcnt1_i32_b64 s8, s[8:9]
	v_mov_b32_e32 v2, 0
	v_mov_b32_e32 v3, s8
	s_waitcnt lgkmcnt(0)
	global_atomic_add v2, v2, v3, s[10:11] sc0
.LBB2660_3:
	s_or_b64 exec, exec, s[6:7]
	s_waitcnt vmcnt(0)
	v_readfirstlane_b32 s6, v2
	v_mov_b32_e32 v2, 0
	s_nop 0
	v_add_u32_e32 v1, s6, v1
	ds_write_b32 v2, v1
.LBB2660_4:
	s_or_b64 exec, exec, s[4:5]
	v_mov_b32_e32 v19, 0
	s_load_dwordx4 s[28:31], s[0:1], 0x8
	s_load_dwordx2 s[34:35], s[0:1], 0x38
	s_load_dword s4, s[0:1], 0x78
	s_waitcnt lgkmcnt(0)
	s_barrier
	ds_read_b32 v1, v19
	s_waitcnt lgkmcnt(0)
	s_barrier
	global_load_dwordx2 v[20:21], v19, s[26:27]
	v_mov_b32_e32 v3, s3
	s_lshl_b64 s[0:1], s[30:31], 3
	s_movk_i32 s3, 0xe00
	s_add_u32 s0, s28, s0
	v_mul_lo_u32 v18, v1, s3
	s_mul_i32 s3, s4, 0xe00
	s_addc_u32 s1, s29, s1
	s_add_i32 s5, s4, -1
	s_add_i32 s4, s3, s30
	s_sub_i32 s33, s2, s4
	s_addk_i32 s33, 0xe00
	v_mov_b32_e32 v2, s2
	s_add_u32 s2, s30, s3
	v_readfirstlane_b32 s38, v1
	s_addc_u32 s3, s31, 0
	s_cmp_eq_u32 s38, s5
	s_cselect_b64 s[22:23], -1, 0
	s_cmp_lg_u32 s38, s5
	v_cmp_lt_u64_e32 vcc, s[2:3], v[2:3]
	s_cselect_b64 s[2:3], -1, 0
	s_or_b64 s[4:5], vcc, s[2:3]
	v_lshlrev_b64 v[22:23], 3, v[18:19]
	v_lshl_add_u64 v[24:25], s[0:1], 0, v[22:23]
	s_mov_b64 s[0:1], -1
	s_and_b64 vcc, exec, s[4:5]
	v_lshlrev_b32_e32 v18, 3, v0
	s_cbranch_vccz .LBB2660_6
; %bb.5:
	v_lshl_add_u64 v[2:3], v[24:25], 0, v[18:19]
	v_add_co_u32_e32 v4, vcc, 0x1000, v2
	s_mov_b64 s[0:1], 0
	s_nop 0
	v_addc_co_u32_e32 v5, vcc, 0, v3, vcc
	v_add_co_u32_e32 v6, vcc, 0x2000, v2
	s_nop 1
	v_addc_co_u32_e32 v7, vcc, 0, v3, vcc
	v_add_co_u32_e32 v8, vcc, 0x3000, v2
	s_nop 1
	v_addc_co_u32_e32 v9, vcc, 0, v3, vcc
	flat_load_dwordx2 v[10:11], v[2:3]
	flat_load_dwordx2 v[12:13], v[4:5]
	;; [unrolled: 1-line block ×4, first 2 shown]
	v_add_co_u32_e32 v4, vcc, 0x4000, v2
	s_nop 1
	v_addc_co_u32_e32 v5, vcc, 0, v3, vcc
	v_add_co_u32_e32 v6, vcc, 0x5000, v2
	s_nop 1
	v_addc_co_u32_e32 v7, vcc, 0, v3, vcc
	;; [unrolled: 3-line block ×3, first 2 shown]
	flat_load_dwordx2 v[8:9], v[4:5]
	flat_load_dwordx2 v[26:27], v[6:7]
	flat_load_dwordx2 v[28:29], v[2:3]
	s_waitcnt vmcnt(0) lgkmcnt(0)
	ds_write2st64_b64 v18, v[10:11], v[12:13] offset1:8
	ds_write2st64_b64 v18, v[14:15], v[16:17] offset0:16 offset1:24
	ds_write2st64_b64 v18, v[8:9], v[26:27] offset0:32 offset1:40
	ds_write_b64 v18, v[28:29] offset:24576
	s_waitcnt lgkmcnt(0)
	s_barrier
.LBB2660_6:
	s_andn2_b64 vcc, exec, s[0:1]
	v_cmp_gt_u32_e64 s[0:1], s33, v0
	s_cbranch_vccnz .LBB2660_22
; %bb.7:
                                        ; implicit-def: $vgpr2_vgpr3_vgpr4_vgpr5_vgpr6_vgpr7_vgpr8_vgpr9_vgpr10_vgpr11_vgpr12_vgpr13_vgpr14_vgpr15_vgpr16_vgpr17
	s_and_saveexec_b64 s[2:3], s[0:1]
	s_cbranch_execz .LBB2660_9
; %bb.8:
	v_mov_b32_e32 v19, 0
	v_lshl_add_u64 v[2:3], v[24:25], 0, v[18:19]
	flat_load_dwordx2 v[2:3], v[2:3]
.LBB2660_9:
	s_or_b64 exec, exec, s[2:3]
	v_or_b32_e32 v1, 0x200, v0
	v_cmp_gt_u32_e32 vcc, s33, v1
	s_and_saveexec_b64 s[0:1], vcc
	s_cbranch_execz .LBB2660_11
; %bb.10:
	v_lshlrev_b32_e32 v4, 3, v1
	v_mov_b32_e32 v5, 0
	v_lshl_add_u64 v[4:5], v[24:25], 0, v[4:5]
	flat_load_dwordx2 v[4:5], v[4:5]
.LBB2660_11:
	s_or_b64 exec, exec, s[0:1]
	v_or_b32_e32 v1, 0x400, v0
	v_cmp_gt_u32_e32 vcc, s33, v1
	s_and_saveexec_b64 s[0:1], vcc
	s_cbranch_execz .LBB2660_13
; %bb.12:
	v_lshlrev_b32_e32 v6, 3, v1
	v_mov_b32_e32 v7, 0
	v_lshl_add_u64 v[6:7], v[24:25], 0, v[6:7]
	flat_load_dwordx2 v[6:7], v[6:7]
.LBB2660_13:
	;; [unrolled: 11-line block ×6, first 2 shown]
	s_or_b64 exec, exec, s[0:1]
	s_waitcnt vmcnt(0) lgkmcnt(0)
	ds_write2st64_b64 v18, v[2:3], v[4:5] offset1:8
	ds_write2st64_b64 v18, v[6:7], v[8:9] offset0:16 offset1:24
	ds_write2st64_b64 v18, v[10:11], v[12:13] offset0:32 offset1:40
	ds_write_b64 v18, v[14:15] offset:24576
	s_waitcnt lgkmcnt(0)
	s_barrier
.LBB2660_22:
	v_mul_u32_u24_e32 v1, 7, v0
	v_lshlrev_b32_e32 v36, 3, v1
	ds_read2_b64 v[10:13], v36 offset1:1
	ds_read2_b64 v[6:9], v36 offset0:2 offset1:3
	ds_read2_b64 v[2:5], v36 offset0:4 offset1:5
	ds_read_b64 v[14:15], v36 offset:48
	v_cndmask_b32_e64 v16, 0, 1, s[4:5]
	v_cmp_ne_u32_e64 s[2:3], 1, v16
	s_andn2_b64 vcc, exec, s[4:5]
	s_waitcnt lgkmcnt(3)
	v_xor_b32_e32 v28, -1, v10
	v_xor_b32_e32 v27, -1, v12
	s_waitcnt lgkmcnt(2)
	v_xor_b32_e32 v26, -1, v6
	v_xor_b32_e32 v25, -1, v8
	;; [unrolled: 3-line block ×3, first 2 shown]
	s_waitcnt lgkmcnt(0)
	v_xor_b32_e32 v16, -1, v14
	s_barrier
	s_cbranch_vccnz .LBB2660_24
; %bb.23:
	v_mov_b32_e32 v19, 1
	v_and_b32_e32 v29, 1, v28
	v_and_b32_sdwa v30, v27, v19 dst_sel:BYTE_1 dst_unused:UNUSED_PAD src0_sel:DWORD src1_sel:DWORD
	v_and_b32_e32 v31, 1, v26
	v_and_b32_sdwa v34, v25, v19 dst_sel:BYTE_1 dst_unused:UNUSED_PAD src0_sel:DWORD src1_sel:DWORD
	v_or_b32_e32 v29, v29, v30
	v_or_b32_sdwa v30, v31, v34 dst_sel:WORD_1 dst_unused:UNUSED_PAD src0_sel:DWORD src1_sel:DWORD
	v_and_b32_e32 v33, 1, v24
	v_and_b32_e32 v32, 1, v17
	;; [unrolled: 1-line block ×3, first 2 shown]
	v_or_b32_sdwa v34, v29, v30 dst_sel:DWORD dst_unused:UNUSED_PAD src0_sel:WORD_0 src1_sel:DWORD
	s_cbranch_execz .LBB2660_25
	s_branch .LBB2660_26
.LBB2660_24:
                                        ; implicit-def: $vgpr19
                                        ; implicit-def: $vgpr32
                                        ; implicit-def: $vgpr33
                                        ; implicit-def: $vgpr34
.LBB2660_25:
	v_add_u32_e32 v19, 1, v1
	v_cmp_gt_u32_e32 vcc, s33, v1
	v_add_u32_e32 v29, 2, v1
	v_add_u32_e32 v30, 3, v1
	v_cndmask_b32_e64 v33, 0, 1, vcc
	v_cmp_gt_u32_e32 vcc, s33, v19
	v_add_u32_e32 v31, 4, v1
	v_add_u32_e32 v32, 5, v1
	v_cndmask_b32_e64 v19, 0, 1, vcc
	v_cmp_gt_u32_e32 vcc, s33, v29
	v_and_b32_sdwa v27, v19, v27 dst_sel:BYTE_1 dst_unused:UNUSED_PAD src0_sel:DWORD src1_sel:DWORD
	v_add_u32_e32 v34, 6, v1
	v_cndmask_b32_e64 v19, 0, 1, vcc
	v_cmp_gt_u32_e32 vcc, s33, v30
	v_and_b32_e32 v26, v19, v26
	v_and_b32_e32 v28, v33, v28
	v_cndmask_b32_e64 v19, 0, 1, vcc
	v_cmp_gt_u32_e32 vcc, s33, v31
	v_and_b32_sdwa v25, v19, v25 dst_sel:BYTE_1 dst_unused:UNUSED_PAD src0_sel:DWORD src1_sel:DWORD
	s_nop 0
	v_cndmask_b32_e64 v19, 0, 1, vcc
	v_cmp_gt_u32_e32 vcc, s33, v32
	v_and_b32_e32 v33, v19, v24
	s_nop 0
	v_cndmask_b32_e64 v19, 0, 1, vcc
	v_cmp_gt_u32_e32 vcc, s33, v34
	v_and_b32_e32 v32, v19, v17
	s_nop 0
	v_cndmask_b32_e64 v17, 0, 1, vcc
	v_and_b32_e32 v19, v17, v16
	v_or_b32_e32 v16, v28, v27
	v_or_b32_sdwa v17, v26, v25 dst_sel:WORD_1 dst_unused:UNUSED_PAD src0_sel:DWORD src1_sel:DWORD
	s_nop 0
	v_or_b32_sdwa v34, v16, v17 dst_sel:DWORD dst_unused:UNUSED_PAD src0_sel:WORD_0 src1_sel:DWORD
.LBB2660_26:
	v_and_b32_e32 v37, 0xff, v34
	v_bfe_u32 v38, v34, 8, 8
	v_bfe_u32 v39, v34, 16, 8
	v_lshrrev_b32_e32 v35, 24, v34
	v_and_b32_e32 v40, 0xff, v33
	v_add3_u32 v17, v38, v37, v39
	v_and_b32_e32 v41, 0xff, v32
	v_and_b32_e32 v16, 0xff, v19
	v_add3_u32 v17, v17, v35, v40
	v_add3_u32 v44, v17, v41, v16
	v_mbcnt_lo_u32_b32 v16, -1, 0
	v_mbcnt_hi_u32_b32 v42, -1, v16
	v_and_b32_e32 v16, 15, v42
	v_cmp_eq_u32_e64 s[16:17], 0, v16
	v_cmp_lt_u32_e64 s[14:15], 1, v16
	v_cmp_lt_u32_e64 s[12:13], 3, v16
	;; [unrolled: 1-line block ×3, first 2 shown]
	v_and_b32_e32 v16, 16, v42
	v_cmp_eq_u32_e64 s[8:9], 0, v16
	v_or_b32_e32 v16, 63, v0
	s_cmp_lg_u32 s38, 0
	v_cmp_lt_u32_e64 s[4:5], 31, v42
	v_lshrrev_b32_e32 v43, 6, v0
	v_cmp_eq_u32_e64 s[6:7], v16, v0
	s_cbranch_scc0 .LBB2660_57
; %bb.27:
	v_mov_b32_dpp v16, v44 row_shr:1 row_mask:0xf bank_mask:0xf
	v_cndmask_b32_e64 v16, v16, 0, s[16:17]
	v_add_u32_e32 v16, v16, v44
	s_nop 1
	v_mov_b32_dpp v17, v16 row_shr:2 row_mask:0xf bank_mask:0xf
	v_cndmask_b32_e64 v17, 0, v17, s[14:15]
	v_add_u32_e32 v16, v16, v17
	s_nop 1
	;; [unrolled: 4-line block ×4, first 2 shown]
	v_mov_b32_dpp v17, v16 row_bcast:15 row_mask:0xf bank_mask:0xf
	v_cndmask_b32_e64 v17, v17, 0, s[8:9]
	v_add_u32_e32 v16, v16, v17
	s_nop 1
	v_mov_b32_dpp v17, v16 row_bcast:31 row_mask:0xf bank_mask:0xf
	v_cndmask_b32_e64 v17, 0, v17, s[4:5]
	v_add_u32_e32 v16, v16, v17
	s_and_saveexec_b64 s[0:1], s[6:7]
	s_cbranch_execz .LBB2660_29
; %bb.28:
	v_lshlrev_b32_e32 v17, 2, v43
	ds_write_b32 v17, v16
.LBB2660_29:
	s_or_b64 exec, exec, s[0:1]
	v_cmp_gt_u32_e32 vcc, 8, v0
	s_waitcnt lgkmcnt(0)
	s_barrier
	s_and_saveexec_b64 s[0:1], vcc
	s_cbranch_execz .LBB2660_31
; %bb.30:
	v_lshlrev_b32_e32 v17, 2, v0
	ds_read_b32 v24, v17
	v_and_b32_e32 v25, 7, v42
	v_cmp_ne_u32_e32 vcc, 0, v25
	s_waitcnt lgkmcnt(0)
	v_mov_b32_dpp v26, v24 row_shr:1 row_mask:0xf bank_mask:0xf
	v_cndmask_b32_e32 v26, 0, v26, vcc
	v_add_u32_e32 v24, v26, v24
	v_cmp_lt_u32_e32 vcc, 1, v25
	s_nop 0
	v_mov_b32_dpp v26, v24 row_shr:2 row_mask:0xf bank_mask:0xf
	v_cndmask_b32_e32 v26, 0, v26, vcc
	v_add_u32_e32 v24, v24, v26
	v_cmp_lt_u32_e32 vcc, 3, v25
	s_nop 0
	v_mov_b32_dpp v26, v24 row_shr:4 row_mask:0xf bank_mask:0xf
	v_cndmask_b32_e32 v25, 0, v26, vcc
	v_add_u32_e32 v24, v24, v25
	ds_write_b32 v17, v24
.LBB2660_31:
	s_or_b64 exec, exec, s[0:1]
	v_cmp_gt_u32_e32 vcc, 64, v0
	v_cmp_lt_u32_e64 s[0:1], 63, v0
	s_waitcnt lgkmcnt(0)
	s_barrier
	s_waitcnt lgkmcnt(0)
                                        ; implicit-def: $vgpr45
	s_and_saveexec_b64 s[18:19], s[0:1]
	s_cbranch_execz .LBB2660_33
; %bb.32:
	v_lshl_add_u32 v17, v43, 2, -4
	ds_read_b32 v45, v17
	s_waitcnt lgkmcnt(0)
	v_add_u32_e32 v16, v45, v16
.LBB2660_33:
	s_or_b64 exec, exec, s[18:19]
	v_add_u32_e32 v17, -1, v42
	v_and_b32_e32 v24, 64, v42
	v_cmp_lt_i32_e64 s[0:1], v17, v24
	v_cmp_eq_u32_e64 s[18:19], 0, v42
	s_nop 0
	v_cndmask_b32_e64 v17, v17, v42, s[0:1]
	v_lshlrev_b32_e32 v17, 2, v17
	ds_bpermute_b32 v46, v17, v16
	s_and_saveexec_b64 s[0:1], vcc
	s_cbranch_execz .LBB2660_56
; %bb.34:
	v_mov_b32_e32 v31, 0
	ds_read_b32 v16, v31 offset:28
	s_and_saveexec_b64 s[26:27], s[18:19]
	s_cbranch_execz .LBB2660_36
; %bb.35:
	s_add_i32 s28, s38, 64
	s_mov_b32 s29, 0
	s_lshl_b64 s[28:29], s[28:29], 3
	s_add_u32 s28, s36, s28
	v_mov_b32_e32 v17, 1
	s_addc_u32 s29, s37, s29
	s_waitcnt lgkmcnt(0)
	global_store_dwordx2 v31, v[16:17], s[28:29] sc1
.LBB2660_36:
	s_or_b64 exec, exec, s[26:27]
	v_xad_u32 v24, v42, -1, s38
	v_add_u32_e32 v30, 64, v24
	v_lshl_add_u64 v[26:27], v[30:31], 3, s[36:37]
	global_load_dwordx2 v[28:29], v[26:27], off sc1
	s_waitcnt vmcnt(0)
	v_cmp_eq_u16_sdwa s[28:29], v29, v31 src0_sel:BYTE_0 src1_sel:DWORD
	s_and_saveexec_b64 s[26:27], s[28:29]
	s_cbranch_execz .LBB2660_42
; %bb.37:
	s_mov_b32 s39, 1
	s_mov_b64 s[28:29], 0
	v_mov_b32_e32 v17, 0
.LBB2660_38:                            ; =>This Loop Header: Depth=1
                                        ;     Child Loop BB2660_39 Depth 2
	s_max_u32 s40, s39, 1
.LBB2660_39:                            ;   Parent Loop BB2660_38 Depth=1
                                        ; =>  This Inner Loop Header: Depth=2
	s_add_i32 s40, s40, -1
	s_cmp_eq_u32 s40, 0
	s_sleep 1
	s_cbranch_scc0 .LBB2660_39
; %bb.40:                               ;   in Loop: Header=BB2660_38 Depth=1
	global_load_dwordx2 v[28:29], v[26:27], off sc1
	s_cmp_lt_u32 s39, 32
	s_cselect_b64 s[40:41], -1, 0
	s_cmp_lg_u64 s[40:41], 0
	s_addc_u32 s39, s39, 0
	s_waitcnt vmcnt(0)
	v_cmp_ne_u16_sdwa s[40:41], v29, v17 src0_sel:BYTE_0 src1_sel:DWORD
	s_or_b64 s[28:29], s[40:41], s[28:29]
	s_andn2_b64 exec, exec, s[28:29]
	s_cbranch_execnz .LBB2660_38
; %bb.41:
	s_or_b64 exec, exec, s[28:29]
.LBB2660_42:
	s_or_b64 exec, exec, s[26:27]
	v_and_b32_e32 v48, 63, v42
	v_mov_b32_e32 v47, 2
	v_cmp_ne_u32_e32 vcc, 63, v48
	v_cmp_eq_u16_sdwa s[26:27], v29, v47 src0_sel:BYTE_0 src1_sel:DWORD
	v_lshlrev_b64 v[26:27], v42, -1
	v_addc_co_u32_e32 v30, vcc, 0, v42, vcc
	v_and_b32_e32 v17, s27, v27
	v_lshlrev_b32_e32 v49, 2, v30
	v_or_b32_e32 v17, 0x80000000, v17
	ds_bpermute_b32 v30, v49, v28
	v_and_b32_e32 v25, s26, v26
	v_ffbl_b32_e32 v17, v17
	v_add_u32_e32 v17, 32, v17
	v_ffbl_b32_e32 v25, v25
	v_min_u32_e32 v17, v25, v17
	v_cmp_lt_u32_e32 vcc, v48, v17
	v_add_u32_e32 v51, 2, v48
	v_add_u32_e32 v53, 4, v48
	s_waitcnt lgkmcnt(0)
	v_cndmask_b32_e32 v25, 0, v30, vcc
	v_cmp_gt_u32_e32 vcc, 62, v48
	v_add_u32_e32 v25, v25, v28
	v_add_u32_e32 v55, 8, v48
	v_cndmask_b32_e64 v28, 0, 1, vcc
	v_lshlrev_b32_e32 v28, 1, v28
	v_add_lshl_u32 v50, v28, v42, 2
	ds_bpermute_b32 v28, v50, v25
	v_cmp_le_u32_e32 vcc, v51, v17
	v_add_u32_e32 v57, 16, v48
	v_add_u32_e32 v59, 32, v48
	s_waitcnt lgkmcnt(0)
	v_cndmask_b32_e32 v28, 0, v28, vcc
	v_cmp_gt_u32_e32 vcc, 60, v48
	v_add_u32_e32 v25, v25, v28
	s_nop 0
	v_cndmask_b32_e64 v28, 0, 1, vcc
	v_lshlrev_b32_e32 v28, 2, v28
	v_add_lshl_u32 v52, v28, v42, 2
	ds_bpermute_b32 v28, v52, v25
	v_cmp_le_u32_e32 vcc, v53, v17
	s_waitcnt lgkmcnt(0)
	s_nop 0
	v_cndmask_b32_e32 v28, 0, v28, vcc
	v_cmp_gt_u32_e32 vcc, 56, v48
	v_add_u32_e32 v25, v25, v28
	s_nop 0
	v_cndmask_b32_e64 v28, 0, 1, vcc
	v_lshlrev_b32_e32 v28, 3, v28
	v_add_lshl_u32 v54, v28, v42, 2
	ds_bpermute_b32 v28, v54, v25
	v_cmp_le_u32_e32 vcc, v55, v17
	s_waitcnt lgkmcnt(0)
	s_nop 0
	;; [unrolled: 11-line block ×4, first 2 shown]
	v_cndmask_b32_e32 v17, 0, v28, vcc
	v_add_u32_e32 v28, v25, v17
	v_mov_b32_e32 v25, 0
	s_branch .LBB2660_44
.LBB2660_43:                            ;   in Loop: Header=BB2660_44 Depth=1
	s_or_b64 exec, exec, s[26:27]
	v_cmp_eq_u16_sdwa s[26:27], v29, v47 src0_sel:BYTE_0 src1_sel:DWORD
	ds_bpermute_b32 v60, v49, v28
	v_subrev_u32_e32 v24, 64, v24
	v_and_b32_e32 v30, s27, v27
	v_or_b32_e32 v30, 0x80000000, v30
	v_and_b32_e32 v31, s26, v26
	v_ffbl_b32_e32 v30, v30
	v_add_u32_e32 v30, 32, v30
	v_ffbl_b32_e32 v31, v31
	v_min_u32_e32 v30, v31, v30
	v_cmp_lt_u32_e32 vcc, v48, v30
	s_waitcnt lgkmcnt(0)
	s_nop 0
	v_cndmask_b32_e32 v31, 0, v60, vcc
	v_add_u32_e32 v28, v31, v28
	ds_bpermute_b32 v31, v50, v28
	v_cmp_le_u32_e32 vcc, v51, v30
	s_waitcnt lgkmcnt(0)
	s_nop 0
	v_cndmask_b32_e32 v31, 0, v31, vcc
	v_add_u32_e32 v28, v28, v31
	ds_bpermute_b32 v31, v52, v28
	v_cmp_le_u32_e32 vcc, v53, v30
	;; [unrolled: 6-line block ×5, first 2 shown]
	s_waitcnt lgkmcnt(0)
	s_nop 0
	v_cndmask_b32_e32 v30, 0, v31, vcc
	v_add3_u32 v28, v30, v17, v28
.LBB2660_44:                            ; =>This Loop Header: Depth=1
                                        ;     Child Loop BB2660_47 Depth 2
                                        ;       Child Loop BB2660_48 Depth 3
	v_cmp_ne_u16_sdwa s[26:27], v29, v47 src0_sel:BYTE_0 src1_sel:DWORD
	s_nop 1
	v_cndmask_b32_e64 v17, 0, 1, s[26:27]
	;;#ASMSTART
	;;#ASMEND
	s_nop 0
	v_cmp_ne_u32_e32 vcc, 0, v17
	s_cmp_lg_u64 vcc, exec
	v_mov_b32_e32 v17, v28
	s_cbranch_scc1 .LBB2660_51
; %bb.45:                               ;   in Loop: Header=BB2660_44 Depth=1
	v_lshl_add_u64 v[30:31], v[24:25], 3, s[36:37]
	global_load_dwordx2 v[28:29], v[30:31], off sc1
	s_waitcnt vmcnt(0)
	v_cmp_eq_u16_sdwa s[28:29], v29, v25 src0_sel:BYTE_0 src1_sel:DWORD
	s_and_saveexec_b64 s[26:27], s[28:29]
	s_cbranch_execz .LBB2660_43
; %bb.46:                               ;   in Loop: Header=BB2660_44 Depth=1
	s_mov_b32 s39, 1
	s_mov_b64 s[28:29], 0
.LBB2660_47:                            ;   Parent Loop BB2660_44 Depth=1
                                        ; =>  This Loop Header: Depth=2
                                        ;       Child Loop BB2660_48 Depth 3
	s_max_u32 s40, s39, 1
.LBB2660_48:                            ;   Parent Loop BB2660_44 Depth=1
                                        ;     Parent Loop BB2660_47 Depth=2
                                        ; =>    This Inner Loop Header: Depth=3
	s_add_i32 s40, s40, -1
	s_cmp_eq_u32 s40, 0
	s_sleep 1
	s_cbranch_scc0 .LBB2660_48
; %bb.49:                               ;   in Loop: Header=BB2660_47 Depth=2
	global_load_dwordx2 v[28:29], v[30:31], off sc1
	s_cmp_lt_u32 s39, 32
	s_cselect_b64 s[40:41], -1, 0
	s_cmp_lg_u64 s[40:41], 0
	s_addc_u32 s39, s39, 0
	s_waitcnt vmcnt(0)
	v_cmp_ne_u16_sdwa s[40:41], v29, v25 src0_sel:BYTE_0 src1_sel:DWORD
	s_or_b64 s[28:29], s[40:41], s[28:29]
	s_andn2_b64 exec, exec, s[28:29]
	s_cbranch_execnz .LBB2660_47
; %bb.50:                               ;   in Loop: Header=BB2660_44 Depth=1
	s_or_b64 exec, exec, s[28:29]
	s_branch .LBB2660_43
.LBB2660_51:                            ;   in Loop: Header=BB2660_44 Depth=1
                                        ; implicit-def: $vgpr28
                                        ; implicit-def: $vgpr29
	s_cbranch_execz .LBB2660_44
; %bb.52:
	s_and_saveexec_b64 s[26:27], s[18:19]
	s_cbranch_execz .LBB2660_54
; %bb.53:
	s_add_i32 s28, s38, 64
	s_mov_b32 s29, 0
	s_lshl_b64 s[28:29], s[28:29], 3
	s_add_u32 s28, s36, s28
	v_add_u32_e32 v24, v17, v16
	v_mov_b32_e32 v25, 2
	s_addc_u32 s29, s37, s29
	v_mov_b32_e32 v26, 0
	global_store_dwordx2 v26, v[24:25], s[28:29] sc1
	ds_write_b64 v26, v[16:17] offset:28672
.LBB2660_54:
	s_or_b64 exec, exec, s[26:27]
	s_and_b64 exec, exec, s[20:21]
	s_cbranch_execz .LBB2660_56
; %bb.55:
	v_mov_b32_e32 v16, 0
	ds_write_b32 v16, v17 offset:28
.LBB2660_56:
	s_or_b64 exec, exec, s[0:1]
	v_mov_b32_e32 v16, 0
	s_waitcnt lgkmcnt(0)
	s_barrier
	ds_read_b32 v17, v16 offset:28
	v_cndmask_b32_e64 v24, v46, v45, s[18:19]
	v_cndmask_b32_e64 v24, v24, 0, s[20:21]
	s_waitcnt lgkmcnt(0)
	s_barrier
	v_add_u32_e32 v31, v17, v24
	v_add_u32_e32 v30, v31, v37
	ds_read_b64 v[16:17], v16 offset:28672
	v_add_u32_e32 v29, v30, v38
	v_add_u32_e32 v28, v29, v39
	;; [unrolled: 1-line block ×5, first 2 shown]
	s_waitcnt lgkmcnt(0)
	v_mov_b32_e32 v26, v17
	s_branch .LBB2660_67
.LBB2660_57:
                                        ; implicit-def: $vgpr26
                                        ; implicit-def: $vgpr16
                                        ; implicit-def: $vgpr24
                                        ; implicit-def: $vgpr25
                                        ; implicit-def: $vgpr27
                                        ; implicit-def: $vgpr28
                                        ; implicit-def: $vgpr29
                                        ; implicit-def: $vgpr30
                                        ; implicit-def: $vgpr31
	s_cbranch_execz .LBB2660_67
; %bb.58:
	s_nop 0
	v_mov_b32_dpp v16, v44 row_shr:1 row_mask:0xf bank_mask:0xf
	v_cndmask_b32_e64 v16, v16, 0, s[16:17]
	v_add_u32_e32 v16, v16, v44
	s_nop 1
	v_mov_b32_dpp v17, v16 row_shr:2 row_mask:0xf bank_mask:0xf
	v_cndmask_b32_e64 v17, 0, v17, s[14:15]
	v_add_u32_e32 v16, v16, v17
	;; [unrolled: 4-line block ×4, first 2 shown]
	s_nop 1
	v_mov_b32_dpp v17, v16 row_bcast:15 row_mask:0xf bank_mask:0xf
	v_cndmask_b32_e64 v17, v17, 0, s[8:9]
	v_add_u32_e32 v16, v16, v17
	s_nop 1
	v_mov_b32_dpp v17, v16 row_bcast:31 row_mask:0xf bank_mask:0xf
	v_cndmask_b32_e64 v17, 0, v17, s[4:5]
	v_add_u32_e32 v16, v16, v17
	s_and_saveexec_b64 s[0:1], s[6:7]
	s_cbranch_execz .LBB2660_60
; %bb.59:
	v_lshlrev_b32_e32 v17, 2, v43
	ds_write_b32 v17, v16
.LBB2660_60:
	s_or_b64 exec, exec, s[0:1]
	v_cmp_gt_u32_e32 vcc, 8, v0
	s_waitcnt lgkmcnt(0)
	s_barrier
	s_and_saveexec_b64 s[0:1], vcc
	s_cbranch_execz .LBB2660_62
; %bb.61:
	s_movk_i32 s4, 0xffcc
	v_mad_i32_i24 v17, v0, s4, v36
	ds_read_b32 v24, v17
	v_and_b32_e32 v25, 7, v42
	v_cmp_ne_u32_e32 vcc, 0, v25
	s_waitcnt lgkmcnt(0)
	v_mov_b32_dpp v26, v24 row_shr:1 row_mask:0xf bank_mask:0xf
	v_cndmask_b32_e32 v26, 0, v26, vcc
	v_add_u32_e32 v24, v26, v24
	v_cmp_lt_u32_e32 vcc, 1, v25
	s_nop 0
	v_mov_b32_dpp v26, v24 row_shr:2 row_mask:0xf bank_mask:0xf
	v_cndmask_b32_e32 v26, 0, v26, vcc
	v_add_u32_e32 v24, v24, v26
	v_cmp_lt_u32_e32 vcc, 3, v25
	s_nop 0
	v_mov_b32_dpp v26, v24 row_shr:4 row_mask:0xf bank_mask:0xf
	v_cndmask_b32_e32 v25, 0, v26, vcc
	v_add_u32_e32 v24, v24, v25
	ds_write_b32 v17, v24
.LBB2660_62:
	s_or_b64 exec, exec, s[0:1]
	v_cmp_lt_u32_e32 vcc, 63, v0
	v_mov_b32_e32 v17, 0
	v_mov_b32_e32 v24, 0
	s_waitcnt lgkmcnt(0)
	s_barrier
	s_and_saveexec_b64 s[0:1], vcc
	s_cbranch_execz .LBB2660_64
; %bb.63:
	v_lshl_add_u32 v24, v43, 2, -4
	ds_read_b32 v24, v24
.LBB2660_64:
	s_or_b64 exec, exec, s[0:1]
	v_add_u32_e32 v25, -1, v42
	v_and_b32_e32 v26, 64, v42
	v_cmp_lt_i32_e32 vcc, v25, v26
	s_waitcnt lgkmcnt(0)
	v_add_u32_e32 v16, v24, v16
	v_cndmask_b32_e32 v25, v25, v42, vcc
	v_lshlrev_b32_e32 v25, 2, v25
	ds_bpermute_b32 v25, v25, v16
	ds_read_b32 v16, v17 offset:28
	s_and_saveexec_b64 s[0:1], s[20:21]
	s_cbranch_execz .LBB2660_66
; %bb.65:
	v_mov_b32_e32 v26, 0
	v_mov_b32_e32 v17, 2
	s_waitcnt lgkmcnt(0)
	global_store_dwordx2 v26, v[16:17], s[36:37] offset:512 sc1
.LBB2660_66:
	s_or_b64 exec, exec, s[0:1]
	v_cmp_eq_u32_e32 vcc, 0, v42
	v_mov_b32_e32 v26, 0
	s_waitcnt lgkmcnt(0)
	v_cndmask_b32_e32 v17, v25, v24, vcc
	v_cndmask_b32_e64 v31, v17, 0, s[20:21]
	v_add_u32_e32 v30, v31, v37
	v_add_u32_e32 v29, v30, v38
	;; [unrolled: 1-line block ×6, first 2 shown]
	s_barrier
.LBB2660_67:
	v_add_u32_e32 v1, v16, v1
	v_sub_u32_e32 v31, v31, v26
	v_and_b32_e32 v37, 1, v34
	v_sub_u32_e32 v36, v1, v31
	v_cmp_eq_u32_e32 vcc, 1, v37
	v_lshrrev_b32_e32 v17, 8, v34
	v_and_b32_e32 v17, 1, v17
	v_cndmask_b32_e32 v31, v36, v31, vcc
	v_lshlrev_b32_e32 v31, 3, v31
	ds_write_b64 v31, v[10:11]
	v_sub_u32_e32 v10, v30, v26
	v_sub_u32_e32 v11, v1, v10
	v_add_u32_e32 v11, 1, v11
	v_cmp_eq_u32_e32 vcc, 1, v17
	v_or_b32_e32 v31, 0x200, v0
	v_or_b32_e32 v30, 0x400, v0
	v_cndmask_b32_e32 v10, v11, v10, vcc
	v_lshlrev_b32_e32 v10, 3, v10
	ds_write_b64 v10, v[12:13]
	v_sub_u32_e32 v10, v29, v26
	v_mov_b32_e32 v12, 1
	v_sub_u32_e32 v11, v1, v10
	v_and_b32_sdwa v12, v12, v34 dst_sel:DWORD dst_unused:UNUSED_PAD src0_sel:DWORD src1_sel:WORD_1
	v_add_u32_e32 v11, 2, v11
	v_cmp_eq_u32_e32 vcc, 1, v12
	v_or_b32_e32 v29, 0x600, v0
	v_cmp_ge_u32_e64 s[0:1], v0, v16
	v_cndmask_b32_e32 v10, v11, v10, vcc
	v_lshlrev_b32_e32 v10, 3, v10
	ds_write_b64 v10, v[6:7]
	v_sub_u32_e32 v6, v28, v26
	v_sub_u32_e32 v7, v1, v6
	v_and_b32_e32 v10, 1, v35
	v_add_u32_e32 v7, 3, v7
	v_cmp_eq_u32_e32 vcc, 1, v10
	v_or_b32_e32 v28, 0x800, v0
	s_nop 0
	v_cndmask_b32_e32 v6, v7, v6, vcc
	v_lshlrev_b32_e32 v6, 3, v6
	ds_write_b64 v6, v[8:9]
	v_sub_u32_e32 v6, v27, v26
	v_sub_u32_e32 v7, v1, v6
	v_and_b32_e32 v8, 1, v33
	v_add_u32_e32 v7, 4, v7
	v_cmp_eq_u32_e32 vcc, 1, v8
	v_mov_b32_e32 v27, 0
	v_mov_b32_e32 v17, v27
	v_cndmask_b32_e32 v6, v7, v6, vcc
	v_lshlrev_b32_e32 v6, 3, v6
	ds_write_b64 v6, v[2:3]
	v_sub_u32_e32 v2, v25, v26
	v_sub_u32_e32 v3, v1, v2
	v_and_b32_e32 v6, 1, v32
	v_add_u32_e32 v3, 5, v3
	v_cmp_eq_u32_e32 vcc, 1, v6
	s_nop 1
	v_cndmask_b32_e32 v2, v3, v2, vcc
	v_lshlrev_b32_e32 v2, 3, v2
	ds_write_b64 v2, v[4:5]
	v_sub_u32_e32 v2, v24, v26
	v_sub_u32_e32 v1, v1, v2
	v_and_b32_e32 v3, 1, v19
	v_add_u32_e32 v1, 6, v1
	v_cmp_eq_u32_e32 vcc, 1, v3
	v_or_b32_e32 v19, 0xa00, v0
	s_nop 0
	v_cndmask_b32_e32 v1, v1, v2, vcc
	v_lshlrev_b32_e32 v1, 3, v1
	ds_write_b64 v1, v[14:15]
	s_waitcnt vmcnt(0)
	v_lshl_add_u64 v[14:15], v[20:21], 0, v[16:17]
	v_lshl_add_u64 v[14:15], v[14:15], 0, v[26:27]
	s_waitcnt lgkmcnt(0)
	s_barrier
	ds_read2st64_b64 v[10:13], v18 offset1:8
	ds_read2st64_b64 v[6:9], v18 offset0:16 offset1:24
	ds_read2st64_b64 v[2:5], v18 offset0:32 offset1:40
	ds_read_b64 v[24:25], v18 offset:24576
	v_mov_b32_e32 v17, s31
	v_sub_co_u32_e32 v20, vcc, s30, v14
	v_or_b32_e32 v1, 0xc00, v0
	s_nop 0
	v_subb_co_u32_e32 v21, vcc, v17, v15, vcc
	v_lshlrev_b64 v[20:21], 3, v[20:21]
	v_lshl_add_u64 v[20:21], s[34:35], 0, v[20:21]
	v_lshl_add_u64 v[20:21], v[20:21], 0, v[22:23]
	s_and_b64 vcc, exec, s[2:3]
	s_cbranch_vccnz .LBB2660_76
; %bb.68:
	s_and_saveexec_b64 s[2:3], s[0:1]
	s_cbranch_execnz .LBB2660_95
; %bb.69:
	s_or_b64 exec, exec, s[2:3]
	v_cmp_ge_u32_e32 vcc, v31, v16
	s_and_saveexec_b64 s[0:1], vcc
	s_cbranch_execnz .LBB2660_96
.LBB2660_70:
	s_or_b64 exec, exec, s[0:1]
	v_cmp_ge_u32_e32 vcc, v30, v16
	s_and_saveexec_b64 s[0:1], vcc
	s_cbranch_execnz .LBB2660_97
.LBB2660_71:
	s_or_b64 exec, exec, s[0:1]
	v_cmp_ge_u32_e32 vcc, v29, v16
	s_and_saveexec_b64 s[0:1], vcc
	s_cbranch_execnz .LBB2660_98
.LBB2660_72:
	s_or_b64 exec, exec, s[0:1]
	v_cmp_ge_u32_e32 vcc, v28, v16
	s_and_saveexec_b64 s[0:1], vcc
	s_cbranch_execnz .LBB2660_99
.LBB2660_73:
	s_or_b64 exec, exec, s[0:1]
	v_cmp_ge_u32_e32 vcc, v19, v16
	s_and_saveexec_b64 s[0:1], vcc
	s_cbranch_execz .LBB2660_75
.LBB2660_74:
	v_lshlrev_b32_e32 v17, 3, v19
	v_readfirstlane_b32 s2, v20
	v_readfirstlane_b32 s3, v21
	s_waitcnt lgkmcnt(1)
	s_nop 3
	global_store_dwordx2 v17, v[4:5], s[2:3]
.LBB2660_75:
	s_or_b64 exec, exec, s[0:1]
	v_cmp_ge_u32_e64 s[0:1], v1, v16
	s_branch .LBB2660_90
.LBB2660_76:
	s_mov_b64 s[0:1], 0
	s_cbranch_execz .LBB2660_90
; %bb.77:
	v_cmp_gt_u32_e32 vcc, s33, v0
	v_cmp_ge_u32_e64 s[0:1], v0, v16
	s_and_b64 s[2:3], vcc, s[0:1]
	s_and_saveexec_b64 s[0:1], s[2:3]
	s_cbranch_execz .LBB2660_79
; %bb.78:
	v_readfirstlane_b32 s2, v20
	v_readfirstlane_b32 s3, v21
	s_waitcnt lgkmcnt(3)
	s_nop 3
	global_store_dwordx2 v18, v[10:11], s[2:3]
.LBB2660_79:
	s_or_b64 exec, exec, s[0:1]
	v_cmp_gt_u32_e32 vcc, s33, v31
	v_cmp_ge_u32_e64 s[0:1], v31, v16
	s_and_b64 s[2:3], vcc, s[0:1]
	s_and_saveexec_b64 s[0:1], s[2:3]
	s_cbranch_execz .LBB2660_81
; %bb.80:
	v_lshlrev_b32_e32 v0, 3, v31
	v_readfirstlane_b32 s2, v20
	v_readfirstlane_b32 s3, v21
	s_waitcnt lgkmcnt(3)
	s_nop 3
	global_store_dwordx2 v0, v[12:13], s[2:3]
.LBB2660_81:
	s_or_b64 exec, exec, s[0:1]
	v_cmp_gt_u32_e32 vcc, s33, v30
	v_cmp_ge_u32_e64 s[0:1], v30, v16
	s_and_b64 s[2:3], vcc, s[0:1]
	s_and_saveexec_b64 s[0:1], s[2:3]
	s_cbranch_execz .LBB2660_83
; %bb.82:
	v_lshlrev_b32_e32 v0, 3, v30
	v_readfirstlane_b32 s2, v20
	v_readfirstlane_b32 s3, v21
	s_waitcnt lgkmcnt(2)
	s_nop 3
	global_store_dwordx2 v0, v[6:7], s[2:3]
.LBB2660_83:
	;; [unrolled: 14-line block ×5, first 2 shown]
	s_or_b64 exec, exec, s[0:1]
	v_cmp_gt_u32_e32 vcc, s33, v1
	v_cmp_ge_u32_e64 s[0:1], v1, v16
	s_and_b64 s[0:1], vcc, s[0:1]
.LBB2660_90:
	s_and_saveexec_b64 s[2:3], s[0:1]
	s_cbranch_execnz .LBB2660_93
; %bb.91:
	s_or_b64 exec, exec, s[2:3]
	s_and_b64 s[0:1], s[20:21], s[22:23]
	s_and_saveexec_b64 s[2:3], s[0:1]
	s_cbranch_execnz .LBB2660_94
.LBB2660_92:
	s_endpgm
.LBB2660_93:
	v_lshlrev_b32_e32 v0, 3, v1
	v_readfirstlane_b32 s0, v20
	v_readfirstlane_b32 s1, v21
	s_waitcnt lgkmcnt(0)
	s_nop 3
	global_store_dwordx2 v0, v[24:25], s[0:1]
	s_or_b64 exec, exec, s[2:3]
	s_and_b64 s[0:1], s[20:21], s[22:23]
	s_and_saveexec_b64 s[2:3], s[0:1]
	s_cbranch_execz .LBB2660_92
.LBB2660_94:
	v_mov_b32_e32 v0, 0
	global_store_dwordx2 v0, v[14:15], s[24:25]
	s_endpgm
.LBB2660_95:
	v_readfirstlane_b32 s0, v20
	v_readfirstlane_b32 s1, v21
	s_waitcnt lgkmcnt(3)
	s_nop 3
	global_store_dwordx2 v18, v[10:11], s[0:1]
	s_or_b64 exec, exec, s[2:3]
	v_cmp_ge_u32_e32 vcc, v31, v16
	s_and_saveexec_b64 s[0:1], vcc
	s_cbranch_execz .LBB2660_70
.LBB2660_96:
	v_lshlrev_b32_e32 v17, 3, v31
	v_readfirstlane_b32 s2, v20
	v_readfirstlane_b32 s3, v21
	s_waitcnt lgkmcnt(3)
	s_nop 3
	global_store_dwordx2 v17, v[12:13], s[2:3]
	s_or_b64 exec, exec, s[0:1]
	v_cmp_ge_u32_e32 vcc, v30, v16
	s_and_saveexec_b64 s[0:1], vcc
	s_cbranch_execz .LBB2660_71
.LBB2660_97:
	v_lshlrev_b32_e32 v17, 3, v30
	v_readfirstlane_b32 s2, v20
	v_readfirstlane_b32 s3, v21
	s_waitcnt lgkmcnt(2)
	s_nop 3
	global_store_dwordx2 v17, v[6:7], s[2:3]
	s_or_b64 exec, exec, s[0:1]
	v_cmp_ge_u32_e32 vcc, v29, v16
	s_and_saveexec_b64 s[0:1], vcc
	s_cbranch_execz .LBB2660_72
.LBB2660_98:
	v_lshlrev_b32_e32 v17, 3, v29
	v_readfirstlane_b32 s2, v20
	v_readfirstlane_b32 s3, v21
	s_waitcnt lgkmcnt(2)
	s_nop 3
	global_store_dwordx2 v17, v[8:9], s[2:3]
	s_or_b64 exec, exec, s[0:1]
	v_cmp_ge_u32_e32 vcc, v28, v16
	s_and_saveexec_b64 s[0:1], vcc
	s_cbranch_execz .LBB2660_73
.LBB2660_99:
	v_lshlrev_b32_e32 v17, 3, v28
	v_readfirstlane_b32 s2, v20
	v_readfirstlane_b32 s3, v21
	s_waitcnt lgkmcnt(1)
	s_nop 3
	global_store_dwordx2 v17, v[2:3], s[2:3]
	s_or_b64 exec, exec, s[0:1]
	v_cmp_ge_u32_e32 vcc, v19, v16
	s_and_saveexec_b64 s[0:1], vcc
	s_cbranch_execnz .LBB2660_74
	s_branch .LBB2660_75
	.section	.rodata,"a",@progbits
	.p2align	6, 0x0
	.amdhsa_kernel _ZN7rocprim17ROCPRIM_400000_NS6detail17trampoline_kernelINS0_14default_configENS1_25partition_config_selectorILNS1_17partition_subalgoE0ExNS0_10empty_typeEbEEZZNS1_14partition_implILS5_0ELb0ES3_jN6thrust23THRUST_200600_302600_NS6detail15normal_iteratorINSA_10device_ptrIxEEEEPS6_SG_NS0_5tupleIJNSA_16discard_iteratorINSA_11use_defaultEEESF_EEENSH_IJSG_SG_EEES6_PlJ7is_evenIxEEEE10hipError_tPvRmT3_T4_T5_T6_T7_T9_mT8_P12ihipStream_tbDpT10_ENKUlT_T0_E_clISt17integral_constantIbLb1EES19_EEDaS14_S15_EUlS14_E_NS1_11comp_targetILNS1_3genE5ELNS1_11target_archE942ELNS1_3gpuE9ELNS1_3repE0EEENS1_30default_config_static_selectorELNS0_4arch9wavefront6targetE1EEEvT1_
		.amdhsa_group_segment_fixed_size 28680
		.amdhsa_private_segment_fixed_size 0
		.amdhsa_kernarg_size 144
		.amdhsa_user_sgpr_count 2
		.amdhsa_user_sgpr_dispatch_ptr 0
		.amdhsa_user_sgpr_queue_ptr 0
		.amdhsa_user_sgpr_kernarg_segment_ptr 1
		.amdhsa_user_sgpr_dispatch_id 0
		.amdhsa_user_sgpr_kernarg_preload_length 0
		.amdhsa_user_sgpr_kernarg_preload_offset 0
		.amdhsa_user_sgpr_private_segment_size 0
		.amdhsa_uses_dynamic_stack 0
		.amdhsa_enable_private_segment 0
		.amdhsa_system_sgpr_workgroup_id_x 1
		.amdhsa_system_sgpr_workgroup_id_y 0
		.amdhsa_system_sgpr_workgroup_id_z 0
		.amdhsa_system_sgpr_workgroup_info 0
		.amdhsa_system_vgpr_workitem_id 0
		.amdhsa_next_free_vgpr 61
		.amdhsa_next_free_sgpr 42
		.amdhsa_accum_offset 64
		.amdhsa_reserve_vcc 1
		.amdhsa_float_round_mode_32 0
		.amdhsa_float_round_mode_16_64 0
		.amdhsa_float_denorm_mode_32 3
		.amdhsa_float_denorm_mode_16_64 3
		.amdhsa_dx10_clamp 1
		.amdhsa_ieee_mode 1
		.amdhsa_fp16_overflow 0
		.amdhsa_tg_split 0
		.amdhsa_exception_fp_ieee_invalid_op 0
		.amdhsa_exception_fp_denorm_src 0
		.amdhsa_exception_fp_ieee_div_zero 0
		.amdhsa_exception_fp_ieee_overflow 0
		.amdhsa_exception_fp_ieee_underflow 0
		.amdhsa_exception_fp_ieee_inexact 0
		.amdhsa_exception_int_div_zero 0
	.end_amdhsa_kernel
	.section	.text._ZN7rocprim17ROCPRIM_400000_NS6detail17trampoline_kernelINS0_14default_configENS1_25partition_config_selectorILNS1_17partition_subalgoE0ExNS0_10empty_typeEbEEZZNS1_14partition_implILS5_0ELb0ES3_jN6thrust23THRUST_200600_302600_NS6detail15normal_iteratorINSA_10device_ptrIxEEEEPS6_SG_NS0_5tupleIJNSA_16discard_iteratorINSA_11use_defaultEEESF_EEENSH_IJSG_SG_EEES6_PlJ7is_evenIxEEEE10hipError_tPvRmT3_T4_T5_T6_T7_T9_mT8_P12ihipStream_tbDpT10_ENKUlT_T0_E_clISt17integral_constantIbLb1EES19_EEDaS14_S15_EUlS14_E_NS1_11comp_targetILNS1_3genE5ELNS1_11target_archE942ELNS1_3gpuE9ELNS1_3repE0EEENS1_30default_config_static_selectorELNS0_4arch9wavefront6targetE1EEEvT1_,"axG",@progbits,_ZN7rocprim17ROCPRIM_400000_NS6detail17trampoline_kernelINS0_14default_configENS1_25partition_config_selectorILNS1_17partition_subalgoE0ExNS0_10empty_typeEbEEZZNS1_14partition_implILS5_0ELb0ES3_jN6thrust23THRUST_200600_302600_NS6detail15normal_iteratorINSA_10device_ptrIxEEEEPS6_SG_NS0_5tupleIJNSA_16discard_iteratorINSA_11use_defaultEEESF_EEENSH_IJSG_SG_EEES6_PlJ7is_evenIxEEEE10hipError_tPvRmT3_T4_T5_T6_T7_T9_mT8_P12ihipStream_tbDpT10_ENKUlT_T0_E_clISt17integral_constantIbLb1EES19_EEDaS14_S15_EUlS14_E_NS1_11comp_targetILNS1_3genE5ELNS1_11target_archE942ELNS1_3gpuE9ELNS1_3repE0EEENS1_30default_config_static_selectorELNS0_4arch9wavefront6targetE1EEEvT1_,comdat
.Lfunc_end2660:
	.size	_ZN7rocprim17ROCPRIM_400000_NS6detail17trampoline_kernelINS0_14default_configENS1_25partition_config_selectorILNS1_17partition_subalgoE0ExNS0_10empty_typeEbEEZZNS1_14partition_implILS5_0ELb0ES3_jN6thrust23THRUST_200600_302600_NS6detail15normal_iteratorINSA_10device_ptrIxEEEEPS6_SG_NS0_5tupleIJNSA_16discard_iteratorINSA_11use_defaultEEESF_EEENSH_IJSG_SG_EEES6_PlJ7is_evenIxEEEE10hipError_tPvRmT3_T4_T5_T6_T7_T9_mT8_P12ihipStream_tbDpT10_ENKUlT_T0_E_clISt17integral_constantIbLb1EES19_EEDaS14_S15_EUlS14_E_NS1_11comp_targetILNS1_3genE5ELNS1_11target_archE942ELNS1_3gpuE9ELNS1_3repE0EEENS1_30default_config_static_selectorELNS0_4arch9wavefront6targetE1EEEvT1_, .Lfunc_end2660-_ZN7rocprim17ROCPRIM_400000_NS6detail17trampoline_kernelINS0_14default_configENS1_25partition_config_selectorILNS1_17partition_subalgoE0ExNS0_10empty_typeEbEEZZNS1_14partition_implILS5_0ELb0ES3_jN6thrust23THRUST_200600_302600_NS6detail15normal_iteratorINSA_10device_ptrIxEEEEPS6_SG_NS0_5tupleIJNSA_16discard_iteratorINSA_11use_defaultEEESF_EEENSH_IJSG_SG_EEES6_PlJ7is_evenIxEEEE10hipError_tPvRmT3_T4_T5_T6_T7_T9_mT8_P12ihipStream_tbDpT10_ENKUlT_T0_E_clISt17integral_constantIbLb1EES19_EEDaS14_S15_EUlS14_E_NS1_11comp_targetILNS1_3genE5ELNS1_11target_archE942ELNS1_3gpuE9ELNS1_3repE0EEENS1_30default_config_static_selectorELNS0_4arch9wavefront6targetE1EEEvT1_
                                        ; -- End function
	.section	.AMDGPU.csdata,"",@progbits
; Kernel info:
; codeLenInByte = 4712
; NumSgprs: 48
; NumVgprs: 61
; NumAgprs: 0
; TotalNumVgprs: 61
; ScratchSize: 0
; MemoryBound: 0
; FloatMode: 240
; IeeeMode: 1
; LDSByteSize: 28680 bytes/workgroup (compile time only)
; SGPRBlocks: 5
; VGPRBlocks: 7
; NumSGPRsForWavesPerEU: 48
; NumVGPRsForWavesPerEU: 61
; AccumOffset: 64
; Occupancy: 4
; WaveLimiterHint : 1
; COMPUTE_PGM_RSRC2:SCRATCH_EN: 0
; COMPUTE_PGM_RSRC2:USER_SGPR: 2
; COMPUTE_PGM_RSRC2:TRAP_HANDLER: 0
; COMPUTE_PGM_RSRC2:TGID_X_EN: 1
; COMPUTE_PGM_RSRC2:TGID_Y_EN: 0
; COMPUTE_PGM_RSRC2:TGID_Z_EN: 0
; COMPUTE_PGM_RSRC2:TIDIG_COMP_CNT: 0
; COMPUTE_PGM_RSRC3_GFX90A:ACCUM_OFFSET: 15
; COMPUTE_PGM_RSRC3_GFX90A:TG_SPLIT: 0
	.section	.text._ZN7rocprim17ROCPRIM_400000_NS6detail17trampoline_kernelINS0_14default_configENS1_25partition_config_selectorILNS1_17partition_subalgoE0ExNS0_10empty_typeEbEEZZNS1_14partition_implILS5_0ELb0ES3_jN6thrust23THRUST_200600_302600_NS6detail15normal_iteratorINSA_10device_ptrIxEEEEPS6_SG_NS0_5tupleIJNSA_16discard_iteratorINSA_11use_defaultEEESF_EEENSH_IJSG_SG_EEES6_PlJ7is_evenIxEEEE10hipError_tPvRmT3_T4_T5_T6_T7_T9_mT8_P12ihipStream_tbDpT10_ENKUlT_T0_E_clISt17integral_constantIbLb1EES19_EEDaS14_S15_EUlS14_E_NS1_11comp_targetILNS1_3genE4ELNS1_11target_archE910ELNS1_3gpuE8ELNS1_3repE0EEENS1_30default_config_static_selectorELNS0_4arch9wavefront6targetE1EEEvT1_,"axG",@progbits,_ZN7rocprim17ROCPRIM_400000_NS6detail17trampoline_kernelINS0_14default_configENS1_25partition_config_selectorILNS1_17partition_subalgoE0ExNS0_10empty_typeEbEEZZNS1_14partition_implILS5_0ELb0ES3_jN6thrust23THRUST_200600_302600_NS6detail15normal_iteratorINSA_10device_ptrIxEEEEPS6_SG_NS0_5tupleIJNSA_16discard_iteratorINSA_11use_defaultEEESF_EEENSH_IJSG_SG_EEES6_PlJ7is_evenIxEEEE10hipError_tPvRmT3_T4_T5_T6_T7_T9_mT8_P12ihipStream_tbDpT10_ENKUlT_T0_E_clISt17integral_constantIbLb1EES19_EEDaS14_S15_EUlS14_E_NS1_11comp_targetILNS1_3genE4ELNS1_11target_archE910ELNS1_3gpuE8ELNS1_3repE0EEENS1_30default_config_static_selectorELNS0_4arch9wavefront6targetE1EEEvT1_,comdat
	.protected	_ZN7rocprim17ROCPRIM_400000_NS6detail17trampoline_kernelINS0_14default_configENS1_25partition_config_selectorILNS1_17partition_subalgoE0ExNS0_10empty_typeEbEEZZNS1_14partition_implILS5_0ELb0ES3_jN6thrust23THRUST_200600_302600_NS6detail15normal_iteratorINSA_10device_ptrIxEEEEPS6_SG_NS0_5tupleIJNSA_16discard_iteratorINSA_11use_defaultEEESF_EEENSH_IJSG_SG_EEES6_PlJ7is_evenIxEEEE10hipError_tPvRmT3_T4_T5_T6_T7_T9_mT8_P12ihipStream_tbDpT10_ENKUlT_T0_E_clISt17integral_constantIbLb1EES19_EEDaS14_S15_EUlS14_E_NS1_11comp_targetILNS1_3genE4ELNS1_11target_archE910ELNS1_3gpuE8ELNS1_3repE0EEENS1_30default_config_static_selectorELNS0_4arch9wavefront6targetE1EEEvT1_ ; -- Begin function _ZN7rocprim17ROCPRIM_400000_NS6detail17trampoline_kernelINS0_14default_configENS1_25partition_config_selectorILNS1_17partition_subalgoE0ExNS0_10empty_typeEbEEZZNS1_14partition_implILS5_0ELb0ES3_jN6thrust23THRUST_200600_302600_NS6detail15normal_iteratorINSA_10device_ptrIxEEEEPS6_SG_NS0_5tupleIJNSA_16discard_iteratorINSA_11use_defaultEEESF_EEENSH_IJSG_SG_EEES6_PlJ7is_evenIxEEEE10hipError_tPvRmT3_T4_T5_T6_T7_T9_mT8_P12ihipStream_tbDpT10_ENKUlT_T0_E_clISt17integral_constantIbLb1EES19_EEDaS14_S15_EUlS14_E_NS1_11comp_targetILNS1_3genE4ELNS1_11target_archE910ELNS1_3gpuE8ELNS1_3repE0EEENS1_30default_config_static_selectorELNS0_4arch9wavefront6targetE1EEEvT1_
	.globl	_ZN7rocprim17ROCPRIM_400000_NS6detail17trampoline_kernelINS0_14default_configENS1_25partition_config_selectorILNS1_17partition_subalgoE0ExNS0_10empty_typeEbEEZZNS1_14partition_implILS5_0ELb0ES3_jN6thrust23THRUST_200600_302600_NS6detail15normal_iteratorINSA_10device_ptrIxEEEEPS6_SG_NS0_5tupleIJNSA_16discard_iteratorINSA_11use_defaultEEESF_EEENSH_IJSG_SG_EEES6_PlJ7is_evenIxEEEE10hipError_tPvRmT3_T4_T5_T6_T7_T9_mT8_P12ihipStream_tbDpT10_ENKUlT_T0_E_clISt17integral_constantIbLb1EES19_EEDaS14_S15_EUlS14_E_NS1_11comp_targetILNS1_3genE4ELNS1_11target_archE910ELNS1_3gpuE8ELNS1_3repE0EEENS1_30default_config_static_selectorELNS0_4arch9wavefront6targetE1EEEvT1_
	.p2align	8
	.type	_ZN7rocprim17ROCPRIM_400000_NS6detail17trampoline_kernelINS0_14default_configENS1_25partition_config_selectorILNS1_17partition_subalgoE0ExNS0_10empty_typeEbEEZZNS1_14partition_implILS5_0ELb0ES3_jN6thrust23THRUST_200600_302600_NS6detail15normal_iteratorINSA_10device_ptrIxEEEEPS6_SG_NS0_5tupleIJNSA_16discard_iteratorINSA_11use_defaultEEESF_EEENSH_IJSG_SG_EEES6_PlJ7is_evenIxEEEE10hipError_tPvRmT3_T4_T5_T6_T7_T9_mT8_P12ihipStream_tbDpT10_ENKUlT_T0_E_clISt17integral_constantIbLb1EES19_EEDaS14_S15_EUlS14_E_NS1_11comp_targetILNS1_3genE4ELNS1_11target_archE910ELNS1_3gpuE8ELNS1_3repE0EEENS1_30default_config_static_selectorELNS0_4arch9wavefront6targetE1EEEvT1_,@function
_ZN7rocprim17ROCPRIM_400000_NS6detail17trampoline_kernelINS0_14default_configENS1_25partition_config_selectorILNS1_17partition_subalgoE0ExNS0_10empty_typeEbEEZZNS1_14partition_implILS5_0ELb0ES3_jN6thrust23THRUST_200600_302600_NS6detail15normal_iteratorINSA_10device_ptrIxEEEEPS6_SG_NS0_5tupleIJNSA_16discard_iteratorINSA_11use_defaultEEESF_EEENSH_IJSG_SG_EEES6_PlJ7is_evenIxEEEE10hipError_tPvRmT3_T4_T5_T6_T7_T9_mT8_P12ihipStream_tbDpT10_ENKUlT_T0_E_clISt17integral_constantIbLb1EES19_EEDaS14_S15_EUlS14_E_NS1_11comp_targetILNS1_3genE4ELNS1_11target_archE910ELNS1_3gpuE8ELNS1_3repE0EEENS1_30default_config_static_selectorELNS0_4arch9wavefront6targetE1EEEvT1_: ; @_ZN7rocprim17ROCPRIM_400000_NS6detail17trampoline_kernelINS0_14default_configENS1_25partition_config_selectorILNS1_17partition_subalgoE0ExNS0_10empty_typeEbEEZZNS1_14partition_implILS5_0ELb0ES3_jN6thrust23THRUST_200600_302600_NS6detail15normal_iteratorINSA_10device_ptrIxEEEEPS6_SG_NS0_5tupleIJNSA_16discard_iteratorINSA_11use_defaultEEESF_EEENSH_IJSG_SG_EEES6_PlJ7is_evenIxEEEE10hipError_tPvRmT3_T4_T5_T6_T7_T9_mT8_P12ihipStream_tbDpT10_ENKUlT_T0_E_clISt17integral_constantIbLb1EES19_EEDaS14_S15_EUlS14_E_NS1_11comp_targetILNS1_3genE4ELNS1_11target_archE910ELNS1_3gpuE8ELNS1_3repE0EEENS1_30default_config_static_selectorELNS0_4arch9wavefront6targetE1EEEvT1_
; %bb.0:
	.section	.rodata,"a",@progbits
	.p2align	6, 0x0
	.amdhsa_kernel _ZN7rocprim17ROCPRIM_400000_NS6detail17trampoline_kernelINS0_14default_configENS1_25partition_config_selectorILNS1_17partition_subalgoE0ExNS0_10empty_typeEbEEZZNS1_14partition_implILS5_0ELb0ES3_jN6thrust23THRUST_200600_302600_NS6detail15normal_iteratorINSA_10device_ptrIxEEEEPS6_SG_NS0_5tupleIJNSA_16discard_iteratorINSA_11use_defaultEEESF_EEENSH_IJSG_SG_EEES6_PlJ7is_evenIxEEEE10hipError_tPvRmT3_T4_T5_T6_T7_T9_mT8_P12ihipStream_tbDpT10_ENKUlT_T0_E_clISt17integral_constantIbLb1EES19_EEDaS14_S15_EUlS14_E_NS1_11comp_targetILNS1_3genE4ELNS1_11target_archE910ELNS1_3gpuE8ELNS1_3repE0EEENS1_30default_config_static_selectorELNS0_4arch9wavefront6targetE1EEEvT1_
		.amdhsa_group_segment_fixed_size 0
		.amdhsa_private_segment_fixed_size 0
		.amdhsa_kernarg_size 144
		.amdhsa_user_sgpr_count 2
		.amdhsa_user_sgpr_dispatch_ptr 0
		.amdhsa_user_sgpr_queue_ptr 0
		.amdhsa_user_sgpr_kernarg_segment_ptr 1
		.amdhsa_user_sgpr_dispatch_id 0
		.amdhsa_user_sgpr_kernarg_preload_length 0
		.amdhsa_user_sgpr_kernarg_preload_offset 0
		.amdhsa_user_sgpr_private_segment_size 0
		.amdhsa_uses_dynamic_stack 0
		.amdhsa_enable_private_segment 0
		.amdhsa_system_sgpr_workgroup_id_x 1
		.amdhsa_system_sgpr_workgroup_id_y 0
		.amdhsa_system_sgpr_workgroup_id_z 0
		.amdhsa_system_sgpr_workgroup_info 0
		.amdhsa_system_vgpr_workitem_id 0
		.amdhsa_next_free_vgpr 1
		.amdhsa_next_free_sgpr 0
		.amdhsa_accum_offset 4
		.amdhsa_reserve_vcc 0
		.amdhsa_float_round_mode_32 0
		.amdhsa_float_round_mode_16_64 0
		.amdhsa_float_denorm_mode_32 3
		.amdhsa_float_denorm_mode_16_64 3
		.amdhsa_dx10_clamp 1
		.amdhsa_ieee_mode 1
		.amdhsa_fp16_overflow 0
		.amdhsa_tg_split 0
		.amdhsa_exception_fp_ieee_invalid_op 0
		.amdhsa_exception_fp_denorm_src 0
		.amdhsa_exception_fp_ieee_div_zero 0
		.amdhsa_exception_fp_ieee_overflow 0
		.amdhsa_exception_fp_ieee_underflow 0
		.amdhsa_exception_fp_ieee_inexact 0
		.amdhsa_exception_int_div_zero 0
	.end_amdhsa_kernel
	.section	.text._ZN7rocprim17ROCPRIM_400000_NS6detail17trampoline_kernelINS0_14default_configENS1_25partition_config_selectorILNS1_17partition_subalgoE0ExNS0_10empty_typeEbEEZZNS1_14partition_implILS5_0ELb0ES3_jN6thrust23THRUST_200600_302600_NS6detail15normal_iteratorINSA_10device_ptrIxEEEEPS6_SG_NS0_5tupleIJNSA_16discard_iteratorINSA_11use_defaultEEESF_EEENSH_IJSG_SG_EEES6_PlJ7is_evenIxEEEE10hipError_tPvRmT3_T4_T5_T6_T7_T9_mT8_P12ihipStream_tbDpT10_ENKUlT_T0_E_clISt17integral_constantIbLb1EES19_EEDaS14_S15_EUlS14_E_NS1_11comp_targetILNS1_3genE4ELNS1_11target_archE910ELNS1_3gpuE8ELNS1_3repE0EEENS1_30default_config_static_selectorELNS0_4arch9wavefront6targetE1EEEvT1_,"axG",@progbits,_ZN7rocprim17ROCPRIM_400000_NS6detail17trampoline_kernelINS0_14default_configENS1_25partition_config_selectorILNS1_17partition_subalgoE0ExNS0_10empty_typeEbEEZZNS1_14partition_implILS5_0ELb0ES3_jN6thrust23THRUST_200600_302600_NS6detail15normal_iteratorINSA_10device_ptrIxEEEEPS6_SG_NS0_5tupleIJNSA_16discard_iteratorINSA_11use_defaultEEESF_EEENSH_IJSG_SG_EEES6_PlJ7is_evenIxEEEE10hipError_tPvRmT3_T4_T5_T6_T7_T9_mT8_P12ihipStream_tbDpT10_ENKUlT_T0_E_clISt17integral_constantIbLb1EES19_EEDaS14_S15_EUlS14_E_NS1_11comp_targetILNS1_3genE4ELNS1_11target_archE910ELNS1_3gpuE8ELNS1_3repE0EEENS1_30default_config_static_selectorELNS0_4arch9wavefront6targetE1EEEvT1_,comdat
.Lfunc_end2661:
	.size	_ZN7rocprim17ROCPRIM_400000_NS6detail17trampoline_kernelINS0_14default_configENS1_25partition_config_selectorILNS1_17partition_subalgoE0ExNS0_10empty_typeEbEEZZNS1_14partition_implILS5_0ELb0ES3_jN6thrust23THRUST_200600_302600_NS6detail15normal_iteratorINSA_10device_ptrIxEEEEPS6_SG_NS0_5tupleIJNSA_16discard_iteratorINSA_11use_defaultEEESF_EEENSH_IJSG_SG_EEES6_PlJ7is_evenIxEEEE10hipError_tPvRmT3_T4_T5_T6_T7_T9_mT8_P12ihipStream_tbDpT10_ENKUlT_T0_E_clISt17integral_constantIbLb1EES19_EEDaS14_S15_EUlS14_E_NS1_11comp_targetILNS1_3genE4ELNS1_11target_archE910ELNS1_3gpuE8ELNS1_3repE0EEENS1_30default_config_static_selectorELNS0_4arch9wavefront6targetE1EEEvT1_, .Lfunc_end2661-_ZN7rocprim17ROCPRIM_400000_NS6detail17trampoline_kernelINS0_14default_configENS1_25partition_config_selectorILNS1_17partition_subalgoE0ExNS0_10empty_typeEbEEZZNS1_14partition_implILS5_0ELb0ES3_jN6thrust23THRUST_200600_302600_NS6detail15normal_iteratorINSA_10device_ptrIxEEEEPS6_SG_NS0_5tupleIJNSA_16discard_iteratorINSA_11use_defaultEEESF_EEENSH_IJSG_SG_EEES6_PlJ7is_evenIxEEEE10hipError_tPvRmT3_T4_T5_T6_T7_T9_mT8_P12ihipStream_tbDpT10_ENKUlT_T0_E_clISt17integral_constantIbLb1EES19_EEDaS14_S15_EUlS14_E_NS1_11comp_targetILNS1_3genE4ELNS1_11target_archE910ELNS1_3gpuE8ELNS1_3repE0EEENS1_30default_config_static_selectorELNS0_4arch9wavefront6targetE1EEEvT1_
                                        ; -- End function
	.section	.AMDGPU.csdata,"",@progbits
; Kernel info:
; codeLenInByte = 0
; NumSgprs: 6
; NumVgprs: 0
; NumAgprs: 0
; TotalNumVgprs: 0
; ScratchSize: 0
; MemoryBound: 0
; FloatMode: 240
; IeeeMode: 1
; LDSByteSize: 0 bytes/workgroup (compile time only)
; SGPRBlocks: 0
; VGPRBlocks: 0
; NumSGPRsForWavesPerEU: 6
; NumVGPRsForWavesPerEU: 1
; AccumOffset: 4
; Occupancy: 8
; WaveLimiterHint : 0
; COMPUTE_PGM_RSRC2:SCRATCH_EN: 0
; COMPUTE_PGM_RSRC2:USER_SGPR: 2
; COMPUTE_PGM_RSRC2:TRAP_HANDLER: 0
; COMPUTE_PGM_RSRC2:TGID_X_EN: 1
; COMPUTE_PGM_RSRC2:TGID_Y_EN: 0
; COMPUTE_PGM_RSRC2:TGID_Z_EN: 0
; COMPUTE_PGM_RSRC2:TIDIG_COMP_CNT: 0
; COMPUTE_PGM_RSRC3_GFX90A:ACCUM_OFFSET: 0
; COMPUTE_PGM_RSRC3_GFX90A:TG_SPLIT: 0
	.section	.text._ZN7rocprim17ROCPRIM_400000_NS6detail17trampoline_kernelINS0_14default_configENS1_25partition_config_selectorILNS1_17partition_subalgoE0ExNS0_10empty_typeEbEEZZNS1_14partition_implILS5_0ELb0ES3_jN6thrust23THRUST_200600_302600_NS6detail15normal_iteratorINSA_10device_ptrIxEEEEPS6_SG_NS0_5tupleIJNSA_16discard_iteratorINSA_11use_defaultEEESF_EEENSH_IJSG_SG_EEES6_PlJ7is_evenIxEEEE10hipError_tPvRmT3_T4_T5_T6_T7_T9_mT8_P12ihipStream_tbDpT10_ENKUlT_T0_E_clISt17integral_constantIbLb1EES19_EEDaS14_S15_EUlS14_E_NS1_11comp_targetILNS1_3genE3ELNS1_11target_archE908ELNS1_3gpuE7ELNS1_3repE0EEENS1_30default_config_static_selectorELNS0_4arch9wavefront6targetE1EEEvT1_,"axG",@progbits,_ZN7rocprim17ROCPRIM_400000_NS6detail17trampoline_kernelINS0_14default_configENS1_25partition_config_selectorILNS1_17partition_subalgoE0ExNS0_10empty_typeEbEEZZNS1_14partition_implILS5_0ELb0ES3_jN6thrust23THRUST_200600_302600_NS6detail15normal_iteratorINSA_10device_ptrIxEEEEPS6_SG_NS0_5tupleIJNSA_16discard_iteratorINSA_11use_defaultEEESF_EEENSH_IJSG_SG_EEES6_PlJ7is_evenIxEEEE10hipError_tPvRmT3_T4_T5_T6_T7_T9_mT8_P12ihipStream_tbDpT10_ENKUlT_T0_E_clISt17integral_constantIbLb1EES19_EEDaS14_S15_EUlS14_E_NS1_11comp_targetILNS1_3genE3ELNS1_11target_archE908ELNS1_3gpuE7ELNS1_3repE0EEENS1_30default_config_static_selectorELNS0_4arch9wavefront6targetE1EEEvT1_,comdat
	.protected	_ZN7rocprim17ROCPRIM_400000_NS6detail17trampoline_kernelINS0_14default_configENS1_25partition_config_selectorILNS1_17partition_subalgoE0ExNS0_10empty_typeEbEEZZNS1_14partition_implILS5_0ELb0ES3_jN6thrust23THRUST_200600_302600_NS6detail15normal_iteratorINSA_10device_ptrIxEEEEPS6_SG_NS0_5tupleIJNSA_16discard_iteratorINSA_11use_defaultEEESF_EEENSH_IJSG_SG_EEES6_PlJ7is_evenIxEEEE10hipError_tPvRmT3_T4_T5_T6_T7_T9_mT8_P12ihipStream_tbDpT10_ENKUlT_T0_E_clISt17integral_constantIbLb1EES19_EEDaS14_S15_EUlS14_E_NS1_11comp_targetILNS1_3genE3ELNS1_11target_archE908ELNS1_3gpuE7ELNS1_3repE0EEENS1_30default_config_static_selectorELNS0_4arch9wavefront6targetE1EEEvT1_ ; -- Begin function _ZN7rocprim17ROCPRIM_400000_NS6detail17trampoline_kernelINS0_14default_configENS1_25partition_config_selectorILNS1_17partition_subalgoE0ExNS0_10empty_typeEbEEZZNS1_14partition_implILS5_0ELb0ES3_jN6thrust23THRUST_200600_302600_NS6detail15normal_iteratorINSA_10device_ptrIxEEEEPS6_SG_NS0_5tupleIJNSA_16discard_iteratorINSA_11use_defaultEEESF_EEENSH_IJSG_SG_EEES6_PlJ7is_evenIxEEEE10hipError_tPvRmT3_T4_T5_T6_T7_T9_mT8_P12ihipStream_tbDpT10_ENKUlT_T0_E_clISt17integral_constantIbLb1EES19_EEDaS14_S15_EUlS14_E_NS1_11comp_targetILNS1_3genE3ELNS1_11target_archE908ELNS1_3gpuE7ELNS1_3repE0EEENS1_30default_config_static_selectorELNS0_4arch9wavefront6targetE1EEEvT1_
	.globl	_ZN7rocprim17ROCPRIM_400000_NS6detail17trampoline_kernelINS0_14default_configENS1_25partition_config_selectorILNS1_17partition_subalgoE0ExNS0_10empty_typeEbEEZZNS1_14partition_implILS5_0ELb0ES3_jN6thrust23THRUST_200600_302600_NS6detail15normal_iteratorINSA_10device_ptrIxEEEEPS6_SG_NS0_5tupleIJNSA_16discard_iteratorINSA_11use_defaultEEESF_EEENSH_IJSG_SG_EEES6_PlJ7is_evenIxEEEE10hipError_tPvRmT3_T4_T5_T6_T7_T9_mT8_P12ihipStream_tbDpT10_ENKUlT_T0_E_clISt17integral_constantIbLb1EES19_EEDaS14_S15_EUlS14_E_NS1_11comp_targetILNS1_3genE3ELNS1_11target_archE908ELNS1_3gpuE7ELNS1_3repE0EEENS1_30default_config_static_selectorELNS0_4arch9wavefront6targetE1EEEvT1_
	.p2align	8
	.type	_ZN7rocprim17ROCPRIM_400000_NS6detail17trampoline_kernelINS0_14default_configENS1_25partition_config_selectorILNS1_17partition_subalgoE0ExNS0_10empty_typeEbEEZZNS1_14partition_implILS5_0ELb0ES3_jN6thrust23THRUST_200600_302600_NS6detail15normal_iteratorINSA_10device_ptrIxEEEEPS6_SG_NS0_5tupleIJNSA_16discard_iteratorINSA_11use_defaultEEESF_EEENSH_IJSG_SG_EEES6_PlJ7is_evenIxEEEE10hipError_tPvRmT3_T4_T5_T6_T7_T9_mT8_P12ihipStream_tbDpT10_ENKUlT_T0_E_clISt17integral_constantIbLb1EES19_EEDaS14_S15_EUlS14_E_NS1_11comp_targetILNS1_3genE3ELNS1_11target_archE908ELNS1_3gpuE7ELNS1_3repE0EEENS1_30default_config_static_selectorELNS0_4arch9wavefront6targetE1EEEvT1_,@function
_ZN7rocprim17ROCPRIM_400000_NS6detail17trampoline_kernelINS0_14default_configENS1_25partition_config_selectorILNS1_17partition_subalgoE0ExNS0_10empty_typeEbEEZZNS1_14partition_implILS5_0ELb0ES3_jN6thrust23THRUST_200600_302600_NS6detail15normal_iteratorINSA_10device_ptrIxEEEEPS6_SG_NS0_5tupleIJNSA_16discard_iteratorINSA_11use_defaultEEESF_EEENSH_IJSG_SG_EEES6_PlJ7is_evenIxEEEE10hipError_tPvRmT3_T4_T5_T6_T7_T9_mT8_P12ihipStream_tbDpT10_ENKUlT_T0_E_clISt17integral_constantIbLb1EES19_EEDaS14_S15_EUlS14_E_NS1_11comp_targetILNS1_3genE3ELNS1_11target_archE908ELNS1_3gpuE7ELNS1_3repE0EEENS1_30default_config_static_selectorELNS0_4arch9wavefront6targetE1EEEvT1_: ; @_ZN7rocprim17ROCPRIM_400000_NS6detail17trampoline_kernelINS0_14default_configENS1_25partition_config_selectorILNS1_17partition_subalgoE0ExNS0_10empty_typeEbEEZZNS1_14partition_implILS5_0ELb0ES3_jN6thrust23THRUST_200600_302600_NS6detail15normal_iteratorINSA_10device_ptrIxEEEEPS6_SG_NS0_5tupleIJNSA_16discard_iteratorINSA_11use_defaultEEESF_EEENSH_IJSG_SG_EEES6_PlJ7is_evenIxEEEE10hipError_tPvRmT3_T4_T5_T6_T7_T9_mT8_P12ihipStream_tbDpT10_ENKUlT_T0_E_clISt17integral_constantIbLb1EES19_EEDaS14_S15_EUlS14_E_NS1_11comp_targetILNS1_3genE3ELNS1_11target_archE908ELNS1_3gpuE7ELNS1_3repE0EEENS1_30default_config_static_selectorELNS0_4arch9wavefront6targetE1EEEvT1_
; %bb.0:
	.section	.rodata,"a",@progbits
	.p2align	6, 0x0
	.amdhsa_kernel _ZN7rocprim17ROCPRIM_400000_NS6detail17trampoline_kernelINS0_14default_configENS1_25partition_config_selectorILNS1_17partition_subalgoE0ExNS0_10empty_typeEbEEZZNS1_14partition_implILS5_0ELb0ES3_jN6thrust23THRUST_200600_302600_NS6detail15normal_iteratorINSA_10device_ptrIxEEEEPS6_SG_NS0_5tupleIJNSA_16discard_iteratorINSA_11use_defaultEEESF_EEENSH_IJSG_SG_EEES6_PlJ7is_evenIxEEEE10hipError_tPvRmT3_T4_T5_T6_T7_T9_mT8_P12ihipStream_tbDpT10_ENKUlT_T0_E_clISt17integral_constantIbLb1EES19_EEDaS14_S15_EUlS14_E_NS1_11comp_targetILNS1_3genE3ELNS1_11target_archE908ELNS1_3gpuE7ELNS1_3repE0EEENS1_30default_config_static_selectorELNS0_4arch9wavefront6targetE1EEEvT1_
		.amdhsa_group_segment_fixed_size 0
		.amdhsa_private_segment_fixed_size 0
		.amdhsa_kernarg_size 144
		.amdhsa_user_sgpr_count 2
		.amdhsa_user_sgpr_dispatch_ptr 0
		.amdhsa_user_sgpr_queue_ptr 0
		.amdhsa_user_sgpr_kernarg_segment_ptr 1
		.amdhsa_user_sgpr_dispatch_id 0
		.amdhsa_user_sgpr_kernarg_preload_length 0
		.amdhsa_user_sgpr_kernarg_preload_offset 0
		.amdhsa_user_sgpr_private_segment_size 0
		.amdhsa_uses_dynamic_stack 0
		.amdhsa_enable_private_segment 0
		.amdhsa_system_sgpr_workgroup_id_x 1
		.amdhsa_system_sgpr_workgroup_id_y 0
		.amdhsa_system_sgpr_workgroup_id_z 0
		.amdhsa_system_sgpr_workgroup_info 0
		.amdhsa_system_vgpr_workitem_id 0
		.amdhsa_next_free_vgpr 1
		.amdhsa_next_free_sgpr 0
		.amdhsa_accum_offset 4
		.amdhsa_reserve_vcc 0
		.amdhsa_float_round_mode_32 0
		.amdhsa_float_round_mode_16_64 0
		.amdhsa_float_denorm_mode_32 3
		.amdhsa_float_denorm_mode_16_64 3
		.amdhsa_dx10_clamp 1
		.amdhsa_ieee_mode 1
		.amdhsa_fp16_overflow 0
		.amdhsa_tg_split 0
		.amdhsa_exception_fp_ieee_invalid_op 0
		.amdhsa_exception_fp_denorm_src 0
		.amdhsa_exception_fp_ieee_div_zero 0
		.amdhsa_exception_fp_ieee_overflow 0
		.amdhsa_exception_fp_ieee_underflow 0
		.amdhsa_exception_fp_ieee_inexact 0
		.amdhsa_exception_int_div_zero 0
	.end_amdhsa_kernel
	.section	.text._ZN7rocprim17ROCPRIM_400000_NS6detail17trampoline_kernelINS0_14default_configENS1_25partition_config_selectorILNS1_17partition_subalgoE0ExNS0_10empty_typeEbEEZZNS1_14partition_implILS5_0ELb0ES3_jN6thrust23THRUST_200600_302600_NS6detail15normal_iteratorINSA_10device_ptrIxEEEEPS6_SG_NS0_5tupleIJNSA_16discard_iteratorINSA_11use_defaultEEESF_EEENSH_IJSG_SG_EEES6_PlJ7is_evenIxEEEE10hipError_tPvRmT3_T4_T5_T6_T7_T9_mT8_P12ihipStream_tbDpT10_ENKUlT_T0_E_clISt17integral_constantIbLb1EES19_EEDaS14_S15_EUlS14_E_NS1_11comp_targetILNS1_3genE3ELNS1_11target_archE908ELNS1_3gpuE7ELNS1_3repE0EEENS1_30default_config_static_selectorELNS0_4arch9wavefront6targetE1EEEvT1_,"axG",@progbits,_ZN7rocprim17ROCPRIM_400000_NS6detail17trampoline_kernelINS0_14default_configENS1_25partition_config_selectorILNS1_17partition_subalgoE0ExNS0_10empty_typeEbEEZZNS1_14partition_implILS5_0ELb0ES3_jN6thrust23THRUST_200600_302600_NS6detail15normal_iteratorINSA_10device_ptrIxEEEEPS6_SG_NS0_5tupleIJNSA_16discard_iteratorINSA_11use_defaultEEESF_EEENSH_IJSG_SG_EEES6_PlJ7is_evenIxEEEE10hipError_tPvRmT3_T4_T5_T6_T7_T9_mT8_P12ihipStream_tbDpT10_ENKUlT_T0_E_clISt17integral_constantIbLb1EES19_EEDaS14_S15_EUlS14_E_NS1_11comp_targetILNS1_3genE3ELNS1_11target_archE908ELNS1_3gpuE7ELNS1_3repE0EEENS1_30default_config_static_selectorELNS0_4arch9wavefront6targetE1EEEvT1_,comdat
.Lfunc_end2662:
	.size	_ZN7rocprim17ROCPRIM_400000_NS6detail17trampoline_kernelINS0_14default_configENS1_25partition_config_selectorILNS1_17partition_subalgoE0ExNS0_10empty_typeEbEEZZNS1_14partition_implILS5_0ELb0ES3_jN6thrust23THRUST_200600_302600_NS6detail15normal_iteratorINSA_10device_ptrIxEEEEPS6_SG_NS0_5tupleIJNSA_16discard_iteratorINSA_11use_defaultEEESF_EEENSH_IJSG_SG_EEES6_PlJ7is_evenIxEEEE10hipError_tPvRmT3_T4_T5_T6_T7_T9_mT8_P12ihipStream_tbDpT10_ENKUlT_T0_E_clISt17integral_constantIbLb1EES19_EEDaS14_S15_EUlS14_E_NS1_11comp_targetILNS1_3genE3ELNS1_11target_archE908ELNS1_3gpuE7ELNS1_3repE0EEENS1_30default_config_static_selectorELNS0_4arch9wavefront6targetE1EEEvT1_, .Lfunc_end2662-_ZN7rocprim17ROCPRIM_400000_NS6detail17trampoline_kernelINS0_14default_configENS1_25partition_config_selectorILNS1_17partition_subalgoE0ExNS0_10empty_typeEbEEZZNS1_14partition_implILS5_0ELb0ES3_jN6thrust23THRUST_200600_302600_NS6detail15normal_iteratorINSA_10device_ptrIxEEEEPS6_SG_NS0_5tupleIJNSA_16discard_iteratorINSA_11use_defaultEEESF_EEENSH_IJSG_SG_EEES6_PlJ7is_evenIxEEEE10hipError_tPvRmT3_T4_T5_T6_T7_T9_mT8_P12ihipStream_tbDpT10_ENKUlT_T0_E_clISt17integral_constantIbLb1EES19_EEDaS14_S15_EUlS14_E_NS1_11comp_targetILNS1_3genE3ELNS1_11target_archE908ELNS1_3gpuE7ELNS1_3repE0EEENS1_30default_config_static_selectorELNS0_4arch9wavefront6targetE1EEEvT1_
                                        ; -- End function
	.section	.AMDGPU.csdata,"",@progbits
; Kernel info:
; codeLenInByte = 0
; NumSgprs: 6
; NumVgprs: 0
; NumAgprs: 0
; TotalNumVgprs: 0
; ScratchSize: 0
; MemoryBound: 0
; FloatMode: 240
; IeeeMode: 1
; LDSByteSize: 0 bytes/workgroup (compile time only)
; SGPRBlocks: 0
; VGPRBlocks: 0
; NumSGPRsForWavesPerEU: 6
; NumVGPRsForWavesPerEU: 1
; AccumOffset: 4
; Occupancy: 8
; WaveLimiterHint : 0
; COMPUTE_PGM_RSRC2:SCRATCH_EN: 0
; COMPUTE_PGM_RSRC2:USER_SGPR: 2
; COMPUTE_PGM_RSRC2:TRAP_HANDLER: 0
; COMPUTE_PGM_RSRC2:TGID_X_EN: 1
; COMPUTE_PGM_RSRC2:TGID_Y_EN: 0
; COMPUTE_PGM_RSRC2:TGID_Z_EN: 0
; COMPUTE_PGM_RSRC2:TIDIG_COMP_CNT: 0
; COMPUTE_PGM_RSRC3_GFX90A:ACCUM_OFFSET: 0
; COMPUTE_PGM_RSRC3_GFX90A:TG_SPLIT: 0
	.section	.text._ZN7rocprim17ROCPRIM_400000_NS6detail17trampoline_kernelINS0_14default_configENS1_25partition_config_selectorILNS1_17partition_subalgoE0ExNS0_10empty_typeEbEEZZNS1_14partition_implILS5_0ELb0ES3_jN6thrust23THRUST_200600_302600_NS6detail15normal_iteratorINSA_10device_ptrIxEEEEPS6_SG_NS0_5tupleIJNSA_16discard_iteratorINSA_11use_defaultEEESF_EEENSH_IJSG_SG_EEES6_PlJ7is_evenIxEEEE10hipError_tPvRmT3_T4_T5_T6_T7_T9_mT8_P12ihipStream_tbDpT10_ENKUlT_T0_E_clISt17integral_constantIbLb1EES19_EEDaS14_S15_EUlS14_E_NS1_11comp_targetILNS1_3genE2ELNS1_11target_archE906ELNS1_3gpuE6ELNS1_3repE0EEENS1_30default_config_static_selectorELNS0_4arch9wavefront6targetE1EEEvT1_,"axG",@progbits,_ZN7rocprim17ROCPRIM_400000_NS6detail17trampoline_kernelINS0_14default_configENS1_25partition_config_selectorILNS1_17partition_subalgoE0ExNS0_10empty_typeEbEEZZNS1_14partition_implILS5_0ELb0ES3_jN6thrust23THRUST_200600_302600_NS6detail15normal_iteratorINSA_10device_ptrIxEEEEPS6_SG_NS0_5tupleIJNSA_16discard_iteratorINSA_11use_defaultEEESF_EEENSH_IJSG_SG_EEES6_PlJ7is_evenIxEEEE10hipError_tPvRmT3_T4_T5_T6_T7_T9_mT8_P12ihipStream_tbDpT10_ENKUlT_T0_E_clISt17integral_constantIbLb1EES19_EEDaS14_S15_EUlS14_E_NS1_11comp_targetILNS1_3genE2ELNS1_11target_archE906ELNS1_3gpuE6ELNS1_3repE0EEENS1_30default_config_static_selectorELNS0_4arch9wavefront6targetE1EEEvT1_,comdat
	.protected	_ZN7rocprim17ROCPRIM_400000_NS6detail17trampoline_kernelINS0_14default_configENS1_25partition_config_selectorILNS1_17partition_subalgoE0ExNS0_10empty_typeEbEEZZNS1_14partition_implILS5_0ELb0ES3_jN6thrust23THRUST_200600_302600_NS6detail15normal_iteratorINSA_10device_ptrIxEEEEPS6_SG_NS0_5tupleIJNSA_16discard_iteratorINSA_11use_defaultEEESF_EEENSH_IJSG_SG_EEES6_PlJ7is_evenIxEEEE10hipError_tPvRmT3_T4_T5_T6_T7_T9_mT8_P12ihipStream_tbDpT10_ENKUlT_T0_E_clISt17integral_constantIbLb1EES19_EEDaS14_S15_EUlS14_E_NS1_11comp_targetILNS1_3genE2ELNS1_11target_archE906ELNS1_3gpuE6ELNS1_3repE0EEENS1_30default_config_static_selectorELNS0_4arch9wavefront6targetE1EEEvT1_ ; -- Begin function _ZN7rocprim17ROCPRIM_400000_NS6detail17trampoline_kernelINS0_14default_configENS1_25partition_config_selectorILNS1_17partition_subalgoE0ExNS0_10empty_typeEbEEZZNS1_14partition_implILS5_0ELb0ES3_jN6thrust23THRUST_200600_302600_NS6detail15normal_iteratorINSA_10device_ptrIxEEEEPS6_SG_NS0_5tupleIJNSA_16discard_iteratorINSA_11use_defaultEEESF_EEENSH_IJSG_SG_EEES6_PlJ7is_evenIxEEEE10hipError_tPvRmT3_T4_T5_T6_T7_T9_mT8_P12ihipStream_tbDpT10_ENKUlT_T0_E_clISt17integral_constantIbLb1EES19_EEDaS14_S15_EUlS14_E_NS1_11comp_targetILNS1_3genE2ELNS1_11target_archE906ELNS1_3gpuE6ELNS1_3repE0EEENS1_30default_config_static_selectorELNS0_4arch9wavefront6targetE1EEEvT1_
	.globl	_ZN7rocprim17ROCPRIM_400000_NS6detail17trampoline_kernelINS0_14default_configENS1_25partition_config_selectorILNS1_17partition_subalgoE0ExNS0_10empty_typeEbEEZZNS1_14partition_implILS5_0ELb0ES3_jN6thrust23THRUST_200600_302600_NS6detail15normal_iteratorINSA_10device_ptrIxEEEEPS6_SG_NS0_5tupleIJNSA_16discard_iteratorINSA_11use_defaultEEESF_EEENSH_IJSG_SG_EEES6_PlJ7is_evenIxEEEE10hipError_tPvRmT3_T4_T5_T6_T7_T9_mT8_P12ihipStream_tbDpT10_ENKUlT_T0_E_clISt17integral_constantIbLb1EES19_EEDaS14_S15_EUlS14_E_NS1_11comp_targetILNS1_3genE2ELNS1_11target_archE906ELNS1_3gpuE6ELNS1_3repE0EEENS1_30default_config_static_selectorELNS0_4arch9wavefront6targetE1EEEvT1_
	.p2align	8
	.type	_ZN7rocprim17ROCPRIM_400000_NS6detail17trampoline_kernelINS0_14default_configENS1_25partition_config_selectorILNS1_17partition_subalgoE0ExNS0_10empty_typeEbEEZZNS1_14partition_implILS5_0ELb0ES3_jN6thrust23THRUST_200600_302600_NS6detail15normal_iteratorINSA_10device_ptrIxEEEEPS6_SG_NS0_5tupleIJNSA_16discard_iteratorINSA_11use_defaultEEESF_EEENSH_IJSG_SG_EEES6_PlJ7is_evenIxEEEE10hipError_tPvRmT3_T4_T5_T6_T7_T9_mT8_P12ihipStream_tbDpT10_ENKUlT_T0_E_clISt17integral_constantIbLb1EES19_EEDaS14_S15_EUlS14_E_NS1_11comp_targetILNS1_3genE2ELNS1_11target_archE906ELNS1_3gpuE6ELNS1_3repE0EEENS1_30default_config_static_selectorELNS0_4arch9wavefront6targetE1EEEvT1_,@function
_ZN7rocprim17ROCPRIM_400000_NS6detail17trampoline_kernelINS0_14default_configENS1_25partition_config_selectorILNS1_17partition_subalgoE0ExNS0_10empty_typeEbEEZZNS1_14partition_implILS5_0ELb0ES3_jN6thrust23THRUST_200600_302600_NS6detail15normal_iteratorINSA_10device_ptrIxEEEEPS6_SG_NS0_5tupleIJNSA_16discard_iteratorINSA_11use_defaultEEESF_EEENSH_IJSG_SG_EEES6_PlJ7is_evenIxEEEE10hipError_tPvRmT3_T4_T5_T6_T7_T9_mT8_P12ihipStream_tbDpT10_ENKUlT_T0_E_clISt17integral_constantIbLb1EES19_EEDaS14_S15_EUlS14_E_NS1_11comp_targetILNS1_3genE2ELNS1_11target_archE906ELNS1_3gpuE6ELNS1_3repE0EEENS1_30default_config_static_selectorELNS0_4arch9wavefront6targetE1EEEvT1_: ; @_ZN7rocprim17ROCPRIM_400000_NS6detail17trampoline_kernelINS0_14default_configENS1_25partition_config_selectorILNS1_17partition_subalgoE0ExNS0_10empty_typeEbEEZZNS1_14partition_implILS5_0ELb0ES3_jN6thrust23THRUST_200600_302600_NS6detail15normal_iteratorINSA_10device_ptrIxEEEEPS6_SG_NS0_5tupleIJNSA_16discard_iteratorINSA_11use_defaultEEESF_EEENSH_IJSG_SG_EEES6_PlJ7is_evenIxEEEE10hipError_tPvRmT3_T4_T5_T6_T7_T9_mT8_P12ihipStream_tbDpT10_ENKUlT_T0_E_clISt17integral_constantIbLb1EES19_EEDaS14_S15_EUlS14_E_NS1_11comp_targetILNS1_3genE2ELNS1_11target_archE906ELNS1_3gpuE6ELNS1_3repE0EEENS1_30default_config_static_selectorELNS0_4arch9wavefront6targetE1EEEvT1_
; %bb.0:
	.section	.rodata,"a",@progbits
	.p2align	6, 0x0
	.amdhsa_kernel _ZN7rocprim17ROCPRIM_400000_NS6detail17trampoline_kernelINS0_14default_configENS1_25partition_config_selectorILNS1_17partition_subalgoE0ExNS0_10empty_typeEbEEZZNS1_14partition_implILS5_0ELb0ES3_jN6thrust23THRUST_200600_302600_NS6detail15normal_iteratorINSA_10device_ptrIxEEEEPS6_SG_NS0_5tupleIJNSA_16discard_iteratorINSA_11use_defaultEEESF_EEENSH_IJSG_SG_EEES6_PlJ7is_evenIxEEEE10hipError_tPvRmT3_T4_T5_T6_T7_T9_mT8_P12ihipStream_tbDpT10_ENKUlT_T0_E_clISt17integral_constantIbLb1EES19_EEDaS14_S15_EUlS14_E_NS1_11comp_targetILNS1_3genE2ELNS1_11target_archE906ELNS1_3gpuE6ELNS1_3repE0EEENS1_30default_config_static_selectorELNS0_4arch9wavefront6targetE1EEEvT1_
		.amdhsa_group_segment_fixed_size 0
		.amdhsa_private_segment_fixed_size 0
		.amdhsa_kernarg_size 144
		.amdhsa_user_sgpr_count 2
		.amdhsa_user_sgpr_dispatch_ptr 0
		.amdhsa_user_sgpr_queue_ptr 0
		.amdhsa_user_sgpr_kernarg_segment_ptr 1
		.amdhsa_user_sgpr_dispatch_id 0
		.amdhsa_user_sgpr_kernarg_preload_length 0
		.amdhsa_user_sgpr_kernarg_preload_offset 0
		.amdhsa_user_sgpr_private_segment_size 0
		.amdhsa_uses_dynamic_stack 0
		.amdhsa_enable_private_segment 0
		.amdhsa_system_sgpr_workgroup_id_x 1
		.amdhsa_system_sgpr_workgroup_id_y 0
		.amdhsa_system_sgpr_workgroup_id_z 0
		.amdhsa_system_sgpr_workgroup_info 0
		.amdhsa_system_vgpr_workitem_id 0
		.amdhsa_next_free_vgpr 1
		.amdhsa_next_free_sgpr 0
		.amdhsa_accum_offset 4
		.amdhsa_reserve_vcc 0
		.amdhsa_float_round_mode_32 0
		.amdhsa_float_round_mode_16_64 0
		.amdhsa_float_denorm_mode_32 3
		.amdhsa_float_denorm_mode_16_64 3
		.amdhsa_dx10_clamp 1
		.amdhsa_ieee_mode 1
		.amdhsa_fp16_overflow 0
		.amdhsa_tg_split 0
		.amdhsa_exception_fp_ieee_invalid_op 0
		.amdhsa_exception_fp_denorm_src 0
		.amdhsa_exception_fp_ieee_div_zero 0
		.amdhsa_exception_fp_ieee_overflow 0
		.amdhsa_exception_fp_ieee_underflow 0
		.amdhsa_exception_fp_ieee_inexact 0
		.amdhsa_exception_int_div_zero 0
	.end_amdhsa_kernel
	.section	.text._ZN7rocprim17ROCPRIM_400000_NS6detail17trampoline_kernelINS0_14default_configENS1_25partition_config_selectorILNS1_17partition_subalgoE0ExNS0_10empty_typeEbEEZZNS1_14partition_implILS5_0ELb0ES3_jN6thrust23THRUST_200600_302600_NS6detail15normal_iteratorINSA_10device_ptrIxEEEEPS6_SG_NS0_5tupleIJNSA_16discard_iteratorINSA_11use_defaultEEESF_EEENSH_IJSG_SG_EEES6_PlJ7is_evenIxEEEE10hipError_tPvRmT3_T4_T5_T6_T7_T9_mT8_P12ihipStream_tbDpT10_ENKUlT_T0_E_clISt17integral_constantIbLb1EES19_EEDaS14_S15_EUlS14_E_NS1_11comp_targetILNS1_3genE2ELNS1_11target_archE906ELNS1_3gpuE6ELNS1_3repE0EEENS1_30default_config_static_selectorELNS0_4arch9wavefront6targetE1EEEvT1_,"axG",@progbits,_ZN7rocprim17ROCPRIM_400000_NS6detail17trampoline_kernelINS0_14default_configENS1_25partition_config_selectorILNS1_17partition_subalgoE0ExNS0_10empty_typeEbEEZZNS1_14partition_implILS5_0ELb0ES3_jN6thrust23THRUST_200600_302600_NS6detail15normal_iteratorINSA_10device_ptrIxEEEEPS6_SG_NS0_5tupleIJNSA_16discard_iteratorINSA_11use_defaultEEESF_EEENSH_IJSG_SG_EEES6_PlJ7is_evenIxEEEE10hipError_tPvRmT3_T4_T5_T6_T7_T9_mT8_P12ihipStream_tbDpT10_ENKUlT_T0_E_clISt17integral_constantIbLb1EES19_EEDaS14_S15_EUlS14_E_NS1_11comp_targetILNS1_3genE2ELNS1_11target_archE906ELNS1_3gpuE6ELNS1_3repE0EEENS1_30default_config_static_selectorELNS0_4arch9wavefront6targetE1EEEvT1_,comdat
.Lfunc_end2663:
	.size	_ZN7rocprim17ROCPRIM_400000_NS6detail17trampoline_kernelINS0_14default_configENS1_25partition_config_selectorILNS1_17partition_subalgoE0ExNS0_10empty_typeEbEEZZNS1_14partition_implILS5_0ELb0ES3_jN6thrust23THRUST_200600_302600_NS6detail15normal_iteratorINSA_10device_ptrIxEEEEPS6_SG_NS0_5tupleIJNSA_16discard_iteratorINSA_11use_defaultEEESF_EEENSH_IJSG_SG_EEES6_PlJ7is_evenIxEEEE10hipError_tPvRmT3_T4_T5_T6_T7_T9_mT8_P12ihipStream_tbDpT10_ENKUlT_T0_E_clISt17integral_constantIbLb1EES19_EEDaS14_S15_EUlS14_E_NS1_11comp_targetILNS1_3genE2ELNS1_11target_archE906ELNS1_3gpuE6ELNS1_3repE0EEENS1_30default_config_static_selectorELNS0_4arch9wavefront6targetE1EEEvT1_, .Lfunc_end2663-_ZN7rocprim17ROCPRIM_400000_NS6detail17trampoline_kernelINS0_14default_configENS1_25partition_config_selectorILNS1_17partition_subalgoE0ExNS0_10empty_typeEbEEZZNS1_14partition_implILS5_0ELb0ES3_jN6thrust23THRUST_200600_302600_NS6detail15normal_iteratorINSA_10device_ptrIxEEEEPS6_SG_NS0_5tupleIJNSA_16discard_iteratorINSA_11use_defaultEEESF_EEENSH_IJSG_SG_EEES6_PlJ7is_evenIxEEEE10hipError_tPvRmT3_T4_T5_T6_T7_T9_mT8_P12ihipStream_tbDpT10_ENKUlT_T0_E_clISt17integral_constantIbLb1EES19_EEDaS14_S15_EUlS14_E_NS1_11comp_targetILNS1_3genE2ELNS1_11target_archE906ELNS1_3gpuE6ELNS1_3repE0EEENS1_30default_config_static_selectorELNS0_4arch9wavefront6targetE1EEEvT1_
                                        ; -- End function
	.section	.AMDGPU.csdata,"",@progbits
; Kernel info:
; codeLenInByte = 0
; NumSgprs: 6
; NumVgprs: 0
; NumAgprs: 0
; TotalNumVgprs: 0
; ScratchSize: 0
; MemoryBound: 0
; FloatMode: 240
; IeeeMode: 1
; LDSByteSize: 0 bytes/workgroup (compile time only)
; SGPRBlocks: 0
; VGPRBlocks: 0
; NumSGPRsForWavesPerEU: 6
; NumVGPRsForWavesPerEU: 1
; AccumOffset: 4
; Occupancy: 8
; WaveLimiterHint : 0
; COMPUTE_PGM_RSRC2:SCRATCH_EN: 0
; COMPUTE_PGM_RSRC2:USER_SGPR: 2
; COMPUTE_PGM_RSRC2:TRAP_HANDLER: 0
; COMPUTE_PGM_RSRC2:TGID_X_EN: 1
; COMPUTE_PGM_RSRC2:TGID_Y_EN: 0
; COMPUTE_PGM_RSRC2:TGID_Z_EN: 0
; COMPUTE_PGM_RSRC2:TIDIG_COMP_CNT: 0
; COMPUTE_PGM_RSRC3_GFX90A:ACCUM_OFFSET: 0
; COMPUTE_PGM_RSRC3_GFX90A:TG_SPLIT: 0
	.section	.text._ZN7rocprim17ROCPRIM_400000_NS6detail17trampoline_kernelINS0_14default_configENS1_25partition_config_selectorILNS1_17partition_subalgoE0ExNS0_10empty_typeEbEEZZNS1_14partition_implILS5_0ELb0ES3_jN6thrust23THRUST_200600_302600_NS6detail15normal_iteratorINSA_10device_ptrIxEEEEPS6_SG_NS0_5tupleIJNSA_16discard_iteratorINSA_11use_defaultEEESF_EEENSH_IJSG_SG_EEES6_PlJ7is_evenIxEEEE10hipError_tPvRmT3_T4_T5_T6_T7_T9_mT8_P12ihipStream_tbDpT10_ENKUlT_T0_E_clISt17integral_constantIbLb1EES19_EEDaS14_S15_EUlS14_E_NS1_11comp_targetILNS1_3genE10ELNS1_11target_archE1200ELNS1_3gpuE4ELNS1_3repE0EEENS1_30default_config_static_selectorELNS0_4arch9wavefront6targetE1EEEvT1_,"axG",@progbits,_ZN7rocprim17ROCPRIM_400000_NS6detail17trampoline_kernelINS0_14default_configENS1_25partition_config_selectorILNS1_17partition_subalgoE0ExNS0_10empty_typeEbEEZZNS1_14partition_implILS5_0ELb0ES3_jN6thrust23THRUST_200600_302600_NS6detail15normal_iteratorINSA_10device_ptrIxEEEEPS6_SG_NS0_5tupleIJNSA_16discard_iteratorINSA_11use_defaultEEESF_EEENSH_IJSG_SG_EEES6_PlJ7is_evenIxEEEE10hipError_tPvRmT3_T4_T5_T6_T7_T9_mT8_P12ihipStream_tbDpT10_ENKUlT_T0_E_clISt17integral_constantIbLb1EES19_EEDaS14_S15_EUlS14_E_NS1_11comp_targetILNS1_3genE10ELNS1_11target_archE1200ELNS1_3gpuE4ELNS1_3repE0EEENS1_30default_config_static_selectorELNS0_4arch9wavefront6targetE1EEEvT1_,comdat
	.protected	_ZN7rocprim17ROCPRIM_400000_NS6detail17trampoline_kernelINS0_14default_configENS1_25partition_config_selectorILNS1_17partition_subalgoE0ExNS0_10empty_typeEbEEZZNS1_14partition_implILS5_0ELb0ES3_jN6thrust23THRUST_200600_302600_NS6detail15normal_iteratorINSA_10device_ptrIxEEEEPS6_SG_NS0_5tupleIJNSA_16discard_iteratorINSA_11use_defaultEEESF_EEENSH_IJSG_SG_EEES6_PlJ7is_evenIxEEEE10hipError_tPvRmT3_T4_T5_T6_T7_T9_mT8_P12ihipStream_tbDpT10_ENKUlT_T0_E_clISt17integral_constantIbLb1EES19_EEDaS14_S15_EUlS14_E_NS1_11comp_targetILNS1_3genE10ELNS1_11target_archE1200ELNS1_3gpuE4ELNS1_3repE0EEENS1_30default_config_static_selectorELNS0_4arch9wavefront6targetE1EEEvT1_ ; -- Begin function _ZN7rocprim17ROCPRIM_400000_NS6detail17trampoline_kernelINS0_14default_configENS1_25partition_config_selectorILNS1_17partition_subalgoE0ExNS0_10empty_typeEbEEZZNS1_14partition_implILS5_0ELb0ES3_jN6thrust23THRUST_200600_302600_NS6detail15normal_iteratorINSA_10device_ptrIxEEEEPS6_SG_NS0_5tupleIJNSA_16discard_iteratorINSA_11use_defaultEEESF_EEENSH_IJSG_SG_EEES6_PlJ7is_evenIxEEEE10hipError_tPvRmT3_T4_T5_T6_T7_T9_mT8_P12ihipStream_tbDpT10_ENKUlT_T0_E_clISt17integral_constantIbLb1EES19_EEDaS14_S15_EUlS14_E_NS1_11comp_targetILNS1_3genE10ELNS1_11target_archE1200ELNS1_3gpuE4ELNS1_3repE0EEENS1_30default_config_static_selectorELNS0_4arch9wavefront6targetE1EEEvT1_
	.globl	_ZN7rocprim17ROCPRIM_400000_NS6detail17trampoline_kernelINS0_14default_configENS1_25partition_config_selectorILNS1_17partition_subalgoE0ExNS0_10empty_typeEbEEZZNS1_14partition_implILS5_0ELb0ES3_jN6thrust23THRUST_200600_302600_NS6detail15normal_iteratorINSA_10device_ptrIxEEEEPS6_SG_NS0_5tupleIJNSA_16discard_iteratorINSA_11use_defaultEEESF_EEENSH_IJSG_SG_EEES6_PlJ7is_evenIxEEEE10hipError_tPvRmT3_T4_T5_T6_T7_T9_mT8_P12ihipStream_tbDpT10_ENKUlT_T0_E_clISt17integral_constantIbLb1EES19_EEDaS14_S15_EUlS14_E_NS1_11comp_targetILNS1_3genE10ELNS1_11target_archE1200ELNS1_3gpuE4ELNS1_3repE0EEENS1_30default_config_static_selectorELNS0_4arch9wavefront6targetE1EEEvT1_
	.p2align	8
	.type	_ZN7rocprim17ROCPRIM_400000_NS6detail17trampoline_kernelINS0_14default_configENS1_25partition_config_selectorILNS1_17partition_subalgoE0ExNS0_10empty_typeEbEEZZNS1_14partition_implILS5_0ELb0ES3_jN6thrust23THRUST_200600_302600_NS6detail15normal_iteratorINSA_10device_ptrIxEEEEPS6_SG_NS0_5tupleIJNSA_16discard_iteratorINSA_11use_defaultEEESF_EEENSH_IJSG_SG_EEES6_PlJ7is_evenIxEEEE10hipError_tPvRmT3_T4_T5_T6_T7_T9_mT8_P12ihipStream_tbDpT10_ENKUlT_T0_E_clISt17integral_constantIbLb1EES19_EEDaS14_S15_EUlS14_E_NS1_11comp_targetILNS1_3genE10ELNS1_11target_archE1200ELNS1_3gpuE4ELNS1_3repE0EEENS1_30default_config_static_selectorELNS0_4arch9wavefront6targetE1EEEvT1_,@function
_ZN7rocprim17ROCPRIM_400000_NS6detail17trampoline_kernelINS0_14default_configENS1_25partition_config_selectorILNS1_17partition_subalgoE0ExNS0_10empty_typeEbEEZZNS1_14partition_implILS5_0ELb0ES3_jN6thrust23THRUST_200600_302600_NS6detail15normal_iteratorINSA_10device_ptrIxEEEEPS6_SG_NS0_5tupleIJNSA_16discard_iteratorINSA_11use_defaultEEESF_EEENSH_IJSG_SG_EEES6_PlJ7is_evenIxEEEE10hipError_tPvRmT3_T4_T5_T6_T7_T9_mT8_P12ihipStream_tbDpT10_ENKUlT_T0_E_clISt17integral_constantIbLb1EES19_EEDaS14_S15_EUlS14_E_NS1_11comp_targetILNS1_3genE10ELNS1_11target_archE1200ELNS1_3gpuE4ELNS1_3repE0EEENS1_30default_config_static_selectorELNS0_4arch9wavefront6targetE1EEEvT1_: ; @_ZN7rocprim17ROCPRIM_400000_NS6detail17trampoline_kernelINS0_14default_configENS1_25partition_config_selectorILNS1_17partition_subalgoE0ExNS0_10empty_typeEbEEZZNS1_14partition_implILS5_0ELb0ES3_jN6thrust23THRUST_200600_302600_NS6detail15normal_iteratorINSA_10device_ptrIxEEEEPS6_SG_NS0_5tupleIJNSA_16discard_iteratorINSA_11use_defaultEEESF_EEENSH_IJSG_SG_EEES6_PlJ7is_evenIxEEEE10hipError_tPvRmT3_T4_T5_T6_T7_T9_mT8_P12ihipStream_tbDpT10_ENKUlT_T0_E_clISt17integral_constantIbLb1EES19_EEDaS14_S15_EUlS14_E_NS1_11comp_targetILNS1_3genE10ELNS1_11target_archE1200ELNS1_3gpuE4ELNS1_3repE0EEENS1_30default_config_static_selectorELNS0_4arch9wavefront6targetE1EEEvT1_
; %bb.0:
	.section	.rodata,"a",@progbits
	.p2align	6, 0x0
	.amdhsa_kernel _ZN7rocprim17ROCPRIM_400000_NS6detail17trampoline_kernelINS0_14default_configENS1_25partition_config_selectorILNS1_17partition_subalgoE0ExNS0_10empty_typeEbEEZZNS1_14partition_implILS5_0ELb0ES3_jN6thrust23THRUST_200600_302600_NS6detail15normal_iteratorINSA_10device_ptrIxEEEEPS6_SG_NS0_5tupleIJNSA_16discard_iteratorINSA_11use_defaultEEESF_EEENSH_IJSG_SG_EEES6_PlJ7is_evenIxEEEE10hipError_tPvRmT3_T4_T5_T6_T7_T9_mT8_P12ihipStream_tbDpT10_ENKUlT_T0_E_clISt17integral_constantIbLb1EES19_EEDaS14_S15_EUlS14_E_NS1_11comp_targetILNS1_3genE10ELNS1_11target_archE1200ELNS1_3gpuE4ELNS1_3repE0EEENS1_30default_config_static_selectorELNS0_4arch9wavefront6targetE1EEEvT1_
		.amdhsa_group_segment_fixed_size 0
		.amdhsa_private_segment_fixed_size 0
		.amdhsa_kernarg_size 144
		.amdhsa_user_sgpr_count 2
		.amdhsa_user_sgpr_dispatch_ptr 0
		.amdhsa_user_sgpr_queue_ptr 0
		.amdhsa_user_sgpr_kernarg_segment_ptr 1
		.amdhsa_user_sgpr_dispatch_id 0
		.amdhsa_user_sgpr_kernarg_preload_length 0
		.amdhsa_user_sgpr_kernarg_preload_offset 0
		.amdhsa_user_sgpr_private_segment_size 0
		.amdhsa_uses_dynamic_stack 0
		.amdhsa_enable_private_segment 0
		.amdhsa_system_sgpr_workgroup_id_x 1
		.amdhsa_system_sgpr_workgroup_id_y 0
		.amdhsa_system_sgpr_workgroup_id_z 0
		.amdhsa_system_sgpr_workgroup_info 0
		.amdhsa_system_vgpr_workitem_id 0
		.amdhsa_next_free_vgpr 1
		.amdhsa_next_free_sgpr 0
		.amdhsa_accum_offset 4
		.amdhsa_reserve_vcc 0
		.amdhsa_float_round_mode_32 0
		.amdhsa_float_round_mode_16_64 0
		.amdhsa_float_denorm_mode_32 3
		.amdhsa_float_denorm_mode_16_64 3
		.amdhsa_dx10_clamp 1
		.amdhsa_ieee_mode 1
		.amdhsa_fp16_overflow 0
		.amdhsa_tg_split 0
		.amdhsa_exception_fp_ieee_invalid_op 0
		.amdhsa_exception_fp_denorm_src 0
		.amdhsa_exception_fp_ieee_div_zero 0
		.amdhsa_exception_fp_ieee_overflow 0
		.amdhsa_exception_fp_ieee_underflow 0
		.amdhsa_exception_fp_ieee_inexact 0
		.amdhsa_exception_int_div_zero 0
	.end_amdhsa_kernel
	.section	.text._ZN7rocprim17ROCPRIM_400000_NS6detail17trampoline_kernelINS0_14default_configENS1_25partition_config_selectorILNS1_17partition_subalgoE0ExNS0_10empty_typeEbEEZZNS1_14partition_implILS5_0ELb0ES3_jN6thrust23THRUST_200600_302600_NS6detail15normal_iteratorINSA_10device_ptrIxEEEEPS6_SG_NS0_5tupleIJNSA_16discard_iteratorINSA_11use_defaultEEESF_EEENSH_IJSG_SG_EEES6_PlJ7is_evenIxEEEE10hipError_tPvRmT3_T4_T5_T6_T7_T9_mT8_P12ihipStream_tbDpT10_ENKUlT_T0_E_clISt17integral_constantIbLb1EES19_EEDaS14_S15_EUlS14_E_NS1_11comp_targetILNS1_3genE10ELNS1_11target_archE1200ELNS1_3gpuE4ELNS1_3repE0EEENS1_30default_config_static_selectorELNS0_4arch9wavefront6targetE1EEEvT1_,"axG",@progbits,_ZN7rocprim17ROCPRIM_400000_NS6detail17trampoline_kernelINS0_14default_configENS1_25partition_config_selectorILNS1_17partition_subalgoE0ExNS0_10empty_typeEbEEZZNS1_14partition_implILS5_0ELb0ES3_jN6thrust23THRUST_200600_302600_NS6detail15normal_iteratorINSA_10device_ptrIxEEEEPS6_SG_NS0_5tupleIJNSA_16discard_iteratorINSA_11use_defaultEEESF_EEENSH_IJSG_SG_EEES6_PlJ7is_evenIxEEEE10hipError_tPvRmT3_T4_T5_T6_T7_T9_mT8_P12ihipStream_tbDpT10_ENKUlT_T0_E_clISt17integral_constantIbLb1EES19_EEDaS14_S15_EUlS14_E_NS1_11comp_targetILNS1_3genE10ELNS1_11target_archE1200ELNS1_3gpuE4ELNS1_3repE0EEENS1_30default_config_static_selectorELNS0_4arch9wavefront6targetE1EEEvT1_,comdat
.Lfunc_end2664:
	.size	_ZN7rocprim17ROCPRIM_400000_NS6detail17trampoline_kernelINS0_14default_configENS1_25partition_config_selectorILNS1_17partition_subalgoE0ExNS0_10empty_typeEbEEZZNS1_14partition_implILS5_0ELb0ES3_jN6thrust23THRUST_200600_302600_NS6detail15normal_iteratorINSA_10device_ptrIxEEEEPS6_SG_NS0_5tupleIJNSA_16discard_iteratorINSA_11use_defaultEEESF_EEENSH_IJSG_SG_EEES6_PlJ7is_evenIxEEEE10hipError_tPvRmT3_T4_T5_T6_T7_T9_mT8_P12ihipStream_tbDpT10_ENKUlT_T0_E_clISt17integral_constantIbLb1EES19_EEDaS14_S15_EUlS14_E_NS1_11comp_targetILNS1_3genE10ELNS1_11target_archE1200ELNS1_3gpuE4ELNS1_3repE0EEENS1_30default_config_static_selectorELNS0_4arch9wavefront6targetE1EEEvT1_, .Lfunc_end2664-_ZN7rocprim17ROCPRIM_400000_NS6detail17trampoline_kernelINS0_14default_configENS1_25partition_config_selectorILNS1_17partition_subalgoE0ExNS0_10empty_typeEbEEZZNS1_14partition_implILS5_0ELb0ES3_jN6thrust23THRUST_200600_302600_NS6detail15normal_iteratorINSA_10device_ptrIxEEEEPS6_SG_NS0_5tupleIJNSA_16discard_iteratorINSA_11use_defaultEEESF_EEENSH_IJSG_SG_EEES6_PlJ7is_evenIxEEEE10hipError_tPvRmT3_T4_T5_T6_T7_T9_mT8_P12ihipStream_tbDpT10_ENKUlT_T0_E_clISt17integral_constantIbLb1EES19_EEDaS14_S15_EUlS14_E_NS1_11comp_targetILNS1_3genE10ELNS1_11target_archE1200ELNS1_3gpuE4ELNS1_3repE0EEENS1_30default_config_static_selectorELNS0_4arch9wavefront6targetE1EEEvT1_
                                        ; -- End function
	.section	.AMDGPU.csdata,"",@progbits
; Kernel info:
; codeLenInByte = 0
; NumSgprs: 6
; NumVgprs: 0
; NumAgprs: 0
; TotalNumVgprs: 0
; ScratchSize: 0
; MemoryBound: 0
; FloatMode: 240
; IeeeMode: 1
; LDSByteSize: 0 bytes/workgroup (compile time only)
; SGPRBlocks: 0
; VGPRBlocks: 0
; NumSGPRsForWavesPerEU: 6
; NumVGPRsForWavesPerEU: 1
; AccumOffset: 4
; Occupancy: 8
; WaveLimiterHint : 0
; COMPUTE_PGM_RSRC2:SCRATCH_EN: 0
; COMPUTE_PGM_RSRC2:USER_SGPR: 2
; COMPUTE_PGM_RSRC2:TRAP_HANDLER: 0
; COMPUTE_PGM_RSRC2:TGID_X_EN: 1
; COMPUTE_PGM_RSRC2:TGID_Y_EN: 0
; COMPUTE_PGM_RSRC2:TGID_Z_EN: 0
; COMPUTE_PGM_RSRC2:TIDIG_COMP_CNT: 0
; COMPUTE_PGM_RSRC3_GFX90A:ACCUM_OFFSET: 0
; COMPUTE_PGM_RSRC3_GFX90A:TG_SPLIT: 0
	.section	.text._ZN7rocprim17ROCPRIM_400000_NS6detail17trampoline_kernelINS0_14default_configENS1_25partition_config_selectorILNS1_17partition_subalgoE0ExNS0_10empty_typeEbEEZZNS1_14partition_implILS5_0ELb0ES3_jN6thrust23THRUST_200600_302600_NS6detail15normal_iteratorINSA_10device_ptrIxEEEEPS6_SG_NS0_5tupleIJNSA_16discard_iteratorINSA_11use_defaultEEESF_EEENSH_IJSG_SG_EEES6_PlJ7is_evenIxEEEE10hipError_tPvRmT3_T4_T5_T6_T7_T9_mT8_P12ihipStream_tbDpT10_ENKUlT_T0_E_clISt17integral_constantIbLb1EES19_EEDaS14_S15_EUlS14_E_NS1_11comp_targetILNS1_3genE9ELNS1_11target_archE1100ELNS1_3gpuE3ELNS1_3repE0EEENS1_30default_config_static_selectorELNS0_4arch9wavefront6targetE1EEEvT1_,"axG",@progbits,_ZN7rocprim17ROCPRIM_400000_NS6detail17trampoline_kernelINS0_14default_configENS1_25partition_config_selectorILNS1_17partition_subalgoE0ExNS0_10empty_typeEbEEZZNS1_14partition_implILS5_0ELb0ES3_jN6thrust23THRUST_200600_302600_NS6detail15normal_iteratorINSA_10device_ptrIxEEEEPS6_SG_NS0_5tupleIJNSA_16discard_iteratorINSA_11use_defaultEEESF_EEENSH_IJSG_SG_EEES6_PlJ7is_evenIxEEEE10hipError_tPvRmT3_T4_T5_T6_T7_T9_mT8_P12ihipStream_tbDpT10_ENKUlT_T0_E_clISt17integral_constantIbLb1EES19_EEDaS14_S15_EUlS14_E_NS1_11comp_targetILNS1_3genE9ELNS1_11target_archE1100ELNS1_3gpuE3ELNS1_3repE0EEENS1_30default_config_static_selectorELNS0_4arch9wavefront6targetE1EEEvT1_,comdat
	.protected	_ZN7rocprim17ROCPRIM_400000_NS6detail17trampoline_kernelINS0_14default_configENS1_25partition_config_selectorILNS1_17partition_subalgoE0ExNS0_10empty_typeEbEEZZNS1_14partition_implILS5_0ELb0ES3_jN6thrust23THRUST_200600_302600_NS6detail15normal_iteratorINSA_10device_ptrIxEEEEPS6_SG_NS0_5tupleIJNSA_16discard_iteratorINSA_11use_defaultEEESF_EEENSH_IJSG_SG_EEES6_PlJ7is_evenIxEEEE10hipError_tPvRmT3_T4_T5_T6_T7_T9_mT8_P12ihipStream_tbDpT10_ENKUlT_T0_E_clISt17integral_constantIbLb1EES19_EEDaS14_S15_EUlS14_E_NS1_11comp_targetILNS1_3genE9ELNS1_11target_archE1100ELNS1_3gpuE3ELNS1_3repE0EEENS1_30default_config_static_selectorELNS0_4arch9wavefront6targetE1EEEvT1_ ; -- Begin function _ZN7rocprim17ROCPRIM_400000_NS6detail17trampoline_kernelINS0_14default_configENS1_25partition_config_selectorILNS1_17partition_subalgoE0ExNS0_10empty_typeEbEEZZNS1_14partition_implILS5_0ELb0ES3_jN6thrust23THRUST_200600_302600_NS6detail15normal_iteratorINSA_10device_ptrIxEEEEPS6_SG_NS0_5tupleIJNSA_16discard_iteratorINSA_11use_defaultEEESF_EEENSH_IJSG_SG_EEES6_PlJ7is_evenIxEEEE10hipError_tPvRmT3_T4_T5_T6_T7_T9_mT8_P12ihipStream_tbDpT10_ENKUlT_T0_E_clISt17integral_constantIbLb1EES19_EEDaS14_S15_EUlS14_E_NS1_11comp_targetILNS1_3genE9ELNS1_11target_archE1100ELNS1_3gpuE3ELNS1_3repE0EEENS1_30default_config_static_selectorELNS0_4arch9wavefront6targetE1EEEvT1_
	.globl	_ZN7rocprim17ROCPRIM_400000_NS6detail17trampoline_kernelINS0_14default_configENS1_25partition_config_selectorILNS1_17partition_subalgoE0ExNS0_10empty_typeEbEEZZNS1_14partition_implILS5_0ELb0ES3_jN6thrust23THRUST_200600_302600_NS6detail15normal_iteratorINSA_10device_ptrIxEEEEPS6_SG_NS0_5tupleIJNSA_16discard_iteratorINSA_11use_defaultEEESF_EEENSH_IJSG_SG_EEES6_PlJ7is_evenIxEEEE10hipError_tPvRmT3_T4_T5_T6_T7_T9_mT8_P12ihipStream_tbDpT10_ENKUlT_T0_E_clISt17integral_constantIbLb1EES19_EEDaS14_S15_EUlS14_E_NS1_11comp_targetILNS1_3genE9ELNS1_11target_archE1100ELNS1_3gpuE3ELNS1_3repE0EEENS1_30default_config_static_selectorELNS0_4arch9wavefront6targetE1EEEvT1_
	.p2align	8
	.type	_ZN7rocprim17ROCPRIM_400000_NS6detail17trampoline_kernelINS0_14default_configENS1_25partition_config_selectorILNS1_17partition_subalgoE0ExNS0_10empty_typeEbEEZZNS1_14partition_implILS5_0ELb0ES3_jN6thrust23THRUST_200600_302600_NS6detail15normal_iteratorINSA_10device_ptrIxEEEEPS6_SG_NS0_5tupleIJNSA_16discard_iteratorINSA_11use_defaultEEESF_EEENSH_IJSG_SG_EEES6_PlJ7is_evenIxEEEE10hipError_tPvRmT3_T4_T5_T6_T7_T9_mT8_P12ihipStream_tbDpT10_ENKUlT_T0_E_clISt17integral_constantIbLb1EES19_EEDaS14_S15_EUlS14_E_NS1_11comp_targetILNS1_3genE9ELNS1_11target_archE1100ELNS1_3gpuE3ELNS1_3repE0EEENS1_30default_config_static_selectorELNS0_4arch9wavefront6targetE1EEEvT1_,@function
_ZN7rocprim17ROCPRIM_400000_NS6detail17trampoline_kernelINS0_14default_configENS1_25partition_config_selectorILNS1_17partition_subalgoE0ExNS0_10empty_typeEbEEZZNS1_14partition_implILS5_0ELb0ES3_jN6thrust23THRUST_200600_302600_NS6detail15normal_iteratorINSA_10device_ptrIxEEEEPS6_SG_NS0_5tupleIJNSA_16discard_iteratorINSA_11use_defaultEEESF_EEENSH_IJSG_SG_EEES6_PlJ7is_evenIxEEEE10hipError_tPvRmT3_T4_T5_T6_T7_T9_mT8_P12ihipStream_tbDpT10_ENKUlT_T0_E_clISt17integral_constantIbLb1EES19_EEDaS14_S15_EUlS14_E_NS1_11comp_targetILNS1_3genE9ELNS1_11target_archE1100ELNS1_3gpuE3ELNS1_3repE0EEENS1_30default_config_static_selectorELNS0_4arch9wavefront6targetE1EEEvT1_: ; @_ZN7rocprim17ROCPRIM_400000_NS6detail17trampoline_kernelINS0_14default_configENS1_25partition_config_selectorILNS1_17partition_subalgoE0ExNS0_10empty_typeEbEEZZNS1_14partition_implILS5_0ELb0ES3_jN6thrust23THRUST_200600_302600_NS6detail15normal_iteratorINSA_10device_ptrIxEEEEPS6_SG_NS0_5tupleIJNSA_16discard_iteratorINSA_11use_defaultEEESF_EEENSH_IJSG_SG_EEES6_PlJ7is_evenIxEEEE10hipError_tPvRmT3_T4_T5_T6_T7_T9_mT8_P12ihipStream_tbDpT10_ENKUlT_T0_E_clISt17integral_constantIbLb1EES19_EEDaS14_S15_EUlS14_E_NS1_11comp_targetILNS1_3genE9ELNS1_11target_archE1100ELNS1_3gpuE3ELNS1_3repE0EEENS1_30default_config_static_selectorELNS0_4arch9wavefront6targetE1EEEvT1_
; %bb.0:
	.section	.rodata,"a",@progbits
	.p2align	6, 0x0
	.amdhsa_kernel _ZN7rocprim17ROCPRIM_400000_NS6detail17trampoline_kernelINS0_14default_configENS1_25partition_config_selectorILNS1_17partition_subalgoE0ExNS0_10empty_typeEbEEZZNS1_14partition_implILS5_0ELb0ES3_jN6thrust23THRUST_200600_302600_NS6detail15normal_iteratorINSA_10device_ptrIxEEEEPS6_SG_NS0_5tupleIJNSA_16discard_iteratorINSA_11use_defaultEEESF_EEENSH_IJSG_SG_EEES6_PlJ7is_evenIxEEEE10hipError_tPvRmT3_T4_T5_T6_T7_T9_mT8_P12ihipStream_tbDpT10_ENKUlT_T0_E_clISt17integral_constantIbLb1EES19_EEDaS14_S15_EUlS14_E_NS1_11comp_targetILNS1_3genE9ELNS1_11target_archE1100ELNS1_3gpuE3ELNS1_3repE0EEENS1_30default_config_static_selectorELNS0_4arch9wavefront6targetE1EEEvT1_
		.amdhsa_group_segment_fixed_size 0
		.amdhsa_private_segment_fixed_size 0
		.amdhsa_kernarg_size 144
		.amdhsa_user_sgpr_count 2
		.amdhsa_user_sgpr_dispatch_ptr 0
		.amdhsa_user_sgpr_queue_ptr 0
		.amdhsa_user_sgpr_kernarg_segment_ptr 1
		.amdhsa_user_sgpr_dispatch_id 0
		.amdhsa_user_sgpr_kernarg_preload_length 0
		.amdhsa_user_sgpr_kernarg_preload_offset 0
		.amdhsa_user_sgpr_private_segment_size 0
		.amdhsa_uses_dynamic_stack 0
		.amdhsa_enable_private_segment 0
		.amdhsa_system_sgpr_workgroup_id_x 1
		.amdhsa_system_sgpr_workgroup_id_y 0
		.amdhsa_system_sgpr_workgroup_id_z 0
		.amdhsa_system_sgpr_workgroup_info 0
		.amdhsa_system_vgpr_workitem_id 0
		.amdhsa_next_free_vgpr 1
		.amdhsa_next_free_sgpr 0
		.amdhsa_accum_offset 4
		.amdhsa_reserve_vcc 0
		.amdhsa_float_round_mode_32 0
		.amdhsa_float_round_mode_16_64 0
		.amdhsa_float_denorm_mode_32 3
		.amdhsa_float_denorm_mode_16_64 3
		.amdhsa_dx10_clamp 1
		.amdhsa_ieee_mode 1
		.amdhsa_fp16_overflow 0
		.amdhsa_tg_split 0
		.amdhsa_exception_fp_ieee_invalid_op 0
		.amdhsa_exception_fp_denorm_src 0
		.amdhsa_exception_fp_ieee_div_zero 0
		.amdhsa_exception_fp_ieee_overflow 0
		.amdhsa_exception_fp_ieee_underflow 0
		.amdhsa_exception_fp_ieee_inexact 0
		.amdhsa_exception_int_div_zero 0
	.end_amdhsa_kernel
	.section	.text._ZN7rocprim17ROCPRIM_400000_NS6detail17trampoline_kernelINS0_14default_configENS1_25partition_config_selectorILNS1_17partition_subalgoE0ExNS0_10empty_typeEbEEZZNS1_14partition_implILS5_0ELb0ES3_jN6thrust23THRUST_200600_302600_NS6detail15normal_iteratorINSA_10device_ptrIxEEEEPS6_SG_NS0_5tupleIJNSA_16discard_iteratorINSA_11use_defaultEEESF_EEENSH_IJSG_SG_EEES6_PlJ7is_evenIxEEEE10hipError_tPvRmT3_T4_T5_T6_T7_T9_mT8_P12ihipStream_tbDpT10_ENKUlT_T0_E_clISt17integral_constantIbLb1EES19_EEDaS14_S15_EUlS14_E_NS1_11comp_targetILNS1_3genE9ELNS1_11target_archE1100ELNS1_3gpuE3ELNS1_3repE0EEENS1_30default_config_static_selectorELNS0_4arch9wavefront6targetE1EEEvT1_,"axG",@progbits,_ZN7rocprim17ROCPRIM_400000_NS6detail17trampoline_kernelINS0_14default_configENS1_25partition_config_selectorILNS1_17partition_subalgoE0ExNS0_10empty_typeEbEEZZNS1_14partition_implILS5_0ELb0ES3_jN6thrust23THRUST_200600_302600_NS6detail15normal_iteratorINSA_10device_ptrIxEEEEPS6_SG_NS0_5tupleIJNSA_16discard_iteratorINSA_11use_defaultEEESF_EEENSH_IJSG_SG_EEES6_PlJ7is_evenIxEEEE10hipError_tPvRmT3_T4_T5_T6_T7_T9_mT8_P12ihipStream_tbDpT10_ENKUlT_T0_E_clISt17integral_constantIbLb1EES19_EEDaS14_S15_EUlS14_E_NS1_11comp_targetILNS1_3genE9ELNS1_11target_archE1100ELNS1_3gpuE3ELNS1_3repE0EEENS1_30default_config_static_selectorELNS0_4arch9wavefront6targetE1EEEvT1_,comdat
.Lfunc_end2665:
	.size	_ZN7rocprim17ROCPRIM_400000_NS6detail17trampoline_kernelINS0_14default_configENS1_25partition_config_selectorILNS1_17partition_subalgoE0ExNS0_10empty_typeEbEEZZNS1_14partition_implILS5_0ELb0ES3_jN6thrust23THRUST_200600_302600_NS6detail15normal_iteratorINSA_10device_ptrIxEEEEPS6_SG_NS0_5tupleIJNSA_16discard_iteratorINSA_11use_defaultEEESF_EEENSH_IJSG_SG_EEES6_PlJ7is_evenIxEEEE10hipError_tPvRmT3_T4_T5_T6_T7_T9_mT8_P12ihipStream_tbDpT10_ENKUlT_T0_E_clISt17integral_constantIbLb1EES19_EEDaS14_S15_EUlS14_E_NS1_11comp_targetILNS1_3genE9ELNS1_11target_archE1100ELNS1_3gpuE3ELNS1_3repE0EEENS1_30default_config_static_selectorELNS0_4arch9wavefront6targetE1EEEvT1_, .Lfunc_end2665-_ZN7rocprim17ROCPRIM_400000_NS6detail17trampoline_kernelINS0_14default_configENS1_25partition_config_selectorILNS1_17partition_subalgoE0ExNS0_10empty_typeEbEEZZNS1_14partition_implILS5_0ELb0ES3_jN6thrust23THRUST_200600_302600_NS6detail15normal_iteratorINSA_10device_ptrIxEEEEPS6_SG_NS0_5tupleIJNSA_16discard_iteratorINSA_11use_defaultEEESF_EEENSH_IJSG_SG_EEES6_PlJ7is_evenIxEEEE10hipError_tPvRmT3_T4_T5_T6_T7_T9_mT8_P12ihipStream_tbDpT10_ENKUlT_T0_E_clISt17integral_constantIbLb1EES19_EEDaS14_S15_EUlS14_E_NS1_11comp_targetILNS1_3genE9ELNS1_11target_archE1100ELNS1_3gpuE3ELNS1_3repE0EEENS1_30default_config_static_selectorELNS0_4arch9wavefront6targetE1EEEvT1_
                                        ; -- End function
	.section	.AMDGPU.csdata,"",@progbits
; Kernel info:
; codeLenInByte = 0
; NumSgprs: 6
; NumVgprs: 0
; NumAgprs: 0
; TotalNumVgprs: 0
; ScratchSize: 0
; MemoryBound: 0
; FloatMode: 240
; IeeeMode: 1
; LDSByteSize: 0 bytes/workgroup (compile time only)
; SGPRBlocks: 0
; VGPRBlocks: 0
; NumSGPRsForWavesPerEU: 6
; NumVGPRsForWavesPerEU: 1
; AccumOffset: 4
; Occupancy: 8
; WaveLimiterHint : 0
; COMPUTE_PGM_RSRC2:SCRATCH_EN: 0
; COMPUTE_PGM_RSRC2:USER_SGPR: 2
; COMPUTE_PGM_RSRC2:TRAP_HANDLER: 0
; COMPUTE_PGM_RSRC2:TGID_X_EN: 1
; COMPUTE_PGM_RSRC2:TGID_Y_EN: 0
; COMPUTE_PGM_RSRC2:TGID_Z_EN: 0
; COMPUTE_PGM_RSRC2:TIDIG_COMP_CNT: 0
; COMPUTE_PGM_RSRC3_GFX90A:ACCUM_OFFSET: 0
; COMPUTE_PGM_RSRC3_GFX90A:TG_SPLIT: 0
	.section	.text._ZN7rocprim17ROCPRIM_400000_NS6detail17trampoline_kernelINS0_14default_configENS1_25partition_config_selectorILNS1_17partition_subalgoE0ExNS0_10empty_typeEbEEZZNS1_14partition_implILS5_0ELb0ES3_jN6thrust23THRUST_200600_302600_NS6detail15normal_iteratorINSA_10device_ptrIxEEEEPS6_SG_NS0_5tupleIJNSA_16discard_iteratorINSA_11use_defaultEEESF_EEENSH_IJSG_SG_EEES6_PlJ7is_evenIxEEEE10hipError_tPvRmT3_T4_T5_T6_T7_T9_mT8_P12ihipStream_tbDpT10_ENKUlT_T0_E_clISt17integral_constantIbLb1EES19_EEDaS14_S15_EUlS14_E_NS1_11comp_targetILNS1_3genE8ELNS1_11target_archE1030ELNS1_3gpuE2ELNS1_3repE0EEENS1_30default_config_static_selectorELNS0_4arch9wavefront6targetE1EEEvT1_,"axG",@progbits,_ZN7rocprim17ROCPRIM_400000_NS6detail17trampoline_kernelINS0_14default_configENS1_25partition_config_selectorILNS1_17partition_subalgoE0ExNS0_10empty_typeEbEEZZNS1_14partition_implILS5_0ELb0ES3_jN6thrust23THRUST_200600_302600_NS6detail15normal_iteratorINSA_10device_ptrIxEEEEPS6_SG_NS0_5tupleIJNSA_16discard_iteratorINSA_11use_defaultEEESF_EEENSH_IJSG_SG_EEES6_PlJ7is_evenIxEEEE10hipError_tPvRmT3_T4_T5_T6_T7_T9_mT8_P12ihipStream_tbDpT10_ENKUlT_T0_E_clISt17integral_constantIbLb1EES19_EEDaS14_S15_EUlS14_E_NS1_11comp_targetILNS1_3genE8ELNS1_11target_archE1030ELNS1_3gpuE2ELNS1_3repE0EEENS1_30default_config_static_selectorELNS0_4arch9wavefront6targetE1EEEvT1_,comdat
	.protected	_ZN7rocprim17ROCPRIM_400000_NS6detail17trampoline_kernelINS0_14default_configENS1_25partition_config_selectorILNS1_17partition_subalgoE0ExNS0_10empty_typeEbEEZZNS1_14partition_implILS5_0ELb0ES3_jN6thrust23THRUST_200600_302600_NS6detail15normal_iteratorINSA_10device_ptrIxEEEEPS6_SG_NS0_5tupleIJNSA_16discard_iteratorINSA_11use_defaultEEESF_EEENSH_IJSG_SG_EEES6_PlJ7is_evenIxEEEE10hipError_tPvRmT3_T4_T5_T6_T7_T9_mT8_P12ihipStream_tbDpT10_ENKUlT_T0_E_clISt17integral_constantIbLb1EES19_EEDaS14_S15_EUlS14_E_NS1_11comp_targetILNS1_3genE8ELNS1_11target_archE1030ELNS1_3gpuE2ELNS1_3repE0EEENS1_30default_config_static_selectorELNS0_4arch9wavefront6targetE1EEEvT1_ ; -- Begin function _ZN7rocprim17ROCPRIM_400000_NS6detail17trampoline_kernelINS0_14default_configENS1_25partition_config_selectorILNS1_17partition_subalgoE0ExNS0_10empty_typeEbEEZZNS1_14partition_implILS5_0ELb0ES3_jN6thrust23THRUST_200600_302600_NS6detail15normal_iteratorINSA_10device_ptrIxEEEEPS6_SG_NS0_5tupleIJNSA_16discard_iteratorINSA_11use_defaultEEESF_EEENSH_IJSG_SG_EEES6_PlJ7is_evenIxEEEE10hipError_tPvRmT3_T4_T5_T6_T7_T9_mT8_P12ihipStream_tbDpT10_ENKUlT_T0_E_clISt17integral_constantIbLb1EES19_EEDaS14_S15_EUlS14_E_NS1_11comp_targetILNS1_3genE8ELNS1_11target_archE1030ELNS1_3gpuE2ELNS1_3repE0EEENS1_30default_config_static_selectorELNS0_4arch9wavefront6targetE1EEEvT1_
	.globl	_ZN7rocprim17ROCPRIM_400000_NS6detail17trampoline_kernelINS0_14default_configENS1_25partition_config_selectorILNS1_17partition_subalgoE0ExNS0_10empty_typeEbEEZZNS1_14partition_implILS5_0ELb0ES3_jN6thrust23THRUST_200600_302600_NS6detail15normal_iteratorINSA_10device_ptrIxEEEEPS6_SG_NS0_5tupleIJNSA_16discard_iteratorINSA_11use_defaultEEESF_EEENSH_IJSG_SG_EEES6_PlJ7is_evenIxEEEE10hipError_tPvRmT3_T4_T5_T6_T7_T9_mT8_P12ihipStream_tbDpT10_ENKUlT_T0_E_clISt17integral_constantIbLb1EES19_EEDaS14_S15_EUlS14_E_NS1_11comp_targetILNS1_3genE8ELNS1_11target_archE1030ELNS1_3gpuE2ELNS1_3repE0EEENS1_30default_config_static_selectorELNS0_4arch9wavefront6targetE1EEEvT1_
	.p2align	8
	.type	_ZN7rocprim17ROCPRIM_400000_NS6detail17trampoline_kernelINS0_14default_configENS1_25partition_config_selectorILNS1_17partition_subalgoE0ExNS0_10empty_typeEbEEZZNS1_14partition_implILS5_0ELb0ES3_jN6thrust23THRUST_200600_302600_NS6detail15normal_iteratorINSA_10device_ptrIxEEEEPS6_SG_NS0_5tupleIJNSA_16discard_iteratorINSA_11use_defaultEEESF_EEENSH_IJSG_SG_EEES6_PlJ7is_evenIxEEEE10hipError_tPvRmT3_T4_T5_T6_T7_T9_mT8_P12ihipStream_tbDpT10_ENKUlT_T0_E_clISt17integral_constantIbLb1EES19_EEDaS14_S15_EUlS14_E_NS1_11comp_targetILNS1_3genE8ELNS1_11target_archE1030ELNS1_3gpuE2ELNS1_3repE0EEENS1_30default_config_static_selectorELNS0_4arch9wavefront6targetE1EEEvT1_,@function
_ZN7rocprim17ROCPRIM_400000_NS6detail17trampoline_kernelINS0_14default_configENS1_25partition_config_selectorILNS1_17partition_subalgoE0ExNS0_10empty_typeEbEEZZNS1_14partition_implILS5_0ELb0ES3_jN6thrust23THRUST_200600_302600_NS6detail15normal_iteratorINSA_10device_ptrIxEEEEPS6_SG_NS0_5tupleIJNSA_16discard_iteratorINSA_11use_defaultEEESF_EEENSH_IJSG_SG_EEES6_PlJ7is_evenIxEEEE10hipError_tPvRmT3_T4_T5_T6_T7_T9_mT8_P12ihipStream_tbDpT10_ENKUlT_T0_E_clISt17integral_constantIbLb1EES19_EEDaS14_S15_EUlS14_E_NS1_11comp_targetILNS1_3genE8ELNS1_11target_archE1030ELNS1_3gpuE2ELNS1_3repE0EEENS1_30default_config_static_selectorELNS0_4arch9wavefront6targetE1EEEvT1_: ; @_ZN7rocprim17ROCPRIM_400000_NS6detail17trampoline_kernelINS0_14default_configENS1_25partition_config_selectorILNS1_17partition_subalgoE0ExNS0_10empty_typeEbEEZZNS1_14partition_implILS5_0ELb0ES3_jN6thrust23THRUST_200600_302600_NS6detail15normal_iteratorINSA_10device_ptrIxEEEEPS6_SG_NS0_5tupleIJNSA_16discard_iteratorINSA_11use_defaultEEESF_EEENSH_IJSG_SG_EEES6_PlJ7is_evenIxEEEE10hipError_tPvRmT3_T4_T5_T6_T7_T9_mT8_P12ihipStream_tbDpT10_ENKUlT_T0_E_clISt17integral_constantIbLb1EES19_EEDaS14_S15_EUlS14_E_NS1_11comp_targetILNS1_3genE8ELNS1_11target_archE1030ELNS1_3gpuE2ELNS1_3repE0EEENS1_30default_config_static_selectorELNS0_4arch9wavefront6targetE1EEEvT1_
; %bb.0:
	.section	.rodata,"a",@progbits
	.p2align	6, 0x0
	.amdhsa_kernel _ZN7rocprim17ROCPRIM_400000_NS6detail17trampoline_kernelINS0_14default_configENS1_25partition_config_selectorILNS1_17partition_subalgoE0ExNS0_10empty_typeEbEEZZNS1_14partition_implILS5_0ELb0ES3_jN6thrust23THRUST_200600_302600_NS6detail15normal_iteratorINSA_10device_ptrIxEEEEPS6_SG_NS0_5tupleIJNSA_16discard_iteratorINSA_11use_defaultEEESF_EEENSH_IJSG_SG_EEES6_PlJ7is_evenIxEEEE10hipError_tPvRmT3_T4_T5_T6_T7_T9_mT8_P12ihipStream_tbDpT10_ENKUlT_T0_E_clISt17integral_constantIbLb1EES19_EEDaS14_S15_EUlS14_E_NS1_11comp_targetILNS1_3genE8ELNS1_11target_archE1030ELNS1_3gpuE2ELNS1_3repE0EEENS1_30default_config_static_selectorELNS0_4arch9wavefront6targetE1EEEvT1_
		.amdhsa_group_segment_fixed_size 0
		.amdhsa_private_segment_fixed_size 0
		.amdhsa_kernarg_size 144
		.amdhsa_user_sgpr_count 2
		.amdhsa_user_sgpr_dispatch_ptr 0
		.amdhsa_user_sgpr_queue_ptr 0
		.amdhsa_user_sgpr_kernarg_segment_ptr 1
		.amdhsa_user_sgpr_dispatch_id 0
		.amdhsa_user_sgpr_kernarg_preload_length 0
		.amdhsa_user_sgpr_kernarg_preload_offset 0
		.amdhsa_user_sgpr_private_segment_size 0
		.amdhsa_uses_dynamic_stack 0
		.amdhsa_enable_private_segment 0
		.amdhsa_system_sgpr_workgroup_id_x 1
		.amdhsa_system_sgpr_workgroup_id_y 0
		.amdhsa_system_sgpr_workgroup_id_z 0
		.amdhsa_system_sgpr_workgroup_info 0
		.amdhsa_system_vgpr_workitem_id 0
		.amdhsa_next_free_vgpr 1
		.amdhsa_next_free_sgpr 0
		.amdhsa_accum_offset 4
		.amdhsa_reserve_vcc 0
		.amdhsa_float_round_mode_32 0
		.amdhsa_float_round_mode_16_64 0
		.amdhsa_float_denorm_mode_32 3
		.amdhsa_float_denorm_mode_16_64 3
		.amdhsa_dx10_clamp 1
		.amdhsa_ieee_mode 1
		.amdhsa_fp16_overflow 0
		.amdhsa_tg_split 0
		.amdhsa_exception_fp_ieee_invalid_op 0
		.amdhsa_exception_fp_denorm_src 0
		.amdhsa_exception_fp_ieee_div_zero 0
		.amdhsa_exception_fp_ieee_overflow 0
		.amdhsa_exception_fp_ieee_underflow 0
		.amdhsa_exception_fp_ieee_inexact 0
		.amdhsa_exception_int_div_zero 0
	.end_amdhsa_kernel
	.section	.text._ZN7rocprim17ROCPRIM_400000_NS6detail17trampoline_kernelINS0_14default_configENS1_25partition_config_selectorILNS1_17partition_subalgoE0ExNS0_10empty_typeEbEEZZNS1_14partition_implILS5_0ELb0ES3_jN6thrust23THRUST_200600_302600_NS6detail15normal_iteratorINSA_10device_ptrIxEEEEPS6_SG_NS0_5tupleIJNSA_16discard_iteratorINSA_11use_defaultEEESF_EEENSH_IJSG_SG_EEES6_PlJ7is_evenIxEEEE10hipError_tPvRmT3_T4_T5_T6_T7_T9_mT8_P12ihipStream_tbDpT10_ENKUlT_T0_E_clISt17integral_constantIbLb1EES19_EEDaS14_S15_EUlS14_E_NS1_11comp_targetILNS1_3genE8ELNS1_11target_archE1030ELNS1_3gpuE2ELNS1_3repE0EEENS1_30default_config_static_selectorELNS0_4arch9wavefront6targetE1EEEvT1_,"axG",@progbits,_ZN7rocprim17ROCPRIM_400000_NS6detail17trampoline_kernelINS0_14default_configENS1_25partition_config_selectorILNS1_17partition_subalgoE0ExNS0_10empty_typeEbEEZZNS1_14partition_implILS5_0ELb0ES3_jN6thrust23THRUST_200600_302600_NS6detail15normal_iteratorINSA_10device_ptrIxEEEEPS6_SG_NS0_5tupleIJNSA_16discard_iteratorINSA_11use_defaultEEESF_EEENSH_IJSG_SG_EEES6_PlJ7is_evenIxEEEE10hipError_tPvRmT3_T4_T5_T6_T7_T9_mT8_P12ihipStream_tbDpT10_ENKUlT_T0_E_clISt17integral_constantIbLb1EES19_EEDaS14_S15_EUlS14_E_NS1_11comp_targetILNS1_3genE8ELNS1_11target_archE1030ELNS1_3gpuE2ELNS1_3repE0EEENS1_30default_config_static_selectorELNS0_4arch9wavefront6targetE1EEEvT1_,comdat
.Lfunc_end2666:
	.size	_ZN7rocprim17ROCPRIM_400000_NS6detail17trampoline_kernelINS0_14default_configENS1_25partition_config_selectorILNS1_17partition_subalgoE0ExNS0_10empty_typeEbEEZZNS1_14partition_implILS5_0ELb0ES3_jN6thrust23THRUST_200600_302600_NS6detail15normal_iteratorINSA_10device_ptrIxEEEEPS6_SG_NS0_5tupleIJNSA_16discard_iteratorINSA_11use_defaultEEESF_EEENSH_IJSG_SG_EEES6_PlJ7is_evenIxEEEE10hipError_tPvRmT3_T4_T5_T6_T7_T9_mT8_P12ihipStream_tbDpT10_ENKUlT_T0_E_clISt17integral_constantIbLb1EES19_EEDaS14_S15_EUlS14_E_NS1_11comp_targetILNS1_3genE8ELNS1_11target_archE1030ELNS1_3gpuE2ELNS1_3repE0EEENS1_30default_config_static_selectorELNS0_4arch9wavefront6targetE1EEEvT1_, .Lfunc_end2666-_ZN7rocprim17ROCPRIM_400000_NS6detail17trampoline_kernelINS0_14default_configENS1_25partition_config_selectorILNS1_17partition_subalgoE0ExNS0_10empty_typeEbEEZZNS1_14partition_implILS5_0ELb0ES3_jN6thrust23THRUST_200600_302600_NS6detail15normal_iteratorINSA_10device_ptrIxEEEEPS6_SG_NS0_5tupleIJNSA_16discard_iteratorINSA_11use_defaultEEESF_EEENSH_IJSG_SG_EEES6_PlJ7is_evenIxEEEE10hipError_tPvRmT3_T4_T5_T6_T7_T9_mT8_P12ihipStream_tbDpT10_ENKUlT_T0_E_clISt17integral_constantIbLb1EES19_EEDaS14_S15_EUlS14_E_NS1_11comp_targetILNS1_3genE8ELNS1_11target_archE1030ELNS1_3gpuE2ELNS1_3repE0EEENS1_30default_config_static_selectorELNS0_4arch9wavefront6targetE1EEEvT1_
                                        ; -- End function
	.section	.AMDGPU.csdata,"",@progbits
; Kernel info:
; codeLenInByte = 0
; NumSgprs: 6
; NumVgprs: 0
; NumAgprs: 0
; TotalNumVgprs: 0
; ScratchSize: 0
; MemoryBound: 0
; FloatMode: 240
; IeeeMode: 1
; LDSByteSize: 0 bytes/workgroup (compile time only)
; SGPRBlocks: 0
; VGPRBlocks: 0
; NumSGPRsForWavesPerEU: 6
; NumVGPRsForWavesPerEU: 1
; AccumOffset: 4
; Occupancy: 8
; WaveLimiterHint : 0
; COMPUTE_PGM_RSRC2:SCRATCH_EN: 0
; COMPUTE_PGM_RSRC2:USER_SGPR: 2
; COMPUTE_PGM_RSRC2:TRAP_HANDLER: 0
; COMPUTE_PGM_RSRC2:TGID_X_EN: 1
; COMPUTE_PGM_RSRC2:TGID_Y_EN: 0
; COMPUTE_PGM_RSRC2:TGID_Z_EN: 0
; COMPUTE_PGM_RSRC2:TIDIG_COMP_CNT: 0
; COMPUTE_PGM_RSRC3_GFX90A:ACCUM_OFFSET: 0
; COMPUTE_PGM_RSRC3_GFX90A:TG_SPLIT: 0
	.section	.text._ZN7rocprim17ROCPRIM_400000_NS6detail17trampoline_kernelINS0_14default_configENS1_25partition_config_selectorILNS1_17partition_subalgoE0ExNS0_10empty_typeEbEEZZNS1_14partition_implILS5_0ELb0ES3_jN6thrust23THRUST_200600_302600_NS6detail15normal_iteratorINSA_10device_ptrIxEEEEPS6_SG_NS0_5tupleIJNSA_16discard_iteratorINSA_11use_defaultEEESF_EEENSH_IJSG_SG_EEES6_PlJ7is_evenIxEEEE10hipError_tPvRmT3_T4_T5_T6_T7_T9_mT8_P12ihipStream_tbDpT10_ENKUlT_T0_E_clISt17integral_constantIbLb1EES18_IbLb0EEEEDaS14_S15_EUlS14_E_NS1_11comp_targetILNS1_3genE0ELNS1_11target_archE4294967295ELNS1_3gpuE0ELNS1_3repE0EEENS1_30default_config_static_selectorELNS0_4arch9wavefront6targetE1EEEvT1_,"axG",@progbits,_ZN7rocprim17ROCPRIM_400000_NS6detail17trampoline_kernelINS0_14default_configENS1_25partition_config_selectorILNS1_17partition_subalgoE0ExNS0_10empty_typeEbEEZZNS1_14partition_implILS5_0ELb0ES3_jN6thrust23THRUST_200600_302600_NS6detail15normal_iteratorINSA_10device_ptrIxEEEEPS6_SG_NS0_5tupleIJNSA_16discard_iteratorINSA_11use_defaultEEESF_EEENSH_IJSG_SG_EEES6_PlJ7is_evenIxEEEE10hipError_tPvRmT3_T4_T5_T6_T7_T9_mT8_P12ihipStream_tbDpT10_ENKUlT_T0_E_clISt17integral_constantIbLb1EES18_IbLb0EEEEDaS14_S15_EUlS14_E_NS1_11comp_targetILNS1_3genE0ELNS1_11target_archE4294967295ELNS1_3gpuE0ELNS1_3repE0EEENS1_30default_config_static_selectorELNS0_4arch9wavefront6targetE1EEEvT1_,comdat
	.protected	_ZN7rocprim17ROCPRIM_400000_NS6detail17trampoline_kernelINS0_14default_configENS1_25partition_config_selectorILNS1_17partition_subalgoE0ExNS0_10empty_typeEbEEZZNS1_14partition_implILS5_0ELb0ES3_jN6thrust23THRUST_200600_302600_NS6detail15normal_iteratorINSA_10device_ptrIxEEEEPS6_SG_NS0_5tupleIJNSA_16discard_iteratorINSA_11use_defaultEEESF_EEENSH_IJSG_SG_EEES6_PlJ7is_evenIxEEEE10hipError_tPvRmT3_T4_T5_T6_T7_T9_mT8_P12ihipStream_tbDpT10_ENKUlT_T0_E_clISt17integral_constantIbLb1EES18_IbLb0EEEEDaS14_S15_EUlS14_E_NS1_11comp_targetILNS1_3genE0ELNS1_11target_archE4294967295ELNS1_3gpuE0ELNS1_3repE0EEENS1_30default_config_static_selectorELNS0_4arch9wavefront6targetE1EEEvT1_ ; -- Begin function _ZN7rocprim17ROCPRIM_400000_NS6detail17trampoline_kernelINS0_14default_configENS1_25partition_config_selectorILNS1_17partition_subalgoE0ExNS0_10empty_typeEbEEZZNS1_14partition_implILS5_0ELb0ES3_jN6thrust23THRUST_200600_302600_NS6detail15normal_iteratorINSA_10device_ptrIxEEEEPS6_SG_NS0_5tupleIJNSA_16discard_iteratorINSA_11use_defaultEEESF_EEENSH_IJSG_SG_EEES6_PlJ7is_evenIxEEEE10hipError_tPvRmT3_T4_T5_T6_T7_T9_mT8_P12ihipStream_tbDpT10_ENKUlT_T0_E_clISt17integral_constantIbLb1EES18_IbLb0EEEEDaS14_S15_EUlS14_E_NS1_11comp_targetILNS1_3genE0ELNS1_11target_archE4294967295ELNS1_3gpuE0ELNS1_3repE0EEENS1_30default_config_static_selectorELNS0_4arch9wavefront6targetE1EEEvT1_
	.globl	_ZN7rocprim17ROCPRIM_400000_NS6detail17trampoline_kernelINS0_14default_configENS1_25partition_config_selectorILNS1_17partition_subalgoE0ExNS0_10empty_typeEbEEZZNS1_14partition_implILS5_0ELb0ES3_jN6thrust23THRUST_200600_302600_NS6detail15normal_iteratorINSA_10device_ptrIxEEEEPS6_SG_NS0_5tupleIJNSA_16discard_iteratorINSA_11use_defaultEEESF_EEENSH_IJSG_SG_EEES6_PlJ7is_evenIxEEEE10hipError_tPvRmT3_T4_T5_T6_T7_T9_mT8_P12ihipStream_tbDpT10_ENKUlT_T0_E_clISt17integral_constantIbLb1EES18_IbLb0EEEEDaS14_S15_EUlS14_E_NS1_11comp_targetILNS1_3genE0ELNS1_11target_archE4294967295ELNS1_3gpuE0ELNS1_3repE0EEENS1_30default_config_static_selectorELNS0_4arch9wavefront6targetE1EEEvT1_
	.p2align	8
	.type	_ZN7rocprim17ROCPRIM_400000_NS6detail17trampoline_kernelINS0_14default_configENS1_25partition_config_selectorILNS1_17partition_subalgoE0ExNS0_10empty_typeEbEEZZNS1_14partition_implILS5_0ELb0ES3_jN6thrust23THRUST_200600_302600_NS6detail15normal_iteratorINSA_10device_ptrIxEEEEPS6_SG_NS0_5tupleIJNSA_16discard_iteratorINSA_11use_defaultEEESF_EEENSH_IJSG_SG_EEES6_PlJ7is_evenIxEEEE10hipError_tPvRmT3_T4_T5_T6_T7_T9_mT8_P12ihipStream_tbDpT10_ENKUlT_T0_E_clISt17integral_constantIbLb1EES18_IbLb0EEEEDaS14_S15_EUlS14_E_NS1_11comp_targetILNS1_3genE0ELNS1_11target_archE4294967295ELNS1_3gpuE0ELNS1_3repE0EEENS1_30default_config_static_selectorELNS0_4arch9wavefront6targetE1EEEvT1_,@function
_ZN7rocprim17ROCPRIM_400000_NS6detail17trampoline_kernelINS0_14default_configENS1_25partition_config_selectorILNS1_17partition_subalgoE0ExNS0_10empty_typeEbEEZZNS1_14partition_implILS5_0ELb0ES3_jN6thrust23THRUST_200600_302600_NS6detail15normal_iteratorINSA_10device_ptrIxEEEEPS6_SG_NS0_5tupleIJNSA_16discard_iteratorINSA_11use_defaultEEESF_EEENSH_IJSG_SG_EEES6_PlJ7is_evenIxEEEE10hipError_tPvRmT3_T4_T5_T6_T7_T9_mT8_P12ihipStream_tbDpT10_ENKUlT_T0_E_clISt17integral_constantIbLb1EES18_IbLb0EEEEDaS14_S15_EUlS14_E_NS1_11comp_targetILNS1_3genE0ELNS1_11target_archE4294967295ELNS1_3gpuE0ELNS1_3repE0EEENS1_30default_config_static_selectorELNS0_4arch9wavefront6targetE1EEEvT1_: ; @_ZN7rocprim17ROCPRIM_400000_NS6detail17trampoline_kernelINS0_14default_configENS1_25partition_config_selectorILNS1_17partition_subalgoE0ExNS0_10empty_typeEbEEZZNS1_14partition_implILS5_0ELb0ES3_jN6thrust23THRUST_200600_302600_NS6detail15normal_iteratorINSA_10device_ptrIxEEEEPS6_SG_NS0_5tupleIJNSA_16discard_iteratorINSA_11use_defaultEEESF_EEENSH_IJSG_SG_EEES6_PlJ7is_evenIxEEEE10hipError_tPvRmT3_T4_T5_T6_T7_T9_mT8_P12ihipStream_tbDpT10_ENKUlT_T0_E_clISt17integral_constantIbLb1EES18_IbLb0EEEEDaS14_S15_EUlS14_E_NS1_11comp_targetILNS1_3genE0ELNS1_11target_archE4294967295ELNS1_3gpuE0ELNS1_3repE0EEENS1_30default_config_static_selectorELNS0_4arch9wavefront6targetE1EEEvT1_
; %bb.0:
	.section	.rodata,"a",@progbits
	.p2align	6, 0x0
	.amdhsa_kernel _ZN7rocprim17ROCPRIM_400000_NS6detail17trampoline_kernelINS0_14default_configENS1_25partition_config_selectorILNS1_17partition_subalgoE0ExNS0_10empty_typeEbEEZZNS1_14partition_implILS5_0ELb0ES3_jN6thrust23THRUST_200600_302600_NS6detail15normal_iteratorINSA_10device_ptrIxEEEEPS6_SG_NS0_5tupleIJNSA_16discard_iteratorINSA_11use_defaultEEESF_EEENSH_IJSG_SG_EEES6_PlJ7is_evenIxEEEE10hipError_tPvRmT3_T4_T5_T6_T7_T9_mT8_P12ihipStream_tbDpT10_ENKUlT_T0_E_clISt17integral_constantIbLb1EES18_IbLb0EEEEDaS14_S15_EUlS14_E_NS1_11comp_targetILNS1_3genE0ELNS1_11target_archE4294967295ELNS1_3gpuE0ELNS1_3repE0EEENS1_30default_config_static_selectorELNS0_4arch9wavefront6targetE1EEEvT1_
		.amdhsa_group_segment_fixed_size 0
		.amdhsa_private_segment_fixed_size 0
		.amdhsa_kernarg_size 128
		.amdhsa_user_sgpr_count 2
		.amdhsa_user_sgpr_dispatch_ptr 0
		.amdhsa_user_sgpr_queue_ptr 0
		.amdhsa_user_sgpr_kernarg_segment_ptr 1
		.amdhsa_user_sgpr_dispatch_id 0
		.amdhsa_user_sgpr_kernarg_preload_length 0
		.amdhsa_user_sgpr_kernarg_preload_offset 0
		.amdhsa_user_sgpr_private_segment_size 0
		.amdhsa_uses_dynamic_stack 0
		.amdhsa_enable_private_segment 0
		.amdhsa_system_sgpr_workgroup_id_x 1
		.amdhsa_system_sgpr_workgroup_id_y 0
		.amdhsa_system_sgpr_workgroup_id_z 0
		.amdhsa_system_sgpr_workgroup_info 0
		.amdhsa_system_vgpr_workitem_id 0
		.amdhsa_next_free_vgpr 1
		.amdhsa_next_free_sgpr 0
		.amdhsa_accum_offset 4
		.amdhsa_reserve_vcc 0
		.amdhsa_float_round_mode_32 0
		.amdhsa_float_round_mode_16_64 0
		.amdhsa_float_denorm_mode_32 3
		.amdhsa_float_denorm_mode_16_64 3
		.amdhsa_dx10_clamp 1
		.amdhsa_ieee_mode 1
		.amdhsa_fp16_overflow 0
		.amdhsa_tg_split 0
		.amdhsa_exception_fp_ieee_invalid_op 0
		.amdhsa_exception_fp_denorm_src 0
		.amdhsa_exception_fp_ieee_div_zero 0
		.amdhsa_exception_fp_ieee_overflow 0
		.amdhsa_exception_fp_ieee_underflow 0
		.amdhsa_exception_fp_ieee_inexact 0
		.amdhsa_exception_int_div_zero 0
	.end_amdhsa_kernel
	.section	.text._ZN7rocprim17ROCPRIM_400000_NS6detail17trampoline_kernelINS0_14default_configENS1_25partition_config_selectorILNS1_17partition_subalgoE0ExNS0_10empty_typeEbEEZZNS1_14partition_implILS5_0ELb0ES3_jN6thrust23THRUST_200600_302600_NS6detail15normal_iteratorINSA_10device_ptrIxEEEEPS6_SG_NS0_5tupleIJNSA_16discard_iteratorINSA_11use_defaultEEESF_EEENSH_IJSG_SG_EEES6_PlJ7is_evenIxEEEE10hipError_tPvRmT3_T4_T5_T6_T7_T9_mT8_P12ihipStream_tbDpT10_ENKUlT_T0_E_clISt17integral_constantIbLb1EES18_IbLb0EEEEDaS14_S15_EUlS14_E_NS1_11comp_targetILNS1_3genE0ELNS1_11target_archE4294967295ELNS1_3gpuE0ELNS1_3repE0EEENS1_30default_config_static_selectorELNS0_4arch9wavefront6targetE1EEEvT1_,"axG",@progbits,_ZN7rocprim17ROCPRIM_400000_NS6detail17trampoline_kernelINS0_14default_configENS1_25partition_config_selectorILNS1_17partition_subalgoE0ExNS0_10empty_typeEbEEZZNS1_14partition_implILS5_0ELb0ES3_jN6thrust23THRUST_200600_302600_NS6detail15normal_iteratorINSA_10device_ptrIxEEEEPS6_SG_NS0_5tupleIJNSA_16discard_iteratorINSA_11use_defaultEEESF_EEENSH_IJSG_SG_EEES6_PlJ7is_evenIxEEEE10hipError_tPvRmT3_T4_T5_T6_T7_T9_mT8_P12ihipStream_tbDpT10_ENKUlT_T0_E_clISt17integral_constantIbLb1EES18_IbLb0EEEEDaS14_S15_EUlS14_E_NS1_11comp_targetILNS1_3genE0ELNS1_11target_archE4294967295ELNS1_3gpuE0ELNS1_3repE0EEENS1_30default_config_static_selectorELNS0_4arch9wavefront6targetE1EEEvT1_,comdat
.Lfunc_end2667:
	.size	_ZN7rocprim17ROCPRIM_400000_NS6detail17trampoline_kernelINS0_14default_configENS1_25partition_config_selectorILNS1_17partition_subalgoE0ExNS0_10empty_typeEbEEZZNS1_14partition_implILS5_0ELb0ES3_jN6thrust23THRUST_200600_302600_NS6detail15normal_iteratorINSA_10device_ptrIxEEEEPS6_SG_NS0_5tupleIJNSA_16discard_iteratorINSA_11use_defaultEEESF_EEENSH_IJSG_SG_EEES6_PlJ7is_evenIxEEEE10hipError_tPvRmT3_T4_T5_T6_T7_T9_mT8_P12ihipStream_tbDpT10_ENKUlT_T0_E_clISt17integral_constantIbLb1EES18_IbLb0EEEEDaS14_S15_EUlS14_E_NS1_11comp_targetILNS1_3genE0ELNS1_11target_archE4294967295ELNS1_3gpuE0ELNS1_3repE0EEENS1_30default_config_static_selectorELNS0_4arch9wavefront6targetE1EEEvT1_, .Lfunc_end2667-_ZN7rocprim17ROCPRIM_400000_NS6detail17trampoline_kernelINS0_14default_configENS1_25partition_config_selectorILNS1_17partition_subalgoE0ExNS0_10empty_typeEbEEZZNS1_14partition_implILS5_0ELb0ES3_jN6thrust23THRUST_200600_302600_NS6detail15normal_iteratorINSA_10device_ptrIxEEEEPS6_SG_NS0_5tupleIJNSA_16discard_iteratorINSA_11use_defaultEEESF_EEENSH_IJSG_SG_EEES6_PlJ7is_evenIxEEEE10hipError_tPvRmT3_T4_T5_T6_T7_T9_mT8_P12ihipStream_tbDpT10_ENKUlT_T0_E_clISt17integral_constantIbLb1EES18_IbLb0EEEEDaS14_S15_EUlS14_E_NS1_11comp_targetILNS1_3genE0ELNS1_11target_archE4294967295ELNS1_3gpuE0ELNS1_3repE0EEENS1_30default_config_static_selectorELNS0_4arch9wavefront6targetE1EEEvT1_
                                        ; -- End function
	.section	.AMDGPU.csdata,"",@progbits
; Kernel info:
; codeLenInByte = 0
; NumSgprs: 6
; NumVgprs: 0
; NumAgprs: 0
; TotalNumVgprs: 0
; ScratchSize: 0
; MemoryBound: 0
; FloatMode: 240
; IeeeMode: 1
; LDSByteSize: 0 bytes/workgroup (compile time only)
; SGPRBlocks: 0
; VGPRBlocks: 0
; NumSGPRsForWavesPerEU: 6
; NumVGPRsForWavesPerEU: 1
; AccumOffset: 4
; Occupancy: 8
; WaveLimiterHint : 0
; COMPUTE_PGM_RSRC2:SCRATCH_EN: 0
; COMPUTE_PGM_RSRC2:USER_SGPR: 2
; COMPUTE_PGM_RSRC2:TRAP_HANDLER: 0
; COMPUTE_PGM_RSRC2:TGID_X_EN: 1
; COMPUTE_PGM_RSRC2:TGID_Y_EN: 0
; COMPUTE_PGM_RSRC2:TGID_Z_EN: 0
; COMPUTE_PGM_RSRC2:TIDIG_COMP_CNT: 0
; COMPUTE_PGM_RSRC3_GFX90A:ACCUM_OFFSET: 0
; COMPUTE_PGM_RSRC3_GFX90A:TG_SPLIT: 0
	.section	.text._ZN7rocprim17ROCPRIM_400000_NS6detail17trampoline_kernelINS0_14default_configENS1_25partition_config_selectorILNS1_17partition_subalgoE0ExNS0_10empty_typeEbEEZZNS1_14partition_implILS5_0ELb0ES3_jN6thrust23THRUST_200600_302600_NS6detail15normal_iteratorINSA_10device_ptrIxEEEEPS6_SG_NS0_5tupleIJNSA_16discard_iteratorINSA_11use_defaultEEESF_EEENSH_IJSG_SG_EEES6_PlJ7is_evenIxEEEE10hipError_tPvRmT3_T4_T5_T6_T7_T9_mT8_P12ihipStream_tbDpT10_ENKUlT_T0_E_clISt17integral_constantIbLb1EES18_IbLb0EEEEDaS14_S15_EUlS14_E_NS1_11comp_targetILNS1_3genE5ELNS1_11target_archE942ELNS1_3gpuE9ELNS1_3repE0EEENS1_30default_config_static_selectorELNS0_4arch9wavefront6targetE1EEEvT1_,"axG",@progbits,_ZN7rocprim17ROCPRIM_400000_NS6detail17trampoline_kernelINS0_14default_configENS1_25partition_config_selectorILNS1_17partition_subalgoE0ExNS0_10empty_typeEbEEZZNS1_14partition_implILS5_0ELb0ES3_jN6thrust23THRUST_200600_302600_NS6detail15normal_iteratorINSA_10device_ptrIxEEEEPS6_SG_NS0_5tupleIJNSA_16discard_iteratorINSA_11use_defaultEEESF_EEENSH_IJSG_SG_EEES6_PlJ7is_evenIxEEEE10hipError_tPvRmT3_T4_T5_T6_T7_T9_mT8_P12ihipStream_tbDpT10_ENKUlT_T0_E_clISt17integral_constantIbLb1EES18_IbLb0EEEEDaS14_S15_EUlS14_E_NS1_11comp_targetILNS1_3genE5ELNS1_11target_archE942ELNS1_3gpuE9ELNS1_3repE0EEENS1_30default_config_static_selectorELNS0_4arch9wavefront6targetE1EEEvT1_,comdat
	.protected	_ZN7rocprim17ROCPRIM_400000_NS6detail17trampoline_kernelINS0_14default_configENS1_25partition_config_selectorILNS1_17partition_subalgoE0ExNS0_10empty_typeEbEEZZNS1_14partition_implILS5_0ELb0ES3_jN6thrust23THRUST_200600_302600_NS6detail15normal_iteratorINSA_10device_ptrIxEEEEPS6_SG_NS0_5tupleIJNSA_16discard_iteratorINSA_11use_defaultEEESF_EEENSH_IJSG_SG_EEES6_PlJ7is_evenIxEEEE10hipError_tPvRmT3_T4_T5_T6_T7_T9_mT8_P12ihipStream_tbDpT10_ENKUlT_T0_E_clISt17integral_constantIbLb1EES18_IbLb0EEEEDaS14_S15_EUlS14_E_NS1_11comp_targetILNS1_3genE5ELNS1_11target_archE942ELNS1_3gpuE9ELNS1_3repE0EEENS1_30default_config_static_selectorELNS0_4arch9wavefront6targetE1EEEvT1_ ; -- Begin function _ZN7rocprim17ROCPRIM_400000_NS6detail17trampoline_kernelINS0_14default_configENS1_25partition_config_selectorILNS1_17partition_subalgoE0ExNS0_10empty_typeEbEEZZNS1_14partition_implILS5_0ELb0ES3_jN6thrust23THRUST_200600_302600_NS6detail15normal_iteratorINSA_10device_ptrIxEEEEPS6_SG_NS0_5tupleIJNSA_16discard_iteratorINSA_11use_defaultEEESF_EEENSH_IJSG_SG_EEES6_PlJ7is_evenIxEEEE10hipError_tPvRmT3_T4_T5_T6_T7_T9_mT8_P12ihipStream_tbDpT10_ENKUlT_T0_E_clISt17integral_constantIbLb1EES18_IbLb0EEEEDaS14_S15_EUlS14_E_NS1_11comp_targetILNS1_3genE5ELNS1_11target_archE942ELNS1_3gpuE9ELNS1_3repE0EEENS1_30default_config_static_selectorELNS0_4arch9wavefront6targetE1EEEvT1_
	.globl	_ZN7rocprim17ROCPRIM_400000_NS6detail17trampoline_kernelINS0_14default_configENS1_25partition_config_selectorILNS1_17partition_subalgoE0ExNS0_10empty_typeEbEEZZNS1_14partition_implILS5_0ELb0ES3_jN6thrust23THRUST_200600_302600_NS6detail15normal_iteratorINSA_10device_ptrIxEEEEPS6_SG_NS0_5tupleIJNSA_16discard_iteratorINSA_11use_defaultEEESF_EEENSH_IJSG_SG_EEES6_PlJ7is_evenIxEEEE10hipError_tPvRmT3_T4_T5_T6_T7_T9_mT8_P12ihipStream_tbDpT10_ENKUlT_T0_E_clISt17integral_constantIbLb1EES18_IbLb0EEEEDaS14_S15_EUlS14_E_NS1_11comp_targetILNS1_3genE5ELNS1_11target_archE942ELNS1_3gpuE9ELNS1_3repE0EEENS1_30default_config_static_selectorELNS0_4arch9wavefront6targetE1EEEvT1_
	.p2align	8
	.type	_ZN7rocprim17ROCPRIM_400000_NS6detail17trampoline_kernelINS0_14default_configENS1_25partition_config_selectorILNS1_17partition_subalgoE0ExNS0_10empty_typeEbEEZZNS1_14partition_implILS5_0ELb0ES3_jN6thrust23THRUST_200600_302600_NS6detail15normal_iteratorINSA_10device_ptrIxEEEEPS6_SG_NS0_5tupleIJNSA_16discard_iteratorINSA_11use_defaultEEESF_EEENSH_IJSG_SG_EEES6_PlJ7is_evenIxEEEE10hipError_tPvRmT3_T4_T5_T6_T7_T9_mT8_P12ihipStream_tbDpT10_ENKUlT_T0_E_clISt17integral_constantIbLb1EES18_IbLb0EEEEDaS14_S15_EUlS14_E_NS1_11comp_targetILNS1_3genE5ELNS1_11target_archE942ELNS1_3gpuE9ELNS1_3repE0EEENS1_30default_config_static_selectorELNS0_4arch9wavefront6targetE1EEEvT1_,@function
_ZN7rocprim17ROCPRIM_400000_NS6detail17trampoline_kernelINS0_14default_configENS1_25partition_config_selectorILNS1_17partition_subalgoE0ExNS0_10empty_typeEbEEZZNS1_14partition_implILS5_0ELb0ES3_jN6thrust23THRUST_200600_302600_NS6detail15normal_iteratorINSA_10device_ptrIxEEEEPS6_SG_NS0_5tupleIJNSA_16discard_iteratorINSA_11use_defaultEEESF_EEENSH_IJSG_SG_EEES6_PlJ7is_evenIxEEEE10hipError_tPvRmT3_T4_T5_T6_T7_T9_mT8_P12ihipStream_tbDpT10_ENKUlT_T0_E_clISt17integral_constantIbLb1EES18_IbLb0EEEEDaS14_S15_EUlS14_E_NS1_11comp_targetILNS1_3genE5ELNS1_11target_archE942ELNS1_3gpuE9ELNS1_3repE0EEENS1_30default_config_static_selectorELNS0_4arch9wavefront6targetE1EEEvT1_: ; @_ZN7rocprim17ROCPRIM_400000_NS6detail17trampoline_kernelINS0_14default_configENS1_25partition_config_selectorILNS1_17partition_subalgoE0ExNS0_10empty_typeEbEEZZNS1_14partition_implILS5_0ELb0ES3_jN6thrust23THRUST_200600_302600_NS6detail15normal_iteratorINSA_10device_ptrIxEEEEPS6_SG_NS0_5tupleIJNSA_16discard_iteratorINSA_11use_defaultEEESF_EEENSH_IJSG_SG_EEES6_PlJ7is_evenIxEEEE10hipError_tPvRmT3_T4_T5_T6_T7_T9_mT8_P12ihipStream_tbDpT10_ENKUlT_T0_E_clISt17integral_constantIbLb1EES18_IbLb0EEEEDaS14_S15_EUlS14_E_NS1_11comp_targetILNS1_3genE5ELNS1_11target_archE942ELNS1_3gpuE9ELNS1_3repE0EEENS1_30default_config_static_selectorELNS0_4arch9wavefront6targetE1EEEvT1_
; %bb.0:
	s_load_dwordx2 s[4:5], s[0:1], 0x60
	s_load_dwordx4 s[20:23], s[0:1], 0x8
	s_load_dwordx4 s[24:27], s[0:1], 0x50
	s_load_dword s3, s[0:1], 0x78
	s_mul_i32 s8, s2, 0xe00
	s_waitcnt lgkmcnt(0)
	v_mov_b32_e32 v3, s5
	s_lshl_b64 s[6:7], s[22:23], 3
	s_add_u32 s10, s20, s6
	s_addc_u32 s11, s21, s7
	s_add_i32 s6, s3, -1
	s_mulk_i32 s3, 0xe00
	s_add_i32 s5, s3, s22
	s_sub_i32 s33, s4, s5
	s_addk_i32 s33, 0xe00
	v_mov_b32_e32 v2, s4
	s_add_u32 s4, s22, s3
	s_addc_u32 s5, s23, 0
	s_cmp_eq_u32 s2, s6
	s_load_dwordx2 s[28:29], s[26:27], 0x0
	s_cselect_b64 s[26:27], -1, 0
	s_cmp_lg_u32 s2, s6
	s_mov_b32 s9, 0
	v_cmp_lt_u64_e32 vcc, s[4:5], v[2:3]
	s_cselect_b64 s[4:5], -1, 0
	s_or_b64 s[6:7], s[4:5], vcc
	s_lshl_b64 s[30:31], s[8:9], 3
	s_add_u32 s8, s10, s30
	s_addc_u32 s9, s11, s31
	s_mov_b64 s[4:5], -1
	s_and_b64 vcc, exec, s[6:7]
	v_lshlrev_b32_e32 v18, 3, v0
	s_cbranch_vccz .LBB2668_2
; %bb.1:
	v_mov_b32_e32 v19, 0
	v_lshl_add_u64 v[2:3], s[8:9], 0, v[18:19]
	v_add_co_u32_e32 v4, vcc, 0x1000, v2
	s_mov_b64 s[4:5], 0
	s_nop 0
	v_addc_co_u32_e32 v5, vcc, 0, v3, vcc
	v_add_co_u32_e32 v6, vcc, 0x2000, v2
	s_nop 1
	v_addc_co_u32_e32 v7, vcc, 0, v3, vcc
	v_add_co_u32_e32 v8, vcc, 0x3000, v2
	s_nop 1
	v_addc_co_u32_e32 v9, vcc, 0, v3, vcc
	flat_load_dwordx2 v[10:11], v[2:3]
	flat_load_dwordx2 v[12:13], v[4:5]
	;; [unrolled: 1-line block ×4, first 2 shown]
	v_add_co_u32_e32 v4, vcc, 0x4000, v2
	s_nop 1
	v_addc_co_u32_e32 v5, vcc, 0, v3, vcc
	v_add_co_u32_e32 v6, vcc, 0x5000, v2
	s_nop 1
	v_addc_co_u32_e32 v7, vcc, 0, v3, vcc
	;; [unrolled: 3-line block ×3, first 2 shown]
	flat_load_dwordx2 v[8:9], v[4:5]
	flat_load_dwordx2 v[20:21], v[6:7]
	;; [unrolled: 1-line block ×3, first 2 shown]
	s_waitcnt vmcnt(0) lgkmcnt(0)
	ds_write2st64_b64 v18, v[10:11], v[12:13] offset1:8
	ds_write2st64_b64 v18, v[14:15], v[16:17] offset0:16 offset1:24
	ds_write2st64_b64 v18, v[8:9], v[20:21] offset0:32 offset1:40
	ds_write_b64 v18, v[22:23] offset:24576
	s_waitcnt lgkmcnt(0)
	s_barrier
.LBB2668_2:
	s_andn2_b64 vcc, exec, s[4:5]
	v_cmp_gt_u32_e64 s[4:5], s33, v0
	s_cbranch_vccnz .LBB2668_18
; %bb.3:
                                        ; implicit-def: $vgpr2_vgpr3_vgpr4_vgpr5_vgpr6_vgpr7_vgpr8_vgpr9_vgpr10_vgpr11_vgpr12_vgpr13_vgpr14_vgpr15_vgpr16_vgpr17
	s_and_saveexec_b64 s[10:11], s[4:5]
	s_cbranch_execz .LBB2668_5
; %bb.4:
	v_mov_b32_e32 v19, 0
	v_lshl_add_u64 v[2:3], s[8:9], 0, v[18:19]
	flat_load_dwordx2 v[2:3], v[2:3]
.LBB2668_5:
	s_or_b64 exec, exec, s[10:11]
	v_or_b32_e32 v1, 0x200, v0
	v_cmp_gt_u32_e32 vcc, s33, v1
	s_and_saveexec_b64 s[4:5], vcc
	s_cbranch_execz .LBB2668_7
; %bb.6:
	v_lshlrev_b32_e32 v4, 3, v1
	v_mov_b32_e32 v5, 0
	v_lshl_add_u64 v[4:5], s[8:9], 0, v[4:5]
	flat_load_dwordx2 v[4:5], v[4:5]
.LBB2668_7:
	s_or_b64 exec, exec, s[4:5]
	v_or_b32_e32 v1, 0x400, v0
	v_cmp_gt_u32_e32 vcc, s33, v1
	s_and_saveexec_b64 s[4:5], vcc
	s_cbranch_execz .LBB2668_9
; %bb.8:
	v_lshlrev_b32_e32 v6, 3, v1
	v_mov_b32_e32 v7, 0
	v_lshl_add_u64 v[6:7], s[8:9], 0, v[6:7]
	flat_load_dwordx2 v[6:7], v[6:7]
.LBB2668_9:
	;; [unrolled: 11-line block ×6, first 2 shown]
	s_or_b64 exec, exec, s[4:5]
	s_waitcnt vmcnt(0) lgkmcnt(0)
	ds_write2st64_b64 v18, v[2:3], v[4:5] offset1:8
	ds_write2st64_b64 v18, v[6:7], v[8:9] offset0:16 offset1:24
	ds_write2st64_b64 v18, v[10:11], v[12:13] offset0:32 offset1:40
	ds_write_b64 v18, v[14:15] offset:24576
	s_waitcnt lgkmcnt(0)
	s_barrier
.LBB2668_18:
	v_mul_u32_u24_e32 v1, 7, v0
	v_lshlrev_b32_e32 v32, 3, v1
	s_waitcnt lgkmcnt(0)
	ds_read2_b64 v[10:13], v32 offset1:1
	ds_read2_b64 v[6:9], v32 offset0:2 offset1:3
	ds_read2_b64 v[2:5], v32 offset0:4 offset1:5
	ds_read_b64 v[14:15], v32 offset:48
	v_cndmask_b32_e64 v16, 0, 1, s[6:7]
	v_cmp_ne_u32_e64 s[20:21], 1, v16
	s_andn2_b64 vcc, exec, s[6:7]
	s_waitcnt lgkmcnt(3)
	v_xor_b32_e32 v24, -1, v10
	v_xor_b32_e32 v23, -1, v12
	s_waitcnt lgkmcnt(2)
	v_xor_b32_e32 v22, -1, v6
	v_xor_b32_e32 v21, -1, v8
	;; [unrolled: 3-line block ×3, first 2 shown]
	s_waitcnt lgkmcnt(0)
	v_xor_b32_e32 v16, -1, v14
	s_barrier
	s_cbranch_vccnz .LBB2668_20
; %bb.19:
	v_mov_b32_e32 v19, 1
	v_and_b32_e32 v25, 1, v24
	v_and_b32_sdwa v26, v23, v19 dst_sel:BYTE_1 dst_unused:UNUSED_PAD src0_sel:DWORD src1_sel:DWORD
	v_and_b32_e32 v27, 1, v22
	v_and_b32_sdwa v30, v21, v19 dst_sel:BYTE_1 dst_unused:UNUSED_PAD src0_sel:DWORD src1_sel:DWORD
	v_or_b32_e32 v25, v25, v26
	v_or_b32_sdwa v26, v27, v30 dst_sel:WORD_1 dst_unused:UNUSED_PAD src0_sel:DWORD src1_sel:DWORD
	v_and_b32_e32 v29, 1, v20
	v_and_b32_e32 v28, 1, v17
	;; [unrolled: 1-line block ×3, first 2 shown]
	v_or_b32_sdwa v30, v25, v26 dst_sel:DWORD dst_unused:UNUSED_PAD src0_sel:WORD_0 src1_sel:DWORD
	s_load_dwordx2 s[34:35], s[0:1], 0x70
	s_cbranch_execz .LBB2668_21
	s_branch .LBB2668_22
.LBB2668_20:
                                        ; implicit-def: $vgpr19
                                        ; implicit-def: $vgpr28
                                        ; implicit-def: $vgpr29
                                        ; implicit-def: $vgpr30
	s_load_dwordx2 s[34:35], s[0:1], 0x70
.LBB2668_21:
	v_add_u32_e32 v19, 1, v1
	v_cmp_gt_u32_e32 vcc, s33, v1
	v_add_u32_e32 v25, 2, v1
	v_add_u32_e32 v26, 3, v1
	v_cndmask_b32_e64 v29, 0, 1, vcc
	v_cmp_gt_u32_e32 vcc, s33, v19
	v_add_u32_e32 v27, 4, v1
	v_add_u32_e32 v28, 5, v1
	v_cndmask_b32_e64 v19, 0, 1, vcc
	v_cmp_gt_u32_e32 vcc, s33, v25
	v_and_b32_sdwa v23, v19, v23 dst_sel:BYTE_1 dst_unused:UNUSED_PAD src0_sel:DWORD src1_sel:DWORD
	v_add_u32_e32 v30, 6, v1
	v_cndmask_b32_e64 v19, 0, 1, vcc
	v_cmp_gt_u32_e32 vcc, s33, v26
	v_and_b32_e32 v22, v19, v22
	v_and_b32_e32 v24, v29, v24
	v_cndmask_b32_e64 v19, 0, 1, vcc
	v_cmp_gt_u32_e32 vcc, s33, v27
	v_and_b32_sdwa v21, v19, v21 dst_sel:BYTE_1 dst_unused:UNUSED_PAD src0_sel:DWORD src1_sel:DWORD
	s_nop 0
	v_cndmask_b32_e64 v19, 0, 1, vcc
	v_cmp_gt_u32_e32 vcc, s33, v28
	v_and_b32_e32 v29, v19, v20
	s_nop 0
	v_cndmask_b32_e64 v19, 0, 1, vcc
	v_cmp_gt_u32_e32 vcc, s33, v30
	v_and_b32_e32 v28, v19, v17
	s_nop 0
	v_cndmask_b32_e64 v17, 0, 1, vcc
	v_and_b32_e32 v19, v17, v16
	v_or_b32_e32 v16, v24, v23
	v_or_b32_sdwa v17, v22, v21 dst_sel:WORD_1 dst_unused:UNUSED_PAD src0_sel:DWORD src1_sel:DWORD
	s_nop 0
	v_or_b32_sdwa v30, v16, v17 dst_sel:DWORD dst_unused:UNUSED_PAD src0_sel:WORD_0 src1_sel:DWORD
.LBB2668_22:
	v_and_b32_e32 v33, 0xff, v30
	v_bfe_u32 v34, v30, 8, 8
	v_bfe_u32 v35, v30, 16, 8
	v_lshrrev_b32_e32 v31, 24, v30
	v_and_b32_e32 v36, 0xff, v29
	v_add3_u32 v17, v34, v33, v35
	v_and_b32_e32 v37, 0xff, v28
	v_and_b32_e32 v16, 0xff, v19
	v_add3_u32 v17, v17, v31, v36
	v_add3_u32 v40, v17, v37, v16
	v_mbcnt_lo_u32_b32 v16, -1, 0
	v_mbcnt_hi_u32_b32 v38, -1, v16
	v_and_b32_e32 v16, 15, v38
	v_cmp_eq_u32_e64 s[16:17], 0, v16
	v_cmp_lt_u32_e64 s[14:15], 1, v16
	v_cmp_lt_u32_e64 s[12:13], 3, v16
	;; [unrolled: 1-line block ×3, first 2 shown]
	v_and_b32_e32 v16, 16, v38
	v_cmp_eq_u32_e64 s[8:9], 0, v16
	v_or_b32_e32 v16, 63, v0
	s_cmp_lg_u32 s2, 0
	v_cmp_lt_u32_e64 s[4:5], 31, v38
	v_lshrrev_b32_e32 v39, 6, v0
	v_cmp_eq_u32_e64 s[6:7], v16, v0
	s_cbranch_scc0 .LBB2668_53
; %bb.23:
	v_mov_b32_dpp v16, v40 row_shr:1 row_mask:0xf bank_mask:0xf
	v_cndmask_b32_e64 v16, v16, 0, s[16:17]
	v_add_u32_e32 v16, v16, v40
	s_nop 1
	v_mov_b32_dpp v17, v16 row_shr:2 row_mask:0xf bank_mask:0xf
	v_cndmask_b32_e64 v17, 0, v17, s[14:15]
	v_add_u32_e32 v16, v16, v17
	s_nop 1
	;; [unrolled: 4-line block ×4, first 2 shown]
	v_mov_b32_dpp v17, v16 row_bcast:15 row_mask:0xf bank_mask:0xf
	v_cndmask_b32_e64 v17, v17, 0, s[8:9]
	v_add_u32_e32 v16, v16, v17
	s_nop 1
	v_mov_b32_dpp v17, v16 row_bcast:31 row_mask:0xf bank_mask:0xf
	v_cndmask_b32_e64 v17, 0, v17, s[4:5]
	v_add_u32_e32 v16, v16, v17
	s_and_saveexec_b64 s[18:19], s[6:7]
	s_cbranch_execz .LBB2668_25
; %bb.24:
	v_lshlrev_b32_e32 v17, 2, v39
	ds_write_b32 v17, v16
.LBB2668_25:
	s_or_b64 exec, exec, s[18:19]
	v_cmp_gt_u32_e32 vcc, 8, v0
	s_waitcnt lgkmcnt(0)
	s_barrier
	s_and_saveexec_b64 s[18:19], vcc
	s_cbranch_execz .LBB2668_27
; %bb.26:
	v_lshlrev_b32_e32 v17, 2, v0
	ds_read_b32 v20, v17
	v_and_b32_e32 v21, 7, v38
	v_cmp_ne_u32_e32 vcc, 0, v21
	s_waitcnt lgkmcnt(0)
	v_mov_b32_dpp v22, v20 row_shr:1 row_mask:0xf bank_mask:0xf
	v_cndmask_b32_e32 v22, 0, v22, vcc
	v_add_u32_e32 v20, v22, v20
	v_cmp_lt_u32_e32 vcc, 1, v21
	s_nop 0
	v_mov_b32_dpp v22, v20 row_shr:2 row_mask:0xf bank_mask:0xf
	v_cndmask_b32_e32 v22, 0, v22, vcc
	v_add_u32_e32 v20, v20, v22
	v_cmp_lt_u32_e32 vcc, 3, v21
	s_nop 0
	v_mov_b32_dpp v22, v20 row_shr:4 row_mask:0xf bank_mask:0xf
	v_cndmask_b32_e32 v21, 0, v22, vcc
	v_add_u32_e32 v20, v20, v21
	ds_write_b32 v17, v20
.LBB2668_27:
	s_or_b64 exec, exec, s[18:19]
	v_cmp_gt_u32_e32 vcc, 64, v0
	v_cmp_lt_u32_e64 s[18:19], 63, v0
	s_waitcnt lgkmcnt(0)
	s_barrier
	s_waitcnt lgkmcnt(0)
                                        ; implicit-def: $vgpr41
	s_and_saveexec_b64 s[36:37], s[18:19]
	s_cbranch_execz .LBB2668_29
; %bb.28:
	v_lshl_add_u32 v17, v39, 2, -4
	ds_read_b32 v41, v17
	s_waitcnt lgkmcnt(0)
	v_add_u32_e32 v16, v41, v16
.LBB2668_29:
	s_or_b64 exec, exec, s[36:37]
	v_add_u32_e32 v17, -1, v38
	v_and_b32_e32 v20, 64, v38
	v_cmp_lt_i32_e64 s[18:19], v17, v20
	s_nop 1
	v_cndmask_b32_e64 v17, v17, v38, s[18:19]
	v_lshlrev_b32_e32 v17, 2, v17
	ds_bpermute_b32 v42, v17, v16
	v_cmp_eq_u32_e64 s[18:19], 0, v38
	s_and_saveexec_b64 s[36:37], vcc
	s_cbranch_execz .LBB2668_52
; %bb.30:
	v_mov_b32_e32 v27, 0
	ds_read_b32 v16, v27 offset:28
	s_and_saveexec_b64 s[38:39], s[18:19]
	s_cbranch_execz .LBB2668_32
; %bb.31:
	s_add_i32 s40, s2, 64
	s_mov_b32 s41, 0
	s_lshl_b64 s[40:41], s[40:41], 3
	s_add_u32 s40, s34, s40
	v_mov_b32_e32 v17, 1
	s_addc_u32 s41, s35, s41
	s_waitcnt lgkmcnt(0)
	global_store_dwordx2 v27, v[16:17], s[40:41] sc1
.LBB2668_32:
	s_or_b64 exec, exec, s[38:39]
	v_xad_u32 v20, v38, -1, s2
	v_add_u32_e32 v26, 64, v20
	v_lshl_add_u64 v[22:23], v[26:27], 3, s[34:35]
	global_load_dwordx2 v[24:25], v[22:23], off sc1
	s_waitcnt vmcnt(0)
	v_cmp_eq_u16_sdwa s[40:41], v25, v27 src0_sel:BYTE_0 src1_sel:DWORD
	s_and_saveexec_b64 s[38:39], s[40:41]
	s_cbranch_execz .LBB2668_38
; %bb.33:
	s_mov_b32 s3, 1
	s_mov_b64 s[40:41], 0
	v_mov_b32_e32 v17, 0
.LBB2668_34:                            ; =>This Loop Header: Depth=1
                                        ;     Child Loop BB2668_35 Depth 2
	s_max_u32 s42, s3, 1
.LBB2668_35:                            ;   Parent Loop BB2668_34 Depth=1
                                        ; =>  This Inner Loop Header: Depth=2
	s_add_i32 s42, s42, -1
	s_cmp_eq_u32 s42, 0
	s_sleep 1
	s_cbranch_scc0 .LBB2668_35
; %bb.36:                               ;   in Loop: Header=BB2668_34 Depth=1
	global_load_dwordx2 v[24:25], v[22:23], off sc1
	s_cmp_lt_u32 s3, 32
	s_cselect_b64 s[42:43], -1, 0
	s_cmp_lg_u64 s[42:43], 0
	s_addc_u32 s3, s3, 0
	s_waitcnt vmcnt(0)
	v_cmp_ne_u16_sdwa s[42:43], v25, v17 src0_sel:BYTE_0 src1_sel:DWORD
	s_or_b64 s[40:41], s[42:43], s[40:41]
	s_andn2_b64 exec, exec, s[40:41]
	s_cbranch_execnz .LBB2668_34
; %bb.37:
	s_or_b64 exec, exec, s[40:41]
.LBB2668_38:
	s_or_b64 exec, exec, s[38:39]
	v_and_b32_e32 v44, 63, v38
	v_mov_b32_e32 v43, 2
	v_cmp_ne_u32_e32 vcc, 63, v44
	v_cmp_eq_u16_sdwa s[38:39], v25, v43 src0_sel:BYTE_0 src1_sel:DWORD
	v_lshlrev_b64 v[22:23], v38, -1
	v_addc_co_u32_e32 v26, vcc, 0, v38, vcc
	v_and_b32_e32 v17, s39, v23
	v_lshlrev_b32_e32 v45, 2, v26
	v_or_b32_e32 v17, 0x80000000, v17
	ds_bpermute_b32 v26, v45, v24
	v_and_b32_e32 v21, s38, v22
	v_ffbl_b32_e32 v17, v17
	v_add_u32_e32 v17, 32, v17
	v_ffbl_b32_e32 v21, v21
	v_min_u32_e32 v17, v21, v17
	v_cmp_lt_u32_e32 vcc, v44, v17
	v_add_u32_e32 v47, 2, v44
	v_add_u32_e32 v49, 4, v44
	s_waitcnt lgkmcnt(0)
	v_cndmask_b32_e32 v21, 0, v26, vcc
	v_cmp_gt_u32_e32 vcc, 62, v44
	v_add_u32_e32 v21, v21, v24
	v_add_u32_e32 v51, 8, v44
	v_cndmask_b32_e64 v24, 0, 1, vcc
	v_lshlrev_b32_e32 v24, 1, v24
	v_add_lshl_u32 v46, v24, v38, 2
	ds_bpermute_b32 v24, v46, v21
	v_cmp_le_u32_e32 vcc, v47, v17
	v_add_u32_e32 v53, 16, v44
	v_add_u32_e32 v55, 32, v44
	s_waitcnt lgkmcnt(0)
	v_cndmask_b32_e32 v24, 0, v24, vcc
	v_cmp_gt_u32_e32 vcc, 60, v44
	v_add_u32_e32 v21, v21, v24
	s_nop 0
	v_cndmask_b32_e64 v24, 0, 1, vcc
	v_lshlrev_b32_e32 v24, 2, v24
	v_add_lshl_u32 v48, v24, v38, 2
	ds_bpermute_b32 v24, v48, v21
	v_cmp_le_u32_e32 vcc, v49, v17
	s_waitcnt lgkmcnt(0)
	s_nop 0
	v_cndmask_b32_e32 v24, 0, v24, vcc
	v_cmp_gt_u32_e32 vcc, 56, v44
	v_add_u32_e32 v21, v21, v24
	s_nop 0
	v_cndmask_b32_e64 v24, 0, 1, vcc
	v_lshlrev_b32_e32 v24, 3, v24
	v_add_lshl_u32 v50, v24, v38, 2
	ds_bpermute_b32 v24, v50, v21
	v_cmp_le_u32_e32 vcc, v51, v17
	s_waitcnt lgkmcnt(0)
	s_nop 0
	;; [unrolled: 11-line block ×4, first 2 shown]
	v_cndmask_b32_e32 v17, 0, v24, vcc
	v_add_u32_e32 v24, v21, v17
	v_mov_b32_e32 v21, 0
	s_branch .LBB2668_40
.LBB2668_39:                            ;   in Loop: Header=BB2668_40 Depth=1
	s_or_b64 exec, exec, s[38:39]
	v_cmp_eq_u16_sdwa s[38:39], v25, v43 src0_sel:BYTE_0 src1_sel:DWORD
	ds_bpermute_b32 v56, v45, v24
	v_subrev_u32_e32 v20, 64, v20
	v_and_b32_e32 v26, s39, v23
	v_or_b32_e32 v26, 0x80000000, v26
	v_and_b32_e32 v27, s38, v22
	v_ffbl_b32_e32 v26, v26
	v_add_u32_e32 v26, 32, v26
	v_ffbl_b32_e32 v27, v27
	v_min_u32_e32 v26, v27, v26
	v_cmp_lt_u32_e32 vcc, v44, v26
	s_waitcnt lgkmcnt(0)
	s_nop 0
	v_cndmask_b32_e32 v27, 0, v56, vcc
	v_add_u32_e32 v24, v27, v24
	ds_bpermute_b32 v27, v46, v24
	v_cmp_le_u32_e32 vcc, v47, v26
	s_waitcnt lgkmcnt(0)
	s_nop 0
	v_cndmask_b32_e32 v27, 0, v27, vcc
	v_add_u32_e32 v24, v24, v27
	ds_bpermute_b32 v27, v48, v24
	v_cmp_le_u32_e32 vcc, v49, v26
	;; [unrolled: 6-line block ×5, first 2 shown]
	s_waitcnt lgkmcnt(0)
	s_nop 0
	v_cndmask_b32_e32 v26, 0, v27, vcc
	v_add3_u32 v24, v26, v17, v24
.LBB2668_40:                            ; =>This Loop Header: Depth=1
                                        ;     Child Loop BB2668_43 Depth 2
                                        ;       Child Loop BB2668_44 Depth 3
	v_cmp_ne_u16_sdwa s[38:39], v25, v43 src0_sel:BYTE_0 src1_sel:DWORD
	s_nop 1
	v_cndmask_b32_e64 v17, 0, 1, s[38:39]
	;;#ASMSTART
	;;#ASMEND
	s_nop 0
	v_cmp_ne_u32_e32 vcc, 0, v17
	s_cmp_lg_u64 vcc, exec
	v_mov_b32_e32 v17, v24
	s_cbranch_scc1 .LBB2668_47
; %bb.41:                               ;   in Loop: Header=BB2668_40 Depth=1
	v_lshl_add_u64 v[26:27], v[20:21], 3, s[34:35]
	global_load_dwordx2 v[24:25], v[26:27], off sc1
	s_waitcnt vmcnt(0)
	v_cmp_eq_u16_sdwa s[40:41], v25, v21 src0_sel:BYTE_0 src1_sel:DWORD
	s_and_saveexec_b64 s[38:39], s[40:41]
	s_cbranch_execz .LBB2668_39
; %bb.42:                               ;   in Loop: Header=BB2668_40 Depth=1
	s_mov_b32 s3, 1
	s_mov_b64 s[40:41], 0
.LBB2668_43:                            ;   Parent Loop BB2668_40 Depth=1
                                        ; =>  This Loop Header: Depth=2
                                        ;       Child Loop BB2668_44 Depth 3
	s_max_u32 s42, s3, 1
.LBB2668_44:                            ;   Parent Loop BB2668_40 Depth=1
                                        ;     Parent Loop BB2668_43 Depth=2
                                        ; =>    This Inner Loop Header: Depth=3
	s_add_i32 s42, s42, -1
	s_cmp_eq_u32 s42, 0
	s_sleep 1
	s_cbranch_scc0 .LBB2668_44
; %bb.45:                               ;   in Loop: Header=BB2668_43 Depth=2
	global_load_dwordx2 v[24:25], v[26:27], off sc1
	s_cmp_lt_u32 s3, 32
	s_cselect_b64 s[42:43], -1, 0
	s_cmp_lg_u64 s[42:43], 0
	s_addc_u32 s3, s3, 0
	s_waitcnt vmcnt(0)
	v_cmp_ne_u16_sdwa s[42:43], v25, v21 src0_sel:BYTE_0 src1_sel:DWORD
	s_or_b64 s[40:41], s[42:43], s[40:41]
	s_andn2_b64 exec, exec, s[40:41]
	s_cbranch_execnz .LBB2668_43
; %bb.46:                               ;   in Loop: Header=BB2668_40 Depth=1
	s_or_b64 exec, exec, s[40:41]
	s_branch .LBB2668_39
.LBB2668_47:                            ;   in Loop: Header=BB2668_40 Depth=1
                                        ; implicit-def: $vgpr24
                                        ; implicit-def: $vgpr25
	s_cbranch_execz .LBB2668_40
; %bb.48:
	s_and_saveexec_b64 s[38:39], s[18:19]
	s_cbranch_execz .LBB2668_50
; %bb.49:
	s_add_i32 s2, s2, 64
	s_mov_b32 s3, 0
	s_lshl_b64 s[2:3], s[2:3], 3
	s_add_u32 s2, s34, s2
	v_add_u32_e32 v20, v17, v16
	v_mov_b32_e32 v21, 2
	s_addc_u32 s3, s35, s3
	v_mov_b32_e32 v22, 0
	global_store_dwordx2 v22, v[20:21], s[2:3] sc1
	ds_write_b64 v22, v[16:17] offset:28672
.LBB2668_50:
	s_or_b64 exec, exec, s[38:39]
	v_cmp_eq_u32_e32 vcc, 0, v0
	s_and_b64 exec, exec, vcc
	s_cbranch_execz .LBB2668_52
; %bb.51:
	v_mov_b32_e32 v16, 0
	ds_write_b32 v16, v17 offset:28
.LBB2668_52:
	s_or_b64 exec, exec, s[36:37]
	v_mov_b32_e32 v16, 0
	s_waitcnt lgkmcnt(0)
	s_barrier
	ds_read_b32 v17, v16 offset:28
	v_cndmask_b32_e64 v20, v42, v41, s[18:19]
	v_cmp_ne_u32_e32 vcc, 0, v0
	s_waitcnt lgkmcnt(0)
	s_barrier
	v_cndmask_b32_e32 v20, 0, v20, vcc
	v_add_u32_e32 v27, v17, v20
	v_add_u32_e32 v26, v27, v33
	ds_read_b64 v[16:17], v16 offset:28672
	v_add_u32_e32 v25, v26, v34
	v_add_u32_e32 v24, v25, v35
	;; [unrolled: 1-line block ×5, first 2 shown]
	s_waitcnt lgkmcnt(0)
	v_mov_b32_e32 v22, v17
	s_branch .LBB2668_63
.LBB2668_53:
                                        ; implicit-def: $vgpr22
                                        ; implicit-def: $vgpr16
                                        ; implicit-def: $vgpr20
                                        ; implicit-def: $vgpr21
                                        ; implicit-def: $vgpr23
                                        ; implicit-def: $vgpr24
                                        ; implicit-def: $vgpr25
                                        ; implicit-def: $vgpr26
                                        ; implicit-def: $vgpr27
	s_cbranch_execz .LBB2668_63
; %bb.54:
	s_nop 0
	v_mov_b32_dpp v16, v40 row_shr:1 row_mask:0xf bank_mask:0xf
	v_cndmask_b32_e64 v16, v16, 0, s[16:17]
	v_add_u32_e32 v16, v16, v40
	s_nop 1
	v_mov_b32_dpp v17, v16 row_shr:2 row_mask:0xf bank_mask:0xf
	v_cndmask_b32_e64 v17, 0, v17, s[14:15]
	v_add_u32_e32 v16, v16, v17
	;; [unrolled: 4-line block ×4, first 2 shown]
	s_nop 1
	v_mov_b32_dpp v17, v16 row_bcast:15 row_mask:0xf bank_mask:0xf
	v_cndmask_b32_e64 v17, v17, 0, s[8:9]
	v_add_u32_e32 v16, v16, v17
	s_nop 1
	v_mov_b32_dpp v17, v16 row_bcast:31 row_mask:0xf bank_mask:0xf
	v_cndmask_b32_e64 v17, 0, v17, s[4:5]
	v_add_u32_e32 v16, v16, v17
	s_and_saveexec_b64 s[2:3], s[6:7]
	s_cbranch_execz .LBB2668_56
; %bb.55:
	v_lshlrev_b32_e32 v17, 2, v39
	ds_write_b32 v17, v16
.LBB2668_56:
	s_or_b64 exec, exec, s[2:3]
	v_cmp_gt_u32_e32 vcc, 8, v0
	s_waitcnt lgkmcnt(0)
	s_barrier
	s_and_saveexec_b64 s[2:3], vcc
	s_cbranch_execz .LBB2668_58
; %bb.57:
	s_movk_i32 s4, 0xffcc
	v_mad_i32_i24 v17, v0, s4, v32
	ds_read_b32 v20, v17
	v_and_b32_e32 v21, 7, v38
	v_cmp_ne_u32_e32 vcc, 0, v21
	s_waitcnt lgkmcnt(0)
	v_mov_b32_dpp v22, v20 row_shr:1 row_mask:0xf bank_mask:0xf
	v_cndmask_b32_e32 v22, 0, v22, vcc
	v_add_u32_e32 v20, v22, v20
	v_cmp_lt_u32_e32 vcc, 1, v21
	s_nop 0
	v_mov_b32_dpp v22, v20 row_shr:2 row_mask:0xf bank_mask:0xf
	v_cndmask_b32_e32 v22, 0, v22, vcc
	v_add_u32_e32 v20, v20, v22
	v_cmp_lt_u32_e32 vcc, 3, v21
	s_nop 0
	v_mov_b32_dpp v22, v20 row_shr:4 row_mask:0xf bank_mask:0xf
	v_cndmask_b32_e32 v21, 0, v22, vcc
	v_add_u32_e32 v20, v20, v21
	ds_write_b32 v17, v20
.LBB2668_58:
	s_or_b64 exec, exec, s[2:3]
	v_cmp_lt_u32_e32 vcc, 63, v0
	v_mov_b32_e32 v17, 0
	v_mov_b32_e32 v20, 0
	s_waitcnt lgkmcnt(0)
	s_barrier
	s_and_saveexec_b64 s[2:3], vcc
	s_cbranch_execz .LBB2668_60
; %bb.59:
	v_lshl_add_u32 v20, v39, 2, -4
	ds_read_b32 v20, v20
.LBB2668_60:
	s_or_b64 exec, exec, s[2:3]
	v_add_u32_e32 v21, -1, v38
	v_and_b32_e32 v22, 64, v38
	v_cmp_lt_i32_e32 vcc, v21, v22
	s_waitcnt lgkmcnt(0)
	v_add_u32_e32 v16, v20, v16
	v_cndmask_b32_e32 v21, v21, v38, vcc
	v_lshlrev_b32_e32 v21, 2, v21
	ds_bpermute_b32 v21, v21, v16
	ds_read_b32 v16, v17 offset:28
	v_cmp_eq_u32_e32 vcc, 0, v0
	s_and_saveexec_b64 s[2:3], vcc
	s_cbranch_execz .LBB2668_62
; %bb.61:
	v_mov_b32_e32 v22, 0
	v_mov_b32_e32 v17, 2
	s_waitcnt lgkmcnt(0)
	global_store_dwordx2 v22, v[16:17], s[34:35] offset:512 sc1
.LBB2668_62:
	s_or_b64 exec, exec, s[2:3]
	v_cmp_eq_u32_e64 s[2:3], 0, v38
	v_mov_b32_e32 v22, 0
	s_waitcnt lgkmcnt(0)
	v_cndmask_b32_e64 v17, v21, v20, s[2:3]
	v_cndmask_b32_e64 v27, v17, 0, vcc
	v_add_u32_e32 v26, v27, v33
	v_add_u32_e32 v25, v26, v34
	;; [unrolled: 1-line block ×6, first 2 shown]
	s_barrier
.LBB2668_63:
	v_add_u32_e32 v1, v16, v1
	v_sub_u32_e32 v27, v27, v22
	v_and_b32_e32 v33, 1, v30
	v_sub_u32_e32 v32, v1, v27
	v_cmp_eq_u32_e32 vcc, 1, v33
	v_lshrrev_b32_e32 v17, 8, v30
	v_and_b32_e32 v17, 1, v17
	v_cndmask_b32_e32 v27, v32, v27, vcc
	v_lshlrev_b32_e32 v27, 3, v27
	ds_write_b64 v27, v[10:11]
	v_sub_u32_e32 v10, v26, v22
	v_sub_u32_e32 v11, v1, v10
	v_add_u32_e32 v11, 1, v11
	v_cmp_eq_u32_e32 vcc, 1, v17
	s_load_dwordx2 s[0:1], s[0:1], 0x38
	v_or_b32_e32 v27, 0x200, v0
	v_cndmask_b32_e32 v10, v11, v10, vcc
	v_lshlrev_b32_e32 v10, 3, v10
	ds_write_b64 v10, v[12:13]
	v_sub_u32_e32 v10, v25, v22
	v_mov_b32_e32 v12, 1
	v_sub_u32_e32 v11, v1, v10
	v_and_b32_sdwa v12, v12, v30 dst_sel:DWORD dst_unused:UNUSED_PAD src0_sel:DWORD src1_sel:WORD_1
	v_add_u32_e32 v11, 2, v11
	v_cmp_eq_u32_e32 vcc, 1, v12
	v_or_b32_e32 v26, 0x400, v0
	v_or_b32_e32 v25, 0x600, v0
	v_cndmask_b32_e32 v10, v11, v10, vcc
	v_lshlrev_b32_e32 v10, 3, v10
	ds_write_b64 v10, v[6:7]
	v_sub_u32_e32 v6, v24, v22
	v_sub_u32_e32 v7, v1, v6
	v_and_b32_e32 v10, 1, v31
	v_add_u32_e32 v7, 3, v7
	v_cmp_eq_u32_e32 vcc, 1, v10
	v_or_b32_e32 v24, 0x800, v0
	s_nop 0
	v_cndmask_b32_e32 v6, v7, v6, vcc
	v_lshlrev_b32_e32 v6, 3, v6
	ds_write_b64 v6, v[8:9]
	v_sub_u32_e32 v6, v23, v22
	v_sub_u32_e32 v7, v1, v6
	v_and_b32_e32 v8, 1, v29
	v_add_u32_e32 v7, 4, v7
	v_cmp_eq_u32_e32 vcc, 1, v8
	v_mov_b32_e32 v23, 0
	v_mov_b32_e32 v17, v23
	v_cndmask_b32_e32 v6, v7, v6, vcc
	v_lshlrev_b32_e32 v6, 3, v6
	ds_write_b64 v6, v[2:3]
	v_sub_u32_e32 v2, v21, v22
	v_sub_u32_e32 v3, v1, v2
	v_and_b32_e32 v6, 1, v28
	v_add_u32_e32 v3, 5, v3
	v_cmp_eq_u32_e32 vcc, 1, v6
	s_nop 1
	v_cndmask_b32_e32 v2, v3, v2, vcc
	v_lshlrev_b32_e32 v2, 3, v2
	ds_write_b64 v2, v[4:5]
	v_sub_u32_e32 v2, v20, v22
	v_sub_u32_e32 v1, v1, v2
	v_and_b32_e32 v3, 1, v19
	v_add_u32_e32 v1, 6, v1
	v_cmp_eq_u32_e32 vcc, 1, v3
	v_or_b32_e32 v19, 0xa00, v0
	s_nop 0
	v_cndmask_b32_e32 v1, v1, v2, vcc
	v_lshlrev_b32_e32 v1, 3, v1
	ds_write_b64 v1, v[14:15]
	v_lshl_add_u64 v[14:15], s[28:29], 0, v[16:17]
	v_lshl_add_u64 v[14:15], v[14:15], 0, v[22:23]
	s_waitcnt lgkmcnt(0)
	s_barrier
	ds_read2st64_b64 v[10:13], v18 offset1:8
	ds_read2st64_b64 v[6:9], v18 offset0:16 offset1:24
	ds_read2st64_b64 v[2:5], v18 offset0:32 offset1:40
	ds_read_b64 v[20:21], v18 offset:24576
	v_mov_b32_e32 v17, s23
	v_sub_co_u32_e32 v22, vcc, s22, v14
	v_or_b32_e32 v1, 0xc00, v0
	s_nop 0
	v_subb_co_u32_e32 v23, vcc, v17, v15, vcc
	v_lshlrev_b64 v[22:23], 3, v[22:23]
	v_lshl_add_u64 v[22:23], s[0:1], 0, v[22:23]
	v_lshl_add_u64 v[22:23], v[22:23], 0, s[30:31]
	s_and_b64 vcc, exec, s[20:21]
	v_cmp_ge_u32_e64 s[0:1], v0, v16
	s_cbranch_vccnz .LBB2668_72
; %bb.64:
	s_and_saveexec_b64 s[2:3], s[0:1]
	s_cbranch_execnz .LBB2668_91
; %bb.65:
	s_or_b64 exec, exec, s[2:3]
	v_cmp_ge_u32_e32 vcc, v27, v16
	s_and_saveexec_b64 s[0:1], vcc
	s_cbranch_execnz .LBB2668_92
.LBB2668_66:
	s_or_b64 exec, exec, s[0:1]
	v_cmp_ge_u32_e32 vcc, v26, v16
	s_and_saveexec_b64 s[0:1], vcc
	s_cbranch_execnz .LBB2668_93
.LBB2668_67:
	s_or_b64 exec, exec, s[0:1]
	v_cmp_ge_u32_e32 vcc, v25, v16
	s_and_saveexec_b64 s[0:1], vcc
	s_cbranch_execnz .LBB2668_94
.LBB2668_68:
	s_or_b64 exec, exec, s[0:1]
	v_cmp_ge_u32_e32 vcc, v24, v16
	s_and_saveexec_b64 s[0:1], vcc
	s_cbranch_execnz .LBB2668_95
.LBB2668_69:
	s_or_b64 exec, exec, s[0:1]
	v_cmp_ge_u32_e32 vcc, v19, v16
	s_and_saveexec_b64 s[0:1], vcc
	s_cbranch_execz .LBB2668_71
.LBB2668_70:
	v_lshlrev_b32_e32 v17, 3, v19
	v_readfirstlane_b32 s2, v22
	v_readfirstlane_b32 s3, v23
	s_waitcnt lgkmcnt(1)
	s_nop 3
	global_store_dwordx2 v17, v[4:5], s[2:3]
.LBB2668_71:
	s_or_b64 exec, exec, s[0:1]
	v_cmp_ge_u32_e64 s[0:1], v1, v16
	s_branch .LBB2668_86
.LBB2668_72:
	s_mov_b64 s[0:1], 0
	s_cbranch_execz .LBB2668_86
; %bb.73:
	v_cmp_gt_u32_e32 vcc, s33, v0
	v_cmp_ge_u32_e64 s[0:1], v0, v16
	s_and_b64 s[2:3], vcc, s[0:1]
	s_and_saveexec_b64 s[0:1], s[2:3]
	s_cbranch_execz .LBB2668_75
; %bb.74:
	v_readfirstlane_b32 s2, v22
	v_readfirstlane_b32 s3, v23
	s_waitcnt lgkmcnt(3)
	s_nop 3
	global_store_dwordx2 v18, v[10:11], s[2:3]
.LBB2668_75:
	s_or_b64 exec, exec, s[0:1]
	v_cmp_gt_u32_e32 vcc, s33, v27
	v_cmp_ge_u32_e64 s[0:1], v27, v16
	s_and_b64 s[2:3], vcc, s[0:1]
	s_and_saveexec_b64 s[0:1], s[2:3]
	s_cbranch_execz .LBB2668_77
; %bb.76:
	s_waitcnt lgkmcnt(3)
	v_lshlrev_b32_e32 v10, 3, v27
	v_readfirstlane_b32 s2, v22
	v_readfirstlane_b32 s3, v23
	s_nop 4
	global_store_dwordx2 v10, v[12:13], s[2:3]
.LBB2668_77:
	s_or_b64 exec, exec, s[0:1]
	v_cmp_gt_u32_e32 vcc, s33, v26
	v_cmp_ge_u32_e64 s[0:1], v26, v16
	s_and_b64 s[2:3], vcc, s[0:1]
	s_and_saveexec_b64 s[0:1], s[2:3]
	s_cbranch_execz .LBB2668_79
; %bb.78:
	s_waitcnt lgkmcnt(3)
	v_lshlrev_b32_e32 v10, 3, v26
	v_readfirstlane_b32 s2, v22
	v_readfirstlane_b32 s3, v23
	s_waitcnt lgkmcnt(2)
	s_nop 3
	global_store_dwordx2 v10, v[6:7], s[2:3]
.LBB2668_79:
	s_or_b64 exec, exec, s[0:1]
	v_cmp_gt_u32_e32 vcc, s33, v25
	v_cmp_ge_u32_e64 s[0:1], v25, v16
	s_and_b64 s[2:3], vcc, s[0:1]
	s_and_saveexec_b64 s[0:1], s[2:3]
	s_cbranch_execz .LBB2668_81
; %bb.80:
	s_waitcnt lgkmcnt(2)
	v_lshlrev_b32_e32 v6, 3, v25
	v_readfirstlane_b32 s2, v22
	v_readfirstlane_b32 s3, v23
	s_nop 4
	global_store_dwordx2 v6, v[8:9], s[2:3]
.LBB2668_81:
	s_or_b64 exec, exec, s[0:1]
	v_cmp_gt_u32_e32 vcc, s33, v24
	v_cmp_ge_u32_e64 s[0:1], v24, v16
	s_and_b64 s[2:3], vcc, s[0:1]
	s_and_saveexec_b64 s[0:1], s[2:3]
	s_cbranch_execz .LBB2668_83
; %bb.82:
	s_waitcnt lgkmcnt(2)
	v_lshlrev_b32_e32 v6, 3, v24
	v_readfirstlane_b32 s2, v22
	v_readfirstlane_b32 s3, v23
	s_waitcnt lgkmcnt(1)
	s_nop 3
	global_store_dwordx2 v6, v[2:3], s[2:3]
.LBB2668_83:
	s_or_b64 exec, exec, s[0:1]
	v_cmp_gt_u32_e32 vcc, s33, v19
	v_cmp_ge_u32_e64 s[0:1], v19, v16
	s_and_b64 s[2:3], vcc, s[0:1]
	s_and_saveexec_b64 s[0:1], s[2:3]
	s_cbranch_execz .LBB2668_85
; %bb.84:
	s_waitcnt lgkmcnt(1)
	v_lshlrev_b32_e32 v2, 3, v19
	v_readfirstlane_b32 s2, v22
	v_readfirstlane_b32 s3, v23
	s_nop 4
	global_store_dwordx2 v2, v[4:5], s[2:3]
.LBB2668_85:
	s_or_b64 exec, exec, s[0:1]
	v_cmp_gt_u32_e32 vcc, s33, v1
	v_cmp_ge_u32_e64 s[0:1], v1, v16
	s_and_b64 s[0:1], vcc, s[0:1]
.LBB2668_86:
	s_and_saveexec_b64 s[2:3], s[0:1]
	s_cbranch_execz .LBB2668_88
; %bb.87:
	v_lshlrev_b32_e32 v1, 3, v1
	v_readfirstlane_b32 s0, v22
	v_readfirstlane_b32 s1, v23
	s_waitcnt lgkmcnt(0)
	s_nop 3
	global_store_dwordx2 v1, v[20:21], s[0:1]
.LBB2668_88:
	s_or_b64 exec, exec, s[2:3]
	v_cmp_eq_u32_e32 vcc, 0, v0
	s_and_b64 s[0:1], vcc, s[26:27]
	s_and_saveexec_b64 s[2:3], s[0:1]
	s_cbranch_execz .LBB2668_90
; %bb.89:
	v_mov_b32_e32 v0, 0
	global_store_dwordx2 v0, v[14:15], s[24:25]
.LBB2668_90:
	s_endpgm
.LBB2668_91:
	v_readfirstlane_b32 s0, v22
	v_readfirstlane_b32 s1, v23
	s_waitcnt lgkmcnt(3)
	s_nop 3
	global_store_dwordx2 v18, v[10:11], s[0:1]
	s_or_b64 exec, exec, s[2:3]
	v_cmp_ge_u32_e32 vcc, v27, v16
	s_and_saveexec_b64 s[0:1], vcc
	s_cbranch_execz .LBB2668_66
.LBB2668_92:
	v_lshlrev_b32_e32 v17, 3, v27
	v_readfirstlane_b32 s2, v22
	v_readfirstlane_b32 s3, v23
	s_waitcnt lgkmcnt(3)
	s_nop 3
	global_store_dwordx2 v17, v[12:13], s[2:3]
	s_or_b64 exec, exec, s[0:1]
	v_cmp_ge_u32_e32 vcc, v26, v16
	s_and_saveexec_b64 s[0:1], vcc
	s_cbranch_execz .LBB2668_67
.LBB2668_93:
	v_lshlrev_b32_e32 v17, 3, v26
	v_readfirstlane_b32 s2, v22
	v_readfirstlane_b32 s3, v23
	s_waitcnt lgkmcnt(2)
	s_nop 3
	global_store_dwordx2 v17, v[6:7], s[2:3]
	s_or_b64 exec, exec, s[0:1]
	v_cmp_ge_u32_e32 vcc, v25, v16
	s_and_saveexec_b64 s[0:1], vcc
	s_cbranch_execz .LBB2668_68
.LBB2668_94:
	v_lshlrev_b32_e32 v17, 3, v25
	v_readfirstlane_b32 s2, v22
	v_readfirstlane_b32 s3, v23
	s_waitcnt lgkmcnt(2)
	s_nop 3
	global_store_dwordx2 v17, v[8:9], s[2:3]
	s_or_b64 exec, exec, s[0:1]
	v_cmp_ge_u32_e32 vcc, v24, v16
	s_and_saveexec_b64 s[0:1], vcc
	s_cbranch_execz .LBB2668_69
.LBB2668_95:
	v_lshlrev_b32_e32 v17, 3, v24
	v_readfirstlane_b32 s2, v22
	v_readfirstlane_b32 s3, v23
	s_waitcnt lgkmcnt(1)
	s_nop 3
	global_store_dwordx2 v17, v[2:3], s[2:3]
	s_or_b64 exec, exec, s[0:1]
	v_cmp_ge_u32_e32 vcc, v19, v16
	s_and_saveexec_b64 s[0:1], vcc
	s_cbranch_execnz .LBB2668_70
	s_branch .LBB2668_71
	.section	.rodata,"a",@progbits
	.p2align	6, 0x0
	.amdhsa_kernel _ZN7rocprim17ROCPRIM_400000_NS6detail17trampoline_kernelINS0_14default_configENS1_25partition_config_selectorILNS1_17partition_subalgoE0ExNS0_10empty_typeEbEEZZNS1_14partition_implILS5_0ELb0ES3_jN6thrust23THRUST_200600_302600_NS6detail15normal_iteratorINSA_10device_ptrIxEEEEPS6_SG_NS0_5tupleIJNSA_16discard_iteratorINSA_11use_defaultEEESF_EEENSH_IJSG_SG_EEES6_PlJ7is_evenIxEEEE10hipError_tPvRmT3_T4_T5_T6_T7_T9_mT8_P12ihipStream_tbDpT10_ENKUlT_T0_E_clISt17integral_constantIbLb1EES18_IbLb0EEEEDaS14_S15_EUlS14_E_NS1_11comp_targetILNS1_3genE5ELNS1_11target_archE942ELNS1_3gpuE9ELNS1_3repE0EEENS1_30default_config_static_selectorELNS0_4arch9wavefront6targetE1EEEvT1_
		.amdhsa_group_segment_fixed_size 28680
		.amdhsa_private_segment_fixed_size 0
		.amdhsa_kernarg_size 128
		.amdhsa_user_sgpr_count 2
		.amdhsa_user_sgpr_dispatch_ptr 0
		.amdhsa_user_sgpr_queue_ptr 0
		.amdhsa_user_sgpr_kernarg_segment_ptr 1
		.amdhsa_user_sgpr_dispatch_id 0
		.amdhsa_user_sgpr_kernarg_preload_length 0
		.amdhsa_user_sgpr_kernarg_preload_offset 0
		.amdhsa_user_sgpr_private_segment_size 0
		.amdhsa_uses_dynamic_stack 0
		.amdhsa_enable_private_segment 0
		.amdhsa_system_sgpr_workgroup_id_x 1
		.amdhsa_system_sgpr_workgroup_id_y 0
		.amdhsa_system_sgpr_workgroup_id_z 0
		.amdhsa_system_sgpr_workgroup_info 0
		.amdhsa_system_vgpr_workitem_id 0
		.amdhsa_next_free_vgpr 57
		.amdhsa_next_free_sgpr 44
		.amdhsa_accum_offset 60
		.amdhsa_reserve_vcc 1
		.amdhsa_float_round_mode_32 0
		.amdhsa_float_round_mode_16_64 0
		.amdhsa_float_denorm_mode_32 3
		.amdhsa_float_denorm_mode_16_64 3
		.amdhsa_dx10_clamp 1
		.amdhsa_ieee_mode 1
		.amdhsa_fp16_overflow 0
		.amdhsa_tg_split 0
		.amdhsa_exception_fp_ieee_invalid_op 0
		.amdhsa_exception_fp_denorm_src 0
		.amdhsa_exception_fp_ieee_div_zero 0
		.amdhsa_exception_fp_ieee_overflow 0
		.amdhsa_exception_fp_ieee_underflow 0
		.amdhsa_exception_fp_ieee_inexact 0
		.amdhsa_exception_int_div_zero 0
	.end_amdhsa_kernel
	.section	.text._ZN7rocprim17ROCPRIM_400000_NS6detail17trampoline_kernelINS0_14default_configENS1_25partition_config_selectorILNS1_17partition_subalgoE0ExNS0_10empty_typeEbEEZZNS1_14partition_implILS5_0ELb0ES3_jN6thrust23THRUST_200600_302600_NS6detail15normal_iteratorINSA_10device_ptrIxEEEEPS6_SG_NS0_5tupleIJNSA_16discard_iteratorINSA_11use_defaultEEESF_EEENSH_IJSG_SG_EEES6_PlJ7is_evenIxEEEE10hipError_tPvRmT3_T4_T5_T6_T7_T9_mT8_P12ihipStream_tbDpT10_ENKUlT_T0_E_clISt17integral_constantIbLb1EES18_IbLb0EEEEDaS14_S15_EUlS14_E_NS1_11comp_targetILNS1_3genE5ELNS1_11target_archE942ELNS1_3gpuE9ELNS1_3repE0EEENS1_30default_config_static_selectorELNS0_4arch9wavefront6targetE1EEEvT1_,"axG",@progbits,_ZN7rocprim17ROCPRIM_400000_NS6detail17trampoline_kernelINS0_14default_configENS1_25partition_config_selectorILNS1_17partition_subalgoE0ExNS0_10empty_typeEbEEZZNS1_14partition_implILS5_0ELb0ES3_jN6thrust23THRUST_200600_302600_NS6detail15normal_iteratorINSA_10device_ptrIxEEEEPS6_SG_NS0_5tupleIJNSA_16discard_iteratorINSA_11use_defaultEEESF_EEENSH_IJSG_SG_EEES6_PlJ7is_evenIxEEEE10hipError_tPvRmT3_T4_T5_T6_T7_T9_mT8_P12ihipStream_tbDpT10_ENKUlT_T0_E_clISt17integral_constantIbLb1EES18_IbLb0EEEEDaS14_S15_EUlS14_E_NS1_11comp_targetILNS1_3genE5ELNS1_11target_archE942ELNS1_3gpuE9ELNS1_3repE0EEENS1_30default_config_static_selectorELNS0_4arch9wavefront6targetE1EEEvT1_,comdat
.Lfunc_end2668:
	.size	_ZN7rocprim17ROCPRIM_400000_NS6detail17trampoline_kernelINS0_14default_configENS1_25partition_config_selectorILNS1_17partition_subalgoE0ExNS0_10empty_typeEbEEZZNS1_14partition_implILS5_0ELb0ES3_jN6thrust23THRUST_200600_302600_NS6detail15normal_iteratorINSA_10device_ptrIxEEEEPS6_SG_NS0_5tupleIJNSA_16discard_iteratorINSA_11use_defaultEEESF_EEENSH_IJSG_SG_EEES6_PlJ7is_evenIxEEEE10hipError_tPvRmT3_T4_T5_T6_T7_T9_mT8_P12ihipStream_tbDpT10_ENKUlT_T0_E_clISt17integral_constantIbLb1EES18_IbLb0EEEEDaS14_S15_EUlS14_E_NS1_11comp_targetILNS1_3genE5ELNS1_11target_archE942ELNS1_3gpuE9ELNS1_3repE0EEENS1_30default_config_static_selectorELNS0_4arch9wavefront6targetE1EEEvT1_, .Lfunc_end2668-_ZN7rocprim17ROCPRIM_400000_NS6detail17trampoline_kernelINS0_14default_configENS1_25partition_config_selectorILNS1_17partition_subalgoE0ExNS0_10empty_typeEbEEZZNS1_14partition_implILS5_0ELb0ES3_jN6thrust23THRUST_200600_302600_NS6detail15normal_iteratorINSA_10device_ptrIxEEEEPS6_SG_NS0_5tupleIJNSA_16discard_iteratorINSA_11use_defaultEEESF_EEENSH_IJSG_SG_EEES6_PlJ7is_evenIxEEEE10hipError_tPvRmT3_T4_T5_T6_T7_T9_mT8_P12ihipStream_tbDpT10_ENKUlT_T0_E_clISt17integral_constantIbLb1EES18_IbLb0EEEEDaS14_S15_EUlS14_E_NS1_11comp_targetILNS1_3genE5ELNS1_11target_archE942ELNS1_3gpuE9ELNS1_3repE0EEENS1_30default_config_static_selectorELNS0_4arch9wavefront6targetE1EEEvT1_
                                        ; -- End function
	.section	.AMDGPU.csdata,"",@progbits
; Kernel info:
; codeLenInByte = 4580
; NumSgprs: 50
; NumVgprs: 57
; NumAgprs: 0
; TotalNumVgprs: 57
; ScratchSize: 0
; MemoryBound: 0
; FloatMode: 240
; IeeeMode: 1
; LDSByteSize: 28680 bytes/workgroup (compile time only)
; SGPRBlocks: 6
; VGPRBlocks: 7
; NumSGPRsForWavesPerEU: 50
; NumVGPRsForWavesPerEU: 57
; AccumOffset: 60
; Occupancy: 4
; WaveLimiterHint : 1
; COMPUTE_PGM_RSRC2:SCRATCH_EN: 0
; COMPUTE_PGM_RSRC2:USER_SGPR: 2
; COMPUTE_PGM_RSRC2:TRAP_HANDLER: 0
; COMPUTE_PGM_RSRC2:TGID_X_EN: 1
; COMPUTE_PGM_RSRC2:TGID_Y_EN: 0
; COMPUTE_PGM_RSRC2:TGID_Z_EN: 0
; COMPUTE_PGM_RSRC2:TIDIG_COMP_CNT: 0
; COMPUTE_PGM_RSRC3_GFX90A:ACCUM_OFFSET: 14
; COMPUTE_PGM_RSRC3_GFX90A:TG_SPLIT: 0
	.section	.text._ZN7rocprim17ROCPRIM_400000_NS6detail17trampoline_kernelINS0_14default_configENS1_25partition_config_selectorILNS1_17partition_subalgoE0ExNS0_10empty_typeEbEEZZNS1_14partition_implILS5_0ELb0ES3_jN6thrust23THRUST_200600_302600_NS6detail15normal_iteratorINSA_10device_ptrIxEEEEPS6_SG_NS0_5tupleIJNSA_16discard_iteratorINSA_11use_defaultEEESF_EEENSH_IJSG_SG_EEES6_PlJ7is_evenIxEEEE10hipError_tPvRmT3_T4_T5_T6_T7_T9_mT8_P12ihipStream_tbDpT10_ENKUlT_T0_E_clISt17integral_constantIbLb1EES18_IbLb0EEEEDaS14_S15_EUlS14_E_NS1_11comp_targetILNS1_3genE4ELNS1_11target_archE910ELNS1_3gpuE8ELNS1_3repE0EEENS1_30default_config_static_selectorELNS0_4arch9wavefront6targetE1EEEvT1_,"axG",@progbits,_ZN7rocprim17ROCPRIM_400000_NS6detail17trampoline_kernelINS0_14default_configENS1_25partition_config_selectorILNS1_17partition_subalgoE0ExNS0_10empty_typeEbEEZZNS1_14partition_implILS5_0ELb0ES3_jN6thrust23THRUST_200600_302600_NS6detail15normal_iteratorINSA_10device_ptrIxEEEEPS6_SG_NS0_5tupleIJNSA_16discard_iteratorINSA_11use_defaultEEESF_EEENSH_IJSG_SG_EEES6_PlJ7is_evenIxEEEE10hipError_tPvRmT3_T4_T5_T6_T7_T9_mT8_P12ihipStream_tbDpT10_ENKUlT_T0_E_clISt17integral_constantIbLb1EES18_IbLb0EEEEDaS14_S15_EUlS14_E_NS1_11comp_targetILNS1_3genE4ELNS1_11target_archE910ELNS1_3gpuE8ELNS1_3repE0EEENS1_30default_config_static_selectorELNS0_4arch9wavefront6targetE1EEEvT1_,comdat
	.protected	_ZN7rocprim17ROCPRIM_400000_NS6detail17trampoline_kernelINS0_14default_configENS1_25partition_config_selectorILNS1_17partition_subalgoE0ExNS0_10empty_typeEbEEZZNS1_14partition_implILS5_0ELb0ES3_jN6thrust23THRUST_200600_302600_NS6detail15normal_iteratorINSA_10device_ptrIxEEEEPS6_SG_NS0_5tupleIJNSA_16discard_iteratorINSA_11use_defaultEEESF_EEENSH_IJSG_SG_EEES6_PlJ7is_evenIxEEEE10hipError_tPvRmT3_T4_T5_T6_T7_T9_mT8_P12ihipStream_tbDpT10_ENKUlT_T0_E_clISt17integral_constantIbLb1EES18_IbLb0EEEEDaS14_S15_EUlS14_E_NS1_11comp_targetILNS1_3genE4ELNS1_11target_archE910ELNS1_3gpuE8ELNS1_3repE0EEENS1_30default_config_static_selectorELNS0_4arch9wavefront6targetE1EEEvT1_ ; -- Begin function _ZN7rocprim17ROCPRIM_400000_NS6detail17trampoline_kernelINS0_14default_configENS1_25partition_config_selectorILNS1_17partition_subalgoE0ExNS0_10empty_typeEbEEZZNS1_14partition_implILS5_0ELb0ES3_jN6thrust23THRUST_200600_302600_NS6detail15normal_iteratorINSA_10device_ptrIxEEEEPS6_SG_NS0_5tupleIJNSA_16discard_iteratorINSA_11use_defaultEEESF_EEENSH_IJSG_SG_EEES6_PlJ7is_evenIxEEEE10hipError_tPvRmT3_T4_T5_T6_T7_T9_mT8_P12ihipStream_tbDpT10_ENKUlT_T0_E_clISt17integral_constantIbLb1EES18_IbLb0EEEEDaS14_S15_EUlS14_E_NS1_11comp_targetILNS1_3genE4ELNS1_11target_archE910ELNS1_3gpuE8ELNS1_3repE0EEENS1_30default_config_static_selectorELNS0_4arch9wavefront6targetE1EEEvT1_
	.globl	_ZN7rocprim17ROCPRIM_400000_NS6detail17trampoline_kernelINS0_14default_configENS1_25partition_config_selectorILNS1_17partition_subalgoE0ExNS0_10empty_typeEbEEZZNS1_14partition_implILS5_0ELb0ES3_jN6thrust23THRUST_200600_302600_NS6detail15normal_iteratorINSA_10device_ptrIxEEEEPS6_SG_NS0_5tupleIJNSA_16discard_iteratorINSA_11use_defaultEEESF_EEENSH_IJSG_SG_EEES6_PlJ7is_evenIxEEEE10hipError_tPvRmT3_T4_T5_T6_T7_T9_mT8_P12ihipStream_tbDpT10_ENKUlT_T0_E_clISt17integral_constantIbLb1EES18_IbLb0EEEEDaS14_S15_EUlS14_E_NS1_11comp_targetILNS1_3genE4ELNS1_11target_archE910ELNS1_3gpuE8ELNS1_3repE0EEENS1_30default_config_static_selectorELNS0_4arch9wavefront6targetE1EEEvT1_
	.p2align	8
	.type	_ZN7rocprim17ROCPRIM_400000_NS6detail17trampoline_kernelINS0_14default_configENS1_25partition_config_selectorILNS1_17partition_subalgoE0ExNS0_10empty_typeEbEEZZNS1_14partition_implILS5_0ELb0ES3_jN6thrust23THRUST_200600_302600_NS6detail15normal_iteratorINSA_10device_ptrIxEEEEPS6_SG_NS0_5tupleIJNSA_16discard_iteratorINSA_11use_defaultEEESF_EEENSH_IJSG_SG_EEES6_PlJ7is_evenIxEEEE10hipError_tPvRmT3_T4_T5_T6_T7_T9_mT8_P12ihipStream_tbDpT10_ENKUlT_T0_E_clISt17integral_constantIbLb1EES18_IbLb0EEEEDaS14_S15_EUlS14_E_NS1_11comp_targetILNS1_3genE4ELNS1_11target_archE910ELNS1_3gpuE8ELNS1_3repE0EEENS1_30default_config_static_selectorELNS0_4arch9wavefront6targetE1EEEvT1_,@function
_ZN7rocprim17ROCPRIM_400000_NS6detail17trampoline_kernelINS0_14default_configENS1_25partition_config_selectorILNS1_17partition_subalgoE0ExNS0_10empty_typeEbEEZZNS1_14partition_implILS5_0ELb0ES3_jN6thrust23THRUST_200600_302600_NS6detail15normal_iteratorINSA_10device_ptrIxEEEEPS6_SG_NS0_5tupleIJNSA_16discard_iteratorINSA_11use_defaultEEESF_EEENSH_IJSG_SG_EEES6_PlJ7is_evenIxEEEE10hipError_tPvRmT3_T4_T5_T6_T7_T9_mT8_P12ihipStream_tbDpT10_ENKUlT_T0_E_clISt17integral_constantIbLb1EES18_IbLb0EEEEDaS14_S15_EUlS14_E_NS1_11comp_targetILNS1_3genE4ELNS1_11target_archE910ELNS1_3gpuE8ELNS1_3repE0EEENS1_30default_config_static_selectorELNS0_4arch9wavefront6targetE1EEEvT1_: ; @_ZN7rocprim17ROCPRIM_400000_NS6detail17trampoline_kernelINS0_14default_configENS1_25partition_config_selectorILNS1_17partition_subalgoE0ExNS0_10empty_typeEbEEZZNS1_14partition_implILS5_0ELb0ES3_jN6thrust23THRUST_200600_302600_NS6detail15normal_iteratorINSA_10device_ptrIxEEEEPS6_SG_NS0_5tupleIJNSA_16discard_iteratorINSA_11use_defaultEEESF_EEENSH_IJSG_SG_EEES6_PlJ7is_evenIxEEEE10hipError_tPvRmT3_T4_T5_T6_T7_T9_mT8_P12ihipStream_tbDpT10_ENKUlT_T0_E_clISt17integral_constantIbLb1EES18_IbLb0EEEEDaS14_S15_EUlS14_E_NS1_11comp_targetILNS1_3genE4ELNS1_11target_archE910ELNS1_3gpuE8ELNS1_3repE0EEENS1_30default_config_static_selectorELNS0_4arch9wavefront6targetE1EEEvT1_
; %bb.0:
	.section	.rodata,"a",@progbits
	.p2align	6, 0x0
	.amdhsa_kernel _ZN7rocprim17ROCPRIM_400000_NS6detail17trampoline_kernelINS0_14default_configENS1_25partition_config_selectorILNS1_17partition_subalgoE0ExNS0_10empty_typeEbEEZZNS1_14partition_implILS5_0ELb0ES3_jN6thrust23THRUST_200600_302600_NS6detail15normal_iteratorINSA_10device_ptrIxEEEEPS6_SG_NS0_5tupleIJNSA_16discard_iteratorINSA_11use_defaultEEESF_EEENSH_IJSG_SG_EEES6_PlJ7is_evenIxEEEE10hipError_tPvRmT3_T4_T5_T6_T7_T9_mT8_P12ihipStream_tbDpT10_ENKUlT_T0_E_clISt17integral_constantIbLb1EES18_IbLb0EEEEDaS14_S15_EUlS14_E_NS1_11comp_targetILNS1_3genE4ELNS1_11target_archE910ELNS1_3gpuE8ELNS1_3repE0EEENS1_30default_config_static_selectorELNS0_4arch9wavefront6targetE1EEEvT1_
		.amdhsa_group_segment_fixed_size 0
		.amdhsa_private_segment_fixed_size 0
		.amdhsa_kernarg_size 128
		.amdhsa_user_sgpr_count 2
		.amdhsa_user_sgpr_dispatch_ptr 0
		.amdhsa_user_sgpr_queue_ptr 0
		.amdhsa_user_sgpr_kernarg_segment_ptr 1
		.amdhsa_user_sgpr_dispatch_id 0
		.amdhsa_user_sgpr_kernarg_preload_length 0
		.amdhsa_user_sgpr_kernarg_preload_offset 0
		.amdhsa_user_sgpr_private_segment_size 0
		.amdhsa_uses_dynamic_stack 0
		.amdhsa_enable_private_segment 0
		.amdhsa_system_sgpr_workgroup_id_x 1
		.amdhsa_system_sgpr_workgroup_id_y 0
		.amdhsa_system_sgpr_workgroup_id_z 0
		.amdhsa_system_sgpr_workgroup_info 0
		.amdhsa_system_vgpr_workitem_id 0
		.amdhsa_next_free_vgpr 1
		.amdhsa_next_free_sgpr 0
		.amdhsa_accum_offset 4
		.amdhsa_reserve_vcc 0
		.amdhsa_float_round_mode_32 0
		.amdhsa_float_round_mode_16_64 0
		.amdhsa_float_denorm_mode_32 3
		.amdhsa_float_denorm_mode_16_64 3
		.amdhsa_dx10_clamp 1
		.amdhsa_ieee_mode 1
		.amdhsa_fp16_overflow 0
		.amdhsa_tg_split 0
		.amdhsa_exception_fp_ieee_invalid_op 0
		.amdhsa_exception_fp_denorm_src 0
		.amdhsa_exception_fp_ieee_div_zero 0
		.amdhsa_exception_fp_ieee_overflow 0
		.amdhsa_exception_fp_ieee_underflow 0
		.amdhsa_exception_fp_ieee_inexact 0
		.amdhsa_exception_int_div_zero 0
	.end_amdhsa_kernel
	.section	.text._ZN7rocprim17ROCPRIM_400000_NS6detail17trampoline_kernelINS0_14default_configENS1_25partition_config_selectorILNS1_17partition_subalgoE0ExNS0_10empty_typeEbEEZZNS1_14partition_implILS5_0ELb0ES3_jN6thrust23THRUST_200600_302600_NS6detail15normal_iteratorINSA_10device_ptrIxEEEEPS6_SG_NS0_5tupleIJNSA_16discard_iteratorINSA_11use_defaultEEESF_EEENSH_IJSG_SG_EEES6_PlJ7is_evenIxEEEE10hipError_tPvRmT3_T4_T5_T6_T7_T9_mT8_P12ihipStream_tbDpT10_ENKUlT_T0_E_clISt17integral_constantIbLb1EES18_IbLb0EEEEDaS14_S15_EUlS14_E_NS1_11comp_targetILNS1_3genE4ELNS1_11target_archE910ELNS1_3gpuE8ELNS1_3repE0EEENS1_30default_config_static_selectorELNS0_4arch9wavefront6targetE1EEEvT1_,"axG",@progbits,_ZN7rocprim17ROCPRIM_400000_NS6detail17trampoline_kernelINS0_14default_configENS1_25partition_config_selectorILNS1_17partition_subalgoE0ExNS0_10empty_typeEbEEZZNS1_14partition_implILS5_0ELb0ES3_jN6thrust23THRUST_200600_302600_NS6detail15normal_iteratorINSA_10device_ptrIxEEEEPS6_SG_NS0_5tupleIJNSA_16discard_iteratorINSA_11use_defaultEEESF_EEENSH_IJSG_SG_EEES6_PlJ7is_evenIxEEEE10hipError_tPvRmT3_T4_T5_T6_T7_T9_mT8_P12ihipStream_tbDpT10_ENKUlT_T0_E_clISt17integral_constantIbLb1EES18_IbLb0EEEEDaS14_S15_EUlS14_E_NS1_11comp_targetILNS1_3genE4ELNS1_11target_archE910ELNS1_3gpuE8ELNS1_3repE0EEENS1_30default_config_static_selectorELNS0_4arch9wavefront6targetE1EEEvT1_,comdat
.Lfunc_end2669:
	.size	_ZN7rocprim17ROCPRIM_400000_NS6detail17trampoline_kernelINS0_14default_configENS1_25partition_config_selectorILNS1_17partition_subalgoE0ExNS0_10empty_typeEbEEZZNS1_14partition_implILS5_0ELb0ES3_jN6thrust23THRUST_200600_302600_NS6detail15normal_iteratorINSA_10device_ptrIxEEEEPS6_SG_NS0_5tupleIJNSA_16discard_iteratorINSA_11use_defaultEEESF_EEENSH_IJSG_SG_EEES6_PlJ7is_evenIxEEEE10hipError_tPvRmT3_T4_T5_T6_T7_T9_mT8_P12ihipStream_tbDpT10_ENKUlT_T0_E_clISt17integral_constantIbLb1EES18_IbLb0EEEEDaS14_S15_EUlS14_E_NS1_11comp_targetILNS1_3genE4ELNS1_11target_archE910ELNS1_3gpuE8ELNS1_3repE0EEENS1_30default_config_static_selectorELNS0_4arch9wavefront6targetE1EEEvT1_, .Lfunc_end2669-_ZN7rocprim17ROCPRIM_400000_NS6detail17trampoline_kernelINS0_14default_configENS1_25partition_config_selectorILNS1_17partition_subalgoE0ExNS0_10empty_typeEbEEZZNS1_14partition_implILS5_0ELb0ES3_jN6thrust23THRUST_200600_302600_NS6detail15normal_iteratorINSA_10device_ptrIxEEEEPS6_SG_NS0_5tupleIJNSA_16discard_iteratorINSA_11use_defaultEEESF_EEENSH_IJSG_SG_EEES6_PlJ7is_evenIxEEEE10hipError_tPvRmT3_T4_T5_T6_T7_T9_mT8_P12ihipStream_tbDpT10_ENKUlT_T0_E_clISt17integral_constantIbLb1EES18_IbLb0EEEEDaS14_S15_EUlS14_E_NS1_11comp_targetILNS1_3genE4ELNS1_11target_archE910ELNS1_3gpuE8ELNS1_3repE0EEENS1_30default_config_static_selectorELNS0_4arch9wavefront6targetE1EEEvT1_
                                        ; -- End function
	.section	.AMDGPU.csdata,"",@progbits
; Kernel info:
; codeLenInByte = 0
; NumSgprs: 6
; NumVgprs: 0
; NumAgprs: 0
; TotalNumVgprs: 0
; ScratchSize: 0
; MemoryBound: 0
; FloatMode: 240
; IeeeMode: 1
; LDSByteSize: 0 bytes/workgroup (compile time only)
; SGPRBlocks: 0
; VGPRBlocks: 0
; NumSGPRsForWavesPerEU: 6
; NumVGPRsForWavesPerEU: 1
; AccumOffset: 4
; Occupancy: 8
; WaveLimiterHint : 0
; COMPUTE_PGM_RSRC2:SCRATCH_EN: 0
; COMPUTE_PGM_RSRC2:USER_SGPR: 2
; COMPUTE_PGM_RSRC2:TRAP_HANDLER: 0
; COMPUTE_PGM_RSRC2:TGID_X_EN: 1
; COMPUTE_PGM_RSRC2:TGID_Y_EN: 0
; COMPUTE_PGM_RSRC2:TGID_Z_EN: 0
; COMPUTE_PGM_RSRC2:TIDIG_COMP_CNT: 0
; COMPUTE_PGM_RSRC3_GFX90A:ACCUM_OFFSET: 0
; COMPUTE_PGM_RSRC3_GFX90A:TG_SPLIT: 0
	.section	.text._ZN7rocprim17ROCPRIM_400000_NS6detail17trampoline_kernelINS0_14default_configENS1_25partition_config_selectorILNS1_17partition_subalgoE0ExNS0_10empty_typeEbEEZZNS1_14partition_implILS5_0ELb0ES3_jN6thrust23THRUST_200600_302600_NS6detail15normal_iteratorINSA_10device_ptrIxEEEEPS6_SG_NS0_5tupleIJNSA_16discard_iteratorINSA_11use_defaultEEESF_EEENSH_IJSG_SG_EEES6_PlJ7is_evenIxEEEE10hipError_tPvRmT3_T4_T5_T6_T7_T9_mT8_P12ihipStream_tbDpT10_ENKUlT_T0_E_clISt17integral_constantIbLb1EES18_IbLb0EEEEDaS14_S15_EUlS14_E_NS1_11comp_targetILNS1_3genE3ELNS1_11target_archE908ELNS1_3gpuE7ELNS1_3repE0EEENS1_30default_config_static_selectorELNS0_4arch9wavefront6targetE1EEEvT1_,"axG",@progbits,_ZN7rocprim17ROCPRIM_400000_NS6detail17trampoline_kernelINS0_14default_configENS1_25partition_config_selectorILNS1_17partition_subalgoE0ExNS0_10empty_typeEbEEZZNS1_14partition_implILS5_0ELb0ES3_jN6thrust23THRUST_200600_302600_NS6detail15normal_iteratorINSA_10device_ptrIxEEEEPS6_SG_NS0_5tupleIJNSA_16discard_iteratorINSA_11use_defaultEEESF_EEENSH_IJSG_SG_EEES6_PlJ7is_evenIxEEEE10hipError_tPvRmT3_T4_T5_T6_T7_T9_mT8_P12ihipStream_tbDpT10_ENKUlT_T0_E_clISt17integral_constantIbLb1EES18_IbLb0EEEEDaS14_S15_EUlS14_E_NS1_11comp_targetILNS1_3genE3ELNS1_11target_archE908ELNS1_3gpuE7ELNS1_3repE0EEENS1_30default_config_static_selectorELNS0_4arch9wavefront6targetE1EEEvT1_,comdat
	.protected	_ZN7rocprim17ROCPRIM_400000_NS6detail17trampoline_kernelINS0_14default_configENS1_25partition_config_selectorILNS1_17partition_subalgoE0ExNS0_10empty_typeEbEEZZNS1_14partition_implILS5_0ELb0ES3_jN6thrust23THRUST_200600_302600_NS6detail15normal_iteratorINSA_10device_ptrIxEEEEPS6_SG_NS0_5tupleIJNSA_16discard_iteratorINSA_11use_defaultEEESF_EEENSH_IJSG_SG_EEES6_PlJ7is_evenIxEEEE10hipError_tPvRmT3_T4_T5_T6_T7_T9_mT8_P12ihipStream_tbDpT10_ENKUlT_T0_E_clISt17integral_constantIbLb1EES18_IbLb0EEEEDaS14_S15_EUlS14_E_NS1_11comp_targetILNS1_3genE3ELNS1_11target_archE908ELNS1_3gpuE7ELNS1_3repE0EEENS1_30default_config_static_selectorELNS0_4arch9wavefront6targetE1EEEvT1_ ; -- Begin function _ZN7rocprim17ROCPRIM_400000_NS6detail17trampoline_kernelINS0_14default_configENS1_25partition_config_selectorILNS1_17partition_subalgoE0ExNS0_10empty_typeEbEEZZNS1_14partition_implILS5_0ELb0ES3_jN6thrust23THRUST_200600_302600_NS6detail15normal_iteratorINSA_10device_ptrIxEEEEPS6_SG_NS0_5tupleIJNSA_16discard_iteratorINSA_11use_defaultEEESF_EEENSH_IJSG_SG_EEES6_PlJ7is_evenIxEEEE10hipError_tPvRmT3_T4_T5_T6_T7_T9_mT8_P12ihipStream_tbDpT10_ENKUlT_T0_E_clISt17integral_constantIbLb1EES18_IbLb0EEEEDaS14_S15_EUlS14_E_NS1_11comp_targetILNS1_3genE3ELNS1_11target_archE908ELNS1_3gpuE7ELNS1_3repE0EEENS1_30default_config_static_selectorELNS0_4arch9wavefront6targetE1EEEvT1_
	.globl	_ZN7rocprim17ROCPRIM_400000_NS6detail17trampoline_kernelINS0_14default_configENS1_25partition_config_selectorILNS1_17partition_subalgoE0ExNS0_10empty_typeEbEEZZNS1_14partition_implILS5_0ELb0ES3_jN6thrust23THRUST_200600_302600_NS6detail15normal_iteratorINSA_10device_ptrIxEEEEPS6_SG_NS0_5tupleIJNSA_16discard_iteratorINSA_11use_defaultEEESF_EEENSH_IJSG_SG_EEES6_PlJ7is_evenIxEEEE10hipError_tPvRmT3_T4_T5_T6_T7_T9_mT8_P12ihipStream_tbDpT10_ENKUlT_T0_E_clISt17integral_constantIbLb1EES18_IbLb0EEEEDaS14_S15_EUlS14_E_NS1_11comp_targetILNS1_3genE3ELNS1_11target_archE908ELNS1_3gpuE7ELNS1_3repE0EEENS1_30default_config_static_selectorELNS0_4arch9wavefront6targetE1EEEvT1_
	.p2align	8
	.type	_ZN7rocprim17ROCPRIM_400000_NS6detail17trampoline_kernelINS0_14default_configENS1_25partition_config_selectorILNS1_17partition_subalgoE0ExNS0_10empty_typeEbEEZZNS1_14partition_implILS5_0ELb0ES3_jN6thrust23THRUST_200600_302600_NS6detail15normal_iteratorINSA_10device_ptrIxEEEEPS6_SG_NS0_5tupleIJNSA_16discard_iteratorINSA_11use_defaultEEESF_EEENSH_IJSG_SG_EEES6_PlJ7is_evenIxEEEE10hipError_tPvRmT3_T4_T5_T6_T7_T9_mT8_P12ihipStream_tbDpT10_ENKUlT_T0_E_clISt17integral_constantIbLb1EES18_IbLb0EEEEDaS14_S15_EUlS14_E_NS1_11comp_targetILNS1_3genE3ELNS1_11target_archE908ELNS1_3gpuE7ELNS1_3repE0EEENS1_30default_config_static_selectorELNS0_4arch9wavefront6targetE1EEEvT1_,@function
_ZN7rocprim17ROCPRIM_400000_NS6detail17trampoline_kernelINS0_14default_configENS1_25partition_config_selectorILNS1_17partition_subalgoE0ExNS0_10empty_typeEbEEZZNS1_14partition_implILS5_0ELb0ES3_jN6thrust23THRUST_200600_302600_NS6detail15normal_iteratorINSA_10device_ptrIxEEEEPS6_SG_NS0_5tupleIJNSA_16discard_iteratorINSA_11use_defaultEEESF_EEENSH_IJSG_SG_EEES6_PlJ7is_evenIxEEEE10hipError_tPvRmT3_T4_T5_T6_T7_T9_mT8_P12ihipStream_tbDpT10_ENKUlT_T0_E_clISt17integral_constantIbLb1EES18_IbLb0EEEEDaS14_S15_EUlS14_E_NS1_11comp_targetILNS1_3genE3ELNS1_11target_archE908ELNS1_3gpuE7ELNS1_3repE0EEENS1_30default_config_static_selectorELNS0_4arch9wavefront6targetE1EEEvT1_: ; @_ZN7rocprim17ROCPRIM_400000_NS6detail17trampoline_kernelINS0_14default_configENS1_25partition_config_selectorILNS1_17partition_subalgoE0ExNS0_10empty_typeEbEEZZNS1_14partition_implILS5_0ELb0ES3_jN6thrust23THRUST_200600_302600_NS6detail15normal_iteratorINSA_10device_ptrIxEEEEPS6_SG_NS0_5tupleIJNSA_16discard_iteratorINSA_11use_defaultEEESF_EEENSH_IJSG_SG_EEES6_PlJ7is_evenIxEEEE10hipError_tPvRmT3_T4_T5_T6_T7_T9_mT8_P12ihipStream_tbDpT10_ENKUlT_T0_E_clISt17integral_constantIbLb1EES18_IbLb0EEEEDaS14_S15_EUlS14_E_NS1_11comp_targetILNS1_3genE3ELNS1_11target_archE908ELNS1_3gpuE7ELNS1_3repE0EEENS1_30default_config_static_selectorELNS0_4arch9wavefront6targetE1EEEvT1_
; %bb.0:
	.section	.rodata,"a",@progbits
	.p2align	6, 0x0
	.amdhsa_kernel _ZN7rocprim17ROCPRIM_400000_NS6detail17trampoline_kernelINS0_14default_configENS1_25partition_config_selectorILNS1_17partition_subalgoE0ExNS0_10empty_typeEbEEZZNS1_14partition_implILS5_0ELb0ES3_jN6thrust23THRUST_200600_302600_NS6detail15normal_iteratorINSA_10device_ptrIxEEEEPS6_SG_NS0_5tupleIJNSA_16discard_iteratorINSA_11use_defaultEEESF_EEENSH_IJSG_SG_EEES6_PlJ7is_evenIxEEEE10hipError_tPvRmT3_T4_T5_T6_T7_T9_mT8_P12ihipStream_tbDpT10_ENKUlT_T0_E_clISt17integral_constantIbLb1EES18_IbLb0EEEEDaS14_S15_EUlS14_E_NS1_11comp_targetILNS1_3genE3ELNS1_11target_archE908ELNS1_3gpuE7ELNS1_3repE0EEENS1_30default_config_static_selectorELNS0_4arch9wavefront6targetE1EEEvT1_
		.amdhsa_group_segment_fixed_size 0
		.amdhsa_private_segment_fixed_size 0
		.amdhsa_kernarg_size 128
		.amdhsa_user_sgpr_count 2
		.amdhsa_user_sgpr_dispatch_ptr 0
		.amdhsa_user_sgpr_queue_ptr 0
		.amdhsa_user_sgpr_kernarg_segment_ptr 1
		.amdhsa_user_sgpr_dispatch_id 0
		.amdhsa_user_sgpr_kernarg_preload_length 0
		.amdhsa_user_sgpr_kernarg_preload_offset 0
		.amdhsa_user_sgpr_private_segment_size 0
		.amdhsa_uses_dynamic_stack 0
		.amdhsa_enable_private_segment 0
		.amdhsa_system_sgpr_workgroup_id_x 1
		.amdhsa_system_sgpr_workgroup_id_y 0
		.amdhsa_system_sgpr_workgroup_id_z 0
		.amdhsa_system_sgpr_workgroup_info 0
		.amdhsa_system_vgpr_workitem_id 0
		.amdhsa_next_free_vgpr 1
		.amdhsa_next_free_sgpr 0
		.amdhsa_accum_offset 4
		.amdhsa_reserve_vcc 0
		.amdhsa_float_round_mode_32 0
		.amdhsa_float_round_mode_16_64 0
		.amdhsa_float_denorm_mode_32 3
		.amdhsa_float_denorm_mode_16_64 3
		.amdhsa_dx10_clamp 1
		.amdhsa_ieee_mode 1
		.amdhsa_fp16_overflow 0
		.amdhsa_tg_split 0
		.amdhsa_exception_fp_ieee_invalid_op 0
		.amdhsa_exception_fp_denorm_src 0
		.amdhsa_exception_fp_ieee_div_zero 0
		.amdhsa_exception_fp_ieee_overflow 0
		.amdhsa_exception_fp_ieee_underflow 0
		.amdhsa_exception_fp_ieee_inexact 0
		.amdhsa_exception_int_div_zero 0
	.end_amdhsa_kernel
	.section	.text._ZN7rocprim17ROCPRIM_400000_NS6detail17trampoline_kernelINS0_14default_configENS1_25partition_config_selectorILNS1_17partition_subalgoE0ExNS0_10empty_typeEbEEZZNS1_14partition_implILS5_0ELb0ES3_jN6thrust23THRUST_200600_302600_NS6detail15normal_iteratorINSA_10device_ptrIxEEEEPS6_SG_NS0_5tupleIJNSA_16discard_iteratorINSA_11use_defaultEEESF_EEENSH_IJSG_SG_EEES6_PlJ7is_evenIxEEEE10hipError_tPvRmT3_T4_T5_T6_T7_T9_mT8_P12ihipStream_tbDpT10_ENKUlT_T0_E_clISt17integral_constantIbLb1EES18_IbLb0EEEEDaS14_S15_EUlS14_E_NS1_11comp_targetILNS1_3genE3ELNS1_11target_archE908ELNS1_3gpuE7ELNS1_3repE0EEENS1_30default_config_static_selectorELNS0_4arch9wavefront6targetE1EEEvT1_,"axG",@progbits,_ZN7rocprim17ROCPRIM_400000_NS6detail17trampoline_kernelINS0_14default_configENS1_25partition_config_selectorILNS1_17partition_subalgoE0ExNS0_10empty_typeEbEEZZNS1_14partition_implILS5_0ELb0ES3_jN6thrust23THRUST_200600_302600_NS6detail15normal_iteratorINSA_10device_ptrIxEEEEPS6_SG_NS0_5tupleIJNSA_16discard_iteratorINSA_11use_defaultEEESF_EEENSH_IJSG_SG_EEES6_PlJ7is_evenIxEEEE10hipError_tPvRmT3_T4_T5_T6_T7_T9_mT8_P12ihipStream_tbDpT10_ENKUlT_T0_E_clISt17integral_constantIbLb1EES18_IbLb0EEEEDaS14_S15_EUlS14_E_NS1_11comp_targetILNS1_3genE3ELNS1_11target_archE908ELNS1_3gpuE7ELNS1_3repE0EEENS1_30default_config_static_selectorELNS0_4arch9wavefront6targetE1EEEvT1_,comdat
.Lfunc_end2670:
	.size	_ZN7rocprim17ROCPRIM_400000_NS6detail17trampoline_kernelINS0_14default_configENS1_25partition_config_selectorILNS1_17partition_subalgoE0ExNS0_10empty_typeEbEEZZNS1_14partition_implILS5_0ELb0ES3_jN6thrust23THRUST_200600_302600_NS6detail15normal_iteratorINSA_10device_ptrIxEEEEPS6_SG_NS0_5tupleIJNSA_16discard_iteratorINSA_11use_defaultEEESF_EEENSH_IJSG_SG_EEES6_PlJ7is_evenIxEEEE10hipError_tPvRmT3_T4_T5_T6_T7_T9_mT8_P12ihipStream_tbDpT10_ENKUlT_T0_E_clISt17integral_constantIbLb1EES18_IbLb0EEEEDaS14_S15_EUlS14_E_NS1_11comp_targetILNS1_3genE3ELNS1_11target_archE908ELNS1_3gpuE7ELNS1_3repE0EEENS1_30default_config_static_selectorELNS0_4arch9wavefront6targetE1EEEvT1_, .Lfunc_end2670-_ZN7rocprim17ROCPRIM_400000_NS6detail17trampoline_kernelINS0_14default_configENS1_25partition_config_selectorILNS1_17partition_subalgoE0ExNS0_10empty_typeEbEEZZNS1_14partition_implILS5_0ELb0ES3_jN6thrust23THRUST_200600_302600_NS6detail15normal_iteratorINSA_10device_ptrIxEEEEPS6_SG_NS0_5tupleIJNSA_16discard_iteratorINSA_11use_defaultEEESF_EEENSH_IJSG_SG_EEES6_PlJ7is_evenIxEEEE10hipError_tPvRmT3_T4_T5_T6_T7_T9_mT8_P12ihipStream_tbDpT10_ENKUlT_T0_E_clISt17integral_constantIbLb1EES18_IbLb0EEEEDaS14_S15_EUlS14_E_NS1_11comp_targetILNS1_3genE3ELNS1_11target_archE908ELNS1_3gpuE7ELNS1_3repE0EEENS1_30default_config_static_selectorELNS0_4arch9wavefront6targetE1EEEvT1_
                                        ; -- End function
	.section	.AMDGPU.csdata,"",@progbits
; Kernel info:
; codeLenInByte = 0
; NumSgprs: 6
; NumVgprs: 0
; NumAgprs: 0
; TotalNumVgprs: 0
; ScratchSize: 0
; MemoryBound: 0
; FloatMode: 240
; IeeeMode: 1
; LDSByteSize: 0 bytes/workgroup (compile time only)
; SGPRBlocks: 0
; VGPRBlocks: 0
; NumSGPRsForWavesPerEU: 6
; NumVGPRsForWavesPerEU: 1
; AccumOffset: 4
; Occupancy: 8
; WaveLimiterHint : 0
; COMPUTE_PGM_RSRC2:SCRATCH_EN: 0
; COMPUTE_PGM_RSRC2:USER_SGPR: 2
; COMPUTE_PGM_RSRC2:TRAP_HANDLER: 0
; COMPUTE_PGM_RSRC2:TGID_X_EN: 1
; COMPUTE_PGM_RSRC2:TGID_Y_EN: 0
; COMPUTE_PGM_RSRC2:TGID_Z_EN: 0
; COMPUTE_PGM_RSRC2:TIDIG_COMP_CNT: 0
; COMPUTE_PGM_RSRC3_GFX90A:ACCUM_OFFSET: 0
; COMPUTE_PGM_RSRC3_GFX90A:TG_SPLIT: 0
	.section	.text._ZN7rocprim17ROCPRIM_400000_NS6detail17trampoline_kernelINS0_14default_configENS1_25partition_config_selectorILNS1_17partition_subalgoE0ExNS0_10empty_typeEbEEZZNS1_14partition_implILS5_0ELb0ES3_jN6thrust23THRUST_200600_302600_NS6detail15normal_iteratorINSA_10device_ptrIxEEEEPS6_SG_NS0_5tupleIJNSA_16discard_iteratorINSA_11use_defaultEEESF_EEENSH_IJSG_SG_EEES6_PlJ7is_evenIxEEEE10hipError_tPvRmT3_T4_T5_T6_T7_T9_mT8_P12ihipStream_tbDpT10_ENKUlT_T0_E_clISt17integral_constantIbLb1EES18_IbLb0EEEEDaS14_S15_EUlS14_E_NS1_11comp_targetILNS1_3genE2ELNS1_11target_archE906ELNS1_3gpuE6ELNS1_3repE0EEENS1_30default_config_static_selectorELNS0_4arch9wavefront6targetE1EEEvT1_,"axG",@progbits,_ZN7rocprim17ROCPRIM_400000_NS6detail17trampoline_kernelINS0_14default_configENS1_25partition_config_selectorILNS1_17partition_subalgoE0ExNS0_10empty_typeEbEEZZNS1_14partition_implILS5_0ELb0ES3_jN6thrust23THRUST_200600_302600_NS6detail15normal_iteratorINSA_10device_ptrIxEEEEPS6_SG_NS0_5tupleIJNSA_16discard_iteratorINSA_11use_defaultEEESF_EEENSH_IJSG_SG_EEES6_PlJ7is_evenIxEEEE10hipError_tPvRmT3_T4_T5_T6_T7_T9_mT8_P12ihipStream_tbDpT10_ENKUlT_T0_E_clISt17integral_constantIbLb1EES18_IbLb0EEEEDaS14_S15_EUlS14_E_NS1_11comp_targetILNS1_3genE2ELNS1_11target_archE906ELNS1_3gpuE6ELNS1_3repE0EEENS1_30default_config_static_selectorELNS0_4arch9wavefront6targetE1EEEvT1_,comdat
	.protected	_ZN7rocprim17ROCPRIM_400000_NS6detail17trampoline_kernelINS0_14default_configENS1_25partition_config_selectorILNS1_17partition_subalgoE0ExNS0_10empty_typeEbEEZZNS1_14partition_implILS5_0ELb0ES3_jN6thrust23THRUST_200600_302600_NS6detail15normal_iteratorINSA_10device_ptrIxEEEEPS6_SG_NS0_5tupleIJNSA_16discard_iteratorINSA_11use_defaultEEESF_EEENSH_IJSG_SG_EEES6_PlJ7is_evenIxEEEE10hipError_tPvRmT3_T4_T5_T6_T7_T9_mT8_P12ihipStream_tbDpT10_ENKUlT_T0_E_clISt17integral_constantIbLb1EES18_IbLb0EEEEDaS14_S15_EUlS14_E_NS1_11comp_targetILNS1_3genE2ELNS1_11target_archE906ELNS1_3gpuE6ELNS1_3repE0EEENS1_30default_config_static_selectorELNS0_4arch9wavefront6targetE1EEEvT1_ ; -- Begin function _ZN7rocprim17ROCPRIM_400000_NS6detail17trampoline_kernelINS0_14default_configENS1_25partition_config_selectorILNS1_17partition_subalgoE0ExNS0_10empty_typeEbEEZZNS1_14partition_implILS5_0ELb0ES3_jN6thrust23THRUST_200600_302600_NS6detail15normal_iteratorINSA_10device_ptrIxEEEEPS6_SG_NS0_5tupleIJNSA_16discard_iteratorINSA_11use_defaultEEESF_EEENSH_IJSG_SG_EEES6_PlJ7is_evenIxEEEE10hipError_tPvRmT3_T4_T5_T6_T7_T9_mT8_P12ihipStream_tbDpT10_ENKUlT_T0_E_clISt17integral_constantIbLb1EES18_IbLb0EEEEDaS14_S15_EUlS14_E_NS1_11comp_targetILNS1_3genE2ELNS1_11target_archE906ELNS1_3gpuE6ELNS1_3repE0EEENS1_30default_config_static_selectorELNS0_4arch9wavefront6targetE1EEEvT1_
	.globl	_ZN7rocprim17ROCPRIM_400000_NS6detail17trampoline_kernelINS0_14default_configENS1_25partition_config_selectorILNS1_17partition_subalgoE0ExNS0_10empty_typeEbEEZZNS1_14partition_implILS5_0ELb0ES3_jN6thrust23THRUST_200600_302600_NS6detail15normal_iteratorINSA_10device_ptrIxEEEEPS6_SG_NS0_5tupleIJNSA_16discard_iteratorINSA_11use_defaultEEESF_EEENSH_IJSG_SG_EEES6_PlJ7is_evenIxEEEE10hipError_tPvRmT3_T4_T5_T6_T7_T9_mT8_P12ihipStream_tbDpT10_ENKUlT_T0_E_clISt17integral_constantIbLb1EES18_IbLb0EEEEDaS14_S15_EUlS14_E_NS1_11comp_targetILNS1_3genE2ELNS1_11target_archE906ELNS1_3gpuE6ELNS1_3repE0EEENS1_30default_config_static_selectorELNS0_4arch9wavefront6targetE1EEEvT1_
	.p2align	8
	.type	_ZN7rocprim17ROCPRIM_400000_NS6detail17trampoline_kernelINS0_14default_configENS1_25partition_config_selectorILNS1_17partition_subalgoE0ExNS0_10empty_typeEbEEZZNS1_14partition_implILS5_0ELb0ES3_jN6thrust23THRUST_200600_302600_NS6detail15normal_iteratorINSA_10device_ptrIxEEEEPS6_SG_NS0_5tupleIJNSA_16discard_iteratorINSA_11use_defaultEEESF_EEENSH_IJSG_SG_EEES6_PlJ7is_evenIxEEEE10hipError_tPvRmT3_T4_T5_T6_T7_T9_mT8_P12ihipStream_tbDpT10_ENKUlT_T0_E_clISt17integral_constantIbLb1EES18_IbLb0EEEEDaS14_S15_EUlS14_E_NS1_11comp_targetILNS1_3genE2ELNS1_11target_archE906ELNS1_3gpuE6ELNS1_3repE0EEENS1_30default_config_static_selectorELNS0_4arch9wavefront6targetE1EEEvT1_,@function
_ZN7rocprim17ROCPRIM_400000_NS6detail17trampoline_kernelINS0_14default_configENS1_25partition_config_selectorILNS1_17partition_subalgoE0ExNS0_10empty_typeEbEEZZNS1_14partition_implILS5_0ELb0ES3_jN6thrust23THRUST_200600_302600_NS6detail15normal_iteratorINSA_10device_ptrIxEEEEPS6_SG_NS0_5tupleIJNSA_16discard_iteratorINSA_11use_defaultEEESF_EEENSH_IJSG_SG_EEES6_PlJ7is_evenIxEEEE10hipError_tPvRmT3_T4_T5_T6_T7_T9_mT8_P12ihipStream_tbDpT10_ENKUlT_T0_E_clISt17integral_constantIbLb1EES18_IbLb0EEEEDaS14_S15_EUlS14_E_NS1_11comp_targetILNS1_3genE2ELNS1_11target_archE906ELNS1_3gpuE6ELNS1_3repE0EEENS1_30default_config_static_selectorELNS0_4arch9wavefront6targetE1EEEvT1_: ; @_ZN7rocprim17ROCPRIM_400000_NS6detail17trampoline_kernelINS0_14default_configENS1_25partition_config_selectorILNS1_17partition_subalgoE0ExNS0_10empty_typeEbEEZZNS1_14partition_implILS5_0ELb0ES3_jN6thrust23THRUST_200600_302600_NS6detail15normal_iteratorINSA_10device_ptrIxEEEEPS6_SG_NS0_5tupleIJNSA_16discard_iteratorINSA_11use_defaultEEESF_EEENSH_IJSG_SG_EEES6_PlJ7is_evenIxEEEE10hipError_tPvRmT3_T4_T5_T6_T7_T9_mT8_P12ihipStream_tbDpT10_ENKUlT_T0_E_clISt17integral_constantIbLb1EES18_IbLb0EEEEDaS14_S15_EUlS14_E_NS1_11comp_targetILNS1_3genE2ELNS1_11target_archE906ELNS1_3gpuE6ELNS1_3repE0EEENS1_30default_config_static_selectorELNS0_4arch9wavefront6targetE1EEEvT1_
; %bb.0:
	.section	.rodata,"a",@progbits
	.p2align	6, 0x0
	.amdhsa_kernel _ZN7rocprim17ROCPRIM_400000_NS6detail17trampoline_kernelINS0_14default_configENS1_25partition_config_selectorILNS1_17partition_subalgoE0ExNS0_10empty_typeEbEEZZNS1_14partition_implILS5_0ELb0ES3_jN6thrust23THRUST_200600_302600_NS6detail15normal_iteratorINSA_10device_ptrIxEEEEPS6_SG_NS0_5tupleIJNSA_16discard_iteratorINSA_11use_defaultEEESF_EEENSH_IJSG_SG_EEES6_PlJ7is_evenIxEEEE10hipError_tPvRmT3_T4_T5_T6_T7_T9_mT8_P12ihipStream_tbDpT10_ENKUlT_T0_E_clISt17integral_constantIbLb1EES18_IbLb0EEEEDaS14_S15_EUlS14_E_NS1_11comp_targetILNS1_3genE2ELNS1_11target_archE906ELNS1_3gpuE6ELNS1_3repE0EEENS1_30default_config_static_selectorELNS0_4arch9wavefront6targetE1EEEvT1_
		.amdhsa_group_segment_fixed_size 0
		.amdhsa_private_segment_fixed_size 0
		.amdhsa_kernarg_size 128
		.amdhsa_user_sgpr_count 2
		.amdhsa_user_sgpr_dispatch_ptr 0
		.amdhsa_user_sgpr_queue_ptr 0
		.amdhsa_user_sgpr_kernarg_segment_ptr 1
		.amdhsa_user_sgpr_dispatch_id 0
		.amdhsa_user_sgpr_kernarg_preload_length 0
		.amdhsa_user_sgpr_kernarg_preload_offset 0
		.amdhsa_user_sgpr_private_segment_size 0
		.amdhsa_uses_dynamic_stack 0
		.amdhsa_enable_private_segment 0
		.amdhsa_system_sgpr_workgroup_id_x 1
		.amdhsa_system_sgpr_workgroup_id_y 0
		.amdhsa_system_sgpr_workgroup_id_z 0
		.amdhsa_system_sgpr_workgroup_info 0
		.amdhsa_system_vgpr_workitem_id 0
		.amdhsa_next_free_vgpr 1
		.amdhsa_next_free_sgpr 0
		.amdhsa_accum_offset 4
		.amdhsa_reserve_vcc 0
		.amdhsa_float_round_mode_32 0
		.amdhsa_float_round_mode_16_64 0
		.amdhsa_float_denorm_mode_32 3
		.amdhsa_float_denorm_mode_16_64 3
		.amdhsa_dx10_clamp 1
		.amdhsa_ieee_mode 1
		.amdhsa_fp16_overflow 0
		.amdhsa_tg_split 0
		.amdhsa_exception_fp_ieee_invalid_op 0
		.amdhsa_exception_fp_denorm_src 0
		.amdhsa_exception_fp_ieee_div_zero 0
		.amdhsa_exception_fp_ieee_overflow 0
		.amdhsa_exception_fp_ieee_underflow 0
		.amdhsa_exception_fp_ieee_inexact 0
		.amdhsa_exception_int_div_zero 0
	.end_amdhsa_kernel
	.section	.text._ZN7rocprim17ROCPRIM_400000_NS6detail17trampoline_kernelINS0_14default_configENS1_25partition_config_selectorILNS1_17partition_subalgoE0ExNS0_10empty_typeEbEEZZNS1_14partition_implILS5_0ELb0ES3_jN6thrust23THRUST_200600_302600_NS6detail15normal_iteratorINSA_10device_ptrIxEEEEPS6_SG_NS0_5tupleIJNSA_16discard_iteratorINSA_11use_defaultEEESF_EEENSH_IJSG_SG_EEES6_PlJ7is_evenIxEEEE10hipError_tPvRmT3_T4_T5_T6_T7_T9_mT8_P12ihipStream_tbDpT10_ENKUlT_T0_E_clISt17integral_constantIbLb1EES18_IbLb0EEEEDaS14_S15_EUlS14_E_NS1_11comp_targetILNS1_3genE2ELNS1_11target_archE906ELNS1_3gpuE6ELNS1_3repE0EEENS1_30default_config_static_selectorELNS0_4arch9wavefront6targetE1EEEvT1_,"axG",@progbits,_ZN7rocprim17ROCPRIM_400000_NS6detail17trampoline_kernelINS0_14default_configENS1_25partition_config_selectorILNS1_17partition_subalgoE0ExNS0_10empty_typeEbEEZZNS1_14partition_implILS5_0ELb0ES3_jN6thrust23THRUST_200600_302600_NS6detail15normal_iteratorINSA_10device_ptrIxEEEEPS6_SG_NS0_5tupleIJNSA_16discard_iteratorINSA_11use_defaultEEESF_EEENSH_IJSG_SG_EEES6_PlJ7is_evenIxEEEE10hipError_tPvRmT3_T4_T5_T6_T7_T9_mT8_P12ihipStream_tbDpT10_ENKUlT_T0_E_clISt17integral_constantIbLb1EES18_IbLb0EEEEDaS14_S15_EUlS14_E_NS1_11comp_targetILNS1_3genE2ELNS1_11target_archE906ELNS1_3gpuE6ELNS1_3repE0EEENS1_30default_config_static_selectorELNS0_4arch9wavefront6targetE1EEEvT1_,comdat
.Lfunc_end2671:
	.size	_ZN7rocprim17ROCPRIM_400000_NS6detail17trampoline_kernelINS0_14default_configENS1_25partition_config_selectorILNS1_17partition_subalgoE0ExNS0_10empty_typeEbEEZZNS1_14partition_implILS5_0ELb0ES3_jN6thrust23THRUST_200600_302600_NS6detail15normal_iteratorINSA_10device_ptrIxEEEEPS6_SG_NS0_5tupleIJNSA_16discard_iteratorINSA_11use_defaultEEESF_EEENSH_IJSG_SG_EEES6_PlJ7is_evenIxEEEE10hipError_tPvRmT3_T4_T5_T6_T7_T9_mT8_P12ihipStream_tbDpT10_ENKUlT_T0_E_clISt17integral_constantIbLb1EES18_IbLb0EEEEDaS14_S15_EUlS14_E_NS1_11comp_targetILNS1_3genE2ELNS1_11target_archE906ELNS1_3gpuE6ELNS1_3repE0EEENS1_30default_config_static_selectorELNS0_4arch9wavefront6targetE1EEEvT1_, .Lfunc_end2671-_ZN7rocprim17ROCPRIM_400000_NS6detail17trampoline_kernelINS0_14default_configENS1_25partition_config_selectorILNS1_17partition_subalgoE0ExNS0_10empty_typeEbEEZZNS1_14partition_implILS5_0ELb0ES3_jN6thrust23THRUST_200600_302600_NS6detail15normal_iteratorINSA_10device_ptrIxEEEEPS6_SG_NS0_5tupleIJNSA_16discard_iteratorINSA_11use_defaultEEESF_EEENSH_IJSG_SG_EEES6_PlJ7is_evenIxEEEE10hipError_tPvRmT3_T4_T5_T6_T7_T9_mT8_P12ihipStream_tbDpT10_ENKUlT_T0_E_clISt17integral_constantIbLb1EES18_IbLb0EEEEDaS14_S15_EUlS14_E_NS1_11comp_targetILNS1_3genE2ELNS1_11target_archE906ELNS1_3gpuE6ELNS1_3repE0EEENS1_30default_config_static_selectorELNS0_4arch9wavefront6targetE1EEEvT1_
                                        ; -- End function
	.section	.AMDGPU.csdata,"",@progbits
; Kernel info:
; codeLenInByte = 0
; NumSgprs: 6
; NumVgprs: 0
; NumAgprs: 0
; TotalNumVgprs: 0
; ScratchSize: 0
; MemoryBound: 0
; FloatMode: 240
; IeeeMode: 1
; LDSByteSize: 0 bytes/workgroup (compile time only)
; SGPRBlocks: 0
; VGPRBlocks: 0
; NumSGPRsForWavesPerEU: 6
; NumVGPRsForWavesPerEU: 1
; AccumOffset: 4
; Occupancy: 8
; WaveLimiterHint : 0
; COMPUTE_PGM_RSRC2:SCRATCH_EN: 0
; COMPUTE_PGM_RSRC2:USER_SGPR: 2
; COMPUTE_PGM_RSRC2:TRAP_HANDLER: 0
; COMPUTE_PGM_RSRC2:TGID_X_EN: 1
; COMPUTE_PGM_RSRC2:TGID_Y_EN: 0
; COMPUTE_PGM_RSRC2:TGID_Z_EN: 0
; COMPUTE_PGM_RSRC2:TIDIG_COMP_CNT: 0
; COMPUTE_PGM_RSRC3_GFX90A:ACCUM_OFFSET: 0
; COMPUTE_PGM_RSRC3_GFX90A:TG_SPLIT: 0
	.section	.text._ZN7rocprim17ROCPRIM_400000_NS6detail17trampoline_kernelINS0_14default_configENS1_25partition_config_selectorILNS1_17partition_subalgoE0ExNS0_10empty_typeEbEEZZNS1_14partition_implILS5_0ELb0ES3_jN6thrust23THRUST_200600_302600_NS6detail15normal_iteratorINSA_10device_ptrIxEEEEPS6_SG_NS0_5tupleIJNSA_16discard_iteratorINSA_11use_defaultEEESF_EEENSH_IJSG_SG_EEES6_PlJ7is_evenIxEEEE10hipError_tPvRmT3_T4_T5_T6_T7_T9_mT8_P12ihipStream_tbDpT10_ENKUlT_T0_E_clISt17integral_constantIbLb1EES18_IbLb0EEEEDaS14_S15_EUlS14_E_NS1_11comp_targetILNS1_3genE10ELNS1_11target_archE1200ELNS1_3gpuE4ELNS1_3repE0EEENS1_30default_config_static_selectorELNS0_4arch9wavefront6targetE1EEEvT1_,"axG",@progbits,_ZN7rocprim17ROCPRIM_400000_NS6detail17trampoline_kernelINS0_14default_configENS1_25partition_config_selectorILNS1_17partition_subalgoE0ExNS0_10empty_typeEbEEZZNS1_14partition_implILS5_0ELb0ES3_jN6thrust23THRUST_200600_302600_NS6detail15normal_iteratorINSA_10device_ptrIxEEEEPS6_SG_NS0_5tupleIJNSA_16discard_iteratorINSA_11use_defaultEEESF_EEENSH_IJSG_SG_EEES6_PlJ7is_evenIxEEEE10hipError_tPvRmT3_T4_T5_T6_T7_T9_mT8_P12ihipStream_tbDpT10_ENKUlT_T0_E_clISt17integral_constantIbLb1EES18_IbLb0EEEEDaS14_S15_EUlS14_E_NS1_11comp_targetILNS1_3genE10ELNS1_11target_archE1200ELNS1_3gpuE4ELNS1_3repE0EEENS1_30default_config_static_selectorELNS0_4arch9wavefront6targetE1EEEvT1_,comdat
	.protected	_ZN7rocprim17ROCPRIM_400000_NS6detail17trampoline_kernelINS0_14default_configENS1_25partition_config_selectorILNS1_17partition_subalgoE0ExNS0_10empty_typeEbEEZZNS1_14partition_implILS5_0ELb0ES3_jN6thrust23THRUST_200600_302600_NS6detail15normal_iteratorINSA_10device_ptrIxEEEEPS6_SG_NS0_5tupleIJNSA_16discard_iteratorINSA_11use_defaultEEESF_EEENSH_IJSG_SG_EEES6_PlJ7is_evenIxEEEE10hipError_tPvRmT3_T4_T5_T6_T7_T9_mT8_P12ihipStream_tbDpT10_ENKUlT_T0_E_clISt17integral_constantIbLb1EES18_IbLb0EEEEDaS14_S15_EUlS14_E_NS1_11comp_targetILNS1_3genE10ELNS1_11target_archE1200ELNS1_3gpuE4ELNS1_3repE0EEENS1_30default_config_static_selectorELNS0_4arch9wavefront6targetE1EEEvT1_ ; -- Begin function _ZN7rocprim17ROCPRIM_400000_NS6detail17trampoline_kernelINS0_14default_configENS1_25partition_config_selectorILNS1_17partition_subalgoE0ExNS0_10empty_typeEbEEZZNS1_14partition_implILS5_0ELb0ES3_jN6thrust23THRUST_200600_302600_NS6detail15normal_iteratorINSA_10device_ptrIxEEEEPS6_SG_NS0_5tupleIJNSA_16discard_iteratorINSA_11use_defaultEEESF_EEENSH_IJSG_SG_EEES6_PlJ7is_evenIxEEEE10hipError_tPvRmT3_T4_T5_T6_T7_T9_mT8_P12ihipStream_tbDpT10_ENKUlT_T0_E_clISt17integral_constantIbLb1EES18_IbLb0EEEEDaS14_S15_EUlS14_E_NS1_11comp_targetILNS1_3genE10ELNS1_11target_archE1200ELNS1_3gpuE4ELNS1_3repE0EEENS1_30default_config_static_selectorELNS0_4arch9wavefront6targetE1EEEvT1_
	.globl	_ZN7rocprim17ROCPRIM_400000_NS6detail17trampoline_kernelINS0_14default_configENS1_25partition_config_selectorILNS1_17partition_subalgoE0ExNS0_10empty_typeEbEEZZNS1_14partition_implILS5_0ELb0ES3_jN6thrust23THRUST_200600_302600_NS6detail15normal_iteratorINSA_10device_ptrIxEEEEPS6_SG_NS0_5tupleIJNSA_16discard_iteratorINSA_11use_defaultEEESF_EEENSH_IJSG_SG_EEES6_PlJ7is_evenIxEEEE10hipError_tPvRmT3_T4_T5_T6_T7_T9_mT8_P12ihipStream_tbDpT10_ENKUlT_T0_E_clISt17integral_constantIbLb1EES18_IbLb0EEEEDaS14_S15_EUlS14_E_NS1_11comp_targetILNS1_3genE10ELNS1_11target_archE1200ELNS1_3gpuE4ELNS1_3repE0EEENS1_30default_config_static_selectorELNS0_4arch9wavefront6targetE1EEEvT1_
	.p2align	8
	.type	_ZN7rocprim17ROCPRIM_400000_NS6detail17trampoline_kernelINS0_14default_configENS1_25partition_config_selectorILNS1_17partition_subalgoE0ExNS0_10empty_typeEbEEZZNS1_14partition_implILS5_0ELb0ES3_jN6thrust23THRUST_200600_302600_NS6detail15normal_iteratorINSA_10device_ptrIxEEEEPS6_SG_NS0_5tupleIJNSA_16discard_iteratorINSA_11use_defaultEEESF_EEENSH_IJSG_SG_EEES6_PlJ7is_evenIxEEEE10hipError_tPvRmT3_T4_T5_T6_T7_T9_mT8_P12ihipStream_tbDpT10_ENKUlT_T0_E_clISt17integral_constantIbLb1EES18_IbLb0EEEEDaS14_S15_EUlS14_E_NS1_11comp_targetILNS1_3genE10ELNS1_11target_archE1200ELNS1_3gpuE4ELNS1_3repE0EEENS1_30default_config_static_selectorELNS0_4arch9wavefront6targetE1EEEvT1_,@function
_ZN7rocprim17ROCPRIM_400000_NS6detail17trampoline_kernelINS0_14default_configENS1_25partition_config_selectorILNS1_17partition_subalgoE0ExNS0_10empty_typeEbEEZZNS1_14partition_implILS5_0ELb0ES3_jN6thrust23THRUST_200600_302600_NS6detail15normal_iteratorINSA_10device_ptrIxEEEEPS6_SG_NS0_5tupleIJNSA_16discard_iteratorINSA_11use_defaultEEESF_EEENSH_IJSG_SG_EEES6_PlJ7is_evenIxEEEE10hipError_tPvRmT3_T4_T5_T6_T7_T9_mT8_P12ihipStream_tbDpT10_ENKUlT_T0_E_clISt17integral_constantIbLb1EES18_IbLb0EEEEDaS14_S15_EUlS14_E_NS1_11comp_targetILNS1_3genE10ELNS1_11target_archE1200ELNS1_3gpuE4ELNS1_3repE0EEENS1_30default_config_static_selectorELNS0_4arch9wavefront6targetE1EEEvT1_: ; @_ZN7rocprim17ROCPRIM_400000_NS6detail17trampoline_kernelINS0_14default_configENS1_25partition_config_selectorILNS1_17partition_subalgoE0ExNS0_10empty_typeEbEEZZNS1_14partition_implILS5_0ELb0ES3_jN6thrust23THRUST_200600_302600_NS6detail15normal_iteratorINSA_10device_ptrIxEEEEPS6_SG_NS0_5tupleIJNSA_16discard_iteratorINSA_11use_defaultEEESF_EEENSH_IJSG_SG_EEES6_PlJ7is_evenIxEEEE10hipError_tPvRmT3_T4_T5_T6_T7_T9_mT8_P12ihipStream_tbDpT10_ENKUlT_T0_E_clISt17integral_constantIbLb1EES18_IbLb0EEEEDaS14_S15_EUlS14_E_NS1_11comp_targetILNS1_3genE10ELNS1_11target_archE1200ELNS1_3gpuE4ELNS1_3repE0EEENS1_30default_config_static_selectorELNS0_4arch9wavefront6targetE1EEEvT1_
; %bb.0:
	.section	.rodata,"a",@progbits
	.p2align	6, 0x0
	.amdhsa_kernel _ZN7rocprim17ROCPRIM_400000_NS6detail17trampoline_kernelINS0_14default_configENS1_25partition_config_selectorILNS1_17partition_subalgoE0ExNS0_10empty_typeEbEEZZNS1_14partition_implILS5_0ELb0ES3_jN6thrust23THRUST_200600_302600_NS6detail15normal_iteratorINSA_10device_ptrIxEEEEPS6_SG_NS0_5tupleIJNSA_16discard_iteratorINSA_11use_defaultEEESF_EEENSH_IJSG_SG_EEES6_PlJ7is_evenIxEEEE10hipError_tPvRmT3_T4_T5_T6_T7_T9_mT8_P12ihipStream_tbDpT10_ENKUlT_T0_E_clISt17integral_constantIbLb1EES18_IbLb0EEEEDaS14_S15_EUlS14_E_NS1_11comp_targetILNS1_3genE10ELNS1_11target_archE1200ELNS1_3gpuE4ELNS1_3repE0EEENS1_30default_config_static_selectorELNS0_4arch9wavefront6targetE1EEEvT1_
		.amdhsa_group_segment_fixed_size 0
		.amdhsa_private_segment_fixed_size 0
		.amdhsa_kernarg_size 128
		.amdhsa_user_sgpr_count 2
		.amdhsa_user_sgpr_dispatch_ptr 0
		.amdhsa_user_sgpr_queue_ptr 0
		.amdhsa_user_sgpr_kernarg_segment_ptr 1
		.amdhsa_user_sgpr_dispatch_id 0
		.amdhsa_user_sgpr_kernarg_preload_length 0
		.amdhsa_user_sgpr_kernarg_preload_offset 0
		.amdhsa_user_sgpr_private_segment_size 0
		.amdhsa_uses_dynamic_stack 0
		.amdhsa_enable_private_segment 0
		.amdhsa_system_sgpr_workgroup_id_x 1
		.amdhsa_system_sgpr_workgroup_id_y 0
		.amdhsa_system_sgpr_workgroup_id_z 0
		.amdhsa_system_sgpr_workgroup_info 0
		.amdhsa_system_vgpr_workitem_id 0
		.amdhsa_next_free_vgpr 1
		.amdhsa_next_free_sgpr 0
		.amdhsa_accum_offset 4
		.amdhsa_reserve_vcc 0
		.amdhsa_float_round_mode_32 0
		.amdhsa_float_round_mode_16_64 0
		.amdhsa_float_denorm_mode_32 3
		.amdhsa_float_denorm_mode_16_64 3
		.amdhsa_dx10_clamp 1
		.amdhsa_ieee_mode 1
		.amdhsa_fp16_overflow 0
		.amdhsa_tg_split 0
		.amdhsa_exception_fp_ieee_invalid_op 0
		.amdhsa_exception_fp_denorm_src 0
		.amdhsa_exception_fp_ieee_div_zero 0
		.amdhsa_exception_fp_ieee_overflow 0
		.amdhsa_exception_fp_ieee_underflow 0
		.amdhsa_exception_fp_ieee_inexact 0
		.amdhsa_exception_int_div_zero 0
	.end_amdhsa_kernel
	.section	.text._ZN7rocprim17ROCPRIM_400000_NS6detail17trampoline_kernelINS0_14default_configENS1_25partition_config_selectorILNS1_17partition_subalgoE0ExNS0_10empty_typeEbEEZZNS1_14partition_implILS5_0ELb0ES3_jN6thrust23THRUST_200600_302600_NS6detail15normal_iteratorINSA_10device_ptrIxEEEEPS6_SG_NS0_5tupleIJNSA_16discard_iteratorINSA_11use_defaultEEESF_EEENSH_IJSG_SG_EEES6_PlJ7is_evenIxEEEE10hipError_tPvRmT3_T4_T5_T6_T7_T9_mT8_P12ihipStream_tbDpT10_ENKUlT_T0_E_clISt17integral_constantIbLb1EES18_IbLb0EEEEDaS14_S15_EUlS14_E_NS1_11comp_targetILNS1_3genE10ELNS1_11target_archE1200ELNS1_3gpuE4ELNS1_3repE0EEENS1_30default_config_static_selectorELNS0_4arch9wavefront6targetE1EEEvT1_,"axG",@progbits,_ZN7rocprim17ROCPRIM_400000_NS6detail17trampoline_kernelINS0_14default_configENS1_25partition_config_selectorILNS1_17partition_subalgoE0ExNS0_10empty_typeEbEEZZNS1_14partition_implILS5_0ELb0ES3_jN6thrust23THRUST_200600_302600_NS6detail15normal_iteratorINSA_10device_ptrIxEEEEPS6_SG_NS0_5tupleIJNSA_16discard_iteratorINSA_11use_defaultEEESF_EEENSH_IJSG_SG_EEES6_PlJ7is_evenIxEEEE10hipError_tPvRmT3_T4_T5_T6_T7_T9_mT8_P12ihipStream_tbDpT10_ENKUlT_T0_E_clISt17integral_constantIbLb1EES18_IbLb0EEEEDaS14_S15_EUlS14_E_NS1_11comp_targetILNS1_3genE10ELNS1_11target_archE1200ELNS1_3gpuE4ELNS1_3repE0EEENS1_30default_config_static_selectorELNS0_4arch9wavefront6targetE1EEEvT1_,comdat
.Lfunc_end2672:
	.size	_ZN7rocprim17ROCPRIM_400000_NS6detail17trampoline_kernelINS0_14default_configENS1_25partition_config_selectorILNS1_17partition_subalgoE0ExNS0_10empty_typeEbEEZZNS1_14partition_implILS5_0ELb0ES3_jN6thrust23THRUST_200600_302600_NS6detail15normal_iteratorINSA_10device_ptrIxEEEEPS6_SG_NS0_5tupleIJNSA_16discard_iteratorINSA_11use_defaultEEESF_EEENSH_IJSG_SG_EEES6_PlJ7is_evenIxEEEE10hipError_tPvRmT3_T4_T5_T6_T7_T9_mT8_P12ihipStream_tbDpT10_ENKUlT_T0_E_clISt17integral_constantIbLb1EES18_IbLb0EEEEDaS14_S15_EUlS14_E_NS1_11comp_targetILNS1_3genE10ELNS1_11target_archE1200ELNS1_3gpuE4ELNS1_3repE0EEENS1_30default_config_static_selectorELNS0_4arch9wavefront6targetE1EEEvT1_, .Lfunc_end2672-_ZN7rocprim17ROCPRIM_400000_NS6detail17trampoline_kernelINS0_14default_configENS1_25partition_config_selectorILNS1_17partition_subalgoE0ExNS0_10empty_typeEbEEZZNS1_14partition_implILS5_0ELb0ES3_jN6thrust23THRUST_200600_302600_NS6detail15normal_iteratorINSA_10device_ptrIxEEEEPS6_SG_NS0_5tupleIJNSA_16discard_iteratorINSA_11use_defaultEEESF_EEENSH_IJSG_SG_EEES6_PlJ7is_evenIxEEEE10hipError_tPvRmT3_T4_T5_T6_T7_T9_mT8_P12ihipStream_tbDpT10_ENKUlT_T0_E_clISt17integral_constantIbLb1EES18_IbLb0EEEEDaS14_S15_EUlS14_E_NS1_11comp_targetILNS1_3genE10ELNS1_11target_archE1200ELNS1_3gpuE4ELNS1_3repE0EEENS1_30default_config_static_selectorELNS0_4arch9wavefront6targetE1EEEvT1_
                                        ; -- End function
	.section	.AMDGPU.csdata,"",@progbits
; Kernel info:
; codeLenInByte = 0
; NumSgprs: 6
; NumVgprs: 0
; NumAgprs: 0
; TotalNumVgprs: 0
; ScratchSize: 0
; MemoryBound: 0
; FloatMode: 240
; IeeeMode: 1
; LDSByteSize: 0 bytes/workgroup (compile time only)
; SGPRBlocks: 0
; VGPRBlocks: 0
; NumSGPRsForWavesPerEU: 6
; NumVGPRsForWavesPerEU: 1
; AccumOffset: 4
; Occupancy: 8
; WaveLimiterHint : 0
; COMPUTE_PGM_RSRC2:SCRATCH_EN: 0
; COMPUTE_PGM_RSRC2:USER_SGPR: 2
; COMPUTE_PGM_RSRC2:TRAP_HANDLER: 0
; COMPUTE_PGM_RSRC2:TGID_X_EN: 1
; COMPUTE_PGM_RSRC2:TGID_Y_EN: 0
; COMPUTE_PGM_RSRC2:TGID_Z_EN: 0
; COMPUTE_PGM_RSRC2:TIDIG_COMP_CNT: 0
; COMPUTE_PGM_RSRC3_GFX90A:ACCUM_OFFSET: 0
; COMPUTE_PGM_RSRC3_GFX90A:TG_SPLIT: 0
	.section	.text._ZN7rocprim17ROCPRIM_400000_NS6detail17trampoline_kernelINS0_14default_configENS1_25partition_config_selectorILNS1_17partition_subalgoE0ExNS0_10empty_typeEbEEZZNS1_14partition_implILS5_0ELb0ES3_jN6thrust23THRUST_200600_302600_NS6detail15normal_iteratorINSA_10device_ptrIxEEEEPS6_SG_NS0_5tupleIJNSA_16discard_iteratorINSA_11use_defaultEEESF_EEENSH_IJSG_SG_EEES6_PlJ7is_evenIxEEEE10hipError_tPvRmT3_T4_T5_T6_T7_T9_mT8_P12ihipStream_tbDpT10_ENKUlT_T0_E_clISt17integral_constantIbLb1EES18_IbLb0EEEEDaS14_S15_EUlS14_E_NS1_11comp_targetILNS1_3genE9ELNS1_11target_archE1100ELNS1_3gpuE3ELNS1_3repE0EEENS1_30default_config_static_selectorELNS0_4arch9wavefront6targetE1EEEvT1_,"axG",@progbits,_ZN7rocprim17ROCPRIM_400000_NS6detail17trampoline_kernelINS0_14default_configENS1_25partition_config_selectorILNS1_17partition_subalgoE0ExNS0_10empty_typeEbEEZZNS1_14partition_implILS5_0ELb0ES3_jN6thrust23THRUST_200600_302600_NS6detail15normal_iteratorINSA_10device_ptrIxEEEEPS6_SG_NS0_5tupleIJNSA_16discard_iteratorINSA_11use_defaultEEESF_EEENSH_IJSG_SG_EEES6_PlJ7is_evenIxEEEE10hipError_tPvRmT3_T4_T5_T6_T7_T9_mT8_P12ihipStream_tbDpT10_ENKUlT_T0_E_clISt17integral_constantIbLb1EES18_IbLb0EEEEDaS14_S15_EUlS14_E_NS1_11comp_targetILNS1_3genE9ELNS1_11target_archE1100ELNS1_3gpuE3ELNS1_3repE0EEENS1_30default_config_static_selectorELNS0_4arch9wavefront6targetE1EEEvT1_,comdat
	.protected	_ZN7rocprim17ROCPRIM_400000_NS6detail17trampoline_kernelINS0_14default_configENS1_25partition_config_selectorILNS1_17partition_subalgoE0ExNS0_10empty_typeEbEEZZNS1_14partition_implILS5_0ELb0ES3_jN6thrust23THRUST_200600_302600_NS6detail15normal_iteratorINSA_10device_ptrIxEEEEPS6_SG_NS0_5tupleIJNSA_16discard_iteratorINSA_11use_defaultEEESF_EEENSH_IJSG_SG_EEES6_PlJ7is_evenIxEEEE10hipError_tPvRmT3_T4_T5_T6_T7_T9_mT8_P12ihipStream_tbDpT10_ENKUlT_T0_E_clISt17integral_constantIbLb1EES18_IbLb0EEEEDaS14_S15_EUlS14_E_NS1_11comp_targetILNS1_3genE9ELNS1_11target_archE1100ELNS1_3gpuE3ELNS1_3repE0EEENS1_30default_config_static_selectorELNS0_4arch9wavefront6targetE1EEEvT1_ ; -- Begin function _ZN7rocprim17ROCPRIM_400000_NS6detail17trampoline_kernelINS0_14default_configENS1_25partition_config_selectorILNS1_17partition_subalgoE0ExNS0_10empty_typeEbEEZZNS1_14partition_implILS5_0ELb0ES3_jN6thrust23THRUST_200600_302600_NS6detail15normal_iteratorINSA_10device_ptrIxEEEEPS6_SG_NS0_5tupleIJNSA_16discard_iteratorINSA_11use_defaultEEESF_EEENSH_IJSG_SG_EEES6_PlJ7is_evenIxEEEE10hipError_tPvRmT3_T4_T5_T6_T7_T9_mT8_P12ihipStream_tbDpT10_ENKUlT_T0_E_clISt17integral_constantIbLb1EES18_IbLb0EEEEDaS14_S15_EUlS14_E_NS1_11comp_targetILNS1_3genE9ELNS1_11target_archE1100ELNS1_3gpuE3ELNS1_3repE0EEENS1_30default_config_static_selectorELNS0_4arch9wavefront6targetE1EEEvT1_
	.globl	_ZN7rocprim17ROCPRIM_400000_NS6detail17trampoline_kernelINS0_14default_configENS1_25partition_config_selectorILNS1_17partition_subalgoE0ExNS0_10empty_typeEbEEZZNS1_14partition_implILS5_0ELb0ES3_jN6thrust23THRUST_200600_302600_NS6detail15normal_iteratorINSA_10device_ptrIxEEEEPS6_SG_NS0_5tupleIJNSA_16discard_iteratorINSA_11use_defaultEEESF_EEENSH_IJSG_SG_EEES6_PlJ7is_evenIxEEEE10hipError_tPvRmT3_T4_T5_T6_T7_T9_mT8_P12ihipStream_tbDpT10_ENKUlT_T0_E_clISt17integral_constantIbLb1EES18_IbLb0EEEEDaS14_S15_EUlS14_E_NS1_11comp_targetILNS1_3genE9ELNS1_11target_archE1100ELNS1_3gpuE3ELNS1_3repE0EEENS1_30default_config_static_selectorELNS0_4arch9wavefront6targetE1EEEvT1_
	.p2align	8
	.type	_ZN7rocprim17ROCPRIM_400000_NS6detail17trampoline_kernelINS0_14default_configENS1_25partition_config_selectorILNS1_17partition_subalgoE0ExNS0_10empty_typeEbEEZZNS1_14partition_implILS5_0ELb0ES3_jN6thrust23THRUST_200600_302600_NS6detail15normal_iteratorINSA_10device_ptrIxEEEEPS6_SG_NS0_5tupleIJNSA_16discard_iteratorINSA_11use_defaultEEESF_EEENSH_IJSG_SG_EEES6_PlJ7is_evenIxEEEE10hipError_tPvRmT3_T4_T5_T6_T7_T9_mT8_P12ihipStream_tbDpT10_ENKUlT_T0_E_clISt17integral_constantIbLb1EES18_IbLb0EEEEDaS14_S15_EUlS14_E_NS1_11comp_targetILNS1_3genE9ELNS1_11target_archE1100ELNS1_3gpuE3ELNS1_3repE0EEENS1_30default_config_static_selectorELNS0_4arch9wavefront6targetE1EEEvT1_,@function
_ZN7rocprim17ROCPRIM_400000_NS6detail17trampoline_kernelINS0_14default_configENS1_25partition_config_selectorILNS1_17partition_subalgoE0ExNS0_10empty_typeEbEEZZNS1_14partition_implILS5_0ELb0ES3_jN6thrust23THRUST_200600_302600_NS6detail15normal_iteratorINSA_10device_ptrIxEEEEPS6_SG_NS0_5tupleIJNSA_16discard_iteratorINSA_11use_defaultEEESF_EEENSH_IJSG_SG_EEES6_PlJ7is_evenIxEEEE10hipError_tPvRmT3_T4_T5_T6_T7_T9_mT8_P12ihipStream_tbDpT10_ENKUlT_T0_E_clISt17integral_constantIbLb1EES18_IbLb0EEEEDaS14_S15_EUlS14_E_NS1_11comp_targetILNS1_3genE9ELNS1_11target_archE1100ELNS1_3gpuE3ELNS1_3repE0EEENS1_30default_config_static_selectorELNS0_4arch9wavefront6targetE1EEEvT1_: ; @_ZN7rocprim17ROCPRIM_400000_NS6detail17trampoline_kernelINS0_14default_configENS1_25partition_config_selectorILNS1_17partition_subalgoE0ExNS0_10empty_typeEbEEZZNS1_14partition_implILS5_0ELb0ES3_jN6thrust23THRUST_200600_302600_NS6detail15normal_iteratorINSA_10device_ptrIxEEEEPS6_SG_NS0_5tupleIJNSA_16discard_iteratorINSA_11use_defaultEEESF_EEENSH_IJSG_SG_EEES6_PlJ7is_evenIxEEEE10hipError_tPvRmT3_T4_T5_T6_T7_T9_mT8_P12ihipStream_tbDpT10_ENKUlT_T0_E_clISt17integral_constantIbLb1EES18_IbLb0EEEEDaS14_S15_EUlS14_E_NS1_11comp_targetILNS1_3genE9ELNS1_11target_archE1100ELNS1_3gpuE3ELNS1_3repE0EEENS1_30default_config_static_selectorELNS0_4arch9wavefront6targetE1EEEvT1_
; %bb.0:
	.section	.rodata,"a",@progbits
	.p2align	6, 0x0
	.amdhsa_kernel _ZN7rocprim17ROCPRIM_400000_NS6detail17trampoline_kernelINS0_14default_configENS1_25partition_config_selectorILNS1_17partition_subalgoE0ExNS0_10empty_typeEbEEZZNS1_14partition_implILS5_0ELb0ES3_jN6thrust23THRUST_200600_302600_NS6detail15normal_iteratorINSA_10device_ptrIxEEEEPS6_SG_NS0_5tupleIJNSA_16discard_iteratorINSA_11use_defaultEEESF_EEENSH_IJSG_SG_EEES6_PlJ7is_evenIxEEEE10hipError_tPvRmT3_T4_T5_T6_T7_T9_mT8_P12ihipStream_tbDpT10_ENKUlT_T0_E_clISt17integral_constantIbLb1EES18_IbLb0EEEEDaS14_S15_EUlS14_E_NS1_11comp_targetILNS1_3genE9ELNS1_11target_archE1100ELNS1_3gpuE3ELNS1_3repE0EEENS1_30default_config_static_selectorELNS0_4arch9wavefront6targetE1EEEvT1_
		.amdhsa_group_segment_fixed_size 0
		.amdhsa_private_segment_fixed_size 0
		.amdhsa_kernarg_size 128
		.amdhsa_user_sgpr_count 2
		.amdhsa_user_sgpr_dispatch_ptr 0
		.amdhsa_user_sgpr_queue_ptr 0
		.amdhsa_user_sgpr_kernarg_segment_ptr 1
		.amdhsa_user_sgpr_dispatch_id 0
		.amdhsa_user_sgpr_kernarg_preload_length 0
		.amdhsa_user_sgpr_kernarg_preload_offset 0
		.amdhsa_user_sgpr_private_segment_size 0
		.amdhsa_uses_dynamic_stack 0
		.amdhsa_enable_private_segment 0
		.amdhsa_system_sgpr_workgroup_id_x 1
		.amdhsa_system_sgpr_workgroup_id_y 0
		.amdhsa_system_sgpr_workgroup_id_z 0
		.amdhsa_system_sgpr_workgroup_info 0
		.amdhsa_system_vgpr_workitem_id 0
		.amdhsa_next_free_vgpr 1
		.amdhsa_next_free_sgpr 0
		.amdhsa_accum_offset 4
		.amdhsa_reserve_vcc 0
		.amdhsa_float_round_mode_32 0
		.amdhsa_float_round_mode_16_64 0
		.amdhsa_float_denorm_mode_32 3
		.amdhsa_float_denorm_mode_16_64 3
		.amdhsa_dx10_clamp 1
		.amdhsa_ieee_mode 1
		.amdhsa_fp16_overflow 0
		.amdhsa_tg_split 0
		.amdhsa_exception_fp_ieee_invalid_op 0
		.amdhsa_exception_fp_denorm_src 0
		.amdhsa_exception_fp_ieee_div_zero 0
		.amdhsa_exception_fp_ieee_overflow 0
		.amdhsa_exception_fp_ieee_underflow 0
		.amdhsa_exception_fp_ieee_inexact 0
		.amdhsa_exception_int_div_zero 0
	.end_amdhsa_kernel
	.section	.text._ZN7rocprim17ROCPRIM_400000_NS6detail17trampoline_kernelINS0_14default_configENS1_25partition_config_selectorILNS1_17partition_subalgoE0ExNS0_10empty_typeEbEEZZNS1_14partition_implILS5_0ELb0ES3_jN6thrust23THRUST_200600_302600_NS6detail15normal_iteratorINSA_10device_ptrIxEEEEPS6_SG_NS0_5tupleIJNSA_16discard_iteratorINSA_11use_defaultEEESF_EEENSH_IJSG_SG_EEES6_PlJ7is_evenIxEEEE10hipError_tPvRmT3_T4_T5_T6_T7_T9_mT8_P12ihipStream_tbDpT10_ENKUlT_T0_E_clISt17integral_constantIbLb1EES18_IbLb0EEEEDaS14_S15_EUlS14_E_NS1_11comp_targetILNS1_3genE9ELNS1_11target_archE1100ELNS1_3gpuE3ELNS1_3repE0EEENS1_30default_config_static_selectorELNS0_4arch9wavefront6targetE1EEEvT1_,"axG",@progbits,_ZN7rocprim17ROCPRIM_400000_NS6detail17trampoline_kernelINS0_14default_configENS1_25partition_config_selectorILNS1_17partition_subalgoE0ExNS0_10empty_typeEbEEZZNS1_14partition_implILS5_0ELb0ES3_jN6thrust23THRUST_200600_302600_NS6detail15normal_iteratorINSA_10device_ptrIxEEEEPS6_SG_NS0_5tupleIJNSA_16discard_iteratorINSA_11use_defaultEEESF_EEENSH_IJSG_SG_EEES6_PlJ7is_evenIxEEEE10hipError_tPvRmT3_T4_T5_T6_T7_T9_mT8_P12ihipStream_tbDpT10_ENKUlT_T0_E_clISt17integral_constantIbLb1EES18_IbLb0EEEEDaS14_S15_EUlS14_E_NS1_11comp_targetILNS1_3genE9ELNS1_11target_archE1100ELNS1_3gpuE3ELNS1_3repE0EEENS1_30default_config_static_selectorELNS0_4arch9wavefront6targetE1EEEvT1_,comdat
.Lfunc_end2673:
	.size	_ZN7rocprim17ROCPRIM_400000_NS6detail17trampoline_kernelINS0_14default_configENS1_25partition_config_selectorILNS1_17partition_subalgoE0ExNS0_10empty_typeEbEEZZNS1_14partition_implILS5_0ELb0ES3_jN6thrust23THRUST_200600_302600_NS6detail15normal_iteratorINSA_10device_ptrIxEEEEPS6_SG_NS0_5tupleIJNSA_16discard_iteratorINSA_11use_defaultEEESF_EEENSH_IJSG_SG_EEES6_PlJ7is_evenIxEEEE10hipError_tPvRmT3_T4_T5_T6_T7_T9_mT8_P12ihipStream_tbDpT10_ENKUlT_T0_E_clISt17integral_constantIbLb1EES18_IbLb0EEEEDaS14_S15_EUlS14_E_NS1_11comp_targetILNS1_3genE9ELNS1_11target_archE1100ELNS1_3gpuE3ELNS1_3repE0EEENS1_30default_config_static_selectorELNS0_4arch9wavefront6targetE1EEEvT1_, .Lfunc_end2673-_ZN7rocprim17ROCPRIM_400000_NS6detail17trampoline_kernelINS0_14default_configENS1_25partition_config_selectorILNS1_17partition_subalgoE0ExNS0_10empty_typeEbEEZZNS1_14partition_implILS5_0ELb0ES3_jN6thrust23THRUST_200600_302600_NS6detail15normal_iteratorINSA_10device_ptrIxEEEEPS6_SG_NS0_5tupleIJNSA_16discard_iteratorINSA_11use_defaultEEESF_EEENSH_IJSG_SG_EEES6_PlJ7is_evenIxEEEE10hipError_tPvRmT3_T4_T5_T6_T7_T9_mT8_P12ihipStream_tbDpT10_ENKUlT_T0_E_clISt17integral_constantIbLb1EES18_IbLb0EEEEDaS14_S15_EUlS14_E_NS1_11comp_targetILNS1_3genE9ELNS1_11target_archE1100ELNS1_3gpuE3ELNS1_3repE0EEENS1_30default_config_static_selectorELNS0_4arch9wavefront6targetE1EEEvT1_
                                        ; -- End function
	.section	.AMDGPU.csdata,"",@progbits
; Kernel info:
; codeLenInByte = 0
; NumSgprs: 6
; NumVgprs: 0
; NumAgprs: 0
; TotalNumVgprs: 0
; ScratchSize: 0
; MemoryBound: 0
; FloatMode: 240
; IeeeMode: 1
; LDSByteSize: 0 bytes/workgroup (compile time only)
; SGPRBlocks: 0
; VGPRBlocks: 0
; NumSGPRsForWavesPerEU: 6
; NumVGPRsForWavesPerEU: 1
; AccumOffset: 4
; Occupancy: 8
; WaveLimiterHint : 0
; COMPUTE_PGM_RSRC2:SCRATCH_EN: 0
; COMPUTE_PGM_RSRC2:USER_SGPR: 2
; COMPUTE_PGM_RSRC2:TRAP_HANDLER: 0
; COMPUTE_PGM_RSRC2:TGID_X_EN: 1
; COMPUTE_PGM_RSRC2:TGID_Y_EN: 0
; COMPUTE_PGM_RSRC2:TGID_Z_EN: 0
; COMPUTE_PGM_RSRC2:TIDIG_COMP_CNT: 0
; COMPUTE_PGM_RSRC3_GFX90A:ACCUM_OFFSET: 0
; COMPUTE_PGM_RSRC3_GFX90A:TG_SPLIT: 0
	.section	.text._ZN7rocprim17ROCPRIM_400000_NS6detail17trampoline_kernelINS0_14default_configENS1_25partition_config_selectorILNS1_17partition_subalgoE0ExNS0_10empty_typeEbEEZZNS1_14partition_implILS5_0ELb0ES3_jN6thrust23THRUST_200600_302600_NS6detail15normal_iteratorINSA_10device_ptrIxEEEEPS6_SG_NS0_5tupleIJNSA_16discard_iteratorINSA_11use_defaultEEESF_EEENSH_IJSG_SG_EEES6_PlJ7is_evenIxEEEE10hipError_tPvRmT3_T4_T5_T6_T7_T9_mT8_P12ihipStream_tbDpT10_ENKUlT_T0_E_clISt17integral_constantIbLb1EES18_IbLb0EEEEDaS14_S15_EUlS14_E_NS1_11comp_targetILNS1_3genE8ELNS1_11target_archE1030ELNS1_3gpuE2ELNS1_3repE0EEENS1_30default_config_static_selectorELNS0_4arch9wavefront6targetE1EEEvT1_,"axG",@progbits,_ZN7rocprim17ROCPRIM_400000_NS6detail17trampoline_kernelINS0_14default_configENS1_25partition_config_selectorILNS1_17partition_subalgoE0ExNS0_10empty_typeEbEEZZNS1_14partition_implILS5_0ELb0ES3_jN6thrust23THRUST_200600_302600_NS6detail15normal_iteratorINSA_10device_ptrIxEEEEPS6_SG_NS0_5tupleIJNSA_16discard_iteratorINSA_11use_defaultEEESF_EEENSH_IJSG_SG_EEES6_PlJ7is_evenIxEEEE10hipError_tPvRmT3_T4_T5_T6_T7_T9_mT8_P12ihipStream_tbDpT10_ENKUlT_T0_E_clISt17integral_constantIbLb1EES18_IbLb0EEEEDaS14_S15_EUlS14_E_NS1_11comp_targetILNS1_3genE8ELNS1_11target_archE1030ELNS1_3gpuE2ELNS1_3repE0EEENS1_30default_config_static_selectorELNS0_4arch9wavefront6targetE1EEEvT1_,comdat
	.protected	_ZN7rocprim17ROCPRIM_400000_NS6detail17trampoline_kernelINS0_14default_configENS1_25partition_config_selectorILNS1_17partition_subalgoE0ExNS0_10empty_typeEbEEZZNS1_14partition_implILS5_0ELb0ES3_jN6thrust23THRUST_200600_302600_NS6detail15normal_iteratorINSA_10device_ptrIxEEEEPS6_SG_NS0_5tupleIJNSA_16discard_iteratorINSA_11use_defaultEEESF_EEENSH_IJSG_SG_EEES6_PlJ7is_evenIxEEEE10hipError_tPvRmT3_T4_T5_T6_T7_T9_mT8_P12ihipStream_tbDpT10_ENKUlT_T0_E_clISt17integral_constantIbLb1EES18_IbLb0EEEEDaS14_S15_EUlS14_E_NS1_11comp_targetILNS1_3genE8ELNS1_11target_archE1030ELNS1_3gpuE2ELNS1_3repE0EEENS1_30default_config_static_selectorELNS0_4arch9wavefront6targetE1EEEvT1_ ; -- Begin function _ZN7rocprim17ROCPRIM_400000_NS6detail17trampoline_kernelINS0_14default_configENS1_25partition_config_selectorILNS1_17partition_subalgoE0ExNS0_10empty_typeEbEEZZNS1_14partition_implILS5_0ELb0ES3_jN6thrust23THRUST_200600_302600_NS6detail15normal_iteratorINSA_10device_ptrIxEEEEPS6_SG_NS0_5tupleIJNSA_16discard_iteratorINSA_11use_defaultEEESF_EEENSH_IJSG_SG_EEES6_PlJ7is_evenIxEEEE10hipError_tPvRmT3_T4_T5_T6_T7_T9_mT8_P12ihipStream_tbDpT10_ENKUlT_T0_E_clISt17integral_constantIbLb1EES18_IbLb0EEEEDaS14_S15_EUlS14_E_NS1_11comp_targetILNS1_3genE8ELNS1_11target_archE1030ELNS1_3gpuE2ELNS1_3repE0EEENS1_30default_config_static_selectorELNS0_4arch9wavefront6targetE1EEEvT1_
	.globl	_ZN7rocprim17ROCPRIM_400000_NS6detail17trampoline_kernelINS0_14default_configENS1_25partition_config_selectorILNS1_17partition_subalgoE0ExNS0_10empty_typeEbEEZZNS1_14partition_implILS5_0ELb0ES3_jN6thrust23THRUST_200600_302600_NS6detail15normal_iteratorINSA_10device_ptrIxEEEEPS6_SG_NS0_5tupleIJNSA_16discard_iteratorINSA_11use_defaultEEESF_EEENSH_IJSG_SG_EEES6_PlJ7is_evenIxEEEE10hipError_tPvRmT3_T4_T5_T6_T7_T9_mT8_P12ihipStream_tbDpT10_ENKUlT_T0_E_clISt17integral_constantIbLb1EES18_IbLb0EEEEDaS14_S15_EUlS14_E_NS1_11comp_targetILNS1_3genE8ELNS1_11target_archE1030ELNS1_3gpuE2ELNS1_3repE0EEENS1_30default_config_static_selectorELNS0_4arch9wavefront6targetE1EEEvT1_
	.p2align	8
	.type	_ZN7rocprim17ROCPRIM_400000_NS6detail17trampoline_kernelINS0_14default_configENS1_25partition_config_selectorILNS1_17partition_subalgoE0ExNS0_10empty_typeEbEEZZNS1_14partition_implILS5_0ELb0ES3_jN6thrust23THRUST_200600_302600_NS6detail15normal_iteratorINSA_10device_ptrIxEEEEPS6_SG_NS0_5tupleIJNSA_16discard_iteratorINSA_11use_defaultEEESF_EEENSH_IJSG_SG_EEES6_PlJ7is_evenIxEEEE10hipError_tPvRmT3_T4_T5_T6_T7_T9_mT8_P12ihipStream_tbDpT10_ENKUlT_T0_E_clISt17integral_constantIbLb1EES18_IbLb0EEEEDaS14_S15_EUlS14_E_NS1_11comp_targetILNS1_3genE8ELNS1_11target_archE1030ELNS1_3gpuE2ELNS1_3repE0EEENS1_30default_config_static_selectorELNS0_4arch9wavefront6targetE1EEEvT1_,@function
_ZN7rocprim17ROCPRIM_400000_NS6detail17trampoline_kernelINS0_14default_configENS1_25partition_config_selectorILNS1_17partition_subalgoE0ExNS0_10empty_typeEbEEZZNS1_14partition_implILS5_0ELb0ES3_jN6thrust23THRUST_200600_302600_NS6detail15normal_iteratorINSA_10device_ptrIxEEEEPS6_SG_NS0_5tupleIJNSA_16discard_iteratorINSA_11use_defaultEEESF_EEENSH_IJSG_SG_EEES6_PlJ7is_evenIxEEEE10hipError_tPvRmT3_T4_T5_T6_T7_T9_mT8_P12ihipStream_tbDpT10_ENKUlT_T0_E_clISt17integral_constantIbLb1EES18_IbLb0EEEEDaS14_S15_EUlS14_E_NS1_11comp_targetILNS1_3genE8ELNS1_11target_archE1030ELNS1_3gpuE2ELNS1_3repE0EEENS1_30default_config_static_selectorELNS0_4arch9wavefront6targetE1EEEvT1_: ; @_ZN7rocprim17ROCPRIM_400000_NS6detail17trampoline_kernelINS0_14default_configENS1_25partition_config_selectorILNS1_17partition_subalgoE0ExNS0_10empty_typeEbEEZZNS1_14partition_implILS5_0ELb0ES3_jN6thrust23THRUST_200600_302600_NS6detail15normal_iteratorINSA_10device_ptrIxEEEEPS6_SG_NS0_5tupleIJNSA_16discard_iteratorINSA_11use_defaultEEESF_EEENSH_IJSG_SG_EEES6_PlJ7is_evenIxEEEE10hipError_tPvRmT3_T4_T5_T6_T7_T9_mT8_P12ihipStream_tbDpT10_ENKUlT_T0_E_clISt17integral_constantIbLb1EES18_IbLb0EEEEDaS14_S15_EUlS14_E_NS1_11comp_targetILNS1_3genE8ELNS1_11target_archE1030ELNS1_3gpuE2ELNS1_3repE0EEENS1_30default_config_static_selectorELNS0_4arch9wavefront6targetE1EEEvT1_
; %bb.0:
	.section	.rodata,"a",@progbits
	.p2align	6, 0x0
	.amdhsa_kernel _ZN7rocprim17ROCPRIM_400000_NS6detail17trampoline_kernelINS0_14default_configENS1_25partition_config_selectorILNS1_17partition_subalgoE0ExNS0_10empty_typeEbEEZZNS1_14partition_implILS5_0ELb0ES3_jN6thrust23THRUST_200600_302600_NS6detail15normal_iteratorINSA_10device_ptrIxEEEEPS6_SG_NS0_5tupleIJNSA_16discard_iteratorINSA_11use_defaultEEESF_EEENSH_IJSG_SG_EEES6_PlJ7is_evenIxEEEE10hipError_tPvRmT3_T4_T5_T6_T7_T9_mT8_P12ihipStream_tbDpT10_ENKUlT_T0_E_clISt17integral_constantIbLb1EES18_IbLb0EEEEDaS14_S15_EUlS14_E_NS1_11comp_targetILNS1_3genE8ELNS1_11target_archE1030ELNS1_3gpuE2ELNS1_3repE0EEENS1_30default_config_static_selectorELNS0_4arch9wavefront6targetE1EEEvT1_
		.amdhsa_group_segment_fixed_size 0
		.amdhsa_private_segment_fixed_size 0
		.amdhsa_kernarg_size 128
		.amdhsa_user_sgpr_count 2
		.amdhsa_user_sgpr_dispatch_ptr 0
		.amdhsa_user_sgpr_queue_ptr 0
		.amdhsa_user_sgpr_kernarg_segment_ptr 1
		.amdhsa_user_sgpr_dispatch_id 0
		.amdhsa_user_sgpr_kernarg_preload_length 0
		.amdhsa_user_sgpr_kernarg_preload_offset 0
		.amdhsa_user_sgpr_private_segment_size 0
		.amdhsa_uses_dynamic_stack 0
		.amdhsa_enable_private_segment 0
		.amdhsa_system_sgpr_workgroup_id_x 1
		.amdhsa_system_sgpr_workgroup_id_y 0
		.amdhsa_system_sgpr_workgroup_id_z 0
		.amdhsa_system_sgpr_workgroup_info 0
		.amdhsa_system_vgpr_workitem_id 0
		.amdhsa_next_free_vgpr 1
		.amdhsa_next_free_sgpr 0
		.amdhsa_accum_offset 4
		.amdhsa_reserve_vcc 0
		.amdhsa_float_round_mode_32 0
		.amdhsa_float_round_mode_16_64 0
		.amdhsa_float_denorm_mode_32 3
		.amdhsa_float_denorm_mode_16_64 3
		.amdhsa_dx10_clamp 1
		.amdhsa_ieee_mode 1
		.amdhsa_fp16_overflow 0
		.amdhsa_tg_split 0
		.amdhsa_exception_fp_ieee_invalid_op 0
		.amdhsa_exception_fp_denorm_src 0
		.amdhsa_exception_fp_ieee_div_zero 0
		.amdhsa_exception_fp_ieee_overflow 0
		.amdhsa_exception_fp_ieee_underflow 0
		.amdhsa_exception_fp_ieee_inexact 0
		.amdhsa_exception_int_div_zero 0
	.end_amdhsa_kernel
	.section	.text._ZN7rocprim17ROCPRIM_400000_NS6detail17trampoline_kernelINS0_14default_configENS1_25partition_config_selectorILNS1_17partition_subalgoE0ExNS0_10empty_typeEbEEZZNS1_14partition_implILS5_0ELb0ES3_jN6thrust23THRUST_200600_302600_NS6detail15normal_iteratorINSA_10device_ptrIxEEEEPS6_SG_NS0_5tupleIJNSA_16discard_iteratorINSA_11use_defaultEEESF_EEENSH_IJSG_SG_EEES6_PlJ7is_evenIxEEEE10hipError_tPvRmT3_T4_T5_T6_T7_T9_mT8_P12ihipStream_tbDpT10_ENKUlT_T0_E_clISt17integral_constantIbLb1EES18_IbLb0EEEEDaS14_S15_EUlS14_E_NS1_11comp_targetILNS1_3genE8ELNS1_11target_archE1030ELNS1_3gpuE2ELNS1_3repE0EEENS1_30default_config_static_selectorELNS0_4arch9wavefront6targetE1EEEvT1_,"axG",@progbits,_ZN7rocprim17ROCPRIM_400000_NS6detail17trampoline_kernelINS0_14default_configENS1_25partition_config_selectorILNS1_17partition_subalgoE0ExNS0_10empty_typeEbEEZZNS1_14partition_implILS5_0ELb0ES3_jN6thrust23THRUST_200600_302600_NS6detail15normal_iteratorINSA_10device_ptrIxEEEEPS6_SG_NS0_5tupleIJNSA_16discard_iteratorINSA_11use_defaultEEESF_EEENSH_IJSG_SG_EEES6_PlJ7is_evenIxEEEE10hipError_tPvRmT3_T4_T5_T6_T7_T9_mT8_P12ihipStream_tbDpT10_ENKUlT_T0_E_clISt17integral_constantIbLb1EES18_IbLb0EEEEDaS14_S15_EUlS14_E_NS1_11comp_targetILNS1_3genE8ELNS1_11target_archE1030ELNS1_3gpuE2ELNS1_3repE0EEENS1_30default_config_static_selectorELNS0_4arch9wavefront6targetE1EEEvT1_,comdat
.Lfunc_end2674:
	.size	_ZN7rocprim17ROCPRIM_400000_NS6detail17trampoline_kernelINS0_14default_configENS1_25partition_config_selectorILNS1_17partition_subalgoE0ExNS0_10empty_typeEbEEZZNS1_14partition_implILS5_0ELb0ES3_jN6thrust23THRUST_200600_302600_NS6detail15normal_iteratorINSA_10device_ptrIxEEEEPS6_SG_NS0_5tupleIJNSA_16discard_iteratorINSA_11use_defaultEEESF_EEENSH_IJSG_SG_EEES6_PlJ7is_evenIxEEEE10hipError_tPvRmT3_T4_T5_T6_T7_T9_mT8_P12ihipStream_tbDpT10_ENKUlT_T0_E_clISt17integral_constantIbLb1EES18_IbLb0EEEEDaS14_S15_EUlS14_E_NS1_11comp_targetILNS1_3genE8ELNS1_11target_archE1030ELNS1_3gpuE2ELNS1_3repE0EEENS1_30default_config_static_selectorELNS0_4arch9wavefront6targetE1EEEvT1_, .Lfunc_end2674-_ZN7rocprim17ROCPRIM_400000_NS6detail17trampoline_kernelINS0_14default_configENS1_25partition_config_selectorILNS1_17partition_subalgoE0ExNS0_10empty_typeEbEEZZNS1_14partition_implILS5_0ELb0ES3_jN6thrust23THRUST_200600_302600_NS6detail15normal_iteratorINSA_10device_ptrIxEEEEPS6_SG_NS0_5tupleIJNSA_16discard_iteratorINSA_11use_defaultEEESF_EEENSH_IJSG_SG_EEES6_PlJ7is_evenIxEEEE10hipError_tPvRmT3_T4_T5_T6_T7_T9_mT8_P12ihipStream_tbDpT10_ENKUlT_T0_E_clISt17integral_constantIbLb1EES18_IbLb0EEEEDaS14_S15_EUlS14_E_NS1_11comp_targetILNS1_3genE8ELNS1_11target_archE1030ELNS1_3gpuE2ELNS1_3repE0EEENS1_30default_config_static_selectorELNS0_4arch9wavefront6targetE1EEEvT1_
                                        ; -- End function
	.section	.AMDGPU.csdata,"",@progbits
; Kernel info:
; codeLenInByte = 0
; NumSgprs: 6
; NumVgprs: 0
; NumAgprs: 0
; TotalNumVgprs: 0
; ScratchSize: 0
; MemoryBound: 0
; FloatMode: 240
; IeeeMode: 1
; LDSByteSize: 0 bytes/workgroup (compile time only)
; SGPRBlocks: 0
; VGPRBlocks: 0
; NumSGPRsForWavesPerEU: 6
; NumVGPRsForWavesPerEU: 1
; AccumOffset: 4
; Occupancy: 8
; WaveLimiterHint : 0
; COMPUTE_PGM_RSRC2:SCRATCH_EN: 0
; COMPUTE_PGM_RSRC2:USER_SGPR: 2
; COMPUTE_PGM_RSRC2:TRAP_HANDLER: 0
; COMPUTE_PGM_RSRC2:TGID_X_EN: 1
; COMPUTE_PGM_RSRC2:TGID_Y_EN: 0
; COMPUTE_PGM_RSRC2:TGID_Z_EN: 0
; COMPUTE_PGM_RSRC2:TIDIG_COMP_CNT: 0
; COMPUTE_PGM_RSRC3_GFX90A:ACCUM_OFFSET: 0
; COMPUTE_PGM_RSRC3_GFX90A:TG_SPLIT: 0
	.section	.text._ZN7rocprim17ROCPRIM_400000_NS6detail17trampoline_kernelINS0_14default_configENS1_25partition_config_selectorILNS1_17partition_subalgoE0ExNS0_10empty_typeEbEEZZNS1_14partition_implILS5_0ELb0ES3_jN6thrust23THRUST_200600_302600_NS6detail15normal_iteratorINSA_10device_ptrIxEEEEPS6_SG_NS0_5tupleIJNSA_16discard_iteratorINSA_11use_defaultEEESF_EEENSH_IJSG_SG_EEES6_PlJ7is_evenIxEEEE10hipError_tPvRmT3_T4_T5_T6_T7_T9_mT8_P12ihipStream_tbDpT10_ENKUlT_T0_E_clISt17integral_constantIbLb0EES18_IbLb1EEEEDaS14_S15_EUlS14_E_NS1_11comp_targetILNS1_3genE0ELNS1_11target_archE4294967295ELNS1_3gpuE0ELNS1_3repE0EEENS1_30default_config_static_selectorELNS0_4arch9wavefront6targetE1EEEvT1_,"axG",@progbits,_ZN7rocprim17ROCPRIM_400000_NS6detail17trampoline_kernelINS0_14default_configENS1_25partition_config_selectorILNS1_17partition_subalgoE0ExNS0_10empty_typeEbEEZZNS1_14partition_implILS5_0ELb0ES3_jN6thrust23THRUST_200600_302600_NS6detail15normal_iteratorINSA_10device_ptrIxEEEEPS6_SG_NS0_5tupleIJNSA_16discard_iteratorINSA_11use_defaultEEESF_EEENSH_IJSG_SG_EEES6_PlJ7is_evenIxEEEE10hipError_tPvRmT3_T4_T5_T6_T7_T9_mT8_P12ihipStream_tbDpT10_ENKUlT_T0_E_clISt17integral_constantIbLb0EES18_IbLb1EEEEDaS14_S15_EUlS14_E_NS1_11comp_targetILNS1_3genE0ELNS1_11target_archE4294967295ELNS1_3gpuE0ELNS1_3repE0EEENS1_30default_config_static_selectorELNS0_4arch9wavefront6targetE1EEEvT1_,comdat
	.protected	_ZN7rocprim17ROCPRIM_400000_NS6detail17trampoline_kernelINS0_14default_configENS1_25partition_config_selectorILNS1_17partition_subalgoE0ExNS0_10empty_typeEbEEZZNS1_14partition_implILS5_0ELb0ES3_jN6thrust23THRUST_200600_302600_NS6detail15normal_iteratorINSA_10device_ptrIxEEEEPS6_SG_NS0_5tupleIJNSA_16discard_iteratorINSA_11use_defaultEEESF_EEENSH_IJSG_SG_EEES6_PlJ7is_evenIxEEEE10hipError_tPvRmT3_T4_T5_T6_T7_T9_mT8_P12ihipStream_tbDpT10_ENKUlT_T0_E_clISt17integral_constantIbLb0EES18_IbLb1EEEEDaS14_S15_EUlS14_E_NS1_11comp_targetILNS1_3genE0ELNS1_11target_archE4294967295ELNS1_3gpuE0ELNS1_3repE0EEENS1_30default_config_static_selectorELNS0_4arch9wavefront6targetE1EEEvT1_ ; -- Begin function _ZN7rocprim17ROCPRIM_400000_NS6detail17trampoline_kernelINS0_14default_configENS1_25partition_config_selectorILNS1_17partition_subalgoE0ExNS0_10empty_typeEbEEZZNS1_14partition_implILS5_0ELb0ES3_jN6thrust23THRUST_200600_302600_NS6detail15normal_iteratorINSA_10device_ptrIxEEEEPS6_SG_NS0_5tupleIJNSA_16discard_iteratorINSA_11use_defaultEEESF_EEENSH_IJSG_SG_EEES6_PlJ7is_evenIxEEEE10hipError_tPvRmT3_T4_T5_T6_T7_T9_mT8_P12ihipStream_tbDpT10_ENKUlT_T0_E_clISt17integral_constantIbLb0EES18_IbLb1EEEEDaS14_S15_EUlS14_E_NS1_11comp_targetILNS1_3genE0ELNS1_11target_archE4294967295ELNS1_3gpuE0ELNS1_3repE0EEENS1_30default_config_static_selectorELNS0_4arch9wavefront6targetE1EEEvT1_
	.globl	_ZN7rocprim17ROCPRIM_400000_NS6detail17trampoline_kernelINS0_14default_configENS1_25partition_config_selectorILNS1_17partition_subalgoE0ExNS0_10empty_typeEbEEZZNS1_14partition_implILS5_0ELb0ES3_jN6thrust23THRUST_200600_302600_NS6detail15normal_iteratorINSA_10device_ptrIxEEEEPS6_SG_NS0_5tupleIJNSA_16discard_iteratorINSA_11use_defaultEEESF_EEENSH_IJSG_SG_EEES6_PlJ7is_evenIxEEEE10hipError_tPvRmT3_T4_T5_T6_T7_T9_mT8_P12ihipStream_tbDpT10_ENKUlT_T0_E_clISt17integral_constantIbLb0EES18_IbLb1EEEEDaS14_S15_EUlS14_E_NS1_11comp_targetILNS1_3genE0ELNS1_11target_archE4294967295ELNS1_3gpuE0ELNS1_3repE0EEENS1_30default_config_static_selectorELNS0_4arch9wavefront6targetE1EEEvT1_
	.p2align	8
	.type	_ZN7rocprim17ROCPRIM_400000_NS6detail17trampoline_kernelINS0_14default_configENS1_25partition_config_selectorILNS1_17partition_subalgoE0ExNS0_10empty_typeEbEEZZNS1_14partition_implILS5_0ELb0ES3_jN6thrust23THRUST_200600_302600_NS6detail15normal_iteratorINSA_10device_ptrIxEEEEPS6_SG_NS0_5tupleIJNSA_16discard_iteratorINSA_11use_defaultEEESF_EEENSH_IJSG_SG_EEES6_PlJ7is_evenIxEEEE10hipError_tPvRmT3_T4_T5_T6_T7_T9_mT8_P12ihipStream_tbDpT10_ENKUlT_T0_E_clISt17integral_constantIbLb0EES18_IbLb1EEEEDaS14_S15_EUlS14_E_NS1_11comp_targetILNS1_3genE0ELNS1_11target_archE4294967295ELNS1_3gpuE0ELNS1_3repE0EEENS1_30default_config_static_selectorELNS0_4arch9wavefront6targetE1EEEvT1_,@function
_ZN7rocprim17ROCPRIM_400000_NS6detail17trampoline_kernelINS0_14default_configENS1_25partition_config_selectorILNS1_17partition_subalgoE0ExNS0_10empty_typeEbEEZZNS1_14partition_implILS5_0ELb0ES3_jN6thrust23THRUST_200600_302600_NS6detail15normal_iteratorINSA_10device_ptrIxEEEEPS6_SG_NS0_5tupleIJNSA_16discard_iteratorINSA_11use_defaultEEESF_EEENSH_IJSG_SG_EEES6_PlJ7is_evenIxEEEE10hipError_tPvRmT3_T4_T5_T6_T7_T9_mT8_P12ihipStream_tbDpT10_ENKUlT_T0_E_clISt17integral_constantIbLb0EES18_IbLb1EEEEDaS14_S15_EUlS14_E_NS1_11comp_targetILNS1_3genE0ELNS1_11target_archE4294967295ELNS1_3gpuE0ELNS1_3repE0EEENS1_30default_config_static_selectorELNS0_4arch9wavefront6targetE1EEEvT1_: ; @_ZN7rocprim17ROCPRIM_400000_NS6detail17trampoline_kernelINS0_14default_configENS1_25partition_config_selectorILNS1_17partition_subalgoE0ExNS0_10empty_typeEbEEZZNS1_14partition_implILS5_0ELb0ES3_jN6thrust23THRUST_200600_302600_NS6detail15normal_iteratorINSA_10device_ptrIxEEEEPS6_SG_NS0_5tupleIJNSA_16discard_iteratorINSA_11use_defaultEEESF_EEENSH_IJSG_SG_EEES6_PlJ7is_evenIxEEEE10hipError_tPvRmT3_T4_T5_T6_T7_T9_mT8_P12ihipStream_tbDpT10_ENKUlT_T0_E_clISt17integral_constantIbLb0EES18_IbLb1EEEEDaS14_S15_EUlS14_E_NS1_11comp_targetILNS1_3genE0ELNS1_11target_archE4294967295ELNS1_3gpuE0ELNS1_3repE0EEENS1_30default_config_static_selectorELNS0_4arch9wavefront6targetE1EEEvT1_
; %bb.0:
	.section	.rodata,"a",@progbits
	.p2align	6, 0x0
	.amdhsa_kernel _ZN7rocprim17ROCPRIM_400000_NS6detail17trampoline_kernelINS0_14default_configENS1_25partition_config_selectorILNS1_17partition_subalgoE0ExNS0_10empty_typeEbEEZZNS1_14partition_implILS5_0ELb0ES3_jN6thrust23THRUST_200600_302600_NS6detail15normal_iteratorINSA_10device_ptrIxEEEEPS6_SG_NS0_5tupleIJNSA_16discard_iteratorINSA_11use_defaultEEESF_EEENSH_IJSG_SG_EEES6_PlJ7is_evenIxEEEE10hipError_tPvRmT3_T4_T5_T6_T7_T9_mT8_P12ihipStream_tbDpT10_ENKUlT_T0_E_clISt17integral_constantIbLb0EES18_IbLb1EEEEDaS14_S15_EUlS14_E_NS1_11comp_targetILNS1_3genE0ELNS1_11target_archE4294967295ELNS1_3gpuE0ELNS1_3repE0EEENS1_30default_config_static_selectorELNS0_4arch9wavefront6targetE1EEEvT1_
		.amdhsa_group_segment_fixed_size 0
		.amdhsa_private_segment_fixed_size 0
		.amdhsa_kernarg_size 144
		.amdhsa_user_sgpr_count 2
		.amdhsa_user_sgpr_dispatch_ptr 0
		.amdhsa_user_sgpr_queue_ptr 0
		.amdhsa_user_sgpr_kernarg_segment_ptr 1
		.amdhsa_user_sgpr_dispatch_id 0
		.amdhsa_user_sgpr_kernarg_preload_length 0
		.amdhsa_user_sgpr_kernarg_preload_offset 0
		.amdhsa_user_sgpr_private_segment_size 0
		.amdhsa_uses_dynamic_stack 0
		.amdhsa_enable_private_segment 0
		.amdhsa_system_sgpr_workgroup_id_x 1
		.amdhsa_system_sgpr_workgroup_id_y 0
		.amdhsa_system_sgpr_workgroup_id_z 0
		.amdhsa_system_sgpr_workgroup_info 0
		.amdhsa_system_vgpr_workitem_id 0
		.amdhsa_next_free_vgpr 1
		.amdhsa_next_free_sgpr 0
		.amdhsa_accum_offset 4
		.amdhsa_reserve_vcc 0
		.amdhsa_float_round_mode_32 0
		.amdhsa_float_round_mode_16_64 0
		.amdhsa_float_denorm_mode_32 3
		.amdhsa_float_denorm_mode_16_64 3
		.amdhsa_dx10_clamp 1
		.amdhsa_ieee_mode 1
		.amdhsa_fp16_overflow 0
		.amdhsa_tg_split 0
		.amdhsa_exception_fp_ieee_invalid_op 0
		.amdhsa_exception_fp_denorm_src 0
		.amdhsa_exception_fp_ieee_div_zero 0
		.amdhsa_exception_fp_ieee_overflow 0
		.amdhsa_exception_fp_ieee_underflow 0
		.amdhsa_exception_fp_ieee_inexact 0
		.amdhsa_exception_int_div_zero 0
	.end_amdhsa_kernel
	.section	.text._ZN7rocprim17ROCPRIM_400000_NS6detail17trampoline_kernelINS0_14default_configENS1_25partition_config_selectorILNS1_17partition_subalgoE0ExNS0_10empty_typeEbEEZZNS1_14partition_implILS5_0ELb0ES3_jN6thrust23THRUST_200600_302600_NS6detail15normal_iteratorINSA_10device_ptrIxEEEEPS6_SG_NS0_5tupleIJNSA_16discard_iteratorINSA_11use_defaultEEESF_EEENSH_IJSG_SG_EEES6_PlJ7is_evenIxEEEE10hipError_tPvRmT3_T4_T5_T6_T7_T9_mT8_P12ihipStream_tbDpT10_ENKUlT_T0_E_clISt17integral_constantIbLb0EES18_IbLb1EEEEDaS14_S15_EUlS14_E_NS1_11comp_targetILNS1_3genE0ELNS1_11target_archE4294967295ELNS1_3gpuE0ELNS1_3repE0EEENS1_30default_config_static_selectorELNS0_4arch9wavefront6targetE1EEEvT1_,"axG",@progbits,_ZN7rocprim17ROCPRIM_400000_NS6detail17trampoline_kernelINS0_14default_configENS1_25partition_config_selectorILNS1_17partition_subalgoE0ExNS0_10empty_typeEbEEZZNS1_14partition_implILS5_0ELb0ES3_jN6thrust23THRUST_200600_302600_NS6detail15normal_iteratorINSA_10device_ptrIxEEEEPS6_SG_NS0_5tupleIJNSA_16discard_iteratorINSA_11use_defaultEEESF_EEENSH_IJSG_SG_EEES6_PlJ7is_evenIxEEEE10hipError_tPvRmT3_T4_T5_T6_T7_T9_mT8_P12ihipStream_tbDpT10_ENKUlT_T0_E_clISt17integral_constantIbLb0EES18_IbLb1EEEEDaS14_S15_EUlS14_E_NS1_11comp_targetILNS1_3genE0ELNS1_11target_archE4294967295ELNS1_3gpuE0ELNS1_3repE0EEENS1_30default_config_static_selectorELNS0_4arch9wavefront6targetE1EEEvT1_,comdat
.Lfunc_end2675:
	.size	_ZN7rocprim17ROCPRIM_400000_NS6detail17trampoline_kernelINS0_14default_configENS1_25partition_config_selectorILNS1_17partition_subalgoE0ExNS0_10empty_typeEbEEZZNS1_14partition_implILS5_0ELb0ES3_jN6thrust23THRUST_200600_302600_NS6detail15normal_iteratorINSA_10device_ptrIxEEEEPS6_SG_NS0_5tupleIJNSA_16discard_iteratorINSA_11use_defaultEEESF_EEENSH_IJSG_SG_EEES6_PlJ7is_evenIxEEEE10hipError_tPvRmT3_T4_T5_T6_T7_T9_mT8_P12ihipStream_tbDpT10_ENKUlT_T0_E_clISt17integral_constantIbLb0EES18_IbLb1EEEEDaS14_S15_EUlS14_E_NS1_11comp_targetILNS1_3genE0ELNS1_11target_archE4294967295ELNS1_3gpuE0ELNS1_3repE0EEENS1_30default_config_static_selectorELNS0_4arch9wavefront6targetE1EEEvT1_, .Lfunc_end2675-_ZN7rocprim17ROCPRIM_400000_NS6detail17trampoline_kernelINS0_14default_configENS1_25partition_config_selectorILNS1_17partition_subalgoE0ExNS0_10empty_typeEbEEZZNS1_14partition_implILS5_0ELb0ES3_jN6thrust23THRUST_200600_302600_NS6detail15normal_iteratorINSA_10device_ptrIxEEEEPS6_SG_NS0_5tupleIJNSA_16discard_iteratorINSA_11use_defaultEEESF_EEENSH_IJSG_SG_EEES6_PlJ7is_evenIxEEEE10hipError_tPvRmT3_T4_T5_T6_T7_T9_mT8_P12ihipStream_tbDpT10_ENKUlT_T0_E_clISt17integral_constantIbLb0EES18_IbLb1EEEEDaS14_S15_EUlS14_E_NS1_11comp_targetILNS1_3genE0ELNS1_11target_archE4294967295ELNS1_3gpuE0ELNS1_3repE0EEENS1_30default_config_static_selectorELNS0_4arch9wavefront6targetE1EEEvT1_
                                        ; -- End function
	.section	.AMDGPU.csdata,"",@progbits
; Kernel info:
; codeLenInByte = 0
; NumSgprs: 6
; NumVgprs: 0
; NumAgprs: 0
; TotalNumVgprs: 0
; ScratchSize: 0
; MemoryBound: 0
; FloatMode: 240
; IeeeMode: 1
; LDSByteSize: 0 bytes/workgroup (compile time only)
; SGPRBlocks: 0
; VGPRBlocks: 0
; NumSGPRsForWavesPerEU: 6
; NumVGPRsForWavesPerEU: 1
; AccumOffset: 4
; Occupancy: 8
; WaveLimiterHint : 0
; COMPUTE_PGM_RSRC2:SCRATCH_EN: 0
; COMPUTE_PGM_RSRC2:USER_SGPR: 2
; COMPUTE_PGM_RSRC2:TRAP_HANDLER: 0
; COMPUTE_PGM_RSRC2:TGID_X_EN: 1
; COMPUTE_PGM_RSRC2:TGID_Y_EN: 0
; COMPUTE_PGM_RSRC2:TGID_Z_EN: 0
; COMPUTE_PGM_RSRC2:TIDIG_COMP_CNT: 0
; COMPUTE_PGM_RSRC3_GFX90A:ACCUM_OFFSET: 0
; COMPUTE_PGM_RSRC3_GFX90A:TG_SPLIT: 0
	.section	.text._ZN7rocprim17ROCPRIM_400000_NS6detail17trampoline_kernelINS0_14default_configENS1_25partition_config_selectorILNS1_17partition_subalgoE0ExNS0_10empty_typeEbEEZZNS1_14partition_implILS5_0ELb0ES3_jN6thrust23THRUST_200600_302600_NS6detail15normal_iteratorINSA_10device_ptrIxEEEEPS6_SG_NS0_5tupleIJNSA_16discard_iteratorINSA_11use_defaultEEESF_EEENSH_IJSG_SG_EEES6_PlJ7is_evenIxEEEE10hipError_tPvRmT3_T4_T5_T6_T7_T9_mT8_P12ihipStream_tbDpT10_ENKUlT_T0_E_clISt17integral_constantIbLb0EES18_IbLb1EEEEDaS14_S15_EUlS14_E_NS1_11comp_targetILNS1_3genE5ELNS1_11target_archE942ELNS1_3gpuE9ELNS1_3repE0EEENS1_30default_config_static_selectorELNS0_4arch9wavefront6targetE1EEEvT1_,"axG",@progbits,_ZN7rocprim17ROCPRIM_400000_NS6detail17trampoline_kernelINS0_14default_configENS1_25partition_config_selectorILNS1_17partition_subalgoE0ExNS0_10empty_typeEbEEZZNS1_14partition_implILS5_0ELb0ES3_jN6thrust23THRUST_200600_302600_NS6detail15normal_iteratorINSA_10device_ptrIxEEEEPS6_SG_NS0_5tupleIJNSA_16discard_iteratorINSA_11use_defaultEEESF_EEENSH_IJSG_SG_EEES6_PlJ7is_evenIxEEEE10hipError_tPvRmT3_T4_T5_T6_T7_T9_mT8_P12ihipStream_tbDpT10_ENKUlT_T0_E_clISt17integral_constantIbLb0EES18_IbLb1EEEEDaS14_S15_EUlS14_E_NS1_11comp_targetILNS1_3genE5ELNS1_11target_archE942ELNS1_3gpuE9ELNS1_3repE0EEENS1_30default_config_static_selectorELNS0_4arch9wavefront6targetE1EEEvT1_,comdat
	.protected	_ZN7rocprim17ROCPRIM_400000_NS6detail17trampoline_kernelINS0_14default_configENS1_25partition_config_selectorILNS1_17partition_subalgoE0ExNS0_10empty_typeEbEEZZNS1_14partition_implILS5_0ELb0ES3_jN6thrust23THRUST_200600_302600_NS6detail15normal_iteratorINSA_10device_ptrIxEEEEPS6_SG_NS0_5tupleIJNSA_16discard_iteratorINSA_11use_defaultEEESF_EEENSH_IJSG_SG_EEES6_PlJ7is_evenIxEEEE10hipError_tPvRmT3_T4_T5_T6_T7_T9_mT8_P12ihipStream_tbDpT10_ENKUlT_T0_E_clISt17integral_constantIbLb0EES18_IbLb1EEEEDaS14_S15_EUlS14_E_NS1_11comp_targetILNS1_3genE5ELNS1_11target_archE942ELNS1_3gpuE9ELNS1_3repE0EEENS1_30default_config_static_selectorELNS0_4arch9wavefront6targetE1EEEvT1_ ; -- Begin function _ZN7rocprim17ROCPRIM_400000_NS6detail17trampoline_kernelINS0_14default_configENS1_25partition_config_selectorILNS1_17partition_subalgoE0ExNS0_10empty_typeEbEEZZNS1_14partition_implILS5_0ELb0ES3_jN6thrust23THRUST_200600_302600_NS6detail15normal_iteratorINSA_10device_ptrIxEEEEPS6_SG_NS0_5tupleIJNSA_16discard_iteratorINSA_11use_defaultEEESF_EEENSH_IJSG_SG_EEES6_PlJ7is_evenIxEEEE10hipError_tPvRmT3_T4_T5_T6_T7_T9_mT8_P12ihipStream_tbDpT10_ENKUlT_T0_E_clISt17integral_constantIbLb0EES18_IbLb1EEEEDaS14_S15_EUlS14_E_NS1_11comp_targetILNS1_3genE5ELNS1_11target_archE942ELNS1_3gpuE9ELNS1_3repE0EEENS1_30default_config_static_selectorELNS0_4arch9wavefront6targetE1EEEvT1_
	.globl	_ZN7rocprim17ROCPRIM_400000_NS6detail17trampoline_kernelINS0_14default_configENS1_25partition_config_selectorILNS1_17partition_subalgoE0ExNS0_10empty_typeEbEEZZNS1_14partition_implILS5_0ELb0ES3_jN6thrust23THRUST_200600_302600_NS6detail15normal_iteratorINSA_10device_ptrIxEEEEPS6_SG_NS0_5tupleIJNSA_16discard_iteratorINSA_11use_defaultEEESF_EEENSH_IJSG_SG_EEES6_PlJ7is_evenIxEEEE10hipError_tPvRmT3_T4_T5_T6_T7_T9_mT8_P12ihipStream_tbDpT10_ENKUlT_T0_E_clISt17integral_constantIbLb0EES18_IbLb1EEEEDaS14_S15_EUlS14_E_NS1_11comp_targetILNS1_3genE5ELNS1_11target_archE942ELNS1_3gpuE9ELNS1_3repE0EEENS1_30default_config_static_selectorELNS0_4arch9wavefront6targetE1EEEvT1_
	.p2align	8
	.type	_ZN7rocprim17ROCPRIM_400000_NS6detail17trampoline_kernelINS0_14default_configENS1_25partition_config_selectorILNS1_17partition_subalgoE0ExNS0_10empty_typeEbEEZZNS1_14partition_implILS5_0ELb0ES3_jN6thrust23THRUST_200600_302600_NS6detail15normal_iteratorINSA_10device_ptrIxEEEEPS6_SG_NS0_5tupleIJNSA_16discard_iteratorINSA_11use_defaultEEESF_EEENSH_IJSG_SG_EEES6_PlJ7is_evenIxEEEE10hipError_tPvRmT3_T4_T5_T6_T7_T9_mT8_P12ihipStream_tbDpT10_ENKUlT_T0_E_clISt17integral_constantIbLb0EES18_IbLb1EEEEDaS14_S15_EUlS14_E_NS1_11comp_targetILNS1_3genE5ELNS1_11target_archE942ELNS1_3gpuE9ELNS1_3repE0EEENS1_30default_config_static_selectorELNS0_4arch9wavefront6targetE1EEEvT1_,@function
_ZN7rocprim17ROCPRIM_400000_NS6detail17trampoline_kernelINS0_14default_configENS1_25partition_config_selectorILNS1_17partition_subalgoE0ExNS0_10empty_typeEbEEZZNS1_14partition_implILS5_0ELb0ES3_jN6thrust23THRUST_200600_302600_NS6detail15normal_iteratorINSA_10device_ptrIxEEEEPS6_SG_NS0_5tupleIJNSA_16discard_iteratorINSA_11use_defaultEEESF_EEENSH_IJSG_SG_EEES6_PlJ7is_evenIxEEEE10hipError_tPvRmT3_T4_T5_T6_T7_T9_mT8_P12ihipStream_tbDpT10_ENKUlT_T0_E_clISt17integral_constantIbLb0EES18_IbLb1EEEEDaS14_S15_EUlS14_E_NS1_11comp_targetILNS1_3genE5ELNS1_11target_archE942ELNS1_3gpuE9ELNS1_3repE0EEENS1_30default_config_static_selectorELNS0_4arch9wavefront6targetE1EEEvT1_: ; @_ZN7rocprim17ROCPRIM_400000_NS6detail17trampoline_kernelINS0_14default_configENS1_25partition_config_selectorILNS1_17partition_subalgoE0ExNS0_10empty_typeEbEEZZNS1_14partition_implILS5_0ELb0ES3_jN6thrust23THRUST_200600_302600_NS6detail15normal_iteratorINSA_10device_ptrIxEEEEPS6_SG_NS0_5tupleIJNSA_16discard_iteratorINSA_11use_defaultEEESF_EEENSH_IJSG_SG_EEES6_PlJ7is_evenIxEEEE10hipError_tPvRmT3_T4_T5_T6_T7_T9_mT8_P12ihipStream_tbDpT10_ENKUlT_T0_E_clISt17integral_constantIbLb0EES18_IbLb1EEEEDaS14_S15_EUlS14_E_NS1_11comp_targetILNS1_3genE5ELNS1_11target_archE942ELNS1_3gpuE9ELNS1_3repE0EEENS1_30default_config_static_selectorELNS0_4arch9wavefront6targetE1EEEvT1_
; %bb.0:
	s_load_dwordx2 s[2:3], s[0:1], 0x60
	s_load_dwordx4 s[24:27], s[0:1], 0x50
	s_load_dwordx2 s[36:37], s[0:1], 0x70
	v_cmp_eq_u32_e64 s[20:21], 0, v0
	s_and_saveexec_b64 s[4:5], s[20:21]
	s_cbranch_execz .LBB2676_4
; %bb.1:
	s_mov_b64 s[8:9], exec
	v_mbcnt_lo_u32_b32 v1, s8, 0
	v_mbcnt_hi_u32_b32 v1, s9, v1
	v_cmp_eq_u32_e32 vcc, 0, v1
                                        ; implicit-def: $vgpr2
	s_and_saveexec_b64 s[6:7], vcc
	s_cbranch_execz .LBB2676_3
; %bb.2:
	s_load_dwordx2 s[10:11], s[0:1], 0x80
	s_bcnt1_i32_b64 s8, s[8:9]
	v_mov_b32_e32 v2, 0
	v_mov_b32_e32 v3, s8
	s_waitcnt lgkmcnt(0)
	global_atomic_add v2, v2, v3, s[10:11] sc0
.LBB2676_3:
	s_or_b64 exec, exec, s[6:7]
	s_waitcnt vmcnt(0)
	v_readfirstlane_b32 s6, v2
	v_mov_b32_e32 v2, 0
	s_nop 0
	v_add_u32_e32 v1, s6, v1
	ds_write_b32 v2, v1
.LBB2676_4:
	s_or_b64 exec, exec, s[4:5]
	v_mov_b32_e32 v19, 0
	s_load_dwordx4 s[28:31], s[0:1], 0x8
	s_load_dwordx2 s[34:35], s[0:1], 0x38
	s_load_dword s4, s[0:1], 0x78
	s_waitcnt lgkmcnt(0)
	s_barrier
	ds_read_b32 v1, v19
	s_waitcnt lgkmcnt(0)
	s_barrier
	global_load_dwordx2 v[20:21], v19, s[26:27]
	v_mov_b32_e32 v3, s3
	s_lshl_b64 s[0:1], s[30:31], 3
	s_movk_i32 s3, 0xe00
	s_add_u32 s0, s28, s0
	v_mul_lo_u32 v18, v1, s3
	s_mul_i32 s3, s4, 0xe00
	s_addc_u32 s1, s29, s1
	s_add_i32 s5, s4, -1
	s_add_i32 s4, s3, s30
	s_sub_i32 s33, s2, s4
	s_addk_i32 s33, 0xe00
	v_mov_b32_e32 v2, s2
	s_add_u32 s2, s30, s3
	v_readfirstlane_b32 s38, v1
	s_addc_u32 s3, s31, 0
	s_cmp_eq_u32 s38, s5
	s_cselect_b64 s[22:23], -1, 0
	s_cmp_lg_u32 s38, s5
	v_cmp_lt_u64_e32 vcc, s[2:3], v[2:3]
	s_cselect_b64 s[2:3], -1, 0
	s_or_b64 s[4:5], vcc, s[2:3]
	v_lshlrev_b64 v[22:23], 3, v[18:19]
	v_lshl_add_u64 v[24:25], s[0:1], 0, v[22:23]
	s_mov_b64 s[0:1], -1
	s_and_b64 vcc, exec, s[4:5]
	v_lshlrev_b32_e32 v18, 3, v0
	s_cbranch_vccz .LBB2676_6
; %bb.5:
	v_lshl_add_u64 v[2:3], v[24:25], 0, v[18:19]
	v_add_co_u32_e32 v4, vcc, 0x1000, v2
	s_mov_b64 s[0:1], 0
	s_nop 0
	v_addc_co_u32_e32 v5, vcc, 0, v3, vcc
	v_add_co_u32_e32 v6, vcc, 0x2000, v2
	s_nop 1
	v_addc_co_u32_e32 v7, vcc, 0, v3, vcc
	v_add_co_u32_e32 v8, vcc, 0x3000, v2
	s_nop 1
	v_addc_co_u32_e32 v9, vcc, 0, v3, vcc
	flat_load_dwordx2 v[10:11], v[2:3]
	flat_load_dwordx2 v[12:13], v[4:5]
	flat_load_dwordx2 v[14:15], v[6:7]
	flat_load_dwordx2 v[16:17], v[8:9]
	v_add_co_u32_e32 v4, vcc, 0x4000, v2
	s_nop 1
	v_addc_co_u32_e32 v5, vcc, 0, v3, vcc
	v_add_co_u32_e32 v6, vcc, 0x5000, v2
	s_nop 1
	v_addc_co_u32_e32 v7, vcc, 0, v3, vcc
	;; [unrolled: 3-line block ×3, first 2 shown]
	flat_load_dwordx2 v[8:9], v[4:5]
	flat_load_dwordx2 v[26:27], v[6:7]
	;; [unrolled: 1-line block ×3, first 2 shown]
	s_waitcnt vmcnt(0) lgkmcnt(0)
	ds_write2st64_b64 v18, v[10:11], v[12:13] offset1:8
	ds_write2st64_b64 v18, v[14:15], v[16:17] offset0:16 offset1:24
	ds_write2st64_b64 v18, v[8:9], v[26:27] offset0:32 offset1:40
	ds_write_b64 v18, v[28:29] offset:24576
	s_waitcnt lgkmcnt(0)
	s_barrier
.LBB2676_6:
	s_andn2_b64 vcc, exec, s[0:1]
	v_cmp_gt_u32_e64 s[0:1], s33, v0
	s_cbranch_vccnz .LBB2676_22
; %bb.7:
                                        ; implicit-def: $vgpr2_vgpr3_vgpr4_vgpr5_vgpr6_vgpr7_vgpr8_vgpr9_vgpr10_vgpr11_vgpr12_vgpr13_vgpr14_vgpr15_vgpr16_vgpr17
	s_and_saveexec_b64 s[2:3], s[0:1]
	s_cbranch_execz .LBB2676_9
; %bb.8:
	v_mov_b32_e32 v19, 0
	v_lshl_add_u64 v[2:3], v[24:25], 0, v[18:19]
	flat_load_dwordx2 v[2:3], v[2:3]
.LBB2676_9:
	s_or_b64 exec, exec, s[2:3]
	v_or_b32_e32 v1, 0x200, v0
	v_cmp_gt_u32_e32 vcc, s33, v1
	s_and_saveexec_b64 s[0:1], vcc
	s_cbranch_execz .LBB2676_11
; %bb.10:
	v_lshlrev_b32_e32 v4, 3, v1
	v_mov_b32_e32 v5, 0
	v_lshl_add_u64 v[4:5], v[24:25], 0, v[4:5]
	flat_load_dwordx2 v[4:5], v[4:5]
.LBB2676_11:
	s_or_b64 exec, exec, s[0:1]
	v_or_b32_e32 v1, 0x400, v0
	v_cmp_gt_u32_e32 vcc, s33, v1
	s_and_saveexec_b64 s[0:1], vcc
	s_cbranch_execz .LBB2676_13
; %bb.12:
	v_lshlrev_b32_e32 v6, 3, v1
	v_mov_b32_e32 v7, 0
	v_lshl_add_u64 v[6:7], v[24:25], 0, v[6:7]
	flat_load_dwordx2 v[6:7], v[6:7]
.LBB2676_13:
	s_or_b64 exec, exec, s[0:1]
	v_or_b32_e32 v1, 0x600, v0
	v_cmp_gt_u32_e32 vcc, s33, v1
	s_and_saveexec_b64 s[0:1], vcc
	s_cbranch_execz .LBB2676_15
; %bb.14:
	v_lshlrev_b32_e32 v8, 3, v1
	v_mov_b32_e32 v9, 0
	v_lshl_add_u64 v[8:9], v[24:25], 0, v[8:9]
	flat_load_dwordx2 v[8:9], v[8:9]
.LBB2676_15:
	s_or_b64 exec, exec, s[0:1]
	v_or_b32_e32 v1, 0x800, v0
	v_cmp_gt_u32_e32 vcc, s33, v1
	s_and_saveexec_b64 s[0:1], vcc
	s_cbranch_execz .LBB2676_17
; %bb.16:
	v_lshlrev_b32_e32 v10, 3, v1
	v_mov_b32_e32 v11, 0
	v_lshl_add_u64 v[10:11], v[24:25], 0, v[10:11]
	flat_load_dwordx2 v[10:11], v[10:11]
.LBB2676_17:
	s_or_b64 exec, exec, s[0:1]
	v_or_b32_e32 v1, 0xa00, v0
	v_cmp_gt_u32_e32 vcc, s33, v1
	s_and_saveexec_b64 s[0:1], vcc
	s_cbranch_execz .LBB2676_19
; %bb.18:
	v_lshlrev_b32_e32 v12, 3, v1
	v_mov_b32_e32 v13, 0
	v_lshl_add_u64 v[12:13], v[24:25], 0, v[12:13]
	flat_load_dwordx2 v[12:13], v[12:13]
.LBB2676_19:
	s_or_b64 exec, exec, s[0:1]
	v_or_b32_e32 v1, 0xc00, v0
	v_cmp_gt_u32_e32 vcc, s33, v1
	s_and_saveexec_b64 s[0:1], vcc
	s_cbranch_execz .LBB2676_21
; %bb.20:
	v_lshlrev_b32_e32 v14, 3, v1
	v_mov_b32_e32 v15, 0
	v_lshl_add_u64 v[14:15], v[24:25], 0, v[14:15]
	flat_load_dwordx2 v[14:15], v[14:15]
.LBB2676_21:
	s_or_b64 exec, exec, s[0:1]
	s_waitcnt vmcnt(0) lgkmcnt(0)
	ds_write2st64_b64 v18, v[2:3], v[4:5] offset1:8
	ds_write2st64_b64 v18, v[6:7], v[8:9] offset0:16 offset1:24
	ds_write2st64_b64 v18, v[10:11], v[12:13] offset0:32 offset1:40
	ds_write_b64 v18, v[14:15] offset:24576
	s_waitcnt lgkmcnt(0)
	s_barrier
.LBB2676_22:
	v_mul_u32_u24_e32 v1, 7, v0
	v_lshlrev_b32_e32 v36, 3, v1
	ds_read2_b64 v[10:13], v36 offset1:1
	ds_read2_b64 v[6:9], v36 offset0:2 offset1:3
	ds_read2_b64 v[2:5], v36 offset0:4 offset1:5
	ds_read_b64 v[14:15], v36 offset:48
	v_cndmask_b32_e64 v16, 0, 1, s[4:5]
	v_cmp_ne_u32_e64 s[2:3], 1, v16
	s_andn2_b64 vcc, exec, s[4:5]
	s_waitcnt lgkmcnt(3)
	v_xor_b32_e32 v28, -1, v10
	v_xor_b32_e32 v27, -1, v12
	s_waitcnt lgkmcnt(2)
	v_xor_b32_e32 v26, -1, v6
	v_xor_b32_e32 v25, -1, v8
	;; [unrolled: 3-line block ×3, first 2 shown]
	s_waitcnt lgkmcnt(0)
	v_xor_b32_e32 v16, -1, v14
	s_barrier
	s_cbranch_vccnz .LBB2676_24
; %bb.23:
	v_mov_b32_e32 v19, 1
	v_and_b32_e32 v29, 1, v28
	v_and_b32_sdwa v30, v27, v19 dst_sel:BYTE_1 dst_unused:UNUSED_PAD src0_sel:DWORD src1_sel:DWORD
	v_and_b32_e32 v31, 1, v26
	v_and_b32_sdwa v34, v25, v19 dst_sel:BYTE_1 dst_unused:UNUSED_PAD src0_sel:DWORD src1_sel:DWORD
	v_or_b32_e32 v29, v29, v30
	v_or_b32_sdwa v30, v31, v34 dst_sel:WORD_1 dst_unused:UNUSED_PAD src0_sel:DWORD src1_sel:DWORD
	v_and_b32_e32 v33, 1, v24
	v_and_b32_e32 v32, 1, v17
	;; [unrolled: 1-line block ×3, first 2 shown]
	v_or_b32_sdwa v34, v29, v30 dst_sel:DWORD dst_unused:UNUSED_PAD src0_sel:WORD_0 src1_sel:DWORD
	s_cbranch_execz .LBB2676_25
	s_branch .LBB2676_26
.LBB2676_24:
                                        ; implicit-def: $vgpr19
                                        ; implicit-def: $vgpr32
                                        ; implicit-def: $vgpr33
                                        ; implicit-def: $vgpr34
.LBB2676_25:
	v_add_u32_e32 v19, 1, v1
	v_cmp_gt_u32_e32 vcc, s33, v1
	v_add_u32_e32 v29, 2, v1
	v_add_u32_e32 v30, 3, v1
	v_cndmask_b32_e64 v33, 0, 1, vcc
	v_cmp_gt_u32_e32 vcc, s33, v19
	v_add_u32_e32 v31, 4, v1
	v_add_u32_e32 v32, 5, v1
	v_cndmask_b32_e64 v19, 0, 1, vcc
	v_cmp_gt_u32_e32 vcc, s33, v29
	v_and_b32_sdwa v27, v19, v27 dst_sel:BYTE_1 dst_unused:UNUSED_PAD src0_sel:DWORD src1_sel:DWORD
	v_add_u32_e32 v34, 6, v1
	v_cndmask_b32_e64 v19, 0, 1, vcc
	v_cmp_gt_u32_e32 vcc, s33, v30
	v_and_b32_e32 v26, v19, v26
	v_and_b32_e32 v28, v33, v28
	v_cndmask_b32_e64 v19, 0, 1, vcc
	v_cmp_gt_u32_e32 vcc, s33, v31
	v_and_b32_sdwa v25, v19, v25 dst_sel:BYTE_1 dst_unused:UNUSED_PAD src0_sel:DWORD src1_sel:DWORD
	s_nop 0
	v_cndmask_b32_e64 v19, 0, 1, vcc
	v_cmp_gt_u32_e32 vcc, s33, v32
	v_and_b32_e32 v33, v19, v24
	s_nop 0
	v_cndmask_b32_e64 v19, 0, 1, vcc
	v_cmp_gt_u32_e32 vcc, s33, v34
	v_and_b32_e32 v32, v19, v17
	s_nop 0
	v_cndmask_b32_e64 v17, 0, 1, vcc
	v_and_b32_e32 v19, v17, v16
	v_or_b32_e32 v16, v28, v27
	v_or_b32_sdwa v17, v26, v25 dst_sel:WORD_1 dst_unused:UNUSED_PAD src0_sel:DWORD src1_sel:DWORD
	s_nop 0
	v_or_b32_sdwa v34, v16, v17 dst_sel:DWORD dst_unused:UNUSED_PAD src0_sel:WORD_0 src1_sel:DWORD
.LBB2676_26:
	v_and_b32_e32 v37, 0xff, v34
	v_bfe_u32 v38, v34, 8, 8
	v_bfe_u32 v39, v34, 16, 8
	v_lshrrev_b32_e32 v35, 24, v34
	v_and_b32_e32 v40, 0xff, v33
	v_add3_u32 v17, v38, v37, v39
	v_and_b32_e32 v41, 0xff, v32
	v_and_b32_e32 v16, 0xff, v19
	v_add3_u32 v17, v17, v35, v40
	v_add3_u32 v44, v17, v41, v16
	v_mbcnt_lo_u32_b32 v16, -1, 0
	v_mbcnt_hi_u32_b32 v42, -1, v16
	v_and_b32_e32 v16, 15, v42
	v_cmp_eq_u32_e64 s[16:17], 0, v16
	v_cmp_lt_u32_e64 s[14:15], 1, v16
	v_cmp_lt_u32_e64 s[12:13], 3, v16
	;; [unrolled: 1-line block ×3, first 2 shown]
	v_and_b32_e32 v16, 16, v42
	v_cmp_eq_u32_e64 s[8:9], 0, v16
	v_or_b32_e32 v16, 63, v0
	s_cmp_lg_u32 s38, 0
	v_cmp_lt_u32_e64 s[4:5], 31, v42
	v_lshrrev_b32_e32 v43, 6, v0
	v_cmp_eq_u32_e64 s[6:7], v16, v0
	s_cbranch_scc0 .LBB2676_53
; %bb.27:
	v_mov_b32_dpp v16, v44 row_shr:1 row_mask:0xf bank_mask:0xf
	v_cndmask_b32_e64 v16, v16, 0, s[16:17]
	v_add_u32_e32 v16, v16, v44
	s_nop 1
	v_mov_b32_dpp v17, v16 row_shr:2 row_mask:0xf bank_mask:0xf
	v_cndmask_b32_e64 v17, 0, v17, s[14:15]
	v_add_u32_e32 v16, v16, v17
	s_nop 1
	;; [unrolled: 4-line block ×4, first 2 shown]
	v_mov_b32_dpp v17, v16 row_bcast:15 row_mask:0xf bank_mask:0xf
	v_cndmask_b32_e64 v17, v17, 0, s[8:9]
	v_add_u32_e32 v16, v16, v17
	s_nop 1
	v_mov_b32_dpp v17, v16 row_bcast:31 row_mask:0xf bank_mask:0xf
	v_cndmask_b32_e64 v17, 0, v17, s[4:5]
	v_add_u32_e32 v16, v16, v17
	s_and_saveexec_b64 s[0:1], s[6:7]
	s_cbranch_execz .LBB2676_29
; %bb.28:
	v_lshlrev_b32_e32 v17, 2, v43
	ds_write_b32 v17, v16
.LBB2676_29:
	s_or_b64 exec, exec, s[0:1]
	v_cmp_gt_u32_e32 vcc, 8, v0
	s_waitcnt lgkmcnt(0)
	s_barrier
	s_and_saveexec_b64 s[0:1], vcc
	s_cbranch_execz .LBB2676_31
; %bb.30:
	v_lshlrev_b32_e32 v17, 2, v0
	ds_read_b32 v24, v17
	v_and_b32_e32 v25, 7, v42
	v_cmp_ne_u32_e32 vcc, 0, v25
	s_waitcnt lgkmcnt(0)
	v_mov_b32_dpp v26, v24 row_shr:1 row_mask:0xf bank_mask:0xf
	v_cndmask_b32_e32 v26, 0, v26, vcc
	v_add_u32_e32 v24, v26, v24
	v_cmp_lt_u32_e32 vcc, 1, v25
	s_nop 0
	v_mov_b32_dpp v26, v24 row_shr:2 row_mask:0xf bank_mask:0xf
	v_cndmask_b32_e32 v26, 0, v26, vcc
	v_add_u32_e32 v24, v24, v26
	v_cmp_lt_u32_e32 vcc, 3, v25
	s_nop 0
	v_mov_b32_dpp v26, v24 row_shr:4 row_mask:0xf bank_mask:0xf
	v_cndmask_b32_e32 v25, 0, v26, vcc
	v_add_u32_e32 v24, v24, v25
	ds_write_b32 v17, v24
.LBB2676_31:
	s_or_b64 exec, exec, s[0:1]
	v_cmp_gt_u32_e32 vcc, 64, v0
	v_cmp_lt_u32_e64 s[0:1], 63, v0
	s_waitcnt lgkmcnt(0)
	s_barrier
	s_waitcnt lgkmcnt(0)
                                        ; implicit-def: $vgpr45
	s_and_saveexec_b64 s[18:19], s[0:1]
	s_cbranch_execz .LBB2676_33
; %bb.32:
	v_lshl_add_u32 v17, v43, 2, -4
	ds_read_b32 v45, v17
	s_waitcnt lgkmcnt(0)
	v_add_u32_e32 v16, v45, v16
.LBB2676_33:
	s_or_b64 exec, exec, s[18:19]
	v_add_u32_e32 v17, -1, v42
	v_and_b32_e32 v24, 64, v42
	v_cmp_lt_i32_e64 s[0:1], v17, v24
	v_cmp_eq_u32_e64 s[18:19], 0, v42
	s_nop 0
	v_cndmask_b32_e64 v17, v17, v42, s[0:1]
	v_lshlrev_b32_e32 v17, 2, v17
	ds_bpermute_b32 v46, v17, v16
	s_and_saveexec_b64 s[0:1], vcc
	s_cbranch_execz .LBB2676_52
; %bb.34:
	v_mov_b32_e32 v29, 0
	ds_read_b32 v16, v29 offset:28
	s_and_saveexec_b64 s[26:27], s[18:19]
	s_cbranch_execz .LBB2676_36
; %bb.35:
	s_add_i32 s28, s38, 64
	s_mov_b32 s29, 0
	s_lshl_b64 s[28:29], s[28:29], 3
	s_add_u32 s28, s36, s28
	v_mov_b32_e32 v17, 1
	s_addc_u32 s29, s37, s29
	s_waitcnt lgkmcnt(0)
	global_store_dwordx2 v29, v[16:17], s[28:29] sc1
.LBB2676_36:
	s_or_b64 exec, exec, s[26:27]
	v_xad_u32 v24, v42, -1, s38
	v_add_u32_e32 v28, 64, v24
	v_lshl_add_u64 v[30:31], v[28:29], 3, s[36:37]
	global_load_dwordx2 v[26:27], v[30:31], off sc1
	s_waitcnt vmcnt(0)
	v_cmp_eq_u16_sdwa s[28:29], v27, v29 src0_sel:BYTE_0 src1_sel:DWORD
	s_and_saveexec_b64 s[26:27], s[28:29]
	s_cbranch_execz .LBB2676_40
; %bb.37:
	s_mov_b64 s[28:29], 0
	v_mov_b32_e32 v17, 0
.LBB2676_38:                            ; =>This Inner Loop Header: Depth=1
	global_load_dwordx2 v[26:27], v[30:31], off sc1
	s_waitcnt vmcnt(0)
	v_cmp_ne_u16_sdwa s[40:41], v27, v17 src0_sel:BYTE_0 src1_sel:DWORD
	s_or_b64 s[28:29], s[40:41], s[28:29]
	s_andn2_b64 exec, exec, s[28:29]
	s_cbranch_execnz .LBB2676_38
; %bb.39:
	s_or_b64 exec, exec, s[28:29]
.LBB2676_40:
	s_or_b64 exec, exec, s[26:27]
	v_and_b32_e32 v48, 63, v42
	v_mov_b32_e32 v47, 2
	v_cmp_ne_u32_e32 vcc, 63, v48
	v_cmp_eq_u16_sdwa s[26:27], v27, v47 src0_sel:BYTE_0 src1_sel:DWORD
	v_lshlrev_b64 v[28:29], v42, -1
	v_addc_co_u32_e32 v30, vcc, 0, v42, vcc
	v_and_b32_e32 v17, s27, v29
	v_lshlrev_b32_e32 v49, 2, v30
	v_or_b32_e32 v17, 0x80000000, v17
	ds_bpermute_b32 v30, v49, v26
	v_and_b32_e32 v25, s26, v28
	v_ffbl_b32_e32 v17, v17
	v_add_u32_e32 v17, 32, v17
	v_ffbl_b32_e32 v25, v25
	v_min_u32_e32 v17, v25, v17
	v_cmp_lt_u32_e32 vcc, v48, v17
	v_add_u32_e32 v51, 2, v48
	v_add_u32_e32 v53, 4, v48
	s_waitcnt lgkmcnt(0)
	v_cndmask_b32_e32 v25, 0, v30, vcc
	v_cmp_gt_u32_e32 vcc, 62, v48
	v_add_u32_e32 v25, v25, v26
	v_add_u32_e32 v55, 8, v48
	v_cndmask_b32_e64 v26, 0, 1, vcc
	v_lshlrev_b32_e32 v26, 1, v26
	v_add_lshl_u32 v50, v26, v42, 2
	ds_bpermute_b32 v26, v50, v25
	v_cmp_le_u32_e32 vcc, v51, v17
	v_add_u32_e32 v57, 16, v48
	v_add_u32_e32 v59, 32, v48
	s_waitcnt lgkmcnt(0)
	v_cndmask_b32_e32 v26, 0, v26, vcc
	v_cmp_gt_u32_e32 vcc, 60, v48
	v_add_u32_e32 v25, v25, v26
	s_nop 0
	v_cndmask_b32_e64 v26, 0, 1, vcc
	v_lshlrev_b32_e32 v26, 2, v26
	v_add_lshl_u32 v52, v26, v42, 2
	ds_bpermute_b32 v26, v52, v25
	v_cmp_le_u32_e32 vcc, v53, v17
	s_waitcnt lgkmcnt(0)
	s_nop 0
	v_cndmask_b32_e32 v26, 0, v26, vcc
	v_cmp_gt_u32_e32 vcc, 56, v48
	v_add_u32_e32 v25, v25, v26
	s_nop 0
	v_cndmask_b32_e64 v26, 0, 1, vcc
	v_lshlrev_b32_e32 v26, 3, v26
	v_add_lshl_u32 v54, v26, v42, 2
	ds_bpermute_b32 v26, v54, v25
	v_cmp_le_u32_e32 vcc, v55, v17
	s_waitcnt lgkmcnt(0)
	s_nop 0
	;; [unrolled: 11-line block ×4, first 2 shown]
	v_cndmask_b32_e32 v17, 0, v26, vcc
	v_add_u32_e32 v26, v25, v17
	v_mov_b32_e32 v25, 0
	s_branch .LBB2676_42
.LBB2676_41:                            ;   in Loop: Header=BB2676_42 Depth=1
	s_or_b64 exec, exec, s[26:27]
	v_cmp_eq_u16_sdwa s[26:27], v27, v47 src0_sel:BYTE_0 src1_sel:DWORD
	ds_bpermute_b32 v60, v49, v26
	v_subrev_u32_e32 v24, 64, v24
	v_and_b32_e32 v30, s27, v29
	v_or_b32_e32 v30, 0x80000000, v30
	v_and_b32_e32 v31, s26, v28
	v_ffbl_b32_e32 v30, v30
	v_add_u32_e32 v30, 32, v30
	v_ffbl_b32_e32 v31, v31
	v_min_u32_e32 v30, v31, v30
	v_cmp_lt_u32_e32 vcc, v48, v30
	s_waitcnt lgkmcnt(0)
	s_nop 0
	v_cndmask_b32_e32 v31, 0, v60, vcc
	v_add_u32_e32 v26, v31, v26
	ds_bpermute_b32 v31, v50, v26
	v_cmp_le_u32_e32 vcc, v51, v30
	s_waitcnt lgkmcnt(0)
	s_nop 0
	v_cndmask_b32_e32 v31, 0, v31, vcc
	v_add_u32_e32 v26, v26, v31
	ds_bpermute_b32 v31, v52, v26
	v_cmp_le_u32_e32 vcc, v53, v30
	;; [unrolled: 6-line block ×5, first 2 shown]
	s_waitcnt lgkmcnt(0)
	s_nop 0
	v_cndmask_b32_e32 v30, 0, v31, vcc
	v_add3_u32 v26, v30, v17, v26
.LBB2676_42:                            ; =>This Loop Header: Depth=1
                                        ;     Child Loop BB2676_45 Depth 2
	v_cmp_ne_u16_sdwa s[26:27], v27, v47 src0_sel:BYTE_0 src1_sel:DWORD
	s_nop 1
	v_cndmask_b32_e64 v17, 0, 1, s[26:27]
	;;#ASMSTART
	;;#ASMEND
	s_nop 0
	v_cmp_ne_u32_e32 vcc, 0, v17
	s_cmp_lg_u64 vcc, exec
	v_mov_b32_e32 v17, v26
	s_cbranch_scc1 .LBB2676_47
; %bb.43:                               ;   in Loop: Header=BB2676_42 Depth=1
	v_lshl_add_u64 v[30:31], v[24:25], 3, s[36:37]
	global_load_dwordx2 v[26:27], v[30:31], off sc1
	s_waitcnt vmcnt(0)
	v_cmp_eq_u16_sdwa s[28:29], v27, v25 src0_sel:BYTE_0 src1_sel:DWORD
	s_and_saveexec_b64 s[26:27], s[28:29]
	s_cbranch_execz .LBB2676_41
; %bb.44:                               ;   in Loop: Header=BB2676_42 Depth=1
	s_mov_b64 s[28:29], 0
.LBB2676_45:                            ;   Parent Loop BB2676_42 Depth=1
                                        ; =>  This Inner Loop Header: Depth=2
	global_load_dwordx2 v[26:27], v[30:31], off sc1
	s_waitcnt vmcnt(0)
	v_cmp_ne_u16_sdwa s[40:41], v27, v25 src0_sel:BYTE_0 src1_sel:DWORD
	s_or_b64 s[28:29], s[40:41], s[28:29]
	s_andn2_b64 exec, exec, s[28:29]
	s_cbranch_execnz .LBB2676_45
; %bb.46:                               ;   in Loop: Header=BB2676_42 Depth=1
	s_or_b64 exec, exec, s[28:29]
	s_branch .LBB2676_41
.LBB2676_47:                            ;   in Loop: Header=BB2676_42 Depth=1
                                        ; implicit-def: $vgpr26
                                        ; implicit-def: $vgpr27
	s_cbranch_execz .LBB2676_42
; %bb.48:
	s_and_saveexec_b64 s[26:27], s[18:19]
	s_cbranch_execz .LBB2676_50
; %bb.49:
	s_add_i32 s28, s38, 64
	s_mov_b32 s29, 0
	s_lshl_b64 s[28:29], s[28:29], 3
	s_add_u32 s28, s36, s28
	v_add_u32_e32 v24, v17, v16
	v_mov_b32_e32 v25, 2
	s_addc_u32 s29, s37, s29
	v_mov_b32_e32 v26, 0
	global_store_dwordx2 v26, v[24:25], s[28:29] sc1
	ds_write_b64 v26, v[16:17] offset:28672
.LBB2676_50:
	s_or_b64 exec, exec, s[26:27]
	s_and_b64 exec, exec, s[20:21]
	s_cbranch_execz .LBB2676_52
; %bb.51:
	v_mov_b32_e32 v16, 0
	ds_write_b32 v16, v17 offset:28
.LBB2676_52:
	s_or_b64 exec, exec, s[0:1]
	v_mov_b32_e32 v16, 0
	s_waitcnt lgkmcnt(0)
	s_barrier
	ds_read_b32 v17, v16 offset:28
	v_cndmask_b32_e64 v24, v46, v45, s[18:19]
	v_cndmask_b32_e64 v24, v24, 0, s[20:21]
	s_waitcnt lgkmcnt(0)
	s_barrier
	v_add_u32_e32 v31, v17, v24
	v_add_u32_e32 v30, v31, v37
	ds_read_b64 v[16:17], v16 offset:28672
	v_add_u32_e32 v29, v30, v38
	v_add_u32_e32 v28, v29, v39
	;; [unrolled: 1-line block ×5, first 2 shown]
	s_waitcnt lgkmcnt(0)
	v_mov_b32_e32 v26, v17
	s_branch .LBB2676_63
.LBB2676_53:
                                        ; implicit-def: $vgpr26
                                        ; implicit-def: $vgpr16
                                        ; implicit-def: $vgpr24
                                        ; implicit-def: $vgpr25
                                        ; implicit-def: $vgpr27
                                        ; implicit-def: $vgpr28
                                        ; implicit-def: $vgpr29
                                        ; implicit-def: $vgpr30
                                        ; implicit-def: $vgpr31
	s_cbranch_execz .LBB2676_63
; %bb.54:
	s_nop 0
	v_mov_b32_dpp v16, v44 row_shr:1 row_mask:0xf bank_mask:0xf
	v_cndmask_b32_e64 v16, v16, 0, s[16:17]
	v_add_u32_e32 v16, v16, v44
	s_nop 1
	v_mov_b32_dpp v17, v16 row_shr:2 row_mask:0xf bank_mask:0xf
	v_cndmask_b32_e64 v17, 0, v17, s[14:15]
	v_add_u32_e32 v16, v16, v17
	;; [unrolled: 4-line block ×4, first 2 shown]
	s_nop 1
	v_mov_b32_dpp v17, v16 row_bcast:15 row_mask:0xf bank_mask:0xf
	v_cndmask_b32_e64 v17, v17, 0, s[8:9]
	v_add_u32_e32 v16, v16, v17
	s_nop 1
	v_mov_b32_dpp v17, v16 row_bcast:31 row_mask:0xf bank_mask:0xf
	v_cndmask_b32_e64 v17, 0, v17, s[4:5]
	v_add_u32_e32 v16, v16, v17
	s_and_saveexec_b64 s[0:1], s[6:7]
	s_cbranch_execz .LBB2676_56
; %bb.55:
	v_lshlrev_b32_e32 v17, 2, v43
	ds_write_b32 v17, v16
.LBB2676_56:
	s_or_b64 exec, exec, s[0:1]
	v_cmp_gt_u32_e32 vcc, 8, v0
	s_waitcnt lgkmcnt(0)
	s_barrier
	s_and_saveexec_b64 s[0:1], vcc
	s_cbranch_execz .LBB2676_58
; %bb.57:
	s_movk_i32 s4, 0xffcc
	v_mad_i32_i24 v17, v0, s4, v36
	ds_read_b32 v24, v17
	v_and_b32_e32 v25, 7, v42
	v_cmp_ne_u32_e32 vcc, 0, v25
	s_waitcnt lgkmcnt(0)
	v_mov_b32_dpp v26, v24 row_shr:1 row_mask:0xf bank_mask:0xf
	v_cndmask_b32_e32 v26, 0, v26, vcc
	v_add_u32_e32 v24, v26, v24
	v_cmp_lt_u32_e32 vcc, 1, v25
	s_nop 0
	v_mov_b32_dpp v26, v24 row_shr:2 row_mask:0xf bank_mask:0xf
	v_cndmask_b32_e32 v26, 0, v26, vcc
	v_add_u32_e32 v24, v24, v26
	v_cmp_lt_u32_e32 vcc, 3, v25
	s_nop 0
	v_mov_b32_dpp v26, v24 row_shr:4 row_mask:0xf bank_mask:0xf
	v_cndmask_b32_e32 v25, 0, v26, vcc
	v_add_u32_e32 v24, v24, v25
	ds_write_b32 v17, v24
.LBB2676_58:
	s_or_b64 exec, exec, s[0:1]
	v_cmp_lt_u32_e32 vcc, 63, v0
	v_mov_b32_e32 v17, 0
	v_mov_b32_e32 v24, 0
	s_waitcnt lgkmcnt(0)
	s_barrier
	s_and_saveexec_b64 s[0:1], vcc
	s_cbranch_execz .LBB2676_60
; %bb.59:
	v_lshl_add_u32 v24, v43, 2, -4
	ds_read_b32 v24, v24
.LBB2676_60:
	s_or_b64 exec, exec, s[0:1]
	v_add_u32_e32 v25, -1, v42
	v_and_b32_e32 v26, 64, v42
	v_cmp_lt_i32_e32 vcc, v25, v26
	s_waitcnt lgkmcnt(0)
	v_add_u32_e32 v16, v24, v16
	v_cndmask_b32_e32 v25, v25, v42, vcc
	v_lshlrev_b32_e32 v25, 2, v25
	ds_bpermute_b32 v25, v25, v16
	ds_read_b32 v16, v17 offset:28
	s_and_saveexec_b64 s[0:1], s[20:21]
	s_cbranch_execz .LBB2676_62
; %bb.61:
	v_mov_b32_e32 v26, 0
	v_mov_b32_e32 v17, 2
	s_waitcnt lgkmcnt(0)
	global_store_dwordx2 v26, v[16:17], s[36:37] offset:512 sc1
.LBB2676_62:
	s_or_b64 exec, exec, s[0:1]
	v_cmp_eq_u32_e32 vcc, 0, v42
	v_mov_b32_e32 v26, 0
	s_waitcnt lgkmcnt(0)
	v_cndmask_b32_e32 v17, v25, v24, vcc
	v_cndmask_b32_e64 v31, v17, 0, s[20:21]
	v_add_u32_e32 v30, v31, v37
	v_add_u32_e32 v29, v30, v38
	;; [unrolled: 1-line block ×6, first 2 shown]
	s_barrier
.LBB2676_63:
	v_add_u32_e32 v1, v16, v1
	v_sub_u32_e32 v31, v31, v26
	v_and_b32_e32 v37, 1, v34
	v_sub_u32_e32 v36, v1, v31
	v_cmp_eq_u32_e32 vcc, 1, v37
	v_lshrrev_b32_e32 v17, 8, v34
	v_and_b32_e32 v17, 1, v17
	v_cndmask_b32_e32 v31, v36, v31, vcc
	v_lshlrev_b32_e32 v31, 3, v31
	ds_write_b64 v31, v[10:11]
	v_sub_u32_e32 v10, v30, v26
	v_sub_u32_e32 v11, v1, v10
	v_add_u32_e32 v11, 1, v11
	v_cmp_eq_u32_e32 vcc, 1, v17
	v_or_b32_e32 v31, 0x200, v0
	v_or_b32_e32 v30, 0x400, v0
	v_cndmask_b32_e32 v10, v11, v10, vcc
	v_lshlrev_b32_e32 v10, 3, v10
	ds_write_b64 v10, v[12:13]
	v_sub_u32_e32 v10, v29, v26
	v_mov_b32_e32 v12, 1
	v_sub_u32_e32 v11, v1, v10
	v_and_b32_sdwa v12, v12, v34 dst_sel:DWORD dst_unused:UNUSED_PAD src0_sel:DWORD src1_sel:WORD_1
	v_add_u32_e32 v11, 2, v11
	v_cmp_eq_u32_e32 vcc, 1, v12
	v_or_b32_e32 v29, 0x600, v0
	v_cmp_ge_u32_e64 s[0:1], v0, v16
	v_cndmask_b32_e32 v10, v11, v10, vcc
	v_lshlrev_b32_e32 v10, 3, v10
	ds_write_b64 v10, v[6:7]
	v_sub_u32_e32 v6, v28, v26
	v_sub_u32_e32 v7, v1, v6
	v_and_b32_e32 v10, 1, v35
	v_add_u32_e32 v7, 3, v7
	v_cmp_eq_u32_e32 vcc, 1, v10
	v_or_b32_e32 v28, 0x800, v0
	s_nop 0
	v_cndmask_b32_e32 v6, v7, v6, vcc
	v_lshlrev_b32_e32 v6, 3, v6
	ds_write_b64 v6, v[8:9]
	v_sub_u32_e32 v6, v27, v26
	v_sub_u32_e32 v7, v1, v6
	v_and_b32_e32 v8, 1, v33
	v_add_u32_e32 v7, 4, v7
	v_cmp_eq_u32_e32 vcc, 1, v8
	v_mov_b32_e32 v27, 0
	v_mov_b32_e32 v17, v27
	v_cndmask_b32_e32 v6, v7, v6, vcc
	v_lshlrev_b32_e32 v6, 3, v6
	ds_write_b64 v6, v[2:3]
	v_sub_u32_e32 v2, v25, v26
	v_sub_u32_e32 v3, v1, v2
	v_and_b32_e32 v6, 1, v32
	v_add_u32_e32 v3, 5, v3
	v_cmp_eq_u32_e32 vcc, 1, v6
	s_nop 1
	v_cndmask_b32_e32 v2, v3, v2, vcc
	v_lshlrev_b32_e32 v2, 3, v2
	ds_write_b64 v2, v[4:5]
	v_sub_u32_e32 v2, v24, v26
	v_sub_u32_e32 v1, v1, v2
	v_and_b32_e32 v3, 1, v19
	v_add_u32_e32 v1, 6, v1
	v_cmp_eq_u32_e32 vcc, 1, v3
	v_or_b32_e32 v19, 0xa00, v0
	s_nop 0
	v_cndmask_b32_e32 v1, v1, v2, vcc
	v_lshlrev_b32_e32 v1, 3, v1
	ds_write_b64 v1, v[14:15]
	s_waitcnt vmcnt(0)
	v_lshl_add_u64 v[14:15], v[20:21], 0, v[16:17]
	v_lshl_add_u64 v[14:15], v[14:15], 0, v[26:27]
	s_waitcnt lgkmcnt(0)
	s_barrier
	ds_read2st64_b64 v[10:13], v18 offset1:8
	ds_read2st64_b64 v[6:9], v18 offset0:16 offset1:24
	ds_read2st64_b64 v[2:5], v18 offset0:32 offset1:40
	ds_read_b64 v[24:25], v18 offset:24576
	v_mov_b32_e32 v17, s31
	v_sub_co_u32_e32 v20, vcc, s30, v14
	v_or_b32_e32 v1, 0xc00, v0
	s_nop 0
	v_subb_co_u32_e32 v21, vcc, v17, v15, vcc
	v_lshlrev_b64 v[20:21], 3, v[20:21]
	v_lshl_add_u64 v[20:21], s[34:35], 0, v[20:21]
	v_lshl_add_u64 v[20:21], v[20:21], 0, v[22:23]
	s_and_b64 vcc, exec, s[2:3]
	s_cbranch_vccnz .LBB2676_72
; %bb.64:
	s_and_saveexec_b64 s[2:3], s[0:1]
	s_cbranch_execnz .LBB2676_91
; %bb.65:
	s_or_b64 exec, exec, s[2:3]
	v_cmp_ge_u32_e32 vcc, v31, v16
	s_and_saveexec_b64 s[0:1], vcc
	s_cbranch_execnz .LBB2676_92
.LBB2676_66:
	s_or_b64 exec, exec, s[0:1]
	v_cmp_ge_u32_e32 vcc, v30, v16
	s_and_saveexec_b64 s[0:1], vcc
	s_cbranch_execnz .LBB2676_93
.LBB2676_67:
	s_or_b64 exec, exec, s[0:1]
	v_cmp_ge_u32_e32 vcc, v29, v16
	s_and_saveexec_b64 s[0:1], vcc
	s_cbranch_execnz .LBB2676_94
.LBB2676_68:
	s_or_b64 exec, exec, s[0:1]
	v_cmp_ge_u32_e32 vcc, v28, v16
	s_and_saveexec_b64 s[0:1], vcc
	s_cbranch_execnz .LBB2676_95
.LBB2676_69:
	s_or_b64 exec, exec, s[0:1]
	v_cmp_ge_u32_e32 vcc, v19, v16
	s_and_saveexec_b64 s[0:1], vcc
	s_cbranch_execz .LBB2676_71
.LBB2676_70:
	v_lshlrev_b32_e32 v17, 3, v19
	v_readfirstlane_b32 s2, v20
	v_readfirstlane_b32 s3, v21
	s_waitcnt lgkmcnt(1)
	s_nop 3
	global_store_dwordx2 v17, v[4:5], s[2:3]
.LBB2676_71:
	s_or_b64 exec, exec, s[0:1]
	v_cmp_ge_u32_e64 s[0:1], v1, v16
	s_branch .LBB2676_86
.LBB2676_72:
	s_mov_b64 s[0:1], 0
	s_cbranch_execz .LBB2676_86
; %bb.73:
	v_cmp_gt_u32_e32 vcc, s33, v0
	v_cmp_ge_u32_e64 s[0:1], v0, v16
	s_and_b64 s[2:3], vcc, s[0:1]
	s_and_saveexec_b64 s[0:1], s[2:3]
	s_cbranch_execz .LBB2676_75
; %bb.74:
	v_readfirstlane_b32 s2, v20
	v_readfirstlane_b32 s3, v21
	s_waitcnt lgkmcnt(3)
	s_nop 3
	global_store_dwordx2 v18, v[10:11], s[2:3]
.LBB2676_75:
	s_or_b64 exec, exec, s[0:1]
	v_cmp_gt_u32_e32 vcc, s33, v31
	v_cmp_ge_u32_e64 s[0:1], v31, v16
	s_and_b64 s[2:3], vcc, s[0:1]
	s_and_saveexec_b64 s[0:1], s[2:3]
	s_cbranch_execz .LBB2676_77
; %bb.76:
	v_lshlrev_b32_e32 v0, 3, v31
	v_readfirstlane_b32 s2, v20
	v_readfirstlane_b32 s3, v21
	s_waitcnt lgkmcnt(3)
	s_nop 3
	global_store_dwordx2 v0, v[12:13], s[2:3]
.LBB2676_77:
	s_or_b64 exec, exec, s[0:1]
	v_cmp_gt_u32_e32 vcc, s33, v30
	v_cmp_ge_u32_e64 s[0:1], v30, v16
	s_and_b64 s[2:3], vcc, s[0:1]
	s_and_saveexec_b64 s[0:1], s[2:3]
	s_cbranch_execz .LBB2676_79
; %bb.78:
	v_lshlrev_b32_e32 v0, 3, v30
	v_readfirstlane_b32 s2, v20
	v_readfirstlane_b32 s3, v21
	s_waitcnt lgkmcnt(2)
	s_nop 3
	global_store_dwordx2 v0, v[6:7], s[2:3]
.LBB2676_79:
	;; [unrolled: 14-line block ×5, first 2 shown]
	s_or_b64 exec, exec, s[0:1]
	v_cmp_gt_u32_e32 vcc, s33, v1
	v_cmp_ge_u32_e64 s[0:1], v1, v16
	s_and_b64 s[0:1], vcc, s[0:1]
.LBB2676_86:
	s_and_saveexec_b64 s[2:3], s[0:1]
	s_cbranch_execnz .LBB2676_89
; %bb.87:
	s_or_b64 exec, exec, s[2:3]
	s_and_b64 s[0:1], s[20:21], s[22:23]
	s_and_saveexec_b64 s[2:3], s[0:1]
	s_cbranch_execnz .LBB2676_90
.LBB2676_88:
	s_endpgm
.LBB2676_89:
	v_lshlrev_b32_e32 v0, 3, v1
	v_readfirstlane_b32 s0, v20
	v_readfirstlane_b32 s1, v21
	s_waitcnt lgkmcnt(0)
	s_nop 3
	global_store_dwordx2 v0, v[24:25], s[0:1]
	s_or_b64 exec, exec, s[2:3]
	s_and_b64 s[0:1], s[20:21], s[22:23]
	s_and_saveexec_b64 s[2:3], s[0:1]
	s_cbranch_execz .LBB2676_88
.LBB2676_90:
	v_mov_b32_e32 v0, 0
	global_store_dwordx2 v0, v[14:15], s[24:25]
	s_endpgm
.LBB2676_91:
	v_readfirstlane_b32 s0, v20
	v_readfirstlane_b32 s1, v21
	s_waitcnt lgkmcnt(3)
	s_nop 3
	global_store_dwordx2 v18, v[10:11], s[0:1]
	s_or_b64 exec, exec, s[2:3]
	v_cmp_ge_u32_e32 vcc, v31, v16
	s_and_saveexec_b64 s[0:1], vcc
	s_cbranch_execz .LBB2676_66
.LBB2676_92:
	v_lshlrev_b32_e32 v17, 3, v31
	v_readfirstlane_b32 s2, v20
	v_readfirstlane_b32 s3, v21
	s_waitcnt lgkmcnt(3)
	s_nop 3
	global_store_dwordx2 v17, v[12:13], s[2:3]
	s_or_b64 exec, exec, s[0:1]
	v_cmp_ge_u32_e32 vcc, v30, v16
	s_and_saveexec_b64 s[0:1], vcc
	s_cbranch_execz .LBB2676_67
.LBB2676_93:
	v_lshlrev_b32_e32 v17, 3, v30
	v_readfirstlane_b32 s2, v20
	v_readfirstlane_b32 s3, v21
	s_waitcnt lgkmcnt(2)
	s_nop 3
	global_store_dwordx2 v17, v[6:7], s[2:3]
	s_or_b64 exec, exec, s[0:1]
	v_cmp_ge_u32_e32 vcc, v29, v16
	s_and_saveexec_b64 s[0:1], vcc
	s_cbranch_execz .LBB2676_68
.LBB2676_94:
	v_lshlrev_b32_e32 v17, 3, v29
	v_readfirstlane_b32 s2, v20
	v_readfirstlane_b32 s3, v21
	s_waitcnt lgkmcnt(2)
	s_nop 3
	global_store_dwordx2 v17, v[8:9], s[2:3]
	s_or_b64 exec, exec, s[0:1]
	v_cmp_ge_u32_e32 vcc, v28, v16
	s_and_saveexec_b64 s[0:1], vcc
	s_cbranch_execz .LBB2676_69
.LBB2676_95:
	v_lshlrev_b32_e32 v17, 3, v28
	v_readfirstlane_b32 s2, v20
	v_readfirstlane_b32 s3, v21
	s_waitcnt lgkmcnt(1)
	s_nop 3
	global_store_dwordx2 v17, v[2:3], s[2:3]
	s_or_b64 exec, exec, s[0:1]
	v_cmp_ge_u32_e32 vcc, v19, v16
	s_and_saveexec_b64 s[0:1], vcc
	s_cbranch_execnz .LBB2676_70
	s_branch .LBB2676_71
	.section	.rodata,"a",@progbits
	.p2align	6, 0x0
	.amdhsa_kernel _ZN7rocprim17ROCPRIM_400000_NS6detail17trampoline_kernelINS0_14default_configENS1_25partition_config_selectorILNS1_17partition_subalgoE0ExNS0_10empty_typeEbEEZZNS1_14partition_implILS5_0ELb0ES3_jN6thrust23THRUST_200600_302600_NS6detail15normal_iteratorINSA_10device_ptrIxEEEEPS6_SG_NS0_5tupleIJNSA_16discard_iteratorINSA_11use_defaultEEESF_EEENSH_IJSG_SG_EEES6_PlJ7is_evenIxEEEE10hipError_tPvRmT3_T4_T5_T6_T7_T9_mT8_P12ihipStream_tbDpT10_ENKUlT_T0_E_clISt17integral_constantIbLb0EES18_IbLb1EEEEDaS14_S15_EUlS14_E_NS1_11comp_targetILNS1_3genE5ELNS1_11target_archE942ELNS1_3gpuE9ELNS1_3repE0EEENS1_30default_config_static_selectorELNS0_4arch9wavefront6targetE1EEEvT1_
		.amdhsa_group_segment_fixed_size 28680
		.amdhsa_private_segment_fixed_size 0
		.amdhsa_kernarg_size 144
		.amdhsa_user_sgpr_count 2
		.amdhsa_user_sgpr_dispatch_ptr 0
		.amdhsa_user_sgpr_queue_ptr 0
		.amdhsa_user_sgpr_kernarg_segment_ptr 1
		.amdhsa_user_sgpr_dispatch_id 0
		.amdhsa_user_sgpr_kernarg_preload_length 0
		.amdhsa_user_sgpr_kernarg_preload_offset 0
		.amdhsa_user_sgpr_private_segment_size 0
		.amdhsa_uses_dynamic_stack 0
		.amdhsa_enable_private_segment 0
		.amdhsa_system_sgpr_workgroup_id_x 1
		.amdhsa_system_sgpr_workgroup_id_y 0
		.amdhsa_system_sgpr_workgroup_id_z 0
		.amdhsa_system_sgpr_workgroup_info 0
		.amdhsa_system_vgpr_workitem_id 0
		.amdhsa_next_free_vgpr 61
		.amdhsa_next_free_sgpr 42
		.amdhsa_accum_offset 64
		.amdhsa_reserve_vcc 1
		.amdhsa_float_round_mode_32 0
		.amdhsa_float_round_mode_16_64 0
		.amdhsa_float_denorm_mode_32 3
		.amdhsa_float_denorm_mode_16_64 3
		.amdhsa_dx10_clamp 1
		.amdhsa_ieee_mode 1
		.amdhsa_fp16_overflow 0
		.amdhsa_tg_split 0
		.amdhsa_exception_fp_ieee_invalid_op 0
		.amdhsa_exception_fp_denorm_src 0
		.amdhsa_exception_fp_ieee_div_zero 0
		.amdhsa_exception_fp_ieee_overflow 0
		.amdhsa_exception_fp_ieee_underflow 0
		.amdhsa_exception_fp_ieee_inexact 0
		.amdhsa_exception_int_div_zero 0
	.end_amdhsa_kernel
	.section	.text._ZN7rocprim17ROCPRIM_400000_NS6detail17trampoline_kernelINS0_14default_configENS1_25partition_config_selectorILNS1_17partition_subalgoE0ExNS0_10empty_typeEbEEZZNS1_14partition_implILS5_0ELb0ES3_jN6thrust23THRUST_200600_302600_NS6detail15normal_iteratorINSA_10device_ptrIxEEEEPS6_SG_NS0_5tupleIJNSA_16discard_iteratorINSA_11use_defaultEEESF_EEENSH_IJSG_SG_EEES6_PlJ7is_evenIxEEEE10hipError_tPvRmT3_T4_T5_T6_T7_T9_mT8_P12ihipStream_tbDpT10_ENKUlT_T0_E_clISt17integral_constantIbLb0EES18_IbLb1EEEEDaS14_S15_EUlS14_E_NS1_11comp_targetILNS1_3genE5ELNS1_11target_archE942ELNS1_3gpuE9ELNS1_3repE0EEENS1_30default_config_static_selectorELNS0_4arch9wavefront6targetE1EEEvT1_,"axG",@progbits,_ZN7rocprim17ROCPRIM_400000_NS6detail17trampoline_kernelINS0_14default_configENS1_25partition_config_selectorILNS1_17partition_subalgoE0ExNS0_10empty_typeEbEEZZNS1_14partition_implILS5_0ELb0ES3_jN6thrust23THRUST_200600_302600_NS6detail15normal_iteratorINSA_10device_ptrIxEEEEPS6_SG_NS0_5tupleIJNSA_16discard_iteratorINSA_11use_defaultEEESF_EEENSH_IJSG_SG_EEES6_PlJ7is_evenIxEEEE10hipError_tPvRmT3_T4_T5_T6_T7_T9_mT8_P12ihipStream_tbDpT10_ENKUlT_T0_E_clISt17integral_constantIbLb0EES18_IbLb1EEEEDaS14_S15_EUlS14_E_NS1_11comp_targetILNS1_3genE5ELNS1_11target_archE942ELNS1_3gpuE9ELNS1_3repE0EEENS1_30default_config_static_selectorELNS0_4arch9wavefront6targetE1EEEvT1_,comdat
.Lfunc_end2676:
	.size	_ZN7rocprim17ROCPRIM_400000_NS6detail17trampoline_kernelINS0_14default_configENS1_25partition_config_selectorILNS1_17partition_subalgoE0ExNS0_10empty_typeEbEEZZNS1_14partition_implILS5_0ELb0ES3_jN6thrust23THRUST_200600_302600_NS6detail15normal_iteratorINSA_10device_ptrIxEEEEPS6_SG_NS0_5tupleIJNSA_16discard_iteratorINSA_11use_defaultEEESF_EEENSH_IJSG_SG_EEES6_PlJ7is_evenIxEEEE10hipError_tPvRmT3_T4_T5_T6_T7_T9_mT8_P12ihipStream_tbDpT10_ENKUlT_T0_E_clISt17integral_constantIbLb0EES18_IbLb1EEEEDaS14_S15_EUlS14_E_NS1_11comp_targetILNS1_3genE5ELNS1_11target_archE942ELNS1_3gpuE9ELNS1_3repE0EEENS1_30default_config_static_selectorELNS0_4arch9wavefront6targetE1EEEvT1_, .Lfunc_end2676-_ZN7rocprim17ROCPRIM_400000_NS6detail17trampoline_kernelINS0_14default_configENS1_25partition_config_selectorILNS1_17partition_subalgoE0ExNS0_10empty_typeEbEEZZNS1_14partition_implILS5_0ELb0ES3_jN6thrust23THRUST_200600_302600_NS6detail15normal_iteratorINSA_10device_ptrIxEEEEPS6_SG_NS0_5tupleIJNSA_16discard_iteratorINSA_11use_defaultEEESF_EEENSH_IJSG_SG_EEES6_PlJ7is_evenIxEEEE10hipError_tPvRmT3_T4_T5_T6_T7_T9_mT8_P12ihipStream_tbDpT10_ENKUlT_T0_E_clISt17integral_constantIbLb0EES18_IbLb1EEEEDaS14_S15_EUlS14_E_NS1_11comp_targetILNS1_3genE5ELNS1_11target_archE942ELNS1_3gpuE9ELNS1_3repE0EEENS1_30default_config_static_selectorELNS0_4arch9wavefront6targetE1EEEvT1_
                                        ; -- End function
	.section	.AMDGPU.csdata,"",@progbits
; Kernel info:
; codeLenInByte = 4632
; NumSgprs: 48
; NumVgprs: 61
; NumAgprs: 0
; TotalNumVgprs: 61
; ScratchSize: 0
; MemoryBound: 0
; FloatMode: 240
; IeeeMode: 1
; LDSByteSize: 28680 bytes/workgroup (compile time only)
; SGPRBlocks: 5
; VGPRBlocks: 7
; NumSGPRsForWavesPerEU: 48
; NumVGPRsForWavesPerEU: 61
; AccumOffset: 64
; Occupancy: 4
; WaveLimiterHint : 1
; COMPUTE_PGM_RSRC2:SCRATCH_EN: 0
; COMPUTE_PGM_RSRC2:USER_SGPR: 2
; COMPUTE_PGM_RSRC2:TRAP_HANDLER: 0
; COMPUTE_PGM_RSRC2:TGID_X_EN: 1
; COMPUTE_PGM_RSRC2:TGID_Y_EN: 0
; COMPUTE_PGM_RSRC2:TGID_Z_EN: 0
; COMPUTE_PGM_RSRC2:TIDIG_COMP_CNT: 0
; COMPUTE_PGM_RSRC3_GFX90A:ACCUM_OFFSET: 15
; COMPUTE_PGM_RSRC3_GFX90A:TG_SPLIT: 0
	.section	.text._ZN7rocprim17ROCPRIM_400000_NS6detail17trampoline_kernelINS0_14default_configENS1_25partition_config_selectorILNS1_17partition_subalgoE0ExNS0_10empty_typeEbEEZZNS1_14partition_implILS5_0ELb0ES3_jN6thrust23THRUST_200600_302600_NS6detail15normal_iteratorINSA_10device_ptrIxEEEEPS6_SG_NS0_5tupleIJNSA_16discard_iteratorINSA_11use_defaultEEESF_EEENSH_IJSG_SG_EEES6_PlJ7is_evenIxEEEE10hipError_tPvRmT3_T4_T5_T6_T7_T9_mT8_P12ihipStream_tbDpT10_ENKUlT_T0_E_clISt17integral_constantIbLb0EES18_IbLb1EEEEDaS14_S15_EUlS14_E_NS1_11comp_targetILNS1_3genE4ELNS1_11target_archE910ELNS1_3gpuE8ELNS1_3repE0EEENS1_30default_config_static_selectorELNS0_4arch9wavefront6targetE1EEEvT1_,"axG",@progbits,_ZN7rocprim17ROCPRIM_400000_NS6detail17trampoline_kernelINS0_14default_configENS1_25partition_config_selectorILNS1_17partition_subalgoE0ExNS0_10empty_typeEbEEZZNS1_14partition_implILS5_0ELb0ES3_jN6thrust23THRUST_200600_302600_NS6detail15normal_iteratorINSA_10device_ptrIxEEEEPS6_SG_NS0_5tupleIJNSA_16discard_iteratorINSA_11use_defaultEEESF_EEENSH_IJSG_SG_EEES6_PlJ7is_evenIxEEEE10hipError_tPvRmT3_T4_T5_T6_T7_T9_mT8_P12ihipStream_tbDpT10_ENKUlT_T0_E_clISt17integral_constantIbLb0EES18_IbLb1EEEEDaS14_S15_EUlS14_E_NS1_11comp_targetILNS1_3genE4ELNS1_11target_archE910ELNS1_3gpuE8ELNS1_3repE0EEENS1_30default_config_static_selectorELNS0_4arch9wavefront6targetE1EEEvT1_,comdat
	.protected	_ZN7rocprim17ROCPRIM_400000_NS6detail17trampoline_kernelINS0_14default_configENS1_25partition_config_selectorILNS1_17partition_subalgoE0ExNS0_10empty_typeEbEEZZNS1_14partition_implILS5_0ELb0ES3_jN6thrust23THRUST_200600_302600_NS6detail15normal_iteratorINSA_10device_ptrIxEEEEPS6_SG_NS0_5tupleIJNSA_16discard_iteratorINSA_11use_defaultEEESF_EEENSH_IJSG_SG_EEES6_PlJ7is_evenIxEEEE10hipError_tPvRmT3_T4_T5_T6_T7_T9_mT8_P12ihipStream_tbDpT10_ENKUlT_T0_E_clISt17integral_constantIbLb0EES18_IbLb1EEEEDaS14_S15_EUlS14_E_NS1_11comp_targetILNS1_3genE4ELNS1_11target_archE910ELNS1_3gpuE8ELNS1_3repE0EEENS1_30default_config_static_selectorELNS0_4arch9wavefront6targetE1EEEvT1_ ; -- Begin function _ZN7rocprim17ROCPRIM_400000_NS6detail17trampoline_kernelINS0_14default_configENS1_25partition_config_selectorILNS1_17partition_subalgoE0ExNS0_10empty_typeEbEEZZNS1_14partition_implILS5_0ELb0ES3_jN6thrust23THRUST_200600_302600_NS6detail15normal_iteratorINSA_10device_ptrIxEEEEPS6_SG_NS0_5tupleIJNSA_16discard_iteratorINSA_11use_defaultEEESF_EEENSH_IJSG_SG_EEES6_PlJ7is_evenIxEEEE10hipError_tPvRmT3_T4_T5_T6_T7_T9_mT8_P12ihipStream_tbDpT10_ENKUlT_T0_E_clISt17integral_constantIbLb0EES18_IbLb1EEEEDaS14_S15_EUlS14_E_NS1_11comp_targetILNS1_3genE4ELNS1_11target_archE910ELNS1_3gpuE8ELNS1_3repE0EEENS1_30default_config_static_selectorELNS0_4arch9wavefront6targetE1EEEvT1_
	.globl	_ZN7rocprim17ROCPRIM_400000_NS6detail17trampoline_kernelINS0_14default_configENS1_25partition_config_selectorILNS1_17partition_subalgoE0ExNS0_10empty_typeEbEEZZNS1_14partition_implILS5_0ELb0ES3_jN6thrust23THRUST_200600_302600_NS6detail15normal_iteratorINSA_10device_ptrIxEEEEPS6_SG_NS0_5tupleIJNSA_16discard_iteratorINSA_11use_defaultEEESF_EEENSH_IJSG_SG_EEES6_PlJ7is_evenIxEEEE10hipError_tPvRmT3_T4_T5_T6_T7_T9_mT8_P12ihipStream_tbDpT10_ENKUlT_T0_E_clISt17integral_constantIbLb0EES18_IbLb1EEEEDaS14_S15_EUlS14_E_NS1_11comp_targetILNS1_3genE4ELNS1_11target_archE910ELNS1_3gpuE8ELNS1_3repE0EEENS1_30default_config_static_selectorELNS0_4arch9wavefront6targetE1EEEvT1_
	.p2align	8
	.type	_ZN7rocprim17ROCPRIM_400000_NS6detail17trampoline_kernelINS0_14default_configENS1_25partition_config_selectorILNS1_17partition_subalgoE0ExNS0_10empty_typeEbEEZZNS1_14partition_implILS5_0ELb0ES3_jN6thrust23THRUST_200600_302600_NS6detail15normal_iteratorINSA_10device_ptrIxEEEEPS6_SG_NS0_5tupleIJNSA_16discard_iteratorINSA_11use_defaultEEESF_EEENSH_IJSG_SG_EEES6_PlJ7is_evenIxEEEE10hipError_tPvRmT3_T4_T5_T6_T7_T9_mT8_P12ihipStream_tbDpT10_ENKUlT_T0_E_clISt17integral_constantIbLb0EES18_IbLb1EEEEDaS14_S15_EUlS14_E_NS1_11comp_targetILNS1_3genE4ELNS1_11target_archE910ELNS1_3gpuE8ELNS1_3repE0EEENS1_30default_config_static_selectorELNS0_4arch9wavefront6targetE1EEEvT1_,@function
_ZN7rocprim17ROCPRIM_400000_NS6detail17trampoline_kernelINS0_14default_configENS1_25partition_config_selectorILNS1_17partition_subalgoE0ExNS0_10empty_typeEbEEZZNS1_14partition_implILS5_0ELb0ES3_jN6thrust23THRUST_200600_302600_NS6detail15normal_iteratorINSA_10device_ptrIxEEEEPS6_SG_NS0_5tupleIJNSA_16discard_iteratorINSA_11use_defaultEEESF_EEENSH_IJSG_SG_EEES6_PlJ7is_evenIxEEEE10hipError_tPvRmT3_T4_T5_T6_T7_T9_mT8_P12ihipStream_tbDpT10_ENKUlT_T0_E_clISt17integral_constantIbLb0EES18_IbLb1EEEEDaS14_S15_EUlS14_E_NS1_11comp_targetILNS1_3genE4ELNS1_11target_archE910ELNS1_3gpuE8ELNS1_3repE0EEENS1_30default_config_static_selectorELNS0_4arch9wavefront6targetE1EEEvT1_: ; @_ZN7rocprim17ROCPRIM_400000_NS6detail17trampoline_kernelINS0_14default_configENS1_25partition_config_selectorILNS1_17partition_subalgoE0ExNS0_10empty_typeEbEEZZNS1_14partition_implILS5_0ELb0ES3_jN6thrust23THRUST_200600_302600_NS6detail15normal_iteratorINSA_10device_ptrIxEEEEPS6_SG_NS0_5tupleIJNSA_16discard_iteratorINSA_11use_defaultEEESF_EEENSH_IJSG_SG_EEES6_PlJ7is_evenIxEEEE10hipError_tPvRmT3_T4_T5_T6_T7_T9_mT8_P12ihipStream_tbDpT10_ENKUlT_T0_E_clISt17integral_constantIbLb0EES18_IbLb1EEEEDaS14_S15_EUlS14_E_NS1_11comp_targetILNS1_3genE4ELNS1_11target_archE910ELNS1_3gpuE8ELNS1_3repE0EEENS1_30default_config_static_selectorELNS0_4arch9wavefront6targetE1EEEvT1_
; %bb.0:
	.section	.rodata,"a",@progbits
	.p2align	6, 0x0
	.amdhsa_kernel _ZN7rocprim17ROCPRIM_400000_NS6detail17trampoline_kernelINS0_14default_configENS1_25partition_config_selectorILNS1_17partition_subalgoE0ExNS0_10empty_typeEbEEZZNS1_14partition_implILS5_0ELb0ES3_jN6thrust23THRUST_200600_302600_NS6detail15normal_iteratorINSA_10device_ptrIxEEEEPS6_SG_NS0_5tupleIJNSA_16discard_iteratorINSA_11use_defaultEEESF_EEENSH_IJSG_SG_EEES6_PlJ7is_evenIxEEEE10hipError_tPvRmT3_T4_T5_T6_T7_T9_mT8_P12ihipStream_tbDpT10_ENKUlT_T0_E_clISt17integral_constantIbLb0EES18_IbLb1EEEEDaS14_S15_EUlS14_E_NS1_11comp_targetILNS1_3genE4ELNS1_11target_archE910ELNS1_3gpuE8ELNS1_3repE0EEENS1_30default_config_static_selectorELNS0_4arch9wavefront6targetE1EEEvT1_
		.amdhsa_group_segment_fixed_size 0
		.amdhsa_private_segment_fixed_size 0
		.amdhsa_kernarg_size 144
		.amdhsa_user_sgpr_count 2
		.amdhsa_user_sgpr_dispatch_ptr 0
		.amdhsa_user_sgpr_queue_ptr 0
		.amdhsa_user_sgpr_kernarg_segment_ptr 1
		.amdhsa_user_sgpr_dispatch_id 0
		.amdhsa_user_sgpr_kernarg_preload_length 0
		.amdhsa_user_sgpr_kernarg_preload_offset 0
		.amdhsa_user_sgpr_private_segment_size 0
		.amdhsa_uses_dynamic_stack 0
		.amdhsa_enable_private_segment 0
		.amdhsa_system_sgpr_workgroup_id_x 1
		.amdhsa_system_sgpr_workgroup_id_y 0
		.amdhsa_system_sgpr_workgroup_id_z 0
		.amdhsa_system_sgpr_workgroup_info 0
		.amdhsa_system_vgpr_workitem_id 0
		.amdhsa_next_free_vgpr 1
		.amdhsa_next_free_sgpr 0
		.amdhsa_accum_offset 4
		.amdhsa_reserve_vcc 0
		.amdhsa_float_round_mode_32 0
		.amdhsa_float_round_mode_16_64 0
		.amdhsa_float_denorm_mode_32 3
		.amdhsa_float_denorm_mode_16_64 3
		.amdhsa_dx10_clamp 1
		.amdhsa_ieee_mode 1
		.amdhsa_fp16_overflow 0
		.amdhsa_tg_split 0
		.amdhsa_exception_fp_ieee_invalid_op 0
		.amdhsa_exception_fp_denorm_src 0
		.amdhsa_exception_fp_ieee_div_zero 0
		.amdhsa_exception_fp_ieee_overflow 0
		.amdhsa_exception_fp_ieee_underflow 0
		.amdhsa_exception_fp_ieee_inexact 0
		.amdhsa_exception_int_div_zero 0
	.end_amdhsa_kernel
	.section	.text._ZN7rocprim17ROCPRIM_400000_NS6detail17trampoline_kernelINS0_14default_configENS1_25partition_config_selectorILNS1_17partition_subalgoE0ExNS0_10empty_typeEbEEZZNS1_14partition_implILS5_0ELb0ES3_jN6thrust23THRUST_200600_302600_NS6detail15normal_iteratorINSA_10device_ptrIxEEEEPS6_SG_NS0_5tupleIJNSA_16discard_iteratorINSA_11use_defaultEEESF_EEENSH_IJSG_SG_EEES6_PlJ7is_evenIxEEEE10hipError_tPvRmT3_T4_T5_T6_T7_T9_mT8_P12ihipStream_tbDpT10_ENKUlT_T0_E_clISt17integral_constantIbLb0EES18_IbLb1EEEEDaS14_S15_EUlS14_E_NS1_11comp_targetILNS1_3genE4ELNS1_11target_archE910ELNS1_3gpuE8ELNS1_3repE0EEENS1_30default_config_static_selectorELNS0_4arch9wavefront6targetE1EEEvT1_,"axG",@progbits,_ZN7rocprim17ROCPRIM_400000_NS6detail17trampoline_kernelINS0_14default_configENS1_25partition_config_selectorILNS1_17partition_subalgoE0ExNS0_10empty_typeEbEEZZNS1_14partition_implILS5_0ELb0ES3_jN6thrust23THRUST_200600_302600_NS6detail15normal_iteratorINSA_10device_ptrIxEEEEPS6_SG_NS0_5tupleIJNSA_16discard_iteratorINSA_11use_defaultEEESF_EEENSH_IJSG_SG_EEES6_PlJ7is_evenIxEEEE10hipError_tPvRmT3_T4_T5_T6_T7_T9_mT8_P12ihipStream_tbDpT10_ENKUlT_T0_E_clISt17integral_constantIbLb0EES18_IbLb1EEEEDaS14_S15_EUlS14_E_NS1_11comp_targetILNS1_3genE4ELNS1_11target_archE910ELNS1_3gpuE8ELNS1_3repE0EEENS1_30default_config_static_selectorELNS0_4arch9wavefront6targetE1EEEvT1_,comdat
.Lfunc_end2677:
	.size	_ZN7rocprim17ROCPRIM_400000_NS6detail17trampoline_kernelINS0_14default_configENS1_25partition_config_selectorILNS1_17partition_subalgoE0ExNS0_10empty_typeEbEEZZNS1_14partition_implILS5_0ELb0ES3_jN6thrust23THRUST_200600_302600_NS6detail15normal_iteratorINSA_10device_ptrIxEEEEPS6_SG_NS0_5tupleIJNSA_16discard_iteratorINSA_11use_defaultEEESF_EEENSH_IJSG_SG_EEES6_PlJ7is_evenIxEEEE10hipError_tPvRmT3_T4_T5_T6_T7_T9_mT8_P12ihipStream_tbDpT10_ENKUlT_T0_E_clISt17integral_constantIbLb0EES18_IbLb1EEEEDaS14_S15_EUlS14_E_NS1_11comp_targetILNS1_3genE4ELNS1_11target_archE910ELNS1_3gpuE8ELNS1_3repE0EEENS1_30default_config_static_selectorELNS0_4arch9wavefront6targetE1EEEvT1_, .Lfunc_end2677-_ZN7rocprim17ROCPRIM_400000_NS6detail17trampoline_kernelINS0_14default_configENS1_25partition_config_selectorILNS1_17partition_subalgoE0ExNS0_10empty_typeEbEEZZNS1_14partition_implILS5_0ELb0ES3_jN6thrust23THRUST_200600_302600_NS6detail15normal_iteratorINSA_10device_ptrIxEEEEPS6_SG_NS0_5tupleIJNSA_16discard_iteratorINSA_11use_defaultEEESF_EEENSH_IJSG_SG_EEES6_PlJ7is_evenIxEEEE10hipError_tPvRmT3_T4_T5_T6_T7_T9_mT8_P12ihipStream_tbDpT10_ENKUlT_T0_E_clISt17integral_constantIbLb0EES18_IbLb1EEEEDaS14_S15_EUlS14_E_NS1_11comp_targetILNS1_3genE4ELNS1_11target_archE910ELNS1_3gpuE8ELNS1_3repE0EEENS1_30default_config_static_selectorELNS0_4arch9wavefront6targetE1EEEvT1_
                                        ; -- End function
	.section	.AMDGPU.csdata,"",@progbits
; Kernel info:
; codeLenInByte = 0
; NumSgprs: 6
; NumVgprs: 0
; NumAgprs: 0
; TotalNumVgprs: 0
; ScratchSize: 0
; MemoryBound: 0
; FloatMode: 240
; IeeeMode: 1
; LDSByteSize: 0 bytes/workgroup (compile time only)
; SGPRBlocks: 0
; VGPRBlocks: 0
; NumSGPRsForWavesPerEU: 6
; NumVGPRsForWavesPerEU: 1
; AccumOffset: 4
; Occupancy: 8
; WaveLimiterHint : 0
; COMPUTE_PGM_RSRC2:SCRATCH_EN: 0
; COMPUTE_PGM_RSRC2:USER_SGPR: 2
; COMPUTE_PGM_RSRC2:TRAP_HANDLER: 0
; COMPUTE_PGM_RSRC2:TGID_X_EN: 1
; COMPUTE_PGM_RSRC2:TGID_Y_EN: 0
; COMPUTE_PGM_RSRC2:TGID_Z_EN: 0
; COMPUTE_PGM_RSRC2:TIDIG_COMP_CNT: 0
; COMPUTE_PGM_RSRC3_GFX90A:ACCUM_OFFSET: 0
; COMPUTE_PGM_RSRC3_GFX90A:TG_SPLIT: 0
	.section	.text._ZN7rocprim17ROCPRIM_400000_NS6detail17trampoline_kernelINS0_14default_configENS1_25partition_config_selectorILNS1_17partition_subalgoE0ExNS0_10empty_typeEbEEZZNS1_14partition_implILS5_0ELb0ES3_jN6thrust23THRUST_200600_302600_NS6detail15normal_iteratorINSA_10device_ptrIxEEEEPS6_SG_NS0_5tupleIJNSA_16discard_iteratorINSA_11use_defaultEEESF_EEENSH_IJSG_SG_EEES6_PlJ7is_evenIxEEEE10hipError_tPvRmT3_T4_T5_T6_T7_T9_mT8_P12ihipStream_tbDpT10_ENKUlT_T0_E_clISt17integral_constantIbLb0EES18_IbLb1EEEEDaS14_S15_EUlS14_E_NS1_11comp_targetILNS1_3genE3ELNS1_11target_archE908ELNS1_3gpuE7ELNS1_3repE0EEENS1_30default_config_static_selectorELNS0_4arch9wavefront6targetE1EEEvT1_,"axG",@progbits,_ZN7rocprim17ROCPRIM_400000_NS6detail17trampoline_kernelINS0_14default_configENS1_25partition_config_selectorILNS1_17partition_subalgoE0ExNS0_10empty_typeEbEEZZNS1_14partition_implILS5_0ELb0ES3_jN6thrust23THRUST_200600_302600_NS6detail15normal_iteratorINSA_10device_ptrIxEEEEPS6_SG_NS0_5tupleIJNSA_16discard_iteratorINSA_11use_defaultEEESF_EEENSH_IJSG_SG_EEES6_PlJ7is_evenIxEEEE10hipError_tPvRmT3_T4_T5_T6_T7_T9_mT8_P12ihipStream_tbDpT10_ENKUlT_T0_E_clISt17integral_constantIbLb0EES18_IbLb1EEEEDaS14_S15_EUlS14_E_NS1_11comp_targetILNS1_3genE3ELNS1_11target_archE908ELNS1_3gpuE7ELNS1_3repE0EEENS1_30default_config_static_selectorELNS0_4arch9wavefront6targetE1EEEvT1_,comdat
	.protected	_ZN7rocprim17ROCPRIM_400000_NS6detail17trampoline_kernelINS0_14default_configENS1_25partition_config_selectorILNS1_17partition_subalgoE0ExNS0_10empty_typeEbEEZZNS1_14partition_implILS5_0ELb0ES3_jN6thrust23THRUST_200600_302600_NS6detail15normal_iteratorINSA_10device_ptrIxEEEEPS6_SG_NS0_5tupleIJNSA_16discard_iteratorINSA_11use_defaultEEESF_EEENSH_IJSG_SG_EEES6_PlJ7is_evenIxEEEE10hipError_tPvRmT3_T4_T5_T6_T7_T9_mT8_P12ihipStream_tbDpT10_ENKUlT_T0_E_clISt17integral_constantIbLb0EES18_IbLb1EEEEDaS14_S15_EUlS14_E_NS1_11comp_targetILNS1_3genE3ELNS1_11target_archE908ELNS1_3gpuE7ELNS1_3repE0EEENS1_30default_config_static_selectorELNS0_4arch9wavefront6targetE1EEEvT1_ ; -- Begin function _ZN7rocprim17ROCPRIM_400000_NS6detail17trampoline_kernelINS0_14default_configENS1_25partition_config_selectorILNS1_17partition_subalgoE0ExNS0_10empty_typeEbEEZZNS1_14partition_implILS5_0ELb0ES3_jN6thrust23THRUST_200600_302600_NS6detail15normal_iteratorINSA_10device_ptrIxEEEEPS6_SG_NS0_5tupleIJNSA_16discard_iteratorINSA_11use_defaultEEESF_EEENSH_IJSG_SG_EEES6_PlJ7is_evenIxEEEE10hipError_tPvRmT3_T4_T5_T6_T7_T9_mT8_P12ihipStream_tbDpT10_ENKUlT_T0_E_clISt17integral_constantIbLb0EES18_IbLb1EEEEDaS14_S15_EUlS14_E_NS1_11comp_targetILNS1_3genE3ELNS1_11target_archE908ELNS1_3gpuE7ELNS1_3repE0EEENS1_30default_config_static_selectorELNS0_4arch9wavefront6targetE1EEEvT1_
	.globl	_ZN7rocprim17ROCPRIM_400000_NS6detail17trampoline_kernelINS0_14default_configENS1_25partition_config_selectorILNS1_17partition_subalgoE0ExNS0_10empty_typeEbEEZZNS1_14partition_implILS5_0ELb0ES3_jN6thrust23THRUST_200600_302600_NS6detail15normal_iteratorINSA_10device_ptrIxEEEEPS6_SG_NS0_5tupleIJNSA_16discard_iteratorINSA_11use_defaultEEESF_EEENSH_IJSG_SG_EEES6_PlJ7is_evenIxEEEE10hipError_tPvRmT3_T4_T5_T6_T7_T9_mT8_P12ihipStream_tbDpT10_ENKUlT_T0_E_clISt17integral_constantIbLb0EES18_IbLb1EEEEDaS14_S15_EUlS14_E_NS1_11comp_targetILNS1_3genE3ELNS1_11target_archE908ELNS1_3gpuE7ELNS1_3repE0EEENS1_30default_config_static_selectorELNS0_4arch9wavefront6targetE1EEEvT1_
	.p2align	8
	.type	_ZN7rocprim17ROCPRIM_400000_NS6detail17trampoline_kernelINS0_14default_configENS1_25partition_config_selectorILNS1_17partition_subalgoE0ExNS0_10empty_typeEbEEZZNS1_14partition_implILS5_0ELb0ES3_jN6thrust23THRUST_200600_302600_NS6detail15normal_iteratorINSA_10device_ptrIxEEEEPS6_SG_NS0_5tupleIJNSA_16discard_iteratorINSA_11use_defaultEEESF_EEENSH_IJSG_SG_EEES6_PlJ7is_evenIxEEEE10hipError_tPvRmT3_T4_T5_T6_T7_T9_mT8_P12ihipStream_tbDpT10_ENKUlT_T0_E_clISt17integral_constantIbLb0EES18_IbLb1EEEEDaS14_S15_EUlS14_E_NS1_11comp_targetILNS1_3genE3ELNS1_11target_archE908ELNS1_3gpuE7ELNS1_3repE0EEENS1_30default_config_static_selectorELNS0_4arch9wavefront6targetE1EEEvT1_,@function
_ZN7rocprim17ROCPRIM_400000_NS6detail17trampoline_kernelINS0_14default_configENS1_25partition_config_selectorILNS1_17partition_subalgoE0ExNS0_10empty_typeEbEEZZNS1_14partition_implILS5_0ELb0ES3_jN6thrust23THRUST_200600_302600_NS6detail15normal_iteratorINSA_10device_ptrIxEEEEPS6_SG_NS0_5tupleIJNSA_16discard_iteratorINSA_11use_defaultEEESF_EEENSH_IJSG_SG_EEES6_PlJ7is_evenIxEEEE10hipError_tPvRmT3_T4_T5_T6_T7_T9_mT8_P12ihipStream_tbDpT10_ENKUlT_T0_E_clISt17integral_constantIbLb0EES18_IbLb1EEEEDaS14_S15_EUlS14_E_NS1_11comp_targetILNS1_3genE3ELNS1_11target_archE908ELNS1_3gpuE7ELNS1_3repE0EEENS1_30default_config_static_selectorELNS0_4arch9wavefront6targetE1EEEvT1_: ; @_ZN7rocprim17ROCPRIM_400000_NS6detail17trampoline_kernelINS0_14default_configENS1_25partition_config_selectorILNS1_17partition_subalgoE0ExNS0_10empty_typeEbEEZZNS1_14partition_implILS5_0ELb0ES3_jN6thrust23THRUST_200600_302600_NS6detail15normal_iteratorINSA_10device_ptrIxEEEEPS6_SG_NS0_5tupleIJNSA_16discard_iteratorINSA_11use_defaultEEESF_EEENSH_IJSG_SG_EEES6_PlJ7is_evenIxEEEE10hipError_tPvRmT3_T4_T5_T6_T7_T9_mT8_P12ihipStream_tbDpT10_ENKUlT_T0_E_clISt17integral_constantIbLb0EES18_IbLb1EEEEDaS14_S15_EUlS14_E_NS1_11comp_targetILNS1_3genE3ELNS1_11target_archE908ELNS1_3gpuE7ELNS1_3repE0EEENS1_30default_config_static_selectorELNS0_4arch9wavefront6targetE1EEEvT1_
; %bb.0:
	.section	.rodata,"a",@progbits
	.p2align	6, 0x0
	.amdhsa_kernel _ZN7rocprim17ROCPRIM_400000_NS6detail17trampoline_kernelINS0_14default_configENS1_25partition_config_selectorILNS1_17partition_subalgoE0ExNS0_10empty_typeEbEEZZNS1_14partition_implILS5_0ELb0ES3_jN6thrust23THRUST_200600_302600_NS6detail15normal_iteratorINSA_10device_ptrIxEEEEPS6_SG_NS0_5tupleIJNSA_16discard_iteratorINSA_11use_defaultEEESF_EEENSH_IJSG_SG_EEES6_PlJ7is_evenIxEEEE10hipError_tPvRmT3_T4_T5_T6_T7_T9_mT8_P12ihipStream_tbDpT10_ENKUlT_T0_E_clISt17integral_constantIbLb0EES18_IbLb1EEEEDaS14_S15_EUlS14_E_NS1_11comp_targetILNS1_3genE3ELNS1_11target_archE908ELNS1_3gpuE7ELNS1_3repE0EEENS1_30default_config_static_selectorELNS0_4arch9wavefront6targetE1EEEvT1_
		.amdhsa_group_segment_fixed_size 0
		.amdhsa_private_segment_fixed_size 0
		.amdhsa_kernarg_size 144
		.amdhsa_user_sgpr_count 2
		.amdhsa_user_sgpr_dispatch_ptr 0
		.amdhsa_user_sgpr_queue_ptr 0
		.amdhsa_user_sgpr_kernarg_segment_ptr 1
		.amdhsa_user_sgpr_dispatch_id 0
		.amdhsa_user_sgpr_kernarg_preload_length 0
		.amdhsa_user_sgpr_kernarg_preload_offset 0
		.amdhsa_user_sgpr_private_segment_size 0
		.amdhsa_uses_dynamic_stack 0
		.amdhsa_enable_private_segment 0
		.amdhsa_system_sgpr_workgroup_id_x 1
		.amdhsa_system_sgpr_workgroup_id_y 0
		.amdhsa_system_sgpr_workgroup_id_z 0
		.amdhsa_system_sgpr_workgroup_info 0
		.amdhsa_system_vgpr_workitem_id 0
		.amdhsa_next_free_vgpr 1
		.amdhsa_next_free_sgpr 0
		.amdhsa_accum_offset 4
		.amdhsa_reserve_vcc 0
		.amdhsa_float_round_mode_32 0
		.amdhsa_float_round_mode_16_64 0
		.amdhsa_float_denorm_mode_32 3
		.amdhsa_float_denorm_mode_16_64 3
		.amdhsa_dx10_clamp 1
		.amdhsa_ieee_mode 1
		.amdhsa_fp16_overflow 0
		.amdhsa_tg_split 0
		.amdhsa_exception_fp_ieee_invalid_op 0
		.amdhsa_exception_fp_denorm_src 0
		.amdhsa_exception_fp_ieee_div_zero 0
		.amdhsa_exception_fp_ieee_overflow 0
		.amdhsa_exception_fp_ieee_underflow 0
		.amdhsa_exception_fp_ieee_inexact 0
		.amdhsa_exception_int_div_zero 0
	.end_amdhsa_kernel
	.section	.text._ZN7rocprim17ROCPRIM_400000_NS6detail17trampoline_kernelINS0_14default_configENS1_25partition_config_selectorILNS1_17partition_subalgoE0ExNS0_10empty_typeEbEEZZNS1_14partition_implILS5_0ELb0ES3_jN6thrust23THRUST_200600_302600_NS6detail15normal_iteratorINSA_10device_ptrIxEEEEPS6_SG_NS0_5tupleIJNSA_16discard_iteratorINSA_11use_defaultEEESF_EEENSH_IJSG_SG_EEES6_PlJ7is_evenIxEEEE10hipError_tPvRmT3_T4_T5_T6_T7_T9_mT8_P12ihipStream_tbDpT10_ENKUlT_T0_E_clISt17integral_constantIbLb0EES18_IbLb1EEEEDaS14_S15_EUlS14_E_NS1_11comp_targetILNS1_3genE3ELNS1_11target_archE908ELNS1_3gpuE7ELNS1_3repE0EEENS1_30default_config_static_selectorELNS0_4arch9wavefront6targetE1EEEvT1_,"axG",@progbits,_ZN7rocprim17ROCPRIM_400000_NS6detail17trampoline_kernelINS0_14default_configENS1_25partition_config_selectorILNS1_17partition_subalgoE0ExNS0_10empty_typeEbEEZZNS1_14partition_implILS5_0ELb0ES3_jN6thrust23THRUST_200600_302600_NS6detail15normal_iteratorINSA_10device_ptrIxEEEEPS6_SG_NS0_5tupleIJNSA_16discard_iteratorINSA_11use_defaultEEESF_EEENSH_IJSG_SG_EEES6_PlJ7is_evenIxEEEE10hipError_tPvRmT3_T4_T5_T6_T7_T9_mT8_P12ihipStream_tbDpT10_ENKUlT_T0_E_clISt17integral_constantIbLb0EES18_IbLb1EEEEDaS14_S15_EUlS14_E_NS1_11comp_targetILNS1_3genE3ELNS1_11target_archE908ELNS1_3gpuE7ELNS1_3repE0EEENS1_30default_config_static_selectorELNS0_4arch9wavefront6targetE1EEEvT1_,comdat
.Lfunc_end2678:
	.size	_ZN7rocprim17ROCPRIM_400000_NS6detail17trampoline_kernelINS0_14default_configENS1_25partition_config_selectorILNS1_17partition_subalgoE0ExNS0_10empty_typeEbEEZZNS1_14partition_implILS5_0ELb0ES3_jN6thrust23THRUST_200600_302600_NS6detail15normal_iteratorINSA_10device_ptrIxEEEEPS6_SG_NS0_5tupleIJNSA_16discard_iteratorINSA_11use_defaultEEESF_EEENSH_IJSG_SG_EEES6_PlJ7is_evenIxEEEE10hipError_tPvRmT3_T4_T5_T6_T7_T9_mT8_P12ihipStream_tbDpT10_ENKUlT_T0_E_clISt17integral_constantIbLb0EES18_IbLb1EEEEDaS14_S15_EUlS14_E_NS1_11comp_targetILNS1_3genE3ELNS1_11target_archE908ELNS1_3gpuE7ELNS1_3repE0EEENS1_30default_config_static_selectorELNS0_4arch9wavefront6targetE1EEEvT1_, .Lfunc_end2678-_ZN7rocprim17ROCPRIM_400000_NS6detail17trampoline_kernelINS0_14default_configENS1_25partition_config_selectorILNS1_17partition_subalgoE0ExNS0_10empty_typeEbEEZZNS1_14partition_implILS5_0ELb0ES3_jN6thrust23THRUST_200600_302600_NS6detail15normal_iteratorINSA_10device_ptrIxEEEEPS6_SG_NS0_5tupleIJNSA_16discard_iteratorINSA_11use_defaultEEESF_EEENSH_IJSG_SG_EEES6_PlJ7is_evenIxEEEE10hipError_tPvRmT3_T4_T5_T6_T7_T9_mT8_P12ihipStream_tbDpT10_ENKUlT_T0_E_clISt17integral_constantIbLb0EES18_IbLb1EEEEDaS14_S15_EUlS14_E_NS1_11comp_targetILNS1_3genE3ELNS1_11target_archE908ELNS1_3gpuE7ELNS1_3repE0EEENS1_30default_config_static_selectorELNS0_4arch9wavefront6targetE1EEEvT1_
                                        ; -- End function
	.section	.AMDGPU.csdata,"",@progbits
; Kernel info:
; codeLenInByte = 0
; NumSgprs: 6
; NumVgprs: 0
; NumAgprs: 0
; TotalNumVgprs: 0
; ScratchSize: 0
; MemoryBound: 0
; FloatMode: 240
; IeeeMode: 1
; LDSByteSize: 0 bytes/workgroup (compile time only)
; SGPRBlocks: 0
; VGPRBlocks: 0
; NumSGPRsForWavesPerEU: 6
; NumVGPRsForWavesPerEU: 1
; AccumOffset: 4
; Occupancy: 8
; WaveLimiterHint : 0
; COMPUTE_PGM_RSRC2:SCRATCH_EN: 0
; COMPUTE_PGM_RSRC2:USER_SGPR: 2
; COMPUTE_PGM_RSRC2:TRAP_HANDLER: 0
; COMPUTE_PGM_RSRC2:TGID_X_EN: 1
; COMPUTE_PGM_RSRC2:TGID_Y_EN: 0
; COMPUTE_PGM_RSRC2:TGID_Z_EN: 0
; COMPUTE_PGM_RSRC2:TIDIG_COMP_CNT: 0
; COMPUTE_PGM_RSRC3_GFX90A:ACCUM_OFFSET: 0
; COMPUTE_PGM_RSRC3_GFX90A:TG_SPLIT: 0
	.section	.text._ZN7rocprim17ROCPRIM_400000_NS6detail17trampoline_kernelINS0_14default_configENS1_25partition_config_selectorILNS1_17partition_subalgoE0ExNS0_10empty_typeEbEEZZNS1_14partition_implILS5_0ELb0ES3_jN6thrust23THRUST_200600_302600_NS6detail15normal_iteratorINSA_10device_ptrIxEEEEPS6_SG_NS0_5tupleIJNSA_16discard_iteratorINSA_11use_defaultEEESF_EEENSH_IJSG_SG_EEES6_PlJ7is_evenIxEEEE10hipError_tPvRmT3_T4_T5_T6_T7_T9_mT8_P12ihipStream_tbDpT10_ENKUlT_T0_E_clISt17integral_constantIbLb0EES18_IbLb1EEEEDaS14_S15_EUlS14_E_NS1_11comp_targetILNS1_3genE2ELNS1_11target_archE906ELNS1_3gpuE6ELNS1_3repE0EEENS1_30default_config_static_selectorELNS0_4arch9wavefront6targetE1EEEvT1_,"axG",@progbits,_ZN7rocprim17ROCPRIM_400000_NS6detail17trampoline_kernelINS0_14default_configENS1_25partition_config_selectorILNS1_17partition_subalgoE0ExNS0_10empty_typeEbEEZZNS1_14partition_implILS5_0ELb0ES3_jN6thrust23THRUST_200600_302600_NS6detail15normal_iteratorINSA_10device_ptrIxEEEEPS6_SG_NS0_5tupleIJNSA_16discard_iteratorINSA_11use_defaultEEESF_EEENSH_IJSG_SG_EEES6_PlJ7is_evenIxEEEE10hipError_tPvRmT3_T4_T5_T6_T7_T9_mT8_P12ihipStream_tbDpT10_ENKUlT_T0_E_clISt17integral_constantIbLb0EES18_IbLb1EEEEDaS14_S15_EUlS14_E_NS1_11comp_targetILNS1_3genE2ELNS1_11target_archE906ELNS1_3gpuE6ELNS1_3repE0EEENS1_30default_config_static_selectorELNS0_4arch9wavefront6targetE1EEEvT1_,comdat
	.protected	_ZN7rocprim17ROCPRIM_400000_NS6detail17trampoline_kernelINS0_14default_configENS1_25partition_config_selectorILNS1_17partition_subalgoE0ExNS0_10empty_typeEbEEZZNS1_14partition_implILS5_0ELb0ES3_jN6thrust23THRUST_200600_302600_NS6detail15normal_iteratorINSA_10device_ptrIxEEEEPS6_SG_NS0_5tupleIJNSA_16discard_iteratorINSA_11use_defaultEEESF_EEENSH_IJSG_SG_EEES6_PlJ7is_evenIxEEEE10hipError_tPvRmT3_T4_T5_T6_T7_T9_mT8_P12ihipStream_tbDpT10_ENKUlT_T0_E_clISt17integral_constantIbLb0EES18_IbLb1EEEEDaS14_S15_EUlS14_E_NS1_11comp_targetILNS1_3genE2ELNS1_11target_archE906ELNS1_3gpuE6ELNS1_3repE0EEENS1_30default_config_static_selectorELNS0_4arch9wavefront6targetE1EEEvT1_ ; -- Begin function _ZN7rocprim17ROCPRIM_400000_NS6detail17trampoline_kernelINS0_14default_configENS1_25partition_config_selectorILNS1_17partition_subalgoE0ExNS0_10empty_typeEbEEZZNS1_14partition_implILS5_0ELb0ES3_jN6thrust23THRUST_200600_302600_NS6detail15normal_iteratorINSA_10device_ptrIxEEEEPS6_SG_NS0_5tupleIJNSA_16discard_iteratorINSA_11use_defaultEEESF_EEENSH_IJSG_SG_EEES6_PlJ7is_evenIxEEEE10hipError_tPvRmT3_T4_T5_T6_T7_T9_mT8_P12ihipStream_tbDpT10_ENKUlT_T0_E_clISt17integral_constantIbLb0EES18_IbLb1EEEEDaS14_S15_EUlS14_E_NS1_11comp_targetILNS1_3genE2ELNS1_11target_archE906ELNS1_3gpuE6ELNS1_3repE0EEENS1_30default_config_static_selectorELNS0_4arch9wavefront6targetE1EEEvT1_
	.globl	_ZN7rocprim17ROCPRIM_400000_NS6detail17trampoline_kernelINS0_14default_configENS1_25partition_config_selectorILNS1_17partition_subalgoE0ExNS0_10empty_typeEbEEZZNS1_14partition_implILS5_0ELb0ES3_jN6thrust23THRUST_200600_302600_NS6detail15normal_iteratorINSA_10device_ptrIxEEEEPS6_SG_NS0_5tupleIJNSA_16discard_iteratorINSA_11use_defaultEEESF_EEENSH_IJSG_SG_EEES6_PlJ7is_evenIxEEEE10hipError_tPvRmT3_T4_T5_T6_T7_T9_mT8_P12ihipStream_tbDpT10_ENKUlT_T0_E_clISt17integral_constantIbLb0EES18_IbLb1EEEEDaS14_S15_EUlS14_E_NS1_11comp_targetILNS1_3genE2ELNS1_11target_archE906ELNS1_3gpuE6ELNS1_3repE0EEENS1_30default_config_static_selectorELNS0_4arch9wavefront6targetE1EEEvT1_
	.p2align	8
	.type	_ZN7rocprim17ROCPRIM_400000_NS6detail17trampoline_kernelINS0_14default_configENS1_25partition_config_selectorILNS1_17partition_subalgoE0ExNS0_10empty_typeEbEEZZNS1_14partition_implILS5_0ELb0ES3_jN6thrust23THRUST_200600_302600_NS6detail15normal_iteratorINSA_10device_ptrIxEEEEPS6_SG_NS0_5tupleIJNSA_16discard_iteratorINSA_11use_defaultEEESF_EEENSH_IJSG_SG_EEES6_PlJ7is_evenIxEEEE10hipError_tPvRmT3_T4_T5_T6_T7_T9_mT8_P12ihipStream_tbDpT10_ENKUlT_T0_E_clISt17integral_constantIbLb0EES18_IbLb1EEEEDaS14_S15_EUlS14_E_NS1_11comp_targetILNS1_3genE2ELNS1_11target_archE906ELNS1_3gpuE6ELNS1_3repE0EEENS1_30default_config_static_selectorELNS0_4arch9wavefront6targetE1EEEvT1_,@function
_ZN7rocprim17ROCPRIM_400000_NS6detail17trampoline_kernelINS0_14default_configENS1_25partition_config_selectorILNS1_17partition_subalgoE0ExNS0_10empty_typeEbEEZZNS1_14partition_implILS5_0ELb0ES3_jN6thrust23THRUST_200600_302600_NS6detail15normal_iteratorINSA_10device_ptrIxEEEEPS6_SG_NS0_5tupleIJNSA_16discard_iteratorINSA_11use_defaultEEESF_EEENSH_IJSG_SG_EEES6_PlJ7is_evenIxEEEE10hipError_tPvRmT3_T4_T5_T6_T7_T9_mT8_P12ihipStream_tbDpT10_ENKUlT_T0_E_clISt17integral_constantIbLb0EES18_IbLb1EEEEDaS14_S15_EUlS14_E_NS1_11comp_targetILNS1_3genE2ELNS1_11target_archE906ELNS1_3gpuE6ELNS1_3repE0EEENS1_30default_config_static_selectorELNS0_4arch9wavefront6targetE1EEEvT1_: ; @_ZN7rocprim17ROCPRIM_400000_NS6detail17trampoline_kernelINS0_14default_configENS1_25partition_config_selectorILNS1_17partition_subalgoE0ExNS0_10empty_typeEbEEZZNS1_14partition_implILS5_0ELb0ES3_jN6thrust23THRUST_200600_302600_NS6detail15normal_iteratorINSA_10device_ptrIxEEEEPS6_SG_NS0_5tupleIJNSA_16discard_iteratorINSA_11use_defaultEEESF_EEENSH_IJSG_SG_EEES6_PlJ7is_evenIxEEEE10hipError_tPvRmT3_T4_T5_T6_T7_T9_mT8_P12ihipStream_tbDpT10_ENKUlT_T0_E_clISt17integral_constantIbLb0EES18_IbLb1EEEEDaS14_S15_EUlS14_E_NS1_11comp_targetILNS1_3genE2ELNS1_11target_archE906ELNS1_3gpuE6ELNS1_3repE0EEENS1_30default_config_static_selectorELNS0_4arch9wavefront6targetE1EEEvT1_
; %bb.0:
	.section	.rodata,"a",@progbits
	.p2align	6, 0x0
	.amdhsa_kernel _ZN7rocprim17ROCPRIM_400000_NS6detail17trampoline_kernelINS0_14default_configENS1_25partition_config_selectorILNS1_17partition_subalgoE0ExNS0_10empty_typeEbEEZZNS1_14partition_implILS5_0ELb0ES3_jN6thrust23THRUST_200600_302600_NS6detail15normal_iteratorINSA_10device_ptrIxEEEEPS6_SG_NS0_5tupleIJNSA_16discard_iteratorINSA_11use_defaultEEESF_EEENSH_IJSG_SG_EEES6_PlJ7is_evenIxEEEE10hipError_tPvRmT3_T4_T5_T6_T7_T9_mT8_P12ihipStream_tbDpT10_ENKUlT_T0_E_clISt17integral_constantIbLb0EES18_IbLb1EEEEDaS14_S15_EUlS14_E_NS1_11comp_targetILNS1_3genE2ELNS1_11target_archE906ELNS1_3gpuE6ELNS1_3repE0EEENS1_30default_config_static_selectorELNS0_4arch9wavefront6targetE1EEEvT1_
		.amdhsa_group_segment_fixed_size 0
		.amdhsa_private_segment_fixed_size 0
		.amdhsa_kernarg_size 144
		.amdhsa_user_sgpr_count 2
		.amdhsa_user_sgpr_dispatch_ptr 0
		.amdhsa_user_sgpr_queue_ptr 0
		.amdhsa_user_sgpr_kernarg_segment_ptr 1
		.amdhsa_user_sgpr_dispatch_id 0
		.amdhsa_user_sgpr_kernarg_preload_length 0
		.amdhsa_user_sgpr_kernarg_preload_offset 0
		.amdhsa_user_sgpr_private_segment_size 0
		.amdhsa_uses_dynamic_stack 0
		.amdhsa_enable_private_segment 0
		.amdhsa_system_sgpr_workgroup_id_x 1
		.amdhsa_system_sgpr_workgroup_id_y 0
		.amdhsa_system_sgpr_workgroup_id_z 0
		.amdhsa_system_sgpr_workgroup_info 0
		.amdhsa_system_vgpr_workitem_id 0
		.amdhsa_next_free_vgpr 1
		.amdhsa_next_free_sgpr 0
		.amdhsa_accum_offset 4
		.amdhsa_reserve_vcc 0
		.amdhsa_float_round_mode_32 0
		.amdhsa_float_round_mode_16_64 0
		.amdhsa_float_denorm_mode_32 3
		.amdhsa_float_denorm_mode_16_64 3
		.amdhsa_dx10_clamp 1
		.amdhsa_ieee_mode 1
		.amdhsa_fp16_overflow 0
		.amdhsa_tg_split 0
		.amdhsa_exception_fp_ieee_invalid_op 0
		.amdhsa_exception_fp_denorm_src 0
		.amdhsa_exception_fp_ieee_div_zero 0
		.amdhsa_exception_fp_ieee_overflow 0
		.amdhsa_exception_fp_ieee_underflow 0
		.amdhsa_exception_fp_ieee_inexact 0
		.amdhsa_exception_int_div_zero 0
	.end_amdhsa_kernel
	.section	.text._ZN7rocprim17ROCPRIM_400000_NS6detail17trampoline_kernelINS0_14default_configENS1_25partition_config_selectorILNS1_17partition_subalgoE0ExNS0_10empty_typeEbEEZZNS1_14partition_implILS5_0ELb0ES3_jN6thrust23THRUST_200600_302600_NS6detail15normal_iteratorINSA_10device_ptrIxEEEEPS6_SG_NS0_5tupleIJNSA_16discard_iteratorINSA_11use_defaultEEESF_EEENSH_IJSG_SG_EEES6_PlJ7is_evenIxEEEE10hipError_tPvRmT3_T4_T5_T6_T7_T9_mT8_P12ihipStream_tbDpT10_ENKUlT_T0_E_clISt17integral_constantIbLb0EES18_IbLb1EEEEDaS14_S15_EUlS14_E_NS1_11comp_targetILNS1_3genE2ELNS1_11target_archE906ELNS1_3gpuE6ELNS1_3repE0EEENS1_30default_config_static_selectorELNS0_4arch9wavefront6targetE1EEEvT1_,"axG",@progbits,_ZN7rocprim17ROCPRIM_400000_NS6detail17trampoline_kernelINS0_14default_configENS1_25partition_config_selectorILNS1_17partition_subalgoE0ExNS0_10empty_typeEbEEZZNS1_14partition_implILS5_0ELb0ES3_jN6thrust23THRUST_200600_302600_NS6detail15normal_iteratorINSA_10device_ptrIxEEEEPS6_SG_NS0_5tupleIJNSA_16discard_iteratorINSA_11use_defaultEEESF_EEENSH_IJSG_SG_EEES6_PlJ7is_evenIxEEEE10hipError_tPvRmT3_T4_T5_T6_T7_T9_mT8_P12ihipStream_tbDpT10_ENKUlT_T0_E_clISt17integral_constantIbLb0EES18_IbLb1EEEEDaS14_S15_EUlS14_E_NS1_11comp_targetILNS1_3genE2ELNS1_11target_archE906ELNS1_3gpuE6ELNS1_3repE0EEENS1_30default_config_static_selectorELNS0_4arch9wavefront6targetE1EEEvT1_,comdat
.Lfunc_end2679:
	.size	_ZN7rocprim17ROCPRIM_400000_NS6detail17trampoline_kernelINS0_14default_configENS1_25partition_config_selectorILNS1_17partition_subalgoE0ExNS0_10empty_typeEbEEZZNS1_14partition_implILS5_0ELb0ES3_jN6thrust23THRUST_200600_302600_NS6detail15normal_iteratorINSA_10device_ptrIxEEEEPS6_SG_NS0_5tupleIJNSA_16discard_iteratorINSA_11use_defaultEEESF_EEENSH_IJSG_SG_EEES6_PlJ7is_evenIxEEEE10hipError_tPvRmT3_T4_T5_T6_T7_T9_mT8_P12ihipStream_tbDpT10_ENKUlT_T0_E_clISt17integral_constantIbLb0EES18_IbLb1EEEEDaS14_S15_EUlS14_E_NS1_11comp_targetILNS1_3genE2ELNS1_11target_archE906ELNS1_3gpuE6ELNS1_3repE0EEENS1_30default_config_static_selectorELNS0_4arch9wavefront6targetE1EEEvT1_, .Lfunc_end2679-_ZN7rocprim17ROCPRIM_400000_NS6detail17trampoline_kernelINS0_14default_configENS1_25partition_config_selectorILNS1_17partition_subalgoE0ExNS0_10empty_typeEbEEZZNS1_14partition_implILS5_0ELb0ES3_jN6thrust23THRUST_200600_302600_NS6detail15normal_iteratorINSA_10device_ptrIxEEEEPS6_SG_NS0_5tupleIJNSA_16discard_iteratorINSA_11use_defaultEEESF_EEENSH_IJSG_SG_EEES6_PlJ7is_evenIxEEEE10hipError_tPvRmT3_T4_T5_T6_T7_T9_mT8_P12ihipStream_tbDpT10_ENKUlT_T0_E_clISt17integral_constantIbLb0EES18_IbLb1EEEEDaS14_S15_EUlS14_E_NS1_11comp_targetILNS1_3genE2ELNS1_11target_archE906ELNS1_3gpuE6ELNS1_3repE0EEENS1_30default_config_static_selectorELNS0_4arch9wavefront6targetE1EEEvT1_
                                        ; -- End function
	.section	.AMDGPU.csdata,"",@progbits
; Kernel info:
; codeLenInByte = 0
; NumSgprs: 6
; NumVgprs: 0
; NumAgprs: 0
; TotalNumVgprs: 0
; ScratchSize: 0
; MemoryBound: 0
; FloatMode: 240
; IeeeMode: 1
; LDSByteSize: 0 bytes/workgroup (compile time only)
; SGPRBlocks: 0
; VGPRBlocks: 0
; NumSGPRsForWavesPerEU: 6
; NumVGPRsForWavesPerEU: 1
; AccumOffset: 4
; Occupancy: 8
; WaveLimiterHint : 0
; COMPUTE_PGM_RSRC2:SCRATCH_EN: 0
; COMPUTE_PGM_RSRC2:USER_SGPR: 2
; COMPUTE_PGM_RSRC2:TRAP_HANDLER: 0
; COMPUTE_PGM_RSRC2:TGID_X_EN: 1
; COMPUTE_PGM_RSRC2:TGID_Y_EN: 0
; COMPUTE_PGM_RSRC2:TGID_Z_EN: 0
; COMPUTE_PGM_RSRC2:TIDIG_COMP_CNT: 0
; COMPUTE_PGM_RSRC3_GFX90A:ACCUM_OFFSET: 0
; COMPUTE_PGM_RSRC3_GFX90A:TG_SPLIT: 0
	.section	.text._ZN7rocprim17ROCPRIM_400000_NS6detail17trampoline_kernelINS0_14default_configENS1_25partition_config_selectorILNS1_17partition_subalgoE0ExNS0_10empty_typeEbEEZZNS1_14partition_implILS5_0ELb0ES3_jN6thrust23THRUST_200600_302600_NS6detail15normal_iteratorINSA_10device_ptrIxEEEEPS6_SG_NS0_5tupleIJNSA_16discard_iteratorINSA_11use_defaultEEESF_EEENSH_IJSG_SG_EEES6_PlJ7is_evenIxEEEE10hipError_tPvRmT3_T4_T5_T6_T7_T9_mT8_P12ihipStream_tbDpT10_ENKUlT_T0_E_clISt17integral_constantIbLb0EES18_IbLb1EEEEDaS14_S15_EUlS14_E_NS1_11comp_targetILNS1_3genE10ELNS1_11target_archE1200ELNS1_3gpuE4ELNS1_3repE0EEENS1_30default_config_static_selectorELNS0_4arch9wavefront6targetE1EEEvT1_,"axG",@progbits,_ZN7rocprim17ROCPRIM_400000_NS6detail17trampoline_kernelINS0_14default_configENS1_25partition_config_selectorILNS1_17partition_subalgoE0ExNS0_10empty_typeEbEEZZNS1_14partition_implILS5_0ELb0ES3_jN6thrust23THRUST_200600_302600_NS6detail15normal_iteratorINSA_10device_ptrIxEEEEPS6_SG_NS0_5tupleIJNSA_16discard_iteratorINSA_11use_defaultEEESF_EEENSH_IJSG_SG_EEES6_PlJ7is_evenIxEEEE10hipError_tPvRmT3_T4_T5_T6_T7_T9_mT8_P12ihipStream_tbDpT10_ENKUlT_T0_E_clISt17integral_constantIbLb0EES18_IbLb1EEEEDaS14_S15_EUlS14_E_NS1_11comp_targetILNS1_3genE10ELNS1_11target_archE1200ELNS1_3gpuE4ELNS1_3repE0EEENS1_30default_config_static_selectorELNS0_4arch9wavefront6targetE1EEEvT1_,comdat
	.protected	_ZN7rocprim17ROCPRIM_400000_NS6detail17trampoline_kernelINS0_14default_configENS1_25partition_config_selectorILNS1_17partition_subalgoE0ExNS0_10empty_typeEbEEZZNS1_14partition_implILS5_0ELb0ES3_jN6thrust23THRUST_200600_302600_NS6detail15normal_iteratorINSA_10device_ptrIxEEEEPS6_SG_NS0_5tupleIJNSA_16discard_iteratorINSA_11use_defaultEEESF_EEENSH_IJSG_SG_EEES6_PlJ7is_evenIxEEEE10hipError_tPvRmT3_T4_T5_T6_T7_T9_mT8_P12ihipStream_tbDpT10_ENKUlT_T0_E_clISt17integral_constantIbLb0EES18_IbLb1EEEEDaS14_S15_EUlS14_E_NS1_11comp_targetILNS1_3genE10ELNS1_11target_archE1200ELNS1_3gpuE4ELNS1_3repE0EEENS1_30default_config_static_selectorELNS0_4arch9wavefront6targetE1EEEvT1_ ; -- Begin function _ZN7rocprim17ROCPRIM_400000_NS6detail17trampoline_kernelINS0_14default_configENS1_25partition_config_selectorILNS1_17partition_subalgoE0ExNS0_10empty_typeEbEEZZNS1_14partition_implILS5_0ELb0ES3_jN6thrust23THRUST_200600_302600_NS6detail15normal_iteratorINSA_10device_ptrIxEEEEPS6_SG_NS0_5tupleIJNSA_16discard_iteratorINSA_11use_defaultEEESF_EEENSH_IJSG_SG_EEES6_PlJ7is_evenIxEEEE10hipError_tPvRmT3_T4_T5_T6_T7_T9_mT8_P12ihipStream_tbDpT10_ENKUlT_T0_E_clISt17integral_constantIbLb0EES18_IbLb1EEEEDaS14_S15_EUlS14_E_NS1_11comp_targetILNS1_3genE10ELNS1_11target_archE1200ELNS1_3gpuE4ELNS1_3repE0EEENS1_30default_config_static_selectorELNS0_4arch9wavefront6targetE1EEEvT1_
	.globl	_ZN7rocprim17ROCPRIM_400000_NS6detail17trampoline_kernelINS0_14default_configENS1_25partition_config_selectorILNS1_17partition_subalgoE0ExNS0_10empty_typeEbEEZZNS1_14partition_implILS5_0ELb0ES3_jN6thrust23THRUST_200600_302600_NS6detail15normal_iteratorINSA_10device_ptrIxEEEEPS6_SG_NS0_5tupleIJNSA_16discard_iteratorINSA_11use_defaultEEESF_EEENSH_IJSG_SG_EEES6_PlJ7is_evenIxEEEE10hipError_tPvRmT3_T4_T5_T6_T7_T9_mT8_P12ihipStream_tbDpT10_ENKUlT_T0_E_clISt17integral_constantIbLb0EES18_IbLb1EEEEDaS14_S15_EUlS14_E_NS1_11comp_targetILNS1_3genE10ELNS1_11target_archE1200ELNS1_3gpuE4ELNS1_3repE0EEENS1_30default_config_static_selectorELNS0_4arch9wavefront6targetE1EEEvT1_
	.p2align	8
	.type	_ZN7rocprim17ROCPRIM_400000_NS6detail17trampoline_kernelINS0_14default_configENS1_25partition_config_selectorILNS1_17partition_subalgoE0ExNS0_10empty_typeEbEEZZNS1_14partition_implILS5_0ELb0ES3_jN6thrust23THRUST_200600_302600_NS6detail15normal_iteratorINSA_10device_ptrIxEEEEPS6_SG_NS0_5tupleIJNSA_16discard_iteratorINSA_11use_defaultEEESF_EEENSH_IJSG_SG_EEES6_PlJ7is_evenIxEEEE10hipError_tPvRmT3_T4_T5_T6_T7_T9_mT8_P12ihipStream_tbDpT10_ENKUlT_T0_E_clISt17integral_constantIbLb0EES18_IbLb1EEEEDaS14_S15_EUlS14_E_NS1_11comp_targetILNS1_3genE10ELNS1_11target_archE1200ELNS1_3gpuE4ELNS1_3repE0EEENS1_30default_config_static_selectorELNS0_4arch9wavefront6targetE1EEEvT1_,@function
_ZN7rocprim17ROCPRIM_400000_NS6detail17trampoline_kernelINS0_14default_configENS1_25partition_config_selectorILNS1_17partition_subalgoE0ExNS0_10empty_typeEbEEZZNS1_14partition_implILS5_0ELb0ES3_jN6thrust23THRUST_200600_302600_NS6detail15normal_iteratorINSA_10device_ptrIxEEEEPS6_SG_NS0_5tupleIJNSA_16discard_iteratorINSA_11use_defaultEEESF_EEENSH_IJSG_SG_EEES6_PlJ7is_evenIxEEEE10hipError_tPvRmT3_T4_T5_T6_T7_T9_mT8_P12ihipStream_tbDpT10_ENKUlT_T0_E_clISt17integral_constantIbLb0EES18_IbLb1EEEEDaS14_S15_EUlS14_E_NS1_11comp_targetILNS1_3genE10ELNS1_11target_archE1200ELNS1_3gpuE4ELNS1_3repE0EEENS1_30default_config_static_selectorELNS0_4arch9wavefront6targetE1EEEvT1_: ; @_ZN7rocprim17ROCPRIM_400000_NS6detail17trampoline_kernelINS0_14default_configENS1_25partition_config_selectorILNS1_17partition_subalgoE0ExNS0_10empty_typeEbEEZZNS1_14partition_implILS5_0ELb0ES3_jN6thrust23THRUST_200600_302600_NS6detail15normal_iteratorINSA_10device_ptrIxEEEEPS6_SG_NS0_5tupleIJNSA_16discard_iteratorINSA_11use_defaultEEESF_EEENSH_IJSG_SG_EEES6_PlJ7is_evenIxEEEE10hipError_tPvRmT3_T4_T5_T6_T7_T9_mT8_P12ihipStream_tbDpT10_ENKUlT_T0_E_clISt17integral_constantIbLb0EES18_IbLb1EEEEDaS14_S15_EUlS14_E_NS1_11comp_targetILNS1_3genE10ELNS1_11target_archE1200ELNS1_3gpuE4ELNS1_3repE0EEENS1_30default_config_static_selectorELNS0_4arch9wavefront6targetE1EEEvT1_
; %bb.0:
	.section	.rodata,"a",@progbits
	.p2align	6, 0x0
	.amdhsa_kernel _ZN7rocprim17ROCPRIM_400000_NS6detail17trampoline_kernelINS0_14default_configENS1_25partition_config_selectorILNS1_17partition_subalgoE0ExNS0_10empty_typeEbEEZZNS1_14partition_implILS5_0ELb0ES3_jN6thrust23THRUST_200600_302600_NS6detail15normal_iteratorINSA_10device_ptrIxEEEEPS6_SG_NS0_5tupleIJNSA_16discard_iteratorINSA_11use_defaultEEESF_EEENSH_IJSG_SG_EEES6_PlJ7is_evenIxEEEE10hipError_tPvRmT3_T4_T5_T6_T7_T9_mT8_P12ihipStream_tbDpT10_ENKUlT_T0_E_clISt17integral_constantIbLb0EES18_IbLb1EEEEDaS14_S15_EUlS14_E_NS1_11comp_targetILNS1_3genE10ELNS1_11target_archE1200ELNS1_3gpuE4ELNS1_3repE0EEENS1_30default_config_static_selectorELNS0_4arch9wavefront6targetE1EEEvT1_
		.amdhsa_group_segment_fixed_size 0
		.amdhsa_private_segment_fixed_size 0
		.amdhsa_kernarg_size 144
		.amdhsa_user_sgpr_count 2
		.amdhsa_user_sgpr_dispatch_ptr 0
		.amdhsa_user_sgpr_queue_ptr 0
		.amdhsa_user_sgpr_kernarg_segment_ptr 1
		.amdhsa_user_sgpr_dispatch_id 0
		.amdhsa_user_sgpr_kernarg_preload_length 0
		.amdhsa_user_sgpr_kernarg_preload_offset 0
		.amdhsa_user_sgpr_private_segment_size 0
		.amdhsa_uses_dynamic_stack 0
		.amdhsa_enable_private_segment 0
		.amdhsa_system_sgpr_workgroup_id_x 1
		.amdhsa_system_sgpr_workgroup_id_y 0
		.amdhsa_system_sgpr_workgroup_id_z 0
		.amdhsa_system_sgpr_workgroup_info 0
		.amdhsa_system_vgpr_workitem_id 0
		.amdhsa_next_free_vgpr 1
		.amdhsa_next_free_sgpr 0
		.amdhsa_accum_offset 4
		.amdhsa_reserve_vcc 0
		.amdhsa_float_round_mode_32 0
		.amdhsa_float_round_mode_16_64 0
		.amdhsa_float_denorm_mode_32 3
		.amdhsa_float_denorm_mode_16_64 3
		.amdhsa_dx10_clamp 1
		.amdhsa_ieee_mode 1
		.amdhsa_fp16_overflow 0
		.amdhsa_tg_split 0
		.amdhsa_exception_fp_ieee_invalid_op 0
		.amdhsa_exception_fp_denorm_src 0
		.amdhsa_exception_fp_ieee_div_zero 0
		.amdhsa_exception_fp_ieee_overflow 0
		.amdhsa_exception_fp_ieee_underflow 0
		.amdhsa_exception_fp_ieee_inexact 0
		.amdhsa_exception_int_div_zero 0
	.end_amdhsa_kernel
	.section	.text._ZN7rocprim17ROCPRIM_400000_NS6detail17trampoline_kernelINS0_14default_configENS1_25partition_config_selectorILNS1_17partition_subalgoE0ExNS0_10empty_typeEbEEZZNS1_14partition_implILS5_0ELb0ES3_jN6thrust23THRUST_200600_302600_NS6detail15normal_iteratorINSA_10device_ptrIxEEEEPS6_SG_NS0_5tupleIJNSA_16discard_iteratorINSA_11use_defaultEEESF_EEENSH_IJSG_SG_EEES6_PlJ7is_evenIxEEEE10hipError_tPvRmT3_T4_T5_T6_T7_T9_mT8_P12ihipStream_tbDpT10_ENKUlT_T0_E_clISt17integral_constantIbLb0EES18_IbLb1EEEEDaS14_S15_EUlS14_E_NS1_11comp_targetILNS1_3genE10ELNS1_11target_archE1200ELNS1_3gpuE4ELNS1_3repE0EEENS1_30default_config_static_selectorELNS0_4arch9wavefront6targetE1EEEvT1_,"axG",@progbits,_ZN7rocprim17ROCPRIM_400000_NS6detail17trampoline_kernelINS0_14default_configENS1_25partition_config_selectorILNS1_17partition_subalgoE0ExNS0_10empty_typeEbEEZZNS1_14partition_implILS5_0ELb0ES3_jN6thrust23THRUST_200600_302600_NS6detail15normal_iteratorINSA_10device_ptrIxEEEEPS6_SG_NS0_5tupleIJNSA_16discard_iteratorINSA_11use_defaultEEESF_EEENSH_IJSG_SG_EEES6_PlJ7is_evenIxEEEE10hipError_tPvRmT3_T4_T5_T6_T7_T9_mT8_P12ihipStream_tbDpT10_ENKUlT_T0_E_clISt17integral_constantIbLb0EES18_IbLb1EEEEDaS14_S15_EUlS14_E_NS1_11comp_targetILNS1_3genE10ELNS1_11target_archE1200ELNS1_3gpuE4ELNS1_3repE0EEENS1_30default_config_static_selectorELNS0_4arch9wavefront6targetE1EEEvT1_,comdat
.Lfunc_end2680:
	.size	_ZN7rocprim17ROCPRIM_400000_NS6detail17trampoline_kernelINS0_14default_configENS1_25partition_config_selectorILNS1_17partition_subalgoE0ExNS0_10empty_typeEbEEZZNS1_14partition_implILS5_0ELb0ES3_jN6thrust23THRUST_200600_302600_NS6detail15normal_iteratorINSA_10device_ptrIxEEEEPS6_SG_NS0_5tupleIJNSA_16discard_iteratorINSA_11use_defaultEEESF_EEENSH_IJSG_SG_EEES6_PlJ7is_evenIxEEEE10hipError_tPvRmT3_T4_T5_T6_T7_T9_mT8_P12ihipStream_tbDpT10_ENKUlT_T0_E_clISt17integral_constantIbLb0EES18_IbLb1EEEEDaS14_S15_EUlS14_E_NS1_11comp_targetILNS1_3genE10ELNS1_11target_archE1200ELNS1_3gpuE4ELNS1_3repE0EEENS1_30default_config_static_selectorELNS0_4arch9wavefront6targetE1EEEvT1_, .Lfunc_end2680-_ZN7rocprim17ROCPRIM_400000_NS6detail17trampoline_kernelINS0_14default_configENS1_25partition_config_selectorILNS1_17partition_subalgoE0ExNS0_10empty_typeEbEEZZNS1_14partition_implILS5_0ELb0ES3_jN6thrust23THRUST_200600_302600_NS6detail15normal_iteratorINSA_10device_ptrIxEEEEPS6_SG_NS0_5tupleIJNSA_16discard_iteratorINSA_11use_defaultEEESF_EEENSH_IJSG_SG_EEES6_PlJ7is_evenIxEEEE10hipError_tPvRmT3_T4_T5_T6_T7_T9_mT8_P12ihipStream_tbDpT10_ENKUlT_T0_E_clISt17integral_constantIbLb0EES18_IbLb1EEEEDaS14_S15_EUlS14_E_NS1_11comp_targetILNS1_3genE10ELNS1_11target_archE1200ELNS1_3gpuE4ELNS1_3repE0EEENS1_30default_config_static_selectorELNS0_4arch9wavefront6targetE1EEEvT1_
                                        ; -- End function
	.section	.AMDGPU.csdata,"",@progbits
; Kernel info:
; codeLenInByte = 0
; NumSgprs: 6
; NumVgprs: 0
; NumAgprs: 0
; TotalNumVgprs: 0
; ScratchSize: 0
; MemoryBound: 0
; FloatMode: 240
; IeeeMode: 1
; LDSByteSize: 0 bytes/workgroup (compile time only)
; SGPRBlocks: 0
; VGPRBlocks: 0
; NumSGPRsForWavesPerEU: 6
; NumVGPRsForWavesPerEU: 1
; AccumOffset: 4
; Occupancy: 8
; WaveLimiterHint : 0
; COMPUTE_PGM_RSRC2:SCRATCH_EN: 0
; COMPUTE_PGM_RSRC2:USER_SGPR: 2
; COMPUTE_PGM_RSRC2:TRAP_HANDLER: 0
; COMPUTE_PGM_RSRC2:TGID_X_EN: 1
; COMPUTE_PGM_RSRC2:TGID_Y_EN: 0
; COMPUTE_PGM_RSRC2:TGID_Z_EN: 0
; COMPUTE_PGM_RSRC2:TIDIG_COMP_CNT: 0
; COMPUTE_PGM_RSRC3_GFX90A:ACCUM_OFFSET: 0
; COMPUTE_PGM_RSRC3_GFX90A:TG_SPLIT: 0
	.section	.text._ZN7rocprim17ROCPRIM_400000_NS6detail17trampoline_kernelINS0_14default_configENS1_25partition_config_selectorILNS1_17partition_subalgoE0ExNS0_10empty_typeEbEEZZNS1_14partition_implILS5_0ELb0ES3_jN6thrust23THRUST_200600_302600_NS6detail15normal_iteratorINSA_10device_ptrIxEEEEPS6_SG_NS0_5tupleIJNSA_16discard_iteratorINSA_11use_defaultEEESF_EEENSH_IJSG_SG_EEES6_PlJ7is_evenIxEEEE10hipError_tPvRmT3_T4_T5_T6_T7_T9_mT8_P12ihipStream_tbDpT10_ENKUlT_T0_E_clISt17integral_constantIbLb0EES18_IbLb1EEEEDaS14_S15_EUlS14_E_NS1_11comp_targetILNS1_3genE9ELNS1_11target_archE1100ELNS1_3gpuE3ELNS1_3repE0EEENS1_30default_config_static_selectorELNS0_4arch9wavefront6targetE1EEEvT1_,"axG",@progbits,_ZN7rocprim17ROCPRIM_400000_NS6detail17trampoline_kernelINS0_14default_configENS1_25partition_config_selectorILNS1_17partition_subalgoE0ExNS0_10empty_typeEbEEZZNS1_14partition_implILS5_0ELb0ES3_jN6thrust23THRUST_200600_302600_NS6detail15normal_iteratorINSA_10device_ptrIxEEEEPS6_SG_NS0_5tupleIJNSA_16discard_iteratorINSA_11use_defaultEEESF_EEENSH_IJSG_SG_EEES6_PlJ7is_evenIxEEEE10hipError_tPvRmT3_T4_T5_T6_T7_T9_mT8_P12ihipStream_tbDpT10_ENKUlT_T0_E_clISt17integral_constantIbLb0EES18_IbLb1EEEEDaS14_S15_EUlS14_E_NS1_11comp_targetILNS1_3genE9ELNS1_11target_archE1100ELNS1_3gpuE3ELNS1_3repE0EEENS1_30default_config_static_selectorELNS0_4arch9wavefront6targetE1EEEvT1_,comdat
	.protected	_ZN7rocprim17ROCPRIM_400000_NS6detail17trampoline_kernelINS0_14default_configENS1_25partition_config_selectorILNS1_17partition_subalgoE0ExNS0_10empty_typeEbEEZZNS1_14partition_implILS5_0ELb0ES3_jN6thrust23THRUST_200600_302600_NS6detail15normal_iteratorINSA_10device_ptrIxEEEEPS6_SG_NS0_5tupleIJNSA_16discard_iteratorINSA_11use_defaultEEESF_EEENSH_IJSG_SG_EEES6_PlJ7is_evenIxEEEE10hipError_tPvRmT3_T4_T5_T6_T7_T9_mT8_P12ihipStream_tbDpT10_ENKUlT_T0_E_clISt17integral_constantIbLb0EES18_IbLb1EEEEDaS14_S15_EUlS14_E_NS1_11comp_targetILNS1_3genE9ELNS1_11target_archE1100ELNS1_3gpuE3ELNS1_3repE0EEENS1_30default_config_static_selectorELNS0_4arch9wavefront6targetE1EEEvT1_ ; -- Begin function _ZN7rocprim17ROCPRIM_400000_NS6detail17trampoline_kernelINS0_14default_configENS1_25partition_config_selectorILNS1_17partition_subalgoE0ExNS0_10empty_typeEbEEZZNS1_14partition_implILS5_0ELb0ES3_jN6thrust23THRUST_200600_302600_NS6detail15normal_iteratorINSA_10device_ptrIxEEEEPS6_SG_NS0_5tupleIJNSA_16discard_iteratorINSA_11use_defaultEEESF_EEENSH_IJSG_SG_EEES6_PlJ7is_evenIxEEEE10hipError_tPvRmT3_T4_T5_T6_T7_T9_mT8_P12ihipStream_tbDpT10_ENKUlT_T0_E_clISt17integral_constantIbLb0EES18_IbLb1EEEEDaS14_S15_EUlS14_E_NS1_11comp_targetILNS1_3genE9ELNS1_11target_archE1100ELNS1_3gpuE3ELNS1_3repE0EEENS1_30default_config_static_selectorELNS0_4arch9wavefront6targetE1EEEvT1_
	.globl	_ZN7rocprim17ROCPRIM_400000_NS6detail17trampoline_kernelINS0_14default_configENS1_25partition_config_selectorILNS1_17partition_subalgoE0ExNS0_10empty_typeEbEEZZNS1_14partition_implILS5_0ELb0ES3_jN6thrust23THRUST_200600_302600_NS6detail15normal_iteratorINSA_10device_ptrIxEEEEPS6_SG_NS0_5tupleIJNSA_16discard_iteratorINSA_11use_defaultEEESF_EEENSH_IJSG_SG_EEES6_PlJ7is_evenIxEEEE10hipError_tPvRmT3_T4_T5_T6_T7_T9_mT8_P12ihipStream_tbDpT10_ENKUlT_T0_E_clISt17integral_constantIbLb0EES18_IbLb1EEEEDaS14_S15_EUlS14_E_NS1_11comp_targetILNS1_3genE9ELNS1_11target_archE1100ELNS1_3gpuE3ELNS1_3repE0EEENS1_30default_config_static_selectorELNS0_4arch9wavefront6targetE1EEEvT1_
	.p2align	8
	.type	_ZN7rocprim17ROCPRIM_400000_NS6detail17trampoline_kernelINS0_14default_configENS1_25partition_config_selectorILNS1_17partition_subalgoE0ExNS0_10empty_typeEbEEZZNS1_14partition_implILS5_0ELb0ES3_jN6thrust23THRUST_200600_302600_NS6detail15normal_iteratorINSA_10device_ptrIxEEEEPS6_SG_NS0_5tupleIJNSA_16discard_iteratorINSA_11use_defaultEEESF_EEENSH_IJSG_SG_EEES6_PlJ7is_evenIxEEEE10hipError_tPvRmT3_T4_T5_T6_T7_T9_mT8_P12ihipStream_tbDpT10_ENKUlT_T0_E_clISt17integral_constantIbLb0EES18_IbLb1EEEEDaS14_S15_EUlS14_E_NS1_11comp_targetILNS1_3genE9ELNS1_11target_archE1100ELNS1_3gpuE3ELNS1_3repE0EEENS1_30default_config_static_selectorELNS0_4arch9wavefront6targetE1EEEvT1_,@function
_ZN7rocprim17ROCPRIM_400000_NS6detail17trampoline_kernelINS0_14default_configENS1_25partition_config_selectorILNS1_17partition_subalgoE0ExNS0_10empty_typeEbEEZZNS1_14partition_implILS5_0ELb0ES3_jN6thrust23THRUST_200600_302600_NS6detail15normal_iteratorINSA_10device_ptrIxEEEEPS6_SG_NS0_5tupleIJNSA_16discard_iteratorINSA_11use_defaultEEESF_EEENSH_IJSG_SG_EEES6_PlJ7is_evenIxEEEE10hipError_tPvRmT3_T4_T5_T6_T7_T9_mT8_P12ihipStream_tbDpT10_ENKUlT_T0_E_clISt17integral_constantIbLb0EES18_IbLb1EEEEDaS14_S15_EUlS14_E_NS1_11comp_targetILNS1_3genE9ELNS1_11target_archE1100ELNS1_3gpuE3ELNS1_3repE0EEENS1_30default_config_static_selectorELNS0_4arch9wavefront6targetE1EEEvT1_: ; @_ZN7rocprim17ROCPRIM_400000_NS6detail17trampoline_kernelINS0_14default_configENS1_25partition_config_selectorILNS1_17partition_subalgoE0ExNS0_10empty_typeEbEEZZNS1_14partition_implILS5_0ELb0ES3_jN6thrust23THRUST_200600_302600_NS6detail15normal_iteratorINSA_10device_ptrIxEEEEPS6_SG_NS0_5tupleIJNSA_16discard_iteratorINSA_11use_defaultEEESF_EEENSH_IJSG_SG_EEES6_PlJ7is_evenIxEEEE10hipError_tPvRmT3_T4_T5_T6_T7_T9_mT8_P12ihipStream_tbDpT10_ENKUlT_T0_E_clISt17integral_constantIbLb0EES18_IbLb1EEEEDaS14_S15_EUlS14_E_NS1_11comp_targetILNS1_3genE9ELNS1_11target_archE1100ELNS1_3gpuE3ELNS1_3repE0EEENS1_30default_config_static_selectorELNS0_4arch9wavefront6targetE1EEEvT1_
; %bb.0:
	.section	.rodata,"a",@progbits
	.p2align	6, 0x0
	.amdhsa_kernel _ZN7rocprim17ROCPRIM_400000_NS6detail17trampoline_kernelINS0_14default_configENS1_25partition_config_selectorILNS1_17partition_subalgoE0ExNS0_10empty_typeEbEEZZNS1_14partition_implILS5_0ELb0ES3_jN6thrust23THRUST_200600_302600_NS6detail15normal_iteratorINSA_10device_ptrIxEEEEPS6_SG_NS0_5tupleIJNSA_16discard_iteratorINSA_11use_defaultEEESF_EEENSH_IJSG_SG_EEES6_PlJ7is_evenIxEEEE10hipError_tPvRmT3_T4_T5_T6_T7_T9_mT8_P12ihipStream_tbDpT10_ENKUlT_T0_E_clISt17integral_constantIbLb0EES18_IbLb1EEEEDaS14_S15_EUlS14_E_NS1_11comp_targetILNS1_3genE9ELNS1_11target_archE1100ELNS1_3gpuE3ELNS1_3repE0EEENS1_30default_config_static_selectorELNS0_4arch9wavefront6targetE1EEEvT1_
		.amdhsa_group_segment_fixed_size 0
		.amdhsa_private_segment_fixed_size 0
		.amdhsa_kernarg_size 144
		.amdhsa_user_sgpr_count 2
		.amdhsa_user_sgpr_dispatch_ptr 0
		.amdhsa_user_sgpr_queue_ptr 0
		.amdhsa_user_sgpr_kernarg_segment_ptr 1
		.amdhsa_user_sgpr_dispatch_id 0
		.amdhsa_user_sgpr_kernarg_preload_length 0
		.amdhsa_user_sgpr_kernarg_preload_offset 0
		.amdhsa_user_sgpr_private_segment_size 0
		.amdhsa_uses_dynamic_stack 0
		.amdhsa_enable_private_segment 0
		.amdhsa_system_sgpr_workgroup_id_x 1
		.amdhsa_system_sgpr_workgroup_id_y 0
		.amdhsa_system_sgpr_workgroup_id_z 0
		.amdhsa_system_sgpr_workgroup_info 0
		.amdhsa_system_vgpr_workitem_id 0
		.amdhsa_next_free_vgpr 1
		.amdhsa_next_free_sgpr 0
		.amdhsa_accum_offset 4
		.amdhsa_reserve_vcc 0
		.amdhsa_float_round_mode_32 0
		.amdhsa_float_round_mode_16_64 0
		.amdhsa_float_denorm_mode_32 3
		.amdhsa_float_denorm_mode_16_64 3
		.amdhsa_dx10_clamp 1
		.amdhsa_ieee_mode 1
		.amdhsa_fp16_overflow 0
		.amdhsa_tg_split 0
		.amdhsa_exception_fp_ieee_invalid_op 0
		.amdhsa_exception_fp_denorm_src 0
		.amdhsa_exception_fp_ieee_div_zero 0
		.amdhsa_exception_fp_ieee_overflow 0
		.amdhsa_exception_fp_ieee_underflow 0
		.amdhsa_exception_fp_ieee_inexact 0
		.amdhsa_exception_int_div_zero 0
	.end_amdhsa_kernel
	.section	.text._ZN7rocprim17ROCPRIM_400000_NS6detail17trampoline_kernelINS0_14default_configENS1_25partition_config_selectorILNS1_17partition_subalgoE0ExNS0_10empty_typeEbEEZZNS1_14partition_implILS5_0ELb0ES3_jN6thrust23THRUST_200600_302600_NS6detail15normal_iteratorINSA_10device_ptrIxEEEEPS6_SG_NS0_5tupleIJNSA_16discard_iteratorINSA_11use_defaultEEESF_EEENSH_IJSG_SG_EEES6_PlJ7is_evenIxEEEE10hipError_tPvRmT3_T4_T5_T6_T7_T9_mT8_P12ihipStream_tbDpT10_ENKUlT_T0_E_clISt17integral_constantIbLb0EES18_IbLb1EEEEDaS14_S15_EUlS14_E_NS1_11comp_targetILNS1_3genE9ELNS1_11target_archE1100ELNS1_3gpuE3ELNS1_3repE0EEENS1_30default_config_static_selectorELNS0_4arch9wavefront6targetE1EEEvT1_,"axG",@progbits,_ZN7rocprim17ROCPRIM_400000_NS6detail17trampoline_kernelINS0_14default_configENS1_25partition_config_selectorILNS1_17partition_subalgoE0ExNS0_10empty_typeEbEEZZNS1_14partition_implILS5_0ELb0ES3_jN6thrust23THRUST_200600_302600_NS6detail15normal_iteratorINSA_10device_ptrIxEEEEPS6_SG_NS0_5tupleIJNSA_16discard_iteratorINSA_11use_defaultEEESF_EEENSH_IJSG_SG_EEES6_PlJ7is_evenIxEEEE10hipError_tPvRmT3_T4_T5_T6_T7_T9_mT8_P12ihipStream_tbDpT10_ENKUlT_T0_E_clISt17integral_constantIbLb0EES18_IbLb1EEEEDaS14_S15_EUlS14_E_NS1_11comp_targetILNS1_3genE9ELNS1_11target_archE1100ELNS1_3gpuE3ELNS1_3repE0EEENS1_30default_config_static_selectorELNS0_4arch9wavefront6targetE1EEEvT1_,comdat
.Lfunc_end2681:
	.size	_ZN7rocprim17ROCPRIM_400000_NS6detail17trampoline_kernelINS0_14default_configENS1_25partition_config_selectorILNS1_17partition_subalgoE0ExNS0_10empty_typeEbEEZZNS1_14partition_implILS5_0ELb0ES3_jN6thrust23THRUST_200600_302600_NS6detail15normal_iteratorINSA_10device_ptrIxEEEEPS6_SG_NS0_5tupleIJNSA_16discard_iteratorINSA_11use_defaultEEESF_EEENSH_IJSG_SG_EEES6_PlJ7is_evenIxEEEE10hipError_tPvRmT3_T4_T5_T6_T7_T9_mT8_P12ihipStream_tbDpT10_ENKUlT_T0_E_clISt17integral_constantIbLb0EES18_IbLb1EEEEDaS14_S15_EUlS14_E_NS1_11comp_targetILNS1_3genE9ELNS1_11target_archE1100ELNS1_3gpuE3ELNS1_3repE0EEENS1_30default_config_static_selectorELNS0_4arch9wavefront6targetE1EEEvT1_, .Lfunc_end2681-_ZN7rocprim17ROCPRIM_400000_NS6detail17trampoline_kernelINS0_14default_configENS1_25partition_config_selectorILNS1_17partition_subalgoE0ExNS0_10empty_typeEbEEZZNS1_14partition_implILS5_0ELb0ES3_jN6thrust23THRUST_200600_302600_NS6detail15normal_iteratorINSA_10device_ptrIxEEEEPS6_SG_NS0_5tupleIJNSA_16discard_iteratorINSA_11use_defaultEEESF_EEENSH_IJSG_SG_EEES6_PlJ7is_evenIxEEEE10hipError_tPvRmT3_T4_T5_T6_T7_T9_mT8_P12ihipStream_tbDpT10_ENKUlT_T0_E_clISt17integral_constantIbLb0EES18_IbLb1EEEEDaS14_S15_EUlS14_E_NS1_11comp_targetILNS1_3genE9ELNS1_11target_archE1100ELNS1_3gpuE3ELNS1_3repE0EEENS1_30default_config_static_selectorELNS0_4arch9wavefront6targetE1EEEvT1_
                                        ; -- End function
	.section	.AMDGPU.csdata,"",@progbits
; Kernel info:
; codeLenInByte = 0
; NumSgprs: 6
; NumVgprs: 0
; NumAgprs: 0
; TotalNumVgprs: 0
; ScratchSize: 0
; MemoryBound: 0
; FloatMode: 240
; IeeeMode: 1
; LDSByteSize: 0 bytes/workgroup (compile time only)
; SGPRBlocks: 0
; VGPRBlocks: 0
; NumSGPRsForWavesPerEU: 6
; NumVGPRsForWavesPerEU: 1
; AccumOffset: 4
; Occupancy: 8
; WaveLimiterHint : 0
; COMPUTE_PGM_RSRC2:SCRATCH_EN: 0
; COMPUTE_PGM_RSRC2:USER_SGPR: 2
; COMPUTE_PGM_RSRC2:TRAP_HANDLER: 0
; COMPUTE_PGM_RSRC2:TGID_X_EN: 1
; COMPUTE_PGM_RSRC2:TGID_Y_EN: 0
; COMPUTE_PGM_RSRC2:TGID_Z_EN: 0
; COMPUTE_PGM_RSRC2:TIDIG_COMP_CNT: 0
; COMPUTE_PGM_RSRC3_GFX90A:ACCUM_OFFSET: 0
; COMPUTE_PGM_RSRC3_GFX90A:TG_SPLIT: 0
	.section	.text._ZN7rocprim17ROCPRIM_400000_NS6detail17trampoline_kernelINS0_14default_configENS1_25partition_config_selectorILNS1_17partition_subalgoE0ExNS0_10empty_typeEbEEZZNS1_14partition_implILS5_0ELb0ES3_jN6thrust23THRUST_200600_302600_NS6detail15normal_iteratorINSA_10device_ptrIxEEEEPS6_SG_NS0_5tupleIJNSA_16discard_iteratorINSA_11use_defaultEEESF_EEENSH_IJSG_SG_EEES6_PlJ7is_evenIxEEEE10hipError_tPvRmT3_T4_T5_T6_T7_T9_mT8_P12ihipStream_tbDpT10_ENKUlT_T0_E_clISt17integral_constantIbLb0EES18_IbLb1EEEEDaS14_S15_EUlS14_E_NS1_11comp_targetILNS1_3genE8ELNS1_11target_archE1030ELNS1_3gpuE2ELNS1_3repE0EEENS1_30default_config_static_selectorELNS0_4arch9wavefront6targetE1EEEvT1_,"axG",@progbits,_ZN7rocprim17ROCPRIM_400000_NS6detail17trampoline_kernelINS0_14default_configENS1_25partition_config_selectorILNS1_17partition_subalgoE0ExNS0_10empty_typeEbEEZZNS1_14partition_implILS5_0ELb0ES3_jN6thrust23THRUST_200600_302600_NS6detail15normal_iteratorINSA_10device_ptrIxEEEEPS6_SG_NS0_5tupleIJNSA_16discard_iteratorINSA_11use_defaultEEESF_EEENSH_IJSG_SG_EEES6_PlJ7is_evenIxEEEE10hipError_tPvRmT3_T4_T5_T6_T7_T9_mT8_P12ihipStream_tbDpT10_ENKUlT_T0_E_clISt17integral_constantIbLb0EES18_IbLb1EEEEDaS14_S15_EUlS14_E_NS1_11comp_targetILNS1_3genE8ELNS1_11target_archE1030ELNS1_3gpuE2ELNS1_3repE0EEENS1_30default_config_static_selectorELNS0_4arch9wavefront6targetE1EEEvT1_,comdat
	.protected	_ZN7rocprim17ROCPRIM_400000_NS6detail17trampoline_kernelINS0_14default_configENS1_25partition_config_selectorILNS1_17partition_subalgoE0ExNS0_10empty_typeEbEEZZNS1_14partition_implILS5_0ELb0ES3_jN6thrust23THRUST_200600_302600_NS6detail15normal_iteratorINSA_10device_ptrIxEEEEPS6_SG_NS0_5tupleIJNSA_16discard_iteratorINSA_11use_defaultEEESF_EEENSH_IJSG_SG_EEES6_PlJ7is_evenIxEEEE10hipError_tPvRmT3_T4_T5_T6_T7_T9_mT8_P12ihipStream_tbDpT10_ENKUlT_T0_E_clISt17integral_constantIbLb0EES18_IbLb1EEEEDaS14_S15_EUlS14_E_NS1_11comp_targetILNS1_3genE8ELNS1_11target_archE1030ELNS1_3gpuE2ELNS1_3repE0EEENS1_30default_config_static_selectorELNS0_4arch9wavefront6targetE1EEEvT1_ ; -- Begin function _ZN7rocprim17ROCPRIM_400000_NS6detail17trampoline_kernelINS0_14default_configENS1_25partition_config_selectorILNS1_17partition_subalgoE0ExNS0_10empty_typeEbEEZZNS1_14partition_implILS5_0ELb0ES3_jN6thrust23THRUST_200600_302600_NS6detail15normal_iteratorINSA_10device_ptrIxEEEEPS6_SG_NS0_5tupleIJNSA_16discard_iteratorINSA_11use_defaultEEESF_EEENSH_IJSG_SG_EEES6_PlJ7is_evenIxEEEE10hipError_tPvRmT3_T4_T5_T6_T7_T9_mT8_P12ihipStream_tbDpT10_ENKUlT_T0_E_clISt17integral_constantIbLb0EES18_IbLb1EEEEDaS14_S15_EUlS14_E_NS1_11comp_targetILNS1_3genE8ELNS1_11target_archE1030ELNS1_3gpuE2ELNS1_3repE0EEENS1_30default_config_static_selectorELNS0_4arch9wavefront6targetE1EEEvT1_
	.globl	_ZN7rocprim17ROCPRIM_400000_NS6detail17trampoline_kernelINS0_14default_configENS1_25partition_config_selectorILNS1_17partition_subalgoE0ExNS0_10empty_typeEbEEZZNS1_14partition_implILS5_0ELb0ES3_jN6thrust23THRUST_200600_302600_NS6detail15normal_iteratorINSA_10device_ptrIxEEEEPS6_SG_NS0_5tupleIJNSA_16discard_iteratorINSA_11use_defaultEEESF_EEENSH_IJSG_SG_EEES6_PlJ7is_evenIxEEEE10hipError_tPvRmT3_T4_T5_T6_T7_T9_mT8_P12ihipStream_tbDpT10_ENKUlT_T0_E_clISt17integral_constantIbLb0EES18_IbLb1EEEEDaS14_S15_EUlS14_E_NS1_11comp_targetILNS1_3genE8ELNS1_11target_archE1030ELNS1_3gpuE2ELNS1_3repE0EEENS1_30default_config_static_selectorELNS0_4arch9wavefront6targetE1EEEvT1_
	.p2align	8
	.type	_ZN7rocprim17ROCPRIM_400000_NS6detail17trampoline_kernelINS0_14default_configENS1_25partition_config_selectorILNS1_17partition_subalgoE0ExNS0_10empty_typeEbEEZZNS1_14partition_implILS5_0ELb0ES3_jN6thrust23THRUST_200600_302600_NS6detail15normal_iteratorINSA_10device_ptrIxEEEEPS6_SG_NS0_5tupleIJNSA_16discard_iteratorINSA_11use_defaultEEESF_EEENSH_IJSG_SG_EEES6_PlJ7is_evenIxEEEE10hipError_tPvRmT3_T4_T5_T6_T7_T9_mT8_P12ihipStream_tbDpT10_ENKUlT_T0_E_clISt17integral_constantIbLb0EES18_IbLb1EEEEDaS14_S15_EUlS14_E_NS1_11comp_targetILNS1_3genE8ELNS1_11target_archE1030ELNS1_3gpuE2ELNS1_3repE0EEENS1_30default_config_static_selectorELNS0_4arch9wavefront6targetE1EEEvT1_,@function
_ZN7rocprim17ROCPRIM_400000_NS6detail17trampoline_kernelINS0_14default_configENS1_25partition_config_selectorILNS1_17partition_subalgoE0ExNS0_10empty_typeEbEEZZNS1_14partition_implILS5_0ELb0ES3_jN6thrust23THRUST_200600_302600_NS6detail15normal_iteratorINSA_10device_ptrIxEEEEPS6_SG_NS0_5tupleIJNSA_16discard_iteratorINSA_11use_defaultEEESF_EEENSH_IJSG_SG_EEES6_PlJ7is_evenIxEEEE10hipError_tPvRmT3_T4_T5_T6_T7_T9_mT8_P12ihipStream_tbDpT10_ENKUlT_T0_E_clISt17integral_constantIbLb0EES18_IbLb1EEEEDaS14_S15_EUlS14_E_NS1_11comp_targetILNS1_3genE8ELNS1_11target_archE1030ELNS1_3gpuE2ELNS1_3repE0EEENS1_30default_config_static_selectorELNS0_4arch9wavefront6targetE1EEEvT1_: ; @_ZN7rocprim17ROCPRIM_400000_NS6detail17trampoline_kernelINS0_14default_configENS1_25partition_config_selectorILNS1_17partition_subalgoE0ExNS0_10empty_typeEbEEZZNS1_14partition_implILS5_0ELb0ES3_jN6thrust23THRUST_200600_302600_NS6detail15normal_iteratorINSA_10device_ptrIxEEEEPS6_SG_NS0_5tupleIJNSA_16discard_iteratorINSA_11use_defaultEEESF_EEENSH_IJSG_SG_EEES6_PlJ7is_evenIxEEEE10hipError_tPvRmT3_T4_T5_T6_T7_T9_mT8_P12ihipStream_tbDpT10_ENKUlT_T0_E_clISt17integral_constantIbLb0EES18_IbLb1EEEEDaS14_S15_EUlS14_E_NS1_11comp_targetILNS1_3genE8ELNS1_11target_archE1030ELNS1_3gpuE2ELNS1_3repE0EEENS1_30default_config_static_selectorELNS0_4arch9wavefront6targetE1EEEvT1_
; %bb.0:
	.section	.rodata,"a",@progbits
	.p2align	6, 0x0
	.amdhsa_kernel _ZN7rocprim17ROCPRIM_400000_NS6detail17trampoline_kernelINS0_14default_configENS1_25partition_config_selectorILNS1_17partition_subalgoE0ExNS0_10empty_typeEbEEZZNS1_14partition_implILS5_0ELb0ES3_jN6thrust23THRUST_200600_302600_NS6detail15normal_iteratorINSA_10device_ptrIxEEEEPS6_SG_NS0_5tupleIJNSA_16discard_iteratorINSA_11use_defaultEEESF_EEENSH_IJSG_SG_EEES6_PlJ7is_evenIxEEEE10hipError_tPvRmT3_T4_T5_T6_T7_T9_mT8_P12ihipStream_tbDpT10_ENKUlT_T0_E_clISt17integral_constantIbLb0EES18_IbLb1EEEEDaS14_S15_EUlS14_E_NS1_11comp_targetILNS1_3genE8ELNS1_11target_archE1030ELNS1_3gpuE2ELNS1_3repE0EEENS1_30default_config_static_selectorELNS0_4arch9wavefront6targetE1EEEvT1_
		.amdhsa_group_segment_fixed_size 0
		.amdhsa_private_segment_fixed_size 0
		.amdhsa_kernarg_size 144
		.amdhsa_user_sgpr_count 2
		.amdhsa_user_sgpr_dispatch_ptr 0
		.amdhsa_user_sgpr_queue_ptr 0
		.amdhsa_user_sgpr_kernarg_segment_ptr 1
		.amdhsa_user_sgpr_dispatch_id 0
		.amdhsa_user_sgpr_kernarg_preload_length 0
		.amdhsa_user_sgpr_kernarg_preload_offset 0
		.amdhsa_user_sgpr_private_segment_size 0
		.amdhsa_uses_dynamic_stack 0
		.amdhsa_enable_private_segment 0
		.amdhsa_system_sgpr_workgroup_id_x 1
		.amdhsa_system_sgpr_workgroup_id_y 0
		.amdhsa_system_sgpr_workgroup_id_z 0
		.amdhsa_system_sgpr_workgroup_info 0
		.amdhsa_system_vgpr_workitem_id 0
		.amdhsa_next_free_vgpr 1
		.amdhsa_next_free_sgpr 0
		.amdhsa_accum_offset 4
		.amdhsa_reserve_vcc 0
		.amdhsa_float_round_mode_32 0
		.amdhsa_float_round_mode_16_64 0
		.amdhsa_float_denorm_mode_32 3
		.amdhsa_float_denorm_mode_16_64 3
		.amdhsa_dx10_clamp 1
		.amdhsa_ieee_mode 1
		.amdhsa_fp16_overflow 0
		.amdhsa_tg_split 0
		.amdhsa_exception_fp_ieee_invalid_op 0
		.amdhsa_exception_fp_denorm_src 0
		.amdhsa_exception_fp_ieee_div_zero 0
		.amdhsa_exception_fp_ieee_overflow 0
		.amdhsa_exception_fp_ieee_underflow 0
		.amdhsa_exception_fp_ieee_inexact 0
		.amdhsa_exception_int_div_zero 0
	.end_amdhsa_kernel
	.section	.text._ZN7rocprim17ROCPRIM_400000_NS6detail17trampoline_kernelINS0_14default_configENS1_25partition_config_selectorILNS1_17partition_subalgoE0ExNS0_10empty_typeEbEEZZNS1_14partition_implILS5_0ELb0ES3_jN6thrust23THRUST_200600_302600_NS6detail15normal_iteratorINSA_10device_ptrIxEEEEPS6_SG_NS0_5tupleIJNSA_16discard_iteratorINSA_11use_defaultEEESF_EEENSH_IJSG_SG_EEES6_PlJ7is_evenIxEEEE10hipError_tPvRmT3_T4_T5_T6_T7_T9_mT8_P12ihipStream_tbDpT10_ENKUlT_T0_E_clISt17integral_constantIbLb0EES18_IbLb1EEEEDaS14_S15_EUlS14_E_NS1_11comp_targetILNS1_3genE8ELNS1_11target_archE1030ELNS1_3gpuE2ELNS1_3repE0EEENS1_30default_config_static_selectorELNS0_4arch9wavefront6targetE1EEEvT1_,"axG",@progbits,_ZN7rocprim17ROCPRIM_400000_NS6detail17trampoline_kernelINS0_14default_configENS1_25partition_config_selectorILNS1_17partition_subalgoE0ExNS0_10empty_typeEbEEZZNS1_14partition_implILS5_0ELb0ES3_jN6thrust23THRUST_200600_302600_NS6detail15normal_iteratorINSA_10device_ptrIxEEEEPS6_SG_NS0_5tupleIJNSA_16discard_iteratorINSA_11use_defaultEEESF_EEENSH_IJSG_SG_EEES6_PlJ7is_evenIxEEEE10hipError_tPvRmT3_T4_T5_T6_T7_T9_mT8_P12ihipStream_tbDpT10_ENKUlT_T0_E_clISt17integral_constantIbLb0EES18_IbLb1EEEEDaS14_S15_EUlS14_E_NS1_11comp_targetILNS1_3genE8ELNS1_11target_archE1030ELNS1_3gpuE2ELNS1_3repE0EEENS1_30default_config_static_selectorELNS0_4arch9wavefront6targetE1EEEvT1_,comdat
.Lfunc_end2682:
	.size	_ZN7rocprim17ROCPRIM_400000_NS6detail17trampoline_kernelINS0_14default_configENS1_25partition_config_selectorILNS1_17partition_subalgoE0ExNS0_10empty_typeEbEEZZNS1_14partition_implILS5_0ELb0ES3_jN6thrust23THRUST_200600_302600_NS6detail15normal_iteratorINSA_10device_ptrIxEEEEPS6_SG_NS0_5tupleIJNSA_16discard_iteratorINSA_11use_defaultEEESF_EEENSH_IJSG_SG_EEES6_PlJ7is_evenIxEEEE10hipError_tPvRmT3_T4_T5_T6_T7_T9_mT8_P12ihipStream_tbDpT10_ENKUlT_T0_E_clISt17integral_constantIbLb0EES18_IbLb1EEEEDaS14_S15_EUlS14_E_NS1_11comp_targetILNS1_3genE8ELNS1_11target_archE1030ELNS1_3gpuE2ELNS1_3repE0EEENS1_30default_config_static_selectorELNS0_4arch9wavefront6targetE1EEEvT1_, .Lfunc_end2682-_ZN7rocprim17ROCPRIM_400000_NS6detail17trampoline_kernelINS0_14default_configENS1_25partition_config_selectorILNS1_17partition_subalgoE0ExNS0_10empty_typeEbEEZZNS1_14partition_implILS5_0ELb0ES3_jN6thrust23THRUST_200600_302600_NS6detail15normal_iteratorINSA_10device_ptrIxEEEEPS6_SG_NS0_5tupleIJNSA_16discard_iteratorINSA_11use_defaultEEESF_EEENSH_IJSG_SG_EEES6_PlJ7is_evenIxEEEE10hipError_tPvRmT3_T4_T5_T6_T7_T9_mT8_P12ihipStream_tbDpT10_ENKUlT_T0_E_clISt17integral_constantIbLb0EES18_IbLb1EEEEDaS14_S15_EUlS14_E_NS1_11comp_targetILNS1_3genE8ELNS1_11target_archE1030ELNS1_3gpuE2ELNS1_3repE0EEENS1_30default_config_static_selectorELNS0_4arch9wavefront6targetE1EEEvT1_
                                        ; -- End function
	.section	.AMDGPU.csdata,"",@progbits
; Kernel info:
; codeLenInByte = 0
; NumSgprs: 6
; NumVgprs: 0
; NumAgprs: 0
; TotalNumVgprs: 0
; ScratchSize: 0
; MemoryBound: 0
; FloatMode: 240
; IeeeMode: 1
; LDSByteSize: 0 bytes/workgroup (compile time only)
; SGPRBlocks: 0
; VGPRBlocks: 0
; NumSGPRsForWavesPerEU: 6
; NumVGPRsForWavesPerEU: 1
; AccumOffset: 4
; Occupancy: 8
; WaveLimiterHint : 0
; COMPUTE_PGM_RSRC2:SCRATCH_EN: 0
; COMPUTE_PGM_RSRC2:USER_SGPR: 2
; COMPUTE_PGM_RSRC2:TRAP_HANDLER: 0
; COMPUTE_PGM_RSRC2:TGID_X_EN: 1
; COMPUTE_PGM_RSRC2:TGID_Y_EN: 0
; COMPUTE_PGM_RSRC2:TGID_Z_EN: 0
; COMPUTE_PGM_RSRC2:TIDIG_COMP_CNT: 0
; COMPUTE_PGM_RSRC3_GFX90A:ACCUM_OFFSET: 0
; COMPUTE_PGM_RSRC3_GFX90A:TG_SPLIT: 0
	.section	.text._ZN7rocprim17ROCPRIM_400000_NS6detail17trampoline_kernelINS0_14default_configENS1_25partition_config_selectorILNS1_17partition_subalgoE0EiNS0_10empty_typeEbEEZZNS1_14partition_implILS5_0ELb0ES3_jN6thrust23THRUST_200600_302600_NS6detail15normal_iteratorINSA_10device_ptrIiEEEEPS6_SG_NS0_5tupleIJNSA_16discard_iteratorINSA_11use_defaultEEESK_EEENSH_IJSG_SG_EEES6_PlJ7is_evenIiEEEE10hipError_tPvRmT3_T4_T5_T6_T7_T9_mT8_P12ihipStream_tbDpT10_ENKUlT_T0_E_clISt17integral_constantIbLb0EES19_EEDaS14_S15_EUlS14_E_NS1_11comp_targetILNS1_3genE0ELNS1_11target_archE4294967295ELNS1_3gpuE0ELNS1_3repE0EEENS1_30default_config_static_selectorELNS0_4arch9wavefront6targetE1EEEvT1_,"axG",@progbits,_ZN7rocprim17ROCPRIM_400000_NS6detail17trampoline_kernelINS0_14default_configENS1_25partition_config_selectorILNS1_17partition_subalgoE0EiNS0_10empty_typeEbEEZZNS1_14partition_implILS5_0ELb0ES3_jN6thrust23THRUST_200600_302600_NS6detail15normal_iteratorINSA_10device_ptrIiEEEEPS6_SG_NS0_5tupleIJNSA_16discard_iteratorINSA_11use_defaultEEESK_EEENSH_IJSG_SG_EEES6_PlJ7is_evenIiEEEE10hipError_tPvRmT3_T4_T5_T6_T7_T9_mT8_P12ihipStream_tbDpT10_ENKUlT_T0_E_clISt17integral_constantIbLb0EES19_EEDaS14_S15_EUlS14_E_NS1_11comp_targetILNS1_3genE0ELNS1_11target_archE4294967295ELNS1_3gpuE0ELNS1_3repE0EEENS1_30default_config_static_selectorELNS0_4arch9wavefront6targetE1EEEvT1_,comdat
	.protected	_ZN7rocprim17ROCPRIM_400000_NS6detail17trampoline_kernelINS0_14default_configENS1_25partition_config_selectorILNS1_17partition_subalgoE0EiNS0_10empty_typeEbEEZZNS1_14partition_implILS5_0ELb0ES3_jN6thrust23THRUST_200600_302600_NS6detail15normal_iteratorINSA_10device_ptrIiEEEEPS6_SG_NS0_5tupleIJNSA_16discard_iteratorINSA_11use_defaultEEESK_EEENSH_IJSG_SG_EEES6_PlJ7is_evenIiEEEE10hipError_tPvRmT3_T4_T5_T6_T7_T9_mT8_P12ihipStream_tbDpT10_ENKUlT_T0_E_clISt17integral_constantIbLb0EES19_EEDaS14_S15_EUlS14_E_NS1_11comp_targetILNS1_3genE0ELNS1_11target_archE4294967295ELNS1_3gpuE0ELNS1_3repE0EEENS1_30default_config_static_selectorELNS0_4arch9wavefront6targetE1EEEvT1_ ; -- Begin function _ZN7rocprim17ROCPRIM_400000_NS6detail17trampoline_kernelINS0_14default_configENS1_25partition_config_selectorILNS1_17partition_subalgoE0EiNS0_10empty_typeEbEEZZNS1_14partition_implILS5_0ELb0ES3_jN6thrust23THRUST_200600_302600_NS6detail15normal_iteratorINSA_10device_ptrIiEEEEPS6_SG_NS0_5tupleIJNSA_16discard_iteratorINSA_11use_defaultEEESK_EEENSH_IJSG_SG_EEES6_PlJ7is_evenIiEEEE10hipError_tPvRmT3_T4_T5_T6_T7_T9_mT8_P12ihipStream_tbDpT10_ENKUlT_T0_E_clISt17integral_constantIbLb0EES19_EEDaS14_S15_EUlS14_E_NS1_11comp_targetILNS1_3genE0ELNS1_11target_archE4294967295ELNS1_3gpuE0ELNS1_3repE0EEENS1_30default_config_static_selectorELNS0_4arch9wavefront6targetE1EEEvT1_
	.globl	_ZN7rocprim17ROCPRIM_400000_NS6detail17trampoline_kernelINS0_14default_configENS1_25partition_config_selectorILNS1_17partition_subalgoE0EiNS0_10empty_typeEbEEZZNS1_14partition_implILS5_0ELb0ES3_jN6thrust23THRUST_200600_302600_NS6detail15normal_iteratorINSA_10device_ptrIiEEEEPS6_SG_NS0_5tupleIJNSA_16discard_iteratorINSA_11use_defaultEEESK_EEENSH_IJSG_SG_EEES6_PlJ7is_evenIiEEEE10hipError_tPvRmT3_T4_T5_T6_T7_T9_mT8_P12ihipStream_tbDpT10_ENKUlT_T0_E_clISt17integral_constantIbLb0EES19_EEDaS14_S15_EUlS14_E_NS1_11comp_targetILNS1_3genE0ELNS1_11target_archE4294967295ELNS1_3gpuE0ELNS1_3repE0EEENS1_30default_config_static_selectorELNS0_4arch9wavefront6targetE1EEEvT1_
	.p2align	8
	.type	_ZN7rocprim17ROCPRIM_400000_NS6detail17trampoline_kernelINS0_14default_configENS1_25partition_config_selectorILNS1_17partition_subalgoE0EiNS0_10empty_typeEbEEZZNS1_14partition_implILS5_0ELb0ES3_jN6thrust23THRUST_200600_302600_NS6detail15normal_iteratorINSA_10device_ptrIiEEEEPS6_SG_NS0_5tupleIJNSA_16discard_iteratorINSA_11use_defaultEEESK_EEENSH_IJSG_SG_EEES6_PlJ7is_evenIiEEEE10hipError_tPvRmT3_T4_T5_T6_T7_T9_mT8_P12ihipStream_tbDpT10_ENKUlT_T0_E_clISt17integral_constantIbLb0EES19_EEDaS14_S15_EUlS14_E_NS1_11comp_targetILNS1_3genE0ELNS1_11target_archE4294967295ELNS1_3gpuE0ELNS1_3repE0EEENS1_30default_config_static_selectorELNS0_4arch9wavefront6targetE1EEEvT1_,@function
_ZN7rocprim17ROCPRIM_400000_NS6detail17trampoline_kernelINS0_14default_configENS1_25partition_config_selectorILNS1_17partition_subalgoE0EiNS0_10empty_typeEbEEZZNS1_14partition_implILS5_0ELb0ES3_jN6thrust23THRUST_200600_302600_NS6detail15normal_iteratorINSA_10device_ptrIiEEEEPS6_SG_NS0_5tupleIJNSA_16discard_iteratorINSA_11use_defaultEEESK_EEENSH_IJSG_SG_EEES6_PlJ7is_evenIiEEEE10hipError_tPvRmT3_T4_T5_T6_T7_T9_mT8_P12ihipStream_tbDpT10_ENKUlT_T0_E_clISt17integral_constantIbLb0EES19_EEDaS14_S15_EUlS14_E_NS1_11comp_targetILNS1_3genE0ELNS1_11target_archE4294967295ELNS1_3gpuE0ELNS1_3repE0EEENS1_30default_config_static_selectorELNS0_4arch9wavefront6targetE1EEEvT1_: ; @_ZN7rocprim17ROCPRIM_400000_NS6detail17trampoline_kernelINS0_14default_configENS1_25partition_config_selectorILNS1_17partition_subalgoE0EiNS0_10empty_typeEbEEZZNS1_14partition_implILS5_0ELb0ES3_jN6thrust23THRUST_200600_302600_NS6detail15normal_iteratorINSA_10device_ptrIiEEEEPS6_SG_NS0_5tupleIJNSA_16discard_iteratorINSA_11use_defaultEEESK_EEENSH_IJSG_SG_EEES6_PlJ7is_evenIiEEEE10hipError_tPvRmT3_T4_T5_T6_T7_T9_mT8_P12ihipStream_tbDpT10_ENKUlT_T0_E_clISt17integral_constantIbLb0EES19_EEDaS14_S15_EUlS14_E_NS1_11comp_targetILNS1_3genE0ELNS1_11target_archE4294967295ELNS1_3gpuE0ELNS1_3repE0EEENS1_30default_config_static_selectorELNS0_4arch9wavefront6targetE1EEEvT1_
; %bb.0:
	.section	.rodata,"a",@progbits
	.p2align	6, 0x0
	.amdhsa_kernel _ZN7rocprim17ROCPRIM_400000_NS6detail17trampoline_kernelINS0_14default_configENS1_25partition_config_selectorILNS1_17partition_subalgoE0EiNS0_10empty_typeEbEEZZNS1_14partition_implILS5_0ELb0ES3_jN6thrust23THRUST_200600_302600_NS6detail15normal_iteratorINSA_10device_ptrIiEEEEPS6_SG_NS0_5tupleIJNSA_16discard_iteratorINSA_11use_defaultEEESK_EEENSH_IJSG_SG_EEES6_PlJ7is_evenIiEEEE10hipError_tPvRmT3_T4_T5_T6_T7_T9_mT8_P12ihipStream_tbDpT10_ENKUlT_T0_E_clISt17integral_constantIbLb0EES19_EEDaS14_S15_EUlS14_E_NS1_11comp_targetILNS1_3genE0ELNS1_11target_archE4294967295ELNS1_3gpuE0ELNS1_3repE0EEENS1_30default_config_static_selectorELNS0_4arch9wavefront6targetE1EEEvT1_
		.amdhsa_group_segment_fixed_size 0
		.amdhsa_private_segment_fixed_size 0
		.amdhsa_kernarg_size 136
		.amdhsa_user_sgpr_count 2
		.amdhsa_user_sgpr_dispatch_ptr 0
		.amdhsa_user_sgpr_queue_ptr 0
		.amdhsa_user_sgpr_kernarg_segment_ptr 1
		.amdhsa_user_sgpr_dispatch_id 0
		.amdhsa_user_sgpr_kernarg_preload_length 0
		.amdhsa_user_sgpr_kernarg_preload_offset 0
		.amdhsa_user_sgpr_private_segment_size 0
		.amdhsa_uses_dynamic_stack 0
		.amdhsa_enable_private_segment 0
		.amdhsa_system_sgpr_workgroup_id_x 1
		.amdhsa_system_sgpr_workgroup_id_y 0
		.amdhsa_system_sgpr_workgroup_id_z 0
		.amdhsa_system_sgpr_workgroup_info 0
		.amdhsa_system_vgpr_workitem_id 0
		.amdhsa_next_free_vgpr 1
		.amdhsa_next_free_sgpr 0
		.amdhsa_accum_offset 4
		.amdhsa_reserve_vcc 0
		.amdhsa_float_round_mode_32 0
		.amdhsa_float_round_mode_16_64 0
		.amdhsa_float_denorm_mode_32 3
		.amdhsa_float_denorm_mode_16_64 3
		.amdhsa_dx10_clamp 1
		.amdhsa_ieee_mode 1
		.amdhsa_fp16_overflow 0
		.amdhsa_tg_split 0
		.amdhsa_exception_fp_ieee_invalid_op 0
		.amdhsa_exception_fp_denorm_src 0
		.amdhsa_exception_fp_ieee_div_zero 0
		.amdhsa_exception_fp_ieee_overflow 0
		.amdhsa_exception_fp_ieee_underflow 0
		.amdhsa_exception_fp_ieee_inexact 0
		.amdhsa_exception_int_div_zero 0
	.end_amdhsa_kernel
	.section	.text._ZN7rocprim17ROCPRIM_400000_NS6detail17trampoline_kernelINS0_14default_configENS1_25partition_config_selectorILNS1_17partition_subalgoE0EiNS0_10empty_typeEbEEZZNS1_14partition_implILS5_0ELb0ES3_jN6thrust23THRUST_200600_302600_NS6detail15normal_iteratorINSA_10device_ptrIiEEEEPS6_SG_NS0_5tupleIJNSA_16discard_iteratorINSA_11use_defaultEEESK_EEENSH_IJSG_SG_EEES6_PlJ7is_evenIiEEEE10hipError_tPvRmT3_T4_T5_T6_T7_T9_mT8_P12ihipStream_tbDpT10_ENKUlT_T0_E_clISt17integral_constantIbLb0EES19_EEDaS14_S15_EUlS14_E_NS1_11comp_targetILNS1_3genE0ELNS1_11target_archE4294967295ELNS1_3gpuE0ELNS1_3repE0EEENS1_30default_config_static_selectorELNS0_4arch9wavefront6targetE1EEEvT1_,"axG",@progbits,_ZN7rocprim17ROCPRIM_400000_NS6detail17trampoline_kernelINS0_14default_configENS1_25partition_config_selectorILNS1_17partition_subalgoE0EiNS0_10empty_typeEbEEZZNS1_14partition_implILS5_0ELb0ES3_jN6thrust23THRUST_200600_302600_NS6detail15normal_iteratorINSA_10device_ptrIiEEEEPS6_SG_NS0_5tupleIJNSA_16discard_iteratorINSA_11use_defaultEEESK_EEENSH_IJSG_SG_EEES6_PlJ7is_evenIiEEEE10hipError_tPvRmT3_T4_T5_T6_T7_T9_mT8_P12ihipStream_tbDpT10_ENKUlT_T0_E_clISt17integral_constantIbLb0EES19_EEDaS14_S15_EUlS14_E_NS1_11comp_targetILNS1_3genE0ELNS1_11target_archE4294967295ELNS1_3gpuE0ELNS1_3repE0EEENS1_30default_config_static_selectorELNS0_4arch9wavefront6targetE1EEEvT1_,comdat
.Lfunc_end2683:
	.size	_ZN7rocprim17ROCPRIM_400000_NS6detail17trampoline_kernelINS0_14default_configENS1_25partition_config_selectorILNS1_17partition_subalgoE0EiNS0_10empty_typeEbEEZZNS1_14partition_implILS5_0ELb0ES3_jN6thrust23THRUST_200600_302600_NS6detail15normal_iteratorINSA_10device_ptrIiEEEEPS6_SG_NS0_5tupleIJNSA_16discard_iteratorINSA_11use_defaultEEESK_EEENSH_IJSG_SG_EEES6_PlJ7is_evenIiEEEE10hipError_tPvRmT3_T4_T5_T6_T7_T9_mT8_P12ihipStream_tbDpT10_ENKUlT_T0_E_clISt17integral_constantIbLb0EES19_EEDaS14_S15_EUlS14_E_NS1_11comp_targetILNS1_3genE0ELNS1_11target_archE4294967295ELNS1_3gpuE0ELNS1_3repE0EEENS1_30default_config_static_selectorELNS0_4arch9wavefront6targetE1EEEvT1_, .Lfunc_end2683-_ZN7rocprim17ROCPRIM_400000_NS6detail17trampoline_kernelINS0_14default_configENS1_25partition_config_selectorILNS1_17partition_subalgoE0EiNS0_10empty_typeEbEEZZNS1_14partition_implILS5_0ELb0ES3_jN6thrust23THRUST_200600_302600_NS6detail15normal_iteratorINSA_10device_ptrIiEEEEPS6_SG_NS0_5tupleIJNSA_16discard_iteratorINSA_11use_defaultEEESK_EEENSH_IJSG_SG_EEES6_PlJ7is_evenIiEEEE10hipError_tPvRmT3_T4_T5_T6_T7_T9_mT8_P12ihipStream_tbDpT10_ENKUlT_T0_E_clISt17integral_constantIbLb0EES19_EEDaS14_S15_EUlS14_E_NS1_11comp_targetILNS1_3genE0ELNS1_11target_archE4294967295ELNS1_3gpuE0ELNS1_3repE0EEENS1_30default_config_static_selectorELNS0_4arch9wavefront6targetE1EEEvT1_
                                        ; -- End function
	.section	.AMDGPU.csdata,"",@progbits
; Kernel info:
; codeLenInByte = 0
; NumSgprs: 6
; NumVgprs: 0
; NumAgprs: 0
; TotalNumVgprs: 0
; ScratchSize: 0
; MemoryBound: 0
; FloatMode: 240
; IeeeMode: 1
; LDSByteSize: 0 bytes/workgroup (compile time only)
; SGPRBlocks: 0
; VGPRBlocks: 0
; NumSGPRsForWavesPerEU: 6
; NumVGPRsForWavesPerEU: 1
; AccumOffset: 4
; Occupancy: 8
; WaveLimiterHint : 0
; COMPUTE_PGM_RSRC2:SCRATCH_EN: 0
; COMPUTE_PGM_RSRC2:USER_SGPR: 2
; COMPUTE_PGM_RSRC2:TRAP_HANDLER: 0
; COMPUTE_PGM_RSRC2:TGID_X_EN: 1
; COMPUTE_PGM_RSRC2:TGID_Y_EN: 0
; COMPUTE_PGM_RSRC2:TGID_Z_EN: 0
; COMPUTE_PGM_RSRC2:TIDIG_COMP_CNT: 0
; COMPUTE_PGM_RSRC3_GFX90A:ACCUM_OFFSET: 0
; COMPUTE_PGM_RSRC3_GFX90A:TG_SPLIT: 0
	.section	.text._ZN7rocprim17ROCPRIM_400000_NS6detail17trampoline_kernelINS0_14default_configENS1_25partition_config_selectorILNS1_17partition_subalgoE0EiNS0_10empty_typeEbEEZZNS1_14partition_implILS5_0ELb0ES3_jN6thrust23THRUST_200600_302600_NS6detail15normal_iteratorINSA_10device_ptrIiEEEEPS6_SG_NS0_5tupleIJNSA_16discard_iteratorINSA_11use_defaultEEESK_EEENSH_IJSG_SG_EEES6_PlJ7is_evenIiEEEE10hipError_tPvRmT3_T4_T5_T6_T7_T9_mT8_P12ihipStream_tbDpT10_ENKUlT_T0_E_clISt17integral_constantIbLb0EES19_EEDaS14_S15_EUlS14_E_NS1_11comp_targetILNS1_3genE5ELNS1_11target_archE942ELNS1_3gpuE9ELNS1_3repE0EEENS1_30default_config_static_selectorELNS0_4arch9wavefront6targetE1EEEvT1_,"axG",@progbits,_ZN7rocprim17ROCPRIM_400000_NS6detail17trampoline_kernelINS0_14default_configENS1_25partition_config_selectorILNS1_17partition_subalgoE0EiNS0_10empty_typeEbEEZZNS1_14partition_implILS5_0ELb0ES3_jN6thrust23THRUST_200600_302600_NS6detail15normal_iteratorINSA_10device_ptrIiEEEEPS6_SG_NS0_5tupleIJNSA_16discard_iteratorINSA_11use_defaultEEESK_EEENSH_IJSG_SG_EEES6_PlJ7is_evenIiEEEE10hipError_tPvRmT3_T4_T5_T6_T7_T9_mT8_P12ihipStream_tbDpT10_ENKUlT_T0_E_clISt17integral_constantIbLb0EES19_EEDaS14_S15_EUlS14_E_NS1_11comp_targetILNS1_3genE5ELNS1_11target_archE942ELNS1_3gpuE9ELNS1_3repE0EEENS1_30default_config_static_selectorELNS0_4arch9wavefront6targetE1EEEvT1_,comdat
	.protected	_ZN7rocprim17ROCPRIM_400000_NS6detail17trampoline_kernelINS0_14default_configENS1_25partition_config_selectorILNS1_17partition_subalgoE0EiNS0_10empty_typeEbEEZZNS1_14partition_implILS5_0ELb0ES3_jN6thrust23THRUST_200600_302600_NS6detail15normal_iteratorINSA_10device_ptrIiEEEEPS6_SG_NS0_5tupleIJNSA_16discard_iteratorINSA_11use_defaultEEESK_EEENSH_IJSG_SG_EEES6_PlJ7is_evenIiEEEE10hipError_tPvRmT3_T4_T5_T6_T7_T9_mT8_P12ihipStream_tbDpT10_ENKUlT_T0_E_clISt17integral_constantIbLb0EES19_EEDaS14_S15_EUlS14_E_NS1_11comp_targetILNS1_3genE5ELNS1_11target_archE942ELNS1_3gpuE9ELNS1_3repE0EEENS1_30default_config_static_selectorELNS0_4arch9wavefront6targetE1EEEvT1_ ; -- Begin function _ZN7rocprim17ROCPRIM_400000_NS6detail17trampoline_kernelINS0_14default_configENS1_25partition_config_selectorILNS1_17partition_subalgoE0EiNS0_10empty_typeEbEEZZNS1_14partition_implILS5_0ELb0ES3_jN6thrust23THRUST_200600_302600_NS6detail15normal_iteratorINSA_10device_ptrIiEEEEPS6_SG_NS0_5tupleIJNSA_16discard_iteratorINSA_11use_defaultEEESK_EEENSH_IJSG_SG_EEES6_PlJ7is_evenIiEEEE10hipError_tPvRmT3_T4_T5_T6_T7_T9_mT8_P12ihipStream_tbDpT10_ENKUlT_T0_E_clISt17integral_constantIbLb0EES19_EEDaS14_S15_EUlS14_E_NS1_11comp_targetILNS1_3genE5ELNS1_11target_archE942ELNS1_3gpuE9ELNS1_3repE0EEENS1_30default_config_static_selectorELNS0_4arch9wavefront6targetE1EEEvT1_
	.globl	_ZN7rocprim17ROCPRIM_400000_NS6detail17trampoline_kernelINS0_14default_configENS1_25partition_config_selectorILNS1_17partition_subalgoE0EiNS0_10empty_typeEbEEZZNS1_14partition_implILS5_0ELb0ES3_jN6thrust23THRUST_200600_302600_NS6detail15normal_iteratorINSA_10device_ptrIiEEEEPS6_SG_NS0_5tupleIJNSA_16discard_iteratorINSA_11use_defaultEEESK_EEENSH_IJSG_SG_EEES6_PlJ7is_evenIiEEEE10hipError_tPvRmT3_T4_T5_T6_T7_T9_mT8_P12ihipStream_tbDpT10_ENKUlT_T0_E_clISt17integral_constantIbLb0EES19_EEDaS14_S15_EUlS14_E_NS1_11comp_targetILNS1_3genE5ELNS1_11target_archE942ELNS1_3gpuE9ELNS1_3repE0EEENS1_30default_config_static_selectorELNS0_4arch9wavefront6targetE1EEEvT1_
	.p2align	8
	.type	_ZN7rocprim17ROCPRIM_400000_NS6detail17trampoline_kernelINS0_14default_configENS1_25partition_config_selectorILNS1_17partition_subalgoE0EiNS0_10empty_typeEbEEZZNS1_14partition_implILS5_0ELb0ES3_jN6thrust23THRUST_200600_302600_NS6detail15normal_iteratorINSA_10device_ptrIiEEEEPS6_SG_NS0_5tupleIJNSA_16discard_iteratorINSA_11use_defaultEEESK_EEENSH_IJSG_SG_EEES6_PlJ7is_evenIiEEEE10hipError_tPvRmT3_T4_T5_T6_T7_T9_mT8_P12ihipStream_tbDpT10_ENKUlT_T0_E_clISt17integral_constantIbLb0EES19_EEDaS14_S15_EUlS14_E_NS1_11comp_targetILNS1_3genE5ELNS1_11target_archE942ELNS1_3gpuE9ELNS1_3repE0EEENS1_30default_config_static_selectorELNS0_4arch9wavefront6targetE1EEEvT1_,@function
_ZN7rocprim17ROCPRIM_400000_NS6detail17trampoline_kernelINS0_14default_configENS1_25partition_config_selectorILNS1_17partition_subalgoE0EiNS0_10empty_typeEbEEZZNS1_14partition_implILS5_0ELb0ES3_jN6thrust23THRUST_200600_302600_NS6detail15normal_iteratorINSA_10device_ptrIiEEEEPS6_SG_NS0_5tupleIJNSA_16discard_iteratorINSA_11use_defaultEEESK_EEENSH_IJSG_SG_EEES6_PlJ7is_evenIiEEEE10hipError_tPvRmT3_T4_T5_T6_T7_T9_mT8_P12ihipStream_tbDpT10_ENKUlT_T0_E_clISt17integral_constantIbLb0EES19_EEDaS14_S15_EUlS14_E_NS1_11comp_targetILNS1_3genE5ELNS1_11target_archE942ELNS1_3gpuE9ELNS1_3repE0EEENS1_30default_config_static_selectorELNS0_4arch9wavefront6targetE1EEEvT1_: ; @_ZN7rocprim17ROCPRIM_400000_NS6detail17trampoline_kernelINS0_14default_configENS1_25partition_config_selectorILNS1_17partition_subalgoE0EiNS0_10empty_typeEbEEZZNS1_14partition_implILS5_0ELb0ES3_jN6thrust23THRUST_200600_302600_NS6detail15normal_iteratorINSA_10device_ptrIiEEEEPS6_SG_NS0_5tupleIJNSA_16discard_iteratorINSA_11use_defaultEEESK_EEENSH_IJSG_SG_EEES6_PlJ7is_evenIiEEEE10hipError_tPvRmT3_T4_T5_T6_T7_T9_mT8_P12ihipStream_tbDpT10_ENKUlT_T0_E_clISt17integral_constantIbLb0EES19_EEDaS14_S15_EUlS14_E_NS1_11comp_targetILNS1_3genE5ELNS1_11target_archE942ELNS1_3gpuE9ELNS1_3repE0EEENS1_30default_config_static_selectorELNS0_4arch9wavefront6targetE1EEEvT1_
; %bb.0:
	s_load_dwordx2 s[8:9], s[0:1], 0x68
	s_load_dwordx4 s[4:7], s[0:1], 0x8
	s_load_dwordx4 s[20:23], s[0:1], 0x58
	s_load_dword s3, s[0:1], 0x80
	s_waitcnt lgkmcnt(0)
	v_mov_b32_e32 v3, s9
	s_lshl_b64 s[10:11], s[6:7], 2
	s_add_u32 s9, s4, s10
	s_mul_i32 s4, s3, 0x1e00
	s_addc_u32 s12, s5, s11
	s_add_i32 s13, s3, -1
	s_add_i32 s3, s4, s6
	s_sub_i32 s3, s8, s3
	s_add_u32 s4, s6, s4
	s_addc_u32 s5, s7, 0
	s_cmp_eq_u32 s2, s13
	v_mov_b32_e32 v2, s8
	s_load_dwordx2 s[18:19], s[22:23], 0x0
	s_cselect_b64 s[22:23], -1, 0
	s_cmp_lg_u32 s2, s13
	s_mul_i32 s10, s2, 0x1e00
	s_mov_b32 s11, 0
	v_cmp_lt_u64_e32 vcc, s[4:5], v[2:3]
	s_cselect_b64 s[4:5], -1, 0
	s_or_b64 s[4:5], s[4:5], vcc
	s_lshl_b64 s[6:7], s[10:11], 2
	s_add_u32 s6, s9, s6
	s_addc_u32 s7, s12, s7
	s_mov_b64 s[8:9], -1
	s_and_b64 vcc, exec, s[4:5]
	s_cbranch_vccz .LBB2684_2
; %bb.1:
	v_lshlrev_b32_e32 v2, 2, v0
	v_mov_b32_e32 v3, 0
	v_lshl_add_u64 v[4:5], s[6:7], 0, v[2:3]
	v_add_co_u32_e32 v6, vcc, 0x1000, v4
	s_mov_b64 s[8:9], 0
	s_nop 0
	v_addc_co_u32_e32 v7, vcc, 0, v5, vcc
	v_add_co_u32_e32 v8, vcc, 0x2000, v4
	s_nop 1
	v_addc_co_u32_e32 v9, vcc, 0, v5, vcc
	v_add_co_u32_e32 v10, vcc, 0x3000, v4
	s_nop 1
	v_addc_co_u32_e32 v11, vcc, 0, v5, vcc
	flat_load_dword v1, v[4:5]
	flat_load_dword v3, v[4:5] offset:2048
	flat_load_dword v12, v[6:7]
	flat_load_dword v13, v[6:7] offset:2048
	;; [unrolled: 2-line block ×4, first 2 shown]
	v_add_co_u32_e32 v6, vcc, 0x4000, v4
	s_nop 1
	v_addc_co_u32_e32 v7, vcc, 0, v5, vcc
	v_add_co_u32_e32 v8, vcc, 0x5000, v4
	s_nop 1
	v_addc_co_u32_e32 v9, vcc, 0, v5, vcc
	;; [unrolled: 3-line block ×4, first 2 shown]
	flat_load_dword v18, v[6:7]
	flat_load_dword v19, v[6:7] offset:2048
	flat_load_dword v20, v[8:9]
	flat_load_dword v21, v[8:9] offset:2048
	;; [unrolled: 2-line block ×3, first 2 shown]
	flat_load_dword v24, v[4:5]
	s_waitcnt vmcnt(0) lgkmcnt(0)
	ds_write2st64_b32 v2, v1, v3 offset1:8
	ds_write2st64_b32 v2, v12, v13 offset0:16 offset1:24
	ds_write2st64_b32 v2, v14, v15 offset0:32 offset1:40
	;; [unrolled: 1-line block ×6, first 2 shown]
	ds_write_b32 v2, v24 offset:28672
	s_waitcnt lgkmcnt(0)
	s_barrier
.LBB2684_2:
	s_andn2_b64 vcc, exec, s[8:9]
	s_addk_i32 s3, 0x1e00
	s_cbranch_vccnz .LBB2684_34
; %bb.3:
	v_cmp_gt_u32_e32 vcc, s3, v0
                                        ; implicit-def: $vgpr2_vgpr3_vgpr4_vgpr5_vgpr6_vgpr7_vgpr8_vgpr9_vgpr10_vgpr11_vgpr12_vgpr13_vgpr14_vgpr15_vgpr16_vgpr17
	s_and_saveexec_b64 s[8:9], vcc
	s_cbranch_execz .LBB2684_5
; %bb.4:
	v_lshlrev_b32_e32 v2, 2, v0
	v_mov_b32_e32 v3, 0
	v_lshl_add_u64 v[2:3], s[6:7], 0, v[2:3]
	flat_load_dword v2, v[2:3]
.LBB2684_5:
	s_or_b64 exec, exec, s[8:9]
	v_or_b32_e32 v1, 0x200, v0
	v_cmp_gt_u32_e32 vcc, s3, v1
	s_and_saveexec_b64 s[8:9], vcc
	s_cbranch_execz .LBB2684_7
; %bb.6:
	v_lshlrev_b32_e32 v18, 2, v0
	v_mov_b32_e32 v19, 0
	v_lshl_add_u64 v[18:19], s[6:7], 0, v[18:19]
	flat_load_dword v3, v[18:19] offset:2048
.LBB2684_7:
	s_or_b64 exec, exec, s[8:9]
	v_or_b32_e32 v1, 0x400, v0
	v_cmp_gt_u32_e32 vcc, s3, v1
	s_and_saveexec_b64 s[8:9], vcc
	s_cbranch_execz .LBB2684_9
; %bb.8:
	v_lshlrev_b32_e32 v18, 2, v1
	v_mov_b32_e32 v19, 0
	v_lshl_add_u64 v[18:19], s[6:7], 0, v[18:19]
	flat_load_dword v4, v[18:19]
.LBB2684_9:
	s_or_b64 exec, exec, s[8:9]
	v_or_b32_e32 v1, 0x600, v0
	v_cmp_gt_u32_e32 vcc, s3, v1
	s_and_saveexec_b64 s[8:9], vcc
	s_cbranch_execz .LBB2684_11
; %bb.10:
	v_lshlrev_b32_e32 v18, 2, v1
	v_mov_b32_e32 v19, 0
	v_lshl_add_u64 v[18:19], s[6:7], 0, v[18:19]
	flat_load_dword v5, v[18:19]
.LBB2684_11:
	;; [unrolled: 11-line block ×13, first 2 shown]
	s_or_b64 exec, exec, s[8:9]
	v_lshlrev_b32_e32 v1, 2, v0
	s_waitcnt vmcnt(0) lgkmcnt(0)
	ds_write2st64_b32 v1, v2, v3 offset1:8
	ds_write2st64_b32 v1, v4, v5 offset0:16 offset1:24
	ds_write2st64_b32 v1, v6, v7 offset0:32 offset1:40
	;; [unrolled: 1-line block ×6, first 2 shown]
	ds_write_b32 v1, v16 offset:28672
	s_waitcnt lgkmcnt(0)
	s_barrier
.LBB2684_34:
	v_mul_u32_u24_e32 v36, 15, v0
	v_lshlrev_b32_e32 v1, 2, v36
	s_waitcnt lgkmcnt(0)
	ds_read2_b32 v[30:31], v1 offset1:1
	ds_read2_b32 v[28:29], v1 offset0:2 offset1:3
	ds_read2_b32 v[26:27], v1 offset0:4 offset1:5
	;; [unrolled: 1-line block ×6, first 2 shown]
	ds_read_b32 v1, v1 offset:56
	s_andn2_b64 vcc, exec, s[4:5]
	s_waitcnt lgkmcnt(7)
	v_xor_b32_e32 v16, -1, v30
	v_xor_b32_e32 v15, -1, v31
	s_waitcnt lgkmcnt(6)
	v_xor_b32_e32 v14, -1, v28
	v_xor_b32_e32 v13, -1, v29
	;; [unrolled: 3-line block ×7, first 2 shown]
	s_waitcnt lgkmcnt(0)
	v_xor_b32_e32 v2, -1, v1
	s_barrier
	s_cbranch_vccnz .LBB2684_36
; %bb.35:
	v_and_b32_e32 v49, 1, v16
	v_and_b32_e32 v48, 1, v15
	;; [unrolled: 1-line block ×15, first 2 shown]
	s_load_dwordx2 s[24:25], s[0:1], 0x78
	s_cbranch_execz .LBB2684_37
	s_branch .LBB2684_38
.LBB2684_36:
                                        ; implicit-def: $vgpr34
                                        ; implicit-def: $vgpr35
                                        ; implicit-def: $vgpr37
                                        ; implicit-def: $vgpr38
                                        ; implicit-def: $vgpr39
                                        ; implicit-def: $vgpr40
                                        ; implicit-def: $vgpr41
                                        ; implicit-def: $vgpr42
                                        ; implicit-def: $vgpr43
                                        ; implicit-def: $vgpr49
                                        ; implicit-def: $vgpr48
                                        ; implicit-def: $vgpr47
                                        ; implicit-def: $vgpr46
                                        ; implicit-def: $vgpr45
                                        ; implicit-def: $vgpr44
	s_load_dwordx2 s[24:25], s[0:1], 0x78
.LBB2684_37:
	v_add_u32_e32 v43, 1, v36
	v_cmp_gt_u32_e32 vcc, s3, v36
	v_add_u32_e32 v17, 2, v36
	v_add_u32_e32 v42, 3, v36
	v_cndmask_b32_e64 v44, 0, 1, vcc
	v_cmp_gt_u32_e32 vcc, s3, v43
	v_and_b32_e32 v49, v44, v16
	v_add_u32_e32 v32, 4, v36
	v_cndmask_b32_e64 v16, 0, 1, vcc
	v_cmp_gt_u32_e32 vcc, s3, v17
	v_and_b32_e32 v48, v16, v15
	;; [unrolled: 4-line block ×12, first 2 shown]
	s_nop 0
	v_cndmask_b32_e64 v5, 0, 1, vcc
	v_cmp_gt_u32_e32 vcc, s3, v51
	v_and_b32_e32 v37, v5, v4
	s_nop 0
	v_cndmask_b32_e64 v4, 0, 1, vcc
	v_cmp_gt_u32_e32 vcc, s3, v50
	v_and_b32_e32 v35, v4, v3
	s_nop 0
	v_cndmask_b32_e64 v3, 0, 1, vcc
	v_and_b32_e32 v34, v3, v2
.LBB2684_38:
	v_and_b32_e32 v53, 0xff, v46
	v_and_b32_e32 v54, 0xff, v45
	;; [unrolled: 1-line block ×5, first 2 shown]
	v_add3_u32 v3, v54, v55, v53
	v_and_b32_e32 v50, 0xff, v49
	v_and_b32_e32 v56, 0xff, v43
	v_add3_u32 v3, v3, v52, v51
	v_and_b32_e32 v57, 0xff, v42
	v_and_b32_e32 v58, 0xff, v41
	;; [unrolled: 3-line block ×5, first 2 shown]
	v_add3_u32 v3, v3, v61, v62
	v_add3_u32 v66, v3, v63, v2
	v_mbcnt_lo_u32_b32 v2, -1, 0
	v_mbcnt_hi_u32_b32 v64, -1, v2
	v_and_b32_e32 v2, 15, v64
	v_cmp_eq_u32_e64 s[12:13], 0, v2
	v_cmp_lt_u32_e64 s[10:11], 1, v2
	v_cmp_lt_u32_e64 s[8:9], 3, v2
	;; [unrolled: 1-line block ×3, first 2 shown]
	v_and_b32_e32 v2, 16, v64
	v_cmp_eq_u32_e64 s[4:5], 0, v2
	v_or_b32_e32 v2, 63, v0
	s_cmp_lg_u32 s2, 0
	v_cmp_lt_u32_e64 s[0:1], 31, v64
	v_lshrrev_b32_e32 v65, 6, v0
	v_cmp_eq_u32_e64 s[16:17], v2, v0
	s_cbranch_scc0 .LBB2684_65
; %bb.39:
	v_mov_b32_dpp v2, v66 row_shr:1 row_mask:0xf bank_mask:0xf
	v_cndmask_b32_e64 v2, v2, 0, s[12:13]
	v_add_u32_e32 v2, v2, v66
	s_nop 1
	v_mov_b32_dpp v3, v2 row_shr:2 row_mask:0xf bank_mask:0xf
	v_cndmask_b32_e64 v3, 0, v3, s[10:11]
	v_add_u32_e32 v2, v2, v3
	s_nop 1
	;; [unrolled: 4-line block ×4, first 2 shown]
	v_mov_b32_dpp v3, v2 row_bcast:15 row_mask:0xf bank_mask:0xf
	v_cndmask_b32_e64 v3, v3, 0, s[4:5]
	v_add_u32_e32 v2, v2, v3
	s_nop 1
	v_mov_b32_dpp v3, v2 row_bcast:31 row_mask:0xf bank_mask:0xf
	v_cndmask_b32_e64 v3, 0, v3, s[0:1]
	v_add_u32_e32 v2, v2, v3
	s_and_saveexec_b64 s[14:15], s[16:17]
	s_cbranch_execz .LBB2684_41
; %bb.40:
	v_lshlrev_b32_e32 v3, 2, v65
	ds_write_b32 v3, v2
.LBB2684_41:
	s_or_b64 exec, exec, s[14:15]
	v_cmp_gt_u32_e32 vcc, 8, v0
	s_waitcnt lgkmcnt(0)
	s_barrier
	s_and_saveexec_b64 s[14:15], vcc
	s_cbranch_execz .LBB2684_43
; %bb.42:
	v_lshlrev_b32_e32 v3, 2, v0
	ds_read_b32 v4, v3
	v_and_b32_e32 v5, 7, v64
	v_cmp_ne_u32_e32 vcc, 0, v5
	s_waitcnt lgkmcnt(0)
	v_mov_b32_dpp v6, v4 row_shr:1 row_mask:0xf bank_mask:0xf
	v_cndmask_b32_e32 v6, 0, v6, vcc
	v_add_u32_e32 v4, v6, v4
	v_cmp_lt_u32_e32 vcc, 1, v5
	s_nop 0
	v_mov_b32_dpp v6, v4 row_shr:2 row_mask:0xf bank_mask:0xf
	v_cndmask_b32_e32 v6, 0, v6, vcc
	v_add_u32_e32 v4, v4, v6
	v_cmp_lt_u32_e32 vcc, 3, v5
	s_nop 0
	v_mov_b32_dpp v6, v4 row_shr:4 row_mask:0xf bank_mask:0xf
	v_cndmask_b32_e32 v5, 0, v6, vcc
	v_add_u32_e32 v4, v4, v5
	ds_write_b32 v3, v4
.LBB2684_43:
	s_or_b64 exec, exec, s[14:15]
	v_cmp_gt_u32_e32 vcc, 64, v0
	v_cmp_lt_u32_e64 s[14:15], 63, v0
	s_waitcnt lgkmcnt(0)
	s_barrier
	s_waitcnt lgkmcnt(0)
                                        ; implicit-def: $vgpr12
	s_and_saveexec_b64 s[26:27], s[14:15]
	s_cbranch_execz .LBB2684_45
; %bb.44:
	v_lshl_add_u32 v3, v65, 2, -4
	ds_read_b32 v12, v3
	s_waitcnt lgkmcnt(0)
	v_add_u32_e32 v2, v12, v2
.LBB2684_45:
	s_or_b64 exec, exec, s[26:27]
	v_add_u32_e32 v3, -1, v64
	v_and_b32_e32 v4, 64, v64
	v_cmp_lt_i32_e64 s[14:15], v3, v4
	s_nop 1
	v_cndmask_b32_e64 v3, v3, v64, s[14:15]
	v_lshlrev_b32_e32 v3, 2, v3
	ds_bpermute_b32 v13, v3, v2
	v_cmp_eq_u32_e64 s[14:15], 0, v64
	s_and_saveexec_b64 s[26:27], vcc
	s_cbranch_execz .LBB2684_64
; %bb.46:
	v_mov_b32_e32 v9, 0
	ds_read_b32 v2, v9 offset:28
	s_and_saveexec_b64 s[28:29], s[14:15]
	s_cbranch_execz .LBB2684_48
; %bb.47:
	s_add_i32 s30, s2, 64
	s_mov_b32 s31, 0
	s_lshl_b64 s[30:31], s[30:31], 3
	s_add_u32 s30, s24, s30
	v_mov_b32_e32 v3, 1
	s_addc_u32 s31, s25, s31
	s_waitcnt lgkmcnt(0)
	global_store_dwordx2 v9, v[2:3], s[30:31] sc1
.LBB2684_48:
	s_or_b64 exec, exec, s[28:29]
	v_xad_u32 v4, v64, -1, s2
	v_add_u32_e32 v8, 64, v4
	v_lshl_add_u64 v[10:11], v[8:9], 3, s[24:25]
	global_load_dwordx2 v[6:7], v[10:11], off sc1
	s_waitcnt vmcnt(0)
	v_cmp_eq_u16_sdwa s[30:31], v7, v9 src0_sel:BYTE_0 src1_sel:DWORD
	s_and_saveexec_b64 s[28:29], s[30:31]
	s_cbranch_execz .LBB2684_52
; %bb.49:
	s_mov_b64 s[30:31], 0
	v_mov_b32_e32 v3, 0
.LBB2684_50:                            ; =>This Inner Loop Header: Depth=1
	global_load_dwordx2 v[6:7], v[10:11], off sc1
	s_waitcnt vmcnt(0)
	v_cmp_ne_u16_sdwa s[34:35], v7, v3 src0_sel:BYTE_0 src1_sel:DWORD
	s_or_b64 s[30:31], s[34:35], s[30:31]
	s_andn2_b64 exec, exec, s[30:31]
	s_cbranch_execnz .LBB2684_50
; %bb.51:
	s_or_b64 exec, exec, s[30:31]
.LBB2684_52:
	s_or_b64 exec, exec, s[28:29]
	v_and_b32_e32 v15, 63, v64
	v_mov_b32_e32 v14, 2
	v_cmp_ne_u32_e32 vcc, 63, v15
	v_cmp_eq_u16_sdwa s[28:29], v7, v14 src0_sel:BYTE_0 src1_sel:DWORD
	v_lshlrev_b64 v[8:9], v64, -1
	v_addc_co_u32_e32 v10, vcc, 0, v64, vcc
	v_and_b32_e32 v3, s29, v9
	v_lshlrev_b32_e32 v16, 2, v10
	v_or_b32_e32 v3, 0x80000000, v3
	ds_bpermute_b32 v10, v16, v6
	v_and_b32_e32 v5, s28, v8
	v_ffbl_b32_e32 v3, v3
	v_add_u32_e32 v3, 32, v3
	v_ffbl_b32_e32 v5, v5
	v_min_u32_e32 v3, v5, v3
	v_cmp_lt_u32_e32 vcc, v15, v3
	v_add_u32_e32 v32, 2, v15
	v_add_u32_e32 v67, 4, v15
	s_waitcnt lgkmcnt(0)
	v_cndmask_b32_e32 v5, 0, v10, vcc
	v_cmp_gt_u32_e32 vcc, 62, v15
	v_add_u32_e32 v5, v5, v6
	v_add_u32_e32 v69, 8, v15
	v_cndmask_b32_e64 v6, 0, 1, vcc
	v_lshlrev_b32_e32 v6, 1, v6
	v_add_lshl_u32 v17, v6, v64, 2
	ds_bpermute_b32 v6, v17, v5
	v_cmp_le_u32_e32 vcc, v32, v3
	v_add_u32_e32 v71, 16, v15
	v_add_u32_e32 v73, 32, v15
	s_waitcnt lgkmcnt(0)
	v_cndmask_b32_e32 v6, 0, v6, vcc
	v_cmp_gt_u32_e32 vcc, 60, v15
	v_add_u32_e32 v5, v5, v6
	s_nop 0
	v_cndmask_b32_e64 v6, 0, 1, vcc
	v_lshlrev_b32_e32 v6, 2, v6
	v_add_lshl_u32 v33, v6, v64, 2
	ds_bpermute_b32 v6, v33, v5
	v_cmp_le_u32_e32 vcc, v67, v3
	s_waitcnt lgkmcnt(0)
	s_nop 0
	v_cndmask_b32_e32 v6, 0, v6, vcc
	v_cmp_gt_u32_e32 vcc, 56, v15
	v_add_u32_e32 v5, v5, v6
	s_nop 0
	v_cndmask_b32_e64 v6, 0, 1, vcc
	v_lshlrev_b32_e32 v6, 3, v6
	v_add_lshl_u32 v68, v6, v64, 2
	ds_bpermute_b32 v6, v68, v5
	v_cmp_le_u32_e32 vcc, v69, v3
	s_waitcnt lgkmcnt(0)
	s_nop 0
	v_cndmask_b32_e32 v6, 0, v6, vcc
	v_cmp_gt_u32_e32 vcc, 48, v15
	v_add_u32_e32 v5, v5, v6
	s_nop 0
	v_cndmask_b32_e64 v6, 0, 1, vcc
	v_lshlrev_b32_e32 v6, 4, v6
	v_add_lshl_u32 v70, v6, v64, 2
	ds_bpermute_b32 v6, v70, v5
	v_cmp_le_u32_e32 vcc, v71, v3
	s_waitcnt lgkmcnt(0)
	s_nop 0
	v_cndmask_b32_e32 v6, 0, v6, vcc
	v_cmp_gt_u32_e32 vcc, 32, v15
	v_add_u32_e32 v5, v5, v6
	s_nop 0
	v_cndmask_b32_e64 v6, 0, 1, vcc
	v_lshlrev_b32_e32 v6, 5, v6
	v_add_lshl_u32 v72, v6, v64, 2
	ds_bpermute_b32 v6, v72, v5
	v_cmp_le_u32_e32 vcc, v73, v3
	s_waitcnt lgkmcnt(0)
	s_nop 0
	v_cndmask_b32_e32 v3, 0, v6, vcc
	v_add_u32_e32 v6, v5, v3
	v_mov_b32_e32 v5, 0
	s_branch .LBB2684_54
.LBB2684_53:                            ;   in Loop: Header=BB2684_54 Depth=1
	s_or_b64 exec, exec, s[28:29]
	v_cmp_eq_u16_sdwa s[28:29], v7, v14 src0_sel:BYTE_0 src1_sel:DWORD
	ds_bpermute_b32 v74, v16, v6
	v_subrev_u32_e32 v4, 64, v4
	v_and_b32_e32 v10, s29, v9
	v_or_b32_e32 v10, 0x80000000, v10
	v_and_b32_e32 v11, s28, v8
	v_ffbl_b32_e32 v10, v10
	v_add_u32_e32 v10, 32, v10
	v_ffbl_b32_e32 v11, v11
	v_min_u32_e32 v10, v11, v10
	v_cmp_lt_u32_e32 vcc, v15, v10
	s_waitcnt lgkmcnt(0)
	s_nop 0
	v_cndmask_b32_e32 v11, 0, v74, vcc
	v_add_u32_e32 v6, v11, v6
	ds_bpermute_b32 v11, v17, v6
	v_cmp_le_u32_e32 vcc, v32, v10
	s_waitcnt lgkmcnt(0)
	s_nop 0
	v_cndmask_b32_e32 v11, 0, v11, vcc
	v_add_u32_e32 v6, v6, v11
	ds_bpermute_b32 v11, v33, v6
	v_cmp_le_u32_e32 vcc, v67, v10
	;; [unrolled: 6-line block ×5, first 2 shown]
	s_waitcnt lgkmcnt(0)
	s_nop 0
	v_cndmask_b32_e32 v10, 0, v11, vcc
	v_add3_u32 v6, v10, v3, v6
.LBB2684_54:                            ; =>This Loop Header: Depth=1
                                        ;     Child Loop BB2684_57 Depth 2
	v_cmp_ne_u16_sdwa s[28:29], v7, v14 src0_sel:BYTE_0 src1_sel:DWORD
	s_nop 1
	v_cndmask_b32_e64 v3, 0, 1, s[28:29]
	;;#ASMSTART
	;;#ASMEND
	s_nop 0
	v_cmp_ne_u32_e32 vcc, 0, v3
	s_cmp_lg_u64 vcc, exec
	v_mov_b32_e32 v3, v6
	s_cbranch_scc1 .LBB2684_59
; %bb.55:                               ;   in Loop: Header=BB2684_54 Depth=1
	v_lshl_add_u64 v[10:11], v[4:5], 3, s[24:25]
	global_load_dwordx2 v[6:7], v[10:11], off sc1
	s_waitcnt vmcnt(0)
	v_cmp_eq_u16_sdwa s[30:31], v7, v5 src0_sel:BYTE_0 src1_sel:DWORD
	s_and_saveexec_b64 s[28:29], s[30:31]
	s_cbranch_execz .LBB2684_53
; %bb.56:                               ;   in Loop: Header=BB2684_54 Depth=1
	s_mov_b64 s[30:31], 0
.LBB2684_57:                            ;   Parent Loop BB2684_54 Depth=1
                                        ; =>  This Inner Loop Header: Depth=2
	global_load_dwordx2 v[6:7], v[10:11], off sc1
	s_waitcnt vmcnt(0)
	v_cmp_ne_u16_sdwa s[34:35], v7, v5 src0_sel:BYTE_0 src1_sel:DWORD
	s_or_b64 s[30:31], s[34:35], s[30:31]
	s_andn2_b64 exec, exec, s[30:31]
	s_cbranch_execnz .LBB2684_57
; %bb.58:                               ;   in Loop: Header=BB2684_54 Depth=1
	s_or_b64 exec, exec, s[30:31]
	s_branch .LBB2684_53
.LBB2684_59:                            ;   in Loop: Header=BB2684_54 Depth=1
                                        ; implicit-def: $vgpr6
                                        ; implicit-def: $vgpr7
	s_cbranch_execz .LBB2684_54
; %bb.60:
	s_and_saveexec_b64 s[28:29], s[14:15]
	s_cbranch_execz .LBB2684_62
; %bb.61:
	s_add_i32 s2, s2, 64
	s_mov_b32 s3, 0
	s_lshl_b64 s[2:3], s[2:3], 3
	s_add_u32 s2, s24, s2
	v_add_u32_e32 v4, v3, v2
	v_mov_b32_e32 v5, 2
	s_addc_u32 s3, s25, s3
	v_mov_b32_e32 v6, 0
	global_store_dwordx2 v6, v[4:5], s[2:3] sc1
	ds_write_b64 v6, v[2:3] offset:30720
.LBB2684_62:
	s_or_b64 exec, exec, s[28:29]
	v_cmp_eq_u32_e32 vcc, 0, v0
	s_and_b64 exec, exec, vcc
	s_cbranch_execz .LBB2684_64
; %bb.63:
	v_mov_b32_e32 v2, 0
	ds_write_b32 v2, v3 offset:28
.LBB2684_64:
	s_or_b64 exec, exec, s[26:27]
	v_mov_b32_e32 v14, 0
	s_waitcnt lgkmcnt(0)
	s_barrier
	ds_read_b32 v2, v14 offset:28
	v_cndmask_b32_e64 v3, v13, v12, s[14:15]
	v_cmp_ne_u32_e32 vcc, 0, v0
	s_waitcnt lgkmcnt(0)
	s_barrier
	v_cndmask_b32_e32 v3, 0, v3, vcc
	v_add_u32_e32 v2, v2, v3
	v_add_u32_e32 v3, v2, v50
	;; [unrolled: 1-line block ×11, first 2 shown]
	ds_read_b64 v[32:33], v14 offset:30720
	v_add_u32_e32 v13, v12, v60
	v_add_u32_e32 v14, v13, v61
	;; [unrolled: 1-line block ×4, first 2 shown]
	s_branch .LBB2684_75
.LBB2684_65:
                                        ; implicit-def: $vgpr33
                                        ; implicit-def: $vgpr2_vgpr3_vgpr4_vgpr5_vgpr6_vgpr7_vgpr8_vgpr9_vgpr10_vgpr11_vgpr12_vgpr13_vgpr14_vgpr15_vgpr16_vgpr17
	s_cbranch_execz .LBB2684_75
; %bb.66:
	s_nop 0
	v_mov_b32_dpp v2, v66 row_shr:1 row_mask:0xf bank_mask:0xf
	v_cndmask_b32_e64 v2, v2, 0, s[12:13]
	v_add_u32_e32 v2, v2, v66
	s_nop 1
	v_mov_b32_dpp v3, v2 row_shr:2 row_mask:0xf bank_mask:0xf
	v_cndmask_b32_e64 v3, 0, v3, s[10:11]
	v_add_u32_e32 v2, v2, v3
	;; [unrolled: 4-line block ×4, first 2 shown]
	s_nop 1
	v_mov_b32_dpp v3, v2 row_bcast:15 row_mask:0xf bank_mask:0xf
	v_cndmask_b32_e64 v3, v3, 0, s[4:5]
	v_add_u32_e32 v2, v2, v3
	s_nop 1
	v_mov_b32_dpp v3, v2 row_bcast:31 row_mask:0xf bank_mask:0xf
	v_cndmask_b32_e64 v3, 0, v3, s[0:1]
	v_add_u32_e32 v2, v2, v3
	s_and_saveexec_b64 s[0:1], s[16:17]
	s_cbranch_execz .LBB2684_68
; %bb.67:
	v_lshlrev_b32_e32 v3, 2, v65
	ds_write_b32 v3, v2
.LBB2684_68:
	s_or_b64 exec, exec, s[0:1]
	v_cmp_gt_u32_e32 vcc, 8, v0
	s_waitcnt lgkmcnt(0)
	s_barrier
	s_and_saveexec_b64 s[0:1], vcc
	s_cbranch_execz .LBB2684_70
; %bb.69:
	v_lshlrev_b32_e32 v3, 2, v0
	ds_read_b32 v4, v3
	v_and_b32_e32 v5, 7, v64
	v_cmp_ne_u32_e32 vcc, 0, v5
	s_waitcnt lgkmcnt(0)
	v_mov_b32_dpp v6, v4 row_shr:1 row_mask:0xf bank_mask:0xf
	v_cndmask_b32_e32 v6, 0, v6, vcc
	v_add_u32_e32 v4, v6, v4
	v_cmp_lt_u32_e32 vcc, 1, v5
	s_nop 0
	v_mov_b32_dpp v6, v4 row_shr:2 row_mask:0xf bank_mask:0xf
	v_cndmask_b32_e32 v6, 0, v6, vcc
	v_add_u32_e32 v4, v4, v6
	v_cmp_lt_u32_e32 vcc, 3, v5
	s_nop 0
	v_mov_b32_dpp v6, v4 row_shr:4 row_mask:0xf bank_mask:0xf
	v_cndmask_b32_e32 v5, 0, v6, vcc
	v_add_u32_e32 v4, v4, v5
	ds_write_b32 v3, v4
.LBB2684_70:
	s_or_b64 exec, exec, s[0:1]
	v_cmp_lt_u32_e32 vcc, 63, v0
	v_mov_b32_e32 v4, 0
	v_mov_b32_e32 v3, 0
	s_waitcnt lgkmcnt(0)
	s_barrier
	s_and_saveexec_b64 s[0:1], vcc
	s_cbranch_execz .LBB2684_72
; %bb.71:
	v_lshl_add_u32 v3, v65, 2, -4
	ds_read_b32 v3, v3
.LBB2684_72:
	s_or_b64 exec, exec, s[0:1]
	v_add_u32_e32 v5, -1, v64
	v_and_b32_e32 v6, 64, v64
	v_cmp_lt_i32_e32 vcc, v5, v6
	s_waitcnt lgkmcnt(0)
	v_add_u32_e32 v2, v3, v2
	ds_read_b32 v32, v4 offset:28
	v_cndmask_b32_e32 v5, v5, v64, vcc
	v_lshlrev_b32_e32 v5, 2, v5
	ds_bpermute_b32 v2, v5, v2
	v_cmp_eq_u32_e32 vcc, 0, v0
	s_and_saveexec_b64 s[0:1], vcc
	s_cbranch_execz .LBB2684_74
; %bb.73:
	v_mov_b32_e32 v4, 0
	v_mov_b32_e32 v33, 2
	s_waitcnt lgkmcnt(1)
	global_store_dwordx2 v4, v[32:33], s[24:25] offset:512 sc1
.LBB2684_74:
	s_or_b64 exec, exec, s[0:1]
	v_cmp_eq_u32_e64 s[0:1], 0, v64
	v_mov_b32_e32 v33, 0
	s_waitcnt lgkmcnt(0)
	v_cndmask_b32_e64 v2, v2, v3, s[0:1]
	v_cndmask_b32_e64 v2, v2, 0, vcc
	v_add_u32_e32 v3, v2, v50
	v_add_u32_e32 v4, v3, v51
	;; [unrolled: 1-line block ×14, first 2 shown]
	s_barrier
.LBB2684_75:
	s_waitcnt lgkmcnt(0)
	v_add_u32_e32 v17, v32, v36
	v_sub_u32_e32 v2, v2, v33
	v_and_b32_e32 v49, 1, v49
	v_sub_u32_e32 v36, v17, v2
	v_cmp_eq_u32_e32 vcc, 1, v49
	s_nop 1
	v_cndmask_b32_e32 v2, v36, v2, vcc
	v_lshlrev_b32_e32 v2, 2, v2
	ds_write_b32 v2, v30
	v_sub_u32_e32 v2, v3, v33
	v_sub_u32_e32 v3, v17, v2
	v_and_b32_e32 v30, 1, v48
	v_add_u32_e32 v3, 1, v3
	v_cmp_eq_u32_e32 vcc, 1, v30
	s_nop 1
	v_cndmask_b32_e32 v2, v3, v2, vcc
	v_lshlrev_b32_e32 v2, 2, v2
	ds_write_b32 v2, v31
	v_sub_u32_e32 v2, v4, v33
	v_sub_u32_e32 v3, v17, v2
	v_and_b32_e32 v4, 1, v47
	v_add_u32_e32 v3, 2, v3
	v_cmp_eq_u32_e32 vcc, 1, v4
	v_and_b32_e32 v4, 1, v46
	s_nop 0
	v_cndmask_b32_e32 v2, v3, v2, vcc
	v_lshlrev_b32_e32 v2, 2, v2
	ds_write_b32 v2, v28
	v_sub_u32_e32 v2, v5, v33
	v_sub_u32_e32 v3, v17, v2
	v_add_u32_e32 v3, 3, v3
	v_cmp_eq_u32_e32 vcc, 1, v4
	v_and_b32_e32 v4, 1, v45
	s_nop 0
	v_cndmask_b32_e32 v2, v3, v2, vcc
	v_lshlrev_b32_e32 v2, 2, v2
	ds_write_b32 v2, v29
	v_sub_u32_e32 v2, v6, v33
	v_sub_u32_e32 v3, v17, v2
	;; [unrolled: 9-line block ×12, first 2 shown]
	v_add_u32_e32 v3, 14, v3
	v_cmp_eq_u32_e32 vcc, 1, v4
	s_nop 1
	v_cndmask_b32_e32 v2, v3, v2, vcc
	v_cmp_eq_u32_e32 vcc, 0, v0
	v_lshlrev_b32_e32 v2, 2, v2
	s_and_b64 s[0:1], vcc, s[22:23]
	ds_write_b32 v2, v1
	s_waitcnt lgkmcnt(0)
	s_barrier
	s_and_saveexec_b64 s[2:3], s[0:1]
	s_cbranch_execz .LBB2684_77
; %bb.76:
	v_mov_b32_e32 v1, 0
	v_mov_b32_e32 v0, v32
	v_lshl_add_u64 v[2:3], s[18:19], 0, v[0:1]
	v_mov_b32_e32 v0, v33
	v_lshl_add_u64 v[2:3], v[2:3], 0, v[0:1]
	global_store_dwordx2 v1, v[2:3], s[20:21]
.LBB2684_77:
	s_endpgm
	.section	.rodata,"a",@progbits
	.p2align	6, 0x0
	.amdhsa_kernel _ZN7rocprim17ROCPRIM_400000_NS6detail17trampoline_kernelINS0_14default_configENS1_25partition_config_selectorILNS1_17partition_subalgoE0EiNS0_10empty_typeEbEEZZNS1_14partition_implILS5_0ELb0ES3_jN6thrust23THRUST_200600_302600_NS6detail15normal_iteratorINSA_10device_ptrIiEEEEPS6_SG_NS0_5tupleIJNSA_16discard_iteratorINSA_11use_defaultEEESK_EEENSH_IJSG_SG_EEES6_PlJ7is_evenIiEEEE10hipError_tPvRmT3_T4_T5_T6_T7_T9_mT8_P12ihipStream_tbDpT10_ENKUlT_T0_E_clISt17integral_constantIbLb0EES19_EEDaS14_S15_EUlS14_E_NS1_11comp_targetILNS1_3genE5ELNS1_11target_archE942ELNS1_3gpuE9ELNS1_3repE0EEENS1_30default_config_static_selectorELNS0_4arch9wavefront6targetE1EEEvT1_
		.amdhsa_group_segment_fixed_size 30728
		.amdhsa_private_segment_fixed_size 0
		.amdhsa_kernarg_size 136
		.amdhsa_user_sgpr_count 2
		.amdhsa_user_sgpr_dispatch_ptr 0
		.amdhsa_user_sgpr_queue_ptr 0
		.amdhsa_user_sgpr_kernarg_segment_ptr 1
		.amdhsa_user_sgpr_dispatch_id 0
		.amdhsa_user_sgpr_kernarg_preload_length 0
		.amdhsa_user_sgpr_kernarg_preload_offset 0
		.amdhsa_user_sgpr_private_segment_size 0
		.amdhsa_uses_dynamic_stack 0
		.amdhsa_enable_private_segment 0
		.amdhsa_system_sgpr_workgroup_id_x 1
		.amdhsa_system_sgpr_workgroup_id_y 0
		.amdhsa_system_sgpr_workgroup_id_z 0
		.amdhsa_system_sgpr_workgroup_info 0
		.amdhsa_system_vgpr_workitem_id 0
		.amdhsa_next_free_vgpr 75
		.amdhsa_next_free_sgpr 36
		.amdhsa_accum_offset 76
		.amdhsa_reserve_vcc 1
		.amdhsa_float_round_mode_32 0
		.amdhsa_float_round_mode_16_64 0
		.amdhsa_float_denorm_mode_32 3
		.amdhsa_float_denorm_mode_16_64 3
		.amdhsa_dx10_clamp 1
		.amdhsa_ieee_mode 1
		.amdhsa_fp16_overflow 0
		.amdhsa_tg_split 0
		.amdhsa_exception_fp_ieee_invalid_op 0
		.amdhsa_exception_fp_denorm_src 0
		.amdhsa_exception_fp_ieee_div_zero 0
		.amdhsa_exception_fp_ieee_overflow 0
		.amdhsa_exception_fp_ieee_underflow 0
		.amdhsa_exception_fp_ieee_inexact 0
		.amdhsa_exception_int_div_zero 0
	.end_amdhsa_kernel
	.section	.text._ZN7rocprim17ROCPRIM_400000_NS6detail17trampoline_kernelINS0_14default_configENS1_25partition_config_selectorILNS1_17partition_subalgoE0EiNS0_10empty_typeEbEEZZNS1_14partition_implILS5_0ELb0ES3_jN6thrust23THRUST_200600_302600_NS6detail15normal_iteratorINSA_10device_ptrIiEEEEPS6_SG_NS0_5tupleIJNSA_16discard_iteratorINSA_11use_defaultEEESK_EEENSH_IJSG_SG_EEES6_PlJ7is_evenIiEEEE10hipError_tPvRmT3_T4_T5_T6_T7_T9_mT8_P12ihipStream_tbDpT10_ENKUlT_T0_E_clISt17integral_constantIbLb0EES19_EEDaS14_S15_EUlS14_E_NS1_11comp_targetILNS1_3genE5ELNS1_11target_archE942ELNS1_3gpuE9ELNS1_3repE0EEENS1_30default_config_static_selectorELNS0_4arch9wavefront6targetE1EEEvT1_,"axG",@progbits,_ZN7rocprim17ROCPRIM_400000_NS6detail17trampoline_kernelINS0_14default_configENS1_25partition_config_selectorILNS1_17partition_subalgoE0EiNS0_10empty_typeEbEEZZNS1_14partition_implILS5_0ELb0ES3_jN6thrust23THRUST_200600_302600_NS6detail15normal_iteratorINSA_10device_ptrIiEEEEPS6_SG_NS0_5tupleIJNSA_16discard_iteratorINSA_11use_defaultEEESK_EEENSH_IJSG_SG_EEES6_PlJ7is_evenIiEEEE10hipError_tPvRmT3_T4_T5_T6_T7_T9_mT8_P12ihipStream_tbDpT10_ENKUlT_T0_E_clISt17integral_constantIbLb0EES19_EEDaS14_S15_EUlS14_E_NS1_11comp_targetILNS1_3genE5ELNS1_11target_archE942ELNS1_3gpuE9ELNS1_3repE0EEENS1_30default_config_static_selectorELNS0_4arch9wavefront6targetE1EEEvT1_,comdat
.Lfunc_end2684:
	.size	_ZN7rocprim17ROCPRIM_400000_NS6detail17trampoline_kernelINS0_14default_configENS1_25partition_config_selectorILNS1_17partition_subalgoE0EiNS0_10empty_typeEbEEZZNS1_14partition_implILS5_0ELb0ES3_jN6thrust23THRUST_200600_302600_NS6detail15normal_iteratorINSA_10device_ptrIiEEEEPS6_SG_NS0_5tupleIJNSA_16discard_iteratorINSA_11use_defaultEEESK_EEENSH_IJSG_SG_EEES6_PlJ7is_evenIiEEEE10hipError_tPvRmT3_T4_T5_T6_T7_T9_mT8_P12ihipStream_tbDpT10_ENKUlT_T0_E_clISt17integral_constantIbLb0EES19_EEDaS14_S15_EUlS14_E_NS1_11comp_targetILNS1_3genE5ELNS1_11target_archE942ELNS1_3gpuE9ELNS1_3repE0EEENS1_30default_config_static_selectorELNS0_4arch9wavefront6targetE1EEEvT1_, .Lfunc_end2684-_ZN7rocprim17ROCPRIM_400000_NS6detail17trampoline_kernelINS0_14default_configENS1_25partition_config_selectorILNS1_17partition_subalgoE0EiNS0_10empty_typeEbEEZZNS1_14partition_implILS5_0ELb0ES3_jN6thrust23THRUST_200600_302600_NS6detail15normal_iteratorINSA_10device_ptrIiEEEEPS6_SG_NS0_5tupleIJNSA_16discard_iteratorINSA_11use_defaultEEESK_EEENSH_IJSG_SG_EEES6_PlJ7is_evenIiEEEE10hipError_tPvRmT3_T4_T5_T6_T7_T9_mT8_P12ihipStream_tbDpT10_ENKUlT_T0_E_clISt17integral_constantIbLb0EES19_EEDaS14_S15_EUlS14_E_NS1_11comp_targetILNS1_3genE5ELNS1_11target_archE942ELNS1_3gpuE9ELNS1_3repE0EEENS1_30default_config_static_selectorELNS0_4arch9wavefront6targetE1EEEvT1_
                                        ; -- End function
	.section	.AMDGPU.csdata,"",@progbits
; Kernel info:
; codeLenInByte = 4804
; NumSgprs: 42
; NumVgprs: 75
; NumAgprs: 0
; TotalNumVgprs: 75
; ScratchSize: 0
; MemoryBound: 0
; FloatMode: 240
; IeeeMode: 1
; LDSByteSize: 30728 bytes/workgroup (compile time only)
; SGPRBlocks: 5
; VGPRBlocks: 9
; NumSGPRsForWavesPerEU: 42
; NumVGPRsForWavesPerEU: 75
; AccumOffset: 76
; Occupancy: 4
; WaveLimiterHint : 1
; COMPUTE_PGM_RSRC2:SCRATCH_EN: 0
; COMPUTE_PGM_RSRC2:USER_SGPR: 2
; COMPUTE_PGM_RSRC2:TRAP_HANDLER: 0
; COMPUTE_PGM_RSRC2:TGID_X_EN: 1
; COMPUTE_PGM_RSRC2:TGID_Y_EN: 0
; COMPUTE_PGM_RSRC2:TGID_Z_EN: 0
; COMPUTE_PGM_RSRC2:TIDIG_COMP_CNT: 0
; COMPUTE_PGM_RSRC3_GFX90A:ACCUM_OFFSET: 18
; COMPUTE_PGM_RSRC3_GFX90A:TG_SPLIT: 0
	.section	.text._ZN7rocprim17ROCPRIM_400000_NS6detail17trampoline_kernelINS0_14default_configENS1_25partition_config_selectorILNS1_17partition_subalgoE0EiNS0_10empty_typeEbEEZZNS1_14partition_implILS5_0ELb0ES3_jN6thrust23THRUST_200600_302600_NS6detail15normal_iteratorINSA_10device_ptrIiEEEEPS6_SG_NS0_5tupleIJNSA_16discard_iteratorINSA_11use_defaultEEESK_EEENSH_IJSG_SG_EEES6_PlJ7is_evenIiEEEE10hipError_tPvRmT3_T4_T5_T6_T7_T9_mT8_P12ihipStream_tbDpT10_ENKUlT_T0_E_clISt17integral_constantIbLb0EES19_EEDaS14_S15_EUlS14_E_NS1_11comp_targetILNS1_3genE4ELNS1_11target_archE910ELNS1_3gpuE8ELNS1_3repE0EEENS1_30default_config_static_selectorELNS0_4arch9wavefront6targetE1EEEvT1_,"axG",@progbits,_ZN7rocprim17ROCPRIM_400000_NS6detail17trampoline_kernelINS0_14default_configENS1_25partition_config_selectorILNS1_17partition_subalgoE0EiNS0_10empty_typeEbEEZZNS1_14partition_implILS5_0ELb0ES3_jN6thrust23THRUST_200600_302600_NS6detail15normal_iteratorINSA_10device_ptrIiEEEEPS6_SG_NS0_5tupleIJNSA_16discard_iteratorINSA_11use_defaultEEESK_EEENSH_IJSG_SG_EEES6_PlJ7is_evenIiEEEE10hipError_tPvRmT3_T4_T5_T6_T7_T9_mT8_P12ihipStream_tbDpT10_ENKUlT_T0_E_clISt17integral_constantIbLb0EES19_EEDaS14_S15_EUlS14_E_NS1_11comp_targetILNS1_3genE4ELNS1_11target_archE910ELNS1_3gpuE8ELNS1_3repE0EEENS1_30default_config_static_selectorELNS0_4arch9wavefront6targetE1EEEvT1_,comdat
	.protected	_ZN7rocprim17ROCPRIM_400000_NS6detail17trampoline_kernelINS0_14default_configENS1_25partition_config_selectorILNS1_17partition_subalgoE0EiNS0_10empty_typeEbEEZZNS1_14partition_implILS5_0ELb0ES3_jN6thrust23THRUST_200600_302600_NS6detail15normal_iteratorINSA_10device_ptrIiEEEEPS6_SG_NS0_5tupleIJNSA_16discard_iteratorINSA_11use_defaultEEESK_EEENSH_IJSG_SG_EEES6_PlJ7is_evenIiEEEE10hipError_tPvRmT3_T4_T5_T6_T7_T9_mT8_P12ihipStream_tbDpT10_ENKUlT_T0_E_clISt17integral_constantIbLb0EES19_EEDaS14_S15_EUlS14_E_NS1_11comp_targetILNS1_3genE4ELNS1_11target_archE910ELNS1_3gpuE8ELNS1_3repE0EEENS1_30default_config_static_selectorELNS0_4arch9wavefront6targetE1EEEvT1_ ; -- Begin function _ZN7rocprim17ROCPRIM_400000_NS6detail17trampoline_kernelINS0_14default_configENS1_25partition_config_selectorILNS1_17partition_subalgoE0EiNS0_10empty_typeEbEEZZNS1_14partition_implILS5_0ELb0ES3_jN6thrust23THRUST_200600_302600_NS6detail15normal_iteratorINSA_10device_ptrIiEEEEPS6_SG_NS0_5tupleIJNSA_16discard_iteratorINSA_11use_defaultEEESK_EEENSH_IJSG_SG_EEES6_PlJ7is_evenIiEEEE10hipError_tPvRmT3_T4_T5_T6_T7_T9_mT8_P12ihipStream_tbDpT10_ENKUlT_T0_E_clISt17integral_constantIbLb0EES19_EEDaS14_S15_EUlS14_E_NS1_11comp_targetILNS1_3genE4ELNS1_11target_archE910ELNS1_3gpuE8ELNS1_3repE0EEENS1_30default_config_static_selectorELNS0_4arch9wavefront6targetE1EEEvT1_
	.globl	_ZN7rocprim17ROCPRIM_400000_NS6detail17trampoline_kernelINS0_14default_configENS1_25partition_config_selectorILNS1_17partition_subalgoE0EiNS0_10empty_typeEbEEZZNS1_14partition_implILS5_0ELb0ES3_jN6thrust23THRUST_200600_302600_NS6detail15normal_iteratorINSA_10device_ptrIiEEEEPS6_SG_NS0_5tupleIJNSA_16discard_iteratorINSA_11use_defaultEEESK_EEENSH_IJSG_SG_EEES6_PlJ7is_evenIiEEEE10hipError_tPvRmT3_T4_T5_T6_T7_T9_mT8_P12ihipStream_tbDpT10_ENKUlT_T0_E_clISt17integral_constantIbLb0EES19_EEDaS14_S15_EUlS14_E_NS1_11comp_targetILNS1_3genE4ELNS1_11target_archE910ELNS1_3gpuE8ELNS1_3repE0EEENS1_30default_config_static_selectorELNS0_4arch9wavefront6targetE1EEEvT1_
	.p2align	8
	.type	_ZN7rocprim17ROCPRIM_400000_NS6detail17trampoline_kernelINS0_14default_configENS1_25partition_config_selectorILNS1_17partition_subalgoE0EiNS0_10empty_typeEbEEZZNS1_14partition_implILS5_0ELb0ES3_jN6thrust23THRUST_200600_302600_NS6detail15normal_iteratorINSA_10device_ptrIiEEEEPS6_SG_NS0_5tupleIJNSA_16discard_iteratorINSA_11use_defaultEEESK_EEENSH_IJSG_SG_EEES6_PlJ7is_evenIiEEEE10hipError_tPvRmT3_T4_T5_T6_T7_T9_mT8_P12ihipStream_tbDpT10_ENKUlT_T0_E_clISt17integral_constantIbLb0EES19_EEDaS14_S15_EUlS14_E_NS1_11comp_targetILNS1_3genE4ELNS1_11target_archE910ELNS1_3gpuE8ELNS1_3repE0EEENS1_30default_config_static_selectorELNS0_4arch9wavefront6targetE1EEEvT1_,@function
_ZN7rocprim17ROCPRIM_400000_NS6detail17trampoline_kernelINS0_14default_configENS1_25partition_config_selectorILNS1_17partition_subalgoE0EiNS0_10empty_typeEbEEZZNS1_14partition_implILS5_0ELb0ES3_jN6thrust23THRUST_200600_302600_NS6detail15normal_iteratorINSA_10device_ptrIiEEEEPS6_SG_NS0_5tupleIJNSA_16discard_iteratorINSA_11use_defaultEEESK_EEENSH_IJSG_SG_EEES6_PlJ7is_evenIiEEEE10hipError_tPvRmT3_T4_T5_T6_T7_T9_mT8_P12ihipStream_tbDpT10_ENKUlT_T0_E_clISt17integral_constantIbLb0EES19_EEDaS14_S15_EUlS14_E_NS1_11comp_targetILNS1_3genE4ELNS1_11target_archE910ELNS1_3gpuE8ELNS1_3repE0EEENS1_30default_config_static_selectorELNS0_4arch9wavefront6targetE1EEEvT1_: ; @_ZN7rocprim17ROCPRIM_400000_NS6detail17trampoline_kernelINS0_14default_configENS1_25partition_config_selectorILNS1_17partition_subalgoE0EiNS0_10empty_typeEbEEZZNS1_14partition_implILS5_0ELb0ES3_jN6thrust23THRUST_200600_302600_NS6detail15normal_iteratorINSA_10device_ptrIiEEEEPS6_SG_NS0_5tupleIJNSA_16discard_iteratorINSA_11use_defaultEEESK_EEENSH_IJSG_SG_EEES6_PlJ7is_evenIiEEEE10hipError_tPvRmT3_T4_T5_T6_T7_T9_mT8_P12ihipStream_tbDpT10_ENKUlT_T0_E_clISt17integral_constantIbLb0EES19_EEDaS14_S15_EUlS14_E_NS1_11comp_targetILNS1_3genE4ELNS1_11target_archE910ELNS1_3gpuE8ELNS1_3repE0EEENS1_30default_config_static_selectorELNS0_4arch9wavefront6targetE1EEEvT1_
; %bb.0:
	.section	.rodata,"a",@progbits
	.p2align	6, 0x0
	.amdhsa_kernel _ZN7rocprim17ROCPRIM_400000_NS6detail17trampoline_kernelINS0_14default_configENS1_25partition_config_selectorILNS1_17partition_subalgoE0EiNS0_10empty_typeEbEEZZNS1_14partition_implILS5_0ELb0ES3_jN6thrust23THRUST_200600_302600_NS6detail15normal_iteratorINSA_10device_ptrIiEEEEPS6_SG_NS0_5tupleIJNSA_16discard_iteratorINSA_11use_defaultEEESK_EEENSH_IJSG_SG_EEES6_PlJ7is_evenIiEEEE10hipError_tPvRmT3_T4_T5_T6_T7_T9_mT8_P12ihipStream_tbDpT10_ENKUlT_T0_E_clISt17integral_constantIbLb0EES19_EEDaS14_S15_EUlS14_E_NS1_11comp_targetILNS1_3genE4ELNS1_11target_archE910ELNS1_3gpuE8ELNS1_3repE0EEENS1_30default_config_static_selectorELNS0_4arch9wavefront6targetE1EEEvT1_
		.amdhsa_group_segment_fixed_size 0
		.amdhsa_private_segment_fixed_size 0
		.amdhsa_kernarg_size 136
		.amdhsa_user_sgpr_count 2
		.amdhsa_user_sgpr_dispatch_ptr 0
		.amdhsa_user_sgpr_queue_ptr 0
		.amdhsa_user_sgpr_kernarg_segment_ptr 1
		.amdhsa_user_sgpr_dispatch_id 0
		.amdhsa_user_sgpr_kernarg_preload_length 0
		.amdhsa_user_sgpr_kernarg_preload_offset 0
		.amdhsa_user_sgpr_private_segment_size 0
		.amdhsa_uses_dynamic_stack 0
		.amdhsa_enable_private_segment 0
		.amdhsa_system_sgpr_workgroup_id_x 1
		.amdhsa_system_sgpr_workgroup_id_y 0
		.amdhsa_system_sgpr_workgroup_id_z 0
		.amdhsa_system_sgpr_workgroup_info 0
		.amdhsa_system_vgpr_workitem_id 0
		.amdhsa_next_free_vgpr 1
		.amdhsa_next_free_sgpr 0
		.amdhsa_accum_offset 4
		.amdhsa_reserve_vcc 0
		.amdhsa_float_round_mode_32 0
		.amdhsa_float_round_mode_16_64 0
		.amdhsa_float_denorm_mode_32 3
		.amdhsa_float_denorm_mode_16_64 3
		.amdhsa_dx10_clamp 1
		.amdhsa_ieee_mode 1
		.amdhsa_fp16_overflow 0
		.amdhsa_tg_split 0
		.amdhsa_exception_fp_ieee_invalid_op 0
		.amdhsa_exception_fp_denorm_src 0
		.amdhsa_exception_fp_ieee_div_zero 0
		.amdhsa_exception_fp_ieee_overflow 0
		.amdhsa_exception_fp_ieee_underflow 0
		.amdhsa_exception_fp_ieee_inexact 0
		.amdhsa_exception_int_div_zero 0
	.end_amdhsa_kernel
	.section	.text._ZN7rocprim17ROCPRIM_400000_NS6detail17trampoline_kernelINS0_14default_configENS1_25partition_config_selectorILNS1_17partition_subalgoE0EiNS0_10empty_typeEbEEZZNS1_14partition_implILS5_0ELb0ES3_jN6thrust23THRUST_200600_302600_NS6detail15normal_iteratorINSA_10device_ptrIiEEEEPS6_SG_NS0_5tupleIJNSA_16discard_iteratorINSA_11use_defaultEEESK_EEENSH_IJSG_SG_EEES6_PlJ7is_evenIiEEEE10hipError_tPvRmT3_T4_T5_T6_T7_T9_mT8_P12ihipStream_tbDpT10_ENKUlT_T0_E_clISt17integral_constantIbLb0EES19_EEDaS14_S15_EUlS14_E_NS1_11comp_targetILNS1_3genE4ELNS1_11target_archE910ELNS1_3gpuE8ELNS1_3repE0EEENS1_30default_config_static_selectorELNS0_4arch9wavefront6targetE1EEEvT1_,"axG",@progbits,_ZN7rocprim17ROCPRIM_400000_NS6detail17trampoline_kernelINS0_14default_configENS1_25partition_config_selectorILNS1_17partition_subalgoE0EiNS0_10empty_typeEbEEZZNS1_14partition_implILS5_0ELb0ES3_jN6thrust23THRUST_200600_302600_NS6detail15normal_iteratorINSA_10device_ptrIiEEEEPS6_SG_NS0_5tupleIJNSA_16discard_iteratorINSA_11use_defaultEEESK_EEENSH_IJSG_SG_EEES6_PlJ7is_evenIiEEEE10hipError_tPvRmT3_T4_T5_T6_T7_T9_mT8_P12ihipStream_tbDpT10_ENKUlT_T0_E_clISt17integral_constantIbLb0EES19_EEDaS14_S15_EUlS14_E_NS1_11comp_targetILNS1_3genE4ELNS1_11target_archE910ELNS1_3gpuE8ELNS1_3repE0EEENS1_30default_config_static_selectorELNS0_4arch9wavefront6targetE1EEEvT1_,comdat
.Lfunc_end2685:
	.size	_ZN7rocprim17ROCPRIM_400000_NS6detail17trampoline_kernelINS0_14default_configENS1_25partition_config_selectorILNS1_17partition_subalgoE0EiNS0_10empty_typeEbEEZZNS1_14partition_implILS5_0ELb0ES3_jN6thrust23THRUST_200600_302600_NS6detail15normal_iteratorINSA_10device_ptrIiEEEEPS6_SG_NS0_5tupleIJNSA_16discard_iteratorINSA_11use_defaultEEESK_EEENSH_IJSG_SG_EEES6_PlJ7is_evenIiEEEE10hipError_tPvRmT3_T4_T5_T6_T7_T9_mT8_P12ihipStream_tbDpT10_ENKUlT_T0_E_clISt17integral_constantIbLb0EES19_EEDaS14_S15_EUlS14_E_NS1_11comp_targetILNS1_3genE4ELNS1_11target_archE910ELNS1_3gpuE8ELNS1_3repE0EEENS1_30default_config_static_selectorELNS0_4arch9wavefront6targetE1EEEvT1_, .Lfunc_end2685-_ZN7rocprim17ROCPRIM_400000_NS6detail17trampoline_kernelINS0_14default_configENS1_25partition_config_selectorILNS1_17partition_subalgoE0EiNS0_10empty_typeEbEEZZNS1_14partition_implILS5_0ELb0ES3_jN6thrust23THRUST_200600_302600_NS6detail15normal_iteratorINSA_10device_ptrIiEEEEPS6_SG_NS0_5tupleIJNSA_16discard_iteratorINSA_11use_defaultEEESK_EEENSH_IJSG_SG_EEES6_PlJ7is_evenIiEEEE10hipError_tPvRmT3_T4_T5_T6_T7_T9_mT8_P12ihipStream_tbDpT10_ENKUlT_T0_E_clISt17integral_constantIbLb0EES19_EEDaS14_S15_EUlS14_E_NS1_11comp_targetILNS1_3genE4ELNS1_11target_archE910ELNS1_3gpuE8ELNS1_3repE0EEENS1_30default_config_static_selectorELNS0_4arch9wavefront6targetE1EEEvT1_
                                        ; -- End function
	.section	.AMDGPU.csdata,"",@progbits
; Kernel info:
; codeLenInByte = 0
; NumSgprs: 6
; NumVgprs: 0
; NumAgprs: 0
; TotalNumVgprs: 0
; ScratchSize: 0
; MemoryBound: 0
; FloatMode: 240
; IeeeMode: 1
; LDSByteSize: 0 bytes/workgroup (compile time only)
; SGPRBlocks: 0
; VGPRBlocks: 0
; NumSGPRsForWavesPerEU: 6
; NumVGPRsForWavesPerEU: 1
; AccumOffset: 4
; Occupancy: 8
; WaveLimiterHint : 0
; COMPUTE_PGM_RSRC2:SCRATCH_EN: 0
; COMPUTE_PGM_RSRC2:USER_SGPR: 2
; COMPUTE_PGM_RSRC2:TRAP_HANDLER: 0
; COMPUTE_PGM_RSRC2:TGID_X_EN: 1
; COMPUTE_PGM_RSRC2:TGID_Y_EN: 0
; COMPUTE_PGM_RSRC2:TGID_Z_EN: 0
; COMPUTE_PGM_RSRC2:TIDIG_COMP_CNT: 0
; COMPUTE_PGM_RSRC3_GFX90A:ACCUM_OFFSET: 0
; COMPUTE_PGM_RSRC3_GFX90A:TG_SPLIT: 0
	.section	.text._ZN7rocprim17ROCPRIM_400000_NS6detail17trampoline_kernelINS0_14default_configENS1_25partition_config_selectorILNS1_17partition_subalgoE0EiNS0_10empty_typeEbEEZZNS1_14partition_implILS5_0ELb0ES3_jN6thrust23THRUST_200600_302600_NS6detail15normal_iteratorINSA_10device_ptrIiEEEEPS6_SG_NS0_5tupleIJNSA_16discard_iteratorINSA_11use_defaultEEESK_EEENSH_IJSG_SG_EEES6_PlJ7is_evenIiEEEE10hipError_tPvRmT3_T4_T5_T6_T7_T9_mT8_P12ihipStream_tbDpT10_ENKUlT_T0_E_clISt17integral_constantIbLb0EES19_EEDaS14_S15_EUlS14_E_NS1_11comp_targetILNS1_3genE3ELNS1_11target_archE908ELNS1_3gpuE7ELNS1_3repE0EEENS1_30default_config_static_selectorELNS0_4arch9wavefront6targetE1EEEvT1_,"axG",@progbits,_ZN7rocprim17ROCPRIM_400000_NS6detail17trampoline_kernelINS0_14default_configENS1_25partition_config_selectorILNS1_17partition_subalgoE0EiNS0_10empty_typeEbEEZZNS1_14partition_implILS5_0ELb0ES3_jN6thrust23THRUST_200600_302600_NS6detail15normal_iteratorINSA_10device_ptrIiEEEEPS6_SG_NS0_5tupleIJNSA_16discard_iteratorINSA_11use_defaultEEESK_EEENSH_IJSG_SG_EEES6_PlJ7is_evenIiEEEE10hipError_tPvRmT3_T4_T5_T6_T7_T9_mT8_P12ihipStream_tbDpT10_ENKUlT_T0_E_clISt17integral_constantIbLb0EES19_EEDaS14_S15_EUlS14_E_NS1_11comp_targetILNS1_3genE3ELNS1_11target_archE908ELNS1_3gpuE7ELNS1_3repE0EEENS1_30default_config_static_selectorELNS0_4arch9wavefront6targetE1EEEvT1_,comdat
	.protected	_ZN7rocprim17ROCPRIM_400000_NS6detail17trampoline_kernelINS0_14default_configENS1_25partition_config_selectorILNS1_17partition_subalgoE0EiNS0_10empty_typeEbEEZZNS1_14partition_implILS5_0ELb0ES3_jN6thrust23THRUST_200600_302600_NS6detail15normal_iteratorINSA_10device_ptrIiEEEEPS6_SG_NS0_5tupleIJNSA_16discard_iteratorINSA_11use_defaultEEESK_EEENSH_IJSG_SG_EEES6_PlJ7is_evenIiEEEE10hipError_tPvRmT3_T4_T5_T6_T7_T9_mT8_P12ihipStream_tbDpT10_ENKUlT_T0_E_clISt17integral_constantIbLb0EES19_EEDaS14_S15_EUlS14_E_NS1_11comp_targetILNS1_3genE3ELNS1_11target_archE908ELNS1_3gpuE7ELNS1_3repE0EEENS1_30default_config_static_selectorELNS0_4arch9wavefront6targetE1EEEvT1_ ; -- Begin function _ZN7rocprim17ROCPRIM_400000_NS6detail17trampoline_kernelINS0_14default_configENS1_25partition_config_selectorILNS1_17partition_subalgoE0EiNS0_10empty_typeEbEEZZNS1_14partition_implILS5_0ELb0ES3_jN6thrust23THRUST_200600_302600_NS6detail15normal_iteratorINSA_10device_ptrIiEEEEPS6_SG_NS0_5tupleIJNSA_16discard_iteratorINSA_11use_defaultEEESK_EEENSH_IJSG_SG_EEES6_PlJ7is_evenIiEEEE10hipError_tPvRmT3_T4_T5_T6_T7_T9_mT8_P12ihipStream_tbDpT10_ENKUlT_T0_E_clISt17integral_constantIbLb0EES19_EEDaS14_S15_EUlS14_E_NS1_11comp_targetILNS1_3genE3ELNS1_11target_archE908ELNS1_3gpuE7ELNS1_3repE0EEENS1_30default_config_static_selectorELNS0_4arch9wavefront6targetE1EEEvT1_
	.globl	_ZN7rocprim17ROCPRIM_400000_NS6detail17trampoline_kernelINS0_14default_configENS1_25partition_config_selectorILNS1_17partition_subalgoE0EiNS0_10empty_typeEbEEZZNS1_14partition_implILS5_0ELb0ES3_jN6thrust23THRUST_200600_302600_NS6detail15normal_iteratorINSA_10device_ptrIiEEEEPS6_SG_NS0_5tupleIJNSA_16discard_iteratorINSA_11use_defaultEEESK_EEENSH_IJSG_SG_EEES6_PlJ7is_evenIiEEEE10hipError_tPvRmT3_T4_T5_T6_T7_T9_mT8_P12ihipStream_tbDpT10_ENKUlT_T0_E_clISt17integral_constantIbLb0EES19_EEDaS14_S15_EUlS14_E_NS1_11comp_targetILNS1_3genE3ELNS1_11target_archE908ELNS1_3gpuE7ELNS1_3repE0EEENS1_30default_config_static_selectorELNS0_4arch9wavefront6targetE1EEEvT1_
	.p2align	8
	.type	_ZN7rocprim17ROCPRIM_400000_NS6detail17trampoline_kernelINS0_14default_configENS1_25partition_config_selectorILNS1_17partition_subalgoE0EiNS0_10empty_typeEbEEZZNS1_14partition_implILS5_0ELb0ES3_jN6thrust23THRUST_200600_302600_NS6detail15normal_iteratorINSA_10device_ptrIiEEEEPS6_SG_NS0_5tupleIJNSA_16discard_iteratorINSA_11use_defaultEEESK_EEENSH_IJSG_SG_EEES6_PlJ7is_evenIiEEEE10hipError_tPvRmT3_T4_T5_T6_T7_T9_mT8_P12ihipStream_tbDpT10_ENKUlT_T0_E_clISt17integral_constantIbLb0EES19_EEDaS14_S15_EUlS14_E_NS1_11comp_targetILNS1_3genE3ELNS1_11target_archE908ELNS1_3gpuE7ELNS1_3repE0EEENS1_30default_config_static_selectorELNS0_4arch9wavefront6targetE1EEEvT1_,@function
_ZN7rocprim17ROCPRIM_400000_NS6detail17trampoline_kernelINS0_14default_configENS1_25partition_config_selectorILNS1_17partition_subalgoE0EiNS0_10empty_typeEbEEZZNS1_14partition_implILS5_0ELb0ES3_jN6thrust23THRUST_200600_302600_NS6detail15normal_iteratorINSA_10device_ptrIiEEEEPS6_SG_NS0_5tupleIJNSA_16discard_iteratorINSA_11use_defaultEEESK_EEENSH_IJSG_SG_EEES6_PlJ7is_evenIiEEEE10hipError_tPvRmT3_T4_T5_T6_T7_T9_mT8_P12ihipStream_tbDpT10_ENKUlT_T0_E_clISt17integral_constantIbLb0EES19_EEDaS14_S15_EUlS14_E_NS1_11comp_targetILNS1_3genE3ELNS1_11target_archE908ELNS1_3gpuE7ELNS1_3repE0EEENS1_30default_config_static_selectorELNS0_4arch9wavefront6targetE1EEEvT1_: ; @_ZN7rocprim17ROCPRIM_400000_NS6detail17trampoline_kernelINS0_14default_configENS1_25partition_config_selectorILNS1_17partition_subalgoE0EiNS0_10empty_typeEbEEZZNS1_14partition_implILS5_0ELb0ES3_jN6thrust23THRUST_200600_302600_NS6detail15normal_iteratorINSA_10device_ptrIiEEEEPS6_SG_NS0_5tupleIJNSA_16discard_iteratorINSA_11use_defaultEEESK_EEENSH_IJSG_SG_EEES6_PlJ7is_evenIiEEEE10hipError_tPvRmT3_T4_T5_T6_T7_T9_mT8_P12ihipStream_tbDpT10_ENKUlT_T0_E_clISt17integral_constantIbLb0EES19_EEDaS14_S15_EUlS14_E_NS1_11comp_targetILNS1_3genE3ELNS1_11target_archE908ELNS1_3gpuE7ELNS1_3repE0EEENS1_30default_config_static_selectorELNS0_4arch9wavefront6targetE1EEEvT1_
; %bb.0:
	.section	.rodata,"a",@progbits
	.p2align	6, 0x0
	.amdhsa_kernel _ZN7rocprim17ROCPRIM_400000_NS6detail17trampoline_kernelINS0_14default_configENS1_25partition_config_selectorILNS1_17partition_subalgoE0EiNS0_10empty_typeEbEEZZNS1_14partition_implILS5_0ELb0ES3_jN6thrust23THRUST_200600_302600_NS6detail15normal_iteratorINSA_10device_ptrIiEEEEPS6_SG_NS0_5tupleIJNSA_16discard_iteratorINSA_11use_defaultEEESK_EEENSH_IJSG_SG_EEES6_PlJ7is_evenIiEEEE10hipError_tPvRmT3_T4_T5_T6_T7_T9_mT8_P12ihipStream_tbDpT10_ENKUlT_T0_E_clISt17integral_constantIbLb0EES19_EEDaS14_S15_EUlS14_E_NS1_11comp_targetILNS1_3genE3ELNS1_11target_archE908ELNS1_3gpuE7ELNS1_3repE0EEENS1_30default_config_static_selectorELNS0_4arch9wavefront6targetE1EEEvT1_
		.amdhsa_group_segment_fixed_size 0
		.amdhsa_private_segment_fixed_size 0
		.amdhsa_kernarg_size 136
		.amdhsa_user_sgpr_count 2
		.amdhsa_user_sgpr_dispatch_ptr 0
		.amdhsa_user_sgpr_queue_ptr 0
		.amdhsa_user_sgpr_kernarg_segment_ptr 1
		.amdhsa_user_sgpr_dispatch_id 0
		.amdhsa_user_sgpr_kernarg_preload_length 0
		.amdhsa_user_sgpr_kernarg_preload_offset 0
		.amdhsa_user_sgpr_private_segment_size 0
		.amdhsa_uses_dynamic_stack 0
		.amdhsa_enable_private_segment 0
		.amdhsa_system_sgpr_workgroup_id_x 1
		.amdhsa_system_sgpr_workgroup_id_y 0
		.amdhsa_system_sgpr_workgroup_id_z 0
		.amdhsa_system_sgpr_workgroup_info 0
		.amdhsa_system_vgpr_workitem_id 0
		.amdhsa_next_free_vgpr 1
		.amdhsa_next_free_sgpr 0
		.amdhsa_accum_offset 4
		.amdhsa_reserve_vcc 0
		.amdhsa_float_round_mode_32 0
		.amdhsa_float_round_mode_16_64 0
		.amdhsa_float_denorm_mode_32 3
		.amdhsa_float_denorm_mode_16_64 3
		.amdhsa_dx10_clamp 1
		.amdhsa_ieee_mode 1
		.amdhsa_fp16_overflow 0
		.amdhsa_tg_split 0
		.amdhsa_exception_fp_ieee_invalid_op 0
		.amdhsa_exception_fp_denorm_src 0
		.amdhsa_exception_fp_ieee_div_zero 0
		.amdhsa_exception_fp_ieee_overflow 0
		.amdhsa_exception_fp_ieee_underflow 0
		.amdhsa_exception_fp_ieee_inexact 0
		.amdhsa_exception_int_div_zero 0
	.end_amdhsa_kernel
	.section	.text._ZN7rocprim17ROCPRIM_400000_NS6detail17trampoline_kernelINS0_14default_configENS1_25partition_config_selectorILNS1_17partition_subalgoE0EiNS0_10empty_typeEbEEZZNS1_14partition_implILS5_0ELb0ES3_jN6thrust23THRUST_200600_302600_NS6detail15normal_iteratorINSA_10device_ptrIiEEEEPS6_SG_NS0_5tupleIJNSA_16discard_iteratorINSA_11use_defaultEEESK_EEENSH_IJSG_SG_EEES6_PlJ7is_evenIiEEEE10hipError_tPvRmT3_T4_T5_T6_T7_T9_mT8_P12ihipStream_tbDpT10_ENKUlT_T0_E_clISt17integral_constantIbLb0EES19_EEDaS14_S15_EUlS14_E_NS1_11comp_targetILNS1_3genE3ELNS1_11target_archE908ELNS1_3gpuE7ELNS1_3repE0EEENS1_30default_config_static_selectorELNS0_4arch9wavefront6targetE1EEEvT1_,"axG",@progbits,_ZN7rocprim17ROCPRIM_400000_NS6detail17trampoline_kernelINS0_14default_configENS1_25partition_config_selectorILNS1_17partition_subalgoE0EiNS0_10empty_typeEbEEZZNS1_14partition_implILS5_0ELb0ES3_jN6thrust23THRUST_200600_302600_NS6detail15normal_iteratorINSA_10device_ptrIiEEEEPS6_SG_NS0_5tupleIJNSA_16discard_iteratorINSA_11use_defaultEEESK_EEENSH_IJSG_SG_EEES6_PlJ7is_evenIiEEEE10hipError_tPvRmT3_T4_T5_T6_T7_T9_mT8_P12ihipStream_tbDpT10_ENKUlT_T0_E_clISt17integral_constantIbLb0EES19_EEDaS14_S15_EUlS14_E_NS1_11comp_targetILNS1_3genE3ELNS1_11target_archE908ELNS1_3gpuE7ELNS1_3repE0EEENS1_30default_config_static_selectorELNS0_4arch9wavefront6targetE1EEEvT1_,comdat
.Lfunc_end2686:
	.size	_ZN7rocprim17ROCPRIM_400000_NS6detail17trampoline_kernelINS0_14default_configENS1_25partition_config_selectorILNS1_17partition_subalgoE0EiNS0_10empty_typeEbEEZZNS1_14partition_implILS5_0ELb0ES3_jN6thrust23THRUST_200600_302600_NS6detail15normal_iteratorINSA_10device_ptrIiEEEEPS6_SG_NS0_5tupleIJNSA_16discard_iteratorINSA_11use_defaultEEESK_EEENSH_IJSG_SG_EEES6_PlJ7is_evenIiEEEE10hipError_tPvRmT3_T4_T5_T6_T7_T9_mT8_P12ihipStream_tbDpT10_ENKUlT_T0_E_clISt17integral_constantIbLb0EES19_EEDaS14_S15_EUlS14_E_NS1_11comp_targetILNS1_3genE3ELNS1_11target_archE908ELNS1_3gpuE7ELNS1_3repE0EEENS1_30default_config_static_selectorELNS0_4arch9wavefront6targetE1EEEvT1_, .Lfunc_end2686-_ZN7rocprim17ROCPRIM_400000_NS6detail17trampoline_kernelINS0_14default_configENS1_25partition_config_selectorILNS1_17partition_subalgoE0EiNS0_10empty_typeEbEEZZNS1_14partition_implILS5_0ELb0ES3_jN6thrust23THRUST_200600_302600_NS6detail15normal_iteratorINSA_10device_ptrIiEEEEPS6_SG_NS0_5tupleIJNSA_16discard_iteratorINSA_11use_defaultEEESK_EEENSH_IJSG_SG_EEES6_PlJ7is_evenIiEEEE10hipError_tPvRmT3_T4_T5_T6_T7_T9_mT8_P12ihipStream_tbDpT10_ENKUlT_T0_E_clISt17integral_constantIbLb0EES19_EEDaS14_S15_EUlS14_E_NS1_11comp_targetILNS1_3genE3ELNS1_11target_archE908ELNS1_3gpuE7ELNS1_3repE0EEENS1_30default_config_static_selectorELNS0_4arch9wavefront6targetE1EEEvT1_
                                        ; -- End function
	.section	.AMDGPU.csdata,"",@progbits
; Kernel info:
; codeLenInByte = 0
; NumSgprs: 6
; NumVgprs: 0
; NumAgprs: 0
; TotalNumVgprs: 0
; ScratchSize: 0
; MemoryBound: 0
; FloatMode: 240
; IeeeMode: 1
; LDSByteSize: 0 bytes/workgroup (compile time only)
; SGPRBlocks: 0
; VGPRBlocks: 0
; NumSGPRsForWavesPerEU: 6
; NumVGPRsForWavesPerEU: 1
; AccumOffset: 4
; Occupancy: 8
; WaveLimiterHint : 0
; COMPUTE_PGM_RSRC2:SCRATCH_EN: 0
; COMPUTE_PGM_RSRC2:USER_SGPR: 2
; COMPUTE_PGM_RSRC2:TRAP_HANDLER: 0
; COMPUTE_PGM_RSRC2:TGID_X_EN: 1
; COMPUTE_PGM_RSRC2:TGID_Y_EN: 0
; COMPUTE_PGM_RSRC2:TGID_Z_EN: 0
; COMPUTE_PGM_RSRC2:TIDIG_COMP_CNT: 0
; COMPUTE_PGM_RSRC3_GFX90A:ACCUM_OFFSET: 0
; COMPUTE_PGM_RSRC3_GFX90A:TG_SPLIT: 0
	.section	.text._ZN7rocprim17ROCPRIM_400000_NS6detail17trampoline_kernelINS0_14default_configENS1_25partition_config_selectorILNS1_17partition_subalgoE0EiNS0_10empty_typeEbEEZZNS1_14partition_implILS5_0ELb0ES3_jN6thrust23THRUST_200600_302600_NS6detail15normal_iteratorINSA_10device_ptrIiEEEEPS6_SG_NS0_5tupleIJNSA_16discard_iteratorINSA_11use_defaultEEESK_EEENSH_IJSG_SG_EEES6_PlJ7is_evenIiEEEE10hipError_tPvRmT3_T4_T5_T6_T7_T9_mT8_P12ihipStream_tbDpT10_ENKUlT_T0_E_clISt17integral_constantIbLb0EES19_EEDaS14_S15_EUlS14_E_NS1_11comp_targetILNS1_3genE2ELNS1_11target_archE906ELNS1_3gpuE6ELNS1_3repE0EEENS1_30default_config_static_selectorELNS0_4arch9wavefront6targetE1EEEvT1_,"axG",@progbits,_ZN7rocprim17ROCPRIM_400000_NS6detail17trampoline_kernelINS0_14default_configENS1_25partition_config_selectorILNS1_17partition_subalgoE0EiNS0_10empty_typeEbEEZZNS1_14partition_implILS5_0ELb0ES3_jN6thrust23THRUST_200600_302600_NS6detail15normal_iteratorINSA_10device_ptrIiEEEEPS6_SG_NS0_5tupleIJNSA_16discard_iteratorINSA_11use_defaultEEESK_EEENSH_IJSG_SG_EEES6_PlJ7is_evenIiEEEE10hipError_tPvRmT3_T4_T5_T6_T7_T9_mT8_P12ihipStream_tbDpT10_ENKUlT_T0_E_clISt17integral_constantIbLb0EES19_EEDaS14_S15_EUlS14_E_NS1_11comp_targetILNS1_3genE2ELNS1_11target_archE906ELNS1_3gpuE6ELNS1_3repE0EEENS1_30default_config_static_selectorELNS0_4arch9wavefront6targetE1EEEvT1_,comdat
	.protected	_ZN7rocprim17ROCPRIM_400000_NS6detail17trampoline_kernelINS0_14default_configENS1_25partition_config_selectorILNS1_17partition_subalgoE0EiNS0_10empty_typeEbEEZZNS1_14partition_implILS5_0ELb0ES3_jN6thrust23THRUST_200600_302600_NS6detail15normal_iteratorINSA_10device_ptrIiEEEEPS6_SG_NS0_5tupleIJNSA_16discard_iteratorINSA_11use_defaultEEESK_EEENSH_IJSG_SG_EEES6_PlJ7is_evenIiEEEE10hipError_tPvRmT3_T4_T5_T6_T7_T9_mT8_P12ihipStream_tbDpT10_ENKUlT_T0_E_clISt17integral_constantIbLb0EES19_EEDaS14_S15_EUlS14_E_NS1_11comp_targetILNS1_3genE2ELNS1_11target_archE906ELNS1_3gpuE6ELNS1_3repE0EEENS1_30default_config_static_selectorELNS0_4arch9wavefront6targetE1EEEvT1_ ; -- Begin function _ZN7rocprim17ROCPRIM_400000_NS6detail17trampoline_kernelINS0_14default_configENS1_25partition_config_selectorILNS1_17partition_subalgoE0EiNS0_10empty_typeEbEEZZNS1_14partition_implILS5_0ELb0ES3_jN6thrust23THRUST_200600_302600_NS6detail15normal_iteratorINSA_10device_ptrIiEEEEPS6_SG_NS0_5tupleIJNSA_16discard_iteratorINSA_11use_defaultEEESK_EEENSH_IJSG_SG_EEES6_PlJ7is_evenIiEEEE10hipError_tPvRmT3_T4_T5_T6_T7_T9_mT8_P12ihipStream_tbDpT10_ENKUlT_T0_E_clISt17integral_constantIbLb0EES19_EEDaS14_S15_EUlS14_E_NS1_11comp_targetILNS1_3genE2ELNS1_11target_archE906ELNS1_3gpuE6ELNS1_3repE0EEENS1_30default_config_static_selectorELNS0_4arch9wavefront6targetE1EEEvT1_
	.globl	_ZN7rocprim17ROCPRIM_400000_NS6detail17trampoline_kernelINS0_14default_configENS1_25partition_config_selectorILNS1_17partition_subalgoE0EiNS0_10empty_typeEbEEZZNS1_14partition_implILS5_0ELb0ES3_jN6thrust23THRUST_200600_302600_NS6detail15normal_iteratorINSA_10device_ptrIiEEEEPS6_SG_NS0_5tupleIJNSA_16discard_iteratorINSA_11use_defaultEEESK_EEENSH_IJSG_SG_EEES6_PlJ7is_evenIiEEEE10hipError_tPvRmT3_T4_T5_T6_T7_T9_mT8_P12ihipStream_tbDpT10_ENKUlT_T0_E_clISt17integral_constantIbLb0EES19_EEDaS14_S15_EUlS14_E_NS1_11comp_targetILNS1_3genE2ELNS1_11target_archE906ELNS1_3gpuE6ELNS1_3repE0EEENS1_30default_config_static_selectorELNS0_4arch9wavefront6targetE1EEEvT1_
	.p2align	8
	.type	_ZN7rocprim17ROCPRIM_400000_NS6detail17trampoline_kernelINS0_14default_configENS1_25partition_config_selectorILNS1_17partition_subalgoE0EiNS0_10empty_typeEbEEZZNS1_14partition_implILS5_0ELb0ES3_jN6thrust23THRUST_200600_302600_NS6detail15normal_iteratorINSA_10device_ptrIiEEEEPS6_SG_NS0_5tupleIJNSA_16discard_iteratorINSA_11use_defaultEEESK_EEENSH_IJSG_SG_EEES6_PlJ7is_evenIiEEEE10hipError_tPvRmT3_T4_T5_T6_T7_T9_mT8_P12ihipStream_tbDpT10_ENKUlT_T0_E_clISt17integral_constantIbLb0EES19_EEDaS14_S15_EUlS14_E_NS1_11comp_targetILNS1_3genE2ELNS1_11target_archE906ELNS1_3gpuE6ELNS1_3repE0EEENS1_30default_config_static_selectorELNS0_4arch9wavefront6targetE1EEEvT1_,@function
_ZN7rocprim17ROCPRIM_400000_NS6detail17trampoline_kernelINS0_14default_configENS1_25partition_config_selectorILNS1_17partition_subalgoE0EiNS0_10empty_typeEbEEZZNS1_14partition_implILS5_0ELb0ES3_jN6thrust23THRUST_200600_302600_NS6detail15normal_iteratorINSA_10device_ptrIiEEEEPS6_SG_NS0_5tupleIJNSA_16discard_iteratorINSA_11use_defaultEEESK_EEENSH_IJSG_SG_EEES6_PlJ7is_evenIiEEEE10hipError_tPvRmT3_T4_T5_T6_T7_T9_mT8_P12ihipStream_tbDpT10_ENKUlT_T0_E_clISt17integral_constantIbLb0EES19_EEDaS14_S15_EUlS14_E_NS1_11comp_targetILNS1_3genE2ELNS1_11target_archE906ELNS1_3gpuE6ELNS1_3repE0EEENS1_30default_config_static_selectorELNS0_4arch9wavefront6targetE1EEEvT1_: ; @_ZN7rocprim17ROCPRIM_400000_NS6detail17trampoline_kernelINS0_14default_configENS1_25partition_config_selectorILNS1_17partition_subalgoE0EiNS0_10empty_typeEbEEZZNS1_14partition_implILS5_0ELb0ES3_jN6thrust23THRUST_200600_302600_NS6detail15normal_iteratorINSA_10device_ptrIiEEEEPS6_SG_NS0_5tupleIJNSA_16discard_iteratorINSA_11use_defaultEEESK_EEENSH_IJSG_SG_EEES6_PlJ7is_evenIiEEEE10hipError_tPvRmT3_T4_T5_T6_T7_T9_mT8_P12ihipStream_tbDpT10_ENKUlT_T0_E_clISt17integral_constantIbLb0EES19_EEDaS14_S15_EUlS14_E_NS1_11comp_targetILNS1_3genE2ELNS1_11target_archE906ELNS1_3gpuE6ELNS1_3repE0EEENS1_30default_config_static_selectorELNS0_4arch9wavefront6targetE1EEEvT1_
; %bb.0:
	.section	.rodata,"a",@progbits
	.p2align	6, 0x0
	.amdhsa_kernel _ZN7rocprim17ROCPRIM_400000_NS6detail17trampoline_kernelINS0_14default_configENS1_25partition_config_selectorILNS1_17partition_subalgoE0EiNS0_10empty_typeEbEEZZNS1_14partition_implILS5_0ELb0ES3_jN6thrust23THRUST_200600_302600_NS6detail15normal_iteratorINSA_10device_ptrIiEEEEPS6_SG_NS0_5tupleIJNSA_16discard_iteratorINSA_11use_defaultEEESK_EEENSH_IJSG_SG_EEES6_PlJ7is_evenIiEEEE10hipError_tPvRmT3_T4_T5_T6_T7_T9_mT8_P12ihipStream_tbDpT10_ENKUlT_T0_E_clISt17integral_constantIbLb0EES19_EEDaS14_S15_EUlS14_E_NS1_11comp_targetILNS1_3genE2ELNS1_11target_archE906ELNS1_3gpuE6ELNS1_3repE0EEENS1_30default_config_static_selectorELNS0_4arch9wavefront6targetE1EEEvT1_
		.amdhsa_group_segment_fixed_size 0
		.amdhsa_private_segment_fixed_size 0
		.amdhsa_kernarg_size 136
		.amdhsa_user_sgpr_count 2
		.amdhsa_user_sgpr_dispatch_ptr 0
		.amdhsa_user_sgpr_queue_ptr 0
		.amdhsa_user_sgpr_kernarg_segment_ptr 1
		.amdhsa_user_sgpr_dispatch_id 0
		.amdhsa_user_sgpr_kernarg_preload_length 0
		.amdhsa_user_sgpr_kernarg_preload_offset 0
		.amdhsa_user_sgpr_private_segment_size 0
		.amdhsa_uses_dynamic_stack 0
		.amdhsa_enable_private_segment 0
		.amdhsa_system_sgpr_workgroup_id_x 1
		.amdhsa_system_sgpr_workgroup_id_y 0
		.amdhsa_system_sgpr_workgroup_id_z 0
		.amdhsa_system_sgpr_workgroup_info 0
		.amdhsa_system_vgpr_workitem_id 0
		.amdhsa_next_free_vgpr 1
		.amdhsa_next_free_sgpr 0
		.amdhsa_accum_offset 4
		.amdhsa_reserve_vcc 0
		.amdhsa_float_round_mode_32 0
		.amdhsa_float_round_mode_16_64 0
		.amdhsa_float_denorm_mode_32 3
		.amdhsa_float_denorm_mode_16_64 3
		.amdhsa_dx10_clamp 1
		.amdhsa_ieee_mode 1
		.amdhsa_fp16_overflow 0
		.amdhsa_tg_split 0
		.amdhsa_exception_fp_ieee_invalid_op 0
		.amdhsa_exception_fp_denorm_src 0
		.amdhsa_exception_fp_ieee_div_zero 0
		.amdhsa_exception_fp_ieee_overflow 0
		.amdhsa_exception_fp_ieee_underflow 0
		.amdhsa_exception_fp_ieee_inexact 0
		.amdhsa_exception_int_div_zero 0
	.end_amdhsa_kernel
	.section	.text._ZN7rocprim17ROCPRIM_400000_NS6detail17trampoline_kernelINS0_14default_configENS1_25partition_config_selectorILNS1_17partition_subalgoE0EiNS0_10empty_typeEbEEZZNS1_14partition_implILS5_0ELb0ES3_jN6thrust23THRUST_200600_302600_NS6detail15normal_iteratorINSA_10device_ptrIiEEEEPS6_SG_NS0_5tupleIJNSA_16discard_iteratorINSA_11use_defaultEEESK_EEENSH_IJSG_SG_EEES6_PlJ7is_evenIiEEEE10hipError_tPvRmT3_T4_T5_T6_T7_T9_mT8_P12ihipStream_tbDpT10_ENKUlT_T0_E_clISt17integral_constantIbLb0EES19_EEDaS14_S15_EUlS14_E_NS1_11comp_targetILNS1_3genE2ELNS1_11target_archE906ELNS1_3gpuE6ELNS1_3repE0EEENS1_30default_config_static_selectorELNS0_4arch9wavefront6targetE1EEEvT1_,"axG",@progbits,_ZN7rocprim17ROCPRIM_400000_NS6detail17trampoline_kernelINS0_14default_configENS1_25partition_config_selectorILNS1_17partition_subalgoE0EiNS0_10empty_typeEbEEZZNS1_14partition_implILS5_0ELb0ES3_jN6thrust23THRUST_200600_302600_NS6detail15normal_iteratorINSA_10device_ptrIiEEEEPS6_SG_NS0_5tupleIJNSA_16discard_iteratorINSA_11use_defaultEEESK_EEENSH_IJSG_SG_EEES6_PlJ7is_evenIiEEEE10hipError_tPvRmT3_T4_T5_T6_T7_T9_mT8_P12ihipStream_tbDpT10_ENKUlT_T0_E_clISt17integral_constantIbLb0EES19_EEDaS14_S15_EUlS14_E_NS1_11comp_targetILNS1_3genE2ELNS1_11target_archE906ELNS1_3gpuE6ELNS1_3repE0EEENS1_30default_config_static_selectorELNS0_4arch9wavefront6targetE1EEEvT1_,comdat
.Lfunc_end2687:
	.size	_ZN7rocprim17ROCPRIM_400000_NS6detail17trampoline_kernelINS0_14default_configENS1_25partition_config_selectorILNS1_17partition_subalgoE0EiNS0_10empty_typeEbEEZZNS1_14partition_implILS5_0ELb0ES3_jN6thrust23THRUST_200600_302600_NS6detail15normal_iteratorINSA_10device_ptrIiEEEEPS6_SG_NS0_5tupleIJNSA_16discard_iteratorINSA_11use_defaultEEESK_EEENSH_IJSG_SG_EEES6_PlJ7is_evenIiEEEE10hipError_tPvRmT3_T4_T5_T6_T7_T9_mT8_P12ihipStream_tbDpT10_ENKUlT_T0_E_clISt17integral_constantIbLb0EES19_EEDaS14_S15_EUlS14_E_NS1_11comp_targetILNS1_3genE2ELNS1_11target_archE906ELNS1_3gpuE6ELNS1_3repE0EEENS1_30default_config_static_selectorELNS0_4arch9wavefront6targetE1EEEvT1_, .Lfunc_end2687-_ZN7rocprim17ROCPRIM_400000_NS6detail17trampoline_kernelINS0_14default_configENS1_25partition_config_selectorILNS1_17partition_subalgoE0EiNS0_10empty_typeEbEEZZNS1_14partition_implILS5_0ELb0ES3_jN6thrust23THRUST_200600_302600_NS6detail15normal_iteratorINSA_10device_ptrIiEEEEPS6_SG_NS0_5tupleIJNSA_16discard_iteratorINSA_11use_defaultEEESK_EEENSH_IJSG_SG_EEES6_PlJ7is_evenIiEEEE10hipError_tPvRmT3_T4_T5_T6_T7_T9_mT8_P12ihipStream_tbDpT10_ENKUlT_T0_E_clISt17integral_constantIbLb0EES19_EEDaS14_S15_EUlS14_E_NS1_11comp_targetILNS1_3genE2ELNS1_11target_archE906ELNS1_3gpuE6ELNS1_3repE0EEENS1_30default_config_static_selectorELNS0_4arch9wavefront6targetE1EEEvT1_
                                        ; -- End function
	.section	.AMDGPU.csdata,"",@progbits
; Kernel info:
; codeLenInByte = 0
; NumSgprs: 6
; NumVgprs: 0
; NumAgprs: 0
; TotalNumVgprs: 0
; ScratchSize: 0
; MemoryBound: 0
; FloatMode: 240
; IeeeMode: 1
; LDSByteSize: 0 bytes/workgroup (compile time only)
; SGPRBlocks: 0
; VGPRBlocks: 0
; NumSGPRsForWavesPerEU: 6
; NumVGPRsForWavesPerEU: 1
; AccumOffset: 4
; Occupancy: 8
; WaveLimiterHint : 0
; COMPUTE_PGM_RSRC2:SCRATCH_EN: 0
; COMPUTE_PGM_RSRC2:USER_SGPR: 2
; COMPUTE_PGM_RSRC2:TRAP_HANDLER: 0
; COMPUTE_PGM_RSRC2:TGID_X_EN: 1
; COMPUTE_PGM_RSRC2:TGID_Y_EN: 0
; COMPUTE_PGM_RSRC2:TGID_Z_EN: 0
; COMPUTE_PGM_RSRC2:TIDIG_COMP_CNT: 0
; COMPUTE_PGM_RSRC3_GFX90A:ACCUM_OFFSET: 0
; COMPUTE_PGM_RSRC3_GFX90A:TG_SPLIT: 0
	.section	.text._ZN7rocprim17ROCPRIM_400000_NS6detail17trampoline_kernelINS0_14default_configENS1_25partition_config_selectorILNS1_17partition_subalgoE0EiNS0_10empty_typeEbEEZZNS1_14partition_implILS5_0ELb0ES3_jN6thrust23THRUST_200600_302600_NS6detail15normal_iteratorINSA_10device_ptrIiEEEEPS6_SG_NS0_5tupleIJNSA_16discard_iteratorINSA_11use_defaultEEESK_EEENSH_IJSG_SG_EEES6_PlJ7is_evenIiEEEE10hipError_tPvRmT3_T4_T5_T6_T7_T9_mT8_P12ihipStream_tbDpT10_ENKUlT_T0_E_clISt17integral_constantIbLb0EES19_EEDaS14_S15_EUlS14_E_NS1_11comp_targetILNS1_3genE10ELNS1_11target_archE1200ELNS1_3gpuE4ELNS1_3repE0EEENS1_30default_config_static_selectorELNS0_4arch9wavefront6targetE1EEEvT1_,"axG",@progbits,_ZN7rocprim17ROCPRIM_400000_NS6detail17trampoline_kernelINS0_14default_configENS1_25partition_config_selectorILNS1_17partition_subalgoE0EiNS0_10empty_typeEbEEZZNS1_14partition_implILS5_0ELb0ES3_jN6thrust23THRUST_200600_302600_NS6detail15normal_iteratorINSA_10device_ptrIiEEEEPS6_SG_NS0_5tupleIJNSA_16discard_iteratorINSA_11use_defaultEEESK_EEENSH_IJSG_SG_EEES6_PlJ7is_evenIiEEEE10hipError_tPvRmT3_T4_T5_T6_T7_T9_mT8_P12ihipStream_tbDpT10_ENKUlT_T0_E_clISt17integral_constantIbLb0EES19_EEDaS14_S15_EUlS14_E_NS1_11comp_targetILNS1_3genE10ELNS1_11target_archE1200ELNS1_3gpuE4ELNS1_3repE0EEENS1_30default_config_static_selectorELNS0_4arch9wavefront6targetE1EEEvT1_,comdat
	.protected	_ZN7rocprim17ROCPRIM_400000_NS6detail17trampoline_kernelINS0_14default_configENS1_25partition_config_selectorILNS1_17partition_subalgoE0EiNS0_10empty_typeEbEEZZNS1_14partition_implILS5_0ELb0ES3_jN6thrust23THRUST_200600_302600_NS6detail15normal_iteratorINSA_10device_ptrIiEEEEPS6_SG_NS0_5tupleIJNSA_16discard_iteratorINSA_11use_defaultEEESK_EEENSH_IJSG_SG_EEES6_PlJ7is_evenIiEEEE10hipError_tPvRmT3_T4_T5_T6_T7_T9_mT8_P12ihipStream_tbDpT10_ENKUlT_T0_E_clISt17integral_constantIbLb0EES19_EEDaS14_S15_EUlS14_E_NS1_11comp_targetILNS1_3genE10ELNS1_11target_archE1200ELNS1_3gpuE4ELNS1_3repE0EEENS1_30default_config_static_selectorELNS0_4arch9wavefront6targetE1EEEvT1_ ; -- Begin function _ZN7rocprim17ROCPRIM_400000_NS6detail17trampoline_kernelINS0_14default_configENS1_25partition_config_selectorILNS1_17partition_subalgoE0EiNS0_10empty_typeEbEEZZNS1_14partition_implILS5_0ELb0ES3_jN6thrust23THRUST_200600_302600_NS6detail15normal_iteratorINSA_10device_ptrIiEEEEPS6_SG_NS0_5tupleIJNSA_16discard_iteratorINSA_11use_defaultEEESK_EEENSH_IJSG_SG_EEES6_PlJ7is_evenIiEEEE10hipError_tPvRmT3_T4_T5_T6_T7_T9_mT8_P12ihipStream_tbDpT10_ENKUlT_T0_E_clISt17integral_constantIbLb0EES19_EEDaS14_S15_EUlS14_E_NS1_11comp_targetILNS1_3genE10ELNS1_11target_archE1200ELNS1_3gpuE4ELNS1_3repE0EEENS1_30default_config_static_selectorELNS0_4arch9wavefront6targetE1EEEvT1_
	.globl	_ZN7rocprim17ROCPRIM_400000_NS6detail17trampoline_kernelINS0_14default_configENS1_25partition_config_selectorILNS1_17partition_subalgoE0EiNS0_10empty_typeEbEEZZNS1_14partition_implILS5_0ELb0ES3_jN6thrust23THRUST_200600_302600_NS6detail15normal_iteratorINSA_10device_ptrIiEEEEPS6_SG_NS0_5tupleIJNSA_16discard_iteratorINSA_11use_defaultEEESK_EEENSH_IJSG_SG_EEES6_PlJ7is_evenIiEEEE10hipError_tPvRmT3_T4_T5_T6_T7_T9_mT8_P12ihipStream_tbDpT10_ENKUlT_T0_E_clISt17integral_constantIbLb0EES19_EEDaS14_S15_EUlS14_E_NS1_11comp_targetILNS1_3genE10ELNS1_11target_archE1200ELNS1_3gpuE4ELNS1_3repE0EEENS1_30default_config_static_selectorELNS0_4arch9wavefront6targetE1EEEvT1_
	.p2align	8
	.type	_ZN7rocprim17ROCPRIM_400000_NS6detail17trampoline_kernelINS0_14default_configENS1_25partition_config_selectorILNS1_17partition_subalgoE0EiNS0_10empty_typeEbEEZZNS1_14partition_implILS5_0ELb0ES3_jN6thrust23THRUST_200600_302600_NS6detail15normal_iteratorINSA_10device_ptrIiEEEEPS6_SG_NS0_5tupleIJNSA_16discard_iteratorINSA_11use_defaultEEESK_EEENSH_IJSG_SG_EEES6_PlJ7is_evenIiEEEE10hipError_tPvRmT3_T4_T5_T6_T7_T9_mT8_P12ihipStream_tbDpT10_ENKUlT_T0_E_clISt17integral_constantIbLb0EES19_EEDaS14_S15_EUlS14_E_NS1_11comp_targetILNS1_3genE10ELNS1_11target_archE1200ELNS1_3gpuE4ELNS1_3repE0EEENS1_30default_config_static_selectorELNS0_4arch9wavefront6targetE1EEEvT1_,@function
_ZN7rocprim17ROCPRIM_400000_NS6detail17trampoline_kernelINS0_14default_configENS1_25partition_config_selectorILNS1_17partition_subalgoE0EiNS0_10empty_typeEbEEZZNS1_14partition_implILS5_0ELb0ES3_jN6thrust23THRUST_200600_302600_NS6detail15normal_iteratorINSA_10device_ptrIiEEEEPS6_SG_NS0_5tupleIJNSA_16discard_iteratorINSA_11use_defaultEEESK_EEENSH_IJSG_SG_EEES6_PlJ7is_evenIiEEEE10hipError_tPvRmT3_T4_T5_T6_T7_T9_mT8_P12ihipStream_tbDpT10_ENKUlT_T0_E_clISt17integral_constantIbLb0EES19_EEDaS14_S15_EUlS14_E_NS1_11comp_targetILNS1_3genE10ELNS1_11target_archE1200ELNS1_3gpuE4ELNS1_3repE0EEENS1_30default_config_static_selectorELNS0_4arch9wavefront6targetE1EEEvT1_: ; @_ZN7rocprim17ROCPRIM_400000_NS6detail17trampoline_kernelINS0_14default_configENS1_25partition_config_selectorILNS1_17partition_subalgoE0EiNS0_10empty_typeEbEEZZNS1_14partition_implILS5_0ELb0ES3_jN6thrust23THRUST_200600_302600_NS6detail15normal_iteratorINSA_10device_ptrIiEEEEPS6_SG_NS0_5tupleIJNSA_16discard_iteratorINSA_11use_defaultEEESK_EEENSH_IJSG_SG_EEES6_PlJ7is_evenIiEEEE10hipError_tPvRmT3_T4_T5_T6_T7_T9_mT8_P12ihipStream_tbDpT10_ENKUlT_T0_E_clISt17integral_constantIbLb0EES19_EEDaS14_S15_EUlS14_E_NS1_11comp_targetILNS1_3genE10ELNS1_11target_archE1200ELNS1_3gpuE4ELNS1_3repE0EEENS1_30default_config_static_selectorELNS0_4arch9wavefront6targetE1EEEvT1_
; %bb.0:
	.section	.rodata,"a",@progbits
	.p2align	6, 0x0
	.amdhsa_kernel _ZN7rocprim17ROCPRIM_400000_NS6detail17trampoline_kernelINS0_14default_configENS1_25partition_config_selectorILNS1_17partition_subalgoE0EiNS0_10empty_typeEbEEZZNS1_14partition_implILS5_0ELb0ES3_jN6thrust23THRUST_200600_302600_NS6detail15normal_iteratorINSA_10device_ptrIiEEEEPS6_SG_NS0_5tupleIJNSA_16discard_iteratorINSA_11use_defaultEEESK_EEENSH_IJSG_SG_EEES6_PlJ7is_evenIiEEEE10hipError_tPvRmT3_T4_T5_T6_T7_T9_mT8_P12ihipStream_tbDpT10_ENKUlT_T0_E_clISt17integral_constantIbLb0EES19_EEDaS14_S15_EUlS14_E_NS1_11comp_targetILNS1_3genE10ELNS1_11target_archE1200ELNS1_3gpuE4ELNS1_3repE0EEENS1_30default_config_static_selectorELNS0_4arch9wavefront6targetE1EEEvT1_
		.amdhsa_group_segment_fixed_size 0
		.amdhsa_private_segment_fixed_size 0
		.amdhsa_kernarg_size 136
		.amdhsa_user_sgpr_count 2
		.amdhsa_user_sgpr_dispatch_ptr 0
		.amdhsa_user_sgpr_queue_ptr 0
		.amdhsa_user_sgpr_kernarg_segment_ptr 1
		.amdhsa_user_sgpr_dispatch_id 0
		.amdhsa_user_sgpr_kernarg_preload_length 0
		.amdhsa_user_sgpr_kernarg_preload_offset 0
		.amdhsa_user_sgpr_private_segment_size 0
		.amdhsa_uses_dynamic_stack 0
		.amdhsa_enable_private_segment 0
		.amdhsa_system_sgpr_workgroup_id_x 1
		.amdhsa_system_sgpr_workgroup_id_y 0
		.amdhsa_system_sgpr_workgroup_id_z 0
		.amdhsa_system_sgpr_workgroup_info 0
		.amdhsa_system_vgpr_workitem_id 0
		.amdhsa_next_free_vgpr 1
		.amdhsa_next_free_sgpr 0
		.amdhsa_accum_offset 4
		.amdhsa_reserve_vcc 0
		.amdhsa_float_round_mode_32 0
		.amdhsa_float_round_mode_16_64 0
		.amdhsa_float_denorm_mode_32 3
		.amdhsa_float_denorm_mode_16_64 3
		.amdhsa_dx10_clamp 1
		.amdhsa_ieee_mode 1
		.amdhsa_fp16_overflow 0
		.amdhsa_tg_split 0
		.amdhsa_exception_fp_ieee_invalid_op 0
		.amdhsa_exception_fp_denorm_src 0
		.amdhsa_exception_fp_ieee_div_zero 0
		.amdhsa_exception_fp_ieee_overflow 0
		.amdhsa_exception_fp_ieee_underflow 0
		.amdhsa_exception_fp_ieee_inexact 0
		.amdhsa_exception_int_div_zero 0
	.end_amdhsa_kernel
	.section	.text._ZN7rocprim17ROCPRIM_400000_NS6detail17trampoline_kernelINS0_14default_configENS1_25partition_config_selectorILNS1_17partition_subalgoE0EiNS0_10empty_typeEbEEZZNS1_14partition_implILS5_0ELb0ES3_jN6thrust23THRUST_200600_302600_NS6detail15normal_iteratorINSA_10device_ptrIiEEEEPS6_SG_NS0_5tupleIJNSA_16discard_iteratorINSA_11use_defaultEEESK_EEENSH_IJSG_SG_EEES6_PlJ7is_evenIiEEEE10hipError_tPvRmT3_T4_T5_T6_T7_T9_mT8_P12ihipStream_tbDpT10_ENKUlT_T0_E_clISt17integral_constantIbLb0EES19_EEDaS14_S15_EUlS14_E_NS1_11comp_targetILNS1_3genE10ELNS1_11target_archE1200ELNS1_3gpuE4ELNS1_3repE0EEENS1_30default_config_static_selectorELNS0_4arch9wavefront6targetE1EEEvT1_,"axG",@progbits,_ZN7rocprim17ROCPRIM_400000_NS6detail17trampoline_kernelINS0_14default_configENS1_25partition_config_selectorILNS1_17partition_subalgoE0EiNS0_10empty_typeEbEEZZNS1_14partition_implILS5_0ELb0ES3_jN6thrust23THRUST_200600_302600_NS6detail15normal_iteratorINSA_10device_ptrIiEEEEPS6_SG_NS0_5tupleIJNSA_16discard_iteratorINSA_11use_defaultEEESK_EEENSH_IJSG_SG_EEES6_PlJ7is_evenIiEEEE10hipError_tPvRmT3_T4_T5_T6_T7_T9_mT8_P12ihipStream_tbDpT10_ENKUlT_T0_E_clISt17integral_constantIbLb0EES19_EEDaS14_S15_EUlS14_E_NS1_11comp_targetILNS1_3genE10ELNS1_11target_archE1200ELNS1_3gpuE4ELNS1_3repE0EEENS1_30default_config_static_selectorELNS0_4arch9wavefront6targetE1EEEvT1_,comdat
.Lfunc_end2688:
	.size	_ZN7rocprim17ROCPRIM_400000_NS6detail17trampoline_kernelINS0_14default_configENS1_25partition_config_selectorILNS1_17partition_subalgoE0EiNS0_10empty_typeEbEEZZNS1_14partition_implILS5_0ELb0ES3_jN6thrust23THRUST_200600_302600_NS6detail15normal_iteratorINSA_10device_ptrIiEEEEPS6_SG_NS0_5tupleIJNSA_16discard_iteratorINSA_11use_defaultEEESK_EEENSH_IJSG_SG_EEES6_PlJ7is_evenIiEEEE10hipError_tPvRmT3_T4_T5_T6_T7_T9_mT8_P12ihipStream_tbDpT10_ENKUlT_T0_E_clISt17integral_constantIbLb0EES19_EEDaS14_S15_EUlS14_E_NS1_11comp_targetILNS1_3genE10ELNS1_11target_archE1200ELNS1_3gpuE4ELNS1_3repE0EEENS1_30default_config_static_selectorELNS0_4arch9wavefront6targetE1EEEvT1_, .Lfunc_end2688-_ZN7rocprim17ROCPRIM_400000_NS6detail17trampoline_kernelINS0_14default_configENS1_25partition_config_selectorILNS1_17partition_subalgoE0EiNS0_10empty_typeEbEEZZNS1_14partition_implILS5_0ELb0ES3_jN6thrust23THRUST_200600_302600_NS6detail15normal_iteratorINSA_10device_ptrIiEEEEPS6_SG_NS0_5tupleIJNSA_16discard_iteratorINSA_11use_defaultEEESK_EEENSH_IJSG_SG_EEES6_PlJ7is_evenIiEEEE10hipError_tPvRmT3_T4_T5_T6_T7_T9_mT8_P12ihipStream_tbDpT10_ENKUlT_T0_E_clISt17integral_constantIbLb0EES19_EEDaS14_S15_EUlS14_E_NS1_11comp_targetILNS1_3genE10ELNS1_11target_archE1200ELNS1_3gpuE4ELNS1_3repE0EEENS1_30default_config_static_selectorELNS0_4arch9wavefront6targetE1EEEvT1_
                                        ; -- End function
	.section	.AMDGPU.csdata,"",@progbits
; Kernel info:
; codeLenInByte = 0
; NumSgprs: 6
; NumVgprs: 0
; NumAgprs: 0
; TotalNumVgprs: 0
; ScratchSize: 0
; MemoryBound: 0
; FloatMode: 240
; IeeeMode: 1
; LDSByteSize: 0 bytes/workgroup (compile time only)
; SGPRBlocks: 0
; VGPRBlocks: 0
; NumSGPRsForWavesPerEU: 6
; NumVGPRsForWavesPerEU: 1
; AccumOffset: 4
; Occupancy: 8
; WaveLimiterHint : 0
; COMPUTE_PGM_RSRC2:SCRATCH_EN: 0
; COMPUTE_PGM_RSRC2:USER_SGPR: 2
; COMPUTE_PGM_RSRC2:TRAP_HANDLER: 0
; COMPUTE_PGM_RSRC2:TGID_X_EN: 1
; COMPUTE_PGM_RSRC2:TGID_Y_EN: 0
; COMPUTE_PGM_RSRC2:TGID_Z_EN: 0
; COMPUTE_PGM_RSRC2:TIDIG_COMP_CNT: 0
; COMPUTE_PGM_RSRC3_GFX90A:ACCUM_OFFSET: 0
; COMPUTE_PGM_RSRC3_GFX90A:TG_SPLIT: 0
	.section	.text._ZN7rocprim17ROCPRIM_400000_NS6detail17trampoline_kernelINS0_14default_configENS1_25partition_config_selectorILNS1_17partition_subalgoE0EiNS0_10empty_typeEbEEZZNS1_14partition_implILS5_0ELb0ES3_jN6thrust23THRUST_200600_302600_NS6detail15normal_iteratorINSA_10device_ptrIiEEEEPS6_SG_NS0_5tupleIJNSA_16discard_iteratorINSA_11use_defaultEEESK_EEENSH_IJSG_SG_EEES6_PlJ7is_evenIiEEEE10hipError_tPvRmT3_T4_T5_T6_T7_T9_mT8_P12ihipStream_tbDpT10_ENKUlT_T0_E_clISt17integral_constantIbLb0EES19_EEDaS14_S15_EUlS14_E_NS1_11comp_targetILNS1_3genE9ELNS1_11target_archE1100ELNS1_3gpuE3ELNS1_3repE0EEENS1_30default_config_static_selectorELNS0_4arch9wavefront6targetE1EEEvT1_,"axG",@progbits,_ZN7rocprim17ROCPRIM_400000_NS6detail17trampoline_kernelINS0_14default_configENS1_25partition_config_selectorILNS1_17partition_subalgoE0EiNS0_10empty_typeEbEEZZNS1_14partition_implILS5_0ELb0ES3_jN6thrust23THRUST_200600_302600_NS6detail15normal_iteratorINSA_10device_ptrIiEEEEPS6_SG_NS0_5tupleIJNSA_16discard_iteratorINSA_11use_defaultEEESK_EEENSH_IJSG_SG_EEES6_PlJ7is_evenIiEEEE10hipError_tPvRmT3_T4_T5_T6_T7_T9_mT8_P12ihipStream_tbDpT10_ENKUlT_T0_E_clISt17integral_constantIbLb0EES19_EEDaS14_S15_EUlS14_E_NS1_11comp_targetILNS1_3genE9ELNS1_11target_archE1100ELNS1_3gpuE3ELNS1_3repE0EEENS1_30default_config_static_selectorELNS0_4arch9wavefront6targetE1EEEvT1_,comdat
	.protected	_ZN7rocprim17ROCPRIM_400000_NS6detail17trampoline_kernelINS0_14default_configENS1_25partition_config_selectorILNS1_17partition_subalgoE0EiNS0_10empty_typeEbEEZZNS1_14partition_implILS5_0ELb0ES3_jN6thrust23THRUST_200600_302600_NS6detail15normal_iteratorINSA_10device_ptrIiEEEEPS6_SG_NS0_5tupleIJNSA_16discard_iteratorINSA_11use_defaultEEESK_EEENSH_IJSG_SG_EEES6_PlJ7is_evenIiEEEE10hipError_tPvRmT3_T4_T5_T6_T7_T9_mT8_P12ihipStream_tbDpT10_ENKUlT_T0_E_clISt17integral_constantIbLb0EES19_EEDaS14_S15_EUlS14_E_NS1_11comp_targetILNS1_3genE9ELNS1_11target_archE1100ELNS1_3gpuE3ELNS1_3repE0EEENS1_30default_config_static_selectorELNS0_4arch9wavefront6targetE1EEEvT1_ ; -- Begin function _ZN7rocprim17ROCPRIM_400000_NS6detail17trampoline_kernelINS0_14default_configENS1_25partition_config_selectorILNS1_17partition_subalgoE0EiNS0_10empty_typeEbEEZZNS1_14partition_implILS5_0ELb0ES3_jN6thrust23THRUST_200600_302600_NS6detail15normal_iteratorINSA_10device_ptrIiEEEEPS6_SG_NS0_5tupleIJNSA_16discard_iteratorINSA_11use_defaultEEESK_EEENSH_IJSG_SG_EEES6_PlJ7is_evenIiEEEE10hipError_tPvRmT3_T4_T5_T6_T7_T9_mT8_P12ihipStream_tbDpT10_ENKUlT_T0_E_clISt17integral_constantIbLb0EES19_EEDaS14_S15_EUlS14_E_NS1_11comp_targetILNS1_3genE9ELNS1_11target_archE1100ELNS1_3gpuE3ELNS1_3repE0EEENS1_30default_config_static_selectorELNS0_4arch9wavefront6targetE1EEEvT1_
	.globl	_ZN7rocprim17ROCPRIM_400000_NS6detail17trampoline_kernelINS0_14default_configENS1_25partition_config_selectorILNS1_17partition_subalgoE0EiNS0_10empty_typeEbEEZZNS1_14partition_implILS5_0ELb0ES3_jN6thrust23THRUST_200600_302600_NS6detail15normal_iteratorINSA_10device_ptrIiEEEEPS6_SG_NS0_5tupleIJNSA_16discard_iteratorINSA_11use_defaultEEESK_EEENSH_IJSG_SG_EEES6_PlJ7is_evenIiEEEE10hipError_tPvRmT3_T4_T5_T6_T7_T9_mT8_P12ihipStream_tbDpT10_ENKUlT_T0_E_clISt17integral_constantIbLb0EES19_EEDaS14_S15_EUlS14_E_NS1_11comp_targetILNS1_3genE9ELNS1_11target_archE1100ELNS1_3gpuE3ELNS1_3repE0EEENS1_30default_config_static_selectorELNS0_4arch9wavefront6targetE1EEEvT1_
	.p2align	8
	.type	_ZN7rocprim17ROCPRIM_400000_NS6detail17trampoline_kernelINS0_14default_configENS1_25partition_config_selectorILNS1_17partition_subalgoE0EiNS0_10empty_typeEbEEZZNS1_14partition_implILS5_0ELb0ES3_jN6thrust23THRUST_200600_302600_NS6detail15normal_iteratorINSA_10device_ptrIiEEEEPS6_SG_NS0_5tupleIJNSA_16discard_iteratorINSA_11use_defaultEEESK_EEENSH_IJSG_SG_EEES6_PlJ7is_evenIiEEEE10hipError_tPvRmT3_T4_T5_T6_T7_T9_mT8_P12ihipStream_tbDpT10_ENKUlT_T0_E_clISt17integral_constantIbLb0EES19_EEDaS14_S15_EUlS14_E_NS1_11comp_targetILNS1_3genE9ELNS1_11target_archE1100ELNS1_3gpuE3ELNS1_3repE0EEENS1_30default_config_static_selectorELNS0_4arch9wavefront6targetE1EEEvT1_,@function
_ZN7rocprim17ROCPRIM_400000_NS6detail17trampoline_kernelINS0_14default_configENS1_25partition_config_selectorILNS1_17partition_subalgoE0EiNS0_10empty_typeEbEEZZNS1_14partition_implILS5_0ELb0ES3_jN6thrust23THRUST_200600_302600_NS6detail15normal_iteratorINSA_10device_ptrIiEEEEPS6_SG_NS0_5tupleIJNSA_16discard_iteratorINSA_11use_defaultEEESK_EEENSH_IJSG_SG_EEES6_PlJ7is_evenIiEEEE10hipError_tPvRmT3_T4_T5_T6_T7_T9_mT8_P12ihipStream_tbDpT10_ENKUlT_T0_E_clISt17integral_constantIbLb0EES19_EEDaS14_S15_EUlS14_E_NS1_11comp_targetILNS1_3genE9ELNS1_11target_archE1100ELNS1_3gpuE3ELNS1_3repE0EEENS1_30default_config_static_selectorELNS0_4arch9wavefront6targetE1EEEvT1_: ; @_ZN7rocprim17ROCPRIM_400000_NS6detail17trampoline_kernelINS0_14default_configENS1_25partition_config_selectorILNS1_17partition_subalgoE0EiNS0_10empty_typeEbEEZZNS1_14partition_implILS5_0ELb0ES3_jN6thrust23THRUST_200600_302600_NS6detail15normal_iteratorINSA_10device_ptrIiEEEEPS6_SG_NS0_5tupleIJNSA_16discard_iteratorINSA_11use_defaultEEESK_EEENSH_IJSG_SG_EEES6_PlJ7is_evenIiEEEE10hipError_tPvRmT3_T4_T5_T6_T7_T9_mT8_P12ihipStream_tbDpT10_ENKUlT_T0_E_clISt17integral_constantIbLb0EES19_EEDaS14_S15_EUlS14_E_NS1_11comp_targetILNS1_3genE9ELNS1_11target_archE1100ELNS1_3gpuE3ELNS1_3repE0EEENS1_30default_config_static_selectorELNS0_4arch9wavefront6targetE1EEEvT1_
; %bb.0:
	.section	.rodata,"a",@progbits
	.p2align	6, 0x0
	.amdhsa_kernel _ZN7rocprim17ROCPRIM_400000_NS6detail17trampoline_kernelINS0_14default_configENS1_25partition_config_selectorILNS1_17partition_subalgoE0EiNS0_10empty_typeEbEEZZNS1_14partition_implILS5_0ELb0ES3_jN6thrust23THRUST_200600_302600_NS6detail15normal_iteratorINSA_10device_ptrIiEEEEPS6_SG_NS0_5tupleIJNSA_16discard_iteratorINSA_11use_defaultEEESK_EEENSH_IJSG_SG_EEES6_PlJ7is_evenIiEEEE10hipError_tPvRmT3_T4_T5_T6_T7_T9_mT8_P12ihipStream_tbDpT10_ENKUlT_T0_E_clISt17integral_constantIbLb0EES19_EEDaS14_S15_EUlS14_E_NS1_11comp_targetILNS1_3genE9ELNS1_11target_archE1100ELNS1_3gpuE3ELNS1_3repE0EEENS1_30default_config_static_selectorELNS0_4arch9wavefront6targetE1EEEvT1_
		.amdhsa_group_segment_fixed_size 0
		.amdhsa_private_segment_fixed_size 0
		.amdhsa_kernarg_size 136
		.amdhsa_user_sgpr_count 2
		.amdhsa_user_sgpr_dispatch_ptr 0
		.amdhsa_user_sgpr_queue_ptr 0
		.amdhsa_user_sgpr_kernarg_segment_ptr 1
		.amdhsa_user_sgpr_dispatch_id 0
		.amdhsa_user_sgpr_kernarg_preload_length 0
		.amdhsa_user_sgpr_kernarg_preload_offset 0
		.amdhsa_user_sgpr_private_segment_size 0
		.amdhsa_uses_dynamic_stack 0
		.amdhsa_enable_private_segment 0
		.amdhsa_system_sgpr_workgroup_id_x 1
		.amdhsa_system_sgpr_workgroup_id_y 0
		.amdhsa_system_sgpr_workgroup_id_z 0
		.amdhsa_system_sgpr_workgroup_info 0
		.amdhsa_system_vgpr_workitem_id 0
		.amdhsa_next_free_vgpr 1
		.amdhsa_next_free_sgpr 0
		.amdhsa_accum_offset 4
		.amdhsa_reserve_vcc 0
		.amdhsa_float_round_mode_32 0
		.amdhsa_float_round_mode_16_64 0
		.amdhsa_float_denorm_mode_32 3
		.amdhsa_float_denorm_mode_16_64 3
		.amdhsa_dx10_clamp 1
		.amdhsa_ieee_mode 1
		.amdhsa_fp16_overflow 0
		.amdhsa_tg_split 0
		.amdhsa_exception_fp_ieee_invalid_op 0
		.amdhsa_exception_fp_denorm_src 0
		.amdhsa_exception_fp_ieee_div_zero 0
		.amdhsa_exception_fp_ieee_overflow 0
		.amdhsa_exception_fp_ieee_underflow 0
		.amdhsa_exception_fp_ieee_inexact 0
		.amdhsa_exception_int_div_zero 0
	.end_amdhsa_kernel
	.section	.text._ZN7rocprim17ROCPRIM_400000_NS6detail17trampoline_kernelINS0_14default_configENS1_25partition_config_selectorILNS1_17partition_subalgoE0EiNS0_10empty_typeEbEEZZNS1_14partition_implILS5_0ELb0ES3_jN6thrust23THRUST_200600_302600_NS6detail15normal_iteratorINSA_10device_ptrIiEEEEPS6_SG_NS0_5tupleIJNSA_16discard_iteratorINSA_11use_defaultEEESK_EEENSH_IJSG_SG_EEES6_PlJ7is_evenIiEEEE10hipError_tPvRmT3_T4_T5_T6_T7_T9_mT8_P12ihipStream_tbDpT10_ENKUlT_T0_E_clISt17integral_constantIbLb0EES19_EEDaS14_S15_EUlS14_E_NS1_11comp_targetILNS1_3genE9ELNS1_11target_archE1100ELNS1_3gpuE3ELNS1_3repE0EEENS1_30default_config_static_selectorELNS0_4arch9wavefront6targetE1EEEvT1_,"axG",@progbits,_ZN7rocprim17ROCPRIM_400000_NS6detail17trampoline_kernelINS0_14default_configENS1_25partition_config_selectorILNS1_17partition_subalgoE0EiNS0_10empty_typeEbEEZZNS1_14partition_implILS5_0ELb0ES3_jN6thrust23THRUST_200600_302600_NS6detail15normal_iteratorINSA_10device_ptrIiEEEEPS6_SG_NS0_5tupleIJNSA_16discard_iteratorINSA_11use_defaultEEESK_EEENSH_IJSG_SG_EEES6_PlJ7is_evenIiEEEE10hipError_tPvRmT3_T4_T5_T6_T7_T9_mT8_P12ihipStream_tbDpT10_ENKUlT_T0_E_clISt17integral_constantIbLb0EES19_EEDaS14_S15_EUlS14_E_NS1_11comp_targetILNS1_3genE9ELNS1_11target_archE1100ELNS1_3gpuE3ELNS1_3repE0EEENS1_30default_config_static_selectorELNS0_4arch9wavefront6targetE1EEEvT1_,comdat
.Lfunc_end2689:
	.size	_ZN7rocprim17ROCPRIM_400000_NS6detail17trampoline_kernelINS0_14default_configENS1_25partition_config_selectorILNS1_17partition_subalgoE0EiNS0_10empty_typeEbEEZZNS1_14partition_implILS5_0ELb0ES3_jN6thrust23THRUST_200600_302600_NS6detail15normal_iteratorINSA_10device_ptrIiEEEEPS6_SG_NS0_5tupleIJNSA_16discard_iteratorINSA_11use_defaultEEESK_EEENSH_IJSG_SG_EEES6_PlJ7is_evenIiEEEE10hipError_tPvRmT3_T4_T5_T6_T7_T9_mT8_P12ihipStream_tbDpT10_ENKUlT_T0_E_clISt17integral_constantIbLb0EES19_EEDaS14_S15_EUlS14_E_NS1_11comp_targetILNS1_3genE9ELNS1_11target_archE1100ELNS1_3gpuE3ELNS1_3repE0EEENS1_30default_config_static_selectorELNS0_4arch9wavefront6targetE1EEEvT1_, .Lfunc_end2689-_ZN7rocprim17ROCPRIM_400000_NS6detail17trampoline_kernelINS0_14default_configENS1_25partition_config_selectorILNS1_17partition_subalgoE0EiNS0_10empty_typeEbEEZZNS1_14partition_implILS5_0ELb0ES3_jN6thrust23THRUST_200600_302600_NS6detail15normal_iteratorINSA_10device_ptrIiEEEEPS6_SG_NS0_5tupleIJNSA_16discard_iteratorINSA_11use_defaultEEESK_EEENSH_IJSG_SG_EEES6_PlJ7is_evenIiEEEE10hipError_tPvRmT3_T4_T5_T6_T7_T9_mT8_P12ihipStream_tbDpT10_ENKUlT_T0_E_clISt17integral_constantIbLb0EES19_EEDaS14_S15_EUlS14_E_NS1_11comp_targetILNS1_3genE9ELNS1_11target_archE1100ELNS1_3gpuE3ELNS1_3repE0EEENS1_30default_config_static_selectorELNS0_4arch9wavefront6targetE1EEEvT1_
                                        ; -- End function
	.section	.AMDGPU.csdata,"",@progbits
; Kernel info:
; codeLenInByte = 0
; NumSgprs: 6
; NumVgprs: 0
; NumAgprs: 0
; TotalNumVgprs: 0
; ScratchSize: 0
; MemoryBound: 0
; FloatMode: 240
; IeeeMode: 1
; LDSByteSize: 0 bytes/workgroup (compile time only)
; SGPRBlocks: 0
; VGPRBlocks: 0
; NumSGPRsForWavesPerEU: 6
; NumVGPRsForWavesPerEU: 1
; AccumOffset: 4
; Occupancy: 8
; WaveLimiterHint : 0
; COMPUTE_PGM_RSRC2:SCRATCH_EN: 0
; COMPUTE_PGM_RSRC2:USER_SGPR: 2
; COMPUTE_PGM_RSRC2:TRAP_HANDLER: 0
; COMPUTE_PGM_RSRC2:TGID_X_EN: 1
; COMPUTE_PGM_RSRC2:TGID_Y_EN: 0
; COMPUTE_PGM_RSRC2:TGID_Z_EN: 0
; COMPUTE_PGM_RSRC2:TIDIG_COMP_CNT: 0
; COMPUTE_PGM_RSRC3_GFX90A:ACCUM_OFFSET: 0
; COMPUTE_PGM_RSRC3_GFX90A:TG_SPLIT: 0
	.section	.text._ZN7rocprim17ROCPRIM_400000_NS6detail17trampoline_kernelINS0_14default_configENS1_25partition_config_selectorILNS1_17partition_subalgoE0EiNS0_10empty_typeEbEEZZNS1_14partition_implILS5_0ELb0ES3_jN6thrust23THRUST_200600_302600_NS6detail15normal_iteratorINSA_10device_ptrIiEEEEPS6_SG_NS0_5tupleIJNSA_16discard_iteratorINSA_11use_defaultEEESK_EEENSH_IJSG_SG_EEES6_PlJ7is_evenIiEEEE10hipError_tPvRmT3_T4_T5_T6_T7_T9_mT8_P12ihipStream_tbDpT10_ENKUlT_T0_E_clISt17integral_constantIbLb0EES19_EEDaS14_S15_EUlS14_E_NS1_11comp_targetILNS1_3genE8ELNS1_11target_archE1030ELNS1_3gpuE2ELNS1_3repE0EEENS1_30default_config_static_selectorELNS0_4arch9wavefront6targetE1EEEvT1_,"axG",@progbits,_ZN7rocprim17ROCPRIM_400000_NS6detail17trampoline_kernelINS0_14default_configENS1_25partition_config_selectorILNS1_17partition_subalgoE0EiNS0_10empty_typeEbEEZZNS1_14partition_implILS5_0ELb0ES3_jN6thrust23THRUST_200600_302600_NS6detail15normal_iteratorINSA_10device_ptrIiEEEEPS6_SG_NS0_5tupleIJNSA_16discard_iteratorINSA_11use_defaultEEESK_EEENSH_IJSG_SG_EEES6_PlJ7is_evenIiEEEE10hipError_tPvRmT3_T4_T5_T6_T7_T9_mT8_P12ihipStream_tbDpT10_ENKUlT_T0_E_clISt17integral_constantIbLb0EES19_EEDaS14_S15_EUlS14_E_NS1_11comp_targetILNS1_3genE8ELNS1_11target_archE1030ELNS1_3gpuE2ELNS1_3repE0EEENS1_30default_config_static_selectorELNS0_4arch9wavefront6targetE1EEEvT1_,comdat
	.protected	_ZN7rocprim17ROCPRIM_400000_NS6detail17trampoline_kernelINS0_14default_configENS1_25partition_config_selectorILNS1_17partition_subalgoE0EiNS0_10empty_typeEbEEZZNS1_14partition_implILS5_0ELb0ES3_jN6thrust23THRUST_200600_302600_NS6detail15normal_iteratorINSA_10device_ptrIiEEEEPS6_SG_NS0_5tupleIJNSA_16discard_iteratorINSA_11use_defaultEEESK_EEENSH_IJSG_SG_EEES6_PlJ7is_evenIiEEEE10hipError_tPvRmT3_T4_T5_T6_T7_T9_mT8_P12ihipStream_tbDpT10_ENKUlT_T0_E_clISt17integral_constantIbLb0EES19_EEDaS14_S15_EUlS14_E_NS1_11comp_targetILNS1_3genE8ELNS1_11target_archE1030ELNS1_3gpuE2ELNS1_3repE0EEENS1_30default_config_static_selectorELNS0_4arch9wavefront6targetE1EEEvT1_ ; -- Begin function _ZN7rocprim17ROCPRIM_400000_NS6detail17trampoline_kernelINS0_14default_configENS1_25partition_config_selectorILNS1_17partition_subalgoE0EiNS0_10empty_typeEbEEZZNS1_14partition_implILS5_0ELb0ES3_jN6thrust23THRUST_200600_302600_NS6detail15normal_iteratorINSA_10device_ptrIiEEEEPS6_SG_NS0_5tupleIJNSA_16discard_iteratorINSA_11use_defaultEEESK_EEENSH_IJSG_SG_EEES6_PlJ7is_evenIiEEEE10hipError_tPvRmT3_T4_T5_T6_T7_T9_mT8_P12ihipStream_tbDpT10_ENKUlT_T0_E_clISt17integral_constantIbLb0EES19_EEDaS14_S15_EUlS14_E_NS1_11comp_targetILNS1_3genE8ELNS1_11target_archE1030ELNS1_3gpuE2ELNS1_3repE0EEENS1_30default_config_static_selectorELNS0_4arch9wavefront6targetE1EEEvT1_
	.globl	_ZN7rocprim17ROCPRIM_400000_NS6detail17trampoline_kernelINS0_14default_configENS1_25partition_config_selectorILNS1_17partition_subalgoE0EiNS0_10empty_typeEbEEZZNS1_14partition_implILS5_0ELb0ES3_jN6thrust23THRUST_200600_302600_NS6detail15normal_iteratorINSA_10device_ptrIiEEEEPS6_SG_NS0_5tupleIJNSA_16discard_iteratorINSA_11use_defaultEEESK_EEENSH_IJSG_SG_EEES6_PlJ7is_evenIiEEEE10hipError_tPvRmT3_T4_T5_T6_T7_T9_mT8_P12ihipStream_tbDpT10_ENKUlT_T0_E_clISt17integral_constantIbLb0EES19_EEDaS14_S15_EUlS14_E_NS1_11comp_targetILNS1_3genE8ELNS1_11target_archE1030ELNS1_3gpuE2ELNS1_3repE0EEENS1_30default_config_static_selectorELNS0_4arch9wavefront6targetE1EEEvT1_
	.p2align	8
	.type	_ZN7rocprim17ROCPRIM_400000_NS6detail17trampoline_kernelINS0_14default_configENS1_25partition_config_selectorILNS1_17partition_subalgoE0EiNS0_10empty_typeEbEEZZNS1_14partition_implILS5_0ELb0ES3_jN6thrust23THRUST_200600_302600_NS6detail15normal_iteratorINSA_10device_ptrIiEEEEPS6_SG_NS0_5tupleIJNSA_16discard_iteratorINSA_11use_defaultEEESK_EEENSH_IJSG_SG_EEES6_PlJ7is_evenIiEEEE10hipError_tPvRmT3_T4_T5_T6_T7_T9_mT8_P12ihipStream_tbDpT10_ENKUlT_T0_E_clISt17integral_constantIbLb0EES19_EEDaS14_S15_EUlS14_E_NS1_11comp_targetILNS1_3genE8ELNS1_11target_archE1030ELNS1_3gpuE2ELNS1_3repE0EEENS1_30default_config_static_selectorELNS0_4arch9wavefront6targetE1EEEvT1_,@function
_ZN7rocprim17ROCPRIM_400000_NS6detail17trampoline_kernelINS0_14default_configENS1_25partition_config_selectorILNS1_17partition_subalgoE0EiNS0_10empty_typeEbEEZZNS1_14partition_implILS5_0ELb0ES3_jN6thrust23THRUST_200600_302600_NS6detail15normal_iteratorINSA_10device_ptrIiEEEEPS6_SG_NS0_5tupleIJNSA_16discard_iteratorINSA_11use_defaultEEESK_EEENSH_IJSG_SG_EEES6_PlJ7is_evenIiEEEE10hipError_tPvRmT3_T4_T5_T6_T7_T9_mT8_P12ihipStream_tbDpT10_ENKUlT_T0_E_clISt17integral_constantIbLb0EES19_EEDaS14_S15_EUlS14_E_NS1_11comp_targetILNS1_3genE8ELNS1_11target_archE1030ELNS1_3gpuE2ELNS1_3repE0EEENS1_30default_config_static_selectorELNS0_4arch9wavefront6targetE1EEEvT1_: ; @_ZN7rocprim17ROCPRIM_400000_NS6detail17trampoline_kernelINS0_14default_configENS1_25partition_config_selectorILNS1_17partition_subalgoE0EiNS0_10empty_typeEbEEZZNS1_14partition_implILS5_0ELb0ES3_jN6thrust23THRUST_200600_302600_NS6detail15normal_iteratorINSA_10device_ptrIiEEEEPS6_SG_NS0_5tupleIJNSA_16discard_iteratorINSA_11use_defaultEEESK_EEENSH_IJSG_SG_EEES6_PlJ7is_evenIiEEEE10hipError_tPvRmT3_T4_T5_T6_T7_T9_mT8_P12ihipStream_tbDpT10_ENKUlT_T0_E_clISt17integral_constantIbLb0EES19_EEDaS14_S15_EUlS14_E_NS1_11comp_targetILNS1_3genE8ELNS1_11target_archE1030ELNS1_3gpuE2ELNS1_3repE0EEENS1_30default_config_static_selectorELNS0_4arch9wavefront6targetE1EEEvT1_
; %bb.0:
	.section	.rodata,"a",@progbits
	.p2align	6, 0x0
	.amdhsa_kernel _ZN7rocprim17ROCPRIM_400000_NS6detail17trampoline_kernelINS0_14default_configENS1_25partition_config_selectorILNS1_17partition_subalgoE0EiNS0_10empty_typeEbEEZZNS1_14partition_implILS5_0ELb0ES3_jN6thrust23THRUST_200600_302600_NS6detail15normal_iteratorINSA_10device_ptrIiEEEEPS6_SG_NS0_5tupleIJNSA_16discard_iteratorINSA_11use_defaultEEESK_EEENSH_IJSG_SG_EEES6_PlJ7is_evenIiEEEE10hipError_tPvRmT3_T4_T5_T6_T7_T9_mT8_P12ihipStream_tbDpT10_ENKUlT_T0_E_clISt17integral_constantIbLb0EES19_EEDaS14_S15_EUlS14_E_NS1_11comp_targetILNS1_3genE8ELNS1_11target_archE1030ELNS1_3gpuE2ELNS1_3repE0EEENS1_30default_config_static_selectorELNS0_4arch9wavefront6targetE1EEEvT1_
		.amdhsa_group_segment_fixed_size 0
		.amdhsa_private_segment_fixed_size 0
		.amdhsa_kernarg_size 136
		.amdhsa_user_sgpr_count 2
		.amdhsa_user_sgpr_dispatch_ptr 0
		.amdhsa_user_sgpr_queue_ptr 0
		.amdhsa_user_sgpr_kernarg_segment_ptr 1
		.amdhsa_user_sgpr_dispatch_id 0
		.amdhsa_user_sgpr_kernarg_preload_length 0
		.amdhsa_user_sgpr_kernarg_preload_offset 0
		.amdhsa_user_sgpr_private_segment_size 0
		.amdhsa_uses_dynamic_stack 0
		.amdhsa_enable_private_segment 0
		.amdhsa_system_sgpr_workgroup_id_x 1
		.amdhsa_system_sgpr_workgroup_id_y 0
		.amdhsa_system_sgpr_workgroup_id_z 0
		.amdhsa_system_sgpr_workgroup_info 0
		.amdhsa_system_vgpr_workitem_id 0
		.amdhsa_next_free_vgpr 1
		.amdhsa_next_free_sgpr 0
		.amdhsa_accum_offset 4
		.amdhsa_reserve_vcc 0
		.amdhsa_float_round_mode_32 0
		.amdhsa_float_round_mode_16_64 0
		.amdhsa_float_denorm_mode_32 3
		.amdhsa_float_denorm_mode_16_64 3
		.amdhsa_dx10_clamp 1
		.amdhsa_ieee_mode 1
		.amdhsa_fp16_overflow 0
		.amdhsa_tg_split 0
		.amdhsa_exception_fp_ieee_invalid_op 0
		.amdhsa_exception_fp_denorm_src 0
		.amdhsa_exception_fp_ieee_div_zero 0
		.amdhsa_exception_fp_ieee_overflow 0
		.amdhsa_exception_fp_ieee_underflow 0
		.amdhsa_exception_fp_ieee_inexact 0
		.amdhsa_exception_int_div_zero 0
	.end_amdhsa_kernel
	.section	.text._ZN7rocprim17ROCPRIM_400000_NS6detail17trampoline_kernelINS0_14default_configENS1_25partition_config_selectorILNS1_17partition_subalgoE0EiNS0_10empty_typeEbEEZZNS1_14partition_implILS5_0ELb0ES3_jN6thrust23THRUST_200600_302600_NS6detail15normal_iteratorINSA_10device_ptrIiEEEEPS6_SG_NS0_5tupleIJNSA_16discard_iteratorINSA_11use_defaultEEESK_EEENSH_IJSG_SG_EEES6_PlJ7is_evenIiEEEE10hipError_tPvRmT3_T4_T5_T6_T7_T9_mT8_P12ihipStream_tbDpT10_ENKUlT_T0_E_clISt17integral_constantIbLb0EES19_EEDaS14_S15_EUlS14_E_NS1_11comp_targetILNS1_3genE8ELNS1_11target_archE1030ELNS1_3gpuE2ELNS1_3repE0EEENS1_30default_config_static_selectorELNS0_4arch9wavefront6targetE1EEEvT1_,"axG",@progbits,_ZN7rocprim17ROCPRIM_400000_NS6detail17trampoline_kernelINS0_14default_configENS1_25partition_config_selectorILNS1_17partition_subalgoE0EiNS0_10empty_typeEbEEZZNS1_14partition_implILS5_0ELb0ES3_jN6thrust23THRUST_200600_302600_NS6detail15normal_iteratorINSA_10device_ptrIiEEEEPS6_SG_NS0_5tupleIJNSA_16discard_iteratorINSA_11use_defaultEEESK_EEENSH_IJSG_SG_EEES6_PlJ7is_evenIiEEEE10hipError_tPvRmT3_T4_T5_T6_T7_T9_mT8_P12ihipStream_tbDpT10_ENKUlT_T0_E_clISt17integral_constantIbLb0EES19_EEDaS14_S15_EUlS14_E_NS1_11comp_targetILNS1_3genE8ELNS1_11target_archE1030ELNS1_3gpuE2ELNS1_3repE0EEENS1_30default_config_static_selectorELNS0_4arch9wavefront6targetE1EEEvT1_,comdat
.Lfunc_end2690:
	.size	_ZN7rocprim17ROCPRIM_400000_NS6detail17trampoline_kernelINS0_14default_configENS1_25partition_config_selectorILNS1_17partition_subalgoE0EiNS0_10empty_typeEbEEZZNS1_14partition_implILS5_0ELb0ES3_jN6thrust23THRUST_200600_302600_NS6detail15normal_iteratorINSA_10device_ptrIiEEEEPS6_SG_NS0_5tupleIJNSA_16discard_iteratorINSA_11use_defaultEEESK_EEENSH_IJSG_SG_EEES6_PlJ7is_evenIiEEEE10hipError_tPvRmT3_T4_T5_T6_T7_T9_mT8_P12ihipStream_tbDpT10_ENKUlT_T0_E_clISt17integral_constantIbLb0EES19_EEDaS14_S15_EUlS14_E_NS1_11comp_targetILNS1_3genE8ELNS1_11target_archE1030ELNS1_3gpuE2ELNS1_3repE0EEENS1_30default_config_static_selectorELNS0_4arch9wavefront6targetE1EEEvT1_, .Lfunc_end2690-_ZN7rocprim17ROCPRIM_400000_NS6detail17trampoline_kernelINS0_14default_configENS1_25partition_config_selectorILNS1_17partition_subalgoE0EiNS0_10empty_typeEbEEZZNS1_14partition_implILS5_0ELb0ES3_jN6thrust23THRUST_200600_302600_NS6detail15normal_iteratorINSA_10device_ptrIiEEEEPS6_SG_NS0_5tupleIJNSA_16discard_iteratorINSA_11use_defaultEEESK_EEENSH_IJSG_SG_EEES6_PlJ7is_evenIiEEEE10hipError_tPvRmT3_T4_T5_T6_T7_T9_mT8_P12ihipStream_tbDpT10_ENKUlT_T0_E_clISt17integral_constantIbLb0EES19_EEDaS14_S15_EUlS14_E_NS1_11comp_targetILNS1_3genE8ELNS1_11target_archE1030ELNS1_3gpuE2ELNS1_3repE0EEENS1_30default_config_static_selectorELNS0_4arch9wavefront6targetE1EEEvT1_
                                        ; -- End function
	.section	.AMDGPU.csdata,"",@progbits
; Kernel info:
; codeLenInByte = 0
; NumSgprs: 6
; NumVgprs: 0
; NumAgprs: 0
; TotalNumVgprs: 0
; ScratchSize: 0
; MemoryBound: 0
; FloatMode: 240
; IeeeMode: 1
; LDSByteSize: 0 bytes/workgroup (compile time only)
; SGPRBlocks: 0
; VGPRBlocks: 0
; NumSGPRsForWavesPerEU: 6
; NumVGPRsForWavesPerEU: 1
; AccumOffset: 4
; Occupancy: 8
; WaveLimiterHint : 0
; COMPUTE_PGM_RSRC2:SCRATCH_EN: 0
; COMPUTE_PGM_RSRC2:USER_SGPR: 2
; COMPUTE_PGM_RSRC2:TRAP_HANDLER: 0
; COMPUTE_PGM_RSRC2:TGID_X_EN: 1
; COMPUTE_PGM_RSRC2:TGID_Y_EN: 0
; COMPUTE_PGM_RSRC2:TGID_Z_EN: 0
; COMPUTE_PGM_RSRC2:TIDIG_COMP_CNT: 0
; COMPUTE_PGM_RSRC3_GFX90A:ACCUM_OFFSET: 0
; COMPUTE_PGM_RSRC3_GFX90A:TG_SPLIT: 0
	.section	.text._ZN7rocprim17ROCPRIM_400000_NS6detail17trampoline_kernelINS0_14default_configENS1_25partition_config_selectorILNS1_17partition_subalgoE0EiNS0_10empty_typeEbEEZZNS1_14partition_implILS5_0ELb0ES3_jN6thrust23THRUST_200600_302600_NS6detail15normal_iteratorINSA_10device_ptrIiEEEEPS6_SG_NS0_5tupleIJNSA_16discard_iteratorINSA_11use_defaultEEESK_EEENSH_IJSG_SG_EEES6_PlJ7is_evenIiEEEE10hipError_tPvRmT3_T4_T5_T6_T7_T9_mT8_P12ihipStream_tbDpT10_ENKUlT_T0_E_clISt17integral_constantIbLb1EES19_EEDaS14_S15_EUlS14_E_NS1_11comp_targetILNS1_3genE0ELNS1_11target_archE4294967295ELNS1_3gpuE0ELNS1_3repE0EEENS1_30default_config_static_selectorELNS0_4arch9wavefront6targetE1EEEvT1_,"axG",@progbits,_ZN7rocprim17ROCPRIM_400000_NS6detail17trampoline_kernelINS0_14default_configENS1_25partition_config_selectorILNS1_17partition_subalgoE0EiNS0_10empty_typeEbEEZZNS1_14partition_implILS5_0ELb0ES3_jN6thrust23THRUST_200600_302600_NS6detail15normal_iteratorINSA_10device_ptrIiEEEEPS6_SG_NS0_5tupleIJNSA_16discard_iteratorINSA_11use_defaultEEESK_EEENSH_IJSG_SG_EEES6_PlJ7is_evenIiEEEE10hipError_tPvRmT3_T4_T5_T6_T7_T9_mT8_P12ihipStream_tbDpT10_ENKUlT_T0_E_clISt17integral_constantIbLb1EES19_EEDaS14_S15_EUlS14_E_NS1_11comp_targetILNS1_3genE0ELNS1_11target_archE4294967295ELNS1_3gpuE0ELNS1_3repE0EEENS1_30default_config_static_selectorELNS0_4arch9wavefront6targetE1EEEvT1_,comdat
	.protected	_ZN7rocprim17ROCPRIM_400000_NS6detail17trampoline_kernelINS0_14default_configENS1_25partition_config_selectorILNS1_17partition_subalgoE0EiNS0_10empty_typeEbEEZZNS1_14partition_implILS5_0ELb0ES3_jN6thrust23THRUST_200600_302600_NS6detail15normal_iteratorINSA_10device_ptrIiEEEEPS6_SG_NS0_5tupleIJNSA_16discard_iteratorINSA_11use_defaultEEESK_EEENSH_IJSG_SG_EEES6_PlJ7is_evenIiEEEE10hipError_tPvRmT3_T4_T5_T6_T7_T9_mT8_P12ihipStream_tbDpT10_ENKUlT_T0_E_clISt17integral_constantIbLb1EES19_EEDaS14_S15_EUlS14_E_NS1_11comp_targetILNS1_3genE0ELNS1_11target_archE4294967295ELNS1_3gpuE0ELNS1_3repE0EEENS1_30default_config_static_selectorELNS0_4arch9wavefront6targetE1EEEvT1_ ; -- Begin function _ZN7rocprim17ROCPRIM_400000_NS6detail17trampoline_kernelINS0_14default_configENS1_25partition_config_selectorILNS1_17partition_subalgoE0EiNS0_10empty_typeEbEEZZNS1_14partition_implILS5_0ELb0ES3_jN6thrust23THRUST_200600_302600_NS6detail15normal_iteratorINSA_10device_ptrIiEEEEPS6_SG_NS0_5tupleIJNSA_16discard_iteratorINSA_11use_defaultEEESK_EEENSH_IJSG_SG_EEES6_PlJ7is_evenIiEEEE10hipError_tPvRmT3_T4_T5_T6_T7_T9_mT8_P12ihipStream_tbDpT10_ENKUlT_T0_E_clISt17integral_constantIbLb1EES19_EEDaS14_S15_EUlS14_E_NS1_11comp_targetILNS1_3genE0ELNS1_11target_archE4294967295ELNS1_3gpuE0ELNS1_3repE0EEENS1_30default_config_static_selectorELNS0_4arch9wavefront6targetE1EEEvT1_
	.globl	_ZN7rocprim17ROCPRIM_400000_NS6detail17trampoline_kernelINS0_14default_configENS1_25partition_config_selectorILNS1_17partition_subalgoE0EiNS0_10empty_typeEbEEZZNS1_14partition_implILS5_0ELb0ES3_jN6thrust23THRUST_200600_302600_NS6detail15normal_iteratorINSA_10device_ptrIiEEEEPS6_SG_NS0_5tupleIJNSA_16discard_iteratorINSA_11use_defaultEEESK_EEENSH_IJSG_SG_EEES6_PlJ7is_evenIiEEEE10hipError_tPvRmT3_T4_T5_T6_T7_T9_mT8_P12ihipStream_tbDpT10_ENKUlT_T0_E_clISt17integral_constantIbLb1EES19_EEDaS14_S15_EUlS14_E_NS1_11comp_targetILNS1_3genE0ELNS1_11target_archE4294967295ELNS1_3gpuE0ELNS1_3repE0EEENS1_30default_config_static_selectorELNS0_4arch9wavefront6targetE1EEEvT1_
	.p2align	8
	.type	_ZN7rocprim17ROCPRIM_400000_NS6detail17trampoline_kernelINS0_14default_configENS1_25partition_config_selectorILNS1_17partition_subalgoE0EiNS0_10empty_typeEbEEZZNS1_14partition_implILS5_0ELb0ES3_jN6thrust23THRUST_200600_302600_NS6detail15normal_iteratorINSA_10device_ptrIiEEEEPS6_SG_NS0_5tupleIJNSA_16discard_iteratorINSA_11use_defaultEEESK_EEENSH_IJSG_SG_EEES6_PlJ7is_evenIiEEEE10hipError_tPvRmT3_T4_T5_T6_T7_T9_mT8_P12ihipStream_tbDpT10_ENKUlT_T0_E_clISt17integral_constantIbLb1EES19_EEDaS14_S15_EUlS14_E_NS1_11comp_targetILNS1_3genE0ELNS1_11target_archE4294967295ELNS1_3gpuE0ELNS1_3repE0EEENS1_30default_config_static_selectorELNS0_4arch9wavefront6targetE1EEEvT1_,@function
_ZN7rocprim17ROCPRIM_400000_NS6detail17trampoline_kernelINS0_14default_configENS1_25partition_config_selectorILNS1_17partition_subalgoE0EiNS0_10empty_typeEbEEZZNS1_14partition_implILS5_0ELb0ES3_jN6thrust23THRUST_200600_302600_NS6detail15normal_iteratorINSA_10device_ptrIiEEEEPS6_SG_NS0_5tupleIJNSA_16discard_iteratorINSA_11use_defaultEEESK_EEENSH_IJSG_SG_EEES6_PlJ7is_evenIiEEEE10hipError_tPvRmT3_T4_T5_T6_T7_T9_mT8_P12ihipStream_tbDpT10_ENKUlT_T0_E_clISt17integral_constantIbLb1EES19_EEDaS14_S15_EUlS14_E_NS1_11comp_targetILNS1_3genE0ELNS1_11target_archE4294967295ELNS1_3gpuE0ELNS1_3repE0EEENS1_30default_config_static_selectorELNS0_4arch9wavefront6targetE1EEEvT1_: ; @_ZN7rocprim17ROCPRIM_400000_NS6detail17trampoline_kernelINS0_14default_configENS1_25partition_config_selectorILNS1_17partition_subalgoE0EiNS0_10empty_typeEbEEZZNS1_14partition_implILS5_0ELb0ES3_jN6thrust23THRUST_200600_302600_NS6detail15normal_iteratorINSA_10device_ptrIiEEEEPS6_SG_NS0_5tupleIJNSA_16discard_iteratorINSA_11use_defaultEEESK_EEENSH_IJSG_SG_EEES6_PlJ7is_evenIiEEEE10hipError_tPvRmT3_T4_T5_T6_T7_T9_mT8_P12ihipStream_tbDpT10_ENKUlT_T0_E_clISt17integral_constantIbLb1EES19_EEDaS14_S15_EUlS14_E_NS1_11comp_targetILNS1_3genE0ELNS1_11target_archE4294967295ELNS1_3gpuE0ELNS1_3repE0EEENS1_30default_config_static_selectorELNS0_4arch9wavefront6targetE1EEEvT1_
; %bb.0:
	.section	.rodata,"a",@progbits
	.p2align	6, 0x0
	.amdhsa_kernel _ZN7rocprim17ROCPRIM_400000_NS6detail17trampoline_kernelINS0_14default_configENS1_25partition_config_selectorILNS1_17partition_subalgoE0EiNS0_10empty_typeEbEEZZNS1_14partition_implILS5_0ELb0ES3_jN6thrust23THRUST_200600_302600_NS6detail15normal_iteratorINSA_10device_ptrIiEEEEPS6_SG_NS0_5tupleIJNSA_16discard_iteratorINSA_11use_defaultEEESK_EEENSH_IJSG_SG_EEES6_PlJ7is_evenIiEEEE10hipError_tPvRmT3_T4_T5_T6_T7_T9_mT8_P12ihipStream_tbDpT10_ENKUlT_T0_E_clISt17integral_constantIbLb1EES19_EEDaS14_S15_EUlS14_E_NS1_11comp_targetILNS1_3genE0ELNS1_11target_archE4294967295ELNS1_3gpuE0ELNS1_3repE0EEENS1_30default_config_static_selectorELNS0_4arch9wavefront6targetE1EEEvT1_
		.amdhsa_group_segment_fixed_size 0
		.amdhsa_private_segment_fixed_size 0
		.amdhsa_kernarg_size 152
		.amdhsa_user_sgpr_count 2
		.amdhsa_user_sgpr_dispatch_ptr 0
		.amdhsa_user_sgpr_queue_ptr 0
		.amdhsa_user_sgpr_kernarg_segment_ptr 1
		.amdhsa_user_sgpr_dispatch_id 0
		.amdhsa_user_sgpr_kernarg_preload_length 0
		.amdhsa_user_sgpr_kernarg_preload_offset 0
		.amdhsa_user_sgpr_private_segment_size 0
		.amdhsa_uses_dynamic_stack 0
		.amdhsa_enable_private_segment 0
		.amdhsa_system_sgpr_workgroup_id_x 1
		.amdhsa_system_sgpr_workgroup_id_y 0
		.amdhsa_system_sgpr_workgroup_id_z 0
		.amdhsa_system_sgpr_workgroup_info 0
		.amdhsa_system_vgpr_workitem_id 0
		.amdhsa_next_free_vgpr 1
		.amdhsa_next_free_sgpr 0
		.amdhsa_accum_offset 4
		.amdhsa_reserve_vcc 0
		.amdhsa_float_round_mode_32 0
		.amdhsa_float_round_mode_16_64 0
		.amdhsa_float_denorm_mode_32 3
		.amdhsa_float_denorm_mode_16_64 3
		.amdhsa_dx10_clamp 1
		.amdhsa_ieee_mode 1
		.amdhsa_fp16_overflow 0
		.amdhsa_tg_split 0
		.amdhsa_exception_fp_ieee_invalid_op 0
		.amdhsa_exception_fp_denorm_src 0
		.amdhsa_exception_fp_ieee_div_zero 0
		.amdhsa_exception_fp_ieee_overflow 0
		.amdhsa_exception_fp_ieee_underflow 0
		.amdhsa_exception_fp_ieee_inexact 0
		.amdhsa_exception_int_div_zero 0
	.end_amdhsa_kernel
	.section	.text._ZN7rocprim17ROCPRIM_400000_NS6detail17trampoline_kernelINS0_14default_configENS1_25partition_config_selectorILNS1_17partition_subalgoE0EiNS0_10empty_typeEbEEZZNS1_14partition_implILS5_0ELb0ES3_jN6thrust23THRUST_200600_302600_NS6detail15normal_iteratorINSA_10device_ptrIiEEEEPS6_SG_NS0_5tupleIJNSA_16discard_iteratorINSA_11use_defaultEEESK_EEENSH_IJSG_SG_EEES6_PlJ7is_evenIiEEEE10hipError_tPvRmT3_T4_T5_T6_T7_T9_mT8_P12ihipStream_tbDpT10_ENKUlT_T0_E_clISt17integral_constantIbLb1EES19_EEDaS14_S15_EUlS14_E_NS1_11comp_targetILNS1_3genE0ELNS1_11target_archE4294967295ELNS1_3gpuE0ELNS1_3repE0EEENS1_30default_config_static_selectorELNS0_4arch9wavefront6targetE1EEEvT1_,"axG",@progbits,_ZN7rocprim17ROCPRIM_400000_NS6detail17trampoline_kernelINS0_14default_configENS1_25partition_config_selectorILNS1_17partition_subalgoE0EiNS0_10empty_typeEbEEZZNS1_14partition_implILS5_0ELb0ES3_jN6thrust23THRUST_200600_302600_NS6detail15normal_iteratorINSA_10device_ptrIiEEEEPS6_SG_NS0_5tupleIJNSA_16discard_iteratorINSA_11use_defaultEEESK_EEENSH_IJSG_SG_EEES6_PlJ7is_evenIiEEEE10hipError_tPvRmT3_T4_T5_T6_T7_T9_mT8_P12ihipStream_tbDpT10_ENKUlT_T0_E_clISt17integral_constantIbLb1EES19_EEDaS14_S15_EUlS14_E_NS1_11comp_targetILNS1_3genE0ELNS1_11target_archE4294967295ELNS1_3gpuE0ELNS1_3repE0EEENS1_30default_config_static_selectorELNS0_4arch9wavefront6targetE1EEEvT1_,comdat
.Lfunc_end2691:
	.size	_ZN7rocprim17ROCPRIM_400000_NS6detail17trampoline_kernelINS0_14default_configENS1_25partition_config_selectorILNS1_17partition_subalgoE0EiNS0_10empty_typeEbEEZZNS1_14partition_implILS5_0ELb0ES3_jN6thrust23THRUST_200600_302600_NS6detail15normal_iteratorINSA_10device_ptrIiEEEEPS6_SG_NS0_5tupleIJNSA_16discard_iteratorINSA_11use_defaultEEESK_EEENSH_IJSG_SG_EEES6_PlJ7is_evenIiEEEE10hipError_tPvRmT3_T4_T5_T6_T7_T9_mT8_P12ihipStream_tbDpT10_ENKUlT_T0_E_clISt17integral_constantIbLb1EES19_EEDaS14_S15_EUlS14_E_NS1_11comp_targetILNS1_3genE0ELNS1_11target_archE4294967295ELNS1_3gpuE0ELNS1_3repE0EEENS1_30default_config_static_selectorELNS0_4arch9wavefront6targetE1EEEvT1_, .Lfunc_end2691-_ZN7rocprim17ROCPRIM_400000_NS6detail17trampoline_kernelINS0_14default_configENS1_25partition_config_selectorILNS1_17partition_subalgoE0EiNS0_10empty_typeEbEEZZNS1_14partition_implILS5_0ELb0ES3_jN6thrust23THRUST_200600_302600_NS6detail15normal_iteratorINSA_10device_ptrIiEEEEPS6_SG_NS0_5tupleIJNSA_16discard_iteratorINSA_11use_defaultEEESK_EEENSH_IJSG_SG_EEES6_PlJ7is_evenIiEEEE10hipError_tPvRmT3_T4_T5_T6_T7_T9_mT8_P12ihipStream_tbDpT10_ENKUlT_T0_E_clISt17integral_constantIbLb1EES19_EEDaS14_S15_EUlS14_E_NS1_11comp_targetILNS1_3genE0ELNS1_11target_archE4294967295ELNS1_3gpuE0ELNS1_3repE0EEENS1_30default_config_static_selectorELNS0_4arch9wavefront6targetE1EEEvT1_
                                        ; -- End function
	.section	.AMDGPU.csdata,"",@progbits
; Kernel info:
; codeLenInByte = 0
; NumSgprs: 6
; NumVgprs: 0
; NumAgprs: 0
; TotalNumVgprs: 0
; ScratchSize: 0
; MemoryBound: 0
; FloatMode: 240
; IeeeMode: 1
; LDSByteSize: 0 bytes/workgroup (compile time only)
; SGPRBlocks: 0
; VGPRBlocks: 0
; NumSGPRsForWavesPerEU: 6
; NumVGPRsForWavesPerEU: 1
; AccumOffset: 4
; Occupancy: 8
; WaveLimiterHint : 0
; COMPUTE_PGM_RSRC2:SCRATCH_EN: 0
; COMPUTE_PGM_RSRC2:USER_SGPR: 2
; COMPUTE_PGM_RSRC2:TRAP_HANDLER: 0
; COMPUTE_PGM_RSRC2:TGID_X_EN: 1
; COMPUTE_PGM_RSRC2:TGID_Y_EN: 0
; COMPUTE_PGM_RSRC2:TGID_Z_EN: 0
; COMPUTE_PGM_RSRC2:TIDIG_COMP_CNT: 0
; COMPUTE_PGM_RSRC3_GFX90A:ACCUM_OFFSET: 0
; COMPUTE_PGM_RSRC3_GFX90A:TG_SPLIT: 0
	.section	.text._ZN7rocprim17ROCPRIM_400000_NS6detail17trampoline_kernelINS0_14default_configENS1_25partition_config_selectorILNS1_17partition_subalgoE0EiNS0_10empty_typeEbEEZZNS1_14partition_implILS5_0ELb0ES3_jN6thrust23THRUST_200600_302600_NS6detail15normal_iteratorINSA_10device_ptrIiEEEEPS6_SG_NS0_5tupleIJNSA_16discard_iteratorINSA_11use_defaultEEESK_EEENSH_IJSG_SG_EEES6_PlJ7is_evenIiEEEE10hipError_tPvRmT3_T4_T5_T6_T7_T9_mT8_P12ihipStream_tbDpT10_ENKUlT_T0_E_clISt17integral_constantIbLb1EES19_EEDaS14_S15_EUlS14_E_NS1_11comp_targetILNS1_3genE5ELNS1_11target_archE942ELNS1_3gpuE9ELNS1_3repE0EEENS1_30default_config_static_selectorELNS0_4arch9wavefront6targetE1EEEvT1_,"axG",@progbits,_ZN7rocprim17ROCPRIM_400000_NS6detail17trampoline_kernelINS0_14default_configENS1_25partition_config_selectorILNS1_17partition_subalgoE0EiNS0_10empty_typeEbEEZZNS1_14partition_implILS5_0ELb0ES3_jN6thrust23THRUST_200600_302600_NS6detail15normal_iteratorINSA_10device_ptrIiEEEEPS6_SG_NS0_5tupleIJNSA_16discard_iteratorINSA_11use_defaultEEESK_EEENSH_IJSG_SG_EEES6_PlJ7is_evenIiEEEE10hipError_tPvRmT3_T4_T5_T6_T7_T9_mT8_P12ihipStream_tbDpT10_ENKUlT_T0_E_clISt17integral_constantIbLb1EES19_EEDaS14_S15_EUlS14_E_NS1_11comp_targetILNS1_3genE5ELNS1_11target_archE942ELNS1_3gpuE9ELNS1_3repE0EEENS1_30default_config_static_selectorELNS0_4arch9wavefront6targetE1EEEvT1_,comdat
	.protected	_ZN7rocprim17ROCPRIM_400000_NS6detail17trampoline_kernelINS0_14default_configENS1_25partition_config_selectorILNS1_17partition_subalgoE0EiNS0_10empty_typeEbEEZZNS1_14partition_implILS5_0ELb0ES3_jN6thrust23THRUST_200600_302600_NS6detail15normal_iteratorINSA_10device_ptrIiEEEEPS6_SG_NS0_5tupleIJNSA_16discard_iteratorINSA_11use_defaultEEESK_EEENSH_IJSG_SG_EEES6_PlJ7is_evenIiEEEE10hipError_tPvRmT3_T4_T5_T6_T7_T9_mT8_P12ihipStream_tbDpT10_ENKUlT_T0_E_clISt17integral_constantIbLb1EES19_EEDaS14_S15_EUlS14_E_NS1_11comp_targetILNS1_3genE5ELNS1_11target_archE942ELNS1_3gpuE9ELNS1_3repE0EEENS1_30default_config_static_selectorELNS0_4arch9wavefront6targetE1EEEvT1_ ; -- Begin function _ZN7rocprim17ROCPRIM_400000_NS6detail17trampoline_kernelINS0_14default_configENS1_25partition_config_selectorILNS1_17partition_subalgoE0EiNS0_10empty_typeEbEEZZNS1_14partition_implILS5_0ELb0ES3_jN6thrust23THRUST_200600_302600_NS6detail15normal_iteratorINSA_10device_ptrIiEEEEPS6_SG_NS0_5tupleIJNSA_16discard_iteratorINSA_11use_defaultEEESK_EEENSH_IJSG_SG_EEES6_PlJ7is_evenIiEEEE10hipError_tPvRmT3_T4_T5_T6_T7_T9_mT8_P12ihipStream_tbDpT10_ENKUlT_T0_E_clISt17integral_constantIbLb1EES19_EEDaS14_S15_EUlS14_E_NS1_11comp_targetILNS1_3genE5ELNS1_11target_archE942ELNS1_3gpuE9ELNS1_3repE0EEENS1_30default_config_static_selectorELNS0_4arch9wavefront6targetE1EEEvT1_
	.globl	_ZN7rocprim17ROCPRIM_400000_NS6detail17trampoline_kernelINS0_14default_configENS1_25partition_config_selectorILNS1_17partition_subalgoE0EiNS0_10empty_typeEbEEZZNS1_14partition_implILS5_0ELb0ES3_jN6thrust23THRUST_200600_302600_NS6detail15normal_iteratorINSA_10device_ptrIiEEEEPS6_SG_NS0_5tupleIJNSA_16discard_iteratorINSA_11use_defaultEEESK_EEENSH_IJSG_SG_EEES6_PlJ7is_evenIiEEEE10hipError_tPvRmT3_T4_T5_T6_T7_T9_mT8_P12ihipStream_tbDpT10_ENKUlT_T0_E_clISt17integral_constantIbLb1EES19_EEDaS14_S15_EUlS14_E_NS1_11comp_targetILNS1_3genE5ELNS1_11target_archE942ELNS1_3gpuE9ELNS1_3repE0EEENS1_30default_config_static_selectorELNS0_4arch9wavefront6targetE1EEEvT1_
	.p2align	8
	.type	_ZN7rocprim17ROCPRIM_400000_NS6detail17trampoline_kernelINS0_14default_configENS1_25partition_config_selectorILNS1_17partition_subalgoE0EiNS0_10empty_typeEbEEZZNS1_14partition_implILS5_0ELb0ES3_jN6thrust23THRUST_200600_302600_NS6detail15normal_iteratorINSA_10device_ptrIiEEEEPS6_SG_NS0_5tupleIJNSA_16discard_iteratorINSA_11use_defaultEEESK_EEENSH_IJSG_SG_EEES6_PlJ7is_evenIiEEEE10hipError_tPvRmT3_T4_T5_T6_T7_T9_mT8_P12ihipStream_tbDpT10_ENKUlT_T0_E_clISt17integral_constantIbLb1EES19_EEDaS14_S15_EUlS14_E_NS1_11comp_targetILNS1_3genE5ELNS1_11target_archE942ELNS1_3gpuE9ELNS1_3repE0EEENS1_30default_config_static_selectorELNS0_4arch9wavefront6targetE1EEEvT1_,@function
_ZN7rocprim17ROCPRIM_400000_NS6detail17trampoline_kernelINS0_14default_configENS1_25partition_config_selectorILNS1_17partition_subalgoE0EiNS0_10empty_typeEbEEZZNS1_14partition_implILS5_0ELb0ES3_jN6thrust23THRUST_200600_302600_NS6detail15normal_iteratorINSA_10device_ptrIiEEEEPS6_SG_NS0_5tupleIJNSA_16discard_iteratorINSA_11use_defaultEEESK_EEENSH_IJSG_SG_EEES6_PlJ7is_evenIiEEEE10hipError_tPvRmT3_T4_T5_T6_T7_T9_mT8_P12ihipStream_tbDpT10_ENKUlT_T0_E_clISt17integral_constantIbLb1EES19_EEDaS14_S15_EUlS14_E_NS1_11comp_targetILNS1_3genE5ELNS1_11target_archE942ELNS1_3gpuE9ELNS1_3repE0EEENS1_30default_config_static_selectorELNS0_4arch9wavefront6targetE1EEEvT1_: ; @_ZN7rocprim17ROCPRIM_400000_NS6detail17trampoline_kernelINS0_14default_configENS1_25partition_config_selectorILNS1_17partition_subalgoE0EiNS0_10empty_typeEbEEZZNS1_14partition_implILS5_0ELb0ES3_jN6thrust23THRUST_200600_302600_NS6detail15normal_iteratorINSA_10device_ptrIiEEEEPS6_SG_NS0_5tupleIJNSA_16discard_iteratorINSA_11use_defaultEEESK_EEENSH_IJSG_SG_EEES6_PlJ7is_evenIiEEEE10hipError_tPvRmT3_T4_T5_T6_T7_T9_mT8_P12ihipStream_tbDpT10_ENKUlT_T0_E_clISt17integral_constantIbLb1EES19_EEDaS14_S15_EUlS14_E_NS1_11comp_targetILNS1_3genE5ELNS1_11target_archE942ELNS1_3gpuE9ELNS1_3repE0EEENS1_30default_config_static_selectorELNS0_4arch9wavefront6targetE1EEEvT1_
; %bb.0:
	s_load_dwordx2 s[2:3], s[0:1], 0x68
	s_load_dwordx4 s[20:23], s[0:1], 0x58
	s_load_dwordx2 s[24:25], s[0:1], 0x78
	v_cmp_eq_u32_e64 s[18:19], 0, v0
	s_and_saveexec_b64 s[4:5], s[18:19]
	s_cbranch_execz .LBB2692_4
; %bb.1:
	s_mov_b64 s[8:9], exec
	v_mbcnt_lo_u32_b32 v1, s8, 0
	v_mbcnt_hi_u32_b32 v1, s9, v1
	v_cmp_eq_u32_e32 vcc, 0, v1
                                        ; implicit-def: $vgpr2
	s_and_saveexec_b64 s[6:7], vcc
	s_cbranch_execz .LBB2692_3
; %bb.2:
	s_load_dwordx2 s[10:11], s[0:1], 0x88
	s_bcnt1_i32_b64 s8, s[8:9]
	v_mov_b32_e32 v2, 0
	v_mov_b32_e32 v3, s8
	s_waitcnt lgkmcnt(0)
	global_atomic_add v2, v2, v3, s[10:11] sc0
.LBB2692_3:
	s_or_b64 exec, exec, s[6:7]
	s_waitcnt vmcnt(0)
	v_readfirstlane_b32 s6, v2
	v_mov_b32_e32 v2, 0
	s_nop 0
	v_add_u32_e32 v1, s6, v1
	ds_write_b32 v2, v1
.LBB2692_4:
	s_or_b64 exec, exec, s[4:5]
	v_mov_b32_e32 v3, 0
	s_load_dwordx4 s[4:7], s[0:1], 0x8
	s_load_dword s8, s[0:1], 0x80
	s_waitcnt lgkmcnt(0)
	s_barrier
	ds_read_b32 v1, v3
	s_waitcnt lgkmcnt(0)
	s_barrier
	global_load_dwordx2 v[18:19], v3, s[22:23]
	s_lshl_b64 s[0:1], s[6:7], 2
	s_add_u32 s10, s4, s0
	s_movk_i32 s0, 0x1e00
	v_mul_lo_u32 v2, v1, s0
	s_mul_i32 s0, s8, 0x1e00
	s_addc_u32 s11, s5, s1
	s_add_i32 s1, s0, s6
	v_mov_b32_e32 v5, s3
	s_add_i32 s3, s8, -1
	s_sub_i32 s4, s2, s1
	s_add_u32 s0, s6, s0
	v_readfirstlane_b32 s30, v1
	s_addc_u32 s1, s7, 0
	s_cmp_eq_u32 s30, s3
	v_mov_b32_e32 v4, s2
	s_cselect_b64 s[22:23], -1, 0
	s_cmp_lg_u32 s30, s3
	v_cmp_lt_u64_e32 vcc, s[0:1], v[4:5]
	s_cselect_b64 s[0:1], -1, 0
	s_or_b64 s[0:1], vcc, s[0:1]
	v_lshlrev_b64 v[4:5], 2, v[2:3]
	v_lshl_add_u64 v[20:21], s[10:11], 0, v[4:5]
	s_mov_b64 s[2:3], -1
	s_and_b64 vcc, exec, s[0:1]
	s_cbranch_vccz .LBB2692_6
; %bb.5:
	v_lshlrev_b32_e32 v2, 2, v0
	v_lshl_add_u64 v[4:5], v[20:21], 0, v[2:3]
	v_add_co_u32_e32 v6, vcc, 0x1000, v4
	s_mov_b64 s[2:3], 0
	s_nop 0
	v_addc_co_u32_e32 v7, vcc, 0, v5, vcc
	v_add_co_u32_e32 v8, vcc, 0x2000, v4
	s_nop 1
	v_addc_co_u32_e32 v9, vcc, 0, v5, vcc
	v_add_co_u32_e32 v10, vcc, 0x3000, v4
	s_nop 1
	v_addc_co_u32_e32 v11, vcc, 0, v5, vcc
	flat_load_dword v1, v[4:5]
	flat_load_dword v3, v[4:5] offset:2048
	flat_load_dword v12, v[6:7]
	flat_load_dword v13, v[6:7] offset:2048
	;; [unrolled: 2-line block ×4, first 2 shown]
	v_add_co_u32_e32 v6, vcc, 0x4000, v4
	s_nop 1
	v_addc_co_u32_e32 v7, vcc, 0, v5, vcc
	v_add_co_u32_e32 v8, vcc, 0x5000, v4
	s_nop 1
	v_addc_co_u32_e32 v9, vcc, 0, v5, vcc
	;; [unrolled: 3-line block ×4, first 2 shown]
	flat_load_dword v22, v[6:7]
	flat_load_dword v23, v[6:7] offset:2048
	flat_load_dword v24, v[8:9]
	flat_load_dword v25, v[8:9] offset:2048
	;; [unrolled: 2-line block ×3, first 2 shown]
	flat_load_dword v28, v[4:5]
	s_waitcnt vmcnt(0) lgkmcnt(0)
	ds_write2st64_b32 v2, v1, v3 offset1:8
	ds_write2st64_b32 v2, v12, v13 offset0:16 offset1:24
	ds_write2st64_b32 v2, v14, v15 offset0:32 offset1:40
	;; [unrolled: 1-line block ×6, first 2 shown]
	ds_write_b32 v2, v28 offset:28672
	s_waitcnt lgkmcnt(0)
	s_barrier
.LBB2692_6:
	s_andn2_b64 vcc, exec, s[2:3]
	s_addk_i32 s4, 0x1e00
	s_cbranch_vccnz .LBB2692_38
; %bb.7:
	v_cmp_gt_u32_e32 vcc, s4, v0
                                        ; implicit-def: $vgpr2_vgpr3_vgpr4_vgpr5_vgpr6_vgpr7_vgpr8_vgpr9_vgpr10_vgpr11_vgpr12_vgpr13_vgpr14_vgpr15_vgpr16_vgpr17
	s_and_saveexec_b64 s[2:3], vcc
	s_cbranch_execz .LBB2692_9
; %bb.8:
	v_lshlrev_b32_e32 v2, 2, v0
	v_mov_b32_e32 v3, 0
	v_lshl_add_u64 v[2:3], v[20:21], 0, v[2:3]
	flat_load_dword v2, v[2:3]
.LBB2692_9:
	s_or_b64 exec, exec, s[2:3]
	v_or_b32_e32 v1, 0x200, v0
	v_cmp_gt_u32_e32 vcc, s4, v1
	s_and_saveexec_b64 s[2:3], vcc
	s_cbranch_execz .LBB2692_11
; %bb.10:
	v_lshlrev_b32_e32 v22, 2, v0
	v_mov_b32_e32 v23, 0
	v_lshl_add_u64 v[22:23], v[20:21], 0, v[22:23]
	flat_load_dword v3, v[22:23] offset:2048
.LBB2692_11:
	s_or_b64 exec, exec, s[2:3]
	v_or_b32_e32 v1, 0x400, v0
	v_cmp_gt_u32_e32 vcc, s4, v1
	s_and_saveexec_b64 s[2:3], vcc
	s_cbranch_execz .LBB2692_13
; %bb.12:
	v_lshlrev_b32_e32 v22, 2, v1
	v_mov_b32_e32 v23, 0
	v_lshl_add_u64 v[22:23], v[20:21], 0, v[22:23]
	flat_load_dword v4, v[22:23]
.LBB2692_13:
	s_or_b64 exec, exec, s[2:3]
	v_or_b32_e32 v1, 0x600, v0
	v_cmp_gt_u32_e32 vcc, s4, v1
	s_and_saveexec_b64 s[2:3], vcc
	s_cbranch_execz .LBB2692_15
; %bb.14:
	v_lshlrev_b32_e32 v22, 2, v1
	v_mov_b32_e32 v23, 0
	v_lshl_add_u64 v[22:23], v[20:21], 0, v[22:23]
	flat_load_dword v5, v[22:23]
.LBB2692_15:
	s_or_b64 exec, exec, s[2:3]
	v_or_b32_e32 v1, 0x800, v0
	v_cmp_gt_u32_e32 vcc, s4, v1
	s_and_saveexec_b64 s[2:3], vcc
	s_cbranch_execz .LBB2692_17
; %bb.16:
	v_lshlrev_b32_e32 v22, 2, v1
	v_mov_b32_e32 v23, 0
	v_lshl_add_u64 v[22:23], v[20:21], 0, v[22:23]
	flat_load_dword v6, v[22:23]
.LBB2692_17:
	s_or_b64 exec, exec, s[2:3]
	v_or_b32_e32 v1, 0xa00, v0
	v_cmp_gt_u32_e32 vcc, s4, v1
	s_and_saveexec_b64 s[2:3], vcc
	s_cbranch_execz .LBB2692_19
; %bb.18:
	v_lshlrev_b32_e32 v22, 2, v1
	v_mov_b32_e32 v23, 0
	v_lshl_add_u64 v[22:23], v[20:21], 0, v[22:23]
	flat_load_dword v7, v[22:23]
.LBB2692_19:
	s_or_b64 exec, exec, s[2:3]
	v_or_b32_e32 v1, 0xc00, v0
	v_cmp_gt_u32_e32 vcc, s4, v1
	s_and_saveexec_b64 s[2:3], vcc
	s_cbranch_execz .LBB2692_21
; %bb.20:
	v_lshlrev_b32_e32 v22, 2, v1
	v_mov_b32_e32 v23, 0
	v_lshl_add_u64 v[22:23], v[20:21], 0, v[22:23]
	flat_load_dword v8, v[22:23]
.LBB2692_21:
	s_or_b64 exec, exec, s[2:3]
	v_or_b32_e32 v1, 0xe00, v0
	v_cmp_gt_u32_e32 vcc, s4, v1
	s_and_saveexec_b64 s[2:3], vcc
	s_cbranch_execz .LBB2692_23
; %bb.22:
	v_lshlrev_b32_e32 v22, 2, v1
	v_mov_b32_e32 v23, 0
	v_lshl_add_u64 v[22:23], v[20:21], 0, v[22:23]
	flat_load_dword v9, v[22:23]
.LBB2692_23:
	s_or_b64 exec, exec, s[2:3]
	v_or_b32_e32 v1, 0x1000, v0
	v_cmp_gt_u32_e32 vcc, s4, v1
	s_and_saveexec_b64 s[2:3], vcc
	s_cbranch_execz .LBB2692_25
; %bb.24:
	v_lshlrev_b32_e32 v22, 2, v1
	v_mov_b32_e32 v23, 0
	v_lshl_add_u64 v[22:23], v[20:21], 0, v[22:23]
	flat_load_dword v10, v[22:23]
.LBB2692_25:
	s_or_b64 exec, exec, s[2:3]
	v_or_b32_e32 v1, 0x1200, v0
	v_cmp_gt_u32_e32 vcc, s4, v1
	s_and_saveexec_b64 s[2:3], vcc
	s_cbranch_execz .LBB2692_27
; %bb.26:
	v_lshlrev_b32_e32 v22, 2, v1
	v_mov_b32_e32 v23, 0
	v_lshl_add_u64 v[22:23], v[20:21], 0, v[22:23]
	flat_load_dword v11, v[22:23]
.LBB2692_27:
	s_or_b64 exec, exec, s[2:3]
	v_or_b32_e32 v1, 0x1400, v0
	v_cmp_gt_u32_e32 vcc, s4, v1
	s_and_saveexec_b64 s[2:3], vcc
	s_cbranch_execz .LBB2692_29
; %bb.28:
	v_lshlrev_b32_e32 v22, 2, v1
	v_mov_b32_e32 v23, 0
	v_lshl_add_u64 v[22:23], v[20:21], 0, v[22:23]
	flat_load_dword v12, v[22:23]
.LBB2692_29:
	s_or_b64 exec, exec, s[2:3]
	v_or_b32_e32 v1, 0x1600, v0
	v_cmp_gt_u32_e32 vcc, s4, v1
	s_and_saveexec_b64 s[2:3], vcc
	s_cbranch_execz .LBB2692_31
; %bb.30:
	v_lshlrev_b32_e32 v22, 2, v1
	v_mov_b32_e32 v23, 0
	v_lshl_add_u64 v[22:23], v[20:21], 0, v[22:23]
	flat_load_dword v13, v[22:23]
.LBB2692_31:
	s_or_b64 exec, exec, s[2:3]
	v_or_b32_e32 v1, 0x1800, v0
	v_cmp_gt_u32_e32 vcc, s4, v1
	s_and_saveexec_b64 s[2:3], vcc
	s_cbranch_execz .LBB2692_33
; %bb.32:
	v_lshlrev_b32_e32 v22, 2, v1
	v_mov_b32_e32 v23, 0
	v_lshl_add_u64 v[22:23], v[20:21], 0, v[22:23]
	flat_load_dword v14, v[22:23]
.LBB2692_33:
	s_or_b64 exec, exec, s[2:3]
	v_or_b32_e32 v1, 0x1a00, v0
	v_cmp_gt_u32_e32 vcc, s4, v1
	s_and_saveexec_b64 s[2:3], vcc
	s_cbranch_execz .LBB2692_35
; %bb.34:
	v_lshlrev_b32_e32 v22, 2, v1
	v_mov_b32_e32 v23, 0
	v_lshl_add_u64 v[22:23], v[20:21], 0, v[22:23]
	flat_load_dword v15, v[22:23]
.LBB2692_35:
	s_or_b64 exec, exec, s[2:3]
	v_or_b32_e32 v1, 0x1c00, v0
	v_cmp_gt_u32_e32 vcc, s4, v1
	s_and_saveexec_b64 s[2:3], vcc
	s_cbranch_execz .LBB2692_37
; %bb.36:
	v_lshlrev_b32_e32 v16, 2, v1
	v_mov_b32_e32 v17, 0
	v_lshl_add_u64 v[16:17], v[20:21], 0, v[16:17]
	flat_load_dword v16, v[16:17]
.LBB2692_37:
	s_or_b64 exec, exec, s[2:3]
	v_lshlrev_b32_e32 v1, 2, v0
	s_waitcnt vmcnt(0) lgkmcnt(0)
	ds_write2st64_b32 v1, v2, v3 offset1:8
	ds_write2st64_b32 v1, v4, v5 offset0:16 offset1:24
	ds_write2st64_b32 v1, v6, v7 offset0:32 offset1:40
	;; [unrolled: 1-line block ×6, first 2 shown]
	ds_write_b32 v1, v16 offset:28672
	s_waitcnt lgkmcnt(0)
	s_barrier
.LBB2692_38:
	v_mul_u32_u24_e32 v38, 15, v0
	v_lshlrev_b32_e32 v1, 2, v38
	ds_read2_b32 v[32:33], v1 offset1:1
	ds_read2_b32 v[30:31], v1 offset0:2 offset1:3
	ds_read2_b32 v[28:29], v1 offset0:4 offset1:5
	;; [unrolled: 1-line block ×6, first 2 shown]
	ds_read_b32 v1, v1 offset:56
	s_andn2_b64 vcc, exec, s[0:1]
	s_waitcnt lgkmcnt(7)
	v_xor_b32_e32 v16, -1, v32
	v_xor_b32_e32 v15, -1, v33
	s_waitcnt lgkmcnt(6)
	v_xor_b32_e32 v14, -1, v30
	v_xor_b32_e32 v13, -1, v31
	;; [unrolled: 3-line block ×7, first 2 shown]
	s_waitcnt lgkmcnt(0)
	v_xor_b32_e32 v2, -1, v1
	s_barrier
	s_cbranch_vccnz .LBB2692_40
; %bb.39:
	v_and_b32_e32 v51, 1, v16
	v_and_b32_e32 v50, 1, v15
	;; [unrolled: 1-line block ×15, first 2 shown]
	s_cbranch_execz .LBB2692_41
	s_branch .LBB2692_42
.LBB2692_40:
                                        ; implicit-def: $vgpr36
                                        ; implicit-def: $vgpr37
                                        ; implicit-def: $vgpr39
                                        ; implicit-def: $vgpr40
                                        ; implicit-def: $vgpr41
                                        ; implicit-def: $vgpr42
                                        ; implicit-def: $vgpr43
                                        ; implicit-def: $vgpr44
                                        ; implicit-def: $vgpr45
                                        ; implicit-def: $vgpr51
                                        ; implicit-def: $vgpr50
                                        ; implicit-def: $vgpr49
                                        ; implicit-def: $vgpr48
                                        ; implicit-def: $vgpr47
                                        ; implicit-def: $vgpr46
.LBB2692_41:
	v_add_u32_e32 v45, 1, v38
	v_cmp_gt_u32_e32 vcc, s4, v38
	v_add_u32_e32 v17, 2, v38
	v_add_u32_e32 v44, 3, v38
	v_cndmask_b32_e64 v46, 0, 1, vcc
	v_cmp_gt_u32_e32 vcc, s4, v45
	v_and_b32_e32 v51, v46, v16
	v_add_u32_e32 v34, 4, v38
	v_cndmask_b32_e64 v16, 0, 1, vcc
	v_cmp_gt_u32_e32 vcc, s4, v17
	v_and_b32_e32 v50, v16, v15
	;; [unrolled: 4-line block ×12, first 2 shown]
	s_nop 0
	v_cndmask_b32_e64 v5, 0, 1, vcc
	v_cmp_gt_u32_e32 vcc, s4, v53
	v_and_b32_e32 v39, v5, v4
	s_nop 0
	v_cndmask_b32_e64 v4, 0, 1, vcc
	v_cmp_gt_u32_e32 vcc, s4, v52
	v_and_b32_e32 v37, v4, v3
	s_nop 0
	v_cndmask_b32_e64 v3, 0, 1, vcc
	v_and_b32_e32 v36, v3, v2
.LBB2692_42:
	v_and_b32_e32 v55, 0xff, v48
	v_and_b32_e32 v56, 0xff, v47
	v_and_b32_e32 v57, 0xff, v46
	v_and_b32_e32 v53, 0xff, v50
	v_and_b32_e32 v54, 0xff, v49
	v_add3_u32 v3, v56, v57, v55
	v_and_b32_e32 v52, 0xff, v51
	v_and_b32_e32 v58, 0xff, v45
	v_add3_u32 v3, v3, v54, v53
	v_and_b32_e32 v59, 0xff, v44
	v_and_b32_e32 v60, 0xff, v43
	;; [unrolled: 3-line block ×5, first 2 shown]
	v_add3_u32 v3, v3, v63, v64
	v_add3_u32 v68, v3, v65, v2
	v_mbcnt_lo_u32_b32 v2, -1, 0
	v_mbcnt_hi_u32_b32 v66, -1, v2
	v_and_b32_e32 v2, 15, v66
	v_cmp_eq_u32_e64 s[14:15], 0, v2
	v_cmp_lt_u32_e64 s[12:13], 1, v2
	v_cmp_lt_u32_e64 s[10:11], 3, v2
	;; [unrolled: 1-line block ×3, first 2 shown]
	v_and_b32_e32 v2, 16, v66
	v_cmp_eq_u32_e64 s[6:7], 0, v2
	v_or_b32_e32 v2, 63, v0
	s_cmp_lg_u32 s30, 0
	v_cmp_lt_u32_e64 s[2:3], 31, v66
	v_lshrrev_b32_e32 v67, 6, v0
	v_cmp_eq_u32_e64 s[4:5], v2, v0
	s_cbranch_scc0 .LBB2692_73
; %bb.43:
	v_mov_b32_dpp v2, v68 row_shr:1 row_mask:0xf bank_mask:0xf
	v_cndmask_b32_e64 v2, v2, 0, s[14:15]
	v_add_u32_e32 v2, v2, v68
	s_nop 1
	v_mov_b32_dpp v3, v2 row_shr:2 row_mask:0xf bank_mask:0xf
	v_cndmask_b32_e64 v3, 0, v3, s[12:13]
	v_add_u32_e32 v2, v2, v3
	s_nop 1
	;; [unrolled: 4-line block ×4, first 2 shown]
	v_mov_b32_dpp v3, v2 row_bcast:15 row_mask:0xf bank_mask:0xf
	v_cndmask_b32_e64 v3, v3, 0, s[6:7]
	v_add_u32_e32 v2, v2, v3
	s_nop 1
	v_mov_b32_dpp v3, v2 row_bcast:31 row_mask:0xf bank_mask:0xf
	v_cndmask_b32_e64 v3, 0, v3, s[2:3]
	v_add_u32_e32 v2, v2, v3
	s_and_saveexec_b64 s[0:1], s[4:5]
	s_cbranch_execz .LBB2692_45
; %bb.44:
	v_lshlrev_b32_e32 v3, 2, v67
	ds_write_b32 v3, v2
.LBB2692_45:
	s_or_b64 exec, exec, s[0:1]
	v_cmp_gt_u32_e32 vcc, 8, v0
	s_waitcnt lgkmcnt(0)
	s_barrier
	s_and_saveexec_b64 s[0:1], vcc
	s_cbranch_execz .LBB2692_47
; %bb.46:
	v_lshlrev_b32_e32 v3, 2, v0
	ds_read_b32 v4, v3
	v_and_b32_e32 v5, 7, v66
	v_cmp_ne_u32_e32 vcc, 0, v5
	s_waitcnt lgkmcnt(0)
	v_mov_b32_dpp v6, v4 row_shr:1 row_mask:0xf bank_mask:0xf
	v_cndmask_b32_e32 v6, 0, v6, vcc
	v_add_u32_e32 v4, v6, v4
	v_cmp_lt_u32_e32 vcc, 1, v5
	s_nop 0
	v_mov_b32_dpp v6, v4 row_shr:2 row_mask:0xf bank_mask:0xf
	v_cndmask_b32_e32 v6, 0, v6, vcc
	v_add_u32_e32 v4, v4, v6
	v_cmp_lt_u32_e32 vcc, 3, v5
	s_nop 0
	v_mov_b32_dpp v6, v4 row_shr:4 row_mask:0xf bank_mask:0xf
	v_cndmask_b32_e32 v5, 0, v6, vcc
	v_add_u32_e32 v4, v4, v5
	ds_write_b32 v3, v4
.LBB2692_47:
	s_or_b64 exec, exec, s[0:1]
	v_cmp_gt_u32_e32 vcc, 64, v0
	v_cmp_lt_u32_e64 s[0:1], 63, v0
	s_waitcnt lgkmcnt(0)
	s_barrier
	s_waitcnt lgkmcnt(0)
                                        ; implicit-def: $vgpr12
	s_and_saveexec_b64 s[16:17], s[0:1]
	s_cbranch_execz .LBB2692_49
; %bb.48:
	v_lshl_add_u32 v3, v67, 2, -4
	ds_read_b32 v12, v3
	s_waitcnt lgkmcnt(0)
	v_add_u32_e32 v2, v12, v2
.LBB2692_49:
	s_or_b64 exec, exec, s[16:17]
	v_add_u32_e32 v3, -1, v66
	v_and_b32_e32 v4, 64, v66
	v_cmp_lt_i32_e64 s[0:1], v3, v4
	v_cmp_eq_u32_e64 s[16:17], 0, v66
	s_nop 0
	v_cndmask_b32_e64 v3, v3, v66, s[0:1]
	v_lshlrev_b32_e32 v3, 2, v3
	ds_bpermute_b32 v13, v3, v2
	s_and_saveexec_b64 s[0:1], vcc
	s_cbranch_execz .LBB2692_72
; %bb.50:
	v_mov_b32_e32 v11, 0
	ds_read_b32 v2, v11 offset:28
	s_and_saveexec_b64 s[26:27], s[16:17]
	s_cbranch_execz .LBB2692_52
; %bb.51:
	s_add_i32 s28, s30, 64
	s_mov_b32 s29, 0
	s_lshl_b64 s[28:29], s[28:29], 3
	s_add_u32 s28, s24, s28
	v_mov_b32_e32 v3, 1
	s_addc_u32 s29, s25, s29
	s_waitcnt lgkmcnt(0)
	global_store_dwordx2 v11, v[2:3], s[28:29] sc1
.LBB2692_52:
	s_or_b64 exec, exec, s[26:27]
	v_xad_u32 v4, v66, -1, s30
	v_add_u32_e32 v10, 64, v4
	v_lshl_add_u64 v[6:7], v[10:11], 3, s[24:25]
	global_load_dwordx2 v[8:9], v[6:7], off sc1
	s_waitcnt vmcnt(0)
	v_cmp_eq_u16_sdwa s[28:29], v9, v11 src0_sel:BYTE_0 src1_sel:DWORD
	s_and_saveexec_b64 s[26:27], s[28:29]
	s_cbranch_execz .LBB2692_58
; %bb.53:
	s_mov_b32 s31, 1
	s_mov_b64 s[28:29], 0
	v_mov_b32_e32 v3, 0
.LBB2692_54:                            ; =>This Loop Header: Depth=1
                                        ;     Child Loop BB2692_55 Depth 2
	s_max_u32 s33, s31, 1
.LBB2692_55:                            ;   Parent Loop BB2692_54 Depth=1
                                        ; =>  This Inner Loop Header: Depth=2
	s_add_i32 s33, s33, -1
	s_cmp_eq_u32 s33, 0
	s_sleep 1
	s_cbranch_scc0 .LBB2692_55
; %bb.56:                               ;   in Loop: Header=BB2692_54 Depth=1
	global_load_dwordx2 v[8:9], v[6:7], off sc1
	s_cmp_lt_u32 s31, 32
	s_cselect_b64 s[34:35], -1, 0
	s_cmp_lg_u64 s[34:35], 0
	s_addc_u32 s31, s31, 0
	s_waitcnt vmcnt(0)
	v_cmp_ne_u16_sdwa s[34:35], v9, v3 src0_sel:BYTE_0 src1_sel:DWORD
	s_or_b64 s[28:29], s[34:35], s[28:29]
	s_andn2_b64 exec, exec, s[28:29]
	s_cbranch_execnz .LBB2692_54
; %bb.57:
	s_or_b64 exec, exec, s[28:29]
.LBB2692_58:
	s_or_b64 exec, exec, s[26:27]
	v_and_b32_e32 v15, 63, v66
	v_mov_b32_e32 v14, 2
	v_cmp_ne_u32_e32 vcc, 63, v15
	v_cmp_eq_u16_sdwa s[26:27], v9, v14 src0_sel:BYTE_0 src1_sel:DWORD
	v_lshlrev_b64 v[6:7], v66, -1
	v_addc_co_u32_e32 v10, vcc, 0, v66, vcc
	v_and_b32_e32 v3, s27, v7
	v_lshlrev_b32_e32 v16, 2, v10
	v_or_b32_e32 v3, 0x80000000, v3
	ds_bpermute_b32 v10, v16, v8
	v_and_b32_e32 v5, s26, v6
	v_ffbl_b32_e32 v3, v3
	v_add_u32_e32 v3, 32, v3
	v_ffbl_b32_e32 v5, v5
	v_min_u32_e32 v3, v5, v3
	v_cmp_lt_u32_e32 vcc, v15, v3
	v_add_u32_e32 v34, 2, v15
	v_add_u32_e32 v69, 4, v15
	s_waitcnt lgkmcnt(0)
	v_cndmask_b32_e32 v5, 0, v10, vcc
	v_cmp_gt_u32_e32 vcc, 62, v15
	v_add_u32_e32 v5, v5, v8
	v_add_u32_e32 v71, 8, v15
	v_cndmask_b32_e64 v8, 0, 1, vcc
	v_lshlrev_b32_e32 v8, 1, v8
	v_add_lshl_u32 v17, v8, v66, 2
	ds_bpermute_b32 v8, v17, v5
	v_cmp_le_u32_e32 vcc, v34, v3
	v_add_u32_e32 v73, 16, v15
	v_add_u32_e32 v75, 32, v15
	s_waitcnt lgkmcnt(0)
	v_cndmask_b32_e32 v8, 0, v8, vcc
	v_cmp_gt_u32_e32 vcc, 60, v15
	v_add_u32_e32 v5, v5, v8
	s_nop 0
	v_cndmask_b32_e64 v8, 0, 1, vcc
	v_lshlrev_b32_e32 v8, 2, v8
	v_add_lshl_u32 v35, v8, v66, 2
	ds_bpermute_b32 v8, v35, v5
	v_cmp_le_u32_e32 vcc, v69, v3
	s_waitcnt lgkmcnt(0)
	s_nop 0
	v_cndmask_b32_e32 v8, 0, v8, vcc
	v_cmp_gt_u32_e32 vcc, 56, v15
	v_add_u32_e32 v5, v5, v8
	s_nop 0
	v_cndmask_b32_e64 v8, 0, 1, vcc
	v_lshlrev_b32_e32 v8, 3, v8
	v_add_lshl_u32 v70, v8, v66, 2
	ds_bpermute_b32 v8, v70, v5
	v_cmp_le_u32_e32 vcc, v71, v3
	s_waitcnt lgkmcnt(0)
	s_nop 0
	;; [unrolled: 11-line block ×4, first 2 shown]
	v_cndmask_b32_e32 v3, 0, v8, vcc
	v_add_u32_e32 v8, v5, v3
	v_mov_b32_e32 v5, 0
	s_branch .LBB2692_60
.LBB2692_59:                            ;   in Loop: Header=BB2692_60 Depth=1
	s_or_b64 exec, exec, s[26:27]
	v_cmp_eq_u16_sdwa s[26:27], v9, v14 src0_sel:BYTE_0 src1_sel:DWORD
	ds_bpermute_b32 v76, v16, v8
	v_subrev_u32_e32 v4, 64, v4
	v_and_b32_e32 v10, s27, v7
	v_or_b32_e32 v10, 0x80000000, v10
	v_and_b32_e32 v11, s26, v6
	v_ffbl_b32_e32 v10, v10
	v_add_u32_e32 v10, 32, v10
	v_ffbl_b32_e32 v11, v11
	v_min_u32_e32 v10, v11, v10
	v_cmp_lt_u32_e32 vcc, v15, v10
	s_waitcnt lgkmcnt(0)
	s_nop 0
	v_cndmask_b32_e32 v11, 0, v76, vcc
	v_add_u32_e32 v8, v11, v8
	ds_bpermute_b32 v11, v17, v8
	v_cmp_le_u32_e32 vcc, v34, v10
	s_waitcnt lgkmcnt(0)
	s_nop 0
	v_cndmask_b32_e32 v11, 0, v11, vcc
	v_add_u32_e32 v8, v8, v11
	ds_bpermute_b32 v11, v35, v8
	v_cmp_le_u32_e32 vcc, v69, v10
	;; [unrolled: 6-line block ×5, first 2 shown]
	s_waitcnt lgkmcnt(0)
	s_nop 0
	v_cndmask_b32_e32 v10, 0, v11, vcc
	v_add3_u32 v8, v10, v3, v8
.LBB2692_60:                            ; =>This Loop Header: Depth=1
                                        ;     Child Loop BB2692_63 Depth 2
                                        ;       Child Loop BB2692_64 Depth 3
	v_cmp_ne_u16_sdwa s[26:27], v9, v14 src0_sel:BYTE_0 src1_sel:DWORD
	s_nop 1
	v_cndmask_b32_e64 v3, 0, 1, s[26:27]
	;;#ASMSTART
	;;#ASMEND
	s_nop 0
	v_cmp_ne_u32_e32 vcc, 0, v3
	s_cmp_lg_u64 vcc, exec
	v_mov_b32_e32 v3, v8
	s_cbranch_scc1 .LBB2692_67
; %bb.61:                               ;   in Loop: Header=BB2692_60 Depth=1
	v_lshl_add_u64 v[10:11], v[4:5], 3, s[24:25]
	global_load_dwordx2 v[8:9], v[10:11], off sc1
	s_waitcnt vmcnt(0)
	v_cmp_eq_u16_sdwa s[28:29], v9, v5 src0_sel:BYTE_0 src1_sel:DWORD
	s_and_saveexec_b64 s[26:27], s[28:29]
	s_cbranch_execz .LBB2692_59
; %bb.62:                               ;   in Loop: Header=BB2692_60 Depth=1
	s_mov_b32 s31, 1
	s_mov_b64 s[28:29], 0
.LBB2692_63:                            ;   Parent Loop BB2692_60 Depth=1
                                        ; =>  This Loop Header: Depth=2
                                        ;       Child Loop BB2692_64 Depth 3
	s_max_u32 s33, s31, 1
.LBB2692_64:                            ;   Parent Loop BB2692_60 Depth=1
                                        ;     Parent Loop BB2692_63 Depth=2
                                        ; =>    This Inner Loop Header: Depth=3
	s_add_i32 s33, s33, -1
	s_cmp_eq_u32 s33, 0
	s_sleep 1
	s_cbranch_scc0 .LBB2692_64
; %bb.65:                               ;   in Loop: Header=BB2692_63 Depth=2
	global_load_dwordx2 v[8:9], v[10:11], off sc1
	s_cmp_lt_u32 s31, 32
	s_cselect_b64 s[34:35], -1, 0
	s_cmp_lg_u64 s[34:35], 0
	s_addc_u32 s31, s31, 0
	s_waitcnt vmcnt(0)
	v_cmp_ne_u16_sdwa s[34:35], v9, v5 src0_sel:BYTE_0 src1_sel:DWORD
	s_or_b64 s[28:29], s[34:35], s[28:29]
	s_andn2_b64 exec, exec, s[28:29]
	s_cbranch_execnz .LBB2692_63
; %bb.66:                               ;   in Loop: Header=BB2692_60 Depth=1
	s_or_b64 exec, exec, s[28:29]
	s_branch .LBB2692_59
.LBB2692_67:                            ;   in Loop: Header=BB2692_60 Depth=1
                                        ; implicit-def: $vgpr8
                                        ; implicit-def: $vgpr9
	s_cbranch_execz .LBB2692_60
; %bb.68:
	s_and_saveexec_b64 s[26:27], s[16:17]
	s_cbranch_execz .LBB2692_70
; %bb.69:
	s_add_i32 s28, s30, 64
	s_mov_b32 s29, 0
	s_lshl_b64 s[28:29], s[28:29], 3
	s_add_u32 s28, s24, s28
	v_add_u32_e32 v4, v3, v2
	v_mov_b32_e32 v5, 2
	s_addc_u32 s29, s25, s29
	v_mov_b32_e32 v6, 0
	global_store_dwordx2 v6, v[4:5], s[28:29] sc1
	ds_write_b64 v6, v[2:3] offset:30720
.LBB2692_70:
	s_or_b64 exec, exec, s[26:27]
	s_and_b64 exec, exec, s[18:19]
	s_cbranch_execz .LBB2692_72
; %bb.71:
	v_mov_b32_e32 v2, 0
	ds_write_b32 v2, v3 offset:28
.LBB2692_72:
	s_or_b64 exec, exec, s[0:1]
	v_mov_b32_e32 v14, 0
	s_waitcnt lgkmcnt(0)
	s_barrier
	ds_read_b32 v2, v14 offset:28
	v_cndmask_b32_e64 v3, v13, v12, s[16:17]
	v_cndmask_b32_e64 v3, v3, 0, s[18:19]
	s_waitcnt lgkmcnt(0)
	s_barrier
	v_add_u32_e32 v2, v2, v3
	v_add_u32_e32 v3, v2, v52
	;; [unrolled: 1-line block ×11, first 2 shown]
	ds_read_b64 v[34:35], v14 offset:30720
	v_add_u32_e32 v13, v12, v62
	v_add_u32_e32 v14, v13, v63
	;; [unrolled: 1-line block ×4, first 2 shown]
	s_branch .LBB2692_83
.LBB2692_73:
                                        ; implicit-def: $vgpr35
                                        ; implicit-def: $vgpr2_vgpr3_vgpr4_vgpr5_vgpr6_vgpr7_vgpr8_vgpr9_vgpr10_vgpr11_vgpr12_vgpr13_vgpr14_vgpr15_vgpr16_vgpr17
	s_cbranch_execz .LBB2692_83
; %bb.74:
	s_nop 0
	v_mov_b32_dpp v2, v68 row_shr:1 row_mask:0xf bank_mask:0xf
	v_cndmask_b32_e64 v2, v2, 0, s[14:15]
	v_add_u32_e32 v2, v2, v68
	s_nop 1
	v_mov_b32_dpp v3, v2 row_shr:2 row_mask:0xf bank_mask:0xf
	v_cndmask_b32_e64 v3, 0, v3, s[12:13]
	v_add_u32_e32 v2, v2, v3
	s_nop 1
	v_mov_b32_dpp v3, v2 row_shr:4 row_mask:0xf bank_mask:0xf
	v_cndmask_b32_e64 v3, 0, v3, s[10:11]
	v_add_u32_e32 v2, v2, v3
	s_nop 1
	v_mov_b32_dpp v3, v2 row_shr:8 row_mask:0xf bank_mask:0xf
	v_cndmask_b32_e64 v3, 0, v3, s[8:9]
	v_add_u32_e32 v2, v2, v3
	s_nop 1
	v_mov_b32_dpp v3, v2 row_bcast:15 row_mask:0xf bank_mask:0xf
	v_cndmask_b32_e64 v3, v3, 0, s[6:7]
	v_add_u32_e32 v2, v2, v3
	s_nop 1
	v_mov_b32_dpp v3, v2 row_bcast:31 row_mask:0xf bank_mask:0xf
	v_cndmask_b32_e64 v3, 0, v3, s[2:3]
	v_add_u32_e32 v2, v2, v3
	s_and_saveexec_b64 s[0:1], s[4:5]
	s_cbranch_execz .LBB2692_76
; %bb.75:
	v_lshlrev_b32_e32 v3, 2, v67
	ds_write_b32 v3, v2
.LBB2692_76:
	s_or_b64 exec, exec, s[0:1]
	v_cmp_gt_u32_e32 vcc, 8, v0
	s_waitcnt lgkmcnt(0)
	s_barrier
	s_and_saveexec_b64 s[0:1], vcc
	s_cbranch_execz .LBB2692_78
; %bb.77:
	v_lshlrev_b32_e32 v3, 2, v0
	ds_read_b32 v4, v3
	v_and_b32_e32 v5, 7, v66
	v_cmp_ne_u32_e32 vcc, 0, v5
	s_waitcnt lgkmcnt(0)
	v_mov_b32_dpp v6, v4 row_shr:1 row_mask:0xf bank_mask:0xf
	v_cndmask_b32_e32 v6, 0, v6, vcc
	v_add_u32_e32 v4, v6, v4
	v_cmp_lt_u32_e32 vcc, 1, v5
	s_nop 0
	v_mov_b32_dpp v6, v4 row_shr:2 row_mask:0xf bank_mask:0xf
	v_cndmask_b32_e32 v6, 0, v6, vcc
	v_add_u32_e32 v4, v4, v6
	v_cmp_lt_u32_e32 vcc, 3, v5
	s_nop 0
	v_mov_b32_dpp v6, v4 row_shr:4 row_mask:0xf bank_mask:0xf
	v_cndmask_b32_e32 v5, 0, v6, vcc
	v_add_u32_e32 v4, v4, v5
	ds_write_b32 v3, v4
.LBB2692_78:
	s_or_b64 exec, exec, s[0:1]
	v_cmp_lt_u32_e32 vcc, 63, v0
	v_mov_b32_e32 v3, 0
	v_mov_b32_e32 v0, 0
	s_waitcnt lgkmcnt(0)
	s_barrier
	s_and_saveexec_b64 s[0:1], vcc
	s_cbranch_execz .LBB2692_80
; %bb.79:
	v_lshl_add_u32 v0, v67, 2, -4
	ds_read_b32 v0, v0
.LBB2692_80:
	s_or_b64 exec, exec, s[0:1]
	v_add_u32_e32 v4, -1, v66
	v_and_b32_e32 v5, 64, v66
	v_cmp_lt_i32_e32 vcc, v4, v5
	s_waitcnt lgkmcnt(0)
	v_add_u32_e32 v2, v0, v2
	ds_read_b32 v34, v3 offset:28
	v_cndmask_b32_e32 v4, v4, v66, vcc
	v_lshlrev_b32_e32 v4, 2, v4
	ds_bpermute_b32 v2, v4, v2
	s_and_saveexec_b64 s[0:1], s[18:19]
	s_cbranch_execz .LBB2692_82
; %bb.81:
	v_mov_b32_e32 v3, 0
	v_mov_b32_e32 v35, 2
	s_waitcnt lgkmcnt(1)
	global_store_dwordx2 v3, v[34:35], s[24:25] offset:512 sc1
.LBB2692_82:
	s_or_b64 exec, exec, s[0:1]
	v_cmp_eq_u32_e32 vcc, 0, v66
	v_mov_b32_e32 v35, 0
	s_waitcnt lgkmcnt(0)
	v_cndmask_b32_e32 v0, v2, v0, vcc
	v_cndmask_b32_e64 v2, v0, 0, s[18:19]
	v_add_u32_e32 v3, v2, v52
	v_add_u32_e32 v4, v3, v53
	;; [unrolled: 1-line block ×14, first 2 shown]
	s_barrier
.LBB2692_83:
	s_waitcnt lgkmcnt(0)
	v_add_u32_e32 v0, v34, v38
	v_sub_u32_e32 v2, v2, v35
	v_and_b32_e32 v38, 1, v51
	v_sub_u32_e32 v17, v0, v2
	v_cmp_eq_u32_e32 vcc, 1, v38
	s_and_b64 s[0:1], s[18:19], s[22:23]
	s_nop 0
	v_cndmask_b32_e32 v2, v17, v2, vcc
	v_lshlrev_b32_e32 v2, 2, v2
	ds_write_b32 v2, v32
	v_sub_u32_e32 v2, v3, v35
	v_sub_u32_e32 v3, v0, v2
	v_and_b32_e32 v17, 1, v50
	v_add_u32_e32 v3, 1, v3
	v_cmp_eq_u32_e32 vcc, 1, v17
	s_nop 1
	v_cndmask_b32_e32 v2, v3, v2, vcc
	v_lshlrev_b32_e32 v2, 2, v2
	ds_write_b32 v2, v33
	v_sub_u32_e32 v2, v4, v35
	v_sub_u32_e32 v3, v0, v2
	v_and_b32_e32 v4, 1, v49
	v_add_u32_e32 v3, 2, v3
	v_cmp_eq_u32_e32 vcc, 1, v4
	v_and_b32_e32 v4, 1, v48
	s_nop 0
	v_cndmask_b32_e32 v2, v3, v2, vcc
	v_lshlrev_b32_e32 v2, 2, v2
	ds_write_b32 v2, v30
	v_sub_u32_e32 v2, v5, v35
	v_sub_u32_e32 v3, v0, v2
	v_add_u32_e32 v3, 3, v3
	v_cmp_eq_u32_e32 vcc, 1, v4
	v_and_b32_e32 v4, 1, v47
	s_nop 0
	v_cndmask_b32_e32 v2, v3, v2, vcc
	v_lshlrev_b32_e32 v2, 2, v2
	ds_write_b32 v2, v31
	v_sub_u32_e32 v2, v6, v35
	v_sub_u32_e32 v3, v0, v2
	v_add_u32_e32 v3, 4, v3
	v_cmp_eq_u32_e32 vcc, 1, v4
	v_and_b32_e32 v4, 1, v46
	s_nop 0
	v_cndmask_b32_e32 v2, v3, v2, vcc
	v_lshlrev_b32_e32 v2, 2, v2
	ds_write_b32 v2, v28
	v_sub_u32_e32 v2, v7, v35
	v_sub_u32_e32 v3, v0, v2
	v_add_u32_e32 v3, 5, v3
	v_cmp_eq_u32_e32 vcc, 1, v4
	v_and_b32_e32 v4, 1, v45
	s_nop 0
	v_cndmask_b32_e32 v2, v3, v2, vcc
	v_lshlrev_b32_e32 v2, 2, v2
	ds_write_b32 v2, v29
	v_sub_u32_e32 v2, v8, v35
	v_sub_u32_e32 v3, v0, v2
	v_add_u32_e32 v3, 6, v3
	v_cmp_eq_u32_e32 vcc, 1, v4
	v_and_b32_e32 v4, 1, v44
	s_nop 0
	v_cndmask_b32_e32 v2, v3, v2, vcc
	v_lshlrev_b32_e32 v2, 2, v2
	ds_write_b32 v2, v26
	v_sub_u32_e32 v2, v9, v35
	v_sub_u32_e32 v3, v0, v2
	v_add_u32_e32 v3, 7, v3
	v_cmp_eq_u32_e32 vcc, 1, v4
	v_and_b32_e32 v4, 1, v43
	s_nop 0
	v_cndmask_b32_e32 v2, v3, v2, vcc
	v_lshlrev_b32_e32 v2, 2, v2
	ds_write_b32 v2, v27
	v_sub_u32_e32 v2, v10, v35
	v_sub_u32_e32 v3, v0, v2
	v_add_u32_e32 v3, 8, v3
	v_cmp_eq_u32_e32 vcc, 1, v4
	v_and_b32_e32 v4, 1, v42
	s_nop 0
	v_cndmask_b32_e32 v2, v3, v2, vcc
	v_lshlrev_b32_e32 v2, 2, v2
	ds_write_b32 v2, v24
	v_sub_u32_e32 v2, v11, v35
	v_sub_u32_e32 v3, v0, v2
	v_add_u32_e32 v3, 9, v3
	v_cmp_eq_u32_e32 vcc, 1, v4
	v_and_b32_e32 v4, 1, v41
	s_nop 0
	v_cndmask_b32_e32 v2, v3, v2, vcc
	v_lshlrev_b32_e32 v2, 2, v2
	ds_write_b32 v2, v25
	v_sub_u32_e32 v2, v12, v35
	v_sub_u32_e32 v3, v0, v2
	v_add_u32_e32 v3, 10, v3
	v_cmp_eq_u32_e32 vcc, 1, v4
	v_and_b32_e32 v4, 1, v40
	s_nop 0
	v_cndmask_b32_e32 v2, v3, v2, vcc
	v_lshlrev_b32_e32 v2, 2, v2
	ds_write_b32 v2, v22
	v_sub_u32_e32 v2, v13, v35
	v_sub_u32_e32 v3, v0, v2
	v_add_u32_e32 v3, 11, v3
	v_cmp_eq_u32_e32 vcc, 1, v4
	v_and_b32_e32 v4, 1, v39
	s_nop 0
	v_cndmask_b32_e32 v2, v3, v2, vcc
	v_lshlrev_b32_e32 v2, 2, v2
	ds_write_b32 v2, v23
	v_sub_u32_e32 v2, v14, v35
	v_sub_u32_e32 v3, v0, v2
	v_add_u32_e32 v3, 12, v3
	v_cmp_eq_u32_e32 vcc, 1, v4
	v_and_b32_e32 v4, 1, v37
	s_nop 0
	v_cndmask_b32_e32 v2, v3, v2, vcc
	v_lshlrev_b32_e32 v2, 2, v2
	ds_write_b32 v2, v20
	v_sub_u32_e32 v2, v15, v35
	v_sub_u32_e32 v3, v0, v2
	v_add_u32_e32 v3, 13, v3
	v_cmp_eq_u32_e32 vcc, 1, v4
	s_nop 1
	v_cndmask_b32_e32 v2, v3, v2, vcc
	v_lshlrev_b32_e32 v2, 2, v2
	ds_write_b32 v2, v21
	v_sub_u32_e32 v2, v16, v35
	v_sub_u32_e32 v0, v0, v2
	v_and_b32_e32 v3, 1, v36
	v_add_u32_e32 v0, 14, v0
	v_cmp_eq_u32_e32 vcc, 1, v3
	s_nop 1
	v_cndmask_b32_e32 v0, v0, v2, vcc
	v_lshlrev_b32_e32 v0, 2, v0
	ds_write_b32 v0, v1
	s_waitcnt lgkmcnt(0)
	s_barrier
	s_and_saveexec_b64 s[2:3], s[0:1]
	s_cbranch_execz .LBB2692_85
; %bb.84:
	v_mov_b32_e32 v1, 0
	v_mov_b32_e32 v0, v34
	s_waitcnt vmcnt(0)
	v_lshl_add_u64 v[2:3], v[18:19], 0, v[0:1]
	v_mov_b32_e32 v0, v35
	v_lshl_add_u64 v[2:3], v[2:3], 0, v[0:1]
	global_store_dwordx2 v1, v[2:3], s[20:21]
.LBB2692_85:
	s_endpgm
	.section	.rodata,"a",@progbits
	.p2align	6, 0x0
	.amdhsa_kernel _ZN7rocprim17ROCPRIM_400000_NS6detail17trampoline_kernelINS0_14default_configENS1_25partition_config_selectorILNS1_17partition_subalgoE0EiNS0_10empty_typeEbEEZZNS1_14partition_implILS5_0ELb0ES3_jN6thrust23THRUST_200600_302600_NS6detail15normal_iteratorINSA_10device_ptrIiEEEEPS6_SG_NS0_5tupleIJNSA_16discard_iteratorINSA_11use_defaultEEESK_EEENSH_IJSG_SG_EEES6_PlJ7is_evenIiEEEE10hipError_tPvRmT3_T4_T5_T6_T7_T9_mT8_P12ihipStream_tbDpT10_ENKUlT_T0_E_clISt17integral_constantIbLb1EES19_EEDaS14_S15_EUlS14_E_NS1_11comp_targetILNS1_3genE5ELNS1_11target_archE942ELNS1_3gpuE9ELNS1_3repE0EEENS1_30default_config_static_selectorELNS0_4arch9wavefront6targetE1EEEvT1_
		.amdhsa_group_segment_fixed_size 30728
		.amdhsa_private_segment_fixed_size 0
		.amdhsa_kernarg_size 152
		.amdhsa_user_sgpr_count 2
		.amdhsa_user_sgpr_dispatch_ptr 0
		.amdhsa_user_sgpr_queue_ptr 0
		.amdhsa_user_sgpr_kernarg_segment_ptr 1
		.amdhsa_user_sgpr_dispatch_id 0
		.amdhsa_user_sgpr_kernarg_preload_length 0
		.amdhsa_user_sgpr_kernarg_preload_offset 0
		.amdhsa_user_sgpr_private_segment_size 0
		.amdhsa_uses_dynamic_stack 0
		.amdhsa_enable_private_segment 0
		.amdhsa_system_sgpr_workgroup_id_x 1
		.amdhsa_system_sgpr_workgroup_id_y 0
		.amdhsa_system_sgpr_workgroup_id_z 0
		.amdhsa_system_sgpr_workgroup_info 0
		.amdhsa_system_vgpr_workitem_id 0
		.amdhsa_next_free_vgpr 77
		.amdhsa_next_free_sgpr 36
		.amdhsa_accum_offset 80
		.amdhsa_reserve_vcc 1
		.amdhsa_float_round_mode_32 0
		.amdhsa_float_round_mode_16_64 0
		.amdhsa_float_denorm_mode_32 3
		.amdhsa_float_denorm_mode_16_64 3
		.amdhsa_dx10_clamp 1
		.amdhsa_ieee_mode 1
		.amdhsa_fp16_overflow 0
		.amdhsa_tg_split 0
		.amdhsa_exception_fp_ieee_invalid_op 0
		.amdhsa_exception_fp_denorm_src 0
		.amdhsa_exception_fp_ieee_div_zero 0
		.amdhsa_exception_fp_ieee_overflow 0
		.amdhsa_exception_fp_ieee_underflow 0
		.amdhsa_exception_fp_ieee_inexact 0
		.amdhsa_exception_int_div_zero 0
	.end_amdhsa_kernel
	.section	.text._ZN7rocprim17ROCPRIM_400000_NS6detail17trampoline_kernelINS0_14default_configENS1_25partition_config_selectorILNS1_17partition_subalgoE0EiNS0_10empty_typeEbEEZZNS1_14partition_implILS5_0ELb0ES3_jN6thrust23THRUST_200600_302600_NS6detail15normal_iteratorINSA_10device_ptrIiEEEEPS6_SG_NS0_5tupleIJNSA_16discard_iteratorINSA_11use_defaultEEESK_EEENSH_IJSG_SG_EEES6_PlJ7is_evenIiEEEE10hipError_tPvRmT3_T4_T5_T6_T7_T9_mT8_P12ihipStream_tbDpT10_ENKUlT_T0_E_clISt17integral_constantIbLb1EES19_EEDaS14_S15_EUlS14_E_NS1_11comp_targetILNS1_3genE5ELNS1_11target_archE942ELNS1_3gpuE9ELNS1_3repE0EEENS1_30default_config_static_selectorELNS0_4arch9wavefront6targetE1EEEvT1_,"axG",@progbits,_ZN7rocprim17ROCPRIM_400000_NS6detail17trampoline_kernelINS0_14default_configENS1_25partition_config_selectorILNS1_17partition_subalgoE0EiNS0_10empty_typeEbEEZZNS1_14partition_implILS5_0ELb0ES3_jN6thrust23THRUST_200600_302600_NS6detail15normal_iteratorINSA_10device_ptrIiEEEEPS6_SG_NS0_5tupleIJNSA_16discard_iteratorINSA_11use_defaultEEESK_EEENSH_IJSG_SG_EEES6_PlJ7is_evenIiEEEE10hipError_tPvRmT3_T4_T5_T6_T7_T9_mT8_P12ihipStream_tbDpT10_ENKUlT_T0_E_clISt17integral_constantIbLb1EES19_EEDaS14_S15_EUlS14_E_NS1_11comp_targetILNS1_3genE5ELNS1_11target_archE942ELNS1_3gpuE9ELNS1_3repE0EEENS1_30default_config_static_selectorELNS0_4arch9wavefront6targetE1EEEvT1_,comdat
.Lfunc_end2692:
	.size	_ZN7rocprim17ROCPRIM_400000_NS6detail17trampoline_kernelINS0_14default_configENS1_25partition_config_selectorILNS1_17partition_subalgoE0EiNS0_10empty_typeEbEEZZNS1_14partition_implILS5_0ELb0ES3_jN6thrust23THRUST_200600_302600_NS6detail15normal_iteratorINSA_10device_ptrIiEEEEPS6_SG_NS0_5tupleIJNSA_16discard_iteratorINSA_11use_defaultEEESK_EEENSH_IJSG_SG_EEES6_PlJ7is_evenIiEEEE10hipError_tPvRmT3_T4_T5_T6_T7_T9_mT8_P12ihipStream_tbDpT10_ENKUlT_T0_E_clISt17integral_constantIbLb1EES19_EEDaS14_S15_EUlS14_E_NS1_11comp_targetILNS1_3genE5ELNS1_11target_archE942ELNS1_3gpuE9ELNS1_3repE0EEENS1_30default_config_static_selectorELNS0_4arch9wavefront6targetE1EEEvT1_, .Lfunc_end2692-_ZN7rocprim17ROCPRIM_400000_NS6detail17trampoline_kernelINS0_14default_configENS1_25partition_config_selectorILNS1_17partition_subalgoE0EiNS0_10empty_typeEbEEZZNS1_14partition_implILS5_0ELb0ES3_jN6thrust23THRUST_200600_302600_NS6detail15normal_iteratorINSA_10device_ptrIiEEEEPS6_SG_NS0_5tupleIJNSA_16discard_iteratorINSA_11use_defaultEEESK_EEENSH_IJSG_SG_EEES6_PlJ7is_evenIiEEEE10hipError_tPvRmT3_T4_T5_T6_T7_T9_mT8_P12ihipStream_tbDpT10_ENKUlT_T0_E_clISt17integral_constantIbLb1EES19_EEDaS14_S15_EUlS14_E_NS1_11comp_targetILNS1_3genE5ELNS1_11target_archE942ELNS1_3gpuE9ELNS1_3repE0EEENS1_30default_config_static_selectorELNS0_4arch9wavefront6targetE1EEEvT1_
                                        ; -- End function
	.section	.AMDGPU.csdata,"",@progbits
; Kernel info:
; codeLenInByte = 5000
; NumSgprs: 42
; NumVgprs: 77
; NumAgprs: 0
; TotalNumVgprs: 77
; ScratchSize: 0
; MemoryBound: 0
; FloatMode: 240
; IeeeMode: 1
; LDSByteSize: 30728 bytes/workgroup (compile time only)
; SGPRBlocks: 5
; VGPRBlocks: 9
; NumSGPRsForWavesPerEU: 42
; NumVGPRsForWavesPerEU: 77
; AccumOffset: 80
; Occupancy: 4
; WaveLimiterHint : 1
; COMPUTE_PGM_RSRC2:SCRATCH_EN: 0
; COMPUTE_PGM_RSRC2:USER_SGPR: 2
; COMPUTE_PGM_RSRC2:TRAP_HANDLER: 0
; COMPUTE_PGM_RSRC2:TGID_X_EN: 1
; COMPUTE_PGM_RSRC2:TGID_Y_EN: 0
; COMPUTE_PGM_RSRC2:TGID_Z_EN: 0
; COMPUTE_PGM_RSRC2:TIDIG_COMP_CNT: 0
; COMPUTE_PGM_RSRC3_GFX90A:ACCUM_OFFSET: 19
; COMPUTE_PGM_RSRC3_GFX90A:TG_SPLIT: 0
	.section	.text._ZN7rocprim17ROCPRIM_400000_NS6detail17trampoline_kernelINS0_14default_configENS1_25partition_config_selectorILNS1_17partition_subalgoE0EiNS0_10empty_typeEbEEZZNS1_14partition_implILS5_0ELb0ES3_jN6thrust23THRUST_200600_302600_NS6detail15normal_iteratorINSA_10device_ptrIiEEEEPS6_SG_NS0_5tupleIJNSA_16discard_iteratorINSA_11use_defaultEEESK_EEENSH_IJSG_SG_EEES6_PlJ7is_evenIiEEEE10hipError_tPvRmT3_T4_T5_T6_T7_T9_mT8_P12ihipStream_tbDpT10_ENKUlT_T0_E_clISt17integral_constantIbLb1EES19_EEDaS14_S15_EUlS14_E_NS1_11comp_targetILNS1_3genE4ELNS1_11target_archE910ELNS1_3gpuE8ELNS1_3repE0EEENS1_30default_config_static_selectorELNS0_4arch9wavefront6targetE1EEEvT1_,"axG",@progbits,_ZN7rocprim17ROCPRIM_400000_NS6detail17trampoline_kernelINS0_14default_configENS1_25partition_config_selectorILNS1_17partition_subalgoE0EiNS0_10empty_typeEbEEZZNS1_14partition_implILS5_0ELb0ES3_jN6thrust23THRUST_200600_302600_NS6detail15normal_iteratorINSA_10device_ptrIiEEEEPS6_SG_NS0_5tupleIJNSA_16discard_iteratorINSA_11use_defaultEEESK_EEENSH_IJSG_SG_EEES6_PlJ7is_evenIiEEEE10hipError_tPvRmT3_T4_T5_T6_T7_T9_mT8_P12ihipStream_tbDpT10_ENKUlT_T0_E_clISt17integral_constantIbLb1EES19_EEDaS14_S15_EUlS14_E_NS1_11comp_targetILNS1_3genE4ELNS1_11target_archE910ELNS1_3gpuE8ELNS1_3repE0EEENS1_30default_config_static_selectorELNS0_4arch9wavefront6targetE1EEEvT1_,comdat
	.protected	_ZN7rocprim17ROCPRIM_400000_NS6detail17trampoline_kernelINS0_14default_configENS1_25partition_config_selectorILNS1_17partition_subalgoE0EiNS0_10empty_typeEbEEZZNS1_14partition_implILS5_0ELb0ES3_jN6thrust23THRUST_200600_302600_NS6detail15normal_iteratorINSA_10device_ptrIiEEEEPS6_SG_NS0_5tupleIJNSA_16discard_iteratorINSA_11use_defaultEEESK_EEENSH_IJSG_SG_EEES6_PlJ7is_evenIiEEEE10hipError_tPvRmT3_T4_T5_T6_T7_T9_mT8_P12ihipStream_tbDpT10_ENKUlT_T0_E_clISt17integral_constantIbLb1EES19_EEDaS14_S15_EUlS14_E_NS1_11comp_targetILNS1_3genE4ELNS1_11target_archE910ELNS1_3gpuE8ELNS1_3repE0EEENS1_30default_config_static_selectorELNS0_4arch9wavefront6targetE1EEEvT1_ ; -- Begin function _ZN7rocprim17ROCPRIM_400000_NS6detail17trampoline_kernelINS0_14default_configENS1_25partition_config_selectorILNS1_17partition_subalgoE0EiNS0_10empty_typeEbEEZZNS1_14partition_implILS5_0ELb0ES3_jN6thrust23THRUST_200600_302600_NS6detail15normal_iteratorINSA_10device_ptrIiEEEEPS6_SG_NS0_5tupleIJNSA_16discard_iteratorINSA_11use_defaultEEESK_EEENSH_IJSG_SG_EEES6_PlJ7is_evenIiEEEE10hipError_tPvRmT3_T4_T5_T6_T7_T9_mT8_P12ihipStream_tbDpT10_ENKUlT_T0_E_clISt17integral_constantIbLb1EES19_EEDaS14_S15_EUlS14_E_NS1_11comp_targetILNS1_3genE4ELNS1_11target_archE910ELNS1_3gpuE8ELNS1_3repE0EEENS1_30default_config_static_selectorELNS0_4arch9wavefront6targetE1EEEvT1_
	.globl	_ZN7rocprim17ROCPRIM_400000_NS6detail17trampoline_kernelINS0_14default_configENS1_25partition_config_selectorILNS1_17partition_subalgoE0EiNS0_10empty_typeEbEEZZNS1_14partition_implILS5_0ELb0ES3_jN6thrust23THRUST_200600_302600_NS6detail15normal_iteratorINSA_10device_ptrIiEEEEPS6_SG_NS0_5tupleIJNSA_16discard_iteratorINSA_11use_defaultEEESK_EEENSH_IJSG_SG_EEES6_PlJ7is_evenIiEEEE10hipError_tPvRmT3_T4_T5_T6_T7_T9_mT8_P12ihipStream_tbDpT10_ENKUlT_T0_E_clISt17integral_constantIbLb1EES19_EEDaS14_S15_EUlS14_E_NS1_11comp_targetILNS1_3genE4ELNS1_11target_archE910ELNS1_3gpuE8ELNS1_3repE0EEENS1_30default_config_static_selectorELNS0_4arch9wavefront6targetE1EEEvT1_
	.p2align	8
	.type	_ZN7rocprim17ROCPRIM_400000_NS6detail17trampoline_kernelINS0_14default_configENS1_25partition_config_selectorILNS1_17partition_subalgoE0EiNS0_10empty_typeEbEEZZNS1_14partition_implILS5_0ELb0ES3_jN6thrust23THRUST_200600_302600_NS6detail15normal_iteratorINSA_10device_ptrIiEEEEPS6_SG_NS0_5tupleIJNSA_16discard_iteratorINSA_11use_defaultEEESK_EEENSH_IJSG_SG_EEES6_PlJ7is_evenIiEEEE10hipError_tPvRmT3_T4_T5_T6_T7_T9_mT8_P12ihipStream_tbDpT10_ENKUlT_T0_E_clISt17integral_constantIbLb1EES19_EEDaS14_S15_EUlS14_E_NS1_11comp_targetILNS1_3genE4ELNS1_11target_archE910ELNS1_3gpuE8ELNS1_3repE0EEENS1_30default_config_static_selectorELNS0_4arch9wavefront6targetE1EEEvT1_,@function
_ZN7rocprim17ROCPRIM_400000_NS6detail17trampoline_kernelINS0_14default_configENS1_25partition_config_selectorILNS1_17partition_subalgoE0EiNS0_10empty_typeEbEEZZNS1_14partition_implILS5_0ELb0ES3_jN6thrust23THRUST_200600_302600_NS6detail15normal_iteratorINSA_10device_ptrIiEEEEPS6_SG_NS0_5tupleIJNSA_16discard_iteratorINSA_11use_defaultEEESK_EEENSH_IJSG_SG_EEES6_PlJ7is_evenIiEEEE10hipError_tPvRmT3_T4_T5_T6_T7_T9_mT8_P12ihipStream_tbDpT10_ENKUlT_T0_E_clISt17integral_constantIbLb1EES19_EEDaS14_S15_EUlS14_E_NS1_11comp_targetILNS1_3genE4ELNS1_11target_archE910ELNS1_3gpuE8ELNS1_3repE0EEENS1_30default_config_static_selectorELNS0_4arch9wavefront6targetE1EEEvT1_: ; @_ZN7rocprim17ROCPRIM_400000_NS6detail17trampoline_kernelINS0_14default_configENS1_25partition_config_selectorILNS1_17partition_subalgoE0EiNS0_10empty_typeEbEEZZNS1_14partition_implILS5_0ELb0ES3_jN6thrust23THRUST_200600_302600_NS6detail15normal_iteratorINSA_10device_ptrIiEEEEPS6_SG_NS0_5tupleIJNSA_16discard_iteratorINSA_11use_defaultEEESK_EEENSH_IJSG_SG_EEES6_PlJ7is_evenIiEEEE10hipError_tPvRmT3_T4_T5_T6_T7_T9_mT8_P12ihipStream_tbDpT10_ENKUlT_T0_E_clISt17integral_constantIbLb1EES19_EEDaS14_S15_EUlS14_E_NS1_11comp_targetILNS1_3genE4ELNS1_11target_archE910ELNS1_3gpuE8ELNS1_3repE0EEENS1_30default_config_static_selectorELNS0_4arch9wavefront6targetE1EEEvT1_
; %bb.0:
	.section	.rodata,"a",@progbits
	.p2align	6, 0x0
	.amdhsa_kernel _ZN7rocprim17ROCPRIM_400000_NS6detail17trampoline_kernelINS0_14default_configENS1_25partition_config_selectorILNS1_17partition_subalgoE0EiNS0_10empty_typeEbEEZZNS1_14partition_implILS5_0ELb0ES3_jN6thrust23THRUST_200600_302600_NS6detail15normal_iteratorINSA_10device_ptrIiEEEEPS6_SG_NS0_5tupleIJNSA_16discard_iteratorINSA_11use_defaultEEESK_EEENSH_IJSG_SG_EEES6_PlJ7is_evenIiEEEE10hipError_tPvRmT3_T4_T5_T6_T7_T9_mT8_P12ihipStream_tbDpT10_ENKUlT_T0_E_clISt17integral_constantIbLb1EES19_EEDaS14_S15_EUlS14_E_NS1_11comp_targetILNS1_3genE4ELNS1_11target_archE910ELNS1_3gpuE8ELNS1_3repE0EEENS1_30default_config_static_selectorELNS0_4arch9wavefront6targetE1EEEvT1_
		.amdhsa_group_segment_fixed_size 0
		.amdhsa_private_segment_fixed_size 0
		.amdhsa_kernarg_size 152
		.amdhsa_user_sgpr_count 2
		.amdhsa_user_sgpr_dispatch_ptr 0
		.amdhsa_user_sgpr_queue_ptr 0
		.amdhsa_user_sgpr_kernarg_segment_ptr 1
		.amdhsa_user_sgpr_dispatch_id 0
		.amdhsa_user_sgpr_kernarg_preload_length 0
		.amdhsa_user_sgpr_kernarg_preload_offset 0
		.amdhsa_user_sgpr_private_segment_size 0
		.amdhsa_uses_dynamic_stack 0
		.amdhsa_enable_private_segment 0
		.amdhsa_system_sgpr_workgroup_id_x 1
		.amdhsa_system_sgpr_workgroup_id_y 0
		.amdhsa_system_sgpr_workgroup_id_z 0
		.amdhsa_system_sgpr_workgroup_info 0
		.amdhsa_system_vgpr_workitem_id 0
		.amdhsa_next_free_vgpr 1
		.amdhsa_next_free_sgpr 0
		.amdhsa_accum_offset 4
		.amdhsa_reserve_vcc 0
		.amdhsa_float_round_mode_32 0
		.amdhsa_float_round_mode_16_64 0
		.amdhsa_float_denorm_mode_32 3
		.amdhsa_float_denorm_mode_16_64 3
		.amdhsa_dx10_clamp 1
		.amdhsa_ieee_mode 1
		.amdhsa_fp16_overflow 0
		.amdhsa_tg_split 0
		.amdhsa_exception_fp_ieee_invalid_op 0
		.amdhsa_exception_fp_denorm_src 0
		.amdhsa_exception_fp_ieee_div_zero 0
		.amdhsa_exception_fp_ieee_overflow 0
		.amdhsa_exception_fp_ieee_underflow 0
		.amdhsa_exception_fp_ieee_inexact 0
		.amdhsa_exception_int_div_zero 0
	.end_amdhsa_kernel
	.section	.text._ZN7rocprim17ROCPRIM_400000_NS6detail17trampoline_kernelINS0_14default_configENS1_25partition_config_selectorILNS1_17partition_subalgoE0EiNS0_10empty_typeEbEEZZNS1_14partition_implILS5_0ELb0ES3_jN6thrust23THRUST_200600_302600_NS6detail15normal_iteratorINSA_10device_ptrIiEEEEPS6_SG_NS0_5tupleIJNSA_16discard_iteratorINSA_11use_defaultEEESK_EEENSH_IJSG_SG_EEES6_PlJ7is_evenIiEEEE10hipError_tPvRmT3_T4_T5_T6_T7_T9_mT8_P12ihipStream_tbDpT10_ENKUlT_T0_E_clISt17integral_constantIbLb1EES19_EEDaS14_S15_EUlS14_E_NS1_11comp_targetILNS1_3genE4ELNS1_11target_archE910ELNS1_3gpuE8ELNS1_3repE0EEENS1_30default_config_static_selectorELNS0_4arch9wavefront6targetE1EEEvT1_,"axG",@progbits,_ZN7rocprim17ROCPRIM_400000_NS6detail17trampoline_kernelINS0_14default_configENS1_25partition_config_selectorILNS1_17partition_subalgoE0EiNS0_10empty_typeEbEEZZNS1_14partition_implILS5_0ELb0ES3_jN6thrust23THRUST_200600_302600_NS6detail15normal_iteratorINSA_10device_ptrIiEEEEPS6_SG_NS0_5tupleIJNSA_16discard_iteratorINSA_11use_defaultEEESK_EEENSH_IJSG_SG_EEES6_PlJ7is_evenIiEEEE10hipError_tPvRmT3_T4_T5_T6_T7_T9_mT8_P12ihipStream_tbDpT10_ENKUlT_T0_E_clISt17integral_constantIbLb1EES19_EEDaS14_S15_EUlS14_E_NS1_11comp_targetILNS1_3genE4ELNS1_11target_archE910ELNS1_3gpuE8ELNS1_3repE0EEENS1_30default_config_static_selectorELNS0_4arch9wavefront6targetE1EEEvT1_,comdat
.Lfunc_end2693:
	.size	_ZN7rocprim17ROCPRIM_400000_NS6detail17trampoline_kernelINS0_14default_configENS1_25partition_config_selectorILNS1_17partition_subalgoE0EiNS0_10empty_typeEbEEZZNS1_14partition_implILS5_0ELb0ES3_jN6thrust23THRUST_200600_302600_NS6detail15normal_iteratorINSA_10device_ptrIiEEEEPS6_SG_NS0_5tupleIJNSA_16discard_iteratorINSA_11use_defaultEEESK_EEENSH_IJSG_SG_EEES6_PlJ7is_evenIiEEEE10hipError_tPvRmT3_T4_T5_T6_T7_T9_mT8_P12ihipStream_tbDpT10_ENKUlT_T0_E_clISt17integral_constantIbLb1EES19_EEDaS14_S15_EUlS14_E_NS1_11comp_targetILNS1_3genE4ELNS1_11target_archE910ELNS1_3gpuE8ELNS1_3repE0EEENS1_30default_config_static_selectorELNS0_4arch9wavefront6targetE1EEEvT1_, .Lfunc_end2693-_ZN7rocprim17ROCPRIM_400000_NS6detail17trampoline_kernelINS0_14default_configENS1_25partition_config_selectorILNS1_17partition_subalgoE0EiNS0_10empty_typeEbEEZZNS1_14partition_implILS5_0ELb0ES3_jN6thrust23THRUST_200600_302600_NS6detail15normal_iteratorINSA_10device_ptrIiEEEEPS6_SG_NS0_5tupleIJNSA_16discard_iteratorINSA_11use_defaultEEESK_EEENSH_IJSG_SG_EEES6_PlJ7is_evenIiEEEE10hipError_tPvRmT3_T4_T5_T6_T7_T9_mT8_P12ihipStream_tbDpT10_ENKUlT_T0_E_clISt17integral_constantIbLb1EES19_EEDaS14_S15_EUlS14_E_NS1_11comp_targetILNS1_3genE4ELNS1_11target_archE910ELNS1_3gpuE8ELNS1_3repE0EEENS1_30default_config_static_selectorELNS0_4arch9wavefront6targetE1EEEvT1_
                                        ; -- End function
	.section	.AMDGPU.csdata,"",@progbits
; Kernel info:
; codeLenInByte = 0
; NumSgprs: 6
; NumVgprs: 0
; NumAgprs: 0
; TotalNumVgprs: 0
; ScratchSize: 0
; MemoryBound: 0
; FloatMode: 240
; IeeeMode: 1
; LDSByteSize: 0 bytes/workgroup (compile time only)
; SGPRBlocks: 0
; VGPRBlocks: 0
; NumSGPRsForWavesPerEU: 6
; NumVGPRsForWavesPerEU: 1
; AccumOffset: 4
; Occupancy: 8
; WaveLimiterHint : 0
; COMPUTE_PGM_RSRC2:SCRATCH_EN: 0
; COMPUTE_PGM_RSRC2:USER_SGPR: 2
; COMPUTE_PGM_RSRC2:TRAP_HANDLER: 0
; COMPUTE_PGM_RSRC2:TGID_X_EN: 1
; COMPUTE_PGM_RSRC2:TGID_Y_EN: 0
; COMPUTE_PGM_RSRC2:TGID_Z_EN: 0
; COMPUTE_PGM_RSRC2:TIDIG_COMP_CNT: 0
; COMPUTE_PGM_RSRC3_GFX90A:ACCUM_OFFSET: 0
; COMPUTE_PGM_RSRC3_GFX90A:TG_SPLIT: 0
	.section	.text._ZN7rocprim17ROCPRIM_400000_NS6detail17trampoline_kernelINS0_14default_configENS1_25partition_config_selectorILNS1_17partition_subalgoE0EiNS0_10empty_typeEbEEZZNS1_14partition_implILS5_0ELb0ES3_jN6thrust23THRUST_200600_302600_NS6detail15normal_iteratorINSA_10device_ptrIiEEEEPS6_SG_NS0_5tupleIJNSA_16discard_iteratorINSA_11use_defaultEEESK_EEENSH_IJSG_SG_EEES6_PlJ7is_evenIiEEEE10hipError_tPvRmT3_T4_T5_T6_T7_T9_mT8_P12ihipStream_tbDpT10_ENKUlT_T0_E_clISt17integral_constantIbLb1EES19_EEDaS14_S15_EUlS14_E_NS1_11comp_targetILNS1_3genE3ELNS1_11target_archE908ELNS1_3gpuE7ELNS1_3repE0EEENS1_30default_config_static_selectorELNS0_4arch9wavefront6targetE1EEEvT1_,"axG",@progbits,_ZN7rocprim17ROCPRIM_400000_NS6detail17trampoline_kernelINS0_14default_configENS1_25partition_config_selectorILNS1_17partition_subalgoE0EiNS0_10empty_typeEbEEZZNS1_14partition_implILS5_0ELb0ES3_jN6thrust23THRUST_200600_302600_NS6detail15normal_iteratorINSA_10device_ptrIiEEEEPS6_SG_NS0_5tupleIJNSA_16discard_iteratorINSA_11use_defaultEEESK_EEENSH_IJSG_SG_EEES6_PlJ7is_evenIiEEEE10hipError_tPvRmT3_T4_T5_T6_T7_T9_mT8_P12ihipStream_tbDpT10_ENKUlT_T0_E_clISt17integral_constantIbLb1EES19_EEDaS14_S15_EUlS14_E_NS1_11comp_targetILNS1_3genE3ELNS1_11target_archE908ELNS1_3gpuE7ELNS1_3repE0EEENS1_30default_config_static_selectorELNS0_4arch9wavefront6targetE1EEEvT1_,comdat
	.protected	_ZN7rocprim17ROCPRIM_400000_NS6detail17trampoline_kernelINS0_14default_configENS1_25partition_config_selectorILNS1_17partition_subalgoE0EiNS0_10empty_typeEbEEZZNS1_14partition_implILS5_0ELb0ES3_jN6thrust23THRUST_200600_302600_NS6detail15normal_iteratorINSA_10device_ptrIiEEEEPS6_SG_NS0_5tupleIJNSA_16discard_iteratorINSA_11use_defaultEEESK_EEENSH_IJSG_SG_EEES6_PlJ7is_evenIiEEEE10hipError_tPvRmT3_T4_T5_T6_T7_T9_mT8_P12ihipStream_tbDpT10_ENKUlT_T0_E_clISt17integral_constantIbLb1EES19_EEDaS14_S15_EUlS14_E_NS1_11comp_targetILNS1_3genE3ELNS1_11target_archE908ELNS1_3gpuE7ELNS1_3repE0EEENS1_30default_config_static_selectorELNS0_4arch9wavefront6targetE1EEEvT1_ ; -- Begin function _ZN7rocprim17ROCPRIM_400000_NS6detail17trampoline_kernelINS0_14default_configENS1_25partition_config_selectorILNS1_17partition_subalgoE0EiNS0_10empty_typeEbEEZZNS1_14partition_implILS5_0ELb0ES3_jN6thrust23THRUST_200600_302600_NS6detail15normal_iteratorINSA_10device_ptrIiEEEEPS6_SG_NS0_5tupleIJNSA_16discard_iteratorINSA_11use_defaultEEESK_EEENSH_IJSG_SG_EEES6_PlJ7is_evenIiEEEE10hipError_tPvRmT3_T4_T5_T6_T7_T9_mT8_P12ihipStream_tbDpT10_ENKUlT_T0_E_clISt17integral_constantIbLb1EES19_EEDaS14_S15_EUlS14_E_NS1_11comp_targetILNS1_3genE3ELNS1_11target_archE908ELNS1_3gpuE7ELNS1_3repE0EEENS1_30default_config_static_selectorELNS0_4arch9wavefront6targetE1EEEvT1_
	.globl	_ZN7rocprim17ROCPRIM_400000_NS6detail17trampoline_kernelINS0_14default_configENS1_25partition_config_selectorILNS1_17partition_subalgoE0EiNS0_10empty_typeEbEEZZNS1_14partition_implILS5_0ELb0ES3_jN6thrust23THRUST_200600_302600_NS6detail15normal_iteratorINSA_10device_ptrIiEEEEPS6_SG_NS0_5tupleIJNSA_16discard_iteratorINSA_11use_defaultEEESK_EEENSH_IJSG_SG_EEES6_PlJ7is_evenIiEEEE10hipError_tPvRmT3_T4_T5_T6_T7_T9_mT8_P12ihipStream_tbDpT10_ENKUlT_T0_E_clISt17integral_constantIbLb1EES19_EEDaS14_S15_EUlS14_E_NS1_11comp_targetILNS1_3genE3ELNS1_11target_archE908ELNS1_3gpuE7ELNS1_3repE0EEENS1_30default_config_static_selectorELNS0_4arch9wavefront6targetE1EEEvT1_
	.p2align	8
	.type	_ZN7rocprim17ROCPRIM_400000_NS6detail17trampoline_kernelINS0_14default_configENS1_25partition_config_selectorILNS1_17partition_subalgoE0EiNS0_10empty_typeEbEEZZNS1_14partition_implILS5_0ELb0ES3_jN6thrust23THRUST_200600_302600_NS6detail15normal_iteratorINSA_10device_ptrIiEEEEPS6_SG_NS0_5tupleIJNSA_16discard_iteratorINSA_11use_defaultEEESK_EEENSH_IJSG_SG_EEES6_PlJ7is_evenIiEEEE10hipError_tPvRmT3_T4_T5_T6_T7_T9_mT8_P12ihipStream_tbDpT10_ENKUlT_T0_E_clISt17integral_constantIbLb1EES19_EEDaS14_S15_EUlS14_E_NS1_11comp_targetILNS1_3genE3ELNS1_11target_archE908ELNS1_3gpuE7ELNS1_3repE0EEENS1_30default_config_static_selectorELNS0_4arch9wavefront6targetE1EEEvT1_,@function
_ZN7rocprim17ROCPRIM_400000_NS6detail17trampoline_kernelINS0_14default_configENS1_25partition_config_selectorILNS1_17partition_subalgoE0EiNS0_10empty_typeEbEEZZNS1_14partition_implILS5_0ELb0ES3_jN6thrust23THRUST_200600_302600_NS6detail15normal_iteratorINSA_10device_ptrIiEEEEPS6_SG_NS0_5tupleIJNSA_16discard_iteratorINSA_11use_defaultEEESK_EEENSH_IJSG_SG_EEES6_PlJ7is_evenIiEEEE10hipError_tPvRmT3_T4_T5_T6_T7_T9_mT8_P12ihipStream_tbDpT10_ENKUlT_T0_E_clISt17integral_constantIbLb1EES19_EEDaS14_S15_EUlS14_E_NS1_11comp_targetILNS1_3genE3ELNS1_11target_archE908ELNS1_3gpuE7ELNS1_3repE0EEENS1_30default_config_static_selectorELNS0_4arch9wavefront6targetE1EEEvT1_: ; @_ZN7rocprim17ROCPRIM_400000_NS6detail17trampoline_kernelINS0_14default_configENS1_25partition_config_selectorILNS1_17partition_subalgoE0EiNS0_10empty_typeEbEEZZNS1_14partition_implILS5_0ELb0ES3_jN6thrust23THRUST_200600_302600_NS6detail15normal_iteratorINSA_10device_ptrIiEEEEPS6_SG_NS0_5tupleIJNSA_16discard_iteratorINSA_11use_defaultEEESK_EEENSH_IJSG_SG_EEES6_PlJ7is_evenIiEEEE10hipError_tPvRmT3_T4_T5_T6_T7_T9_mT8_P12ihipStream_tbDpT10_ENKUlT_T0_E_clISt17integral_constantIbLb1EES19_EEDaS14_S15_EUlS14_E_NS1_11comp_targetILNS1_3genE3ELNS1_11target_archE908ELNS1_3gpuE7ELNS1_3repE0EEENS1_30default_config_static_selectorELNS0_4arch9wavefront6targetE1EEEvT1_
; %bb.0:
	.section	.rodata,"a",@progbits
	.p2align	6, 0x0
	.amdhsa_kernel _ZN7rocprim17ROCPRIM_400000_NS6detail17trampoline_kernelINS0_14default_configENS1_25partition_config_selectorILNS1_17partition_subalgoE0EiNS0_10empty_typeEbEEZZNS1_14partition_implILS5_0ELb0ES3_jN6thrust23THRUST_200600_302600_NS6detail15normal_iteratorINSA_10device_ptrIiEEEEPS6_SG_NS0_5tupleIJNSA_16discard_iteratorINSA_11use_defaultEEESK_EEENSH_IJSG_SG_EEES6_PlJ7is_evenIiEEEE10hipError_tPvRmT3_T4_T5_T6_T7_T9_mT8_P12ihipStream_tbDpT10_ENKUlT_T0_E_clISt17integral_constantIbLb1EES19_EEDaS14_S15_EUlS14_E_NS1_11comp_targetILNS1_3genE3ELNS1_11target_archE908ELNS1_3gpuE7ELNS1_3repE0EEENS1_30default_config_static_selectorELNS0_4arch9wavefront6targetE1EEEvT1_
		.amdhsa_group_segment_fixed_size 0
		.amdhsa_private_segment_fixed_size 0
		.amdhsa_kernarg_size 152
		.amdhsa_user_sgpr_count 2
		.amdhsa_user_sgpr_dispatch_ptr 0
		.amdhsa_user_sgpr_queue_ptr 0
		.amdhsa_user_sgpr_kernarg_segment_ptr 1
		.amdhsa_user_sgpr_dispatch_id 0
		.amdhsa_user_sgpr_kernarg_preload_length 0
		.amdhsa_user_sgpr_kernarg_preload_offset 0
		.amdhsa_user_sgpr_private_segment_size 0
		.amdhsa_uses_dynamic_stack 0
		.amdhsa_enable_private_segment 0
		.amdhsa_system_sgpr_workgroup_id_x 1
		.amdhsa_system_sgpr_workgroup_id_y 0
		.amdhsa_system_sgpr_workgroup_id_z 0
		.amdhsa_system_sgpr_workgroup_info 0
		.amdhsa_system_vgpr_workitem_id 0
		.amdhsa_next_free_vgpr 1
		.amdhsa_next_free_sgpr 0
		.amdhsa_accum_offset 4
		.amdhsa_reserve_vcc 0
		.amdhsa_float_round_mode_32 0
		.amdhsa_float_round_mode_16_64 0
		.amdhsa_float_denorm_mode_32 3
		.amdhsa_float_denorm_mode_16_64 3
		.amdhsa_dx10_clamp 1
		.amdhsa_ieee_mode 1
		.amdhsa_fp16_overflow 0
		.amdhsa_tg_split 0
		.amdhsa_exception_fp_ieee_invalid_op 0
		.amdhsa_exception_fp_denorm_src 0
		.amdhsa_exception_fp_ieee_div_zero 0
		.amdhsa_exception_fp_ieee_overflow 0
		.amdhsa_exception_fp_ieee_underflow 0
		.amdhsa_exception_fp_ieee_inexact 0
		.amdhsa_exception_int_div_zero 0
	.end_amdhsa_kernel
	.section	.text._ZN7rocprim17ROCPRIM_400000_NS6detail17trampoline_kernelINS0_14default_configENS1_25partition_config_selectorILNS1_17partition_subalgoE0EiNS0_10empty_typeEbEEZZNS1_14partition_implILS5_0ELb0ES3_jN6thrust23THRUST_200600_302600_NS6detail15normal_iteratorINSA_10device_ptrIiEEEEPS6_SG_NS0_5tupleIJNSA_16discard_iteratorINSA_11use_defaultEEESK_EEENSH_IJSG_SG_EEES6_PlJ7is_evenIiEEEE10hipError_tPvRmT3_T4_T5_T6_T7_T9_mT8_P12ihipStream_tbDpT10_ENKUlT_T0_E_clISt17integral_constantIbLb1EES19_EEDaS14_S15_EUlS14_E_NS1_11comp_targetILNS1_3genE3ELNS1_11target_archE908ELNS1_3gpuE7ELNS1_3repE0EEENS1_30default_config_static_selectorELNS0_4arch9wavefront6targetE1EEEvT1_,"axG",@progbits,_ZN7rocprim17ROCPRIM_400000_NS6detail17trampoline_kernelINS0_14default_configENS1_25partition_config_selectorILNS1_17partition_subalgoE0EiNS0_10empty_typeEbEEZZNS1_14partition_implILS5_0ELb0ES3_jN6thrust23THRUST_200600_302600_NS6detail15normal_iteratorINSA_10device_ptrIiEEEEPS6_SG_NS0_5tupleIJNSA_16discard_iteratorINSA_11use_defaultEEESK_EEENSH_IJSG_SG_EEES6_PlJ7is_evenIiEEEE10hipError_tPvRmT3_T4_T5_T6_T7_T9_mT8_P12ihipStream_tbDpT10_ENKUlT_T0_E_clISt17integral_constantIbLb1EES19_EEDaS14_S15_EUlS14_E_NS1_11comp_targetILNS1_3genE3ELNS1_11target_archE908ELNS1_3gpuE7ELNS1_3repE0EEENS1_30default_config_static_selectorELNS0_4arch9wavefront6targetE1EEEvT1_,comdat
.Lfunc_end2694:
	.size	_ZN7rocprim17ROCPRIM_400000_NS6detail17trampoline_kernelINS0_14default_configENS1_25partition_config_selectorILNS1_17partition_subalgoE0EiNS0_10empty_typeEbEEZZNS1_14partition_implILS5_0ELb0ES3_jN6thrust23THRUST_200600_302600_NS6detail15normal_iteratorINSA_10device_ptrIiEEEEPS6_SG_NS0_5tupleIJNSA_16discard_iteratorINSA_11use_defaultEEESK_EEENSH_IJSG_SG_EEES6_PlJ7is_evenIiEEEE10hipError_tPvRmT3_T4_T5_T6_T7_T9_mT8_P12ihipStream_tbDpT10_ENKUlT_T0_E_clISt17integral_constantIbLb1EES19_EEDaS14_S15_EUlS14_E_NS1_11comp_targetILNS1_3genE3ELNS1_11target_archE908ELNS1_3gpuE7ELNS1_3repE0EEENS1_30default_config_static_selectorELNS0_4arch9wavefront6targetE1EEEvT1_, .Lfunc_end2694-_ZN7rocprim17ROCPRIM_400000_NS6detail17trampoline_kernelINS0_14default_configENS1_25partition_config_selectorILNS1_17partition_subalgoE0EiNS0_10empty_typeEbEEZZNS1_14partition_implILS5_0ELb0ES3_jN6thrust23THRUST_200600_302600_NS6detail15normal_iteratorINSA_10device_ptrIiEEEEPS6_SG_NS0_5tupleIJNSA_16discard_iteratorINSA_11use_defaultEEESK_EEENSH_IJSG_SG_EEES6_PlJ7is_evenIiEEEE10hipError_tPvRmT3_T4_T5_T6_T7_T9_mT8_P12ihipStream_tbDpT10_ENKUlT_T0_E_clISt17integral_constantIbLb1EES19_EEDaS14_S15_EUlS14_E_NS1_11comp_targetILNS1_3genE3ELNS1_11target_archE908ELNS1_3gpuE7ELNS1_3repE0EEENS1_30default_config_static_selectorELNS0_4arch9wavefront6targetE1EEEvT1_
                                        ; -- End function
	.section	.AMDGPU.csdata,"",@progbits
; Kernel info:
; codeLenInByte = 0
; NumSgprs: 6
; NumVgprs: 0
; NumAgprs: 0
; TotalNumVgprs: 0
; ScratchSize: 0
; MemoryBound: 0
; FloatMode: 240
; IeeeMode: 1
; LDSByteSize: 0 bytes/workgroup (compile time only)
; SGPRBlocks: 0
; VGPRBlocks: 0
; NumSGPRsForWavesPerEU: 6
; NumVGPRsForWavesPerEU: 1
; AccumOffset: 4
; Occupancy: 8
; WaveLimiterHint : 0
; COMPUTE_PGM_RSRC2:SCRATCH_EN: 0
; COMPUTE_PGM_RSRC2:USER_SGPR: 2
; COMPUTE_PGM_RSRC2:TRAP_HANDLER: 0
; COMPUTE_PGM_RSRC2:TGID_X_EN: 1
; COMPUTE_PGM_RSRC2:TGID_Y_EN: 0
; COMPUTE_PGM_RSRC2:TGID_Z_EN: 0
; COMPUTE_PGM_RSRC2:TIDIG_COMP_CNT: 0
; COMPUTE_PGM_RSRC3_GFX90A:ACCUM_OFFSET: 0
; COMPUTE_PGM_RSRC3_GFX90A:TG_SPLIT: 0
	.section	.text._ZN7rocprim17ROCPRIM_400000_NS6detail17trampoline_kernelINS0_14default_configENS1_25partition_config_selectorILNS1_17partition_subalgoE0EiNS0_10empty_typeEbEEZZNS1_14partition_implILS5_0ELb0ES3_jN6thrust23THRUST_200600_302600_NS6detail15normal_iteratorINSA_10device_ptrIiEEEEPS6_SG_NS0_5tupleIJNSA_16discard_iteratorINSA_11use_defaultEEESK_EEENSH_IJSG_SG_EEES6_PlJ7is_evenIiEEEE10hipError_tPvRmT3_T4_T5_T6_T7_T9_mT8_P12ihipStream_tbDpT10_ENKUlT_T0_E_clISt17integral_constantIbLb1EES19_EEDaS14_S15_EUlS14_E_NS1_11comp_targetILNS1_3genE2ELNS1_11target_archE906ELNS1_3gpuE6ELNS1_3repE0EEENS1_30default_config_static_selectorELNS0_4arch9wavefront6targetE1EEEvT1_,"axG",@progbits,_ZN7rocprim17ROCPRIM_400000_NS6detail17trampoline_kernelINS0_14default_configENS1_25partition_config_selectorILNS1_17partition_subalgoE0EiNS0_10empty_typeEbEEZZNS1_14partition_implILS5_0ELb0ES3_jN6thrust23THRUST_200600_302600_NS6detail15normal_iteratorINSA_10device_ptrIiEEEEPS6_SG_NS0_5tupleIJNSA_16discard_iteratorINSA_11use_defaultEEESK_EEENSH_IJSG_SG_EEES6_PlJ7is_evenIiEEEE10hipError_tPvRmT3_T4_T5_T6_T7_T9_mT8_P12ihipStream_tbDpT10_ENKUlT_T0_E_clISt17integral_constantIbLb1EES19_EEDaS14_S15_EUlS14_E_NS1_11comp_targetILNS1_3genE2ELNS1_11target_archE906ELNS1_3gpuE6ELNS1_3repE0EEENS1_30default_config_static_selectorELNS0_4arch9wavefront6targetE1EEEvT1_,comdat
	.protected	_ZN7rocprim17ROCPRIM_400000_NS6detail17trampoline_kernelINS0_14default_configENS1_25partition_config_selectorILNS1_17partition_subalgoE0EiNS0_10empty_typeEbEEZZNS1_14partition_implILS5_0ELb0ES3_jN6thrust23THRUST_200600_302600_NS6detail15normal_iteratorINSA_10device_ptrIiEEEEPS6_SG_NS0_5tupleIJNSA_16discard_iteratorINSA_11use_defaultEEESK_EEENSH_IJSG_SG_EEES6_PlJ7is_evenIiEEEE10hipError_tPvRmT3_T4_T5_T6_T7_T9_mT8_P12ihipStream_tbDpT10_ENKUlT_T0_E_clISt17integral_constantIbLb1EES19_EEDaS14_S15_EUlS14_E_NS1_11comp_targetILNS1_3genE2ELNS1_11target_archE906ELNS1_3gpuE6ELNS1_3repE0EEENS1_30default_config_static_selectorELNS0_4arch9wavefront6targetE1EEEvT1_ ; -- Begin function _ZN7rocprim17ROCPRIM_400000_NS6detail17trampoline_kernelINS0_14default_configENS1_25partition_config_selectorILNS1_17partition_subalgoE0EiNS0_10empty_typeEbEEZZNS1_14partition_implILS5_0ELb0ES3_jN6thrust23THRUST_200600_302600_NS6detail15normal_iteratorINSA_10device_ptrIiEEEEPS6_SG_NS0_5tupleIJNSA_16discard_iteratorINSA_11use_defaultEEESK_EEENSH_IJSG_SG_EEES6_PlJ7is_evenIiEEEE10hipError_tPvRmT3_T4_T5_T6_T7_T9_mT8_P12ihipStream_tbDpT10_ENKUlT_T0_E_clISt17integral_constantIbLb1EES19_EEDaS14_S15_EUlS14_E_NS1_11comp_targetILNS1_3genE2ELNS1_11target_archE906ELNS1_3gpuE6ELNS1_3repE0EEENS1_30default_config_static_selectorELNS0_4arch9wavefront6targetE1EEEvT1_
	.globl	_ZN7rocprim17ROCPRIM_400000_NS6detail17trampoline_kernelINS0_14default_configENS1_25partition_config_selectorILNS1_17partition_subalgoE0EiNS0_10empty_typeEbEEZZNS1_14partition_implILS5_0ELb0ES3_jN6thrust23THRUST_200600_302600_NS6detail15normal_iteratorINSA_10device_ptrIiEEEEPS6_SG_NS0_5tupleIJNSA_16discard_iteratorINSA_11use_defaultEEESK_EEENSH_IJSG_SG_EEES6_PlJ7is_evenIiEEEE10hipError_tPvRmT3_T4_T5_T6_T7_T9_mT8_P12ihipStream_tbDpT10_ENKUlT_T0_E_clISt17integral_constantIbLb1EES19_EEDaS14_S15_EUlS14_E_NS1_11comp_targetILNS1_3genE2ELNS1_11target_archE906ELNS1_3gpuE6ELNS1_3repE0EEENS1_30default_config_static_selectorELNS0_4arch9wavefront6targetE1EEEvT1_
	.p2align	8
	.type	_ZN7rocprim17ROCPRIM_400000_NS6detail17trampoline_kernelINS0_14default_configENS1_25partition_config_selectorILNS1_17partition_subalgoE0EiNS0_10empty_typeEbEEZZNS1_14partition_implILS5_0ELb0ES3_jN6thrust23THRUST_200600_302600_NS6detail15normal_iteratorINSA_10device_ptrIiEEEEPS6_SG_NS0_5tupleIJNSA_16discard_iteratorINSA_11use_defaultEEESK_EEENSH_IJSG_SG_EEES6_PlJ7is_evenIiEEEE10hipError_tPvRmT3_T4_T5_T6_T7_T9_mT8_P12ihipStream_tbDpT10_ENKUlT_T0_E_clISt17integral_constantIbLb1EES19_EEDaS14_S15_EUlS14_E_NS1_11comp_targetILNS1_3genE2ELNS1_11target_archE906ELNS1_3gpuE6ELNS1_3repE0EEENS1_30default_config_static_selectorELNS0_4arch9wavefront6targetE1EEEvT1_,@function
_ZN7rocprim17ROCPRIM_400000_NS6detail17trampoline_kernelINS0_14default_configENS1_25partition_config_selectorILNS1_17partition_subalgoE0EiNS0_10empty_typeEbEEZZNS1_14partition_implILS5_0ELb0ES3_jN6thrust23THRUST_200600_302600_NS6detail15normal_iteratorINSA_10device_ptrIiEEEEPS6_SG_NS0_5tupleIJNSA_16discard_iteratorINSA_11use_defaultEEESK_EEENSH_IJSG_SG_EEES6_PlJ7is_evenIiEEEE10hipError_tPvRmT3_T4_T5_T6_T7_T9_mT8_P12ihipStream_tbDpT10_ENKUlT_T0_E_clISt17integral_constantIbLb1EES19_EEDaS14_S15_EUlS14_E_NS1_11comp_targetILNS1_3genE2ELNS1_11target_archE906ELNS1_3gpuE6ELNS1_3repE0EEENS1_30default_config_static_selectorELNS0_4arch9wavefront6targetE1EEEvT1_: ; @_ZN7rocprim17ROCPRIM_400000_NS6detail17trampoline_kernelINS0_14default_configENS1_25partition_config_selectorILNS1_17partition_subalgoE0EiNS0_10empty_typeEbEEZZNS1_14partition_implILS5_0ELb0ES3_jN6thrust23THRUST_200600_302600_NS6detail15normal_iteratorINSA_10device_ptrIiEEEEPS6_SG_NS0_5tupleIJNSA_16discard_iteratorINSA_11use_defaultEEESK_EEENSH_IJSG_SG_EEES6_PlJ7is_evenIiEEEE10hipError_tPvRmT3_T4_T5_T6_T7_T9_mT8_P12ihipStream_tbDpT10_ENKUlT_T0_E_clISt17integral_constantIbLb1EES19_EEDaS14_S15_EUlS14_E_NS1_11comp_targetILNS1_3genE2ELNS1_11target_archE906ELNS1_3gpuE6ELNS1_3repE0EEENS1_30default_config_static_selectorELNS0_4arch9wavefront6targetE1EEEvT1_
; %bb.0:
	.section	.rodata,"a",@progbits
	.p2align	6, 0x0
	.amdhsa_kernel _ZN7rocprim17ROCPRIM_400000_NS6detail17trampoline_kernelINS0_14default_configENS1_25partition_config_selectorILNS1_17partition_subalgoE0EiNS0_10empty_typeEbEEZZNS1_14partition_implILS5_0ELb0ES3_jN6thrust23THRUST_200600_302600_NS6detail15normal_iteratorINSA_10device_ptrIiEEEEPS6_SG_NS0_5tupleIJNSA_16discard_iteratorINSA_11use_defaultEEESK_EEENSH_IJSG_SG_EEES6_PlJ7is_evenIiEEEE10hipError_tPvRmT3_T4_T5_T6_T7_T9_mT8_P12ihipStream_tbDpT10_ENKUlT_T0_E_clISt17integral_constantIbLb1EES19_EEDaS14_S15_EUlS14_E_NS1_11comp_targetILNS1_3genE2ELNS1_11target_archE906ELNS1_3gpuE6ELNS1_3repE0EEENS1_30default_config_static_selectorELNS0_4arch9wavefront6targetE1EEEvT1_
		.amdhsa_group_segment_fixed_size 0
		.amdhsa_private_segment_fixed_size 0
		.amdhsa_kernarg_size 152
		.amdhsa_user_sgpr_count 2
		.amdhsa_user_sgpr_dispatch_ptr 0
		.amdhsa_user_sgpr_queue_ptr 0
		.amdhsa_user_sgpr_kernarg_segment_ptr 1
		.amdhsa_user_sgpr_dispatch_id 0
		.amdhsa_user_sgpr_kernarg_preload_length 0
		.amdhsa_user_sgpr_kernarg_preload_offset 0
		.amdhsa_user_sgpr_private_segment_size 0
		.amdhsa_uses_dynamic_stack 0
		.amdhsa_enable_private_segment 0
		.amdhsa_system_sgpr_workgroup_id_x 1
		.amdhsa_system_sgpr_workgroup_id_y 0
		.amdhsa_system_sgpr_workgroup_id_z 0
		.amdhsa_system_sgpr_workgroup_info 0
		.amdhsa_system_vgpr_workitem_id 0
		.amdhsa_next_free_vgpr 1
		.amdhsa_next_free_sgpr 0
		.amdhsa_accum_offset 4
		.amdhsa_reserve_vcc 0
		.amdhsa_float_round_mode_32 0
		.amdhsa_float_round_mode_16_64 0
		.amdhsa_float_denorm_mode_32 3
		.amdhsa_float_denorm_mode_16_64 3
		.amdhsa_dx10_clamp 1
		.amdhsa_ieee_mode 1
		.amdhsa_fp16_overflow 0
		.amdhsa_tg_split 0
		.amdhsa_exception_fp_ieee_invalid_op 0
		.amdhsa_exception_fp_denorm_src 0
		.amdhsa_exception_fp_ieee_div_zero 0
		.amdhsa_exception_fp_ieee_overflow 0
		.amdhsa_exception_fp_ieee_underflow 0
		.amdhsa_exception_fp_ieee_inexact 0
		.amdhsa_exception_int_div_zero 0
	.end_amdhsa_kernel
	.section	.text._ZN7rocprim17ROCPRIM_400000_NS6detail17trampoline_kernelINS0_14default_configENS1_25partition_config_selectorILNS1_17partition_subalgoE0EiNS0_10empty_typeEbEEZZNS1_14partition_implILS5_0ELb0ES3_jN6thrust23THRUST_200600_302600_NS6detail15normal_iteratorINSA_10device_ptrIiEEEEPS6_SG_NS0_5tupleIJNSA_16discard_iteratorINSA_11use_defaultEEESK_EEENSH_IJSG_SG_EEES6_PlJ7is_evenIiEEEE10hipError_tPvRmT3_T4_T5_T6_T7_T9_mT8_P12ihipStream_tbDpT10_ENKUlT_T0_E_clISt17integral_constantIbLb1EES19_EEDaS14_S15_EUlS14_E_NS1_11comp_targetILNS1_3genE2ELNS1_11target_archE906ELNS1_3gpuE6ELNS1_3repE0EEENS1_30default_config_static_selectorELNS0_4arch9wavefront6targetE1EEEvT1_,"axG",@progbits,_ZN7rocprim17ROCPRIM_400000_NS6detail17trampoline_kernelINS0_14default_configENS1_25partition_config_selectorILNS1_17partition_subalgoE0EiNS0_10empty_typeEbEEZZNS1_14partition_implILS5_0ELb0ES3_jN6thrust23THRUST_200600_302600_NS6detail15normal_iteratorINSA_10device_ptrIiEEEEPS6_SG_NS0_5tupleIJNSA_16discard_iteratorINSA_11use_defaultEEESK_EEENSH_IJSG_SG_EEES6_PlJ7is_evenIiEEEE10hipError_tPvRmT3_T4_T5_T6_T7_T9_mT8_P12ihipStream_tbDpT10_ENKUlT_T0_E_clISt17integral_constantIbLb1EES19_EEDaS14_S15_EUlS14_E_NS1_11comp_targetILNS1_3genE2ELNS1_11target_archE906ELNS1_3gpuE6ELNS1_3repE0EEENS1_30default_config_static_selectorELNS0_4arch9wavefront6targetE1EEEvT1_,comdat
.Lfunc_end2695:
	.size	_ZN7rocprim17ROCPRIM_400000_NS6detail17trampoline_kernelINS0_14default_configENS1_25partition_config_selectorILNS1_17partition_subalgoE0EiNS0_10empty_typeEbEEZZNS1_14partition_implILS5_0ELb0ES3_jN6thrust23THRUST_200600_302600_NS6detail15normal_iteratorINSA_10device_ptrIiEEEEPS6_SG_NS0_5tupleIJNSA_16discard_iteratorINSA_11use_defaultEEESK_EEENSH_IJSG_SG_EEES6_PlJ7is_evenIiEEEE10hipError_tPvRmT3_T4_T5_T6_T7_T9_mT8_P12ihipStream_tbDpT10_ENKUlT_T0_E_clISt17integral_constantIbLb1EES19_EEDaS14_S15_EUlS14_E_NS1_11comp_targetILNS1_3genE2ELNS1_11target_archE906ELNS1_3gpuE6ELNS1_3repE0EEENS1_30default_config_static_selectorELNS0_4arch9wavefront6targetE1EEEvT1_, .Lfunc_end2695-_ZN7rocprim17ROCPRIM_400000_NS6detail17trampoline_kernelINS0_14default_configENS1_25partition_config_selectorILNS1_17partition_subalgoE0EiNS0_10empty_typeEbEEZZNS1_14partition_implILS5_0ELb0ES3_jN6thrust23THRUST_200600_302600_NS6detail15normal_iteratorINSA_10device_ptrIiEEEEPS6_SG_NS0_5tupleIJNSA_16discard_iteratorINSA_11use_defaultEEESK_EEENSH_IJSG_SG_EEES6_PlJ7is_evenIiEEEE10hipError_tPvRmT3_T4_T5_T6_T7_T9_mT8_P12ihipStream_tbDpT10_ENKUlT_T0_E_clISt17integral_constantIbLb1EES19_EEDaS14_S15_EUlS14_E_NS1_11comp_targetILNS1_3genE2ELNS1_11target_archE906ELNS1_3gpuE6ELNS1_3repE0EEENS1_30default_config_static_selectorELNS0_4arch9wavefront6targetE1EEEvT1_
                                        ; -- End function
	.section	.AMDGPU.csdata,"",@progbits
; Kernel info:
; codeLenInByte = 0
; NumSgprs: 6
; NumVgprs: 0
; NumAgprs: 0
; TotalNumVgprs: 0
; ScratchSize: 0
; MemoryBound: 0
; FloatMode: 240
; IeeeMode: 1
; LDSByteSize: 0 bytes/workgroup (compile time only)
; SGPRBlocks: 0
; VGPRBlocks: 0
; NumSGPRsForWavesPerEU: 6
; NumVGPRsForWavesPerEU: 1
; AccumOffset: 4
; Occupancy: 8
; WaveLimiterHint : 0
; COMPUTE_PGM_RSRC2:SCRATCH_EN: 0
; COMPUTE_PGM_RSRC2:USER_SGPR: 2
; COMPUTE_PGM_RSRC2:TRAP_HANDLER: 0
; COMPUTE_PGM_RSRC2:TGID_X_EN: 1
; COMPUTE_PGM_RSRC2:TGID_Y_EN: 0
; COMPUTE_PGM_RSRC2:TGID_Z_EN: 0
; COMPUTE_PGM_RSRC2:TIDIG_COMP_CNT: 0
; COMPUTE_PGM_RSRC3_GFX90A:ACCUM_OFFSET: 0
; COMPUTE_PGM_RSRC3_GFX90A:TG_SPLIT: 0
	.section	.text._ZN7rocprim17ROCPRIM_400000_NS6detail17trampoline_kernelINS0_14default_configENS1_25partition_config_selectorILNS1_17partition_subalgoE0EiNS0_10empty_typeEbEEZZNS1_14partition_implILS5_0ELb0ES3_jN6thrust23THRUST_200600_302600_NS6detail15normal_iteratorINSA_10device_ptrIiEEEEPS6_SG_NS0_5tupleIJNSA_16discard_iteratorINSA_11use_defaultEEESK_EEENSH_IJSG_SG_EEES6_PlJ7is_evenIiEEEE10hipError_tPvRmT3_T4_T5_T6_T7_T9_mT8_P12ihipStream_tbDpT10_ENKUlT_T0_E_clISt17integral_constantIbLb1EES19_EEDaS14_S15_EUlS14_E_NS1_11comp_targetILNS1_3genE10ELNS1_11target_archE1200ELNS1_3gpuE4ELNS1_3repE0EEENS1_30default_config_static_selectorELNS0_4arch9wavefront6targetE1EEEvT1_,"axG",@progbits,_ZN7rocprim17ROCPRIM_400000_NS6detail17trampoline_kernelINS0_14default_configENS1_25partition_config_selectorILNS1_17partition_subalgoE0EiNS0_10empty_typeEbEEZZNS1_14partition_implILS5_0ELb0ES3_jN6thrust23THRUST_200600_302600_NS6detail15normal_iteratorINSA_10device_ptrIiEEEEPS6_SG_NS0_5tupleIJNSA_16discard_iteratorINSA_11use_defaultEEESK_EEENSH_IJSG_SG_EEES6_PlJ7is_evenIiEEEE10hipError_tPvRmT3_T4_T5_T6_T7_T9_mT8_P12ihipStream_tbDpT10_ENKUlT_T0_E_clISt17integral_constantIbLb1EES19_EEDaS14_S15_EUlS14_E_NS1_11comp_targetILNS1_3genE10ELNS1_11target_archE1200ELNS1_3gpuE4ELNS1_3repE0EEENS1_30default_config_static_selectorELNS0_4arch9wavefront6targetE1EEEvT1_,comdat
	.protected	_ZN7rocprim17ROCPRIM_400000_NS6detail17trampoline_kernelINS0_14default_configENS1_25partition_config_selectorILNS1_17partition_subalgoE0EiNS0_10empty_typeEbEEZZNS1_14partition_implILS5_0ELb0ES3_jN6thrust23THRUST_200600_302600_NS6detail15normal_iteratorINSA_10device_ptrIiEEEEPS6_SG_NS0_5tupleIJNSA_16discard_iteratorINSA_11use_defaultEEESK_EEENSH_IJSG_SG_EEES6_PlJ7is_evenIiEEEE10hipError_tPvRmT3_T4_T5_T6_T7_T9_mT8_P12ihipStream_tbDpT10_ENKUlT_T0_E_clISt17integral_constantIbLb1EES19_EEDaS14_S15_EUlS14_E_NS1_11comp_targetILNS1_3genE10ELNS1_11target_archE1200ELNS1_3gpuE4ELNS1_3repE0EEENS1_30default_config_static_selectorELNS0_4arch9wavefront6targetE1EEEvT1_ ; -- Begin function _ZN7rocprim17ROCPRIM_400000_NS6detail17trampoline_kernelINS0_14default_configENS1_25partition_config_selectorILNS1_17partition_subalgoE0EiNS0_10empty_typeEbEEZZNS1_14partition_implILS5_0ELb0ES3_jN6thrust23THRUST_200600_302600_NS6detail15normal_iteratorINSA_10device_ptrIiEEEEPS6_SG_NS0_5tupleIJNSA_16discard_iteratorINSA_11use_defaultEEESK_EEENSH_IJSG_SG_EEES6_PlJ7is_evenIiEEEE10hipError_tPvRmT3_T4_T5_T6_T7_T9_mT8_P12ihipStream_tbDpT10_ENKUlT_T0_E_clISt17integral_constantIbLb1EES19_EEDaS14_S15_EUlS14_E_NS1_11comp_targetILNS1_3genE10ELNS1_11target_archE1200ELNS1_3gpuE4ELNS1_3repE0EEENS1_30default_config_static_selectorELNS0_4arch9wavefront6targetE1EEEvT1_
	.globl	_ZN7rocprim17ROCPRIM_400000_NS6detail17trampoline_kernelINS0_14default_configENS1_25partition_config_selectorILNS1_17partition_subalgoE0EiNS0_10empty_typeEbEEZZNS1_14partition_implILS5_0ELb0ES3_jN6thrust23THRUST_200600_302600_NS6detail15normal_iteratorINSA_10device_ptrIiEEEEPS6_SG_NS0_5tupleIJNSA_16discard_iteratorINSA_11use_defaultEEESK_EEENSH_IJSG_SG_EEES6_PlJ7is_evenIiEEEE10hipError_tPvRmT3_T4_T5_T6_T7_T9_mT8_P12ihipStream_tbDpT10_ENKUlT_T0_E_clISt17integral_constantIbLb1EES19_EEDaS14_S15_EUlS14_E_NS1_11comp_targetILNS1_3genE10ELNS1_11target_archE1200ELNS1_3gpuE4ELNS1_3repE0EEENS1_30default_config_static_selectorELNS0_4arch9wavefront6targetE1EEEvT1_
	.p2align	8
	.type	_ZN7rocprim17ROCPRIM_400000_NS6detail17trampoline_kernelINS0_14default_configENS1_25partition_config_selectorILNS1_17partition_subalgoE0EiNS0_10empty_typeEbEEZZNS1_14partition_implILS5_0ELb0ES3_jN6thrust23THRUST_200600_302600_NS6detail15normal_iteratorINSA_10device_ptrIiEEEEPS6_SG_NS0_5tupleIJNSA_16discard_iteratorINSA_11use_defaultEEESK_EEENSH_IJSG_SG_EEES6_PlJ7is_evenIiEEEE10hipError_tPvRmT3_T4_T5_T6_T7_T9_mT8_P12ihipStream_tbDpT10_ENKUlT_T0_E_clISt17integral_constantIbLb1EES19_EEDaS14_S15_EUlS14_E_NS1_11comp_targetILNS1_3genE10ELNS1_11target_archE1200ELNS1_3gpuE4ELNS1_3repE0EEENS1_30default_config_static_selectorELNS0_4arch9wavefront6targetE1EEEvT1_,@function
_ZN7rocprim17ROCPRIM_400000_NS6detail17trampoline_kernelINS0_14default_configENS1_25partition_config_selectorILNS1_17partition_subalgoE0EiNS0_10empty_typeEbEEZZNS1_14partition_implILS5_0ELb0ES3_jN6thrust23THRUST_200600_302600_NS6detail15normal_iteratorINSA_10device_ptrIiEEEEPS6_SG_NS0_5tupleIJNSA_16discard_iteratorINSA_11use_defaultEEESK_EEENSH_IJSG_SG_EEES6_PlJ7is_evenIiEEEE10hipError_tPvRmT3_T4_T5_T6_T7_T9_mT8_P12ihipStream_tbDpT10_ENKUlT_T0_E_clISt17integral_constantIbLb1EES19_EEDaS14_S15_EUlS14_E_NS1_11comp_targetILNS1_3genE10ELNS1_11target_archE1200ELNS1_3gpuE4ELNS1_3repE0EEENS1_30default_config_static_selectorELNS0_4arch9wavefront6targetE1EEEvT1_: ; @_ZN7rocprim17ROCPRIM_400000_NS6detail17trampoline_kernelINS0_14default_configENS1_25partition_config_selectorILNS1_17partition_subalgoE0EiNS0_10empty_typeEbEEZZNS1_14partition_implILS5_0ELb0ES3_jN6thrust23THRUST_200600_302600_NS6detail15normal_iteratorINSA_10device_ptrIiEEEEPS6_SG_NS0_5tupleIJNSA_16discard_iteratorINSA_11use_defaultEEESK_EEENSH_IJSG_SG_EEES6_PlJ7is_evenIiEEEE10hipError_tPvRmT3_T4_T5_T6_T7_T9_mT8_P12ihipStream_tbDpT10_ENKUlT_T0_E_clISt17integral_constantIbLb1EES19_EEDaS14_S15_EUlS14_E_NS1_11comp_targetILNS1_3genE10ELNS1_11target_archE1200ELNS1_3gpuE4ELNS1_3repE0EEENS1_30default_config_static_selectorELNS0_4arch9wavefront6targetE1EEEvT1_
; %bb.0:
	.section	.rodata,"a",@progbits
	.p2align	6, 0x0
	.amdhsa_kernel _ZN7rocprim17ROCPRIM_400000_NS6detail17trampoline_kernelINS0_14default_configENS1_25partition_config_selectorILNS1_17partition_subalgoE0EiNS0_10empty_typeEbEEZZNS1_14partition_implILS5_0ELb0ES3_jN6thrust23THRUST_200600_302600_NS6detail15normal_iteratorINSA_10device_ptrIiEEEEPS6_SG_NS0_5tupleIJNSA_16discard_iteratorINSA_11use_defaultEEESK_EEENSH_IJSG_SG_EEES6_PlJ7is_evenIiEEEE10hipError_tPvRmT3_T4_T5_T6_T7_T9_mT8_P12ihipStream_tbDpT10_ENKUlT_T0_E_clISt17integral_constantIbLb1EES19_EEDaS14_S15_EUlS14_E_NS1_11comp_targetILNS1_3genE10ELNS1_11target_archE1200ELNS1_3gpuE4ELNS1_3repE0EEENS1_30default_config_static_selectorELNS0_4arch9wavefront6targetE1EEEvT1_
		.amdhsa_group_segment_fixed_size 0
		.amdhsa_private_segment_fixed_size 0
		.amdhsa_kernarg_size 152
		.amdhsa_user_sgpr_count 2
		.amdhsa_user_sgpr_dispatch_ptr 0
		.amdhsa_user_sgpr_queue_ptr 0
		.amdhsa_user_sgpr_kernarg_segment_ptr 1
		.amdhsa_user_sgpr_dispatch_id 0
		.amdhsa_user_sgpr_kernarg_preload_length 0
		.amdhsa_user_sgpr_kernarg_preload_offset 0
		.amdhsa_user_sgpr_private_segment_size 0
		.amdhsa_uses_dynamic_stack 0
		.amdhsa_enable_private_segment 0
		.amdhsa_system_sgpr_workgroup_id_x 1
		.amdhsa_system_sgpr_workgroup_id_y 0
		.amdhsa_system_sgpr_workgroup_id_z 0
		.amdhsa_system_sgpr_workgroup_info 0
		.amdhsa_system_vgpr_workitem_id 0
		.amdhsa_next_free_vgpr 1
		.amdhsa_next_free_sgpr 0
		.amdhsa_accum_offset 4
		.amdhsa_reserve_vcc 0
		.amdhsa_float_round_mode_32 0
		.amdhsa_float_round_mode_16_64 0
		.amdhsa_float_denorm_mode_32 3
		.amdhsa_float_denorm_mode_16_64 3
		.amdhsa_dx10_clamp 1
		.amdhsa_ieee_mode 1
		.amdhsa_fp16_overflow 0
		.amdhsa_tg_split 0
		.amdhsa_exception_fp_ieee_invalid_op 0
		.amdhsa_exception_fp_denorm_src 0
		.amdhsa_exception_fp_ieee_div_zero 0
		.amdhsa_exception_fp_ieee_overflow 0
		.amdhsa_exception_fp_ieee_underflow 0
		.amdhsa_exception_fp_ieee_inexact 0
		.amdhsa_exception_int_div_zero 0
	.end_amdhsa_kernel
	.section	.text._ZN7rocprim17ROCPRIM_400000_NS6detail17trampoline_kernelINS0_14default_configENS1_25partition_config_selectorILNS1_17partition_subalgoE0EiNS0_10empty_typeEbEEZZNS1_14partition_implILS5_0ELb0ES3_jN6thrust23THRUST_200600_302600_NS6detail15normal_iteratorINSA_10device_ptrIiEEEEPS6_SG_NS0_5tupleIJNSA_16discard_iteratorINSA_11use_defaultEEESK_EEENSH_IJSG_SG_EEES6_PlJ7is_evenIiEEEE10hipError_tPvRmT3_T4_T5_T6_T7_T9_mT8_P12ihipStream_tbDpT10_ENKUlT_T0_E_clISt17integral_constantIbLb1EES19_EEDaS14_S15_EUlS14_E_NS1_11comp_targetILNS1_3genE10ELNS1_11target_archE1200ELNS1_3gpuE4ELNS1_3repE0EEENS1_30default_config_static_selectorELNS0_4arch9wavefront6targetE1EEEvT1_,"axG",@progbits,_ZN7rocprim17ROCPRIM_400000_NS6detail17trampoline_kernelINS0_14default_configENS1_25partition_config_selectorILNS1_17partition_subalgoE0EiNS0_10empty_typeEbEEZZNS1_14partition_implILS5_0ELb0ES3_jN6thrust23THRUST_200600_302600_NS6detail15normal_iteratorINSA_10device_ptrIiEEEEPS6_SG_NS0_5tupleIJNSA_16discard_iteratorINSA_11use_defaultEEESK_EEENSH_IJSG_SG_EEES6_PlJ7is_evenIiEEEE10hipError_tPvRmT3_T4_T5_T6_T7_T9_mT8_P12ihipStream_tbDpT10_ENKUlT_T0_E_clISt17integral_constantIbLb1EES19_EEDaS14_S15_EUlS14_E_NS1_11comp_targetILNS1_3genE10ELNS1_11target_archE1200ELNS1_3gpuE4ELNS1_3repE0EEENS1_30default_config_static_selectorELNS0_4arch9wavefront6targetE1EEEvT1_,comdat
.Lfunc_end2696:
	.size	_ZN7rocprim17ROCPRIM_400000_NS6detail17trampoline_kernelINS0_14default_configENS1_25partition_config_selectorILNS1_17partition_subalgoE0EiNS0_10empty_typeEbEEZZNS1_14partition_implILS5_0ELb0ES3_jN6thrust23THRUST_200600_302600_NS6detail15normal_iteratorINSA_10device_ptrIiEEEEPS6_SG_NS0_5tupleIJNSA_16discard_iteratorINSA_11use_defaultEEESK_EEENSH_IJSG_SG_EEES6_PlJ7is_evenIiEEEE10hipError_tPvRmT3_T4_T5_T6_T7_T9_mT8_P12ihipStream_tbDpT10_ENKUlT_T0_E_clISt17integral_constantIbLb1EES19_EEDaS14_S15_EUlS14_E_NS1_11comp_targetILNS1_3genE10ELNS1_11target_archE1200ELNS1_3gpuE4ELNS1_3repE0EEENS1_30default_config_static_selectorELNS0_4arch9wavefront6targetE1EEEvT1_, .Lfunc_end2696-_ZN7rocprim17ROCPRIM_400000_NS6detail17trampoline_kernelINS0_14default_configENS1_25partition_config_selectorILNS1_17partition_subalgoE0EiNS0_10empty_typeEbEEZZNS1_14partition_implILS5_0ELb0ES3_jN6thrust23THRUST_200600_302600_NS6detail15normal_iteratorINSA_10device_ptrIiEEEEPS6_SG_NS0_5tupleIJNSA_16discard_iteratorINSA_11use_defaultEEESK_EEENSH_IJSG_SG_EEES6_PlJ7is_evenIiEEEE10hipError_tPvRmT3_T4_T5_T6_T7_T9_mT8_P12ihipStream_tbDpT10_ENKUlT_T0_E_clISt17integral_constantIbLb1EES19_EEDaS14_S15_EUlS14_E_NS1_11comp_targetILNS1_3genE10ELNS1_11target_archE1200ELNS1_3gpuE4ELNS1_3repE0EEENS1_30default_config_static_selectorELNS0_4arch9wavefront6targetE1EEEvT1_
                                        ; -- End function
	.section	.AMDGPU.csdata,"",@progbits
; Kernel info:
; codeLenInByte = 0
; NumSgprs: 6
; NumVgprs: 0
; NumAgprs: 0
; TotalNumVgprs: 0
; ScratchSize: 0
; MemoryBound: 0
; FloatMode: 240
; IeeeMode: 1
; LDSByteSize: 0 bytes/workgroup (compile time only)
; SGPRBlocks: 0
; VGPRBlocks: 0
; NumSGPRsForWavesPerEU: 6
; NumVGPRsForWavesPerEU: 1
; AccumOffset: 4
; Occupancy: 8
; WaveLimiterHint : 0
; COMPUTE_PGM_RSRC2:SCRATCH_EN: 0
; COMPUTE_PGM_RSRC2:USER_SGPR: 2
; COMPUTE_PGM_RSRC2:TRAP_HANDLER: 0
; COMPUTE_PGM_RSRC2:TGID_X_EN: 1
; COMPUTE_PGM_RSRC2:TGID_Y_EN: 0
; COMPUTE_PGM_RSRC2:TGID_Z_EN: 0
; COMPUTE_PGM_RSRC2:TIDIG_COMP_CNT: 0
; COMPUTE_PGM_RSRC3_GFX90A:ACCUM_OFFSET: 0
; COMPUTE_PGM_RSRC3_GFX90A:TG_SPLIT: 0
	.section	.text._ZN7rocprim17ROCPRIM_400000_NS6detail17trampoline_kernelINS0_14default_configENS1_25partition_config_selectorILNS1_17partition_subalgoE0EiNS0_10empty_typeEbEEZZNS1_14partition_implILS5_0ELb0ES3_jN6thrust23THRUST_200600_302600_NS6detail15normal_iteratorINSA_10device_ptrIiEEEEPS6_SG_NS0_5tupleIJNSA_16discard_iteratorINSA_11use_defaultEEESK_EEENSH_IJSG_SG_EEES6_PlJ7is_evenIiEEEE10hipError_tPvRmT3_T4_T5_T6_T7_T9_mT8_P12ihipStream_tbDpT10_ENKUlT_T0_E_clISt17integral_constantIbLb1EES19_EEDaS14_S15_EUlS14_E_NS1_11comp_targetILNS1_3genE9ELNS1_11target_archE1100ELNS1_3gpuE3ELNS1_3repE0EEENS1_30default_config_static_selectorELNS0_4arch9wavefront6targetE1EEEvT1_,"axG",@progbits,_ZN7rocprim17ROCPRIM_400000_NS6detail17trampoline_kernelINS0_14default_configENS1_25partition_config_selectorILNS1_17partition_subalgoE0EiNS0_10empty_typeEbEEZZNS1_14partition_implILS5_0ELb0ES3_jN6thrust23THRUST_200600_302600_NS6detail15normal_iteratorINSA_10device_ptrIiEEEEPS6_SG_NS0_5tupleIJNSA_16discard_iteratorINSA_11use_defaultEEESK_EEENSH_IJSG_SG_EEES6_PlJ7is_evenIiEEEE10hipError_tPvRmT3_T4_T5_T6_T7_T9_mT8_P12ihipStream_tbDpT10_ENKUlT_T0_E_clISt17integral_constantIbLb1EES19_EEDaS14_S15_EUlS14_E_NS1_11comp_targetILNS1_3genE9ELNS1_11target_archE1100ELNS1_3gpuE3ELNS1_3repE0EEENS1_30default_config_static_selectorELNS0_4arch9wavefront6targetE1EEEvT1_,comdat
	.protected	_ZN7rocprim17ROCPRIM_400000_NS6detail17trampoline_kernelINS0_14default_configENS1_25partition_config_selectorILNS1_17partition_subalgoE0EiNS0_10empty_typeEbEEZZNS1_14partition_implILS5_0ELb0ES3_jN6thrust23THRUST_200600_302600_NS6detail15normal_iteratorINSA_10device_ptrIiEEEEPS6_SG_NS0_5tupleIJNSA_16discard_iteratorINSA_11use_defaultEEESK_EEENSH_IJSG_SG_EEES6_PlJ7is_evenIiEEEE10hipError_tPvRmT3_T4_T5_T6_T7_T9_mT8_P12ihipStream_tbDpT10_ENKUlT_T0_E_clISt17integral_constantIbLb1EES19_EEDaS14_S15_EUlS14_E_NS1_11comp_targetILNS1_3genE9ELNS1_11target_archE1100ELNS1_3gpuE3ELNS1_3repE0EEENS1_30default_config_static_selectorELNS0_4arch9wavefront6targetE1EEEvT1_ ; -- Begin function _ZN7rocprim17ROCPRIM_400000_NS6detail17trampoline_kernelINS0_14default_configENS1_25partition_config_selectorILNS1_17partition_subalgoE0EiNS0_10empty_typeEbEEZZNS1_14partition_implILS5_0ELb0ES3_jN6thrust23THRUST_200600_302600_NS6detail15normal_iteratorINSA_10device_ptrIiEEEEPS6_SG_NS0_5tupleIJNSA_16discard_iteratorINSA_11use_defaultEEESK_EEENSH_IJSG_SG_EEES6_PlJ7is_evenIiEEEE10hipError_tPvRmT3_T4_T5_T6_T7_T9_mT8_P12ihipStream_tbDpT10_ENKUlT_T0_E_clISt17integral_constantIbLb1EES19_EEDaS14_S15_EUlS14_E_NS1_11comp_targetILNS1_3genE9ELNS1_11target_archE1100ELNS1_3gpuE3ELNS1_3repE0EEENS1_30default_config_static_selectorELNS0_4arch9wavefront6targetE1EEEvT1_
	.globl	_ZN7rocprim17ROCPRIM_400000_NS6detail17trampoline_kernelINS0_14default_configENS1_25partition_config_selectorILNS1_17partition_subalgoE0EiNS0_10empty_typeEbEEZZNS1_14partition_implILS5_0ELb0ES3_jN6thrust23THRUST_200600_302600_NS6detail15normal_iteratorINSA_10device_ptrIiEEEEPS6_SG_NS0_5tupleIJNSA_16discard_iteratorINSA_11use_defaultEEESK_EEENSH_IJSG_SG_EEES6_PlJ7is_evenIiEEEE10hipError_tPvRmT3_T4_T5_T6_T7_T9_mT8_P12ihipStream_tbDpT10_ENKUlT_T0_E_clISt17integral_constantIbLb1EES19_EEDaS14_S15_EUlS14_E_NS1_11comp_targetILNS1_3genE9ELNS1_11target_archE1100ELNS1_3gpuE3ELNS1_3repE0EEENS1_30default_config_static_selectorELNS0_4arch9wavefront6targetE1EEEvT1_
	.p2align	8
	.type	_ZN7rocprim17ROCPRIM_400000_NS6detail17trampoline_kernelINS0_14default_configENS1_25partition_config_selectorILNS1_17partition_subalgoE0EiNS0_10empty_typeEbEEZZNS1_14partition_implILS5_0ELb0ES3_jN6thrust23THRUST_200600_302600_NS6detail15normal_iteratorINSA_10device_ptrIiEEEEPS6_SG_NS0_5tupleIJNSA_16discard_iteratorINSA_11use_defaultEEESK_EEENSH_IJSG_SG_EEES6_PlJ7is_evenIiEEEE10hipError_tPvRmT3_T4_T5_T6_T7_T9_mT8_P12ihipStream_tbDpT10_ENKUlT_T0_E_clISt17integral_constantIbLb1EES19_EEDaS14_S15_EUlS14_E_NS1_11comp_targetILNS1_3genE9ELNS1_11target_archE1100ELNS1_3gpuE3ELNS1_3repE0EEENS1_30default_config_static_selectorELNS0_4arch9wavefront6targetE1EEEvT1_,@function
_ZN7rocprim17ROCPRIM_400000_NS6detail17trampoline_kernelINS0_14default_configENS1_25partition_config_selectorILNS1_17partition_subalgoE0EiNS0_10empty_typeEbEEZZNS1_14partition_implILS5_0ELb0ES3_jN6thrust23THRUST_200600_302600_NS6detail15normal_iteratorINSA_10device_ptrIiEEEEPS6_SG_NS0_5tupleIJNSA_16discard_iteratorINSA_11use_defaultEEESK_EEENSH_IJSG_SG_EEES6_PlJ7is_evenIiEEEE10hipError_tPvRmT3_T4_T5_T6_T7_T9_mT8_P12ihipStream_tbDpT10_ENKUlT_T0_E_clISt17integral_constantIbLb1EES19_EEDaS14_S15_EUlS14_E_NS1_11comp_targetILNS1_3genE9ELNS1_11target_archE1100ELNS1_3gpuE3ELNS1_3repE0EEENS1_30default_config_static_selectorELNS0_4arch9wavefront6targetE1EEEvT1_: ; @_ZN7rocprim17ROCPRIM_400000_NS6detail17trampoline_kernelINS0_14default_configENS1_25partition_config_selectorILNS1_17partition_subalgoE0EiNS0_10empty_typeEbEEZZNS1_14partition_implILS5_0ELb0ES3_jN6thrust23THRUST_200600_302600_NS6detail15normal_iteratorINSA_10device_ptrIiEEEEPS6_SG_NS0_5tupleIJNSA_16discard_iteratorINSA_11use_defaultEEESK_EEENSH_IJSG_SG_EEES6_PlJ7is_evenIiEEEE10hipError_tPvRmT3_T4_T5_T6_T7_T9_mT8_P12ihipStream_tbDpT10_ENKUlT_T0_E_clISt17integral_constantIbLb1EES19_EEDaS14_S15_EUlS14_E_NS1_11comp_targetILNS1_3genE9ELNS1_11target_archE1100ELNS1_3gpuE3ELNS1_3repE0EEENS1_30default_config_static_selectorELNS0_4arch9wavefront6targetE1EEEvT1_
; %bb.0:
	.section	.rodata,"a",@progbits
	.p2align	6, 0x0
	.amdhsa_kernel _ZN7rocprim17ROCPRIM_400000_NS6detail17trampoline_kernelINS0_14default_configENS1_25partition_config_selectorILNS1_17partition_subalgoE0EiNS0_10empty_typeEbEEZZNS1_14partition_implILS5_0ELb0ES3_jN6thrust23THRUST_200600_302600_NS6detail15normal_iteratorINSA_10device_ptrIiEEEEPS6_SG_NS0_5tupleIJNSA_16discard_iteratorINSA_11use_defaultEEESK_EEENSH_IJSG_SG_EEES6_PlJ7is_evenIiEEEE10hipError_tPvRmT3_T4_T5_T6_T7_T9_mT8_P12ihipStream_tbDpT10_ENKUlT_T0_E_clISt17integral_constantIbLb1EES19_EEDaS14_S15_EUlS14_E_NS1_11comp_targetILNS1_3genE9ELNS1_11target_archE1100ELNS1_3gpuE3ELNS1_3repE0EEENS1_30default_config_static_selectorELNS0_4arch9wavefront6targetE1EEEvT1_
		.amdhsa_group_segment_fixed_size 0
		.amdhsa_private_segment_fixed_size 0
		.amdhsa_kernarg_size 152
		.amdhsa_user_sgpr_count 2
		.amdhsa_user_sgpr_dispatch_ptr 0
		.amdhsa_user_sgpr_queue_ptr 0
		.amdhsa_user_sgpr_kernarg_segment_ptr 1
		.amdhsa_user_sgpr_dispatch_id 0
		.amdhsa_user_sgpr_kernarg_preload_length 0
		.amdhsa_user_sgpr_kernarg_preload_offset 0
		.amdhsa_user_sgpr_private_segment_size 0
		.amdhsa_uses_dynamic_stack 0
		.amdhsa_enable_private_segment 0
		.amdhsa_system_sgpr_workgroup_id_x 1
		.amdhsa_system_sgpr_workgroup_id_y 0
		.amdhsa_system_sgpr_workgroup_id_z 0
		.amdhsa_system_sgpr_workgroup_info 0
		.amdhsa_system_vgpr_workitem_id 0
		.amdhsa_next_free_vgpr 1
		.amdhsa_next_free_sgpr 0
		.amdhsa_accum_offset 4
		.amdhsa_reserve_vcc 0
		.amdhsa_float_round_mode_32 0
		.amdhsa_float_round_mode_16_64 0
		.amdhsa_float_denorm_mode_32 3
		.amdhsa_float_denorm_mode_16_64 3
		.amdhsa_dx10_clamp 1
		.amdhsa_ieee_mode 1
		.amdhsa_fp16_overflow 0
		.amdhsa_tg_split 0
		.amdhsa_exception_fp_ieee_invalid_op 0
		.amdhsa_exception_fp_denorm_src 0
		.amdhsa_exception_fp_ieee_div_zero 0
		.amdhsa_exception_fp_ieee_overflow 0
		.amdhsa_exception_fp_ieee_underflow 0
		.amdhsa_exception_fp_ieee_inexact 0
		.amdhsa_exception_int_div_zero 0
	.end_amdhsa_kernel
	.section	.text._ZN7rocprim17ROCPRIM_400000_NS6detail17trampoline_kernelINS0_14default_configENS1_25partition_config_selectorILNS1_17partition_subalgoE0EiNS0_10empty_typeEbEEZZNS1_14partition_implILS5_0ELb0ES3_jN6thrust23THRUST_200600_302600_NS6detail15normal_iteratorINSA_10device_ptrIiEEEEPS6_SG_NS0_5tupleIJNSA_16discard_iteratorINSA_11use_defaultEEESK_EEENSH_IJSG_SG_EEES6_PlJ7is_evenIiEEEE10hipError_tPvRmT3_T4_T5_T6_T7_T9_mT8_P12ihipStream_tbDpT10_ENKUlT_T0_E_clISt17integral_constantIbLb1EES19_EEDaS14_S15_EUlS14_E_NS1_11comp_targetILNS1_3genE9ELNS1_11target_archE1100ELNS1_3gpuE3ELNS1_3repE0EEENS1_30default_config_static_selectorELNS0_4arch9wavefront6targetE1EEEvT1_,"axG",@progbits,_ZN7rocprim17ROCPRIM_400000_NS6detail17trampoline_kernelINS0_14default_configENS1_25partition_config_selectorILNS1_17partition_subalgoE0EiNS0_10empty_typeEbEEZZNS1_14partition_implILS5_0ELb0ES3_jN6thrust23THRUST_200600_302600_NS6detail15normal_iteratorINSA_10device_ptrIiEEEEPS6_SG_NS0_5tupleIJNSA_16discard_iteratorINSA_11use_defaultEEESK_EEENSH_IJSG_SG_EEES6_PlJ7is_evenIiEEEE10hipError_tPvRmT3_T4_T5_T6_T7_T9_mT8_P12ihipStream_tbDpT10_ENKUlT_T0_E_clISt17integral_constantIbLb1EES19_EEDaS14_S15_EUlS14_E_NS1_11comp_targetILNS1_3genE9ELNS1_11target_archE1100ELNS1_3gpuE3ELNS1_3repE0EEENS1_30default_config_static_selectorELNS0_4arch9wavefront6targetE1EEEvT1_,comdat
.Lfunc_end2697:
	.size	_ZN7rocprim17ROCPRIM_400000_NS6detail17trampoline_kernelINS0_14default_configENS1_25partition_config_selectorILNS1_17partition_subalgoE0EiNS0_10empty_typeEbEEZZNS1_14partition_implILS5_0ELb0ES3_jN6thrust23THRUST_200600_302600_NS6detail15normal_iteratorINSA_10device_ptrIiEEEEPS6_SG_NS0_5tupleIJNSA_16discard_iteratorINSA_11use_defaultEEESK_EEENSH_IJSG_SG_EEES6_PlJ7is_evenIiEEEE10hipError_tPvRmT3_T4_T5_T6_T7_T9_mT8_P12ihipStream_tbDpT10_ENKUlT_T0_E_clISt17integral_constantIbLb1EES19_EEDaS14_S15_EUlS14_E_NS1_11comp_targetILNS1_3genE9ELNS1_11target_archE1100ELNS1_3gpuE3ELNS1_3repE0EEENS1_30default_config_static_selectorELNS0_4arch9wavefront6targetE1EEEvT1_, .Lfunc_end2697-_ZN7rocprim17ROCPRIM_400000_NS6detail17trampoline_kernelINS0_14default_configENS1_25partition_config_selectorILNS1_17partition_subalgoE0EiNS0_10empty_typeEbEEZZNS1_14partition_implILS5_0ELb0ES3_jN6thrust23THRUST_200600_302600_NS6detail15normal_iteratorINSA_10device_ptrIiEEEEPS6_SG_NS0_5tupleIJNSA_16discard_iteratorINSA_11use_defaultEEESK_EEENSH_IJSG_SG_EEES6_PlJ7is_evenIiEEEE10hipError_tPvRmT3_T4_T5_T6_T7_T9_mT8_P12ihipStream_tbDpT10_ENKUlT_T0_E_clISt17integral_constantIbLb1EES19_EEDaS14_S15_EUlS14_E_NS1_11comp_targetILNS1_3genE9ELNS1_11target_archE1100ELNS1_3gpuE3ELNS1_3repE0EEENS1_30default_config_static_selectorELNS0_4arch9wavefront6targetE1EEEvT1_
                                        ; -- End function
	.section	.AMDGPU.csdata,"",@progbits
; Kernel info:
; codeLenInByte = 0
; NumSgprs: 6
; NumVgprs: 0
; NumAgprs: 0
; TotalNumVgprs: 0
; ScratchSize: 0
; MemoryBound: 0
; FloatMode: 240
; IeeeMode: 1
; LDSByteSize: 0 bytes/workgroup (compile time only)
; SGPRBlocks: 0
; VGPRBlocks: 0
; NumSGPRsForWavesPerEU: 6
; NumVGPRsForWavesPerEU: 1
; AccumOffset: 4
; Occupancy: 8
; WaveLimiterHint : 0
; COMPUTE_PGM_RSRC2:SCRATCH_EN: 0
; COMPUTE_PGM_RSRC2:USER_SGPR: 2
; COMPUTE_PGM_RSRC2:TRAP_HANDLER: 0
; COMPUTE_PGM_RSRC2:TGID_X_EN: 1
; COMPUTE_PGM_RSRC2:TGID_Y_EN: 0
; COMPUTE_PGM_RSRC2:TGID_Z_EN: 0
; COMPUTE_PGM_RSRC2:TIDIG_COMP_CNT: 0
; COMPUTE_PGM_RSRC3_GFX90A:ACCUM_OFFSET: 0
; COMPUTE_PGM_RSRC3_GFX90A:TG_SPLIT: 0
	.section	.text._ZN7rocprim17ROCPRIM_400000_NS6detail17trampoline_kernelINS0_14default_configENS1_25partition_config_selectorILNS1_17partition_subalgoE0EiNS0_10empty_typeEbEEZZNS1_14partition_implILS5_0ELb0ES3_jN6thrust23THRUST_200600_302600_NS6detail15normal_iteratorINSA_10device_ptrIiEEEEPS6_SG_NS0_5tupleIJNSA_16discard_iteratorINSA_11use_defaultEEESK_EEENSH_IJSG_SG_EEES6_PlJ7is_evenIiEEEE10hipError_tPvRmT3_T4_T5_T6_T7_T9_mT8_P12ihipStream_tbDpT10_ENKUlT_T0_E_clISt17integral_constantIbLb1EES19_EEDaS14_S15_EUlS14_E_NS1_11comp_targetILNS1_3genE8ELNS1_11target_archE1030ELNS1_3gpuE2ELNS1_3repE0EEENS1_30default_config_static_selectorELNS0_4arch9wavefront6targetE1EEEvT1_,"axG",@progbits,_ZN7rocprim17ROCPRIM_400000_NS6detail17trampoline_kernelINS0_14default_configENS1_25partition_config_selectorILNS1_17partition_subalgoE0EiNS0_10empty_typeEbEEZZNS1_14partition_implILS5_0ELb0ES3_jN6thrust23THRUST_200600_302600_NS6detail15normal_iteratorINSA_10device_ptrIiEEEEPS6_SG_NS0_5tupleIJNSA_16discard_iteratorINSA_11use_defaultEEESK_EEENSH_IJSG_SG_EEES6_PlJ7is_evenIiEEEE10hipError_tPvRmT3_T4_T5_T6_T7_T9_mT8_P12ihipStream_tbDpT10_ENKUlT_T0_E_clISt17integral_constantIbLb1EES19_EEDaS14_S15_EUlS14_E_NS1_11comp_targetILNS1_3genE8ELNS1_11target_archE1030ELNS1_3gpuE2ELNS1_3repE0EEENS1_30default_config_static_selectorELNS0_4arch9wavefront6targetE1EEEvT1_,comdat
	.protected	_ZN7rocprim17ROCPRIM_400000_NS6detail17trampoline_kernelINS0_14default_configENS1_25partition_config_selectorILNS1_17partition_subalgoE0EiNS0_10empty_typeEbEEZZNS1_14partition_implILS5_0ELb0ES3_jN6thrust23THRUST_200600_302600_NS6detail15normal_iteratorINSA_10device_ptrIiEEEEPS6_SG_NS0_5tupleIJNSA_16discard_iteratorINSA_11use_defaultEEESK_EEENSH_IJSG_SG_EEES6_PlJ7is_evenIiEEEE10hipError_tPvRmT3_T4_T5_T6_T7_T9_mT8_P12ihipStream_tbDpT10_ENKUlT_T0_E_clISt17integral_constantIbLb1EES19_EEDaS14_S15_EUlS14_E_NS1_11comp_targetILNS1_3genE8ELNS1_11target_archE1030ELNS1_3gpuE2ELNS1_3repE0EEENS1_30default_config_static_selectorELNS0_4arch9wavefront6targetE1EEEvT1_ ; -- Begin function _ZN7rocprim17ROCPRIM_400000_NS6detail17trampoline_kernelINS0_14default_configENS1_25partition_config_selectorILNS1_17partition_subalgoE0EiNS0_10empty_typeEbEEZZNS1_14partition_implILS5_0ELb0ES3_jN6thrust23THRUST_200600_302600_NS6detail15normal_iteratorINSA_10device_ptrIiEEEEPS6_SG_NS0_5tupleIJNSA_16discard_iteratorINSA_11use_defaultEEESK_EEENSH_IJSG_SG_EEES6_PlJ7is_evenIiEEEE10hipError_tPvRmT3_T4_T5_T6_T7_T9_mT8_P12ihipStream_tbDpT10_ENKUlT_T0_E_clISt17integral_constantIbLb1EES19_EEDaS14_S15_EUlS14_E_NS1_11comp_targetILNS1_3genE8ELNS1_11target_archE1030ELNS1_3gpuE2ELNS1_3repE0EEENS1_30default_config_static_selectorELNS0_4arch9wavefront6targetE1EEEvT1_
	.globl	_ZN7rocprim17ROCPRIM_400000_NS6detail17trampoline_kernelINS0_14default_configENS1_25partition_config_selectorILNS1_17partition_subalgoE0EiNS0_10empty_typeEbEEZZNS1_14partition_implILS5_0ELb0ES3_jN6thrust23THRUST_200600_302600_NS6detail15normal_iteratorINSA_10device_ptrIiEEEEPS6_SG_NS0_5tupleIJNSA_16discard_iteratorINSA_11use_defaultEEESK_EEENSH_IJSG_SG_EEES6_PlJ7is_evenIiEEEE10hipError_tPvRmT3_T4_T5_T6_T7_T9_mT8_P12ihipStream_tbDpT10_ENKUlT_T0_E_clISt17integral_constantIbLb1EES19_EEDaS14_S15_EUlS14_E_NS1_11comp_targetILNS1_3genE8ELNS1_11target_archE1030ELNS1_3gpuE2ELNS1_3repE0EEENS1_30default_config_static_selectorELNS0_4arch9wavefront6targetE1EEEvT1_
	.p2align	8
	.type	_ZN7rocprim17ROCPRIM_400000_NS6detail17trampoline_kernelINS0_14default_configENS1_25partition_config_selectorILNS1_17partition_subalgoE0EiNS0_10empty_typeEbEEZZNS1_14partition_implILS5_0ELb0ES3_jN6thrust23THRUST_200600_302600_NS6detail15normal_iteratorINSA_10device_ptrIiEEEEPS6_SG_NS0_5tupleIJNSA_16discard_iteratorINSA_11use_defaultEEESK_EEENSH_IJSG_SG_EEES6_PlJ7is_evenIiEEEE10hipError_tPvRmT3_T4_T5_T6_T7_T9_mT8_P12ihipStream_tbDpT10_ENKUlT_T0_E_clISt17integral_constantIbLb1EES19_EEDaS14_S15_EUlS14_E_NS1_11comp_targetILNS1_3genE8ELNS1_11target_archE1030ELNS1_3gpuE2ELNS1_3repE0EEENS1_30default_config_static_selectorELNS0_4arch9wavefront6targetE1EEEvT1_,@function
_ZN7rocprim17ROCPRIM_400000_NS6detail17trampoline_kernelINS0_14default_configENS1_25partition_config_selectorILNS1_17partition_subalgoE0EiNS0_10empty_typeEbEEZZNS1_14partition_implILS5_0ELb0ES3_jN6thrust23THRUST_200600_302600_NS6detail15normal_iteratorINSA_10device_ptrIiEEEEPS6_SG_NS0_5tupleIJNSA_16discard_iteratorINSA_11use_defaultEEESK_EEENSH_IJSG_SG_EEES6_PlJ7is_evenIiEEEE10hipError_tPvRmT3_T4_T5_T6_T7_T9_mT8_P12ihipStream_tbDpT10_ENKUlT_T0_E_clISt17integral_constantIbLb1EES19_EEDaS14_S15_EUlS14_E_NS1_11comp_targetILNS1_3genE8ELNS1_11target_archE1030ELNS1_3gpuE2ELNS1_3repE0EEENS1_30default_config_static_selectorELNS0_4arch9wavefront6targetE1EEEvT1_: ; @_ZN7rocprim17ROCPRIM_400000_NS6detail17trampoline_kernelINS0_14default_configENS1_25partition_config_selectorILNS1_17partition_subalgoE0EiNS0_10empty_typeEbEEZZNS1_14partition_implILS5_0ELb0ES3_jN6thrust23THRUST_200600_302600_NS6detail15normal_iteratorINSA_10device_ptrIiEEEEPS6_SG_NS0_5tupleIJNSA_16discard_iteratorINSA_11use_defaultEEESK_EEENSH_IJSG_SG_EEES6_PlJ7is_evenIiEEEE10hipError_tPvRmT3_T4_T5_T6_T7_T9_mT8_P12ihipStream_tbDpT10_ENKUlT_T0_E_clISt17integral_constantIbLb1EES19_EEDaS14_S15_EUlS14_E_NS1_11comp_targetILNS1_3genE8ELNS1_11target_archE1030ELNS1_3gpuE2ELNS1_3repE0EEENS1_30default_config_static_selectorELNS0_4arch9wavefront6targetE1EEEvT1_
; %bb.0:
	.section	.rodata,"a",@progbits
	.p2align	6, 0x0
	.amdhsa_kernel _ZN7rocprim17ROCPRIM_400000_NS6detail17trampoline_kernelINS0_14default_configENS1_25partition_config_selectorILNS1_17partition_subalgoE0EiNS0_10empty_typeEbEEZZNS1_14partition_implILS5_0ELb0ES3_jN6thrust23THRUST_200600_302600_NS6detail15normal_iteratorINSA_10device_ptrIiEEEEPS6_SG_NS0_5tupleIJNSA_16discard_iteratorINSA_11use_defaultEEESK_EEENSH_IJSG_SG_EEES6_PlJ7is_evenIiEEEE10hipError_tPvRmT3_T4_T5_T6_T7_T9_mT8_P12ihipStream_tbDpT10_ENKUlT_T0_E_clISt17integral_constantIbLb1EES19_EEDaS14_S15_EUlS14_E_NS1_11comp_targetILNS1_3genE8ELNS1_11target_archE1030ELNS1_3gpuE2ELNS1_3repE0EEENS1_30default_config_static_selectorELNS0_4arch9wavefront6targetE1EEEvT1_
		.amdhsa_group_segment_fixed_size 0
		.amdhsa_private_segment_fixed_size 0
		.amdhsa_kernarg_size 152
		.amdhsa_user_sgpr_count 2
		.amdhsa_user_sgpr_dispatch_ptr 0
		.amdhsa_user_sgpr_queue_ptr 0
		.amdhsa_user_sgpr_kernarg_segment_ptr 1
		.amdhsa_user_sgpr_dispatch_id 0
		.amdhsa_user_sgpr_kernarg_preload_length 0
		.amdhsa_user_sgpr_kernarg_preload_offset 0
		.amdhsa_user_sgpr_private_segment_size 0
		.amdhsa_uses_dynamic_stack 0
		.amdhsa_enable_private_segment 0
		.amdhsa_system_sgpr_workgroup_id_x 1
		.amdhsa_system_sgpr_workgroup_id_y 0
		.amdhsa_system_sgpr_workgroup_id_z 0
		.amdhsa_system_sgpr_workgroup_info 0
		.amdhsa_system_vgpr_workitem_id 0
		.amdhsa_next_free_vgpr 1
		.amdhsa_next_free_sgpr 0
		.amdhsa_accum_offset 4
		.amdhsa_reserve_vcc 0
		.amdhsa_float_round_mode_32 0
		.amdhsa_float_round_mode_16_64 0
		.amdhsa_float_denorm_mode_32 3
		.amdhsa_float_denorm_mode_16_64 3
		.amdhsa_dx10_clamp 1
		.amdhsa_ieee_mode 1
		.amdhsa_fp16_overflow 0
		.amdhsa_tg_split 0
		.amdhsa_exception_fp_ieee_invalid_op 0
		.amdhsa_exception_fp_denorm_src 0
		.amdhsa_exception_fp_ieee_div_zero 0
		.amdhsa_exception_fp_ieee_overflow 0
		.amdhsa_exception_fp_ieee_underflow 0
		.amdhsa_exception_fp_ieee_inexact 0
		.amdhsa_exception_int_div_zero 0
	.end_amdhsa_kernel
	.section	.text._ZN7rocprim17ROCPRIM_400000_NS6detail17trampoline_kernelINS0_14default_configENS1_25partition_config_selectorILNS1_17partition_subalgoE0EiNS0_10empty_typeEbEEZZNS1_14partition_implILS5_0ELb0ES3_jN6thrust23THRUST_200600_302600_NS6detail15normal_iteratorINSA_10device_ptrIiEEEEPS6_SG_NS0_5tupleIJNSA_16discard_iteratorINSA_11use_defaultEEESK_EEENSH_IJSG_SG_EEES6_PlJ7is_evenIiEEEE10hipError_tPvRmT3_T4_T5_T6_T7_T9_mT8_P12ihipStream_tbDpT10_ENKUlT_T0_E_clISt17integral_constantIbLb1EES19_EEDaS14_S15_EUlS14_E_NS1_11comp_targetILNS1_3genE8ELNS1_11target_archE1030ELNS1_3gpuE2ELNS1_3repE0EEENS1_30default_config_static_selectorELNS0_4arch9wavefront6targetE1EEEvT1_,"axG",@progbits,_ZN7rocprim17ROCPRIM_400000_NS6detail17trampoline_kernelINS0_14default_configENS1_25partition_config_selectorILNS1_17partition_subalgoE0EiNS0_10empty_typeEbEEZZNS1_14partition_implILS5_0ELb0ES3_jN6thrust23THRUST_200600_302600_NS6detail15normal_iteratorINSA_10device_ptrIiEEEEPS6_SG_NS0_5tupleIJNSA_16discard_iteratorINSA_11use_defaultEEESK_EEENSH_IJSG_SG_EEES6_PlJ7is_evenIiEEEE10hipError_tPvRmT3_T4_T5_T6_T7_T9_mT8_P12ihipStream_tbDpT10_ENKUlT_T0_E_clISt17integral_constantIbLb1EES19_EEDaS14_S15_EUlS14_E_NS1_11comp_targetILNS1_3genE8ELNS1_11target_archE1030ELNS1_3gpuE2ELNS1_3repE0EEENS1_30default_config_static_selectorELNS0_4arch9wavefront6targetE1EEEvT1_,comdat
.Lfunc_end2698:
	.size	_ZN7rocprim17ROCPRIM_400000_NS6detail17trampoline_kernelINS0_14default_configENS1_25partition_config_selectorILNS1_17partition_subalgoE0EiNS0_10empty_typeEbEEZZNS1_14partition_implILS5_0ELb0ES3_jN6thrust23THRUST_200600_302600_NS6detail15normal_iteratorINSA_10device_ptrIiEEEEPS6_SG_NS0_5tupleIJNSA_16discard_iteratorINSA_11use_defaultEEESK_EEENSH_IJSG_SG_EEES6_PlJ7is_evenIiEEEE10hipError_tPvRmT3_T4_T5_T6_T7_T9_mT8_P12ihipStream_tbDpT10_ENKUlT_T0_E_clISt17integral_constantIbLb1EES19_EEDaS14_S15_EUlS14_E_NS1_11comp_targetILNS1_3genE8ELNS1_11target_archE1030ELNS1_3gpuE2ELNS1_3repE0EEENS1_30default_config_static_selectorELNS0_4arch9wavefront6targetE1EEEvT1_, .Lfunc_end2698-_ZN7rocprim17ROCPRIM_400000_NS6detail17trampoline_kernelINS0_14default_configENS1_25partition_config_selectorILNS1_17partition_subalgoE0EiNS0_10empty_typeEbEEZZNS1_14partition_implILS5_0ELb0ES3_jN6thrust23THRUST_200600_302600_NS6detail15normal_iteratorINSA_10device_ptrIiEEEEPS6_SG_NS0_5tupleIJNSA_16discard_iteratorINSA_11use_defaultEEESK_EEENSH_IJSG_SG_EEES6_PlJ7is_evenIiEEEE10hipError_tPvRmT3_T4_T5_T6_T7_T9_mT8_P12ihipStream_tbDpT10_ENKUlT_T0_E_clISt17integral_constantIbLb1EES19_EEDaS14_S15_EUlS14_E_NS1_11comp_targetILNS1_3genE8ELNS1_11target_archE1030ELNS1_3gpuE2ELNS1_3repE0EEENS1_30default_config_static_selectorELNS0_4arch9wavefront6targetE1EEEvT1_
                                        ; -- End function
	.section	.AMDGPU.csdata,"",@progbits
; Kernel info:
; codeLenInByte = 0
; NumSgprs: 6
; NumVgprs: 0
; NumAgprs: 0
; TotalNumVgprs: 0
; ScratchSize: 0
; MemoryBound: 0
; FloatMode: 240
; IeeeMode: 1
; LDSByteSize: 0 bytes/workgroup (compile time only)
; SGPRBlocks: 0
; VGPRBlocks: 0
; NumSGPRsForWavesPerEU: 6
; NumVGPRsForWavesPerEU: 1
; AccumOffset: 4
; Occupancy: 8
; WaveLimiterHint : 0
; COMPUTE_PGM_RSRC2:SCRATCH_EN: 0
; COMPUTE_PGM_RSRC2:USER_SGPR: 2
; COMPUTE_PGM_RSRC2:TRAP_HANDLER: 0
; COMPUTE_PGM_RSRC2:TGID_X_EN: 1
; COMPUTE_PGM_RSRC2:TGID_Y_EN: 0
; COMPUTE_PGM_RSRC2:TGID_Z_EN: 0
; COMPUTE_PGM_RSRC2:TIDIG_COMP_CNT: 0
; COMPUTE_PGM_RSRC3_GFX90A:ACCUM_OFFSET: 0
; COMPUTE_PGM_RSRC3_GFX90A:TG_SPLIT: 0
	.section	.text._ZN7rocprim17ROCPRIM_400000_NS6detail17trampoline_kernelINS0_14default_configENS1_25partition_config_selectorILNS1_17partition_subalgoE0EiNS0_10empty_typeEbEEZZNS1_14partition_implILS5_0ELb0ES3_jN6thrust23THRUST_200600_302600_NS6detail15normal_iteratorINSA_10device_ptrIiEEEEPS6_SG_NS0_5tupleIJNSA_16discard_iteratorINSA_11use_defaultEEESK_EEENSH_IJSG_SG_EEES6_PlJ7is_evenIiEEEE10hipError_tPvRmT3_T4_T5_T6_T7_T9_mT8_P12ihipStream_tbDpT10_ENKUlT_T0_E_clISt17integral_constantIbLb1EES18_IbLb0EEEEDaS14_S15_EUlS14_E_NS1_11comp_targetILNS1_3genE0ELNS1_11target_archE4294967295ELNS1_3gpuE0ELNS1_3repE0EEENS1_30default_config_static_selectorELNS0_4arch9wavefront6targetE1EEEvT1_,"axG",@progbits,_ZN7rocprim17ROCPRIM_400000_NS6detail17trampoline_kernelINS0_14default_configENS1_25partition_config_selectorILNS1_17partition_subalgoE0EiNS0_10empty_typeEbEEZZNS1_14partition_implILS5_0ELb0ES3_jN6thrust23THRUST_200600_302600_NS6detail15normal_iteratorINSA_10device_ptrIiEEEEPS6_SG_NS0_5tupleIJNSA_16discard_iteratorINSA_11use_defaultEEESK_EEENSH_IJSG_SG_EEES6_PlJ7is_evenIiEEEE10hipError_tPvRmT3_T4_T5_T6_T7_T9_mT8_P12ihipStream_tbDpT10_ENKUlT_T0_E_clISt17integral_constantIbLb1EES18_IbLb0EEEEDaS14_S15_EUlS14_E_NS1_11comp_targetILNS1_3genE0ELNS1_11target_archE4294967295ELNS1_3gpuE0ELNS1_3repE0EEENS1_30default_config_static_selectorELNS0_4arch9wavefront6targetE1EEEvT1_,comdat
	.protected	_ZN7rocprim17ROCPRIM_400000_NS6detail17trampoline_kernelINS0_14default_configENS1_25partition_config_selectorILNS1_17partition_subalgoE0EiNS0_10empty_typeEbEEZZNS1_14partition_implILS5_0ELb0ES3_jN6thrust23THRUST_200600_302600_NS6detail15normal_iteratorINSA_10device_ptrIiEEEEPS6_SG_NS0_5tupleIJNSA_16discard_iteratorINSA_11use_defaultEEESK_EEENSH_IJSG_SG_EEES6_PlJ7is_evenIiEEEE10hipError_tPvRmT3_T4_T5_T6_T7_T9_mT8_P12ihipStream_tbDpT10_ENKUlT_T0_E_clISt17integral_constantIbLb1EES18_IbLb0EEEEDaS14_S15_EUlS14_E_NS1_11comp_targetILNS1_3genE0ELNS1_11target_archE4294967295ELNS1_3gpuE0ELNS1_3repE0EEENS1_30default_config_static_selectorELNS0_4arch9wavefront6targetE1EEEvT1_ ; -- Begin function _ZN7rocprim17ROCPRIM_400000_NS6detail17trampoline_kernelINS0_14default_configENS1_25partition_config_selectorILNS1_17partition_subalgoE0EiNS0_10empty_typeEbEEZZNS1_14partition_implILS5_0ELb0ES3_jN6thrust23THRUST_200600_302600_NS6detail15normal_iteratorINSA_10device_ptrIiEEEEPS6_SG_NS0_5tupleIJNSA_16discard_iteratorINSA_11use_defaultEEESK_EEENSH_IJSG_SG_EEES6_PlJ7is_evenIiEEEE10hipError_tPvRmT3_T4_T5_T6_T7_T9_mT8_P12ihipStream_tbDpT10_ENKUlT_T0_E_clISt17integral_constantIbLb1EES18_IbLb0EEEEDaS14_S15_EUlS14_E_NS1_11comp_targetILNS1_3genE0ELNS1_11target_archE4294967295ELNS1_3gpuE0ELNS1_3repE0EEENS1_30default_config_static_selectorELNS0_4arch9wavefront6targetE1EEEvT1_
	.globl	_ZN7rocprim17ROCPRIM_400000_NS6detail17trampoline_kernelINS0_14default_configENS1_25partition_config_selectorILNS1_17partition_subalgoE0EiNS0_10empty_typeEbEEZZNS1_14partition_implILS5_0ELb0ES3_jN6thrust23THRUST_200600_302600_NS6detail15normal_iteratorINSA_10device_ptrIiEEEEPS6_SG_NS0_5tupleIJNSA_16discard_iteratorINSA_11use_defaultEEESK_EEENSH_IJSG_SG_EEES6_PlJ7is_evenIiEEEE10hipError_tPvRmT3_T4_T5_T6_T7_T9_mT8_P12ihipStream_tbDpT10_ENKUlT_T0_E_clISt17integral_constantIbLb1EES18_IbLb0EEEEDaS14_S15_EUlS14_E_NS1_11comp_targetILNS1_3genE0ELNS1_11target_archE4294967295ELNS1_3gpuE0ELNS1_3repE0EEENS1_30default_config_static_selectorELNS0_4arch9wavefront6targetE1EEEvT1_
	.p2align	8
	.type	_ZN7rocprim17ROCPRIM_400000_NS6detail17trampoline_kernelINS0_14default_configENS1_25partition_config_selectorILNS1_17partition_subalgoE0EiNS0_10empty_typeEbEEZZNS1_14partition_implILS5_0ELb0ES3_jN6thrust23THRUST_200600_302600_NS6detail15normal_iteratorINSA_10device_ptrIiEEEEPS6_SG_NS0_5tupleIJNSA_16discard_iteratorINSA_11use_defaultEEESK_EEENSH_IJSG_SG_EEES6_PlJ7is_evenIiEEEE10hipError_tPvRmT3_T4_T5_T6_T7_T9_mT8_P12ihipStream_tbDpT10_ENKUlT_T0_E_clISt17integral_constantIbLb1EES18_IbLb0EEEEDaS14_S15_EUlS14_E_NS1_11comp_targetILNS1_3genE0ELNS1_11target_archE4294967295ELNS1_3gpuE0ELNS1_3repE0EEENS1_30default_config_static_selectorELNS0_4arch9wavefront6targetE1EEEvT1_,@function
_ZN7rocprim17ROCPRIM_400000_NS6detail17trampoline_kernelINS0_14default_configENS1_25partition_config_selectorILNS1_17partition_subalgoE0EiNS0_10empty_typeEbEEZZNS1_14partition_implILS5_0ELb0ES3_jN6thrust23THRUST_200600_302600_NS6detail15normal_iteratorINSA_10device_ptrIiEEEEPS6_SG_NS0_5tupleIJNSA_16discard_iteratorINSA_11use_defaultEEESK_EEENSH_IJSG_SG_EEES6_PlJ7is_evenIiEEEE10hipError_tPvRmT3_T4_T5_T6_T7_T9_mT8_P12ihipStream_tbDpT10_ENKUlT_T0_E_clISt17integral_constantIbLb1EES18_IbLb0EEEEDaS14_S15_EUlS14_E_NS1_11comp_targetILNS1_3genE0ELNS1_11target_archE4294967295ELNS1_3gpuE0ELNS1_3repE0EEENS1_30default_config_static_selectorELNS0_4arch9wavefront6targetE1EEEvT1_: ; @_ZN7rocprim17ROCPRIM_400000_NS6detail17trampoline_kernelINS0_14default_configENS1_25partition_config_selectorILNS1_17partition_subalgoE0EiNS0_10empty_typeEbEEZZNS1_14partition_implILS5_0ELb0ES3_jN6thrust23THRUST_200600_302600_NS6detail15normal_iteratorINSA_10device_ptrIiEEEEPS6_SG_NS0_5tupleIJNSA_16discard_iteratorINSA_11use_defaultEEESK_EEENSH_IJSG_SG_EEES6_PlJ7is_evenIiEEEE10hipError_tPvRmT3_T4_T5_T6_T7_T9_mT8_P12ihipStream_tbDpT10_ENKUlT_T0_E_clISt17integral_constantIbLb1EES18_IbLb0EEEEDaS14_S15_EUlS14_E_NS1_11comp_targetILNS1_3genE0ELNS1_11target_archE4294967295ELNS1_3gpuE0ELNS1_3repE0EEENS1_30default_config_static_selectorELNS0_4arch9wavefront6targetE1EEEvT1_
; %bb.0:
	.section	.rodata,"a",@progbits
	.p2align	6, 0x0
	.amdhsa_kernel _ZN7rocprim17ROCPRIM_400000_NS6detail17trampoline_kernelINS0_14default_configENS1_25partition_config_selectorILNS1_17partition_subalgoE0EiNS0_10empty_typeEbEEZZNS1_14partition_implILS5_0ELb0ES3_jN6thrust23THRUST_200600_302600_NS6detail15normal_iteratorINSA_10device_ptrIiEEEEPS6_SG_NS0_5tupleIJNSA_16discard_iteratorINSA_11use_defaultEEESK_EEENSH_IJSG_SG_EEES6_PlJ7is_evenIiEEEE10hipError_tPvRmT3_T4_T5_T6_T7_T9_mT8_P12ihipStream_tbDpT10_ENKUlT_T0_E_clISt17integral_constantIbLb1EES18_IbLb0EEEEDaS14_S15_EUlS14_E_NS1_11comp_targetILNS1_3genE0ELNS1_11target_archE4294967295ELNS1_3gpuE0ELNS1_3repE0EEENS1_30default_config_static_selectorELNS0_4arch9wavefront6targetE1EEEvT1_
		.amdhsa_group_segment_fixed_size 0
		.amdhsa_private_segment_fixed_size 0
		.amdhsa_kernarg_size 136
		.amdhsa_user_sgpr_count 2
		.amdhsa_user_sgpr_dispatch_ptr 0
		.amdhsa_user_sgpr_queue_ptr 0
		.amdhsa_user_sgpr_kernarg_segment_ptr 1
		.amdhsa_user_sgpr_dispatch_id 0
		.amdhsa_user_sgpr_kernarg_preload_length 0
		.amdhsa_user_sgpr_kernarg_preload_offset 0
		.amdhsa_user_sgpr_private_segment_size 0
		.amdhsa_uses_dynamic_stack 0
		.amdhsa_enable_private_segment 0
		.amdhsa_system_sgpr_workgroup_id_x 1
		.amdhsa_system_sgpr_workgroup_id_y 0
		.amdhsa_system_sgpr_workgroup_id_z 0
		.amdhsa_system_sgpr_workgroup_info 0
		.amdhsa_system_vgpr_workitem_id 0
		.amdhsa_next_free_vgpr 1
		.amdhsa_next_free_sgpr 0
		.amdhsa_accum_offset 4
		.amdhsa_reserve_vcc 0
		.amdhsa_float_round_mode_32 0
		.amdhsa_float_round_mode_16_64 0
		.amdhsa_float_denorm_mode_32 3
		.amdhsa_float_denorm_mode_16_64 3
		.amdhsa_dx10_clamp 1
		.amdhsa_ieee_mode 1
		.amdhsa_fp16_overflow 0
		.amdhsa_tg_split 0
		.amdhsa_exception_fp_ieee_invalid_op 0
		.amdhsa_exception_fp_denorm_src 0
		.amdhsa_exception_fp_ieee_div_zero 0
		.amdhsa_exception_fp_ieee_overflow 0
		.amdhsa_exception_fp_ieee_underflow 0
		.amdhsa_exception_fp_ieee_inexact 0
		.amdhsa_exception_int_div_zero 0
	.end_amdhsa_kernel
	.section	.text._ZN7rocprim17ROCPRIM_400000_NS6detail17trampoline_kernelINS0_14default_configENS1_25partition_config_selectorILNS1_17partition_subalgoE0EiNS0_10empty_typeEbEEZZNS1_14partition_implILS5_0ELb0ES3_jN6thrust23THRUST_200600_302600_NS6detail15normal_iteratorINSA_10device_ptrIiEEEEPS6_SG_NS0_5tupleIJNSA_16discard_iteratorINSA_11use_defaultEEESK_EEENSH_IJSG_SG_EEES6_PlJ7is_evenIiEEEE10hipError_tPvRmT3_T4_T5_T6_T7_T9_mT8_P12ihipStream_tbDpT10_ENKUlT_T0_E_clISt17integral_constantIbLb1EES18_IbLb0EEEEDaS14_S15_EUlS14_E_NS1_11comp_targetILNS1_3genE0ELNS1_11target_archE4294967295ELNS1_3gpuE0ELNS1_3repE0EEENS1_30default_config_static_selectorELNS0_4arch9wavefront6targetE1EEEvT1_,"axG",@progbits,_ZN7rocprim17ROCPRIM_400000_NS6detail17trampoline_kernelINS0_14default_configENS1_25partition_config_selectorILNS1_17partition_subalgoE0EiNS0_10empty_typeEbEEZZNS1_14partition_implILS5_0ELb0ES3_jN6thrust23THRUST_200600_302600_NS6detail15normal_iteratorINSA_10device_ptrIiEEEEPS6_SG_NS0_5tupleIJNSA_16discard_iteratorINSA_11use_defaultEEESK_EEENSH_IJSG_SG_EEES6_PlJ7is_evenIiEEEE10hipError_tPvRmT3_T4_T5_T6_T7_T9_mT8_P12ihipStream_tbDpT10_ENKUlT_T0_E_clISt17integral_constantIbLb1EES18_IbLb0EEEEDaS14_S15_EUlS14_E_NS1_11comp_targetILNS1_3genE0ELNS1_11target_archE4294967295ELNS1_3gpuE0ELNS1_3repE0EEENS1_30default_config_static_selectorELNS0_4arch9wavefront6targetE1EEEvT1_,comdat
.Lfunc_end2699:
	.size	_ZN7rocprim17ROCPRIM_400000_NS6detail17trampoline_kernelINS0_14default_configENS1_25partition_config_selectorILNS1_17partition_subalgoE0EiNS0_10empty_typeEbEEZZNS1_14partition_implILS5_0ELb0ES3_jN6thrust23THRUST_200600_302600_NS6detail15normal_iteratorINSA_10device_ptrIiEEEEPS6_SG_NS0_5tupleIJNSA_16discard_iteratorINSA_11use_defaultEEESK_EEENSH_IJSG_SG_EEES6_PlJ7is_evenIiEEEE10hipError_tPvRmT3_T4_T5_T6_T7_T9_mT8_P12ihipStream_tbDpT10_ENKUlT_T0_E_clISt17integral_constantIbLb1EES18_IbLb0EEEEDaS14_S15_EUlS14_E_NS1_11comp_targetILNS1_3genE0ELNS1_11target_archE4294967295ELNS1_3gpuE0ELNS1_3repE0EEENS1_30default_config_static_selectorELNS0_4arch9wavefront6targetE1EEEvT1_, .Lfunc_end2699-_ZN7rocprim17ROCPRIM_400000_NS6detail17trampoline_kernelINS0_14default_configENS1_25partition_config_selectorILNS1_17partition_subalgoE0EiNS0_10empty_typeEbEEZZNS1_14partition_implILS5_0ELb0ES3_jN6thrust23THRUST_200600_302600_NS6detail15normal_iteratorINSA_10device_ptrIiEEEEPS6_SG_NS0_5tupleIJNSA_16discard_iteratorINSA_11use_defaultEEESK_EEENSH_IJSG_SG_EEES6_PlJ7is_evenIiEEEE10hipError_tPvRmT3_T4_T5_T6_T7_T9_mT8_P12ihipStream_tbDpT10_ENKUlT_T0_E_clISt17integral_constantIbLb1EES18_IbLb0EEEEDaS14_S15_EUlS14_E_NS1_11comp_targetILNS1_3genE0ELNS1_11target_archE4294967295ELNS1_3gpuE0ELNS1_3repE0EEENS1_30default_config_static_selectorELNS0_4arch9wavefront6targetE1EEEvT1_
                                        ; -- End function
	.section	.AMDGPU.csdata,"",@progbits
; Kernel info:
; codeLenInByte = 0
; NumSgprs: 6
; NumVgprs: 0
; NumAgprs: 0
; TotalNumVgprs: 0
; ScratchSize: 0
; MemoryBound: 0
; FloatMode: 240
; IeeeMode: 1
; LDSByteSize: 0 bytes/workgroup (compile time only)
; SGPRBlocks: 0
; VGPRBlocks: 0
; NumSGPRsForWavesPerEU: 6
; NumVGPRsForWavesPerEU: 1
; AccumOffset: 4
; Occupancy: 8
; WaveLimiterHint : 0
; COMPUTE_PGM_RSRC2:SCRATCH_EN: 0
; COMPUTE_PGM_RSRC2:USER_SGPR: 2
; COMPUTE_PGM_RSRC2:TRAP_HANDLER: 0
; COMPUTE_PGM_RSRC2:TGID_X_EN: 1
; COMPUTE_PGM_RSRC2:TGID_Y_EN: 0
; COMPUTE_PGM_RSRC2:TGID_Z_EN: 0
; COMPUTE_PGM_RSRC2:TIDIG_COMP_CNT: 0
; COMPUTE_PGM_RSRC3_GFX90A:ACCUM_OFFSET: 0
; COMPUTE_PGM_RSRC3_GFX90A:TG_SPLIT: 0
	.section	.text._ZN7rocprim17ROCPRIM_400000_NS6detail17trampoline_kernelINS0_14default_configENS1_25partition_config_selectorILNS1_17partition_subalgoE0EiNS0_10empty_typeEbEEZZNS1_14partition_implILS5_0ELb0ES3_jN6thrust23THRUST_200600_302600_NS6detail15normal_iteratorINSA_10device_ptrIiEEEEPS6_SG_NS0_5tupleIJNSA_16discard_iteratorINSA_11use_defaultEEESK_EEENSH_IJSG_SG_EEES6_PlJ7is_evenIiEEEE10hipError_tPvRmT3_T4_T5_T6_T7_T9_mT8_P12ihipStream_tbDpT10_ENKUlT_T0_E_clISt17integral_constantIbLb1EES18_IbLb0EEEEDaS14_S15_EUlS14_E_NS1_11comp_targetILNS1_3genE5ELNS1_11target_archE942ELNS1_3gpuE9ELNS1_3repE0EEENS1_30default_config_static_selectorELNS0_4arch9wavefront6targetE1EEEvT1_,"axG",@progbits,_ZN7rocprim17ROCPRIM_400000_NS6detail17trampoline_kernelINS0_14default_configENS1_25partition_config_selectorILNS1_17partition_subalgoE0EiNS0_10empty_typeEbEEZZNS1_14partition_implILS5_0ELb0ES3_jN6thrust23THRUST_200600_302600_NS6detail15normal_iteratorINSA_10device_ptrIiEEEEPS6_SG_NS0_5tupleIJNSA_16discard_iteratorINSA_11use_defaultEEESK_EEENSH_IJSG_SG_EEES6_PlJ7is_evenIiEEEE10hipError_tPvRmT3_T4_T5_T6_T7_T9_mT8_P12ihipStream_tbDpT10_ENKUlT_T0_E_clISt17integral_constantIbLb1EES18_IbLb0EEEEDaS14_S15_EUlS14_E_NS1_11comp_targetILNS1_3genE5ELNS1_11target_archE942ELNS1_3gpuE9ELNS1_3repE0EEENS1_30default_config_static_selectorELNS0_4arch9wavefront6targetE1EEEvT1_,comdat
	.protected	_ZN7rocprim17ROCPRIM_400000_NS6detail17trampoline_kernelINS0_14default_configENS1_25partition_config_selectorILNS1_17partition_subalgoE0EiNS0_10empty_typeEbEEZZNS1_14partition_implILS5_0ELb0ES3_jN6thrust23THRUST_200600_302600_NS6detail15normal_iteratorINSA_10device_ptrIiEEEEPS6_SG_NS0_5tupleIJNSA_16discard_iteratorINSA_11use_defaultEEESK_EEENSH_IJSG_SG_EEES6_PlJ7is_evenIiEEEE10hipError_tPvRmT3_T4_T5_T6_T7_T9_mT8_P12ihipStream_tbDpT10_ENKUlT_T0_E_clISt17integral_constantIbLb1EES18_IbLb0EEEEDaS14_S15_EUlS14_E_NS1_11comp_targetILNS1_3genE5ELNS1_11target_archE942ELNS1_3gpuE9ELNS1_3repE0EEENS1_30default_config_static_selectorELNS0_4arch9wavefront6targetE1EEEvT1_ ; -- Begin function _ZN7rocprim17ROCPRIM_400000_NS6detail17trampoline_kernelINS0_14default_configENS1_25partition_config_selectorILNS1_17partition_subalgoE0EiNS0_10empty_typeEbEEZZNS1_14partition_implILS5_0ELb0ES3_jN6thrust23THRUST_200600_302600_NS6detail15normal_iteratorINSA_10device_ptrIiEEEEPS6_SG_NS0_5tupleIJNSA_16discard_iteratorINSA_11use_defaultEEESK_EEENSH_IJSG_SG_EEES6_PlJ7is_evenIiEEEE10hipError_tPvRmT3_T4_T5_T6_T7_T9_mT8_P12ihipStream_tbDpT10_ENKUlT_T0_E_clISt17integral_constantIbLb1EES18_IbLb0EEEEDaS14_S15_EUlS14_E_NS1_11comp_targetILNS1_3genE5ELNS1_11target_archE942ELNS1_3gpuE9ELNS1_3repE0EEENS1_30default_config_static_selectorELNS0_4arch9wavefront6targetE1EEEvT1_
	.globl	_ZN7rocprim17ROCPRIM_400000_NS6detail17trampoline_kernelINS0_14default_configENS1_25partition_config_selectorILNS1_17partition_subalgoE0EiNS0_10empty_typeEbEEZZNS1_14partition_implILS5_0ELb0ES3_jN6thrust23THRUST_200600_302600_NS6detail15normal_iteratorINSA_10device_ptrIiEEEEPS6_SG_NS0_5tupleIJNSA_16discard_iteratorINSA_11use_defaultEEESK_EEENSH_IJSG_SG_EEES6_PlJ7is_evenIiEEEE10hipError_tPvRmT3_T4_T5_T6_T7_T9_mT8_P12ihipStream_tbDpT10_ENKUlT_T0_E_clISt17integral_constantIbLb1EES18_IbLb0EEEEDaS14_S15_EUlS14_E_NS1_11comp_targetILNS1_3genE5ELNS1_11target_archE942ELNS1_3gpuE9ELNS1_3repE0EEENS1_30default_config_static_selectorELNS0_4arch9wavefront6targetE1EEEvT1_
	.p2align	8
	.type	_ZN7rocprim17ROCPRIM_400000_NS6detail17trampoline_kernelINS0_14default_configENS1_25partition_config_selectorILNS1_17partition_subalgoE0EiNS0_10empty_typeEbEEZZNS1_14partition_implILS5_0ELb0ES3_jN6thrust23THRUST_200600_302600_NS6detail15normal_iteratorINSA_10device_ptrIiEEEEPS6_SG_NS0_5tupleIJNSA_16discard_iteratorINSA_11use_defaultEEESK_EEENSH_IJSG_SG_EEES6_PlJ7is_evenIiEEEE10hipError_tPvRmT3_T4_T5_T6_T7_T9_mT8_P12ihipStream_tbDpT10_ENKUlT_T0_E_clISt17integral_constantIbLb1EES18_IbLb0EEEEDaS14_S15_EUlS14_E_NS1_11comp_targetILNS1_3genE5ELNS1_11target_archE942ELNS1_3gpuE9ELNS1_3repE0EEENS1_30default_config_static_selectorELNS0_4arch9wavefront6targetE1EEEvT1_,@function
_ZN7rocprim17ROCPRIM_400000_NS6detail17trampoline_kernelINS0_14default_configENS1_25partition_config_selectorILNS1_17partition_subalgoE0EiNS0_10empty_typeEbEEZZNS1_14partition_implILS5_0ELb0ES3_jN6thrust23THRUST_200600_302600_NS6detail15normal_iteratorINSA_10device_ptrIiEEEEPS6_SG_NS0_5tupleIJNSA_16discard_iteratorINSA_11use_defaultEEESK_EEENSH_IJSG_SG_EEES6_PlJ7is_evenIiEEEE10hipError_tPvRmT3_T4_T5_T6_T7_T9_mT8_P12ihipStream_tbDpT10_ENKUlT_T0_E_clISt17integral_constantIbLb1EES18_IbLb0EEEEDaS14_S15_EUlS14_E_NS1_11comp_targetILNS1_3genE5ELNS1_11target_archE942ELNS1_3gpuE9ELNS1_3repE0EEENS1_30default_config_static_selectorELNS0_4arch9wavefront6targetE1EEEvT1_: ; @_ZN7rocprim17ROCPRIM_400000_NS6detail17trampoline_kernelINS0_14default_configENS1_25partition_config_selectorILNS1_17partition_subalgoE0EiNS0_10empty_typeEbEEZZNS1_14partition_implILS5_0ELb0ES3_jN6thrust23THRUST_200600_302600_NS6detail15normal_iteratorINSA_10device_ptrIiEEEEPS6_SG_NS0_5tupleIJNSA_16discard_iteratorINSA_11use_defaultEEESK_EEENSH_IJSG_SG_EEES6_PlJ7is_evenIiEEEE10hipError_tPvRmT3_T4_T5_T6_T7_T9_mT8_P12ihipStream_tbDpT10_ENKUlT_T0_E_clISt17integral_constantIbLb1EES18_IbLb0EEEEDaS14_S15_EUlS14_E_NS1_11comp_targetILNS1_3genE5ELNS1_11target_archE942ELNS1_3gpuE9ELNS1_3repE0EEENS1_30default_config_static_selectorELNS0_4arch9wavefront6targetE1EEEvT1_
; %bb.0:
	s_load_dwordx2 s[8:9], s[0:1], 0x68
	s_load_dwordx4 s[4:7], s[0:1], 0x8
	s_load_dwordx4 s[20:23], s[0:1], 0x58
	s_load_dword s3, s[0:1], 0x80
	s_waitcnt lgkmcnt(0)
	v_mov_b32_e32 v3, s9
	s_lshl_b64 s[10:11], s[6:7], 2
	s_add_u32 s9, s4, s10
	s_mul_i32 s4, s3, 0x1e00
	s_addc_u32 s12, s5, s11
	s_add_i32 s13, s3, -1
	s_add_i32 s3, s4, s6
	s_sub_i32 s3, s8, s3
	s_add_u32 s4, s6, s4
	s_addc_u32 s5, s7, 0
	s_cmp_eq_u32 s2, s13
	v_mov_b32_e32 v2, s8
	s_load_dwordx2 s[18:19], s[22:23], 0x0
	s_cselect_b64 s[22:23], -1, 0
	s_cmp_lg_u32 s2, s13
	s_mul_i32 s10, s2, 0x1e00
	s_mov_b32 s11, 0
	v_cmp_lt_u64_e32 vcc, s[4:5], v[2:3]
	s_cselect_b64 s[4:5], -1, 0
	s_or_b64 s[4:5], s[4:5], vcc
	s_lshl_b64 s[6:7], s[10:11], 2
	s_add_u32 s6, s9, s6
	s_addc_u32 s7, s12, s7
	s_mov_b64 s[8:9], -1
	s_and_b64 vcc, exec, s[4:5]
	s_cbranch_vccz .LBB2700_2
; %bb.1:
	v_lshlrev_b32_e32 v2, 2, v0
	v_mov_b32_e32 v3, 0
	v_lshl_add_u64 v[4:5], s[6:7], 0, v[2:3]
	v_add_co_u32_e32 v6, vcc, 0x1000, v4
	s_mov_b64 s[8:9], 0
	s_nop 0
	v_addc_co_u32_e32 v7, vcc, 0, v5, vcc
	v_add_co_u32_e32 v8, vcc, 0x2000, v4
	s_nop 1
	v_addc_co_u32_e32 v9, vcc, 0, v5, vcc
	v_add_co_u32_e32 v10, vcc, 0x3000, v4
	s_nop 1
	v_addc_co_u32_e32 v11, vcc, 0, v5, vcc
	flat_load_dword v1, v[4:5]
	flat_load_dword v3, v[4:5] offset:2048
	flat_load_dword v12, v[6:7]
	flat_load_dword v13, v[6:7] offset:2048
	;; [unrolled: 2-line block ×4, first 2 shown]
	v_add_co_u32_e32 v6, vcc, 0x4000, v4
	s_nop 1
	v_addc_co_u32_e32 v7, vcc, 0, v5, vcc
	v_add_co_u32_e32 v8, vcc, 0x5000, v4
	s_nop 1
	v_addc_co_u32_e32 v9, vcc, 0, v5, vcc
	;; [unrolled: 3-line block ×4, first 2 shown]
	flat_load_dword v18, v[6:7]
	flat_load_dword v19, v[6:7] offset:2048
	flat_load_dword v20, v[8:9]
	flat_load_dword v21, v[8:9] offset:2048
	flat_load_dword v22, v[10:11]
	flat_load_dword v23, v[10:11] offset:2048
	flat_load_dword v24, v[4:5]
	s_waitcnt vmcnt(0) lgkmcnt(0)
	ds_write2st64_b32 v2, v1, v3 offset1:8
	ds_write2st64_b32 v2, v12, v13 offset0:16 offset1:24
	ds_write2st64_b32 v2, v14, v15 offset0:32 offset1:40
	;; [unrolled: 1-line block ×6, first 2 shown]
	ds_write_b32 v2, v24 offset:28672
	s_waitcnt lgkmcnt(0)
	s_barrier
.LBB2700_2:
	s_andn2_b64 vcc, exec, s[8:9]
	s_addk_i32 s3, 0x1e00
	s_cbranch_vccnz .LBB2700_34
; %bb.3:
	v_cmp_gt_u32_e32 vcc, s3, v0
                                        ; implicit-def: $vgpr2_vgpr3_vgpr4_vgpr5_vgpr6_vgpr7_vgpr8_vgpr9_vgpr10_vgpr11_vgpr12_vgpr13_vgpr14_vgpr15_vgpr16_vgpr17
	s_and_saveexec_b64 s[8:9], vcc
	s_cbranch_execz .LBB2700_5
; %bb.4:
	v_lshlrev_b32_e32 v2, 2, v0
	v_mov_b32_e32 v3, 0
	v_lshl_add_u64 v[2:3], s[6:7], 0, v[2:3]
	flat_load_dword v2, v[2:3]
.LBB2700_5:
	s_or_b64 exec, exec, s[8:9]
	v_or_b32_e32 v1, 0x200, v0
	v_cmp_gt_u32_e32 vcc, s3, v1
	s_and_saveexec_b64 s[8:9], vcc
	s_cbranch_execz .LBB2700_7
; %bb.6:
	v_lshlrev_b32_e32 v18, 2, v0
	v_mov_b32_e32 v19, 0
	v_lshl_add_u64 v[18:19], s[6:7], 0, v[18:19]
	flat_load_dword v3, v[18:19] offset:2048
.LBB2700_7:
	s_or_b64 exec, exec, s[8:9]
	v_or_b32_e32 v1, 0x400, v0
	v_cmp_gt_u32_e32 vcc, s3, v1
	s_and_saveexec_b64 s[8:9], vcc
	s_cbranch_execz .LBB2700_9
; %bb.8:
	v_lshlrev_b32_e32 v18, 2, v1
	v_mov_b32_e32 v19, 0
	v_lshl_add_u64 v[18:19], s[6:7], 0, v[18:19]
	flat_load_dword v4, v[18:19]
.LBB2700_9:
	s_or_b64 exec, exec, s[8:9]
	v_or_b32_e32 v1, 0x600, v0
	v_cmp_gt_u32_e32 vcc, s3, v1
	s_and_saveexec_b64 s[8:9], vcc
	s_cbranch_execz .LBB2700_11
; %bb.10:
	v_lshlrev_b32_e32 v18, 2, v1
	v_mov_b32_e32 v19, 0
	v_lshl_add_u64 v[18:19], s[6:7], 0, v[18:19]
	flat_load_dword v5, v[18:19]
.LBB2700_11:
	;; [unrolled: 11-line block ×13, first 2 shown]
	s_or_b64 exec, exec, s[8:9]
	v_lshlrev_b32_e32 v1, 2, v0
	s_waitcnt vmcnt(0) lgkmcnt(0)
	ds_write2st64_b32 v1, v2, v3 offset1:8
	ds_write2st64_b32 v1, v4, v5 offset0:16 offset1:24
	ds_write2st64_b32 v1, v6, v7 offset0:32 offset1:40
	;; [unrolled: 1-line block ×6, first 2 shown]
	ds_write_b32 v1, v16 offset:28672
	s_waitcnt lgkmcnt(0)
	s_barrier
.LBB2700_34:
	v_mul_u32_u24_e32 v36, 15, v0
	v_lshlrev_b32_e32 v1, 2, v36
	s_waitcnt lgkmcnt(0)
	ds_read2_b32 v[30:31], v1 offset1:1
	ds_read2_b32 v[28:29], v1 offset0:2 offset1:3
	ds_read2_b32 v[26:27], v1 offset0:4 offset1:5
	;; [unrolled: 1-line block ×6, first 2 shown]
	ds_read_b32 v1, v1 offset:56
	s_andn2_b64 vcc, exec, s[4:5]
	s_waitcnt lgkmcnt(7)
	v_xor_b32_e32 v16, -1, v30
	v_xor_b32_e32 v15, -1, v31
	s_waitcnt lgkmcnt(6)
	v_xor_b32_e32 v14, -1, v28
	v_xor_b32_e32 v13, -1, v29
	;; [unrolled: 3-line block ×7, first 2 shown]
	s_waitcnt lgkmcnt(0)
	v_xor_b32_e32 v2, -1, v1
	s_barrier
	s_cbranch_vccnz .LBB2700_36
; %bb.35:
	v_and_b32_e32 v49, 1, v16
	v_and_b32_e32 v48, 1, v15
	;; [unrolled: 1-line block ×15, first 2 shown]
	s_load_dwordx2 s[24:25], s[0:1], 0x78
	s_cbranch_execz .LBB2700_37
	s_branch .LBB2700_38
.LBB2700_36:
                                        ; implicit-def: $vgpr34
                                        ; implicit-def: $vgpr35
                                        ; implicit-def: $vgpr37
                                        ; implicit-def: $vgpr38
                                        ; implicit-def: $vgpr39
                                        ; implicit-def: $vgpr40
                                        ; implicit-def: $vgpr41
                                        ; implicit-def: $vgpr42
                                        ; implicit-def: $vgpr43
                                        ; implicit-def: $vgpr49
                                        ; implicit-def: $vgpr48
                                        ; implicit-def: $vgpr47
                                        ; implicit-def: $vgpr46
                                        ; implicit-def: $vgpr45
                                        ; implicit-def: $vgpr44
	s_load_dwordx2 s[24:25], s[0:1], 0x78
.LBB2700_37:
	v_add_u32_e32 v43, 1, v36
	v_cmp_gt_u32_e32 vcc, s3, v36
	v_add_u32_e32 v17, 2, v36
	v_add_u32_e32 v42, 3, v36
	v_cndmask_b32_e64 v44, 0, 1, vcc
	v_cmp_gt_u32_e32 vcc, s3, v43
	v_and_b32_e32 v49, v44, v16
	v_add_u32_e32 v32, 4, v36
	v_cndmask_b32_e64 v16, 0, 1, vcc
	v_cmp_gt_u32_e32 vcc, s3, v17
	v_and_b32_e32 v48, v16, v15
	;; [unrolled: 4-line block ×12, first 2 shown]
	s_nop 0
	v_cndmask_b32_e64 v5, 0, 1, vcc
	v_cmp_gt_u32_e32 vcc, s3, v51
	v_and_b32_e32 v37, v5, v4
	s_nop 0
	v_cndmask_b32_e64 v4, 0, 1, vcc
	v_cmp_gt_u32_e32 vcc, s3, v50
	v_and_b32_e32 v35, v4, v3
	s_nop 0
	v_cndmask_b32_e64 v3, 0, 1, vcc
	v_and_b32_e32 v34, v3, v2
.LBB2700_38:
	v_and_b32_e32 v53, 0xff, v46
	v_and_b32_e32 v54, 0xff, v45
	;; [unrolled: 1-line block ×5, first 2 shown]
	v_add3_u32 v3, v54, v55, v53
	v_and_b32_e32 v50, 0xff, v49
	v_and_b32_e32 v56, 0xff, v43
	v_add3_u32 v3, v3, v52, v51
	v_and_b32_e32 v57, 0xff, v42
	v_and_b32_e32 v58, 0xff, v41
	;; [unrolled: 3-line block ×5, first 2 shown]
	v_add3_u32 v3, v3, v61, v62
	v_add3_u32 v66, v3, v63, v2
	v_mbcnt_lo_u32_b32 v2, -1, 0
	v_mbcnt_hi_u32_b32 v64, -1, v2
	v_and_b32_e32 v2, 15, v64
	v_cmp_eq_u32_e64 s[12:13], 0, v2
	v_cmp_lt_u32_e64 s[10:11], 1, v2
	v_cmp_lt_u32_e64 s[8:9], 3, v2
	;; [unrolled: 1-line block ×3, first 2 shown]
	v_and_b32_e32 v2, 16, v64
	v_cmp_eq_u32_e64 s[4:5], 0, v2
	v_or_b32_e32 v2, 63, v0
	s_cmp_lg_u32 s2, 0
	v_cmp_lt_u32_e64 s[0:1], 31, v64
	v_lshrrev_b32_e32 v65, 6, v0
	v_cmp_eq_u32_e64 s[16:17], v2, v0
	s_cbranch_scc0 .LBB2700_69
; %bb.39:
	v_mov_b32_dpp v2, v66 row_shr:1 row_mask:0xf bank_mask:0xf
	v_cndmask_b32_e64 v2, v2, 0, s[12:13]
	v_add_u32_e32 v2, v2, v66
	s_nop 1
	v_mov_b32_dpp v3, v2 row_shr:2 row_mask:0xf bank_mask:0xf
	v_cndmask_b32_e64 v3, 0, v3, s[10:11]
	v_add_u32_e32 v2, v2, v3
	s_nop 1
	;; [unrolled: 4-line block ×4, first 2 shown]
	v_mov_b32_dpp v3, v2 row_bcast:15 row_mask:0xf bank_mask:0xf
	v_cndmask_b32_e64 v3, v3, 0, s[4:5]
	v_add_u32_e32 v2, v2, v3
	s_nop 1
	v_mov_b32_dpp v3, v2 row_bcast:31 row_mask:0xf bank_mask:0xf
	v_cndmask_b32_e64 v3, 0, v3, s[0:1]
	v_add_u32_e32 v2, v2, v3
	s_and_saveexec_b64 s[14:15], s[16:17]
	s_cbranch_execz .LBB2700_41
; %bb.40:
	v_lshlrev_b32_e32 v3, 2, v65
	ds_write_b32 v3, v2
.LBB2700_41:
	s_or_b64 exec, exec, s[14:15]
	v_cmp_gt_u32_e32 vcc, 8, v0
	s_waitcnt lgkmcnt(0)
	s_barrier
	s_and_saveexec_b64 s[14:15], vcc
	s_cbranch_execz .LBB2700_43
; %bb.42:
	v_lshlrev_b32_e32 v3, 2, v0
	ds_read_b32 v4, v3
	v_and_b32_e32 v5, 7, v64
	v_cmp_ne_u32_e32 vcc, 0, v5
	s_waitcnt lgkmcnt(0)
	v_mov_b32_dpp v6, v4 row_shr:1 row_mask:0xf bank_mask:0xf
	v_cndmask_b32_e32 v6, 0, v6, vcc
	v_add_u32_e32 v4, v6, v4
	v_cmp_lt_u32_e32 vcc, 1, v5
	s_nop 0
	v_mov_b32_dpp v6, v4 row_shr:2 row_mask:0xf bank_mask:0xf
	v_cndmask_b32_e32 v6, 0, v6, vcc
	v_add_u32_e32 v4, v4, v6
	v_cmp_lt_u32_e32 vcc, 3, v5
	s_nop 0
	v_mov_b32_dpp v6, v4 row_shr:4 row_mask:0xf bank_mask:0xf
	v_cndmask_b32_e32 v5, 0, v6, vcc
	v_add_u32_e32 v4, v4, v5
	ds_write_b32 v3, v4
.LBB2700_43:
	s_or_b64 exec, exec, s[14:15]
	v_cmp_gt_u32_e32 vcc, 64, v0
	v_cmp_lt_u32_e64 s[14:15], 63, v0
	s_waitcnt lgkmcnt(0)
	s_barrier
	s_waitcnt lgkmcnt(0)
                                        ; implicit-def: $vgpr12
	s_and_saveexec_b64 s[26:27], s[14:15]
	s_cbranch_execz .LBB2700_45
; %bb.44:
	v_lshl_add_u32 v3, v65, 2, -4
	ds_read_b32 v12, v3
	s_waitcnt lgkmcnt(0)
	v_add_u32_e32 v2, v12, v2
.LBB2700_45:
	s_or_b64 exec, exec, s[26:27]
	v_add_u32_e32 v3, -1, v64
	v_and_b32_e32 v4, 64, v64
	v_cmp_lt_i32_e64 s[14:15], v3, v4
	s_nop 1
	v_cndmask_b32_e64 v3, v3, v64, s[14:15]
	v_lshlrev_b32_e32 v3, 2, v3
	ds_bpermute_b32 v13, v3, v2
	v_cmp_eq_u32_e64 s[14:15], 0, v64
	s_and_saveexec_b64 s[26:27], vcc
	s_cbranch_execz .LBB2700_68
; %bb.46:
	v_mov_b32_e32 v11, 0
	ds_read_b32 v2, v11 offset:28
	s_and_saveexec_b64 s[28:29], s[14:15]
	s_cbranch_execz .LBB2700_48
; %bb.47:
	s_add_i32 s30, s2, 64
	s_mov_b32 s31, 0
	s_lshl_b64 s[30:31], s[30:31], 3
	s_add_u32 s30, s24, s30
	v_mov_b32_e32 v3, 1
	s_addc_u32 s31, s25, s31
	s_waitcnt lgkmcnt(0)
	global_store_dwordx2 v11, v[2:3], s[30:31] sc1
.LBB2700_48:
	s_or_b64 exec, exec, s[28:29]
	v_xad_u32 v4, v64, -1, s2
	v_add_u32_e32 v10, 64, v4
	v_lshl_add_u64 v[6:7], v[10:11], 3, s[24:25]
	global_load_dwordx2 v[8:9], v[6:7], off sc1
	s_waitcnt vmcnt(0)
	v_cmp_eq_u16_sdwa s[30:31], v9, v11 src0_sel:BYTE_0 src1_sel:DWORD
	s_and_saveexec_b64 s[28:29], s[30:31]
	s_cbranch_execz .LBB2700_54
; %bb.49:
	s_mov_b32 s3, 1
	s_mov_b64 s[30:31], 0
	v_mov_b32_e32 v3, 0
.LBB2700_50:                            ; =>This Loop Header: Depth=1
                                        ;     Child Loop BB2700_51 Depth 2
	s_max_u32 s33, s3, 1
.LBB2700_51:                            ;   Parent Loop BB2700_50 Depth=1
                                        ; =>  This Inner Loop Header: Depth=2
	s_add_i32 s33, s33, -1
	s_cmp_eq_u32 s33, 0
	s_sleep 1
	s_cbranch_scc0 .LBB2700_51
; %bb.52:                               ;   in Loop: Header=BB2700_50 Depth=1
	global_load_dwordx2 v[8:9], v[6:7], off sc1
	s_cmp_lt_u32 s3, 32
	s_cselect_b64 s[34:35], -1, 0
	s_cmp_lg_u64 s[34:35], 0
	s_addc_u32 s3, s3, 0
	s_waitcnt vmcnt(0)
	v_cmp_ne_u16_sdwa s[34:35], v9, v3 src0_sel:BYTE_0 src1_sel:DWORD
	s_or_b64 s[30:31], s[34:35], s[30:31]
	s_andn2_b64 exec, exec, s[30:31]
	s_cbranch_execnz .LBB2700_50
; %bb.53:
	s_or_b64 exec, exec, s[30:31]
.LBB2700_54:
	s_or_b64 exec, exec, s[28:29]
	v_and_b32_e32 v15, 63, v64
	v_mov_b32_e32 v14, 2
	v_cmp_ne_u32_e32 vcc, 63, v15
	v_cmp_eq_u16_sdwa s[28:29], v9, v14 src0_sel:BYTE_0 src1_sel:DWORD
	v_lshlrev_b64 v[6:7], v64, -1
	v_addc_co_u32_e32 v10, vcc, 0, v64, vcc
	v_and_b32_e32 v3, s29, v7
	v_lshlrev_b32_e32 v16, 2, v10
	v_or_b32_e32 v3, 0x80000000, v3
	ds_bpermute_b32 v10, v16, v8
	v_and_b32_e32 v5, s28, v6
	v_ffbl_b32_e32 v3, v3
	v_add_u32_e32 v3, 32, v3
	v_ffbl_b32_e32 v5, v5
	v_min_u32_e32 v3, v5, v3
	v_cmp_lt_u32_e32 vcc, v15, v3
	v_add_u32_e32 v32, 2, v15
	v_add_u32_e32 v67, 4, v15
	s_waitcnt lgkmcnt(0)
	v_cndmask_b32_e32 v5, 0, v10, vcc
	v_cmp_gt_u32_e32 vcc, 62, v15
	v_add_u32_e32 v5, v5, v8
	v_add_u32_e32 v69, 8, v15
	v_cndmask_b32_e64 v8, 0, 1, vcc
	v_lshlrev_b32_e32 v8, 1, v8
	v_add_lshl_u32 v17, v8, v64, 2
	ds_bpermute_b32 v8, v17, v5
	v_cmp_le_u32_e32 vcc, v32, v3
	v_add_u32_e32 v71, 16, v15
	v_add_u32_e32 v73, 32, v15
	s_waitcnt lgkmcnt(0)
	v_cndmask_b32_e32 v8, 0, v8, vcc
	v_cmp_gt_u32_e32 vcc, 60, v15
	v_add_u32_e32 v5, v5, v8
	s_nop 0
	v_cndmask_b32_e64 v8, 0, 1, vcc
	v_lshlrev_b32_e32 v8, 2, v8
	v_add_lshl_u32 v33, v8, v64, 2
	ds_bpermute_b32 v8, v33, v5
	v_cmp_le_u32_e32 vcc, v67, v3
	s_waitcnt lgkmcnt(0)
	s_nop 0
	v_cndmask_b32_e32 v8, 0, v8, vcc
	v_cmp_gt_u32_e32 vcc, 56, v15
	v_add_u32_e32 v5, v5, v8
	s_nop 0
	v_cndmask_b32_e64 v8, 0, 1, vcc
	v_lshlrev_b32_e32 v8, 3, v8
	v_add_lshl_u32 v68, v8, v64, 2
	ds_bpermute_b32 v8, v68, v5
	v_cmp_le_u32_e32 vcc, v69, v3
	s_waitcnt lgkmcnt(0)
	s_nop 0
	;; [unrolled: 11-line block ×4, first 2 shown]
	v_cndmask_b32_e32 v3, 0, v8, vcc
	v_add_u32_e32 v8, v5, v3
	v_mov_b32_e32 v5, 0
	s_branch .LBB2700_56
.LBB2700_55:                            ;   in Loop: Header=BB2700_56 Depth=1
	s_or_b64 exec, exec, s[28:29]
	v_cmp_eq_u16_sdwa s[28:29], v9, v14 src0_sel:BYTE_0 src1_sel:DWORD
	ds_bpermute_b32 v74, v16, v8
	v_subrev_u32_e32 v4, 64, v4
	v_and_b32_e32 v10, s29, v7
	v_or_b32_e32 v10, 0x80000000, v10
	v_and_b32_e32 v11, s28, v6
	v_ffbl_b32_e32 v10, v10
	v_add_u32_e32 v10, 32, v10
	v_ffbl_b32_e32 v11, v11
	v_min_u32_e32 v10, v11, v10
	v_cmp_lt_u32_e32 vcc, v15, v10
	s_waitcnt lgkmcnt(0)
	s_nop 0
	v_cndmask_b32_e32 v11, 0, v74, vcc
	v_add_u32_e32 v8, v11, v8
	ds_bpermute_b32 v11, v17, v8
	v_cmp_le_u32_e32 vcc, v32, v10
	s_waitcnt lgkmcnt(0)
	s_nop 0
	v_cndmask_b32_e32 v11, 0, v11, vcc
	v_add_u32_e32 v8, v8, v11
	ds_bpermute_b32 v11, v33, v8
	v_cmp_le_u32_e32 vcc, v67, v10
	;; [unrolled: 6-line block ×5, first 2 shown]
	s_waitcnt lgkmcnt(0)
	s_nop 0
	v_cndmask_b32_e32 v10, 0, v11, vcc
	v_add3_u32 v8, v10, v3, v8
.LBB2700_56:                            ; =>This Loop Header: Depth=1
                                        ;     Child Loop BB2700_59 Depth 2
                                        ;       Child Loop BB2700_60 Depth 3
	v_cmp_ne_u16_sdwa s[28:29], v9, v14 src0_sel:BYTE_0 src1_sel:DWORD
	s_nop 1
	v_cndmask_b32_e64 v3, 0, 1, s[28:29]
	;;#ASMSTART
	;;#ASMEND
	s_nop 0
	v_cmp_ne_u32_e32 vcc, 0, v3
	s_cmp_lg_u64 vcc, exec
	v_mov_b32_e32 v3, v8
	s_cbranch_scc1 .LBB2700_63
; %bb.57:                               ;   in Loop: Header=BB2700_56 Depth=1
	v_lshl_add_u64 v[10:11], v[4:5], 3, s[24:25]
	global_load_dwordx2 v[8:9], v[10:11], off sc1
	s_waitcnt vmcnt(0)
	v_cmp_eq_u16_sdwa s[30:31], v9, v5 src0_sel:BYTE_0 src1_sel:DWORD
	s_and_saveexec_b64 s[28:29], s[30:31]
	s_cbranch_execz .LBB2700_55
; %bb.58:                               ;   in Loop: Header=BB2700_56 Depth=1
	s_mov_b32 s3, 1
	s_mov_b64 s[30:31], 0
.LBB2700_59:                            ;   Parent Loop BB2700_56 Depth=1
                                        ; =>  This Loop Header: Depth=2
                                        ;       Child Loop BB2700_60 Depth 3
	s_max_u32 s33, s3, 1
.LBB2700_60:                            ;   Parent Loop BB2700_56 Depth=1
                                        ;     Parent Loop BB2700_59 Depth=2
                                        ; =>    This Inner Loop Header: Depth=3
	s_add_i32 s33, s33, -1
	s_cmp_eq_u32 s33, 0
	s_sleep 1
	s_cbranch_scc0 .LBB2700_60
; %bb.61:                               ;   in Loop: Header=BB2700_59 Depth=2
	global_load_dwordx2 v[8:9], v[10:11], off sc1
	s_cmp_lt_u32 s3, 32
	s_cselect_b64 s[34:35], -1, 0
	s_cmp_lg_u64 s[34:35], 0
	s_addc_u32 s3, s3, 0
	s_waitcnt vmcnt(0)
	v_cmp_ne_u16_sdwa s[34:35], v9, v5 src0_sel:BYTE_0 src1_sel:DWORD
	s_or_b64 s[30:31], s[34:35], s[30:31]
	s_andn2_b64 exec, exec, s[30:31]
	s_cbranch_execnz .LBB2700_59
; %bb.62:                               ;   in Loop: Header=BB2700_56 Depth=1
	s_or_b64 exec, exec, s[30:31]
	s_branch .LBB2700_55
.LBB2700_63:                            ;   in Loop: Header=BB2700_56 Depth=1
                                        ; implicit-def: $vgpr8
                                        ; implicit-def: $vgpr9
	s_cbranch_execz .LBB2700_56
; %bb.64:
	s_and_saveexec_b64 s[28:29], s[14:15]
	s_cbranch_execz .LBB2700_66
; %bb.65:
	s_add_i32 s2, s2, 64
	s_mov_b32 s3, 0
	s_lshl_b64 s[2:3], s[2:3], 3
	s_add_u32 s2, s24, s2
	v_add_u32_e32 v4, v3, v2
	v_mov_b32_e32 v5, 2
	s_addc_u32 s3, s25, s3
	v_mov_b32_e32 v6, 0
	global_store_dwordx2 v6, v[4:5], s[2:3] sc1
	ds_write_b64 v6, v[2:3] offset:30720
.LBB2700_66:
	s_or_b64 exec, exec, s[28:29]
	v_cmp_eq_u32_e32 vcc, 0, v0
	s_and_b64 exec, exec, vcc
	s_cbranch_execz .LBB2700_68
; %bb.67:
	v_mov_b32_e32 v2, 0
	ds_write_b32 v2, v3 offset:28
.LBB2700_68:
	s_or_b64 exec, exec, s[26:27]
	v_mov_b32_e32 v14, 0
	s_waitcnt lgkmcnt(0)
	s_barrier
	ds_read_b32 v2, v14 offset:28
	v_cndmask_b32_e64 v3, v13, v12, s[14:15]
	v_cmp_ne_u32_e32 vcc, 0, v0
	s_waitcnt lgkmcnt(0)
	s_barrier
	v_cndmask_b32_e32 v3, 0, v3, vcc
	v_add_u32_e32 v2, v2, v3
	v_add_u32_e32 v3, v2, v50
	;; [unrolled: 1-line block ×11, first 2 shown]
	ds_read_b64 v[32:33], v14 offset:30720
	v_add_u32_e32 v13, v12, v60
	v_add_u32_e32 v14, v13, v61
	;; [unrolled: 1-line block ×4, first 2 shown]
	s_branch .LBB2700_79
.LBB2700_69:
                                        ; implicit-def: $vgpr33
                                        ; implicit-def: $vgpr2_vgpr3_vgpr4_vgpr5_vgpr6_vgpr7_vgpr8_vgpr9_vgpr10_vgpr11_vgpr12_vgpr13_vgpr14_vgpr15_vgpr16_vgpr17
	s_cbranch_execz .LBB2700_79
; %bb.70:
	s_nop 0
	v_mov_b32_dpp v2, v66 row_shr:1 row_mask:0xf bank_mask:0xf
	v_cndmask_b32_e64 v2, v2, 0, s[12:13]
	v_add_u32_e32 v2, v2, v66
	s_nop 1
	v_mov_b32_dpp v3, v2 row_shr:2 row_mask:0xf bank_mask:0xf
	v_cndmask_b32_e64 v3, 0, v3, s[10:11]
	v_add_u32_e32 v2, v2, v3
	;; [unrolled: 4-line block ×4, first 2 shown]
	s_nop 1
	v_mov_b32_dpp v3, v2 row_bcast:15 row_mask:0xf bank_mask:0xf
	v_cndmask_b32_e64 v3, v3, 0, s[4:5]
	v_add_u32_e32 v2, v2, v3
	s_nop 1
	v_mov_b32_dpp v3, v2 row_bcast:31 row_mask:0xf bank_mask:0xf
	v_cndmask_b32_e64 v3, 0, v3, s[0:1]
	v_add_u32_e32 v2, v2, v3
	s_and_saveexec_b64 s[0:1], s[16:17]
	s_cbranch_execz .LBB2700_72
; %bb.71:
	v_lshlrev_b32_e32 v3, 2, v65
	ds_write_b32 v3, v2
.LBB2700_72:
	s_or_b64 exec, exec, s[0:1]
	v_cmp_gt_u32_e32 vcc, 8, v0
	s_waitcnt lgkmcnt(0)
	s_barrier
	s_and_saveexec_b64 s[0:1], vcc
	s_cbranch_execz .LBB2700_74
; %bb.73:
	v_lshlrev_b32_e32 v3, 2, v0
	ds_read_b32 v4, v3
	v_and_b32_e32 v5, 7, v64
	v_cmp_ne_u32_e32 vcc, 0, v5
	s_waitcnt lgkmcnt(0)
	v_mov_b32_dpp v6, v4 row_shr:1 row_mask:0xf bank_mask:0xf
	v_cndmask_b32_e32 v6, 0, v6, vcc
	v_add_u32_e32 v4, v6, v4
	v_cmp_lt_u32_e32 vcc, 1, v5
	s_nop 0
	v_mov_b32_dpp v6, v4 row_shr:2 row_mask:0xf bank_mask:0xf
	v_cndmask_b32_e32 v6, 0, v6, vcc
	v_add_u32_e32 v4, v4, v6
	v_cmp_lt_u32_e32 vcc, 3, v5
	s_nop 0
	v_mov_b32_dpp v6, v4 row_shr:4 row_mask:0xf bank_mask:0xf
	v_cndmask_b32_e32 v5, 0, v6, vcc
	v_add_u32_e32 v4, v4, v5
	ds_write_b32 v3, v4
.LBB2700_74:
	s_or_b64 exec, exec, s[0:1]
	v_cmp_lt_u32_e32 vcc, 63, v0
	v_mov_b32_e32 v4, 0
	v_mov_b32_e32 v3, 0
	s_waitcnt lgkmcnt(0)
	s_barrier
	s_and_saveexec_b64 s[0:1], vcc
	s_cbranch_execz .LBB2700_76
; %bb.75:
	v_lshl_add_u32 v3, v65, 2, -4
	ds_read_b32 v3, v3
.LBB2700_76:
	s_or_b64 exec, exec, s[0:1]
	v_add_u32_e32 v5, -1, v64
	v_and_b32_e32 v6, 64, v64
	v_cmp_lt_i32_e32 vcc, v5, v6
	s_waitcnt lgkmcnt(0)
	v_add_u32_e32 v2, v3, v2
	ds_read_b32 v32, v4 offset:28
	v_cndmask_b32_e32 v5, v5, v64, vcc
	v_lshlrev_b32_e32 v5, 2, v5
	ds_bpermute_b32 v2, v5, v2
	v_cmp_eq_u32_e32 vcc, 0, v0
	s_and_saveexec_b64 s[0:1], vcc
	s_cbranch_execz .LBB2700_78
; %bb.77:
	v_mov_b32_e32 v4, 0
	v_mov_b32_e32 v33, 2
	s_waitcnt lgkmcnt(1)
	global_store_dwordx2 v4, v[32:33], s[24:25] offset:512 sc1
.LBB2700_78:
	s_or_b64 exec, exec, s[0:1]
	v_cmp_eq_u32_e64 s[0:1], 0, v64
	v_mov_b32_e32 v33, 0
	s_waitcnt lgkmcnt(0)
	v_cndmask_b32_e64 v2, v2, v3, s[0:1]
	v_cndmask_b32_e64 v2, v2, 0, vcc
	v_add_u32_e32 v3, v2, v50
	v_add_u32_e32 v4, v3, v51
	;; [unrolled: 1-line block ×14, first 2 shown]
	s_barrier
.LBB2700_79:
	s_waitcnt lgkmcnt(0)
	v_add_u32_e32 v17, v32, v36
	v_sub_u32_e32 v2, v2, v33
	v_and_b32_e32 v49, 1, v49
	v_sub_u32_e32 v36, v17, v2
	v_cmp_eq_u32_e32 vcc, 1, v49
	s_nop 1
	v_cndmask_b32_e32 v2, v36, v2, vcc
	v_lshlrev_b32_e32 v2, 2, v2
	ds_write_b32 v2, v30
	v_sub_u32_e32 v2, v3, v33
	v_sub_u32_e32 v3, v17, v2
	v_and_b32_e32 v30, 1, v48
	v_add_u32_e32 v3, 1, v3
	v_cmp_eq_u32_e32 vcc, 1, v30
	s_nop 1
	v_cndmask_b32_e32 v2, v3, v2, vcc
	v_lshlrev_b32_e32 v2, 2, v2
	ds_write_b32 v2, v31
	v_sub_u32_e32 v2, v4, v33
	v_sub_u32_e32 v3, v17, v2
	v_and_b32_e32 v4, 1, v47
	v_add_u32_e32 v3, 2, v3
	v_cmp_eq_u32_e32 vcc, 1, v4
	v_and_b32_e32 v4, 1, v46
	s_nop 0
	v_cndmask_b32_e32 v2, v3, v2, vcc
	v_lshlrev_b32_e32 v2, 2, v2
	ds_write_b32 v2, v28
	v_sub_u32_e32 v2, v5, v33
	v_sub_u32_e32 v3, v17, v2
	v_add_u32_e32 v3, 3, v3
	v_cmp_eq_u32_e32 vcc, 1, v4
	v_and_b32_e32 v4, 1, v45
	s_nop 0
	v_cndmask_b32_e32 v2, v3, v2, vcc
	v_lshlrev_b32_e32 v2, 2, v2
	ds_write_b32 v2, v29
	v_sub_u32_e32 v2, v6, v33
	v_sub_u32_e32 v3, v17, v2
	;; [unrolled: 9-line block ×12, first 2 shown]
	v_add_u32_e32 v3, 14, v3
	v_cmp_eq_u32_e32 vcc, 1, v4
	s_nop 1
	v_cndmask_b32_e32 v2, v3, v2, vcc
	v_cmp_eq_u32_e32 vcc, 0, v0
	v_lshlrev_b32_e32 v2, 2, v2
	s_and_b64 s[0:1], vcc, s[22:23]
	ds_write_b32 v2, v1
	s_waitcnt lgkmcnt(0)
	s_barrier
	s_and_saveexec_b64 s[2:3], s[0:1]
	s_cbranch_execz .LBB2700_81
; %bb.80:
	v_mov_b32_e32 v1, 0
	v_mov_b32_e32 v0, v32
	v_lshl_add_u64 v[2:3], s[18:19], 0, v[0:1]
	v_mov_b32_e32 v0, v33
	v_lshl_add_u64 v[2:3], v[2:3], 0, v[0:1]
	global_store_dwordx2 v1, v[2:3], s[20:21]
.LBB2700_81:
	s_endpgm
	.section	.rodata,"a",@progbits
	.p2align	6, 0x0
	.amdhsa_kernel _ZN7rocprim17ROCPRIM_400000_NS6detail17trampoline_kernelINS0_14default_configENS1_25partition_config_selectorILNS1_17partition_subalgoE0EiNS0_10empty_typeEbEEZZNS1_14partition_implILS5_0ELb0ES3_jN6thrust23THRUST_200600_302600_NS6detail15normal_iteratorINSA_10device_ptrIiEEEEPS6_SG_NS0_5tupleIJNSA_16discard_iteratorINSA_11use_defaultEEESK_EEENSH_IJSG_SG_EEES6_PlJ7is_evenIiEEEE10hipError_tPvRmT3_T4_T5_T6_T7_T9_mT8_P12ihipStream_tbDpT10_ENKUlT_T0_E_clISt17integral_constantIbLb1EES18_IbLb0EEEEDaS14_S15_EUlS14_E_NS1_11comp_targetILNS1_3genE5ELNS1_11target_archE942ELNS1_3gpuE9ELNS1_3repE0EEENS1_30default_config_static_selectorELNS0_4arch9wavefront6targetE1EEEvT1_
		.amdhsa_group_segment_fixed_size 30728
		.amdhsa_private_segment_fixed_size 0
		.amdhsa_kernarg_size 136
		.amdhsa_user_sgpr_count 2
		.amdhsa_user_sgpr_dispatch_ptr 0
		.amdhsa_user_sgpr_queue_ptr 0
		.amdhsa_user_sgpr_kernarg_segment_ptr 1
		.amdhsa_user_sgpr_dispatch_id 0
		.amdhsa_user_sgpr_kernarg_preload_length 0
		.amdhsa_user_sgpr_kernarg_preload_offset 0
		.amdhsa_user_sgpr_private_segment_size 0
		.amdhsa_uses_dynamic_stack 0
		.amdhsa_enable_private_segment 0
		.amdhsa_system_sgpr_workgroup_id_x 1
		.amdhsa_system_sgpr_workgroup_id_y 0
		.amdhsa_system_sgpr_workgroup_id_z 0
		.amdhsa_system_sgpr_workgroup_info 0
		.amdhsa_system_vgpr_workitem_id 0
		.amdhsa_next_free_vgpr 75
		.amdhsa_next_free_sgpr 36
		.amdhsa_accum_offset 76
		.amdhsa_reserve_vcc 1
		.amdhsa_float_round_mode_32 0
		.amdhsa_float_round_mode_16_64 0
		.amdhsa_float_denorm_mode_32 3
		.amdhsa_float_denorm_mode_16_64 3
		.amdhsa_dx10_clamp 1
		.amdhsa_ieee_mode 1
		.amdhsa_fp16_overflow 0
		.amdhsa_tg_split 0
		.amdhsa_exception_fp_ieee_invalid_op 0
		.amdhsa_exception_fp_denorm_src 0
		.amdhsa_exception_fp_ieee_div_zero 0
		.amdhsa_exception_fp_ieee_overflow 0
		.amdhsa_exception_fp_ieee_underflow 0
		.amdhsa_exception_fp_ieee_inexact 0
		.amdhsa_exception_int_div_zero 0
	.end_amdhsa_kernel
	.section	.text._ZN7rocprim17ROCPRIM_400000_NS6detail17trampoline_kernelINS0_14default_configENS1_25partition_config_selectorILNS1_17partition_subalgoE0EiNS0_10empty_typeEbEEZZNS1_14partition_implILS5_0ELb0ES3_jN6thrust23THRUST_200600_302600_NS6detail15normal_iteratorINSA_10device_ptrIiEEEEPS6_SG_NS0_5tupleIJNSA_16discard_iteratorINSA_11use_defaultEEESK_EEENSH_IJSG_SG_EEES6_PlJ7is_evenIiEEEE10hipError_tPvRmT3_T4_T5_T6_T7_T9_mT8_P12ihipStream_tbDpT10_ENKUlT_T0_E_clISt17integral_constantIbLb1EES18_IbLb0EEEEDaS14_S15_EUlS14_E_NS1_11comp_targetILNS1_3genE5ELNS1_11target_archE942ELNS1_3gpuE9ELNS1_3repE0EEENS1_30default_config_static_selectorELNS0_4arch9wavefront6targetE1EEEvT1_,"axG",@progbits,_ZN7rocprim17ROCPRIM_400000_NS6detail17trampoline_kernelINS0_14default_configENS1_25partition_config_selectorILNS1_17partition_subalgoE0EiNS0_10empty_typeEbEEZZNS1_14partition_implILS5_0ELb0ES3_jN6thrust23THRUST_200600_302600_NS6detail15normal_iteratorINSA_10device_ptrIiEEEEPS6_SG_NS0_5tupleIJNSA_16discard_iteratorINSA_11use_defaultEEESK_EEENSH_IJSG_SG_EEES6_PlJ7is_evenIiEEEE10hipError_tPvRmT3_T4_T5_T6_T7_T9_mT8_P12ihipStream_tbDpT10_ENKUlT_T0_E_clISt17integral_constantIbLb1EES18_IbLb0EEEEDaS14_S15_EUlS14_E_NS1_11comp_targetILNS1_3genE5ELNS1_11target_archE942ELNS1_3gpuE9ELNS1_3repE0EEENS1_30default_config_static_selectorELNS0_4arch9wavefront6targetE1EEEvT1_,comdat
.Lfunc_end2700:
	.size	_ZN7rocprim17ROCPRIM_400000_NS6detail17trampoline_kernelINS0_14default_configENS1_25partition_config_selectorILNS1_17partition_subalgoE0EiNS0_10empty_typeEbEEZZNS1_14partition_implILS5_0ELb0ES3_jN6thrust23THRUST_200600_302600_NS6detail15normal_iteratorINSA_10device_ptrIiEEEEPS6_SG_NS0_5tupleIJNSA_16discard_iteratorINSA_11use_defaultEEESK_EEENSH_IJSG_SG_EEES6_PlJ7is_evenIiEEEE10hipError_tPvRmT3_T4_T5_T6_T7_T9_mT8_P12ihipStream_tbDpT10_ENKUlT_T0_E_clISt17integral_constantIbLb1EES18_IbLb0EEEEDaS14_S15_EUlS14_E_NS1_11comp_targetILNS1_3genE5ELNS1_11target_archE942ELNS1_3gpuE9ELNS1_3repE0EEENS1_30default_config_static_selectorELNS0_4arch9wavefront6targetE1EEEvT1_, .Lfunc_end2700-_ZN7rocprim17ROCPRIM_400000_NS6detail17trampoline_kernelINS0_14default_configENS1_25partition_config_selectorILNS1_17partition_subalgoE0EiNS0_10empty_typeEbEEZZNS1_14partition_implILS5_0ELb0ES3_jN6thrust23THRUST_200600_302600_NS6detail15normal_iteratorINSA_10device_ptrIiEEEEPS6_SG_NS0_5tupleIJNSA_16discard_iteratorINSA_11use_defaultEEESK_EEENSH_IJSG_SG_EEES6_PlJ7is_evenIiEEEE10hipError_tPvRmT3_T4_T5_T6_T7_T9_mT8_P12ihipStream_tbDpT10_ENKUlT_T0_E_clISt17integral_constantIbLb1EES18_IbLb0EEEEDaS14_S15_EUlS14_E_NS1_11comp_targetILNS1_3genE5ELNS1_11target_archE942ELNS1_3gpuE9ELNS1_3repE0EEENS1_30default_config_static_selectorELNS0_4arch9wavefront6targetE1EEEvT1_
                                        ; -- End function
	.section	.AMDGPU.csdata,"",@progbits
; Kernel info:
; codeLenInByte = 4884
; NumSgprs: 42
; NumVgprs: 75
; NumAgprs: 0
; TotalNumVgprs: 75
; ScratchSize: 0
; MemoryBound: 0
; FloatMode: 240
; IeeeMode: 1
; LDSByteSize: 30728 bytes/workgroup (compile time only)
; SGPRBlocks: 5
; VGPRBlocks: 9
; NumSGPRsForWavesPerEU: 42
; NumVGPRsForWavesPerEU: 75
; AccumOffset: 76
; Occupancy: 4
; WaveLimiterHint : 1
; COMPUTE_PGM_RSRC2:SCRATCH_EN: 0
; COMPUTE_PGM_RSRC2:USER_SGPR: 2
; COMPUTE_PGM_RSRC2:TRAP_HANDLER: 0
; COMPUTE_PGM_RSRC2:TGID_X_EN: 1
; COMPUTE_PGM_RSRC2:TGID_Y_EN: 0
; COMPUTE_PGM_RSRC2:TGID_Z_EN: 0
; COMPUTE_PGM_RSRC2:TIDIG_COMP_CNT: 0
; COMPUTE_PGM_RSRC3_GFX90A:ACCUM_OFFSET: 18
; COMPUTE_PGM_RSRC3_GFX90A:TG_SPLIT: 0
	.section	.text._ZN7rocprim17ROCPRIM_400000_NS6detail17trampoline_kernelINS0_14default_configENS1_25partition_config_selectorILNS1_17partition_subalgoE0EiNS0_10empty_typeEbEEZZNS1_14partition_implILS5_0ELb0ES3_jN6thrust23THRUST_200600_302600_NS6detail15normal_iteratorINSA_10device_ptrIiEEEEPS6_SG_NS0_5tupleIJNSA_16discard_iteratorINSA_11use_defaultEEESK_EEENSH_IJSG_SG_EEES6_PlJ7is_evenIiEEEE10hipError_tPvRmT3_T4_T5_T6_T7_T9_mT8_P12ihipStream_tbDpT10_ENKUlT_T0_E_clISt17integral_constantIbLb1EES18_IbLb0EEEEDaS14_S15_EUlS14_E_NS1_11comp_targetILNS1_3genE4ELNS1_11target_archE910ELNS1_3gpuE8ELNS1_3repE0EEENS1_30default_config_static_selectorELNS0_4arch9wavefront6targetE1EEEvT1_,"axG",@progbits,_ZN7rocprim17ROCPRIM_400000_NS6detail17trampoline_kernelINS0_14default_configENS1_25partition_config_selectorILNS1_17partition_subalgoE0EiNS0_10empty_typeEbEEZZNS1_14partition_implILS5_0ELb0ES3_jN6thrust23THRUST_200600_302600_NS6detail15normal_iteratorINSA_10device_ptrIiEEEEPS6_SG_NS0_5tupleIJNSA_16discard_iteratorINSA_11use_defaultEEESK_EEENSH_IJSG_SG_EEES6_PlJ7is_evenIiEEEE10hipError_tPvRmT3_T4_T5_T6_T7_T9_mT8_P12ihipStream_tbDpT10_ENKUlT_T0_E_clISt17integral_constantIbLb1EES18_IbLb0EEEEDaS14_S15_EUlS14_E_NS1_11comp_targetILNS1_3genE4ELNS1_11target_archE910ELNS1_3gpuE8ELNS1_3repE0EEENS1_30default_config_static_selectorELNS0_4arch9wavefront6targetE1EEEvT1_,comdat
	.protected	_ZN7rocprim17ROCPRIM_400000_NS6detail17trampoline_kernelINS0_14default_configENS1_25partition_config_selectorILNS1_17partition_subalgoE0EiNS0_10empty_typeEbEEZZNS1_14partition_implILS5_0ELb0ES3_jN6thrust23THRUST_200600_302600_NS6detail15normal_iteratorINSA_10device_ptrIiEEEEPS6_SG_NS0_5tupleIJNSA_16discard_iteratorINSA_11use_defaultEEESK_EEENSH_IJSG_SG_EEES6_PlJ7is_evenIiEEEE10hipError_tPvRmT3_T4_T5_T6_T7_T9_mT8_P12ihipStream_tbDpT10_ENKUlT_T0_E_clISt17integral_constantIbLb1EES18_IbLb0EEEEDaS14_S15_EUlS14_E_NS1_11comp_targetILNS1_3genE4ELNS1_11target_archE910ELNS1_3gpuE8ELNS1_3repE0EEENS1_30default_config_static_selectorELNS0_4arch9wavefront6targetE1EEEvT1_ ; -- Begin function _ZN7rocprim17ROCPRIM_400000_NS6detail17trampoline_kernelINS0_14default_configENS1_25partition_config_selectorILNS1_17partition_subalgoE0EiNS0_10empty_typeEbEEZZNS1_14partition_implILS5_0ELb0ES3_jN6thrust23THRUST_200600_302600_NS6detail15normal_iteratorINSA_10device_ptrIiEEEEPS6_SG_NS0_5tupleIJNSA_16discard_iteratorINSA_11use_defaultEEESK_EEENSH_IJSG_SG_EEES6_PlJ7is_evenIiEEEE10hipError_tPvRmT3_T4_T5_T6_T7_T9_mT8_P12ihipStream_tbDpT10_ENKUlT_T0_E_clISt17integral_constantIbLb1EES18_IbLb0EEEEDaS14_S15_EUlS14_E_NS1_11comp_targetILNS1_3genE4ELNS1_11target_archE910ELNS1_3gpuE8ELNS1_3repE0EEENS1_30default_config_static_selectorELNS0_4arch9wavefront6targetE1EEEvT1_
	.globl	_ZN7rocprim17ROCPRIM_400000_NS6detail17trampoline_kernelINS0_14default_configENS1_25partition_config_selectorILNS1_17partition_subalgoE0EiNS0_10empty_typeEbEEZZNS1_14partition_implILS5_0ELb0ES3_jN6thrust23THRUST_200600_302600_NS6detail15normal_iteratorINSA_10device_ptrIiEEEEPS6_SG_NS0_5tupleIJNSA_16discard_iteratorINSA_11use_defaultEEESK_EEENSH_IJSG_SG_EEES6_PlJ7is_evenIiEEEE10hipError_tPvRmT3_T4_T5_T6_T7_T9_mT8_P12ihipStream_tbDpT10_ENKUlT_T0_E_clISt17integral_constantIbLb1EES18_IbLb0EEEEDaS14_S15_EUlS14_E_NS1_11comp_targetILNS1_3genE4ELNS1_11target_archE910ELNS1_3gpuE8ELNS1_3repE0EEENS1_30default_config_static_selectorELNS0_4arch9wavefront6targetE1EEEvT1_
	.p2align	8
	.type	_ZN7rocprim17ROCPRIM_400000_NS6detail17trampoline_kernelINS0_14default_configENS1_25partition_config_selectorILNS1_17partition_subalgoE0EiNS0_10empty_typeEbEEZZNS1_14partition_implILS5_0ELb0ES3_jN6thrust23THRUST_200600_302600_NS6detail15normal_iteratorINSA_10device_ptrIiEEEEPS6_SG_NS0_5tupleIJNSA_16discard_iteratorINSA_11use_defaultEEESK_EEENSH_IJSG_SG_EEES6_PlJ7is_evenIiEEEE10hipError_tPvRmT3_T4_T5_T6_T7_T9_mT8_P12ihipStream_tbDpT10_ENKUlT_T0_E_clISt17integral_constantIbLb1EES18_IbLb0EEEEDaS14_S15_EUlS14_E_NS1_11comp_targetILNS1_3genE4ELNS1_11target_archE910ELNS1_3gpuE8ELNS1_3repE0EEENS1_30default_config_static_selectorELNS0_4arch9wavefront6targetE1EEEvT1_,@function
_ZN7rocprim17ROCPRIM_400000_NS6detail17trampoline_kernelINS0_14default_configENS1_25partition_config_selectorILNS1_17partition_subalgoE0EiNS0_10empty_typeEbEEZZNS1_14partition_implILS5_0ELb0ES3_jN6thrust23THRUST_200600_302600_NS6detail15normal_iteratorINSA_10device_ptrIiEEEEPS6_SG_NS0_5tupleIJNSA_16discard_iteratorINSA_11use_defaultEEESK_EEENSH_IJSG_SG_EEES6_PlJ7is_evenIiEEEE10hipError_tPvRmT3_T4_T5_T6_T7_T9_mT8_P12ihipStream_tbDpT10_ENKUlT_T0_E_clISt17integral_constantIbLb1EES18_IbLb0EEEEDaS14_S15_EUlS14_E_NS1_11comp_targetILNS1_3genE4ELNS1_11target_archE910ELNS1_3gpuE8ELNS1_3repE0EEENS1_30default_config_static_selectorELNS0_4arch9wavefront6targetE1EEEvT1_: ; @_ZN7rocprim17ROCPRIM_400000_NS6detail17trampoline_kernelINS0_14default_configENS1_25partition_config_selectorILNS1_17partition_subalgoE0EiNS0_10empty_typeEbEEZZNS1_14partition_implILS5_0ELb0ES3_jN6thrust23THRUST_200600_302600_NS6detail15normal_iteratorINSA_10device_ptrIiEEEEPS6_SG_NS0_5tupleIJNSA_16discard_iteratorINSA_11use_defaultEEESK_EEENSH_IJSG_SG_EEES6_PlJ7is_evenIiEEEE10hipError_tPvRmT3_T4_T5_T6_T7_T9_mT8_P12ihipStream_tbDpT10_ENKUlT_T0_E_clISt17integral_constantIbLb1EES18_IbLb0EEEEDaS14_S15_EUlS14_E_NS1_11comp_targetILNS1_3genE4ELNS1_11target_archE910ELNS1_3gpuE8ELNS1_3repE0EEENS1_30default_config_static_selectorELNS0_4arch9wavefront6targetE1EEEvT1_
; %bb.0:
	.section	.rodata,"a",@progbits
	.p2align	6, 0x0
	.amdhsa_kernel _ZN7rocprim17ROCPRIM_400000_NS6detail17trampoline_kernelINS0_14default_configENS1_25partition_config_selectorILNS1_17partition_subalgoE0EiNS0_10empty_typeEbEEZZNS1_14partition_implILS5_0ELb0ES3_jN6thrust23THRUST_200600_302600_NS6detail15normal_iteratorINSA_10device_ptrIiEEEEPS6_SG_NS0_5tupleIJNSA_16discard_iteratorINSA_11use_defaultEEESK_EEENSH_IJSG_SG_EEES6_PlJ7is_evenIiEEEE10hipError_tPvRmT3_T4_T5_T6_T7_T9_mT8_P12ihipStream_tbDpT10_ENKUlT_T0_E_clISt17integral_constantIbLb1EES18_IbLb0EEEEDaS14_S15_EUlS14_E_NS1_11comp_targetILNS1_3genE4ELNS1_11target_archE910ELNS1_3gpuE8ELNS1_3repE0EEENS1_30default_config_static_selectorELNS0_4arch9wavefront6targetE1EEEvT1_
		.amdhsa_group_segment_fixed_size 0
		.amdhsa_private_segment_fixed_size 0
		.amdhsa_kernarg_size 136
		.amdhsa_user_sgpr_count 2
		.amdhsa_user_sgpr_dispatch_ptr 0
		.amdhsa_user_sgpr_queue_ptr 0
		.amdhsa_user_sgpr_kernarg_segment_ptr 1
		.amdhsa_user_sgpr_dispatch_id 0
		.amdhsa_user_sgpr_kernarg_preload_length 0
		.amdhsa_user_sgpr_kernarg_preload_offset 0
		.amdhsa_user_sgpr_private_segment_size 0
		.amdhsa_uses_dynamic_stack 0
		.amdhsa_enable_private_segment 0
		.amdhsa_system_sgpr_workgroup_id_x 1
		.amdhsa_system_sgpr_workgroup_id_y 0
		.amdhsa_system_sgpr_workgroup_id_z 0
		.amdhsa_system_sgpr_workgroup_info 0
		.amdhsa_system_vgpr_workitem_id 0
		.amdhsa_next_free_vgpr 1
		.amdhsa_next_free_sgpr 0
		.amdhsa_accum_offset 4
		.amdhsa_reserve_vcc 0
		.amdhsa_float_round_mode_32 0
		.amdhsa_float_round_mode_16_64 0
		.amdhsa_float_denorm_mode_32 3
		.amdhsa_float_denorm_mode_16_64 3
		.amdhsa_dx10_clamp 1
		.amdhsa_ieee_mode 1
		.amdhsa_fp16_overflow 0
		.amdhsa_tg_split 0
		.amdhsa_exception_fp_ieee_invalid_op 0
		.amdhsa_exception_fp_denorm_src 0
		.amdhsa_exception_fp_ieee_div_zero 0
		.amdhsa_exception_fp_ieee_overflow 0
		.amdhsa_exception_fp_ieee_underflow 0
		.amdhsa_exception_fp_ieee_inexact 0
		.amdhsa_exception_int_div_zero 0
	.end_amdhsa_kernel
	.section	.text._ZN7rocprim17ROCPRIM_400000_NS6detail17trampoline_kernelINS0_14default_configENS1_25partition_config_selectorILNS1_17partition_subalgoE0EiNS0_10empty_typeEbEEZZNS1_14partition_implILS5_0ELb0ES3_jN6thrust23THRUST_200600_302600_NS6detail15normal_iteratorINSA_10device_ptrIiEEEEPS6_SG_NS0_5tupleIJNSA_16discard_iteratorINSA_11use_defaultEEESK_EEENSH_IJSG_SG_EEES6_PlJ7is_evenIiEEEE10hipError_tPvRmT3_T4_T5_T6_T7_T9_mT8_P12ihipStream_tbDpT10_ENKUlT_T0_E_clISt17integral_constantIbLb1EES18_IbLb0EEEEDaS14_S15_EUlS14_E_NS1_11comp_targetILNS1_3genE4ELNS1_11target_archE910ELNS1_3gpuE8ELNS1_3repE0EEENS1_30default_config_static_selectorELNS0_4arch9wavefront6targetE1EEEvT1_,"axG",@progbits,_ZN7rocprim17ROCPRIM_400000_NS6detail17trampoline_kernelINS0_14default_configENS1_25partition_config_selectorILNS1_17partition_subalgoE0EiNS0_10empty_typeEbEEZZNS1_14partition_implILS5_0ELb0ES3_jN6thrust23THRUST_200600_302600_NS6detail15normal_iteratorINSA_10device_ptrIiEEEEPS6_SG_NS0_5tupleIJNSA_16discard_iteratorINSA_11use_defaultEEESK_EEENSH_IJSG_SG_EEES6_PlJ7is_evenIiEEEE10hipError_tPvRmT3_T4_T5_T6_T7_T9_mT8_P12ihipStream_tbDpT10_ENKUlT_T0_E_clISt17integral_constantIbLb1EES18_IbLb0EEEEDaS14_S15_EUlS14_E_NS1_11comp_targetILNS1_3genE4ELNS1_11target_archE910ELNS1_3gpuE8ELNS1_3repE0EEENS1_30default_config_static_selectorELNS0_4arch9wavefront6targetE1EEEvT1_,comdat
.Lfunc_end2701:
	.size	_ZN7rocprim17ROCPRIM_400000_NS6detail17trampoline_kernelINS0_14default_configENS1_25partition_config_selectorILNS1_17partition_subalgoE0EiNS0_10empty_typeEbEEZZNS1_14partition_implILS5_0ELb0ES3_jN6thrust23THRUST_200600_302600_NS6detail15normal_iteratorINSA_10device_ptrIiEEEEPS6_SG_NS0_5tupleIJNSA_16discard_iteratorINSA_11use_defaultEEESK_EEENSH_IJSG_SG_EEES6_PlJ7is_evenIiEEEE10hipError_tPvRmT3_T4_T5_T6_T7_T9_mT8_P12ihipStream_tbDpT10_ENKUlT_T0_E_clISt17integral_constantIbLb1EES18_IbLb0EEEEDaS14_S15_EUlS14_E_NS1_11comp_targetILNS1_3genE4ELNS1_11target_archE910ELNS1_3gpuE8ELNS1_3repE0EEENS1_30default_config_static_selectorELNS0_4arch9wavefront6targetE1EEEvT1_, .Lfunc_end2701-_ZN7rocprim17ROCPRIM_400000_NS6detail17trampoline_kernelINS0_14default_configENS1_25partition_config_selectorILNS1_17partition_subalgoE0EiNS0_10empty_typeEbEEZZNS1_14partition_implILS5_0ELb0ES3_jN6thrust23THRUST_200600_302600_NS6detail15normal_iteratorINSA_10device_ptrIiEEEEPS6_SG_NS0_5tupleIJNSA_16discard_iteratorINSA_11use_defaultEEESK_EEENSH_IJSG_SG_EEES6_PlJ7is_evenIiEEEE10hipError_tPvRmT3_T4_T5_T6_T7_T9_mT8_P12ihipStream_tbDpT10_ENKUlT_T0_E_clISt17integral_constantIbLb1EES18_IbLb0EEEEDaS14_S15_EUlS14_E_NS1_11comp_targetILNS1_3genE4ELNS1_11target_archE910ELNS1_3gpuE8ELNS1_3repE0EEENS1_30default_config_static_selectorELNS0_4arch9wavefront6targetE1EEEvT1_
                                        ; -- End function
	.section	.AMDGPU.csdata,"",@progbits
; Kernel info:
; codeLenInByte = 0
; NumSgprs: 6
; NumVgprs: 0
; NumAgprs: 0
; TotalNumVgprs: 0
; ScratchSize: 0
; MemoryBound: 0
; FloatMode: 240
; IeeeMode: 1
; LDSByteSize: 0 bytes/workgroup (compile time only)
; SGPRBlocks: 0
; VGPRBlocks: 0
; NumSGPRsForWavesPerEU: 6
; NumVGPRsForWavesPerEU: 1
; AccumOffset: 4
; Occupancy: 8
; WaveLimiterHint : 0
; COMPUTE_PGM_RSRC2:SCRATCH_EN: 0
; COMPUTE_PGM_RSRC2:USER_SGPR: 2
; COMPUTE_PGM_RSRC2:TRAP_HANDLER: 0
; COMPUTE_PGM_RSRC2:TGID_X_EN: 1
; COMPUTE_PGM_RSRC2:TGID_Y_EN: 0
; COMPUTE_PGM_RSRC2:TGID_Z_EN: 0
; COMPUTE_PGM_RSRC2:TIDIG_COMP_CNT: 0
; COMPUTE_PGM_RSRC3_GFX90A:ACCUM_OFFSET: 0
; COMPUTE_PGM_RSRC3_GFX90A:TG_SPLIT: 0
	.section	.text._ZN7rocprim17ROCPRIM_400000_NS6detail17trampoline_kernelINS0_14default_configENS1_25partition_config_selectorILNS1_17partition_subalgoE0EiNS0_10empty_typeEbEEZZNS1_14partition_implILS5_0ELb0ES3_jN6thrust23THRUST_200600_302600_NS6detail15normal_iteratorINSA_10device_ptrIiEEEEPS6_SG_NS0_5tupleIJNSA_16discard_iteratorINSA_11use_defaultEEESK_EEENSH_IJSG_SG_EEES6_PlJ7is_evenIiEEEE10hipError_tPvRmT3_T4_T5_T6_T7_T9_mT8_P12ihipStream_tbDpT10_ENKUlT_T0_E_clISt17integral_constantIbLb1EES18_IbLb0EEEEDaS14_S15_EUlS14_E_NS1_11comp_targetILNS1_3genE3ELNS1_11target_archE908ELNS1_3gpuE7ELNS1_3repE0EEENS1_30default_config_static_selectorELNS0_4arch9wavefront6targetE1EEEvT1_,"axG",@progbits,_ZN7rocprim17ROCPRIM_400000_NS6detail17trampoline_kernelINS0_14default_configENS1_25partition_config_selectorILNS1_17partition_subalgoE0EiNS0_10empty_typeEbEEZZNS1_14partition_implILS5_0ELb0ES3_jN6thrust23THRUST_200600_302600_NS6detail15normal_iteratorINSA_10device_ptrIiEEEEPS6_SG_NS0_5tupleIJNSA_16discard_iteratorINSA_11use_defaultEEESK_EEENSH_IJSG_SG_EEES6_PlJ7is_evenIiEEEE10hipError_tPvRmT3_T4_T5_T6_T7_T9_mT8_P12ihipStream_tbDpT10_ENKUlT_T0_E_clISt17integral_constantIbLb1EES18_IbLb0EEEEDaS14_S15_EUlS14_E_NS1_11comp_targetILNS1_3genE3ELNS1_11target_archE908ELNS1_3gpuE7ELNS1_3repE0EEENS1_30default_config_static_selectorELNS0_4arch9wavefront6targetE1EEEvT1_,comdat
	.protected	_ZN7rocprim17ROCPRIM_400000_NS6detail17trampoline_kernelINS0_14default_configENS1_25partition_config_selectorILNS1_17partition_subalgoE0EiNS0_10empty_typeEbEEZZNS1_14partition_implILS5_0ELb0ES3_jN6thrust23THRUST_200600_302600_NS6detail15normal_iteratorINSA_10device_ptrIiEEEEPS6_SG_NS0_5tupleIJNSA_16discard_iteratorINSA_11use_defaultEEESK_EEENSH_IJSG_SG_EEES6_PlJ7is_evenIiEEEE10hipError_tPvRmT3_T4_T5_T6_T7_T9_mT8_P12ihipStream_tbDpT10_ENKUlT_T0_E_clISt17integral_constantIbLb1EES18_IbLb0EEEEDaS14_S15_EUlS14_E_NS1_11comp_targetILNS1_3genE3ELNS1_11target_archE908ELNS1_3gpuE7ELNS1_3repE0EEENS1_30default_config_static_selectorELNS0_4arch9wavefront6targetE1EEEvT1_ ; -- Begin function _ZN7rocprim17ROCPRIM_400000_NS6detail17trampoline_kernelINS0_14default_configENS1_25partition_config_selectorILNS1_17partition_subalgoE0EiNS0_10empty_typeEbEEZZNS1_14partition_implILS5_0ELb0ES3_jN6thrust23THRUST_200600_302600_NS6detail15normal_iteratorINSA_10device_ptrIiEEEEPS6_SG_NS0_5tupleIJNSA_16discard_iteratorINSA_11use_defaultEEESK_EEENSH_IJSG_SG_EEES6_PlJ7is_evenIiEEEE10hipError_tPvRmT3_T4_T5_T6_T7_T9_mT8_P12ihipStream_tbDpT10_ENKUlT_T0_E_clISt17integral_constantIbLb1EES18_IbLb0EEEEDaS14_S15_EUlS14_E_NS1_11comp_targetILNS1_3genE3ELNS1_11target_archE908ELNS1_3gpuE7ELNS1_3repE0EEENS1_30default_config_static_selectorELNS0_4arch9wavefront6targetE1EEEvT1_
	.globl	_ZN7rocprim17ROCPRIM_400000_NS6detail17trampoline_kernelINS0_14default_configENS1_25partition_config_selectorILNS1_17partition_subalgoE0EiNS0_10empty_typeEbEEZZNS1_14partition_implILS5_0ELb0ES3_jN6thrust23THRUST_200600_302600_NS6detail15normal_iteratorINSA_10device_ptrIiEEEEPS6_SG_NS0_5tupleIJNSA_16discard_iteratorINSA_11use_defaultEEESK_EEENSH_IJSG_SG_EEES6_PlJ7is_evenIiEEEE10hipError_tPvRmT3_T4_T5_T6_T7_T9_mT8_P12ihipStream_tbDpT10_ENKUlT_T0_E_clISt17integral_constantIbLb1EES18_IbLb0EEEEDaS14_S15_EUlS14_E_NS1_11comp_targetILNS1_3genE3ELNS1_11target_archE908ELNS1_3gpuE7ELNS1_3repE0EEENS1_30default_config_static_selectorELNS0_4arch9wavefront6targetE1EEEvT1_
	.p2align	8
	.type	_ZN7rocprim17ROCPRIM_400000_NS6detail17trampoline_kernelINS0_14default_configENS1_25partition_config_selectorILNS1_17partition_subalgoE0EiNS0_10empty_typeEbEEZZNS1_14partition_implILS5_0ELb0ES3_jN6thrust23THRUST_200600_302600_NS6detail15normal_iteratorINSA_10device_ptrIiEEEEPS6_SG_NS0_5tupleIJNSA_16discard_iteratorINSA_11use_defaultEEESK_EEENSH_IJSG_SG_EEES6_PlJ7is_evenIiEEEE10hipError_tPvRmT3_T4_T5_T6_T7_T9_mT8_P12ihipStream_tbDpT10_ENKUlT_T0_E_clISt17integral_constantIbLb1EES18_IbLb0EEEEDaS14_S15_EUlS14_E_NS1_11comp_targetILNS1_3genE3ELNS1_11target_archE908ELNS1_3gpuE7ELNS1_3repE0EEENS1_30default_config_static_selectorELNS0_4arch9wavefront6targetE1EEEvT1_,@function
_ZN7rocprim17ROCPRIM_400000_NS6detail17trampoline_kernelINS0_14default_configENS1_25partition_config_selectorILNS1_17partition_subalgoE0EiNS0_10empty_typeEbEEZZNS1_14partition_implILS5_0ELb0ES3_jN6thrust23THRUST_200600_302600_NS6detail15normal_iteratorINSA_10device_ptrIiEEEEPS6_SG_NS0_5tupleIJNSA_16discard_iteratorINSA_11use_defaultEEESK_EEENSH_IJSG_SG_EEES6_PlJ7is_evenIiEEEE10hipError_tPvRmT3_T4_T5_T6_T7_T9_mT8_P12ihipStream_tbDpT10_ENKUlT_T0_E_clISt17integral_constantIbLb1EES18_IbLb0EEEEDaS14_S15_EUlS14_E_NS1_11comp_targetILNS1_3genE3ELNS1_11target_archE908ELNS1_3gpuE7ELNS1_3repE0EEENS1_30default_config_static_selectorELNS0_4arch9wavefront6targetE1EEEvT1_: ; @_ZN7rocprim17ROCPRIM_400000_NS6detail17trampoline_kernelINS0_14default_configENS1_25partition_config_selectorILNS1_17partition_subalgoE0EiNS0_10empty_typeEbEEZZNS1_14partition_implILS5_0ELb0ES3_jN6thrust23THRUST_200600_302600_NS6detail15normal_iteratorINSA_10device_ptrIiEEEEPS6_SG_NS0_5tupleIJNSA_16discard_iteratorINSA_11use_defaultEEESK_EEENSH_IJSG_SG_EEES6_PlJ7is_evenIiEEEE10hipError_tPvRmT3_T4_T5_T6_T7_T9_mT8_P12ihipStream_tbDpT10_ENKUlT_T0_E_clISt17integral_constantIbLb1EES18_IbLb0EEEEDaS14_S15_EUlS14_E_NS1_11comp_targetILNS1_3genE3ELNS1_11target_archE908ELNS1_3gpuE7ELNS1_3repE0EEENS1_30default_config_static_selectorELNS0_4arch9wavefront6targetE1EEEvT1_
; %bb.0:
	.section	.rodata,"a",@progbits
	.p2align	6, 0x0
	.amdhsa_kernel _ZN7rocprim17ROCPRIM_400000_NS6detail17trampoline_kernelINS0_14default_configENS1_25partition_config_selectorILNS1_17partition_subalgoE0EiNS0_10empty_typeEbEEZZNS1_14partition_implILS5_0ELb0ES3_jN6thrust23THRUST_200600_302600_NS6detail15normal_iteratorINSA_10device_ptrIiEEEEPS6_SG_NS0_5tupleIJNSA_16discard_iteratorINSA_11use_defaultEEESK_EEENSH_IJSG_SG_EEES6_PlJ7is_evenIiEEEE10hipError_tPvRmT3_T4_T5_T6_T7_T9_mT8_P12ihipStream_tbDpT10_ENKUlT_T0_E_clISt17integral_constantIbLb1EES18_IbLb0EEEEDaS14_S15_EUlS14_E_NS1_11comp_targetILNS1_3genE3ELNS1_11target_archE908ELNS1_3gpuE7ELNS1_3repE0EEENS1_30default_config_static_selectorELNS0_4arch9wavefront6targetE1EEEvT1_
		.amdhsa_group_segment_fixed_size 0
		.amdhsa_private_segment_fixed_size 0
		.amdhsa_kernarg_size 136
		.amdhsa_user_sgpr_count 2
		.amdhsa_user_sgpr_dispatch_ptr 0
		.amdhsa_user_sgpr_queue_ptr 0
		.amdhsa_user_sgpr_kernarg_segment_ptr 1
		.amdhsa_user_sgpr_dispatch_id 0
		.amdhsa_user_sgpr_kernarg_preload_length 0
		.amdhsa_user_sgpr_kernarg_preload_offset 0
		.amdhsa_user_sgpr_private_segment_size 0
		.amdhsa_uses_dynamic_stack 0
		.amdhsa_enable_private_segment 0
		.amdhsa_system_sgpr_workgroup_id_x 1
		.amdhsa_system_sgpr_workgroup_id_y 0
		.amdhsa_system_sgpr_workgroup_id_z 0
		.amdhsa_system_sgpr_workgroup_info 0
		.amdhsa_system_vgpr_workitem_id 0
		.amdhsa_next_free_vgpr 1
		.amdhsa_next_free_sgpr 0
		.amdhsa_accum_offset 4
		.amdhsa_reserve_vcc 0
		.amdhsa_float_round_mode_32 0
		.amdhsa_float_round_mode_16_64 0
		.amdhsa_float_denorm_mode_32 3
		.amdhsa_float_denorm_mode_16_64 3
		.amdhsa_dx10_clamp 1
		.amdhsa_ieee_mode 1
		.amdhsa_fp16_overflow 0
		.amdhsa_tg_split 0
		.amdhsa_exception_fp_ieee_invalid_op 0
		.amdhsa_exception_fp_denorm_src 0
		.amdhsa_exception_fp_ieee_div_zero 0
		.amdhsa_exception_fp_ieee_overflow 0
		.amdhsa_exception_fp_ieee_underflow 0
		.amdhsa_exception_fp_ieee_inexact 0
		.amdhsa_exception_int_div_zero 0
	.end_amdhsa_kernel
	.section	.text._ZN7rocprim17ROCPRIM_400000_NS6detail17trampoline_kernelINS0_14default_configENS1_25partition_config_selectorILNS1_17partition_subalgoE0EiNS0_10empty_typeEbEEZZNS1_14partition_implILS5_0ELb0ES3_jN6thrust23THRUST_200600_302600_NS6detail15normal_iteratorINSA_10device_ptrIiEEEEPS6_SG_NS0_5tupleIJNSA_16discard_iteratorINSA_11use_defaultEEESK_EEENSH_IJSG_SG_EEES6_PlJ7is_evenIiEEEE10hipError_tPvRmT3_T4_T5_T6_T7_T9_mT8_P12ihipStream_tbDpT10_ENKUlT_T0_E_clISt17integral_constantIbLb1EES18_IbLb0EEEEDaS14_S15_EUlS14_E_NS1_11comp_targetILNS1_3genE3ELNS1_11target_archE908ELNS1_3gpuE7ELNS1_3repE0EEENS1_30default_config_static_selectorELNS0_4arch9wavefront6targetE1EEEvT1_,"axG",@progbits,_ZN7rocprim17ROCPRIM_400000_NS6detail17trampoline_kernelINS0_14default_configENS1_25partition_config_selectorILNS1_17partition_subalgoE0EiNS0_10empty_typeEbEEZZNS1_14partition_implILS5_0ELb0ES3_jN6thrust23THRUST_200600_302600_NS6detail15normal_iteratorINSA_10device_ptrIiEEEEPS6_SG_NS0_5tupleIJNSA_16discard_iteratorINSA_11use_defaultEEESK_EEENSH_IJSG_SG_EEES6_PlJ7is_evenIiEEEE10hipError_tPvRmT3_T4_T5_T6_T7_T9_mT8_P12ihipStream_tbDpT10_ENKUlT_T0_E_clISt17integral_constantIbLb1EES18_IbLb0EEEEDaS14_S15_EUlS14_E_NS1_11comp_targetILNS1_3genE3ELNS1_11target_archE908ELNS1_3gpuE7ELNS1_3repE0EEENS1_30default_config_static_selectorELNS0_4arch9wavefront6targetE1EEEvT1_,comdat
.Lfunc_end2702:
	.size	_ZN7rocprim17ROCPRIM_400000_NS6detail17trampoline_kernelINS0_14default_configENS1_25partition_config_selectorILNS1_17partition_subalgoE0EiNS0_10empty_typeEbEEZZNS1_14partition_implILS5_0ELb0ES3_jN6thrust23THRUST_200600_302600_NS6detail15normal_iteratorINSA_10device_ptrIiEEEEPS6_SG_NS0_5tupleIJNSA_16discard_iteratorINSA_11use_defaultEEESK_EEENSH_IJSG_SG_EEES6_PlJ7is_evenIiEEEE10hipError_tPvRmT3_T4_T5_T6_T7_T9_mT8_P12ihipStream_tbDpT10_ENKUlT_T0_E_clISt17integral_constantIbLb1EES18_IbLb0EEEEDaS14_S15_EUlS14_E_NS1_11comp_targetILNS1_3genE3ELNS1_11target_archE908ELNS1_3gpuE7ELNS1_3repE0EEENS1_30default_config_static_selectorELNS0_4arch9wavefront6targetE1EEEvT1_, .Lfunc_end2702-_ZN7rocprim17ROCPRIM_400000_NS6detail17trampoline_kernelINS0_14default_configENS1_25partition_config_selectorILNS1_17partition_subalgoE0EiNS0_10empty_typeEbEEZZNS1_14partition_implILS5_0ELb0ES3_jN6thrust23THRUST_200600_302600_NS6detail15normal_iteratorINSA_10device_ptrIiEEEEPS6_SG_NS0_5tupleIJNSA_16discard_iteratorINSA_11use_defaultEEESK_EEENSH_IJSG_SG_EEES6_PlJ7is_evenIiEEEE10hipError_tPvRmT3_T4_T5_T6_T7_T9_mT8_P12ihipStream_tbDpT10_ENKUlT_T0_E_clISt17integral_constantIbLb1EES18_IbLb0EEEEDaS14_S15_EUlS14_E_NS1_11comp_targetILNS1_3genE3ELNS1_11target_archE908ELNS1_3gpuE7ELNS1_3repE0EEENS1_30default_config_static_selectorELNS0_4arch9wavefront6targetE1EEEvT1_
                                        ; -- End function
	.section	.AMDGPU.csdata,"",@progbits
; Kernel info:
; codeLenInByte = 0
; NumSgprs: 6
; NumVgprs: 0
; NumAgprs: 0
; TotalNumVgprs: 0
; ScratchSize: 0
; MemoryBound: 0
; FloatMode: 240
; IeeeMode: 1
; LDSByteSize: 0 bytes/workgroup (compile time only)
; SGPRBlocks: 0
; VGPRBlocks: 0
; NumSGPRsForWavesPerEU: 6
; NumVGPRsForWavesPerEU: 1
; AccumOffset: 4
; Occupancy: 8
; WaveLimiterHint : 0
; COMPUTE_PGM_RSRC2:SCRATCH_EN: 0
; COMPUTE_PGM_RSRC2:USER_SGPR: 2
; COMPUTE_PGM_RSRC2:TRAP_HANDLER: 0
; COMPUTE_PGM_RSRC2:TGID_X_EN: 1
; COMPUTE_PGM_RSRC2:TGID_Y_EN: 0
; COMPUTE_PGM_RSRC2:TGID_Z_EN: 0
; COMPUTE_PGM_RSRC2:TIDIG_COMP_CNT: 0
; COMPUTE_PGM_RSRC3_GFX90A:ACCUM_OFFSET: 0
; COMPUTE_PGM_RSRC3_GFX90A:TG_SPLIT: 0
	.section	.text._ZN7rocprim17ROCPRIM_400000_NS6detail17trampoline_kernelINS0_14default_configENS1_25partition_config_selectorILNS1_17partition_subalgoE0EiNS0_10empty_typeEbEEZZNS1_14partition_implILS5_0ELb0ES3_jN6thrust23THRUST_200600_302600_NS6detail15normal_iteratorINSA_10device_ptrIiEEEEPS6_SG_NS0_5tupleIJNSA_16discard_iteratorINSA_11use_defaultEEESK_EEENSH_IJSG_SG_EEES6_PlJ7is_evenIiEEEE10hipError_tPvRmT3_T4_T5_T6_T7_T9_mT8_P12ihipStream_tbDpT10_ENKUlT_T0_E_clISt17integral_constantIbLb1EES18_IbLb0EEEEDaS14_S15_EUlS14_E_NS1_11comp_targetILNS1_3genE2ELNS1_11target_archE906ELNS1_3gpuE6ELNS1_3repE0EEENS1_30default_config_static_selectorELNS0_4arch9wavefront6targetE1EEEvT1_,"axG",@progbits,_ZN7rocprim17ROCPRIM_400000_NS6detail17trampoline_kernelINS0_14default_configENS1_25partition_config_selectorILNS1_17partition_subalgoE0EiNS0_10empty_typeEbEEZZNS1_14partition_implILS5_0ELb0ES3_jN6thrust23THRUST_200600_302600_NS6detail15normal_iteratorINSA_10device_ptrIiEEEEPS6_SG_NS0_5tupleIJNSA_16discard_iteratorINSA_11use_defaultEEESK_EEENSH_IJSG_SG_EEES6_PlJ7is_evenIiEEEE10hipError_tPvRmT3_T4_T5_T6_T7_T9_mT8_P12ihipStream_tbDpT10_ENKUlT_T0_E_clISt17integral_constantIbLb1EES18_IbLb0EEEEDaS14_S15_EUlS14_E_NS1_11comp_targetILNS1_3genE2ELNS1_11target_archE906ELNS1_3gpuE6ELNS1_3repE0EEENS1_30default_config_static_selectorELNS0_4arch9wavefront6targetE1EEEvT1_,comdat
	.protected	_ZN7rocprim17ROCPRIM_400000_NS6detail17trampoline_kernelINS0_14default_configENS1_25partition_config_selectorILNS1_17partition_subalgoE0EiNS0_10empty_typeEbEEZZNS1_14partition_implILS5_0ELb0ES3_jN6thrust23THRUST_200600_302600_NS6detail15normal_iteratorINSA_10device_ptrIiEEEEPS6_SG_NS0_5tupleIJNSA_16discard_iteratorINSA_11use_defaultEEESK_EEENSH_IJSG_SG_EEES6_PlJ7is_evenIiEEEE10hipError_tPvRmT3_T4_T5_T6_T7_T9_mT8_P12ihipStream_tbDpT10_ENKUlT_T0_E_clISt17integral_constantIbLb1EES18_IbLb0EEEEDaS14_S15_EUlS14_E_NS1_11comp_targetILNS1_3genE2ELNS1_11target_archE906ELNS1_3gpuE6ELNS1_3repE0EEENS1_30default_config_static_selectorELNS0_4arch9wavefront6targetE1EEEvT1_ ; -- Begin function _ZN7rocprim17ROCPRIM_400000_NS6detail17trampoline_kernelINS0_14default_configENS1_25partition_config_selectorILNS1_17partition_subalgoE0EiNS0_10empty_typeEbEEZZNS1_14partition_implILS5_0ELb0ES3_jN6thrust23THRUST_200600_302600_NS6detail15normal_iteratorINSA_10device_ptrIiEEEEPS6_SG_NS0_5tupleIJNSA_16discard_iteratorINSA_11use_defaultEEESK_EEENSH_IJSG_SG_EEES6_PlJ7is_evenIiEEEE10hipError_tPvRmT3_T4_T5_T6_T7_T9_mT8_P12ihipStream_tbDpT10_ENKUlT_T0_E_clISt17integral_constantIbLb1EES18_IbLb0EEEEDaS14_S15_EUlS14_E_NS1_11comp_targetILNS1_3genE2ELNS1_11target_archE906ELNS1_3gpuE6ELNS1_3repE0EEENS1_30default_config_static_selectorELNS0_4arch9wavefront6targetE1EEEvT1_
	.globl	_ZN7rocprim17ROCPRIM_400000_NS6detail17trampoline_kernelINS0_14default_configENS1_25partition_config_selectorILNS1_17partition_subalgoE0EiNS0_10empty_typeEbEEZZNS1_14partition_implILS5_0ELb0ES3_jN6thrust23THRUST_200600_302600_NS6detail15normal_iteratorINSA_10device_ptrIiEEEEPS6_SG_NS0_5tupleIJNSA_16discard_iteratorINSA_11use_defaultEEESK_EEENSH_IJSG_SG_EEES6_PlJ7is_evenIiEEEE10hipError_tPvRmT3_T4_T5_T6_T7_T9_mT8_P12ihipStream_tbDpT10_ENKUlT_T0_E_clISt17integral_constantIbLb1EES18_IbLb0EEEEDaS14_S15_EUlS14_E_NS1_11comp_targetILNS1_3genE2ELNS1_11target_archE906ELNS1_3gpuE6ELNS1_3repE0EEENS1_30default_config_static_selectorELNS0_4arch9wavefront6targetE1EEEvT1_
	.p2align	8
	.type	_ZN7rocprim17ROCPRIM_400000_NS6detail17trampoline_kernelINS0_14default_configENS1_25partition_config_selectorILNS1_17partition_subalgoE0EiNS0_10empty_typeEbEEZZNS1_14partition_implILS5_0ELb0ES3_jN6thrust23THRUST_200600_302600_NS6detail15normal_iteratorINSA_10device_ptrIiEEEEPS6_SG_NS0_5tupleIJNSA_16discard_iteratorINSA_11use_defaultEEESK_EEENSH_IJSG_SG_EEES6_PlJ7is_evenIiEEEE10hipError_tPvRmT3_T4_T5_T6_T7_T9_mT8_P12ihipStream_tbDpT10_ENKUlT_T0_E_clISt17integral_constantIbLb1EES18_IbLb0EEEEDaS14_S15_EUlS14_E_NS1_11comp_targetILNS1_3genE2ELNS1_11target_archE906ELNS1_3gpuE6ELNS1_3repE0EEENS1_30default_config_static_selectorELNS0_4arch9wavefront6targetE1EEEvT1_,@function
_ZN7rocprim17ROCPRIM_400000_NS6detail17trampoline_kernelINS0_14default_configENS1_25partition_config_selectorILNS1_17partition_subalgoE0EiNS0_10empty_typeEbEEZZNS1_14partition_implILS5_0ELb0ES3_jN6thrust23THRUST_200600_302600_NS6detail15normal_iteratorINSA_10device_ptrIiEEEEPS6_SG_NS0_5tupleIJNSA_16discard_iteratorINSA_11use_defaultEEESK_EEENSH_IJSG_SG_EEES6_PlJ7is_evenIiEEEE10hipError_tPvRmT3_T4_T5_T6_T7_T9_mT8_P12ihipStream_tbDpT10_ENKUlT_T0_E_clISt17integral_constantIbLb1EES18_IbLb0EEEEDaS14_S15_EUlS14_E_NS1_11comp_targetILNS1_3genE2ELNS1_11target_archE906ELNS1_3gpuE6ELNS1_3repE0EEENS1_30default_config_static_selectorELNS0_4arch9wavefront6targetE1EEEvT1_: ; @_ZN7rocprim17ROCPRIM_400000_NS6detail17trampoline_kernelINS0_14default_configENS1_25partition_config_selectorILNS1_17partition_subalgoE0EiNS0_10empty_typeEbEEZZNS1_14partition_implILS5_0ELb0ES3_jN6thrust23THRUST_200600_302600_NS6detail15normal_iteratorINSA_10device_ptrIiEEEEPS6_SG_NS0_5tupleIJNSA_16discard_iteratorINSA_11use_defaultEEESK_EEENSH_IJSG_SG_EEES6_PlJ7is_evenIiEEEE10hipError_tPvRmT3_T4_T5_T6_T7_T9_mT8_P12ihipStream_tbDpT10_ENKUlT_T0_E_clISt17integral_constantIbLb1EES18_IbLb0EEEEDaS14_S15_EUlS14_E_NS1_11comp_targetILNS1_3genE2ELNS1_11target_archE906ELNS1_3gpuE6ELNS1_3repE0EEENS1_30default_config_static_selectorELNS0_4arch9wavefront6targetE1EEEvT1_
; %bb.0:
	.section	.rodata,"a",@progbits
	.p2align	6, 0x0
	.amdhsa_kernel _ZN7rocprim17ROCPRIM_400000_NS6detail17trampoline_kernelINS0_14default_configENS1_25partition_config_selectorILNS1_17partition_subalgoE0EiNS0_10empty_typeEbEEZZNS1_14partition_implILS5_0ELb0ES3_jN6thrust23THRUST_200600_302600_NS6detail15normal_iteratorINSA_10device_ptrIiEEEEPS6_SG_NS0_5tupleIJNSA_16discard_iteratorINSA_11use_defaultEEESK_EEENSH_IJSG_SG_EEES6_PlJ7is_evenIiEEEE10hipError_tPvRmT3_T4_T5_T6_T7_T9_mT8_P12ihipStream_tbDpT10_ENKUlT_T0_E_clISt17integral_constantIbLb1EES18_IbLb0EEEEDaS14_S15_EUlS14_E_NS1_11comp_targetILNS1_3genE2ELNS1_11target_archE906ELNS1_3gpuE6ELNS1_3repE0EEENS1_30default_config_static_selectorELNS0_4arch9wavefront6targetE1EEEvT1_
		.amdhsa_group_segment_fixed_size 0
		.amdhsa_private_segment_fixed_size 0
		.amdhsa_kernarg_size 136
		.amdhsa_user_sgpr_count 2
		.amdhsa_user_sgpr_dispatch_ptr 0
		.amdhsa_user_sgpr_queue_ptr 0
		.amdhsa_user_sgpr_kernarg_segment_ptr 1
		.amdhsa_user_sgpr_dispatch_id 0
		.amdhsa_user_sgpr_kernarg_preload_length 0
		.amdhsa_user_sgpr_kernarg_preload_offset 0
		.amdhsa_user_sgpr_private_segment_size 0
		.amdhsa_uses_dynamic_stack 0
		.amdhsa_enable_private_segment 0
		.amdhsa_system_sgpr_workgroup_id_x 1
		.amdhsa_system_sgpr_workgroup_id_y 0
		.amdhsa_system_sgpr_workgroup_id_z 0
		.amdhsa_system_sgpr_workgroup_info 0
		.amdhsa_system_vgpr_workitem_id 0
		.amdhsa_next_free_vgpr 1
		.amdhsa_next_free_sgpr 0
		.amdhsa_accum_offset 4
		.amdhsa_reserve_vcc 0
		.amdhsa_float_round_mode_32 0
		.amdhsa_float_round_mode_16_64 0
		.amdhsa_float_denorm_mode_32 3
		.amdhsa_float_denorm_mode_16_64 3
		.amdhsa_dx10_clamp 1
		.amdhsa_ieee_mode 1
		.amdhsa_fp16_overflow 0
		.amdhsa_tg_split 0
		.amdhsa_exception_fp_ieee_invalid_op 0
		.amdhsa_exception_fp_denorm_src 0
		.amdhsa_exception_fp_ieee_div_zero 0
		.amdhsa_exception_fp_ieee_overflow 0
		.amdhsa_exception_fp_ieee_underflow 0
		.amdhsa_exception_fp_ieee_inexact 0
		.amdhsa_exception_int_div_zero 0
	.end_amdhsa_kernel
	.section	.text._ZN7rocprim17ROCPRIM_400000_NS6detail17trampoline_kernelINS0_14default_configENS1_25partition_config_selectorILNS1_17partition_subalgoE0EiNS0_10empty_typeEbEEZZNS1_14partition_implILS5_0ELb0ES3_jN6thrust23THRUST_200600_302600_NS6detail15normal_iteratorINSA_10device_ptrIiEEEEPS6_SG_NS0_5tupleIJNSA_16discard_iteratorINSA_11use_defaultEEESK_EEENSH_IJSG_SG_EEES6_PlJ7is_evenIiEEEE10hipError_tPvRmT3_T4_T5_T6_T7_T9_mT8_P12ihipStream_tbDpT10_ENKUlT_T0_E_clISt17integral_constantIbLb1EES18_IbLb0EEEEDaS14_S15_EUlS14_E_NS1_11comp_targetILNS1_3genE2ELNS1_11target_archE906ELNS1_3gpuE6ELNS1_3repE0EEENS1_30default_config_static_selectorELNS0_4arch9wavefront6targetE1EEEvT1_,"axG",@progbits,_ZN7rocprim17ROCPRIM_400000_NS6detail17trampoline_kernelINS0_14default_configENS1_25partition_config_selectorILNS1_17partition_subalgoE0EiNS0_10empty_typeEbEEZZNS1_14partition_implILS5_0ELb0ES3_jN6thrust23THRUST_200600_302600_NS6detail15normal_iteratorINSA_10device_ptrIiEEEEPS6_SG_NS0_5tupleIJNSA_16discard_iteratorINSA_11use_defaultEEESK_EEENSH_IJSG_SG_EEES6_PlJ7is_evenIiEEEE10hipError_tPvRmT3_T4_T5_T6_T7_T9_mT8_P12ihipStream_tbDpT10_ENKUlT_T0_E_clISt17integral_constantIbLb1EES18_IbLb0EEEEDaS14_S15_EUlS14_E_NS1_11comp_targetILNS1_3genE2ELNS1_11target_archE906ELNS1_3gpuE6ELNS1_3repE0EEENS1_30default_config_static_selectorELNS0_4arch9wavefront6targetE1EEEvT1_,comdat
.Lfunc_end2703:
	.size	_ZN7rocprim17ROCPRIM_400000_NS6detail17trampoline_kernelINS0_14default_configENS1_25partition_config_selectorILNS1_17partition_subalgoE0EiNS0_10empty_typeEbEEZZNS1_14partition_implILS5_0ELb0ES3_jN6thrust23THRUST_200600_302600_NS6detail15normal_iteratorINSA_10device_ptrIiEEEEPS6_SG_NS0_5tupleIJNSA_16discard_iteratorINSA_11use_defaultEEESK_EEENSH_IJSG_SG_EEES6_PlJ7is_evenIiEEEE10hipError_tPvRmT3_T4_T5_T6_T7_T9_mT8_P12ihipStream_tbDpT10_ENKUlT_T0_E_clISt17integral_constantIbLb1EES18_IbLb0EEEEDaS14_S15_EUlS14_E_NS1_11comp_targetILNS1_3genE2ELNS1_11target_archE906ELNS1_3gpuE6ELNS1_3repE0EEENS1_30default_config_static_selectorELNS0_4arch9wavefront6targetE1EEEvT1_, .Lfunc_end2703-_ZN7rocprim17ROCPRIM_400000_NS6detail17trampoline_kernelINS0_14default_configENS1_25partition_config_selectorILNS1_17partition_subalgoE0EiNS0_10empty_typeEbEEZZNS1_14partition_implILS5_0ELb0ES3_jN6thrust23THRUST_200600_302600_NS6detail15normal_iteratorINSA_10device_ptrIiEEEEPS6_SG_NS0_5tupleIJNSA_16discard_iteratorINSA_11use_defaultEEESK_EEENSH_IJSG_SG_EEES6_PlJ7is_evenIiEEEE10hipError_tPvRmT3_T4_T5_T6_T7_T9_mT8_P12ihipStream_tbDpT10_ENKUlT_T0_E_clISt17integral_constantIbLb1EES18_IbLb0EEEEDaS14_S15_EUlS14_E_NS1_11comp_targetILNS1_3genE2ELNS1_11target_archE906ELNS1_3gpuE6ELNS1_3repE0EEENS1_30default_config_static_selectorELNS0_4arch9wavefront6targetE1EEEvT1_
                                        ; -- End function
	.section	.AMDGPU.csdata,"",@progbits
; Kernel info:
; codeLenInByte = 0
; NumSgprs: 6
; NumVgprs: 0
; NumAgprs: 0
; TotalNumVgprs: 0
; ScratchSize: 0
; MemoryBound: 0
; FloatMode: 240
; IeeeMode: 1
; LDSByteSize: 0 bytes/workgroup (compile time only)
; SGPRBlocks: 0
; VGPRBlocks: 0
; NumSGPRsForWavesPerEU: 6
; NumVGPRsForWavesPerEU: 1
; AccumOffset: 4
; Occupancy: 8
; WaveLimiterHint : 0
; COMPUTE_PGM_RSRC2:SCRATCH_EN: 0
; COMPUTE_PGM_RSRC2:USER_SGPR: 2
; COMPUTE_PGM_RSRC2:TRAP_HANDLER: 0
; COMPUTE_PGM_RSRC2:TGID_X_EN: 1
; COMPUTE_PGM_RSRC2:TGID_Y_EN: 0
; COMPUTE_PGM_RSRC2:TGID_Z_EN: 0
; COMPUTE_PGM_RSRC2:TIDIG_COMP_CNT: 0
; COMPUTE_PGM_RSRC3_GFX90A:ACCUM_OFFSET: 0
; COMPUTE_PGM_RSRC3_GFX90A:TG_SPLIT: 0
	.section	.text._ZN7rocprim17ROCPRIM_400000_NS6detail17trampoline_kernelINS0_14default_configENS1_25partition_config_selectorILNS1_17partition_subalgoE0EiNS0_10empty_typeEbEEZZNS1_14partition_implILS5_0ELb0ES3_jN6thrust23THRUST_200600_302600_NS6detail15normal_iteratorINSA_10device_ptrIiEEEEPS6_SG_NS0_5tupleIJNSA_16discard_iteratorINSA_11use_defaultEEESK_EEENSH_IJSG_SG_EEES6_PlJ7is_evenIiEEEE10hipError_tPvRmT3_T4_T5_T6_T7_T9_mT8_P12ihipStream_tbDpT10_ENKUlT_T0_E_clISt17integral_constantIbLb1EES18_IbLb0EEEEDaS14_S15_EUlS14_E_NS1_11comp_targetILNS1_3genE10ELNS1_11target_archE1200ELNS1_3gpuE4ELNS1_3repE0EEENS1_30default_config_static_selectorELNS0_4arch9wavefront6targetE1EEEvT1_,"axG",@progbits,_ZN7rocprim17ROCPRIM_400000_NS6detail17trampoline_kernelINS0_14default_configENS1_25partition_config_selectorILNS1_17partition_subalgoE0EiNS0_10empty_typeEbEEZZNS1_14partition_implILS5_0ELb0ES3_jN6thrust23THRUST_200600_302600_NS6detail15normal_iteratorINSA_10device_ptrIiEEEEPS6_SG_NS0_5tupleIJNSA_16discard_iteratorINSA_11use_defaultEEESK_EEENSH_IJSG_SG_EEES6_PlJ7is_evenIiEEEE10hipError_tPvRmT3_T4_T5_T6_T7_T9_mT8_P12ihipStream_tbDpT10_ENKUlT_T0_E_clISt17integral_constantIbLb1EES18_IbLb0EEEEDaS14_S15_EUlS14_E_NS1_11comp_targetILNS1_3genE10ELNS1_11target_archE1200ELNS1_3gpuE4ELNS1_3repE0EEENS1_30default_config_static_selectorELNS0_4arch9wavefront6targetE1EEEvT1_,comdat
	.protected	_ZN7rocprim17ROCPRIM_400000_NS6detail17trampoline_kernelINS0_14default_configENS1_25partition_config_selectorILNS1_17partition_subalgoE0EiNS0_10empty_typeEbEEZZNS1_14partition_implILS5_0ELb0ES3_jN6thrust23THRUST_200600_302600_NS6detail15normal_iteratorINSA_10device_ptrIiEEEEPS6_SG_NS0_5tupleIJNSA_16discard_iteratorINSA_11use_defaultEEESK_EEENSH_IJSG_SG_EEES6_PlJ7is_evenIiEEEE10hipError_tPvRmT3_T4_T5_T6_T7_T9_mT8_P12ihipStream_tbDpT10_ENKUlT_T0_E_clISt17integral_constantIbLb1EES18_IbLb0EEEEDaS14_S15_EUlS14_E_NS1_11comp_targetILNS1_3genE10ELNS1_11target_archE1200ELNS1_3gpuE4ELNS1_3repE0EEENS1_30default_config_static_selectorELNS0_4arch9wavefront6targetE1EEEvT1_ ; -- Begin function _ZN7rocprim17ROCPRIM_400000_NS6detail17trampoline_kernelINS0_14default_configENS1_25partition_config_selectorILNS1_17partition_subalgoE0EiNS0_10empty_typeEbEEZZNS1_14partition_implILS5_0ELb0ES3_jN6thrust23THRUST_200600_302600_NS6detail15normal_iteratorINSA_10device_ptrIiEEEEPS6_SG_NS0_5tupleIJNSA_16discard_iteratorINSA_11use_defaultEEESK_EEENSH_IJSG_SG_EEES6_PlJ7is_evenIiEEEE10hipError_tPvRmT3_T4_T5_T6_T7_T9_mT8_P12ihipStream_tbDpT10_ENKUlT_T0_E_clISt17integral_constantIbLb1EES18_IbLb0EEEEDaS14_S15_EUlS14_E_NS1_11comp_targetILNS1_3genE10ELNS1_11target_archE1200ELNS1_3gpuE4ELNS1_3repE0EEENS1_30default_config_static_selectorELNS0_4arch9wavefront6targetE1EEEvT1_
	.globl	_ZN7rocprim17ROCPRIM_400000_NS6detail17trampoline_kernelINS0_14default_configENS1_25partition_config_selectorILNS1_17partition_subalgoE0EiNS0_10empty_typeEbEEZZNS1_14partition_implILS5_0ELb0ES3_jN6thrust23THRUST_200600_302600_NS6detail15normal_iteratorINSA_10device_ptrIiEEEEPS6_SG_NS0_5tupleIJNSA_16discard_iteratorINSA_11use_defaultEEESK_EEENSH_IJSG_SG_EEES6_PlJ7is_evenIiEEEE10hipError_tPvRmT3_T4_T5_T6_T7_T9_mT8_P12ihipStream_tbDpT10_ENKUlT_T0_E_clISt17integral_constantIbLb1EES18_IbLb0EEEEDaS14_S15_EUlS14_E_NS1_11comp_targetILNS1_3genE10ELNS1_11target_archE1200ELNS1_3gpuE4ELNS1_3repE0EEENS1_30default_config_static_selectorELNS0_4arch9wavefront6targetE1EEEvT1_
	.p2align	8
	.type	_ZN7rocprim17ROCPRIM_400000_NS6detail17trampoline_kernelINS0_14default_configENS1_25partition_config_selectorILNS1_17partition_subalgoE0EiNS0_10empty_typeEbEEZZNS1_14partition_implILS5_0ELb0ES3_jN6thrust23THRUST_200600_302600_NS6detail15normal_iteratorINSA_10device_ptrIiEEEEPS6_SG_NS0_5tupleIJNSA_16discard_iteratorINSA_11use_defaultEEESK_EEENSH_IJSG_SG_EEES6_PlJ7is_evenIiEEEE10hipError_tPvRmT3_T4_T5_T6_T7_T9_mT8_P12ihipStream_tbDpT10_ENKUlT_T0_E_clISt17integral_constantIbLb1EES18_IbLb0EEEEDaS14_S15_EUlS14_E_NS1_11comp_targetILNS1_3genE10ELNS1_11target_archE1200ELNS1_3gpuE4ELNS1_3repE0EEENS1_30default_config_static_selectorELNS0_4arch9wavefront6targetE1EEEvT1_,@function
_ZN7rocprim17ROCPRIM_400000_NS6detail17trampoline_kernelINS0_14default_configENS1_25partition_config_selectorILNS1_17partition_subalgoE0EiNS0_10empty_typeEbEEZZNS1_14partition_implILS5_0ELb0ES3_jN6thrust23THRUST_200600_302600_NS6detail15normal_iteratorINSA_10device_ptrIiEEEEPS6_SG_NS0_5tupleIJNSA_16discard_iteratorINSA_11use_defaultEEESK_EEENSH_IJSG_SG_EEES6_PlJ7is_evenIiEEEE10hipError_tPvRmT3_T4_T5_T6_T7_T9_mT8_P12ihipStream_tbDpT10_ENKUlT_T0_E_clISt17integral_constantIbLb1EES18_IbLb0EEEEDaS14_S15_EUlS14_E_NS1_11comp_targetILNS1_3genE10ELNS1_11target_archE1200ELNS1_3gpuE4ELNS1_3repE0EEENS1_30default_config_static_selectorELNS0_4arch9wavefront6targetE1EEEvT1_: ; @_ZN7rocprim17ROCPRIM_400000_NS6detail17trampoline_kernelINS0_14default_configENS1_25partition_config_selectorILNS1_17partition_subalgoE0EiNS0_10empty_typeEbEEZZNS1_14partition_implILS5_0ELb0ES3_jN6thrust23THRUST_200600_302600_NS6detail15normal_iteratorINSA_10device_ptrIiEEEEPS6_SG_NS0_5tupleIJNSA_16discard_iteratorINSA_11use_defaultEEESK_EEENSH_IJSG_SG_EEES6_PlJ7is_evenIiEEEE10hipError_tPvRmT3_T4_T5_T6_T7_T9_mT8_P12ihipStream_tbDpT10_ENKUlT_T0_E_clISt17integral_constantIbLb1EES18_IbLb0EEEEDaS14_S15_EUlS14_E_NS1_11comp_targetILNS1_3genE10ELNS1_11target_archE1200ELNS1_3gpuE4ELNS1_3repE0EEENS1_30default_config_static_selectorELNS0_4arch9wavefront6targetE1EEEvT1_
; %bb.0:
	.section	.rodata,"a",@progbits
	.p2align	6, 0x0
	.amdhsa_kernel _ZN7rocprim17ROCPRIM_400000_NS6detail17trampoline_kernelINS0_14default_configENS1_25partition_config_selectorILNS1_17partition_subalgoE0EiNS0_10empty_typeEbEEZZNS1_14partition_implILS5_0ELb0ES3_jN6thrust23THRUST_200600_302600_NS6detail15normal_iteratorINSA_10device_ptrIiEEEEPS6_SG_NS0_5tupleIJNSA_16discard_iteratorINSA_11use_defaultEEESK_EEENSH_IJSG_SG_EEES6_PlJ7is_evenIiEEEE10hipError_tPvRmT3_T4_T5_T6_T7_T9_mT8_P12ihipStream_tbDpT10_ENKUlT_T0_E_clISt17integral_constantIbLb1EES18_IbLb0EEEEDaS14_S15_EUlS14_E_NS1_11comp_targetILNS1_3genE10ELNS1_11target_archE1200ELNS1_3gpuE4ELNS1_3repE0EEENS1_30default_config_static_selectorELNS0_4arch9wavefront6targetE1EEEvT1_
		.amdhsa_group_segment_fixed_size 0
		.amdhsa_private_segment_fixed_size 0
		.amdhsa_kernarg_size 136
		.amdhsa_user_sgpr_count 2
		.amdhsa_user_sgpr_dispatch_ptr 0
		.amdhsa_user_sgpr_queue_ptr 0
		.amdhsa_user_sgpr_kernarg_segment_ptr 1
		.amdhsa_user_sgpr_dispatch_id 0
		.amdhsa_user_sgpr_kernarg_preload_length 0
		.amdhsa_user_sgpr_kernarg_preload_offset 0
		.amdhsa_user_sgpr_private_segment_size 0
		.amdhsa_uses_dynamic_stack 0
		.amdhsa_enable_private_segment 0
		.amdhsa_system_sgpr_workgroup_id_x 1
		.amdhsa_system_sgpr_workgroup_id_y 0
		.amdhsa_system_sgpr_workgroup_id_z 0
		.amdhsa_system_sgpr_workgroup_info 0
		.amdhsa_system_vgpr_workitem_id 0
		.amdhsa_next_free_vgpr 1
		.amdhsa_next_free_sgpr 0
		.amdhsa_accum_offset 4
		.amdhsa_reserve_vcc 0
		.amdhsa_float_round_mode_32 0
		.amdhsa_float_round_mode_16_64 0
		.amdhsa_float_denorm_mode_32 3
		.amdhsa_float_denorm_mode_16_64 3
		.amdhsa_dx10_clamp 1
		.amdhsa_ieee_mode 1
		.amdhsa_fp16_overflow 0
		.amdhsa_tg_split 0
		.amdhsa_exception_fp_ieee_invalid_op 0
		.amdhsa_exception_fp_denorm_src 0
		.amdhsa_exception_fp_ieee_div_zero 0
		.amdhsa_exception_fp_ieee_overflow 0
		.amdhsa_exception_fp_ieee_underflow 0
		.amdhsa_exception_fp_ieee_inexact 0
		.amdhsa_exception_int_div_zero 0
	.end_amdhsa_kernel
	.section	.text._ZN7rocprim17ROCPRIM_400000_NS6detail17trampoline_kernelINS0_14default_configENS1_25partition_config_selectorILNS1_17partition_subalgoE0EiNS0_10empty_typeEbEEZZNS1_14partition_implILS5_0ELb0ES3_jN6thrust23THRUST_200600_302600_NS6detail15normal_iteratorINSA_10device_ptrIiEEEEPS6_SG_NS0_5tupleIJNSA_16discard_iteratorINSA_11use_defaultEEESK_EEENSH_IJSG_SG_EEES6_PlJ7is_evenIiEEEE10hipError_tPvRmT3_T4_T5_T6_T7_T9_mT8_P12ihipStream_tbDpT10_ENKUlT_T0_E_clISt17integral_constantIbLb1EES18_IbLb0EEEEDaS14_S15_EUlS14_E_NS1_11comp_targetILNS1_3genE10ELNS1_11target_archE1200ELNS1_3gpuE4ELNS1_3repE0EEENS1_30default_config_static_selectorELNS0_4arch9wavefront6targetE1EEEvT1_,"axG",@progbits,_ZN7rocprim17ROCPRIM_400000_NS6detail17trampoline_kernelINS0_14default_configENS1_25partition_config_selectorILNS1_17partition_subalgoE0EiNS0_10empty_typeEbEEZZNS1_14partition_implILS5_0ELb0ES3_jN6thrust23THRUST_200600_302600_NS6detail15normal_iteratorINSA_10device_ptrIiEEEEPS6_SG_NS0_5tupleIJNSA_16discard_iteratorINSA_11use_defaultEEESK_EEENSH_IJSG_SG_EEES6_PlJ7is_evenIiEEEE10hipError_tPvRmT3_T4_T5_T6_T7_T9_mT8_P12ihipStream_tbDpT10_ENKUlT_T0_E_clISt17integral_constantIbLb1EES18_IbLb0EEEEDaS14_S15_EUlS14_E_NS1_11comp_targetILNS1_3genE10ELNS1_11target_archE1200ELNS1_3gpuE4ELNS1_3repE0EEENS1_30default_config_static_selectorELNS0_4arch9wavefront6targetE1EEEvT1_,comdat
.Lfunc_end2704:
	.size	_ZN7rocprim17ROCPRIM_400000_NS6detail17trampoline_kernelINS0_14default_configENS1_25partition_config_selectorILNS1_17partition_subalgoE0EiNS0_10empty_typeEbEEZZNS1_14partition_implILS5_0ELb0ES3_jN6thrust23THRUST_200600_302600_NS6detail15normal_iteratorINSA_10device_ptrIiEEEEPS6_SG_NS0_5tupleIJNSA_16discard_iteratorINSA_11use_defaultEEESK_EEENSH_IJSG_SG_EEES6_PlJ7is_evenIiEEEE10hipError_tPvRmT3_T4_T5_T6_T7_T9_mT8_P12ihipStream_tbDpT10_ENKUlT_T0_E_clISt17integral_constantIbLb1EES18_IbLb0EEEEDaS14_S15_EUlS14_E_NS1_11comp_targetILNS1_3genE10ELNS1_11target_archE1200ELNS1_3gpuE4ELNS1_3repE0EEENS1_30default_config_static_selectorELNS0_4arch9wavefront6targetE1EEEvT1_, .Lfunc_end2704-_ZN7rocprim17ROCPRIM_400000_NS6detail17trampoline_kernelINS0_14default_configENS1_25partition_config_selectorILNS1_17partition_subalgoE0EiNS0_10empty_typeEbEEZZNS1_14partition_implILS5_0ELb0ES3_jN6thrust23THRUST_200600_302600_NS6detail15normal_iteratorINSA_10device_ptrIiEEEEPS6_SG_NS0_5tupleIJNSA_16discard_iteratorINSA_11use_defaultEEESK_EEENSH_IJSG_SG_EEES6_PlJ7is_evenIiEEEE10hipError_tPvRmT3_T4_T5_T6_T7_T9_mT8_P12ihipStream_tbDpT10_ENKUlT_T0_E_clISt17integral_constantIbLb1EES18_IbLb0EEEEDaS14_S15_EUlS14_E_NS1_11comp_targetILNS1_3genE10ELNS1_11target_archE1200ELNS1_3gpuE4ELNS1_3repE0EEENS1_30default_config_static_selectorELNS0_4arch9wavefront6targetE1EEEvT1_
                                        ; -- End function
	.section	.AMDGPU.csdata,"",@progbits
; Kernel info:
; codeLenInByte = 0
; NumSgprs: 6
; NumVgprs: 0
; NumAgprs: 0
; TotalNumVgprs: 0
; ScratchSize: 0
; MemoryBound: 0
; FloatMode: 240
; IeeeMode: 1
; LDSByteSize: 0 bytes/workgroup (compile time only)
; SGPRBlocks: 0
; VGPRBlocks: 0
; NumSGPRsForWavesPerEU: 6
; NumVGPRsForWavesPerEU: 1
; AccumOffset: 4
; Occupancy: 8
; WaveLimiterHint : 0
; COMPUTE_PGM_RSRC2:SCRATCH_EN: 0
; COMPUTE_PGM_RSRC2:USER_SGPR: 2
; COMPUTE_PGM_RSRC2:TRAP_HANDLER: 0
; COMPUTE_PGM_RSRC2:TGID_X_EN: 1
; COMPUTE_PGM_RSRC2:TGID_Y_EN: 0
; COMPUTE_PGM_RSRC2:TGID_Z_EN: 0
; COMPUTE_PGM_RSRC2:TIDIG_COMP_CNT: 0
; COMPUTE_PGM_RSRC3_GFX90A:ACCUM_OFFSET: 0
; COMPUTE_PGM_RSRC3_GFX90A:TG_SPLIT: 0
	.section	.text._ZN7rocprim17ROCPRIM_400000_NS6detail17trampoline_kernelINS0_14default_configENS1_25partition_config_selectorILNS1_17partition_subalgoE0EiNS0_10empty_typeEbEEZZNS1_14partition_implILS5_0ELb0ES3_jN6thrust23THRUST_200600_302600_NS6detail15normal_iteratorINSA_10device_ptrIiEEEEPS6_SG_NS0_5tupleIJNSA_16discard_iteratorINSA_11use_defaultEEESK_EEENSH_IJSG_SG_EEES6_PlJ7is_evenIiEEEE10hipError_tPvRmT3_T4_T5_T6_T7_T9_mT8_P12ihipStream_tbDpT10_ENKUlT_T0_E_clISt17integral_constantIbLb1EES18_IbLb0EEEEDaS14_S15_EUlS14_E_NS1_11comp_targetILNS1_3genE9ELNS1_11target_archE1100ELNS1_3gpuE3ELNS1_3repE0EEENS1_30default_config_static_selectorELNS0_4arch9wavefront6targetE1EEEvT1_,"axG",@progbits,_ZN7rocprim17ROCPRIM_400000_NS6detail17trampoline_kernelINS0_14default_configENS1_25partition_config_selectorILNS1_17partition_subalgoE0EiNS0_10empty_typeEbEEZZNS1_14partition_implILS5_0ELb0ES3_jN6thrust23THRUST_200600_302600_NS6detail15normal_iteratorINSA_10device_ptrIiEEEEPS6_SG_NS0_5tupleIJNSA_16discard_iteratorINSA_11use_defaultEEESK_EEENSH_IJSG_SG_EEES6_PlJ7is_evenIiEEEE10hipError_tPvRmT3_T4_T5_T6_T7_T9_mT8_P12ihipStream_tbDpT10_ENKUlT_T0_E_clISt17integral_constantIbLb1EES18_IbLb0EEEEDaS14_S15_EUlS14_E_NS1_11comp_targetILNS1_3genE9ELNS1_11target_archE1100ELNS1_3gpuE3ELNS1_3repE0EEENS1_30default_config_static_selectorELNS0_4arch9wavefront6targetE1EEEvT1_,comdat
	.protected	_ZN7rocprim17ROCPRIM_400000_NS6detail17trampoline_kernelINS0_14default_configENS1_25partition_config_selectorILNS1_17partition_subalgoE0EiNS0_10empty_typeEbEEZZNS1_14partition_implILS5_0ELb0ES3_jN6thrust23THRUST_200600_302600_NS6detail15normal_iteratorINSA_10device_ptrIiEEEEPS6_SG_NS0_5tupleIJNSA_16discard_iteratorINSA_11use_defaultEEESK_EEENSH_IJSG_SG_EEES6_PlJ7is_evenIiEEEE10hipError_tPvRmT3_T4_T5_T6_T7_T9_mT8_P12ihipStream_tbDpT10_ENKUlT_T0_E_clISt17integral_constantIbLb1EES18_IbLb0EEEEDaS14_S15_EUlS14_E_NS1_11comp_targetILNS1_3genE9ELNS1_11target_archE1100ELNS1_3gpuE3ELNS1_3repE0EEENS1_30default_config_static_selectorELNS0_4arch9wavefront6targetE1EEEvT1_ ; -- Begin function _ZN7rocprim17ROCPRIM_400000_NS6detail17trampoline_kernelINS0_14default_configENS1_25partition_config_selectorILNS1_17partition_subalgoE0EiNS0_10empty_typeEbEEZZNS1_14partition_implILS5_0ELb0ES3_jN6thrust23THRUST_200600_302600_NS6detail15normal_iteratorINSA_10device_ptrIiEEEEPS6_SG_NS0_5tupleIJNSA_16discard_iteratorINSA_11use_defaultEEESK_EEENSH_IJSG_SG_EEES6_PlJ7is_evenIiEEEE10hipError_tPvRmT3_T4_T5_T6_T7_T9_mT8_P12ihipStream_tbDpT10_ENKUlT_T0_E_clISt17integral_constantIbLb1EES18_IbLb0EEEEDaS14_S15_EUlS14_E_NS1_11comp_targetILNS1_3genE9ELNS1_11target_archE1100ELNS1_3gpuE3ELNS1_3repE0EEENS1_30default_config_static_selectorELNS0_4arch9wavefront6targetE1EEEvT1_
	.globl	_ZN7rocprim17ROCPRIM_400000_NS6detail17trampoline_kernelINS0_14default_configENS1_25partition_config_selectorILNS1_17partition_subalgoE0EiNS0_10empty_typeEbEEZZNS1_14partition_implILS5_0ELb0ES3_jN6thrust23THRUST_200600_302600_NS6detail15normal_iteratorINSA_10device_ptrIiEEEEPS6_SG_NS0_5tupleIJNSA_16discard_iteratorINSA_11use_defaultEEESK_EEENSH_IJSG_SG_EEES6_PlJ7is_evenIiEEEE10hipError_tPvRmT3_T4_T5_T6_T7_T9_mT8_P12ihipStream_tbDpT10_ENKUlT_T0_E_clISt17integral_constantIbLb1EES18_IbLb0EEEEDaS14_S15_EUlS14_E_NS1_11comp_targetILNS1_3genE9ELNS1_11target_archE1100ELNS1_3gpuE3ELNS1_3repE0EEENS1_30default_config_static_selectorELNS0_4arch9wavefront6targetE1EEEvT1_
	.p2align	8
	.type	_ZN7rocprim17ROCPRIM_400000_NS6detail17trampoline_kernelINS0_14default_configENS1_25partition_config_selectorILNS1_17partition_subalgoE0EiNS0_10empty_typeEbEEZZNS1_14partition_implILS5_0ELb0ES3_jN6thrust23THRUST_200600_302600_NS6detail15normal_iteratorINSA_10device_ptrIiEEEEPS6_SG_NS0_5tupleIJNSA_16discard_iteratorINSA_11use_defaultEEESK_EEENSH_IJSG_SG_EEES6_PlJ7is_evenIiEEEE10hipError_tPvRmT3_T4_T5_T6_T7_T9_mT8_P12ihipStream_tbDpT10_ENKUlT_T0_E_clISt17integral_constantIbLb1EES18_IbLb0EEEEDaS14_S15_EUlS14_E_NS1_11comp_targetILNS1_3genE9ELNS1_11target_archE1100ELNS1_3gpuE3ELNS1_3repE0EEENS1_30default_config_static_selectorELNS0_4arch9wavefront6targetE1EEEvT1_,@function
_ZN7rocprim17ROCPRIM_400000_NS6detail17trampoline_kernelINS0_14default_configENS1_25partition_config_selectorILNS1_17partition_subalgoE0EiNS0_10empty_typeEbEEZZNS1_14partition_implILS5_0ELb0ES3_jN6thrust23THRUST_200600_302600_NS6detail15normal_iteratorINSA_10device_ptrIiEEEEPS6_SG_NS0_5tupleIJNSA_16discard_iteratorINSA_11use_defaultEEESK_EEENSH_IJSG_SG_EEES6_PlJ7is_evenIiEEEE10hipError_tPvRmT3_T4_T5_T6_T7_T9_mT8_P12ihipStream_tbDpT10_ENKUlT_T0_E_clISt17integral_constantIbLb1EES18_IbLb0EEEEDaS14_S15_EUlS14_E_NS1_11comp_targetILNS1_3genE9ELNS1_11target_archE1100ELNS1_3gpuE3ELNS1_3repE0EEENS1_30default_config_static_selectorELNS0_4arch9wavefront6targetE1EEEvT1_: ; @_ZN7rocprim17ROCPRIM_400000_NS6detail17trampoline_kernelINS0_14default_configENS1_25partition_config_selectorILNS1_17partition_subalgoE0EiNS0_10empty_typeEbEEZZNS1_14partition_implILS5_0ELb0ES3_jN6thrust23THRUST_200600_302600_NS6detail15normal_iteratorINSA_10device_ptrIiEEEEPS6_SG_NS0_5tupleIJNSA_16discard_iteratorINSA_11use_defaultEEESK_EEENSH_IJSG_SG_EEES6_PlJ7is_evenIiEEEE10hipError_tPvRmT3_T4_T5_T6_T7_T9_mT8_P12ihipStream_tbDpT10_ENKUlT_T0_E_clISt17integral_constantIbLb1EES18_IbLb0EEEEDaS14_S15_EUlS14_E_NS1_11comp_targetILNS1_3genE9ELNS1_11target_archE1100ELNS1_3gpuE3ELNS1_3repE0EEENS1_30default_config_static_selectorELNS0_4arch9wavefront6targetE1EEEvT1_
; %bb.0:
	.section	.rodata,"a",@progbits
	.p2align	6, 0x0
	.amdhsa_kernel _ZN7rocprim17ROCPRIM_400000_NS6detail17trampoline_kernelINS0_14default_configENS1_25partition_config_selectorILNS1_17partition_subalgoE0EiNS0_10empty_typeEbEEZZNS1_14partition_implILS5_0ELb0ES3_jN6thrust23THRUST_200600_302600_NS6detail15normal_iteratorINSA_10device_ptrIiEEEEPS6_SG_NS0_5tupleIJNSA_16discard_iteratorINSA_11use_defaultEEESK_EEENSH_IJSG_SG_EEES6_PlJ7is_evenIiEEEE10hipError_tPvRmT3_T4_T5_T6_T7_T9_mT8_P12ihipStream_tbDpT10_ENKUlT_T0_E_clISt17integral_constantIbLb1EES18_IbLb0EEEEDaS14_S15_EUlS14_E_NS1_11comp_targetILNS1_3genE9ELNS1_11target_archE1100ELNS1_3gpuE3ELNS1_3repE0EEENS1_30default_config_static_selectorELNS0_4arch9wavefront6targetE1EEEvT1_
		.amdhsa_group_segment_fixed_size 0
		.amdhsa_private_segment_fixed_size 0
		.amdhsa_kernarg_size 136
		.amdhsa_user_sgpr_count 2
		.amdhsa_user_sgpr_dispatch_ptr 0
		.amdhsa_user_sgpr_queue_ptr 0
		.amdhsa_user_sgpr_kernarg_segment_ptr 1
		.amdhsa_user_sgpr_dispatch_id 0
		.amdhsa_user_sgpr_kernarg_preload_length 0
		.amdhsa_user_sgpr_kernarg_preload_offset 0
		.amdhsa_user_sgpr_private_segment_size 0
		.amdhsa_uses_dynamic_stack 0
		.amdhsa_enable_private_segment 0
		.amdhsa_system_sgpr_workgroup_id_x 1
		.amdhsa_system_sgpr_workgroup_id_y 0
		.amdhsa_system_sgpr_workgroup_id_z 0
		.amdhsa_system_sgpr_workgroup_info 0
		.amdhsa_system_vgpr_workitem_id 0
		.amdhsa_next_free_vgpr 1
		.amdhsa_next_free_sgpr 0
		.amdhsa_accum_offset 4
		.amdhsa_reserve_vcc 0
		.amdhsa_float_round_mode_32 0
		.amdhsa_float_round_mode_16_64 0
		.amdhsa_float_denorm_mode_32 3
		.amdhsa_float_denorm_mode_16_64 3
		.amdhsa_dx10_clamp 1
		.amdhsa_ieee_mode 1
		.amdhsa_fp16_overflow 0
		.amdhsa_tg_split 0
		.amdhsa_exception_fp_ieee_invalid_op 0
		.amdhsa_exception_fp_denorm_src 0
		.amdhsa_exception_fp_ieee_div_zero 0
		.amdhsa_exception_fp_ieee_overflow 0
		.amdhsa_exception_fp_ieee_underflow 0
		.amdhsa_exception_fp_ieee_inexact 0
		.amdhsa_exception_int_div_zero 0
	.end_amdhsa_kernel
	.section	.text._ZN7rocprim17ROCPRIM_400000_NS6detail17trampoline_kernelINS0_14default_configENS1_25partition_config_selectorILNS1_17partition_subalgoE0EiNS0_10empty_typeEbEEZZNS1_14partition_implILS5_0ELb0ES3_jN6thrust23THRUST_200600_302600_NS6detail15normal_iteratorINSA_10device_ptrIiEEEEPS6_SG_NS0_5tupleIJNSA_16discard_iteratorINSA_11use_defaultEEESK_EEENSH_IJSG_SG_EEES6_PlJ7is_evenIiEEEE10hipError_tPvRmT3_T4_T5_T6_T7_T9_mT8_P12ihipStream_tbDpT10_ENKUlT_T0_E_clISt17integral_constantIbLb1EES18_IbLb0EEEEDaS14_S15_EUlS14_E_NS1_11comp_targetILNS1_3genE9ELNS1_11target_archE1100ELNS1_3gpuE3ELNS1_3repE0EEENS1_30default_config_static_selectorELNS0_4arch9wavefront6targetE1EEEvT1_,"axG",@progbits,_ZN7rocprim17ROCPRIM_400000_NS6detail17trampoline_kernelINS0_14default_configENS1_25partition_config_selectorILNS1_17partition_subalgoE0EiNS0_10empty_typeEbEEZZNS1_14partition_implILS5_0ELb0ES3_jN6thrust23THRUST_200600_302600_NS6detail15normal_iteratorINSA_10device_ptrIiEEEEPS6_SG_NS0_5tupleIJNSA_16discard_iteratorINSA_11use_defaultEEESK_EEENSH_IJSG_SG_EEES6_PlJ7is_evenIiEEEE10hipError_tPvRmT3_T4_T5_T6_T7_T9_mT8_P12ihipStream_tbDpT10_ENKUlT_T0_E_clISt17integral_constantIbLb1EES18_IbLb0EEEEDaS14_S15_EUlS14_E_NS1_11comp_targetILNS1_3genE9ELNS1_11target_archE1100ELNS1_3gpuE3ELNS1_3repE0EEENS1_30default_config_static_selectorELNS0_4arch9wavefront6targetE1EEEvT1_,comdat
.Lfunc_end2705:
	.size	_ZN7rocprim17ROCPRIM_400000_NS6detail17trampoline_kernelINS0_14default_configENS1_25partition_config_selectorILNS1_17partition_subalgoE0EiNS0_10empty_typeEbEEZZNS1_14partition_implILS5_0ELb0ES3_jN6thrust23THRUST_200600_302600_NS6detail15normal_iteratorINSA_10device_ptrIiEEEEPS6_SG_NS0_5tupleIJNSA_16discard_iteratorINSA_11use_defaultEEESK_EEENSH_IJSG_SG_EEES6_PlJ7is_evenIiEEEE10hipError_tPvRmT3_T4_T5_T6_T7_T9_mT8_P12ihipStream_tbDpT10_ENKUlT_T0_E_clISt17integral_constantIbLb1EES18_IbLb0EEEEDaS14_S15_EUlS14_E_NS1_11comp_targetILNS1_3genE9ELNS1_11target_archE1100ELNS1_3gpuE3ELNS1_3repE0EEENS1_30default_config_static_selectorELNS0_4arch9wavefront6targetE1EEEvT1_, .Lfunc_end2705-_ZN7rocprim17ROCPRIM_400000_NS6detail17trampoline_kernelINS0_14default_configENS1_25partition_config_selectorILNS1_17partition_subalgoE0EiNS0_10empty_typeEbEEZZNS1_14partition_implILS5_0ELb0ES3_jN6thrust23THRUST_200600_302600_NS6detail15normal_iteratorINSA_10device_ptrIiEEEEPS6_SG_NS0_5tupleIJNSA_16discard_iteratorINSA_11use_defaultEEESK_EEENSH_IJSG_SG_EEES6_PlJ7is_evenIiEEEE10hipError_tPvRmT3_T4_T5_T6_T7_T9_mT8_P12ihipStream_tbDpT10_ENKUlT_T0_E_clISt17integral_constantIbLb1EES18_IbLb0EEEEDaS14_S15_EUlS14_E_NS1_11comp_targetILNS1_3genE9ELNS1_11target_archE1100ELNS1_3gpuE3ELNS1_3repE0EEENS1_30default_config_static_selectorELNS0_4arch9wavefront6targetE1EEEvT1_
                                        ; -- End function
	.section	.AMDGPU.csdata,"",@progbits
; Kernel info:
; codeLenInByte = 0
; NumSgprs: 6
; NumVgprs: 0
; NumAgprs: 0
; TotalNumVgprs: 0
; ScratchSize: 0
; MemoryBound: 0
; FloatMode: 240
; IeeeMode: 1
; LDSByteSize: 0 bytes/workgroup (compile time only)
; SGPRBlocks: 0
; VGPRBlocks: 0
; NumSGPRsForWavesPerEU: 6
; NumVGPRsForWavesPerEU: 1
; AccumOffset: 4
; Occupancy: 8
; WaveLimiterHint : 0
; COMPUTE_PGM_RSRC2:SCRATCH_EN: 0
; COMPUTE_PGM_RSRC2:USER_SGPR: 2
; COMPUTE_PGM_RSRC2:TRAP_HANDLER: 0
; COMPUTE_PGM_RSRC2:TGID_X_EN: 1
; COMPUTE_PGM_RSRC2:TGID_Y_EN: 0
; COMPUTE_PGM_RSRC2:TGID_Z_EN: 0
; COMPUTE_PGM_RSRC2:TIDIG_COMP_CNT: 0
; COMPUTE_PGM_RSRC3_GFX90A:ACCUM_OFFSET: 0
; COMPUTE_PGM_RSRC3_GFX90A:TG_SPLIT: 0
	.section	.text._ZN7rocprim17ROCPRIM_400000_NS6detail17trampoline_kernelINS0_14default_configENS1_25partition_config_selectorILNS1_17partition_subalgoE0EiNS0_10empty_typeEbEEZZNS1_14partition_implILS5_0ELb0ES3_jN6thrust23THRUST_200600_302600_NS6detail15normal_iteratorINSA_10device_ptrIiEEEEPS6_SG_NS0_5tupleIJNSA_16discard_iteratorINSA_11use_defaultEEESK_EEENSH_IJSG_SG_EEES6_PlJ7is_evenIiEEEE10hipError_tPvRmT3_T4_T5_T6_T7_T9_mT8_P12ihipStream_tbDpT10_ENKUlT_T0_E_clISt17integral_constantIbLb1EES18_IbLb0EEEEDaS14_S15_EUlS14_E_NS1_11comp_targetILNS1_3genE8ELNS1_11target_archE1030ELNS1_3gpuE2ELNS1_3repE0EEENS1_30default_config_static_selectorELNS0_4arch9wavefront6targetE1EEEvT1_,"axG",@progbits,_ZN7rocprim17ROCPRIM_400000_NS6detail17trampoline_kernelINS0_14default_configENS1_25partition_config_selectorILNS1_17partition_subalgoE0EiNS0_10empty_typeEbEEZZNS1_14partition_implILS5_0ELb0ES3_jN6thrust23THRUST_200600_302600_NS6detail15normal_iteratorINSA_10device_ptrIiEEEEPS6_SG_NS0_5tupleIJNSA_16discard_iteratorINSA_11use_defaultEEESK_EEENSH_IJSG_SG_EEES6_PlJ7is_evenIiEEEE10hipError_tPvRmT3_T4_T5_T6_T7_T9_mT8_P12ihipStream_tbDpT10_ENKUlT_T0_E_clISt17integral_constantIbLb1EES18_IbLb0EEEEDaS14_S15_EUlS14_E_NS1_11comp_targetILNS1_3genE8ELNS1_11target_archE1030ELNS1_3gpuE2ELNS1_3repE0EEENS1_30default_config_static_selectorELNS0_4arch9wavefront6targetE1EEEvT1_,comdat
	.protected	_ZN7rocprim17ROCPRIM_400000_NS6detail17trampoline_kernelINS0_14default_configENS1_25partition_config_selectorILNS1_17partition_subalgoE0EiNS0_10empty_typeEbEEZZNS1_14partition_implILS5_0ELb0ES3_jN6thrust23THRUST_200600_302600_NS6detail15normal_iteratorINSA_10device_ptrIiEEEEPS6_SG_NS0_5tupleIJNSA_16discard_iteratorINSA_11use_defaultEEESK_EEENSH_IJSG_SG_EEES6_PlJ7is_evenIiEEEE10hipError_tPvRmT3_T4_T5_T6_T7_T9_mT8_P12ihipStream_tbDpT10_ENKUlT_T0_E_clISt17integral_constantIbLb1EES18_IbLb0EEEEDaS14_S15_EUlS14_E_NS1_11comp_targetILNS1_3genE8ELNS1_11target_archE1030ELNS1_3gpuE2ELNS1_3repE0EEENS1_30default_config_static_selectorELNS0_4arch9wavefront6targetE1EEEvT1_ ; -- Begin function _ZN7rocprim17ROCPRIM_400000_NS6detail17trampoline_kernelINS0_14default_configENS1_25partition_config_selectorILNS1_17partition_subalgoE0EiNS0_10empty_typeEbEEZZNS1_14partition_implILS5_0ELb0ES3_jN6thrust23THRUST_200600_302600_NS6detail15normal_iteratorINSA_10device_ptrIiEEEEPS6_SG_NS0_5tupleIJNSA_16discard_iteratorINSA_11use_defaultEEESK_EEENSH_IJSG_SG_EEES6_PlJ7is_evenIiEEEE10hipError_tPvRmT3_T4_T5_T6_T7_T9_mT8_P12ihipStream_tbDpT10_ENKUlT_T0_E_clISt17integral_constantIbLb1EES18_IbLb0EEEEDaS14_S15_EUlS14_E_NS1_11comp_targetILNS1_3genE8ELNS1_11target_archE1030ELNS1_3gpuE2ELNS1_3repE0EEENS1_30default_config_static_selectorELNS0_4arch9wavefront6targetE1EEEvT1_
	.globl	_ZN7rocprim17ROCPRIM_400000_NS6detail17trampoline_kernelINS0_14default_configENS1_25partition_config_selectorILNS1_17partition_subalgoE0EiNS0_10empty_typeEbEEZZNS1_14partition_implILS5_0ELb0ES3_jN6thrust23THRUST_200600_302600_NS6detail15normal_iteratorINSA_10device_ptrIiEEEEPS6_SG_NS0_5tupleIJNSA_16discard_iteratorINSA_11use_defaultEEESK_EEENSH_IJSG_SG_EEES6_PlJ7is_evenIiEEEE10hipError_tPvRmT3_T4_T5_T6_T7_T9_mT8_P12ihipStream_tbDpT10_ENKUlT_T0_E_clISt17integral_constantIbLb1EES18_IbLb0EEEEDaS14_S15_EUlS14_E_NS1_11comp_targetILNS1_3genE8ELNS1_11target_archE1030ELNS1_3gpuE2ELNS1_3repE0EEENS1_30default_config_static_selectorELNS0_4arch9wavefront6targetE1EEEvT1_
	.p2align	8
	.type	_ZN7rocprim17ROCPRIM_400000_NS6detail17trampoline_kernelINS0_14default_configENS1_25partition_config_selectorILNS1_17partition_subalgoE0EiNS0_10empty_typeEbEEZZNS1_14partition_implILS5_0ELb0ES3_jN6thrust23THRUST_200600_302600_NS6detail15normal_iteratorINSA_10device_ptrIiEEEEPS6_SG_NS0_5tupleIJNSA_16discard_iteratorINSA_11use_defaultEEESK_EEENSH_IJSG_SG_EEES6_PlJ7is_evenIiEEEE10hipError_tPvRmT3_T4_T5_T6_T7_T9_mT8_P12ihipStream_tbDpT10_ENKUlT_T0_E_clISt17integral_constantIbLb1EES18_IbLb0EEEEDaS14_S15_EUlS14_E_NS1_11comp_targetILNS1_3genE8ELNS1_11target_archE1030ELNS1_3gpuE2ELNS1_3repE0EEENS1_30default_config_static_selectorELNS0_4arch9wavefront6targetE1EEEvT1_,@function
_ZN7rocprim17ROCPRIM_400000_NS6detail17trampoline_kernelINS0_14default_configENS1_25partition_config_selectorILNS1_17partition_subalgoE0EiNS0_10empty_typeEbEEZZNS1_14partition_implILS5_0ELb0ES3_jN6thrust23THRUST_200600_302600_NS6detail15normal_iteratorINSA_10device_ptrIiEEEEPS6_SG_NS0_5tupleIJNSA_16discard_iteratorINSA_11use_defaultEEESK_EEENSH_IJSG_SG_EEES6_PlJ7is_evenIiEEEE10hipError_tPvRmT3_T4_T5_T6_T7_T9_mT8_P12ihipStream_tbDpT10_ENKUlT_T0_E_clISt17integral_constantIbLb1EES18_IbLb0EEEEDaS14_S15_EUlS14_E_NS1_11comp_targetILNS1_3genE8ELNS1_11target_archE1030ELNS1_3gpuE2ELNS1_3repE0EEENS1_30default_config_static_selectorELNS0_4arch9wavefront6targetE1EEEvT1_: ; @_ZN7rocprim17ROCPRIM_400000_NS6detail17trampoline_kernelINS0_14default_configENS1_25partition_config_selectorILNS1_17partition_subalgoE0EiNS0_10empty_typeEbEEZZNS1_14partition_implILS5_0ELb0ES3_jN6thrust23THRUST_200600_302600_NS6detail15normal_iteratorINSA_10device_ptrIiEEEEPS6_SG_NS0_5tupleIJNSA_16discard_iteratorINSA_11use_defaultEEESK_EEENSH_IJSG_SG_EEES6_PlJ7is_evenIiEEEE10hipError_tPvRmT3_T4_T5_T6_T7_T9_mT8_P12ihipStream_tbDpT10_ENKUlT_T0_E_clISt17integral_constantIbLb1EES18_IbLb0EEEEDaS14_S15_EUlS14_E_NS1_11comp_targetILNS1_3genE8ELNS1_11target_archE1030ELNS1_3gpuE2ELNS1_3repE0EEENS1_30default_config_static_selectorELNS0_4arch9wavefront6targetE1EEEvT1_
; %bb.0:
	.section	.rodata,"a",@progbits
	.p2align	6, 0x0
	.amdhsa_kernel _ZN7rocprim17ROCPRIM_400000_NS6detail17trampoline_kernelINS0_14default_configENS1_25partition_config_selectorILNS1_17partition_subalgoE0EiNS0_10empty_typeEbEEZZNS1_14partition_implILS5_0ELb0ES3_jN6thrust23THRUST_200600_302600_NS6detail15normal_iteratorINSA_10device_ptrIiEEEEPS6_SG_NS0_5tupleIJNSA_16discard_iteratorINSA_11use_defaultEEESK_EEENSH_IJSG_SG_EEES6_PlJ7is_evenIiEEEE10hipError_tPvRmT3_T4_T5_T6_T7_T9_mT8_P12ihipStream_tbDpT10_ENKUlT_T0_E_clISt17integral_constantIbLb1EES18_IbLb0EEEEDaS14_S15_EUlS14_E_NS1_11comp_targetILNS1_3genE8ELNS1_11target_archE1030ELNS1_3gpuE2ELNS1_3repE0EEENS1_30default_config_static_selectorELNS0_4arch9wavefront6targetE1EEEvT1_
		.amdhsa_group_segment_fixed_size 0
		.amdhsa_private_segment_fixed_size 0
		.amdhsa_kernarg_size 136
		.amdhsa_user_sgpr_count 2
		.amdhsa_user_sgpr_dispatch_ptr 0
		.amdhsa_user_sgpr_queue_ptr 0
		.amdhsa_user_sgpr_kernarg_segment_ptr 1
		.amdhsa_user_sgpr_dispatch_id 0
		.amdhsa_user_sgpr_kernarg_preload_length 0
		.amdhsa_user_sgpr_kernarg_preload_offset 0
		.amdhsa_user_sgpr_private_segment_size 0
		.amdhsa_uses_dynamic_stack 0
		.amdhsa_enable_private_segment 0
		.amdhsa_system_sgpr_workgroup_id_x 1
		.amdhsa_system_sgpr_workgroup_id_y 0
		.amdhsa_system_sgpr_workgroup_id_z 0
		.amdhsa_system_sgpr_workgroup_info 0
		.amdhsa_system_vgpr_workitem_id 0
		.amdhsa_next_free_vgpr 1
		.amdhsa_next_free_sgpr 0
		.amdhsa_accum_offset 4
		.amdhsa_reserve_vcc 0
		.amdhsa_float_round_mode_32 0
		.amdhsa_float_round_mode_16_64 0
		.amdhsa_float_denorm_mode_32 3
		.amdhsa_float_denorm_mode_16_64 3
		.amdhsa_dx10_clamp 1
		.amdhsa_ieee_mode 1
		.amdhsa_fp16_overflow 0
		.amdhsa_tg_split 0
		.amdhsa_exception_fp_ieee_invalid_op 0
		.amdhsa_exception_fp_denorm_src 0
		.amdhsa_exception_fp_ieee_div_zero 0
		.amdhsa_exception_fp_ieee_overflow 0
		.amdhsa_exception_fp_ieee_underflow 0
		.amdhsa_exception_fp_ieee_inexact 0
		.amdhsa_exception_int_div_zero 0
	.end_amdhsa_kernel
	.section	.text._ZN7rocprim17ROCPRIM_400000_NS6detail17trampoline_kernelINS0_14default_configENS1_25partition_config_selectorILNS1_17partition_subalgoE0EiNS0_10empty_typeEbEEZZNS1_14partition_implILS5_0ELb0ES3_jN6thrust23THRUST_200600_302600_NS6detail15normal_iteratorINSA_10device_ptrIiEEEEPS6_SG_NS0_5tupleIJNSA_16discard_iteratorINSA_11use_defaultEEESK_EEENSH_IJSG_SG_EEES6_PlJ7is_evenIiEEEE10hipError_tPvRmT3_T4_T5_T6_T7_T9_mT8_P12ihipStream_tbDpT10_ENKUlT_T0_E_clISt17integral_constantIbLb1EES18_IbLb0EEEEDaS14_S15_EUlS14_E_NS1_11comp_targetILNS1_3genE8ELNS1_11target_archE1030ELNS1_3gpuE2ELNS1_3repE0EEENS1_30default_config_static_selectorELNS0_4arch9wavefront6targetE1EEEvT1_,"axG",@progbits,_ZN7rocprim17ROCPRIM_400000_NS6detail17trampoline_kernelINS0_14default_configENS1_25partition_config_selectorILNS1_17partition_subalgoE0EiNS0_10empty_typeEbEEZZNS1_14partition_implILS5_0ELb0ES3_jN6thrust23THRUST_200600_302600_NS6detail15normal_iteratorINSA_10device_ptrIiEEEEPS6_SG_NS0_5tupleIJNSA_16discard_iteratorINSA_11use_defaultEEESK_EEENSH_IJSG_SG_EEES6_PlJ7is_evenIiEEEE10hipError_tPvRmT3_T4_T5_T6_T7_T9_mT8_P12ihipStream_tbDpT10_ENKUlT_T0_E_clISt17integral_constantIbLb1EES18_IbLb0EEEEDaS14_S15_EUlS14_E_NS1_11comp_targetILNS1_3genE8ELNS1_11target_archE1030ELNS1_3gpuE2ELNS1_3repE0EEENS1_30default_config_static_selectorELNS0_4arch9wavefront6targetE1EEEvT1_,comdat
.Lfunc_end2706:
	.size	_ZN7rocprim17ROCPRIM_400000_NS6detail17trampoline_kernelINS0_14default_configENS1_25partition_config_selectorILNS1_17partition_subalgoE0EiNS0_10empty_typeEbEEZZNS1_14partition_implILS5_0ELb0ES3_jN6thrust23THRUST_200600_302600_NS6detail15normal_iteratorINSA_10device_ptrIiEEEEPS6_SG_NS0_5tupleIJNSA_16discard_iteratorINSA_11use_defaultEEESK_EEENSH_IJSG_SG_EEES6_PlJ7is_evenIiEEEE10hipError_tPvRmT3_T4_T5_T6_T7_T9_mT8_P12ihipStream_tbDpT10_ENKUlT_T0_E_clISt17integral_constantIbLb1EES18_IbLb0EEEEDaS14_S15_EUlS14_E_NS1_11comp_targetILNS1_3genE8ELNS1_11target_archE1030ELNS1_3gpuE2ELNS1_3repE0EEENS1_30default_config_static_selectorELNS0_4arch9wavefront6targetE1EEEvT1_, .Lfunc_end2706-_ZN7rocprim17ROCPRIM_400000_NS6detail17trampoline_kernelINS0_14default_configENS1_25partition_config_selectorILNS1_17partition_subalgoE0EiNS0_10empty_typeEbEEZZNS1_14partition_implILS5_0ELb0ES3_jN6thrust23THRUST_200600_302600_NS6detail15normal_iteratorINSA_10device_ptrIiEEEEPS6_SG_NS0_5tupleIJNSA_16discard_iteratorINSA_11use_defaultEEESK_EEENSH_IJSG_SG_EEES6_PlJ7is_evenIiEEEE10hipError_tPvRmT3_T4_T5_T6_T7_T9_mT8_P12ihipStream_tbDpT10_ENKUlT_T0_E_clISt17integral_constantIbLb1EES18_IbLb0EEEEDaS14_S15_EUlS14_E_NS1_11comp_targetILNS1_3genE8ELNS1_11target_archE1030ELNS1_3gpuE2ELNS1_3repE0EEENS1_30default_config_static_selectorELNS0_4arch9wavefront6targetE1EEEvT1_
                                        ; -- End function
	.section	.AMDGPU.csdata,"",@progbits
; Kernel info:
; codeLenInByte = 0
; NumSgprs: 6
; NumVgprs: 0
; NumAgprs: 0
; TotalNumVgprs: 0
; ScratchSize: 0
; MemoryBound: 0
; FloatMode: 240
; IeeeMode: 1
; LDSByteSize: 0 bytes/workgroup (compile time only)
; SGPRBlocks: 0
; VGPRBlocks: 0
; NumSGPRsForWavesPerEU: 6
; NumVGPRsForWavesPerEU: 1
; AccumOffset: 4
; Occupancy: 8
; WaveLimiterHint : 0
; COMPUTE_PGM_RSRC2:SCRATCH_EN: 0
; COMPUTE_PGM_RSRC2:USER_SGPR: 2
; COMPUTE_PGM_RSRC2:TRAP_HANDLER: 0
; COMPUTE_PGM_RSRC2:TGID_X_EN: 1
; COMPUTE_PGM_RSRC2:TGID_Y_EN: 0
; COMPUTE_PGM_RSRC2:TGID_Z_EN: 0
; COMPUTE_PGM_RSRC2:TIDIG_COMP_CNT: 0
; COMPUTE_PGM_RSRC3_GFX90A:ACCUM_OFFSET: 0
; COMPUTE_PGM_RSRC3_GFX90A:TG_SPLIT: 0
	.section	.text._ZN7rocprim17ROCPRIM_400000_NS6detail17trampoline_kernelINS0_14default_configENS1_25partition_config_selectorILNS1_17partition_subalgoE0EiNS0_10empty_typeEbEEZZNS1_14partition_implILS5_0ELb0ES3_jN6thrust23THRUST_200600_302600_NS6detail15normal_iteratorINSA_10device_ptrIiEEEEPS6_SG_NS0_5tupleIJNSA_16discard_iteratorINSA_11use_defaultEEESK_EEENSH_IJSG_SG_EEES6_PlJ7is_evenIiEEEE10hipError_tPvRmT3_T4_T5_T6_T7_T9_mT8_P12ihipStream_tbDpT10_ENKUlT_T0_E_clISt17integral_constantIbLb0EES18_IbLb1EEEEDaS14_S15_EUlS14_E_NS1_11comp_targetILNS1_3genE0ELNS1_11target_archE4294967295ELNS1_3gpuE0ELNS1_3repE0EEENS1_30default_config_static_selectorELNS0_4arch9wavefront6targetE1EEEvT1_,"axG",@progbits,_ZN7rocprim17ROCPRIM_400000_NS6detail17trampoline_kernelINS0_14default_configENS1_25partition_config_selectorILNS1_17partition_subalgoE0EiNS0_10empty_typeEbEEZZNS1_14partition_implILS5_0ELb0ES3_jN6thrust23THRUST_200600_302600_NS6detail15normal_iteratorINSA_10device_ptrIiEEEEPS6_SG_NS0_5tupleIJNSA_16discard_iteratorINSA_11use_defaultEEESK_EEENSH_IJSG_SG_EEES6_PlJ7is_evenIiEEEE10hipError_tPvRmT3_T4_T5_T6_T7_T9_mT8_P12ihipStream_tbDpT10_ENKUlT_T0_E_clISt17integral_constantIbLb0EES18_IbLb1EEEEDaS14_S15_EUlS14_E_NS1_11comp_targetILNS1_3genE0ELNS1_11target_archE4294967295ELNS1_3gpuE0ELNS1_3repE0EEENS1_30default_config_static_selectorELNS0_4arch9wavefront6targetE1EEEvT1_,comdat
	.protected	_ZN7rocprim17ROCPRIM_400000_NS6detail17trampoline_kernelINS0_14default_configENS1_25partition_config_selectorILNS1_17partition_subalgoE0EiNS0_10empty_typeEbEEZZNS1_14partition_implILS5_0ELb0ES3_jN6thrust23THRUST_200600_302600_NS6detail15normal_iteratorINSA_10device_ptrIiEEEEPS6_SG_NS0_5tupleIJNSA_16discard_iteratorINSA_11use_defaultEEESK_EEENSH_IJSG_SG_EEES6_PlJ7is_evenIiEEEE10hipError_tPvRmT3_T4_T5_T6_T7_T9_mT8_P12ihipStream_tbDpT10_ENKUlT_T0_E_clISt17integral_constantIbLb0EES18_IbLb1EEEEDaS14_S15_EUlS14_E_NS1_11comp_targetILNS1_3genE0ELNS1_11target_archE4294967295ELNS1_3gpuE0ELNS1_3repE0EEENS1_30default_config_static_selectorELNS0_4arch9wavefront6targetE1EEEvT1_ ; -- Begin function _ZN7rocprim17ROCPRIM_400000_NS6detail17trampoline_kernelINS0_14default_configENS1_25partition_config_selectorILNS1_17partition_subalgoE0EiNS0_10empty_typeEbEEZZNS1_14partition_implILS5_0ELb0ES3_jN6thrust23THRUST_200600_302600_NS6detail15normal_iteratorINSA_10device_ptrIiEEEEPS6_SG_NS0_5tupleIJNSA_16discard_iteratorINSA_11use_defaultEEESK_EEENSH_IJSG_SG_EEES6_PlJ7is_evenIiEEEE10hipError_tPvRmT3_T4_T5_T6_T7_T9_mT8_P12ihipStream_tbDpT10_ENKUlT_T0_E_clISt17integral_constantIbLb0EES18_IbLb1EEEEDaS14_S15_EUlS14_E_NS1_11comp_targetILNS1_3genE0ELNS1_11target_archE4294967295ELNS1_3gpuE0ELNS1_3repE0EEENS1_30default_config_static_selectorELNS0_4arch9wavefront6targetE1EEEvT1_
	.globl	_ZN7rocprim17ROCPRIM_400000_NS6detail17trampoline_kernelINS0_14default_configENS1_25partition_config_selectorILNS1_17partition_subalgoE0EiNS0_10empty_typeEbEEZZNS1_14partition_implILS5_0ELb0ES3_jN6thrust23THRUST_200600_302600_NS6detail15normal_iteratorINSA_10device_ptrIiEEEEPS6_SG_NS0_5tupleIJNSA_16discard_iteratorINSA_11use_defaultEEESK_EEENSH_IJSG_SG_EEES6_PlJ7is_evenIiEEEE10hipError_tPvRmT3_T4_T5_T6_T7_T9_mT8_P12ihipStream_tbDpT10_ENKUlT_T0_E_clISt17integral_constantIbLb0EES18_IbLb1EEEEDaS14_S15_EUlS14_E_NS1_11comp_targetILNS1_3genE0ELNS1_11target_archE4294967295ELNS1_3gpuE0ELNS1_3repE0EEENS1_30default_config_static_selectorELNS0_4arch9wavefront6targetE1EEEvT1_
	.p2align	8
	.type	_ZN7rocprim17ROCPRIM_400000_NS6detail17trampoline_kernelINS0_14default_configENS1_25partition_config_selectorILNS1_17partition_subalgoE0EiNS0_10empty_typeEbEEZZNS1_14partition_implILS5_0ELb0ES3_jN6thrust23THRUST_200600_302600_NS6detail15normal_iteratorINSA_10device_ptrIiEEEEPS6_SG_NS0_5tupleIJNSA_16discard_iteratorINSA_11use_defaultEEESK_EEENSH_IJSG_SG_EEES6_PlJ7is_evenIiEEEE10hipError_tPvRmT3_T4_T5_T6_T7_T9_mT8_P12ihipStream_tbDpT10_ENKUlT_T0_E_clISt17integral_constantIbLb0EES18_IbLb1EEEEDaS14_S15_EUlS14_E_NS1_11comp_targetILNS1_3genE0ELNS1_11target_archE4294967295ELNS1_3gpuE0ELNS1_3repE0EEENS1_30default_config_static_selectorELNS0_4arch9wavefront6targetE1EEEvT1_,@function
_ZN7rocprim17ROCPRIM_400000_NS6detail17trampoline_kernelINS0_14default_configENS1_25partition_config_selectorILNS1_17partition_subalgoE0EiNS0_10empty_typeEbEEZZNS1_14partition_implILS5_0ELb0ES3_jN6thrust23THRUST_200600_302600_NS6detail15normal_iteratorINSA_10device_ptrIiEEEEPS6_SG_NS0_5tupleIJNSA_16discard_iteratorINSA_11use_defaultEEESK_EEENSH_IJSG_SG_EEES6_PlJ7is_evenIiEEEE10hipError_tPvRmT3_T4_T5_T6_T7_T9_mT8_P12ihipStream_tbDpT10_ENKUlT_T0_E_clISt17integral_constantIbLb0EES18_IbLb1EEEEDaS14_S15_EUlS14_E_NS1_11comp_targetILNS1_3genE0ELNS1_11target_archE4294967295ELNS1_3gpuE0ELNS1_3repE0EEENS1_30default_config_static_selectorELNS0_4arch9wavefront6targetE1EEEvT1_: ; @_ZN7rocprim17ROCPRIM_400000_NS6detail17trampoline_kernelINS0_14default_configENS1_25partition_config_selectorILNS1_17partition_subalgoE0EiNS0_10empty_typeEbEEZZNS1_14partition_implILS5_0ELb0ES3_jN6thrust23THRUST_200600_302600_NS6detail15normal_iteratorINSA_10device_ptrIiEEEEPS6_SG_NS0_5tupleIJNSA_16discard_iteratorINSA_11use_defaultEEESK_EEENSH_IJSG_SG_EEES6_PlJ7is_evenIiEEEE10hipError_tPvRmT3_T4_T5_T6_T7_T9_mT8_P12ihipStream_tbDpT10_ENKUlT_T0_E_clISt17integral_constantIbLb0EES18_IbLb1EEEEDaS14_S15_EUlS14_E_NS1_11comp_targetILNS1_3genE0ELNS1_11target_archE4294967295ELNS1_3gpuE0ELNS1_3repE0EEENS1_30default_config_static_selectorELNS0_4arch9wavefront6targetE1EEEvT1_
; %bb.0:
	.section	.rodata,"a",@progbits
	.p2align	6, 0x0
	.amdhsa_kernel _ZN7rocprim17ROCPRIM_400000_NS6detail17trampoline_kernelINS0_14default_configENS1_25partition_config_selectorILNS1_17partition_subalgoE0EiNS0_10empty_typeEbEEZZNS1_14partition_implILS5_0ELb0ES3_jN6thrust23THRUST_200600_302600_NS6detail15normal_iteratorINSA_10device_ptrIiEEEEPS6_SG_NS0_5tupleIJNSA_16discard_iteratorINSA_11use_defaultEEESK_EEENSH_IJSG_SG_EEES6_PlJ7is_evenIiEEEE10hipError_tPvRmT3_T4_T5_T6_T7_T9_mT8_P12ihipStream_tbDpT10_ENKUlT_T0_E_clISt17integral_constantIbLb0EES18_IbLb1EEEEDaS14_S15_EUlS14_E_NS1_11comp_targetILNS1_3genE0ELNS1_11target_archE4294967295ELNS1_3gpuE0ELNS1_3repE0EEENS1_30default_config_static_selectorELNS0_4arch9wavefront6targetE1EEEvT1_
		.amdhsa_group_segment_fixed_size 0
		.amdhsa_private_segment_fixed_size 0
		.amdhsa_kernarg_size 152
		.amdhsa_user_sgpr_count 2
		.amdhsa_user_sgpr_dispatch_ptr 0
		.amdhsa_user_sgpr_queue_ptr 0
		.amdhsa_user_sgpr_kernarg_segment_ptr 1
		.amdhsa_user_sgpr_dispatch_id 0
		.amdhsa_user_sgpr_kernarg_preload_length 0
		.amdhsa_user_sgpr_kernarg_preload_offset 0
		.amdhsa_user_sgpr_private_segment_size 0
		.amdhsa_uses_dynamic_stack 0
		.amdhsa_enable_private_segment 0
		.amdhsa_system_sgpr_workgroup_id_x 1
		.amdhsa_system_sgpr_workgroup_id_y 0
		.amdhsa_system_sgpr_workgroup_id_z 0
		.amdhsa_system_sgpr_workgroup_info 0
		.amdhsa_system_vgpr_workitem_id 0
		.amdhsa_next_free_vgpr 1
		.amdhsa_next_free_sgpr 0
		.amdhsa_accum_offset 4
		.amdhsa_reserve_vcc 0
		.amdhsa_float_round_mode_32 0
		.amdhsa_float_round_mode_16_64 0
		.amdhsa_float_denorm_mode_32 3
		.amdhsa_float_denorm_mode_16_64 3
		.amdhsa_dx10_clamp 1
		.amdhsa_ieee_mode 1
		.amdhsa_fp16_overflow 0
		.amdhsa_tg_split 0
		.amdhsa_exception_fp_ieee_invalid_op 0
		.amdhsa_exception_fp_denorm_src 0
		.amdhsa_exception_fp_ieee_div_zero 0
		.amdhsa_exception_fp_ieee_overflow 0
		.amdhsa_exception_fp_ieee_underflow 0
		.amdhsa_exception_fp_ieee_inexact 0
		.amdhsa_exception_int_div_zero 0
	.end_amdhsa_kernel
	.section	.text._ZN7rocprim17ROCPRIM_400000_NS6detail17trampoline_kernelINS0_14default_configENS1_25partition_config_selectorILNS1_17partition_subalgoE0EiNS0_10empty_typeEbEEZZNS1_14partition_implILS5_0ELb0ES3_jN6thrust23THRUST_200600_302600_NS6detail15normal_iteratorINSA_10device_ptrIiEEEEPS6_SG_NS0_5tupleIJNSA_16discard_iteratorINSA_11use_defaultEEESK_EEENSH_IJSG_SG_EEES6_PlJ7is_evenIiEEEE10hipError_tPvRmT3_T4_T5_T6_T7_T9_mT8_P12ihipStream_tbDpT10_ENKUlT_T0_E_clISt17integral_constantIbLb0EES18_IbLb1EEEEDaS14_S15_EUlS14_E_NS1_11comp_targetILNS1_3genE0ELNS1_11target_archE4294967295ELNS1_3gpuE0ELNS1_3repE0EEENS1_30default_config_static_selectorELNS0_4arch9wavefront6targetE1EEEvT1_,"axG",@progbits,_ZN7rocprim17ROCPRIM_400000_NS6detail17trampoline_kernelINS0_14default_configENS1_25partition_config_selectorILNS1_17partition_subalgoE0EiNS0_10empty_typeEbEEZZNS1_14partition_implILS5_0ELb0ES3_jN6thrust23THRUST_200600_302600_NS6detail15normal_iteratorINSA_10device_ptrIiEEEEPS6_SG_NS0_5tupleIJNSA_16discard_iteratorINSA_11use_defaultEEESK_EEENSH_IJSG_SG_EEES6_PlJ7is_evenIiEEEE10hipError_tPvRmT3_T4_T5_T6_T7_T9_mT8_P12ihipStream_tbDpT10_ENKUlT_T0_E_clISt17integral_constantIbLb0EES18_IbLb1EEEEDaS14_S15_EUlS14_E_NS1_11comp_targetILNS1_3genE0ELNS1_11target_archE4294967295ELNS1_3gpuE0ELNS1_3repE0EEENS1_30default_config_static_selectorELNS0_4arch9wavefront6targetE1EEEvT1_,comdat
.Lfunc_end2707:
	.size	_ZN7rocprim17ROCPRIM_400000_NS6detail17trampoline_kernelINS0_14default_configENS1_25partition_config_selectorILNS1_17partition_subalgoE0EiNS0_10empty_typeEbEEZZNS1_14partition_implILS5_0ELb0ES3_jN6thrust23THRUST_200600_302600_NS6detail15normal_iteratorINSA_10device_ptrIiEEEEPS6_SG_NS0_5tupleIJNSA_16discard_iteratorINSA_11use_defaultEEESK_EEENSH_IJSG_SG_EEES6_PlJ7is_evenIiEEEE10hipError_tPvRmT3_T4_T5_T6_T7_T9_mT8_P12ihipStream_tbDpT10_ENKUlT_T0_E_clISt17integral_constantIbLb0EES18_IbLb1EEEEDaS14_S15_EUlS14_E_NS1_11comp_targetILNS1_3genE0ELNS1_11target_archE4294967295ELNS1_3gpuE0ELNS1_3repE0EEENS1_30default_config_static_selectorELNS0_4arch9wavefront6targetE1EEEvT1_, .Lfunc_end2707-_ZN7rocprim17ROCPRIM_400000_NS6detail17trampoline_kernelINS0_14default_configENS1_25partition_config_selectorILNS1_17partition_subalgoE0EiNS0_10empty_typeEbEEZZNS1_14partition_implILS5_0ELb0ES3_jN6thrust23THRUST_200600_302600_NS6detail15normal_iteratorINSA_10device_ptrIiEEEEPS6_SG_NS0_5tupleIJNSA_16discard_iteratorINSA_11use_defaultEEESK_EEENSH_IJSG_SG_EEES6_PlJ7is_evenIiEEEE10hipError_tPvRmT3_T4_T5_T6_T7_T9_mT8_P12ihipStream_tbDpT10_ENKUlT_T0_E_clISt17integral_constantIbLb0EES18_IbLb1EEEEDaS14_S15_EUlS14_E_NS1_11comp_targetILNS1_3genE0ELNS1_11target_archE4294967295ELNS1_3gpuE0ELNS1_3repE0EEENS1_30default_config_static_selectorELNS0_4arch9wavefront6targetE1EEEvT1_
                                        ; -- End function
	.section	.AMDGPU.csdata,"",@progbits
; Kernel info:
; codeLenInByte = 0
; NumSgprs: 6
; NumVgprs: 0
; NumAgprs: 0
; TotalNumVgprs: 0
; ScratchSize: 0
; MemoryBound: 0
; FloatMode: 240
; IeeeMode: 1
; LDSByteSize: 0 bytes/workgroup (compile time only)
; SGPRBlocks: 0
; VGPRBlocks: 0
; NumSGPRsForWavesPerEU: 6
; NumVGPRsForWavesPerEU: 1
; AccumOffset: 4
; Occupancy: 8
; WaveLimiterHint : 0
; COMPUTE_PGM_RSRC2:SCRATCH_EN: 0
; COMPUTE_PGM_RSRC2:USER_SGPR: 2
; COMPUTE_PGM_RSRC2:TRAP_HANDLER: 0
; COMPUTE_PGM_RSRC2:TGID_X_EN: 1
; COMPUTE_PGM_RSRC2:TGID_Y_EN: 0
; COMPUTE_PGM_RSRC2:TGID_Z_EN: 0
; COMPUTE_PGM_RSRC2:TIDIG_COMP_CNT: 0
; COMPUTE_PGM_RSRC3_GFX90A:ACCUM_OFFSET: 0
; COMPUTE_PGM_RSRC3_GFX90A:TG_SPLIT: 0
	.section	.text._ZN7rocprim17ROCPRIM_400000_NS6detail17trampoline_kernelINS0_14default_configENS1_25partition_config_selectorILNS1_17partition_subalgoE0EiNS0_10empty_typeEbEEZZNS1_14partition_implILS5_0ELb0ES3_jN6thrust23THRUST_200600_302600_NS6detail15normal_iteratorINSA_10device_ptrIiEEEEPS6_SG_NS0_5tupleIJNSA_16discard_iteratorINSA_11use_defaultEEESK_EEENSH_IJSG_SG_EEES6_PlJ7is_evenIiEEEE10hipError_tPvRmT3_T4_T5_T6_T7_T9_mT8_P12ihipStream_tbDpT10_ENKUlT_T0_E_clISt17integral_constantIbLb0EES18_IbLb1EEEEDaS14_S15_EUlS14_E_NS1_11comp_targetILNS1_3genE5ELNS1_11target_archE942ELNS1_3gpuE9ELNS1_3repE0EEENS1_30default_config_static_selectorELNS0_4arch9wavefront6targetE1EEEvT1_,"axG",@progbits,_ZN7rocprim17ROCPRIM_400000_NS6detail17trampoline_kernelINS0_14default_configENS1_25partition_config_selectorILNS1_17partition_subalgoE0EiNS0_10empty_typeEbEEZZNS1_14partition_implILS5_0ELb0ES3_jN6thrust23THRUST_200600_302600_NS6detail15normal_iteratorINSA_10device_ptrIiEEEEPS6_SG_NS0_5tupleIJNSA_16discard_iteratorINSA_11use_defaultEEESK_EEENSH_IJSG_SG_EEES6_PlJ7is_evenIiEEEE10hipError_tPvRmT3_T4_T5_T6_T7_T9_mT8_P12ihipStream_tbDpT10_ENKUlT_T0_E_clISt17integral_constantIbLb0EES18_IbLb1EEEEDaS14_S15_EUlS14_E_NS1_11comp_targetILNS1_3genE5ELNS1_11target_archE942ELNS1_3gpuE9ELNS1_3repE0EEENS1_30default_config_static_selectorELNS0_4arch9wavefront6targetE1EEEvT1_,comdat
	.protected	_ZN7rocprim17ROCPRIM_400000_NS6detail17trampoline_kernelINS0_14default_configENS1_25partition_config_selectorILNS1_17partition_subalgoE0EiNS0_10empty_typeEbEEZZNS1_14partition_implILS5_0ELb0ES3_jN6thrust23THRUST_200600_302600_NS6detail15normal_iteratorINSA_10device_ptrIiEEEEPS6_SG_NS0_5tupleIJNSA_16discard_iteratorINSA_11use_defaultEEESK_EEENSH_IJSG_SG_EEES6_PlJ7is_evenIiEEEE10hipError_tPvRmT3_T4_T5_T6_T7_T9_mT8_P12ihipStream_tbDpT10_ENKUlT_T0_E_clISt17integral_constantIbLb0EES18_IbLb1EEEEDaS14_S15_EUlS14_E_NS1_11comp_targetILNS1_3genE5ELNS1_11target_archE942ELNS1_3gpuE9ELNS1_3repE0EEENS1_30default_config_static_selectorELNS0_4arch9wavefront6targetE1EEEvT1_ ; -- Begin function _ZN7rocprim17ROCPRIM_400000_NS6detail17trampoline_kernelINS0_14default_configENS1_25partition_config_selectorILNS1_17partition_subalgoE0EiNS0_10empty_typeEbEEZZNS1_14partition_implILS5_0ELb0ES3_jN6thrust23THRUST_200600_302600_NS6detail15normal_iteratorINSA_10device_ptrIiEEEEPS6_SG_NS0_5tupleIJNSA_16discard_iteratorINSA_11use_defaultEEESK_EEENSH_IJSG_SG_EEES6_PlJ7is_evenIiEEEE10hipError_tPvRmT3_T4_T5_T6_T7_T9_mT8_P12ihipStream_tbDpT10_ENKUlT_T0_E_clISt17integral_constantIbLb0EES18_IbLb1EEEEDaS14_S15_EUlS14_E_NS1_11comp_targetILNS1_3genE5ELNS1_11target_archE942ELNS1_3gpuE9ELNS1_3repE0EEENS1_30default_config_static_selectorELNS0_4arch9wavefront6targetE1EEEvT1_
	.globl	_ZN7rocprim17ROCPRIM_400000_NS6detail17trampoline_kernelINS0_14default_configENS1_25partition_config_selectorILNS1_17partition_subalgoE0EiNS0_10empty_typeEbEEZZNS1_14partition_implILS5_0ELb0ES3_jN6thrust23THRUST_200600_302600_NS6detail15normal_iteratorINSA_10device_ptrIiEEEEPS6_SG_NS0_5tupleIJNSA_16discard_iteratorINSA_11use_defaultEEESK_EEENSH_IJSG_SG_EEES6_PlJ7is_evenIiEEEE10hipError_tPvRmT3_T4_T5_T6_T7_T9_mT8_P12ihipStream_tbDpT10_ENKUlT_T0_E_clISt17integral_constantIbLb0EES18_IbLb1EEEEDaS14_S15_EUlS14_E_NS1_11comp_targetILNS1_3genE5ELNS1_11target_archE942ELNS1_3gpuE9ELNS1_3repE0EEENS1_30default_config_static_selectorELNS0_4arch9wavefront6targetE1EEEvT1_
	.p2align	8
	.type	_ZN7rocprim17ROCPRIM_400000_NS6detail17trampoline_kernelINS0_14default_configENS1_25partition_config_selectorILNS1_17partition_subalgoE0EiNS0_10empty_typeEbEEZZNS1_14partition_implILS5_0ELb0ES3_jN6thrust23THRUST_200600_302600_NS6detail15normal_iteratorINSA_10device_ptrIiEEEEPS6_SG_NS0_5tupleIJNSA_16discard_iteratorINSA_11use_defaultEEESK_EEENSH_IJSG_SG_EEES6_PlJ7is_evenIiEEEE10hipError_tPvRmT3_T4_T5_T6_T7_T9_mT8_P12ihipStream_tbDpT10_ENKUlT_T0_E_clISt17integral_constantIbLb0EES18_IbLb1EEEEDaS14_S15_EUlS14_E_NS1_11comp_targetILNS1_3genE5ELNS1_11target_archE942ELNS1_3gpuE9ELNS1_3repE0EEENS1_30default_config_static_selectorELNS0_4arch9wavefront6targetE1EEEvT1_,@function
_ZN7rocprim17ROCPRIM_400000_NS6detail17trampoline_kernelINS0_14default_configENS1_25partition_config_selectorILNS1_17partition_subalgoE0EiNS0_10empty_typeEbEEZZNS1_14partition_implILS5_0ELb0ES3_jN6thrust23THRUST_200600_302600_NS6detail15normal_iteratorINSA_10device_ptrIiEEEEPS6_SG_NS0_5tupleIJNSA_16discard_iteratorINSA_11use_defaultEEESK_EEENSH_IJSG_SG_EEES6_PlJ7is_evenIiEEEE10hipError_tPvRmT3_T4_T5_T6_T7_T9_mT8_P12ihipStream_tbDpT10_ENKUlT_T0_E_clISt17integral_constantIbLb0EES18_IbLb1EEEEDaS14_S15_EUlS14_E_NS1_11comp_targetILNS1_3genE5ELNS1_11target_archE942ELNS1_3gpuE9ELNS1_3repE0EEENS1_30default_config_static_selectorELNS0_4arch9wavefront6targetE1EEEvT1_: ; @_ZN7rocprim17ROCPRIM_400000_NS6detail17trampoline_kernelINS0_14default_configENS1_25partition_config_selectorILNS1_17partition_subalgoE0EiNS0_10empty_typeEbEEZZNS1_14partition_implILS5_0ELb0ES3_jN6thrust23THRUST_200600_302600_NS6detail15normal_iteratorINSA_10device_ptrIiEEEEPS6_SG_NS0_5tupleIJNSA_16discard_iteratorINSA_11use_defaultEEESK_EEENSH_IJSG_SG_EEES6_PlJ7is_evenIiEEEE10hipError_tPvRmT3_T4_T5_T6_T7_T9_mT8_P12ihipStream_tbDpT10_ENKUlT_T0_E_clISt17integral_constantIbLb0EES18_IbLb1EEEEDaS14_S15_EUlS14_E_NS1_11comp_targetILNS1_3genE5ELNS1_11target_archE942ELNS1_3gpuE9ELNS1_3repE0EEENS1_30default_config_static_selectorELNS0_4arch9wavefront6targetE1EEEvT1_
; %bb.0:
	s_load_dwordx2 s[2:3], s[0:1], 0x68
	s_load_dwordx4 s[20:23], s[0:1], 0x58
	s_load_dwordx2 s[24:25], s[0:1], 0x78
	v_cmp_eq_u32_e64 s[18:19], 0, v0
	s_and_saveexec_b64 s[4:5], s[18:19]
	s_cbranch_execz .LBB2708_4
; %bb.1:
	s_mov_b64 s[8:9], exec
	v_mbcnt_lo_u32_b32 v1, s8, 0
	v_mbcnt_hi_u32_b32 v1, s9, v1
	v_cmp_eq_u32_e32 vcc, 0, v1
                                        ; implicit-def: $vgpr2
	s_and_saveexec_b64 s[6:7], vcc
	s_cbranch_execz .LBB2708_3
; %bb.2:
	s_load_dwordx2 s[10:11], s[0:1], 0x88
	s_bcnt1_i32_b64 s8, s[8:9]
	v_mov_b32_e32 v2, 0
	v_mov_b32_e32 v3, s8
	s_waitcnt lgkmcnt(0)
	global_atomic_add v2, v2, v3, s[10:11] sc0
.LBB2708_3:
	s_or_b64 exec, exec, s[6:7]
	s_waitcnt vmcnt(0)
	v_readfirstlane_b32 s6, v2
	v_mov_b32_e32 v2, 0
	s_nop 0
	v_add_u32_e32 v1, s6, v1
	ds_write_b32 v2, v1
.LBB2708_4:
	s_or_b64 exec, exec, s[4:5]
	v_mov_b32_e32 v3, 0
	s_load_dwordx4 s[4:7], s[0:1], 0x8
	s_load_dword s8, s[0:1], 0x80
	s_waitcnt lgkmcnt(0)
	s_barrier
	ds_read_b32 v1, v3
	s_waitcnt lgkmcnt(0)
	s_barrier
	global_load_dwordx2 v[18:19], v3, s[22:23]
	s_lshl_b64 s[0:1], s[6:7], 2
	s_add_u32 s10, s4, s0
	s_movk_i32 s0, 0x1e00
	v_mul_lo_u32 v2, v1, s0
	s_mul_i32 s0, s8, 0x1e00
	s_addc_u32 s11, s5, s1
	s_add_i32 s1, s0, s6
	v_mov_b32_e32 v5, s3
	s_add_i32 s3, s8, -1
	s_sub_i32 s4, s2, s1
	s_add_u32 s0, s6, s0
	v_readfirstlane_b32 s30, v1
	s_addc_u32 s1, s7, 0
	s_cmp_eq_u32 s30, s3
	v_mov_b32_e32 v4, s2
	s_cselect_b64 s[22:23], -1, 0
	s_cmp_lg_u32 s30, s3
	v_cmp_lt_u64_e32 vcc, s[0:1], v[4:5]
	s_cselect_b64 s[0:1], -1, 0
	s_or_b64 s[0:1], vcc, s[0:1]
	v_lshlrev_b64 v[4:5], 2, v[2:3]
	v_lshl_add_u64 v[20:21], s[10:11], 0, v[4:5]
	s_mov_b64 s[2:3], -1
	s_and_b64 vcc, exec, s[0:1]
	s_cbranch_vccz .LBB2708_6
; %bb.5:
	v_lshlrev_b32_e32 v2, 2, v0
	v_lshl_add_u64 v[4:5], v[20:21], 0, v[2:3]
	v_add_co_u32_e32 v6, vcc, 0x1000, v4
	s_mov_b64 s[2:3], 0
	s_nop 0
	v_addc_co_u32_e32 v7, vcc, 0, v5, vcc
	v_add_co_u32_e32 v8, vcc, 0x2000, v4
	s_nop 1
	v_addc_co_u32_e32 v9, vcc, 0, v5, vcc
	v_add_co_u32_e32 v10, vcc, 0x3000, v4
	s_nop 1
	v_addc_co_u32_e32 v11, vcc, 0, v5, vcc
	flat_load_dword v1, v[4:5]
	flat_load_dword v3, v[4:5] offset:2048
	flat_load_dword v12, v[6:7]
	flat_load_dword v13, v[6:7] offset:2048
	;; [unrolled: 2-line block ×4, first 2 shown]
	v_add_co_u32_e32 v6, vcc, 0x4000, v4
	s_nop 1
	v_addc_co_u32_e32 v7, vcc, 0, v5, vcc
	v_add_co_u32_e32 v8, vcc, 0x5000, v4
	s_nop 1
	v_addc_co_u32_e32 v9, vcc, 0, v5, vcc
	v_add_co_u32_e32 v10, vcc, 0x6000, v4
	s_nop 1
	v_addc_co_u32_e32 v11, vcc, 0, v5, vcc
	v_add_co_u32_e32 v4, vcc, 0x7000, v4
	s_nop 1
	v_addc_co_u32_e32 v5, vcc, 0, v5, vcc
	flat_load_dword v22, v[6:7]
	flat_load_dword v23, v[6:7] offset:2048
	flat_load_dword v24, v[8:9]
	flat_load_dword v25, v[8:9] offset:2048
	;; [unrolled: 2-line block ×3, first 2 shown]
	flat_load_dword v28, v[4:5]
	s_waitcnt vmcnt(0) lgkmcnt(0)
	ds_write2st64_b32 v2, v1, v3 offset1:8
	ds_write2st64_b32 v2, v12, v13 offset0:16 offset1:24
	ds_write2st64_b32 v2, v14, v15 offset0:32 offset1:40
	;; [unrolled: 1-line block ×6, first 2 shown]
	ds_write_b32 v2, v28 offset:28672
	s_waitcnt lgkmcnt(0)
	s_barrier
.LBB2708_6:
	s_andn2_b64 vcc, exec, s[2:3]
	s_addk_i32 s4, 0x1e00
	s_cbranch_vccnz .LBB2708_38
; %bb.7:
	v_cmp_gt_u32_e32 vcc, s4, v0
                                        ; implicit-def: $vgpr2_vgpr3_vgpr4_vgpr5_vgpr6_vgpr7_vgpr8_vgpr9_vgpr10_vgpr11_vgpr12_vgpr13_vgpr14_vgpr15_vgpr16_vgpr17
	s_and_saveexec_b64 s[2:3], vcc
	s_cbranch_execz .LBB2708_9
; %bb.8:
	v_lshlrev_b32_e32 v2, 2, v0
	v_mov_b32_e32 v3, 0
	v_lshl_add_u64 v[2:3], v[20:21], 0, v[2:3]
	flat_load_dword v2, v[2:3]
.LBB2708_9:
	s_or_b64 exec, exec, s[2:3]
	v_or_b32_e32 v1, 0x200, v0
	v_cmp_gt_u32_e32 vcc, s4, v1
	s_and_saveexec_b64 s[2:3], vcc
	s_cbranch_execz .LBB2708_11
; %bb.10:
	v_lshlrev_b32_e32 v22, 2, v0
	v_mov_b32_e32 v23, 0
	v_lshl_add_u64 v[22:23], v[20:21], 0, v[22:23]
	flat_load_dword v3, v[22:23] offset:2048
.LBB2708_11:
	s_or_b64 exec, exec, s[2:3]
	v_or_b32_e32 v1, 0x400, v0
	v_cmp_gt_u32_e32 vcc, s4, v1
	s_and_saveexec_b64 s[2:3], vcc
	s_cbranch_execz .LBB2708_13
; %bb.12:
	v_lshlrev_b32_e32 v22, 2, v1
	v_mov_b32_e32 v23, 0
	v_lshl_add_u64 v[22:23], v[20:21], 0, v[22:23]
	flat_load_dword v4, v[22:23]
.LBB2708_13:
	s_or_b64 exec, exec, s[2:3]
	v_or_b32_e32 v1, 0x600, v0
	v_cmp_gt_u32_e32 vcc, s4, v1
	s_and_saveexec_b64 s[2:3], vcc
	s_cbranch_execz .LBB2708_15
; %bb.14:
	v_lshlrev_b32_e32 v22, 2, v1
	v_mov_b32_e32 v23, 0
	v_lshl_add_u64 v[22:23], v[20:21], 0, v[22:23]
	flat_load_dword v5, v[22:23]
.LBB2708_15:
	;; [unrolled: 11-line block ×13, first 2 shown]
	s_or_b64 exec, exec, s[2:3]
	v_lshlrev_b32_e32 v1, 2, v0
	s_waitcnt vmcnt(0) lgkmcnt(0)
	ds_write2st64_b32 v1, v2, v3 offset1:8
	ds_write2st64_b32 v1, v4, v5 offset0:16 offset1:24
	ds_write2st64_b32 v1, v6, v7 offset0:32 offset1:40
	;; [unrolled: 1-line block ×6, first 2 shown]
	ds_write_b32 v1, v16 offset:28672
	s_waitcnt lgkmcnt(0)
	s_barrier
.LBB2708_38:
	v_mul_u32_u24_e32 v38, 15, v0
	v_lshlrev_b32_e32 v1, 2, v38
	ds_read2_b32 v[32:33], v1 offset1:1
	ds_read2_b32 v[30:31], v1 offset0:2 offset1:3
	ds_read2_b32 v[28:29], v1 offset0:4 offset1:5
	;; [unrolled: 1-line block ×6, first 2 shown]
	ds_read_b32 v1, v1 offset:56
	s_andn2_b64 vcc, exec, s[0:1]
	s_waitcnt lgkmcnt(7)
	v_xor_b32_e32 v16, -1, v32
	v_xor_b32_e32 v15, -1, v33
	s_waitcnt lgkmcnt(6)
	v_xor_b32_e32 v14, -1, v30
	v_xor_b32_e32 v13, -1, v31
	;; [unrolled: 3-line block ×7, first 2 shown]
	s_waitcnt lgkmcnt(0)
	v_xor_b32_e32 v2, -1, v1
	s_barrier
	s_cbranch_vccnz .LBB2708_40
; %bb.39:
	v_and_b32_e32 v51, 1, v16
	v_and_b32_e32 v50, 1, v15
	;; [unrolled: 1-line block ×15, first 2 shown]
	s_cbranch_execz .LBB2708_41
	s_branch .LBB2708_42
.LBB2708_40:
                                        ; implicit-def: $vgpr36
                                        ; implicit-def: $vgpr37
                                        ; implicit-def: $vgpr39
                                        ; implicit-def: $vgpr40
                                        ; implicit-def: $vgpr41
                                        ; implicit-def: $vgpr42
                                        ; implicit-def: $vgpr43
                                        ; implicit-def: $vgpr44
                                        ; implicit-def: $vgpr45
                                        ; implicit-def: $vgpr51
                                        ; implicit-def: $vgpr50
                                        ; implicit-def: $vgpr49
                                        ; implicit-def: $vgpr48
                                        ; implicit-def: $vgpr47
                                        ; implicit-def: $vgpr46
.LBB2708_41:
	v_add_u32_e32 v45, 1, v38
	v_cmp_gt_u32_e32 vcc, s4, v38
	v_add_u32_e32 v17, 2, v38
	v_add_u32_e32 v44, 3, v38
	v_cndmask_b32_e64 v46, 0, 1, vcc
	v_cmp_gt_u32_e32 vcc, s4, v45
	v_and_b32_e32 v51, v46, v16
	v_add_u32_e32 v34, 4, v38
	v_cndmask_b32_e64 v16, 0, 1, vcc
	v_cmp_gt_u32_e32 vcc, s4, v17
	v_and_b32_e32 v50, v16, v15
	;; [unrolled: 4-line block ×12, first 2 shown]
	s_nop 0
	v_cndmask_b32_e64 v5, 0, 1, vcc
	v_cmp_gt_u32_e32 vcc, s4, v53
	v_and_b32_e32 v39, v5, v4
	s_nop 0
	v_cndmask_b32_e64 v4, 0, 1, vcc
	v_cmp_gt_u32_e32 vcc, s4, v52
	v_and_b32_e32 v37, v4, v3
	s_nop 0
	v_cndmask_b32_e64 v3, 0, 1, vcc
	v_and_b32_e32 v36, v3, v2
.LBB2708_42:
	v_and_b32_e32 v55, 0xff, v48
	v_and_b32_e32 v56, 0xff, v47
	;; [unrolled: 1-line block ×5, first 2 shown]
	v_add3_u32 v3, v56, v57, v55
	v_and_b32_e32 v52, 0xff, v51
	v_and_b32_e32 v58, 0xff, v45
	v_add3_u32 v3, v3, v54, v53
	v_and_b32_e32 v59, 0xff, v44
	v_and_b32_e32 v60, 0xff, v43
	;; [unrolled: 3-line block ×5, first 2 shown]
	v_add3_u32 v3, v3, v63, v64
	v_add3_u32 v68, v3, v65, v2
	v_mbcnt_lo_u32_b32 v2, -1, 0
	v_mbcnt_hi_u32_b32 v66, -1, v2
	v_and_b32_e32 v2, 15, v66
	v_cmp_eq_u32_e64 s[14:15], 0, v2
	v_cmp_lt_u32_e64 s[12:13], 1, v2
	v_cmp_lt_u32_e64 s[10:11], 3, v2
	;; [unrolled: 1-line block ×3, first 2 shown]
	v_and_b32_e32 v2, 16, v66
	v_cmp_eq_u32_e64 s[6:7], 0, v2
	v_or_b32_e32 v2, 63, v0
	s_cmp_lg_u32 s30, 0
	v_cmp_lt_u32_e64 s[2:3], 31, v66
	v_lshrrev_b32_e32 v67, 6, v0
	v_cmp_eq_u32_e64 s[4:5], v2, v0
	s_cbranch_scc0 .LBB2708_69
; %bb.43:
	v_mov_b32_dpp v2, v68 row_shr:1 row_mask:0xf bank_mask:0xf
	v_cndmask_b32_e64 v2, v2, 0, s[14:15]
	v_add_u32_e32 v2, v2, v68
	s_nop 1
	v_mov_b32_dpp v3, v2 row_shr:2 row_mask:0xf bank_mask:0xf
	v_cndmask_b32_e64 v3, 0, v3, s[12:13]
	v_add_u32_e32 v2, v2, v3
	s_nop 1
	;; [unrolled: 4-line block ×4, first 2 shown]
	v_mov_b32_dpp v3, v2 row_bcast:15 row_mask:0xf bank_mask:0xf
	v_cndmask_b32_e64 v3, v3, 0, s[6:7]
	v_add_u32_e32 v2, v2, v3
	s_nop 1
	v_mov_b32_dpp v3, v2 row_bcast:31 row_mask:0xf bank_mask:0xf
	v_cndmask_b32_e64 v3, 0, v3, s[2:3]
	v_add_u32_e32 v2, v2, v3
	s_and_saveexec_b64 s[0:1], s[4:5]
	s_cbranch_execz .LBB2708_45
; %bb.44:
	v_lshlrev_b32_e32 v3, 2, v67
	ds_write_b32 v3, v2
.LBB2708_45:
	s_or_b64 exec, exec, s[0:1]
	v_cmp_gt_u32_e32 vcc, 8, v0
	s_waitcnt lgkmcnt(0)
	s_barrier
	s_and_saveexec_b64 s[0:1], vcc
	s_cbranch_execz .LBB2708_47
; %bb.46:
	v_lshlrev_b32_e32 v3, 2, v0
	ds_read_b32 v4, v3
	v_and_b32_e32 v5, 7, v66
	v_cmp_ne_u32_e32 vcc, 0, v5
	s_waitcnt lgkmcnt(0)
	v_mov_b32_dpp v6, v4 row_shr:1 row_mask:0xf bank_mask:0xf
	v_cndmask_b32_e32 v6, 0, v6, vcc
	v_add_u32_e32 v4, v6, v4
	v_cmp_lt_u32_e32 vcc, 1, v5
	s_nop 0
	v_mov_b32_dpp v6, v4 row_shr:2 row_mask:0xf bank_mask:0xf
	v_cndmask_b32_e32 v6, 0, v6, vcc
	v_add_u32_e32 v4, v4, v6
	v_cmp_lt_u32_e32 vcc, 3, v5
	s_nop 0
	v_mov_b32_dpp v6, v4 row_shr:4 row_mask:0xf bank_mask:0xf
	v_cndmask_b32_e32 v5, 0, v6, vcc
	v_add_u32_e32 v4, v4, v5
	ds_write_b32 v3, v4
.LBB2708_47:
	s_or_b64 exec, exec, s[0:1]
	v_cmp_gt_u32_e32 vcc, 64, v0
	v_cmp_lt_u32_e64 s[0:1], 63, v0
	s_waitcnt lgkmcnt(0)
	s_barrier
	s_waitcnt lgkmcnt(0)
                                        ; implicit-def: $vgpr12
	s_and_saveexec_b64 s[16:17], s[0:1]
	s_cbranch_execz .LBB2708_49
; %bb.48:
	v_lshl_add_u32 v3, v67, 2, -4
	ds_read_b32 v12, v3
	s_waitcnt lgkmcnt(0)
	v_add_u32_e32 v2, v12, v2
.LBB2708_49:
	s_or_b64 exec, exec, s[16:17]
	v_add_u32_e32 v3, -1, v66
	v_and_b32_e32 v4, 64, v66
	v_cmp_lt_i32_e64 s[0:1], v3, v4
	v_cmp_eq_u32_e64 s[16:17], 0, v66
	s_nop 0
	v_cndmask_b32_e64 v3, v3, v66, s[0:1]
	v_lshlrev_b32_e32 v3, 2, v3
	ds_bpermute_b32 v13, v3, v2
	s_and_saveexec_b64 s[0:1], vcc
	s_cbranch_execz .LBB2708_68
; %bb.50:
	v_mov_b32_e32 v9, 0
	ds_read_b32 v2, v9 offset:28
	s_and_saveexec_b64 s[26:27], s[16:17]
	s_cbranch_execz .LBB2708_52
; %bb.51:
	s_add_i32 s28, s30, 64
	s_mov_b32 s29, 0
	s_lshl_b64 s[28:29], s[28:29], 3
	s_add_u32 s28, s24, s28
	v_mov_b32_e32 v3, 1
	s_addc_u32 s29, s25, s29
	s_waitcnt lgkmcnt(0)
	global_store_dwordx2 v9, v[2:3], s[28:29] sc1
.LBB2708_52:
	s_or_b64 exec, exec, s[26:27]
	v_xad_u32 v4, v66, -1, s30
	v_add_u32_e32 v8, 64, v4
	v_lshl_add_u64 v[10:11], v[8:9], 3, s[24:25]
	global_load_dwordx2 v[6:7], v[10:11], off sc1
	s_waitcnt vmcnt(0)
	v_cmp_eq_u16_sdwa s[28:29], v7, v9 src0_sel:BYTE_0 src1_sel:DWORD
	s_and_saveexec_b64 s[26:27], s[28:29]
	s_cbranch_execz .LBB2708_56
; %bb.53:
	s_mov_b64 s[28:29], 0
	v_mov_b32_e32 v3, 0
.LBB2708_54:                            ; =>This Inner Loop Header: Depth=1
	global_load_dwordx2 v[6:7], v[10:11], off sc1
	s_waitcnt vmcnt(0)
	v_cmp_ne_u16_sdwa s[34:35], v7, v3 src0_sel:BYTE_0 src1_sel:DWORD
	s_or_b64 s[28:29], s[34:35], s[28:29]
	s_andn2_b64 exec, exec, s[28:29]
	s_cbranch_execnz .LBB2708_54
; %bb.55:
	s_or_b64 exec, exec, s[28:29]
.LBB2708_56:
	s_or_b64 exec, exec, s[26:27]
	v_and_b32_e32 v15, 63, v66
	v_mov_b32_e32 v14, 2
	v_cmp_ne_u32_e32 vcc, 63, v15
	v_cmp_eq_u16_sdwa s[26:27], v7, v14 src0_sel:BYTE_0 src1_sel:DWORD
	v_lshlrev_b64 v[8:9], v66, -1
	v_addc_co_u32_e32 v10, vcc, 0, v66, vcc
	v_and_b32_e32 v3, s27, v9
	v_lshlrev_b32_e32 v16, 2, v10
	v_or_b32_e32 v3, 0x80000000, v3
	ds_bpermute_b32 v10, v16, v6
	v_and_b32_e32 v5, s26, v8
	v_ffbl_b32_e32 v3, v3
	v_add_u32_e32 v3, 32, v3
	v_ffbl_b32_e32 v5, v5
	v_min_u32_e32 v3, v5, v3
	v_cmp_lt_u32_e32 vcc, v15, v3
	v_add_u32_e32 v34, 2, v15
	v_add_u32_e32 v69, 4, v15
	s_waitcnt lgkmcnt(0)
	v_cndmask_b32_e32 v5, 0, v10, vcc
	v_cmp_gt_u32_e32 vcc, 62, v15
	v_add_u32_e32 v5, v5, v6
	v_add_u32_e32 v71, 8, v15
	v_cndmask_b32_e64 v6, 0, 1, vcc
	v_lshlrev_b32_e32 v6, 1, v6
	v_add_lshl_u32 v17, v6, v66, 2
	ds_bpermute_b32 v6, v17, v5
	v_cmp_le_u32_e32 vcc, v34, v3
	v_add_u32_e32 v73, 16, v15
	v_add_u32_e32 v75, 32, v15
	s_waitcnt lgkmcnt(0)
	v_cndmask_b32_e32 v6, 0, v6, vcc
	v_cmp_gt_u32_e32 vcc, 60, v15
	v_add_u32_e32 v5, v5, v6
	s_nop 0
	v_cndmask_b32_e64 v6, 0, 1, vcc
	v_lshlrev_b32_e32 v6, 2, v6
	v_add_lshl_u32 v35, v6, v66, 2
	ds_bpermute_b32 v6, v35, v5
	v_cmp_le_u32_e32 vcc, v69, v3
	s_waitcnt lgkmcnt(0)
	s_nop 0
	v_cndmask_b32_e32 v6, 0, v6, vcc
	v_cmp_gt_u32_e32 vcc, 56, v15
	v_add_u32_e32 v5, v5, v6
	s_nop 0
	v_cndmask_b32_e64 v6, 0, 1, vcc
	v_lshlrev_b32_e32 v6, 3, v6
	v_add_lshl_u32 v70, v6, v66, 2
	ds_bpermute_b32 v6, v70, v5
	v_cmp_le_u32_e32 vcc, v71, v3
	s_waitcnt lgkmcnt(0)
	s_nop 0
	v_cndmask_b32_e32 v6, 0, v6, vcc
	v_cmp_gt_u32_e32 vcc, 48, v15
	v_add_u32_e32 v5, v5, v6
	s_nop 0
	v_cndmask_b32_e64 v6, 0, 1, vcc
	v_lshlrev_b32_e32 v6, 4, v6
	v_add_lshl_u32 v72, v6, v66, 2
	ds_bpermute_b32 v6, v72, v5
	v_cmp_le_u32_e32 vcc, v73, v3
	s_waitcnt lgkmcnt(0)
	s_nop 0
	v_cndmask_b32_e32 v6, 0, v6, vcc
	v_cmp_gt_u32_e32 vcc, 32, v15
	v_add_u32_e32 v5, v5, v6
	s_nop 0
	v_cndmask_b32_e64 v6, 0, 1, vcc
	v_lshlrev_b32_e32 v6, 5, v6
	v_add_lshl_u32 v74, v6, v66, 2
	ds_bpermute_b32 v6, v74, v5
	v_cmp_le_u32_e32 vcc, v75, v3
	s_waitcnt lgkmcnt(0)
	s_nop 0
	v_cndmask_b32_e32 v3, 0, v6, vcc
	v_add_u32_e32 v6, v5, v3
	v_mov_b32_e32 v5, 0
	s_branch .LBB2708_58
.LBB2708_57:                            ;   in Loop: Header=BB2708_58 Depth=1
	s_or_b64 exec, exec, s[26:27]
	v_cmp_eq_u16_sdwa s[26:27], v7, v14 src0_sel:BYTE_0 src1_sel:DWORD
	ds_bpermute_b32 v76, v16, v6
	v_subrev_u32_e32 v4, 64, v4
	v_and_b32_e32 v10, s27, v9
	v_or_b32_e32 v10, 0x80000000, v10
	v_and_b32_e32 v11, s26, v8
	v_ffbl_b32_e32 v10, v10
	v_add_u32_e32 v10, 32, v10
	v_ffbl_b32_e32 v11, v11
	v_min_u32_e32 v10, v11, v10
	v_cmp_lt_u32_e32 vcc, v15, v10
	s_waitcnt lgkmcnt(0)
	s_nop 0
	v_cndmask_b32_e32 v11, 0, v76, vcc
	v_add_u32_e32 v6, v11, v6
	ds_bpermute_b32 v11, v17, v6
	v_cmp_le_u32_e32 vcc, v34, v10
	s_waitcnt lgkmcnt(0)
	s_nop 0
	v_cndmask_b32_e32 v11, 0, v11, vcc
	v_add_u32_e32 v6, v6, v11
	ds_bpermute_b32 v11, v35, v6
	v_cmp_le_u32_e32 vcc, v69, v10
	;; [unrolled: 6-line block ×5, first 2 shown]
	s_waitcnt lgkmcnt(0)
	s_nop 0
	v_cndmask_b32_e32 v10, 0, v11, vcc
	v_add3_u32 v6, v10, v3, v6
.LBB2708_58:                            ; =>This Loop Header: Depth=1
                                        ;     Child Loop BB2708_61 Depth 2
	v_cmp_ne_u16_sdwa s[26:27], v7, v14 src0_sel:BYTE_0 src1_sel:DWORD
	s_nop 1
	v_cndmask_b32_e64 v3, 0, 1, s[26:27]
	;;#ASMSTART
	;;#ASMEND
	s_nop 0
	v_cmp_ne_u32_e32 vcc, 0, v3
	s_cmp_lg_u64 vcc, exec
	v_mov_b32_e32 v3, v6
	s_cbranch_scc1 .LBB2708_63
; %bb.59:                               ;   in Loop: Header=BB2708_58 Depth=1
	v_lshl_add_u64 v[10:11], v[4:5], 3, s[24:25]
	global_load_dwordx2 v[6:7], v[10:11], off sc1
	s_waitcnt vmcnt(0)
	v_cmp_eq_u16_sdwa s[28:29], v7, v5 src0_sel:BYTE_0 src1_sel:DWORD
	s_and_saveexec_b64 s[26:27], s[28:29]
	s_cbranch_execz .LBB2708_57
; %bb.60:                               ;   in Loop: Header=BB2708_58 Depth=1
	s_mov_b64 s[28:29], 0
.LBB2708_61:                            ;   Parent Loop BB2708_58 Depth=1
                                        ; =>  This Inner Loop Header: Depth=2
	global_load_dwordx2 v[6:7], v[10:11], off sc1
	s_waitcnt vmcnt(0)
	v_cmp_ne_u16_sdwa s[34:35], v7, v5 src0_sel:BYTE_0 src1_sel:DWORD
	s_or_b64 s[28:29], s[34:35], s[28:29]
	s_andn2_b64 exec, exec, s[28:29]
	s_cbranch_execnz .LBB2708_61
; %bb.62:                               ;   in Loop: Header=BB2708_58 Depth=1
	s_or_b64 exec, exec, s[28:29]
	s_branch .LBB2708_57
.LBB2708_63:                            ;   in Loop: Header=BB2708_58 Depth=1
                                        ; implicit-def: $vgpr6
                                        ; implicit-def: $vgpr7
	s_cbranch_execz .LBB2708_58
; %bb.64:
	s_and_saveexec_b64 s[26:27], s[16:17]
	s_cbranch_execz .LBB2708_66
; %bb.65:
	s_add_i32 s28, s30, 64
	s_mov_b32 s29, 0
	s_lshl_b64 s[28:29], s[28:29], 3
	s_add_u32 s28, s24, s28
	v_add_u32_e32 v4, v3, v2
	v_mov_b32_e32 v5, 2
	s_addc_u32 s29, s25, s29
	v_mov_b32_e32 v6, 0
	global_store_dwordx2 v6, v[4:5], s[28:29] sc1
	ds_write_b64 v6, v[2:3] offset:30720
.LBB2708_66:
	s_or_b64 exec, exec, s[26:27]
	s_and_b64 exec, exec, s[18:19]
	s_cbranch_execz .LBB2708_68
; %bb.67:
	v_mov_b32_e32 v2, 0
	ds_write_b32 v2, v3 offset:28
.LBB2708_68:
	s_or_b64 exec, exec, s[0:1]
	v_mov_b32_e32 v14, 0
	s_waitcnt lgkmcnt(0)
	s_barrier
	ds_read_b32 v2, v14 offset:28
	v_cndmask_b32_e64 v3, v13, v12, s[16:17]
	v_cndmask_b32_e64 v3, v3, 0, s[18:19]
	s_waitcnt lgkmcnt(0)
	s_barrier
	v_add_u32_e32 v2, v2, v3
	v_add_u32_e32 v3, v2, v52
	;; [unrolled: 1-line block ×11, first 2 shown]
	ds_read_b64 v[34:35], v14 offset:30720
	v_add_u32_e32 v13, v12, v62
	v_add_u32_e32 v14, v13, v63
	;; [unrolled: 1-line block ×4, first 2 shown]
	s_branch .LBB2708_79
.LBB2708_69:
                                        ; implicit-def: $vgpr35
                                        ; implicit-def: $vgpr2_vgpr3_vgpr4_vgpr5_vgpr6_vgpr7_vgpr8_vgpr9_vgpr10_vgpr11_vgpr12_vgpr13_vgpr14_vgpr15_vgpr16_vgpr17
	s_cbranch_execz .LBB2708_79
; %bb.70:
	s_nop 0
	v_mov_b32_dpp v2, v68 row_shr:1 row_mask:0xf bank_mask:0xf
	v_cndmask_b32_e64 v2, v2, 0, s[14:15]
	v_add_u32_e32 v2, v2, v68
	s_nop 1
	v_mov_b32_dpp v3, v2 row_shr:2 row_mask:0xf bank_mask:0xf
	v_cndmask_b32_e64 v3, 0, v3, s[12:13]
	v_add_u32_e32 v2, v2, v3
	;; [unrolled: 4-line block ×4, first 2 shown]
	s_nop 1
	v_mov_b32_dpp v3, v2 row_bcast:15 row_mask:0xf bank_mask:0xf
	v_cndmask_b32_e64 v3, v3, 0, s[6:7]
	v_add_u32_e32 v2, v2, v3
	s_nop 1
	v_mov_b32_dpp v3, v2 row_bcast:31 row_mask:0xf bank_mask:0xf
	v_cndmask_b32_e64 v3, 0, v3, s[2:3]
	v_add_u32_e32 v2, v2, v3
	s_and_saveexec_b64 s[0:1], s[4:5]
	s_cbranch_execz .LBB2708_72
; %bb.71:
	v_lshlrev_b32_e32 v3, 2, v67
	ds_write_b32 v3, v2
.LBB2708_72:
	s_or_b64 exec, exec, s[0:1]
	v_cmp_gt_u32_e32 vcc, 8, v0
	s_waitcnt lgkmcnt(0)
	s_barrier
	s_and_saveexec_b64 s[0:1], vcc
	s_cbranch_execz .LBB2708_74
; %bb.73:
	v_lshlrev_b32_e32 v3, 2, v0
	ds_read_b32 v4, v3
	v_and_b32_e32 v5, 7, v66
	v_cmp_ne_u32_e32 vcc, 0, v5
	s_waitcnt lgkmcnt(0)
	v_mov_b32_dpp v6, v4 row_shr:1 row_mask:0xf bank_mask:0xf
	v_cndmask_b32_e32 v6, 0, v6, vcc
	v_add_u32_e32 v4, v6, v4
	v_cmp_lt_u32_e32 vcc, 1, v5
	s_nop 0
	v_mov_b32_dpp v6, v4 row_shr:2 row_mask:0xf bank_mask:0xf
	v_cndmask_b32_e32 v6, 0, v6, vcc
	v_add_u32_e32 v4, v4, v6
	v_cmp_lt_u32_e32 vcc, 3, v5
	s_nop 0
	v_mov_b32_dpp v6, v4 row_shr:4 row_mask:0xf bank_mask:0xf
	v_cndmask_b32_e32 v5, 0, v6, vcc
	v_add_u32_e32 v4, v4, v5
	ds_write_b32 v3, v4
.LBB2708_74:
	s_or_b64 exec, exec, s[0:1]
	v_cmp_lt_u32_e32 vcc, 63, v0
	v_mov_b32_e32 v3, 0
	v_mov_b32_e32 v0, 0
	s_waitcnt lgkmcnt(0)
	s_barrier
	s_and_saveexec_b64 s[0:1], vcc
	s_cbranch_execz .LBB2708_76
; %bb.75:
	v_lshl_add_u32 v0, v67, 2, -4
	ds_read_b32 v0, v0
.LBB2708_76:
	s_or_b64 exec, exec, s[0:1]
	v_add_u32_e32 v4, -1, v66
	v_and_b32_e32 v5, 64, v66
	v_cmp_lt_i32_e32 vcc, v4, v5
	s_waitcnt lgkmcnt(0)
	v_add_u32_e32 v2, v0, v2
	ds_read_b32 v34, v3 offset:28
	v_cndmask_b32_e32 v4, v4, v66, vcc
	v_lshlrev_b32_e32 v4, 2, v4
	ds_bpermute_b32 v2, v4, v2
	s_and_saveexec_b64 s[0:1], s[18:19]
	s_cbranch_execz .LBB2708_78
; %bb.77:
	v_mov_b32_e32 v3, 0
	v_mov_b32_e32 v35, 2
	s_waitcnt lgkmcnt(1)
	global_store_dwordx2 v3, v[34:35], s[24:25] offset:512 sc1
.LBB2708_78:
	s_or_b64 exec, exec, s[0:1]
	v_cmp_eq_u32_e32 vcc, 0, v66
	v_mov_b32_e32 v35, 0
	s_waitcnt lgkmcnt(0)
	v_cndmask_b32_e32 v0, v2, v0, vcc
	v_cndmask_b32_e64 v2, v0, 0, s[18:19]
	v_add_u32_e32 v3, v2, v52
	v_add_u32_e32 v4, v3, v53
	;; [unrolled: 1-line block ×14, first 2 shown]
	s_barrier
.LBB2708_79:
	s_waitcnt lgkmcnt(0)
	v_add_u32_e32 v0, v34, v38
	v_sub_u32_e32 v2, v2, v35
	v_and_b32_e32 v38, 1, v51
	v_sub_u32_e32 v17, v0, v2
	v_cmp_eq_u32_e32 vcc, 1, v38
	s_and_b64 s[0:1], s[18:19], s[22:23]
	s_nop 0
	v_cndmask_b32_e32 v2, v17, v2, vcc
	v_lshlrev_b32_e32 v2, 2, v2
	ds_write_b32 v2, v32
	v_sub_u32_e32 v2, v3, v35
	v_sub_u32_e32 v3, v0, v2
	v_and_b32_e32 v17, 1, v50
	v_add_u32_e32 v3, 1, v3
	v_cmp_eq_u32_e32 vcc, 1, v17
	s_nop 1
	v_cndmask_b32_e32 v2, v3, v2, vcc
	v_lshlrev_b32_e32 v2, 2, v2
	ds_write_b32 v2, v33
	v_sub_u32_e32 v2, v4, v35
	v_sub_u32_e32 v3, v0, v2
	v_and_b32_e32 v4, 1, v49
	v_add_u32_e32 v3, 2, v3
	v_cmp_eq_u32_e32 vcc, 1, v4
	v_and_b32_e32 v4, 1, v48
	s_nop 0
	v_cndmask_b32_e32 v2, v3, v2, vcc
	v_lshlrev_b32_e32 v2, 2, v2
	ds_write_b32 v2, v30
	v_sub_u32_e32 v2, v5, v35
	v_sub_u32_e32 v3, v0, v2
	v_add_u32_e32 v3, 3, v3
	v_cmp_eq_u32_e32 vcc, 1, v4
	v_and_b32_e32 v4, 1, v47
	s_nop 0
	v_cndmask_b32_e32 v2, v3, v2, vcc
	v_lshlrev_b32_e32 v2, 2, v2
	ds_write_b32 v2, v31
	v_sub_u32_e32 v2, v6, v35
	v_sub_u32_e32 v3, v0, v2
	;; [unrolled: 9-line block ×11, first 2 shown]
	v_add_u32_e32 v3, 13, v3
	v_cmp_eq_u32_e32 vcc, 1, v4
	s_nop 1
	v_cndmask_b32_e32 v2, v3, v2, vcc
	v_lshlrev_b32_e32 v2, 2, v2
	ds_write_b32 v2, v21
	v_sub_u32_e32 v2, v16, v35
	v_sub_u32_e32 v0, v0, v2
	v_and_b32_e32 v3, 1, v36
	v_add_u32_e32 v0, 14, v0
	v_cmp_eq_u32_e32 vcc, 1, v3
	s_nop 1
	v_cndmask_b32_e32 v0, v0, v2, vcc
	v_lshlrev_b32_e32 v0, 2, v0
	ds_write_b32 v0, v1
	s_waitcnt lgkmcnt(0)
	s_barrier
	s_and_saveexec_b64 s[2:3], s[0:1]
	s_cbranch_execz .LBB2708_81
; %bb.80:
	v_mov_b32_e32 v1, 0
	v_mov_b32_e32 v0, v34
	s_waitcnt vmcnt(0)
	v_lshl_add_u64 v[2:3], v[18:19], 0, v[0:1]
	v_mov_b32_e32 v0, v35
	v_lshl_add_u64 v[2:3], v[2:3], 0, v[0:1]
	global_store_dwordx2 v1, v[2:3], s[20:21]
.LBB2708_81:
	s_endpgm
	.section	.rodata,"a",@progbits
	.p2align	6, 0x0
	.amdhsa_kernel _ZN7rocprim17ROCPRIM_400000_NS6detail17trampoline_kernelINS0_14default_configENS1_25partition_config_selectorILNS1_17partition_subalgoE0EiNS0_10empty_typeEbEEZZNS1_14partition_implILS5_0ELb0ES3_jN6thrust23THRUST_200600_302600_NS6detail15normal_iteratorINSA_10device_ptrIiEEEEPS6_SG_NS0_5tupleIJNSA_16discard_iteratorINSA_11use_defaultEEESK_EEENSH_IJSG_SG_EEES6_PlJ7is_evenIiEEEE10hipError_tPvRmT3_T4_T5_T6_T7_T9_mT8_P12ihipStream_tbDpT10_ENKUlT_T0_E_clISt17integral_constantIbLb0EES18_IbLb1EEEEDaS14_S15_EUlS14_E_NS1_11comp_targetILNS1_3genE5ELNS1_11target_archE942ELNS1_3gpuE9ELNS1_3repE0EEENS1_30default_config_static_selectorELNS0_4arch9wavefront6targetE1EEEvT1_
		.amdhsa_group_segment_fixed_size 30728
		.amdhsa_private_segment_fixed_size 0
		.amdhsa_kernarg_size 152
		.amdhsa_user_sgpr_count 2
		.amdhsa_user_sgpr_dispatch_ptr 0
		.amdhsa_user_sgpr_queue_ptr 0
		.amdhsa_user_sgpr_kernarg_segment_ptr 1
		.amdhsa_user_sgpr_dispatch_id 0
		.amdhsa_user_sgpr_kernarg_preload_length 0
		.amdhsa_user_sgpr_kernarg_preload_offset 0
		.amdhsa_user_sgpr_private_segment_size 0
		.amdhsa_uses_dynamic_stack 0
		.amdhsa_enable_private_segment 0
		.amdhsa_system_sgpr_workgroup_id_x 1
		.amdhsa_system_sgpr_workgroup_id_y 0
		.amdhsa_system_sgpr_workgroup_id_z 0
		.amdhsa_system_sgpr_workgroup_info 0
		.amdhsa_system_vgpr_workitem_id 0
		.amdhsa_next_free_vgpr 77
		.amdhsa_next_free_sgpr 36
		.amdhsa_accum_offset 80
		.amdhsa_reserve_vcc 1
		.amdhsa_float_round_mode_32 0
		.amdhsa_float_round_mode_16_64 0
		.amdhsa_float_denorm_mode_32 3
		.amdhsa_float_denorm_mode_16_64 3
		.amdhsa_dx10_clamp 1
		.amdhsa_ieee_mode 1
		.amdhsa_fp16_overflow 0
		.amdhsa_tg_split 0
		.amdhsa_exception_fp_ieee_invalid_op 0
		.amdhsa_exception_fp_denorm_src 0
		.amdhsa_exception_fp_ieee_div_zero 0
		.amdhsa_exception_fp_ieee_overflow 0
		.amdhsa_exception_fp_ieee_underflow 0
		.amdhsa_exception_fp_ieee_inexact 0
		.amdhsa_exception_int_div_zero 0
	.end_amdhsa_kernel
	.section	.text._ZN7rocprim17ROCPRIM_400000_NS6detail17trampoline_kernelINS0_14default_configENS1_25partition_config_selectorILNS1_17partition_subalgoE0EiNS0_10empty_typeEbEEZZNS1_14partition_implILS5_0ELb0ES3_jN6thrust23THRUST_200600_302600_NS6detail15normal_iteratorINSA_10device_ptrIiEEEEPS6_SG_NS0_5tupleIJNSA_16discard_iteratorINSA_11use_defaultEEESK_EEENSH_IJSG_SG_EEES6_PlJ7is_evenIiEEEE10hipError_tPvRmT3_T4_T5_T6_T7_T9_mT8_P12ihipStream_tbDpT10_ENKUlT_T0_E_clISt17integral_constantIbLb0EES18_IbLb1EEEEDaS14_S15_EUlS14_E_NS1_11comp_targetILNS1_3genE5ELNS1_11target_archE942ELNS1_3gpuE9ELNS1_3repE0EEENS1_30default_config_static_selectorELNS0_4arch9wavefront6targetE1EEEvT1_,"axG",@progbits,_ZN7rocprim17ROCPRIM_400000_NS6detail17trampoline_kernelINS0_14default_configENS1_25partition_config_selectorILNS1_17partition_subalgoE0EiNS0_10empty_typeEbEEZZNS1_14partition_implILS5_0ELb0ES3_jN6thrust23THRUST_200600_302600_NS6detail15normal_iteratorINSA_10device_ptrIiEEEEPS6_SG_NS0_5tupleIJNSA_16discard_iteratorINSA_11use_defaultEEESK_EEENSH_IJSG_SG_EEES6_PlJ7is_evenIiEEEE10hipError_tPvRmT3_T4_T5_T6_T7_T9_mT8_P12ihipStream_tbDpT10_ENKUlT_T0_E_clISt17integral_constantIbLb0EES18_IbLb1EEEEDaS14_S15_EUlS14_E_NS1_11comp_targetILNS1_3genE5ELNS1_11target_archE942ELNS1_3gpuE9ELNS1_3repE0EEENS1_30default_config_static_selectorELNS0_4arch9wavefront6targetE1EEEvT1_,comdat
.Lfunc_end2708:
	.size	_ZN7rocprim17ROCPRIM_400000_NS6detail17trampoline_kernelINS0_14default_configENS1_25partition_config_selectorILNS1_17partition_subalgoE0EiNS0_10empty_typeEbEEZZNS1_14partition_implILS5_0ELb0ES3_jN6thrust23THRUST_200600_302600_NS6detail15normal_iteratorINSA_10device_ptrIiEEEEPS6_SG_NS0_5tupleIJNSA_16discard_iteratorINSA_11use_defaultEEESK_EEENSH_IJSG_SG_EEES6_PlJ7is_evenIiEEEE10hipError_tPvRmT3_T4_T5_T6_T7_T9_mT8_P12ihipStream_tbDpT10_ENKUlT_T0_E_clISt17integral_constantIbLb0EES18_IbLb1EEEEDaS14_S15_EUlS14_E_NS1_11comp_targetILNS1_3genE5ELNS1_11target_archE942ELNS1_3gpuE9ELNS1_3repE0EEENS1_30default_config_static_selectorELNS0_4arch9wavefront6targetE1EEEvT1_, .Lfunc_end2708-_ZN7rocprim17ROCPRIM_400000_NS6detail17trampoline_kernelINS0_14default_configENS1_25partition_config_selectorILNS1_17partition_subalgoE0EiNS0_10empty_typeEbEEZZNS1_14partition_implILS5_0ELb0ES3_jN6thrust23THRUST_200600_302600_NS6detail15normal_iteratorINSA_10device_ptrIiEEEEPS6_SG_NS0_5tupleIJNSA_16discard_iteratorINSA_11use_defaultEEESK_EEENSH_IJSG_SG_EEES6_PlJ7is_evenIiEEEE10hipError_tPvRmT3_T4_T5_T6_T7_T9_mT8_P12ihipStream_tbDpT10_ENKUlT_T0_E_clISt17integral_constantIbLb0EES18_IbLb1EEEEDaS14_S15_EUlS14_E_NS1_11comp_targetILNS1_3genE5ELNS1_11target_archE942ELNS1_3gpuE9ELNS1_3repE0EEENS1_30default_config_static_selectorELNS0_4arch9wavefront6targetE1EEEvT1_
                                        ; -- End function
	.section	.AMDGPU.csdata,"",@progbits
; Kernel info:
; codeLenInByte = 4920
; NumSgprs: 42
; NumVgprs: 77
; NumAgprs: 0
; TotalNumVgprs: 77
; ScratchSize: 0
; MemoryBound: 0
; FloatMode: 240
; IeeeMode: 1
; LDSByteSize: 30728 bytes/workgroup (compile time only)
; SGPRBlocks: 5
; VGPRBlocks: 9
; NumSGPRsForWavesPerEU: 42
; NumVGPRsForWavesPerEU: 77
; AccumOffset: 80
; Occupancy: 4
; WaveLimiterHint : 1
; COMPUTE_PGM_RSRC2:SCRATCH_EN: 0
; COMPUTE_PGM_RSRC2:USER_SGPR: 2
; COMPUTE_PGM_RSRC2:TRAP_HANDLER: 0
; COMPUTE_PGM_RSRC2:TGID_X_EN: 1
; COMPUTE_PGM_RSRC2:TGID_Y_EN: 0
; COMPUTE_PGM_RSRC2:TGID_Z_EN: 0
; COMPUTE_PGM_RSRC2:TIDIG_COMP_CNT: 0
; COMPUTE_PGM_RSRC3_GFX90A:ACCUM_OFFSET: 19
; COMPUTE_PGM_RSRC3_GFX90A:TG_SPLIT: 0
	.section	.text._ZN7rocprim17ROCPRIM_400000_NS6detail17trampoline_kernelINS0_14default_configENS1_25partition_config_selectorILNS1_17partition_subalgoE0EiNS0_10empty_typeEbEEZZNS1_14partition_implILS5_0ELb0ES3_jN6thrust23THRUST_200600_302600_NS6detail15normal_iteratorINSA_10device_ptrIiEEEEPS6_SG_NS0_5tupleIJNSA_16discard_iteratorINSA_11use_defaultEEESK_EEENSH_IJSG_SG_EEES6_PlJ7is_evenIiEEEE10hipError_tPvRmT3_T4_T5_T6_T7_T9_mT8_P12ihipStream_tbDpT10_ENKUlT_T0_E_clISt17integral_constantIbLb0EES18_IbLb1EEEEDaS14_S15_EUlS14_E_NS1_11comp_targetILNS1_3genE4ELNS1_11target_archE910ELNS1_3gpuE8ELNS1_3repE0EEENS1_30default_config_static_selectorELNS0_4arch9wavefront6targetE1EEEvT1_,"axG",@progbits,_ZN7rocprim17ROCPRIM_400000_NS6detail17trampoline_kernelINS0_14default_configENS1_25partition_config_selectorILNS1_17partition_subalgoE0EiNS0_10empty_typeEbEEZZNS1_14partition_implILS5_0ELb0ES3_jN6thrust23THRUST_200600_302600_NS6detail15normal_iteratorINSA_10device_ptrIiEEEEPS6_SG_NS0_5tupleIJNSA_16discard_iteratorINSA_11use_defaultEEESK_EEENSH_IJSG_SG_EEES6_PlJ7is_evenIiEEEE10hipError_tPvRmT3_T4_T5_T6_T7_T9_mT8_P12ihipStream_tbDpT10_ENKUlT_T0_E_clISt17integral_constantIbLb0EES18_IbLb1EEEEDaS14_S15_EUlS14_E_NS1_11comp_targetILNS1_3genE4ELNS1_11target_archE910ELNS1_3gpuE8ELNS1_3repE0EEENS1_30default_config_static_selectorELNS0_4arch9wavefront6targetE1EEEvT1_,comdat
	.protected	_ZN7rocprim17ROCPRIM_400000_NS6detail17trampoline_kernelINS0_14default_configENS1_25partition_config_selectorILNS1_17partition_subalgoE0EiNS0_10empty_typeEbEEZZNS1_14partition_implILS5_0ELb0ES3_jN6thrust23THRUST_200600_302600_NS6detail15normal_iteratorINSA_10device_ptrIiEEEEPS6_SG_NS0_5tupleIJNSA_16discard_iteratorINSA_11use_defaultEEESK_EEENSH_IJSG_SG_EEES6_PlJ7is_evenIiEEEE10hipError_tPvRmT3_T4_T5_T6_T7_T9_mT8_P12ihipStream_tbDpT10_ENKUlT_T0_E_clISt17integral_constantIbLb0EES18_IbLb1EEEEDaS14_S15_EUlS14_E_NS1_11comp_targetILNS1_3genE4ELNS1_11target_archE910ELNS1_3gpuE8ELNS1_3repE0EEENS1_30default_config_static_selectorELNS0_4arch9wavefront6targetE1EEEvT1_ ; -- Begin function _ZN7rocprim17ROCPRIM_400000_NS6detail17trampoline_kernelINS0_14default_configENS1_25partition_config_selectorILNS1_17partition_subalgoE0EiNS0_10empty_typeEbEEZZNS1_14partition_implILS5_0ELb0ES3_jN6thrust23THRUST_200600_302600_NS6detail15normal_iteratorINSA_10device_ptrIiEEEEPS6_SG_NS0_5tupleIJNSA_16discard_iteratorINSA_11use_defaultEEESK_EEENSH_IJSG_SG_EEES6_PlJ7is_evenIiEEEE10hipError_tPvRmT3_T4_T5_T6_T7_T9_mT8_P12ihipStream_tbDpT10_ENKUlT_T0_E_clISt17integral_constantIbLb0EES18_IbLb1EEEEDaS14_S15_EUlS14_E_NS1_11comp_targetILNS1_3genE4ELNS1_11target_archE910ELNS1_3gpuE8ELNS1_3repE0EEENS1_30default_config_static_selectorELNS0_4arch9wavefront6targetE1EEEvT1_
	.globl	_ZN7rocprim17ROCPRIM_400000_NS6detail17trampoline_kernelINS0_14default_configENS1_25partition_config_selectorILNS1_17partition_subalgoE0EiNS0_10empty_typeEbEEZZNS1_14partition_implILS5_0ELb0ES3_jN6thrust23THRUST_200600_302600_NS6detail15normal_iteratorINSA_10device_ptrIiEEEEPS6_SG_NS0_5tupleIJNSA_16discard_iteratorINSA_11use_defaultEEESK_EEENSH_IJSG_SG_EEES6_PlJ7is_evenIiEEEE10hipError_tPvRmT3_T4_T5_T6_T7_T9_mT8_P12ihipStream_tbDpT10_ENKUlT_T0_E_clISt17integral_constantIbLb0EES18_IbLb1EEEEDaS14_S15_EUlS14_E_NS1_11comp_targetILNS1_3genE4ELNS1_11target_archE910ELNS1_3gpuE8ELNS1_3repE0EEENS1_30default_config_static_selectorELNS0_4arch9wavefront6targetE1EEEvT1_
	.p2align	8
	.type	_ZN7rocprim17ROCPRIM_400000_NS6detail17trampoline_kernelINS0_14default_configENS1_25partition_config_selectorILNS1_17partition_subalgoE0EiNS0_10empty_typeEbEEZZNS1_14partition_implILS5_0ELb0ES3_jN6thrust23THRUST_200600_302600_NS6detail15normal_iteratorINSA_10device_ptrIiEEEEPS6_SG_NS0_5tupleIJNSA_16discard_iteratorINSA_11use_defaultEEESK_EEENSH_IJSG_SG_EEES6_PlJ7is_evenIiEEEE10hipError_tPvRmT3_T4_T5_T6_T7_T9_mT8_P12ihipStream_tbDpT10_ENKUlT_T0_E_clISt17integral_constantIbLb0EES18_IbLb1EEEEDaS14_S15_EUlS14_E_NS1_11comp_targetILNS1_3genE4ELNS1_11target_archE910ELNS1_3gpuE8ELNS1_3repE0EEENS1_30default_config_static_selectorELNS0_4arch9wavefront6targetE1EEEvT1_,@function
_ZN7rocprim17ROCPRIM_400000_NS6detail17trampoline_kernelINS0_14default_configENS1_25partition_config_selectorILNS1_17partition_subalgoE0EiNS0_10empty_typeEbEEZZNS1_14partition_implILS5_0ELb0ES3_jN6thrust23THRUST_200600_302600_NS6detail15normal_iteratorINSA_10device_ptrIiEEEEPS6_SG_NS0_5tupleIJNSA_16discard_iteratorINSA_11use_defaultEEESK_EEENSH_IJSG_SG_EEES6_PlJ7is_evenIiEEEE10hipError_tPvRmT3_T4_T5_T6_T7_T9_mT8_P12ihipStream_tbDpT10_ENKUlT_T0_E_clISt17integral_constantIbLb0EES18_IbLb1EEEEDaS14_S15_EUlS14_E_NS1_11comp_targetILNS1_3genE4ELNS1_11target_archE910ELNS1_3gpuE8ELNS1_3repE0EEENS1_30default_config_static_selectorELNS0_4arch9wavefront6targetE1EEEvT1_: ; @_ZN7rocprim17ROCPRIM_400000_NS6detail17trampoline_kernelINS0_14default_configENS1_25partition_config_selectorILNS1_17partition_subalgoE0EiNS0_10empty_typeEbEEZZNS1_14partition_implILS5_0ELb0ES3_jN6thrust23THRUST_200600_302600_NS6detail15normal_iteratorINSA_10device_ptrIiEEEEPS6_SG_NS0_5tupleIJNSA_16discard_iteratorINSA_11use_defaultEEESK_EEENSH_IJSG_SG_EEES6_PlJ7is_evenIiEEEE10hipError_tPvRmT3_T4_T5_T6_T7_T9_mT8_P12ihipStream_tbDpT10_ENKUlT_T0_E_clISt17integral_constantIbLb0EES18_IbLb1EEEEDaS14_S15_EUlS14_E_NS1_11comp_targetILNS1_3genE4ELNS1_11target_archE910ELNS1_3gpuE8ELNS1_3repE0EEENS1_30default_config_static_selectorELNS0_4arch9wavefront6targetE1EEEvT1_
; %bb.0:
	.section	.rodata,"a",@progbits
	.p2align	6, 0x0
	.amdhsa_kernel _ZN7rocprim17ROCPRIM_400000_NS6detail17trampoline_kernelINS0_14default_configENS1_25partition_config_selectorILNS1_17partition_subalgoE0EiNS0_10empty_typeEbEEZZNS1_14partition_implILS5_0ELb0ES3_jN6thrust23THRUST_200600_302600_NS6detail15normal_iteratorINSA_10device_ptrIiEEEEPS6_SG_NS0_5tupleIJNSA_16discard_iteratorINSA_11use_defaultEEESK_EEENSH_IJSG_SG_EEES6_PlJ7is_evenIiEEEE10hipError_tPvRmT3_T4_T5_T6_T7_T9_mT8_P12ihipStream_tbDpT10_ENKUlT_T0_E_clISt17integral_constantIbLb0EES18_IbLb1EEEEDaS14_S15_EUlS14_E_NS1_11comp_targetILNS1_3genE4ELNS1_11target_archE910ELNS1_3gpuE8ELNS1_3repE0EEENS1_30default_config_static_selectorELNS0_4arch9wavefront6targetE1EEEvT1_
		.amdhsa_group_segment_fixed_size 0
		.amdhsa_private_segment_fixed_size 0
		.amdhsa_kernarg_size 152
		.amdhsa_user_sgpr_count 2
		.amdhsa_user_sgpr_dispatch_ptr 0
		.amdhsa_user_sgpr_queue_ptr 0
		.amdhsa_user_sgpr_kernarg_segment_ptr 1
		.amdhsa_user_sgpr_dispatch_id 0
		.amdhsa_user_sgpr_kernarg_preload_length 0
		.amdhsa_user_sgpr_kernarg_preload_offset 0
		.amdhsa_user_sgpr_private_segment_size 0
		.amdhsa_uses_dynamic_stack 0
		.amdhsa_enable_private_segment 0
		.amdhsa_system_sgpr_workgroup_id_x 1
		.amdhsa_system_sgpr_workgroup_id_y 0
		.amdhsa_system_sgpr_workgroup_id_z 0
		.amdhsa_system_sgpr_workgroup_info 0
		.amdhsa_system_vgpr_workitem_id 0
		.amdhsa_next_free_vgpr 1
		.amdhsa_next_free_sgpr 0
		.amdhsa_accum_offset 4
		.amdhsa_reserve_vcc 0
		.amdhsa_float_round_mode_32 0
		.amdhsa_float_round_mode_16_64 0
		.amdhsa_float_denorm_mode_32 3
		.amdhsa_float_denorm_mode_16_64 3
		.amdhsa_dx10_clamp 1
		.amdhsa_ieee_mode 1
		.amdhsa_fp16_overflow 0
		.amdhsa_tg_split 0
		.amdhsa_exception_fp_ieee_invalid_op 0
		.amdhsa_exception_fp_denorm_src 0
		.amdhsa_exception_fp_ieee_div_zero 0
		.amdhsa_exception_fp_ieee_overflow 0
		.amdhsa_exception_fp_ieee_underflow 0
		.amdhsa_exception_fp_ieee_inexact 0
		.amdhsa_exception_int_div_zero 0
	.end_amdhsa_kernel
	.section	.text._ZN7rocprim17ROCPRIM_400000_NS6detail17trampoline_kernelINS0_14default_configENS1_25partition_config_selectorILNS1_17partition_subalgoE0EiNS0_10empty_typeEbEEZZNS1_14partition_implILS5_0ELb0ES3_jN6thrust23THRUST_200600_302600_NS6detail15normal_iteratorINSA_10device_ptrIiEEEEPS6_SG_NS0_5tupleIJNSA_16discard_iteratorINSA_11use_defaultEEESK_EEENSH_IJSG_SG_EEES6_PlJ7is_evenIiEEEE10hipError_tPvRmT3_T4_T5_T6_T7_T9_mT8_P12ihipStream_tbDpT10_ENKUlT_T0_E_clISt17integral_constantIbLb0EES18_IbLb1EEEEDaS14_S15_EUlS14_E_NS1_11comp_targetILNS1_3genE4ELNS1_11target_archE910ELNS1_3gpuE8ELNS1_3repE0EEENS1_30default_config_static_selectorELNS0_4arch9wavefront6targetE1EEEvT1_,"axG",@progbits,_ZN7rocprim17ROCPRIM_400000_NS6detail17trampoline_kernelINS0_14default_configENS1_25partition_config_selectorILNS1_17partition_subalgoE0EiNS0_10empty_typeEbEEZZNS1_14partition_implILS5_0ELb0ES3_jN6thrust23THRUST_200600_302600_NS6detail15normal_iteratorINSA_10device_ptrIiEEEEPS6_SG_NS0_5tupleIJNSA_16discard_iteratorINSA_11use_defaultEEESK_EEENSH_IJSG_SG_EEES6_PlJ7is_evenIiEEEE10hipError_tPvRmT3_T4_T5_T6_T7_T9_mT8_P12ihipStream_tbDpT10_ENKUlT_T0_E_clISt17integral_constantIbLb0EES18_IbLb1EEEEDaS14_S15_EUlS14_E_NS1_11comp_targetILNS1_3genE4ELNS1_11target_archE910ELNS1_3gpuE8ELNS1_3repE0EEENS1_30default_config_static_selectorELNS0_4arch9wavefront6targetE1EEEvT1_,comdat
.Lfunc_end2709:
	.size	_ZN7rocprim17ROCPRIM_400000_NS6detail17trampoline_kernelINS0_14default_configENS1_25partition_config_selectorILNS1_17partition_subalgoE0EiNS0_10empty_typeEbEEZZNS1_14partition_implILS5_0ELb0ES3_jN6thrust23THRUST_200600_302600_NS6detail15normal_iteratorINSA_10device_ptrIiEEEEPS6_SG_NS0_5tupleIJNSA_16discard_iteratorINSA_11use_defaultEEESK_EEENSH_IJSG_SG_EEES6_PlJ7is_evenIiEEEE10hipError_tPvRmT3_T4_T5_T6_T7_T9_mT8_P12ihipStream_tbDpT10_ENKUlT_T0_E_clISt17integral_constantIbLb0EES18_IbLb1EEEEDaS14_S15_EUlS14_E_NS1_11comp_targetILNS1_3genE4ELNS1_11target_archE910ELNS1_3gpuE8ELNS1_3repE0EEENS1_30default_config_static_selectorELNS0_4arch9wavefront6targetE1EEEvT1_, .Lfunc_end2709-_ZN7rocprim17ROCPRIM_400000_NS6detail17trampoline_kernelINS0_14default_configENS1_25partition_config_selectorILNS1_17partition_subalgoE0EiNS0_10empty_typeEbEEZZNS1_14partition_implILS5_0ELb0ES3_jN6thrust23THRUST_200600_302600_NS6detail15normal_iteratorINSA_10device_ptrIiEEEEPS6_SG_NS0_5tupleIJNSA_16discard_iteratorINSA_11use_defaultEEESK_EEENSH_IJSG_SG_EEES6_PlJ7is_evenIiEEEE10hipError_tPvRmT3_T4_T5_T6_T7_T9_mT8_P12ihipStream_tbDpT10_ENKUlT_T0_E_clISt17integral_constantIbLb0EES18_IbLb1EEEEDaS14_S15_EUlS14_E_NS1_11comp_targetILNS1_3genE4ELNS1_11target_archE910ELNS1_3gpuE8ELNS1_3repE0EEENS1_30default_config_static_selectorELNS0_4arch9wavefront6targetE1EEEvT1_
                                        ; -- End function
	.section	.AMDGPU.csdata,"",@progbits
; Kernel info:
; codeLenInByte = 0
; NumSgprs: 6
; NumVgprs: 0
; NumAgprs: 0
; TotalNumVgprs: 0
; ScratchSize: 0
; MemoryBound: 0
; FloatMode: 240
; IeeeMode: 1
; LDSByteSize: 0 bytes/workgroup (compile time only)
; SGPRBlocks: 0
; VGPRBlocks: 0
; NumSGPRsForWavesPerEU: 6
; NumVGPRsForWavesPerEU: 1
; AccumOffset: 4
; Occupancy: 8
; WaveLimiterHint : 0
; COMPUTE_PGM_RSRC2:SCRATCH_EN: 0
; COMPUTE_PGM_RSRC2:USER_SGPR: 2
; COMPUTE_PGM_RSRC2:TRAP_HANDLER: 0
; COMPUTE_PGM_RSRC2:TGID_X_EN: 1
; COMPUTE_PGM_RSRC2:TGID_Y_EN: 0
; COMPUTE_PGM_RSRC2:TGID_Z_EN: 0
; COMPUTE_PGM_RSRC2:TIDIG_COMP_CNT: 0
; COMPUTE_PGM_RSRC3_GFX90A:ACCUM_OFFSET: 0
; COMPUTE_PGM_RSRC3_GFX90A:TG_SPLIT: 0
	.section	.text._ZN7rocprim17ROCPRIM_400000_NS6detail17trampoline_kernelINS0_14default_configENS1_25partition_config_selectorILNS1_17partition_subalgoE0EiNS0_10empty_typeEbEEZZNS1_14partition_implILS5_0ELb0ES3_jN6thrust23THRUST_200600_302600_NS6detail15normal_iteratorINSA_10device_ptrIiEEEEPS6_SG_NS0_5tupleIJNSA_16discard_iteratorINSA_11use_defaultEEESK_EEENSH_IJSG_SG_EEES6_PlJ7is_evenIiEEEE10hipError_tPvRmT3_T4_T5_T6_T7_T9_mT8_P12ihipStream_tbDpT10_ENKUlT_T0_E_clISt17integral_constantIbLb0EES18_IbLb1EEEEDaS14_S15_EUlS14_E_NS1_11comp_targetILNS1_3genE3ELNS1_11target_archE908ELNS1_3gpuE7ELNS1_3repE0EEENS1_30default_config_static_selectorELNS0_4arch9wavefront6targetE1EEEvT1_,"axG",@progbits,_ZN7rocprim17ROCPRIM_400000_NS6detail17trampoline_kernelINS0_14default_configENS1_25partition_config_selectorILNS1_17partition_subalgoE0EiNS0_10empty_typeEbEEZZNS1_14partition_implILS5_0ELb0ES3_jN6thrust23THRUST_200600_302600_NS6detail15normal_iteratorINSA_10device_ptrIiEEEEPS6_SG_NS0_5tupleIJNSA_16discard_iteratorINSA_11use_defaultEEESK_EEENSH_IJSG_SG_EEES6_PlJ7is_evenIiEEEE10hipError_tPvRmT3_T4_T5_T6_T7_T9_mT8_P12ihipStream_tbDpT10_ENKUlT_T0_E_clISt17integral_constantIbLb0EES18_IbLb1EEEEDaS14_S15_EUlS14_E_NS1_11comp_targetILNS1_3genE3ELNS1_11target_archE908ELNS1_3gpuE7ELNS1_3repE0EEENS1_30default_config_static_selectorELNS0_4arch9wavefront6targetE1EEEvT1_,comdat
	.protected	_ZN7rocprim17ROCPRIM_400000_NS6detail17trampoline_kernelINS0_14default_configENS1_25partition_config_selectorILNS1_17partition_subalgoE0EiNS0_10empty_typeEbEEZZNS1_14partition_implILS5_0ELb0ES3_jN6thrust23THRUST_200600_302600_NS6detail15normal_iteratorINSA_10device_ptrIiEEEEPS6_SG_NS0_5tupleIJNSA_16discard_iteratorINSA_11use_defaultEEESK_EEENSH_IJSG_SG_EEES6_PlJ7is_evenIiEEEE10hipError_tPvRmT3_T4_T5_T6_T7_T9_mT8_P12ihipStream_tbDpT10_ENKUlT_T0_E_clISt17integral_constantIbLb0EES18_IbLb1EEEEDaS14_S15_EUlS14_E_NS1_11comp_targetILNS1_3genE3ELNS1_11target_archE908ELNS1_3gpuE7ELNS1_3repE0EEENS1_30default_config_static_selectorELNS0_4arch9wavefront6targetE1EEEvT1_ ; -- Begin function _ZN7rocprim17ROCPRIM_400000_NS6detail17trampoline_kernelINS0_14default_configENS1_25partition_config_selectorILNS1_17partition_subalgoE0EiNS0_10empty_typeEbEEZZNS1_14partition_implILS5_0ELb0ES3_jN6thrust23THRUST_200600_302600_NS6detail15normal_iteratorINSA_10device_ptrIiEEEEPS6_SG_NS0_5tupleIJNSA_16discard_iteratorINSA_11use_defaultEEESK_EEENSH_IJSG_SG_EEES6_PlJ7is_evenIiEEEE10hipError_tPvRmT3_T4_T5_T6_T7_T9_mT8_P12ihipStream_tbDpT10_ENKUlT_T0_E_clISt17integral_constantIbLb0EES18_IbLb1EEEEDaS14_S15_EUlS14_E_NS1_11comp_targetILNS1_3genE3ELNS1_11target_archE908ELNS1_3gpuE7ELNS1_3repE0EEENS1_30default_config_static_selectorELNS0_4arch9wavefront6targetE1EEEvT1_
	.globl	_ZN7rocprim17ROCPRIM_400000_NS6detail17trampoline_kernelINS0_14default_configENS1_25partition_config_selectorILNS1_17partition_subalgoE0EiNS0_10empty_typeEbEEZZNS1_14partition_implILS5_0ELb0ES3_jN6thrust23THRUST_200600_302600_NS6detail15normal_iteratorINSA_10device_ptrIiEEEEPS6_SG_NS0_5tupleIJNSA_16discard_iteratorINSA_11use_defaultEEESK_EEENSH_IJSG_SG_EEES6_PlJ7is_evenIiEEEE10hipError_tPvRmT3_T4_T5_T6_T7_T9_mT8_P12ihipStream_tbDpT10_ENKUlT_T0_E_clISt17integral_constantIbLb0EES18_IbLb1EEEEDaS14_S15_EUlS14_E_NS1_11comp_targetILNS1_3genE3ELNS1_11target_archE908ELNS1_3gpuE7ELNS1_3repE0EEENS1_30default_config_static_selectorELNS0_4arch9wavefront6targetE1EEEvT1_
	.p2align	8
	.type	_ZN7rocprim17ROCPRIM_400000_NS6detail17trampoline_kernelINS0_14default_configENS1_25partition_config_selectorILNS1_17partition_subalgoE0EiNS0_10empty_typeEbEEZZNS1_14partition_implILS5_0ELb0ES3_jN6thrust23THRUST_200600_302600_NS6detail15normal_iteratorINSA_10device_ptrIiEEEEPS6_SG_NS0_5tupleIJNSA_16discard_iteratorINSA_11use_defaultEEESK_EEENSH_IJSG_SG_EEES6_PlJ7is_evenIiEEEE10hipError_tPvRmT3_T4_T5_T6_T7_T9_mT8_P12ihipStream_tbDpT10_ENKUlT_T0_E_clISt17integral_constantIbLb0EES18_IbLb1EEEEDaS14_S15_EUlS14_E_NS1_11comp_targetILNS1_3genE3ELNS1_11target_archE908ELNS1_3gpuE7ELNS1_3repE0EEENS1_30default_config_static_selectorELNS0_4arch9wavefront6targetE1EEEvT1_,@function
_ZN7rocprim17ROCPRIM_400000_NS6detail17trampoline_kernelINS0_14default_configENS1_25partition_config_selectorILNS1_17partition_subalgoE0EiNS0_10empty_typeEbEEZZNS1_14partition_implILS5_0ELb0ES3_jN6thrust23THRUST_200600_302600_NS6detail15normal_iteratorINSA_10device_ptrIiEEEEPS6_SG_NS0_5tupleIJNSA_16discard_iteratorINSA_11use_defaultEEESK_EEENSH_IJSG_SG_EEES6_PlJ7is_evenIiEEEE10hipError_tPvRmT3_T4_T5_T6_T7_T9_mT8_P12ihipStream_tbDpT10_ENKUlT_T0_E_clISt17integral_constantIbLb0EES18_IbLb1EEEEDaS14_S15_EUlS14_E_NS1_11comp_targetILNS1_3genE3ELNS1_11target_archE908ELNS1_3gpuE7ELNS1_3repE0EEENS1_30default_config_static_selectorELNS0_4arch9wavefront6targetE1EEEvT1_: ; @_ZN7rocprim17ROCPRIM_400000_NS6detail17trampoline_kernelINS0_14default_configENS1_25partition_config_selectorILNS1_17partition_subalgoE0EiNS0_10empty_typeEbEEZZNS1_14partition_implILS5_0ELb0ES3_jN6thrust23THRUST_200600_302600_NS6detail15normal_iteratorINSA_10device_ptrIiEEEEPS6_SG_NS0_5tupleIJNSA_16discard_iteratorINSA_11use_defaultEEESK_EEENSH_IJSG_SG_EEES6_PlJ7is_evenIiEEEE10hipError_tPvRmT3_T4_T5_T6_T7_T9_mT8_P12ihipStream_tbDpT10_ENKUlT_T0_E_clISt17integral_constantIbLb0EES18_IbLb1EEEEDaS14_S15_EUlS14_E_NS1_11comp_targetILNS1_3genE3ELNS1_11target_archE908ELNS1_3gpuE7ELNS1_3repE0EEENS1_30default_config_static_selectorELNS0_4arch9wavefront6targetE1EEEvT1_
; %bb.0:
	.section	.rodata,"a",@progbits
	.p2align	6, 0x0
	.amdhsa_kernel _ZN7rocprim17ROCPRIM_400000_NS6detail17trampoline_kernelINS0_14default_configENS1_25partition_config_selectorILNS1_17partition_subalgoE0EiNS0_10empty_typeEbEEZZNS1_14partition_implILS5_0ELb0ES3_jN6thrust23THRUST_200600_302600_NS6detail15normal_iteratorINSA_10device_ptrIiEEEEPS6_SG_NS0_5tupleIJNSA_16discard_iteratorINSA_11use_defaultEEESK_EEENSH_IJSG_SG_EEES6_PlJ7is_evenIiEEEE10hipError_tPvRmT3_T4_T5_T6_T7_T9_mT8_P12ihipStream_tbDpT10_ENKUlT_T0_E_clISt17integral_constantIbLb0EES18_IbLb1EEEEDaS14_S15_EUlS14_E_NS1_11comp_targetILNS1_3genE3ELNS1_11target_archE908ELNS1_3gpuE7ELNS1_3repE0EEENS1_30default_config_static_selectorELNS0_4arch9wavefront6targetE1EEEvT1_
		.amdhsa_group_segment_fixed_size 0
		.amdhsa_private_segment_fixed_size 0
		.amdhsa_kernarg_size 152
		.amdhsa_user_sgpr_count 2
		.amdhsa_user_sgpr_dispatch_ptr 0
		.amdhsa_user_sgpr_queue_ptr 0
		.amdhsa_user_sgpr_kernarg_segment_ptr 1
		.amdhsa_user_sgpr_dispatch_id 0
		.amdhsa_user_sgpr_kernarg_preload_length 0
		.amdhsa_user_sgpr_kernarg_preload_offset 0
		.amdhsa_user_sgpr_private_segment_size 0
		.amdhsa_uses_dynamic_stack 0
		.amdhsa_enable_private_segment 0
		.amdhsa_system_sgpr_workgroup_id_x 1
		.amdhsa_system_sgpr_workgroup_id_y 0
		.amdhsa_system_sgpr_workgroup_id_z 0
		.amdhsa_system_sgpr_workgroup_info 0
		.amdhsa_system_vgpr_workitem_id 0
		.amdhsa_next_free_vgpr 1
		.amdhsa_next_free_sgpr 0
		.amdhsa_accum_offset 4
		.amdhsa_reserve_vcc 0
		.amdhsa_float_round_mode_32 0
		.amdhsa_float_round_mode_16_64 0
		.amdhsa_float_denorm_mode_32 3
		.amdhsa_float_denorm_mode_16_64 3
		.amdhsa_dx10_clamp 1
		.amdhsa_ieee_mode 1
		.amdhsa_fp16_overflow 0
		.amdhsa_tg_split 0
		.amdhsa_exception_fp_ieee_invalid_op 0
		.amdhsa_exception_fp_denorm_src 0
		.amdhsa_exception_fp_ieee_div_zero 0
		.amdhsa_exception_fp_ieee_overflow 0
		.amdhsa_exception_fp_ieee_underflow 0
		.amdhsa_exception_fp_ieee_inexact 0
		.amdhsa_exception_int_div_zero 0
	.end_amdhsa_kernel
	.section	.text._ZN7rocprim17ROCPRIM_400000_NS6detail17trampoline_kernelINS0_14default_configENS1_25partition_config_selectorILNS1_17partition_subalgoE0EiNS0_10empty_typeEbEEZZNS1_14partition_implILS5_0ELb0ES3_jN6thrust23THRUST_200600_302600_NS6detail15normal_iteratorINSA_10device_ptrIiEEEEPS6_SG_NS0_5tupleIJNSA_16discard_iteratorINSA_11use_defaultEEESK_EEENSH_IJSG_SG_EEES6_PlJ7is_evenIiEEEE10hipError_tPvRmT3_T4_T5_T6_T7_T9_mT8_P12ihipStream_tbDpT10_ENKUlT_T0_E_clISt17integral_constantIbLb0EES18_IbLb1EEEEDaS14_S15_EUlS14_E_NS1_11comp_targetILNS1_3genE3ELNS1_11target_archE908ELNS1_3gpuE7ELNS1_3repE0EEENS1_30default_config_static_selectorELNS0_4arch9wavefront6targetE1EEEvT1_,"axG",@progbits,_ZN7rocprim17ROCPRIM_400000_NS6detail17trampoline_kernelINS0_14default_configENS1_25partition_config_selectorILNS1_17partition_subalgoE0EiNS0_10empty_typeEbEEZZNS1_14partition_implILS5_0ELb0ES3_jN6thrust23THRUST_200600_302600_NS6detail15normal_iteratorINSA_10device_ptrIiEEEEPS6_SG_NS0_5tupleIJNSA_16discard_iteratorINSA_11use_defaultEEESK_EEENSH_IJSG_SG_EEES6_PlJ7is_evenIiEEEE10hipError_tPvRmT3_T4_T5_T6_T7_T9_mT8_P12ihipStream_tbDpT10_ENKUlT_T0_E_clISt17integral_constantIbLb0EES18_IbLb1EEEEDaS14_S15_EUlS14_E_NS1_11comp_targetILNS1_3genE3ELNS1_11target_archE908ELNS1_3gpuE7ELNS1_3repE0EEENS1_30default_config_static_selectorELNS0_4arch9wavefront6targetE1EEEvT1_,comdat
.Lfunc_end2710:
	.size	_ZN7rocprim17ROCPRIM_400000_NS6detail17trampoline_kernelINS0_14default_configENS1_25partition_config_selectorILNS1_17partition_subalgoE0EiNS0_10empty_typeEbEEZZNS1_14partition_implILS5_0ELb0ES3_jN6thrust23THRUST_200600_302600_NS6detail15normal_iteratorINSA_10device_ptrIiEEEEPS6_SG_NS0_5tupleIJNSA_16discard_iteratorINSA_11use_defaultEEESK_EEENSH_IJSG_SG_EEES6_PlJ7is_evenIiEEEE10hipError_tPvRmT3_T4_T5_T6_T7_T9_mT8_P12ihipStream_tbDpT10_ENKUlT_T0_E_clISt17integral_constantIbLb0EES18_IbLb1EEEEDaS14_S15_EUlS14_E_NS1_11comp_targetILNS1_3genE3ELNS1_11target_archE908ELNS1_3gpuE7ELNS1_3repE0EEENS1_30default_config_static_selectorELNS0_4arch9wavefront6targetE1EEEvT1_, .Lfunc_end2710-_ZN7rocprim17ROCPRIM_400000_NS6detail17trampoline_kernelINS0_14default_configENS1_25partition_config_selectorILNS1_17partition_subalgoE0EiNS0_10empty_typeEbEEZZNS1_14partition_implILS5_0ELb0ES3_jN6thrust23THRUST_200600_302600_NS6detail15normal_iteratorINSA_10device_ptrIiEEEEPS6_SG_NS0_5tupleIJNSA_16discard_iteratorINSA_11use_defaultEEESK_EEENSH_IJSG_SG_EEES6_PlJ7is_evenIiEEEE10hipError_tPvRmT3_T4_T5_T6_T7_T9_mT8_P12ihipStream_tbDpT10_ENKUlT_T0_E_clISt17integral_constantIbLb0EES18_IbLb1EEEEDaS14_S15_EUlS14_E_NS1_11comp_targetILNS1_3genE3ELNS1_11target_archE908ELNS1_3gpuE7ELNS1_3repE0EEENS1_30default_config_static_selectorELNS0_4arch9wavefront6targetE1EEEvT1_
                                        ; -- End function
	.section	.AMDGPU.csdata,"",@progbits
; Kernel info:
; codeLenInByte = 0
; NumSgprs: 6
; NumVgprs: 0
; NumAgprs: 0
; TotalNumVgprs: 0
; ScratchSize: 0
; MemoryBound: 0
; FloatMode: 240
; IeeeMode: 1
; LDSByteSize: 0 bytes/workgroup (compile time only)
; SGPRBlocks: 0
; VGPRBlocks: 0
; NumSGPRsForWavesPerEU: 6
; NumVGPRsForWavesPerEU: 1
; AccumOffset: 4
; Occupancy: 8
; WaveLimiterHint : 0
; COMPUTE_PGM_RSRC2:SCRATCH_EN: 0
; COMPUTE_PGM_RSRC2:USER_SGPR: 2
; COMPUTE_PGM_RSRC2:TRAP_HANDLER: 0
; COMPUTE_PGM_RSRC2:TGID_X_EN: 1
; COMPUTE_PGM_RSRC2:TGID_Y_EN: 0
; COMPUTE_PGM_RSRC2:TGID_Z_EN: 0
; COMPUTE_PGM_RSRC2:TIDIG_COMP_CNT: 0
; COMPUTE_PGM_RSRC3_GFX90A:ACCUM_OFFSET: 0
; COMPUTE_PGM_RSRC3_GFX90A:TG_SPLIT: 0
	.section	.text._ZN7rocprim17ROCPRIM_400000_NS6detail17trampoline_kernelINS0_14default_configENS1_25partition_config_selectorILNS1_17partition_subalgoE0EiNS0_10empty_typeEbEEZZNS1_14partition_implILS5_0ELb0ES3_jN6thrust23THRUST_200600_302600_NS6detail15normal_iteratorINSA_10device_ptrIiEEEEPS6_SG_NS0_5tupleIJNSA_16discard_iteratorINSA_11use_defaultEEESK_EEENSH_IJSG_SG_EEES6_PlJ7is_evenIiEEEE10hipError_tPvRmT3_T4_T5_T6_T7_T9_mT8_P12ihipStream_tbDpT10_ENKUlT_T0_E_clISt17integral_constantIbLb0EES18_IbLb1EEEEDaS14_S15_EUlS14_E_NS1_11comp_targetILNS1_3genE2ELNS1_11target_archE906ELNS1_3gpuE6ELNS1_3repE0EEENS1_30default_config_static_selectorELNS0_4arch9wavefront6targetE1EEEvT1_,"axG",@progbits,_ZN7rocprim17ROCPRIM_400000_NS6detail17trampoline_kernelINS0_14default_configENS1_25partition_config_selectorILNS1_17partition_subalgoE0EiNS0_10empty_typeEbEEZZNS1_14partition_implILS5_0ELb0ES3_jN6thrust23THRUST_200600_302600_NS6detail15normal_iteratorINSA_10device_ptrIiEEEEPS6_SG_NS0_5tupleIJNSA_16discard_iteratorINSA_11use_defaultEEESK_EEENSH_IJSG_SG_EEES6_PlJ7is_evenIiEEEE10hipError_tPvRmT3_T4_T5_T6_T7_T9_mT8_P12ihipStream_tbDpT10_ENKUlT_T0_E_clISt17integral_constantIbLb0EES18_IbLb1EEEEDaS14_S15_EUlS14_E_NS1_11comp_targetILNS1_3genE2ELNS1_11target_archE906ELNS1_3gpuE6ELNS1_3repE0EEENS1_30default_config_static_selectorELNS0_4arch9wavefront6targetE1EEEvT1_,comdat
	.protected	_ZN7rocprim17ROCPRIM_400000_NS6detail17trampoline_kernelINS0_14default_configENS1_25partition_config_selectorILNS1_17partition_subalgoE0EiNS0_10empty_typeEbEEZZNS1_14partition_implILS5_0ELb0ES3_jN6thrust23THRUST_200600_302600_NS6detail15normal_iteratorINSA_10device_ptrIiEEEEPS6_SG_NS0_5tupleIJNSA_16discard_iteratorINSA_11use_defaultEEESK_EEENSH_IJSG_SG_EEES6_PlJ7is_evenIiEEEE10hipError_tPvRmT3_T4_T5_T6_T7_T9_mT8_P12ihipStream_tbDpT10_ENKUlT_T0_E_clISt17integral_constantIbLb0EES18_IbLb1EEEEDaS14_S15_EUlS14_E_NS1_11comp_targetILNS1_3genE2ELNS1_11target_archE906ELNS1_3gpuE6ELNS1_3repE0EEENS1_30default_config_static_selectorELNS0_4arch9wavefront6targetE1EEEvT1_ ; -- Begin function _ZN7rocprim17ROCPRIM_400000_NS6detail17trampoline_kernelINS0_14default_configENS1_25partition_config_selectorILNS1_17partition_subalgoE0EiNS0_10empty_typeEbEEZZNS1_14partition_implILS5_0ELb0ES3_jN6thrust23THRUST_200600_302600_NS6detail15normal_iteratorINSA_10device_ptrIiEEEEPS6_SG_NS0_5tupleIJNSA_16discard_iteratorINSA_11use_defaultEEESK_EEENSH_IJSG_SG_EEES6_PlJ7is_evenIiEEEE10hipError_tPvRmT3_T4_T5_T6_T7_T9_mT8_P12ihipStream_tbDpT10_ENKUlT_T0_E_clISt17integral_constantIbLb0EES18_IbLb1EEEEDaS14_S15_EUlS14_E_NS1_11comp_targetILNS1_3genE2ELNS1_11target_archE906ELNS1_3gpuE6ELNS1_3repE0EEENS1_30default_config_static_selectorELNS0_4arch9wavefront6targetE1EEEvT1_
	.globl	_ZN7rocprim17ROCPRIM_400000_NS6detail17trampoline_kernelINS0_14default_configENS1_25partition_config_selectorILNS1_17partition_subalgoE0EiNS0_10empty_typeEbEEZZNS1_14partition_implILS5_0ELb0ES3_jN6thrust23THRUST_200600_302600_NS6detail15normal_iteratorINSA_10device_ptrIiEEEEPS6_SG_NS0_5tupleIJNSA_16discard_iteratorINSA_11use_defaultEEESK_EEENSH_IJSG_SG_EEES6_PlJ7is_evenIiEEEE10hipError_tPvRmT3_T4_T5_T6_T7_T9_mT8_P12ihipStream_tbDpT10_ENKUlT_T0_E_clISt17integral_constantIbLb0EES18_IbLb1EEEEDaS14_S15_EUlS14_E_NS1_11comp_targetILNS1_3genE2ELNS1_11target_archE906ELNS1_3gpuE6ELNS1_3repE0EEENS1_30default_config_static_selectorELNS0_4arch9wavefront6targetE1EEEvT1_
	.p2align	8
	.type	_ZN7rocprim17ROCPRIM_400000_NS6detail17trampoline_kernelINS0_14default_configENS1_25partition_config_selectorILNS1_17partition_subalgoE0EiNS0_10empty_typeEbEEZZNS1_14partition_implILS5_0ELb0ES3_jN6thrust23THRUST_200600_302600_NS6detail15normal_iteratorINSA_10device_ptrIiEEEEPS6_SG_NS0_5tupleIJNSA_16discard_iteratorINSA_11use_defaultEEESK_EEENSH_IJSG_SG_EEES6_PlJ7is_evenIiEEEE10hipError_tPvRmT3_T4_T5_T6_T7_T9_mT8_P12ihipStream_tbDpT10_ENKUlT_T0_E_clISt17integral_constantIbLb0EES18_IbLb1EEEEDaS14_S15_EUlS14_E_NS1_11comp_targetILNS1_3genE2ELNS1_11target_archE906ELNS1_3gpuE6ELNS1_3repE0EEENS1_30default_config_static_selectorELNS0_4arch9wavefront6targetE1EEEvT1_,@function
_ZN7rocprim17ROCPRIM_400000_NS6detail17trampoline_kernelINS0_14default_configENS1_25partition_config_selectorILNS1_17partition_subalgoE0EiNS0_10empty_typeEbEEZZNS1_14partition_implILS5_0ELb0ES3_jN6thrust23THRUST_200600_302600_NS6detail15normal_iteratorINSA_10device_ptrIiEEEEPS6_SG_NS0_5tupleIJNSA_16discard_iteratorINSA_11use_defaultEEESK_EEENSH_IJSG_SG_EEES6_PlJ7is_evenIiEEEE10hipError_tPvRmT3_T4_T5_T6_T7_T9_mT8_P12ihipStream_tbDpT10_ENKUlT_T0_E_clISt17integral_constantIbLb0EES18_IbLb1EEEEDaS14_S15_EUlS14_E_NS1_11comp_targetILNS1_3genE2ELNS1_11target_archE906ELNS1_3gpuE6ELNS1_3repE0EEENS1_30default_config_static_selectorELNS0_4arch9wavefront6targetE1EEEvT1_: ; @_ZN7rocprim17ROCPRIM_400000_NS6detail17trampoline_kernelINS0_14default_configENS1_25partition_config_selectorILNS1_17partition_subalgoE0EiNS0_10empty_typeEbEEZZNS1_14partition_implILS5_0ELb0ES3_jN6thrust23THRUST_200600_302600_NS6detail15normal_iteratorINSA_10device_ptrIiEEEEPS6_SG_NS0_5tupleIJNSA_16discard_iteratorINSA_11use_defaultEEESK_EEENSH_IJSG_SG_EEES6_PlJ7is_evenIiEEEE10hipError_tPvRmT3_T4_T5_T6_T7_T9_mT8_P12ihipStream_tbDpT10_ENKUlT_T0_E_clISt17integral_constantIbLb0EES18_IbLb1EEEEDaS14_S15_EUlS14_E_NS1_11comp_targetILNS1_3genE2ELNS1_11target_archE906ELNS1_3gpuE6ELNS1_3repE0EEENS1_30default_config_static_selectorELNS0_4arch9wavefront6targetE1EEEvT1_
; %bb.0:
	.section	.rodata,"a",@progbits
	.p2align	6, 0x0
	.amdhsa_kernel _ZN7rocprim17ROCPRIM_400000_NS6detail17trampoline_kernelINS0_14default_configENS1_25partition_config_selectorILNS1_17partition_subalgoE0EiNS0_10empty_typeEbEEZZNS1_14partition_implILS5_0ELb0ES3_jN6thrust23THRUST_200600_302600_NS6detail15normal_iteratorINSA_10device_ptrIiEEEEPS6_SG_NS0_5tupleIJNSA_16discard_iteratorINSA_11use_defaultEEESK_EEENSH_IJSG_SG_EEES6_PlJ7is_evenIiEEEE10hipError_tPvRmT3_T4_T5_T6_T7_T9_mT8_P12ihipStream_tbDpT10_ENKUlT_T0_E_clISt17integral_constantIbLb0EES18_IbLb1EEEEDaS14_S15_EUlS14_E_NS1_11comp_targetILNS1_3genE2ELNS1_11target_archE906ELNS1_3gpuE6ELNS1_3repE0EEENS1_30default_config_static_selectorELNS0_4arch9wavefront6targetE1EEEvT1_
		.amdhsa_group_segment_fixed_size 0
		.amdhsa_private_segment_fixed_size 0
		.amdhsa_kernarg_size 152
		.amdhsa_user_sgpr_count 2
		.amdhsa_user_sgpr_dispatch_ptr 0
		.amdhsa_user_sgpr_queue_ptr 0
		.amdhsa_user_sgpr_kernarg_segment_ptr 1
		.amdhsa_user_sgpr_dispatch_id 0
		.amdhsa_user_sgpr_kernarg_preload_length 0
		.amdhsa_user_sgpr_kernarg_preload_offset 0
		.amdhsa_user_sgpr_private_segment_size 0
		.amdhsa_uses_dynamic_stack 0
		.amdhsa_enable_private_segment 0
		.amdhsa_system_sgpr_workgroup_id_x 1
		.amdhsa_system_sgpr_workgroup_id_y 0
		.amdhsa_system_sgpr_workgroup_id_z 0
		.amdhsa_system_sgpr_workgroup_info 0
		.amdhsa_system_vgpr_workitem_id 0
		.amdhsa_next_free_vgpr 1
		.amdhsa_next_free_sgpr 0
		.amdhsa_accum_offset 4
		.amdhsa_reserve_vcc 0
		.amdhsa_float_round_mode_32 0
		.amdhsa_float_round_mode_16_64 0
		.amdhsa_float_denorm_mode_32 3
		.amdhsa_float_denorm_mode_16_64 3
		.amdhsa_dx10_clamp 1
		.amdhsa_ieee_mode 1
		.amdhsa_fp16_overflow 0
		.amdhsa_tg_split 0
		.amdhsa_exception_fp_ieee_invalid_op 0
		.amdhsa_exception_fp_denorm_src 0
		.amdhsa_exception_fp_ieee_div_zero 0
		.amdhsa_exception_fp_ieee_overflow 0
		.amdhsa_exception_fp_ieee_underflow 0
		.amdhsa_exception_fp_ieee_inexact 0
		.amdhsa_exception_int_div_zero 0
	.end_amdhsa_kernel
	.section	.text._ZN7rocprim17ROCPRIM_400000_NS6detail17trampoline_kernelINS0_14default_configENS1_25partition_config_selectorILNS1_17partition_subalgoE0EiNS0_10empty_typeEbEEZZNS1_14partition_implILS5_0ELb0ES3_jN6thrust23THRUST_200600_302600_NS6detail15normal_iteratorINSA_10device_ptrIiEEEEPS6_SG_NS0_5tupleIJNSA_16discard_iteratorINSA_11use_defaultEEESK_EEENSH_IJSG_SG_EEES6_PlJ7is_evenIiEEEE10hipError_tPvRmT3_T4_T5_T6_T7_T9_mT8_P12ihipStream_tbDpT10_ENKUlT_T0_E_clISt17integral_constantIbLb0EES18_IbLb1EEEEDaS14_S15_EUlS14_E_NS1_11comp_targetILNS1_3genE2ELNS1_11target_archE906ELNS1_3gpuE6ELNS1_3repE0EEENS1_30default_config_static_selectorELNS0_4arch9wavefront6targetE1EEEvT1_,"axG",@progbits,_ZN7rocprim17ROCPRIM_400000_NS6detail17trampoline_kernelINS0_14default_configENS1_25partition_config_selectorILNS1_17partition_subalgoE0EiNS0_10empty_typeEbEEZZNS1_14partition_implILS5_0ELb0ES3_jN6thrust23THRUST_200600_302600_NS6detail15normal_iteratorINSA_10device_ptrIiEEEEPS6_SG_NS0_5tupleIJNSA_16discard_iteratorINSA_11use_defaultEEESK_EEENSH_IJSG_SG_EEES6_PlJ7is_evenIiEEEE10hipError_tPvRmT3_T4_T5_T6_T7_T9_mT8_P12ihipStream_tbDpT10_ENKUlT_T0_E_clISt17integral_constantIbLb0EES18_IbLb1EEEEDaS14_S15_EUlS14_E_NS1_11comp_targetILNS1_3genE2ELNS1_11target_archE906ELNS1_3gpuE6ELNS1_3repE0EEENS1_30default_config_static_selectorELNS0_4arch9wavefront6targetE1EEEvT1_,comdat
.Lfunc_end2711:
	.size	_ZN7rocprim17ROCPRIM_400000_NS6detail17trampoline_kernelINS0_14default_configENS1_25partition_config_selectorILNS1_17partition_subalgoE0EiNS0_10empty_typeEbEEZZNS1_14partition_implILS5_0ELb0ES3_jN6thrust23THRUST_200600_302600_NS6detail15normal_iteratorINSA_10device_ptrIiEEEEPS6_SG_NS0_5tupleIJNSA_16discard_iteratorINSA_11use_defaultEEESK_EEENSH_IJSG_SG_EEES6_PlJ7is_evenIiEEEE10hipError_tPvRmT3_T4_T5_T6_T7_T9_mT8_P12ihipStream_tbDpT10_ENKUlT_T0_E_clISt17integral_constantIbLb0EES18_IbLb1EEEEDaS14_S15_EUlS14_E_NS1_11comp_targetILNS1_3genE2ELNS1_11target_archE906ELNS1_3gpuE6ELNS1_3repE0EEENS1_30default_config_static_selectorELNS0_4arch9wavefront6targetE1EEEvT1_, .Lfunc_end2711-_ZN7rocprim17ROCPRIM_400000_NS6detail17trampoline_kernelINS0_14default_configENS1_25partition_config_selectorILNS1_17partition_subalgoE0EiNS0_10empty_typeEbEEZZNS1_14partition_implILS5_0ELb0ES3_jN6thrust23THRUST_200600_302600_NS6detail15normal_iteratorINSA_10device_ptrIiEEEEPS6_SG_NS0_5tupleIJNSA_16discard_iteratorINSA_11use_defaultEEESK_EEENSH_IJSG_SG_EEES6_PlJ7is_evenIiEEEE10hipError_tPvRmT3_T4_T5_T6_T7_T9_mT8_P12ihipStream_tbDpT10_ENKUlT_T0_E_clISt17integral_constantIbLb0EES18_IbLb1EEEEDaS14_S15_EUlS14_E_NS1_11comp_targetILNS1_3genE2ELNS1_11target_archE906ELNS1_3gpuE6ELNS1_3repE0EEENS1_30default_config_static_selectorELNS0_4arch9wavefront6targetE1EEEvT1_
                                        ; -- End function
	.section	.AMDGPU.csdata,"",@progbits
; Kernel info:
; codeLenInByte = 0
; NumSgprs: 6
; NumVgprs: 0
; NumAgprs: 0
; TotalNumVgprs: 0
; ScratchSize: 0
; MemoryBound: 0
; FloatMode: 240
; IeeeMode: 1
; LDSByteSize: 0 bytes/workgroup (compile time only)
; SGPRBlocks: 0
; VGPRBlocks: 0
; NumSGPRsForWavesPerEU: 6
; NumVGPRsForWavesPerEU: 1
; AccumOffset: 4
; Occupancy: 8
; WaveLimiterHint : 0
; COMPUTE_PGM_RSRC2:SCRATCH_EN: 0
; COMPUTE_PGM_RSRC2:USER_SGPR: 2
; COMPUTE_PGM_RSRC2:TRAP_HANDLER: 0
; COMPUTE_PGM_RSRC2:TGID_X_EN: 1
; COMPUTE_PGM_RSRC2:TGID_Y_EN: 0
; COMPUTE_PGM_RSRC2:TGID_Z_EN: 0
; COMPUTE_PGM_RSRC2:TIDIG_COMP_CNT: 0
; COMPUTE_PGM_RSRC3_GFX90A:ACCUM_OFFSET: 0
; COMPUTE_PGM_RSRC3_GFX90A:TG_SPLIT: 0
	.section	.text._ZN7rocprim17ROCPRIM_400000_NS6detail17trampoline_kernelINS0_14default_configENS1_25partition_config_selectorILNS1_17partition_subalgoE0EiNS0_10empty_typeEbEEZZNS1_14partition_implILS5_0ELb0ES3_jN6thrust23THRUST_200600_302600_NS6detail15normal_iteratorINSA_10device_ptrIiEEEEPS6_SG_NS0_5tupleIJNSA_16discard_iteratorINSA_11use_defaultEEESK_EEENSH_IJSG_SG_EEES6_PlJ7is_evenIiEEEE10hipError_tPvRmT3_T4_T5_T6_T7_T9_mT8_P12ihipStream_tbDpT10_ENKUlT_T0_E_clISt17integral_constantIbLb0EES18_IbLb1EEEEDaS14_S15_EUlS14_E_NS1_11comp_targetILNS1_3genE10ELNS1_11target_archE1200ELNS1_3gpuE4ELNS1_3repE0EEENS1_30default_config_static_selectorELNS0_4arch9wavefront6targetE1EEEvT1_,"axG",@progbits,_ZN7rocprim17ROCPRIM_400000_NS6detail17trampoline_kernelINS0_14default_configENS1_25partition_config_selectorILNS1_17partition_subalgoE0EiNS0_10empty_typeEbEEZZNS1_14partition_implILS5_0ELb0ES3_jN6thrust23THRUST_200600_302600_NS6detail15normal_iteratorINSA_10device_ptrIiEEEEPS6_SG_NS0_5tupleIJNSA_16discard_iteratorINSA_11use_defaultEEESK_EEENSH_IJSG_SG_EEES6_PlJ7is_evenIiEEEE10hipError_tPvRmT3_T4_T5_T6_T7_T9_mT8_P12ihipStream_tbDpT10_ENKUlT_T0_E_clISt17integral_constantIbLb0EES18_IbLb1EEEEDaS14_S15_EUlS14_E_NS1_11comp_targetILNS1_3genE10ELNS1_11target_archE1200ELNS1_3gpuE4ELNS1_3repE0EEENS1_30default_config_static_selectorELNS0_4arch9wavefront6targetE1EEEvT1_,comdat
	.protected	_ZN7rocprim17ROCPRIM_400000_NS6detail17trampoline_kernelINS0_14default_configENS1_25partition_config_selectorILNS1_17partition_subalgoE0EiNS0_10empty_typeEbEEZZNS1_14partition_implILS5_0ELb0ES3_jN6thrust23THRUST_200600_302600_NS6detail15normal_iteratorINSA_10device_ptrIiEEEEPS6_SG_NS0_5tupleIJNSA_16discard_iteratorINSA_11use_defaultEEESK_EEENSH_IJSG_SG_EEES6_PlJ7is_evenIiEEEE10hipError_tPvRmT3_T4_T5_T6_T7_T9_mT8_P12ihipStream_tbDpT10_ENKUlT_T0_E_clISt17integral_constantIbLb0EES18_IbLb1EEEEDaS14_S15_EUlS14_E_NS1_11comp_targetILNS1_3genE10ELNS1_11target_archE1200ELNS1_3gpuE4ELNS1_3repE0EEENS1_30default_config_static_selectorELNS0_4arch9wavefront6targetE1EEEvT1_ ; -- Begin function _ZN7rocprim17ROCPRIM_400000_NS6detail17trampoline_kernelINS0_14default_configENS1_25partition_config_selectorILNS1_17partition_subalgoE0EiNS0_10empty_typeEbEEZZNS1_14partition_implILS5_0ELb0ES3_jN6thrust23THRUST_200600_302600_NS6detail15normal_iteratorINSA_10device_ptrIiEEEEPS6_SG_NS0_5tupleIJNSA_16discard_iteratorINSA_11use_defaultEEESK_EEENSH_IJSG_SG_EEES6_PlJ7is_evenIiEEEE10hipError_tPvRmT3_T4_T5_T6_T7_T9_mT8_P12ihipStream_tbDpT10_ENKUlT_T0_E_clISt17integral_constantIbLb0EES18_IbLb1EEEEDaS14_S15_EUlS14_E_NS1_11comp_targetILNS1_3genE10ELNS1_11target_archE1200ELNS1_3gpuE4ELNS1_3repE0EEENS1_30default_config_static_selectorELNS0_4arch9wavefront6targetE1EEEvT1_
	.globl	_ZN7rocprim17ROCPRIM_400000_NS6detail17trampoline_kernelINS0_14default_configENS1_25partition_config_selectorILNS1_17partition_subalgoE0EiNS0_10empty_typeEbEEZZNS1_14partition_implILS5_0ELb0ES3_jN6thrust23THRUST_200600_302600_NS6detail15normal_iteratorINSA_10device_ptrIiEEEEPS6_SG_NS0_5tupleIJNSA_16discard_iteratorINSA_11use_defaultEEESK_EEENSH_IJSG_SG_EEES6_PlJ7is_evenIiEEEE10hipError_tPvRmT3_T4_T5_T6_T7_T9_mT8_P12ihipStream_tbDpT10_ENKUlT_T0_E_clISt17integral_constantIbLb0EES18_IbLb1EEEEDaS14_S15_EUlS14_E_NS1_11comp_targetILNS1_3genE10ELNS1_11target_archE1200ELNS1_3gpuE4ELNS1_3repE0EEENS1_30default_config_static_selectorELNS0_4arch9wavefront6targetE1EEEvT1_
	.p2align	8
	.type	_ZN7rocprim17ROCPRIM_400000_NS6detail17trampoline_kernelINS0_14default_configENS1_25partition_config_selectorILNS1_17partition_subalgoE0EiNS0_10empty_typeEbEEZZNS1_14partition_implILS5_0ELb0ES3_jN6thrust23THRUST_200600_302600_NS6detail15normal_iteratorINSA_10device_ptrIiEEEEPS6_SG_NS0_5tupleIJNSA_16discard_iteratorINSA_11use_defaultEEESK_EEENSH_IJSG_SG_EEES6_PlJ7is_evenIiEEEE10hipError_tPvRmT3_T4_T5_T6_T7_T9_mT8_P12ihipStream_tbDpT10_ENKUlT_T0_E_clISt17integral_constantIbLb0EES18_IbLb1EEEEDaS14_S15_EUlS14_E_NS1_11comp_targetILNS1_3genE10ELNS1_11target_archE1200ELNS1_3gpuE4ELNS1_3repE0EEENS1_30default_config_static_selectorELNS0_4arch9wavefront6targetE1EEEvT1_,@function
_ZN7rocprim17ROCPRIM_400000_NS6detail17trampoline_kernelINS0_14default_configENS1_25partition_config_selectorILNS1_17partition_subalgoE0EiNS0_10empty_typeEbEEZZNS1_14partition_implILS5_0ELb0ES3_jN6thrust23THRUST_200600_302600_NS6detail15normal_iteratorINSA_10device_ptrIiEEEEPS6_SG_NS0_5tupleIJNSA_16discard_iteratorINSA_11use_defaultEEESK_EEENSH_IJSG_SG_EEES6_PlJ7is_evenIiEEEE10hipError_tPvRmT3_T4_T5_T6_T7_T9_mT8_P12ihipStream_tbDpT10_ENKUlT_T0_E_clISt17integral_constantIbLb0EES18_IbLb1EEEEDaS14_S15_EUlS14_E_NS1_11comp_targetILNS1_3genE10ELNS1_11target_archE1200ELNS1_3gpuE4ELNS1_3repE0EEENS1_30default_config_static_selectorELNS0_4arch9wavefront6targetE1EEEvT1_: ; @_ZN7rocprim17ROCPRIM_400000_NS6detail17trampoline_kernelINS0_14default_configENS1_25partition_config_selectorILNS1_17partition_subalgoE0EiNS0_10empty_typeEbEEZZNS1_14partition_implILS5_0ELb0ES3_jN6thrust23THRUST_200600_302600_NS6detail15normal_iteratorINSA_10device_ptrIiEEEEPS6_SG_NS0_5tupleIJNSA_16discard_iteratorINSA_11use_defaultEEESK_EEENSH_IJSG_SG_EEES6_PlJ7is_evenIiEEEE10hipError_tPvRmT3_T4_T5_T6_T7_T9_mT8_P12ihipStream_tbDpT10_ENKUlT_T0_E_clISt17integral_constantIbLb0EES18_IbLb1EEEEDaS14_S15_EUlS14_E_NS1_11comp_targetILNS1_3genE10ELNS1_11target_archE1200ELNS1_3gpuE4ELNS1_3repE0EEENS1_30default_config_static_selectorELNS0_4arch9wavefront6targetE1EEEvT1_
; %bb.0:
	.section	.rodata,"a",@progbits
	.p2align	6, 0x0
	.amdhsa_kernel _ZN7rocprim17ROCPRIM_400000_NS6detail17trampoline_kernelINS0_14default_configENS1_25partition_config_selectorILNS1_17partition_subalgoE0EiNS0_10empty_typeEbEEZZNS1_14partition_implILS5_0ELb0ES3_jN6thrust23THRUST_200600_302600_NS6detail15normal_iteratorINSA_10device_ptrIiEEEEPS6_SG_NS0_5tupleIJNSA_16discard_iteratorINSA_11use_defaultEEESK_EEENSH_IJSG_SG_EEES6_PlJ7is_evenIiEEEE10hipError_tPvRmT3_T4_T5_T6_T7_T9_mT8_P12ihipStream_tbDpT10_ENKUlT_T0_E_clISt17integral_constantIbLb0EES18_IbLb1EEEEDaS14_S15_EUlS14_E_NS1_11comp_targetILNS1_3genE10ELNS1_11target_archE1200ELNS1_3gpuE4ELNS1_3repE0EEENS1_30default_config_static_selectorELNS0_4arch9wavefront6targetE1EEEvT1_
		.amdhsa_group_segment_fixed_size 0
		.amdhsa_private_segment_fixed_size 0
		.amdhsa_kernarg_size 152
		.amdhsa_user_sgpr_count 2
		.amdhsa_user_sgpr_dispatch_ptr 0
		.amdhsa_user_sgpr_queue_ptr 0
		.amdhsa_user_sgpr_kernarg_segment_ptr 1
		.amdhsa_user_sgpr_dispatch_id 0
		.amdhsa_user_sgpr_kernarg_preload_length 0
		.amdhsa_user_sgpr_kernarg_preload_offset 0
		.amdhsa_user_sgpr_private_segment_size 0
		.amdhsa_uses_dynamic_stack 0
		.amdhsa_enable_private_segment 0
		.amdhsa_system_sgpr_workgroup_id_x 1
		.amdhsa_system_sgpr_workgroup_id_y 0
		.amdhsa_system_sgpr_workgroup_id_z 0
		.amdhsa_system_sgpr_workgroup_info 0
		.amdhsa_system_vgpr_workitem_id 0
		.amdhsa_next_free_vgpr 1
		.amdhsa_next_free_sgpr 0
		.amdhsa_accum_offset 4
		.amdhsa_reserve_vcc 0
		.amdhsa_float_round_mode_32 0
		.amdhsa_float_round_mode_16_64 0
		.amdhsa_float_denorm_mode_32 3
		.amdhsa_float_denorm_mode_16_64 3
		.amdhsa_dx10_clamp 1
		.amdhsa_ieee_mode 1
		.amdhsa_fp16_overflow 0
		.amdhsa_tg_split 0
		.amdhsa_exception_fp_ieee_invalid_op 0
		.amdhsa_exception_fp_denorm_src 0
		.amdhsa_exception_fp_ieee_div_zero 0
		.amdhsa_exception_fp_ieee_overflow 0
		.amdhsa_exception_fp_ieee_underflow 0
		.amdhsa_exception_fp_ieee_inexact 0
		.amdhsa_exception_int_div_zero 0
	.end_amdhsa_kernel
	.section	.text._ZN7rocprim17ROCPRIM_400000_NS6detail17trampoline_kernelINS0_14default_configENS1_25partition_config_selectorILNS1_17partition_subalgoE0EiNS0_10empty_typeEbEEZZNS1_14partition_implILS5_0ELb0ES3_jN6thrust23THRUST_200600_302600_NS6detail15normal_iteratorINSA_10device_ptrIiEEEEPS6_SG_NS0_5tupleIJNSA_16discard_iteratorINSA_11use_defaultEEESK_EEENSH_IJSG_SG_EEES6_PlJ7is_evenIiEEEE10hipError_tPvRmT3_T4_T5_T6_T7_T9_mT8_P12ihipStream_tbDpT10_ENKUlT_T0_E_clISt17integral_constantIbLb0EES18_IbLb1EEEEDaS14_S15_EUlS14_E_NS1_11comp_targetILNS1_3genE10ELNS1_11target_archE1200ELNS1_3gpuE4ELNS1_3repE0EEENS1_30default_config_static_selectorELNS0_4arch9wavefront6targetE1EEEvT1_,"axG",@progbits,_ZN7rocprim17ROCPRIM_400000_NS6detail17trampoline_kernelINS0_14default_configENS1_25partition_config_selectorILNS1_17partition_subalgoE0EiNS0_10empty_typeEbEEZZNS1_14partition_implILS5_0ELb0ES3_jN6thrust23THRUST_200600_302600_NS6detail15normal_iteratorINSA_10device_ptrIiEEEEPS6_SG_NS0_5tupleIJNSA_16discard_iteratorINSA_11use_defaultEEESK_EEENSH_IJSG_SG_EEES6_PlJ7is_evenIiEEEE10hipError_tPvRmT3_T4_T5_T6_T7_T9_mT8_P12ihipStream_tbDpT10_ENKUlT_T0_E_clISt17integral_constantIbLb0EES18_IbLb1EEEEDaS14_S15_EUlS14_E_NS1_11comp_targetILNS1_3genE10ELNS1_11target_archE1200ELNS1_3gpuE4ELNS1_3repE0EEENS1_30default_config_static_selectorELNS0_4arch9wavefront6targetE1EEEvT1_,comdat
.Lfunc_end2712:
	.size	_ZN7rocprim17ROCPRIM_400000_NS6detail17trampoline_kernelINS0_14default_configENS1_25partition_config_selectorILNS1_17partition_subalgoE0EiNS0_10empty_typeEbEEZZNS1_14partition_implILS5_0ELb0ES3_jN6thrust23THRUST_200600_302600_NS6detail15normal_iteratorINSA_10device_ptrIiEEEEPS6_SG_NS0_5tupleIJNSA_16discard_iteratorINSA_11use_defaultEEESK_EEENSH_IJSG_SG_EEES6_PlJ7is_evenIiEEEE10hipError_tPvRmT3_T4_T5_T6_T7_T9_mT8_P12ihipStream_tbDpT10_ENKUlT_T0_E_clISt17integral_constantIbLb0EES18_IbLb1EEEEDaS14_S15_EUlS14_E_NS1_11comp_targetILNS1_3genE10ELNS1_11target_archE1200ELNS1_3gpuE4ELNS1_3repE0EEENS1_30default_config_static_selectorELNS0_4arch9wavefront6targetE1EEEvT1_, .Lfunc_end2712-_ZN7rocprim17ROCPRIM_400000_NS6detail17trampoline_kernelINS0_14default_configENS1_25partition_config_selectorILNS1_17partition_subalgoE0EiNS0_10empty_typeEbEEZZNS1_14partition_implILS5_0ELb0ES3_jN6thrust23THRUST_200600_302600_NS6detail15normal_iteratorINSA_10device_ptrIiEEEEPS6_SG_NS0_5tupleIJNSA_16discard_iteratorINSA_11use_defaultEEESK_EEENSH_IJSG_SG_EEES6_PlJ7is_evenIiEEEE10hipError_tPvRmT3_T4_T5_T6_T7_T9_mT8_P12ihipStream_tbDpT10_ENKUlT_T0_E_clISt17integral_constantIbLb0EES18_IbLb1EEEEDaS14_S15_EUlS14_E_NS1_11comp_targetILNS1_3genE10ELNS1_11target_archE1200ELNS1_3gpuE4ELNS1_3repE0EEENS1_30default_config_static_selectorELNS0_4arch9wavefront6targetE1EEEvT1_
                                        ; -- End function
	.section	.AMDGPU.csdata,"",@progbits
; Kernel info:
; codeLenInByte = 0
; NumSgprs: 6
; NumVgprs: 0
; NumAgprs: 0
; TotalNumVgprs: 0
; ScratchSize: 0
; MemoryBound: 0
; FloatMode: 240
; IeeeMode: 1
; LDSByteSize: 0 bytes/workgroup (compile time only)
; SGPRBlocks: 0
; VGPRBlocks: 0
; NumSGPRsForWavesPerEU: 6
; NumVGPRsForWavesPerEU: 1
; AccumOffset: 4
; Occupancy: 8
; WaveLimiterHint : 0
; COMPUTE_PGM_RSRC2:SCRATCH_EN: 0
; COMPUTE_PGM_RSRC2:USER_SGPR: 2
; COMPUTE_PGM_RSRC2:TRAP_HANDLER: 0
; COMPUTE_PGM_RSRC2:TGID_X_EN: 1
; COMPUTE_PGM_RSRC2:TGID_Y_EN: 0
; COMPUTE_PGM_RSRC2:TGID_Z_EN: 0
; COMPUTE_PGM_RSRC2:TIDIG_COMP_CNT: 0
; COMPUTE_PGM_RSRC3_GFX90A:ACCUM_OFFSET: 0
; COMPUTE_PGM_RSRC3_GFX90A:TG_SPLIT: 0
	.section	.text._ZN7rocprim17ROCPRIM_400000_NS6detail17trampoline_kernelINS0_14default_configENS1_25partition_config_selectorILNS1_17partition_subalgoE0EiNS0_10empty_typeEbEEZZNS1_14partition_implILS5_0ELb0ES3_jN6thrust23THRUST_200600_302600_NS6detail15normal_iteratorINSA_10device_ptrIiEEEEPS6_SG_NS0_5tupleIJNSA_16discard_iteratorINSA_11use_defaultEEESK_EEENSH_IJSG_SG_EEES6_PlJ7is_evenIiEEEE10hipError_tPvRmT3_T4_T5_T6_T7_T9_mT8_P12ihipStream_tbDpT10_ENKUlT_T0_E_clISt17integral_constantIbLb0EES18_IbLb1EEEEDaS14_S15_EUlS14_E_NS1_11comp_targetILNS1_3genE9ELNS1_11target_archE1100ELNS1_3gpuE3ELNS1_3repE0EEENS1_30default_config_static_selectorELNS0_4arch9wavefront6targetE1EEEvT1_,"axG",@progbits,_ZN7rocprim17ROCPRIM_400000_NS6detail17trampoline_kernelINS0_14default_configENS1_25partition_config_selectorILNS1_17partition_subalgoE0EiNS0_10empty_typeEbEEZZNS1_14partition_implILS5_0ELb0ES3_jN6thrust23THRUST_200600_302600_NS6detail15normal_iteratorINSA_10device_ptrIiEEEEPS6_SG_NS0_5tupleIJNSA_16discard_iteratorINSA_11use_defaultEEESK_EEENSH_IJSG_SG_EEES6_PlJ7is_evenIiEEEE10hipError_tPvRmT3_T4_T5_T6_T7_T9_mT8_P12ihipStream_tbDpT10_ENKUlT_T0_E_clISt17integral_constantIbLb0EES18_IbLb1EEEEDaS14_S15_EUlS14_E_NS1_11comp_targetILNS1_3genE9ELNS1_11target_archE1100ELNS1_3gpuE3ELNS1_3repE0EEENS1_30default_config_static_selectorELNS0_4arch9wavefront6targetE1EEEvT1_,comdat
	.protected	_ZN7rocprim17ROCPRIM_400000_NS6detail17trampoline_kernelINS0_14default_configENS1_25partition_config_selectorILNS1_17partition_subalgoE0EiNS0_10empty_typeEbEEZZNS1_14partition_implILS5_0ELb0ES3_jN6thrust23THRUST_200600_302600_NS6detail15normal_iteratorINSA_10device_ptrIiEEEEPS6_SG_NS0_5tupleIJNSA_16discard_iteratorINSA_11use_defaultEEESK_EEENSH_IJSG_SG_EEES6_PlJ7is_evenIiEEEE10hipError_tPvRmT3_T4_T5_T6_T7_T9_mT8_P12ihipStream_tbDpT10_ENKUlT_T0_E_clISt17integral_constantIbLb0EES18_IbLb1EEEEDaS14_S15_EUlS14_E_NS1_11comp_targetILNS1_3genE9ELNS1_11target_archE1100ELNS1_3gpuE3ELNS1_3repE0EEENS1_30default_config_static_selectorELNS0_4arch9wavefront6targetE1EEEvT1_ ; -- Begin function _ZN7rocprim17ROCPRIM_400000_NS6detail17trampoline_kernelINS0_14default_configENS1_25partition_config_selectorILNS1_17partition_subalgoE0EiNS0_10empty_typeEbEEZZNS1_14partition_implILS5_0ELb0ES3_jN6thrust23THRUST_200600_302600_NS6detail15normal_iteratorINSA_10device_ptrIiEEEEPS6_SG_NS0_5tupleIJNSA_16discard_iteratorINSA_11use_defaultEEESK_EEENSH_IJSG_SG_EEES6_PlJ7is_evenIiEEEE10hipError_tPvRmT3_T4_T5_T6_T7_T9_mT8_P12ihipStream_tbDpT10_ENKUlT_T0_E_clISt17integral_constantIbLb0EES18_IbLb1EEEEDaS14_S15_EUlS14_E_NS1_11comp_targetILNS1_3genE9ELNS1_11target_archE1100ELNS1_3gpuE3ELNS1_3repE0EEENS1_30default_config_static_selectorELNS0_4arch9wavefront6targetE1EEEvT1_
	.globl	_ZN7rocprim17ROCPRIM_400000_NS6detail17trampoline_kernelINS0_14default_configENS1_25partition_config_selectorILNS1_17partition_subalgoE0EiNS0_10empty_typeEbEEZZNS1_14partition_implILS5_0ELb0ES3_jN6thrust23THRUST_200600_302600_NS6detail15normal_iteratorINSA_10device_ptrIiEEEEPS6_SG_NS0_5tupleIJNSA_16discard_iteratorINSA_11use_defaultEEESK_EEENSH_IJSG_SG_EEES6_PlJ7is_evenIiEEEE10hipError_tPvRmT3_T4_T5_T6_T7_T9_mT8_P12ihipStream_tbDpT10_ENKUlT_T0_E_clISt17integral_constantIbLb0EES18_IbLb1EEEEDaS14_S15_EUlS14_E_NS1_11comp_targetILNS1_3genE9ELNS1_11target_archE1100ELNS1_3gpuE3ELNS1_3repE0EEENS1_30default_config_static_selectorELNS0_4arch9wavefront6targetE1EEEvT1_
	.p2align	8
	.type	_ZN7rocprim17ROCPRIM_400000_NS6detail17trampoline_kernelINS0_14default_configENS1_25partition_config_selectorILNS1_17partition_subalgoE0EiNS0_10empty_typeEbEEZZNS1_14partition_implILS5_0ELb0ES3_jN6thrust23THRUST_200600_302600_NS6detail15normal_iteratorINSA_10device_ptrIiEEEEPS6_SG_NS0_5tupleIJNSA_16discard_iteratorINSA_11use_defaultEEESK_EEENSH_IJSG_SG_EEES6_PlJ7is_evenIiEEEE10hipError_tPvRmT3_T4_T5_T6_T7_T9_mT8_P12ihipStream_tbDpT10_ENKUlT_T0_E_clISt17integral_constantIbLb0EES18_IbLb1EEEEDaS14_S15_EUlS14_E_NS1_11comp_targetILNS1_3genE9ELNS1_11target_archE1100ELNS1_3gpuE3ELNS1_3repE0EEENS1_30default_config_static_selectorELNS0_4arch9wavefront6targetE1EEEvT1_,@function
_ZN7rocprim17ROCPRIM_400000_NS6detail17trampoline_kernelINS0_14default_configENS1_25partition_config_selectorILNS1_17partition_subalgoE0EiNS0_10empty_typeEbEEZZNS1_14partition_implILS5_0ELb0ES3_jN6thrust23THRUST_200600_302600_NS6detail15normal_iteratorINSA_10device_ptrIiEEEEPS6_SG_NS0_5tupleIJNSA_16discard_iteratorINSA_11use_defaultEEESK_EEENSH_IJSG_SG_EEES6_PlJ7is_evenIiEEEE10hipError_tPvRmT3_T4_T5_T6_T7_T9_mT8_P12ihipStream_tbDpT10_ENKUlT_T0_E_clISt17integral_constantIbLb0EES18_IbLb1EEEEDaS14_S15_EUlS14_E_NS1_11comp_targetILNS1_3genE9ELNS1_11target_archE1100ELNS1_3gpuE3ELNS1_3repE0EEENS1_30default_config_static_selectorELNS0_4arch9wavefront6targetE1EEEvT1_: ; @_ZN7rocprim17ROCPRIM_400000_NS6detail17trampoline_kernelINS0_14default_configENS1_25partition_config_selectorILNS1_17partition_subalgoE0EiNS0_10empty_typeEbEEZZNS1_14partition_implILS5_0ELb0ES3_jN6thrust23THRUST_200600_302600_NS6detail15normal_iteratorINSA_10device_ptrIiEEEEPS6_SG_NS0_5tupleIJNSA_16discard_iteratorINSA_11use_defaultEEESK_EEENSH_IJSG_SG_EEES6_PlJ7is_evenIiEEEE10hipError_tPvRmT3_T4_T5_T6_T7_T9_mT8_P12ihipStream_tbDpT10_ENKUlT_T0_E_clISt17integral_constantIbLb0EES18_IbLb1EEEEDaS14_S15_EUlS14_E_NS1_11comp_targetILNS1_3genE9ELNS1_11target_archE1100ELNS1_3gpuE3ELNS1_3repE0EEENS1_30default_config_static_selectorELNS0_4arch9wavefront6targetE1EEEvT1_
; %bb.0:
	.section	.rodata,"a",@progbits
	.p2align	6, 0x0
	.amdhsa_kernel _ZN7rocprim17ROCPRIM_400000_NS6detail17trampoline_kernelINS0_14default_configENS1_25partition_config_selectorILNS1_17partition_subalgoE0EiNS0_10empty_typeEbEEZZNS1_14partition_implILS5_0ELb0ES3_jN6thrust23THRUST_200600_302600_NS6detail15normal_iteratorINSA_10device_ptrIiEEEEPS6_SG_NS0_5tupleIJNSA_16discard_iteratorINSA_11use_defaultEEESK_EEENSH_IJSG_SG_EEES6_PlJ7is_evenIiEEEE10hipError_tPvRmT3_T4_T5_T6_T7_T9_mT8_P12ihipStream_tbDpT10_ENKUlT_T0_E_clISt17integral_constantIbLb0EES18_IbLb1EEEEDaS14_S15_EUlS14_E_NS1_11comp_targetILNS1_3genE9ELNS1_11target_archE1100ELNS1_3gpuE3ELNS1_3repE0EEENS1_30default_config_static_selectorELNS0_4arch9wavefront6targetE1EEEvT1_
		.amdhsa_group_segment_fixed_size 0
		.amdhsa_private_segment_fixed_size 0
		.amdhsa_kernarg_size 152
		.amdhsa_user_sgpr_count 2
		.amdhsa_user_sgpr_dispatch_ptr 0
		.amdhsa_user_sgpr_queue_ptr 0
		.amdhsa_user_sgpr_kernarg_segment_ptr 1
		.amdhsa_user_sgpr_dispatch_id 0
		.amdhsa_user_sgpr_kernarg_preload_length 0
		.amdhsa_user_sgpr_kernarg_preload_offset 0
		.amdhsa_user_sgpr_private_segment_size 0
		.amdhsa_uses_dynamic_stack 0
		.amdhsa_enable_private_segment 0
		.amdhsa_system_sgpr_workgroup_id_x 1
		.amdhsa_system_sgpr_workgroup_id_y 0
		.amdhsa_system_sgpr_workgroup_id_z 0
		.amdhsa_system_sgpr_workgroup_info 0
		.amdhsa_system_vgpr_workitem_id 0
		.amdhsa_next_free_vgpr 1
		.amdhsa_next_free_sgpr 0
		.amdhsa_accum_offset 4
		.amdhsa_reserve_vcc 0
		.amdhsa_float_round_mode_32 0
		.amdhsa_float_round_mode_16_64 0
		.amdhsa_float_denorm_mode_32 3
		.amdhsa_float_denorm_mode_16_64 3
		.amdhsa_dx10_clamp 1
		.amdhsa_ieee_mode 1
		.amdhsa_fp16_overflow 0
		.amdhsa_tg_split 0
		.amdhsa_exception_fp_ieee_invalid_op 0
		.amdhsa_exception_fp_denorm_src 0
		.amdhsa_exception_fp_ieee_div_zero 0
		.amdhsa_exception_fp_ieee_overflow 0
		.amdhsa_exception_fp_ieee_underflow 0
		.amdhsa_exception_fp_ieee_inexact 0
		.amdhsa_exception_int_div_zero 0
	.end_amdhsa_kernel
	.section	.text._ZN7rocprim17ROCPRIM_400000_NS6detail17trampoline_kernelINS0_14default_configENS1_25partition_config_selectorILNS1_17partition_subalgoE0EiNS0_10empty_typeEbEEZZNS1_14partition_implILS5_0ELb0ES3_jN6thrust23THRUST_200600_302600_NS6detail15normal_iteratorINSA_10device_ptrIiEEEEPS6_SG_NS0_5tupleIJNSA_16discard_iteratorINSA_11use_defaultEEESK_EEENSH_IJSG_SG_EEES6_PlJ7is_evenIiEEEE10hipError_tPvRmT3_T4_T5_T6_T7_T9_mT8_P12ihipStream_tbDpT10_ENKUlT_T0_E_clISt17integral_constantIbLb0EES18_IbLb1EEEEDaS14_S15_EUlS14_E_NS1_11comp_targetILNS1_3genE9ELNS1_11target_archE1100ELNS1_3gpuE3ELNS1_3repE0EEENS1_30default_config_static_selectorELNS0_4arch9wavefront6targetE1EEEvT1_,"axG",@progbits,_ZN7rocprim17ROCPRIM_400000_NS6detail17trampoline_kernelINS0_14default_configENS1_25partition_config_selectorILNS1_17partition_subalgoE0EiNS0_10empty_typeEbEEZZNS1_14partition_implILS5_0ELb0ES3_jN6thrust23THRUST_200600_302600_NS6detail15normal_iteratorINSA_10device_ptrIiEEEEPS6_SG_NS0_5tupleIJNSA_16discard_iteratorINSA_11use_defaultEEESK_EEENSH_IJSG_SG_EEES6_PlJ7is_evenIiEEEE10hipError_tPvRmT3_T4_T5_T6_T7_T9_mT8_P12ihipStream_tbDpT10_ENKUlT_T0_E_clISt17integral_constantIbLb0EES18_IbLb1EEEEDaS14_S15_EUlS14_E_NS1_11comp_targetILNS1_3genE9ELNS1_11target_archE1100ELNS1_3gpuE3ELNS1_3repE0EEENS1_30default_config_static_selectorELNS0_4arch9wavefront6targetE1EEEvT1_,comdat
.Lfunc_end2713:
	.size	_ZN7rocprim17ROCPRIM_400000_NS6detail17trampoline_kernelINS0_14default_configENS1_25partition_config_selectorILNS1_17partition_subalgoE0EiNS0_10empty_typeEbEEZZNS1_14partition_implILS5_0ELb0ES3_jN6thrust23THRUST_200600_302600_NS6detail15normal_iteratorINSA_10device_ptrIiEEEEPS6_SG_NS0_5tupleIJNSA_16discard_iteratorINSA_11use_defaultEEESK_EEENSH_IJSG_SG_EEES6_PlJ7is_evenIiEEEE10hipError_tPvRmT3_T4_T5_T6_T7_T9_mT8_P12ihipStream_tbDpT10_ENKUlT_T0_E_clISt17integral_constantIbLb0EES18_IbLb1EEEEDaS14_S15_EUlS14_E_NS1_11comp_targetILNS1_3genE9ELNS1_11target_archE1100ELNS1_3gpuE3ELNS1_3repE0EEENS1_30default_config_static_selectorELNS0_4arch9wavefront6targetE1EEEvT1_, .Lfunc_end2713-_ZN7rocprim17ROCPRIM_400000_NS6detail17trampoline_kernelINS0_14default_configENS1_25partition_config_selectorILNS1_17partition_subalgoE0EiNS0_10empty_typeEbEEZZNS1_14partition_implILS5_0ELb0ES3_jN6thrust23THRUST_200600_302600_NS6detail15normal_iteratorINSA_10device_ptrIiEEEEPS6_SG_NS0_5tupleIJNSA_16discard_iteratorINSA_11use_defaultEEESK_EEENSH_IJSG_SG_EEES6_PlJ7is_evenIiEEEE10hipError_tPvRmT3_T4_T5_T6_T7_T9_mT8_P12ihipStream_tbDpT10_ENKUlT_T0_E_clISt17integral_constantIbLb0EES18_IbLb1EEEEDaS14_S15_EUlS14_E_NS1_11comp_targetILNS1_3genE9ELNS1_11target_archE1100ELNS1_3gpuE3ELNS1_3repE0EEENS1_30default_config_static_selectorELNS0_4arch9wavefront6targetE1EEEvT1_
                                        ; -- End function
	.section	.AMDGPU.csdata,"",@progbits
; Kernel info:
; codeLenInByte = 0
; NumSgprs: 6
; NumVgprs: 0
; NumAgprs: 0
; TotalNumVgprs: 0
; ScratchSize: 0
; MemoryBound: 0
; FloatMode: 240
; IeeeMode: 1
; LDSByteSize: 0 bytes/workgroup (compile time only)
; SGPRBlocks: 0
; VGPRBlocks: 0
; NumSGPRsForWavesPerEU: 6
; NumVGPRsForWavesPerEU: 1
; AccumOffset: 4
; Occupancy: 8
; WaveLimiterHint : 0
; COMPUTE_PGM_RSRC2:SCRATCH_EN: 0
; COMPUTE_PGM_RSRC2:USER_SGPR: 2
; COMPUTE_PGM_RSRC2:TRAP_HANDLER: 0
; COMPUTE_PGM_RSRC2:TGID_X_EN: 1
; COMPUTE_PGM_RSRC2:TGID_Y_EN: 0
; COMPUTE_PGM_RSRC2:TGID_Z_EN: 0
; COMPUTE_PGM_RSRC2:TIDIG_COMP_CNT: 0
; COMPUTE_PGM_RSRC3_GFX90A:ACCUM_OFFSET: 0
; COMPUTE_PGM_RSRC3_GFX90A:TG_SPLIT: 0
	.section	.text._ZN7rocprim17ROCPRIM_400000_NS6detail17trampoline_kernelINS0_14default_configENS1_25partition_config_selectorILNS1_17partition_subalgoE0EiNS0_10empty_typeEbEEZZNS1_14partition_implILS5_0ELb0ES3_jN6thrust23THRUST_200600_302600_NS6detail15normal_iteratorINSA_10device_ptrIiEEEEPS6_SG_NS0_5tupleIJNSA_16discard_iteratorINSA_11use_defaultEEESK_EEENSH_IJSG_SG_EEES6_PlJ7is_evenIiEEEE10hipError_tPvRmT3_T4_T5_T6_T7_T9_mT8_P12ihipStream_tbDpT10_ENKUlT_T0_E_clISt17integral_constantIbLb0EES18_IbLb1EEEEDaS14_S15_EUlS14_E_NS1_11comp_targetILNS1_3genE8ELNS1_11target_archE1030ELNS1_3gpuE2ELNS1_3repE0EEENS1_30default_config_static_selectorELNS0_4arch9wavefront6targetE1EEEvT1_,"axG",@progbits,_ZN7rocprim17ROCPRIM_400000_NS6detail17trampoline_kernelINS0_14default_configENS1_25partition_config_selectorILNS1_17partition_subalgoE0EiNS0_10empty_typeEbEEZZNS1_14partition_implILS5_0ELb0ES3_jN6thrust23THRUST_200600_302600_NS6detail15normal_iteratorINSA_10device_ptrIiEEEEPS6_SG_NS0_5tupleIJNSA_16discard_iteratorINSA_11use_defaultEEESK_EEENSH_IJSG_SG_EEES6_PlJ7is_evenIiEEEE10hipError_tPvRmT3_T4_T5_T6_T7_T9_mT8_P12ihipStream_tbDpT10_ENKUlT_T0_E_clISt17integral_constantIbLb0EES18_IbLb1EEEEDaS14_S15_EUlS14_E_NS1_11comp_targetILNS1_3genE8ELNS1_11target_archE1030ELNS1_3gpuE2ELNS1_3repE0EEENS1_30default_config_static_selectorELNS0_4arch9wavefront6targetE1EEEvT1_,comdat
	.protected	_ZN7rocprim17ROCPRIM_400000_NS6detail17trampoline_kernelINS0_14default_configENS1_25partition_config_selectorILNS1_17partition_subalgoE0EiNS0_10empty_typeEbEEZZNS1_14partition_implILS5_0ELb0ES3_jN6thrust23THRUST_200600_302600_NS6detail15normal_iteratorINSA_10device_ptrIiEEEEPS6_SG_NS0_5tupleIJNSA_16discard_iteratorINSA_11use_defaultEEESK_EEENSH_IJSG_SG_EEES6_PlJ7is_evenIiEEEE10hipError_tPvRmT3_T4_T5_T6_T7_T9_mT8_P12ihipStream_tbDpT10_ENKUlT_T0_E_clISt17integral_constantIbLb0EES18_IbLb1EEEEDaS14_S15_EUlS14_E_NS1_11comp_targetILNS1_3genE8ELNS1_11target_archE1030ELNS1_3gpuE2ELNS1_3repE0EEENS1_30default_config_static_selectorELNS0_4arch9wavefront6targetE1EEEvT1_ ; -- Begin function _ZN7rocprim17ROCPRIM_400000_NS6detail17trampoline_kernelINS0_14default_configENS1_25partition_config_selectorILNS1_17partition_subalgoE0EiNS0_10empty_typeEbEEZZNS1_14partition_implILS5_0ELb0ES3_jN6thrust23THRUST_200600_302600_NS6detail15normal_iteratorINSA_10device_ptrIiEEEEPS6_SG_NS0_5tupleIJNSA_16discard_iteratorINSA_11use_defaultEEESK_EEENSH_IJSG_SG_EEES6_PlJ7is_evenIiEEEE10hipError_tPvRmT3_T4_T5_T6_T7_T9_mT8_P12ihipStream_tbDpT10_ENKUlT_T0_E_clISt17integral_constantIbLb0EES18_IbLb1EEEEDaS14_S15_EUlS14_E_NS1_11comp_targetILNS1_3genE8ELNS1_11target_archE1030ELNS1_3gpuE2ELNS1_3repE0EEENS1_30default_config_static_selectorELNS0_4arch9wavefront6targetE1EEEvT1_
	.globl	_ZN7rocprim17ROCPRIM_400000_NS6detail17trampoline_kernelINS0_14default_configENS1_25partition_config_selectorILNS1_17partition_subalgoE0EiNS0_10empty_typeEbEEZZNS1_14partition_implILS5_0ELb0ES3_jN6thrust23THRUST_200600_302600_NS6detail15normal_iteratorINSA_10device_ptrIiEEEEPS6_SG_NS0_5tupleIJNSA_16discard_iteratorINSA_11use_defaultEEESK_EEENSH_IJSG_SG_EEES6_PlJ7is_evenIiEEEE10hipError_tPvRmT3_T4_T5_T6_T7_T9_mT8_P12ihipStream_tbDpT10_ENKUlT_T0_E_clISt17integral_constantIbLb0EES18_IbLb1EEEEDaS14_S15_EUlS14_E_NS1_11comp_targetILNS1_3genE8ELNS1_11target_archE1030ELNS1_3gpuE2ELNS1_3repE0EEENS1_30default_config_static_selectorELNS0_4arch9wavefront6targetE1EEEvT1_
	.p2align	8
	.type	_ZN7rocprim17ROCPRIM_400000_NS6detail17trampoline_kernelINS0_14default_configENS1_25partition_config_selectorILNS1_17partition_subalgoE0EiNS0_10empty_typeEbEEZZNS1_14partition_implILS5_0ELb0ES3_jN6thrust23THRUST_200600_302600_NS6detail15normal_iteratorINSA_10device_ptrIiEEEEPS6_SG_NS0_5tupleIJNSA_16discard_iteratorINSA_11use_defaultEEESK_EEENSH_IJSG_SG_EEES6_PlJ7is_evenIiEEEE10hipError_tPvRmT3_T4_T5_T6_T7_T9_mT8_P12ihipStream_tbDpT10_ENKUlT_T0_E_clISt17integral_constantIbLb0EES18_IbLb1EEEEDaS14_S15_EUlS14_E_NS1_11comp_targetILNS1_3genE8ELNS1_11target_archE1030ELNS1_3gpuE2ELNS1_3repE0EEENS1_30default_config_static_selectorELNS0_4arch9wavefront6targetE1EEEvT1_,@function
_ZN7rocprim17ROCPRIM_400000_NS6detail17trampoline_kernelINS0_14default_configENS1_25partition_config_selectorILNS1_17partition_subalgoE0EiNS0_10empty_typeEbEEZZNS1_14partition_implILS5_0ELb0ES3_jN6thrust23THRUST_200600_302600_NS6detail15normal_iteratorINSA_10device_ptrIiEEEEPS6_SG_NS0_5tupleIJNSA_16discard_iteratorINSA_11use_defaultEEESK_EEENSH_IJSG_SG_EEES6_PlJ7is_evenIiEEEE10hipError_tPvRmT3_T4_T5_T6_T7_T9_mT8_P12ihipStream_tbDpT10_ENKUlT_T0_E_clISt17integral_constantIbLb0EES18_IbLb1EEEEDaS14_S15_EUlS14_E_NS1_11comp_targetILNS1_3genE8ELNS1_11target_archE1030ELNS1_3gpuE2ELNS1_3repE0EEENS1_30default_config_static_selectorELNS0_4arch9wavefront6targetE1EEEvT1_: ; @_ZN7rocprim17ROCPRIM_400000_NS6detail17trampoline_kernelINS0_14default_configENS1_25partition_config_selectorILNS1_17partition_subalgoE0EiNS0_10empty_typeEbEEZZNS1_14partition_implILS5_0ELb0ES3_jN6thrust23THRUST_200600_302600_NS6detail15normal_iteratorINSA_10device_ptrIiEEEEPS6_SG_NS0_5tupleIJNSA_16discard_iteratorINSA_11use_defaultEEESK_EEENSH_IJSG_SG_EEES6_PlJ7is_evenIiEEEE10hipError_tPvRmT3_T4_T5_T6_T7_T9_mT8_P12ihipStream_tbDpT10_ENKUlT_T0_E_clISt17integral_constantIbLb0EES18_IbLb1EEEEDaS14_S15_EUlS14_E_NS1_11comp_targetILNS1_3genE8ELNS1_11target_archE1030ELNS1_3gpuE2ELNS1_3repE0EEENS1_30default_config_static_selectorELNS0_4arch9wavefront6targetE1EEEvT1_
; %bb.0:
	.section	.rodata,"a",@progbits
	.p2align	6, 0x0
	.amdhsa_kernel _ZN7rocprim17ROCPRIM_400000_NS6detail17trampoline_kernelINS0_14default_configENS1_25partition_config_selectorILNS1_17partition_subalgoE0EiNS0_10empty_typeEbEEZZNS1_14partition_implILS5_0ELb0ES3_jN6thrust23THRUST_200600_302600_NS6detail15normal_iteratorINSA_10device_ptrIiEEEEPS6_SG_NS0_5tupleIJNSA_16discard_iteratorINSA_11use_defaultEEESK_EEENSH_IJSG_SG_EEES6_PlJ7is_evenIiEEEE10hipError_tPvRmT3_T4_T5_T6_T7_T9_mT8_P12ihipStream_tbDpT10_ENKUlT_T0_E_clISt17integral_constantIbLb0EES18_IbLb1EEEEDaS14_S15_EUlS14_E_NS1_11comp_targetILNS1_3genE8ELNS1_11target_archE1030ELNS1_3gpuE2ELNS1_3repE0EEENS1_30default_config_static_selectorELNS0_4arch9wavefront6targetE1EEEvT1_
		.amdhsa_group_segment_fixed_size 0
		.amdhsa_private_segment_fixed_size 0
		.amdhsa_kernarg_size 152
		.amdhsa_user_sgpr_count 2
		.amdhsa_user_sgpr_dispatch_ptr 0
		.amdhsa_user_sgpr_queue_ptr 0
		.amdhsa_user_sgpr_kernarg_segment_ptr 1
		.amdhsa_user_sgpr_dispatch_id 0
		.amdhsa_user_sgpr_kernarg_preload_length 0
		.amdhsa_user_sgpr_kernarg_preload_offset 0
		.amdhsa_user_sgpr_private_segment_size 0
		.amdhsa_uses_dynamic_stack 0
		.amdhsa_enable_private_segment 0
		.amdhsa_system_sgpr_workgroup_id_x 1
		.amdhsa_system_sgpr_workgroup_id_y 0
		.amdhsa_system_sgpr_workgroup_id_z 0
		.amdhsa_system_sgpr_workgroup_info 0
		.amdhsa_system_vgpr_workitem_id 0
		.amdhsa_next_free_vgpr 1
		.amdhsa_next_free_sgpr 0
		.amdhsa_accum_offset 4
		.amdhsa_reserve_vcc 0
		.amdhsa_float_round_mode_32 0
		.amdhsa_float_round_mode_16_64 0
		.amdhsa_float_denorm_mode_32 3
		.amdhsa_float_denorm_mode_16_64 3
		.amdhsa_dx10_clamp 1
		.amdhsa_ieee_mode 1
		.amdhsa_fp16_overflow 0
		.amdhsa_tg_split 0
		.amdhsa_exception_fp_ieee_invalid_op 0
		.amdhsa_exception_fp_denorm_src 0
		.amdhsa_exception_fp_ieee_div_zero 0
		.amdhsa_exception_fp_ieee_overflow 0
		.amdhsa_exception_fp_ieee_underflow 0
		.amdhsa_exception_fp_ieee_inexact 0
		.amdhsa_exception_int_div_zero 0
	.end_amdhsa_kernel
	.section	.text._ZN7rocprim17ROCPRIM_400000_NS6detail17trampoline_kernelINS0_14default_configENS1_25partition_config_selectorILNS1_17partition_subalgoE0EiNS0_10empty_typeEbEEZZNS1_14partition_implILS5_0ELb0ES3_jN6thrust23THRUST_200600_302600_NS6detail15normal_iteratorINSA_10device_ptrIiEEEEPS6_SG_NS0_5tupleIJNSA_16discard_iteratorINSA_11use_defaultEEESK_EEENSH_IJSG_SG_EEES6_PlJ7is_evenIiEEEE10hipError_tPvRmT3_T4_T5_T6_T7_T9_mT8_P12ihipStream_tbDpT10_ENKUlT_T0_E_clISt17integral_constantIbLb0EES18_IbLb1EEEEDaS14_S15_EUlS14_E_NS1_11comp_targetILNS1_3genE8ELNS1_11target_archE1030ELNS1_3gpuE2ELNS1_3repE0EEENS1_30default_config_static_selectorELNS0_4arch9wavefront6targetE1EEEvT1_,"axG",@progbits,_ZN7rocprim17ROCPRIM_400000_NS6detail17trampoline_kernelINS0_14default_configENS1_25partition_config_selectorILNS1_17partition_subalgoE0EiNS0_10empty_typeEbEEZZNS1_14partition_implILS5_0ELb0ES3_jN6thrust23THRUST_200600_302600_NS6detail15normal_iteratorINSA_10device_ptrIiEEEEPS6_SG_NS0_5tupleIJNSA_16discard_iteratorINSA_11use_defaultEEESK_EEENSH_IJSG_SG_EEES6_PlJ7is_evenIiEEEE10hipError_tPvRmT3_T4_T5_T6_T7_T9_mT8_P12ihipStream_tbDpT10_ENKUlT_T0_E_clISt17integral_constantIbLb0EES18_IbLb1EEEEDaS14_S15_EUlS14_E_NS1_11comp_targetILNS1_3genE8ELNS1_11target_archE1030ELNS1_3gpuE2ELNS1_3repE0EEENS1_30default_config_static_selectorELNS0_4arch9wavefront6targetE1EEEvT1_,comdat
.Lfunc_end2714:
	.size	_ZN7rocprim17ROCPRIM_400000_NS6detail17trampoline_kernelINS0_14default_configENS1_25partition_config_selectorILNS1_17partition_subalgoE0EiNS0_10empty_typeEbEEZZNS1_14partition_implILS5_0ELb0ES3_jN6thrust23THRUST_200600_302600_NS6detail15normal_iteratorINSA_10device_ptrIiEEEEPS6_SG_NS0_5tupleIJNSA_16discard_iteratorINSA_11use_defaultEEESK_EEENSH_IJSG_SG_EEES6_PlJ7is_evenIiEEEE10hipError_tPvRmT3_T4_T5_T6_T7_T9_mT8_P12ihipStream_tbDpT10_ENKUlT_T0_E_clISt17integral_constantIbLb0EES18_IbLb1EEEEDaS14_S15_EUlS14_E_NS1_11comp_targetILNS1_3genE8ELNS1_11target_archE1030ELNS1_3gpuE2ELNS1_3repE0EEENS1_30default_config_static_selectorELNS0_4arch9wavefront6targetE1EEEvT1_, .Lfunc_end2714-_ZN7rocprim17ROCPRIM_400000_NS6detail17trampoline_kernelINS0_14default_configENS1_25partition_config_selectorILNS1_17partition_subalgoE0EiNS0_10empty_typeEbEEZZNS1_14partition_implILS5_0ELb0ES3_jN6thrust23THRUST_200600_302600_NS6detail15normal_iteratorINSA_10device_ptrIiEEEEPS6_SG_NS0_5tupleIJNSA_16discard_iteratorINSA_11use_defaultEEESK_EEENSH_IJSG_SG_EEES6_PlJ7is_evenIiEEEE10hipError_tPvRmT3_T4_T5_T6_T7_T9_mT8_P12ihipStream_tbDpT10_ENKUlT_T0_E_clISt17integral_constantIbLb0EES18_IbLb1EEEEDaS14_S15_EUlS14_E_NS1_11comp_targetILNS1_3genE8ELNS1_11target_archE1030ELNS1_3gpuE2ELNS1_3repE0EEENS1_30default_config_static_selectorELNS0_4arch9wavefront6targetE1EEEvT1_
                                        ; -- End function
	.section	.AMDGPU.csdata,"",@progbits
; Kernel info:
; codeLenInByte = 0
; NumSgprs: 6
; NumVgprs: 0
; NumAgprs: 0
; TotalNumVgprs: 0
; ScratchSize: 0
; MemoryBound: 0
; FloatMode: 240
; IeeeMode: 1
; LDSByteSize: 0 bytes/workgroup (compile time only)
; SGPRBlocks: 0
; VGPRBlocks: 0
; NumSGPRsForWavesPerEU: 6
; NumVGPRsForWavesPerEU: 1
; AccumOffset: 4
; Occupancy: 8
; WaveLimiterHint : 0
; COMPUTE_PGM_RSRC2:SCRATCH_EN: 0
; COMPUTE_PGM_RSRC2:USER_SGPR: 2
; COMPUTE_PGM_RSRC2:TRAP_HANDLER: 0
; COMPUTE_PGM_RSRC2:TGID_X_EN: 1
; COMPUTE_PGM_RSRC2:TGID_Y_EN: 0
; COMPUTE_PGM_RSRC2:TGID_Z_EN: 0
; COMPUTE_PGM_RSRC2:TIDIG_COMP_CNT: 0
; COMPUTE_PGM_RSRC3_GFX90A:ACCUM_OFFSET: 0
; COMPUTE_PGM_RSRC3_GFX90A:TG_SPLIT: 0
	.section	.text._ZN7rocprim17ROCPRIM_400000_NS6detail17trampoline_kernelINS0_14default_configENS1_25partition_config_selectorILNS1_17partition_subalgoE0EiNS0_10empty_typeEbEEZZNS1_14partition_implILS5_0ELb0ES3_jN6thrust23THRUST_200600_302600_NS6detail15normal_iteratorINSA_10device_ptrIiEEEEPS6_SG_NS0_5tupleIJSF_NSA_16discard_iteratorINSA_11use_defaultEEEEEENSH_IJSG_SG_EEES6_PlJ7is_evenIiEEEE10hipError_tPvRmT3_T4_T5_T6_T7_T9_mT8_P12ihipStream_tbDpT10_ENKUlT_T0_E_clISt17integral_constantIbLb0EES19_EEDaS14_S15_EUlS14_E_NS1_11comp_targetILNS1_3genE0ELNS1_11target_archE4294967295ELNS1_3gpuE0ELNS1_3repE0EEENS1_30default_config_static_selectorELNS0_4arch9wavefront6targetE1EEEvT1_,"axG",@progbits,_ZN7rocprim17ROCPRIM_400000_NS6detail17trampoline_kernelINS0_14default_configENS1_25partition_config_selectorILNS1_17partition_subalgoE0EiNS0_10empty_typeEbEEZZNS1_14partition_implILS5_0ELb0ES3_jN6thrust23THRUST_200600_302600_NS6detail15normal_iteratorINSA_10device_ptrIiEEEEPS6_SG_NS0_5tupleIJSF_NSA_16discard_iteratorINSA_11use_defaultEEEEEENSH_IJSG_SG_EEES6_PlJ7is_evenIiEEEE10hipError_tPvRmT3_T4_T5_T6_T7_T9_mT8_P12ihipStream_tbDpT10_ENKUlT_T0_E_clISt17integral_constantIbLb0EES19_EEDaS14_S15_EUlS14_E_NS1_11comp_targetILNS1_3genE0ELNS1_11target_archE4294967295ELNS1_3gpuE0ELNS1_3repE0EEENS1_30default_config_static_selectorELNS0_4arch9wavefront6targetE1EEEvT1_,comdat
	.protected	_ZN7rocprim17ROCPRIM_400000_NS6detail17trampoline_kernelINS0_14default_configENS1_25partition_config_selectorILNS1_17partition_subalgoE0EiNS0_10empty_typeEbEEZZNS1_14partition_implILS5_0ELb0ES3_jN6thrust23THRUST_200600_302600_NS6detail15normal_iteratorINSA_10device_ptrIiEEEEPS6_SG_NS0_5tupleIJSF_NSA_16discard_iteratorINSA_11use_defaultEEEEEENSH_IJSG_SG_EEES6_PlJ7is_evenIiEEEE10hipError_tPvRmT3_T4_T5_T6_T7_T9_mT8_P12ihipStream_tbDpT10_ENKUlT_T0_E_clISt17integral_constantIbLb0EES19_EEDaS14_S15_EUlS14_E_NS1_11comp_targetILNS1_3genE0ELNS1_11target_archE4294967295ELNS1_3gpuE0ELNS1_3repE0EEENS1_30default_config_static_selectorELNS0_4arch9wavefront6targetE1EEEvT1_ ; -- Begin function _ZN7rocprim17ROCPRIM_400000_NS6detail17trampoline_kernelINS0_14default_configENS1_25partition_config_selectorILNS1_17partition_subalgoE0EiNS0_10empty_typeEbEEZZNS1_14partition_implILS5_0ELb0ES3_jN6thrust23THRUST_200600_302600_NS6detail15normal_iteratorINSA_10device_ptrIiEEEEPS6_SG_NS0_5tupleIJSF_NSA_16discard_iteratorINSA_11use_defaultEEEEEENSH_IJSG_SG_EEES6_PlJ7is_evenIiEEEE10hipError_tPvRmT3_T4_T5_T6_T7_T9_mT8_P12ihipStream_tbDpT10_ENKUlT_T0_E_clISt17integral_constantIbLb0EES19_EEDaS14_S15_EUlS14_E_NS1_11comp_targetILNS1_3genE0ELNS1_11target_archE4294967295ELNS1_3gpuE0ELNS1_3repE0EEENS1_30default_config_static_selectorELNS0_4arch9wavefront6targetE1EEEvT1_
	.globl	_ZN7rocprim17ROCPRIM_400000_NS6detail17trampoline_kernelINS0_14default_configENS1_25partition_config_selectorILNS1_17partition_subalgoE0EiNS0_10empty_typeEbEEZZNS1_14partition_implILS5_0ELb0ES3_jN6thrust23THRUST_200600_302600_NS6detail15normal_iteratorINSA_10device_ptrIiEEEEPS6_SG_NS0_5tupleIJSF_NSA_16discard_iteratorINSA_11use_defaultEEEEEENSH_IJSG_SG_EEES6_PlJ7is_evenIiEEEE10hipError_tPvRmT3_T4_T5_T6_T7_T9_mT8_P12ihipStream_tbDpT10_ENKUlT_T0_E_clISt17integral_constantIbLb0EES19_EEDaS14_S15_EUlS14_E_NS1_11comp_targetILNS1_3genE0ELNS1_11target_archE4294967295ELNS1_3gpuE0ELNS1_3repE0EEENS1_30default_config_static_selectorELNS0_4arch9wavefront6targetE1EEEvT1_
	.p2align	8
	.type	_ZN7rocprim17ROCPRIM_400000_NS6detail17trampoline_kernelINS0_14default_configENS1_25partition_config_selectorILNS1_17partition_subalgoE0EiNS0_10empty_typeEbEEZZNS1_14partition_implILS5_0ELb0ES3_jN6thrust23THRUST_200600_302600_NS6detail15normal_iteratorINSA_10device_ptrIiEEEEPS6_SG_NS0_5tupleIJSF_NSA_16discard_iteratorINSA_11use_defaultEEEEEENSH_IJSG_SG_EEES6_PlJ7is_evenIiEEEE10hipError_tPvRmT3_T4_T5_T6_T7_T9_mT8_P12ihipStream_tbDpT10_ENKUlT_T0_E_clISt17integral_constantIbLb0EES19_EEDaS14_S15_EUlS14_E_NS1_11comp_targetILNS1_3genE0ELNS1_11target_archE4294967295ELNS1_3gpuE0ELNS1_3repE0EEENS1_30default_config_static_selectorELNS0_4arch9wavefront6targetE1EEEvT1_,@function
_ZN7rocprim17ROCPRIM_400000_NS6detail17trampoline_kernelINS0_14default_configENS1_25partition_config_selectorILNS1_17partition_subalgoE0EiNS0_10empty_typeEbEEZZNS1_14partition_implILS5_0ELb0ES3_jN6thrust23THRUST_200600_302600_NS6detail15normal_iteratorINSA_10device_ptrIiEEEEPS6_SG_NS0_5tupleIJSF_NSA_16discard_iteratorINSA_11use_defaultEEEEEENSH_IJSG_SG_EEES6_PlJ7is_evenIiEEEE10hipError_tPvRmT3_T4_T5_T6_T7_T9_mT8_P12ihipStream_tbDpT10_ENKUlT_T0_E_clISt17integral_constantIbLb0EES19_EEDaS14_S15_EUlS14_E_NS1_11comp_targetILNS1_3genE0ELNS1_11target_archE4294967295ELNS1_3gpuE0ELNS1_3repE0EEENS1_30default_config_static_selectorELNS0_4arch9wavefront6targetE1EEEvT1_: ; @_ZN7rocprim17ROCPRIM_400000_NS6detail17trampoline_kernelINS0_14default_configENS1_25partition_config_selectorILNS1_17partition_subalgoE0EiNS0_10empty_typeEbEEZZNS1_14partition_implILS5_0ELb0ES3_jN6thrust23THRUST_200600_302600_NS6detail15normal_iteratorINSA_10device_ptrIiEEEEPS6_SG_NS0_5tupleIJSF_NSA_16discard_iteratorINSA_11use_defaultEEEEEENSH_IJSG_SG_EEES6_PlJ7is_evenIiEEEE10hipError_tPvRmT3_T4_T5_T6_T7_T9_mT8_P12ihipStream_tbDpT10_ENKUlT_T0_E_clISt17integral_constantIbLb0EES19_EEDaS14_S15_EUlS14_E_NS1_11comp_targetILNS1_3genE0ELNS1_11target_archE4294967295ELNS1_3gpuE0ELNS1_3repE0EEENS1_30default_config_static_selectorELNS0_4arch9wavefront6targetE1EEEvT1_
; %bb.0:
	.section	.rodata,"a",@progbits
	.p2align	6, 0x0
	.amdhsa_kernel _ZN7rocprim17ROCPRIM_400000_NS6detail17trampoline_kernelINS0_14default_configENS1_25partition_config_selectorILNS1_17partition_subalgoE0EiNS0_10empty_typeEbEEZZNS1_14partition_implILS5_0ELb0ES3_jN6thrust23THRUST_200600_302600_NS6detail15normal_iteratorINSA_10device_ptrIiEEEEPS6_SG_NS0_5tupleIJSF_NSA_16discard_iteratorINSA_11use_defaultEEEEEENSH_IJSG_SG_EEES6_PlJ7is_evenIiEEEE10hipError_tPvRmT3_T4_T5_T6_T7_T9_mT8_P12ihipStream_tbDpT10_ENKUlT_T0_E_clISt17integral_constantIbLb0EES19_EEDaS14_S15_EUlS14_E_NS1_11comp_targetILNS1_3genE0ELNS1_11target_archE4294967295ELNS1_3gpuE0ELNS1_3repE0EEENS1_30default_config_static_selectorELNS0_4arch9wavefront6targetE1EEEvT1_
		.amdhsa_group_segment_fixed_size 0
		.amdhsa_private_segment_fixed_size 0
		.amdhsa_kernarg_size 128
		.amdhsa_user_sgpr_count 2
		.amdhsa_user_sgpr_dispatch_ptr 0
		.amdhsa_user_sgpr_queue_ptr 0
		.amdhsa_user_sgpr_kernarg_segment_ptr 1
		.amdhsa_user_sgpr_dispatch_id 0
		.amdhsa_user_sgpr_kernarg_preload_length 0
		.amdhsa_user_sgpr_kernarg_preload_offset 0
		.amdhsa_user_sgpr_private_segment_size 0
		.amdhsa_uses_dynamic_stack 0
		.amdhsa_enable_private_segment 0
		.amdhsa_system_sgpr_workgroup_id_x 1
		.amdhsa_system_sgpr_workgroup_id_y 0
		.amdhsa_system_sgpr_workgroup_id_z 0
		.amdhsa_system_sgpr_workgroup_info 0
		.amdhsa_system_vgpr_workitem_id 0
		.amdhsa_next_free_vgpr 1
		.amdhsa_next_free_sgpr 0
		.amdhsa_accum_offset 4
		.amdhsa_reserve_vcc 0
		.amdhsa_float_round_mode_32 0
		.amdhsa_float_round_mode_16_64 0
		.amdhsa_float_denorm_mode_32 3
		.amdhsa_float_denorm_mode_16_64 3
		.amdhsa_dx10_clamp 1
		.amdhsa_ieee_mode 1
		.amdhsa_fp16_overflow 0
		.amdhsa_tg_split 0
		.amdhsa_exception_fp_ieee_invalid_op 0
		.amdhsa_exception_fp_denorm_src 0
		.amdhsa_exception_fp_ieee_div_zero 0
		.amdhsa_exception_fp_ieee_overflow 0
		.amdhsa_exception_fp_ieee_underflow 0
		.amdhsa_exception_fp_ieee_inexact 0
		.amdhsa_exception_int_div_zero 0
	.end_amdhsa_kernel
	.section	.text._ZN7rocprim17ROCPRIM_400000_NS6detail17trampoline_kernelINS0_14default_configENS1_25partition_config_selectorILNS1_17partition_subalgoE0EiNS0_10empty_typeEbEEZZNS1_14partition_implILS5_0ELb0ES3_jN6thrust23THRUST_200600_302600_NS6detail15normal_iteratorINSA_10device_ptrIiEEEEPS6_SG_NS0_5tupleIJSF_NSA_16discard_iteratorINSA_11use_defaultEEEEEENSH_IJSG_SG_EEES6_PlJ7is_evenIiEEEE10hipError_tPvRmT3_T4_T5_T6_T7_T9_mT8_P12ihipStream_tbDpT10_ENKUlT_T0_E_clISt17integral_constantIbLb0EES19_EEDaS14_S15_EUlS14_E_NS1_11comp_targetILNS1_3genE0ELNS1_11target_archE4294967295ELNS1_3gpuE0ELNS1_3repE0EEENS1_30default_config_static_selectorELNS0_4arch9wavefront6targetE1EEEvT1_,"axG",@progbits,_ZN7rocprim17ROCPRIM_400000_NS6detail17trampoline_kernelINS0_14default_configENS1_25partition_config_selectorILNS1_17partition_subalgoE0EiNS0_10empty_typeEbEEZZNS1_14partition_implILS5_0ELb0ES3_jN6thrust23THRUST_200600_302600_NS6detail15normal_iteratorINSA_10device_ptrIiEEEEPS6_SG_NS0_5tupleIJSF_NSA_16discard_iteratorINSA_11use_defaultEEEEEENSH_IJSG_SG_EEES6_PlJ7is_evenIiEEEE10hipError_tPvRmT3_T4_T5_T6_T7_T9_mT8_P12ihipStream_tbDpT10_ENKUlT_T0_E_clISt17integral_constantIbLb0EES19_EEDaS14_S15_EUlS14_E_NS1_11comp_targetILNS1_3genE0ELNS1_11target_archE4294967295ELNS1_3gpuE0ELNS1_3repE0EEENS1_30default_config_static_selectorELNS0_4arch9wavefront6targetE1EEEvT1_,comdat
.Lfunc_end2715:
	.size	_ZN7rocprim17ROCPRIM_400000_NS6detail17trampoline_kernelINS0_14default_configENS1_25partition_config_selectorILNS1_17partition_subalgoE0EiNS0_10empty_typeEbEEZZNS1_14partition_implILS5_0ELb0ES3_jN6thrust23THRUST_200600_302600_NS6detail15normal_iteratorINSA_10device_ptrIiEEEEPS6_SG_NS0_5tupleIJSF_NSA_16discard_iteratorINSA_11use_defaultEEEEEENSH_IJSG_SG_EEES6_PlJ7is_evenIiEEEE10hipError_tPvRmT3_T4_T5_T6_T7_T9_mT8_P12ihipStream_tbDpT10_ENKUlT_T0_E_clISt17integral_constantIbLb0EES19_EEDaS14_S15_EUlS14_E_NS1_11comp_targetILNS1_3genE0ELNS1_11target_archE4294967295ELNS1_3gpuE0ELNS1_3repE0EEENS1_30default_config_static_selectorELNS0_4arch9wavefront6targetE1EEEvT1_, .Lfunc_end2715-_ZN7rocprim17ROCPRIM_400000_NS6detail17trampoline_kernelINS0_14default_configENS1_25partition_config_selectorILNS1_17partition_subalgoE0EiNS0_10empty_typeEbEEZZNS1_14partition_implILS5_0ELb0ES3_jN6thrust23THRUST_200600_302600_NS6detail15normal_iteratorINSA_10device_ptrIiEEEEPS6_SG_NS0_5tupleIJSF_NSA_16discard_iteratorINSA_11use_defaultEEEEEENSH_IJSG_SG_EEES6_PlJ7is_evenIiEEEE10hipError_tPvRmT3_T4_T5_T6_T7_T9_mT8_P12ihipStream_tbDpT10_ENKUlT_T0_E_clISt17integral_constantIbLb0EES19_EEDaS14_S15_EUlS14_E_NS1_11comp_targetILNS1_3genE0ELNS1_11target_archE4294967295ELNS1_3gpuE0ELNS1_3repE0EEENS1_30default_config_static_selectorELNS0_4arch9wavefront6targetE1EEEvT1_
                                        ; -- End function
	.section	.AMDGPU.csdata,"",@progbits
; Kernel info:
; codeLenInByte = 0
; NumSgprs: 6
; NumVgprs: 0
; NumAgprs: 0
; TotalNumVgprs: 0
; ScratchSize: 0
; MemoryBound: 0
; FloatMode: 240
; IeeeMode: 1
; LDSByteSize: 0 bytes/workgroup (compile time only)
; SGPRBlocks: 0
; VGPRBlocks: 0
; NumSGPRsForWavesPerEU: 6
; NumVGPRsForWavesPerEU: 1
; AccumOffset: 4
; Occupancy: 8
; WaveLimiterHint : 0
; COMPUTE_PGM_RSRC2:SCRATCH_EN: 0
; COMPUTE_PGM_RSRC2:USER_SGPR: 2
; COMPUTE_PGM_RSRC2:TRAP_HANDLER: 0
; COMPUTE_PGM_RSRC2:TGID_X_EN: 1
; COMPUTE_PGM_RSRC2:TGID_Y_EN: 0
; COMPUTE_PGM_RSRC2:TGID_Z_EN: 0
; COMPUTE_PGM_RSRC2:TIDIG_COMP_CNT: 0
; COMPUTE_PGM_RSRC3_GFX90A:ACCUM_OFFSET: 0
; COMPUTE_PGM_RSRC3_GFX90A:TG_SPLIT: 0
	.section	.text._ZN7rocprim17ROCPRIM_400000_NS6detail17trampoline_kernelINS0_14default_configENS1_25partition_config_selectorILNS1_17partition_subalgoE0EiNS0_10empty_typeEbEEZZNS1_14partition_implILS5_0ELb0ES3_jN6thrust23THRUST_200600_302600_NS6detail15normal_iteratorINSA_10device_ptrIiEEEEPS6_SG_NS0_5tupleIJSF_NSA_16discard_iteratorINSA_11use_defaultEEEEEENSH_IJSG_SG_EEES6_PlJ7is_evenIiEEEE10hipError_tPvRmT3_T4_T5_T6_T7_T9_mT8_P12ihipStream_tbDpT10_ENKUlT_T0_E_clISt17integral_constantIbLb0EES19_EEDaS14_S15_EUlS14_E_NS1_11comp_targetILNS1_3genE5ELNS1_11target_archE942ELNS1_3gpuE9ELNS1_3repE0EEENS1_30default_config_static_selectorELNS0_4arch9wavefront6targetE1EEEvT1_,"axG",@progbits,_ZN7rocprim17ROCPRIM_400000_NS6detail17trampoline_kernelINS0_14default_configENS1_25partition_config_selectorILNS1_17partition_subalgoE0EiNS0_10empty_typeEbEEZZNS1_14partition_implILS5_0ELb0ES3_jN6thrust23THRUST_200600_302600_NS6detail15normal_iteratorINSA_10device_ptrIiEEEEPS6_SG_NS0_5tupleIJSF_NSA_16discard_iteratorINSA_11use_defaultEEEEEENSH_IJSG_SG_EEES6_PlJ7is_evenIiEEEE10hipError_tPvRmT3_T4_T5_T6_T7_T9_mT8_P12ihipStream_tbDpT10_ENKUlT_T0_E_clISt17integral_constantIbLb0EES19_EEDaS14_S15_EUlS14_E_NS1_11comp_targetILNS1_3genE5ELNS1_11target_archE942ELNS1_3gpuE9ELNS1_3repE0EEENS1_30default_config_static_selectorELNS0_4arch9wavefront6targetE1EEEvT1_,comdat
	.protected	_ZN7rocprim17ROCPRIM_400000_NS6detail17trampoline_kernelINS0_14default_configENS1_25partition_config_selectorILNS1_17partition_subalgoE0EiNS0_10empty_typeEbEEZZNS1_14partition_implILS5_0ELb0ES3_jN6thrust23THRUST_200600_302600_NS6detail15normal_iteratorINSA_10device_ptrIiEEEEPS6_SG_NS0_5tupleIJSF_NSA_16discard_iteratorINSA_11use_defaultEEEEEENSH_IJSG_SG_EEES6_PlJ7is_evenIiEEEE10hipError_tPvRmT3_T4_T5_T6_T7_T9_mT8_P12ihipStream_tbDpT10_ENKUlT_T0_E_clISt17integral_constantIbLb0EES19_EEDaS14_S15_EUlS14_E_NS1_11comp_targetILNS1_3genE5ELNS1_11target_archE942ELNS1_3gpuE9ELNS1_3repE0EEENS1_30default_config_static_selectorELNS0_4arch9wavefront6targetE1EEEvT1_ ; -- Begin function _ZN7rocprim17ROCPRIM_400000_NS6detail17trampoline_kernelINS0_14default_configENS1_25partition_config_selectorILNS1_17partition_subalgoE0EiNS0_10empty_typeEbEEZZNS1_14partition_implILS5_0ELb0ES3_jN6thrust23THRUST_200600_302600_NS6detail15normal_iteratorINSA_10device_ptrIiEEEEPS6_SG_NS0_5tupleIJSF_NSA_16discard_iteratorINSA_11use_defaultEEEEEENSH_IJSG_SG_EEES6_PlJ7is_evenIiEEEE10hipError_tPvRmT3_T4_T5_T6_T7_T9_mT8_P12ihipStream_tbDpT10_ENKUlT_T0_E_clISt17integral_constantIbLb0EES19_EEDaS14_S15_EUlS14_E_NS1_11comp_targetILNS1_3genE5ELNS1_11target_archE942ELNS1_3gpuE9ELNS1_3repE0EEENS1_30default_config_static_selectorELNS0_4arch9wavefront6targetE1EEEvT1_
	.globl	_ZN7rocprim17ROCPRIM_400000_NS6detail17trampoline_kernelINS0_14default_configENS1_25partition_config_selectorILNS1_17partition_subalgoE0EiNS0_10empty_typeEbEEZZNS1_14partition_implILS5_0ELb0ES3_jN6thrust23THRUST_200600_302600_NS6detail15normal_iteratorINSA_10device_ptrIiEEEEPS6_SG_NS0_5tupleIJSF_NSA_16discard_iteratorINSA_11use_defaultEEEEEENSH_IJSG_SG_EEES6_PlJ7is_evenIiEEEE10hipError_tPvRmT3_T4_T5_T6_T7_T9_mT8_P12ihipStream_tbDpT10_ENKUlT_T0_E_clISt17integral_constantIbLb0EES19_EEDaS14_S15_EUlS14_E_NS1_11comp_targetILNS1_3genE5ELNS1_11target_archE942ELNS1_3gpuE9ELNS1_3repE0EEENS1_30default_config_static_selectorELNS0_4arch9wavefront6targetE1EEEvT1_
	.p2align	8
	.type	_ZN7rocprim17ROCPRIM_400000_NS6detail17trampoline_kernelINS0_14default_configENS1_25partition_config_selectorILNS1_17partition_subalgoE0EiNS0_10empty_typeEbEEZZNS1_14partition_implILS5_0ELb0ES3_jN6thrust23THRUST_200600_302600_NS6detail15normal_iteratorINSA_10device_ptrIiEEEEPS6_SG_NS0_5tupleIJSF_NSA_16discard_iteratorINSA_11use_defaultEEEEEENSH_IJSG_SG_EEES6_PlJ7is_evenIiEEEE10hipError_tPvRmT3_T4_T5_T6_T7_T9_mT8_P12ihipStream_tbDpT10_ENKUlT_T0_E_clISt17integral_constantIbLb0EES19_EEDaS14_S15_EUlS14_E_NS1_11comp_targetILNS1_3genE5ELNS1_11target_archE942ELNS1_3gpuE9ELNS1_3repE0EEENS1_30default_config_static_selectorELNS0_4arch9wavefront6targetE1EEEvT1_,@function
_ZN7rocprim17ROCPRIM_400000_NS6detail17trampoline_kernelINS0_14default_configENS1_25partition_config_selectorILNS1_17partition_subalgoE0EiNS0_10empty_typeEbEEZZNS1_14partition_implILS5_0ELb0ES3_jN6thrust23THRUST_200600_302600_NS6detail15normal_iteratorINSA_10device_ptrIiEEEEPS6_SG_NS0_5tupleIJSF_NSA_16discard_iteratorINSA_11use_defaultEEEEEENSH_IJSG_SG_EEES6_PlJ7is_evenIiEEEE10hipError_tPvRmT3_T4_T5_T6_T7_T9_mT8_P12ihipStream_tbDpT10_ENKUlT_T0_E_clISt17integral_constantIbLb0EES19_EEDaS14_S15_EUlS14_E_NS1_11comp_targetILNS1_3genE5ELNS1_11target_archE942ELNS1_3gpuE9ELNS1_3repE0EEENS1_30default_config_static_selectorELNS0_4arch9wavefront6targetE1EEEvT1_: ; @_ZN7rocprim17ROCPRIM_400000_NS6detail17trampoline_kernelINS0_14default_configENS1_25partition_config_selectorILNS1_17partition_subalgoE0EiNS0_10empty_typeEbEEZZNS1_14partition_implILS5_0ELb0ES3_jN6thrust23THRUST_200600_302600_NS6detail15normal_iteratorINSA_10device_ptrIiEEEEPS6_SG_NS0_5tupleIJSF_NSA_16discard_iteratorINSA_11use_defaultEEEEEENSH_IJSG_SG_EEES6_PlJ7is_evenIiEEEE10hipError_tPvRmT3_T4_T5_T6_T7_T9_mT8_P12ihipStream_tbDpT10_ENKUlT_T0_E_clISt17integral_constantIbLb0EES19_EEDaS14_S15_EUlS14_E_NS1_11comp_targetILNS1_3genE5ELNS1_11target_archE942ELNS1_3gpuE9ELNS1_3repE0EEENS1_30default_config_static_selectorELNS0_4arch9wavefront6targetE1EEEvT1_
; %bb.0:
	s_load_dwordx2 s[8:9], s[0:1], 0x60
	s_load_dwordx4 s[4:7], s[0:1], 0x8
	s_load_dwordx4 s[24:27], s[0:1], 0x50
	s_load_dword s3, s[0:1], 0x78
	v_lshlrev_b32_e32 v18, 2, v0
	s_waitcnt lgkmcnt(0)
	v_mov_b32_e32 v3, s9
	s_lshl_b64 s[10:11], s[6:7], 2
	s_add_u32 s9, s4, s10
	s_addc_u32 s12, s5, s11
	s_add_i32 s13, s3, -1
	s_mulk_i32 s3, 0x1e00
	s_add_i32 s4, s3, s6
	s_sub_i32 s33, s8, s4
	s_add_u32 s4, s6, s3
	s_addc_u32 s5, s7, 0
	s_cmp_eq_u32 s2, s13
	v_mov_b32_e32 v2, s8
	s_load_dwordx2 s[22:23], s[26:27], 0x0
	s_cselect_b64 s[26:27], -1, 0
	s_cmp_lg_u32 s2, s13
	s_mul_i32 s10, s2, 0x1e00
	s_mov_b32 s11, 0
	v_cmp_lt_u64_e32 vcc, s[4:5], v[2:3]
	s_cselect_b64 s[4:5], -1, 0
	s_or_b64 s[4:5], s[4:5], vcc
	s_lshl_b64 s[6:7], s[10:11], 2
	s_add_u32 s6, s9, s6
	s_addc_u32 s7, s12, s7
	s_mov_b64 s[8:9], -1
	s_and_b64 vcc, exec, s[4:5]
	s_cbranch_vccz .LBB2716_2
; %bb.1:
	v_mov_b32_e32 v19, 0
	v_lshl_add_u64 v[2:3], s[6:7], 0, v[18:19]
	v_add_co_u32_e32 v4, vcc, 0x1000, v2
	s_mov_b64 s[8:9], 0
	s_nop 0
	v_addc_co_u32_e32 v5, vcc, 0, v3, vcc
	v_add_co_u32_e32 v6, vcc, 0x2000, v2
	s_nop 1
	v_addc_co_u32_e32 v7, vcc, 0, v3, vcc
	v_add_co_u32_e32 v8, vcc, 0x3000, v2
	s_nop 1
	v_addc_co_u32_e32 v9, vcc, 0, v3, vcc
	flat_load_dword v1, v[2:3]
	flat_load_dword v10, v[2:3] offset:2048
	flat_load_dword v11, v[4:5]
	flat_load_dword v12, v[4:5] offset:2048
	flat_load_dword v13, v[6:7]
	flat_load_dword v14, v[6:7] offset:2048
	flat_load_dword v15, v[8:9]
	flat_load_dword v16, v[8:9] offset:2048
	v_add_co_u32_e32 v4, vcc, 0x4000, v2
	s_nop 1
	v_addc_co_u32_e32 v5, vcc, 0, v3, vcc
	v_add_co_u32_e32 v6, vcc, 0x5000, v2
	s_nop 1
	v_addc_co_u32_e32 v7, vcc, 0, v3, vcc
	;; [unrolled: 3-line block ×4, first 2 shown]
	flat_load_dword v17, v[4:5]
	flat_load_dword v19, v[4:5] offset:2048
	flat_load_dword v20, v[6:7]
	flat_load_dword v21, v[6:7] offset:2048
	;; [unrolled: 2-line block ×3, first 2 shown]
	flat_load_dword v24, v[2:3]
	s_waitcnt vmcnt(0) lgkmcnt(0)
	ds_write2st64_b32 v18, v1, v10 offset1:8
	ds_write2st64_b32 v18, v11, v12 offset0:16 offset1:24
	ds_write2st64_b32 v18, v13, v14 offset0:32 offset1:40
	;; [unrolled: 1-line block ×6, first 2 shown]
	ds_write_b32 v18, v24 offset:28672
	s_waitcnt lgkmcnt(0)
	s_barrier
.LBB2716_2:
	s_andn2_b64 vcc, exec, s[8:9]
	s_addk_i32 s33, 0x1e00
	s_cbranch_vccnz .LBB2716_34
; %bb.3:
	v_cmp_gt_u32_e32 vcc, s33, v0
                                        ; implicit-def: $vgpr2_vgpr3_vgpr4_vgpr5_vgpr6_vgpr7_vgpr8_vgpr9_vgpr10_vgpr11_vgpr12_vgpr13_vgpr14_vgpr15_vgpr16_vgpr17
	s_and_saveexec_b64 s[8:9], vcc
	s_cbranch_execz .LBB2716_5
; %bb.4:
	v_mov_b32_e32 v19, 0
	v_lshl_add_u64 v[2:3], s[6:7], 0, v[18:19]
	flat_load_dword v2, v[2:3]
.LBB2716_5:
	s_or_b64 exec, exec, s[8:9]
	v_or_b32_e32 v1, 0x200, v0
	v_cmp_gt_u32_e32 vcc, s33, v1
	s_and_saveexec_b64 s[8:9], vcc
	s_cbranch_execz .LBB2716_7
; %bb.6:
	v_mov_b32_e32 v19, 0
	v_lshl_add_u64 v[20:21], s[6:7], 0, v[18:19]
	flat_load_dword v3, v[20:21] offset:2048
.LBB2716_7:
	s_or_b64 exec, exec, s[8:9]
	v_or_b32_e32 v1, 0x400, v0
	v_cmp_gt_u32_e32 vcc, s33, v1
	s_and_saveexec_b64 s[8:9], vcc
	s_cbranch_execz .LBB2716_9
; %bb.8:
	v_lshlrev_b32_e32 v20, 2, v1
	v_mov_b32_e32 v21, 0
	v_lshl_add_u64 v[20:21], s[6:7], 0, v[20:21]
	flat_load_dword v4, v[20:21]
.LBB2716_9:
	s_or_b64 exec, exec, s[8:9]
	v_or_b32_e32 v1, 0x600, v0
	v_cmp_gt_u32_e32 vcc, s33, v1
	s_and_saveexec_b64 s[8:9], vcc
	s_cbranch_execz .LBB2716_11
; %bb.10:
	v_lshlrev_b32_e32 v20, 2, v1
	v_mov_b32_e32 v21, 0
	v_lshl_add_u64 v[20:21], s[6:7], 0, v[20:21]
	flat_load_dword v5, v[20:21]
.LBB2716_11:
	;; [unrolled: 11-line block ×13, first 2 shown]
	s_or_b64 exec, exec, s[8:9]
	s_waitcnt vmcnt(0) lgkmcnt(0)
	ds_write2st64_b32 v18, v2, v3 offset1:8
	ds_write2st64_b32 v18, v4, v5 offset0:16 offset1:24
	ds_write2st64_b32 v18, v6, v7 offset0:32 offset1:40
	;; [unrolled: 1-line block ×6, first 2 shown]
	ds_write_b32 v18, v16 offset:28672
	s_waitcnt lgkmcnt(0)
	s_barrier
.LBB2716_34:
	v_mul_u32_u24_e32 v38, 15, v0
	v_lshlrev_b32_e32 v1, 2, v38
	s_waitcnt lgkmcnt(0)
	ds_read2_b32 v[32:33], v1 offset1:1
	ds_read2_b32 v[30:31], v1 offset0:2 offset1:3
	ds_read2_b32 v[28:29], v1 offset0:4 offset1:5
	;; [unrolled: 1-line block ×6, first 2 shown]
	ds_read_b32 v1, v1 offset:56
	v_cndmask_b32_e64 v2, 0, 1, s[4:5]
	v_cmp_ne_u32_e64 s[20:21], 1, v2
	s_andn2_b64 vcc, exec, s[4:5]
	s_waitcnt lgkmcnt(7)
	v_xor_b32_e32 v16, -1, v32
	v_xor_b32_e32 v15, -1, v33
	s_waitcnt lgkmcnt(6)
	v_xor_b32_e32 v14, -1, v30
	v_xor_b32_e32 v13, -1, v31
	s_waitcnt lgkmcnt(5)
	v_xor_b32_e32 v12, -1, v28
	v_xor_b32_e32 v11, -1, v29
	s_waitcnt lgkmcnt(4)
	v_xor_b32_e32 v10, -1, v26
	v_xor_b32_e32 v9, -1, v27
	s_waitcnt lgkmcnt(3)
	v_xor_b32_e32 v8, -1, v24
	v_xor_b32_e32 v7, -1, v25
	s_waitcnt lgkmcnt(2)
	v_xor_b32_e32 v6, -1, v22
	v_xor_b32_e32 v5, -1, v23
	s_waitcnt lgkmcnt(1)
	v_xor_b32_e32 v4, -1, v20
	v_xor_b32_e32 v3, -1, v21
	s_waitcnt lgkmcnt(0)
	v_xor_b32_e32 v2, -1, v1
	s_barrier
	s_cbranch_vccnz .LBB2716_36
; %bb.35:
	v_and_b32_e32 v51, 1, v16
	v_and_b32_e32 v50, 1, v15
	;; [unrolled: 1-line block ×15, first 2 shown]
	s_load_dwordx2 s[28:29], s[0:1], 0x70
	s_cbranch_execz .LBB2716_37
	s_branch .LBB2716_38
.LBB2716_36:
                                        ; implicit-def: $vgpr19
                                        ; implicit-def: $vgpr37
                                        ; implicit-def: $vgpr39
                                        ; implicit-def: $vgpr40
                                        ; implicit-def: $vgpr41
                                        ; implicit-def: $vgpr42
                                        ; implicit-def: $vgpr43
                                        ; implicit-def: $vgpr44
                                        ; implicit-def: $vgpr45
                                        ; implicit-def: $vgpr51
                                        ; implicit-def: $vgpr50
                                        ; implicit-def: $vgpr49
                                        ; implicit-def: $vgpr48
                                        ; implicit-def: $vgpr47
                                        ; implicit-def: $vgpr46
	s_load_dwordx2 s[28:29], s[0:1], 0x70
.LBB2716_37:
	v_add_u32_e32 v44, 1, v38
	v_cmp_gt_u32_e32 vcc, s33, v38
	v_add_u32_e32 v17, 2, v38
	v_add_u32_e32 v43, 3, v38
	v_cndmask_b32_e64 v45, 0, 1, vcc
	v_cmp_gt_u32_e32 vcc, s33, v44
	v_and_b32_e32 v51, v45, v16
	v_add_u32_e32 v19, 4, v38
	v_cndmask_b32_e64 v16, 0, 1, vcc
	v_cmp_gt_u32_e32 vcc, s33, v17
	v_and_b32_e32 v50, v16, v15
	;; [unrolled: 4-line block ×12, first 2 shown]
	s_nop 0
	v_cndmask_b32_e64 v5, 0, 1, vcc
	v_cmp_gt_u32_e32 vcc, s33, v53
	v_and_b32_e32 v39, v5, v4
	s_nop 0
	v_cndmask_b32_e64 v4, 0, 1, vcc
	v_cmp_gt_u32_e32 vcc, s33, v52
	v_and_b32_e32 v37, v4, v3
	s_nop 0
	v_cndmask_b32_e64 v3, 0, 1, vcc
	v_and_b32_e32 v19, v3, v2
.LBB2716_38:
	v_and_b32_e32 v55, 0xff, v48
	v_and_b32_e32 v56, 0xff, v47
	;; [unrolled: 1-line block ×5, first 2 shown]
	v_add3_u32 v3, v56, v57, v55
	v_and_b32_e32 v52, 0xff, v51
	v_and_b32_e32 v58, 0xff, v45
	v_add3_u32 v3, v3, v54, v53
	v_and_b32_e32 v59, 0xff, v44
	v_and_b32_e32 v60, 0xff, v43
	;; [unrolled: 3-line block ×5, first 2 shown]
	v_add3_u32 v3, v3, v63, v64
	v_add3_u32 v68, v3, v65, v2
	v_mbcnt_lo_u32_b32 v2, -1, 0
	v_mbcnt_hi_u32_b32 v66, -1, v2
	v_and_b32_e32 v2, 15, v66
	v_cmp_eq_u32_e64 s[16:17], 0, v2
	v_cmp_lt_u32_e64 s[14:15], 1, v2
	v_cmp_lt_u32_e64 s[12:13], 3, v2
	;; [unrolled: 1-line block ×3, first 2 shown]
	v_and_b32_e32 v2, 16, v66
	v_cmp_eq_u32_e64 s[8:9], 0, v2
	v_or_b32_e32 v2, 63, v0
	s_cmp_lg_u32 s2, 0
	v_cmp_lt_u32_e64 s[4:5], 31, v66
	v_lshrrev_b32_e32 v67, 6, v0
	v_cmp_eq_u32_e64 s[6:7], v2, v0
	s_cbranch_scc0 .LBB2716_65
; %bb.39:
	v_mov_b32_dpp v2, v68 row_shr:1 row_mask:0xf bank_mask:0xf
	v_cndmask_b32_e64 v2, v2, 0, s[16:17]
	v_add_u32_e32 v2, v2, v68
	s_nop 1
	v_mov_b32_dpp v3, v2 row_shr:2 row_mask:0xf bank_mask:0xf
	v_cndmask_b32_e64 v3, 0, v3, s[14:15]
	v_add_u32_e32 v2, v2, v3
	s_nop 1
	;; [unrolled: 4-line block ×4, first 2 shown]
	v_mov_b32_dpp v3, v2 row_bcast:15 row_mask:0xf bank_mask:0xf
	v_cndmask_b32_e64 v3, v3, 0, s[8:9]
	v_add_u32_e32 v2, v2, v3
	s_nop 1
	v_mov_b32_dpp v3, v2 row_bcast:31 row_mask:0xf bank_mask:0xf
	v_cndmask_b32_e64 v3, 0, v3, s[4:5]
	v_add_u32_e32 v2, v2, v3
	s_and_saveexec_b64 s[18:19], s[6:7]
	s_cbranch_execz .LBB2716_41
; %bb.40:
	v_lshlrev_b32_e32 v3, 2, v67
	ds_write_b32 v3, v2
.LBB2716_41:
	s_or_b64 exec, exec, s[18:19]
	v_cmp_gt_u32_e32 vcc, 8, v0
	s_waitcnt lgkmcnt(0)
	s_barrier
	s_and_saveexec_b64 s[18:19], vcc
	s_cbranch_execz .LBB2716_43
; %bb.42:
	ds_read_b32 v3, v18
	v_and_b32_e32 v4, 7, v66
	v_cmp_ne_u32_e32 vcc, 0, v4
	s_waitcnt lgkmcnt(0)
	v_mov_b32_dpp v5, v3 row_shr:1 row_mask:0xf bank_mask:0xf
	v_cndmask_b32_e32 v5, 0, v5, vcc
	v_add_u32_e32 v3, v5, v3
	v_cmp_lt_u32_e32 vcc, 1, v4
	s_nop 0
	v_mov_b32_dpp v5, v3 row_shr:2 row_mask:0xf bank_mask:0xf
	v_cndmask_b32_e32 v5, 0, v5, vcc
	v_add_u32_e32 v3, v3, v5
	v_cmp_lt_u32_e32 vcc, 3, v4
	s_nop 0
	v_mov_b32_dpp v5, v3 row_shr:4 row_mask:0xf bank_mask:0xf
	v_cndmask_b32_e32 v4, 0, v5, vcc
	v_add_u32_e32 v3, v3, v4
	ds_write_b32 v18, v3
.LBB2716_43:
	s_or_b64 exec, exec, s[18:19]
	v_cmp_gt_u32_e32 vcc, 64, v0
	v_cmp_lt_u32_e64 s[18:19], 63, v0
	s_waitcnt lgkmcnt(0)
	s_barrier
	s_waitcnt lgkmcnt(0)
                                        ; implicit-def: $vgpr12
	s_and_saveexec_b64 s[30:31], s[18:19]
	s_cbranch_execz .LBB2716_45
; %bb.44:
	v_lshl_add_u32 v3, v67, 2, -4
	ds_read_b32 v12, v3
	s_waitcnt lgkmcnt(0)
	v_add_u32_e32 v2, v12, v2
.LBB2716_45:
	s_or_b64 exec, exec, s[30:31]
	v_add_u32_e32 v3, -1, v66
	v_and_b32_e32 v4, 64, v66
	v_cmp_lt_i32_e64 s[18:19], v3, v4
	s_nop 1
	v_cndmask_b32_e64 v3, v3, v66, s[18:19]
	v_lshlrev_b32_e32 v3, 2, v3
	ds_bpermute_b32 v13, v3, v2
	v_cmp_eq_u32_e64 s[18:19], 0, v66
	s_and_saveexec_b64 s[30:31], vcc
	s_cbranch_execz .LBB2716_64
; %bb.46:
	v_mov_b32_e32 v9, 0
	ds_read_b32 v2, v9 offset:28
	s_and_saveexec_b64 s[34:35], s[18:19]
	s_cbranch_execz .LBB2716_48
; %bb.47:
	s_add_i32 s36, s2, 64
	s_mov_b32 s37, 0
	s_lshl_b64 s[36:37], s[36:37], 3
	s_add_u32 s36, s28, s36
	v_mov_b32_e32 v3, 1
	s_addc_u32 s37, s29, s37
	s_waitcnt lgkmcnt(0)
	global_store_dwordx2 v9, v[2:3], s[36:37] sc1
.LBB2716_48:
	s_or_b64 exec, exec, s[34:35]
	v_xad_u32 v4, v66, -1, s2
	v_add_u32_e32 v8, 64, v4
	v_lshl_add_u64 v[10:11], v[8:9], 3, s[28:29]
	global_load_dwordx2 v[6:7], v[10:11], off sc1
	s_waitcnt vmcnt(0)
	v_cmp_eq_u16_sdwa s[36:37], v7, v9 src0_sel:BYTE_0 src1_sel:DWORD
	s_and_saveexec_b64 s[34:35], s[36:37]
	s_cbranch_execz .LBB2716_52
; %bb.49:
	s_mov_b64 s[36:37], 0
	v_mov_b32_e32 v3, 0
.LBB2716_50:                            ; =>This Inner Loop Header: Depth=1
	global_load_dwordx2 v[6:7], v[10:11], off sc1
	s_waitcnt vmcnt(0)
	v_cmp_ne_u16_sdwa s[38:39], v7, v3 src0_sel:BYTE_0 src1_sel:DWORD
	s_or_b64 s[36:37], s[38:39], s[36:37]
	s_andn2_b64 exec, exec, s[36:37]
	s_cbranch_execnz .LBB2716_50
; %bb.51:
	s_or_b64 exec, exec, s[36:37]
.LBB2716_52:
	s_or_b64 exec, exec, s[34:35]
	v_and_b32_e32 v15, 63, v66
	v_mov_b32_e32 v14, 2
	v_cmp_ne_u32_e32 vcc, 63, v15
	v_cmp_eq_u16_sdwa s[34:35], v7, v14 src0_sel:BYTE_0 src1_sel:DWORD
	v_lshlrev_b64 v[8:9], v66, -1
	v_addc_co_u32_e32 v10, vcc, 0, v66, vcc
	v_and_b32_e32 v3, s35, v9
	v_lshlrev_b32_e32 v16, 2, v10
	v_or_b32_e32 v3, 0x80000000, v3
	ds_bpermute_b32 v10, v16, v6
	v_and_b32_e32 v5, s34, v8
	v_ffbl_b32_e32 v3, v3
	v_add_u32_e32 v3, 32, v3
	v_ffbl_b32_e32 v5, v5
	v_min_u32_e32 v3, v5, v3
	v_cmp_lt_u32_e32 vcc, v15, v3
	v_add_u32_e32 v34, 2, v15
	v_add_u32_e32 v36, 4, v15
	s_waitcnt lgkmcnt(0)
	v_cndmask_b32_e32 v5, 0, v10, vcc
	v_cmp_gt_u32_e32 vcc, 62, v15
	v_add_u32_e32 v5, v5, v6
	v_add_u32_e32 v70, 8, v15
	v_cndmask_b32_e64 v6, 0, 1, vcc
	v_lshlrev_b32_e32 v6, 1, v6
	v_add_lshl_u32 v17, v6, v66, 2
	ds_bpermute_b32 v6, v17, v5
	v_cmp_le_u32_e32 vcc, v34, v3
	v_add_u32_e32 v72, 16, v15
	v_add_u32_e32 v74, 32, v15
	s_waitcnt lgkmcnt(0)
	v_cndmask_b32_e32 v6, 0, v6, vcc
	v_cmp_gt_u32_e32 vcc, 60, v15
	v_add_u32_e32 v5, v5, v6
	s_nop 0
	v_cndmask_b32_e64 v6, 0, 1, vcc
	v_lshlrev_b32_e32 v6, 2, v6
	v_add_lshl_u32 v35, v6, v66, 2
	ds_bpermute_b32 v6, v35, v5
	v_cmp_le_u32_e32 vcc, v36, v3
	s_waitcnt lgkmcnt(0)
	s_nop 0
	v_cndmask_b32_e32 v6, 0, v6, vcc
	v_cmp_gt_u32_e32 vcc, 56, v15
	v_add_u32_e32 v5, v5, v6
	s_nop 0
	v_cndmask_b32_e64 v6, 0, 1, vcc
	v_lshlrev_b32_e32 v6, 3, v6
	v_add_lshl_u32 v69, v6, v66, 2
	ds_bpermute_b32 v6, v69, v5
	v_cmp_le_u32_e32 vcc, v70, v3
	s_waitcnt lgkmcnt(0)
	s_nop 0
	;; [unrolled: 11-line block ×4, first 2 shown]
	v_cndmask_b32_e32 v3, 0, v6, vcc
	v_add_u32_e32 v6, v5, v3
	v_mov_b32_e32 v5, 0
	s_branch .LBB2716_54
.LBB2716_53:                            ;   in Loop: Header=BB2716_54 Depth=1
	s_or_b64 exec, exec, s[34:35]
	v_cmp_eq_u16_sdwa s[34:35], v7, v14 src0_sel:BYTE_0 src1_sel:DWORD
	ds_bpermute_b32 v75, v16, v6
	v_subrev_u32_e32 v4, 64, v4
	v_and_b32_e32 v10, s35, v9
	v_or_b32_e32 v10, 0x80000000, v10
	v_and_b32_e32 v11, s34, v8
	v_ffbl_b32_e32 v10, v10
	v_add_u32_e32 v10, 32, v10
	v_ffbl_b32_e32 v11, v11
	v_min_u32_e32 v10, v11, v10
	v_cmp_lt_u32_e32 vcc, v15, v10
	s_waitcnt lgkmcnt(0)
	s_nop 0
	v_cndmask_b32_e32 v11, 0, v75, vcc
	v_add_u32_e32 v6, v11, v6
	ds_bpermute_b32 v11, v17, v6
	v_cmp_le_u32_e32 vcc, v34, v10
	s_waitcnt lgkmcnt(0)
	s_nop 0
	v_cndmask_b32_e32 v11, 0, v11, vcc
	v_add_u32_e32 v6, v6, v11
	ds_bpermute_b32 v11, v35, v6
	v_cmp_le_u32_e32 vcc, v36, v10
	;; [unrolled: 6-line block ×5, first 2 shown]
	s_waitcnt lgkmcnt(0)
	s_nop 0
	v_cndmask_b32_e32 v10, 0, v11, vcc
	v_add3_u32 v6, v10, v3, v6
.LBB2716_54:                            ; =>This Loop Header: Depth=1
                                        ;     Child Loop BB2716_57 Depth 2
	v_cmp_ne_u16_sdwa s[34:35], v7, v14 src0_sel:BYTE_0 src1_sel:DWORD
	s_nop 1
	v_cndmask_b32_e64 v3, 0, 1, s[34:35]
	;;#ASMSTART
	;;#ASMEND
	s_nop 0
	v_cmp_ne_u32_e32 vcc, 0, v3
	s_cmp_lg_u64 vcc, exec
	v_mov_b32_e32 v3, v6
	s_cbranch_scc1 .LBB2716_59
; %bb.55:                               ;   in Loop: Header=BB2716_54 Depth=1
	v_lshl_add_u64 v[10:11], v[4:5], 3, s[28:29]
	global_load_dwordx2 v[6:7], v[10:11], off sc1
	s_waitcnt vmcnt(0)
	v_cmp_eq_u16_sdwa s[36:37], v7, v5 src0_sel:BYTE_0 src1_sel:DWORD
	s_and_saveexec_b64 s[34:35], s[36:37]
	s_cbranch_execz .LBB2716_53
; %bb.56:                               ;   in Loop: Header=BB2716_54 Depth=1
	s_mov_b64 s[36:37], 0
.LBB2716_57:                            ;   Parent Loop BB2716_54 Depth=1
                                        ; =>  This Inner Loop Header: Depth=2
	global_load_dwordx2 v[6:7], v[10:11], off sc1
	s_waitcnt vmcnt(0)
	v_cmp_ne_u16_sdwa s[38:39], v7, v5 src0_sel:BYTE_0 src1_sel:DWORD
	s_or_b64 s[36:37], s[38:39], s[36:37]
	s_andn2_b64 exec, exec, s[36:37]
	s_cbranch_execnz .LBB2716_57
; %bb.58:                               ;   in Loop: Header=BB2716_54 Depth=1
	s_or_b64 exec, exec, s[36:37]
	s_branch .LBB2716_53
.LBB2716_59:                            ;   in Loop: Header=BB2716_54 Depth=1
                                        ; implicit-def: $vgpr6
                                        ; implicit-def: $vgpr7
	s_cbranch_execz .LBB2716_54
; %bb.60:
	s_and_saveexec_b64 s[34:35], s[18:19]
	s_cbranch_execz .LBB2716_62
; %bb.61:
	s_add_i32 s2, s2, 64
	s_mov_b32 s3, 0
	s_lshl_b64 s[2:3], s[2:3], 3
	s_add_u32 s2, s28, s2
	v_add_u32_e32 v4, v3, v2
	v_mov_b32_e32 v5, 2
	s_addc_u32 s3, s29, s3
	v_mov_b32_e32 v6, 0
	global_store_dwordx2 v6, v[4:5], s[2:3] sc1
	ds_write_b64 v6, v[2:3] offset:30720
.LBB2716_62:
	s_or_b64 exec, exec, s[34:35]
	v_cmp_eq_u32_e32 vcc, 0, v0
	s_and_b64 exec, exec, vcc
	s_cbranch_execz .LBB2716_64
; %bb.63:
	v_mov_b32_e32 v2, 0
	ds_write_b32 v2, v3 offset:28
.LBB2716_64:
	s_or_b64 exec, exec, s[30:31]
	v_mov_b32_e32 v14, 0
	s_waitcnt lgkmcnt(0)
	s_barrier
	ds_read_b32 v2, v14 offset:28
	v_cndmask_b32_e64 v3, v13, v12, s[18:19]
	v_cmp_ne_u32_e32 vcc, 0, v0
	s_waitcnt lgkmcnt(0)
	s_barrier
	v_cndmask_b32_e32 v3, 0, v3, vcc
	v_add_u32_e32 v2, v2, v3
	v_add_u32_e32 v3, v2, v52
	;; [unrolled: 1-line block ×10, first 2 shown]
	ds_read_b64 v[34:35], v14 offset:30720
	v_add_u32_e32 v12, v11, v61
	v_add_u32_e32 v13, v12, v62
	v_add_u32_e32 v14, v13, v63
	v_add_u32_e32 v15, v14, v64
	v_add_u32_e32 v16, v15, v65
	s_waitcnt lgkmcnt(0)
	v_mov_b32_e32 v36, v35
	s_load_dwordx2 s[2:3], s[0:1], 0x28
	s_branch .LBB2716_75
.LBB2716_65:
                                        ; implicit-def: $vgpr36
                                        ; implicit-def: $vgpr34
                                        ; implicit-def: $vgpr2_vgpr3_vgpr4_vgpr5_vgpr6_vgpr7_vgpr8_vgpr9_vgpr10_vgpr11_vgpr12_vgpr13_vgpr14_vgpr15_vgpr16_vgpr17
	s_load_dwordx2 s[2:3], s[0:1], 0x28
	s_cbranch_execz .LBB2716_75
; %bb.66:
	v_mov_b32_dpp v2, v68 row_shr:1 row_mask:0xf bank_mask:0xf
	v_cndmask_b32_e64 v2, v2, 0, s[16:17]
	v_add_u32_e32 v2, v2, v68
	s_nop 1
	v_mov_b32_dpp v3, v2 row_shr:2 row_mask:0xf bank_mask:0xf
	v_cndmask_b32_e64 v3, 0, v3, s[14:15]
	v_add_u32_e32 v2, v2, v3
	s_nop 1
	;; [unrolled: 4-line block ×4, first 2 shown]
	v_mov_b32_dpp v3, v2 row_bcast:15 row_mask:0xf bank_mask:0xf
	v_cndmask_b32_e64 v3, v3, 0, s[8:9]
	v_add_u32_e32 v2, v2, v3
	s_nop 1
	v_mov_b32_dpp v3, v2 row_bcast:31 row_mask:0xf bank_mask:0xf
	v_cndmask_b32_e64 v3, 0, v3, s[4:5]
	v_add_u32_e32 v2, v2, v3
	s_and_saveexec_b64 s[0:1], s[6:7]
	s_cbranch_execz .LBB2716_68
; %bb.67:
	v_lshlrev_b32_e32 v3, 2, v67
	ds_write_b32 v3, v2
.LBB2716_68:
	s_or_b64 exec, exec, s[0:1]
	v_cmp_gt_u32_e32 vcc, 8, v0
	s_waitcnt lgkmcnt(0)
	s_barrier
	s_and_saveexec_b64 s[0:1], vcc
	s_cbranch_execz .LBB2716_70
; %bb.69:
	ds_read_b32 v3, v18
	v_and_b32_e32 v4, 7, v66
	v_cmp_ne_u32_e32 vcc, 0, v4
	s_waitcnt lgkmcnt(0)
	v_mov_b32_dpp v5, v3 row_shr:1 row_mask:0xf bank_mask:0xf
	v_cndmask_b32_e32 v5, 0, v5, vcc
	v_add_u32_e32 v3, v5, v3
	v_cmp_lt_u32_e32 vcc, 1, v4
	s_nop 0
	v_mov_b32_dpp v5, v3 row_shr:2 row_mask:0xf bank_mask:0xf
	v_cndmask_b32_e32 v5, 0, v5, vcc
	v_add_u32_e32 v3, v3, v5
	v_cmp_lt_u32_e32 vcc, 3, v4
	s_nop 0
	v_mov_b32_dpp v5, v3 row_shr:4 row_mask:0xf bank_mask:0xf
	v_cndmask_b32_e32 v4, 0, v5, vcc
	v_add_u32_e32 v3, v3, v4
	ds_write_b32 v18, v3
.LBB2716_70:
	s_or_b64 exec, exec, s[0:1]
	v_cmp_lt_u32_e32 vcc, 63, v0
	v_mov_b32_e32 v4, 0
	v_mov_b32_e32 v3, 0
	s_waitcnt lgkmcnt(0)
	s_barrier
	s_and_saveexec_b64 s[0:1], vcc
	s_cbranch_execz .LBB2716_72
; %bb.71:
	v_lshl_add_u32 v3, v67, 2, -4
	ds_read_b32 v3, v3
.LBB2716_72:
	s_or_b64 exec, exec, s[0:1]
	v_add_u32_e32 v5, -1, v66
	v_and_b32_e32 v6, 64, v66
	v_cmp_lt_i32_e32 vcc, v5, v6
	s_waitcnt lgkmcnt(0)
	v_add_u32_e32 v2, v3, v2
	ds_read_b32 v34, v4 offset:28
	v_cndmask_b32_e32 v5, v5, v66, vcc
	v_lshlrev_b32_e32 v5, 2, v5
	ds_bpermute_b32 v2, v5, v2
	v_cmp_eq_u32_e32 vcc, 0, v0
	s_and_saveexec_b64 s[0:1], vcc
	s_cbranch_execz .LBB2716_74
; %bb.73:
	v_mov_b32_e32 v4, 0
	v_mov_b32_e32 v35, 2
	s_waitcnt lgkmcnt(1)
	global_store_dwordx2 v4, v[34:35], s[28:29] offset:512 sc1
.LBB2716_74:
	s_or_b64 exec, exec, s[0:1]
	v_cmp_eq_u32_e64 s[0:1], 0, v66
	v_mov_b32_e32 v36, 0
	s_waitcnt lgkmcnt(0)
	v_cndmask_b32_e64 v2, v2, v3, s[0:1]
	v_cndmask_b32_e64 v2, v2, 0, vcc
	v_add_u32_e32 v3, v2, v52
	v_add_u32_e32 v4, v3, v53
	;; [unrolled: 1-line block ×14, first 2 shown]
	s_barrier
.LBB2716_75:
	v_add_u32_e32 v17, v34, v38
	v_sub_u32_e32 v2, v2, v36
	v_and_b32_e32 v38, 1, v51
	v_sub_u32_e32 v35, v17, v2
	v_cmp_eq_u32_e32 vcc, 1, v38
	s_nop 1
	v_cndmask_b32_e32 v2, v35, v2, vcc
	v_lshlrev_b32_e32 v2, 2, v2
	ds_write_b32 v2, v32
	v_sub_u32_e32 v2, v3, v36
	v_sub_u32_e32 v3, v17, v2
	v_and_b32_e32 v32, 1, v50
	v_add_u32_e32 v3, 1, v3
	v_cmp_eq_u32_e32 vcc, 1, v32
	v_or_b32_e32 v32, 0x200, v0
	s_nop 0
	v_cndmask_b32_e32 v2, v3, v2, vcc
	v_lshlrev_b32_e32 v2, 2, v2
	ds_write_b32 v2, v33
	v_sub_u32_e32 v2, v4, v36
	v_sub_u32_e32 v3, v17, v2
	v_and_b32_e32 v4, 1, v49
	v_add_u32_e32 v3, 2, v3
	v_cmp_eq_u32_e32 vcc, 1, v4
	v_and_b32_e32 v4, 1, v48
	s_nop 0
	v_cndmask_b32_e32 v2, v3, v2, vcc
	v_lshlrev_b32_e32 v2, 2, v2
	ds_write_b32 v2, v30
	v_sub_u32_e32 v2, v5, v36
	v_sub_u32_e32 v3, v17, v2
	v_add_u32_e32 v3, 3, v3
	v_cmp_eq_u32_e32 vcc, 1, v4
	v_and_b32_e32 v4, 1, v47
	v_or_b32_e32 v30, 0x600, v0
	v_cndmask_b32_e32 v2, v3, v2, vcc
	v_lshlrev_b32_e32 v2, 2, v2
	ds_write_b32 v2, v31
	v_sub_u32_e32 v2, v6, v36
	v_sub_u32_e32 v3, v17, v2
	v_add_u32_e32 v3, 4, v3
	v_cmp_eq_u32_e32 vcc, 1, v4
	v_and_b32_e32 v4, 1, v46
	v_or_b32_e32 v31, 0x400, v0
	;; [unrolled: 9-line block ×11, first 2 shown]
	v_cndmask_b32_e32 v2, v3, v2, vcc
	v_lshlrev_b32_e32 v2, 2, v2
	ds_write_b32 v2, v21
	v_sub_u32_e32 v2, v16, v36
	v_sub_u32_e32 v3, v17, v2
	v_add_u32_e32 v3, 14, v3
	v_cmp_eq_u32_e32 vcc, 1, v4
	v_or_b32_e32 v21, 0x1800, v0
	v_or_b32_e32 v19, 0x1c00, v0
	v_cndmask_b32_e32 v2, v3, v2, vcc
	v_lshlrev_b32_e32 v2, 2, v2
	ds_write_b32 v2, v1
	s_waitcnt lgkmcnt(0)
	s_barrier
	ds_read2st64_b32 v[16:17], v18 offset1:8
	ds_read2st64_b32 v[14:15], v18 offset0:16 offset1:24
	ds_read2st64_b32 v[12:13], v18 offset0:32 offset1:40
	;; [unrolled: 1-line block ×6, first 2 shown]
	ds_read_b32 v1, v18 offset:28672
	s_and_b64 vcc, exec, s[20:21]
	s_cbranch_vccnz .LBB2716_92
; %bb.76:
	s_lshl_b64 s[0:1], s[22:23], 2
	v_mov_b32_e32 v37, 0
	s_add_u32 s0, s2, s0
	s_addc_u32 s1, s3, s1
	v_lshlrev_b64 v[4:5], 2, v[36:37]
	v_lshl_add_u64 v[4:5], s[0:1], 0, v[4:5]
	v_cmp_gt_u32_e32 vcc, v34, v0
	s_and_saveexec_b64 s[0:1], vcc
	s_cbranch_execnz .LBB2716_114
; %bb.77:
	s_or_b64 exec, exec, s[0:1]
	v_cmp_lt_u32_e32 vcc, v32, v34
	s_and_saveexec_b64 s[0:1], vcc
	s_cbranch_execnz .LBB2716_115
.LBB2716_78:
	s_or_b64 exec, exec, s[0:1]
	v_cmp_lt_u32_e32 vcc, v31, v34
	s_and_saveexec_b64 s[0:1], vcc
	s_cbranch_execnz .LBB2716_116
.LBB2716_79:
	s_or_b64 exec, exec, s[0:1]
	v_cmp_lt_u32_e32 vcc, v30, v34
	s_and_saveexec_b64 s[0:1], vcc
	s_cbranch_execnz .LBB2716_117
.LBB2716_80:
	s_or_b64 exec, exec, s[0:1]
	v_cmp_lt_u32_e32 vcc, v29, v34
	s_and_saveexec_b64 s[0:1], vcc
	s_cbranch_execnz .LBB2716_118
.LBB2716_81:
	s_or_b64 exec, exec, s[0:1]
	v_cmp_lt_u32_e32 vcc, v28, v34
	s_and_saveexec_b64 s[0:1], vcc
	s_cbranch_execnz .LBB2716_119
.LBB2716_82:
	s_or_b64 exec, exec, s[0:1]
	v_cmp_lt_u32_e32 vcc, v27, v34
	s_and_saveexec_b64 s[0:1], vcc
	s_cbranch_execnz .LBB2716_120
.LBB2716_83:
	s_or_b64 exec, exec, s[0:1]
	v_cmp_lt_u32_e32 vcc, v26, v34
	s_and_saveexec_b64 s[0:1], vcc
	s_cbranch_execnz .LBB2716_121
.LBB2716_84:
	s_or_b64 exec, exec, s[0:1]
	v_cmp_lt_u32_e32 vcc, v25, v34
	s_and_saveexec_b64 s[0:1], vcc
	s_cbranch_execnz .LBB2716_122
.LBB2716_85:
	s_or_b64 exec, exec, s[0:1]
	v_cmp_lt_u32_e32 vcc, v24, v34
	s_and_saveexec_b64 s[0:1], vcc
	s_cbranch_execnz .LBB2716_123
.LBB2716_86:
	s_or_b64 exec, exec, s[0:1]
	v_cmp_lt_u32_e32 vcc, v23, v34
	s_and_saveexec_b64 s[0:1], vcc
	s_cbranch_execnz .LBB2716_124
.LBB2716_87:
	s_or_b64 exec, exec, s[0:1]
	v_cmp_lt_u32_e32 vcc, v22, v34
	s_and_saveexec_b64 s[0:1], vcc
	s_cbranch_execnz .LBB2716_125
.LBB2716_88:
	s_or_b64 exec, exec, s[0:1]
	v_cmp_lt_u32_e32 vcc, v21, v34
	s_and_saveexec_b64 s[0:1], vcc
	s_cbranch_execnz .LBB2716_126
.LBB2716_89:
	s_or_b64 exec, exec, s[0:1]
	v_cmp_lt_u32_e32 vcc, v20, v34
	s_and_saveexec_b64 s[0:1], vcc
	s_cbranch_execz .LBB2716_91
.LBB2716_90:
	v_lshlrev_b32_e32 v33, 2, v20
	v_readfirstlane_b32 s4, v4
	v_readfirstlane_b32 s5, v5
	s_waitcnt lgkmcnt(1)
	s_nop 3
	global_store_dword v33, v3, s[4:5]
.LBB2716_91:
	s_or_b64 exec, exec, s[0:1]
	v_cmp_lt_u32_e64 s[0:1], v19, v34
	s_branch .LBB2716_109
.LBB2716_92:
	s_mov_b64 s[0:1], 0
                                        ; implicit-def: $vgpr4_vgpr5
	s_cbranch_execz .LBB2716_109
; %bb.93:
	s_lshl_b64 s[0:1], s[22:23], 2
	v_mov_b32_e32 v37, 0
	s_add_u32 s0, s2, s0
	v_min_u32_e32 v33, s33, v34
	s_addc_u32 s1, s3, s1
	v_lshlrev_b64 v[4:5], 2, v[36:37]
	v_lshl_add_u64 v[4:5], s[0:1], 0, v[4:5]
	v_cmp_gt_u32_e32 vcc, v33, v0
	s_and_saveexec_b64 s[0:1], vcc
	s_cbranch_execnz .LBB2716_127
; %bb.94:
	s_or_b64 exec, exec, s[0:1]
	v_cmp_lt_u32_e32 vcc, v32, v33
	s_and_saveexec_b64 s[0:1], vcc
	s_cbranch_execnz .LBB2716_128
.LBB2716_95:
	s_or_b64 exec, exec, s[0:1]
	v_cmp_lt_u32_e32 vcc, v31, v33
	s_and_saveexec_b64 s[0:1], vcc
	s_cbranch_execnz .LBB2716_129
.LBB2716_96:
	s_or_b64 exec, exec, s[0:1]
	v_cmp_lt_u32_e32 vcc, v30, v33
	s_and_saveexec_b64 s[0:1], vcc
	s_cbranch_execnz .LBB2716_130
.LBB2716_97:
	s_or_b64 exec, exec, s[0:1]
	v_cmp_lt_u32_e32 vcc, v29, v33
	s_and_saveexec_b64 s[0:1], vcc
	s_cbranch_execnz .LBB2716_131
.LBB2716_98:
	s_or_b64 exec, exec, s[0:1]
	v_cmp_lt_u32_e32 vcc, v28, v33
	s_and_saveexec_b64 s[0:1], vcc
	s_cbranch_execnz .LBB2716_132
.LBB2716_99:
	s_or_b64 exec, exec, s[0:1]
	v_cmp_lt_u32_e32 vcc, v27, v33
	s_and_saveexec_b64 s[0:1], vcc
	s_cbranch_execnz .LBB2716_133
.LBB2716_100:
	s_or_b64 exec, exec, s[0:1]
	v_cmp_lt_u32_e32 vcc, v26, v33
	s_and_saveexec_b64 s[0:1], vcc
	s_cbranch_execnz .LBB2716_134
.LBB2716_101:
	s_or_b64 exec, exec, s[0:1]
	v_cmp_lt_u32_e32 vcc, v25, v33
	s_and_saveexec_b64 s[0:1], vcc
	s_cbranch_execnz .LBB2716_135
.LBB2716_102:
	s_or_b64 exec, exec, s[0:1]
	v_cmp_lt_u32_e32 vcc, v24, v33
	s_and_saveexec_b64 s[0:1], vcc
	s_cbranch_execnz .LBB2716_136
.LBB2716_103:
	s_or_b64 exec, exec, s[0:1]
	v_cmp_lt_u32_e32 vcc, v23, v33
	s_and_saveexec_b64 s[0:1], vcc
	s_cbranch_execnz .LBB2716_137
.LBB2716_104:
	s_or_b64 exec, exec, s[0:1]
	v_cmp_lt_u32_e32 vcc, v22, v33
	s_and_saveexec_b64 s[0:1], vcc
	s_cbranch_execnz .LBB2716_138
.LBB2716_105:
	s_or_b64 exec, exec, s[0:1]
	v_cmp_lt_u32_e32 vcc, v21, v33
	s_and_saveexec_b64 s[0:1], vcc
	s_cbranch_execnz .LBB2716_139
.LBB2716_106:
	s_or_b64 exec, exec, s[0:1]
	v_cmp_lt_u32_e32 vcc, v20, v33
	s_and_saveexec_b64 s[0:1], vcc
	s_cbranch_execz .LBB2716_108
.LBB2716_107:
	s_waitcnt lgkmcnt(1)
	v_lshlrev_b32_e32 v2, 2, v20
	v_readfirstlane_b32 s2, v4
	v_readfirstlane_b32 s3, v5
	s_nop 4
	global_store_dword v2, v3, s[2:3]
.LBB2716_108:
	s_or_b64 exec, exec, s[0:1]
	v_cmp_lt_u32_e64 s[0:1], v19, v33
.LBB2716_109:
	s_and_saveexec_b64 s[2:3], s[0:1]
	s_cbranch_execz .LBB2716_111
; %bb.110:
	s_waitcnt lgkmcnt(1)
	v_lshlrev_b32_e32 v2, 2, v19
	v_readfirstlane_b32 s0, v4
	v_readfirstlane_b32 s1, v5
	s_waitcnt lgkmcnt(0)
	s_nop 3
	global_store_dword v2, v1, s[0:1]
.LBB2716_111:
	s_or_b64 exec, exec, s[2:3]
	v_cmp_eq_u32_e32 vcc, 0, v0
	s_and_b64 s[0:1], vcc, s[26:27]
	s_and_saveexec_b64 s[2:3], s[0:1]
	s_cbranch_execz .LBB2716_113
; %bb.112:
	v_mov_b32_e32 v35, 0
	s_waitcnt lgkmcnt(0)
	v_lshl_add_u64 v[0:1], s[22:23], 0, v[34:35]
	v_mov_b32_e32 v37, v35
	v_lshl_add_u64 v[0:1], v[0:1], 0, v[36:37]
	global_store_dwordx2 v35, v[0:1], s[24:25]
.LBB2716_113:
	s_endpgm
.LBB2716_114:
	v_readfirstlane_b32 s4, v4
	v_readfirstlane_b32 s5, v5
	s_waitcnt lgkmcnt(7)
	s_nop 3
	global_store_dword v18, v16, s[4:5]
	s_or_b64 exec, exec, s[0:1]
	v_cmp_lt_u32_e32 vcc, v32, v34
	s_and_saveexec_b64 s[0:1], vcc
	s_cbranch_execz .LBB2716_78
.LBB2716_115:
	v_readfirstlane_b32 s4, v4
	v_readfirstlane_b32 s5, v5
	s_waitcnt lgkmcnt(7)
	s_nop 3
	global_store_dword v18, v17, s[4:5] offset:2048
	s_or_b64 exec, exec, s[0:1]
	v_cmp_lt_u32_e32 vcc, v31, v34
	s_and_saveexec_b64 s[0:1], vcc
	s_cbranch_execz .LBB2716_79
.LBB2716_116:
	v_lshlrev_b32_e32 v33, 2, v31
	v_readfirstlane_b32 s4, v4
	v_readfirstlane_b32 s5, v5
	s_waitcnt lgkmcnt(6)
	s_nop 3
	global_store_dword v33, v14, s[4:5]
	s_or_b64 exec, exec, s[0:1]
	v_cmp_lt_u32_e32 vcc, v30, v34
	s_and_saveexec_b64 s[0:1], vcc
	s_cbranch_execz .LBB2716_80
.LBB2716_117:
	v_lshlrev_b32_e32 v33, 2, v30
	v_readfirstlane_b32 s4, v4
	v_readfirstlane_b32 s5, v5
	s_waitcnt lgkmcnt(6)
	s_nop 3
	global_store_dword v33, v15, s[4:5]
	s_or_b64 exec, exec, s[0:1]
	v_cmp_lt_u32_e32 vcc, v29, v34
	s_and_saveexec_b64 s[0:1], vcc
	s_cbranch_execz .LBB2716_81
.LBB2716_118:
	v_lshlrev_b32_e32 v33, 2, v29
	v_readfirstlane_b32 s4, v4
	v_readfirstlane_b32 s5, v5
	s_waitcnt lgkmcnt(5)
	s_nop 3
	global_store_dword v33, v12, s[4:5]
	s_or_b64 exec, exec, s[0:1]
	v_cmp_lt_u32_e32 vcc, v28, v34
	s_and_saveexec_b64 s[0:1], vcc
	s_cbranch_execz .LBB2716_82
.LBB2716_119:
	v_lshlrev_b32_e32 v33, 2, v28
	v_readfirstlane_b32 s4, v4
	v_readfirstlane_b32 s5, v5
	s_waitcnt lgkmcnt(5)
	s_nop 3
	global_store_dword v33, v13, s[4:5]
	s_or_b64 exec, exec, s[0:1]
	v_cmp_lt_u32_e32 vcc, v27, v34
	s_and_saveexec_b64 s[0:1], vcc
	s_cbranch_execz .LBB2716_83
.LBB2716_120:
	v_lshlrev_b32_e32 v33, 2, v27
	v_readfirstlane_b32 s4, v4
	v_readfirstlane_b32 s5, v5
	s_waitcnt lgkmcnt(4)
	s_nop 3
	global_store_dword v33, v10, s[4:5]
	s_or_b64 exec, exec, s[0:1]
	v_cmp_lt_u32_e32 vcc, v26, v34
	s_and_saveexec_b64 s[0:1], vcc
	s_cbranch_execz .LBB2716_84
.LBB2716_121:
	v_lshlrev_b32_e32 v33, 2, v26
	v_readfirstlane_b32 s4, v4
	v_readfirstlane_b32 s5, v5
	s_waitcnt lgkmcnt(4)
	s_nop 3
	global_store_dword v33, v11, s[4:5]
	s_or_b64 exec, exec, s[0:1]
	v_cmp_lt_u32_e32 vcc, v25, v34
	s_and_saveexec_b64 s[0:1], vcc
	s_cbranch_execz .LBB2716_85
.LBB2716_122:
	v_lshlrev_b32_e32 v33, 2, v25
	v_readfirstlane_b32 s4, v4
	v_readfirstlane_b32 s5, v5
	s_waitcnt lgkmcnt(3)
	s_nop 3
	global_store_dword v33, v8, s[4:5]
	s_or_b64 exec, exec, s[0:1]
	v_cmp_lt_u32_e32 vcc, v24, v34
	s_and_saveexec_b64 s[0:1], vcc
	s_cbranch_execz .LBB2716_86
.LBB2716_123:
	v_lshlrev_b32_e32 v33, 2, v24
	v_readfirstlane_b32 s4, v4
	v_readfirstlane_b32 s5, v5
	s_waitcnt lgkmcnt(3)
	s_nop 3
	global_store_dword v33, v9, s[4:5]
	s_or_b64 exec, exec, s[0:1]
	v_cmp_lt_u32_e32 vcc, v23, v34
	s_and_saveexec_b64 s[0:1], vcc
	s_cbranch_execz .LBB2716_87
.LBB2716_124:
	v_lshlrev_b32_e32 v33, 2, v23
	v_readfirstlane_b32 s4, v4
	v_readfirstlane_b32 s5, v5
	s_waitcnt lgkmcnt(2)
	s_nop 3
	global_store_dword v33, v6, s[4:5]
	s_or_b64 exec, exec, s[0:1]
	v_cmp_lt_u32_e32 vcc, v22, v34
	s_and_saveexec_b64 s[0:1], vcc
	s_cbranch_execz .LBB2716_88
.LBB2716_125:
	v_lshlrev_b32_e32 v33, 2, v22
	v_readfirstlane_b32 s4, v4
	v_readfirstlane_b32 s5, v5
	s_waitcnt lgkmcnt(2)
	s_nop 3
	global_store_dword v33, v7, s[4:5]
	s_or_b64 exec, exec, s[0:1]
	v_cmp_lt_u32_e32 vcc, v21, v34
	s_and_saveexec_b64 s[0:1], vcc
	s_cbranch_execz .LBB2716_89
.LBB2716_126:
	v_lshlrev_b32_e32 v33, 2, v21
	v_readfirstlane_b32 s4, v4
	v_readfirstlane_b32 s5, v5
	s_waitcnt lgkmcnt(1)
	s_nop 3
	global_store_dword v33, v2, s[4:5]
	s_or_b64 exec, exec, s[0:1]
	v_cmp_lt_u32_e32 vcc, v20, v34
	s_and_saveexec_b64 s[0:1], vcc
	s_cbranch_execnz .LBB2716_90
	s_branch .LBB2716_91
.LBB2716_127:
	v_readfirstlane_b32 s2, v4
	v_readfirstlane_b32 s3, v5
	s_waitcnt lgkmcnt(7)
	s_nop 3
	global_store_dword v18, v16, s[2:3]
	s_or_b64 exec, exec, s[0:1]
	v_cmp_lt_u32_e32 vcc, v32, v33
	s_and_saveexec_b64 s[0:1], vcc
	s_cbranch_execz .LBB2716_95
.LBB2716_128:
	v_readfirstlane_b32 s2, v4
	v_readfirstlane_b32 s3, v5
	s_waitcnt lgkmcnt(7)
	s_nop 3
	global_store_dword v18, v17, s[2:3] offset:2048
	s_or_b64 exec, exec, s[0:1]
	v_cmp_lt_u32_e32 vcc, v31, v33
	s_and_saveexec_b64 s[0:1], vcc
	s_cbranch_execz .LBB2716_96
.LBB2716_129:
	s_waitcnt lgkmcnt(7)
	v_lshlrev_b32_e32 v16, 2, v31
	v_readfirstlane_b32 s2, v4
	v_readfirstlane_b32 s3, v5
	s_waitcnt lgkmcnt(6)
	s_nop 3
	global_store_dword v16, v14, s[2:3]
	s_or_b64 exec, exec, s[0:1]
	v_cmp_lt_u32_e32 vcc, v30, v33
	s_and_saveexec_b64 s[0:1], vcc
	s_cbranch_execz .LBB2716_97
.LBB2716_130:
	s_waitcnt lgkmcnt(6)
	v_lshlrev_b32_e32 v14, 2, v30
	v_readfirstlane_b32 s2, v4
	v_readfirstlane_b32 s3, v5
	s_nop 4
	global_store_dword v14, v15, s[2:3]
	s_or_b64 exec, exec, s[0:1]
	v_cmp_lt_u32_e32 vcc, v29, v33
	s_and_saveexec_b64 s[0:1], vcc
	s_cbranch_execz .LBB2716_98
.LBB2716_131:
	s_waitcnt lgkmcnt(6)
	v_lshlrev_b32_e32 v14, 2, v29
	v_readfirstlane_b32 s2, v4
	v_readfirstlane_b32 s3, v5
	s_waitcnt lgkmcnt(5)
	s_nop 3
	global_store_dword v14, v12, s[2:3]
	s_or_b64 exec, exec, s[0:1]
	v_cmp_lt_u32_e32 vcc, v28, v33
	s_and_saveexec_b64 s[0:1], vcc
	s_cbranch_execz .LBB2716_99
.LBB2716_132:
	s_waitcnt lgkmcnt(5)
	v_lshlrev_b32_e32 v12, 2, v28
	v_readfirstlane_b32 s2, v4
	v_readfirstlane_b32 s3, v5
	s_nop 4
	global_store_dword v12, v13, s[2:3]
	s_or_b64 exec, exec, s[0:1]
	v_cmp_lt_u32_e32 vcc, v27, v33
	s_and_saveexec_b64 s[0:1], vcc
	s_cbranch_execz .LBB2716_100
.LBB2716_133:
	s_waitcnt lgkmcnt(5)
	v_lshlrev_b32_e32 v12, 2, v27
	v_readfirstlane_b32 s2, v4
	v_readfirstlane_b32 s3, v5
	s_waitcnt lgkmcnt(4)
	s_nop 3
	global_store_dword v12, v10, s[2:3]
	s_or_b64 exec, exec, s[0:1]
	v_cmp_lt_u32_e32 vcc, v26, v33
	s_and_saveexec_b64 s[0:1], vcc
	s_cbranch_execz .LBB2716_101
.LBB2716_134:
	s_waitcnt lgkmcnt(4)
	v_lshlrev_b32_e32 v10, 2, v26
	v_readfirstlane_b32 s2, v4
	v_readfirstlane_b32 s3, v5
	s_nop 4
	global_store_dword v10, v11, s[2:3]
	s_or_b64 exec, exec, s[0:1]
	v_cmp_lt_u32_e32 vcc, v25, v33
	s_and_saveexec_b64 s[0:1], vcc
	s_cbranch_execz .LBB2716_102
.LBB2716_135:
	s_waitcnt lgkmcnt(4)
	v_lshlrev_b32_e32 v10, 2, v25
	v_readfirstlane_b32 s2, v4
	v_readfirstlane_b32 s3, v5
	s_waitcnt lgkmcnt(3)
	s_nop 3
	global_store_dword v10, v8, s[2:3]
	s_or_b64 exec, exec, s[0:1]
	v_cmp_lt_u32_e32 vcc, v24, v33
	s_and_saveexec_b64 s[0:1], vcc
	s_cbranch_execz .LBB2716_103
.LBB2716_136:
	s_waitcnt lgkmcnt(3)
	v_lshlrev_b32_e32 v8, 2, v24
	v_readfirstlane_b32 s2, v4
	v_readfirstlane_b32 s3, v5
	s_nop 4
	global_store_dword v8, v9, s[2:3]
	s_or_b64 exec, exec, s[0:1]
	v_cmp_lt_u32_e32 vcc, v23, v33
	s_and_saveexec_b64 s[0:1], vcc
	s_cbranch_execz .LBB2716_104
.LBB2716_137:
	s_waitcnt lgkmcnt(3)
	v_lshlrev_b32_e32 v8, 2, v23
	v_readfirstlane_b32 s2, v4
	v_readfirstlane_b32 s3, v5
	s_waitcnt lgkmcnt(2)
	s_nop 3
	global_store_dword v8, v6, s[2:3]
	s_or_b64 exec, exec, s[0:1]
	v_cmp_lt_u32_e32 vcc, v22, v33
	s_and_saveexec_b64 s[0:1], vcc
	s_cbranch_execz .LBB2716_105
.LBB2716_138:
	s_waitcnt lgkmcnt(2)
	v_lshlrev_b32_e32 v6, 2, v22
	v_readfirstlane_b32 s2, v4
	v_readfirstlane_b32 s3, v5
	s_nop 4
	global_store_dword v6, v7, s[2:3]
	s_or_b64 exec, exec, s[0:1]
	v_cmp_lt_u32_e32 vcc, v21, v33
	s_and_saveexec_b64 s[0:1], vcc
	s_cbranch_execz .LBB2716_106
.LBB2716_139:
	s_waitcnt lgkmcnt(2)
	v_lshlrev_b32_e32 v6, 2, v21
	v_readfirstlane_b32 s2, v4
	v_readfirstlane_b32 s3, v5
	s_waitcnt lgkmcnt(1)
	s_nop 3
	global_store_dword v6, v2, s[2:3]
	s_or_b64 exec, exec, s[0:1]
	v_cmp_lt_u32_e32 vcc, v20, v33
	s_and_saveexec_b64 s[0:1], vcc
	s_cbranch_execnz .LBB2716_107
	s_branch .LBB2716_108
	.section	.rodata,"a",@progbits
	.p2align	6, 0x0
	.amdhsa_kernel _ZN7rocprim17ROCPRIM_400000_NS6detail17trampoline_kernelINS0_14default_configENS1_25partition_config_selectorILNS1_17partition_subalgoE0EiNS0_10empty_typeEbEEZZNS1_14partition_implILS5_0ELb0ES3_jN6thrust23THRUST_200600_302600_NS6detail15normal_iteratorINSA_10device_ptrIiEEEEPS6_SG_NS0_5tupleIJSF_NSA_16discard_iteratorINSA_11use_defaultEEEEEENSH_IJSG_SG_EEES6_PlJ7is_evenIiEEEE10hipError_tPvRmT3_T4_T5_T6_T7_T9_mT8_P12ihipStream_tbDpT10_ENKUlT_T0_E_clISt17integral_constantIbLb0EES19_EEDaS14_S15_EUlS14_E_NS1_11comp_targetILNS1_3genE5ELNS1_11target_archE942ELNS1_3gpuE9ELNS1_3repE0EEENS1_30default_config_static_selectorELNS0_4arch9wavefront6targetE1EEEvT1_
		.amdhsa_group_segment_fixed_size 30728
		.amdhsa_private_segment_fixed_size 0
		.amdhsa_kernarg_size 128
		.amdhsa_user_sgpr_count 2
		.amdhsa_user_sgpr_dispatch_ptr 0
		.amdhsa_user_sgpr_queue_ptr 0
		.amdhsa_user_sgpr_kernarg_segment_ptr 1
		.amdhsa_user_sgpr_dispatch_id 0
		.amdhsa_user_sgpr_kernarg_preload_length 0
		.amdhsa_user_sgpr_kernarg_preload_offset 0
		.amdhsa_user_sgpr_private_segment_size 0
		.amdhsa_uses_dynamic_stack 0
		.amdhsa_enable_private_segment 0
		.amdhsa_system_sgpr_workgroup_id_x 1
		.amdhsa_system_sgpr_workgroup_id_y 0
		.amdhsa_system_sgpr_workgroup_id_z 0
		.amdhsa_system_sgpr_workgroup_info 0
		.amdhsa_system_vgpr_workitem_id 0
		.amdhsa_next_free_vgpr 76
		.amdhsa_next_free_sgpr 40
		.amdhsa_accum_offset 76
		.amdhsa_reserve_vcc 1
		.amdhsa_float_round_mode_32 0
		.amdhsa_float_round_mode_16_64 0
		.amdhsa_float_denorm_mode_32 3
		.amdhsa_float_denorm_mode_16_64 3
		.amdhsa_dx10_clamp 1
		.amdhsa_ieee_mode 1
		.amdhsa_fp16_overflow 0
		.amdhsa_tg_split 0
		.amdhsa_exception_fp_ieee_invalid_op 0
		.amdhsa_exception_fp_denorm_src 0
		.amdhsa_exception_fp_ieee_div_zero 0
		.amdhsa_exception_fp_ieee_overflow 0
		.amdhsa_exception_fp_ieee_underflow 0
		.amdhsa_exception_fp_ieee_inexact 0
		.amdhsa_exception_int_div_zero 0
	.end_amdhsa_kernel
	.section	.text._ZN7rocprim17ROCPRIM_400000_NS6detail17trampoline_kernelINS0_14default_configENS1_25partition_config_selectorILNS1_17partition_subalgoE0EiNS0_10empty_typeEbEEZZNS1_14partition_implILS5_0ELb0ES3_jN6thrust23THRUST_200600_302600_NS6detail15normal_iteratorINSA_10device_ptrIiEEEEPS6_SG_NS0_5tupleIJSF_NSA_16discard_iteratorINSA_11use_defaultEEEEEENSH_IJSG_SG_EEES6_PlJ7is_evenIiEEEE10hipError_tPvRmT3_T4_T5_T6_T7_T9_mT8_P12ihipStream_tbDpT10_ENKUlT_T0_E_clISt17integral_constantIbLb0EES19_EEDaS14_S15_EUlS14_E_NS1_11comp_targetILNS1_3genE5ELNS1_11target_archE942ELNS1_3gpuE9ELNS1_3repE0EEENS1_30default_config_static_selectorELNS0_4arch9wavefront6targetE1EEEvT1_,"axG",@progbits,_ZN7rocprim17ROCPRIM_400000_NS6detail17trampoline_kernelINS0_14default_configENS1_25partition_config_selectorILNS1_17partition_subalgoE0EiNS0_10empty_typeEbEEZZNS1_14partition_implILS5_0ELb0ES3_jN6thrust23THRUST_200600_302600_NS6detail15normal_iteratorINSA_10device_ptrIiEEEEPS6_SG_NS0_5tupleIJSF_NSA_16discard_iteratorINSA_11use_defaultEEEEEENSH_IJSG_SG_EEES6_PlJ7is_evenIiEEEE10hipError_tPvRmT3_T4_T5_T6_T7_T9_mT8_P12ihipStream_tbDpT10_ENKUlT_T0_E_clISt17integral_constantIbLb0EES19_EEDaS14_S15_EUlS14_E_NS1_11comp_targetILNS1_3genE5ELNS1_11target_archE942ELNS1_3gpuE9ELNS1_3repE0EEENS1_30default_config_static_selectorELNS0_4arch9wavefront6targetE1EEEvT1_,comdat
.Lfunc_end2716:
	.size	_ZN7rocprim17ROCPRIM_400000_NS6detail17trampoline_kernelINS0_14default_configENS1_25partition_config_selectorILNS1_17partition_subalgoE0EiNS0_10empty_typeEbEEZZNS1_14partition_implILS5_0ELb0ES3_jN6thrust23THRUST_200600_302600_NS6detail15normal_iteratorINSA_10device_ptrIiEEEEPS6_SG_NS0_5tupleIJSF_NSA_16discard_iteratorINSA_11use_defaultEEEEEENSH_IJSG_SG_EEES6_PlJ7is_evenIiEEEE10hipError_tPvRmT3_T4_T5_T6_T7_T9_mT8_P12ihipStream_tbDpT10_ENKUlT_T0_E_clISt17integral_constantIbLb0EES19_EEDaS14_S15_EUlS14_E_NS1_11comp_targetILNS1_3genE5ELNS1_11target_archE942ELNS1_3gpuE9ELNS1_3repE0EEENS1_30default_config_static_selectorELNS0_4arch9wavefront6targetE1EEEvT1_, .Lfunc_end2716-_ZN7rocprim17ROCPRIM_400000_NS6detail17trampoline_kernelINS0_14default_configENS1_25partition_config_selectorILNS1_17partition_subalgoE0EiNS0_10empty_typeEbEEZZNS1_14partition_implILS5_0ELb0ES3_jN6thrust23THRUST_200600_302600_NS6detail15normal_iteratorINSA_10device_ptrIiEEEEPS6_SG_NS0_5tupleIJSF_NSA_16discard_iteratorINSA_11use_defaultEEEEEENSH_IJSG_SG_EEES6_PlJ7is_evenIiEEEE10hipError_tPvRmT3_T4_T5_T6_T7_T9_mT8_P12ihipStream_tbDpT10_ENKUlT_T0_E_clISt17integral_constantIbLb0EES19_EEDaS14_S15_EUlS14_E_NS1_11comp_targetILNS1_3genE5ELNS1_11target_archE942ELNS1_3gpuE9ELNS1_3repE0EEENS1_30default_config_static_selectorELNS0_4arch9wavefront6targetE1EEEvT1_
                                        ; -- End function
	.section	.AMDGPU.csdata,"",@progbits
; Kernel info:
; codeLenInByte = 6752
; NumSgprs: 46
; NumVgprs: 76
; NumAgprs: 0
; TotalNumVgprs: 76
; ScratchSize: 0
; MemoryBound: 0
; FloatMode: 240
; IeeeMode: 1
; LDSByteSize: 30728 bytes/workgroup (compile time only)
; SGPRBlocks: 5
; VGPRBlocks: 9
; NumSGPRsForWavesPerEU: 46
; NumVGPRsForWavesPerEU: 76
; AccumOffset: 76
; Occupancy: 4
; WaveLimiterHint : 1
; COMPUTE_PGM_RSRC2:SCRATCH_EN: 0
; COMPUTE_PGM_RSRC2:USER_SGPR: 2
; COMPUTE_PGM_RSRC2:TRAP_HANDLER: 0
; COMPUTE_PGM_RSRC2:TGID_X_EN: 1
; COMPUTE_PGM_RSRC2:TGID_Y_EN: 0
; COMPUTE_PGM_RSRC2:TGID_Z_EN: 0
; COMPUTE_PGM_RSRC2:TIDIG_COMP_CNT: 0
; COMPUTE_PGM_RSRC3_GFX90A:ACCUM_OFFSET: 18
; COMPUTE_PGM_RSRC3_GFX90A:TG_SPLIT: 0
	.section	.text._ZN7rocprim17ROCPRIM_400000_NS6detail17trampoline_kernelINS0_14default_configENS1_25partition_config_selectorILNS1_17partition_subalgoE0EiNS0_10empty_typeEbEEZZNS1_14partition_implILS5_0ELb0ES3_jN6thrust23THRUST_200600_302600_NS6detail15normal_iteratorINSA_10device_ptrIiEEEEPS6_SG_NS0_5tupleIJSF_NSA_16discard_iteratorINSA_11use_defaultEEEEEENSH_IJSG_SG_EEES6_PlJ7is_evenIiEEEE10hipError_tPvRmT3_T4_T5_T6_T7_T9_mT8_P12ihipStream_tbDpT10_ENKUlT_T0_E_clISt17integral_constantIbLb0EES19_EEDaS14_S15_EUlS14_E_NS1_11comp_targetILNS1_3genE4ELNS1_11target_archE910ELNS1_3gpuE8ELNS1_3repE0EEENS1_30default_config_static_selectorELNS0_4arch9wavefront6targetE1EEEvT1_,"axG",@progbits,_ZN7rocprim17ROCPRIM_400000_NS6detail17trampoline_kernelINS0_14default_configENS1_25partition_config_selectorILNS1_17partition_subalgoE0EiNS0_10empty_typeEbEEZZNS1_14partition_implILS5_0ELb0ES3_jN6thrust23THRUST_200600_302600_NS6detail15normal_iteratorINSA_10device_ptrIiEEEEPS6_SG_NS0_5tupleIJSF_NSA_16discard_iteratorINSA_11use_defaultEEEEEENSH_IJSG_SG_EEES6_PlJ7is_evenIiEEEE10hipError_tPvRmT3_T4_T5_T6_T7_T9_mT8_P12ihipStream_tbDpT10_ENKUlT_T0_E_clISt17integral_constantIbLb0EES19_EEDaS14_S15_EUlS14_E_NS1_11comp_targetILNS1_3genE4ELNS1_11target_archE910ELNS1_3gpuE8ELNS1_3repE0EEENS1_30default_config_static_selectorELNS0_4arch9wavefront6targetE1EEEvT1_,comdat
	.protected	_ZN7rocprim17ROCPRIM_400000_NS6detail17trampoline_kernelINS0_14default_configENS1_25partition_config_selectorILNS1_17partition_subalgoE0EiNS0_10empty_typeEbEEZZNS1_14partition_implILS5_0ELb0ES3_jN6thrust23THRUST_200600_302600_NS6detail15normal_iteratorINSA_10device_ptrIiEEEEPS6_SG_NS0_5tupleIJSF_NSA_16discard_iteratorINSA_11use_defaultEEEEEENSH_IJSG_SG_EEES6_PlJ7is_evenIiEEEE10hipError_tPvRmT3_T4_T5_T6_T7_T9_mT8_P12ihipStream_tbDpT10_ENKUlT_T0_E_clISt17integral_constantIbLb0EES19_EEDaS14_S15_EUlS14_E_NS1_11comp_targetILNS1_3genE4ELNS1_11target_archE910ELNS1_3gpuE8ELNS1_3repE0EEENS1_30default_config_static_selectorELNS0_4arch9wavefront6targetE1EEEvT1_ ; -- Begin function _ZN7rocprim17ROCPRIM_400000_NS6detail17trampoline_kernelINS0_14default_configENS1_25partition_config_selectorILNS1_17partition_subalgoE0EiNS0_10empty_typeEbEEZZNS1_14partition_implILS5_0ELb0ES3_jN6thrust23THRUST_200600_302600_NS6detail15normal_iteratorINSA_10device_ptrIiEEEEPS6_SG_NS0_5tupleIJSF_NSA_16discard_iteratorINSA_11use_defaultEEEEEENSH_IJSG_SG_EEES6_PlJ7is_evenIiEEEE10hipError_tPvRmT3_T4_T5_T6_T7_T9_mT8_P12ihipStream_tbDpT10_ENKUlT_T0_E_clISt17integral_constantIbLb0EES19_EEDaS14_S15_EUlS14_E_NS1_11comp_targetILNS1_3genE4ELNS1_11target_archE910ELNS1_3gpuE8ELNS1_3repE0EEENS1_30default_config_static_selectorELNS0_4arch9wavefront6targetE1EEEvT1_
	.globl	_ZN7rocprim17ROCPRIM_400000_NS6detail17trampoline_kernelINS0_14default_configENS1_25partition_config_selectorILNS1_17partition_subalgoE0EiNS0_10empty_typeEbEEZZNS1_14partition_implILS5_0ELb0ES3_jN6thrust23THRUST_200600_302600_NS6detail15normal_iteratorINSA_10device_ptrIiEEEEPS6_SG_NS0_5tupleIJSF_NSA_16discard_iteratorINSA_11use_defaultEEEEEENSH_IJSG_SG_EEES6_PlJ7is_evenIiEEEE10hipError_tPvRmT3_T4_T5_T6_T7_T9_mT8_P12ihipStream_tbDpT10_ENKUlT_T0_E_clISt17integral_constantIbLb0EES19_EEDaS14_S15_EUlS14_E_NS1_11comp_targetILNS1_3genE4ELNS1_11target_archE910ELNS1_3gpuE8ELNS1_3repE0EEENS1_30default_config_static_selectorELNS0_4arch9wavefront6targetE1EEEvT1_
	.p2align	8
	.type	_ZN7rocprim17ROCPRIM_400000_NS6detail17trampoline_kernelINS0_14default_configENS1_25partition_config_selectorILNS1_17partition_subalgoE0EiNS0_10empty_typeEbEEZZNS1_14partition_implILS5_0ELb0ES3_jN6thrust23THRUST_200600_302600_NS6detail15normal_iteratorINSA_10device_ptrIiEEEEPS6_SG_NS0_5tupleIJSF_NSA_16discard_iteratorINSA_11use_defaultEEEEEENSH_IJSG_SG_EEES6_PlJ7is_evenIiEEEE10hipError_tPvRmT3_T4_T5_T6_T7_T9_mT8_P12ihipStream_tbDpT10_ENKUlT_T0_E_clISt17integral_constantIbLb0EES19_EEDaS14_S15_EUlS14_E_NS1_11comp_targetILNS1_3genE4ELNS1_11target_archE910ELNS1_3gpuE8ELNS1_3repE0EEENS1_30default_config_static_selectorELNS0_4arch9wavefront6targetE1EEEvT1_,@function
_ZN7rocprim17ROCPRIM_400000_NS6detail17trampoline_kernelINS0_14default_configENS1_25partition_config_selectorILNS1_17partition_subalgoE0EiNS0_10empty_typeEbEEZZNS1_14partition_implILS5_0ELb0ES3_jN6thrust23THRUST_200600_302600_NS6detail15normal_iteratorINSA_10device_ptrIiEEEEPS6_SG_NS0_5tupleIJSF_NSA_16discard_iteratorINSA_11use_defaultEEEEEENSH_IJSG_SG_EEES6_PlJ7is_evenIiEEEE10hipError_tPvRmT3_T4_T5_T6_T7_T9_mT8_P12ihipStream_tbDpT10_ENKUlT_T0_E_clISt17integral_constantIbLb0EES19_EEDaS14_S15_EUlS14_E_NS1_11comp_targetILNS1_3genE4ELNS1_11target_archE910ELNS1_3gpuE8ELNS1_3repE0EEENS1_30default_config_static_selectorELNS0_4arch9wavefront6targetE1EEEvT1_: ; @_ZN7rocprim17ROCPRIM_400000_NS6detail17trampoline_kernelINS0_14default_configENS1_25partition_config_selectorILNS1_17partition_subalgoE0EiNS0_10empty_typeEbEEZZNS1_14partition_implILS5_0ELb0ES3_jN6thrust23THRUST_200600_302600_NS6detail15normal_iteratorINSA_10device_ptrIiEEEEPS6_SG_NS0_5tupleIJSF_NSA_16discard_iteratorINSA_11use_defaultEEEEEENSH_IJSG_SG_EEES6_PlJ7is_evenIiEEEE10hipError_tPvRmT3_T4_T5_T6_T7_T9_mT8_P12ihipStream_tbDpT10_ENKUlT_T0_E_clISt17integral_constantIbLb0EES19_EEDaS14_S15_EUlS14_E_NS1_11comp_targetILNS1_3genE4ELNS1_11target_archE910ELNS1_3gpuE8ELNS1_3repE0EEENS1_30default_config_static_selectorELNS0_4arch9wavefront6targetE1EEEvT1_
; %bb.0:
	.section	.rodata,"a",@progbits
	.p2align	6, 0x0
	.amdhsa_kernel _ZN7rocprim17ROCPRIM_400000_NS6detail17trampoline_kernelINS0_14default_configENS1_25partition_config_selectorILNS1_17partition_subalgoE0EiNS0_10empty_typeEbEEZZNS1_14partition_implILS5_0ELb0ES3_jN6thrust23THRUST_200600_302600_NS6detail15normal_iteratorINSA_10device_ptrIiEEEEPS6_SG_NS0_5tupleIJSF_NSA_16discard_iteratorINSA_11use_defaultEEEEEENSH_IJSG_SG_EEES6_PlJ7is_evenIiEEEE10hipError_tPvRmT3_T4_T5_T6_T7_T9_mT8_P12ihipStream_tbDpT10_ENKUlT_T0_E_clISt17integral_constantIbLb0EES19_EEDaS14_S15_EUlS14_E_NS1_11comp_targetILNS1_3genE4ELNS1_11target_archE910ELNS1_3gpuE8ELNS1_3repE0EEENS1_30default_config_static_selectorELNS0_4arch9wavefront6targetE1EEEvT1_
		.amdhsa_group_segment_fixed_size 0
		.amdhsa_private_segment_fixed_size 0
		.amdhsa_kernarg_size 128
		.amdhsa_user_sgpr_count 2
		.amdhsa_user_sgpr_dispatch_ptr 0
		.amdhsa_user_sgpr_queue_ptr 0
		.amdhsa_user_sgpr_kernarg_segment_ptr 1
		.amdhsa_user_sgpr_dispatch_id 0
		.amdhsa_user_sgpr_kernarg_preload_length 0
		.amdhsa_user_sgpr_kernarg_preload_offset 0
		.amdhsa_user_sgpr_private_segment_size 0
		.amdhsa_uses_dynamic_stack 0
		.amdhsa_enable_private_segment 0
		.amdhsa_system_sgpr_workgroup_id_x 1
		.amdhsa_system_sgpr_workgroup_id_y 0
		.amdhsa_system_sgpr_workgroup_id_z 0
		.amdhsa_system_sgpr_workgroup_info 0
		.amdhsa_system_vgpr_workitem_id 0
		.amdhsa_next_free_vgpr 1
		.amdhsa_next_free_sgpr 0
		.amdhsa_accum_offset 4
		.amdhsa_reserve_vcc 0
		.amdhsa_float_round_mode_32 0
		.amdhsa_float_round_mode_16_64 0
		.amdhsa_float_denorm_mode_32 3
		.amdhsa_float_denorm_mode_16_64 3
		.amdhsa_dx10_clamp 1
		.amdhsa_ieee_mode 1
		.amdhsa_fp16_overflow 0
		.amdhsa_tg_split 0
		.amdhsa_exception_fp_ieee_invalid_op 0
		.amdhsa_exception_fp_denorm_src 0
		.amdhsa_exception_fp_ieee_div_zero 0
		.amdhsa_exception_fp_ieee_overflow 0
		.amdhsa_exception_fp_ieee_underflow 0
		.amdhsa_exception_fp_ieee_inexact 0
		.amdhsa_exception_int_div_zero 0
	.end_amdhsa_kernel
	.section	.text._ZN7rocprim17ROCPRIM_400000_NS6detail17trampoline_kernelINS0_14default_configENS1_25partition_config_selectorILNS1_17partition_subalgoE0EiNS0_10empty_typeEbEEZZNS1_14partition_implILS5_0ELb0ES3_jN6thrust23THRUST_200600_302600_NS6detail15normal_iteratorINSA_10device_ptrIiEEEEPS6_SG_NS0_5tupleIJSF_NSA_16discard_iteratorINSA_11use_defaultEEEEEENSH_IJSG_SG_EEES6_PlJ7is_evenIiEEEE10hipError_tPvRmT3_T4_T5_T6_T7_T9_mT8_P12ihipStream_tbDpT10_ENKUlT_T0_E_clISt17integral_constantIbLb0EES19_EEDaS14_S15_EUlS14_E_NS1_11comp_targetILNS1_3genE4ELNS1_11target_archE910ELNS1_3gpuE8ELNS1_3repE0EEENS1_30default_config_static_selectorELNS0_4arch9wavefront6targetE1EEEvT1_,"axG",@progbits,_ZN7rocprim17ROCPRIM_400000_NS6detail17trampoline_kernelINS0_14default_configENS1_25partition_config_selectorILNS1_17partition_subalgoE0EiNS0_10empty_typeEbEEZZNS1_14partition_implILS5_0ELb0ES3_jN6thrust23THRUST_200600_302600_NS6detail15normal_iteratorINSA_10device_ptrIiEEEEPS6_SG_NS0_5tupleIJSF_NSA_16discard_iteratorINSA_11use_defaultEEEEEENSH_IJSG_SG_EEES6_PlJ7is_evenIiEEEE10hipError_tPvRmT3_T4_T5_T6_T7_T9_mT8_P12ihipStream_tbDpT10_ENKUlT_T0_E_clISt17integral_constantIbLb0EES19_EEDaS14_S15_EUlS14_E_NS1_11comp_targetILNS1_3genE4ELNS1_11target_archE910ELNS1_3gpuE8ELNS1_3repE0EEENS1_30default_config_static_selectorELNS0_4arch9wavefront6targetE1EEEvT1_,comdat
.Lfunc_end2717:
	.size	_ZN7rocprim17ROCPRIM_400000_NS6detail17trampoline_kernelINS0_14default_configENS1_25partition_config_selectorILNS1_17partition_subalgoE0EiNS0_10empty_typeEbEEZZNS1_14partition_implILS5_0ELb0ES3_jN6thrust23THRUST_200600_302600_NS6detail15normal_iteratorINSA_10device_ptrIiEEEEPS6_SG_NS0_5tupleIJSF_NSA_16discard_iteratorINSA_11use_defaultEEEEEENSH_IJSG_SG_EEES6_PlJ7is_evenIiEEEE10hipError_tPvRmT3_T4_T5_T6_T7_T9_mT8_P12ihipStream_tbDpT10_ENKUlT_T0_E_clISt17integral_constantIbLb0EES19_EEDaS14_S15_EUlS14_E_NS1_11comp_targetILNS1_3genE4ELNS1_11target_archE910ELNS1_3gpuE8ELNS1_3repE0EEENS1_30default_config_static_selectorELNS0_4arch9wavefront6targetE1EEEvT1_, .Lfunc_end2717-_ZN7rocprim17ROCPRIM_400000_NS6detail17trampoline_kernelINS0_14default_configENS1_25partition_config_selectorILNS1_17partition_subalgoE0EiNS0_10empty_typeEbEEZZNS1_14partition_implILS5_0ELb0ES3_jN6thrust23THRUST_200600_302600_NS6detail15normal_iteratorINSA_10device_ptrIiEEEEPS6_SG_NS0_5tupleIJSF_NSA_16discard_iteratorINSA_11use_defaultEEEEEENSH_IJSG_SG_EEES6_PlJ7is_evenIiEEEE10hipError_tPvRmT3_T4_T5_T6_T7_T9_mT8_P12ihipStream_tbDpT10_ENKUlT_T0_E_clISt17integral_constantIbLb0EES19_EEDaS14_S15_EUlS14_E_NS1_11comp_targetILNS1_3genE4ELNS1_11target_archE910ELNS1_3gpuE8ELNS1_3repE0EEENS1_30default_config_static_selectorELNS0_4arch9wavefront6targetE1EEEvT1_
                                        ; -- End function
	.section	.AMDGPU.csdata,"",@progbits
; Kernel info:
; codeLenInByte = 0
; NumSgprs: 6
; NumVgprs: 0
; NumAgprs: 0
; TotalNumVgprs: 0
; ScratchSize: 0
; MemoryBound: 0
; FloatMode: 240
; IeeeMode: 1
; LDSByteSize: 0 bytes/workgroup (compile time only)
; SGPRBlocks: 0
; VGPRBlocks: 0
; NumSGPRsForWavesPerEU: 6
; NumVGPRsForWavesPerEU: 1
; AccumOffset: 4
; Occupancy: 8
; WaveLimiterHint : 0
; COMPUTE_PGM_RSRC2:SCRATCH_EN: 0
; COMPUTE_PGM_RSRC2:USER_SGPR: 2
; COMPUTE_PGM_RSRC2:TRAP_HANDLER: 0
; COMPUTE_PGM_RSRC2:TGID_X_EN: 1
; COMPUTE_PGM_RSRC2:TGID_Y_EN: 0
; COMPUTE_PGM_RSRC2:TGID_Z_EN: 0
; COMPUTE_PGM_RSRC2:TIDIG_COMP_CNT: 0
; COMPUTE_PGM_RSRC3_GFX90A:ACCUM_OFFSET: 0
; COMPUTE_PGM_RSRC3_GFX90A:TG_SPLIT: 0
	.section	.text._ZN7rocprim17ROCPRIM_400000_NS6detail17trampoline_kernelINS0_14default_configENS1_25partition_config_selectorILNS1_17partition_subalgoE0EiNS0_10empty_typeEbEEZZNS1_14partition_implILS5_0ELb0ES3_jN6thrust23THRUST_200600_302600_NS6detail15normal_iteratorINSA_10device_ptrIiEEEEPS6_SG_NS0_5tupleIJSF_NSA_16discard_iteratorINSA_11use_defaultEEEEEENSH_IJSG_SG_EEES6_PlJ7is_evenIiEEEE10hipError_tPvRmT3_T4_T5_T6_T7_T9_mT8_P12ihipStream_tbDpT10_ENKUlT_T0_E_clISt17integral_constantIbLb0EES19_EEDaS14_S15_EUlS14_E_NS1_11comp_targetILNS1_3genE3ELNS1_11target_archE908ELNS1_3gpuE7ELNS1_3repE0EEENS1_30default_config_static_selectorELNS0_4arch9wavefront6targetE1EEEvT1_,"axG",@progbits,_ZN7rocprim17ROCPRIM_400000_NS6detail17trampoline_kernelINS0_14default_configENS1_25partition_config_selectorILNS1_17partition_subalgoE0EiNS0_10empty_typeEbEEZZNS1_14partition_implILS5_0ELb0ES3_jN6thrust23THRUST_200600_302600_NS6detail15normal_iteratorINSA_10device_ptrIiEEEEPS6_SG_NS0_5tupleIJSF_NSA_16discard_iteratorINSA_11use_defaultEEEEEENSH_IJSG_SG_EEES6_PlJ7is_evenIiEEEE10hipError_tPvRmT3_T4_T5_T6_T7_T9_mT8_P12ihipStream_tbDpT10_ENKUlT_T0_E_clISt17integral_constantIbLb0EES19_EEDaS14_S15_EUlS14_E_NS1_11comp_targetILNS1_3genE3ELNS1_11target_archE908ELNS1_3gpuE7ELNS1_3repE0EEENS1_30default_config_static_selectorELNS0_4arch9wavefront6targetE1EEEvT1_,comdat
	.protected	_ZN7rocprim17ROCPRIM_400000_NS6detail17trampoline_kernelINS0_14default_configENS1_25partition_config_selectorILNS1_17partition_subalgoE0EiNS0_10empty_typeEbEEZZNS1_14partition_implILS5_0ELb0ES3_jN6thrust23THRUST_200600_302600_NS6detail15normal_iteratorINSA_10device_ptrIiEEEEPS6_SG_NS0_5tupleIJSF_NSA_16discard_iteratorINSA_11use_defaultEEEEEENSH_IJSG_SG_EEES6_PlJ7is_evenIiEEEE10hipError_tPvRmT3_T4_T5_T6_T7_T9_mT8_P12ihipStream_tbDpT10_ENKUlT_T0_E_clISt17integral_constantIbLb0EES19_EEDaS14_S15_EUlS14_E_NS1_11comp_targetILNS1_3genE3ELNS1_11target_archE908ELNS1_3gpuE7ELNS1_3repE0EEENS1_30default_config_static_selectorELNS0_4arch9wavefront6targetE1EEEvT1_ ; -- Begin function _ZN7rocprim17ROCPRIM_400000_NS6detail17trampoline_kernelINS0_14default_configENS1_25partition_config_selectorILNS1_17partition_subalgoE0EiNS0_10empty_typeEbEEZZNS1_14partition_implILS5_0ELb0ES3_jN6thrust23THRUST_200600_302600_NS6detail15normal_iteratorINSA_10device_ptrIiEEEEPS6_SG_NS0_5tupleIJSF_NSA_16discard_iteratorINSA_11use_defaultEEEEEENSH_IJSG_SG_EEES6_PlJ7is_evenIiEEEE10hipError_tPvRmT3_T4_T5_T6_T7_T9_mT8_P12ihipStream_tbDpT10_ENKUlT_T0_E_clISt17integral_constantIbLb0EES19_EEDaS14_S15_EUlS14_E_NS1_11comp_targetILNS1_3genE3ELNS1_11target_archE908ELNS1_3gpuE7ELNS1_3repE0EEENS1_30default_config_static_selectorELNS0_4arch9wavefront6targetE1EEEvT1_
	.globl	_ZN7rocprim17ROCPRIM_400000_NS6detail17trampoline_kernelINS0_14default_configENS1_25partition_config_selectorILNS1_17partition_subalgoE0EiNS0_10empty_typeEbEEZZNS1_14partition_implILS5_0ELb0ES3_jN6thrust23THRUST_200600_302600_NS6detail15normal_iteratorINSA_10device_ptrIiEEEEPS6_SG_NS0_5tupleIJSF_NSA_16discard_iteratorINSA_11use_defaultEEEEEENSH_IJSG_SG_EEES6_PlJ7is_evenIiEEEE10hipError_tPvRmT3_T4_T5_T6_T7_T9_mT8_P12ihipStream_tbDpT10_ENKUlT_T0_E_clISt17integral_constantIbLb0EES19_EEDaS14_S15_EUlS14_E_NS1_11comp_targetILNS1_3genE3ELNS1_11target_archE908ELNS1_3gpuE7ELNS1_3repE0EEENS1_30default_config_static_selectorELNS0_4arch9wavefront6targetE1EEEvT1_
	.p2align	8
	.type	_ZN7rocprim17ROCPRIM_400000_NS6detail17trampoline_kernelINS0_14default_configENS1_25partition_config_selectorILNS1_17partition_subalgoE0EiNS0_10empty_typeEbEEZZNS1_14partition_implILS5_0ELb0ES3_jN6thrust23THRUST_200600_302600_NS6detail15normal_iteratorINSA_10device_ptrIiEEEEPS6_SG_NS0_5tupleIJSF_NSA_16discard_iteratorINSA_11use_defaultEEEEEENSH_IJSG_SG_EEES6_PlJ7is_evenIiEEEE10hipError_tPvRmT3_T4_T5_T6_T7_T9_mT8_P12ihipStream_tbDpT10_ENKUlT_T0_E_clISt17integral_constantIbLb0EES19_EEDaS14_S15_EUlS14_E_NS1_11comp_targetILNS1_3genE3ELNS1_11target_archE908ELNS1_3gpuE7ELNS1_3repE0EEENS1_30default_config_static_selectorELNS0_4arch9wavefront6targetE1EEEvT1_,@function
_ZN7rocprim17ROCPRIM_400000_NS6detail17trampoline_kernelINS0_14default_configENS1_25partition_config_selectorILNS1_17partition_subalgoE0EiNS0_10empty_typeEbEEZZNS1_14partition_implILS5_0ELb0ES3_jN6thrust23THRUST_200600_302600_NS6detail15normal_iteratorINSA_10device_ptrIiEEEEPS6_SG_NS0_5tupleIJSF_NSA_16discard_iteratorINSA_11use_defaultEEEEEENSH_IJSG_SG_EEES6_PlJ7is_evenIiEEEE10hipError_tPvRmT3_T4_T5_T6_T7_T9_mT8_P12ihipStream_tbDpT10_ENKUlT_T0_E_clISt17integral_constantIbLb0EES19_EEDaS14_S15_EUlS14_E_NS1_11comp_targetILNS1_3genE3ELNS1_11target_archE908ELNS1_3gpuE7ELNS1_3repE0EEENS1_30default_config_static_selectorELNS0_4arch9wavefront6targetE1EEEvT1_: ; @_ZN7rocprim17ROCPRIM_400000_NS6detail17trampoline_kernelINS0_14default_configENS1_25partition_config_selectorILNS1_17partition_subalgoE0EiNS0_10empty_typeEbEEZZNS1_14partition_implILS5_0ELb0ES3_jN6thrust23THRUST_200600_302600_NS6detail15normal_iteratorINSA_10device_ptrIiEEEEPS6_SG_NS0_5tupleIJSF_NSA_16discard_iteratorINSA_11use_defaultEEEEEENSH_IJSG_SG_EEES6_PlJ7is_evenIiEEEE10hipError_tPvRmT3_T4_T5_T6_T7_T9_mT8_P12ihipStream_tbDpT10_ENKUlT_T0_E_clISt17integral_constantIbLb0EES19_EEDaS14_S15_EUlS14_E_NS1_11comp_targetILNS1_3genE3ELNS1_11target_archE908ELNS1_3gpuE7ELNS1_3repE0EEENS1_30default_config_static_selectorELNS0_4arch9wavefront6targetE1EEEvT1_
; %bb.0:
	.section	.rodata,"a",@progbits
	.p2align	6, 0x0
	.amdhsa_kernel _ZN7rocprim17ROCPRIM_400000_NS6detail17trampoline_kernelINS0_14default_configENS1_25partition_config_selectorILNS1_17partition_subalgoE0EiNS0_10empty_typeEbEEZZNS1_14partition_implILS5_0ELb0ES3_jN6thrust23THRUST_200600_302600_NS6detail15normal_iteratorINSA_10device_ptrIiEEEEPS6_SG_NS0_5tupleIJSF_NSA_16discard_iteratorINSA_11use_defaultEEEEEENSH_IJSG_SG_EEES6_PlJ7is_evenIiEEEE10hipError_tPvRmT3_T4_T5_T6_T7_T9_mT8_P12ihipStream_tbDpT10_ENKUlT_T0_E_clISt17integral_constantIbLb0EES19_EEDaS14_S15_EUlS14_E_NS1_11comp_targetILNS1_3genE3ELNS1_11target_archE908ELNS1_3gpuE7ELNS1_3repE0EEENS1_30default_config_static_selectorELNS0_4arch9wavefront6targetE1EEEvT1_
		.amdhsa_group_segment_fixed_size 0
		.amdhsa_private_segment_fixed_size 0
		.amdhsa_kernarg_size 128
		.amdhsa_user_sgpr_count 2
		.amdhsa_user_sgpr_dispatch_ptr 0
		.amdhsa_user_sgpr_queue_ptr 0
		.amdhsa_user_sgpr_kernarg_segment_ptr 1
		.amdhsa_user_sgpr_dispatch_id 0
		.amdhsa_user_sgpr_kernarg_preload_length 0
		.amdhsa_user_sgpr_kernarg_preload_offset 0
		.amdhsa_user_sgpr_private_segment_size 0
		.amdhsa_uses_dynamic_stack 0
		.amdhsa_enable_private_segment 0
		.amdhsa_system_sgpr_workgroup_id_x 1
		.amdhsa_system_sgpr_workgroup_id_y 0
		.amdhsa_system_sgpr_workgroup_id_z 0
		.amdhsa_system_sgpr_workgroup_info 0
		.amdhsa_system_vgpr_workitem_id 0
		.amdhsa_next_free_vgpr 1
		.amdhsa_next_free_sgpr 0
		.amdhsa_accum_offset 4
		.amdhsa_reserve_vcc 0
		.amdhsa_float_round_mode_32 0
		.amdhsa_float_round_mode_16_64 0
		.amdhsa_float_denorm_mode_32 3
		.amdhsa_float_denorm_mode_16_64 3
		.amdhsa_dx10_clamp 1
		.amdhsa_ieee_mode 1
		.amdhsa_fp16_overflow 0
		.amdhsa_tg_split 0
		.amdhsa_exception_fp_ieee_invalid_op 0
		.amdhsa_exception_fp_denorm_src 0
		.amdhsa_exception_fp_ieee_div_zero 0
		.amdhsa_exception_fp_ieee_overflow 0
		.amdhsa_exception_fp_ieee_underflow 0
		.amdhsa_exception_fp_ieee_inexact 0
		.amdhsa_exception_int_div_zero 0
	.end_amdhsa_kernel
	.section	.text._ZN7rocprim17ROCPRIM_400000_NS6detail17trampoline_kernelINS0_14default_configENS1_25partition_config_selectorILNS1_17partition_subalgoE0EiNS0_10empty_typeEbEEZZNS1_14partition_implILS5_0ELb0ES3_jN6thrust23THRUST_200600_302600_NS6detail15normal_iteratorINSA_10device_ptrIiEEEEPS6_SG_NS0_5tupleIJSF_NSA_16discard_iteratorINSA_11use_defaultEEEEEENSH_IJSG_SG_EEES6_PlJ7is_evenIiEEEE10hipError_tPvRmT3_T4_T5_T6_T7_T9_mT8_P12ihipStream_tbDpT10_ENKUlT_T0_E_clISt17integral_constantIbLb0EES19_EEDaS14_S15_EUlS14_E_NS1_11comp_targetILNS1_3genE3ELNS1_11target_archE908ELNS1_3gpuE7ELNS1_3repE0EEENS1_30default_config_static_selectorELNS0_4arch9wavefront6targetE1EEEvT1_,"axG",@progbits,_ZN7rocprim17ROCPRIM_400000_NS6detail17trampoline_kernelINS0_14default_configENS1_25partition_config_selectorILNS1_17partition_subalgoE0EiNS0_10empty_typeEbEEZZNS1_14partition_implILS5_0ELb0ES3_jN6thrust23THRUST_200600_302600_NS6detail15normal_iteratorINSA_10device_ptrIiEEEEPS6_SG_NS0_5tupleIJSF_NSA_16discard_iteratorINSA_11use_defaultEEEEEENSH_IJSG_SG_EEES6_PlJ7is_evenIiEEEE10hipError_tPvRmT3_T4_T5_T6_T7_T9_mT8_P12ihipStream_tbDpT10_ENKUlT_T0_E_clISt17integral_constantIbLb0EES19_EEDaS14_S15_EUlS14_E_NS1_11comp_targetILNS1_3genE3ELNS1_11target_archE908ELNS1_3gpuE7ELNS1_3repE0EEENS1_30default_config_static_selectorELNS0_4arch9wavefront6targetE1EEEvT1_,comdat
.Lfunc_end2718:
	.size	_ZN7rocprim17ROCPRIM_400000_NS6detail17trampoline_kernelINS0_14default_configENS1_25partition_config_selectorILNS1_17partition_subalgoE0EiNS0_10empty_typeEbEEZZNS1_14partition_implILS5_0ELb0ES3_jN6thrust23THRUST_200600_302600_NS6detail15normal_iteratorINSA_10device_ptrIiEEEEPS6_SG_NS0_5tupleIJSF_NSA_16discard_iteratorINSA_11use_defaultEEEEEENSH_IJSG_SG_EEES6_PlJ7is_evenIiEEEE10hipError_tPvRmT3_T4_T5_T6_T7_T9_mT8_P12ihipStream_tbDpT10_ENKUlT_T0_E_clISt17integral_constantIbLb0EES19_EEDaS14_S15_EUlS14_E_NS1_11comp_targetILNS1_3genE3ELNS1_11target_archE908ELNS1_3gpuE7ELNS1_3repE0EEENS1_30default_config_static_selectorELNS0_4arch9wavefront6targetE1EEEvT1_, .Lfunc_end2718-_ZN7rocprim17ROCPRIM_400000_NS6detail17trampoline_kernelINS0_14default_configENS1_25partition_config_selectorILNS1_17partition_subalgoE0EiNS0_10empty_typeEbEEZZNS1_14partition_implILS5_0ELb0ES3_jN6thrust23THRUST_200600_302600_NS6detail15normal_iteratorINSA_10device_ptrIiEEEEPS6_SG_NS0_5tupleIJSF_NSA_16discard_iteratorINSA_11use_defaultEEEEEENSH_IJSG_SG_EEES6_PlJ7is_evenIiEEEE10hipError_tPvRmT3_T4_T5_T6_T7_T9_mT8_P12ihipStream_tbDpT10_ENKUlT_T0_E_clISt17integral_constantIbLb0EES19_EEDaS14_S15_EUlS14_E_NS1_11comp_targetILNS1_3genE3ELNS1_11target_archE908ELNS1_3gpuE7ELNS1_3repE0EEENS1_30default_config_static_selectorELNS0_4arch9wavefront6targetE1EEEvT1_
                                        ; -- End function
	.section	.AMDGPU.csdata,"",@progbits
; Kernel info:
; codeLenInByte = 0
; NumSgprs: 6
; NumVgprs: 0
; NumAgprs: 0
; TotalNumVgprs: 0
; ScratchSize: 0
; MemoryBound: 0
; FloatMode: 240
; IeeeMode: 1
; LDSByteSize: 0 bytes/workgroup (compile time only)
; SGPRBlocks: 0
; VGPRBlocks: 0
; NumSGPRsForWavesPerEU: 6
; NumVGPRsForWavesPerEU: 1
; AccumOffset: 4
; Occupancy: 8
; WaveLimiterHint : 0
; COMPUTE_PGM_RSRC2:SCRATCH_EN: 0
; COMPUTE_PGM_RSRC2:USER_SGPR: 2
; COMPUTE_PGM_RSRC2:TRAP_HANDLER: 0
; COMPUTE_PGM_RSRC2:TGID_X_EN: 1
; COMPUTE_PGM_RSRC2:TGID_Y_EN: 0
; COMPUTE_PGM_RSRC2:TGID_Z_EN: 0
; COMPUTE_PGM_RSRC2:TIDIG_COMP_CNT: 0
; COMPUTE_PGM_RSRC3_GFX90A:ACCUM_OFFSET: 0
; COMPUTE_PGM_RSRC3_GFX90A:TG_SPLIT: 0
	.section	.text._ZN7rocprim17ROCPRIM_400000_NS6detail17trampoline_kernelINS0_14default_configENS1_25partition_config_selectorILNS1_17partition_subalgoE0EiNS0_10empty_typeEbEEZZNS1_14partition_implILS5_0ELb0ES3_jN6thrust23THRUST_200600_302600_NS6detail15normal_iteratorINSA_10device_ptrIiEEEEPS6_SG_NS0_5tupleIJSF_NSA_16discard_iteratorINSA_11use_defaultEEEEEENSH_IJSG_SG_EEES6_PlJ7is_evenIiEEEE10hipError_tPvRmT3_T4_T5_T6_T7_T9_mT8_P12ihipStream_tbDpT10_ENKUlT_T0_E_clISt17integral_constantIbLb0EES19_EEDaS14_S15_EUlS14_E_NS1_11comp_targetILNS1_3genE2ELNS1_11target_archE906ELNS1_3gpuE6ELNS1_3repE0EEENS1_30default_config_static_selectorELNS0_4arch9wavefront6targetE1EEEvT1_,"axG",@progbits,_ZN7rocprim17ROCPRIM_400000_NS6detail17trampoline_kernelINS0_14default_configENS1_25partition_config_selectorILNS1_17partition_subalgoE0EiNS0_10empty_typeEbEEZZNS1_14partition_implILS5_0ELb0ES3_jN6thrust23THRUST_200600_302600_NS6detail15normal_iteratorINSA_10device_ptrIiEEEEPS6_SG_NS0_5tupleIJSF_NSA_16discard_iteratorINSA_11use_defaultEEEEEENSH_IJSG_SG_EEES6_PlJ7is_evenIiEEEE10hipError_tPvRmT3_T4_T5_T6_T7_T9_mT8_P12ihipStream_tbDpT10_ENKUlT_T0_E_clISt17integral_constantIbLb0EES19_EEDaS14_S15_EUlS14_E_NS1_11comp_targetILNS1_3genE2ELNS1_11target_archE906ELNS1_3gpuE6ELNS1_3repE0EEENS1_30default_config_static_selectorELNS0_4arch9wavefront6targetE1EEEvT1_,comdat
	.protected	_ZN7rocprim17ROCPRIM_400000_NS6detail17trampoline_kernelINS0_14default_configENS1_25partition_config_selectorILNS1_17partition_subalgoE0EiNS0_10empty_typeEbEEZZNS1_14partition_implILS5_0ELb0ES3_jN6thrust23THRUST_200600_302600_NS6detail15normal_iteratorINSA_10device_ptrIiEEEEPS6_SG_NS0_5tupleIJSF_NSA_16discard_iteratorINSA_11use_defaultEEEEEENSH_IJSG_SG_EEES6_PlJ7is_evenIiEEEE10hipError_tPvRmT3_T4_T5_T6_T7_T9_mT8_P12ihipStream_tbDpT10_ENKUlT_T0_E_clISt17integral_constantIbLb0EES19_EEDaS14_S15_EUlS14_E_NS1_11comp_targetILNS1_3genE2ELNS1_11target_archE906ELNS1_3gpuE6ELNS1_3repE0EEENS1_30default_config_static_selectorELNS0_4arch9wavefront6targetE1EEEvT1_ ; -- Begin function _ZN7rocprim17ROCPRIM_400000_NS6detail17trampoline_kernelINS0_14default_configENS1_25partition_config_selectorILNS1_17partition_subalgoE0EiNS0_10empty_typeEbEEZZNS1_14partition_implILS5_0ELb0ES3_jN6thrust23THRUST_200600_302600_NS6detail15normal_iteratorINSA_10device_ptrIiEEEEPS6_SG_NS0_5tupleIJSF_NSA_16discard_iteratorINSA_11use_defaultEEEEEENSH_IJSG_SG_EEES6_PlJ7is_evenIiEEEE10hipError_tPvRmT3_T4_T5_T6_T7_T9_mT8_P12ihipStream_tbDpT10_ENKUlT_T0_E_clISt17integral_constantIbLb0EES19_EEDaS14_S15_EUlS14_E_NS1_11comp_targetILNS1_3genE2ELNS1_11target_archE906ELNS1_3gpuE6ELNS1_3repE0EEENS1_30default_config_static_selectorELNS0_4arch9wavefront6targetE1EEEvT1_
	.globl	_ZN7rocprim17ROCPRIM_400000_NS6detail17trampoline_kernelINS0_14default_configENS1_25partition_config_selectorILNS1_17partition_subalgoE0EiNS0_10empty_typeEbEEZZNS1_14partition_implILS5_0ELb0ES3_jN6thrust23THRUST_200600_302600_NS6detail15normal_iteratorINSA_10device_ptrIiEEEEPS6_SG_NS0_5tupleIJSF_NSA_16discard_iteratorINSA_11use_defaultEEEEEENSH_IJSG_SG_EEES6_PlJ7is_evenIiEEEE10hipError_tPvRmT3_T4_T5_T6_T7_T9_mT8_P12ihipStream_tbDpT10_ENKUlT_T0_E_clISt17integral_constantIbLb0EES19_EEDaS14_S15_EUlS14_E_NS1_11comp_targetILNS1_3genE2ELNS1_11target_archE906ELNS1_3gpuE6ELNS1_3repE0EEENS1_30default_config_static_selectorELNS0_4arch9wavefront6targetE1EEEvT1_
	.p2align	8
	.type	_ZN7rocprim17ROCPRIM_400000_NS6detail17trampoline_kernelINS0_14default_configENS1_25partition_config_selectorILNS1_17partition_subalgoE0EiNS0_10empty_typeEbEEZZNS1_14partition_implILS5_0ELb0ES3_jN6thrust23THRUST_200600_302600_NS6detail15normal_iteratorINSA_10device_ptrIiEEEEPS6_SG_NS0_5tupleIJSF_NSA_16discard_iteratorINSA_11use_defaultEEEEEENSH_IJSG_SG_EEES6_PlJ7is_evenIiEEEE10hipError_tPvRmT3_T4_T5_T6_T7_T9_mT8_P12ihipStream_tbDpT10_ENKUlT_T0_E_clISt17integral_constantIbLb0EES19_EEDaS14_S15_EUlS14_E_NS1_11comp_targetILNS1_3genE2ELNS1_11target_archE906ELNS1_3gpuE6ELNS1_3repE0EEENS1_30default_config_static_selectorELNS0_4arch9wavefront6targetE1EEEvT1_,@function
_ZN7rocprim17ROCPRIM_400000_NS6detail17trampoline_kernelINS0_14default_configENS1_25partition_config_selectorILNS1_17partition_subalgoE0EiNS0_10empty_typeEbEEZZNS1_14partition_implILS5_0ELb0ES3_jN6thrust23THRUST_200600_302600_NS6detail15normal_iteratorINSA_10device_ptrIiEEEEPS6_SG_NS0_5tupleIJSF_NSA_16discard_iteratorINSA_11use_defaultEEEEEENSH_IJSG_SG_EEES6_PlJ7is_evenIiEEEE10hipError_tPvRmT3_T4_T5_T6_T7_T9_mT8_P12ihipStream_tbDpT10_ENKUlT_T0_E_clISt17integral_constantIbLb0EES19_EEDaS14_S15_EUlS14_E_NS1_11comp_targetILNS1_3genE2ELNS1_11target_archE906ELNS1_3gpuE6ELNS1_3repE0EEENS1_30default_config_static_selectorELNS0_4arch9wavefront6targetE1EEEvT1_: ; @_ZN7rocprim17ROCPRIM_400000_NS6detail17trampoline_kernelINS0_14default_configENS1_25partition_config_selectorILNS1_17partition_subalgoE0EiNS0_10empty_typeEbEEZZNS1_14partition_implILS5_0ELb0ES3_jN6thrust23THRUST_200600_302600_NS6detail15normal_iteratorINSA_10device_ptrIiEEEEPS6_SG_NS0_5tupleIJSF_NSA_16discard_iteratorINSA_11use_defaultEEEEEENSH_IJSG_SG_EEES6_PlJ7is_evenIiEEEE10hipError_tPvRmT3_T4_T5_T6_T7_T9_mT8_P12ihipStream_tbDpT10_ENKUlT_T0_E_clISt17integral_constantIbLb0EES19_EEDaS14_S15_EUlS14_E_NS1_11comp_targetILNS1_3genE2ELNS1_11target_archE906ELNS1_3gpuE6ELNS1_3repE0EEENS1_30default_config_static_selectorELNS0_4arch9wavefront6targetE1EEEvT1_
; %bb.0:
	.section	.rodata,"a",@progbits
	.p2align	6, 0x0
	.amdhsa_kernel _ZN7rocprim17ROCPRIM_400000_NS6detail17trampoline_kernelINS0_14default_configENS1_25partition_config_selectorILNS1_17partition_subalgoE0EiNS0_10empty_typeEbEEZZNS1_14partition_implILS5_0ELb0ES3_jN6thrust23THRUST_200600_302600_NS6detail15normal_iteratorINSA_10device_ptrIiEEEEPS6_SG_NS0_5tupleIJSF_NSA_16discard_iteratorINSA_11use_defaultEEEEEENSH_IJSG_SG_EEES6_PlJ7is_evenIiEEEE10hipError_tPvRmT3_T4_T5_T6_T7_T9_mT8_P12ihipStream_tbDpT10_ENKUlT_T0_E_clISt17integral_constantIbLb0EES19_EEDaS14_S15_EUlS14_E_NS1_11comp_targetILNS1_3genE2ELNS1_11target_archE906ELNS1_3gpuE6ELNS1_3repE0EEENS1_30default_config_static_selectorELNS0_4arch9wavefront6targetE1EEEvT1_
		.amdhsa_group_segment_fixed_size 0
		.amdhsa_private_segment_fixed_size 0
		.amdhsa_kernarg_size 128
		.amdhsa_user_sgpr_count 2
		.amdhsa_user_sgpr_dispatch_ptr 0
		.amdhsa_user_sgpr_queue_ptr 0
		.amdhsa_user_sgpr_kernarg_segment_ptr 1
		.amdhsa_user_sgpr_dispatch_id 0
		.amdhsa_user_sgpr_kernarg_preload_length 0
		.amdhsa_user_sgpr_kernarg_preload_offset 0
		.amdhsa_user_sgpr_private_segment_size 0
		.amdhsa_uses_dynamic_stack 0
		.amdhsa_enable_private_segment 0
		.amdhsa_system_sgpr_workgroup_id_x 1
		.amdhsa_system_sgpr_workgroup_id_y 0
		.amdhsa_system_sgpr_workgroup_id_z 0
		.amdhsa_system_sgpr_workgroup_info 0
		.amdhsa_system_vgpr_workitem_id 0
		.amdhsa_next_free_vgpr 1
		.amdhsa_next_free_sgpr 0
		.amdhsa_accum_offset 4
		.amdhsa_reserve_vcc 0
		.amdhsa_float_round_mode_32 0
		.amdhsa_float_round_mode_16_64 0
		.amdhsa_float_denorm_mode_32 3
		.amdhsa_float_denorm_mode_16_64 3
		.amdhsa_dx10_clamp 1
		.amdhsa_ieee_mode 1
		.amdhsa_fp16_overflow 0
		.amdhsa_tg_split 0
		.amdhsa_exception_fp_ieee_invalid_op 0
		.amdhsa_exception_fp_denorm_src 0
		.amdhsa_exception_fp_ieee_div_zero 0
		.amdhsa_exception_fp_ieee_overflow 0
		.amdhsa_exception_fp_ieee_underflow 0
		.amdhsa_exception_fp_ieee_inexact 0
		.amdhsa_exception_int_div_zero 0
	.end_amdhsa_kernel
	.section	.text._ZN7rocprim17ROCPRIM_400000_NS6detail17trampoline_kernelINS0_14default_configENS1_25partition_config_selectorILNS1_17partition_subalgoE0EiNS0_10empty_typeEbEEZZNS1_14partition_implILS5_0ELb0ES3_jN6thrust23THRUST_200600_302600_NS6detail15normal_iteratorINSA_10device_ptrIiEEEEPS6_SG_NS0_5tupleIJSF_NSA_16discard_iteratorINSA_11use_defaultEEEEEENSH_IJSG_SG_EEES6_PlJ7is_evenIiEEEE10hipError_tPvRmT3_T4_T5_T6_T7_T9_mT8_P12ihipStream_tbDpT10_ENKUlT_T0_E_clISt17integral_constantIbLb0EES19_EEDaS14_S15_EUlS14_E_NS1_11comp_targetILNS1_3genE2ELNS1_11target_archE906ELNS1_3gpuE6ELNS1_3repE0EEENS1_30default_config_static_selectorELNS0_4arch9wavefront6targetE1EEEvT1_,"axG",@progbits,_ZN7rocprim17ROCPRIM_400000_NS6detail17trampoline_kernelINS0_14default_configENS1_25partition_config_selectorILNS1_17partition_subalgoE0EiNS0_10empty_typeEbEEZZNS1_14partition_implILS5_0ELb0ES3_jN6thrust23THRUST_200600_302600_NS6detail15normal_iteratorINSA_10device_ptrIiEEEEPS6_SG_NS0_5tupleIJSF_NSA_16discard_iteratorINSA_11use_defaultEEEEEENSH_IJSG_SG_EEES6_PlJ7is_evenIiEEEE10hipError_tPvRmT3_T4_T5_T6_T7_T9_mT8_P12ihipStream_tbDpT10_ENKUlT_T0_E_clISt17integral_constantIbLb0EES19_EEDaS14_S15_EUlS14_E_NS1_11comp_targetILNS1_3genE2ELNS1_11target_archE906ELNS1_3gpuE6ELNS1_3repE0EEENS1_30default_config_static_selectorELNS0_4arch9wavefront6targetE1EEEvT1_,comdat
.Lfunc_end2719:
	.size	_ZN7rocprim17ROCPRIM_400000_NS6detail17trampoline_kernelINS0_14default_configENS1_25partition_config_selectorILNS1_17partition_subalgoE0EiNS0_10empty_typeEbEEZZNS1_14partition_implILS5_0ELb0ES3_jN6thrust23THRUST_200600_302600_NS6detail15normal_iteratorINSA_10device_ptrIiEEEEPS6_SG_NS0_5tupleIJSF_NSA_16discard_iteratorINSA_11use_defaultEEEEEENSH_IJSG_SG_EEES6_PlJ7is_evenIiEEEE10hipError_tPvRmT3_T4_T5_T6_T7_T9_mT8_P12ihipStream_tbDpT10_ENKUlT_T0_E_clISt17integral_constantIbLb0EES19_EEDaS14_S15_EUlS14_E_NS1_11comp_targetILNS1_3genE2ELNS1_11target_archE906ELNS1_3gpuE6ELNS1_3repE0EEENS1_30default_config_static_selectorELNS0_4arch9wavefront6targetE1EEEvT1_, .Lfunc_end2719-_ZN7rocprim17ROCPRIM_400000_NS6detail17trampoline_kernelINS0_14default_configENS1_25partition_config_selectorILNS1_17partition_subalgoE0EiNS0_10empty_typeEbEEZZNS1_14partition_implILS5_0ELb0ES3_jN6thrust23THRUST_200600_302600_NS6detail15normal_iteratorINSA_10device_ptrIiEEEEPS6_SG_NS0_5tupleIJSF_NSA_16discard_iteratorINSA_11use_defaultEEEEEENSH_IJSG_SG_EEES6_PlJ7is_evenIiEEEE10hipError_tPvRmT3_T4_T5_T6_T7_T9_mT8_P12ihipStream_tbDpT10_ENKUlT_T0_E_clISt17integral_constantIbLb0EES19_EEDaS14_S15_EUlS14_E_NS1_11comp_targetILNS1_3genE2ELNS1_11target_archE906ELNS1_3gpuE6ELNS1_3repE0EEENS1_30default_config_static_selectorELNS0_4arch9wavefront6targetE1EEEvT1_
                                        ; -- End function
	.section	.AMDGPU.csdata,"",@progbits
; Kernel info:
; codeLenInByte = 0
; NumSgprs: 6
; NumVgprs: 0
; NumAgprs: 0
; TotalNumVgprs: 0
; ScratchSize: 0
; MemoryBound: 0
; FloatMode: 240
; IeeeMode: 1
; LDSByteSize: 0 bytes/workgroup (compile time only)
; SGPRBlocks: 0
; VGPRBlocks: 0
; NumSGPRsForWavesPerEU: 6
; NumVGPRsForWavesPerEU: 1
; AccumOffset: 4
; Occupancy: 8
; WaveLimiterHint : 0
; COMPUTE_PGM_RSRC2:SCRATCH_EN: 0
; COMPUTE_PGM_RSRC2:USER_SGPR: 2
; COMPUTE_PGM_RSRC2:TRAP_HANDLER: 0
; COMPUTE_PGM_RSRC2:TGID_X_EN: 1
; COMPUTE_PGM_RSRC2:TGID_Y_EN: 0
; COMPUTE_PGM_RSRC2:TGID_Z_EN: 0
; COMPUTE_PGM_RSRC2:TIDIG_COMP_CNT: 0
; COMPUTE_PGM_RSRC3_GFX90A:ACCUM_OFFSET: 0
; COMPUTE_PGM_RSRC3_GFX90A:TG_SPLIT: 0
	.section	.text._ZN7rocprim17ROCPRIM_400000_NS6detail17trampoline_kernelINS0_14default_configENS1_25partition_config_selectorILNS1_17partition_subalgoE0EiNS0_10empty_typeEbEEZZNS1_14partition_implILS5_0ELb0ES3_jN6thrust23THRUST_200600_302600_NS6detail15normal_iteratorINSA_10device_ptrIiEEEEPS6_SG_NS0_5tupleIJSF_NSA_16discard_iteratorINSA_11use_defaultEEEEEENSH_IJSG_SG_EEES6_PlJ7is_evenIiEEEE10hipError_tPvRmT3_T4_T5_T6_T7_T9_mT8_P12ihipStream_tbDpT10_ENKUlT_T0_E_clISt17integral_constantIbLb0EES19_EEDaS14_S15_EUlS14_E_NS1_11comp_targetILNS1_3genE10ELNS1_11target_archE1200ELNS1_3gpuE4ELNS1_3repE0EEENS1_30default_config_static_selectorELNS0_4arch9wavefront6targetE1EEEvT1_,"axG",@progbits,_ZN7rocprim17ROCPRIM_400000_NS6detail17trampoline_kernelINS0_14default_configENS1_25partition_config_selectorILNS1_17partition_subalgoE0EiNS0_10empty_typeEbEEZZNS1_14partition_implILS5_0ELb0ES3_jN6thrust23THRUST_200600_302600_NS6detail15normal_iteratorINSA_10device_ptrIiEEEEPS6_SG_NS0_5tupleIJSF_NSA_16discard_iteratorINSA_11use_defaultEEEEEENSH_IJSG_SG_EEES6_PlJ7is_evenIiEEEE10hipError_tPvRmT3_T4_T5_T6_T7_T9_mT8_P12ihipStream_tbDpT10_ENKUlT_T0_E_clISt17integral_constantIbLb0EES19_EEDaS14_S15_EUlS14_E_NS1_11comp_targetILNS1_3genE10ELNS1_11target_archE1200ELNS1_3gpuE4ELNS1_3repE0EEENS1_30default_config_static_selectorELNS0_4arch9wavefront6targetE1EEEvT1_,comdat
	.protected	_ZN7rocprim17ROCPRIM_400000_NS6detail17trampoline_kernelINS0_14default_configENS1_25partition_config_selectorILNS1_17partition_subalgoE0EiNS0_10empty_typeEbEEZZNS1_14partition_implILS5_0ELb0ES3_jN6thrust23THRUST_200600_302600_NS6detail15normal_iteratorINSA_10device_ptrIiEEEEPS6_SG_NS0_5tupleIJSF_NSA_16discard_iteratorINSA_11use_defaultEEEEEENSH_IJSG_SG_EEES6_PlJ7is_evenIiEEEE10hipError_tPvRmT3_T4_T5_T6_T7_T9_mT8_P12ihipStream_tbDpT10_ENKUlT_T0_E_clISt17integral_constantIbLb0EES19_EEDaS14_S15_EUlS14_E_NS1_11comp_targetILNS1_3genE10ELNS1_11target_archE1200ELNS1_3gpuE4ELNS1_3repE0EEENS1_30default_config_static_selectorELNS0_4arch9wavefront6targetE1EEEvT1_ ; -- Begin function _ZN7rocprim17ROCPRIM_400000_NS6detail17trampoline_kernelINS0_14default_configENS1_25partition_config_selectorILNS1_17partition_subalgoE0EiNS0_10empty_typeEbEEZZNS1_14partition_implILS5_0ELb0ES3_jN6thrust23THRUST_200600_302600_NS6detail15normal_iteratorINSA_10device_ptrIiEEEEPS6_SG_NS0_5tupleIJSF_NSA_16discard_iteratorINSA_11use_defaultEEEEEENSH_IJSG_SG_EEES6_PlJ7is_evenIiEEEE10hipError_tPvRmT3_T4_T5_T6_T7_T9_mT8_P12ihipStream_tbDpT10_ENKUlT_T0_E_clISt17integral_constantIbLb0EES19_EEDaS14_S15_EUlS14_E_NS1_11comp_targetILNS1_3genE10ELNS1_11target_archE1200ELNS1_3gpuE4ELNS1_3repE0EEENS1_30default_config_static_selectorELNS0_4arch9wavefront6targetE1EEEvT1_
	.globl	_ZN7rocprim17ROCPRIM_400000_NS6detail17trampoline_kernelINS0_14default_configENS1_25partition_config_selectorILNS1_17partition_subalgoE0EiNS0_10empty_typeEbEEZZNS1_14partition_implILS5_0ELb0ES3_jN6thrust23THRUST_200600_302600_NS6detail15normal_iteratorINSA_10device_ptrIiEEEEPS6_SG_NS0_5tupleIJSF_NSA_16discard_iteratorINSA_11use_defaultEEEEEENSH_IJSG_SG_EEES6_PlJ7is_evenIiEEEE10hipError_tPvRmT3_T4_T5_T6_T7_T9_mT8_P12ihipStream_tbDpT10_ENKUlT_T0_E_clISt17integral_constantIbLb0EES19_EEDaS14_S15_EUlS14_E_NS1_11comp_targetILNS1_3genE10ELNS1_11target_archE1200ELNS1_3gpuE4ELNS1_3repE0EEENS1_30default_config_static_selectorELNS0_4arch9wavefront6targetE1EEEvT1_
	.p2align	8
	.type	_ZN7rocprim17ROCPRIM_400000_NS6detail17trampoline_kernelINS0_14default_configENS1_25partition_config_selectorILNS1_17partition_subalgoE0EiNS0_10empty_typeEbEEZZNS1_14partition_implILS5_0ELb0ES3_jN6thrust23THRUST_200600_302600_NS6detail15normal_iteratorINSA_10device_ptrIiEEEEPS6_SG_NS0_5tupleIJSF_NSA_16discard_iteratorINSA_11use_defaultEEEEEENSH_IJSG_SG_EEES6_PlJ7is_evenIiEEEE10hipError_tPvRmT3_T4_T5_T6_T7_T9_mT8_P12ihipStream_tbDpT10_ENKUlT_T0_E_clISt17integral_constantIbLb0EES19_EEDaS14_S15_EUlS14_E_NS1_11comp_targetILNS1_3genE10ELNS1_11target_archE1200ELNS1_3gpuE4ELNS1_3repE0EEENS1_30default_config_static_selectorELNS0_4arch9wavefront6targetE1EEEvT1_,@function
_ZN7rocprim17ROCPRIM_400000_NS6detail17trampoline_kernelINS0_14default_configENS1_25partition_config_selectorILNS1_17partition_subalgoE0EiNS0_10empty_typeEbEEZZNS1_14partition_implILS5_0ELb0ES3_jN6thrust23THRUST_200600_302600_NS6detail15normal_iteratorINSA_10device_ptrIiEEEEPS6_SG_NS0_5tupleIJSF_NSA_16discard_iteratorINSA_11use_defaultEEEEEENSH_IJSG_SG_EEES6_PlJ7is_evenIiEEEE10hipError_tPvRmT3_T4_T5_T6_T7_T9_mT8_P12ihipStream_tbDpT10_ENKUlT_T0_E_clISt17integral_constantIbLb0EES19_EEDaS14_S15_EUlS14_E_NS1_11comp_targetILNS1_3genE10ELNS1_11target_archE1200ELNS1_3gpuE4ELNS1_3repE0EEENS1_30default_config_static_selectorELNS0_4arch9wavefront6targetE1EEEvT1_: ; @_ZN7rocprim17ROCPRIM_400000_NS6detail17trampoline_kernelINS0_14default_configENS1_25partition_config_selectorILNS1_17partition_subalgoE0EiNS0_10empty_typeEbEEZZNS1_14partition_implILS5_0ELb0ES3_jN6thrust23THRUST_200600_302600_NS6detail15normal_iteratorINSA_10device_ptrIiEEEEPS6_SG_NS0_5tupleIJSF_NSA_16discard_iteratorINSA_11use_defaultEEEEEENSH_IJSG_SG_EEES6_PlJ7is_evenIiEEEE10hipError_tPvRmT3_T4_T5_T6_T7_T9_mT8_P12ihipStream_tbDpT10_ENKUlT_T0_E_clISt17integral_constantIbLb0EES19_EEDaS14_S15_EUlS14_E_NS1_11comp_targetILNS1_3genE10ELNS1_11target_archE1200ELNS1_3gpuE4ELNS1_3repE0EEENS1_30default_config_static_selectorELNS0_4arch9wavefront6targetE1EEEvT1_
; %bb.0:
	.section	.rodata,"a",@progbits
	.p2align	6, 0x0
	.amdhsa_kernel _ZN7rocprim17ROCPRIM_400000_NS6detail17trampoline_kernelINS0_14default_configENS1_25partition_config_selectorILNS1_17partition_subalgoE0EiNS0_10empty_typeEbEEZZNS1_14partition_implILS5_0ELb0ES3_jN6thrust23THRUST_200600_302600_NS6detail15normal_iteratorINSA_10device_ptrIiEEEEPS6_SG_NS0_5tupleIJSF_NSA_16discard_iteratorINSA_11use_defaultEEEEEENSH_IJSG_SG_EEES6_PlJ7is_evenIiEEEE10hipError_tPvRmT3_T4_T5_T6_T7_T9_mT8_P12ihipStream_tbDpT10_ENKUlT_T0_E_clISt17integral_constantIbLb0EES19_EEDaS14_S15_EUlS14_E_NS1_11comp_targetILNS1_3genE10ELNS1_11target_archE1200ELNS1_3gpuE4ELNS1_3repE0EEENS1_30default_config_static_selectorELNS0_4arch9wavefront6targetE1EEEvT1_
		.amdhsa_group_segment_fixed_size 0
		.amdhsa_private_segment_fixed_size 0
		.amdhsa_kernarg_size 128
		.amdhsa_user_sgpr_count 2
		.amdhsa_user_sgpr_dispatch_ptr 0
		.amdhsa_user_sgpr_queue_ptr 0
		.amdhsa_user_sgpr_kernarg_segment_ptr 1
		.amdhsa_user_sgpr_dispatch_id 0
		.amdhsa_user_sgpr_kernarg_preload_length 0
		.amdhsa_user_sgpr_kernarg_preload_offset 0
		.amdhsa_user_sgpr_private_segment_size 0
		.amdhsa_uses_dynamic_stack 0
		.amdhsa_enable_private_segment 0
		.amdhsa_system_sgpr_workgroup_id_x 1
		.amdhsa_system_sgpr_workgroup_id_y 0
		.amdhsa_system_sgpr_workgroup_id_z 0
		.amdhsa_system_sgpr_workgroup_info 0
		.amdhsa_system_vgpr_workitem_id 0
		.amdhsa_next_free_vgpr 1
		.amdhsa_next_free_sgpr 0
		.amdhsa_accum_offset 4
		.amdhsa_reserve_vcc 0
		.amdhsa_float_round_mode_32 0
		.amdhsa_float_round_mode_16_64 0
		.amdhsa_float_denorm_mode_32 3
		.amdhsa_float_denorm_mode_16_64 3
		.amdhsa_dx10_clamp 1
		.amdhsa_ieee_mode 1
		.amdhsa_fp16_overflow 0
		.amdhsa_tg_split 0
		.amdhsa_exception_fp_ieee_invalid_op 0
		.amdhsa_exception_fp_denorm_src 0
		.amdhsa_exception_fp_ieee_div_zero 0
		.amdhsa_exception_fp_ieee_overflow 0
		.amdhsa_exception_fp_ieee_underflow 0
		.amdhsa_exception_fp_ieee_inexact 0
		.amdhsa_exception_int_div_zero 0
	.end_amdhsa_kernel
	.section	.text._ZN7rocprim17ROCPRIM_400000_NS6detail17trampoline_kernelINS0_14default_configENS1_25partition_config_selectorILNS1_17partition_subalgoE0EiNS0_10empty_typeEbEEZZNS1_14partition_implILS5_0ELb0ES3_jN6thrust23THRUST_200600_302600_NS6detail15normal_iteratorINSA_10device_ptrIiEEEEPS6_SG_NS0_5tupleIJSF_NSA_16discard_iteratorINSA_11use_defaultEEEEEENSH_IJSG_SG_EEES6_PlJ7is_evenIiEEEE10hipError_tPvRmT3_T4_T5_T6_T7_T9_mT8_P12ihipStream_tbDpT10_ENKUlT_T0_E_clISt17integral_constantIbLb0EES19_EEDaS14_S15_EUlS14_E_NS1_11comp_targetILNS1_3genE10ELNS1_11target_archE1200ELNS1_3gpuE4ELNS1_3repE0EEENS1_30default_config_static_selectorELNS0_4arch9wavefront6targetE1EEEvT1_,"axG",@progbits,_ZN7rocprim17ROCPRIM_400000_NS6detail17trampoline_kernelINS0_14default_configENS1_25partition_config_selectorILNS1_17partition_subalgoE0EiNS0_10empty_typeEbEEZZNS1_14partition_implILS5_0ELb0ES3_jN6thrust23THRUST_200600_302600_NS6detail15normal_iteratorINSA_10device_ptrIiEEEEPS6_SG_NS0_5tupleIJSF_NSA_16discard_iteratorINSA_11use_defaultEEEEEENSH_IJSG_SG_EEES6_PlJ7is_evenIiEEEE10hipError_tPvRmT3_T4_T5_T6_T7_T9_mT8_P12ihipStream_tbDpT10_ENKUlT_T0_E_clISt17integral_constantIbLb0EES19_EEDaS14_S15_EUlS14_E_NS1_11comp_targetILNS1_3genE10ELNS1_11target_archE1200ELNS1_3gpuE4ELNS1_3repE0EEENS1_30default_config_static_selectorELNS0_4arch9wavefront6targetE1EEEvT1_,comdat
.Lfunc_end2720:
	.size	_ZN7rocprim17ROCPRIM_400000_NS6detail17trampoline_kernelINS0_14default_configENS1_25partition_config_selectorILNS1_17partition_subalgoE0EiNS0_10empty_typeEbEEZZNS1_14partition_implILS5_0ELb0ES3_jN6thrust23THRUST_200600_302600_NS6detail15normal_iteratorINSA_10device_ptrIiEEEEPS6_SG_NS0_5tupleIJSF_NSA_16discard_iteratorINSA_11use_defaultEEEEEENSH_IJSG_SG_EEES6_PlJ7is_evenIiEEEE10hipError_tPvRmT3_T4_T5_T6_T7_T9_mT8_P12ihipStream_tbDpT10_ENKUlT_T0_E_clISt17integral_constantIbLb0EES19_EEDaS14_S15_EUlS14_E_NS1_11comp_targetILNS1_3genE10ELNS1_11target_archE1200ELNS1_3gpuE4ELNS1_3repE0EEENS1_30default_config_static_selectorELNS0_4arch9wavefront6targetE1EEEvT1_, .Lfunc_end2720-_ZN7rocprim17ROCPRIM_400000_NS6detail17trampoline_kernelINS0_14default_configENS1_25partition_config_selectorILNS1_17partition_subalgoE0EiNS0_10empty_typeEbEEZZNS1_14partition_implILS5_0ELb0ES3_jN6thrust23THRUST_200600_302600_NS6detail15normal_iteratorINSA_10device_ptrIiEEEEPS6_SG_NS0_5tupleIJSF_NSA_16discard_iteratorINSA_11use_defaultEEEEEENSH_IJSG_SG_EEES6_PlJ7is_evenIiEEEE10hipError_tPvRmT3_T4_T5_T6_T7_T9_mT8_P12ihipStream_tbDpT10_ENKUlT_T0_E_clISt17integral_constantIbLb0EES19_EEDaS14_S15_EUlS14_E_NS1_11comp_targetILNS1_3genE10ELNS1_11target_archE1200ELNS1_3gpuE4ELNS1_3repE0EEENS1_30default_config_static_selectorELNS0_4arch9wavefront6targetE1EEEvT1_
                                        ; -- End function
	.section	.AMDGPU.csdata,"",@progbits
; Kernel info:
; codeLenInByte = 0
; NumSgprs: 6
; NumVgprs: 0
; NumAgprs: 0
; TotalNumVgprs: 0
; ScratchSize: 0
; MemoryBound: 0
; FloatMode: 240
; IeeeMode: 1
; LDSByteSize: 0 bytes/workgroup (compile time only)
; SGPRBlocks: 0
; VGPRBlocks: 0
; NumSGPRsForWavesPerEU: 6
; NumVGPRsForWavesPerEU: 1
; AccumOffset: 4
; Occupancy: 8
; WaveLimiterHint : 0
; COMPUTE_PGM_RSRC2:SCRATCH_EN: 0
; COMPUTE_PGM_RSRC2:USER_SGPR: 2
; COMPUTE_PGM_RSRC2:TRAP_HANDLER: 0
; COMPUTE_PGM_RSRC2:TGID_X_EN: 1
; COMPUTE_PGM_RSRC2:TGID_Y_EN: 0
; COMPUTE_PGM_RSRC2:TGID_Z_EN: 0
; COMPUTE_PGM_RSRC2:TIDIG_COMP_CNT: 0
; COMPUTE_PGM_RSRC3_GFX90A:ACCUM_OFFSET: 0
; COMPUTE_PGM_RSRC3_GFX90A:TG_SPLIT: 0
	.section	.text._ZN7rocprim17ROCPRIM_400000_NS6detail17trampoline_kernelINS0_14default_configENS1_25partition_config_selectorILNS1_17partition_subalgoE0EiNS0_10empty_typeEbEEZZNS1_14partition_implILS5_0ELb0ES3_jN6thrust23THRUST_200600_302600_NS6detail15normal_iteratorINSA_10device_ptrIiEEEEPS6_SG_NS0_5tupleIJSF_NSA_16discard_iteratorINSA_11use_defaultEEEEEENSH_IJSG_SG_EEES6_PlJ7is_evenIiEEEE10hipError_tPvRmT3_T4_T5_T6_T7_T9_mT8_P12ihipStream_tbDpT10_ENKUlT_T0_E_clISt17integral_constantIbLb0EES19_EEDaS14_S15_EUlS14_E_NS1_11comp_targetILNS1_3genE9ELNS1_11target_archE1100ELNS1_3gpuE3ELNS1_3repE0EEENS1_30default_config_static_selectorELNS0_4arch9wavefront6targetE1EEEvT1_,"axG",@progbits,_ZN7rocprim17ROCPRIM_400000_NS6detail17trampoline_kernelINS0_14default_configENS1_25partition_config_selectorILNS1_17partition_subalgoE0EiNS0_10empty_typeEbEEZZNS1_14partition_implILS5_0ELb0ES3_jN6thrust23THRUST_200600_302600_NS6detail15normal_iteratorINSA_10device_ptrIiEEEEPS6_SG_NS0_5tupleIJSF_NSA_16discard_iteratorINSA_11use_defaultEEEEEENSH_IJSG_SG_EEES6_PlJ7is_evenIiEEEE10hipError_tPvRmT3_T4_T5_T6_T7_T9_mT8_P12ihipStream_tbDpT10_ENKUlT_T0_E_clISt17integral_constantIbLb0EES19_EEDaS14_S15_EUlS14_E_NS1_11comp_targetILNS1_3genE9ELNS1_11target_archE1100ELNS1_3gpuE3ELNS1_3repE0EEENS1_30default_config_static_selectorELNS0_4arch9wavefront6targetE1EEEvT1_,comdat
	.protected	_ZN7rocprim17ROCPRIM_400000_NS6detail17trampoline_kernelINS0_14default_configENS1_25partition_config_selectorILNS1_17partition_subalgoE0EiNS0_10empty_typeEbEEZZNS1_14partition_implILS5_0ELb0ES3_jN6thrust23THRUST_200600_302600_NS6detail15normal_iteratorINSA_10device_ptrIiEEEEPS6_SG_NS0_5tupleIJSF_NSA_16discard_iteratorINSA_11use_defaultEEEEEENSH_IJSG_SG_EEES6_PlJ7is_evenIiEEEE10hipError_tPvRmT3_T4_T5_T6_T7_T9_mT8_P12ihipStream_tbDpT10_ENKUlT_T0_E_clISt17integral_constantIbLb0EES19_EEDaS14_S15_EUlS14_E_NS1_11comp_targetILNS1_3genE9ELNS1_11target_archE1100ELNS1_3gpuE3ELNS1_3repE0EEENS1_30default_config_static_selectorELNS0_4arch9wavefront6targetE1EEEvT1_ ; -- Begin function _ZN7rocprim17ROCPRIM_400000_NS6detail17trampoline_kernelINS0_14default_configENS1_25partition_config_selectorILNS1_17partition_subalgoE0EiNS0_10empty_typeEbEEZZNS1_14partition_implILS5_0ELb0ES3_jN6thrust23THRUST_200600_302600_NS6detail15normal_iteratorINSA_10device_ptrIiEEEEPS6_SG_NS0_5tupleIJSF_NSA_16discard_iteratorINSA_11use_defaultEEEEEENSH_IJSG_SG_EEES6_PlJ7is_evenIiEEEE10hipError_tPvRmT3_T4_T5_T6_T7_T9_mT8_P12ihipStream_tbDpT10_ENKUlT_T0_E_clISt17integral_constantIbLb0EES19_EEDaS14_S15_EUlS14_E_NS1_11comp_targetILNS1_3genE9ELNS1_11target_archE1100ELNS1_3gpuE3ELNS1_3repE0EEENS1_30default_config_static_selectorELNS0_4arch9wavefront6targetE1EEEvT1_
	.globl	_ZN7rocprim17ROCPRIM_400000_NS6detail17trampoline_kernelINS0_14default_configENS1_25partition_config_selectorILNS1_17partition_subalgoE0EiNS0_10empty_typeEbEEZZNS1_14partition_implILS5_0ELb0ES3_jN6thrust23THRUST_200600_302600_NS6detail15normal_iteratorINSA_10device_ptrIiEEEEPS6_SG_NS0_5tupleIJSF_NSA_16discard_iteratorINSA_11use_defaultEEEEEENSH_IJSG_SG_EEES6_PlJ7is_evenIiEEEE10hipError_tPvRmT3_T4_T5_T6_T7_T9_mT8_P12ihipStream_tbDpT10_ENKUlT_T0_E_clISt17integral_constantIbLb0EES19_EEDaS14_S15_EUlS14_E_NS1_11comp_targetILNS1_3genE9ELNS1_11target_archE1100ELNS1_3gpuE3ELNS1_3repE0EEENS1_30default_config_static_selectorELNS0_4arch9wavefront6targetE1EEEvT1_
	.p2align	8
	.type	_ZN7rocprim17ROCPRIM_400000_NS6detail17trampoline_kernelINS0_14default_configENS1_25partition_config_selectorILNS1_17partition_subalgoE0EiNS0_10empty_typeEbEEZZNS1_14partition_implILS5_0ELb0ES3_jN6thrust23THRUST_200600_302600_NS6detail15normal_iteratorINSA_10device_ptrIiEEEEPS6_SG_NS0_5tupleIJSF_NSA_16discard_iteratorINSA_11use_defaultEEEEEENSH_IJSG_SG_EEES6_PlJ7is_evenIiEEEE10hipError_tPvRmT3_T4_T5_T6_T7_T9_mT8_P12ihipStream_tbDpT10_ENKUlT_T0_E_clISt17integral_constantIbLb0EES19_EEDaS14_S15_EUlS14_E_NS1_11comp_targetILNS1_3genE9ELNS1_11target_archE1100ELNS1_3gpuE3ELNS1_3repE0EEENS1_30default_config_static_selectorELNS0_4arch9wavefront6targetE1EEEvT1_,@function
_ZN7rocprim17ROCPRIM_400000_NS6detail17trampoline_kernelINS0_14default_configENS1_25partition_config_selectorILNS1_17partition_subalgoE0EiNS0_10empty_typeEbEEZZNS1_14partition_implILS5_0ELb0ES3_jN6thrust23THRUST_200600_302600_NS6detail15normal_iteratorINSA_10device_ptrIiEEEEPS6_SG_NS0_5tupleIJSF_NSA_16discard_iteratorINSA_11use_defaultEEEEEENSH_IJSG_SG_EEES6_PlJ7is_evenIiEEEE10hipError_tPvRmT3_T4_T5_T6_T7_T9_mT8_P12ihipStream_tbDpT10_ENKUlT_T0_E_clISt17integral_constantIbLb0EES19_EEDaS14_S15_EUlS14_E_NS1_11comp_targetILNS1_3genE9ELNS1_11target_archE1100ELNS1_3gpuE3ELNS1_3repE0EEENS1_30default_config_static_selectorELNS0_4arch9wavefront6targetE1EEEvT1_: ; @_ZN7rocprim17ROCPRIM_400000_NS6detail17trampoline_kernelINS0_14default_configENS1_25partition_config_selectorILNS1_17partition_subalgoE0EiNS0_10empty_typeEbEEZZNS1_14partition_implILS5_0ELb0ES3_jN6thrust23THRUST_200600_302600_NS6detail15normal_iteratorINSA_10device_ptrIiEEEEPS6_SG_NS0_5tupleIJSF_NSA_16discard_iteratorINSA_11use_defaultEEEEEENSH_IJSG_SG_EEES6_PlJ7is_evenIiEEEE10hipError_tPvRmT3_T4_T5_T6_T7_T9_mT8_P12ihipStream_tbDpT10_ENKUlT_T0_E_clISt17integral_constantIbLb0EES19_EEDaS14_S15_EUlS14_E_NS1_11comp_targetILNS1_3genE9ELNS1_11target_archE1100ELNS1_3gpuE3ELNS1_3repE0EEENS1_30default_config_static_selectorELNS0_4arch9wavefront6targetE1EEEvT1_
; %bb.0:
	.section	.rodata,"a",@progbits
	.p2align	6, 0x0
	.amdhsa_kernel _ZN7rocprim17ROCPRIM_400000_NS6detail17trampoline_kernelINS0_14default_configENS1_25partition_config_selectorILNS1_17partition_subalgoE0EiNS0_10empty_typeEbEEZZNS1_14partition_implILS5_0ELb0ES3_jN6thrust23THRUST_200600_302600_NS6detail15normal_iteratorINSA_10device_ptrIiEEEEPS6_SG_NS0_5tupleIJSF_NSA_16discard_iteratorINSA_11use_defaultEEEEEENSH_IJSG_SG_EEES6_PlJ7is_evenIiEEEE10hipError_tPvRmT3_T4_T5_T6_T7_T9_mT8_P12ihipStream_tbDpT10_ENKUlT_T0_E_clISt17integral_constantIbLb0EES19_EEDaS14_S15_EUlS14_E_NS1_11comp_targetILNS1_3genE9ELNS1_11target_archE1100ELNS1_3gpuE3ELNS1_3repE0EEENS1_30default_config_static_selectorELNS0_4arch9wavefront6targetE1EEEvT1_
		.amdhsa_group_segment_fixed_size 0
		.amdhsa_private_segment_fixed_size 0
		.amdhsa_kernarg_size 128
		.amdhsa_user_sgpr_count 2
		.amdhsa_user_sgpr_dispatch_ptr 0
		.amdhsa_user_sgpr_queue_ptr 0
		.amdhsa_user_sgpr_kernarg_segment_ptr 1
		.amdhsa_user_sgpr_dispatch_id 0
		.amdhsa_user_sgpr_kernarg_preload_length 0
		.amdhsa_user_sgpr_kernarg_preload_offset 0
		.amdhsa_user_sgpr_private_segment_size 0
		.amdhsa_uses_dynamic_stack 0
		.amdhsa_enable_private_segment 0
		.amdhsa_system_sgpr_workgroup_id_x 1
		.amdhsa_system_sgpr_workgroup_id_y 0
		.amdhsa_system_sgpr_workgroup_id_z 0
		.amdhsa_system_sgpr_workgroup_info 0
		.amdhsa_system_vgpr_workitem_id 0
		.amdhsa_next_free_vgpr 1
		.amdhsa_next_free_sgpr 0
		.amdhsa_accum_offset 4
		.amdhsa_reserve_vcc 0
		.amdhsa_float_round_mode_32 0
		.amdhsa_float_round_mode_16_64 0
		.amdhsa_float_denorm_mode_32 3
		.amdhsa_float_denorm_mode_16_64 3
		.amdhsa_dx10_clamp 1
		.amdhsa_ieee_mode 1
		.amdhsa_fp16_overflow 0
		.amdhsa_tg_split 0
		.amdhsa_exception_fp_ieee_invalid_op 0
		.amdhsa_exception_fp_denorm_src 0
		.amdhsa_exception_fp_ieee_div_zero 0
		.amdhsa_exception_fp_ieee_overflow 0
		.amdhsa_exception_fp_ieee_underflow 0
		.amdhsa_exception_fp_ieee_inexact 0
		.amdhsa_exception_int_div_zero 0
	.end_amdhsa_kernel
	.section	.text._ZN7rocprim17ROCPRIM_400000_NS6detail17trampoline_kernelINS0_14default_configENS1_25partition_config_selectorILNS1_17partition_subalgoE0EiNS0_10empty_typeEbEEZZNS1_14partition_implILS5_0ELb0ES3_jN6thrust23THRUST_200600_302600_NS6detail15normal_iteratorINSA_10device_ptrIiEEEEPS6_SG_NS0_5tupleIJSF_NSA_16discard_iteratorINSA_11use_defaultEEEEEENSH_IJSG_SG_EEES6_PlJ7is_evenIiEEEE10hipError_tPvRmT3_T4_T5_T6_T7_T9_mT8_P12ihipStream_tbDpT10_ENKUlT_T0_E_clISt17integral_constantIbLb0EES19_EEDaS14_S15_EUlS14_E_NS1_11comp_targetILNS1_3genE9ELNS1_11target_archE1100ELNS1_3gpuE3ELNS1_3repE0EEENS1_30default_config_static_selectorELNS0_4arch9wavefront6targetE1EEEvT1_,"axG",@progbits,_ZN7rocprim17ROCPRIM_400000_NS6detail17trampoline_kernelINS0_14default_configENS1_25partition_config_selectorILNS1_17partition_subalgoE0EiNS0_10empty_typeEbEEZZNS1_14partition_implILS5_0ELb0ES3_jN6thrust23THRUST_200600_302600_NS6detail15normal_iteratorINSA_10device_ptrIiEEEEPS6_SG_NS0_5tupleIJSF_NSA_16discard_iteratorINSA_11use_defaultEEEEEENSH_IJSG_SG_EEES6_PlJ7is_evenIiEEEE10hipError_tPvRmT3_T4_T5_T6_T7_T9_mT8_P12ihipStream_tbDpT10_ENKUlT_T0_E_clISt17integral_constantIbLb0EES19_EEDaS14_S15_EUlS14_E_NS1_11comp_targetILNS1_3genE9ELNS1_11target_archE1100ELNS1_3gpuE3ELNS1_3repE0EEENS1_30default_config_static_selectorELNS0_4arch9wavefront6targetE1EEEvT1_,comdat
.Lfunc_end2721:
	.size	_ZN7rocprim17ROCPRIM_400000_NS6detail17trampoline_kernelINS0_14default_configENS1_25partition_config_selectorILNS1_17partition_subalgoE0EiNS0_10empty_typeEbEEZZNS1_14partition_implILS5_0ELb0ES3_jN6thrust23THRUST_200600_302600_NS6detail15normal_iteratorINSA_10device_ptrIiEEEEPS6_SG_NS0_5tupleIJSF_NSA_16discard_iteratorINSA_11use_defaultEEEEEENSH_IJSG_SG_EEES6_PlJ7is_evenIiEEEE10hipError_tPvRmT3_T4_T5_T6_T7_T9_mT8_P12ihipStream_tbDpT10_ENKUlT_T0_E_clISt17integral_constantIbLb0EES19_EEDaS14_S15_EUlS14_E_NS1_11comp_targetILNS1_3genE9ELNS1_11target_archE1100ELNS1_3gpuE3ELNS1_3repE0EEENS1_30default_config_static_selectorELNS0_4arch9wavefront6targetE1EEEvT1_, .Lfunc_end2721-_ZN7rocprim17ROCPRIM_400000_NS6detail17trampoline_kernelINS0_14default_configENS1_25partition_config_selectorILNS1_17partition_subalgoE0EiNS0_10empty_typeEbEEZZNS1_14partition_implILS5_0ELb0ES3_jN6thrust23THRUST_200600_302600_NS6detail15normal_iteratorINSA_10device_ptrIiEEEEPS6_SG_NS0_5tupleIJSF_NSA_16discard_iteratorINSA_11use_defaultEEEEEENSH_IJSG_SG_EEES6_PlJ7is_evenIiEEEE10hipError_tPvRmT3_T4_T5_T6_T7_T9_mT8_P12ihipStream_tbDpT10_ENKUlT_T0_E_clISt17integral_constantIbLb0EES19_EEDaS14_S15_EUlS14_E_NS1_11comp_targetILNS1_3genE9ELNS1_11target_archE1100ELNS1_3gpuE3ELNS1_3repE0EEENS1_30default_config_static_selectorELNS0_4arch9wavefront6targetE1EEEvT1_
                                        ; -- End function
	.section	.AMDGPU.csdata,"",@progbits
; Kernel info:
; codeLenInByte = 0
; NumSgprs: 6
; NumVgprs: 0
; NumAgprs: 0
; TotalNumVgprs: 0
; ScratchSize: 0
; MemoryBound: 0
; FloatMode: 240
; IeeeMode: 1
; LDSByteSize: 0 bytes/workgroup (compile time only)
; SGPRBlocks: 0
; VGPRBlocks: 0
; NumSGPRsForWavesPerEU: 6
; NumVGPRsForWavesPerEU: 1
; AccumOffset: 4
; Occupancy: 8
; WaveLimiterHint : 0
; COMPUTE_PGM_RSRC2:SCRATCH_EN: 0
; COMPUTE_PGM_RSRC2:USER_SGPR: 2
; COMPUTE_PGM_RSRC2:TRAP_HANDLER: 0
; COMPUTE_PGM_RSRC2:TGID_X_EN: 1
; COMPUTE_PGM_RSRC2:TGID_Y_EN: 0
; COMPUTE_PGM_RSRC2:TGID_Z_EN: 0
; COMPUTE_PGM_RSRC2:TIDIG_COMP_CNT: 0
; COMPUTE_PGM_RSRC3_GFX90A:ACCUM_OFFSET: 0
; COMPUTE_PGM_RSRC3_GFX90A:TG_SPLIT: 0
	.section	.text._ZN7rocprim17ROCPRIM_400000_NS6detail17trampoline_kernelINS0_14default_configENS1_25partition_config_selectorILNS1_17partition_subalgoE0EiNS0_10empty_typeEbEEZZNS1_14partition_implILS5_0ELb0ES3_jN6thrust23THRUST_200600_302600_NS6detail15normal_iteratorINSA_10device_ptrIiEEEEPS6_SG_NS0_5tupleIJSF_NSA_16discard_iteratorINSA_11use_defaultEEEEEENSH_IJSG_SG_EEES6_PlJ7is_evenIiEEEE10hipError_tPvRmT3_T4_T5_T6_T7_T9_mT8_P12ihipStream_tbDpT10_ENKUlT_T0_E_clISt17integral_constantIbLb0EES19_EEDaS14_S15_EUlS14_E_NS1_11comp_targetILNS1_3genE8ELNS1_11target_archE1030ELNS1_3gpuE2ELNS1_3repE0EEENS1_30default_config_static_selectorELNS0_4arch9wavefront6targetE1EEEvT1_,"axG",@progbits,_ZN7rocprim17ROCPRIM_400000_NS6detail17trampoline_kernelINS0_14default_configENS1_25partition_config_selectorILNS1_17partition_subalgoE0EiNS0_10empty_typeEbEEZZNS1_14partition_implILS5_0ELb0ES3_jN6thrust23THRUST_200600_302600_NS6detail15normal_iteratorINSA_10device_ptrIiEEEEPS6_SG_NS0_5tupleIJSF_NSA_16discard_iteratorINSA_11use_defaultEEEEEENSH_IJSG_SG_EEES6_PlJ7is_evenIiEEEE10hipError_tPvRmT3_T4_T5_T6_T7_T9_mT8_P12ihipStream_tbDpT10_ENKUlT_T0_E_clISt17integral_constantIbLb0EES19_EEDaS14_S15_EUlS14_E_NS1_11comp_targetILNS1_3genE8ELNS1_11target_archE1030ELNS1_3gpuE2ELNS1_3repE0EEENS1_30default_config_static_selectorELNS0_4arch9wavefront6targetE1EEEvT1_,comdat
	.protected	_ZN7rocprim17ROCPRIM_400000_NS6detail17trampoline_kernelINS0_14default_configENS1_25partition_config_selectorILNS1_17partition_subalgoE0EiNS0_10empty_typeEbEEZZNS1_14partition_implILS5_0ELb0ES3_jN6thrust23THRUST_200600_302600_NS6detail15normal_iteratorINSA_10device_ptrIiEEEEPS6_SG_NS0_5tupleIJSF_NSA_16discard_iteratorINSA_11use_defaultEEEEEENSH_IJSG_SG_EEES6_PlJ7is_evenIiEEEE10hipError_tPvRmT3_T4_T5_T6_T7_T9_mT8_P12ihipStream_tbDpT10_ENKUlT_T0_E_clISt17integral_constantIbLb0EES19_EEDaS14_S15_EUlS14_E_NS1_11comp_targetILNS1_3genE8ELNS1_11target_archE1030ELNS1_3gpuE2ELNS1_3repE0EEENS1_30default_config_static_selectorELNS0_4arch9wavefront6targetE1EEEvT1_ ; -- Begin function _ZN7rocprim17ROCPRIM_400000_NS6detail17trampoline_kernelINS0_14default_configENS1_25partition_config_selectorILNS1_17partition_subalgoE0EiNS0_10empty_typeEbEEZZNS1_14partition_implILS5_0ELb0ES3_jN6thrust23THRUST_200600_302600_NS6detail15normal_iteratorINSA_10device_ptrIiEEEEPS6_SG_NS0_5tupleIJSF_NSA_16discard_iteratorINSA_11use_defaultEEEEEENSH_IJSG_SG_EEES6_PlJ7is_evenIiEEEE10hipError_tPvRmT3_T4_T5_T6_T7_T9_mT8_P12ihipStream_tbDpT10_ENKUlT_T0_E_clISt17integral_constantIbLb0EES19_EEDaS14_S15_EUlS14_E_NS1_11comp_targetILNS1_3genE8ELNS1_11target_archE1030ELNS1_3gpuE2ELNS1_3repE0EEENS1_30default_config_static_selectorELNS0_4arch9wavefront6targetE1EEEvT1_
	.globl	_ZN7rocprim17ROCPRIM_400000_NS6detail17trampoline_kernelINS0_14default_configENS1_25partition_config_selectorILNS1_17partition_subalgoE0EiNS0_10empty_typeEbEEZZNS1_14partition_implILS5_0ELb0ES3_jN6thrust23THRUST_200600_302600_NS6detail15normal_iteratorINSA_10device_ptrIiEEEEPS6_SG_NS0_5tupleIJSF_NSA_16discard_iteratorINSA_11use_defaultEEEEEENSH_IJSG_SG_EEES6_PlJ7is_evenIiEEEE10hipError_tPvRmT3_T4_T5_T6_T7_T9_mT8_P12ihipStream_tbDpT10_ENKUlT_T0_E_clISt17integral_constantIbLb0EES19_EEDaS14_S15_EUlS14_E_NS1_11comp_targetILNS1_3genE8ELNS1_11target_archE1030ELNS1_3gpuE2ELNS1_3repE0EEENS1_30default_config_static_selectorELNS0_4arch9wavefront6targetE1EEEvT1_
	.p2align	8
	.type	_ZN7rocprim17ROCPRIM_400000_NS6detail17trampoline_kernelINS0_14default_configENS1_25partition_config_selectorILNS1_17partition_subalgoE0EiNS0_10empty_typeEbEEZZNS1_14partition_implILS5_0ELb0ES3_jN6thrust23THRUST_200600_302600_NS6detail15normal_iteratorINSA_10device_ptrIiEEEEPS6_SG_NS0_5tupleIJSF_NSA_16discard_iteratorINSA_11use_defaultEEEEEENSH_IJSG_SG_EEES6_PlJ7is_evenIiEEEE10hipError_tPvRmT3_T4_T5_T6_T7_T9_mT8_P12ihipStream_tbDpT10_ENKUlT_T0_E_clISt17integral_constantIbLb0EES19_EEDaS14_S15_EUlS14_E_NS1_11comp_targetILNS1_3genE8ELNS1_11target_archE1030ELNS1_3gpuE2ELNS1_3repE0EEENS1_30default_config_static_selectorELNS0_4arch9wavefront6targetE1EEEvT1_,@function
_ZN7rocprim17ROCPRIM_400000_NS6detail17trampoline_kernelINS0_14default_configENS1_25partition_config_selectorILNS1_17partition_subalgoE0EiNS0_10empty_typeEbEEZZNS1_14partition_implILS5_0ELb0ES3_jN6thrust23THRUST_200600_302600_NS6detail15normal_iteratorINSA_10device_ptrIiEEEEPS6_SG_NS0_5tupleIJSF_NSA_16discard_iteratorINSA_11use_defaultEEEEEENSH_IJSG_SG_EEES6_PlJ7is_evenIiEEEE10hipError_tPvRmT3_T4_T5_T6_T7_T9_mT8_P12ihipStream_tbDpT10_ENKUlT_T0_E_clISt17integral_constantIbLb0EES19_EEDaS14_S15_EUlS14_E_NS1_11comp_targetILNS1_3genE8ELNS1_11target_archE1030ELNS1_3gpuE2ELNS1_3repE0EEENS1_30default_config_static_selectorELNS0_4arch9wavefront6targetE1EEEvT1_: ; @_ZN7rocprim17ROCPRIM_400000_NS6detail17trampoline_kernelINS0_14default_configENS1_25partition_config_selectorILNS1_17partition_subalgoE0EiNS0_10empty_typeEbEEZZNS1_14partition_implILS5_0ELb0ES3_jN6thrust23THRUST_200600_302600_NS6detail15normal_iteratorINSA_10device_ptrIiEEEEPS6_SG_NS0_5tupleIJSF_NSA_16discard_iteratorINSA_11use_defaultEEEEEENSH_IJSG_SG_EEES6_PlJ7is_evenIiEEEE10hipError_tPvRmT3_T4_T5_T6_T7_T9_mT8_P12ihipStream_tbDpT10_ENKUlT_T0_E_clISt17integral_constantIbLb0EES19_EEDaS14_S15_EUlS14_E_NS1_11comp_targetILNS1_3genE8ELNS1_11target_archE1030ELNS1_3gpuE2ELNS1_3repE0EEENS1_30default_config_static_selectorELNS0_4arch9wavefront6targetE1EEEvT1_
; %bb.0:
	.section	.rodata,"a",@progbits
	.p2align	6, 0x0
	.amdhsa_kernel _ZN7rocprim17ROCPRIM_400000_NS6detail17trampoline_kernelINS0_14default_configENS1_25partition_config_selectorILNS1_17partition_subalgoE0EiNS0_10empty_typeEbEEZZNS1_14partition_implILS5_0ELb0ES3_jN6thrust23THRUST_200600_302600_NS6detail15normal_iteratorINSA_10device_ptrIiEEEEPS6_SG_NS0_5tupleIJSF_NSA_16discard_iteratorINSA_11use_defaultEEEEEENSH_IJSG_SG_EEES6_PlJ7is_evenIiEEEE10hipError_tPvRmT3_T4_T5_T6_T7_T9_mT8_P12ihipStream_tbDpT10_ENKUlT_T0_E_clISt17integral_constantIbLb0EES19_EEDaS14_S15_EUlS14_E_NS1_11comp_targetILNS1_3genE8ELNS1_11target_archE1030ELNS1_3gpuE2ELNS1_3repE0EEENS1_30default_config_static_selectorELNS0_4arch9wavefront6targetE1EEEvT1_
		.amdhsa_group_segment_fixed_size 0
		.amdhsa_private_segment_fixed_size 0
		.amdhsa_kernarg_size 128
		.amdhsa_user_sgpr_count 2
		.amdhsa_user_sgpr_dispatch_ptr 0
		.amdhsa_user_sgpr_queue_ptr 0
		.amdhsa_user_sgpr_kernarg_segment_ptr 1
		.amdhsa_user_sgpr_dispatch_id 0
		.amdhsa_user_sgpr_kernarg_preload_length 0
		.amdhsa_user_sgpr_kernarg_preload_offset 0
		.amdhsa_user_sgpr_private_segment_size 0
		.amdhsa_uses_dynamic_stack 0
		.amdhsa_enable_private_segment 0
		.amdhsa_system_sgpr_workgroup_id_x 1
		.amdhsa_system_sgpr_workgroup_id_y 0
		.amdhsa_system_sgpr_workgroup_id_z 0
		.amdhsa_system_sgpr_workgroup_info 0
		.amdhsa_system_vgpr_workitem_id 0
		.amdhsa_next_free_vgpr 1
		.amdhsa_next_free_sgpr 0
		.amdhsa_accum_offset 4
		.amdhsa_reserve_vcc 0
		.amdhsa_float_round_mode_32 0
		.amdhsa_float_round_mode_16_64 0
		.amdhsa_float_denorm_mode_32 3
		.amdhsa_float_denorm_mode_16_64 3
		.amdhsa_dx10_clamp 1
		.amdhsa_ieee_mode 1
		.amdhsa_fp16_overflow 0
		.amdhsa_tg_split 0
		.amdhsa_exception_fp_ieee_invalid_op 0
		.amdhsa_exception_fp_denorm_src 0
		.amdhsa_exception_fp_ieee_div_zero 0
		.amdhsa_exception_fp_ieee_overflow 0
		.amdhsa_exception_fp_ieee_underflow 0
		.amdhsa_exception_fp_ieee_inexact 0
		.amdhsa_exception_int_div_zero 0
	.end_amdhsa_kernel
	.section	.text._ZN7rocprim17ROCPRIM_400000_NS6detail17trampoline_kernelINS0_14default_configENS1_25partition_config_selectorILNS1_17partition_subalgoE0EiNS0_10empty_typeEbEEZZNS1_14partition_implILS5_0ELb0ES3_jN6thrust23THRUST_200600_302600_NS6detail15normal_iteratorINSA_10device_ptrIiEEEEPS6_SG_NS0_5tupleIJSF_NSA_16discard_iteratorINSA_11use_defaultEEEEEENSH_IJSG_SG_EEES6_PlJ7is_evenIiEEEE10hipError_tPvRmT3_T4_T5_T6_T7_T9_mT8_P12ihipStream_tbDpT10_ENKUlT_T0_E_clISt17integral_constantIbLb0EES19_EEDaS14_S15_EUlS14_E_NS1_11comp_targetILNS1_3genE8ELNS1_11target_archE1030ELNS1_3gpuE2ELNS1_3repE0EEENS1_30default_config_static_selectorELNS0_4arch9wavefront6targetE1EEEvT1_,"axG",@progbits,_ZN7rocprim17ROCPRIM_400000_NS6detail17trampoline_kernelINS0_14default_configENS1_25partition_config_selectorILNS1_17partition_subalgoE0EiNS0_10empty_typeEbEEZZNS1_14partition_implILS5_0ELb0ES3_jN6thrust23THRUST_200600_302600_NS6detail15normal_iteratorINSA_10device_ptrIiEEEEPS6_SG_NS0_5tupleIJSF_NSA_16discard_iteratorINSA_11use_defaultEEEEEENSH_IJSG_SG_EEES6_PlJ7is_evenIiEEEE10hipError_tPvRmT3_T4_T5_T6_T7_T9_mT8_P12ihipStream_tbDpT10_ENKUlT_T0_E_clISt17integral_constantIbLb0EES19_EEDaS14_S15_EUlS14_E_NS1_11comp_targetILNS1_3genE8ELNS1_11target_archE1030ELNS1_3gpuE2ELNS1_3repE0EEENS1_30default_config_static_selectorELNS0_4arch9wavefront6targetE1EEEvT1_,comdat
.Lfunc_end2722:
	.size	_ZN7rocprim17ROCPRIM_400000_NS6detail17trampoline_kernelINS0_14default_configENS1_25partition_config_selectorILNS1_17partition_subalgoE0EiNS0_10empty_typeEbEEZZNS1_14partition_implILS5_0ELb0ES3_jN6thrust23THRUST_200600_302600_NS6detail15normal_iteratorINSA_10device_ptrIiEEEEPS6_SG_NS0_5tupleIJSF_NSA_16discard_iteratorINSA_11use_defaultEEEEEENSH_IJSG_SG_EEES6_PlJ7is_evenIiEEEE10hipError_tPvRmT3_T4_T5_T6_T7_T9_mT8_P12ihipStream_tbDpT10_ENKUlT_T0_E_clISt17integral_constantIbLb0EES19_EEDaS14_S15_EUlS14_E_NS1_11comp_targetILNS1_3genE8ELNS1_11target_archE1030ELNS1_3gpuE2ELNS1_3repE0EEENS1_30default_config_static_selectorELNS0_4arch9wavefront6targetE1EEEvT1_, .Lfunc_end2722-_ZN7rocprim17ROCPRIM_400000_NS6detail17trampoline_kernelINS0_14default_configENS1_25partition_config_selectorILNS1_17partition_subalgoE0EiNS0_10empty_typeEbEEZZNS1_14partition_implILS5_0ELb0ES3_jN6thrust23THRUST_200600_302600_NS6detail15normal_iteratorINSA_10device_ptrIiEEEEPS6_SG_NS0_5tupleIJSF_NSA_16discard_iteratorINSA_11use_defaultEEEEEENSH_IJSG_SG_EEES6_PlJ7is_evenIiEEEE10hipError_tPvRmT3_T4_T5_T6_T7_T9_mT8_P12ihipStream_tbDpT10_ENKUlT_T0_E_clISt17integral_constantIbLb0EES19_EEDaS14_S15_EUlS14_E_NS1_11comp_targetILNS1_3genE8ELNS1_11target_archE1030ELNS1_3gpuE2ELNS1_3repE0EEENS1_30default_config_static_selectorELNS0_4arch9wavefront6targetE1EEEvT1_
                                        ; -- End function
	.section	.AMDGPU.csdata,"",@progbits
; Kernel info:
; codeLenInByte = 0
; NumSgprs: 6
; NumVgprs: 0
; NumAgprs: 0
; TotalNumVgprs: 0
; ScratchSize: 0
; MemoryBound: 0
; FloatMode: 240
; IeeeMode: 1
; LDSByteSize: 0 bytes/workgroup (compile time only)
; SGPRBlocks: 0
; VGPRBlocks: 0
; NumSGPRsForWavesPerEU: 6
; NumVGPRsForWavesPerEU: 1
; AccumOffset: 4
; Occupancy: 8
; WaveLimiterHint : 0
; COMPUTE_PGM_RSRC2:SCRATCH_EN: 0
; COMPUTE_PGM_RSRC2:USER_SGPR: 2
; COMPUTE_PGM_RSRC2:TRAP_HANDLER: 0
; COMPUTE_PGM_RSRC2:TGID_X_EN: 1
; COMPUTE_PGM_RSRC2:TGID_Y_EN: 0
; COMPUTE_PGM_RSRC2:TGID_Z_EN: 0
; COMPUTE_PGM_RSRC2:TIDIG_COMP_CNT: 0
; COMPUTE_PGM_RSRC3_GFX90A:ACCUM_OFFSET: 0
; COMPUTE_PGM_RSRC3_GFX90A:TG_SPLIT: 0
	.section	.text._ZN7rocprim17ROCPRIM_400000_NS6detail17trampoline_kernelINS0_14default_configENS1_25partition_config_selectorILNS1_17partition_subalgoE0EiNS0_10empty_typeEbEEZZNS1_14partition_implILS5_0ELb0ES3_jN6thrust23THRUST_200600_302600_NS6detail15normal_iteratorINSA_10device_ptrIiEEEEPS6_SG_NS0_5tupleIJSF_NSA_16discard_iteratorINSA_11use_defaultEEEEEENSH_IJSG_SG_EEES6_PlJ7is_evenIiEEEE10hipError_tPvRmT3_T4_T5_T6_T7_T9_mT8_P12ihipStream_tbDpT10_ENKUlT_T0_E_clISt17integral_constantIbLb1EES19_EEDaS14_S15_EUlS14_E_NS1_11comp_targetILNS1_3genE0ELNS1_11target_archE4294967295ELNS1_3gpuE0ELNS1_3repE0EEENS1_30default_config_static_selectorELNS0_4arch9wavefront6targetE1EEEvT1_,"axG",@progbits,_ZN7rocprim17ROCPRIM_400000_NS6detail17trampoline_kernelINS0_14default_configENS1_25partition_config_selectorILNS1_17partition_subalgoE0EiNS0_10empty_typeEbEEZZNS1_14partition_implILS5_0ELb0ES3_jN6thrust23THRUST_200600_302600_NS6detail15normal_iteratorINSA_10device_ptrIiEEEEPS6_SG_NS0_5tupleIJSF_NSA_16discard_iteratorINSA_11use_defaultEEEEEENSH_IJSG_SG_EEES6_PlJ7is_evenIiEEEE10hipError_tPvRmT3_T4_T5_T6_T7_T9_mT8_P12ihipStream_tbDpT10_ENKUlT_T0_E_clISt17integral_constantIbLb1EES19_EEDaS14_S15_EUlS14_E_NS1_11comp_targetILNS1_3genE0ELNS1_11target_archE4294967295ELNS1_3gpuE0ELNS1_3repE0EEENS1_30default_config_static_selectorELNS0_4arch9wavefront6targetE1EEEvT1_,comdat
	.protected	_ZN7rocprim17ROCPRIM_400000_NS6detail17trampoline_kernelINS0_14default_configENS1_25partition_config_selectorILNS1_17partition_subalgoE0EiNS0_10empty_typeEbEEZZNS1_14partition_implILS5_0ELb0ES3_jN6thrust23THRUST_200600_302600_NS6detail15normal_iteratorINSA_10device_ptrIiEEEEPS6_SG_NS0_5tupleIJSF_NSA_16discard_iteratorINSA_11use_defaultEEEEEENSH_IJSG_SG_EEES6_PlJ7is_evenIiEEEE10hipError_tPvRmT3_T4_T5_T6_T7_T9_mT8_P12ihipStream_tbDpT10_ENKUlT_T0_E_clISt17integral_constantIbLb1EES19_EEDaS14_S15_EUlS14_E_NS1_11comp_targetILNS1_3genE0ELNS1_11target_archE4294967295ELNS1_3gpuE0ELNS1_3repE0EEENS1_30default_config_static_selectorELNS0_4arch9wavefront6targetE1EEEvT1_ ; -- Begin function _ZN7rocprim17ROCPRIM_400000_NS6detail17trampoline_kernelINS0_14default_configENS1_25partition_config_selectorILNS1_17partition_subalgoE0EiNS0_10empty_typeEbEEZZNS1_14partition_implILS5_0ELb0ES3_jN6thrust23THRUST_200600_302600_NS6detail15normal_iteratorINSA_10device_ptrIiEEEEPS6_SG_NS0_5tupleIJSF_NSA_16discard_iteratorINSA_11use_defaultEEEEEENSH_IJSG_SG_EEES6_PlJ7is_evenIiEEEE10hipError_tPvRmT3_T4_T5_T6_T7_T9_mT8_P12ihipStream_tbDpT10_ENKUlT_T0_E_clISt17integral_constantIbLb1EES19_EEDaS14_S15_EUlS14_E_NS1_11comp_targetILNS1_3genE0ELNS1_11target_archE4294967295ELNS1_3gpuE0ELNS1_3repE0EEENS1_30default_config_static_selectorELNS0_4arch9wavefront6targetE1EEEvT1_
	.globl	_ZN7rocprim17ROCPRIM_400000_NS6detail17trampoline_kernelINS0_14default_configENS1_25partition_config_selectorILNS1_17partition_subalgoE0EiNS0_10empty_typeEbEEZZNS1_14partition_implILS5_0ELb0ES3_jN6thrust23THRUST_200600_302600_NS6detail15normal_iteratorINSA_10device_ptrIiEEEEPS6_SG_NS0_5tupleIJSF_NSA_16discard_iteratorINSA_11use_defaultEEEEEENSH_IJSG_SG_EEES6_PlJ7is_evenIiEEEE10hipError_tPvRmT3_T4_T5_T6_T7_T9_mT8_P12ihipStream_tbDpT10_ENKUlT_T0_E_clISt17integral_constantIbLb1EES19_EEDaS14_S15_EUlS14_E_NS1_11comp_targetILNS1_3genE0ELNS1_11target_archE4294967295ELNS1_3gpuE0ELNS1_3repE0EEENS1_30default_config_static_selectorELNS0_4arch9wavefront6targetE1EEEvT1_
	.p2align	8
	.type	_ZN7rocprim17ROCPRIM_400000_NS6detail17trampoline_kernelINS0_14default_configENS1_25partition_config_selectorILNS1_17partition_subalgoE0EiNS0_10empty_typeEbEEZZNS1_14partition_implILS5_0ELb0ES3_jN6thrust23THRUST_200600_302600_NS6detail15normal_iteratorINSA_10device_ptrIiEEEEPS6_SG_NS0_5tupleIJSF_NSA_16discard_iteratorINSA_11use_defaultEEEEEENSH_IJSG_SG_EEES6_PlJ7is_evenIiEEEE10hipError_tPvRmT3_T4_T5_T6_T7_T9_mT8_P12ihipStream_tbDpT10_ENKUlT_T0_E_clISt17integral_constantIbLb1EES19_EEDaS14_S15_EUlS14_E_NS1_11comp_targetILNS1_3genE0ELNS1_11target_archE4294967295ELNS1_3gpuE0ELNS1_3repE0EEENS1_30default_config_static_selectorELNS0_4arch9wavefront6targetE1EEEvT1_,@function
_ZN7rocprim17ROCPRIM_400000_NS6detail17trampoline_kernelINS0_14default_configENS1_25partition_config_selectorILNS1_17partition_subalgoE0EiNS0_10empty_typeEbEEZZNS1_14partition_implILS5_0ELb0ES3_jN6thrust23THRUST_200600_302600_NS6detail15normal_iteratorINSA_10device_ptrIiEEEEPS6_SG_NS0_5tupleIJSF_NSA_16discard_iteratorINSA_11use_defaultEEEEEENSH_IJSG_SG_EEES6_PlJ7is_evenIiEEEE10hipError_tPvRmT3_T4_T5_T6_T7_T9_mT8_P12ihipStream_tbDpT10_ENKUlT_T0_E_clISt17integral_constantIbLb1EES19_EEDaS14_S15_EUlS14_E_NS1_11comp_targetILNS1_3genE0ELNS1_11target_archE4294967295ELNS1_3gpuE0ELNS1_3repE0EEENS1_30default_config_static_selectorELNS0_4arch9wavefront6targetE1EEEvT1_: ; @_ZN7rocprim17ROCPRIM_400000_NS6detail17trampoline_kernelINS0_14default_configENS1_25partition_config_selectorILNS1_17partition_subalgoE0EiNS0_10empty_typeEbEEZZNS1_14partition_implILS5_0ELb0ES3_jN6thrust23THRUST_200600_302600_NS6detail15normal_iteratorINSA_10device_ptrIiEEEEPS6_SG_NS0_5tupleIJSF_NSA_16discard_iteratorINSA_11use_defaultEEEEEENSH_IJSG_SG_EEES6_PlJ7is_evenIiEEEE10hipError_tPvRmT3_T4_T5_T6_T7_T9_mT8_P12ihipStream_tbDpT10_ENKUlT_T0_E_clISt17integral_constantIbLb1EES19_EEDaS14_S15_EUlS14_E_NS1_11comp_targetILNS1_3genE0ELNS1_11target_archE4294967295ELNS1_3gpuE0ELNS1_3repE0EEENS1_30default_config_static_selectorELNS0_4arch9wavefront6targetE1EEEvT1_
; %bb.0:
	.section	.rodata,"a",@progbits
	.p2align	6, 0x0
	.amdhsa_kernel _ZN7rocprim17ROCPRIM_400000_NS6detail17trampoline_kernelINS0_14default_configENS1_25partition_config_selectorILNS1_17partition_subalgoE0EiNS0_10empty_typeEbEEZZNS1_14partition_implILS5_0ELb0ES3_jN6thrust23THRUST_200600_302600_NS6detail15normal_iteratorINSA_10device_ptrIiEEEEPS6_SG_NS0_5tupleIJSF_NSA_16discard_iteratorINSA_11use_defaultEEEEEENSH_IJSG_SG_EEES6_PlJ7is_evenIiEEEE10hipError_tPvRmT3_T4_T5_T6_T7_T9_mT8_P12ihipStream_tbDpT10_ENKUlT_T0_E_clISt17integral_constantIbLb1EES19_EEDaS14_S15_EUlS14_E_NS1_11comp_targetILNS1_3genE0ELNS1_11target_archE4294967295ELNS1_3gpuE0ELNS1_3repE0EEENS1_30default_config_static_selectorELNS0_4arch9wavefront6targetE1EEEvT1_
		.amdhsa_group_segment_fixed_size 0
		.amdhsa_private_segment_fixed_size 0
		.amdhsa_kernarg_size 144
		.amdhsa_user_sgpr_count 2
		.amdhsa_user_sgpr_dispatch_ptr 0
		.amdhsa_user_sgpr_queue_ptr 0
		.amdhsa_user_sgpr_kernarg_segment_ptr 1
		.amdhsa_user_sgpr_dispatch_id 0
		.amdhsa_user_sgpr_kernarg_preload_length 0
		.amdhsa_user_sgpr_kernarg_preload_offset 0
		.amdhsa_user_sgpr_private_segment_size 0
		.amdhsa_uses_dynamic_stack 0
		.amdhsa_enable_private_segment 0
		.amdhsa_system_sgpr_workgroup_id_x 1
		.amdhsa_system_sgpr_workgroup_id_y 0
		.amdhsa_system_sgpr_workgroup_id_z 0
		.amdhsa_system_sgpr_workgroup_info 0
		.amdhsa_system_vgpr_workitem_id 0
		.amdhsa_next_free_vgpr 1
		.amdhsa_next_free_sgpr 0
		.amdhsa_accum_offset 4
		.amdhsa_reserve_vcc 0
		.amdhsa_float_round_mode_32 0
		.amdhsa_float_round_mode_16_64 0
		.amdhsa_float_denorm_mode_32 3
		.amdhsa_float_denorm_mode_16_64 3
		.amdhsa_dx10_clamp 1
		.amdhsa_ieee_mode 1
		.amdhsa_fp16_overflow 0
		.amdhsa_tg_split 0
		.amdhsa_exception_fp_ieee_invalid_op 0
		.amdhsa_exception_fp_denorm_src 0
		.amdhsa_exception_fp_ieee_div_zero 0
		.amdhsa_exception_fp_ieee_overflow 0
		.amdhsa_exception_fp_ieee_underflow 0
		.amdhsa_exception_fp_ieee_inexact 0
		.amdhsa_exception_int_div_zero 0
	.end_amdhsa_kernel
	.section	.text._ZN7rocprim17ROCPRIM_400000_NS6detail17trampoline_kernelINS0_14default_configENS1_25partition_config_selectorILNS1_17partition_subalgoE0EiNS0_10empty_typeEbEEZZNS1_14partition_implILS5_0ELb0ES3_jN6thrust23THRUST_200600_302600_NS6detail15normal_iteratorINSA_10device_ptrIiEEEEPS6_SG_NS0_5tupleIJSF_NSA_16discard_iteratorINSA_11use_defaultEEEEEENSH_IJSG_SG_EEES6_PlJ7is_evenIiEEEE10hipError_tPvRmT3_T4_T5_T6_T7_T9_mT8_P12ihipStream_tbDpT10_ENKUlT_T0_E_clISt17integral_constantIbLb1EES19_EEDaS14_S15_EUlS14_E_NS1_11comp_targetILNS1_3genE0ELNS1_11target_archE4294967295ELNS1_3gpuE0ELNS1_3repE0EEENS1_30default_config_static_selectorELNS0_4arch9wavefront6targetE1EEEvT1_,"axG",@progbits,_ZN7rocprim17ROCPRIM_400000_NS6detail17trampoline_kernelINS0_14default_configENS1_25partition_config_selectorILNS1_17partition_subalgoE0EiNS0_10empty_typeEbEEZZNS1_14partition_implILS5_0ELb0ES3_jN6thrust23THRUST_200600_302600_NS6detail15normal_iteratorINSA_10device_ptrIiEEEEPS6_SG_NS0_5tupleIJSF_NSA_16discard_iteratorINSA_11use_defaultEEEEEENSH_IJSG_SG_EEES6_PlJ7is_evenIiEEEE10hipError_tPvRmT3_T4_T5_T6_T7_T9_mT8_P12ihipStream_tbDpT10_ENKUlT_T0_E_clISt17integral_constantIbLb1EES19_EEDaS14_S15_EUlS14_E_NS1_11comp_targetILNS1_3genE0ELNS1_11target_archE4294967295ELNS1_3gpuE0ELNS1_3repE0EEENS1_30default_config_static_selectorELNS0_4arch9wavefront6targetE1EEEvT1_,comdat
.Lfunc_end2723:
	.size	_ZN7rocprim17ROCPRIM_400000_NS6detail17trampoline_kernelINS0_14default_configENS1_25partition_config_selectorILNS1_17partition_subalgoE0EiNS0_10empty_typeEbEEZZNS1_14partition_implILS5_0ELb0ES3_jN6thrust23THRUST_200600_302600_NS6detail15normal_iteratorINSA_10device_ptrIiEEEEPS6_SG_NS0_5tupleIJSF_NSA_16discard_iteratorINSA_11use_defaultEEEEEENSH_IJSG_SG_EEES6_PlJ7is_evenIiEEEE10hipError_tPvRmT3_T4_T5_T6_T7_T9_mT8_P12ihipStream_tbDpT10_ENKUlT_T0_E_clISt17integral_constantIbLb1EES19_EEDaS14_S15_EUlS14_E_NS1_11comp_targetILNS1_3genE0ELNS1_11target_archE4294967295ELNS1_3gpuE0ELNS1_3repE0EEENS1_30default_config_static_selectorELNS0_4arch9wavefront6targetE1EEEvT1_, .Lfunc_end2723-_ZN7rocprim17ROCPRIM_400000_NS6detail17trampoline_kernelINS0_14default_configENS1_25partition_config_selectorILNS1_17partition_subalgoE0EiNS0_10empty_typeEbEEZZNS1_14partition_implILS5_0ELb0ES3_jN6thrust23THRUST_200600_302600_NS6detail15normal_iteratorINSA_10device_ptrIiEEEEPS6_SG_NS0_5tupleIJSF_NSA_16discard_iteratorINSA_11use_defaultEEEEEENSH_IJSG_SG_EEES6_PlJ7is_evenIiEEEE10hipError_tPvRmT3_T4_T5_T6_T7_T9_mT8_P12ihipStream_tbDpT10_ENKUlT_T0_E_clISt17integral_constantIbLb1EES19_EEDaS14_S15_EUlS14_E_NS1_11comp_targetILNS1_3genE0ELNS1_11target_archE4294967295ELNS1_3gpuE0ELNS1_3repE0EEENS1_30default_config_static_selectorELNS0_4arch9wavefront6targetE1EEEvT1_
                                        ; -- End function
	.section	.AMDGPU.csdata,"",@progbits
; Kernel info:
; codeLenInByte = 0
; NumSgprs: 6
; NumVgprs: 0
; NumAgprs: 0
; TotalNumVgprs: 0
; ScratchSize: 0
; MemoryBound: 0
; FloatMode: 240
; IeeeMode: 1
; LDSByteSize: 0 bytes/workgroup (compile time only)
; SGPRBlocks: 0
; VGPRBlocks: 0
; NumSGPRsForWavesPerEU: 6
; NumVGPRsForWavesPerEU: 1
; AccumOffset: 4
; Occupancy: 8
; WaveLimiterHint : 0
; COMPUTE_PGM_RSRC2:SCRATCH_EN: 0
; COMPUTE_PGM_RSRC2:USER_SGPR: 2
; COMPUTE_PGM_RSRC2:TRAP_HANDLER: 0
; COMPUTE_PGM_RSRC2:TGID_X_EN: 1
; COMPUTE_PGM_RSRC2:TGID_Y_EN: 0
; COMPUTE_PGM_RSRC2:TGID_Z_EN: 0
; COMPUTE_PGM_RSRC2:TIDIG_COMP_CNT: 0
; COMPUTE_PGM_RSRC3_GFX90A:ACCUM_OFFSET: 0
; COMPUTE_PGM_RSRC3_GFX90A:TG_SPLIT: 0
	.section	.text._ZN7rocprim17ROCPRIM_400000_NS6detail17trampoline_kernelINS0_14default_configENS1_25partition_config_selectorILNS1_17partition_subalgoE0EiNS0_10empty_typeEbEEZZNS1_14partition_implILS5_0ELb0ES3_jN6thrust23THRUST_200600_302600_NS6detail15normal_iteratorINSA_10device_ptrIiEEEEPS6_SG_NS0_5tupleIJSF_NSA_16discard_iteratorINSA_11use_defaultEEEEEENSH_IJSG_SG_EEES6_PlJ7is_evenIiEEEE10hipError_tPvRmT3_T4_T5_T6_T7_T9_mT8_P12ihipStream_tbDpT10_ENKUlT_T0_E_clISt17integral_constantIbLb1EES19_EEDaS14_S15_EUlS14_E_NS1_11comp_targetILNS1_3genE5ELNS1_11target_archE942ELNS1_3gpuE9ELNS1_3repE0EEENS1_30default_config_static_selectorELNS0_4arch9wavefront6targetE1EEEvT1_,"axG",@progbits,_ZN7rocprim17ROCPRIM_400000_NS6detail17trampoline_kernelINS0_14default_configENS1_25partition_config_selectorILNS1_17partition_subalgoE0EiNS0_10empty_typeEbEEZZNS1_14partition_implILS5_0ELb0ES3_jN6thrust23THRUST_200600_302600_NS6detail15normal_iteratorINSA_10device_ptrIiEEEEPS6_SG_NS0_5tupleIJSF_NSA_16discard_iteratorINSA_11use_defaultEEEEEENSH_IJSG_SG_EEES6_PlJ7is_evenIiEEEE10hipError_tPvRmT3_T4_T5_T6_T7_T9_mT8_P12ihipStream_tbDpT10_ENKUlT_T0_E_clISt17integral_constantIbLb1EES19_EEDaS14_S15_EUlS14_E_NS1_11comp_targetILNS1_3genE5ELNS1_11target_archE942ELNS1_3gpuE9ELNS1_3repE0EEENS1_30default_config_static_selectorELNS0_4arch9wavefront6targetE1EEEvT1_,comdat
	.protected	_ZN7rocprim17ROCPRIM_400000_NS6detail17trampoline_kernelINS0_14default_configENS1_25partition_config_selectorILNS1_17partition_subalgoE0EiNS0_10empty_typeEbEEZZNS1_14partition_implILS5_0ELb0ES3_jN6thrust23THRUST_200600_302600_NS6detail15normal_iteratorINSA_10device_ptrIiEEEEPS6_SG_NS0_5tupleIJSF_NSA_16discard_iteratorINSA_11use_defaultEEEEEENSH_IJSG_SG_EEES6_PlJ7is_evenIiEEEE10hipError_tPvRmT3_T4_T5_T6_T7_T9_mT8_P12ihipStream_tbDpT10_ENKUlT_T0_E_clISt17integral_constantIbLb1EES19_EEDaS14_S15_EUlS14_E_NS1_11comp_targetILNS1_3genE5ELNS1_11target_archE942ELNS1_3gpuE9ELNS1_3repE0EEENS1_30default_config_static_selectorELNS0_4arch9wavefront6targetE1EEEvT1_ ; -- Begin function _ZN7rocprim17ROCPRIM_400000_NS6detail17trampoline_kernelINS0_14default_configENS1_25partition_config_selectorILNS1_17partition_subalgoE0EiNS0_10empty_typeEbEEZZNS1_14partition_implILS5_0ELb0ES3_jN6thrust23THRUST_200600_302600_NS6detail15normal_iteratorINSA_10device_ptrIiEEEEPS6_SG_NS0_5tupleIJSF_NSA_16discard_iteratorINSA_11use_defaultEEEEEENSH_IJSG_SG_EEES6_PlJ7is_evenIiEEEE10hipError_tPvRmT3_T4_T5_T6_T7_T9_mT8_P12ihipStream_tbDpT10_ENKUlT_T0_E_clISt17integral_constantIbLb1EES19_EEDaS14_S15_EUlS14_E_NS1_11comp_targetILNS1_3genE5ELNS1_11target_archE942ELNS1_3gpuE9ELNS1_3repE0EEENS1_30default_config_static_selectorELNS0_4arch9wavefront6targetE1EEEvT1_
	.globl	_ZN7rocprim17ROCPRIM_400000_NS6detail17trampoline_kernelINS0_14default_configENS1_25partition_config_selectorILNS1_17partition_subalgoE0EiNS0_10empty_typeEbEEZZNS1_14partition_implILS5_0ELb0ES3_jN6thrust23THRUST_200600_302600_NS6detail15normal_iteratorINSA_10device_ptrIiEEEEPS6_SG_NS0_5tupleIJSF_NSA_16discard_iteratorINSA_11use_defaultEEEEEENSH_IJSG_SG_EEES6_PlJ7is_evenIiEEEE10hipError_tPvRmT3_T4_T5_T6_T7_T9_mT8_P12ihipStream_tbDpT10_ENKUlT_T0_E_clISt17integral_constantIbLb1EES19_EEDaS14_S15_EUlS14_E_NS1_11comp_targetILNS1_3genE5ELNS1_11target_archE942ELNS1_3gpuE9ELNS1_3repE0EEENS1_30default_config_static_selectorELNS0_4arch9wavefront6targetE1EEEvT1_
	.p2align	8
	.type	_ZN7rocprim17ROCPRIM_400000_NS6detail17trampoline_kernelINS0_14default_configENS1_25partition_config_selectorILNS1_17partition_subalgoE0EiNS0_10empty_typeEbEEZZNS1_14partition_implILS5_0ELb0ES3_jN6thrust23THRUST_200600_302600_NS6detail15normal_iteratorINSA_10device_ptrIiEEEEPS6_SG_NS0_5tupleIJSF_NSA_16discard_iteratorINSA_11use_defaultEEEEEENSH_IJSG_SG_EEES6_PlJ7is_evenIiEEEE10hipError_tPvRmT3_T4_T5_T6_T7_T9_mT8_P12ihipStream_tbDpT10_ENKUlT_T0_E_clISt17integral_constantIbLb1EES19_EEDaS14_S15_EUlS14_E_NS1_11comp_targetILNS1_3genE5ELNS1_11target_archE942ELNS1_3gpuE9ELNS1_3repE0EEENS1_30default_config_static_selectorELNS0_4arch9wavefront6targetE1EEEvT1_,@function
_ZN7rocprim17ROCPRIM_400000_NS6detail17trampoline_kernelINS0_14default_configENS1_25partition_config_selectorILNS1_17partition_subalgoE0EiNS0_10empty_typeEbEEZZNS1_14partition_implILS5_0ELb0ES3_jN6thrust23THRUST_200600_302600_NS6detail15normal_iteratorINSA_10device_ptrIiEEEEPS6_SG_NS0_5tupleIJSF_NSA_16discard_iteratorINSA_11use_defaultEEEEEENSH_IJSG_SG_EEES6_PlJ7is_evenIiEEEE10hipError_tPvRmT3_T4_T5_T6_T7_T9_mT8_P12ihipStream_tbDpT10_ENKUlT_T0_E_clISt17integral_constantIbLb1EES19_EEDaS14_S15_EUlS14_E_NS1_11comp_targetILNS1_3genE5ELNS1_11target_archE942ELNS1_3gpuE9ELNS1_3repE0EEENS1_30default_config_static_selectorELNS0_4arch9wavefront6targetE1EEEvT1_: ; @_ZN7rocprim17ROCPRIM_400000_NS6detail17trampoline_kernelINS0_14default_configENS1_25partition_config_selectorILNS1_17partition_subalgoE0EiNS0_10empty_typeEbEEZZNS1_14partition_implILS5_0ELb0ES3_jN6thrust23THRUST_200600_302600_NS6detail15normal_iteratorINSA_10device_ptrIiEEEEPS6_SG_NS0_5tupleIJSF_NSA_16discard_iteratorINSA_11use_defaultEEEEEENSH_IJSG_SG_EEES6_PlJ7is_evenIiEEEE10hipError_tPvRmT3_T4_T5_T6_T7_T9_mT8_P12ihipStream_tbDpT10_ENKUlT_T0_E_clISt17integral_constantIbLb1EES19_EEDaS14_S15_EUlS14_E_NS1_11comp_targetILNS1_3genE5ELNS1_11target_archE942ELNS1_3gpuE9ELNS1_3repE0EEENS1_30default_config_static_selectorELNS0_4arch9wavefront6targetE1EEEvT1_
; %bb.0:
	s_load_dwordx2 s[2:3], s[0:1], 0x60
	s_load_dwordx4 s[24:27], s[0:1], 0x50
	s_load_dwordx2 s[30:31], s[0:1], 0x70
	v_cmp_eq_u32_e64 s[20:21], 0, v0
	s_and_saveexec_b64 s[4:5], s[20:21]
	s_cbranch_execz .LBB2724_4
; %bb.1:
	s_mov_b64 s[8:9], exec
	v_mbcnt_lo_u32_b32 v1, s8, 0
	v_mbcnt_hi_u32_b32 v1, s9, v1
	v_cmp_eq_u32_e32 vcc, 0, v1
                                        ; implicit-def: $vgpr2
	s_and_saveexec_b64 s[6:7], vcc
	s_cbranch_execz .LBB2724_3
; %bb.2:
	s_load_dwordx2 s[10:11], s[0:1], 0x80
	s_bcnt1_i32_b64 s8, s[8:9]
	v_mov_b32_e32 v2, 0
	v_mov_b32_e32 v3, s8
	s_waitcnt lgkmcnt(0)
	global_atomic_add v2, v2, v3, s[10:11] sc0
.LBB2724_3:
	s_or_b64 exec, exec, s[6:7]
	s_waitcnt vmcnt(0)
	v_readfirstlane_b32 s6, v2
	v_mov_b32_e32 v2, 0
	s_nop 0
	v_add_u32_e32 v1, s6, v1
	ds_write_b32 v2, v1
.LBB2724_4:
	s_or_b64 exec, exec, s[4:5]
	v_mov_b32_e32 v21, 0
	s_load_dwordx4 s[4:7], s[0:1], 0x8
	s_load_dwordx2 s[28:29], s[0:1], 0x28
	s_load_dword s8, s[0:1], 0x78
	s_waitcnt lgkmcnt(0)
	s_barrier
	ds_read_b32 v1, v21
	s_waitcnt lgkmcnt(0)
	s_barrier
	global_load_dwordx2 v[18:19], v21, s[26:27]
	s_lshl_b64 s[0:1], s[6:7], 2
	s_add_u32 s4, s4, s0
	s_movk_i32 s0, 0x1e00
	v_mul_lo_u32 v20, v1, s0
	s_mul_i32 s0, s8, 0x1e00
	s_addc_u32 s5, s5, s1
	s_add_i32 s1, s0, s6
	v_mov_b32_e32 v3, s3
	s_add_i32 s3, s8, -1
	s_sub_i32 s33, s2, s1
	s_add_u32 s0, s6, s0
	v_readfirstlane_b32 s36, v1
	s_addc_u32 s1, s7, 0
	s_cmp_eq_u32 s36, s3
	v_mov_b32_e32 v2, s2
	s_cselect_b64 s[22:23], -1, 0
	s_cmp_lg_u32 s36, s3
	v_cmp_lt_u64_e32 vcc, s[0:1], v[2:3]
	s_cselect_b64 s[0:1], -1, 0
	s_or_b64 s[0:1], vcc, s[0:1]
	v_lshlrev_b64 v[2:3], 2, v[20:21]
	v_lshl_add_u64 v[22:23], s[4:5], 0, v[2:3]
	s_mov_b64 s[2:3], -1
	s_and_b64 vcc, exec, s[0:1]
	v_lshlrev_b32_e32 v20, 2, v0
	s_cbranch_vccz .LBB2724_6
; %bb.5:
	v_lshl_add_u64 v[2:3], v[22:23], 0, v[20:21]
	v_add_co_u32_e32 v4, vcc, 0x1000, v2
	s_mov_b64 s[2:3], 0
	s_nop 0
	v_addc_co_u32_e32 v5, vcc, 0, v3, vcc
	v_add_co_u32_e32 v6, vcc, 0x2000, v2
	s_nop 1
	v_addc_co_u32_e32 v7, vcc, 0, v3, vcc
	v_add_co_u32_e32 v8, vcc, 0x3000, v2
	s_nop 1
	v_addc_co_u32_e32 v9, vcc, 0, v3, vcc
	flat_load_dword v1, v[2:3]
	flat_load_dword v10, v[2:3] offset:2048
	flat_load_dword v11, v[4:5]
	flat_load_dword v12, v[4:5] offset:2048
	;; [unrolled: 2-line block ×4, first 2 shown]
	v_add_co_u32_e32 v4, vcc, 0x4000, v2
	s_nop 1
	v_addc_co_u32_e32 v5, vcc, 0, v3, vcc
	v_add_co_u32_e32 v6, vcc, 0x5000, v2
	s_nop 1
	v_addc_co_u32_e32 v7, vcc, 0, v3, vcc
	;; [unrolled: 3-line block ×4, first 2 shown]
	flat_load_dword v17, v[4:5]
	flat_load_dword v21, v[4:5] offset:2048
	flat_load_dword v24, v[6:7]
	flat_load_dword v25, v[6:7] offset:2048
	;; [unrolled: 2-line block ×3, first 2 shown]
	flat_load_dword v28, v[2:3]
	s_waitcnt vmcnt(0) lgkmcnt(0)
	ds_write2st64_b32 v20, v1, v10 offset1:8
	ds_write2st64_b32 v20, v11, v12 offset0:16 offset1:24
	ds_write2st64_b32 v20, v13, v14 offset0:32 offset1:40
	;; [unrolled: 1-line block ×6, first 2 shown]
	ds_write_b32 v20, v28 offset:28672
	s_waitcnt lgkmcnt(0)
	s_barrier
.LBB2724_6:
	s_andn2_b64 vcc, exec, s[2:3]
	s_addk_i32 s33, 0x1e00
	s_cbranch_vccnz .LBB2724_38
; %bb.7:
	v_cmp_gt_u32_e32 vcc, s33, v0
                                        ; implicit-def: $vgpr2_vgpr3_vgpr4_vgpr5_vgpr6_vgpr7_vgpr8_vgpr9_vgpr10_vgpr11_vgpr12_vgpr13_vgpr14_vgpr15_vgpr16_vgpr17
	s_and_saveexec_b64 s[2:3], vcc
	s_cbranch_execz .LBB2724_9
; %bb.8:
	v_mov_b32_e32 v21, 0
	v_lshl_add_u64 v[2:3], v[22:23], 0, v[20:21]
	flat_load_dword v2, v[2:3]
.LBB2724_9:
	s_or_b64 exec, exec, s[2:3]
	v_or_b32_e32 v1, 0x200, v0
	v_cmp_gt_u32_e32 vcc, s33, v1
	s_and_saveexec_b64 s[2:3], vcc
	s_cbranch_execz .LBB2724_11
; %bb.10:
	v_mov_b32_e32 v21, 0
	v_lshl_add_u64 v[24:25], v[22:23], 0, v[20:21]
	flat_load_dword v3, v[24:25] offset:2048
.LBB2724_11:
	s_or_b64 exec, exec, s[2:3]
	v_or_b32_e32 v1, 0x400, v0
	v_cmp_gt_u32_e32 vcc, s33, v1
	s_and_saveexec_b64 s[2:3], vcc
	s_cbranch_execz .LBB2724_13
; %bb.12:
	v_lshlrev_b32_e32 v24, 2, v1
	v_mov_b32_e32 v25, 0
	v_lshl_add_u64 v[24:25], v[22:23], 0, v[24:25]
	flat_load_dword v4, v[24:25]
.LBB2724_13:
	s_or_b64 exec, exec, s[2:3]
	v_or_b32_e32 v1, 0x600, v0
	v_cmp_gt_u32_e32 vcc, s33, v1
	s_and_saveexec_b64 s[2:3], vcc
	s_cbranch_execz .LBB2724_15
; %bb.14:
	v_lshlrev_b32_e32 v24, 2, v1
	v_mov_b32_e32 v25, 0
	v_lshl_add_u64 v[24:25], v[22:23], 0, v[24:25]
	flat_load_dword v5, v[24:25]
.LBB2724_15:
	;; [unrolled: 11-line block ×13, first 2 shown]
	s_or_b64 exec, exec, s[2:3]
	s_waitcnt vmcnt(0) lgkmcnt(0)
	ds_write2st64_b32 v20, v2, v3 offset1:8
	ds_write2st64_b32 v20, v4, v5 offset0:16 offset1:24
	ds_write2st64_b32 v20, v6, v7 offset0:32 offset1:40
	;; [unrolled: 1-line block ×6, first 2 shown]
	ds_write_b32 v20, v16 offset:28672
	s_waitcnt lgkmcnt(0)
	s_barrier
.LBB2724_38:
	v_mul_u32_u24_e32 v40, 15, v0
	v_lshlrev_b32_e32 v1, 2, v40
	ds_read2_b32 v[34:35], v1 offset1:1
	ds_read2_b32 v[32:33], v1 offset0:2 offset1:3
	ds_read2_b32 v[30:31], v1 offset0:4 offset1:5
	;; [unrolled: 1-line block ×6, first 2 shown]
	ds_read_b32 v1, v1 offset:56
	v_cndmask_b32_e64 v2, 0, 1, s[0:1]
	v_cmp_ne_u32_e64 s[2:3], 1, v2
	s_andn2_b64 vcc, exec, s[0:1]
	s_waitcnt lgkmcnt(7)
	v_xor_b32_e32 v16, -1, v34
	v_xor_b32_e32 v15, -1, v35
	s_waitcnt lgkmcnt(6)
	v_xor_b32_e32 v14, -1, v32
	v_xor_b32_e32 v13, -1, v33
	;; [unrolled: 3-line block ×7, first 2 shown]
	s_waitcnt lgkmcnt(0)
	v_xor_b32_e32 v2, -1, v1
	s_barrier
	s_cbranch_vccnz .LBB2724_40
; %bb.39:
	v_and_b32_e32 v53, 1, v16
	v_and_b32_e32 v52, 1, v15
	;; [unrolled: 1-line block ×15, first 2 shown]
	s_cbranch_execz .LBB2724_41
	s_branch .LBB2724_42
.LBB2724_40:
                                        ; implicit-def: $vgpr21
                                        ; implicit-def: $vgpr39
                                        ; implicit-def: $vgpr41
                                        ; implicit-def: $vgpr42
                                        ; implicit-def: $vgpr43
                                        ; implicit-def: $vgpr44
                                        ; implicit-def: $vgpr45
                                        ; implicit-def: $vgpr46
                                        ; implicit-def: $vgpr47
                                        ; implicit-def: $vgpr53
                                        ; implicit-def: $vgpr52
                                        ; implicit-def: $vgpr51
                                        ; implicit-def: $vgpr50
                                        ; implicit-def: $vgpr49
                                        ; implicit-def: $vgpr48
.LBB2724_41:
	v_add_u32_e32 v46, 1, v40
	v_cmp_gt_u32_e32 vcc, s33, v40
	v_add_u32_e32 v17, 2, v40
	v_add_u32_e32 v45, 3, v40
	v_cndmask_b32_e64 v47, 0, 1, vcc
	v_cmp_gt_u32_e32 vcc, s33, v46
	v_and_b32_e32 v53, v47, v16
	v_add_u32_e32 v21, 4, v40
	v_cndmask_b32_e64 v16, 0, 1, vcc
	v_cmp_gt_u32_e32 vcc, s33, v17
	v_and_b32_e32 v52, v16, v15
	;; [unrolled: 4-line block ×12, first 2 shown]
	s_nop 0
	v_cndmask_b32_e64 v5, 0, 1, vcc
	v_cmp_gt_u32_e32 vcc, s33, v55
	v_and_b32_e32 v41, v5, v4
	s_nop 0
	v_cndmask_b32_e64 v4, 0, 1, vcc
	v_cmp_gt_u32_e32 vcc, s33, v54
	v_and_b32_e32 v39, v4, v3
	s_nop 0
	v_cndmask_b32_e64 v3, 0, 1, vcc
	v_and_b32_e32 v21, v3, v2
.LBB2724_42:
	v_and_b32_e32 v57, 0xff, v50
	v_and_b32_e32 v58, 0xff, v49
	v_and_b32_e32 v59, 0xff, v48
	v_and_b32_e32 v55, 0xff, v52
	v_and_b32_e32 v56, 0xff, v51
	v_add3_u32 v3, v58, v59, v57
	v_and_b32_e32 v54, 0xff, v53
	v_and_b32_e32 v60, 0xff, v47
	v_add3_u32 v3, v3, v56, v55
	v_and_b32_e32 v61, 0xff, v46
	v_and_b32_e32 v62, 0xff, v45
	;; [unrolled: 3-line block ×5, first 2 shown]
	v_add3_u32 v3, v3, v65, v66
	v_add3_u32 v70, v3, v67, v2
	v_mbcnt_lo_u32_b32 v2, -1, 0
	v_mbcnt_hi_u32_b32 v68, -1, v2
	v_and_b32_e32 v2, 15, v68
	v_cmp_eq_u32_e64 s[16:17], 0, v2
	v_cmp_lt_u32_e64 s[14:15], 1, v2
	v_cmp_lt_u32_e64 s[12:13], 3, v2
	;; [unrolled: 1-line block ×3, first 2 shown]
	v_and_b32_e32 v2, 16, v68
	v_cmp_eq_u32_e64 s[8:9], 0, v2
	v_or_b32_e32 v2, 63, v0
	s_cmp_lg_u32 s36, 0
	v_cmp_lt_u32_e64 s[4:5], 31, v68
	v_lshrrev_b32_e32 v69, 6, v0
	v_cmp_eq_u32_e64 s[6:7], v2, v0
	s_cbranch_scc0 .LBB2724_73
; %bb.43:
	v_mov_b32_dpp v2, v70 row_shr:1 row_mask:0xf bank_mask:0xf
	v_cndmask_b32_e64 v2, v2, 0, s[16:17]
	v_add_u32_e32 v2, v2, v70
	s_nop 1
	v_mov_b32_dpp v3, v2 row_shr:2 row_mask:0xf bank_mask:0xf
	v_cndmask_b32_e64 v3, 0, v3, s[14:15]
	v_add_u32_e32 v2, v2, v3
	s_nop 1
	;; [unrolled: 4-line block ×4, first 2 shown]
	v_mov_b32_dpp v3, v2 row_bcast:15 row_mask:0xf bank_mask:0xf
	v_cndmask_b32_e64 v3, v3, 0, s[8:9]
	v_add_u32_e32 v2, v2, v3
	s_nop 1
	v_mov_b32_dpp v3, v2 row_bcast:31 row_mask:0xf bank_mask:0xf
	v_cndmask_b32_e64 v3, 0, v3, s[4:5]
	v_add_u32_e32 v2, v2, v3
	s_and_saveexec_b64 s[0:1], s[6:7]
	s_cbranch_execz .LBB2724_45
; %bb.44:
	v_lshlrev_b32_e32 v3, 2, v69
	ds_write_b32 v3, v2
.LBB2724_45:
	s_or_b64 exec, exec, s[0:1]
	v_cmp_gt_u32_e32 vcc, 8, v0
	s_waitcnt lgkmcnt(0)
	s_barrier
	s_and_saveexec_b64 s[0:1], vcc
	s_cbranch_execz .LBB2724_47
; %bb.46:
	ds_read_b32 v3, v20
	v_and_b32_e32 v4, 7, v68
	v_cmp_ne_u32_e32 vcc, 0, v4
	s_waitcnt lgkmcnt(0)
	v_mov_b32_dpp v5, v3 row_shr:1 row_mask:0xf bank_mask:0xf
	v_cndmask_b32_e32 v5, 0, v5, vcc
	v_add_u32_e32 v3, v5, v3
	v_cmp_lt_u32_e32 vcc, 1, v4
	s_nop 0
	v_mov_b32_dpp v5, v3 row_shr:2 row_mask:0xf bank_mask:0xf
	v_cndmask_b32_e32 v5, 0, v5, vcc
	v_add_u32_e32 v3, v3, v5
	v_cmp_lt_u32_e32 vcc, 3, v4
	s_nop 0
	v_mov_b32_dpp v5, v3 row_shr:4 row_mask:0xf bank_mask:0xf
	v_cndmask_b32_e32 v4, 0, v5, vcc
	v_add_u32_e32 v3, v3, v4
	ds_write_b32 v20, v3
.LBB2724_47:
	s_or_b64 exec, exec, s[0:1]
	v_cmp_gt_u32_e32 vcc, 64, v0
	v_cmp_lt_u32_e64 s[0:1], 63, v0
	s_waitcnt lgkmcnt(0)
	s_barrier
	s_waitcnt lgkmcnt(0)
                                        ; implicit-def: $vgpr12
	s_and_saveexec_b64 s[18:19], s[0:1]
	s_cbranch_execz .LBB2724_49
; %bb.48:
	v_lshl_add_u32 v3, v69, 2, -4
	ds_read_b32 v12, v3
	s_waitcnt lgkmcnt(0)
	v_add_u32_e32 v2, v12, v2
.LBB2724_49:
	s_or_b64 exec, exec, s[18:19]
	v_add_u32_e32 v3, -1, v68
	v_and_b32_e32 v4, 64, v68
	v_cmp_lt_i32_e64 s[0:1], v3, v4
	v_cmp_eq_u32_e64 s[18:19], 0, v68
	s_nop 0
	v_cndmask_b32_e64 v3, v3, v68, s[0:1]
	v_lshlrev_b32_e32 v3, 2, v3
	ds_bpermute_b32 v13, v3, v2
	s_and_saveexec_b64 s[0:1], vcc
	s_cbranch_execz .LBB2724_72
; %bb.50:
	v_mov_b32_e32 v11, 0
	ds_read_b32 v2, v11 offset:28
	s_and_saveexec_b64 s[26:27], s[18:19]
	s_cbranch_execz .LBB2724_52
; %bb.51:
	s_add_i32 s34, s36, 64
	s_mov_b32 s35, 0
	s_lshl_b64 s[34:35], s[34:35], 3
	s_add_u32 s34, s30, s34
	v_mov_b32_e32 v3, 1
	s_addc_u32 s35, s31, s35
	s_waitcnt lgkmcnt(0)
	global_store_dwordx2 v11, v[2:3], s[34:35] sc1
.LBB2724_52:
	s_or_b64 exec, exec, s[26:27]
	v_xad_u32 v4, v68, -1, s36
	v_add_u32_e32 v10, 64, v4
	v_lshl_add_u64 v[6:7], v[10:11], 3, s[30:31]
	global_load_dwordx2 v[8:9], v[6:7], off sc1
	s_waitcnt vmcnt(0)
	v_cmp_eq_u16_sdwa s[34:35], v9, v11 src0_sel:BYTE_0 src1_sel:DWORD
	s_and_saveexec_b64 s[26:27], s[34:35]
	s_cbranch_execz .LBB2724_58
; %bb.53:
	s_mov_b32 s37, 1
	s_mov_b64 s[34:35], 0
	v_mov_b32_e32 v3, 0
.LBB2724_54:                            ; =>This Loop Header: Depth=1
                                        ;     Child Loop BB2724_55 Depth 2
	s_max_u32 s38, s37, 1
.LBB2724_55:                            ;   Parent Loop BB2724_54 Depth=1
                                        ; =>  This Inner Loop Header: Depth=2
	s_add_i32 s38, s38, -1
	s_cmp_eq_u32 s38, 0
	s_sleep 1
	s_cbranch_scc0 .LBB2724_55
; %bb.56:                               ;   in Loop: Header=BB2724_54 Depth=1
	global_load_dwordx2 v[8:9], v[6:7], off sc1
	s_cmp_lt_u32 s37, 32
	s_cselect_b64 s[38:39], -1, 0
	s_cmp_lg_u64 s[38:39], 0
	s_addc_u32 s37, s37, 0
	s_waitcnt vmcnt(0)
	v_cmp_ne_u16_sdwa s[38:39], v9, v3 src0_sel:BYTE_0 src1_sel:DWORD
	s_or_b64 s[34:35], s[38:39], s[34:35]
	s_andn2_b64 exec, exec, s[34:35]
	s_cbranch_execnz .LBB2724_54
; %bb.57:
	s_or_b64 exec, exec, s[34:35]
.LBB2724_58:
	s_or_b64 exec, exec, s[26:27]
	v_and_b32_e32 v15, 63, v68
	v_mov_b32_e32 v14, 2
	v_cmp_ne_u32_e32 vcc, 63, v15
	v_cmp_eq_u16_sdwa s[26:27], v9, v14 src0_sel:BYTE_0 src1_sel:DWORD
	v_lshlrev_b64 v[6:7], v68, -1
	v_addc_co_u32_e32 v10, vcc, 0, v68, vcc
	v_and_b32_e32 v3, s27, v7
	v_lshlrev_b32_e32 v16, 2, v10
	v_or_b32_e32 v3, 0x80000000, v3
	ds_bpermute_b32 v10, v16, v8
	v_and_b32_e32 v5, s26, v6
	v_ffbl_b32_e32 v3, v3
	v_add_u32_e32 v3, 32, v3
	v_ffbl_b32_e32 v5, v5
	v_min_u32_e32 v3, v5, v3
	v_cmp_lt_u32_e32 vcc, v15, v3
	v_add_u32_e32 v36, 2, v15
	v_add_u32_e32 v38, 4, v15
	s_waitcnt lgkmcnt(0)
	v_cndmask_b32_e32 v5, 0, v10, vcc
	v_cmp_gt_u32_e32 vcc, 62, v15
	v_add_u32_e32 v5, v5, v8
	v_add_u32_e32 v72, 8, v15
	v_cndmask_b32_e64 v8, 0, 1, vcc
	v_lshlrev_b32_e32 v8, 1, v8
	v_add_lshl_u32 v17, v8, v68, 2
	ds_bpermute_b32 v8, v17, v5
	v_cmp_le_u32_e32 vcc, v36, v3
	v_add_u32_e32 v74, 16, v15
	v_add_u32_e32 v76, 32, v15
	s_waitcnt lgkmcnt(0)
	v_cndmask_b32_e32 v8, 0, v8, vcc
	v_cmp_gt_u32_e32 vcc, 60, v15
	v_add_u32_e32 v5, v5, v8
	s_nop 0
	v_cndmask_b32_e64 v8, 0, 1, vcc
	v_lshlrev_b32_e32 v8, 2, v8
	v_add_lshl_u32 v37, v8, v68, 2
	ds_bpermute_b32 v8, v37, v5
	v_cmp_le_u32_e32 vcc, v38, v3
	s_waitcnt lgkmcnt(0)
	s_nop 0
	v_cndmask_b32_e32 v8, 0, v8, vcc
	v_cmp_gt_u32_e32 vcc, 56, v15
	v_add_u32_e32 v5, v5, v8
	s_nop 0
	v_cndmask_b32_e64 v8, 0, 1, vcc
	v_lshlrev_b32_e32 v8, 3, v8
	v_add_lshl_u32 v71, v8, v68, 2
	ds_bpermute_b32 v8, v71, v5
	v_cmp_le_u32_e32 vcc, v72, v3
	s_waitcnt lgkmcnt(0)
	s_nop 0
	;; [unrolled: 11-line block ×4, first 2 shown]
	v_cndmask_b32_e32 v3, 0, v8, vcc
	v_add_u32_e32 v8, v5, v3
	v_mov_b32_e32 v5, 0
	s_branch .LBB2724_60
.LBB2724_59:                            ;   in Loop: Header=BB2724_60 Depth=1
	s_or_b64 exec, exec, s[26:27]
	v_cmp_eq_u16_sdwa s[26:27], v9, v14 src0_sel:BYTE_0 src1_sel:DWORD
	ds_bpermute_b32 v77, v16, v8
	v_subrev_u32_e32 v4, 64, v4
	v_and_b32_e32 v10, s27, v7
	v_or_b32_e32 v10, 0x80000000, v10
	v_and_b32_e32 v11, s26, v6
	v_ffbl_b32_e32 v10, v10
	v_add_u32_e32 v10, 32, v10
	v_ffbl_b32_e32 v11, v11
	v_min_u32_e32 v10, v11, v10
	v_cmp_lt_u32_e32 vcc, v15, v10
	s_waitcnt lgkmcnt(0)
	s_nop 0
	v_cndmask_b32_e32 v11, 0, v77, vcc
	v_add_u32_e32 v8, v11, v8
	ds_bpermute_b32 v11, v17, v8
	v_cmp_le_u32_e32 vcc, v36, v10
	s_waitcnt lgkmcnt(0)
	s_nop 0
	v_cndmask_b32_e32 v11, 0, v11, vcc
	v_add_u32_e32 v8, v8, v11
	ds_bpermute_b32 v11, v37, v8
	v_cmp_le_u32_e32 vcc, v38, v10
	;; [unrolled: 6-line block ×5, first 2 shown]
	s_waitcnt lgkmcnt(0)
	s_nop 0
	v_cndmask_b32_e32 v10, 0, v11, vcc
	v_add3_u32 v8, v10, v3, v8
.LBB2724_60:                            ; =>This Loop Header: Depth=1
                                        ;     Child Loop BB2724_63 Depth 2
                                        ;       Child Loop BB2724_64 Depth 3
	v_cmp_ne_u16_sdwa s[26:27], v9, v14 src0_sel:BYTE_0 src1_sel:DWORD
	s_nop 1
	v_cndmask_b32_e64 v3, 0, 1, s[26:27]
	;;#ASMSTART
	;;#ASMEND
	s_nop 0
	v_cmp_ne_u32_e32 vcc, 0, v3
	s_cmp_lg_u64 vcc, exec
	v_mov_b32_e32 v3, v8
	s_cbranch_scc1 .LBB2724_67
; %bb.61:                               ;   in Loop: Header=BB2724_60 Depth=1
	v_lshl_add_u64 v[10:11], v[4:5], 3, s[30:31]
	global_load_dwordx2 v[8:9], v[10:11], off sc1
	s_waitcnt vmcnt(0)
	v_cmp_eq_u16_sdwa s[34:35], v9, v5 src0_sel:BYTE_0 src1_sel:DWORD
	s_and_saveexec_b64 s[26:27], s[34:35]
	s_cbranch_execz .LBB2724_59
; %bb.62:                               ;   in Loop: Header=BB2724_60 Depth=1
	s_mov_b32 s37, 1
	s_mov_b64 s[34:35], 0
.LBB2724_63:                            ;   Parent Loop BB2724_60 Depth=1
                                        ; =>  This Loop Header: Depth=2
                                        ;       Child Loop BB2724_64 Depth 3
	s_max_u32 s38, s37, 1
.LBB2724_64:                            ;   Parent Loop BB2724_60 Depth=1
                                        ;     Parent Loop BB2724_63 Depth=2
                                        ; =>    This Inner Loop Header: Depth=3
	s_add_i32 s38, s38, -1
	s_cmp_eq_u32 s38, 0
	s_sleep 1
	s_cbranch_scc0 .LBB2724_64
; %bb.65:                               ;   in Loop: Header=BB2724_63 Depth=2
	global_load_dwordx2 v[8:9], v[10:11], off sc1
	s_cmp_lt_u32 s37, 32
	s_cselect_b64 s[38:39], -1, 0
	s_cmp_lg_u64 s[38:39], 0
	s_addc_u32 s37, s37, 0
	s_waitcnt vmcnt(0)
	v_cmp_ne_u16_sdwa s[38:39], v9, v5 src0_sel:BYTE_0 src1_sel:DWORD
	s_or_b64 s[34:35], s[38:39], s[34:35]
	s_andn2_b64 exec, exec, s[34:35]
	s_cbranch_execnz .LBB2724_63
; %bb.66:                               ;   in Loop: Header=BB2724_60 Depth=1
	s_or_b64 exec, exec, s[34:35]
	s_branch .LBB2724_59
.LBB2724_67:                            ;   in Loop: Header=BB2724_60 Depth=1
                                        ; implicit-def: $vgpr8
                                        ; implicit-def: $vgpr9
	s_cbranch_execz .LBB2724_60
; %bb.68:
	s_and_saveexec_b64 s[26:27], s[18:19]
	s_cbranch_execz .LBB2724_70
; %bb.69:
	s_add_i32 s34, s36, 64
	s_mov_b32 s35, 0
	s_lshl_b64 s[34:35], s[34:35], 3
	s_add_u32 s34, s30, s34
	v_add_u32_e32 v4, v3, v2
	v_mov_b32_e32 v5, 2
	s_addc_u32 s35, s31, s35
	v_mov_b32_e32 v6, 0
	global_store_dwordx2 v6, v[4:5], s[34:35] sc1
	ds_write_b64 v6, v[2:3] offset:30720
.LBB2724_70:
	s_or_b64 exec, exec, s[26:27]
	s_and_b64 exec, exec, s[20:21]
	s_cbranch_execz .LBB2724_72
; %bb.71:
	v_mov_b32_e32 v2, 0
	ds_write_b32 v2, v3 offset:28
.LBB2724_72:
	s_or_b64 exec, exec, s[0:1]
	v_mov_b32_e32 v14, 0
	s_waitcnt lgkmcnt(0)
	s_barrier
	ds_read_b32 v2, v14 offset:28
	v_cndmask_b32_e64 v3, v13, v12, s[18:19]
	v_cndmask_b32_e64 v3, v3, 0, s[20:21]
	s_waitcnt lgkmcnt(0)
	s_barrier
	v_add_u32_e32 v2, v2, v3
	v_add_u32_e32 v3, v2, v54
	;; [unrolled: 1-line block ×10, first 2 shown]
	ds_read_b64 v[36:37], v14 offset:30720
	v_add_u32_e32 v12, v11, v63
	v_add_u32_e32 v13, v12, v64
	;; [unrolled: 1-line block ×5, first 2 shown]
	s_waitcnt lgkmcnt(0)
	v_mov_b32_e32 v38, v37
	s_branch .LBB2724_83
.LBB2724_73:
                                        ; implicit-def: $vgpr38
                                        ; implicit-def: $vgpr36
                                        ; implicit-def: $vgpr2_vgpr3_vgpr4_vgpr5_vgpr6_vgpr7_vgpr8_vgpr9_vgpr10_vgpr11_vgpr12_vgpr13_vgpr14_vgpr15_vgpr16_vgpr17
	s_cbranch_execz .LBB2724_83
; %bb.74:
	s_nop 0
	v_mov_b32_dpp v2, v70 row_shr:1 row_mask:0xf bank_mask:0xf
	v_cndmask_b32_e64 v2, v2, 0, s[16:17]
	v_add_u32_e32 v2, v2, v70
	s_nop 1
	v_mov_b32_dpp v3, v2 row_shr:2 row_mask:0xf bank_mask:0xf
	v_cndmask_b32_e64 v3, 0, v3, s[14:15]
	v_add_u32_e32 v2, v2, v3
	;; [unrolled: 4-line block ×4, first 2 shown]
	s_nop 1
	v_mov_b32_dpp v3, v2 row_bcast:15 row_mask:0xf bank_mask:0xf
	v_cndmask_b32_e64 v3, v3, 0, s[8:9]
	v_add_u32_e32 v2, v2, v3
	s_nop 1
	v_mov_b32_dpp v3, v2 row_bcast:31 row_mask:0xf bank_mask:0xf
	v_cndmask_b32_e64 v3, 0, v3, s[4:5]
	v_add_u32_e32 v2, v2, v3
	s_and_saveexec_b64 s[0:1], s[6:7]
	s_cbranch_execz .LBB2724_76
; %bb.75:
	v_lshlrev_b32_e32 v3, 2, v69
	ds_write_b32 v3, v2
.LBB2724_76:
	s_or_b64 exec, exec, s[0:1]
	v_cmp_gt_u32_e32 vcc, 8, v0
	s_waitcnt lgkmcnt(0)
	s_barrier
	s_and_saveexec_b64 s[0:1], vcc
	s_cbranch_execz .LBB2724_78
; %bb.77:
	ds_read_b32 v3, v20
	v_and_b32_e32 v4, 7, v68
	v_cmp_ne_u32_e32 vcc, 0, v4
	s_waitcnt lgkmcnt(0)
	v_mov_b32_dpp v5, v3 row_shr:1 row_mask:0xf bank_mask:0xf
	v_cndmask_b32_e32 v5, 0, v5, vcc
	v_add_u32_e32 v3, v5, v3
	v_cmp_lt_u32_e32 vcc, 1, v4
	s_nop 0
	v_mov_b32_dpp v5, v3 row_shr:2 row_mask:0xf bank_mask:0xf
	v_cndmask_b32_e32 v5, 0, v5, vcc
	v_add_u32_e32 v3, v3, v5
	v_cmp_lt_u32_e32 vcc, 3, v4
	s_nop 0
	v_mov_b32_dpp v5, v3 row_shr:4 row_mask:0xf bank_mask:0xf
	v_cndmask_b32_e32 v4, 0, v5, vcc
	v_add_u32_e32 v3, v3, v4
	ds_write_b32 v20, v3
.LBB2724_78:
	s_or_b64 exec, exec, s[0:1]
	v_cmp_lt_u32_e32 vcc, 63, v0
	v_mov_b32_e32 v4, 0
	v_mov_b32_e32 v3, 0
	s_waitcnt lgkmcnt(0)
	s_barrier
	s_and_saveexec_b64 s[0:1], vcc
	s_cbranch_execz .LBB2724_80
; %bb.79:
	v_lshl_add_u32 v3, v69, 2, -4
	ds_read_b32 v3, v3
.LBB2724_80:
	s_or_b64 exec, exec, s[0:1]
	v_add_u32_e32 v5, -1, v68
	v_and_b32_e32 v6, 64, v68
	v_cmp_lt_i32_e32 vcc, v5, v6
	s_waitcnt lgkmcnt(0)
	v_add_u32_e32 v2, v3, v2
	ds_read_b32 v36, v4 offset:28
	v_cndmask_b32_e32 v5, v5, v68, vcc
	v_lshlrev_b32_e32 v5, 2, v5
	ds_bpermute_b32 v2, v5, v2
	s_and_saveexec_b64 s[0:1], s[20:21]
	s_cbranch_execz .LBB2724_82
; %bb.81:
	v_mov_b32_e32 v4, 0
	v_mov_b32_e32 v37, 2
	s_waitcnt lgkmcnt(1)
	global_store_dwordx2 v4, v[36:37], s[30:31] offset:512 sc1
.LBB2724_82:
	s_or_b64 exec, exec, s[0:1]
	v_cmp_eq_u32_e32 vcc, 0, v68
	v_mov_b32_e32 v38, 0
	s_waitcnt lgkmcnt(0)
	v_cndmask_b32_e32 v2, v2, v3, vcc
	v_cndmask_b32_e64 v2, v2, 0, s[20:21]
	v_add_u32_e32 v3, v2, v54
	v_add_u32_e32 v4, v3, v55
	;; [unrolled: 1-line block ×14, first 2 shown]
	s_barrier
.LBB2724_83:
	v_add_u32_e32 v17, v36, v40
	v_sub_u32_e32 v2, v2, v38
	v_and_b32_e32 v40, 1, v53
	v_sub_u32_e32 v37, v17, v2
	v_cmp_eq_u32_e32 vcc, 1, v40
	s_nop 1
	v_cndmask_b32_e32 v2, v37, v2, vcc
	v_lshlrev_b32_e32 v2, 2, v2
	ds_write_b32 v2, v34
	v_sub_u32_e32 v2, v3, v38
	v_sub_u32_e32 v3, v17, v2
	v_and_b32_e32 v34, 1, v52
	v_add_u32_e32 v3, 1, v3
	v_cmp_eq_u32_e32 vcc, 1, v34
	v_or_b32_e32 v37, 0x200, v0
	v_or_b32_e32 v34, 0x600, v0
	v_cndmask_b32_e32 v2, v3, v2, vcc
	v_lshlrev_b32_e32 v2, 2, v2
	ds_write_b32 v2, v35
	v_sub_u32_e32 v2, v4, v38
	v_sub_u32_e32 v3, v17, v2
	v_and_b32_e32 v4, 1, v51
	v_add_u32_e32 v3, 2, v3
	v_cmp_eq_u32_e32 vcc, 1, v4
	v_and_b32_e32 v4, 1, v50
	v_or_b32_e32 v35, 0x400, v0
	v_cndmask_b32_e32 v2, v3, v2, vcc
	v_lshlrev_b32_e32 v2, 2, v2
	ds_write_b32 v2, v32
	v_sub_u32_e32 v2, v5, v38
	v_sub_u32_e32 v3, v17, v2
	v_add_u32_e32 v3, 3, v3
	v_cmp_eq_u32_e32 vcc, 1, v4
	v_and_b32_e32 v4, 1, v49
	v_or_b32_e32 v32, 0xa00, v0
	v_cndmask_b32_e32 v2, v3, v2, vcc
	v_lshlrev_b32_e32 v2, 2, v2
	ds_write_b32 v2, v33
	v_sub_u32_e32 v2, v6, v38
	v_sub_u32_e32 v3, v17, v2
	;; [unrolled: 9-line block ×12, first 2 shown]
	v_add_u32_e32 v3, 14, v3
	v_cmp_eq_u32_e32 vcc, 1, v4
	s_waitcnt vmcnt(0)
	v_lshlrev_b64 v[22:23], 2, v[18:19]
	v_cndmask_b32_e32 v2, v3, v2, vcc
	v_lshlrev_b32_e32 v2, 2, v2
	ds_write_b32 v2, v1
	s_waitcnt lgkmcnt(0)
	s_barrier
	ds_read2st64_b32 v[16:17], v20 offset1:8
	ds_read2st64_b32 v[14:15], v20 offset0:16 offset1:24
	ds_read2st64_b32 v[12:13], v20 offset0:32 offset1:40
	ds_read2st64_b32 v[10:11], v20 offset0:48 offset1:56
	ds_read2st64_b32 v[8:9], v20 offset0:64 offset1:72
	ds_read2st64_b32 v[6:7], v20 offset0:80 offset1:88
	ds_read2st64_b32 v[2:3], v20 offset0:96 offset1:104
	ds_read_b32 v1, v20 offset:28672
	s_and_b64 vcc, exec, s[2:3]
	s_cbranch_vccnz .LBB2724_100
; %bb.84:
	v_mov_b32_e32 v39, 0
	v_lshl_add_u64 v[4:5], s[28:29], 0, v[22:23]
	v_lshlrev_b64 v[40:41], 2, v[38:39]
	v_lshl_add_u64 v[4:5], v[4:5], 0, v[40:41]
	v_cmp_gt_u32_e32 vcc, v36, v0
	s_and_saveexec_b64 s[0:1], vcc
	s_cbranch_execnz .LBB2724_122
; %bb.85:
	s_or_b64 exec, exec, s[0:1]
	v_cmp_lt_u32_e32 vcc, v37, v36
	s_and_saveexec_b64 s[0:1], vcc
	s_cbranch_execnz .LBB2724_123
.LBB2724_86:
	s_or_b64 exec, exec, s[0:1]
	v_cmp_lt_u32_e32 vcc, v35, v36
	s_and_saveexec_b64 s[0:1], vcc
	s_cbranch_execnz .LBB2724_124
.LBB2724_87:
	s_or_b64 exec, exec, s[0:1]
	v_cmp_lt_u32_e32 vcc, v34, v36
	s_and_saveexec_b64 s[0:1], vcc
	s_cbranch_execnz .LBB2724_125
.LBB2724_88:
	s_or_b64 exec, exec, s[0:1]
	v_cmp_lt_u32_e32 vcc, v33, v36
	s_and_saveexec_b64 s[0:1], vcc
	s_cbranch_execnz .LBB2724_126
.LBB2724_89:
	s_or_b64 exec, exec, s[0:1]
	v_cmp_lt_u32_e32 vcc, v32, v36
	s_and_saveexec_b64 s[0:1], vcc
	s_cbranch_execnz .LBB2724_127
.LBB2724_90:
	s_or_b64 exec, exec, s[0:1]
	v_cmp_lt_u32_e32 vcc, v31, v36
	s_and_saveexec_b64 s[0:1], vcc
	s_cbranch_execnz .LBB2724_128
.LBB2724_91:
	s_or_b64 exec, exec, s[0:1]
	v_cmp_lt_u32_e32 vcc, v30, v36
	s_and_saveexec_b64 s[0:1], vcc
	s_cbranch_execnz .LBB2724_129
.LBB2724_92:
	s_or_b64 exec, exec, s[0:1]
	v_cmp_lt_u32_e32 vcc, v29, v36
	s_and_saveexec_b64 s[0:1], vcc
	s_cbranch_execnz .LBB2724_130
.LBB2724_93:
	s_or_b64 exec, exec, s[0:1]
	v_cmp_lt_u32_e32 vcc, v28, v36
	s_and_saveexec_b64 s[0:1], vcc
	s_cbranch_execnz .LBB2724_131
.LBB2724_94:
	s_or_b64 exec, exec, s[0:1]
	v_cmp_lt_u32_e32 vcc, v27, v36
	s_and_saveexec_b64 s[0:1], vcc
	s_cbranch_execnz .LBB2724_132
.LBB2724_95:
	s_or_b64 exec, exec, s[0:1]
	v_cmp_lt_u32_e32 vcc, v26, v36
	s_and_saveexec_b64 s[0:1], vcc
	s_cbranch_execnz .LBB2724_133
.LBB2724_96:
	s_or_b64 exec, exec, s[0:1]
	v_cmp_lt_u32_e32 vcc, v25, v36
	s_and_saveexec_b64 s[0:1], vcc
	s_cbranch_execnz .LBB2724_134
.LBB2724_97:
	s_or_b64 exec, exec, s[0:1]
	v_cmp_lt_u32_e32 vcc, v24, v36
	s_and_saveexec_b64 s[0:1], vcc
	s_cbranch_execz .LBB2724_99
.LBB2724_98:
	v_lshlrev_b32_e32 v39, 2, v24
	v_readfirstlane_b32 s2, v4
	v_readfirstlane_b32 s3, v5
	s_waitcnt lgkmcnt(1)
	s_nop 3
	global_store_dword v39, v3, s[2:3]
.LBB2724_99:
	s_or_b64 exec, exec, s[0:1]
	v_cmp_lt_u32_e64 s[0:1], v21, v36
	s_branch .LBB2724_117
.LBB2724_100:
	s_mov_b64 s[0:1], 0
                                        ; implicit-def: $vgpr4_vgpr5
	s_cbranch_execz .LBB2724_117
; %bb.101:
	v_mov_b32_e32 v39, 0
	v_min_u32_e32 v40, s33, v36
	v_lshl_add_u64 v[4:5], s[28:29], 0, v[22:23]
	v_lshlrev_b64 v[22:23], 2, v[38:39]
	v_lshl_add_u64 v[4:5], v[4:5], 0, v[22:23]
	v_cmp_gt_u32_e32 vcc, v40, v0
	s_and_saveexec_b64 s[0:1], vcc
	s_cbranch_execnz .LBB2724_135
; %bb.102:
	s_or_b64 exec, exec, s[0:1]
	v_cmp_lt_u32_e32 vcc, v37, v40
	s_and_saveexec_b64 s[0:1], vcc
	s_cbranch_execnz .LBB2724_136
.LBB2724_103:
	s_or_b64 exec, exec, s[0:1]
	v_cmp_lt_u32_e32 vcc, v35, v40
	s_and_saveexec_b64 s[0:1], vcc
	s_cbranch_execnz .LBB2724_137
.LBB2724_104:
	s_or_b64 exec, exec, s[0:1]
	v_cmp_lt_u32_e32 vcc, v34, v40
	s_and_saveexec_b64 s[0:1], vcc
	s_cbranch_execnz .LBB2724_138
.LBB2724_105:
	s_or_b64 exec, exec, s[0:1]
	v_cmp_lt_u32_e32 vcc, v33, v40
	s_and_saveexec_b64 s[0:1], vcc
	s_cbranch_execnz .LBB2724_139
.LBB2724_106:
	s_or_b64 exec, exec, s[0:1]
	v_cmp_lt_u32_e32 vcc, v32, v40
	s_and_saveexec_b64 s[0:1], vcc
	s_cbranch_execnz .LBB2724_140
.LBB2724_107:
	s_or_b64 exec, exec, s[0:1]
	v_cmp_lt_u32_e32 vcc, v31, v40
	s_and_saveexec_b64 s[0:1], vcc
	s_cbranch_execnz .LBB2724_141
.LBB2724_108:
	s_or_b64 exec, exec, s[0:1]
	v_cmp_lt_u32_e32 vcc, v30, v40
	s_and_saveexec_b64 s[0:1], vcc
	s_cbranch_execnz .LBB2724_142
.LBB2724_109:
	s_or_b64 exec, exec, s[0:1]
	v_cmp_lt_u32_e32 vcc, v29, v40
	s_and_saveexec_b64 s[0:1], vcc
	s_cbranch_execnz .LBB2724_143
.LBB2724_110:
	s_or_b64 exec, exec, s[0:1]
	v_cmp_lt_u32_e32 vcc, v28, v40
	s_and_saveexec_b64 s[0:1], vcc
	s_cbranch_execnz .LBB2724_144
.LBB2724_111:
	s_or_b64 exec, exec, s[0:1]
	v_cmp_lt_u32_e32 vcc, v27, v40
	s_and_saveexec_b64 s[0:1], vcc
	s_cbranch_execnz .LBB2724_145
.LBB2724_112:
	s_or_b64 exec, exec, s[0:1]
	v_cmp_lt_u32_e32 vcc, v26, v40
	s_and_saveexec_b64 s[0:1], vcc
	s_cbranch_execnz .LBB2724_146
.LBB2724_113:
	s_or_b64 exec, exec, s[0:1]
	v_cmp_lt_u32_e32 vcc, v25, v40
	s_and_saveexec_b64 s[0:1], vcc
	s_cbranch_execnz .LBB2724_147
.LBB2724_114:
	s_or_b64 exec, exec, s[0:1]
	v_cmp_lt_u32_e32 vcc, v24, v40
	s_and_saveexec_b64 s[0:1], vcc
	s_cbranch_execz .LBB2724_116
.LBB2724_115:
	v_lshlrev_b32_e32 v0, 2, v24
	v_readfirstlane_b32 s2, v4
	v_readfirstlane_b32 s3, v5
	s_waitcnt lgkmcnt(1)
	s_nop 3
	global_store_dword v0, v3, s[2:3]
.LBB2724_116:
	s_or_b64 exec, exec, s[0:1]
	v_cmp_lt_u32_e64 s[0:1], v21, v40
.LBB2724_117:
	s_and_saveexec_b64 s[2:3], s[0:1]
	s_cbranch_execnz .LBB2724_120
; %bb.118:
	s_or_b64 exec, exec, s[2:3]
	s_and_b64 s[0:1], s[20:21], s[22:23]
	s_and_saveexec_b64 s[2:3], s[0:1]
	s_cbranch_execnz .LBB2724_121
.LBB2724_119:
	s_endpgm
.LBB2724_120:
	v_lshlrev_b32_e32 v0, 2, v21
	v_readfirstlane_b32 s0, v4
	v_readfirstlane_b32 s1, v5
	s_waitcnt lgkmcnt(0)
	s_nop 3
	global_store_dword v0, v1, s[0:1]
	s_or_b64 exec, exec, s[2:3]
	s_and_b64 s[0:1], s[20:21], s[22:23]
	s_and_saveexec_b64 s[2:3], s[0:1]
	s_cbranch_execz .LBB2724_119
.LBB2724_121:
	v_mov_b32_e32 v37, 0
	s_waitcnt lgkmcnt(0)
	v_lshl_add_u64 v[0:1], v[18:19], 0, v[36:37]
	v_mov_b32_e32 v39, v37
	v_lshl_add_u64 v[0:1], v[0:1], 0, v[38:39]
	global_store_dwordx2 v37, v[0:1], s[24:25]
	s_endpgm
.LBB2724_122:
	v_readfirstlane_b32 s2, v4
	v_readfirstlane_b32 s3, v5
	s_waitcnt lgkmcnt(7)
	s_nop 3
	global_store_dword v20, v16, s[2:3]
	s_or_b64 exec, exec, s[0:1]
	v_cmp_lt_u32_e32 vcc, v37, v36
	s_and_saveexec_b64 s[0:1], vcc
	s_cbranch_execz .LBB2724_86
.LBB2724_123:
	v_readfirstlane_b32 s2, v4
	v_readfirstlane_b32 s3, v5
	s_waitcnt lgkmcnt(7)
	s_nop 3
	global_store_dword v20, v17, s[2:3] offset:2048
	s_or_b64 exec, exec, s[0:1]
	v_cmp_lt_u32_e32 vcc, v35, v36
	s_and_saveexec_b64 s[0:1], vcc
	s_cbranch_execz .LBB2724_87
.LBB2724_124:
	v_lshlrev_b32_e32 v39, 2, v35
	v_readfirstlane_b32 s2, v4
	v_readfirstlane_b32 s3, v5
	s_waitcnt lgkmcnt(6)
	s_nop 3
	global_store_dword v39, v14, s[2:3]
	s_or_b64 exec, exec, s[0:1]
	v_cmp_lt_u32_e32 vcc, v34, v36
	s_and_saveexec_b64 s[0:1], vcc
	s_cbranch_execz .LBB2724_88
.LBB2724_125:
	v_lshlrev_b32_e32 v39, 2, v34
	v_readfirstlane_b32 s2, v4
	v_readfirstlane_b32 s3, v5
	s_waitcnt lgkmcnt(6)
	s_nop 3
	global_store_dword v39, v15, s[2:3]
	s_or_b64 exec, exec, s[0:1]
	v_cmp_lt_u32_e32 vcc, v33, v36
	s_and_saveexec_b64 s[0:1], vcc
	s_cbranch_execz .LBB2724_89
.LBB2724_126:
	v_lshlrev_b32_e32 v39, 2, v33
	v_readfirstlane_b32 s2, v4
	v_readfirstlane_b32 s3, v5
	s_waitcnt lgkmcnt(5)
	s_nop 3
	global_store_dword v39, v12, s[2:3]
	s_or_b64 exec, exec, s[0:1]
	v_cmp_lt_u32_e32 vcc, v32, v36
	s_and_saveexec_b64 s[0:1], vcc
	s_cbranch_execz .LBB2724_90
.LBB2724_127:
	v_lshlrev_b32_e32 v39, 2, v32
	v_readfirstlane_b32 s2, v4
	v_readfirstlane_b32 s3, v5
	s_waitcnt lgkmcnt(5)
	s_nop 3
	global_store_dword v39, v13, s[2:3]
	s_or_b64 exec, exec, s[0:1]
	v_cmp_lt_u32_e32 vcc, v31, v36
	s_and_saveexec_b64 s[0:1], vcc
	s_cbranch_execz .LBB2724_91
.LBB2724_128:
	v_lshlrev_b32_e32 v39, 2, v31
	v_readfirstlane_b32 s2, v4
	v_readfirstlane_b32 s3, v5
	s_waitcnt lgkmcnt(4)
	s_nop 3
	global_store_dword v39, v10, s[2:3]
	s_or_b64 exec, exec, s[0:1]
	v_cmp_lt_u32_e32 vcc, v30, v36
	s_and_saveexec_b64 s[0:1], vcc
	s_cbranch_execz .LBB2724_92
.LBB2724_129:
	v_lshlrev_b32_e32 v39, 2, v30
	v_readfirstlane_b32 s2, v4
	v_readfirstlane_b32 s3, v5
	s_waitcnt lgkmcnt(4)
	s_nop 3
	global_store_dword v39, v11, s[2:3]
	s_or_b64 exec, exec, s[0:1]
	v_cmp_lt_u32_e32 vcc, v29, v36
	s_and_saveexec_b64 s[0:1], vcc
	s_cbranch_execz .LBB2724_93
.LBB2724_130:
	v_lshlrev_b32_e32 v39, 2, v29
	v_readfirstlane_b32 s2, v4
	v_readfirstlane_b32 s3, v5
	s_waitcnt lgkmcnt(3)
	s_nop 3
	global_store_dword v39, v8, s[2:3]
	s_or_b64 exec, exec, s[0:1]
	v_cmp_lt_u32_e32 vcc, v28, v36
	s_and_saveexec_b64 s[0:1], vcc
	s_cbranch_execz .LBB2724_94
.LBB2724_131:
	v_lshlrev_b32_e32 v39, 2, v28
	v_readfirstlane_b32 s2, v4
	v_readfirstlane_b32 s3, v5
	s_waitcnt lgkmcnt(3)
	s_nop 3
	global_store_dword v39, v9, s[2:3]
	s_or_b64 exec, exec, s[0:1]
	v_cmp_lt_u32_e32 vcc, v27, v36
	s_and_saveexec_b64 s[0:1], vcc
	s_cbranch_execz .LBB2724_95
.LBB2724_132:
	v_lshlrev_b32_e32 v39, 2, v27
	v_readfirstlane_b32 s2, v4
	v_readfirstlane_b32 s3, v5
	s_waitcnt lgkmcnt(2)
	s_nop 3
	global_store_dword v39, v6, s[2:3]
	s_or_b64 exec, exec, s[0:1]
	v_cmp_lt_u32_e32 vcc, v26, v36
	s_and_saveexec_b64 s[0:1], vcc
	s_cbranch_execz .LBB2724_96
.LBB2724_133:
	v_lshlrev_b32_e32 v39, 2, v26
	v_readfirstlane_b32 s2, v4
	v_readfirstlane_b32 s3, v5
	s_waitcnt lgkmcnt(2)
	s_nop 3
	global_store_dword v39, v7, s[2:3]
	s_or_b64 exec, exec, s[0:1]
	v_cmp_lt_u32_e32 vcc, v25, v36
	s_and_saveexec_b64 s[0:1], vcc
	s_cbranch_execz .LBB2724_97
.LBB2724_134:
	v_lshlrev_b32_e32 v39, 2, v25
	v_readfirstlane_b32 s2, v4
	v_readfirstlane_b32 s3, v5
	s_waitcnt lgkmcnt(1)
	s_nop 3
	global_store_dword v39, v2, s[2:3]
	s_or_b64 exec, exec, s[0:1]
	v_cmp_lt_u32_e32 vcc, v24, v36
	s_and_saveexec_b64 s[0:1], vcc
	s_cbranch_execnz .LBB2724_98
	s_branch .LBB2724_99
.LBB2724_135:
	v_readfirstlane_b32 s2, v4
	v_readfirstlane_b32 s3, v5
	s_waitcnt lgkmcnt(7)
	s_nop 3
	global_store_dword v20, v16, s[2:3]
	s_or_b64 exec, exec, s[0:1]
	v_cmp_lt_u32_e32 vcc, v37, v40
	s_and_saveexec_b64 s[0:1], vcc
	s_cbranch_execz .LBB2724_103
.LBB2724_136:
	v_readfirstlane_b32 s2, v4
	v_readfirstlane_b32 s3, v5
	s_waitcnt lgkmcnt(7)
	s_nop 3
	global_store_dword v20, v17, s[2:3] offset:2048
	s_or_b64 exec, exec, s[0:1]
	v_cmp_lt_u32_e32 vcc, v35, v40
	s_and_saveexec_b64 s[0:1], vcc
	s_cbranch_execz .LBB2724_104
.LBB2724_137:
	v_lshlrev_b32_e32 v0, 2, v35
	v_readfirstlane_b32 s2, v4
	v_readfirstlane_b32 s3, v5
	s_waitcnt lgkmcnt(6)
	s_nop 3
	global_store_dword v0, v14, s[2:3]
	s_or_b64 exec, exec, s[0:1]
	v_cmp_lt_u32_e32 vcc, v34, v40
	s_and_saveexec_b64 s[0:1], vcc
	s_cbranch_execz .LBB2724_105
.LBB2724_138:
	v_lshlrev_b32_e32 v0, 2, v34
	v_readfirstlane_b32 s2, v4
	v_readfirstlane_b32 s3, v5
	s_waitcnt lgkmcnt(6)
	s_nop 3
	global_store_dword v0, v15, s[2:3]
	s_or_b64 exec, exec, s[0:1]
	v_cmp_lt_u32_e32 vcc, v33, v40
	s_and_saveexec_b64 s[0:1], vcc
	s_cbranch_execz .LBB2724_106
.LBB2724_139:
	v_lshlrev_b32_e32 v0, 2, v33
	v_readfirstlane_b32 s2, v4
	v_readfirstlane_b32 s3, v5
	s_waitcnt lgkmcnt(5)
	s_nop 3
	global_store_dword v0, v12, s[2:3]
	s_or_b64 exec, exec, s[0:1]
	v_cmp_lt_u32_e32 vcc, v32, v40
	s_and_saveexec_b64 s[0:1], vcc
	s_cbranch_execz .LBB2724_107
.LBB2724_140:
	v_lshlrev_b32_e32 v0, 2, v32
	v_readfirstlane_b32 s2, v4
	v_readfirstlane_b32 s3, v5
	s_waitcnt lgkmcnt(5)
	s_nop 3
	global_store_dword v0, v13, s[2:3]
	s_or_b64 exec, exec, s[0:1]
	v_cmp_lt_u32_e32 vcc, v31, v40
	s_and_saveexec_b64 s[0:1], vcc
	s_cbranch_execz .LBB2724_108
.LBB2724_141:
	v_lshlrev_b32_e32 v0, 2, v31
	v_readfirstlane_b32 s2, v4
	v_readfirstlane_b32 s3, v5
	s_waitcnt lgkmcnt(4)
	s_nop 3
	global_store_dword v0, v10, s[2:3]
	s_or_b64 exec, exec, s[0:1]
	v_cmp_lt_u32_e32 vcc, v30, v40
	s_and_saveexec_b64 s[0:1], vcc
	s_cbranch_execz .LBB2724_109
.LBB2724_142:
	v_lshlrev_b32_e32 v0, 2, v30
	v_readfirstlane_b32 s2, v4
	v_readfirstlane_b32 s3, v5
	s_waitcnt lgkmcnt(4)
	s_nop 3
	global_store_dword v0, v11, s[2:3]
	s_or_b64 exec, exec, s[0:1]
	v_cmp_lt_u32_e32 vcc, v29, v40
	s_and_saveexec_b64 s[0:1], vcc
	s_cbranch_execz .LBB2724_110
.LBB2724_143:
	v_lshlrev_b32_e32 v0, 2, v29
	v_readfirstlane_b32 s2, v4
	v_readfirstlane_b32 s3, v5
	s_waitcnt lgkmcnt(3)
	s_nop 3
	global_store_dword v0, v8, s[2:3]
	s_or_b64 exec, exec, s[0:1]
	v_cmp_lt_u32_e32 vcc, v28, v40
	s_and_saveexec_b64 s[0:1], vcc
	s_cbranch_execz .LBB2724_111
.LBB2724_144:
	v_lshlrev_b32_e32 v0, 2, v28
	v_readfirstlane_b32 s2, v4
	v_readfirstlane_b32 s3, v5
	s_waitcnt lgkmcnt(3)
	s_nop 3
	global_store_dword v0, v9, s[2:3]
	s_or_b64 exec, exec, s[0:1]
	v_cmp_lt_u32_e32 vcc, v27, v40
	s_and_saveexec_b64 s[0:1], vcc
	s_cbranch_execz .LBB2724_112
.LBB2724_145:
	v_lshlrev_b32_e32 v0, 2, v27
	v_readfirstlane_b32 s2, v4
	v_readfirstlane_b32 s3, v5
	s_waitcnt lgkmcnt(2)
	s_nop 3
	global_store_dword v0, v6, s[2:3]
	s_or_b64 exec, exec, s[0:1]
	v_cmp_lt_u32_e32 vcc, v26, v40
	s_and_saveexec_b64 s[0:1], vcc
	s_cbranch_execz .LBB2724_113
.LBB2724_146:
	v_lshlrev_b32_e32 v0, 2, v26
	v_readfirstlane_b32 s2, v4
	v_readfirstlane_b32 s3, v5
	s_waitcnt lgkmcnt(2)
	s_nop 3
	global_store_dword v0, v7, s[2:3]
	s_or_b64 exec, exec, s[0:1]
	v_cmp_lt_u32_e32 vcc, v25, v40
	s_and_saveexec_b64 s[0:1], vcc
	s_cbranch_execz .LBB2724_114
.LBB2724_147:
	v_lshlrev_b32_e32 v0, 2, v25
	v_readfirstlane_b32 s2, v4
	v_readfirstlane_b32 s3, v5
	s_waitcnt lgkmcnt(1)
	s_nop 3
	global_store_dword v0, v2, s[2:3]
	s_or_b64 exec, exec, s[0:1]
	v_cmp_lt_u32_e32 vcc, v24, v40
	s_and_saveexec_b64 s[0:1], vcc
	s_cbranch_execnz .LBB2724_115
	s_branch .LBB2724_116
	.section	.rodata,"a",@progbits
	.p2align	6, 0x0
	.amdhsa_kernel _ZN7rocprim17ROCPRIM_400000_NS6detail17trampoline_kernelINS0_14default_configENS1_25partition_config_selectorILNS1_17partition_subalgoE0EiNS0_10empty_typeEbEEZZNS1_14partition_implILS5_0ELb0ES3_jN6thrust23THRUST_200600_302600_NS6detail15normal_iteratorINSA_10device_ptrIiEEEEPS6_SG_NS0_5tupleIJSF_NSA_16discard_iteratorINSA_11use_defaultEEEEEENSH_IJSG_SG_EEES6_PlJ7is_evenIiEEEE10hipError_tPvRmT3_T4_T5_T6_T7_T9_mT8_P12ihipStream_tbDpT10_ENKUlT_T0_E_clISt17integral_constantIbLb1EES19_EEDaS14_S15_EUlS14_E_NS1_11comp_targetILNS1_3genE5ELNS1_11target_archE942ELNS1_3gpuE9ELNS1_3repE0EEENS1_30default_config_static_selectorELNS0_4arch9wavefront6targetE1EEEvT1_
		.amdhsa_group_segment_fixed_size 30728
		.amdhsa_private_segment_fixed_size 0
		.amdhsa_kernarg_size 144
		.amdhsa_user_sgpr_count 2
		.amdhsa_user_sgpr_dispatch_ptr 0
		.amdhsa_user_sgpr_queue_ptr 0
		.amdhsa_user_sgpr_kernarg_segment_ptr 1
		.amdhsa_user_sgpr_dispatch_id 0
		.amdhsa_user_sgpr_kernarg_preload_length 0
		.amdhsa_user_sgpr_kernarg_preload_offset 0
		.amdhsa_user_sgpr_private_segment_size 0
		.amdhsa_uses_dynamic_stack 0
		.amdhsa_enable_private_segment 0
		.amdhsa_system_sgpr_workgroup_id_x 1
		.amdhsa_system_sgpr_workgroup_id_y 0
		.amdhsa_system_sgpr_workgroup_id_z 0
		.amdhsa_system_sgpr_workgroup_info 0
		.amdhsa_system_vgpr_workitem_id 0
		.amdhsa_next_free_vgpr 78
		.amdhsa_next_free_sgpr 40
		.amdhsa_accum_offset 80
		.amdhsa_reserve_vcc 1
		.amdhsa_float_round_mode_32 0
		.amdhsa_float_round_mode_16_64 0
		.amdhsa_float_denorm_mode_32 3
		.amdhsa_float_denorm_mode_16_64 3
		.amdhsa_dx10_clamp 1
		.amdhsa_ieee_mode 1
		.amdhsa_fp16_overflow 0
		.amdhsa_tg_split 0
		.amdhsa_exception_fp_ieee_invalid_op 0
		.amdhsa_exception_fp_denorm_src 0
		.amdhsa_exception_fp_ieee_div_zero 0
		.amdhsa_exception_fp_ieee_overflow 0
		.amdhsa_exception_fp_ieee_underflow 0
		.amdhsa_exception_fp_ieee_inexact 0
		.amdhsa_exception_int_div_zero 0
	.end_amdhsa_kernel
	.section	.text._ZN7rocprim17ROCPRIM_400000_NS6detail17trampoline_kernelINS0_14default_configENS1_25partition_config_selectorILNS1_17partition_subalgoE0EiNS0_10empty_typeEbEEZZNS1_14partition_implILS5_0ELb0ES3_jN6thrust23THRUST_200600_302600_NS6detail15normal_iteratorINSA_10device_ptrIiEEEEPS6_SG_NS0_5tupleIJSF_NSA_16discard_iteratorINSA_11use_defaultEEEEEENSH_IJSG_SG_EEES6_PlJ7is_evenIiEEEE10hipError_tPvRmT3_T4_T5_T6_T7_T9_mT8_P12ihipStream_tbDpT10_ENKUlT_T0_E_clISt17integral_constantIbLb1EES19_EEDaS14_S15_EUlS14_E_NS1_11comp_targetILNS1_3genE5ELNS1_11target_archE942ELNS1_3gpuE9ELNS1_3repE0EEENS1_30default_config_static_selectorELNS0_4arch9wavefront6targetE1EEEvT1_,"axG",@progbits,_ZN7rocprim17ROCPRIM_400000_NS6detail17trampoline_kernelINS0_14default_configENS1_25partition_config_selectorILNS1_17partition_subalgoE0EiNS0_10empty_typeEbEEZZNS1_14partition_implILS5_0ELb0ES3_jN6thrust23THRUST_200600_302600_NS6detail15normal_iteratorINSA_10device_ptrIiEEEEPS6_SG_NS0_5tupleIJSF_NSA_16discard_iteratorINSA_11use_defaultEEEEEENSH_IJSG_SG_EEES6_PlJ7is_evenIiEEEE10hipError_tPvRmT3_T4_T5_T6_T7_T9_mT8_P12ihipStream_tbDpT10_ENKUlT_T0_E_clISt17integral_constantIbLb1EES19_EEDaS14_S15_EUlS14_E_NS1_11comp_targetILNS1_3genE5ELNS1_11target_archE942ELNS1_3gpuE9ELNS1_3repE0EEENS1_30default_config_static_selectorELNS0_4arch9wavefront6targetE1EEEvT1_,comdat
.Lfunc_end2724:
	.size	_ZN7rocprim17ROCPRIM_400000_NS6detail17trampoline_kernelINS0_14default_configENS1_25partition_config_selectorILNS1_17partition_subalgoE0EiNS0_10empty_typeEbEEZZNS1_14partition_implILS5_0ELb0ES3_jN6thrust23THRUST_200600_302600_NS6detail15normal_iteratorINSA_10device_ptrIiEEEEPS6_SG_NS0_5tupleIJSF_NSA_16discard_iteratorINSA_11use_defaultEEEEEENSH_IJSG_SG_EEES6_PlJ7is_evenIiEEEE10hipError_tPvRmT3_T4_T5_T6_T7_T9_mT8_P12ihipStream_tbDpT10_ENKUlT_T0_E_clISt17integral_constantIbLb1EES19_EEDaS14_S15_EUlS14_E_NS1_11comp_targetILNS1_3genE5ELNS1_11target_archE942ELNS1_3gpuE9ELNS1_3repE0EEENS1_30default_config_static_selectorELNS0_4arch9wavefront6targetE1EEEvT1_, .Lfunc_end2724-_ZN7rocprim17ROCPRIM_400000_NS6detail17trampoline_kernelINS0_14default_configENS1_25partition_config_selectorILNS1_17partition_subalgoE0EiNS0_10empty_typeEbEEZZNS1_14partition_implILS5_0ELb0ES3_jN6thrust23THRUST_200600_302600_NS6detail15normal_iteratorINSA_10device_ptrIiEEEEPS6_SG_NS0_5tupleIJSF_NSA_16discard_iteratorINSA_11use_defaultEEEEEENSH_IJSG_SG_EEES6_PlJ7is_evenIiEEEE10hipError_tPvRmT3_T4_T5_T6_T7_T9_mT8_P12ihipStream_tbDpT10_ENKUlT_T0_E_clISt17integral_constantIbLb1EES19_EEDaS14_S15_EUlS14_E_NS1_11comp_targetILNS1_3genE5ELNS1_11target_archE942ELNS1_3gpuE9ELNS1_3repE0EEENS1_30default_config_static_selectorELNS0_4arch9wavefront6targetE1EEEvT1_
                                        ; -- End function
	.section	.AMDGPU.csdata,"",@progbits
; Kernel info:
; codeLenInByte = 6932
; NumSgprs: 46
; NumVgprs: 78
; NumAgprs: 0
; TotalNumVgprs: 78
; ScratchSize: 0
; MemoryBound: 0
; FloatMode: 240
; IeeeMode: 1
; LDSByteSize: 30728 bytes/workgroup (compile time only)
; SGPRBlocks: 5
; VGPRBlocks: 9
; NumSGPRsForWavesPerEU: 46
; NumVGPRsForWavesPerEU: 78
; AccumOffset: 80
; Occupancy: 4
; WaveLimiterHint : 1
; COMPUTE_PGM_RSRC2:SCRATCH_EN: 0
; COMPUTE_PGM_RSRC2:USER_SGPR: 2
; COMPUTE_PGM_RSRC2:TRAP_HANDLER: 0
; COMPUTE_PGM_RSRC2:TGID_X_EN: 1
; COMPUTE_PGM_RSRC2:TGID_Y_EN: 0
; COMPUTE_PGM_RSRC2:TGID_Z_EN: 0
; COMPUTE_PGM_RSRC2:TIDIG_COMP_CNT: 0
; COMPUTE_PGM_RSRC3_GFX90A:ACCUM_OFFSET: 19
; COMPUTE_PGM_RSRC3_GFX90A:TG_SPLIT: 0
	.section	.text._ZN7rocprim17ROCPRIM_400000_NS6detail17trampoline_kernelINS0_14default_configENS1_25partition_config_selectorILNS1_17partition_subalgoE0EiNS0_10empty_typeEbEEZZNS1_14partition_implILS5_0ELb0ES3_jN6thrust23THRUST_200600_302600_NS6detail15normal_iteratorINSA_10device_ptrIiEEEEPS6_SG_NS0_5tupleIJSF_NSA_16discard_iteratorINSA_11use_defaultEEEEEENSH_IJSG_SG_EEES6_PlJ7is_evenIiEEEE10hipError_tPvRmT3_T4_T5_T6_T7_T9_mT8_P12ihipStream_tbDpT10_ENKUlT_T0_E_clISt17integral_constantIbLb1EES19_EEDaS14_S15_EUlS14_E_NS1_11comp_targetILNS1_3genE4ELNS1_11target_archE910ELNS1_3gpuE8ELNS1_3repE0EEENS1_30default_config_static_selectorELNS0_4arch9wavefront6targetE1EEEvT1_,"axG",@progbits,_ZN7rocprim17ROCPRIM_400000_NS6detail17trampoline_kernelINS0_14default_configENS1_25partition_config_selectorILNS1_17partition_subalgoE0EiNS0_10empty_typeEbEEZZNS1_14partition_implILS5_0ELb0ES3_jN6thrust23THRUST_200600_302600_NS6detail15normal_iteratorINSA_10device_ptrIiEEEEPS6_SG_NS0_5tupleIJSF_NSA_16discard_iteratorINSA_11use_defaultEEEEEENSH_IJSG_SG_EEES6_PlJ7is_evenIiEEEE10hipError_tPvRmT3_T4_T5_T6_T7_T9_mT8_P12ihipStream_tbDpT10_ENKUlT_T0_E_clISt17integral_constantIbLb1EES19_EEDaS14_S15_EUlS14_E_NS1_11comp_targetILNS1_3genE4ELNS1_11target_archE910ELNS1_3gpuE8ELNS1_3repE0EEENS1_30default_config_static_selectorELNS0_4arch9wavefront6targetE1EEEvT1_,comdat
	.protected	_ZN7rocprim17ROCPRIM_400000_NS6detail17trampoline_kernelINS0_14default_configENS1_25partition_config_selectorILNS1_17partition_subalgoE0EiNS0_10empty_typeEbEEZZNS1_14partition_implILS5_0ELb0ES3_jN6thrust23THRUST_200600_302600_NS6detail15normal_iteratorINSA_10device_ptrIiEEEEPS6_SG_NS0_5tupleIJSF_NSA_16discard_iteratorINSA_11use_defaultEEEEEENSH_IJSG_SG_EEES6_PlJ7is_evenIiEEEE10hipError_tPvRmT3_T4_T5_T6_T7_T9_mT8_P12ihipStream_tbDpT10_ENKUlT_T0_E_clISt17integral_constantIbLb1EES19_EEDaS14_S15_EUlS14_E_NS1_11comp_targetILNS1_3genE4ELNS1_11target_archE910ELNS1_3gpuE8ELNS1_3repE0EEENS1_30default_config_static_selectorELNS0_4arch9wavefront6targetE1EEEvT1_ ; -- Begin function _ZN7rocprim17ROCPRIM_400000_NS6detail17trampoline_kernelINS0_14default_configENS1_25partition_config_selectorILNS1_17partition_subalgoE0EiNS0_10empty_typeEbEEZZNS1_14partition_implILS5_0ELb0ES3_jN6thrust23THRUST_200600_302600_NS6detail15normal_iteratorINSA_10device_ptrIiEEEEPS6_SG_NS0_5tupleIJSF_NSA_16discard_iteratorINSA_11use_defaultEEEEEENSH_IJSG_SG_EEES6_PlJ7is_evenIiEEEE10hipError_tPvRmT3_T4_T5_T6_T7_T9_mT8_P12ihipStream_tbDpT10_ENKUlT_T0_E_clISt17integral_constantIbLb1EES19_EEDaS14_S15_EUlS14_E_NS1_11comp_targetILNS1_3genE4ELNS1_11target_archE910ELNS1_3gpuE8ELNS1_3repE0EEENS1_30default_config_static_selectorELNS0_4arch9wavefront6targetE1EEEvT1_
	.globl	_ZN7rocprim17ROCPRIM_400000_NS6detail17trampoline_kernelINS0_14default_configENS1_25partition_config_selectorILNS1_17partition_subalgoE0EiNS0_10empty_typeEbEEZZNS1_14partition_implILS5_0ELb0ES3_jN6thrust23THRUST_200600_302600_NS6detail15normal_iteratorINSA_10device_ptrIiEEEEPS6_SG_NS0_5tupleIJSF_NSA_16discard_iteratorINSA_11use_defaultEEEEEENSH_IJSG_SG_EEES6_PlJ7is_evenIiEEEE10hipError_tPvRmT3_T4_T5_T6_T7_T9_mT8_P12ihipStream_tbDpT10_ENKUlT_T0_E_clISt17integral_constantIbLb1EES19_EEDaS14_S15_EUlS14_E_NS1_11comp_targetILNS1_3genE4ELNS1_11target_archE910ELNS1_3gpuE8ELNS1_3repE0EEENS1_30default_config_static_selectorELNS0_4arch9wavefront6targetE1EEEvT1_
	.p2align	8
	.type	_ZN7rocprim17ROCPRIM_400000_NS6detail17trampoline_kernelINS0_14default_configENS1_25partition_config_selectorILNS1_17partition_subalgoE0EiNS0_10empty_typeEbEEZZNS1_14partition_implILS5_0ELb0ES3_jN6thrust23THRUST_200600_302600_NS6detail15normal_iteratorINSA_10device_ptrIiEEEEPS6_SG_NS0_5tupleIJSF_NSA_16discard_iteratorINSA_11use_defaultEEEEEENSH_IJSG_SG_EEES6_PlJ7is_evenIiEEEE10hipError_tPvRmT3_T4_T5_T6_T7_T9_mT8_P12ihipStream_tbDpT10_ENKUlT_T0_E_clISt17integral_constantIbLb1EES19_EEDaS14_S15_EUlS14_E_NS1_11comp_targetILNS1_3genE4ELNS1_11target_archE910ELNS1_3gpuE8ELNS1_3repE0EEENS1_30default_config_static_selectorELNS0_4arch9wavefront6targetE1EEEvT1_,@function
_ZN7rocprim17ROCPRIM_400000_NS6detail17trampoline_kernelINS0_14default_configENS1_25partition_config_selectorILNS1_17partition_subalgoE0EiNS0_10empty_typeEbEEZZNS1_14partition_implILS5_0ELb0ES3_jN6thrust23THRUST_200600_302600_NS6detail15normal_iteratorINSA_10device_ptrIiEEEEPS6_SG_NS0_5tupleIJSF_NSA_16discard_iteratorINSA_11use_defaultEEEEEENSH_IJSG_SG_EEES6_PlJ7is_evenIiEEEE10hipError_tPvRmT3_T4_T5_T6_T7_T9_mT8_P12ihipStream_tbDpT10_ENKUlT_T0_E_clISt17integral_constantIbLb1EES19_EEDaS14_S15_EUlS14_E_NS1_11comp_targetILNS1_3genE4ELNS1_11target_archE910ELNS1_3gpuE8ELNS1_3repE0EEENS1_30default_config_static_selectorELNS0_4arch9wavefront6targetE1EEEvT1_: ; @_ZN7rocprim17ROCPRIM_400000_NS6detail17trampoline_kernelINS0_14default_configENS1_25partition_config_selectorILNS1_17partition_subalgoE0EiNS0_10empty_typeEbEEZZNS1_14partition_implILS5_0ELb0ES3_jN6thrust23THRUST_200600_302600_NS6detail15normal_iteratorINSA_10device_ptrIiEEEEPS6_SG_NS0_5tupleIJSF_NSA_16discard_iteratorINSA_11use_defaultEEEEEENSH_IJSG_SG_EEES6_PlJ7is_evenIiEEEE10hipError_tPvRmT3_T4_T5_T6_T7_T9_mT8_P12ihipStream_tbDpT10_ENKUlT_T0_E_clISt17integral_constantIbLb1EES19_EEDaS14_S15_EUlS14_E_NS1_11comp_targetILNS1_3genE4ELNS1_11target_archE910ELNS1_3gpuE8ELNS1_3repE0EEENS1_30default_config_static_selectorELNS0_4arch9wavefront6targetE1EEEvT1_
; %bb.0:
	.section	.rodata,"a",@progbits
	.p2align	6, 0x0
	.amdhsa_kernel _ZN7rocprim17ROCPRIM_400000_NS6detail17trampoline_kernelINS0_14default_configENS1_25partition_config_selectorILNS1_17partition_subalgoE0EiNS0_10empty_typeEbEEZZNS1_14partition_implILS5_0ELb0ES3_jN6thrust23THRUST_200600_302600_NS6detail15normal_iteratorINSA_10device_ptrIiEEEEPS6_SG_NS0_5tupleIJSF_NSA_16discard_iteratorINSA_11use_defaultEEEEEENSH_IJSG_SG_EEES6_PlJ7is_evenIiEEEE10hipError_tPvRmT3_T4_T5_T6_T7_T9_mT8_P12ihipStream_tbDpT10_ENKUlT_T0_E_clISt17integral_constantIbLb1EES19_EEDaS14_S15_EUlS14_E_NS1_11comp_targetILNS1_3genE4ELNS1_11target_archE910ELNS1_3gpuE8ELNS1_3repE0EEENS1_30default_config_static_selectorELNS0_4arch9wavefront6targetE1EEEvT1_
		.amdhsa_group_segment_fixed_size 0
		.amdhsa_private_segment_fixed_size 0
		.amdhsa_kernarg_size 144
		.amdhsa_user_sgpr_count 2
		.amdhsa_user_sgpr_dispatch_ptr 0
		.amdhsa_user_sgpr_queue_ptr 0
		.amdhsa_user_sgpr_kernarg_segment_ptr 1
		.amdhsa_user_sgpr_dispatch_id 0
		.amdhsa_user_sgpr_kernarg_preload_length 0
		.amdhsa_user_sgpr_kernarg_preload_offset 0
		.amdhsa_user_sgpr_private_segment_size 0
		.amdhsa_uses_dynamic_stack 0
		.amdhsa_enable_private_segment 0
		.amdhsa_system_sgpr_workgroup_id_x 1
		.amdhsa_system_sgpr_workgroup_id_y 0
		.amdhsa_system_sgpr_workgroup_id_z 0
		.amdhsa_system_sgpr_workgroup_info 0
		.amdhsa_system_vgpr_workitem_id 0
		.amdhsa_next_free_vgpr 1
		.amdhsa_next_free_sgpr 0
		.amdhsa_accum_offset 4
		.amdhsa_reserve_vcc 0
		.amdhsa_float_round_mode_32 0
		.amdhsa_float_round_mode_16_64 0
		.amdhsa_float_denorm_mode_32 3
		.amdhsa_float_denorm_mode_16_64 3
		.amdhsa_dx10_clamp 1
		.amdhsa_ieee_mode 1
		.amdhsa_fp16_overflow 0
		.amdhsa_tg_split 0
		.amdhsa_exception_fp_ieee_invalid_op 0
		.amdhsa_exception_fp_denorm_src 0
		.amdhsa_exception_fp_ieee_div_zero 0
		.amdhsa_exception_fp_ieee_overflow 0
		.amdhsa_exception_fp_ieee_underflow 0
		.amdhsa_exception_fp_ieee_inexact 0
		.amdhsa_exception_int_div_zero 0
	.end_amdhsa_kernel
	.section	.text._ZN7rocprim17ROCPRIM_400000_NS6detail17trampoline_kernelINS0_14default_configENS1_25partition_config_selectorILNS1_17partition_subalgoE0EiNS0_10empty_typeEbEEZZNS1_14partition_implILS5_0ELb0ES3_jN6thrust23THRUST_200600_302600_NS6detail15normal_iteratorINSA_10device_ptrIiEEEEPS6_SG_NS0_5tupleIJSF_NSA_16discard_iteratorINSA_11use_defaultEEEEEENSH_IJSG_SG_EEES6_PlJ7is_evenIiEEEE10hipError_tPvRmT3_T4_T5_T6_T7_T9_mT8_P12ihipStream_tbDpT10_ENKUlT_T0_E_clISt17integral_constantIbLb1EES19_EEDaS14_S15_EUlS14_E_NS1_11comp_targetILNS1_3genE4ELNS1_11target_archE910ELNS1_3gpuE8ELNS1_3repE0EEENS1_30default_config_static_selectorELNS0_4arch9wavefront6targetE1EEEvT1_,"axG",@progbits,_ZN7rocprim17ROCPRIM_400000_NS6detail17trampoline_kernelINS0_14default_configENS1_25partition_config_selectorILNS1_17partition_subalgoE0EiNS0_10empty_typeEbEEZZNS1_14partition_implILS5_0ELb0ES3_jN6thrust23THRUST_200600_302600_NS6detail15normal_iteratorINSA_10device_ptrIiEEEEPS6_SG_NS0_5tupleIJSF_NSA_16discard_iteratorINSA_11use_defaultEEEEEENSH_IJSG_SG_EEES6_PlJ7is_evenIiEEEE10hipError_tPvRmT3_T4_T5_T6_T7_T9_mT8_P12ihipStream_tbDpT10_ENKUlT_T0_E_clISt17integral_constantIbLb1EES19_EEDaS14_S15_EUlS14_E_NS1_11comp_targetILNS1_3genE4ELNS1_11target_archE910ELNS1_3gpuE8ELNS1_3repE0EEENS1_30default_config_static_selectorELNS0_4arch9wavefront6targetE1EEEvT1_,comdat
.Lfunc_end2725:
	.size	_ZN7rocprim17ROCPRIM_400000_NS6detail17trampoline_kernelINS0_14default_configENS1_25partition_config_selectorILNS1_17partition_subalgoE0EiNS0_10empty_typeEbEEZZNS1_14partition_implILS5_0ELb0ES3_jN6thrust23THRUST_200600_302600_NS6detail15normal_iteratorINSA_10device_ptrIiEEEEPS6_SG_NS0_5tupleIJSF_NSA_16discard_iteratorINSA_11use_defaultEEEEEENSH_IJSG_SG_EEES6_PlJ7is_evenIiEEEE10hipError_tPvRmT3_T4_T5_T6_T7_T9_mT8_P12ihipStream_tbDpT10_ENKUlT_T0_E_clISt17integral_constantIbLb1EES19_EEDaS14_S15_EUlS14_E_NS1_11comp_targetILNS1_3genE4ELNS1_11target_archE910ELNS1_3gpuE8ELNS1_3repE0EEENS1_30default_config_static_selectorELNS0_4arch9wavefront6targetE1EEEvT1_, .Lfunc_end2725-_ZN7rocprim17ROCPRIM_400000_NS6detail17trampoline_kernelINS0_14default_configENS1_25partition_config_selectorILNS1_17partition_subalgoE0EiNS0_10empty_typeEbEEZZNS1_14partition_implILS5_0ELb0ES3_jN6thrust23THRUST_200600_302600_NS6detail15normal_iteratorINSA_10device_ptrIiEEEEPS6_SG_NS0_5tupleIJSF_NSA_16discard_iteratorINSA_11use_defaultEEEEEENSH_IJSG_SG_EEES6_PlJ7is_evenIiEEEE10hipError_tPvRmT3_T4_T5_T6_T7_T9_mT8_P12ihipStream_tbDpT10_ENKUlT_T0_E_clISt17integral_constantIbLb1EES19_EEDaS14_S15_EUlS14_E_NS1_11comp_targetILNS1_3genE4ELNS1_11target_archE910ELNS1_3gpuE8ELNS1_3repE0EEENS1_30default_config_static_selectorELNS0_4arch9wavefront6targetE1EEEvT1_
                                        ; -- End function
	.section	.AMDGPU.csdata,"",@progbits
; Kernel info:
; codeLenInByte = 0
; NumSgprs: 6
; NumVgprs: 0
; NumAgprs: 0
; TotalNumVgprs: 0
; ScratchSize: 0
; MemoryBound: 0
; FloatMode: 240
; IeeeMode: 1
; LDSByteSize: 0 bytes/workgroup (compile time only)
; SGPRBlocks: 0
; VGPRBlocks: 0
; NumSGPRsForWavesPerEU: 6
; NumVGPRsForWavesPerEU: 1
; AccumOffset: 4
; Occupancy: 8
; WaveLimiterHint : 0
; COMPUTE_PGM_RSRC2:SCRATCH_EN: 0
; COMPUTE_PGM_RSRC2:USER_SGPR: 2
; COMPUTE_PGM_RSRC2:TRAP_HANDLER: 0
; COMPUTE_PGM_RSRC2:TGID_X_EN: 1
; COMPUTE_PGM_RSRC2:TGID_Y_EN: 0
; COMPUTE_PGM_RSRC2:TGID_Z_EN: 0
; COMPUTE_PGM_RSRC2:TIDIG_COMP_CNT: 0
; COMPUTE_PGM_RSRC3_GFX90A:ACCUM_OFFSET: 0
; COMPUTE_PGM_RSRC3_GFX90A:TG_SPLIT: 0
	.section	.text._ZN7rocprim17ROCPRIM_400000_NS6detail17trampoline_kernelINS0_14default_configENS1_25partition_config_selectorILNS1_17partition_subalgoE0EiNS0_10empty_typeEbEEZZNS1_14partition_implILS5_0ELb0ES3_jN6thrust23THRUST_200600_302600_NS6detail15normal_iteratorINSA_10device_ptrIiEEEEPS6_SG_NS0_5tupleIJSF_NSA_16discard_iteratorINSA_11use_defaultEEEEEENSH_IJSG_SG_EEES6_PlJ7is_evenIiEEEE10hipError_tPvRmT3_T4_T5_T6_T7_T9_mT8_P12ihipStream_tbDpT10_ENKUlT_T0_E_clISt17integral_constantIbLb1EES19_EEDaS14_S15_EUlS14_E_NS1_11comp_targetILNS1_3genE3ELNS1_11target_archE908ELNS1_3gpuE7ELNS1_3repE0EEENS1_30default_config_static_selectorELNS0_4arch9wavefront6targetE1EEEvT1_,"axG",@progbits,_ZN7rocprim17ROCPRIM_400000_NS6detail17trampoline_kernelINS0_14default_configENS1_25partition_config_selectorILNS1_17partition_subalgoE0EiNS0_10empty_typeEbEEZZNS1_14partition_implILS5_0ELb0ES3_jN6thrust23THRUST_200600_302600_NS6detail15normal_iteratorINSA_10device_ptrIiEEEEPS6_SG_NS0_5tupleIJSF_NSA_16discard_iteratorINSA_11use_defaultEEEEEENSH_IJSG_SG_EEES6_PlJ7is_evenIiEEEE10hipError_tPvRmT3_T4_T5_T6_T7_T9_mT8_P12ihipStream_tbDpT10_ENKUlT_T0_E_clISt17integral_constantIbLb1EES19_EEDaS14_S15_EUlS14_E_NS1_11comp_targetILNS1_3genE3ELNS1_11target_archE908ELNS1_3gpuE7ELNS1_3repE0EEENS1_30default_config_static_selectorELNS0_4arch9wavefront6targetE1EEEvT1_,comdat
	.protected	_ZN7rocprim17ROCPRIM_400000_NS6detail17trampoline_kernelINS0_14default_configENS1_25partition_config_selectorILNS1_17partition_subalgoE0EiNS0_10empty_typeEbEEZZNS1_14partition_implILS5_0ELb0ES3_jN6thrust23THRUST_200600_302600_NS6detail15normal_iteratorINSA_10device_ptrIiEEEEPS6_SG_NS0_5tupleIJSF_NSA_16discard_iteratorINSA_11use_defaultEEEEEENSH_IJSG_SG_EEES6_PlJ7is_evenIiEEEE10hipError_tPvRmT3_T4_T5_T6_T7_T9_mT8_P12ihipStream_tbDpT10_ENKUlT_T0_E_clISt17integral_constantIbLb1EES19_EEDaS14_S15_EUlS14_E_NS1_11comp_targetILNS1_3genE3ELNS1_11target_archE908ELNS1_3gpuE7ELNS1_3repE0EEENS1_30default_config_static_selectorELNS0_4arch9wavefront6targetE1EEEvT1_ ; -- Begin function _ZN7rocprim17ROCPRIM_400000_NS6detail17trampoline_kernelINS0_14default_configENS1_25partition_config_selectorILNS1_17partition_subalgoE0EiNS0_10empty_typeEbEEZZNS1_14partition_implILS5_0ELb0ES3_jN6thrust23THRUST_200600_302600_NS6detail15normal_iteratorINSA_10device_ptrIiEEEEPS6_SG_NS0_5tupleIJSF_NSA_16discard_iteratorINSA_11use_defaultEEEEEENSH_IJSG_SG_EEES6_PlJ7is_evenIiEEEE10hipError_tPvRmT3_T4_T5_T6_T7_T9_mT8_P12ihipStream_tbDpT10_ENKUlT_T0_E_clISt17integral_constantIbLb1EES19_EEDaS14_S15_EUlS14_E_NS1_11comp_targetILNS1_3genE3ELNS1_11target_archE908ELNS1_3gpuE7ELNS1_3repE0EEENS1_30default_config_static_selectorELNS0_4arch9wavefront6targetE1EEEvT1_
	.globl	_ZN7rocprim17ROCPRIM_400000_NS6detail17trampoline_kernelINS0_14default_configENS1_25partition_config_selectorILNS1_17partition_subalgoE0EiNS0_10empty_typeEbEEZZNS1_14partition_implILS5_0ELb0ES3_jN6thrust23THRUST_200600_302600_NS6detail15normal_iteratorINSA_10device_ptrIiEEEEPS6_SG_NS0_5tupleIJSF_NSA_16discard_iteratorINSA_11use_defaultEEEEEENSH_IJSG_SG_EEES6_PlJ7is_evenIiEEEE10hipError_tPvRmT3_T4_T5_T6_T7_T9_mT8_P12ihipStream_tbDpT10_ENKUlT_T0_E_clISt17integral_constantIbLb1EES19_EEDaS14_S15_EUlS14_E_NS1_11comp_targetILNS1_3genE3ELNS1_11target_archE908ELNS1_3gpuE7ELNS1_3repE0EEENS1_30default_config_static_selectorELNS0_4arch9wavefront6targetE1EEEvT1_
	.p2align	8
	.type	_ZN7rocprim17ROCPRIM_400000_NS6detail17trampoline_kernelINS0_14default_configENS1_25partition_config_selectorILNS1_17partition_subalgoE0EiNS0_10empty_typeEbEEZZNS1_14partition_implILS5_0ELb0ES3_jN6thrust23THRUST_200600_302600_NS6detail15normal_iteratorINSA_10device_ptrIiEEEEPS6_SG_NS0_5tupleIJSF_NSA_16discard_iteratorINSA_11use_defaultEEEEEENSH_IJSG_SG_EEES6_PlJ7is_evenIiEEEE10hipError_tPvRmT3_T4_T5_T6_T7_T9_mT8_P12ihipStream_tbDpT10_ENKUlT_T0_E_clISt17integral_constantIbLb1EES19_EEDaS14_S15_EUlS14_E_NS1_11comp_targetILNS1_3genE3ELNS1_11target_archE908ELNS1_3gpuE7ELNS1_3repE0EEENS1_30default_config_static_selectorELNS0_4arch9wavefront6targetE1EEEvT1_,@function
_ZN7rocprim17ROCPRIM_400000_NS6detail17trampoline_kernelINS0_14default_configENS1_25partition_config_selectorILNS1_17partition_subalgoE0EiNS0_10empty_typeEbEEZZNS1_14partition_implILS5_0ELb0ES3_jN6thrust23THRUST_200600_302600_NS6detail15normal_iteratorINSA_10device_ptrIiEEEEPS6_SG_NS0_5tupleIJSF_NSA_16discard_iteratorINSA_11use_defaultEEEEEENSH_IJSG_SG_EEES6_PlJ7is_evenIiEEEE10hipError_tPvRmT3_T4_T5_T6_T7_T9_mT8_P12ihipStream_tbDpT10_ENKUlT_T0_E_clISt17integral_constantIbLb1EES19_EEDaS14_S15_EUlS14_E_NS1_11comp_targetILNS1_3genE3ELNS1_11target_archE908ELNS1_3gpuE7ELNS1_3repE0EEENS1_30default_config_static_selectorELNS0_4arch9wavefront6targetE1EEEvT1_: ; @_ZN7rocprim17ROCPRIM_400000_NS6detail17trampoline_kernelINS0_14default_configENS1_25partition_config_selectorILNS1_17partition_subalgoE0EiNS0_10empty_typeEbEEZZNS1_14partition_implILS5_0ELb0ES3_jN6thrust23THRUST_200600_302600_NS6detail15normal_iteratorINSA_10device_ptrIiEEEEPS6_SG_NS0_5tupleIJSF_NSA_16discard_iteratorINSA_11use_defaultEEEEEENSH_IJSG_SG_EEES6_PlJ7is_evenIiEEEE10hipError_tPvRmT3_T4_T5_T6_T7_T9_mT8_P12ihipStream_tbDpT10_ENKUlT_T0_E_clISt17integral_constantIbLb1EES19_EEDaS14_S15_EUlS14_E_NS1_11comp_targetILNS1_3genE3ELNS1_11target_archE908ELNS1_3gpuE7ELNS1_3repE0EEENS1_30default_config_static_selectorELNS0_4arch9wavefront6targetE1EEEvT1_
; %bb.0:
	.section	.rodata,"a",@progbits
	.p2align	6, 0x0
	.amdhsa_kernel _ZN7rocprim17ROCPRIM_400000_NS6detail17trampoline_kernelINS0_14default_configENS1_25partition_config_selectorILNS1_17partition_subalgoE0EiNS0_10empty_typeEbEEZZNS1_14partition_implILS5_0ELb0ES3_jN6thrust23THRUST_200600_302600_NS6detail15normal_iteratorINSA_10device_ptrIiEEEEPS6_SG_NS0_5tupleIJSF_NSA_16discard_iteratorINSA_11use_defaultEEEEEENSH_IJSG_SG_EEES6_PlJ7is_evenIiEEEE10hipError_tPvRmT3_T4_T5_T6_T7_T9_mT8_P12ihipStream_tbDpT10_ENKUlT_T0_E_clISt17integral_constantIbLb1EES19_EEDaS14_S15_EUlS14_E_NS1_11comp_targetILNS1_3genE3ELNS1_11target_archE908ELNS1_3gpuE7ELNS1_3repE0EEENS1_30default_config_static_selectorELNS0_4arch9wavefront6targetE1EEEvT1_
		.amdhsa_group_segment_fixed_size 0
		.amdhsa_private_segment_fixed_size 0
		.amdhsa_kernarg_size 144
		.amdhsa_user_sgpr_count 2
		.amdhsa_user_sgpr_dispatch_ptr 0
		.amdhsa_user_sgpr_queue_ptr 0
		.amdhsa_user_sgpr_kernarg_segment_ptr 1
		.amdhsa_user_sgpr_dispatch_id 0
		.amdhsa_user_sgpr_kernarg_preload_length 0
		.amdhsa_user_sgpr_kernarg_preload_offset 0
		.amdhsa_user_sgpr_private_segment_size 0
		.amdhsa_uses_dynamic_stack 0
		.amdhsa_enable_private_segment 0
		.amdhsa_system_sgpr_workgroup_id_x 1
		.amdhsa_system_sgpr_workgroup_id_y 0
		.amdhsa_system_sgpr_workgroup_id_z 0
		.amdhsa_system_sgpr_workgroup_info 0
		.amdhsa_system_vgpr_workitem_id 0
		.amdhsa_next_free_vgpr 1
		.amdhsa_next_free_sgpr 0
		.amdhsa_accum_offset 4
		.amdhsa_reserve_vcc 0
		.amdhsa_float_round_mode_32 0
		.amdhsa_float_round_mode_16_64 0
		.amdhsa_float_denorm_mode_32 3
		.amdhsa_float_denorm_mode_16_64 3
		.amdhsa_dx10_clamp 1
		.amdhsa_ieee_mode 1
		.amdhsa_fp16_overflow 0
		.amdhsa_tg_split 0
		.amdhsa_exception_fp_ieee_invalid_op 0
		.amdhsa_exception_fp_denorm_src 0
		.amdhsa_exception_fp_ieee_div_zero 0
		.amdhsa_exception_fp_ieee_overflow 0
		.amdhsa_exception_fp_ieee_underflow 0
		.amdhsa_exception_fp_ieee_inexact 0
		.amdhsa_exception_int_div_zero 0
	.end_amdhsa_kernel
	.section	.text._ZN7rocprim17ROCPRIM_400000_NS6detail17trampoline_kernelINS0_14default_configENS1_25partition_config_selectorILNS1_17partition_subalgoE0EiNS0_10empty_typeEbEEZZNS1_14partition_implILS5_0ELb0ES3_jN6thrust23THRUST_200600_302600_NS6detail15normal_iteratorINSA_10device_ptrIiEEEEPS6_SG_NS0_5tupleIJSF_NSA_16discard_iteratorINSA_11use_defaultEEEEEENSH_IJSG_SG_EEES6_PlJ7is_evenIiEEEE10hipError_tPvRmT3_T4_T5_T6_T7_T9_mT8_P12ihipStream_tbDpT10_ENKUlT_T0_E_clISt17integral_constantIbLb1EES19_EEDaS14_S15_EUlS14_E_NS1_11comp_targetILNS1_3genE3ELNS1_11target_archE908ELNS1_3gpuE7ELNS1_3repE0EEENS1_30default_config_static_selectorELNS0_4arch9wavefront6targetE1EEEvT1_,"axG",@progbits,_ZN7rocprim17ROCPRIM_400000_NS6detail17trampoline_kernelINS0_14default_configENS1_25partition_config_selectorILNS1_17partition_subalgoE0EiNS0_10empty_typeEbEEZZNS1_14partition_implILS5_0ELb0ES3_jN6thrust23THRUST_200600_302600_NS6detail15normal_iteratorINSA_10device_ptrIiEEEEPS6_SG_NS0_5tupleIJSF_NSA_16discard_iteratorINSA_11use_defaultEEEEEENSH_IJSG_SG_EEES6_PlJ7is_evenIiEEEE10hipError_tPvRmT3_T4_T5_T6_T7_T9_mT8_P12ihipStream_tbDpT10_ENKUlT_T0_E_clISt17integral_constantIbLb1EES19_EEDaS14_S15_EUlS14_E_NS1_11comp_targetILNS1_3genE3ELNS1_11target_archE908ELNS1_3gpuE7ELNS1_3repE0EEENS1_30default_config_static_selectorELNS0_4arch9wavefront6targetE1EEEvT1_,comdat
.Lfunc_end2726:
	.size	_ZN7rocprim17ROCPRIM_400000_NS6detail17trampoline_kernelINS0_14default_configENS1_25partition_config_selectorILNS1_17partition_subalgoE0EiNS0_10empty_typeEbEEZZNS1_14partition_implILS5_0ELb0ES3_jN6thrust23THRUST_200600_302600_NS6detail15normal_iteratorINSA_10device_ptrIiEEEEPS6_SG_NS0_5tupleIJSF_NSA_16discard_iteratorINSA_11use_defaultEEEEEENSH_IJSG_SG_EEES6_PlJ7is_evenIiEEEE10hipError_tPvRmT3_T4_T5_T6_T7_T9_mT8_P12ihipStream_tbDpT10_ENKUlT_T0_E_clISt17integral_constantIbLb1EES19_EEDaS14_S15_EUlS14_E_NS1_11comp_targetILNS1_3genE3ELNS1_11target_archE908ELNS1_3gpuE7ELNS1_3repE0EEENS1_30default_config_static_selectorELNS0_4arch9wavefront6targetE1EEEvT1_, .Lfunc_end2726-_ZN7rocprim17ROCPRIM_400000_NS6detail17trampoline_kernelINS0_14default_configENS1_25partition_config_selectorILNS1_17partition_subalgoE0EiNS0_10empty_typeEbEEZZNS1_14partition_implILS5_0ELb0ES3_jN6thrust23THRUST_200600_302600_NS6detail15normal_iteratorINSA_10device_ptrIiEEEEPS6_SG_NS0_5tupleIJSF_NSA_16discard_iteratorINSA_11use_defaultEEEEEENSH_IJSG_SG_EEES6_PlJ7is_evenIiEEEE10hipError_tPvRmT3_T4_T5_T6_T7_T9_mT8_P12ihipStream_tbDpT10_ENKUlT_T0_E_clISt17integral_constantIbLb1EES19_EEDaS14_S15_EUlS14_E_NS1_11comp_targetILNS1_3genE3ELNS1_11target_archE908ELNS1_3gpuE7ELNS1_3repE0EEENS1_30default_config_static_selectorELNS0_4arch9wavefront6targetE1EEEvT1_
                                        ; -- End function
	.section	.AMDGPU.csdata,"",@progbits
; Kernel info:
; codeLenInByte = 0
; NumSgprs: 6
; NumVgprs: 0
; NumAgprs: 0
; TotalNumVgprs: 0
; ScratchSize: 0
; MemoryBound: 0
; FloatMode: 240
; IeeeMode: 1
; LDSByteSize: 0 bytes/workgroup (compile time only)
; SGPRBlocks: 0
; VGPRBlocks: 0
; NumSGPRsForWavesPerEU: 6
; NumVGPRsForWavesPerEU: 1
; AccumOffset: 4
; Occupancy: 8
; WaveLimiterHint : 0
; COMPUTE_PGM_RSRC2:SCRATCH_EN: 0
; COMPUTE_PGM_RSRC2:USER_SGPR: 2
; COMPUTE_PGM_RSRC2:TRAP_HANDLER: 0
; COMPUTE_PGM_RSRC2:TGID_X_EN: 1
; COMPUTE_PGM_RSRC2:TGID_Y_EN: 0
; COMPUTE_PGM_RSRC2:TGID_Z_EN: 0
; COMPUTE_PGM_RSRC2:TIDIG_COMP_CNT: 0
; COMPUTE_PGM_RSRC3_GFX90A:ACCUM_OFFSET: 0
; COMPUTE_PGM_RSRC3_GFX90A:TG_SPLIT: 0
	.section	.text._ZN7rocprim17ROCPRIM_400000_NS6detail17trampoline_kernelINS0_14default_configENS1_25partition_config_selectorILNS1_17partition_subalgoE0EiNS0_10empty_typeEbEEZZNS1_14partition_implILS5_0ELb0ES3_jN6thrust23THRUST_200600_302600_NS6detail15normal_iteratorINSA_10device_ptrIiEEEEPS6_SG_NS0_5tupleIJSF_NSA_16discard_iteratorINSA_11use_defaultEEEEEENSH_IJSG_SG_EEES6_PlJ7is_evenIiEEEE10hipError_tPvRmT3_T4_T5_T6_T7_T9_mT8_P12ihipStream_tbDpT10_ENKUlT_T0_E_clISt17integral_constantIbLb1EES19_EEDaS14_S15_EUlS14_E_NS1_11comp_targetILNS1_3genE2ELNS1_11target_archE906ELNS1_3gpuE6ELNS1_3repE0EEENS1_30default_config_static_selectorELNS0_4arch9wavefront6targetE1EEEvT1_,"axG",@progbits,_ZN7rocprim17ROCPRIM_400000_NS6detail17trampoline_kernelINS0_14default_configENS1_25partition_config_selectorILNS1_17partition_subalgoE0EiNS0_10empty_typeEbEEZZNS1_14partition_implILS5_0ELb0ES3_jN6thrust23THRUST_200600_302600_NS6detail15normal_iteratorINSA_10device_ptrIiEEEEPS6_SG_NS0_5tupleIJSF_NSA_16discard_iteratorINSA_11use_defaultEEEEEENSH_IJSG_SG_EEES6_PlJ7is_evenIiEEEE10hipError_tPvRmT3_T4_T5_T6_T7_T9_mT8_P12ihipStream_tbDpT10_ENKUlT_T0_E_clISt17integral_constantIbLb1EES19_EEDaS14_S15_EUlS14_E_NS1_11comp_targetILNS1_3genE2ELNS1_11target_archE906ELNS1_3gpuE6ELNS1_3repE0EEENS1_30default_config_static_selectorELNS0_4arch9wavefront6targetE1EEEvT1_,comdat
	.protected	_ZN7rocprim17ROCPRIM_400000_NS6detail17trampoline_kernelINS0_14default_configENS1_25partition_config_selectorILNS1_17partition_subalgoE0EiNS0_10empty_typeEbEEZZNS1_14partition_implILS5_0ELb0ES3_jN6thrust23THRUST_200600_302600_NS6detail15normal_iteratorINSA_10device_ptrIiEEEEPS6_SG_NS0_5tupleIJSF_NSA_16discard_iteratorINSA_11use_defaultEEEEEENSH_IJSG_SG_EEES6_PlJ7is_evenIiEEEE10hipError_tPvRmT3_T4_T5_T6_T7_T9_mT8_P12ihipStream_tbDpT10_ENKUlT_T0_E_clISt17integral_constantIbLb1EES19_EEDaS14_S15_EUlS14_E_NS1_11comp_targetILNS1_3genE2ELNS1_11target_archE906ELNS1_3gpuE6ELNS1_3repE0EEENS1_30default_config_static_selectorELNS0_4arch9wavefront6targetE1EEEvT1_ ; -- Begin function _ZN7rocprim17ROCPRIM_400000_NS6detail17trampoline_kernelINS0_14default_configENS1_25partition_config_selectorILNS1_17partition_subalgoE0EiNS0_10empty_typeEbEEZZNS1_14partition_implILS5_0ELb0ES3_jN6thrust23THRUST_200600_302600_NS6detail15normal_iteratorINSA_10device_ptrIiEEEEPS6_SG_NS0_5tupleIJSF_NSA_16discard_iteratorINSA_11use_defaultEEEEEENSH_IJSG_SG_EEES6_PlJ7is_evenIiEEEE10hipError_tPvRmT3_T4_T5_T6_T7_T9_mT8_P12ihipStream_tbDpT10_ENKUlT_T0_E_clISt17integral_constantIbLb1EES19_EEDaS14_S15_EUlS14_E_NS1_11comp_targetILNS1_3genE2ELNS1_11target_archE906ELNS1_3gpuE6ELNS1_3repE0EEENS1_30default_config_static_selectorELNS0_4arch9wavefront6targetE1EEEvT1_
	.globl	_ZN7rocprim17ROCPRIM_400000_NS6detail17trampoline_kernelINS0_14default_configENS1_25partition_config_selectorILNS1_17partition_subalgoE0EiNS0_10empty_typeEbEEZZNS1_14partition_implILS5_0ELb0ES3_jN6thrust23THRUST_200600_302600_NS6detail15normal_iteratorINSA_10device_ptrIiEEEEPS6_SG_NS0_5tupleIJSF_NSA_16discard_iteratorINSA_11use_defaultEEEEEENSH_IJSG_SG_EEES6_PlJ7is_evenIiEEEE10hipError_tPvRmT3_T4_T5_T6_T7_T9_mT8_P12ihipStream_tbDpT10_ENKUlT_T0_E_clISt17integral_constantIbLb1EES19_EEDaS14_S15_EUlS14_E_NS1_11comp_targetILNS1_3genE2ELNS1_11target_archE906ELNS1_3gpuE6ELNS1_3repE0EEENS1_30default_config_static_selectorELNS0_4arch9wavefront6targetE1EEEvT1_
	.p2align	8
	.type	_ZN7rocprim17ROCPRIM_400000_NS6detail17trampoline_kernelINS0_14default_configENS1_25partition_config_selectorILNS1_17partition_subalgoE0EiNS0_10empty_typeEbEEZZNS1_14partition_implILS5_0ELb0ES3_jN6thrust23THRUST_200600_302600_NS6detail15normal_iteratorINSA_10device_ptrIiEEEEPS6_SG_NS0_5tupleIJSF_NSA_16discard_iteratorINSA_11use_defaultEEEEEENSH_IJSG_SG_EEES6_PlJ7is_evenIiEEEE10hipError_tPvRmT3_T4_T5_T6_T7_T9_mT8_P12ihipStream_tbDpT10_ENKUlT_T0_E_clISt17integral_constantIbLb1EES19_EEDaS14_S15_EUlS14_E_NS1_11comp_targetILNS1_3genE2ELNS1_11target_archE906ELNS1_3gpuE6ELNS1_3repE0EEENS1_30default_config_static_selectorELNS0_4arch9wavefront6targetE1EEEvT1_,@function
_ZN7rocprim17ROCPRIM_400000_NS6detail17trampoline_kernelINS0_14default_configENS1_25partition_config_selectorILNS1_17partition_subalgoE0EiNS0_10empty_typeEbEEZZNS1_14partition_implILS5_0ELb0ES3_jN6thrust23THRUST_200600_302600_NS6detail15normal_iteratorINSA_10device_ptrIiEEEEPS6_SG_NS0_5tupleIJSF_NSA_16discard_iteratorINSA_11use_defaultEEEEEENSH_IJSG_SG_EEES6_PlJ7is_evenIiEEEE10hipError_tPvRmT3_T4_T5_T6_T7_T9_mT8_P12ihipStream_tbDpT10_ENKUlT_T0_E_clISt17integral_constantIbLb1EES19_EEDaS14_S15_EUlS14_E_NS1_11comp_targetILNS1_3genE2ELNS1_11target_archE906ELNS1_3gpuE6ELNS1_3repE0EEENS1_30default_config_static_selectorELNS0_4arch9wavefront6targetE1EEEvT1_: ; @_ZN7rocprim17ROCPRIM_400000_NS6detail17trampoline_kernelINS0_14default_configENS1_25partition_config_selectorILNS1_17partition_subalgoE0EiNS0_10empty_typeEbEEZZNS1_14partition_implILS5_0ELb0ES3_jN6thrust23THRUST_200600_302600_NS6detail15normal_iteratorINSA_10device_ptrIiEEEEPS6_SG_NS0_5tupleIJSF_NSA_16discard_iteratorINSA_11use_defaultEEEEEENSH_IJSG_SG_EEES6_PlJ7is_evenIiEEEE10hipError_tPvRmT3_T4_T5_T6_T7_T9_mT8_P12ihipStream_tbDpT10_ENKUlT_T0_E_clISt17integral_constantIbLb1EES19_EEDaS14_S15_EUlS14_E_NS1_11comp_targetILNS1_3genE2ELNS1_11target_archE906ELNS1_3gpuE6ELNS1_3repE0EEENS1_30default_config_static_selectorELNS0_4arch9wavefront6targetE1EEEvT1_
; %bb.0:
	.section	.rodata,"a",@progbits
	.p2align	6, 0x0
	.amdhsa_kernel _ZN7rocprim17ROCPRIM_400000_NS6detail17trampoline_kernelINS0_14default_configENS1_25partition_config_selectorILNS1_17partition_subalgoE0EiNS0_10empty_typeEbEEZZNS1_14partition_implILS5_0ELb0ES3_jN6thrust23THRUST_200600_302600_NS6detail15normal_iteratorINSA_10device_ptrIiEEEEPS6_SG_NS0_5tupleIJSF_NSA_16discard_iteratorINSA_11use_defaultEEEEEENSH_IJSG_SG_EEES6_PlJ7is_evenIiEEEE10hipError_tPvRmT3_T4_T5_T6_T7_T9_mT8_P12ihipStream_tbDpT10_ENKUlT_T0_E_clISt17integral_constantIbLb1EES19_EEDaS14_S15_EUlS14_E_NS1_11comp_targetILNS1_3genE2ELNS1_11target_archE906ELNS1_3gpuE6ELNS1_3repE0EEENS1_30default_config_static_selectorELNS0_4arch9wavefront6targetE1EEEvT1_
		.amdhsa_group_segment_fixed_size 0
		.amdhsa_private_segment_fixed_size 0
		.amdhsa_kernarg_size 144
		.amdhsa_user_sgpr_count 2
		.amdhsa_user_sgpr_dispatch_ptr 0
		.amdhsa_user_sgpr_queue_ptr 0
		.amdhsa_user_sgpr_kernarg_segment_ptr 1
		.amdhsa_user_sgpr_dispatch_id 0
		.amdhsa_user_sgpr_kernarg_preload_length 0
		.amdhsa_user_sgpr_kernarg_preload_offset 0
		.amdhsa_user_sgpr_private_segment_size 0
		.amdhsa_uses_dynamic_stack 0
		.amdhsa_enable_private_segment 0
		.amdhsa_system_sgpr_workgroup_id_x 1
		.amdhsa_system_sgpr_workgroup_id_y 0
		.amdhsa_system_sgpr_workgroup_id_z 0
		.amdhsa_system_sgpr_workgroup_info 0
		.amdhsa_system_vgpr_workitem_id 0
		.amdhsa_next_free_vgpr 1
		.amdhsa_next_free_sgpr 0
		.amdhsa_accum_offset 4
		.amdhsa_reserve_vcc 0
		.amdhsa_float_round_mode_32 0
		.amdhsa_float_round_mode_16_64 0
		.amdhsa_float_denorm_mode_32 3
		.amdhsa_float_denorm_mode_16_64 3
		.amdhsa_dx10_clamp 1
		.amdhsa_ieee_mode 1
		.amdhsa_fp16_overflow 0
		.amdhsa_tg_split 0
		.amdhsa_exception_fp_ieee_invalid_op 0
		.amdhsa_exception_fp_denorm_src 0
		.amdhsa_exception_fp_ieee_div_zero 0
		.amdhsa_exception_fp_ieee_overflow 0
		.amdhsa_exception_fp_ieee_underflow 0
		.amdhsa_exception_fp_ieee_inexact 0
		.amdhsa_exception_int_div_zero 0
	.end_amdhsa_kernel
	.section	.text._ZN7rocprim17ROCPRIM_400000_NS6detail17trampoline_kernelINS0_14default_configENS1_25partition_config_selectorILNS1_17partition_subalgoE0EiNS0_10empty_typeEbEEZZNS1_14partition_implILS5_0ELb0ES3_jN6thrust23THRUST_200600_302600_NS6detail15normal_iteratorINSA_10device_ptrIiEEEEPS6_SG_NS0_5tupleIJSF_NSA_16discard_iteratorINSA_11use_defaultEEEEEENSH_IJSG_SG_EEES6_PlJ7is_evenIiEEEE10hipError_tPvRmT3_T4_T5_T6_T7_T9_mT8_P12ihipStream_tbDpT10_ENKUlT_T0_E_clISt17integral_constantIbLb1EES19_EEDaS14_S15_EUlS14_E_NS1_11comp_targetILNS1_3genE2ELNS1_11target_archE906ELNS1_3gpuE6ELNS1_3repE0EEENS1_30default_config_static_selectorELNS0_4arch9wavefront6targetE1EEEvT1_,"axG",@progbits,_ZN7rocprim17ROCPRIM_400000_NS6detail17trampoline_kernelINS0_14default_configENS1_25partition_config_selectorILNS1_17partition_subalgoE0EiNS0_10empty_typeEbEEZZNS1_14partition_implILS5_0ELb0ES3_jN6thrust23THRUST_200600_302600_NS6detail15normal_iteratorINSA_10device_ptrIiEEEEPS6_SG_NS0_5tupleIJSF_NSA_16discard_iteratorINSA_11use_defaultEEEEEENSH_IJSG_SG_EEES6_PlJ7is_evenIiEEEE10hipError_tPvRmT3_T4_T5_T6_T7_T9_mT8_P12ihipStream_tbDpT10_ENKUlT_T0_E_clISt17integral_constantIbLb1EES19_EEDaS14_S15_EUlS14_E_NS1_11comp_targetILNS1_3genE2ELNS1_11target_archE906ELNS1_3gpuE6ELNS1_3repE0EEENS1_30default_config_static_selectorELNS0_4arch9wavefront6targetE1EEEvT1_,comdat
.Lfunc_end2727:
	.size	_ZN7rocprim17ROCPRIM_400000_NS6detail17trampoline_kernelINS0_14default_configENS1_25partition_config_selectorILNS1_17partition_subalgoE0EiNS0_10empty_typeEbEEZZNS1_14partition_implILS5_0ELb0ES3_jN6thrust23THRUST_200600_302600_NS6detail15normal_iteratorINSA_10device_ptrIiEEEEPS6_SG_NS0_5tupleIJSF_NSA_16discard_iteratorINSA_11use_defaultEEEEEENSH_IJSG_SG_EEES6_PlJ7is_evenIiEEEE10hipError_tPvRmT3_T4_T5_T6_T7_T9_mT8_P12ihipStream_tbDpT10_ENKUlT_T0_E_clISt17integral_constantIbLb1EES19_EEDaS14_S15_EUlS14_E_NS1_11comp_targetILNS1_3genE2ELNS1_11target_archE906ELNS1_3gpuE6ELNS1_3repE0EEENS1_30default_config_static_selectorELNS0_4arch9wavefront6targetE1EEEvT1_, .Lfunc_end2727-_ZN7rocprim17ROCPRIM_400000_NS6detail17trampoline_kernelINS0_14default_configENS1_25partition_config_selectorILNS1_17partition_subalgoE0EiNS0_10empty_typeEbEEZZNS1_14partition_implILS5_0ELb0ES3_jN6thrust23THRUST_200600_302600_NS6detail15normal_iteratorINSA_10device_ptrIiEEEEPS6_SG_NS0_5tupleIJSF_NSA_16discard_iteratorINSA_11use_defaultEEEEEENSH_IJSG_SG_EEES6_PlJ7is_evenIiEEEE10hipError_tPvRmT3_T4_T5_T6_T7_T9_mT8_P12ihipStream_tbDpT10_ENKUlT_T0_E_clISt17integral_constantIbLb1EES19_EEDaS14_S15_EUlS14_E_NS1_11comp_targetILNS1_3genE2ELNS1_11target_archE906ELNS1_3gpuE6ELNS1_3repE0EEENS1_30default_config_static_selectorELNS0_4arch9wavefront6targetE1EEEvT1_
                                        ; -- End function
	.section	.AMDGPU.csdata,"",@progbits
; Kernel info:
; codeLenInByte = 0
; NumSgprs: 6
; NumVgprs: 0
; NumAgprs: 0
; TotalNumVgprs: 0
; ScratchSize: 0
; MemoryBound: 0
; FloatMode: 240
; IeeeMode: 1
; LDSByteSize: 0 bytes/workgroup (compile time only)
; SGPRBlocks: 0
; VGPRBlocks: 0
; NumSGPRsForWavesPerEU: 6
; NumVGPRsForWavesPerEU: 1
; AccumOffset: 4
; Occupancy: 8
; WaveLimiterHint : 0
; COMPUTE_PGM_RSRC2:SCRATCH_EN: 0
; COMPUTE_PGM_RSRC2:USER_SGPR: 2
; COMPUTE_PGM_RSRC2:TRAP_HANDLER: 0
; COMPUTE_PGM_RSRC2:TGID_X_EN: 1
; COMPUTE_PGM_RSRC2:TGID_Y_EN: 0
; COMPUTE_PGM_RSRC2:TGID_Z_EN: 0
; COMPUTE_PGM_RSRC2:TIDIG_COMP_CNT: 0
; COMPUTE_PGM_RSRC3_GFX90A:ACCUM_OFFSET: 0
; COMPUTE_PGM_RSRC3_GFX90A:TG_SPLIT: 0
	.section	.text._ZN7rocprim17ROCPRIM_400000_NS6detail17trampoline_kernelINS0_14default_configENS1_25partition_config_selectorILNS1_17partition_subalgoE0EiNS0_10empty_typeEbEEZZNS1_14partition_implILS5_0ELb0ES3_jN6thrust23THRUST_200600_302600_NS6detail15normal_iteratorINSA_10device_ptrIiEEEEPS6_SG_NS0_5tupleIJSF_NSA_16discard_iteratorINSA_11use_defaultEEEEEENSH_IJSG_SG_EEES6_PlJ7is_evenIiEEEE10hipError_tPvRmT3_T4_T5_T6_T7_T9_mT8_P12ihipStream_tbDpT10_ENKUlT_T0_E_clISt17integral_constantIbLb1EES19_EEDaS14_S15_EUlS14_E_NS1_11comp_targetILNS1_3genE10ELNS1_11target_archE1200ELNS1_3gpuE4ELNS1_3repE0EEENS1_30default_config_static_selectorELNS0_4arch9wavefront6targetE1EEEvT1_,"axG",@progbits,_ZN7rocprim17ROCPRIM_400000_NS6detail17trampoline_kernelINS0_14default_configENS1_25partition_config_selectorILNS1_17partition_subalgoE0EiNS0_10empty_typeEbEEZZNS1_14partition_implILS5_0ELb0ES3_jN6thrust23THRUST_200600_302600_NS6detail15normal_iteratorINSA_10device_ptrIiEEEEPS6_SG_NS0_5tupleIJSF_NSA_16discard_iteratorINSA_11use_defaultEEEEEENSH_IJSG_SG_EEES6_PlJ7is_evenIiEEEE10hipError_tPvRmT3_T4_T5_T6_T7_T9_mT8_P12ihipStream_tbDpT10_ENKUlT_T0_E_clISt17integral_constantIbLb1EES19_EEDaS14_S15_EUlS14_E_NS1_11comp_targetILNS1_3genE10ELNS1_11target_archE1200ELNS1_3gpuE4ELNS1_3repE0EEENS1_30default_config_static_selectorELNS0_4arch9wavefront6targetE1EEEvT1_,comdat
	.protected	_ZN7rocprim17ROCPRIM_400000_NS6detail17trampoline_kernelINS0_14default_configENS1_25partition_config_selectorILNS1_17partition_subalgoE0EiNS0_10empty_typeEbEEZZNS1_14partition_implILS5_0ELb0ES3_jN6thrust23THRUST_200600_302600_NS6detail15normal_iteratorINSA_10device_ptrIiEEEEPS6_SG_NS0_5tupleIJSF_NSA_16discard_iteratorINSA_11use_defaultEEEEEENSH_IJSG_SG_EEES6_PlJ7is_evenIiEEEE10hipError_tPvRmT3_T4_T5_T6_T7_T9_mT8_P12ihipStream_tbDpT10_ENKUlT_T0_E_clISt17integral_constantIbLb1EES19_EEDaS14_S15_EUlS14_E_NS1_11comp_targetILNS1_3genE10ELNS1_11target_archE1200ELNS1_3gpuE4ELNS1_3repE0EEENS1_30default_config_static_selectorELNS0_4arch9wavefront6targetE1EEEvT1_ ; -- Begin function _ZN7rocprim17ROCPRIM_400000_NS6detail17trampoline_kernelINS0_14default_configENS1_25partition_config_selectorILNS1_17partition_subalgoE0EiNS0_10empty_typeEbEEZZNS1_14partition_implILS5_0ELb0ES3_jN6thrust23THRUST_200600_302600_NS6detail15normal_iteratorINSA_10device_ptrIiEEEEPS6_SG_NS0_5tupleIJSF_NSA_16discard_iteratorINSA_11use_defaultEEEEEENSH_IJSG_SG_EEES6_PlJ7is_evenIiEEEE10hipError_tPvRmT3_T4_T5_T6_T7_T9_mT8_P12ihipStream_tbDpT10_ENKUlT_T0_E_clISt17integral_constantIbLb1EES19_EEDaS14_S15_EUlS14_E_NS1_11comp_targetILNS1_3genE10ELNS1_11target_archE1200ELNS1_3gpuE4ELNS1_3repE0EEENS1_30default_config_static_selectorELNS0_4arch9wavefront6targetE1EEEvT1_
	.globl	_ZN7rocprim17ROCPRIM_400000_NS6detail17trampoline_kernelINS0_14default_configENS1_25partition_config_selectorILNS1_17partition_subalgoE0EiNS0_10empty_typeEbEEZZNS1_14partition_implILS5_0ELb0ES3_jN6thrust23THRUST_200600_302600_NS6detail15normal_iteratorINSA_10device_ptrIiEEEEPS6_SG_NS0_5tupleIJSF_NSA_16discard_iteratorINSA_11use_defaultEEEEEENSH_IJSG_SG_EEES6_PlJ7is_evenIiEEEE10hipError_tPvRmT3_T4_T5_T6_T7_T9_mT8_P12ihipStream_tbDpT10_ENKUlT_T0_E_clISt17integral_constantIbLb1EES19_EEDaS14_S15_EUlS14_E_NS1_11comp_targetILNS1_3genE10ELNS1_11target_archE1200ELNS1_3gpuE4ELNS1_3repE0EEENS1_30default_config_static_selectorELNS0_4arch9wavefront6targetE1EEEvT1_
	.p2align	8
	.type	_ZN7rocprim17ROCPRIM_400000_NS6detail17trampoline_kernelINS0_14default_configENS1_25partition_config_selectorILNS1_17partition_subalgoE0EiNS0_10empty_typeEbEEZZNS1_14partition_implILS5_0ELb0ES3_jN6thrust23THRUST_200600_302600_NS6detail15normal_iteratorINSA_10device_ptrIiEEEEPS6_SG_NS0_5tupleIJSF_NSA_16discard_iteratorINSA_11use_defaultEEEEEENSH_IJSG_SG_EEES6_PlJ7is_evenIiEEEE10hipError_tPvRmT3_T4_T5_T6_T7_T9_mT8_P12ihipStream_tbDpT10_ENKUlT_T0_E_clISt17integral_constantIbLb1EES19_EEDaS14_S15_EUlS14_E_NS1_11comp_targetILNS1_3genE10ELNS1_11target_archE1200ELNS1_3gpuE4ELNS1_3repE0EEENS1_30default_config_static_selectorELNS0_4arch9wavefront6targetE1EEEvT1_,@function
_ZN7rocprim17ROCPRIM_400000_NS6detail17trampoline_kernelINS0_14default_configENS1_25partition_config_selectorILNS1_17partition_subalgoE0EiNS0_10empty_typeEbEEZZNS1_14partition_implILS5_0ELb0ES3_jN6thrust23THRUST_200600_302600_NS6detail15normal_iteratorINSA_10device_ptrIiEEEEPS6_SG_NS0_5tupleIJSF_NSA_16discard_iteratorINSA_11use_defaultEEEEEENSH_IJSG_SG_EEES6_PlJ7is_evenIiEEEE10hipError_tPvRmT3_T4_T5_T6_T7_T9_mT8_P12ihipStream_tbDpT10_ENKUlT_T0_E_clISt17integral_constantIbLb1EES19_EEDaS14_S15_EUlS14_E_NS1_11comp_targetILNS1_3genE10ELNS1_11target_archE1200ELNS1_3gpuE4ELNS1_3repE0EEENS1_30default_config_static_selectorELNS0_4arch9wavefront6targetE1EEEvT1_: ; @_ZN7rocprim17ROCPRIM_400000_NS6detail17trampoline_kernelINS0_14default_configENS1_25partition_config_selectorILNS1_17partition_subalgoE0EiNS0_10empty_typeEbEEZZNS1_14partition_implILS5_0ELb0ES3_jN6thrust23THRUST_200600_302600_NS6detail15normal_iteratorINSA_10device_ptrIiEEEEPS6_SG_NS0_5tupleIJSF_NSA_16discard_iteratorINSA_11use_defaultEEEEEENSH_IJSG_SG_EEES6_PlJ7is_evenIiEEEE10hipError_tPvRmT3_T4_T5_T6_T7_T9_mT8_P12ihipStream_tbDpT10_ENKUlT_T0_E_clISt17integral_constantIbLb1EES19_EEDaS14_S15_EUlS14_E_NS1_11comp_targetILNS1_3genE10ELNS1_11target_archE1200ELNS1_3gpuE4ELNS1_3repE0EEENS1_30default_config_static_selectorELNS0_4arch9wavefront6targetE1EEEvT1_
; %bb.0:
	.section	.rodata,"a",@progbits
	.p2align	6, 0x0
	.amdhsa_kernel _ZN7rocprim17ROCPRIM_400000_NS6detail17trampoline_kernelINS0_14default_configENS1_25partition_config_selectorILNS1_17partition_subalgoE0EiNS0_10empty_typeEbEEZZNS1_14partition_implILS5_0ELb0ES3_jN6thrust23THRUST_200600_302600_NS6detail15normal_iteratorINSA_10device_ptrIiEEEEPS6_SG_NS0_5tupleIJSF_NSA_16discard_iteratorINSA_11use_defaultEEEEEENSH_IJSG_SG_EEES6_PlJ7is_evenIiEEEE10hipError_tPvRmT3_T4_T5_T6_T7_T9_mT8_P12ihipStream_tbDpT10_ENKUlT_T0_E_clISt17integral_constantIbLb1EES19_EEDaS14_S15_EUlS14_E_NS1_11comp_targetILNS1_3genE10ELNS1_11target_archE1200ELNS1_3gpuE4ELNS1_3repE0EEENS1_30default_config_static_selectorELNS0_4arch9wavefront6targetE1EEEvT1_
		.amdhsa_group_segment_fixed_size 0
		.amdhsa_private_segment_fixed_size 0
		.amdhsa_kernarg_size 144
		.amdhsa_user_sgpr_count 2
		.amdhsa_user_sgpr_dispatch_ptr 0
		.amdhsa_user_sgpr_queue_ptr 0
		.amdhsa_user_sgpr_kernarg_segment_ptr 1
		.amdhsa_user_sgpr_dispatch_id 0
		.amdhsa_user_sgpr_kernarg_preload_length 0
		.amdhsa_user_sgpr_kernarg_preload_offset 0
		.amdhsa_user_sgpr_private_segment_size 0
		.amdhsa_uses_dynamic_stack 0
		.amdhsa_enable_private_segment 0
		.amdhsa_system_sgpr_workgroup_id_x 1
		.amdhsa_system_sgpr_workgroup_id_y 0
		.amdhsa_system_sgpr_workgroup_id_z 0
		.amdhsa_system_sgpr_workgroup_info 0
		.amdhsa_system_vgpr_workitem_id 0
		.amdhsa_next_free_vgpr 1
		.amdhsa_next_free_sgpr 0
		.amdhsa_accum_offset 4
		.amdhsa_reserve_vcc 0
		.amdhsa_float_round_mode_32 0
		.amdhsa_float_round_mode_16_64 0
		.amdhsa_float_denorm_mode_32 3
		.amdhsa_float_denorm_mode_16_64 3
		.amdhsa_dx10_clamp 1
		.amdhsa_ieee_mode 1
		.amdhsa_fp16_overflow 0
		.amdhsa_tg_split 0
		.amdhsa_exception_fp_ieee_invalid_op 0
		.amdhsa_exception_fp_denorm_src 0
		.amdhsa_exception_fp_ieee_div_zero 0
		.amdhsa_exception_fp_ieee_overflow 0
		.amdhsa_exception_fp_ieee_underflow 0
		.amdhsa_exception_fp_ieee_inexact 0
		.amdhsa_exception_int_div_zero 0
	.end_amdhsa_kernel
	.section	.text._ZN7rocprim17ROCPRIM_400000_NS6detail17trampoline_kernelINS0_14default_configENS1_25partition_config_selectorILNS1_17partition_subalgoE0EiNS0_10empty_typeEbEEZZNS1_14partition_implILS5_0ELb0ES3_jN6thrust23THRUST_200600_302600_NS6detail15normal_iteratorINSA_10device_ptrIiEEEEPS6_SG_NS0_5tupleIJSF_NSA_16discard_iteratorINSA_11use_defaultEEEEEENSH_IJSG_SG_EEES6_PlJ7is_evenIiEEEE10hipError_tPvRmT3_T4_T5_T6_T7_T9_mT8_P12ihipStream_tbDpT10_ENKUlT_T0_E_clISt17integral_constantIbLb1EES19_EEDaS14_S15_EUlS14_E_NS1_11comp_targetILNS1_3genE10ELNS1_11target_archE1200ELNS1_3gpuE4ELNS1_3repE0EEENS1_30default_config_static_selectorELNS0_4arch9wavefront6targetE1EEEvT1_,"axG",@progbits,_ZN7rocprim17ROCPRIM_400000_NS6detail17trampoline_kernelINS0_14default_configENS1_25partition_config_selectorILNS1_17partition_subalgoE0EiNS0_10empty_typeEbEEZZNS1_14partition_implILS5_0ELb0ES3_jN6thrust23THRUST_200600_302600_NS6detail15normal_iteratorINSA_10device_ptrIiEEEEPS6_SG_NS0_5tupleIJSF_NSA_16discard_iteratorINSA_11use_defaultEEEEEENSH_IJSG_SG_EEES6_PlJ7is_evenIiEEEE10hipError_tPvRmT3_T4_T5_T6_T7_T9_mT8_P12ihipStream_tbDpT10_ENKUlT_T0_E_clISt17integral_constantIbLb1EES19_EEDaS14_S15_EUlS14_E_NS1_11comp_targetILNS1_3genE10ELNS1_11target_archE1200ELNS1_3gpuE4ELNS1_3repE0EEENS1_30default_config_static_selectorELNS0_4arch9wavefront6targetE1EEEvT1_,comdat
.Lfunc_end2728:
	.size	_ZN7rocprim17ROCPRIM_400000_NS6detail17trampoline_kernelINS0_14default_configENS1_25partition_config_selectorILNS1_17partition_subalgoE0EiNS0_10empty_typeEbEEZZNS1_14partition_implILS5_0ELb0ES3_jN6thrust23THRUST_200600_302600_NS6detail15normal_iteratorINSA_10device_ptrIiEEEEPS6_SG_NS0_5tupleIJSF_NSA_16discard_iteratorINSA_11use_defaultEEEEEENSH_IJSG_SG_EEES6_PlJ7is_evenIiEEEE10hipError_tPvRmT3_T4_T5_T6_T7_T9_mT8_P12ihipStream_tbDpT10_ENKUlT_T0_E_clISt17integral_constantIbLb1EES19_EEDaS14_S15_EUlS14_E_NS1_11comp_targetILNS1_3genE10ELNS1_11target_archE1200ELNS1_3gpuE4ELNS1_3repE0EEENS1_30default_config_static_selectorELNS0_4arch9wavefront6targetE1EEEvT1_, .Lfunc_end2728-_ZN7rocprim17ROCPRIM_400000_NS6detail17trampoline_kernelINS0_14default_configENS1_25partition_config_selectorILNS1_17partition_subalgoE0EiNS0_10empty_typeEbEEZZNS1_14partition_implILS5_0ELb0ES3_jN6thrust23THRUST_200600_302600_NS6detail15normal_iteratorINSA_10device_ptrIiEEEEPS6_SG_NS0_5tupleIJSF_NSA_16discard_iteratorINSA_11use_defaultEEEEEENSH_IJSG_SG_EEES6_PlJ7is_evenIiEEEE10hipError_tPvRmT3_T4_T5_T6_T7_T9_mT8_P12ihipStream_tbDpT10_ENKUlT_T0_E_clISt17integral_constantIbLb1EES19_EEDaS14_S15_EUlS14_E_NS1_11comp_targetILNS1_3genE10ELNS1_11target_archE1200ELNS1_3gpuE4ELNS1_3repE0EEENS1_30default_config_static_selectorELNS0_4arch9wavefront6targetE1EEEvT1_
                                        ; -- End function
	.section	.AMDGPU.csdata,"",@progbits
; Kernel info:
; codeLenInByte = 0
; NumSgprs: 6
; NumVgprs: 0
; NumAgprs: 0
; TotalNumVgprs: 0
; ScratchSize: 0
; MemoryBound: 0
; FloatMode: 240
; IeeeMode: 1
; LDSByteSize: 0 bytes/workgroup (compile time only)
; SGPRBlocks: 0
; VGPRBlocks: 0
; NumSGPRsForWavesPerEU: 6
; NumVGPRsForWavesPerEU: 1
; AccumOffset: 4
; Occupancy: 8
; WaveLimiterHint : 0
; COMPUTE_PGM_RSRC2:SCRATCH_EN: 0
; COMPUTE_PGM_RSRC2:USER_SGPR: 2
; COMPUTE_PGM_RSRC2:TRAP_HANDLER: 0
; COMPUTE_PGM_RSRC2:TGID_X_EN: 1
; COMPUTE_PGM_RSRC2:TGID_Y_EN: 0
; COMPUTE_PGM_RSRC2:TGID_Z_EN: 0
; COMPUTE_PGM_RSRC2:TIDIG_COMP_CNT: 0
; COMPUTE_PGM_RSRC3_GFX90A:ACCUM_OFFSET: 0
; COMPUTE_PGM_RSRC3_GFX90A:TG_SPLIT: 0
	.section	.text._ZN7rocprim17ROCPRIM_400000_NS6detail17trampoline_kernelINS0_14default_configENS1_25partition_config_selectorILNS1_17partition_subalgoE0EiNS0_10empty_typeEbEEZZNS1_14partition_implILS5_0ELb0ES3_jN6thrust23THRUST_200600_302600_NS6detail15normal_iteratorINSA_10device_ptrIiEEEEPS6_SG_NS0_5tupleIJSF_NSA_16discard_iteratorINSA_11use_defaultEEEEEENSH_IJSG_SG_EEES6_PlJ7is_evenIiEEEE10hipError_tPvRmT3_T4_T5_T6_T7_T9_mT8_P12ihipStream_tbDpT10_ENKUlT_T0_E_clISt17integral_constantIbLb1EES19_EEDaS14_S15_EUlS14_E_NS1_11comp_targetILNS1_3genE9ELNS1_11target_archE1100ELNS1_3gpuE3ELNS1_3repE0EEENS1_30default_config_static_selectorELNS0_4arch9wavefront6targetE1EEEvT1_,"axG",@progbits,_ZN7rocprim17ROCPRIM_400000_NS6detail17trampoline_kernelINS0_14default_configENS1_25partition_config_selectorILNS1_17partition_subalgoE0EiNS0_10empty_typeEbEEZZNS1_14partition_implILS5_0ELb0ES3_jN6thrust23THRUST_200600_302600_NS6detail15normal_iteratorINSA_10device_ptrIiEEEEPS6_SG_NS0_5tupleIJSF_NSA_16discard_iteratorINSA_11use_defaultEEEEEENSH_IJSG_SG_EEES6_PlJ7is_evenIiEEEE10hipError_tPvRmT3_T4_T5_T6_T7_T9_mT8_P12ihipStream_tbDpT10_ENKUlT_T0_E_clISt17integral_constantIbLb1EES19_EEDaS14_S15_EUlS14_E_NS1_11comp_targetILNS1_3genE9ELNS1_11target_archE1100ELNS1_3gpuE3ELNS1_3repE0EEENS1_30default_config_static_selectorELNS0_4arch9wavefront6targetE1EEEvT1_,comdat
	.protected	_ZN7rocprim17ROCPRIM_400000_NS6detail17trampoline_kernelINS0_14default_configENS1_25partition_config_selectorILNS1_17partition_subalgoE0EiNS0_10empty_typeEbEEZZNS1_14partition_implILS5_0ELb0ES3_jN6thrust23THRUST_200600_302600_NS6detail15normal_iteratorINSA_10device_ptrIiEEEEPS6_SG_NS0_5tupleIJSF_NSA_16discard_iteratorINSA_11use_defaultEEEEEENSH_IJSG_SG_EEES6_PlJ7is_evenIiEEEE10hipError_tPvRmT3_T4_T5_T6_T7_T9_mT8_P12ihipStream_tbDpT10_ENKUlT_T0_E_clISt17integral_constantIbLb1EES19_EEDaS14_S15_EUlS14_E_NS1_11comp_targetILNS1_3genE9ELNS1_11target_archE1100ELNS1_3gpuE3ELNS1_3repE0EEENS1_30default_config_static_selectorELNS0_4arch9wavefront6targetE1EEEvT1_ ; -- Begin function _ZN7rocprim17ROCPRIM_400000_NS6detail17trampoline_kernelINS0_14default_configENS1_25partition_config_selectorILNS1_17partition_subalgoE0EiNS0_10empty_typeEbEEZZNS1_14partition_implILS5_0ELb0ES3_jN6thrust23THRUST_200600_302600_NS6detail15normal_iteratorINSA_10device_ptrIiEEEEPS6_SG_NS0_5tupleIJSF_NSA_16discard_iteratorINSA_11use_defaultEEEEEENSH_IJSG_SG_EEES6_PlJ7is_evenIiEEEE10hipError_tPvRmT3_T4_T5_T6_T7_T9_mT8_P12ihipStream_tbDpT10_ENKUlT_T0_E_clISt17integral_constantIbLb1EES19_EEDaS14_S15_EUlS14_E_NS1_11comp_targetILNS1_3genE9ELNS1_11target_archE1100ELNS1_3gpuE3ELNS1_3repE0EEENS1_30default_config_static_selectorELNS0_4arch9wavefront6targetE1EEEvT1_
	.globl	_ZN7rocprim17ROCPRIM_400000_NS6detail17trampoline_kernelINS0_14default_configENS1_25partition_config_selectorILNS1_17partition_subalgoE0EiNS0_10empty_typeEbEEZZNS1_14partition_implILS5_0ELb0ES3_jN6thrust23THRUST_200600_302600_NS6detail15normal_iteratorINSA_10device_ptrIiEEEEPS6_SG_NS0_5tupleIJSF_NSA_16discard_iteratorINSA_11use_defaultEEEEEENSH_IJSG_SG_EEES6_PlJ7is_evenIiEEEE10hipError_tPvRmT3_T4_T5_T6_T7_T9_mT8_P12ihipStream_tbDpT10_ENKUlT_T0_E_clISt17integral_constantIbLb1EES19_EEDaS14_S15_EUlS14_E_NS1_11comp_targetILNS1_3genE9ELNS1_11target_archE1100ELNS1_3gpuE3ELNS1_3repE0EEENS1_30default_config_static_selectorELNS0_4arch9wavefront6targetE1EEEvT1_
	.p2align	8
	.type	_ZN7rocprim17ROCPRIM_400000_NS6detail17trampoline_kernelINS0_14default_configENS1_25partition_config_selectorILNS1_17partition_subalgoE0EiNS0_10empty_typeEbEEZZNS1_14partition_implILS5_0ELb0ES3_jN6thrust23THRUST_200600_302600_NS6detail15normal_iteratorINSA_10device_ptrIiEEEEPS6_SG_NS0_5tupleIJSF_NSA_16discard_iteratorINSA_11use_defaultEEEEEENSH_IJSG_SG_EEES6_PlJ7is_evenIiEEEE10hipError_tPvRmT3_T4_T5_T6_T7_T9_mT8_P12ihipStream_tbDpT10_ENKUlT_T0_E_clISt17integral_constantIbLb1EES19_EEDaS14_S15_EUlS14_E_NS1_11comp_targetILNS1_3genE9ELNS1_11target_archE1100ELNS1_3gpuE3ELNS1_3repE0EEENS1_30default_config_static_selectorELNS0_4arch9wavefront6targetE1EEEvT1_,@function
_ZN7rocprim17ROCPRIM_400000_NS6detail17trampoline_kernelINS0_14default_configENS1_25partition_config_selectorILNS1_17partition_subalgoE0EiNS0_10empty_typeEbEEZZNS1_14partition_implILS5_0ELb0ES3_jN6thrust23THRUST_200600_302600_NS6detail15normal_iteratorINSA_10device_ptrIiEEEEPS6_SG_NS0_5tupleIJSF_NSA_16discard_iteratorINSA_11use_defaultEEEEEENSH_IJSG_SG_EEES6_PlJ7is_evenIiEEEE10hipError_tPvRmT3_T4_T5_T6_T7_T9_mT8_P12ihipStream_tbDpT10_ENKUlT_T0_E_clISt17integral_constantIbLb1EES19_EEDaS14_S15_EUlS14_E_NS1_11comp_targetILNS1_3genE9ELNS1_11target_archE1100ELNS1_3gpuE3ELNS1_3repE0EEENS1_30default_config_static_selectorELNS0_4arch9wavefront6targetE1EEEvT1_: ; @_ZN7rocprim17ROCPRIM_400000_NS6detail17trampoline_kernelINS0_14default_configENS1_25partition_config_selectorILNS1_17partition_subalgoE0EiNS0_10empty_typeEbEEZZNS1_14partition_implILS5_0ELb0ES3_jN6thrust23THRUST_200600_302600_NS6detail15normal_iteratorINSA_10device_ptrIiEEEEPS6_SG_NS0_5tupleIJSF_NSA_16discard_iteratorINSA_11use_defaultEEEEEENSH_IJSG_SG_EEES6_PlJ7is_evenIiEEEE10hipError_tPvRmT3_T4_T5_T6_T7_T9_mT8_P12ihipStream_tbDpT10_ENKUlT_T0_E_clISt17integral_constantIbLb1EES19_EEDaS14_S15_EUlS14_E_NS1_11comp_targetILNS1_3genE9ELNS1_11target_archE1100ELNS1_3gpuE3ELNS1_3repE0EEENS1_30default_config_static_selectorELNS0_4arch9wavefront6targetE1EEEvT1_
; %bb.0:
	.section	.rodata,"a",@progbits
	.p2align	6, 0x0
	.amdhsa_kernel _ZN7rocprim17ROCPRIM_400000_NS6detail17trampoline_kernelINS0_14default_configENS1_25partition_config_selectorILNS1_17partition_subalgoE0EiNS0_10empty_typeEbEEZZNS1_14partition_implILS5_0ELb0ES3_jN6thrust23THRUST_200600_302600_NS6detail15normal_iteratorINSA_10device_ptrIiEEEEPS6_SG_NS0_5tupleIJSF_NSA_16discard_iteratorINSA_11use_defaultEEEEEENSH_IJSG_SG_EEES6_PlJ7is_evenIiEEEE10hipError_tPvRmT3_T4_T5_T6_T7_T9_mT8_P12ihipStream_tbDpT10_ENKUlT_T0_E_clISt17integral_constantIbLb1EES19_EEDaS14_S15_EUlS14_E_NS1_11comp_targetILNS1_3genE9ELNS1_11target_archE1100ELNS1_3gpuE3ELNS1_3repE0EEENS1_30default_config_static_selectorELNS0_4arch9wavefront6targetE1EEEvT1_
		.amdhsa_group_segment_fixed_size 0
		.amdhsa_private_segment_fixed_size 0
		.amdhsa_kernarg_size 144
		.amdhsa_user_sgpr_count 2
		.amdhsa_user_sgpr_dispatch_ptr 0
		.amdhsa_user_sgpr_queue_ptr 0
		.amdhsa_user_sgpr_kernarg_segment_ptr 1
		.amdhsa_user_sgpr_dispatch_id 0
		.amdhsa_user_sgpr_kernarg_preload_length 0
		.amdhsa_user_sgpr_kernarg_preload_offset 0
		.amdhsa_user_sgpr_private_segment_size 0
		.amdhsa_uses_dynamic_stack 0
		.amdhsa_enable_private_segment 0
		.amdhsa_system_sgpr_workgroup_id_x 1
		.amdhsa_system_sgpr_workgroup_id_y 0
		.amdhsa_system_sgpr_workgroup_id_z 0
		.amdhsa_system_sgpr_workgroup_info 0
		.amdhsa_system_vgpr_workitem_id 0
		.amdhsa_next_free_vgpr 1
		.amdhsa_next_free_sgpr 0
		.amdhsa_accum_offset 4
		.amdhsa_reserve_vcc 0
		.amdhsa_float_round_mode_32 0
		.amdhsa_float_round_mode_16_64 0
		.amdhsa_float_denorm_mode_32 3
		.amdhsa_float_denorm_mode_16_64 3
		.amdhsa_dx10_clamp 1
		.amdhsa_ieee_mode 1
		.amdhsa_fp16_overflow 0
		.amdhsa_tg_split 0
		.amdhsa_exception_fp_ieee_invalid_op 0
		.amdhsa_exception_fp_denorm_src 0
		.amdhsa_exception_fp_ieee_div_zero 0
		.amdhsa_exception_fp_ieee_overflow 0
		.amdhsa_exception_fp_ieee_underflow 0
		.amdhsa_exception_fp_ieee_inexact 0
		.amdhsa_exception_int_div_zero 0
	.end_amdhsa_kernel
	.section	.text._ZN7rocprim17ROCPRIM_400000_NS6detail17trampoline_kernelINS0_14default_configENS1_25partition_config_selectorILNS1_17partition_subalgoE0EiNS0_10empty_typeEbEEZZNS1_14partition_implILS5_0ELb0ES3_jN6thrust23THRUST_200600_302600_NS6detail15normal_iteratorINSA_10device_ptrIiEEEEPS6_SG_NS0_5tupleIJSF_NSA_16discard_iteratorINSA_11use_defaultEEEEEENSH_IJSG_SG_EEES6_PlJ7is_evenIiEEEE10hipError_tPvRmT3_T4_T5_T6_T7_T9_mT8_P12ihipStream_tbDpT10_ENKUlT_T0_E_clISt17integral_constantIbLb1EES19_EEDaS14_S15_EUlS14_E_NS1_11comp_targetILNS1_3genE9ELNS1_11target_archE1100ELNS1_3gpuE3ELNS1_3repE0EEENS1_30default_config_static_selectorELNS0_4arch9wavefront6targetE1EEEvT1_,"axG",@progbits,_ZN7rocprim17ROCPRIM_400000_NS6detail17trampoline_kernelINS0_14default_configENS1_25partition_config_selectorILNS1_17partition_subalgoE0EiNS0_10empty_typeEbEEZZNS1_14partition_implILS5_0ELb0ES3_jN6thrust23THRUST_200600_302600_NS6detail15normal_iteratorINSA_10device_ptrIiEEEEPS6_SG_NS0_5tupleIJSF_NSA_16discard_iteratorINSA_11use_defaultEEEEEENSH_IJSG_SG_EEES6_PlJ7is_evenIiEEEE10hipError_tPvRmT3_T4_T5_T6_T7_T9_mT8_P12ihipStream_tbDpT10_ENKUlT_T0_E_clISt17integral_constantIbLb1EES19_EEDaS14_S15_EUlS14_E_NS1_11comp_targetILNS1_3genE9ELNS1_11target_archE1100ELNS1_3gpuE3ELNS1_3repE0EEENS1_30default_config_static_selectorELNS0_4arch9wavefront6targetE1EEEvT1_,comdat
.Lfunc_end2729:
	.size	_ZN7rocprim17ROCPRIM_400000_NS6detail17trampoline_kernelINS0_14default_configENS1_25partition_config_selectorILNS1_17partition_subalgoE0EiNS0_10empty_typeEbEEZZNS1_14partition_implILS5_0ELb0ES3_jN6thrust23THRUST_200600_302600_NS6detail15normal_iteratorINSA_10device_ptrIiEEEEPS6_SG_NS0_5tupleIJSF_NSA_16discard_iteratorINSA_11use_defaultEEEEEENSH_IJSG_SG_EEES6_PlJ7is_evenIiEEEE10hipError_tPvRmT3_T4_T5_T6_T7_T9_mT8_P12ihipStream_tbDpT10_ENKUlT_T0_E_clISt17integral_constantIbLb1EES19_EEDaS14_S15_EUlS14_E_NS1_11comp_targetILNS1_3genE9ELNS1_11target_archE1100ELNS1_3gpuE3ELNS1_3repE0EEENS1_30default_config_static_selectorELNS0_4arch9wavefront6targetE1EEEvT1_, .Lfunc_end2729-_ZN7rocprim17ROCPRIM_400000_NS6detail17trampoline_kernelINS0_14default_configENS1_25partition_config_selectorILNS1_17partition_subalgoE0EiNS0_10empty_typeEbEEZZNS1_14partition_implILS5_0ELb0ES3_jN6thrust23THRUST_200600_302600_NS6detail15normal_iteratorINSA_10device_ptrIiEEEEPS6_SG_NS0_5tupleIJSF_NSA_16discard_iteratorINSA_11use_defaultEEEEEENSH_IJSG_SG_EEES6_PlJ7is_evenIiEEEE10hipError_tPvRmT3_T4_T5_T6_T7_T9_mT8_P12ihipStream_tbDpT10_ENKUlT_T0_E_clISt17integral_constantIbLb1EES19_EEDaS14_S15_EUlS14_E_NS1_11comp_targetILNS1_3genE9ELNS1_11target_archE1100ELNS1_3gpuE3ELNS1_3repE0EEENS1_30default_config_static_selectorELNS0_4arch9wavefront6targetE1EEEvT1_
                                        ; -- End function
	.section	.AMDGPU.csdata,"",@progbits
; Kernel info:
; codeLenInByte = 0
; NumSgprs: 6
; NumVgprs: 0
; NumAgprs: 0
; TotalNumVgprs: 0
; ScratchSize: 0
; MemoryBound: 0
; FloatMode: 240
; IeeeMode: 1
; LDSByteSize: 0 bytes/workgroup (compile time only)
; SGPRBlocks: 0
; VGPRBlocks: 0
; NumSGPRsForWavesPerEU: 6
; NumVGPRsForWavesPerEU: 1
; AccumOffset: 4
; Occupancy: 8
; WaveLimiterHint : 0
; COMPUTE_PGM_RSRC2:SCRATCH_EN: 0
; COMPUTE_PGM_RSRC2:USER_SGPR: 2
; COMPUTE_PGM_RSRC2:TRAP_HANDLER: 0
; COMPUTE_PGM_RSRC2:TGID_X_EN: 1
; COMPUTE_PGM_RSRC2:TGID_Y_EN: 0
; COMPUTE_PGM_RSRC2:TGID_Z_EN: 0
; COMPUTE_PGM_RSRC2:TIDIG_COMP_CNT: 0
; COMPUTE_PGM_RSRC3_GFX90A:ACCUM_OFFSET: 0
; COMPUTE_PGM_RSRC3_GFX90A:TG_SPLIT: 0
	.section	.text._ZN7rocprim17ROCPRIM_400000_NS6detail17trampoline_kernelINS0_14default_configENS1_25partition_config_selectorILNS1_17partition_subalgoE0EiNS0_10empty_typeEbEEZZNS1_14partition_implILS5_0ELb0ES3_jN6thrust23THRUST_200600_302600_NS6detail15normal_iteratorINSA_10device_ptrIiEEEEPS6_SG_NS0_5tupleIJSF_NSA_16discard_iteratorINSA_11use_defaultEEEEEENSH_IJSG_SG_EEES6_PlJ7is_evenIiEEEE10hipError_tPvRmT3_T4_T5_T6_T7_T9_mT8_P12ihipStream_tbDpT10_ENKUlT_T0_E_clISt17integral_constantIbLb1EES19_EEDaS14_S15_EUlS14_E_NS1_11comp_targetILNS1_3genE8ELNS1_11target_archE1030ELNS1_3gpuE2ELNS1_3repE0EEENS1_30default_config_static_selectorELNS0_4arch9wavefront6targetE1EEEvT1_,"axG",@progbits,_ZN7rocprim17ROCPRIM_400000_NS6detail17trampoline_kernelINS0_14default_configENS1_25partition_config_selectorILNS1_17partition_subalgoE0EiNS0_10empty_typeEbEEZZNS1_14partition_implILS5_0ELb0ES3_jN6thrust23THRUST_200600_302600_NS6detail15normal_iteratorINSA_10device_ptrIiEEEEPS6_SG_NS0_5tupleIJSF_NSA_16discard_iteratorINSA_11use_defaultEEEEEENSH_IJSG_SG_EEES6_PlJ7is_evenIiEEEE10hipError_tPvRmT3_T4_T5_T6_T7_T9_mT8_P12ihipStream_tbDpT10_ENKUlT_T0_E_clISt17integral_constantIbLb1EES19_EEDaS14_S15_EUlS14_E_NS1_11comp_targetILNS1_3genE8ELNS1_11target_archE1030ELNS1_3gpuE2ELNS1_3repE0EEENS1_30default_config_static_selectorELNS0_4arch9wavefront6targetE1EEEvT1_,comdat
	.protected	_ZN7rocprim17ROCPRIM_400000_NS6detail17trampoline_kernelINS0_14default_configENS1_25partition_config_selectorILNS1_17partition_subalgoE0EiNS0_10empty_typeEbEEZZNS1_14partition_implILS5_0ELb0ES3_jN6thrust23THRUST_200600_302600_NS6detail15normal_iteratorINSA_10device_ptrIiEEEEPS6_SG_NS0_5tupleIJSF_NSA_16discard_iteratorINSA_11use_defaultEEEEEENSH_IJSG_SG_EEES6_PlJ7is_evenIiEEEE10hipError_tPvRmT3_T4_T5_T6_T7_T9_mT8_P12ihipStream_tbDpT10_ENKUlT_T0_E_clISt17integral_constantIbLb1EES19_EEDaS14_S15_EUlS14_E_NS1_11comp_targetILNS1_3genE8ELNS1_11target_archE1030ELNS1_3gpuE2ELNS1_3repE0EEENS1_30default_config_static_selectorELNS0_4arch9wavefront6targetE1EEEvT1_ ; -- Begin function _ZN7rocprim17ROCPRIM_400000_NS6detail17trampoline_kernelINS0_14default_configENS1_25partition_config_selectorILNS1_17partition_subalgoE0EiNS0_10empty_typeEbEEZZNS1_14partition_implILS5_0ELb0ES3_jN6thrust23THRUST_200600_302600_NS6detail15normal_iteratorINSA_10device_ptrIiEEEEPS6_SG_NS0_5tupleIJSF_NSA_16discard_iteratorINSA_11use_defaultEEEEEENSH_IJSG_SG_EEES6_PlJ7is_evenIiEEEE10hipError_tPvRmT3_T4_T5_T6_T7_T9_mT8_P12ihipStream_tbDpT10_ENKUlT_T0_E_clISt17integral_constantIbLb1EES19_EEDaS14_S15_EUlS14_E_NS1_11comp_targetILNS1_3genE8ELNS1_11target_archE1030ELNS1_3gpuE2ELNS1_3repE0EEENS1_30default_config_static_selectorELNS0_4arch9wavefront6targetE1EEEvT1_
	.globl	_ZN7rocprim17ROCPRIM_400000_NS6detail17trampoline_kernelINS0_14default_configENS1_25partition_config_selectorILNS1_17partition_subalgoE0EiNS0_10empty_typeEbEEZZNS1_14partition_implILS5_0ELb0ES3_jN6thrust23THRUST_200600_302600_NS6detail15normal_iteratorINSA_10device_ptrIiEEEEPS6_SG_NS0_5tupleIJSF_NSA_16discard_iteratorINSA_11use_defaultEEEEEENSH_IJSG_SG_EEES6_PlJ7is_evenIiEEEE10hipError_tPvRmT3_T4_T5_T6_T7_T9_mT8_P12ihipStream_tbDpT10_ENKUlT_T0_E_clISt17integral_constantIbLb1EES19_EEDaS14_S15_EUlS14_E_NS1_11comp_targetILNS1_3genE8ELNS1_11target_archE1030ELNS1_3gpuE2ELNS1_3repE0EEENS1_30default_config_static_selectorELNS0_4arch9wavefront6targetE1EEEvT1_
	.p2align	8
	.type	_ZN7rocprim17ROCPRIM_400000_NS6detail17trampoline_kernelINS0_14default_configENS1_25partition_config_selectorILNS1_17partition_subalgoE0EiNS0_10empty_typeEbEEZZNS1_14partition_implILS5_0ELb0ES3_jN6thrust23THRUST_200600_302600_NS6detail15normal_iteratorINSA_10device_ptrIiEEEEPS6_SG_NS0_5tupleIJSF_NSA_16discard_iteratorINSA_11use_defaultEEEEEENSH_IJSG_SG_EEES6_PlJ7is_evenIiEEEE10hipError_tPvRmT3_T4_T5_T6_T7_T9_mT8_P12ihipStream_tbDpT10_ENKUlT_T0_E_clISt17integral_constantIbLb1EES19_EEDaS14_S15_EUlS14_E_NS1_11comp_targetILNS1_3genE8ELNS1_11target_archE1030ELNS1_3gpuE2ELNS1_3repE0EEENS1_30default_config_static_selectorELNS0_4arch9wavefront6targetE1EEEvT1_,@function
_ZN7rocprim17ROCPRIM_400000_NS6detail17trampoline_kernelINS0_14default_configENS1_25partition_config_selectorILNS1_17partition_subalgoE0EiNS0_10empty_typeEbEEZZNS1_14partition_implILS5_0ELb0ES3_jN6thrust23THRUST_200600_302600_NS6detail15normal_iteratorINSA_10device_ptrIiEEEEPS6_SG_NS0_5tupleIJSF_NSA_16discard_iteratorINSA_11use_defaultEEEEEENSH_IJSG_SG_EEES6_PlJ7is_evenIiEEEE10hipError_tPvRmT3_T4_T5_T6_T7_T9_mT8_P12ihipStream_tbDpT10_ENKUlT_T0_E_clISt17integral_constantIbLb1EES19_EEDaS14_S15_EUlS14_E_NS1_11comp_targetILNS1_3genE8ELNS1_11target_archE1030ELNS1_3gpuE2ELNS1_3repE0EEENS1_30default_config_static_selectorELNS0_4arch9wavefront6targetE1EEEvT1_: ; @_ZN7rocprim17ROCPRIM_400000_NS6detail17trampoline_kernelINS0_14default_configENS1_25partition_config_selectorILNS1_17partition_subalgoE0EiNS0_10empty_typeEbEEZZNS1_14partition_implILS5_0ELb0ES3_jN6thrust23THRUST_200600_302600_NS6detail15normal_iteratorINSA_10device_ptrIiEEEEPS6_SG_NS0_5tupleIJSF_NSA_16discard_iteratorINSA_11use_defaultEEEEEENSH_IJSG_SG_EEES6_PlJ7is_evenIiEEEE10hipError_tPvRmT3_T4_T5_T6_T7_T9_mT8_P12ihipStream_tbDpT10_ENKUlT_T0_E_clISt17integral_constantIbLb1EES19_EEDaS14_S15_EUlS14_E_NS1_11comp_targetILNS1_3genE8ELNS1_11target_archE1030ELNS1_3gpuE2ELNS1_3repE0EEENS1_30default_config_static_selectorELNS0_4arch9wavefront6targetE1EEEvT1_
; %bb.0:
	.section	.rodata,"a",@progbits
	.p2align	6, 0x0
	.amdhsa_kernel _ZN7rocprim17ROCPRIM_400000_NS6detail17trampoline_kernelINS0_14default_configENS1_25partition_config_selectorILNS1_17partition_subalgoE0EiNS0_10empty_typeEbEEZZNS1_14partition_implILS5_0ELb0ES3_jN6thrust23THRUST_200600_302600_NS6detail15normal_iteratorINSA_10device_ptrIiEEEEPS6_SG_NS0_5tupleIJSF_NSA_16discard_iteratorINSA_11use_defaultEEEEEENSH_IJSG_SG_EEES6_PlJ7is_evenIiEEEE10hipError_tPvRmT3_T4_T5_T6_T7_T9_mT8_P12ihipStream_tbDpT10_ENKUlT_T0_E_clISt17integral_constantIbLb1EES19_EEDaS14_S15_EUlS14_E_NS1_11comp_targetILNS1_3genE8ELNS1_11target_archE1030ELNS1_3gpuE2ELNS1_3repE0EEENS1_30default_config_static_selectorELNS0_4arch9wavefront6targetE1EEEvT1_
		.amdhsa_group_segment_fixed_size 0
		.amdhsa_private_segment_fixed_size 0
		.amdhsa_kernarg_size 144
		.amdhsa_user_sgpr_count 2
		.amdhsa_user_sgpr_dispatch_ptr 0
		.amdhsa_user_sgpr_queue_ptr 0
		.amdhsa_user_sgpr_kernarg_segment_ptr 1
		.amdhsa_user_sgpr_dispatch_id 0
		.amdhsa_user_sgpr_kernarg_preload_length 0
		.amdhsa_user_sgpr_kernarg_preload_offset 0
		.amdhsa_user_sgpr_private_segment_size 0
		.amdhsa_uses_dynamic_stack 0
		.amdhsa_enable_private_segment 0
		.amdhsa_system_sgpr_workgroup_id_x 1
		.amdhsa_system_sgpr_workgroup_id_y 0
		.amdhsa_system_sgpr_workgroup_id_z 0
		.amdhsa_system_sgpr_workgroup_info 0
		.amdhsa_system_vgpr_workitem_id 0
		.amdhsa_next_free_vgpr 1
		.amdhsa_next_free_sgpr 0
		.amdhsa_accum_offset 4
		.amdhsa_reserve_vcc 0
		.amdhsa_float_round_mode_32 0
		.amdhsa_float_round_mode_16_64 0
		.amdhsa_float_denorm_mode_32 3
		.amdhsa_float_denorm_mode_16_64 3
		.amdhsa_dx10_clamp 1
		.amdhsa_ieee_mode 1
		.amdhsa_fp16_overflow 0
		.amdhsa_tg_split 0
		.amdhsa_exception_fp_ieee_invalid_op 0
		.amdhsa_exception_fp_denorm_src 0
		.amdhsa_exception_fp_ieee_div_zero 0
		.amdhsa_exception_fp_ieee_overflow 0
		.amdhsa_exception_fp_ieee_underflow 0
		.amdhsa_exception_fp_ieee_inexact 0
		.amdhsa_exception_int_div_zero 0
	.end_amdhsa_kernel
	.section	.text._ZN7rocprim17ROCPRIM_400000_NS6detail17trampoline_kernelINS0_14default_configENS1_25partition_config_selectorILNS1_17partition_subalgoE0EiNS0_10empty_typeEbEEZZNS1_14partition_implILS5_0ELb0ES3_jN6thrust23THRUST_200600_302600_NS6detail15normal_iteratorINSA_10device_ptrIiEEEEPS6_SG_NS0_5tupleIJSF_NSA_16discard_iteratorINSA_11use_defaultEEEEEENSH_IJSG_SG_EEES6_PlJ7is_evenIiEEEE10hipError_tPvRmT3_T4_T5_T6_T7_T9_mT8_P12ihipStream_tbDpT10_ENKUlT_T0_E_clISt17integral_constantIbLb1EES19_EEDaS14_S15_EUlS14_E_NS1_11comp_targetILNS1_3genE8ELNS1_11target_archE1030ELNS1_3gpuE2ELNS1_3repE0EEENS1_30default_config_static_selectorELNS0_4arch9wavefront6targetE1EEEvT1_,"axG",@progbits,_ZN7rocprim17ROCPRIM_400000_NS6detail17trampoline_kernelINS0_14default_configENS1_25partition_config_selectorILNS1_17partition_subalgoE0EiNS0_10empty_typeEbEEZZNS1_14partition_implILS5_0ELb0ES3_jN6thrust23THRUST_200600_302600_NS6detail15normal_iteratorINSA_10device_ptrIiEEEEPS6_SG_NS0_5tupleIJSF_NSA_16discard_iteratorINSA_11use_defaultEEEEEENSH_IJSG_SG_EEES6_PlJ7is_evenIiEEEE10hipError_tPvRmT3_T4_T5_T6_T7_T9_mT8_P12ihipStream_tbDpT10_ENKUlT_T0_E_clISt17integral_constantIbLb1EES19_EEDaS14_S15_EUlS14_E_NS1_11comp_targetILNS1_3genE8ELNS1_11target_archE1030ELNS1_3gpuE2ELNS1_3repE0EEENS1_30default_config_static_selectorELNS0_4arch9wavefront6targetE1EEEvT1_,comdat
.Lfunc_end2730:
	.size	_ZN7rocprim17ROCPRIM_400000_NS6detail17trampoline_kernelINS0_14default_configENS1_25partition_config_selectorILNS1_17partition_subalgoE0EiNS0_10empty_typeEbEEZZNS1_14partition_implILS5_0ELb0ES3_jN6thrust23THRUST_200600_302600_NS6detail15normal_iteratorINSA_10device_ptrIiEEEEPS6_SG_NS0_5tupleIJSF_NSA_16discard_iteratorINSA_11use_defaultEEEEEENSH_IJSG_SG_EEES6_PlJ7is_evenIiEEEE10hipError_tPvRmT3_T4_T5_T6_T7_T9_mT8_P12ihipStream_tbDpT10_ENKUlT_T0_E_clISt17integral_constantIbLb1EES19_EEDaS14_S15_EUlS14_E_NS1_11comp_targetILNS1_3genE8ELNS1_11target_archE1030ELNS1_3gpuE2ELNS1_3repE0EEENS1_30default_config_static_selectorELNS0_4arch9wavefront6targetE1EEEvT1_, .Lfunc_end2730-_ZN7rocprim17ROCPRIM_400000_NS6detail17trampoline_kernelINS0_14default_configENS1_25partition_config_selectorILNS1_17partition_subalgoE0EiNS0_10empty_typeEbEEZZNS1_14partition_implILS5_0ELb0ES3_jN6thrust23THRUST_200600_302600_NS6detail15normal_iteratorINSA_10device_ptrIiEEEEPS6_SG_NS0_5tupleIJSF_NSA_16discard_iteratorINSA_11use_defaultEEEEEENSH_IJSG_SG_EEES6_PlJ7is_evenIiEEEE10hipError_tPvRmT3_T4_T5_T6_T7_T9_mT8_P12ihipStream_tbDpT10_ENKUlT_T0_E_clISt17integral_constantIbLb1EES19_EEDaS14_S15_EUlS14_E_NS1_11comp_targetILNS1_3genE8ELNS1_11target_archE1030ELNS1_3gpuE2ELNS1_3repE0EEENS1_30default_config_static_selectorELNS0_4arch9wavefront6targetE1EEEvT1_
                                        ; -- End function
	.section	.AMDGPU.csdata,"",@progbits
; Kernel info:
; codeLenInByte = 0
; NumSgprs: 6
; NumVgprs: 0
; NumAgprs: 0
; TotalNumVgprs: 0
; ScratchSize: 0
; MemoryBound: 0
; FloatMode: 240
; IeeeMode: 1
; LDSByteSize: 0 bytes/workgroup (compile time only)
; SGPRBlocks: 0
; VGPRBlocks: 0
; NumSGPRsForWavesPerEU: 6
; NumVGPRsForWavesPerEU: 1
; AccumOffset: 4
; Occupancy: 8
; WaveLimiterHint : 0
; COMPUTE_PGM_RSRC2:SCRATCH_EN: 0
; COMPUTE_PGM_RSRC2:USER_SGPR: 2
; COMPUTE_PGM_RSRC2:TRAP_HANDLER: 0
; COMPUTE_PGM_RSRC2:TGID_X_EN: 1
; COMPUTE_PGM_RSRC2:TGID_Y_EN: 0
; COMPUTE_PGM_RSRC2:TGID_Z_EN: 0
; COMPUTE_PGM_RSRC2:TIDIG_COMP_CNT: 0
; COMPUTE_PGM_RSRC3_GFX90A:ACCUM_OFFSET: 0
; COMPUTE_PGM_RSRC3_GFX90A:TG_SPLIT: 0
	.section	.text._ZN7rocprim17ROCPRIM_400000_NS6detail17trampoline_kernelINS0_14default_configENS1_25partition_config_selectorILNS1_17partition_subalgoE0EiNS0_10empty_typeEbEEZZNS1_14partition_implILS5_0ELb0ES3_jN6thrust23THRUST_200600_302600_NS6detail15normal_iteratorINSA_10device_ptrIiEEEEPS6_SG_NS0_5tupleIJSF_NSA_16discard_iteratorINSA_11use_defaultEEEEEENSH_IJSG_SG_EEES6_PlJ7is_evenIiEEEE10hipError_tPvRmT3_T4_T5_T6_T7_T9_mT8_P12ihipStream_tbDpT10_ENKUlT_T0_E_clISt17integral_constantIbLb1EES18_IbLb0EEEEDaS14_S15_EUlS14_E_NS1_11comp_targetILNS1_3genE0ELNS1_11target_archE4294967295ELNS1_3gpuE0ELNS1_3repE0EEENS1_30default_config_static_selectorELNS0_4arch9wavefront6targetE1EEEvT1_,"axG",@progbits,_ZN7rocprim17ROCPRIM_400000_NS6detail17trampoline_kernelINS0_14default_configENS1_25partition_config_selectorILNS1_17partition_subalgoE0EiNS0_10empty_typeEbEEZZNS1_14partition_implILS5_0ELb0ES3_jN6thrust23THRUST_200600_302600_NS6detail15normal_iteratorINSA_10device_ptrIiEEEEPS6_SG_NS0_5tupleIJSF_NSA_16discard_iteratorINSA_11use_defaultEEEEEENSH_IJSG_SG_EEES6_PlJ7is_evenIiEEEE10hipError_tPvRmT3_T4_T5_T6_T7_T9_mT8_P12ihipStream_tbDpT10_ENKUlT_T0_E_clISt17integral_constantIbLb1EES18_IbLb0EEEEDaS14_S15_EUlS14_E_NS1_11comp_targetILNS1_3genE0ELNS1_11target_archE4294967295ELNS1_3gpuE0ELNS1_3repE0EEENS1_30default_config_static_selectorELNS0_4arch9wavefront6targetE1EEEvT1_,comdat
	.protected	_ZN7rocprim17ROCPRIM_400000_NS6detail17trampoline_kernelINS0_14default_configENS1_25partition_config_selectorILNS1_17partition_subalgoE0EiNS0_10empty_typeEbEEZZNS1_14partition_implILS5_0ELb0ES3_jN6thrust23THRUST_200600_302600_NS6detail15normal_iteratorINSA_10device_ptrIiEEEEPS6_SG_NS0_5tupleIJSF_NSA_16discard_iteratorINSA_11use_defaultEEEEEENSH_IJSG_SG_EEES6_PlJ7is_evenIiEEEE10hipError_tPvRmT3_T4_T5_T6_T7_T9_mT8_P12ihipStream_tbDpT10_ENKUlT_T0_E_clISt17integral_constantIbLb1EES18_IbLb0EEEEDaS14_S15_EUlS14_E_NS1_11comp_targetILNS1_3genE0ELNS1_11target_archE4294967295ELNS1_3gpuE0ELNS1_3repE0EEENS1_30default_config_static_selectorELNS0_4arch9wavefront6targetE1EEEvT1_ ; -- Begin function _ZN7rocprim17ROCPRIM_400000_NS6detail17trampoline_kernelINS0_14default_configENS1_25partition_config_selectorILNS1_17partition_subalgoE0EiNS0_10empty_typeEbEEZZNS1_14partition_implILS5_0ELb0ES3_jN6thrust23THRUST_200600_302600_NS6detail15normal_iteratorINSA_10device_ptrIiEEEEPS6_SG_NS0_5tupleIJSF_NSA_16discard_iteratorINSA_11use_defaultEEEEEENSH_IJSG_SG_EEES6_PlJ7is_evenIiEEEE10hipError_tPvRmT3_T4_T5_T6_T7_T9_mT8_P12ihipStream_tbDpT10_ENKUlT_T0_E_clISt17integral_constantIbLb1EES18_IbLb0EEEEDaS14_S15_EUlS14_E_NS1_11comp_targetILNS1_3genE0ELNS1_11target_archE4294967295ELNS1_3gpuE0ELNS1_3repE0EEENS1_30default_config_static_selectorELNS0_4arch9wavefront6targetE1EEEvT1_
	.globl	_ZN7rocprim17ROCPRIM_400000_NS6detail17trampoline_kernelINS0_14default_configENS1_25partition_config_selectorILNS1_17partition_subalgoE0EiNS0_10empty_typeEbEEZZNS1_14partition_implILS5_0ELb0ES3_jN6thrust23THRUST_200600_302600_NS6detail15normal_iteratorINSA_10device_ptrIiEEEEPS6_SG_NS0_5tupleIJSF_NSA_16discard_iteratorINSA_11use_defaultEEEEEENSH_IJSG_SG_EEES6_PlJ7is_evenIiEEEE10hipError_tPvRmT3_T4_T5_T6_T7_T9_mT8_P12ihipStream_tbDpT10_ENKUlT_T0_E_clISt17integral_constantIbLb1EES18_IbLb0EEEEDaS14_S15_EUlS14_E_NS1_11comp_targetILNS1_3genE0ELNS1_11target_archE4294967295ELNS1_3gpuE0ELNS1_3repE0EEENS1_30default_config_static_selectorELNS0_4arch9wavefront6targetE1EEEvT1_
	.p2align	8
	.type	_ZN7rocprim17ROCPRIM_400000_NS6detail17trampoline_kernelINS0_14default_configENS1_25partition_config_selectorILNS1_17partition_subalgoE0EiNS0_10empty_typeEbEEZZNS1_14partition_implILS5_0ELb0ES3_jN6thrust23THRUST_200600_302600_NS6detail15normal_iteratorINSA_10device_ptrIiEEEEPS6_SG_NS0_5tupleIJSF_NSA_16discard_iteratorINSA_11use_defaultEEEEEENSH_IJSG_SG_EEES6_PlJ7is_evenIiEEEE10hipError_tPvRmT3_T4_T5_T6_T7_T9_mT8_P12ihipStream_tbDpT10_ENKUlT_T0_E_clISt17integral_constantIbLb1EES18_IbLb0EEEEDaS14_S15_EUlS14_E_NS1_11comp_targetILNS1_3genE0ELNS1_11target_archE4294967295ELNS1_3gpuE0ELNS1_3repE0EEENS1_30default_config_static_selectorELNS0_4arch9wavefront6targetE1EEEvT1_,@function
_ZN7rocprim17ROCPRIM_400000_NS6detail17trampoline_kernelINS0_14default_configENS1_25partition_config_selectorILNS1_17partition_subalgoE0EiNS0_10empty_typeEbEEZZNS1_14partition_implILS5_0ELb0ES3_jN6thrust23THRUST_200600_302600_NS6detail15normal_iteratorINSA_10device_ptrIiEEEEPS6_SG_NS0_5tupleIJSF_NSA_16discard_iteratorINSA_11use_defaultEEEEEENSH_IJSG_SG_EEES6_PlJ7is_evenIiEEEE10hipError_tPvRmT3_T4_T5_T6_T7_T9_mT8_P12ihipStream_tbDpT10_ENKUlT_T0_E_clISt17integral_constantIbLb1EES18_IbLb0EEEEDaS14_S15_EUlS14_E_NS1_11comp_targetILNS1_3genE0ELNS1_11target_archE4294967295ELNS1_3gpuE0ELNS1_3repE0EEENS1_30default_config_static_selectorELNS0_4arch9wavefront6targetE1EEEvT1_: ; @_ZN7rocprim17ROCPRIM_400000_NS6detail17trampoline_kernelINS0_14default_configENS1_25partition_config_selectorILNS1_17partition_subalgoE0EiNS0_10empty_typeEbEEZZNS1_14partition_implILS5_0ELb0ES3_jN6thrust23THRUST_200600_302600_NS6detail15normal_iteratorINSA_10device_ptrIiEEEEPS6_SG_NS0_5tupleIJSF_NSA_16discard_iteratorINSA_11use_defaultEEEEEENSH_IJSG_SG_EEES6_PlJ7is_evenIiEEEE10hipError_tPvRmT3_T4_T5_T6_T7_T9_mT8_P12ihipStream_tbDpT10_ENKUlT_T0_E_clISt17integral_constantIbLb1EES18_IbLb0EEEEDaS14_S15_EUlS14_E_NS1_11comp_targetILNS1_3genE0ELNS1_11target_archE4294967295ELNS1_3gpuE0ELNS1_3repE0EEENS1_30default_config_static_selectorELNS0_4arch9wavefront6targetE1EEEvT1_
; %bb.0:
	.section	.rodata,"a",@progbits
	.p2align	6, 0x0
	.amdhsa_kernel _ZN7rocprim17ROCPRIM_400000_NS6detail17trampoline_kernelINS0_14default_configENS1_25partition_config_selectorILNS1_17partition_subalgoE0EiNS0_10empty_typeEbEEZZNS1_14partition_implILS5_0ELb0ES3_jN6thrust23THRUST_200600_302600_NS6detail15normal_iteratorINSA_10device_ptrIiEEEEPS6_SG_NS0_5tupleIJSF_NSA_16discard_iteratorINSA_11use_defaultEEEEEENSH_IJSG_SG_EEES6_PlJ7is_evenIiEEEE10hipError_tPvRmT3_T4_T5_T6_T7_T9_mT8_P12ihipStream_tbDpT10_ENKUlT_T0_E_clISt17integral_constantIbLb1EES18_IbLb0EEEEDaS14_S15_EUlS14_E_NS1_11comp_targetILNS1_3genE0ELNS1_11target_archE4294967295ELNS1_3gpuE0ELNS1_3repE0EEENS1_30default_config_static_selectorELNS0_4arch9wavefront6targetE1EEEvT1_
		.amdhsa_group_segment_fixed_size 0
		.amdhsa_private_segment_fixed_size 0
		.amdhsa_kernarg_size 128
		.amdhsa_user_sgpr_count 2
		.amdhsa_user_sgpr_dispatch_ptr 0
		.amdhsa_user_sgpr_queue_ptr 0
		.amdhsa_user_sgpr_kernarg_segment_ptr 1
		.amdhsa_user_sgpr_dispatch_id 0
		.amdhsa_user_sgpr_kernarg_preload_length 0
		.amdhsa_user_sgpr_kernarg_preload_offset 0
		.amdhsa_user_sgpr_private_segment_size 0
		.amdhsa_uses_dynamic_stack 0
		.amdhsa_enable_private_segment 0
		.amdhsa_system_sgpr_workgroup_id_x 1
		.amdhsa_system_sgpr_workgroup_id_y 0
		.amdhsa_system_sgpr_workgroup_id_z 0
		.amdhsa_system_sgpr_workgroup_info 0
		.amdhsa_system_vgpr_workitem_id 0
		.amdhsa_next_free_vgpr 1
		.amdhsa_next_free_sgpr 0
		.amdhsa_accum_offset 4
		.amdhsa_reserve_vcc 0
		.amdhsa_float_round_mode_32 0
		.amdhsa_float_round_mode_16_64 0
		.amdhsa_float_denorm_mode_32 3
		.amdhsa_float_denorm_mode_16_64 3
		.amdhsa_dx10_clamp 1
		.amdhsa_ieee_mode 1
		.amdhsa_fp16_overflow 0
		.amdhsa_tg_split 0
		.amdhsa_exception_fp_ieee_invalid_op 0
		.amdhsa_exception_fp_denorm_src 0
		.amdhsa_exception_fp_ieee_div_zero 0
		.amdhsa_exception_fp_ieee_overflow 0
		.amdhsa_exception_fp_ieee_underflow 0
		.amdhsa_exception_fp_ieee_inexact 0
		.amdhsa_exception_int_div_zero 0
	.end_amdhsa_kernel
	.section	.text._ZN7rocprim17ROCPRIM_400000_NS6detail17trampoline_kernelINS0_14default_configENS1_25partition_config_selectorILNS1_17partition_subalgoE0EiNS0_10empty_typeEbEEZZNS1_14partition_implILS5_0ELb0ES3_jN6thrust23THRUST_200600_302600_NS6detail15normal_iteratorINSA_10device_ptrIiEEEEPS6_SG_NS0_5tupleIJSF_NSA_16discard_iteratorINSA_11use_defaultEEEEEENSH_IJSG_SG_EEES6_PlJ7is_evenIiEEEE10hipError_tPvRmT3_T4_T5_T6_T7_T9_mT8_P12ihipStream_tbDpT10_ENKUlT_T0_E_clISt17integral_constantIbLb1EES18_IbLb0EEEEDaS14_S15_EUlS14_E_NS1_11comp_targetILNS1_3genE0ELNS1_11target_archE4294967295ELNS1_3gpuE0ELNS1_3repE0EEENS1_30default_config_static_selectorELNS0_4arch9wavefront6targetE1EEEvT1_,"axG",@progbits,_ZN7rocprim17ROCPRIM_400000_NS6detail17trampoline_kernelINS0_14default_configENS1_25partition_config_selectorILNS1_17partition_subalgoE0EiNS0_10empty_typeEbEEZZNS1_14partition_implILS5_0ELb0ES3_jN6thrust23THRUST_200600_302600_NS6detail15normal_iteratorINSA_10device_ptrIiEEEEPS6_SG_NS0_5tupleIJSF_NSA_16discard_iteratorINSA_11use_defaultEEEEEENSH_IJSG_SG_EEES6_PlJ7is_evenIiEEEE10hipError_tPvRmT3_T4_T5_T6_T7_T9_mT8_P12ihipStream_tbDpT10_ENKUlT_T0_E_clISt17integral_constantIbLb1EES18_IbLb0EEEEDaS14_S15_EUlS14_E_NS1_11comp_targetILNS1_3genE0ELNS1_11target_archE4294967295ELNS1_3gpuE0ELNS1_3repE0EEENS1_30default_config_static_selectorELNS0_4arch9wavefront6targetE1EEEvT1_,comdat
.Lfunc_end2731:
	.size	_ZN7rocprim17ROCPRIM_400000_NS6detail17trampoline_kernelINS0_14default_configENS1_25partition_config_selectorILNS1_17partition_subalgoE0EiNS0_10empty_typeEbEEZZNS1_14partition_implILS5_0ELb0ES3_jN6thrust23THRUST_200600_302600_NS6detail15normal_iteratorINSA_10device_ptrIiEEEEPS6_SG_NS0_5tupleIJSF_NSA_16discard_iteratorINSA_11use_defaultEEEEEENSH_IJSG_SG_EEES6_PlJ7is_evenIiEEEE10hipError_tPvRmT3_T4_T5_T6_T7_T9_mT8_P12ihipStream_tbDpT10_ENKUlT_T0_E_clISt17integral_constantIbLb1EES18_IbLb0EEEEDaS14_S15_EUlS14_E_NS1_11comp_targetILNS1_3genE0ELNS1_11target_archE4294967295ELNS1_3gpuE0ELNS1_3repE0EEENS1_30default_config_static_selectorELNS0_4arch9wavefront6targetE1EEEvT1_, .Lfunc_end2731-_ZN7rocprim17ROCPRIM_400000_NS6detail17trampoline_kernelINS0_14default_configENS1_25partition_config_selectorILNS1_17partition_subalgoE0EiNS0_10empty_typeEbEEZZNS1_14partition_implILS5_0ELb0ES3_jN6thrust23THRUST_200600_302600_NS6detail15normal_iteratorINSA_10device_ptrIiEEEEPS6_SG_NS0_5tupleIJSF_NSA_16discard_iteratorINSA_11use_defaultEEEEEENSH_IJSG_SG_EEES6_PlJ7is_evenIiEEEE10hipError_tPvRmT3_T4_T5_T6_T7_T9_mT8_P12ihipStream_tbDpT10_ENKUlT_T0_E_clISt17integral_constantIbLb1EES18_IbLb0EEEEDaS14_S15_EUlS14_E_NS1_11comp_targetILNS1_3genE0ELNS1_11target_archE4294967295ELNS1_3gpuE0ELNS1_3repE0EEENS1_30default_config_static_selectorELNS0_4arch9wavefront6targetE1EEEvT1_
                                        ; -- End function
	.section	.AMDGPU.csdata,"",@progbits
; Kernel info:
; codeLenInByte = 0
; NumSgprs: 6
; NumVgprs: 0
; NumAgprs: 0
; TotalNumVgprs: 0
; ScratchSize: 0
; MemoryBound: 0
; FloatMode: 240
; IeeeMode: 1
; LDSByteSize: 0 bytes/workgroup (compile time only)
; SGPRBlocks: 0
; VGPRBlocks: 0
; NumSGPRsForWavesPerEU: 6
; NumVGPRsForWavesPerEU: 1
; AccumOffset: 4
; Occupancy: 8
; WaveLimiterHint : 0
; COMPUTE_PGM_RSRC2:SCRATCH_EN: 0
; COMPUTE_PGM_RSRC2:USER_SGPR: 2
; COMPUTE_PGM_RSRC2:TRAP_HANDLER: 0
; COMPUTE_PGM_RSRC2:TGID_X_EN: 1
; COMPUTE_PGM_RSRC2:TGID_Y_EN: 0
; COMPUTE_PGM_RSRC2:TGID_Z_EN: 0
; COMPUTE_PGM_RSRC2:TIDIG_COMP_CNT: 0
; COMPUTE_PGM_RSRC3_GFX90A:ACCUM_OFFSET: 0
; COMPUTE_PGM_RSRC3_GFX90A:TG_SPLIT: 0
	.section	.text._ZN7rocprim17ROCPRIM_400000_NS6detail17trampoline_kernelINS0_14default_configENS1_25partition_config_selectorILNS1_17partition_subalgoE0EiNS0_10empty_typeEbEEZZNS1_14partition_implILS5_0ELb0ES3_jN6thrust23THRUST_200600_302600_NS6detail15normal_iteratorINSA_10device_ptrIiEEEEPS6_SG_NS0_5tupleIJSF_NSA_16discard_iteratorINSA_11use_defaultEEEEEENSH_IJSG_SG_EEES6_PlJ7is_evenIiEEEE10hipError_tPvRmT3_T4_T5_T6_T7_T9_mT8_P12ihipStream_tbDpT10_ENKUlT_T0_E_clISt17integral_constantIbLb1EES18_IbLb0EEEEDaS14_S15_EUlS14_E_NS1_11comp_targetILNS1_3genE5ELNS1_11target_archE942ELNS1_3gpuE9ELNS1_3repE0EEENS1_30default_config_static_selectorELNS0_4arch9wavefront6targetE1EEEvT1_,"axG",@progbits,_ZN7rocprim17ROCPRIM_400000_NS6detail17trampoline_kernelINS0_14default_configENS1_25partition_config_selectorILNS1_17partition_subalgoE0EiNS0_10empty_typeEbEEZZNS1_14partition_implILS5_0ELb0ES3_jN6thrust23THRUST_200600_302600_NS6detail15normal_iteratorINSA_10device_ptrIiEEEEPS6_SG_NS0_5tupleIJSF_NSA_16discard_iteratorINSA_11use_defaultEEEEEENSH_IJSG_SG_EEES6_PlJ7is_evenIiEEEE10hipError_tPvRmT3_T4_T5_T6_T7_T9_mT8_P12ihipStream_tbDpT10_ENKUlT_T0_E_clISt17integral_constantIbLb1EES18_IbLb0EEEEDaS14_S15_EUlS14_E_NS1_11comp_targetILNS1_3genE5ELNS1_11target_archE942ELNS1_3gpuE9ELNS1_3repE0EEENS1_30default_config_static_selectorELNS0_4arch9wavefront6targetE1EEEvT1_,comdat
	.protected	_ZN7rocprim17ROCPRIM_400000_NS6detail17trampoline_kernelINS0_14default_configENS1_25partition_config_selectorILNS1_17partition_subalgoE0EiNS0_10empty_typeEbEEZZNS1_14partition_implILS5_0ELb0ES3_jN6thrust23THRUST_200600_302600_NS6detail15normal_iteratorINSA_10device_ptrIiEEEEPS6_SG_NS0_5tupleIJSF_NSA_16discard_iteratorINSA_11use_defaultEEEEEENSH_IJSG_SG_EEES6_PlJ7is_evenIiEEEE10hipError_tPvRmT3_T4_T5_T6_T7_T9_mT8_P12ihipStream_tbDpT10_ENKUlT_T0_E_clISt17integral_constantIbLb1EES18_IbLb0EEEEDaS14_S15_EUlS14_E_NS1_11comp_targetILNS1_3genE5ELNS1_11target_archE942ELNS1_3gpuE9ELNS1_3repE0EEENS1_30default_config_static_selectorELNS0_4arch9wavefront6targetE1EEEvT1_ ; -- Begin function _ZN7rocprim17ROCPRIM_400000_NS6detail17trampoline_kernelINS0_14default_configENS1_25partition_config_selectorILNS1_17partition_subalgoE0EiNS0_10empty_typeEbEEZZNS1_14partition_implILS5_0ELb0ES3_jN6thrust23THRUST_200600_302600_NS6detail15normal_iteratorINSA_10device_ptrIiEEEEPS6_SG_NS0_5tupleIJSF_NSA_16discard_iteratorINSA_11use_defaultEEEEEENSH_IJSG_SG_EEES6_PlJ7is_evenIiEEEE10hipError_tPvRmT3_T4_T5_T6_T7_T9_mT8_P12ihipStream_tbDpT10_ENKUlT_T0_E_clISt17integral_constantIbLb1EES18_IbLb0EEEEDaS14_S15_EUlS14_E_NS1_11comp_targetILNS1_3genE5ELNS1_11target_archE942ELNS1_3gpuE9ELNS1_3repE0EEENS1_30default_config_static_selectorELNS0_4arch9wavefront6targetE1EEEvT1_
	.globl	_ZN7rocprim17ROCPRIM_400000_NS6detail17trampoline_kernelINS0_14default_configENS1_25partition_config_selectorILNS1_17partition_subalgoE0EiNS0_10empty_typeEbEEZZNS1_14partition_implILS5_0ELb0ES3_jN6thrust23THRUST_200600_302600_NS6detail15normal_iteratorINSA_10device_ptrIiEEEEPS6_SG_NS0_5tupleIJSF_NSA_16discard_iteratorINSA_11use_defaultEEEEEENSH_IJSG_SG_EEES6_PlJ7is_evenIiEEEE10hipError_tPvRmT3_T4_T5_T6_T7_T9_mT8_P12ihipStream_tbDpT10_ENKUlT_T0_E_clISt17integral_constantIbLb1EES18_IbLb0EEEEDaS14_S15_EUlS14_E_NS1_11comp_targetILNS1_3genE5ELNS1_11target_archE942ELNS1_3gpuE9ELNS1_3repE0EEENS1_30default_config_static_selectorELNS0_4arch9wavefront6targetE1EEEvT1_
	.p2align	8
	.type	_ZN7rocprim17ROCPRIM_400000_NS6detail17trampoline_kernelINS0_14default_configENS1_25partition_config_selectorILNS1_17partition_subalgoE0EiNS0_10empty_typeEbEEZZNS1_14partition_implILS5_0ELb0ES3_jN6thrust23THRUST_200600_302600_NS6detail15normal_iteratorINSA_10device_ptrIiEEEEPS6_SG_NS0_5tupleIJSF_NSA_16discard_iteratorINSA_11use_defaultEEEEEENSH_IJSG_SG_EEES6_PlJ7is_evenIiEEEE10hipError_tPvRmT3_T4_T5_T6_T7_T9_mT8_P12ihipStream_tbDpT10_ENKUlT_T0_E_clISt17integral_constantIbLb1EES18_IbLb0EEEEDaS14_S15_EUlS14_E_NS1_11comp_targetILNS1_3genE5ELNS1_11target_archE942ELNS1_3gpuE9ELNS1_3repE0EEENS1_30default_config_static_selectorELNS0_4arch9wavefront6targetE1EEEvT1_,@function
_ZN7rocprim17ROCPRIM_400000_NS6detail17trampoline_kernelINS0_14default_configENS1_25partition_config_selectorILNS1_17partition_subalgoE0EiNS0_10empty_typeEbEEZZNS1_14partition_implILS5_0ELb0ES3_jN6thrust23THRUST_200600_302600_NS6detail15normal_iteratorINSA_10device_ptrIiEEEEPS6_SG_NS0_5tupleIJSF_NSA_16discard_iteratorINSA_11use_defaultEEEEEENSH_IJSG_SG_EEES6_PlJ7is_evenIiEEEE10hipError_tPvRmT3_T4_T5_T6_T7_T9_mT8_P12ihipStream_tbDpT10_ENKUlT_T0_E_clISt17integral_constantIbLb1EES18_IbLb0EEEEDaS14_S15_EUlS14_E_NS1_11comp_targetILNS1_3genE5ELNS1_11target_archE942ELNS1_3gpuE9ELNS1_3repE0EEENS1_30default_config_static_selectorELNS0_4arch9wavefront6targetE1EEEvT1_: ; @_ZN7rocprim17ROCPRIM_400000_NS6detail17trampoline_kernelINS0_14default_configENS1_25partition_config_selectorILNS1_17partition_subalgoE0EiNS0_10empty_typeEbEEZZNS1_14partition_implILS5_0ELb0ES3_jN6thrust23THRUST_200600_302600_NS6detail15normal_iteratorINSA_10device_ptrIiEEEEPS6_SG_NS0_5tupleIJSF_NSA_16discard_iteratorINSA_11use_defaultEEEEEENSH_IJSG_SG_EEES6_PlJ7is_evenIiEEEE10hipError_tPvRmT3_T4_T5_T6_T7_T9_mT8_P12ihipStream_tbDpT10_ENKUlT_T0_E_clISt17integral_constantIbLb1EES18_IbLb0EEEEDaS14_S15_EUlS14_E_NS1_11comp_targetILNS1_3genE5ELNS1_11target_archE942ELNS1_3gpuE9ELNS1_3repE0EEENS1_30default_config_static_selectorELNS0_4arch9wavefront6targetE1EEEvT1_
; %bb.0:
	s_load_dwordx2 s[8:9], s[0:1], 0x60
	s_load_dwordx4 s[4:7], s[0:1], 0x8
	s_load_dwordx4 s[24:27], s[0:1], 0x50
	s_load_dword s3, s[0:1], 0x78
	v_lshlrev_b32_e32 v18, 2, v0
	s_waitcnt lgkmcnt(0)
	v_mov_b32_e32 v3, s9
	s_lshl_b64 s[10:11], s[6:7], 2
	s_add_u32 s9, s4, s10
	s_addc_u32 s12, s5, s11
	s_add_i32 s13, s3, -1
	s_mulk_i32 s3, 0x1e00
	s_add_i32 s4, s3, s6
	s_sub_i32 s33, s8, s4
	s_add_u32 s4, s6, s3
	s_addc_u32 s5, s7, 0
	s_cmp_eq_u32 s2, s13
	v_mov_b32_e32 v2, s8
	s_load_dwordx2 s[22:23], s[26:27], 0x0
	s_cselect_b64 s[26:27], -1, 0
	s_cmp_lg_u32 s2, s13
	s_mul_i32 s10, s2, 0x1e00
	s_mov_b32 s11, 0
	v_cmp_lt_u64_e32 vcc, s[4:5], v[2:3]
	s_cselect_b64 s[4:5], -1, 0
	s_or_b64 s[4:5], s[4:5], vcc
	s_lshl_b64 s[6:7], s[10:11], 2
	s_add_u32 s6, s9, s6
	s_addc_u32 s7, s12, s7
	s_mov_b64 s[8:9], -1
	s_and_b64 vcc, exec, s[4:5]
	s_cbranch_vccz .LBB2732_2
; %bb.1:
	v_mov_b32_e32 v19, 0
	v_lshl_add_u64 v[2:3], s[6:7], 0, v[18:19]
	v_add_co_u32_e32 v4, vcc, 0x1000, v2
	s_mov_b64 s[8:9], 0
	s_nop 0
	v_addc_co_u32_e32 v5, vcc, 0, v3, vcc
	v_add_co_u32_e32 v6, vcc, 0x2000, v2
	s_nop 1
	v_addc_co_u32_e32 v7, vcc, 0, v3, vcc
	v_add_co_u32_e32 v8, vcc, 0x3000, v2
	s_nop 1
	v_addc_co_u32_e32 v9, vcc, 0, v3, vcc
	flat_load_dword v1, v[2:3]
	flat_load_dword v10, v[2:3] offset:2048
	flat_load_dword v11, v[4:5]
	flat_load_dword v12, v[4:5] offset:2048
	flat_load_dword v13, v[6:7]
	flat_load_dword v14, v[6:7] offset:2048
	flat_load_dword v15, v[8:9]
	flat_load_dword v16, v[8:9] offset:2048
	v_add_co_u32_e32 v4, vcc, 0x4000, v2
	s_nop 1
	v_addc_co_u32_e32 v5, vcc, 0, v3, vcc
	v_add_co_u32_e32 v6, vcc, 0x5000, v2
	s_nop 1
	v_addc_co_u32_e32 v7, vcc, 0, v3, vcc
	;; [unrolled: 3-line block ×4, first 2 shown]
	flat_load_dword v17, v[4:5]
	flat_load_dword v19, v[4:5] offset:2048
	flat_load_dword v20, v[6:7]
	flat_load_dword v21, v[6:7] offset:2048
	flat_load_dword v22, v[8:9]
	flat_load_dword v23, v[8:9] offset:2048
	flat_load_dword v24, v[2:3]
	s_waitcnt vmcnt(0) lgkmcnt(0)
	ds_write2st64_b32 v18, v1, v10 offset1:8
	ds_write2st64_b32 v18, v11, v12 offset0:16 offset1:24
	ds_write2st64_b32 v18, v13, v14 offset0:32 offset1:40
	;; [unrolled: 1-line block ×6, first 2 shown]
	ds_write_b32 v18, v24 offset:28672
	s_waitcnt lgkmcnt(0)
	s_barrier
.LBB2732_2:
	s_andn2_b64 vcc, exec, s[8:9]
	s_addk_i32 s33, 0x1e00
	s_cbranch_vccnz .LBB2732_34
; %bb.3:
	v_cmp_gt_u32_e32 vcc, s33, v0
                                        ; implicit-def: $vgpr2_vgpr3_vgpr4_vgpr5_vgpr6_vgpr7_vgpr8_vgpr9_vgpr10_vgpr11_vgpr12_vgpr13_vgpr14_vgpr15_vgpr16_vgpr17
	s_and_saveexec_b64 s[8:9], vcc
	s_cbranch_execz .LBB2732_5
; %bb.4:
	v_mov_b32_e32 v19, 0
	v_lshl_add_u64 v[2:3], s[6:7], 0, v[18:19]
	flat_load_dword v2, v[2:3]
.LBB2732_5:
	s_or_b64 exec, exec, s[8:9]
	v_or_b32_e32 v1, 0x200, v0
	v_cmp_gt_u32_e32 vcc, s33, v1
	s_and_saveexec_b64 s[8:9], vcc
	s_cbranch_execz .LBB2732_7
; %bb.6:
	v_mov_b32_e32 v19, 0
	v_lshl_add_u64 v[20:21], s[6:7], 0, v[18:19]
	flat_load_dword v3, v[20:21] offset:2048
.LBB2732_7:
	s_or_b64 exec, exec, s[8:9]
	v_or_b32_e32 v1, 0x400, v0
	v_cmp_gt_u32_e32 vcc, s33, v1
	s_and_saveexec_b64 s[8:9], vcc
	s_cbranch_execz .LBB2732_9
; %bb.8:
	v_lshlrev_b32_e32 v20, 2, v1
	v_mov_b32_e32 v21, 0
	v_lshl_add_u64 v[20:21], s[6:7], 0, v[20:21]
	flat_load_dword v4, v[20:21]
.LBB2732_9:
	s_or_b64 exec, exec, s[8:9]
	v_or_b32_e32 v1, 0x600, v0
	v_cmp_gt_u32_e32 vcc, s33, v1
	s_and_saveexec_b64 s[8:9], vcc
	s_cbranch_execz .LBB2732_11
; %bb.10:
	v_lshlrev_b32_e32 v20, 2, v1
	v_mov_b32_e32 v21, 0
	v_lshl_add_u64 v[20:21], s[6:7], 0, v[20:21]
	flat_load_dword v5, v[20:21]
.LBB2732_11:
	;; [unrolled: 11-line block ×13, first 2 shown]
	s_or_b64 exec, exec, s[8:9]
	s_waitcnt vmcnt(0) lgkmcnt(0)
	ds_write2st64_b32 v18, v2, v3 offset1:8
	ds_write2st64_b32 v18, v4, v5 offset0:16 offset1:24
	ds_write2st64_b32 v18, v6, v7 offset0:32 offset1:40
	ds_write2st64_b32 v18, v8, v9 offset0:48 offset1:56
	ds_write2st64_b32 v18, v10, v11 offset0:64 offset1:72
	ds_write2st64_b32 v18, v12, v13 offset0:80 offset1:88
	ds_write2st64_b32 v18, v14, v15 offset0:96 offset1:104
	ds_write_b32 v18, v16 offset:28672
	s_waitcnt lgkmcnt(0)
	s_barrier
.LBB2732_34:
	v_mul_u32_u24_e32 v38, 15, v0
	v_lshlrev_b32_e32 v1, 2, v38
	s_waitcnt lgkmcnt(0)
	ds_read2_b32 v[32:33], v1 offset1:1
	ds_read2_b32 v[30:31], v1 offset0:2 offset1:3
	ds_read2_b32 v[28:29], v1 offset0:4 offset1:5
	;; [unrolled: 1-line block ×6, first 2 shown]
	ds_read_b32 v1, v1 offset:56
	v_cndmask_b32_e64 v2, 0, 1, s[4:5]
	v_cmp_ne_u32_e64 s[20:21], 1, v2
	s_andn2_b64 vcc, exec, s[4:5]
	s_waitcnt lgkmcnt(7)
	v_xor_b32_e32 v16, -1, v32
	v_xor_b32_e32 v15, -1, v33
	s_waitcnt lgkmcnt(6)
	v_xor_b32_e32 v14, -1, v30
	v_xor_b32_e32 v13, -1, v31
	s_waitcnt lgkmcnt(5)
	v_xor_b32_e32 v12, -1, v28
	v_xor_b32_e32 v11, -1, v29
	s_waitcnt lgkmcnt(4)
	v_xor_b32_e32 v10, -1, v26
	v_xor_b32_e32 v9, -1, v27
	s_waitcnt lgkmcnt(3)
	v_xor_b32_e32 v8, -1, v24
	v_xor_b32_e32 v7, -1, v25
	s_waitcnt lgkmcnt(2)
	v_xor_b32_e32 v6, -1, v22
	v_xor_b32_e32 v5, -1, v23
	s_waitcnt lgkmcnt(1)
	v_xor_b32_e32 v4, -1, v20
	v_xor_b32_e32 v3, -1, v21
	s_waitcnt lgkmcnt(0)
	v_xor_b32_e32 v2, -1, v1
	s_barrier
	s_cbranch_vccnz .LBB2732_36
; %bb.35:
	v_and_b32_e32 v51, 1, v16
	v_and_b32_e32 v50, 1, v15
	;; [unrolled: 1-line block ×15, first 2 shown]
	s_load_dwordx2 s[28:29], s[0:1], 0x70
	s_cbranch_execz .LBB2732_37
	s_branch .LBB2732_38
.LBB2732_36:
                                        ; implicit-def: $vgpr19
                                        ; implicit-def: $vgpr37
                                        ; implicit-def: $vgpr39
                                        ; implicit-def: $vgpr40
                                        ; implicit-def: $vgpr41
                                        ; implicit-def: $vgpr42
                                        ; implicit-def: $vgpr43
                                        ; implicit-def: $vgpr44
                                        ; implicit-def: $vgpr45
                                        ; implicit-def: $vgpr51
                                        ; implicit-def: $vgpr50
                                        ; implicit-def: $vgpr49
                                        ; implicit-def: $vgpr48
                                        ; implicit-def: $vgpr47
                                        ; implicit-def: $vgpr46
	s_load_dwordx2 s[28:29], s[0:1], 0x70
.LBB2732_37:
	v_add_u32_e32 v44, 1, v38
	v_cmp_gt_u32_e32 vcc, s33, v38
	v_add_u32_e32 v17, 2, v38
	v_add_u32_e32 v43, 3, v38
	v_cndmask_b32_e64 v45, 0, 1, vcc
	v_cmp_gt_u32_e32 vcc, s33, v44
	v_and_b32_e32 v51, v45, v16
	v_add_u32_e32 v19, 4, v38
	v_cndmask_b32_e64 v16, 0, 1, vcc
	v_cmp_gt_u32_e32 vcc, s33, v17
	v_and_b32_e32 v50, v16, v15
	;; [unrolled: 4-line block ×12, first 2 shown]
	s_nop 0
	v_cndmask_b32_e64 v5, 0, 1, vcc
	v_cmp_gt_u32_e32 vcc, s33, v53
	v_and_b32_e32 v39, v5, v4
	s_nop 0
	v_cndmask_b32_e64 v4, 0, 1, vcc
	v_cmp_gt_u32_e32 vcc, s33, v52
	v_and_b32_e32 v37, v4, v3
	s_nop 0
	v_cndmask_b32_e64 v3, 0, 1, vcc
	v_and_b32_e32 v19, v3, v2
.LBB2732_38:
	v_and_b32_e32 v55, 0xff, v48
	v_and_b32_e32 v56, 0xff, v47
	;; [unrolled: 1-line block ×5, first 2 shown]
	v_add3_u32 v3, v56, v57, v55
	v_and_b32_e32 v52, 0xff, v51
	v_and_b32_e32 v58, 0xff, v45
	v_add3_u32 v3, v3, v54, v53
	v_and_b32_e32 v59, 0xff, v44
	v_and_b32_e32 v60, 0xff, v43
	;; [unrolled: 3-line block ×5, first 2 shown]
	v_add3_u32 v3, v3, v63, v64
	v_add3_u32 v68, v3, v65, v2
	v_mbcnt_lo_u32_b32 v2, -1, 0
	v_mbcnt_hi_u32_b32 v66, -1, v2
	v_and_b32_e32 v2, 15, v66
	v_cmp_eq_u32_e64 s[16:17], 0, v2
	v_cmp_lt_u32_e64 s[14:15], 1, v2
	v_cmp_lt_u32_e64 s[12:13], 3, v2
	;; [unrolled: 1-line block ×3, first 2 shown]
	v_and_b32_e32 v2, 16, v66
	v_cmp_eq_u32_e64 s[8:9], 0, v2
	v_or_b32_e32 v2, 63, v0
	s_cmp_lg_u32 s2, 0
	v_cmp_lt_u32_e64 s[4:5], 31, v66
	v_lshrrev_b32_e32 v67, 6, v0
	v_cmp_eq_u32_e64 s[6:7], v2, v0
	s_cbranch_scc0 .LBB2732_69
; %bb.39:
	v_mov_b32_dpp v2, v68 row_shr:1 row_mask:0xf bank_mask:0xf
	v_cndmask_b32_e64 v2, v2, 0, s[16:17]
	v_add_u32_e32 v2, v2, v68
	s_nop 1
	v_mov_b32_dpp v3, v2 row_shr:2 row_mask:0xf bank_mask:0xf
	v_cndmask_b32_e64 v3, 0, v3, s[14:15]
	v_add_u32_e32 v2, v2, v3
	s_nop 1
	;; [unrolled: 4-line block ×4, first 2 shown]
	v_mov_b32_dpp v3, v2 row_bcast:15 row_mask:0xf bank_mask:0xf
	v_cndmask_b32_e64 v3, v3, 0, s[8:9]
	v_add_u32_e32 v2, v2, v3
	s_nop 1
	v_mov_b32_dpp v3, v2 row_bcast:31 row_mask:0xf bank_mask:0xf
	v_cndmask_b32_e64 v3, 0, v3, s[4:5]
	v_add_u32_e32 v2, v2, v3
	s_and_saveexec_b64 s[18:19], s[6:7]
	s_cbranch_execz .LBB2732_41
; %bb.40:
	v_lshlrev_b32_e32 v3, 2, v67
	ds_write_b32 v3, v2
.LBB2732_41:
	s_or_b64 exec, exec, s[18:19]
	v_cmp_gt_u32_e32 vcc, 8, v0
	s_waitcnt lgkmcnt(0)
	s_barrier
	s_and_saveexec_b64 s[18:19], vcc
	s_cbranch_execz .LBB2732_43
; %bb.42:
	ds_read_b32 v3, v18
	v_and_b32_e32 v4, 7, v66
	v_cmp_ne_u32_e32 vcc, 0, v4
	s_waitcnt lgkmcnt(0)
	v_mov_b32_dpp v5, v3 row_shr:1 row_mask:0xf bank_mask:0xf
	v_cndmask_b32_e32 v5, 0, v5, vcc
	v_add_u32_e32 v3, v5, v3
	v_cmp_lt_u32_e32 vcc, 1, v4
	s_nop 0
	v_mov_b32_dpp v5, v3 row_shr:2 row_mask:0xf bank_mask:0xf
	v_cndmask_b32_e32 v5, 0, v5, vcc
	v_add_u32_e32 v3, v3, v5
	v_cmp_lt_u32_e32 vcc, 3, v4
	s_nop 0
	v_mov_b32_dpp v5, v3 row_shr:4 row_mask:0xf bank_mask:0xf
	v_cndmask_b32_e32 v4, 0, v5, vcc
	v_add_u32_e32 v3, v3, v4
	ds_write_b32 v18, v3
.LBB2732_43:
	s_or_b64 exec, exec, s[18:19]
	v_cmp_gt_u32_e32 vcc, 64, v0
	v_cmp_lt_u32_e64 s[18:19], 63, v0
	s_waitcnt lgkmcnt(0)
	s_barrier
	s_waitcnt lgkmcnt(0)
                                        ; implicit-def: $vgpr12
	s_and_saveexec_b64 s[30:31], s[18:19]
	s_cbranch_execz .LBB2732_45
; %bb.44:
	v_lshl_add_u32 v3, v67, 2, -4
	ds_read_b32 v12, v3
	s_waitcnt lgkmcnt(0)
	v_add_u32_e32 v2, v12, v2
.LBB2732_45:
	s_or_b64 exec, exec, s[30:31]
	v_add_u32_e32 v3, -1, v66
	v_and_b32_e32 v4, 64, v66
	v_cmp_lt_i32_e64 s[18:19], v3, v4
	s_nop 1
	v_cndmask_b32_e64 v3, v3, v66, s[18:19]
	v_lshlrev_b32_e32 v3, 2, v3
	ds_bpermute_b32 v13, v3, v2
	v_cmp_eq_u32_e64 s[18:19], 0, v66
	s_and_saveexec_b64 s[30:31], vcc
	s_cbranch_execz .LBB2732_68
; %bb.46:
	v_mov_b32_e32 v11, 0
	ds_read_b32 v2, v11 offset:28
	s_and_saveexec_b64 s[34:35], s[18:19]
	s_cbranch_execz .LBB2732_48
; %bb.47:
	s_add_i32 s36, s2, 64
	s_mov_b32 s37, 0
	s_lshl_b64 s[36:37], s[36:37], 3
	s_add_u32 s36, s28, s36
	v_mov_b32_e32 v3, 1
	s_addc_u32 s37, s29, s37
	s_waitcnt lgkmcnt(0)
	global_store_dwordx2 v11, v[2:3], s[36:37] sc1
.LBB2732_48:
	s_or_b64 exec, exec, s[34:35]
	v_xad_u32 v4, v66, -1, s2
	v_add_u32_e32 v10, 64, v4
	v_lshl_add_u64 v[6:7], v[10:11], 3, s[28:29]
	global_load_dwordx2 v[8:9], v[6:7], off sc1
	s_waitcnt vmcnt(0)
	v_cmp_eq_u16_sdwa s[36:37], v9, v11 src0_sel:BYTE_0 src1_sel:DWORD
	s_and_saveexec_b64 s[34:35], s[36:37]
	s_cbranch_execz .LBB2732_54
; %bb.49:
	s_mov_b32 s3, 1
	s_mov_b64 s[36:37], 0
	v_mov_b32_e32 v3, 0
.LBB2732_50:                            ; =>This Loop Header: Depth=1
                                        ;     Child Loop BB2732_51 Depth 2
	s_max_u32 s38, s3, 1
.LBB2732_51:                            ;   Parent Loop BB2732_50 Depth=1
                                        ; =>  This Inner Loop Header: Depth=2
	s_add_i32 s38, s38, -1
	s_cmp_eq_u32 s38, 0
	s_sleep 1
	s_cbranch_scc0 .LBB2732_51
; %bb.52:                               ;   in Loop: Header=BB2732_50 Depth=1
	global_load_dwordx2 v[8:9], v[6:7], off sc1
	s_cmp_lt_u32 s3, 32
	s_cselect_b64 s[38:39], -1, 0
	s_cmp_lg_u64 s[38:39], 0
	s_addc_u32 s3, s3, 0
	s_waitcnt vmcnt(0)
	v_cmp_ne_u16_sdwa s[38:39], v9, v3 src0_sel:BYTE_0 src1_sel:DWORD
	s_or_b64 s[36:37], s[38:39], s[36:37]
	s_andn2_b64 exec, exec, s[36:37]
	s_cbranch_execnz .LBB2732_50
; %bb.53:
	s_or_b64 exec, exec, s[36:37]
.LBB2732_54:
	s_or_b64 exec, exec, s[34:35]
	v_and_b32_e32 v15, 63, v66
	v_mov_b32_e32 v14, 2
	v_cmp_ne_u32_e32 vcc, 63, v15
	v_cmp_eq_u16_sdwa s[34:35], v9, v14 src0_sel:BYTE_0 src1_sel:DWORD
	v_lshlrev_b64 v[6:7], v66, -1
	v_addc_co_u32_e32 v10, vcc, 0, v66, vcc
	v_and_b32_e32 v3, s35, v7
	v_lshlrev_b32_e32 v16, 2, v10
	v_or_b32_e32 v3, 0x80000000, v3
	ds_bpermute_b32 v10, v16, v8
	v_and_b32_e32 v5, s34, v6
	v_ffbl_b32_e32 v3, v3
	v_add_u32_e32 v3, 32, v3
	v_ffbl_b32_e32 v5, v5
	v_min_u32_e32 v3, v5, v3
	v_cmp_lt_u32_e32 vcc, v15, v3
	v_add_u32_e32 v34, 2, v15
	v_add_u32_e32 v36, 4, v15
	s_waitcnt lgkmcnt(0)
	v_cndmask_b32_e32 v5, 0, v10, vcc
	v_cmp_gt_u32_e32 vcc, 62, v15
	v_add_u32_e32 v5, v5, v8
	v_add_u32_e32 v70, 8, v15
	v_cndmask_b32_e64 v8, 0, 1, vcc
	v_lshlrev_b32_e32 v8, 1, v8
	v_add_lshl_u32 v17, v8, v66, 2
	ds_bpermute_b32 v8, v17, v5
	v_cmp_le_u32_e32 vcc, v34, v3
	v_add_u32_e32 v72, 16, v15
	v_add_u32_e32 v74, 32, v15
	s_waitcnt lgkmcnt(0)
	v_cndmask_b32_e32 v8, 0, v8, vcc
	v_cmp_gt_u32_e32 vcc, 60, v15
	v_add_u32_e32 v5, v5, v8
	s_nop 0
	v_cndmask_b32_e64 v8, 0, 1, vcc
	v_lshlrev_b32_e32 v8, 2, v8
	v_add_lshl_u32 v35, v8, v66, 2
	ds_bpermute_b32 v8, v35, v5
	v_cmp_le_u32_e32 vcc, v36, v3
	s_waitcnt lgkmcnt(0)
	s_nop 0
	v_cndmask_b32_e32 v8, 0, v8, vcc
	v_cmp_gt_u32_e32 vcc, 56, v15
	v_add_u32_e32 v5, v5, v8
	s_nop 0
	v_cndmask_b32_e64 v8, 0, 1, vcc
	v_lshlrev_b32_e32 v8, 3, v8
	v_add_lshl_u32 v69, v8, v66, 2
	ds_bpermute_b32 v8, v69, v5
	v_cmp_le_u32_e32 vcc, v70, v3
	s_waitcnt lgkmcnt(0)
	s_nop 0
	v_cndmask_b32_e32 v8, 0, v8, vcc
	v_cmp_gt_u32_e32 vcc, 48, v15
	v_add_u32_e32 v5, v5, v8
	s_nop 0
	v_cndmask_b32_e64 v8, 0, 1, vcc
	v_lshlrev_b32_e32 v8, 4, v8
	v_add_lshl_u32 v71, v8, v66, 2
	ds_bpermute_b32 v8, v71, v5
	v_cmp_le_u32_e32 vcc, v72, v3
	s_waitcnt lgkmcnt(0)
	s_nop 0
	v_cndmask_b32_e32 v8, 0, v8, vcc
	v_cmp_gt_u32_e32 vcc, 32, v15
	v_add_u32_e32 v5, v5, v8
	s_nop 0
	v_cndmask_b32_e64 v8, 0, 1, vcc
	v_lshlrev_b32_e32 v8, 5, v8
	v_add_lshl_u32 v73, v8, v66, 2
	ds_bpermute_b32 v8, v73, v5
	v_cmp_le_u32_e32 vcc, v74, v3
	s_waitcnt lgkmcnt(0)
	s_nop 0
	v_cndmask_b32_e32 v3, 0, v8, vcc
	v_add_u32_e32 v8, v5, v3
	v_mov_b32_e32 v5, 0
	s_branch .LBB2732_56
.LBB2732_55:                            ;   in Loop: Header=BB2732_56 Depth=1
	s_or_b64 exec, exec, s[34:35]
	v_cmp_eq_u16_sdwa s[34:35], v9, v14 src0_sel:BYTE_0 src1_sel:DWORD
	ds_bpermute_b32 v75, v16, v8
	v_subrev_u32_e32 v4, 64, v4
	v_and_b32_e32 v10, s35, v7
	v_or_b32_e32 v10, 0x80000000, v10
	v_and_b32_e32 v11, s34, v6
	v_ffbl_b32_e32 v10, v10
	v_add_u32_e32 v10, 32, v10
	v_ffbl_b32_e32 v11, v11
	v_min_u32_e32 v10, v11, v10
	v_cmp_lt_u32_e32 vcc, v15, v10
	s_waitcnt lgkmcnt(0)
	s_nop 0
	v_cndmask_b32_e32 v11, 0, v75, vcc
	v_add_u32_e32 v8, v11, v8
	ds_bpermute_b32 v11, v17, v8
	v_cmp_le_u32_e32 vcc, v34, v10
	s_waitcnt lgkmcnt(0)
	s_nop 0
	v_cndmask_b32_e32 v11, 0, v11, vcc
	v_add_u32_e32 v8, v8, v11
	ds_bpermute_b32 v11, v35, v8
	v_cmp_le_u32_e32 vcc, v36, v10
	s_waitcnt lgkmcnt(0)
	s_nop 0
	v_cndmask_b32_e32 v11, 0, v11, vcc
	v_add_u32_e32 v8, v8, v11
	ds_bpermute_b32 v11, v69, v8
	v_cmp_le_u32_e32 vcc, v70, v10
	s_waitcnt lgkmcnt(0)
	s_nop 0
	v_cndmask_b32_e32 v11, 0, v11, vcc
	v_add_u32_e32 v8, v8, v11
	ds_bpermute_b32 v11, v71, v8
	v_cmp_le_u32_e32 vcc, v72, v10
	s_waitcnt lgkmcnt(0)
	s_nop 0
	v_cndmask_b32_e32 v11, 0, v11, vcc
	v_add_u32_e32 v8, v8, v11
	ds_bpermute_b32 v11, v73, v8
	v_cmp_le_u32_e32 vcc, v74, v10
	s_waitcnt lgkmcnt(0)
	s_nop 0
	v_cndmask_b32_e32 v10, 0, v11, vcc
	v_add3_u32 v8, v10, v3, v8
.LBB2732_56:                            ; =>This Loop Header: Depth=1
                                        ;     Child Loop BB2732_59 Depth 2
                                        ;       Child Loop BB2732_60 Depth 3
	v_cmp_ne_u16_sdwa s[34:35], v9, v14 src0_sel:BYTE_0 src1_sel:DWORD
	s_nop 1
	v_cndmask_b32_e64 v3, 0, 1, s[34:35]
	;;#ASMSTART
	;;#ASMEND
	s_nop 0
	v_cmp_ne_u32_e32 vcc, 0, v3
	s_cmp_lg_u64 vcc, exec
	v_mov_b32_e32 v3, v8
	s_cbranch_scc1 .LBB2732_63
; %bb.57:                               ;   in Loop: Header=BB2732_56 Depth=1
	v_lshl_add_u64 v[10:11], v[4:5], 3, s[28:29]
	global_load_dwordx2 v[8:9], v[10:11], off sc1
	s_waitcnt vmcnt(0)
	v_cmp_eq_u16_sdwa s[36:37], v9, v5 src0_sel:BYTE_0 src1_sel:DWORD
	s_and_saveexec_b64 s[34:35], s[36:37]
	s_cbranch_execz .LBB2732_55
; %bb.58:                               ;   in Loop: Header=BB2732_56 Depth=1
	s_mov_b32 s3, 1
	s_mov_b64 s[36:37], 0
.LBB2732_59:                            ;   Parent Loop BB2732_56 Depth=1
                                        ; =>  This Loop Header: Depth=2
                                        ;       Child Loop BB2732_60 Depth 3
	s_max_u32 s38, s3, 1
.LBB2732_60:                            ;   Parent Loop BB2732_56 Depth=1
                                        ;     Parent Loop BB2732_59 Depth=2
                                        ; =>    This Inner Loop Header: Depth=3
	s_add_i32 s38, s38, -1
	s_cmp_eq_u32 s38, 0
	s_sleep 1
	s_cbranch_scc0 .LBB2732_60
; %bb.61:                               ;   in Loop: Header=BB2732_59 Depth=2
	global_load_dwordx2 v[8:9], v[10:11], off sc1
	s_cmp_lt_u32 s3, 32
	s_cselect_b64 s[38:39], -1, 0
	s_cmp_lg_u64 s[38:39], 0
	s_addc_u32 s3, s3, 0
	s_waitcnt vmcnt(0)
	v_cmp_ne_u16_sdwa s[38:39], v9, v5 src0_sel:BYTE_0 src1_sel:DWORD
	s_or_b64 s[36:37], s[38:39], s[36:37]
	s_andn2_b64 exec, exec, s[36:37]
	s_cbranch_execnz .LBB2732_59
; %bb.62:                               ;   in Loop: Header=BB2732_56 Depth=1
	s_or_b64 exec, exec, s[36:37]
	s_branch .LBB2732_55
.LBB2732_63:                            ;   in Loop: Header=BB2732_56 Depth=1
                                        ; implicit-def: $vgpr8
                                        ; implicit-def: $vgpr9
	s_cbranch_execz .LBB2732_56
; %bb.64:
	s_and_saveexec_b64 s[34:35], s[18:19]
	s_cbranch_execz .LBB2732_66
; %bb.65:
	s_add_i32 s2, s2, 64
	s_mov_b32 s3, 0
	s_lshl_b64 s[2:3], s[2:3], 3
	s_add_u32 s2, s28, s2
	v_add_u32_e32 v4, v3, v2
	v_mov_b32_e32 v5, 2
	s_addc_u32 s3, s29, s3
	v_mov_b32_e32 v6, 0
	global_store_dwordx2 v6, v[4:5], s[2:3] sc1
	ds_write_b64 v6, v[2:3] offset:30720
.LBB2732_66:
	s_or_b64 exec, exec, s[34:35]
	v_cmp_eq_u32_e32 vcc, 0, v0
	s_and_b64 exec, exec, vcc
	s_cbranch_execz .LBB2732_68
; %bb.67:
	v_mov_b32_e32 v2, 0
	ds_write_b32 v2, v3 offset:28
.LBB2732_68:
	s_or_b64 exec, exec, s[30:31]
	v_mov_b32_e32 v14, 0
	s_waitcnt lgkmcnt(0)
	s_barrier
	ds_read_b32 v2, v14 offset:28
	v_cndmask_b32_e64 v3, v13, v12, s[18:19]
	v_cmp_ne_u32_e32 vcc, 0, v0
	s_waitcnt lgkmcnt(0)
	s_barrier
	v_cndmask_b32_e32 v3, 0, v3, vcc
	v_add_u32_e32 v2, v2, v3
	v_add_u32_e32 v3, v2, v52
	;; [unrolled: 1-line block ×10, first 2 shown]
	ds_read_b64 v[34:35], v14 offset:30720
	v_add_u32_e32 v12, v11, v61
	v_add_u32_e32 v13, v12, v62
	v_add_u32_e32 v14, v13, v63
	v_add_u32_e32 v15, v14, v64
	v_add_u32_e32 v16, v15, v65
	s_waitcnt lgkmcnt(0)
	v_mov_b32_e32 v36, v35
	s_load_dwordx2 s[2:3], s[0:1], 0x28
	s_branch .LBB2732_79
.LBB2732_69:
                                        ; implicit-def: $vgpr36
                                        ; implicit-def: $vgpr34
                                        ; implicit-def: $vgpr2_vgpr3_vgpr4_vgpr5_vgpr6_vgpr7_vgpr8_vgpr9_vgpr10_vgpr11_vgpr12_vgpr13_vgpr14_vgpr15_vgpr16_vgpr17
	s_load_dwordx2 s[2:3], s[0:1], 0x28
	s_cbranch_execz .LBB2732_79
; %bb.70:
	v_mov_b32_dpp v2, v68 row_shr:1 row_mask:0xf bank_mask:0xf
	v_cndmask_b32_e64 v2, v2, 0, s[16:17]
	v_add_u32_e32 v2, v2, v68
	s_nop 1
	v_mov_b32_dpp v3, v2 row_shr:2 row_mask:0xf bank_mask:0xf
	v_cndmask_b32_e64 v3, 0, v3, s[14:15]
	v_add_u32_e32 v2, v2, v3
	s_nop 1
	;; [unrolled: 4-line block ×4, first 2 shown]
	v_mov_b32_dpp v3, v2 row_bcast:15 row_mask:0xf bank_mask:0xf
	v_cndmask_b32_e64 v3, v3, 0, s[8:9]
	v_add_u32_e32 v2, v2, v3
	s_nop 1
	v_mov_b32_dpp v3, v2 row_bcast:31 row_mask:0xf bank_mask:0xf
	v_cndmask_b32_e64 v3, 0, v3, s[4:5]
	v_add_u32_e32 v2, v2, v3
	s_and_saveexec_b64 s[0:1], s[6:7]
	s_cbranch_execz .LBB2732_72
; %bb.71:
	v_lshlrev_b32_e32 v3, 2, v67
	ds_write_b32 v3, v2
.LBB2732_72:
	s_or_b64 exec, exec, s[0:1]
	v_cmp_gt_u32_e32 vcc, 8, v0
	s_waitcnt lgkmcnt(0)
	s_barrier
	s_and_saveexec_b64 s[0:1], vcc
	s_cbranch_execz .LBB2732_74
; %bb.73:
	ds_read_b32 v3, v18
	v_and_b32_e32 v4, 7, v66
	v_cmp_ne_u32_e32 vcc, 0, v4
	s_waitcnt lgkmcnt(0)
	v_mov_b32_dpp v5, v3 row_shr:1 row_mask:0xf bank_mask:0xf
	v_cndmask_b32_e32 v5, 0, v5, vcc
	v_add_u32_e32 v3, v5, v3
	v_cmp_lt_u32_e32 vcc, 1, v4
	s_nop 0
	v_mov_b32_dpp v5, v3 row_shr:2 row_mask:0xf bank_mask:0xf
	v_cndmask_b32_e32 v5, 0, v5, vcc
	v_add_u32_e32 v3, v3, v5
	v_cmp_lt_u32_e32 vcc, 3, v4
	s_nop 0
	v_mov_b32_dpp v5, v3 row_shr:4 row_mask:0xf bank_mask:0xf
	v_cndmask_b32_e32 v4, 0, v5, vcc
	v_add_u32_e32 v3, v3, v4
	ds_write_b32 v18, v3
.LBB2732_74:
	s_or_b64 exec, exec, s[0:1]
	v_cmp_lt_u32_e32 vcc, 63, v0
	v_mov_b32_e32 v4, 0
	v_mov_b32_e32 v3, 0
	s_waitcnt lgkmcnt(0)
	s_barrier
	s_and_saveexec_b64 s[0:1], vcc
	s_cbranch_execz .LBB2732_76
; %bb.75:
	v_lshl_add_u32 v3, v67, 2, -4
	ds_read_b32 v3, v3
.LBB2732_76:
	s_or_b64 exec, exec, s[0:1]
	v_add_u32_e32 v5, -1, v66
	v_and_b32_e32 v6, 64, v66
	v_cmp_lt_i32_e32 vcc, v5, v6
	s_waitcnt lgkmcnt(0)
	v_add_u32_e32 v2, v3, v2
	ds_read_b32 v34, v4 offset:28
	v_cndmask_b32_e32 v5, v5, v66, vcc
	v_lshlrev_b32_e32 v5, 2, v5
	ds_bpermute_b32 v2, v5, v2
	v_cmp_eq_u32_e32 vcc, 0, v0
	s_and_saveexec_b64 s[0:1], vcc
	s_cbranch_execz .LBB2732_78
; %bb.77:
	v_mov_b32_e32 v4, 0
	v_mov_b32_e32 v35, 2
	s_waitcnt lgkmcnt(1)
	global_store_dwordx2 v4, v[34:35], s[28:29] offset:512 sc1
.LBB2732_78:
	s_or_b64 exec, exec, s[0:1]
	v_cmp_eq_u32_e64 s[0:1], 0, v66
	v_mov_b32_e32 v36, 0
	s_waitcnt lgkmcnt(0)
	v_cndmask_b32_e64 v2, v2, v3, s[0:1]
	v_cndmask_b32_e64 v2, v2, 0, vcc
	v_add_u32_e32 v3, v2, v52
	v_add_u32_e32 v4, v3, v53
	;; [unrolled: 1-line block ×14, first 2 shown]
	s_barrier
.LBB2732_79:
	v_add_u32_e32 v17, v34, v38
	v_sub_u32_e32 v2, v2, v36
	v_and_b32_e32 v38, 1, v51
	v_sub_u32_e32 v35, v17, v2
	v_cmp_eq_u32_e32 vcc, 1, v38
	s_nop 1
	v_cndmask_b32_e32 v2, v35, v2, vcc
	v_lshlrev_b32_e32 v2, 2, v2
	ds_write_b32 v2, v32
	v_sub_u32_e32 v2, v3, v36
	v_sub_u32_e32 v3, v17, v2
	v_and_b32_e32 v32, 1, v50
	v_add_u32_e32 v3, 1, v3
	v_cmp_eq_u32_e32 vcc, 1, v32
	v_or_b32_e32 v32, 0x200, v0
	s_nop 0
	v_cndmask_b32_e32 v2, v3, v2, vcc
	v_lshlrev_b32_e32 v2, 2, v2
	ds_write_b32 v2, v33
	v_sub_u32_e32 v2, v4, v36
	v_sub_u32_e32 v3, v17, v2
	v_and_b32_e32 v4, 1, v49
	v_add_u32_e32 v3, 2, v3
	v_cmp_eq_u32_e32 vcc, 1, v4
	v_and_b32_e32 v4, 1, v48
	s_nop 0
	v_cndmask_b32_e32 v2, v3, v2, vcc
	v_lshlrev_b32_e32 v2, 2, v2
	ds_write_b32 v2, v30
	v_sub_u32_e32 v2, v5, v36
	v_sub_u32_e32 v3, v17, v2
	v_add_u32_e32 v3, 3, v3
	v_cmp_eq_u32_e32 vcc, 1, v4
	v_and_b32_e32 v4, 1, v47
	v_or_b32_e32 v30, 0x600, v0
	v_cndmask_b32_e32 v2, v3, v2, vcc
	v_lshlrev_b32_e32 v2, 2, v2
	ds_write_b32 v2, v31
	v_sub_u32_e32 v2, v6, v36
	v_sub_u32_e32 v3, v17, v2
	v_add_u32_e32 v3, 4, v3
	v_cmp_eq_u32_e32 vcc, 1, v4
	v_and_b32_e32 v4, 1, v46
	v_or_b32_e32 v31, 0x400, v0
	;; [unrolled: 9-line block ×11, first 2 shown]
	v_cndmask_b32_e32 v2, v3, v2, vcc
	v_lshlrev_b32_e32 v2, 2, v2
	ds_write_b32 v2, v21
	v_sub_u32_e32 v2, v16, v36
	v_sub_u32_e32 v3, v17, v2
	v_add_u32_e32 v3, 14, v3
	v_cmp_eq_u32_e32 vcc, 1, v4
	v_or_b32_e32 v21, 0x1800, v0
	v_or_b32_e32 v19, 0x1c00, v0
	v_cndmask_b32_e32 v2, v3, v2, vcc
	v_lshlrev_b32_e32 v2, 2, v2
	ds_write_b32 v2, v1
	s_waitcnt lgkmcnt(0)
	s_barrier
	ds_read2st64_b32 v[16:17], v18 offset1:8
	ds_read2st64_b32 v[14:15], v18 offset0:16 offset1:24
	ds_read2st64_b32 v[12:13], v18 offset0:32 offset1:40
	;; [unrolled: 1-line block ×6, first 2 shown]
	ds_read_b32 v1, v18 offset:28672
	s_and_b64 vcc, exec, s[20:21]
	s_cbranch_vccnz .LBB2732_96
; %bb.80:
	s_lshl_b64 s[0:1], s[22:23], 2
	v_mov_b32_e32 v37, 0
	s_add_u32 s0, s2, s0
	s_addc_u32 s1, s3, s1
	v_lshlrev_b64 v[4:5], 2, v[36:37]
	v_lshl_add_u64 v[4:5], s[0:1], 0, v[4:5]
	v_cmp_gt_u32_e32 vcc, v34, v0
	s_and_saveexec_b64 s[0:1], vcc
	s_cbranch_execnz .LBB2732_118
; %bb.81:
	s_or_b64 exec, exec, s[0:1]
	v_cmp_lt_u32_e32 vcc, v32, v34
	s_and_saveexec_b64 s[0:1], vcc
	s_cbranch_execnz .LBB2732_119
.LBB2732_82:
	s_or_b64 exec, exec, s[0:1]
	v_cmp_lt_u32_e32 vcc, v31, v34
	s_and_saveexec_b64 s[0:1], vcc
	s_cbranch_execnz .LBB2732_120
.LBB2732_83:
	s_or_b64 exec, exec, s[0:1]
	v_cmp_lt_u32_e32 vcc, v30, v34
	s_and_saveexec_b64 s[0:1], vcc
	s_cbranch_execnz .LBB2732_121
.LBB2732_84:
	s_or_b64 exec, exec, s[0:1]
	v_cmp_lt_u32_e32 vcc, v29, v34
	s_and_saveexec_b64 s[0:1], vcc
	s_cbranch_execnz .LBB2732_122
.LBB2732_85:
	s_or_b64 exec, exec, s[0:1]
	v_cmp_lt_u32_e32 vcc, v28, v34
	s_and_saveexec_b64 s[0:1], vcc
	s_cbranch_execnz .LBB2732_123
.LBB2732_86:
	s_or_b64 exec, exec, s[0:1]
	v_cmp_lt_u32_e32 vcc, v27, v34
	s_and_saveexec_b64 s[0:1], vcc
	s_cbranch_execnz .LBB2732_124
.LBB2732_87:
	s_or_b64 exec, exec, s[0:1]
	v_cmp_lt_u32_e32 vcc, v26, v34
	s_and_saveexec_b64 s[0:1], vcc
	s_cbranch_execnz .LBB2732_125
.LBB2732_88:
	s_or_b64 exec, exec, s[0:1]
	v_cmp_lt_u32_e32 vcc, v25, v34
	s_and_saveexec_b64 s[0:1], vcc
	s_cbranch_execnz .LBB2732_126
.LBB2732_89:
	s_or_b64 exec, exec, s[0:1]
	v_cmp_lt_u32_e32 vcc, v24, v34
	s_and_saveexec_b64 s[0:1], vcc
	s_cbranch_execnz .LBB2732_127
.LBB2732_90:
	s_or_b64 exec, exec, s[0:1]
	v_cmp_lt_u32_e32 vcc, v23, v34
	s_and_saveexec_b64 s[0:1], vcc
	s_cbranch_execnz .LBB2732_128
.LBB2732_91:
	s_or_b64 exec, exec, s[0:1]
	v_cmp_lt_u32_e32 vcc, v22, v34
	s_and_saveexec_b64 s[0:1], vcc
	s_cbranch_execnz .LBB2732_129
.LBB2732_92:
	s_or_b64 exec, exec, s[0:1]
	v_cmp_lt_u32_e32 vcc, v21, v34
	s_and_saveexec_b64 s[0:1], vcc
	s_cbranch_execnz .LBB2732_130
.LBB2732_93:
	s_or_b64 exec, exec, s[0:1]
	v_cmp_lt_u32_e32 vcc, v20, v34
	s_and_saveexec_b64 s[0:1], vcc
	s_cbranch_execz .LBB2732_95
.LBB2732_94:
	v_lshlrev_b32_e32 v33, 2, v20
	v_readfirstlane_b32 s4, v4
	v_readfirstlane_b32 s5, v5
	s_waitcnt lgkmcnt(1)
	s_nop 3
	global_store_dword v33, v3, s[4:5]
.LBB2732_95:
	s_or_b64 exec, exec, s[0:1]
	v_cmp_lt_u32_e64 s[0:1], v19, v34
	s_branch .LBB2732_113
.LBB2732_96:
	s_mov_b64 s[0:1], 0
                                        ; implicit-def: $vgpr4_vgpr5
	s_cbranch_execz .LBB2732_113
; %bb.97:
	s_lshl_b64 s[0:1], s[22:23], 2
	v_mov_b32_e32 v37, 0
	s_add_u32 s0, s2, s0
	v_min_u32_e32 v33, s33, v34
	s_addc_u32 s1, s3, s1
	v_lshlrev_b64 v[4:5], 2, v[36:37]
	v_lshl_add_u64 v[4:5], s[0:1], 0, v[4:5]
	v_cmp_gt_u32_e32 vcc, v33, v0
	s_and_saveexec_b64 s[0:1], vcc
	s_cbranch_execnz .LBB2732_131
; %bb.98:
	s_or_b64 exec, exec, s[0:1]
	v_cmp_lt_u32_e32 vcc, v32, v33
	s_and_saveexec_b64 s[0:1], vcc
	s_cbranch_execnz .LBB2732_132
.LBB2732_99:
	s_or_b64 exec, exec, s[0:1]
	v_cmp_lt_u32_e32 vcc, v31, v33
	s_and_saveexec_b64 s[0:1], vcc
	s_cbranch_execnz .LBB2732_133
.LBB2732_100:
	s_or_b64 exec, exec, s[0:1]
	v_cmp_lt_u32_e32 vcc, v30, v33
	s_and_saveexec_b64 s[0:1], vcc
	s_cbranch_execnz .LBB2732_134
.LBB2732_101:
	s_or_b64 exec, exec, s[0:1]
	v_cmp_lt_u32_e32 vcc, v29, v33
	s_and_saveexec_b64 s[0:1], vcc
	s_cbranch_execnz .LBB2732_135
.LBB2732_102:
	s_or_b64 exec, exec, s[0:1]
	v_cmp_lt_u32_e32 vcc, v28, v33
	s_and_saveexec_b64 s[0:1], vcc
	s_cbranch_execnz .LBB2732_136
.LBB2732_103:
	s_or_b64 exec, exec, s[0:1]
	v_cmp_lt_u32_e32 vcc, v27, v33
	s_and_saveexec_b64 s[0:1], vcc
	s_cbranch_execnz .LBB2732_137
.LBB2732_104:
	s_or_b64 exec, exec, s[0:1]
	v_cmp_lt_u32_e32 vcc, v26, v33
	s_and_saveexec_b64 s[0:1], vcc
	s_cbranch_execnz .LBB2732_138
.LBB2732_105:
	s_or_b64 exec, exec, s[0:1]
	v_cmp_lt_u32_e32 vcc, v25, v33
	s_and_saveexec_b64 s[0:1], vcc
	s_cbranch_execnz .LBB2732_139
.LBB2732_106:
	s_or_b64 exec, exec, s[0:1]
	v_cmp_lt_u32_e32 vcc, v24, v33
	s_and_saveexec_b64 s[0:1], vcc
	s_cbranch_execnz .LBB2732_140
.LBB2732_107:
	s_or_b64 exec, exec, s[0:1]
	v_cmp_lt_u32_e32 vcc, v23, v33
	s_and_saveexec_b64 s[0:1], vcc
	s_cbranch_execnz .LBB2732_141
.LBB2732_108:
	s_or_b64 exec, exec, s[0:1]
	v_cmp_lt_u32_e32 vcc, v22, v33
	s_and_saveexec_b64 s[0:1], vcc
	s_cbranch_execnz .LBB2732_142
.LBB2732_109:
	s_or_b64 exec, exec, s[0:1]
	v_cmp_lt_u32_e32 vcc, v21, v33
	s_and_saveexec_b64 s[0:1], vcc
	s_cbranch_execnz .LBB2732_143
.LBB2732_110:
	s_or_b64 exec, exec, s[0:1]
	v_cmp_lt_u32_e32 vcc, v20, v33
	s_and_saveexec_b64 s[0:1], vcc
	s_cbranch_execz .LBB2732_112
.LBB2732_111:
	s_waitcnt lgkmcnt(1)
	v_lshlrev_b32_e32 v2, 2, v20
	v_readfirstlane_b32 s2, v4
	v_readfirstlane_b32 s3, v5
	s_nop 4
	global_store_dword v2, v3, s[2:3]
.LBB2732_112:
	s_or_b64 exec, exec, s[0:1]
	v_cmp_lt_u32_e64 s[0:1], v19, v33
.LBB2732_113:
	s_and_saveexec_b64 s[2:3], s[0:1]
	s_cbranch_execz .LBB2732_115
; %bb.114:
	s_waitcnt lgkmcnt(1)
	v_lshlrev_b32_e32 v2, 2, v19
	v_readfirstlane_b32 s0, v4
	v_readfirstlane_b32 s1, v5
	s_waitcnt lgkmcnt(0)
	s_nop 3
	global_store_dword v2, v1, s[0:1]
.LBB2732_115:
	s_or_b64 exec, exec, s[2:3]
	v_cmp_eq_u32_e32 vcc, 0, v0
	s_and_b64 s[0:1], vcc, s[26:27]
	s_and_saveexec_b64 s[2:3], s[0:1]
	s_cbranch_execz .LBB2732_117
; %bb.116:
	v_mov_b32_e32 v35, 0
	s_waitcnt lgkmcnt(0)
	v_lshl_add_u64 v[0:1], s[22:23], 0, v[34:35]
	v_mov_b32_e32 v37, v35
	v_lshl_add_u64 v[0:1], v[0:1], 0, v[36:37]
	global_store_dwordx2 v35, v[0:1], s[24:25]
.LBB2732_117:
	s_endpgm
.LBB2732_118:
	v_readfirstlane_b32 s4, v4
	v_readfirstlane_b32 s5, v5
	s_waitcnt lgkmcnt(7)
	s_nop 3
	global_store_dword v18, v16, s[4:5]
	s_or_b64 exec, exec, s[0:1]
	v_cmp_lt_u32_e32 vcc, v32, v34
	s_and_saveexec_b64 s[0:1], vcc
	s_cbranch_execz .LBB2732_82
.LBB2732_119:
	v_readfirstlane_b32 s4, v4
	v_readfirstlane_b32 s5, v5
	s_waitcnt lgkmcnt(7)
	s_nop 3
	global_store_dword v18, v17, s[4:5] offset:2048
	s_or_b64 exec, exec, s[0:1]
	v_cmp_lt_u32_e32 vcc, v31, v34
	s_and_saveexec_b64 s[0:1], vcc
	s_cbranch_execz .LBB2732_83
.LBB2732_120:
	v_lshlrev_b32_e32 v33, 2, v31
	v_readfirstlane_b32 s4, v4
	v_readfirstlane_b32 s5, v5
	s_waitcnt lgkmcnt(6)
	s_nop 3
	global_store_dword v33, v14, s[4:5]
	s_or_b64 exec, exec, s[0:1]
	v_cmp_lt_u32_e32 vcc, v30, v34
	s_and_saveexec_b64 s[0:1], vcc
	s_cbranch_execz .LBB2732_84
.LBB2732_121:
	v_lshlrev_b32_e32 v33, 2, v30
	v_readfirstlane_b32 s4, v4
	v_readfirstlane_b32 s5, v5
	s_waitcnt lgkmcnt(6)
	s_nop 3
	global_store_dword v33, v15, s[4:5]
	s_or_b64 exec, exec, s[0:1]
	v_cmp_lt_u32_e32 vcc, v29, v34
	s_and_saveexec_b64 s[0:1], vcc
	s_cbranch_execz .LBB2732_85
.LBB2732_122:
	v_lshlrev_b32_e32 v33, 2, v29
	v_readfirstlane_b32 s4, v4
	v_readfirstlane_b32 s5, v5
	s_waitcnt lgkmcnt(5)
	s_nop 3
	global_store_dword v33, v12, s[4:5]
	s_or_b64 exec, exec, s[0:1]
	v_cmp_lt_u32_e32 vcc, v28, v34
	s_and_saveexec_b64 s[0:1], vcc
	s_cbranch_execz .LBB2732_86
.LBB2732_123:
	v_lshlrev_b32_e32 v33, 2, v28
	v_readfirstlane_b32 s4, v4
	v_readfirstlane_b32 s5, v5
	s_waitcnt lgkmcnt(5)
	s_nop 3
	global_store_dword v33, v13, s[4:5]
	s_or_b64 exec, exec, s[0:1]
	v_cmp_lt_u32_e32 vcc, v27, v34
	s_and_saveexec_b64 s[0:1], vcc
	s_cbranch_execz .LBB2732_87
.LBB2732_124:
	v_lshlrev_b32_e32 v33, 2, v27
	v_readfirstlane_b32 s4, v4
	v_readfirstlane_b32 s5, v5
	s_waitcnt lgkmcnt(4)
	s_nop 3
	global_store_dword v33, v10, s[4:5]
	s_or_b64 exec, exec, s[0:1]
	v_cmp_lt_u32_e32 vcc, v26, v34
	s_and_saveexec_b64 s[0:1], vcc
	s_cbranch_execz .LBB2732_88
.LBB2732_125:
	v_lshlrev_b32_e32 v33, 2, v26
	v_readfirstlane_b32 s4, v4
	v_readfirstlane_b32 s5, v5
	s_waitcnt lgkmcnt(4)
	s_nop 3
	global_store_dword v33, v11, s[4:5]
	s_or_b64 exec, exec, s[0:1]
	v_cmp_lt_u32_e32 vcc, v25, v34
	s_and_saveexec_b64 s[0:1], vcc
	s_cbranch_execz .LBB2732_89
.LBB2732_126:
	v_lshlrev_b32_e32 v33, 2, v25
	v_readfirstlane_b32 s4, v4
	v_readfirstlane_b32 s5, v5
	s_waitcnt lgkmcnt(3)
	s_nop 3
	global_store_dword v33, v8, s[4:5]
	s_or_b64 exec, exec, s[0:1]
	v_cmp_lt_u32_e32 vcc, v24, v34
	s_and_saveexec_b64 s[0:1], vcc
	s_cbranch_execz .LBB2732_90
.LBB2732_127:
	v_lshlrev_b32_e32 v33, 2, v24
	v_readfirstlane_b32 s4, v4
	v_readfirstlane_b32 s5, v5
	s_waitcnt lgkmcnt(3)
	s_nop 3
	global_store_dword v33, v9, s[4:5]
	s_or_b64 exec, exec, s[0:1]
	v_cmp_lt_u32_e32 vcc, v23, v34
	s_and_saveexec_b64 s[0:1], vcc
	s_cbranch_execz .LBB2732_91
.LBB2732_128:
	v_lshlrev_b32_e32 v33, 2, v23
	v_readfirstlane_b32 s4, v4
	v_readfirstlane_b32 s5, v5
	s_waitcnt lgkmcnt(2)
	s_nop 3
	global_store_dword v33, v6, s[4:5]
	s_or_b64 exec, exec, s[0:1]
	v_cmp_lt_u32_e32 vcc, v22, v34
	s_and_saveexec_b64 s[0:1], vcc
	s_cbranch_execz .LBB2732_92
.LBB2732_129:
	v_lshlrev_b32_e32 v33, 2, v22
	v_readfirstlane_b32 s4, v4
	v_readfirstlane_b32 s5, v5
	s_waitcnt lgkmcnt(2)
	s_nop 3
	global_store_dword v33, v7, s[4:5]
	s_or_b64 exec, exec, s[0:1]
	v_cmp_lt_u32_e32 vcc, v21, v34
	s_and_saveexec_b64 s[0:1], vcc
	s_cbranch_execz .LBB2732_93
.LBB2732_130:
	v_lshlrev_b32_e32 v33, 2, v21
	v_readfirstlane_b32 s4, v4
	v_readfirstlane_b32 s5, v5
	s_waitcnt lgkmcnt(1)
	s_nop 3
	global_store_dword v33, v2, s[4:5]
	s_or_b64 exec, exec, s[0:1]
	v_cmp_lt_u32_e32 vcc, v20, v34
	s_and_saveexec_b64 s[0:1], vcc
	s_cbranch_execnz .LBB2732_94
	s_branch .LBB2732_95
.LBB2732_131:
	v_readfirstlane_b32 s2, v4
	v_readfirstlane_b32 s3, v5
	s_waitcnt lgkmcnt(7)
	s_nop 3
	global_store_dword v18, v16, s[2:3]
	s_or_b64 exec, exec, s[0:1]
	v_cmp_lt_u32_e32 vcc, v32, v33
	s_and_saveexec_b64 s[0:1], vcc
	s_cbranch_execz .LBB2732_99
.LBB2732_132:
	v_readfirstlane_b32 s2, v4
	v_readfirstlane_b32 s3, v5
	s_waitcnt lgkmcnt(7)
	s_nop 3
	global_store_dword v18, v17, s[2:3] offset:2048
	s_or_b64 exec, exec, s[0:1]
	v_cmp_lt_u32_e32 vcc, v31, v33
	s_and_saveexec_b64 s[0:1], vcc
	s_cbranch_execz .LBB2732_100
.LBB2732_133:
	s_waitcnt lgkmcnt(7)
	v_lshlrev_b32_e32 v16, 2, v31
	v_readfirstlane_b32 s2, v4
	v_readfirstlane_b32 s3, v5
	s_waitcnt lgkmcnt(6)
	s_nop 3
	global_store_dword v16, v14, s[2:3]
	s_or_b64 exec, exec, s[0:1]
	v_cmp_lt_u32_e32 vcc, v30, v33
	s_and_saveexec_b64 s[0:1], vcc
	s_cbranch_execz .LBB2732_101
.LBB2732_134:
	s_waitcnt lgkmcnt(6)
	v_lshlrev_b32_e32 v14, 2, v30
	v_readfirstlane_b32 s2, v4
	v_readfirstlane_b32 s3, v5
	s_nop 4
	global_store_dword v14, v15, s[2:3]
	s_or_b64 exec, exec, s[0:1]
	v_cmp_lt_u32_e32 vcc, v29, v33
	s_and_saveexec_b64 s[0:1], vcc
	s_cbranch_execz .LBB2732_102
.LBB2732_135:
	s_waitcnt lgkmcnt(6)
	v_lshlrev_b32_e32 v14, 2, v29
	v_readfirstlane_b32 s2, v4
	v_readfirstlane_b32 s3, v5
	s_waitcnt lgkmcnt(5)
	s_nop 3
	global_store_dword v14, v12, s[2:3]
	s_or_b64 exec, exec, s[0:1]
	v_cmp_lt_u32_e32 vcc, v28, v33
	s_and_saveexec_b64 s[0:1], vcc
	s_cbranch_execz .LBB2732_103
.LBB2732_136:
	s_waitcnt lgkmcnt(5)
	v_lshlrev_b32_e32 v12, 2, v28
	v_readfirstlane_b32 s2, v4
	v_readfirstlane_b32 s3, v5
	s_nop 4
	global_store_dword v12, v13, s[2:3]
	s_or_b64 exec, exec, s[0:1]
	v_cmp_lt_u32_e32 vcc, v27, v33
	s_and_saveexec_b64 s[0:1], vcc
	s_cbranch_execz .LBB2732_104
.LBB2732_137:
	s_waitcnt lgkmcnt(5)
	v_lshlrev_b32_e32 v12, 2, v27
	v_readfirstlane_b32 s2, v4
	v_readfirstlane_b32 s3, v5
	s_waitcnt lgkmcnt(4)
	s_nop 3
	global_store_dword v12, v10, s[2:3]
	s_or_b64 exec, exec, s[0:1]
	v_cmp_lt_u32_e32 vcc, v26, v33
	s_and_saveexec_b64 s[0:1], vcc
	s_cbranch_execz .LBB2732_105
.LBB2732_138:
	s_waitcnt lgkmcnt(4)
	v_lshlrev_b32_e32 v10, 2, v26
	v_readfirstlane_b32 s2, v4
	v_readfirstlane_b32 s3, v5
	s_nop 4
	global_store_dword v10, v11, s[2:3]
	s_or_b64 exec, exec, s[0:1]
	v_cmp_lt_u32_e32 vcc, v25, v33
	s_and_saveexec_b64 s[0:1], vcc
	s_cbranch_execz .LBB2732_106
.LBB2732_139:
	s_waitcnt lgkmcnt(4)
	v_lshlrev_b32_e32 v10, 2, v25
	v_readfirstlane_b32 s2, v4
	v_readfirstlane_b32 s3, v5
	s_waitcnt lgkmcnt(3)
	s_nop 3
	global_store_dword v10, v8, s[2:3]
	s_or_b64 exec, exec, s[0:1]
	v_cmp_lt_u32_e32 vcc, v24, v33
	s_and_saveexec_b64 s[0:1], vcc
	s_cbranch_execz .LBB2732_107
.LBB2732_140:
	s_waitcnt lgkmcnt(3)
	v_lshlrev_b32_e32 v8, 2, v24
	v_readfirstlane_b32 s2, v4
	v_readfirstlane_b32 s3, v5
	s_nop 4
	global_store_dword v8, v9, s[2:3]
	s_or_b64 exec, exec, s[0:1]
	v_cmp_lt_u32_e32 vcc, v23, v33
	s_and_saveexec_b64 s[0:1], vcc
	s_cbranch_execz .LBB2732_108
.LBB2732_141:
	s_waitcnt lgkmcnt(3)
	v_lshlrev_b32_e32 v8, 2, v23
	v_readfirstlane_b32 s2, v4
	v_readfirstlane_b32 s3, v5
	s_waitcnt lgkmcnt(2)
	s_nop 3
	global_store_dword v8, v6, s[2:3]
	s_or_b64 exec, exec, s[0:1]
	v_cmp_lt_u32_e32 vcc, v22, v33
	s_and_saveexec_b64 s[0:1], vcc
	s_cbranch_execz .LBB2732_109
.LBB2732_142:
	s_waitcnt lgkmcnt(2)
	v_lshlrev_b32_e32 v6, 2, v22
	v_readfirstlane_b32 s2, v4
	v_readfirstlane_b32 s3, v5
	s_nop 4
	global_store_dword v6, v7, s[2:3]
	s_or_b64 exec, exec, s[0:1]
	v_cmp_lt_u32_e32 vcc, v21, v33
	s_and_saveexec_b64 s[0:1], vcc
	s_cbranch_execz .LBB2732_110
.LBB2732_143:
	s_waitcnt lgkmcnt(2)
	v_lshlrev_b32_e32 v6, 2, v21
	v_readfirstlane_b32 s2, v4
	v_readfirstlane_b32 s3, v5
	s_waitcnt lgkmcnt(1)
	s_nop 3
	global_store_dword v6, v2, s[2:3]
	s_or_b64 exec, exec, s[0:1]
	v_cmp_lt_u32_e32 vcc, v20, v33
	s_and_saveexec_b64 s[0:1], vcc
	s_cbranch_execnz .LBB2732_111
	s_branch .LBB2732_112
	.section	.rodata,"a",@progbits
	.p2align	6, 0x0
	.amdhsa_kernel _ZN7rocprim17ROCPRIM_400000_NS6detail17trampoline_kernelINS0_14default_configENS1_25partition_config_selectorILNS1_17partition_subalgoE0EiNS0_10empty_typeEbEEZZNS1_14partition_implILS5_0ELb0ES3_jN6thrust23THRUST_200600_302600_NS6detail15normal_iteratorINSA_10device_ptrIiEEEEPS6_SG_NS0_5tupleIJSF_NSA_16discard_iteratorINSA_11use_defaultEEEEEENSH_IJSG_SG_EEES6_PlJ7is_evenIiEEEE10hipError_tPvRmT3_T4_T5_T6_T7_T9_mT8_P12ihipStream_tbDpT10_ENKUlT_T0_E_clISt17integral_constantIbLb1EES18_IbLb0EEEEDaS14_S15_EUlS14_E_NS1_11comp_targetILNS1_3genE5ELNS1_11target_archE942ELNS1_3gpuE9ELNS1_3repE0EEENS1_30default_config_static_selectorELNS0_4arch9wavefront6targetE1EEEvT1_
		.amdhsa_group_segment_fixed_size 30728
		.amdhsa_private_segment_fixed_size 0
		.amdhsa_kernarg_size 128
		.amdhsa_user_sgpr_count 2
		.amdhsa_user_sgpr_dispatch_ptr 0
		.amdhsa_user_sgpr_queue_ptr 0
		.amdhsa_user_sgpr_kernarg_segment_ptr 1
		.amdhsa_user_sgpr_dispatch_id 0
		.amdhsa_user_sgpr_kernarg_preload_length 0
		.amdhsa_user_sgpr_kernarg_preload_offset 0
		.amdhsa_user_sgpr_private_segment_size 0
		.amdhsa_uses_dynamic_stack 0
		.amdhsa_enable_private_segment 0
		.amdhsa_system_sgpr_workgroup_id_x 1
		.amdhsa_system_sgpr_workgroup_id_y 0
		.amdhsa_system_sgpr_workgroup_id_z 0
		.amdhsa_system_sgpr_workgroup_info 0
		.amdhsa_system_vgpr_workitem_id 0
		.amdhsa_next_free_vgpr 76
		.amdhsa_next_free_sgpr 40
		.amdhsa_accum_offset 76
		.amdhsa_reserve_vcc 1
		.amdhsa_float_round_mode_32 0
		.amdhsa_float_round_mode_16_64 0
		.amdhsa_float_denorm_mode_32 3
		.amdhsa_float_denorm_mode_16_64 3
		.amdhsa_dx10_clamp 1
		.amdhsa_ieee_mode 1
		.amdhsa_fp16_overflow 0
		.amdhsa_tg_split 0
		.amdhsa_exception_fp_ieee_invalid_op 0
		.amdhsa_exception_fp_denorm_src 0
		.amdhsa_exception_fp_ieee_div_zero 0
		.amdhsa_exception_fp_ieee_overflow 0
		.amdhsa_exception_fp_ieee_underflow 0
		.amdhsa_exception_fp_ieee_inexact 0
		.amdhsa_exception_int_div_zero 0
	.end_amdhsa_kernel
	.section	.text._ZN7rocprim17ROCPRIM_400000_NS6detail17trampoline_kernelINS0_14default_configENS1_25partition_config_selectorILNS1_17partition_subalgoE0EiNS0_10empty_typeEbEEZZNS1_14partition_implILS5_0ELb0ES3_jN6thrust23THRUST_200600_302600_NS6detail15normal_iteratorINSA_10device_ptrIiEEEEPS6_SG_NS0_5tupleIJSF_NSA_16discard_iteratorINSA_11use_defaultEEEEEENSH_IJSG_SG_EEES6_PlJ7is_evenIiEEEE10hipError_tPvRmT3_T4_T5_T6_T7_T9_mT8_P12ihipStream_tbDpT10_ENKUlT_T0_E_clISt17integral_constantIbLb1EES18_IbLb0EEEEDaS14_S15_EUlS14_E_NS1_11comp_targetILNS1_3genE5ELNS1_11target_archE942ELNS1_3gpuE9ELNS1_3repE0EEENS1_30default_config_static_selectorELNS0_4arch9wavefront6targetE1EEEvT1_,"axG",@progbits,_ZN7rocprim17ROCPRIM_400000_NS6detail17trampoline_kernelINS0_14default_configENS1_25partition_config_selectorILNS1_17partition_subalgoE0EiNS0_10empty_typeEbEEZZNS1_14partition_implILS5_0ELb0ES3_jN6thrust23THRUST_200600_302600_NS6detail15normal_iteratorINSA_10device_ptrIiEEEEPS6_SG_NS0_5tupleIJSF_NSA_16discard_iteratorINSA_11use_defaultEEEEEENSH_IJSG_SG_EEES6_PlJ7is_evenIiEEEE10hipError_tPvRmT3_T4_T5_T6_T7_T9_mT8_P12ihipStream_tbDpT10_ENKUlT_T0_E_clISt17integral_constantIbLb1EES18_IbLb0EEEEDaS14_S15_EUlS14_E_NS1_11comp_targetILNS1_3genE5ELNS1_11target_archE942ELNS1_3gpuE9ELNS1_3repE0EEENS1_30default_config_static_selectorELNS0_4arch9wavefront6targetE1EEEvT1_,comdat
.Lfunc_end2732:
	.size	_ZN7rocprim17ROCPRIM_400000_NS6detail17trampoline_kernelINS0_14default_configENS1_25partition_config_selectorILNS1_17partition_subalgoE0EiNS0_10empty_typeEbEEZZNS1_14partition_implILS5_0ELb0ES3_jN6thrust23THRUST_200600_302600_NS6detail15normal_iteratorINSA_10device_ptrIiEEEEPS6_SG_NS0_5tupleIJSF_NSA_16discard_iteratorINSA_11use_defaultEEEEEENSH_IJSG_SG_EEES6_PlJ7is_evenIiEEEE10hipError_tPvRmT3_T4_T5_T6_T7_T9_mT8_P12ihipStream_tbDpT10_ENKUlT_T0_E_clISt17integral_constantIbLb1EES18_IbLb0EEEEDaS14_S15_EUlS14_E_NS1_11comp_targetILNS1_3genE5ELNS1_11target_archE942ELNS1_3gpuE9ELNS1_3repE0EEENS1_30default_config_static_selectorELNS0_4arch9wavefront6targetE1EEEvT1_, .Lfunc_end2732-_ZN7rocprim17ROCPRIM_400000_NS6detail17trampoline_kernelINS0_14default_configENS1_25partition_config_selectorILNS1_17partition_subalgoE0EiNS0_10empty_typeEbEEZZNS1_14partition_implILS5_0ELb0ES3_jN6thrust23THRUST_200600_302600_NS6detail15normal_iteratorINSA_10device_ptrIiEEEEPS6_SG_NS0_5tupleIJSF_NSA_16discard_iteratorINSA_11use_defaultEEEEEENSH_IJSG_SG_EEES6_PlJ7is_evenIiEEEE10hipError_tPvRmT3_T4_T5_T6_T7_T9_mT8_P12ihipStream_tbDpT10_ENKUlT_T0_E_clISt17integral_constantIbLb1EES18_IbLb0EEEEDaS14_S15_EUlS14_E_NS1_11comp_targetILNS1_3genE5ELNS1_11target_archE942ELNS1_3gpuE9ELNS1_3repE0EEENS1_30default_config_static_selectorELNS0_4arch9wavefront6targetE1EEEvT1_
                                        ; -- End function
	.section	.AMDGPU.csdata,"",@progbits
; Kernel info:
; codeLenInByte = 6832
; NumSgprs: 46
; NumVgprs: 76
; NumAgprs: 0
; TotalNumVgprs: 76
; ScratchSize: 0
; MemoryBound: 0
; FloatMode: 240
; IeeeMode: 1
; LDSByteSize: 30728 bytes/workgroup (compile time only)
; SGPRBlocks: 5
; VGPRBlocks: 9
; NumSGPRsForWavesPerEU: 46
; NumVGPRsForWavesPerEU: 76
; AccumOffset: 76
; Occupancy: 4
; WaveLimiterHint : 1
; COMPUTE_PGM_RSRC2:SCRATCH_EN: 0
; COMPUTE_PGM_RSRC2:USER_SGPR: 2
; COMPUTE_PGM_RSRC2:TRAP_HANDLER: 0
; COMPUTE_PGM_RSRC2:TGID_X_EN: 1
; COMPUTE_PGM_RSRC2:TGID_Y_EN: 0
; COMPUTE_PGM_RSRC2:TGID_Z_EN: 0
; COMPUTE_PGM_RSRC2:TIDIG_COMP_CNT: 0
; COMPUTE_PGM_RSRC3_GFX90A:ACCUM_OFFSET: 18
; COMPUTE_PGM_RSRC3_GFX90A:TG_SPLIT: 0
	.section	.text._ZN7rocprim17ROCPRIM_400000_NS6detail17trampoline_kernelINS0_14default_configENS1_25partition_config_selectorILNS1_17partition_subalgoE0EiNS0_10empty_typeEbEEZZNS1_14partition_implILS5_0ELb0ES3_jN6thrust23THRUST_200600_302600_NS6detail15normal_iteratorINSA_10device_ptrIiEEEEPS6_SG_NS0_5tupleIJSF_NSA_16discard_iteratorINSA_11use_defaultEEEEEENSH_IJSG_SG_EEES6_PlJ7is_evenIiEEEE10hipError_tPvRmT3_T4_T5_T6_T7_T9_mT8_P12ihipStream_tbDpT10_ENKUlT_T0_E_clISt17integral_constantIbLb1EES18_IbLb0EEEEDaS14_S15_EUlS14_E_NS1_11comp_targetILNS1_3genE4ELNS1_11target_archE910ELNS1_3gpuE8ELNS1_3repE0EEENS1_30default_config_static_selectorELNS0_4arch9wavefront6targetE1EEEvT1_,"axG",@progbits,_ZN7rocprim17ROCPRIM_400000_NS6detail17trampoline_kernelINS0_14default_configENS1_25partition_config_selectorILNS1_17partition_subalgoE0EiNS0_10empty_typeEbEEZZNS1_14partition_implILS5_0ELb0ES3_jN6thrust23THRUST_200600_302600_NS6detail15normal_iteratorINSA_10device_ptrIiEEEEPS6_SG_NS0_5tupleIJSF_NSA_16discard_iteratorINSA_11use_defaultEEEEEENSH_IJSG_SG_EEES6_PlJ7is_evenIiEEEE10hipError_tPvRmT3_T4_T5_T6_T7_T9_mT8_P12ihipStream_tbDpT10_ENKUlT_T0_E_clISt17integral_constantIbLb1EES18_IbLb0EEEEDaS14_S15_EUlS14_E_NS1_11comp_targetILNS1_3genE4ELNS1_11target_archE910ELNS1_3gpuE8ELNS1_3repE0EEENS1_30default_config_static_selectorELNS0_4arch9wavefront6targetE1EEEvT1_,comdat
	.protected	_ZN7rocprim17ROCPRIM_400000_NS6detail17trampoline_kernelINS0_14default_configENS1_25partition_config_selectorILNS1_17partition_subalgoE0EiNS0_10empty_typeEbEEZZNS1_14partition_implILS5_0ELb0ES3_jN6thrust23THRUST_200600_302600_NS6detail15normal_iteratorINSA_10device_ptrIiEEEEPS6_SG_NS0_5tupleIJSF_NSA_16discard_iteratorINSA_11use_defaultEEEEEENSH_IJSG_SG_EEES6_PlJ7is_evenIiEEEE10hipError_tPvRmT3_T4_T5_T6_T7_T9_mT8_P12ihipStream_tbDpT10_ENKUlT_T0_E_clISt17integral_constantIbLb1EES18_IbLb0EEEEDaS14_S15_EUlS14_E_NS1_11comp_targetILNS1_3genE4ELNS1_11target_archE910ELNS1_3gpuE8ELNS1_3repE0EEENS1_30default_config_static_selectorELNS0_4arch9wavefront6targetE1EEEvT1_ ; -- Begin function _ZN7rocprim17ROCPRIM_400000_NS6detail17trampoline_kernelINS0_14default_configENS1_25partition_config_selectorILNS1_17partition_subalgoE0EiNS0_10empty_typeEbEEZZNS1_14partition_implILS5_0ELb0ES3_jN6thrust23THRUST_200600_302600_NS6detail15normal_iteratorINSA_10device_ptrIiEEEEPS6_SG_NS0_5tupleIJSF_NSA_16discard_iteratorINSA_11use_defaultEEEEEENSH_IJSG_SG_EEES6_PlJ7is_evenIiEEEE10hipError_tPvRmT3_T4_T5_T6_T7_T9_mT8_P12ihipStream_tbDpT10_ENKUlT_T0_E_clISt17integral_constantIbLb1EES18_IbLb0EEEEDaS14_S15_EUlS14_E_NS1_11comp_targetILNS1_3genE4ELNS1_11target_archE910ELNS1_3gpuE8ELNS1_3repE0EEENS1_30default_config_static_selectorELNS0_4arch9wavefront6targetE1EEEvT1_
	.globl	_ZN7rocprim17ROCPRIM_400000_NS6detail17trampoline_kernelINS0_14default_configENS1_25partition_config_selectorILNS1_17partition_subalgoE0EiNS0_10empty_typeEbEEZZNS1_14partition_implILS5_0ELb0ES3_jN6thrust23THRUST_200600_302600_NS6detail15normal_iteratorINSA_10device_ptrIiEEEEPS6_SG_NS0_5tupleIJSF_NSA_16discard_iteratorINSA_11use_defaultEEEEEENSH_IJSG_SG_EEES6_PlJ7is_evenIiEEEE10hipError_tPvRmT3_T4_T5_T6_T7_T9_mT8_P12ihipStream_tbDpT10_ENKUlT_T0_E_clISt17integral_constantIbLb1EES18_IbLb0EEEEDaS14_S15_EUlS14_E_NS1_11comp_targetILNS1_3genE4ELNS1_11target_archE910ELNS1_3gpuE8ELNS1_3repE0EEENS1_30default_config_static_selectorELNS0_4arch9wavefront6targetE1EEEvT1_
	.p2align	8
	.type	_ZN7rocprim17ROCPRIM_400000_NS6detail17trampoline_kernelINS0_14default_configENS1_25partition_config_selectorILNS1_17partition_subalgoE0EiNS0_10empty_typeEbEEZZNS1_14partition_implILS5_0ELb0ES3_jN6thrust23THRUST_200600_302600_NS6detail15normal_iteratorINSA_10device_ptrIiEEEEPS6_SG_NS0_5tupleIJSF_NSA_16discard_iteratorINSA_11use_defaultEEEEEENSH_IJSG_SG_EEES6_PlJ7is_evenIiEEEE10hipError_tPvRmT3_T4_T5_T6_T7_T9_mT8_P12ihipStream_tbDpT10_ENKUlT_T0_E_clISt17integral_constantIbLb1EES18_IbLb0EEEEDaS14_S15_EUlS14_E_NS1_11comp_targetILNS1_3genE4ELNS1_11target_archE910ELNS1_3gpuE8ELNS1_3repE0EEENS1_30default_config_static_selectorELNS0_4arch9wavefront6targetE1EEEvT1_,@function
_ZN7rocprim17ROCPRIM_400000_NS6detail17trampoline_kernelINS0_14default_configENS1_25partition_config_selectorILNS1_17partition_subalgoE0EiNS0_10empty_typeEbEEZZNS1_14partition_implILS5_0ELb0ES3_jN6thrust23THRUST_200600_302600_NS6detail15normal_iteratorINSA_10device_ptrIiEEEEPS6_SG_NS0_5tupleIJSF_NSA_16discard_iteratorINSA_11use_defaultEEEEEENSH_IJSG_SG_EEES6_PlJ7is_evenIiEEEE10hipError_tPvRmT3_T4_T5_T6_T7_T9_mT8_P12ihipStream_tbDpT10_ENKUlT_T0_E_clISt17integral_constantIbLb1EES18_IbLb0EEEEDaS14_S15_EUlS14_E_NS1_11comp_targetILNS1_3genE4ELNS1_11target_archE910ELNS1_3gpuE8ELNS1_3repE0EEENS1_30default_config_static_selectorELNS0_4arch9wavefront6targetE1EEEvT1_: ; @_ZN7rocprim17ROCPRIM_400000_NS6detail17trampoline_kernelINS0_14default_configENS1_25partition_config_selectorILNS1_17partition_subalgoE0EiNS0_10empty_typeEbEEZZNS1_14partition_implILS5_0ELb0ES3_jN6thrust23THRUST_200600_302600_NS6detail15normal_iteratorINSA_10device_ptrIiEEEEPS6_SG_NS0_5tupleIJSF_NSA_16discard_iteratorINSA_11use_defaultEEEEEENSH_IJSG_SG_EEES6_PlJ7is_evenIiEEEE10hipError_tPvRmT3_T4_T5_T6_T7_T9_mT8_P12ihipStream_tbDpT10_ENKUlT_T0_E_clISt17integral_constantIbLb1EES18_IbLb0EEEEDaS14_S15_EUlS14_E_NS1_11comp_targetILNS1_3genE4ELNS1_11target_archE910ELNS1_3gpuE8ELNS1_3repE0EEENS1_30default_config_static_selectorELNS0_4arch9wavefront6targetE1EEEvT1_
; %bb.0:
	.section	.rodata,"a",@progbits
	.p2align	6, 0x0
	.amdhsa_kernel _ZN7rocprim17ROCPRIM_400000_NS6detail17trampoline_kernelINS0_14default_configENS1_25partition_config_selectorILNS1_17partition_subalgoE0EiNS0_10empty_typeEbEEZZNS1_14partition_implILS5_0ELb0ES3_jN6thrust23THRUST_200600_302600_NS6detail15normal_iteratorINSA_10device_ptrIiEEEEPS6_SG_NS0_5tupleIJSF_NSA_16discard_iteratorINSA_11use_defaultEEEEEENSH_IJSG_SG_EEES6_PlJ7is_evenIiEEEE10hipError_tPvRmT3_T4_T5_T6_T7_T9_mT8_P12ihipStream_tbDpT10_ENKUlT_T0_E_clISt17integral_constantIbLb1EES18_IbLb0EEEEDaS14_S15_EUlS14_E_NS1_11comp_targetILNS1_3genE4ELNS1_11target_archE910ELNS1_3gpuE8ELNS1_3repE0EEENS1_30default_config_static_selectorELNS0_4arch9wavefront6targetE1EEEvT1_
		.amdhsa_group_segment_fixed_size 0
		.amdhsa_private_segment_fixed_size 0
		.amdhsa_kernarg_size 128
		.amdhsa_user_sgpr_count 2
		.amdhsa_user_sgpr_dispatch_ptr 0
		.amdhsa_user_sgpr_queue_ptr 0
		.amdhsa_user_sgpr_kernarg_segment_ptr 1
		.amdhsa_user_sgpr_dispatch_id 0
		.amdhsa_user_sgpr_kernarg_preload_length 0
		.amdhsa_user_sgpr_kernarg_preload_offset 0
		.amdhsa_user_sgpr_private_segment_size 0
		.amdhsa_uses_dynamic_stack 0
		.amdhsa_enable_private_segment 0
		.amdhsa_system_sgpr_workgroup_id_x 1
		.amdhsa_system_sgpr_workgroup_id_y 0
		.amdhsa_system_sgpr_workgroup_id_z 0
		.amdhsa_system_sgpr_workgroup_info 0
		.amdhsa_system_vgpr_workitem_id 0
		.amdhsa_next_free_vgpr 1
		.amdhsa_next_free_sgpr 0
		.amdhsa_accum_offset 4
		.amdhsa_reserve_vcc 0
		.amdhsa_float_round_mode_32 0
		.amdhsa_float_round_mode_16_64 0
		.amdhsa_float_denorm_mode_32 3
		.amdhsa_float_denorm_mode_16_64 3
		.amdhsa_dx10_clamp 1
		.amdhsa_ieee_mode 1
		.amdhsa_fp16_overflow 0
		.amdhsa_tg_split 0
		.amdhsa_exception_fp_ieee_invalid_op 0
		.amdhsa_exception_fp_denorm_src 0
		.amdhsa_exception_fp_ieee_div_zero 0
		.amdhsa_exception_fp_ieee_overflow 0
		.amdhsa_exception_fp_ieee_underflow 0
		.amdhsa_exception_fp_ieee_inexact 0
		.amdhsa_exception_int_div_zero 0
	.end_amdhsa_kernel
	.section	.text._ZN7rocprim17ROCPRIM_400000_NS6detail17trampoline_kernelINS0_14default_configENS1_25partition_config_selectorILNS1_17partition_subalgoE0EiNS0_10empty_typeEbEEZZNS1_14partition_implILS5_0ELb0ES3_jN6thrust23THRUST_200600_302600_NS6detail15normal_iteratorINSA_10device_ptrIiEEEEPS6_SG_NS0_5tupleIJSF_NSA_16discard_iteratorINSA_11use_defaultEEEEEENSH_IJSG_SG_EEES6_PlJ7is_evenIiEEEE10hipError_tPvRmT3_T4_T5_T6_T7_T9_mT8_P12ihipStream_tbDpT10_ENKUlT_T0_E_clISt17integral_constantIbLb1EES18_IbLb0EEEEDaS14_S15_EUlS14_E_NS1_11comp_targetILNS1_3genE4ELNS1_11target_archE910ELNS1_3gpuE8ELNS1_3repE0EEENS1_30default_config_static_selectorELNS0_4arch9wavefront6targetE1EEEvT1_,"axG",@progbits,_ZN7rocprim17ROCPRIM_400000_NS6detail17trampoline_kernelINS0_14default_configENS1_25partition_config_selectorILNS1_17partition_subalgoE0EiNS0_10empty_typeEbEEZZNS1_14partition_implILS5_0ELb0ES3_jN6thrust23THRUST_200600_302600_NS6detail15normal_iteratorINSA_10device_ptrIiEEEEPS6_SG_NS0_5tupleIJSF_NSA_16discard_iteratorINSA_11use_defaultEEEEEENSH_IJSG_SG_EEES6_PlJ7is_evenIiEEEE10hipError_tPvRmT3_T4_T5_T6_T7_T9_mT8_P12ihipStream_tbDpT10_ENKUlT_T0_E_clISt17integral_constantIbLb1EES18_IbLb0EEEEDaS14_S15_EUlS14_E_NS1_11comp_targetILNS1_3genE4ELNS1_11target_archE910ELNS1_3gpuE8ELNS1_3repE0EEENS1_30default_config_static_selectorELNS0_4arch9wavefront6targetE1EEEvT1_,comdat
.Lfunc_end2733:
	.size	_ZN7rocprim17ROCPRIM_400000_NS6detail17trampoline_kernelINS0_14default_configENS1_25partition_config_selectorILNS1_17partition_subalgoE0EiNS0_10empty_typeEbEEZZNS1_14partition_implILS5_0ELb0ES3_jN6thrust23THRUST_200600_302600_NS6detail15normal_iteratorINSA_10device_ptrIiEEEEPS6_SG_NS0_5tupleIJSF_NSA_16discard_iteratorINSA_11use_defaultEEEEEENSH_IJSG_SG_EEES6_PlJ7is_evenIiEEEE10hipError_tPvRmT3_T4_T5_T6_T7_T9_mT8_P12ihipStream_tbDpT10_ENKUlT_T0_E_clISt17integral_constantIbLb1EES18_IbLb0EEEEDaS14_S15_EUlS14_E_NS1_11comp_targetILNS1_3genE4ELNS1_11target_archE910ELNS1_3gpuE8ELNS1_3repE0EEENS1_30default_config_static_selectorELNS0_4arch9wavefront6targetE1EEEvT1_, .Lfunc_end2733-_ZN7rocprim17ROCPRIM_400000_NS6detail17trampoline_kernelINS0_14default_configENS1_25partition_config_selectorILNS1_17partition_subalgoE0EiNS0_10empty_typeEbEEZZNS1_14partition_implILS5_0ELb0ES3_jN6thrust23THRUST_200600_302600_NS6detail15normal_iteratorINSA_10device_ptrIiEEEEPS6_SG_NS0_5tupleIJSF_NSA_16discard_iteratorINSA_11use_defaultEEEEEENSH_IJSG_SG_EEES6_PlJ7is_evenIiEEEE10hipError_tPvRmT3_T4_T5_T6_T7_T9_mT8_P12ihipStream_tbDpT10_ENKUlT_T0_E_clISt17integral_constantIbLb1EES18_IbLb0EEEEDaS14_S15_EUlS14_E_NS1_11comp_targetILNS1_3genE4ELNS1_11target_archE910ELNS1_3gpuE8ELNS1_3repE0EEENS1_30default_config_static_selectorELNS0_4arch9wavefront6targetE1EEEvT1_
                                        ; -- End function
	.section	.AMDGPU.csdata,"",@progbits
; Kernel info:
; codeLenInByte = 0
; NumSgprs: 6
; NumVgprs: 0
; NumAgprs: 0
; TotalNumVgprs: 0
; ScratchSize: 0
; MemoryBound: 0
; FloatMode: 240
; IeeeMode: 1
; LDSByteSize: 0 bytes/workgroup (compile time only)
; SGPRBlocks: 0
; VGPRBlocks: 0
; NumSGPRsForWavesPerEU: 6
; NumVGPRsForWavesPerEU: 1
; AccumOffset: 4
; Occupancy: 8
; WaveLimiterHint : 0
; COMPUTE_PGM_RSRC2:SCRATCH_EN: 0
; COMPUTE_PGM_RSRC2:USER_SGPR: 2
; COMPUTE_PGM_RSRC2:TRAP_HANDLER: 0
; COMPUTE_PGM_RSRC2:TGID_X_EN: 1
; COMPUTE_PGM_RSRC2:TGID_Y_EN: 0
; COMPUTE_PGM_RSRC2:TGID_Z_EN: 0
; COMPUTE_PGM_RSRC2:TIDIG_COMP_CNT: 0
; COMPUTE_PGM_RSRC3_GFX90A:ACCUM_OFFSET: 0
; COMPUTE_PGM_RSRC3_GFX90A:TG_SPLIT: 0
	.section	.text._ZN7rocprim17ROCPRIM_400000_NS6detail17trampoline_kernelINS0_14default_configENS1_25partition_config_selectorILNS1_17partition_subalgoE0EiNS0_10empty_typeEbEEZZNS1_14partition_implILS5_0ELb0ES3_jN6thrust23THRUST_200600_302600_NS6detail15normal_iteratorINSA_10device_ptrIiEEEEPS6_SG_NS0_5tupleIJSF_NSA_16discard_iteratorINSA_11use_defaultEEEEEENSH_IJSG_SG_EEES6_PlJ7is_evenIiEEEE10hipError_tPvRmT3_T4_T5_T6_T7_T9_mT8_P12ihipStream_tbDpT10_ENKUlT_T0_E_clISt17integral_constantIbLb1EES18_IbLb0EEEEDaS14_S15_EUlS14_E_NS1_11comp_targetILNS1_3genE3ELNS1_11target_archE908ELNS1_3gpuE7ELNS1_3repE0EEENS1_30default_config_static_selectorELNS0_4arch9wavefront6targetE1EEEvT1_,"axG",@progbits,_ZN7rocprim17ROCPRIM_400000_NS6detail17trampoline_kernelINS0_14default_configENS1_25partition_config_selectorILNS1_17partition_subalgoE0EiNS0_10empty_typeEbEEZZNS1_14partition_implILS5_0ELb0ES3_jN6thrust23THRUST_200600_302600_NS6detail15normal_iteratorINSA_10device_ptrIiEEEEPS6_SG_NS0_5tupleIJSF_NSA_16discard_iteratorINSA_11use_defaultEEEEEENSH_IJSG_SG_EEES6_PlJ7is_evenIiEEEE10hipError_tPvRmT3_T4_T5_T6_T7_T9_mT8_P12ihipStream_tbDpT10_ENKUlT_T0_E_clISt17integral_constantIbLb1EES18_IbLb0EEEEDaS14_S15_EUlS14_E_NS1_11comp_targetILNS1_3genE3ELNS1_11target_archE908ELNS1_3gpuE7ELNS1_3repE0EEENS1_30default_config_static_selectorELNS0_4arch9wavefront6targetE1EEEvT1_,comdat
	.protected	_ZN7rocprim17ROCPRIM_400000_NS6detail17trampoline_kernelINS0_14default_configENS1_25partition_config_selectorILNS1_17partition_subalgoE0EiNS0_10empty_typeEbEEZZNS1_14partition_implILS5_0ELb0ES3_jN6thrust23THRUST_200600_302600_NS6detail15normal_iteratorINSA_10device_ptrIiEEEEPS6_SG_NS0_5tupleIJSF_NSA_16discard_iteratorINSA_11use_defaultEEEEEENSH_IJSG_SG_EEES6_PlJ7is_evenIiEEEE10hipError_tPvRmT3_T4_T5_T6_T7_T9_mT8_P12ihipStream_tbDpT10_ENKUlT_T0_E_clISt17integral_constantIbLb1EES18_IbLb0EEEEDaS14_S15_EUlS14_E_NS1_11comp_targetILNS1_3genE3ELNS1_11target_archE908ELNS1_3gpuE7ELNS1_3repE0EEENS1_30default_config_static_selectorELNS0_4arch9wavefront6targetE1EEEvT1_ ; -- Begin function _ZN7rocprim17ROCPRIM_400000_NS6detail17trampoline_kernelINS0_14default_configENS1_25partition_config_selectorILNS1_17partition_subalgoE0EiNS0_10empty_typeEbEEZZNS1_14partition_implILS5_0ELb0ES3_jN6thrust23THRUST_200600_302600_NS6detail15normal_iteratorINSA_10device_ptrIiEEEEPS6_SG_NS0_5tupleIJSF_NSA_16discard_iteratorINSA_11use_defaultEEEEEENSH_IJSG_SG_EEES6_PlJ7is_evenIiEEEE10hipError_tPvRmT3_T4_T5_T6_T7_T9_mT8_P12ihipStream_tbDpT10_ENKUlT_T0_E_clISt17integral_constantIbLb1EES18_IbLb0EEEEDaS14_S15_EUlS14_E_NS1_11comp_targetILNS1_3genE3ELNS1_11target_archE908ELNS1_3gpuE7ELNS1_3repE0EEENS1_30default_config_static_selectorELNS0_4arch9wavefront6targetE1EEEvT1_
	.globl	_ZN7rocprim17ROCPRIM_400000_NS6detail17trampoline_kernelINS0_14default_configENS1_25partition_config_selectorILNS1_17partition_subalgoE0EiNS0_10empty_typeEbEEZZNS1_14partition_implILS5_0ELb0ES3_jN6thrust23THRUST_200600_302600_NS6detail15normal_iteratorINSA_10device_ptrIiEEEEPS6_SG_NS0_5tupleIJSF_NSA_16discard_iteratorINSA_11use_defaultEEEEEENSH_IJSG_SG_EEES6_PlJ7is_evenIiEEEE10hipError_tPvRmT3_T4_T5_T6_T7_T9_mT8_P12ihipStream_tbDpT10_ENKUlT_T0_E_clISt17integral_constantIbLb1EES18_IbLb0EEEEDaS14_S15_EUlS14_E_NS1_11comp_targetILNS1_3genE3ELNS1_11target_archE908ELNS1_3gpuE7ELNS1_3repE0EEENS1_30default_config_static_selectorELNS0_4arch9wavefront6targetE1EEEvT1_
	.p2align	8
	.type	_ZN7rocprim17ROCPRIM_400000_NS6detail17trampoline_kernelINS0_14default_configENS1_25partition_config_selectorILNS1_17partition_subalgoE0EiNS0_10empty_typeEbEEZZNS1_14partition_implILS5_0ELb0ES3_jN6thrust23THRUST_200600_302600_NS6detail15normal_iteratorINSA_10device_ptrIiEEEEPS6_SG_NS0_5tupleIJSF_NSA_16discard_iteratorINSA_11use_defaultEEEEEENSH_IJSG_SG_EEES6_PlJ7is_evenIiEEEE10hipError_tPvRmT3_T4_T5_T6_T7_T9_mT8_P12ihipStream_tbDpT10_ENKUlT_T0_E_clISt17integral_constantIbLb1EES18_IbLb0EEEEDaS14_S15_EUlS14_E_NS1_11comp_targetILNS1_3genE3ELNS1_11target_archE908ELNS1_3gpuE7ELNS1_3repE0EEENS1_30default_config_static_selectorELNS0_4arch9wavefront6targetE1EEEvT1_,@function
_ZN7rocprim17ROCPRIM_400000_NS6detail17trampoline_kernelINS0_14default_configENS1_25partition_config_selectorILNS1_17partition_subalgoE0EiNS0_10empty_typeEbEEZZNS1_14partition_implILS5_0ELb0ES3_jN6thrust23THRUST_200600_302600_NS6detail15normal_iteratorINSA_10device_ptrIiEEEEPS6_SG_NS0_5tupleIJSF_NSA_16discard_iteratorINSA_11use_defaultEEEEEENSH_IJSG_SG_EEES6_PlJ7is_evenIiEEEE10hipError_tPvRmT3_T4_T5_T6_T7_T9_mT8_P12ihipStream_tbDpT10_ENKUlT_T0_E_clISt17integral_constantIbLb1EES18_IbLb0EEEEDaS14_S15_EUlS14_E_NS1_11comp_targetILNS1_3genE3ELNS1_11target_archE908ELNS1_3gpuE7ELNS1_3repE0EEENS1_30default_config_static_selectorELNS0_4arch9wavefront6targetE1EEEvT1_: ; @_ZN7rocprim17ROCPRIM_400000_NS6detail17trampoline_kernelINS0_14default_configENS1_25partition_config_selectorILNS1_17partition_subalgoE0EiNS0_10empty_typeEbEEZZNS1_14partition_implILS5_0ELb0ES3_jN6thrust23THRUST_200600_302600_NS6detail15normal_iteratorINSA_10device_ptrIiEEEEPS6_SG_NS0_5tupleIJSF_NSA_16discard_iteratorINSA_11use_defaultEEEEEENSH_IJSG_SG_EEES6_PlJ7is_evenIiEEEE10hipError_tPvRmT3_T4_T5_T6_T7_T9_mT8_P12ihipStream_tbDpT10_ENKUlT_T0_E_clISt17integral_constantIbLb1EES18_IbLb0EEEEDaS14_S15_EUlS14_E_NS1_11comp_targetILNS1_3genE3ELNS1_11target_archE908ELNS1_3gpuE7ELNS1_3repE0EEENS1_30default_config_static_selectorELNS0_4arch9wavefront6targetE1EEEvT1_
; %bb.0:
	.section	.rodata,"a",@progbits
	.p2align	6, 0x0
	.amdhsa_kernel _ZN7rocprim17ROCPRIM_400000_NS6detail17trampoline_kernelINS0_14default_configENS1_25partition_config_selectorILNS1_17partition_subalgoE0EiNS0_10empty_typeEbEEZZNS1_14partition_implILS5_0ELb0ES3_jN6thrust23THRUST_200600_302600_NS6detail15normal_iteratorINSA_10device_ptrIiEEEEPS6_SG_NS0_5tupleIJSF_NSA_16discard_iteratorINSA_11use_defaultEEEEEENSH_IJSG_SG_EEES6_PlJ7is_evenIiEEEE10hipError_tPvRmT3_T4_T5_T6_T7_T9_mT8_P12ihipStream_tbDpT10_ENKUlT_T0_E_clISt17integral_constantIbLb1EES18_IbLb0EEEEDaS14_S15_EUlS14_E_NS1_11comp_targetILNS1_3genE3ELNS1_11target_archE908ELNS1_3gpuE7ELNS1_3repE0EEENS1_30default_config_static_selectorELNS0_4arch9wavefront6targetE1EEEvT1_
		.amdhsa_group_segment_fixed_size 0
		.amdhsa_private_segment_fixed_size 0
		.amdhsa_kernarg_size 128
		.amdhsa_user_sgpr_count 2
		.amdhsa_user_sgpr_dispatch_ptr 0
		.amdhsa_user_sgpr_queue_ptr 0
		.amdhsa_user_sgpr_kernarg_segment_ptr 1
		.amdhsa_user_sgpr_dispatch_id 0
		.amdhsa_user_sgpr_kernarg_preload_length 0
		.amdhsa_user_sgpr_kernarg_preload_offset 0
		.amdhsa_user_sgpr_private_segment_size 0
		.amdhsa_uses_dynamic_stack 0
		.amdhsa_enable_private_segment 0
		.amdhsa_system_sgpr_workgroup_id_x 1
		.amdhsa_system_sgpr_workgroup_id_y 0
		.amdhsa_system_sgpr_workgroup_id_z 0
		.amdhsa_system_sgpr_workgroup_info 0
		.amdhsa_system_vgpr_workitem_id 0
		.amdhsa_next_free_vgpr 1
		.amdhsa_next_free_sgpr 0
		.amdhsa_accum_offset 4
		.amdhsa_reserve_vcc 0
		.amdhsa_float_round_mode_32 0
		.amdhsa_float_round_mode_16_64 0
		.amdhsa_float_denorm_mode_32 3
		.amdhsa_float_denorm_mode_16_64 3
		.amdhsa_dx10_clamp 1
		.amdhsa_ieee_mode 1
		.amdhsa_fp16_overflow 0
		.amdhsa_tg_split 0
		.amdhsa_exception_fp_ieee_invalid_op 0
		.amdhsa_exception_fp_denorm_src 0
		.amdhsa_exception_fp_ieee_div_zero 0
		.amdhsa_exception_fp_ieee_overflow 0
		.amdhsa_exception_fp_ieee_underflow 0
		.amdhsa_exception_fp_ieee_inexact 0
		.amdhsa_exception_int_div_zero 0
	.end_amdhsa_kernel
	.section	.text._ZN7rocprim17ROCPRIM_400000_NS6detail17trampoline_kernelINS0_14default_configENS1_25partition_config_selectorILNS1_17partition_subalgoE0EiNS0_10empty_typeEbEEZZNS1_14partition_implILS5_0ELb0ES3_jN6thrust23THRUST_200600_302600_NS6detail15normal_iteratorINSA_10device_ptrIiEEEEPS6_SG_NS0_5tupleIJSF_NSA_16discard_iteratorINSA_11use_defaultEEEEEENSH_IJSG_SG_EEES6_PlJ7is_evenIiEEEE10hipError_tPvRmT3_T4_T5_T6_T7_T9_mT8_P12ihipStream_tbDpT10_ENKUlT_T0_E_clISt17integral_constantIbLb1EES18_IbLb0EEEEDaS14_S15_EUlS14_E_NS1_11comp_targetILNS1_3genE3ELNS1_11target_archE908ELNS1_3gpuE7ELNS1_3repE0EEENS1_30default_config_static_selectorELNS0_4arch9wavefront6targetE1EEEvT1_,"axG",@progbits,_ZN7rocprim17ROCPRIM_400000_NS6detail17trampoline_kernelINS0_14default_configENS1_25partition_config_selectorILNS1_17partition_subalgoE0EiNS0_10empty_typeEbEEZZNS1_14partition_implILS5_0ELb0ES3_jN6thrust23THRUST_200600_302600_NS6detail15normal_iteratorINSA_10device_ptrIiEEEEPS6_SG_NS0_5tupleIJSF_NSA_16discard_iteratorINSA_11use_defaultEEEEEENSH_IJSG_SG_EEES6_PlJ7is_evenIiEEEE10hipError_tPvRmT3_T4_T5_T6_T7_T9_mT8_P12ihipStream_tbDpT10_ENKUlT_T0_E_clISt17integral_constantIbLb1EES18_IbLb0EEEEDaS14_S15_EUlS14_E_NS1_11comp_targetILNS1_3genE3ELNS1_11target_archE908ELNS1_3gpuE7ELNS1_3repE0EEENS1_30default_config_static_selectorELNS0_4arch9wavefront6targetE1EEEvT1_,comdat
.Lfunc_end2734:
	.size	_ZN7rocprim17ROCPRIM_400000_NS6detail17trampoline_kernelINS0_14default_configENS1_25partition_config_selectorILNS1_17partition_subalgoE0EiNS0_10empty_typeEbEEZZNS1_14partition_implILS5_0ELb0ES3_jN6thrust23THRUST_200600_302600_NS6detail15normal_iteratorINSA_10device_ptrIiEEEEPS6_SG_NS0_5tupleIJSF_NSA_16discard_iteratorINSA_11use_defaultEEEEEENSH_IJSG_SG_EEES6_PlJ7is_evenIiEEEE10hipError_tPvRmT3_T4_T5_T6_T7_T9_mT8_P12ihipStream_tbDpT10_ENKUlT_T0_E_clISt17integral_constantIbLb1EES18_IbLb0EEEEDaS14_S15_EUlS14_E_NS1_11comp_targetILNS1_3genE3ELNS1_11target_archE908ELNS1_3gpuE7ELNS1_3repE0EEENS1_30default_config_static_selectorELNS0_4arch9wavefront6targetE1EEEvT1_, .Lfunc_end2734-_ZN7rocprim17ROCPRIM_400000_NS6detail17trampoline_kernelINS0_14default_configENS1_25partition_config_selectorILNS1_17partition_subalgoE0EiNS0_10empty_typeEbEEZZNS1_14partition_implILS5_0ELb0ES3_jN6thrust23THRUST_200600_302600_NS6detail15normal_iteratorINSA_10device_ptrIiEEEEPS6_SG_NS0_5tupleIJSF_NSA_16discard_iteratorINSA_11use_defaultEEEEEENSH_IJSG_SG_EEES6_PlJ7is_evenIiEEEE10hipError_tPvRmT3_T4_T5_T6_T7_T9_mT8_P12ihipStream_tbDpT10_ENKUlT_T0_E_clISt17integral_constantIbLb1EES18_IbLb0EEEEDaS14_S15_EUlS14_E_NS1_11comp_targetILNS1_3genE3ELNS1_11target_archE908ELNS1_3gpuE7ELNS1_3repE0EEENS1_30default_config_static_selectorELNS0_4arch9wavefront6targetE1EEEvT1_
                                        ; -- End function
	.section	.AMDGPU.csdata,"",@progbits
; Kernel info:
; codeLenInByte = 0
; NumSgprs: 6
; NumVgprs: 0
; NumAgprs: 0
; TotalNumVgprs: 0
; ScratchSize: 0
; MemoryBound: 0
; FloatMode: 240
; IeeeMode: 1
; LDSByteSize: 0 bytes/workgroup (compile time only)
; SGPRBlocks: 0
; VGPRBlocks: 0
; NumSGPRsForWavesPerEU: 6
; NumVGPRsForWavesPerEU: 1
; AccumOffset: 4
; Occupancy: 8
; WaveLimiterHint : 0
; COMPUTE_PGM_RSRC2:SCRATCH_EN: 0
; COMPUTE_PGM_RSRC2:USER_SGPR: 2
; COMPUTE_PGM_RSRC2:TRAP_HANDLER: 0
; COMPUTE_PGM_RSRC2:TGID_X_EN: 1
; COMPUTE_PGM_RSRC2:TGID_Y_EN: 0
; COMPUTE_PGM_RSRC2:TGID_Z_EN: 0
; COMPUTE_PGM_RSRC2:TIDIG_COMP_CNT: 0
; COMPUTE_PGM_RSRC3_GFX90A:ACCUM_OFFSET: 0
; COMPUTE_PGM_RSRC3_GFX90A:TG_SPLIT: 0
	.section	.text._ZN7rocprim17ROCPRIM_400000_NS6detail17trampoline_kernelINS0_14default_configENS1_25partition_config_selectorILNS1_17partition_subalgoE0EiNS0_10empty_typeEbEEZZNS1_14partition_implILS5_0ELb0ES3_jN6thrust23THRUST_200600_302600_NS6detail15normal_iteratorINSA_10device_ptrIiEEEEPS6_SG_NS0_5tupleIJSF_NSA_16discard_iteratorINSA_11use_defaultEEEEEENSH_IJSG_SG_EEES6_PlJ7is_evenIiEEEE10hipError_tPvRmT3_T4_T5_T6_T7_T9_mT8_P12ihipStream_tbDpT10_ENKUlT_T0_E_clISt17integral_constantIbLb1EES18_IbLb0EEEEDaS14_S15_EUlS14_E_NS1_11comp_targetILNS1_3genE2ELNS1_11target_archE906ELNS1_3gpuE6ELNS1_3repE0EEENS1_30default_config_static_selectorELNS0_4arch9wavefront6targetE1EEEvT1_,"axG",@progbits,_ZN7rocprim17ROCPRIM_400000_NS6detail17trampoline_kernelINS0_14default_configENS1_25partition_config_selectorILNS1_17partition_subalgoE0EiNS0_10empty_typeEbEEZZNS1_14partition_implILS5_0ELb0ES3_jN6thrust23THRUST_200600_302600_NS6detail15normal_iteratorINSA_10device_ptrIiEEEEPS6_SG_NS0_5tupleIJSF_NSA_16discard_iteratorINSA_11use_defaultEEEEEENSH_IJSG_SG_EEES6_PlJ7is_evenIiEEEE10hipError_tPvRmT3_T4_T5_T6_T7_T9_mT8_P12ihipStream_tbDpT10_ENKUlT_T0_E_clISt17integral_constantIbLb1EES18_IbLb0EEEEDaS14_S15_EUlS14_E_NS1_11comp_targetILNS1_3genE2ELNS1_11target_archE906ELNS1_3gpuE6ELNS1_3repE0EEENS1_30default_config_static_selectorELNS0_4arch9wavefront6targetE1EEEvT1_,comdat
	.protected	_ZN7rocprim17ROCPRIM_400000_NS6detail17trampoline_kernelINS0_14default_configENS1_25partition_config_selectorILNS1_17partition_subalgoE0EiNS0_10empty_typeEbEEZZNS1_14partition_implILS5_0ELb0ES3_jN6thrust23THRUST_200600_302600_NS6detail15normal_iteratorINSA_10device_ptrIiEEEEPS6_SG_NS0_5tupleIJSF_NSA_16discard_iteratorINSA_11use_defaultEEEEEENSH_IJSG_SG_EEES6_PlJ7is_evenIiEEEE10hipError_tPvRmT3_T4_T5_T6_T7_T9_mT8_P12ihipStream_tbDpT10_ENKUlT_T0_E_clISt17integral_constantIbLb1EES18_IbLb0EEEEDaS14_S15_EUlS14_E_NS1_11comp_targetILNS1_3genE2ELNS1_11target_archE906ELNS1_3gpuE6ELNS1_3repE0EEENS1_30default_config_static_selectorELNS0_4arch9wavefront6targetE1EEEvT1_ ; -- Begin function _ZN7rocprim17ROCPRIM_400000_NS6detail17trampoline_kernelINS0_14default_configENS1_25partition_config_selectorILNS1_17partition_subalgoE0EiNS0_10empty_typeEbEEZZNS1_14partition_implILS5_0ELb0ES3_jN6thrust23THRUST_200600_302600_NS6detail15normal_iteratorINSA_10device_ptrIiEEEEPS6_SG_NS0_5tupleIJSF_NSA_16discard_iteratorINSA_11use_defaultEEEEEENSH_IJSG_SG_EEES6_PlJ7is_evenIiEEEE10hipError_tPvRmT3_T4_T5_T6_T7_T9_mT8_P12ihipStream_tbDpT10_ENKUlT_T0_E_clISt17integral_constantIbLb1EES18_IbLb0EEEEDaS14_S15_EUlS14_E_NS1_11comp_targetILNS1_3genE2ELNS1_11target_archE906ELNS1_3gpuE6ELNS1_3repE0EEENS1_30default_config_static_selectorELNS0_4arch9wavefront6targetE1EEEvT1_
	.globl	_ZN7rocprim17ROCPRIM_400000_NS6detail17trampoline_kernelINS0_14default_configENS1_25partition_config_selectorILNS1_17partition_subalgoE0EiNS0_10empty_typeEbEEZZNS1_14partition_implILS5_0ELb0ES3_jN6thrust23THRUST_200600_302600_NS6detail15normal_iteratorINSA_10device_ptrIiEEEEPS6_SG_NS0_5tupleIJSF_NSA_16discard_iteratorINSA_11use_defaultEEEEEENSH_IJSG_SG_EEES6_PlJ7is_evenIiEEEE10hipError_tPvRmT3_T4_T5_T6_T7_T9_mT8_P12ihipStream_tbDpT10_ENKUlT_T0_E_clISt17integral_constantIbLb1EES18_IbLb0EEEEDaS14_S15_EUlS14_E_NS1_11comp_targetILNS1_3genE2ELNS1_11target_archE906ELNS1_3gpuE6ELNS1_3repE0EEENS1_30default_config_static_selectorELNS0_4arch9wavefront6targetE1EEEvT1_
	.p2align	8
	.type	_ZN7rocprim17ROCPRIM_400000_NS6detail17trampoline_kernelINS0_14default_configENS1_25partition_config_selectorILNS1_17partition_subalgoE0EiNS0_10empty_typeEbEEZZNS1_14partition_implILS5_0ELb0ES3_jN6thrust23THRUST_200600_302600_NS6detail15normal_iteratorINSA_10device_ptrIiEEEEPS6_SG_NS0_5tupleIJSF_NSA_16discard_iteratorINSA_11use_defaultEEEEEENSH_IJSG_SG_EEES6_PlJ7is_evenIiEEEE10hipError_tPvRmT3_T4_T5_T6_T7_T9_mT8_P12ihipStream_tbDpT10_ENKUlT_T0_E_clISt17integral_constantIbLb1EES18_IbLb0EEEEDaS14_S15_EUlS14_E_NS1_11comp_targetILNS1_3genE2ELNS1_11target_archE906ELNS1_3gpuE6ELNS1_3repE0EEENS1_30default_config_static_selectorELNS0_4arch9wavefront6targetE1EEEvT1_,@function
_ZN7rocprim17ROCPRIM_400000_NS6detail17trampoline_kernelINS0_14default_configENS1_25partition_config_selectorILNS1_17partition_subalgoE0EiNS0_10empty_typeEbEEZZNS1_14partition_implILS5_0ELb0ES3_jN6thrust23THRUST_200600_302600_NS6detail15normal_iteratorINSA_10device_ptrIiEEEEPS6_SG_NS0_5tupleIJSF_NSA_16discard_iteratorINSA_11use_defaultEEEEEENSH_IJSG_SG_EEES6_PlJ7is_evenIiEEEE10hipError_tPvRmT3_T4_T5_T6_T7_T9_mT8_P12ihipStream_tbDpT10_ENKUlT_T0_E_clISt17integral_constantIbLb1EES18_IbLb0EEEEDaS14_S15_EUlS14_E_NS1_11comp_targetILNS1_3genE2ELNS1_11target_archE906ELNS1_3gpuE6ELNS1_3repE0EEENS1_30default_config_static_selectorELNS0_4arch9wavefront6targetE1EEEvT1_: ; @_ZN7rocprim17ROCPRIM_400000_NS6detail17trampoline_kernelINS0_14default_configENS1_25partition_config_selectorILNS1_17partition_subalgoE0EiNS0_10empty_typeEbEEZZNS1_14partition_implILS5_0ELb0ES3_jN6thrust23THRUST_200600_302600_NS6detail15normal_iteratorINSA_10device_ptrIiEEEEPS6_SG_NS0_5tupleIJSF_NSA_16discard_iteratorINSA_11use_defaultEEEEEENSH_IJSG_SG_EEES6_PlJ7is_evenIiEEEE10hipError_tPvRmT3_T4_T5_T6_T7_T9_mT8_P12ihipStream_tbDpT10_ENKUlT_T0_E_clISt17integral_constantIbLb1EES18_IbLb0EEEEDaS14_S15_EUlS14_E_NS1_11comp_targetILNS1_3genE2ELNS1_11target_archE906ELNS1_3gpuE6ELNS1_3repE0EEENS1_30default_config_static_selectorELNS0_4arch9wavefront6targetE1EEEvT1_
; %bb.0:
	.section	.rodata,"a",@progbits
	.p2align	6, 0x0
	.amdhsa_kernel _ZN7rocprim17ROCPRIM_400000_NS6detail17trampoline_kernelINS0_14default_configENS1_25partition_config_selectorILNS1_17partition_subalgoE0EiNS0_10empty_typeEbEEZZNS1_14partition_implILS5_0ELb0ES3_jN6thrust23THRUST_200600_302600_NS6detail15normal_iteratorINSA_10device_ptrIiEEEEPS6_SG_NS0_5tupleIJSF_NSA_16discard_iteratorINSA_11use_defaultEEEEEENSH_IJSG_SG_EEES6_PlJ7is_evenIiEEEE10hipError_tPvRmT3_T4_T5_T6_T7_T9_mT8_P12ihipStream_tbDpT10_ENKUlT_T0_E_clISt17integral_constantIbLb1EES18_IbLb0EEEEDaS14_S15_EUlS14_E_NS1_11comp_targetILNS1_3genE2ELNS1_11target_archE906ELNS1_3gpuE6ELNS1_3repE0EEENS1_30default_config_static_selectorELNS0_4arch9wavefront6targetE1EEEvT1_
		.amdhsa_group_segment_fixed_size 0
		.amdhsa_private_segment_fixed_size 0
		.amdhsa_kernarg_size 128
		.amdhsa_user_sgpr_count 2
		.amdhsa_user_sgpr_dispatch_ptr 0
		.amdhsa_user_sgpr_queue_ptr 0
		.amdhsa_user_sgpr_kernarg_segment_ptr 1
		.amdhsa_user_sgpr_dispatch_id 0
		.amdhsa_user_sgpr_kernarg_preload_length 0
		.amdhsa_user_sgpr_kernarg_preload_offset 0
		.amdhsa_user_sgpr_private_segment_size 0
		.amdhsa_uses_dynamic_stack 0
		.amdhsa_enable_private_segment 0
		.amdhsa_system_sgpr_workgroup_id_x 1
		.amdhsa_system_sgpr_workgroup_id_y 0
		.amdhsa_system_sgpr_workgroup_id_z 0
		.amdhsa_system_sgpr_workgroup_info 0
		.amdhsa_system_vgpr_workitem_id 0
		.amdhsa_next_free_vgpr 1
		.amdhsa_next_free_sgpr 0
		.amdhsa_accum_offset 4
		.amdhsa_reserve_vcc 0
		.amdhsa_float_round_mode_32 0
		.amdhsa_float_round_mode_16_64 0
		.amdhsa_float_denorm_mode_32 3
		.amdhsa_float_denorm_mode_16_64 3
		.amdhsa_dx10_clamp 1
		.amdhsa_ieee_mode 1
		.amdhsa_fp16_overflow 0
		.amdhsa_tg_split 0
		.amdhsa_exception_fp_ieee_invalid_op 0
		.amdhsa_exception_fp_denorm_src 0
		.amdhsa_exception_fp_ieee_div_zero 0
		.amdhsa_exception_fp_ieee_overflow 0
		.amdhsa_exception_fp_ieee_underflow 0
		.amdhsa_exception_fp_ieee_inexact 0
		.amdhsa_exception_int_div_zero 0
	.end_amdhsa_kernel
	.section	.text._ZN7rocprim17ROCPRIM_400000_NS6detail17trampoline_kernelINS0_14default_configENS1_25partition_config_selectorILNS1_17partition_subalgoE0EiNS0_10empty_typeEbEEZZNS1_14partition_implILS5_0ELb0ES3_jN6thrust23THRUST_200600_302600_NS6detail15normal_iteratorINSA_10device_ptrIiEEEEPS6_SG_NS0_5tupleIJSF_NSA_16discard_iteratorINSA_11use_defaultEEEEEENSH_IJSG_SG_EEES6_PlJ7is_evenIiEEEE10hipError_tPvRmT3_T4_T5_T6_T7_T9_mT8_P12ihipStream_tbDpT10_ENKUlT_T0_E_clISt17integral_constantIbLb1EES18_IbLb0EEEEDaS14_S15_EUlS14_E_NS1_11comp_targetILNS1_3genE2ELNS1_11target_archE906ELNS1_3gpuE6ELNS1_3repE0EEENS1_30default_config_static_selectorELNS0_4arch9wavefront6targetE1EEEvT1_,"axG",@progbits,_ZN7rocprim17ROCPRIM_400000_NS6detail17trampoline_kernelINS0_14default_configENS1_25partition_config_selectorILNS1_17partition_subalgoE0EiNS0_10empty_typeEbEEZZNS1_14partition_implILS5_0ELb0ES3_jN6thrust23THRUST_200600_302600_NS6detail15normal_iteratorINSA_10device_ptrIiEEEEPS6_SG_NS0_5tupleIJSF_NSA_16discard_iteratorINSA_11use_defaultEEEEEENSH_IJSG_SG_EEES6_PlJ7is_evenIiEEEE10hipError_tPvRmT3_T4_T5_T6_T7_T9_mT8_P12ihipStream_tbDpT10_ENKUlT_T0_E_clISt17integral_constantIbLb1EES18_IbLb0EEEEDaS14_S15_EUlS14_E_NS1_11comp_targetILNS1_3genE2ELNS1_11target_archE906ELNS1_3gpuE6ELNS1_3repE0EEENS1_30default_config_static_selectorELNS0_4arch9wavefront6targetE1EEEvT1_,comdat
.Lfunc_end2735:
	.size	_ZN7rocprim17ROCPRIM_400000_NS6detail17trampoline_kernelINS0_14default_configENS1_25partition_config_selectorILNS1_17partition_subalgoE0EiNS0_10empty_typeEbEEZZNS1_14partition_implILS5_0ELb0ES3_jN6thrust23THRUST_200600_302600_NS6detail15normal_iteratorINSA_10device_ptrIiEEEEPS6_SG_NS0_5tupleIJSF_NSA_16discard_iteratorINSA_11use_defaultEEEEEENSH_IJSG_SG_EEES6_PlJ7is_evenIiEEEE10hipError_tPvRmT3_T4_T5_T6_T7_T9_mT8_P12ihipStream_tbDpT10_ENKUlT_T0_E_clISt17integral_constantIbLb1EES18_IbLb0EEEEDaS14_S15_EUlS14_E_NS1_11comp_targetILNS1_3genE2ELNS1_11target_archE906ELNS1_3gpuE6ELNS1_3repE0EEENS1_30default_config_static_selectorELNS0_4arch9wavefront6targetE1EEEvT1_, .Lfunc_end2735-_ZN7rocprim17ROCPRIM_400000_NS6detail17trampoline_kernelINS0_14default_configENS1_25partition_config_selectorILNS1_17partition_subalgoE0EiNS0_10empty_typeEbEEZZNS1_14partition_implILS5_0ELb0ES3_jN6thrust23THRUST_200600_302600_NS6detail15normal_iteratorINSA_10device_ptrIiEEEEPS6_SG_NS0_5tupleIJSF_NSA_16discard_iteratorINSA_11use_defaultEEEEEENSH_IJSG_SG_EEES6_PlJ7is_evenIiEEEE10hipError_tPvRmT3_T4_T5_T6_T7_T9_mT8_P12ihipStream_tbDpT10_ENKUlT_T0_E_clISt17integral_constantIbLb1EES18_IbLb0EEEEDaS14_S15_EUlS14_E_NS1_11comp_targetILNS1_3genE2ELNS1_11target_archE906ELNS1_3gpuE6ELNS1_3repE0EEENS1_30default_config_static_selectorELNS0_4arch9wavefront6targetE1EEEvT1_
                                        ; -- End function
	.section	.AMDGPU.csdata,"",@progbits
; Kernel info:
; codeLenInByte = 0
; NumSgprs: 6
; NumVgprs: 0
; NumAgprs: 0
; TotalNumVgprs: 0
; ScratchSize: 0
; MemoryBound: 0
; FloatMode: 240
; IeeeMode: 1
; LDSByteSize: 0 bytes/workgroup (compile time only)
; SGPRBlocks: 0
; VGPRBlocks: 0
; NumSGPRsForWavesPerEU: 6
; NumVGPRsForWavesPerEU: 1
; AccumOffset: 4
; Occupancy: 8
; WaveLimiterHint : 0
; COMPUTE_PGM_RSRC2:SCRATCH_EN: 0
; COMPUTE_PGM_RSRC2:USER_SGPR: 2
; COMPUTE_PGM_RSRC2:TRAP_HANDLER: 0
; COMPUTE_PGM_RSRC2:TGID_X_EN: 1
; COMPUTE_PGM_RSRC2:TGID_Y_EN: 0
; COMPUTE_PGM_RSRC2:TGID_Z_EN: 0
; COMPUTE_PGM_RSRC2:TIDIG_COMP_CNT: 0
; COMPUTE_PGM_RSRC3_GFX90A:ACCUM_OFFSET: 0
; COMPUTE_PGM_RSRC3_GFX90A:TG_SPLIT: 0
	.section	.text._ZN7rocprim17ROCPRIM_400000_NS6detail17trampoline_kernelINS0_14default_configENS1_25partition_config_selectorILNS1_17partition_subalgoE0EiNS0_10empty_typeEbEEZZNS1_14partition_implILS5_0ELb0ES3_jN6thrust23THRUST_200600_302600_NS6detail15normal_iteratorINSA_10device_ptrIiEEEEPS6_SG_NS0_5tupleIJSF_NSA_16discard_iteratorINSA_11use_defaultEEEEEENSH_IJSG_SG_EEES6_PlJ7is_evenIiEEEE10hipError_tPvRmT3_T4_T5_T6_T7_T9_mT8_P12ihipStream_tbDpT10_ENKUlT_T0_E_clISt17integral_constantIbLb1EES18_IbLb0EEEEDaS14_S15_EUlS14_E_NS1_11comp_targetILNS1_3genE10ELNS1_11target_archE1200ELNS1_3gpuE4ELNS1_3repE0EEENS1_30default_config_static_selectorELNS0_4arch9wavefront6targetE1EEEvT1_,"axG",@progbits,_ZN7rocprim17ROCPRIM_400000_NS6detail17trampoline_kernelINS0_14default_configENS1_25partition_config_selectorILNS1_17partition_subalgoE0EiNS0_10empty_typeEbEEZZNS1_14partition_implILS5_0ELb0ES3_jN6thrust23THRUST_200600_302600_NS6detail15normal_iteratorINSA_10device_ptrIiEEEEPS6_SG_NS0_5tupleIJSF_NSA_16discard_iteratorINSA_11use_defaultEEEEEENSH_IJSG_SG_EEES6_PlJ7is_evenIiEEEE10hipError_tPvRmT3_T4_T5_T6_T7_T9_mT8_P12ihipStream_tbDpT10_ENKUlT_T0_E_clISt17integral_constantIbLb1EES18_IbLb0EEEEDaS14_S15_EUlS14_E_NS1_11comp_targetILNS1_3genE10ELNS1_11target_archE1200ELNS1_3gpuE4ELNS1_3repE0EEENS1_30default_config_static_selectorELNS0_4arch9wavefront6targetE1EEEvT1_,comdat
	.protected	_ZN7rocprim17ROCPRIM_400000_NS6detail17trampoline_kernelINS0_14default_configENS1_25partition_config_selectorILNS1_17partition_subalgoE0EiNS0_10empty_typeEbEEZZNS1_14partition_implILS5_0ELb0ES3_jN6thrust23THRUST_200600_302600_NS6detail15normal_iteratorINSA_10device_ptrIiEEEEPS6_SG_NS0_5tupleIJSF_NSA_16discard_iteratorINSA_11use_defaultEEEEEENSH_IJSG_SG_EEES6_PlJ7is_evenIiEEEE10hipError_tPvRmT3_T4_T5_T6_T7_T9_mT8_P12ihipStream_tbDpT10_ENKUlT_T0_E_clISt17integral_constantIbLb1EES18_IbLb0EEEEDaS14_S15_EUlS14_E_NS1_11comp_targetILNS1_3genE10ELNS1_11target_archE1200ELNS1_3gpuE4ELNS1_3repE0EEENS1_30default_config_static_selectorELNS0_4arch9wavefront6targetE1EEEvT1_ ; -- Begin function _ZN7rocprim17ROCPRIM_400000_NS6detail17trampoline_kernelINS0_14default_configENS1_25partition_config_selectorILNS1_17partition_subalgoE0EiNS0_10empty_typeEbEEZZNS1_14partition_implILS5_0ELb0ES3_jN6thrust23THRUST_200600_302600_NS6detail15normal_iteratorINSA_10device_ptrIiEEEEPS6_SG_NS0_5tupleIJSF_NSA_16discard_iteratorINSA_11use_defaultEEEEEENSH_IJSG_SG_EEES6_PlJ7is_evenIiEEEE10hipError_tPvRmT3_T4_T5_T6_T7_T9_mT8_P12ihipStream_tbDpT10_ENKUlT_T0_E_clISt17integral_constantIbLb1EES18_IbLb0EEEEDaS14_S15_EUlS14_E_NS1_11comp_targetILNS1_3genE10ELNS1_11target_archE1200ELNS1_3gpuE4ELNS1_3repE0EEENS1_30default_config_static_selectorELNS0_4arch9wavefront6targetE1EEEvT1_
	.globl	_ZN7rocprim17ROCPRIM_400000_NS6detail17trampoline_kernelINS0_14default_configENS1_25partition_config_selectorILNS1_17partition_subalgoE0EiNS0_10empty_typeEbEEZZNS1_14partition_implILS5_0ELb0ES3_jN6thrust23THRUST_200600_302600_NS6detail15normal_iteratorINSA_10device_ptrIiEEEEPS6_SG_NS0_5tupleIJSF_NSA_16discard_iteratorINSA_11use_defaultEEEEEENSH_IJSG_SG_EEES6_PlJ7is_evenIiEEEE10hipError_tPvRmT3_T4_T5_T6_T7_T9_mT8_P12ihipStream_tbDpT10_ENKUlT_T0_E_clISt17integral_constantIbLb1EES18_IbLb0EEEEDaS14_S15_EUlS14_E_NS1_11comp_targetILNS1_3genE10ELNS1_11target_archE1200ELNS1_3gpuE4ELNS1_3repE0EEENS1_30default_config_static_selectorELNS0_4arch9wavefront6targetE1EEEvT1_
	.p2align	8
	.type	_ZN7rocprim17ROCPRIM_400000_NS6detail17trampoline_kernelINS0_14default_configENS1_25partition_config_selectorILNS1_17partition_subalgoE0EiNS0_10empty_typeEbEEZZNS1_14partition_implILS5_0ELb0ES3_jN6thrust23THRUST_200600_302600_NS6detail15normal_iteratorINSA_10device_ptrIiEEEEPS6_SG_NS0_5tupleIJSF_NSA_16discard_iteratorINSA_11use_defaultEEEEEENSH_IJSG_SG_EEES6_PlJ7is_evenIiEEEE10hipError_tPvRmT3_T4_T5_T6_T7_T9_mT8_P12ihipStream_tbDpT10_ENKUlT_T0_E_clISt17integral_constantIbLb1EES18_IbLb0EEEEDaS14_S15_EUlS14_E_NS1_11comp_targetILNS1_3genE10ELNS1_11target_archE1200ELNS1_3gpuE4ELNS1_3repE0EEENS1_30default_config_static_selectorELNS0_4arch9wavefront6targetE1EEEvT1_,@function
_ZN7rocprim17ROCPRIM_400000_NS6detail17trampoline_kernelINS0_14default_configENS1_25partition_config_selectorILNS1_17partition_subalgoE0EiNS0_10empty_typeEbEEZZNS1_14partition_implILS5_0ELb0ES3_jN6thrust23THRUST_200600_302600_NS6detail15normal_iteratorINSA_10device_ptrIiEEEEPS6_SG_NS0_5tupleIJSF_NSA_16discard_iteratorINSA_11use_defaultEEEEEENSH_IJSG_SG_EEES6_PlJ7is_evenIiEEEE10hipError_tPvRmT3_T4_T5_T6_T7_T9_mT8_P12ihipStream_tbDpT10_ENKUlT_T0_E_clISt17integral_constantIbLb1EES18_IbLb0EEEEDaS14_S15_EUlS14_E_NS1_11comp_targetILNS1_3genE10ELNS1_11target_archE1200ELNS1_3gpuE4ELNS1_3repE0EEENS1_30default_config_static_selectorELNS0_4arch9wavefront6targetE1EEEvT1_: ; @_ZN7rocprim17ROCPRIM_400000_NS6detail17trampoline_kernelINS0_14default_configENS1_25partition_config_selectorILNS1_17partition_subalgoE0EiNS0_10empty_typeEbEEZZNS1_14partition_implILS5_0ELb0ES3_jN6thrust23THRUST_200600_302600_NS6detail15normal_iteratorINSA_10device_ptrIiEEEEPS6_SG_NS0_5tupleIJSF_NSA_16discard_iteratorINSA_11use_defaultEEEEEENSH_IJSG_SG_EEES6_PlJ7is_evenIiEEEE10hipError_tPvRmT3_T4_T5_T6_T7_T9_mT8_P12ihipStream_tbDpT10_ENKUlT_T0_E_clISt17integral_constantIbLb1EES18_IbLb0EEEEDaS14_S15_EUlS14_E_NS1_11comp_targetILNS1_3genE10ELNS1_11target_archE1200ELNS1_3gpuE4ELNS1_3repE0EEENS1_30default_config_static_selectorELNS0_4arch9wavefront6targetE1EEEvT1_
; %bb.0:
	.section	.rodata,"a",@progbits
	.p2align	6, 0x0
	.amdhsa_kernel _ZN7rocprim17ROCPRIM_400000_NS6detail17trampoline_kernelINS0_14default_configENS1_25partition_config_selectorILNS1_17partition_subalgoE0EiNS0_10empty_typeEbEEZZNS1_14partition_implILS5_0ELb0ES3_jN6thrust23THRUST_200600_302600_NS6detail15normal_iteratorINSA_10device_ptrIiEEEEPS6_SG_NS0_5tupleIJSF_NSA_16discard_iteratorINSA_11use_defaultEEEEEENSH_IJSG_SG_EEES6_PlJ7is_evenIiEEEE10hipError_tPvRmT3_T4_T5_T6_T7_T9_mT8_P12ihipStream_tbDpT10_ENKUlT_T0_E_clISt17integral_constantIbLb1EES18_IbLb0EEEEDaS14_S15_EUlS14_E_NS1_11comp_targetILNS1_3genE10ELNS1_11target_archE1200ELNS1_3gpuE4ELNS1_3repE0EEENS1_30default_config_static_selectorELNS0_4arch9wavefront6targetE1EEEvT1_
		.amdhsa_group_segment_fixed_size 0
		.amdhsa_private_segment_fixed_size 0
		.amdhsa_kernarg_size 128
		.amdhsa_user_sgpr_count 2
		.amdhsa_user_sgpr_dispatch_ptr 0
		.amdhsa_user_sgpr_queue_ptr 0
		.amdhsa_user_sgpr_kernarg_segment_ptr 1
		.amdhsa_user_sgpr_dispatch_id 0
		.amdhsa_user_sgpr_kernarg_preload_length 0
		.amdhsa_user_sgpr_kernarg_preload_offset 0
		.amdhsa_user_sgpr_private_segment_size 0
		.amdhsa_uses_dynamic_stack 0
		.amdhsa_enable_private_segment 0
		.amdhsa_system_sgpr_workgroup_id_x 1
		.amdhsa_system_sgpr_workgroup_id_y 0
		.amdhsa_system_sgpr_workgroup_id_z 0
		.amdhsa_system_sgpr_workgroup_info 0
		.amdhsa_system_vgpr_workitem_id 0
		.amdhsa_next_free_vgpr 1
		.amdhsa_next_free_sgpr 0
		.amdhsa_accum_offset 4
		.amdhsa_reserve_vcc 0
		.amdhsa_float_round_mode_32 0
		.amdhsa_float_round_mode_16_64 0
		.amdhsa_float_denorm_mode_32 3
		.amdhsa_float_denorm_mode_16_64 3
		.amdhsa_dx10_clamp 1
		.amdhsa_ieee_mode 1
		.amdhsa_fp16_overflow 0
		.amdhsa_tg_split 0
		.amdhsa_exception_fp_ieee_invalid_op 0
		.amdhsa_exception_fp_denorm_src 0
		.amdhsa_exception_fp_ieee_div_zero 0
		.amdhsa_exception_fp_ieee_overflow 0
		.amdhsa_exception_fp_ieee_underflow 0
		.amdhsa_exception_fp_ieee_inexact 0
		.amdhsa_exception_int_div_zero 0
	.end_amdhsa_kernel
	.section	.text._ZN7rocprim17ROCPRIM_400000_NS6detail17trampoline_kernelINS0_14default_configENS1_25partition_config_selectorILNS1_17partition_subalgoE0EiNS0_10empty_typeEbEEZZNS1_14partition_implILS5_0ELb0ES3_jN6thrust23THRUST_200600_302600_NS6detail15normal_iteratorINSA_10device_ptrIiEEEEPS6_SG_NS0_5tupleIJSF_NSA_16discard_iteratorINSA_11use_defaultEEEEEENSH_IJSG_SG_EEES6_PlJ7is_evenIiEEEE10hipError_tPvRmT3_T4_T5_T6_T7_T9_mT8_P12ihipStream_tbDpT10_ENKUlT_T0_E_clISt17integral_constantIbLb1EES18_IbLb0EEEEDaS14_S15_EUlS14_E_NS1_11comp_targetILNS1_3genE10ELNS1_11target_archE1200ELNS1_3gpuE4ELNS1_3repE0EEENS1_30default_config_static_selectorELNS0_4arch9wavefront6targetE1EEEvT1_,"axG",@progbits,_ZN7rocprim17ROCPRIM_400000_NS6detail17trampoline_kernelINS0_14default_configENS1_25partition_config_selectorILNS1_17partition_subalgoE0EiNS0_10empty_typeEbEEZZNS1_14partition_implILS5_0ELb0ES3_jN6thrust23THRUST_200600_302600_NS6detail15normal_iteratorINSA_10device_ptrIiEEEEPS6_SG_NS0_5tupleIJSF_NSA_16discard_iteratorINSA_11use_defaultEEEEEENSH_IJSG_SG_EEES6_PlJ7is_evenIiEEEE10hipError_tPvRmT3_T4_T5_T6_T7_T9_mT8_P12ihipStream_tbDpT10_ENKUlT_T0_E_clISt17integral_constantIbLb1EES18_IbLb0EEEEDaS14_S15_EUlS14_E_NS1_11comp_targetILNS1_3genE10ELNS1_11target_archE1200ELNS1_3gpuE4ELNS1_3repE0EEENS1_30default_config_static_selectorELNS0_4arch9wavefront6targetE1EEEvT1_,comdat
.Lfunc_end2736:
	.size	_ZN7rocprim17ROCPRIM_400000_NS6detail17trampoline_kernelINS0_14default_configENS1_25partition_config_selectorILNS1_17partition_subalgoE0EiNS0_10empty_typeEbEEZZNS1_14partition_implILS5_0ELb0ES3_jN6thrust23THRUST_200600_302600_NS6detail15normal_iteratorINSA_10device_ptrIiEEEEPS6_SG_NS0_5tupleIJSF_NSA_16discard_iteratorINSA_11use_defaultEEEEEENSH_IJSG_SG_EEES6_PlJ7is_evenIiEEEE10hipError_tPvRmT3_T4_T5_T6_T7_T9_mT8_P12ihipStream_tbDpT10_ENKUlT_T0_E_clISt17integral_constantIbLb1EES18_IbLb0EEEEDaS14_S15_EUlS14_E_NS1_11comp_targetILNS1_3genE10ELNS1_11target_archE1200ELNS1_3gpuE4ELNS1_3repE0EEENS1_30default_config_static_selectorELNS0_4arch9wavefront6targetE1EEEvT1_, .Lfunc_end2736-_ZN7rocprim17ROCPRIM_400000_NS6detail17trampoline_kernelINS0_14default_configENS1_25partition_config_selectorILNS1_17partition_subalgoE0EiNS0_10empty_typeEbEEZZNS1_14partition_implILS5_0ELb0ES3_jN6thrust23THRUST_200600_302600_NS6detail15normal_iteratorINSA_10device_ptrIiEEEEPS6_SG_NS0_5tupleIJSF_NSA_16discard_iteratorINSA_11use_defaultEEEEEENSH_IJSG_SG_EEES6_PlJ7is_evenIiEEEE10hipError_tPvRmT3_T4_T5_T6_T7_T9_mT8_P12ihipStream_tbDpT10_ENKUlT_T0_E_clISt17integral_constantIbLb1EES18_IbLb0EEEEDaS14_S15_EUlS14_E_NS1_11comp_targetILNS1_3genE10ELNS1_11target_archE1200ELNS1_3gpuE4ELNS1_3repE0EEENS1_30default_config_static_selectorELNS0_4arch9wavefront6targetE1EEEvT1_
                                        ; -- End function
	.section	.AMDGPU.csdata,"",@progbits
; Kernel info:
; codeLenInByte = 0
; NumSgprs: 6
; NumVgprs: 0
; NumAgprs: 0
; TotalNumVgprs: 0
; ScratchSize: 0
; MemoryBound: 0
; FloatMode: 240
; IeeeMode: 1
; LDSByteSize: 0 bytes/workgroup (compile time only)
; SGPRBlocks: 0
; VGPRBlocks: 0
; NumSGPRsForWavesPerEU: 6
; NumVGPRsForWavesPerEU: 1
; AccumOffset: 4
; Occupancy: 8
; WaveLimiterHint : 0
; COMPUTE_PGM_RSRC2:SCRATCH_EN: 0
; COMPUTE_PGM_RSRC2:USER_SGPR: 2
; COMPUTE_PGM_RSRC2:TRAP_HANDLER: 0
; COMPUTE_PGM_RSRC2:TGID_X_EN: 1
; COMPUTE_PGM_RSRC2:TGID_Y_EN: 0
; COMPUTE_PGM_RSRC2:TGID_Z_EN: 0
; COMPUTE_PGM_RSRC2:TIDIG_COMP_CNT: 0
; COMPUTE_PGM_RSRC3_GFX90A:ACCUM_OFFSET: 0
; COMPUTE_PGM_RSRC3_GFX90A:TG_SPLIT: 0
	.section	.text._ZN7rocprim17ROCPRIM_400000_NS6detail17trampoline_kernelINS0_14default_configENS1_25partition_config_selectorILNS1_17partition_subalgoE0EiNS0_10empty_typeEbEEZZNS1_14partition_implILS5_0ELb0ES3_jN6thrust23THRUST_200600_302600_NS6detail15normal_iteratorINSA_10device_ptrIiEEEEPS6_SG_NS0_5tupleIJSF_NSA_16discard_iteratorINSA_11use_defaultEEEEEENSH_IJSG_SG_EEES6_PlJ7is_evenIiEEEE10hipError_tPvRmT3_T4_T5_T6_T7_T9_mT8_P12ihipStream_tbDpT10_ENKUlT_T0_E_clISt17integral_constantIbLb1EES18_IbLb0EEEEDaS14_S15_EUlS14_E_NS1_11comp_targetILNS1_3genE9ELNS1_11target_archE1100ELNS1_3gpuE3ELNS1_3repE0EEENS1_30default_config_static_selectorELNS0_4arch9wavefront6targetE1EEEvT1_,"axG",@progbits,_ZN7rocprim17ROCPRIM_400000_NS6detail17trampoline_kernelINS0_14default_configENS1_25partition_config_selectorILNS1_17partition_subalgoE0EiNS0_10empty_typeEbEEZZNS1_14partition_implILS5_0ELb0ES3_jN6thrust23THRUST_200600_302600_NS6detail15normal_iteratorINSA_10device_ptrIiEEEEPS6_SG_NS0_5tupleIJSF_NSA_16discard_iteratorINSA_11use_defaultEEEEEENSH_IJSG_SG_EEES6_PlJ7is_evenIiEEEE10hipError_tPvRmT3_T4_T5_T6_T7_T9_mT8_P12ihipStream_tbDpT10_ENKUlT_T0_E_clISt17integral_constantIbLb1EES18_IbLb0EEEEDaS14_S15_EUlS14_E_NS1_11comp_targetILNS1_3genE9ELNS1_11target_archE1100ELNS1_3gpuE3ELNS1_3repE0EEENS1_30default_config_static_selectorELNS0_4arch9wavefront6targetE1EEEvT1_,comdat
	.protected	_ZN7rocprim17ROCPRIM_400000_NS6detail17trampoline_kernelINS0_14default_configENS1_25partition_config_selectorILNS1_17partition_subalgoE0EiNS0_10empty_typeEbEEZZNS1_14partition_implILS5_0ELb0ES3_jN6thrust23THRUST_200600_302600_NS6detail15normal_iteratorINSA_10device_ptrIiEEEEPS6_SG_NS0_5tupleIJSF_NSA_16discard_iteratorINSA_11use_defaultEEEEEENSH_IJSG_SG_EEES6_PlJ7is_evenIiEEEE10hipError_tPvRmT3_T4_T5_T6_T7_T9_mT8_P12ihipStream_tbDpT10_ENKUlT_T0_E_clISt17integral_constantIbLb1EES18_IbLb0EEEEDaS14_S15_EUlS14_E_NS1_11comp_targetILNS1_3genE9ELNS1_11target_archE1100ELNS1_3gpuE3ELNS1_3repE0EEENS1_30default_config_static_selectorELNS0_4arch9wavefront6targetE1EEEvT1_ ; -- Begin function _ZN7rocprim17ROCPRIM_400000_NS6detail17trampoline_kernelINS0_14default_configENS1_25partition_config_selectorILNS1_17partition_subalgoE0EiNS0_10empty_typeEbEEZZNS1_14partition_implILS5_0ELb0ES3_jN6thrust23THRUST_200600_302600_NS6detail15normal_iteratorINSA_10device_ptrIiEEEEPS6_SG_NS0_5tupleIJSF_NSA_16discard_iteratorINSA_11use_defaultEEEEEENSH_IJSG_SG_EEES6_PlJ7is_evenIiEEEE10hipError_tPvRmT3_T4_T5_T6_T7_T9_mT8_P12ihipStream_tbDpT10_ENKUlT_T0_E_clISt17integral_constantIbLb1EES18_IbLb0EEEEDaS14_S15_EUlS14_E_NS1_11comp_targetILNS1_3genE9ELNS1_11target_archE1100ELNS1_3gpuE3ELNS1_3repE0EEENS1_30default_config_static_selectorELNS0_4arch9wavefront6targetE1EEEvT1_
	.globl	_ZN7rocprim17ROCPRIM_400000_NS6detail17trampoline_kernelINS0_14default_configENS1_25partition_config_selectorILNS1_17partition_subalgoE0EiNS0_10empty_typeEbEEZZNS1_14partition_implILS5_0ELb0ES3_jN6thrust23THRUST_200600_302600_NS6detail15normal_iteratorINSA_10device_ptrIiEEEEPS6_SG_NS0_5tupleIJSF_NSA_16discard_iteratorINSA_11use_defaultEEEEEENSH_IJSG_SG_EEES6_PlJ7is_evenIiEEEE10hipError_tPvRmT3_T4_T5_T6_T7_T9_mT8_P12ihipStream_tbDpT10_ENKUlT_T0_E_clISt17integral_constantIbLb1EES18_IbLb0EEEEDaS14_S15_EUlS14_E_NS1_11comp_targetILNS1_3genE9ELNS1_11target_archE1100ELNS1_3gpuE3ELNS1_3repE0EEENS1_30default_config_static_selectorELNS0_4arch9wavefront6targetE1EEEvT1_
	.p2align	8
	.type	_ZN7rocprim17ROCPRIM_400000_NS6detail17trampoline_kernelINS0_14default_configENS1_25partition_config_selectorILNS1_17partition_subalgoE0EiNS0_10empty_typeEbEEZZNS1_14partition_implILS5_0ELb0ES3_jN6thrust23THRUST_200600_302600_NS6detail15normal_iteratorINSA_10device_ptrIiEEEEPS6_SG_NS0_5tupleIJSF_NSA_16discard_iteratorINSA_11use_defaultEEEEEENSH_IJSG_SG_EEES6_PlJ7is_evenIiEEEE10hipError_tPvRmT3_T4_T5_T6_T7_T9_mT8_P12ihipStream_tbDpT10_ENKUlT_T0_E_clISt17integral_constantIbLb1EES18_IbLb0EEEEDaS14_S15_EUlS14_E_NS1_11comp_targetILNS1_3genE9ELNS1_11target_archE1100ELNS1_3gpuE3ELNS1_3repE0EEENS1_30default_config_static_selectorELNS0_4arch9wavefront6targetE1EEEvT1_,@function
_ZN7rocprim17ROCPRIM_400000_NS6detail17trampoline_kernelINS0_14default_configENS1_25partition_config_selectorILNS1_17partition_subalgoE0EiNS0_10empty_typeEbEEZZNS1_14partition_implILS5_0ELb0ES3_jN6thrust23THRUST_200600_302600_NS6detail15normal_iteratorINSA_10device_ptrIiEEEEPS6_SG_NS0_5tupleIJSF_NSA_16discard_iteratorINSA_11use_defaultEEEEEENSH_IJSG_SG_EEES6_PlJ7is_evenIiEEEE10hipError_tPvRmT3_T4_T5_T6_T7_T9_mT8_P12ihipStream_tbDpT10_ENKUlT_T0_E_clISt17integral_constantIbLb1EES18_IbLb0EEEEDaS14_S15_EUlS14_E_NS1_11comp_targetILNS1_3genE9ELNS1_11target_archE1100ELNS1_3gpuE3ELNS1_3repE0EEENS1_30default_config_static_selectorELNS0_4arch9wavefront6targetE1EEEvT1_: ; @_ZN7rocprim17ROCPRIM_400000_NS6detail17trampoline_kernelINS0_14default_configENS1_25partition_config_selectorILNS1_17partition_subalgoE0EiNS0_10empty_typeEbEEZZNS1_14partition_implILS5_0ELb0ES3_jN6thrust23THRUST_200600_302600_NS6detail15normal_iteratorINSA_10device_ptrIiEEEEPS6_SG_NS0_5tupleIJSF_NSA_16discard_iteratorINSA_11use_defaultEEEEEENSH_IJSG_SG_EEES6_PlJ7is_evenIiEEEE10hipError_tPvRmT3_T4_T5_T6_T7_T9_mT8_P12ihipStream_tbDpT10_ENKUlT_T0_E_clISt17integral_constantIbLb1EES18_IbLb0EEEEDaS14_S15_EUlS14_E_NS1_11comp_targetILNS1_3genE9ELNS1_11target_archE1100ELNS1_3gpuE3ELNS1_3repE0EEENS1_30default_config_static_selectorELNS0_4arch9wavefront6targetE1EEEvT1_
; %bb.0:
	.section	.rodata,"a",@progbits
	.p2align	6, 0x0
	.amdhsa_kernel _ZN7rocprim17ROCPRIM_400000_NS6detail17trampoline_kernelINS0_14default_configENS1_25partition_config_selectorILNS1_17partition_subalgoE0EiNS0_10empty_typeEbEEZZNS1_14partition_implILS5_0ELb0ES3_jN6thrust23THRUST_200600_302600_NS6detail15normal_iteratorINSA_10device_ptrIiEEEEPS6_SG_NS0_5tupleIJSF_NSA_16discard_iteratorINSA_11use_defaultEEEEEENSH_IJSG_SG_EEES6_PlJ7is_evenIiEEEE10hipError_tPvRmT3_T4_T5_T6_T7_T9_mT8_P12ihipStream_tbDpT10_ENKUlT_T0_E_clISt17integral_constantIbLb1EES18_IbLb0EEEEDaS14_S15_EUlS14_E_NS1_11comp_targetILNS1_3genE9ELNS1_11target_archE1100ELNS1_3gpuE3ELNS1_3repE0EEENS1_30default_config_static_selectorELNS0_4arch9wavefront6targetE1EEEvT1_
		.amdhsa_group_segment_fixed_size 0
		.amdhsa_private_segment_fixed_size 0
		.amdhsa_kernarg_size 128
		.amdhsa_user_sgpr_count 2
		.amdhsa_user_sgpr_dispatch_ptr 0
		.amdhsa_user_sgpr_queue_ptr 0
		.amdhsa_user_sgpr_kernarg_segment_ptr 1
		.amdhsa_user_sgpr_dispatch_id 0
		.amdhsa_user_sgpr_kernarg_preload_length 0
		.amdhsa_user_sgpr_kernarg_preload_offset 0
		.amdhsa_user_sgpr_private_segment_size 0
		.amdhsa_uses_dynamic_stack 0
		.amdhsa_enable_private_segment 0
		.amdhsa_system_sgpr_workgroup_id_x 1
		.amdhsa_system_sgpr_workgroup_id_y 0
		.amdhsa_system_sgpr_workgroup_id_z 0
		.amdhsa_system_sgpr_workgroup_info 0
		.amdhsa_system_vgpr_workitem_id 0
		.amdhsa_next_free_vgpr 1
		.amdhsa_next_free_sgpr 0
		.amdhsa_accum_offset 4
		.amdhsa_reserve_vcc 0
		.amdhsa_float_round_mode_32 0
		.amdhsa_float_round_mode_16_64 0
		.amdhsa_float_denorm_mode_32 3
		.amdhsa_float_denorm_mode_16_64 3
		.amdhsa_dx10_clamp 1
		.amdhsa_ieee_mode 1
		.amdhsa_fp16_overflow 0
		.amdhsa_tg_split 0
		.amdhsa_exception_fp_ieee_invalid_op 0
		.amdhsa_exception_fp_denorm_src 0
		.amdhsa_exception_fp_ieee_div_zero 0
		.amdhsa_exception_fp_ieee_overflow 0
		.amdhsa_exception_fp_ieee_underflow 0
		.amdhsa_exception_fp_ieee_inexact 0
		.amdhsa_exception_int_div_zero 0
	.end_amdhsa_kernel
	.section	.text._ZN7rocprim17ROCPRIM_400000_NS6detail17trampoline_kernelINS0_14default_configENS1_25partition_config_selectorILNS1_17partition_subalgoE0EiNS0_10empty_typeEbEEZZNS1_14partition_implILS5_0ELb0ES3_jN6thrust23THRUST_200600_302600_NS6detail15normal_iteratorINSA_10device_ptrIiEEEEPS6_SG_NS0_5tupleIJSF_NSA_16discard_iteratorINSA_11use_defaultEEEEEENSH_IJSG_SG_EEES6_PlJ7is_evenIiEEEE10hipError_tPvRmT3_T4_T5_T6_T7_T9_mT8_P12ihipStream_tbDpT10_ENKUlT_T0_E_clISt17integral_constantIbLb1EES18_IbLb0EEEEDaS14_S15_EUlS14_E_NS1_11comp_targetILNS1_3genE9ELNS1_11target_archE1100ELNS1_3gpuE3ELNS1_3repE0EEENS1_30default_config_static_selectorELNS0_4arch9wavefront6targetE1EEEvT1_,"axG",@progbits,_ZN7rocprim17ROCPRIM_400000_NS6detail17trampoline_kernelINS0_14default_configENS1_25partition_config_selectorILNS1_17partition_subalgoE0EiNS0_10empty_typeEbEEZZNS1_14partition_implILS5_0ELb0ES3_jN6thrust23THRUST_200600_302600_NS6detail15normal_iteratorINSA_10device_ptrIiEEEEPS6_SG_NS0_5tupleIJSF_NSA_16discard_iteratorINSA_11use_defaultEEEEEENSH_IJSG_SG_EEES6_PlJ7is_evenIiEEEE10hipError_tPvRmT3_T4_T5_T6_T7_T9_mT8_P12ihipStream_tbDpT10_ENKUlT_T0_E_clISt17integral_constantIbLb1EES18_IbLb0EEEEDaS14_S15_EUlS14_E_NS1_11comp_targetILNS1_3genE9ELNS1_11target_archE1100ELNS1_3gpuE3ELNS1_3repE0EEENS1_30default_config_static_selectorELNS0_4arch9wavefront6targetE1EEEvT1_,comdat
.Lfunc_end2737:
	.size	_ZN7rocprim17ROCPRIM_400000_NS6detail17trampoline_kernelINS0_14default_configENS1_25partition_config_selectorILNS1_17partition_subalgoE0EiNS0_10empty_typeEbEEZZNS1_14partition_implILS5_0ELb0ES3_jN6thrust23THRUST_200600_302600_NS6detail15normal_iteratorINSA_10device_ptrIiEEEEPS6_SG_NS0_5tupleIJSF_NSA_16discard_iteratorINSA_11use_defaultEEEEEENSH_IJSG_SG_EEES6_PlJ7is_evenIiEEEE10hipError_tPvRmT3_T4_T5_T6_T7_T9_mT8_P12ihipStream_tbDpT10_ENKUlT_T0_E_clISt17integral_constantIbLb1EES18_IbLb0EEEEDaS14_S15_EUlS14_E_NS1_11comp_targetILNS1_3genE9ELNS1_11target_archE1100ELNS1_3gpuE3ELNS1_3repE0EEENS1_30default_config_static_selectorELNS0_4arch9wavefront6targetE1EEEvT1_, .Lfunc_end2737-_ZN7rocprim17ROCPRIM_400000_NS6detail17trampoline_kernelINS0_14default_configENS1_25partition_config_selectorILNS1_17partition_subalgoE0EiNS0_10empty_typeEbEEZZNS1_14partition_implILS5_0ELb0ES3_jN6thrust23THRUST_200600_302600_NS6detail15normal_iteratorINSA_10device_ptrIiEEEEPS6_SG_NS0_5tupleIJSF_NSA_16discard_iteratorINSA_11use_defaultEEEEEENSH_IJSG_SG_EEES6_PlJ7is_evenIiEEEE10hipError_tPvRmT3_T4_T5_T6_T7_T9_mT8_P12ihipStream_tbDpT10_ENKUlT_T0_E_clISt17integral_constantIbLb1EES18_IbLb0EEEEDaS14_S15_EUlS14_E_NS1_11comp_targetILNS1_3genE9ELNS1_11target_archE1100ELNS1_3gpuE3ELNS1_3repE0EEENS1_30default_config_static_selectorELNS0_4arch9wavefront6targetE1EEEvT1_
                                        ; -- End function
	.section	.AMDGPU.csdata,"",@progbits
; Kernel info:
; codeLenInByte = 0
; NumSgprs: 6
; NumVgprs: 0
; NumAgprs: 0
; TotalNumVgprs: 0
; ScratchSize: 0
; MemoryBound: 0
; FloatMode: 240
; IeeeMode: 1
; LDSByteSize: 0 bytes/workgroup (compile time only)
; SGPRBlocks: 0
; VGPRBlocks: 0
; NumSGPRsForWavesPerEU: 6
; NumVGPRsForWavesPerEU: 1
; AccumOffset: 4
; Occupancy: 8
; WaveLimiterHint : 0
; COMPUTE_PGM_RSRC2:SCRATCH_EN: 0
; COMPUTE_PGM_RSRC2:USER_SGPR: 2
; COMPUTE_PGM_RSRC2:TRAP_HANDLER: 0
; COMPUTE_PGM_RSRC2:TGID_X_EN: 1
; COMPUTE_PGM_RSRC2:TGID_Y_EN: 0
; COMPUTE_PGM_RSRC2:TGID_Z_EN: 0
; COMPUTE_PGM_RSRC2:TIDIG_COMP_CNT: 0
; COMPUTE_PGM_RSRC3_GFX90A:ACCUM_OFFSET: 0
; COMPUTE_PGM_RSRC3_GFX90A:TG_SPLIT: 0
	.section	.text._ZN7rocprim17ROCPRIM_400000_NS6detail17trampoline_kernelINS0_14default_configENS1_25partition_config_selectorILNS1_17partition_subalgoE0EiNS0_10empty_typeEbEEZZNS1_14partition_implILS5_0ELb0ES3_jN6thrust23THRUST_200600_302600_NS6detail15normal_iteratorINSA_10device_ptrIiEEEEPS6_SG_NS0_5tupleIJSF_NSA_16discard_iteratorINSA_11use_defaultEEEEEENSH_IJSG_SG_EEES6_PlJ7is_evenIiEEEE10hipError_tPvRmT3_T4_T5_T6_T7_T9_mT8_P12ihipStream_tbDpT10_ENKUlT_T0_E_clISt17integral_constantIbLb1EES18_IbLb0EEEEDaS14_S15_EUlS14_E_NS1_11comp_targetILNS1_3genE8ELNS1_11target_archE1030ELNS1_3gpuE2ELNS1_3repE0EEENS1_30default_config_static_selectorELNS0_4arch9wavefront6targetE1EEEvT1_,"axG",@progbits,_ZN7rocprim17ROCPRIM_400000_NS6detail17trampoline_kernelINS0_14default_configENS1_25partition_config_selectorILNS1_17partition_subalgoE0EiNS0_10empty_typeEbEEZZNS1_14partition_implILS5_0ELb0ES3_jN6thrust23THRUST_200600_302600_NS6detail15normal_iteratorINSA_10device_ptrIiEEEEPS6_SG_NS0_5tupleIJSF_NSA_16discard_iteratorINSA_11use_defaultEEEEEENSH_IJSG_SG_EEES6_PlJ7is_evenIiEEEE10hipError_tPvRmT3_T4_T5_T6_T7_T9_mT8_P12ihipStream_tbDpT10_ENKUlT_T0_E_clISt17integral_constantIbLb1EES18_IbLb0EEEEDaS14_S15_EUlS14_E_NS1_11comp_targetILNS1_3genE8ELNS1_11target_archE1030ELNS1_3gpuE2ELNS1_3repE0EEENS1_30default_config_static_selectorELNS0_4arch9wavefront6targetE1EEEvT1_,comdat
	.protected	_ZN7rocprim17ROCPRIM_400000_NS6detail17trampoline_kernelINS0_14default_configENS1_25partition_config_selectorILNS1_17partition_subalgoE0EiNS0_10empty_typeEbEEZZNS1_14partition_implILS5_0ELb0ES3_jN6thrust23THRUST_200600_302600_NS6detail15normal_iteratorINSA_10device_ptrIiEEEEPS6_SG_NS0_5tupleIJSF_NSA_16discard_iteratorINSA_11use_defaultEEEEEENSH_IJSG_SG_EEES6_PlJ7is_evenIiEEEE10hipError_tPvRmT3_T4_T5_T6_T7_T9_mT8_P12ihipStream_tbDpT10_ENKUlT_T0_E_clISt17integral_constantIbLb1EES18_IbLb0EEEEDaS14_S15_EUlS14_E_NS1_11comp_targetILNS1_3genE8ELNS1_11target_archE1030ELNS1_3gpuE2ELNS1_3repE0EEENS1_30default_config_static_selectorELNS0_4arch9wavefront6targetE1EEEvT1_ ; -- Begin function _ZN7rocprim17ROCPRIM_400000_NS6detail17trampoline_kernelINS0_14default_configENS1_25partition_config_selectorILNS1_17partition_subalgoE0EiNS0_10empty_typeEbEEZZNS1_14partition_implILS5_0ELb0ES3_jN6thrust23THRUST_200600_302600_NS6detail15normal_iteratorINSA_10device_ptrIiEEEEPS6_SG_NS0_5tupleIJSF_NSA_16discard_iteratorINSA_11use_defaultEEEEEENSH_IJSG_SG_EEES6_PlJ7is_evenIiEEEE10hipError_tPvRmT3_T4_T5_T6_T7_T9_mT8_P12ihipStream_tbDpT10_ENKUlT_T0_E_clISt17integral_constantIbLb1EES18_IbLb0EEEEDaS14_S15_EUlS14_E_NS1_11comp_targetILNS1_3genE8ELNS1_11target_archE1030ELNS1_3gpuE2ELNS1_3repE0EEENS1_30default_config_static_selectorELNS0_4arch9wavefront6targetE1EEEvT1_
	.globl	_ZN7rocprim17ROCPRIM_400000_NS6detail17trampoline_kernelINS0_14default_configENS1_25partition_config_selectorILNS1_17partition_subalgoE0EiNS0_10empty_typeEbEEZZNS1_14partition_implILS5_0ELb0ES3_jN6thrust23THRUST_200600_302600_NS6detail15normal_iteratorINSA_10device_ptrIiEEEEPS6_SG_NS0_5tupleIJSF_NSA_16discard_iteratorINSA_11use_defaultEEEEEENSH_IJSG_SG_EEES6_PlJ7is_evenIiEEEE10hipError_tPvRmT3_T4_T5_T6_T7_T9_mT8_P12ihipStream_tbDpT10_ENKUlT_T0_E_clISt17integral_constantIbLb1EES18_IbLb0EEEEDaS14_S15_EUlS14_E_NS1_11comp_targetILNS1_3genE8ELNS1_11target_archE1030ELNS1_3gpuE2ELNS1_3repE0EEENS1_30default_config_static_selectorELNS0_4arch9wavefront6targetE1EEEvT1_
	.p2align	8
	.type	_ZN7rocprim17ROCPRIM_400000_NS6detail17trampoline_kernelINS0_14default_configENS1_25partition_config_selectorILNS1_17partition_subalgoE0EiNS0_10empty_typeEbEEZZNS1_14partition_implILS5_0ELb0ES3_jN6thrust23THRUST_200600_302600_NS6detail15normal_iteratorINSA_10device_ptrIiEEEEPS6_SG_NS0_5tupleIJSF_NSA_16discard_iteratorINSA_11use_defaultEEEEEENSH_IJSG_SG_EEES6_PlJ7is_evenIiEEEE10hipError_tPvRmT3_T4_T5_T6_T7_T9_mT8_P12ihipStream_tbDpT10_ENKUlT_T0_E_clISt17integral_constantIbLb1EES18_IbLb0EEEEDaS14_S15_EUlS14_E_NS1_11comp_targetILNS1_3genE8ELNS1_11target_archE1030ELNS1_3gpuE2ELNS1_3repE0EEENS1_30default_config_static_selectorELNS0_4arch9wavefront6targetE1EEEvT1_,@function
_ZN7rocprim17ROCPRIM_400000_NS6detail17trampoline_kernelINS0_14default_configENS1_25partition_config_selectorILNS1_17partition_subalgoE0EiNS0_10empty_typeEbEEZZNS1_14partition_implILS5_0ELb0ES3_jN6thrust23THRUST_200600_302600_NS6detail15normal_iteratorINSA_10device_ptrIiEEEEPS6_SG_NS0_5tupleIJSF_NSA_16discard_iteratorINSA_11use_defaultEEEEEENSH_IJSG_SG_EEES6_PlJ7is_evenIiEEEE10hipError_tPvRmT3_T4_T5_T6_T7_T9_mT8_P12ihipStream_tbDpT10_ENKUlT_T0_E_clISt17integral_constantIbLb1EES18_IbLb0EEEEDaS14_S15_EUlS14_E_NS1_11comp_targetILNS1_3genE8ELNS1_11target_archE1030ELNS1_3gpuE2ELNS1_3repE0EEENS1_30default_config_static_selectorELNS0_4arch9wavefront6targetE1EEEvT1_: ; @_ZN7rocprim17ROCPRIM_400000_NS6detail17trampoline_kernelINS0_14default_configENS1_25partition_config_selectorILNS1_17partition_subalgoE0EiNS0_10empty_typeEbEEZZNS1_14partition_implILS5_0ELb0ES3_jN6thrust23THRUST_200600_302600_NS6detail15normal_iteratorINSA_10device_ptrIiEEEEPS6_SG_NS0_5tupleIJSF_NSA_16discard_iteratorINSA_11use_defaultEEEEEENSH_IJSG_SG_EEES6_PlJ7is_evenIiEEEE10hipError_tPvRmT3_T4_T5_T6_T7_T9_mT8_P12ihipStream_tbDpT10_ENKUlT_T0_E_clISt17integral_constantIbLb1EES18_IbLb0EEEEDaS14_S15_EUlS14_E_NS1_11comp_targetILNS1_3genE8ELNS1_11target_archE1030ELNS1_3gpuE2ELNS1_3repE0EEENS1_30default_config_static_selectorELNS0_4arch9wavefront6targetE1EEEvT1_
; %bb.0:
	.section	.rodata,"a",@progbits
	.p2align	6, 0x0
	.amdhsa_kernel _ZN7rocprim17ROCPRIM_400000_NS6detail17trampoline_kernelINS0_14default_configENS1_25partition_config_selectorILNS1_17partition_subalgoE0EiNS0_10empty_typeEbEEZZNS1_14partition_implILS5_0ELb0ES3_jN6thrust23THRUST_200600_302600_NS6detail15normal_iteratorINSA_10device_ptrIiEEEEPS6_SG_NS0_5tupleIJSF_NSA_16discard_iteratorINSA_11use_defaultEEEEEENSH_IJSG_SG_EEES6_PlJ7is_evenIiEEEE10hipError_tPvRmT3_T4_T5_T6_T7_T9_mT8_P12ihipStream_tbDpT10_ENKUlT_T0_E_clISt17integral_constantIbLb1EES18_IbLb0EEEEDaS14_S15_EUlS14_E_NS1_11comp_targetILNS1_3genE8ELNS1_11target_archE1030ELNS1_3gpuE2ELNS1_3repE0EEENS1_30default_config_static_selectorELNS0_4arch9wavefront6targetE1EEEvT1_
		.amdhsa_group_segment_fixed_size 0
		.amdhsa_private_segment_fixed_size 0
		.amdhsa_kernarg_size 128
		.amdhsa_user_sgpr_count 2
		.amdhsa_user_sgpr_dispatch_ptr 0
		.amdhsa_user_sgpr_queue_ptr 0
		.amdhsa_user_sgpr_kernarg_segment_ptr 1
		.amdhsa_user_sgpr_dispatch_id 0
		.amdhsa_user_sgpr_kernarg_preload_length 0
		.amdhsa_user_sgpr_kernarg_preload_offset 0
		.amdhsa_user_sgpr_private_segment_size 0
		.amdhsa_uses_dynamic_stack 0
		.amdhsa_enable_private_segment 0
		.amdhsa_system_sgpr_workgroup_id_x 1
		.amdhsa_system_sgpr_workgroup_id_y 0
		.amdhsa_system_sgpr_workgroup_id_z 0
		.amdhsa_system_sgpr_workgroup_info 0
		.amdhsa_system_vgpr_workitem_id 0
		.amdhsa_next_free_vgpr 1
		.amdhsa_next_free_sgpr 0
		.amdhsa_accum_offset 4
		.amdhsa_reserve_vcc 0
		.amdhsa_float_round_mode_32 0
		.amdhsa_float_round_mode_16_64 0
		.amdhsa_float_denorm_mode_32 3
		.amdhsa_float_denorm_mode_16_64 3
		.amdhsa_dx10_clamp 1
		.amdhsa_ieee_mode 1
		.amdhsa_fp16_overflow 0
		.amdhsa_tg_split 0
		.amdhsa_exception_fp_ieee_invalid_op 0
		.amdhsa_exception_fp_denorm_src 0
		.amdhsa_exception_fp_ieee_div_zero 0
		.amdhsa_exception_fp_ieee_overflow 0
		.amdhsa_exception_fp_ieee_underflow 0
		.amdhsa_exception_fp_ieee_inexact 0
		.amdhsa_exception_int_div_zero 0
	.end_amdhsa_kernel
	.section	.text._ZN7rocprim17ROCPRIM_400000_NS6detail17trampoline_kernelINS0_14default_configENS1_25partition_config_selectorILNS1_17partition_subalgoE0EiNS0_10empty_typeEbEEZZNS1_14partition_implILS5_0ELb0ES3_jN6thrust23THRUST_200600_302600_NS6detail15normal_iteratorINSA_10device_ptrIiEEEEPS6_SG_NS0_5tupleIJSF_NSA_16discard_iteratorINSA_11use_defaultEEEEEENSH_IJSG_SG_EEES6_PlJ7is_evenIiEEEE10hipError_tPvRmT3_T4_T5_T6_T7_T9_mT8_P12ihipStream_tbDpT10_ENKUlT_T0_E_clISt17integral_constantIbLb1EES18_IbLb0EEEEDaS14_S15_EUlS14_E_NS1_11comp_targetILNS1_3genE8ELNS1_11target_archE1030ELNS1_3gpuE2ELNS1_3repE0EEENS1_30default_config_static_selectorELNS0_4arch9wavefront6targetE1EEEvT1_,"axG",@progbits,_ZN7rocprim17ROCPRIM_400000_NS6detail17trampoline_kernelINS0_14default_configENS1_25partition_config_selectorILNS1_17partition_subalgoE0EiNS0_10empty_typeEbEEZZNS1_14partition_implILS5_0ELb0ES3_jN6thrust23THRUST_200600_302600_NS6detail15normal_iteratorINSA_10device_ptrIiEEEEPS6_SG_NS0_5tupleIJSF_NSA_16discard_iteratorINSA_11use_defaultEEEEEENSH_IJSG_SG_EEES6_PlJ7is_evenIiEEEE10hipError_tPvRmT3_T4_T5_T6_T7_T9_mT8_P12ihipStream_tbDpT10_ENKUlT_T0_E_clISt17integral_constantIbLb1EES18_IbLb0EEEEDaS14_S15_EUlS14_E_NS1_11comp_targetILNS1_3genE8ELNS1_11target_archE1030ELNS1_3gpuE2ELNS1_3repE0EEENS1_30default_config_static_selectorELNS0_4arch9wavefront6targetE1EEEvT1_,comdat
.Lfunc_end2738:
	.size	_ZN7rocprim17ROCPRIM_400000_NS6detail17trampoline_kernelINS0_14default_configENS1_25partition_config_selectorILNS1_17partition_subalgoE0EiNS0_10empty_typeEbEEZZNS1_14partition_implILS5_0ELb0ES3_jN6thrust23THRUST_200600_302600_NS6detail15normal_iteratorINSA_10device_ptrIiEEEEPS6_SG_NS0_5tupleIJSF_NSA_16discard_iteratorINSA_11use_defaultEEEEEENSH_IJSG_SG_EEES6_PlJ7is_evenIiEEEE10hipError_tPvRmT3_T4_T5_T6_T7_T9_mT8_P12ihipStream_tbDpT10_ENKUlT_T0_E_clISt17integral_constantIbLb1EES18_IbLb0EEEEDaS14_S15_EUlS14_E_NS1_11comp_targetILNS1_3genE8ELNS1_11target_archE1030ELNS1_3gpuE2ELNS1_3repE0EEENS1_30default_config_static_selectorELNS0_4arch9wavefront6targetE1EEEvT1_, .Lfunc_end2738-_ZN7rocprim17ROCPRIM_400000_NS6detail17trampoline_kernelINS0_14default_configENS1_25partition_config_selectorILNS1_17partition_subalgoE0EiNS0_10empty_typeEbEEZZNS1_14partition_implILS5_0ELb0ES3_jN6thrust23THRUST_200600_302600_NS6detail15normal_iteratorINSA_10device_ptrIiEEEEPS6_SG_NS0_5tupleIJSF_NSA_16discard_iteratorINSA_11use_defaultEEEEEENSH_IJSG_SG_EEES6_PlJ7is_evenIiEEEE10hipError_tPvRmT3_T4_T5_T6_T7_T9_mT8_P12ihipStream_tbDpT10_ENKUlT_T0_E_clISt17integral_constantIbLb1EES18_IbLb0EEEEDaS14_S15_EUlS14_E_NS1_11comp_targetILNS1_3genE8ELNS1_11target_archE1030ELNS1_3gpuE2ELNS1_3repE0EEENS1_30default_config_static_selectorELNS0_4arch9wavefront6targetE1EEEvT1_
                                        ; -- End function
	.section	.AMDGPU.csdata,"",@progbits
; Kernel info:
; codeLenInByte = 0
; NumSgprs: 6
; NumVgprs: 0
; NumAgprs: 0
; TotalNumVgprs: 0
; ScratchSize: 0
; MemoryBound: 0
; FloatMode: 240
; IeeeMode: 1
; LDSByteSize: 0 bytes/workgroup (compile time only)
; SGPRBlocks: 0
; VGPRBlocks: 0
; NumSGPRsForWavesPerEU: 6
; NumVGPRsForWavesPerEU: 1
; AccumOffset: 4
; Occupancy: 8
; WaveLimiterHint : 0
; COMPUTE_PGM_RSRC2:SCRATCH_EN: 0
; COMPUTE_PGM_RSRC2:USER_SGPR: 2
; COMPUTE_PGM_RSRC2:TRAP_HANDLER: 0
; COMPUTE_PGM_RSRC2:TGID_X_EN: 1
; COMPUTE_PGM_RSRC2:TGID_Y_EN: 0
; COMPUTE_PGM_RSRC2:TGID_Z_EN: 0
; COMPUTE_PGM_RSRC2:TIDIG_COMP_CNT: 0
; COMPUTE_PGM_RSRC3_GFX90A:ACCUM_OFFSET: 0
; COMPUTE_PGM_RSRC3_GFX90A:TG_SPLIT: 0
	.section	.text._ZN7rocprim17ROCPRIM_400000_NS6detail17trampoline_kernelINS0_14default_configENS1_25partition_config_selectorILNS1_17partition_subalgoE0EiNS0_10empty_typeEbEEZZNS1_14partition_implILS5_0ELb0ES3_jN6thrust23THRUST_200600_302600_NS6detail15normal_iteratorINSA_10device_ptrIiEEEEPS6_SG_NS0_5tupleIJSF_NSA_16discard_iteratorINSA_11use_defaultEEEEEENSH_IJSG_SG_EEES6_PlJ7is_evenIiEEEE10hipError_tPvRmT3_T4_T5_T6_T7_T9_mT8_P12ihipStream_tbDpT10_ENKUlT_T0_E_clISt17integral_constantIbLb0EES18_IbLb1EEEEDaS14_S15_EUlS14_E_NS1_11comp_targetILNS1_3genE0ELNS1_11target_archE4294967295ELNS1_3gpuE0ELNS1_3repE0EEENS1_30default_config_static_selectorELNS0_4arch9wavefront6targetE1EEEvT1_,"axG",@progbits,_ZN7rocprim17ROCPRIM_400000_NS6detail17trampoline_kernelINS0_14default_configENS1_25partition_config_selectorILNS1_17partition_subalgoE0EiNS0_10empty_typeEbEEZZNS1_14partition_implILS5_0ELb0ES3_jN6thrust23THRUST_200600_302600_NS6detail15normal_iteratorINSA_10device_ptrIiEEEEPS6_SG_NS0_5tupleIJSF_NSA_16discard_iteratorINSA_11use_defaultEEEEEENSH_IJSG_SG_EEES6_PlJ7is_evenIiEEEE10hipError_tPvRmT3_T4_T5_T6_T7_T9_mT8_P12ihipStream_tbDpT10_ENKUlT_T0_E_clISt17integral_constantIbLb0EES18_IbLb1EEEEDaS14_S15_EUlS14_E_NS1_11comp_targetILNS1_3genE0ELNS1_11target_archE4294967295ELNS1_3gpuE0ELNS1_3repE0EEENS1_30default_config_static_selectorELNS0_4arch9wavefront6targetE1EEEvT1_,comdat
	.protected	_ZN7rocprim17ROCPRIM_400000_NS6detail17trampoline_kernelINS0_14default_configENS1_25partition_config_selectorILNS1_17partition_subalgoE0EiNS0_10empty_typeEbEEZZNS1_14partition_implILS5_0ELb0ES3_jN6thrust23THRUST_200600_302600_NS6detail15normal_iteratorINSA_10device_ptrIiEEEEPS6_SG_NS0_5tupleIJSF_NSA_16discard_iteratorINSA_11use_defaultEEEEEENSH_IJSG_SG_EEES6_PlJ7is_evenIiEEEE10hipError_tPvRmT3_T4_T5_T6_T7_T9_mT8_P12ihipStream_tbDpT10_ENKUlT_T0_E_clISt17integral_constantIbLb0EES18_IbLb1EEEEDaS14_S15_EUlS14_E_NS1_11comp_targetILNS1_3genE0ELNS1_11target_archE4294967295ELNS1_3gpuE0ELNS1_3repE0EEENS1_30default_config_static_selectorELNS0_4arch9wavefront6targetE1EEEvT1_ ; -- Begin function _ZN7rocprim17ROCPRIM_400000_NS6detail17trampoline_kernelINS0_14default_configENS1_25partition_config_selectorILNS1_17partition_subalgoE0EiNS0_10empty_typeEbEEZZNS1_14partition_implILS5_0ELb0ES3_jN6thrust23THRUST_200600_302600_NS6detail15normal_iteratorINSA_10device_ptrIiEEEEPS6_SG_NS0_5tupleIJSF_NSA_16discard_iteratorINSA_11use_defaultEEEEEENSH_IJSG_SG_EEES6_PlJ7is_evenIiEEEE10hipError_tPvRmT3_T4_T5_T6_T7_T9_mT8_P12ihipStream_tbDpT10_ENKUlT_T0_E_clISt17integral_constantIbLb0EES18_IbLb1EEEEDaS14_S15_EUlS14_E_NS1_11comp_targetILNS1_3genE0ELNS1_11target_archE4294967295ELNS1_3gpuE0ELNS1_3repE0EEENS1_30default_config_static_selectorELNS0_4arch9wavefront6targetE1EEEvT1_
	.globl	_ZN7rocprim17ROCPRIM_400000_NS6detail17trampoline_kernelINS0_14default_configENS1_25partition_config_selectorILNS1_17partition_subalgoE0EiNS0_10empty_typeEbEEZZNS1_14partition_implILS5_0ELb0ES3_jN6thrust23THRUST_200600_302600_NS6detail15normal_iteratorINSA_10device_ptrIiEEEEPS6_SG_NS0_5tupleIJSF_NSA_16discard_iteratorINSA_11use_defaultEEEEEENSH_IJSG_SG_EEES6_PlJ7is_evenIiEEEE10hipError_tPvRmT3_T4_T5_T6_T7_T9_mT8_P12ihipStream_tbDpT10_ENKUlT_T0_E_clISt17integral_constantIbLb0EES18_IbLb1EEEEDaS14_S15_EUlS14_E_NS1_11comp_targetILNS1_3genE0ELNS1_11target_archE4294967295ELNS1_3gpuE0ELNS1_3repE0EEENS1_30default_config_static_selectorELNS0_4arch9wavefront6targetE1EEEvT1_
	.p2align	8
	.type	_ZN7rocprim17ROCPRIM_400000_NS6detail17trampoline_kernelINS0_14default_configENS1_25partition_config_selectorILNS1_17partition_subalgoE0EiNS0_10empty_typeEbEEZZNS1_14partition_implILS5_0ELb0ES3_jN6thrust23THRUST_200600_302600_NS6detail15normal_iteratorINSA_10device_ptrIiEEEEPS6_SG_NS0_5tupleIJSF_NSA_16discard_iteratorINSA_11use_defaultEEEEEENSH_IJSG_SG_EEES6_PlJ7is_evenIiEEEE10hipError_tPvRmT3_T4_T5_T6_T7_T9_mT8_P12ihipStream_tbDpT10_ENKUlT_T0_E_clISt17integral_constantIbLb0EES18_IbLb1EEEEDaS14_S15_EUlS14_E_NS1_11comp_targetILNS1_3genE0ELNS1_11target_archE4294967295ELNS1_3gpuE0ELNS1_3repE0EEENS1_30default_config_static_selectorELNS0_4arch9wavefront6targetE1EEEvT1_,@function
_ZN7rocprim17ROCPRIM_400000_NS6detail17trampoline_kernelINS0_14default_configENS1_25partition_config_selectorILNS1_17partition_subalgoE0EiNS0_10empty_typeEbEEZZNS1_14partition_implILS5_0ELb0ES3_jN6thrust23THRUST_200600_302600_NS6detail15normal_iteratorINSA_10device_ptrIiEEEEPS6_SG_NS0_5tupleIJSF_NSA_16discard_iteratorINSA_11use_defaultEEEEEENSH_IJSG_SG_EEES6_PlJ7is_evenIiEEEE10hipError_tPvRmT3_T4_T5_T6_T7_T9_mT8_P12ihipStream_tbDpT10_ENKUlT_T0_E_clISt17integral_constantIbLb0EES18_IbLb1EEEEDaS14_S15_EUlS14_E_NS1_11comp_targetILNS1_3genE0ELNS1_11target_archE4294967295ELNS1_3gpuE0ELNS1_3repE0EEENS1_30default_config_static_selectorELNS0_4arch9wavefront6targetE1EEEvT1_: ; @_ZN7rocprim17ROCPRIM_400000_NS6detail17trampoline_kernelINS0_14default_configENS1_25partition_config_selectorILNS1_17partition_subalgoE0EiNS0_10empty_typeEbEEZZNS1_14partition_implILS5_0ELb0ES3_jN6thrust23THRUST_200600_302600_NS6detail15normal_iteratorINSA_10device_ptrIiEEEEPS6_SG_NS0_5tupleIJSF_NSA_16discard_iteratorINSA_11use_defaultEEEEEENSH_IJSG_SG_EEES6_PlJ7is_evenIiEEEE10hipError_tPvRmT3_T4_T5_T6_T7_T9_mT8_P12ihipStream_tbDpT10_ENKUlT_T0_E_clISt17integral_constantIbLb0EES18_IbLb1EEEEDaS14_S15_EUlS14_E_NS1_11comp_targetILNS1_3genE0ELNS1_11target_archE4294967295ELNS1_3gpuE0ELNS1_3repE0EEENS1_30default_config_static_selectorELNS0_4arch9wavefront6targetE1EEEvT1_
; %bb.0:
	.section	.rodata,"a",@progbits
	.p2align	6, 0x0
	.amdhsa_kernel _ZN7rocprim17ROCPRIM_400000_NS6detail17trampoline_kernelINS0_14default_configENS1_25partition_config_selectorILNS1_17partition_subalgoE0EiNS0_10empty_typeEbEEZZNS1_14partition_implILS5_0ELb0ES3_jN6thrust23THRUST_200600_302600_NS6detail15normal_iteratorINSA_10device_ptrIiEEEEPS6_SG_NS0_5tupleIJSF_NSA_16discard_iteratorINSA_11use_defaultEEEEEENSH_IJSG_SG_EEES6_PlJ7is_evenIiEEEE10hipError_tPvRmT3_T4_T5_T6_T7_T9_mT8_P12ihipStream_tbDpT10_ENKUlT_T0_E_clISt17integral_constantIbLb0EES18_IbLb1EEEEDaS14_S15_EUlS14_E_NS1_11comp_targetILNS1_3genE0ELNS1_11target_archE4294967295ELNS1_3gpuE0ELNS1_3repE0EEENS1_30default_config_static_selectorELNS0_4arch9wavefront6targetE1EEEvT1_
		.amdhsa_group_segment_fixed_size 0
		.amdhsa_private_segment_fixed_size 0
		.amdhsa_kernarg_size 144
		.amdhsa_user_sgpr_count 2
		.amdhsa_user_sgpr_dispatch_ptr 0
		.amdhsa_user_sgpr_queue_ptr 0
		.amdhsa_user_sgpr_kernarg_segment_ptr 1
		.amdhsa_user_sgpr_dispatch_id 0
		.amdhsa_user_sgpr_kernarg_preload_length 0
		.amdhsa_user_sgpr_kernarg_preload_offset 0
		.amdhsa_user_sgpr_private_segment_size 0
		.amdhsa_uses_dynamic_stack 0
		.amdhsa_enable_private_segment 0
		.amdhsa_system_sgpr_workgroup_id_x 1
		.amdhsa_system_sgpr_workgroup_id_y 0
		.amdhsa_system_sgpr_workgroup_id_z 0
		.amdhsa_system_sgpr_workgroup_info 0
		.amdhsa_system_vgpr_workitem_id 0
		.amdhsa_next_free_vgpr 1
		.amdhsa_next_free_sgpr 0
		.amdhsa_accum_offset 4
		.amdhsa_reserve_vcc 0
		.amdhsa_float_round_mode_32 0
		.amdhsa_float_round_mode_16_64 0
		.amdhsa_float_denorm_mode_32 3
		.amdhsa_float_denorm_mode_16_64 3
		.amdhsa_dx10_clamp 1
		.amdhsa_ieee_mode 1
		.amdhsa_fp16_overflow 0
		.amdhsa_tg_split 0
		.amdhsa_exception_fp_ieee_invalid_op 0
		.amdhsa_exception_fp_denorm_src 0
		.amdhsa_exception_fp_ieee_div_zero 0
		.amdhsa_exception_fp_ieee_overflow 0
		.amdhsa_exception_fp_ieee_underflow 0
		.amdhsa_exception_fp_ieee_inexact 0
		.amdhsa_exception_int_div_zero 0
	.end_amdhsa_kernel
	.section	.text._ZN7rocprim17ROCPRIM_400000_NS6detail17trampoline_kernelINS0_14default_configENS1_25partition_config_selectorILNS1_17partition_subalgoE0EiNS0_10empty_typeEbEEZZNS1_14partition_implILS5_0ELb0ES3_jN6thrust23THRUST_200600_302600_NS6detail15normal_iteratorINSA_10device_ptrIiEEEEPS6_SG_NS0_5tupleIJSF_NSA_16discard_iteratorINSA_11use_defaultEEEEEENSH_IJSG_SG_EEES6_PlJ7is_evenIiEEEE10hipError_tPvRmT3_T4_T5_T6_T7_T9_mT8_P12ihipStream_tbDpT10_ENKUlT_T0_E_clISt17integral_constantIbLb0EES18_IbLb1EEEEDaS14_S15_EUlS14_E_NS1_11comp_targetILNS1_3genE0ELNS1_11target_archE4294967295ELNS1_3gpuE0ELNS1_3repE0EEENS1_30default_config_static_selectorELNS0_4arch9wavefront6targetE1EEEvT1_,"axG",@progbits,_ZN7rocprim17ROCPRIM_400000_NS6detail17trampoline_kernelINS0_14default_configENS1_25partition_config_selectorILNS1_17partition_subalgoE0EiNS0_10empty_typeEbEEZZNS1_14partition_implILS5_0ELb0ES3_jN6thrust23THRUST_200600_302600_NS6detail15normal_iteratorINSA_10device_ptrIiEEEEPS6_SG_NS0_5tupleIJSF_NSA_16discard_iteratorINSA_11use_defaultEEEEEENSH_IJSG_SG_EEES6_PlJ7is_evenIiEEEE10hipError_tPvRmT3_T4_T5_T6_T7_T9_mT8_P12ihipStream_tbDpT10_ENKUlT_T0_E_clISt17integral_constantIbLb0EES18_IbLb1EEEEDaS14_S15_EUlS14_E_NS1_11comp_targetILNS1_3genE0ELNS1_11target_archE4294967295ELNS1_3gpuE0ELNS1_3repE0EEENS1_30default_config_static_selectorELNS0_4arch9wavefront6targetE1EEEvT1_,comdat
.Lfunc_end2739:
	.size	_ZN7rocprim17ROCPRIM_400000_NS6detail17trampoline_kernelINS0_14default_configENS1_25partition_config_selectorILNS1_17partition_subalgoE0EiNS0_10empty_typeEbEEZZNS1_14partition_implILS5_0ELb0ES3_jN6thrust23THRUST_200600_302600_NS6detail15normal_iteratorINSA_10device_ptrIiEEEEPS6_SG_NS0_5tupleIJSF_NSA_16discard_iteratorINSA_11use_defaultEEEEEENSH_IJSG_SG_EEES6_PlJ7is_evenIiEEEE10hipError_tPvRmT3_T4_T5_T6_T7_T9_mT8_P12ihipStream_tbDpT10_ENKUlT_T0_E_clISt17integral_constantIbLb0EES18_IbLb1EEEEDaS14_S15_EUlS14_E_NS1_11comp_targetILNS1_3genE0ELNS1_11target_archE4294967295ELNS1_3gpuE0ELNS1_3repE0EEENS1_30default_config_static_selectorELNS0_4arch9wavefront6targetE1EEEvT1_, .Lfunc_end2739-_ZN7rocprim17ROCPRIM_400000_NS6detail17trampoline_kernelINS0_14default_configENS1_25partition_config_selectorILNS1_17partition_subalgoE0EiNS0_10empty_typeEbEEZZNS1_14partition_implILS5_0ELb0ES3_jN6thrust23THRUST_200600_302600_NS6detail15normal_iteratorINSA_10device_ptrIiEEEEPS6_SG_NS0_5tupleIJSF_NSA_16discard_iteratorINSA_11use_defaultEEEEEENSH_IJSG_SG_EEES6_PlJ7is_evenIiEEEE10hipError_tPvRmT3_T4_T5_T6_T7_T9_mT8_P12ihipStream_tbDpT10_ENKUlT_T0_E_clISt17integral_constantIbLb0EES18_IbLb1EEEEDaS14_S15_EUlS14_E_NS1_11comp_targetILNS1_3genE0ELNS1_11target_archE4294967295ELNS1_3gpuE0ELNS1_3repE0EEENS1_30default_config_static_selectorELNS0_4arch9wavefront6targetE1EEEvT1_
                                        ; -- End function
	.section	.AMDGPU.csdata,"",@progbits
; Kernel info:
; codeLenInByte = 0
; NumSgprs: 6
; NumVgprs: 0
; NumAgprs: 0
; TotalNumVgprs: 0
; ScratchSize: 0
; MemoryBound: 0
; FloatMode: 240
; IeeeMode: 1
; LDSByteSize: 0 bytes/workgroup (compile time only)
; SGPRBlocks: 0
; VGPRBlocks: 0
; NumSGPRsForWavesPerEU: 6
; NumVGPRsForWavesPerEU: 1
; AccumOffset: 4
; Occupancy: 8
; WaveLimiterHint : 0
; COMPUTE_PGM_RSRC2:SCRATCH_EN: 0
; COMPUTE_PGM_RSRC2:USER_SGPR: 2
; COMPUTE_PGM_RSRC2:TRAP_HANDLER: 0
; COMPUTE_PGM_RSRC2:TGID_X_EN: 1
; COMPUTE_PGM_RSRC2:TGID_Y_EN: 0
; COMPUTE_PGM_RSRC2:TGID_Z_EN: 0
; COMPUTE_PGM_RSRC2:TIDIG_COMP_CNT: 0
; COMPUTE_PGM_RSRC3_GFX90A:ACCUM_OFFSET: 0
; COMPUTE_PGM_RSRC3_GFX90A:TG_SPLIT: 0
	.section	.text._ZN7rocprim17ROCPRIM_400000_NS6detail17trampoline_kernelINS0_14default_configENS1_25partition_config_selectorILNS1_17partition_subalgoE0EiNS0_10empty_typeEbEEZZNS1_14partition_implILS5_0ELb0ES3_jN6thrust23THRUST_200600_302600_NS6detail15normal_iteratorINSA_10device_ptrIiEEEEPS6_SG_NS0_5tupleIJSF_NSA_16discard_iteratorINSA_11use_defaultEEEEEENSH_IJSG_SG_EEES6_PlJ7is_evenIiEEEE10hipError_tPvRmT3_T4_T5_T6_T7_T9_mT8_P12ihipStream_tbDpT10_ENKUlT_T0_E_clISt17integral_constantIbLb0EES18_IbLb1EEEEDaS14_S15_EUlS14_E_NS1_11comp_targetILNS1_3genE5ELNS1_11target_archE942ELNS1_3gpuE9ELNS1_3repE0EEENS1_30default_config_static_selectorELNS0_4arch9wavefront6targetE1EEEvT1_,"axG",@progbits,_ZN7rocprim17ROCPRIM_400000_NS6detail17trampoline_kernelINS0_14default_configENS1_25partition_config_selectorILNS1_17partition_subalgoE0EiNS0_10empty_typeEbEEZZNS1_14partition_implILS5_0ELb0ES3_jN6thrust23THRUST_200600_302600_NS6detail15normal_iteratorINSA_10device_ptrIiEEEEPS6_SG_NS0_5tupleIJSF_NSA_16discard_iteratorINSA_11use_defaultEEEEEENSH_IJSG_SG_EEES6_PlJ7is_evenIiEEEE10hipError_tPvRmT3_T4_T5_T6_T7_T9_mT8_P12ihipStream_tbDpT10_ENKUlT_T0_E_clISt17integral_constantIbLb0EES18_IbLb1EEEEDaS14_S15_EUlS14_E_NS1_11comp_targetILNS1_3genE5ELNS1_11target_archE942ELNS1_3gpuE9ELNS1_3repE0EEENS1_30default_config_static_selectorELNS0_4arch9wavefront6targetE1EEEvT1_,comdat
	.protected	_ZN7rocprim17ROCPRIM_400000_NS6detail17trampoline_kernelINS0_14default_configENS1_25partition_config_selectorILNS1_17partition_subalgoE0EiNS0_10empty_typeEbEEZZNS1_14partition_implILS5_0ELb0ES3_jN6thrust23THRUST_200600_302600_NS6detail15normal_iteratorINSA_10device_ptrIiEEEEPS6_SG_NS0_5tupleIJSF_NSA_16discard_iteratorINSA_11use_defaultEEEEEENSH_IJSG_SG_EEES6_PlJ7is_evenIiEEEE10hipError_tPvRmT3_T4_T5_T6_T7_T9_mT8_P12ihipStream_tbDpT10_ENKUlT_T0_E_clISt17integral_constantIbLb0EES18_IbLb1EEEEDaS14_S15_EUlS14_E_NS1_11comp_targetILNS1_3genE5ELNS1_11target_archE942ELNS1_3gpuE9ELNS1_3repE0EEENS1_30default_config_static_selectorELNS0_4arch9wavefront6targetE1EEEvT1_ ; -- Begin function _ZN7rocprim17ROCPRIM_400000_NS6detail17trampoline_kernelINS0_14default_configENS1_25partition_config_selectorILNS1_17partition_subalgoE0EiNS0_10empty_typeEbEEZZNS1_14partition_implILS5_0ELb0ES3_jN6thrust23THRUST_200600_302600_NS6detail15normal_iteratorINSA_10device_ptrIiEEEEPS6_SG_NS0_5tupleIJSF_NSA_16discard_iteratorINSA_11use_defaultEEEEEENSH_IJSG_SG_EEES6_PlJ7is_evenIiEEEE10hipError_tPvRmT3_T4_T5_T6_T7_T9_mT8_P12ihipStream_tbDpT10_ENKUlT_T0_E_clISt17integral_constantIbLb0EES18_IbLb1EEEEDaS14_S15_EUlS14_E_NS1_11comp_targetILNS1_3genE5ELNS1_11target_archE942ELNS1_3gpuE9ELNS1_3repE0EEENS1_30default_config_static_selectorELNS0_4arch9wavefront6targetE1EEEvT1_
	.globl	_ZN7rocprim17ROCPRIM_400000_NS6detail17trampoline_kernelINS0_14default_configENS1_25partition_config_selectorILNS1_17partition_subalgoE0EiNS0_10empty_typeEbEEZZNS1_14partition_implILS5_0ELb0ES3_jN6thrust23THRUST_200600_302600_NS6detail15normal_iteratorINSA_10device_ptrIiEEEEPS6_SG_NS0_5tupleIJSF_NSA_16discard_iteratorINSA_11use_defaultEEEEEENSH_IJSG_SG_EEES6_PlJ7is_evenIiEEEE10hipError_tPvRmT3_T4_T5_T6_T7_T9_mT8_P12ihipStream_tbDpT10_ENKUlT_T0_E_clISt17integral_constantIbLb0EES18_IbLb1EEEEDaS14_S15_EUlS14_E_NS1_11comp_targetILNS1_3genE5ELNS1_11target_archE942ELNS1_3gpuE9ELNS1_3repE0EEENS1_30default_config_static_selectorELNS0_4arch9wavefront6targetE1EEEvT1_
	.p2align	8
	.type	_ZN7rocprim17ROCPRIM_400000_NS6detail17trampoline_kernelINS0_14default_configENS1_25partition_config_selectorILNS1_17partition_subalgoE0EiNS0_10empty_typeEbEEZZNS1_14partition_implILS5_0ELb0ES3_jN6thrust23THRUST_200600_302600_NS6detail15normal_iteratorINSA_10device_ptrIiEEEEPS6_SG_NS0_5tupleIJSF_NSA_16discard_iteratorINSA_11use_defaultEEEEEENSH_IJSG_SG_EEES6_PlJ7is_evenIiEEEE10hipError_tPvRmT3_T4_T5_T6_T7_T9_mT8_P12ihipStream_tbDpT10_ENKUlT_T0_E_clISt17integral_constantIbLb0EES18_IbLb1EEEEDaS14_S15_EUlS14_E_NS1_11comp_targetILNS1_3genE5ELNS1_11target_archE942ELNS1_3gpuE9ELNS1_3repE0EEENS1_30default_config_static_selectorELNS0_4arch9wavefront6targetE1EEEvT1_,@function
_ZN7rocprim17ROCPRIM_400000_NS6detail17trampoline_kernelINS0_14default_configENS1_25partition_config_selectorILNS1_17partition_subalgoE0EiNS0_10empty_typeEbEEZZNS1_14partition_implILS5_0ELb0ES3_jN6thrust23THRUST_200600_302600_NS6detail15normal_iteratorINSA_10device_ptrIiEEEEPS6_SG_NS0_5tupleIJSF_NSA_16discard_iteratorINSA_11use_defaultEEEEEENSH_IJSG_SG_EEES6_PlJ7is_evenIiEEEE10hipError_tPvRmT3_T4_T5_T6_T7_T9_mT8_P12ihipStream_tbDpT10_ENKUlT_T0_E_clISt17integral_constantIbLb0EES18_IbLb1EEEEDaS14_S15_EUlS14_E_NS1_11comp_targetILNS1_3genE5ELNS1_11target_archE942ELNS1_3gpuE9ELNS1_3repE0EEENS1_30default_config_static_selectorELNS0_4arch9wavefront6targetE1EEEvT1_: ; @_ZN7rocprim17ROCPRIM_400000_NS6detail17trampoline_kernelINS0_14default_configENS1_25partition_config_selectorILNS1_17partition_subalgoE0EiNS0_10empty_typeEbEEZZNS1_14partition_implILS5_0ELb0ES3_jN6thrust23THRUST_200600_302600_NS6detail15normal_iteratorINSA_10device_ptrIiEEEEPS6_SG_NS0_5tupleIJSF_NSA_16discard_iteratorINSA_11use_defaultEEEEEENSH_IJSG_SG_EEES6_PlJ7is_evenIiEEEE10hipError_tPvRmT3_T4_T5_T6_T7_T9_mT8_P12ihipStream_tbDpT10_ENKUlT_T0_E_clISt17integral_constantIbLb0EES18_IbLb1EEEEDaS14_S15_EUlS14_E_NS1_11comp_targetILNS1_3genE5ELNS1_11target_archE942ELNS1_3gpuE9ELNS1_3repE0EEENS1_30default_config_static_selectorELNS0_4arch9wavefront6targetE1EEEvT1_
; %bb.0:
	s_load_dwordx2 s[2:3], s[0:1], 0x60
	s_load_dwordx4 s[24:27], s[0:1], 0x50
	s_load_dwordx2 s[30:31], s[0:1], 0x70
	v_cmp_eq_u32_e64 s[20:21], 0, v0
	s_and_saveexec_b64 s[4:5], s[20:21]
	s_cbranch_execz .LBB2740_4
; %bb.1:
	s_mov_b64 s[8:9], exec
	v_mbcnt_lo_u32_b32 v1, s8, 0
	v_mbcnt_hi_u32_b32 v1, s9, v1
	v_cmp_eq_u32_e32 vcc, 0, v1
                                        ; implicit-def: $vgpr2
	s_and_saveexec_b64 s[6:7], vcc
	s_cbranch_execz .LBB2740_3
; %bb.2:
	s_load_dwordx2 s[10:11], s[0:1], 0x80
	s_bcnt1_i32_b64 s8, s[8:9]
	v_mov_b32_e32 v2, 0
	v_mov_b32_e32 v3, s8
	s_waitcnt lgkmcnt(0)
	global_atomic_add v2, v2, v3, s[10:11] sc0
.LBB2740_3:
	s_or_b64 exec, exec, s[6:7]
	s_waitcnt vmcnt(0)
	v_readfirstlane_b32 s6, v2
	v_mov_b32_e32 v2, 0
	s_nop 0
	v_add_u32_e32 v1, s6, v1
	ds_write_b32 v2, v1
.LBB2740_4:
	s_or_b64 exec, exec, s[4:5]
	v_mov_b32_e32 v21, 0
	s_load_dwordx4 s[4:7], s[0:1], 0x8
	s_load_dwordx2 s[28:29], s[0:1], 0x28
	s_load_dword s8, s[0:1], 0x78
	s_waitcnt lgkmcnt(0)
	s_barrier
	ds_read_b32 v1, v21
	s_waitcnt lgkmcnt(0)
	s_barrier
	global_load_dwordx2 v[18:19], v21, s[26:27]
	s_lshl_b64 s[0:1], s[6:7], 2
	s_add_u32 s4, s4, s0
	s_movk_i32 s0, 0x1e00
	v_mul_lo_u32 v20, v1, s0
	s_mul_i32 s0, s8, 0x1e00
	s_addc_u32 s5, s5, s1
	s_add_i32 s1, s0, s6
	v_mov_b32_e32 v3, s3
	s_add_i32 s3, s8, -1
	s_sub_i32 s33, s2, s1
	s_add_u32 s0, s6, s0
	v_readfirstlane_b32 s36, v1
	s_addc_u32 s1, s7, 0
	s_cmp_eq_u32 s36, s3
	v_mov_b32_e32 v2, s2
	s_cselect_b64 s[22:23], -1, 0
	s_cmp_lg_u32 s36, s3
	v_cmp_lt_u64_e32 vcc, s[0:1], v[2:3]
	s_cselect_b64 s[0:1], -1, 0
	s_or_b64 s[0:1], vcc, s[0:1]
	v_lshlrev_b64 v[2:3], 2, v[20:21]
	v_lshl_add_u64 v[22:23], s[4:5], 0, v[2:3]
	s_mov_b64 s[2:3], -1
	s_and_b64 vcc, exec, s[0:1]
	v_lshlrev_b32_e32 v20, 2, v0
	s_cbranch_vccz .LBB2740_6
; %bb.5:
	v_lshl_add_u64 v[2:3], v[22:23], 0, v[20:21]
	v_add_co_u32_e32 v4, vcc, 0x1000, v2
	s_mov_b64 s[2:3], 0
	s_nop 0
	v_addc_co_u32_e32 v5, vcc, 0, v3, vcc
	v_add_co_u32_e32 v6, vcc, 0x2000, v2
	s_nop 1
	v_addc_co_u32_e32 v7, vcc, 0, v3, vcc
	v_add_co_u32_e32 v8, vcc, 0x3000, v2
	s_nop 1
	v_addc_co_u32_e32 v9, vcc, 0, v3, vcc
	flat_load_dword v1, v[2:3]
	flat_load_dword v10, v[2:3] offset:2048
	flat_load_dword v11, v[4:5]
	flat_load_dword v12, v[4:5] offset:2048
	;; [unrolled: 2-line block ×4, first 2 shown]
	v_add_co_u32_e32 v4, vcc, 0x4000, v2
	s_nop 1
	v_addc_co_u32_e32 v5, vcc, 0, v3, vcc
	v_add_co_u32_e32 v6, vcc, 0x5000, v2
	s_nop 1
	v_addc_co_u32_e32 v7, vcc, 0, v3, vcc
	;; [unrolled: 3-line block ×4, first 2 shown]
	flat_load_dword v17, v[4:5]
	flat_load_dword v21, v[4:5] offset:2048
	flat_load_dword v24, v[6:7]
	flat_load_dword v25, v[6:7] offset:2048
	;; [unrolled: 2-line block ×3, first 2 shown]
	flat_load_dword v28, v[2:3]
	s_waitcnt vmcnt(0) lgkmcnt(0)
	ds_write2st64_b32 v20, v1, v10 offset1:8
	ds_write2st64_b32 v20, v11, v12 offset0:16 offset1:24
	ds_write2st64_b32 v20, v13, v14 offset0:32 offset1:40
	;; [unrolled: 1-line block ×6, first 2 shown]
	ds_write_b32 v20, v28 offset:28672
	s_waitcnt lgkmcnt(0)
	s_barrier
.LBB2740_6:
	s_andn2_b64 vcc, exec, s[2:3]
	s_addk_i32 s33, 0x1e00
	s_cbranch_vccnz .LBB2740_38
; %bb.7:
	v_cmp_gt_u32_e32 vcc, s33, v0
                                        ; implicit-def: $vgpr2_vgpr3_vgpr4_vgpr5_vgpr6_vgpr7_vgpr8_vgpr9_vgpr10_vgpr11_vgpr12_vgpr13_vgpr14_vgpr15_vgpr16_vgpr17
	s_and_saveexec_b64 s[2:3], vcc
	s_cbranch_execz .LBB2740_9
; %bb.8:
	v_mov_b32_e32 v21, 0
	v_lshl_add_u64 v[2:3], v[22:23], 0, v[20:21]
	flat_load_dword v2, v[2:3]
.LBB2740_9:
	s_or_b64 exec, exec, s[2:3]
	v_or_b32_e32 v1, 0x200, v0
	v_cmp_gt_u32_e32 vcc, s33, v1
	s_and_saveexec_b64 s[2:3], vcc
	s_cbranch_execz .LBB2740_11
; %bb.10:
	v_mov_b32_e32 v21, 0
	v_lshl_add_u64 v[24:25], v[22:23], 0, v[20:21]
	flat_load_dword v3, v[24:25] offset:2048
.LBB2740_11:
	s_or_b64 exec, exec, s[2:3]
	v_or_b32_e32 v1, 0x400, v0
	v_cmp_gt_u32_e32 vcc, s33, v1
	s_and_saveexec_b64 s[2:3], vcc
	s_cbranch_execz .LBB2740_13
; %bb.12:
	v_lshlrev_b32_e32 v24, 2, v1
	v_mov_b32_e32 v25, 0
	v_lshl_add_u64 v[24:25], v[22:23], 0, v[24:25]
	flat_load_dword v4, v[24:25]
.LBB2740_13:
	s_or_b64 exec, exec, s[2:3]
	v_or_b32_e32 v1, 0x600, v0
	v_cmp_gt_u32_e32 vcc, s33, v1
	s_and_saveexec_b64 s[2:3], vcc
	s_cbranch_execz .LBB2740_15
; %bb.14:
	v_lshlrev_b32_e32 v24, 2, v1
	v_mov_b32_e32 v25, 0
	v_lshl_add_u64 v[24:25], v[22:23], 0, v[24:25]
	flat_load_dword v5, v[24:25]
.LBB2740_15:
	;; [unrolled: 11-line block ×13, first 2 shown]
	s_or_b64 exec, exec, s[2:3]
	s_waitcnt vmcnt(0) lgkmcnt(0)
	ds_write2st64_b32 v20, v2, v3 offset1:8
	ds_write2st64_b32 v20, v4, v5 offset0:16 offset1:24
	ds_write2st64_b32 v20, v6, v7 offset0:32 offset1:40
	;; [unrolled: 1-line block ×6, first 2 shown]
	ds_write_b32 v20, v16 offset:28672
	s_waitcnt lgkmcnt(0)
	s_barrier
.LBB2740_38:
	v_mul_u32_u24_e32 v40, 15, v0
	v_lshlrev_b32_e32 v1, 2, v40
	ds_read2_b32 v[34:35], v1 offset1:1
	ds_read2_b32 v[32:33], v1 offset0:2 offset1:3
	ds_read2_b32 v[30:31], v1 offset0:4 offset1:5
	ds_read2_b32 v[28:29], v1 offset0:6 offset1:7
	ds_read2_b32 v[26:27], v1 offset0:8 offset1:9
	ds_read2_b32 v[24:25], v1 offset0:10 offset1:11
	ds_read2_b32 v[22:23], v1 offset0:12 offset1:13
	ds_read_b32 v1, v1 offset:56
	v_cndmask_b32_e64 v2, 0, 1, s[0:1]
	v_cmp_ne_u32_e64 s[2:3], 1, v2
	s_andn2_b64 vcc, exec, s[0:1]
	s_waitcnt lgkmcnt(7)
	v_xor_b32_e32 v16, -1, v34
	v_xor_b32_e32 v15, -1, v35
	s_waitcnt lgkmcnt(6)
	v_xor_b32_e32 v14, -1, v32
	v_xor_b32_e32 v13, -1, v33
	;; [unrolled: 3-line block ×7, first 2 shown]
	s_waitcnt lgkmcnt(0)
	v_xor_b32_e32 v2, -1, v1
	s_barrier
	s_cbranch_vccnz .LBB2740_40
; %bb.39:
	v_and_b32_e32 v53, 1, v16
	v_and_b32_e32 v52, 1, v15
	;; [unrolled: 1-line block ×15, first 2 shown]
	s_cbranch_execz .LBB2740_41
	s_branch .LBB2740_42
.LBB2740_40:
                                        ; implicit-def: $vgpr21
                                        ; implicit-def: $vgpr39
                                        ; implicit-def: $vgpr41
                                        ; implicit-def: $vgpr42
                                        ; implicit-def: $vgpr43
                                        ; implicit-def: $vgpr44
                                        ; implicit-def: $vgpr45
                                        ; implicit-def: $vgpr46
                                        ; implicit-def: $vgpr47
                                        ; implicit-def: $vgpr53
                                        ; implicit-def: $vgpr52
                                        ; implicit-def: $vgpr51
                                        ; implicit-def: $vgpr50
                                        ; implicit-def: $vgpr49
                                        ; implicit-def: $vgpr48
.LBB2740_41:
	v_add_u32_e32 v46, 1, v40
	v_cmp_gt_u32_e32 vcc, s33, v40
	v_add_u32_e32 v17, 2, v40
	v_add_u32_e32 v45, 3, v40
	v_cndmask_b32_e64 v47, 0, 1, vcc
	v_cmp_gt_u32_e32 vcc, s33, v46
	v_and_b32_e32 v53, v47, v16
	v_add_u32_e32 v21, 4, v40
	v_cndmask_b32_e64 v16, 0, 1, vcc
	v_cmp_gt_u32_e32 vcc, s33, v17
	v_and_b32_e32 v52, v16, v15
	v_add_u32_e32 v44, 5, v40
	v_cndmask_b32_e64 v15, 0, 1, vcc
	v_cmp_gt_u32_e32 vcc, s33, v45
	v_and_b32_e32 v51, v15, v14
	v_add_u32_e32 v36, 6, v40
	v_cndmask_b32_e64 v14, 0, 1, vcc
	v_cmp_gt_u32_e32 vcc, s33, v21
	v_and_b32_e32 v50, v14, v13
	v_add_u32_e32 v43, 7, v40
	v_cndmask_b32_e64 v13, 0, 1, vcc
	v_cmp_gt_u32_e32 vcc, s33, v44
	v_and_b32_e32 v49, v13, v12
	v_add_u32_e32 v37, 8, v40
	v_cndmask_b32_e64 v12, 0, 1, vcc
	v_cmp_gt_u32_e32 vcc, s33, v36
	v_and_b32_e32 v48, v12, v11
	v_add_u32_e32 v42, 9, v40
	v_cndmask_b32_e64 v11, 0, 1, vcc
	v_cmp_gt_u32_e32 vcc, s33, v43
	v_and_b32_e32 v47, v11, v10
	v_add_u32_e32 v38, 10, v40
	v_cndmask_b32_e64 v10, 0, 1, vcc
	v_cmp_gt_u32_e32 vcc, s33, v37
	v_and_b32_e32 v46, v10, v9
	v_add_u32_e32 v41, 11, v40
	v_cndmask_b32_e64 v9, 0, 1, vcc
	v_cmp_gt_u32_e32 vcc, s33, v42
	v_and_b32_e32 v45, v9, v8
	v_add_u32_e32 v39, 12, v40
	v_cndmask_b32_e64 v8, 0, 1, vcc
	v_cmp_gt_u32_e32 vcc, s33, v38
	v_and_b32_e32 v44, v8, v7
	v_add_u32_e32 v55, 13, v40
	v_cndmask_b32_e64 v7, 0, 1, vcc
	v_cmp_gt_u32_e32 vcc, s33, v41
	v_and_b32_e32 v43, v7, v6
	v_add_u32_e32 v54, 14, v40
	v_cndmask_b32_e64 v6, 0, 1, vcc
	v_cmp_gt_u32_e32 vcc, s33, v39
	v_and_b32_e32 v42, v6, v5
	s_nop 0
	v_cndmask_b32_e64 v5, 0, 1, vcc
	v_cmp_gt_u32_e32 vcc, s33, v55
	v_and_b32_e32 v41, v5, v4
	s_nop 0
	v_cndmask_b32_e64 v4, 0, 1, vcc
	v_cmp_gt_u32_e32 vcc, s33, v54
	v_and_b32_e32 v39, v4, v3
	s_nop 0
	v_cndmask_b32_e64 v3, 0, 1, vcc
	v_and_b32_e32 v21, v3, v2
.LBB2740_42:
	v_and_b32_e32 v57, 0xff, v50
	v_and_b32_e32 v58, 0xff, v49
	;; [unrolled: 1-line block ×5, first 2 shown]
	v_add3_u32 v3, v58, v59, v57
	v_and_b32_e32 v54, 0xff, v53
	v_and_b32_e32 v60, 0xff, v47
	v_add3_u32 v3, v3, v56, v55
	v_and_b32_e32 v61, 0xff, v46
	v_and_b32_e32 v62, 0xff, v45
	;; [unrolled: 3-line block ×5, first 2 shown]
	v_add3_u32 v3, v3, v65, v66
	v_add3_u32 v70, v3, v67, v2
	v_mbcnt_lo_u32_b32 v2, -1, 0
	v_mbcnt_hi_u32_b32 v68, -1, v2
	v_and_b32_e32 v2, 15, v68
	v_cmp_eq_u32_e64 s[16:17], 0, v2
	v_cmp_lt_u32_e64 s[14:15], 1, v2
	v_cmp_lt_u32_e64 s[12:13], 3, v2
	;; [unrolled: 1-line block ×3, first 2 shown]
	v_and_b32_e32 v2, 16, v68
	v_cmp_eq_u32_e64 s[8:9], 0, v2
	v_or_b32_e32 v2, 63, v0
	s_cmp_lg_u32 s36, 0
	v_cmp_lt_u32_e64 s[4:5], 31, v68
	v_lshrrev_b32_e32 v69, 6, v0
	v_cmp_eq_u32_e64 s[6:7], v2, v0
	s_cbranch_scc0 .LBB2740_69
; %bb.43:
	v_mov_b32_dpp v2, v70 row_shr:1 row_mask:0xf bank_mask:0xf
	v_cndmask_b32_e64 v2, v2, 0, s[16:17]
	v_add_u32_e32 v2, v2, v70
	s_nop 1
	v_mov_b32_dpp v3, v2 row_shr:2 row_mask:0xf bank_mask:0xf
	v_cndmask_b32_e64 v3, 0, v3, s[14:15]
	v_add_u32_e32 v2, v2, v3
	s_nop 1
	;; [unrolled: 4-line block ×4, first 2 shown]
	v_mov_b32_dpp v3, v2 row_bcast:15 row_mask:0xf bank_mask:0xf
	v_cndmask_b32_e64 v3, v3, 0, s[8:9]
	v_add_u32_e32 v2, v2, v3
	s_nop 1
	v_mov_b32_dpp v3, v2 row_bcast:31 row_mask:0xf bank_mask:0xf
	v_cndmask_b32_e64 v3, 0, v3, s[4:5]
	v_add_u32_e32 v2, v2, v3
	s_and_saveexec_b64 s[0:1], s[6:7]
	s_cbranch_execz .LBB2740_45
; %bb.44:
	v_lshlrev_b32_e32 v3, 2, v69
	ds_write_b32 v3, v2
.LBB2740_45:
	s_or_b64 exec, exec, s[0:1]
	v_cmp_gt_u32_e32 vcc, 8, v0
	s_waitcnt lgkmcnt(0)
	s_barrier
	s_and_saveexec_b64 s[0:1], vcc
	s_cbranch_execz .LBB2740_47
; %bb.46:
	ds_read_b32 v3, v20
	v_and_b32_e32 v4, 7, v68
	v_cmp_ne_u32_e32 vcc, 0, v4
	s_waitcnt lgkmcnt(0)
	v_mov_b32_dpp v5, v3 row_shr:1 row_mask:0xf bank_mask:0xf
	v_cndmask_b32_e32 v5, 0, v5, vcc
	v_add_u32_e32 v3, v5, v3
	v_cmp_lt_u32_e32 vcc, 1, v4
	s_nop 0
	v_mov_b32_dpp v5, v3 row_shr:2 row_mask:0xf bank_mask:0xf
	v_cndmask_b32_e32 v5, 0, v5, vcc
	v_add_u32_e32 v3, v3, v5
	v_cmp_lt_u32_e32 vcc, 3, v4
	s_nop 0
	v_mov_b32_dpp v5, v3 row_shr:4 row_mask:0xf bank_mask:0xf
	v_cndmask_b32_e32 v4, 0, v5, vcc
	v_add_u32_e32 v3, v3, v4
	ds_write_b32 v20, v3
.LBB2740_47:
	s_or_b64 exec, exec, s[0:1]
	v_cmp_gt_u32_e32 vcc, 64, v0
	v_cmp_lt_u32_e64 s[0:1], 63, v0
	s_waitcnt lgkmcnt(0)
	s_barrier
	s_waitcnt lgkmcnt(0)
                                        ; implicit-def: $vgpr12
	s_and_saveexec_b64 s[18:19], s[0:1]
	s_cbranch_execz .LBB2740_49
; %bb.48:
	v_lshl_add_u32 v3, v69, 2, -4
	ds_read_b32 v12, v3
	s_waitcnt lgkmcnt(0)
	v_add_u32_e32 v2, v12, v2
.LBB2740_49:
	s_or_b64 exec, exec, s[18:19]
	v_add_u32_e32 v3, -1, v68
	v_and_b32_e32 v4, 64, v68
	v_cmp_lt_i32_e64 s[0:1], v3, v4
	v_cmp_eq_u32_e64 s[18:19], 0, v68
	s_nop 0
	v_cndmask_b32_e64 v3, v3, v68, s[0:1]
	v_lshlrev_b32_e32 v3, 2, v3
	ds_bpermute_b32 v13, v3, v2
	s_and_saveexec_b64 s[0:1], vcc
	s_cbranch_execz .LBB2740_68
; %bb.50:
	v_mov_b32_e32 v9, 0
	ds_read_b32 v2, v9 offset:28
	s_and_saveexec_b64 s[26:27], s[18:19]
	s_cbranch_execz .LBB2740_52
; %bb.51:
	s_add_i32 s34, s36, 64
	s_mov_b32 s35, 0
	s_lshl_b64 s[34:35], s[34:35], 3
	s_add_u32 s34, s30, s34
	v_mov_b32_e32 v3, 1
	s_addc_u32 s35, s31, s35
	s_waitcnt lgkmcnt(0)
	global_store_dwordx2 v9, v[2:3], s[34:35] sc1
.LBB2740_52:
	s_or_b64 exec, exec, s[26:27]
	v_xad_u32 v4, v68, -1, s36
	v_add_u32_e32 v8, 64, v4
	v_lshl_add_u64 v[10:11], v[8:9], 3, s[30:31]
	global_load_dwordx2 v[6:7], v[10:11], off sc1
	s_waitcnt vmcnt(0)
	v_cmp_eq_u16_sdwa s[34:35], v7, v9 src0_sel:BYTE_0 src1_sel:DWORD
	s_and_saveexec_b64 s[26:27], s[34:35]
	s_cbranch_execz .LBB2740_56
; %bb.53:
	s_mov_b64 s[34:35], 0
	v_mov_b32_e32 v3, 0
.LBB2740_54:                            ; =>This Inner Loop Header: Depth=1
	global_load_dwordx2 v[6:7], v[10:11], off sc1
	s_waitcnt vmcnt(0)
	v_cmp_ne_u16_sdwa s[38:39], v7, v3 src0_sel:BYTE_0 src1_sel:DWORD
	s_or_b64 s[34:35], s[38:39], s[34:35]
	s_andn2_b64 exec, exec, s[34:35]
	s_cbranch_execnz .LBB2740_54
; %bb.55:
	s_or_b64 exec, exec, s[34:35]
.LBB2740_56:
	s_or_b64 exec, exec, s[26:27]
	v_and_b32_e32 v15, 63, v68
	v_mov_b32_e32 v14, 2
	v_cmp_ne_u32_e32 vcc, 63, v15
	v_cmp_eq_u16_sdwa s[26:27], v7, v14 src0_sel:BYTE_0 src1_sel:DWORD
	v_lshlrev_b64 v[8:9], v68, -1
	v_addc_co_u32_e32 v10, vcc, 0, v68, vcc
	v_and_b32_e32 v3, s27, v9
	v_lshlrev_b32_e32 v16, 2, v10
	v_or_b32_e32 v3, 0x80000000, v3
	ds_bpermute_b32 v10, v16, v6
	v_and_b32_e32 v5, s26, v8
	v_ffbl_b32_e32 v3, v3
	v_add_u32_e32 v3, 32, v3
	v_ffbl_b32_e32 v5, v5
	v_min_u32_e32 v3, v5, v3
	v_cmp_lt_u32_e32 vcc, v15, v3
	v_add_u32_e32 v36, 2, v15
	v_add_u32_e32 v38, 4, v15
	s_waitcnt lgkmcnt(0)
	v_cndmask_b32_e32 v5, 0, v10, vcc
	v_cmp_gt_u32_e32 vcc, 62, v15
	v_add_u32_e32 v5, v5, v6
	v_add_u32_e32 v72, 8, v15
	v_cndmask_b32_e64 v6, 0, 1, vcc
	v_lshlrev_b32_e32 v6, 1, v6
	v_add_lshl_u32 v17, v6, v68, 2
	ds_bpermute_b32 v6, v17, v5
	v_cmp_le_u32_e32 vcc, v36, v3
	v_add_u32_e32 v74, 16, v15
	v_add_u32_e32 v76, 32, v15
	s_waitcnt lgkmcnt(0)
	v_cndmask_b32_e32 v6, 0, v6, vcc
	v_cmp_gt_u32_e32 vcc, 60, v15
	v_add_u32_e32 v5, v5, v6
	s_nop 0
	v_cndmask_b32_e64 v6, 0, 1, vcc
	v_lshlrev_b32_e32 v6, 2, v6
	v_add_lshl_u32 v37, v6, v68, 2
	ds_bpermute_b32 v6, v37, v5
	v_cmp_le_u32_e32 vcc, v38, v3
	s_waitcnt lgkmcnt(0)
	s_nop 0
	v_cndmask_b32_e32 v6, 0, v6, vcc
	v_cmp_gt_u32_e32 vcc, 56, v15
	v_add_u32_e32 v5, v5, v6
	s_nop 0
	v_cndmask_b32_e64 v6, 0, 1, vcc
	v_lshlrev_b32_e32 v6, 3, v6
	v_add_lshl_u32 v71, v6, v68, 2
	ds_bpermute_b32 v6, v71, v5
	v_cmp_le_u32_e32 vcc, v72, v3
	s_waitcnt lgkmcnt(0)
	s_nop 0
	;; [unrolled: 11-line block ×4, first 2 shown]
	v_cndmask_b32_e32 v3, 0, v6, vcc
	v_add_u32_e32 v6, v5, v3
	v_mov_b32_e32 v5, 0
	s_branch .LBB2740_58
.LBB2740_57:                            ;   in Loop: Header=BB2740_58 Depth=1
	s_or_b64 exec, exec, s[26:27]
	v_cmp_eq_u16_sdwa s[26:27], v7, v14 src0_sel:BYTE_0 src1_sel:DWORD
	ds_bpermute_b32 v77, v16, v6
	v_subrev_u32_e32 v4, 64, v4
	v_and_b32_e32 v10, s27, v9
	v_or_b32_e32 v10, 0x80000000, v10
	v_and_b32_e32 v11, s26, v8
	v_ffbl_b32_e32 v10, v10
	v_add_u32_e32 v10, 32, v10
	v_ffbl_b32_e32 v11, v11
	v_min_u32_e32 v10, v11, v10
	v_cmp_lt_u32_e32 vcc, v15, v10
	s_waitcnt lgkmcnt(0)
	s_nop 0
	v_cndmask_b32_e32 v11, 0, v77, vcc
	v_add_u32_e32 v6, v11, v6
	ds_bpermute_b32 v11, v17, v6
	v_cmp_le_u32_e32 vcc, v36, v10
	s_waitcnt lgkmcnt(0)
	s_nop 0
	v_cndmask_b32_e32 v11, 0, v11, vcc
	v_add_u32_e32 v6, v6, v11
	ds_bpermute_b32 v11, v37, v6
	v_cmp_le_u32_e32 vcc, v38, v10
	;; [unrolled: 6-line block ×5, first 2 shown]
	s_waitcnt lgkmcnt(0)
	s_nop 0
	v_cndmask_b32_e32 v10, 0, v11, vcc
	v_add3_u32 v6, v10, v3, v6
.LBB2740_58:                            ; =>This Loop Header: Depth=1
                                        ;     Child Loop BB2740_61 Depth 2
	v_cmp_ne_u16_sdwa s[26:27], v7, v14 src0_sel:BYTE_0 src1_sel:DWORD
	s_nop 1
	v_cndmask_b32_e64 v3, 0, 1, s[26:27]
	;;#ASMSTART
	;;#ASMEND
	s_nop 0
	v_cmp_ne_u32_e32 vcc, 0, v3
	s_cmp_lg_u64 vcc, exec
	v_mov_b32_e32 v3, v6
	s_cbranch_scc1 .LBB2740_63
; %bb.59:                               ;   in Loop: Header=BB2740_58 Depth=1
	v_lshl_add_u64 v[10:11], v[4:5], 3, s[30:31]
	global_load_dwordx2 v[6:7], v[10:11], off sc1
	s_waitcnt vmcnt(0)
	v_cmp_eq_u16_sdwa s[34:35], v7, v5 src0_sel:BYTE_0 src1_sel:DWORD
	s_and_saveexec_b64 s[26:27], s[34:35]
	s_cbranch_execz .LBB2740_57
; %bb.60:                               ;   in Loop: Header=BB2740_58 Depth=1
	s_mov_b64 s[34:35], 0
.LBB2740_61:                            ;   Parent Loop BB2740_58 Depth=1
                                        ; =>  This Inner Loop Header: Depth=2
	global_load_dwordx2 v[6:7], v[10:11], off sc1
	s_waitcnt vmcnt(0)
	v_cmp_ne_u16_sdwa s[38:39], v7, v5 src0_sel:BYTE_0 src1_sel:DWORD
	s_or_b64 s[34:35], s[38:39], s[34:35]
	s_andn2_b64 exec, exec, s[34:35]
	s_cbranch_execnz .LBB2740_61
; %bb.62:                               ;   in Loop: Header=BB2740_58 Depth=1
	s_or_b64 exec, exec, s[34:35]
	s_branch .LBB2740_57
.LBB2740_63:                            ;   in Loop: Header=BB2740_58 Depth=1
                                        ; implicit-def: $vgpr6
                                        ; implicit-def: $vgpr7
	s_cbranch_execz .LBB2740_58
; %bb.64:
	s_and_saveexec_b64 s[26:27], s[18:19]
	s_cbranch_execz .LBB2740_66
; %bb.65:
	s_add_i32 s34, s36, 64
	s_mov_b32 s35, 0
	s_lshl_b64 s[34:35], s[34:35], 3
	s_add_u32 s34, s30, s34
	v_add_u32_e32 v4, v3, v2
	v_mov_b32_e32 v5, 2
	s_addc_u32 s35, s31, s35
	v_mov_b32_e32 v6, 0
	global_store_dwordx2 v6, v[4:5], s[34:35] sc1
	ds_write_b64 v6, v[2:3] offset:30720
.LBB2740_66:
	s_or_b64 exec, exec, s[26:27]
	s_and_b64 exec, exec, s[20:21]
	s_cbranch_execz .LBB2740_68
; %bb.67:
	v_mov_b32_e32 v2, 0
	ds_write_b32 v2, v3 offset:28
.LBB2740_68:
	s_or_b64 exec, exec, s[0:1]
	v_mov_b32_e32 v14, 0
	s_waitcnt lgkmcnt(0)
	s_barrier
	ds_read_b32 v2, v14 offset:28
	v_cndmask_b32_e64 v3, v13, v12, s[18:19]
	v_cndmask_b32_e64 v3, v3, 0, s[20:21]
	s_waitcnt lgkmcnt(0)
	s_barrier
	v_add_u32_e32 v2, v2, v3
	v_add_u32_e32 v3, v2, v54
	;; [unrolled: 1-line block ×10, first 2 shown]
	ds_read_b64 v[36:37], v14 offset:30720
	v_add_u32_e32 v12, v11, v63
	v_add_u32_e32 v13, v12, v64
	;; [unrolled: 1-line block ×5, first 2 shown]
	s_waitcnt lgkmcnt(0)
	v_mov_b32_e32 v38, v37
	s_branch .LBB2740_79
.LBB2740_69:
                                        ; implicit-def: $vgpr38
                                        ; implicit-def: $vgpr36
                                        ; implicit-def: $vgpr2_vgpr3_vgpr4_vgpr5_vgpr6_vgpr7_vgpr8_vgpr9_vgpr10_vgpr11_vgpr12_vgpr13_vgpr14_vgpr15_vgpr16_vgpr17
	s_cbranch_execz .LBB2740_79
; %bb.70:
	s_nop 0
	v_mov_b32_dpp v2, v70 row_shr:1 row_mask:0xf bank_mask:0xf
	v_cndmask_b32_e64 v2, v2, 0, s[16:17]
	v_add_u32_e32 v2, v2, v70
	s_nop 1
	v_mov_b32_dpp v3, v2 row_shr:2 row_mask:0xf bank_mask:0xf
	v_cndmask_b32_e64 v3, 0, v3, s[14:15]
	v_add_u32_e32 v2, v2, v3
	;; [unrolled: 4-line block ×4, first 2 shown]
	s_nop 1
	v_mov_b32_dpp v3, v2 row_bcast:15 row_mask:0xf bank_mask:0xf
	v_cndmask_b32_e64 v3, v3, 0, s[8:9]
	v_add_u32_e32 v2, v2, v3
	s_nop 1
	v_mov_b32_dpp v3, v2 row_bcast:31 row_mask:0xf bank_mask:0xf
	v_cndmask_b32_e64 v3, 0, v3, s[4:5]
	v_add_u32_e32 v2, v2, v3
	s_and_saveexec_b64 s[0:1], s[6:7]
	s_cbranch_execz .LBB2740_72
; %bb.71:
	v_lshlrev_b32_e32 v3, 2, v69
	ds_write_b32 v3, v2
.LBB2740_72:
	s_or_b64 exec, exec, s[0:1]
	v_cmp_gt_u32_e32 vcc, 8, v0
	s_waitcnt lgkmcnt(0)
	s_barrier
	s_and_saveexec_b64 s[0:1], vcc
	s_cbranch_execz .LBB2740_74
; %bb.73:
	ds_read_b32 v3, v20
	v_and_b32_e32 v4, 7, v68
	v_cmp_ne_u32_e32 vcc, 0, v4
	s_waitcnt lgkmcnt(0)
	v_mov_b32_dpp v5, v3 row_shr:1 row_mask:0xf bank_mask:0xf
	v_cndmask_b32_e32 v5, 0, v5, vcc
	v_add_u32_e32 v3, v5, v3
	v_cmp_lt_u32_e32 vcc, 1, v4
	s_nop 0
	v_mov_b32_dpp v5, v3 row_shr:2 row_mask:0xf bank_mask:0xf
	v_cndmask_b32_e32 v5, 0, v5, vcc
	v_add_u32_e32 v3, v3, v5
	v_cmp_lt_u32_e32 vcc, 3, v4
	s_nop 0
	v_mov_b32_dpp v5, v3 row_shr:4 row_mask:0xf bank_mask:0xf
	v_cndmask_b32_e32 v4, 0, v5, vcc
	v_add_u32_e32 v3, v3, v4
	ds_write_b32 v20, v3
.LBB2740_74:
	s_or_b64 exec, exec, s[0:1]
	v_cmp_lt_u32_e32 vcc, 63, v0
	v_mov_b32_e32 v4, 0
	v_mov_b32_e32 v3, 0
	s_waitcnt lgkmcnt(0)
	s_barrier
	s_and_saveexec_b64 s[0:1], vcc
	s_cbranch_execz .LBB2740_76
; %bb.75:
	v_lshl_add_u32 v3, v69, 2, -4
	ds_read_b32 v3, v3
.LBB2740_76:
	s_or_b64 exec, exec, s[0:1]
	v_add_u32_e32 v5, -1, v68
	v_and_b32_e32 v6, 64, v68
	v_cmp_lt_i32_e32 vcc, v5, v6
	s_waitcnt lgkmcnt(0)
	v_add_u32_e32 v2, v3, v2
	ds_read_b32 v36, v4 offset:28
	v_cndmask_b32_e32 v5, v5, v68, vcc
	v_lshlrev_b32_e32 v5, 2, v5
	ds_bpermute_b32 v2, v5, v2
	s_and_saveexec_b64 s[0:1], s[20:21]
	s_cbranch_execz .LBB2740_78
; %bb.77:
	v_mov_b32_e32 v4, 0
	v_mov_b32_e32 v37, 2
	s_waitcnt lgkmcnt(1)
	global_store_dwordx2 v4, v[36:37], s[30:31] offset:512 sc1
.LBB2740_78:
	s_or_b64 exec, exec, s[0:1]
	v_cmp_eq_u32_e32 vcc, 0, v68
	v_mov_b32_e32 v38, 0
	s_waitcnt lgkmcnt(0)
	v_cndmask_b32_e32 v2, v2, v3, vcc
	v_cndmask_b32_e64 v2, v2, 0, s[20:21]
	v_add_u32_e32 v3, v2, v54
	v_add_u32_e32 v4, v3, v55
	;; [unrolled: 1-line block ×14, first 2 shown]
	s_barrier
.LBB2740_79:
	v_add_u32_e32 v17, v36, v40
	v_sub_u32_e32 v2, v2, v38
	v_and_b32_e32 v40, 1, v53
	v_sub_u32_e32 v37, v17, v2
	v_cmp_eq_u32_e32 vcc, 1, v40
	s_nop 1
	v_cndmask_b32_e32 v2, v37, v2, vcc
	v_lshlrev_b32_e32 v2, 2, v2
	ds_write_b32 v2, v34
	v_sub_u32_e32 v2, v3, v38
	v_sub_u32_e32 v3, v17, v2
	v_and_b32_e32 v34, 1, v52
	v_add_u32_e32 v3, 1, v3
	v_cmp_eq_u32_e32 vcc, 1, v34
	v_or_b32_e32 v37, 0x200, v0
	v_or_b32_e32 v34, 0x600, v0
	v_cndmask_b32_e32 v2, v3, v2, vcc
	v_lshlrev_b32_e32 v2, 2, v2
	ds_write_b32 v2, v35
	v_sub_u32_e32 v2, v4, v38
	v_sub_u32_e32 v3, v17, v2
	v_and_b32_e32 v4, 1, v51
	v_add_u32_e32 v3, 2, v3
	v_cmp_eq_u32_e32 vcc, 1, v4
	v_and_b32_e32 v4, 1, v50
	v_or_b32_e32 v35, 0x400, v0
	v_cndmask_b32_e32 v2, v3, v2, vcc
	v_lshlrev_b32_e32 v2, 2, v2
	ds_write_b32 v2, v32
	v_sub_u32_e32 v2, v5, v38
	v_sub_u32_e32 v3, v17, v2
	v_add_u32_e32 v3, 3, v3
	v_cmp_eq_u32_e32 vcc, 1, v4
	v_and_b32_e32 v4, 1, v49
	v_or_b32_e32 v32, 0xa00, v0
	v_cndmask_b32_e32 v2, v3, v2, vcc
	v_lshlrev_b32_e32 v2, 2, v2
	ds_write_b32 v2, v33
	v_sub_u32_e32 v2, v6, v38
	v_sub_u32_e32 v3, v17, v2
	;; [unrolled: 9-line block ×12, first 2 shown]
	v_add_u32_e32 v3, 14, v3
	v_cmp_eq_u32_e32 vcc, 1, v4
	s_waitcnt vmcnt(0)
	v_lshlrev_b64 v[22:23], 2, v[18:19]
	v_cndmask_b32_e32 v2, v3, v2, vcc
	v_lshlrev_b32_e32 v2, 2, v2
	ds_write_b32 v2, v1
	s_waitcnt lgkmcnt(0)
	s_barrier
	ds_read2st64_b32 v[16:17], v20 offset1:8
	ds_read2st64_b32 v[14:15], v20 offset0:16 offset1:24
	ds_read2st64_b32 v[12:13], v20 offset0:32 offset1:40
	;; [unrolled: 1-line block ×6, first 2 shown]
	ds_read_b32 v1, v20 offset:28672
	s_and_b64 vcc, exec, s[2:3]
	s_cbranch_vccnz .LBB2740_96
; %bb.80:
	v_mov_b32_e32 v39, 0
	v_lshl_add_u64 v[4:5], s[28:29], 0, v[22:23]
	v_lshlrev_b64 v[40:41], 2, v[38:39]
	v_lshl_add_u64 v[4:5], v[4:5], 0, v[40:41]
	v_cmp_gt_u32_e32 vcc, v36, v0
	s_and_saveexec_b64 s[0:1], vcc
	s_cbranch_execnz .LBB2740_118
; %bb.81:
	s_or_b64 exec, exec, s[0:1]
	v_cmp_lt_u32_e32 vcc, v37, v36
	s_and_saveexec_b64 s[0:1], vcc
	s_cbranch_execnz .LBB2740_119
.LBB2740_82:
	s_or_b64 exec, exec, s[0:1]
	v_cmp_lt_u32_e32 vcc, v35, v36
	s_and_saveexec_b64 s[0:1], vcc
	s_cbranch_execnz .LBB2740_120
.LBB2740_83:
	s_or_b64 exec, exec, s[0:1]
	v_cmp_lt_u32_e32 vcc, v34, v36
	s_and_saveexec_b64 s[0:1], vcc
	s_cbranch_execnz .LBB2740_121
.LBB2740_84:
	s_or_b64 exec, exec, s[0:1]
	v_cmp_lt_u32_e32 vcc, v33, v36
	s_and_saveexec_b64 s[0:1], vcc
	s_cbranch_execnz .LBB2740_122
.LBB2740_85:
	s_or_b64 exec, exec, s[0:1]
	v_cmp_lt_u32_e32 vcc, v32, v36
	s_and_saveexec_b64 s[0:1], vcc
	s_cbranch_execnz .LBB2740_123
.LBB2740_86:
	s_or_b64 exec, exec, s[0:1]
	v_cmp_lt_u32_e32 vcc, v31, v36
	s_and_saveexec_b64 s[0:1], vcc
	s_cbranch_execnz .LBB2740_124
.LBB2740_87:
	s_or_b64 exec, exec, s[0:1]
	v_cmp_lt_u32_e32 vcc, v30, v36
	s_and_saveexec_b64 s[0:1], vcc
	s_cbranch_execnz .LBB2740_125
.LBB2740_88:
	s_or_b64 exec, exec, s[0:1]
	v_cmp_lt_u32_e32 vcc, v29, v36
	s_and_saveexec_b64 s[0:1], vcc
	s_cbranch_execnz .LBB2740_126
.LBB2740_89:
	s_or_b64 exec, exec, s[0:1]
	v_cmp_lt_u32_e32 vcc, v28, v36
	s_and_saveexec_b64 s[0:1], vcc
	s_cbranch_execnz .LBB2740_127
.LBB2740_90:
	s_or_b64 exec, exec, s[0:1]
	v_cmp_lt_u32_e32 vcc, v27, v36
	s_and_saveexec_b64 s[0:1], vcc
	s_cbranch_execnz .LBB2740_128
.LBB2740_91:
	s_or_b64 exec, exec, s[0:1]
	v_cmp_lt_u32_e32 vcc, v26, v36
	s_and_saveexec_b64 s[0:1], vcc
	s_cbranch_execnz .LBB2740_129
.LBB2740_92:
	s_or_b64 exec, exec, s[0:1]
	v_cmp_lt_u32_e32 vcc, v25, v36
	s_and_saveexec_b64 s[0:1], vcc
	s_cbranch_execnz .LBB2740_130
.LBB2740_93:
	s_or_b64 exec, exec, s[0:1]
	v_cmp_lt_u32_e32 vcc, v24, v36
	s_and_saveexec_b64 s[0:1], vcc
	s_cbranch_execz .LBB2740_95
.LBB2740_94:
	v_lshlrev_b32_e32 v39, 2, v24
	v_readfirstlane_b32 s2, v4
	v_readfirstlane_b32 s3, v5
	s_waitcnt lgkmcnt(1)
	s_nop 3
	global_store_dword v39, v3, s[2:3]
.LBB2740_95:
	s_or_b64 exec, exec, s[0:1]
	v_cmp_lt_u32_e64 s[0:1], v21, v36
	s_branch .LBB2740_113
.LBB2740_96:
	s_mov_b64 s[0:1], 0
                                        ; implicit-def: $vgpr4_vgpr5
	s_cbranch_execz .LBB2740_113
; %bb.97:
	v_mov_b32_e32 v39, 0
	v_min_u32_e32 v40, s33, v36
	v_lshl_add_u64 v[4:5], s[28:29], 0, v[22:23]
	v_lshlrev_b64 v[22:23], 2, v[38:39]
	v_lshl_add_u64 v[4:5], v[4:5], 0, v[22:23]
	v_cmp_gt_u32_e32 vcc, v40, v0
	s_and_saveexec_b64 s[0:1], vcc
	s_cbranch_execnz .LBB2740_131
; %bb.98:
	s_or_b64 exec, exec, s[0:1]
	v_cmp_lt_u32_e32 vcc, v37, v40
	s_and_saveexec_b64 s[0:1], vcc
	s_cbranch_execnz .LBB2740_132
.LBB2740_99:
	s_or_b64 exec, exec, s[0:1]
	v_cmp_lt_u32_e32 vcc, v35, v40
	s_and_saveexec_b64 s[0:1], vcc
	s_cbranch_execnz .LBB2740_133
.LBB2740_100:
	s_or_b64 exec, exec, s[0:1]
	v_cmp_lt_u32_e32 vcc, v34, v40
	s_and_saveexec_b64 s[0:1], vcc
	s_cbranch_execnz .LBB2740_134
.LBB2740_101:
	s_or_b64 exec, exec, s[0:1]
	v_cmp_lt_u32_e32 vcc, v33, v40
	s_and_saveexec_b64 s[0:1], vcc
	s_cbranch_execnz .LBB2740_135
.LBB2740_102:
	s_or_b64 exec, exec, s[0:1]
	v_cmp_lt_u32_e32 vcc, v32, v40
	s_and_saveexec_b64 s[0:1], vcc
	s_cbranch_execnz .LBB2740_136
.LBB2740_103:
	s_or_b64 exec, exec, s[0:1]
	v_cmp_lt_u32_e32 vcc, v31, v40
	s_and_saveexec_b64 s[0:1], vcc
	s_cbranch_execnz .LBB2740_137
.LBB2740_104:
	s_or_b64 exec, exec, s[0:1]
	v_cmp_lt_u32_e32 vcc, v30, v40
	s_and_saveexec_b64 s[0:1], vcc
	s_cbranch_execnz .LBB2740_138
.LBB2740_105:
	s_or_b64 exec, exec, s[0:1]
	v_cmp_lt_u32_e32 vcc, v29, v40
	s_and_saveexec_b64 s[0:1], vcc
	s_cbranch_execnz .LBB2740_139
.LBB2740_106:
	s_or_b64 exec, exec, s[0:1]
	v_cmp_lt_u32_e32 vcc, v28, v40
	s_and_saveexec_b64 s[0:1], vcc
	s_cbranch_execnz .LBB2740_140
.LBB2740_107:
	s_or_b64 exec, exec, s[0:1]
	v_cmp_lt_u32_e32 vcc, v27, v40
	s_and_saveexec_b64 s[0:1], vcc
	s_cbranch_execnz .LBB2740_141
.LBB2740_108:
	s_or_b64 exec, exec, s[0:1]
	v_cmp_lt_u32_e32 vcc, v26, v40
	s_and_saveexec_b64 s[0:1], vcc
	s_cbranch_execnz .LBB2740_142
.LBB2740_109:
	s_or_b64 exec, exec, s[0:1]
	v_cmp_lt_u32_e32 vcc, v25, v40
	s_and_saveexec_b64 s[0:1], vcc
	s_cbranch_execnz .LBB2740_143
.LBB2740_110:
	s_or_b64 exec, exec, s[0:1]
	v_cmp_lt_u32_e32 vcc, v24, v40
	s_and_saveexec_b64 s[0:1], vcc
	s_cbranch_execz .LBB2740_112
.LBB2740_111:
	v_lshlrev_b32_e32 v0, 2, v24
	v_readfirstlane_b32 s2, v4
	v_readfirstlane_b32 s3, v5
	s_waitcnt lgkmcnt(1)
	s_nop 3
	global_store_dword v0, v3, s[2:3]
.LBB2740_112:
	s_or_b64 exec, exec, s[0:1]
	v_cmp_lt_u32_e64 s[0:1], v21, v40
.LBB2740_113:
	s_and_saveexec_b64 s[2:3], s[0:1]
	s_cbranch_execnz .LBB2740_116
; %bb.114:
	s_or_b64 exec, exec, s[2:3]
	s_and_b64 s[0:1], s[20:21], s[22:23]
	s_and_saveexec_b64 s[2:3], s[0:1]
	s_cbranch_execnz .LBB2740_117
.LBB2740_115:
	s_endpgm
.LBB2740_116:
	v_lshlrev_b32_e32 v0, 2, v21
	v_readfirstlane_b32 s0, v4
	v_readfirstlane_b32 s1, v5
	s_waitcnt lgkmcnt(0)
	s_nop 3
	global_store_dword v0, v1, s[0:1]
	s_or_b64 exec, exec, s[2:3]
	s_and_b64 s[0:1], s[20:21], s[22:23]
	s_and_saveexec_b64 s[2:3], s[0:1]
	s_cbranch_execz .LBB2740_115
.LBB2740_117:
	v_mov_b32_e32 v37, 0
	s_waitcnt lgkmcnt(0)
	v_lshl_add_u64 v[0:1], v[18:19], 0, v[36:37]
	v_mov_b32_e32 v39, v37
	v_lshl_add_u64 v[0:1], v[0:1], 0, v[38:39]
	global_store_dwordx2 v37, v[0:1], s[24:25]
	s_endpgm
.LBB2740_118:
	v_readfirstlane_b32 s2, v4
	v_readfirstlane_b32 s3, v5
	s_waitcnt lgkmcnt(7)
	s_nop 3
	global_store_dword v20, v16, s[2:3]
	s_or_b64 exec, exec, s[0:1]
	v_cmp_lt_u32_e32 vcc, v37, v36
	s_and_saveexec_b64 s[0:1], vcc
	s_cbranch_execz .LBB2740_82
.LBB2740_119:
	v_readfirstlane_b32 s2, v4
	v_readfirstlane_b32 s3, v5
	s_waitcnt lgkmcnt(7)
	s_nop 3
	global_store_dword v20, v17, s[2:3] offset:2048
	s_or_b64 exec, exec, s[0:1]
	v_cmp_lt_u32_e32 vcc, v35, v36
	s_and_saveexec_b64 s[0:1], vcc
	s_cbranch_execz .LBB2740_83
.LBB2740_120:
	v_lshlrev_b32_e32 v39, 2, v35
	v_readfirstlane_b32 s2, v4
	v_readfirstlane_b32 s3, v5
	s_waitcnt lgkmcnt(6)
	s_nop 3
	global_store_dword v39, v14, s[2:3]
	s_or_b64 exec, exec, s[0:1]
	v_cmp_lt_u32_e32 vcc, v34, v36
	s_and_saveexec_b64 s[0:1], vcc
	s_cbranch_execz .LBB2740_84
.LBB2740_121:
	v_lshlrev_b32_e32 v39, 2, v34
	v_readfirstlane_b32 s2, v4
	v_readfirstlane_b32 s3, v5
	s_waitcnt lgkmcnt(6)
	s_nop 3
	global_store_dword v39, v15, s[2:3]
	s_or_b64 exec, exec, s[0:1]
	v_cmp_lt_u32_e32 vcc, v33, v36
	s_and_saveexec_b64 s[0:1], vcc
	s_cbranch_execz .LBB2740_85
.LBB2740_122:
	v_lshlrev_b32_e32 v39, 2, v33
	v_readfirstlane_b32 s2, v4
	v_readfirstlane_b32 s3, v5
	s_waitcnt lgkmcnt(5)
	s_nop 3
	global_store_dword v39, v12, s[2:3]
	s_or_b64 exec, exec, s[0:1]
	v_cmp_lt_u32_e32 vcc, v32, v36
	s_and_saveexec_b64 s[0:1], vcc
	s_cbranch_execz .LBB2740_86
.LBB2740_123:
	v_lshlrev_b32_e32 v39, 2, v32
	v_readfirstlane_b32 s2, v4
	v_readfirstlane_b32 s3, v5
	s_waitcnt lgkmcnt(5)
	s_nop 3
	global_store_dword v39, v13, s[2:3]
	s_or_b64 exec, exec, s[0:1]
	v_cmp_lt_u32_e32 vcc, v31, v36
	s_and_saveexec_b64 s[0:1], vcc
	s_cbranch_execz .LBB2740_87
.LBB2740_124:
	v_lshlrev_b32_e32 v39, 2, v31
	v_readfirstlane_b32 s2, v4
	v_readfirstlane_b32 s3, v5
	s_waitcnt lgkmcnt(4)
	s_nop 3
	global_store_dword v39, v10, s[2:3]
	s_or_b64 exec, exec, s[0:1]
	v_cmp_lt_u32_e32 vcc, v30, v36
	s_and_saveexec_b64 s[0:1], vcc
	s_cbranch_execz .LBB2740_88
.LBB2740_125:
	v_lshlrev_b32_e32 v39, 2, v30
	v_readfirstlane_b32 s2, v4
	v_readfirstlane_b32 s3, v5
	s_waitcnt lgkmcnt(4)
	s_nop 3
	global_store_dword v39, v11, s[2:3]
	s_or_b64 exec, exec, s[0:1]
	v_cmp_lt_u32_e32 vcc, v29, v36
	s_and_saveexec_b64 s[0:1], vcc
	s_cbranch_execz .LBB2740_89
.LBB2740_126:
	v_lshlrev_b32_e32 v39, 2, v29
	v_readfirstlane_b32 s2, v4
	v_readfirstlane_b32 s3, v5
	s_waitcnt lgkmcnt(3)
	s_nop 3
	global_store_dword v39, v8, s[2:3]
	s_or_b64 exec, exec, s[0:1]
	v_cmp_lt_u32_e32 vcc, v28, v36
	s_and_saveexec_b64 s[0:1], vcc
	s_cbranch_execz .LBB2740_90
.LBB2740_127:
	v_lshlrev_b32_e32 v39, 2, v28
	v_readfirstlane_b32 s2, v4
	v_readfirstlane_b32 s3, v5
	s_waitcnt lgkmcnt(3)
	s_nop 3
	global_store_dword v39, v9, s[2:3]
	s_or_b64 exec, exec, s[0:1]
	v_cmp_lt_u32_e32 vcc, v27, v36
	s_and_saveexec_b64 s[0:1], vcc
	s_cbranch_execz .LBB2740_91
.LBB2740_128:
	v_lshlrev_b32_e32 v39, 2, v27
	v_readfirstlane_b32 s2, v4
	v_readfirstlane_b32 s3, v5
	s_waitcnt lgkmcnt(2)
	s_nop 3
	global_store_dword v39, v6, s[2:3]
	s_or_b64 exec, exec, s[0:1]
	v_cmp_lt_u32_e32 vcc, v26, v36
	s_and_saveexec_b64 s[0:1], vcc
	s_cbranch_execz .LBB2740_92
.LBB2740_129:
	v_lshlrev_b32_e32 v39, 2, v26
	v_readfirstlane_b32 s2, v4
	v_readfirstlane_b32 s3, v5
	s_waitcnt lgkmcnt(2)
	s_nop 3
	global_store_dword v39, v7, s[2:3]
	s_or_b64 exec, exec, s[0:1]
	v_cmp_lt_u32_e32 vcc, v25, v36
	s_and_saveexec_b64 s[0:1], vcc
	s_cbranch_execz .LBB2740_93
.LBB2740_130:
	v_lshlrev_b32_e32 v39, 2, v25
	v_readfirstlane_b32 s2, v4
	v_readfirstlane_b32 s3, v5
	s_waitcnt lgkmcnt(1)
	s_nop 3
	global_store_dword v39, v2, s[2:3]
	s_or_b64 exec, exec, s[0:1]
	v_cmp_lt_u32_e32 vcc, v24, v36
	s_and_saveexec_b64 s[0:1], vcc
	s_cbranch_execnz .LBB2740_94
	s_branch .LBB2740_95
.LBB2740_131:
	v_readfirstlane_b32 s2, v4
	v_readfirstlane_b32 s3, v5
	s_waitcnt lgkmcnt(7)
	s_nop 3
	global_store_dword v20, v16, s[2:3]
	s_or_b64 exec, exec, s[0:1]
	v_cmp_lt_u32_e32 vcc, v37, v40
	s_and_saveexec_b64 s[0:1], vcc
	s_cbranch_execz .LBB2740_99
.LBB2740_132:
	v_readfirstlane_b32 s2, v4
	v_readfirstlane_b32 s3, v5
	s_waitcnt lgkmcnt(7)
	s_nop 3
	global_store_dword v20, v17, s[2:3] offset:2048
	s_or_b64 exec, exec, s[0:1]
	v_cmp_lt_u32_e32 vcc, v35, v40
	s_and_saveexec_b64 s[0:1], vcc
	s_cbranch_execz .LBB2740_100
.LBB2740_133:
	v_lshlrev_b32_e32 v0, 2, v35
	v_readfirstlane_b32 s2, v4
	v_readfirstlane_b32 s3, v5
	s_waitcnt lgkmcnt(6)
	s_nop 3
	global_store_dword v0, v14, s[2:3]
	s_or_b64 exec, exec, s[0:1]
	v_cmp_lt_u32_e32 vcc, v34, v40
	s_and_saveexec_b64 s[0:1], vcc
	s_cbranch_execz .LBB2740_101
.LBB2740_134:
	v_lshlrev_b32_e32 v0, 2, v34
	v_readfirstlane_b32 s2, v4
	v_readfirstlane_b32 s3, v5
	s_waitcnt lgkmcnt(6)
	s_nop 3
	global_store_dword v0, v15, s[2:3]
	s_or_b64 exec, exec, s[0:1]
	v_cmp_lt_u32_e32 vcc, v33, v40
	s_and_saveexec_b64 s[0:1], vcc
	s_cbranch_execz .LBB2740_102
.LBB2740_135:
	v_lshlrev_b32_e32 v0, 2, v33
	v_readfirstlane_b32 s2, v4
	v_readfirstlane_b32 s3, v5
	s_waitcnt lgkmcnt(5)
	s_nop 3
	global_store_dword v0, v12, s[2:3]
	s_or_b64 exec, exec, s[0:1]
	v_cmp_lt_u32_e32 vcc, v32, v40
	s_and_saveexec_b64 s[0:1], vcc
	s_cbranch_execz .LBB2740_103
.LBB2740_136:
	v_lshlrev_b32_e32 v0, 2, v32
	v_readfirstlane_b32 s2, v4
	v_readfirstlane_b32 s3, v5
	s_waitcnt lgkmcnt(5)
	s_nop 3
	global_store_dword v0, v13, s[2:3]
	s_or_b64 exec, exec, s[0:1]
	v_cmp_lt_u32_e32 vcc, v31, v40
	s_and_saveexec_b64 s[0:1], vcc
	s_cbranch_execz .LBB2740_104
.LBB2740_137:
	v_lshlrev_b32_e32 v0, 2, v31
	v_readfirstlane_b32 s2, v4
	v_readfirstlane_b32 s3, v5
	s_waitcnt lgkmcnt(4)
	s_nop 3
	global_store_dword v0, v10, s[2:3]
	s_or_b64 exec, exec, s[0:1]
	v_cmp_lt_u32_e32 vcc, v30, v40
	s_and_saveexec_b64 s[0:1], vcc
	s_cbranch_execz .LBB2740_105
.LBB2740_138:
	v_lshlrev_b32_e32 v0, 2, v30
	v_readfirstlane_b32 s2, v4
	v_readfirstlane_b32 s3, v5
	s_waitcnt lgkmcnt(4)
	s_nop 3
	global_store_dword v0, v11, s[2:3]
	s_or_b64 exec, exec, s[0:1]
	v_cmp_lt_u32_e32 vcc, v29, v40
	s_and_saveexec_b64 s[0:1], vcc
	s_cbranch_execz .LBB2740_106
.LBB2740_139:
	v_lshlrev_b32_e32 v0, 2, v29
	v_readfirstlane_b32 s2, v4
	v_readfirstlane_b32 s3, v5
	s_waitcnt lgkmcnt(3)
	s_nop 3
	global_store_dword v0, v8, s[2:3]
	s_or_b64 exec, exec, s[0:1]
	v_cmp_lt_u32_e32 vcc, v28, v40
	s_and_saveexec_b64 s[0:1], vcc
	s_cbranch_execz .LBB2740_107
.LBB2740_140:
	v_lshlrev_b32_e32 v0, 2, v28
	v_readfirstlane_b32 s2, v4
	v_readfirstlane_b32 s3, v5
	s_waitcnt lgkmcnt(3)
	s_nop 3
	global_store_dword v0, v9, s[2:3]
	s_or_b64 exec, exec, s[0:1]
	v_cmp_lt_u32_e32 vcc, v27, v40
	s_and_saveexec_b64 s[0:1], vcc
	s_cbranch_execz .LBB2740_108
.LBB2740_141:
	v_lshlrev_b32_e32 v0, 2, v27
	v_readfirstlane_b32 s2, v4
	v_readfirstlane_b32 s3, v5
	s_waitcnt lgkmcnt(2)
	s_nop 3
	global_store_dword v0, v6, s[2:3]
	s_or_b64 exec, exec, s[0:1]
	v_cmp_lt_u32_e32 vcc, v26, v40
	s_and_saveexec_b64 s[0:1], vcc
	s_cbranch_execz .LBB2740_109
.LBB2740_142:
	v_lshlrev_b32_e32 v0, 2, v26
	v_readfirstlane_b32 s2, v4
	v_readfirstlane_b32 s3, v5
	s_waitcnt lgkmcnt(2)
	s_nop 3
	global_store_dword v0, v7, s[2:3]
	s_or_b64 exec, exec, s[0:1]
	v_cmp_lt_u32_e32 vcc, v25, v40
	s_and_saveexec_b64 s[0:1], vcc
	s_cbranch_execz .LBB2740_110
.LBB2740_143:
	v_lshlrev_b32_e32 v0, 2, v25
	v_readfirstlane_b32 s2, v4
	v_readfirstlane_b32 s3, v5
	s_waitcnt lgkmcnt(1)
	s_nop 3
	global_store_dword v0, v2, s[2:3]
	s_or_b64 exec, exec, s[0:1]
	v_cmp_lt_u32_e32 vcc, v24, v40
	s_and_saveexec_b64 s[0:1], vcc
	s_cbranch_execnz .LBB2740_111
	s_branch .LBB2740_112
	.section	.rodata,"a",@progbits
	.p2align	6, 0x0
	.amdhsa_kernel _ZN7rocprim17ROCPRIM_400000_NS6detail17trampoline_kernelINS0_14default_configENS1_25partition_config_selectorILNS1_17partition_subalgoE0EiNS0_10empty_typeEbEEZZNS1_14partition_implILS5_0ELb0ES3_jN6thrust23THRUST_200600_302600_NS6detail15normal_iteratorINSA_10device_ptrIiEEEEPS6_SG_NS0_5tupleIJSF_NSA_16discard_iteratorINSA_11use_defaultEEEEEENSH_IJSG_SG_EEES6_PlJ7is_evenIiEEEE10hipError_tPvRmT3_T4_T5_T6_T7_T9_mT8_P12ihipStream_tbDpT10_ENKUlT_T0_E_clISt17integral_constantIbLb0EES18_IbLb1EEEEDaS14_S15_EUlS14_E_NS1_11comp_targetILNS1_3genE5ELNS1_11target_archE942ELNS1_3gpuE9ELNS1_3repE0EEENS1_30default_config_static_selectorELNS0_4arch9wavefront6targetE1EEEvT1_
		.amdhsa_group_segment_fixed_size 30728
		.amdhsa_private_segment_fixed_size 0
		.amdhsa_kernarg_size 144
		.amdhsa_user_sgpr_count 2
		.amdhsa_user_sgpr_dispatch_ptr 0
		.amdhsa_user_sgpr_queue_ptr 0
		.amdhsa_user_sgpr_kernarg_segment_ptr 1
		.amdhsa_user_sgpr_dispatch_id 0
		.amdhsa_user_sgpr_kernarg_preload_length 0
		.amdhsa_user_sgpr_kernarg_preload_offset 0
		.amdhsa_user_sgpr_private_segment_size 0
		.amdhsa_uses_dynamic_stack 0
		.amdhsa_enable_private_segment 0
		.amdhsa_system_sgpr_workgroup_id_x 1
		.amdhsa_system_sgpr_workgroup_id_y 0
		.amdhsa_system_sgpr_workgroup_id_z 0
		.amdhsa_system_sgpr_workgroup_info 0
		.amdhsa_system_vgpr_workitem_id 0
		.amdhsa_next_free_vgpr 78
		.amdhsa_next_free_sgpr 40
		.amdhsa_accum_offset 80
		.amdhsa_reserve_vcc 1
		.amdhsa_float_round_mode_32 0
		.amdhsa_float_round_mode_16_64 0
		.amdhsa_float_denorm_mode_32 3
		.amdhsa_float_denorm_mode_16_64 3
		.amdhsa_dx10_clamp 1
		.amdhsa_ieee_mode 1
		.amdhsa_fp16_overflow 0
		.amdhsa_tg_split 0
		.amdhsa_exception_fp_ieee_invalid_op 0
		.amdhsa_exception_fp_denorm_src 0
		.amdhsa_exception_fp_ieee_div_zero 0
		.amdhsa_exception_fp_ieee_overflow 0
		.amdhsa_exception_fp_ieee_underflow 0
		.amdhsa_exception_fp_ieee_inexact 0
		.amdhsa_exception_int_div_zero 0
	.end_amdhsa_kernel
	.section	.text._ZN7rocprim17ROCPRIM_400000_NS6detail17trampoline_kernelINS0_14default_configENS1_25partition_config_selectorILNS1_17partition_subalgoE0EiNS0_10empty_typeEbEEZZNS1_14partition_implILS5_0ELb0ES3_jN6thrust23THRUST_200600_302600_NS6detail15normal_iteratorINSA_10device_ptrIiEEEEPS6_SG_NS0_5tupleIJSF_NSA_16discard_iteratorINSA_11use_defaultEEEEEENSH_IJSG_SG_EEES6_PlJ7is_evenIiEEEE10hipError_tPvRmT3_T4_T5_T6_T7_T9_mT8_P12ihipStream_tbDpT10_ENKUlT_T0_E_clISt17integral_constantIbLb0EES18_IbLb1EEEEDaS14_S15_EUlS14_E_NS1_11comp_targetILNS1_3genE5ELNS1_11target_archE942ELNS1_3gpuE9ELNS1_3repE0EEENS1_30default_config_static_selectorELNS0_4arch9wavefront6targetE1EEEvT1_,"axG",@progbits,_ZN7rocprim17ROCPRIM_400000_NS6detail17trampoline_kernelINS0_14default_configENS1_25partition_config_selectorILNS1_17partition_subalgoE0EiNS0_10empty_typeEbEEZZNS1_14partition_implILS5_0ELb0ES3_jN6thrust23THRUST_200600_302600_NS6detail15normal_iteratorINSA_10device_ptrIiEEEEPS6_SG_NS0_5tupleIJSF_NSA_16discard_iteratorINSA_11use_defaultEEEEEENSH_IJSG_SG_EEES6_PlJ7is_evenIiEEEE10hipError_tPvRmT3_T4_T5_T6_T7_T9_mT8_P12ihipStream_tbDpT10_ENKUlT_T0_E_clISt17integral_constantIbLb0EES18_IbLb1EEEEDaS14_S15_EUlS14_E_NS1_11comp_targetILNS1_3genE5ELNS1_11target_archE942ELNS1_3gpuE9ELNS1_3repE0EEENS1_30default_config_static_selectorELNS0_4arch9wavefront6targetE1EEEvT1_,comdat
.Lfunc_end2740:
	.size	_ZN7rocprim17ROCPRIM_400000_NS6detail17trampoline_kernelINS0_14default_configENS1_25partition_config_selectorILNS1_17partition_subalgoE0EiNS0_10empty_typeEbEEZZNS1_14partition_implILS5_0ELb0ES3_jN6thrust23THRUST_200600_302600_NS6detail15normal_iteratorINSA_10device_ptrIiEEEEPS6_SG_NS0_5tupleIJSF_NSA_16discard_iteratorINSA_11use_defaultEEEEEENSH_IJSG_SG_EEES6_PlJ7is_evenIiEEEE10hipError_tPvRmT3_T4_T5_T6_T7_T9_mT8_P12ihipStream_tbDpT10_ENKUlT_T0_E_clISt17integral_constantIbLb0EES18_IbLb1EEEEDaS14_S15_EUlS14_E_NS1_11comp_targetILNS1_3genE5ELNS1_11target_archE942ELNS1_3gpuE9ELNS1_3repE0EEENS1_30default_config_static_selectorELNS0_4arch9wavefront6targetE1EEEvT1_, .Lfunc_end2740-_ZN7rocprim17ROCPRIM_400000_NS6detail17trampoline_kernelINS0_14default_configENS1_25partition_config_selectorILNS1_17partition_subalgoE0EiNS0_10empty_typeEbEEZZNS1_14partition_implILS5_0ELb0ES3_jN6thrust23THRUST_200600_302600_NS6detail15normal_iteratorINSA_10device_ptrIiEEEEPS6_SG_NS0_5tupleIJSF_NSA_16discard_iteratorINSA_11use_defaultEEEEEENSH_IJSG_SG_EEES6_PlJ7is_evenIiEEEE10hipError_tPvRmT3_T4_T5_T6_T7_T9_mT8_P12ihipStream_tbDpT10_ENKUlT_T0_E_clISt17integral_constantIbLb0EES18_IbLb1EEEEDaS14_S15_EUlS14_E_NS1_11comp_targetILNS1_3genE5ELNS1_11target_archE942ELNS1_3gpuE9ELNS1_3repE0EEENS1_30default_config_static_selectorELNS0_4arch9wavefront6targetE1EEEvT1_
                                        ; -- End function
	.section	.AMDGPU.csdata,"",@progbits
; Kernel info:
; codeLenInByte = 6852
; NumSgprs: 46
; NumVgprs: 78
; NumAgprs: 0
; TotalNumVgprs: 78
; ScratchSize: 0
; MemoryBound: 0
; FloatMode: 240
; IeeeMode: 1
; LDSByteSize: 30728 bytes/workgroup (compile time only)
; SGPRBlocks: 5
; VGPRBlocks: 9
; NumSGPRsForWavesPerEU: 46
; NumVGPRsForWavesPerEU: 78
; AccumOffset: 80
; Occupancy: 4
; WaveLimiterHint : 1
; COMPUTE_PGM_RSRC2:SCRATCH_EN: 0
; COMPUTE_PGM_RSRC2:USER_SGPR: 2
; COMPUTE_PGM_RSRC2:TRAP_HANDLER: 0
; COMPUTE_PGM_RSRC2:TGID_X_EN: 1
; COMPUTE_PGM_RSRC2:TGID_Y_EN: 0
; COMPUTE_PGM_RSRC2:TGID_Z_EN: 0
; COMPUTE_PGM_RSRC2:TIDIG_COMP_CNT: 0
; COMPUTE_PGM_RSRC3_GFX90A:ACCUM_OFFSET: 19
; COMPUTE_PGM_RSRC3_GFX90A:TG_SPLIT: 0
	.section	.text._ZN7rocprim17ROCPRIM_400000_NS6detail17trampoline_kernelINS0_14default_configENS1_25partition_config_selectorILNS1_17partition_subalgoE0EiNS0_10empty_typeEbEEZZNS1_14partition_implILS5_0ELb0ES3_jN6thrust23THRUST_200600_302600_NS6detail15normal_iteratorINSA_10device_ptrIiEEEEPS6_SG_NS0_5tupleIJSF_NSA_16discard_iteratorINSA_11use_defaultEEEEEENSH_IJSG_SG_EEES6_PlJ7is_evenIiEEEE10hipError_tPvRmT3_T4_T5_T6_T7_T9_mT8_P12ihipStream_tbDpT10_ENKUlT_T0_E_clISt17integral_constantIbLb0EES18_IbLb1EEEEDaS14_S15_EUlS14_E_NS1_11comp_targetILNS1_3genE4ELNS1_11target_archE910ELNS1_3gpuE8ELNS1_3repE0EEENS1_30default_config_static_selectorELNS0_4arch9wavefront6targetE1EEEvT1_,"axG",@progbits,_ZN7rocprim17ROCPRIM_400000_NS6detail17trampoline_kernelINS0_14default_configENS1_25partition_config_selectorILNS1_17partition_subalgoE0EiNS0_10empty_typeEbEEZZNS1_14partition_implILS5_0ELb0ES3_jN6thrust23THRUST_200600_302600_NS6detail15normal_iteratorINSA_10device_ptrIiEEEEPS6_SG_NS0_5tupleIJSF_NSA_16discard_iteratorINSA_11use_defaultEEEEEENSH_IJSG_SG_EEES6_PlJ7is_evenIiEEEE10hipError_tPvRmT3_T4_T5_T6_T7_T9_mT8_P12ihipStream_tbDpT10_ENKUlT_T0_E_clISt17integral_constantIbLb0EES18_IbLb1EEEEDaS14_S15_EUlS14_E_NS1_11comp_targetILNS1_3genE4ELNS1_11target_archE910ELNS1_3gpuE8ELNS1_3repE0EEENS1_30default_config_static_selectorELNS0_4arch9wavefront6targetE1EEEvT1_,comdat
	.protected	_ZN7rocprim17ROCPRIM_400000_NS6detail17trampoline_kernelINS0_14default_configENS1_25partition_config_selectorILNS1_17partition_subalgoE0EiNS0_10empty_typeEbEEZZNS1_14partition_implILS5_0ELb0ES3_jN6thrust23THRUST_200600_302600_NS6detail15normal_iteratorINSA_10device_ptrIiEEEEPS6_SG_NS0_5tupleIJSF_NSA_16discard_iteratorINSA_11use_defaultEEEEEENSH_IJSG_SG_EEES6_PlJ7is_evenIiEEEE10hipError_tPvRmT3_T4_T5_T6_T7_T9_mT8_P12ihipStream_tbDpT10_ENKUlT_T0_E_clISt17integral_constantIbLb0EES18_IbLb1EEEEDaS14_S15_EUlS14_E_NS1_11comp_targetILNS1_3genE4ELNS1_11target_archE910ELNS1_3gpuE8ELNS1_3repE0EEENS1_30default_config_static_selectorELNS0_4arch9wavefront6targetE1EEEvT1_ ; -- Begin function _ZN7rocprim17ROCPRIM_400000_NS6detail17trampoline_kernelINS0_14default_configENS1_25partition_config_selectorILNS1_17partition_subalgoE0EiNS0_10empty_typeEbEEZZNS1_14partition_implILS5_0ELb0ES3_jN6thrust23THRUST_200600_302600_NS6detail15normal_iteratorINSA_10device_ptrIiEEEEPS6_SG_NS0_5tupleIJSF_NSA_16discard_iteratorINSA_11use_defaultEEEEEENSH_IJSG_SG_EEES6_PlJ7is_evenIiEEEE10hipError_tPvRmT3_T4_T5_T6_T7_T9_mT8_P12ihipStream_tbDpT10_ENKUlT_T0_E_clISt17integral_constantIbLb0EES18_IbLb1EEEEDaS14_S15_EUlS14_E_NS1_11comp_targetILNS1_3genE4ELNS1_11target_archE910ELNS1_3gpuE8ELNS1_3repE0EEENS1_30default_config_static_selectorELNS0_4arch9wavefront6targetE1EEEvT1_
	.globl	_ZN7rocprim17ROCPRIM_400000_NS6detail17trampoline_kernelINS0_14default_configENS1_25partition_config_selectorILNS1_17partition_subalgoE0EiNS0_10empty_typeEbEEZZNS1_14partition_implILS5_0ELb0ES3_jN6thrust23THRUST_200600_302600_NS6detail15normal_iteratorINSA_10device_ptrIiEEEEPS6_SG_NS0_5tupleIJSF_NSA_16discard_iteratorINSA_11use_defaultEEEEEENSH_IJSG_SG_EEES6_PlJ7is_evenIiEEEE10hipError_tPvRmT3_T4_T5_T6_T7_T9_mT8_P12ihipStream_tbDpT10_ENKUlT_T0_E_clISt17integral_constantIbLb0EES18_IbLb1EEEEDaS14_S15_EUlS14_E_NS1_11comp_targetILNS1_3genE4ELNS1_11target_archE910ELNS1_3gpuE8ELNS1_3repE0EEENS1_30default_config_static_selectorELNS0_4arch9wavefront6targetE1EEEvT1_
	.p2align	8
	.type	_ZN7rocprim17ROCPRIM_400000_NS6detail17trampoline_kernelINS0_14default_configENS1_25partition_config_selectorILNS1_17partition_subalgoE0EiNS0_10empty_typeEbEEZZNS1_14partition_implILS5_0ELb0ES3_jN6thrust23THRUST_200600_302600_NS6detail15normal_iteratorINSA_10device_ptrIiEEEEPS6_SG_NS0_5tupleIJSF_NSA_16discard_iteratorINSA_11use_defaultEEEEEENSH_IJSG_SG_EEES6_PlJ7is_evenIiEEEE10hipError_tPvRmT3_T4_T5_T6_T7_T9_mT8_P12ihipStream_tbDpT10_ENKUlT_T0_E_clISt17integral_constantIbLb0EES18_IbLb1EEEEDaS14_S15_EUlS14_E_NS1_11comp_targetILNS1_3genE4ELNS1_11target_archE910ELNS1_3gpuE8ELNS1_3repE0EEENS1_30default_config_static_selectorELNS0_4arch9wavefront6targetE1EEEvT1_,@function
_ZN7rocprim17ROCPRIM_400000_NS6detail17trampoline_kernelINS0_14default_configENS1_25partition_config_selectorILNS1_17partition_subalgoE0EiNS0_10empty_typeEbEEZZNS1_14partition_implILS5_0ELb0ES3_jN6thrust23THRUST_200600_302600_NS6detail15normal_iteratorINSA_10device_ptrIiEEEEPS6_SG_NS0_5tupleIJSF_NSA_16discard_iteratorINSA_11use_defaultEEEEEENSH_IJSG_SG_EEES6_PlJ7is_evenIiEEEE10hipError_tPvRmT3_T4_T5_T6_T7_T9_mT8_P12ihipStream_tbDpT10_ENKUlT_T0_E_clISt17integral_constantIbLb0EES18_IbLb1EEEEDaS14_S15_EUlS14_E_NS1_11comp_targetILNS1_3genE4ELNS1_11target_archE910ELNS1_3gpuE8ELNS1_3repE0EEENS1_30default_config_static_selectorELNS0_4arch9wavefront6targetE1EEEvT1_: ; @_ZN7rocprim17ROCPRIM_400000_NS6detail17trampoline_kernelINS0_14default_configENS1_25partition_config_selectorILNS1_17partition_subalgoE0EiNS0_10empty_typeEbEEZZNS1_14partition_implILS5_0ELb0ES3_jN6thrust23THRUST_200600_302600_NS6detail15normal_iteratorINSA_10device_ptrIiEEEEPS6_SG_NS0_5tupleIJSF_NSA_16discard_iteratorINSA_11use_defaultEEEEEENSH_IJSG_SG_EEES6_PlJ7is_evenIiEEEE10hipError_tPvRmT3_T4_T5_T6_T7_T9_mT8_P12ihipStream_tbDpT10_ENKUlT_T0_E_clISt17integral_constantIbLb0EES18_IbLb1EEEEDaS14_S15_EUlS14_E_NS1_11comp_targetILNS1_3genE4ELNS1_11target_archE910ELNS1_3gpuE8ELNS1_3repE0EEENS1_30default_config_static_selectorELNS0_4arch9wavefront6targetE1EEEvT1_
; %bb.0:
	.section	.rodata,"a",@progbits
	.p2align	6, 0x0
	.amdhsa_kernel _ZN7rocprim17ROCPRIM_400000_NS6detail17trampoline_kernelINS0_14default_configENS1_25partition_config_selectorILNS1_17partition_subalgoE0EiNS0_10empty_typeEbEEZZNS1_14partition_implILS5_0ELb0ES3_jN6thrust23THRUST_200600_302600_NS6detail15normal_iteratorINSA_10device_ptrIiEEEEPS6_SG_NS0_5tupleIJSF_NSA_16discard_iteratorINSA_11use_defaultEEEEEENSH_IJSG_SG_EEES6_PlJ7is_evenIiEEEE10hipError_tPvRmT3_T4_T5_T6_T7_T9_mT8_P12ihipStream_tbDpT10_ENKUlT_T0_E_clISt17integral_constantIbLb0EES18_IbLb1EEEEDaS14_S15_EUlS14_E_NS1_11comp_targetILNS1_3genE4ELNS1_11target_archE910ELNS1_3gpuE8ELNS1_3repE0EEENS1_30default_config_static_selectorELNS0_4arch9wavefront6targetE1EEEvT1_
		.amdhsa_group_segment_fixed_size 0
		.amdhsa_private_segment_fixed_size 0
		.amdhsa_kernarg_size 144
		.amdhsa_user_sgpr_count 2
		.amdhsa_user_sgpr_dispatch_ptr 0
		.amdhsa_user_sgpr_queue_ptr 0
		.amdhsa_user_sgpr_kernarg_segment_ptr 1
		.amdhsa_user_sgpr_dispatch_id 0
		.amdhsa_user_sgpr_kernarg_preload_length 0
		.amdhsa_user_sgpr_kernarg_preload_offset 0
		.amdhsa_user_sgpr_private_segment_size 0
		.amdhsa_uses_dynamic_stack 0
		.amdhsa_enable_private_segment 0
		.amdhsa_system_sgpr_workgroup_id_x 1
		.amdhsa_system_sgpr_workgroup_id_y 0
		.amdhsa_system_sgpr_workgroup_id_z 0
		.amdhsa_system_sgpr_workgroup_info 0
		.amdhsa_system_vgpr_workitem_id 0
		.amdhsa_next_free_vgpr 1
		.amdhsa_next_free_sgpr 0
		.amdhsa_accum_offset 4
		.amdhsa_reserve_vcc 0
		.amdhsa_float_round_mode_32 0
		.amdhsa_float_round_mode_16_64 0
		.amdhsa_float_denorm_mode_32 3
		.amdhsa_float_denorm_mode_16_64 3
		.amdhsa_dx10_clamp 1
		.amdhsa_ieee_mode 1
		.amdhsa_fp16_overflow 0
		.amdhsa_tg_split 0
		.amdhsa_exception_fp_ieee_invalid_op 0
		.amdhsa_exception_fp_denorm_src 0
		.amdhsa_exception_fp_ieee_div_zero 0
		.amdhsa_exception_fp_ieee_overflow 0
		.amdhsa_exception_fp_ieee_underflow 0
		.amdhsa_exception_fp_ieee_inexact 0
		.amdhsa_exception_int_div_zero 0
	.end_amdhsa_kernel
	.section	.text._ZN7rocprim17ROCPRIM_400000_NS6detail17trampoline_kernelINS0_14default_configENS1_25partition_config_selectorILNS1_17partition_subalgoE0EiNS0_10empty_typeEbEEZZNS1_14partition_implILS5_0ELb0ES3_jN6thrust23THRUST_200600_302600_NS6detail15normal_iteratorINSA_10device_ptrIiEEEEPS6_SG_NS0_5tupleIJSF_NSA_16discard_iteratorINSA_11use_defaultEEEEEENSH_IJSG_SG_EEES6_PlJ7is_evenIiEEEE10hipError_tPvRmT3_T4_T5_T6_T7_T9_mT8_P12ihipStream_tbDpT10_ENKUlT_T0_E_clISt17integral_constantIbLb0EES18_IbLb1EEEEDaS14_S15_EUlS14_E_NS1_11comp_targetILNS1_3genE4ELNS1_11target_archE910ELNS1_3gpuE8ELNS1_3repE0EEENS1_30default_config_static_selectorELNS0_4arch9wavefront6targetE1EEEvT1_,"axG",@progbits,_ZN7rocprim17ROCPRIM_400000_NS6detail17trampoline_kernelINS0_14default_configENS1_25partition_config_selectorILNS1_17partition_subalgoE0EiNS0_10empty_typeEbEEZZNS1_14partition_implILS5_0ELb0ES3_jN6thrust23THRUST_200600_302600_NS6detail15normal_iteratorINSA_10device_ptrIiEEEEPS6_SG_NS0_5tupleIJSF_NSA_16discard_iteratorINSA_11use_defaultEEEEEENSH_IJSG_SG_EEES6_PlJ7is_evenIiEEEE10hipError_tPvRmT3_T4_T5_T6_T7_T9_mT8_P12ihipStream_tbDpT10_ENKUlT_T0_E_clISt17integral_constantIbLb0EES18_IbLb1EEEEDaS14_S15_EUlS14_E_NS1_11comp_targetILNS1_3genE4ELNS1_11target_archE910ELNS1_3gpuE8ELNS1_3repE0EEENS1_30default_config_static_selectorELNS0_4arch9wavefront6targetE1EEEvT1_,comdat
.Lfunc_end2741:
	.size	_ZN7rocprim17ROCPRIM_400000_NS6detail17trampoline_kernelINS0_14default_configENS1_25partition_config_selectorILNS1_17partition_subalgoE0EiNS0_10empty_typeEbEEZZNS1_14partition_implILS5_0ELb0ES3_jN6thrust23THRUST_200600_302600_NS6detail15normal_iteratorINSA_10device_ptrIiEEEEPS6_SG_NS0_5tupleIJSF_NSA_16discard_iteratorINSA_11use_defaultEEEEEENSH_IJSG_SG_EEES6_PlJ7is_evenIiEEEE10hipError_tPvRmT3_T4_T5_T6_T7_T9_mT8_P12ihipStream_tbDpT10_ENKUlT_T0_E_clISt17integral_constantIbLb0EES18_IbLb1EEEEDaS14_S15_EUlS14_E_NS1_11comp_targetILNS1_3genE4ELNS1_11target_archE910ELNS1_3gpuE8ELNS1_3repE0EEENS1_30default_config_static_selectorELNS0_4arch9wavefront6targetE1EEEvT1_, .Lfunc_end2741-_ZN7rocprim17ROCPRIM_400000_NS6detail17trampoline_kernelINS0_14default_configENS1_25partition_config_selectorILNS1_17partition_subalgoE0EiNS0_10empty_typeEbEEZZNS1_14partition_implILS5_0ELb0ES3_jN6thrust23THRUST_200600_302600_NS6detail15normal_iteratorINSA_10device_ptrIiEEEEPS6_SG_NS0_5tupleIJSF_NSA_16discard_iteratorINSA_11use_defaultEEEEEENSH_IJSG_SG_EEES6_PlJ7is_evenIiEEEE10hipError_tPvRmT3_T4_T5_T6_T7_T9_mT8_P12ihipStream_tbDpT10_ENKUlT_T0_E_clISt17integral_constantIbLb0EES18_IbLb1EEEEDaS14_S15_EUlS14_E_NS1_11comp_targetILNS1_3genE4ELNS1_11target_archE910ELNS1_3gpuE8ELNS1_3repE0EEENS1_30default_config_static_selectorELNS0_4arch9wavefront6targetE1EEEvT1_
                                        ; -- End function
	.section	.AMDGPU.csdata,"",@progbits
; Kernel info:
; codeLenInByte = 0
; NumSgprs: 6
; NumVgprs: 0
; NumAgprs: 0
; TotalNumVgprs: 0
; ScratchSize: 0
; MemoryBound: 0
; FloatMode: 240
; IeeeMode: 1
; LDSByteSize: 0 bytes/workgroup (compile time only)
; SGPRBlocks: 0
; VGPRBlocks: 0
; NumSGPRsForWavesPerEU: 6
; NumVGPRsForWavesPerEU: 1
; AccumOffset: 4
; Occupancy: 8
; WaveLimiterHint : 0
; COMPUTE_PGM_RSRC2:SCRATCH_EN: 0
; COMPUTE_PGM_RSRC2:USER_SGPR: 2
; COMPUTE_PGM_RSRC2:TRAP_HANDLER: 0
; COMPUTE_PGM_RSRC2:TGID_X_EN: 1
; COMPUTE_PGM_RSRC2:TGID_Y_EN: 0
; COMPUTE_PGM_RSRC2:TGID_Z_EN: 0
; COMPUTE_PGM_RSRC2:TIDIG_COMP_CNT: 0
; COMPUTE_PGM_RSRC3_GFX90A:ACCUM_OFFSET: 0
; COMPUTE_PGM_RSRC3_GFX90A:TG_SPLIT: 0
	.section	.text._ZN7rocprim17ROCPRIM_400000_NS6detail17trampoline_kernelINS0_14default_configENS1_25partition_config_selectorILNS1_17partition_subalgoE0EiNS0_10empty_typeEbEEZZNS1_14partition_implILS5_0ELb0ES3_jN6thrust23THRUST_200600_302600_NS6detail15normal_iteratorINSA_10device_ptrIiEEEEPS6_SG_NS0_5tupleIJSF_NSA_16discard_iteratorINSA_11use_defaultEEEEEENSH_IJSG_SG_EEES6_PlJ7is_evenIiEEEE10hipError_tPvRmT3_T4_T5_T6_T7_T9_mT8_P12ihipStream_tbDpT10_ENKUlT_T0_E_clISt17integral_constantIbLb0EES18_IbLb1EEEEDaS14_S15_EUlS14_E_NS1_11comp_targetILNS1_3genE3ELNS1_11target_archE908ELNS1_3gpuE7ELNS1_3repE0EEENS1_30default_config_static_selectorELNS0_4arch9wavefront6targetE1EEEvT1_,"axG",@progbits,_ZN7rocprim17ROCPRIM_400000_NS6detail17trampoline_kernelINS0_14default_configENS1_25partition_config_selectorILNS1_17partition_subalgoE0EiNS0_10empty_typeEbEEZZNS1_14partition_implILS5_0ELb0ES3_jN6thrust23THRUST_200600_302600_NS6detail15normal_iteratorINSA_10device_ptrIiEEEEPS6_SG_NS0_5tupleIJSF_NSA_16discard_iteratorINSA_11use_defaultEEEEEENSH_IJSG_SG_EEES6_PlJ7is_evenIiEEEE10hipError_tPvRmT3_T4_T5_T6_T7_T9_mT8_P12ihipStream_tbDpT10_ENKUlT_T0_E_clISt17integral_constantIbLb0EES18_IbLb1EEEEDaS14_S15_EUlS14_E_NS1_11comp_targetILNS1_3genE3ELNS1_11target_archE908ELNS1_3gpuE7ELNS1_3repE0EEENS1_30default_config_static_selectorELNS0_4arch9wavefront6targetE1EEEvT1_,comdat
	.protected	_ZN7rocprim17ROCPRIM_400000_NS6detail17trampoline_kernelINS0_14default_configENS1_25partition_config_selectorILNS1_17partition_subalgoE0EiNS0_10empty_typeEbEEZZNS1_14partition_implILS5_0ELb0ES3_jN6thrust23THRUST_200600_302600_NS6detail15normal_iteratorINSA_10device_ptrIiEEEEPS6_SG_NS0_5tupleIJSF_NSA_16discard_iteratorINSA_11use_defaultEEEEEENSH_IJSG_SG_EEES6_PlJ7is_evenIiEEEE10hipError_tPvRmT3_T4_T5_T6_T7_T9_mT8_P12ihipStream_tbDpT10_ENKUlT_T0_E_clISt17integral_constantIbLb0EES18_IbLb1EEEEDaS14_S15_EUlS14_E_NS1_11comp_targetILNS1_3genE3ELNS1_11target_archE908ELNS1_3gpuE7ELNS1_3repE0EEENS1_30default_config_static_selectorELNS0_4arch9wavefront6targetE1EEEvT1_ ; -- Begin function _ZN7rocprim17ROCPRIM_400000_NS6detail17trampoline_kernelINS0_14default_configENS1_25partition_config_selectorILNS1_17partition_subalgoE0EiNS0_10empty_typeEbEEZZNS1_14partition_implILS5_0ELb0ES3_jN6thrust23THRUST_200600_302600_NS6detail15normal_iteratorINSA_10device_ptrIiEEEEPS6_SG_NS0_5tupleIJSF_NSA_16discard_iteratorINSA_11use_defaultEEEEEENSH_IJSG_SG_EEES6_PlJ7is_evenIiEEEE10hipError_tPvRmT3_T4_T5_T6_T7_T9_mT8_P12ihipStream_tbDpT10_ENKUlT_T0_E_clISt17integral_constantIbLb0EES18_IbLb1EEEEDaS14_S15_EUlS14_E_NS1_11comp_targetILNS1_3genE3ELNS1_11target_archE908ELNS1_3gpuE7ELNS1_3repE0EEENS1_30default_config_static_selectorELNS0_4arch9wavefront6targetE1EEEvT1_
	.globl	_ZN7rocprim17ROCPRIM_400000_NS6detail17trampoline_kernelINS0_14default_configENS1_25partition_config_selectorILNS1_17partition_subalgoE0EiNS0_10empty_typeEbEEZZNS1_14partition_implILS5_0ELb0ES3_jN6thrust23THRUST_200600_302600_NS6detail15normal_iteratorINSA_10device_ptrIiEEEEPS6_SG_NS0_5tupleIJSF_NSA_16discard_iteratorINSA_11use_defaultEEEEEENSH_IJSG_SG_EEES6_PlJ7is_evenIiEEEE10hipError_tPvRmT3_T4_T5_T6_T7_T9_mT8_P12ihipStream_tbDpT10_ENKUlT_T0_E_clISt17integral_constantIbLb0EES18_IbLb1EEEEDaS14_S15_EUlS14_E_NS1_11comp_targetILNS1_3genE3ELNS1_11target_archE908ELNS1_3gpuE7ELNS1_3repE0EEENS1_30default_config_static_selectorELNS0_4arch9wavefront6targetE1EEEvT1_
	.p2align	8
	.type	_ZN7rocprim17ROCPRIM_400000_NS6detail17trampoline_kernelINS0_14default_configENS1_25partition_config_selectorILNS1_17partition_subalgoE0EiNS0_10empty_typeEbEEZZNS1_14partition_implILS5_0ELb0ES3_jN6thrust23THRUST_200600_302600_NS6detail15normal_iteratorINSA_10device_ptrIiEEEEPS6_SG_NS0_5tupleIJSF_NSA_16discard_iteratorINSA_11use_defaultEEEEEENSH_IJSG_SG_EEES6_PlJ7is_evenIiEEEE10hipError_tPvRmT3_T4_T5_T6_T7_T9_mT8_P12ihipStream_tbDpT10_ENKUlT_T0_E_clISt17integral_constantIbLb0EES18_IbLb1EEEEDaS14_S15_EUlS14_E_NS1_11comp_targetILNS1_3genE3ELNS1_11target_archE908ELNS1_3gpuE7ELNS1_3repE0EEENS1_30default_config_static_selectorELNS0_4arch9wavefront6targetE1EEEvT1_,@function
_ZN7rocprim17ROCPRIM_400000_NS6detail17trampoline_kernelINS0_14default_configENS1_25partition_config_selectorILNS1_17partition_subalgoE0EiNS0_10empty_typeEbEEZZNS1_14partition_implILS5_0ELb0ES3_jN6thrust23THRUST_200600_302600_NS6detail15normal_iteratorINSA_10device_ptrIiEEEEPS6_SG_NS0_5tupleIJSF_NSA_16discard_iteratorINSA_11use_defaultEEEEEENSH_IJSG_SG_EEES6_PlJ7is_evenIiEEEE10hipError_tPvRmT3_T4_T5_T6_T7_T9_mT8_P12ihipStream_tbDpT10_ENKUlT_T0_E_clISt17integral_constantIbLb0EES18_IbLb1EEEEDaS14_S15_EUlS14_E_NS1_11comp_targetILNS1_3genE3ELNS1_11target_archE908ELNS1_3gpuE7ELNS1_3repE0EEENS1_30default_config_static_selectorELNS0_4arch9wavefront6targetE1EEEvT1_: ; @_ZN7rocprim17ROCPRIM_400000_NS6detail17trampoline_kernelINS0_14default_configENS1_25partition_config_selectorILNS1_17partition_subalgoE0EiNS0_10empty_typeEbEEZZNS1_14partition_implILS5_0ELb0ES3_jN6thrust23THRUST_200600_302600_NS6detail15normal_iteratorINSA_10device_ptrIiEEEEPS6_SG_NS0_5tupleIJSF_NSA_16discard_iteratorINSA_11use_defaultEEEEEENSH_IJSG_SG_EEES6_PlJ7is_evenIiEEEE10hipError_tPvRmT3_T4_T5_T6_T7_T9_mT8_P12ihipStream_tbDpT10_ENKUlT_T0_E_clISt17integral_constantIbLb0EES18_IbLb1EEEEDaS14_S15_EUlS14_E_NS1_11comp_targetILNS1_3genE3ELNS1_11target_archE908ELNS1_3gpuE7ELNS1_3repE0EEENS1_30default_config_static_selectorELNS0_4arch9wavefront6targetE1EEEvT1_
; %bb.0:
	.section	.rodata,"a",@progbits
	.p2align	6, 0x0
	.amdhsa_kernel _ZN7rocprim17ROCPRIM_400000_NS6detail17trampoline_kernelINS0_14default_configENS1_25partition_config_selectorILNS1_17partition_subalgoE0EiNS0_10empty_typeEbEEZZNS1_14partition_implILS5_0ELb0ES3_jN6thrust23THRUST_200600_302600_NS6detail15normal_iteratorINSA_10device_ptrIiEEEEPS6_SG_NS0_5tupleIJSF_NSA_16discard_iteratorINSA_11use_defaultEEEEEENSH_IJSG_SG_EEES6_PlJ7is_evenIiEEEE10hipError_tPvRmT3_T4_T5_T6_T7_T9_mT8_P12ihipStream_tbDpT10_ENKUlT_T0_E_clISt17integral_constantIbLb0EES18_IbLb1EEEEDaS14_S15_EUlS14_E_NS1_11comp_targetILNS1_3genE3ELNS1_11target_archE908ELNS1_3gpuE7ELNS1_3repE0EEENS1_30default_config_static_selectorELNS0_4arch9wavefront6targetE1EEEvT1_
		.amdhsa_group_segment_fixed_size 0
		.amdhsa_private_segment_fixed_size 0
		.amdhsa_kernarg_size 144
		.amdhsa_user_sgpr_count 2
		.amdhsa_user_sgpr_dispatch_ptr 0
		.amdhsa_user_sgpr_queue_ptr 0
		.amdhsa_user_sgpr_kernarg_segment_ptr 1
		.amdhsa_user_sgpr_dispatch_id 0
		.amdhsa_user_sgpr_kernarg_preload_length 0
		.amdhsa_user_sgpr_kernarg_preload_offset 0
		.amdhsa_user_sgpr_private_segment_size 0
		.amdhsa_uses_dynamic_stack 0
		.amdhsa_enable_private_segment 0
		.amdhsa_system_sgpr_workgroup_id_x 1
		.amdhsa_system_sgpr_workgroup_id_y 0
		.amdhsa_system_sgpr_workgroup_id_z 0
		.amdhsa_system_sgpr_workgroup_info 0
		.amdhsa_system_vgpr_workitem_id 0
		.amdhsa_next_free_vgpr 1
		.amdhsa_next_free_sgpr 0
		.amdhsa_accum_offset 4
		.amdhsa_reserve_vcc 0
		.amdhsa_float_round_mode_32 0
		.amdhsa_float_round_mode_16_64 0
		.amdhsa_float_denorm_mode_32 3
		.amdhsa_float_denorm_mode_16_64 3
		.amdhsa_dx10_clamp 1
		.amdhsa_ieee_mode 1
		.amdhsa_fp16_overflow 0
		.amdhsa_tg_split 0
		.amdhsa_exception_fp_ieee_invalid_op 0
		.amdhsa_exception_fp_denorm_src 0
		.amdhsa_exception_fp_ieee_div_zero 0
		.amdhsa_exception_fp_ieee_overflow 0
		.amdhsa_exception_fp_ieee_underflow 0
		.amdhsa_exception_fp_ieee_inexact 0
		.amdhsa_exception_int_div_zero 0
	.end_amdhsa_kernel
	.section	.text._ZN7rocprim17ROCPRIM_400000_NS6detail17trampoline_kernelINS0_14default_configENS1_25partition_config_selectorILNS1_17partition_subalgoE0EiNS0_10empty_typeEbEEZZNS1_14partition_implILS5_0ELb0ES3_jN6thrust23THRUST_200600_302600_NS6detail15normal_iteratorINSA_10device_ptrIiEEEEPS6_SG_NS0_5tupleIJSF_NSA_16discard_iteratorINSA_11use_defaultEEEEEENSH_IJSG_SG_EEES6_PlJ7is_evenIiEEEE10hipError_tPvRmT3_T4_T5_T6_T7_T9_mT8_P12ihipStream_tbDpT10_ENKUlT_T0_E_clISt17integral_constantIbLb0EES18_IbLb1EEEEDaS14_S15_EUlS14_E_NS1_11comp_targetILNS1_3genE3ELNS1_11target_archE908ELNS1_3gpuE7ELNS1_3repE0EEENS1_30default_config_static_selectorELNS0_4arch9wavefront6targetE1EEEvT1_,"axG",@progbits,_ZN7rocprim17ROCPRIM_400000_NS6detail17trampoline_kernelINS0_14default_configENS1_25partition_config_selectorILNS1_17partition_subalgoE0EiNS0_10empty_typeEbEEZZNS1_14partition_implILS5_0ELb0ES3_jN6thrust23THRUST_200600_302600_NS6detail15normal_iteratorINSA_10device_ptrIiEEEEPS6_SG_NS0_5tupleIJSF_NSA_16discard_iteratorINSA_11use_defaultEEEEEENSH_IJSG_SG_EEES6_PlJ7is_evenIiEEEE10hipError_tPvRmT3_T4_T5_T6_T7_T9_mT8_P12ihipStream_tbDpT10_ENKUlT_T0_E_clISt17integral_constantIbLb0EES18_IbLb1EEEEDaS14_S15_EUlS14_E_NS1_11comp_targetILNS1_3genE3ELNS1_11target_archE908ELNS1_3gpuE7ELNS1_3repE0EEENS1_30default_config_static_selectorELNS0_4arch9wavefront6targetE1EEEvT1_,comdat
.Lfunc_end2742:
	.size	_ZN7rocprim17ROCPRIM_400000_NS6detail17trampoline_kernelINS0_14default_configENS1_25partition_config_selectorILNS1_17partition_subalgoE0EiNS0_10empty_typeEbEEZZNS1_14partition_implILS5_0ELb0ES3_jN6thrust23THRUST_200600_302600_NS6detail15normal_iteratorINSA_10device_ptrIiEEEEPS6_SG_NS0_5tupleIJSF_NSA_16discard_iteratorINSA_11use_defaultEEEEEENSH_IJSG_SG_EEES6_PlJ7is_evenIiEEEE10hipError_tPvRmT3_T4_T5_T6_T7_T9_mT8_P12ihipStream_tbDpT10_ENKUlT_T0_E_clISt17integral_constantIbLb0EES18_IbLb1EEEEDaS14_S15_EUlS14_E_NS1_11comp_targetILNS1_3genE3ELNS1_11target_archE908ELNS1_3gpuE7ELNS1_3repE0EEENS1_30default_config_static_selectorELNS0_4arch9wavefront6targetE1EEEvT1_, .Lfunc_end2742-_ZN7rocprim17ROCPRIM_400000_NS6detail17trampoline_kernelINS0_14default_configENS1_25partition_config_selectorILNS1_17partition_subalgoE0EiNS0_10empty_typeEbEEZZNS1_14partition_implILS5_0ELb0ES3_jN6thrust23THRUST_200600_302600_NS6detail15normal_iteratorINSA_10device_ptrIiEEEEPS6_SG_NS0_5tupleIJSF_NSA_16discard_iteratorINSA_11use_defaultEEEEEENSH_IJSG_SG_EEES6_PlJ7is_evenIiEEEE10hipError_tPvRmT3_T4_T5_T6_T7_T9_mT8_P12ihipStream_tbDpT10_ENKUlT_T0_E_clISt17integral_constantIbLb0EES18_IbLb1EEEEDaS14_S15_EUlS14_E_NS1_11comp_targetILNS1_3genE3ELNS1_11target_archE908ELNS1_3gpuE7ELNS1_3repE0EEENS1_30default_config_static_selectorELNS0_4arch9wavefront6targetE1EEEvT1_
                                        ; -- End function
	.section	.AMDGPU.csdata,"",@progbits
; Kernel info:
; codeLenInByte = 0
; NumSgprs: 6
; NumVgprs: 0
; NumAgprs: 0
; TotalNumVgprs: 0
; ScratchSize: 0
; MemoryBound: 0
; FloatMode: 240
; IeeeMode: 1
; LDSByteSize: 0 bytes/workgroup (compile time only)
; SGPRBlocks: 0
; VGPRBlocks: 0
; NumSGPRsForWavesPerEU: 6
; NumVGPRsForWavesPerEU: 1
; AccumOffset: 4
; Occupancy: 8
; WaveLimiterHint : 0
; COMPUTE_PGM_RSRC2:SCRATCH_EN: 0
; COMPUTE_PGM_RSRC2:USER_SGPR: 2
; COMPUTE_PGM_RSRC2:TRAP_HANDLER: 0
; COMPUTE_PGM_RSRC2:TGID_X_EN: 1
; COMPUTE_PGM_RSRC2:TGID_Y_EN: 0
; COMPUTE_PGM_RSRC2:TGID_Z_EN: 0
; COMPUTE_PGM_RSRC2:TIDIG_COMP_CNT: 0
; COMPUTE_PGM_RSRC3_GFX90A:ACCUM_OFFSET: 0
; COMPUTE_PGM_RSRC3_GFX90A:TG_SPLIT: 0
	.section	.text._ZN7rocprim17ROCPRIM_400000_NS6detail17trampoline_kernelINS0_14default_configENS1_25partition_config_selectorILNS1_17partition_subalgoE0EiNS0_10empty_typeEbEEZZNS1_14partition_implILS5_0ELb0ES3_jN6thrust23THRUST_200600_302600_NS6detail15normal_iteratorINSA_10device_ptrIiEEEEPS6_SG_NS0_5tupleIJSF_NSA_16discard_iteratorINSA_11use_defaultEEEEEENSH_IJSG_SG_EEES6_PlJ7is_evenIiEEEE10hipError_tPvRmT3_T4_T5_T6_T7_T9_mT8_P12ihipStream_tbDpT10_ENKUlT_T0_E_clISt17integral_constantIbLb0EES18_IbLb1EEEEDaS14_S15_EUlS14_E_NS1_11comp_targetILNS1_3genE2ELNS1_11target_archE906ELNS1_3gpuE6ELNS1_3repE0EEENS1_30default_config_static_selectorELNS0_4arch9wavefront6targetE1EEEvT1_,"axG",@progbits,_ZN7rocprim17ROCPRIM_400000_NS6detail17trampoline_kernelINS0_14default_configENS1_25partition_config_selectorILNS1_17partition_subalgoE0EiNS0_10empty_typeEbEEZZNS1_14partition_implILS5_0ELb0ES3_jN6thrust23THRUST_200600_302600_NS6detail15normal_iteratorINSA_10device_ptrIiEEEEPS6_SG_NS0_5tupleIJSF_NSA_16discard_iteratorINSA_11use_defaultEEEEEENSH_IJSG_SG_EEES6_PlJ7is_evenIiEEEE10hipError_tPvRmT3_T4_T5_T6_T7_T9_mT8_P12ihipStream_tbDpT10_ENKUlT_T0_E_clISt17integral_constantIbLb0EES18_IbLb1EEEEDaS14_S15_EUlS14_E_NS1_11comp_targetILNS1_3genE2ELNS1_11target_archE906ELNS1_3gpuE6ELNS1_3repE0EEENS1_30default_config_static_selectorELNS0_4arch9wavefront6targetE1EEEvT1_,comdat
	.protected	_ZN7rocprim17ROCPRIM_400000_NS6detail17trampoline_kernelINS0_14default_configENS1_25partition_config_selectorILNS1_17partition_subalgoE0EiNS0_10empty_typeEbEEZZNS1_14partition_implILS5_0ELb0ES3_jN6thrust23THRUST_200600_302600_NS6detail15normal_iteratorINSA_10device_ptrIiEEEEPS6_SG_NS0_5tupleIJSF_NSA_16discard_iteratorINSA_11use_defaultEEEEEENSH_IJSG_SG_EEES6_PlJ7is_evenIiEEEE10hipError_tPvRmT3_T4_T5_T6_T7_T9_mT8_P12ihipStream_tbDpT10_ENKUlT_T0_E_clISt17integral_constantIbLb0EES18_IbLb1EEEEDaS14_S15_EUlS14_E_NS1_11comp_targetILNS1_3genE2ELNS1_11target_archE906ELNS1_3gpuE6ELNS1_3repE0EEENS1_30default_config_static_selectorELNS0_4arch9wavefront6targetE1EEEvT1_ ; -- Begin function _ZN7rocprim17ROCPRIM_400000_NS6detail17trampoline_kernelINS0_14default_configENS1_25partition_config_selectorILNS1_17partition_subalgoE0EiNS0_10empty_typeEbEEZZNS1_14partition_implILS5_0ELb0ES3_jN6thrust23THRUST_200600_302600_NS6detail15normal_iteratorINSA_10device_ptrIiEEEEPS6_SG_NS0_5tupleIJSF_NSA_16discard_iteratorINSA_11use_defaultEEEEEENSH_IJSG_SG_EEES6_PlJ7is_evenIiEEEE10hipError_tPvRmT3_T4_T5_T6_T7_T9_mT8_P12ihipStream_tbDpT10_ENKUlT_T0_E_clISt17integral_constantIbLb0EES18_IbLb1EEEEDaS14_S15_EUlS14_E_NS1_11comp_targetILNS1_3genE2ELNS1_11target_archE906ELNS1_3gpuE6ELNS1_3repE0EEENS1_30default_config_static_selectorELNS0_4arch9wavefront6targetE1EEEvT1_
	.globl	_ZN7rocprim17ROCPRIM_400000_NS6detail17trampoline_kernelINS0_14default_configENS1_25partition_config_selectorILNS1_17partition_subalgoE0EiNS0_10empty_typeEbEEZZNS1_14partition_implILS5_0ELb0ES3_jN6thrust23THRUST_200600_302600_NS6detail15normal_iteratorINSA_10device_ptrIiEEEEPS6_SG_NS0_5tupleIJSF_NSA_16discard_iteratorINSA_11use_defaultEEEEEENSH_IJSG_SG_EEES6_PlJ7is_evenIiEEEE10hipError_tPvRmT3_T4_T5_T6_T7_T9_mT8_P12ihipStream_tbDpT10_ENKUlT_T0_E_clISt17integral_constantIbLb0EES18_IbLb1EEEEDaS14_S15_EUlS14_E_NS1_11comp_targetILNS1_3genE2ELNS1_11target_archE906ELNS1_3gpuE6ELNS1_3repE0EEENS1_30default_config_static_selectorELNS0_4arch9wavefront6targetE1EEEvT1_
	.p2align	8
	.type	_ZN7rocprim17ROCPRIM_400000_NS6detail17trampoline_kernelINS0_14default_configENS1_25partition_config_selectorILNS1_17partition_subalgoE0EiNS0_10empty_typeEbEEZZNS1_14partition_implILS5_0ELb0ES3_jN6thrust23THRUST_200600_302600_NS6detail15normal_iteratorINSA_10device_ptrIiEEEEPS6_SG_NS0_5tupleIJSF_NSA_16discard_iteratorINSA_11use_defaultEEEEEENSH_IJSG_SG_EEES6_PlJ7is_evenIiEEEE10hipError_tPvRmT3_T4_T5_T6_T7_T9_mT8_P12ihipStream_tbDpT10_ENKUlT_T0_E_clISt17integral_constantIbLb0EES18_IbLb1EEEEDaS14_S15_EUlS14_E_NS1_11comp_targetILNS1_3genE2ELNS1_11target_archE906ELNS1_3gpuE6ELNS1_3repE0EEENS1_30default_config_static_selectorELNS0_4arch9wavefront6targetE1EEEvT1_,@function
_ZN7rocprim17ROCPRIM_400000_NS6detail17trampoline_kernelINS0_14default_configENS1_25partition_config_selectorILNS1_17partition_subalgoE0EiNS0_10empty_typeEbEEZZNS1_14partition_implILS5_0ELb0ES3_jN6thrust23THRUST_200600_302600_NS6detail15normal_iteratorINSA_10device_ptrIiEEEEPS6_SG_NS0_5tupleIJSF_NSA_16discard_iteratorINSA_11use_defaultEEEEEENSH_IJSG_SG_EEES6_PlJ7is_evenIiEEEE10hipError_tPvRmT3_T4_T5_T6_T7_T9_mT8_P12ihipStream_tbDpT10_ENKUlT_T0_E_clISt17integral_constantIbLb0EES18_IbLb1EEEEDaS14_S15_EUlS14_E_NS1_11comp_targetILNS1_3genE2ELNS1_11target_archE906ELNS1_3gpuE6ELNS1_3repE0EEENS1_30default_config_static_selectorELNS0_4arch9wavefront6targetE1EEEvT1_: ; @_ZN7rocprim17ROCPRIM_400000_NS6detail17trampoline_kernelINS0_14default_configENS1_25partition_config_selectorILNS1_17partition_subalgoE0EiNS0_10empty_typeEbEEZZNS1_14partition_implILS5_0ELb0ES3_jN6thrust23THRUST_200600_302600_NS6detail15normal_iteratorINSA_10device_ptrIiEEEEPS6_SG_NS0_5tupleIJSF_NSA_16discard_iteratorINSA_11use_defaultEEEEEENSH_IJSG_SG_EEES6_PlJ7is_evenIiEEEE10hipError_tPvRmT3_T4_T5_T6_T7_T9_mT8_P12ihipStream_tbDpT10_ENKUlT_T0_E_clISt17integral_constantIbLb0EES18_IbLb1EEEEDaS14_S15_EUlS14_E_NS1_11comp_targetILNS1_3genE2ELNS1_11target_archE906ELNS1_3gpuE6ELNS1_3repE0EEENS1_30default_config_static_selectorELNS0_4arch9wavefront6targetE1EEEvT1_
; %bb.0:
	.section	.rodata,"a",@progbits
	.p2align	6, 0x0
	.amdhsa_kernel _ZN7rocprim17ROCPRIM_400000_NS6detail17trampoline_kernelINS0_14default_configENS1_25partition_config_selectorILNS1_17partition_subalgoE0EiNS0_10empty_typeEbEEZZNS1_14partition_implILS5_0ELb0ES3_jN6thrust23THRUST_200600_302600_NS6detail15normal_iteratorINSA_10device_ptrIiEEEEPS6_SG_NS0_5tupleIJSF_NSA_16discard_iteratorINSA_11use_defaultEEEEEENSH_IJSG_SG_EEES6_PlJ7is_evenIiEEEE10hipError_tPvRmT3_T4_T5_T6_T7_T9_mT8_P12ihipStream_tbDpT10_ENKUlT_T0_E_clISt17integral_constantIbLb0EES18_IbLb1EEEEDaS14_S15_EUlS14_E_NS1_11comp_targetILNS1_3genE2ELNS1_11target_archE906ELNS1_3gpuE6ELNS1_3repE0EEENS1_30default_config_static_selectorELNS0_4arch9wavefront6targetE1EEEvT1_
		.amdhsa_group_segment_fixed_size 0
		.amdhsa_private_segment_fixed_size 0
		.amdhsa_kernarg_size 144
		.amdhsa_user_sgpr_count 2
		.amdhsa_user_sgpr_dispatch_ptr 0
		.amdhsa_user_sgpr_queue_ptr 0
		.amdhsa_user_sgpr_kernarg_segment_ptr 1
		.amdhsa_user_sgpr_dispatch_id 0
		.amdhsa_user_sgpr_kernarg_preload_length 0
		.amdhsa_user_sgpr_kernarg_preload_offset 0
		.amdhsa_user_sgpr_private_segment_size 0
		.amdhsa_uses_dynamic_stack 0
		.amdhsa_enable_private_segment 0
		.amdhsa_system_sgpr_workgroup_id_x 1
		.amdhsa_system_sgpr_workgroup_id_y 0
		.amdhsa_system_sgpr_workgroup_id_z 0
		.amdhsa_system_sgpr_workgroup_info 0
		.amdhsa_system_vgpr_workitem_id 0
		.amdhsa_next_free_vgpr 1
		.amdhsa_next_free_sgpr 0
		.amdhsa_accum_offset 4
		.amdhsa_reserve_vcc 0
		.amdhsa_float_round_mode_32 0
		.amdhsa_float_round_mode_16_64 0
		.amdhsa_float_denorm_mode_32 3
		.amdhsa_float_denorm_mode_16_64 3
		.amdhsa_dx10_clamp 1
		.amdhsa_ieee_mode 1
		.amdhsa_fp16_overflow 0
		.amdhsa_tg_split 0
		.amdhsa_exception_fp_ieee_invalid_op 0
		.amdhsa_exception_fp_denorm_src 0
		.amdhsa_exception_fp_ieee_div_zero 0
		.amdhsa_exception_fp_ieee_overflow 0
		.amdhsa_exception_fp_ieee_underflow 0
		.amdhsa_exception_fp_ieee_inexact 0
		.amdhsa_exception_int_div_zero 0
	.end_amdhsa_kernel
	.section	.text._ZN7rocprim17ROCPRIM_400000_NS6detail17trampoline_kernelINS0_14default_configENS1_25partition_config_selectorILNS1_17partition_subalgoE0EiNS0_10empty_typeEbEEZZNS1_14partition_implILS5_0ELb0ES3_jN6thrust23THRUST_200600_302600_NS6detail15normal_iteratorINSA_10device_ptrIiEEEEPS6_SG_NS0_5tupleIJSF_NSA_16discard_iteratorINSA_11use_defaultEEEEEENSH_IJSG_SG_EEES6_PlJ7is_evenIiEEEE10hipError_tPvRmT3_T4_T5_T6_T7_T9_mT8_P12ihipStream_tbDpT10_ENKUlT_T0_E_clISt17integral_constantIbLb0EES18_IbLb1EEEEDaS14_S15_EUlS14_E_NS1_11comp_targetILNS1_3genE2ELNS1_11target_archE906ELNS1_3gpuE6ELNS1_3repE0EEENS1_30default_config_static_selectorELNS0_4arch9wavefront6targetE1EEEvT1_,"axG",@progbits,_ZN7rocprim17ROCPRIM_400000_NS6detail17trampoline_kernelINS0_14default_configENS1_25partition_config_selectorILNS1_17partition_subalgoE0EiNS0_10empty_typeEbEEZZNS1_14partition_implILS5_0ELb0ES3_jN6thrust23THRUST_200600_302600_NS6detail15normal_iteratorINSA_10device_ptrIiEEEEPS6_SG_NS0_5tupleIJSF_NSA_16discard_iteratorINSA_11use_defaultEEEEEENSH_IJSG_SG_EEES6_PlJ7is_evenIiEEEE10hipError_tPvRmT3_T4_T5_T6_T7_T9_mT8_P12ihipStream_tbDpT10_ENKUlT_T0_E_clISt17integral_constantIbLb0EES18_IbLb1EEEEDaS14_S15_EUlS14_E_NS1_11comp_targetILNS1_3genE2ELNS1_11target_archE906ELNS1_3gpuE6ELNS1_3repE0EEENS1_30default_config_static_selectorELNS0_4arch9wavefront6targetE1EEEvT1_,comdat
.Lfunc_end2743:
	.size	_ZN7rocprim17ROCPRIM_400000_NS6detail17trampoline_kernelINS0_14default_configENS1_25partition_config_selectorILNS1_17partition_subalgoE0EiNS0_10empty_typeEbEEZZNS1_14partition_implILS5_0ELb0ES3_jN6thrust23THRUST_200600_302600_NS6detail15normal_iteratorINSA_10device_ptrIiEEEEPS6_SG_NS0_5tupleIJSF_NSA_16discard_iteratorINSA_11use_defaultEEEEEENSH_IJSG_SG_EEES6_PlJ7is_evenIiEEEE10hipError_tPvRmT3_T4_T5_T6_T7_T9_mT8_P12ihipStream_tbDpT10_ENKUlT_T0_E_clISt17integral_constantIbLb0EES18_IbLb1EEEEDaS14_S15_EUlS14_E_NS1_11comp_targetILNS1_3genE2ELNS1_11target_archE906ELNS1_3gpuE6ELNS1_3repE0EEENS1_30default_config_static_selectorELNS0_4arch9wavefront6targetE1EEEvT1_, .Lfunc_end2743-_ZN7rocprim17ROCPRIM_400000_NS6detail17trampoline_kernelINS0_14default_configENS1_25partition_config_selectorILNS1_17partition_subalgoE0EiNS0_10empty_typeEbEEZZNS1_14partition_implILS5_0ELb0ES3_jN6thrust23THRUST_200600_302600_NS6detail15normal_iteratorINSA_10device_ptrIiEEEEPS6_SG_NS0_5tupleIJSF_NSA_16discard_iteratorINSA_11use_defaultEEEEEENSH_IJSG_SG_EEES6_PlJ7is_evenIiEEEE10hipError_tPvRmT3_T4_T5_T6_T7_T9_mT8_P12ihipStream_tbDpT10_ENKUlT_T0_E_clISt17integral_constantIbLb0EES18_IbLb1EEEEDaS14_S15_EUlS14_E_NS1_11comp_targetILNS1_3genE2ELNS1_11target_archE906ELNS1_3gpuE6ELNS1_3repE0EEENS1_30default_config_static_selectorELNS0_4arch9wavefront6targetE1EEEvT1_
                                        ; -- End function
	.section	.AMDGPU.csdata,"",@progbits
; Kernel info:
; codeLenInByte = 0
; NumSgprs: 6
; NumVgprs: 0
; NumAgprs: 0
; TotalNumVgprs: 0
; ScratchSize: 0
; MemoryBound: 0
; FloatMode: 240
; IeeeMode: 1
; LDSByteSize: 0 bytes/workgroup (compile time only)
; SGPRBlocks: 0
; VGPRBlocks: 0
; NumSGPRsForWavesPerEU: 6
; NumVGPRsForWavesPerEU: 1
; AccumOffset: 4
; Occupancy: 8
; WaveLimiterHint : 0
; COMPUTE_PGM_RSRC2:SCRATCH_EN: 0
; COMPUTE_PGM_RSRC2:USER_SGPR: 2
; COMPUTE_PGM_RSRC2:TRAP_HANDLER: 0
; COMPUTE_PGM_RSRC2:TGID_X_EN: 1
; COMPUTE_PGM_RSRC2:TGID_Y_EN: 0
; COMPUTE_PGM_RSRC2:TGID_Z_EN: 0
; COMPUTE_PGM_RSRC2:TIDIG_COMP_CNT: 0
; COMPUTE_PGM_RSRC3_GFX90A:ACCUM_OFFSET: 0
; COMPUTE_PGM_RSRC3_GFX90A:TG_SPLIT: 0
	.section	.text._ZN7rocprim17ROCPRIM_400000_NS6detail17trampoline_kernelINS0_14default_configENS1_25partition_config_selectorILNS1_17partition_subalgoE0EiNS0_10empty_typeEbEEZZNS1_14partition_implILS5_0ELb0ES3_jN6thrust23THRUST_200600_302600_NS6detail15normal_iteratorINSA_10device_ptrIiEEEEPS6_SG_NS0_5tupleIJSF_NSA_16discard_iteratorINSA_11use_defaultEEEEEENSH_IJSG_SG_EEES6_PlJ7is_evenIiEEEE10hipError_tPvRmT3_T4_T5_T6_T7_T9_mT8_P12ihipStream_tbDpT10_ENKUlT_T0_E_clISt17integral_constantIbLb0EES18_IbLb1EEEEDaS14_S15_EUlS14_E_NS1_11comp_targetILNS1_3genE10ELNS1_11target_archE1200ELNS1_3gpuE4ELNS1_3repE0EEENS1_30default_config_static_selectorELNS0_4arch9wavefront6targetE1EEEvT1_,"axG",@progbits,_ZN7rocprim17ROCPRIM_400000_NS6detail17trampoline_kernelINS0_14default_configENS1_25partition_config_selectorILNS1_17partition_subalgoE0EiNS0_10empty_typeEbEEZZNS1_14partition_implILS5_0ELb0ES3_jN6thrust23THRUST_200600_302600_NS6detail15normal_iteratorINSA_10device_ptrIiEEEEPS6_SG_NS0_5tupleIJSF_NSA_16discard_iteratorINSA_11use_defaultEEEEEENSH_IJSG_SG_EEES6_PlJ7is_evenIiEEEE10hipError_tPvRmT3_T4_T5_T6_T7_T9_mT8_P12ihipStream_tbDpT10_ENKUlT_T0_E_clISt17integral_constantIbLb0EES18_IbLb1EEEEDaS14_S15_EUlS14_E_NS1_11comp_targetILNS1_3genE10ELNS1_11target_archE1200ELNS1_3gpuE4ELNS1_3repE0EEENS1_30default_config_static_selectorELNS0_4arch9wavefront6targetE1EEEvT1_,comdat
	.protected	_ZN7rocprim17ROCPRIM_400000_NS6detail17trampoline_kernelINS0_14default_configENS1_25partition_config_selectorILNS1_17partition_subalgoE0EiNS0_10empty_typeEbEEZZNS1_14partition_implILS5_0ELb0ES3_jN6thrust23THRUST_200600_302600_NS6detail15normal_iteratorINSA_10device_ptrIiEEEEPS6_SG_NS0_5tupleIJSF_NSA_16discard_iteratorINSA_11use_defaultEEEEEENSH_IJSG_SG_EEES6_PlJ7is_evenIiEEEE10hipError_tPvRmT3_T4_T5_T6_T7_T9_mT8_P12ihipStream_tbDpT10_ENKUlT_T0_E_clISt17integral_constantIbLb0EES18_IbLb1EEEEDaS14_S15_EUlS14_E_NS1_11comp_targetILNS1_3genE10ELNS1_11target_archE1200ELNS1_3gpuE4ELNS1_3repE0EEENS1_30default_config_static_selectorELNS0_4arch9wavefront6targetE1EEEvT1_ ; -- Begin function _ZN7rocprim17ROCPRIM_400000_NS6detail17trampoline_kernelINS0_14default_configENS1_25partition_config_selectorILNS1_17partition_subalgoE0EiNS0_10empty_typeEbEEZZNS1_14partition_implILS5_0ELb0ES3_jN6thrust23THRUST_200600_302600_NS6detail15normal_iteratorINSA_10device_ptrIiEEEEPS6_SG_NS0_5tupleIJSF_NSA_16discard_iteratorINSA_11use_defaultEEEEEENSH_IJSG_SG_EEES6_PlJ7is_evenIiEEEE10hipError_tPvRmT3_T4_T5_T6_T7_T9_mT8_P12ihipStream_tbDpT10_ENKUlT_T0_E_clISt17integral_constantIbLb0EES18_IbLb1EEEEDaS14_S15_EUlS14_E_NS1_11comp_targetILNS1_3genE10ELNS1_11target_archE1200ELNS1_3gpuE4ELNS1_3repE0EEENS1_30default_config_static_selectorELNS0_4arch9wavefront6targetE1EEEvT1_
	.globl	_ZN7rocprim17ROCPRIM_400000_NS6detail17trampoline_kernelINS0_14default_configENS1_25partition_config_selectorILNS1_17partition_subalgoE0EiNS0_10empty_typeEbEEZZNS1_14partition_implILS5_0ELb0ES3_jN6thrust23THRUST_200600_302600_NS6detail15normal_iteratorINSA_10device_ptrIiEEEEPS6_SG_NS0_5tupleIJSF_NSA_16discard_iteratorINSA_11use_defaultEEEEEENSH_IJSG_SG_EEES6_PlJ7is_evenIiEEEE10hipError_tPvRmT3_T4_T5_T6_T7_T9_mT8_P12ihipStream_tbDpT10_ENKUlT_T0_E_clISt17integral_constantIbLb0EES18_IbLb1EEEEDaS14_S15_EUlS14_E_NS1_11comp_targetILNS1_3genE10ELNS1_11target_archE1200ELNS1_3gpuE4ELNS1_3repE0EEENS1_30default_config_static_selectorELNS0_4arch9wavefront6targetE1EEEvT1_
	.p2align	8
	.type	_ZN7rocprim17ROCPRIM_400000_NS6detail17trampoline_kernelINS0_14default_configENS1_25partition_config_selectorILNS1_17partition_subalgoE0EiNS0_10empty_typeEbEEZZNS1_14partition_implILS5_0ELb0ES3_jN6thrust23THRUST_200600_302600_NS6detail15normal_iteratorINSA_10device_ptrIiEEEEPS6_SG_NS0_5tupleIJSF_NSA_16discard_iteratorINSA_11use_defaultEEEEEENSH_IJSG_SG_EEES6_PlJ7is_evenIiEEEE10hipError_tPvRmT3_T4_T5_T6_T7_T9_mT8_P12ihipStream_tbDpT10_ENKUlT_T0_E_clISt17integral_constantIbLb0EES18_IbLb1EEEEDaS14_S15_EUlS14_E_NS1_11comp_targetILNS1_3genE10ELNS1_11target_archE1200ELNS1_3gpuE4ELNS1_3repE0EEENS1_30default_config_static_selectorELNS0_4arch9wavefront6targetE1EEEvT1_,@function
_ZN7rocprim17ROCPRIM_400000_NS6detail17trampoline_kernelINS0_14default_configENS1_25partition_config_selectorILNS1_17partition_subalgoE0EiNS0_10empty_typeEbEEZZNS1_14partition_implILS5_0ELb0ES3_jN6thrust23THRUST_200600_302600_NS6detail15normal_iteratorINSA_10device_ptrIiEEEEPS6_SG_NS0_5tupleIJSF_NSA_16discard_iteratorINSA_11use_defaultEEEEEENSH_IJSG_SG_EEES6_PlJ7is_evenIiEEEE10hipError_tPvRmT3_T4_T5_T6_T7_T9_mT8_P12ihipStream_tbDpT10_ENKUlT_T0_E_clISt17integral_constantIbLb0EES18_IbLb1EEEEDaS14_S15_EUlS14_E_NS1_11comp_targetILNS1_3genE10ELNS1_11target_archE1200ELNS1_3gpuE4ELNS1_3repE0EEENS1_30default_config_static_selectorELNS0_4arch9wavefront6targetE1EEEvT1_: ; @_ZN7rocprim17ROCPRIM_400000_NS6detail17trampoline_kernelINS0_14default_configENS1_25partition_config_selectorILNS1_17partition_subalgoE0EiNS0_10empty_typeEbEEZZNS1_14partition_implILS5_0ELb0ES3_jN6thrust23THRUST_200600_302600_NS6detail15normal_iteratorINSA_10device_ptrIiEEEEPS6_SG_NS0_5tupleIJSF_NSA_16discard_iteratorINSA_11use_defaultEEEEEENSH_IJSG_SG_EEES6_PlJ7is_evenIiEEEE10hipError_tPvRmT3_T4_T5_T6_T7_T9_mT8_P12ihipStream_tbDpT10_ENKUlT_T0_E_clISt17integral_constantIbLb0EES18_IbLb1EEEEDaS14_S15_EUlS14_E_NS1_11comp_targetILNS1_3genE10ELNS1_11target_archE1200ELNS1_3gpuE4ELNS1_3repE0EEENS1_30default_config_static_selectorELNS0_4arch9wavefront6targetE1EEEvT1_
; %bb.0:
	.section	.rodata,"a",@progbits
	.p2align	6, 0x0
	.amdhsa_kernel _ZN7rocprim17ROCPRIM_400000_NS6detail17trampoline_kernelINS0_14default_configENS1_25partition_config_selectorILNS1_17partition_subalgoE0EiNS0_10empty_typeEbEEZZNS1_14partition_implILS5_0ELb0ES3_jN6thrust23THRUST_200600_302600_NS6detail15normal_iteratorINSA_10device_ptrIiEEEEPS6_SG_NS0_5tupleIJSF_NSA_16discard_iteratorINSA_11use_defaultEEEEEENSH_IJSG_SG_EEES6_PlJ7is_evenIiEEEE10hipError_tPvRmT3_T4_T5_T6_T7_T9_mT8_P12ihipStream_tbDpT10_ENKUlT_T0_E_clISt17integral_constantIbLb0EES18_IbLb1EEEEDaS14_S15_EUlS14_E_NS1_11comp_targetILNS1_3genE10ELNS1_11target_archE1200ELNS1_3gpuE4ELNS1_3repE0EEENS1_30default_config_static_selectorELNS0_4arch9wavefront6targetE1EEEvT1_
		.amdhsa_group_segment_fixed_size 0
		.amdhsa_private_segment_fixed_size 0
		.amdhsa_kernarg_size 144
		.amdhsa_user_sgpr_count 2
		.amdhsa_user_sgpr_dispatch_ptr 0
		.amdhsa_user_sgpr_queue_ptr 0
		.amdhsa_user_sgpr_kernarg_segment_ptr 1
		.amdhsa_user_sgpr_dispatch_id 0
		.amdhsa_user_sgpr_kernarg_preload_length 0
		.amdhsa_user_sgpr_kernarg_preload_offset 0
		.amdhsa_user_sgpr_private_segment_size 0
		.amdhsa_uses_dynamic_stack 0
		.amdhsa_enable_private_segment 0
		.amdhsa_system_sgpr_workgroup_id_x 1
		.amdhsa_system_sgpr_workgroup_id_y 0
		.amdhsa_system_sgpr_workgroup_id_z 0
		.amdhsa_system_sgpr_workgroup_info 0
		.amdhsa_system_vgpr_workitem_id 0
		.amdhsa_next_free_vgpr 1
		.amdhsa_next_free_sgpr 0
		.amdhsa_accum_offset 4
		.amdhsa_reserve_vcc 0
		.amdhsa_float_round_mode_32 0
		.amdhsa_float_round_mode_16_64 0
		.amdhsa_float_denorm_mode_32 3
		.amdhsa_float_denorm_mode_16_64 3
		.amdhsa_dx10_clamp 1
		.amdhsa_ieee_mode 1
		.amdhsa_fp16_overflow 0
		.amdhsa_tg_split 0
		.amdhsa_exception_fp_ieee_invalid_op 0
		.amdhsa_exception_fp_denorm_src 0
		.amdhsa_exception_fp_ieee_div_zero 0
		.amdhsa_exception_fp_ieee_overflow 0
		.amdhsa_exception_fp_ieee_underflow 0
		.amdhsa_exception_fp_ieee_inexact 0
		.amdhsa_exception_int_div_zero 0
	.end_amdhsa_kernel
	.section	.text._ZN7rocprim17ROCPRIM_400000_NS6detail17trampoline_kernelINS0_14default_configENS1_25partition_config_selectorILNS1_17partition_subalgoE0EiNS0_10empty_typeEbEEZZNS1_14partition_implILS5_0ELb0ES3_jN6thrust23THRUST_200600_302600_NS6detail15normal_iteratorINSA_10device_ptrIiEEEEPS6_SG_NS0_5tupleIJSF_NSA_16discard_iteratorINSA_11use_defaultEEEEEENSH_IJSG_SG_EEES6_PlJ7is_evenIiEEEE10hipError_tPvRmT3_T4_T5_T6_T7_T9_mT8_P12ihipStream_tbDpT10_ENKUlT_T0_E_clISt17integral_constantIbLb0EES18_IbLb1EEEEDaS14_S15_EUlS14_E_NS1_11comp_targetILNS1_3genE10ELNS1_11target_archE1200ELNS1_3gpuE4ELNS1_3repE0EEENS1_30default_config_static_selectorELNS0_4arch9wavefront6targetE1EEEvT1_,"axG",@progbits,_ZN7rocprim17ROCPRIM_400000_NS6detail17trampoline_kernelINS0_14default_configENS1_25partition_config_selectorILNS1_17partition_subalgoE0EiNS0_10empty_typeEbEEZZNS1_14partition_implILS5_0ELb0ES3_jN6thrust23THRUST_200600_302600_NS6detail15normal_iteratorINSA_10device_ptrIiEEEEPS6_SG_NS0_5tupleIJSF_NSA_16discard_iteratorINSA_11use_defaultEEEEEENSH_IJSG_SG_EEES6_PlJ7is_evenIiEEEE10hipError_tPvRmT3_T4_T5_T6_T7_T9_mT8_P12ihipStream_tbDpT10_ENKUlT_T0_E_clISt17integral_constantIbLb0EES18_IbLb1EEEEDaS14_S15_EUlS14_E_NS1_11comp_targetILNS1_3genE10ELNS1_11target_archE1200ELNS1_3gpuE4ELNS1_3repE0EEENS1_30default_config_static_selectorELNS0_4arch9wavefront6targetE1EEEvT1_,comdat
.Lfunc_end2744:
	.size	_ZN7rocprim17ROCPRIM_400000_NS6detail17trampoline_kernelINS0_14default_configENS1_25partition_config_selectorILNS1_17partition_subalgoE0EiNS0_10empty_typeEbEEZZNS1_14partition_implILS5_0ELb0ES3_jN6thrust23THRUST_200600_302600_NS6detail15normal_iteratorINSA_10device_ptrIiEEEEPS6_SG_NS0_5tupleIJSF_NSA_16discard_iteratorINSA_11use_defaultEEEEEENSH_IJSG_SG_EEES6_PlJ7is_evenIiEEEE10hipError_tPvRmT3_T4_T5_T6_T7_T9_mT8_P12ihipStream_tbDpT10_ENKUlT_T0_E_clISt17integral_constantIbLb0EES18_IbLb1EEEEDaS14_S15_EUlS14_E_NS1_11comp_targetILNS1_3genE10ELNS1_11target_archE1200ELNS1_3gpuE4ELNS1_3repE0EEENS1_30default_config_static_selectorELNS0_4arch9wavefront6targetE1EEEvT1_, .Lfunc_end2744-_ZN7rocprim17ROCPRIM_400000_NS6detail17trampoline_kernelINS0_14default_configENS1_25partition_config_selectorILNS1_17partition_subalgoE0EiNS0_10empty_typeEbEEZZNS1_14partition_implILS5_0ELb0ES3_jN6thrust23THRUST_200600_302600_NS6detail15normal_iteratorINSA_10device_ptrIiEEEEPS6_SG_NS0_5tupleIJSF_NSA_16discard_iteratorINSA_11use_defaultEEEEEENSH_IJSG_SG_EEES6_PlJ7is_evenIiEEEE10hipError_tPvRmT3_T4_T5_T6_T7_T9_mT8_P12ihipStream_tbDpT10_ENKUlT_T0_E_clISt17integral_constantIbLb0EES18_IbLb1EEEEDaS14_S15_EUlS14_E_NS1_11comp_targetILNS1_3genE10ELNS1_11target_archE1200ELNS1_3gpuE4ELNS1_3repE0EEENS1_30default_config_static_selectorELNS0_4arch9wavefront6targetE1EEEvT1_
                                        ; -- End function
	.section	.AMDGPU.csdata,"",@progbits
; Kernel info:
; codeLenInByte = 0
; NumSgprs: 6
; NumVgprs: 0
; NumAgprs: 0
; TotalNumVgprs: 0
; ScratchSize: 0
; MemoryBound: 0
; FloatMode: 240
; IeeeMode: 1
; LDSByteSize: 0 bytes/workgroup (compile time only)
; SGPRBlocks: 0
; VGPRBlocks: 0
; NumSGPRsForWavesPerEU: 6
; NumVGPRsForWavesPerEU: 1
; AccumOffset: 4
; Occupancy: 8
; WaveLimiterHint : 0
; COMPUTE_PGM_RSRC2:SCRATCH_EN: 0
; COMPUTE_PGM_RSRC2:USER_SGPR: 2
; COMPUTE_PGM_RSRC2:TRAP_HANDLER: 0
; COMPUTE_PGM_RSRC2:TGID_X_EN: 1
; COMPUTE_PGM_RSRC2:TGID_Y_EN: 0
; COMPUTE_PGM_RSRC2:TGID_Z_EN: 0
; COMPUTE_PGM_RSRC2:TIDIG_COMP_CNT: 0
; COMPUTE_PGM_RSRC3_GFX90A:ACCUM_OFFSET: 0
; COMPUTE_PGM_RSRC3_GFX90A:TG_SPLIT: 0
	.section	.text._ZN7rocprim17ROCPRIM_400000_NS6detail17trampoline_kernelINS0_14default_configENS1_25partition_config_selectorILNS1_17partition_subalgoE0EiNS0_10empty_typeEbEEZZNS1_14partition_implILS5_0ELb0ES3_jN6thrust23THRUST_200600_302600_NS6detail15normal_iteratorINSA_10device_ptrIiEEEEPS6_SG_NS0_5tupleIJSF_NSA_16discard_iteratorINSA_11use_defaultEEEEEENSH_IJSG_SG_EEES6_PlJ7is_evenIiEEEE10hipError_tPvRmT3_T4_T5_T6_T7_T9_mT8_P12ihipStream_tbDpT10_ENKUlT_T0_E_clISt17integral_constantIbLb0EES18_IbLb1EEEEDaS14_S15_EUlS14_E_NS1_11comp_targetILNS1_3genE9ELNS1_11target_archE1100ELNS1_3gpuE3ELNS1_3repE0EEENS1_30default_config_static_selectorELNS0_4arch9wavefront6targetE1EEEvT1_,"axG",@progbits,_ZN7rocprim17ROCPRIM_400000_NS6detail17trampoline_kernelINS0_14default_configENS1_25partition_config_selectorILNS1_17partition_subalgoE0EiNS0_10empty_typeEbEEZZNS1_14partition_implILS5_0ELb0ES3_jN6thrust23THRUST_200600_302600_NS6detail15normal_iteratorINSA_10device_ptrIiEEEEPS6_SG_NS0_5tupleIJSF_NSA_16discard_iteratorINSA_11use_defaultEEEEEENSH_IJSG_SG_EEES6_PlJ7is_evenIiEEEE10hipError_tPvRmT3_T4_T5_T6_T7_T9_mT8_P12ihipStream_tbDpT10_ENKUlT_T0_E_clISt17integral_constantIbLb0EES18_IbLb1EEEEDaS14_S15_EUlS14_E_NS1_11comp_targetILNS1_3genE9ELNS1_11target_archE1100ELNS1_3gpuE3ELNS1_3repE0EEENS1_30default_config_static_selectorELNS0_4arch9wavefront6targetE1EEEvT1_,comdat
	.protected	_ZN7rocprim17ROCPRIM_400000_NS6detail17trampoline_kernelINS0_14default_configENS1_25partition_config_selectorILNS1_17partition_subalgoE0EiNS0_10empty_typeEbEEZZNS1_14partition_implILS5_0ELb0ES3_jN6thrust23THRUST_200600_302600_NS6detail15normal_iteratorINSA_10device_ptrIiEEEEPS6_SG_NS0_5tupleIJSF_NSA_16discard_iteratorINSA_11use_defaultEEEEEENSH_IJSG_SG_EEES6_PlJ7is_evenIiEEEE10hipError_tPvRmT3_T4_T5_T6_T7_T9_mT8_P12ihipStream_tbDpT10_ENKUlT_T0_E_clISt17integral_constantIbLb0EES18_IbLb1EEEEDaS14_S15_EUlS14_E_NS1_11comp_targetILNS1_3genE9ELNS1_11target_archE1100ELNS1_3gpuE3ELNS1_3repE0EEENS1_30default_config_static_selectorELNS0_4arch9wavefront6targetE1EEEvT1_ ; -- Begin function _ZN7rocprim17ROCPRIM_400000_NS6detail17trampoline_kernelINS0_14default_configENS1_25partition_config_selectorILNS1_17partition_subalgoE0EiNS0_10empty_typeEbEEZZNS1_14partition_implILS5_0ELb0ES3_jN6thrust23THRUST_200600_302600_NS6detail15normal_iteratorINSA_10device_ptrIiEEEEPS6_SG_NS0_5tupleIJSF_NSA_16discard_iteratorINSA_11use_defaultEEEEEENSH_IJSG_SG_EEES6_PlJ7is_evenIiEEEE10hipError_tPvRmT3_T4_T5_T6_T7_T9_mT8_P12ihipStream_tbDpT10_ENKUlT_T0_E_clISt17integral_constantIbLb0EES18_IbLb1EEEEDaS14_S15_EUlS14_E_NS1_11comp_targetILNS1_3genE9ELNS1_11target_archE1100ELNS1_3gpuE3ELNS1_3repE0EEENS1_30default_config_static_selectorELNS0_4arch9wavefront6targetE1EEEvT1_
	.globl	_ZN7rocprim17ROCPRIM_400000_NS6detail17trampoline_kernelINS0_14default_configENS1_25partition_config_selectorILNS1_17partition_subalgoE0EiNS0_10empty_typeEbEEZZNS1_14partition_implILS5_0ELb0ES3_jN6thrust23THRUST_200600_302600_NS6detail15normal_iteratorINSA_10device_ptrIiEEEEPS6_SG_NS0_5tupleIJSF_NSA_16discard_iteratorINSA_11use_defaultEEEEEENSH_IJSG_SG_EEES6_PlJ7is_evenIiEEEE10hipError_tPvRmT3_T4_T5_T6_T7_T9_mT8_P12ihipStream_tbDpT10_ENKUlT_T0_E_clISt17integral_constantIbLb0EES18_IbLb1EEEEDaS14_S15_EUlS14_E_NS1_11comp_targetILNS1_3genE9ELNS1_11target_archE1100ELNS1_3gpuE3ELNS1_3repE0EEENS1_30default_config_static_selectorELNS0_4arch9wavefront6targetE1EEEvT1_
	.p2align	8
	.type	_ZN7rocprim17ROCPRIM_400000_NS6detail17trampoline_kernelINS0_14default_configENS1_25partition_config_selectorILNS1_17partition_subalgoE0EiNS0_10empty_typeEbEEZZNS1_14partition_implILS5_0ELb0ES3_jN6thrust23THRUST_200600_302600_NS6detail15normal_iteratorINSA_10device_ptrIiEEEEPS6_SG_NS0_5tupleIJSF_NSA_16discard_iteratorINSA_11use_defaultEEEEEENSH_IJSG_SG_EEES6_PlJ7is_evenIiEEEE10hipError_tPvRmT3_T4_T5_T6_T7_T9_mT8_P12ihipStream_tbDpT10_ENKUlT_T0_E_clISt17integral_constantIbLb0EES18_IbLb1EEEEDaS14_S15_EUlS14_E_NS1_11comp_targetILNS1_3genE9ELNS1_11target_archE1100ELNS1_3gpuE3ELNS1_3repE0EEENS1_30default_config_static_selectorELNS0_4arch9wavefront6targetE1EEEvT1_,@function
_ZN7rocprim17ROCPRIM_400000_NS6detail17trampoline_kernelINS0_14default_configENS1_25partition_config_selectorILNS1_17partition_subalgoE0EiNS0_10empty_typeEbEEZZNS1_14partition_implILS5_0ELb0ES3_jN6thrust23THRUST_200600_302600_NS6detail15normal_iteratorINSA_10device_ptrIiEEEEPS6_SG_NS0_5tupleIJSF_NSA_16discard_iteratorINSA_11use_defaultEEEEEENSH_IJSG_SG_EEES6_PlJ7is_evenIiEEEE10hipError_tPvRmT3_T4_T5_T6_T7_T9_mT8_P12ihipStream_tbDpT10_ENKUlT_T0_E_clISt17integral_constantIbLb0EES18_IbLb1EEEEDaS14_S15_EUlS14_E_NS1_11comp_targetILNS1_3genE9ELNS1_11target_archE1100ELNS1_3gpuE3ELNS1_3repE0EEENS1_30default_config_static_selectorELNS0_4arch9wavefront6targetE1EEEvT1_: ; @_ZN7rocprim17ROCPRIM_400000_NS6detail17trampoline_kernelINS0_14default_configENS1_25partition_config_selectorILNS1_17partition_subalgoE0EiNS0_10empty_typeEbEEZZNS1_14partition_implILS5_0ELb0ES3_jN6thrust23THRUST_200600_302600_NS6detail15normal_iteratorINSA_10device_ptrIiEEEEPS6_SG_NS0_5tupleIJSF_NSA_16discard_iteratorINSA_11use_defaultEEEEEENSH_IJSG_SG_EEES6_PlJ7is_evenIiEEEE10hipError_tPvRmT3_T4_T5_T6_T7_T9_mT8_P12ihipStream_tbDpT10_ENKUlT_T0_E_clISt17integral_constantIbLb0EES18_IbLb1EEEEDaS14_S15_EUlS14_E_NS1_11comp_targetILNS1_3genE9ELNS1_11target_archE1100ELNS1_3gpuE3ELNS1_3repE0EEENS1_30default_config_static_selectorELNS0_4arch9wavefront6targetE1EEEvT1_
; %bb.0:
	.section	.rodata,"a",@progbits
	.p2align	6, 0x0
	.amdhsa_kernel _ZN7rocprim17ROCPRIM_400000_NS6detail17trampoline_kernelINS0_14default_configENS1_25partition_config_selectorILNS1_17partition_subalgoE0EiNS0_10empty_typeEbEEZZNS1_14partition_implILS5_0ELb0ES3_jN6thrust23THRUST_200600_302600_NS6detail15normal_iteratorINSA_10device_ptrIiEEEEPS6_SG_NS0_5tupleIJSF_NSA_16discard_iteratorINSA_11use_defaultEEEEEENSH_IJSG_SG_EEES6_PlJ7is_evenIiEEEE10hipError_tPvRmT3_T4_T5_T6_T7_T9_mT8_P12ihipStream_tbDpT10_ENKUlT_T0_E_clISt17integral_constantIbLb0EES18_IbLb1EEEEDaS14_S15_EUlS14_E_NS1_11comp_targetILNS1_3genE9ELNS1_11target_archE1100ELNS1_3gpuE3ELNS1_3repE0EEENS1_30default_config_static_selectorELNS0_4arch9wavefront6targetE1EEEvT1_
		.amdhsa_group_segment_fixed_size 0
		.amdhsa_private_segment_fixed_size 0
		.amdhsa_kernarg_size 144
		.amdhsa_user_sgpr_count 2
		.amdhsa_user_sgpr_dispatch_ptr 0
		.amdhsa_user_sgpr_queue_ptr 0
		.amdhsa_user_sgpr_kernarg_segment_ptr 1
		.amdhsa_user_sgpr_dispatch_id 0
		.amdhsa_user_sgpr_kernarg_preload_length 0
		.amdhsa_user_sgpr_kernarg_preload_offset 0
		.amdhsa_user_sgpr_private_segment_size 0
		.amdhsa_uses_dynamic_stack 0
		.amdhsa_enable_private_segment 0
		.amdhsa_system_sgpr_workgroup_id_x 1
		.amdhsa_system_sgpr_workgroup_id_y 0
		.amdhsa_system_sgpr_workgroup_id_z 0
		.amdhsa_system_sgpr_workgroup_info 0
		.amdhsa_system_vgpr_workitem_id 0
		.amdhsa_next_free_vgpr 1
		.amdhsa_next_free_sgpr 0
		.amdhsa_accum_offset 4
		.amdhsa_reserve_vcc 0
		.amdhsa_float_round_mode_32 0
		.amdhsa_float_round_mode_16_64 0
		.amdhsa_float_denorm_mode_32 3
		.amdhsa_float_denorm_mode_16_64 3
		.amdhsa_dx10_clamp 1
		.amdhsa_ieee_mode 1
		.amdhsa_fp16_overflow 0
		.amdhsa_tg_split 0
		.amdhsa_exception_fp_ieee_invalid_op 0
		.amdhsa_exception_fp_denorm_src 0
		.amdhsa_exception_fp_ieee_div_zero 0
		.amdhsa_exception_fp_ieee_overflow 0
		.amdhsa_exception_fp_ieee_underflow 0
		.amdhsa_exception_fp_ieee_inexact 0
		.amdhsa_exception_int_div_zero 0
	.end_amdhsa_kernel
	.section	.text._ZN7rocprim17ROCPRIM_400000_NS6detail17trampoline_kernelINS0_14default_configENS1_25partition_config_selectorILNS1_17partition_subalgoE0EiNS0_10empty_typeEbEEZZNS1_14partition_implILS5_0ELb0ES3_jN6thrust23THRUST_200600_302600_NS6detail15normal_iteratorINSA_10device_ptrIiEEEEPS6_SG_NS0_5tupleIJSF_NSA_16discard_iteratorINSA_11use_defaultEEEEEENSH_IJSG_SG_EEES6_PlJ7is_evenIiEEEE10hipError_tPvRmT3_T4_T5_T6_T7_T9_mT8_P12ihipStream_tbDpT10_ENKUlT_T0_E_clISt17integral_constantIbLb0EES18_IbLb1EEEEDaS14_S15_EUlS14_E_NS1_11comp_targetILNS1_3genE9ELNS1_11target_archE1100ELNS1_3gpuE3ELNS1_3repE0EEENS1_30default_config_static_selectorELNS0_4arch9wavefront6targetE1EEEvT1_,"axG",@progbits,_ZN7rocprim17ROCPRIM_400000_NS6detail17trampoline_kernelINS0_14default_configENS1_25partition_config_selectorILNS1_17partition_subalgoE0EiNS0_10empty_typeEbEEZZNS1_14partition_implILS5_0ELb0ES3_jN6thrust23THRUST_200600_302600_NS6detail15normal_iteratorINSA_10device_ptrIiEEEEPS6_SG_NS0_5tupleIJSF_NSA_16discard_iteratorINSA_11use_defaultEEEEEENSH_IJSG_SG_EEES6_PlJ7is_evenIiEEEE10hipError_tPvRmT3_T4_T5_T6_T7_T9_mT8_P12ihipStream_tbDpT10_ENKUlT_T0_E_clISt17integral_constantIbLb0EES18_IbLb1EEEEDaS14_S15_EUlS14_E_NS1_11comp_targetILNS1_3genE9ELNS1_11target_archE1100ELNS1_3gpuE3ELNS1_3repE0EEENS1_30default_config_static_selectorELNS0_4arch9wavefront6targetE1EEEvT1_,comdat
.Lfunc_end2745:
	.size	_ZN7rocprim17ROCPRIM_400000_NS6detail17trampoline_kernelINS0_14default_configENS1_25partition_config_selectorILNS1_17partition_subalgoE0EiNS0_10empty_typeEbEEZZNS1_14partition_implILS5_0ELb0ES3_jN6thrust23THRUST_200600_302600_NS6detail15normal_iteratorINSA_10device_ptrIiEEEEPS6_SG_NS0_5tupleIJSF_NSA_16discard_iteratorINSA_11use_defaultEEEEEENSH_IJSG_SG_EEES6_PlJ7is_evenIiEEEE10hipError_tPvRmT3_T4_T5_T6_T7_T9_mT8_P12ihipStream_tbDpT10_ENKUlT_T0_E_clISt17integral_constantIbLb0EES18_IbLb1EEEEDaS14_S15_EUlS14_E_NS1_11comp_targetILNS1_3genE9ELNS1_11target_archE1100ELNS1_3gpuE3ELNS1_3repE0EEENS1_30default_config_static_selectorELNS0_4arch9wavefront6targetE1EEEvT1_, .Lfunc_end2745-_ZN7rocprim17ROCPRIM_400000_NS6detail17trampoline_kernelINS0_14default_configENS1_25partition_config_selectorILNS1_17partition_subalgoE0EiNS0_10empty_typeEbEEZZNS1_14partition_implILS5_0ELb0ES3_jN6thrust23THRUST_200600_302600_NS6detail15normal_iteratorINSA_10device_ptrIiEEEEPS6_SG_NS0_5tupleIJSF_NSA_16discard_iteratorINSA_11use_defaultEEEEEENSH_IJSG_SG_EEES6_PlJ7is_evenIiEEEE10hipError_tPvRmT3_T4_T5_T6_T7_T9_mT8_P12ihipStream_tbDpT10_ENKUlT_T0_E_clISt17integral_constantIbLb0EES18_IbLb1EEEEDaS14_S15_EUlS14_E_NS1_11comp_targetILNS1_3genE9ELNS1_11target_archE1100ELNS1_3gpuE3ELNS1_3repE0EEENS1_30default_config_static_selectorELNS0_4arch9wavefront6targetE1EEEvT1_
                                        ; -- End function
	.section	.AMDGPU.csdata,"",@progbits
; Kernel info:
; codeLenInByte = 0
; NumSgprs: 6
; NumVgprs: 0
; NumAgprs: 0
; TotalNumVgprs: 0
; ScratchSize: 0
; MemoryBound: 0
; FloatMode: 240
; IeeeMode: 1
; LDSByteSize: 0 bytes/workgroup (compile time only)
; SGPRBlocks: 0
; VGPRBlocks: 0
; NumSGPRsForWavesPerEU: 6
; NumVGPRsForWavesPerEU: 1
; AccumOffset: 4
; Occupancy: 8
; WaveLimiterHint : 0
; COMPUTE_PGM_RSRC2:SCRATCH_EN: 0
; COMPUTE_PGM_RSRC2:USER_SGPR: 2
; COMPUTE_PGM_RSRC2:TRAP_HANDLER: 0
; COMPUTE_PGM_RSRC2:TGID_X_EN: 1
; COMPUTE_PGM_RSRC2:TGID_Y_EN: 0
; COMPUTE_PGM_RSRC2:TGID_Z_EN: 0
; COMPUTE_PGM_RSRC2:TIDIG_COMP_CNT: 0
; COMPUTE_PGM_RSRC3_GFX90A:ACCUM_OFFSET: 0
; COMPUTE_PGM_RSRC3_GFX90A:TG_SPLIT: 0
	.section	.text._ZN7rocprim17ROCPRIM_400000_NS6detail17trampoline_kernelINS0_14default_configENS1_25partition_config_selectorILNS1_17partition_subalgoE0EiNS0_10empty_typeEbEEZZNS1_14partition_implILS5_0ELb0ES3_jN6thrust23THRUST_200600_302600_NS6detail15normal_iteratorINSA_10device_ptrIiEEEEPS6_SG_NS0_5tupleIJSF_NSA_16discard_iteratorINSA_11use_defaultEEEEEENSH_IJSG_SG_EEES6_PlJ7is_evenIiEEEE10hipError_tPvRmT3_T4_T5_T6_T7_T9_mT8_P12ihipStream_tbDpT10_ENKUlT_T0_E_clISt17integral_constantIbLb0EES18_IbLb1EEEEDaS14_S15_EUlS14_E_NS1_11comp_targetILNS1_3genE8ELNS1_11target_archE1030ELNS1_3gpuE2ELNS1_3repE0EEENS1_30default_config_static_selectorELNS0_4arch9wavefront6targetE1EEEvT1_,"axG",@progbits,_ZN7rocprim17ROCPRIM_400000_NS6detail17trampoline_kernelINS0_14default_configENS1_25partition_config_selectorILNS1_17partition_subalgoE0EiNS0_10empty_typeEbEEZZNS1_14partition_implILS5_0ELb0ES3_jN6thrust23THRUST_200600_302600_NS6detail15normal_iteratorINSA_10device_ptrIiEEEEPS6_SG_NS0_5tupleIJSF_NSA_16discard_iteratorINSA_11use_defaultEEEEEENSH_IJSG_SG_EEES6_PlJ7is_evenIiEEEE10hipError_tPvRmT3_T4_T5_T6_T7_T9_mT8_P12ihipStream_tbDpT10_ENKUlT_T0_E_clISt17integral_constantIbLb0EES18_IbLb1EEEEDaS14_S15_EUlS14_E_NS1_11comp_targetILNS1_3genE8ELNS1_11target_archE1030ELNS1_3gpuE2ELNS1_3repE0EEENS1_30default_config_static_selectorELNS0_4arch9wavefront6targetE1EEEvT1_,comdat
	.protected	_ZN7rocprim17ROCPRIM_400000_NS6detail17trampoline_kernelINS0_14default_configENS1_25partition_config_selectorILNS1_17partition_subalgoE0EiNS0_10empty_typeEbEEZZNS1_14partition_implILS5_0ELb0ES3_jN6thrust23THRUST_200600_302600_NS6detail15normal_iteratorINSA_10device_ptrIiEEEEPS6_SG_NS0_5tupleIJSF_NSA_16discard_iteratorINSA_11use_defaultEEEEEENSH_IJSG_SG_EEES6_PlJ7is_evenIiEEEE10hipError_tPvRmT3_T4_T5_T6_T7_T9_mT8_P12ihipStream_tbDpT10_ENKUlT_T0_E_clISt17integral_constantIbLb0EES18_IbLb1EEEEDaS14_S15_EUlS14_E_NS1_11comp_targetILNS1_3genE8ELNS1_11target_archE1030ELNS1_3gpuE2ELNS1_3repE0EEENS1_30default_config_static_selectorELNS0_4arch9wavefront6targetE1EEEvT1_ ; -- Begin function _ZN7rocprim17ROCPRIM_400000_NS6detail17trampoline_kernelINS0_14default_configENS1_25partition_config_selectorILNS1_17partition_subalgoE0EiNS0_10empty_typeEbEEZZNS1_14partition_implILS5_0ELb0ES3_jN6thrust23THRUST_200600_302600_NS6detail15normal_iteratorINSA_10device_ptrIiEEEEPS6_SG_NS0_5tupleIJSF_NSA_16discard_iteratorINSA_11use_defaultEEEEEENSH_IJSG_SG_EEES6_PlJ7is_evenIiEEEE10hipError_tPvRmT3_T4_T5_T6_T7_T9_mT8_P12ihipStream_tbDpT10_ENKUlT_T0_E_clISt17integral_constantIbLb0EES18_IbLb1EEEEDaS14_S15_EUlS14_E_NS1_11comp_targetILNS1_3genE8ELNS1_11target_archE1030ELNS1_3gpuE2ELNS1_3repE0EEENS1_30default_config_static_selectorELNS0_4arch9wavefront6targetE1EEEvT1_
	.globl	_ZN7rocprim17ROCPRIM_400000_NS6detail17trampoline_kernelINS0_14default_configENS1_25partition_config_selectorILNS1_17partition_subalgoE0EiNS0_10empty_typeEbEEZZNS1_14partition_implILS5_0ELb0ES3_jN6thrust23THRUST_200600_302600_NS6detail15normal_iteratorINSA_10device_ptrIiEEEEPS6_SG_NS0_5tupleIJSF_NSA_16discard_iteratorINSA_11use_defaultEEEEEENSH_IJSG_SG_EEES6_PlJ7is_evenIiEEEE10hipError_tPvRmT3_T4_T5_T6_T7_T9_mT8_P12ihipStream_tbDpT10_ENKUlT_T0_E_clISt17integral_constantIbLb0EES18_IbLb1EEEEDaS14_S15_EUlS14_E_NS1_11comp_targetILNS1_3genE8ELNS1_11target_archE1030ELNS1_3gpuE2ELNS1_3repE0EEENS1_30default_config_static_selectorELNS0_4arch9wavefront6targetE1EEEvT1_
	.p2align	8
	.type	_ZN7rocprim17ROCPRIM_400000_NS6detail17trampoline_kernelINS0_14default_configENS1_25partition_config_selectorILNS1_17partition_subalgoE0EiNS0_10empty_typeEbEEZZNS1_14partition_implILS5_0ELb0ES3_jN6thrust23THRUST_200600_302600_NS6detail15normal_iteratorINSA_10device_ptrIiEEEEPS6_SG_NS0_5tupleIJSF_NSA_16discard_iteratorINSA_11use_defaultEEEEEENSH_IJSG_SG_EEES6_PlJ7is_evenIiEEEE10hipError_tPvRmT3_T4_T5_T6_T7_T9_mT8_P12ihipStream_tbDpT10_ENKUlT_T0_E_clISt17integral_constantIbLb0EES18_IbLb1EEEEDaS14_S15_EUlS14_E_NS1_11comp_targetILNS1_3genE8ELNS1_11target_archE1030ELNS1_3gpuE2ELNS1_3repE0EEENS1_30default_config_static_selectorELNS0_4arch9wavefront6targetE1EEEvT1_,@function
_ZN7rocprim17ROCPRIM_400000_NS6detail17trampoline_kernelINS0_14default_configENS1_25partition_config_selectorILNS1_17partition_subalgoE0EiNS0_10empty_typeEbEEZZNS1_14partition_implILS5_0ELb0ES3_jN6thrust23THRUST_200600_302600_NS6detail15normal_iteratorINSA_10device_ptrIiEEEEPS6_SG_NS0_5tupleIJSF_NSA_16discard_iteratorINSA_11use_defaultEEEEEENSH_IJSG_SG_EEES6_PlJ7is_evenIiEEEE10hipError_tPvRmT3_T4_T5_T6_T7_T9_mT8_P12ihipStream_tbDpT10_ENKUlT_T0_E_clISt17integral_constantIbLb0EES18_IbLb1EEEEDaS14_S15_EUlS14_E_NS1_11comp_targetILNS1_3genE8ELNS1_11target_archE1030ELNS1_3gpuE2ELNS1_3repE0EEENS1_30default_config_static_selectorELNS0_4arch9wavefront6targetE1EEEvT1_: ; @_ZN7rocprim17ROCPRIM_400000_NS6detail17trampoline_kernelINS0_14default_configENS1_25partition_config_selectorILNS1_17partition_subalgoE0EiNS0_10empty_typeEbEEZZNS1_14partition_implILS5_0ELb0ES3_jN6thrust23THRUST_200600_302600_NS6detail15normal_iteratorINSA_10device_ptrIiEEEEPS6_SG_NS0_5tupleIJSF_NSA_16discard_iteratorINSA_11use_defaultEEEEEENSH_IJSG_SG_EEES6_PlJ7is_evenIiEEEE10hipError_tPvRmT3_T4_T5_T6_T7_T9_mT8_P12ihipStream_tbDpT10_ENKUlT_T0_E_clISt17integral_constantIbLb0EES18_IbLb1EEEEDaS14_S15_EUlS14_E_NS1_11comp_targetILNS1_3genE8ELNS1_11target_archE1030ELNS1_3gpuE2ELNS1_3repE0EEENS1_30default_config_static_selectorELNS0_4arch9wavefront6targetE1EEEvT1_
; %bb.0:
	.section	.rodata,"a",@progbits
	.p2align	6, 0x0
	.amdhsa_kernel _ZN7rocprim17ROCPRIM_400000_NS6detail17trampoline_kernelINS0_14default_configENS1_25partition_config_selectorILNS1_17partition_subalgoE0EiNS0_10empty_typeEbEEZZNS1_14partition_implILS5_0ELb0ES3_jN6thrust23THRUST_200600_302600_NS6detail15normal_iteratorINSA_10device_ptrIiEEEEPS6_SG_NS0_5tupleIJSF_NSA_16discard_iteratorINSA_11use_defaultEEEEEENSH_IJSG_SG_EEES6_PlJ7is_evenIiEEEE10hipError_tPvRmT3_T4_T5_T6_T7_T9_mT8_P12ihipStream_tbDpT10_ENKUlT_T0_E_clISt17integral_constantIbLb0EES18_IbLb1EEEEDaS14_S15_EUlS14_E_NS1_11comp_targetILNS1_3genE8ELNS1_11target_archE1030ELNS1_3gpuE2ELNS1_3repE0EEENS1_30default_config_static_selectorELNS0_4arch9wavefront6targetE1EEEvT1_
		.amdhsa_group_segment_fixed_size 0
		.amdhsa_private_segment_fixed_size 0
		.amdhsa_kernarg_size 144
		.amdhsa_user_sgpr_count 2
		.amdhsa_user_sgpr_dispatch_ptr 0
		.amdhsa_user_sgpr_queue_ptr 0
		.amdhsa_user_sgpr_kernarg_segment_ptr 1
		.amdhsa_user_sgpr_dispatch_id 0
		.amdhsa_user_sgpr_kernarg_preload_length 0
		.amdhsa_user_sgpr_kernarg_preload_offset 0
		.amdhsa_user_sgpr_private_segment_size 0
		.amdhsa_uses_dynamic_stack 0
		.amdhsa_enable_private_segment 0
		.amdhsa_system_sgpr_workgroup_id_x 1
		.amdhsa_system_sgpr_workgroup_id_y 0
		.amdhsa_system_sgpr_workgroup_id_z 0
		.amdhsa_system_sgpr_workgroup_info 0
		.amdhsa_system_vgpr_workitem_id 0
		.amdhsa_next_free_vgpr 1
		.amdhsa_next_free_sgpr 0
		.amdhsa_accum_offset 4
		.amdhsa_reserve_vcc 0
		.amdhsa_float_round_mode_32 0
		.amdhsa_float_round_mode_16_64 0
		.amdhsa_float_denorm_mode_32 3
		.amdhsa_float_denorm_mode_16_64 3
		.amdhsa_dx10_clamp 1
		.amdhsa_ieee_mode 1
		.amdhsa_fp16_overflow 0
		.amdhsa_tg_split 0
		.amdhsa_exception_fp_ieee_invalid_op 0
		.amdhsa_exception_fp_denorm_src 0
		.amdhsa_exception_fp_ieee_div_zero 0
		.amdhsa_exception_fp_ieee_overflow 0
		.amdhsa_exception_fp_ieee_underflow 0
		.amdhsa_exception_fp_ieee_inexact 0
		.amdhsa_exception_int_div_zero 0
	.end_amdhsa_kernel
	.section	.text._ZN7rocprim17ROCPRIM_400000_NS6detail17trampoline_kernelINS0_14default_configENS1_25partition_config_selectorILNS1_17partition_subalgoE0EiNS0_10empty_typeEbEEZZNS1_14partition_implILS5_0ELb0ES3_jN6thrust23THRUST_200600_302600_NS6detail15normal_iteratorINSA_10device_ptrIiEEEEPS6_SG_NS0_5tupleIJSF_NSA_16discard_iteratorINSA_11use_defaultEEEEEENSH_IJSG_SG_EEES6_PlJ7is_evenIiEEEE10hipError_tPvRmT3_T4_T5_T6_T7_T9_mT8_P12ihipStream_tbDpT10_ENKUlT_T0_E_clISt17integral_constantIbLb0EES18_IbLb1EEEEDaS14_S15_EUlS14_E_NS1_11comp_targetILNS1_3genE8ELNS1_11target_archE1030ELNS1_3gpuE2ELNS1_3repE0EEENS1_30default_config_static_selectorELNS0_4arch9wavefront6targetE1EEEvT1_,"axG",@progbits,_ZN7rocprim17ROCPRIM_400000_NS6detail17trampoline_kernelINS0_14default_configENS1_25partition_config_selectorILNS1_17partition_subalgoE0EiNS0_10empty_typeEbEEZZNS1_14partition_implILS5_0ELb0ES3_jN6thrust23THRUST_200600_302600_NS6detail15normal_iteratorINSA_10device_ptrIiEEEEPS6_SG_NS0_5tupleIJSF_NSA_16discard_iteratorINSA_11use_defaultEEEEEENSH_IJSG_SG_EEES6_PlJ7is_evenIiEEEE10hipError_tPvRmT3_T4_T5_T6_T7_T9_mT8_P12ihipStream_tbDpT10_ENKUlT_T0_E_clISt17integral_constantIbLb0EES18_IbLb1EEEEDaS14_S15_EUlS14_E_NS1_11comp_targetILNS1_3genE8ELNS1_11target_archE1030ELNS1_3gpuE2ELNS1_3repE0EEENS1_30default_config_static_selectorELNS0_4arch9wavefront6targetE1EEEvT1_,comdat
.Lfunc_end2746:
	.size	_ZN7rocprim17ROCPRIM_400000_NS6detail17trampoline_kernelINS0_14default_configENS1_25partition_config_selectorILNS1_17partition_subalgoE0EiNS0_10empty_typeEbEEZZNS1_14partition_implILS5_0ELb0ES3_jN6thrust23THRUST_200600_302600_NS6detail15normal_iteratorINSA_10device_ptrIiEEEEPS6_SG_NS0_5tupleIJSF_NSA_16discard_iteratorINSA_11use_defaultEEEEEENSH_IJSG_SG_EEES6_PlJ7is_evenIiEEEE10hipError_tPvRmT3_T4_T5_T6_T7_T9_mT8_P12ihipStream_tbDpT10_ENKUlT_T0_E_clISt17integral_constantIbLb0EES18_IbLb1EEEEDaS14_S15_EUlS14_E_NS1_11comp_targetILNS1_3genE8ELNS1_11target_archE1030ELNS1_3gpuE2ELNS1_3repE0EEENS1_30default_config_static_selectorELNS0_4arch9wavefront6targetE1EEEvT1_, .Lfunc_end2746-_ZN7rocprim17ROCPRIM_400000_NS6detail17trampoline_kernelINS0_14default_configENS1_25partition_config_selectorILNS1_17partition_subalgoE0EiNS0_10empty_typeEbEEZZNS1_14partition_implILS5_0ELb0ES3_jN6thrust23THRUST_200600_302600_NS6detail15normal_iteratorINSA_10device_ptrIiEEEEPS6_SG_NS0_5tupleIJSF_NSA_16discard_iteratorINSA_11use_defaultEEEEEENSH_IJSG_SG_EEES6_PlJ7is_evenIiEEEE10hipError_tPvRmT3_T4_T5_T6_T7_T9_mT8_P12ihipStream_tbDpT10_ENKUlT_T0_E_clISt17integral_constantIbLb0EES18_IbLb1EEEEDaS14_S15_EUlS14_E_NS1_11comp_targetILNS1_3genE8ELNS1_11target_archE1030ELNS1_3gpuE2ELNS1_3repE0EEENS1_30default_config_static_selectorELNS0_4arch9wavefront6targetE1EEEvT1_
                                        ; -- End function
	.section	.AMDGPU.csdata,"",@progbits
; Kernel info:
; codeLenInByte = 0
; NumSgprs: 6
; NumVgprs: 0
; NumAgprs: 0
; TotalNumVgprs: 0
; ScratchSize: 0
; MemoryBound: 0
; FloatMode: 240
; IeeeMode: 1
; LDSByteSize: 0 bytes/workgroup (compile time only)
; SGPRBlocks: 0
; VGPRBlocks: 0
; NumSGPRsForWavesPerEU: 6
; NumVGPRsForWavesPerEU: 1
; AccumOffset: 4
; Occupancy: 8
; WaveLimiterHint : 0
; COMPUTE_PGM_RSRC2:SCRATCH_EN: 0
; COMPUTE_PGM_RSRC2:USER_SGPR: 2
; COMPUTE_PGM_RSRC2:TRAP_HANDLER: 0
; COMPUTE_PGM_RSRC2:TGID_X_EN: 1
; COMPUTE_PGM_RSRC2:TGID_Y_EN: 0
; COMPUTE_PGM_RSRC2:TGID_Z_EN: 0
; COMPUTE_PGM_RSRC2:TIDIG_COMP_CNT: 0
; COMPUTE_PGM_RSRC3_GFX90A:ACCUM_OFFSET: 0
; COMPUTE_PGM_RSRC3_GFX90A:TG_SPLIT: 0
	.section	.text._ZN7rocprim17ROCPRIM_400000_NS6detail17trampoline_kernelINS0_14default_configENS1_25partition_config_selectorILNS1_17partition_subalgoE0EiNS0_10empty_typeEbEEZZNS1_14partition_implILS5_0ELb0ES3_jN6thrust23THRUST_200600_302600_NS6detail15normal_iteratorINSA_10device_ptrIiEEEEPS6_SG_NS0_5tupleIJNSA_16discard_iteratorINSA_11use_defaultEEESF_EEENSH_IJSG_SG_EEES6_PlJ7is_evenIiEEEE10hipError_tPvRmT3_T4_T5_T6_T7_T9_mT8_P12ihipStream_tbDpT10_ENKUlT_T0_E_clISt17integral_constantIbLb0EES19_EEDaS14_S15_EUlS14_E_NS1_11comp_targetILNS1_3genE0ELNS1_11target_archE4294967295ELNS1_3gpuE0ELNS1_3repE0EEENS1_30default_config_static_selectorELNS0_4arch9wavefront6targetE1EEEvT1_,"axG",@progbits,_ZN7rocprim17ROCPRIM_400000_NS6detail17trampoline_kernelINS0_14default_configENS1_25partition_config_selectorILNS1_17partition_subalgoE0EiNS0_10empty_typeEbEEZZNS1_14partition_implILS5_0ELb0ES3_jN6thrust23THRUST_200600_302600_NS6detail15normal_iteratorINSA_10device_ptrIiEEEEPS6_SG_NS0_5tupleIJNSA_16discard_iteratorINSA_11use_defaultEEESF_EEENSH_IJSG_SG_EEES6_PlJ7is_evenIiEEEE10hipError_tPvRmT3_T4_T5_T6_T7_T9_mT8_P12ihipStream_tbDpT10_ENKUlT_T0_E_clISt17integral_constantIbLb0EES19_EEDaS14_S15_EUlS14_E_NS1_11comp_targetILNS1_3genE0ELNS1_11target_archE4294967295ELNS1_3gpuE0ELNS1_3repE0EEENS1_30default_config_static_selectorELNS0_4arch9wavefront6targetE1EEEvT1_,comdat
	.protected	_ZN7rocprim17ROCPRIM_400000_NS6detail17trampoline_kernelINS0_14default_configENS1_25partition_config_selectorILNS1_17partition_subalgoE0EiNS0_10empty_typeEbEEZZNS1_14partition_implILS5_0ELb0ES3_jN6thrust23THRUST_200600_302600_NS6detail15normal_iteratorINSA_10device_ptrIiEEEEPS6_SG_NS0_5tupleIJNSA_16discard_iteratorINSA_11use_defaultEEESF_EEENSH_IJSG_SG_EEES6_PlJ7is_evenIiEEEE10hipError_tPvRmT3_T4_T5_T6_T7_T9_mT8_P12ihipStream_tbDpT10_ENKUlT_T0_E_clISt17integral_constantIbLb0EES19_EEDaS14_S15_EUlS14_E_NS1_11comp_targetILNS1_3genE0ELNS1_11target_archE4294967295ELNS1_3gpuE0ELNS1_3repE0EEENS1_30default_config_static_selectorELNS0_4arch9wavefront6targetE1EEEvT1_ ; -- Begin function _ZN7rocprim17ROCPRIM_400000_NS6detail17trampoline_kernelINS0_14default_configENS1_25partition_config_selectorILNS1_17partition_subalgoE0EiNS0_10empty_typeEbEEZZNS1_14partition_implILS5_0ELb0ES3_jN6thrust23THRUST_200600_302600_NS6detail15normal_iteratorINSA_10device_ptrIiEEEEPS6_SG_NS0_5tupleIJNSA_16discard_iteratorINSA_11use_defaultEEESF_EEENSH_IJSG_SG_EEES6_PlJ7is_evenIiEEEE10hipError_tPvRmT3_T4_T5_T6_T7_T9_mT8_P12ihipStream_tbDpT10_ENKUlT_T0_E_clISt17integral_constantIbLb0EES19_EEDaS14_S15_EUlS14_E_NS1_11comp_targetILNS1_3genE0ELNS1_11target_archE4294967295ELNS1_3gpuE0ELNS1_3repE0EEENS1_30default_config_static_selectorELNS0_4arch9wavefront6targetE1EEEvT1_
	.globl	_ZN7rocprim17ROCPRIM_400000_NS6detail17trampoline_kernelINS0_14default_configENS1_25partition_config_selectorILNS1_17partition_subalgoE0EiNS0_10empty_typeEbEEZZNS1_14partition_implILS5_0ELb0ES3_jN6thrust23THRUST_200600_302600_NS6detail15normal_iteratorINSA_10device_ptrIiEEEEPS6_SG_NS0_5tupleIJNSA_16discard_iteratorINSA_11use_defaultEEESF_EEENSH_IJSG_SG_EEES6_PlJ7is_evenIiEEEE10hipError_tPvRmT3_T4_T5_T6_T7_T9_mT8_P12ihipStream_tbDpT10_ENKUlT_T0_E_clISt17integral_constantIbLb0EES19_EEDaS14_S15_EUlS14_E_NS1_11comp_targetILNS1_3genE0ELNS1_11target_archE4294967295ELNS1_3gpuE0ELNS1_3repE0EEENS1_30default_config_static_selectorELNS0_4arch9wavefront6targetE1EEEvT1_
	.p2align	8
	.type	_ZN7rocprim17ROCPRIM_400000_NS6detail17trampoline_kernelINS0_14default_configENS1_25partition_config_selectorILNS1_17partition_subalgoE0EiNS0_10empty_typeEbEEZZNS1_14partition_implILS5_0ELb0ES3_jN6thrust23THRUST_200600_302600_NS6detail15normal_iteratorINSA_10device_ptrIiEEEEPS6_SG_NS0_5tupleIJNSA_16discard_iteratorINSA_11use_defaultEEESF_EEENSH_IJSG_SG_EEES6_PlJ7is_evenIiEEEE10hipError_tPvRmT3_T4_T5_T6_T7_T9_mT8_P12ihipStream_tbDpT10_ENKUlT_T0_E_clISt17integral_constantIbLb0EES19_EEDaS14_S15_EUlS14_E_NS1_11comp_targetILNS1_3genE0ELNS1_11target_archE4294967295ELNS1_3gpuE0ELNS1_3repE0EEENS1_30default_config_static_selectorELNS0_4arch9wavefront6targetE1EEEvT1_,@function
_ZN7rocprim17ROCPRIM_400000_NS6detail17trampoline_kernelINS0_14default_configENS1_25partition_config_selectorILNS1_17partition_subalgoE0EiNS0_10empty_typeEbEEZZNS1_14partition_implILS5_0ELb0ES3_jN6thrust23THRUST_200600_302600_NS6detail15normal_iteratorINSA_10device_ptrIiEEEEPS6_SG_NS0_5tupleIJNSA_16discard_iteratorINSA_11use_defaultEEESF_EEENSH_IJSG_SG_EEES6_PlJ7is_evenIiEEEE10hipError_tPvRmT3_T4_T5_T6_T7_T9_mT8_P12ihipStream_tbDpT10_ENKUlT_T0_E_clISt17integral_constantIbLb0EES19_EEDaS14_S15_EUlS14_E_NS1_11comp_targetILNS1_3genE0ELNS1_11target_archE4294967295ELNS1_3gpuE0ELNS1_3repE0EEENS1_30default_config_static_selectorELNS0_4arch9wavefront6targetE1EEEvT1_: ; @_ZN7rocprim17ROCPRIM_400000_NS6detail17trampoline_kernelINS0_14default_configENS1_25partition_config_selectorILNS1_17partition_subalgoE0EiNS0_10empty_typeEbEEZZNS1_14partition_implILS5_0ELb0ES3_jN6thrust23THRUST_200600_302600_NS6detail15normal_iteratorINSA_10device_ptrIiEEEEPS6_SG_NS0_5tupleIJNSA_16discard_iteratorINSA_11use_defaultEEESF_EEENSH_IJSG_SG_EEES6_PlJ7is_evenIiEEEE10hipError_tPvRmT3_T4_T5_T6_T7_T9_mT8_P12ihipStream_tbDpT10_ENKUlT_T0_E_clISt17integral_constantIbLb0EES19_EEDaS14_S15_EUlS14_E_NS1_11comp_targetILNS1_3genE0ELNS1_11target_archE4294967295ELNS1_3gpuE0ELNS1_3repE0EEENS1_30default_config_static_selectorELNS0_4arch9wavefront6targetE1EEEvT1_
; %bb.0:
	.section	.rodata,"a",@progbits
	.p2align	6, 0x0
	.amdhsa_kernel _ZN7rocprim17ROCPRIM_400000_NS6detail17trampoline_kernelINS0_14default_configENS1_25partition_config_selectorILNS1_17partition_subalgoE0EiNS0_10empty_typeEbEEZZNS1_14partition_implILS5_0ELb0ES3_jN6thrust23THRUST_200600_302600_NS6detail15normal_iteratorINSA_10device_ptrIiEEEEPS6_SG_NS0_5tupleIJNSA_16discard_iteratorINSA_11use_defaultEEESF_EEENSH_IJSG_SG_EEES6_PlJ7is_evenIiEEEE10hipError_tPvRmT3_T4_T5_T6_T7_T9_mT8_P12ihipStream_tbDpT10_ENKUlT_T0_E_clISt17integral_constantIbLb0EES19_EEDaS14_S15_EUlS14_E_NS1_11comp_targetILNS1_3genE0ELNS1_11target_archE4294967295ELNS1_3gpuE0ELNS1_3repE0EEENS1_30default_config_static_selectorELNS0_4arch9wavefront6targetE1EEEvT1_
		.amdhsa_group_segment_fixed_size 0
		.amdhsa_private_segment_fixed_size 0
		.amdhsa_kernarg_size 128
		.amdhsa_user_sgpr_count 2
		.amdhsa_user_sgpr_dispatch_ptr 0
		.amdhsa_user_sgpr_queue_ptr 0
		.amdhsa_user_sgpr_kernarg_segment_ptr 1
		.amdhsa_user_sgpr_dispatch_id 0
		.amdhsa_user_sgpr_kernarg_preload_length 0
		.amdhsa_user_sgpr_kernarg_preload_offset 0
		.amdhsa_user_sgpr_private_segment_size 0
		.amdhsa_uses_dynamic_stack 0
		.amdhsa_enable_private_segment 0
		.amdhsa_system_sgpr_workgroup_id_x 1
		.amdhsa_system_sgpr_workgroup_id_y 0
		.amdhsa_system_sgpr_workgroup_id_z 0
		.amdhsa_system_sgpr_workgroup_info 0
		.amdhsa_system_vgpr_workitem_id 0
		.amdhsa_next_free_vgpr 1
		.amdhsa_next_free_sgpr 0
		.amdhsa_accum_offset 4
		.amdhsa_reserve_vcc 0
		.amdhsa_float_round_mode_32 0
		.amdhsa_float_round_mode_16_64 0
		.amdhsa_float_denorm_mode_32 3
		.amdhsa_float_denorm_mode_16_64 3
		.amdhsa_dx10_clamp 1
		.amdhsa_ieee_mode 1
		.amdhsa_fp16_overflow 0
		.amdhsa_tg_split 0
		.amdhsa_exception_fp_ieee_invalid_op 0
		.amdhsa_exception_fp_denorm_src 0
		.amdhsa_exception_fp_ieee_div_zero 0
		.amdhsa_exception_fp_ieee_overflow 0
		.amdhsa_exception_fp_ieee_underflow 0
		.amdhsa_exception_fp_ieee_inexact 0
		.amdhsa_exception_int_div_zero 0
	.end_amdhsa_kernel
	.section	.text._ZN7rocprim17ROCPRIM_400000_NS6detail17trampoline_kernelINS0_14default_configENS1_25partition_config_selectorILNS1_17partition_subalgoE0EiNS0_10empty_typeEbEEZZNS1_14partition_implILS5_0ELb0ES3_jN6thrust23THRUST_200600_302600_NS6detail15normal_iteratorINSA_10device_ptrIiEEEEPS6_SG_NS0_5tupleIJNSA_16discard_iteratorINSA_11use_defaultEEESF_EEENSH_IJSG_SG_EEES6_PlJ7is_evenIiEEEE10hipError_tPvRmT3_T4_T5_T6_T7_T9_mT8_P12ihipStream_tbDpT10_ENKUlT_T0_E_clISt17integral_constantIbLb0EES19_EEDaS14_S15_EUlS14_E_NS1_11comp_targetILNS1_3genE0ELNS1_11target_archE4294967295ELNS1_3gpuE0ELNS1_3repE0EEENS1_30default_config_static_selectorELNS0_4arch9wavefront6targetE1EEEvT1_,"axG",@progbits,_ZN7rocprim17ROCPRIM_400000_NS6detail17trampoline_kernelINS0_14default_configENS1_25partition_config_selectorILNS1_17partition_subalgoE0EiNS0_10empty_typeEbEEZZNS1_14partition_implILS5_0ELb0ES3_jN6thrust23THRUST_200600_302600_NS6detail15normal_iteratorINSA_10device_ptrIiEEEEPS6_SG_NS0_5tupleIJNSA_16discard_iteratorINSA_11use_defaultEEESF_EEENSH_IJSG_SG_EEES6_PlJ7is_evenIiEEEE10hipError_tPvRmT3_T4_T5_T6_T7_T9_mT8_P12ihipStream_tbDpT10_ENKUlT_T0_E_clISt17integral_constantIbLb0EES19_EEDaS14_S15_EUlS14_E_NS1_11comp_targetILNS1_3genE0ELNS1_11target_archE4294967295ELNS1_3gpuE0ELNS1_3repE0EEENS1_30default_config_static_selectorELNS0_4arch9wavefront6targetE1EEEvT1_,comdat
.Lfunc_end2747:
	.size	_ZN7rocprim17ROCPRIM_400000_NS6detail17trampoline_kernelINS0_14default_configENS1_25partition_config_selectorILNS1_17partition_subalgoE0EiNS0_10empty_typeEbEEZZNS1_14partition_implILS5_0ELb0ES3_jN6thrust23THRUST_200600_302600_NS6detail15normal_iteratorINSA_10device_ptrIiEEEEPS6_SG_NS0_5tupleIJNSA_16discard_iteratorINSA_11use_defaultEEESF_EEENSH_IJSG_SG_EEES6_PlJ7is_evenIiEEEE10hipError_tPvRmT3_T4_T5_T6_T7_T9_mT8_P12ihipStream_tbDpT10_ENKUlT_T0_E_clISt17integral_constantIbLb0EES19_EEDaS14_S15_EUlS14_E_NS1_11comp_targetILNS1_3genE0ELNS1_11target_archE4294967295ELNS1_3gpuE0ELNS1_3repE0EEENS1_30default_config_static_selectorELNS0_4arch9wavefront6targetE1EEEvT1_, .Lfunc_end2747-_ZN7rocprim17ROCPRIM_400000_NS6detail17trampoline_kernelINS0_14default_configENS1_25partition_config_selectorILNS1_17partition_subalgoE0EiNS0_10empty_typeEbEEZZNS1_14partition_implILS5_0ELb0ES3_jN6thrust23THRUST_200600_302600_NS6detail15normal_iteratorINSA_10device_ptrIiEEEEPS6_SG_NS0_5tupleIJNSA_16discard_iteratorINSA_11use_defaultEEESF_EEENSH_IJSG_SG_EEES6_PlJ7is_evenIiEEEE10hipError_tPvRmT3_T4_T5_T6_T7_T9_mT8_P12ihipStream_tbDpT10_ENKUlT_T0_E_clISt17integral_constantIbLb0EES19_EEDaS14_S15_EUlS14_E_NS1_11comp_targetILNS1_3genE0ELNS1_11target_archE4294967295ELNS1_3gpuE0ELNS1_3repE0EEENS1_30default_config_static_selectorELNS0_4arch9wavefront6targetE1EEEvT1_
                                        ; -- End function
	.section	.AMDGPU.csdata,"",@progbits
; Kernel info:
; codeLenInByte = 0
; NumSgprs: 6
; NumVgprs: 0
; NumAgprs: 0
; TotalNumVgprs: 0
; ScratchSize: 0
; MemoryBound: 0
; FloatMode: 240
; IeeeMode: 1
; LDSByteSize: 0 bytes/workgroup (compile time only)
; SGPRBlocks: 0
; VGPRBlocks: 0
; NumSGPRsForWavesPerEU: 6
; NumVGPRsForWavesPerEU: 1
; AccumOffset: 4
; Occupancy: 8
; WaveLimiterHint : 0
; COMPUTE_PGM_RSRC2:SCRATCH_EN: 0
; COMPUTE_PGM_RSRC2:USER_SGPR: 2
; COMPUTE_PGM_RSRC2:TRAP_HANDLER: 0
; COMPUTE_PGM_RSRC2:TGID_X_EN: 1
; COMPUTE_PGM_RSRC2:TGID_Y_EN: 0
; COMPUTE_PGM_RSRC2:TGID_Z_EN: 0
; COMPUTE_PGM_RSRC2:TIDIG_COMP_CNT: 0
; COMPUTE_PGM_RSRC3_GFX90A:ACCUM_OFFSET: 0
; COMPUTE_PGM_RSRC3_GFX90A:TG_SPLIT: 0
	.section	.text._ZN7rocprim17ROCPRIM_400000_NS6detail17trampoline_kernelINS0_14default_configENS1_25partition_config_selectorILNS1_17partition_subalgoE0EiNS0_10empty_typeEbEEZZNS1_14partition_implILS5_0ELb0ES3_jN6thrust23THRUST_200600_302600_NS6detail15normal_iteratorINSA_10device_ptrIiEEEEPS6_SG_NS0_5tupleIJNSA_16discard_iteratorINSA_11use_defaultEEESF_EEENSH_IJSG_SG_EEES6_PlJ7is_evenIiEEEE10hipError_tPvRmT3_T4_T5_T6_T7_T9_mT8_P12ihipStream_tbDpT10_ENKUlT_T0_E_clISt17integral_constantIbLb0EES19_EEDaS14_S15_EUlS14_E_NS1_11comp_targetILNS1_3genE5ELNS1_11target_archE942ELNS1_3gpuE9ELNS1_3repE0EEENS1_30default_config_static_selectorELNS0_4arch9wavefront6targetE1EEEvT1_,"axG",@progbits,_ZN7rocprim17ROCPRIM_400000_NS6detail17trampoline_kernelINS0_14default_configENS1_25partition_config_selectorILNS1_17partition_subalgoE0EiNS0_10empty_typeEbEEZZNS1_14partition_implILS5_0ELb0ES3_jN6thrust23THRUST_200600_302600_NS6detail15normal_iteratorINSA_10device_ptrIiEEEEPS6_SG_NS0_5tupleIJNSA_16discard_iteratorINSA_11use_defaultEEESF_EEENSH_IJSG_SG_EEES6_PlJ7is_evenIiEEEE10hipError_tPvRmT3_T4_T5_T6_T7_T9_mT8_P12ihipStream_tbDpT10_ENKUlT_T0_E_clISt17integral_constantIbLb0EES19_EEDaS14_S15_EUlS14_E_NS1_11comp_targetILNS1_3genE5ELNS1_11target_archE942ELNS1_3gpuE9ELNS1_3repE0EEENS1_30default_config_static_selectorELNS0_4arch9wavefront6targetE1EEEvT1_,comdat
	.protected	_ZN7rocprim17ROCPRIM_400000_NS6detail17trampoline_kernelINS0_14default_configENS1_25partition_config_selectorILNS1_17partition_subalgoE0EiNS0_10empty_typeEbEEZZNS1_14partition_implILS5_0ELb0ES3_jN6thrust23THRUST_200600_302600_NS6detail15normal_iteratorINSA_10device_ptrIiEEEEPS6_SG_NS0_5tupleIJNSA_16discard_iteratorINSA_11use_defaultEEESF_EEENSH_IJSG_SG_EEES6_PlJ7is_evenIiEEEE10hipError_tPvRmT3_T4_T5_T6_T7_T9_mT8_P12ihipStream_tbDpT10_ENKUlT_T0_E_clISt17integral_constantIbLb0EES19_EEDaS14_S15_EUlS14_E_NS1_11comp_targetILNS1_3genE5ELNS1_11target_archE942ELNS1_3gpuE9ELNS1_3repE0EEENS1_30default_config_static_selectorELNS0_4arch9wavefront6targetE1EEEvT1_ ; -- Begin function _ZN7rocprim17ROCPRIM_400000_NS6detail17trampoline_kernelINS0_14default_configENS1_25partition_config_selectorILNS1_17partition_subalgoE0EiNS0_10empty_typeEbEEZZNS1_14partition_implILS5_0ELb0ES3_jN6thrust23THRUST_200600_302600_NS6detail15normal_iteratorINSA_10device_ptrIiEEEEPS6_SG_NS0_5tupleIJNSA_16discard_iteratorINSA_11use_defaultEEESF_EEENSH_IJSG_SG_EEES6_PlJ7is_evenIiEEEE10hipError_tPvRmT3_T4_T5_T6_T7_T9_mT8_P12ihipStream_tbDpT10_ENKUlT_T0_E_clISt17integral_constantIbLb0EES19_EEDaS14_S15_EUlS14_E_NS1_11comp_targetILNS1_3genE5ELNS1_11target_archE942ELNS1_3gpuE9ELNS1_3repE0EEENS1_30default_config_static_selectorELNS0_4arch9wavefront6targetE1EEEvT1_
	.globl	_ZN7rocprim17ROCPRIM_400000_NS6detail17trampoline_kernelINS0_14default_configENS1_25partition_config_selectorILNS1_17partition_subalgoE0EiNS0_10empty_typeEbEEZZNS1_14partition_implILS5_0ELb0ES3_jN6thrust23THRUST_200600_302600_NS6detail15normal_iteratorINSA_10device_ptrIiEEEEPS6_SG_NS0_5tupleIJNSA_16discard_iteratorINSA_11use_defaultEEESF_EEENSH_IJSG_SG_EEES6_PlJ7is_evenIiEEEE10hipError_tPvRmT3_T4_T5_T6_T7_T9_mT8_P12ihipStream_tbDpT10_ENKUlT_T0_E_clISt17integral_constantIbLb0EES19_EEDaS14_S15_EUlS14_E_NS1_11comp_targetILNS1_3genE5ELNS1_11target_archE942ELNS1_3gpuE9ELNS1_3repE0EEENS1_30default_config_static_selectorELNS0_4arch9wavefront6targetE1EEEvT1_
	.p2align	8
	.type	_ZN7rocprim17ROCPRIM_400000_NS6detail17trampoline_kernelINS0_14default_configENS1_25partition_config_selectorILNS1_17partition_subalgoE0EiNS0_10empty_typeEbEEZZNS1_14partition_implILS5_0ELb0ES3_jN6thrust23THRUST_200600_302600_NS6detail15normal_iteratorINSA_10device_ptrIiEEEEPS6_SG_NS0_5tupleIJNSA_16discard_iteratorINSA_11use_defaultEEESF_EEENSH_IJSG_SG_EEES6_PlJ7is_evenIiEEEE10hipError_tPvRmT3_T4_T5_T6_T7_T9_mT8_P12ihipStream_tbDpT10_ENKUlT_T0_E_clISt17integral_constantIbLb0EES19_EEDaS14_S15_EUlS14_E_NS1_11comp_targetILNS1_3genE5ELNS1_11target_archE942ELNS1_3gpuE9ELNS1_3repE0EEENS1_30default_config_static_selectorELNS0_4arch9wavefront6targetE1EEEvT1_,@function
_ZN7rocprim17ROCPRIM_400000_NS6detail17trampoline_kernelINS0_14default_configENS1_25partition_config_selectorILNS1_17partition_subalgoE0EiNS0_10empty_typeEbEEZZNS1_14partition_implILS5_0ELb0ES3_jN6thrust23THRUST_200600_302600_NS6detail15normal_iteratorINSA_10device_ptrIiEEEEPS6_SG_NS0_5tupleIJNSA_16discard_iteratorINSA_11use_defaultEEESF_EEENSH_IJSG_SG_EEES6_PlJ7is_evenIiEEEE10hipError_tPvRmT3_T4_T5_T6_T7_T9_mT8_P12ihipStream_tbDpT10_ENKUlT_T0_E_clISt17integral_constantIbLb0EES19_EEDaS14_S15_EUlS14_E_NS1_11comp_targetILNS1_3genE5ELNS1_11target_archE942ELNS1_3gpuE9ELNS1_3repE0EEENS1_30default_config_static_selectorELNS0_4arch9wavefront6targetE1EEEvT1_: ; @_ZN7rocprim17ROCPRIM_400000_NS6detail17trampoline_kernelINS0_14default_configENS1_25partition_config_selectorILNS1_17partition_subalgoE0EiNS0_10empty_typeEbEEZZNS1_14partition_implILS5_0ELb0ES3_jN6thrust23THRUST_200600_302600_NS6detail15normal_iteratorINSA_10device_ptrIiEEEEPS6_SG_NS0_5tupleIJNSA_16discard_iteratorINSA_11use_defaultEEESF_EEENSH_IJSG_SG_EEES6_PlJ7is_evenIiEEEE10hipError_tPvRmT3_T4_T5_T6_T7_T9_mT8_P12ihipStream_tbDpT10_ENKUlT_T0_E_clISt17integral_constantIbLb0EES19_EEDaS14_S15_EUlS14_E_NS1_11comp_targetILNS1_3genE5ELNS1_11target_archE942ELNS1_3gpuE9ELNS1_3repE0EEENS1_30default_config_static_selectorELNS0_4arch9wavefront6targetE1EEEvT1_
; %bb.0:
	s_load_dwordx2 s[4:5], s[0:1], 0x60
	s_load_dwordx4 s[20:23], s[0:1], 0x8
	s_load_dwordx4 s[24:27], s[0:1], 0x50
	s_load_dword s3, s[0:1], 0x78
	s_mul_i32 s8, s2, 0x1e00
	s_waitcnt lgkmcnt(0)
	v_mov_b32_e32 v3, s5
	s_lshl_b64 s[6:7], s[22:23], 2
	s_add_u32 s10, s20, s6
	s_addc_u32 s11, s21, s7
	s_add_i32 s6, s3, -1
	s_mulk_i32 s3, 0x1e00
	s_add_i32 s5, s3, s22
	s_sub_i32 s33, s4, s5
	s_addk_i32 s33, 0x1e00
	v_mov_b32_e32 v2, s4
	s_add_u32 s4, s22, s3
	s_addc_u32 s5, s23, 0
	s_cmp_eq_u32 s2, s6
	s_load_dwordx2 s[28:29], s[26:27], 0x0
	s_cselect_b64 s[26:27], -1, 0
	s_cmp_lg_u32 s2, s6
	s_mov_b32 s9, 0
	v_cmp_lt_u64_e32 vcc, s[4:5], v[2:3]
	s_cselect_b64 s[4:5], -1, 0
	s_or_b64 s[6:7], s[4:5], vcc
	s_lshl_b64 s[30:31], s[8:9], 2
	s_add_u32 s8, s10, s30
	s_addc_u32 s9, s11, s31
	s_mov_b64 s[4:5], -1
	s_and_b64 vcc, exec, s[6:7]
	v_lshlrev_b32_e32 v18, 2, v0
	s_cbranch_vccz .LBB2748_2
; %bb.1:
	v_mov_b32_e32 v19, 0
	v_lshl_add_u64 v[2:3], s[8:9], 0, v[18:19]
	v_add_co_u32_e32 v4, vcc, 0x1000, v2
	s_mov_b64 s[4:5], 0
	s_nop 0
	v_addc_co_u32_e32 v5, vcc, 0, v3, vcc
	v_add_co_u32_e32 v6, vcc, 0x2000, v2
	s_nop 1
	v_addc_co_u32_e32 v7, vcc, 0, v3, vcc
	v_add_co_u32_e32 v8, vcc, 0x3000, v2
	s_nop 1
	v_addc_co_u32_e32 v9, vcc, 0, v3, vcc
	flat_load_dword v1, v[2:3]
	flat_load_dword v10, v[2:3] offset:2048
	flat_load_dword v11, v[4:5]
	flat_load_dword v12, v[4:5] offset:2048
	;; [unrolled: 2-line block ×4, first 2 shown]
	v_add_co_u32_e32 v4, vcc, 0x4000, v2
	s_nop 1
	v_addc_co_u32_e32 v5, vcc, 0, v3, vcc
	v_add_co_u32_e32 v6, vcc, 0x5000, v2
	s_nop 1
	v_addc_co_u32_e32 v7, vcc, 0, v3, vcc
	;; [unrolled: 3-line block ×4, first 2 shown]
	flat_load_dword v17, v[4:5]
	flat_load_dword v19, v[4:5] offset:2048
	flat_load_dword v20, v[6:7]
	flat_load_dword v21, v[6:7] offset:2048
	;; [unrolled: 2-line block ×3, first 2 shown]
	flat_load_dword v24, v[2:3]
	s_waitcnt vmcnt(0) lgkmcnt(0)
	ds_write2st64_b32 v18, v1, v10 offset1:8
	ds_write2st64_b32 v18, v11, v12 offset0:16 offset1:24
	ds_write2st64_b32 v18, v13, v14 offset0:32 offset1:40
	;; [unrolled: 1-line block ×6, first 2 shown]
	ds_write_b32 v18, v24 offset:28672
	s_waitcnt lgkmcnt(0)
	s_barrier
.LBB2748_2:
	s_andn2_b64 vcc, exec, s[4:5]
	v_cmp_gt_u32_e64 s[4:5], s33, v0
	s_cbranch_vccnz .LBB2748_34
; %bb.3:
                                        ; implicit-def: $vgpr2_vgpr3_vgpr4_vgpr5_vgpr6_vgpr7_vgpr8_vgpr9_vgpr10_vgpr11_vgpr12_vgpr13_vgpr14_vgpr15_vgpr16_vgpr17
	s_and_saveexec_b64 s[10:11], s[4:5]
	s_cbranch_execz .LBB2748_5
; %bb.4:
	v_mov_b32_e32 v19, 0
	v_lshl_add_u64 v[2:3], s[8:9], 0, v[18:19]
	flat_load_dword v2, v[2:3]
.LBB2748_5:
	s_or_b64 exec, exec, s[10:11]
	v_or_b32_e32 v1, 0x200, v0
	v_cmp_gt_u32_e32 vcc, s33, v1
	s_and_saveexec_b64 s[4:5], vcc
	s_cbranch_execz .LBB2748_7
; %bb.6:
	v_mov_b32_e32 v19, 0
	v_lshl_add_u64 v[20:21], s[8:9], 0, v[18:19]
	flat_load_dword v3, v[20:21] offset:2048
.LBB2748_7:
	s_or_b64 exec, exec, s[4:5]
	v_or_b32_e32 v1, 0x400, v0
	v_cmp_gt_u32_e32 vcc, s33, v1
	s_and_saveexec_b64 s[4:5], vcc
	s_cbranch_execz .LBB2748_9
; %bb.8:
	v_lshlrev_b32_e32 v20, 2, v1
	v_mov_b32_e32 v21, 0
	v_lshl_add_u64 v[20:21], s[8:9], 0, v[20:21]
	flat_load_dword v4, v[20:21]
.LBB2748_9:
	s_or_b64 exec, exec, s[4:5]
	v_or_b32_e32 v1, 0x600, v0
	v_cmp_gt_u32_e32 vcc, s33, v1
	s_and_saveexec_b64 s[4:5], vcc
	s_cbranch_execz .LBB2748_11
; %bb.10:
	v_lshlrev_b32_e32 v20, 2, v1
	v_mov_b32_e32 v21, 0
	v_lshl_add_u64 v[20:21], s[8:9], 0, v[20:21]
	flat_load_dword v5, v[20:21]
.LBB2748_11:
	;; [unrolled: 11-line block ×13, first 2 shown]
	s_or_b64 exec, exec, s[4:5]
	s_waitcnt vmcnt(0) lgkmcnt(0)
	ds_write2st64_b32 v18, v2, v3 offset1:8
	ds_write2st64_b32 v18, v4, v5 offset0:16 offset1:24
	ds_write2st64_b32 v18, v6, v7 offset0:32 offset1:40
	;; [unrolled: 1-line block ×6, first 2 shown]
	ds_write_b32 v18, v16 offset:28672
	s_waitcnt lgkmcnt(0)
	s_barrier
.LBB2748_34:
	v_mul_u32_u24_e32 v38, 15, v0
	v_lshlrev_b32_e32 v1, 2, v38
	s_waitcnt lgkmcnt(0)
	ds_read2_b32 v[32:33], v1 offset1:1
	ds_read2_b32 v[30:31], v1 offset0:2 offset1:3
	ds_read2_b32 v[28:29], v1 offset0:4 offset1:5
	;; [unrolled: 1-line block ×6, first 2 shown]
	ds_read_b32 v1, v1 offset:56
	v_cndmask_b32_e64 v2, 0, 1, s[6:7]
	v_cmp_ne_u32_e64 s[20:21], 1, v2
	s_andn2_b64 vcc, exec, s[6:7]
	s_waitcnt lgkmcnt(7)
	v_xor_b32_e32 v16, -1, v32
	v_xor_b32_e32 v15, -1, v33
	s_waitcnt lgkmcnt(6)
	v_xor_b32_e32 v14, -1, v30
	v_xor_b32_e32 v13, -1, v31
	;; [unrolled: 3-line block ×7, first 2 shown]
	s_waitcnt lgkmcnt(0)
	v_xor_b32_e32 v2, -1, v1
	s_barrier
	s_cbranch_vccnz .LBB2748_36
; %bb.35:
	v_and_b32_e32 v51, 1, v16
	v_and_b32_e32 v50, 1, v15
	;; [unrolled: 1-line block ×15, first 2 shown]
	s_load_dwordx2 s[34:35], s[0:1], 0x70
	s_cbranch_execz .LBB2748_37
	s_branch .LBB2748_38
.LBB2748_36:
                                        ; implicit-def: $vgpr19
                                        ; implicit-def: $vgpr37
                                        ; implicit-def: $vgpr39
                                        ; implicit-def: $vgpr40
                                        ; implicit-def: $vgpr41
                                        ; implicit-def: $vgpr42
                                        ; implicit-def: $vgpr43
                                        ; implicit-def: $vgpr44
                                        ; implicit-def: $vgpr45
                                        ; implicit-def: $vgpr51
                                        ; implicit-def: $vgpr50
                                        ; implicit-def: $vgpr49
                                        ; implicit-def: $vgpr48
                                        ; implicit-def: $vgpr47
                                        ; implicit-def: $vgpr46
	s_load_dwordx2 s[34:35], s[0:1], 0x70
.LBB2748_37:
	v_add_u32_e32 v44, 1, v38
	v_cmp_gt_u32_e32 vcc, s33, v38
	v_add_u32_e32 v17, 2, v38
	v_add_u32_e32 v43, 3, v38
	v_cndmask_b32_e64 v45, 0, 1, vcc
	v_cmp_gt_u32_e32 vcc, s33, v44
	v_and_b32_e32 v51, v45, v16
	v_add_u32_e32 v19, 4, v38
	v_cndmask_b32_e64 v16, 0, 1, vcc
	v_cmp_gt_u32_e32 vcc, s33, v17
	v_and_b32_e32 v50, v16, v15
	;; [unrolled: 4-line block ×12, first 2 shown]
	s_nop 0
	v_cndmask_b32_e64 v5, 0, 1, vcc
	v_cmp_gt_u32_e32 vcc, s33, v53
	v_and_b32_e32 v39, v5, v4
	s_nop 0
	v_cndmask_b32_e64 v4, 0, 1, vcc
	v_cmp_gt_u32_e32 vcc, s33, v52
	v_and_b32_e32 v37, v4, v3
	s_nop 0
	v_cndmask_b32_e64 v3, 0, 1, vcc
	v_and_b32_e32 v19, v3, v2
.LBB2748_38:
	v_and_b32_e32 v55, 0xff, v48
	v_and_b32_e32 v56, 0xff, v47
	;; [unrolled: 1-line block ×5, first 2 shown]
	v_add3_u32 v3, v56, v57, v55
	v_and_b32_e32 v52, 0xff, v51
	v_and_b32_e32 v58, 0xff, v45
	v_add3_u32 v3, v3, v54, v53
	v_and_b32_e32 v59, 0xff, v44
	v_and_b32_e32 v60, 0xff, v43
	;; [unrolled: 3-line block ×5, first 2 shown]
	v_add3_u32 v3, v3, v63, v64
	v_add3_u32 v68, v3, v65, v2
	v_mbcnt_lo_u32_b32 v2, -1, 0
	v_mbcnt_hi_u32_b32 v66, -1, v2
	v_and_b32_e32 v2, 15, v66
	v_cmp_eq_u32_e64 s[16:17], 0, v2
	v_cmp_lt_u32_e64 s[14:15], 1, v2
	v_cmp_lt_u32_e64 s[12:13], 3, v2
	;; [unrolled: 1-line block ×3, first 2 shown]
	v_and_b32_e32 v2, 16, v66
	v_cmp_eq_u32_e64 s[8:9], 0, v2
	v_or_b32_e32 v2, 63, v0
	s_cmp_lg_u32 s2, 0
	v_cmp_lt_u32_e64 s[4:5], 31, v66
	v_lshrrev_b32_e32 v67, 6, v0
	v_cmp_eq_u32_e64 s[6:7], v2, v0
	s_cbranch_scc0 .LBB2748_65
; %bb.39:
	v_mov_b32_dpp v2, v68 row_shr:1 row_mask:0xf bank_mask:0xf
	v_cndmask_b32_e64 v2, v2, 0, s[16:17]
	v_add_u32_e32 v2, v2, v68
	s_nop 1
	v_mov_b32_dpp v3, v2 row_shr:2 row_mask:0xf bank_mask:0xf
	v_cndmask_b32_e64 v3, 0, v3, s[14:15]
	v_add_u32_e32 v2, v2, v3
	s_nop 1
	v_mov_b32_dpp v3, v2 row_shr:4 row_mask:0xf bank_mask:0xf
	v_cndmask_b32_e64 v3, 0, v3, s[12:13]
	v_add_u32_e32 v2, v2, v3
	s_nop 1
	v_mov_b32_dpp v3, v2 row_shr:8 row_mask:0xf bank_mask:0xf
	v_cndmask_b32_e64 v3, 0, v3, s[10:11]
	v_add_u32_e32 v2, v2, v3
	s_nop 1
	v_mov_b32_dpp v3, v2 row_bcast:15 row_mask:0xf bank_mask:0xf
	v_cndmask_b32_e64 v3, v3, 0, s[8:9]
	v_add_u32_e32 v2, v2, v3
	s_nop 1
	v_mov_b32_dpp v3, v2 row_bcast:31 row_mask:0xf bank_mask:0xf
	v_cndmask_b32_e64 v3, 0, v3, s[4:5]
	v_add_u32_e32 v2, v2, v3
	s_and_saveexec_b64 s[18:19], s[6:7]
	s_cbranch_execz .LBB2748_41
; %bb.40:
	v_lshlrev_b32_e32 v3, 2, v67
	ds_write_b32 v3, v2
.LBB2748_41:
	s_or_b64 exec, exec, s[18:19]
	v_cmp_gt_u32_e32 vcc, 8, v0
	s_waitcnt lgkmcnt(0)
	s_barrier
	s_and_saveexec_b64 s[18:19], vcc
	s_cbranch_execz .LBB2748_43
; %bb.42:
	ds_read_b32 v3, v18
	v_and_b32_e32 v4, 7, v66
	v_cmp_ne_u32_e32 vcc, 0, v4
	s_waitcnt lgkmcnt(0)
	v_mov_b32_dpp v5, v3 row_shr:1 row_mask:0xf bank_mask:0xf
	v_cndmask_b32_e32 v5, 0, v5, vcc
	v_add_u32_e32 v3, v5, v3
	v_cmp_lt_u32_e32 vcc, 1, v4
	s_nop 0
	v_mov_b32_dpp v5, v3 row_shr:2 row_mask:0xf bank_mask:0xf
	v_cndmask_b32_e32 v5, 0, v5, vcc
	v_add_u32_e32 v3, v3, v5
	v_cmp_lt_u32_e32 vcc, 3, v4
	s_nop 0
	v_mov_b32_dpp v5, v3 row_shr:4 row_mask:0xf bank_mask:0xf
	v_cndmask_b32_e32 v4, 0, v5, vcc
	v_add_u32_e32 v3, v3, v4
	ds_write_b32 v18, v3
.LBB2748_43:
	s_or_b64 exec, exec, s[18:19]
	v_cmp_gt_u32_e32 vcc, 64, v0
	v_cmp_lt_u32_e64 s[18:19], 63, v0
	s_waitcnt lgkmcnt(0)
	s_barrier
	s_waitcnt lgkmcnt(0)
                                        ; implicit-def: $vgpr12
	s_and_saveexec_b64 s[36:37], s[18:19]
	s_cbranch_execz .LBB2748_45
; %bb.44:
	v_lshl_add_u32 v3, v67, 2, -4
	ds_read_b32 v12, v3
	s_waitcnt lgkmcnt(0)
	v_add_u32_e32 v2, v12, v2
.LBB2748_45:
	s_or_b64 exec, exec, s[36:37]
	v_add_u32_e32 v3, -1, v66
	v_and_b32_e32 v4, 64, v66
	v_cmp_lt_i32_e64 s[18:19], v3, v4
	s_nop 1
	v_cndmask_b32_e64 v3, v3, v66, s[18:19]
	v_lshlrev_b32_e32 v3, 2, v3
	ds_bpermute_b32 v13, v3, v2
	v_cmp_eq_u32_e64 s[18:19], 0, v66
	s_and_saveexec_b64 s[36:37], vcc
	s_cbranch_execz .LBB2748_64
; %bb.46:
	v_mov_b32_e32 v9, 0
	ds_read_b32 v2, v9 offset:28
	s_and_saveexec_b64 s[38:39], s[18:19]
	s_cbranch_execz .LBB2748_48
; %bb.47:
	s_add_i32 s40, s2, 64
	s_mov_b32 s41, 0
	s_lshl_b64 s[40:41], s[40:41], 3
	s_add_u32 s40, s34, s40
	v_mov_b32_e32 v3, 1
	s_addc_u32 s41, s35, s41
	s_waitcnt lgkmcnt(0)
	global_store_dwordx2 v9, v[2:3], s[40:41] sc1
.LBB2748_48:
	s_or_b64 exec, exec, s[38:39]
	v_xad_u32 v4, v66, -1, s2
	v_add_u32_e32 v8, 64, v4
	v_lshl_add_u64 v[10:11], v[8:9], 3, s[34:35]
	global_load_dwordx2 v[6:7], v[10:11], off sc1
	s_waitcnt vmcnt(0)
	v_cmp_eq_u16_sdwa s[40:41], v7, v9 src0_sel:BYTE_0 src1_sel:DWORD
	s_and_saveexec_b64 s[38:39], s[40:41]
	s_cbranch_execz .LBB2748_52
; %bb.49:
	s_mov_b64 s[40:41], 0
	v_mov_b32_e32 v3, 0
.LBB2748_50:                            ; =>This Inner Loop Header: Depth=1
	global_load_dwordx2 v[6:7], v[10:11], off sc1
	s_waitcnt vmcnt(0)
	v_cmp_ne_u16_sdwa s[42:43], v7, v3 src0_sel:BYTE_0 src1_sel:DWORD
	s_or_b64 s[40:41], s[42:43], s[40:41]
	s_andn2_b64 exec, exec, s[40:41]
	s_cbranch_execnz .LBB2748_50
; %bb.51:
	s_or_b64 exec, exec, s[40:41]
.LBB2748_52:
	s_or_b64 exec, exec, s[38:39]
	v_and_b32_e32 v15, 63, v66
	v_mov_b32_e32 v14, 2
	v_cmp_ne_u32_e32 vcc, 63, v15
	v_cmp_eq_u16_sdwa s[38:39], v7, v14 src0_sel:BYTE_0 src1_sel:DWORD
	v_lshlrev_b64 v[8:9], v66, -1
	v_addc_co_u32_e32 v10, vcc, 0, v66, vcc
	v_and_b32_e32 v3, s39, v9
	v_lshlrev_b32_e32 v16, 2, v10
	v_or_b32_e32 v3, 0x80000000, v3
	ds_bpermute_b32 v10, v16, v6
	v_and_b32_e32 v5, s38, v8
	v_ffbl_b32_e32 v3, v3
	v_add_u32_e32 v3, 32, v3
	v_ffbl_b32_e32 v5, v5
	v_min_u32_e32 v3, v5, v3
	v_cmp_lt_u32_e32 vcc, v15, v3
	v_add_u32_e32 v34, 2, v15
	v_add_u32_e32 v36, 4, v15
	s_waitcnt lgkmcnt(0)
	v_cndmask_b32_e32 v5, 0, v10, vcc
	v_cmp_gt_u32_e32 vcc, 62, v15
	v_add_u32_e32 v5, v5, v6
	v_add_u32_e32 v70, 8, v15
	v_cndmask_b32_e64 v6, 0, 1, vcc
	v_lshlrev_b32_e32 v6, 1, v6
	v_add_lshl_u32 v17, v6, v66, 2
	ds_bpermute_b32 v6, v17, v5
	v_cmp_le_u32_e32 vcc, v34, v3
	v_add_u32_e32 v72, 16, v15
	v_add_u32_e32 v74, 32, v15
	s_waitcnt lgkmcnt(0)
	v_cndmask_b32_e32 v6, 0, v6, vcc
	v_cmp_gt_u32_e32 vcc, 60, v15
	v_add_u32_e32 v5, v5, v6
	s_nop 0
	v_cndmask_b32_e64 v6, 0, 1, vcc
	v_lshlrev_b32_e32 v6, 2, v6
	v_add_lshl_u32 v35, v6, v66, 2
	ds_bpermute_b32 v6, v35, v5
	v_cmp_le_u32_e32 vcc, v36, v3
	s_waitcnt lgkmcnt(0)
	s_nop 0
	v_cndmask_b32_e32 v6, 0, v6, vcc
	v_cmp_gt_u32_e32 vcc, 56, v15
	v_add_u32_e32 v5, v5, v6
	s_nop 0
	v_cndmask_b32_e64 v6, 0, 1, vcc
	v_lshlrev_b32_e32 v6, 3, v6
	v_add_lshl_u32 v69, v6, v66, 2
	ds_bpermute_b32 v6, v69, v5
	v_cmp_le_u32_e32 vcc, v70, v3
	s_waitcnt lgkmcnt(0)
	s_nop 0
	;; [unrolled: 11-line block ×4, first 2 shown]
	v_cndmask_b32_e32 v3, 0, v6, vcc
	v_add_u32_e32 v6, v5, v3
	v_mov_b32_e32 v5, 0
	s_branch .LBB2748_54
.LBB2748_53:                            ;   in Loop: Header=BB2748_54 Depth=1
	s_or_b64 exec, exec, s[38:39]
	v_cmp_eq_u16_sdwa s[38:39], v7, v14 src0_sel:BYTE_0 src1_sel:DWORD
	ds_bpermute_b32 v75, v16, v6
	v_subrev_u32_e32 v4, 64, v4
	v_and_b32_e32 v10, s39, v9
	v_or_b32_e32 v10, 0x80000000, v10
	v_and_b32_e32 v11, s38, v8
	v_ffbl_b32_e32 v10, v10
	v_add_u32_e32 v10, 32, v10
	v_ffbl_b32_e32 v11, v11
	v_min_u32_e32 v10, v11, v10
	v_cmp_lt_u32_e32 vcc, v15, v10
	s_waitcnt lgkmcnt(0)
	s_nop 0
	v_cndmask_b32_e32 v11, 0, v75, vcc
	v_add_u32_e32 v6, v11, v6
	ds_bpermute_b32 v11, v17, v6
	v_cmp_le_u32_e32 vcc, v34, v10
	s_waitcnt lgkmcnt(0)
	s_nop 0
	v_cndmask_b32_e32 v11, 0, v11, vcc
	v_add_u32_e32 v6, v6, v11
	ds_bpermute_b32 v11, v35, v6
	v_cmp_le_u32_e32 vcc, v36, v10
	;; [unrolled: 6-line block ×5, first 2 shown]
	s_waitcnt lgkmcnt(0)
	s_nop 0
	v_cndmask_b32_e32 v10, 0, v11, vcc
	v_add3_u32 v6, v10, v3, v6
.LBB2748_54:                            ; =>This Loop Header: Depth=1
                                        ;     Child Loop BB2748_57 Depth 2
	v_cmp_ne_u16_sdwa s[38:39], v7, v14 src0_sel:BYTE_0 src1_sel:DWORD
	s_nop 1
	v_cndmask_b32_e64 v3, 0, 1, s[38:39]
	;;#ASMSTART
	;;#ASMEND
	s_nop 0
	v_cmp_ne_u32_e32 vcc, 0, v3
	s_cmp_lg_u64 vcc, exec
	v_mov_b32_e32 v3, v6
	s_cbranch_scc1 .LBB2748_59
; %bb.55:                               ;   in Loop: Header=BB2748_54 Depth=1
	v_lshl_add_u64 v[10:11], v[4:5], 3, s[34:35]
	global_load_dwordx2 v[6:7], v[10:11], off sc1
	s_waitcnt vmcnt(0)
	v_cmp_eq_u16_sdwa s[40:41], v7, v5 src0_sel:BYTE_0 src1_sel:DWORD
	s_and_saveexec_b64 s[38:39], s[40:41]
	s_cbranch_execz .LBB2748_53
; %bb.56:                               ;   in Loop: Header=BB2748_54 Depth=1
	s_mov_b64 s[40:41], 0
.LBB2748_57:                            ;   Parent Loop BB2748_54 Depth=1
                                        ; =>  This Inner Loop Header: Depth=2
	global_load_dwordx2 v[6:7], v[10:11], off sc1
	s_waitcnt vmcnt(0)
	v_cmp_ne_u16_sdwa s[42:43], v7, v5 src0_sel:BYTE_0 src1_sel:DWORD
	s_or_b64 s[40:41], s[42:43], s[40:41]
	s_andn2_b64 exec, exec, s[40:41]
	s_cbranch_execnz .LBB2748_57
; %bb.58:                               ;   in Loop: Header=BB2748_54 Depth=1
	s_or_b64 exec, exec, s[40:41]
	s_branch .LBB2748_53
.LBB2748_59:                            ;   in Loop: Header=BB2748_54 Depth=1
                                        ; implicit-def: $vgpr6
                                        ; implicit-def: $vgpr7
	s_cbranch_execz .LBB2748_54
; %bb.60:
	s_and_saveexec_b64 s[38:39], s[18:19]
	s_cbranch_execz .LBB2748_62
; %bb.61:
	s_add_i32 s2, s2, 64
	s_mov_b32 s3, 0
	s_lshl_b64 s[2:3], s[2:3], 3
	s_add_u32 s2, s34, s2
	v_add_u32_e32 v4, v3, v2
	v_mov_b32_e32 v5, 2
	s_addc_u32 s3, s35, s3
	v_mov_b32_e32 v6, 0
	global_store_dwordx2 v6, v[4:5], s[2:3] sc1
	ds_write_b64 v6, v[2:3] offset:30720
.LBB2748_62:
	s_or_b64 exec, exec, s[38:39]
	v_cmp_eq_u32_e32 vcc, 0, v0
	s_and_b64 exec, exec, vcc
	s_cbranch_execz .LBB2748_64
; %bb.63:
	v_mov_b32_e32 v2, 0
	ds_write_b32 v2, v3 offset:28
.LBB2748_64:
	s_or_b64 exec, exec, s[36:37]
	v_mov_b32_e32 v14, 0
	s_waitcnt lgkmcnt(0)
	s_barrier
	ds_read_b32 v2, v14 offset:28
	v_cndmask_b32_e64 v3, v13, v12, s[18:19]
	v_cmp_ne_u32_e32 vcc, 0, v0
	s_waitcnt lgkmcnt(0)
	s_barrier
	v_cndmask_b32_e32 v3, 0, v3, vcc
	v_add_u32_e32 v2, v2, v3
	v_add_u32_e32 v3, v2, v52
	;; [unrolled: 1-line block ×10, first 2 shown]
	ds_read_b64 v[34:35], v14 offset:30720
	v_add_u32_e32 v12, v11, v61
	v_add_u32_e32 v13, v12, v62
	;; [unrolled: 1-line block ×5, first 2 shown]
	s_waitcnt lgkmcnt(0)
	v_mov_b32_e32 v36, v35
	s_branch .LBB2748_75
.LBB2748_65:
                                        ; implicit-def: $vgpr36
                                        ; implicit-def: $vgpr34
                                        ; implicit-def: $vgpr2_vgpr3_vgpr4_vgpr5_vgpr6_vgpr7_vgpr8_vgpr9_vgpr10_vgpr11_vgpr12_vgpr13_vgpr14_vgpr15_vgpr16_vgpr17
	s_cbranch_execz .LBB2748_75
; %bb.66:
	s_nop 0
	v_mov_b32_dpp v2, v68 row_shr:1 row_mask:0xf bank_mask:0xf
	v_cndmask_b32_e64 v2, v2, 0, s[16:17]
	v_add_u32_e32 v2, v2, v68
	s_nop 1
	v_mov_b32_dpp v3, v2 row_shr:2 row_mask:0xf bank_mask:0xf
	v_cndmask_b32_e64 v3, 0, v3, s[14:15]
	v_add_u32_e32 v2, v2, v3
	;; [unrolled: 4-line block ×4, first 2 shown]
	s_nop 1
	v_mov_b32_dpp v3, v2 row_bcast:15 row_mask:0xf bank_mask:0xf
	v_cndmask_b32_e64 v3, v3, 0, s[8:9]
	v_add_u32_e32 v2, v2, v3
	s_nop 1
	v_mov_b32_dpp v3, v2 row_bcast:31 row_mask:0xf bank_mask:0xf
	v_cndmask_b32_e64 v3, 0, v3, s[4:5]
	v_add_u32_e32 v2, v2, v3
	s_and_saveexec_b64 s[2:3], s[6:7]
	s_cbranch_execz .LBB2748_68
; %bb.67:
	v_lshlrev_b32_e32 v3, 2, v67
	ds_write_b32 v3, v2
.LBB2748_68:
	s_or_b64 exec, exec, s[2:3]
	v_cmp_gt_u32_e32 vcc, 8, v0
	s_waitcnt lgkmcnt(0)
	s_barrier
	s_and_saveexec_b64 s[2:3], vcc
	s_cbranch_execz .LBB2748_70
; %bb.69:
	ds_read_b32 v3, v18
	v_and_b32_e32 v4, 7, v66
	v_cmp_ne_u32_e32 vcc, 0, v4
	s_waitcnt lgkmcnt(0)
	v_mov_b32_dpp v5, v3 row_shr:1 row_mask:0xf bank_mask:0xf
	v_cndmask_b32_e32 v5, 0, v5, vcc
	v_add_u32_e32 v3, v5, v3
	v_cmp_lt_u32_e32 vcc, 1, v4
	s_nop 0
	v_mov_b32_dpp v5, v3 row_shr:2 row_mask:0xf bank_mask:0xf
	v_cndmask_b32_e32 v5, 0, v5, vcc
	v_add_u32_e32 v3, v3, v5
	v_cmp_lt_u32_e32 vcc, 3, v4
	s_nop 0
	v_mov_b32_dpp v5, v3 row_shr:4 row_mask:0xf bank_mask:0xf
	v_cndmask_b32_e32 v4, 0, v5, vcc
	v_add_u32_e32 v3, v3, v4
	ds_write_b32 v18, v3
.LBB2748_70:
	s_or_b64 exec, exec, s[2:3]
	v_cmp_lt_u32_e32 vcc, 63, v0
	v_mov_b32_e32 v4, 0
	v_mov_b32_e32 v3, 0
	s_waitcnt lgkmcnt(0)
	s_barrier
	s_and_saveexec_b64 s[2:3], vcc
	s_cbranch_execz .LBB2748_72
; %bb.71:
	v_lshl_add_u32 v3, v67, 2, -4
	ds_read_b32 v3, v3
.LBB2748_72:
	s_or_b64 exec, exec, s[2:3]
	v_add_u32_e32 v5, -1, v66
	v_and_b32_e32 v6, 64, v66
	v_cmp_lt_i32_e32 vcc, v5, v6
	s_waitcnt lgkmcnt(0)
	v_add_u32_e32 v2, v3, v2
	ds_read_b32 v34, v4 offset:28
	v_cndmask_b32_e32 v5, v5, v66, vcc
	v_lshlrev_b32_e32 v5, 2, v5
	ds_bpermute_b32 v2, v5, v2
	v_cmp_eq_u32_e32 vcc, 0, v0
	s_and_saveexec_b64 s[2:3], vcc
	s_cbranch_execz .LBB2748_74
; %bb.73:
	v_mov_b32_e32 v4, 0
	v_mov_b32_e32 v35, 2
	s_waitcnt lgkmcnt(1)
	global_store_dwordx2 v4, v[34:35], s[34:35] offset:512 sc1
.LBB2748_74:
	s_or_b64 exec, exec, s[2:3]
	v_cmp_eq_u32_e64 s[2:3], 0, v66
	v_mov_b32_e32 v36, 0
	s_waitcnt lgkmcnt(0)
	v_cndmask_b32_e64 v2, v2, v3, s[2:3]
	v_cndmask_b32_e64 v2, v2, 0, vcc
	v_add_u32_e32 v3, v2, v52
	v_add_u32_e32 v4, v3, v53
	v_add_u32_e32 v5, v4, v54
	v_add_u32_e32 v6, v5, v55
	v_add_u32_e32 v7, v6, v56
	v_add_u32_e32 v8, v7, v57
	v_add_u32_e32 v9, v8, v58
	v_add_u32_e32 v10, v9, v59
	v_add_u32_e32 v11, v10, v60
	v_add_u32_e32 v12, v11, v61
	v_add_u32_e32 v13, v12, v62
	v_add_u32_e32 v14, v13, v63
	v_add_u32_e32 v15, v14, v64
	v_add_u32_e32 v16, v15, v65
	s_barrier
.LBB2748_75:
	v_add_u32_e32 v17, v34, v38
	v_sub_u32_e32 v2, v2, v36
	v_and_b32_e32 v38, 1, v51
	v_sub_u32_e32 v35, v17, v2
	v_cmp_eq_u32_e32 vcc, 1, v38
	s_load_dwordx2 s[0:1], s[0:1], 0x38
	v_or_b32_e32 v38, 0x200, v0
	v_cndmask_b32_e32 v2, v35, v2, vcc
	v_lshlrev_b32_e32 v2, 2, v2
	ds_write_b32 v2, v32
	v_sub_u32_e32 v2, v3, v36
	v_sub_u32_e32 v3, v17, v2
	v_and_b32_e32 v32, 1, v50
	v_add_u32_e32 v3, 1, v3
	v_cmp_eq_u32_e32 vcc, 1, v32
	v_or_b32_e32 v32, 0x600, v0
	s_nop 0
	v_cndmask_b32_e32 v2, v3, v2, vcc
	v_lshlrev_b32_e32 v2, 2, v2
	ds_write_b32 v2, v33
	v_sub_u32_e32 v2, v4, v36
	v_sub_u32_e32 v3, v17, v2
	v_and_b32_e32 v4, 1, v49
	v_add_u32_e32 v3, 2, v3
	v_cmp_eq_u32_e32 vcc, 1, v4
	v_and_b32_e32 v4, 1, v48
	v_or_b32_e32 v33, 0x400, v0
	v_cndmask_b32_e32 v2, v3, v2, vcc
	v_lshlrev_b32_e32 v2, 2, v2
	ds_write_b32 v2, v30
	v_sub_u32_e32 v2, v5, v36
	v_sub_u32_e32 v3, v17, v2
	v_add_u32_e32 v3, 3, v3
	v_cmp_eq_u32_e32 vcc, 1, v4
	v_and_b32_e32 v4, 1, v47
	v_mov_b32_e32 v5, s23
	v_cndmask_b32_e32 v2, v3, v2, vcc
	v_lshlrev_b32_e32 v2, 2, v2
	ds_write_b32 v2, v31
	v_sub_u32_e32 v2, v6, v36
	v_sub_u32_e32 v3, v17, v2
	v_add_u32_e32 v3, 4, v3
	v_cmp_eq_u32_e32 vcc, 1, v4
	v_and_b32_e32 v4, 1, v46
	v_or_b32_e32 v31, 0x800, v0
	v_cndmask_b32_e32 v2, v3, v2, vcc
	v_lshlrev_b32_e32 v2, 2, v2
	ds_write_b32 v2, v28
	v_sub_u32_e32 v2, v7, v36
	v_sub_u32_e32 v3, v17, v2
	v_add_u32_e32 v3, 5, v3
	v_cmp_eq_u32_e32 vcc, 1, v4
	v_and_b32_e32 v4, 1, v45
	v_or_b32_e32 v30, 0xa00, v0
	;; [unrolled: 9-line block ×8, first 2 shown]
	v_cndmask_b32_e32 v2, v3, v2, vcc
	v_lshlrev_b32_e32 v2, 2, v2
	ds_write_b32 v2, v23
	v_sub_u32_e32 v2, v14, v36
	v_sub_u32_e32 v3, v17, v2
	v_add_u32_e32 v3, 12, v3
	v_cmp_eq_u32_e32 vcc, 1, v4
	v_and_b32_e32 v4, 1, v37
	v_mov_b32_e32 v37, 0
	v_cndmask_b32_e32 v2, v3, v2, vcc
	v_lshlrev_b32_e32 v2, 2, v2
	ds_write_b32 v2, v20
	v_sub_u32_e32 v2, v15, v36
	v_sub_u32_e32 v3, v17, v2
	v_add_u32_e32 v3, 13, v3
	v_cmp_eq_u32_e32 vcc, 1, v4
	v_and_b32_e32 v4, 1, v19
	v_mov_b32_e32 v35, v37
	v_cndmask_b32_e32 v2, v3, v2, vcc
	v_lshlrev_b32_e32 v2, 2, v2
	ds_write_b32 v2, v21
	v_sub_u32_e32 v2, v16, v36
	v_sub_u32_e32 v3, v17, v2
	v_add_u32_e32 v3, 14, v3
	v_cmp_eq_u32_e32 vcc, 1, v4
	v_or_b32_e32 v23, 0x1800, v0
	v_or_b32_e32 v22, 0x1a00, v0
	v_cndmask_b32_e32 v2, v3, v2, vcc
	v_lshlrev_b32_e32 v2, 2, v2
	ds_write_b32 v2, v1
	v_lshl_add_u64 v[2:3], s[28:29], 0, v[34:35]
	v_lshl_add_u64 v[2:3], v[2:3], 0, v[36:37]
	s_waitcnt lgkmcnt(0)
	s_barrier
	ds_read2st64_b32 v[20:21], v18 offset1:8
	ds_read2st64_b32 v[16:17], v18 offset0:16 offset1:24
	ds_read2st64_b32 v[14:15], v18 offset0:32 offset1:40
	;; [unrolled: 1-line block ×6, first 2 shown]
	ds_read_b32 v1, v18 offset:28672
	v_sub_co_u32_e32 v4, vcc, s22, v2
	v_or_b32_e32 v19, 0x1c00, v0
	s_nop 0
	v_subb_co_u32_e32 v5, vcc, v5, v3, vcc
	v_lshlrev_b64 v[4:5], 2, v[4:5]
	v_lshl_add_u64 v[4:5], s[0:1], 0, v[4:5]
	v_lshl_add_u64 v[4:5], v[4:5], 0, s[30:31]
	s_and_b64 vcc, exec, s[20:21]
	v_cmp_le_u32_e64 s[0:1], v34, v0
	s_cbranch_vccnz .LBB2748_92
; %bb.76:
	s_and_saveexec_b64 s[2:3], s[0:1]
	s_cbranch_execnz .LBB2748_127
; %bb.77:
	s_or_b64 exec, exec, s[2:3]
	v_cmp_ge_u32_e32 vcc, v38, v34
	s_and_saveexec_b64 s[0:1], vcc
	s_cbranch_execnz .LBB2748_128
.LBB2748_78:
	s_or_b64 exec, exec, s[0:1]
	v_cmp_ge_u32_e32 vcc, v33, v34
	s_and_saveexec_b64 s[0:1], vcc
	s_cbranch_execnz .LBB2748_129
.LBB2748_79:
	s_or_b64 exec, exec, s[0:1]
	v_cmp_ge_u32_e32 vcc, v32, v34
	s_and_saveexec_b64 s[0:1], vcc
	s_cbranch_execnz .LBB2748_130
.LBB2748_80:
	s_or_b64 exec, exec, s[0:1]
	v_cmp_ge_u32_e32 vcc, v31, v34
	s_and_saveexec_b64 s[0:1], vcc
	s_cbranch_execnz .LBB2748_131
.LBB2748_81:
	s_or_b64 exec, exec, s[0:1]
	v_cmp_ge_u32_e32 vcc, v30, v34
	s_and_saveexec_b64 s[0:1], vcc
	s_cbranch_execnz .LBB2748_132
.LBB2748_82:
	s_or_b64 exec, exec, s[0:1]
	v_cmp_ge_u32_e32 vcc, v29, v34
	s_and_saveexec_b64 s[0:1], vcc
	s_cbranch_execnz .LBB2748_133
.LBB2748_83:
	s_or_b64 exec, exec, s[0:1]
	v_cmp_ge_u32_e32 vcc, v28, v34
	s_and_saveexec_b64 s[0:1], vcc
	s_cbranch_execnz .LBB2748_134
.LBB2748_84:
	s_or_b64 exec, exec, s[0:1]
	v_cmp_ge_u32_e32 vcc, v27, v34
	s_and_saveexec_b64 s[0:1], vcc
	s_cbranch_execnz .LBB2748_135
.LBB2748_85:
	s_or_b64 exec, exec, s[0:1]
	v_cmp_ge_u32_e32 vcc, v26, v34
	s_and_saveexec_b64 s[0:1], vcc
	s_cbranch_execnz .LBB2748_136
.LBB2748_86:
	s_or_b64 exec, exec, s[0:1]
	v_cmp_ge_u32_e32 vcc, v25, v34
	s_and_saveexec_b64 s[0:1], vcc
	s_cbranch_execnz .LBB2748_137
.LBB2748_87:
	s_or_b64 exec, exec, s[0:1]
	v_cmp_ge_u32_e32 vcc, v24, v34
	s_and_saveexec_b64 s[0:1], vcc
	s_cbranch_execnz .LBB2748_138
.LBB2748_88:
	s_or_b64 exec, exec, s[0:1]
	v_cmp_ge_u32_e32 vcc, v23, v34
	s_and_saveexec_b64 s[0:1], vcc
	s_cbranch_execnz .LBB2748_139
.LBB2748_89:
	s_or_b64 exec, exec, s[0:1]
	v_cmp_ge_u32_e32 vcc, v22, v34
	s_and_saveexec_b64 s[0:1], vcc
	s_cbranch_execz .LBB2748_91
.LBB2748_90:
	v_lshlrev_b32_e32 v35, 2, v22
	v_readfirstlane_b32 s2, v4
	v_readfirstlane_b32 s3, v5
	s_waitcnt lgkmcnt(1)
	s_nop 3
	global_store_dword v35, v7, s[2:3]
.LBB2748_91:
	s_or_b64 exec, exec, s[0:1]
	v_cmp_ge_u32_e64 s[0:1], v19, v34
	s_branch .LBB2748_122
.LBB2748_92:
	s_mov_b64 s[0:1], 0
	s_cbranch_execz .LBB2748_122
; %bb.93:
	v_cmp_gt_u32_e32 vcc, s33, v0
	v_cmp_le_u32_e64 s[0:1], v34, v0
	s_and_b64 s[2:3], vcc, s[0:1]
	s_and_saveexec_b64 s[0:1], s[2:3]
	s_cbranch_execz .LBB2748_95
; %bb.94:
	v_readfirstlane_b32 s2, v4
	v_readfirstlane_b32 s3, v5
	s_waitcnt lgkmcnt(7)
	s_nop 3
	global_store_dword v18, v20, s[2:3]
.LBB2748_95:
	s_or_b64 exec, exec, s[0:1]
	v_cmp_gt_u32_e32 vcc, s33, v38
	v_cmp_ge_u32_e64 s[0:1], v38, v34
	s_and_b64 s[2:3], vcc, s[0:1]
	s_and_saveexec_b64 s[0:1], s[2:3]
	s_cbranch_execz .LBB2748_97
; %bb.96:
	v_readfirstlane_b32 s2, v4
	v_readfirstlane_b32 s3, v5
	s_waitcnt lgkmcnt(7)
	s_nop 3
	global_store_dword v18, v21, s[2:3] offset:2048
.LBB2748_97:
	s_or_b64 exec, exec, s[0:1]
	v_cmp_gt_u32_e32 vcc, s33, v33
	v_cmp_ge_u32_e64 s[0:1], v33, v34
	s_and_b64 s[2:3], vcc, s[0:1]
	s_and_saveexec_b64 s[0:1], s[2:3]
	s_cbranch_execz .LBB2748_99
; %bb.98:
	v_lshlrev_b32_e32 v18, 2, v33
	v_readfirstlane_b32 s2, v4
	v_readfirstlane_b32 s3, v5
	s_waitcnt lgkmcnt(6)
	s_nop 3
	global_store_dword v18, v16, s[2:3]
.LBB2748_99:
	s_or_b64 exec, exec, s[0:1]
	v_cmp_gt_u32_e32 vcc, s33, v32
	v_cmp_ge_u32_e64 s[0:1], v32, v34
	s_and_b64 s[2:3], vcc, s[0:1]
	s_and_saveexec_b64 s[0:1], s[2:3]
	s_cbranch_execz .LBB2748_101
; %bb.100:
	s_waitcnt lgkmcnt(6)
	v_lshlrev_b32_e32 v16, 2, v32
	v_readfirstlane_b32 s2, v4
	v_readfirstlane_b32 s3, v5
	s_nop 4
	global_store_dword v16, v17, s[2:3]
.LBB2748_101:
	s_or_b64 exec, exec, s[0:1]
	v_cmp_gt_u32_e32 vcc, s33, v31
	v_cmp_ge_u32_e64 s[0:1], v31, v34
	s_and_b64 s[2:3], vcc, s[0:1]
	s_and_saveexec_b64 s[0:1], s[2:3]
	s_cbranch_execz .LBB2748_103
; %bb.102:
	s_waitcnt lgkmcnt(6)
	v_lshlrev_b32_e32 v16, 2, v31
	v_readfirstlane_b32 s2, v4
	v_readfirstlane_b32 s3, v5
	s_waitcnt lgkmcnt(5)
	s_nop 3
	global_store_dword v16, v14, s[2:3]
.LBB2748_103:
	s_or_b64 exec, exec, s[0:1]
	v_cmp_gt_u32_e32 vcc, s33, v30
	v_cmp_ge_u32_e64 s[0:1], v30, v34
	s_and_b64 s[2:3], vcc, s[0:1]
	s_and_saveexec_b64 s[0:1], s[2:3]
	s_cbranch_execz .LBB2748_105
; %bb.104:
	s_waitcnt lgkmcnt(5)
	v_lshlrev_b32_e32 v14, 2, v30
	v_readfirstlane_b32 s2, v4
	v_readfirstlane_b32 s3, v5
	s_nop 4
	global_store_dword v14, v15, s[2:3]
.LBB2748_105:
	s_or_b64 exec, exec, s[0:1]
	v_cmp_gt_u32_e32 vcc, s33, v29
	v_cmp_ge_u32_e64 s[0:1], v29, v34
	s_and_b64 s[2:3], vcc, s[0:1]
	s_and_saveexec_b64 s[0:1], s[2:3]
	s_cbranch_execz .LBB2748_107
; %bb.106:
	s_waitcnt lgkmcnt(5)
	v_lshlrev_b32_e32 v14, 2, v29
	v_readfirstlane_b32 s2, v4
	v_readfirstlane_b32 s3, v5
	s_waitcnt lgkmcnt(4)
	s_nop 3
	global_store_dword v14, v12, s[2:3]
.LBB2748_107:
	;; [unrolled: 29-line block ×5, first 2 shown]
	s_or_b64 exec, exec, s[0:1]
	v_cmp_gt_u32_e32 vcc, s33, v22
	v_cmp_ge_u32_e64 s[0:1], v22, v34
	s_and_b64 s[2:3], vcc, s[0:1]
	s_and_saveexec_b64 s[0:1], s[2:3]
	s_cbranch_execz .LBB2748_121
; %bb.120:
	s_waitcnt lgkmcnt(1)
	v_lshlrev_b32_e32 v6, 2, v22
	v_readfirstlane_b32 s2, v4
	v_readfirstlane_b32 s3, v5
	s_nop 4
	global_store_dword v6, v7, s[2:3]
.LBB2748_121:
	s_or_b64 exec, exec, s[0:1]
	v_cmp_gt_u32_e32 vcc, s33, v19
	v_cmp_ge_u32_e64 s[0:1], v19, v34
	s_and_b64 s[0:1], vcc, s[0:1]
.LBB2748_122:
	s_and_saveexec_b64 s[2:3], s[0:1]
	s_cbranch_execz .LBB2748_124
; %bb.123:
	s_waitcnt lgkmcnt(1)
	v_lshlrev_b32_e32 v6, 2, v19
	v_readfirstlane_b32 s0, v4
	v_readfirstlane_b32 s1, v5
	s_waitcnt lgkmcnt(0)
	s_nop 3
	global_store_dword v6, v1, s[0:1]
.LBB2748_124:
	s_or_b64 exec, exec, s[2:3]
	v_cmp_eq_u32_e32 vcc, 0, v0
	s_and_b64 s[0:1], vcc, s[26:27]
	s_and_saveexec_b64 s[2:3], s[0:1]
	s_cbranch_execz .LBB2748_126
; %bb.125:
	v_mov_b32_e32 v0, 0
	global_store_dwordx2 v0, v[2:3], s[24:25]
.LBB2748_126:
	s_endpgm
.LBB2748_127:
	v_readfirstlane_b32 s0, v4
	v_readfirstlane_b32 s1, v5
	s_waitcnt lgkmcnt(7)
	s_nop 3
	global_store_dword v18, v20, s[0:1]
	s_or_b64 exec, exec, s[2:3]
	v_cmp_ge_u32_e32 vcc, v38, v34
	s_and_saveexec_b64 s[0:1], vcc
	s_cbranch_execz .LBB2748_78
.LBB2748_128:
	v_readfirstlane_b32 s2, v4
	v_readfirstlane_b32 s3, v5
	s_waitcnt lgkmcnt(7)
	s_nop 3
	global_store_dword v18, v21, s[2:3] offset:2048
	s_or_b64 exec, exec, s[0:1]
	v_cmp_ge_u32_e32 vcc, v33, v34
	s_and_saveexec_b64 s[0:1], vcc
	s_cbranch_execz .LBB2748_79
.LBB2748_129:
	v_lshlrev_b32_e32 v35, 2, v33
	v_readfirstlane_b32 s2, v4
	v_readfirstlane_b32 s3, v5
	s_waitcnt lgkmcnt(6)
	s_nop 3
	global_store_dword v35, v16, s[2:3]
	s_or_b64 exec, exec, s[0:1]
	v_cmp_ge_u32_e32 vcc, v32, v34
	s_and_saveexec_b64 s[0:1], vcc
	s_cbranch_execz .LBB2748_80
.LBB2748_130:
	v_lshlrev_b32_e32 v35, 2, v32
	v_readfirstlane_b32 s2, v4
	v_readfirstlane_b32 s3, v5
	s_waitcnt lgkmcnt(6)
	s_nop 3
	global_store_dword v35, v17, s[2:3]
	s_or_b64 exec, exec, s[0:1]
	v_cmp_ge_u32_e32 vcc, v31, v34
	s_and_saveexec_b64 s[0:1], vcc
	s_cbranch_execz .LBB2748_81
.LBB2748_131:
	v_lshlrev_b32_e32 v35, 2, v31
	v_readfirstlane_b32 s2, v4
	v_readfirstlane_b32 s3, v5
	s_waitcnt lgkmcnt(5)
	s_nop 3
	global_store_dword v35, v14, s[2:3]
	s_or_b64 exec, exec, s[0:1]
	v_cmp_ge_u32_e32 vcc, v30, v34
	s_and_saveexec_b64 s[0:1], vcc
	s_cbranch_execz .LBB2748_82
.LBB2748_132:
	v_lshlrev_b32_e32 v35, 2, v30
	v_readfirstlane_b32 s2, v4
	v_readfirstlane_b32 s3, v5
	s_waitcnt lgkmcnt(5)
	s_nop 3
	global_store_dword v35, v15, s[2:3]
	s_or_b64 exec, exec, s[0:1]
	v_cmp_ge_u32_e32 vcc, v29, v34
	s_and_saveexec_b64 s[0:1], vcc
	s_cbranch_execz .LBB2748_83
.LBB2748_133:
	v_lshlrev_b32_e32 v35, 2, v29
	v_readfirstlane_b32 s2, v4
	v_readfirstlane_b32 s3, v5
	s_waitcnt lgkmcnt(4)
	s_nop 3
	global_store_dword v35, v12, s[2:3]
	s_or_b64 exec, exec, s[0:1]
	v_cmp_ge_u32_e32 vcc, v28, v34
	s_and_saveexec_b64 s[0:1], vcc
	s_cbranch_execz .LBB2748_84
.LBB2748_134:
	v_lshlrev_b32_e32 v35, 2, v28
	v_readfirstlane_b32 s2, v4
	v_readfirstlane_b32 s3, v5
	s_waitcnt lgkmcnt(4)
	s_nop 3
	global_store_dword v35, v13, s[2:3]
	s_or_b64 exec, exec, s[0:1]
	v_cmp_ge_u32_e32 vcc, v27, v34
	s_and_saveexec_b64 s[0:1], vcc
	s_cbranch_execz .LBB2748_85
.LBB2748_135:
	v_lshlrev_b32_e32 v35, 2, v27
	v_readfirstlane_b32 s2, v4
	v_readfirstlane_b32 s3, v5
	s_waitcnt lgkmcnt(3)
	s_nop 3
	global_store_dword v35, v10, s[2:3]
	s_or_b64 exec, exec, s[0:1]
	v_cmp_ge_u32_e32 vcc, v26, v34
	s_and_saveexec_b64 s[0:1], vcc
	s_cbranch_execz .LBB2748_86
.LBB2748_136:
	v_lshlrev_b32_e32 v35, 2, v26
	v_readfirstlane_b32 s2, v4
	v_readfirstlane_b32 s3, v5
	s_waitcnt lgkmcnt(3)
	s_nop 3
	global_store_dword v35, v11, s[2:3]
	s_or_b64 exec, exec, s[0:1]
	v_cmp_ge_u32_e32 vcc, v25, v34
	s_and_saveexec_b64 s[0:1], vcc
	s_cbranch_execz .LBB2748_87
.LBB2748_137:
	v_lshlrev_b32_e32 v35, 2, v25
	v_readfirstlane_b32 s2, v4
	v_readfirstlane_b32 s3, v5
	s_waitcnt lgkmcnt(2)
	s_nop 3
	global_store_dword v35, v8, s[2:3]
	s_or_b64 exec, exec, s[0:1]
	v_cmp_ge_u32_e32 vcc, v24, v34
	s_and_saveexec_b64 s[0:1], vcc
	s_cbranch_execz .LBB2748_88
.LBB2748_138:
	v_lshlrev_b32_e32 v35, 2, v24
	v_readfirstlane_b32 s2, v4
	v_readfirstlane_b32 s3, v5
	s_waitcnt lgkmcnt(2)
	s_nop 3
	global_store_dword v35, v9, s[2:3]
	s_or_b64 exec, exec, s[0:1]
	v_cmp_ge_u32_e32 vcc, v23, v34
	s_and_saveexec_b64 s[0:1], vcc
	s_cbranch_execz .LBB2748_89
.LBB2748_139:
	v_lshlrev_b32_e32 v35, 2, v23
	v_readfirstlane_b32 s2, v4
	v_readfirstlane_b32 s3, v5
	s_waitcnt lgkmcnt(1)
	s_nop 3
	global_store_dword v35, v6, s[2:3]
	s_or_b64 exec, exec, s[0:1]
	v_cmp_ge_u32_e32 vcc, v22, v34
	s_and_saveexec_b64 s[0:1], vcc
	s_cbranch_execnz .LBB2748_90
	s_branch .LBB2748_91
	.section	.rodata,"a",@progbits
	.p2align	6, 0x0
	.amdhsa_kernel _ZN7rocprim17ROCPRIM_400000_NS6detail17trampoline_kernelINS0_14default_configENS1_25partition_config_selectorILNS1_17partition_subalgoE0EiNS0_10empty_typeEbEEZZNS1_14partition_implILS5_0ELb0ES3_jN6thrust23THRUST_200600_302600_NS6detail15normal_iteratorINSA_10device_ptrIiEEEEPS6_SG_NS0_5tupleIJNSA_16discard_iteratorINSA_11use_defaultEEESF_EEENSH_IJSG_SG_EEES6_PlJ7is_evenIiEEEE10hipError_tPvRmT3_T4_T5_T6_T7_T9_mT8_P12ihipStream_tbDpT10_ENKUlT_T0_E_clISt17integral_constantIbLb0EES19_EEDaS14_S15_EUlS14_E_NS1_11comp_targetILNS1_3genE5ELNS1_11target_archE942ELNS1_3gpuE9ELNS1_3repE0EEENS1_30default_config_static_selectorELNS0_4arch9wavefront6targetE1EEEvT1_
		.amdhsa_group_segment_fixed_size 30728
		.amdhsa_private_segment_fixed_size 0
		.amdhsa_kernarg_size 128
		.amdhsa_user_sgpr_count 2
		.amdhsa_user_sgpr_dispatch_ptr 0
		.amdhsa_user_sgpr_queue_ptr 0
		.amdhsa_user_sgpr_kernarg_segment_ptr 1
		.amdhsa_user_sgpr_dispatch_id 0
		.amdhsa_user_sgpr_kernarg_preload_length 0
		.amdhsa_user_sgpr_kernarg_preload_offset 0
		.amdhsa_user_sgpr_private_segment_size 0
		.amdhsa_uses_dynamic_stack 0
		.amdhsa_enable_private_segment 0
		.amdhsa_system_sgpr_workgroup_id_x 1
		.amdhsa_system_sgpr_workgroup_id_y 0
		.amdhsa_system_sgpr_workgroup_id_z 0
		.amdhsa_system_sgpr_workgroup_info 0
		.amdhsa_system_vgpr_workitem_id 0
		.amdhsa_next_free_vgpr 76
		.amdhsa_next_free_sgpr 44
		.amdhsa_accum_offset 76
		.amdhsa_reserve_vcc 1
		.amdhsa_float_round_mode_32 0
		.amdhsa_float_round_mode_16_64 0
		.amdhsa_float_denorm_mode_32 3
		.amdhsa_float_denorm_mode_16_64 3
		.amdhsa_dx10_clamp 1
		.amdhsa_ieee_mode 1
		.amdhsa_fp16_overflow 0
		.amdhsa_tg_split 0
		.amdhsa_exception_fp_ieee_invalid_op 0
		.amdhsa_exception_fp_denorm_src 0
		.amdhsa_exception_fp_ieee_div_zero 0
		.amdhsa_exception_fp_ieee_overflow 0
		.amdhsa_exception_fp_ieee_underflow 0
		.amdhsa_exception_fp_ieee_inexact 0
		.amdhsa_exception_int_div_zero 0
	.end_amdhsa_kernel
	.section	.text._ZN7rocprim17ROCPRIM_400000_NS6detail17trampoline_kernelINS0_14default_configENS1_25partition_config_selectorILNS1_17partition_subalgoE0EiNS0_10empty_typeEbEEZZNS1_14partition_implILS5_0ELb0ES3_jN6thrust23THRUST_200600_302600_NS6detail15normal_iteratorINSA_10device_ptrIiEEEEPS6_SG_NS0_5tupleIJNSA_16discard_iteratorINSA_11use_defaultEEESF_EEENSH_IJSG_SG_EEES6_PlJ7is_evenIiEEEE10hipError_tPvRmT3_T4_T5_T6_T7_T9_mT8_P12ihipStream_tbDpT10_ENKUlT_T0_E_clISt17integral_constantIbLb0EES19_EEDaS14_S15_EUlS14_E_NS1_11comp_targetILNS1_3genE5ELNS1_11target_archE942ELNS1_3gpuE9ELNS1_3repE0EEENS1_30default_config_static_selectorELNS0_4arch9wavefront6targetE1EEEvT1_,"axG",@progbits,_ZN7rocprim17ROCPRIM_400000_NS6detail17trampoline_kernelINS0_14default_configENS1_25partition_config_selectorILNS1_17partition_subalgoE0EiNS0_10empty_typeEbEEZZNS1_14partition_implILS5_0ELb0ES3_jN6thrust23THRUST_200600_302600_NS6detail15normal_iteratorINSA_10device_ptrIiEEEEPS6_SG_NS0_5tupleIJNSA_16discard_iteratorINSA_11use_defaultEEESF_EEENSH_IJSG_SG_EEES6_PlJ7is_evenIiEEEE10hipError_tPvRmT3_T4_T5_T6_T7_T9_mT8_P12ihipStream_tbDpT10_ENKUlT_T0_E_clISt17integral_constantIbLb0EES19_EEDaS14_S15_EUlS14_E_NS1_11comp_targetILNS1_3genE5ELNS1_11target_archE942ELNS1_3gpuE9ELNS1_3repE0EEENS1_30default_config_static_selectorELNS0_4arch9wavefront6targetE1EEEvT1_,comdat
.Lfunc_end2748:
	.size	_ZN7rocprim17ROCPRIM_400000_NS6detail17trampoline_kernelINS0_14default_configENS1_25partition_config_selectorILNS1_17partition_subalgoE0EiNS0_10empty_typeEbEEZZNS1_14partition_implILS5_0ELb0ES3_jN6thrust23THRUST_200600_302600_NS6detail15normal_iteratorINSA_10device_ptrIiEEEEPS6_SG_NS0_5tupleIJNSA_16discard_iteratorINSA_11use_defaultEEESF_EEENSH_IJSG_SG_EEES6_PlJ7is_evenIiEEEE10hipError_tPvRmT3_T4_T5_T6_T7_T9_mT8_P12ihipStream_tbDpT10_ENKUlT_T0_E_clISt17integral_constantIbLb0EES19_EEDaS14_S15_EUlS14_E_NS1_11comp_targetILNS1_3genE5ELNS1_11target_archE942ELNS1_3gpuE9ELNS1_3repE0EEENS1_30default_config_static_selectorELNS0_4arch9wavefront6targetE1EEEvT1_, .Lfunc_end2748-_ZN7rocprim17ROCPRIM_400000_NS6detail17trampoline_kernelINS0_14default_configENS1_25partition_config_selectorILNS1_17partition_subalgoE0EiNS0_10empty_typeEbEEZZNS1_14partition_implILS5_0ELb0ES3_jN6thrust23THRUST_200600_302600_NS6detail15normal_iteratorINSA_10device_ptrIiEEEEPS6_SG_NS0_5tupleIJNSA_16discard_iteratorINSA_11use_defaultEEESF_EEENSH_IJSG_SG_EEES6_PlJ7is_evenIiEEEE10hipError_tPvRmT3_T4_T5_T6_T7_T9_mT8_P12ihipStream_tbDpT10_ENKUlT_T0_E_clISt17integral_constantIbLb0EES19_EEDaS14_S15_EUlS14_E_NS1_11comp_targetILNS1_3genE5ELNS1_11target_archE942ELNS1_3gpuE9ELNS1_3repE0EEENS1_30default_config_static_selectorELNS0_4arch9wavefront6targetE1EEEvT1_
                                        ; -- End function
	.section	.AMDGPU.csdata,"",@progbits
; Kernel info:
; codeLenInByte = 6680
; NumSgprs: 50
; NumVgprs: 76
; NumAgprs: 0
; TotalNumVgprs: 76
; ScratchSize: 0
; MemoryBound: 0
; FloatMode: 240
; IeeeMode: 1
; LDSByteSize: 30728 bytes/workgroup (compile time only)
; SGPRBlocks: 6
; VGPRBlocks: 9
; NumSGPRsForWavesPerEU: 50
; NumVGPRsForWavesPerEU: 76
; AccumOffset: 76
; Occupancy: 4
; WaveLimiterHint : 1
; COMPUTE_PGM_RSRC2:SCRATCH_EN: 0
; COMPUTE_PGM_RSRC2:USER_SGPR: 2
; COMPUTE_PGM_RSRC2:TRAP_HANDLER: 0
; COMPUTE_PGM_RSRC2:TGID_X_EN: 1
; COMPUTE_PGM_RSRC2:TGID_Y_EN: 0
; COMPUTE_PGM_RSRC2:TGID_Z_EN: 0
; COMPUTE_PGM_RSRC2:TIDIG_COMP_CNT: 0
; COMPUTE_PGM_RSRC3_GFX90A:ACCUM_OFFSET: 18
; COMPUTE_PGM_RSRC3_GFX90A:TG_SPLIT: 0
	.section	.text._ZN7rocprim17ROCPRIM_400000_NS6detail17trampoline_kernelINS0_14default_configENS1_25partition_config_selectorILNS1_17partition_subalgoE0EiNS0_10empty_typeEbEEZZNS1_14partition_implILS5_0ELb0ES3_jN6thrust23THRUST_200600_302600_NS6detail15normal_iteratorINSA_10device_ptrIiEEEEPS6_SG_NS0_5tupleIJNSA_16discard_iteratorINSA_11use_defaultEEESF_EEENSH_IJSG_SG_EEES6_PlJ7is_evenIiEEEE10hipError_tPvRmT3_T4_T5_T6_T7_T9_mT8_P12ihipStream_tbDpT10_ENKUlT_T0_E_clISt17integral_constantIbLb0EES19_EEDaS14_S15_EUlS14_E_NS1_11comp_targetILNS1_3genE4ELNS1_11target_archE910ELNS1_3gpuE8ELNS1_3repE0EEENS1_30default_config_static_selectorELNS0_4arch9wavefront6targetE1EEEvT1_,"axG",@progbits,_ZN7rocprim17ROCPRIM_400000_NS6detail17trampoline_kernelINS0_14default_configENS1_25partition_config_selectorILNS1_17partition_subalgoE0EiNS0_10empty_typeEbEEZZNS1_14partition_implILS5_0ELb0ES3_jN6thrust23THRUST_200600_302600_NS6detail15normal_iteratorINSA_10device_ptrIiEEEEPS6_SG_NS0_5tupleIJNSA_16discard_iteratorINSA_11use_defaultEEESF_EEENSH_IJSG_SG_EEES6_PlJ7is_evenIiEEEE10hipError_tPvRmT3_T4_T5_T6_T7_T9_mT8_P12ihipStream_tbDpT10_ENKUlT_T0_E_clISt17integral_constantIbLb0EES19_EEDaS14_S15_EUlS14_E_NS1_11comp_targetILNS1_3genE4ELNS1_11target_archE910ELNS1_3gpuE8ELNS1_3repE0EEENS1_30default_config_static_selectorELNS0_4arch9wavefront6targetE1EEEvT1_,comdat
	.protected	_ZN7rocprim17ROCPRIM_400000_NS6detail17trampoline_kernelINS0_14default_configENS1_25partition_config_selectorILNS1_17partition_subalgoE0EiNS0_10empty_typeEbEEZZNS1_14partition_implILS5_0ELb0ES3_jN6thrust23THRUST_200600_302600_NS6detail15normal_iteratorINSA_10device_ptrIiEEEEPS6_SG_NS0_5tupleIJNSA_16discard_iteratorINSA_11use_defaultEEESF_EEENSH_IJSG_SG_EEES6_PlJ7is_evenIiEEEE10hipError_tPvRmT3_T4_T5_T6_T7_T9_mT8_P12ihipStream_tbDpT10_ENKUlT_T0_E_clISt17integral_constantIbLb0EES19_EEDaS14_S15_EUlS14_E_NS1_11comp_targetILNS1_3genE4ELNS1_11target_archE910ELNS1_3gpuE8ELNS1_3repE0EEENS1_30default_config_static_selectorELNS0_4arch9wavefront6targetE1EEEvT1_ ; -- Begin function _ZN7rocprim17ROCPRIM_400000_NS6detail17trampoline_kernelINS0_14default_configENS1_25partition_config_selectorILNS1_17partition_subalgoE0EiNS0_10empty_typeEbEEZZNS1_14partition_implILS5_0ELb0ES3_jN6thrust23THRUST_200600_302600_NS6detail15normal_iteratorINSA_10device_ptrIiEEEEPS6_SG_NS0_5tupleIJNSA_16discard_iteratorINSA_11use_defaultEEESF_EEENSH_IJSG_SG_EEES6_PlJ7is_evenIiEEEE10hipError_tPvRmT3_T4_T5_T6_T7_T9_mT8_P12ihipStream_tbDpT10_ENKUlT_T0_E_clISt17integral_constantIbLb0EES19_EEDaS14_S15_EUlS14_E_NS1_11comp_targetILNS1_3genE4ELNS1_11target_archE910ELNS1_3gpuE8ELNS1_3repE0EEENS1_30default_config_static_selectorELNS0_4arch9wavefront6targetE1EEEvT1_
	.globl	_ZN7rocprim17ROCPRIM_400000_NS6detail17trampoline_kernelINS0_14default_configENS1_25partition_config_selectorILNS1_17partition_subalgoE0EiNS0_10empty_typeEbEEZZNS1_14partition_implILS5_0ELb0ES3_jN6thrust23THRUST_200600_302600_NS6detail15normal_iteratorINSA_10device_ptrIiEEEEPS6_SG_NS0_5tupleIJNSA_16discard_iteratorINSA_11use_defaultEEESF_EEENSH_IJSG_SG_EEES6_PlJ7is_evenIiEEEE10hipError_tPvRmT3_T4_T5_T6_T7_T9_mT8_P12ihipStream_tbDpT10_ENKUlT_T0_E_clISt17integral_constantIbLb0EES19_EEDaS14_S15_EUlS14_E_NS1_11comp_targetILNS1_3genE4ELNS1_11target_archE910ELNS1_3gpuE8ELNS1_3repE0EEENS1_30default_config_static_selectorELNS0_4arch9wavefront6targetE1EEEvT1_
	.p2align	8
	.type	_ZN7rocprim17ROCPRIM_400000_NS6detail17trampoline_kernelINS0_14default_configENS1_25partition_config_selectorILNS1_17partition_subalgoE0EiNS0_10empty_typeEbEEZZNS1_14partition_implILS5_0ELb0ES3_jN6thrust23THRUST_200600_302600_NS6detail15normal_iteratorINSA_10device_ptrIiEEEEPS6_SG_NS0_5tupleIJNSA_16discard_iteratorINSA_11use_defaultEEESF_EEENSH_IJSG_SG_EEES6_PlJ7is_evenIiEEEE10hipError_tPvRmT3_T4_T5_T6_T7_T9_mT8_P12ihipStream_tbDpT10_ENKUlT_T0_E_clISt17integral_constantIbLb0EES19_EEDaS14_S15_EUlS14_E_NS1_11comp_targetILNS1_3genE4ELNS1_11target_archE910ELNS1_3gpuE8ELNS1_3repE0EEENS1_30default_config_static_selectorELNS0_4arch9wavefront6targetE1EEEvT1_,@function
_ZN7rocprim17ROCPRIM_400000_NS6detail17trampoline_kernelINS0_14default_configENS1_25partition_config_selectorILNS1_17partition_subalgoE0EiNS0_10empty_typeEbEEZZNS1_14partition_implILS5_0ELb0ES3_jN6thrust23THRUST_200600_302600_NS6detail15normal_iteratorINSA_10device_ptrIiEEEEPS6_SG_NS0_5tupleIJNSA_16discard_iteratorINSA_11use_defaultEEESF_EEENSH_IJSG_SG_EEES6_PlJ7is_evenIiEEEE10hipError_tPvRmT3_T4_T5_T6_T7_T9_mT8_P12ihipStream_tbDpT10_ENKUlT_T0_E_clISt17integral_constantIbLb0EES19_EEDaS14_S15_EUlS14_E_NS1_11comp_targetILNS1_3genE4ELNS1_11target_archE910ELNS1_3gpuE8ELNS1_3repE0EEENS1_30default_config_static_selectorELNS0_4arch9wavefront6targetE1EEEvT1_: ; @_ZN7rocprim17ROCPRIM_400000_NS6detail17trampoline_kernelINS0_14default_configENS1_25partition_config_selectorILNS1_17partition_subalgoE0EiNS0_10empty_typeEbEEZZNS1_14partition_implILS5_0ELb0ES3_jN6thrust23THRUST_200600_302600_NS6detail15normal_iteratorINSA_10device_ptrIiEEEEPS6_SG_NS0_5tupleIJNSA_16discard_iteratorINSA_11use_defaultEEESF_EEENSH_IJSG_SG_EEES6_PlJ7is_evenIiEEEE10hipError_tPvRmT3_T4_T5_T6_T7_T9_mT8_P12ihipStream_tbDpT10_ENKUlT_T0_E_clISt17integral_constantIbLb0EES19_EEDaS14_S15_EUlS14_E_NS1_11comp_targetILNS1_3genE4ELNS1_11target_archE910ELNS1_3gpuE8ELNS1_3repE0EEENS1_30default_config_static_selectorELNS0_4arch9wavefront6targetE1EEEvT1_
; %bb.0:
	.section	.rodata,"a",@progbits
	.p2align	6, 0x0
	.amdhsa_kernel _ZN7rocprim17ROCPRIM_400000_NS6detail17trampoline_kernelINS0_14default_configENS1_25partition_config_selectorILNS1_17partition_subalgoE0EiNS0_10empty_typeEbEEZZNS1_14partition_implILS5_0ELb0ES3_jN6thrust23THRUST_200600_302600_NS6detail15normal_iteratorINSA_10device_ptrIiEEEEPS6_SG_NS0_5tupleIJNSA_16discard_iteratorINSA_11use_defaultEEESF_EEENSH_IJSG_SG_EEES6_PlJ7is_evenIiEEEE10hipError_tPvRmT3_T4_T5_T6_T7_T9_mT8_P12ihipStream_tbDpT10_ENKUlT_T0_E_clISt17integral_constantIbLb0EES19_EEDaS14_S15_EUlS14_E_NS1_11comp_targetILNS1_3genE4ELNS1_11target_archE910ELNS1_3gpuE8ELNS1_3repE0EEENS1_30default_config_static_selectorELNS0_4arch9wavefront6targetE1EEEvT1_
		.amdhsa_group_segment_fixed_size 0
		.amdhsa_private_segment_fixed_size 0
		.amdhsa_kernarg_size 128
		.amdhsa_user_sgpr_count 2
		.amdhsa_user_sgpr_dispatch_ptr 0
		.amdhsa_user_sgpr_queue_ptr 0
		.amdhsa_user_sgpr_kernarg_segment_ptr 1
		.amdhsa_user_sgpr_dispatch_id 0
		.amdhsa_user_sgpr_kernarg_preload_length 0
		.amdhsa_user_sgpr_kernarg_preload_offset 0
		.amdhsa_user_sgpr_private_segment_size 0
		.amdhsa_uses_dynamic_stack 0
		.amdhsa_enable_private_segment 0
		.amdhsa_system_sgpr_workgroup_id_x 1
		.amdhsa_system_sgpr_workgroup_id_y 0
		.amdhsa_system_sgpr_workgroup_id_z 0
		.amdhsa_system_sgpr_workgroup_info 0
		.amdhsa_system_vgpr_workitem_id 0
		.amdhsa_next_free_vgpr 1
		.amdhsa_next_free_sgpr 0
		.amdhsa_accum_offset 4
		.amdhsa_reserve_vcc 0
		.amdhsa_float_round_mode_32 0
		.amdhsa_float_round_mode_16_64 0
		.amdhsa_float_denorm_mode_32 3
		.amdhsa_float_denorm_mode_16_64 3
		.amdhsa_dx10_clamp 1
		.amdhsa_ieee_mode 1
		.amdhsa_fp16_overflow 0
		.amdhsa_tg_split 0
		.amdhsa_exception_fp_ieee_invalid_op 0
		.amdhsa_exception_fp_denorm_src 0
		.amdhsa_exception_fp_ieee_div_zero 0
		.amdhsa_exception_fp_ieee_overflow 0
		.amdhsa_exception_fp_ieee_underflow 0
		.amdhsa_exception_fp_ieee_inexact 0
		.amdhsa_exception_int_div_zero 0
	.end_amdhsa_kernel
	.section	.text._ZN7rocprim17ROCPRIM_400000_NS6detail17trampoline_kernelINS0_14default_configENS1_25partition_config_selectorILNS1_17partition_subalgoE0EiNS0_10empty_typeEbEEZZNS1_14partition_implILS5_0ELb0ES3_jN6thrust23THRUST_200600_302600_NS6detail15normal_iteratorINSA_10device_ptrIiEEEEPS6_SG_NS0_5tupleIJNSA_16discard_iteratorINSA_11use_defaultEEESF_EEENSH_IJSG_SG_EEES6_PlJ7is_evenIiEEEE10hipError_tPvRmT3_T4_T5_T6_T7_T9_mT8_P12ihipStream_tbDpT10_ENKUlT_T0_E_clISt17integral_constantIbLb0EES19_EEDaS14_S15_EUlS14_E_NS1_11comp_targetILNS1_3genE4ELNS1_11target_archE910ELNS1_3gpuE8ELNS1_3repE0EEENS1_30default_config_static_selectorELNS0_4arch9wavefront6targetE1EEEvT1_,"axG",@progbits,_ZN7rocprim17ROCPRIM_400000_NS6detail17trampoline_kernelINS0_14default_configENS1_25partition_config_selectorILNS1_17partition_subalgoE0EiNS0_10empty_typeEbEEZZNS1_14partition_implILS5_0ELb0ES3_jN6thrust23THRUST_200600_302600_NS6detail15normal_iteratorINSA_10device_ptrIiEEEEPS6_SG_NS0_5tupleIJNSA_16discard_iteratorINSA_11use_defaultEEESF_EEENSH_IJSG_SG_EEES6_PlJ7is_evenIiEEEE10hipError_tPvRmT3_T4_T5_T6_T7_T9_mT8_P12ihipStream_tbDpT10_ENKUlT_T0_E_clISt17integral_constantIbLb0EES19_EEDaS14_S15_EUlS14_E_NS1_11comp_targetILNS1_3genE4ELNS1_11target_archE910ELNS1_3gpuE8ELNS1_3repE0EEENS1_30default_config_static_selectorELNS0_4arch9wavefront6targetE1EEEvT1_,comdat
.Lfunc_end2749:
	.size	_ZN7rocprim17ROCPRIM_400000_NS6detail17trampoline_kernelINS0_14default_configENS1_25partition_config_selectorILNS1_17partition_subalgoE0EiNS0_10empty_typeEbEEZZNS1_14partition_implILS5_0ELb0ES3_jN6thrust23THRUST_200600_302600_NS6detail15normal_iteratorINSA_10device_ptrIiEEEEPS6_SG_NS0_5tupleIJNSA_16discard_iteratorINSA_11use_defaultEEESF_EEENSH_IJSG_SG_EEES6_PlJ7is_evenIiEEEE10hipError_tPvRmT3_T4_T5_T6_T7_T9_mT8_P12ihipStream_tbDpT10_ENKUlT_T0_E_clISt17integral_constantIbLb0EES19_EEDaS14_S15_EUlS14_E_NS1_11comp_targetILNS1_3genE4ELNS1_11target_archE910ELNS1_3gpuE8ELNS1_3repE0EEENS1_30default_config_static_selectorELNS0_4arch9wavefront6targetE1EEEvT1_, .Lfunc_end2749-_ZN7rocprim17ROCPRIM_400000_NS6detail17trampoline_kernelINS0_14default_configENS1_25partition_config_selectorILNS1_17partition_subalgoE0EiNS0_10empty_typeEbEEZZNS1_14partition_implILS5_0ELb0ES3_jN6thrust23THRUST_200600_302600_NS6detail15normal_iteratorINSA_10device_ptrIiEEEEPS6_SG_NS0_5tupleIJNSA_16discard_iteratorINSA_11use_defaultEEESF_EEENSH_IJSG_SG_EEES6_PlJ7is_evenIiEEEE10hipError_tPvRmT3_T4_T5_T6_T7_T9_mT8_P12ihipStream_tbDpT10_ENKUlT_T0_E_clISt17integral_constantIbLb0EES19_EEDaS14_S15_EUlS14_E_NS1_11comp_targetILNS1_3genE4ELNS1_11target_archE910ELNS1_3gpuE8ELNS1_3repE0EEENS1_30default_config_static_selectorELNS0_4arch9wavefront6targetE1EEEvT1_
                                        ; -- End function
	.section	.AMDGPU.csdata,"",@progbits
; Kernel info:
; codeLenInByte = 0
; NumSgprs: 6
; NumVgprs: 0
; NumAgprs: 0
; TotalNumVgprs: 0
; ScratchSize: 0
; MemoryBound: 0
; FloatMode: 240
; IeeeMode: 1
; LDSByteSize: 0 bytes/workgroup (compile time only)
; SGPRBlocks: 0
; VGPRBlocks: 0
; NumSGPRsForWavesPerEU: 6
; NumVGPRsForWavesPerEU: 1
; AccumOffset: 4
; Occupancy: 8
; WaveLimiterHint : 0
; COMPUTE_PGM_RSRC2:SCRATCH_EN: 0
; COMPUTE_PGM_RSRC2:USER_SGPR: 2
; COMPUTE_PGM_RSRC2:TRAP_HANDLER: 0
; COMPUTE_PGM_RSRC2:TGID_X_EN: 1
; COMPUTE_PGM_RSRC2:TGID_Y_EN: 0
; COMPUTE_PGM_RSRC2:TGID_Z_EN: 0
; COMPUTE_PGM_RSRC2:TIDIG_COMP_CNT: 0
; COMPUTE_PGM_RSRC3_GFX90A:ACCUM_OFFSET: 0
; COMPUTE_PGM_RSRC3_GFX90A:TG_SPLIT: 0
	.section	.text._ZN7rocprim17ROCPRIM_400000_NS6detail17trampoline_kernelINS0_14default_configENS1_25partition_config_selectorILNS1_17partition_subalgoE0EiNS0_10empty_typeEbEEZZNS1_14partition_implILS5_0ELb0ES3_jN6thrust23THRUST_200600_302600_NS6detail15normal_iteratorINSA_10device_ptrIiEEEEPS6_SG_NS0_5tupleIJNSA_16discard_iteratorINSA_11use_defaultEEESF_EEENSH_IJSG_SG_EEES6_PlJ7is_evenIiEEEE10hipError_tPvRmT3_T4_T5_T6_T7_T9_mT8_P12ihipStream_tbDpT10_ENKUlT_T0_E_clISt17integral_constantIbLb0EES19_EEDaS14_S15_EUlS14_E_NS1_11comp_targetILNS1_3genE3ELNS1_11target_archE908ELNS1_3gpuE7ELNS1_3repE0EEENS1_30default_config_static_selectorELNS0_4arch9wavefront6targetE1EEEvT1_,"axG",@progbits,_ZN7rocprim17ROCPRIM_400000_NS6detail17trampoline_kernelINS0_14default_configENS1_25partition_config_selectorILNS1_17partition_subalgoE0EiNS0_10empty_typeEbEEZZNS1_14partition_implILS5_0ELb0ES3_jN6thrust23THRUST_200600_302600_NS6detail15normal_iteratorINSA_10device_ptrIiEEEEPS6_SG_NS0_5tupleIJNSA_16discard_iteratorINSA_11use_defaultEEESF_EEENSH_IJSG_SG_EEES6_PlJ7is_evenIiEEEE10hipError_tPvRmT3_T4_T5_T6_T7_T9_mT8_P12ihipStream_tbDpT10_ENKUlT_T0_E_clISt17integral_constantIbLb0EES19_EEDaS14_S15_EUlS14_E_NS1_11comp_targetILNS1_3genE3ELNS1_11target_archE908ELNS1_3gpuE7ELNS1_3repE0EEENS1_30default_config_static_selectorELNS0_4arch9wavefront6targetE1EEEvT1_,comdat
	.protected	_ZN7rocprim17ROCPRIM_400000_NS6detail17trampoline_kernelINS0_14default_configENS1_25partition_config_selectorILNS1_17partition_subalgoE0EiNS0_10empty_typeEbEEZZNS1_14partition_implILS5_0ELb0ES3_jN6thrust23THRUST_200600_302600_NS6detail15normal_iteratorINSA_10device_ptrIiEEEEPS6_SG_NS0_5tupleIJNSA_16discard_iteratorINSA_11use_defaultEEESF_EEENSH_IJSG_SG_EEES6_PlJ7is_evenIiEEEE10hipError_tPvRmT3_T4_T5_T6_T7_T9_mT8_P12ihipStream_tbDpT10_ENKUlT_T0_E_clISt17integral_constantIbLb0EES19_EEDaS14_S15_EUlS14_E_NS1_11comp_targetILNS1_3genE3ELNS1_11target_archE908ELNS1_3gpuE7ELNS1_3repE0EEENS1_30default_config_static_selectorELNS0_4arch9wavefront6targetE1EEEvT1_ ; -- Begin function _ZN7rocprim17ROCPRIM_400000_NS6detail17trampoline_kernelINS0_14default_configENS1_25partition_config_selectorILNS1_17partition_subalgoE0EiNS0_10empty_typeEbEEZZNS1_14partition_implILS5_0ELb0ES3_jN6thrust23THRUST_200600_302600_NS6detail15normal_iteratorINSA_10device_ptrIiEEEEPS6_SG_NS0_5tupleIJNSA_16discard_iteratorINSA_11use_defaultEEESF_EEENSH_IJSG_SG_EEES6_PlJ7is_evenIiEEEE10hipError_tPvRmT3_T4_T5_T6_T7_T9_mT8_P12ihipStream_tbDpT10_ENKUlT_T0_E_clISt17integral_constantIbLb0EES19_EEDaS14_S15_EUlS14_E_NS1_11comp_targetILNS1_3genE3ELNS1_11target_archE908ELNS1_3gpuE7ELNS1_3repE0EEENS1_30default_config_static_selectorELNS0_4arch9wavefront6targetE1EEEvT1_
	.globl	_ZN7rocprim17ROCPRIM_400000_NS6detail17trampoline_kernelINS0_14default_configENS1_25partition_config_selectorILNS1_17partition_subalgoE0EiNS0_10empty_typeEbEEZZNS1_14partition_implILS5_0ELb0ES3_jN6thrust23THRUST_200600_302600_NS6detail15normal_iteratorINSA_10device_ptrIiEEEEPS6_SG_NS0_5tupleIJNSA_16discard_iteratorINSA_11use_defaultEEESF_EEENSH_IJSG_SG_EEES6_PlJ7is_evenIiEEEE10hipError_tPvRmT3_T4_T5_T6_T7_T9_mT8_P12ihipStream_tbDpT10_ENKUlT_T0_E_clISt17integral_constantIbLb0EES19_EEDaS14_S15_EUlS14_E_NS1_11comp_targetILNS1_3genE3ELNS1_11target_archE908ELNS1_3gpuE7ELNS1_3repE0EEENS1_30default_config_static_selectorELNS0_4arch9wavefront6targetE1EEEvT1_
	.p2align	8
	.type	_ZN7rocprim17ROCPRIM_400000_NS6detail17trampoline_kernelINS0_14default_configENS1_25partition_config_selectorILNS1_17partition_subalgoE0EiNS0_10empty_typeEbEEZZNS1_14partition_implILS5_0ELb0ES3_jN6thrust23THRUST_200600_302600_NS6detail15normal_iteratorINSA_10device_ptrIiEEEEPS6_SG_NS0_5tupleIJNSA_16discard_iteratorINSA_11use_defaultEEESF_EEENSH_IJSG_SG_EEES6_PlJ7is_evenIiEEEE10hipError_tPvRmT3_T4_T5_T6_T7_T9_mT8_P12ihipStream_tbDpT10_ENKUlT_T0_E_clISt17integral_constantIbLb0EES19_EEDaS14_S15_EUlS14_E_NS1_11comp_targetILNS1_3genE3ELNS1_11target_archE908ELNS1_3gpuE7ELNS1_3repE0EEENS1_30default_config_static_selectorELNS0_4arch9wavefront6targetE1EEEvT1_,@function
_ZN7rocprim17ROCPRIM_400000_NS6detail17trampoline_kernelINS0_14default_configENS1_25partition_config_selectorILNS1_17partition_subalgoE0EiNS0_10empty_typeEbEEZZNS1_14partition_implILS5_0ELb0ES3_jN6thrust23THRUST_200600_302600_NS6detail15normal_iteratorINSA_10device_ptrIiEEEEPS6_SG_NS0_5tupleIJNSA_16discard_iteratorINSA_11use_defaultEEESF_EEENSH_IJSG_SG_EEES6_PlJ7is_evenIiEEEE10hipError_tPvRmT3_T4_T5_T6_T7_T9_mT8_P12ihipStream_tbDpT10_ENKUlT_T0_E_clISt17integral_constantIbLb0EES19_EEDaS14_S15_EUlS14_E_NS1_11comp_targetILNS1_3genE3ELNS1_11target_archE908ELNS1_3gpuE7ELNS1_3repE0EEENS1_30default_config_static_selectorELNS0_4arch9wavefront6targetE1EEEvT1_: ; @_ZN7rocprim17ROCPRIM_400000_NS6detail17trampoline_kernelINS0_14default_configENS1_25partition_config_selectorILNS1_17partition_subalgoE0EiNS0_10empty_typeEbEEZZNS1_14partition_implILS5_0ELb0ES3_jN6thrust23THRUST_200600_302600_NS6detail15normal_iteratorINSA_10device_ptrIiEEEEPS6_SG_NS0_5tupleIJNSA_16discard_iteratorINSA_11use_defaultEEESF_EEENSH_IJSG_SG_EEES6_PlJ7is_evenIiEEEE10hipError_tPvRmT3_T4_T5_T6_T7_T9_mT8_P12ihipStream_tbDpT10_ENKUlT_T0_E_clISt17integral_constantIbLb0EES19_EEDaS14_S15_EUlS14_E_NS1_11comp_targetILNS1_3genE3ELNS1_11target_archE908ELNS1_3gpuE7ELNS1_3repE0EEENS1_30default_config_static_selectorELNS0_4arch9wavefront6targetE1EEEvT1_
; %bb.0:
	.section	.rodata,"a",@progbits
	.p2align	6, 0x0
	.amdhsa_kernel _ZN7rocprim17ROCPRIM_400000_NS6detail17trampoline_kernelINS0_14default_configENS1_25partition_config_selectorILNS1_17partition_subalgoE0EiNS0_10empty_typeEbEEZZNS1_14partition_implILS5_0ELb0ES3_jN6thrust23THRUST_200600_302600_NS6detail15normal_iteratorINSA_10device_ptrIiEEEEPS6_SG_NS0_5tupleIJNSA_16discard_iteratorINSA_11use_defaultEEESF_EEENSH_IJSG_SG_EEES6_PlJ7is_evenIiEEEE10hipError_tPvRmT3_T4_T5_T6_T7_T9_mT8_P12ihipStream_tbDpT10_ENKUlT_T0_E_clISt17integral_constantIbLb0EES19_EEDaS14_S15_EUlS14_E_NS1_11comp_targetILNS1_3genE3ELNS1_11target_archE908ELNS1_3gpuE7ELNS1_3repE0EEENS1_30default_config_static_selectorELNS0_4arch9wavefront6targetE1EEEvT1_
		.amdhsa_group_segment_fixed_size 0
		.amdhsa_private_segment_fixed_size 0
		.amdhsa_kernarg_size 128
		.amdhsa_user_sgpr_count 2
		.amdhsa_user_sgpr_dispatch_ptr 0
		.amdhsa_user_sgpr_queue_ptr 0
		.amdhsa_user_sgpr_kernarg_segment_ptr 1
		.amdhsa_user_sgpr_dispatch_id 0
		.amdhsa_user_sgpr_kernarg_preload_length 0
		.amdhsa_user_sgpr_kernarg_preload_offset 0
		.amdhsa_user_sgpr_private_segment_size 0
		.amdhsa_uses_dynamic_stack 0
		.amdhsa_enable_private_segment 0
		.amdhsa_system_sgpr_workgroup_id_x 1
		.amdhsa_system_sgpr_workgroup_id_y 0
		.amdhsa_system_sgpr_workgroup_id_z 0
		.amdhsa_system_sgpr_workgroup_info 0
		.amdhsa_system_vgpr_workitem_id 0
		.amdhsa_next_free_vgpr 1
		.amdhsa_next_free_sgpr 0
		.amdhsa_accum_offset 4
		.amdhsa_reserve_vcc 0
		.amdhsa_float_round_mode_32 0
		.amdhsa_float_round_mode_16_64 0
		.amdhsa_float_denorm_mode_32 3
		.amdhsa_float_denorm_mode_16_64 3
		.amdhsa_dx10_clamp 1
		.amdhsa_ieee_mode 1
		.amdhsa_fp16_overflow 0
		.amdhsa_tg_split 0
		.amdhsa_exception_fp_ieee_invalid_op 0
		.amdhsa_exception_fp_denorm_src 0
		.amdhsa_exception_fp_ieee_div_zero 0
		.amdhsa_exception_fp_ieee_overflow 0
		.amdhsa_exception_fp_ieee_underflow 0
		.amdhsa_exception_fp_ieee_inexact 0
		.amdhsa_exception_int_div_zero 0
	.end_amdhsa_kernel
	.section	.text._ZN7rocprim17ROCPRIM_400000_NS6detail17trampoline_kernelINS0_14default_configENS1_25partition_config_selectorILNS1_17partition_subalgoE0EiNS0_10empty_typeEbEEZZNS1_14partition_implILS5_0ELb0ES3_jN6thrust23THRUST_200600_302600_NS6detail15normal_iteratorINSA_10device_ptrIiEEEEPS6_SG_NS0_5tupleIJNSA_16discard_iteratorINSA_11use_defaultEEESF_EEENSH_IJSG_SG_EEES6_PlJ7is_evenIiEEEE10hipError_tPvRmT3_T4_T5_T6_T7_T9_mT8_P12ihipStream_tbDpT10_ENKUlT_T0_E_clISt17integral_constantIbLb0EES19_EEDaS14_S15_EUlS14_E_NS1_11comp_targetILNS1_3genE3ELNS1_11target_archE908ELNS1_3gpuE7ELNS1_3repE0EEENS1_30default_config_static_selectorELNS0_4arch9wavefront6targetE1EEEvT1_,"axG",@progbits,_ZN7rocprim17ROCPRIM_400000_NS6detail17trampoline_kernelINS0_14default_configENS1_25partition_config_selectorILNS1_17partition_subalgoE0EiNS0_10empty_typeEbEEZZNS1_14partition_implILS5_0ELb0ES3_jN6thrust23THRUST_200600_302600_NS6detail15normal_iteratorINSA_10device_ptrIiEEEEPS6_SG_NS0_5tupleIJNSA_16discard_iteratorINSA_11use_defaultEEESF_EEENSH_IJSG_SG_EEES6_PlJ7is_evenIiEEEE10hipError_tPvRmT3_T4_T5_T6_T7_T9_mT8_P12ihipStream_tbDpT10_ENKUlT_T0_E_clISt17integral_constantIbLb0EES19_EEDaS14_S15_EUlS14_E_NS1_11comp_targetILNS1_3genE3ELNS1_11target_archE908ELNS1_3gpuE7ELNS1_3repE0EEENS1_30default_config_static_selectorELNS0_4arch9wavefront6targetE1EEEvT1_,comdat
.Lfunc_end2750:
	.size	_ZN7rocprim17ROCPRIM_400000_NS6detail17trampoline_kernelINS0_14default_configENS1_25partition_config_selectorILNS1_17partition_subalgoE0EiNS0_10empty_typeEbEEZZNS1_14partition_implILS5_0ELb0ES3_jN6thrust23THRUST_200600_302600_NS6detail15normal_iteratorINSA_10device_ptrIiEEEEPS6_SG_NS0_5tupleIJNSA_16discard_iteratorINSA_11use_defaultEEESF_EEENSH_IJSG_SG_EEES6_PlJ7is_evenIiEEEE10hipError_tPvRmT3_T4_T5_T6_T7_T9_mT8_P12ihipStream_tbDpT10_ENKUlT_T0_E_clISt17integral_constantIbLb0EES19_EEDaS14_S15_EUlS14_E_NS1_11comp_targetILNS1_3genE3ELNS1_11target_archE908ELNS1_3gpuE7ELNS1_3repE0EEENS1_30default_config_static_selectorELNS0_4arch9wavefront6targetE1EEEvT1_, .Lfunc_end2750-_ZN7rocprim17ROCPRIM_400000_NS6detail17trampoline_kernelINS0_14default_configENS1_25partition_config_selectorILNS1_17partition_subalgoE0EiNS0_10empty_typeEbEEZZNS1_14partition_implILS5_0ELb0ES3_jN6thrust23THRUST_200600_302600_NS6detail15normal_iteratorINSA_10device_ptrIiEEEEPS6_SG_NS0_5tupleIJNSA_16discard_iteratorINSA_11use_defaultEEESF_EEENSH_IJSG_SG_EEES6_PlJ7is_evenIiEEEE10hipError_tPvRmT3_T4_T5_T6_T7_T9_mT8_P12ihipStream_tbDpT10_ENKUlT_T0_E_clISt17integral_constantIbLb0EES19_EEDaS14_S15_EUlS14_E_NS1_11comp_targetILNS1_3genE3ELNS1_11target_archE908ELNS1_3gpuE7ELNS1_3repE0EEENS1_30default_config_static_selectorELNS0_4arch9wavefront6targetE1EEEvT1_
                                        ; -- End function
	.section	.AMDGPU.csdata,"",@progbits
; Kernel info:
; codeLenInByte = 0
; NumSgprs: 6
; NumVgprs: 0
; NumAgprs: 0
; TotalNumVgprs: 0
; ScratchSize: 0
; MemoryBound: 0
; FloatMode: 240
; IeeeMode: 1
; LDSByteSize: 0 bytes/workgroup (compile time only)
; SGPRBlocks: 0
; VGPRBlocks: 0
; NumSGPRsForWavesPerEU: 6
; NumVGPRsForWavesPerEU: 1
; AccumOffset: 4
; Occupancy: 8
; WaveLimiterHint : 0
; COMPUTE_PGM_RSRC2:SCRATCH_EN: 0
; COMPUTE_PGM_RSRC2:USER_SGPR: 2
; COMPUTE_PGM_RSRC2:TRAP_HANDLER: 0
; COMPUTE_PGM_RSRC2:TGID_X_EN: 1
; COMPUTE_PGM_RSRC2:TGID_Y_EN: 0
; COMPUTE_PGM_RSRC2:TGID_Z_EN: 0
; COMPUTE_PGM_RSRC2:TIDIG_COMP_CNT: 0
; COMPUTE_PGM_RSRC3_GFX90A:ACCUM_OFFSET: 0
; COMPUTE_PGM_RSRC3_GFX90A:TG_SPLIT: 0
	.section	.text._ZN7rocprim17ROCPRIM_400000_NS6detail17trampoline_kernelINS0_14default_configENS1_25partition_config_selectorILNS1_17partition_subalgoE0EiNS0_10empty_typeEbEEZZNS1_14partition_implILS5_0ELb0ES3_jN6thrust23THRUST_200600_302600_NS6detail15normal_iteratorINSA_10device_ptrIiEEEEPS6_SG_NS0_5tupleIJNSA_16discard_iteratorINSA_11use_defaultEEESF_EEENSH_IJSG_SG_EEES6_PlJ7is_evenIiEEEE10hipError_tPvRmT3_T4_T5_T6_T7_T9_mT8_P12ihipStream_tbDpT10_ENKUlT_T0_E_clISt17integral_constantIbLb0EES19_EEDaS14_S15_EUlS14_E_NS1_11comp_targetILNS1_3genE2ELNS1_11target_archE906ELNS1_3gpuE6ELNS1_3repE0EEENS1_30default_config_static_selectorELNS0_4arch9wavefront6targetE1EEEvT1_,"axG",@progbits,_ZN7rocprim17ROCPRIM_400000_NS6detail17trampoline_kernelINS0_14default_configENS1_25partition_config_selectorILNS1_17partition_subalgoE0EiNS0_10empty_typeEbEEZZNS1_14partition_implILS5_0ELb0ES3_jN6thrust23THRUST_200600_302600_NS6detail15normal_iteratorINSA_10device_ptrIiEEEEPS6_SG_NS0_5tupleIJNSA_16discard_iteratorINSA_11use_defaultEEESF_EEENSH_IJSG_SG_EEES6_PlJ7is_evenIiEEEE10hipError_tPvRmT3_T4_T5_T6_T7_T9_mT8_P12ihipStream_tbDpT10_ENKUlT_T0_E_clISt17integral_constantIbLb0EES19_EEDaS14_S15_EUlS14_E_NS1_11comp_targetILNS1_3genE2ELNS1_11target_archE906ELNS1_3gpuE6ELNS1_3repE0EEENS1_30default_config_static_selectorELNS0_4arch9wavefront6targetE1EEEvT1_,comdat
	.protected	_ZN7rocprim17ROCPRIM_400000_NS6detail17trampoline_kernelINS0_14default_configENS1_25partition_config_selectorILNS1_17partition_subalgoE0EiNS0_10empty_typeEbEEZZNS1_14partition_implILS5_0ELb0ES3_jN6thrust23THRUST_200600_302600_NS6detail15normal_iteratorINSA_10device_ptrIiEEEEPS6_SG_NS0_5tupleIJNSA_16discard_iteratorINSA_11use_defaultEEESF_EEENSH_IJSG_SG_EEES6_PlJ7is_evenIiEEEE10hipError_tPvRmT3_T4_T5_T6_T7_T9_mT8_P12ihipStream_tbDpT10_ENKUlT_T0_E_clISt17integral_constantIbLb0EES19_EEDaS14_S15_EUlS14_E_NS1_11comp_targetILNS1_3genE2ELNS1_11target_archE906ELNS1_3gpuE6ELNS1_3repE0EEENS1_30default_config_static_selectorELNS0_4arch9wavefront6targetE1EEEvT1_ ; -- Begin function _ZN7rocprim17ROCPRIM_400000_NS6detail17trampoline_kernelINS0_14default_configENS1_25partition_config_selectorILNS1_17partition_subalgoE0EiNS0_10empty_typeEbEEZZNS1_14partition_implILS5_0ELb0ES3_jN6thrust23THRUST_200600_302600_NS6detail15normal_iteratorINSA_10device_ptrIiEEEEPS6_SG_NS0_5tupleIJNSA_16discard_iteratorINSA_11use_defaultEEESF_EEENSH_IJSG_SG_EEES6_PlJ7is_evenIiEEEE10hipError_tPvRmT3_T4_T5_T6_T7_T9_mT8_P12ihipStream_tbDpT10_ENKUlT_T0_E_clISt17integral_constantIbLb0EES19_EEDaS14_S15_EUlS14_E_NS1_11comp_targetILNS1_3genE2ELNS1_11target_archE906ELNS1_3gpuE6ELNS1_3repE0EEENS1_30default_config_static_selectorELNS0_4arch9wavefront6targetE1EEEvT1_
	.globl	_ZN7rocprim17ROCPRIM_400000_NS6detail17trampoline_kernelINS0_14default_configENS1_25partition_config_selectorILNS1_17partition_subalgoE0EiNS0_10empty_typeEbEEZZNS1_14partition_implILS5_0ELb0ES3_jN6thrust23THRUST_200600_302600_NS6detail15normal_iteratorINSA_10device_ptrIiEEEEPS6_SG_NS0_5tupleIJNSA_16discard_iteratorINSA_11use_defaultEEESF_EEENSH_IJSG_SG_EEES6_PlJ7is_evenIiEEEE10hipError_tPvRmT3_T4_T5_T6_T7_T9_mT8_P12ihipStream_tbDpT10_ENKUlT_T0_E_clISt17integral_constantIbLb0EES19_EEDaS14_S15_EUlS14_E_NS1_11comp_targetILNS1_3genE2ELNS1_11target_archE906ELNS1_3gpuE6ELNS1_3repE0EEENS1_30default_config_static_selectorELNS0_4arch9wavefront6targetE1EEEvT1_
	.p2align	8
	.type	_ZN7rocprim17ROCPRIM_400000_NS6detail17trampoline_kernelINS0_14default_configENS1_25partition_config_selectorILNS1_17partition_subalgoE0EiNS0_10empty_typeEbEEZZNS1_14partition_implILS5_0ELb0ES3_jN6thrust23THRUST_200600_302600_NS6detail15normal_iteratorINSA_10device_ptrIiEEEEPS6_SG_NS0_5tupleIJNSA_16discard_iteratorINSA_11use_defaultEEESF_EEENSH_IJSG_SG_EEES6_PlJ7is_evenIiEEEE10hipError_tPvRmT3_T4_T5_T6_T7_T9_mT8_P12ihipStream_tbDpT10_ENKUlT_T0_E_clISt17integral_constantIbLb0EES19_EEDaS14_S15_EUlS14_E_NS1_11comp_targetILNS1_3genE2ELNS1_11target_archE906ELNS1_3gpuE6ELNS1_3repE0EEENS1_30default_config_static_selectorELNS0_4arch9wavefront6targetE1EEEvT1_,@function
_ZN7rocprim17ROCPRIM_400000_NS6detail17trampoline_kernelINS0_14default_configENS1_25partition_config_selectorILNS1_17partition_subalgoE0EiNS0_10empty_typeEbEEZZNS1_14partition_implILS5_0ELb0ES3_jN6thrust23THRUST_200600_302600_NS6detail15normal_iteratorINSA_10device_ptrIiEEEEPS6_SG_NS0_5tupleIJNSA_16discard_iteratorINSA_11use_defaultEEESF_EEENSH_IJSG_SG_EEES6_PlJ7is_evenIiEEEE10hipError_tPvRmT3_T4_T5_T6_T7_T9_mT8_P12ihipStream_tbDpT10_ENKUlT_T0_E_clISt17integral_constantIbLb0EES19_EEDaS14_S15_EUlS14_E_NS1_11comp_targetILNS1_3genE2ELNS1_11target_archE906ELNS1_3gpuE6ELNS1_3repE0EEENS1_30default_config_static_selectorELNS0_4arch9wavefront6targetE1EEEvT1_: ; @_ZN7rocprim17ROCPRIM_400000_NS6detail17trampoline_kernelINS0_14default_configENS1_25partition_config_selectorILNS1_17partition_subalgoE0EiNS0_10empty_typeEbEEZZNS1_14partition_implILS5_0ELb0ES3_jN6thrust23THRUST_200600_302600_NS6detail15normal_iteratorINSA_10device_ptrIiEEEEPS6_SG_NS0_5tupleIJNSA_16discard_iteratorINSA_11use_defaultEEESF_EEENSH_IJSG_SG_EEES6_PlJ7is_evenIiEEEE10hipError_tPvRmT3_T4_T5_T6_T7_T9_mT8_P12ihipStream_tbDpT10_ENKUlT_T0_E_clISt17integral_constantIbLb0EES19_EEDaS14_S15_EUlS14_E_NS1_11comp_targetILNS1_3genE2ELNS1_11target_archE906ELNS1_3gpuE6ELNS1_3repE0EEENS1_30default_config_static_selectorELNS0_4arch9wavefront6targetE1EEEvT1_
; %bb.0:
	.section	.rodata,"a",@progbits
	.p2align	6, 0x0
	.amdhsa_kernel _ZN7rocprim17ROCPRIM_400000_NS6detail17trampoline_kernelINS0_14default_configENS1_25partition_config_selectorILNS1_17partition_subalgoE0EiNS0_10empty_typeEbEEZZNS1_14partition_implILS5_0ELb0ES3_jN6thrust23THRUST_200600_302600_NS6detail15normal_iteratorINSA_10device_ptrIiEEEEPS6_SG_NS0_5tupleIJNSA_16discard_iteratorINSA_11use_defaultEEESF_EEENSH_IJSG_SG_EEES6_PlJ7is_evenIiEEEE10hipError_tPvRmT3_T4_T5_T6_T7_T9_mT8_P12ihipStream_tbDpT10_ENKUlT_T0_E_clISt17integral_constantIbLb0EES19_EEDaS14_S15_EUlS14_E_NS1_11comp_targetILNS1_3genE2ELNS1_11target_archE906ELNS1_3gpuE6ELNS1_3repE0EEENS1_30default_config_static_selectorELNS0_4arch9wavefront6targetE1EEEvT1_
		.amdhsa_group_segment_fixed_size 0
		.amdhsa_private_segment_fixed_size 0
		.amdhsa_kernarg_size 128
		.amdhsa_user_sgpr_count 2
		.amdhsa_user_sgpr_dispatch_ptr 0
		.amdhsa_user_sgpr_queue_ptr 0
		.amdhsa_user_sgpr_kernarg_segment_ptr 1
		.amdhsa_user_sgpr_dispatch_id 0
		.amdhsa_user_sgpr_kernarg_preload_length 0
		.amdhsa_user_sgpr_kernarg_preload_offset 0
		.amdhsa_user_sgpr_private_segment_size 0
		.amdhsa_uses_dynamic_stack 0
		.amdhsa_enable_private_segment 0
		.amdhsa_system_sgpr_workgroup_id_x 1
		.amdhsa_system_sgpr_workgroup_id_y 0
		.amdhsa_system_sgpr_workgroup_id_z 0
		.amdhsa_system_sgpr_workgroup_info 0
		.amdhsa_system_vgpr_workitem_id 0
		.amdhsa_next_free_vgpr 1
		.amdhsa_next_free_sgpr 0
		.amdhsa_accum_offset 4
		.amdhsa_reserve_vcc 0
		.amdhsa_float_round_mode_32 0
		.amdhsa_float_round_mode_16_64 0
		.amdhsa_float_denorm_mode_32 3
		.amdhsa_float_denorm_mode_16_64 3
		.amdhsa_dx10_clamp 1
		.amdhsa_ieee_mode 1
		.amdhsa_fp16_overflow 0
		.amdhsa_tg_split 0
		.amdhsa_exception_fp_ieee_invalid_op 0
		.amdhsa_exception_fp_denorm_src 0
		.amdhsa_exception_fp_ieee_div_zero 0
		.amdhsa_exception_fp_ieee_overflow 0
		.amdhsa_exception_fp_ieee_underflow 0
		.amdhsa_exception_fp_ieee_inexact 0
		.amdhsa_exception_int_div_zero 0
	.end_amdhsa_kernel
	.section	.text._ZN7rocprim17ROCPRIM_400000_NS6detail17trampoline_kernelINS0_14default_configENS1_25partition_config_selectorILNS1_17partition_subalgoE0EiNS0_10empty_typeEbEEZZNS1_14partition_implILS5_0ELb0ES3_jN6thrust23THRUST_200600_302600_NS6detail15normal_iteratorINSA_10device_ptrIiEEEEPS6_SG_NS0_5tupleIJNSA_16discard_iteratorINSA_11use_defaultEEESF_EEENSH_IJSG_SG_EEES6_PlJ7is_evenIiEEEE10hipError_tPvRmT3_T4_T5_T6_T7_T9_mT8_P12ihipStream_tbDpT10_ENKUlT_T0_E_clISt17integral_constantIbLb0EES19_EEDaS14_S15_EUlS14_E_NS1_11comp_targetILNS1_3genE2ELNS1_11target_archE906ELNS1_3gpuE6ELNS1_3repE0EEENS1_30default_config_static_selectorELNS0_4arch9wavefront6targetE1EEEvT1_,"axG",@progbits,_ZN7rocprim17ROCPRIM_400000_NS6detail17trampoline_kernelINS0_14default_configENS1_25partition_config_selectorILNS1_17partition_subalgoE0EiNS0_10empty_typeEbEEZZNS1_14partition_implILS5_0ELb0ES3_jN6thrust23THRUST_200600_302600_NS6detail15normal_iteratorINSA_10device_ptrIiEEEEPS6_SG_NS0_5tupleIJNSA_16discard_iteratorINSA_11use_defaultEEESF_EEENSH_IJSG_SG_EEES6_PlJ7is_evenIiEEEE10hipError_tPvRmT3_T4_T5_T6_T7_T9_mT8_P12ihipStream_tbDpT10_ENKUlT_T0_E_clISt17integral_constantIbLb0EES19_EEDaS14_S15_EUlS14_E_NS1_11comp_targetILNS1_3genE2ELNS1_11target_archE906ELNS1_3gpuE6ELNS1_3repE0EEENS1_30default_config_static_selectorELNS0_4arch9wavefront6targetE1EEEvT1_,comdat
.Lfunc_end2751:
	.size	_ZN7rocprim17ROCPRIM_400000_NS6detail17trampoline_kernelINS0_14default_configENS1_25partition_config_selectorILNS1_17partition_subalgoE0EiNS0_10empty_typeEbEEZZNS1_14partition_implILS5_0ELb0ES3_jN6thrust23THRUST_200600_302600_NS6detail15normal_iteratorINSA_10device_ptrIiEEEEPS6_SG_NS0_5tupleIJNSA_16discard_iteratorINSA_11use_defaultEEESF_EEENSH_IJSG_SG_EEES6_PlJ7is_evenIiEEEE10hipError_tPvRmT3_T4_T5_T6_T7_T9_mT8_P12ihipStream_tbDpT10_ENKUlT_T0_E_clISt17integral_constantIbLb0EES19_EEDaS14_S15_EUlS14_E_NS1_11comp_targetILNS1_3genE2ELNS1_11target_archE906ELNS1_3gpuE6ELNS1_3repE0EEENS1_30default_config_static_selectorELNS0_4arch9wavefront6targetE1EEEvT1_, .Lfunc_end2751-_ZN7rocprim17ROCPRIM_400000_NS6detail17trampoline_kernelINS0_14default_configENS1_25partition_config_selectorILNS1_17partition_subalgoE0EiNS0_10empty_typeEbEEZZNS1_14partition_implILS5_0ELb0ES3_jN6thrust23THRUST_200600_302600_NS6detail15normal_iteratorINSA_10device_ptrIiEEEEPS6_SG_NS0_5tupleIJNSA_16discard_iteratorINSA_11use_defaultEEESF_EEENSH_IJSG_SG_EEES6_PlJ7is_evenIiEEEE10hipError_tPvRmT3_T4_T5_T6_T7_T9_mT8_P12ihipStream_tbDpT10_ENKUlT_T0_E_clISt17integral_constantIbLb0EES19_EEDaS14_S15_EUlS14_E_NS1_11comp_targetILNS1_3genE2ELNS1_11target_archE906ELNS1_3gpuE6ELNS1_3repE0EEENS1_30default_config_static_selectorELNS0_4arch9wavefront6targetE1EEEvT1_
                                        ; -- End function
	.section	.AMDGPU.csdata,"",@progbits
; Kernel info:
; codeLenInByte = 0
; NumSgprs: 6
; NumVgprs: 0
; NumAgprs: 0
; TotalNumVgprs: 0
; ScratchSize: 0
; MemoryBound: 0
; FloatMode: 240
; IeeeMode: 1
; LDSByteSize: 0 bytes/workgroup (compile time only)
; SGPRBlocks: 0
; VGPRBlocks: 0
; NumSGPRsForWavesPerEU: 6
; NumVGPRsForWavesPerEU: 1
; AccumOffset: 4
; Occupancy: 8
; WaveLimiterHint : 0
; COMPUTE_PGM_RSRC2:SCRATCH_EN: 0
; COMPUTE_PGM_RSRC2:USER_SGPR: 2
; COMPUTE_PGM_RSRC2:TRAP_HANDLER: 0
; COMPUTE_PGM_RSRC2:TGID_X_EN: 1
; COMPUTE_PGM_RSRC2:TGID_Y_EN: 0
; COMPUTE_PGM_RSRC2:TGID_Z_EN: 0
; COMPUTE_PGM_RSRC2:TIDIG_COMP_CNT: 0
; COMPUTE_PGM_RSRC3_GFX90A:ACCUM_OFFSET: 0
; COMPUTE_PGM_RSRC3_GFX90A:TG_SPLIT: 0
	.section	.text._ZN7rocprim17ROCPRIM_400000_NS6detail17trampoline_kernelINS0_14default_configENS1_25partition_config_selectorILNS1_17partition_subalgoE0EiNS0_10empty_typeEbEEZZNS1_14partition_implILS5_0ELb0ES3_jN6thrust23THRUST_200600_302600_NS6detail15normal_iteratorINSA_10device_ptrIiEEEEPS6_SG_NS0_5tupleIJNSA_16discard_iteratorINSA_11use_defaultEEESF_EEENSH_IJSG_SG_EEES6_PlJ7is_evenIiEEEE10hipError_tPvRmT3_T4_T5_T6_T7_T9_mT8_P12ihipStream_tbDpT10_ENKUlT_T0_E_clISt17integral_constantIbLb0EES19_EEDaS14_S15_EUlS14_E_NS1_11comp_targetILNS1_3genE10ELNS1_11target_archE1200ELNS1_3gpuE4ELNS1_3repE0EEENS1_30default_config_static_selectorELNS0_4arch9wavefront6targetE1EEEvT1_,"axG",@progbits,_ZN7rocprim17ROCPRIM_400000_NS6detail17trampoline_kernelINS0_14default_configENS1_25partition_config_selectorILNS1_17partition_subalgoE0EiNS0_10empty_typeEbEEZZNS1_14partition_implILS5_0ELb0ES3_jN6thrust23THRUST_200600_302600_NS6detail15normal_iteratorINSA_10device_ptrIiEEEEPS6_SG_NS0_5tupleIJNSA_16discard_iteratorINSA_11use_defaultEEESF_EEENSH_IJSG_SG_EEES6_PlJ7is_evenIiEEEE10hipError_tPvRmT3_T4_T5_T6_T7_T9_mT8_P12ihipStream_tbDpT10_ENKUlT_T0_E_clISt17integral_constantIbLb0EES19_EEDaS14_S15_EUlS14_E_NS1_11comp_targetILNS1_3genE10ELNS1_11target_archE1200ELNS1_3gpuE4ELNS1_3repE0EEENS1_30default_config_static_selectorELNS0_4arch9wavefront6targetE1EEEvT1_,comdat
	.protected	_ZN7rocprim17ROCPRIM_400000_NS6detail17trampoline_kernelINS0_14default_configENS1_25partition_config_selectorILNS1_17partition_subalgoE0EiNS0_10empty_typeEbEEZZNS1_14partition_implILS5_0ELb0ES3_jN6thrust23THRUST_200600_302600_NS6detail15normal_iteratorINSA_10device_ptrIiEEEEPS6_SG_NS0_5tupleIJNSA_16discard_iteratorINSA_11use_defaultEEESF_EEENSH_IJSG_SG_EEES6_PlJ7is_evenIiEEEE10hipError_tPvRmT3_T4_T5_T6_T7_T9_mT8_P12ihipStream_tbDpT10_ENKUlT_T0_E_clISt17integral_constantIbLb0EES19_EEDaS14_S15_EUlS14_E_NS1_11comp_targetILNS1_3genE10ELNS1_11target_archE1200ELNS1_3gpuE4ELNS1_3repE0EEENS1_30default_config_static_selectorELNS0_4arch9wavefront6targetE1EEEvT1_ ; -- Begin function _ZN7rocprim17ROCPRIM_400000_NS6detail17trampoline_kernelINS0_14default_configENS1_25partition_config_selectorILNS1_17partition_subalgoE0EiNS0_10empty_typeEbEEZZNS1_14partition_implILS5_0ELb0ES3_jN6thrust23THRUST_200600_302600_NS6detail15normal_iteratorINSA_10device_ptrIiEEEEPS6_SG_NS0_5tupleIJNSA_16discard_iteratorINSA_11use_defaultEEESF_EEENSH_IJSG_SG_EEES6_PlJ7is_evenIiEEEE10hipError_tPvRmT3_T4_T5_T6_T7_T9_mT8_P12ihipStream_tbDpT10_ENKUlT_T0_E_clISt17integral_constantIbLb0EES19_EEDaS14_S15_EUlS14_E_NS1_11comp_targetILNS1_3genE10ELNS1_11target_archE1200ELNS1_3gpuE4ELNS1_3repE0EEENS1_30default_config_static_selectorELNS0_4arch9wavefront6targetE1EEEvT1_
	.globl	_ZN7rocprim17ROCPRIM_400000_NS6detail17trampoline_kernelINS0_14default_configENS1_25partition_config_selectorILNS1_17partition_subalgoE0EiNS0_10empty_typeEbEEZZNS1_14partition_implILS5_0ELb0ES3_jN6thrust23THRUST_200600_302600_NS6detail15normal_iteratorINSA_10device_ptrIiEEEEPS6_SG_NS0_5tupleIJNSA_16discard_iteratorINSA_11use_defaultEEESF_EEENSH_IJSG_SG_EEES6_PlJ7is_evenIiEEEE10hipError_tPvRmT3_T4_T5_T6_T7_T9_mT8_P12ihipStream_tbDpT10_ENKUlT_T0_E_clISt17integral_constantIbLb0EES19_EEDaS14_S15_EUlS14_E_NS1_11comp_targetILNS1_3genE10ELNS1_11target_archE1200ELNS1_3gpuE4ELNS1_3repE0EEENS1_30default_config_static_selectorELNS0_4arch9wavefront6targetE1EEEvT1_
	.p2align	8
	.type	_ZN7rocprim17ROCPRIM_400000_NS6detail17trampoline_kernelINS0_14default_configENS1_25partition_config_selectorILNS1_17partition_subalgoE0EiNS0_10empty_typeEbEEZZNS1_14partition_implILS5_0ELb0ES3_jN6thrust23THRUST_200600_302600_NS6detail15normal_iteratorINSA_10device_ptrIiEEEEPS6_SG_NS0_5tupleIJNSA_16discard_iteratorINSA_11use_defaultEEESF_EEENSH_IJSG_SG_EEES6_PlJ7is_evenIiEEEE10hipError_tPvRmT3_T4_T5_T6_T7_T9_mT8_P12ihipStream_tbDpT10_ENKUlT_T0_E_clISt17integral_constantIbLb0EES19_EEDaS14_S15_EUlS14_E_NS1_11comp_targetILNS1_3genE10ELNS1_11target_archE1200ELNS1_3gpuE4ELNS1_3repE0EEENS1_30default_config_static_selectorELNS0_4arch9wavefront6targetE1EEEvT1_,@function
_ZN7rocprim17ROCPRIM_400000_NS6detail17trampoline_kernelINS0_14default_configENS1_25partition_config_selectorILNS1_17partition_subalgoE0EiNS0_10empty_typeEbEEZZNS1_14partition_implILS5_0ELb0ES3_jN6thrust23THRUST_200600_302600_NS6detail15normal_iteratorINSA_10device_ptrIiEEEEPS6_SG_NS0_5tupleIJNSA_16discard_iteratorINSA_11use_defaultEEESF_EEENSH_IJSG_SG_EEES6_PlJ7is_evenIiEEEE10hipError_tPvRmT3_T4_T5_T6_T7_T9_mT8_P12ihipStream_tbDpT10_ENKUlT_T0_E_clISt17integral_constantIbLb0EES19_EEDaS14_S15_EUlS14_E_NS1_11comp_targetILNS1_3genE10ELNS1_11target_archE1200ELNS1_3gpuE4ELNS1_3repE0EEENS1_30default_config_static_selectorELNS0_4arch9wavefront6targetE1EEEvT1_: ; @_ZN7rocprim17ROCPRIM_400000_NS6detail17trampoline_kernelINS0_14default_configENS1_25partition_config_selectorILNS1_17partition_subalgoE0EiNS0_10empty_typeEbEEZZNS1_14partition_implILS5_0ELb0ES3_jN6thrust23THRUST_200600_302600_NS6detail15normal_iteratorINSA_10device_ptrIiEEEEPS6_SG_NS0_5tupleIJNSA_16discard_iteratorINSA_11use_defaultEEESF_EEENSH_IJSG_SG_EEES6_PlJ7is_evenIiEEEE10hipError_tPvRmT3_T4_T5_T6_T7_T9_mT8_P12ihipStream_tbDpT10_ENKUlT_T0_E_clISt17integral_constantIbLb0EES19_EEDaS14_S15_EUlS14_E_NS1_11comp_targetILNS1_3genE10ELNS1_11target_archE1200ELNS1_3gpuE4ELNS1_3repE0EEENS1_30default_config_static_selectorELNS0_4arch9wavefront6targetE1EEEvT1_
; %bb.0:
	.section	.rodata,"a",@progbits
	.p2align	6, 0x0
	.amdhsa_kernel _ZN7rocprim17ROCPRIM_400000_NS6detail17trampoline_kernelINS0_14default_configENS1_25partition_config_selectorILNS1_17partition_subalgoE0EiNS0_10empty_typeEbEEZZNS1_14partition_implILS5_0ELb0ES3_jN6thrust23THRUST_200600_302600_NS6detail15normal_iteratorINSA_10device_ptrIiEEEEPS6_SG_NS0_5tupleIJNSA_16discard_iteratorINSA_11use_defaultEEESF_EEENSH_IJSG_SG_EEES6_PlJ7is_evenIiEEEE10hipError_tPvRmT3_T4_T5_T6_T7_T9_mT8_P12ihipStream_tbDpT10_ENKUlT_T0_E_clISt17integral_constantIbLb0EES19_EEDaS14_S15_EUlS14_E_NS1_11comp_targetILNS1_3genE10ELNS1_11target_archE1200ELNS1_3gpuE4ELNS1_3repE0EEENS1_30default_config_static_selectorELNS0_4arch9wavefront6targetE1EEEvT1_
		.amdhsa_group_segment_fixed_size 0
		.amdhsa_private_segment_fixed_size 0
		.amdhsa_kernarg_size 128
		.amdhsa_user_sgpr_count 2
		.amdhsa_user_sgpr_dispatch_ptr 0
		.amdhsa_user_sgpr_queue_ptr 0
		.amdhsa_user_sgpr_kernarg_segment_ptr 1
		.amdhsa_user_sgpr_dispatch_id 0
		.amdhsa_user_sgpr_kernarg_preload_length 0
		.amdhsa_user_sgpr_kernarg_preload_offset 0
		.amdhsa_user_sgpr_private_segment_size 0
		.amdhsa_uses_dynamic_stack 0
		.amdhsa_enable_private_segment 0
		.amdhsa_system_sgpr_workgroup_id_x 1
		.amdhsa_system_sgpr_workgroup_id_y 0
		.amdhsa_system_sgpr_workgroup_id_z 0
		.amdhsa_system_sgpr_workgroup_info 0
		.amdhsa_system_vgpr_workitem_id 0
		.amdhsa_next_free_vgpr 1
		.amdhsa_next_free_sgpr 0
		.amdhsa_accum_offset 4
		.amdhsa_reserve_vcc 0
		.amdhsa_float_round_mode_32 0
		.amdhsa_float_round_mode_16_64 0
		.amdhsa_float_denorm_mode_32 3
		.amdhsa_float_denorm_mode_16_64 3
		.amdhsa_dx10_clamp 1
		.amdhsa_ieee_mode 1
		.amdhsa_fp16_overflow 0
		.amdhsa_tg_split 0
		.amdhsa_exception_fp_ieee_invalid_op 0
		.amdhsa_exception_fp_denorm_src 0
		.amdhsa_exception_fp_ieee_div_zero 0
		.amdhsa_exception_fp_ieee_overflow 0
		.amdhsa_exception_fp_ieee_underflow 0
		.amdhsa_exception_fp_ieee_inexact 0
		.amdhsa_exception_int_div_zero 0
	.end_amdhsa_kernel
	.section	.text._ZN7rocprim17ROCPRIM_400000_NS6detail17trampoline_kernelINS0_14default_configENS1_25partition_config_selectorILNS1_17partition_subalgoE0EiNS0_10empty_typeEbEEZZNS1_14partition_implILS5_0ELb0ES3_jN6thrust23THRUST_200600_302600_NS6detail15normal_iteratorINSA_10device_ptrIiEEEEPS6_SG_NS0_5tupleIJNSA_16discard_iteratorINSA_11use_defaultEEESF_EEENSH_IJSG_SG_EEES6_PlJ7is_evenIiEEEE10hipError_tPvRmT3_T4_T5_T6_T7_T9_mT8_P12ihipStream_tbDpT10_ENKUlT_T0_E_clISt17integral_constantIbLb0EES19_EEDaS14_S15_EUlS14_E_NS1_11comp_targetILNS1_3genE10ELNS1_11target_archE1200ELNS1_3gpuE4ELNS1_3repE0EEENS1_30default_config_static_selectorELNS0_4arch9wavefront6targetE1EEEvT1_,"axG",@progbits,_ZN7rocprim17ROCPRIM_400000_NS6detail17trampoline_kernelINS0_14default_configENS1_25partition_config_selectorILNS1_17partition_subalgoE0EiNS0_10empty_typeEbEEZZNS1_14partition_implILS5_0ELb0ES3_jN6thrust23THRUST_200600_302600_NS6detail15normal_iteratorINSA_10device_ptrIiEEEEPS6_SG_NS0_5tupleIJNSA_16discard_iteratorINSA_11use_defaultEEESF_EEENSH_IJSG_SG_EEES6_PlJ7is_evenIiEEEE10hipError_tPvRmT3_T4_T5_T6_T7_T9_mT8_P12ihipStream_tbDpT10_ENKUlT_T0_E_clISt17integral_constantIbLb0EES19_EEDaS14_S15_EUlS14_E_NS1_11comp_targetILNS1_3genE10ELNS1_11target_archE1200ELNS1_3gpuE4ELNS1_3repE0EEENS1_30default_config_static_selectorELNS0_4arch9wavefront6targetE1EEEvT1_,comdat
.Lfunc_end2752:
	.size	_ZN7rocprim17ROCPRIM_400000_NS6detail17trampoline_kernelINS0_14default_configENS1_25partition_config_selectorILNS1_17partition_subalgoE0EiNS0_10empty_typeEbEEZZNS1_14partition_implILS5_0ELb0ES3_jN6thrust23THRUST_200600_302600_NS6detail15normal_iteratorINSA_10device_ptrIiEEEEPS6_SG_NS0_5tupleIJNSA_16discard_iteratorINSA_11use_defaultEEESF_EEENSH_IJSG_SG_EEES6_PlJ7is_evenIiEEEE10hipError_tPvRmT3_T4_T5_T6_T7_T9_mT8_P12ihipStream_tbDpT10_ENKUlT_T0_E_clISt17integral_constantIbLb0EES19_EEDaS14_S15_EUlS14_E_NS1_11comp_targetILNS1_3genE10ELNS1_11target_archE1200ELNS1_3gpuE4ELNS1_3repE0EEENS1_30default_config_static_selectorELNS0_4arch9wavefront6targetE1EEEvT1_, .Lfunc_end2752-_ZN7rocprim17ROCPRIM_400000_NS6detail17trampoline_kernelINS0_14default_configENS1_25partition_config_selectorILNS1_17partition_subalgoE0EiNS0_10empty_typeEbEEZZNS1_14partition_implILS5_0ELb0ES3_jN6thrust23THRUST_200600_302600_NS6detail15normal_iteratorINSA_10device_ptrIiEEEEPS6_SG_NS0_5tupleIJNSA_16discard_iteratorINSA_11use_defaultEEESF_EEENSH_IJSG_SG_EEES6_PlJ7is_evenIiEEEE10hipError_tPvRmT3_T4_T5_T6_T7_T9_mT8_P12ihipStream_tbDpT10_ENKUlT_T0_E_clISt17integral_constantIbLb0EES19_EEDaS14_S15_EUlS14_E_NS1_11comp_targetILNS1_3genE10ELNS1_11target_archE1200ELNS1_3gpuE4ELNS1_3repE0EEENS1_30default_config_static_selectorELNS0_4arch9wavefront6targetE1EEEvT1_
                                        ; -- End function
	.section	.AMDGPU.csdata,"",@progbits
; Kernel info:
; codeLenInByte = 0
; NumSgprs: 6
; NumVgprs: 0
; NumAgprs: 0
; TotalNumVgprs: 0
; ScratchSize: 0
; MemoryBound: 0
; FloatMode: 240
; IeeeMode: 1
; LDSByteSize: 0 bytes/workgroup (compile time only)
; SGPRBlocks: 0
; VGPRBlocks: 0
; NumSGPRsForWavesPerEU: 6
; NumVGPRsForWavesPerEU: 1
; AccumOffset: 4
; Occupancy: 8
; WaveLimiterHint : 0
; COMPUTE_PGM_RSRC2:SCRATCH_EN: 0
; COMPUTE_PGM_RSRC2:USER_SGPR: 2
; COMPUTE_PGM_RSRC2:TRAP_HANDLER: 0
; COMPUTE_PGM_RSRC2:TGID_X_EN: 1
; COMPUTE_PGM_RSRC2:TGID_Y_EN: 0
; COMPUTE_PGM_RSRC2:TGID_Z_EN: 0
; COMPUTE_PGM_RSRC2:TIDIG_COMP_CNT: 0
; COMPUTE_PGM_RSRC3_GFX90A:ACCUM_OFFSET: 0
; COMPUTE_PGM_RSRC3_GFX90A:TG_SPLIT: 0
	.section	.text._ZN7rocprim17ROCPRIM_400000_NS6detail17trampoline_kernelINS0_14default_configENS1_25partition_config_selectorILNS1_17partition_subalgoE0EiNS0_10empty_typeEbEEZZNS1_14partition_implILS5_0ELb0ES3_jN6thrust23THRUST_200600_302600_NS6detail15normal_iteratorINSA_10device_ptrIiEEEEPS6_SG_NS0_5tupleIJNSA_16discard_iteratorINSA_11use_defaultEEESF_EEENSH_IJSG_SG_EEES6_PlJ7is_evenIiEEEE10hipError_tPvRmT3_T4_T5_T6_T7_T9_mT8_P12ihipStream_tbDpT10_ENKUlT_T0_E_clISt17integral_constantIbLb0EES19_EEDaS14_S15_EUlS14_E_NS1_11comp_targetILNS1_3genE9ELNS1_11target_archE1100ELNS1_3gpuE3ELNS1_3repE0EEENS1_30default_config_static_selectorELNS0_4arch9wavefront6targetE1EEEvT1_,"axG",@progbits,_ZN7rocprim17ROCPRIM_400000_NS6detail17trampoline_kernelINS0_14default_configENS1_25partition_config_selectorILNS1_17partition_subalgoE0EiNS0_10empty_typeEbEEZZNS1_14partition_implILS5_0ELb0ES3_jN6thrust23THRUST_200600_302600_NS6detail15normal_iteratorINSA_10device_ptrIiEEEEPS6_SG_NS0_5tupleIJNSA_16discard_iteratorINSA_11use_defaultEEESF_EEENSH_IJSG_SG_EEES6_PlJ7is_evenIiEEEE10hipError_tPvRmT3_T4_T5_T6_T7_T9_mT8_P12ihipStream_tbDpT10_ENKUlT_T0_E_clISt17integral_constantIbLb0EES19_EEDaS14_S15_EUlS14_E_NS1_11comp_targetILNS1_3genE9ELNS1_11target_archE1100ELNS1_3gpuE3ELNS1_3repE0EEENS1_30default_config_static_selectorELNS0_4arch9wavefront6targetE1EEEvT1_,comdat
	.protected	_ZN7rocprim17ROCPRIM_400000_NS6detail17trampoline_kernelINS0_14default_configENS1_25partition_config_selectorILNS1_17partition_subalgoE0EiNS0_10empty_typeEbEEZZNS1_14partition_implILS5_0ELb0ES3_jN6thrust23THRUST_200600_302600_NS6detail15normal_iteratorINSA_10device_ptrIiEEEEPS6_SG_NS0_5tupleIJNSA_16discard_iteratorINSA_11use_defaultEEESF_EEENSH_IJSG_SG_EEES6_PlJ7is_evenIiEEEE10hipError_tPvRmT3_T4_T5_T6_T7_T9_mT8_P12ihipStream_tbDpT10_ENKUlT_T0_E_clISt17integral_constantIbLb0EES19_EEDaS14_S15_EUlS14_E_NS1_11comp_targetILNS1_3genE9ELNS1_11target_archE1100ELNS1_3gpuE3ELNS1_3repE0EEENS1_30default_config_static_selectorELNS0_4arch9wavefront6targetE1EEEvT1_ ; -- Begin function _ZN7rocprim17ROCPRIM_400000_NS6detail17trampoline_kernelINS0_14default_configENS1_25partition_config_selectorILNS1_17partition_subalgoE0EiNS0_10empty_typeEbEEZZNS1_14partition_implILS5_0ELb0ES3_jN6thrust23THRUST_200600_302600_NS6detail15normal_iteratorINSA_10device_ptrIiEEEEPS6_SG_NS0_5tupleIJNSA_16discard_iteratorINSA_11use_defaultEEESF_EEENSH_IJSG_SG_EEES6_PlJ7is_evenIiEEEE10hipError_tPvRmT3_T4_T5_T6_T7_T9_mT8_P12ihipStream_tbDpT10_ENKUlT_T0_E_clISt17integral_constantIbLb0EES19_EEDaS14_S15_EUlS14_E_NS1_11comp_targetILNS1_3genE9ELNS1_11target_archE1100ELNS1_3gpuE3ELNS1_3repE0EEENS1_30default_config_static_selectorELNS0_4arch9wavefront6targetE1EEEvT1_
	.globl	_ZN7rocprim17ROCPRIM_400000_NS6detail17trampoline_kernelINS0_14default_configENS1_25partition_config_selectorILNS1_17partition_subalgoE0EiNS0_10empty_typeEbEEZZNS1_14partition_implILS5_0ELb0ES3_jN6thrust23THRUST_200600_302600_NS6detail15normal_iteratorINSA_10device_ptrIiEEEEPS6_SG_NS0_5tupleIJNSA_16discard_iteratorINSA_11use_defaultEEESF_EEENSH_IJSG_SG_EEES6_PlJ7is_evenIiEEEE10hipError_tPvRmT3_T4_T5_T6_T7_T9_mT8_P12ihipStream_tbDpT10_ENKUlT_T0_E_clISt17integral_constantIbLb0EES19_EEDaS14_S15_EUlS14_E_NS1_11comp_targetILNS1_3genE9ELNS1_11target_archE1100ELNS1_3gpuE3ELNS1_3repE0EEENS1_30default_config_static_selectorELNS0_4arch9wavefront6targetE1EEEvT1_
	.p2align	8
	.type	_ZN7rocprim17ROCPRIM_400000_NS6detail17trampoline_kernelINS0_14default_configENS1_25partition_config_selectorILNS1_17partition_subalgoE0EiNS0_10empty_typeEbEEZZNS1_14partition_implILS5_0ELb0ES3_jN6thrust23THRUST_200600_302600_NS6detail15normal_iteratorINSA_10device_ptrIiEEEEPS6_SG_NS0_5tupleIJNSA_16discard_iteratorINSA_11use_defaultEEESF_EEENSH_IJSG_SG_EEES6_PlJ7is_evenIiEEEE10hipError_tPvRmT3_T4_T5_T6_T7_T9_mT8_P12ihipStream_tbDpT10_ENKUlT_T0_E_clISt17integral_constantIbLb0EES19_EEDaS14_S15_EUlS14_E_NS1_11comp_targetILNS1_3genE9ELNS1_11target_archE1100ELNS1_3gpuE3ELNS1_3repE0EEENS1_30default_config_static_selectorELNS0_4arch9wavefront6targetE1EEEvT1_,@function
_ZN7rocprim17ROCPRIM_400000_NS6detail17trampoline_kernelINS0_14default_configENS1_25partition_config_selectorILNS1_17partition_subalgoE0EiNS0_10empty_typeEbEEZZNS1_14partition_implILS5_0ELb0ES3_jN6thrust23THRUST_200600_302600_NS6detail15normal_iteratorINSA_10device_ptrIiEEEEPS6_SG_NS0_5tupleIJNSA_16discard_iteratorINSA_11use_defaultEEESF_EEENSH_IJSG_SG_EEES6_PlJ7is_evenIiEEEE10hipError_tPvRmT3_T4_T5_T6_T7_T9_mT8_P12ihipStream_tbDpT10_ENKUlT_T0_E_clISt17integral_constantIbLb0EES19_EEDaS14_S15_EUlS14_E_NS1_11comp_targetILNS1_3genE9ELNS1_11target_archE1100ELNS1_3gpuE3ELNS1_3repE0EEENS1_30default_config_static_selectorELNS0_4arch9wavefront6targetE1EEEvT1_: ; @_ZN7rocprim17ROCPRIM_400000_NS6detail17trampoline_kernelINS0_14default_configENS1_25partition_config_selectorILNS1_17partition_subalgoE0EiNS0_10empty_typeEbEEZZNS1_14partition_implILS5_0ELb0ES3_jN6thrust23THRUST_200600_302600_NS6detail15normal_iteratorINSA_10device_ptrIiEEEEPS6_SG_NS0_5tupleIJNSA_16discard_iteratorINSA_11use_defaultEEESF_EEENSH_IJSG_SG_EEES6_PlJ7is_evenIiEEEE10hipError_tPvRmT3_T4_T5_T6_T7_T9_mT8_P12ihipStream_tbDpT10_ENKUlT_T0_E_clISt17integral_constantIbLb0EES19_EEDaS14_S15_EUlS14_E_NS1_11comp_targetILNS1_3genE9ELNS1_11target_archE1100ELNS1_3gpuE3ELNS1_3repE0EEENS1_30default_config_static_selectorELNS0_4arch9wavefront6targetE1EEEvT1_
; %bb.0:
	.section	.rodata,"a",@progbits
	.p2align	6, 0x0
	.amdhsa_kernel _ZN7rocprim17ROCPRIM_400000_NS6detail17trampoline_kernelINS0_14default_configENS1_25partition_config_selectorILNS1_17partition_subalgoE0EiNS0_10empty_typeEbEEZZNS1_14partition_implILS5_0ELb0ES3_jN6thrust23THRUST_200600_302600_NS6detail15normal_iteratorINSA_10device_ptrIiEEEEPS6_SG_NS0_5tupleIJNSA_16discard_iteratorINSA_11use_defaultEEESF_EEENSH_IJSG_SG_EEES6_PlJ7is_evenIiEEEE10hipError_tPvRmT3_T4_T5_T6_T7_T9_mT8_P12ihipStream_tbDpT10_ENKUlT_T0_E_clISt17integral_constantIbLb0EES19_EEDaS14_S15_EUlS14_E_NS1_11comp_targetILNS1_3genE9ELNS1_11target_archE1100ELNS1_3gpuE3ELNS1_3repE0EEENS1_30default_config_static_selectorELNS0_4arch9wavefront6targetE1EEEvT1_
		.amdhsa_group_segment_fixed_size 0
		.amdhsa_private_segment_fixed_size 0
		.amdhsa_kernarg_size 128
		.amdhsa_user_sgpr_count 2
		.amdhsa_user_sgpr_dispatch_ptr 0
		.amdhsa_user_sgpr_queue_ptr 0
		.amdhsa_user_sgpr_kernarg_segment_ptr 1
		.amdhsa_user_sgpr_dispatch_id 0
		.amdhsa_user_sgpr_kernarg_preload_length 0
		.amdhsa_user_sgpr_kernarg_preload_offset 0
		.amdhsa_user_sgpr_private_segment_size 0
		.amdhsa_uses_dynamic_stack 0
		.amdhsa_enable_private_segment 0
		.amdhsa_system_sgpr_workgroup_id_x 1
		.amdhsa_system_sgpr_workgroup_id_y 0
		.amdhsa_system_sgpr_workgroup_id_z 0
		.amdhsa_system_sgpr_workgroup_info 0
		.amdhsa_system_vgpr_workitem_id 0
		.amdhsa_next_free_vgpr 1
		.amdhsa_next_free_sgpr 0
		.amdhsa_accum_offset 4
		.amdhsa_reserve_vcc 0
		.amdhsa_float_round_mode_32 0
		.amdhsa_float_round_mode_16_64 0
		.amdhsa_float_denorm_mode_32 3
		.amdhsa_float_denorm_mode_16_64 3
		.amdhsa_dx10_clamp 1
		.amdhsa_ieee_mode 1
		.amdhsa_fp16_overflow 0
		.amdhsa_tg_split 0
		.amdhsa_exception_fp_ieee_invalid_op 0
		.amdhsa_exception_fp_denorm_src 0
		.amdhsa_exception_fp_ieee_div_zero 0
		.amdhsa_exception_fp_ieee_overflow 0
		.amdhsa_exception_fp_ieee_underflow 0
		.amdhsa_exception_fp_ieee_inexact 0
		.amdhsa_exception_int_div_zero 0
	.end_amdhsa_kernel
	.section	.text._ZN7rocprim17ROCPRIM_400000_NS6detail17trampoline_kernelINS0_14default_configENS1_25partition_config_selectorILNS1_17partition_subalgoE0EiNS0_10empty_typeEbEEZZNS1_14partition_implILS5_0ELb0ES3_jN6thrust23THRUST_200600_302600_NS6detail15normal_iteratorINSA_10device_ptrIiEEEEPS6_SG_NS0_5tupleIJNSA_16discard_iteratorINSA_11use_defaultEEESF_EEENSH_IJSG_SG_EEES6_PlJ7is_evenIiEEEE10hipError_tPvRmT3_T4_T5_T6_T7_T9_mT8_P12ihipStream_tbDpT10_ENKUlT_T0_E_clISt17integral_constantIbLb0EES19_EEDaS14_S15_EUlS14_E_NS1_11comp_targetILNS1_3genE9ELNS1_11target_archE1100ELNS1_3gpuE3ELNS1_3repE0EEENS1_30default_config_static_selectorELNS0_4arch9wavefront6targetE1EEEvT1_,"axG",@progbits,_ZN7rocprim17ROCPRIM_400000_NS6detail17trampoline_kernelINS0_14default_configENS1_25partition_config_selectorILNS1_17partition_subalgoE0EiNS0_10empty_typeEbEEZZNS1_14partition_implILS5_0ELb0ES3_jN6thrust23THRUST_200600_302600_NS6detail15normal_iteratorINSA_10device_ptrIiEEEEPS6_SG_NS0_5tupleIJNSA_16discard_iteratorINSA_11use_defaultEEESF_EEENSH_IJSG_SG_EEES6_PlJ7is_evenIiEEEE10hipError_tPvRmT3_T4_T5_T6_T7_T9_mT8_P12ihipStream_tbDpT10_ENKUlT_T0_E_clISt17integral_constantIbLb0EES19_EEDaS14_S15_EUlS14_E_NS1_11comp_targetILNS1_3genE9ELNS1_11target_archE1100ELNS1_3gpuE3ELNS1_3repE0EEENS1_30default_config_static_selectorELNS0_4arch9wavefront6targetE1EEEvT1_,comdat
.Lfunc_end2753:
	.size	_ZN7rocprim17ROCPRIM_400000_NS6detail17trampoline_kernelINS0_14default_configENS1_25partition_config_selectorILNS1_17partition_subalgoE0EiNS0_10empty_typeEbEEZZNS1_14partition_implILS5_0ELb0ES3_jN6thrust23THRUST_200600_302600_NS6detail15normal_iteratorINSA_10device_ptrIiEEEEPS6_SG_NS0_5tupleIJNSA_16discard_iteratorINSA_11use_defaultEEESF_EEENSH_IJSG_SG_EEES6_PlJ7is_evenIiEEEE10hipError_tPvRmT3_T4_T5_T6_T7_T9_mT8_P12ihipStream_tbDpT10_ENKUlT_T0_E_clISt17integral_constantIbLb0EES19_EEDaS14_S15_EUlS14_E_NS1_11comp_targetILNS1_3genE9ELNS1_11target_archE1100ELNS1_3gpuE3ELNS1_3repE0EEENS1_30default_config_static_selectorELNS0_4arch9wavefront6targetE1EEEvT1_, .Lfunc_end2753-_ZN7rocprim17ROCPRIM_400000_NS6detail17trampoline_kernelINS0_14default_configENS1_25partition_config_selectorILNS1_17partition_subalgoE0EiNS0_10empty_typeEbEEZZNS1_14partition_implILS5_0ELb0ES3_jN6thrust23THRUST_200600_302600_NS6detail15normal_iteratorINSA_10device_ptrIiEEEEPS6_SG_NS0_5tupleIJNSA_16discard_iteratorINSA_11use_defaultEEESF_EEENSH_IJSG_SG_EEES6_PlJ7is_evenIiEEEE10hipError_tPvRmT3_T4_T5_T6_T7_T9_mT8_P12ihipStream_tbDpT10_ENKUlT_T0_E_clISt17integral_constantIbLb0EES19_EEDaS14_S15_EUlS14_E_NS1_11comp_targetILNS1_3genE9ELNS1_11target_archE1100ELNS1_3gpuE3ELNS1_3repE0EEENS1_30default_config_static_selectorELNS0_4arch9wavefront6targetE1EEEvT1_
                                        ; -- End function
	.section	.AMDGPU.csdata,"",@progbits
; Kernel info:
; codeLenInByte = 0
; NumSgprs: 6
; NumVgprs: 0
; NumAgprs: 0
; TotalNumVgprs: 0
; ScratchSize: 0
; MemoryBound: 0
; FloatMode: 240
; IeeeMode: 1
; LDSByteSize: 0 bytes/workgroup (compile time only)
; SGPRBlocks: 0
; VGPRBlocks: 0
; NumSGPRsForWavesPerEU: 6
; NumVGPRsForWavesPerEU: 1
; AccumOffset: 4
; Occupancy: 8
; WaveLimiterHint : 0
; COMPUTE_PGM_RSRC2:SCRATCH_EN: 0
; COMPUTE_PGM_RSRC2:USER_SGPR: 2
; COMPUTE_PGM_RSRC2:TRAP_HANDLER: 0
; COMPUTE_PGM_RSRC2:TGID_X_EN: 1
; COMPUTE_PGM_RSRC2:TGID_Y_EN: 0
; COMPUTE_PGM_RSRC2:TGID_Z_EN: 0
; COMPUTE_PGM_RSRC2:TIDIG_COMP_CNT: 0
; COMPUTE_PGM_RSRC3_GFX90A:ACCUM_OFFSET: 0
; COMPUTE_PGM_RSRC3_GFX90A:TG_SPLIT: 0
	.section	.text._ZN7rocprim17ROCPRIM_400000_NS6detail17trampoline_kernelINS0_14default_configENS1_25partition_config_selectorILNS1_17partition_subalgoE0EiNS0_10empty_typeEbEEZZNS1_14partition_implILS5_0ELb0ES3_jN6thrust23THRUST_200600_302600_NS6detail15normal_iteratorINSA_10device_ptrIiEEEEPS6_SG_NS0_5tupleIJNSA_16discard_iteratorINSA_11use_defaultEEESF_EEENSH_IJSG_SG_EEES6_PlJ7is_evenIiEEEE10hipError_tPvRmT3_T4_T5_T6_T7_T9_mT8_P12ihipStream_tbDpT10_ENKUlT_T0_E_clISt17integral_constantIbLb0EES19_EEDaS14_S15_EUlS14_E_NS1_11comp_targetILNS1_3genE8ELNS1_11target_archE1030ELNS1_3gpuE2ELNS1_3repE0EEENS1_30default_config_static_selectorELNS0_4arch9wavefront6targetE1EEEvT1_,"axG",@progbits,_ZN7rocprim17ROCPRIM_400000_NS6detail17trampoline_kernelINS0_14default_configENS1_25partition_config_selectorILNS1_17partition_subalgoE0EiNS0_10empty_typeEbEEZZNS1_14partition_implILS5_0ELb0ES3_jN6thrust23THRUST_200600_302600_NS6detail15normal_iteratorINSA_10device_ptrIiEEEEPS6_SG_NS0_5tupleIJNSA_16discard_iteratorINSA_11use_defaultEEESF_EEENSH_IJSG_SG_EEES6_PlJ7is_evenIiEEEE10hipError_tPvRmT3_T4_T5_T6_T7_T9_mT8_P12ihipStream_tbDpT10_ENKUlT_T0_E_clISt17integral_constantIbLb0EES19_EEDaS14_S15_EUlS14_E_NS1_11comp_targetILNS1_3genE8ELNS1_11target_archE1030ELNS1_3gpuE2ELNS1_3repE0EEENS1_30default_config_static_selectorELNS0_4arch9wavefront6targetE1EEEvT1_,comdat
	.protected	_ZN7rocprim17ROCPRIM_400000_NS6detail17trampoline_kernelINS0_14default_configENS1_25partition_config_selectorILNS1_17partition_subalgoE0EiNS0_10empty_typeEbEEZZNS1_14partition_implILS5_0ELb0ES3_jN6thrust23THRUST_200600_302600_NS6detail15normal_iteratorINSA_10device_ptrIiEEEEPS6_SG_NS0_5tupleIJNSA_16discard_iteratorINSA_11use_defaultEEESF_EEENSH_IJSG_SG_EEES6_PlJ7is_evenIiEEEE10hipError_tPvRmT3_T4_T5_T6_T7_T9_mT8_P12ihipStream_tbDpT10_ENKUlT_T0_E_clISt17integral_constantIbLb0EES19_EEDaS14_S15_EUlS14_E_NS1_11comp_targetILNS1_3genE8ELNS1_11target_archE1030ELNS1_3gpuE2ELNS1_3repE0EEENS1_30default_config_static_selectorELNS0_4arch9wavefront6targetE1EEEvT1_ ; -- Begin function _ZN7rocprim17ROCPRIM_400000_NS6detail17trampoline_kernelINS0_14default_configENS1_25partition_config_selectorILNS1_17partition_subalgoE0EiNS0_10empty_typeEbEEZZNS1_14partition_implILS5_0ELb0ES3_jN6thrust23THRUST_200600_302600_NS6detail15normal_iteratorINSA_10device_ptrIiEEEEPS6_SG_NS0_5tupleIJNSA_16discard_iteratorINSA_11use_defaultEEESF_EEENSH_IJSG_SG_EEES6_PlJ7is_evenIiEEEE10hipError_tPvRmT3_T4_T5_T6_T7_T9_mT8_P12ihipStream_tbDpT10_ENKUlT_T0_E_clISt17integral_constantIbLb0EES19_EEDaS14_S15_EUlS14_E_NS1_11comp_targetILNS1_3genE8ELNS1_11target_archE1030ELNS1_3gpuE2ELNS1_3repE0EEENS1_30default_config_static_selectorELNS0_4arch9wavefront6targetE1EEEvT1_
	.globl	_ZN7rocprim17ROCPRIM_400000_NS6detail17trampoline_kernelINS0_14default_configENS1_25partition_config_selectorILNS1_17partition_subalgoE0EiNS0_10empty_typeEbEEZZNS1_14partition_implILS5_0ELb0ES3_jN6thrust23THRUST_200600_302600_NS6detail15normal_iteratorINSA_10device_ptrIiEEEEPS6_SG_NS0_5tupleIJNSA_16discard_iteratorINSA_11use_defaultEEESF_EEENSH_IJSG_SG_EEES6_PlJ7is_evenIiEEEE10hipError_tPvRmT3_T4_T5_T6_T7_T9_mT8_P12ihipStream_tbDpT10_ENKUlT_T0_E_clISt17integral_constantIbLb0EES19_EEDaS14_S15_EUlS14_E_NS1_11comp_targetILNS1_3genE8ELNS1_11target_archE1030ELNS1_3gpuE2ELNS1_3repE0EEENS1_30default_config_static_selectorELNS0_4arch9wavefront6targetE1EEEvT1_
	.p2align	8
	.type	_ZN7rocprim17ROCPRIM_400000_NS6detail17trampoline_kernelINS0_14default_configENS1_25partition_config_selectorILNS1_17partition_subalgoE0EiNS0_10empty_typeEbEEZZNS1_14partition_implILS5_0ELb0ES3_jN6thrust23THRUST_200600_302600_NS6detail15normal_iteratorINSA_10device_ptrIiEEEEPS6_SG_NS0_5tupleIJNSA_16discard_iteratorINSA_11use_defaultEEESF_EEENSH_IJSG_SG_EEES6_PlJ7is_evenIiEEEE10hipError_tPvRmT3_T4_T5_T6_T7_T9_mT8_P12ihipStream_tbDpT10_ENKUlT_T0_E_clISt17integral_constantIbLb0EES19_EEDaS14_S15_EUlS14_E_NS1_11comp_targetILNS1_3genE8ELNS1_11target_archE1030ELNS1_3gpuE2ELNS1_3repE0EEENS1_30default_config_static_selectorELNS0_4arch9wavefront6targetE1EEEvT1_,@function
_ZN7rocprim17ROCPRIM_400000_NS6detail17trampoline_kernelINS0_14default_configENS1_25partition_config_selectorILNS1_17partition_subalgoE0EiNS0_10empty_typeEbEEZZNS1_14partition_implILS5_0ELb0ES3_jN6thrust23THRUST_200600_302600_NS6detail15normal_iteratorINSA_10device_ptrIiEEEEPS6_SG_NS0_5tupleIJNSA_16discard_iteratorINSA_11use_defaultEEESF_EEENSH_IJSG_SG_EEES6_PlJ7is_evenIiEEEE10hipError_tPvRmT3_T4_T5_T6_T7_T9_mT8_P12ihipStream_tbDpT10_ENKUlT_T0_E_clISt17integral_constantIbLb0EES19_EEDaS14_S15_EUlS14_E_NS1_11comp_targetILNS1_3genE8ELNS1_11target_archE1030ELNS1_3gpuE2ELNS1_3repE0EEENS1_30default_config_static_selectorELNS0_4arch9wavefront6targetE1EEEvT1_: ; @_ZN7rocprim17ROCPRIM_400000_NS6detail17trampoline_kernelINS0_14default_configENS1_25partition_config_selectorILNS1_17partition_subalgoE0EiNS0_10empty_typeEbEEZZNS1_14partition_implILS5_0ELb0ES3_jN6thrust23THRUST_200600_302600_NS6detail15normal_iteratorINSA_10device_ptrIiEEEEPS6_SG_NS0_5tupleIJNSA_16discard_iteratorINSA_11use_defaultEEESF_EEENSH_IJSG_SG_EEES6_PlJ7is_evenIiEEEE10hipError_tPvRmT3_T4_T5_T6_T7_T9_mT8_P12ihipStream_tbDpT10_ENKUlT_T0_E_clISt17integral_constantIbLb0EES19_EEDaS14_S15_EUlS14_E_NS1_11comp_targetILNS1_3genE8ELNS1_11target_archE1030ELNS1_3gpuE2ELNS1_3repE0EEENS1_30default_config_static_selectorELNS0_4arch9wavefront6targetE1EEEvT1_
; %bb.0:
	.section	.rodata,"a",@progbits
	.p2align	6, 0x0
	.amdhsa_kernel _ZN7rocprim17ROCPRIM_400000_NS6detail17trampoline_kernelINS0_14default_configENS1_25partition_config_selectorILNS1_17partition_subalgoE0EiNS0_10empty_typeEbEEZZNS1_14partition_implILS5_0ELb0ES3_jN6thrust23THRUST_200600_302600_NS6detail15normal_iteratorINSA_10device_ptrIiEEEEPS6_SG_NS0_5tupleIJNSA_16discard_iteratorINSA_11use_defaultEEESF_EEENSH_IJSG_SG_EEES6_PlJ7is_evenIiEEEE10hipError_tPvRmT3_T4_T5_T6_T7_T9_mT8_P12ihipStream_tbDpT10_ENKUlT_T0_E_clISt17integral_constantIbLb0EES19_EEDaS14_S15_EUlS14_E_NS1_11comp_targetILNS1_3genE8ELNS1_11target_archE1030ELNS1_3gpuE2ELNS1_3repE0EEENS1_30default_config_static_selectorELNS0_4arch9wavefront6targetE1EEEvT1_
		.amdhsa_group_segment_fixed_size 0
		.amdhsa_private_segment_fixed_size 0
		.amdhsa_kernarg_size 128
		.amdhsa_user_sgpr_count 2
		.amdhsa_user_sgpr_dispatch_ptr 0
		.amdhsa_user_sgpr_queue_ptr 0
		.amdhsa_user_sgpr_kernarg_segment_ptr 1
		.amdhsa_user_sgpr_dispatch_id 0
		.amdhsa_user_sgpr_kernarg_preload_length 0
		.amdhsa_user_sgpr_kernarg_preload_offset 0
		.amdhsa_user_sgpr_private_segment_size 0
		.amdhsa_uses_dynamic_stack 0
		.amdhsa_enable_private_segment 0
		.amdhsa_system_sgpr_workgroup_id_x 1
		.amdhsa_system_sgpr_workgroup_id_y 0
		.amdhsa_system_sgpr_workgroup_id_z 0
		.amdhsa_system_sgpr_workgroup_info 0
		.amdhsa_system_vgpr_workitem_id 0
		.amdhsa_next_free_vgpr 1
		.amdhsa_next_free_sgpr 0
		.amdhsa_accum_offset 4
		.amdhsa_reserve_vcc 0
		.amdhsa_float_round_mode_32 0
		.amdhsa_float_round_mode_16_64 0
		.amdhsa_float_denorm_mode_32 3
		.amdhsa_float_denorm_mode_16_64 3
		.amdhsa_dx10_clamp 1
		.amdhsa_ieee_mode 1
		.amdhsa_fp16_overflow 0
		.amdhsa_tg_split 0
		.amdhsa_exception_fp_ieee_invalid_op 0
		.amdhsa_exception_fp_denorm_src 0
		.amdhsa_exception_fp_ieee_div_zero 0
		.amdhsa_exception_fp_ieee_overflow 0
		.amdhsa_exception_fp_ieee_underflow 0
		.amdhsa_exception_fp_ieee_inexact 0
		.amdhsa_exception_int_div_zero 0
	.end_amdhsa_kernel
	.section	.text._ZN7rocprim17ROCPRIM_400000_NS6detail17trampoline_kernelINS0_14default_configENS1_25partition_config_selectorILNS1_17partition_subalgoE0EiNS0_10empty_typeEbEEZZNS1_14partition_implILS5_0ELb0ES3_jN6thrust23THRUST_200600_302600_NS6detail15normal_iteratorINSA_10device_ptrIiEEEEPS6_SG_NS0_5tupleIJNSA_16discard_iteratorINSA_11use_defaultEEESF_EEENSH_IJSG_SG_EEES6_PlJ7is_evenIiEEEE10hipError_tPvRmT3_T4_T5_T6_T7_T9_mT8_P12ihipStream_tbDpT10_ENKUlT_T0_E_clISt17integral_constantIbLb0EES19_EEDaS14_S15_EUlS14_E_NS1_11comp_targetILNS1_3genE8ELNS1_11target_archE1030ELNS1_3gpuE2ELNS1_3repE0EEENS1_30default_config_static_selectorELNS0_4arch9wavefront6targetE1EEEvT1_,"axG",@progbits,_ZN7rocprim17ROCPRIM_400000_NS6detail17trampoline_kernelINS0_14default_configENS1_25partition_config_selectorILNS1_17partition_subalgoE0EiNS0_10empty_typeEbEEZZNS1_14partition_implILS5_0ELb0ES3_jN6thrust23THRUST_200600_302600_NS6detail15normal_iteratorINSA_10device_ptrIiEEEEPS6_SG_NS0_5tupleIJNSA_16discard_iteratorINSA_11use_defaultEEESF_EEENSH_IJSG_SG_EEES6_PlJ7is_evenIiEEEE10hipError_tPvRmT3_T4_T5_T6_T7_T9_mT8_P12ihipStream_tbDpT10_ENKUlT_T0_E_clISt17integral_constantIbLb0EES19_EEDaS14_S15_EUlS14_E_NS1_11comp_targetILNS1_3genE8ELNS1_11target_archE1030ELNS1_3gpuE2ELNS1_3repE0EEENS1_30default_config_static_selectorELNS0_4arch9wavefront6targetE1EEEvT1_,comdat
.Lfunc_end2754:
	.size	_ZN7rocprim17ROCPRIM_400000_NS6detail17trampoline_kernelINS0_14default_configENS1_25partition_config_selectorILNS1_17partition_subalgoE0EiNS0_10empty_typeEbEEZZNS1_14partition_implILS5_0ELb0ES3_jN6thrust23THRUST_200600_302600_NS6detail15normal_iteratorINSA_10device_ptrIiEEEEPS6_SG_NS0_5tupleIJNSA_16discard_iteratorINSA_11use_defaultEEESF_EEENSH_IJSG_SG_EEES6_PlJ7is_evenIiEEEE10hipError_tPvRmT3_T4_T5_T6_T7_T9_mT8_P12ihipStream_tbDpT10_ENKUlT_T0_E_clISt17integral_constantIbLb0EES19_EEDaS14_S15_EUlS14_E_NS1_11comp_targetILNS1_3genE8ELNS1_11target_archE1030ELNS1_3gpuE2ELNS1_3repE0EEENS1_30default_config_static_selectorELNS0_4arch9wavefront6targetE1EEEvT1_, .Lfunc_end2754-_ZN7rocprim17ROCPRIM_400000_NS6detail17trampoline_kernelINS0_14default_configENS1_25partition_config_selectorILNS1_17partition_subalgoE0EiNS0_10empty_typeEbEEZZNS1_14partition_implILS5_0ELb0ES3_jN6thrust23THRUST_200600_302600_NS6detail15normal_iteratorINSA_10device_ptrIiEEEEPS6_SG_NS0_5tupleIJNSA_16discard_iteratorINSA_11use_defaultEEESF_EEENSH_IJSG_SG_EEES6_PlJ7is_evenIiEEEE10hipError_tPvRmT3_T4_T5_T6_T7_T9_mT8_P12ihipStream_tbDpT10_ENKUlT_T0_E_clISt17integral_constantIbLb0EES19_EEDaS14_S15_EUlS14_E_NS1_11comp_targetILNS1_3genE8ELNS1_11target_archE1030ELNS1_3gpuE2ELNS1_3repE0EEENS1_30default_config_static_selectorELNS0_4arch9wavefront6targetE1EEEvT1_
                                        ; -- End function
	.section	.AMDGPU.csdata,"",@progbits
; Kernel info:
; codeLenInByte = 0
; NumSgprs: 6
; NumVgprs: 0
; NumAgprs: 0
; TotalNumVgprs: 0
; ScratchSize: 0
; MemoryBound: 0
; FloatMode: 240
; IeeeMode: 1
; LDSByteSize: 0 bytes/workgroup (compile time only)
; SGPRBlocks: 0
; VGPRBlocks: 0
; NumSGPRsForWavesPerEU: 6
; NumVGPRsForWavesPerEU: 1
; AccumOffset: 4
; Occupancy: 8
; WaveLimiterHint : 0
; COMPUTE_PGM_RSRC2:SCRATCH_EN: 0
; COMPUTE_PGM_RSRC2:USER_SGPR: 2
; COMPUTE_PGM_RSRC2:TRAP_HANDLER: 0
; COMPUTE_PGM_RSRC2:TGID_X_EN: 1
; COMPUTE_PGM_RSRC2:TGID_Y_EN: 0
; COMPUTE_PGM_RSRC2:TGID_Z_EN: 0
; COMPUTE_PGM_RSRC2:TIDIG_COMP_CNT: 0
; COMPUTE_PGM_RSRC3_GFX90A:ACCUM_OFFSET: 0
; COMPUTE_PGM_RSRC3_GFX90A:TG_SPLIT: 0
	.section	.text._ZN7rocprim17ROCPRIM_400000_NS6detail17trampoline_kernelINS0_14default_configENS1_25partition_config_selectorILNS1_17partition_subalgoE0EiNS0_10empty_typeEbEEZZNS1_14partition_implILS5_0ELb0ES3_jN6thrust23THRUST_200600_302600_NS6detail15normal_iteratorINSA_10device_ptrIiEEEEPS6_SG_NS0_5tupleIJNSA_16discard_iteratorINSA_11use_defaultEEESF_EEENSH_IJSG_SG_EEES6_PlJ7is_evenIiEEEE10hipError_tPvRmT3_T4_T5_T6_T7_T9_mT8_P12ihipStream_tbDpT10_ENKUlT_T0_E_clISt17integral_constantIbLb1EES19_EEDaS14_S15_EUlS14_E_NS1_11comp_targetILNS1_3genE0ELNS1_11target_archE4294967295ELNS1_3gpuE0ELNS1_3repE0EEENS1_30default_config_static_selectorELNS0_4arch9wavefront6targetE1EEEvT1_,"axG",@progbits,_ZN7rocprim17ROCPRIM_400000_NS6detail17trampoline_kernelINS0_14default_configENS1_25partition_config_selectorILNS1_17partition_subalgoE0EiNS0_10empty_typeEbEEZZNS1_14partition_implILS5_0ELb0ES3_jN6thrust23THRUST_200600_302600_NS6detail15normal_iteratorINSA_10device_ptrIiEEEEPS6_SG_NS0_5tupleIJNSA_16discard_iteratorINSA_11use_defaultEEESF_EEENSH_IJSG_SG_EEES6_PlJ7is_evenIiEEEE10hipError_tPvRmT3_T4_T5_T6_T7_T9_mT8_P12ihipStream_tbDpT10_ENKUlT_T0_E_clISt17integral_constantIbLb1EES19_EEDaS14_S15_EUlS14_E_NS1_11comp_targetILNS1_3genE0ELNS1_11target_archE4294967295ELNS1_3gpuE0ELNS1_3repE0EEENS1_30default_config_static_selectorELNS0_4arch9wavefront6targetE1EEEvT1_,comdat
	.protected	_ZN7rocprim17ROCPRIM_400000_NS6detail17trampoline_kernelINS0_14default_configENS1_25partition_config_selectorILNS1_17partition_subalgoE0EiNS0_10empty_typeEbEEZZNS1_14partition_implILS5_0ELb0ES3_jN6thrust23THRUST_200600_302600_NS6detail15normal_iteratorINSA_10device_ptrIiEEEEPS6_SG_NS0_5tupleIJNSA_16discard_iteratorINSA_11use_defaultEEESF_EEENSH_IJSG_SG_EEES6_PlJ7is_evenIiEEEE10hipError_tPvRmT3_T4_T5_T6_T7_T9_mT8_P12ihipStream_tbDpT10_ENKUlT_T0_E_clISt17integral_constantIbLb1EES19_EEDaS14_S15_EUlS14_E_NS1_11comp_targetILNS1_3genE0ELNS1_11target_archE4294967295ELNS1_3gpuE0ELNS1_3repE0EEENS1_30default_config_static_selectorELNS0_4arch9wavefront6targetE1EEEvT1_ ; -- Begin function _ZN7rocprim17ROCPRIM_400000_NS6detail17trampoline_kernelINS0_14default_configENS1_25partition_config_selectorILNS1_17partition_subalgoE0EiNS0_10empty_typeEbEEZZNS1_14partition_implILS5_0ELb0ES3_jN6thrust23THRUST_200600_302600_NS6detail15normal_iteratorINSA_10device_ptrIiEEEEPS6_SG_NS0_5tupleIJNSA_16discard_iteratorINSA_11use_defaultEEESF_EEENSH_IJSG_SG_EEES6_PlJ7is_evenIiEEEE10hipError_tPvRmT3_T4_T5_T6_T7_T9_mT8_P12ihipStream_tbDpT10_ENKUlT_T0_E_clISt17integral_constantIbLb1EES19_EEDaS14_S15_EUlS14_E_NS1_11comp_targetILNS1_3genE0ELNS1_11target_archE4294967295ELNS1_3gpuE0ELNS1_3repE0EEENS1_30default_config_static_selectorELNS0_4arch9wavefront6targetE1EEEvT1_
	.globl	_ZN7rocprim17ROCPRIM_400000_NS6detail17trampoline_kernelINS0_14default_configENS1_25partition_config_selectorILNS1_17partition_subalgoE0EiNS0_10empty_typeEbEEZZNS1_14partition_implILS5_0ELb0ES3_jN6thrust23THRUST_200600_302600_NS6detail15normal_iteratorINSA_10device_ptrIiEEEEPS6_SG_NS0_5tupleIJNSA_16discard_iteratorINSA_11use_defaultEEESF_EEENSH_IJSG_SG_EEES6_PlJ7is_evenIiEEEE10hipError_tPvRmT3_T4_T5_T6_T7_T9_mT8_P12ihipStream_tbDpT10_ENKUlT_T0_E_clISt17integral_constantIbLb1EES19_EEDaS14_S15_EUlS14_E_NS1_11comp_targetILNS1_3genE0ELNS1_11target_archE4294967295ELNS1_3gpuE0ELNS1_3repE0EEENS1_30default_config_static_selectorELNS0_4arch9wavefront6targetE1EEEvT1_
	.p2align	8
	.type	_ZN7rocprim17ROCPRIM_400000_NS6detail17trampoline_kernelINS0_14default_configENS1_25partition_config_selectorILNS1_17partition_subalgoE0EiNS0_10empty_typeEbEEZZNS1_14partition_implILS5_0ELb0ES3_jN6thrust23THRUST_200600_302600_NS6detail15normal_iteratorINSA_10device_ptrIiEEEEPS6_SG_NS0_5tupleIJNSA_16discard_iteratorINSA_11use_defaultEEESF_EEENSH_IJSG_SG_EEES6_PlJ7is_evenIiEEEE10hipError_tPvRmT3_T4_T5_T6_T7_T9_mT8_P12ihipStream_tbDpT10_ENKUlT_T0_E_clISt17integral_constantIbLb1EES19_EEDaS14_S15_EUlS14_E_NS1_11comp_targetILNS1_3genE0ELNS1_11target_archE4294967295ELNS1_3gpuE0ELNS1_3repE0EEENS1_30default_config_static_selectorELNS0_4arch9wavefront6targetE1EEEvT1_,@function
_ZN7rocprim17ROCPRIM_400000_NS6detail17trampoline_kernelINS0_14default_configENS1_25partition_config_selectorILNS1_17partition_subalgoE0EiNS0_10empty_typeEbEEZZNS1_14partition_implILS5_0ELb0ES3_jN6thrust23THRUST_200600_302600_NS6detail15normal_iteratorINSA_10device_ptrIiEEEEPS6_SG_NS0_5tupleIJNSA_16discard_iteratorINSA_11use_defaultEEESF_EEENSH_IJSG_SG_EEES6_PlJ7is_evenIiEEEE10hipError_tPvRmT3_T4_T5_T6_T7_T9_mT8_P12ihipStream_tbDpT10_ENKUlT_T0_E_clISt17integral_constantIbLb1EES19_EEDaS14_S15_EUlS14_E_NS1_11comp_targetILNS1_3genE0ELNS1_11target_archE4294967295ELNS1_3gpuE0ELNS1_3repE0EEENS1_30default_config_static_selectorELNS0_4arch9wavefront6targetE1EEEvT1_: ; @_ZN7rocprim17ROCPRIM_400000_NS6detail17trampoline_kernelINS0_14default_configENS1_25partition_config_selectorILNS1_17partition_subalgoE0EiNS0_10empty_typeEbEEZZNS1_14partition_implILS5_0ELb0ES3_jN6thrust23THRUST_200600_302600_NS6detail15normal_iteratorINSA_10device_ptrIiEEEEPS6_SG_NS0_5tupleIJNSA_16discard_iteratorINSA_11use_defaultEEESF_EEENSH_IJSG_SG_EEES6_PlJ7is_evenIiEEEE10hipError_tPvRmT3_T4_T5_T6_T7_T9_mT8_P12ihipStream_tbDpT10_ENKUlT_T0_E_clISt17integral_constantIbLb1EES19_EEDaS14_S15_EUlS14_E_NS1_11comp_targetILNS1_3genE0ELNS1_11target_archE4294967295ELNS1_3gpuE0ELNS1_3repE0EEENS1_30default_config_static_selectorELNS0_4arch9wavefront6targetE1EEEvT1_
; %bb.0:
	.section	.rodata,"a",@progbits
	.p2align	6, 0x0
	.amdhsa_kernel _ZN7rocprim17ROCPRIM_400000_NS6detail17trampoline_kernelINS0_14default_configENS1_25partition_config_selectorILNS1_17partition_subalgoE0EiNS0_10empty_typeEbEEZZNS1_14partition_implILS5_0ELb0ES3_jN6thrust23THRUST_200600_302600_NS6detail15normal_iteratorINSA_10device_ptrIiEEEEPS6_SG_NS0_5tupleIJNSA_16discard_iteratorINSA_11use_defaultEEESF_EEENSH_IJSG_SG_EEES6_PlJ7is_evenIiEEEE10hipError_tPvRmT3_T4_T5_T6_T7_T9_mT8_P12ihipStream_tbDpT10_ENKUlT_T0_E_clISt17integral_constantIbLb1EES19_EEDaS14_S15_EUlS14_E_NS1_11comp_targetILNS1_3genE0ELNS1_11target_archE4294967295ELNS1_3gpuE0ELNS1_3repE0EEENS1_30default_config_static_selectorELNS0_4arch9wavefront6targetE1EEEvT1_
		.amdhsa_group_segment_fixed_size 0
		.amdhsa_private_segment_fixed_size 0
		.amdhsa_kernarg_size 144
		.amdhsa_user_sgpr_count 2
		.amdhsa_user_sgpr_dispatch_ptr 0
		.amdhsa_user_sgpr_queue_ptr 0
		.amdhsa_user_sgpr_kernarg_segment_ptr 1
		.amdhsa_user_sgpr_dispatch_id 0
		.amdhsa_user_sgpr_kernarg_preload_length 0
		.amdhsa_user_sgpr_kernarg_preload_offset 0
		.amdhsa_user_sgpr_private_segment_size 0
		.amdhsa_uses_dynamic_stack 0
		.amdhsa_enable_private_segment 0
		.amdhsa_system_sgpr_workgroup_id_x 1
		.amdhsa_system_sgpr_workgroup_id_y 0
		.amdhsa_system_sgpr_workgroup_id_z 0
		.amdhsa_system_sgpr_workgroup_info 0
		.amdhsa_system_vgpr_workitem_id 0
		.amdhsa_next_free_vgpr 1
		.amdhsa_next_free_sgpr 0
		.amdhsa_accum_offset 4
		.amdhsa_reserve_vcc 0
		.amdhsa_float_round_mode_32 0
		.amdhsa_float_round_mode_16_64 0
		.amdhsa_float_denorm_mode_32 3
		.amdhsa_float_denorm_mode_16_64 3
		.amdhsa_dx10_clamp 1
		.amdhsa_ieee_mode 1
		.amdhsa_fp16_overflow 0
		.amdhsa_tg_split 0
		.amdhsa_exception_fp_ieee_invalid_op 0
		.amdhsa_exception_fp_denorm_src 0
		.amdhsa_exception_fp_ieee_div_zero 0
		.amdhsa_exception_fp_ieee_overflow 0
		.amdhsa_exception_fp_ieee_underflow 0
		.amdhsa_exception_fp_ieee_inexact 0
		.amdhsa_exception_int_div_zero 0
	.end_amdhsa_kernel
	.section	.text._ZN7rocprim17ROCPRIM_400000_NS6detail17trampoline_kernelINS0_14default_configENS1_25partition_config_selectorILNS1_17partition_subalgoE0EiNS0_10empty_typeEbEEZZNS1_14partition_implILS5_0ELb0ES3_jN6thrust23THRUST_200600_302600_NS6detail15normal_iteratorINSA_10device_ptrIiEEEEPS6_SG_NS0_5tupleIJNSA_16discard_iteratorINSA_11use_defaultEEESF_EEENSH_IJSG_SG_EEES6_PlJ7is_evenIiEEEE10hipError_tPvRmT3_T4_T5_T6_T7_T9_mT8_P12ihipStream_tbDpT10_ENKUlT_T0_E_clISt17integral_constantIbLb1EES19_EEDaS14_S15_EUlS14_E_NS1_11comp_targetILNS1_3genE0ELNS1_11target_archE4294967295ELNS1_3gpuE0ELNS1_3repE0EEENS1_30default_config_static_selectorELNS0_4arch9wavefront6targetE1EEEvT1_,"axG",@progbits,_ZN7rocprim17ROCPRIM_400000_NS6detail17trampoline_kernelINS0_14default_configENS1_25partition_config_selectorILNS1_17partition_subalgoE0EiNS0_10empty_typeEbEEZZNS1_14partition_implILS5_0ELb0ES3_jN6thrust23THRUST_200600_302600_NS6detail15normal_iteratorINSA_10device_ptrIiEEEEPS6_SG_NS0_5tupleIJNSA_16discard_iteratorINSA_11use_defaultEEESF_EEENSH_IJSG_SG_EEES6_PlJ7is_evenIiEEEE10hipError_tPvRmT3_T4_T5_T6_T7_T9_mT8_P12ihipStream_tbDpT10_ENKUlT_T0_E_clISt17integral_constantIbLb1EES19_EEDaS14_S15_EUlS14_E_NS1_11comp_targetILNS1_3genE0ELNS1_11target_archE4294967295ELNS1_3gpuE0ELNS1_3repE0EEENS1_30default_config_static_selectorELNS0_4arch9wavefront6targetE1EEEvT1_,comdat
.Lfunc_end2755:
	.size	_ZN7rocprim17ROCPRIM_400000_NS6detail17trampoline_kernelINS0_14default_configENS1_25partition_config_selectorILNS1_17partition_subalgoE0EiNS0_10empty_typeEbEEZZNS1_14partition_implILS5_0ELb0ES3_jN6thrust23THRUST_200600_302600_NS6detail15normal_iteratorINSA_10device_ptrIiEEEEPS6_SG_NS0_5tupleIJNSA_16discard_iteratorINSA_11use_defaultEEESF_EEENSH_IJSG_SG_EEES6_PlJ7is_evenIiEEEE10hipError_tPvRmT3_T4_T5_T6_T7_T9_mT8_P12ihipStream_tbDpT10_ENKUlT_T0_E_clISt17integral_constantIbLb1EES19_EEDaS14_S15_EUlS14_E_NS1_11comp_targetILNS1_3genE0ELNS1_11target_archE4294967295ELNS1_3gpuE0ELNS1_3repE0EEENS1_30default_config_static_selectorELNS0_4arch9wavefront6targetE1EEEvT1_, .Lfunc_end2755-_ZN7rocprim17ROCPRIM_400000_NS6detail17trampoline_kernelINS0_14default_configENS1_25partition_config_selectorILNS1_17partition_subalgoE0EiNS0_10empty_typeEbEEZZNS1_14partition_implILS5_0ELb0ES3_jN6thrust23THRUST_200600_302600_NS6detail15normal_iteratorINSA_10device_ptrIiEEEEPS6_SG_NS0_5tupleIJNSA_16discard_iteratorINSA_11use_defaultEEESF_EEENSH_IJSG_SG_EEES6_PlJ7is_evenIiEEEE10hipError_tPvRmT3_T4_T5_T6_T7_T9_mT8_P12ihipStream_tbDpT10_ENKUlT_T0_E_clISt17integral_constantIbLb1EES19_EEDaS14_S15_EUlS14_E_NS1_11comp_targetILNS1_3genE0ELNS1_11target_archE4294967295ELNS1_3gpuE0ELNS1_3repE0EEENS1_30default_config_static_selectorELNS0_4arch9wavefront6targetE1EEEvT1_
                                        ; -- End function
	.section	.AMDGPU.csdata,"",@progbits
; Kernel info:
; codeLenInByte = 0
; NumSgprs: 6
; NumVgprs: 0
; NumAgprs: 0
; TotalNumVgprs: 0
; ScratchSize: 0
; MemoryBound: 0
; FloatMode: 240
; IeeeMode: 1
; LDSByteSize: 0 bytes/workgroup (compile time only)
; SGPRBlocks: 0
; VGPRBlocks: 0
; NumSGPRsForWavesPerEU: 6
; NumVGPRsForWavesPerEU: 1
; AccumOffset: 4
; Occupancy: 8
; WaveLimiterHint : 0
; COMPUTE_PGM_RSRC2:SCRATCH_EN: 0
; COMPUTE_PGM_RSRC2:USER_SGPR: 2
; COMPUTE_PGM_RSRC2:TRAP_HANDLER: 0
; COMPUTE_PGM_RSRC2:TGID_X_EN: 1
; COMPUTE_PGM_RSRC2:TGID_Y_EN: 0
; COMPUTE_PGM_RSRC2:TGID_Z_EN: 0
; COMPUTE_PGM_RSRC2:TIDIG_COMP_CNT: 0
; COMPUTE_PGM_RSRC3_GFX90A:ACCUM_OFFSET: 0
; COMPUTE_PGM_RSRC3_GFX90A:TG_SPLIT: 0
	.section	.text._ZN7rocprim17ROCPRIM_400000_NS6detail17trampoline_kernelINS0_14default_configENS1_25partition_config_selectorILNS1_17partition_subalgoE0EiNS0_10empty_typeEbEEZZNS1_14partition_implILS5_0ELb0ES3_jN6thrust23THRUST_200600_302600_NS6detail15normal_iteratorINSA_10device_ptrIiEEEEPS6_SG_NS0_5tupleIJNSA_16discard_iteratorINSA_11use_defaultEEESF_EEENSH_IJSG_SG_EEES6_PlJ7is_evenIiEEEE10hipError_tPvRmT3_T4_T5_T6_T7_T9_mT8_P12ihipStream_tbDpT10_ENKUlT_T0_E_clISt17integral_constantIbLb1EES19_EEDaS14_S15_EUlS14_E_NS1_11comp_targetILNS1_3genE5ELNS1_11target_archE942ELNS1_3gpuE9ELNS1_3repE0EEENS1_30default_config_static_selectorELNS0_4arch9wavefront6targetE1EEEvT1_,"axG",@progbits,_ZN7rocprim17ROCPRIM_400000_NS6detail17trampoline_kernelINS0_14default_configENS1_25partition_config_selectorILNS1_17partition_subalgoE0EiNS0_10empty_typeEbEEZZNS1_14partition_implILS5_0ELb0ES3_jN6thrust23THRUST_200600_302600_NS6detail15normal_iteratorINSA_10device_ptrIiEEEEPS6_SG_NS0_5tupleIJNSA_16discard_iteratorINSA_11use_defaultEEESF_EEENSH_IJSG_SG_EEES6_PlJ7is_evenIiEEEE10hipError_tPvRmT3_T4_T5_T6_T7_T9_mT8_P12ihipStream_tbDpT10_ENKUlT_T0_E_clISt17integral_constantIbLb1EES19_EEDaS14_S15_EUlS14_E_NS1_11comp_targetILNS1_3genE5ELNS1_11target_archE942ELNS1_3gpuE9ELNS1_3repE0EEENS1_30default_config_static_selectorELNS0_4arch9wavefront6targetE1EEEvT1_,comdat
	.protected	_ZN7rocprim17ROCPRIM_400000_NS6detail17trampoline_kernelINS0_14default_configENS1_25partition_config_selectorILNS1_17partition_subalgoE0EiNS0_10empty_typeEbEEZZNS1_14partition_implILS5_0ELb0ES3_jN6thrust23THRUST_200600_302600_NS6detail15normal_iteratorINSA_10device_ptrIiEEEEPS6_SG_NS0_5tupleIJNSA_16discard_iteratorINSA_11use_defaultEEESF_EEENSH_IJSG_SG_EEES6_PlJ7is_evenIiEEEE10hipError_tPvRmT3_T4_T5_T6_T7_T9_mT8_P12ihipStream_tbDpT10_ENKUlT_T0_E_clISt17integral_constantIbLb1EES19_EEDaS14_S15_EUlS14_E_NS1_11comp_targetILNS1_3genE5ELNS1_11target_archE942ELNS1_3gpuE9ELNS1_3repE0EEENS1_30default_config_static_selectorELNS0_4arch9wavefront6targetE1EEEvT1_ ; -- Begin function _ZN7rocprim17ROCPRIM_400000_NS6detail17trampoline_kernelINS0_14default_configENS1_25partition_config_selectorILNS1_17partition_subalgoE0EiNS0_10empty_typeEbEEZZNS1_14partition_implILS5_0ELb0ES3_jN6thrust23THRUST_200600_302600_NS6detail15normal_iteratorINSA_10device_ptrIiEEEEPS6_SG_NS0_5tupleIJNSA_16discard_iteratorINSA_11use_defaultEEESF_EEENSH_IJSG_SG_EEES6_PlJ7is_evenIiEEEE10hipError_tPvRmT3_T4_T5_T6_T7_T9_mT8_P12ihipStream_tbDpT10_ENKUlT_T0_E_clISt17integral_constantIbLb1EES19_EEDaS14_S15_EUlS14_E_NS1_11comp_targetILNS1_3genE5ELNS1_11target_archE942ELNS1_3gpuE9ELNS1_3repE0EEENS1_30default_config_static_selectorELNS0_4arch9wavefront6targetE1EEEvT1_
	.globl	_ZN7rocprim17ROCPRIM_400000_NS6detail17trampoline_kernelINS0_14default_configENS1_25partition_config_selectorILNS1_17partition_subalgoE0EiNS0_10empty_typeEbEEZZNS1_14partition_implILS5_0ELb0ES3_jN6thrust23THRUST_200600_302600_NS6detail15normal_iteratorINSA_10device_ptrIiEEEEPS6_SG_NS0_5tupleIJNSA_16discard_iteratorINSA_11use_defaultEEESF_EEENSH_IJSG_SG_EEES6_PlJ7is_evenIiEEEE10hipError_tPvRmT3_T4_T5_T6_T7_T9_mT8_P12ihipStream_tbDpT10_ENKUlT_T0_E_clISt17integral_constantIbLb1EES19_EEDaS14_S15_EUlS14_E_NS1_11comp_targetILNS1_3genE5ELNS1_11target_archE942ELNS1_3gpuE9ELNS1_3repE0EEENS1_30default_config_static_selectorELNS0_4arch9wavefront6targetE1EEEvT1_
	.p2align	8
	.type	_ZN7rocprim17ROCPRIM_400000_NS6detail17trampoline_kernelINS0_14default_configENS1_25partition_config_selectorILNS1_17partition_subalgoE0EiNS0_10empty_typeEbEEZZNS1_14partition_implILS5_0ELb0ES3_jN6thrust23THRUST_200600_302600_NS6detail15normal_iteratorINSA_10device_ptrIiEEEEPS6_SG_NS0_5tupleIJNSA_16discard_iteratorINSA_11use_defaultEEESF_EEENSH_IJSG_SG_EEES6_PlJ7is_evenIiEEEE10hipError_tPvRmT3_T4_T5_T6_T7_T9_mT8_P12ihipStream_tbDpT10_ENKUlT_T0_E_clISt17integral_constantIbLb1EES19_EEDaS14_S15_EUlS14_E_NS1_11comp_targetILNS1_3genE5ELNS1_11target_archE942ELNS1_3gpuE9ELNS1_3repE0EEENS1_30default_config_static_selectorELNS0_4arch9wavefront6targetE1EEEvT1_,@function
_ZN7rocprim17ROCPRIM_400000_NS6detail17trampoline_kernelINS0_14default_configENS1_25partition_config_selectorILNS1_17partition_subalgoE0EiNS0_10empty_typeEbEEZZNS1_14partition_implILS5_0ELb0ES3_jN6thrust23THRUST_200600_302600_NS6detail15normal_iteratorINSA_10device_ptrIiEEEEPS6_SG_NS0_5tupleIJNSA_16discard_iteratorINSA_11use_defaultEEESF_EEENSH_IJSG_SG_EEES6_PlJ7is_evenIiEEEE10hipError_tPvRmT3_T4_T5_T6_T7_T9_mT8_P12ihipStream_tbDpT10_ENKUlT_T0_E_clISt17integral_constantIbLb1EES19_EEDaS14_S15_EUlS14_E_NS1_11comp_targetILNS1_3genE5ELNS1_11target_archE942ELNS1_3gpuE9ELNS1_3repE0EEENS1_30default_config_static_selectorELNS0_4arch9wavefront6targetE1EEEvT1_: ; @_ZN7rocprim17ROCPRIM_400000_NS6detail17trampoline_kernelINS0_14default_configENS1_25partition_config_selectorILNS1_17partition_subalgoE0EiNS0_10empty_typeEbEEZZNS1_14partition_implILS5_0ELb0ES3_jN6thrust23THRUST_200600_302600_NS6detail15normal_iteratorINSA_10device_ptrIiEEEEPS6_SG_NS0_5tupleIJNSA_16discard_iteratorINSA_11use_defaultEEESF_EEENSH_IJSG_SG_EEES6_PlJ7is_evenIiEEEE10hipError_tPvRmT3_T4_T5_T6_T7_T9_mT8_P12ihipStream_tbDpT10_ENKUlT_T0_E_clISt17integral_constantIbLb1EES19_EEDaS14_S15_EUlS14_E_NS1_11comp_targetILNS1_3genE5ELNS1_11target_archE942ELNS1_3gpuE9ELNS1_3repE0EEENS1_30default_config_static_selectorELNS0_4arch9wavefront6targetE1EEEvT1_
; %bb.0:
	s_load_dwordx2 s[2:3], s[0:1], 0x60
	s_load_dwordx4 s[24:27], s[0:1], 0x50
	s_load_dwordx2 s[36:37], s[0:1], 0x70
	v_cmp_eq_u32_e64 s[20:21], 0, v0
	s_and_saveexec_b64 s[4:5], s[20:21]
	s_cbranch_execz .LBB2756_4
; %bb.1:
	s_mov_b64 s[8:9], exec
	v_mbcnt_lo_u32_b32 v1, s8, 0
	v_mbcnt_hi_u32_b32 v1, s9, v1
	v_cmp_eq_u32_e32 vcc, 0, v1
                                        ; implicit-def: $vgpr2
	s_and_saveexec_b64 s[6:7], vcc
	s_cbranch_execz .LBB2756_3
; %bb.2:
	s_load_dwordx2 s[10:11], s[0:1], 0x80
	s_bcnt1_i32_b64 s8, s[8:9]
	v_mov_b32_e32 v2, 0
	v_mov_b32_e32 v3, s8
	s_waitcnt lgkmcnt(0)
	global_atomic_add v2, v2, v3, s[10:11] sc0
.LBB2756_3:
	s_or_b64 exec, exec, s[6:7]
	s_waitcnt vmcnt(0)
	v_readfirstlane_b32 s6, v2
	v_mov_b32_e32 v2, 0
	s_nop 0
	v_add_u32_e32 v1, s6, v1
	ds_write_b32 v2, v1
.LBB2756_4:
	s_or_b64 exec, exec, s[4:5]
	v_mov_b32_e32 v19, 0
	s_load_dwordx4 s[28:31], s[0:1], 0x8
	s_load_dwordx2 s[34:35], s[0:1], 0x38
	s_load_dword s4, s[0:1], 0x78
	s_waitcnt lgkmcnt(0)
	s_barrier
	ds_read_b32 v1, v19
	s_waitcnt lgkmcnt(0)
	s_barrier
	global_load_dwordx2 v[20:21], v19, s[26:27]
	v_mov_b32_e32 v3, s3
	s_lshl_b64 s[0:1], s[30:31], 2
	s_movk_i32 s3, 0x1e00
	s_add_u32 s0, s28, s0
	v_mul_lo_u32 v18, v1, s3
	s_mul_i32 s3, s4, 0x1e00
	s_addc_u32 s1, s29, s1
	s_add_i32 s5, s4, -1
	s_add_i32 s4, s3, s30
	s_sub_i32 s33, s2, s4
	s_addk_i32 s33, 0x1e00
	v_mov_b32_e32 v2, s2
	s_add_u32 s2, s30, s3
	v_readfirstlane_b32 s38, v1
	s_addc_u32 s3, s31, 0
	s_cmp_eq_u32 s38, s5
	s_cselect_b64 s[22:23], -1, 0
	s_cmp_lg_u32 s38, s5
	v_cmp_lt_u64_e32 vcc, s[2:3], v[2:3]
	s_cselect_b64 s[2:3], -1, 0
	s_or_b64 s[4:5], vcc, s[2:3]
	v_lshlrev_b64 v[22:23], 2, v[18:19]
	v_lshl_add_u64 v[24:25], s[0:1], 0, v[22:23]
	s_mov_b64 s[0:1], -1
	s_and_b64 vcc, exec, s[4:5]
	v_lshlrev_b32_e32 v18, 2, v0
	s_cbranch_vccz .LBB2756_6
; %bb.5:
	v_lshl_add_u64 v[2:3], v[24:25], 0, v[18:19]
	v_add_co_u32_e32 v4, vcc, 0x1000, v2
	s_mov_b64 s[0:1], 0
	s_nop 0
	v_addc_co_u32_e32 v5, vcc, 0, v3, vcc
	v_add_co_u32_e32 v6, vcc, 0x2000, v2
	s_nop 1
	v_addc_co_u32_e32 v7, vcc, 0, v3, vcc
	v_add_co_u32_e32 v8, vcc, 0x3000, v2
	s_nop 1
	v_addc_co_u32_e32 v9, vcc, 0, v3, vcc
	flat_load_dword v1, v[2:3]
	flat_load_dword v10, v[2:3] offset:2048
	flat_load_dword v11, v[4:5]
	flat_load_dword v12, v[4:5] offset:2048
	;; [unrolled: 2-line block ×4, first 2 shown]
	v_add_co_u32_e32 v4, vcc, 0x4000, v2
	s_nop 1
	v_addc_co_u32_e32 v5, vcc, 0, v3, vcc
	v_add_co_u32_e32 v6, vcc, 0x5000, v2
	s_nop 1
	v_addc_co_u32_e32 v7, vcc, 0, v3, vcc
	;; [unrolled: 3-line block ×4, first 2 shown]
	flat_load_dword v17, v[4:5]
	flat_load_dword v19, v[4:5] offset:2048
	flat_load_dword v26, v[6:7]
	flat_load_dword v27, v[6:7] offset:2048
	;; [unrolled: 2-line block ×3, first 2 shown]
	flat_load_dword v30, v[2:3]
	s_waitcnt vmcnt(0) lgkmcnt(0)
	ds_write2st64_b32 v18, v1, v10 offset1:8
	ds_write2st64_b32 v18, v11, v12 offset0:16 offset1:24
	ds_write2st64_b32 v18, v13, v14 offset0:32 offset1:40
	;; [unrolled: 1-line block ×6, first 2 shown]
	ds_write_b32 v18, v30 offset:28672
	s_waitcnt lgkmcnt(0)
	s_barrier
.LBB2756_6:
	s_andn2_b64 vcc, exec, s[0:1]
	v_cmp_gt_u32_e64 s[0:1], s33, v0
	s_cbranch_vccnz .LBB2756_38
; %bb.7:
                                        ; implicit-def: $vgpr2_vgpr3_vgpr4_vgpr5_vgpr6_vgpr7_vgpr8_vgpr9_vgpr10_vgpr11_vgpr12_vgpr13_vgpr14_vgpr15_vgpr16_vgpr17
	s_and_saveexec_b64 s[2:3], s[0:1]
	s_cbranch_execz .LBB2756_9
; %bb.8:
	v_mov_b32_e32 v19, 0
	v_lshl_add_u64 v[2:3], v[24:25], 0, v[18:19]
	flat_load_dword v2, v[2:3]
.LBB2756_9:
	s_or_b64 exec, exec, s[2:3]
	v_or_b32_e32 v1, 0x200, v0
	v_cmp_gt_u32_e32 vcc, s33, v1
	s_and_saveexec_b64 s[0:1], vcc
	s_cbranch_execz .LBB2756_11
; %bb.10:
	v_mov_b32_e32 v19, 0
	v_lshl_add_u64 v[26:27], v[24:25], 0, v[18:19]
	flat_load_dword v3, v[26:27] offset:2048
.LBB2756_11:
	s_or_b64 exec, exec, s[0:1]
	v_or_b32_e32 v1, 0x400, v0
	v_cmp_gt_u32_e32 vcc, s33, v1
	s_and_saveexec_b64 s[0:1], vcc
	s_cbranch_execz .LBB2756_13
; %bb.12:
	v_lshlrev_b32_e32 v26, 2, v1
	v_mov_b32_e32 v27, 0
	v_lshl_add_u64 v[26:27], v[24:25], 0, v[26:27]
	flat_load_dword v4, v[26:27]
.LBB2756_13:
	s_or_b64 exec, exec, s[0:1]
	v_or_b32_e32 v1, 0x600, v0
	v_cmp_gt_u32_e32 vcc, s33, v1
	s_and_saveexec_b64 s[0:1], vcc
	s_cbranch_execz .LBB2756_15
; %bb.14:
	v_lshlrev_b32_e32 v26, 2, v1
	v_mov_b32_e32 v27, 0
	v_lshl_add_u64 v[26:27], v[24:25], 0, v[26:27]
	flat_load_dword v5, v[26:27]
.LBB2756_15:
	s_or_b64 exec, exec, s[0:1]
	v_or_b32_e32 v1, 0x800, v0
	v_cmp_gt_u32_e32 vcc, s33, v1
	s_and_saveexec_b64 s[0:1], vcc
	s_cbranch_execz .LBB2756_17
; %bb.16:
	v_lshlrev_b32_e32 v26, 2, v1
	v_mov_b32_e32 v27, 0
	v_lshl_add_u64 v[26:27], v[24:25], 0, v[26:27]
	flat_load_dword v6, v[26:27]
.LBB2756_17:
	s_or_b64 exec, exec, s[0:1]
	v_or_b32_e32 v1, 0xa00, v0
	v_cmp_gt_u32_e32 vcc, s33, v1
	s_and_saveexec_b64 s[0:1], vcc
	s_cbranch_execz .LBB2756_19
; %bb.18:
	v_lshlrev_b32_e32 v26, 2, v1
	v_mov_b32_e32 v27, 0
	v_lshl_add_u64 v[26:27], v[24:25], 0, v[26:27]
	flat_load_dword v7, v[26:27]
.LBB2756_19:
	s_or_b64 exec, exec, s[0:1]
	v_or_b32_e32 v1, 0xc00, v0
	v_cmp_gt_u32_e32 vcc, s33, v1
	s_and_saveexec_b64 s[0:1], vcc
	s_cbranch_execz .LBB2756_21
; %bb.20:
	v_lshlrev_b32_e32 v26, 2, v1
	v_mov_b32_e32 v27, 0
	v_lshl_add_u64 v[26:27], v[24:25], 0, v[26:27]
	flat_load_dword v8, v[26:27]
.LBB2756_21:
	s_or_b64 exec, exec, s[0:1]
	v_or_b32_e32 v1, 0xe00, v0
	v_cmp_gt_u32_e32 vcc, s33, v1
	s_and_saveexec_b64 s[0:1], vcc
	s_cbranch_execz .LBB2756_23
; %bb.22:
	v_lshlrev_b32_e32 v26, 2, v1
	v_mov_b32_e32 v27, 0
	v_lshl_add_u64 v[26:27], v[24:25], 0, v[26:27]
	flat_load_dword v9, v[26:27]
.LBB2756_23:
	s_or_b64 exec, exec, s[0:1]
	v_or_b32_e32 v1, 0x1000, v0
	v_cmp_gt_u32_e32 vcc, s33, v1
	s_and_saveexec_b64 s[0:1], vcc
	s_cbranch_execz .LBB2756_25
; %bb.24:
	v_lshlrev_b32_e32 v26, 2, v1
	v_mov_b32_e32 v27, 0
	v_lshl_add_u64 v[26:27], v[24:25], 0, v[26:27]
	flat_load_dword v10, v[26:27]
.LBB2756_25:
	s_or_b64 exec, exec, s[0:1]
	v_or_b32_e32 v1, 0x1200, v0
	v_cmp_gt_u32_e32 vcc, s33, v1
	s_and_saveexec_b64 s[0:1], vcc
	s_cbranch_execz .LBB2756_27
; %bb.26:
	v_lshlrev_b32_e32 v26, 2, v1
	v_mov_b32_e32 v27, 0
	v_lshl_add_u64 v[26:27], v[24:25], 0, v[26:27]
	flat_load_dword v11, v[26:27]
.LBB2756_27:
	s_or_b64 exec, exec, s[0:1]
	v_or_b32_e32 v1, 0x1400, v0
	v_cmp_gt_u32_e32 vcc, s33, v1
	s_and_saveexec_b64 s[0:1], vcc
	s_cbranch_execz .LBB2756_29
; %bb.28:
	v_lshlrev_b32_e32 v26, 2, v1
	v_mov_b32_e32 v27, 0
	v_lshl_add_u64 v[26:27], v[24:25], 0, v[26:27]
	flat_load_dword v12, v[26:27]
.LBB2756_29:
	s_or_b64 exec, exec, s[0:1]
	v_or_b32_e32 v1, 0x1600, v0
	v_cmp_gt_u32_e32 vcc, s33, v1
	s_and_saveexec_b64 s[0:1], vcc
	s_cbranch_execz .LBB2756_31
; %bb.30:
	v_lshlrev_b32_e32 v26, 2, v1
	v_mov_b32_e32 v27, 0
	v_lshl_add_u64 v[26:27], v[24:25], 0, v[26:27]
	flat_load_dword v13, v[26:27]
.LBB2756_31:
	s_or_b64 exec, exec, s[0:1]
	v_or_b32_e32 v1, 0x1800, v0
	v_cmp_gt_u32_e32 vcc, s33, v1
	s_and_saveexec_b64 s[0:1], vcc
	s_cbranch_execz .LBB2756_33
; %bb.32:
	v_lshlrev_b32_e32 v26, 2, v1
	v_mov_b32_e32 v27, 0
	v_lshl_add_u64 v[26:27], v[24:25], 0, v[26:27]
	flat_load_dword v14, v[26:27]
.LBB2756_33:
	s_or_b64 exec, exec, s[0:1]
	v_or_b32_e32 v1, 0x1a00, v0
	v_cmp_gt_u32_e32 vcc, s33, v1
	s_and_saveexec_b64 s[0:1], vcc
	s_cbranch_execz .LBB2756_35
; %bb.34:
	v_lshlrev_b32_e32 v26, 2, v1
	v_mov_b32_e32 v27, 0
	v_lshl_add_u64 v[26:27], v[24:25], 0, v[26:27]
	flat_load_dword v15, v[26:27]
.LBB2756_35:
	s_or_b64 exec, exec, s[0:1]
	v_or_b32_e32 v1, 0x1c00, v0
	v_cmp_gt_u32_e32 vcc, s33, v1
	s_and_saveexec_b64 s[0:1], vcc
	s_cbranch_execz .LBB2756_37
; %bb.36:
	v_lshlrev_b32_e32 v16, 2, v1
	v_mov_b32_e32 v17, 0
	v_lshl_add_u64 v[16:17], v[24:25], 0, v[16:17]
	flat_load_dword v16, v[16:17]
.LBB2756_37:
	s_or_b64 exec, exec, s[0:1]
	s_waitcnt vmcnt(0) lgkmcnt(0)
	ds_write2st64_b32 v18, v2, v3 offset1:8
	ds_write2st64_b32 v18, v4, v5 offset0:16 offset1:24
	ds_write2st64_b32 v18, v6, v7 offset0:32 offset1:40
	;; [unrolled: 1-line block ×6, first 2 shown]
	ds_write_b32 v18, v16 offset:28672
	s_waitcnt lgkmcnt(0)
	s_barrier
.LBB2756_38:
	v_mul_u32_u24_e32 v42, 15, v0
	v_lshlrev_b32_e32 v1, 2, v42
	ds_read2_b32 v[36:37], v1 offset1:1
	ds_read2_b32 v[34:35], v1 offset0:2 offset1:3
	ds_read2_b32 v[32:33], v1 offset0:4 offset1:5
	ds_read2_b32 v[30:31], v1 offset0:6 offset1:7
	ds_read2_b32 v[28:29], v1 offset0:8 offset1:9
	ds_read2_b32 v[26:27], v1 offset0:10 offset1:11
	ds_read2_b32 v[24:25], v1 offset0:12 offset1:13
	ds_read_b32 v1, v1 offset:56
	v_cndmask_b32_e64 v2, 0, 1, s[4:5]
	v_cmp_ne_u32_e64 s[2:3], 1, v2
	s_andn2_b64 vcc, exec, s[4:5]
	s_waitcnt lgkmcnt(7)
	v_xor_b32_e32 v16, -1, v36
	v_xor_b32_e32 v15, -1, v37
	s_waitcnt lgkmcnt(6)
	v_xor_b32_e32 v14, -1, v34
	v_xor_b32_e32 v13, -1, v35
	;; [unrolled: 3-line block ×7, first 2 shown]
	s_waitcnt lgkmcnt(0)
	v_xor_b32_e32 v2, -1, v1
	s_barrier
	s_cbranch_vccnz .LBB2756_40
; %bb.39:
	v_and_b32_e32 v55, 1, v16
	v_and_b32_e32 v54, 1, v15
	;; [unrolled: 1-line block ×15, first 2 shown]
	s_cbranch_execz .LBB2756_41
	s_branch .LBB2756_42
.LBB2756_40:
                                        ; implicit-def: $vgpr19
                                        ; implicit-def: $vgpr41
                                        ; implicit-def: $vgpr43
                                        ; implicit-def: $vgpr44
                                        ; implicit-def: $vgpr45
                                        ; implicit-def: $vgpr46
                                        ; implicit-def: $vgpr47
                                        ; implicit-def: $vgpr48
                                        ; implicit-def: $vgpr49
                                        ; implicit-def: $vgpr55
                                        ; implicit-def: $vgpr54
                                        ; implicit-def: $vgpr53
                                        ; implicit-def: $vgpr52
                                        ; implicit-def: $vgpr51
                                        ; implicit-def: $vgpr50
.LBB2756_41:
	v_add_u32_e32 v48, 1, v42
	v_cmp_gt_u32_e32 vcc, s33, v42
	v_add_u32_e32 v17, 2, v42
	v_add_u32_e32 v47, 3, v42
	v_cndmask_b32_e64 v49, 0, 1, vcc
	v_cmp_gt_u32_e32 vcc, s33, v48
	v_and_b32_e32 v55, v49, v16
	v_add_u32_e32 v19, 4, v42
	v_cndmask_b32_e64 v16, 0, 1, vcc
	v_cmp_gt_u32_e32 vcc, s33, v17
	v_and_b32_e32 v54, v16, v15
	;; [unrolled: 4-line block ×12, first 2 shown]
	s_nop 0
	v_cndmask_b32_e64 v5, 0, 1, vcc
	v_cmp_gt_u32_e32 vcc, s33, v57
	v_and_b32_e32 v43, v5, v4
	s_nop 0
	v_cndmask_b32_e64 v4, 0, 1, vcc
	v_cmp_gt_u32_e32 vcc, s33, v56
	v_and_b32_e32 v41, v4, v3
	s_nop 0
	v_cndmask_b32_e64 v3, 0, 1, vcc
	v_and_b32_e32 v19, v3, v2
.LBB2756_42:
	v_and_b32_e32 v59, 0xff, v52
	v_and_b32_e32 v60, 0xff, v51
	;; [unrolled: 1-line block ×5, first 2 shown]
	v_add3_u32 v3, v60, v61, v59
	v_and_b32_e32 v56, 0xff, v55
	v_and_b32_e32 v62, 0xff, v49
	v_add3_u32 v3, v3, v58, v57
	v_and_b32_e32 v63, 0xff, v48
	v_and_b32_e32 v64, 0xff, v47
	;; [unrolled: 3-line block ×5, first 2 shown]
	v_add3_u32 v3, v3, v67, v68
	v_add3_u32 v72, v3, v69, v2
	v_mbcnt_lo_u32_b32 v2, -1, 0
	v_mbcnt_hi_u32_b32 v70, -1, v2
	v_and_b32_e32 v2, 15, v70
	v_cmp_eq_u32_e64 s[16:17], 0, v2
	v_cmp_lt_u32_e64 s[14:15], 1, v2
	v_cmp_lt_u32_e64 s[12:13], 3, v2
	;; [unrolled: 1-line block ×3, first 2 shown]
	v_and_b32_e32 v2, 16, v70
	v_cmp_eq_u32_e64 s[8:9], 0, v2
	v_or_b32_e32 v2, 63, v0
	s_cmp_lg_u32 s38, 0
	v_cmp_lt_u32_e64 s[4:5], 31, v70
	v_lshrrev_b32_e32 v71, 6, v0
	v_cmp_eq_u32_e64 s[6:7], v2, v0
	s_cbranch_scc0 .LBB2756_73
; %bb.43:
	v_mov_b32_dpp v2, v72 row_shr:1 row_mask:0xf bank_mask:0xf
	v_cndmask_b32_e64 v2, v2, 0, s[16:17]
	v_add_u32_e32 v2, v2, v72
	s_nop 1
	v_mov_b32_dpp v3, v2 row_shr:2 row_mask:0xf bank_mask:0xf
	v_cndmask_b32_e64 v3, 0, v3, s[14:15]
	v_add_u32_e32 v2, v2, v3
	s_nop 1
	;; [unrolled: 4-line block ×4, first 2 shown]
	v_mov_b32_dpp v3, v2 row_bcast:15 row_mask:0xf bank_mask:0xf
	v_cndmask_b32_e64 v3, v3, 0, s[8:9]
	v_add_u32_e32 v2, v2, v3
	s_nop 1
	v_mov_b32_dpp v3, v2 row_bcast:31 row_mask:0xf bank_mask:0xf
	v_cndmask_b32_e64 v3, 0, v3, s[4:5]
	v_add_u32_e32 v2, v2, v3
	s_and_saveexec_b64 s[0:1], s[6:7]
	s_cbranch_execz .LBB2756_45
; %bb.44:
	v_lshlrev_b32_e32 v3, 2, v71
	ds_write_b32 v3, v2
.LBB2756_45:
	s_or_b64 exec, exec, s[0:1]
	v_cmp_gt_u32_e32 vcc, 8, v0
	s_waitcnt lgkmcnt(0)
	s_barrier
	s_and_saveexec_b64 s[0:1], vcc
	s_cbranch_execz .LBB2756_47
; %bb.46:
	ds_read_b32 v3, v18
	v_and_b32_e32 v4, 7, v70
	v_cmp_ne_u32_e32 vcc, 0, v4
	s_waitcnt lgkmcnt(0)
	v_mov_b32_dpp v5, v3 row_shr:1 row_mask:0xf bank_mask:0xf
	v_cndmask_b32_e32 v5, 0, v5, vcc
	v_add_u32_e32 v3, v5, v3
	v_cmp_lt_u32_e32 vcc, 1, v4
	s_nop 0
	v_mov_b32_dpp v5, v3 row_shr:2 row_mask:0xf bank_mask:0xf
	v_cndmask_b32_e32 v5, 0, v5, vcc
	v_add_u32_e32 v3, v3, v5
	v_cmp_lt_u32_e32 vcc, 3, v4
	s_nop 0
	v_mov_b32_dpp v5, v3 row_shr:4 row_mask:0xf bank_mask:0xf
	v_cndmask_b32_e32 v4, 0, v5, vcc
	v_add_u32_e32 v3, v3, v4
	ds_write_b32 v18, v3
.LBB2756_47:
	s_or_b64 exec, exec, s[0:1]
	v_cmp_gt_u32_e32 vcc, 64, v0
	v_cmp_lt_u32_e64 s[0:1], 63, v0
	s_waitcnt lgkmcnt(0)
	s_barrier
	s_waitcnt lgkmcnt(0)
                                        ; implicit-def: $vgpr12
	s_and_saveexec_b64 s[18:19], s[0:1]
	s_cbranch_execz .LBB2756_49
; %bb.48:
	v_lshl_add_u32 v3, v71, 2, -4
	ds_read_b32 v12, v3
	s_waitcnt lgkmcnt(0)
	v_add_u32_e32 v2, v12, v2
.LBB2756_49:
	s_or_b64 exec, exec, s[18:19]
	v_add_u32_e32 v3, -1, v70
	v_and_b32_e32 v4, 64, v70
	v_cmp_lt_i32_e64 s[0:1], v3, v4
	v_cmp_eq_u32_e64 s[18:19], 0, v70
	s_nop 0
	v_cndmask_b32_e64 v3, v3, v70, s[0:1]
	v_lshlrev_b32_e32 v3, 2, v3
	ds_bpermute_b32 v13, v3, v2
	s_and_saveexec_b64 s[0:1], vcc
	s_cbranch_execz .LBB2756_72
; %bb.50:
	v_mov_b32_e32 v11, 0
	ds_read_b32 v2, v11 offset:28
	s_and_saveexec_b64 s[26:27], s[18:19]
	s_cbranch_execz .LBB2756_52
; %bb.51:
	s_add_i32 s28, s38, 64
	s_mov_b32 s29, 0
	s_lshl_b64 s[28:29], s[28:29], 3
	s_add_u32 s28, s36, s28
	v_mov_b32_e32 v3, 1
	s_addc_u32 s29, s37, s29
	s_waitcnt lgkmcnt(0)
	global_store_dwordx2 v11, v[2:3], s[28:29] sc1
.LBB2756_52:
	s_or_b64 exec, exec, s[26:27]
	v_xad_u32 v4, v70, -1, s38
	v_add_u32_e32 v10, 64, v4
	v_lshl_add_u64 v[6:7], v[10:11], 3, s[36:37]
	global_load_dwordx2 v[8:9], v[6:7], off sc1
	s_waitcnt vmcnt(0)
	v_cmp_eq_u16_sdwa s[28:29], v9, v11 src0_sel:BYTE_0 src1_sel:DWORD
	s_and_saveexec_b64 s[26:27], s[28:29]
	s_cbranch_execz .LBB2756_58
; %bb.53:
	s_mov_b32 s39, 1
	s_mov_b64 s[28:29], 0
	v_mov_b32_e32 v3, 0
.LBB2756_54:                            ; =>This Loop Header: Depth=1
                                        ;     Child Loop BB2756_55 Depth 2
	s_max_u32 s40, s39, 1
.LBB2756_55:                            ;   Parent Loop BB2756_54 Depth=1
                                        ; =>  This Inner Loop Header: Depth=2
	s_add_i32 s40, s40, -1
	s_cmp_eq_u32 s40, 0
	s_sleep 1
	s_cbranch_scc0 .LBB2756_55
; %bb.56:                               ;   in Loop: Header=BB2756_54 Depth=1
	global_load_dwordx2 v[8:9], v[6:7], off sc1
	s_cmp_lt_u32 s39, 32
	s_cselect_b64 s[40:41], -1, 0
	s_cmp_lg_u64 s[40:41], 0
	s_addc_u32 s39, s39, 0
	s_waitcnt vmcnt(0)
	v_cmp_ne_u16_sdwa s[40:41], v9, v3 src0_sel:BYTE_0 src1_sel:DWORD
	s_or_b64 s[28:29], s[40:41], s[28:29]
	s_andn2_b64 exec, exec, s[28:29]
	s_cbranch_execnz .LBB2756_54
; %bb.57:
	s_or_b64 exec, exec, s[28:29]
.LBB2756_58:
	s_or_b64 exec, exec, s[26:27]
	v_and_b32_e32 v15, 63, v70
	v_mov_b32_e32 v14, 2
	v_cmp_ne_u32_e32 vcc, 63, v15
	v_cmp_eq_u16_sdwa s[26:27], v9, v14 src0_sel:BYTE_0 src1_sel:DWORD
	v_lshlrev_b64 v[6:7], v70, -1
	v_addc_co_u32_e32 v10, vcc, 0, v70, vcc
	v_and_b32_e32 v3, s27, v7
	v_lshlrev_b32_e32 v16, 2, v10
	v_or_b32_e32 v3, 0x80000000, v3
	ds_bpermute_b32 v10, v16, v8
	v_and_b32_e32 v5, s26, v6
	v_ffbl_b32_e32 v3, v3
	v_add_u32_e32 v3, 32, v3
	v_ffbl_b32_e32 v5, v5
	v_min_u32_e32 v3, v5, v3
	v_cmp_lt_u32_e32 vcc, v15, v3
	v_add_u32_e32 v38, 2, v15
	v_add_u32_e32 v40, 4, v15
	s_waitcnt lgkmcnt(0)
	v_cndmask_b32_e32 v5, 0, v10, vcc
	v_cmp_gt_u32_e32 vcc, 62, v15
	v_add_u32_e32 v5, v5, v8
	v_add_u32_e32 v74, 8, v15
	v_cndmask_b32_e64 v8, 0, 1, vcc
	v_lshlrev_b32_e32 v8, 1, v8
	v_add_lshl_u32 v17, v8, v70, 2
	ds_bpermute_b32 v8, v17, v5
	v_cmp_le_u32_e32 vcc, v38, v3
	v_add_u32_e32 v76, 16, v15
	v_add_u32_e32 v78, 32, v15
	s_waitcnt lgkmcnt(0)
	v_cndmask_b32_e32 v8, 0, v8, vcc
	v_cmp_gt_u32_e32 vcc, 60, v15
	v_add_u32_e32 v5, v5, v8
	s_nop 0
	v_cndmask_b32_e64 v8, 0, 1, vcc
	v_lshlrev_b32_e32 v8, 2, v8
	v_add_lshl_u32 v39, v8, v70, 2
	ds_bpermute_b32 v8, v39, v5
	v_cmp_le_u32_e32 vcc, v40, v3
	s_waitcnt lgkmcnt(0)
	s_nop 0
	v_cndmask_b32_e32 v8, 0, v8, vcc
	v_cmp_gt_u32_e32 vcc, 56, v15
	v_add_u32_e32 v5, v5, v8
	s_nop 0
	v_cndmask_b32_e64 v8, 0, 1, vcc
	v_lshlrev_b32_e32 v8, 3, v8
	v_add_lshl_u32 v73, v8, v70, 2
	ds_bpermute_b32 v8, v73, v5
	v_cmp_le_u32_e32 vcc, v74, v3
	s_waitcnt lgkmcnt(0)
	s_nop 0
	;; [unrolled: 11-line block ×4, first 2 shown]
	v_cndmask_b32_e32 v3, 0, v8, vcc
	v_add_u32_e32 v8, v5, v3
	v_mov_b32_e32 v5, 0
	s_branch .LBB2756_60
.LBB2756_59:                            ;   in Loop: Header=BB2756_60 Depth=1
	s_or_b64 exec, exec, s[26:27]
	v_cmp_eq_u16_sdwa s[26:27], v9, v14 src0_sel:BYTE_0 src1_sel:DWORD
	ds_bpermute_b32 v79, v16, v8
	v_subrev_u32_e32 v4, 64, v4
	v_and_b32_e32 v10, s27, v7
	v_or_b32_e32 v10, 0x80000000, v10
	v_and_b32_e32 v11, s26, v6
	v_ffbl_b32_e32 v10, v10
	v_add_u32_e32 v10, 32, v10
	v_ffbl_b32_e32 v11, v11
	v_min_u32_e32 v10, v11, v10
	v_cmp_lt_u32_e32 vcc, v15, v10
	s_waitcnt lgkmcnt(0)
	s_nop 0
	v_cndmask_b32_e32 v11, 0, v79, vcc
	v_add_u32_e32 v8, v11, v8
	ds_bpermute_b32 v11, v17, v8
	v_cmp_le_u32_e32 vcc, v38, v10
	s_waitcnt lgkmcnt(0)
	s_nop 0
	v_cndmask_b32_e32 v11, 0, v11, vcc
	v_add_u32_e32 v8, v8, v11
	ds_bpermute_b32 v11, v39, v8
	v_cmp_le_u32_e32 vcc, v40, v10
	;; [unrolled: 6-line block ×5, first 2 shown]
	s_waitcnt lgkmcnt(0)
	s_nop 0
	v_cndmask_b32_e32 v10, 0, v11, vcc
	v_add3_u32 v8, v10, v3, v8
.LBB2756_60:                            ; =>This Loop Header: Depth=1
                                        ;     Child Loop BB2756_63 Depth 2
                                        ;       Child Loop BB2756_64 Depth 3
	v_cmp_ne_u16_sdwa s[26:27], v9, v14 src0_sel:BYTE_0 src1_sel:DWORD
	s_nop 1
	v_cndmask_b32_e64 v3, 0, 1, s[26:27]
	;;#ASMSTART
	;;#ASMEND
	s_nop 0
	v_cmp_ne_u32_e32 vcc, 0, v3
	s_cmp_lg_u64 vcc, exec
	v_mov_b32_e32 v3, v8
	s_cbranch_scc1 .LBB2756_67
; %bb.61:                               ;   in Loop: Header=BB2756_60 Depth=1
	v_lshl_add_u64 v[10:11], v[4:5], 3, s[36:37]
	global_load_dwordx2 v[8:9], v[10:11], off sc1
	s_waitcnt vmcnt(0)
	v_cmp_eq_u16_sdwa s[28:29], v9, v5 src0_sel:BYTE_0 src1_sel:DWORD
	s_and_saveexec_b64 s[26:27], s[28:29]
	s_cbranch_execz .LBB2756_59
; %bb.62:                               ;   in Loop: Header=BB2756_60 Depth=1
	s_mov_b32 s39, 1
	s_mov_b64 s[28:29], 0
.LBB2756_63:                            ;   Parent Loop BB2756_60 Depth=1
                                        ; =>  This Loop Header: Depth=2
                                        ;       Child Loop BB2756_64 Depth 3
	s_max_u32 s40, s39, 1
.LBB2756_64:                            ;   Parent Loop BB2756_60 Depth=1
                                        ;     Parent Loop BB2756_63 Depth=2
                                        ; =>    This Inner Loop Header: Depth=3
	s_add_i32 s40, s40, -1
	s_cmp_eq_u32 s40, 0
	s_sleep 1
	s_cbranch_scc0 .LBB2756_64
; %bb.65:                               ;   in Loop: Header=BB2756_63 Depth=2
	global_load_dwordx2 v[8:9], v[10:11], off sc1
	s_cmp_lt_u32 s39, 32
	s_cselect_b64 s[40:41], -1, 0
	s_cmp_lg_u64 s[40:41], 0
	s_addc_u32 s39, s39, 0
	s_waitcnt vmcnt(0)
	v_cmp_ne_u16_sdwa s[40:41], v9, v5 src0_sel:BYTE_0 src1_sel:DWORD
	s_or_b64 s[28:29], s[40:41], s[28:29]
	s_andn2_b64 exec, exec, s[28:29]
	s_cbranch_execnz .LBB2756_63
; %bb.66:                               ;   in Loop: Header=BB2756_60 Depth=1
	s_or_b64 exec, exec, s[28:29]
	s_branch .LBB2756_59
.LBB2756_67:                            ;   in Loop: Header=BB2756_60 Depth=1
                                        ; implicit-def: $vgpr8
                                        ; implicit-def: $vgpr9
	s_cbranch_execz .LBB2756_60
; %bb.68:
	s_and_saveexec_b64 s[26:27], s[18:19]
	s_cbranch_execz .LBB2756_70
; %bb.69:
	s_add_i32 s28, s38, 64
	s_mov_b32 s29, 0
	s_lshl_b64 s[28:29], s[28:29], 3
	s_add_u32 s28, s36, s28
	v_add_u32_e32 v4, v3, v2
	v_mov_b32_e32 v5, 2
	s_addc_u32 s29, s37, s29
	v_mov_b32_e32 v6, 0
	global_store_dwordx2 v6, v[4:5], s[28:29] sc1
	ds_write_b64 v6, v[2:3] offset:30720
.LBB2756_70:
	s_or_b64 exec, exec, s[26:27]
	s_and_b64 exec, exec, s[20:21]
	s_cbranch_execz .LBB2756_72
; %bb.71:
	v_mov_b32_e32 v2, 0
	ds_write_b32 v2, v3 offset:28
.LBB2756_72:
	s_or_b64 exec, exec, s[0:1]
	v_mov_b32_e32 v14, 0
	s_waitcnt lgkmcnt(0)
	s_barrier
	ds_read_b32 v2, v14 offset:28
	v_cndmask_b32_e64 v3, v13, v12, s[18:19]
	v_cndmask_b32_e64 v3, v3, 0, s[20:21]
	s_waitcnt lgkmcnt(0)
	s_barrier
	v_add_u32_e32 v2, v2, v3
	v_add_u32_e32 v3, v2, v56
	;; [unrolled: 1-line block ×10, first 2 shown]
	ds_read_b64 v[38:39], v14 offset:30720
	v_add_u32_e32 v12, v11, v65
	v_add_u32_e32 v13, v12, v66
	;; [unrolled: 1-line block ×5, first 2 shown]
	s_waitcnt lgkmcnt(0)
	v_mov_b32_e32 v40, v39
	s_branch .LBB2756_83
.LBB2756_73:
                                        ; implicit-def: $vgpr40
                                        ; implicit-def: $vgpr38
                                        ; implicit-def: $vgpr2_vgpr3_vgpr4_vgpr5_vgpr6_vgpr7_vgpr8_vgpr9_vgpr10_vgpr11_vgpr12_vgpr13_vgpr14_vgpr15_vgpr16_vgpr17
	s_cbranch_execz .LBB2756_83
; %bb.74:
	s_nop 0
	v_mov_b32_dpp v2, v72 row_shr:1 row_mask:0xf bank_mask:0xf
	v_cndmask_b32_e64 v2, v2, 0, s[16:17]
	v_add_u32_e32 v2, v2, v72
	s_nop 1
	v_mov_b32_dpp v3, v2 row_shr:2 row_mask:0xf bank_mask:0xf
	v_cndmask_b32_e64 v3, 0, v3, s[14:15]
	v_add_u32_e32 v2, v2, v3
	;; [unrolled: 4-line block ×4, first 2 shown]
	s_nop 1
	v_mov_b32_dpp v3, v2 row_bcast:15 row_mask:0xf bank_mask:0xf
	v_cndmask_b32_e64 v3, v3, 0, s[8:9]
	v_add_u32_e32 v2, v2, v3
	s_nop 1
	v_mov_b32_dpp v3, v2 row_bcast:31 row_mask:0xf bank_mask:0xf
	v_cndmask_b32_e64 v3, 0, v3, s[4:5]
	v_add_u32_e32 v2, v2, v3
	s_and_saveexec_b64 s[0:1], s[6:7]
	s_cbranch_execz .LBB2756_76
; %bb.75:
	v_lshlrev_b32_e32 v3, 2, v71
	ds_write_b32 v3, v2
.LBB2756_76:
	s_or_b64 exec, exec, s[0:1]
	v_cmp_gt_u32_e32 vcc, 8, v0
	s_waitcnt lgkmcnt(0)
	s_barrier
	s_and_saveexec_b64 s[0:1], vcc
	s_cbranch_execz .LBB2756_78
; %bb.77:
	ds_read_b32 v3, v18
	v_and_b32_e32 v4, 7, v70
	v_cmp_ne_u32_e32 vcc, 0, v4
	s_waitcnt lgkmcnt(0)
	v_mov_b32_dpp v5, v3 row_shr:1 row_mask:0xf bank_mask:0xf
	v_cndmask_b32_e32 v5, 0, v5, vcc
	v_add_u32_e32 v3, v5, v3
	v_cmp_lt_u32_e32 vcc, 1, v4
	s_nop 0
	v_mov_b32_dpp v5, v3 row_shr:2 row_mask:0xf bank_mask:0xf
	v_cndmask_b32_e32 v5, 0, v5, vcc
	v_add_u32_e32 v3, v3, v5
	v_cmp_lt_u32_e32 vcc, 3, v4
	s_nop 0
	v_mov_b32_dpp v5, v3 row_shr:4 row_mask:0xf bank_mask:0xf
	v_cndmask_b32_e32 v4, 0, v5, vcc
	v_add_u32_e32 v3, v3, v4
	ds_write_b32 v18, v3
.LBB2756_78:
	s_or_b64 exec, exec, s[0:1]
	v_cmp_lt_u32_e32 vcc, 63, v0
	v_mov_b32_e32 v4, 0
	v_mov_b32_e32 v3, 0
	s_waitcnt lgkmcnt(0)
	s_barrier
	s_and_saveexec_b64 s[0:1], vcc
	s_cbranch_execz .LBB2756_80
; %bb.79:
	v_lshl_add_u32 v3, v71, 2, -4
	ds_read_b32 v3, v3
.LBB2756_80:
	s_or_b64 exec, exec, s[0:1]
	v_add_u32_e32 v5, -1, v70
	v_and_b32_e32 v6, 64, v70
	v_cmp_lt_i32_e32 vcc, v5, v6
	s_waitcnt lgkmcnt(0)
	v_add_u32_e32 v2, v3, v2
	ds_read_b32 v38, v4 offset:28
	v_cndmask_b32_e32 v5, v5, v70, vcc
	v_lshlrev_b32_e32 v5, 2, v5
	ds_bpermute_b32 v2, v5, v2
	s_and_saveexec_b64 s[0:1], s[20:21]
	s_cbranch_execz .LBB2756_82
; %bb.81:
	v_mov_b32_e32 v4, 0
	v_mov_b32_e32 v39, 2
	s_waitcnt lgkmcnt(1)
	global_store_dwordx2 v4, v[38:39], s[36:37] offset:512 sc1
.LBB2756_82:
	s_or_b64 exec, exec, s[0:1]
	v_cmp_eq_u32_e32 vcc, 0, v70
	v_mov_b32_e32 v40, 0
	s_waitcnt lgkmcnt(0)
	v_cndmask_b32_e32 v2, v2, v3, vcc
	v_cndmask_b32_e64 v2, v2, 0, s[20:21]
	v_add_u32_e32 v3, v2, v56
	v_add_u32_e32 v4, v3, v57
	;; [unrolled: 1-line block ×14, first 2 shown]
	s_barrier
.LBB2756_83:
	v_add_u32_e32 v17, v38, v42
	v_sub_u32_e32 v2, v2, v40
	v_and_b32_e32 v42, 1, v55
	v_sub_u32_e32 v39, v17, v2
	v_cmp_eq_u32_e32 vcc, 1, v42
	v_or_b32_e32 v42, 0x200, v0
	v_cmp_le_u32_e64 s[0:1], v38, v0
	v_cndmask_b32_e32 v2, v39, v2, vcc
	v_lshlrev_b32_e32 v2, 2, v2
	ds_write_b32 v2, v36
	v_sub_u32_e32 v2, v3, v40
	v_sub_u32_e32 v3, v17, v2
	v_and_b32_e32 v36, 1, v54
	v_add_u32_e32 v3, 1, v3
	v_cmp_eq_u32_e32 vcc, 1, v36
	v_or_b32_e32 v36, 0x600, v0
	s_nop 0
	v_cndmask_b32_e32 v2, v3, v2, vcc
	v_lshlrev_b32_e32 v2, 2, v2
	ds_write_b32 v2, v37
	v_sub_u32_e32 v2, v4, v40
	v_sub_u32_e32 v3, v17, v2
	v_and_b32_e32 v4, 1, v53
	v_add_u32_e32 v3, 2, v3
	v_cmp_eq_u32_e32 vcc, 1, v4
	v_and_b32_e32 v4, 1, v52
	v_or_b32_e32 v37, 0x400, v0
	v_cndmask_b32_e32 v2, v3, v2, vcc
	v_lshlrev_b32_e32 v2, 2, v2
	ds_write_b32 v2, v34
	v_sub_u32_e32 v2, v5, v40
	v_sub_u32_e32 v3, v17, v2
	v_add_u32_e32 v3, 3, v3
	v_cmp_eq_u32_e32 vcc, 1, v4
	v_and_b32_e32 v4, 1, v51
	v_mov_b32_e32 v5, s31
	v_cndmask_b32_e32 v2, v3, v2, vcc
	v_lshlrev_b32_e32 v2, 2, v2
	ds_write_b32 v2, v35
	v_sub_u32_e32 v2, v6, v40
	v_sub_u32_e32 v3, v17, v2
	v_add_u32_e32 v3, 4, v3
	v_cmp_eq_u32_e32 vcc, 1, v4
	v_and_b32_e32 v4, 1, v50
	v_or_b32_e32 v35, 0x800, v0
	v_cndmask_b32_e32 v2, v3, v2, vcc
	v_lshlrev_b32_e32 v2, 2, v2
	ds_write_b32 v2, v32
	v_sub_u32_e32 v2, v7, v40
	v_sub_u32_e32 v3, v17, v2
	v_add_u32_e32 v3, 5, v3
	v_cmp_eq_u32_e32 vcc, 1, v4
	v_and_b32_e32 v4, 1, v49
	v_or_b32_e32 v34, 0xa00, v0
	;; [unrolled: 9-line block ×8, first 2 shown]
	v_cndmask_b32_e32 v2, v3, v2, vcc
	v_lshlrev_b32_e32 v2, 2, v2
	ds_write_b32 v2, v27
	v_sub_u32_e32 v2, v14, v40
	v_sub_u32_e32 v3, v17, v2
	v_add_u32_e32 v3, 12, v3
	v_cmp_eq_u32_e32 vcc, 1, v4
	v_and_b32_e32 v4, 1, v41
	v_mov_b32_e32 v41, 0
	v_cndmask_b32_e32 v2, v3, v2, vcc
	v_lshlrev_b32_e32 v2, 2, v2
	ds_write_b32 v2, v24
	v_sub_u32_e32 v2, v15, v40
	v_sub_u32_e32 v3, v17, v2
	v_add_u32_e32 v3, 13, v3
	v_cmp_eq_u32_e32 vcc, 1, v4
	v_and_b32_e32 v4, 1, v19
	v_mov_b32_e32 v39, v41
	v_cndmask_b32_e32 v2, v3, v2, vcc
	v_lshlrev_b32_e32 v2, 2, v2
	ds_write_b32 v2, v25
	v_sub_u32_e32 v2, v16, v40
	v_sub_u32_e32 v3, v17, v2
	v_add_u32_e32 v3, 14, v3
	v_cmp_eq_u32_e32 vcc, 1, v4
	v_or_b32_e32 v27, 0x1800, v0
	v_or_b32_e32 v26, 0x1a00, v0
	v_cndmask_b32_e32 v2, v3, v2, vcc
	v_lshlrev_b32_e32 v2, 2, v2
	ds_write_b32 v2, v1
	s_waitcnt vmcnt(0)
	v_lshl_add_u64 v[2:3], v[20:21], 0, v[38:39]
	v_lshl_add_u64 v[2:3], v[2:3], 0, v[40:41]
	s_waitcnt lgkmcnt(0)
	s_barrier
	ds_read2st64_b32 v[24:25], v18 offset1:8
	ds_read2st64_b32 v[16:17], v18 offset0:16 offset1:24
	ds_read2st64_b32 v[14:15], v18 offset0:32 offset1:40
	;; [unrolled: 1-line block ×6, first 2 shown]
	ds_read_b32 v1, v18 offset:28672
	v_sub_co_u32_e32 v4, vcc, s30, v2
	v_or_b32_e32 v19, 0x1c00, v0
	s_nop 0
	v_subb_co_u32_e32 v5, vcc, v5, v3, vcc
	v_lshlrev_b64 v[4:5], 2, v[4:5]
	v_lshl_add_u64 v[4:5], s[34:35], 0, v[4:5]
	v_lshl_add_u64 v[4:5], v[4:5], 0, v[22:23]
	s_and_b64 vcc, exec, s[2:3]
	s_cbranch_vccnz .LBB2756_100
; %bb.84:
	s_and_saveexec_b64 s[2:3], s[0:1]
	s_cbranch_execnz .LBB2756_135
; %bb.85:
	s_or_b64 exec, exec, s[2:3]
	v_cmp_ge_u32_e32 vcc, v42, v38
	s_and_saveexec_b64 s[0:1], vcc
	s_cbranch_execnz .LBB2756_136
.LBB2756_86:
	s_or_b64 exec, exec, s[0:1]
	v_cmp_ge_u32_e32 vcc, v37, v38
	s_and_saveexec_b64 s[0:1], vcc
	s_cbranch_execnz .LBB2756_137
.LBB2756_87:
	s_or_b64 exec, exec, s[0:1]
	v_cmp_ge_u32_e32 vcc, v36, v38
	s_and_saveexec_b64 s[0:1], vcc
	s_cbranch_execnz .LBB2756_138
.LBB2756_88:
	s_or_b64 exec, exec, s[0:1]
	v_cmp_ge_u32_e32 vcc, v35, v38
	s_and_saveexec_b64 s[0:1], vcc
	s_cbranch_execnz .LBB2756_139
.LBB2756_89:
	s_or_b64 exec, exec, s[0:1]
	v_cmp_ge_u32_e32 vcc, v34, v38
	s_and_saveexec_b64 s[0:1], vcc
	s_cbranch_execnz .LBB2756_140
.LBB2756_90:
	s_or_b64 exec, exec, s[0:1]
	v_cmp_ge_u32_e32 vcc, v33, v38
	s_and_saveexec_b64 s[0:1], vcc
	s_cbranch_execnz .LBB2756_141
.LBB2756_91:
	s_or_b64 exec, exec, s[0:1]
	v_cmp_ge_u32_e32 vcc, v32, v38
	s_and_saveexec_b64 s[0:1], vcc
	s_cbranch_execnz .LBB2756_142
.LBB2756_92:
	s_or_b64 exec, exec, s[0:1]
	v_cmp_ge_u32_e32 vcc, v31, v38
	s_and_saveexec_b64 s[0:1], vcc
	s_cbranch_execnz .LBB2756_143
.LBB2756_93:
	s_or_b64 exec, exec, s[0:1]
	v_cmp_ge_u32_e32 vcc, v30, v38
	s_and_saveexec_b64 s[0:1], vcc
	s_cbranch_execnz .LBB2756_144
.LBB2756_94:
	s_or_b64 exec, exec, s[0:1]
	v_cmp_ge_u32_e32 vcc, v29, v38
	s_and_saveexec_b64 s[0:1], vcc
	s_cbranch_execnz .LBB2756_145
.LBB2756_95:
	s_or_b64 exec, exec, s[0:1]
	v_cmp_ge_u32_e32 vcc, v28, v38
	s_and_saveexec_b64 s[0:1], vcc
	s_cbranch_execnz .LBB2756_146
.LBB2756_96:
	s_or_b64 exec, exec, s[0:1]
	v_cmp_ge_u32_e32 vcc, v27, v38
	s_and_saveexec_b64 s[0:1], vcc
	s_cbranch_execnz .LBB2756_147
.LBB2756_97:
	s_or_b64 exec, exec, s[0:1]
	v_cmp_ge_u32_e32 vcc, v26, v38
	s_and_saveexec_b64 s[0:1], vcc
	s_cbranch_execz .LBB2756_99
.LBB2756_98:
	v_lshlrev_b32_e32 v20, 2, v26
	v_readfirstlane_b32 s2, v4
	v_readfirstlane_b32 s3, v5
	s_waitcnt lgkmcnt(1)
	s_nop 3
	global_store_dword v20, v7, s[2:3]
.LBB2756_99:
	s_or_b64 exec, exec, s[0:1]
	v_cmp_ge_u32_e64 s[0:1], v19, v38
	s_branch .LBB2756_130
.LBB2756_100:
	s_mov_b64 s[0:1], 0
	s_cbranch_execz .LBB2756_130
; %bb.101:
	v_cmp_gt_u32_e32 vcc, s33, v0
	v_cmp_le_u32_e64 s[0:1], v38, v0
	s_and_b64 s[2:3], vcc, s[0:1]
	s_and_saveexec_b64 s[0:1], s[2:3]
	s_cbranch_execz .LBB2756_103
; %bb.102:
	v_readfirstlane_b32 s2, v4
	v_readfirstlane_b32 s3, v5
	s_waitcnt lgkmcnt(7)
	s_nop 3
	global_store_dword v18, v24, s[2:3]
.LBB2756_103:
	s_or_b64 exec, exec, s[0:1]
	v_cmp_gt_u32_e32 vcc, s33, v42
	v_cmp_ge_u32_e64 s[0:1], v42, v38
	s_and_b64 s[2:3], vcc, s[0:1]
	s_and_saveexec_b64 s[0:1], s[2:3]
	s_cbranch_execz .LBB2756_105
; %bb.104:
	v_readfirstlane_b32 s2, v4
	v_readfirstlane_b32 s3, v5
	s_waitcnt lgkmcnt(7)
	s_nop 3
	global_store_dword v18, v25, s[2:3] offset:2048
.LBB2756_105:
	s_or_b64 exec, exec, s[0:1]
	v_cmp_gt_u32_e32 vcc, s33, v37
	v_cmp_ge_u32_e64 s[0:1], v37, v38
	s_and_b64 s[2:3], vcc, s[0:1]
	s_and_saveexec_b64 s[0:1], s[2:3]
	s_cbranch_execz .LBB2756_107
; %bb.106:
	v_lshlrev_b32_e32 v0, 2, v37
	v_readfirstlane_b32 s2, v4
	v_readfirstlane_b32 s3, v5
	s_waitcnt lgkmcnt(6)
	s_nop 3
	global_store_dword v0, v16, s[2:3]
.LBB2756_107:
	s_or_b64 exec, exec, s[0:1]
	v_cmp_gt_u32_e32 vcc, s33, v36
	v_cmp_ge_u32_e64 s[0:1], v36, v38
	s_and_b64 s[2:3], vcc, s[0:1]
	s_and_saveexec_b64 s[0:1], s[2:3]
	s_cbranch_execz .LBB2756_109
; %bb.108:
	v_lshlrev_b32_e32 v0, 2, v36
	v_readfirstlane_b32 s2, v4
	v_readfirstlane_b32 s3, v5
	s_waitcnt lgkmcnt(6)
	s_nop 3
	global_store_dword v0, v17, s[2:3]
.LBB2756_109:
	;; [unrolled: 14-line block ×12, first 2 shown]
	s_or_b64 exec, exec, s[0:1]
	v_cmp_gt_u32_e32 vcc, s33, v19
	v_cmp_ge_u32_e64 s[0:1], v19, v38
	s_and_b64 s[0:1], vcc, s[0:1]
.LBB2756_130:
	s_and_saveexec_b64 s[2:3], s[0:1]
	s_cbranch_execnz .LBB2756_133
; %bb.131:
	s_or_b64 exec, exec, s[2:3]
	s_and_b64 s[0:1], s[20:21], s[22:23]
	s_and_saveexec_b64 s[2:3], s[0:1]
	s_cbranch_execnz .LBB2756_134
.LBB2756_132:
	s_endpgm
.LBB2756_133:
	v_lshlrev_b32_e32 v0, 2, v19
	v_readfirstlane_b32 s0, v4
	v_readfirstlane_b32 s1, v5
	s_waitcnt lgkmcnt(0)
	s_nop 3
	global_store_dword v0, v1, s[0:1]
	s_or_b64 exec, exec, s[2:3]
	s_and_b64 s[0:1], s[20:21], s[22:23]
	s_and_saveexec_b64 s[2:3], s[0:1]
	s_cbranch_execz .LBB2756_132
.LBB2756_134:
	v_mov_b32_e32 v0, 0
	global_store_dwordx2 v0, v[2:3], s[24:25]
	s_endpgm
.LBB2756_135:
	v_readfirstlane_b32 s0, v4
	v_readfirstlane_b32 s1, v5
	s_waitcnt lgkmcnt(7)
	s_nop 3
	global_store_dword v18, v24, s[0:1]
	s_or_b64 exec, exec, s[2:3]
	v_cmp_ge_u32_e32 vcc, v42, v38
	s_and_saveexec_b64 s[0:1], vcc
	s_cbranch_execz .LBB2756_86
.LBB2756_136:
	v_readfirstlane_b32 s2, v4
	v_readfirstlane_b32 s3, v5
	s_waitcnt lgkmcnt(7)
	s_nop 3
	global_store_dword v18, v25, s[2:3] offset:2048
	s_or_b64 exec, exec, s[0:1]
	v_cmp_ge_u32_e32 vcc, v37, v38
	s_and_saveexec_b64 s[0:1], vcc
	s_cbranch_execz .LBB2756_87
.LBB2756_137:
	v_lshlrev_b32_e32 v20, 2, v37
	v_readfirstlane_b32 s2, v4
	v_readfirstlane_b32 s3, v5
	s_waitcnt lgkmcnt(6)
	s_nop 3
	global_store_dword v20, v16, s[2:3]
	s_or_b64 exec, exec, s[0:1]
	v_cmp_ge_u32_e32 vcc, v36, v38
	s_and_saveexec_b64 s[0:1], vcc
	s_cbranch_execz .LBB2756_88
.LBB2756_138:
	v_lshlrev_b32_e32 v20, 2, v36
	v_readfirstlane_b32 s2, v4
	v_readfirstlane_b32 s3, v5
	s_waitcnt lgkmcnt(6)
	s_nop 3
	global_store_dword v20, v17, s[2:3]
	s_or_b64 exec, exec, s[0:1]
	v_cmp_ge_u32_e32 vcc, v35, v38
	s_and_saveexec_b64 s[0:1], vcc
	s_cbranch_execz .LBB2756_89
.LBB2756_139:
	v_lshlrev_b32_e32 v20, 2, v35
	v_readfirstlane_b32 s2, v4
	v_readfirstlane_b32 s3, v5
	s_waitcnt lgkmcnt(5)
	s_nop 3
	global_store_dword v20, v14, s[2:3]
	s_or_b64 exec, exec, s[0:1]
	v_cmp_ge_u32_e32 vcc, v34, v38
	s_and_saveexec_b64 s[0:1], vcc
	s_cbranch_execz .LBB2756_90
.LBB2756_140:
	v_lshlrev_b32_e32 v20, 2, v34
	v_readfirstlane_b32 s2, v4
	v_readfirstlane_b32 s3, v5
	s_waitcnt lgkmcnt(5)
	s_nop 3
	global_store_dword v20, v15, s[2:3]
	s_or_b64 exec, exec, s[0:1]
	v_cmp_ge_u32_e32 vcc, v33, v38
	s_and_saveexec_b64 s[0:1], vcc
	s_cbranch_execz .LBB2756_91
.LBB2756_141:
	v_lshlrev_b32_e32 v20, 2, v33
	v_readfirstlane_b32 s2, v4
	v_readfirstlane_b32 s3, v5
	s_waitcnt lgkmcnt(4)
	s_nop 3
	global_store_dword v20, v12, s[2:3]
	s_or_b64 exec, exec, s[0:1]
	v_cmp_ge_u32_e32 vcc, v32, v38
	s_and_saveexec_b64 s[0:1], vcc
	s_cbranch_execz .LBB2756_92
.LBB2756_142:
	v_lshlrev_b32_e32 v20, 2, v32
	v_readfirstlane_b32 s2, v4
	v_readfirstlane_b32 s3, v5
	s_waitcnt lgkmcnt(4)
	s_nop 3
	global_store_dword v20, v13, s[2:3]
	s_or_b64 exec, exec, s[0:1]
	v_cmp_ge_u32_e32 vcc, v31, v38
	s_and_saveexec_b64 s[0:1], vcc
	s_cbranch_execz .LBB2756_93
.LBB2756_143:
	v_lshlrev_b32_e32 v20, 2, v31
	v_readfirstlane_b32 s2, v4
	v_readfirstlane_b32 s3, v5
	s_waitcnt lgkmcnt(3)
	s_nop 3
	global_store_dword v20, v10, s[2:3]
	s_or_b64 exec, exec, s[0:1]
	v_cmp_ge_u32_e32 vcc, v30, v38
	s_and_saveexec_b64 s[0:1], vcc
	s_cbranch_execz .LBB2756_94
.LBB2756_144:
	v_lshlrev_b32_e32 v20, 2, v30
	v_readfirstlane_b32 s2, v4
	v_readfirstlane_b32 s3, v5
	s_waitcnt lgkmcnt(3)
	s_nop 3
	global_store_dword v20, v11, s[2:3]
	s_or_b64 exec, exec, s[0:1]
	v_cmp_ge_u32_e32 vcc, v29, v38
	s_and_saveexec_b64 s[0:1], vcc
	s_cbranch_execz .LBB2756_95
.LBB2756_145:
	v_lshlrev_b32_e32 v20, 2, v29
	v_readfirstlane_b32 s2, v4
	v_readfirstlane_b32 s3, v5
	s_waitcnt lgkmcnt(2)
	s_nop 3
	global_store_dword v20, v8, s[2:3]
	s_or_b64 exec, exec, s[0:1]
	v_cmp_ge_u32_e32 vcc, v28, v38
	s_and_saveexec_b64 s[0:1], vcc
	s_cbranch_execz .LBB2756_96
.LBB2756_146:
	v_lshlrev_b32_e32 v20, 2, v28
	v_readfirstlane_b32 s2, v4
	v_readfirstlane_b32 s3, v5
	s_waitcnt lgkmcnt(2)
	s_nop 3
	global_store_dword v20, v9, s[2:3]
	s_or_b64 exec, exec, s[0:1]
	v_cmp_ge_u32_e32 vcc, v27, v38
	s_and_saveexec_b64 s[0:1], vcc
	s_cbranch_execz .LBB2756_97
.LBB2756_147:
	v_lshlrev_b32_e32 v20, 2, v27
	v_readfirstlane_b32 s2, v4
	v_readfirstlane_b32 s3, v5
	s_waitcnt lgkmcnt(1)
	s_nop 3
	global_store_dword v20, v6, s[2:3]
	s_or_b64 exec, exec, s[0:1]
	v_cmp_ge_u32_e32 vcc, v26, v38
	s_and_saveexec_b64 s[0:1], vcc
	s_cbranch_execnz .LBB2756_98
	s_branch .LBB2756_99
	.section	.rodata,"a",@progbits
	.p2align	6, 0x0
	.amdhsa_kernel _ZN7rocprim17ROCPRIM_400000_NS6detail17trampoline_kernelINS0_14default_configENS1_25partition_config_selectorILNS1_17partition_subalgoE0EiNS0_10empty_typeEbEEZZNS1_14partition_implILS5_0ELb0ES3_jN6thrust23THRUST_200600_302600_NS6detail15normal_iteratorINSA_10device_ptrIiEEEEPS6_SG_NS0_5tupleIJNSA_16discard_iteratorINSA_11use_defaultEEESF_EEENSH_IJSG_SG_EEES6_PlJ7is_evenIiEEEE10hipError_tPvRmT3_T4_T5_T6_T7_T9_mT8_P12ihipStream_tbDpT10_ENKUlT_T0_E_clISt17integral_constantIbLb1EES19_EEDaS14_S15_EUlS14_E_NS1_11comp_targetILNS1_3genE5ELNS1_11target_archE942ELNS1_3gpuE9ELNS1_3repE0EEENS1_30default_config_static_selectorELNS0_4arch9wavefront6targetE1EEEvT1_
		.amdhsa_group_segment_fixed_size 30728
		.amdhsa_private_segment_fixed_size 0
		.amdhsa_kernarg_size 144
		.amdhsa_user_sgpr_count 2
		.amdhsa_user_sgpr_dispatch_ptr 0
		.amdhsa_user_sgpr_queue_ptr 0
		.amdhsa_user_sgpr_kernarg_segment_ptr 1
		.amdhsa_user_sgpr_dispatch_id 0
		.amdhsa_user_sgpr_kernarg_preload_length 0
		.amdhsa_user_sgpr_kernarg_preload_offset 0
		.amdhsa_user_sgpr_private_segment_size 0
		.amdhsa_uses_dynamic_stack 0
		.amdhsa_enable_private_segment 0
		.amdhsa_system_sgpr_workgroup_id_x 1
		.amdhsa_system_sgpr_workgroup_id_y 0
		.amdhsa_system_sgpr_workgroup_id_z 0
		.amdhsa_system_sgpr_workgroup_info 0
		.amdhsa_system_vgpr_workitem_id 0
		.amdhsa_next_free_vgpr 80
		.amdhsa_next_free_sgpr 42
		.amdhsa_accum_offset 80
		.amdhsa_reserve_vcc 1
		.amdhsa_float_round_mode_32 0
		.amdhsa_float_round_mode_16_64 0
		.amdhsa_float_denorm_mode_32 3
		.amdhsa_float_denorm_mode_16_64 3
		.amdhsa_dx10_clamp 1
		.amdhsa_ieee_mode 1
		.amdhsa_fp16_overflow 0
		.amdhsa_tg_split 0
		.amdhsa_exception_fp_ieee_invalid_op 0
		.amdhsa_exception_fp_denorm_src 0
		.amdhsa_exception_fp_ieee_div_zero 0
		.amdhsa_exception_fp_ieee_overflow 0
		.amdhsa_exception_fp_ieee_underflow 0
		.amdhsa_exception_fp_ieee_inexact 0
		.amdhsa_exception_int_div_zero 0
	.end_amdhsa_kernel
	.section	.text._ZN7rocprim17ROCPRIM_400000_NS6detail17trampoline_kernelINS0_14default_configENS1_25partition_config_selectorILNS1_17partition_subalgoE0EiNS0_10empty_typeEbEEZZNS1_14partition_implILS5_0ELb0ES3_jN6thrust23THRUST_200600_302600_NS6detail15normal_iteratorINSA_10device_ptrIiEEEEPS6_SG_NS0_5tupleIJNSA_16discard_iteratorINSA_11use_defaultEEESF_EEENSH_IJSG_SG_EEES6_PlJ7is_evenIiEEEE10hipError_tPvRmT3_T4_T5_T6_T7_T9_mT8_P12ihipStream_tbDpT10_ENKUlT_T0_E_clISt17integral_constantIbLb1EES19_EEDaS14_S15_EUlS14_E_NS1_11comp_targetILNS1_3genE5ELNS1_11target_archE942ELNS1_3gpuE9ELNS1_3repE0EEENS1_30default_config_static_selectorELNS0_4arch9wavefront6targetE1EEEvT1_,"axG",@progbits,_ZN7rocprim17ROCPRIM_400000_NS6detail17trampoline_kernelINS0_14default_configENS1_25partition_config_selectorILNS1_17partition_subalgoE0EiNS0_10empty_typeEbEEZZNS1_14partition_implILS5_0ELb0ES3_jN6thrust23THRUST_200600_302600_NS6detail15normal_iteratorINSA_10device_ptrIiEEEEPS6_SG_NS0_5tupleIJNSA_16discard_iteratorINSA_11use_defaultEEESF_EEENSH_IJSG_SG_EEES6_PlJ7is_evenIiEEEE10hipError_tPvRmT3_T4_T5_T6_T7_T9_mT8_P12ihipStream_tbDpT10_ENKUlT_T0_E_clISt17integral_constantIbLb1EES19_EEDaS14_S15_EUlS14_E_NS1_11comp_targetILNS1_3genE5ELNS1_11target_archE942ELNS1_3gpuE9ELNS1_3repE0EEENS1_30default_config_static_selectorELNS0_4arch9wavefront6targetE1EEEvT1_,comdat
.Lfunc_end2756:
	.size	_ZN7rocprim17ROCPRIM_400000_NS6detail17trampoline_kernelINS0_14default_configENS1_25partition_config_selectorILNS1_17partition_subalgoE0EiNS0_10empty_typeEbEEZZNS1_14partition_implILS5_0ELb0ES3_jN6thrust23THRUST_200600_302600_NS6detail15normal_iteratorINSA_10device_ptrIiEEEEPS6_SG_NS0_5tupleIJNSA_16discard_iteratorINSA_11use_defaultEEESF_EEENSH_IJSG_SG_EEES6_PlJ7is_evenIiEEEE10hipError_tPvRmT3_T4_T5_T6_T7_T9_mT8_P12ihipStream_tbDpT10_ENKUlT_T0_E_clISt17integral_constantIbLb1EES19_EEDaS14_S15_EUlS14_E_NS1_11comp_targetILNS1_3genE5ELNS1_11target_archE942ELNS1_3gpuE9ELNS1_3repE0EEENS1_30default_config_static_selectorELNS0_4arch9wavefront6targetE1EEEvT1_, .Lfunc_end2756-_ZN7rocprim17ROCPRIM_400000_NS6detail17trampoline_kernelINS0_14default_configENS1_25partition_config_selectorILNS1_17partition_subalgoE0EiNS0_10empty_typeEbEEZZNS1_14partition_implILS5_0ELb0ES3_jN6thrust23THRUST_200600_302600_NS6detail15normal_iteratorINSA_10device_ptrIiEEEEPS6_SG_NS0_5tupleIJNSA_16discard_iteratorINSA_11use_defaultEEESF_EEENSH_IJSG_SG_EEES6_PlJ7is_evenIiEEEE10hipError_tPvRmT3_T4_T5_T6_T7_T9_mT8_P12ihipStream_tbDpT10_ENKUlT_T0_E_clISt17integral_constantIbLb1EES19_EEDaS14_S15_EUlS14_E_NS1_11comp_targetILNS1_3genE5ELNS1_11target_archE942ELNS1_3gpuE9ELNS1_3repE0EEENS1_30default_config_static_selectorELNS0_4arch9wavefront6targetE1EEEvT1_
                                        ; -- End function
	.section	.AMDGPU.csdata,"",@progbits
; Kernel info:
; codeLenInByte = 6876
; NumSgprs: 48
; NumVgprs: 80
; NumAgprs: 0
; TotalNumVgprs: 80
; ScratchSize: 0
; MemoryBound: 0
; FloatMode: 240
; IeeeMode: 1
; LDSByteSize: 30728 bytes/workgroup (compile time only)
; SGPRBlocks: 5
; VGPRBlocks: 9
; NumSGPRsForWavesPerEU: 48
; NumVGPRsForWavesPerEU: 80
; AccumOffset: 80
; Occupancy: 4
; WaveLimiterHint : 1
; COMPUTE_PGM_RSRC2:SCRATCH_EN: 0
; COMPUTE_PGM_RSRC2:USER_SGPR: 2
; COMPUTE_PGM_RSRC2:TRAP_HANDLER: 0
; COMPUTE_PGM_RSRC2:TGID_X_EN: 1
; COMPUTE_PGM_RSRC2:TGID_Y_EN: 0
; COMPUTE_PGM_RSRC2:TGID_Z_EN: 0
; COMPUTE_PGM_RSRC2:TIDIG_COMP_CNT: 0
; COMPUTE_PGM_RSRC3_GFX90A:ACCUM_OFFSET: 19
; COMPUTE_PGM_RSRC3_GFX90A:TG_SPLIT: 0
	.section	.text._ZN7rocprim17ROCPRIM_400000_NS6detail17trampoline_kernelINS0_14default_configENS1_25partition_config_selectorILNS1_17partition_subalgoE0EiNS0_10empty_typeEbEEZZNS1_14partition_implILS5_0ELb0ES3_jN6thrust23THRUST_200600_302600_NS6detail15normal_iteratorINSA_10device_ptrIiEEEEPS6_SG_NS0_5tupleIJNSA_16discard_iteratorINSA_11use_defaultEEESF_EEENSH_IJSG_SG_EEES6_PlJ7is_evenIiEEEE10hipError_tPvRmT3_T4_T5_T6_T7_T9_mT8_P12ihipStream_tbDpT10_ENKUlT_T0_E_clISt17integral_constantIbLb1EES19_EEDaS14_S15_EUlS14_E_NS1_11comp_targetILNS1_3genE4ELNS1_11target_archE910ELNS1_3gpuE8ELNS1_3repE0EEENS1_30default_config_static_selectorELNS0_4arch9wavefront6targetE1EEEvT1_,"axG",@progbits,_ZN7rocprim17ROCPRIM_400000_NS6detail17trampoline_kernelINS0_14default_configENS1_25partition_config_selectorILNS1_17partition_subalgoE0EiNS0_10empty_typeEbEEZZNS1_14partition_implILS5_0ELb0ES3_jN6thrust23THRUST_200600_302600_NS6detail15normal_iteratorINSA_10device_ptrIiEEEEPS6_SG_NS0_5tupleIJNSA_16discard_iteratorINSA_11use_defaultEEESF_EEENSH_IJSG_SG_EEES6_PlJ7is_evenIiEEEE10hipError_tPvRmT3_T4_T5_T6_T7_T9_mT8_P12ihipStream_tbDpT10_ENKUlT_T0_E_clISt17integral_constantIbLb1EES19_EEDaS14_S15_EUlS14_E_NS1_11comp_targetILNS1_3genE4ELNS1_11target_archE910ELNS1_3gpuE8ELNS1_3repE0EEENS1_30default_config_static_selectorELNS0_4arch9wavefront6targetE1EEEvT1_,comdat
	.protected	_ZN7rocprim17ROCPRIM_400000_NS6detail17trampoline_kernelINS0_14default_configENS1_25partition_config_selectorILNS1_17partition_subalgoE0EiNS0_10empty_typeEbEEZZNS1_14partition_implILS5_0ELb0ES3_jN6thrust23THRUST_200600_302600_NS6detail15normal_iteratorINSA_10device_ptrIiEEEEPS6_SG_NS0_5tupleIJNSA_16discard_iteratorINSA_11use_defaultEEESF_EEENSH_IJSG_SG_EEES6_PlJ7is_evenIiEEEE10hipError_tPvRmT3_T4_T5_T6_T7_T9_mT8_P12ihipStream_tbDpT10_ENKUlT_T0_E_clISt17integral_constantIbLb1EES19_EEDaS14_S15_EUlS14_E_NS1_11comp_targetILNS1_3genE4ELNS1_11target_archE910ELNS1_3gpuE8ELNS1_3repE0EEENS1_30default_config_static_selectorELNS0_4arch9wavefront6targetE1EEEvT1_ ; -- Begin function _ZN7rocprim17ROCPRIM_400000_NS6detail17trampoline_kernelINS0_14default_configENS1_25partition_config_selectorILNS1_17partition_subalgoE0EiNS0_10empty_typeEbEEZZNS1_14partition_implILS5_0ELb0ES3_jN6thrust23THRUST_200600_302600_NS6detail15normal_iteratorINSA_10device_ptrIiEEEEPS6_SG_NS0_5tupleIJNSA_16discard_iteratorINSA_11use_defaultEEESF_EEENSH_IJSG_SG_EEES6_PlJ7is_evenIiEEEE10hipError_tPvRmT3_T4_T5_T6_T7_T9_mT8_P12ihipStream_tbDpT10_ENKUlT_T0_E_clISt17integral_constantIbLb1EES19_EEDaS14_S15_EUlS14_E_NS1_11comp_targetILNS1_3genE4ELNS1_11target_archE910ELNS1_3gpuE8ELNS1_3repE0EEENS1_30default_config_static_selectorELNS0_4arch9wavefront6targetE1EEEvT1_
	.globl	_ZN7rocprim17ROCPRIM_400000_NS6detail17trampoline_kernelINS0_14default_configENS1_25partition_config_selectorILNS1_17partition_subalgoE0EiNS0_10empty_typeEbEEZZNS1_14partition_implILS5_0ELb0ES3_jN6thrust23THRUST_200600_302600_NS6detail15normal_iteratorINSA_10device_ptrIiEEEEPS6_SG_NS0_5tupleIJNSA_16discard_iteratorINSA_11use_defaultEEESF_EEENSH_IJSG_SG_EEES6_PlJ7is_evenIiEEEE10hipError_tPvRmT3_T4_T5_T6_T7_T9_mT8_P12ihipStream_tbDpT10_ENKUlT_T0_E_clISt17integral_constantIbLb1EES19_EEDaS14_S15_EUlS14_E_NS1_11comp_targetILNS1_3genE4ELNS1_11target_archE910ELNS1_3gpuE8ELNS1_3repE0EEENS1_30default_config_static_selectorELNS0_4arch9wavefront6targetE1EEEvT1_
	.p2align	8
	.type	_ZN7rocprim17ROCPRIM_400000_NS6detail17trampoline_kernelINS0_14default_configENS1_25partition_config_selectorILNS1_17partition_subalgoE0EiNS0_10empty_typeEbEEZZNS1_14partition_implILS5_0ELb0ES3_jN6thrust23THRUST_200600_302600_NS6detail15normal_iteratorINSA_10device_ptrIiEEEEPS6_SG_NS0_5tupleIJNSA_16discard_iteratorINSA_11use_defaultEEESF_EEENSH_IJSG_SG_EEES6_PlJ7is_evenIiEEEE10hipError_tPvRmT3_T4_T5_T6_T7_T9_mT8_P12ihipStream_tbDpT10_ENKUlT_T0_E_clISt17integral_constantIbLb1EES19_EEDaS14_S15_EUlS14_E_NS1_11comp_targetILNS1_3genE4ELNS1_11target_archE910ELNS1_3gpuE8ELNS1_3repE0EEENS1_30default_config_static_selectorELNS0_4arch9wavefront6targetE1EEEvT1_,@function
_ZN7rocprim17ROCPRIM_400000_NS6detail17trampoline_kernelINS0_14default_configENS1_25partition_config_selectorILNS1_17partition_subalgoE0EiNS0_10empty_typeEbEEZZNS1_14partition_implILS5_0ELb0ES3_jN6thrust23THRUST_200600_302600_NS6detail15normal_iteratorINSA_10device_ptrIiEEEEPS6_SG_NS0_5tupleIJNSA_16discard_iteratorINSA_11use_defaultEEESF_EEENSH_IJSG_SG_EEES6_PlJ7is_evenIiEEEE10hipError_tPvRmT3_T4_T5_T6_T7_T9_mT8_P12ihipStream_tbDpT10_ENKUlT_T0_E_clISt17integral_constantIbLb1EES19_EEDaS14_S15_EUlS14_E_NS1_11comp_targetILNS1_3genE4ELNS1_11target_archE910ELNS1_3gpuE8ELNS1_3repE0EEENS1_30default_config_static_selectorELNS0_4arch9wavefront6targetE1EEEvT1_: ; @_ZN7rocprim17ROCPRIM_400000_NS6detail17trampoline_kernelINS0_14default_configENS1_25partition_config_selectorILNS1_17partition_subalgoE0EiNS0_10empty_typeEbEEZZNS1_14partition_implILS5_0ELb0ES3_jN6thrust23THRUST_200600_302600_NS6detail15normal_iteratorINSA_10device_ptrIiEEEEPS6_SG_NS0_5tupleIJNSA_16discard_iteratorINSA_11use_defaultEEESF_EEENSH_IJSG_SG_EEES6_PlJ7is_evenIiEEEE10hipError_tPvRmT3_T4_T5_T6_T7_T9_mT8_P12ihipStream_tbDpT10_ENKUlT_T0_E_clISt17integral_constantIbLb1EES19_EEDaS14_S15_EUlS14_E_NS1_11comp_targetILNS1_3genE4ELNS1_11target_archE910ELNS1_3gpuE8ELNS1_3repE0EEENS1_30default_config_static_selectorELNS0_4arch9wavefront6targetE1EEEvT1_
; %bb.0:
	.section	.rodata,"a",@progbits
	.p2align	6, 0x0
	.amdhsa_kernel _ZN7rocprim17ROCPRIM_400000_NS6detail17trampoline_kernelINS0_14default_configENS1_25partition_config_selectorILNS1_17partition_subalgoE0EiNS0_10empty_typeEbEEZZNS1_14partition_implILS5_0ELb0ES3_jN6thrust23THRUST_200600_302600_NS6detail15normal_iteratorINSA_10device_ptrIiEEEEPS6_SG_NS0_5tupleIJNSA_16discard_iteratorINSA_11use_defaultEEESF_EEENSH_IJSG_SG_EEES6_PlJ7is_evenIiEEEE10hipError_tPvRmT3_T4_T5_T6_T7_T9_mT8_P12ihipStream_tbDpT10_ENKUlT_T0_E_clISt17integral_constantIbLb1EES19_EEDaS14_S15_EUlS14_E_NS1_11comp_targetILNS1_3genE4ELNS1_11target_archE910ELNS1_3gpuE8ELNS1_3repE0EEENS1_30default_config_static_selectorELNS0_4arch9wavefront6targetE1EEEvT1_
		.amdhsa_group_segment_fixed_size 0
		.amdhsa_private_segment_fixed_size 0
		.amdhsa_kernarg_size 144
		.amdhsa_user_sgpr_count 2
		.amdhsa_user_sgpr_dispatch_ptr 0
		.amdhsa_user_sgpr_queue_ptr 0
		.amdhsa_user_sgpr_kernarg_segment_ptr 1
		.amdhsa_user_sgpr_dispatch_id 0
		.amdhsa_user_sgpr_kernarg_preload_length 0
		.amdhsa_user_sgpr_kernarg_preload_offset 0
		.amdhsa_user_sgpr_private_segment_size 0
		.amdhsa_uses_dynamic_stack 0
		.amdhsa_enable_private_segment 0
		.amdhsa_system_sgpr_workgroup_id_x 1
		.amdhsa_system_sgpr_workgroup_id_y 0
		.amdhsa_system_sgpr_workgroup_id_z 0
		.amdhsa_system_sgpr_workgroup_info 0
		.amdhsa_system_vgpr_workitem_id 0
		.amdhsa_next_free_vgpr 1
		.amdhsa_next_free_sgpr 0
		.amdhsa_accum_offset 4
		.amdhsa_reserve_vcc 0
		.amdhsa_float_round_mode_32 0
		.amdhsa_float_round_mode_16_64 0
		.amdhsa_float_denorm_mode_32 3
		.amdhsa_float_denorm_mode_16_64 3
		.amdhsa_dx10_clamp 1
		.amdhsa_ieee_mode 1
		.amdhsa_fp16_overflow 0
		.amdhsa_tg_split 0
		.amdhsa_exception_fp_ieee_invalid_op 0
		.amdhsa_exception_fp_denorm_src 0
		.amdhsa_exception_fp_ieee_div_zero 0
		.amdhsa_exception_fp_ieee_overflow 0
		.amdhsa_exception_fp_ieee_underflow 0
		.amdhsa_exception_fp_ieee_inexact 0
		.amdhsa_exception_int_div_zero 0
	.end_amdhsa_kernel
	.section	.text._ZN7rocprim17ROCPRIM_400000_NS6detail17trampoline_kernelINS0_14default_configENS1_25partition_config_selectorILNS1_17partition_subalgoE0EiNS0_10empty_typeEbEEZZNS1_14partition_implILS5_0ELb0ES3_jN6thrust23THRUST_200600_302600_NS6detail15normal_iteratorINSA_10device_ptrIiEEEEPS6_SG_NS0_5tupleIJNSA_16discard_iteratorINSA_11use_defaultEEESF_EEENSH_IJSG_SG_EEES6_PlJ7is_evenIiEEEE10hipError_tPvRmT3_T4_T5_T6_T7_T9_mT8_P12ihipStream_tbDpT10_ENKUlT_T0_E_clISt17integral_constantIbLb1EES19_EEDaS14_S15_EUlS14_E_NS1_11comp_targetILNS1_3genE4ELNS1_11target_archE910ELNS1_3gpuE8ELNS1_3repE0EEENS1_30default_config_static_selectorELNS0_4arch9wavefront6targetE1EEEvT1_,"axG",@progbits,_ZN7rocprim17ROCPRIM_400000_NS6detail17trampoline_kernelINS0_14default_configENS1_25partition_config_selectorILNS1_17partition_subalgoE0EiNS0_10empty_typeEbEEZZNS1_14partition_implILS5_0ELb0ES3_jN6thrust23THRUST_200600_302600_NS6detail15normal_iteratorINSA_10device_ptrIiEEEEPS6_SG_NS0_5tupleIJNSA_16discard_iteratorINSA_11use_defaultEEESF_EEENSH_IJSG_SG_EEES6_PlJ7is_evenIiEEEE10hipError_tPvRmT3_T4_T5_T6_T7_T9_mT8_P12ihipStream_tbDpT10_ENKUlT_T0_E_clISt17integral_constantIbLb1EES19_EEDaS14_S15_EUlS14_E_NS1_11comp_targetILNS1_3genE4ELNS1_11target_archE910ELNS1_3gpuE8ELNS1_3repE0EEENS1_30default_config_static_selectorELNS0_4arch9wavefront6targetE1EEEvT1_,comdat
.Lfunc_end2757:
	.size	_ZN7rocprim17ROCPRIM_400000_NS6detail17trampoline_kernelINS0_14default_configENS1_25partition_config_selectorILNS1_17partition_subalgoE0EiNS0_10empty_typeEbEEZZNS1_14partition_implILS5_0ELb0ES3_jN6thrust23THRUST_200600_302600_NS6detail15normal_iteratorINSA_10device_ptrIiEEEEPS6_SG_NS0_5tupleIJNSA_16discard_iteratorINSA_11use_defaultEEESF_EEENSH_IJSG_SG_EEES6_PlJ7is_evenIiEEEE10hipError_tPvRmT3_T4_T5_T6_T7_T9_mT8_P12ihipStream_tbDpT10_ENKUlT_T0_E_clISt17integral_constantIbLb1EES19_EEDaS14_S15_EUlS14_E_NS1_11comp_targetILNS1_3genE4ELNS1_11target_archE910ELNS1_3gpuE8ELNS1_3repE0EEENS1_30default_config_static_selectorELNS0_4arch9wavefront6targetE1EEEvT1_, .Lfunc_end2757-_ZN7rocprim17ROCPRIM_400000_NS6detail17trampoline_kernelINS0_14default_configENS1_25partition_config_selectorILNS1_17partition_subalgoE0EiNS0_10empty_typeEbEEZZNS1_14partition_implILS5_0ELb0ES3_jN6thrust23THRUST_200600_302600_NS6detail15normal_iteratorINSA_10device_ptrIiEEEEPS6_SG_NS0_5tupleIJNSA_16discard_iteratorINSA_11use_defaultEEESF_EEENSH_IJSG_SG_EEES6_PlJ7is_evenIiEEEE10hipError_tPvRmT3_T4_T5_T6_T7_T9_mT8_P12ihipStream_tbDpT10_ENKUlT_T0_E_clISt17integral_constantIbLb1EES19_EEDaS14_S15_EUlS14_E_NS1_11comp_targetILNS1_3genE4ELNS1_11target_archE910ELNS1_3gpuE8ELNS1_3repE0EEENS1_30default_config_static_selectorELNS0_4arch9wavefront6targetE1EEEvT1_
                                        ; -- End function
	.section	.AMDGPU.csdata,"",@progbits
; Kernel info:
; codeLenInByte = 0
; NumSgprs: 6
; NumVgprs: 0
; NumAgprs: 0
; TotalNumVgprs: 0
; ScratchSize: 0
; MemoryBound: 0
; FloatMode: 240
; IeeeMode: 1
; LDSByteSize: 0 bytes/workgroup (compile time only)
; SGPRBlocks: 0
; VGPRBlocks: 0
; NumSGPRsForWavesPerEU: 6
; NumVGPRsForWavesPerEU: 1
; AccumOffset: 4
; Occupancy: 8
; WaveLimiterHint : 0
; COMPUTE_PGM_RSRC2:SCRATCH_EN: 0
; COMPUTE_PGM_RSRC2:USER_SGPR: 2
; COMPUTE_PGM_RSRC2:TRAP_HANDLER: 0
; COMPUTE_PGM_RSRC2:TGID_X_EN: 1
; COMPUTE_PGM_RSRC2:TGID_Y_EN: 0
; COMPUTE_PGM_RSRC2:TGID_Z_EN: 0
; COMPUTE_PGM_RSRC2:TIDIG_COMP_CNT: 0
; COMPUTE_PGM_RSRC3_GFX90A:ACCUM_OFFSET: 0
; COMPUTE_PGM_RSRC3_GFX90A:TG_SPLIT: 0
	.section	.text._ZN7rocprim17ROCPRIM_400000_NS6detail17trampoline_kernelINS0_14default_configENS1_25partition_config_selectorILNS1_17partition_subalgoE0EiNS0_10empty_typeEbEEZZNS1_14partition_implILS5_0ELb0ES3_jN6thrust23THRUST_200600_302600_NS6detail15normal_iteratorINSA_10device_ptrIiEEEEPS6_SG_NS0_5tupleIJNSA_16discard_iteratorINSA_11use_defaultEEESF_EEENSH_IJSG_SG_EEES6_PlJ7is_evenIiEEEE10hipError_tPvRmT3_T4_T5_T6_T7_T9_mT8_P12ihipStream_tbDpT10_ENKUlT_T0_E_clISt17integral_constantIbLb1EES19_EEDaS14_S15_EUlS14_E_NS1_11comp_targetILNS1_3genE3ELNS1_11target_archE908ELNS1_3gpuE7ELNS1_3repE0EEENS1_30default_config_static_selectorELNS0_4arch9wavefront6targetE1EEEvT1_,"axG",@progbits,_ZN7rocprim17ROCPRIM_400000_NS6detail17trampoline_kernelINS0_14default_configENS1_25partition_config_selectorILNS1_17partition_subalgoE0EiNS0_10empty_typeEbEEZZNS1_14partition_implILS5_0ELb0ES3_jN6thrust23THRUST_200600_302600_NS6detail15normal_iteratorINSA_10device_ptrIiEEEEPS6_SG_NS0_5tupleIJNSA_16discard_iteratorINSA_11use_defaultEEESF_EEENSH_IJSG_SG_EEES6_PlJ7is_evenIiEEEE10hipError_tPvRmT3_T4_T5_T6_T7_T9_mT8_P12ihipStream_tbDpT10_ENKUlT_T0_E_clISt17integral_constantIbLb1EES19_EEDaS14_S15_EUlS14_E_NS1_11comp_targetILNS1_3genE3ELNS1_11target_archE908ELNS1_3gpuE7ELNS1_3repE0EEENS1_30default_config_static_selectorELNS0_4arch9wavefront6targetE1EEEvT1_,comdat
	.protected	_ZN7rocprim17ROCPRIM_400000_NS6detail17trampoline_kernelINS0_14default_configENS1_25partition_config_selectorILNS1_17partition_subalgoE0EiNS0_10empty_typeEbEEZZNS1_14partition_implILS5_0ELb0ES3_jN6thrust23THRUST_200600_302600_NS6detail15normal_iteratorINSA_10device_ptrIiEEEEPS6_SG_NS0_5tupleIJNSA_16discard_iteratorINSA_11use_defaultEEESF_EEENSH_IJSG_SG_EEES6_PlJ7is_evenIiEEEE10hipError_tPvRmT3_T4_T5_T6_T7_T9_mT8_P12ihipStream_tbDpT10_ENKUlT_T0_E_clISt17integral_constantIbLb1EES19_EEDaS14_S15_EUlS14_E_NS1_11comp_targetILNS1_3genE3ELNS1_11target_archE908ELNS1_3gpuE7ELNS1_3repE0EEENS1_30default_config_static_selectorELNS0_4arch9wavefront6targetE1EEEvT1_ ; -- Begin function _ZN7rocprim17ROCPRIM_400000_NS6detail17trampoline_kernelINS0_14default_configENS1_25partition_config_selectorILNS1_17partition_subalgoE0EiNS0_10empty_typeEbEEZZNS1_14partition_implILS5_0ELb0ES3_jN6thrust23THRUST_200600_302600_NS6detail15normal_iteratorINSA_10device_ptrIiEEEEPS6_SG_NS0_5tupleIJNSA_16discard_iteratorINSA_11use_defaultEEESF_EEENSH_IJSG_SG_EEES6_PlJ7is_evenIiEEEE10hipError_tPvRmT3_T4_T5_T6_T7_T9_mT8_P12ihipStream_tbDpT10_ENKUlT_T0_E_clISt17integral_constantIbLb1EES19_EEDaS14_S15_EUlS14_E_NS1_11comp_targetILNS1_3genE3ELNS1_11target_archE908ELNS1_3gpuE7ELNS1_3repE0EEENS1_30default_config_static_selectorELNS0_4arch9wavefront6targetE1EEEvT1_
	.globl	_ZN7rocprim17ROCPRIM_400000_NS6detail17trampoline_kernelINS0_14default_configENS1_25partition_config_selectorILNS1_17partition_subalgoE0EiNS0_10empty_typeEbEEZZNS1_14partition_implILS5_0ELb0ES3_jN6thrust23THRUST_200600_302600_NS6detail15normal_iteratorINSA_10device_ptrIiEEEEPS6_SG_NS0_5tupleIJNSA_16discard_iteratorINSA_11use_defaultEEESF_EEENSH_IJSG_SG_EEES6_PlJ7is_evenIiEEEE10hipError_tPvRmT3_T4_T5_T6_T7_T9_mT8_P12ihipStream_tbDpT10_ENKUlT_T0_E_clISt17integral_constantIbLb1EES19_EEDaS14_S15_EUlS14_E_NS1_11comp_targetILNS1_3genE3ELNS1_11target_archE908ELNS1_3gpuE7ELNS1_3repE0EEENS1_30default_config_static_selectorELNS0_4arch9wavefront6targetE1EEEvT1_
	.p2align	8
	.type	_ZN7rocprim17ROCPRIM_400000_NS6detail17trampoline_kernelINS0_14default_configENS1_25partition_config_selectorILNS1_17partition_subalgoE0EiNS0_10empty_typeEbEEZZNS1_14partition_implILS5_0ELb0ES3_jN6thrust23THRUST_200600_302600_NS6detail15normal_iteratorINSA_10device_ptrIiEEEEPS6_SG_NS0_5tupleIJNSA_16discard_iteratorINSA_11use_defaultEEESF_EEENSH_IJSG_SG_EEES6_PlJ7is_evenIiEEEE10hipError_tPvRmT3_T4_T5_T6_T7_T9_mT8_P12ihipStream_tbDpT10_ENKUlT_T0_E_clISt17integral_constantIbLb1EES19_EEDaS14_S15_EUlS14_E_NS1_11comp_targetILNS1_3genE3ELNS1_11target_archE908ELNS1_3gpuE7ELNS1_3repE0EEENS1_30default_config_static_selectorELNS0_4arch9wavefront6targetE1EEEvT1_,@function
_ZN7rocprim17ROCPRIM_400000_NS6detail17trampoline_kernelINS0_14default_configENS1_25partition_config_selectorILNS1_17partition_subalgoE0EiNS0_10empty_typeEbEEZZNS1_14partition_implILS5_0ELb0ES3_jN6thrust23THRUST_200600_302600_NS6detail15normal_iteratorINSA_10device_ptrIiEEEEPS6_SG_NS0_5tupleIJNSA_16discard_iteratorINSA_11use_defaultEEESF_EEENSH_IJSG_SG_EEES6_PlJ7is_evenIiEEEE10hipError_tPvRmT3_T4_T5_T6_T7_T9_mT8_P12ihipStream_tbDpT10_ENKUlT_T0_E_clISt17integral_constantIbLb1EES19_EEDaS14_S15_EUlS14_E_NS1_11comp_targetILNS1_3genE3ELNS1_11target_archE908ELNS1_3gpuE7ELNS1_3repE0EEENS1_30default_config_static_selectorELNS0_4arch9wavefront6targetE1EEEvT1_: ; @_ZN7rocprim17ROCPRIM_400000_NS6detail17trampoline_kernelINS0_14default_configENS1_25partition_config_selectorILNS1_17partition_subalgoE0EiNS0_10empty_typeEbEEZZNS1_14partition_implILS5_0ELb0ES3_jN6thrust23THRUST_200600_302600_NS6detail15normal_iteratorINSA_10device_ptrIiEEEEPS6_SG_NS0_5tupleIJNSA_16discard_iteratorINSA_11use_defaultEEESF_EEENSH_IJSG_SG_EEES6_PlJ7is_evenIiEEEE10hipError_tPvRmT3_T4_T5_T6_T7_T9_mT8_P12ihipStream_tbDpT10_ENKUlT_T0_E_clISt17integral_constantIbLb1EES19_EEDaS14_S15_EUlS14_E_NS1_11comp_targetILNS1_3genE3ELNS1_11target_archE908ELNS1_3gpuE7ELNS1_3repE0EEENS1_30default_config_static_selectorELNS0_4arch9wavefront6targetE1EEEvT1_
; %bb.0:
	.section	.rodata,"a",@progbits
	.p2align	6, 0x0
	.amdhsa_kernel _ZN7rocprim17ROCPRIM_400000_NS6detail17trampoline_kernelINS0_14default_configENS1_25partition_config_selectorILNS1_17partition_subalgoE0EiNS0_10empty_typeEbEEZZNS1_14partition_implILS5_0ELb0ES3_jN6thrust23THRUST_200600_302600_NS6detail15normal_iteratorINSA_10device_ptrIiEEEEPS6_SG_NS0_5tupleIJNSA_16discard_iteratorINSA_11use_defaultEEESF_EEENSH_IJSG_SG_EEES6_PlJ7is_evenIiEEEE10hipError_tPvRmT3_T4_T5_T6_T7_T9_mT8_P12ihipStream_tbDpT10_ENKUlT_T0_E_clISt17integral_constantIbLb1EES19_EEDaS14_S15_EUlS14_E_NS1_11comp_targetILNS1_3genE3ELNS1_11target_archE908ELNS1_3gpuE7ELNS1_3repE0EEENS1_30default_config_static_selectorELNS0_4arch9wavefront6targetE1EEEvT1_
		.amdhsa_group_segment_fixed_size 0
		.amdhsa_private_segment_fixed_size 0
		.amdhsa_kernarg_size 144
		.amdhsa_user_sgpr_count 2
		.amdhsa_user_sgpr_dispatch_ptr 0
		.amdhsa_user_sgpr_queue_ptr 0
		.amdhsa_user_sgpr_kernarg_segment_ptr 1
		.amdhsa_user_sgpr_dispatch_id 0
		.amdhsa_user_sgpr_kernarg_preload_length 0
		.amdhsa_user_sgpr_kernarg_preload_offset 0
		.amdhsa_user_sgpr_private_segment_size 0
		.amdhsa_uses_dynamic_stack 0
		.amdhsa_enable_private_segment 0
		.amdhsa_system_sgpr_workgroup_id_x 1
		.amdhsa_system_sgpr_workgroup_id_y 0
		.amdhsa_system_sgpr_workgroup_id_z 0
		.amdhsa_system_sgpr_workgroup_info 0
		.amdhsa_system_vgpr_workitem_id 0
		.amdhsa_next_free_vgpr 1
		.amdhsa_next_free_sgpr 0
		.amdhsa_accum_offset 4
		.amdhsa_reserve_vcc 0
		.amdhsa_float_round_mode_32 0
		.amdhsa_float_round_mode_16_64 0
		.amdhsa_float_denorm_mode_32 3
		.amdhsa_float_denorm_mode_16_64 3
		.amdhsa_dx10_clamp 1
		.amdhsa_ieee_mode 1
		.amdhsa_fp16_overflow 0
		.amdhsa_tg_split 0
		.amdhsa_exception_fp_ieee_invalid_op 0
		.amdhsa_exception_fp_denorm_src 0
		.amdhsa_exception_fp_ieee_div_zero 0
		.amdhsa_exception_fp_ieee_overflow 0
		.amdhsa_exception_fp_ieee_underflow 0
		.amdhsa_exception_fp_ieee_inexact 0
		.amdhsa_exception_int_div_zero 0
	.end_amdhsa_kernel
	.section	.text._ZN7rocprim17ROCPRIM_400000_NS6detail17trampoline_kernelINS0_14default_configENS1_25partition_config_selectorILNS1_17partition_subalgoE0EiNS0_10empty_typeEbEEZZNS1_14partition_implILS5_0ELb0ES3_jN6thrust23THRUST_200600_302600_NS6detail15normal_iteratorINSA_10device_ptrIiEEEEPS6_SG_NS0_5tupleIJNSA_16discard_iteratorINSA_11use_defaultEEESF_EEENSH_IJSG_SG_EEES6_PlJ7is_evenIiEEEE10hipError_tPvRmT3_T4_T5_T6_T7_T9_mT8_P12ihipStream_tbDpT10_ENKUlT_T0_E_clISt17integral_constantIbLb1EES19_EEDaS14_S15_EUlS14_E_NS1_11comp_targetILNS1_3genE3ELNS1_11target_archE908ELNS1_3gpuE7ELNS1_3repE0EEENS1_30default_config_static_selectorELNS0_4arch9wavefront6targetE1EEEvT1_,"axG",@progbits,_ZN7rocprim17ROCPRIM_400000_NS6detail17trampoline_kernelINS0_14default_configENS1_25partition_config_selectorILNS1_17partition_subalgoE0EiNS0_10empty_typeEbEEZZNS1_14partition_implILS5_0ELb0ES3_jN6thrust23THRUST_200600_302600_NS6detail15normal_iteratorINSA_10device_ptrIiEEEEPS6_SG_NS0_5tupleIJNSA_16discard_iteratorINSA_11use_defaultEEESF_EEENSH_IJSG_SG_EEES6_PlJ7is_evenIiEEEE10hipError_tPvRmT3_T4_T5_T6_T7_T9_mT8_P12ihipStream_tbDpT10_ENKUlT_T0_E_clISt17integral_constantIbLb1EES19_EEDaS14_S15_EUlS14_E_NS1_11comp_targetILNS1_3genE3ELNS1_11target_archE908ELNS1_3gpuE7ELNS1_3repE0EEENS1_30default_config_static_selectorELNS0_4arch9wavefront6targetE1EEEvT1_,comdat
.Lfunc_end2758:
	.size	_ZN7rocprim17ROCPRIM_400000_NS6detail17trampoline_kernelINS0_14default_configENS1_25partition_config_selectorILNS1_17partition_subalgoE0EiNS0_10empty_typeEbEEZZNS1_14partition_implILS5_0ELb0ES3_jN6thrust23THRUST_200600_302600_NS6detail15normal_iteratorINSA_10device_ptrIiEEEEPS6_SG_NS0_5tupleIJNSA_16discard_iteratorINSA_11use_defaultEEESF_EEENSH_IJSG_SG_EEES6_PlJ7is_evenIiEEEE10hipError_tPvRmT3_T4_T5_T6_T7_T9_mT8_P12ihipStream_tbDpT10_ENKUlT_T0_E_clISt17integral_constantIbLb1EES19_EEDaS14_S15_EUlS14_E_NS1_11comp_targetILNS1_3genE3ELNS1_11target_archE908ELNS1_3gpuE7ELNS1_3repE0EEENS1_30default_config_static_selectorELNS0_4arch9wavefront6targetE1EEEvT1_, .Lfunc_end2758-_ZN7rocprim17ROCPRIM_400000_NS6detail17trampoline_kernelINS0_14default_configENS1_25partition_config_selectorILNS1_17partition_subalgoE0EiNS0_10empty_typeEbEEZZNS1_14partition_implILS5_0ELb0ES3_jN6thrust23THRUST_200600_302600_NS6detail15normal_iteratorINSA_10device_ptrIiEEEEPS6_SG_NS0_5tupleIJNSA_16discard_iteratorINSA_11use_defaultEEESF_EEENSH_IJSG_SG_EEES6_PlJ7is_evenIiEEEE10hipError_tPvRmT3_T4_T5_T6_T7_T9_mT8_P12ihipStream_tbDpT10_ENKUlT_T0_E_clISt17integral_constantIbLb1EES19_EEDaS14_S15_EUlS14_E_NS1_11comp_targetILNS1_3genE3ELNS1_11target_archE908ELNS1_3gpuE7ELNS1_3repE0EEENS1_30default_config_static_selectorELNS0_4arch9wavefront6targetE1EEEvT1_
                                        ; -- End function
	.section	.AMDGPU.csdata,"",@progbits
; Kernel info:
; codeLenInByte = 0
; NumSgprs: 6
; NumVgprs: 0
; NumAgprs: 0
; TotalNumVgprs: 0
; ScratchSize: 0
; MemoryBound: 0
; FloatMode: 240
; IeeeMode: 1
; LDSByteSize: 0 bytes/workgroup (compile time only)
; SGPRBlocks: 0
; VGPRBlocks: 0
; NumSGPRsForWavesPerEU: 6
; NumVGPRsForWavesPerEU: 1
; AccumOffset: 4
; Occupancy: 8
; WaveLimiterHint : 0
; COMPUTE_PGM_RSRC2:SCRATCH_EN: 0
; COMPUTE_PGM_RSRC2:USER_SGPR: 2
; COMPUTE_PGM_RSRC2:TRAP_HANDLER: 0
; COMPUTE_PGM_RSRC2:TGID_X_EN: 1
; COMPUTE_PGM_RSRC2:TGID_Y_EN: 0
; COMPUTE_PGM_RSRC2:TGID_Z_EN: 0
; COMPUTE_PGM_RSRC2:TIDIG_COMP_CNT: 0
; COMPUTE_PGM_RSRC3_GFX90A:ACCUM_OFFSET: 0
; COMPUTE_PGM_RSRC3_GFX90A:TG_SPLIT: 0
	.section	.text._ZN7rocprim17ROCPRIM_400000_NS6detail17trampoline_kernelINS0_14default_configENS1_25partition_config_selectorILNS1_17partition_subalgoE0EiNS0_10empty_typeEbEEZZNS1_14partition_implILS5_0ELb0ES3_jN6thrust23THRUST_200600_302600_NS6detail15normal_iteratorINSA_10device_ptrIiEEEEPS6_SG_NS0_5tupleIJNSA_16discard_iteratorINSA_11use_defaultEEESF_EEENSH_IJSG_SG_EEES6_PlJ7is_evenIiEEEE10hipError_tPvRmT3_T4_T5_T6_T7_T9_mT8_P12ihipStream_tbDpT10_ENKUlT_T0_E_clISt17integral_constantIbLb1EES19_EEDaS14_S15_EUlS14_E_NS1_11comp_targetILNS1_3genE2ELNS1_11target_archE906ELNS1_3gpuE6ELNS1_3repE0EEENS1_30default_config_static_selectorELNS0_4arch9wavefront6targetE1EEEvT1_,"axG",@progbits,_ZN7rocprim17ROCPRIM_400000_NS6detail17trampoline_kernelINS0_14default_configENS1_25partition_config_selectorILNS1_17partition_subalgoE0EiNS0_10empty_typeEbEEZZNS1_14partition_implILS5_0ELb0ES3_jN6thrust23THRUST_200600_302600_NS6detail15normal_iteratorINSA_10device_ptrIiEEEEPS6_SG_NS0_5tupleIJNSA_16discard_iteratorINSA_11use_defaultEEESF_EEENSH_IJSG_SG_EEES6_PlJ7is_evenIiEEEE10hipError_tPvRmT3_T4_T5_T6_T7_T9_mT8_P12ihipStream_tbDpT10_ENKUlT_T0_E_clISt17integral_constantIbLb1EES19_EEDaS14_S15_EUlS14_E_NS1_11comp_targetILNS1_3genE2ELNS1_11target_archE906ELNS1_3gpuE6ELNS1_3repE0EEENS1_30default_config_static_selectorELNS0_4arch9wavefront6targetE1EEEvT1_,comdat
	.protected	_ZN7rocprim17ROCPRIM_400000_NS6detail17trampoline_kernelINS0_14default_configENS1_25partition_config_selectorILNS1_17partition_subalgoE0EiNS0_10empty_typeEbEEZZNS1_14partition_implILS5_0ELb0ES3_jN6thrust23THRUST_200600_302600_NS6detail15normal_iteratorINSA_10device_ptrIiEEEEPS6_SG_NS0_5tupleIJNSA_16discard_iteratorINSA_11use_defaultEEESF_EEENSH_IJSG_SG_EEES6_PlJ7is_evenIiEEEE10hipError_tPvRmT3_T4_T5_T6_T7_T9_mT8_P12ihipStream_tbDpT10_ENKUlT_T0_E_clISt17integral_constantIbLb1EES19_EEDaS14_S15_EUlS14_E_NS1_11comp_targetILNS1_3genE2ELNS1_11target_archE906ELNS1_3gpuE6ELNS1_3repE0EEENS1_30default_config_static_selectorELNS0_4arch9wavefront6targetE1EEEvT1_ ; -- Begin function _ZN7rocprim17ROCPRIM_400000_NS6detail17trampoline_kernelINS0_14default_configENS1_25partition_config_selectorILNS1_17partition_subalgoE0EiNS0_10empty_typeEbEEZZNS1_14partition_implILS5_0ELb0ES3_jN6thrust23THRUST_200600_302600_NS6detail15normal_iteratorINSA_10device_ptrIiEEEEPS6_SG_NS0_5tupleIJNSA_16discard_iteratorINSA_11use_defaultEEESF_EEENSH_IJSG_SG_EEES6_PlJ7is_evenIiEEEE10hipError_tPvRmT3_T4_T5_T6_T7_T9_mT8_P12ihipStream_tbDpT10_ENKUlT_T0_E_clISt17integral_constantIbLb1EES19_EEDaS14_S15_EUlS14_E_NS1_11comp_targetILNS1_3genE2ELNS1_11target_archE906ELNS1_3gpuE6ELNS1_3repE0EEENS1_30default_config_static_selectorELNS0_4arch9wavefront6targetE1EEEvT1_
	.globl	_ZN7rocprim17ROCPRIM_400000_NS6detail17trampoline_kernelINS0_14default_configENS1_25partition_config_selectorILNS1_17partition_subalgoE0EiNS0_10empty_typeEbEEZZNS1_14partition_implILS5_0ELb0ES3_jN6thrust23THRUST_200600_302600_NS6detail15normal_iteratorINSA_10device_ptrIiEEEEPS6_SG_NS0_5tupleIJNSA_16discard_iteratorINSA_11use_defaultEEESF_EEENSH_IJSG_SG_EEES6_PlJ7is_evenIiEEEE10hipError_tPvRmT3_T4_T5_T6_T7_T9_mT8_P12ihipStream_tbDpT10_ENKUlT_T0_E_clISt17integral_constantIbLb1EES19_EEDaS14_S15_EUlS14_E_NS1_11comp_targetILNS1_3genE2ELNS1_11target_archE906ELNS1_3gpuE6ELNS1_3repE0EEENS1_30default_config_static_selectorELNS0_4arch9wavefront6targetE1EEEvT1_
	.p2align	8
	.type	_ZN7rocprim17ROCPRIM_400000_NS6detail17trampoline_kernelINS0_14default_configENS1_25partition_config_selectorILNS1_17partition_subalgoE0EiNS0_10empty_typeEbEEZZNS1_14partition_implILS5_0ELb0ES3_jN6thrust23THRUST_200600_302600_NS6detail15normal_iteratorINSA_10device_ptrIiEEEEPS6_SG_NS0_5tupleIJNSA_16discard_iteratorINSA_11use_defaultEEESF_EEENSH_IJSG_SG_EEES6_PlJ7is_evenIiEEEE10hipError_tPvRmT3_T4_T5_T6_T7_T9_mT8_P12ihipStream_tbDpT10_ENKUlT_T0_E_clISt17integral_constantIbLb1EES19_EEDaS14_S15_EUlS14_E_NS1_11comp_targetILNS1_3genE2ELNS1_11target_archE906ELNS1_3gpuE6ELNS1_3repE0EEENS1_30default_config_static_selectorELNS0_4arch9wavefront6targetE1EEEvT1_,@function
_ZN7rocprim17ROCPRIM_400000_NS6detail17trampoline_kernelINS0_14default_configENS1_25partition_config_selectorILNS1_17partition_subalgoE0EiNS0_10empty_typeEbEEZZNS1_14partition_implILS5_0ELb0ES3_jN6thrust23THRUST_200600_302600_NS6detail15normal_iteratorINSA_10device_ptrIiEEEEPS6_SG_NS0_5tupleIJNSA_16discard_iteratorINSA_11use_defaultEEESF_EEENSH_IJSG_SG_EEES6_PlJ7is_evenIiEEEE10hipError_tPvRmT3_T4_T5_T6_T7_T9_mT8_P12ihipStream_tbDpT10_ENKUlT_T0_E_clISt17integral_constantIbLb1EES19_EEDaS14_S15_EUlS14_E_NS1_11comp_targetILNS1_3genE2ELNS1_11target_archE906ELNS1_3gpuE6ELNS1_3repE0EEENS1_30default_config_static_selectorELNS0_4arch9wavefront6targetE1EEEvT1_: ; @_ZN7rocprim17ROCPRIM_400000_NS6detail17trampoline_kernelINS0_14default_configENS1_25partition_config_selectorILNS1_17partition_subalgoE0EiNS0_10empty_typeEbEEZZNS1_14partition_implILS5_0ELb0ES3_jN6thrust23THRUST_200600_302600_NS6detail15normal_iteratorINSA_10device_ptrIiEEEEPS6_SG_NS0_5tupleIJNSA_16discard_iteratorINSA_11use_defaultEEESF_EEENSH_IJSG_SG_EEES6_PlJ7is_evenIiEEEE10hipError_tPvRmT3_T4_T5_T6_T7_T9_mT8_P12ihipStream_tbDpT10_ENKUlT_T0_E_clISt17integral_constantIbLb1EES19_EEDaS14_S15_EUlS14_E_NS1_11comp_targetILNS1_3genE2ELNS1_11target_archE906ELNS1_3gpuE6ELNS1_3repE0EEENS1_30default_config_static_selectorELNS0_4arch9wavefront6targetE1EEEvT1_
; %bb.0:
	.section	.rodata,"a",@progbits
	.p2align	6, 0x0
	.amdhsa_kernel _ZN7rocprim17ROCPRIM_400000_NS6detail17trampoline_kernelINS0_14default_configENS1_25partition_config_selectorILNS1_17partition_subalgoE0EiNS0_10empty_typeEbEEZZNS1_14partition_implILS5_0ELb0ES3_jN6thrust23THRUST_200600_302600_NS6detail15normal_iteratorINSA_10device_ptrIiEEEEPS6_SG_NS0_5tupleIJNSA_16discard_iteratorINSA_11use_defaultEEESF_EEENSH_IJSG_SG_EEES6_PlJ7is_evenIiEEEE10hipError_tPvRmT3_T4_T5_T6_T7_T9_mT8_P12ihipStream_tbDpT10_ENKUlT_T0_E_clISt17integral_constantIbLb1EES19_EEDaS14_S15_EUlS14_E_NS1_11comp_targetILNS1_3genE2ELNS1_11target_archE906ELNS1_3gpuE6ELNS1_3repE0EEENS1_30default_config_static_selectorELNS0_4arch9wavefront6targetE1EEEvT1_
		.amdhsa_group_segment_fixed_size 0
		.amdhsa_private_segment_fixed_size 0
		.amdhsa_kernarg_size 144
		.amdhsa_user_sgpr_count 2
		.amdhsa_user_sgpr_dispatch_ptr 0
		.amdhsa_user_sgpr_queue_ptr 0
		.amdhsa_user_sgpr_kernarg_segment_ptr 1
		.amdhsa_user_sgpr_dispatch_id 0
		.amdhsa_user_sgpr_kernarg_preload_length 0
		.amdhsa_user_sgpr_kernarg_preload_offset 0
		.amdhsa_user_sgpr_private_segment_size 0
		.amdhsa_uses_dynamic_stack 0
		.amdhsa_enable_private_segment 0
		.amdhsa_system_sgpr_workgroup_id_x 1
		.amdhsa_system_sgpr_workgroup_id_y 0
		.amdhsa_system_sgpr_workgroup_id_z 0
		.amdhsa_system_sgpr_workgroup_info 0
		.amdhsa_system_vgpr_workitem_id 0
		.amdhsa_next_free_vgpr 1
		.amdhsa_next_free_sgpr 0
		.amdhsa_accum_offset 4
		.amdhsa_reserve_vcc 0
		.amdhsa_float_round_mode_32 0
		.amdhsa_float_round_mode_16_64 0
		.amdhsa_float_denorm_mode_32 3
		.amdhsa_float_denorm_mode_16_64 3
		.amdhsa_dx10_clamp 1
		.amdhsa_ieee_mode 1
		.amdhsa_fp16_overflow 0
		.amdhsa_tg_split 0
		.amdhsa_exception_fp_ieee_invalid_op 0
		.amdhsa_exception_fp_denorm_src 0
		.amdhsa_exception_fp_ieee_div_zero 0
		.amdhsa_exception_fp_ieee_overflow 0
		.amdhsa_exception_fp_ieee_underflow 0
		.amdhsa_exception_fp_ieee_inexact 0
		.amdhsa_exception_int_div_zero 0
	.end_amdhsa_kernel
	.section	.text._ZN7rocprim17ROCPRIM_400000_NS6detail17trampoline_kernelINS0_14default_configENS1_25partition_config_selectorILNS1_17partition_subalgoE0EiNS0_10empty_typeEbEEZZNS1_14partition_implILS5_0ELb0ES3_jN6thrust23THRUST_200600_302600_NS6detail15normal_iteratorINSA_10device_ptrIiEEEEPS6_SG_NS0_5tupleIJNSA_16discard_iteratorINSA_11use_defaultEEESF_EEENSH_IJSG_SG_EEES6_PlJ7is_evenIiEEEE10hipError_tPvRmT3_T4_T5_T6_T7_T9_mT8_P12ihipStream_tbDpT10_ENKUlT_T0_E_clISt17integral_constantIbLb1EES19_EEDaS14_S15_EUlS14_E_NS1_11comp_targetILNS1_3genE2ELNS1_11target_archE906ELNS1_3gpuE6ELNS1_3repE0EEENS1_30default_config_static_selectorELNS0_4arch9wavefront6targetE1EEEvT1_,"axG",@progbits,_ZN7rocprim17ROCPRIM_400000_NS6detail17trampoline_kernelINS0_14default_configENS1_25partition_config_selectorILNS1_17partition_subalgoE0EiNS0_10empty_typeEbEEZZNS1_14partition_implILS5_0ELb0ES3_jN6thrust23THRUST_200600_302600_NS6detail15normal_iteratorINSA_10device_ptrIiEEEEPS6_SG_NS0_5tupleIJNSA_16discard_iteratorINSA_11use_defaultEEESF_EEENSH_IJSG_SG_EEES6_PlJ7is_evenIiEEEE10hipError_tPvRmT3_T4_T5_T6_T7_T9_mT8_P12ihipStream_tbDpT10_ENKUlT_T0_E_clISt17integral_constantIbLb1EES19_EEDaS14_S15_EUlS14_E_NS1_11comp_targetILNS1_3genE2ELNS1_11target_archE906ELNS1_3gpuE6ELNS1_3repE0EEENS1_30default_config_static_selectorELNS0_4arch9wavefront6targetE1EEEvT1_,comdat
.Lfunc_end2759:
	.size	_ZN7rocprim17ROCPRIM_400000_NS6detail17trampoline_kernelINS0_14default_configENS1_25partition_config_selectorILNS1_17partition_subalgoE0EiNS0_10empty_typeEbEEZZNS1_14partition_implILS5_0ELb0ES3_jN6thrust23THRUST_200600_302600_NS6detail15normal_iteratorINSA_10device_ptrIiEEEEPS6_SG_NS0_5tupleIJNSA_16discard_iteratorINSA_11use_defaultEEESF_EEENSH_IJSG_SG_EEES6_PlJ7is_evenIiEEEE10hipError_tPvRmT3_T4_T5_T6_T7_T9_mT8_P12ihipStream_tbDpT10_ENKUlT_T0_E_clISt17integral_constantIbLb1EES19_EEDaS14_S15_EUlS14_E_NS1_11comp_targetILNS1_3genE2ELNS1_11target_archE906ELNS1_3gpuE6ELNS1_3repE0EEENS1_30default_config_static_selectorELNS0_4arch9wavefront6targetE1EEEvT1_, .Lfunc_end2759-_ZN7rocprim17ROCPRIM_400000_NS6detail17trampoline_kernelINS0_14default_configENS1_25partition_config_selectorILNS1_17partition_subalgoE0EiNS0_10empty_typeEbEEZZNS1_14partition_implILS5_0ELb0ES3_jN6thrust23THRUST_200600_302600_NS6detail15normal_iteratorINSA_10device_ptrIiEEEEPS6_SG_NS0_5tupleIJNSA_16discard_iteratorINSA_11use_defaultEEESF_EEENSH_IJSG_SG_EEES6_PlJ7is_evenIiEEEE10hipError_tPvRmT3_T4_T5_T6_T7_T9_mT8_P12ihipStream_tbDpT10_ENKUlT_T0_E_clISt17integral_constantIbLb1EES19_EEDaS14_S15_EUlS14_E_NS1_11comp_targetILNS1_3genE2ELNS1_11target_archE906ELNS1_3gpuE6ELNS1_3repE0EEENS1_30default_config_static_selectorELNS0_4arch9wavefront6targetE1EEEvT1_
                                        ; -- End function
	.section	.AMDGPU.csdata,"",@progbits
; Kernel info:
; codeLenInByte = 0
; NumSgprs: 6
; NumVgprs: 0
; NumAgprs: 0
; TotalNumVgprs: 0
; ScratchSize: 0
; MemoryBound: 0
; FloatMode: 240
; IeeeMode: 1
; LDSByteSize: 0 bytes/workgroup (compile time only)
; SGPRBlocks: 0
; VGPRBlocks: 0
; NumSGPRsForWavesPerEU: 6
; NumVGPRsForWavesPerEU: 1
; AccumOffset: 4
; Occupancy: 8
; WaveLimiterHint : 0
; COMPUTE_PGM_RSRC2:SCRATCH_EN: 0
; COMPUTE_PGM_RSRC2:USER_SGPR: 2
; COMPUTE_PGM_RSRC2:TRAP_HANDLER: 0
; COMPUTE_PGM_RSRC2:TGID_X_EN: 1
; COMPUTE_PGM_RSRC2:TGID_Y_EN: 0
; COMPUTE_PGM_RSRC2:TGID_Z_EN: 0
; COMPUTE_PGM_RSRC2:TIDIG_COMP_CNT: 0
; COMPUTE_PGM_RSRC3_GFX90A:ACCUM_OFFSET: 0
; COMPUTE_PGM_RSRC3_GFX90A:TG_SPLIT: 0
	.section	.text._ZN7rocprim17ROCPRIM_400000_NS6detail17trampoline_kernelINS0_14default_configENS1_25partition_config_selectorILNS1_17partition_subalgoE0EiNS0_10empty_typeEbEEZZNS1_14partition_implILS5_0ELb0ES3_jN6thrust23THRUST_200600_302600_NS6detail15normal_iteratorINSA_10device_ptrIiEEEEPS6_SG_NS0_5tupleIJNSA_16discard_iteratorINSA_11use_defaultEEESF_EEENSH_IJSG_SG_EEES6_PlJ7is_evenIiEEEE10hipError_tPvRmT3_T4_T5_T6_T7_T9_mT8_P12ihipStream_tbDpT10_ENKUlT_T0_E_clISt17integral_constantIbLb1EES19_EEDaS14_S15_EUlS14_E_NS1_11comp_targetILNS1_3genE10ELNS1_11target_archE1200ELNS1_3gpuE4ELNS1_3repE0EEENS1_30default_config_static_selectorELNS0_4arch9wavefront6targetE1EEEvT1_,"axG",@progbits,_ZN7rocprim17ROCPRIM_400000_NS6detail17trampoline_kernelINS0_14default_configENS1_25partition_config_selectorILNS1_17partition_subalgoE0EiNS0_10empty_typeEbEEZZNS1_14partition_implILS5_0ELb0ES3_jN6thrust23THRUST_200600_302600_NS6detail15normal_iteratorINSA_10device_ptrIiEEEEPS6_SG_NS0_5tupleIJNSA_16discard_iteratorINSA_11use_defaultEEESF_EEENSH_IJSG_SG_EEES6_PlJ7is_evenIiEEEE10hipError_tPvRmT3_T4_T5_T6_T7_T9_mT8_P12ihipStream_tbDpT10_ENKUlT_T0_E_clISt17integral_constantIbLb1EES19_EEDaS14_S15_EUlS14_E_NS1_11comp_targetILNS1_3genE10ELNS1_11target_archE1200ELNS1_3gpuE4ELNS1_3repE0EEENS1_30default_config_static_selectorELNS0_4arch9wavefront6targetE1EEEvT1_,comdat
	.protected	_ZN7rocprim17ROCPRIM_400000_NS6detail17trampoline_kernelINS0_14default_configENS1_25partition_config_selectorILNS1_17partition_subalgoE0EiNS0_10empty_typeEbEEZZNS1_14partition_implILS5_0ELb0ES3_jN6thrust23THRUST_200600_302600_NS6detail15normal_iteratorINSA_10device_ptrIiEEEEPS6_SG_NS0_5tupleIJNSA_16discard_iteratorINSA_11use_defaultEEESF_EEENSH_IJSG_SG_EEES6_PlJ7is_evenIiEEEE10hipError_tPvRmT3_T4_T5_T6_T7_T9_mT8_P12ihipStream_tbDpT10_ENKUlT_T0_E_clISt17integral_constantIbLb1EES19_EEDaS14_S15_EUlS14_E_NS1_11comp_targetILNS1_3genE10ELNS1_11target_archE1200ELNS1_3gpuE4ELNS1_3repE0EEENS1_30default_config_static_selectorELNS0_4arch9wavefront6targetE1EEEvT1_ ; -- Begin function _ZN7rocprim17ROCPRIM_400000_NS6detail17trampoline_kernelINS0_14default_configENS1_25partition_config_selectorILNS1_17partition_subalgoE0EiNS0_10empty_typeEbEEZZNS1_14partition_implILS5_0ELb0ES3_jN6thrust23THRUST_200600_302600_NS6detail15normal_iteratorINSA_10device_ptrIiEEEEPS6_SG_NS0_5tupleIJNSA_16discard_iteratorINSA_11use_defaultEEESF_EEENSH_IJSG_SG_EEES6_PlJ7is_evenIiEEEE10hipError_tPvRmT3_T4_T5_T6_T7_T9_mT8_P12ihipStream_tbDpT10_ENKUlT_T0_E_clISt17integral_constantIbLb1EES19_EEDaS14_S15_EUlS14_E_NS1_11comp_targetILNS1_3genE10ELNS1_11target_archE1200ELNS1_3gpuE4ELNS1_3repE0EEENS1_30default_config_static_selectorELNS0_4arch9wavefront6targetE1EEEvT1_
	.globl	_ZN7rocprim17ROCPRIM_400000_NS6detail17trampoline_kernelINS0_14default_configENS1_25partition_config_selectorILNS1_17partition_subalgoE0EiNS0_10empty_typeEbEEZZNS1_14partition_implILS5_0ELb0ES3_jN6thrust23THRUST_200600_302600_NS6detail15normal_iteratorINSA_10device_ptrIiEEEEPS6_SG_NS0_5tupleIJNSA_16discard_iteratorINSA_11use_defaultEEESF_EEENSH_IJSG_SG_EEES6_PlJ7is_evenIiEEEE10hipError_tPvRmT3_T4_T5_T6_T7_T9_mT8_P12ihipStream_tbDpT10_ENKUlT_T0_E_clISt17integral_constantIbLb1EES19_EEDaS14_S15_EUlS14_E_NS1_11comp_targetILNS1_3genE10ELNS1_11target_archE1200ELNS1_3gpuE4ELNS1_3repE0EEENS1_30default_config_static_selectorELNS0_4arch9wavefront6targetE1EEEvT1_
	.p2align	8
	.type	_ZN7rocprim17ROCPRIM_400000_NS6detail17trampoline_kernelINS0_14default_configENS1_25partition_config_selectorILNS1_17partition_subalgoE0EiNS0_10empty_typeEbEEZZNS1_14partition_implILS5_0ELb0ES3_jN6thrust23THRUST_200600_302600_NS6detail15normal_iteratorINSA_10device_ptrIiEEEEPS6_SG_NS0_5tupleIJNSA_16discard_iteratorINSA_11use_defaultEEESF_EEENSH_IJSG_SG_EEES6_PlJ7is_evenIiEEEE10hipError_tPvRmT3_T4_T5_T6_T7_T9_mT8_P12ihipStream_tbDpT10_ENKUlT_T0_E_clISt17integral_constantIbLb1EES19_EEDaS14_S15_EUlS14_E_NS1_11comp_targetILNS1_3genE10ELNS1_11target_archE1200ELNS1_3gpuE4ELNS1_3repE0EEENS1_30default_config_static_selectorELNS0_4arch9wavefront6targetE1EEEvT1_,@function
_ZN7rocprim17ROCPRIM_400000_NS6detail17trampoline_kernelINS0_14default_configENS1_25partition_config_selectorILNS1_17partition_subalgoE0EiNS0_10empty_typeEbEEZZNS1_14partition_implILS5_0ELb0ES3_jN6thrust23THRUST_200600_302600_NS6detail15normal_iteratorINSA_10device_ptrIiEEEEPS6_SG_NS0_5tupleIJNSA_16discard_iteratorINSA_11use_defaultEEESF_EEENSH_IJSG_SG_EEES6_PlJ7is_evenIiEEEE10hipError_tPvRmT3_T4_T5_T6_T7_T9_mT8_P12ihipStream_tbDpT10_ENKUlT_T0_E_clISt17integral_constantIbLb1EES19_EEDaS14_S15_EUlS14_E_NS1_11comp_targetILNS1_3genE10ELNS1_11target_archE1200ELNS1_3gpuE4ELNS1_3repE0EEENS1_30default_config_static_selectorELNS0_4arch9wavefront6targetE1EEEvT1_: ; @_ZN7rocprim17ROCPRIM_400000_NS6detail17trampoline_kernelINS0_14default_configENS1_25partition_config_selectorILNS1_17partition_subalgoE0EiNS0_10empty_typeEbEEZZNS1_14partition_implILS5_0ELb0ES3_jN6thrust23THRUST_200600_302600_NS6detail15normal_iteratorINSA_10device_ptrIiEEEEPS6_SG_NS0_5tupleIJNSA_16discard_iteratorINSA_11use_defaultEEESF_EEENSH_IJSG_SG_EEES6_PlJ7is_evenIiEEEE10hipError_tPvRmT3_T4_T5_T6_T7_T9_mT8_P12ihipStream_tbDpT10_ENKUlT_T0_E_clISt17integral_constantIbLb1EES19_EEDaS14_S15_EUlS14_E_NS1_11comp_targetILNS1_3genE10ELNS1_11target_archE1200ELNS1_3gpuE4ELNS1_3repE0EEENS1_30default_config_static_selectorELNS0_4arch9wavefront6targetE1EEEvT1_
; %bb.0:
	.section	.rodata,"a",@progbits
	.p2align	6, 0x0
	.amdhsa_kernel _ZN7rocprim17ROCPRIM_400000_NS6detail17trampoline_kernelINS0_14default_configENS1_25partition_config_selectorILNS1_17partition_subalgoE0EiNS0_10empty_typeEbEEZZNS1_14partition_implILS5_0ELb0ES3_jN6thrust23THRUST_200600_302600_NS6detail15normal_iteratorINSA_10device_ptrIiEEEEPS6_SG_NS0_5tupleIJNSA_16discard_iteratorINSA_11use_defaultEEESF_EEENSH_IJSG_SG_EEES6_PlJ7is_evenIiEEEE10hipError_tPvRmT3_T4_T5_T6_T7_T9_mT8_P12ihipStream_tbDpT10_ENKUlT_T0_E_clISt17integral_constantIbLb1EES19_EEDaS14_S15_EUlS14_E_NS1_11comp_targetILNS1_3genE10ELNS1_11target_archE1200ELNS1_3gpuE4ELNS1_3repE0EEENS1_30default_config_static_selectorELNS0_4arch9wavefront6targetE1EEEvT1_
		.amdhsa_group_segment_fixed_size 0
		.amdhsa_private_segment_fixed_size 0
		.amdhsa_kernarg_size 144
		.amdhsa_user_sgpr_count 2
		.amdhsa_user_sgpr_dispatch_ptr 0
		.amdhsa_user_sgpr_queue_ptr 0
		.amdhsa_user_sgpr_kernarg_segment_ptr 1
		.amdhsa_user_sgpr_dispatch_id 0
		.amdhsa_user_sgpr_kernarg_preload_length 0
		.amdhsa_user_sgpr_kernarg_preload_offset 0
		.amdhsa_user_sgpr_private_segment_size 0
		.amdhsa_uses_dynamic_stack 0
		.amdhsa_enable_private_segment 0
		.amdhsa_system_sgpr_workgroup_id_x 1
		.amdhsa_system_sgpr_workgroup_id_y 0
		.amdhsa_system_sgpr_workgroup_id_z 0
		.amdhsa_system_sgpr_workgroup_info 0
		.amdhsa_system_vgpr_workitem_id 0
		.amdhsa_next_free_vgpr 1
		.amdhsa_next_free_sgpr 0
		.amdhsa_accum_offset 4
		.amdhsa_reserve_vcc 0
		.amdhsa_float_round_mode_32 0
		.amdhsa_float_round_mode_16_64 0
		.amdhsa_float_denorm_mode_32 3
		.amdhsa_float_denorm_mode_16_64 3
		.amdhsa_dx10_clamp 1
		.amdhsa_ieee_mode 1
		.amdhsa_fp16_overflow 0
		.amdhsa_tg_split 0
		.amdhsa_exception_fp_ieee_invalid_op 0
		.amdhsa_exception_fp_denorm_src 0
		.amdhsa_exception_fp_ieee_div_zero 0
		.amdhsa_exception_fp_ieee_overflow 0
		.amdhsa_exception_fp_ieee_underflow 0
		.amdhsa_exception_fp_ieee_inexact 0
		.amdhsa_exception_int_div_zero 0
	.end_amdhsa_kernel
	.section	.text._ZN7rocprim17ROCPRIM_400000_NS6detail17trampoline_kernelINS0_14default_configENS1_25partition_config_selectorILNS1_17partition_subalgoE0EiNS0_10empty_typeEbEEZZNS1_14partition_implILS5_0ELb0ES3_jN6thrust23THRUST_200600_302600_NS6detail15normal_iteratorINSA_10device_ptrIiEEEEPS6_SG_NS0_5tupleIJNSA_16discard_iteratorINSA_11use_defaultEEESF_EEENSH_IJSG_SG_EEES6_PlJ7is_evenIiEEEE10hipError_tPvRmT3_T4_T5_T6_T7_T9_mT8_P12ihipStream_tbDpT10_ENKUlT_T0_E_clISt17integral_constantIbLb1EES19_EEDaS14_S15_EUlS14_E_NS1_11comp_targetILNS1_3genE10ELNS1_11target_archE1200ELNS1_3gpuE4ELNS1_3repE0EEENS1_30default_config_static_selectorELNS0_4arch9wavefront6targetE1EEEvT1_,"axG",@progbits,_ZN7rocprim17ROCPRIM_400000_NS6detail17trampoline_kernelINS0_14default_configENS1_25partition_config_selectorILNS1_17partition_subalgoE0EiNS0_10empty_typeEbEEZZNS1_14partition_implILS5_0ELb0ES3_jN6thrust23THRUST_200600_302600_NS6detail15normal_iteratorINSA_10device_ptrIiEEEEPS6_SG_NS0_5tupleIJNSA_16discard_iteratorINSA_11use_defaultEEESF_EEENSH_IJSG_SG_EEES6_PlJ7is_evenIiEEEE10hipError_tPvRmT3_T4_T5_T6_T7_T9_mT8_P12ihipStream_tbDpT10_ENKUlT_T0_E_clISt17integral_constantIbLb1EES19_EEDaS14_S15_EUlS14_E_NS1_11comp_targetILNS1_3genE10ELNS1_11target_archE1200ELNS1_3gpuE4ELNS1_3repE0EEENS1_30default_config_static_selectorELNS0_4arch9wavefront6targetE1EEEvT1_,comdat
.Lfunc_end2760:
	.size	_ZN7rocprim17ROCPRIM_400000_NS6detail17trampoline_kernelINS0_14default_configENS1_25partition_config_selectorILNS1_17partition_subalgoE0EiNS0_10empty_typeEbEEZZNS1_14partition_implILS5_0ELb0ES3_jN6thrust23THRUST_200600_302600_NS6detail15normal_iteratorINSA_10device_ptrIiEEEEPS6_SG_NS0_5tupleIJNSA_16discard_iteratorINSA_11use_defaultEEESF_EEENSH_IJSG_SG_EEES6_PlJ7is_evenIiEEEE10hipError_tPvRmT3_T4_T5_T6_T7_T9_mT8_P12ihipStream_tbDpT10_ENKUlT_T0_E_clISt17integral_constantIbLb1EES19_EEDaS14_S15_EUlS14_E_NS1_11comp_targetILNS1_3genE10ELNS1_11target_archE1200ELNS1_3gpuE4ELNS1_3repE0EEENS1_30default_config_static_selectorELNS0_4arch9wavefront6targetE1EEEvT1_, .Lfunc_end2760-_ZN7rocprim17ROCPRIM_400000_NS6detail17trampoline_kernelINS0_14default_configENS1_25partition_config_selectorILNS1_17partition_subalgoE0EiNS0_10empty_typeEbEEZZNS1_14partition_implILS5_0ELb0ES3_jN6thrust23THRUST_200600_302600_NS6detail15normal_iteratorINSA_10device_ptrIiEEEEPS6_SG_NS0_5tupleIJNSA_16discard_iteratorINSA_11use_defaultEEESF_EEENSH_IJSG_SG_EEES6_PlJ7is_evenIiEEEE10hipError_tPvRmT3_T4_T5_T6_T7_T9_mT8_P12ihipStream_tbDpT10_ENKUlT_T0_E_clISt17integral_constantIbLb1EES19_EEDaS14_S15_EUlS14_E_NS1_11comp_targetILNS1_3genE10ELNS1_11target_archE1200ELNS1_3gpuE4ELNS1_3repE0EEENS1_30default_config_static_selectorELNS0_4arch9wavefront6targetE1EEEvT1_
                                        ; -- End function
	.section	.AMDGPU.csdata,"",@progbits
; Kernel info:
; codeLenInByte = 0
; NumSgprs: 6
; NumVgprs: 0
; NumAgprs: 0
; TotalNumVgprs: 0
; ScratchSize: 0
; MemoryBound: 0
; FloatMode: 240
; IeeeMode: 1
; LDSByteSize: 0 bytes/workgroup (compile time only)
; SGPRBlocks: 0
; VGPRBlocks: 0
; NumSGPRsForWavesPerEU: 6
; NumVGPRsForWavesPerEU: 1
; AccumOffset: 4
; Occupancy: 8
; WaveLimiterHint : 0
; COMPUTE_PGM_RSRC2:SCRATCH_EN: 0
; COMPUTE_PGM_RSRC2:USER_SGPR: 2
; COMPUTE_PGM_RSRC2:TRAP_HANDLER: 0
; COMPUTE_PGM_RSRC2:TGID_X_EN: 1
; COMPUTE_PGM_RSRC2:TGID_Y_EN: 0
; COMPUTE_PGM_RSRC2:TGID_Z_EN: 0
; COMPUTE_PGM_RSRC2:TIDIG_COMP_CNT: 0
; COMPUTE_PGM_RSRC3_GFX90A:ACCUM_OFFSET: 0
; COMPUTE_PGM_RSRC3_GFX90A:TG_SPLIT: 0
	.section	.text._ZN7rocprim17ROCPRIM_400000_NS6detail17trampoline_kernelINS0_14default_configENS1_25partition_config_selectorILNS1_17partition_subalgoE0EiNS0_10empty_typeEbEEZZNS1_14partition_implILS5_0ELb0ES3_jN6thrust23THRUST_200600_302600_NS6detail15normal_iteratorINSA_10device_ptrIiEEEEPS6_SG_NS0_5tupleIJNSA_16discard_iteratorINSA_11use_defaultEEESF_EEENSH_IJSG_SG_EEES6_PlJ7is_evenIiEEEE10hipError_tPvRmT3_T4_T5_T6_T7_T9_mT8_P12ihipStream_tbDpT10_ENKUlT_T0_E_clISt17integral_constantIbLb1EES19_EEDaS14_S15_EUlS14_E_NS1_11comp_targetILNS1_3genE9ELNS1_11target_archE1100ELNS1_3gpuE3ELNS1_3repE0EEENS1_30default_config_static_selectorELNS0_4arch9wavefront6targetE1EEEvT1_,"axG",@progbits,_ZN7rocprim17ROCPRIM_400000_NS6detail17trampoline_kernelINS0_14default_configENS1_25partition_config_selectorILNS1_17partition_subalgoE0EiNS0_10empty_typeEbEEZZNS1_14partition_implILS5_0ELb0ES3_jN6thrust23THRUST_200600_302600_NS6detail15normal_iteratorINSA_10device_ptrIiEEEEPS6_SG_NS0_5tupleIJNSA_16discard_iteratorINSA_11use_defaultEEESF_EEENSH_IJSG_SG_EEES6_PlJ7is_evenIiEEEE10hipError_tPvRmT3_T4_T5_T6_T7_T9_mT8_P12ihipStream_tbDpT10_ENKUlT_T0_E_clISt17integral_constantIbLb1EES19_EEDaS14_S15_EUlS14_E_NS1_11comp_targetILNS1_3genE9ELNS1_11target_archE1100ELNS1_3gpuE3ELNS1_3repE0EEENS1_30default_config_static_selectorELNS0_4arch9wavefront6targetE1EEEvT1_,comdat
	.protected	_ZN7rocprim17ROCPRIM_400000_NS6detail17trampoline_kernelINS0_14default_configENS1_25partition_config_selectorILNS1_17partition_subalgoE0EiNS0_10empty_typeEbEEZZNS1_14partition_implILS5_0ELb0ES3_jN6thrust23THRUST_200600_302600_NS6detail15normal_iteratorINSA_10device_ptrIiEEEEPS6_SG_NS0_5tupleIJNSA_16discard_iteratorINSA_11use_defaultEEESF_EEENSH_IJSG_SG_EEES6_PlJ7is_evenIiEEEE10hipError_tPvRmT3_T4_T5_T6_T7_T9_mT8_P12ihipStream_tbDpT10_ENKUlT_T0_E_clISt17integral_constantIbLb1EES19_EEDaS14_S15_EUlS14_E_NS1_11comp_targetILNS1_3genE9ELNS1_11target_archE1100ELNS1_3gpuE3ELNS1_3repE0EEENS1_30default_config_static_selectorELNS0_4arch9wavefront6targetE1EEEvT1_ ; -- Begin function _ZN7rocprim17ROCPRIM_400000_NS6detail17trampoline_kernelINS0_14default_configENS1_25partition_config_selectorILNS1_17partition_subalgoE0EiNS0_10empty_typeEbEEZZNS1_14partition_implILS5_0ELb0ES3_jN6thrust23THRUST_200600_302600_NS6detail15normal_iteratorINSA_10device_ptrIiEEEEPS6_SG_NS0_5tupleIJNSA_16discard_iteratorINSA_11use_defaultEEESF_EEENSH_IJSG_SG_EEES6_PlJ7is_evenIiEEEE10hipError_tPvRmT3_T4_T5_T6_T7_T9_mT8_P12ihipStream_tbDpT10_ENKUlT_T0_E_clISt17integral_constantIbLb1EES19_EEDaS14_S15_EUlS14_E_NS1_11comp_targetILNS1_3genE9ELNS1_11target_archE1100ELNS1_3gpuE3ELNS1_3repE0EEENS1_30default_config_static_selectorELNS0_4arch9wavefront6targetE1EEEvT1_
	.globl	_ZN7rocprim17ROCPRIM_400000_NS6detail17trampoline_kernelINS0_14default_configENS1_25partition_config_selectorILNS1_17partition_subalgoE0EiNS0_10empty_typeEbEEZZNS1_14partition_implILS5_0ELb0ES3_jN6thrust23THRUST_200600_302600_NS6detail15normal_iteratorINSA_10device_ptrIiEEEEPS6_SG_NS0_5tupleIJNSA_16discard_iteratorINSA_11use_defaultEEESF_EEENSH_IJSG_SG_EEES6_PlJ7is_evenIiEEEE10hipError_tPvRmT3_T4_T5_T6_T7_T9_mT8_P12ihipStream_tbDpT10_ENKUlT_T0_E_clISt17integral_constantIbLb1EES19_EEDaS14_S15_EUlS14_E_NS1_11comp_targetILNS1_3genE9ELNS1_11target_archE1100ELNS1_3gpuE3ELNS1_3repE0EEENS1_30default_config_static_selectorELNS0_4arch9wavefront6targetE1EEEvT1_
	.p2align	8
	.type	_ZN7rocprim17ROCPRIM_400000_NS6detail17trampoline_kernelINS0_14default_configENS1_25partition_config_selectorILNS1_17partition_subalgoE0EiNS0_10empty_typeEbEEZZNS1_14partition_implILS5_0ELb0ES3_jN6thrust23THRUST_200600_302600_NS6detail15normal_iteratorINSA_10device_ptrIiEEEEPS6_SG_NS0_5tupleIJNSA_16discard_iteratorINSA_11use_defaultEEESF_EEENSH_IJSG_SG_EEES6_PlJ7is_evenIiEEEE10hipError_tPvRmT3_T4_T5_T6_T7_T9_mT8_P12ihipStream_tbDpT10_ENKUlT_T0_E_clISt17integral_constantIbLb1EES19_EEDaS14_S15_EUlS14_E_NS1_11comp_targetILNS1_3genE9ELNS1_11target_archE1100ELNS1_3gpuE3ELNS1_3repE0EEENS1_30default_config_static_selectorELNS0_4arch9wavefront6targetE1EEEvT1_,@function
_ZN7rocprim17ROCPRIM_400000_NS6detail17trampoline_kernelINS0_14default_configENS1_25partition_config_selectorILNS1_17partition_subalgoE0EiNS0_10empty_typeEbEEZZNS1_14partition_implILS5_0ELb0ES3_jN6thrust23THRUST_200600_302600_NS6detail15normal_iteratorINSA_10device_ptrIiEEEEPS6_SG_NS0_5tupleIJNSA_16discard_iteratorINSA_11use_defaultEEESF_EEENSH_IJSG_SG_EEES6_PlJ7is_evenIiEEEE10hipError_tPvRmT3_T4_T5_T6_T7_T9_mT8_P12ihipStream_tbDpT10_ENKUlT_T0_E_clISt17integral_constantIbLb1EES19_EEDaS14_S15_EUlS14_E_NS1_11comp_targetILNS1_3genE9ELNS1_11target_archE1100ELNS1_3gpuE3ELNS1_3repE0EEENS1_30default_config_static_selectorELNS0_4arch9wavefront6targetE1EEEvT1_: ; @_ZN7rocprim17ROCPRIM_400000_NS6detail17trampoline_kernelINS0_14default_configENS1_25partition_config_selectorILNS1_17partition_subalgoE0EiNS0_10empty_typeEbEEZZNS1_14partition_implILS5_0ELb0ES3_jN6thrust23THRUST_200600_302600_NS6detail15normal_iteratorINSA_10device_ptrIiEEEEPS6_SG_NS0_5tupleIJNSA_16discard_iteratorINSA_11use_defaultEEESF_EEENSH_IJSG_SG_EEES6_PlJ7is_evenIiEEEE10hipError_tPvRmT3_T4_T5_T6_T7_T9_mT8_P12ihipStream_tbDpT10_ENKUlT_T0_E_clISt17integral_constantIbLb1EES19_EEDaS14_S15_EUlS14_E_NS1_11comp_targetILNS1_3genE9ELNS1_11target_archE1100ELNS1_3gpuE3ELNS1_3repE0EEENS1_30default_config_static_selectorELNS0_4arch9wavefront6targetE1EEEvT1_
; %bb.0:
	.section	.rodata,"a",@progbits
	.p2align	6, 0x0
	.amdhsa_kernel _ZN7rocprim17ROCPRIM_400000_NS6detail17trampoline_kernelINS0_14default_configENS1_25partition_config_selectorILNS1_17partition_subalgoE0EiNS0_10empty_typeEbEEZZNS1_14partition_implILS5_0ELb0ES3_jN6thrust23THRUST_200600_302600_NS6detail15normal_iteratorINSA_10device_ptrIiEEEEPS6_SG_NS0_5tupleIJNSA_16discard_iteratorINSA_11use_defaultEEESF_EEENSH_IJSG_SG_EEES6_PlJ7is_evenIiEEEE10hipError_tPvRmT3_T4_T5_T6_T7_T9_mT8_P12ihipStream_tbDpT10_ENKUlT_T0_E_clISt17integral_constantIbLb1EES19_EEDaS14_S15_EUlS14_E_NS1_11comp_targetILNS1_3genE9ELNS1_11target_archE1100ELNS1_3gpuE3ELNS1_3repE0EEENS1_30default_config_static_selectorELNS0_4arch9wavefront6targetE1EEEvT1_
		.amdhsa_group_segment_fixed_size 0
		.amdhsa_private_segment_fixed_size 0
		.amdhsa_kernarg_size 144
		.amdhsa_user_sgpr_count 2
		.amdhsa_user_sgpr_dispatch_ptr 0
		.amdhsa_user_sgpr_queue_ptr 0
		.amdhsa_user_sgpr_kernarg_segment_ptr 1
		.amdhsa_user_sgpr_dispatch_id 0
		.amdhsa_user_sgpr_kernarg_preload_length 0
		.amdhsa_user_sgpr_kernarg_preload_offset 0
		.amdhsa_user_sgpr_private_segment_size 0
		.amdhsa_uses_dynamic_stack 0
		.amdhsa_enable_private_segment 0
		.amdhsa_system_sgpr_workgroup_id_x 1
		.amdhsa_system_sgpr_workgroup_id_y 0
		.amdhsa_system_sgpr_workgroup_id_z 0
		.amdhsa_system_sgpr_workgroup_info 0
		.amdhsa_system_vgpr_workitem_id 0
		.amdhsa_next_free_vgpr 1
		.amdhsa_next_free_sgpr 0
		.amdhsa_accum_offset 4
		.amdhsa_reserve_vcc 0
		.amdhsa_float_round_mode_32 0
		.amdhsa_float_round_mode_16_64 0
		.amdhsa_float_denorm_mode_32 3
		.amdhsa_float_denorm_mode_16_64 3
		.amdhsa_dx10_clamp 1
		.amdhsa_ieee_mode 1
		.amdhsa_fp16_overflow 0
		.amdhsa_tg_split 0
		.amdhsa_exception_fp_ieee_invalid_op 0
		.amdhsa_exception_fp_denorm_src 0
		.amdhsa_exception_fp_ieee_div_zero 0
		.amdhsa_exception_fp_ieee_overflow 0
		.amdhsa_exception_fp_ieee_underflow 0
		.amdhsa_exception_fp_ieee_inexact 0
		.amdhsa_exception_int_div_zero 0
	.end_amdhsa_kernel
	.section	.text._ZN7rocprim17ROCPRIM_400000_NS6detail17trampoline_kernelINS0_14default_configENS1_25partition_config_selectorILNS1_17partition_subalgoE0EiNS0_10empty_typeEbEEZZNS1_14partition_implILS5_0ELb0ES3_jN6thrust23THRUST_200600_302600_NS6detail15normal_iteratorINSA_10device_ptrIiEEEEPS6_SG_NS0_5tupleIJNSA_16discard_iteratorINSA_11use_defaultEEESF_EEENSH_IJSG_SG_EEES6_PlJ7is_evenIiEEEE10hipError_tPvRmT3_T4_T5_T6_T7_T9_mT8_P12ihipStream_tbDpT10_ENKUlT_T0_E_clISt17integral_constantIbLb1EES19_EEDaS14_S15_EUlS14_E_NS1_11comp_targetILNS1_3genE9ELNS1_11target_archE1100ELNS1_3gpuE3ELNS1_3repE0EEENS1_30default_config_static_selectorELNS0_4arch9wavefront6targetE1EEEvT1_,"axG",@progbits,_ZN7rocprim17ROCPRIM_400000_NS6detail17trampoline_kernelINS0_14default_configENS1_25partition_config_selectorILNS1_17partition_subalgoE0EiNS0_10empty_typeEbEEZZNS1_14partition_implILS5_0ELb0ES3_jN6thrust23THRUST_200600_302600_NS6detail15normal_iteratorINSA_10device_ptrIiEEEEPS6_SG_NS0_5tupleIJNSA_16discard_iteratorINSA_11use_defaultEEESF_EEENSH_IJSG_SG_EEES6_PlJ7is_evenIiEEEE10hipError_tPvRmT3_T4_T5_T6_T7_T9_mT8_P12ihipStream_tbDpT10_ENKUlT_T0_E_clISt17integral_constantIbLb1EES19_EEDaS14_S15_EUlS14_E_NS1_11comp_targetILNS1_3genE9ELNS1_11target_archE1100ELNS1_3gpuE3ELNS1_3repE0EEENS1_30default_config_static_selectorELNS0_4arch9wavefront6targetE1EEEvT1_,comdat
.Lfunc_end2761:
	.size	_ZN7rocprim17ROCPRIM_400000_NS6detail17trampoline_kernelINS0_14default_configENS1_25partition_config_selectorILNS1_17partition_subalgoE0EiNS0_10empty_typeEbEEZZNS1_14partition_implILS5_0ELb0ES3_jN6thrust23THRUST_200600_302600_NS6detail15normal_iteratorINSA_10device_ptrIiEEEEPS6_SG_NS0_5tupleIJNSA_16discard_iteratorINSA_11use_defaultEEESF_EEENSH_IJSG_SG_EEES6_PlJ7is_evenIiEEEE10hipError_tPvRmT3_T4_T5_T6_T7_T9_mT8_P12ihipStream_tbDpT10_ENKUlT_T0_E_clISt17integral_constantIbLb1EES19_EEDaS14_S15_EUlS14_E_NS1_11comp_targetILNS1_3genE9ELNS1_11target_archE1100ELNS1_3gpuE3ELNS1_3repE0EEENS1_30default_config_static_selectorELNS0_4arch9wavefront6targetE1EEEvT1_, .Lfunc_end2761-_ZN7rocprim17ROCPRIM_400000_NS6detail17trampoline_kernelINS0_14default_configENS1_25partition_config_selectorILNS1_17partition_subalgoE0EiNS0_10empty_typeEbEEZZNS1_14partition_implILS5_0ELb0ES3_jN6thrust23THRUST_200600_302600_NS6detail15normal_iteratorINSA_10device_ptrIiEEEEPS6_SG_NS0_5tupleIJNSA_16discard_iteratorINSA_11use_defaultEEESF_EEENSH_IJSG_SG_EEES6_PlJ7is_evenIiEEEE10hipError_tPvRmT3_T4_T5_T6_T7_T9_mT8_P12ihipStream_tbDpT10_ENKUlT_T0_E_clISt17integral_constantIbLb1EES19_EEDaS14_S15_EUlS14_E_NS1_11comp_targetILNS1_3genE9ELNS1_11target_archE1100ELNS1_3gpuE3ELNS1_3repE0EEENS1_30default_config_static_selectorELNS0_4arch9wavefront6targetE1EEEvT1_
                                        ; -- End function
	.section	.AMDGPU.csdata,"",@progbits
; Kernel info:
; codeLenInByte = 0
; NumSgprs: 6
; NumVgprs: 0
; NumAgprs: 0
; TotalNumVgprs: 0
; ScratchSize: 0
; MemoryBound: 0
; FloatMode: 240
; IeeeMode: 1
; LDSByteSize: 0 bytes/workgroup (compile time only)
; SGPRBlocks: 0
; VGPRBlocks: 0
; NumSGPRsForWavesPerEU: 6
; NumVGPRsForWavesPerEU: 1
; AccumOffset: 4
; Occupancy: 8
; WaveLimiterHint : 0
; COMPUTE_PGM_RSRC2:SCRATCH_EN: 0
; COMPUTE_PGM_RSRC2:USER_SGPR: 2
; COMPUTE_PGM_RSRC2:TRAP_HANDLER: 0
; COMPUTE_PGM_RSRC2:TGID_X_EN: 1
; COMPUTE_PGM_RSRC2:TGID_Y_EN: 0
; COMPUTE_PGM_RSRC2:TGID_Z_EN: 0
; COMPUTE_PGM_RSRC2:TIDIG_COMP_CNT: 0
; COMPUTE_PGM_RSRC3_GFX90A:ACCUM_OFFSET: 0
; COMPUTE_PGM_RSRC3_GFX90A:TG_SPLIT: 0
	.section	.text._ZN7rocprim17ROCPRIM_400000_NS6detail17trampoline_kernelINS0_14default_configENS1_25partition_config_selectorILNS1_17partition_subalgoE0EiNS0_10empty_typeEbEEZZNS1_14partition_implILS5_0ELb0ES3_jN6thrust23THRUST_200600_302600_NS6detail15normal_iteratorINSA_10device_ptrIiEEEEPS6_SG_NS0_5tupleIJNSA_16discard_iteratorINSA_11use_defaultEEESF_EEENSH_IJSG_SG_EEES6_PlJ7is_evenIiEEEE10hipError_tPvRmT3_T4_T5_T6_T7_T9_mT8_P12ihipStream_tbDpT10_ENKUlT_T0_E_clISt17integral_constantIbLb1EES19_EEDaS14_S15_EUlS14_E_NS1_11comp_targetILNS1_3genE8ELNS1_11target_archE1030ELNS1_3gpuE2ELNS1_3repE0EEENS1_30default_config_static_selectorELNS0_4arch9wavefront6targetE1EEEvT1_,"axG",@progbits,_ZN7rocprim17ROCPRIM_400000_NS6detail17trampoline_kernelINS0_14default_configENS1_25partition_config_selectorILNS1_17partition_subalgoE0EiNS0_10empty_typeEbEEZZNS1_14partition_implILS5_0ELb0ES3_jN6thrust23THRUST_200600_302600_NS6detail15normal_iteratorINSA_10device_ptrIiEEEEPS6_SG_NS0_5tupleIJNSA_16discard_iteratorINSA_11use_defaultEEESF_EEENSH_IJSG_SG_EEES6_PlJ7is_evenIiEEEE10hipError_tPvRmT3_T4_T5_T6_T7_T9_mT8_P12ihipStream_tbDpT10_ENKUlT_T0_E_clISt17integral_constantIbLb1EES19_EEDaS14_S15_EUlS14_E_NS1_11comp_targetILNS1_3genE8ELNS1_11target_archE1030ELNS1_3gpuE2ELNS1_3repE0EEENS1_30default_config_static_selectorELNS0_4arch9wavefront6targetE1EEEvT1_,comdat
	.protected	_ZN7rocprim17ROCPRIM_400000_NS6detail17trampoline_kernelINS0_14default_configENS1_25partition_config_selectorILNS1_17partition_subalgoE0EiNS0_10empty_typeEbEEZZNS1_14partition_implILS5_0ELb0ES3_jN6thrust23THRUST_200600_302600_NS6detail15normal_iteratorINSA_10device_ptrIiEEEEPS6_SG_NS0_5tupleIJNSA_16discard_iteratorINSA_11use_defaultEEESF_EEENSH_IJSG_SG_EEES6_PlJ7is_evenIiEEEE10hipError_tPvRmT3_T4_T5_T6_T7_T9_mT8_P12ihipStream_tbDpT10_ENKUlT_T0_E_clISt17integral_constantIbLb1EES19_EEDaS14_S15_EUlS14_E_NS1_11comp_targetILNS1_3genE8ELNS1_11target_archE1030ELNS1_3gpuE2ELNS1_3repE0EEENS1_30default_config_static_selectorELNS0_4arch9wavefront6targetE1EEEvT1_ ; -- Begin function _ZN7rocprim17ROCPRIM_400000_NS6detail17trampoline_kernelINS0_14default_configENS1_25partition_config_selectorILNS1_17partition_subalgoE0EiNS0_10empty_typeEbEEZZNS1_14partition_implILS5_0ELb0ES3_jN6thrust23THRUST_200600_302600_NS6detail15normal_iteratorINSA_10device_ptrIiEEEEPS6_SG_NS0_5tupleIJNSA_16discard_iteratorINSA_11use_defaultEEESF_EEENSH_IJSG_SG_EEES6_PlJ7is_evenIiEEEE10hipError_tPvRmT3_T4_T5_T6_T7_T9_mT8_P12ihipStream_tbDpT10_ENKUlT_T0_E_clISt17integral_constantIbLb1EES19_EEDaS14_S15_EUlS14_E_NS1_11comp_targetILNS1_3genE8ELNS1_11target_archE1030ELNS1_3gpuE2ELNS1_3repE0EEENS1_30default_config_static_selectorELNS0_4arch9wavefront6targetE1EEEvT1_
	.globl	_ZN7rocprim17ROCPRIM_400000_NS6detail17trampoline_kernelINS0_14default_configENS1_25partition_config_selectorILNS1_17partition_subalgoE0EiNS0_10empty_typeEbEEZZNS1_14partition_implILS5_0ELb0ES3_jN6thrust23THRUST_200600_302600_NS6detail15normal_iteratorINSA_10device_ptrIiEEEEPS6_SG_NS0_5tupleIJNSA_16discard_iteratorINSA_11use_defaultEEESF_EEENSH_IJSG_SG_EEES6_PlJ7is_evenIiEEEE10hipError_tPvRmT3_T4_T5_T6_T7_T9_mT8_P12ihipStream_tbDpT10_ENKUlT_T0_E_clISt17integral_constantIbLb1EES19_EEDaS14_S15_EUlS14_E_NS1_11comp_targetILNS1_3genE8ELNS1_11target_archE1030ELNS1_3gpuE2ELNS1_3repE0EEENS1_30default_config_static_selectorELNS0_4arch9wavefront6targetE1EEEvT1_
	.p2align	8
	.type	_ZN7rocprim17ROCPRIM_400000_NS6detail17trampoline_kernelINS0_14default_configENS1_25partition_config_selectorILNS1_17partition_subalgoE0EiNS0_10empty_typeEbEEZZNS1_14partition_implILS5_0ELb0ES3_jN6thrust23THRUST_200600_302600_NS6detail15normal_iteratorINSA_10device_ptrIiEEEEPS6_SG_NS0_5tupleIJNSA_16discard_iteratorINSA_11use_defaultEEESF_EEENSH_IJSG_SG_EEES6_PlJ7is_evenIiEEEE10hipError_tPvRmT3_T4_T5_T6_T7_T9_mT8_P12ihipStream_tbDpT10_ENKUlT_T0_E_clISt17integral_constantIbLb1EES19_EEDaS14_S15_EUlS14_E_NS1_11comp_targetILNS1_3genE8ELNS1_11target_archE1030ELNS1_3gpuE2ELNS1_3repE0EEENS1_30default_config_static_selectorELNS0_4arch9wavefront6targetE1EEEvT1_,@function
_ZN7rocprim17ROCPRIM_400000_NS6detail17trampoline_kernelINS0_14default_configENS1_25partition_config_selectorILNS1_17partition_subalgoE0EiNS0_10empty_typeEbEEZZNS1_14partition_implILS5_0ELb0ES3_jN6thrust23THRUST_200600_302600_NS6detail15normal_iteratorINSA_10device_ptrIiEEEEPS6_SG_NS0_5tupleIJNSA_16discard_iteratorINSA_11use_defaultEEESF_EEENSH_IJSG_SG_EEES6_PlJ7is_evenIiEEEE10hipError_tPvRmT3_T4_T5_T6_T7_T9_mT8_P12ihipStream_tbDpT10_ENKUlT_T0_E_clISt17integral_constantIbLb1EES19_EEDaS14_S15_EUlS14_E_NS1_11comp_targetILNS1_3genE8ELNS1_11target_archE1030ELNS1_3gpuE2ELNS1_3repE0EEENS1_30default_config_static_selectorELNS0_4arch9wavefront6targetE1EEEvT1_: ; @_ZN7rocprim17ROCPRIM_400000_NS6detail17trampoline_kernelINS0_14default_configENS1_25partition_config_selectorILNS1_17partition_subalgoE0EiNS0_10empty_typeEbEEZZNS1_14partition_implILS5_0ELb0ES3_jN6thrust23THRUST_200600_302600_NS6detail15normal_iteratorINSA_10device_ptrIiEEEEPS6_SG_NS0_5tupleIJNSA_16discard_iteratorINSA_11use_defaultEEESF_EEENSH_IJSG_SG_EEES6_PlJ7is_evenIiEEEE10hipError_tPvRmT3_T4_T5_T6_T7_T9_mT8_P12ihipStream_tbDpT10_ENKUlT_T0_E_clISt17integral_constantIbLb1EES19_EEDaS14_S15_EUlS14_E_NS1_11comp_targetILNS1_3genE8ELNS1_11target_archE1030ELNS1_3gpuE2ELNS1_3repE0EEENS1_30default_config_static_selectorELNS0_4arch9wavefront6targetE1EEEvT1_
; %bb.0:
	.section	.rodata,"a",@progbits
	.p2align	6, 0x0
	.amdhsa_kernel _ZN7rocprim17ROCPRIM_400000_NS6detail17trampoline_kernelINS0_14default_configENS1_25partition_config_selectorILNS1_17partition_subalgoE0EiNS0_10empty_typeEbEEZZNS1_14partition_implILS5_0ELb0ES3_jN6thrust23THRUST_200600_302600_NS6detail15normal_iteratorINSA_10device_ptrIiEEEEPS6_SG_NS0_5tupleIJNSA_16discard_iteratorINSA_11use_defaultEEESF_EEENSH_IJSG_SG_EEES6_PlJ7is_evenIiEEEE10hipError_tPvRmT3_T4_T5_T6_T7_T9_mT8_P12ihipStream_tbDpT10_ENKUlT_T0_E_clISt17integral_constantIbLb1EES19_EEDaS14_S15_EUlS14_E_NS1_11comp_targetILNS1_3genE8ELNS1_11target_archE1030ELNS1_3gpuE2ELNS1_3repE0EEENS1_30default_config_static_selectorELNS0_4arch9wavefront6targetE1EEEvT1_
		.amdhsa_group_segment_fixed_size 0
		.amdhsa_private_segment_fixed_size 0
		.amdhsa_kernarg_size 144
		.amdhsa_user_sgpr_count 2
		.amdhsa_user_sgpr_dispatch_ptr 0
		.amdhsa_user_sgpr_queue_ptr 0
		.amdhsa_user_sgpr_kernarg_segment_ptr 1
		.amdhsa_user_sgpr_dispatch_id 0
		.amdhsa_user_sgpr_kernarg_preload_length 0
		.amdhsa_user_sgpr_kernarg_preload_offset 0
		.amdhsa_user_sgpr_private_segment_size 0
		.amdhsa_uses_dynamic_stack 0
		.amdhsa_enable_private_segment 0
		.amdhsa_system_sgpr_workgroup_id_x 1
		.amdhsa_system_sgpr_workgroup_id_y 0
		.amdhsa_system_sgpr_workgroup_id_z 0
		.amdhsa_system_sgpr_workgroup_info 0
		.amdhsa_system_vgpr_workitem_id 0
		.amdhsa_next_free_vgpr 1
		.amdhsa_next_free_sgpr 0
		.amdhsa_accum_offset 4
		.amdhsa_reserve_vcc 0
		.amdhsa_float_round_mode_32 0
		.amdhsa_float_round_mode_16_64 0
		.amdhsa_float_denorm_mode_32 3
		.amdhsa_float_denorm_mode_16_64 3
		.amdhsa_dx10_clamp 1
		.amdhsa_ieee_mode 1
		.amdhsa_fp16_overflow 0
		.amdhsa_tg_split 0
		.amdhsa_exception_fp_ieee_invalid_op 0
		.amdhsa_exception_fp_denorm_src 0
		.amdhsa_exception_fp_ieee_div_zero 0
		.amdhsa_exception_fp_ieee_overflow 0
		.amdhsa_exception_fp_ieee_underflow 0
		.amdhsa_exception_fp_ieee_inexact 0
		.amdhsa_exception_int_div_zero 0
	.end_amdhsa_kernel
	.section	.text._ZN7rocprim17ROCPRIM_400000_NS6detail17trampoline_kernelINS0_14default_configENS1_25partition_config_selectorILNS1_17partition_subalgoE0EiNS0_10empty_typeEbEEZZNS1_14partition_implILS5_0ELb0ES3_jN6thrust23THRUST_200600_302600_NS6detail15normal_iteratorINSA_10device_ptrIiEEEEPS6_SG_NS0_5tupleIJNSA_16discard_iteratorINSA_11use_defaultEEESF_EEENSH_IJSG_SG_EEES6_PlJ7is_evenIiEEEE10hipError_tPvRmT3_T4_T5_T6_T7_T9_mT8_P12ihipStream_tbDpT10_ENKUlT_T0_E_clISt17integral_constantIbLb1EES19_EEDaS14_S15_EUlS14_E_NS1_11comp_targetILNS1_3genE8ELNS1_11target_archE1030ELNS1_3gpuE2ELNS1_3repE0EEENS1_30default_config_static_selectorELNS0_4arch9wavefront6targetE1EEEvT1_,"axG",@progbits,_ZN7rocprim17ROCPRIM_400000_NS6detail17trampoline_kernelINS0_14default_configENS1_25partition_config_selectorILNS1_17partition_subalgoE0EiNS0_10empty_typeEbEEZZNS1_14partition_implILS5_0ELb0ES3_jN6thrust23THRUST_200600_302600_NS6detail15normal_iteratorINSA_10device_ptrIiEEEEPS6_SG_NS0_5tupleIJNSA_16discard_iteratorINSA_11use_defaultEEESF_EEENSH_IJSG_SG_EEES6_PlJ7is_evenIiEEEE10hipError_tPvRmT3_T4_T5_T6_T7_T9_mT8_P12ihipStream_tbDpT10_ENKUlT_T0_E_clISt17integral_constantIbLb1EES19_EEDaS14_S15_EUlS14_E_NS1_11comp_targetILNS1_3genE8ELNS1_11target_archE1030ELNS1_3gpuE2ELNS1_3repE0EEENS1_30default_config_static_selectorELNS0_4arch9wavefront6targetE1EEEvT1_,comdat
.Lfunc_end2762:
	.size	_ZN7rocprim17ROCPRIM_400000_NS6detail17trampoline_kernelINS0_14default_configENS1_25partition_config_selectorILNS1_17partition_subalgoE0EiNS0_10empty_typeEbEEZZNS1_14partition_implILS5_0ELb0ES3_jN6thrust23THRUST_200600_302600_NS6detail15normal_iteratorINSA_10device_ptrIiEEEEPS6_SG_NS0_5tupleIJNSA_16discard_iteratorINSA_11use_defaultEEESF_EEENSH_IJSG_SG_EEES6_PlJ7is_evenIiEEEE10hipError_tPvRmT3_T4_T5_T6_T7_T9_mT8_P12ihipStream_tbDpT10_ENKUlT_T0_E_clISt17integral_constantIbLb1EES19_EEDaS14_S15_EUlS14_E_NS1_11comp_targetILNS1_3genE8ELNS1_11target_archE1030ELNS1_3gpuE2ELNS1_3repE0EEENS1_30default_config_static_selectorELNS0_4arch9wavefront6targetE1EEEvT1_, .Lfunc_end2762-_ZN7rocprim17ROCPRIM_400000_NS6detail17trampoline_kernelINS0_14default_configENS1_25partition_config_selectorILNS1_17partition_subalgoE0EiNS0_10empty_typeEbEEZZNS1_14partition_implILS5_0ELb0ES3_jN6thrust23THRUST_200600_302600_NS6detail15normal_iteratorINSA_10device_ptrIiEEEEPS6_SG_NS0_5tupleIJNSA_16discard_iteratorINSA_11use_defaultEEESF_EEENSH_IJSG_SG_EEES6_PlJ7is_evenIiEEEE10hipError_tPvRmT3_T4_T5_T6_T7_T9_mT8_P12ihipStream_tbDpT10_ENKUlT_T0_E_clISt17integral_constantIbLb1EES19_EEDaS14_S15_EUlS14_E_NS1_11comp_targetILNS1_3genE8ELNS1_11target_archE1030ELNS1_3gpuE2ELNS1_3repE0EEENS1_30default_config_static_selectorELNS0_4arch9wavefront6targetE1EEEvT1_
                                        ; -- End function
	.section	.AMDGPU.csdata,"",@progbits
; Kernel info:
; codeLenInByte = 0
; NumSgprs: 6
; NumVgprs: 0
; NumAgprs: 0
; TotalNumVgprs: 0
; ScratchSize: 0
; MemoryBound: 0
; FloatMode: 240
; IeeeMode: 1
; LDSByteSize: 0 bytes/workgroup (compile time only)
; SGPRBlocks: 0
; VGPRBlocks: 0
; NumSGPRsForWavesPerEU: 6
; NumVGPRsForWavesPerEU: 1
; AccumOffset: 4
; Occupancy: 8
; WaveLimiterHint : 0
; COMPUTE_PGM_RSRC2:SCRATCH_EN: 0
; COMPUTE_PGM_RSRC2:USER_SGPR: 2
; COMPUTE_PGM_RSRC2:TRAP_HANDLER: 0
; COMPUTE_PGM_RSRC2:TGID_X_EN: 1
; COMPUTE_PGM_RSRC2:TGID_Y_EN: 0
; COMPUTE_PGM_RSRC2:TGID_Z_EN: 0
; COMPUTE_PGM_RSRC2:TIDIG_COMP_CNT: 0
; COMPUTE_PGM_RSRC3_GFX90A:ACCUM_OFFSET: 0
; COMPUTE_PGM_RSRC3_GFX90A:TG_SPLIT: 0
	.section	.text._ZN7rocprim17ROCPRIM_400000_NS6detail17trampoline_kernelINS0_14default_configENS1_25partition_config_selectorILNS1_17partition_subalgoE0EiNS0_10empty_typeEbEEZZNS1_14partition_implILS5_0ELb0ES3_jN6thrust23THRUST_200600_302600_NS6detail15normal_iteratorINSA_10device_ptrIiEEEEPS6_SG_NS0_5tupleIJNSA_16discard_iteratorINSA_11use_defaultEEESF_EEENSH_IJSG_SG_EEES6_PlJ7is_evenIiEEEE10hipError_tPvRmT3_T4_T5_T6_T7_T9_mT8_P12ihipStream_tbDpT10_ENKUlT_T0_E_clISt17integral_constantIbLb1EES18_IbLb0EEEEDaS14_S15_EUlS14_E_NS1_11comp_targetILNS1_3genE0ELNS1_11target_archE4294967295ELNS1_3gpuE0ELNS1_3repE0EEENS1_30default_config_static_selectorELNS0_4arch9wavefront6targetE1EEEvT1_,"axG",@progbits,_ZN7rocprim17ROCPRIM_400000_NS6detail17trampoline_kernelINS0_14default_configENS1_25partition_config_selectorILNS1_17partition_subalgoE0EiNS0_10empty_typeEbEEZZNS1_14partition_implILS5_0ELb0ES3_jN6thrust23THRUST_200600_302600_NS6detail15normal_iteratorINSA_10device_ptrIiEEEEPS6_SG_NS0_5tupleIJNSA_16discard_iteratorINSA_11use_defaultEEESF_EEENSH_IJSG_SG_EEES6_PlJ7is_evenIiEEEE10hipError_tPvRmT3_T4_T5_T6_T7_T9_mT8_P12ihipStream_tbDpT10_ENKUlT_T0_E_clISt17integral_constantIbLb1EES18_IbLb0EEEEDaS14_S15_EUlS14_E_NS1_11comp_targetILNS1_3genE0ELNS1_11target_archE4294967295ELNS1_3gpuE0ELNS1_3repE0EEENS1_30default_config_static_selectorELNS0_4arch9wavefront6targetE1EEEvT1_,comdat
	.protected	_ZN7rocprim17ROCPRIM_400000_NS6detail17trampoline_kernelINS0_14default_configENS1_25partition_config_selectorILNS1_17partition_subalgoE0EiNS0_10empty_typeEbEEZZNS1_14partition_implILS5_0ELb0ES3_jN6thrust23THRUST_200600_302600_NS6detail15normal_iteratorINSA_10device_ptrIiEEEEPS6_SG_NS0_5tupleIJNSA_16discard_iteratorINSA_11use_defaultEEESF_EEENSH_IJSG_SG_EEES6_PlJ7is_evenIiEEEE10hipError_tPvRmT3_T4_T5_T6_T7_T9_mT8_P12ihipStream_tbDpT10_ENKUlT_T0_E_clISt17integral_constantIbLb1EES18_IbLb0EEEEDaS14_S15_EUlS14_E_NS1_11comp_targetILNS1_3genE0ELNS1_11target_archE4294967295ELNS1_3gpuE0ELNS1_3repE0EEENS1_30default_config_static_selectorELNS0_4arch9wavefront6targetE1EEEvT1_ ; -- Begin function _ZN7rocprim17ROCPRIM_400000_NS6detail17trampoline_kernelINS0_14default_configENS1_25partition_config_selectorILNS1_17partition_subalgoE0EiNS0_10empty_typeEbEEZZNS1_14partition_implILS5_0ELb0ES3_jN6thrust23THRUST_200600_302600_NS6detail15normal_iteratorINSA_10device_ptrIiEEEEPS6_SG_NS0_5tupleIJNSA_16discard_iteratorINSA_11use_defaultEEESF_EEENSH_IJSG_SG_EEES6_PlJ7is_evenIiEEEE10hipError_tPvRmT3_T4_T5_T6_T7_T9_mT8_P12ihipStream_tbDpT10_ENKUlT_T0_E_clISt17integral_constantIbLb1EES18_IbLb0EEEEDaS14_S15_EUlS14_E_NS1_11comp_targetILNS1_3genE0ELNS1_11target_archE4294967295ELNS1_3gpuE0ELNS1_3repE0EEENS1_30default_config_static_selectorELNS0_4arch9wavefront6targetE1EEEvT1_
	.globl	_ZN7rocprim17ROCPRIM_400000_NS6detail17trampoline_kernelINS0_14default_configENS1_25partition_config_selectorILNS1_17partition_subalgoE0EiNS0_10empty_typeEbEEZZNS1_14partition_implILS5_0ELb0ES3_jN6thrust23THRUST_200600_302600_NS6detail15normal_iteratorINSA_10device_ptrIiEEEEPS6_SG_NS0_5tupleIJNSA_16discard_iteratorINSA_11use_defaultEEESF_EEENSH_IJSG_SG_EEES6_PlJ7is_evenIiEEEE10hipError_tPvRmT3_T4_T5_T6_T7_T9_mT8_P12ihipStream_tbDpT10_ENKUlT_T0_E_clISt17integral_constantIbLb1EES18_IbLb0EEEEDaS14_S15_EUlS14_E_NS1_11comp_targetILNS1_3genE0ELNS1_11target_archE4294967295ELNS1_3gpuE0ELNS1_3repE0EEENS1_30default_config_static_selectorELNS0_4arch9wavefront6targetE1EEEvT1_
	.p2align	8
	.type	_ZN7rocprim17ROCPRIM_400000_NS6detail17trampoline_kernelINS0_14default_configENS1_25partition_config_selectorILNS1_17partition_subalgoE0EiNS0_10empty_typeEbEEZZNS1_14partition_implILS5_0ELb0ES3_jN6thrust23THRUST_200600_302600_NS6detail15normal_iteratorINSA_10device_ptrIiEEEEPS6_SG_NS0_5tupleIJNSA_16discard_iteratorINSA_11use_defaultEEESF_EEENSH_IJSG_SG_EEES6_PlJ7is_evenIiEEEE10hipError_tPvRmT3_T4_T5_T6_T7_T9_mT8_P12ihipStream_tbDpT10_ENKUlT_T0_E_clISt17integral_constantIbLb1EES18_IbLb0EEEEDaS14_S15_EUlS14_E_NS1_11comp_targetILNS1_3genE0ELNS1_11target_archE4294967295ELNS1_3gpuE0ELNS1_3repE0EEENS1_30default_config_static_selectorELNS0_4arch9wavefront6targetE1EEEvT1_,@function
_ZN7rocprim17ROCPRIM_400000_NS6detail17trampoline_kernelINS0_14default_configENS1_25partition_config_selectorILNS1_17partition_subalgoE0EiNS0_10empty_typeEbEEZZNS1_14partition_implILS5_0ELb0ES3_jN6thrust23THRUST_200600_302600_NS6detail15normal_iteratorINSA_10device_ptrIiEEEEPS6_SG_NS0_5tupleIJNSA_16discard_iteratorINSA_11use_defaultEEESF_EEENSH_IJSG_SG_EEES6_PlJ7is_evenIiEEEE10hipError_tPvRmT3_T4_T5_T6_T7_T9_mT8_P12ihipStream_tbDpT10_ENKUlT_T0_E_clISt17integral_constantIbLb1EES18_IbLb0EEEEDaS14_S15_EUlS14_E_NS1_11comp_targetILNS1_3genE0ELNS1_11target_archE4294967295ELNS1_3gpuE0ELNS1_3repE0EEENS1_30default_config_static_selectorELNS0_4arch9wavefront6targetE1EEEvT1_: ; @_ZN7rocprim17ROCPRIM_400000_NS6detail17trampoline_kernelINS0_14default_configENS1_25partition_config_selectorILNS1_17partition_subalgoE0EiNS0_10empty_typeEbEEZZNS1_14partition_implILS5_0ELb0ES3_jN6thrust23THRUST_200600_302600_NS6detail15normal_iteratorINSA_10device_ptrIiEEEEPS6_SG_NS0_5tupleIJNSA_16discard_iteratorINSA_11use_defaultEEESF_EEENSH_IJSG_SG_EEES6_PlJ7is_evenIiEEEE10hipError_tPvRmT3_T4_T5_T6_T7_T9_mT8_P12ihipStream_tbDpT10_ENKUlT_T0_E_clISt17integral_constantIbLb1EES18_IbLb0EEEEDaS14_S15_EUlS14_E_NS1_11comp_targetILNS1_3genE0ELNS1_11target_archE4294967295ELNS1_3gpuE0ELNS1_3repE0EEENS1_30default_config_static_selectorELNS0_4arch9wavefront6targetE1EEEvT1_
; %bb.0:
	.section	.rodata,"a",@progbits
	.p2align	6, 0x0
	.amdhsa_kernel _ZN7rocprim17ROCPRIM_400000_NS6detail17trampoline_kernelINS0_14default_configENS1_25partition_config_selectorILNS1_17partition_subalgoE0EiNS0_10empty_typeEbEEZZNS1_14partition_implILS5_0ELb0ES3_jN6thrust23THRUST_200600_302600_NS6detail15normal_iteratorINSA_10device_ptrIiEEEEPS6_SG_NS0_5tupleIJNSA_16discard_iteratorINSA_11use_defaultEEESF_EEENSH_IJSG_SG_EEES6_PlJ7is_evenIiEEEE10hipError_tPvRmT3_T4_T5_T6_T7_T9_mT8_P12ihipStream_tbDpT10_ENKUlT_T0_E_clISt17integral_constantIbLb1EES18_IbLb0EEEEDaS14_S15_EUlS14_E_NS1_11comp_targetILNS1_3genE0ELNS1_11target_archE4294967295ELNS1_3gpuE0ELNS1_3repE0EEENS1_30default_config_static_selectorELNS0_4arch9wavefront6targetE1EEEvT1_
		.amdhsa_group_segment_fixed_size 0
		.amdhsa_private_segment_fixed_size 0
		.amdhsa_kernarg_size 128
		.amdhsa_user_sgpr_count 2
		.amdhsa_user_sgpr_dispatch_ptr 0
		.amdhsa_user_sgpr_queue_ptr 0
		.amdhsa_user_sgpr_kernarg_segment_ptr 1
		.amdhsa_user_sgpr_dispatch_id 0
		.amdhsa_user_sgpr_kernarg_preload_length 0
		.amdhsa_user_sgpr_kernarg_preload_offset 0
		.amdhsa_user_sgpr_private_segment_size 0
		.amdhsa_uses_dynamic_stack 0
		.amdhsa_enable_private_segment 0
		.amdhsa_system_sgpr_workgroup_id_x 1
		.amdhsa_system_sgpr_workgroup_id_y 0
		.amdhsa_system_sgpr_workgroup_id_z 0
		.amdhsa_system_sgpr_workgroup_info 0
		.amdhsa_system_vgpr_workitem_id 0
		.amdhsa_next_free_vgpr 1
		.amdhsa_next_free_sgpr 0
		.amdhsa_accum_offset 4
		.amdhsa_reserve_vcc 0
		.amdhsa_float_round_mode_32 0
		.amdhsa_float_round_mode_16_64 0
		.amdhsa_float_denorm_mode_32 3
		.amdhsa_float_denorm_mode_16_64 3
		.amdhsa_dx10_clamp 1
		.amdhsa_ieee_mode 1
		.amdhsa_fp16_overflow 0
		.amdhsa_tg_split 0
		.amdhsa_exception_fp_ieee_invalid_op 0
		.amdhsa_exception_fp_denorm_src 0
		.amdhsa_exception_fp_ieee_div_zero 0
		.amdhsa_exception_fp_ieee_overflow 0
		.amdhsa_exception_fp_ieee_underflow 0
		.amdhsa_exception_fp_ieee_inexact 0
		.amdhsa_exception_int_div_zero 0
	.end_amdhsa_kernel
	.section	.text._ZN7rocprim17ROCPRIM_400000_NS6detail17trampoline_kernelINS0_14default_configENS1_25partition_config_selectorILNS1_17partition_subalgoE0EiNS0_10empty_typeEbEEZZNS1_14partition_implILS5_0ELb0ES3_jN6thrust23THRUST_200600_302600_NS6detail15normal_iteratorINSA_10device_ptrIiEEEEPS6_SG_NS0_5tupleIJNSA_16discard_iteratorINSA_11use_defaultEEESF_EEENSH_IJSG_SG_EEES6_PlJ7is_evenIiEEEE10hipError_tPvRmT3_T4_T5_T6_T7_T9_mT8_P12ihipStream_tbDpT10_ENKUlT_T0_E_clISt17integral_constantIbLb1EES18_IbLb0EEEEDaS14_S15_EUlS14_E_NS1_11comp_targetILNS1_3genE0ELNS1_11target_archE4294967295ELNS1_3gpuE0ELNS1_3repE0EEENS1_30default_config_static_selectorELNS0_4arch9wavefront6targetE1EEEvT1_,"axG",@progbits,_ZN7rocprim17ROCPRIM_400000_NS6detail17trampoline_kernelINS0_14default_configENS1_25partition_config_selectorILNS1_17partition_subalgoE0EiNS0_10empty_typeEbEEZZNS1_14partition_implILS5_0ELb0ES3_jN6thrust23THRUST_200600_302600_NS6detail15normal_iteratorINSA_10device_ptrIiEEEEPS6_SG_NS0_5tupleIJNSA_16discard_iteratorINSA_11use_defaultEEESF_EEENSH_IJSG_SG_EEES6_PlJ7is_evenIiEEEE10hipError_tPvRmT3_T4_T5_T6_T7_T9_mT8_P12ihipStream_tbDpT10_ENKUlT_T0_E_clISt17integral_constantIbLb1EES18_IbLb0EEEEDaS14_S15_EUlS14_E_NS1_11comp_targetILNS1_3genE0ELNS1_11target_archE4294967295ELNS1_3gpuE0ELNS1_3repE0EEENS1_30default_config_static_selectorELNS0_4arch9wavefront6targetE1EEEvT1_,comdat
.Lfunc_end2763:
	.size	_ZN7rocprim17ROCPRIM_400000_NS6detail17trampoline_kernelINS0_14default_configENS1_25partition_config_selectorILNS1_17partition_subalgoE0EiNS0_10empty_typeEbEEZZNS1_14partition_implILS5_0ELb0ES3_jN6thrust23THRUST_200600_302600_NS6detail15normal_iteratorINSA_10device_ptrIiEEEEPS6_SG_NS0_5tupleIJNSA_16discard_iteratorINSA_11use_defaultEEESF_EEENSH_IJSG_SG_EEES6_PlJ7is_evenIiEEEE10hipError_tPvRmT3_T4_T5_T6_T7_T9_mT8_P12ihipStream_tbDpT10_ENKUlT_T0_E_clISt17integral_constantIbLb1EES18_IbLb0EEEEDaS14_S15_EUlS14_E_NS1_11comp_targetILNS1_3genE0ELNS1_11target_archE4294967295ELNS1_3gpuE0ELNS1_3repE0EEENS1_30default_config_static_selectorELNS0_4arch9wavefront6targetE1EEEvT1_, .Lfunc_end2763-_ZN7rocprim17ROCPRIM_400000_NS6detail17trampoline_kernelINS0_14default_configENS1_25partition_config_selectorILNS1_17partition_subalgoE0EiNS0_10empty_typeEbEEZZNS1_14partition_implILS5_0ELb0ES3_jN6thrust23THRUST_200600_302600_NS6detail15normal_iteratorINSA_10device_ptrIiEEEEPS6_SG_NS0_5tupleIJNSA_16discard_iteratorINSA_11use_defaultEEESF_EEENSH_IJSG_SG_EEES6_PlJ7is_evenIiEEEE10hipError_tPvRmT3_T4_T5_T6_T7_T9_mT8_P12ihipStream_tbDpT10_ENKUlT_T0_E_clISt17integral_constantIbLb1EES18_IbLb0EEEEDaS14_S15_EUlS14_E_NS1_11comp_targetILNS1_3genE0ELNS1_11target_archE4294967295ELNS1_3gpuE0ELNS1_3repE0EEENS1_30default_config_static_selectorELNS0_4arch9wavefront6targetE1EEEvT1_
                                        ; -- End function
	.section	.AMDGPU.csdata,"",@progbits
; Kernel info:
; codeLenInByte = 0
; NumSgprs: 6
; NumVgprs: 0
; NumAgprs: 0
; TotalNumVgprs: 0
; ScratchSize: 0
; MemoryBound: 0
; FloatMode: 240
; IeeeMode: 1
; LDSByteSize: 0 bytes/workgroup (compile time only)
; SGPRBlocks: 0
; VGPRBlocks: 0
; NumSGPRsForWavesPerEU: 6
; NumVGPRsForWavesPerEU: 1
; AccumOffset: 4
; Occupancy: 8
; WaveLimiterHint : 0
; COMPUTE_PGM_RSRC2:SCRATCH_EN: 0
; COMPUTE_PGM_RSRC2:USER_SGPR: 2
; COMPUTE_PGM_RSRC2:TRAP_HANDLER: 0
; COMPUTE_PGM_RSRC2:TGID_X_EN: 1
; COMPUTE_PGM_RSRC2:TGID_Y_EN: 0
; COMPUTE_PGM_RSRC2:TGID_Z_EN: 0
; COMPUTE_PGM_RSRC2:TIDIG_COMP_CNT: 0
; COMPUTE_PGM_RSRC3_GFX90A:ACCUM_OFFSET: 0
; COMPUTE_PGM_RSRC3_GFX90A:TG_SPLIT: 0
	.section	.text._ZN7rocprim17ROCPRIM_400000_NS6detail17trampoline_kernelINS0_14default_configENS1_25partition_config_selectorILNS1_17partition_subalgoE0EiNS0_10empty_typeEbEEZZNS1_14partition_implILS5_0ELb0ES3_jN6thrust23THRUST_200600_302600_NS6detail15normal_iteratorINSA_10device_ptrIiEEEEPS6_SG_NS0_5tupleIJNSA_16discard_iteratorINSA_11use_defaultEEESF_EEENSH_IJSG_SG_EEES6_PlJ7is_evenIiEEEE10hipError_tPvRmT3_T4_T5_T6_T7_T9_mT8_P12ihipStream_tbDpT10_ENKUlT_T0_E_clISt17integral_constantIbLb1EES18_IbLb0EEEEDaS14_S15_EUlS14_E_NS1_11comp_targetILNS1_3genE5ELNS1_11target_archE942ELNS1_3gpuE9ELNS1_3repE0EEENS1_30default_config_static_selectorELNS0_4arch9wavefront6targetE1EEEvT1_,"axG",@progbits,_ZN7rocprim17ROCPRIM_400000_NS6detail17trampoline_kernelINS0_14default_configENS1_25partition_config_selectorILNS1_17partition_subalgoE0EiNS0_10empty_typeEbEEZZNS1_14partition_implILS5_0ELb0ES3_jN6thrust23THRUST_200600_302600_NS6detail15normal_iteratorINSA_10device_ptrIiEEEEPS6_SG_NS0_5tupleIJNSA_16discard_iteratorINSA_11use_defaultEEESF_EEENSH_IJSG_SG_EEES6_PlJ7is_evenIiEEEE10hipError_tPvRmT3_T4_T5_T6_T7_T9_mT8_P12ihipStream_tbDpT10_ENKUlT_T0_E_clISt17integral_constantIbLb1EES18_IbLb0EEEEDaS14_S15_EUlS14_E_NS1_11comp_targetILNS1_3genE5ELNS1_11target_archE942ELNS1_3gpuE9ELNS1_3repE0EEENS1_30default_config_static_selectorELNS0_4arch9wavefront6targetE1EEEvT1_,comdat
	.protected	_ZN7rocprim17ROCPRIM_400000_NS6detail17trampoline_kernelINS0_14default_configENS1_25partition_config_selectorILNS1_17partition_subalgoE0EiNS0_10empty_typeEbEEZZNS1_14partition_implILS5_0ELb0ES3_jN6thrust23THRUST_200600_302600_NS6detail15normal_iteratorINSA_10device_ptrIiEEEEPS6_SG_NS0_5tupleIJNSA_16discard_iteratorINSA_11use_defaultEEESF_EEENSH_IJSG_SG_EEES6_PlJ7is_evenIiEEEE10hipError_tPvRmT3_T4_T5_T6_T7_T9_mT8_P12ihipStream_tbDpT10_ENKUlT_T0_E_clISt17integral_constantIbLb1EES18_IbLb0EEEEDaS14_S15_EUlS14_E_NS1_11comp_targetILNS1_3genE5ELNS1_11target_archE942ELNS1_3gpuE9ELNS1_3repE0EEENS1_30default_config_static_selectorELNS0_4arch9wavefront6targetE1EEEvT1_ ; -- Begin function _ZN7rocprim17ROCPRIM_400000_NS6detail17trampoline_kernelINS0_14default_configENS1_25partition_config_selectorILNS1_17partition_subalgoE0EiNS0_10empty_typeEbEEZZNS1_14partition_implILS5_0ELb0ES3_jN6thrust23THRUST_200600_302600_NS6detail15normal_iteratorINSA_10device_ptrIiEEEEPS6_SG_NS0_5tupleIJNSA_16discard_iteratorINSA_11use_defaultEEESF_EEENSH_IJSG_SG_EEES6_PlJ7is_evenIiEEEE10hipError_tPvRmT3_T4_T5_T6_T7_T9_mT8_P12ihipStream_tbDpT10_ENKUlT_T0_E_clISt17integral_constantIbLb1EES18_IbLb0EEEEDaS14_S15_EUlS14_E_NS1_11comp_targetILNS1_3genE5ELNS1_11target_archE942ELNS1_3gpuE9ELNS1_3repE0EEENS1_30default_config_static_selectorELNS0_4arch9wavefront6targetE1EEEvT1_
	.globl	_ZN7rocprim17ROCPRIM_400000_NS6detail17trampoline_kernelINS0_14default_configENS1_25partition_config_selectorILNS1_17partition_subalgoE0EiNS0_10empty_typeEbEEZZNS1_14partition_implILS5_0ELb0ES3_jN6thrust23THRUST_200600_302600_NS6detail15normal_iteratorINSA_10device_ptrIiEEEEPS6_SG_NS0_5tupleIJNSA_16discard_iteratorINSA_11use_defaultEEESF_EEENSH_IJSG_SG_EEES6_PlJ7is_evenIiEEEE10hipError_tPvRmT3_T4_T5_T6_T7_T9_mT8_P12ihipStream_tbDpT10_ENKUlT_T0_E_clISt17integral_constantIbLb1EES18_IbLb0EEEEDaS14_S15_EUlS14_E_NS1_11comp_targetILNS1_3genE5ELNS1_11target_archE942ELNS1_3gpuE9ELNS1_3repE0EEENS1_30default_config_static_selectorELNS0_4arch9wavefront6targetE1EEEvT1_
	.p2align	8
	.type	_ZN7rocprim17ROCPRIM_400000_NS6detail17trampoline_kernelINS0_14default_configENS1_25partition_config_selectorILNS1_17partition_subalgoE0EiNS0_10empty_typeEbEEZZNS1_14partition_implILS5_0ELb0ES3_jN6thrust23THRUST_200600_302600_NS6detail15normal_iteratorINSA_10device_ptrIiEEEEPS6_SG_NS0_5tupleIJNSA_16discard_iteratorINSA_11use_defaultEEESF_EEENSH_IJSG_SG_EEES6_PlJ7is_evenIiEEEE10hipError_tPvRmT3_T4_T5_T6_T7_T9_mT8_P12ihipStream_tbDpT10_ENKUlT_T0_E_clISt17integral_constantIbLb1EES18_IbLb0EEEEDaS14_S15_EUlS14_E_NS1_11comp_targetILNS1_3genE5ELNS1_11target_archE942ELNS1_3gpuE9ELNS1_3repE0EEENS1_30default_config_static_selectorELNS0_4arch9wavefront6targetE1EEEvT1_,@function
_ZN7rocprim17ROCPRIM_400000_NS6detail17trampoline_kernelINS0_14default_configENS1_25partition_config_selectorILNS1_17partition_subalgoE0EiNS0_10empty_typeEbEEZZNS1_14partition_implILS5_0ELb0ES3_jN6thrust23THRUST_200600_302600_NS6detail15normal_iteratorINSA_10device_ptrIiEEEEPS6_SG_NS0_5tupleIJNSA_16discard_iteratorINSA_11use_defaultEEESF_EEENSH_IJSG_SG_EEES6_PlJ7is_evenIiEEEE10hipError_tPvRmT3_T4_T5_T6_T7_T9_mT8_P12ihipStream_tbDpT10_ENKUlT_T0_E_clISt17integral_constantIbLb1EES18_IbLb0EEEEDaS14_S15_EUlS14_E_NS1_11comp_targetILNS1_3genE5ELNS1_11target_archE942ELNS1_3gpuE9ELNS1_3repE0EEENS1_30default_config_static_selectorELNS0_4arch9wavefront6targetE1EEEvT1_: ; @_ZN7rocprim17ROCPRIM_400000_NS6detail17trampoline_kernelINS0_14default_configENS1_25partition_config_selectorILNS1_17partition_subalgoE0EiNS0_10empty_typeEbEEZZNS1_14partition_implILS5_0ELb0ES3_jN6thrust23THRUST_200600_302600_NS6detail15normal_iteratorINSA_10device_ptrIiEEEEPS6_SG_NS0_5tupleIJNSA_16discard_iteratorINSA_11use_defaultEEESF_EEENSH_IJSG_SG_EEES6_PlJ7is_evenIiEEEE10hipError_tPvRmT3_T4_T5_T6_T7_T9_mT8_P12ihipStream_tbDpT10_ENKUlT_T0_E_clISt17integral_constantIbLb1EES18_IbLb0EEEEDaS14_S15_EUlS14_E_NS1_11comp_targetILNS1_3genE5ELNS1_11target_archE942ELNS1_3gpuE9ELNS1_3repE0EEENS1_30default_config_static_selectorELNS0_4arch9wavefront6targetE1EEEvT1_
; %bb.0:
	s_load_dwordx2 s[4:5], s[0:1], 0x60
	s_load_dwordx4 s[20:23], s[0:1], 0x8
	s_load_dwordx4 s[24:27], s[0:1], 0x50
	s_load_dword s3, s[0:1], 0x78
	s_mul_i32 s8, s2, 0x1e00
	s_waitcnt lgkmcnt(0)
	v_mov_b32_e32 v3, s5
	s_lshl_b64 s[6:7], s[22:23], 2
	s_add_u32 s10, s20, s6
	s_addc_u32 s11, s21, s7
	s_add_i32 s6, s3, -1
	s_mulk_i32 s3, 0x1e00
	s_add_i32 s5, s3, s22
	s_sub_i32 s33, s4, s5
	s_addk_i32 s33, 0x1e00
	v_mov_b32_e32 v2, s4
	s_add_u32 s4, s22, s3
	s_addc_u32 s5, s23, 0
	s_cmp_eq_u32 s2, s6
	s_load_dwordx2 s[28:29], s[26:27], 0x0
	s_cselect_b64 s[26:27], -1, 0
	s_cmp_lg_u32 s2, s6
	s_mov_b32 s9, 0
	v_cmp_lt_u64_e32 vcc, s[4:5], v[2:3]
	s_cselect_b64 s[4:5], -1, 0
	s_or_b64 s[6:7], s[4:5], vcc
	s_lshl_b64 s[30:31], s[8:9], 2
	s_add_u32 s8, s10, s30
	s_addc_u32 s9, s11, s31
	s_mov_b64 s[4:5], -1
	s_and_b64 vcc, exec, s[6:7]
	v_lshlrev_b32_e32 v18, 2, v0
	s_cbranch_vccz .LBB2764_2
; %bb.1:
	v_mov_b32_e32 v19, 0
	v_lshl_add_u64 v[2:3], s[8:9], 0, v[18:19]
	v_add_co_u32_e32 v4, vcc, 0x1000, v2
	s_mov_b64 s[4:5], 0
	s_nop 0
	v_addc_co_u32_e32 v5, vcc, 0, v3, vcc
	v_add_co_u32_e32 v6, vcc, 0x2000, v2
	s_nop 1
	v_addc_co_u32_e32 v7, vcc, 0, v3, vcc
	v_add_co_u32_e32 v8, vcc, 0x3000, v2
	s_nop 1
	v_addc_co_u32_e32 v9, vcc, 0, v3, vcc
	flat_load_dword v1, v[2:3]
	flat_load_dword v10, v[2:3] offset:2048
	flat_load_dword v11, v[4:5]
	flat_load_dword v12, v[4:5] offset:2048
	;; [unrolled: 2-line block ×4, first 2 shown]
	v_add_co_u32_e32 v4, vcc, 0x4000, v2
	s_nop 1
	v_addc_co_u32_e32 v5, vcc, 0, v3, vcc
	v_add_co_u32_e32 v6, vcc, 0x5000, v2
	s_nop 1
	v_addc_co_u32_e32 v7, vcc, 0, v3, vcc
	;; [unrolled: 3-line block ×4, first 2 shown]
	flat_load_dword v17, v[4:5]
	flat_load_dword v19, v[4:5] offset:2048
	flat_load_dword v20, v[6:7]
	flat_load_dword v21, v[6:7] offset:2048
	;; [unrolled: 2-line block ×3, first 2 shown]
	flat_load_dword v24, v[2:3]
	s_waitcnt vmcnt(0) lgkmcnt(0)
	ds_write2st64_b32 v18, v1, v10 offset1:8
	ds_write2st64_b32 v18, v11, v12 offset0:16 offset1:24
	ds_write2st64_b32 v18, v13, v14 offset0:32 offset1:40
	;; [unrolled: 1-line block ×6, first 2 shown]
	ds_write_b32 v18, v24 offset:28672
	s_waitcnt lgkmcnt(0)
	s_barrier
.LBB2764_2:
	s_andn2_b64 vcc, exec, s[4:5]
	v_cmp_gt_u32_e64 s[4:5], s33, v0
	s_cbranch_vccnz .LBB2764_34
; %bb.3:
                                        ; implicit-def: $vgpr2_vgpr3_vgpr4_vgpr5_vgpr6_vgpr7_vgpr8_vgpr9_vgpr10_vgpr11_vgpr12_vgpr13_vgpr14_vgpr15_vgpr16_vgpr17
	s_and_saveexec_b64 s[10:11], s[4:5]
	s_cbranch_execz .LBB2764_5
; %bb.4:
	v_mov_b32_e32 v19, 0
	v_lshl_add_u64 v[2:3], s[8:9], 0, v[18:19]
	flat_load_dword v2, v[2:3]
.LBB2764_5:
	s_or_b64 exec, exec, s[10:11]
	v_or_b32_e32 v1, 0x200, v0
	v_cmp_gt_u32_e32 vcc, s33, v1
	s_and_saveexec_b64 s[4:5], vcc
	s_cbranch_execz .LBB2764_7
; %bb.6:
	v_mov_b32_e32 v19, 0
	v_lshl_add_u64 v[20:21], s[8:9], 0, v[18:19]
	flat_load_dword v3, v[20:21] offset:2048
.LBB2764_7:
	s_or_b64 exec, exec, s[4:5]
	v_or_b32_e32 v1, 0x400, v0
	v_cmp_gt_u32_e32 vcc, s33, v1
	s_and_saveexec_b64 s[4:5], vcc
	s_cbranch_execz .LBB2764_9
; %bb.8:
	v_lshlrev_b32_e32 v20, 2, v1
	v_mov_b32_e32 v21, 0
	v_lshl_add_u64 v[20:21], s[8:9], 0, v[20:21]
	flat_load_dword v4, v[20:21]
.LBB2764_9:
	s_or_b64 exec, exec, s[4:5]
	v_or_b32_e32 v1, 0x600, v0
	v_cmp_gt_u32_e32 vcc, s33, v1
	s_and_saveexec_b64 s[4:5], vcc
	s_cbranch_execz .LBB2764_11
; %bb.10:
	v_lshlrev_b32_e32 v20, 2, v1
	v_mov_b32_e32 v21, 0
	v_lshl_add_u64 v[20:21], s[8:9], 0, v[20:21]
	flat_load_dword v5, v[20:21]
.LBB2764_11:
	;; [unrolled: 11-line block ×13, first 2 shown]
	s_or_b64 exec, exec, s[4:5]
	s_waitcnt vmcnt(0) lgkmcnt(0)
	ds_write2st64_b32 v18, v2, v3 offset1:8
	ds_write2st64_b32 v18, v4, v5 offset0:16 offset1:24
	ds_write2st64_b32 v18, v6, v7 offset0:32 offset1:40
	;; [unrolled: 1-line block ×6, first 2 shown]
	ds_write_b32 v18, v16 offset:28672
	s_waitcnt lgkmcnt(0)
	s_barrier
.LBB2764_34:
	v_mul_u32_u24_e32 v38, 15, v0
	v_lshlrev_b32_e32 v1, 2, v38
	s_waitcnt lgkmcnt(0)
	ds_read2_b32 v[32:33], v1 offset1:1
	ds_read2_b32 v[30:31], v1 offset0:2 offset1:3
	ds_read2_b32 v[28:29], v1 offset0:4 offset1:5
	;; [unrolled: 1-line block ×6, first 2 shown]
	ds_read_b32 v1, v1 offset:56
	v_cndmask_b32_e64 v2, 0, 1, s[6:7]
	v_cmp_ne_u32_e64 s[20:21], 1, v2
	s_andn2_b64 vcc, exec, s[6:7]
	s_waitcnt lgkmcnt(7)
	v_xor_b32_e32 v16, -1, v32
	v_xor_b32_e32 v15, -1, v33
	s_waitcnt lgkmcnt(6)
	v_xor_b32_e32 v14, -1, v30
	v_xor_b32_e32 v13, -1, v31
	;; [unrolled: 3-line block ×7, first 2 shown]
	s_waitcnt lgkmcnt(0)
	v_xor_b32_e32 v2, -1, v1
	s_barrier
	s_cbranch_vccnz .LBB2764_36
; %bb.35:
	v_and_b32_e32 v51, 1, v16
	v_and_b32_e32 v50, 1, v15
	;; [unrolled: 1-line block ×15, first 2 shown]
	s_load_dwordx2 s[34:35], s[0:1], 0x70
	s_cbranch_execz .LBB2764_37
	s_branch .LBB2764_38
.LBB2764_36:
                                        ; implicit-def: $vgpr19
                                        ; implicit-def: $vgpr37
                                        ; implicit-def: $vgpr39
                                        ; implicit-def: $vgpr40
                                        ; implicit-def: $vgpr41
                                        ; implicit-def: $vgpr42
                                        ; implicit-def: $vgpr43
                                        ; implicit-def: $vgpr44
                                        ; implicit-def: $vgpr45
                                        ; implicit-def: $vgpr51
                                        ; implicit-def: $vgpr50
                                        ; implicit-def: $vgpr49
                                        ; implicit-def: $vgpr48
                                        ; implicit-def: $vgpr47
                                        ; implicit-def: $vgpr46
	s_load_dwordx2 s[34:35], s[0:1], 0x70
.LBB2764_37:
	v_add_u32_e32 v44, 1, v38
	v_cmp_gt_u32_e32 vcc, s33, v38
	v_add_u32_e32 v17, 2, v38
	v_add_u32_e32 v43, 3, v38
	v_cndmask_b32_e64 v45, 0, 1, vcc
	v_cmp_gt_u32_e32 vcc, s33, v44
	v_and_b32_e32 v51, v45, v16
	v_add_u32_e32 v19, 4, v38
	v_cndmask_b32_e64 v16, 0, 1, vcc
	v_cmp_gt_u32_e32 vcc, s33, v17
	v_and_b32_e32 v50, v16, v15
	;; [unrolled: 4-line block ×12, first 2 shown]
	s_nop 0
	v_cndmask_b32_e64 v5, 0, 1, vcc
	v_cmp_gt_u32_e32 vcc, s33, v53
	v_and_b32_e32 v39, v5, v4
	s_nop 0
	v_cndmask_b32_e64 v4, 0, 1, vcc
	v_cmp_gt_u32_e32 vcc, s33, v52
	v_and_b32_e32 v37, v4, v3
	s_nop 0
	v_cndmask_b32_e64 v3, 0, 1, vcc
	v_and_b32_e32 v19, v3, v2
.LBB2764_38:
	v_and_b32_e32 v55, 0xff, v48
	v_and_b32_e32 v56, 0xff, v47
	;; [unrolled: 1-line block ×5, first 2 shown]
	v_add3_u32 v3, v56, v57, v55
	v_and_b32_e32 v52, 0xff, v51
	v_and_b32_e32 v58, 0xff, v45
	v_add3_u32 v3, v3, v54, v53
	v_and_b32_e32 v59, 0xff, v44
	v_and_b32_e32 v60, 0xff, v43
	;; [unrolled: 3-line block ×5, first 2 shown]
	v_add3_u32 v3, v3, v63, v64
	v_add3_u32 v68, v3, v65, v2
	v_mbcnt_lo_u32_b32 v2, -1, 0
	v_mbcnt_hi_u32_b32 v66, -1, v2
	v_and_b32_e32 v2, 15, v66
	v_cmp_eq_u32_e64 s[16:17], 0, v2
	v_cmp_lt_u32_e64 s[14:15], 1, v2
	v_cmp_lt_u32_e64 s[12:13], 3, v2
	;; [unrolled: 1-line block ×3, first 2 shown]
	v_and_b32_e32 v2, 16, v66
	v_cmp_eq_u32_e64 s[8:9], 0, v2
	v_or_b32_e32 v2, 63, v0
	s_cmp_lg_u32 s2, 0
	v_cmp_lt_u32_e64 s[4:5], 31, v66
	v_lshrrev_b32_e32 v67, 6, v0
	v_cmp_eq_u32_e64 s[6:7], v2, v0
	s_cbranch_scc0 .LBB2764_69
; %bb.39:
	v_mov_b32_dpp v2, v68 row_shr:1 row_mask:0xf bank_mask:0xf
	v_cndmask_b32_e64 v2, v2, 0, s[16:17]
	v_add_u32_e32 v2, v2, v68
	s_nop 1
	v_mov_b32_dpp v3, v2 row_shr:2 row_mask:0xf bank_mask:0xf
	v_cndmask_b32_e64 v3, 0, v3, s[14:15]
	v_add_u32_e32 v2, v2, v3
	s_nop 1
	;; [unrolled: 4-line block ×4, first 2 shown]
	v_mov_b32_dpp v3, v2 row_bcast:15 row_mask:0xf bank_mask:0xf
	v_cndmask_b32_e64 v3, v3, 0, s[8:9]
	v_add_u32_e32 v2, v2, v3
	s_nop 1
	v_mov_b32_dpp v3, v2 row_bcast:31 row_mask:0xf bank_mask:0xf
	v_cndmask_b32_e64 v3, 0, v3, s[4:5]
	v_add_u32_e32 v2, v2, v3
	s_and_saveexec_b64 s[18:19], s[6:7]
	s_cbranch_execz .LBB2764_41
; %bb.40:
	v_lshlrev_b32_e32 v3, 2, v67
	ds_write_b32 v3, v2
.LBB2764_41:
	s_or_b64 exec, exec, s[18:19]
	v_cmp_gt_u32_e32 vcc, 8, v0
	s_waitcnt lgkmcnt(0)
	s_barrier
	s_and_saveexec_b64 s[18:19], vcc
	s_cbranch_execz .LBB2764_43
; %bb.42:
	ds_read_b32 v3, v18
	v_and_b32_e32 v4, 7, v66
	v_cmp_ne_u32_e32 vcc, 0, v4
	s_waitcnt lgkmcnt(0)
	v_mov_b32_dpp v5, v3 row_shr:1 row_mask:0xf bank_mask:0xf
	v_cndmask_b32_e32 v5, 0, v5, vcc
	v_add_u32_e32 v3, v5, v3
	v_cmp_lt_u32_e32 vcc, 1, v4
	s_nop 0
	v_mov_b32_dpp v5, v3 row_shr:2 row_mask:0xf bank_mask:0xf
	v_cndmask_b32_e32 v5, 0, v5, vcc
	v_add_u32_e32 v3, v3, v5
	v_cmp_lt_u32_e32 vcc, 3, v4
	s_nop 0
	v_mov_b32_dpp v5, v3 row_shr:4 row_mask:0xf bank_mask:0xf
	v_cndmask_b32_e32 v4, 0, v5, vcc
	v_add_u32_e32 v3, v3, v4
	ds_write_b32 v18, v3
.LBB2764_43:
	s_or_b64 exec, exec, s[18:19]
	v_cmp_gt_u32_e32 vcc, 64, v0
	v_cmp_lt_u32_e64 s[18:19], 63, v0
	s_waitcnt lgkmcnt(0)
	s_barrier
	s_waitcnt lgkmcnt(0)
                                        ; implicit-def: $vgpr12
	s_and_saveexec_b64 s[36:37], s[18:19]
	s_cbranch_execz .LBB2764_45
; %bb.44:
	v_lshl_add_u32 v3, v67, 2, -4
	ds_read_b32 v12, v3
	s_waitcnt lgkmcnt(0)
	v_add_u32_e32 v2, v12, v2
.LBB2764_45:
	s_or_b64 exec, exec, s[36:37]
	v_add_u32_e32 v3, -1, v66
	v_and_b32_e32 v4, 64, v66
	v_cmp_lt_i32_e64 s[18:19], v3, v4
	s_nop 1
	v_cndmask_b32_e64 v3, v3, v66, s[18:19]
	v_lshlrev_b32_e32 v3, 2, v3
	ds_bpermute_b32 v13, v3, v2
	v_cmp_eq_u32_e64 s[18:19], 0, v66
	s_and_saveexec_b64 s[36:37], vcc
	s_cbranch_execz .LBB2764_68
; %bb.46:
	v_mov_b32_e32 v11, 0
	ds_read_b32 v2, v11 offset:28
	s_and_saveexec_b64 s[38:39], s[18:19]
	s_cbranch_execz .LBB2764_48
; %bb.47:
	s_add_i32 s40, s2, 64
	s_mov_b32 s41, 0
	s_lshl_b64 s[40:41], s[40:41], 3
	s_add_u32 s40, s34, s40
	v_mov_b32_e32 v3, 1
	s_addc_u32 s41, s35, s41
	s_waitcnt lgkmcnt(0)
	global_store_dwordx2 v11, v[2:3], s[40:41] sc1
.LBB2764_48:
	s_or_b64 exec, exec, s[38:39]
	v_xad_u32 v4, v66, -1, s2
	v_add_u32_e32 v10, 64, v4
	v_lshl_add_u64 v[6:7], v[10:11], 3, s[34:35]
	global_load_dwordx2 v[8:9], v[6:7], off sc1
	s_waitcnt vmcnt(0)
	v_cmp_eq_u16_sdwa s[40:41], v9, v11 src0_sel:BYTE_0 src1_sel:DWORD
	s_and_saveexec_b64 s[38:39], s[40:41]
	s_cbranch_execz .LBB2764_54
; %bb.49:
	s_mov_b32 s3, 1
	s_mov_b64 s[40:41], 0
	v_mov_b32_e32 v3, 0
.LBB2764_50:                            ; =>This Loop Header: Depth=1
                                        ;     Child Loop BB2764_51 Depth 2
	s_max_u32 s42, s3, 1
.LBB2764_51:                            ;   Parent Loop BB2764_50 Depth=1
                                        ; =>  This Inner Loop Header: Depth=2
	s_add_i32 s42, s42, -1
	s_cmp_eq_u32 s42, 0
	s_sleep 1
	s_cbranch_scc0 .LBB2764_51
; %bb.52:                               ;   in Loop: Header=BB2764_50 Depth=1
	global_load_dwordx2 v[8:9], v[6:7], off sc1
	s_cmp_lt_u32 s3, 32
	s_cselect_b64 s[42:43], -1, 0
	s_cmp_lg_u64 s[42:43], 0
	s_addc_u32 s3, s3, 0
	s_waitcnt vmcnt(0)
	v_cmp_ne_u16_sdwa s[42:43], v9, v3 src0_sel:BYTE_0 src1_sel:DWORD
	s_or_b64 s[40:41], s[42:43], s[40:41]
	s_andn2_b64 exec, exec, s[40:41]
	s_cbranch_execnz .LBB2764_50
; %bb.53:
	s_or_b64 exec, exec, s[40:41]
.LBB2764_54:
	s_or_b64 exec, exec, s[38:39]
	v_and_b32_e32 v15, 63, v66
	v_mov_b32_e32 v14, 2
	v_cmp_ne_u32_e32 vcc, 63, v15
	v_cmp_eq_u16_sdwa s[38:39], v9, v14 src0_sel:BYTE_0 src1_sel:DWORD
	v_lshlrev_b64 v[6:7], v66, -1
	v_addc_co_u32_e32 v10, vcc, 0, v66, vcc
	v_and_b32_e32 v3, s39, v7
	v_lshlrev_b32_e32 v16, 2, v10
	v_or_b32_e32 v3, 0x80000000, v3
	ds_bpermute_b32 v10, v16, v8
	v_and_b32_e32 v5, s38, v6
	v_ffbl_b32_e32 v3, v3
	v_add_u32_e32 v3, 32, v3
	v_ffbl_b32_e32 v5, v5
	v_min_u32_e32 v3, v5, v3
	v_cmp_lt_u32_e32 vcc, v15, v3
	v_add_u32_e32 v34, 2, v15
	v_add_u32_e32 v36, 4, v15
	s_waitcnt lgkmcnt(0)
	v_cndmask_b32_e32 v5, 0, v10, vcc
	v_cmp_gt_u32_e32 vcc, 62, v15
	v_add_u32_e32 v5, v5, v8
	v_add_u32_e32 v70, 8, v15
	v_cndmask_b32_e64 v8, 0, 1, vcc
	v_lshlrev_b32_e32 v8, 1, v8
	v_add_lshl_u32 v17, v8, v66, 2
	ds_bpermute_b32 v8, v17, v5
	v_cmp_le_u32_e32 vcc, v34, v3
	v_add_u32_e32 v72, 16, v15
	v_add_u32_e32 v74, 32, v15
	s_waitcnt lgkmcnt(0)
	v_cndmask_b32_e32 v8, 0, v8, vcc
	v_cmp_gt_u32_e32 vcc, 60, v15
	v_add_u32_e32 v5, v5, v8
	s_nop 0
	v_cndmask_b32_e64 v8, 0, 1, vcc
	v_lshlrev_b32_e32 v8, 2, v8
	v_add_lshl_u32 v35, v8, v66, 2
	ds_bpermute_b32 v8, v35, v5
	v_cmp_le_u32_e32 vcc, v36, v3
	s_waitcnt lgkmcnt(0)
	s_nop 0
	v_cndmask_b32_e32 v8, 0, v8, vcc
	v_cmp_gt_u32_e32 vcc, 56, v15
	v_add_u32_e32 v5, v5, v8
	s_nop 0
	v_cndmask_b32_e64 v8, 0, 1, vcc
	v_lshlrev_b32_e32 v8, 3, v8
	v_add_lshl_u32 v69, v8, v66, 2
	ds_bpermute_b32 v8, v69, v5
	v_cmp_le_u32_e32 vcc, v70, v3
	s_waitcnt lgkmcnt(0)
	s_nop 0
	;; [unrolled: 11-line block ×4, first 2 shown]
	v_cndmask_b32_e32 v3, 0, v8, vcc
	v_add_u32_e32 v8, v5, v3
	v_mov_b32_e32 v5, 0
	s_branch .LBB2764_56
.LBB2764_55:                            ;   in Loop: Header=BB2764_56 Depth=1
	s_or_b64 exec, exec, s[38:39]
	v_cmp_eq_u16_sdwa s[38:39], v9, v14 src0_sel:BYTE_0 src1_sel:DWORD
	ds_bpermute_b32 v75, v16, v8
	v_subrev_u32_e32 v4, 64, v4
	v_and_b32_e32 v10, s39, v7
	v_or_b32_e32 v10, 0x80000000, v10
	v_and_b32_e32 v11, s38, v6
	v_ffbl_b32_e32 v10, v10
	v_add_u32_e32 v10, 32, v10
	v_ffbl_b32_e32 v11, v11
	v_min_u32_e32 v10, v11, v10
	v_cmp_lt_u32_e32 vcc, v15, v10
	s_waitcnt lgkmcnt(0)
	s_nop 0
	v_cndmask_b32_e32 v11, 0, v75, vcc
	v_add_u32_e32 v8, v11, v8
	ds_bpermute_b32 v11, v17, v8
	v_cmp_le_u32_e32 vcc, v34, v10
	s_waitcnt lgkmcnt(0)
	s_nop 0
	v_cndmask_b32_e32 v11, 0, v11, vcc
	v_add_u32_e32 v8, v8, v11
	ds_bpermute_b32 v11, v35, v8
	v_cmp_le_u32_e32 vcc, v36, v10
	;; [unrolled: 6-line block ×5, first 2 shown]
	s_waitcnt lgkmcnt(0)
	s_nop 0
	v_cndmask_b32_e32 v10, 0, v11, vcc
	v_add3_u32 v8, v10, v3, v8
.LBB2764_56:                            ; =>This Loop Header: Depth=1
                                        ;     Child Loop BB2764_59 Depth 2
                                        ;       Child Loop BB2764_60 Depth 3
	v_cmp_ne_u16_sdwa s[38:39], v9, v14 src0_sel:BYTE_0 src1_sel:DWORD
	s_nop 1
	v_cndmask_b32_e64 v3, 0, 1, s[38:39]
	;;#ASMSTART
	;;#ASMEND
	s_nop 0
	v_cmp_ne_u32_e32 vcc, 0, v3
	s_cmp_lg_u64 vcc, exec
	v_mov_b32_e32 v3, v8
	s_cbranch_scc1 .LBB2764_63
; %bb.57:                               ;   in Loop: Header=BB2764_56 Depth=1
	v_lshl_add_u64 v[10:11], v[4:5], 3, s[34:35]
	global_load_dwordx2 v[8:9], v[10:11], off sc1
	s_waitcnt vmcnt(0)
	v_cmp_eq_u16_sdwa s[40:41], v9, v5 src0_sel:BYTE_0 src1_sel:DWORD
	s_and_saveexec_b64 s[38:39], s[40:41]
	s_cbranch_execz .LBB2764_55
; %bb.58:                               ;   in Loop: Header=BB2764_56 Depth=1
	s_mov_b32 s3, 1
	s_mov_b64 s[40:41], 0
.LBB2764_59:                            ;   Parent Loop BB2764_56 Depth=1
                                        ; =>  This Loop Header: Depth=2
                                        ;       Child Loop BB2764_60 Depth 3
	s_max_u32 s42, s3, 1
.LBB2764_60:                            ;   Parent Loop BB2764_56 Depth=1
                                        ;     Parent Loop BB2764_59 Depth=2
                                        ; =>    This Inner Loop Header: Depth=3
	s_add_i32 s42, s42, -1
	s_cmp_eq_u32 s42, 0
	s_sleep 1
	s_cbranch_scc0 .LBB2764_60
; %bb.61:                               ;   in Loop: Header=BB2764_59 Depth=2
	global_load_dwordx2 v[8:9], v[10:11], off sc1
	s_cmp_lt_u32 s3, 32
	s_cselect_b64 s[42:43], -1, 0
	s_cmp_lg_u64 s[42:43], 0
	s_addc_u32 s3, s3, 0
	s_waitcnt vmcnt(0)
	v_cmp_ne_u16_sdwa s[42:43], v9, v5 src0_sel:BYTE_0 src1_sel:DWORD
	s_or_b64 s[40:41], s[42:43], s[40:41]
	s_andn2_b64 exec, exec, s[40:41]
	s_cbranch_execnz .LBB2764_59
; %bb.62:                               ;   in Loop: Header=BB2764_56 Depth=1
	s_or_b64 exec, exec, s[40:41]
	s_branch .LBB2764_55
.LBB2764_63:                            ;   in Loop: Header=BB2764_56 Depth=1
                                        ; implicit-def: $vgpr8
                                        ; implicit-def: $vgpr9
	s_cbranch_execz .LBB2764_56
; %bb.64:
	s_and_saveexec_b64 s[38:39], s[18:19]
	s_cbranch_execz .LBB2764_66
; %bb.65:
	s_add_i32 s2, s2, 64
	s_mov_b32 s3, 0
	s_lshl_b64 s[2:3], s[2:3], 3
	s_add_u32 s2, s34, s2
	v_add_u32_e32 v4, v3, v2
	v_mov_b32_e32 v5, 2
	s_addc_u32 s3, s35, s3
	v_mov_b32_e32 v6, 0
	global_store_dwordx2 v6, v[4:5], s[2:3] sc1
	ds_write_b64 v6, v[2:3] offset:30720
.LBB2764_66:
	s_or_b64 exec, exec, s[38:39]
	v_cmp_eq_u32_e32 vcc, 0, v0
	s_and_b64 exec, exec, vcc
	s_cbranch_execz .LBB2764_68
; %bb.67:
	v_mov_b32_e32 v2, 0
	ds_write_b32 v2, v3 offset:28
.LBB2764_68:
	s_or_b64 exec, exec, s[36:37]
	v_mov_b32_e32 v14, 0
	s_waitcnt lgkmcnt(0)
	s_barrier
	ds_read_b32 v2, v14 offset:28
	v_cndmask_b32_e64 v3, v13, v12, s[18:19]
	v_cmp_ne_u32_e32 vcc, 0, v0
	s_waitcnt lgkmcnt(0)
	s_barrier
	v_cndmask_b32_e32 v3, 0, v3, vcc
	v_add_u32_e32 v2, v2, v3
	v_add_u32_e32 v3, v2, v52
	;; [unrolled: 1-line block ×10, first 2 shown]
	ds_read_b64 v[34:35], v14 offset:30720
	v_add_u32_e32 v12, v11, v61
	v_add_u32_e32 v13, v12, v62
	;; [unrolled: 1-line block ×5, first 2 shown]
	s_waitcnt lgkmcnt(0)
	v_mov_b32_e32 v36, v35
	s_branch .LBB2764_79
.LBB2764_69:
                                        ; implicit-def: $vgpr36
                                        ; implicit-def: $vgpr34
                                        ; implicit-def: $vgpr2_vgpr3_vgpr4_vgpr5_vgpr6_vgpr7_vgpr8_vgpr9_vgpr10_vgpr11_vgpr12_vgpr13_vgpr14_vgpr15_vgpr16_vgpr17
	s_cbranch_execz .LBB2764_79
; %bb.70:
	s_nop 0
	v_mov_b32_dpp v2, v68 row_shr:1 row_mask:0xf bank_mask:0xf
	v_cndmask_b32_e64 v2, v2, 0, s[16:17]
	v_add_u32_e32 v2, v2, v68
	s_nop 1
	v_mov_b32_dpp v3, v2 row_shr:2 row_mask:0xf bank_mask:0xf
	v_cndmask_b32_e64 v3, 0, v3, s[14:15]
	v_add_u32_e32 v2, v2, v3
	;; [unrolled: 4-line block ×4, first 2 shown]
	s_nop 1
	v_mov_b32_dpp v3, v2 row_bcast:15 row_mask:0xf bank_mask:0xf
	v_cndmask_b32_e64 v3, v3, 0, s[8:9]
	v_add_u32_e32 v2, v2, v3
	s_nop 1
	v_mov_b32_dpp v3, v2 row_bcast:31 row_mask:0xf bank_mask:0xf
	v_cndmask_b32_e64 v3, 0, v3, s[4:5]
	v_add_u32_e32 v2, v2, v3
	s_and_saveexec_b64 s[2:3], s[6:7]
	s_cbranch_execz .LBB2764_72
; %bb.71:
	v_lshlrev_b32_e32 v3, 2, v67
	ds_write_b32 v3, v2
.LBB2764_72:
	s_or_b64 exec, exec, s[2:3]
	v_cmp_gt_u32_e32 vcc, 8, v0
	s_waitcnt lgkmcnt(0)
	s_barrier
	s_and_saveexec_b64 s[2:3], vcc
	s_cbranch_execz .LBB2764_74
; %bb.73:
	ds_read_b32 v3, v18
	v_and_b32_e32 v4, 7, v66
	v_cmp_ne_u32_e32 vcc, 0, v4
	s_waitcnt lgkmcnt(0)
	v_mov_b32_dpp v5, v3 row_shr:1 row_mask:0xf bank_mask:0xf
	v_cndmask_b32_e32 v5, 0, v5, vcc
	v_add_u32_e32 v3, v5, v3
	v_cmp_lt_u32_e32 vcc, 1, v4
	s_nop 0
	v_mov_b32_dpp v5, v3 row_shr:2 row_mask:0xf bank_mask:0xf
	v_cndmask_b32_e32 v5, 0, v5, vcc
	v_add_u32_e32 v3, v3, v5
	v_cmp_lt_u32_e32 vcc, 3, v4
	s_nop 0
	v_mov_b32_dpp v5, v3 row_shr:4 row_mask:0xf bank_mask:0xf
	v_cndmask_b32_e32 v4, 0, v5, vcc
	v_add_u32_e32 v3, v3, v4
	ds_write_b32 v18, v3
.LBB2764_74:
	s_or_b64 exec, exec, s[2:3]
	v_cmp_lt_u32_e32 vcc, 63, v0
	v_mov_b32_e32 v4, 0
	v_mov_b32_e32 v3, 0
	s_waitcnt lgkmcnt(0)
	s_barrier
	s_and_saveexec_b64 s[2:3], vcc
	s_cbranch_execz .LBB2764_76
; %bb.75:
	v_lshl_add_u32 v3, v67, 2, -4
	ds_read_b32 v3, v3
.LBB2764_76:
	s_or_b64 exec, exec, s[2:3]
	v_add_u32_e32 v5, -1, v66
	v_and_b32_e32 v6, 64, v66
	v_cmp_lt_i32_e32 vcc, v5, v6
	s_waitcnt lgkmcnt(0)
	v_add_u32_e32 v2, v3, v2
	ds_read_b32 v34, v4 offset:28
	v_cndmask_b32_e32 v5, v5, v66, vcc
	v_lshlrev_b32_e32 v5, 2, v5
	ds_bpermute_b32 v2, v5, v2
	v_cmp_eq_u32_e32 vcc, 0, v0
	s_and_saveexec_b64 s[2:3], vcc
	s_cbranch_execz .LBB2764_78
; %bb.77:
	v_mov_b32_e32 v4, 0
	v_mov_b32_e32 v35, 2
	s_waitcnt lgkmcnt(1)
	global_store_dwordx2 v4, v[34:35], s[34:35] offset:512 sc1
.LBB2764_78:
	s_or_b64 exec, exec, s[2:3]
	v_cmp_eq_u32_e64 s[2:3], 0, v66
	v_mov_b32_e32 v36, 0
	s_waitcnt lgkmcnt(0)
	v_cndmask_b32_e64 v2, v2, v3, s[2:3]
	v_cndmask_b32_e64 v2, v2, 0, vcc
	v_add_u32_e32 v3, v2, v52
	v_add_u32_e32 v4, v3, v53
	v_add_u32_e32 v5, v4, v54
	v_add_u32_e32 v6, v5, v55
	v_add_u32_e32 v7, v6, v56
	v_add_u32_e32 v8, v7, v57
	v_add_u32_e32 v9, v8, v58
	v_add_u32_e32 v10, v9, v59
	v_add_u32_e32 v11, v10, v60
	v_add_u32_e32 v12, v11, v61
	v_add_u32_e32 v13, v12, v62
	v_add_u32_e32 v14, v13, v63
	v_add_u32_e32 v15, v14, v64
	v_add_u32_e32 v16, v15, v65
	s_barrier
.LBB2764_79:
	v_add_u32_e32 v17, v34, v38
	v_sub_u32_e32 v2, v2, v36
	v_and_b32_e32 v38, 1, v51
	v_sub_u32_e32 v35, v17, v2
	v_cmp_eq_u32_e32 vcc, 1, v38
	s_load_dwordx2 s[0:1], s[0:1], 0x38
	v_or_b32_e32 v38, 0x200, v0
	v_cndmask_b32_e32 v2, v35, v2, vcc
	v_lshlrev_b32_e32 v2, 2, v2
	ds_write_b32 v2, v32
	v_sub_u32_e32 v2, v3, v36
	v_sub_u32_e32 v3, v17, v2
	v_and_b32_e32 v32, 1, v50
	v_add_u32_e32 v3, 1, v3
	v_cmp_eq_u32_e32 vcc, 1, v32
	v_or_b32_e32 v32, 0x600, v0
	s_nop 0
	v_cndmask_b32_e32 v2, v3, v2, vcc
	v_lshlrev_b32_e32 v2, 2, v2
	ds_write_b32 v2, v33
	v_sub_u32_e32 v2, v4, v36
	v_sub_u32_e32 v3, v17, v2
	v_and_b32_e32 v4, 1, v49
	v_add_u32_e32 v3, 2, v3
	v_cmp_eq_u32_e32 vcc, 1, v4
	v_and_b32_e32 v4, 1, v48
	v_or_b32_e32 v33, 0x400, v0
	v_cndmask_b32_e32 v2, v3, v2, vcc
	v_lshlrev_b32_e32 v2, 2, v2
	ds_write_b32 v2, v30
	v_sub_u32_e32 v2, v5, v36
	v_sub_u32_e32 v3, v17, v2
	v_add_u32_e32 v3, 3, v3
	v_cmp_eq_u32_e32 vcc, 1, v4
	v_and_b32_e32 v4, 1, v47
	v_mov_b32_e32 v5, s23
	v_cndmask_b32_e32 v2, v3, v2, vcc
	v_lshlrev_b32_e32 v2, 2, v2
	ds_write_b32 v2, v31
	v_sub_u32_e32 v2, v6, v36
	v_sub_u32_e32 v3, v17, v2
	v_add_u32_e32 v3, 4, v3
	v_cmp_eq_u32_e32 vcc, 1, v4
	v_and_b32_e32 v4, 1, v46
	v_or_b32_e32 v31, 0x800, v0
	v_cndmask_b32_e32 v2, v3, v2, vcc
	v_lshlrev_b32_e32 v2, 2, v2
	ds_write_b32 v2, v28
	v_sub_u32_e32 v2, v7, v36
	v_sub_u32_e32 v3, v17, v2
	v_add_u32_e32 v3, 5, v3
	v_cmp_eq_u32_e32 vcc, 1, v4
	v_and_b32_e32 v4, 1, v45
	v_or_b32_e32 v30, 0xa00, v0
	;; [unrolled: 9-line block ×8, first 2 shown]
	v_cndmask_b32_e32 v2, v3, v2, vcc
	v_lshlrev_b32_e32 v2, 2, v2
	ds_write_b32 v2, v23
	v_sub_u32_e32 v2, v14, v36
	v_sub_u32_e32 v3, v17, v2
	v_add_u32_e32 v3, 12, v3
	v_cmp_eq_u32_e32 vcc, 1, v4
	v_and_b32_e32 v4, 1, v37
	v_mov_b32_e32 v37, 0
	v_cndmask_b32_e32 v2, v3, v2, vcc
	v_lshlrev_b32_e32 v2, 2, v2
	ds_write_b32 v2, v20
	v_sub_u32_e32 v2, v15, v36
	v_sub_u32_e32 v3, v17, v2
	v_add_u32_e32 v3, 13, v3
	v_cmp_eq_u32_e32 vcc, 1, v4
	v_and_b32_e32 v4, 1, v19
	v_mov_b32_e32 v35, v37
	v_cndmask_b32_e32 v2, v3, v2, vcc
	v_lshlrev_b32_e32 v2, 2, v2
	ds_write_b32 v2, v21
	v_sub_u32_e32 v2, v16, v36
	v_sub_u32_e32 v3, v17, v2
	v_add_u32_e32 v3, 14, v3
	v_cmp_eq_u32_e32 vcc, 1, v4
	v_or_b32_e32 v23, 0x1800, v0
	v_or_b32_e32 v22, 0x1a00, v0
	v_cndmask_b32_e32 v2, v3, v2, vcc
	v_lshlrev_b32_e32 v2, 2, v2
	ds_write_b32 v2, v1
	v_lshl_add_u64 v[2:3], s[28:29], 0, v[34:35]
	v_lshl_add_u64 v[2:3], v[2:3], 0, v[36:37]
	s_waitcnt lgkmcnt(0)
	s_barrier
	ds_read2st64_b32 v[20:21], v18 offset1:8
	ds_read2st64_b32 v[16:17], v18 offset0:16 offset1:24
	ds_read2st64_b32 v[14:15], v18 offset0:32 offset1:40
	;; [unrolled: 1-line block ×6, first 2 shown]
	ds_read_b32 v1, v18 offset:28672
	v_sub_co_u32_e32 v4, vcc, s22, v2
	v_or_b32_e32 v19, 0x1c00, v0
	s_nop 0
	v_subb_co_u32_e32 v5, vcc, v5, v3, vcc
	v_lshlrev_b64 v[4:5], 2, v[4:5]
	v_lshl_add_u64 v[4:5], s[0:1], 0, v[4:5]
	v_lshl_add_u64 v[4:5], v[4:5], 0, s[30:31]
	s_and_b64 vcc, exec, s[20:21]
	v_cmp_le_u32_e64 s[0:1], v34, v0
	s_cbranch_vccnz .LBB2764_96
; %bb.80:
	s_and_saveexec_b64 s[2:3], s[0:1]
	s_cbranch_execnz .LBB2764_131
; %bb.81:
	s_or_b64 exec, exec, s[2:3]
	v_cmp_ge_u32_e32 vcc, v38, v34
	s_and_saveexec_b64 s[0:1], vcc
	s_cbranch_execnz .LBB2764_132
.LBB2764_82:
	s_or_b64 exec, exec, s[0:1]
	v_cmp_ge_u32_e32 vcc, v33, v34
	s_and_saveexec_b64 s[0:1], vcc
	s_cbranch_execnz .LBB2764_133
.LBB2764_83:
	s_or_b64 exec, exec, s[0:1]
	v_cmp_ge_u32_e32 vcc, v32, v34
	s_and_saveexec_b64 s[0:1], vcc
	s_cbranch_execnz .LBB2764_134
.LBB2764_84:
	s_or_b64 exec, exec, s[0:1]
	v_cmp_ge_u32_e32 vcc, v31, v34
	s_and_saveexec_b64 s[0:1], vcc
	s_cbranch_execnz .LBB2764_135
.LBB2764_85:
	s_or_b64 exec, exec, s[0:1]
	v_cmp_ge_u32_e32 vcc, v30, v34
	s_and_saveexec_b64 s[0:1], vcc
	s_cbranch_execnz .LBB2764_136
.LBB2764_86:
	s_or_b64 exec, exec, s[0:1]
	v_cmp_ge_u32_e32 vcc, v29, v34
	s_and_saveexec_b64 s[0:1], vcc
	s_cbranch_execnz .LBB2764_137
.LBB2764_87:
	s_or_b64 exec, exec, s[0:1]
	v_cmp_ge_u32_e32 vcc, v28, v34
	s_and_saveexec_b64 s[0:1], vcc
	s_cbranch_execnz .LBB2764_138
.LBB2764_88:
	s_or_b64 exec, exec, s[0:1]
	v_cmp_ge_u32_e32 vcc, v27, v34
	s_and_saveexec_b64 s[0:1], vcc
	s_cbranch_execnz .LBB2764_139
.LBB2764_89:
	s_or_b64 exec, exec, s[0:1]
	v_cmp_ge_u32_e32 vcc, v26, v34
	s_and_saveexec_b64 s[0:1], vcc
	s_cbranch_execnz .LBB2764_140
.LBB2764_90:
	s_or_b64 exec, exec, s[0:1]
	v_cmp_ge_u32_e32 vcc, v25, v34
	s_and_saveexec_b64 s[0:1], vcc
	s_cbranch_execnz .LBB2764_141
.LBB2764_91:
	s_or_b64 exec, exec, s[0:1]
	v_cmp_ge_u32_e32 vcc, v24, v34
	s_and_saveexec_b64 s[0:1], vcc
	s_cbranch_execnz .LBB2764_142
.LBB2764_92:
	s_or_b64 exec, exec, s[0:1]
	v_cmp_ge_u32_e32 vcc, v23, v34
	s_and_saveexec_b64 s[0:1], vcc
	s_cbranch_execnz .LBB2764_143
.LBB2764_93:
	s_or_b64 exec, exec, s[0:1]
	v_cmp_ge_u32_e32 vcc, v22, v34
	s_and_saveexec_b64 s[0:1], vcc
	s_cbranch_execz .LBB2764_95
.LBB2764_94:
	v_lshlrev_b32_e32 v35, 2, v22
	v_readfirstlane_b32 s2, v4
	v_readfirstlane_b32 s3, v5
	s_waitcnt lgkmcnt(1)
	s_nop 3
	global_store_dword v35, v7, s[2:3]
.LBB2764_95:
	s_or_b64 exec, exec, s[0:1]
	v_cmp_ge_u32_e64 s[0:1], v19, v34
	s_branch .LBB2764_126
.LBB2764_96:
	s_mov_b64 s[0:1], 0
	s_cbranch_execz .LBB2764_126
; %bb.97:
	v_cmp_gt_u32_e32 vcc, s33, v0
	v_cmp_le_u32_e64 s[0:1], v34, v0
	s_and_b64 s[2:3], vcc, s[0:1]
	s_and_saveexec_b64 s[0:1], s[2:3]
	s_cbranch_execz .LBB2764_99
; %bb.98:
	v_readfirstlane_b32 s2, v4
	v_readfirstlane_b32 s3, v5
	s_waitcnt lgkmcnt(7)
	s_nop 3
	global_store_dword v18, v20, s[2:3]
.LBB2764_99:
	s_or_b64 exec, exec, s[0:1]
	v_cmp_gt_u32_e32 vcc, s33, v38
	v_cmp_ge_u32_e64 s[0:1], v38, v34
	s_and_b64 s[2:3], vcc, s[0:1]
	s_and_saveexec_b64 s[0:1], s[2:3]
	s_cbranch_execz .LBB2764_101
; %bb.100:
	v_readfirstlane_b32 s2, v4
	v_readfirstlane_b32 s3, v5
	s_waitcnt lgkmcnt(7)
	s_nop 3
	global_store_dword v18, v21, s[2:3] offset:2048
.LBB2764_101:
	s_or_b64 exec, exec, s[0:1]
	v_cmp_gt_u32_e32 vcc, s33, v33
	v_cmp_ge_u32_e64 s[0:1], v33, v34
	s_and_b64 s[2:3], vcc, s[0:1]
	s_and_saveexec_b64 s[0:1], s[2:3]
	s_cbranch_execz .LBB2764_103
; %bb.102:
	v_lshlrev_b32_e32 v18, 2, v33
	v_readfirstlane_b32 s2, v4
	v_readfirstlane_b32 s3, v5
	s_waitcnt lgkmcnt(6)
	s_nop 3
	global_store_dword v18, v16, s[2:3]
.LBB2764_103:
	s_or_b64 exec, exec, s[0:1]
	v_cmp_gt_u32_e32 vcc, s33, v32
	v_cmp_ge_u32_e64 s[0:1], v32, v34
	s_and_b64 s[2:3], vcc, s[0:1]
	s_and_saveexec_b64 s[0:1], s[2:3]
	s_cbranch_execz .LBB2764_105
; %bb.104:
	s_waitcnt lgkmcnt(6)
	v_lshlrev_b32_e32 v16, 2, v32
	v_readfirstlane_b32 s2, v4
	v_readfirstlane_b32 s3, v5
	s_nop 4
	global_store_dword v16, v17, s[2:3]
.LBB2764_105:
	s_or_b64 exec, exec, s[0:1]
	v_cmp_gt_u32_e32 vcc, s33, v31
	v_cmp_ge_u32_e64 s[0:1], v31, v34
	s_and_b64 s[2:3], vcc, s[0:1]
	s_and_saveexec_b64 s[0:1], s[2:3]
	s_cbranch_execz .LBB2764_107
; %bb.106:
	s_waitcnt lgkmcnt(6)
	v_lshlrev_b32_e32 v16, 2, v31
	v_readfirstlane_b32 s2, v4
	v_readfirstlane_b32 s3, v5
	s_waitcnt lgkmcnt(5)
	s_nop 3
	global_store_dword v16, v14, s[2:3]
.LBB2764_107:
	s_or_b64 exec, exec, s[0:1]
	v_cmp_gt_u32_e32 vcc, s33, v30
	v_cmp_ge_u32_e64 s[0:1], v30, v34
	s_and_b64 s[2:3], vcc, s[0:1]
	s_and_saveexec_b64 s[0:1], s[2:3]
	s_cbranch_execz .LBB2764_109
; %bb.108:
	s_waitcnt lgkmcnt(5)
	v_lshlrev_b32_e32 v14, 2, v30
	v_readfirstlane_b32 s2, v4
	v_readfirstlane_b32 s3, v5
	s_nop 4
	global_store_dword v14, v15, s[2:3]
.LBB2764_109:
	s_or_b64 exec, exec, s[0:1]
	v_cmp_gt_u32_e32 vcc, s33, v29
	v_cmp_ge_u32_e64 s[0:1], v29, v34
	s_and_b64 s[2:3], vcc, s[0:1]
	s_and_saveexec_b64 s[0:1], s[2:3]
	s_cbranch_execz .LBB2764_111
; %bb.110:
	s_waitcnt lgkmcnt(5)
	v_lshlrev_b32_e32 v14, 2, v29
	v_readfirstlane_b32 s2, v4
	v_readfirstlane_b32 s3, v5
	s_waitcnt lgkmcnt(4)
	s_nop 3
	global_store_dword v14, v12, s[2:3]
.LBB2764_111:
	;; [unrolled: 29-line block ×5, first 2 shown]
	s_or_b64 exec, exec, s[0:1]
	v_cmp_gt_u32_e32 vcc, s33, v22
	v_cmp_ge_u32_e64 s[0:1], v22, v34
	s_and_b64 s[2:3], vcc, s[0:1]
	s_and_saveexec_b64 s[0:1], s[2:3]
	s_cbranch_execz .LBB2764_125
; %bb.124:
	s_waitcnt lgkmcnt(1)
	v_lshlrev_b32_e32 v6, 2, v22
	v_readfirstlane_b32 s2, v4
	v_readfirstlane_b32 s3, v5
	s_nop 4
	global_store_dword v6, v7, s[2:3]
.LBB2764_125:
	s_or_b64 exec, exec, s[0:1]
	v_cmp_gt_u32_e32 vcc, s33, v19
	v_cmp_ge_u32_e64 s[0:1], v19, v34
	s_and_b64 s[0:1], vcc, s[0:1]
.LBB2764_126:
	s_and_saveexec_b64 s[2:3], s[0:1]
	s_cbranch_execz .LBB2764_128
; %bb.127:
	s_waitcnt lgkmcnt(1)
	v_lshlrev_b32_e32 v6, 2, v19
	v_readfirstlane_b32 s0, v4
	v_readfirstlane_b32 s1, v5
	s_waitcnt lgkmcnt(0)
	s_nop 3
	global_store_dword v6, v1, s[0:1]
.LBB2764_128:
	s_or_b64 exec, exec, s[2:3]
	v_cmp_eq_u32_e32 vcc, 0, v0
	s_and_b64 s[0:1], vcc, s[26:27]
	s_and_saveexec_b64 s[2:3], s[0:1]
	s_cbranch_execz .LBB2764_130
; %bb.129:
	v_mov_b32_e32 v0, 0
	global_store_dwordx2 v0, v[2:3], s[24:25]
.LBB2764_130:
	s_endpgm
.LBB2764_131:
	v_readfirstlane_b32 s0, v4
	v_readfirstlane_b32 s1, v5
	s_waitcnt lgkmcnt(7)
	s_nop 3
	global_store_dword v18, v20, s[0:1]
	s_or_b64 exec, exec, s[2:3]
	v_cmp_ge_u32_e32 vcc, v38, v34
	s_and_saveexec_b64 s[0:1], vcc
	s_cbranch_execz .LBB2764_82
.LBB2764_132:
	v_readfirstlane_b32 s2, v4
	v_readfirstlane_b32 s3, v5
	s_waitcnt lgkmcnt(7)
	s_nop 3
	global_store_dword v18, v21, s[2:3] offset:2048
	s_or_b64 exec, exec, s[0:1]
	v_cmp_ge_u32_e32 vcc, v33, v34
	s_and_saveexec_b64 s[0:1], vcc
	s_cbranch_execz .LBB2764_83
.LBB2764_133:
	v_lshlrev_b32_e32 v35, 2, v33
	v_readfirstlane_b32 s2, v4
	v_readfirstlane_b32 s3, v5
	s_waitcnt lgkmcnt(6)
	s_nop 3
	global_store_dword v35, v16, s[2:3]
	s_or_b64 exec, exec, s[0:1]
	v_cmp_ge_u32_e32 vcc, v32, v34
	s_and_saveexec_b64 s[0:1], vcc
	s_cbranch_execz .LBB2764_84
.LBB2764_134:
	v_lshlrev_b32_e32 v35, 2, v32
	v_readfirstlane_b32 s2, v4
	v_readfirstlane_b32 s3, v5
	s_waitcnt lgkmcnt(6)
	s_nop 3
	global_store_dword v35, v17, s[2:3]
	s_or_b64 exec, exec, s[0:1]
	v_cmp_ge_u32_e32 vcc, v31, v34
	s_and_saveexec_b64 s[0:1], vcc
	s_cbranch_execz .LBB2764_85
.LBB2764_135:
	v_lshlrev_b32_e32 v35, 2, v31
	v_readfirstlane_b32 s2, v4
	v_readfirstlane_b32 s3, v5
	s_waitcnt lgkmcnt(5)
	s_nop 3
	global_store_dword v35, v14, s[2:3]
	s_or_b64 exec, exec, s[0:1]
	v_cmp_ge_u32_e32 vcc, v30, v34
	s_and_saveexec_b64 s[0:1], vcc
	s_cbranch_execz .LBB2764_86
.LBB2764_136:
	v_lshlrev_b32_e32 v35, 2, v30
	v_readfirstlane_b32 s2, v4
	v_readfirstlane_b32 s3, v5
	s_waitcnt lgkmcnt(5)
	s_nop 3
	global_store_dword v35, v15, s[2:3]
	s_or_b64 exec, exec, s[0:1]
	v_cmp_ge_u32_e32 vcc, v29, v34
	s_and_saveexec_b64 s[0:1], vcc
	s_cbranch_execz .LBB2764_87
.LBB2764_137:
	v_lshlrev_b32_e32 v35, 2, v29
	v_readfirstlane_b32 s2, v4
	v_readfirstlane_b32 s3, v5
	s_waitcnt lgkmcnt(4)
	s_nop 3
	global_store_dword v35, v12, s[2:3]
	s_or_b64 exec, exec, s[0:1]
	v_cmp_ge_u32_e32 vcc, v28, v34
	s_and_saveexec_b64 s[0:1], vcc
	s_cbranch_execz .LBB2764_88
.LBB2764_138:
	v_lshlrev_b32_e32 v35, 2, v28
	v_readfirstlane_b32 s2, v4
	v_readfirstlane_b32 s3, v5
	s_waitcnt lgkmcnt(4)
	s_nop 3
	global_store_dword v35, v13, s[2:3]
	s_or_b64 exec, exec, s[0:1]
	v_cmp_ge_u32_e32 vcc, v27, v34
	s_and_saveexec_b64 s[0:1], vcc
	s_cbranch_execz .LBB2764_89
.LBB2764_139:
	v_lshlrev_b32_e32 v35, 2, v27
	v_readfirstlane_b32 s2, v4
	v_readfirstlane_b32 s3, v5
	s_waitcnt lgkmcnt(3)
	s_nop 3
	global_store_dword v35, v10, s[2:3]
	s_or_b64 exec, exec, s[0:1]
	v_cmp_ge_u32_e32 vcc, v26, v34
	s_and_saveexec_b64 s[0:1], vcc
	s_cbranch_execz .LBB2764_90
.LBB2764_140:
	v_lshlrev_b32_e32 v35, 2, v26
	v_readfirstlane_b32 s2, v4
	v_readfirstlane_b32 s3, v5
	s_waitcnt lgkmcnt(3)
	s_nop 3
	global_store_dword v35, v11, s[2:3]
	s_or_b64 exec, exec, s[0:1]
	v_cmp_ge_u32_e32 vcc, v25, v34
	s_and_saveexec_b64 s[0:1], vcc
	s_cbranch_execz .LBB2764_91
.LBB2764_141:
	v_lshlrev_b32_e32 v35, 2, v25
	v_readfirstlane_b32 s2, v4
	v_readfirstlane_b32 s3, v5
	s_waitcnt lgkmcnt(2)
	s_nop 3
	global_store_dword v35, v8, s[2:3]
	s_or_b64 exec, exec, s[0:1]
	v_cmp_ge_u32_e32 vcc, v24, v34
	s_and_saveexec_b64 s[0:1], vcc
	s_cbranch_execz .LBB2764_92
.LBB2764_142:
	v_lshlrev_b32_e32 v35, 2, v24
	v_readfirstlane_b32 s2, v4
	v_readfirstlane_b32 s3, v5
	s_waitcnt lgkmcnt(2)
	s_nop 3
	global_store_dword v35, v9, s[2:3]
	s_or_b64 exec, exec, s[0:1]
	v_cmp_ge_u32_e32 vcc, v23, v34
	s_and_saveexec_b64 s[0:1], vcc
	s_cbranch_execz .LBB2764_93
.LBB2764_143:
	v_lshlrev_b32_e32 v35, 2, v23
	v_readfirstlane_b32 s2, v4
	v_readfirstlane_b32 s3, v5
	s_waitcnt lgkmcnt(1)
	s_nop 3
	global_store_dword v35, v6, s[2:3]
	s_or_b64 exec, exec, s[0:1]
	v_cmp_ge_u32_e32 vcc, v22, v34
	s_and_saveexec_b64 s[0:1], vcc
	s_cbranch_execnz .LBB2764_94
	s_branch .LBB2764_95
	.section	.rodata,"a",@progbits
	.p2align	6, 0x0
	.amdhsa_kernel _ZN7rocprim17ROCPRIM_400000_NS6detail17trampoline_kernelINS0_14default_configENS1_25partition_config_selectorILNS1_17partition_subalgoE0EiNS0_10empty_typeEbEEZZNS1_14partition_implILS5_0ELb0ES3_jN6thrust23THRUST_200600_302600_NS6detail15normal_iteratorINSA_10device_ptrIiEEEEPS6_SG_NS0_5tupleIJNSA_16discard_iteratorINSA_11use_defaultEEESF_EEENSH_IJSG_SG_EEES6_PlJ7is_evenIiEEEE10hipError_tPvRmT3_T4_T5_T6_T7_T9_mT8_P12ihipStream_tbDpT10_ENKUlT_T0_E_clISt17integral_constantIbLb1EES18_IbLb0EEEEDaS14_S15_EUlS14_E_NS1_11comp_targetILNS1_3genE5ELNS1_11target_archE942ELNS1_3gpuE9ELNS1_3repE0EEENS1_30default_config_static_selectorELNS0_4arch9wavefront6targetE1EEEvT1_
		.amdhsa_group_segment_fixed_size 30728
		.amdhsa_private_segment_fixed_size 0
		.amdhsa_kernarg_size 128
		.amdhsa_user_sgpr_count 2
		.amdhsa_user_sgpr_dispatch_ptr 0
		.amdhsa_user_sgpr_queue_ptr 0
		.amdhsa_user_sgpr_kernarg_segment_ptr 1
		.amdhsa_user_sgpr_dispatch_id 0
		.amdhsa_user_sgpr_kernarg_preload_length 0
		.amdhsa_user_sgpr_kernarg_preload_offset 0
		.amdhsa_user_sgpr_private_segment_size 0
		.amdhsa_uses_dynamic_stack 0
		.amdhsa_enable_private_segment 0
		.amdhsa_system_sgpr_workgroup_id_x 1
		.amdhsa_system_sgpr_workgroup_id_y 0
		.amdhsa_system_sgpr_workgroup_id_z 0
		.amdhsa_system_sgpr_workgroup_info 0
		.amdhsa_system_vgpr_workitem_id 0
		.amdhsa_next_free_vgpr 76
		.amdhsa_next_free_sgpr 44
		.amdhsa_accum_offset 76
		.amdhsa_reserve_vcc 1
		.amdhsa_float_round_mode_32 0
		.amdhsa_float_round_mode_16_64 0
		.amdhsa_float_denorm_mode_32 3
		.amdhsa_float_denorm_mode_16_64 3
		.amdhsa_dx10_clamp 1
		.amdhsa_ieee_mode 1
		.amdhsa_fp16_overflow 0
		.amdhsa_tg_split 0
		.amdhsa_exception_fp_ieee_invalid_op 0
		.amdhsa_exception_fp_denorm_src 0
		.amdhsa_exception_fp_ieee_div_zero 0
		.amdhsa_exception_fp_ieee_overflow 0
		.amdhsa_exception_fp_ieee_underflow 0
		.amdhsa_exception_fp_ieee_inexact 0
		.amdhsa_exception_int_div_zero 0
	.end_amdhsa_kernel
	.section	.text._ZN7rocprim17ROCPRIM_400000_NS6detail17trampoline_kernelINS0_14default_configENS1_25partition_config_selectorILNS1_17partition_subalgoE0EiNS0_10empty_typeEbEEZZNS1_14partition_implILS5_0ELb0ES3_jN6thrust23THRUST_200600_302600_NS6detail15normal_iteratorINSA_10device_ptrIiEEEEPS6_SG_NS0_5tupleIJNSA_16discard_iteratorINSA_11use_defaultEEESF_EEENSH_IJSG_SG_EEES6_PlJ7is_evenIiEEEE10hipError_tPvRmT3_T4_T5_T6_T7_T9_mT8_P12ihipStream_tbDpT10_ENKUlT_T0_E_clISt17integral_constantIbLb1EES18_IbLb0EEEEDaS14_S15_EUlS14_E_NS1_11comp_targetILNS1_3genE5ELNS1_11target_archE942ELNS1_3gpuE9ELNS1_3repE0EEENS1_30default_config_static_selectorELNS0_4arch9wavefront6targetE1EEEvT1_,"axG",@progbits,_ZN7rocprim17ROCPRIM_400000_NS6detail17trampoline_kernelINS0_14default_configENS1_25partition_config_selectorILNS1_17partition_subalgoE0EiNS0_10empty_typeEbEEZZNS1_14partition_implILS5_0ELb0ES3_jN6thrust23THRUST_200600_302600_NS6detail15normal_iteratorINSA_10device_ptrIiEEEEPS6_SG_NS0_5tupleIJNSA_16discard_iteratorINSA_11use_defaultEEESF_EEENSH_IJSG_SG_EEES6_PlJ7is_evenIiEEEE10hipError_tPvRmT3_T4_T5_T6_T7_T9_mT8_P12ihipStream_tbDpT10_ENKUlT_T0_E_clISt17integral_constantIbLb1EES18_IbLb0EEEEDaS14_S15_EUlS14_E_NS1_11comp_targetILNS1_3genE5ELNS1_11target_archE942ELNS1_3gpuE9ELNS1_3repE0EEENS1_30default_config_static_selectorELNS0_4arch9wavefront6targetE1EEEvT1_,comdat
.Lfunc_end2764:
	.size	_ZN7rocprim17ROCPRIM_400000_NS6detail17trampoline_kernelINS0_14default_configENS1_25partition_config_selectorILNS1_17partition_subalgoE0EiNS0_10empty_typeEbEEZZNS1_14partition_implILS5_0ELb0ES3_jN6thrust23THRUST_200600_302600_NS6detail15normal_iteratorINSA_10device_ptrIiEEEEPS6_SG_NS0_5tupleIJNSA_16discard_iteratorINSA_11use_defaultEEESF_EEENSH_IJSG_SG_EEES6_PlJ7is_evenIiEEEE10hipError_tPvRmT3_T4_T5_T6_T7_T9_mT8_P12ihipStream_tbDpT10_ENKUlT_T0_E_clISt17integral_constantIbLb1EES18_IbLb0EEEEDaS14_S15_EUlS14_E_NS1_11comp_targetILNS1_3genE5ELNS1_11target_archE942ELNS1_3gpuE9ELNS1_3repE0EEENS1_30default_config_static_selectorELNS0_4arch9wavefront6targetE1EEEvT1_, .Lfunc_end2764-_ZN7rocprim17ROCPRIM_400000_NS6detail17trampoline_kernelINS0_14default_configENS1_25partition_config_selectorILNS1_17partition_subalgoE0EiNS0_10empty_typeEbEEZZNS1_14partition_implILS5_0ELb0ES3_jN6thrust23THRUST_200600_302600_NS6detail15normal_iteratorINSA_10device_ptrIiEEEEPS6_SG_NS0_5tupleIJNSA_16discard_iteratorINSA_11use_defaultEEESF_EEENSH_IJSG_SG_EEES6_PlJ7is_evenIiEEEE10hipError_tPvRmT3_T4_T5_T6_T7_T9_mT8_P12ihipStream_tbDpT10_ENKUlT_T0_E_clISt17integral_constantIbLb1EES18_IbLb0EEEEDaS14_S15_EUlS14_E_NS1_11comp_targetILNS1_3genE5ELNS1_11target_archE942ELNS1_3gpuE9ELNS1_3repE0EEENS1_30default_config_static_selectorELNS0_4arch9wavefront6targetE1EEEvT1_
                                        ; -- End function
	.section	.AMDGPU.csdata,"",@progbits
; Kernel info:
; codeLenInByte = 6760
; NumSgprs: 50
; NumVgprs: 76
; NumAgprs: 0
; TotalNumVgprs: 76
; ScratchSize: 0
; MemoryBound: 0
; FloatMode: 240
; IeeeMode: 1
; LDSByteSize: 30728 bytes/workgroup (compile time only)
; SGPRBlocks: 6
; VGPRBlocks: 9
; NumSGPRsForWavesPerEU: 50
; NumVGPRsForWavesPerEU: 76
; AccumOffset: 76
; Occupancy: 4
; WaveLimiterHint : 1
; COMPUTE_PGM_RSRC2:SCRATCH_EN: 0
; COMPUTE_PGM_RSRC2:USER_SGPR: 2
; COMPUTE_PGM_RSRC2:TRAP_HANDLER: 0
; COMPUTE_PGM_RSRC2:TGID_X_EN: 1
; COMPUTE_PGM_RSRC2:TGID_Y_EN: 0
; COMPUTE_PGM_RSRC2:TGID_Z_EN: 0
; COMPUTE_PGM_RSRC2:TIDIG_COMP_CNT: 0
; COMPUTE_PGM_RSRC3_GFX90A:ACCUM_OFFSET: 18
; COMPUTE_PGM_RSRC3_GFX90A:TG_SPLIT: 0
	.section	.text._ZN7rocprim17ROCPRIM_400000_NS6detail17trampoline_kernelINS0_14default_configENS1_25partition_config_selectorILNS1_17partition_subalgoE0EiNS0_10empty_typeEbEEZZNS1_14partition_implILS5_0ELb0ES3_jN6thrust23THRUST_200600_302600_NS6detail15normal_iteratorINSA_10device_ptrIiEEEEPS6_SG_NS0_5tupleIJNSA_16discard_iteratorINSA_11use_defaultEEESF_EEENSH_IJSG_SG_EEES6_PlJ7is_evenIiEEEE10hipError_tPvRmT3_T4_T5_T6_T7_T9_mT8_P12ihipStream_tbDpT10_ENKUlT_T0_E_clISt17integral_constantIbLb1EES18_IbLb0EEEEDaS14_S15_EUlS14_E_NS1_11comp_targetILNS1_3genE4ELNS1_11target_archE910ELNS1_3gpuE8ELNS1_3repE0EEENS1_30default_config_static_selectorELNS0_4arch9wavefront6targetE1EEEvT1_,"axG",@progbits,_ZN7rocprim17ROCPRIM_400000_NS6detail17trampoline_kernelINS0_14default_configENS1_25partition_config_selectorILNS1_17partition_subalgoE0EiNS0_10empty_typeEbEEZZNS1_14partition_implILS5_0ELb0ES3_jN6thrust23THRUST_200600_302600_NS6detail15normal_iteratorINSA_10device_ptrIiEEEEPS6_SG_NS0_5tupleIJNSA_16discard_iteratorINSA_11use_defaultEEESF_EEENSH_IJSG_SG_EEES6_PlJ7is_evenIiEEEE10hipError_tPvRmT3_T4_T5_T6_T7_T9_mT8_P12ihipStream_tbDpT10_ENKUlT_T0_E_clISt17integral_constantIbLb1EES18_IbLb0EEEEDaS14_S15_EUlS14_E_NS1_11comp_targetILNS1_3genE4ELNS1_11target_archE910ELNS1_3gpuE8ELNS1_3repE0EEENS1_30default_config_static_selectorELNS0_4arch9wavefront6targetE1EEEvT1_,comdat
	.protected	_ZN7rocprim17ROCPRIM_400000_NS6detail17trampoline_kernelINS0_14default_configENS1_25partition_config_selectorILNS1_17partition_subalgoE0EiNS0_10empty_typeEbEEZZNS1_14partition_implILS5_0ELb0ES3_jN6thrust23THRUST_200600_302600_NS6detail15normal_iteratorINSA_10device_ptrIiEEEEPS6_SG_NS0_5tupleIJNSA_16discard_iteratorINSA_11use_defaultEEESF_EEENSH_IJSG_SG_EEES6_PlJ7is_evenIiEEEE10hipError_tPvRmT3_T4_T5_T6_T7_T9_mT8_P12ihipStream_tbDpT10_ENKUlT_T0_E_clISt17integral_constantIbLb1EES18_IbLb0EEEEDaS14_S15_EUlS14_E_NS1_11comp_targetILNS1_3genE4ELNS1_11target_archE910ELNS1_3gpuE8ELNS1_3repE0EEENS1_30default_config_static_selectorELNS0_4arch9wavefront6targetE1EEEvT1_ ; -- Begin function _ZN7rocprim17ROCPRIM_400000_NS6detail17trampoline_kernelINS0_14default_configENS1_25partition_config_selectorILNS1_17partition_subalgoE0EiNS0_10empty_typeEbEEZZNS1_14partition_implILS5_0ELb0ES3_jN6thrust23THRUST_200600_302600_NS6detail15normal_iteratorINSA_10device_ptrIiEEEEPS6_SG_NS0_5tupleIJNSA_16discard_iteratorINSA_11use_defaultEEESF_EEENSH_IJSG_SG_EEES6_PlJ7is_evenIiEEEE10hipError_tPvRmT3_T4_T5_T6_T7_T9_mT8_P12ihipStream_tbDpT10_ENKUlT_T0_E_clISt17integral_constantIbLb1EES18_IbLb0EEEEDaS14_S15_EUlS14_E_NS1_11comp_targetILNS1_3genE4ELNS1_11target_archE910ELNS1_3gpuE8ELNS1_3repE0EEENS1_30default_config_static_selectorELNS0_4arch9wavefront6targetE1EEEvT1_
	.globl	_ZN7rocprim17ROCPRIM_400000_NS6detail17trampoline_kernelINS0_14default_configENS1_25partition_config_selectorILNS1_17partition_subalgoE0EiNS0_10empty_typeEbEEZZNS1_14partition_implILS5_0ELb0ES3_jN6thrust23THRUST_200600_302600_NS6detail15normal_iteratorINSA_10device_ptrIiEEEEPS6_SG_NS0_5tupleIJNSA_16discard_iteratorINSA_11use_defaultEEESF_EEENSH_IJSG_SG_EEES6_PlJ7is_evenIiEEEE10hipError_tPvRmT3_T4_T5_T6_T7_T9_mT8_P12ihipStream_tbDpT10_ENKUlT_T0_E_clISt17integral_constantIbLb1EES18_IbLb0EEEEDaS14_S15_EUlS14_E_NS1_11comp_targetILNS1_3genE4ELNS1_11target_archE910ELNS1_3gpuE8ELNS1_3repE0EEENS1_30default_config_static_selectorELNS0_4arch9wavefront6targetE1EEEvT1_
	.p2align	8
	.type	_ZN7rocprim17ROCPRIM_400000_NS6detail17trampoline_kernelINS0_14default_configENS1_25partition_config_selectorILNS1_17partition_subalgoE0EiNS0_10empty_typeEbEEZZNS1_14partition_implILS5_0ELb0ES3_jN6thrust23THRUST_200600_302600_NS6detail15normal_iteratorINSA_10device_ptrIiEEEEPS6_SG_NS0_5tupleIJNSA_16discard_iteratorINSA_11use_defaultEEESF_EEENSH_IJSG_SG_EEES6_PlJ7is_evenIiEEEE10hipError_tPvRmT3_T4_T5_T6_T7_T9_mT8_P12ihipStream_tbDpT10_ENKUlT_T0_E_clISt17integral_constantIbLb1EES18_IbLb0EEEEDaS14_S15_EUlS14_E_NS1_11comp_targetILNS1_3genE4ELNS1_11target_archE910ELNS1_3gpuE8ELNS1_3repE0EEENS1_30default_config_static_selectorELNS0_4arch9wavefront6targetE1EEEvT1_,@function
_ZN7rocprim17ROCPRIM_400000_NS6detail17trampoline_kernelINS0_14default_configENS1_25partition_config_selectorILNS1_17partition_subalgoE0EiNS0_10empty_typeEbEEZZNS1_14partition_implILS5_0ELb0ES3_jN6thrust23THRUST_200600_302600_NS6detail15normal_iteratorINSA_10device_ptrIiEEEEPS6_SG_NS0_5tupleIJNSA_16discard_iteratorINSA_11use_defaultEEESF_EEENSH_IJSG_SG_EEES6_PlJ7is_evenIiEEEE10hipError_tPvRmT3_T4_T5_T6_T7_T9_mT8_P12ihipStream_tbDpT10_ENKUlT_T0_E_clISt17integral_constantIbLb1EES18_IbLb0EEEEDaS14_S15_EUlS14_E_NS1_11comp_targetILNS1_3genE4ELNS1_11target_archE910ELNS1_3gpuE8ELNS1_3repE0EEENS1_30default_config_static_selectorELNS0_4arch9wavefront6targetE1EEEvT1_: ; @_ZN7rocprim17ROCPRIM_400000_NS6detail17trampoline_kernelINS0_14default_configENS1_25partition_config_selectorILNS1_17partition_subalgoE0EiNS0_10empty_typeEbEEZZNS1_14partition_implILS5_0ELb0ES3_jN6thrust23THRUST_200600_302600_NS6detail15normal_iteratorINSA_10device_ptrIiEEEEPS6_SG_NS0_5tupleIJNSA_16discard_iteratorINSA_11use_defaultEEESF_EEENSH_IJSG_SG_EEES6_PlJ7is_evenIiEEEE10hipError_tPvRmT3_T4_T5_T6_T7_T9_mT8_P12ihipStream_tbDpT10_ENKUlT_T0_E_clISt17integral_constantIbLb1EES18_IbLb0EEEEDaS14_S15_EUlS14_E_NS1_11comp_targetILNS1_3genE4ELNS1_11target_archE910ELNS1_3gpuE8ELNS1_3repE0EEENS1_30default_config_static_selectorELNS0_4arch9wavefront6targetE1EEEvT1_
; %bb.0:
	.section	.rodata,"a",@progbits
	.p2align	6, 0x0
	.amdhsa_kernel _ZN7rocprim17ROCPRIM_400000_NS6detail17trampoline_kernelINS0_14default_configENS1_25partition_config_selectorILNS1_17partition_subalgoE0EiNS0_10empty_typeEbEEZZNS1_14partition_implILS5_0ELb0ES3_jN6thrust23THRUST_200600_302600_NS6detail15normal_iteratorINSA_10device_ptrIiEEEEPS6_SG_NS0_5tupleIJNSA_16discard_iteratorINSA_11use_defaultEEESF_EEENSH_IJSG_SG_EEES6_PlJ7is_evenIiEEEE10hipError_tPvRmT3_T4_T5_T6_T7_T9_mT8_P12ihipStream_tbDpT10_ENKUlT_T0_E_clISt17integral_constantIbLb1EES18_IbLb0EEEEDaS14_S15_EUlS14_E_NS1_11comp_targetILNS1_3genE4ELNS1_11target_archE910ELNS1_3gpuE8ELNS1_3repE0EEENS1_30default_config_static_selectorELNS0_4arch9wavefront6targetE1EEEvT1_
		.amdhsa_group_segment_fixed_size 0
		.amdhsa_private_segment_fixed_size 0
		.amdhsa_kernarg_size 128
		.amdhsa_user_sgpr_count 2
		.amdhsa_user_sgpr_dispatch_ptr 0
		.amdhsa_user_sgpr_queue_ptr 0
		.amdhsa_user_sgpr_kernarg_segment_ptr 1
		.amdhsa_user_sgpr_dispatch_id 0
		.amdhsa_user_sgpr_kernarg_preload_length 0
		.amdhsa_user_sgpr_kernarg_preload_offset 0
		.amdhsa_user_sgpr_private_segment_size 0
		.amdhsa_uses_dynamic_stack 0
		.amdhsa_enable_private_segment 0
		.amdhsa_system_sgpr_workgroup_id_x 1
		.amdhsa_system_sgpr_workgroup_id_y 0
		.amdhsa_system_sgpr_workgroup_id_z 0
		.amdhsa_system_sgpr_workgroup_info 0
		.amdhsa_system_vgpr_workitem_id 0
		.amdhsa_next_free_vgpr 1
		.amdhsa_next_free_sgpr 0
		.amdhsa_accum_offset 4
		.amdhsa_reserve_vcc 0
		.amdhsa_float_round_mode_32 0
		.amdhsa_float_round_mode_16_64 0
		.amdhsa_float_denorm_mode_32 3
		.amdhsa_float_denorm_mode_16_64 3
		.amdhsa_dx10_clamp 1
		.amdhsa_ieee_mode 1
		.amdhsa_fp16_overflow 0
		.amdhsa_tg_split 0
		.amdhsa_exception_fp_ieee_invalid_op 0
		.amdhsa_exception_fp_denorm_src 0
		.amdhsa_exception_fp_ieee_div_zero 0
		.amdhsa_exception_fp_ieee_overflow 0
		.amdhsa_exception_fp_ieee_underflow 0
		.amdhsa_exception_fp_ieee_inexact 0
		.amdhsa_exception_int_div_zero 0
	.end_amdhsa_kernel
	.section	.text._ZN7rocprim17ROCPRIM_400000_NS6detail17trampoline_kernelINS0_14default_configENS1_25partition_config_selectorILNS1_17partition_subalgoE0EiNS0_10empty_typeEbEEZZNS1_14partition_implILS5_0ELb0ES3_jN6thrust23THRUST_200600_302600_NS6detail15normal_iteratorINSA_10device_ptrIiEEEEPS6_SG_NS0_5tupleIJNSA_16discard_iteratorINSA_11use_defaultEEESF_EEENSH_IJSG_SG_EEES6_PlJ7is_evenIiEEEE10hipError_tPvRmT3_T4_T5_T6_T7_T9_mT8_P12ihipStream_tbDpT10_ENKUlT_T0_E_clISt17integral_constantIbLb1EES18_IbLb0EEEEDaS14_S15_EUlS14_E_NS1_11comp_targetILNS1_3genE4ELNS1_11target_archE910ELNS1_3gpuE8ELNS1_3repE0EEENS1_30default_config_static_selectorELNS0_4arch9wavefront6targetE1EEEvT1_,"axG",@progbits,_ZN7rocprim17ROCPRIM_400000_NS6detail17trampoline_kernelINS0_14default_configENS1_25partition_config_selectorILNS1_17partition_subalgoE0EiNS0_10empty_typeEbEEZZNS1_14partition_implILS5_0ELb0ES3_jN6thrust23THRUST_200600_302600_NS6detail15normal_iteratorINSA_10device_ptrIiEEEEPS6_SG_NS0_5tupleIJNSA_16discard_iteratorINSA_11use_defaultEEESF_EEENSH_IJSG_SG_EEES6_PlJ7is_evenIiEEEE10hipError_tPvRmT3_T4_T5_T6_T7_T9_mT8_P12ihipStream_tbDpT10_ENKUlT_T0_E_clISt17integral_constantIbLb1EES18_IbLb0EEEEDaS14_S15_EUlS14_E_NS1_11comp_targetILNS1_3genE4ELNS1_11target_archE910ELNS1_3gpuE8ELNS1_3repE0EEENS1_30default_config_static_selectorELNS0_4arch9wavefront6targetE1EEEvT1_,comdat
.Lfunc_end2765:
	.size	_ZN7rocprim17ROCPRIM_400000_NS6detail17trampoline_kernelINS0_14default_configENS1_25partition_config_selectorILNS1_17partition_subalgoE0EiNS0_10empty_typeEbEEZZNS1_14partition_implILS5_0ELb0ES3_jN6thrust23THRUST_200600_302600_NS6detail15normal_iteratorINSA_10device_ptrIiEEEEPS6_SG_NS0_5tupleIJNSA_16discard_iteratorINSA_11use_defaultEEESF_EEENSH_IJSG_SG_EEES6_PlJ7is_evenIiEEEE10hipError_tPvRmT3_T4_T5_T6_T7_T9_mT8_P12ihipStream_tbDpT10_ENKUlT_T0_E_clISt17integral_constantIbLb1EES18_IbLb0EEEEDaS14_S15_EUlS14_E_NS1_11comp_targetILNS1_3genE4ELNS1_11target_archE910ELNS1_3gpuE8ELNS1_3repE0EEENS1_30default_config_static_selectorELNS0_4arch9wavefront6targetE1EEEvT1_, .Lfunc_end2765-_ZN7rocprim17ROCPRIM_400000_NS6detail17trampoline_kernelINS0_14default_configENS1_25partition_config_selectorILNS1_17partition_subalgoE0EiNS0_10empty_typeEbEEZZNS1_14partition_implILS5_0ELb0ES3_jN6thrust23THRUST_200600_302600_NS6detail15normal_iteratorINSA_10device_ptrIiEEEEPS6_SG_NS0_5tupleIJNSA_16discard_iteratorINSA_11use_defaultEEESF_EEENSH_IJSG_SG_EEES6_PlJ7is_evenIiEEEE10hipError_tPvRmT3_T4_T5_T6_T7_T9_mT8_P12ihipStream_tbDpT10_ENKUlT_T0_E_clISt17integral_constantIbLb1EES18_IbLb0EEEEDaS14_S15_EUlS14_E_NS1_11comp_targetILNS1_3genE4ELNS1_11target_archE910ELNS1_3gpuE8ELNS1_3repE0EEENS1_30default_config_static_selectorELNS0_4arch9wavefront6targetE1EEEvT1_
                                        ; -- End function
	.section	.AMDGPU.csdata,"",@progbits
; Kernel info:
; codeLenInByte = 0
; NumSgprs: 6
; NumVgprs: 0
; NumAgprs: 0
; TotalNumVgprs: 0
; ScratchSize: 0
; MemoryBound: 0
; FloatMode: 240
; IeeeMode: 1
; LDSByteSize: 0 bytes/workgroup (compile time only)
; SGPRBlocks: 0
; VGPRBlocks: 0
; NumSGPRsForWavesPerEU: 6
; NumVGPRsForWavesPerEU: 1
; AccumOffset: 4
; Occupancy: 8
; WaveLimiterHint : 0
; COMPUTE_PGM_RSRC2:SCRATCH_EN: 0
; COMPUTE_PGM_RSRC2:USER_SGPR: 2
; COMPUTE_PGM_RSRC2:TRAP_HANDLER: 0
; COMPUTE_PGM_RSRC2:TGID_X_EN: 1
; COMPUTE_PGM_RSRC2:TGID_Y_EN: 0
; COMPUTE_PGM_RSRC2:TGID_Z_EN: 0
; COMPUTE_PGM_RSRC2:TIDIG_COMP_CNT: 0
; COMPUTE_PGM_RSRC3_GFX90A:ACCUM_OFFSET: 0
; COMPUTE_PGM_RSRC3_GFX90A:TG_SPLIT: 0
	.section	.text._ZN7rocprim17ROCPRIM_400000_NS6detail17trampoline_kernelINS0_14default_configENS1_25partition_config_selectorILNS1_17partition_subalgoE0EiNS0_10empty_typeEbEEZZNS1_14partition_implILS5_0ELb0ES3_jN6thrust23THRUST_200600_302600_NS6detail15normal_iteratorINSA_10device_ptrIiEEEEPS6_SG_NS0_5tupleIJNSA_16discard_iteratorINSA_11use_defaultEEESF_EEENSH_IJSG_SG_EEES6_PlJ7is_evenIiEEEE10hipError_tPvRmT3_T4_T5_T6_T7_T9_mT8_P12ihipStream_tbDpT10_ENKUlT_T0_E_clISt17integral_constantIbLb1EES18_IbLb0EEEEDaS14_S15_EUlS14_E_NS1_11comp_targetILNS1_3genE3ELNS1_11target_archE908ELNS1_3gpuE7ELNS1_3repE0EEENS1_30default_config_static_selectorELNS0_4arch9wavefront6targetE1EEEvT1_,"axG",@progbits,_ZN7rocprim17ROCPRIM_400000_NS6detail17trampoline_kernelINS0_14default_configENS1_25partition_config_selectorILNS1_17partition_subalgoE0EiNS0_10empty_typeEbEEZZNS1_14partition_implILS5_0ELb0ES3_jN6thrust23THRUST_200600_302600_NS6detail15normal_iteratorINSA_10device_ptrIiEEEEPS6_SG_NS0_5tupleIJNSA_16discard_iteratorINSA_11use_defaultEEESF_EEENSH_IJSG_SG_EEES6_PlJ7is_evenIiEEEE10hipError_tPvRmT3_T4_T5_T6_T7_T9_mT8_P12ihipStream_tbDpT10_ENKUlT_T0_E_clISt17integral_constantIbLb1EES18_IbLb0EEEEDaS14_S15_EUlS14_E_NS1_11comp_targetILNS1_3genE3ELNS1_11target_archE908ELNS1_3gpuE7ELNS1_3repE0EEENS1_30default_config_static_selectorELNS0_4arch9wavefront6targetE1EEEvT1_,comdat
	.protected	_ZN7rocprim17ROCPRIM_400000_NS6detail17trampoline_kernelINS0_14default_configENS1_25partition_config_selectorILNS1_17partition_subalgoE0EiNS0_10empty_typeEbEEZZNS1_14partition_implILS5_0ELb0ES3_jN6thrust23THRUST_200600_302600_NS6detail15normal_iteratorINSA_10device_ptrIiEEEEPS6_SG_NS0_5tupleIJNSA_16discard_iteratorINSA_11use_defaultEEESF_EEENSH_IJSG_SG_EEES6_PlJ7is_evenIiEEEE10hipError_tPvRmT3_T4_T5_T6_T7_T9_mT8_P12ihipStream_tbDpT10_ENKUlT_T0_E_clISt17integral_constantIbLb1EES18_IbLb0EEEEDaS14_S15_EUlS14_E_NS1_11comp_targetILNS1_3genE3ELNS1_11target_archE908ELNS1_3gpuE7ELNS1_3repE0EEENS1_30default_config_static_selectorELNS0_4arch9wavefront6targetE1EEEvT1_ ; -- Begin function _ZN7rocprim17ROCPRIM_400000_NS6detail17trampoline_kernelINS0_14default_configENS1_25partition_config_selectorILNS1_17partition_subalgoE0EiNS0_10empty_typeEbEEZZNS1_14partition_implILS5_0ELb0ES3_jN6thrust23THRUST_200600_302600_NS6detail15normal_iteratorINSA_10device_ptrIiEEEEPS6_SG_NS0_5tupleIJNSA_16discard_iteratorINSA_11use_defaultEEESF_EEENSH_IJSG_SG_EEES6_PlJ7is_evenIiEEEE10hipError_tPvRmT3_T4_T5_T6_T7_T9_mT8_P12ihipStream_tbDpT10_ENKUlT_T0_E_clISt17integral_constantIbLb1EES18_IbLb0EEEEDaS14_S15_EUlS14_E_NS1_11comp_targetILNS1_3genE3ELNS1_11target_archE908ELNS1_3gpuE7ELNS1_3repE0EEENS1_30default_config_static_selectorELNS0_4arch9wavefront6targetE1EEEvT1_
	.globl	_ZN7rocprim17ROCPRIM_400000_NS6detail17trampoline_kernelINS0_14default_configENS1_25partition_config_selectorILNS1_17partition_subalgoE0EiNS0_10empty_typeEbEEZZNS1_14partition_implILS5_0ELb0ES3_jN6thrust23THRUST_200600_302600_NS6detail15normal_iteratorINSA_10device_ptrIiEEEEPS6_SG_NS0_5tupleIJNSA_16discard_iteratorINSA_11use_defaultEEESF_EEENSH_IJSG_SG_EEES6_PlJ7is_evenIiEEEE10hipError_tPvRmT3_T4_T5_T6_T7_T9_mT8_P12ihipStream_tbDpT10_ENKUlT_T0_E_clISt17integral_constantIbLb1EES18_IbLb0EEEEDaS14_S15_EUlS14_E_NS1_11comp_targetILNS1_3genE3ELNS1_11target_archE908ELNS1_3gpuE7ELNS1_3repE0EEENS1_30default_config_static_selectorELNS0_4arch9wavefront6targetE1EEEvT1_
	.p2align	8
	.type	_ZN7rocprim17ROCPRIM_400000_NS6detail17trampoline_kernelINS0_14default_configENS1_25partition_config_selectorILNS1_17partition_subalgoE0EiNS0_10empty_typeEbEEZZNS1_14partition_implILS5_0ELb0ES3_jN6thrust23THRUST_200600_302600_NS6detail15normal_iteratorINSA_10device_ptrIiEEEEPS6_SG_NS0_5tupleIJNSA_16discard_iteratorINSA_11use_defaultEEESF_EEENSH_IJSG_SG_EEES6_PlJ7is_evenIiEEEE10hipError_tPvRmT3_T4_T5_T6_T7_T9_mT8_P12ihipStream_tbDpT10_ENKUlT_T0_E_clISt17integral_constantIbLb1EES18_IbLb0EEEEDaS14_S15_EUlS14_E_NS1_11comp_targetILNS1_3genE3ELNS1_11target_archE908ELNS1_3gpuE7ELNS1_3repE0EEENS1_30default_config_static_selectorELNS0_4arch9wavefront6targetE1EEEvT1_,@function
_ZN7rocprim17ROCPRIM_400000_NS6detail17trampoline_kernelINS0_14default_configENS1_25partition_config_selectorILNS1_17partition_subalgoE0EiNS0_10empty_typeEbEEZZNS1_14partition_implILS5_0ELb0ES3_jN6thrust23THRUST_200600_302600_NS6detail15normal_iteratorINSA_10device_ptrIiEEEEPS6_SG_NS0_5tupleIJNSA_16discard_iteratorINSA_11use_defaultEEESF_EEENSH_IJSG_SG_EEES6_PlJ7is_evenIiEEEE10hipError_tPvRmT3_T4_T5_T6_T7_T9_mT8_P12ihipStream_tbDpT10_ENKUlT_T0_E_clISt17integral_constantIbLb1EES18_IbLb0EEEEDaS14_S15_EUlS14_E_NS1_11comp_targetILNS1_3genE3ELNS1_11target_archE908ELNS1_3gpuE7ELNS1_3repE0EEENS1_30default_config_static_selectorELNS0_4arch9wavefront6targetE1EEEvT1_: ; @_ZN7rocprim17ROCPRIM_400000_NS6detail17trampoline_kernelINS0_14default_configENS1_25partition_config_selectorILNS1_17partition_subalgoE0EiNS0_10empty_typeEbEEZZNS1_14partition_implILS5_0ELb0ES3_jN6thrust23THRUST_200600_302600_NS6detail15normal_iteratorINSA_10device_ptrIiEEEEPS6_SG_NS0_5tupleIJNSA_16discard_iteratorINSA_11use_defaultEEESF_EEENSH_IJSG_SG_EEES6_PlJ7is_evenIiEEEE10hipError_tPvRmT3_T4_T5_T6_T7_T9_mT8_P12ihipStream_tbDpT10_ENKUlT_T0_E_clISt17integral_constantIbLb1EES18_IbLb0EEEEDaS14_S15_EUlS14_E_NS1_11comp_targetILNS1_3genE3ELNS1_11target_archE908ELNS1_3gpuE7ELNS1_3repE0EEENS1_30default_config_static_selectorELNS0_4arch9wavefront6targetE1EEEvT1_
; %bb.0:
	.section	.rodata,"a",@progbits
	.p2align	6, 0x0
	.amdhsa_kernel _ZN7rocprim17ROCPRIM_400000_NS6detail17trampoline_kernelINS0_14default_configENS1_25partition_config_selectorILNS1_17partition_subalgoE0EiNS0_10empty_typeEbEEZZNS1_14partition_implILS5_0ELb0ES3_jN6thrust23THRUST_200600_302600_NS6detail15normal_iteratorINSA_10device_ptrIiEEEEPS6_SG_NS0_5tupleIJNSA_16discard_iteratorINSA_11use_defaultEEESF_EEENSH_IJSG_SG_EEES6_PlJ7is_evenIiEEEE10hipError_tPvRmT3_T4_T5_T6_T7_T9_mT8_P12ihipStream_tbDpT10_ENKUlT_T0_E_clISt17integral_constantIbLb1EES18_IbLb0EEEEDaS14_S15_EUlS14_E_NS1_11comp_targetILNS1_3genE3ELNS1_11target_archE908ELNS1_3gpuE7ELNS1_3repE0EEENS1_30default_config_static_selectorELNS0_4arch9wavefront6targetE1EEEvT1_
		.amdhsa_group_segment_fixed_size 0
		.amdhsa_private_segment_fixed_size 0
		.amdhsa_kernarg_size 128
		.amdhsa_user_sgpr_count 2
		.amdhsa_user_sgpr_dispatch_ptr 0
		.amdhsa_user_sgpr_queue_ptr 0
		.amdhsa_user_sgpr_kernarg_segment_ptr 1
		.amdhsa_user_sgpr_dispatch_id 0
		.amdhsa_user_sgpr_kernarg_preload_length 0
		.amdhsa_user_sgpr_kernarg_preload_offset 0
		.amdhsa_user_sgpr_private_segment_size 0
		.amdhsa_uses_dynamic_stack 0
		.amdhsa_enable_private_segment 0
		.amdhsa_system_sgpr_workgroup_id_x 1
		.amdhsa_system_sgpr_workgroup_id_y 0
		.amdhsa_system_sgpr_workgroup_id_z 0
		.amdhsa_system_sgpr_workgroup_info 0
		.amdhsa_system_vgpr_workitem_id 0
		.amdhsa_next_free_vgpr 1
		.amdhsa_next_free_sgpr 0
		.amdhsa_accum_offset 4
		.amdhsa_reserve_vcc 0
		.amdhsa_float_round_mode_32 0
		.amdhsa_float_round_mode_16_64 0
		.amdhsa_float_denorm_mode_32 3
		.amdhsa_float_denorm_mode_16_64 3
		.amdhsa_dx10_clamp 1
		.amdhsa_ieee_mode 1
		.amdhsa_fp16_overflow 0
		.amdhsa_tg_split 0
		.amdhsa_exception_fp_ieee_invalid_op 0
		.amdhsa_exception_fp_denorm_src 0
		.amdhsa_exception_fp_ieee_div_zero 0
		.amdhsa_exception_fp_ieee_overflow 0
		.amdhsa_exception_fp_ieee_underflow 0
		.amdhsa_exception_fp_ieee_inexact 0
		.amdhsa_exception_int_div_zero 0
	.end_amdhsa_kernel
	.section	.text._ZN7rocprim17ROCPRIM_400000_NS6detail17trampoline_kernelINS0_14default_configENS1_25partition_config_selectorILNS1_17partition_subalgoE0EiNS0_10empty_typeEbEEZZNS1_14partition_implILS5_0ELb0ES3_jN6thrust23THRUST_200600_302600_NS6detail15normal_iteratorINSA_10device_ptrIiEEEEPS6_SG_NS0_5tupleIJNSA_16discard_iteratorINSA_11use_defaultEEESF_EEENSH_IJSG_SG_EEES6_PlJ7is_evenIiEEEE10hipError_tPvRmT3_T4_T5_T6_T7_T9_mT8_P12ihipStream_tbDpT10_ENKUlT_T0_E_clISt17integral_constantIbLb1EES18_IbLb0EEEEDaS14_S15_EUlS14_E_NS1_11comp_targetILNS1_3genE3ELNS1_11target_archE908ELNS1_3gpuE7ELNS1_3repE0EEENS1_30default_config_static_selectorELNS0_4arch9wavefront6targetE1EEEvT1_,"axG",@progbits,_ZN7rocprim17ROCPRIM_400000_NS6detail17trampoline_kernelINS0_14default_configENS1_25partition_config_selectorILNS1_17partition_subalgoE0EiNS0_10empty_typeEbEEZZNS1_14partition_implILS5_0ELb0ES3_jN6thrust23THRUST_200600_302600_NS6detail15normal_iteratorINSA_10device_ptrIiEEEEPS6_SG_NS0_5tupleIJNSA_16discard_iteratorINSA_11use_defaultEEESF_EEENSH_IJSG_SG_EEES6_PlJ7is_evenIiEEEE10hipError_tPvRmT3_T4_T5_T6_T7_T9_mT8_P12ihipStream_tbDpT10_ENKUlT_T0_E_clISt17integral_constantIbLb1EES18_IbLb0EEEEDaS14_S15_EUlS14_E_NS1_11comp_targetILNS1_3genE3ELNS1_11target_archE908ELNS1_3gpuE7ELNS1_3repE0EEENS1_30default_config_static_selectorELNS0_4arch9wavefront6targetE1EEEvT1_,comdat
.Lfunc_end2766:
	.size	_ZN7rocprim17ROCPRIM_400000_NS6detail17trampoline_kernelINS0_14default_configENS1_25partition_config_selectorILNS1_17partition_subalgoE0EiNS0_10empty_typeEbEEZZNS1_14partition_implILS5_0ELb0ES3_jN6thrust23THRUST_200600_302600_NS6detail15normal_iteratorINSA_10device_ptrIiEEEEPS6_SG_NS0_5tupleIJNSA_16discard_iteratorINSA_11use_defaultEEESF_EEENSH_IJSG_SG_EEES6_PlJ7is_evenIiEEEE10hipError_tPvRmT3_T4_T5_T6_T7_T9_mT8_P12ihipStream_tbDpT10_ENKUlT_T0_E_clISt17integral_constantIbLb1EES18_IbLb0EEEEDaS14_S15_EUlS14_E_NS1_11comp_targetILNS1_3genE3ELNS1_11target_archE908ELNS1_3gpuE7ELNS1_3repE0EEENS1_30default_config_static_selectorELNS0_4arch9wavefront6targetE1EEEvT1_, .Lfunc_end2766-_ZN7rocprim17ROCPRIM_400000_NS6detail17trampoline_kernelINS0_14default_configENS1_25partition_config_selectorILNS1_17partition_subalgoE0EiNS0_10empty_typeEbEEZZNS1_14partition_implILS5_0ELb0ES3_jN6thrust23THRUST_200600_302600_NS6detail15normal_iteratorINSA_10device_ptrIiEEEEPS6_SG_NS0_5tupleIJNSA_16discard_iteratorINSA_11use_defaultEEESF_EEENSH_IJSG_SG_EEES6_PlJ7is_evenIiEEEE10hipError_tPvRmT3_T4_T5_T6_T7_T9_mT8_P12ihipStream_tbDpT10_ENKUlT_T0_E_clISt17integral_constantIbLb1EES18_IbLb0EEEEDaS14_S15_EUlS14_E_NS1_11comp_targetILNS1_3genE3ELNS1_11target_archE908ELNS1_3gpuE7ELNS1_3repE0EEENS1_30default_config_static_selectorELNS0_4arch9wavefront6targetE1EEEvT1_
                                        ; -- End function
	.section	.AMDGPU.csdata,"",@progbits
; Kernel info:
; codeLenInByte = 0
; NumSgprs: 6
; NumVgprs: 0
; NumAgprs: 0
; TotalNumVgprs: 0
; ScratchSize: 0
; MemoryBound: 0
; FloatMode: 240
; IeeeMode: 1
; LDSByteSize: 0 bytes/workgroup (compile time only)
; SGPRBlocks: 0
; VGPRBlocks: 0
; NumSGPRsForWavesPerEU: 6
; NumVGPRsForWavesPerEU: 1
; AccumOffset: 4
; Occupancy: 8
; WaveLimiterHint : 0
; COMPUTE_PGM_RSRC2:SCRATCH_EN: 0
; COMPUTE_PGM_RSRC2:USER_SGPR: 2
; COMPUTE_PGM_RSRC2:TRAP_HANDLER: 0
; COMPUTE_PGM_RSRC2:TGID_X_EN: 1
; COMPUTE_PGM_RSRC2:TGID_Y_EN: 0
; COMPUTE_PGM_RSRC2:TGID_Z_EN: 0
; COMPUTE_PGM_RSRC2:TIDIG_COMP_CNT: 0
; COMPUTE_PGM_RSRC3_GFX90A:ACCUM_OFFSET: 0
; COMPUTE_PGM_RSRC3_GFX90A:TG_SPLIT: 0
	.section	.text._ZN7rocprim17ROCPRIM_400000_NS6detail17trampoline_kernelINS0_14default_configENS1_25partition_config_selectorILNS1_17partition_subalgoE0EiNS0_10empty_typeEbEEZZNS1_14partition_implILS5_0ELb0ES3_jN6thrust23THRUST_200600_302600_NS6detail15normal_iteratorINSA_10device_ptrIiEEEEPS6_SG_NS0_5tupleIJNSA_16discard_iteratorINSA_11use_defaultEEESF_EEENSH_IJSG_SG_EEES6_PlJ7is_evenIiEEEE10hipError_tPvRmT3_T4_T5_T6_T7_T9_mT8_P12ihipStream_tbDpT10_ENKUlT_T0_E_clISt17integral_constantIbLb1EES18_IbLb0EEEEDaS14_S15_EUlS14_E_NS1_11comp_targetILNS1_3genE2ELNS1_11target_archE906ELNS1_3gpuE6ELNS1_3repE0EEENS1_30default_config_static_selectorELNS0_4arch9wavefront6targetE1EEEvT1_,"axG",@progbits,_ZN7rocprim17ROCPRIM_400000_NS6detail17trampoline_kernelINS0_14default_configENS1_25partition_config_selectorILNS1_17partition_subalgoE0EiNS0_10empty_typeEbEEZZNS1_14partition_implILS5_0ELb0ES3_jN6thrust23THRUST_200600_302600_NS6detail15normal_iteratorINSA_10device_ptrIiEEEEPS6_SG_NS0_5tupleIJNSA_16discard_iteratorINSA_11use_defaultEEESF_EEENSH_IJSG_SG_EEES6_PlJ7is_evenIiEEEE10hipError_tPvRmT3_T4_T5_T6_T7_T9_mT8_P12ihipStream_tbDpT10_ENKUlT_T0_E_clISt17integral_constantIbLb1EES18_IbLb0EEEEDaS14_S15_EUlS14_E_NS1_11comp_targetILNS1_3genE2ELNS1_11target_archE906ELNS1_3gpuE6ELNS1_3repE0EEENS1_30default_config_static_selectorELNS0_4arch9wavefront6targetE1EEEvT1_,comdat
	.protected	_ZN7rocprim17ROCPRIM_400000_NS6detail17trampoline_kernelINS0_14default_configENS1_25partition_config_selectorILNS1_17partition_subalgoE0EiNS0_10empty_typeEbEEZZNS1_14partition_implILS5_0ELb0ES3_jN6thrust23THRUST_200600_302600_NS6detail15normal_iteratorINSA_10device_ptrIiEEEEPS6_SG_NS0_5tupleIJNSA_16discard_iteratorINSA_11use_defaultEEESF_EEENSH_IJSG_SG_EEES6_PlJ7is_evenIiEEEE10hipError_tPvRmT3_T4_T5_T6_T7_T9_mT8_P12ihipStream_tbDpT10_ENKUlT_T0_E_clISt17integral_constantIbLb1EES18_IbLb0EEEEDaS14_S15_EUlS14_E_NS1_11comp_targetILNS1_3genE2ELNS1_11target_archE906ELNS1_3gpuE6ELNS1_3repE0EEENS1_30default_config_static_selectorELNS0_4arch9wavefront6targetE1EEEvT1_ ; -- Begin function _ZN7rocprim17ROCPRIM_400000_NS6detail17trampoline_kernelINS0_14default_configENS1_25partition_config_selectorILNS1_17partition_subalgoE0EiNS0_10empty_typeEbEEZZNS1_14partition_implILS5_0ELb0ES3_jN6thrust23THRUST_200600_302600_NS6detail15normal_iteratorINSA_10device_ptrIiEEEEPS6_SG_NS0_5tupleIJNSA_16discard_iteratorINSA_11use_defaultEEESF_EEENSH_IJSG_SG_EEES6_PlJ7is_evenIiEEEE10hipError_tPvRmT3_T4_T5_T6_T7_T9_mT8_P12ihipStream_tbDpT10_ENKUlT_T0_E_clISt17integral_constantIbLb1EES18_IbLb0EEEEDaS14_S15_EUlS14_E_NS1_11comp_targetILNS1_3genE2ELNS1_11target_archE906ELNS1_3gpuE6ELNS1_3repE0EEENS1_30default_config_static_selectorELNS0_4arch9wavefront6targetE1EEEvT1_
	.globl	_ZN7rocprim17ROCPRIM_400000_NS6detail17trampoline_kernelINS0_14default_configENS1_25partition_config_selectorILNS1_17partition_subalgoE0EiNS0_10empty_typeEbEEZZNS1_14partition_implILS5_0ELb0ES3_jN6thrust23THRUST_200600_302600_NS6detail15normal_iteratorINSA_10device_ptrIiEEEEPS6_SG_NS0_5tupleIJNSA_16discard_iteratorINSA_11use_defaultEEESF_EEENSH_IJSG_SG_EEES6_PlJ7is_evenIiEEEE10hipError_tPvRmT3_T4_T5_T6_T7_T9_mT8_P12ihipStream_tbDpT10_ENKUlT_T0_E_clISt17integral_constantIbLb1EES18_IbLb0EEEEDaS14_S15_EUlS14_E_NS1_11comp_targetILNS1_3genE2ELNS1_11target_archE906ELNS1_3gpuE6ELNS1_3repE0EEENS1_30default_config_static_selectorELNS0_4arch9wavefront6targetE1EEEvT1_
	.p2align	8
	.type	_ZN7rocprim17ROCPRIM_400000_NS6detail17trampoline_kernelINS0_14default_configENS1_25partition_config_selectorILNS1_17partition_subalgoE0EiNS0_10empty_typeEbEEZZNS1_14partition_implILS5_0ELb0ES3_jN6thrust23THRUST_200600_302600_NS6detail15normal_iteratorINSA_10device_ptrIiEEEEPS6_SG_NS0_5tupleIJNSA_16discard_iteratorINSA_11use_defaultEEESF_EEENSH_IJSG_SG_EEES6_PlJ7is_evenIiEEEE10hipError_tPvRmT3_T4_T5_T6_T7_T9_mT8_P12ihipStream_tbDpT10_ENKUlT_T0_E_clISt17integral_constantIbLb1EES18_IbLb0EEEEDaS14_S15_EUlS14_E_NS1_11comp_targetILNS1_3genE2ELNS1_11target_archE906ELNS1_3gpuE6ELNS1_3repE0EEENS1_30default_config_static_selectorELNS0_4arch9wavefront6targetE1EEEvT1_,@function
_ZN7rocprim17ROCPRIM_400000_NS6detail17trampoline_kernelINS0_14default_configENS1_25partition_config_selectorILNS1_17partition_subalgoE0EiNS0_10empty_typeEbEEZZNS1_14partition_implILS5_0ELb0ES3_jN6thrust23THRUST_200600_302600_NS6detail15normal_iteratorINSA_10device_ptrIiEEEEPS6_SG_NS0_5tupleIJNSA_16discard_iteratorINSA_11use_defaultEEESF_EEENSH_IJSG_SG_EEES6_PlJ7is_evenIiEEEE10hipError_tPvRmT3_T4_T5_T6_T7_T9_mT8_P12ihipStream_tbDpT10_ENKUlT_T0_E_clISt17integral_constantIbLb1EES18_IbLb0EEEEDaS14_S15_EUlS14_E_NS1_11comp_targetILNS1_3genE2ELNS1_11target_archE906ELNS1_3gpuE6ELNS1_3repE0EEENS1_30default_config_static_selectorELNS0_4arch9wavefront6targetE1EEEvT1_: ; @_ZN7rocprim17ROCPRIM_400000_NS6detail17trampoline_kernelINS0_14default_configENS1_25partition_config_selectorILNS1_17partition_subalgoE0EiNS0_10empty_typeEbEEZZNS1_14partition_implILS5_0ELb0ES3_jN6thrust23THRUST_200600_302600_NS6detail15normal_iteratorINSA_10device_ptrIiEEEEPS6_SG_NS0_5tupleIJNSA_16discard_iteratorINSA_11use_defaultEEESF_EEENSH_IJSG_SG_EEES6_PlJ7is_evenIiEEEE10hipError_tPvRmT3_T4_T5_T6_T7_T9_mT8_P12ihipStream_tbDpT10_ENKUlT_T0_E_clISt17integral_constantIbLb1EES18_IbLb0EEEEDaS14_S15_EUlS14_E_NS1_11comp_targetILNS1_3genE2ELNS1_11target_archE906ELNS1_3gpuE6ELNS1_3repE0EEENS1_30default_config_static_selectorELNS0_4arch9wavefront6targetE1EEEvT1_
; %bb.0:
	.section	.rodata,"a",@progbits
	.p2align	6, 0x0
	.amdhsa_kernel _ZN7rocprim17ROCPRIM_400000_NS6detail17trampoline_kernelINS0_14default_configENS1_25partition_config_selectorILNS1_17partition_subalgoE0EiNS0_10empty_typeEbEEZZNS1_14partition_implILS5_0ELb0ES3_jN6thrust23THRUST_200600_302600_NS6detail15normal_iteratorINSA_10device_ptrIiEEEEPS6_SG_NS0_5tupleIJNSA_16discard_iteratorINSA_11use_defaultEEESF_EEENSH_IJSG_SG_EEES6_PlJ7is_evenIiEEEE10hipError_tPvRmT3_T4_T5_T6_T7_T9_mT8_P12ihipStream_tbDpT10_ENKUlT_T0_E_clISt17integral_constantIbLb1EES18_IbLb0EEEEDaS14_S15_EUlS14_E_NS1_11comp_targetILNS1_3genE2ELNS1_11target_archE906ELNS1_3gpuE6ELNS1_3repE0EEENS1_30default_config_static_selectorELNS0_4arch9wavefront6targetE1EEEvT1_
		.amdhsa_group_segment_fixed_size 0
		.amdhsa_private_segment_fixed_size 0
		.amdhsa_kernarg_size 128
		.amdhsa_user_sgpr_count 2
		.amdhsa_user_sgpr_dispatch_ptr 0
		.amdhsa_user_sgpr_queue_ptr 0
		.amdhsa_user_sgpr_kernarg_segment_ptr 1
		.amdhsa_user_sgpr_dispatch_id 0
		.amdhsa_user_sgpr_kernarg_preload_length 0
		.amdhsa_user_sgpr_kernarg_preload_offset 0
		.amdhsa_user_sgpr_private_segment_size 0
		.amdhsa_uses_dynamic_stack 0
		.amdhsa_enable_private_segment 0
		.amdhsa_system_sgpr_workgroup_id_x 1
		.amdhsa_system_sgpr_workgroup_id_y 0
		.amdhsa_system_sgpr_workgroup_id_z 0
		.amdhsa_system_sgpr_workgroup_info 0
		.amdhsa_system_vgpr_workitem_id 0
		.amdhsa_next_free_vgpr 1
		.amdhsa_next_free_sgpr 0
		.amdhsa_accum_offset 4
		.amdhsa_reserve_vcc 0
		.amdhsa_float_round_mode_32 0
		.amdhsa_float_round_mode_16_64 0
		.amdhsa_float_denorm_mode_32 3
		.amdhsa_float_denorm_mode_16_64 3
		.amdhsa_dx10_clamp 1
		.amdhsa_ieee_mode 1
		.amdhsa_fp16_overflow 0
		.amdhsa_tg_split 0
		.amdhsa_exception_fp_ieee_invalid_op 0
		.amdhsa_exception_fp_denorm_src 0
		.amdhsa_exception_fp_ieee_div_zero 0
		.amdhsa_exception_fp_ieee_overflow 0
		.amdhsa_exception_fp_ieee_underflow 0
		.amdhsa_exception_fp_ieee_inexact 0
		.amdhsa_exception_int_div_zero 0
	.end_amdhsa_kernel
	.section	.text._ZN7rocprim17ROCPRIM_400000_NS6detail17trampoline_kernelINS0_14default_configENS1_25partition_config_selectorILNS1_17partition_subalgoE0EiNS0_10empty_typeEbEEZZNS1_14partition_implILS5_0ELb0ES3_jN6thrust23THRUST_200600_302600_NS6detail15normal_iteratorINSA_10device_ptrIiEEEEPS6_SG_NS0_5tupleIJNSA_16discard_iteratorINSA_11use_defaultEEESF_EEENSH_IJSG_SG_EEES6_PlJ7is_evenIiEEEE10hipError_tPvRmT3_T4_T5_T6_T7_T9_mT8_P12ihipStream_tbDpT10_ENKUlT_T0_E_clISt17integral_constantIbLb1EES18_IbLb0EEEEDaS14_S15_EUlS14_E_NS1_11comp_targetILNS1_3genE2ELNS1_11target_archE906ELNS1_3gpuE6ELNS1_3repE0EEENS1_30default_config_static_selectorELNS0_4arch9wavefront6targetE1EEEvT1_,"axG",@progbits,_ZN7rocprim17ROCPRIM_400000_NS6detail17trampoline_kernelINS0_14default_configENS1_25partition_config_selectorILNS1_17partition_subalgoE0EiNS0_10empty_typeEbEEZZNS1_14partition_implILS5_0ELb0ES3_jN6thrust23THRUST_200600_302600_NS6detail15normal_iteratorINSA_10device_ptrIiEEEEPS6_SG_NS0_5tupleIJNSA_16discard_iteratorINSA_11use_defaultEEESF_EEENSH_IJSG_SG_EEES6_PlJ7is_evenIiEEEE10hipError_tPvRmT3_T4_T5_T6_T7_T9_mT8_P12ihipStream_tbDpT10_ENKUlT_T0_E_clISt17integral_constantIbLb1EES18_IbLb0EEEEDaS14_S15_EUlS14_E_NS1_11comp_targetILNS1_3genE2ELNS1_11target_archE906ELNS1_3gpuE6ELNS1_3repE0EEENS1_30default_config_static_selectorELNS0_4arch9wavefront6targetE1EEEvT1_,comdat
.Lfunc_end2767:
	.size	_ZN7rocprim17ROCPRIM_400000_NS6detail17trampoline_kernelINS0_14default_configENS1_25partition_config_selectorILNS1_17partition_subalgoE0EiNS0_10empty_typeEbEEZZNS1_14partition_implILS5_0ELb0ES3_jN6thrust23THRUST_200600_302600_NS6detail15normal_iteratorINSA_10device_ptrIiEEEEPS6_SG_NS0_5tupleIJNSA_16discard_iteratorINSA_11use_defaultEEESF_EEENSH_IJSG_SG_EEES6_PlJ7is_evenIiEEEE10hipError_tPvRmT3_T4_T5_T6_T7_T9_mT8_P12ihipStream_tbDpT10_ENKUlT_T0_E_clISt17integral_constantIbLb1EES18_IbLb0EEEEDaS14_S15_EUlS14_E_NS1_11comp_targetILNS1_3genE2ELNS1_11target_archE906ELNS1_3gpuE6ELNS1_3repE0EEENS1_30default_config_static_selectorELNS0_4arch9wavefront6targetE1EEEvT1_, .Lfunc_end2767-_ZN7rocprim17ROCPRIM_400000_NS6detail17trampoline_kernelINS0_14default_configENS1_25partition_config_selectorILNS1_17partition_subalgoE0EiNS0_10empty_typeEbEEZZNS1_14partition_implILS5_0ELb0ES3_jN6thrust23THRUST_200600_302600_NS6detail15normal_iteratorINSA_10device_ptrIiEEEEPS6_SG_NS0_5tupleIJNSA_16discard_iteratorINSA_11use_defaultEEESF_EEENSH_IJSG_SG_EEES6_PlJ7is_evenIiEEEE10hipError_tPvRmT3_T4_T5_T6_T7_T9_mT8_P12ihipStream_tbDpT10_ENKUlT_T0_E_clISt17integral_constantIbLb1EES18_IbLb0EEEEDaS14_S15_EUlS14_E_NS1_11comp_targetILNS1_3genE2ELNS1_11target_archE906ELNS1_3gpuE6ELNS1_3repE0EEENS1_30default_config_static_selectorELNS0_4arch9wavefront6targetE1EEEvT1_
                                        ; -- End function
	.section	.AMDGPU.csdata,"",@progbits
; Kernel info:
; codeLenInByte = 0
; NumSgprs: 6
; NumVgprs: 0
; NumAgprs: 0
; TotalNumVgprs: 0
; ScratchSize: 0
; MemoryBound: 0
; FloatMode: 240
; IeeeMode: 1
; LDSByteSize: 0 bytes/workgroup (compile time only)
; SGPRBlocks: 0
; VGPRBlocks: 0
; NumSGPRsForWavesPerEU: 6
; NumVGPRsForWavesPerEU: 1
; AccumOffset: 4
; Occupancy: 8
; WaveLimiterHint : 0
; COMPUTE_PGM_RSRC2:SCRATCH_EN: 0
; COMPUTE_PGM_RSRC2:USER_SGPR: 2
; COMPUTE_PGM_RSRC2:TRAP_HANDLER: 0
; COMPUTE_PGM_RSRC2:TGID_X_EN: 1
; COMPUTE_PGM_RSRC2:TGID_Y_EN: 0
; COMPUTE_PGM_RSRC2:TGID_Z_EN: 0
; COMPUTE_PGM_RSRC2:TIDIG_COMP_CNT: 0
; COMPUTE_PGM_RSRC3_GFX90A:ACCUM_OFFSET: 0
; COMPUTE_PGM_RSRC3_GFX90A:TG_SPLIT: 0
	.section	.text._ZN7rocprim17ROCPRIM_400000_NS6detail17trampoline_kernelINS0_14default_configENS1_25partition_config_selectorILNS1_17partition_subalgoE0EiNS0_10empty_typeEbEEZZNS1_14partition_implILS5_0ELb0ES3_jN6thrust23THRUST_200600_302600_NS6detail15normal_iteratorINSA_10device_ptrIiEEEEPS6_SG_NS0_5tupleIJNSA_16discard_iteratorINSA_11use_defaultEEESF_EEENSH_IJSG_SG_EEES6_PlJ7is_evenIiEEEE10hipError_tPvRmT3_T4_T5_T6_T7_T9_mT8_P12ihipStream_tbDpT10_ENKUlT_T0_E_clISt17integral_constantIbLb1EES18_IbLb0EEEEDaS14_S15_EUlS14_E_NS1_11comp_targetILNS1_3genE10ELNS1_11target_archE1200ELNS1_3gpuE4ELNS1_3repE0EEENS1_30default_config_static_selectorELNS0_4arch9wavefront6targetE1EEEvT1_,"axG",@progbits,_ZN7rocprim17ROCPRIM_400000_NS6detail17trampoline_kernelINS0_14default_configENS1_25partition_config_selectorILNS1_17partition_subalgoE0EiNS0_10empty_typeEbEEZZNS1_14partition_implILS5_0ELb0ES3_jN6thrust23THRUST_200600_302600_NS6detail15normal_iteratorINSA_10device_ptrIiEEEEPS6_SG_NS0_5tupleIJNSA_16discard_iteratorINSA_11use_defaultEEESF_EEENSH_IJSG_SG_EEES6_PlJ7is_evenIiEEEE10hipError_tPvRmT3_T4_T5_T6_T7_T9_mT8_P12ihipStream_tbDpT10_ENKUlT_T0_E_clISt17integral_constantIbLb1EES18_IbLb0EEEEDaS14_S15_EUlS14_E_NS1_11comp_targetILNS1_3genE10ELNS1_11target_archE1200ELNS1_3gpuE4ELNS1_3repE0EEENS1_30default_config_static_selectorELNS0_4arch9wavefront6targetE1EEEvT1_,comdat
	.protected	_ZN7rocprim17ROCPRIM_400000_NS6detail17trampoline_kernelINS0_14default_configENS1_25partition_config_selectorILNS1_17partition_subalgoE0EiNS0_10empty_typeEbEEZZNS1_14partition_implILS5_0ELb0ES3_jN6thrust23THRUST_200600_302600_NS6detail15normal_iteratorINSA_10device_ptrIiEEEEPS6_SG_NS0_5tupleIJNSA_16discard_iteratorINSA_11use_defaultEEESF_EEENSH_IJSG_SG_EEES6_PlJ7is_evenIiEEEE10hipError_tPvRmT3_T4_T5_T6_T7_T9_mT8_P12ihipStream_tbDpT10_ENKUlT_T0_E_clISt17integral_constantIbLb1EES18_IbLb0EEEEDaS14_S15_EUlS14_E_NS1_11comp_targetILNS1_3genE10ELNS1_11target_archE1200ELNS1_3gpuE4ELNS1_3repE0EEENS1_30default_config_static_selectorELNS0_4arch9wavefront6targetE1EEEvT1_ ; -- Begin function _ZN7rocprim17ROCPRIM_400000_NS6detail17trampoline_kernelINS0_14default_configENS1_25partition_config_selectorILNS1_17partition_subalgoE0EiNS0_10empty_typeEbEEZZNS1_14partition_implILS5_0ELb0ES3_jN6thrust23THRUST_200600_302600_NS6detail15normal_iteratorINSA_10device_ptrIiEEEEPS6_SG_NS0_5tupleIJNSA_16discard_iteratorINSA_11use_defaultEEESF_EEENSH_IJSG_SG_EEES6_PlJ7is_evenIiEEEE10hipError_tPvRmT3_T4_T5_T6_T7_T9_mT8_P12ihipStream_tbDpT10_ENKUlT_T0_E_clISt17integral_constantIbLb1EES18_IbLb0EEEEDaS14_S15_EUlS14_E_NS1_11comp_targetILNS1_3genE10ELNS1_11target_archE1200ELNS1_3gpuE4ELNS1_3repE0EEENS1_30default_config_static_selectorELNS0_4arch9wavefront6targetE1EEEvT1_
	.globl	_ZN7rocprim17ROCPRIM_400000_NS6detail17trampoline_kernelINS0_14default_configENS1_25partition_config_selectorILNS1_17partition_subalgoE0EiNS0_10empty_typeEbEEZZNS1_14partition_implILS5_0ELb0ES3_jN6thrust23THRUST_200600_302600_NS6detail15normal_iteratorINSA_10device_ptrIiEEEEPS6_SG_NS0_5tupleIJNSA_16discard_iteratorINSA_11use_defaultEEESF_EEENSH_IJSG_SG_EEES6_PlJ7is_evenIiEEEE10hipError_tPvRmT3_T4_T5_T6_T7_T9_mT8_P12ihipStream_tbDpT10_ENKUlT_T0_E_clISt17integral_constantIbLb1EES18_IbLb0EEEEDaS14_S15_EUlS14_E_NS1_11comp_targetILNS1_3genE10ELNS1_11target_archE1200ELNS1_3gpuE4ELNS1_3repE0EEENS1_30default_config_static_selectorELNS0_4arch9wavefront6targetE1EEEvT1_
	.p2align	8
	.type	_ZN7rocprim17ROCPRIM_400000_NS6detail17trampoline_kernelINS0_14default_configENS1_25partition_config_selectorILNS1_17partition_subalgoE0EiNS0_10empty_typeEbEEZZNS1_14partition_implILS5_0ELb0ES3_jN6thrust23THRUST_200600_302600_NS6detail15normal_iteratorINSA_10device_ptrIiEEEEPS6_SG_NS0_5tupleIJNSA_16discard_iteratorINSA_11use_defaultEEESF_EEENSH_IJSG_SG_EEES6_PlJ7is_evenIiEEEE10hipError_tPvRmT3_T4_T5_T6_T7_T9_mT8_P12ihipStream_tbDpT10_ENKUlT_T0_E_clISt17integral_constantIbLb1EES18_IbLb0EEEEDaS14_S15_EUlS14_E_NS1_11comp_targetILNS1_3genE10ELNS1_11target_archE1200ELNS1_3gpuE4ELNS1_3repE0EEENS1_30default_config_static_selectorELNS0_4arch9wavefront6targetE1EEEvT1_,@function
_ZN7rocprim17ROCPRIM_400000_NS6detail17trampoline_kernelINS0_14default_configENS1_25partition_config_selectorILNS1_17partition_subalgoE0EiNS0_10empty_typeEbEEZZNS1_14partition_implILS5_0ELb0ES3_jN6thrust23THRUST_200600_302600_NS6detail15normal_iteratorINSA_10device_ptrIiEEEEPS6_SG_NS0_5tupleIJNSA_16discard_iteratorINSA_11use_defaultEEESF_EEENSH_IJSG_SG_EEES6_PlJ7is_evenIiEEEE10hipError_tPvRmT3_T4_T5_T6_T7_T9_mT8_P12ihipStream_tbDpT10_ENKUlT_T0_E_clISt17integral_constantIbLb1EES18_IbLb0EEEEDaS14_S15_EUlS14_E_NS1_11comp_targetILNS1_3genE10ELNS1_11target_archE1200ELNS1_3gpuE4ELNS1_3repE0EEENS1_30default_config_static_selectorELNS0_4arch9wavefront6targetE1EEEvT1_: ; @_ZN7rocprim17ROCPRIM_400000_NS6detail17trampoline_kernelINS0_14default_configENS1_25partition_config_selectorILNS1_17partition_subalgoE0EiNS0_10empty_typeEbEEZZNS1_14partition_implILS5_0ELb0ES3_jN6thrust23THRUST_200600_302600_NS6detail15normal_iteratorINSA_10device_ptrIiEEEEPS6_SG_NS0_5tupleIJNSA_16discard_iteratorINSA_11use_defaultEEESF_EEENSH_IJSG_SG_EEES6_PlJ7is_evenIiEEEE10hipError_tPvRmT3_T4_T5_T6_T7_T9_mT8_P12ihipStream_tbDpT10_ENKUlT_T0_E_clISt17integral_constantIbLb1EES18_IbLb0EEEEDaS14_S15_EUlS14_E_NS1_11comp_targetILNS1_3genE10ELNS1_11target_archE1200ELNS1_3gpuE4ELNS1_3repE0EEENS1_30default_config_static_selectorELNS0_4arch9wavefront6targetE1EEEvT1_
; %bb.0:
	.section	.rodata,"a",@progbits
	.p2align	6, 0x0
	.amdhsa_kernel _ZN7rocprim17ROCPRIM_400000_NS6detail17trampoline_kernelINS0_14default_configENS1_25partition_config_selectorILNS1_17partition_subalgoE0EiNS0_10empty_typeEbEEZZNS1_14partition_implILS5_0ELb0ES3_jN6thrust23THRUST_200600_302600_NS6detail15normal_iteratorINSA_10device_ptrIiEEEEPS6_SG_NS0_5tupleIJNSA_16discard_iteratorINSA_11use_defaultEEESF_EEENSH_IJSG_SG_EEES6_PlJ7is_evenIiEEEE10hipError_tPvRmT3_T4_T5_T6_T7_T9_mT8_P12ihipStream_tbDpT10_ENKUlT_T0_E_clISt17integral_constantIbLb1EES18_IbLb0EEEEDaS14_S15_EUlS14_E_NS1_11comp_targetILNS1_3genE10ELNS1_11target_archE1200ELNS1_3gpuE4ELNS1_3repE0EEENS1_30default_config_static_selectorELNS0_4arch9wavefront6targetE1EEEvT1_
		.amdhsa_group_segment_fixed_size 0
		.amdhsa_private_segment_fixed_size 0
		.amdhsa_kernarg_size 128
		.amdhsa_user_sgpr_count 2
		.amdhsa_user_sgpr_dispatch_ptr 0
		.amdhsa_user_sgpr_queue_ptr 0
		.amdhsa_user_sgpr_kernarg_segment_ptr 1
		.amdhsa_user_sgpr_dispatch_id 0
		.amdhsa_user_sgpr_kernarg_preload_length 0
		.amdhsa_user_sgpr_kernarg_preload_offset 0
		.amdhsa_user_sgpr_private_segment_size 0
		.amdhsa_uses_dynamic_stack 0
		.amdhsa_enable_private_segment 0
		.amdhsa_system_sgpr_workgroup_id_x 1
		.amdhsa_system_sgpr_workgroup_id_y 0
		.amdhsa_system_sgpr_workgroup_id_z 0
		.amdhsa_system_sgpr_workgroup_info 0
		.amdhsa_system_vgpr_workitem_id 0
		.amdhsa_next_free_vgpr 1
		.amdhsa_next_free_sgpr 0
		.amdhsa_accum_offset 4
		.amdhsa_reserve_vcc 0
		.amdhsa_float_round_mode_32 0
		.amdhsa_float_round_mode_16_64 0
		.amdhsa_float_denorm_mode_32 3
		.amdhsa_float_denorm_mode_16_64 3
		.amdhsa_dx10_clamp 1
		.amdhsa_ieee_mode 1
		.amdhsa_fp16_overflow 0
		.amdhsa_tg_split 0
		.amdhsa_exception_fp_ieee_invalid_op 0
		.amdhsa_exception_fp_denorm_src 0
		.amdhsa_exception_fp_ieee_div_zero 0
		.amdhsa_exception_fp_ieee_overflow 0
		.amdhsa_exception_fp_ieee_underflow 0
		.amdhsa_exception_fp_ieee_inexact 0
		.amdhsa_exception_int_div_zero 0
	.end_amdhsa_kernel
	.section	.text._ZN7rocprim17ROCPRIM_400000_NS6detail17trampoline_kernelINS0_14default_configENS1_25partition_config_selectorILNS1_17partition_subalgoE0EiNS0_10empty_typeEbEEZZNS1_14partition_implILS5_0ELb0ES3_jN6thrust23THRUST_200600_302600_NS6detail15normal_iteratorINSA_10device_ptrIiEEEEPS6_SG_NS0_5tupleIJNSA_16discard_iteratorINSA_11use_defaultEEESF_EEENSH_IJSG_SG_EEES6_PlJ7is_evenIiEEEE10hipError_tPvRmT3_T4_T5_T6_T7_T9_mT8_P12ihipStream_tbDpT10_ENKUlT_T0_E_clISt17integral_constantIbLb1EES18_IbLb0EEEEDaS14_S15_EUlS14_E_NS1_11comp_targetILNS1_3genE10ELNS1_11target_archE1200ELNS1_3gpuE4ELNS1_3repE0EEENS1_30default_config_static_selectorELNS0_4arch9wavefront6targetE1EEEvT1_,"axG",@progbits,_ZN7rocprim17ROCPRIM_400000_NS6detail17trampoline_kernelINS0_14default_configENS1_25partition_config_selectorILNS1_17partition_subalgoE0EiNS0_10empty_typeEbEEZZNS1_14partition_implILS5_0ELb0ES3_jN6thrust23THRUST_200600_302600_NS6detail15normal_iteratorINSA_10device_ptrIiEEEEPS6_SG_NS0_5tupleIJNSA_16discard_iteratorINSA_11use_defaultEEESF_EEENSH_IJSG_SG_EEES6_PlJ7is_evenIiEEEE10hipError_tPvRmT3_T4_T5_T6_T7_T9_mT8_P12ihipStream_tbDpT10_ENKUlT_T0_E_clISt17integral_constantIbLb1EES18_IbLb0EEEEDaS14_S15_EUlS14_E_NS1_11comp_targetILNS1_3genE10ELNS1_11target_archE1200ELNS1_3gpuE4ELNS1_3repE0EEENS1_30default_config_static_selectorELNS0_4arch9wavefront6targetE1EEEvT1_,comdat
.Lfunc_end2768:
	.size	_ZN7rocprim17ROCPRIM_400000_NS6detail17trampoline_kernelINS0_14default_configENS1_25partition_config_selectorILNS1_17partition_subalgoE0EiNS0_10empty_typeEbEEZZNS1_14partition_implILS5_0ELb0ES3_jN6thrust23THRUST_200600_302600_NS6detail15normal_iteratorINSA_10device_ptrIiEEEEPS6_SG_NS0_5tupleIJNSA_16discard_iteratorINSA_11use_defaultEEESF_EEENSH_IJSG_SG_EEES6_PlJ7is_evenIiEEEE10hipError_tPvRmT3_T4_T5_T6_T7_T9_mT8_P12ihipStream_tbDpT10_ENKUlT_T0_E_clISt17integral_constantIbLb1EES18_IbLb0EEEEDaS14_S15_EUlS14_E_NS1_11comp_targetILNS1_3genE10ELNS1_11target_archE1200ELNS1_3gpuE4ELNS1_3repE0EEENS1_30default_config_static_selectorELNS0_4arch9wavefront6targetE1EEEvT1_, .Lfunc_end2768-_ZN7rocprim17ROCPRIM_400000_NS6detail17trampoline_kernelINS0_14default_configENS1_25partition_config_selectorILNS1_17partition_subalgoE0EiNS0_10empty_typeEbEEZZNS1_14partition_implILS5_0ELb0ES3_jN6thrust23THRUST_200600_302600_NS6detail15normal_iteratorINSA_10device_ptrIiEEEEPS6_SG_NS0_5tupleIJNSA_16discard_iteratorINSA_11use_defaultEEESF_EEENSH_IJSG_SG_EEES6_PlJ7is_evenIiEEEE10hipError_tPvRmT3_T4_T5_T6_T7_T9_mT8_P12ihipStream_tbDpT10_ENKUlT_T0_E_clISt17integral_constantIbLb1EES18_IbLb0EEEEDaS14_S15_EUlS14_E_NS1_11comp_targetILNS1_3genE10ELNS1_11target_archE1200ELNS1_3gpuE4ELNS1_3repE0EEENS1_30default_config_static_selectorELNS0_4arch9wavefront6targetE1EEEvT1_
                                        ; -- End function
	.section	.AMDGPU.csdata,"",@progbits
; Kernel info:
; codeLenInByte = 0
; NumSgprs: 6
; NumVgprs: 0
; NumAgprs: 0
; TotalNumVgprs: 0
; ScratchSize: 0
; MemoryBound: 0
; FloatMode: 240
; IeeeMode: 1
; LDSByteSize: 0 bytes/workgroup (compile time only)
; SGPRBlocks: 0
; VGPRBlocks: 0
; NumSGPRsForWavesPerEU: 6
; NumVGPRsForWavesPerEU: 1
; AccumOffset: 4
; Occupancy: 8
; WaveLimiterHint : 0
; COMPUTE_PGM_RSRC2:SCRATCH_EN: 0
; COMPUTE_PGM_RSRC2:USER_SGPR: 2
; COMPUTE_PGM_RSRC2:TRAP_HANDLER: 0
; COMPUTE_PGM_RSRC2:TGID_X_EN: 1
; COMPUTE_PGM_RSRC2:TGID_Y_EN: 0
; COMPUTE_PGM_RSRC2:TGID_Z_EN: 0
; COMPUTE_PGM_RSRC2:TIDIG_COMP_CNT: 0
; COMPUTE_PGM_RSRC3_GFX90A:ACCUM_OFFSET: 0
; COMPUTE_PGM_RSRC3_GFX90A:TG_SPLIT: 0
	.section	.text._ZN7rocprim17ROCPRIM_400000_NS6detail17trampoline_kernelINS0_14default_configENS1_25partition_config_selectorILNS1_17partition_subalgoE0EiNS0_10empty_typeEbEEZZNS1_14partition_implILS5_0ELb0ES3_jN6thrust23THRUST_200600_302600_NS6detail15normal_iteratorINSA_10device_ptrIiEEEEPS6_SG_NS0_5tupleIJNSA_16discard_iteratorINSA_11use_defaultEEESF_EEENSH_IJSG_SG_EEES6_PlJ7is_evenIiEEEE10hipError_tPvRmT3_T4_T5_T6_T7_T9_mT8_P12ihipStream_tbDpT10_ENKUlT_T0_E_clISt17integral_constantIbLb1EES18_IbLb0EEEEDaS14_S15_EUlS14_E_NS1_11comp_targetILNS1_3genE9ELNS1_11target_archE1100ELNS1_3gpuE3ELNS1_3repE0EEENS1_30default_config_static_selectorELNS0_4arch9wavefront6targetE1EEEvT1_,"axG",@progbits,_ZN7rocprim17ROCPRIM_400000_NS6detail17trampoline_kernelINS0_14default_configENS1_25partition_config_selectorILNS1_17partition_subalgoE0EiNS0_10empty_typeEbEEZZNS1_14partition_implILS5_0ELb0ES3_jN6thrust23THRUST_200600_302600_NS6detail15normal_iteratorINSA_10device_ptrIiEEEEPS6_SG_NS0_5tupleIJNSA_16discard_iteratorINSA_11use_defaultEEESF_EEENSH_IJSG_SG_EEES6_PlJ7is_evenIiEEEE10hipError_tPvRmT3_T4_T5_T6_T7_T9_mT8_P12ihipStream_tbDpT10_ENKUlT_T0_E_clISt17integral_constantIbLb1EES18_IbLb0EEEEDaS14_S15_EUlS14_E_NS1_11comp_targetILNS1_3genE9ELNS1_11target_archE1100ELNS1_3gpuE3ELNS1_3repE0EEENS1_30default_config_static_selectorELNS0_4arch9wavefront6targetE1EEEvT1_,comdat
	.protected	_ZN7rocprim17ROCPRIM_400000_NS6detail17trampoline_kernelINS0_14default_configENS1_25partition_config_selectorILNS1_17partition_subalgoE0EiNS0_10empty_typeEbEEZZNS1_14partition_implILS5_0ELb0ES3_jN6thrust23THRUST_200600_302600_NS6detail15normal_iteratorINSA_10device_ptrIiEEEEPS6_SG_NS0_5tupleIJNSA_16discard_iteratorINSA_11use_defaultEEESF_EEENSH_IJSG_SG_EEES6_PlJ7is_evenIiEEEE10hipError_tPvRmT3_T4_T5_T6_T7_T9_mT8_P12ihipStream_tbDpT10_ENKUlT_T0_E_clISt17integral_constantIbLb1EES18_IbLb0EEEEDaS14_S15_EUlS14_E_NS1_11comp_targetILNS1_3genE9ELNS1_11target_archE1100ELNS1_3gpuE3ELNS1_3repE0EEENS1_30default_config_static_selectorELNS0_4arch9wavefront6targetE1EEEvT1_ ; -- Begin function _ZN7rocprim17ROCPRIM_400000_NS6detail17trampoline_kernelINS0_14default_configENS1_25partition_config_selectorILNS1_17partition_subalgoE0EiNS0_10empty_typeEbEEZZNS1_14partition_implILS5_0ELb0ES3_jN6thrust23THRUST_200600_302600_NS6detail15normal_iteratorINSA_10device_ptrIiEEEEPS6_SG_NS0_5tupleIJNSA_16discard_iteratorINSA_11use_defaultEEESF_EEENSH_IJSG_SG_EEES6_PlJ7is_evenIiEEEE10hipError_tPvRmT3_T4_T5_T6_T7_T9_mT8_P12ihipStream_tbDpT10_ENKUlT_T0_E_clISt17integral_constantIbLb1EES18_IbLb0EEEEDaS14_S15_EUlS14_E_NS1_11comp_targetILNS1_3genE9ELNS1_11target_archE1100ELNS1_3gpuE3ELNS1_3repE0EEENS1_30default_config_static_selectorELNS0_4arch9wavefront6targetE1EEEvT1_
	.globl	_ZN7rocprim17ROCPRIM_400000_NS6detail17trampoline_kernelINS0_14default_configENS1_25partition_config_selectorILNS1_17partition_subalgoE0EiNS0_10empty_typeEbEEZZNS1_14partition_implILS5_0ELb0ES3_jN6thrust23THRUST_200600_302600_NS6detail15normal_iteratorINSA_10device_ptrIiEEEEPS6_SG_NS0_5tupleIJNSA_16discard_iteratorINSA_11use_defaultEEESF_EEENSH_IJSG_SG_EEES6_PlJ7is_evenIiEEEE10hipError_tPvRmT3_T4_T5_T6_T7_T9_mT8_P12ihipStream_tbDpT10_ENKUlT_T0_E_clISt17integral_constantIbLb1EES18_IbLb0EEEEDaS14_S15_EUlS14_E_NS1_11comp_targetILNS1_3genE9ELNS1_11target_archE1100ELNS1_3gpuE3ELNS1_3repE0EEENS1_30default_config_static_selectorELNS0_4arch9wavefront6targetE1EEEvT1_
	.p2align	8
	.type	_ZN7rocprim17ROCPRIM_400000_NS6detail17trampoline_kernelINS0_14default_configENS1_25partition_config_selectorILNS1_17partition_subalgoE0EiNS0_10empty_typeEbEEZZNS1_14partition_implILS5_0ELb0ES3_jN6thrust23THRUST_200600_302600_NS6detail15normal_iteratorINSA_10device_ptrIiEEEEPS6_SG_NS0_5tupleIJNSA_16discard_iteratorINSA_11use_defaultEEESF_EEENSH_IJSG_SG_EEES6_PlJ7is_evenIiEEEE10hipError_tPvRmT3_T4_T5_T6_T7_T9_mT8_P12ihipStream_tbDpT10_ENKUlT_T0_E_clISt17integral_constantIbLb1EES18_IbLb0EEEEDaS14_S15_EUlS14_E_NS1_11comp_targetILNS1_3genE9ELNS1_11target_archE1100ELNS1_3gpuE3ELNS1_3repE0EEENS1_30default_config_static_selectorELNS0_4arch9wavefront6targetE1EEEvT1_,@function
_ZN7rocprim17ROCPRIM_400000_NS6detail17trampoline_kernelINS0_14default_configENS1_25partition_config_selectorILNS1_17partition_subalgoE0EiNS0_10empty_typeEbEEZZNS1_14partition_implILS5_0ELb0ES3_jN6thrust23THRUST_200600_302600_NS6detail15normal_iteratorINSA_10device_ptrIiEEEEPS6_SG_NS0_5tupleIJNSA_16discard_iteratorINSA_11use_defaultEEESF_EEENSH_IJSG_SG_EEES6_PlJ7is_evenIiEEEE10hipError_tPvRmT3_T4_T5_T6_T7_T9_mT8_P12ihipStream_tbDpT10_ENKUlT_T0_E_clISt17integral_constantIbLb1EES18_IbLb0EEEEDaS14_S15_EUlS14_E_NS1_11comp_targetILNS1_3genE9ELNS1_11target_archE1100ELNS1_3gpuE3ELNS1_3repE0EEENS1_30default_config_static_selectorELNS0_4arch9wavefront6targetE1EEEvT1_: ; @_ZN7rocprim17ROCPRIM_400000_NS6detail17trampoline_kernelINS0_14default_configENS1_25partition_config_selectorILNS1_17partition_subalgoE0EiNS0_10empty_typeEbEEZZNS1_14partition_implILS5_0ELb0ES3_jN6thrust23THRUST_200600_302600_NS6detail15normal_iteratorINSA_10device_ptrIiEEEEPS6_SG_NS0_5tupleIJNSA_16discard_iteratorINSA_11use_defaultEEESF_EEENSH_IJSG_SG_EEES6_PlJ7is_evenIiEEEE10hipError_tPvRmT3_T4_T5_T6_T7_T9_mT8_P12ihipStream_tbDpT10_ENKUlT_T0_E_clISt17integral_constantIbLb1EES18_IbLb0EEEEDaS14_S15_EUlS14_E_NS1_11comp_targetILNS1_3genE9ELNS1_11target_archE1100ELNS1_3gpuE3ELNS1_3repE0EEENS1_30default_config_static_selectorELNS0_4arch9wavefront6targetE1EEEvT1_
; %bb.0:
	.section	.rodata,"a",@progbits
	.p2align	6, 0x0
	.amdhsa_kernel _ZN7rocprim17ROCPRIM_400000_NS6detail17trampoline_kernelINS0_14default_configENS1_25partition_config_selectorILNS1_17partition_subalgoE0EiNS0_10empty_typeEbEEZZNS1_14partition_implILS5_0ELb0ES3_jN6thrust23THRUST_200600_302600_NS6detail15normal_iteratorINSA_10device_ptrIiEEEEPS6_SG_NS0_5tupleIJNSA_16discard_iteratorINSA_11use_defaultEEESF_EEENSH_IJSG_SG_EEES6_PlJ7is_evenIiEEEE10hipError_tPvRmT3_T4_T5_T6_T7_T9_mT8_P12ihipStream_tbDpT10_ENKUlT_T0_E_clISt17integral_constantIbLb1EES18_IbLb0EEEEDaS14_S15_EUlS14_E_NS1_11comp_targetILNS1_3genE9ELNS1_11target_archE1100ELNS1_3gpuE3ELNS1_3repE0EEENS1_30default_config_static_selectorELNS0_4arch9wavefront6targetE1EEEvT1_
		.amdhsa_group_segment_fixed_size 0
		.amdhsa_private_segment_fixed_size 0
		.amdhsa_kernarg_size 128
		.amdhsa_user_sgpr_count 2
		.amdhsa_user_sgpr_dispatch_ptr 0
		.amdhsa_user_sgpr_queue_ptr 0
		.amdhsa_user_sgpr_kernarg_segment_ptr 1
		.amdhsa_user_sgpr_dispatch_id 0
		.amdhsa_user_sgpr_kernarg_preload_length 0
		.amdhsa_user_sgpr_kernarg_preload_offset 0
		.amdhsa_user_sgpr_private_segment_size 0
		.amdhsa_uses_dynamic_stack 0
		.amdhsa_enable_private_segment 0
		.amdhsa_system_sgpr_workgroup_id_x 1
		.amdhsa_system_sgpr_workgroup_id_y 0
		.amdhsa_system_sgpr_workgroup_id_z 0
		.amdhsa_system_sgpr_workgroup_info 0
		.amdhsa_system_vgpr_workitem_id 0
		.amdhsa_next_free_vgpr 1
		.amdhsa_next_free_sgpr 0
		.amdhsa_accum_offset 4
		.amdhsa_reserve_vcc 0
		.amdhsa_float_round_mode_32 0
		.amdhsa_float_round_mode_16_64 0
		.amdhsa_float_denorm_mode_32 3
		.amdhsa_float_denorm_mode_16_64 3
		.amdhsa_dx10_clamp 1
		.amdhsa_ieee_mode 1
		.amdhsa_fp16_overflow 0
		.amdhsa_tg_split 0
		.amdhsa_exception_fp_ieee_invalid_op 0
		.amdhsa_exception_fp_denorm_src 0
		.amdhsa_exception_fp_ieee_div_zero 0
		.amdhsa_exception_fp_ieee_overflow 0
		.amdhsa_exception_fp_ieee_underflow 0
		.amdhsa_exception_fp_ieee_inexact 0
		.amdhsa_exception_int_div_zero 0
	.end_amdhsa_kernel
	.section	.text._ZN7rocprim17ROCPRIM_400000_NS6detail17trampoline_kernelINS0_14default_configENS1_25partition_config_selectorILNS1_17partition_subalgoE0EiNS0_10empty_typeEbEEZZNS1_14partition_implILS5_0ELb0ES3_jN6thrust23THRUST_200600_302600_NS6detail15normal_iteratorINSA_10device_ptrIiEEEEPS6_SG_NS0_5tupleIJNSA_16discard_iteratorINSA_11use_defaultEEESF_EEENSH_IJSG_SG_EEES6_PlJ7is_evenIiEEEE10hipError_tPvRmT3_T4_T5_T6_T7_T9_mT8_P12ihipStream_tbDpT10_ENKUlT_T0_E_clISt17integral_constantIbLb1EES18_IbLb0EEEEDaS14_S15_EUlS14_E_NS1_11comp_targetILNS1_3genE9ELNS1_11target_archE1100ELNS1_3gpuE3ELNS1_3repE0EEENS1_30default_config_static_selectorELNS0_4arch9wavefront6targetE1EEEvT1_,"axG",@progbits,_ZN7rocprim17ROCPRIM_400000_NS6detail17trampoline_kernelINS0_14default_configENS1_25partition_config_selectorILNS1_17partition_subalgoE0EiNS0_10empty_typeEbEEZZNS1_14partition_implILS5_0ELb0ES3_jN6thrust23THRUST_200600_302600_NS6detail15normal_iteratorINSA_10device_ptrIiEEEEPS6_SG_NS0_5tupleIJNSA_16discard_iteratorINSA_11use_defaultEEESF_EEENSH_IJSG_SG_EEES6_PlJ7is_evenIiEEEE10hipError_tPvRmT3_T4_T5_T6_T7_T9_mT8_P12ihipStream_tbDpT10_ENKUlT_T0_E_clISt17integral_constantIbLb1EES18_IbLb0EEEEDaS14_S15_EUlS14_E_NS1_11comp_targetILNS1_3genE9ELNS1_11target_archE1100ELNS1_3gpuE3ELNS1_3repE0EEENS1_30default_config_static_selectorELNS0_4arch9wavefront6targetE1EEEvT1_,comdat
.Lfunc_end2769:
	.size	_ZN7rocprim17ROCPRIM_400000_NS6detail17trampoline_kernelINS0_14default_configENS1_25partition_config_selectorILNS1_17partition_subalgoE0EiNS0_10empty_typeEbEEZZNS1_14partition_implILS5_0ELb0ES3_jN6thrust23THRUST_200600_302600_NS6detail15normal_iteratorINSA_10device_ptrIiEEEEPS6_SG_NS0_5tupleIJNSA_16discard_iteratorINSA_11use_defaultEEESF_EEENSH_IJSG_SG_EEES6_PlJ7is_evenIiEEEE10hipError_tPvRmT3_T4_T5_T6_T7_T9_mT8_P12ihipStream_tbDpT10_ENKUlT_T0_E_clISt17integral_constantIbLb1EES18_IbLb0EEEEDaS14_S15_EUlS14_E_NS1_11comp_targetILNS1_3genE9ELNS1_11target_archE1100ELNS1_3gpuE3ELNS1_3repE0EEENS1_30default_config_static_selectorELNS0_4arch9wavefront6targetE1EEEvT1_, .Lfunc_end2769-_ZN7rocprim17ROCPRIM_400000_NS6detail17trampoline_kernelINS0_14default_configENS1_25partition_config_selectorILNS1_17partition_subalgoE0EiNS0_10empty_typeEbEEZZNS1_14partition_implILS5_0ELb0ES3_jN6thrust23THRUST_200600_302600_NS6detail15normal_iteratorINSA_10device_ptrIiEEEEPS6_SG_NS0_5tupleIJNSA_16discard_iteratorINSA_11use_defaultEEESF_EEENSH_IJSG_SG_EEES6_PlJ7is_evenIiEEEE10hipError_tPvRmT3_T4_T5_T6_T7_T9_mT8_P12ihipStream_tbDpT10_ENKUlT_T0_E_clISt17integral_constantIbLb1EES18_IbLb0EEEEDaS14_S15_EUlS14_E_NS1_11comp_targetILNS1_3genE9ELNS1_11target_archE1100ELNS1_3gpuE3ELNS1_3repE0EEENS1_30default_config_static_selectorELNS0_4arch9wavefront6targetE1EEEvT1_
                                        ; -- End function
	.section	.AMDGPU.csdata,"",@progbits
; Kernel info:
; codeLenInByte = 0
; NumSgprs: 6
; NumVgprs: 0
; NumAgprs: 0
; TotalNumVgprs: 0
; ScratchSize: 0
; MemoryBound: 0
; FloatMode: 240
; IeeeMode: 1
; LDSByteSize: 0 bytes/workgroup (compile time only)
; SGPRBlocks: 0
; VGPRBlocks: 0
; NumSGPRsForWavesPerEU: 6
; NumVGPRsForWavesPerEU: 1
; AccumOffset: 4
; Occupancy: 8
; WaveLimiterHint : 0
; COMPUTE_PGM_RSRC2:SCRATCH_EN: 0
; COMPUTE_PGM_RSRC2:USER_SGPR: 2
; COMPUTE_PGM_RSRC2:TRAP_HANDLER: 0
; COMPUTE_PGM_RSRC2:TGID_X_EN: 1
; COMPUTE_PGM_RSRC2:TGID_Y_EN: 0
; COMPUTE_PGM_RSRC2:TGID_Z_EN: 0
; COMPUTE_PGM_RSRC2:TIDIG_COMP_CNT: 0
; COMPUTE_PGM_RSRC3_GFX90A:ACCUM_OFFSET: 0
; COMPUTE_PGM_RSRC3_GFX90A:TG_SPLIT: 0
	.section	.text._ZN7rocprim17ROCPRIM_400000_NS6detail17trampoline_kernelINS0_14default_configENS1_25partition_config_selectorILNS1_17partition_subalgoE0EiNS0_10empty_typeEbEEZZNS1_14partition_implILS5_0ELb0ES3_jN6thrust23THRUST_200600_302600_NS6detail15normal_iteratorINSA_10device_ptrIiEEEEPS6_SG_NS0_5tupleIJNSA_16discard_iteratorINSA_11use_defaultEEESF_EEENSH_IJSG_SG_EEES6_PlJ7is_evenIiEEEE10hipError_tPvRmT3_T4_T5_T6_T7_T9_mT8_P12ihipStream_tbDpT10_ENKUlT_T0_E_clISt17integral_constantIbLb1EES18_IbLb0EEEEDaS14_S15_EUlS14_E_NS1_11comp_targetILNS1_3genE8ELNS1_11target_archE1030ELNS1_3gpuE2ELNS1_3repE0EEENS1_30default_config_static_selectorELNS0_4arch9wavefront6targetE1EEEvT1_,"axG",@progbits,_ZN7rocprim17ROCPRIM_400000_NS6detail17trampoline_kernelINS0_14default_configENS1_25partition_config_selectorILNS1_17partition_subalgoE0EiNS0_10empty_typeEbEEZZNS1_14partition_implILS5_0ELb0ES3_jN6thrust23THRUST_200600_302600_NS6detail15normal_iteratorINSA_10device_ptrIiEEEEPS6_SG_NS0_5tupleIJNSA_16discard_iteratorINSA_11use_defaultEEESF_EEENSH_IJSG_SG_EEES6_PlJ7is_evenIiEEEE10hipError_tPvRmT3_T4_T5_T6_T7_T9_mT8_P12ihipStream_tbDpT10_ENKUlT_T0_E_clISt17integral_constantIbLb1EES18_IbLb0EEEEDaS14_S15_EUlS14_E_NS1_11comp_targetILNS1_3genE8ELNS1_11target_archE1030ELNS1_3gpuE2ELNS1_3repE0EEENS1_30default_config_static_selectorELNS0_4arch9wavefront6targetE1EEEvT1_,comdat
	.protected	_ZN7rocprim17ROCPRIM_400000_NS6detail17trampoline_kernelINS0_14default_configENS1_25partition_config_selectorILNS1_17partition_subalgoE0EiNS0_10empty_typeEbEEZZNS1_14partition_implILS5_0ELb0ES3_jN6thrust23THRUST_200600_302600_NS6detail15normal_iteratorINSA_10device_ptrIiEEEEPS6_SG_NS0_5tupleIJNSA_16discard_iteratorINSA_11use_defaultEEESF_EEENSH_IJSG_SG_EEES6_PlJ7is_evenIiEEEE10hipError_tPvRmT3_T4_T5_T6_T7_T9_mT8_P12ihipStream_tbDpT10_ENKUlT_T0_E_clISt17integral_constantIbLb1EES18_IbLb0EEEEDaS14_S15_EUlS14_E_NS1_11comp_targetILNS1_3genE8ELNS1_11target_archE1030ELNS1_3gpuE2ELNS1_3repE0EEENS1_30default_config_static_selectorELNS0_4arch9wavefront6targetE1EEEvT1_ ; -- Begin function _ZN7rocprim17ROCPRIM_400000_NS6detail17trampoline_kernelINS0_14default_configENS1_25partition_config_selectorILNS1_17partition_subalgoE0EiNS0_10empty_typeEbEEZZNS1_14partition_implILS5_0ELb0ES3_jN6thrust23THRUST_200600_302600_NS6detail15normal_iteratorINSA_10device_ptrIiEEEEPS6_SG_NS0_5tupleIJNSA_16discard_iteratorINSA_11use_defaultEEESF_EEENSH_IJSG_SG_EEES6_PlJ7is_evenIiEEEE10hipError_tPvRmT3_T4_T5_T6_T7_T9_mT8_P12ihipStream_tbDpT10_ENKUlT_T0_E_clISt17integral_constantIbLb1EES18_IbLb0EEEEDaS14_S15_EUlS14_E_NS1_11comp_targetILNS1_3genE8ELNS1_11target_archE1030ELNS1_3gpuE2ELNS1_3repE0EEENS1_30default_config_static_selectorELNS0_4arch9wavefront6targetE1EEEvT1_
	.globl	_ZN7rocprim17ROCPRIM_400000_NS6detail17trampoline_kernelINS0_14default_configENS1_25partition_config_selectorILNS1_17partition_subalgoE0EiNS0_10empty_typeEbEEZZNS1_14partition_implILS5_0ELb0ES3_jN6thrust23THRUST_200600_302600_NS6detail15normal_iteratorINSA_10device_ptrIiEEEEPS6_SG_NS0_5tupleIJNSA_16discard_iteratorINSA_11use_defaultEEESF_EEENSH_IJSG_SG_EEES6_PlJ7is_evenIiEEEE10hipError_tPvRmT3_T4_T5_T6_T7_T9_mT8_P12ihipStream_tbDpT10_ENKUlT_T0_E_clISt17integral_constantIbLb1EES18_IbLb0EEEEDaS14_S15_EUlS14_E_NS1_11comp_targetILNS1_3genE8ELNS1_11target_archE1030ELNS1_3gpuE2ELNS1_3repE0EEENS1_30default_config_static_selectorELNS0_4arch9wavefront6targetE1EEEvT1_
	.p2align	8
	.type	_ZN7rocprim17ROCPRIM_400000_NS6detail17trampoline_kernelINS0_14default_configENS1_25partition_config_selectorILNS1_17partition_subalgoE0EiNS0_10empty_typeEbEEZZNS1_14partition_implILS5_0ELb0ES3_jN6thrust23THRUST_200600_302600_NS6detail15normal_iteratorINSA_10device_ptrIiEEEEPS6_SG_NS0_5tupleIJNSA_16discard_iteratorINSA_11use_defaultEEESF_EEENSH_IJSG_SG_EEES6_PlJ7is_evenIiEEEE10hipError_tPvRmT3_T4_T5_T6_T7_T9_mT8_P12ihipStream_tbDpT10_ENKUlT_T0_E_clISt17integral_constantIbLb1EES18_IbLb0EEEEDaS14_S15_EUlS14_E_NS1_11comp_targetILNS1_3genE8ELNS1_11target_archE1030ELNS1_3gpuE2ELNS1_3repE0EEENS1_30default_config_static_selectorELNS0_4arch9wavefront6targetE1EEEvT1_,@function
_ZN7rocprim17ROCPRIM_400000_NS6detail17trampoline_kernelINS0_14default_configENS1_25partition_config_selectorILNS1_17partition_subalgoE0EiNS0_10empty_typeEbEEZZNS1_14partition_implILS5_0ELb0ES3_jN6thrust23THRUST_200600_302600_NS6detail15normal_iteratorINSA_10device_ptrIiEEEEPS6_SG_NS0_5tupleIJNSA_16discard_iteratorINSA_11use_defaultEEESF_EEENSH_IJSG_SG_EEES6_PlJ7is_evenIiEEEE10hipError_tPvRmT3_T4_T5_T6_T7_T9_mT8_P12ihipStream_tbDpT10_ENKUlT_T0_E_clISt17integral_constantIbLb1EES18_IbLb0EEEEDaS14_S15_EUlS14_E_NS1_11comp_targetILNS1_3genE8ELNS1_11target_archE1030ELNS1_3gpuE2ELNS1_3repE0EEENS1_30default_config_static_selectorELNS0_4arch9wavefront6targetE1EEEvT1_: ; @_ZN7rocprim17ROCPRIM_400000_NS6detail17trampoline_kernelINS0_14default_configENS1_25partition_config_selectorILNS1_17partition_subalgoE0EiNS0_10empty_typeEbEEZZNS1_14partition_implILS5_0ELb0ES3_jN6thrust23THRUST_200600_302600_NS6detail15normal_iteratorINSA_10device_ptrIiEEEEPS6_SG_NS0_5tupleIJNSA_16discard_iteratorINSA_11use_defaultEEESF_EEENSH_IJSG_SG_EEES6_PlJ7is_evenIiEEEE10hipError_tPvRmT3_T4_T5_T6_T7_T9_mT8_P12ihipStream_tbDpT10_ENKUlT_T0_E_clISt17integral_constantIbLb1EES18_IbLb0EEEEDaS14_S15_EUlS14_E_NS1_11comp_targetILNS1_3genE8ELNS1_11target_archE1030ELNS1_3gpuE2ELNS1_3repE0EEENS1_30default_config_static_selectorELNS0_4arch9wavefront6targetE1EEEvT1_
; %bb.0:
	.section	.rodata,"a",@progbits
	.p2align	6, 0x0
	.amdhsa_kernel _ZN7rocprim17ROCPRIM_400000_NS6detail17trampoline_kernelINS0_14default_configENS1_25partition_config_selectorILNS1_17partition_subalgoE0EiNS0_10empty_typeEbEEZZNS1_14partition_implILS5_0ELb0ES3_jN6thrust23THRUST_200600_302600_NS6detail15normal_iteratorINSA_10device_ptrIiEEEEPS6_SG_NS0_5tupleIJNSA_16discard_iteratorINSA_11use_defaultEEESF_EEENSH_IJSG_SG_EEES6_PlJ7is_evenIiEEEE10hipError_tPvRmT3_T4_T5_T6_T7_T9_mT8_P12ihipStream_tbDpT10_ENKUlT_T0_E_clISt17integral_constantIbLb1EES18_IbLb0EEEEDaS14_S15_EUlS14_E_NS1_11comp_targetILNS1_3genE8ELNS1_11target_archE1030ELNS1_3gpuE2ELNS1_3repE0EEENS1_30default_config_static_selectorELNS0_4arch9wavefront6targetE1EEEvT1_
		.amdhsa_group_segment_fixed_size 0
		.amdhsa_private_segment_fixed_size 0
		.amdhsa_kernarg_size 128
		.amdhsa_user_sgpr_count 2
		.amdhsa_user_sgpr_dispatch_ptr 0
		.amdhsa_user_sgpr_queue_ptr 0
		.amdhsa_user_sgpr_kernarg_segment_ptr 1
		.amdhsa_user_sgpr_dispatch_id 0
		.amdhsa_user_sgpr_kernarg_preload_length 0
		.amdhsa_user_sgpr_kernarg_preload_offset 0
		.amdhsa_user_sgpr_private_segment_size 0
		.amdhsa_uses_dynamic_stack 0
		.amdhsa_enable_private_segment 0
		.amdhsa_system_sgpr_workgroup_id_x 1
		.amdhsa_system_sgpr_workgroup_id_y 0
		.amdhsa_system_sgpr_workgroup_id_z 0
		.amdhsa_system_sgpr_workgroup_info 0
		.amdhsa_system_vgpr_workitem_id 0
		.amdhsa_next_free_vgpr 1
		.amdhsa_next_free_sgpr 0
		.amdhsa_accum_offset 4
		.amdhsa_reserve_vcc 0
		.amdhsa_float_round_mode_32 0
		.amdhsa_float_round_mode_16_64 0
		.amdhsa_float_denorm_mode_32 3
		.amdhsa_float_denorm_mode_16_64 3
		.amdhsa_dx10_clamp 1
		.amdhsa_ieee_mode 1
		.amdhsa_fp16_overflow 0
		.amdhsa_tg_split 0
		.amdhsa_exception_fp_ieee_invalid_op 0
		.amdhsa_exception_fp_denorm_src 0
		.amdhsa_exception_fp_ieee_div_zero 0
		.amdhsa_exception_fp_ieee_overflow 0
		.amdhsa_exception_fp_ieee_underflow 0
		.amdhsa_exception_fp_ieee_inexact 0
		.amdhsa_exception_int_div_zero 0
	.end_amdhsa_kernel
	.section	.text._ZN7rocprim17ROCPRIM_400000_NS6detail17trampoline_kernelINS0_14default_configENS1_25partition_config_selectorILNS1_17partition_subalgoE0EiNS0_10empty_typeEbEEZZNS1_14partition_implILS5_0ELb0ES3_jN6thrust23THRUST_200600_302600_NS6detail15normal_iteratorINSA_10device_ptrIiEEEEPS6_SG_NS0_5tupleIJNSA_16discard_iteratorINSA_11use_defaultEEESF_EEENSH_IJSG_SG_EEES6_PlJ7is_evenIiEEEE10hipError_tPvRmT3_T4_T5_T6_T7_T9_mT8_P12ihipStream_tbDpT10_ENKUlT_T0_E_clISt17integral_constantIbLb1EES18_IbLb0EEEEDaS14_S15_EUlS14_E_NS1_11comp_targetILNS1_3genE8ELNS1_11target_archE1030ELNS1_3gpuE2ELNS1_3repE0EEENS1_30default_config_static_selectorELNS0_4arch9wavefront6targetE1EEEvT1_,"axG",@progbits,_ZN7rocprim17ROCPRIM_400000_NS6detail17trampoline_kernelINS0_14default_configENS1_25partition_config_selectorILNS1_17partition_subalgoE0EiNS0_10empty_typeEbEEZZNS1_14partition_implILS5_0ELb0ES3_jN6thrust23THRUST_200600_302600_NS6detail15normal_iteratorINSA_10device_ptrIiEEEEPS6_SG_NS0_5tupleIJNSA_16discard_iteratorINSA_11use_defaultEEESF_EEENSH_IJSG_SG_EEES6_PlJ7is_evenIiEEEE10hipError_tPvRmT3_T4_T5_T6_T7_T9_mT8_P12ihipStream_tbDpT10_ENKUlT_T0_E_clISt17integral_constantIbLb1EES18_IbLb0EEEEDaS14_S15_EUlS14_E_NS1_11comp_targetILNS1_3genE8ELNS1_11target_archE1030ELNS1_3gpuE2ELNS1_3repE0EEENS1_30default_config_static_selectorELNS0_4arch9wavefront6targetE1EEEvT1_,comdat
.Lfunc_end2770:
	.size	_ZN7rocprim17ROCPRIM_400000_NS6detail17trampoline_kernelINS0_14default_configENS1_25partition_config_selectorILNS1_17partition_subalgoE0EiNS0_10empty_typeEbEEZZNS1_14partition_implILS5_0ELb0ES3_jN6thrust23THRUST_200600_302600_NS6detail15normal_iteratorINSA_10device_ptrIiEEEEPS6_SG_NS0_5tupleIJNSA_16discard_iteratorINSA_11use_defaultEEESF_EEENSH_IJSG_SG_EEES6_PlJ7is_evenIiEEEE10hipError_tPvRmT3_T4_T5_T6_T7_T9_mT8_P12ihipStream_tbDpT10_ENKUlT_T0_E_clISt17integral_constantIbLb1EES18_IbLb0EEEEDaS14_S15_EUlS14_E_NS1_11comp_targetILNS1_3genE8ELNS1_11target_archE1030ELNS1_3gpuE2ELNS1_3repE0EEENS1_30default_config_static_selectorELNS0_4arch9wavefront6targetE1EEEvT1_, .Lfunc_end2770-_ZN7rocprim17ROCPRIM_400000_NS6detail17trampoline_kernelINS0_14default_configENS1_25partition_config_selectorILNS1_17partition_subalgoE0EiNS0_10empty_typeEbEEZZNS1_14partition_implILS5_0ELb0ES3_jN6thrust23THRUST_200600_302600_NS6detail15normal_iteratorINSA_10device_ptrIiEEEEPS6_SG_NS0_5tupleIJNSA_16discard_iteratorINSA_11use_defaultEEESF_EEENSH_IJSG_SG_EEES6_PlJ7is_evenIiEEEE10hipError_tPvRmT3_T4_T5_T6_T7_T9_mT8_P12ihipStream_tbDpT10_ENKUlT_T0_E_clISt17integral_constantIbLb1EES18_IbLb0EEEEDaS14_S15_EUlS14_E_NS1_11comp_targetILNS1_3genE8ELNS1_11target_archE1030ELNS1_3gpuE2ELNS1_3repE0EEENS1_30default_config_static_selectorELNS0_4arch9wavefront6targetE1EEEvT1_
                                        ; -- End function
	.section	.AMDGPU.csdata,"",@progbits
; Kernel info:
; codeLenInByte = 0
; NumSgprs: 6
; NumVgprs: 0
; NumAgprs: 0
; TotalNumVgprs: 0
; ScratchSize: 0
; MemoryBound: 0
; FloatMode: 240
; IeeeMode: 1
; LDSByteSize: 0 bytes/workgroup (compile time only)
; SGPRBlocks: 0
; VGPRBlocks: 0
; NumSGPRsForWavesPerEU: 6
; NumVGPRsForWavesPerEU: 1
; AccumOffset: 4
; Occupancy: 8
; WaveLimiterHint : 0
; COMPUTE_PGM_RSRC2:SCRATCH_EN: 0
; COMPUTE_PGM_RSRC2:USER_SGPR: 2
; COMPUTE_PGM_RSRC2:TRAP_HANDLER: 0
; COMPUTE_PGM_RSRC2:TGID_X_EN: 1
; COMPUTE_PGM_RSRC2:TGID_Y_EN: 0
; COMPUTE_PGM_RSRC2:TGID_Z_EN: 0
; COMPUTE_PGM_RSRC2:TIDIG_COMP_CNT: 0
; COMPUTE_PGM_RSRC3_GFX90A:ACCUM_OFFSET: 0
; COMPUTE_PGM_RSRC3_GFX90A:TG_SPLIT: 0
	.section	.text._ZN7rocprim17ROCPRIM_400000_NS6detail17trampoline_kernelINS0_14default_configENS1_25partition_config_selectorILNS1_17partition_subalgoE0EiNS0_10empty_typeEbEEZZNS1_14partition_implILS5_0ELb0ES3_jN6thrust23THRUST_200600_302600_NS6detail15normal_iteratorINSA_10device_ptrIiEEEEPS6_SG_NS0_5tupleIJNSA_16discard_iteratorINSA_11use_defaultEEESF_EEENSH_IJSG_SG_EEES6_PlJ7is_evenIiEEEE10hipError_tPvRmT3_T4_T5_T6_T7_T9_mT8_P12ihipStream_tbDpT10_ENKUlT_T0_E_clISt17integral_constantIbLb0EES18_IbLb1EEEEDaS14_S15_EUlS14_E_NS1_11comp_targetILNS1_3genE0ELNS1_11target_archE4294967295ELNS1_3gpuE0ELNS1_3repE0EEENS1_30default_config_static_selectorELNS0_4arch9wavefront6targetE1EEEvT1_,"axG",@progbits,_ZN7rocprim17ROCPRIM_400000_NS6detail17trampoline_kernelINS0_14default_configENS1_25partition_config_selectorILNS1_17partition_subalgoE0EiNS0_10empty_typeEbEEZZNS1_14partition_implILS5_0ELb0ES3_jN6thrust23THRUST_200600_302600_NS6detail15normal_iteratorINSA_10device_ptrIiEEEEPS6_SG_NS0_5tupleIJNSA_16discard_iteratorINSA_11use_defaultEEESF_EEENSH_IJSG_SG_EEES6_PlJ7is_evenIiEEEE10hipError_tPvRmT3_T4_T5_T6_T7_T9_mT8_P12ihipStream_tbDpT10_ENKUlT_T0_E_clISt17integral_constantIbLb0EES18_IbLb1EEEEDaS14_S15_EUlS14_E_NS1_11comp_targetILNS1_3genE0ELNS1_11target_archE4294967295ELNS1_3gpuE0ELNS1_3repE0EEENS1_30default_config_static_selectorELNS0_4arch9wavefront6targetE1EEEvT1_,comdat
	.protected	_ZN7rocprim17ROCPRIM_400000_NS6detail17trampoline_kernelINS0_14default_configENS1_25partition_config_selectorILNS1_17partition_subalgoE0EiNS0_10empty_typeEbEEZZNS1_14partition_implILS5_0ELb0ES3_jN6thrust23THRUST_200600_302600_NS6detail15normal_iteratorINSA_10device_ptrIiEEEEPS6_SG_NS0_5tupleIJNSA_16discard_iteratorINSA_11use_defaultEEESF_EEENSH_IJSG_SG_EEES6_PlJ7is_evenIiEEEE10hipError_tPvRmT3_T4_T5_T6_T7_T9_mT8_P12ihipStream_tbDpT10_ENKUlT_T0_E_clISt17integral_constantIbLb0EES18_IbLb1EEEEDaS14_S15_EUlS14_E_NS1_11comp_targetILNS1_3genE0ELNS1_11target_archE4294967295ELNS1_3gpuE0ELNS1_3repE0EEENS1_30default_config_static_selectorELNS0_4arch9wavefront6targetE1EEEvT1_ ; -- Begin function _ZN7rocprim17ROCPRIM_400000_NS6detail17trampoline_kernelINS0_14default_configENS1_25partition_config_selectorILNS1_17partition_subalgoE0EiNS0_10empty_typeEbEEZZNS1_14partition_implILS5_0ELb0ES3_jN6thrust23THRUST_200600_302600_NS6detail15normal_iteratorINSA_10device_ptrIiEEEEPS6_SG_NS0_5tupleIJNSA_16discard_iteratorINSA_11use_defaultEEESF_EEENSH_IJSG_SG_EEES6_PlJ7is_evenIiEEEE10hipError_tPvRmT3_T4_T5_T6_T7_T9_mT8_P12ihipStream_tbDpT10_ENKUlT_T0_E_clISt17integral_constantIbLb0EES18_IbLb1EEEEDaS14_S15_EUlS14_E_NS1_11comp_targetILNS1_3genE0ELNS1_11target_archE4294967295ELNS1_3gpuE0ELNS1_3repE0EEENS1_30default_config_static_selectorELNS0_4arch9wavefront6targetE1EEEvT1_
	.globl	_ZN7rocprim17ROCPRIM_400000_NS6detail17trampoline_kernelINS0_14default_configENS1_25partition_config_selectorILNS1_17partition_subalgoE0EiNS0_10empty_typeEbEEZZNS1_14partition_implILS5_0ELb0ES3_jN6thrust23THRUST_200600_302600_NS6detail15normal_iteratorINSA_10device_ptrIiEEEEPS6_SG_NS0_5tupleIJNSA_16discard_iteratorINSA_11use_defaultEEESF_EEENSH_IJSG_SG_EEES6_PlJ7is_evenIiEEEE10hipError_tPvRmT3_T4_T5_T6_T7_T9_mT8_P12ihipStream_tbDpT10_ENKUlT_T0_E_clISt17integral_constantIbLb0EES18_IbLb1EEEEDaS14_S15_EUlS14_E_NS1_11comp_targetILNS1_3genE0ELNS1_11target_archE4294967295ELNS1_3gpuE0ELNS1_3repE0EEENS1_30default_config_static_selectorELNS0_4arch9wavefront6targetE1EEEvT1_
	.p2align	8
	.type	_ZN7rocprim17ROCPRIM_400000_NS6detail17trampoline_kernelINS0_14default_configENS1_25partition_config_selectorILNS1_17partition_subalgoE0EiNS0_10empty_typeEbEEZZNS1_14partition_implILS5_0ELb0ES3_jN6thrust23THRUST_200600_302600_NS6detail15normal_iteratorINSA_10device_ptrIiEEEEPS6_SG_NS0_5tupleIJNSA_16discard_iteratorINSA_11use_defaultEEESF_EEENSH_IJSG_SG_EEES6_PlJ7is_evenIiEEEE10hipError_tPvRmT3_T4_T5_T6_T7_T9_mT8_P12ihipStream_tbDpT10_ENKUlT_T0_E_clISt17integral_constantIbLb0EES18_IbLb1EEEEDaS14_S15_EUlS14_E_NS1_11comp_targetILNS1_3genE0ELNS1_11target_archE4294967295ELNS1_3gpuE0ELNS1_3repE0EEENS1_30default_config_static_selectorELNS0_4arch9wavefront6targetE1EEEvT1_,@function
_ZN7rocprim17ROCPRIM_400000_NS6detail17trampoline_kernelINS0_14default_configENS1_25partition_config_selectorILNS1_17partition_subalgoE0EiNS0_10empty_typeEbEEZZNS1_14partition_implILS5_0ELb0ES3_jN6thrust23THRUST_200600_302600_NS6detail15normal_iteratorINSA_10device_ptrIiEEEEPS6_SG_NS0_5tupleIJNSA_16discard_iteratorINSA_11use_defaultEEESF_EEENSH_IJSG_SG_EEES6_PlJ7is_evenIiEEEE10hipError_tPvRmT3_T4_T5_T6_T7_T9_mT8_P12ihipStream_tbDpT10_ENKUlT_T0_E_clISt17integral_constantIbLb0EES18_IbLb1EEEEDaS14_S15_EUlS14_E_NS1_11comp_targetILNS1_3genE0ELNS1_11target_archE4294967295ELNS1_3gpuE0ELNS1_3repE0EEENS1_30default_config_static_selectorELNS0_4arch9wavefront6targetE1EEEvT1_: ; @_ZN7rocprim17ROCPRIM_400000_NS6detail17trampoline_kernelINS0_14default_configENS1_25partition_config_selectorILNS1_17partition_subalgoE0EiNS0_10empty_typeEbEEZZNS1_14partition_implILS5_0ELb0ES3_jN6thrust23THRUST_200600_302600_NS6detail15normal_iteratorINSA_10device_ptrIiEEEEPS6_SG_NS0_5tupleIJNSA_16discard_iteratorINSA_11use_defaultEEESF_EEENSH_IJSG_SG_EEES6_PlJ7is_evenIiEEEE10hipError_tPvRmT3_T4_T5_T6_T7_T9_mT8_P12ihipStream_tbDpT10_ENKUlT_T0_E_clISt17integral_constantIbLb0EES18_IbLb1EEEEDaS14_S15_EUlS14_E_NS1_11comp_targetILNS1_3genE0ELNS1_11target_archE4294967295ELNS1_3gpuE0ELNS1_3repE0EEENS1_30default_config_static_selectorELNS0_4arch9wavefront6targetE1EEEvT1_
; %bb.0:
	.section	.rodata,"a",@progbits
	.p2align	6, 0x0
	.amdhsa_kernel _ZN7rocprim17ROCPRIM_400000_NS6detail17trampoline_kernelINS0_14default_configENS1_25partition_config_selectorILNS1_17partition_subalgoE0EiNS0_10empty_typeEbEEZZNS1_14partition_implILS5_0ELb0ES3_jN6thrust23THRUST_200600_302600_NS6detail15normal_iteratorINSA_10device_ptrIiEEEEPS6_SG_NS0_5tupleIJNSA_16discard_iteratorINSA_11use_defaultEEESF_EEENSH_IJSG_SG_EEES6_PlJ7is_evenIiEEEE10hipError_tPvRmT3_T4_T5_T6_T7_T9_mT8_P12ihipStream_tbDpT10_ENKUlT_T0_E_clISt17integral_constantIbLb0EES18_IbLb1EEEEDaS14_S15_EUlS14_E_NS1_11comp_targetILNS1_3genE0ELNS1_11target_archE4294967295ELNS1_3gpuE0ELNS1_3repE0EEENS1_30default_config_static_selectorELNS0_4arch9wavefront6targetE1EEEvT1_
		.amdhsa_group_segment_fixed_size 0
		.amdhsa_private_segment_fixed_size 0
		.amdhsa_kernarg_size 144
		.amdhsa_user_sgpr_count 2
		.amdhsa_user_sgpr_dispatch_ptr 0
		.amdhsa_user_sgpr_queue_ptr 0
		.amdhsa_user_sgpr_kernarg_segment_ptr 1
		.amdhsa_user_sgpr_dispatch_id 0
		.amdhsa_user_sgpr_kernarg_preload_length 0
		.amdhsa_user_sgpr_kernarg_preload_offset 0
		.amdhsa_user_sgpr_private_segment_size 0
		.amdhsa_uses_dynamic_stack 0
		.amdhsa_enable_private_segment 0
		.amdhsa_system_sgpr_workgroup_id_x 1
		.amdhsa_system_sgpr_workgroup_id_y 0
		.amdhsa_system_sgpr_workgroup_id_z 0
		.amdhsa_system_sgpr_workgroup_info 0
		.amdhsa_system_vgpr_workitem_id 0
		.amdhsa_next_free_vgpr 1
		.amdhsa_next_free_sgpr 0
		.amdhsa_accum_offset 4
		.amdhsa_reserve_vcc 0
		.amdhsa_float_round_mode_32 0
		.amdhsa_float_round_mode_16_64 0
		.amdhsa_float_denorm_mode_32 3
		.amdhsa_float_denorm_mode_16_64 3
		.amdhsa_dx10_clamp 1
		.amdhsa_ieee_mode 1
		.amdhsa_fp16_overflow 0
		.amdhsa_tg_split 0
		.amdhsa_exception_fp_ieee_invalid_op 0
		.amdhsa_exception_fp_denorm_src 0
		.amdhsa_exception_fp_ieee_div_zero 0
		.amdhsa_exception_fp_ieee_overflow 0
		.amdhsa_exception_fp_ieee_underflow 0
		.amdhsa_exception_fp_ieee_inexact 0
		.amdhsa_exception_int_div_zero 0
	.end_amdhsa_kernel
	.section	.text._ZN7rocprim17ROCPRIM_400000_NS6detail17trampoline_kernelINS0_14default_configENS1_25partition_config_selectorILNS1_17partition_subalgoE0EiNS0_10empty_typeEbEEZZNS1_14partition_implILS5_0ELb0ES3_jN6thrust23THRUST_200600_302600_NS6detail15normal_iteratorINSA_10device_ptrIiEEEEPS6_SG_NS0_5tupleIJNSA_16discard_iteratorINSA_11use_defaultEEESF_EEENSH_IJSG_SG_EEES6_PlJ7is_evenIiEEEE10hipError_tPvRmT3_T4_T5_T6_T7_T9_mT8_P12ihipStream_tbDpT10_ENKUlT_T0_E_clISt17integral_constantIbLb0EES18_IbLb1EEEEDaS14_S15_EUlS14_E_NS1_11comp_targetILNS1_3genE0ELNS1_11target_archE4294967295ELNS1_3gpuE0ELNS1_3repE0EEENS1_30default_config_static_selectorELNS0_4arch9wavefront6targetE1EEEvT1_,"axG",@progbits,_ZN7rocprim17ROCPRIM_400000_NS6detail17trampoline_kernelINS0_14default_configENS1_25partition_config_selectorILNS1_17partition_subalgoE0EiNS0_10empty_typeEbEEZZNS1_14partition_implILS5_0ELb0ES3_jN6thrust23THRUST_200600_302600_NS6detail15normal_iteratorINSA_10device_ptrIiEEEEPS6_SG_NS0_5tupleIJNSA_16discard_iteratorINSA_11use_defaultEEESF_EEENSH_IJSG_SG_EEES6_PlJ7is_evenIiEEEE10hipError_tPvRmT3_T4_T5_T6_T7_T9_mT8_P12ihipStream_tbDpT10_ENKUlT_T0_E_clISt17integral_constantIbLb0EES18_IbLb1EEEEDaS14_S15_EUlS14_E_NS1_11comp_targetILNS1_3genE0ELNS1_11target_archE4294967295ELNS1_3gpuE0ELNS1_3repE0EEENS1_30default_config_static_selectorELNS0_4arch9wavefront6targetE1EEEvT1_,comdat
.Lfunc_end2771:
	.size	_ZN7rocprim17ROCPRIM_400000_NS6detail17trampoline_kernelINS0_14default_configENS1_25partition_config_selectorILNS1_17partition_subalgoE0EiNS0_10empty_typeEbEEZZNS1_14partition_implILS5_0ELb0ES3_jN6thrust23THRUST_200600_302600_NS6detail15normal_iteratorINSA_10device_ptrIiEEEEPS6_SG_NS0_5tupleIJNSA_16discard_iteratorINSA_11use_defaultEEESF_EEENSH_IJSG_SG_EEES6_PlJ7is_evenIiEEEE10hipError_tPvRmT3_T4_T5_T6_T7_T9_mT8_P12ihipStream_tbDpT10_ENKUlT_T0_E_clISt17integral_constantIbLb0EES18_IbLb1EEEEDaS14_S15_EUlS14_E_NS1_11comp_targetILNS1_3genE0ELNS1_11target_archE4294967295ELNS1_3gpuE0ELNS1_3repE0EEENS1_30default_config_static_selectorELNS0_4arch9wavefront6targetE1EEEvT1_, .Lfunc_end2771-_ZN7rocprim17ROCPRIM_400000_NS6detail17trampoline_kernelINS0_14default_configENS1_25partition_config_selectorILNS1_17partition_subalgoE0EiNS0_10empty_typeEbEEZZNS1_14partition_implILS5_0ELb0ES3_jN6thrust23THRUST_200600_302600_NS6detail15normal_iteratorINSA_10device_ptrIiEEEEPS6_SG_NS0_5tupleIJNSA_16discard_iteratorINSA_11use_defaultEEESF_EEENSH_IJSG_SG_EEES6_PlJ7is_evenIiEEEE10hipError_tPvRmT3_T4_T5_T6_T7_T9_mT8_P12ihipStream_tbDpT10_ENKUlT_T0_E_clISt17integral_constantIbLb0EES18_IbLb1EEEEDaS14_S15_EUlS14_E_NS1_11comp_targetILNS1_3genE0ELNS1_11target_archE4294967295ELNS1_3gpuE0ELNS1_3repE0EEENS1_30default_config_static_selectorELNS0_4arch9wavefront6targetE1EEEvT1_
                                        ; -- End function
	.section	.AMDGPU.csdata,"",@progbits
; Kernel info:
; codeLenInByte = 0
; NumSgprs: 6
; NumVgprs: 0
; NumAgprs: 0
; TotalNumVgprs: 0
; ScratchSize: 0
; MemoryBound: 0
; FloatMode: 240
; IeeeMode: 1
; LDSByteSize: 0 bytes/workgroup (compile time only)
; SGPRBlocks: 0
; VGPRBlocks: 0
; NumSGPRsForWavesPerEU: 6
; NumVGPRsForWavesPerEU: 1
; AccumOffset: 4
; Occupancy: 8
; WaveLimiterHint : 0
; COMPUTE_PGM_RSRC2:SCRATCH_EN: 0
; COMPUTE_PGM_RSRC2:USER_SGPR: 2
; COMPUTE_PGM_RSRC2:TRAP_HANDLER: 0
; COMPUTE_PGM_RSRC2:TGID_X_EN: 1
; COMPUTE_PGM_RSRC2:TGID_Y_EN: 0
; COMPUTE_PGM_RSRC2:TGID_Z_EN: 0
; COMPUTE_PGM_RSRC2:TIDIG_COMP_CNT: 0
; COMPUTE_PGM_RSRC3_GFX90A:ACCUM_OFFSET: 0
; COMPUTE_PGM_RSRC3_GFX90A:TG_SPLIT: 0
	.section	.text._ZN7rocprim17ROCPRIM_400000_NS6detail17trampoline_kernelINS0_14default_configENS1_25partition_config_selectorILNS1_17partition_subalgoE0EiNS0_10empty_typeEbEEZZNS1_14partition_implILS5_0ELb0ES3_jN6thrust23THRUST_200600_302600_NS6detail15normal_iteratorINSA_10device_ptrIiEEEEPS6_SG_NS0_5tupleIJNSA_16discard_iteratorINSA_11use_defaultEEESF_EEENSH_IJSG_SG_EEES6_PlJ7is_evenIiEEEE10hipError_tPvRmT3_T4_T5_T6_T7_T9_mT8_P12ihipStream_tbDpT10_ENKUlT_T0_E_clISt17integral_constantIbLb0EES18_IbLb1EEEEDaS14_S15_EUlS14_E_NS1_11comp_targetILNS1_3genE5ELNS1_11target_archE942ELNS1_3gpuE9ELNS1_3repE0EEENS1_30default_config_static_selectorELNS0_4arch9wavefront6targetE1EEEvT1_,"axG",@progbits,_ZN7rocprim17ROCPRIM_400000_NS6detail17trampoline_kernelINS0_14default_configENS1_25partition_config_selectorILNS1_17partition_subalgoE0EiNS0_10empty_typeEbEEZZNS1_14partition_implILS5_0ELb0ES3_jN6thrust23THRUST_200600_302600_NS6detail15normal_iteratorINSA_10device_ptrIiEEEEPS6_SG_NS0_5tupleIJNSA_16discard_iteratorINSA_11use_defaultEEESF_EEENSH_IJSG_SG_EEES6_PlJ7is_evenIiEEEE10hipError_tPvRmT3_T4_T5_T6_T7_T9_mT8_P12ihipStream_tbDpT10_ENKUlT_T0_E_clISt17integral_constantIbLb0EES18_IbLb1EEEEDaS14_S15_EUlS14_E_NS1_11comp_targetILNS1_3genE5ELNS1_11target_archE942ELNS1_3gpuE9ELNS1_3repE0EEENS1_30default_config_static_selectorELNS0_4arch9wavefront6targetE1EEEvT1_,comdat
	.protected	_ZN7rocprim17ROCPRIM_400000_NS6detail17trampoline_kernelINS0_14default_configENS1_25partition_config_selectorILNS1_17partition_subalgoE0EiNS0_10empty_typeEbEEZZNS1_14partition_implILS5_0ELb0ES3_jN6thrust23THRUST_200600_302600_NS6detail15normal_iteratorINSA_10device_ptrIiEEEEPS6_SG_NS0_5tupleIJNSA_16discard_iteratorINSA_11use_defaultEEESF_EEENSH_IJSG_SG_EEES6_PlJ7is_evenIiEEEE10hipError_tPvRmT3_T4_T5_T6_T7_T9_mT8_P12ihipStream_tbDpT10_ENKUlT_T0_E_clISt17integral_constantIbLb0EES18_IbLb1EEEEDaS14_S15_EUlS14_E_NS1_11comp_targetILNS1_3genE5ELNS1_11target_archE942ELNS1_3gpuE9ELNS1_3repE0EEENS1_30default_config_static_selectorELNS0_4arch9wavefront6targetE1EEEvT1_ ; -- Begin function _ZN7rocprim17ROCPRIM_400000_NS6detail17trampoline_kernelINS0_14default_configENS1_25partition_config_selectorILNS1_17partition_subalgoE0EiNS0_10empty_typeEbEEZZNS1_14partition_implILS5_0ELb0ES3_jN6thrust23THRUST_200600_302600_NS6detail15normal_iteratorINSA_10device_ptrIiEEEEPS6_SG_NS0_5tupleIJNSA_16discard_iteratorINSA_11use_defaultEEESF_EEENSH_IJSG_SG_EEES6_PlJ7is_evenIiEEEE10hipError_tPvRmT3_T4_T5_T6_T7_T9_mT8_P12ihipStream_tbDpT10_ENKUlT_T0_E_clISt17integral_constantIbLb0EES18_IbLb1EEEEDaS14_S15_EUlS14_E_NS1_11comp_targetILNS1_3genE5ELNS1_11target_archE942ELNS1_3gpuE9ELNS1_3repE0EEENS1_30default_config_static_selectorELNS0_4arch9wavefront6targetE1EEEvT1_
	.globl	_ZN7rocprim17ROCPRIM_400000_NS6detail17trampoline_kernelINS0_14default_configENS1_25partition_config_selectorILNS1_17partition_subalgoE0EiNS0_10empty_typeEbEEZZNS1_14partition_implILS5_0ELb0ES3_jN6thrust23THRUST_200600_302600_NS6detail15normal_iteratorINSA_10device_ptrIiEEEEPS6_SG_NS0_5tupleIJNSA_16discard_iteratorINSA_11use_defaultEEESF_EEENSH_IJSG_SG_EEES6_PlJ7is_evenIiEEEE10hipError_tPvRmT3_T4_T5_T6_T7_T9_mT8_P12ihipStream_tbDpT10_ENKUlT_T0_E_clISt17integral_constantIbLb0EES18_IbLb1EEEEDaS14_S15_EUlS14_E_NS1_11comp_targetILNS1_3genE5ELNS1_11target_archE942ELNS1_3gpuE9ELNS1_3repE0EEENS1_30default_config_static_selectorELNS0_4arch9wavefront6targetE1EEEvT1_
	.p2align	8
	.type	_ZN7rocprim17ROCPRIM_400000_NS6detail17trampoline_kernelINS0_14default_configENS1_25partition_config_selectorILNS1_17partition_subalgoE0EiNS0_10empty_typeEbEEZZNS1_14partition_implILS5_0ELb0ES3_jN6thrust23THRUST_200600_302600_NS6detail15normal_iteratorINSA_10device_ptrIiEEEEPS6_SG_NS0_5tupleIJNSA_16discard_iteratorINSA_11use_defaultEEESF_EEENSH_IJSG_SG_EEES6_PlJ7is_evenIiEEEE10hipError_tPvRmT3_T4_T5_T6_T7_T9_mT8_P12ihipStream_tbDpT10_ENKUlT_T0_E_clISt17integral_constantIbLb0EES18_IbLb1EEEEDaS14_S15_EUlS14_E_NS1_11comp_targetILNS1_3genE5ELNS1_11target_archE942ELNS1_3gpuE9ELNS1_3repE0EEENS1_30default_config_static_selectorELNS0_4arch9wavefront6targetE1EEEvT1_,@function
_ZN7rocprim17ROCPRIM_400000_NS6detail17trampoline_kernelINS0_14default_configENS1_25partition_config_selectorILNS1_17partition_subalgoE0EiNS0_10empty_typeEbEEZZNS1_14partition_implILS5_0ELb0ES3_jN6thrust23THRUST_200600_302600_NS6detail15normal_iteratorINSA_10device_ptrIiEEEEPS6_SG_NS0_5tupleIJNSA_16discard_iteratorINSA_11use_defaultEEESF_EEENSH_IJSG_SG_EEES6_PlJ7is_evenIiEEEE10hipError_tPvRmT3_T4_T5_T6_T7_T9_mT8_P12ihipStream_tbDpT10_ENKUlT_T0_E_clISt17integral_constantIbLb0EES18_IbLb1EEEEDaS14_S15_EUlS14_E_NS1_11comp_targetILNS1_3genE5ELNS1_11target_archE942ELNS1_3gpuE9ELNS1_3repE0EEENS1_30default_config_static_selectorELNS0_4arch9wavefront6targetE1EEEvT1_: ; @_ZN7rocprim17ROCPRIM_400000_NS6detail17trampoline_kernelINS0_14default_configENS1_25partition_config_selectorILNS1_17partition_subalgoE0EiNS0_10empty_typeEbEEZZNS1_14partition_implILS5_0ELb0ES3_jN6thrust23THRUST_200600_302600_NS6detail15normal_iteratorINSA_10device_ptrIiEEEEPS6_SG_NS0_5tupleIJNSA_16discard_iteratorINSA_11use_defaultEEESF_EEENSH_IJSG_SG_EEES6_PlJ7is_evenIiEEEE10hipError_tPvRmT3_T4_T5_T6_T7_T9_mT8_P12ihipStream_tbDpT10_ENKUlT_T0_E_clISt17integral_constantIbLb0EES18_IbLb1EEEEDaS14_S15_EUlS14_E_NS1_11comp_targetILNS1_3genE5ELNS1_11target_archE942ELNS1_3gpuE9ELNS1_3repE0EEENS1_30default_config_static_selectorELNS0_4arch9wavefront6targetE1EEEvT1_
; %bb.0:
	s_load_dwordx2 s[2:3], s[0:1], 0x60
	s_load_dwordx4 s[24:27], s[0:1], 0x50
	s_load_dwordx2 s[36:37], s[0:1], 0x70
	v_cmp_eq_u32_e64 s[20:21], 0, v0
	s_and_saveexec_b64 s[4:5], s[20:21]
	s_cbranch_execz .LBB2772_4
; %bb.1:
	s_mov_b64 s[8:9], exec
	v_mbcnt_lo_u32_b32 v1, s8, 0
	v_mbcnt_hi_u32_b32 v1, s9, v1
	v_cmp_eq_u32_e32 vcc, 0, v1
                                        ; implicit-def: $vgpr2
	s_and_saveexec_b64 s[6:7], vcc
	s_cbranch_execz .LBB2772_3
; %bb.2:
	s_load_dwordx2 s[10:11], s[0:1], 0x80
	s_bcnt1_i32_b64 s8, s[8:9]
	v_mov_b32_e32 v2, 0
	v_mov_b32_e32 v3, s8
	s_waitcnt lgkmcnt(0)
	global_atomic_add v2, v2, v3, s[10:11] sc0
.LBB2772_3:
	s_or_b64 exec, exec, s[6:7]
	s_waitcnt vmcnt(0)
	v_readfirstlane_b32 s6, v2
	v_mov_b32_e32 v2, 0
	s_nop 0
	v_add_u32_e32 v1, s6, v1
	ds_write_b32 v2, v1
.LBB2772_4:
	s_or_b64 exec, exec, s[4:5]
	v_mov_b32_e32 v19, 0
	s_load_dwordx4 s[28:31], s[0:1], 0x8
	s_load_dwordx2 s[34:35], s[0:1], 0x38
	s_load_dword s4, s[0:1], 0x78
	s_waitcnt lgkmcnt(0)
	s_barrier
	ds_read_b32 v1, v19
	s_waitcnt lgkmcnt(0)
	s_barrier
	global_load_dwordx2 v[20:21], v19, s[26:27]
	v_mov_b32_e32 v3, s3
	s_lshl_b64 s[0:1], s[30:31], 2
	s_movk_i32 s3, 0x1e00
	s_add_u32 s0, s28, s0
	v_mul_lo_u32 v18, v1, s3
	s_mul_i32 s3, s4, 0x1e00
	s_addc_u32 s1, s29, s1
	s_add_i32 s5, s4, -1
	s_add_i32 s4, s3, s30
	s_sub_i32 s33, s2, s4
	s_addk_i32 s33, 0x1e00
	v_mov_b32_e32 v2, s2
	s_add_u32 s2, s30, s3
	v_readfirstlane_b32 s38, v1
	s_addc_u32 s3, s31, 0
	s_cmp_eq_u32 s38, s5
	s_cselect_b64 s[22:23], -1, 0
	s_cmp_lg_u32 s38, s5
	v_cmp_lt_u64_e32 vcc, s[2:3], v[2:3]
	s_cselect_b64 s[2:3], -1, 0
	s_or_b64 s[4:5], vcc, s[2:3]
	v_lshlrev_b64 v[22:23], 2, v[18:19]
	v_lshl_add_u64 v[24:25], s[0:1], 0, v[22:23]
	s_mov_b64 s[0:1], -1
	s_and_b64 vcc, exec, s[4:5]
	v_lshlrev_b32_e32 v18, 2, v0
	s_cbranch_vccz .LBB2772_6
; %bb.5:
	v_lshl_add_u64 v[2:3], v[24:25], 0, v[18:19]
	v_add_co_u32_e32 v4, vcc, 0x1000, v2
	s_mov_b64 s[0:1], 0
	s_nop 0
	v_addc_co_u32_e32 v5, vcc, 0, v3, vcc
	v_add_co_u32_e32 v6, vcc, 0x2000, v2
	s_nop 1
	v_addc_co_u32_e32 v7, vcc, 0, v3, vcc
	v_add_co_u32_e32 v8, vcc, 0x3000, v2
	s_nop 1
	v_addc_co_u32_e32 v9, vcc, 0, v3, vcc
	flat_load_dword v1, v[2:3]
	flat_load_dword v10, v[2:3] offset:2048
	flat_load_dword v11, v[4:5]
	flat_load_dword v12, v[4:5] offset:2048
	;; [unrolled: 2-line block ×4, first 2 shown]
	v_add_co_u32_e32 v4, vcc, 0x4000, v2
	s_nop 1
	v_addc_co_u32_e32 v5, vcc, 0, v3, vcc
	v_add_co_u32_e32 v6, vcc, 0x5000, v2
	s_nop 1
	v_addc_co_u32_e32 v7, vcc, 0, v3, vcc
	;; [unrolled: 3-line block ×4, first 2 shown]
	flat_load_dword v17, v[4:5]
	flat_load_dword v19, v[4:5] offset:2048
	flat_load_dword v26, v[6:7]
	flat_load_dword v27, v[6:7] offset:2048
	;; [unrolled: 2-line block ×3, first 2 shown]
	flat_load_dword v30, v[2:3]
	s_waitcnt vmcnt(0) lgkmcnt(0)
	ds_write2st64_b32 v18, v1, v10 offset1:8
	ds_write2st64_b32 v18, v11, v12 offset0:16 offset1:24
	ds_write2st64_b32 v18, v13, v14 offset0:32 offset1:40
	;; [unrolled: 1-line block ×6, first 2 shown]
	ds_write_b32 v18, v30 offset:28672
	s_waitcnt lgkmcnt(0)
	s_barrier
.LBB2772_6:
	s_andn2_b64 vcc, exec, s[0:1]
	v_cmp_gt_u32_e64 s[0:1], s33, v0
	s_cbranch_vccnz .LBB2772_38
; %bb.7:
                                        ; implicit-def: $vgpr2_vgpr3_vgpr4_vgpr5_vgpr6_vgpr7_vgpr8_vgpr9_vgpr10_vgpr11_vgpr12_vgpr13_vgpr14_vgpr15_vgpr16_vgpr17
	s_and_saveexec_b64 s[2:3], s[0:1]
	s_cbranch_execz .LBB2772_9
; %bb.8:
	v_mov_b32_e32 v19, 0
	v_lshl_add_u64 v[2:3], v[24:25], 0, v[18:19]
	flat_load_dword v2, v[2:3]
.LBB2772_9:
	s_or_b64 exec, exec, s[2:3]
	v_or_b32_e32 v1, 0x200, v0
	v_cmp_gt_u32_e32 vcc, s33, v1
	s_and_saveexec_b64 s[0:1], vcc
	s_cbranch_execz .LBB2772_11
; %bb.10:
	v_mov_b32_e32 v19, 0
	v_lshl_add_u64 v[26:27], v[24:25], 0, v[18:19]
	flat_load_dword v3, v[26:27] offset:2048
.LBB2772_11:
	s_or_b64 exec, exec, s[0:1]
	v_or_b32_e32 v1, 0x400, v0
	v_cmp_gt_u32_e32 vcc, s33, v1
	s_and_saveexec_b64 s[0:1], vcc
	s_cbranch_execz .LBB2772_13
; %bb.12:
	v_lshlrev_b32_e32 v26, 2, v1
	v_mov_b32_e32 v27, 0
	v_lshl_add_u64 v[26:27], v[24:25], 0, v[26:27]
	flat_load_dword v4, v[26:27]
.LBB2772_13:
	s_or_b64 exec, exec, s[0:1]
	v_or_b32_e32 v1, 0x600, v0
	v_cmp_gt_u32_e32 vcc, s33, v1
	s_and_saveexec_b64 s[0:1], vcc
	s_cbranch_execz .LBB2772_15
; %bb.14:
	v_lshlrev_b32_e32 v26, 2, v1
	v_mov_b32_e32 v27, 0
	v_lshl_add_u64 v[26:27], v[24:25], 0, v[26:27]
	flat_load_dword v5, v[26:27]
.LBB2772_15:
	;; [unrolled: 11-line block ×13, first 2 shown]
	s_or_b64 exec, exec, s[0:1]
	s_waitcnt vmcnt(0) lgkmcnt(0)
	ds_write2st64_b32 v18, v2, v3 offset1:8
	ds_write2st64_b32 v18, v4, v5 offset0:16 offset1:24
	ds_write2st64_b32 v18, v6, v7 offset0:32 offset1:40
	;; [unrolled: 1-line block ×6, first 2 shown]
	ds_write_b32 v18, v16 offset:28672
	s_waitcnt lgkmcnt(0)
	s_barrier
.LBB2772_38:
	v_mul_u32_u24_e32 v42, 15, v0
	v_lshlrev_b32_e32 v1, 2, v42
	ds_read2_b32 v[36:37], v1 offset1:1
	ds_read2_b32 v[34:35], v1 offset0:2 offset1:3
	ds_read2_b32 v[32:33], v1 offset0:4 offset1:5
	;; [unrolled: 1-line block ×6, first 2 shown]
	ds_read_b32 v1, v1 offset:56
	v_cndmask_b32_e64 v2, 0, 1, s[4:5]
	v_cmp_ne_u32_e64 s[2:3], 1, v2
	s_andn2_b64 vcc, exec, s[4:5]
	s_waitcnt lgkmcnt(7)
	v_xor_b32_e32 v16, -1, v36
	v_xor_b32_e32 v15, -1, v37
	s_waitcnt lgkmcnt(6)
	v_xor_b32_e32 v14, -1, v34
	v_xor_b32_e32 v13, -1, v35
	;; [unrolled: 3-line block ×7, first 2 shown]
	s_waitcnt lgkmcnt(0)
	v_xor_b32_e32 v2, -1, v1
	s_barrier
	s_cbranch_vccnz .LBB2772_40
; %bb.39:
	v_and_b32_e32 v55, 1, v16
	v_and_b32_e32 v54, 1, v15
	v_and_b32_e32 v53, 1, v14
	v_and_b32_e32 v52, 1, v13
	v_and_b32_e32 v51, 1, v12
	v_and_b32_e32 v50, 1, v11
	v_and_b32_e32 v49, 1, v10
	v_and_b32_e32 v48, 1, v9
	v_and_b32_e32 v47, 1, v8
	v_and_b32_e32 v46, 1, v7
	v_and_b32_e32 v45, 1, v6
	v_and_b32_e32 v44, 1, v5
	v_and_b32_e32 v43, 1, v4
	v_and_b32_e32 v41, 1, v3
	v_and_b32_e32 v19, 1, v2
	s_cbranch_execz .LBB2772_41
	s_branch .LBB2772_42
.LBB2772_40:
                                        ; implicit-def: $vgpr19
                                        ; implicit-def: $vgpr41
                                        ; implicit-def: $vgpr43
                                        ; implicit-def: $vgpr44
                                        ; implicit-def: $vgpr45
                                        ; implicit-def: $vgpr46
                                        ; implicit-def: $vgpr47
                                        ; implicit-def: $vgpr48
                                        ; implicit-def: $vgpr49
                                        ; implicit-def: $vgpr55
                                        ; implicit-def: $vgpr54
                                        ; implicit-def: $vgpr53
                                        ; implicit-def: $vgpr52
                                        ; implicit-def: $vgpr51
                                        ; implicit-def: $vgpr50
.LBB2772_41:
	v_add_u32_e32 v48, 1, v42
	v_cmp_gt_u32_e32 vcc, s33, v42
	v_add_u32_e32 v17, 2, v42
	v_add_u32_e32 v47, 3, v42
	v_cndmask_b32_e64 v49, 0, 1, vcc
	v_cmp_gt_u32_e32 vcc, s33, v48
	v_and_b32_e32 v55, v49, v16
	v_add_u32_e32 v19, 4, v42
	v_cndmask_b32_e64 v16, 0, 1, vcc
	v_cmp_gt_u32_e32 vcc, s33, v17
	v_and_b32_e32 v54, v16, v15
	v_add_u32_e32 v46, 5, v42
	v_cndmask_b32_e64 v15, 0, 1, vcc
	v_cmp_gt_u32_e32 vcc, s33, v47
	v_and_b32_e32 v53, v15, v14
	v_add_u32_e32 v38, 6, v42
	v_cndmask_b32_e64 v14, 0, 1, vcc
	v_cmp_gt_u32_e32 vcc, s33, v19
	v_and_b32_e32 v52, v14, v13
	v_add_u32_e32 v45, 7, v42
	v_cndmask_b32_e64 v13, 0, 1, vcc
	v_cmp_gt_u32_e32 vcc, s33, v46
	v_and_b32_e32 v51, v13, v12
	v_add_u32_e32 v39, 8, v42
	v_cndmask_b32_e64 v12, 0, 1, vcc
	v_cmp_gt_u32_e32 vcc, s33, v38
	v_and_b32_e32 v50, v12, v11
	v_add_u32_e32 v44, 9, v42
	v_cndmask_b32_e64 v11, 0, 1, vcc
	v_cmp_gt_u32_e32 vcc, s33, v45
	v_and_b32_e32 v49, v11, v10
	v_add_u32_e32 v40, 10, v42
	v_cndmask_b32_e64 v10, 0, 1, vcc
	v_cmp_gt_u32_e32 vcc, s33, v39
	v_and_b32_e32 v48, v10, v9
	v_add_u32_e32 v43, 11, v42
	v_cndmask_b32_e64 v9, 0, 1, vcc
	v_cmp_gt_u32_e32 vcc, s33, v44
	v_and_b32_e32 v47, v9, v8
	v_add_u32_e32 v41, 12, v42
	v_cndmask_b32_e64 v8, 0, 1, vcc
	v_cmp_gt_u32_e32 vcc, s33, v40
	v_and_b32_e32 v46, v8, v7
	v_add_u32_e32 v57, 13, v42
	v_cndmask_b32_e64 v7, 0, 1, vcc
	v_cmp_gt_u32_e32 vcc, s33, v43
	v_and_b32_e32 v45, v7, v6
	v_add_u32_e32 v56, 14, v42
	v_cndmask_b32_e64 v6, 0, 1, vcc
	v_cmp_gt_u32_e32 vcc, s33, v41
	v_and_b32_e32 v44, v6, v5
	s_nop 0
	v_cndmask_b32_e64 v5, 0, 1, vcc
	v_cmp_gt_u32_e32 vcc, s33, v57
	v_and_b32_e32 v43, v5, v4
	s_nop 0
	v_cndmask_b32_e64 v4, 0, 1, vcc
	v_cmp_gt_u32_e32 vcc, s33, v56
	v_and_b32_e32 v41, v4, v3
	s_nop 0
	v_cndmask_b32_e64 v3, 0, 1, vcc
	v_and_b32_e32 v19, v3, v2
.LBB2772_42:
	v_and_b32_e32 v59, 0xff, v52
	v_and_b32_e32 v60, 0xff, v51
	;; [unrolled: 1-line block ×5, first 2 shown]
	v_add3_u32 v3, v60, v61, v59
	v_and_b32_e32 v56, 0xff, v55
	v_and_b32_e32 v62, 0xff, v49
	v_add3_u32 v3, v3, v58, v57
	v_and_b32_e32 v63, 0xff, v48
	v_and_b32_e32 v64, 0xff, v47
	;; [unrolled: 3-line block ×5, first 2 shown]
	v_add3_u32 v3, v3, v67, v68
	v_add3_u32 v72, v3, v69, v2
	v_mbcnt_lo_u32_b32 v2, -1, 0
	v_mbcnt_hi_u32_b32 v70, -1, v2
	v_and_b32_e32 v2, 15, v70
	v_cmp_eq_u32_e64 s[16:17], 0, v2
	v_cmp_lt_u32_e64 s[14:15], 1, v2
	v_cmp_lt_u32_e64 s[12:13], 3, v2
	;; [unrolled: 1-line block ×3, first 2 shown]
	v_and_b32_e32 v2, 16, v70
	v_cmp_eq_u32_e64 s[8:9], 0, v2
	v_or_b32_e32 v2, 63, v0
	s_cmp_lg_u32 s38, 0
	v_cmp_lt_u32_e64 s[4:5], 31, v70
	v_lshrrev_b32_e32 v71, 6, v0
	v_cmp_eq_u32_e64 s[6:7], v2, v0
	s_cbranch_scc0 .LBB2772_69
; %bb.43:
	v_mov_b32_dpp v2, v72 row_shr:1 row_mask:0xf bank_mask:0xf
	v_cndmask_b32_e64 v2, v2, 0, s[16:17]
	v_add_u32_e32 v2, v2, v72
	s_nop 1
	v_mov_b32_dpp v3, v2 row_shr:2 row_mask:0xf bank_mask:0xf
	v_cndmask_b32_e64 v3, 0, v3, s[14:15]
	v_add_u32_e32 v2, v2, v3
	s_nop 1
	;; [unrolled: 4-line block ×4, first 2 shown]
	v_mov_b32_dpp v3, v2 row_bcast:15 row_mask:0xf bank_mask:0xf
	v_cndmask_b32_e64 v3, v3, 0, s[8:9]
	v_add_u32_e32 v2, v2, v3
	s_nop 1
	v_mov_b32_dpp v3, v2 row_bcast:31 row_mask:0xf bank_mask:0xf
	v_cndmask_b32_e64 v3, 0, v3, s[4:5]
	v_add_u32_e32 v2, v2, v3
	s_and_saveexec_b64 s[0:1], s[6:7]
	s_cbranch_execz .LBB2772_45
; %bb.44:
	v_lshlrev_b32_e32 v3, 2, v71
	ds_write_b32 v3, v2
.LBB2772_45:
	s_or_b64 exec, exec, s[0:1]
	v_cmp_gt_u32_e32 vcc, 8, v0
	s_waitcnt lgkmcnt(0)
	s_barrier
	s_and_saveexec_b64 s[0:1], vcc
	s_cbranch_execz .LBB2772_47
; %bb.46:
	ds_read_b32 v3, v18
	v_and_b32_e32 v4, 7, v70
	v_cmp_ne_u32_e32 vcc, 0, v4
	s_waitcnt lgkmcnt(0)
	v_mov_b32_dpp v5, v3 row_shr:1 row_mask:0xf bank_mask:0xf
	v_cndmask_b32_e32 v5, 0, v5, vcc
	v_add_u32_e32 v3, v5, v3
	v_cmp_lt_u32_e32 vcc, 1, v4
	s_nop 0
	v_mov_b32_dpp v5, v3 row_shr:2 row_mask:0xf bank_mask:0xf
	v_cndmask_b32_e32 v5, 0, v5, vcc
	v_add_u32_e32 v3, v3, v5
	v_cmp_lt_u32_e32 vcc, 3, v4
	s_nop 0
	v_mov_b32_dpp v5, v3 row_shr:4 row_mask:0xf bank_mask:0xf
	v_cndmask_b32_e32 v4, 0, v5, vcc
	v_add_u32_e32 v3, v3, v4
	ds_write_b32 v18, v3
.LBB2772_47:
	s_or_b64 exec, exec, s[0:1]
	v_cmp_gt_u32_e32 vcc, 64, v0
	v_cmp_lt_u32_e64 s[0:1], 63, v0
	s_waitcnt lgkmcnt(0)
	s_barrier
	s_waitcnt lgkmcnt(0)
                                        ; implicit-def: $vgpr12
	s_and_saveexec_b64 s[18:19], s[0:1]
	s_cbranch_execz .LBB2772_49
; %bb.48:
	v_lshl_add_u32 v3, v71, 2, -4
	ds_read_b32 v12, v3
	s_waitcnt lgkmcnt(0)
	v_add_u32_e32 v2, v12, v2
.LBB2772_49:
	s_or_b64 exec, exec, s[18:19]
	v_add_u32_e32 v3, -1, v70
	v_and_b32_e32 v4, 64, v70
	v_cmp_lt_i32_e64 s[0:1], v3, v4
	v_cmp_eq_u32_e64 s[18:19], 0, v70
	s_nop 0
	v_cndmask_b32_e64 v3, v3, v70, s[0:1]
	v_lshlrev_b32_e32 v3, 2, v3
	ds_bpermute_b32 v13, v3, v2
	s_and_saveexec_b64 s[0:1], vcc
	s_cbranch_execz .LBB2772_68
; %bb.50:
	v_mov_b32_e32 v9, 0
	ds_read_b32 v2, v9 offset:28
	s_and_saveexec_b64 s[26:27], s[18:19]
	s_cbranch_execz .LBB2772_52
; %bb.51:
	s_add_i32 s28, s38, 64
	s_mov_b32 s29, 0
	s_lshl_b64 s[28:29], s[28:29], 3
	s_add_u32 s28, s36, s28
	v_mov_b32_e32 v3, 1
	s_addc_u32 s29, s37, s29
	s_waitcnt lgkmcnt(0)
	global_store_dwordx2 v9, v[2:3], s[28:29] sc1
.LBB2772_52:
	s_or_b64 exec, exec, s[26:27]
	v_xad_u32 v4, v70, -1, s38
	v_add_u32_e32 v8, 64, v4
	v_lshl_add_u64 v[10:11], v[8:9], 3, s[36:37]
	global_load_dwordx2 v[6:7], v[10:11], off sc1
	s_waitcnt vmcnt(0)
	v_cmp_eq_u16_sdwa s[28:29], v7, v9 src0_sel:BYTE_0 src1_sel:DWORD
	s_and_saveexec_b64 s[26:27], s[28:29]
	s_cbranch_execz .LBB2772_56
; %bb.53:
	s_mov_b64 s[28:29], 0
	v_mov_b32_e32 v3, 0
.LBB2772_54:                            ; =>This Inner Loop Header: Depth=1
	global_load_dwordx2 v[6:7], v[10:11], off sc1
	s_waitcnt vmcnt(0)
	v_cmp_ne_u16_sdwa s[40:41], v7, v3 src0_sel:BYTE_0 src1_sel:DWORD
	s_or_b64 s[28:29], s[40:41], s[28:29]
	s_andn2_b64 exec, exec, s[28:29]
	s_cbranch_execnz .LBB2772_54
; %bb.55:
	s_or_b64 exec, exec, s[28:29]
.LBB2772_56:
	s_or_b64 exec, exec, s[26:27]
	v_and_b32_e32 v15, 63, v70
	v_mov_b32_e32 v14, 2
	v_cmp_ne_u32_e32 vcc, 63, v15
	v_cmp_eq_u16_sdwa s[26:27], v7, v14 src0_sel:BYTE_0 src1_sel:DWORD
	v_lshlrev_b64 v[8:9], v70, -1
	v_addc_co_u32_e32 v10, vcc, 0, v70, vcc
	v_and_b32_e32 v3, s27, v9
	v_lshlrev_b32_e32 v16, 2, v10
	v_or_b32_e32 v3, 0x80000000, v3
	ds_bpermute_b32 v10, v16, v6
	v_and_b32_e32 v5, s26, v8
	v_ffbl_b32_e32 v3, v3
	v_add_u32_e32 v3, 32, v3
	v_ffbl_b32_e32 v5, v5
	v_min_u32_e32 v3, v5, v3
	v_cmp_lt_u32_e32 vcc, v15, v3
	v_add_u32_e32 v38, 2, v15
	v_add_u32_e32 v40, 4, v15
	s_waitcnt lgkmcnt(0)
	v_cndmask_b32_e32 v5, 0, v10, vcc
	v_cmp_gt_u32_e32 vcc, 62, v15
	v_add_u32_e32 v5, v5, v6
	v_add_u32_e32 v74, 8, v15
	v_cndmask_b32_e64 v6, 0, 1, vcc
	v_lshlrev_b32_e32 v6, 1, v6
	v_add_lshl_u32 v17, v6, v70, 2
	ds_bpermute_b32 v6, v17, v5
	v_cmp_le_u32_e32 vcc, v38, v3
	v_add_u32_e32 v76, 16, v15
	v_add_u32_e32 v78, 32, v15
	s_waitcnt lgkmcnt(0)
	v_cndmask_b32_e32 v6, 0, v6, vcc
	v_cmp_gt_u32_e32 vcc, 60, v15
	v_add_u32_e32 v5, v5, v6
	s_nop 0
	v_cndmask_b32_e64 v6, 0, 1, vcc
	v_lshlrev_b32_e32 v6, 2, v6
	v_add_lshl_u32 v39, v6, v70, 2
	ds_bpermute_b32 v6, v39, v5
	v_cmp_le_u32_e32 vcc, v40, v3
	s_waitcnt lgkmcnt(0)
	s_nop 0
	v_cndmask_b32_e32 v6, 0, v6, vcc
	v_cmp_gt_u32_e32 vcc, 56, v15
	v_add_u32_e32 v5, v5, v6
	s_nop 0
	v_cndmask_b32_e64 v6, 0, 1, vcc
	v_lshlrev_b32_e32 v6, 3, v6
	v_add_lshl_u32 v73, v6, v70, 2
	ds_bpermute_b32 v6, v73, v5
	v_cmp_le_u32_e32 vcc, v74, v3
	s_waitcnt lgkmcnt(0)
	s_nop 0
	;; [unrolled: 11-line block ×4, first 2 shown]
	v_cndmask_b32_e32 v3, 0, v6, vcc
	v_add_u32_e32 v6, v5, v3
	v_mov_b32_e32 v5, 0
	s_branch .LBB2772_58
.LBB2772_57:                            ;   in Loop: Header=BB2772_58 Depth=1
	s_or_b64 exec, exec, s[26:27]
	v_cmp_eq_u16_sdwa s[26:27], v7, v14 src0_sel:BYTE_0 src1_sel:DWORD
	ds_bpermute_b32 v79, v16, v6
	v_subrev_u32_e32 v4, 64, v4
	v_and_b32_e32 v10, s27, v9
	v_or_b32_e32 v10, 0x80000000, v10
	v_and_b32_e32 v11, s26, v8
	v_ffbl_b32_e32 v10, v10
	v_add_u32_e32 v10, 32, v10
	v_ffbl_b32_e32 v11, v11
	v_min_u32_e32 v10, v11, v10
	v_cmp_lt_u32_e32 vcc, v15, v10
	s_waitcnt lgkmcnt(0)
	s_nop 0
	v_cndmask_b32_e32 v11, 0, v79, vcc
	v_add_u32_e32 v6, v11, v6
	ds_bpermute_b32 v11, v17, v6
	v_cmp_le_u32_e32 vcc, v38, v10
	s_waitcnt lgkmcnt(0)
	s_nop 0
	v_cndmask_b32_e32 v11, 0, v11, vcc
	v_add_u32_e32 v6, v6, v11
	ds_bpermute_b32 v11, v39, v6
	v_cmp_le_u32_e32 vcc, v40, v10
	s_waitcnt lgkmcnt(0)
	s_nop 0
	v_cndmask_b32_e32 v11, 0, v11, vcc
	v_add_u32_e32 v6, v6, v11
	ds_bpermute_b32 v11, v73, v6
	v_cmp_le_u32_e32 vcc, v74, v10
	s_waitcnt lgkmcnt(0)
	s_nop 0
	v_cndmask_b32_e32 v11, 0, v11, vcc
	v_add_u32_e32 v6, v6, v11
	ds_bpermute_b32 v11, v75, v6
	v_cmp_le_u32_e32 vcc, v76, v10
	s_waitcnt lgkmcnt(0)
	s_nop 0
	v_cndmask_b32_e32 v11, 0, v11, vcc
	v_add_u32_e32 v6, v6, v11
	ds_bpermute_b32 v11, v77, v6
	v_cmp_le_u32_e32 vcc, v78, v10
	s_waitcnt lgkmcnt(0)
	s_nop 0
	v_cndmask_b32_e32 v10, 0, v11, vcc
	v_add3_u32 v6, v10, v3, v6
.LBB2772_58:                            ; =>This Loop Header: Depth=1
                                        ;     Child Loop BB2772_61 Depth 2
	v_cmp_ne_u16_sdwa s[26:27], v7, v14 src0_sel:BYTE_0 src1_sel:DWORD
	s_nop 1
	v_cndmask_b32_e64 v3, 0, 1, s[26:27]
	;;#ASMSTART
	;;#ASMEND
	s_nop 0
	v_cmp_ne_u32_e32 vcc, 0, v3
	s_cmp_lg_u64 vcc, exec
	v_mov_b32_e32 v3, v6
	s_cbranch_scc1 .LBB2772_63
; %bb.59:                               ;   in Loop: Header=BB2772_58 Depth=1
	v_lshl_add_u64 v[10:11], v[4:5], 3, s[36:37]
	global_load_dwordx2 v[6:7], v[10:11], off sc1
	s_waitcnt vmcnt(0)
	v_cmp_eq_u16_sdwa s[28:29], v7, v5 src0_sel:BYTE_0 src1_sel:DWORD
	s_and_saveexec_b64 s[26:27], s[28:29]
	s_cbranch_execz .LBB2772_57
; %bb.60:                               ;   in Loop: Header=BB2772_58 Depth=1
	s_mov_b64 s[28:29], 0
.LBB2772_61:                            ;   Parent Loop BB2772_58 Depth=1
                                        ; =>  This Inner Loop Header: Depth=2
	global_load_dwordx2 v[6:7], v[10:11], off sc1
	s_waitcnt vmcnt(0)
	v_cmp_ne_u16_sdwa s[40:41], v7, v5 src0_sel:BYTE_0 src1_sel:DWORD
	s_or_b64 s[28:29], s[40:41], s[28:29]
	s_andn2_b64 exec, exec, s[28:29]
	s_cbranch_execnz .LBB2772_61
; %bb.62:                               ;   in Loop: Header=BB2772_58 Depth=1
	s_or_b64 exec, exec, s[28:29]
	s_branch .LBB2772_57
.LBB2772_63:                            ;   in Loop: Header=BB2772_58 Depth=1
                                        ; implicit-def: $vgpr6
                                        ; implicit-def: $vgpr7
	s_cbranch_execz .LBB2772_58
; %bb.64:
	s_and_saveexec_b64 s[26:27], s[18:19]
	s_cbranch_execz .LBB2772_66
; %bb.65:
	s_add_i32 s28, s38, 64
	s_mov_b32 s29, 0
	s_lshl_b64 s[28:29], s[28:29], 3
	s_add_u32 s28, s36, s28
	v_add_u32_e32 v4, v3, v2
	v_mov_b32_e32 v5, 2
	s_addc_u32 s29, s37, s29
	v_mov_b32_e32 v6, 0
	global_store_dwordx2 v6, v[4:5], s[28:29] sc1
	ds_write_b64 v6, v[2:3] offset:30720
.LBB2772_66:
	s_or_b64 exec, exec, s[26:27]
	s_and_b64 exec, exec, s[20:21]
	s_cbranch_execz .LBB2772_68
; %bb.67:
	v_mov_b32_e32 v2, 0
	ds_write_b32 v2, v3 offset:28
.LBB2772_68:
	s_or_b64 exec, exec, s[0:1]
	v_mov_b32_e32 v14, 0
	s_waitcnt lgkmcnt(0)
	s_barrier
	ds_read_b32 v2, v14 offset:28
	v_cndmask_b32_e64 v3, v13, v12, s[18:19]
	v_cndmask_b32_e64 v3, v3, 0, s[20:21]
	s_waitcnt lgkmcnt(0)
	s_barrier
	v_add_u32_e32 v2, v2, v3
	v_add_u32_e32 v3, v2, v56
	;; [unrolled: 1-line block ×10, first 2 shown]
	ds_read_b64 v[38:39], v14 offset:30720
	v_add_u32_e32 v12, v11, v65
	v_add_u32_e32 v13, v12, v66
	;; [unrolled: 1-line block ×5, first 2 shown]
	s_waitcnt lgkmcnt(0)
	v_mov_b32_e32 v40, v39
	s_branch .LBB2772_79
.LBB2772_69:
                                        ; implicit-def: $vgpr40
                                        ; implicit-def: $vgpr38
                                        ; implicit-def: $vgpr2_vgpr3_vgpr4_vgpr5_vgpr6_vgpr7_vgpr8_vgpr9_vgpr10_vgpr11_vgpr12_vgpr13_vgpr14_vgpr15_vgpr16_vgpr17
	s_cbranch_execz .LBB2772_79
; %bb.70:
	s_nop 0
	v_mov_b32_dpp v2, v72 row_shr:1 row_mask:0xf bank_mask:0xf
	v_cndmask_b32_e64 v2, v2, 0, s[16:17]
	v_add_u32_e32 v2, v2, v72
	s_nop 1
	v_mov_b32_dpp v3, v2 row_shr:2 row_mask:0xf bank_mask:0xf
	v_cndmask_b32_e64 v3, 0, v3, s[14:15]
	v_add_u32_e32 v2, v2, v3
	;; [unrolled: 4-line block ×4, first 2 shown]
	s_nop 1
	v_mov_b32_dpp v3, v2 row_bcast:15 row_mask:0xf bank_mask:0xf
	v_cndmask_b32_e64 v3, v3, 0, s[8:9]
	v_add_u32_e32 v2, v2, v3
	s_nop 1
	v_mov_b32_dpp v3, v2 row_bcast:31 row_mask:0xf bank_mask:0xf
	v_cndmask_b32_e64 v3, 0, v3, s[4:5]
	v_add_u32_e32 v2, v2, v3
	s_and_saveexec_b64 s[0:1], s[6:7]
	s_cbranch_execz .LBB2772_72
; %bb.71:
	v_lshlrev_b32_e32 v3, 2, v71
	ds_write_b32 v3, v2
.LBB2772_72:
	s_or_b64 exec, exec, s[0:1]
	v_cmp_gt_u32_e32 vcc, 8, v0
	s_waitcnt lgkmcnt(0)
	s_barrier
	s_and_saveexec_b64 s[0:1], vcc
	s_cbranch_execz .LBB2772_74
; %bb.73:
	ds_read_b32 v3, v18
	v_and_b32_e32 v4, 7, v70
	v_cmp_ne_u32_e32 vcc, 0, v4
	s_waitcnt lgkmcnt(0)
	v_mov_b32_dpp v5, v3 row_shr:1 row_mask:0xf bank_mask:0xf
	v_cndmask_b32_e32 v5, 0, v5, vcc
	v_add_u32_e32 v3, v5, v3
	v_cmp_lt_u32_e32 vcc, 1, v4
	s_nop 0
	v_mov_b32_dpp v5, v3 row_shr:2 row_mask:0xf bank_mask:0xf
	v_cndmask_b32_e32 v5, 0, v5, vcc
	v_add_u32_e32 v3, v3, v5
	v_cmp_lt_u32_e32 vcc, 3, v4
	s_nop 0
	v_mov_b32_dpp v5, v3 row_shr:4 row_mask:0xf bank_mask:0xf
	v_cndmask_b32_e32 v4, 0, v5, vcc
	v_add_u32_e32 v3, v3, v4
	ds_write_b32 v18, v3
.LBB2772_74:
	s_or_b64 exec, exec, s[0:1]
	v_cmp_lt_u32_e32 vcc, 63, v0
	v_mov_b32_e32 v4, 0
	v_mov_b32_e32 v3, 0
	s_waitcnt lgkmcnt(0)
	s_barrier
	s_and_saveexec_b64 s[0:1], vcc
	s_cbranch_execz .LBB2772_76
; %bb.75:
	v_lshl_add_u32 v3, v71, 2, -4
	ds_read_b32 v3, v3
.LBB2772_76:
	s_or_b64 exec, exec, s[0:1]
	v_add_u32_e32 v5, -1, v70
	v_and_b32_e32 v6, 64, v70
	v_cmp_lt_i32_e32 vcc, v5, v6
	s_waitcnt lgkmcnt(0)
	v_add_u32_e32 v2, v3, v2
	ds_read_b32 v38, v4 offset:28
	v_cndmask_b32_e32 v5, v5, v70, vcc
	v_lshlrev_b32_e32 v5, 2, v5
	ds_bpermute_b32 v2, v5, v2
	s_and_saveexec_b64 s[0:1], s[20:21]
	s_cbranch_execz .LBB2772_78
; %bb.77:
	v_mov_b32_e32 v4, 0
	v_mov_b32_e32 v39, 2
	s_waitcnt lgkmcnt(1)
	global_store_dwordx2 v4, v[38:39], s[36:37] offset:512 sc1
.LBB2772_78:
	s_or_b64 exec, exec, s[0:1]
	v_cmp_eq_u32_e32 vcc, 0, v70
	v_mov_b32_e32 v40, 0
	s_waitcnt lgkmcnt(0)
	v_cndmask_b32_e32 v2, v2, v3, vcc
	v_cndmask_b32_e64 v2, v2, 0, s[20:21]
	v_add_u32_e32 v3, v2, v56
	v_add_u32_e32 v4, v3, v57
	v_add_u32_e32 v5, v4, v58
	v_add_u32_e32 v6, v5, v59
	v_add_u32_e32 v7, v6, v60
	v_add_u32_e32 v8, v7, v61
	v_add_u32_e32 v9, v8, v62
	v_add_u32_e32 v10, v9, v63
	v_add_u32_e32 v11, v10, v64
	v_add_u32_e32 v12, v11, v65
	v_add_u32_e32 v13, v12, v66
	v_add_u32_e32 v14, v13, v67
	v_add_u32_e32 v15, v14, v68
	v_add_u32_e32 v16, v15, v69
	s_barrier
.LBB2772_79:
	v_add_u32_e32 v17, v38, v42
	v_sub_u32_e32 v2, v2, v40
	v_and_b32_e32 v42, 1, v55
	v_sub_u32_e32 v39, v17, v2
	v_cmp_eq_u32_e32 vcc, 1, v42
	v_or_b32_e32 v42, 0x200, v0
	v_cmp_le_u32_e64 s[0:1], v38, v0
	v_cndmask_b32_e32 v2, v39, v2, vcc
	v_lshlrev_b32_e32 v2, 2, v2
	ds_write_b32 v2, v36
	v_sub_u32_e32 v2, v3, v40
	v_sub_u32_e32 v3, v17, v2
	v_and_b32_e32 v36, 1, v54
	v_add_u32_e32 v3, 1, v3
	v_cmp_eq_u32_e32 vcc, 1, v36
	v_or_b32_e32 v36, 0x600, v0
	s_nop 0
	v_cndmask_b32_e32 v2, v3, v2, vcc
	v_lshlrev_b32_e32 v2, 2, v2
	ds_write_b32 v2, v37
	v_sub_u32_e32 v2, v4, v40
	v_sub_u32_e32 v3, v17, v2
	v_and_b32_e32 v4, 1, v53
	v_add_u32_e32 v3, 2, v3
	v_cmp_eq_u32_e32 vcc, 1, v4
	v_and_b32_e32 v4, 1, v52
	v_or_b32_e32 v37, 0x400, v0
	v_cndmask_b32_e32 v2, v3, v2, vcc
	v_lshlrev_b32_e32 v2, 2, v2
	ds_write_b32 v2, v34
	v_sub_u32_e32 v2, v5, v40
	v_sub_u32_e32 v3, v17, v2
	v_add_u32_e32 v3, 3, v3
	v_cmp_eq_u32_e32 vcc, 1, v4
	v_and_b32_e32 v4, 1, v51
	v_mov_b32_e32 v5, s31
	v_cndmask_b32_e32 v2, v3, v2, vcc
	v_lshlrev_b32_e32 v2, 2, v2
	ds_write_b32 v2, v35
	v_sub_u32_e32 v2, v6, v40
	v_sub_u32_e32 v3, v17, v2
	v_add_u32_e32 v3, 4, v3
	v_cmp_eq_u32_e32 vcc, 1, v4
	v_and_b32_e32 v4, 1, v50
	v_or_b32_e32 v35, 0x800, v0
	v_cndmask_b32_e32 v2, v3, v2, vcc
	v_lshlrev_b32_e32 v2, 2, v2
	ds_write_b32 v2, v32
	v_sub_u32_e32 v2, v7, v40
	v_sub_u32_e32 v3, v17, v2
	v_add_u32_e32 v3, 5, v3
	v_cmp_eq_u32_e32 vcc, 1, v4
	v_and_b32_e32 v4, 1, v49
	v_or_b32_e32 v34, 0xa00, v0
	;; [unrolled: 9-line block ×8, first 2 shown]
	v_cndmask_b32_e32 v2, v3, v2, vcc
	v_lshlrev_b32_e32 v2, 2, v2
	ds_write_b32 v2, v27
	v_sub_u32_e32 v2, v14, v40
	v_sub_u32_e32 v3, v17, v2
	v_add_u32_e32 v3, 12, v3
	v_cmp_eq_u32_e32 vcc, 1, v4
	v_and_b32_e32 v4, 1, v41
	v_mov_b32_e32 v41, 0
	v_cndmask_b32_e32 v2, v3, v2, vcc
	v_lshlrev_b32_e32 v2, 2, v2
	ds_write_b32 v2, v24
	v_sub_u32_e32 v2, v15, v40
	v_sub_u32_e32 v3, v17, v2
	v_add_u32_e32 v3, 13, v3
	v_cmp_eq_u32_e32 vcc, 1, v4
	v_and_b32_e32 v4, 1, v19
	v_mov_b32_e32 v39, v41
	v_cndmask_b32_e32 v2, v3, v2, vcc
	v_lshlrev_b32_e32 v2, 2, v2
	ds_write_b32 v2, v25
	v_sub_u32_e32 v2, v16, v40
	v_sub_u32_e32 v3, v17, v2
	v_add_u32_e32 v3, 14, v3
	v_cmp_eq_u32_e32 vcc, 1, v4
	v_or_b32_e32 v27, 0x1800, v0
	v_or_b32_e32 v26, 0x1a00, v0
	v_cndmask_b32_e32 v2, v3, v2, vcc
	v_lshlrev_b32_e32 v2, 2, v2
	ds_write_b32 v2, v1
	s_waitcnt vmcnt(0)
	v_lshl_add_u64 v[2:3], v[20:21], 0, v[38:39]
	v_lshl_add_u64 v[2:3], v[2:3], 0, v[40:41]
	s_waitcnt lgkmcnt(0)
	s_barrier
	ds_read2st64_b32 v[24:25], v18 offset1:8
	ds_read2st64_b32 v[16:17], v18 offset0:16 offset1:24
	ds_read2st64_b32 v[14:15], v18 offset0:32 offset1:40
	;; [unrolled: 1-line block ×6, first 2 shown]
	ds_read_b32 v1, v18 offset:28672
	v_sub_co_u32_e32 v4, vcc, s30, v2
	v_or_b32_e32 v19, 0x1c00, v0
	s_nop 0
	v_subb_co_u32_e32 v5, vcc, v5, v3, vcc
	v_lshlrev_b64 v[4:5], 2, v[4:5]
	v_lshl_add_u64 v[4:5], s[34:35], 0, v[4:5]
	v_lshl_add_u64 v[4:5], v[4:5], 0, v[22:23]
	s_and_b64 vcc, exec, s[2:3]
	s_cbranch_vccnz .LBB2772_96
; %bb.80:
	s_and_saveexec_b64 s[2:3], s[0:1]
	s_cbranch_execnz .LBB2772_131
; %bb.81:
	s_or_b64 exec, exec, s[2:3]
	v_cmp_ge_u32_e32 vcc, v42, v38
	s_and_saveexec_b64 s[0:1], vcc
	s_cbranch_execnz .LBB2772_132
.LBB2772_82:
	s_or_b64 exec, exec, s[0:1]
	v_cmp_ge_u32_e32 vcc, v37, v38
	s_and_saveexec_b64 s[0:1], vcc
	s_cbranch_execnz .LBB2772_133
.LBB2772_83:
	s_or_b64 exec, exec, s[0:1]
	v_cmp_ge_u32_e32 vcc, v36, v38
	s_and_saveexec_b64 s[0:1], vcc
	s_cbranch_execnz .LBB2772_134
.LBB2772_84:
	s_or_b64 exec, exec, s[0:1]
	v_cmp_ge_u32_e32 vcc, v35, v38
	s_and_saveexec_b64 s[0:1], vcc
	s_cbranch_execnz .LBB2772_135
.LBB2772_85:
	s_or_b64 exec, exec, s[0:1]
	v_cmp_ge_u32_e32 vcc, v34, v38
	s_and_saveexec_b64 s[0:1], vcc
	s_cbranch_execnz .LBB2772_136
.LBB2772_86:
	s_or_b64 exec, exec, s[0:1]
	v_cmp_ge_u32_e32 vcc, v33, v38
	s_and_saveexec_b64 s[0:1], vcc
	s_cbranch_execnz .LBB2772_137
.LBB2772_87:
	s_or_b64 exec, exec, s[0:1]
	v_cmp_ge_u32_e32 vcc, v32, v38
	s_and_saveexec_b64 s[0:1], vcc
	s_cbranch_execnz .LBB2772_138
.LBB2772_88:
	s_or_b64 exec, exec, s[0:1]
	v_cmp_ge_u32_e32 vcc, v31, v38
	s_and_saveexec_b64 s[0:1], vcc
	s_cbranch_execnz .LBB2772_139
.LBB2772_89:
	s_or_b64 exec, exec, s[0:1]
	v_cmp_ge_u32_e32 vcc, v30, v38
	s_and_saveexec_b64 s[0:1], vcc
	s_cbranch_execnz .LBB2772_140
.LBB2772_90:
	s_or_b64 exec, exec, s[0:1]
	v_cmp_ge_u32_e32 vcc, v29, v38
	s_and_saveexec_b64 s[0:1], vcc
	s_cbranch_execnz .LBB2772_141
.LBB2772_91:
	s_or_b64 exec, exec, s[0:1]
	v_cmp_ge_u32_e32 vcc, v28, v38
	s_and_saveexec_b64 s[0:1], vcc
	s_cbranch_execnz .LBB2772_142
.LBB2772_92:
	s_or_b64 exec, exec, s[0:1]
	v_cmp_ge_u32_e32 vcc, v27, v38
	s_and_saveexec_b64 s[0:1], vcc
	s_cbranch_execnz .LBB2772_143
.LBB2772_93:
	s_or_b64 exec, exec, s[0:1]
	v_cmp_ge_u32_e32 vcc, v26, v38
	s_and_saveexec_b64 s[0:1], vcc
	s_cbranch_execz .LBB2772_95
.LBB2772_94:
	v_lshlrev_b32_e32 v20, 2, v26
	v_readfirstlane_b32 s2, v4
	v_readfirstlane_b32 s3, v5
	s_waitcnt lgkmcnt(1)
	s_nop 3
	global_store_dword v20, v7, s[2:3]
.LBB2772_95:
	s_or_b64 exec, exec, s[0:1]
	v_cmp_ge_u32_e64 s[0:1], v19, v38
	s_branch .LBB2772_126
.LBB2772_96:
	s_mov_b64 s[0:1], 0
	s_cbranch_execz .LBB2772_126
; %bb.97:
	v_cmp_gt_u32_e32 vcc, s33, v0
	v_cmp_le_u32_e64 s[0:1], v38, v0
	s_and_b64 s[2:3], vcc, s[0:1]
	s_and_saveexec_b64 s[0:1], s[2:3]
	s_cbranch_execz .LBB2772_99
; %bb.98:
	v_readfirstlane_b32 s2, v4
	v_readfirstlane_b32 s3, v5
	s_waitcnt lgkmcnt(7)
	s_nop 3
	global_store_dword v18, v24, s[2:3]
.LBB2772_99:
	s_or_b64 exec, exec, s[0:1]
	v_cmp_gt_u32_e32 vcc, s33, v42
	v_cmp_ge_u32_e64 s[0:1], v42, v38
	s_and_b64 s[2:3], vcc, s[0:1]
	s_and_saveexec_b64 s[0:1], s[2:3]
	s_cbranch_execz .LBB2772_101
; %bb.100:
	v_readfirstlane_b32 s2, v4
	v_readfirstlane_b32 s3, v5
	s_waitcnt lgkmcnt(7)
	s_nop 3
	global_store_dword v18, v25, s[2:3] offset:2048
.LBB2772_101:
	s_or_b64 exec, exec, s[0:1]
	v_cmp_gt_u32_e32 vcc, s33, v37
	v_cmp_ge_u32_e64 s[0:1], v37, v38
	s_and_b64 s[2:3], vcc, s[0:1]
	s_and_saveexec_b64 s[0:1], s[2:3]
	s_cbranch_execz .LBB2772_103
; %bb.102:
	v_lshlrev_b32_e32 v0, 2, v37
	v_readfirstlane_b32 s2, v4
	v_readfirstlane_b32 s3, v5
	s_waitcnt lgkmcnt(6)
	s_nop 3
	global_store_dword v0, v16, s[2:3]
.LBB2772_103:
	s_or_b64 exec, exec, s[0:1]
	v_cmp_gt_u32_e32 vcc, s33, v36
	v_cmp_ge_u32_e64 s[0:1], v36, v38
	s_and_b64 s[2:3], vcc, s[0:1]
	s_and_saveexec_b64 s[0:1], s[2:3]
	s_cbranch_execz .LBB2772_105
; %bb.104:
	v_lshlrev_b32_e32 v0, 2, v36
	v_readfirstlane_b32 s2, v4
	v_readfirstlane_b32 s3, v5
	s_waitcnt lgkmcnt(6)
	s_nop 3
	global_store_dword v0, v17, s[2:3]
.LBB2772_105:
	;; [unrolled: 14-line block ×12, first 2 shown]
	s_or_b64 exec, exec, s[0:1]
	v_cmp_gt_u32_e32 vcc, s33, v19
	v_cmp_ge_u32_e64 s[0:1], v19, v38
	s_and_b64 s[0:1], vcc, s[0:1]
.LBB2772_126:
	s_and_saveexec_b64 s[2:3], s[0:1]
	s_cbranch_execnz .LBB2772_129
; %bb.127:
	s_or_b64 exec, exec, s[2:3]
	s_and_b64 s[0:1], s[20:21], s[22:23]
	s_and_saveexec_b64 s[2:3], s[0:1]
	s_cbranch_execnz .LBB2772_130
.LBB2772_128:
	s_endpgm
.LBB2772_129:
	v_lshlrev_b32_e32 v0, 2, v19
	v_readfirstlane_b32 s0, v4
	v_readfirstlane_b32 s1, v5
	s_waitcnt lgkmcnt(0)
	s_nop 3
	global_store_dword v0, v1, s[0:1]
	s_or_b64 exec, exec, s[2:3]
	s_and_b64 s[0:1], s[20:21], s[22:23]
	s_and_saveexec_b64 s[2:3], s[0:1]
	s_cbranch_execz .LBB2772_128
.LBB2772_130:
	v_mov_b32_e32 v0, 0
	global_store_dwordx2 v0, v[2:3], s[24:25]
	s_endpgm
.LBB2772_131:
	v_readfirstlane_b32 s0, v4
	v_readfirstlane_b32 s1, v5
	s_waitcnt lgkmcnt(7)
	s_nop 3
	global_store_dword v18, v24, s[0:1]
	s_or_b64 exec, exec, s[2:3]
	v_cmp_ge_u32_e32 vcc, v42, v38
	s_and_saveexec_b64 s[0:1], vcc
	s_cbranch_execz .LBB2772_82
.LBB2772_132:
	v_readfirstlane_b32 s2, v4
	v_readfirstlane_b32 s3, v5
	s_waitcnt lgkmcnt(7)
	s_nop 3
	global_store_dword v18, v25, s[2:3] offset:2048
	s_or_b64 exec, exec, s[0:1]
	v_cmp_ge_u32_e32 vcc, v37, v38
	s_and_saveexec_b64 s[0:1], vcc
	s_cbranch_execz .LBB2772_83
.LBB2772_133:
	v_lshlrev_b32_e32 v20, 2, v37
	v_readfirstlane_b32 s2, v4
	v_readfirstlane_b32 s3, v5
	s_waitcnt lgkmcnt(6)
	s_nop 3
	global_store_dword v20, v16, s[2:3]
	s_or_b64 exec, exec, s[0:1]
	v_cmp_ge_u32_e32 vcc, v36, v38
	s_and_saveexec_b64 s[0:1], vcc
	s_cbranch_execz .LBB2772_84
.LBB2772_134:
	v_lshlrev_b32_e32 v20, 2, v36
	v_readfirstlane_b32 s2, v4
	v_readfirstlane_b32 s3, v5
	s_waitcnt lgkmcnt(6)
	s_nop 3
	global_store_dword v20, v17, s[2:3]
	s_or_b64 exec, exec, s[0:1]
	v_cmp_ge_u32_e32 vcc, v35, v38
	s_and_saveexec_b64 s[0:1], vcc
	s_cbranch_execz .LBB2772_85
.LBB2772_135:
	v_lshlrev_b32_e32 v20, 2, v35
	v_readfirstlane_b32 s2, v4
	v_readfirstlane_b32 s3, v5
	s_waitcnt lgkmcnt(5)
	s_nop 3
	global_store_dword v20, v14, s[2:3]
	s_or_b64 exec, exec, s[0:1]
	v_cmp_ge_u32_e32 vcc, v34, v38
	s_and_saveexec_b64 s[0:1], vcc
	s_cbranch_execz .LBB2772_86
.LBB2772_136:
	v_lshlrev_b32_e32 v20, 2, v34
	v_readfirstlane_b32 s2, v4
	v_readfirstlane_b32 s3, v5
	s_waitcnt lgkmcnt(5)
	s_nop 3
	global_store_dword v20, v15, s[2:3]
	s_or_b64 exec, exec, s[0:1]
	v_cmp_ge_u32_e32 vcc, v33, v38
	s_and_saveexec_b64 s[0:1], vcc
	s_cbranch_execz .LBB2772_87
.LBB2772_137:
	v_lshlrev_b32_e32 v20, 2, v33
	v_readfirstlane_b32 s2, v4
	v_readfirstlane_b32 s3, v5
	s_waitcnt lgkmcnt(4)
	s_nop 3
	global_store_dword v20, v12, s[2:3]
	s_or_b64 exec, exec, s[0:1]
	v_cmp_ge_u32_e32 vcc, v32, v38
	s_and_saveexec_b64 s[0:1], vcc
	s_cbranch_execz .LBB2772_88
.LBB2772_138:
	v_lshlrev_b32_e32 v20, 2, v32
	v_readfirstlane_b32 s2, v4
	v_readfirstlane_b32 s3, v5
	s_waitcnt lgkmcnt(4)
	s_nop 3
	global_store_dword v20, v13, s[2:3]
	s_or_b64 exec, exec, s[0:1]
	v_cmp_ge_u32_e32 vcc, v31, v38
	s_and_saveexec_b64 s[0:1], vcc
	s_cbranch_execz .LBB2772_89
.LBB2772_139:
	v_lshlrev_b32_e32 v20, 2, v31
	v_readfirstlane_b32 s2, v4
	v_readfirstlane_b32 s3, v5
	s_waitcnt lgkmcnt(3)
	s_nop 3
	global_store_dword v20, v10, s[2:3]
	s_or_b64 exec, exec, s[0:1]
	v_cmp_ge_u32_e32 vcc, v30, v38
	s_and_saveexec_b64 s[0:1], vcc
	s_cbranch_execz .LBB2772_90
.LBB2772_140:
	v_lshlrev_b32_e32 v20, 2, v30
	v_readfirstlane_b32 s2, v4
	v_readfirstlane_b32 s3, v5
	s_waitcnt lgkmcnt(3)
	s_nop 3
	global_store_dword v20, v11, s[2:3]
	s_or_b64 exec, exec, s[0:1]
	v_cmp_ge_u32_e32 vcc, v29, v38
	s_and_saveexec_b64 s[0:1], vcc
	s_cbranch_execz .LBB2772_91
.LBB2772_141:
	v_lshlrev_b32_e32 v20, 2, v29
	v_readfirstlane_b32 s2, v4
	v_readfirstlane_b32 s3, v5
	s_waitcnt lgkmcnt(2)
	s_nop 3
	global_store_dword v20, v8, s[2:3]
	s_or_b64 exec, exec, s[0:1]
	v_cmp_ge_u32_e32 vcc, v28, v38
	s_and_saveexec_b64 s[0:1], vcc
	s_cbranch_execz .LBB2772_92
.LBB2772_142:
	v_lshlrev_b32_e32 v20, 2, v28
	v_readfirstlane_b32 s2, v4
	v_readfirstlane_b32 s3, v5
	s_waitcnt lgkmcnt(2)
	s_nop 3
	global_store_dword v20, v9, s[2:3]
	s_or_b64 exec, exec, s[0:1]
	v_cmp_ge_u32_e32 vcc, v27, v38
	s_and_saveexec_b64 s[0:1], vcc
	s_cbranch_execz .LBB2772_93
.LBB2772_143:
	v_lshlrev_b32_e32 v20, 2, v27
	v_readfirstlane_b32 s2, v4
	v_readfirstlane_b32 s3, v5
	s_waitcnt lgkmcnt(1)
	s_nop 3
	global_store_dword v20, v6, s[2:3]
	s_or_b64 exec, exec, s[0:1]
	v_cmp_ge_u32_e32 vcc, v26, v38
	s_and_saveexec_b64 s[0:1], vcc
	s_cbranch_execnz .LBB2772_94
	s_branch .LBB2772_95
	.section	.rodata,"a",@progbits
	.p2align	6, 0x0
	.amdhsa_kernel _ZN7rocprim17ROCPRIM_400000_NS6detail17trampoline_kernelINS0_14default_configENS1_25partition_config_selectorILNS1_17partition_subalgoE0EiNS0_10empty_typeEbEEZZNS1_14partition_implILS5_0ELb0ES3_jN6thrust23THRUST_200600_302600_NS6detail15normal_iteratorINSA_10device_ptrIiEEEEPS6_SG_NS0_5tupleIJNSA_16discard_iteratorINSA_11use_defaultEEESF_EEENSH_IJSG_SG_EEES6_PlJ7is_evenIiEEEE10hipError_tPvRmT3_T4_T5_T6_T7_T9_mT8_P12ihipStream_tbDpT10_ENKUlT_T0_E_clISt17integral_constantIbLb0EES18_IbLb1EEEEDaS14_S15_EUlS14_E_NS1_11comp_targetILNS1_3genE5ELNS1_11target_archE942ELNS1_3gpuE9ELNS1_3repE0EEENS1_30default_config_static_selectorELNS0_4arch9wavefront6targetE1EEEvT1_
		.amdhsa_group_segment_fixed_size 30728
		.amdhsa_private_segment_fixed_size 0
		.amdhsa_kernarg_size 144
		.amdhsa_user_sgpr_count 2
		.amdhsa_user_sgpr_dispatch_ptr 0
		.amdhsa_user_sgpr_queue_ptr 0
		.amdhsa_user_sgpr_kernarg_segment_ptr 1
		.amdhsa_user_sgpr_dispatch_id 0
		.amdhsa_user_sgpr_kernarg_preload_length 0
		.amdhsa_user_sgpr_kernarg_preload_offset 0
		.amdhsa_user_sgpr_private_segment_size 0
		.amdhsa_uses_dynamic_stack 0
		.amdhsa_enable_private_segment 0
		.amdhsa_system_sgpr_workgroup_id_x 1
		.amdhsa_system_sgpr_workgroup_id_y 0
		.amdhsa_system_sgpr_workgroup_id_z 0
		.amdhsa_system_sgpr_workgroup_info 0
		.amdhsa_system_vgpr_workitem_id 0
		.amdhsa_next_free_vgpr 80
		.amdhsa_next_free_sgpr 42
		.amdhsa_accum_offset 80
		.amdhsa_reserve_vcc 1
		.amdhsa_float_round_mode_32 0
		.amdhsa_float_round_mode_16_64 0
		.amdhsa_float_denorm_mode_32 3
		.amdhsa_float_denorm_mode_16_64 3
		.amdhsa_dx10_clamp 1
		.amdhsa_ieee_mode 1
		.amdhsa_fp16_overflow 0
		.amdhsa_tg_split 0
		.amdhsa_exception_fp_ieee_invalid_op 0
		.amdhsa_exception_fp_denorm_src 0
		.amdhsa_exception_fp_ieee_div_zero 0
		.amdhsa_exception_fp_ieee_overflow 0
		.amdhsa_exception_fp_ieee_underflow 0
		.amdhsa_exception_fp_ieee_inexact 0
		.amdhsa_exception_int_div_zero 0
	.end_amdhsa_kernel
	.section	.text._ZN7rocprim17ROCPRIM_400000_NS6detail17trampoline_kernelINS0_14default_configENS1_25partition_config_selectorILNS1_17partition_subalgoE0EiNS0_10empty_typeEbEEZZNS1_14partition_implILS5_0ELb0ES3_jN6thrust23THRUST_200600_302600_NS6detail15normal_iteratorINSA_10device_ptrIiEEEEPS6_SG_NS0_5tupleIJNSA_16discard_iteratorINSA_11use_defaultEEESF_EEENSH_IJSG_SG_EEES6_PlJ7is_evenIiEEEE10hipError_tPvRmT3_T4_T5_T6_T7_T9_mT8_P12ihipStream_tbDpT10_ENKUlT_T0_E_clISt17integral_constantIbLb0EES18_IbLb1EEEEDaS14_S15_EUlS14_E_NS1_11comp_targetILNS1_3genE5ELNS1_11target_archE942ELNS1_3gpuE9ELNS1_3repE0EEENS1_30default_config_static_selectorELNS0_4arch9wavefront6targetE1EEEvT1_,"axG",@progbits,_ZN7rocprim17ROCPRIM_400000_NS6detail17trampoline_kernelINS0_14default_configENS1_25partition_config_selectorILNS1_17partition_subalgoE0EiNS0_10empty_typeEbEEZZNS1_14partition_implILS5_0ELb0ES3_jN6thrust23THRUST_200600_302600_NS6detail15normal_iteratorINSA_10device_ptrIiEEEEPS6_SG_NS0_5tupleIJNSA_16discard_iteratorINSA_11use_defaultEEESF_EEENSH_IJSG_SG_EEES6_PlJ7is_evenIiEEEE10hipError_tPvRmT3_T4_T5_T6_T7_T9_mT8_P12ihipStream_tbDpT10_ENKUlT_T0_E_clISt17integral_constantIbLb0EES18_IbLb1EEEEDaS14_S15_EUlS14_E_NS1_11comp_targetILNS1_3genE5ELNS1_11target_archE942ELNS1_3gpuE9ELNS1_3repE0EEENS1_30default_config_static_selectorELNS0_4arch9wavefront6targetE1EEEvT1_,comdat
.Lfunc_end2772:
	.size	_ZN7rocprim17ROCPRIM_400000_NS6detail17trampoline_kernelINS0_14default_configENS1_25partition_config_selectorILNS1_17partition_subalgoE0EiNS0_10empty_typeEbEEZZNS1_14partition_implILS5_0ELb0ES3_jN6thrust23THRUST_200600_302600_NS6detail15normal_iteratorINSA_10device_ptrIiEEEEPS6_SG_NS0_5tupleIJNSA_16discard_iteratorINSA_11use_defaultEEESF_EEENSH_IJSG_SG_EEES6_PlJ7is_evenIiEEEE10hipError_tPvRmT3_T4_T5_T6_T7_T9_mT8_P12ihipStream_tbDpT10_ENKUlT_T0_E_clISt17integral_constantIbLb0EES18_IbLb1EEEEDaS14_S15_EUlS14_E_NS1_11comp_targetILNS1_3genE5ELNS1_11target_archE942ELNS1_3gpuE9ELNS1_3repE0EEENS1_30default_config_static_selectorELNS0_4arch9wavefront6targetE1EEEvT1_, .Lfunc_end2772-_ZN7rocprim17ROCPRIM_400000_NS6detail17trampoline_kernelINS0_14default_configENS1_25partition_config_selectorILNS1_17partition_subalgoE0EiNS0_10empty_typeEbEEZZNS1_14partition_implILS5_0ELb0ES3_jN6thrust23THRUST_200600_302600_NS6detail15normal_iteratorINSA_10device_ptrIiEEEEPS6_SG_NS0_5tupleIJNSA_16discard_iteratorINSA_11use_defaultEEESF_EEENSH_IJSG_SG_EEES6_PlJ7is_evenIiEEEE10hipError_tPvRmT3_T4_T5_T6_T7_T9_mT8_P12ihipStream_tbDpT10_ENKUlT_T0_E_clISt17integral_constantIbLb0EES18_IbLb1EEEEDaS14_S15_EUlS14_E_NS1_11comp_targetILNS1_3genE5ELNS1_11target_archE942ELNS1_3gpuE9ELNS1_3repE0EEENS1_30default_config_static_selectorELNS0_4arch9wavefront6targetE1EEEvT1_
                                        ; -- End function
	.section	.AMDGPU.csdata,"",@progbits
; Kernel info:
; codeLenInByte = 6796
; NumSgprs: 48
; NumVgprs: 80
; NumAgprs: 0
; TotalNumVgprs: 80
; ScratchSize: 0
; MemoryBound: 0
; FloatMode: 240
; IeeeMode: 1
; LDSByteSize: 30728 bytes/workgroup (compile time only)
; SGPRBlocks: 5
; VGPRBlocks: 9
; NumSGPRsForWavesPerEU: 48
; NumVGPRsForWavesPerEU: 80
; AccumOffset: 80
; Occupancy: 4
; WaveLimiterHint : 1
; COMPUTE_PGM_RSRC2:SCRATCH_EN: 0
; COMPUTE_PGM_RSRC2:USER_SGPR: 2
; COMPUTE_PGM_RSRC2:TRAP_HANDLER: 0
; COMPUTE_PGM_RSRC2:TGID_X_EN: 1
; COMPUTE_PGM_RSRC2:TGID_Y_EN: 0
; COMPUTE_PGM_RSRC2:TGID_Z_EN: 0
; COMPUTE_PGM_RSRC2:TIDIG_COMP_CNT: 0
; COMPUTE_PGM_RSRC3_GFX90A:ACCUM_OFFSET: 19
; COMPUTE_PGM_RSRC3_GFX90A:TG_SPLIT: 0
	.section	.text._ZN7rocprim17ROCPRIM_400000_NS6detail17trampoline_kernelINS0_14default_configENS1_25partition_config_selectorILNS1_17partition_subalgoE0EiNS0_10empty_typeEbEEZZNS1_14partition_implILS5_0ELb0ES3_jN6thrust23THRUST_200600_302600_NS6detail15normal_iteratorINSA_10device_ptrIiEEEEPS6_SG_NS0_5tupleIJNSA_16discard_iteratorINSA_11use_defaultEEESF_EEENSH_IJSG_SG_EEES6_PlJ7is_evenIiEEEE10hipError_tPvRmT3_T4_T5_T6_T7_T9_mT8_P12ihipStream_tbDpT10_ENKUlT_T0_E_clISt17integral_constantIbLb0EES18_IbLb1EEEEDaS14_S15_EUlS14_E_NS1_11comp_targetILNS1_3genE4ELNS1_11target_archE910ELNS1_3gpuE8ELNS1_3repE0EEENS1_30default_config_static_selectorELNS0_4arch9wavefront6targetE1EEEvT1_,"axG",@progbits,_ZN7rocprim17ROCPRIM_400000_NS6detail17trampoline_kernelINS0_14default_configENS1_25partition_config_selectorILNS1_17partition_subalgoE0EiNS0_10empty_typeEbEEZZNS1_14partition_implILS5_0ELb0ES3_jN6thrust23THRUST_200600_302600_NS6detail15normal_iteratorINSA_10device_ptrIiEEEEPS6_SG_NS0_5tupleIJNSA_16discard_iteratorINSA_11use_defaultEEESF_EEENSH_IJSG_SG_EEES6_PlJ7is_evenIiEEEE10hipError_tPvRmT3_T4_T5_T6_T7_T9_mT8_P12ihipStream_tbDpT10_ENKUlT_T0_E_clISt17integral_constantIbLb0EES18_IbLb1EEEEDaS14_S15_EUlS14_E_NS1_11comp_targetILNS1_3genE4ELNS1_11target_archE910ELNS1_3gpuE8ELNS1_3repE0EEENS1_30default_config_static_selectorELNS0_4arch9wavefront6targetE1EEEvT1_,comdat
	.protected	_ZN7rocprim17ROCPRIM_400000_NS6detail17trampoline_kernelINS0_14default_configENS1_25partition_config_selectorILNS1_17partition_subalgoE0EiNS0_10empty_typeEbEEZZNS1_14partition_implILS5_0ELb0ES3_jN6thrust23THRUST_200600_302600_NS6detail15normal_iteratorINSA_10device_ptrIiEEEEPS6_SG_NS0_5tupleIJNSA_16discard_iteratorINSA_11use_defaultEEESF_EEENSH_IJSG_SG_EEES6_PlJ7is_evenIiEEEE10hipError_tPvRmT3_T4_T5_T6_T7_T9_mT8_P12ihipStream_tbDpT10_ENKUlT_T0_E_clISt17integral_constantIbLb0EES18_IbLb1EEEEDaS14_S15_EUlS14_E_NS1_11comp_targetILNS1_3genE4ELNS1_11target_archE910ELNS1_3gpuE8ELNS1_3repE0EEENS1_30default_config_static_selectorELNS0_4arch9wavefront6targetE1EEEvT1_ ; -- Begin function _ZN7rocprim17ROCPRIM_400000_NS6detail17trampoline_kernelINS0_14default_configENS1_25partition_config_selectorILNS1_17partition_subalgoE0EiNS0_10empty_typeEbEEZZNS1_14partition_implILS5_0ELb0ES3_jN6thrust23THRUST_200600_302600_NS6detail15normal_iteratorINSA_10device_ptrIiEEEEPS6_SG_NS0_5tupleIJNSA_16discard_iteratorINSA_11use_defaultEEESF_EEENSH_IJSG_SG_EEES6_PlJ7is_evenIiEEEE10hipError_tPvRmT3_T4_T5_T6_T7_T9_mT8_P12ihipStream_tbDpT10_ENKUlT_T0_E_clISt17integral_constantIbLb0EES18_IbLb1EEEEDaS14_S15_EUlS14_E_NS1_11comp_targetILNS1_3genE4ELNS1_11target_archE910ELNS1_3gpuE8ELNS1_3repE0EEENS1_30default_config_static_selectorELNS0_4arch9wavefront6targetE1EEEvT1_
	.globl	_ZN7rocprim17ROCPRIM_400000_NS6detail17trampoline_kernelINS0_14default_configENS1_25partition_config_selectorILNS1_17partition_subalgoE0EiNS0_10empty_typeEbEEZZNS1_14partition_implILS5_0ELb0ES3_jN6thrust23THRUST_200600_302600_NS6detail15normal_iteratorINSA_10device_ptrIiEEEEPS6_SG_NS0_5tupleIJNSA_16discard_iteratorINSA_11use_defaultEEESF_EEENSH_IJSG_SG_EEES6_PlJ7is_evenIiEEEE10hipError_tPvRmT3_T4_T5_T6_T7_T9_mT8_P12ihipStream_tbDpT10_ENKUlT_T0_E_clISt17integral_constantIbLb0EES18_IbLb1EEEEDaS14_S15_EUlS14_E_NS1_11comp_targetILNS1_3genE4ELNS1_11target_archE910ELNS1_3gpuE8ELNS1_3repE0EEENS1_30default_config_static_selectorELNS0_4arch9wavefront6targetE1EEEvT1_
	.p2align	8
	.type	_ZN7rocprim17ROCPRIM_400000_NS6detail17trampoline_kernelINS0_14default_configENS1_25partition_config_selectorILNS1_17partition_subalgoE0EiNS0_10empty_typeEbEEZZNS1_14partition_implILS5_0ELb0ES3_jN6thrust23THRUST_200600_302600_NS6detail15normal_iteratorINSA_10device_ptrIiEEEEPS6_SG_NS0_5tupleIJNSA_16discard_iteratorINSA_11use_defaultEEESF_EEENSH_IJSG_SG_EEES6_PlJ7is_evenIiEEEE10hipError_tPvRmT3_T4_T5_T6_T7_T9_mT8_P12ihipStream_tbDpT10_ENKUlT_T0_E_clISt17integral_constantIbLb0EES18_IbLb1EEEEDaS14_S15_EUlS14_E_NS1_11comp_targetILNS1_3genE4ELNS1_11target_archE910ELNS1_3gpuE8ELNS1_3repE0EEENS1_30default_config_static_selectorELNS0_4arch9wavefront6targetE1EEEvT1_,@function
_ZN7rocprim17ROCPRIM_400000_NS6detail17trampoline_kernelINS0_14default_configENS1_25partition_config_selectorILNS1_17partition_subalgoE0EiNS0_10empty_typeEbEEZZNS1_14partition_implILS5_0ELb0ES3_jN6thrust23THRUST_200600_302600_NS6detail15normal_iteratorINSA_10device_ptrIiEEEEPS6_SG_NS0_5tupleIJNSA_16discard_iteratorINSA_11use_defaultEEESF_EEENSH_IJSG_SG_EEES6_PlJ7is_evenIiEEEE10hipError_tPvRmT3_T4_T5_T6_T7_T9_mT8_P12ihipStream_tbDpT10_ENKUlT_T0_E_clISt17integral_constantIbLb0EES18_IbLb1EEEEDaS14_S15_EUlS14_E_NS1_11comp_targetILNS1_3genE4ELNS1_11target_archE910ELNS1_3gpuE8ELNS1_3repE0EEENS1_30default_config_static_selectorELNS0_4arch9wavefront6targetE1EEEvT1_: ; @_ZN7rocprim17ROCPRIM_400000_NS6detail17trampoline_kernelINS0_14default_configENS1_25partition_config_selectorILNS1_17partition_subalgoE0EiNS0_10empty_typeEbEEZZNS1_14partition_implILS5_0ELb0ES3_jN6thrust23THRUST_200600_302600_NS6detail15normal_iteratorINSA_10device_ptrIiEEEEPS6_SG_NS0_5tupleIJNSA_16discard_iteratorINSA_11use_defaultEEESF_EEENSH_IJSG_SG_EEES6_PlJ7is_evenIiEEEE10hipError_tPvRmT3_T4_T5_T6_T7_T9_mT8_P12ihipStream_tbDpT10_ENKUlT_T0_E_clISt17integral_constantIbLb0EES18_IbLb1EEEEDaS14_S15_EUlS14_E_NS1_11comp_targetILNS1_3genE4ELNS1_11target_archE910ELNS1_3gpuE8ELNS1_3repE0EEENS1_30default_config_static_selectorELNS0_4arch9wavefront6targetE1EEEvT1_
; %bb.0:
	.section	.rodata,"a",@progbits
	.p2align	6, 0x0
	.amdhsa_kernel _ZN7rocprim17ROCPRIM_400000_NS6detail17trampoline_kernelINS0_14default_configENS1_25partition_config_selectorILNS1_17partition_subalgoE0EiNS0_10empty_typeEbEEZZNS1_14partition_implILS5_0ELb0ES3_jN6thrust23THRUST_200600_302600_NS6detail15normal_iteratorINSA_10device_ptrIiEEEEPS6_SG_NS0_5tupleIJNSA_16discard_iteratorINSA_11use_defaultEEESF_EEENSH_IJSG_SG_EEES6_PlJ7is_evenIiEEEE10hipError_tPvRmT3_T4_T5_T6_T7_T9_mT8_P12ihipStream_tbDpT10_ENKUlT_T0_E_clISt17integral_constantIbLb0EES18_IbLb1EEEEDaS14_S15_EUlS14_E_NS1_11comp_targetILNS1_3genE4ELNS1_11target_archE910ELNS1_3gpuE8ELNS1_3repE0EEENS1_30default_config_static_selectorELNS0_4arch9wavefront6targetE1EEEvT1_
		.amdhsa_group_segment_fixed_size 0
		.amdhsa_private_segment_fixed_size 0
		.amdhsa_kernarg_size 144
		.amdhsa_user_sgpr_count 2
		.amdhsa_user_sgpr_dispatch_ptr 0
		.amdhsa_user_sgpr_queue_ptr 0
		.amdhsa_user_sgpr_kernarg_segment_ptr 1
		.amdhsa_user_sgpr_dispatch_id 0
		.amdhsa_user_sgpr_kernarg_preload_length 0
		.amdhsa_user_sgpr_kernarg_preload_offset 0
		.amdhsa_user_sgpr_private_segment_size 0
		.amdhsa_uses_dynamic_stack 0
		.amdhsa_enable_private_segment 0
		.amdhsa_system_sgpr_workgroup_id_x 1
		.amdhsa_system_sgpr_workgroup_id_y 0
		.amdhsa_system_sgpr_workgroup_id_z 0
		.amdhsa_system_sgpr_workgroup_info 0
		.amdhsa_system_vgpr_workitem_id 0
		.amdhsa_next_free_vgpr 1
		.amdhsa_next_free_sgpr 0
		.amdhsa_accum_offset 4
		.amdhsa_reserve_vcc 0
		.amdhsa_float_round_mode_32 0
		.amdhsa_float_round_mode_16_64 0
		.amdhsa_float_denorm_mode_32 3
		.amdhsa_float_denorm_mode_16_64 3
		.amdhsa_dx10_clamp 1
		.amdhsa_ieee_mode 1
		.amdhsa_fp16_overflow 0
		.amdhsa_tg_split 0
		.amdhsa_exception_fp_ieee_invalid_op 0
		.amdhsa_exception_fp_denorm_src 0
		.amdhsa_exception_fp_ieee_div_zero 0
		.amdhsa_exception_fp_ieee_overflow 0
		.amdhsa_exception_fp_ieee_underflow 0
		.amdhsa_exception_fp_ieee_inexact 0
		.amdhsa_exception_int_div_zero 0
	.end_amdhsa_kernel
	.section	.text._ZN7rocprim17ROCPRIM_400000_NS6detail17trampoline_kernelINS0_14default_configENS1_25partition_config_selectorILNS1_17partition_subalgoE0EiNS0_10empty_typeEbEEZZNS1_14partition_implILS5_0ELb0ES3_jN6thrust23THRUST_200600_302600_NS6detail15normal_iteratorINSA_10device_ptrIiEEEEPS6_SG_NS0_5tupleIJNSA_16discard_iteratorINSA_11use_defaultEEESF_EEENSH_IJSG_SG_EEES6_PlJ7is_evenIiEEEE10hipError_tPvRmT3_T4_T5_T6_T7_T9_mT8_P12ihipStream_tbDpT10_ENKUlT_T0_E_clISt17integral_constantIbLb0EES18_IbLb1EEEEDaS14_S15_EUlS14_E_NS1_11comp_targetILNS1_3genE4ELNS1_11target_archE910ELNS1_3gpuE8ELNS1_3repE0EEENS1_30default_config_static_selectorELNS0_4arch9wavefront6targetE1EEEvT1_,"axG",@progbits,_ZN7rocprim17ROCPRIM_400000_NS6detail17trampoline_kernelINS0_14default_configENS1_25partition_config_selectorILNS1_17partition_subalgoE0EiNS0_10empty_typeEbEEZZNS1_14partition_implILS5_0ELb0ES3_jN6thrust23THRUST_200600_302600_NS6detail15normal_iteratorINSA_10device_ptrIiEEEEPS6_SG_NS0_5tupleIJNSA_16discard_iteratorINSA_11use_defaultEEESF_EEENSH_IJSG_SG_EEES6_PlJ7is_evenIiEEEE10hipError_tPvRmT3_T4_T5_T6_T7_T9_mT8_P12ihipStream_tbDpT10_ENKUlT_T0_E_clISt17integral_constantIbLb0EES18_IbLb1EEEEDaS14_S15_EUlS14_E_NS1_11comp_targetILNS1_3genE4ELNS1_11target_archE910ELNS1_3gpuE8ELNS1_3repE0EEENS1_30default_config_static_selectorELNS0_4arch9wavefront6targetE1EEEvT1_,comdat
.Lfunc_end2773:
	.size	_ZN7rocprim17ROCPRIM_400000_NS6detail17trampoline_kernelINS0_14default_configENS1_25partition_config_selectorILNS1_17partition_subalgoE0EiNS0_10empty_typeEbEEZZNS1_14partition_implILS5_0ELb0ES3_jN6thrust23THRUST_200600_302600_NS6detail15normal_iteratorINSA_10device_ptrIiEEEEPS6_SG_NS0_5tupleIJNSA_16discard_iteratorINSA_11use_defaultEEESF_EEENSH_IJSG_SG_EEES6_PlJ7is_evenIiEEEE10hipError_tPvRmT3_T4_T5_T6_T7_T9_mT8_P12ihipStream_tbDpT10_ENKUlT_T0_E_clISt17integral_constantIbLb0EES18_IbLb1EEEEDaS14_S15_EUlS14_E_NS1_11comp_targetILNS1_3genE4ELNS1_11target_archE910ELNS1_3gpuE8ELNS1_3repE0EEENS1_30default_config_static_selectorELNS0_4arch9wavefront6targetE1EEEvT1_, .Lfunc_end2773-_ZN7rocprim17ROCPRIM_400000_NS6detail17trampoline_kernelINS0_14default_configENS1_25partition_config_selectorILNS1_17partition_subalgoE0EiNS0_10empty_typeEbEEZZNS1_14partition_implILS5_0ELb0ES3_jN6thrust23THRUST_200600_302600_NS6detail15normal_iteratorINSA_10device_ptrIiEEEEPS6_SG_NS0_5tupleIJNSA_16discard_iteratorINSA_11use_defaultEEESF_EEENSH_IJSG_SG_EEES6_PlJ7is_evenIiEEEE10hipError_tPvRmT3_T4_T5_T6_T7_T9_mT8_P12ihipStream_tbDpT10_ENKUlT_T0_E_clISt17integral_constantIbLb0EES18_IbLb1EEEEDaS14_S15_EUlS14_E_NS1_11comp_targetILNS1_3genE4ELNS1_11target_archE910ELNS1_3gpuE8ELNS1_3repE0EEENS1_30default_config_static_selectorELNS0_4arch9wavefront6targetE1EEEvT1_
                                        ; -- End function
	.section	.AMDGPU.csdata,"",@progbits
; Kernel info:
; codeLenInByte = 0
; NumSgprs: 6
; NumVgprs: 0
; NumAgprs: 0
; TotalNumVgprs: 0
; ScratchSize: 0
; MemoryBound: 0
; FloatMode: 240
; IeeeMode: 1
; LDSByteSize: 0 bytes/workgroup (compile time only)
; SGPRBlocks: 0
; VGPRBlocks: 0
; NumSGPRsForWavesPerEU: 6
; NumVGPRsForWavesPerEU: 1
; AccumOffset: 4
; Occupancy: 8
; WaveLimiterHint : 0
; COMPUTE_PGM_RSRC2:SCRATCH_EN: 0
; COMPUTE_PGM_RSRC2:USER_SGPR: 2
; COMPUTE_PGM_RSRC2:TRAP_HANDLER: 0
; COMPUTE_PGM_RSRC2:TGID_X_EN: 1
; COMPUTE_PGM_RSRC2:TGID_Y_EN: 0
; COMPUTE_PGM_RSRC2:TGID_Z_EN: 0
; COMPUTE_PGM_RSRC2:TIDIG_COMP_CNT: 0
; COMPUTE_PGM_RSRC3_GFX90A:ACCUM_OFFSET: 0
; COMPUTE_PGM_RSRC3_GFX90A:TG_SPLIT: 0
	.section	.text._ZN7rocprim17ROCPRIM_400000_NS6detail17trampoline_kernelINS0_14default_configENS1_25partition_config_selectorILNS1_17partition_subalgoE0EiNS0_10empty_typeEbEEZZNS1_14partition_implILS5_0ELb0ES3_jN6thrust23THRUST_200600_302600_NS6detail15normal_iteratorINSA_10device_ptrIiEEEEPS6_SG_NS0_5tupleIJNSA_16discard_iteratorINSA_11use_defaultEEESF_EEENSH_IJSG_SG_EEES6_PlJ7is_evenIiEEEE10hipError_tPvRmT3_T4_T5_T6_T7_T9_mT8_P12ihipStream_tbDpT10_ENKUlT_T0_E_clISt17integral_constantIbLb0EES18_IbLb1EEEEDaS14_S15_EUlS14_E_NS1_11comp_targetILNS1_3genE3ELNS1_11target_archE908ELNS1_3gpuE7ELNS1_3repE0EEENS1_30default_config_static_selectorELNS0_4arch9wavefront6targetE1EEEvT1_,"axG",@progbits,_ZN7rocprim17ROCPRIM_400000_NS6detail17trampoline_kernelINS0_14default_configENS1_25partition_config_selectorILNS1_17partition_subalgoE0EiNS0_10empty_typeEbEEZZNS1_14partition_implILS5_0ELb0ES3_jN6thrust23THRUST_200600_302600_NS6detail15normal_iteratorINSA_10device_ptrIiEEEEPS6_SG_NS0_5tupleIJNSA_16discard_iteratorINSA_11use_defaultEEESF_EEENSH_IJSG_SG_EEES6_PlJ7is_evenIiEEEE10hipError_tPvRmT3_T4_T5_T6_T7_T9_mT8_P12ihipStream_tbDpT10_ENKUlT_T0_E_clISt17integral_constantIbLb0EES18_IbLb1EEEEDaS14_S15_EUlS14_E_NS1_11comp_targetILNS1_3genE3ELNS1_11target_archE908ELNS1_3gpuE7ELNS1_3repE0EEENS1_30default_config_static_selectorELNS0_4arch9wavefront6targetE1EEEvT1_,comdat
	.protected	_ZN7rocprim17ROCPRIM_400000_NS6detail17trampoline_kernelINS0_14default_configENS1_25partition_config_selectorILNS1_17partition_subalgoE0EiNS0_10empty_typeEbEEZZNS1_14partition_implILS5_0ELb0ES3_jN6thrust23THRUST_200600_302600_NS6detail15normal_iteratorINSA_10device_ptrIiEEEEPS6_SG_NS0_5tupleIJNSA_16discard_iteratorINSA_11use_defaultEEESF_EEENSH_IJSG_SG_EEES6_PlJ7is_evenIiEEEE10hipError_tPvRmT3_T4_T5_T6_T7_T9_mT8_P12ihipStream_tbDpT10_ENKUlT_T0_E_clISt17integral_constantIbLb0EES18_IbLb1EEEEDaS14_S15_EUlS14_E_NS1_11comp_targetILNS1_3genE3ELNS1_11target_archE908ELNS1_3gpuE7ELNS1_3repE0EEENS1_30default_config_static_selectorELNS0_4arch9wavefront6targetE1EEEvT1_ ; -- Begin function _ZN7rocprim17ROCPRIM_400000_NS6detail17trampoline_kernelINS0_14default_configENS1_25partition_config_selectorILNS1_17partition_subalgoE0EiNS0_10empty_typeEbEEZZNS1_14partition_implILS5_0ELb0ES3_jN6thrust23THRUST_200600_302600_NS6detail15normal_iteratorINSA_10device_ptrIiEEEEPS6_SG_NS0_5tupleIJNSA_16discard_iteratorINSA_11use_defaultEEESF_EEENSH_IJSG_SG_EEES6_PlJ7is_evenIiEEEE10hipError_tPvRmT3_T4_T5_T6_T7_T9_mT8_P12ihipStream_tbDpT10_ENKUlT_T0_E_clISt17integral_constantIbLb0EES18_IbLb1EEEEDaS14_S15_EUlS14_E_NS1_11comp_targetILNS1_3genE3ELNS1_11target_archE908ELNS1_3gpuE7ELNS1_3repE0EEENS1_30default_config_static_selectorELNS0_4arch9wavefront6targetE1EEEvT1_
	.globl	_ZN7rocprim17ROCPRIM_400000_NS6detail17trampoline_kernelINS0_14default_configENS1_25partition_config_selectorILNS1_17partition_subalgoE0EiNS0_10empty_typeEbEEZZNS1_14partition_implILS5_0ELb0ES3_jN6thrust23THRUST_200600_302600_NS6detail15normal_iteratorINSA_10device_ptrIiEEEEPS6_SG_NS0_5tupleIJNSA_16discard_iteratorINSA_11use_defaultEEESF_EEENSH_IJSG_SG_EEES6_PlJ7is_evenIiEEEE10hipError_tPvRmT3_T4_T5_T6_T7_T9_mT8_P12ihipStream_tbDpT10_ENKUlT_T0_E_clISt17integral_constantIbLb0EES18_IbLb1EEEEDaS14_S15_EUlS14_E_NS1_11comp_targetILNS1_3genE3ELNS1_11target_archE908ELNS1_3gpuE7ELNS1_3repE0EEENS1_30default_config_static_selectorELNS0_4arch9wavefront6targetE1EEEvT1_
	.p2align	8
	.type	_ZN7rocprim17ROCPRIM_400000_NS6detail17trampoline_kernelINS0_14default_configENS1_25partition_config_selectorILNS1_17partition_subalgoE0EiNS0_10empty_typeEbEEZZNS1_14partition_implILS5_0ELb0ES3_jN6thrust23THRUST_200600_302600_NS6detail15normal_iteratorINSA_10device_ptrIiEEEEPS6_SG_NS0_5tupleIJNSA_16discard_iteratorINSA_11use_defaultEEESF_EEENSH_IJSG_SG_EEES6_PlJ7is_evenIiEEEE10hipError_tPvRmT3_T4_T5_T6_T7_T9_mT8_P12ihipStream_tbDpT10_ENKUlT_T0_E_clISt17integral_constantIbLb0EES18_IbLb1EEEEDaS14_S15_EUlS14_E_NS1_11comp_targetILNS1_3genE3ELNS1_11target_archE908ELNS1_3gpuE7ELNS1_3repE0EEENS1_30default_config_static_selectorELNS0_4arch9wavefront6targetE1EEEvT1_,@function
_ZN7rocprim17ROCPRIM_400000_NS6detail17trampoline_kernelINS0_14default_configENS1_25partition_config_selectorILNS1_17partition_subalgoE0EiNS0_10empty_typeEbEEZZNS1_14partition_implILS5_0ELb0ES3_jN6thrust23THRUST_200600_302600_NS6detail15normal_iteratorINSA_10device_ptrIiEEEEPS6_SG_NS0_5tupleIJNSA_16discard_iteratorINSA_11use_defaultEEESF_EEENSH_IJSG_SG_EEES6_PlJ7is_evenIiEEEE10hipError_tPvRmT3_T4_T5_T6_T7_T9_mT8_P12ihipStream_tbDpT10_ENKUlT_T0_E_clISt17integral_constantIbLb0EES18_IbLb1EEEEDaS14_S15_EUlS14_E_NS1_11comp_targetILNS1_3genE3ELNS1_11target_archE908ELNS1_3gpuE7ELNS1_3repE0EEENS1_30default_config_static_selectorELNS0_4arch9wavefront6targetE1EEEvT1_: ; @_ZN7rocprim17ROCPRIM_400000_NS6detail17trampoline_kernelINS0_14default_configENS1_25partition_config_selectorILNS1_17partition_subalgoE0EiNS0_10empty_typeEbEEZZNS1_14partition_implILS5_0ELb0ES3_jN6thrust23THRUST_200600_302600_NS6detail15normal_iteratorINSA_10device_ptrIiEEEEPS6_SG_NS0_5tupleIJNSA_16discard_iteratorINSA_11use_defaultEEESF_EEENSH_IJSG_SG_EEES6_PlJ7is_evenIiEEEE10hipError_tPvRmT3_T4_T5_T6_T7_T9_mT8_P12ihipStream_tbDpT10_ENKUlT_T0_E_clISt17integral_constantIbLb0EES18_IbLb1EEEEDaS14_S15_EUlS14_E_NS1_11comp_targetILNS1_3genE3ELNS1_11target_archE908ELNS1_3gpuE7ELNS1_3repE0EEENS1_30default_config_static_selectorELNS0_4arch9wavefront6targetE1EEEvT1_
; %bb.0:
	.section	.rodata,"a",@progbits
	.p2align	6, 0x0
	.amdhsa_kernel _ZN7rocprim17ROCPRIM_400000_NS6detail17trampoline_kernelINS0_14default_configENS1_25partition_config_selectorILNS1_17partition_subalgoE0EiNS0_10empty_typeEbEEZZNS1_14partition_implILS5_0ELb0ES3_jN6thrust23THRUST_200600_302600_NS6detail15normal_iteratorINSA_10device_ptrIiEEEEPS6_SG_NS0_5tupleIJNSA_16discard_iteratorINSA_11use_defaultEEESF_EEENSH_IJSG_SG_EEES6_PlJ7is_evenIiEEEE10hipError_tPvRmT3_T4_T5_T6_T7_T9_mT8_P12ihipStream_tbDpT10_ENKUlT_T0_E_clISt17integral_constantIbLb0EES18_IbLb1EEEEDaS14_S15_EUlS14_E_NS1_11comp_targetILNS1_3genE3ELNS1_11target_archE908ELNS1_3gpuE7ELNS1_3repE0EEENS1_30default_config_static_selectorELNS0_4arch9wavefront6targetE1EEEvT1_
		.amdhsa_group_segment_fixed_size 0
		.amdhsa_private_segment_fixed_size 0
		.amdhsa_kernarg_size 144
		.amdhsa_user_sgpr_count 2
		.amdhsa_user_sgpr_dispatch_ptr 0
		.amdhsa_user_sgpr_queue_ptr 0
		.amdhsa_user_sgpr_kernarg_segment_ptr 1
		.amdhsa_user_sgpr_dispatch_id 0
		.amdhsa_user_sgpr_kernarg_preload_length 0
		.amdhsa_user_sgpr_kernarg_preload_offset 0
		.amdhsa_user_sgpr_private_segment_size 0
		.amdhsa_uses_dynamic_stack 0
		.amdhsa_enable_private_segment 0
		.amdhsa_system_sgpr_workgroup_id_x 1
		.amdhsa_system_sgpr_workgroup_id_y 0
		.amdhsa_system_sgpr_workgroup_id_z 0
		.amdhsa_system_sgpr_workgroup_info 0
		.amdhsa_system_vgpr_workitem_id 0
		.amdhsa_next_free_vgpr 1
		.amdhsa_next_free_sgpr 0
		.amdhsa_accum_offset 4
		.amdhsa_reserve_vcc 0
		.amdhsa_float_round_mode_32 0
		.amdhsa_float_round_mode_16_64 0
		.amdhsa_float_denorm_mode_32 3
		.amdhsa_float_denorm_mode_16_64 3
		.amdhsa_dx10_clamp 1
		.amdhsa_ieee_mode 1
		.amdhsa_fp16_overflow 0
		.amdhsa_tg_split 0
		.amdhsa_exception_fp_ieee_invalid_op 0
		.amdhsa_exception_fp_denorm_src 0
		.amdhsa_exception_fp_ieee_div_zero 0
		.amdhsa_exception_fp_ieee_overflow 0
		.amdhsa_exception_fp_ieee_underflow 0
		.amdhsa_exception_fp_ieee_inexact 0
		.amdhsa_exception_int_div_zero 0
	.end_amdhsa_kernel
	.section	.text._ZN7rocprim17ROCPRIM_400000_NS6detail17trampoline_kernelINS0_14default_configENS1_25partition_config_selectorILNS1_17partition_subalgoE0EiNS0_10empty_typeEbEEZZNS1_14partition_implILS5_0ELb0ES3_jN6thrust23THRUST_200600_302600_NS6detail15normal_iteratorINSA_10device_ptrIiEEEEPS6_SG_NS0_5tupleIJNSA_16discard_iteratorINSA_11use_defaultEEESF_EEENSH_IJSG_SG_EEES6_PlJ7is_evenIiEEEE10hipError_tPvRmT3_T4_T5_T6_T7_T9_mT8_P12ihipStream_tbDpT10_ENKUlT_T0_E_clISt17integral_constantIbLb0EES18_IbLb1EEEEDaS14_S15_EUlS14_E_NS1_11comp_targetILNS1_3genE3ELNS1_11target_archE908ELNS1_3gpuE7ELNS1_3repE0EEENS1_30default_config_static_selectorELNS0_4arch9wavefront6targetE1EEEvT1_,"axG",@progbits,_ZN7rocprim17ROCPRIM_400000_NS6detail17trampoline_kernelINS0_14default_configENS1_25partition_config_selectorILNS1_17partition_subalgoE0EiNS0_10empty_typeEbEEZZNS1_14partition_implILS5_0ELb0ES3_jN6thrust23THRUST_200600_302600_NS6detail15normal_iteratorINSA_10device_ptrIiEEEEPS6_SG_NS0_5tupleIJNSA_16discard_iteratorINSA_11use_defaultEEESF_EEENSH_IJSG_SG_EEES6_PlJ7is_evenIiEEEE10hipError_tPvRmT3_T4_T5_T6_T7_T9_mT8_P12ihipStream_tbDpT10_ENKUlT_T0_E_clISt17integral_constantIbLb0EES18_IbLb1EEEEDaS14_S15_EUlS14_E_NS1_11comp_targetILNS1_3genE3ELNS1_11target_archE908ELNS1_3gpuE7ELNS1_3repE0EEENS1_30default_config_static_selectorELNS0_4arch9wavefront6targetE1EEEvT1_,comdat
.Lfunc_end2774:
	.size	_ZN7rocprim17ROCPRIM_400000_NS6detail17trampoline_kernelINS0_14default_configENS1_25partition_config_selectorILNS1_17partition_subalgoE0EiNS0_10empty_typeEbEEZZNS1_14partition_implILS5_0ELb0ES3_jN6thrust23THRUST_200600_302600_NS6detail15normal_iteratorINSA_10device_ptrIiEEEEPS6_SG_NS0_5tupleIJNSA_16discard_iteratorINSA_11use_defaultEEESF_EEENSH_IJSG_SG_EEES6_PlJ7is_evenIiEEEE10hipError_tPvRmT3_T4_T5_T6_T7_T9_mT8_P12ihipStream_tbDpT10_ENKUlT_T0_E_clISt17integral_constantIbLb0EES18_IbLb1EEEEDaS14_S15_EUlS14_E_NS1_11comp_targetILNS1_3genE3ELNS1_11target_archE908ELNS1_3gpuE7ELNS1_3repE0EEENS1_30default_config_static_selectorELNS0_4arch9wavefront6targetE1EEEvT1_, .Lfunc_end2774-_ZN7rocprim17ROCPRIM_400000_NS6detail17trampoline_kernelINS0_14default_configENS1_25partition_config_selectorILNS1_17partition_subalgoE0EiNS0_10empty_typeEbEEZZNS1_14partition_implILS5_0ELb0ES3_jN6thrust23THRUST_200600_302600_NS6detail15normal_iteratorINSA_10device_ptrIiEEEEPS6_SG_NS0_5tupleIJNSA_16discard_iteratorINSA_11use_defaultEEESF_EEENSH_IJSG_SG_EEES6_PlJ7is_evenIiEEEE10hipError_tPvRmT3_T4_T5_T6_T7_T9_mT8_P12ihipStream_tbDpT10_ENKUlT_T0_E_clISt17integral_constantIbLb0EES18_IbLb1EEEEDaS14_S15_EUlS14_E_NS1_11comp_targetILNS1_3genE3ELNS1_11target_archE908ELNS1_3gpuE7ELNS1_3repE0EEENS1_30default_config_static_selectorELNS0_4arch9wavefront6targetE1EEEvT1_
                                        ; -- End function
	.section	.AMDGPU.csdata,"",@progbits
; Kernel info:
; codeLenInByte = 0
; NumSgprs: 6
; NumVgprs: 0
; NumAgprs: 0
; TotalNumVgprs: 0
; ScratchSize: 0
; MemoryBound: 0
; FloatMode: 240
; IeeeMode: 1
; LDSByteSize: 0 bytes/workgroup (compile time only)
; SGPRBlocks: 0
; VGPRBlocks: 0
; NumSGPRsForWavesPerEU: 6
; NumVGPRsForWavesPerEU: 1
; AccumOffset: 4
; Occupancy: 8
; WaveLimiterHint : 0
; COMPUTE_PGM_RSRC2:SCRATCH_EN: 0
; COMPUTE_PGM_RSRC2:USER_SGPR: 2
; COMPUTE_PGM_RSRC2:TRAP_HANDLER: 0
; COMPUTE_PGM_RSRC2:TGID_X_EN: 1
; COMPUTE_PGM_RSRC2:TGID_Y_EN: 0
; COMPUTE_PGM_RSRC2:TGID_Z_EN: 0
; COMPUTE_PGM_RSRC2:TIDIG_COMP_CNT: 0
; COMPUTE_PGM_RSRC3_GFX90A:ACCUM_OFFSET: 0
; COMPUTE_PGM_RSRC3_GFX90A:TG_SPLIT: 0
	.section	.text._ZN7rocprim17ROCPRIM_400000_NS6detail17trampoline_kernelINS0_14default_configENS1_25partition_config_selectorILNS1_17partition_subalgoE0EiNS0_10empty_typeEbEEZZNS1_14partition_implILS5_0ELb0ES3_jN6thrust23THRUST_200600_302600_NS6detail15normal_iteratorINSA_10device_ptrIiEEEEPS6_SG_NS0_5tupleIJNSA_16discard_iteratorINSA_11use_defaultEEESF_EEENSH_IJSG_SG_EEES6_PlJ7is_evenIiEEEE10hipError_tPvRmT3_T4_T5_T6_T7_T9_mT8_P12ihipStream_tbDpT10_ENKUlT_T0_E_clISt17integral_constantIbLb0EES18_IbLb1EEEEDaS14_S15_EUlS14_E_NS1_11comp_targetILNS1_3genE2ELNS1_11target_archE906ELNS1_3gpuE6ELNS1_3repE0EEENS1_30default_config_static_selectorELNS0_4arch9wavefront6targetE1EEEvT1_,"axG",@progbits,_ZN7rocprim17ROCPRIM_400000_NS6detail17trampoline_kernelINS0_14default_configENS1_25partition_config_selectorILNS1_17partition_subalgoE0EiNS0_10empty_typeEbEEZZNS1_14partition_implILS5_0ELb0ES3_jN6thrust23THRUST_200600_302600_NS6detail15normal_iteratorINSA_10device_ptrIiEEEEPS6_SG_NS0_5tupleIJNSA_16discard_iteratorINSA_11use_defaultEEESF_EEENSH_IJSG_SG_EEES6_PlJ7is_evenIiEEEE10hipError_tPvRmT3_T4_T5_T6_T7_T9_mT8_P12ihipStream_tbDpT10_ENKUlT_T0_E_clISt17integral_constantIbLb0EES18_IbLb1EEEEDaS14_S15_EUlS14_E_NS1_11comp_targetILNS1_3genE2ELNS1_11target_archE906ELNS1_3gpuE6ELNS1_3repE0EEENS1_30default_config_static_selectorELNS0_4arch9wavefront6targetE1EEEvT1_,comdat
	.protected	_ZN7rocprim17ROCPRIM_400000_NS6detail17trampoline_kernelINS0_14default_configENS1_25partition_config_selectorILNS1_17partition_subalgoE0EiNS0_10empty_typeEbEEZZNS1_14partition_implILS5_0ELb0ES3_jN6thrust23THRUST_200600_302600_NS6detail15normal_iteratorINSA_10device_ptrIiEEEEPS6_SG_NS0_5tupleIJNSA_16discard_iteratorINSA_11use_defaultEEESF_EEENSH_IJSG_SG_EEES6_PlJ7is_evenIiEEEE10hipError_tPvRmT3_T4_T5_T6_T7_T9_mT8_P12ihipStream_tbDpT10_ENKUlT_T0_E_clISt17integral_constantIbLb0EES18_IbLb1EEEEDaS14_S15_EUlS14_E_NS1_11comp_targetILNS1_3genE2ELNS1_11target_archE906ELNS1_3gpuE6ELNS1_3repE0EEENS1_30default_config_static_selectorELNS0_4arch9wavefront6targetE1EEEvT1_ ; -- Begin function _ZN7rocprim17ROCPRIM_400000_NS6detail17trampoline_kernelINS0_14default_configENS1_25partition_config_selectorILNS1_17partition_subalgoE0EiNS0_10empty_typeEbEEZZNS1_14partition_implILS5_0ELb0ES3_jN6thrust23THRUST_200600_302600_NS6detail15normal_iteratorINSA_10device_ptrIiEEEEPS6_SG_NS0_5tupleIJNSA_16discard_iteratorINSA_11use_defaultEEESF_EEENSH_IJSG_SG_EEES6_PlJ7is_evenIiEEEE10hipError_tPvRmT3_T4_T5_T6_T7_T9_mT8_P12ihipStream_tbDpT10_ENKUlT_T0_E_clISt17integral_constantIbLb0EES18_IbLb1EEEEDaS14_S15_EUlS14_E_NS1_11comp_targetILNS1_3genE2ELNS1_11target_archE906ELNS1_3gpuE6ELNS1_3repE0EEENS1_30default_config_static_selectorELNS0_4arch9wavefront6targetE1EEEvT1_
	.globl	_ZN7rocprim17ROCPRIM_400000_NS6detail17trampoline_kernelINS0_14default_configENS1_25partition_config_selectorILNS1_17partition_subalgoE0EiNS0_10empty_typeEbEEZZNS1_14partition_implILS5_0ELb0ES3_jN6thrust23THRUST_200600_302600_NS6detail15normal_iteratorINSA_10device_ptrIiEEEEPS6_SG_NS0_5tupleIJNSA_16discard_iteratorINSA_11use_defaultEEESF_EEENSH_IJSG_SG_EEES6_PlJ7is_evenIiEEEE10hipError_tPvRmT3_T4_T5_T6_T7_T9_mT8_P12ihipStream_tbDpT10_ENKUlT_T0_E_clISt17integral_constantIbLb0EES18_IbLb1EEEEDaS14_S15_EUlS14_E_NS1_11comp_targetILNS1_3genE2ELNS1_11target_archE906ELNS1_3gpuE6ELNS1_3repE0EEENS1_30default_config_static_selectorELNS0_4arch9wavefront6targetE1EEEvT1_
	.p2align	8
	.type	_ZN7rocprim17ROCPRIM_400000_NS6detail17trampoline_kernelINS0_14default_configENS1_25partition_config_selectorILNS1_17partition_subalgoE0EiNS0_10empty_typeEbEEZZNS1_14partition_implILS5_0ELb0ES3_jN6thrust23THRUST_200600_302600_NS6detail15normal_iteratorINSA_10device_ptrIiEEEEPS6_SG_NS0_5tupleIJNSA_16discard_iteratorINSA_11use_defaultEEESF_EEENSH_IJSG_SG_EEES6_PlJ7is_evenIiEEEE10hipError_tPvRmT3_T4_T5_T6_T7_T9_mT8_P12ihipStream_tbDpT10_ENKUlT_T0_E_clISt17integral_constantIbLb0EES18_IbLb1EEEEDaS14_S15_EUlS14_E_NS1_11comp_targetILNS1_3genE2ELNS1_11target_archE906ELNS1_3gpuE6ELNS1_3repE0EEENS1_30default_config_static_selectorELNS0_4arch9wavefront6targetE1EEEvT1_,@function
_ZN7rocprim17ROCPRIM_400000_NS6detail17trampoline_kernelINS0_14default_configENS1_25partition_config_selectorILNS1_17partition_subalgoE0EiNS0_10empty_typeEbEEZZNS1_14partition_implILS5_0ELb0ES3_jN6thrust23THRUST_200600_302600_NS6detail15normal_iteratorINSA_10device_ptrIiEEEEPS6_SG_NS0_5tupleIJNSA_16discard_iteratorINSA_11use_defaultEEESF_EEENSH_IJSG_SG_EEES6_PlJ7is_evenIiEEEE10hipError_tPvRmT3_T4_T5_T6_T7_T9_mT8_P12ihipStream_tbDpT10_ENKUlT_T0_E_clISt17integral_constantIbLb0EES18_IbLb1EEEEDaS14_S15_EUlS14_E_NS1_11comp_targetILNS1_3genE2ELNS1_11target_archE906ELNS1_3gpuE6ELNS1_3repE0EEENS1_30default_config_static_selectorELNS0_4arch9wavefront6targetE1EEEvT1_: ; @_ZN7rocprim17ROCPRIM_400000_NS6detail17trampoline_kernelINS0_14default_configENS1_25partition_config_selectorILNS1_17partition_subalgoE0EiNS0_10empty_typeEbEEZZNS1_14partition_implILS5_0ELb0ES3_jN6thrust23THRUST_200600_302600_NS6detail15normal_iteratorINSA_10device_ptrIiEEEEPS6_SG_NS0_5tupleIJNSA_16discard_iteratorINSA_11use_defaultEEESF_EEENSH_IJSG_SG_EEES6_PlJ7is_evenIiEEEE10hipError_tPvRmT3_T4_T5_T6_T7_T9_mT8_P12ihipStream_tbDpT10_ENKUlT_T0_E_clISt17integral_constantIbLb0EES18_IbLb1EEEEDaS14_S15_EUlS14_E_NS1_11comp_targetILNS1_3genE2ELNS1_11target_archE906ELNS1_3gpuE6ELNS1_3repE0EEENS1_30default_config_static_selectorELNS0_4arch9wavefront6targetE1EEEvT1_
; %bb.0:
	.section	.rodata,"a",@progbits
	.p2align	6, 0x0
	.amdhsa_kernel _ZN7rocprim17ROCPRIM_400000_NS6detail17trampoline_kernelINS0_14default_configENS1_25partition_config_selectorILNS1_17partition_subalgoE0EiNS0_10empty_typeEbEEZZNS1_14partition_implILS5_0ELb0ES3_jN6thrust23THRUST_200600_302600_NS6detail15normal_iteratorINSA_10device_ptrIiEEEEPS6_SG_NS0_5tupleIJNSA_16discard_iteratorINSA_11use_defaultEEESF_EEENSH_IJSG_SG_EEES6_PlJ7is_evenIiEEEE10hipError_tPvRmT3_T4_T5_T6_T7_T9_mT8_P12ihipStream_tbDpT10_ENKUlT_T0_E_clISt17integral_constantIbLb0EES18_IbLb1EEEEDaS14_S15_EUlS14_E_NS1_11comp_targetILNS1_3genE2ELNS1_11target_archE906ELNS1_3gpuE6ELNS1_3repE0EEENS1_30default_config_static_selectorELNS0_4arch9wavefront6targetE1EEEvT1_
		.amdhsa_group_segment_fixed_size 0
		.amdhsa_private_segment_fixed_size 0
		.amdhsa_kernarg_size 144
		.amdhsa_user_sgpr_count 2
		.amdhsa_user_sgpr_dispatch_ptr 0
		.amdhsa_user_sgpr_queue_ptr 0
		.amdhsa_user_sgpr_kernarg_segment_ptr 1
		.amdhsa_user_sgpr_dispatch_id 0
		.amdhsa_user_sgpr_kernarg_preload_length 0
		.amdhsa_user_sgpr_kernarg_preload_offset 0
		.amdhsa_user_sgpr_private_segment_size 0
		.amdhsa_uses_dynamic_stack 0
		.amdhsa_enable_private_segment 0
		.amdhsa_system_sgpr_workgroup_id_x 1
		.amdhsa_system_sgpr_workgroup_id_y 0
		.amdhsa_system_sgpr_workgroup_id_z 0
		.amdhsa_system_sgpr_workgroup_info 0
		.amdhsa_system_vgpr_workitem_id 0
		.amdhsa_next_free_vgpr 1
		.amdhsa_next_free_sgpr 0
		.amdhsa_accum_offset 4
		.amdhsa_reserve_vcc 0
		.amdhsa_float_round_mode_32 0
		.amdhsa_float_round_mode_16_64 0
		.amdhsa_float_denorm_mode_32 3
		.amdhsa_float_denorm_mode_16_64 3
		.amdhsa_dx10_clamp 1
		.amdhsa_ieee_mode 1
		.amdhsa_fp16_overflow 0
		.amdhsa_tg_split 0
		.amdhsa_exception_fp_ieee_invalid_op 0
		.amdhsa_exception_fp_denorm_src 0
		.amdhsa_exception_fp_ieee_div_zero 0
		.amdhsa_exception_fp_ieee_overflow 0
		.amdhsa_exception_fp_ieee_underflow 0
		.amdhsa_exception_fp_ieee_inexact 0
		.amdhsa_exception_int_div_zero 0
	.end_amdhsa_kernel
	.section	.text._ZN7rocprim17ROCPRIM_400000_NS6detail17trampoline_kernelINS0_14default_configENS1_25partition_config_selectorILNS1_17partition_subalgoE0EiNS0_10empty_typeEbEEZZNS1_14partition_implILS5_0ELb0ES3_jN6thrust23THRUST_200600_302600_NS6detail15normal_iteratorINSA_10device_ptrIiEEEEPS6_SG_NS0_5tupleIJNSA_16discard_iteratorINSA_11use_defaultEEESF_EEENSH_IJSG_SG_EEES6_PlJ7is_evenIiEEEE10hipError_tPvRmT3_T4_T5_T6_T7_T9_mT8_P12ihipStream_tbDpT10_ENKUlT_T0_E_clISt17integral_constantIbLb0EES18_IbLb1EEEEDaS14_S15_EUlS14_E_NS1_11comp_targetILNS1_3genE2ELNS1_11target_archE906ELNS1_3gpuE6ELNS1_3repE0EEENS1_30default_config_static_selectorELNS0_4arch9wavefront6targetE1EEEvT1_,"axG",@progbits,_ZN7rocprim17ROCPRIM_400000_NS6detail17trampoline_kernelINS0_14default_configENS1_25partition_config_selectorILNS1_17partition_subalgoE0EiNS0_10empty_typeEbEEZZNS1_14partition_implILS5_0ELb0ES3_jN6thrust23THRUST_200600_302600_NS6detail15normal_iteratorINSA_10device_ptrIiEEEEPS6_SG_NS0_5tupleIJNSA_16discard_iteratorINSA_11use_defaultEEESF_EEENSH_IJSG_SG_EEES6_PlJ7is_evenIiEEEE10hipError_tPvRmT3_T4_T5_T6_T7_T9_mT8_P12ihipStream_tbDpT10_ENKUlT_T0_E_clISt17integral_constantIbLb0EES18_IbLb1EEEEDaS14_S15_EUlS14_E_NS1_11comp_targetILNS1_3genE2ELNS1_11target_archE906ELNS1_3gpuE6ELNS1_3repE0EEENS1_30default_config_static_selectorELNS0_4arch9wavefront6targetE1EEEvT1_,comdat
.Lfunc_end2775:
	.size	_ZN7rocprim17ROCPRIM_400000_NS6detail17trampoline_kernelINS0_14default_configENS1_25partition_config_selectorILNS1_17partition_subalgoE0EiNS0_10empty_typeEbEEZZNS1_14partition_implILS5_0ELb0ES3_jN6thrust23THRUST_200600_302600_NS6detail15normal_iteratorINSA_10device_ptrIiEEEEPS6_SG_NS0_5tupleIJNSA_16discard_iteratorINSA_11use_defaultEEESF_EEENSH_IJSG_SG_EEES6_PlJ7is_evenIiEEEE10hipError_tPvRmT3_T4_T5_T6_T7_T9_mT8_P12ihipStream_tbDpT10_ENKUlT_T0_E_clISt17integral_constantIbLb0EES18_IbLb1EEEEDaS14_S15_EUlS14_E_NS1_11comp_targetILNS1_3genE2ELNS1_11target_archE906ELNS1_3gpuE6ELNS1_3repE0EEENS1_30default_config_static_selectorELNS0_4arch9wavefront6targetE1EEEvT1_, .Lfunc_end2775-_ZN7rocprim17ROCPRIM_400000_NS6detail17trampoline_kernelINS0_14default_configENS1_25partition_config_selectorILNS1_17partition_subalgoE0EiNS0_10empty_typeEbEEZZNS1_14partition_implILS5_0ELb0ES3_jN6thrust23THRUST_200600_302600_NS6detail15normal_iteratorINSA_10device_ptrIiEEEEPS6_SG_NS0_5tupleIJNSA_16discard_iteratorINSA_11use_defaultEEESF_EEENSH_IJSG_SG_EEES6_PlJ7is_evenIiEEEE10hipError_tPvRmT3_T4_T5_T6_T7_T9_mT8_P12ihipStream_tbDpT10_ENKUlT_T0_E_clISt17integral_constantIbLb0EES18_IbLb1EEEEDaS14_S15_EUlS14_E_NS1_11comp_targetILNS1_3genE2ELNS1_11target_archE906ELNS1_3gpuE6ELNS1_3repE0EEENS1_30default_config_static_selectorELNS0_4arch9wavefront6targetE1EEEvT1_
                                        ; -- End function
	.section	.AMDGPU.csdata,"",@progbits
; Kernel info:
; codeLenInByte = 0
; NumSgprs: 6
; NumVgprs: 0
; NumAgprs: 0
; TotalNumVgprs: 0
; ScratchSize: 0
; MemoryBound: 0
; FloatMode: 240
; IeeeMode: 1
; LDSByteSize: 0 bytes/workgroup (compile time only)
; SGPRBlocks: 0
; VGPRBlocks: 0
; NumSGPRsForWavesPerEU: 6
; NumVGPRsForWavesPerEU: 1
; AccumOffset: 4
; Occupancy: 8
; WaveLimiterHint : 0
; COMPUTE_PGM_RSRC2:SCRATCH_EN: 0
; COMPUTE_PGM_RSRC2:USER_SGPR: 2
; COMPUTE_PGM_RSRC2:TRAP_HANDLER: 0
; COMPUTE_PGM_RSRC2:TGID_X_EN: 1
; COMPUTE_PGM_RSRC2:TGID_Y_EN: 0
; COMPUTE_PGM_RSRC2:TGID_Z_EN: 0
; COMPUTE_PGM_RSRC2:TIDIG_COMP_CNT: 0
; COMPUTE_PGM_RSRC3_GFX90A:ACCUM_OFFSET: 0
; COMPUTE_PGM_RSRC3_GFX90A:TG_SPLIT: 0
	.section	.text._ZN7rocprim17ROCPRIM_400000_NS6detail17trampoline_kernelINS0_14default_configENS1_25partition_config_selectorILNS1_17partition_subalgoE0EiNS0_10empty_typeEbEEZZNS1_14partition_implILS5_0ELb0ES3_jN6thrust23THRUST_200600_302600_NS6detail15normal_iteratorINSA_10device_ptrIiEEEEPS6_SG_NS0_5tupleIJNSA_16discard_iteratorINSA_11use_defaultEEESF_EEENSH_IJSG_SG_EEES6_PlJ7is_evenIiEEEE10hipError_tPvRmT3_T4_T5_T6_T7_T9_mT8_P12ihipStream_tbDpT10_ENKUlT_T0_E_clISt17integral_constantIbLb0EES18_IbLb1EEEEDaS14_S15_EUlS14_E_NS1_11comp_targetILNS1_3genE10ELNS1_11target_archE1200ELNS1_3gpuE4ELNS1_3repE0EEENS1_30default_config_static_selectorELNS0_4arch9wavefront6targetE1EEEvT1_,"axG",@progbits,_ZN7rocprim17ROCPRIM_400000_NS6detail17trampoline_kernelINS0_14default_configENS1_25partition_config_selectorILNS1_17partition_subalgoE0EiNS0_10empty_typeEbEEZZNS1_14partition_implILS5_0ELb0ES3_jN6thrust23THRUST_200600_302600_NS6detail15normal_iteratorINSA_10device_ptrIiEEEEPS6_SG_NS0_5tupleIJNSA_16discard_iteratorINSA_11use_defaultEEESF_EEENSH_IJSG_SG_EEES6_PlJ7is_evenIiEEEE10hipError_tPvRmT3_T4_T5_T6_T7_T9_mT8_P12ihipStream_tbDpT10_ENKUlT_T0_E_clISt17integral_constantIbLb0EES18_IbLb1EEEEDaS14_S15_EUlS14_E_NS1_11comp_targetILNS1_3genE10ELNS1_11target_archE1200ELNS1_3gpuE4ELNS1_3repE0EEENS1_30default_config_static_selectorELNS0_4arch9wavefront6targetE1EEEvT1_,comdat
	.protected	_ZN7rocprim17ROCPRIM_400000_NS6detail17trampoline_kernelINS0_14default_configENS1_25partition_config_selectorILNS1_17partition_subalgoE0EiNS0_10empty_typeEbEEZZNS1_14partition_implILS5_0ELb0ES3_jN6thrust23THRUST_200600_302600_NS6detail15normal_iteratorINSA_10device_ptrIiEEEEPS6_SG_NS0_5tupleIJNSA_16discard_iteratorINSA_11use_defaultEEESF_EEENSH_IJSG_SG_EEES6_PlJ7is_evenIiEEEE10hipError_tPvRmT3_T4_T5_T6_T7_T9_mT8_P12ihipStream_tbDpT10_ENKUlT_T0_E_clISt17integral_constantIbLb0EES18_IbLb1EEEEDaS14_S15_EUlS14_E_NS1_11comp_targetILNS1_3genE10ELNS1_11target_archE1200ELNS1_3gpuE4ELNS1_3repE0EEENS1_30default_config_static_selectorELNS0_4arch9wavefront6targetE1EEEvT1_ ; -- Begin function _ZN7rocprim17ROCPRIM_400000_NS6detail17trampoline_kernelINS0_14default_configENS1_25partition_config_selectorILNS1_17partition_subalgoE0EiNS0_10empty_typeEbEEZZNS1_14partition_implILS5_0ELb0ES3_jN6thrust23THRUST_200600_302600_NS6detail15normal_iteratorINSA_10device_ptrIiEEEEPS6_SG_NS0_5tupleIJNSA_16discard_iteratorINSA_11use_defaultEEESF_EEENSH_IJSG_SG_EEES6_PlJ7is_evenIiEEEE10hipError_tPvRmT3_T4_T5_T6_T7_T9_mT8_P12ihipStream_tbDpT10_ENKUlT_T0_E_clISt17integral_constantIbLb0EES18_IbLb1EEEEDaS14_S15_EUlS14_E_NS1_11comp_targetILNS1_3genE10ELNS1_11target_archE1200ELNS1_3gpuE4ELNS1_3repE0EEENS1_30default_config_static_selectorELNS0_4arch9wavefront6targetE1EEEvT1_
	.globl	_ZN7rocprim17ROCPRIM_400000_NS6detail17trampoline_kernelINS0_14default_configENS1_25partition_config_selectorILNS1_17partition_subalgoE0EiNS0_10empty_typeEbEEZZNS1_14partition_implILS5_0ELb0ES3_jN6thrust23THRUST_200600_302600_NS6detail15normal_iteratorINSA_10device_ptrIiEEEEPS6_SG_NS0_5tupleIJNSA_16discard_iteratorINSA_11use_defaultEEESF_EEENSH_IJSG_SG_EEES6_PlJ7is_evenIiEEEE10hipError_tPvRmT3_T4_T5_T6_T7_T9_mT8_P12ihipStream_tbDpT10_ENKUlT_T0_E_clISt17integral_constantIbLb0EES18_IbLb1EEEEDaS14_S15_EUlS14_E_NS1_11comp_targetILNS1_3genE10ELNS1_11target_archE1200ELNS1_3gpuE4ELNS1_3repE0EEENS1_30default_config_static_selectorELNS0_4arch9wavefront6targetE1EEEvT1_
	.p2align	8
	.type	_ZN7rocprim17ROCPRIM_400000_NS6detail17trampoline_kernelINS0_14default_configENS1_25partition_config_selectorILNS1_17partition_subalgoE0EiNS0_10empty_typeEbEEZZNS1_14partition_implILS5_0ELb0ES3_jN6thrust23THRUST_200600_302600_NS6detail15normal_iteratorINSA_10device_ptrIiEEEEPS6_SG_NS0_5tupleIJNSA_16discard_iteratorINSA_11use_defaultEEESF_EEENSH_IJSG_SG_EEES6_PlJ7is_evenIiEEEE10hipError_tPvRmT3_T4_T5_T6_T7_T9_mT8_P12ihipStream_tbDpT10_ENKUlT_T0_E_clISt17integral_constantIbLb0EES18_IbLb1EEEEDaS14_S15_EUlS14_E_NS1_11comp_targetILNS1_3genE10ELNS1_11target_archE1200ELNS1_3gpuE4ELNS1_3repE0EEENS1_30default_config_static_selectorELNS0_4arch9wavefront6targetE1EEEvT1_,@function
_ZN7rocprim17ROCPRIM_400000_NS6detail17trampoline_kernelINS0_14default_configENS1_25partition_config_selectorILNS1_17partition_subalgoE0EiNS0_10empty_typeEbEEZZNS1_14partition_implILS5_0ELb0ES3_jN6thrust23THRUST_200600_302600_NS6detail15normal_iteratorINSA_10device_ptrIiEEEEPS6_SG_NS0_5tupleIJNSA_16discard_iteratorINSA_11use_defaultEEESF_EEENSH_IJSG_SG_EEES6_PlJ7is_evenIiEEEE10hipError_tPvRmT3_T4_T5_T6_T7_T9_mT8_P12ihipStream_tbDpT10_ENKUlT_T0_E_clISt17integral_constantIbLb0EES18_IbLb1EEEEDaS14_S15_EUlS14_E_NS1_11comp_targetILNS1_3genE10ELNS1_11target_archE1200ELNS1_3gpuE4ELNS1_3repE0EEENS1_30default_config_static_selectorELNS0_4arch9wavefront6targetE1EEEvT1_: ; @_ZN7rocprim17ROCPRIM_400000_NS6detail17trampoline_kernelINS0_14default_configENS1_25partition_config_selectorILNS1_17partition_subalgoE0EiNS0_10empty_typeEbEEZZNS1_14partition_implILS5_0ELb0ES3_jN6thrust23THRUST_200600_302600_NS6detail15normal_iteratorINSA_10device_ptrIiEEEEPS6_SG_NS0_5tupleIJNSA_16discard_iteratorINSA_11use_defaultEEESF_EEENSH_IJSG_SG_EEES6_PlJ7is_evenIiEEEE10hipError_tPvRmT3_T4_T5_T6_T7_T9_mT8_P12ihipStream_tbDpT10_ENKUlT_T0_E_clISt17integral_constantIbLb0EES18_IbLb1EEEEDaS14_S15_EUlS14_E_NS1_11comp_targetILNS1_3genE10ELNS1_11target_archE1200ELNS1_3gpuE4ELNS1_3repE0EEENS1_30default_config_static_selectorELNS0_4arch9wavefront6targetE1EEEvT1_
; %bb.0:
	.section	.rodata,"a",@progbits
	.p2align	6, 0x0
	.amdhsa_kernel _ZN7rocprim17ROCPRIM_400000_NS6detail17trampoline_kernelINS0_14default_configENS1_25partition_config_selectorILNS1_17partition_subalgoE0EiNS0_10empty_typeEbEEZZNS1_14partition_implILS5_0ELb0ES3_jN6thrust23THRUST_200600_302600_NS6detail15normal_iteratorINSA_10device_ptrIiEEEEPS6_SG_NS0_5tupleIJNSA_16discard_iteratorINSA_11use_defaultEEESF_EEENSH_IJSG_SG_EEES6_PlJ7is_evenIiEEEE10hipError_tPvRmT3_T4_T5_T6_T7_T9_mT8_P12ihipStream_tbDpT10_ENKUlT_T0_E_clISt17integral_constantIbLb0EES18_IbLb1EEEEDaS14_S15_EUlS14_E_NS1_11comp_targetILNS1_3genE10ELNS1_11target_archE1200ELNS1_3gpuE4ELNS1_3repE0EEENS1_30default_config_static_selectorELNS0_4arch9wavefront6targetE1EEEvT1_
		.amdhsa_group_segment_fixed_size 0
		.amdhsa_private_segment_fixed_size 0
		.amdhsa_kernarg_size 144
		.amdhsa_user_sgpr_count 2
		.amdhsa_user_sgpr_dispatch_ptr 0
		.amdhsa_user_sgpr_queue_ptr 0
		.amdhsa_user_sgpr_kernarg_segment_ptr 1
		.amdhsa_user_sgpr_dispatch_id 0
		.amdhsa_user_sgpr_kernarg_preload_length 0
		.amdhsa_user_sgpr_kernarg_preload_offset 0
		.amdhsa_user_sgpr_private_segment_size 0
		.amdhsa_uses_dynamic_stack 0
		.amdhsa_enable_private_segment 0
		.amdhsa_system_sgpr_workgroup_id_x 1
		.amdhsa_system_sgpr_workgroup_id_y 0
		.amdhsa_system_sgpr_workgroup_id_z 0
		.amdhsa_system_sgpr_workgroup_info 0
		.amdhsa_system_vgpr_workitem_id 0
		.amdhsa_next_free_vgpr 1
		.amdhsa_next_free_sgpr 0
		.amdhsa_accum_offset 4
		.amdhsa_reserve_vcc 0
		.amdhsa_float_round_mode_32 0
		.amdhsa_float_round_mode_16_64 0
		.amdhsa_float_denorm_mode_32 3
		.amdhsa_float_denorm_mode_16_64 3
		.amdhsa_dx10_clamp 1
		.amdhsa_ieee_mode 1
		.amdhsa_fp16_overflow 0
		.amdhsa_tg_split 0
		.amdhsa_exception_fp_ieee_invalid_op 0
		.amdhsa_exception_fp_denorm_src 0
		.amdhsa_exception_fp_ieee_div_zero 0
		.amdhsa_exception_fp_ieee_overflow 0
		.amdhsa_exception_fp_ieee_underflow 0
		.amdhsa_exception_fp_ieee_inexact 0
		.amdhsa_exception_int_div_zero 0
	.end_amdhsa_kernel
	.section	.text._ZN7rocprim17ROCPRIM_400000_NS6detail17trampoline_kernelINS0_14default_configENS1_25partition_config_selectorILNS1_17partition_subalgoE0EiNS0_10empty_typeEbEEZZNS1_14partition_implILS5_0ELb0ES3_jN6thrust23THRUST_200600_302600_NS6detail15normal_iteratorINSA_10device_ptrIiEEEEPS6_SG_NS0_5tupleIJNSA_16discard_iteratorINSA_11use_defaultEEESF_EEENSH_IJSG_SG_EEES6_PlJ7is_evenIiEEEE10hipError_tPvRmT3_T4_T5_T6_T7_T9_mT8_P12ihipStream_tbDpT10_ENKUlT_T0_E_clISt17integral_constantIbLb0EES18_IbLb1EEEEDaS14_S15_EUlS14_E_NS1_11comp_targetILNS1_3genE10ELNS1_11target_archE1200ELNS1_3gpuE4ELNS1_3repE0EEENS1_30default_config_static_selectorELNS0_4arch9wavefront6targetE1EEEvT1_,"axG",@progbits,_ZN7rocprim17ROCPRIM_400000_NS6detail17trampoline_kernelINS0_14default_configENS1_25partition_config_selectorILNS1_17partition_subalgoE0EiNS0_10empty_typeEbEEZZNS1_14partition_implILS5_0ELb0ES3_jN6thrust23THRUST_200600_302600_NS6detail15normal_iteratorINSA_10device_ptrIiEEEEPS6_SG_NS0_5tupleIJNSA_16discard_iteratorINSA_11use_defaultEEESF_EEENSH_IJSG_SG_EEES6_PlJ7is_evenIiEEEE10hipError_tPvRmT3_T4_T5_T6_T7_T9_mT8_P12ihipStream_tbDpT10_ENKUlT_T0_E_clISt17integral_constantIbLb0EES18_IbLb1EEEEDaS14_S15_EUlS14_E_NS1_11comp_targetILNS1_3genE10ELNS1_11target_archE1200ELNS1_3gpuE4ELNS1_3repE0EEENS1_30default_config_static_selectorELNS0_4arch9wavefront6targetE1EEEvT1_,comdat
.Lfunc_end2776:
	.size	_ZN7rocprim17ROCPRIM_400000_NS6detail17trampoline_kernelINS0_14default_configENS1_25partition_config_selectorILNS1_17partition_subalgoE0EiNS0_10empty_typeEbEEZZNS1_14partition_implILS5_0ELb0ES3_jN6thrust23THRUST_200600_302600_NS6detail15normal_iteratorINSA_10device_ptrIiEEEEPS6_SG_NS0_5tupleIJNSA_16discard_iteratorINSA_11use_defaultEEESF_EEENSH_IJSG_SG_EEES6_PlJ7is_evenIiEEEE10hipError_tPvRmT3_T4_T5_T6_T7_T9_mT8_P12ihipStream_tbDpT10_ENKUlT_T0_E_clISt17integral_constantIbLb0EES18_IbLb1EEEEDaS14_S15_EUlS14_E_NS1_11comp_targetILNS1_3genE10ELNS1_11target_archE1200ELNS1_3gpuE4ELNS1_3repE0EEENS1_30default_config_static_selectorELNS0_4arch9wavefront6targetE1EEEvT1_, .Lfunc_end2776-_ZN7rocprim17ROCPRIM_400000_NS6detail17trampoline_kernelINS0_14default_configENS1_25partition_config_selectorILNS1_17partition_subalgoE0EiNS0_10empty_typeEbEEZZNS1_14partition_implILS5_0ELb0ES3_jN6thrust23THRUST_200600_302600_NS6detail15normal_iteratorINSA_10device_ptrIiEEEEPS6_SG_NS0_5tupleIJNSA_16discard_iteratorINSA_11use_defaultEEESF_EEENSH_IJSG_SG_EEES6_PlJ7is_evenIiEEEE10hipError_tPvRmT3_T4_T5_T6_T7_T9_mT8_P12ihipStream_tbDpT10_ENKUlT_T0_E_clISt17integral_constantIbLb0EES18_IbLb1EEEEDaS14_S15_EUlS14_E_NS1_11comp_targetILNS1_3genE10ELNS1_11target_archE1200ELNS1_3gpuE4ELNS1_3repE0EEENS1_30default_config_static_selectorELNS0_4arch9wavefront6targetE1EEEvT1_
                                        ; -- End function
	.section	.AMDGPU.csdata,"",@progbits
; Kernel info:
; codeLenInByte = 0
; NumSgprs: 6
; NumVgprs: 0
; NumAgprs: 0
; TotalNumVgprs: 0
; ScratchSize: 0
; MemoryBound: 0
; FloatMode: 240
; IeeeMode: 1
; LDSByteSize: 0 bytes/workgroup (compile time only)
; SGPRBlocks: 0
; VGPRBlocks: 0
; NumSGPRsForWavesPerEU: 6
; NumVGPRsForWavesPerEU: 1
; AccumOffset: 4
; Occupancy: 8
; WaveLimiterHint : 0
; COMPUTE_PGM_RSRC2:SCRATCH_EN: 0
; COMPUTE_PGM_RSRC2:USER_SGPR: 2
; COMPUTE_PGM_RSRC2:TRAP_HANDLER: 0
; COMPUTE_PGM_RSRC2:TGID_X_EN: 1
; COMPUTE_PGM_RSRC2:TGID_Y_EN: 0
; COMPUTE_PGM_RSRC2:TGID_Z_EN: 0
; COMPUTE_PGM_RSRC2:TIDIG_COMP_CNT: 0
; COMPUTE_PGM_RSRC3_GFX90A:ACCUM_OFFSET: 0
; COMPUTE_PGM_RSRC3_GFX90A:TG_SPLIT: 0
	.section	.text._ZN7rocprim17ROCPRIM_400000_NS6detail17trampoline_kernelINS0_14default_configENS1_25partition_config_selectorILNS1_17partition_subalgoE0EiNS0_10empty_typeEbEEZZNS1_14partition_implILS5_0ELb0ES3_jN6thrust23THRUST_200600_302600_NS6detail15normal_iteratorINSA_10device_ptrIiEEEEPS6_SG_NS0_5tupleIJNSA_16discard_iteratorINSA_11use_defaultEEESF_EEENSH_IJSG_SG_EEES6_PlJ7is_evenIiEEEE10hipError_tPvRmT3_T4_T5_T6_T7_T9_mT8_P12ihipStream_tbDpT10_ENKUlT_T0_E_clISt17integral_constantIbLb0EES18_IbLb1EEEEDaS14_S15_EUlS14_E_NS1_11comp_targetILNS1_3genE9ELNS1_11target_archE1100ELNS1_3gpuE3ELNS1_3repE0EEENS1_30default_config_static_selectorELNS0_4arch9wavefront6targetE1EEEvT1_,"axG",@progbits,_ZN7rocprim17ROCPRIM_400000_NS6detail17trampoline_kernelINS0_14default_configENS1_25partition_config_selectorILNS1_17partition_subalgoE0EiNS0_10empty_typeEbEEZZNS1_14partition_implILS5_0ELb0ES3_jN6thrust23THRUST_200600_302600_NS6detail15normal_iteratorINSA_10device_ptrIiEEEEPS6_SG_NS0_5tupleIJNSA_16discard_iteratorINSA_11use_defaultEEESF_EEENSH_IJSG_SG_EEES6_PlJ7is_evenIiEEEE10hipError_tPvRmT3_T4_T5_T6_T7_T9_mT8_P12ihipStream_tbDpT10_ENKUlT_T0_E_clISt17integral_constantIbLb0EES18_IbLb1EEEEDaS14_S15_EUlS14_E_NS1_11comp_targetILNS1_3genE9ELNS1_11target_archE1100ELNS1_3gpuE3ELNS1_3repE0EEENS1_30default_config_static_selectorELNS0_4arch9wavefront6targetE1EEEvT1_,comdat
	.protected	_ZN7rocprim17ROCPRIM_400000_NS6detail17trampoline_kernelINS0_14default_configENS1_25partition_config_selectorILNS1_17partition_subalgoE0EiNS0_10empty_typeEbEEZZNS1_14partition_implILS5_0ELb0ES3_jN6thrust23THRUST_200600_302600_NS6detail15normal_iteratorINSA_10device_ptrIiEEEEPS6_SG_NS0_5tupleIJNSA_16discard_iteratorINSA_11use_defaultEEESF_EEENSH_IJSG_SG_EEES6_PlJ7is_evenIiEEEE10hipError_tPvRmT3_T4_T5_T6_T7_T9_mT8_P12ihipStream_tbDpT10_ENKUlT_T0_E_clISt17integral_constantIbLb0EES18_IbLb1EEEEDaS14_S15_EUlS14_E_NS1_11comp_targetILNS1_3genE9ELNS1_11target_archE1100ELNS1_3gpuE3ELNS1_3repE0EEENS1_30default_config_static_selectorELNS0_4arch9wavefront6targetE1EEEvT1_ ; -- Begin function _ZN7rocprim17ROCPRIM_400000_NS6detail17trampoline_kernelINS0_14default_configENS1_25partition_config_selectorILNS1_17partition_subalgoE0EiNS0_10empty_typeEbEEZZNS1_14partition_implILS5_0ELb0ES3_jN6thrust23THRUST_200600_302600_NS6detail15normal_iteratorINSA_10device_ptrIiEEEEPS6_SG_NS0_5tupleIJNSA_16discard_iteratorINSA_11use_defaultEEESF_EEENSH_IJSG_SG_EEES6_PlJ7is_evenIiEEEE10hipError_tPvRmT3_T4_T5_T6_T7_T9_mT8_P12ihipStream_tbDpT10_ENKUlT_T0_E_clISt17integral_constantIbLb0EES18_IbLb1EEEEDaS14_S15_EUlS14_E_NS1_11comp_targetILNS1_3genE9ELNS1_11target_archE1100ELNS1_3gpuE3ELNS1_3repE0EEENS1_30default_config_static_selectorELNS0_4arch9wavefront6targetE1EEEvT1_
	.globl	_ZN7rocprim17ROCPRIM_400000_NS6detail17trampoline_kernelINS0_14default_configENS1_25partition_config_selectorILNS1_17partition_subalgoE0EiNS0_10empty_typeEbEEZZNS1_14partition_implILS5_0ELb0ES3_jN6thrust23THRUST_200600_302600_NS6detail15normal_iteratorINSA_10device_ptrIiEEEEPS6_SG_NS0_5tupleIJNSA_16discard_iteratorINSA_11use_defaultEEESF_EEENSH_IJSG_SG_EEES6_PlJ7is_evenIiEEEE10hipError_tPvRmT3_T4_T5_T6_T7_T9_mT8_P12ihipStream_tbDpT10_ENKUlT_T0_E_clISt17integral_constantIbLb0EES18_IbLb1EEEEDaS14_S15_EUlS14_E_NS1_11comp_targetILNS1_3genE9ELNS1_11target_archE1100ELNS1_3gpuE3ELNS1_3repE0EEENS1_30default_config_static_selectorELNS0_4arch9wavefront6targetE1EEEvT1_
	.p2align	8
	.type	_ZN7rocprim17ROCPRIM_400000_NS6detail17trampoline_kernelINS0_14default_configENS1_25partition_config_selectorILNS1_17partition_subalgoE0EiNS0_10empty_typeEbEEZZNS1_14partition_implILS5_0ELb0ES3_jN6thrust23THRUST_200600_302600_NS6detail15normal_iteratorINSA_10device_ptrIiEEEEPS6_SG_NS0_5tupleIJNSA_16discard_iteratorINSA_11use_defaultEEESF_EEENSH_IJSG_SG_EEES6_PlJ7is_evenIiEEEE10hipError_tPvRmT3_T4_T5_T6_T7_T9_mT8_P12ihipStream_tbDpT10_ENKUlT_T0_E_clISt17integral_constantIbLb0EES18_IbLb1EEEEDaS14_S15_EUlS14_E_NS1_11comp_targetILNS1_3genE9ELNS1_11target_archE1100ELNS1_3gpuE3ELNS1_3repE0EEENS1_30default_config_static_selectorELNS0_4arch9wavefront6targetE1EEEvT1_,@function
_ZN7rocprim17ROCPRIM_400000_NS6detail17trampoline_kernelINS0_14default_configENS1_25partition_config_selectorILNS1_17partition_subalgoE0EiNS0_10empty_typeEbEEZZNS1_14partition_implILS5_0ELb0ES3_jN6thrust23THRUST_200600_302600_NS6detail15normal_iteratorINSA_10device_ptrIiEEEEPS6_SG_NS0_5tupleIJNSA_16discard_iteratorINSA_11use_defaultEEESF_EEENSH_IJSG_SG_EEES6_PlJ7is_evenIiEEEE10hipError_tPvRmT3_T4_T5_T6_T7_T9_mT8_P12ihipStream_tbDpT10_ENKUlT_T0_E_clISt17integral_constantIbLb0EES18_IbLb1EEEEDaS14_S15_EUlS14_E_NS1_11comp_targetILNS1_3genE9ELNS1_11target_archE1100ELNS1_3gpuE3ELNS1_3repE0EEENS1_30default_config_static_selectorELNS0_4arch9wavefront6targetE1EEEvT1_: ; @_ZN7rocprim17ROCPRIM_400000_NS6detail17trampoline_kernelINS0_14default_configENS1_25partition_config_selectorILNS1_17partition_subalgoE0EiNS0_10empty_typeEbEEZZNS1_14partition_implILS5_0ELb0ES3_jN6thrust23THRUST_200600_302600_NS6detail15normal_iteratorINSA_10device_ptrIiEEEEPS6_SG_NS0_5tupleIJNSA_16discard_iteratorINSA_11use_defaultEEESF_EEENSH_IJSG_SG_EEES6_PlJ7is_evenIiEEEE10hipError_tPvRmT3_T4_T5_T6_T7_T9_mT8_P12ihipStream_tbDpT10_ENKUlT_T0_E_clISt17integral_constantIbLb0EES18_IbLb1EEEEDaS14_S15_EUlS14_E_NS1_11comp_targetILNS1_3genE9ELNS1_11target_archE1100ELNS1_3gpuE3ELNS1_3repE0EEENS1_30default_config_static_selectorELNS0_4arch9wavefront6targetE1EEEvT1_
; %bb.0:
	.section	.rodata,"a",@progbits
	.p2align	6, 0x0
	.amdhsa_kernel _ZN7rocprim17ROCPRIM_400000_NS6detail17trampoline_kernelINS0_14default_configENS1_25partition_config_selectorILNS1_17partition_subalgoE0EiNS0_10empty_typeEbEEZZNS1_14partition_implILS5_0ELb0ES3_jN6thrust23THRUST_200600_302600_NS6detail15normal_iteratorINSA_10device_ptrIiEEEEPS6_SG_NS0_5tupleIJNSA_16discard_iteratorINSA_11use_defaultEEESF_EEENSH_IJSG_SG_EEES6_PlJ7is_evenIiEEEE10hipError_tPvRmT3_T4_T5_T6_T7_T9_mT8_P12ihipStream_tbDpT10_ENKUlT_T0_E_clISt17integral_constantIbLb0EES18_IbLb1EEEEDaS14_S15_EUlS14_E_NS1_11comp_targetILNS1_3genE9ELNS1_11target_archE1100ELNS1_3gpuE3ELNS1_3repE0EEENS1_30default_config_static_selectorELNS0_4arch9wavefront6targetE1EEEvT1_
		.amdhsa_group_segment_fixed_size 0
		.amdhsa_private_segment_fixed_size 0
		.amdhsa_kernarg_size 144
		.amdhsa_user_sgpr_count 2
		.amdhsa_user_sgpr_dispatch_ptr 0
		.amdhsa_user_sgpr_queue_ptr 0
		.amdhsa_user_sgpr_kernarg_segment_ptr 1
		.amdhsa_user_sgpr_dispatch_id 0
		.amdhsa_user_sgpr_kernarg_preload_length 0
		.amdhsa_user_sgpr_kernarg_preload_offset 0
		.amdhsa_user_sgpr_private_segment_size 0
		.amdhsa_uses_dynamic_stack 0
		.amdhsa_enable_private_segment 0
		.amdhsa_system_sgpr_workgroup_id_x 1
		.amdhsa_system_sgpr_workgroup_id_y 0
		.amdhsa_system_sgpr_workgroup_id_z 0
		.amdhsa_system_sgpr_workgroup_info 0
		.amdhsa_system_vgpr_workitem_id 0
		.amdhsa_next_free_vgpr 1
		.amdhsa_next_free_sgpr 0
		.amdhsa_accum_offset 4
		.amdhsa_reserve_vcc 0
		.amdhsa_float_round_mode_32 0
		.amdhsa_float_round_mode_16_64 0
		.amdhsa_float_denorm_mode_32 3
		.amdhsa_float_denorm_mode_16_64 3
		.amdhsa_dx10_clamp 1
		.amdhsa_ieee_mode 1
		.amdhsa_fp16_overflow 0
		.amdhsa_tg_split 0
		.amdhsa_exception_fp_ieee_invalid_op 0
		.amdhsa_exception_fp_denorm_src 0
		.amdhsa_exception_fp_ieee_div_zero 0
		.amdhsa_exception_fp_ieee_overflow 0
		.amdhsa_exception_fp_ieee_underflow 0
		.amdhsa_exception_fp_ieee_inexact 0
		.amdhsa_exception_int_div_zero 0
	.end_amdhsa_kernel
	.section	.text._ZN7rocprim17ROCPRIM_400000_NS6detail17trampoline_kernelINS0_14default_configENS1_25partition_config_selectorILNS1_17partition_subalgoE0EiNS0_10empty_typeEbEEZZNS1_14partition_implILS5_0ELb0ES3_jN6thrust23THRUST_200600_302600_NS6detail15normal_iteratorINSA_10device_ptrIiEEEEPS6_SG_NS0_5tupleIJNSA_16discard_iteratorINSA_11use_defaultEEESF_EEENSH_IJSG_SG_EEES6_PlJ7is_evenIiEEEE10hipError_tPvRmT3_T4_T5_T6_T7_T9_mT8_P12ihipStream_tbDpT10_ENKUlT_T0_E_clISt17integral_constantIbLb0EES18_IbLb1EEEEDaS14_S15_EUlS14_E_NS1_11comp_targetILNS1_3genE9ELNS1_11target_archE1100ELNS1_3gpuE3ELNS1_3repE0EEENS1_30default_config_static_selectorELNS0_4arch9wavefront6targetE1EEEvT1_,"axG",@progbits,_ZN7rocprim17ROCPRIM_400000_NS6detail17trampoline_kernelINS0_14default_configENS1_25partition_config_selectorILNS1_17partition_subalgoE0EiNS0_10empty_typeEbEEZZNS1_14partition_implILS5_0ELb0ES3_jN6thrust23THRUST_200600_302600_NS6detail15normal_iteratorINSA_10device_ptrIiEEEEPS6_SG_NS0_5tupleIJNSA_16discard_iteratorINSA_11use_defaultEEESF_EEENSH_IJSG_SG_EEES6_PlJ7is_evenIiEEEE10hipError_tPvRmT3_T4_T5_T6_T7_T9_mT8_P12ihipStream_tbDpT10_ENKUlT_T0_E_clISt17integral_constantIbLb0EES18_IbLb1EEEEDaS14_S15_EUlS14_E_NS1_11comp_targetILNS1_3genE9ELNS1_11target_archE1100ELNS1_3gpuE3ELNS1_3repE0EEENS1_30default_config_static_selectorELNS0_4arch9wavefront6targetE1EEEvT1_,comdat
.Lfunc_end2777:
	.size	_ZN7rocprim17ROCPRIM_400000_NS6detail17trampoline_kernelINS0_14default_configENS1_25partition_config_selectorILNS1_17partition_subalgoE0EiNS0_10empty_typeEbEEZZNS1_14partition_implILS5_0ELb0ES3_jN6thrust23THRUST_200600_302600_NS6detail15normal_iteratorINSA_10device_ptrIiEEEEPS6_SG_NS0_5tupleIJNSA_16discard_iteratorINSA_11use_defaultEEESF_EEENSH_IJSG_SG_EEES6_PlJ7is_evenIiEEEE10hipError_tPvRmT3_T4_T5_T6_T7_T9_mT8_P12ihipStream_tbDpT10_ENKUlT_T0_E_clISt17integral_constantIbLb0EES18_IbLb1EEEEDaS14_S15_EUlS14_E_NS1_11comp_targetILNS1_3genE9ELNS1_11target_archE1100ELNS1_3gpuE3ELNS1_3repE0EEENS1_30default_config_static_selectorELNS0_4arch9wavefront6targetE1EEEvT1_, .Lfunc_end2777-_ZN7rocprim17ROCPRIM_400000_NS6detail17trampoline_kernelINS0_14default_configENS1_25partition_config_selectorILNS1_17partition_subalgoE0EiNS0_10empty_typeEbEEZZNS1_14partition_implILS5_0ELb0ES3_jN6thrust23THRUST_200600_302600_NS6detail15normal_iteratorINSA_10device_ptrIiEEEEPS6_SG_NS0_5tupleIJNSA_16discard_iteratorINSA_11use_defaultEEESF_EEENSH_IJSG_SG_EEES6_PlJ7is_evenIiEEEE10hipError_tPvRmT3_T4_T5_T6_T7_T9_mT8_P12ihipStream_tbDpT10_ENKUlT_T0_E_clISt17integral_constantIbLb0EES18_IbLb1EEEEDaS14_S15_EUlS14_E_NS1_11comp_targetILNS1_3genE9ELNS1_11target_archE1100ELNS1_3gpuE3ELNS1_3repE0EEENS1_30default_config_static_selectorELNS0_4arch9wavefront6targetE1EEEvT1_
                                        ; -- End function
	.section	.AMDGPU.csdata,"",@progbits
; Kernel info:
; codeLenInByte = 0
; NumSgprs: 6
; NumVgprs: 0
; NumAgprs: 0
; TotalNumVgprs: 0
; ScratchSize: 0
; MemoryBound: 0
; FloatMode: 240
; IeeeMode: 1
; LDSByteSize: 0 bytes/workgroup (compile time only)
; SGPRBlocks: 0
; VGPRBlocks: 0
; NumSGPRsForWavesPerEU: 6
; NumVGPRsForWavesPerEU: 1
; AccumOffset: 4
; Occupancy: 8
; WaveLimiterHint : 0
; COMPUTE_PGM_RSRC2:SCRATCH_EN: 0
; COMPUTE_PGM_RSRC2:USER_SGPR: 2
; COMPUTE_PGM_RSRC2:TRAP_HANDLER: 0
; COMPUTE_PGM_RSRC2:TGID_X_EN: 1
; COMPUTE_PGM_RSRC2:TGID_Y_EN: 0
; COMPUTE_PGM_RSRC2:TGID_Z_EN: 0
; COMPUTE_PGM_RSRC2:TIDIG_COMP_CNT: 0
; COMPUTE_PGM_RSRC3_GFX90A:ACCUM_OFFSET: 0
; COMPUTE_PGM_RSRC3_GFX90A:TG_SPLIT: 0
	.section	.text._ZN7rocprim17ROCPRIM_400000_NS6detail17trampoline_kernelINS0_14default_configENS1_25partition_config_selectorILNS1_17partition_subalgoE0EiNS0_10empty_typeEbEEZZNS1_14partition_implILS5_0ELb0ES3_jN6thrust23THRUST_200600_302600_NS6detail15normal_iteratorINSA_10device_ptrIiEEEEPS6_SG_NS0_5tupleIJNSA_16discard_iteratorINSA_11use_defaultEEESF_EEENSH_IJSG_SG_EEES6_PlJ7is_evenIiEEEE10hipError_tPvRmT3_T4_T5_T6_T7_T9_mT8_P12ihipStream_tbDpT10_ENKUlT_T0_E_clISt17integral_constantIbLb0EES18_IbLb1EEEEDaS14_S15_EUlS14_E_NS1_11comp_targetILNS1_3genE8ELNS1_11target_archE1030ELNS1_3gpuE2ELNS1_3repE0EEENS1_30default_config_static_selectorELNS0_4arch9wavefront6targetE1EEEvT1_,"axG",@progbits,_ZN7rocprim17ROCPRIM_400000_NS6detail17trampoline_kernelINS0_14default_configENS1_25partition_config_selectorILNS1_17partition_subalgoE0EiNS0_10empty_typeEbEEZZNS1_14partition_implILS5_0ELb0ES3_jN6thrust23THRUST_200600_302600_NS6detail15normal_iteratorINSA_10device_ptrIiEEEEPS6_SG_NS0_5tupleIJNSA_16discard_iteratorINSA_11use_defaultEEESF_EEENSH_IJSG_SG_EEES6_PlJ7is_evenIiEEEE10hipError_tPvRmT3_T4_T5_T6_T7_T9_mT8_P12ihipStream_tbDpT10_ENKUlT_T0_E_clISt17integral_constantIbLb0EES18_IbLb1EEEEDaS14_S15_EUlS14_E_NS1_11comp_targetILNS1_3genE8ELNS1_11target_archE1030ELNS1_3gpuE2ELNS1_3repE0EEENS1_30default_config_static_selectorELNS0_4arch9wavefront6targetE1EEEvT1_,comdat
	.protected	_ZN7rocprim17ROCPRIM_400000_NS6detail17trampoline_kernelINS0_14default_configENS1_25partition_config_selectorILNS1_17partition_subalgoE0EiNS0_10empty_typeEbEEZZNS1_14partition_implILS5_0ELb0ES3_jN6thrust23THRUST_200600_302600_NS6detail15normal_iteratorINSA_10device_ptrIiEEEEPS6_SG_NS0_5tupleIJNSA_16discard_iteratorINSA_11use_defaultEEESF_EEENSH_IJSG_SG_EEES6_PlJ7is_evenIiEEEE10hipError_tPvRmT3_T4_T5_T6_T7_T9_mT8_P12ihipStream_tbDpT10_ENKUlT_T0_E_clISt17integral_constantIbLb0EES18_IbLb1EEEEDaS14_S15_EUlS14_E_NS1_11comp_targetILNS1_3genE8ELNS1_11target_archE1030ELNS1_3gpuE2ELNS1_3repE0EEENS1_30default_config_static_selectorELNS0_4arch9wavefront6targetE1EEEvT1_ ; -- Begin function _ZN7rocprim17ROCPRIM_400000_NS6detail17trampoline_kernelINS0_14default_configENS1_25partition_config_selectorILNS1_17partition_subalgoE0EiNS0_10empty_typeEbEEZZNS1_14partition_implILS5_0ELb0ES3_jN6thrust23THRUST_200600_302600_NS6detail15normal_iteratorINSA_10device_ptrIiEEEEPS6_SG_NS0_5tupleIJNSA_16discard_iteratorINSA_11use_defaultEEESF_EEENSH_IJSG_SG_EEES6_PlJ7is_evenIiEEEE10hipError_tPvRmT3_T4_T5_T6_T7_T9_mT8_P12ihipStream_tbDpT10_ENKUlT_T0_E_clISt17integral_constantIbLb0EES18_IbLb1EEEEDaS14_S15_EUlS14_E_NS1_11comp_targetILNS1_3genE8ELNS1_11target_archE1030ELNS1_3gpuE2ELNS1_3repE0EEENS1_30default_config_static_selectorELNS0_4arch9wavefront6targetE1EEEvT1_
	.globl	_ZN7rocprim17ROCPRIM_400000_NS6detail17trampoline_kernelINS0_14default_configENS1_25partition_config_selectorILNS1_17partition_subalgoE0EiNS0_10empty_typeEbEEZZNS1_14partition_implILS5_0ELb0ES3_jN6thrust23THRUST_200600_302600_NS6detail15normal_iteratorINSA_10device_ptrIiEEEEPS6_SG_NS0_5tupleIJNSA_16discard_iteratorINSA_11use_defaultEEESF_EEENSH_IJSG_SG_EEES6_PlJ7is_evenIiEEEE10hipError_tPvRmT3_T4_T5_T6_T7_T9_mT8_P12ihipStream_tbDpT10_ENKUlT_T0_E_clISt17integral_constantIbLb0EES18_IbLb1EEEEDaS14_S15_EUlS14_E_NS1_11comp_targetILNS1_3genE8ELNS1_11target_archE1030ELNS1_3gpuE2ELNS1_3repE0EEENS1_30default_config_static_selectorELNS0_4arch9wavefront6targetE1EEEvT1_
	.p2align	8
	.type	_ZN7rocprim17ROCPRIM_400000_NS6detail17trampoline_kernelINS0_14default_configENS1_25partition_config_selectorILNS1_17partition_subalgoE0EiNS0_10empty_typeEbEEZZNS1_14partition_implILS5_0ELb0ES3_jN6thrust23THRUST_200600_302600_NS6detail15normal_iteratorINSA_10device_ptrIiEEEEPS6_SG_NS0_5tupleIJNSA_16discard_iteratorINSA_11use_defaultEEESF_EEENSH_IJSG_SG_EEES6_PlJ7is_evenIiEEEE10hipError_tPvRmT3_T4_T5_T6_T7_T9_mT8_P12ihipStream_tbDpT10_ENKUlT_T0_E_clISt17integral_constantIbLb0EES18_IbLb1EEEEDaS14_S15_EUlS14_E_NS1_11comp_targetILNS1_3genE8ELNS1_11target_archE1030ELNS1_3gpuE2ELNS1_3repE0EEENS1_30default_config_static_selectorELNS0_4arch9wavefront6targetE1EEEvT1_,@function
_ZN7rocprim17ROCPRIM_400000_NS6detail17trampoline_kernelINS0_14default_configENS1_25partition_config_selectorILNS1_17partition_subalgoE0EiNS0_10empty_typeEbEEZZNS1_14partition_implILS5_0ELb0ES3_jN6thrust23THRUST_200600_302600_NS6detail15normal_iteratorINSA_10device_ptrIiEEEEPS6_SG_NS0_5tupleIJNSA_16discard_iteratorINSA_11use_defaultEEESF_EEENSH_IJSG_SG_EEES6_PlJ7is_evenIiEEEE10hipError_tPvRmT3_T4_T5_T6_T7_T9_mT8_P12ihipStream_tbDpT10_ENKUlT_T0_E_clISt17integral_constantIbLb0EES18_IbLb1EEEEDaS14_S15_EUlS14_E_NS1_11comp_targetILNS1_3genE8ELNS1_11target_archE1030ELNS1_3gpuE2ELNS1_3repE0EEENS1_30default_config_static_selectorELNS0_4arch9wavefront6targetE1EEEvT1_: ; @_ZN7rocprim17ROCPRIM_400000_NS6detail17trampoline_kernelINS0_14default_configENS1_25partition_config_selectorILNS1_17partition_subalgoE0EiNS0_10empty_typeEbEEZZNS1_14partition_implILS5_0ELb0ES3_jN6thrust23THRUST_200600_302600_NS6detail15normal_iteratorINSA_10device_ptrIiEEEEPS6_SG_NS0_5tupleIJNSA_16discard_iteratorINSA_11use_defaultEEESF_EEENSH_IJSG_SG_EEES6_PlJ7is_evenIiEEEE10hipError_tPvRmT3_T4_T5_T6_T7_T9_mT8_P12ihipStream_tbDpT10_ENKUlT_T0_E_clISt17integral_constantIbLb0EES18_IbLb1EEEEDaS14_S15_EUlS14_E_NS1_11comp_targetILNS1_3genE8ELNS1_11target_archE1030ELNS1_3gpuE2ELNS1_3repE0EEENS1_30default_config_static_selectorELNS0_4arch9wavefront6targetE1EEEvT1_
; %bb.0:
	.section	.rodata,"a",@progbits
	.p2align	6, 0x0
	.amdhsa_kernel _ZN7rocprim17ROCPRIM_400000_NS6detail17trampoline_kernelINS0_14default_configENS1_25partition_config_selectorILNS1_17partition_subalgoE0EiNS0_10empty_typeEbEEZZNS1_14partition_implILS5_0ELb0ES3_jN6thrust23THRUST_200600_302600_NS6detail15normal_iteratorINSA_10device_ptrIiEEEEPS6_SG_NS0_5tupleIJNSA_16discard_iteratorINSA_11use_defaultEEESF_EEENSH_IJSG_SG_EEES6_PlJ7is_evenIiEEEE10hipError_tPvRmT3_T4_T5_T6_T7_T9_mT8_P12ihipStream_tbDpT10_ENKUlT_T0_E_clISt17integral_constantIbLb0EES18_IbLb1EEEEDaS14_S15_EUlS14_E_NS1_11comp_targetILNS1_3genE8ELNS1_11target_archE1030ELNS1_3gpuE2ELNS1_3repE0EEENS1_30default_config_static_selectorELNS0_4arch9wavefront6targetE1EEEvT1_
		.amdhsa_group_segment_fixed_size 0
		.amdhsa_private_segment_fixed_size 0
		.amdhsa_kernarg_size 144
		.amdhsa_user_sgpr_count 2
		.amdhsa_user_sgpr_dispatch_ptr 0
		.amdhsa_user_sgpr_queue_ptr 0
		.amdhsa_user_sgpr_kernarg_segment_ptr 1
		.amdhsa_user_sgpr_dispatch_id 0
		.amdhsa_user_sgpr_kernarg_preload_length 0
		.amdhsa_user_sgpr_kernarg_preload_offset 0
		.amdhsa_user_sgpr_private_segment_size 0
		.amdhsa_uses_dynamic_stack 0
		.amdhsa_enable_private_segment 0
		.amdhsa_system_sgpr_workgroup_id_x 1
		.amdhsa_system_sgpr_workgroup_id_y 0
		.amdhsa_system_sgpr_workgroup_id_z 0
		.amdhsa_system_sgpr_workgroup_info 0
		.amdhsa_system_vgpr_workitem_id 0
		.amdhsa_next_free_vgpr 1
		.amdhsa_next_free_sgpr 0
		.amdhsa_accum_offset 4
		.amdhsa_reserve_vcc 0
		.amdhsa_float_round_mode_32 0
		.amdhsa_float_round_mode_16_64 0
		.amdhsa_float_denorm_mode_32 3
		.amdhsa_float_denorm_mode_16_64 3
		.amdhsa_dx10_clamp 1
		.amdhsa_ieee_mode 1
		.amdhsa_fp16_overflow 0
		.amdhsa_tg_split 0
		.amdhsa_exception_fp_ieee_invalid_op 0
		.amdhsa_exception_fp_denorm_src 0
		.amdhsa_exception_fp_ieee_div_zero 0
		.amdhsa_exception_fp_ieee_overflow 0
		.amdhsa_exception_fp_ieee_underflow 0
		.amdhsa_exception_fp_ieee_inexact 0
		.amdhsa_exception_int_div_zero 0
	.end_amdhsa_kernel
	.section	.text._ZN7rocprim17ROCPRIM_400000_NS6detail17trampoline_kernelINS0_14default_configENS1_25partition_config_selectorILNS1_17partition_subalgoE0EiNS0_10empty_typeEbEEZZNS1_14partition_implILS5_0ELb0ES3_jN6thrust23THRUST_200600_302600_NS6detail15normal_iteratorINSA_10device_ptrIiEEEEPS6_SG_NS0_5tupleIJNSA_16discard_iteratorINSA_11use_defaultEEESF_EEENSH_IJSG_SG_EEES6_PlJ7is_evenIiEEEE10hipError_tPvRmT3_T4_T5_T6_T7_T9_mT8_P12ihipStream_tbDpT10_ENKUlT_T0_E_clISt17integral_constantIbLb0EES18_IbLb1EEEEDaS14_S15_EUlS14_E_NS1_11comp_targetILNS1_3genE8ELNS1_11target_archE1030ELNS1_3gpuE2ELNS1_3repE0EEENS1_30default_config_static_selectorELNS0_4arch9wavefront6targetE1EEEvT1_,"axG",@progbits,_ZN7rocprim17ROCPRIM_400000_NS6detail17trampoline_kernelINS0_14default_configENS1_25partition_config_selectorILNS1_17partition_subalgoE0EiNS0_10empty_typeEbEEZZNS1_14partition_implILS5_0ELb0ES3_jN6thrust23THRUST_200600_302600_NS6detail15normal_iteratorINSA_10device_ptrIiEEEEPS6_SG_NS0_5tupleIJNSA_16discard_iteratorINSA_11use_defaultEEESF_EEENSH_IJSG_SG_EEES6_PlJ7is_evenIiEEEE10hipError_tPvRmT3_T4_T5_T6_T7_T9_mT8_P12ihipStream_tbDpT10_ENKUlT_T0_E_clISt17integral_constantIbLb0EES18_IbLb1EEEEDaS14_S15_EUlS14_E_NS1_11comp_targetILNS1_3genE8ELNS1_11target_archE1030ELNS1_3gpuE2ELNS1_3repE0EEENS1_30default_config_static_selectorELNS0_4arch9wavefront6targetE1EEEvT1_,comdat
.Lfunc_end2778:
	.size	_ZN7rocprim17ROCPRIM_400000_NS6detail17trampoline_kernelINS0_14default_configENS1_25partition_config_selectorILNS1_17partition_subalgoE0EiNS0_10empty_typeEbEEZZNS1_14partition_implILS5_0ELb0ES3_jN6thrust23THRUST_200600_302600_NS6detail15normal_iteratorINSA_10device_ptrIiEEEEPS6_SG_NS0_5tupleIJNSA_16discard_iteratorINSA_11use_defaultEEESF_EEENSH_IJSG_SG_EEES6_PlJ7is_evenIiEEEE10hipError_tPvRmT3_T4_T5_T6_T7_T9_mT8_P12ihipStream_tbDpT10_ENKUlT_T0_E_clISt17integral_constantIbLb0EES18_IbLb1EEEEDaS14_S15_EUlS14_E_NS1_11comp_targetILNS1_3genE8ELNS1_11target_archE1030ELNS1_3gpuE2ELNS1_3repE0EEENS1_30default_config_static_selectorELNS0_4arch9wavefront6targetE1EEEvT1_, .Lfunc_end2778-_ZN7rocprim17ROCPRIM_400000_NS6detail17trampoline_kernelINS0_14default_configENS1_25partition_config_selectorILNS1_17partition_subalgoE0EiNS0_10empty_typeEbEEZZNS1_14partition_implILS5_0ELb0ES3_jN6thrust23THRUST_200600_302600_NS6detail15normal_iteratorINSA_10device_ptrIiEEEEPS6_SG_NS0_5tupleIJNSA_16discard_iteratorINSA_11use_defaultEEESF_EEENSH_IJSG_SG_EEES6_PlJ7is_evenIiEEEE10hipError_tPvRmT3_T4_T5_T6_T7_T9_mT8_P12ihipStream_tbDpT10_ENKUlT_T0_E_clISt17integral_constantIbLb0EES18_IbLb1EEEEDaS14_S15_EUlS14_E_NS1_11comp_targetILNS1_3genE8ELNS1_11target_archE1030ELNS1_3gpuE2ELNS1_3repE0EEENS1_30default_config_static_selectorELNS0_4arch9wavefront6targetE1EEEvT1_
                                        ; -- End function
	.section	.AMDGPU.csdata,"",@progbits
; Kernel info:
; codeLenInByte = 0
; NumSgprs: 6
; NumVgprs: 0
; NumAgprs: 0
; TotalNumVgprs: 0
; ScratchSize: 0
; MemoryBound: 0
; FloatMode: 240
; IeeeMode: 1
; LDSByteSize: 0 bytes/workgroup (compile time only)
; SGPRBlocks: 0
; VGPRBlocks: 0
; NumSGPRsForWavesPerEU: 6
; NumVGPRsForWavesPerEU: 1
; AccumOffset: 4
; Occupancy: 8
; WaveLimiterHint : 0
; COMPUTE_PGM_RSRC2:SCRATCH_EN: 0
; COMPUTE_PGM_RSRC2:USER_SGPR: 2
; COMPUTE_PGM_RSRC2:TRAP_HANDLER: 0
; COMPUTE_PGM_RSRC2:TGID_X_EN: 1
; COMPUTE_PGM_RSRC2:TGID_Y_EN: 0
; COMPUTE_PGM_RSRC2:TGID_Z_EN: 0
; COMPUTE_PGM_RSRC2:TIDIG_COMP_CNT: 0
; COMPUTE_PGM_RSRC3_GFX90A:ACCUM_OFFSET: 0
; COMPUTE_PGM_RSRC3_GFX90A:TG_SPLIT: 0
	.section	.text._ZN7rocprim17ROCPRIM_400000_NS6detail17trampoline_kernelINS0_14default_configENS1_25partition_config_selectorILNS1_17partition_subalgoE0EsNS0_10empty_typeEbEEZZNS1_14partition_implILS5_0ELb0ES3_jN6thrust23THRUST_200600_302600_NS6detail15normal_iteratorINSA_10device_ptrIsEEEEPS6_SG_NS0_5tupleIJNSA_16discard_iteratorINSA_11use_defaultEEESK_EEENSH_IJSG_SG_EEES6_PlJ7is_evenIsEEEE10hipError_tPvRmT3_T4_T5_T6_T7_T9_mT8_P12ihipStream_tbDpT10_ENKUlT_T0_E_clISt17integral_constantIbLb0EES19_EEDaS14_S15_EUlS14_E_NS1_11comp_targetILNS1_3genE0ELNS1_11target_archE4294967295ELNS1_3gpuE0ELNS1_3repE0EEENS1_30default_config_static_selectorELNS0_4arch9wavefront6targetE1EEEvT1_,"axG",@progbits,_ZN7rocprim17ROCPRIM_400000_NS6detail17trampoline_kernelINS0_14default_configENS1_25partition_config_selectorILNS1_17partition_subalgoE0EsNS0_10empty_typeEbEEZZNS1_14partition_implILS5_0ELb0ES3_jN6thrust23THRUST_200600_302600_NS6detail15normal_iteratorINSA_10device_ptrIsEEEEPS6_SG_NS0_5tupleIJNSA_16discard_iteratorINSA_11use_defaultEEESK_EEENSH_IJSG_SG_EEES6_PlJ7is_evenIsEEEE10hipError_tPvRmT3_T4_T5_T6_T7_T9_mT8_P12ihipStream_tbDpT10_ENKUlT_T0_E_clISt17integral_constantIbLb0EES19_EEDaS14_S15_EUlS14_E_NS1_11comp_targetILNS1_3genE0ELNS1_11target_archE4294967295ELNS1_3gpuE0ELNS1_3repE0EEENS1_30default_config_static_selectorELNS0_4arch9wavefront6targetE1EEEvT1_,comdat
	.protected	_ZN7rocprim17ROCPRIM_400000_NS6detail17trampoline_kernelINS0_14default_configENS1_25partition_config_selectorILNS1_17partition_subalgoE0EsNS0_10empty_typeEbEEZZNS1_14partition_implILS5_0ELb0ES3_jN6thrust23THRUST_200600_302600_NS6detail15normal_iteratorINSA_10device_ptrIsEEEEPS6_SG_NS0_5tupleIJNSA_16discard_iteratorINSA_11use_defaultEEESK_EEENSH_IJSG_SG_EEES6_PlJ7is_evenIsEEEE10hipError_tPvRmT3_T4_T5_T6_T7_T9_mT8_P12ihipStream_tbDpT10_ENKUlT_T0_E_clISt17integral_constantIbLb0EES19_EEDaS14_S15_EUlS14_E_NS1_11comp_targetILNS1_3genE0ELNS1_11target_archE4294967295ELNS1_3gpuE0ELNS1_3repE0EEENS1_30default_config_static_selectorELNS0_4arch9wavefront6targetE1EEEvT1_ ; -- Begin function _ZN7rocprim17ROCPRIM_400000_NS6detail17trampoline_kernelINS0_14default_configENS1_25partition_config_selectorILNS1_17partition_subalgoE0EsNS0_10empty_typeEbEEZZNS1_14partition_implILS5_0ELb0ES3_jN6thrust23THRUST_200600_302600_NS6detail15normal_iteratorINSA_10device_ptrIsEEEEPS6_SG_NS0_5tupleIJNSA_16discard_iteratorINSA_11use_defaultEEESK_EEENSH_IJSG_SG_EEES6_PlJ7is_evenIsEEEE10hipError_tPvRmT3_T4_T5_T6_T7_T9_mT8_P12ihipStream_tbDpT10_ENKUlT_T0_E_clISt17integral_constantIbLb0EES19_EEDaS14_S15_EUlS14_E_NS1_11comp_targetILNS1_3genE0ELNS1_11target_archE4294967295ELNS1_3gpuE0ELNS1_3repE0EEENS1_30default_config_static_selectorELNS0_4arch9wavefront6targetE1EEEvT1_
	.globl	_ZN7rocprim17ROCPRIM_400000_NS6detail17trampoline_kernelINS0_14default_configENS1_25partition_config_selectorILNS1_17partition_subalgoE0EsNS0_10empty_typeEbEEZZNS1_14partition_implILS5_0ELb0ES3_jN6thrust23THRUST_200600_302600_NS6detail15normal_iteratorINSA_10device_ptrIsEEEEPS6_SG_NS0_5tupleIJNSA_16discard_iteratorINSA_11use_defaultEEESK_EEENSH_IJSG_SG_EEES6_PlJ7is_evenIsEEEE10hipError_tPvRmT3_T4_T5_T6_T7_T9_mT8_P12ihipStream_tbDpT10_ENKUlT_T0_E_clISt17integral_constantIbLb0EES19_EEDaS14_S15_EUlS14_E_NS1_11comp_targetILNS1_3genE0ELNS1_11target_archE4294967295ELNS1_3gpuE0ELNS1_3repE0EEENS1_30default_config_static_selectorELNS0_4arch9wavefront6targetE1EEEvT1_
	.p2align	8
	.type	_ZN7rocprim17ROCPRIM_400000_NS6detail17trampoline_kernelINS0_14default_configENS1_25partition_config_selectorILNS1_17partition_subalgoE0EsNS0_10empty_typeEbEEZZNS1_14partition_implILS5_0ELb0ES3_jN6thrust23THRUST_200600_302600_NS6detail15normal_iteratorINSA_10device_ptrIsEEEEPS6_SG_NS0_5tupleIJNSA_16discard_iteratorINSA_11use_defaultEEESK_EEENSH_IJSG_SG_EEES6_PlJ7is_evenIsEEEE10hipError_tPvRmT3_T4_T5_T6_T7_T9_mT8_P12ihipStream_tbDpT10_ENKUlT_T0_E_clISt17integral_constantIbLb0EES19_EEDaS14_S15_EUlS14_E_NS1_11comp_targetILNS1_3genE0ELNS1_11target_archE4294967295ELNS1_3gpuE0ELNS1_3repE0EEENS1_30default_config_static_selectorELNS0_4arch9wavefront6targetE1EEEvT1_,@function
_ZN7rocprim17ROCPRIM_400000_NS6detail17trampoline_kernelINS0_14default_configENS1_25partition_config_selectorILNS1_17partition_subalgoE0EsNS0_10empty_typeEbEEZZNS1_14partition_implILS5_0ELb0ES3_jN6thrust23THRUST_200600_302600_NS6detail15normal_iteratorINSA_10device_ptrIsEEEEPS6_SG_NS0_5tupleIJNSA_16discard_iteratorINSA_11use_defaultEEESK_EEENSH_IJSG_SG_EEES6_PlJ7is_evenIsEEEE10hipError_tPvRmT3_T4_T5_T6_T7_T9_mT8_P12ihipStream_tbDpT10_ENKUlT_T0_E_clISt17integral_constantIbLb0EES19_EEDaS14_S15_EUlS14_E_NS1_11comp_targetILNS1_3genE0ELNS1_11target_archE4294967295ELNS1_3gpuE0ELNS1_3repE0EEENS1_30default_config_static_selectorELNS0_4arch9wavefront6targetE1EEEvT1_: ; @_ZN7rocprim17ROCPRIM_400000_NS6detail17trampoline_kernelINS0_14default_configENS1_25partition_config_selectorILNS1_17partition_subalgoE0EsNS0_10empty_typeEbEEZZNS1_14partition_implILS5_0ELb0ES3_jN6thrust23THRUST_200600_302600_NS6detail15normal_iteratorINSA_10device_ptrIsEEEEPS6_SG_NS0_5tupleIJNSA_16discard_iteratorINSA_11use_defaultEEESK_EEENSH_IJSG_SG_EEES6_PlJ7is_evenIsEEEE10hipError_tPvRmT3_T4_T5_T6_T7_T9_mT8_P12ihipStream_tbDpT10_ENKUlT_T0_E_clISt17integral_constantIbLb0EES19_EEDaS14_S15_EUlS14_E_NS1_11comp_targetILNS1_3genE0ELNS1_11target_archE4294967295ELNS1_3gpuE0ELNS1_3repE0EEENS1_30default_config_static_selectorELNS0_4arch9wavefront6targetE1EEEvT1_
; %bb.0:
	.section	.rodata,"a",@progbits
	.p2align	6, 0x0
	.amdhsa_kernel _ZN7rocprim17ROCPRIM_400000_NS6detail17trampoline_kernelINS0_14default_configENS1_25partition_config_selectorILNS1_17partition_subalgoE0EsNS0_10empty_typeEbEEZZNS1_14partition_implILS5_0ELb0ES3_jN6thrust23THRUST_200600_302600_NS6detail15normal_iteratorINSA_10device_ptrIsEEEEPS6_SG_NS0_5tupleIJNSA_16discard_iteratorINSA_11use_defaultEEESK_EEENSH_IJSG_SG_EEES6_PlJ7is_evenIsEEEE10hipError_tPvRmT3_T4_T5_T6_T7_T9_mT8_P12ihipStream_tbDpT10_ENKUlT_T0_E_clISt17integral_constantIbLb0EES19_EEDaS14_S15_EUlS14_E_NS1_11comp_targetILNS1_3genE0ELNS1_11target_archE4294967295ELNS1_3gpuE0ELNS1_3repE0EEENS1_30default_config_static_selectorELNS0_4arch9wavefront6targetE1EEEvT1_
		.amdhsa_group_segment_fixed_size 0
		.amdhsa_private_segment_fixed_size 0
		.amdhsa_kernarg_size 136
		.amdhsa_user_sgpr_count 2
		.amdhsa_user_sgpr_dispatch_ptr 0
		.amdhsa_user_sgpr_queue_ptr 0
		.amdhsa_user_sgpr_kernarg_segment_ptr 1
		.amdhsa_user_sgpr_dispatch_id 0
		.amdhsa_user_sgpr_kernarg_preload_length 0
		.amdhsa_user_sgpr_kernarg_preload_offset 0
		.amdhsa_user_sgpr_private_segment_size 0
		.amdhsa_uses_dynamic_stack 0
		.amdhsa_enable_private_segment 0
		.amdhsa_system_sgpr_workgroup_id_x 1
		.amdhsa_system_sgpr_workgroup_id_y 0
		.amdhsa_system_sgpr_workgroup_id_z 0
		.amdhsa_system_sgpr_workgroup_info 0
		.amdhsa_system_vgpr_workitem_id 0
		.amdhsa_next_free_vgpr 1
		.amdhsa_next_free_sgpr 0
		.amdhsa_accum_offset 4
		.amdhsa_reserve_vcc 0
		.amdhsa_float_round_mode_32 0
		.amdhsa_float_round_mode_16_64 0
		.amdhsa_float_denorm_mode_32 3
		.amdhsa_float_denorm_mode_16_64 3
		.amdhsa_dx10_clamp 1
		.amdhsa_ieee_mode 1
		.amdhsa_fp16_overflow 0
		.amdhsa_tg_split 0
		.amdhsa_exception_fp_ieee_invalid_op 0
		.amdhsa_exception_fp_denorm_src 0
		.amdhsa_exception_fp_ieee_div_zero 0
		.amdhsa_exception_fp_ieee_overflow 0
		.amdhsa_exception_fp_ieee_underflow 0
		.amdhsa_exception_fp_ieee_inexact 0
		.amdhsa_exception_int_div_zero 0
	.end_amdhsa_kernel
	.section	.text._ZN7rocprim17ROCPRIM_400000_NS6detail17trampoline_kernelINS0_14default_configENS1_25partition_config_selectorILNS1_17partition_subalgoE0EsNS0_10empty_typeEbEEZZNS1_14partition_implILS5_0ELb0ES3_jN6thrust23THRUST_200600_302600_NS6detail15normal_iteratorINSA_10device_ptrIsEEEEPS6_SG_NS0_5tupleIJNSA_16discard_iteratorINSA_11use_defaultEEESK_EEENSH_IJSG_SG_EEES6_PlJ7is_evenIsEEEE10hipError_tPvRmT3_T4_T5_T6_T7_T9_mT8_P12ihipStream_tbDpT10_ENKUlT_T0_E_clISt17integral_constantIbLb0EES19_EEDaS14_S15_EUlS14_E_NS1_11comp_targetILNS1_3genE0ELNS1_11target_archE4294967295ELNS1_3gpuE0ELNS1_3repE0EEENS1_30default_config_static_selectorELNS0_4arch9wavefront6targetE1EEEvT1_,"axG",@progbits,_ZN7rocprim17ROCPRIM_400000_NS6detail17trampoline_kernelINS0_14default_configENS1_25partition_config_selectorILNS1_17partition_subalgoE0EsNS0_10empty_typeEbEEZZNS1_14partition_implILS5_0ELb0ES3_jN6thrust23THRUST_200600_302600_NS6detail15normal_iteratorINSA_10device_ptrIsEEEEPS6_SG_NS0_5tupleIJNSA_16discard_iteratorINSA_11use_defaultEEESK_EEENSH_IJSG_SG_EEES6_PlJ7is_evenIsEEEE10hipError_tPvRmT3_T4_T5_T6_T7_T9_mT8_P12ihipStream_tbDpT10_ENKUlT_T0_E_clISt17integral_constantIbLb0EES19_EEDaS14_S15_EUlS14_E_NS1_11comp_targetILNS1_3genE0ELNS1_11target_archE4294967295ELNS1_3gpuE0ELNS1_3repE0EEENS1_30default_config_static_selectorELNS0_4arch9wavefront6targetE1EEEvT1_,comdat
.Lfunc_end2779:
	.size	_ZN7rocprim17ROCPRIM_400000_NS6detail17trampoline_kernelINS0_14default_configENS1_25partition_config_selectorILNS1_17partition_subalgoE0EsNS0_10empty_typeEbEEZZNS1_14partition_implILS5_0ELb0ES3_jN6thrust23THRUST_200600_302600_NS6detail15normal_iteratorINSA_10device_ptrIsEEEEPS6_SG_NS0_5tupleIJNSA_16discard_iteratorINSA_11use_defaultEEESK_EEENSH_IJSG_SG_EEES6_PlJ7is_evenIsEEEE10hipError_tPvRmT3_T4_T5_T6_T7_T9_mT8_P12ihipStream_tbDpT10_ENKUlT_T0_E_clISt17integral_constantIbLb0EES19_EEDaS14_S15_EUlS14_E_NS1_11comp_targetILNS1_3genE0ELNS1_11target_archE4294967295ELNS1_3gpuE0ELNS1_3repE0EEENS1_30default_config_static_selectorELNS0_4arch9wavefront6targetE1EEEvT1_, .Lfunc_end2779-_ZN7rocprim17ROCPRIM_400000_NS6detail17trampoline_kernelINS0_14default_configENS1_25partition_config_selectorILNS1_17partition_subalgoE0EsNS0_10empty_typeEbEEZZNS1_14partition_implILS5_0ELb0ES3_jN6thrust23THRUST_200600_302600_NS6detail15normal_iteratorINSA_10device_ptrIsEEEEPS6_SG_NS0_5tupleIJNSA_16discard_iteratorINSA_11use_defaultEEESK_EEENSH_IJSG_SG_EEES6_PlJ7is_evenIsEEEE10hipError_tPvRmT3_T4_T5_T6_T7_T9_mT8_P12ihipStream_tbDpT10_ENKUlT_T0_E_clISt17integral_constantIbLb0EES19_EEDaS14_S15_EUlS14_E_NS1_11comp_targetILNS1_3genE0ELNS1_11target_archE4294967295ELNS1_3gpuE0ELNS1_3repE0EEENS1_30default_config_static_selectorELNS0_4arch9wavefront6targetE1EEEvT1_
                                        ; -- End function
	.section	.AMDGPU.csdata,"",@progbits
; Kernel info:
; codeLenInByte = 0
; NumSgprs: 6
; NumVgprs: 0
; NumAgprs: 0
; TotalNumVgprs: 0
; ScratchSize: 0
; MemoryBound: 0
; FloatMode: 240
; IeeeMode: 1
; LDSByteSize: 0 bytes/workgroup (compile time only)
; SGPRBlocks: 0
; VGPRBlocks: 0
; NumSGPRsForWavesPerEU: 6
; NumVGPRsForWavesPerEU: 1
; AccumOffset: 4
; Occupancy: 8
; WaveLimiterHint : 0
; COMPUTE_PGM_RSRC2:SCRATCH_EN: 0
; COMPUTE_PGM_RSRC2:USER_SGPR: 2
; COMPUTE_PGM_RSRC2:TRAP_HANDLER: 0
; COMPUTE_PGM_RSRC2:TGID_X_EN: 1
; COMPUTE_PGM_RSRC2:TGID_Y_EN: 0
; COMPUTE_PGM_RSRC2:TGID_Z_EN: 0
; COMPUTE_PGM_RSRC2:TIDIG_COMP_CNT: 0
; COMPUTE_PGM_RSRC3_GFX90A:ACCUM_OFFSET: 0
; COMPUTE_PGM_RSRC3_GFX90A:TG_SPLIT: 0
	.section	.text._ZN7rocprim17ROCPRIM_400000_NS6detail17trampoline_kernelINS0_14default_configENS1_25partition_config_selectorILNS1_17partition_subalgoE0EsNS0_10empty_typeEbEEZZNS1_14partition_implILS5_0ELb0ES3_jN6thrust23THRUST_200600_302600_NS6detail15normal_iteratorINSA_10device_ptrIsEEEEPS6_SG_NS0_5tupleIJNSA_16discard_iteratorINSA_11use_defaultEEESK_EEENSH_IJSG_SG_EEES6_PlJ7is_evenIsEEEE10hipError_tPvRmT3_T4_T5_T6_T7_T9_mT8_P12ihipStream_tbDpT10_ENKUlT_T0_E_clISt17integral_constantIbLb0EES19_EEDaS14_S15_EUlS14_E_NS1_11comp_targetILNS1_3genE5ELNS1_11target_archE942ELNS1_3gpuE9ELNS1_3repE0EEENS1_30default_config_static_selectorELNS0_4arch9wavefront6targetE1EEEvT1_,"axG",@progbits,_ZN7rocprim17ROCPRIM_400000_NS6detail17trampoline_kernelINS0_14default_configENS1_25partition_config_selectorILNS1_17partition_subalgoE0EsNS0_10empty_typeEbEEZZNS1_14partition_implILS5_0ELb0ES3_jN6thrust23THRUST_200600_302600_NS6detail15normal_iteratorINSA_10device_ptrIsEEEEPS6_SG_NS0_5tupleIJNSA_16discard_iteratorINSA_11use_defaultEEESK_EEENSH_IJSG_SG_EEES6_PlJ7is_evenIsEEEE10hipError_tPvRmT3_T4_T5_T6_T7_T9_mT8_P12ihipStream_tbDpT10_ENKUlT_T0_E_clISt17integral_constantIbLb0EES19_EEDaS14_S15_EUlS14_E_NS1_11comp_targetILNS1_3genE5ELNS1_11target_archE942ELNS1_3gpuE9ELNS1_3repE0EEENS1_30default_config_static_selectorELNS0_4arch9wavefront6targetE1EEEvT1_,comdat
	.protected	_ZN7rocprim17ROCPRIM_400000_NS6detail17trampoline_kernelINS0_14default_configENS1_25partition_config_selectorILNS1_17partition_subalgoE0EsNS0_10empty_typeEbEEZZNS1_14partition_implILS5_0ELb0ES3_jN6thrust23THRUST_200600_302600_NS6detail15normal_iteratorINSA_10device_ptrIsEEEEPS6_SG_NS0_5tupleIJNSA_16discard_iteratorINSA_11use_defaultEEESK_EEENSH_IJSG_SG_EEES6_PlJ7is_evenIsEEEE10hipError_tPvRmT3_T4_T5_T6_T7_T9_mT8_P12ihipStream_tbDpT10_ENKUlT_T0_E_clISt17integral_constantIbLb0EES19_EEDaS14_S15_EUlS14_E_NS1_11comp_targetILNS1_3genE5ELNS1_11target_archE942ELNS1_3gpuE9ELNS1_3repE0EEENS1_30default_config_static_selectorELNS0_4arch9wavefront6targetE1EEEvT1_ ; -- Begin function _ZN7rocprim17ROCPRIM_400000_NS6detail17trampoline_kernelINS0_14default_configENS1_25partition_config_selectorILNS1_17partition_subalgoE0EsNS0_10empty_typeEbEEZZNS1_14partition_implILS5_0ELb0ES3_jN6thrust23THRUST_200600_302600_NS6detail15normal_iteratorINSA_10device_ptrIsEEEEPS6_SG_NS0_5tupleIJNSA_16discard_iteratorINSA_11use_defaultEEESK_EEENSH_IJSG_SG_EEES6_PlJ7is_evenIsEEEE10hipError_tPvRmT3_T4_T5_T6_T7_T9_mT8_P12ihipStream_tbDpT10_ENKUlT_T0_E_clISt17integral_constantIbLb0EES19_EEDaS14_S15_EUlS14_E_NS1_11comp_targetILNS1_3genE5ELNS1_11target_archE942ELNS1_3gpuE9ELNS1_3repE0EEENS1_30default_config_static_selectorELNS0_4arch9wavefront6targetE1EEEvT1_
	.globl	_ZN7rocprim17ROCPRIM_400000_NS6detail17trampoline_kernelINS0_14default_configENS1_25partition_config_selectorILNS1_17partition_subalgoE0EsNS0_10empty_typeEbEEZZNS1_14partition_implILS5_0ELb0ES3_jN6thrust23THRUST_200600_302600_NS6detail15normal_iteratorINSA_10device_ptrIsEEEEPS6_SG_NS0_5tupleIJNSA_16discard_iteratorINSA_11use_defaultEEESK_EEENSH_IJSG_SG_EEES6_PlJ7is_evenIsEEEE10hipError_tPvRmT3_T4_T5_T6_T7_T9_mT8_P12ihipStream_tbDpT10_ENKUlT_T0_E_clISt17integral_constantIbLb0EES19_EEDaS14_S15_EUlS14_E_NS1_11comp_targetILNS1_3genE5ELNS1_11target_archE942ELNS1_3gpuE9ELNS1_3repE0EEENS1_30default_config_static_selectorELNS0_4arch9wavefront6targetE1EEEvT1_
	.p2align	8
	.type	_ZN7rocprim17ROCPRIM_400000_NS6detail17trampoline_kernelINS0_14default_configENS1_25partition_config_selectorILNS1_17partition_subalgoE0EsNS0_10empty_typeEbEEZZNS1_14partition_implILS5_0ELb0ES3_jN6thrust23THRUST_200600_302600_NS6detail15normal_iteratorINSA_10device_ptrIsEEEEPS6_SG_NS0_5tupleIJNSA_16discard_iteratorINSA_11use_defaultEEESK_EEENSH_IJSG_SG_EEES6_PlJ7is_evenIsEEEE10hipError_tPvRmT3_T4_T5_T6_T7_T9_mT8_P12ihipStream_tbDpT10_ENKUlT_T0_E_clISt17integral_constantIbLb0EES19_EEDaS14_S15_EUlS14_E_NS1_11comp_targetILNS1_3genE5ELNS1_11target_archE942ELNS1_3gpuE9ELNS1_3repE0EEENS1_30default_config_static_selectorELNS0_4arch9wavefront6targetE1EEEvT1_,@function
_ZN7rocprim17ROCPRIM_400000_NS6detail17trampoline_kernelINS0_14default_configENS1_25partition_config_selectorILNS1_17partition_subalgoE0EsNS0_10empty_typeEbEEZZNS1_14partition_implILS5_0ELb0ES3_jN6thrust23THRUST_200600_302600_NS6detail15normal_iteratorINSA_10device_ptrIsEEEEPS6_SG_NS0_5tupleIJNSA_16discard_iteratorINSA_11use_defaultEEESK_EEENSH_IJSG_SG_EEES6_PlJ7is_evenIsEEEE10hipError_tPvRmT3_T4_T5_T6_T7_T9_mT8_P12ihipStream_tbDpT10_ENKUlT_T0_E_clISt17integral_constantIbLb0EES19_EEDaS14_S15_EUlS14_E_NS1_11comp_targetILNS1_3genE5ELNS1_11target_archE942ELNS1_3gpuE9ELNS1_3repE0EEENS1_30default_config_static_selectorELNS0_4arch9wavefront6targetE1EEEvT1_: ; @_ZN7rocprim17ROCPRIM_400000_NS6detail17trampoline_kernelINS0_14default_configENS1_25partition_config_selectorILNS1_17partition_subalgoE0EsNS0_10empty_typeEbEEZZNS1_14partition_implILS5_0ELb0ES3_jN6thrust23THRUST_200600_302600_NS6detail15normal_iteratorINSA_10device_ptrIsEEEEPS6_SG_NS0_5tupleIJNSA_16discard_iteratorINSA_11use_defaultEEESK_EEENSH_IJSG_SG_EEES6_PlJ7is_evenIsEEEE10hipError_tPvRmT3_T4_T5_T6_T7_T9_mT8_P12ihipStream_tbDpT10_ENKUlT_T0_E_clISt17integral_constantIbLb0EES19_EEDaS14_S15_EUlS14_E_NS1_11comp_targetILNS1_3genE5ELNS1_11target_archE942ELNS1_3gpuE9ELNS1_3repE0EEENS1_30default_config_static_selectorELNS0_4arch9wavefront6targetE1EEEvT1_
; %bb.0:
	s_load_dwordx2 s[8:9], s[0:1], 0x68
	s_load_dwordx4 s[4:7], s[0:1], 0x8
	s_load_dwordx4 s[20:23], s[0:1], 0x58
	s_load_dword s3, s[0:1], 0x80
	s_waitcnt lgkmcnt(0)
	v_mov_b32_e32 v3, s9
	s_lshl_b64 s[10:11], s[6:7], 1
	s_add_u32 s9, s4, s10
	s_mul_i32 s4, s3, 0x3c00
	s_addc_u32 s12, s5, s11
	s_add_i32 s13, s3, -1
	s_add_i32 s3, s4, s6
	s_sub_i32 s3, s8, s3
	s_add_u32 s4, s6, s4
	s_addc_u32 s5, s7, 0
	s_cmp_eq_u32 s2, s13
	v_mov_b32_e32 v2, s8
	s_load_dwordx2 s[18:19], s[22:23], 0x0
	s_cselect_b64 s[22:23], -1, 0
	s_cmp_lg_u32 s2, s13
	s_mul_i32 s10, s2, 0x3c00
	s_mov_b32 s11, 0
	v_cmp_lt_u64_e32 vcc, s[4:5], v[2:3]
	s_cselect_b64 s[4:5], -1, 0
	s_or_b64 s[4:5], s[4:5], vcc
	s_lshl_b64 s[6:7], s[10:11], 1
	s_add_u32 s6, s9, s6
	s_addc_u32 s7, s12, s7
	s_mov_b64 s[8:9], -1
	s_and_b64 vcc, exec, s[4:5]
	v_lshlrev_b32_e32 v2, 1, v0
	s_cbranch_vccz .LBB2780_2
; %bb.1:
	v_mov_b32_e32 v3, 0
	v_lshl_add_u64 v[4:5], s[6:7], 0, v[2:3]
	v_add_co_u32_e32 v6, vcc, 0x1000, v4
	s_mov_b64 s[8:9], 0
	s_nop 0
	v_addc_co_u32_e32 v7, vcc, 0, v5, vcc
	flat_load_ushort v1, v[4:5]
	flat_load_ushort v3, v[4:5] offset:1024
	flat_load_ushort v10, v[4:5] offset:2048
	flat_load_ushort v11, v[4:5] offset:3072
	flat_load_ushort v12, v[6:7]
	flat_load_ushort v13, v[6:7] offset:1024
	flat_load_ushort v14, v[6:7] offset:2048
	flat_load_ushort v15, v[6:7] offset:3072
	v_add_co_u32_e32 v6, vcc, 0x2000, v4
	s_nop 1
	v_addc_co_u32_e32 v7, vcc, 0, v5, vcc
	v_add_co_u32_e32 v8, vcc, 0x3000, v4
	s_nop 1
	v_addc_co_u32_e32 v9, vcc, 0, v5, vcc
	flat_load_ushort v16, v[6:7]
	flat_load_ushort v17, v[6:7] offset:1024
	flat_load_ushort v18, v[6:7] offset:2048
	flat_load_ushort v19, v[6:7] offset:3072
	flat_load_ushort v20, v[8:9]
	flat_load_ushort v21, v[8:9] offset:1024
	flat_load_ushort v22, v[8:9] offset:2048
	flat_load_ushort v23, v[8:9] offset:3072
	v_add_co_u32_e32 v6, vcc, 0x4000, v4
	s_nop 1
	v_addc_co_u32_e32 v7, vcc, 0, v5, vcc
	v_add_co_u32_e32 v8, vcc, 0x5000, v4
	;; [unrolled: 14-line block ×3, first 2 shown]
	s_nop 1
	v_addc_co_u32_e32 v5, vcc, 0, v5, vcc
	flat_load_ushort v8, v[6:7]
	flat_load_ushort v9, v[6:7] offset:1024
	flat_load_ushort v32, v[6:7] offset:2048
	;; [unrolled: 1-line block ×3, first 2 shown]
	flat_load_ushort v34, v[4:5]
	flat_load_ushort v35, v[4:5] offset:1024
	s_waitcnt vmcnt(0) lgkmcnt(0)
	ds_write_b16 v2, v1
	ds_write_b16 v2, v3 offset:1024
	ds_write_b16 v2, v10 offset:2048
	;; [unrolled: 1-line block ×29, first 2 shown]
	s_waitcnt lgkmcnt(0)
	s_barrier
.LBB2780_2:
	s_andn2_b64 vcc, exec, s[8:9]
	s_addk_i32 s3, 0x3c00
	s_cbranch_vccnz .LBB2780_64
; %bb.3:
	v_cmp_gt_u32_e32 vcc, s3, v0
                                        ; implicit-def: $vgpr1
	s_and_saveexec_b64 s[8:9], vcc
	s_cbranch_execz .LBB2780_5
; %bb.4:
	v_mov_b32_e32 v3, 0
	v_lshl_add_u64 v[4:5], s[6:7], 0, v[2:3]
	flat_load_ushort v1, v[4:5]
.LBB2780_5:
	s_or_b64 exec, exec, s[8:9]
	v_or_b32_e32 v3, 0x200, v0
	v_cmp_gt_u32_e32 vcc, s3, v3
                                        ; implicit-def: $vgpr4
	s_and_saveexec_b64 s[8:9], vcc
	s_cbranch_execz .LBB2780_7
; %bb.6:
	v_mov_b32_e32 v3, 0
	v_lshl_add_u64 v[4:5], s[6:7], 0, v[2:3]
	flat_load_ushort v4, v[4:5] offset:1024
.LBB2780_7:
	s_or_b64 exec, exec, s[8:9]
	v_or_b32_e32 v3, 0x400, v0
	v_cmp_gt_u32_e32 vcc, s3, v3
                                        ; implicit-def: $vgpr5
	s_and_saveexec_b64 s[8:9], vcc
	s_cbranch_execz .LBB2780_9
; %bb.8:
	v_mov_b32_e32 v3, 0
	v_lshl_add_u64 v[6:7], s[6:7], 0, v[2:3]
	flat_load_ushort v5, v[6:7] offset:2048
.LBB2780_9:
	s_or_b64 exec, exec, s[8:9]
	v_or_b32_e32 v3, 0x600, v0
	v_cmp_gt_u32_e32 vcc, s3, v3
                                        ; implicit-def: $vgpr3
	s_and_saveexec_b64 s[8:9], vcc
	s_cbranch_execz .LBB2780_11
; %bb.10:
	v_mov_b32_e32 v3, 0
	v_lshl_add_u64 v[6:7], s[6:7], 0, v[2:3]
	flat_load_ushort v3, v[6:7] offset:3072
.LBB2780_11:
	s_or_b64 exec, exec, s[8:9]
	v_or_b32_e32 v7, 0x800, v0
	v_cmp_gt_u32_e32 vcc, s3, v7
                                        ; implicit-def: $vgpr6
	s_and_saveexec_b64 s[8:9], vcc
	s_cbranch_execz .LBB2780_13
; %bb.12:
	v_lshlrev_b32_e32 v6, 1, v7
	v_mov_b32_e32 v7, 0
	v_lshl_add_u64 v[6:7], s[6:7], 0, v[6:7]
	flat_load_ushort v6, v[6:7]
.LBB2780_13:
	s_or_b64 exec, exec, s[8:9]
	v_or_b32_e32 v8, 0xa00, v0
	v_cmp_gt_u32_e32 vcc, s3, v8
                                        ; implicit-def: $vgpr7
	s_and_saveexec_b64 s[8:9], vcc
	s_cbranch_execz .LBB2780_15
; %bb.14:
	v_lshlrev_b32_e32 v8, 1, v8
	v_mov_b32_e32 v9, 0
	v_lshl_add_u64 v[8:9], s[6:7], 0, v[8:9]
	flat_load_ushort v7, v[8:9]
.LBB2780_15:
	s_or_b64 exec, exec, s[8:9]
	v_or_b32_e32 v9, 0xc00, v0
	v_cmp_gt_u32_e32 vcc, s3, v9
                                        ; implicit-def: $vgpr8
	s_and_saveexec_b64 s[8:9], vcc
	s_cbranch_execz .LBB2780_17
; %bb.16:
	v_lshlrev_b32_e32 v8, 1, v9
	v_mov_b32_e32 v9, 0
	v_lshl_add_u64 v[8:9], s[6:7], 0, v[8:9]
	flat_load_ushort v8, v[8:9]
.LBB2780_17:
	s_or_b64 exec, exec, s[8:9]
	v_or_b32_e32 v10, 0xe00, v0
	v_cmp_gt_u32_e32 vcc, s3, v10
                                        ; implicit-def: $vgpr9
	s_and_saveexec_b64 s[8:9], vcc
	s_cbranch_execz .LBB2780_19
; %bb.18:
	v_lshlrev_b32_e32 v10, 1, v10
	v_mov_b32_e32 v11, 0
	v_lshl_add_u64 v[10:11], s[6:7], 0, v[10:11]
	flat_load_ushort v9, v[10:11]
.LBB2780_19:
	s_or_b64 exec, exec, s[8:9]
	v_or_b32_e32 v11, 0x1000, v0
	v_cmp_gt_u32_e32 vcc, s3, v11
                                        ; implicit-def: $vgpr10
	s_and_saveexec_b64 s[8:9], vcc
	s_cbranch_execz .LBB2780_21
; %bb.20:
	v_lshlrev_b32_e32 v10, 1, v11
	v_mov_b32_e32 v11, 0
	v_lshl_add_u64 v[10:11], s[6:7], 0, v[10:11]
	flat_load_ushort v10, v[10:11]
.LBB2780_21:
	s_or_b64 exec, exec, s[8:9]
	v_or_b32_e32 v12, 0x1200, v0
	v_cmp_gt_u32_e32 vcc, s3, v12
                                        ; implicit-def: $vgpr11
	s_and_saveexec_b64 s[8:9], vcc
	s_cbranch_execz .LBB2780_23
; %bb.22:
	v_lshlrev_b32_e32 v12, 1, v12
	v_mov_b32_e32 v13, 0
	v_lshl_add_u64 v[12:13], s[6:7], 0, v[12:13]
	flat_load_ushort v11, v[12:13]
.LBB2780_23:
	s_or_b64 exec, exec, s[8:9]
	v_or_b32_e32 v13, 0x1400, v0
	v_cmp_gt_u32_e32 vcc, s3, v13
                                        ; implicit-def: $vgpr12
	s_and_saveexec_b64 s[8:9], vcc
	s_cbranch_execz .LBB2780_25
; %bb.24:
	v_lshlrev_b32_e32 v12, 1, v13
	v_mov_b32_e32 v13, 0
	v_lshl_add_u64 v[12:13], s[6:7], 0, v[12:13]
	flat_load_ushort v12, v[12:13]
.LBB2780_25:
	s_or_b64 exec, exec, s[8:9]
	v_or_b32_e32 v14, 0x1600, v0
	v_cmp_gt_u32_e32 vcc, s3, v14
                                        ; implicit-def: $vgpr13
	s_and_saveexec_b64 s[8:9], vcc
	s_cbranch_execz .LBB2780_27
; %bb.26:
	v_lshlrev_b32_e32 v14, 1, v14
	v_mov_b32_e32 v15, 0
	v_lshl_add_u64 v[14:15], s[6:7], 0, v[14:15]
	flat_load_ushort v13, v[14:15]
.LBB2780_27:
	s_or_b64 exec, exec, s[8:9]
	v_or_b32_e32 v15, 0x1800, v0
	v_cmp_gt_u32_e32 vcc, s3, v15
                                        ; implicit-def: $vgpr14
	s_and_saveexec_b64 s[8:9], vcc
	s_cbranch_execz .LBB2780_29
; %bb.28:
	v_lshlrev_b32_e32 v14, 1, v15
	v_mov_b32_e32 v15, 0
	v_lshl_add_u64 v[14:15], s[6:7], 0, v[14:15]
	flat_load_ushort v14, v[14:15]
.LBB2780_29:
	s_or_b64 exec, exec, s[8:9]
	v_or_b32_e32 v16, 0x1a00, v0
	v_cmp_gt_u32_e32 vcc, s3, v16
                                        ; implicit-def: $vgpr15
	s_and_saveexec_b64 s[8:9], vcc
	s_cbranch_execz .LBB2780_31
; %bb.30:
	v_lshlrev_b32_e32 v16, 1, v16
	v_mov_b32_e32 v17, 0
	v_lshl_add_u64 v[16:17], s[6:7], 0, v[16:17]
	flat_load_ushort v15, v[16:17]
.LBB2780_31:
	s_or_b64 exec, exec, s[8:9]
	v_or_b32_e32 v17, 0x1c00, v0
	v_cmp_gt_u32_e32 vcc, s3, v17
                                        ; implicit-def: $vgpr16
	s_and_saveexec_b64 s[8:9], vcc
	s_cbranch_execz .LBB2780_33
; %bb.32:
	v_lshlrev_b32_e32 v16, 1, v17
	v_mov_b32_e32 v17, 0
	v_lshl_add_u64 v[16:17], s[6:7], 0, v[16:17]
	flat_load_ushort v16, v[16:17]
.LBB2780_33:
	s_or_b64 exec, exec, s[8:9]
	v_or_b32_e32 v18, 0x1e00, v0
	v_cmp_gt_u32_e32 vcc, s3, v18
                                        ; implicit-def: $vgpr17
	s_and_saveexec_b64 s[8:9], vcc
	s_cbranch_execz .LBB2780_35
; %bb.34:
	v_lshlrev_b32_e32 v18, 1, v18
	v_mov_b32_e32 v19, 0
	v_lshl_add_u64 v[18:19], s[6:7], 0, v[18:19]
	flat_load_ushort v17, v[18:19]
.LBB2780_35:
	s_or_b64 exec, exec, s[8:9]
	v_or_b32_e32 v19, 0x2000, v0
	v_cmp_gt_u32_e32 vcc, s3, v19
                                        ; implicit-def: $vgpr18
	s_and_saveexec_b64 s[8:9], vcc
	s_cbranch_execz .LBB2780_37
; %bb.36:
	v_lshlrev_b32_e32 v18, 1, v19
	v_mov_b32_e32 v19, 0
	v_lshl_add_u64 v[18:19], s[6:7], 0, v[18:19]
	flat_load_ushort v18, v[18:19]
.LBB2780_37:
	s_or_b64 exec, exec, s[8:9]
	v_or_b32_e32 v20, 0x2200, v0
	v_cmp_gt_u32_e32 vcc, s3, v20
                                        ; implicit-def: $vgpr19
	s_and_saveexec_b64 s[8:9], vcc
	s_cbranch_execz .LBB2780_39
; %bb.38:
	v_lshlrev_b32_e32 v20, 1, v20
	v_mov_b32_e32 v21, 0
	v_lshl_add_u64 v[20:21], s[6:7], 0, v[20:21]
	flat_load_ushort v19, v[20:21]
.LBB2780_39:
	s_or_b64 exec, exec, s[8:9]
	v_or_b32_e32 v21, 0x2400, v0
	v_cmp_gt_u32_e32 vcc, s3, v21
                                        ; implicit-def: $vgpr20
	s_and_saveexec_b64 s[8:9], vcc
	s_cbranch_execz .LBB2780_41
; %bb.40:
	v_lshlrev_b32_e32 v20, 1, v21
	v_mov_b32_e32 v21, 0
	v_lshl_add_u64 v[20:21], s[6:7], 0, v[20:21]
	flat_load_ushort v20, v[20:21]
.LBB2780_41:
	s_or_b64 exec, exec, s[8:9]
	v_or_b32_e32 v22, 0x2600, v0
	v_cmp_gt_u32_e32 vcc, s3, v22
                                        ; implicit-def: $vgpr21
	s_and_saveexec_b64 s[8:9], vcc
	s_cbranch_execz .LBB2780_43
; %bb.42:
	v_lshlrev_b32_e32 v22, 1, v22
	v_mov_b32_e32 v23, 0
	v_lshl_add_u64 v[22:23], s[6:7], 0, v[22:23]
	flat_load_ushort v21, v[22:23]
.LBB2780_43:
	s_or_b64 exec, exec, s[8:9]
	v_or_b32_e32 v23, 0x2800, v0
	v_cmp_gt_u32_e32 vcc, s3, v23
                                        ; implicit-def: $vgpr22
	s_and_saveexec_b64 s[8:9], vcc
	s_cbranch_execz .LBB2780_45
; %bb.44:
	v_lshlrev_b32_e32 v22, 1, v23
	v_mov_b32_e32 v23, 0
	v_lshl_add_u64 v[22:23], s[6:7], 0, v[22:23]
	flat_load_ushort v22, v[22:23]
.LBB2780_45:
	s_or_b64 exec, exec, s[8:9]
	v_or_b32_e32 v24, 0x2a00, v0
	v_cmp_gt_u32_e32 vcc, s3, v24
                                        ; implicit-def: $vgpr23
	s_and_saveexec_b64 s[8:9], vcc
	s_cbranch_execz .LBB2780_47
; %bb.46:
	v_lshlrev_b32_e32 v24, 1, v24
	v_mov_b32_e32 v25, 0
	v_lshl_add_u64 v[24:25], s[6:7], 0, v[24:25]
	flat_load_ushort v23, v[24:25]
.LBB2780_47:
	s_or_b64 exec, exec, s[8:9]
	v_or_b32_e32 v25, 0x2c00, v0
	v_cmp_gt_u32_e32 vcc, s3, v25
                                        ; implicit-def: $vgpr24
	s_and_saveexec_b64 s[8:9], vcc
	s_cbranch_execz .LBB2780_49
; %bb.48:
	v_lshlrev_b32_e32 v24, 1, v25
	v_mov_b32_e32 v25, 0
	v_lshl_add_u64 v[24:25], s[6:7], 0, v[24:25]
	flat_load_ushort v24, v[24:25]
.LBB2780_49:
	s_or_b64 exec, exec, s[8:9]
	v_or_b32_e32 v26, 0x2e00, v0
	v_cmp_gt_u32_e32 vcc, s3, v26
                                        ; implicit-def: $vgpr25
	s_and_saveexec_b64 s[8:9], vcc
	s_cbranch_execz .LBB2780_51
; %bb.50:
	v_lshlrev_b32_e32 v26, 1, v26
	v_mov_b32_e32 v27, 0
	v_lshl_add_u64 v[26:27], s[6:7], 0, v[26:27]
	flat_load_ushort v25, v[26:27]
.LBB2780_51:
	s_or_b64 exec, exec, s[8:9]
	v_or_b32_e32 v27, 0x3000, v0
	v_cmp_gt_u32_e32 vcc, s3, v27
                                        ; implicit-def: $vgpr26
	s_and_saveexec_b64 s[8:9], vcc
	s_cbranch_execz .LBB2780_53
; %bb.52:
	v_lshlrev_b32_e32 v26, 1, v27
	v_mov_b32_e32 v27, 0
	v_lshl_add_u64 v[26:27], s[6:7], 0, v[26:27]
	flat_load_ushort v26, v[26:27]
.LBB2780_53:
	s_or_b64 exec, exec, s[8:9]
	v_or_b32_e32 v28, 0x3200, v0
	v_cmp_gt_u32_e32 vcc, s3, v28
                                        ; implicit-def: $vgpr27
	s_and_saveexec_b64 s[8:9], vcc
	s_cbranch_execz .LBB2780_55
; %bb.54:
	v_lshlrev_b32_e32 v28, 1, v28
	v_mov_b32_e32 v29, 0
	v_lshl_add_u64 v[28:29], s[6:7], 0, v[28:29]
	flat_load_ushort v27, v[28:29]
.LBB2780_55:
	s_or_b64 exec, exec, s[8:9]
	v_or_b32_e32 v29, 0x3400, v0
	v_cmp_gt_u32_e32 vcc, s3, v29
                                        ; implicit-def: $vgpr28
	s_and_saveexec_b64 s[8:9], vcc
	s_cbranch_execz .LBB2780_57
; %bb.56:
	v_lshlrev_b32_e32 v28, 1, v29
	v_mov_b32_e32 v29, 0
	v_lshl_add_u64 v[28:29], s[6:7], 0, v[28:29]
	flat_load_ushort v28, v[28:29]
.LBB2780_57:
	s_or_b64 exec, exec, s[8:9]
	v_or_b32_e32 v30, 0x3600, v0
	v_cmp_gt_u32_e32 vcc, s3, v30
                                        ; implicit-def: $vgpr29
	s_and_saveexec_b64 s[8:9], vcc
	s_cbranch_execz .LBB2780_59
; %bb.58:
	v_lshlrev_b32_e32 v30, 1, v30
	v_mov_b32_e32 v31, 0
	v_lshl_add_u64 v[30:31], s[6:7], 0, v[30:31]
	flat_load_ushort v29, v[30:31]
.LBB2780_59:
	s_or_b64 exec, exec, s[8:9]
	v_or_b32_e32 v31, 0x3800, v0
	v_cmp_gt_u32_e32 vcc, s3, v31
                                        ; implicit-def: $vgpr30
	s_and_saveexec_b64 s[8:9], vcc
	s_cbranch_execz .LBB2780_61
; %bb.60:
	v_lshlrev_b32_e32 v30, 1, v31
	v_mov_b32_e32 v31, 0
	v_lshl_add_u64 v[30:31], s[6:7], 0, v[30:31]
	flat_load_ushort v30, v[30:31]
.LBB2780_61:
	s_or_b64 exec, exec, s[8:9]
	v_or_b32_e32 v32, 0x3a00, v0
	v_cmp_gt_u32_e32 vcc, s3, v32
                                        ; implicit-def: $vgpr31
	s_and_saveexec_b64 s[8:9], vcc
	s_cbranch_execz .LBB2780_63
; %bb.62:
	v_lshlrev_b32_e32 v32, 1, v32
	v_mov_b32_e32 v33, 0
	v_lshl_add_u64 v[32:33], s[6:7], 0, v[32:33]
	flat_load_ushort v31, v[32:33]
.LBB2780_63:
	s_or_b64 exec, exec, s[8:9]
	s_waitcnt vmcnt(0) lgkmcnt(0)
	ds_write_b16 v2, v1
	ds_write_b16 v2, v4 offset:1024
	ds_write_b16 v2, v5 offset:2048
	;; [unrolled: 1-line block ×29, first 2 shown]
	s_waitcnt lgkmcnt(0)
	s_barrier
.LBB2780_64:
	v_mul_u32_u24_e32 v39, 30, v0
	v_lshlrev_b32_e32 v8, 1, v39
	s_waitcnt lgkmcnt(0)
	ds_read_b32 v26, v8 offset:56
	ds_read2_b32 v[2:3], v8 offset0:12 offset1:13
	ds_read2_b32 v[4:5], v8 offset0:10 offset1:11
	;; [unrolled: 1-line block ×3, first 2 shown]
	ds_read2_b32 v[14:15], v8 offset1:1
	ds_read2_b32 v[12:13], v8 offset0:2 offset1:3
	ds_read2_b32 v[10:11], v8 offset0:4 offset1:5
	ds_read2_b32 v[8:9], v8 offset0:6 offset1:7
	s_waitcnt lgkmcnt(7)
	v_lshrrev_b32_e32 v1, 16, v26
	s_waitcnt lgkmcnt(6)
	v_lshrrev_b32_e32 v28, 16, v2
	v_lshrrev_b32_e32 v27, 16, v3
	s_waitcnt lgkmcnt(5)
	v_lshrrev_b32_e32 v30, 16, v4
	;; [unrolled: 3-line block ×6, first 2 shown]
	v_lshrrev_b32_e32 v33, 16, v9
	v_lshrrev_b32_e32 v32, 16, v6
	;; [unrolled: 1-line block ×3, first 2 shown]
	s_andn2_b64 vcc, exec, s[4:5]
	v_xor_b32_e32 v91, -1, v14
	v_xor_b32_e32 v90, -1, v41
	;; [unrolled: 1-line block ×30, first 2 shown]
	s_barrier
	s_cbranch_vccnz .LBB2780_66
; %bb.65:
	v_and_b32_e32 v71, 1, v91
	v_and_b32_e32 v70, 1, v90
	;; [unrolled: 1-line block ×30, first 2 shown]
	s_load_dwordx2 s[24:25], s[0:1], 0x78
	s_cbranch_execz .LBB2780_67
	s_branch .LBB2780_68
.LBB2780_66:
                                        ; implicit-def: $vgpr71
                                        ; implicit-def: $vgpr70
                                        ; implicit-def: $vgpr69
                                        ; implicit-def: $vgpr68
                                        ; implicit-def: $vgpr67
                                        ; implicit-def: $vgpr66
                                        ; implicit-def: $vgpr65
                                        ; implicit-def: $vgpr64
                                        ; implicit-def: $vgpr63
                                        ; implicit-def: $vgpr62
                                        ; implicit-def: $vgpr61
                                        ; implicit-def: $vgpr60
                                        ; implicit-def: $vgpr59
                                        ; implicit-def: $vgpr58
                                        ; implicit-def: $vgpr57
                                        ; implicit-def: $vgpr56
                                        ; implicit-def: $vgpr55
                                        ; implicit-def: $vgpr54
                                        ; implicit-def: $vgpr53
                                        ; implicit-def: $vgpr52
                                        ; implicit-def: $vgpr51
                                        ; implicit-def: $vgpr50
                                        ; implicit-def: $vgpr49
                                        ; implicit-def: $vgpr48
                                        ; implicit-def: $vgpr47
                                        ; implicit-def: $vgpr46
                                        ; implicit-def: $vgpr45
                                        ; implicit-def: $vgpr44
                                        ; implicit-def: $vgpr42
                                        ; implicit-def: $vgpr43
	s_load_dwordx2 s[24:25], s[0:1], 0x78
.LBB2780_67:
	v_or_b32_e32 v51, 1, v39
	v_cmp_gt_u32_e32 vcc, s3, v39
	v_add_u32_e32 v52, 2, v39
	v_add_u32_e32 v53, 3, v39
	v_cndmask_b32_e64 v61, 0, 1, vcc
	v_cmp_gt_u32_e32 vcc, s3, v51
	v_add_u32_e32 v54, 4, v39
	v_add_u32_e32 v55, 5, v39
	v_cndmask_b32_e64 v51, 0, 1, vcc
	v_cmp_gt_u32_e32 vcc, s3, v52
	v_and_b32_e32 v70, v51, v90
	v_add_u32_e32 v56, 6, v39
	v_cndmask_b32_e64 v51, 0, 1, vcc
	v_cmp_gt_u32_e32 vcc, s3, v53
	v_and_b32_e32 v69, v51, v89
	;; [unrolled: 4-line block ×9, first 2 shown]
	v_and_b32_e32 v71, v61, v91
	v_cndmask_b32_e64 v51, 0, 1, vcc
	v_cmp_gt_u32_e32 vcc, s3, v92
	v_and_b32_e32 v61, v51, v81
	v_add_u32_e32 v95, 14, v39
	v_cndmask_b32_e64 v51, 0, 1, vcc
	v_cmp_gt_u32_e32 vcc, s3, v93
	v_and_b32_e32 v60, v51, v80
	v_add_u32_e32 v96, 15, v39
	;; [unrolled: 4-line block ×16, first 2 shown]
	v_cndmask_b32_e64 v20, 0, 1, vcc
	v_cmp_gt_u32_e32 vcc, s3, v44
	v_and_b32_e32 v45, v20, v19
	s_nop 0
	v_cndmask_b32_e64 v19, 0, 1, vcc
	v_cmp_gt_u32_e32 vcc, s3, v42
	v_and_b32_e32 v44, v19, v18
	s_nop 0
	;; [unrolled: 4-line block ×3, first 2 shown]
	v_cndmask_b32_e64 v17, 0, 1, vcc
	v_and_b32_e32 v43, v17, v16
.LBB2780_68:
	v_and_b32_e32 v98, 0xff, v45
	v_and_b32_e32 v99, 0xff, v44
	v_add_u32_sdwa v16, v42, v43 dst_sel:DWORD dst_unused:UNUSED_PAD src0_sel:BYTE_0 src1_sel:BYTE_0
	v_and_b32_e32 v96, 0xff, v47
	v_and_b32_e32 v97, 0xff, v46
	v_add3_u32 v16, v16, v99, v98
	v_and_b32_e32 v94, 0xff, v49
	v_and_b32_e32 v95, 0xff, v48
	v_add3_u32 v16, v16, v97, v96
	;; [unrolled: 3-line block ×13, first 2 shown]
	v_add3_u32 v102, v16, v73, v72
	v_mbcnt_lo_u32_b32 v16, -1, 0
	v_mbcnt_hi_u32_b32 v100, -1, v16
	v_and_b32_e32 v16, 15, v100
	v_cmp_eq_u32_e64 s[12:13], 0, v16
	v_cmp_lt_u32_e64 s[10:11], 1, v16
	v_cmp_lt_u32_e64 s[8:9], 3, v16
	;; [unrolled: 1-line block ×3, first 2 shown]
	v_and_b32_e32 v16, 16, v100
	v_cmp_eq_u32_e64 s[4:5], 0, v16
	v_or_b32_e32 v16, 63, v0
	s_cmp_lg_u32 s2, 0
	v_cmp_lt_u32_e64 s[0:1], 31, v100
	v_lshrrev_b32_e32 v101, 6, v0
	v_cmp_eq_u32_e64 s[16:17], v16, v0
	s_cbranch_scc0 .LBB2780_95
; %bb.69:
	v_mov_b32_dpp v16, v102 row_shr:1 row_mask:0xf bank_mask:0xf
	v_cndmask_b32_e64 v16, v16, 0, s[12:13]
	v_add_u32_e32 v16, v16, v102
	s_nop 1
	v_mov_b32_dpp v17, v16 row_shr:2 row_mask:0xf bank_mask:0xf
	v_cndmask_b32_e64 v17, 0, v17, s[10:11]
	v_add_u32_e32 v16, v16, v17
	s_nop 1
	;; [unrolled: 4-line block ×4, first 2 shown]
	v_mov_b32_dpp v17, v16 row_bcast:15 row_mask:0xf bank_mask:0xf
	v_cndmask_b32_e64 v17, v17, 0, s[4:5]
	v_add_u32_e32 v16, v16, v17
	s_nop 1
	v_mov_b32_dpp v17, v16 row_bcast:31 row_mask:0xf bank_mask:0xf
	v_cndmask_b32_e64 v17, 0, v17, s[0:1]
	v_add_u32_e32 v16, v16, v17
	s_and_saveexec_b64 s[14:15], s[16:17]
	s_cbranch_execz .LBB2780_71
; %bb.70:
	v_lshlrev_b32_e32 v17, 2, v101
	ds_write_b32 v17, v16
.LBB2780_71:
	s_or_b64 exec, exec, s[14:15]
	v_cmp_gt_u32_e32 vcc, 8, v0
	s_waitcnt lgkmcnt(0)
	s_barrier
	s_and_saveexec_b64 s[14:15], vcc
	s_cbranch_execz .LBB2780_73
; %bb.72:
	v_lshlrev_b32_e32 v17, 2, v0
	ds_read_b32 v18, v17
	v_and_b32_e32 v19, 7, v100
	v_cmp_ne_u32_e32 vcc, 0, v19
	s_waitcnt lgkmcnt(0)
	v_mov_b32_dpp v20, v18 row_shr:1 row_mask:0xf bank_mask:0xf
	v_cndmask_b32_e32 v20, 0, v20, vcc
	v_add_u32_e32 v18, v20, v18
	v_cmp_lt_u32_e32 vcc, 1, v19
	s_nop 0
	v_mov_b32_dpp v20, v18 row_shr:2 row_mask:0xf bank_mask:0xf
	v_cndmask_b32_e32 v20, 0, v20, vcc
	v_add_u32_e32 v18, v18, v20
	v_cmp_lt_u32_e32 vcc, 3, v19
	s_nop 0
	v_mov_b32_dpp v20, v18 row_shr:4 row_mask:0xf bank_mask:0xf
	v_cndmask_b32_e32 v19, 0, v20, vcc
	v_add_u32_e32 v18, v18, v19
	ds_write_b32 v17, v18
.LBB2780_73:
	s_or_b64 exec, exec, s[14:15]
	v_cmp_gt_u32_e32 vcc, 64, v0
	v_cmp_lt_u32_e64 s[14:15], 63, v0
	s_waitcnt lgkmcnt(0)
	s_barrier
	s_waitcnt lgkmcnt(0)
                                        ; implicit-def: $vgpr103
	s_and_saveexec_b64 s[26:27], s[14:15]
	s_cbranch_execz .LBB2780_75
; %bb.74:
	v_lshl_add_u32 v17, v101, 2, -4
	ds_read_b32 v103, v17
	s_waitcnt lgkmcnt(0)
	v_add_u32_e32 v16, v103, v16
.LBB2780_75:
	s_or_b64 exec, exec, s[26:27]
	v_add_u32_e32 v17, -1, v100
	v_and_b32_e32 v18, 64, v100
	v_cmp_lt_i32_e64 s[14:15], v17, v18
	s_nop 1
	v_cndmask_b32_e64 v17, v17, v100, s[14:15]
	v_lshlrev_b32_e32 v17, 2, v17
	ds_bpermute_b32 v104, v17, v16
	v_cmp_eq_u32_e64 s[14:15], 0, v100
	s_and_saveexec_b64 s[26:27], vcc
	s_cbranch_execz .LBB2780_94
; %bb.76:
	v_mov_b32_e32 v23, 0
	ds_read_b32 v16, v23 offset:28
	s_and_saveexec_b64 s[28:29], s[14:15]
	s_cbranch_execz .LBB2780_78
; %bb.77:
	s_add_i32 s30, s2, 64
	s_mov_b32 s31, 0
	s_lshl_b64 s[30:31], s[30:31], 3
	s_add_u32 s30, s24, s30
	v_mov_b32_e32 v17, 1
	s_addc_u32 s31, s25, s31
	s_waitcnt lgkmcnt(0)
	global_store_dwordx2 v23, v[16:17], s[30:31] sc1
.LBB2780_78:
	s_or_b64 exec, exec, s[28:29]
	v_xad_u32 v18, v100, -1, s2
	v_add_u32_e32 v22, 64, v18
	v_lshl_add_u64 v[24:25], v[22:23], 3, s[24:25]
	global_load_dwordx2 v[20:21], v[24:25], off sc1
	s_waitcnt vmcnt(0)
	v_cmp_eq_u16_sdwa s[30:31], v21, v23 src0_sel:BYTE_0 src1_sel:DWORD
	s_and_saveexec_b64 s[28:29], s[30:31]
	s_cbranch_execz .LBB2780_82
; %bb.79:
	s_mov_b64 s[30:31], 0
	v_mov_b32_e32 v17, 0
.LBB2780_80:                            ; =>This Inner Loop Header: Depth=1
	global_load_dwordx2 v[20:21], v[24:25], off sc1
	s_waitcnt vmcnt(0)
	v_cmp_ne_u16_sdwa s[34:35], v21, v17 src0_sel:BYTE_0 src1_sel:DWORD
	s_or_b64 s[30:31], s[34:35], s[30:31]
	s_andn2_b64 exec, exec, s[30:31]
	s_cbranch_execnz .LBB2780_80
; %bb.81:
	s_or_b64 exec, exec, s[30:31]
.LBB2780_82:
	s_or_b64 exec, exec, s[28:29]
	v_and_b32_e32 v106, 63, v100
	v_mov_b32_e32 v105, 2
	v_cmp_ne_u32_e32 vcc, 63, v106
	v_cmp_eq_u16_sdwa s[28:29], v21, v105 src0_sel:BYTE_0 src1_sel:DWORD
	v_lshlrev_b64 v[22:23], v100, -1
	v_addc_co_u32_e32 v24, vcc, 0, v100, vcc
	v_and_b32_e32 v17, s29, v23
	v_lshlrev_b32_e32 v107, 2, v24
	v_or_b32_e32 v17, 0x80000000, v17
	ds_bpermute_b32 v24, v107, v20
	v_and_b32_e32 v19, s28, v22
	v_ffbl_b32_e32 v17, v17
	v_add_u32_e32 v17, 32, v17
	v_ffbl_b32_e32 v19, v19
	v_min_u32_e32 v17, v19, v17
	v_cmp_lt_u32_e32 vcc, v106, v17
	v_add_u32_e32 v109, 2, v106
	v_add_u32_e32 v111, 4, v106
	s_waitcnt lgkmcnt(0)
	v_cndmask_b32_e32 v19, 0, v24, vcc
	v_cmp_gt_u32_e32 vcc, 62, v106
	v_add_u32_e32 v19, v19, v20
	v_add_u32_e32 v113, 8, v106
	v_cndmask_b32_e64 v20, 0, 1, vcc
	v_lshlrev_b32_e32 v20, 1, v20
	v_add_lshl_u32 v108, v20, v100, 2
	ds_bpermute_b32 v20, v108, v19
	v_cmp_le_u32_e32 vcc, v109, v17
	v_add_u32_e32 v115, 16, v106
	v_add_u32_e32 v117, 32, v106
	s_waitcnt lgkmcnt(0)
	v_cndmask_b32_e32 v20, 0, v20, vcc
	v_cmp_gt_u32_e32 vcc, 60, v106
	v_add_u32_e32 v19, v19, v20
	s_nop 0
	v_cndmask_b32_e64 v20, 0, 1, vcc
	v_lshlrev_b32_e32 v20, 2, v20
	v_add_lshl_u32 v110, v20, v100, 2
	ds_bpermute_b32 v20, v110, v19
	v_cmp_le_u32_e32 vcc, v111, v17
	s_waitcnt lgkmcnt(0)
	s_nop 0
	v_cndmask_b32_e32 v20, 0, v20, vcc
	v_cmp_gt_u32_e32 vcc, 56, v106
	v_add_u32_e32 v19, v19, v20
	s_nop 0
	v_cndmask_b32_e64 v20, 0, 1, vcc
	v_lshlrev_b32_e32 v20, 3, v20
	v_add_lshl_u32 v112, v20, v100, 2
	ds_bpermute_b32 v20, v112, v19
	v_cmp_le_u32_e32 vcc, v113, v17
	s_waitcnt lgkmcnt(0)
	s_nop 0
	;; [unrolled: 11-line block ×4, first 2 shown]
	v_cndmask_b32_e32 v17, 0, v20, vcc
	v_add_u32_e32 v20, v19, v17
	v_mov_b32_e32 v19, 0
	s_branch .LBB2780_84
.LBB2780_83:                            ;   in Loop: Header=BB2780_84 Depth=1
	s_or_b64 exec, exec, s[28:29]
	v_cmp_eq_u16_sdwa s[28:29], v21, v105 src0_sel:BYTE_0 src1_sel:DWORD
	ds_bpermute_b32 v118, v107, v20
	v_subrev_u32_e32 v18, 64, v18
	v_and_b32_e32 v24, s29, v23
	v_or_b32_e32 v24, 0x80000000, v24
	v_and_b32_e32 v25, s28, v22
	v_ffbl_b32_e32 v24, v24
	v_add_u32_e32 v24, 32, v24
	v_ffbl_b32_e32 v25, v25
	v_min_u32_e32 v24, v25, v24
	v_cmp_lt_u32_e32 vcc, v106, v24
	s_waitcnt lgkmcnt(0)
	s_nop 0
	v_cndmask_b32_e32 v25, 0, v118, vcc
	v_add_u32_e32 v20, v25, v20
	ds_bpermute_b32 v25, v108, v20
	v_cmp_le_u32_e32 vcc, v109, v24
	s_waitcnt lgkmcnt(0)
	s_nop 0
	v_cndmask_b32_e32 v25, 0, v25, vcc
	v_add_u32_e32 v20, v20, v25
	ds_bpermute_b32 v25, v110, v20
	v_cmp_le_u32_e32 vcc, v111, v24
	;; [unrolled: 6-line block ×5, first 2 shown]
	s_waitcnt lgkmcnt(0)
	s_nop 0
	v_cndmask_b32_e32 v24, 0, v25, vcc
	v_add3_u32 v20, v24, v17, v20
.LBB2780_84:                            ; =>This Loop Header: Depth=1
                                        ;     Child Loop BB2780_87 Depth 2
	v_cmp_ne_u16_sdwa s[28:29], v21, v105 src0_sel:BYTE_0 src1_sel:DWORD
	s_nop 1
	v_cndmask_b32_e64 v17, 0, 1, s[28:29]
	;;#ASMSTART
	;;#ASMEND
	s_nop 0
	v_cmp_ne_u32_e32 vcc, 0, v17
	s_cmp_lg_u64 vcc, exec
	v_mov_b32_e32 v17, v20
	s_cbranch_scc1 .LBB2780_89
; %bb.85:                               ;   in Loop: Header=BB2780_84 Depth=1
	v_lshl_add_u64 v[24:25], v[18:19], 3, s[24:25]
	global_load_dwordx2 v[20:21], v[24:25], off sc1
	s_waitcnt vmcnt(0)
	v_cmp_eq_u16_sdwa s[30:31], v21, v19 src0_sel:BYTE_0 src1_sel:DWORD
	s_and_saveexec_b64 s[28:29], s[30:31]
	s_cbranch_execz .LBB2780_83
; %bb.86:                               ;   in Loop: Header=BB2780_84 Depth=1
	s_mov_b64 s[30:31], 0
.LBB2780_87:                            ;   Parent Loop BB2780_84 Depth=1
                                        ; =>  This Inner Loop Header: Depth=2
	global_load_dwordx2 v[20:21], v[24:25], off sc1
	s_waitcnt vmcnt(0)
	v_cmp_ne_u16_sdwa s[34:35], v21, v19 src0_sel:BYTE_0 src1_sel:DWORD
	s_or_b64 s[30:31], s[34:35], s[30:31]
	s_andn2_b64 exec, exec, s[30:31]
	s_cbranch_execnz .LBB2780_87
; %bb.88:                               ;   in Loop: Header=BB2780_84 Depth=1
	s_or_b64 exec, exec, s[30:31]
	s_branch .LBB2780_83
.LBB2780_89:                            ;   in Loop: Header=BB2780_84 Depth=1
                                        ; implicit-def: $vgpr20
                                        ; implicit-def: $vgpr21
	s_cbranch_execz .LBB2780_84
; %bb.90:
	s_and_saveexec_b64 s[28:29], s[14:15]
	s_cbranch_execz .LBB2780_92
; %bb.91:
	s_add_i32 s2, s2, 64
	s_mov_b32 s3, 0
	s_lshl_b64 s[2:3], s[2:3], 3
	s_add_u32 s2, s24, s2
	v_add_u32_e32 v18, v17, v16
	v_mov_b32_e32 v19, 2
	s_addc_u32 s3, s25, s3
	v_mov_b32_e32 v20, 0
	global_store_dwordx2 v20, v[18:19], s[2:3] sc1
	ds_write_b64 v20, v[16:17] offset:30720
.LBB2780_92:
	s_or_b64 exec, exec, s[28:29]
	v_cmp_eq_u32_e32 vcc, 0, v0
	s_and_b64 exec, exec, vcc
	s_cbranch_execz .LBB2780_94
; %bb.93:
	v_mov_b32_e32 v16, 0
	ds_write_b32 v16, v17 offset:28
.LBB2780_94:
	s_or_b64 exec, exec, s[26:27]
	v_mov_b32_e32 v16, 0
	s_waitcnt lgkmcnt(0)
	s_barrier
	ds_read_b32 v19, v16 offset:28
	s_waitcnt lgkmcnt(0)
	s_barrier
	ds_read_b64 v[16:17], v16 offset:30720
	v_cndmask_b32_e64 v18, v104, v103, s[14:15]
	v_cmp_ne_u32_e32 vcc, 0, v0
	s_nop 1
	v_cndmask_b32_e32 v18, 0, v18, vcc
	v_add_u32_e32 v18, v19, v18
	s_branch .LBB2780_105
.LBB2780_95:
                                        ; implicit-def: $vgpr17
                                        ; implicit-def: $vgpr18
	s_cbranch_execz .LBB2780_105
; %bb.96:
	s_waitcnt lgkmcnt(0)
	v_mov_b32_dpp v16, v102 row_shr:1 row_mask:0xf bank_mask:0xf
	v_cndmask_b32_e64 v16, v16, 0, s[12:13]
	v_add_u32_e32 v16, v16, v102
	s_nop 1
	v_mov_b32_dpp v17, v16 row_shr:2 row_mask:0xf bank_mask:0xf
	v_cndmask_b32_e64 v17, 0, v17, s[10:11]
	v_add_u32_e32 v16, v16, v17
	s_nop 1
	;; [unrolled: 4-line block ×4, first 2 shown]
	v_mov_b32_dpp v17, v16 row_bcast:15 row_mask:0xf bank_mask:0xf
	v_cndmask_b32_e64 v17, v17, 0, s[4:5]
	v_add_u32_e32 v16, v16, v17
	s_nop 1
	v_mov_b32_dpp v17, v16 row_bcast:31 row_mask:0xf bank_mask:0xf
	v_cndmask_b32_e64 v17, 0, v17, s[0:1]
	v_add_u32_e32 v16, v16, v17
	s_and_saveexec_b64 s[0:1], s[16:17]
	s_cbranch_execz .LBB2780_98
; %bb.97:
	v_lshlrev_b32_e32 v17, 2, v101
	ds_write_b32 v17, v16
.LBB2780_98:
	s_or_b64 exec, exec, s[0:1]
	v_cmp_gt_u32_e32 vcc, 8, v0
	s_waitcnt lgkmcnt(0)
	s_barrier
	s_and_saveexec_b64 s[0:1], vcc
	s_cbranch_execz .LBB2780_100
; %bb.99:
	v_lshlrev_b32_e32 v17, 2, v0
	ds_read_b32 v18, v17
	v_and_b32_e32 v19, 7, v100
	v_cmp_ne_u32_e32 vcc, 0, v19
	s_waitcnt lgkmcnt(0)
	v_mov_b32_dpp v20, v18 row_shr:1 row_mask:0xf bank_mask:0xf
	v_cndmask_b32_e32 v20, 0, v20, vcc
	v_add_u32_e32 v18, v20, v18
	v_cmp_lt_u32_e32 vcc, 1, v19
	s_nop 0
	v_mov_b32_dpp v20, v18 row_shr:2 row_mask:0xf bank_mask:0xf
	v_cndmask_b32_e32 v20, 0, v20, vcc
	v_add_u32_e32 v18, v18, v20
	v_cmp_lt_u32_e32 vcc, 3, v19
	s_nop 0
	v_mov_b32_dpp v20, v18 row_shr:4 row_mask:0xf bank_mask:0xf
	v_cndmask_b32_e32 v19, 0, v20, vcc
	v_add_u32_e32 v18, v18, v19
	ds_write_b32 v17, v18
.LBB2780_100:
	s_or_b64 exec, exec, s[0:1]
	v_cmp_lt_u32_e32 vcc, 63, v0
	v_mov_b32_e32 v17, 0
	v_mov_b32_e32 v18, 0
	s_waitcnt lgkmcnt(0)
	s_barrier
	s_and_saveexec_b64 s[0:1], vcc
	s_cbranch_execz .LBB2780_102
; %bb.101:
	v_lshl_add_u32 v18, v101, 2, -4
	ds_read_b32 v18, v18
.LBB2780_102:
	s_or_b64 exec, exec, s[0:1]
	v_add_u32_e32 v19, -1, v100
	v_and_b32_e32 v20, 64, v100
	v_cmp_lt_i32_e32 vcc, v19, v20
	s_waitcnt lgkmcnt(0)
	v_add_u32_e32 v16, v18, v16
	v_cndmask_b32_e32 v19, v19, v100, vcc
	v_lshlrev_b32_e32 v19, 2, v19
	ds_bpermute_b32 v19, v19, v16
	ds_read_b32 v16, v17 offset:28
	v_cmp_eq_u32_e32 vcc, 0, v0
	s_and_saveexec_b64 s[0:1], vcc
	s_cbranch_execz .LBB2780_104
; %bb.103:
	v_mov_b32_e32 v20, 0
	v_mov_b32_e32 v17, 2
	s_waitcnt lgkmcnt(0)
	global_store_dwordx2 v20, v[16:17], s[24:25] offset:512 sc1
.LBB2780_104:
	s_or_b64 exec, exec, s[0:1]
	v_cmp_eq_u32_e64 s[0:1], 0, v100
	v_mov_b32_e32 v17, 0
	s_waitcnt lgkmcnt(0)
	v_cndmask_b32_e64 v18, v19, v18, s[0:1]
	v_cndmask_b32_e64 v18, v18, 0, vcc
	s_barrier
.LBB2780_105:
	v_add_u32_e32 v19, v18, v72
	v_add_u32_e32 v20, v19, v73
	;; [unrolled: 1-line block ×21, first 2 shown]
	s_waitcnt lgkmcnt(0)
	v_add_u32_e32 v39, v16, v39
	v_sub_u32_e32 v18, v18, v17
	v_and_b32_e32 v71, 1, v71
	v_add_u32_e32 v86, v85, v93
	v_sub_u32_e32 v93, v39, v18
	v_cmp_eq_u32_e32 vcc, 1, v71
	v_add_u32_e32 v87, v86, v94
	v_add_u32_e32 v88, v87, v95
	v_cndmask_b32_e32 v18, v93, v18, vcc
	v_lshlrev_b32_e32 v18, 1, v18
	ds_write_b16 v18, v14
	v_sub_u32_e32 v14, v19, v17
	v_sub_u32_e32 v18, v39, v14
	v_and_b32_e32 v19, 1, v70
	v_add_u32_e32 v18, 1, v18
	v_cmp_eq_u32_e32 vcc, 1, v19
	v_and_b32_e32 v19, 1, v69
	v_add_u32_e32 v89, v88, v96
	v_cndmask_b32_e32 v14, v18, v14, vcc
	v_lshlrev_b32_e32 v14, 1, v14
	ds_write_b16 v14, v41
	v_sub_u32_e32 v14, v20, v17
	v_sub_u32_e32 v18, v39, v14
	v_add_u32_e32 v18, 2, v18
	v_cmp_eq_u32_e32 vcc, 1, v19
	v_add_u32_e32 v90, v89, v97
	v_add_u32_e32 v91, v90, v98
	v_cndmask_b32_e32 v14, v18, v14, vcc
	v_lshlrev_b32_e32 v14, 1, v14
	ds_write_b16 v14, v15
	v_sub_u32_e32 v14, v21, v17
	v_sub_u32_e32 v15, v39, v14
	v_and_b32_e32 v18, 1, v68
	v_add_u32_e32 v15, 3, v15
	v_cmp_eq_u32_e32 vcc, 1, v18
	v_and_b32_e32 v18, 1, v67
	v_add_u32_e32 v92, v91, v99
	v_cndmask_b32_e32 v14, v15, v14, vcc
	v_lshlrev_b32_e32 v14, 1, v14
	ds_write_b16 v14, v40
	v_sub_u32_e32 v14, v22, v17
	v_sub_u32_e32 v15, v39, v14
	v_add_u32_e32 v15, 4, v15
	v_cmp_eq_u32_e32 vcc, 1, v18
	s_nop 1
	v_cndmask_b32_e32 v14, v15, v14, vcc
	v_lshlrev_b32_e32 v14, 1, v14
	ds_write_b16 v14, v12
	v_sub_u32_e32 v12, v23, v17
	v_sub_u32_e32 v14, v39, v12
	v_and_b32_e32 v15, 1, v66
	v_add_u32_e32 v14, 5, v14
	v_cmp_eq_u32_e32 vcc, 1, v15
	v_and_b32_e32 v15, 1, v65
	s_nop 0
	v_cndmask_b32_e32 v12, v14, v12, vcc
	v_lshlrev_b32_e32 v12, 1, v12
	ds_write_b16 v12, v38
	v_sub_u32_e32 v12, v24, v17
	v_sub_u32_e32 v14, v39, v12
	v_add_u32_e32 v14, 6, v14
	v_cmp_eq_u32_e32 vcc, 1, v15
	s_nop 1
	v_cndmask_b32_e32 v12, v14, v12, vcc
	v_lshlrev_b32_e32 v12, 1, v12
	ds_write_b16 v12, v13
	v_sub_u32_e32 v12, v25, v17
	v_sub_u32_e32 v13, v39, v12
	v_and_b32_e32 v14, 1, v64
	v_add_u32_e32 v13, 7, v13
	v_cmp_eq_u32_e32 vcc, 1, v14
	v_and_b32_e32 v14, 1, v63
	s_nop 0
	;; [unrolled: 18-line block ×12, first 2 shown]
	v_cndmask_b32_e32 v2, v3, v2, vcc
	v_lshlrev_b32_e32 v2, 1, v2
	ds_write_b16 v2, v27
	v_sub_u32_e32 v2, v92, v17
	v_sub_u32_e32 v3, v39, v2
	v_add_u32_e32 v3, 28, v3
	v_cmp_eq_u32_e32 vcc, 1, v4
	v_and_b32_e32 v4, 1, v43
	s_nop 0
	v_cndmask_b32_e32 v2, v3, v2, vcc
	v_lshlrev_b32_e32 v2, 1, v2
	ds_write_b16 v2, v26
	v_sub_u32_sdwa v2, v42, v17 dst_sel:DWORD dst_unused:UNUSED_PAD src0_sel:BYTE_0 src1_sel:DWORD
	v_add_u32_e32 v2, v92, v2
	v_sub_u32_e32 v3, v39, v2
	v_add_u32_e32 v3, 29, v3
	v_cmp_eq_u32_e32 vcc, 1, v4
	s_nop 1
	v_cndmask_b32_e32 v2, v3, v2, vcc
	v_cmp_eq_u32_e32 vcc, 0, v0
	v_lshlrev_b32_e32 v2, 1, v2
	s_and_b64 s[0:1], vcc, s[22:23]
	ds_write_b16 v2, v1
	s_waitcnt lgkmcnt(0)
	s_barrier
	s_and_saveexec_b64 s[2:3], s[0:1]
	s_cbranch_execz .LBB2780_107
; %bb.106:
	v_mov_b32_e32 v1, 0
	v_mov_b32_e32 v0, v16
	v_lshl_add_u64 v[2:3], s[18:19], 0, v[0:1]
	v_mov_b32_e32 v0, v17
	v_lshl_add_u64 v[2:3], v[2:3], 0, v[0:1]
	global_store_dwordx2 v1, v[2:3], s[20:21]
.LBB2780_107:
	s_endpgm
	.section	.rodata,"a",@progbits
	.p2align	6, 0x0
	.amdhsa_kernel _ZN7rocprim17ROCPRIM_400000_NS6detail17trampoline_kernelINS0_14default_configENS1_25partition_config_selectorILNS1_17partition_subalgoE0EsNS0_10empty_typeEbEEZZNS1_14partition_implILS5_0ELb0ES3_jN6thrust23THRUST_200600_302600_NS6detail15normal_iteratorINSA_10device_ptrIsEEEEPS6_SG_NS0_5tupleIJNSA_16discard_iteratorINSA_11use_defaultEEESK_EEENSH_IJSG_SG_EEES6_PlJ7is_evenIsEEEE10hipError_tPvRmT3_T4_T5_T6_T7_T9_mT8_P12ihipStream_tbDpT10_ENKUlT_T0_E_clISt17integral_constantIbLb0EES19_EEDaS14_S15_EUlS14_E_NS1_11comp_targetILNS1_3genE5ELNS1_11target_archE942ELNS1_3gpuE9ELNS1_3repE0EEENS1_30default_config_static_selectorELNS0_4arch9wavefront6targetE1EEEvT1_
		.amdhsa_group_segment_fixed_size 30728
		.amdhsa_private_segment_fixed_size 0
		.amdhsa_kernarg_size 136
		.amdhsa_user_sgpr_count 2
		.amdhsa_user_sgpr_dispatch_ptr 0
		.amdhsa_user_sgpr_queue_ptr 0
		.amdhsa_user_sgpr_kernarg_segment_ptr 1
		.amdhsa_user_sgpr_dispatch_id 0
		.amdhsa_user_sgpr_kernarg_preload_length 0
		.amdhsa_user_sgpr_kernarg_preload_offset 0
		.amdhsa_user_sgpr_private_segment_size 0
		.amdhsa_uses_dynamic_stack 0
		.amdhsa_enable_private_segment 0
		.amdhsa_system_sgpr_workgroup_id_x 1
		.amdhsa_system_sgpr_workgroup_id_y 0
		.amdhsa_system_sgpr_workgroup_id_z 0
		.amdhsa_system_sgpr_workgroup_info 0
		.amdhsa_system_vgpr_workitem_id 0
		.amdhsa_next_free_vgpr 119
		.amdhsa_next_free_sgpr 36
		.amdhsa_accum_offset 120
		.amdhsa_reserve_vcc 1
		.amdhsa_float_round_mode_32 0
		.amdhsa_float_round_mode_16_64 0
		.amdhsa_float_denorm_mode_32 3
		.amdhsa_float_denorm_mode_16_64 3
		.amdhsa_dx10_clamp 1
		.amdhsa_ieee_mode 1
		.amdhsa_fp16_overflow 0
		.amdhsa_tg_split 0
		.amdhsa_exception_fp_ieee_invalid_op 0
		.amdhsa_exception_fp_denorm_src 0
		.amdhsa_exception_fp_ieee_div_zero 0
		.amdhsa_exception_fp_ieee_overflow 0
		.amdhsa_exception_fp_ieee_underflow 0
		.amdhsa_exception_fp_ieee_inexact 0
		.amdhsa_exception_int_div_zero 0
	.end_amdhsa_kernel
	.section	.text._ZN7rocprim17ROCPRIM_400000_NS6detail17trampoline_kernelINS0_14default_configENS1_25partition_config_selectorILNS1_17partition_subalgoE0EsNS0_10empty_typeEbEEZZNS1_14partition_implILS5_0ELb0ES3_jN6thrust23THRUST_200600_302600_NS6detail15normal_iteratorINSA_10device_ptrIsEEEEPS6_SG_NS0_5tupleIJNSA_16discard_iteratorINSA_11use_defaultEEESK_EEENSH_IJSG_SG_EEES6_PlJ7is_evenIsEEEE10hipError_tPvRmT3_T4_T5_T6_T7_T9_mT8_P12ihipStream_tbDpT10_ENKUlT_T0_E_clISt17integral_constantIbLb0EES19_EEDaS14_S15_EUlS14_E_NS1_11comp_targetILNS1_3genE5ELNS1_11target_archE942ELNS1_3gpuE9ELNS1_3repE0EEENS1_30default_config_static_selectorELNS0_4arch9wavefront6targetE1EEEvT1_,"axG",@progbits,_ZN7rocprim17ROCPRIM_400000_NS6detail17trampoline_kernelINS0_14default_configENS1_25partition_config_selectorILNS1_17partition_subalgoE0EsNS0_10empty_typeEbEEZZNS1_14partition_implILS5_0ELb0ES3_jN6thrust23THRUST_200600_302600_NS6detail15normal_iteratorINSA_10device_ptrIsEEEEPS6_SG_NS0_5tupleIJNSA_16discard_iteratorINSA_11use_defaultEEESK_EEENSH_IJSG_SG_EEES6_PlJ7is_evenIsEEEE10hipError_tPvRmT3_T4_T5_T6_T7_T9_mT8_P12ihipStream_tbDpT10_ENKUlT_T0_E_clISt17integral_constantIbLb0EES19_EEDaS14_S15_EUlS14_E_NS1_11comp_targetILNS1_3genE5ELNS1_11target_archE942ELNS1_3gpuE9ELNS1_3repE0EEENS1_30default_config_static_selectorELNS0_4arch9wavefront6targetE1EEEvT1_,comdat
.Lfunc_end2780:
	.size	_ZN7rocprim17ROCPRIM_400000_NS6detail17trampoline_kernelINS0_14default_configENS1_25partition_config_selectorILNS1_17partition_subalgoE0EsNS0_10empty_typeEbEEZZNS1_14partition_implILS5_0ELb0ES3_jN6thrust23THRUST_200600_302600_NS6detail15normal_iteratorINSA_10device_ptrIsEEEEPS6_SG_NS0_5tupleIJNSA_16discard_iteratorINSA_11use_defaultEEESK_EEENSH_IJSG_SG_EEES6_PlJ7is_evenIsEEEE10hipError_tPvRmT3_T4_T5_T6_T7_T9_mT8_P12ihipStream_tbDpT10_ENKUlT_T0_E_clISt17integral_constantIbLb0EES19_EEDaS14_S15_EUlS14_E_NS1_11comp_targetILNS1_3genE5ELNS1_11target_archE942ELNS1_3gpuE9ELNS1_3repE0EEENS1_30default_config_static_selectorELNS0_4arch9wavefront6targetE1EEEvT1_, .Lfunc_end2780-_ZN7rocprim17ROCPRIM_400000_NS6detail17trampoline_kernelINS0_14default_configENS1_25partition_config_selectorILNS1_17partition_subalgoE0EsNS0_10empty_typeEbEEZZNS1_14partition_implILS5_0ELb0ES3_jN6thrust23THRUST_200600_302600_NS6detail15normal_iteratorINSA_10device_ptrIsEEEEPS6_SG_NS0_5tupleIJNSA_16discard_iteratorINSA_11use_defaultEEESK_EEENSH_IJSG_SG_EEES6_PlJ7is_evenIsEEEE10hipError_tPvRmT3_T4_T5_T6_T7_T9_mT8_P12ihipStream_tbDpT10_ENKUlT_T0_E_clISt17integral_constantIbLb0EES19_EEDaS14_S15_EUlS14_E_NS1_11comp_targetILNS1_3genE5ELNS1_11target_archE942ELNS1_3gpuE9ELNS1_3repE0EEENS1_30default_config_static_selectorELNS0_4arch9wavefront6targetE1EEEvT1_
                                        ; -- End function
	.section	.AMDGPU.csdata,"",@progbits
; Kernel info:
; codeLenInByte = 7216
; NumSgprs: 42
; NumVgprs: 119
; NumAgprs: 0
; TotalNumVgprs: 119
; ScratchSize: 0
; MemoryBound: 0
; FloatMode: 240
; IeeeMode: 1
; LDSByteSize: 30728 bytes/workgroup (compile time only)
; SGPRBlocks: 5
; VGPRBlocks: 14
; NumSGPRsForWavesPerEU: 42
; NumVGPRsForWavesPerEU: 119
; AccumOffset: 120
; Occupancy: 4
; WaveLimiterHint : 1
; COMPUTE_PGM_RSRC2:SCRATCH_EN: 0
; COMPUTE_PGM_RSRC2:USER_SGPR: 2
; COMPUTE_PGM_RSRC2:TRAP_HANDLER: 0
; COMPUTE_PGM_RSRC2:TGID_X_EN: 1
; COMPUTE_PGM_RSRC2:TGID_Y_EN: 0
; COMPUTE_PGM_RSRC2:TGID_Z_EN: 0
; COMPUTE_PGM_RSRC2:TIDIG_COMP_CNT: 0
; COMPUTE_PGM_RSRC3_GFX90A:ACCUM_OFFSET: 29
; COMPUTE_PGM_RSRC3_GFX90A:TG_SPLIT: 0
	.section	.text._ZN7rocprim17ROCPRIM_400000_NS6detail17trampoline_kernelINS0_14default_configENS1_25partition_config_selectorILNS1_17partition_subalgoE0EsNS0_10empty_typeEbEEZZNS1_14partition_implILS5_0ELb0ES3_jN6thrust23THRUST_200600_302600_NS6detail15normal_iteratorINSA_10device_ptrIsEEEEPS6_SG_NS0_5tupleIJNSA_16discard_iteratorINSA_11use_defaultEEESK_EEENSH_IJSG_SG_EEES6_PlJ7is_evenIsEEEE10hipError_tPvRmT3_T4_T5_T6_T7_T9_mT8_P12ihipStream_tbDpT10_ENKUlT_T0_E_clISt17integral_constantIbLb0EES19_EEDaS14_S15_EUlS14_E_NS1_11comp_targetILNS1_3genE4ELNS1_11target_archE910ELNS1_3gpuE8ELNS1_3repE0EEENS1_30default_config_static_selectorELNS0_4arch9wavefront6targetE1EEEvT1_,"axG",@progbits,_ZN7rocprim17ROCPRIM_400000_NS6detail17trampoline_kernelINS0_14default_configENS1_25partition_config_selectorILNS1_17partition_subalgoE0EsNS0_10empty_typeEbEEZZNS1_14partition_implILS5_0ELb0ES3_jN6thrust23THRUST_200600_302600_NS6detail15normal_iteratorINSA_10device_ptrIsEEEEPS6_SG_NS0_5tupleIJNSA_16discard_iteratorINSA_11use_defaultEEESK_EEENSH_IJSG_SG_EEES6_PlJ7is_evenIsEEEE10hipError_tPvRmT3_T4_T5_T6_T7_T9_mT8_P12ihipStream_tbDpT10_ENKUlT_T0_E_clISt17integral_constantIbLb0EES19_EEDaS14_S15_EUlS14_E_NS1_11comp_targetILNS1_3genE4ELNS1_11target_archE910ELNS1_3gpuE8ELNS1_3repE0EEENS1_30default_config_static_selectorELNS0_4arch9wavefront6targetE1EEEvT1_,comdat
	.protected	_ZN7rocprim17ROCPRIM_400000_NS6detail17trampoline_kernelINS0_14default_configENS1_25partition_config_selectorILNS1_17partition_subalgoE0EsNS0_10empty_typeEbEEZZNS1_14partition_implILS5_0ELb0ES3_jN6thrust23THRUST_200600_302600_NS6detail15normal_iteratorINSA_10device_ptrIsEEEEPS6_SG_NS0_5tupleIJNSA_16discard_iteratorINSA_11use_defaultEEESK_EEENSH_IJSG_SG_EEES6_PlJ7is_evenIsEEEE10hipError_tPvRmT3_T4_T5_T6_T7_T9_mT8_P12ihipStream_tbDpT10_ENKUlT_T0_E_clISt17integral_constantIbLb0EES19_EEDaS14_S15_EUlS14_E_NS1_11comp_targetILNS1_3genE4ELNS1_11target_archE910ELNS1_3gpuE8ELNS1_3repE0EEENS1_30default_config_static_selectorELNS0_4arch9wavefront6targetE1EEEvT1_ ; -- Begin function _ZN7rocprim17ROCPRIM_400000_NS6detail17trampoline_kernelINS0_14default_configENS1_25partition_config_selectorILNS1_17partition_subalgoE0EsNS0_10empty_typeEbEEZZNS1_14partition_implILS5_0ELb0ES3_jN6thrust23THRUST_200600_302600_NS6detail15normal_iteratorINSA_10device_ptrIsEEEEPS6_SG_NS0_5tupleIJNSA_16discard_iteratorINSA_11use_defaultEEESK_EEENSH_IJSG_SG_EEES6_PlJ7is_evenIsEEEE10hipError_tPvRmT3_T4_T5_T6_T7_T9_mT8_P12ihipStream_tbDpT10_ENKUlT_T0_E_clISt17integral_constantIbLb0EES19_EEDaS14_S15_EUlS14_E_NS1_11comp_targetILNS1_3genE4ELNS1_11target_archE910ELNS1_3gpuE8ELNS1_3repE0EEENS1_30default_config_static_selectorELNS0_4arch9wavefront6targetE1EEEvT1_
	.globl	_ZN7rocprim17ROCPRIM_400000_NS6detail17trampoline_kernelINS0_14default_configENS1_25partition_config_selectorILNS1_17partition_subalgoE0EsNS0_10empty_typeEbEEZZNS1_14partition_implILS5_0ELb0ES3_jN6thrust23THRUST_200600_302600_NS6detail15normal_iteratorINSA_10device_ptrIsEEEEPS6_SG_NS0_5tupleIJNSA_16discard_iteratorINSA_11use_defaultEEESK_EEENSH_IJSG_SG_EEES6_PlJ7is_evenIsEEEE10hipError_tPvRmT3_T4_T5_T6_T7_T9_mT8_P12ihipStream_tbDpT10_ENKUlT_T0_E_clISt17integral_constantIbLb0EES19_EEDaS14_S15_EUlS14_E_NS1_11comp_targetILNS1_3genE4ELNS1_11target_archE910ELNS1_3gpuE8ELNS1_3repE0EEENS1_30default_config_static_selectorELNS0_4arch9wavefront6targetE1EEEvT1_
	.p2align	8
	.type	_ZN7rocprim17ROCPRIM_400000_NS6detail17trampoline_kernelINS0_14default_configENS1_25partition_config_selectorILNS1_17partition_subalgoE0EsNS0_10empty_typeEbEEZZNS1_14partition_implILS5_0ELb0ES3_jN6thrust23THRUST_200600_302600_NS6detail15normal_iteratorINSA_10device_ptrIsEEEEPS6_SG_NS0_5tupleIJNSA_16discard_iteratorINSA_11use_defaultEEESK_EEENSH_IJSG_SG_EEES6_PlJ7is_evenIsEEEE10hipError_tPvRmT3_T4_T5_T6_T7_T9_mT8_P12ihipStream_tbDpT10_ENKUlT_T0_E_clISt17integral_constantIbLb0EES19_EEDaS14_S15_EUlS14_E_NS1_11comp_targetILNS1_3genE4ELNS1_11target_archE910ELNS1_3gpuE8ELNS1_3repE0EEENS1_30default_config_static_selectorELNS0_4arch9wavefront6targetE1EEEvT1_,@function
_ZN7rocprim17ROCPRIM_400000_NS6detail17trampoline_kernelINS0_14default_configENS1_25partition_config_selectorILNS1_17partition_subalgoE0EsNS0_10empty_typeEbEEZZNS1_14partition_implILS5_0ELb0ES3_jN6thrust23THRUST_200600_302600_NS6detail15normal_iteratorINSA_10device_ptrIsEEEEPS6_SG_NS0_5tupleIJNSA_16discard_iteratorINSA_11use_defaultEEESK_EEENSH_IJSG_SG_EEES6_PlJ7is_evenIsEEEE10hipError_tPvRmT3_T4_T5_T6_T7_T9_mT8_P12ihipStream_tbDpT10_ENKUlT_T0_E_clISt17integral_constantIbLb0EES19_EEDaS14_S15_EUlS14_E_NS1_11comp_targetILNS1_3genE4ELNS1_11target_archE910ELNS1_3gpuE8ELNS1_3repE0EEENS1_30default_config_static_selectorELNS0_4arch9wavefront6targetE1EEEvT1_: ; @_ZN7rocprim17ROCPRIM_400000_NS6detail17trampoline_kernelINS0_14default_configENS1_25partition_config_selectorILNS1_17partition_subalgoE0EsNS0_10empty_typeEbEEZZNS1_14partition_implILS5_0ELb0ES3_jN6thrust23THRUST_200600_302600_NS6detail15normal_iteratorINSA_10device_ptrIsEEEEPS6_SG_NS0_5tupleIJNSA_16discard_iteratorINSA_11use_defaultEEESK_EEENSH_IJSG_SG_EEES6_PlJ7is_evenIsEEEE10hipError_tPvRmT3_T4_T5_T6_T7_T9_mT8_P12ihipStream_tbDpT10_ENKUlT_T0_E_clISt17integral_constantIbLb0EES19_EEDaS14_S15_EUlS14_E_NS1_11comp_targetILNS1_3genE4ELNS1_11target_archE910ELNS1_3gpuE8ELNS1_3repE0EEENS1_30default_config_static_selectorELNS0_4arch9wavefront6targetE1EEEvT1_
; %bb.0:
	.section	.rodata,"a",@progbits
	.p2align	6, 0x0
	.amdhsa_kernel _ZN7rocprim17ROCPRIM_400000_NS6detail17trampoline_kernelINS0_14default_configENS1_25partition_config_selectorILNS1_17partition_subalgoE0EsNS0_10empty_typeEbEEZZNS1_14partition_implILS5_0ELb0ES3_jN6thrust23THRUST_200600_302600_NS6detail15normal_iteratorINSA_10device_ptrIsEEEEPS6_SG_NS0_5tupleIJNSA_16discard_iteratorINSA_11use_defaultEEESK_EEENSH_IJSG_SG_EEES6_PlJ7is_evenIsEEEE10hipError_tPvRmT3_T4_T5_T6_T7_T9_mT8_P12ihipStream_tbDpT10_ENKUlT_T0_E_clISt17integral_constantIbLb0EES19_EEDaS14_S15_EUlS14_E_NS1_11comp_targetILNS1_3genE4ELNS1_11target_archE910ELNS1_3gpuE8ELNS1_3repE0EEENS1_30default_config_static_selectorELNS0_4arch9wavefront6targetE1EEEvT1_
		.amdhsa_group_segment_fixed_size 0
		.amdhsa_private_segment_fixed_size 0
		.amdhsa_kernarg_size 136
		.amdhsa_user_sgpr_count 2
		.amdhsa_user_sgpr_dispatch_ptr 0
		.amdhsa_user_sgpr_queue_ptr 0
		.amdhsa_user_sgpr_kernarg_segment_ptr 1
		.amdhsa_user_sgpr_dispatch_id 0
		.amdhsa_user_sgpr_kernarg_preload_length 0
		.amdhsa_user_sgpr_kernarg_preload_offset 0
		.amdhsa_user_sgpr_private_segment_size 0
		.amdhsa_uses_dynamic_stack 0
		.amdhsa_enable_private_segment 0
		.amdhsa_system_sgpr_workgroup_id_x 1
		.amdhsa_system_sgpr_workgroup_id_y 0
		.amdhsa_system_sgpr_workgroup_id_z 0
		.amdhsa_system_sgpr_workgroup_info 0
		.amdhsa_system_vgpr_workitem_id 0
		.amdhsa_next_free_vgpr 1
		.amdhsa_next_free_sgpr 0
		.amdhsa_accum_offset 4
		.amdhsa_reserve_vcc 0
		.amdhsa_float_round_mode_32 0
		.amdhsa_float_round_mode_16_64 0
		.amdhsa_float_denorm_mode_32 3
		.amdhsa_float_denorm_mode_16_64 3
		.amdhsa_dx10_clamp 1
		.amdhsa_ieee_mode 1
		.amdhsa_fp16_overflow 0
		.amdhsa_tg_split 0
		.amdhsa_exception_fp_ieee_invalid_op 0
		.amdhsa_exception_fp_denorm_src 0
		.amdhsa_exception_fp_ieee_div_zero 0
		.amdhsa_exception_fp_ieee_overflow 0
		.amdhsa_exception_fp_ieee_underflow 0
		.amdhsa_exception_fp_ieee_inexact 0
		.amdhsa_exception_int_div_zero 0
	.end_amdhsa_kernel
	.section	.text._ZN7rocprim17ROCPRIM_400000_NS6detail17trampoline_kernelINS0_14default_configENS1_25partition_config_selectorILNS1_17partition_subalgoE0EsNS0_10empty_typeEbEEZZNS1_14partition_implILS5_0ELb0ES3_jN6thrust23THRUST_200600_302600_NS6detail15normal_iteratorINSA_10device_ptrIsEEEEPS6_SG_NS0_5tupleIJNSA_16discard_iteratorINSA_11use_defaultEEESK_EEENSH_IJSG_SG_EEES6_PlJ7is_evenIsEEEE10hipError_tPvRmT3_T4_T5_T6_T7_T9_mT8_P12ihipStream_tbDpT10_ENKUlT_T0_E_clISt17integral_constantIbLb0EES19_EEDaS14_S15_EUlS14_E_NS1_11comp_targetILNS1_3genE4ELNS1_11target_archE910ELNS1_3gpuE8ELNS1_3repE0EEENS1_30default_config_static_selectorELNS0_4arch9wavefront6targetE1EEEvT1_,"axG",@progbits,_ZN7rocprim17ROCPRIM_400000_NS6detail17trampoline_kernelINS0_14default_configENS1_25partition_config_selectorILNS1_17partition_subalgoE0EsNS0_10empty_typeEbEEZZNS1_14partition_implILS5_0ELb0ES3_jN6thrust23THRUST_200600_302600_NS6detail15normal_iteratorINSA_10device_ptrIsEEEEPS6_SG_NS0_5tupleIJNSA_16discard_iteratorINSA_11use_defaultEEESK_EEENSH_IJSG_SG_EEES6_PlJ7is_evenIsEEEE10hipError_tPvRmT3_T4_T5_T6_T7_T9_mT8_P12ihipStream_tbDpT10_ENKUlT_T0_E_clISt17integral_constantIbLb0EES19_EEDaS14_S15_EUlS14_E_NS1_11comp_targetILNS1_3genE4ELNS1_11target_archE910ELNS1_3gpuE8ELNS1_3repE0EEENS1_30default_config_static_selectorELNS0_4arch9wavefront6targetE1EEEvT1_,comdat
.Lfunc_end2781:
	.size	_ZN7rocprim17ROCPRIM_400000_NS6detail17trampoline_kernelINS0_14default_configENS1_25partition_config_selectorILNS1_17partition_subalgoE0EsNS0_10empty_typeEbEEZZNS1_14partition_implILS5_0ELb0ES3_jN6thrust23THRUST_200600_302600_NS6detail15normal_iteratorINSA_10device_ptrIsEEEEPS6_SG_NS0_5tupleIJNSA_16discard_iteratorINSA_11use_defaultEEESK_EEENSH_IJSG_SG_EEES6_PlJ7is_evenIsEEEE10hipError_tPvRmT3_T4_T5_T6_T7_T9_mT8_P12ihipStream_tbDpT10_ENKUlT_T0_E_clISt17integral_constantIbLb0EES19_EEDaS14_S15_EUlS14_E_NS1_11comp_targetILNS1_3genE4ELNS1_11target_archE910ELNS1_3gpuE8ELNS1_3repE0EEENS1_30default_config_static_selectorELNS0_4arch9wavefront6targetE1EEEvT1_, .Lfunc_end2781-_ZN7rocprim17ROCPRIM_400000_NS6detail17trampoline_kernelINS0_14default_configENS1_25partition_config_selectorILNS1_17partition_subalgoE0EsNS0_10empty_typeEbEEZZNS1_14partition_implILS5_0ELb0ES3_jN6thrust23THRUST_200600_302600_NS6detail15normal_iteratorINSA_10device_ptrIsEEEEPS6_SG_NS0_5tupleIJNSA_16discard_iteratorINSA_11use_defaultEEESK_EEENSH_IJSG_SG_EEES6_PlJ7is_evenIsEEEE10hipError_tPvRmT3_T4_T5_T6_T7_T9_mT8_P12ihipStream_tbDpT10_ENKUlT_T0_E_clISt17integral_constantIbLb0EES19_EEDaS14_S15_EUlS14_E_NS1_11comp_targetILNS1_3genE4ELNS1_11target_archE910ELNS1_3gpuE8ELNS1_3repE0EEENS1_30default_config_static_selectorELNS0_4arch9wavefront6targetE1EEEvT1_
                                        ; -- End function
	.section	.AMDGPU.csdata,"",@progbits
; Kernel info:
; codeLenInByte = 0
; NumSgprs: 6
; NumVgprs: 0
; NumAgprs: 0
; TotalNumVgprs: 0
; ScratchSize: 0
; MemoryBound: 0
; FloatMode: 240
; IeeeMode: 1
; LDSByteSize: 0 bytes/workgroup (compile time only)
; SGPRBlocks: 0
; VGPRBlocks: 0
; NumSGPRsForWavesPerEU: 6
; NumVGPRsForWavesPerEU: 1
; AccumOffset: 4
; Occupancy: 8
; WaveLimiterHint : 0
; COMPUTE_PGM_RSRC2:SCRATCH_EN: 0
; COMPUTE_PGM_RSRC2:USER_SGPR: 2
; COMPUTE_PGM_RSRC2:TRAP_HANDLER: 0
; COMPUTE_PGM_RSRC2:TGID_X_EN: 1
; COMPUTE_PGM_RSRC2:TGID_Y_EN: 0
; COMPUTE_PGM_RSRC2:TGID_Z_EN: 0
; COMPUTE_PGM_RSRC2:TIDIG_COMP_CNT: 0
; COMPUTE_PGM_RSRC3_GFX90A:ACCUM_OFFSET: 0
; COMPUTE_PGM_RSRC3_GFX90A:TG_SPLIT: 0
	.section	.text._ZN7rocprim17ROCPRIM_400000_NS6detail17trampoline_kernelINS0_14default_configENS1_25partition_config_selectorILNS1_17partition_subalgoE0EsNS0_10empty_typeEbEEZZNS1_14partition_implILS5_0ELb0ES3_jN6thrust23THRUST_200600_302600_NS6detail15normal_iteratorINSA_10device_ptrIsEEEEPS6_SG_NS0_5tupleIJNSA_16discard_iteratorINSA_11use_defaultEEESK_EEENSH_IJSG_SG_EEES6_PlJ7is_evenIsEEEE10hipError_tPvRmT3_T4_T5_T6_T7_T9_mT8_P12ihipStream_tbDpT10_ENKUlT_T0_E_clISt17integral_constantIbLb0EES19_EEDaS14_S15_EUlS14_E_NS1_11comp_targetILNS1_3genE3ELNS1_11target_archE908ELNS1_3gpuE7ELNS1_3repE0EEENS1_30default_config_static_selectorELNS0_4arch9wavefront6targetE1EEEvT1_,"axG",@progbits,_ZN7rocprim17ROCPRIM_400000_NS6detail17trampoline_kernelINS0_14default_configENS1_25partition_config_selectorILNS1_17partition_subalgoE0EsNS0_10empty_typeEbEEZZNS1_14partition_implILS5_0ELb0ES3_jN6thrust23THRUST_200600_302600_NS6detail15normal_iteratorINSA_10device_ptrIsEEEEPS6_SG_NS0_5tupleIJNSA_16discard_iteratorINSA_11use_defaultEEESK_EEENSH_IJSG_SG_EEES6_PlJ7is_evenIsEEEE10hipError_tPvRmT3_T4_T5_T6_T7_T9_mT8_P12ihipStream_tbDpT10_ENKUlT_T0_E_clISt17integral_constantIbLb0EES19_EEDaS14_S15_EUlS14_E_NS1_11comp_targetILNS1_3genE3ELNS1_11target_archE908ELNS1_3gpuE7ELNS1_3repE0EEENS1_30default_config_static_selectorELNS0_4arch9wavefront6targetE1EEEvT1_,comdat
	.protected	_ZN7rocprim17ROCPRIM_400000_NS6detail17trampoline_kernelINS0_14default_configENS1_25partition_config_selectorILNS1_17partition_subalgoE0EsNS0_10empty_typeEbEEZZNS1_14partition_implILS5_0ELb0ES3_jN6thrust23THRUST_200600_302600_NS6detail15normal_iteratorINSA_10device_ptrIsEEEEPS6_SG_NS0_5tupleIJNSA_16discard_iteratorINSA_11use_defaultEEESK_EEENSH_IJSG_SG_EEES6_PlJ7is_evenIsEEEE10hipError_tPvRmT3_T4_T5_T6_T7_T9_mT8_P12ihipStream_tbDpT10_ENKUlT_T0_E_clISt17integral_constantIbLb0EES19_EEDaS14_S15_EUlS14_E_NS1_11comp_targetILNS1_3genE3ELNS1_11target_archE908ELNS1_3gpuE7ELNS1_3repE0EEENS1_30default_config_static_selectorELNS0_4arch9wavefront6targetE1EEEvT1_ ; -- Begin function _ZN7rocprim17ROCPRIM_400000_NS6detail17trampoline_kernelINS0_14default_configENS1_25partition_config_selectorILNS1_17partition_subalgoE0EsNS0_10empty_typeEbEEZZNS1_14partition_implILS5_0ELb0ES3_jN6thrust23THRUST_200600_302600_NS6detail15normal_iteratorINSA_10device_ptrIsEEEEPS6_SG_NS0_5tupleIJNSA_16discard_iteratorINSA_11use_defaultEEESK_EEENSH_IJSG_SG_EEES6_PlJ7is_evenIsEEEE10hipError_tPvRmT3_T4_T5_T6_T7_T9_mT8_P12ihipStream_tbDpT10_ENKUlT_T0_E_clISt17integral_constantIbLb0EES19_EEDaS14_S15_EUlS14_E_NS1_11comp_targetILNS1_3genE3ELNS1_11target_archE908ELNS1_3gpuE7ELNS1_3repE0EEENS1_30default_config_static_selectorELNS0_4arch9wavefront6targetE1EEEvT1_
	.globl	_ZN7rocprim17ROCPRIM_400000_NS6detail17trampoline_kernelINS0_14default_configENS1_25partition_config_selectorILNS1_17partition_subalgoE0EsNS0_10empty_typeEbEEZZNS1_14partition_implILS5_0ELb0ES3_jN6thrust23THRUST_200600_302600_NS6detail15normal_iteratorINSA_10device_ptrIsEEEEPS6_SG_NS0_5tupleIJNSA_16discard_iteratorINSA_11use_defaultEEESK_EEENSH_IJSG_SG_EEES6_PlJ7is_evenIsEEEE10hipError_tPvRmT3_T4_T5_T6_T7_T9_mT8_P12ihipStream_tbDpT10_ENKUlT_T0_E_clISt17integral_constantIbLb0EES19_EEDaS14_S15_EUlS14_E_NS1_11comp_targetILNS1_3genE3ELNS1_11target_archE908ELNS1_3gpuE7ELNS1_3repE0EEENS1_30default_config_static_selectorELNS0_4arch9wavefront6targetE1EEEvT1_
	.p2align	8
	.type	_ZN7rocprim17ROCPRIM_400000_NS6detail17trampoline_kernelINS0_14default_configENS1_25partition_config_selectorILNS1_17partition_subalgoE0EsNS0_10empty_typeEbEEZZNS1_14partition_implILS5_0ELb0ES3_jN6thrust23THRUST_200600_302600_NS6detail15normal_iteratorINSA_10device_ptrIsEEEEPS6_SG_NS0_5tupleIJNSA_16discard_iteratorINSA_11use_defaultEEESK_EEENSH_IJSG_SG_EEES6_PlJ7is_evenIsEEEE10hipError_tPvRmT3_T4_T5_T6_T7_T9_mT8_P12ihipStream_tbDpT10_ENKUlT_T0_E_clISt17integral_constantIbLb0EES19_EEDaS14_S15_EUlS14_E_NS1_11comp_targetILNS1_3genE3ELNS1_11target_archE908ELNS1_3gpuE7ELNS1_3repE0EEENS1_30default_config_static_selectorELNS0_4arch9wavefront6targetE1EEEvT1_,@function
_ZN7rocprim17ROCPRIM_400000_NS6detail17trampoline_kernelINS0_14default_configENS1_25partition_config_selectorILNS1_17partition_subalgoE0EsNS0_10empty_typeEbEEZZNS1_14partition_implILS5_0ELb0ES3_jN6thrust23THRUST_200600_302600_NS6detail15normal_iteratorINSA_10device_ptrIsEEEEPS6_SG_NS0_5tupleIJNSA_16discard_iteratorINSA_11use_defaultEEESK_EEENSH_IJSG_SG_EEES6_PlJ7is_evenIsEEEE10hipError_tPvRmT3_T4_T5_T6_T7_T9_mT8_P12ihipStream_tbDpT10_ENKUlT_T0_E_clISt17integral_constantIbLb0EES19_EEDaS14_S15_EUlS14_E_NS1_11comp_targetILNS1_3genE3ELNS1_11target_archE908ELNS1_3gpuE7ELNS1_3repE0EEENS1_30default_config_static_selectorELNS0_4arch9wavefront6targetE1EEEvT1_: ; @_ZN7rocprim17ROCPRIM_400000_NS6detail17trampoline_kernelINS0_14default_configENS1_25partition_config_selectorILNS1_17partition_subalgoE0EsNS0_10empty_typeEbEEZZNS1_14partition_implILS5_0ELb0ES3_jN6thrust23THRUST_200600_302600_NS6detail15normal_iteratorINSA_10device_ptrIsEEEEPS6_SG_NS0_5tupleIJNSA_16discard_iteratorINSA_11use_defaultEEESK_EEENSH_IJSG_SG_EEES6_PlJ7is_evenIsEEEE10hipError_tPvRmT3_T4_T5_T6_T7_T9_mT8_P12ihipStream_tbDpT10_ENKUlT_T0_E_clISt17integral_constantIbLb0EES19_EEDaS14_S15_EUlS14_E_NS1_11comp_targetILNS1_3genE3ELNS1_11target_archE908ELNS1_3gpuE7ELNS1_3repE0EEENS1_30default_config_static_selectorELNS0_4arch9wavefront6targetE1EEEvT1_
; %bb.0:
	.section	.rodata,"a",@progbits
	.p2align	6, 0x0
	.amdhsa_kernel _ZN7rocprim17ROCPRIM_400000_NS6detail17trampoline_kernelINS0_14default_configENS1_25partition_config_selectorILNS1_17partition_subalgoE0EsNS0_10empty_typeEbEEZZNS1_14partition_implILS5_0ELb0ES3_jN6thrust23THRUST_200600_302600_NS6detail15normal_iteratorINSA_10device_ptrIsEEEEPS6_SG_NS0_5tupleIJNSA_16discard_iteratorINSA_11use_defaultEEESK_EEENSH_IJSG_SG_EEES6_PlJ7is_evenIsEEEE10hipError_tPvRmT3_T4_T5_T6_T7_T9_mT8_P12ihipStream_tbDpT10_ENKUlT_T0_E_clISt17integral_constantIbLb0EES19_EEDaS14_S15_EUlS14_E_NS1_11comp_targetILNS1_3genE3ELNS1_11target_archE908ELNS1_3gpuE7ELNS1_3repE0EEENS1_30default_config_static_selectorELNS0_4arch9wavefront6targetE1EEEvT1_
		.amdhsa_group_segment_fixed_size 0
		.amdhsa_private_segment_fixed_size 0
		.amdhsa_kernarg_size 136
		.amdhsa_user_sgpr_count 2
		.amdhsa_user_sgpr_dispatch_ptr 0
		.amdhsa_user_sgpr_queue_ptr 0
		.amdhsa_user_sgpr_kernarg_segment_ptr 1
		.amdhsa_user_sgpr_dispatch_id 0
		.amdhsa_user_sgpr_kernarg_preload_length 0
		.amdhsa_user_sgpr_kernarg_preload_offset 0
		.amdhsa_user_sgpr_private_segment_size 0
		.amdhsa_uses_dynamic_stack 0
		.amdhsa_enable_private_segment 0
		.amdhsa_system_sgpr_workgroup_id_x 1
		.amdhsa_system_sgpr_workgroup_id_y 0
		.amdhsa_system_sgpr_workgroup_id_z 0
		.amdhsa_system_sgpr_workgroup_info 0
		.amdhsa_system_vgpr_workitem_id 0
		.amdhsa_next_free_vgpr 1
		.amdhsa_next_free_sgpr 0
		.amdhsa_accum_offset 4
		.amdhsa_reserve_vcc 0
		.amdhsa_float_round_mode_32 0
		.amdhsa_float_round_mode_16_64 0
		.amdhsa_float_denorm_mode_32 3
		.amdhsa_float_denorm_mode_16_64 3
		.amdhsa_dx10_clamp 1
		.amdhsa_ieee_mode 1
		.amdhsa_fp16_overflow 0
		.amdhsa_tg_split 0
		.amdhsa_exception_fp_ieee_invalid_op 0
		.amdhsa_exception_fp_denorm_src 0
		.amdhsa_exception_fp_ieee_div_zero 0
		.amdhsa_exception_fp_ieee_overflow 0
		.amdhsa_exception_fp_ieee_underflow 0
		.amdhsa_exception_fp_ieee_inexact 0
		.amdhsa_exception_int_div_zero 0
	.end_amdhsa_kernel
	.section	.text._ZN7rocprim17ROCPRIM_400000_NS6detail17trampoline_kernelINS0_14default_configENS1_25partition_config_selectorILNS1_17partition_subalgoE0EsNS0_10empty_typeEbEEZZNS1_14partition_implILS5_0ELb0ES3_jN6thrust23THRUST_200600_302600_NS6detail15normal_iteratorINSA_10device_ptrIsEEEEPS6_SG_NS0_5tupleIJNSA_16discard_iteratorINSA_11use_defaultEEESK_EEENSH_IJSG_SG_EEES6_PlJ7is_evenIsEEEE10hipError_tPvRmT3_T4_T5_T6_T7_T9_mT8_P12ihipStream_tbDpT10_ENKUlT_T0_E_clISt17integral_constantIbLb0EES19_EEDaS14_S15_EUlS14_E_NS1_11comp_targetILNS1_3genE3ELNS1_11target_archE908ELNS1_3gpuE7ELNS1_3repE0EEENS1_30default_config_static_selectorELNS0_4arch9wavefront6targetE1EEEvT1_,"axG",@progbits,_ZN7rocprim17ROCPRIM_400000_NS6detail17trampoline_kernelINS0_14default_configENS1_25partition_config_selectorILNS1_17partition_subalgoE0EsNS0_10empty_typeEbEEZZNS1_14partition_implILS5_0ELb0ES3_jN6thrust23THRUST_200600_302600_NS6detail15normal_iteratorINSA_10device_ptrIsEEEEPS6_SG_NS0_5tupleIJNSA_16discard_iteratorINSA_11use_defaultEEESK_EEENSH_IJSG_SG_EEES6_PlJ7is_evenIsEEEE10hipError_tPvRmT3_T4_T5_T6_T7_T9_mT8_P12ihipStream_tbDpT10_ENKUlT_T0_E_clISt17integral_constantIbLb0EES19_EEDaS14_S15_EUlS14_E_NS1_11comp_targetILNS1_3genE3ELNS1_11target_archE908ELNS1_3gpuE7ELNS1_3repE0EEENS1_30default_config_static_selectorELNS0_4arch9wavefront6targetE1EEEvT1_,comdat
.Lfunc_end2782:
	.size	_ZN7rocprim17ROCPRIM_400000_NS6detail17trampoline_kernelINS0_14default_configENS1_25partition_config_selectorILNS1_17partition_subalgoE0EsNS0_10empty_typeEbEEZZNS1_14partition_implILS5_0ELb0ES3_jN6thrust23THRUST_200600_302600_NS6detail15normal_iteratorINSA_10device_ptrIsEEEEPS6_SG_NS0_5tupleIJNSA_16discard_iteratorINSA_11use_defaultEEESK_EEENSH_IJSG_SG_EEES6_PlJ7is_evenIsEEEE10hipError_tPvRmT3_T4_T5_T6_T7_T9_mT8_P12ihipStream_tbDpT10_ENKUlT_T0_E_clISt17integral_constantIbLb0EES19_EEDaS14_S15_EUlS14_E_NS1_11comp_targetILNS1_3genE3ELNS1_11target_archE908ELNS1_3gpuE7ELNS1_3repE0EEENS1_30default_config_static_selectorELNS0_4arch9wavefront6targetE1EEEvT1_, .Lfunc_end2782-_ZN7rocprim17ROCPRIM_400000_NS6detail17trampoline_kernelINS0_14default_configENS1_25partition_config_selectorILNS1_17partition_subalgoE0EsNS0_10empty_typeEbEEZZNS1_14partition_implILS5_0ELb0ES3_jN6thrust23THRUST_200600_302600_NS6detail15normal_iteratorINSA_10device_ptrIsEEEEPS6_SG_NS0_5tupleIJNSA_16discard_iteratorINSA_11use_defaultEEESK_EEENSH_IJSG_SG_EEES6_PlJ7is_evenIsEEEE10hipError_tPvRmT3_T4_T5_T6_T7_T9_mT8_P12ihipStream_tbDpT10_ENKUlT_T0_E_clISt17integral_constantIbLb0EES19_EEDaS14_S15_EUlS14_E_NS1_11comp_targetILNS1_3genE3ELNS1_11target_archE908ELNS1_3gpuE7ELNS1_3repE0EEENS1_30default_config_static_selectorELNS0_4arch9wavefront6targetE1EEEvT1_
                                        ; -- End function
	.section	.AMDGPU.csdata,"",@progbits
; Kernel info:
; codeLenInByte = 0
; NumSgprs: 6
; NumVgprs: 0
; NumAgprs: 0
; TotalNumVgprs: 0
; ScratchSize: 0
; MemoryBound: 0
; FloatMode: 240
; IeeeMode: 1
; LDSByteSize: 0 bytes/workgroup (compile time only)
; SGPRBlocks: 0
; VGPRBlocks: 0
; NumSGPRsForWavesPerEU: 6
; NumVGPRsForWavesPerEU: 1
; AccumOffset: 4
; Occupancy: 8
; WaveLimiterHint : 0
; COMPUTE_PGM_RSRC2:SCRATCH_EN: 0
; COMPUTE_PGM_RSRC2:USER_SGPR: 2
; COMPUTE_PGM_RSRC2:TRAP_HANDLER: 0
; COMPUTE_PGM_RSRC2:TGID_X_EN: 1
; COMPUTE_PGM_RSRC2:TGID_Y_EN: 0
; COMPUTE_PGM_RSRC2:TGID_Z_EN: 0
; COMPUTE_PGM_RSRC2:TIDIG_COMP_CNT: 0
; COMPUTE_PGM_RSRC3_GFX90A:ACCUM_OFFSET: 0
; COMPUTE_PGM_RSRC3_GFX90A:TG_SPLIT: 0
	.section	.text._ZN7rocprim17ROCPRIM_400000_NS6detail17trampoline_kernelINS0_14default_configENS1_25partition_config_selectorILNS1_17partition_subalgoE0EsNS0_10empty_typeEbEEZZNS1_14partition_implILS5_0ELb0ES3_jN6thrust23THRUST_200600_302600_NS6detail15normal_iteratorINSA_10device_ptrIsEEEEPS6_SG_NS0_5tupleIJNSA_16discard_iteratorINSA_11use_defaultEEESK_EEENSH_IJSG_SG_EEES6_PlJ7is_evenIsEEEE10hipError_tPvRmT3_T4_T5_T6_T7_T9_mT8_P12ihipStream_tbDpT10_ENKUlT_T0_E_clISt17integral_constantIbLb0EES19_EEDaS14_S15_EUlS14_E_NS1_11comp_targetILNS1_3genE2ELNS1_11target_archE906ELNS1_3gpuE6ELNS1_3repE0EEENS1_30default_config_static_selectorELNS0_4arch9wavefront6targetE1EEEvT1_,"axG",@progbits,_ZN7rocprim17ROCPRIM_400000_NS6detail17trampoline_kernelINS0_14default_configENS1_25partition_config_selectorILNS1_17partition_subalgoE0EsNS0_10empty_typeEbEEZZNS1_14partition_implILS5_0ELb0ES3_jN6thrust23THRUST_200600_302600_NS6detail15normal_iteratorINSA_10device_ptrIsEEEEPS6_SG_NS0_5tupleIJNSA_16discard_iteratorINSA_11use_defaultEEESK_EEENSH_IJSG_SG_EEES6_PlJ7is_evenIsEEEE10hipError_tPvRmT3_T4_T5_T6_T7_T9_mT8_P12ihipStream_tbDpT10_ENKUlT_T0_E_clISt17integral_constantIbLb0EES19_EEDaS14_S15_EUlS14_E_NS1_11comp_targetILNS1_3genE2ELNS1_11target_archE906ELNS1_3gpuE6ELNS1_3repE0EEENS1_30default_config_static_selectorELNS0_4arch9wavefront6targetE1EEEvT1_,comdat
	.protected	_ZN7rocprim17ROCPRIM_400000_NS6detail17trampoline_kernelINS0_14default_configENS1_25partition_config_selectorILNS1_17partition_subalgoE0EsNS0_10empty_typeEbEEZZNS1_14partition_implILS5_0ELb0ES3_jN6thrust23THRUST_200600_302600_NS6detail15normal_iteratorINSA_10device_ptrIsEEEEPS6_SG_NS0_5tupleIJNSA_16discard_iteratorINSA_11use_defaultEEESK_EEENSH_IJSG_SG_EEES6_PlJ7is_evenIsEEEE10hipError_tPvRmT3_T4_T5_T6_T7_T9_mT8_P12ihipStream_tbDpT10_ENKUlT_T0_E_clISt17integral_constantIbLb0EES19_EEDaS14_S15_EUlS14_E_NS1_11comp_targetILNS1_3genE2ELNS1_11target_archE906ELNS1_3gpuE6ELNS1_3repE0EEENS1_30default_config_static_selectorELNS0_4arch9wavefront6targetE1EEEvT1_ ; -- Begin function _ZN7rocprim17ROCPRIM_400000_NS6detail17trampoline_kernelINS0_14default_configENS1_25partition_config_selectorILNS1_17partition_subalgoE0EsNS0_10empty_typeEbEEZZNS1_14partition_implILS5_0ELb0ES3_jN6thrust23THRUST_200600_302600_NS6detail15normal_iteratorINSA_10device_ptrIsEEEEPS6_SG_NS0_5tupleIJNSA_16discard_iteratorINSA_11use_defaultEEESK_EEENSH_IJSG_SG_EEES6_PlJ7is_evenIsEEEE10hipError_tPvRmT3_T4_T5_T6_T7_T9_mT8_P12ihipStream_tbDpT10_ENKUlT_T0_E_clISt17integral_constantIbLb0EES19_EEDaS14_S15_EUlS14_E_NS1_11comp_targetILNS1_3genE2ELNS1_11target_archE906ELNS1_3gpuE6ELNS1_3repE0EEENS1_30default_config_static_selectorELNS0_4arch9wavefront6targetE1EEEvT1_
	.globl	_ZN7rocprim17ROCPRIM_400000_NS6detail17trampoline_kernelINS0_14default_configENS1_25partition_config_selectorILNS1_17partition_subalgoE0EsNS0_10empty_typeEbEEZZNS1_14partition_implILS5_0ELb0ES3_jN6thrust23THRUST_200600_302600_NS6detail15normal_iteratorINSA_10device_ptrIsEEEEPS6_SG_NS0_5tupleIJNSA_16discard_iteratorINSA_11use_defaultEEESK_EEENSH_IJSG_SG_EEES6_PlJ7is_evenIsEEEE10hipError_tPvRmT3_T4_T5_T6_T7_T9_mT8_P12ihipStream_tbDpT10_ENKUlT_T0_E_clISt17integral_constantIbLb0EES19_EEDaS14_S15_EUlS14_E_NS1_11comp_targetILNS1_3genE2ELNS1_11target_archE906ELNS1_3gpuE6ELNS1_3repE0EEENS1_30default_config_static_selectorELNS0_4arch9wavefront6targetE1EEEvT1_
	.p2align	8
	.type	_ZN7rocprim17ROCPRIM_400000_NS6detail17trampoline_kernelINS0_14default_configENS1_25partition_config_selectorILNS1_17partition_subalgoE0EsNS0_10empty_typeEbEEZZNS1_14partition_implILS5_0ELb0ES3_jN6thrust23THRUST_200600_302600_NS6detail15normal_iteratorINSA_10device_ptrIsEEEEPS6_SG_NS0_5tupleIJNSA_16discard_iteratorINSA_11use_defaultEEESK_EEENSH_IJSG_SG_EEES6_PlJ7is_evenIsEEEE10hipError_tPvRmT3_T4_T5_T6_T7_T9_mT8_P12ihipStream_tbDpT10_ENKUlT_T0_E_clISt17integral_constantIbLb0EES19_EEDaS14_S15_EUlS14_E_NS1_11comp_targetILNS1_3genE2ELNS1_11target_archE906ELNS1_3gpuE6ELNS1_3repE0EEENS1_30default_config_static_selectorELNS0_4arch9wavefront6targetE1EEEvT1_,@function
_ZN7rocprim17ROCPRIM_400000_NS6detail17trampoline_kernelINS0_14default_configENS1_25partition_config_selectorILNS1_17partition_subalgoE0EsNS0_10empty_typeEbEEZZNS1_14partition_implILS5_0ELb0ES3_jN6thrust23THRUST_200600_302600_NS6detail15normal_iteratorINSA_10device_ptrIsEEEEPS6_SG_NS0_5tupleIJNSA_16discard_iteratorINSA_11use_defaultEEESK_EEENSH_IJSG_SG_EEES6_PlJ7is_evenIsEEEE10hipError_tPvRmT3_T4_T5_T6_T7_T9_mT8_P12ihipStream_tbDpT10_ENKUlT_T0_E_clISt17integral_constantIbLb0EES19_EEDaS14_S15_EUlS14_E_NS1_11comp_targetILNS1_3genE2ELNS1_11target_archE906ELNS1_3gpuE6ELNS1_3repE0EEENS1_30default_config_static_selectorELNS0_4arch9wavefront6targetE1EEEvT1_: ; @_ZN7rocprim17ROCPRIM_400000_NS6detail17trampoline_kernelINS0_14default_configENS1_25partition_config_selectorILNS1_17partition_subalgoE0EsNS0_10empty_typeEbEEZZNS1_14partition_implILS5_0ELb0ES3_jN6thrust23THRUST_200600_302600_NS6detail15normal_iteratorINSA_10device_ptrIsEEEEPS6_SG_NS0_5tupleIJNSA_16discard_iteratorINSA_11use_defaultEEESK_EEENSH_IJSG_SG_EEES6_PlJ7is_evenIsEEEE10hipError_tPvRmT3_T4_T5_T6_T7_T9_mT8_P12ihipStream_tbDpT10_ENKUlT_T0_E_clISt17integral_constantIbLb0EES19_EEDaS14_S15_EUlS14_E_NS1_11comp_targetILNS1_3genE2ELNS1_11target_archE906ELNS1_3gpuE6ELNS1_3repE0EEENS1_30default_config_static_selectorELNS0_4arch9wavefront6targetE1EEEvT1_
; %bb.0:
	.section	.rodata,"a",@progbits
	.p2align	6, 0x0
	.amdhsa_kernel _ZN7rocprim17ROCPRIM_400000_NS6detail17trampoline_kernelINS0_14default_configENS1_25partition_config_selectorILNS1_17partition_subalgoE0EsNS0_10empty_typeEbEEZZNS1_14partition_implILS5_0ELb0ES3_jN6thrust23THRUST_200600_302600_NS6detail15normal_iteratorINSA_10device_ptrIsEEEEPS6_SG_NS0_5tupleIJNSA_16discard_iteratorINSA_11use_defaultEEESK_EEENSH_IJSG_SG_EEES6_PlJ7is_evenIsEEEE10hipError_tPvRmT3_T4_T5_T6_T7_T9_mT8_P12ihipStream_tbDpT10_ENKUlT_T0_E_clISt17integral_constantIbLb0EES19_EEDaS14_S15_EUlS14_E_NS1_11comp_targetILNS1_3genE2ELNS1_11target_archE906ELNS1_3gpuE6ELNS1_3repE0EEENS1_30default_config_static_selectorELNS0_4arch9wavefront6targetE1EEEvT1_
		.amdhsa_group_segment_fixed_size 0
		.amdhsa_private_segment_fixed_size 0
		.amdhsa_kernarg_size 136
		.amdhsa_user_sgpr_count 2
		.amdhsa_user_sgpr_dispatch_ptr 0
		.amdhsa_user_sgpr_queue_ptr 0
		.amdhsa_user_sgpr_kernarg_segment_ptr 1
		.amdhsa_user_sgpr_dispatch_id 0
		.amdhsa_user_sgpr_kernarg_preload_length 0
		.amdhsa_user_sgpr_kernarg_preload_offset 0
		.amdhsa_user_sgpr_private_segment_size 0
		.amdhsa_uses_dynamic_stack 0
		.amdhsa_enable_private_segment 0
		.amdhsa_system_sgpr_workgroup_id_x 1
		.amdhsa_system_sgpr_workgroup_id_y 0
		.amdhsa_system_sgpr_workgroup_id_z 0
		.amdhsa_system_sgpr_workgroup_info 0
		.amdhsa_system_vgpr_workitem_id 0
		.amdhsa_next_free_vgpr 1
		.amdhsa_next_free_sgpr 0
		.amdhsa_accum_offset 4
		.amdhsa_reserve_vcc 0
		.amdhsa_float_round_mode_32 0
		.amdhsa_float_round_mode_16_64 0
		.amdhsa_float_denorm_mode_32 3
		.amdhsa_float_denorm_mode_16_64 3
		.amdhsa_dx10_clamp 1
		.amdhsa_ieee_mode 1
		.amdhsa_fp16_overflow 0
		.amdhsa_tg_split 0
		.amdhsa_exception_fp_ieee_invalid_op 0
		.amdhsa_exception_fp_denorm_src 0
		.amdhsa_exception_fp_ieee_div_zero 0
		.amdhsa_exception_fp_ieee_overflow 0
		.amdhsa_exception_fp_ieee_underflow 0
		.amdhsa_exception_fp_ieee_inexact 0
		.amdhsa_exception_int_div_zero 0
	.end_amdhsa_kernel
	.section	.text._ZN7rocprim17ROCPRIM_400000_NS6detail17trampoline_kernelINS0_14default_configENS1_25partition_config_selectorILNS1_17partition_subalgoE0EsNS0_10empty_typeEbEEZZNS1_14partition_implILS5_0ELb0ES3_jN6thrust23THRUST_200600_302600_NS6detail15normal_iteratorINSA_10device_ptrIsEEEEPS6_SG_NS0_5tupleIJNSA_16discard_iteratorINSA_11use_defaultEEESK_EEENSH_IJSG_SG_EEES6_PlJ7is_evenIsEEEE10hipError_tPvRmT3_T4_T5_T6_T7_T9_mT8_P12ihipStream_tbDpT10_ENKUlT_T0_E_clISt17integral_constantIbLb0EES19_EEDaS14_S15_EUlS14_E_NS1_11comp_targetILNS1_3genE2ELNS1_11target_archE906ELNS1_3gpuE6ELNS1_3repE0EEENS1_30default_config_static_selectorELNS0_4arch9wavefront6targetE1EEEvT1_,"axG",@progbits,_ZN7rocprim17ROCPRIM_400000_NS6detail17trampoline_kernelINS0_14default_configENS1_25partition_config_selectorILNS1_17partition_subalgoE0EsNS0_10empty_typeEbEEZZNS1_14partition_implILS5_0ELb0ES3_jN6thrust23THRUST_200600_302600_NS6detail15normal_iteratorINSA_10device_ptrIsEEEEPS6_SG_NS0_5tupleIJNSA_16discard_iteratorINSA_11use_defaultEEESK_EEENSH_IJSG_SG_EEES6_PlJ7is_evenIsEEEE10hipError_tPvRmT3_T4_T5_T6_T7_T9_mT8_P12ihipStream_tbDpT10_ENKUlT_T0_E_clISt17integral_constantIbLb0EES19_EEDaS14_S15_EUlS14_E_NS1_11comp_targetILNS1_3genE2ELNS1_11target_archE906ELNS1_3gpuE6ELNS1_3repE0EEENS1_30default_config_static_selectorELNS0_4arch9wavefront6targetE1EEEvT1_,comdat
.Lfunc_end2783:
	.size	_ZN7rocprim17ROCPRIM_400000_NS6detail17trampoline_kernelINS0_14default_configENS1_25partition_config_selectorILNS1_17partition_subalgoE0EsNS0_10empty_typeEbEEZZNS1_14partition_implILS5_0ELb0ES3_jN6thrust23THRUST_200600_302600_NS6detail15normal_iteratorINSA_10device_ptrIsEEEEPS6_SG_NS0_5tupleIJNSA_16discard_iteratorINSA_11use_defaultEEESK_EEENSH_IJSG_SG_EEES6_PlJ7is_evenIsEEEE10hipError_tPvRmT3_T4_T5_T6_T7_T9_mT8_P12ihipStream_tbDpT10_ENKUlT_T0_E_clISt17integral_constantIbLb0EES19_EEDaS14_S15_EUlS14_E_NS1_11comp_targetILNS1_3genE2ELNS1_11target_archE906ELNS1_3gpuE6ELNS1_3repE0EEENS1_30default_config_static_selectorELNS0_4arch9wavefront6targetE1EEEvT1_, .Lfunc_end2783-_ZN7rocprim17ROCPRIM_400000_NS6detail17trampoline_kernelINS0_14default_configENS1_25partition_config_selectorILNS1_17partition_subalgoE0EsNS0_10empty_typeEbEEZZNS1_14partition_implILS5_0ELb0ES3_jN6thrust23THRUST_200600_302600_NS6detail15normal_iteratorINSA_10device_ptrIsEEEEPS6_SG_NS0_5tupleIJNSA_16discard_iteratorINSA_11use_defaultEEESK_EEENSH_IJSG_SG_EEES6_PlJ7is_evenIsEEEE10hipError_tPvRmT3_T4_T5_T6_T7_T9_mT8_P12ihipStream_tbDpT10_ENKUlT_T0_E_clISt17integral_constantIbLb0EES19_EEDaS14_S15_EUlS14_E_NS1_11comp_targetILNS1_3genE2ELNS1_11target_archE906ELNS1_3gpuE6ELNS1_3repE0EEENS1_30default_config_static_selectorELNS0_4arch9wavefront6targetE1EEEvT1_
                                        ; -- End function
	.section	.AMDGPU.csdata,"",@progbits
; Kernel info:
; codeLenInByte = 0
; NumSgprs: 6
; NumVgprs: 0
; NumAgprs: 0
; TotalNumVgprs: 0
; ScratchSize: 0
; MemoryBound: 0
; FloatMode: 240
; IeeeMode: 1
; LDSByteSize: 0 bytes/workgroup (compile time only)
; SGPRBlocks: 0
; VGPRBlocks: 0
; NumSGPRsForWavesPerEU: 6
; NumVGPRsForWavesPerEU: 1
; AccumOffset: 4
; Occupancy: 8
; WaveLimiterHint : 0
; COMPUTE_PGM_RSRC2:SCRATCH_EN: 0
; COMPUTE_PGM_RSRC2:USER_SGPR: 2
; COMPUTE_PGM_RSRC2:TRAP_HANDLER: 0
; COMPUTE_PGM_RSRC2:TGID_X_EN: 1
; COMPUTE_PGM_RSRC2:TGID_Y_EN: 0
; COMPUTE_PGM_RSRC2:TGID_Z_EN: 0
; COMPUTE_PGM_RSRC2:TIDIG_COMP_CNT: 0
; COMPUTE_PGM_RSRC3_GFX90A:ACCUM_OFFSET: 0
; COMPUTE_PGM_RSRC3_GFX90A:TG_SPLIT: 0
	.section	.text._ZN7rocprim17ROCPRIM_400000_NS6detail17trampoline_kernelINS0_14default_configENS1_25partition_config_selectorILNS1_17partition_subalgoE0EsNS0_10empty_typeEbEEZZNS1_14partition_implILS5_0ELb0ES3_jN6thrust23THRUST_200600_302600_NS6detail15normal_iteratorINSA_10device_ptrIsEEEEPS6_SG_NS0_5tupleIJNSA_16discard_iteratorINSA_11use_defaultEEESK_EEENSH_IJSG_SG_EEES6_PlJ7is_evenIsEEEE10hipError_tPvRmT3_T4_T5_T6_T7_T9_mT8_P12ihipStream_tbDpT10_ENKUlT_T0_E_clISt17integral_constantIbLb0EES19_EEDaS14_S15_EUlS14_E_NS1_11comp_targetILNS1_3genE10ELNS1_11target_archE1200ELNS1_3gpuE4ELNS1_3repE0EEENS1_30default_config_static_selectorELNS0_4arch9wavefront6targetE1EEEvT1_,"axG",@progbits,_ZN7rocprim17ROCPRIM_400000_NS6detail17trampoline_kernelINS0_14default_configENS1_25partition_config_selectorILNS1_17partition_subalgoE0EsNS0_10empty_typeEbEEZZNS1_14partition_implILS5_0ELb0ES3_jN6thrust23THRUST_200600_302600_NS6detail15normal_iteratorINSA_10device_ptrIsEEEEPS6_SG_NS0_5tupleIJNSA_16discard_iteratorINSA_11use_defaultEEESK_EEENSH_IJSG_SG_EEES6_PlJ7is_evenIsEEEE10hipError_tPvRmT3_T4_T5_T6_T7_T9_mT8_P12ihipStream_tbDpT10_ENKUlT_T0_E_clISt17integral_constantIbLb0EES19_EEDaS14_S15_EUlS14_E_NS1_11comp_targetILNS1_3genE10ELNS1_11target_archE1200ELNS1_3gpuE4ELNS1_3repE0EEENS1_30default_config_static_selectorELNS0_4arch9wavefront6targetE1EEEvT1_,comdat
	.protected	_ZN7rocprim17ROCPRIM_400000_NS6detail17trampoline_kernelINS0_14default_configENS1_25partition_config_selectorILNS1_17partition_subalgoE0EsNS0_10empty_typeEbEEZZNS1_14partition_implILS5_0ELb0ES3_jN6thrust23THRUST_200600_302600_NS6detail15normal_iteratorINSA_10device_ptrIsEEEEPS6_SG_NS0_5tupleIJNSA_16discard_iteratorINSA_11use_defaultEEESK_EEENSH_IJSG_SG_EEES6_PlJ7is_evenIsEEEE10hipError_tPvRmT3_T4_T5_T6_T7_T9_mT8_P12ihipStream_tbDpT10_ENKUlT_T0_E_clISt17integral_constantIbLb0EES19_EEDaS14_S15_EUlS14_E_NS1_11comp_targetILNS1_3genE10ELNS1_11target_archE1200ELNS1_3gpuE4ELNS1_3repE0EEENS1_30default_config_static_selectorELNS0_4arch9wavefront6targetE1EEEvT1_ ; -- Begin function _ZN7rocprim17ROCPRIM_400000_NS6detail17trampoline_kernelINS0_14default_configENS1_25partition_config_selectorILNS1_17partition_subalgoE0EsNS0_10empty_typeEbEEZZNS1_14partition_implILS5_0ELb0ES3_jN6thrust23THRUST_200600_302600_NS6detail15normal_iteratorINSA_10device_ptrIsEEEEPS6_SG_NS0_5tupleIJNSA_16discard_iteratorINSA_11use_defaultEEESK_EEENSH_IJSG_SG_EEES6_PlJ7is_evenIsEEEE10hipError_tPvRmT3_T4_T5_T6_T7_T9_mT8_P12ihipStream_tbDpT10_ENKUlT_T0_E_clISt17integral_constantIbLb0EES19_EEDaS14_S15_EUlS14_E_NS1_11comp_targetILNS1_3genE10ELNS1_11target_archE1200ELNS1_3gpuE4ELNS1_3repE0EEENS1_30default_config_static_selectorELNS0_4arch9wavefront6targetE1EEEvT1_
	.globl	_ZN7rocprim17ROCPRIM_400000_NS6detail17trampoline_kernelINS0_14default_configENS1_25partition_config_selectorILNS1_17partition_subalgoE0EsNS0_10empty_typeEbEEZZNS1_14partition_implILS5_0ELb0ES3_jN6thrust23THRUST_200600_302600_NS6detail15normal_iteratorINSA_10device_ptrIsEEEEPS6_SG_NS0_5tupleIJNSA_16discard_iteratorINSA_11use_defaultEEESK_EEENSH_IJSG_SG_EEES6_PlJ7is_evenIsEEEE10hipError_tPvRmT3_T4_T5_T6_T7_T9_mT8_P12ihipStream_tbDpT10_ENKUlT_T0_E_clISt17integral_constantIbLb0EES19_EEDaS14_S15_EUlS14_E_NS1_11comp_targetILNS1_3genE10ELNS1_11target_archE1200ELNS1_3gpuE4ELNS1_3repE0EEENS1_30default_config_static_selectorELNS0_4arch9wavefront6targetE1EEEvT1_
	.p2align	8
	.type	_ZN7rocprim17ROCPRIM_400000_NS6detail17trampoline_kernelINS0_14default_configENS1_25partition_config_selectorILNS1_17partition_subalgoE0EsNS0_10empty_typeEbEEZZNS1_14partition_implILS5_0ELb0ES3_jN6thrust23THRUST_200600_302600_NS6detail15normal_iteratorINSA_10device_ptrIsEEEEPS6_SG_NS0_5tupleIJNSA_16discard_iteratorINSA_11use_defaultEEESK_EEENSH_IJSG_SG_EEES6_PlJ7is_evenIsEEEE10hipError_tPvRmT3_T4_T5_T6_T7_T9_mT8_P12ihipStream_tbDpT10_ENKUlT_T0_E_clISt17integral_constantIbLb0EES19_EEDaS14_S15_EUlS14_E_NS1_11comp_targetILNS1_3genE10ELNS1_11target_archE1200ELNS1_3gpuE4ELNS1_3repE0EEENS1_30default_config_static_selectorELNS0_4arch9wavefront6targetE1EEEvT1_,@function
_ZN7rocprim17ROCPRIM_400000_NS6detail17trampoline_kernelINS0_14default_configENS1_25partition_config_selectorILNS1_17partition_subalgoE0EsNS0_10empty_typeEbEEZZNS1_14partition_implILS5_0ELb0ES3_jN6thrust23THRUST_200600_302600_NS6detail15normal_iteratorINSA_10device_ptrIsEEEEPS6_SG_NS0_5tupleIJNSA_16discard_iteratorINSA_11use_defaultEEESK_EEENSH_IJSG_SG_EEES6_PlJ7is_evenIsEEEE10hipError_tPvRmT3_T4_T5_T6_T7_T9_mT8_P12ihipStream_tbDpT10_ENKUlT_T0_E_clISt17integral_constantIbLb0EES19_EEDaS14_S15_EUlS14_E_NS1_11comp_targetILNS1_3genE10ELNS1_11target_archE1200ELNS1_3gpuE4ELNS1_3repE0EEENS1_30default_config_static_selectorELNS0_4arch9wavefront6targetE1EEEvT1_: ; @_ZN7rocprim17ROCPRIM_400000_NS6detail17trampoline_kernelINS0_14default_configENS1_25partition_config_selectorILNS1_17partition_subalgoE0EsNS0_10empty_typeEbEEZZNS1_14partition_implILS5_0ELb0ES3_jN6thrust23THRUST_200600_302600_NS6detail15normal_iteratorINSA_10device_ptrIsEEEEPS6_SG_NS0_5tupleIJNSA_16discard_iteratorINSA_11use_defaultEEESK_EEENSH_IJSG_SG_EEES6_PlJ7is_evenIsEEEE10hipError_tPvRmT3_T4_T5_T6_T7_T9_mT8_P12ihipStream_tbDpT10_ENKUlT_T0_E_clISt17integral_constantIbLb0EES19_EEDaS14_S15_EUlS14_E_NS1_11comp_targetILNS1_3genE10ELNS1_11target_archE1200ELNS1_3gpuE4ELNS1_3repE0EEENS1_30default_config_static_selectorELNS0_4arch9wavefront6targetE1EEEvT1_
; %bb.0:
	.section	.rodata,"a",@progbits
	.p2align	6, 0x0
	.amdhsa_kernel _ZN7rocprim17ROCPRIM_400000_NS6detail17trampoline_kernelINS0_14default_configENS1_25partition_config_selectorILNS1_17partition_subalgoE0EsNS0_10empty_typeEbEEZZNS1_14partition_implILS5_0ELb0ES3_jN6thrust23THRUST_200600_302600_NS6detail15normal_iteratorINSA_10device_ptrIsEEEEPS6_SG_NS0_5tupleIJNSA_16discard_iteratorINSA_11use_defaultEEESK_EEENSH_IJSG_SG_EEES6_PlJ7is_evenIsEEEE10hipError_tPvRmT3_T4_T5_T6_T7_T9_mT8_P12ihipStream_tbDpT10_ENKUlT_T0_E_clISt17integral_constantIbLb0EES19_EEDaS14_S15_EUlS14_E_NS1_11comp_targetILNS1_3genE10ELNS1_11target_archE1200ELNS1_3gpuE4ELNS1_3repE0EEENS1_30default_config_static_selectorELNS0_4arch9wavefront6targetE1EEEvT1_
		.amdhsa_group_segment_fixed_size 0
		.amdhsa_private_segment_fixed_size 0
		.amdhsa_kernarg_size 136
		.amdhsa_user_sgpr_count 2
		.amdhsa_user_sgpr_dispatch_ptr 0
		.amdhsa_user_sgpr_queue_ptr 0
		.amdhsa_user_sgpr_kernarg_segment_ptr 1
		.amdhsa_user_sgpr_dispatch_id 0
		.amdhsa_user_sgpr_kernarg_preload_length 0
		.amdhsa_user_sgpr_kernarg_preload_offset 0
		.amdhsa_user_sgpr_private_segment_size 0
		.amdhsa_uses_dynamic_stack 0
		.amdhsa_enable_private_segment 0
		.amdhsa_system_sgpr_workgroup_id_x 1
		.amdhsa_system_sgpr_workgroup_id_y 0
		.amdhsa_system_sgpr_workgroup_id_z 0
		.amdhsa_system_sgpr_workgroup_info 0
		.amdhsa_system_vgpr_workitem_id 0
		.amdhsa_next_free_vgpr 1
		.amdhsa_next_free_sgpr 0
		.amdhsa_accum_offset 4
		.amdhsa_reserve_vcc 0
		.amdhsa_float_round_mode_32 0
		.amdhsa_float_round_mode_16_64 0
		.amdhsa_float_denorm_mode_32 3
		.amdhsa_float_denorm_mode_16_64 3
		.amdhsa_dx10_clamp 1
		.amdhsa_ieee_mode 1
		.amdhsa_fp16_overflow 0
		.amdhsa_tg_split 0
		.amdhsa_exception_fp_ieee_invalid_op 0
		.amdhsa_exception_fp_denorm_src 0
		.amdhsa_exception_fp_ieee_div_zero 0
		.amdhsa_exception_fp_ieee_overflow 0
		.amdhsa_exception_fp_ieee_underflow 0
		.amdhsa_exception_fp_ieee_inexact 0
		.amdhsa_exception_int_div_zero 0
	.end_amdhsa_kernel
	.section	.text._ZN7rocprim17ROCPRIM_400000_NS6detail17trampoline_kernelINS0_14default_configENS1_25partition_config_selectorILNS1_17partition_subalgoE0EsNS0_10empty_typeEbEEZZNS1_14partition_implILS5_0ELb0ES3_jN6thrust23THRUST_200600_302600_NS6detail15normal_iteratorINSA_10device_ptrIsEEEEPS6_SG_NS0_5tupleIJNSA_16discard_iteratorINSA_11use_defaultEEESK_EEENSH_IJSG_SG_EEES6_PlJ7is_evenIsEEEE10hipError_tPvRmT3_T4_T5_T6_T7_T9_mT8_P12ihipStream_tbDpT10_ENKUlT_T0_E_clISt17integral_constantIbLb0EES19_EEDaS14_S15_EUlS14_E_NS1_11comp_targetILNS1_3genE10ELNS1_11target_archE1200ELNS1_3gpuE4ELNS1_3repE0EEENS1_30default_config_static_selectorELNS0_4arch9wavefront6targetE1EEEvT1_,"axG",@progbits,_ZN7rocprim17ROCPRIM_400000_NS6detail17trampoline_kernelINS0_14default_configENS1_25partition_config_selectorILNS1_17partition_subalgoE0EsNS0_10empty_typeEbEEZZNS1_14partition_implILS5_0ELb0ES3_jN6thrust23THRUST_200600_302600_NS6detail15normal_iteratorINSA_10device_ptrIsEEEEPS6_SG_NS0_5tupleIJNSA_16discard_iteratorINSA_11use_defaultEEESK_EEENSH_IJSG_SG_EEES6_PlJ7is_evenIsEEEE10hipError_tPvRmT3_T4_T5_T6_T7_T9_mT8_P12ihipStream_tbDpT10_ENKUlT_T0_E_clISt17integral_constantIbLb0EES19_EEDaS14_S15_EUlS14_E_NS1_11comp_targetILNS1_3genE10ELNS1_11target_archE1200ELNS1_3gpuE4ELNS1_3repE0EEENS1_30default_config_static_selectorELNS0_4arch9wavefront6targetE1EEEvT1_,comdat
.Lfunc_end2784:
	.size	_ZN7rocprim17ROCPRIM_400000_NS6detail17trampoline_kernelINS0_14default_configENS1_25partition_config_selectorILNS1_17partition_subalgoE0EsNS0_10empty_typeEbEEZZNS1_14partition_implILS5_0ELb0ES3_jN6thrust23THRUST_200600_302600_NS6detail15normal_iteratorINSA_10device_ptrIsEEEEPS6_SG_NS0_5tupleIJNSA_16discard_iteratorINSA_11use_defaultEEESK_EEENSH_IJSG_SG_EEES6_PlJ7is_evenIsEEEE10hipError_tPvRmT3_T4_T5_T6_T7_T9_mT8_P12ihipStream_tbDpT10_ENKUlT_T0_E_clISt17integral_constantIbLb0EES19_EEDaS14_S15_EUlS14_E_NS1_11comp_targetILNS1_3genE10ELNS1_11target_archE1200ELNS1_3gpuE4ELNS1_3repE0EEENS1_30default_config_static_selectorELNS0_4arch9wavefront6targetE1EEEvT1_, .Lfunc_end2784-_ZN7rocprim17ROCPRIM_400000_NS6detail17trampoline_kernelINS0_14default_configENS1_25partition_config_selectorILNS1_17partition_subalgoE0EsNS0_10empty_typeEbEEZZNS1_14partition_implILS5_0ELb0ES3_jN6thrust23THRUST_200600_302600_NS6detail15normal_iteratorINSA_10device_ptrIsEEEEPS6_SG_NS0_5tupleIJNSA_16discard_iteratorINSA_11use_defaultEEESK_EEENSH_IJSG_SG_EEES6_PlJ7is_evenIsEEEE10hipError_tPvRmT3_T4_T5_T6_T7_T9_mT8_P12ihipStream_tbDpT10_ENKUlT_T0_E_clISt17integral_constantIbLb0EES19_EEDaS14_S15_EUlS14_E_NS1_11comp_targetILNS1_3genE10ELNS1_11target_archE1200ELNS1_3gpuE4ELNS1_3repE0EEENS1_30default_config_static_selectorELNS0_4arch9wavefront6targetE1EEEvT1_
                                        ; -- End function
	.section	.AMDGPU.csdata,"",@progbits
; Kernel info:
; codeLenInByte = 0
; NumSgprs: 6
; NumVgprs: 0
; NumAgprs: 0
; TotalNumVgprs: 0
; ScratchSize: 0
; MemoryBound: 0
; FloatMode: 240
; IeeeMode: 1
; LDSByteSize: 0 bytes/workgroup (compile time only)
; SGPRBlocks: 0
; VGPRBlocks: 0
; NumSGPRsForWavesPerEU: 6
; NumVGPRsForWavesPerEU: 1
; AccumOffset: 4
; Occupancy: 8
; WaveLimiterHint : 0
; COMPUTE_PGM_RSRC2:SCRATCH_EN: 0
; COMPUTE_PGM_RSRC2:USER_SGPR: 2
; COMPUTE_PGM_RSRC2:TRAP_HANDLER: 0
; COMPUTE_PGM_RSRC2:TGID_X_EN: 1
; COMPUTE_PGM_RSRC2:TGID_Y_EN: 0
; COMPUTE_PGM_RSRC2:TGID_Z_EN: 0
; COMPUTE_PGM_RSRC2:TIDIG_COMP_CNT: 0
; COMPUTE_PGM_RSRC3_GFX90A:ACCUM_OFFSET: 0
; COMPUTE_PGM_RSRC3_GFX90A:TG_SPLIT: 0
	.section	.text._ZN7rocprim17ROCPRIM_400000_NS6detail17trampoline_kernelINS0_14default_configENS1_25partition_config_selectorILNS1_17partition_subalgoE0EsNS0_10empty_typeEbEEZZNS1_14partition_implILS5_0ELb0ES3_jN6thrust23THRUST_200600_302600_NS6detail15normal_iteratorINSA_10device_ptrIsEEEEPS6_SG_NS0_5tupleIJNSA_16discard_iteratorINSA_11use_defaultEEESK_EEENSH_IJSG_SG_EEES6_PlJ7is_evenIsEEEE10hipError_tPvRmT3_T4_T5_T6_T7_T9_mT8_P12ihipStream_tbDpT10_ENKUlT_T0_E_clISt17integral_constantIbLb0EES19_EEDaS14_S15_EUlS14_E_NS1_11comp_targetILNS1_3genE9ELNS1_11target_archE1100ELNS1_3gpuE3ELNS1_3repE0EEENS1_30default_config_static_selectorELNS0_4arch9wavefront6targetE1EEEvT1_,"axG",@progbits,_ZN7rocprim17ROCPRIM_400000_NS6detail17trampoline_kernelINS0_14default_configENS1_25partition_config_selectorILNS1_17partition_subalgoE0EsNS0_10empty_typeEbEEZZNS1_14partition_implILS5_0ELb0ES3_jN6thrust23THRUST_200600_302600_NS6detail15normal_iteratorINSA_10device_ptrIsEEEEPS6_SG_NS0_5tupleIJNSA_16discard_iteratorINSA_11use_defaultEEESK_EEENSH_IJSG_SG_EEES6_PlJ7is_evenIsEEEE10hipError_tPvRmT3_T4_T5_T6_T7_T9_mT8_P12ihipStream_tbDpT10_ENKUlT_T0_E_clISt17integral_constantIbLb0EES19_EEDaS14_S15_EUlS14_E_NS1_11comp_targetILNS1_3genE9ELNS1_11target_archE1100ELNS1_3gpuE3ELNS1_3repE0EEENS1_30default_config_static_selectorELNS0_4arch9wavefront6targetE1EEEvT1_,comdat
	.protected	_ZN7rocprim17ROCPRIM_400000_NS6detail17trampoline_kernelINS0_14default_configENS1_25partition_config_selectorILNS1_17partition_subalgoE0EsNS0_10empty_typeEbEEZZNS1_14partition_implILS5_0ELb0ES3_jN6thrust23THRUST_200600_302600_NS6detail15normal_iteratorINSA_10device_ptrIsEEEEPS6_SG_NS0_5tupleIJNSA_16discard_iteratorINSA_11use_defaultEEESK_EEENSH_IJSG_SG_EEES6_PlJ7is_evenIsEEEE10hipError_tPvRmT3_T4_T5_T6_T7_T9_mT8_P12ihipStream_tbDpT10_ENKUlT_T0_E_clISt17integral_constantIbLb0EES19_EEDaS14_S15_EUlS14_E_NS1_11comp_targetILNS1_3genE9ELNS1_11target_archE1100ELNS1_3gpuE3ELNS1_3repE0EEENS1_30default_config_static_selectorELNS0_4arch9wavefront6targetE1EEEvT1_ ; -- Begin function _ZN7rocprim17ROCPRIM_400000_NS6detail17trampoline_kernelINS0_14default_configENS1_25partition_config_selectorILNS1_17partition_subalgoE0EsNS0_10empty_typeEbEEZZNS1_14partition_implILS5_0ELb0ES3_jN6thrust23THRUST_200600_302600_NS6detail15normal_iteratorINSA_10device_ptrIsEEEEPS6_SG_NS0_5tupleIJNSA_16discard_iteratorINSA_11use_defaultEEESK_EEENSH_IJSG_SG_EEES6_PlJ7is_evenIsEEEE10hipError_tPvRmT3_T4_T5_T6_T7_T9_mT8_P12ihipStream_tbDpT10_ENKUlT_T0_E_clISt17integral_constantIbLb0EES19_EEDaS14_S15_EUlS14_E_NS1_11comp_targetILNS1_3genE9ELNS1_11target_archE1100ELNS1_3gpuE3ELNS1_3repE0EEENS1_30default_config_static_selectorELNS0_4arch9wavefront6targetE1EEEvT1_
	.globl	_ZN7rocprim17ROCPRIM_400000_NS6detail17trampoline_kernelINS0_14default_configENS1_25partition_config_selectorILNS1_17partition_subalgoE0EsNS0_10empty_typeEbEEZZNS1_14partition_implILS5_0ELb0ES3_jN6thrust23THRUST_200600_302600_NS6detail15normal_iteratorINSA_10device_ptrIsEEEEPS6_SG_NS0_5tupleIJNSA_16discard_iteratorINSA_11use_defaultEEESK_EEENSH_IJSG_SG_EEES6_PlJ7is_evenIsEEEE10hipError_tPvRmT3_T4_T5_T6_T7_T9_mT8_P12ihipStream_tbDpT10_ENKUlT_T0_E_clISt17integral_constantIbLb0EES19_EEDaS14_S15_EUlS14_E_NS1_11comp_targetILNS1_3genE9ELNS1_11target_archE1100ELNS1_3gpuE3ELNS1_3repE0EEENS1_30default_config_static_selectorELNS0_4arch9wavefront6targetE1EEEvT1_
	.p2align	8
	.type	_ZN7rocprim17ROCPRIM_400000_NS6detail17trampoline_kernelINS0_14default_configENS1_25partition_config_selectorILNS1_17partition_subalgoE0EsNS0_10empty_typeEbEEZZNS1_14partition_implILS5_0ELb0ES3_jN6thrust23THRUST_200600_302600_NS6detail15normal_iteratorINSA_10device_ptrIsEEEEPS6_SG_NS0_5tupleIJNSA_16discard_iteratorINSA_11use_defaultEEESK_EEENSH_IJSG_SG_EEES6_PlJ7is_evenIsEEEE10hipError_tPvRmT3_T4_T5_T6_T7_T9_mT8_P12ihipStream_tbDpT10_ENKUlT_T0_E_clISt17integral_constantIbLb0EES19_EEDaS14_S15_EUlS14_E_NS1_11comp_targetILNS1_3genE9ELNS1_11target_archE1100ELNS1_3gpuE3ELNS1_3repE0EEENS1_30default_config_static_selectorELNS0_4arch9wavefront6targetE1EEEvT1_,@function
_ZN7rocprim17ROCPRIM_400000_NS6detail17trampoline_kernelINS0_14default_configENS1_25partition_config_selectorILNS1_17partition_subalgoE0EsNS0_10empty_typeEbEEZZNS1_14partition_implILS5_0ELb0ES3_jN6thrust23THRUST_200600_302600_NS6detail15normal_iteratorINSA_10device_ptrIsEEEEPS6_SG_NS0_5tupleIJNSA_16discard_iteratorINSA_11use_defaultEEESK_EEENSH_IJSG_SG_EEES6_PlJ7is_evenIsEEEE10hipError_tPvRmT3_T4_T5_T6_T7_T9_mT8_P12ihipStream_tbDpT10_ENKUlT_T0_E_clISt17integral_constantIbLb0EES19_EEDaS14_S15_EUlS14_E_NS1_11comp_targetILNS1_3genE9ELNS1_11target_archE1100ELNS1_3gpuE3ELNS1_3repE0EEENS1_30default_config_static_selectorELNS0_4arch9wavefront6targetE1EEEvT1_: ; @_ZN7rocprim17ROCPRIM_400000_NS6detail17trampoline_kernelINS0_14default_configENS1_25partition_config_selectorILNS1_17partition_subalgoE0EsNS0_10empty_typeEbEEZZNS1_14partition_implILS5_0ELb0ES3_jN6thrust23THRUST_200600_302600_NS6detail15normal_iteratorINSA_10device_ptrIsEEEEPS6_SG_NS0_5tupleIJNSA_16discard_iteratorINSA_11use_defaultEEESK_EEENSH_IJSG_SG_EEES6_PlJ7is_evenIsEEEE10hipError_tPvRmT3_T4_T5_T6_T7_T9_mT8_P12ihipStream_tbDpT10_ENKUlT_T0_E_clISt17integral_constantIbLb0EES19_EEDaS14_S15_EUlS14_E_NS1_11comp_targetILNS1_3genE9ELNS1_11target_archE1100ELNS1_3gpuE3ELNS1_3repE0EEENS1_30default_config_static_selectorELNS0_4arch9wavefront6targetE1EEEvT1_
; %bb.0:
	.section	.rodata,"a",@progbits
	.p2align	6, 0x0
	.amdhsa_kernel _ZN7rocprim17ROCPRIM_400000_NS6detail17trampoline_kernelINS0_14default_configENS1_25partition_config_selectorILNS1_17partition_subalgoE0EsNS0_10empty_typeEbEEZZNS1_14partition_implILS5_0ELb0ES3_jN6thrust23THRUST_200600_302600_NS6detail15normal_iteratorINSA_10device_ptrIsEEEEPS6_SG_NS0_5tupleIJNSA_16discard_iteratorINSA_11use_defaultEEESK_EEENSH_IJSG_SG_EEES6_PlJ7is_evenIsEEEE10hipError_tPvRmT3_T4_T5_T6_T7_T9_mT8_P12ihipStream_tbDpT10_ENKUlT_T0_E_clISt17integral_constantIbLb0EES19_EEDaS14_S15_EUlS14_E_NS1_11comp_targetILNS1_3genE9ELNS1_11target_archE1100ELNS1_3gpuE3ELNS1_3repE0EEENS1_30default_config_static_selectorELNS0_4arch9wavefront6targetE1EEEvT1_
		.amdhsa_group_segment_fixed_size 0
		.amdhsa_private_segment_fixed_size 0
		.amdhsa_kernarg_size 136
		.amdhsa_user_sgpr_count 2
		.amdhsa_user_sgpr_dispatch_ptr 0
		.amdhsa_user_sgpr_queue_ptr 0
		.amdhsa_user_sgpr_kernarg_segment_ptr 1
		.amdhsa_user_sgpr_dispatch_id 0
		.amdhsa_user_sgpr_kernarg_preload_length 0
		.amdhsa_user_sgpr_kernarg_preload_offset 0
		.amdhsa_user_sgpr_private_segment_size 0
		.amdhsa_uses_dynamic_stack 0
		.amdhsa_enable_private_segment 0
		.amdhsa_system_sgpr_workgroup_id_x 1
		.amdhsa_system_sgpr_workgroup_id_y 0
		.amdhsa_system_sgpr_workgroup_id_z 0
		.amdhsa_system_sgpr_workgroup_info 0
		.amdhsa_system_vgpr_workitem_id 0
		.amdhsa_next_free_vgpr 1
		.amdhsa_next_free_sgpr 0
		.amdhsa_accum_offset 4
		.amdhsa_reserve_vcc 0
		.amdhsa_float_round_mode_32 0
		.amdhsa_float_round_mode_16_64 0
		.amdhsa_float_denorm_mode_32 3
		.amdhsa_float_denorm_mode_16_64 3
		.amdhsa_dx10_clamp 1
		.amdhsa_ieee_mode 1
		.amdhsa_fp16_overflow 0
		.amdhsa_tg_split 0
		.amdhsa_exception_fp_ieee_invalid_op 0
		.amdhsa_exception_fp_denorm_src 0
		.amdhsa_exception_fp_ieee_div_zero 0
		.amdhsa_exception_fp_ieee_overflow 0
		.amdhsa_exception_fp_ieee_underflow 0
		.amdhsa_exception_fp_ieee_inexact 0
		.amdhsa_exception_int_div_zero 0
	.end_amdhsa_kernel
	.section	.text._ZN7rocprim17ROCPRIM_400000_NS6detail17trampoline_kernelINS0_14default_configENS1_25partition_config_selectorILNS1_17partition_subalgoE0EsNS0_10empty_typeEbEEZZNS1_14partition_implILS5_0ELb0ES3_jN6thrust23THRUST_200600_302600_NS6detail15normal_iteratorINSA_10device_ptrIsEEEEPS6_SG_NS0_5tupleIJNSA_16discard_iteratorINSA_11use_defaultEEESK_EEENSH_IJSG_SG_EEES6_PlJ7is_evenIsEEEE10hipError_tPvRmT3_T4_T5_T6_T7_T9_mT8_P12ihipStream_tbDpT10_ENKUlT_T0_E_clISt17integral_constantIbLb0EES19_EEDaS14_S15_EUlS14_E_NS1_11comp_targetILNS1_3genE9ELNS1_11target_archE1100ELNS1_3gpuE3ELNS1_3repE0EEENS1_30default_config_static_selectorELNS0_4arch9wavefront6targetE1EEEvT1_,"axG",@progbits,_ZN7rocprim17ROCPRIM_400000_NS6detail17trampoline_kernelINS0_14default_configENS1_25partition_config_selectorILNS1_17partition_subalgoE0EsNS0_10empty_typeEbEEZZNS1_14partition_implILS5_0ELb0ES3_jN6thrust23THRUST_200600_302600_NS6detail15normal_iteratorINSA_10device_ptrIsEEEEPS6_SG_NS0_5tupleIJNSA_16discard_iteratorINSA_11use_defaultEEESK_EEENSH_IJSG_SG_EEES6_PlJ7is_evenIsEEEE10hipError_tPvRmT3_T4_T5_T6_T7_T9_mT8_P12ihipStream_tbDpT10_ENKUlT_T0_E_clISt17integral_constantIbLb0EES19_EEDaS14_S15_EUlS14_E_NS1_11comp_targetILNS1_3genE9ELNS1_11target_archE1100ELNS1_3gpuE3ELNS1_3repE0EEENS1_30default_config_static_selectorELNS0_4arch9wavefront6targetE1EEEvT1_,comdat
.Lfunc_end2785:
	.size	_ZN7rocprim17ROCPRIM_400000_NS6detail17trampoline_kernelINS0_14default_configENS1_25partition_config_selectorILNS1_17partition_subalgoE0EsNS0_10empty_typeEbEEZZNS1_14partition_implILS5_0ELb0ES3_jN6thrust23THRUST_200600_302600_NS6detail15normal_iteratorINSA_10device_ptrIsEEEEPS6_SG_NS0_5tupleIJNSA_16discard_iteratorINSA_11use_defaultEEESK_EEENSH_IJSG_SG_EEES6_PlJ7is_evenIsEEEE10hipError_tPvRmT3_T4_T5_T6_T7_T9_mT8_P12ihipStream_tbDpT10_ENKUlT_T0_E_clISt17integral_constantIbLb0EES19_EEDaS14_S15_EUlS14_E_NS1_11comp_targetILNS1_3genE9ELNS1_11target_archE1100ELNS1_3gpuE3ELNS1_3repE0EEENS1_30default_config_static_selectorELNS0_4arch9wavefront6targetE1EEEvT1_, .Lfunc_end2785-_ZN7rocprim17ROCPRIM_400000_NS6detail17trampoline_kernelINS0_14default_configENS1_25partition_config_selectorILNS1_17partition_subalgoE0EsNS0_10empty_typeEbEEZZNS1_14partition_implILS5_0ELb0ES3_jN6thrust23THRUST_200600_302600_NS6detail15normal_iteratorINSA_10device_ptrIsEEEEPS6_SG_NS0_5tupleIJNSA_16discard_iteratorINSA_11use_defaultEEESK_EEENSH_IJSG_SG_EEES6_PlJ7is_evenIsEEEE10hipError_tPvRmT3_T4_T5_T6_T7_T9_mT8_P12ihipStream_tbDpT10_ENKUlT_T0_E_clISt17integral_constantIbLb0EES19_EEDaS14_S15_EUlS14_E_NS1_11comp_targetILNS1_3genE9ELNS1_11target_archE1100ELNS1_3gpuE3ELNS1_3repE0EEENS1_30default_config_static_selectorELNS0_4arch9wavefront6targetE1EEEvT1_
                                        ; -- End function
	.section	.AMDGPU.csdata,"",@progbits
; Kernel info:
; codeLenInByte = 0
; NumSgprs: 6
; NumVgprs: 0
; NumAgprs: 0
; TotalNumVgprs: 0
; ScratchSize: 0
; MemoryBound: 0
; FloatMode: 240
; IeeeMode: 1
; LDSByteSize: 0 bytes/workgroup (compile time only)
; SGPRBlocks: 0
; VGPRBlocks: 0
; NumSGPRsForWavesPerEU: 6
; NumVGPRsForWavesPerEU: 1
; AccumOffset: 4
; Occupancy: 8
; WaveLimiterHint : 0
; COMPUTE_PGM_RSRC2:SCRATCH_EN: 0
; COMPUTE_PGM_RSRC2:USER_SGPR: 2
; COMPUTE_PGM_RSRC2:TRAP_HANDLER: 0
; COMPUTE_PGM_RSRC2:TGID_X_EN: 1
; COMPUTE_PGM_RSRC2:TGID_Y_EN: 0
; COMPUTE_PGM_RSRC2:TGID_Z_EN: 0
; COMPUTE_PGM_RSRC2:TIDIG_COMP_CNT: 0
; COMPUTE_PGM_RSRC3_GFX90A:ACCUM_OFFSET: 0
; COMPUTE_PGM_RSRC3_GFX90A:TG_SPLIT: 0
	.section	.text._ZN7rocprim17ROCPRIM_400000_NS6detail17trampoline_kernelINS0_14default_configENS1_25partition_config_selectorILNS1_17partition_subalgoE0EsNS0_10empty_typeEbEEZZNS1_14partition_implILS5_0ELb0ES3_jN6thrust23THRUST_200600_302600_NS6detail15normal_iteratorINSA_10device_ptrIsEEEEPS6_SG_NS0_5tupleIJNSA_16discard_iteratorINSA_11use_defaultEEESK_EEENSH_IJSG_SG_EEES6_PlJ7is_evenIsEEEE10hipError_tPvRmT3_T4_T5_T6_T7_T9_mT8_P12ihipStream_tbDpT10_ENKUlT_T0_E_clISt17integral_constantIbLb0EES19_EEDaS14_S15_EUlS14_E_NS1_11comp_targetILNS1_3genE8ELNS1_11target_archE1030ELNS1_3gpuE2ELNS1_3repE0EEENS1_30default_config_static_selectorELNS0_4arch9wavefront6targetE1EEEvT1_,"axG",@progbits,_ZN7rocprim17ROCPRIM_400000_NS6detail17trampoline_kernelINS0_14default_configENS1_25partition_config_selectorILNS1_17partition_subalgoE0EsNS0_10empty_typeEbEEZZNS1_14partition_implILS5_0ELb0ES3_jN6thrust23THRUST_200600_302600_NS6detail15normal_iteratorINSA_10device_ptrIsEEEEPS6_SG_NS0_5tupleIJNSA_16discard_iteratorINSA_11use_defaultEEESK_EEENSH_IJSG_SG_EEES6_PlJ7is_evenIsEEEE10hipError_tPvRmT3_T4_T5_T6_T7_T9_mT8_P12ihipStream_tbDpT10_ENKUlT_T0_E_clISt17integral_constantIbLb0EES19_EEDaS14_S15_EUlS14_E_NS1_11comp_targetILNS1_3genE8ELNS1_11target_archE1030ELNS1_3gpuE2ELNS1_3repE0EEENS1_30default_config_static_selectorELNS0_4arch9wavefront6targetE1EEEvT1_,comdat
	.protected	_ZN7rocprim17ROCPRIM_400000_NS6detail17trampoline_kernelINS0_14default_configENS1_25partition_config_selectorILNS1_17partition_subalgoE0EsNS0_10empty_typeEbEEZZNS1_14partition_implILS5_0ELb0ES3_jN6thrust23THRUST_200600_302600_NS6detail15normal_iteratorINSA_10device_ptrIsEEEEPS6_SG_NS0_5tupleIJNSA_16discard_iteratorINSA_11use_defaultEEESK_EEENSH_IJSG_SG_EEES6_PlJ7is_evenIsEEEE10hipError_tPvRmT3_T4_T5_T6_T7_T9_mT8_P12ihipStream_tbDpT10_ENKUlT_T0_E_clISt17integral_constantIbLb0EES19_EEDaS14_S15_EUlS14_E_NS1_11comp_targetILNS1_3genE8ELNS1_11target_archE1030ELNS1_3gpuE2ELNS1_3repE0EEENS1_30default_config_static_selectorELNS0_4arch9wavefront6targetE1EEEvT1_ ; -- Begin function _ZN7rocprim17ROCPRIM_400000_NS6detail17trampoline_kernelINS0_14default_configENS1_25partition_config_selectorILNS1_17partition_subalgoE0EsNS0_10empty_typeEbEEZZNS1_14partition_implILS5_0ELb0ES3_jN6thrust23THRUST_200600_302600_NS6detail15normal_iteratorINSA_10device_ptrIsEEEEPS6_SG_NS0_5tupleIJNSA_16discard_iteratorINSA_11use_defaultEEESK_EEENSH_IJSG_SG_EEES6_PlJ7is_evenIsEEEE10hipError_tPvRmT3_T4_T5_T6_T7_T9_mT8_P12ihipStream_tbDpT10_ENKUlT_T0_E_clISt17integral_constantIbLb0EES19_EEDaS14_S15_EUlS14_E_NS1_11comp_targetILNS1_3genE8ELNS1_11target_archE1030ELNS1_3gpuE2ELNS1_3repE0EEENS1_30default_config_static_selectorELNS0_4arch9wavefront6targetE1EEEvT1_
	.globl	_ZN7rocprim17ROCPRIM_400000_NS6detail17trampoline_kernelINS0_14default_configENS1_25partition_config_selectorILNS1_17partition_subalgoE0EsNS0_10empty_typeEbEEZZNS1_14partition_implILS5_0ELb0ES3_jN6thrust23THRUST_200600_302600_NS6detail15normal_iteratorINSA_10device_ptrIsEEEEPS6_SG_NS0_5tupleIJNSA_16discard_iteratorINSA_11use_defaultEEESK_EEENSH_IJSG_SG_EEES6_PlJ7is_evenIsEEEE10hipError_tPvRmT3_T4_T5_T6_T7_T9_mT8_P12ihipStream_tbDpT10_ENKUlT_T0_E_clISt17integral_constantIbLb0EES19_EEDaS14_S15_EUlS14_E_NS1_11comp_targetILNS1_3genE8ELNS1_11target_archE1030ELNS1_3gpuE2ELNS1_3repE0EEENS1_30default_config_static_selectorELNS0_4arch9wavefront6targetE1EEEvT1_
	.p2align	8
	.type	_ZN7rocprim17ROCPRIM_400000_NS6detail17trampoline_kernelINS0_14default_configENS1_25partition_config_selectorILNS1_17partition_subalgoE0EsNS0_10empty_typeEbEEZZNS1_14partition_implILS5_0ELb0ES3_jN6thrust23THRUST_200600_302600_NS6detail15normal_iteratorINSA_10device_ptrIsEEEEPS6_SG_NS0_5tupleIJNSA_16discard_iteratorINSA_11use_defaultEEESK_EEENSH_IJSG_SG_EEES6_PlJ7is_evenIsEEEE10hipError_tPvRmT3_T4_T5_T6_T7_T9_mT8_P12ihipStream_tbDpT10_ENKUlT_T0_E_clISt17integral_constantIbLb0EES19_EEDaS14_S15_EUlS14_E_NS1_11comp_targetILNS1_3genE8ELNS1_11target_archE1030ELNS1_3gpuE2ELNS1_3repE0EEENS1_30default_config_static_selectorELNS0_4arch9wavefront6targetE1EEEvT1_,@function
_ZN7rocprim17ROCPRIM_400000_NS6detail17trampoline_kernelINS0_14default_configENS1_25partition_config_selectorILNS1_17partition_subalgoE0EsNS0_10empty_typeEbEEZZNS1_14partition_implILS5_0ELb0ES3_jN6thrust23THRUST_200600_302600_NS6detail15normal_iteratorINSA_10device_ptrIsEEEEPS6_SG_NS0_5tupleIJNSA_16discard_iteratorINSA_11use_defaultEEESK_EEENSH_IJSG_SG_EEES6_PlJ7is_evenIsEEEE10hipError_tPvRmT3_T4_T5_T6_T7_T9_mT8_P12ihipStream_tbDpT10_ENKUlT_T0_E_clISt17integral_constantIbLb0EES19_EEDaS14_S15_EUlS14_E_NS1_11comp_targetILNS1_3genE8ELNS1_11target_archE1030ELNS1_3gpuE2ELNS1_3repE0EEENS1_30default_config_static_selectorELNS0_4arch9wavefront6targetE1EEEvT1_: ; @_ZN7rocprim17ROCPRIM_400000_NS6detail17trampoline_kernelINS0_14default_configENS1_25partition_config_selectorILNS1_17partition_subalgoE0EsNS0_10empty_typeEbEEZZNS1_14partition_implILS5_0ELb0ES3_jN6thrust23THRUST_200600_302600_NS6detail15normal_iteratorINSA_10device_ptrIsEEEEPS6_SG_NS0_5tupleIJNSA_16discard_iteratorINSA_11use_defaultEEESK_EEENSH_IJSG_SG_EEES6_PlJ7is_evenIsEEEE10hipError_tPvRmT3_T4_T5_T6_T7_T9_mT8_P12ihipStream_tbDpT10_ENKUlT_T0_E_clISt17integral_constantIbLb0EES19_EEDaS14_S15_EUlS14_E_NS1_11comp_targetILNS1_3genE8ELNS1_11target_archE1030ELNS1_3gpuE2ELNS1_3repE0EEENS1_30default_config_static_selectorELNS0_4arch9wavefront6targetE1EEEvT1_
; %bb.0:
	.section	.rodata,"a",@progbits
	.p2align	6, 0x0
	.amdhsa_kernel _ZN7rocprim17ROCPRIM_400000_NS6detail17trampoline_kernelINS0_14default_configENS1_25partition_config_selectorILNS1_17partition_subalgoE0EsNS0_10empty_typeEbEEZZNS1_14partition_implILS5_0ELb0ES3_jN6thrust23THRUST_200600_302600_NS6detail15normal_iteratorINSA_10device_ptrIsEEEEPS6_SG_NS0_5tupleIJNSA_16discard_iteratorINSA_11use_defaultEEESK_EEENSH_IJSG_SG_EEES6_PlJ7is_evenIsEEEE10hipError_tPvRmT3_T4_T5_T6_T7_T9_mT8_P12ihipStream_tbDpT10_ENKUlT_T0_E_clISt17integral_constantIbLb0EES19_EEDaS14_S15_EUlS14_E_NS1_11comp_targetILNS1_3genE8ELNS1_11target_archE1030ELNS1_3gpuE2ELNS1_3repE0EEENS1_30default_config_static_selectorELNS0_4arch9wavefront6targetE1EEEvT1_
		.amdhsa_group_segment_fixed_size 0
		.amdhsa_private_segment_fixed_size 0
		.amdhsa_kernarg_size 136
		.amdhsa_user_sgpr_count 2
		.amdhsa_user_sgpr_dispatch_ptr 0
		.amdhsa_user_sgpr_queue_ptr 0
		.amdhsa_user_sgpr_kernarg_segment_ptr 1
		.amdhsa_user_sgpr_dispatch_id 0
		.amdhsa_user_sgpr_kernarg_preload_length 0
		.amdhsa_user_sgpr_kernarg_preload_offset 0
		.amdhsa_user_sgpr_private_segment_size 0
		.amdhsa_uses_dynamic_stack 0
		.amdhsa_enable_private_segment 0
		.amdhsa_system_sgpr_workgroup_id_x 1
		.amdhsa_system_sgpr_workgroup_id_y 0
		.amdhsa_system_sgpr_workgroup_id_z 0
		.amdhsa_system_sgpr_workgroup_info 0
		.amdhsa_system_vgpr_workitem_id 0
		.amdhsa_next_free_vgpr 1
		.amdhsa_next_free_sgpr 0
		.amdhsa_accum_offset 4
		.amdhsa_reserve_vcc 0
		.amdhsa_float_round_mode_32 0
		.amdhsa_float_round_mode_16_64 0
		.amdhsa_float_denorm_mode_32 3
		.amdhsa_float_denorm_mode_16_64 3
		.amdhsa_dx10_clamp 1
		.amdhsa_ieee_mode 1
		.amdhsa_fp16_overflow 0
		.amdhsa_tg_split 0
		.amdhsa_exception_fp_ieee_invalid_op 0
		.amdhsa_exception_fp_denorm_src 0
		.amdhsa_exception_fp_ieee_div_zero 0
		.amdhsa_exception_fp_ieee_overflow 0
		.amdhsa_exception_fp_ieee_underflow 0
		.amdhsa_exception_fp_ieee_inexact 0
		.amdhsa_exception_int_div_zero 0
	.end_amdhsa_kernel
	.section	.text._ZN7rocprim17ROCPRIM_400000_NS6detail17trampoline_kernelINS0_14default_configENS1_25partition_config_selectorILNS1_17partition_subalgoE0EsNS0_10empty_typeEbEEZZNS1_14partition_implILS5_0ELb0ES3_jN6thrust23THRUST_200600_302600_NS6detail15normal_iteratorINSA_10device_ptrIsEEEEPS6_SG_NS0_5tupleIJNSA_16discard_iteratorINSA_11use_defaultEEESK_EEENSH_IJSG_SG_EEES6_PlJ7is_evenIsEEEE10hipError_tPvRmT3_T4_T5_T6_T7_T9_mT8_P12ihipStream_tbDpT10_ENKUlT_T0_E_clISt17integral_constantIbLb0EES19_EEDaS14_S15_EUlS14_E_NS1_11comp_targetILNS1_3genE8ELNS1_11target_archE1030ELNS1_3gpuE2ELNS1_3repE0EEENS1_30default_config_static_selectorELNS0_4arch9wavefront6targetE1EEEvT1_,"axG",@progbits,_ZN7rocprim17ROCPRIM_400000_NS6detail17trampoline_kernelINS0_14default_configENS1_25partition_config_selectorILNS1_17partition_subalgoE0EsNS0_10empty_typeEbEEZZNS1_14partition_implILS5_0ELb0ES3_jN6thrust23THRUST_200600_302600_NS6detail15normal_iteratorINSA_10device_ptrIsEEEEPS6_SG_NS0_5tupleIJNSA_16discard_iteratorINSA_11use_defaultEEESK_EEENSH_IJSG_SG_EEES6_PlJ7is_evenIsEEEE10hipError_tPvRmT3_T4_T5_T6_T7_T9_mT8_P12ihipStream_tbDpT10_ENKUlT_T0_E_clISt17integral_constantIbLb0EES19_EEDaS14_S15_EUlS14_E_NS1_11comp_targetILNS1_3genE8ELNS1_11target_archE1030ELNS1_3gpuE2ELNS1_3repE0EEENS1_30default_config_static_selectorELNS0_4arch9wavefront6targetE1EEEvT1_,comdat
.Lfunc_end2786:
	.size	_ZN7rocprim17ROCPRIM_400000_NS6detail17trampoline_kernelINS0_14default_configENS1_25partition_config_selectorILNS1_17partition_subalgoE0EsNS0_10empty_typeEbEEZZNS1_14partition_implILS5_0ELb0ES3_jN6thrust23THRUST_200600_302600_NS6detail15normal_iteratorINSA_10device_ptrIsEEEEPS6_SG_NS0_5tupleIJNSA_16discard_iteratorINSA_11use_defaultEEESK_EEENSH_IJSG_SG_EEES6_PlJ7is_evenIsEEEE10hipError_tPvRmT3_T4_T5_T6_T7_T9_mT8_P12ihipStream_tbDpT10_ENKUlT_T0_E_clISt17integral_constantIbLb0EES19_EEDaS14_S15_EUlS14_E_NS1_11comp_targetILNS1_3genE8ELNS1_11target_archE1030ELNS1_3gpuE2ELNS1_3repE0EEENS1_30default_config_static_selectorELNS0_4arch9wavefront6targetE1EEEvT1_, .Lfunc_end2786-_ZN7rocprim17ROCPRIM_400000_NS6detail17trampoline_kernelINS0_14default_configENS1_25partition_config_selectorILNS1_17partition_subalgoE0EsNS0_10empty_typeEbEEZZNS1_14partition_implILS5_0ELb0ES3_jN6thrust23THRUST_200600_302600_NS6detail15normal_iteratorINSA_10device_ptrIsEEEEPS6_SG_NS0_5tupleIJNSA_16discard_iteratorINSA_11use_defaultEEESK_EEENSH_IJSG_SG_EEES6_PlJ7is_evenIsEEEE10hipError_tPvRmT3_T4_T5_T6_T7_T9_mT8_P12ihipStream_tbDpT10_ENKUlT_T0_E_clISt17integral_constantIbLb0EES19_EEDaS14_S15_EUlS14_E_NS1_11comp_targetILNS1_3genE8ELNS1_11target_archE1030ELNS1_3gpuE2ELNS1_3repE0EEENS1_30default_config_static_selectorELNS0_4arch9wavefront6targetE1EEEvT1_
                                        ; -- End function
	.section	.AMDGPU.csdata,"",@progbits
; Kernel info:
; codeLenInByte = 0
; NumSgprs: 6
; NumVgprs: 0
; NumAgprs: 0
; TotalNumVgprs: 0
; ScratchSize: 0
; MemoryBound: 0
; FloatMode: 240
; IeeeMode: 1
; LDSByteSize: 0 bytes/workgroup (compile time only)
; SGPRBlocks: 0
; VGPRBlocks: 0
; NumSGPRsForWavesPerEU: 6
; NumVGPRsForWavesPerEU: 1
; AccumOffset: 4
; Occupancy: 8
; WaveLimiterHint : 0
; COMPUTE_PGM_RSRC2:SCRATCH_EN: 0
; COMPUTE_PGM_RSRC2:USER_SGPR: 2
; COMPUTE_PGM_RSRC2:TRAP_HANDLER: 0
; COMPUTE_PGM_RSRC2:TGID_X_EN: 1
; COMPUTE_PGM_RSRC2:TGID_Y_EN: 0
; COMPUTE_PGM_RSRC2:TGID_Z_EN: 0
; COMPUTE_PGM_RSRC2:TIDIG_COMP_CNT: 0
; COMPUTE_PGM_RSRC3_GFX90A:ACCUM_OFFSET: 0
; COMPUTE_PGM_RSRC3_GFX90A:TG_SPLIT: 0
	.section	.text._ZN7rocprim17ROCPRIM_400000_NS6detail17trampoline_kernelINS0_14default_configENS1_25partition_config_selectorILNS1_17partition_subalgoE0EsNS0_10empty_typeEbEEZZNS1_14partition_implILS5_0ELb0ES3_jN6thrust23THRUST_200600_302600_NS6detail15normal_iteratorINSA_10device_ptrIsEEEEPS6_SG_NS0_5tupleIJNSA_16discard_iteratorINSA_11use_defaultEEESK_EEENSH_IJSG_SG_EEES6_PlJ7is_evenIsEEEE10hipError_tPvRmT3_T4_T5_T6_T7_T9_mT8_P12ihipStream_tbDpT10_ENKUlT_T0_E_clISt17integral_constantIbLb1EES19_EEDaS14_S15_EUlS14_E_NS1_11comp_targetILNS1_3genE0ELNS1_11target_archE4294967295ELNS1_3gpuE0ELNS1_3repE0EEENS1_30default_config_static_selectorELNS0_4arch9wavefront6targetE1EEEvT1_,"axG",@progbits,_ZN7rocprim17ROCPRIM_400000_NS6detail17trampoline_kernelINS0_14default_configENS1_25partition_config_selectorILNS1_17partition_subalgoE0EsNS0_10empty_typeEbEEZZNS1_14partition_implILS5_0ELb0ES3_jN6thrust23THRUST_200600_302600_NS6detail15normal_iteratorINSA_10device_ptrIsEEEEPS6_SG_NS0_5tupleIJNSA_16discard_iteratorINSA_11use_defaultEEESK_EEENSH_IJSG_SG_EEES6_PlJ7is_evenIsEEEE10hipError_tPvRmT3_T4_T5_T6_T7_T9_mT8_P12ihipStream_tbDpT10_ENKUlT_T0_E_clISt17integral_constantIbLb1EES19_EEDaS14_S15_EUlS14_E_NS1_11comp_targetILNS1_3genE0ELNS1_11target_archE4294967295ELNS1_3gpuE0ELNS1_3repE0EEENS1_30default_config_static_selectorELNS0_4arch9wavefront6targetE1EEEvT1_,comdat
	.protected	_ZN7rocprim17ROCPRIM_400000_NS6detail17trampoline_kernelINS0_14default_configENS1_25partition_config_selectorILNS1_17partition_subalgoE0EsNS0_10empty_typeEbEEZZNS1_14partition_implILS5_0ELb0ES3_jN6thrust23THRUST_200600_302600_NS6detail15normal_iteratorINSA_10device_ptrIsEEEEPS6_SG_NS0_5tupleIJNSA_16discard_iteratorINSA_11use_defaultEEESK_EEENSH_IJSG_SG_EEES6_PlJ7is_evenIsEEEE10hipError_tPvRmT3_T4_T5_T6_T7_T9_mT8_P12ihipStream_tbDpT10_ENKUlT_T0_E_clISt17integral_constantIbLb1EES19_EEDaS14_S15_EUlS14_E_NS1_11comp_targetILNS1_3genE0ELNS1_11target_archE4294967295ELNS1_3gpuE0ELNS1_3repE0EEENS1_30default_config_static_selectorELNS0_4arch9wavefront6targetE1EEEvT1_ ; -- Begin function _ZN7rocprim17ROCPRIM_400000_NS6detail17trampoline_kernelINS0_14default_configENS1_25partition_config_selectorILNS1_17partition_subalgoE0EsNS0_10empty_typeEbEEZZNS1_14partition_implILS5_0ELb0ES3_jN6thrust23THRUST_200600_302600_NS6detail15normal_iteratorINSA_10device_ptrIsEEEEPS6_SG_NS0_5tupleIJNSA_16discard_iteratorINSA_11use_defaultEEESK_EEENSH_IJSG_SG_EEES6_PlJ7is_evenIsEEEE10hipError_tPvRmT3_T4_T5_T6_T7_T9_mT8_P12ihipStream_tbDpT10_ENKUlT_T0_E_clISt17integral_constantIbLb1EES19_EEDaS14_S15_EUlS14_E_NS1_11comp_targetILNS1_3genE0ELNS1_11target_archE4294967295ELNS1_3gpuE0ELNS1_3repE0EEENS1_30default_config_static_selectorELNS0_4arch9wavefront6targetE1EEEvT1_
	.globl	_ZN7rocprim17ROCPRIM_400000_NS6detail17trampoline_kernelINS0_14default_configENS1_25partition_config_selectorILNS1_17partition_subalgoE0EsNS0_10empty_typeEbEEZZNS1_14partition_implILS5_0ELb0ES3_jN6thrust23THRUST_200600_302600_NS6detail15normal_iteratorINSA_10device_ptrIsEEEEPS6_SG_NS0_5tupleIJNSA_16discard_iteratorINSA_11use_defaultEEESK_EEENSH_IJSG_SG_EEES6_PlJ7is_evenIsEEEE10hipError_tPvRmT3_T4_T5_T6_T7_T9_mT8_P12ihipStream_tbDpT10_ENKUlT_T0_E_clISt17integral_constantIbLb1EES19_EEDaS14_S15_EUlS14_E_NS1_11comp_targetILNS1_3genE0ELNS1_11target_archE4294967295ELNS1_3gpuE0ELNS1_3repE0EEENS1_30default_config_static_selectorELNS0_4arch9wavefront6targetE1EEEvT1_
	.p2align	8
	.type	_ZN7rocprim17ROCPRIM_400000_NS6detail17trampoline_kernelINS0_14default_configENS1_25partition_config_selectorILNS1_17partition_subalgoE0EsNS0_10empty_typeEbEEZZNS1_14partition_implILS5_0ELb0ES3_jN6thrust23THRUST_200600_302600_NS6detail15normal_iteratorINSA_10device_ptrIsEEEEPS6_SG_NS0_5tupleIJNSA_16discard_iteratorINSA_11use_defaultEEESK_EEENSH_IJSG_SG_EEES6_PlJ7is_evenIsEEEE10hipError_tPvRmT3_T4_T5_T6_T7_T9_mT8_P12ihipStream_tbDpT10_ENKUlT_T0_E_clISt17integral_constantIbLb1EES19_EEDaS14_S15_EUlS14_E_NS1_11comp_targetILNS1_3genE0ELNS1_11target_archE4294967295ELNS1_3gpuE0ELNS1_3repE0EEENS1_30default_config_static_selectorELNS0_4arch9wavefront6targetE1EEEvT1_,@function
_ZN7rocprim17ROCPRIM_400000_NS6detail17trampoline_kernelINS0_14default_configENS1_25partition_config_selectorILNS1_17partition_subalgoE0EsNS0_10empty_typeEbEEZZNS1_14partition_implILS5_0ELb0ES3_jN6thrust23THRUST_200600_302600_NS6detail15normal_iteratorINSA_10device_ptrIsEEEEPS6_SG_NS0_5tupleIJNSA_16discard_iteratorINSA_11use_defaultEEESK_EEENSH_IJSG_SG_EEES6_PlJ7is_evenIsEEEE10hipError_tPvRmT3_T4_T5_T6_T7_T9_mT8_P12ihipStream_tbDpT10_ENKUlT_T0_E_clISt17integral_constantIbLb1EES19_EEDaS14_S15_EUlS14_E_NS1_11comp_targetILNS1_3genE0ELNS1_11target_archE4294967295ELNS1_3gpuE0ELNS1_3repE0EEENS1_30default_config_static_selectorELNS0_4arch9wavefront6targetE1EEEvT1_: ; @_ZN7rocprim17ROCPRIM_400000_NS6detail17trampoline_kernelINS0_14default_configENS1_25partition_config_selectorILNS1_17partition_subalgoE0EsNS0_10empty_typeEbEEZZNS1_14partition_implILS5_0ELb0ES3_jN6thrust23THRUST_200600_302600_NS6detail15normal_iteratorINSA_10device_ptrIsEEEEPS6_SG_NS0_5tupleIJNSA_16discard_iteratorINSA_11use_defaultEEESK_EEENSH_IJSG_SG_EEES6_PlJ7is_evenIsEEEE10hipError_tPvRmT3_T4_T5_T6_T7_T9_mT8_P12ihipStream_tbDpT10_ENKUlT_T0_E_clISt17integral_constantIbLb1EES19_EEDaS14_S15_EUlS14_E_NS1_11comp_targetILNS1_3genE0ELNS1_11target_archE4294967295ELNS1_3gpuE0ELNS1_3repE0EEENS1_30default_config_static_selectorELNS0_4arch9wavefront6targetE1EEEvT1_
; %bb.0:
	.section	.rodata,"a",@progbits
	.p2align	6, 0x0
	.amdhsa_kernel _ZN7rocprim17ROCPRIM_400000_NS6detail17trampoline_kernelINS0_14default_configENS1_25partition_config_selectorILNS1_17partition_subalgoE0EsNS0_10empty_typeEbEEZZNS1_14partition_implILS5_0ELb0ES3_jN6thrust23THRUST_200600_302600_NS6detail15normal_iteratorINSA_10device_ptrIsEEEEPS6_SG_NS0_5tupleIJNSA_16discard_iteratorINSA_11use_defaultEEESK_EEENSH_IJSG_SG_EEES6_PlJ7is_evenIsEEEE10hipError_tPvRmT3_T4_T5_T6_T7_T9_mT8_P12ihipStream_tbDpT10_ENKUlT_T0_E_clISt17integral_constantIbLb1EES19_EEDaS14_S15_EUlS14_E_NS1_11comp_targetILNS1_3genE0ELNS1_11target_archE4294967295ELNS1_3gpuE0ELNS1_3repE0EEENS1_30default_config_static_selectorELNS0_4arch9wavefront6targetE1EEEvT1_
		.amdhsa_group_segment_fixed_size 0
		.amdhsa_private_segment_fixed_size 0
		.amdhsa_kernarg_size 152
		.amdhsa_user_sgpr_count 2
		.amdhsa_user_sgpr_dispatch_ptr 0
		.amdhsa_user_sgpr_queue_ptr 0
		.amdhsa_user_sgpr_kernarg_segment_ptr 1
		.amdhsa_user_sgpr_dispatch_id 0
		.amdhsa_user_sgpr_kernarg_preload_length 0
		.amdhsa_user_sgpr_kernarg_preload_offset 0
		.amdhsa_user_sgpr_private_segment_size 0
		.amdhsa_uses_dynamic_stack 0
		.amdhsa_enable_private_segment 0
		.amdhsa_system_sgpr_workgroup_id_x 1
		.amdhsa_system_sgpr_workgroup_id_y 0
		.amdhsa_system_sgpr_workgroup_id_z 0
		.amdhsa_system_sgpr_workgroup_info 0
		.amdhsa_system_vgpr_workitem_id 0
		.amdhsa_next_free_vgpr 1
		.amdhsa_next_free_sgpr 0
		.amdhsa_accum_offset 4
		.amdhsa_reserve_vcc 0
		.amdhsa_float_round_mode_32 0
		.amdhsa_float_round_mode_16_64 0
		.amdhsa_float_denorm_mode_32 3
		.amdhsa_float_denorm_mode_16_64 3
		.amdhsa_dx10_clamp 1
		.amdhsa_ieee_mode 1
		.amdhsa_fp16_overflow 0
		.amdhsa_tg_split 0
		.amdhsa_exception_fp_ieee_invalid_op 0
		.amdhsa_exception_fp_denorm_src 0
		.amdhsa_exception_fp_ieee_div_zero 0
		.amdhsa_exception_fp_ieee_overflow 0
		.amdhsa_exception_fp_ieee_underflow 0
		.amdhsa_exception_fp_ieee_inexact 0
		.amdhsa_exception_int_div_zero 0
	.end_amdhsa_kernel
	.section	.text._ZN7rocprim17ROCPRIM_400000_NS6detail17trampoline_kernelINS0_14default_configENS1_25partition_config_selectorILNS1_17partition_subalgoE0EsNS0_10empty_typeEbEEZZNS1_14partition_implILS5_0ELb0ES3_jN6thrust23THRUST_200600_302600_NS6detail15normal_iteratorINSA_10device_ptrIsEEEEPS6_SG_NS0_5tupleIJNSA_16discard_iteratorINSA_11use_defaultEEESK_EEENSH_IJSG_SG_EEES6_PlJ7is_evenIsEEEE10hipError_tPvRmT3_T4_T5_T6_T7_T9_mT8_P12ihipStream_tbDpT10_ENKUlT_T0_E_clISt17integral_constantIbLb1EES19_EEDaS14_S15_EUlS14_E_NS1_11comp_targetILNS1_3genE0ELNS1_11target_archE4294967295ELNS1_3gpuE0ELNS1_3repE0EEENS1_30default_config_static_selectorELNS0_4arch9wavefront6targetE1EEEvT1_,"axG",@progbits,_ZN7rocprim17ROCPRIM_400000_NS6detail17trampoline_kernelINS0_14default_configENS1_25partition_config_selectorILNS1_17partition_subalgoE0EsNS0_10empty_typeEbEEZZNS1_14partition_implILS5_0ELb0ES3_jN6thrust23THRUST_200600_302600_NS6detail15normal_iteratorINSA_10device_ptrIsEEEEPS6_SG_NS0_5tupleIJNSA_16discard_iteratorINSA_11use_defaultEEESK_EEENSH_IJSG_SG_EEES6_PlJ7is_evenIsEEEE10hipError_tPvRmT3_T4_T5_T6_T7_T9_mT8_P12ihipStream_tbDpT10_ENKUlT_T0_E_clISt17integral_constantIbLb1EES19_EEDaS14_S15_EUlS14_E_NS1_11comp_targetILNS1_3genE0ELNS1_11target_archE4294967295ELNS1_3gpuE0ELNS1_3repE0EEENS1_30default_config_static_selectorELNS0_4arch9wavefront6targetE1EEEvT1_,comdat
.Lfunc_end2787:
	.size	_ZN7rocprim17ROCPRIM_400000_NS6detail17trampoline_kernelINS0_14default_configENS1_25partition_config_selectorILNS1_17partition_subalgoE0EsNS0_10empty_typeEbEEZZNS1_14partition_implILS5_0ELb0ES3_jN6thrust23THRUST_200600_302600_NS6detail15normal_iteratorINSA_10device_ptrIsEEEEPS6_SG_NS0_5tupleIJNSA_16discard_iteratorINSA_11use_defaultEEESK_EEENSH_IJSG_SG_EEES6_PlJ7is_evenIsEEEE10hipError_tPvRmT3_T4_T5_T6_T7_T9_mT8_P12ihipStream_tbDpT10_ENKUlT_T0_E_clISt17integral_constantIbLb1EES19_EEDaS14_S15_EUlS14_E_NS1_11comp_targetILNS1_3genE0ELNS1_11target_archE4294967295ELNS1_3gpuE0ELNS1_3repE0EEENS1_30default_config_static_selectorELNS0_4arch9wavefront6targetE1EEEvT1_, .Lfunc_end2787-_ZN7rocprim17ROCPRIM_400000_NS6detail17trampoline_kernelINS0_14default_configENS1_25partition_config_selectorILNS1_17partition_subalgoE0EsNS0_10empty_typeEbEEZZNS1_14partition_implILS5_0ELb0ES3_jN6thrust23THRUST_200600_302600_NS6detail15normal_iteratorINSA_10device_ptrIsEEEEPS6_SG_NS0_5tupleIJNSA_16discard_iteratorINSA_11use_defaultEEESK_EEENSH_IJSG_SG_EEES6_PlJ7is_evenIsEEEE10hipError_tPvRmT3_T4_T5_T6_T7_T9_mT8_P12ihipStream_tbDpT10_ENKUlT_T0_E_clISt17integral_constantIbLb1EES19_EEDaS14_S15_EUlS14_E_NS1_11comp_targetILNS1_3genE0ELNS1_11target_archE4294967295ELNS1_3gpuE0ELNS1_3repE0EEENS1_30default_config_static_selectorELNS0_4arch9wavefront6targetE1EEEvT1_
                                        ; -- End function
	.section	.AMDGPU.csdata,"",@progbits
; Kernel info:
; codeLenInByte = 0
; NumSgprs: 6
; NumVgprs: 0
; NumAgprs: 0
; TotalNumVgprs: 0
; ScratchSize: 0
; MemoryBound: 0
; FloatMode: 240
; IeeeMode: 1
; LDSByteSize: 0 bytes/workgroup (compile time only)
; SGPRBlocks: 0
; VGPRBlocks: 0
; NumSGPRsForWavesPerEU: 6
; NumVGPRsForWavesPerEU: 1
; AccumOffset: 4
; Occupancy: 8
; WaveLimiterHint : 0
; COMPUTE_PGM_RSRC2:SCRATCH_EN: 0
; COMPUTE_PGM_RSRC2:USER_SGPR: 2
; COMPUTE_PGM_RSRC2:TRAP_HANDLER: 0
; COMPUTE_PGM_RSRC2:TGID_X_EN: 1
; COMPUTE_PGM_RSRC2:TGID_Y_EN: 0
; COMPUTE_PGM_RSRC2:TGID_Z_EN: 0
; COMPUTE_PGM_RSRC2:TIDIG_COMP_CNT: 0
; COMPUTE_PGM_RSRC3_GFX90A:ACCUM_OFFSET: 0
; COMPUTE_PGM_RSRC3_GFX90A:TG_SPLIT: 0
	.section	.text._ZN7rocprim17ROCPRIM_400000_NS6detail17trampoline_kernelINS0_14default_configENS1_25partition_config_selectorILNS1_17partition_subalgoE0EsNS0_10empty_typeEbEEZZNS1_14partition_implILS5_0ELb0ES3_jN6thrust23THRUST_200600_302600_NS6detail15normal_iteratorINSA_10device_ptrIsEEEEPS6_SG_NS0_5tupleIJNSA_16discard_iteratorINSA_11use_defaultEEESK_EEENSH_IJSG_SG_EEES6_PlJ7is_evenIsEEEE10hipError_tPvRmT3_T4_T5_T6_T7_T9_mT8_P12ihipStream_tbDpT10_ENKUlT_T0_E_clISt17integral_constantIbLb1EES19_EEDaS14_S15_EUlS14_E_NS1_11comp_targetILNS1_3genE5ELNS1_11target_archE942ELNS1_3gpuE9ELNS1_3repE0EEENS1_30default_config_static_selectorELNS0_4arch9wavefront6targetE1EEEvT1_,"axG",@progbits,_ZN7rocprim17ROCPRIM_400000_NS6detail17trampoline_kernelINS0_14default_configENS1_25partition_config_selectorILNS1_17partition_subalgoE0EsNS0_10empty_typeEbEEZZNS1_14partition_implILS5_0ELb0ES3_jN6thrust23THRUST_200600_302600_NS6detail15normal_iteratorINSA_10device_ptrIsEEEEPS6_SG_NS0_5tupleIJNSA_16discard_iteratorINSA_11use_defaultEEESK_EEENSH_IJSG_SG_EEES6_PlJ7is_evenIsEEEE10hipError_tPvRmT3_T4_T5_T6_T7_T9_mT8_P12ihipStream_tbDpT10_ENKUlT_T0_E_clISt17integral_constantIbLb1EES19_EEDaS14_S15_EUlS14_E_NS1_11comp_targetILNS1_3genE5ELNS1_11target_archE942ELNS1_3gpuE9ELNS1_3repE0EEENS1_30default_config_static_selectorELNS0_4arch9wavefront6targetE1EEEvT1_,comdat
	.protected	_ZN7rocprim17ROCPRIM_400000_NS6detail17trampoline_kernelINS0_14default_configENS1_25partition_config_selectorILNS1_17partition_subalgoE0EsNS0_10empty_typeEbEEZZNS1_14partition_implILS5_0ELb0ES3_jN6thrust23THRUST_200600_302600_NS6detail15normal_iteratorINSA_10device_ptrIsEEEEPS6_SG_NS0_5tupleIJNSA_16discard_iteratorINSA_11use_defaultEEESK_EEENSH_IJSG_SG_EEES6_PlJ7is_evenIsEEEE10hipError_tPvRmT3_T4_T5_T6_T7_T9_mT8_P12ihipStream_tbDpT10_ENKUlT_T0_E_clISt17integral_constantIbLb1EES19_EEDaS14_S15_EUlS14_E_NS1_11comp_targetILNS1_3genE5ELNS1_11target_archE942ELNS1_3gpuE9ELNS1_3repE0EEENS1_30default_config_static_selectorELNS0_4arch9wavefront6targetE1EEEvT1_ ; -- Begin function _ZN7rocprim17ROCPRIM_400000_NS6detail17trampoline_kernelINS0_14default_configENS1_25partition_config_selectorILNS1_17partition_subalgoE0EsNS0_10empty_typeEbEEZZNS1_14partition_implILS5_0ELb0ES3_jN6thrust23THRUST_200600_302600_NS6detail15normal_iteratorINSA_10device_ptrIsEEEEPS6_SG_NS0_5tupleIJNSA_16discard_iteratorINSA_11use_defaultEEESK_EEENSH_IJSG_SG_EEES6_PlJ7is_evenIsEEEE10hipError_tPvRmT3_T4_T5_T6_T7_T9_mT8_P12ihipStream_tbDpT10_ENKUlT_T0_E_clISt17integral_constantIbLb1EES19_EEDaS14_S15_EUlS14_E_NS1_11comp_targetILNS1_3genE5ELNS1_11target_archE942ELNS1_3gpuE9ELNS1_3repE0EEENS1_30default_config_static_selectorELNS0_4arch9wavefront6targetE1EEEvT1_
	.globl	_ZN7rocprim17ROCPRIM_400000_NS6detail17trampoline_kernelINS0_14default_configENS1_25partition_config_selectorILNS1_17partition_subalgoE0EsNS0_10empty_typeEbEEZZNS1_14partition_implILS5_0ELb0ES3_jN6thrust23THRUST_200600_302600_NS6detail15normal_iteratorINSA_10device_ptrIsEEEEPS6_SG_NS0_5tupleIJNSA_16discard_iteratorINSA_11use_defaultEEESK_EEENSH_IJSG_SG_EEES6_PlJ7is_evenIsEEEE10hipError_tPvRmT3_T4_T5_T6_T7_T9_mT8_P12ihipStream_tbDpT10_ENKUlT_T0_E_clISt17integral_constantIbLb1EES19_EEDaS14_S15_EUlS14_E_NS1_11comp_targetILNS1_3genE5ELNS1_11target_archE942ELNS1_3gpuE9ELNS1_3repE0EEENS1_30default_config_static_selectorELNS0_4arch9wavefront6targetE1EEEvT1_
	.p2align	8
	.type	_ZN7rocprim17ROCPRIM_400000_NS6detail17trampoline_kernelINS0_14default_configENS1_25partition_config_selectorILNS1_17partition_subalgoE0EsNS0_10empty_typeEbEEZZNS1_14partition_implILS5_0ELb0ES3_jN6thrust23THRUST_200600_302600_NS6detail15normal_iteratorINSA_10device_ptrIsEEEEPS6_SG_NS0_5tupleIJNSA_16discard_iteratorINSA_11use_defaultEEESK_EEENSH_IJSG_SG_EEES6_PlJ7is_evenIsEEEE10hipError_tPvRmT3_T4_T5_T6_T7_T9_mT8_P12ihipStream_tbDpT10_ENKUlT_T0_E_clISt17integral_constantIbLb1EES19_EEDaS14_S15_EUlS14_E_NS1_11comp_targetILNS1_3genE5ELNS1_11target_archE942ELNS1_3gpuE9ELNS1_3repE0EEENS1_30default_config_static_selectorELNS0_4arch9wavefront6targetE1EEEvT1_,@function
_ZN7rocprim17ROCPRIM_400000_NS6detail17trampoline_kernelINS0_14default_configENS1_25partition_config_selectorILNS1_17partition_subalgoE0EsNS0_10empty_typeEbEEZZNS1_14partition_implILS5_0ELb0ES3_jN6thrust23THRUST_200600_302600_NS6detail15normal_iteratorINSA_10device_ptrIsEEEEPS6_SG_NS0_5tupleIJNSA_16discard_iteratorINSA_11use_defaultEEESK_EEENSH_IJSG_SG_EEES6_PlJ7is_evenIsEEEE10hipError_tPvRmT3_T4_T5_T6_T7_T9_mT8_P12ihipStream_tbDpT10_ENKUlT_T0_E_clISt17integral_constantIbLb1EES19_EEDaS14_S15_EUlS14_E_NS1_11comp_targetILNS1_3genE5ELNS1_11target_archE942ELNS1_3gpuE9ELNS1_3repE0EEENS1_30default_config_static_selectorELNS0_4arch9wavefront6targetE1EEEvT1_: ; @_ZN7rocprim17ROCPRIM_400000_NS6detail17trampoline_kernelINS0_14default_configENS1_25partition_config_selectorILNS1_17partition_subalgoE0EsNS0_10empty_typeEbEEZZNS1_14partition_implILS5_0ELb0ES3_jN6thrust23THRUST_200600_302600_NS6detail15normal_iteratorINSA_10device_ptrIsEEEEPS6_SG_NS0_5tupleIJNSA_16discard_iteratorINSA_11use_defaultEEESK_EEENSH_IJSG_SG_EEES6_PlJ7is_evenIsEEEE10hipError_tPvRmT3_T4_T5_T6_T7_T9_mT8_P12ihipStream_tbDpT10_ENKUlT_T0_E_clISt17integral_constantIbLb1EES19_EEDaS14_S15_EUlS14_E_NS1_11comp_targetILNS1_3genE5ELNS1_11target_archE942ELNS1_3gpuE9ELNS1_3repE0EEENS1_30default_config_static_selectorELNS0_4arch9wavefront6targetE1EEEvT1_
; %bb.0:
	s_load_dwordx2 s[2:3], s[0:1], 0x68
	s_load_dwordx4 s[20:23], s[0:1], 0x58
	s_load_dwordx2 s[24:25], s[0:1], 0x78
	v_cmp_eq_u32_e64 s[18:19], 0, v0
	s_and_saveexec_b64 s[4:5], s[18:19]
	s_cbranch_execz .LBB2788_4
; %bb.1:
	s_mov_b64 s[8:9], exec
	v_mbcnt_lo_u32_b32 v1, s8, 0
	v_mbcnt_hi_u32_b32 v1, s9, v1
	v_cmp_eq_u32_e32 vcc, 0, v1
                                        ; implicit-def: $vgpr2
	s_and_saveexec_b64 s[6:7], vcc
	s_cbranch_execz .LBB2788_3
; %bb.2:
	s_load_dwordx2 s[10:11], s[0:1], 0x88
	s_bcnt1_i32_b64 s8, s[8:9]
	v_mov_b32_e32 v2, 0
	v_mov_b32_e32 v3, s8
	s_waitcnt lgkmcnt(0)
	global_atomic_add v2, v2, v3, s[10:11] sc0
.LBB2788_3:
	s_or_b64 exec, exec, s[6:7]
	s_waitcnt vmcnt(0)
	v_readfirstlane_b32 s6, v2
	v_mov_b32_e32 v2, 0
	s_nop 0
	v_add_u32_e32 v1, s6, v1
	ds_write_b32 v2, v1
.LBB2788_4:
	s_or_b64 exec, exec, s[4:5]
	v_mov_b32_e32 v5, 0
	s_load_dwordx4 s[4:7], s[0:1], 0x8
	s_load_dword s8, s[0:1], 0x80
	s_waitcnt lgkmcnt(0)
	s_barrier
	ds_read_b32 v1, v5
	s_waitcnt lgkmcnt(0)
	s_barrier
	global_load_dwordx2 v[2:3], v5, s[22:23]
	s_lshl_b64 s[0:1], s[6:7], 1
	s_add_u32 s10, s4, s0
	s_movk_i32 s0, 0x3c00
	v_mul_lo_u32 v4, v1, s0
	s_mul_i32 s0, s8, 0x3c00
	s_addc_u32 s11, s5, s1
	s_add_i32 s1, s0, s6
	v_mov_b32_e32 v7, s3
	s_add_i32 s3, s8, -1
	s_sub_i32 s4, s2, s1
	s_add_u32 s0, s6, s0
	v_readfirstlane_b32 s30, v1
	s_addc_u32 s1, s7, 0
	s_cmp_eq_u32 s30, s3
	v_mov_b32_e32 v6, s2
	s_cselect_b64 s[22:23], -1, 0
	s_cmp_lg_u32 s30, s3
	v_cmp_lt_u64_e32 vcc, s[0:1], v[6:7]
	s_cselect_b64 s[0:1], -1, 0
	s_or_b64 s[0:1], vcc, s[0:1]
	v_lshlrev_b64 v[6:7], 1, v[4:5]
	v_lshl_add_u64 v[6:7], s[10:11], 0, v[6:7]
	s_mov_b64 s[2:3], -1
	s_and_b64 vcc, exec, s[0:1]
	v_lshlrev_b32_e32 v4, 1, v0
	s_cbranch_vccz .LBB2788_6
; %bb.5:
	v_lshl_add_u64 v[8:9], v[6:7], 0, v[4:5]
	v_add_co_u32_e32 v10, vcc, 0x1000, v8
	s_mov_b64 s[2:3], 0
	s_nop 0
	v_addc_co_u32_e32 v11, vcc, 0, v9, vcc
	flat_load_ushort v1, v[8:9]
	flat_load_ushort v5, v[8:9] offset:1024
	flat_load_ushort v14, v[8:9] offset:2048
	flat_load_ushort v15, v[8:9] offset:3072
	flat_load_ushort v16, v[10:11]
	flat_load_ushort v17, v[10:11] offset:1024
	flat_load_ushort v18, v[10:11] offset:2048
	flat_load_ushort v19, v[10:11] offset:3072
	v_add_co_u32_e32 v10, vcc, 0x2000, v8
	s_nop 1
	v_addc_co_u32_e32 v11, vcc, 0, v9, vcc
	v_add_co_u32_e32 v12, vcc, 0x3000, v8
	s_nop 1
	v_addc_co_u32_e32 v13, vcc, 0, v9, vcc
	flat_load_ushort v20, v[10:11]
	flat_load_ushort v21, v[10:11] offset:1024
	flat_load_ushort v22, v[10:11] offset:2048
	flat_load_ushort v23, v[10:11] offset:3072
	flat_load_ushort v24, v[12:13]
	flat_load_ushort v25, v[12:13] offset:1024
	flat_load_ushort v26, v[12:13] offset:2048
	flat_load_ushort v27, v[12:13] offset:3072
	v_add_co_u32_e32 v10, vcc, 0x4000, v8
	s_nop 1
	v_addc_co_u32_e32 v11, vcc, 0, v9, vcc
	v_add_co_u32_e32 v12, vcc, 0x5000, v8
	;; [unrolled: 14-line block ×3, first 2 shown]
	s_nop 1
	v_addc_co_u32_e32 v9, vcc, 0, v9, vcc
	flat_load_ushort v12, v[10:11]
	flat_load_ushort v13, v[10:11] offset:1024
	flat_load_ushort v36, v[10:11] offset:2048
	;; [unrolled: 1-line block ×3, first 2 shown]
	flat_load_ushort v38, v[8:9]
	flat_load_ushort v39, v[8:9] offset:1024
	s_waitcnt vmcnt(0) lgkmcnt(0)
	ds_write_b16 v4, v1
	ds_write_b16 v4, v5 offset:1024
	ds_write_b16 v4, v14 offset:2048
	;; [unrolled: 1-line block ×29, first 2 shown]
	s_waitcnt lgkmcnt(0)
	s_barrier
.LBB2788_6:
	s_andn2_b64 vcc, exec, s[2:3]
	s_addk_i32 s4, 0x3c00
	s_cbranch_vccnz .LBB2788_68
; %bb.7:
	v_cmp_gt_u32_e32 vcc, s4, v0
                                        ; implicit-def: $vgpr1
	s_and_saveexec_b64 s[2:3], vcc
	s_cbranch_execz .LBB2788_9
; %bb.8:
	v_mov_b32_e32 v5, 0
	v_lshl_add_u64 v[8:9], v[6:7], 0, v[4:5]
	flat_load_ushort v1, v[8:9]
.LBB2788_9:
	s_or_b64 exec, exec, s[2:3]
	v_or_b32_e32 v5, 0x200, v0
	v_cmp_gt_u32_e32 vcc, s4, v5
                                        ; implicit-def: $vgpr8
	s_and_saveexec_b64 s[2:3], vcc
	s_cbranch_execz .LBB2788_11
; %bb.10:
	v_mov_b32_e32 v5, 0
	v_lshl_add_u64 v[8:9], v[6:7], 0, v[4:5]
	flat_load_ushort v8, v[8:9] offset:1024
.LBB2788_11:
	s_or_b64 exec, exec, s[2:3]
	v_or_b32_e32 v5, 0x400, v0
	v_cmp_gt_u32_e32 vcc, s4, v5
                                        ; implicit-def: $vgpr9
	s_and_saveexec_b64 s[2:3], vcc
	s_cbranch_execz .LBB2788_13
; %bb.12:
	v_mov_b32_e32 v5, 0
	v_lshl_add_u64 v[10:11], v[6:7], 0, v[4:5]
	flat_load_ushort v9, v[10:11] offset:2048
.LBB2788_13:
	s_or_b64 exec, exec, s[2:3]
	v_or_b32_e32 v5, 0x600, v0
	v_cmp_gt_u32_e32 vcc, s4, v5
                                        ; implicit-def: $vgpr5
	s_and_saveexec_b64 s[2:3], vcc
	s_cbranch_execz .LBB2788_15
; %bb.14:
	v_mov_b32_e32 v5, 0
	v_lshl_add_u64 v[10:11], v[6:7], 0, v[4:5]
	flat_load_ushort v5, v[10:11] offset:3072
.LBB2788_15:
	s_or_b64 exec, exec, s[2:3]
	v_or_b32_e32 v11, 0x800, v0
	v_cmp_gt_u32_e32 vcc, s4, v11
                                        ; implicit-def: $vgpr10
	s_and_saveexec_b64 s[2:3], vcc
	s_cbranch_execz .LBB2788_17
; %bb.16:
	v_lshlrev_b32_e32 v10, 1, v11
	v_mov_b32_e32 v11, 0
	v_lshl_add_u64 v[10:11], v[6:7], 0, v[10:11]
	flat_load_ushort v10, v[10:11]
.LBB2788_17:
	s_or_b64 exec, exec, s[2:3]
	v_or_b32_e32 v12, 0xa00, v0
	v_cmp_gt_u32_e32 vcc, s4, v12
                                        ; implicit-def: $vgpr11
	s_and_saveexec_b64 s[2:3], vcc
	s_cbranch_execz .LBB2788_19
; %bb.18:
	v_lshlrev_b32_e32 v12, 1, v12
	v_mov_b32_e32 v13, 0
	v_lshl_add_u64 v[12:13], v[6:7], 0, v[12:13]
	flat_load_ushort v11, v[12:13]
.LBB2788_19:
	s_or_b64 exec, exec, s[2:3]
	v_or_b32_e32 v13, 0xc00, v0
	v_cmp_gt_u32_e32 vcc, s4, v13
                                        ; implicit-def: $vgpr12
	s_and_saveexec_b64 s[2:3], vcc
	s_cbranch_execz .LBB2788_21
; %bb.20:
	v_lshlrev_b32_e32 v12, 1, v13
	v_mov_b32_e32 v13, 0
	v_lshl_add_u64 v[12:13], v[6:7], 0, v[12:13]
	flat_load_ushort v12, v[12:13]
.LBB2788_21:
	s_or_b64 exec, exec, s[2:3]
	v_or_b32_e32 v14, 0xe00, v0
	v_cmp_gt_u32_e32 vcc, s4, v14
                                        ; implicit-def: $vgpr13
	s_and_saveexec_b64 s[2:3], vcc
	s_cbranch_execz .LBB2788_23
; %bb.22:
	v_lshlrev_b32_e32 v14, 1, v14
	v_mov_b32_e32 v15, 0
	v_lshl_add_u64 v[14:15], v[6:7], 0, v[14:15]
	flat_load_ushort v13, v[14:15]
.LBB2788_23:
	s_or_b64 exec, exec, s[2:3]
	v_or_b32_e32 v15, 0x1000, v0
	v_cmp_gt_u32_e32 vcc, s4, v15
                                        ; implicit-def: $vgpr14
	s_and_saveexec_b64 s[2:3], vcc
	s_cbranch_execz .LBB2788_25
; %bb.24:
	v_lshlrev_b32_e32 v14, 1, v15
	v_mov_b32_e32 v15, 0
	v_lshl_add_u64 v[14:15], v[6:7], 0, v[14:15]
	flat_load_ushort v14, v[14:15]
.LBB2788_25:
	s_or_b64 exec, exec, s[2:3]
	v_or_b32_e32 v16, 0x1200, v0
	v_cmp_gt_u32_e32 vcc, s4, v16
                                        ; implicit-def: $vgpr15
	s_and_saveexec_b64 s[2:3], vcc
	s_cbranch_execz .LBB2788_27
; %bb.26:
	v_lshlrev_b32_e32 v16, 1, v16
	v_mov_b32_e32 v17, 0
	v_lshl_add_u64 v[16:17], v[6:7], 0, v[16:17]
	flat_load_ushort v15, v[16:17]
.LBB2788_27:
	s_or_b64 exec, exec, s[2:3]
	v_or_b32_e32 v17, 0x1400, v0
	v_cmp_gt_u32_e32 vcc, s4, v17
                                        ; implicit-def: $vgpr16
	s_and_saveexec_b64 s[2:3], vcc
	s_cbranch_execz .LBB2788_29
; %bb.28:
	v_lshlrev_b32_e32 v16, 1, v17
	v_mov_b32_e32 v17, 0
	v_lshl_add_u64 v[16:17], v[6:7], 0, v[16:17]
	flat_load_ushort v16, v[16:17]
.LBB2788_29:
	s_or_b64 exec, exec, s[2:3]
	v_or_b32_e32 v18, 0x1600, v0
	v_cmp_gt_u32_e32 vcc, s4, v18
                                        ; implicit-def: $vgpr17
	s_and_saveexec_b64 s[2:3], vcc
	s_cbranch_execz .LBB2788_31
; %bb.30:
	v_lshlrev_b32_e32 v18, 1, v18
	v_mov_b32_e32 v19, 0
	v_lshl_add_u64 v[18:19], v[6:7], 0, v[18:19]
	flat_load_ushort v17, v[18:19]
.LBB2788_31:
	s_or_b64 exec, exec, s[2:3]
	v_or_b32_e32 v19, 0x1800, v0
	v_cmp_gt_u32_e32 vcc, s4, v19
                                        ; implicit-def: $vgpr18
	s_and_saveexec_b64 s[2:3], vcc
	s_cbranch_execz .LBB2788_33
; %bb.32:
	v_lshlrev_b32_e32 v18, 1, v19
	v_mov_b32_e32 v19, 0
	v_lshl_add_u64 v[18:19], v[6:7], 0, v[18:19]
	flat_load_ushort v18, v[18:19]
.LBB2788_33:
	s_or_b64 exec, exec, s[2:3]
	v_or_b32_e32 v20, 0x1a00, v0
	v_cmp_gt_u32_e32 vcc, s4, v20
                                        ; implicit-def: $vgpr19
	s_and_saveexec_b64 s[2:3], vcc
	s_cbranch_execz .LBB2788_35
; %bb.34:
	v_lshlrev_b32_e32 v20, 1, v20
	v_mov_b32_e32 v21, 0
	v_lshl_add_u64 v[20:21], v[6:7], 0, v[20:21]
	flat_load_ushort v19, v[20:21]
.LBB2788_35:
	s_or_b64 exec, exec, s[2:3]
	v_or_b32_e32 v21, 0x1c00, v0
	v_cmp_gt_u32_e32 vcc, s4, v21
                                        ; implicit-def: $vgpr20
	s_and_saveexec_b64 s[2:3], vcc
	s_cbranch_execz .LBB2788_37
; %bb.36:
	v_lshlrev_b32_e32 v20, 1, v21
	v_mov_b32_e32 v21, 0
	v_lshl_add_u64 v[20:21], v[6:7], 0, v[20:21]
	flat_load_ushort v20, v[20:21]
.LBB2788_37:
	s_or_b64 exec, exec, s[2:3]
	v_or_b32_e32 v22, 0x1e00, v0
	v_cmp_gt_u32_e32 vcc, s4, v22
                                        ; implicit-def: $vgpr21
	s_and_saveexec_b64 s[2:3], vcc
	s_cbranch_execz .LBB2788_39
; %bb.38:
	v_lshlrev_b32_e32 v22, 1, v22
	v_mov_b32_e32 v23, 0
	v_lshl_add_u64 v[22:23], v[6:7], 0, v[22:23]
	flat_load_ushort v21, v[22:23]
.LBB2788_39:
	s_or_b64 exec, exec, s[2:3]
	v_or_b32_e32 v23, 0x2000, v0
	v_cmp_gt_u32_e32 vcc, s4, v23
                                        ; implicit-def: $vgpr22
	s_and_saveexec_b64 s[2:3], vcc
	s_cbranch_execz .LBB2788_41
; %bb.40:
	v_lshlrev_b32_e32 v22, 1, v23
	v_mov_b32_e32 v23, 0
	v_lshl_add_u64 v[22:23], v[6:7], 0, v[22:23]
	flat_load_ushort v22, v[22:23]
.LBB2788_41:
	s_or_b64 exec, exec, s[2:3]
	v_or_b32_e32 v24, 0x2200, v0
	v_cmp_gt_u32_e32 vcc, s4, v24
                                        ; implicit-def: $vgpr23
	s_and_saveexec_b64 s[2:3], vcc
	s_cbranch_execz .LBB2788_43
; %bb.42:
	v_lshlrev_b32_e32 v24, 1, v24
	v_mov_b32_e32 v25, 0
	v_lshl_add_u64 v[24:25], v[6:7], 0, v[24:25]
	flat_load_ushort v23, v[24:25]
.LBB2788_43:
	s_or_b64 exec, exec, s[2:3]
	v_or_b32_e32 v25, 0x2400, v0
	v_cmp_gt_u32_e32 vcc, s4, v25
                                        ; implicit-def: $vgpr24
	s_and_saveexec_b64 s[2:3], vcc
	s_cbranch_execz .LBB2788_45
; %bb.44:
	v_lshlrev_b32_e32 v24, 1, v25
	v_mov_b32_e32 v25, 0
	v_lshl_add_u64 v[24:25], v[6:7], 0, v[24:25]
	flat_load_ushort v24, v[24:25]
.LBB2788_45:
	s_or_b64 exec, exec, s[2:3]
	v_or_b32_e32 v26, 0x2600, v0
	v_cmp_gt_u32_e32 vcc, s4, v26
                                        ; implicit-def: $vgpr25
	s_and_saveexec_b64 s[2:3], vcc
	s_cbranch_execz .LBB2788_47
; %bb.46:
	v_lshlrev_b32_e32 v26, 1, v26
	v_mov_b32_e32 v27, 0
	v_lshl_add_u64 v[26:27], v[6:7], 0, v[26:27]
	flat_load_ushort v25, v[26:27]
.LBB2788_47:
	s_or_b64 exec, exec, s[2:3]
	v_or_b32_e32 v27, 0x2800, v0
	v_cmp_gt_u32_e32 vcc, s4, v27
                                        ; implicit-def: $vgpr26
	s_and_saveexec_b64 s[2:3], vcc
	s_cbranch_execz .LBB2788_49
; %bb.48:
	v_lshlrev_b32_e32 v26, 1, v27
	v_mov_b32_e32 v27, 0
	v_lshl_add_u64 v[26:27], v[6:7], 0, v[26:27]
	flat_load_ushort v26, v[26:27]
.LBB2788_49:
	s_or_b64 exec, exec, s[2:3]
	v_or_b32_e32 v28, 0x2a00, v0
	v_cmp_gt_u32_e32 vcc, s4, v28
                                        ; implicit-def: $vgpr27
	s_and_saveexec_b64 s[2:3], vcc
	s_cbranch_execz .LBB2788_51
; %bb.50:
	v_lshlrev_b32_e32 v28, 1, v28
	v_mov_b32_e32 v29, 0
	v_lshl_add_u64 v[28:29], v[6:7], 0, v[28:29]
	flat_load_ushort v27, v[28:29]
.LBB2788_51:
	s_or_b64 exec, exec, s[2:3]
	v_or_b32_e32 v29, 0x2c00, v0
	v_cmp_gt_u32_e32 vcc, s4, v29
                                        ; implicit-def: $vgpr28
	s_and_saveexec_b64 s[2:3], vcc
	s_cbranch_execz .LBB2788_53
; %bb.52:
	v_lshlrev_b32_e32 v28, 1, v29
	v_mov_b32_e32 v29, 0
	v_lshl_add_u64 v[28:29], v[6:7], 0, v[28:29]
	flat_load_ushort v28, v[28:29]
.LBB2788_53:
	s_or_b64 exec, exec, s[2:3]
	v_or_b32_e32 v30, 0x2e00, v0
	v_cmp_gt_u32_e32 vcc, s4, v30
                                        ; implicit-def: $vgpr29
	s_and_saveexec_b64 s[2:3], vcc
	s_cbranch_execz .LBB2788_55
; %bb.54:
	v_lshlrev_b32_e32 v30, 1, v30
	v_mov_b32_e32 v31, 0
	v_lshl_add_u64 v[30:31], v[6:7], 0, v[30:31]
	flat_load_ushort v29, v[30:31]
.LBB2788_55:
	s_or_b64 exec, exec, s[2:3]
	v_or_b32_e32 v31, 0x3000, v0
	v_cmp_gt_u32_e32 vcc, s4, v31
                                        ; implicit-def: $vgpr30
	s_and_saveexec_b64 s[2:3], vcc
	s_cbranch_execz .LBB2788_57
; %bb.56:
	v_lshlrev_b32_e32 v30, 1, v31
	v_mov_b32_e32 v31, 0
	v_lshl_add_u64 v[30:31], v[6:7], 0, v[30:31]
	flat_load_ushort v30, v[30:31]
.LBB2788_57:
	s_or_b64 exec, exec, s[2:3]
	v_or_b32_e32 v32, 0x3200, v0
	v_cmp_gt_u32_e32 vcc, s4, v32
                                        ; implicit-def: $vgpr31
	s_and_saveexec_b64 s[2:3], vcc
	s_cbranch_execz .LBB2788_59
; %bb.58:
	v_lshlrev_b32_e32 v32, 1, v32
	v_mov_b32_e32 v33, 0
	v_lshl_add_u64 v[32:33], v[6:7], 0, v[32:33]
	flat_load_ushort v31, v[32:33]
.LBB2788_59:
	s_or_b64 exec, exec, s[2:3]
	v_or_b32_e32 v33, 0x3400, v0
	v_cmp_gt_u32_e32 vcc, s4, v33
                                        ; implicit-def: $vgpr32
	s_and_saveexec_b64 s[2:3], vcc
	s_cbranch_execz .LBB2788_61
; %bb.60:
	v_lshlrev_b32_e32 v32, 1, v33
	v_mov_b32_e32 v33, 0
	v_lshl_add_u64 v[32:33], v[6:7], 0, v[32:33]
	flat_load_ushort v32, v[32:33]
.LBB2788_61:
	s_or_b64 exec, exec, s[2:3]
	v_or_b32_e32 v34, 0x3600, v0
	v_cmp_gt_u32_e32 vcc, s4, v34
                                        ; implicit-def: $vgpr33
	s_and_saveexec_b64 s[2:3], vcc
	s_cbranch_execz .LBB2788_63
; %bb.62:
	v_lshlrev_b32_e32 v34, 1, v34
	v_mov_b32_e32 v35, 0
	v_lshl_add_u64 v[34:35], v[6:7], 0, v[34:35]
	flat_load_ushort v33, v[34:35]
.LBB2788_63:
	s_or_b64 exec, exec, s[2:3]
	v_or_b32_e32 v35, 0x3800, v0
	v_cmp_gt_u32_e32 vcc, s4, v35
                                        ; implicit-def: $vgpr34
	s_and_saveexec_b64 s[2:3], vcc
	s_cbranch_execz .LBB2788_65
; %bb.64:
	v_lshlrev_b32_e32 v34, 1, v35
	v_mov_b32_e32 v35, 0
	v_lshl_add_u64 v[34:35], v[6:7], 0, v[34:35]
	flat_load_ushort v34, v[34:35]
.LBB2788_65:
	s_or_b64 exec, exec, s[2:3]
	v_or_b32_e32 v36, 0x3a00, v0
	v_cmp_gt_u32_e32 vcc, s4, v36
                                        ; implicit-def: $vgpr35
	s_and_saveexec_b64 s[2:3], vcc
	s_cbranch_execz .LBB2788_67
; %bb.66:
	v_lshlrev_b32_e32 v36, 1, v36
	v_mov_b32_e32 v37, 0
	v_lshl_add_u64 v[6:7], v[6:7], 0, v[36:37]
	flat_load_ushort v35, v[6:7]
.LBB2788_67:
	s_or_b64 exec, exec, s[2:3]
	s_waitcnt vmcnt(0) lgkmcnt(0)
	ds_write_b16 v4, v1
	ds_write_b16 v4, v8 offset:1024
	ds_write_b16 v4, v9 offset:2048
	;; [unrolled: 1-line block ×29, first 2 shown]
	s_waitcnt lgkmcnt(0)
	s_barrier
.LBB2788_68:
	v_mul_u32_u24_e32 v41, 30, v0
	v_lshlrev_b32_e32 v10, 1, v41
	ds_read_b32 v28, v10 offset:56
	ds_read2_b32 v[4:5], v10 offset0:12 offset1:13
	ds_read2_b32 v[6:7], v10 offset0:10 offset1:11
	;; [unrolled: 1-line block ×3, first 2 shown]
	ds_read2_b32 v[16:17], v10 offset1:1
	ds_read2_b32 v[14:15], v10 offset0:2 offset1:3
	ds_read2_b32 v[12:13], v10 offset0:4 offset1:5
	;; [unrolled: 1-line block ×3, first 2 shown]
	s_waitcnt lgkmcnt(7)
	v_lshrrev_b32_e32 v1, 16, v28
	s_waitcnt lgkmcnt(6)
	v_lshrrev_b32_e32 v30, 16, v4
	v_lshrrev_b32_e32 v29, 16, v5
	s_waitcnt lgkmcnt(5)
	v_lshrrev_b32_e32 v32, 16, v6
	;; [unrolled: 3-line block ×6, first 2 shown]
	v_lshrrev_b32_e32 v35, 16, v11
	v_lshrrev_b32_e32 v34, 16, v8
	v_lshrrev_b32_e32 v33, 16, v9
	s_andn2_b64 vcc, exec, s[0:1]
	v_xor_b32_e32 v93, -1, v16
	v_xor_b32_e32 v92, -1, v43
	;; [unrolled: 1-line block ×30, first 2 shown]
	s_barrier
	s_cbranch_vccnz .LBB2788_70
; %bb.69:
	v_and_b32_e32 v73, 1, v93
	v_and_b32_e32 v72, 1, v92
	;; [unrolled: 1-line block ×30, first 2 shown]
	s_cbranch_execz .LBB2788_71
	s_branch .LBB2788_72
.LBB2788_70:
                                        ; implicit-def: $vgpr73
                                        ; implicit-def: $vgpr72
                                        ; implicit-def: $vgpr71
                                        ; implicit-def: $vgpr70
                                        ; implicit-def: $vgpr69
                                        ; implicit-def: $vgpr68
                                        ; implicit-def: $vgpr67
                                        ; implicit-def: $vgpr66
                                        ; implicit-def: $vgpr65
                                        ; implicit-def: $vgpr64
                                        ; implicit-def: $vgpr63
                                        ; implicit-def: $vgpr62
                                        ; implicit-def: $vgpr61
                                        ; implicit-def: $vgpr60
                                        ; implicit-def: $vgpr59
                                        ; implicit-def: $vgpr58
                                        ; implicit-def: $vgpr57
                                        ; implicit-def: $vgpr56
                                        ; implicit-def: $vgpr55
                                        ; implicit-def: $vgpr54
                                        ; implicit-def: $vgpr53
                                        ; implicit-def: $vgpr52
                                        ; implicit-def: $vgpr51
                                        ; implicit-def: $vgpr50
                                        ; implicit-def: $vgpr49
                                        ; implicit-def: $vgpr48
                                        ; implicit-def: $vgpr47
                                        ; implicit-def: $vgpr46
                                        ; implicit-def: $vgpr44
                                        ; implicit-def: $vgpr45
.LBB2788_71:
	v_or_b32_e32 v53, 1, v41
	v_cmp_gt_u32_e32 vcc, s4, v41
	v_add_u32_e32 v54, 2, v41
	v_add_u32_e32 v55, 3, v41
	v_cndmask_b32_e64 v63, 0, 1, vcc
	v_cmp_gt_u32_e32 vcc, s4, v53
	v_add_u32_e32 v56, 4, v41
	v_add_u32_e32 v57, 5, v41
	v_cndmask_b32_e64 v53, 0, 1, vcc
	v_cmp_gt_u32_e32 vcc, s4, v54
	v_and_b32_e32 v72, v53, v92
	v_add_u32_e32 v58, 6, v41
	v_cndmask_b32_e64 v53, 0, 1, vcc
	v_cmp_gt_u32_e32 vcc, s4, v55
	v_and_b32_e32 v71, v53, v91
	;; [unrolled: 4-line block ×9, first 2 shown]
	v_and_b32_e32 v73, v63, v93
	v_cndmask_b32_e64 v53, 0, 1, vcc
	v_cmp_gt_u32_e32 vcc, s4, v94
	v_and_b32_e32 v63, v53, v83
	v_add_u32_e32 v97, 14, v41
	v_cndmask_b32_e64 v53, 0, 1, vcc
	v_cmp_gt_u32_e32 vcc, s4, v95
	v_and_b32_e32 v62, v53, v82
	v_add_u32_e32 v98, 15, v41
	v_cndmask_b32_e64 v53, 0, 1, vcc
	v_cmp_gt_u32_e32 vcc, s4, v96
	v_and_b32_e32 v61, v53, v81
	v_add_u32_e32 v99, 16, v41
	v_cndmask_b32_e64 v53, 0, 1, vcc
	v_cmp_gt_u32_e32 vcc, s4, v97
	v_and_b32_e32 v60, v53, v80
	v_add_u32_e32 v100, 17, v41
	v_cndmask_b32_e64 v53, 0, 1, vcc
	v_cmp_gt_u32_e32 vcc, s4, v98
	v_and_b32_e32 v59, v53, v79
	v_add_u32_e32 v101, 18, v41
	v_cndmask_b32_e64 v53, 0, 1, vcc
	v_cmp_gt_u32_e32 vcc, s4, v99
	v_and_b32_e32 v58, v53, v78
	v_add_u32_e32 v102, 19, v41
	v_cndmask_b32_e64 v53, 0, 1, vcc
	v_cmp_gt_u32_e32 vcc, s4, v100
	v_and_b32_e32 v57, v53, v77
	v_add_u32_e32 v103, 20, v41
	v_cndmask_b32_e64 v53, 0, 1, vcc
	v_cmp_gt_u32_e32 vcc, s4, v101
	v_and_b32_e32 v56, v53, v76
	v_add_u32_e32 v52, 21, v41
	v_cndmask_b32_e64 v53, 0, 1, vcc
	v_cmp_gt_u32_e32 vcc, s4, v102
	v_and_b32_e32 v55, v53, v75
	v_add_u32_e32 v51, 22, v41
	v_cndmask_b32_e64 v53, 0, 1, vcc
	v_cmp_gt_u32_e32 vcc, s4, v103
	v_and_b32_e32 v54, v53, v74
	v_add_u32_e32 v50, 23, v41
	v_cndmask_b32_e64 v53, 0, 1, vcc
	v_cmp_gt_u32_e32 vcc, s4, v52
	v_and_b32_e32 v53, v53, v27
	v_add_u32_e32 v49, 24, v41
	v_cndmask_b32_e64 v27, 0, 1, vcc
	v_cmp_gt_u32_e32 vcc, s4, v51
	v_and_b32_e32 v52, v27, v26
	v_add_u32_e32 v48, 25, v41
	v_cndmask_b32_e64 v26, 0, 1, vcc
	v_cmp_gt_u32_e32 vcc, s4, v50
	v_and_b32_e32 v51, v26, v25
	v_add_u32_e32 v47, 26, v41
	v_cndmask_b32_e64 v25, 0, 1, vcc
	v_cmp_gt_u32_e32 vcc, s4, v49
	v_and_b32_e32 v50, v25, v24
	v_add_u32_e32 v46, 27, v41
	v_cndmask_b32_e64 v24, 0, 1, vcc
	v_cmp_gt_u32_e32 vcc, s4, v48
	v_and_b32_e32 v49, v24, v23
	v_add_u32_e32 v44, 28, v41
	v_cndmask_b32_e64 v23, 0, 1, vcc
	v_cmp_gt_u32_e32 vcc, s4, v47
	v_and_b32_e32 v48, v23, v22
	v_add_u32_e32 v45, 29, v41
	v_cndmask_b32_e64 v22, 0, 1, vcc
	v_cmp_gt_u32_e32 vcc, s4, v46
	v_and_b32_e32 v47, v22, v21
	s_nop 0
	v_cndmask_b32_e64 v21, 0, 1, vcc
	v_cmp_gt_u32_e32 vcc, s4, v44
	v_and_b32_e32 v46, v21, v20
	s_nop 0
	;; [unrolled: 4-line block ×3, first 2 shown]
	v_cndmask_b32_e64 v19, 0, 1, vcc
	v_and_b32_e32 v45, v19, v18
.LBB2788_72:
	v_and_b32_e32 v100, 0xff, v47
	v_and_b32_e32 v101, 0xff, v46
	v_add_u32_sdwa v18, v44, v45 dst_sel:DWORD dst_unused:UNUSED_PAD src0_sel:BYTE_0 src1_sel:BYTE_0
	v_and_b32_e32 v98, 0xff, v49
	v_and_b32_e32 v99, 0xff, v48
	v_add3_u32 v18, v18, v101, v100
	v_and_b32_e32 v96, 0xff, v51
	v_and_b32_e32 v97, 0xff, v50
	v_add3_u32 v18, v18, v99, v98
	;; [unrolled: 3-line block ×13, first 2 shown]
	v_add3_u32 v104, v18, v75, v74
	v_mbcnt_lo_u32_b32 v18, -1, 0
	v_mbcnt_hi_u32_b32 v102, -1, v18
	v_and_b32_e32 v18, 15, v102
	v_cmp_eq_u32_e64 s[14:15], 0, v18
	v_cmp_lt_u32_e64 s[12:13], 1, v18
	v_cmp_lt_u32_e64 s[10:11], 3, v18
	;; [unrolled: 1-line block ×3, first 2 shown]
	v_and_b32_e32 v18, 16, v102
	v_cmp_eq_u32_e64 s[6:7], 0, v18
	v_or_b32_e32 v18, 63, v0
	s_cmp_lg_u32 s30, 0
	v_cmp_lt_u32_e64 s[2:3], 31, v102
	v_lshrrev_b32_e32 v103, 6, v0
	v_cmp_eq_u32_e64 s[4:5], v18, v0
	s_cbranch_scc0 .LBB2788_103
; %bb.73:
	v_mov_b32_dpp v18, v104 row_shr:1 row_mask:0xf bank_mask:0xf
	v_cndmask_b32_e64 v18, v18, 0, s[14:15]
	v_add_u32_e32 v18, v18, v104
	s_nop 1
	v_mov_b32_dpp v19, v18 row_shr:2 row_mask:0xf bank_mask:0xf
	v_cndmask_b32_e64 v19, 0, v19, s[12:13]
	v_add_u32_e32 v18, v18, v19
	s_nop 1
	;; [unrolled: 4-line block ×4, first 2 shown]
	v_mov_b32_dpp v19, v18 row_bcast:15 row_mask:0xf bank_mask:0xf
	v_cndmask_b32_e64 v19, v19, 0, s[6:7]
	v_add_u32_e32 v18, v18, v19
	s_nop 1
	v_mov_b32_dpp v19, v18 row_bcast:31 row_mask:0xf bank_mask:0xf
	v_cndmask_b32_e64 v19, 0, v19, s[2:3]
	v_add_u32_e32 v18, v18, v19
	s_and_saveexec_b64 s[0:1], s[4:5]
	s_cbranch_execz .LBB2788_75
; %bb.74:
	v_lshlrev_b32_e32 v19, 2, v103
	ds_write_b32 v19, v18
.LBB2788_75:
	s_or_b64 exec, exec, s[0:1]
	v_cmp_gt_u32_e32 vcc, 8, v0
	s_waitcnt lgkmcnt(0)
	s_barrier
	s_and_saveexec_b64 s[0:1], vcc
	s_cbranch_execz .LBB2788_77
; %bb.76:
	v_lshlrev_b32_e32 v19, 2, v0
	ds_read_b32 v20, v19
	v_and_b32_e32 v21, 7, v102
	v_cmp_ne_u32_e32 vcc, 0, v21
	s_waitcnt lgkmcnt(0)
	v_mov_b32_dpp v22, v20 row_shr:1 row_mask:0xf bank_mask:0xf
	v_cndmask_b32_e32 v22, 0, v22, vcc
	v_add_u32_e32 v20, v22, v20
	v_cmp_lt_u32_e32 vcc, 1, v21
	s_nop 0
	v_mov_b32_dpp v22, v20 row_shr:2 row_mask:0xf bank_mask:0xf
	v_cndmask_b32_e32 v22, 0, v22, vcc
	v_add_u32_e32 v20, v20, v22
	v_cmp_lt_u32_e32 vcc, 3, v21
	s_nop 0
	v_mov_b32_dpp v22, v20 row_shr:4 row_mask:0xf bank_mask:0xf
	v_cndmask_b32_e32 v21, 0, v22, vcc
	v_add_u32_e32 v20, v20, v21
	ds_write_b32 v19, v20
.LBB2788_77:
	s_or_b64 exec, exec, s[0:1]
	v_cmp_gt_u32_e32 vcc, 64, v0
	v_cmp_lt_u32_e64 s[0:1], 63, v0
	s_waitcnt lgkmcnt(0)
	s_barrier
	s_waitcnt lgkmcnt(0)
                                        ; implicit-def: $vgpr105
	s_and_saveexec_b64 s[16:17], s[0:1]
	s_cbranch_execz .LBB2788_79
; %bb.78:
	v_lshl_add_u32 v19, v103, 2, -4
	ds_read_b32 v105, v19
	s_waitcnt lgkmcnt(0)
	v_add_u32_e32 v18, v105, v18
.LBB2788_79:
	s_or_b64 exec, exec, s[16:17]
	v_add_u32_e32 v19, -1, v102
	v_and_b32_e32 v20, 64, v102
	v_cmp_lt_i32_e64 s[0:1], v19, v20
	v_cmp_eq_u32_e64 s[16:17], 0, v102
	s_nop 0
	v_cndmask_b32_e64 v19, v19, v102, s[0:1]
	v_lshlrev_b32_e32 v19, 2, v19
	ds_bpermute_b32 v106, v19, v18
	s_and_saveexec_b64 s[0:1], vcc
	s_cbranch_execz .LBB2788_102
; %bb.80:
	v_mov_b32_e32 v27, 0
	ds_read_b32 v18, v27 offset:28
	s_and_saveexec_b64 s[26:27], s[16:17]
	s_cbranch_execz .LBB2788_82
; %bb.81:
	s_add_i32 s28, s30, 64
	s_mov_b32 s29, 0
	s_lshl_b64 s[28:29], s[28:29], 3
	s_add_u32 s28, s24, s28
	v_mov_b32_e32 v19, 1
	s_addc_u32 s29, s25, s29
	s_waitcnt lgkmcnt(0)
	global_store_dwordx2 v27, v[18:19], s[28:29] sc1
.LBB2788_82:
	s_or_b64 exec, exec, s[26:27]
	v_xad_u32 v20, v102, -1, s30
	v_add_u32_e32 v26, 64, v20
	v_lshl_add_u64 v[22:23], v[26:27], 3, s[24:25]
	global_load_dwordx2 v[24:25], v[22:23], off sc1
	s_waitcnt vmcnt(0)
	v_cmp_eq_u16_sdwa s[28:29], v25, v27 src0_sel:BYTE_0 src1_sel:DWORD
	s_and_saveexec_b64 s[26:27], s[28:29]
	s_cbranch_execz .LBB2788_88
; %bb.83:
	s_mov_b32 s31, 1
	s_mov_b64 s[28:29], 0
	v_mov_b32_e32 v19, 0
.LBB2788_84:                            ; =>This Loop Header: Depth=1
                                        ;     Child Loop BB2788_85 Depth 2
	s_max_u32 s33, s31, 1
.LBB2788_85:                            ;   Parent Loop BB2788_84 Depth=1
                                        ; =>  This Inner Loop Header: Depth=2
	s_add_i32 s33, s33, -1
	s_cmp_eq_u32 s33, 0
	s_sleep 1
	s_cbranch_scc0 .LBB2788_85
; %bb.86:                               ;   in Loop: Header=BB2788_84 Depth=1
	global_load_dwordx2 v[24:25], v[22:23], off sc1
	s_cmp_lt_u32 s31, 32
	s_cselect_b64 s[34:35], -1, 0
	s_cmp_lg_u64 s[34:35], 0
	s_addc_u32 s31, s31, 0
	s_waitcnt vmcnt(0)
	v_cmp_ne_u16_sdwa s[34:35], v25, v19 src0_sel:BYTE_0 src1_sel:DWORD
	s_or_b64 s[28:29], s[34:35], s[28:29]
	s_andn2_b64 exec, exec, s[28:29]
	s_cbranch_execnz .LBB2788_84
; %bb.87:
	s_or_b64 exec, exec, s[28:29]
.LBB2788_88:
	s_or_b64 exec, exec, s[26:27]
	v_and_b32_e32 v108, 63, v102
	v_mov_b32_e32 v107, 2
	v_cmp_ne_u32_e32 vcc, 63, v108
	v_cmp_eq_u16_sdwa s[26:27], v25, v107 src0_sel:BYTE_0 src1_sel:DWORD
	v_lshlrev_b64 v[22:23], v102, -1
	v_addc_co_u32_e32 v26, vcc, 0, v102, vcc
	v_and_b32_e32 v19, s27, v23
	v_lshlrev_b32_e32 v109, 2, v26
	v_or_b32_e32 v19, 0x80000000, v19
	ds_bpermute_b32 v26, v109, v24
	v_and_b32_e32 v21, s26, v22
	v_ffbl_b32_e32 v19, v19
	v_add_u32_e32 v19, 32, v19
	v_ffbl_b32_e32 v21, v21
	v_min_u32_e32 v19, v21, v19
	v_cmp_lt_u32_e32 vcc, v108, v19
	v_add_u32_e32 v111, 2, v108
	v_add_u32_e32 v113, 4, v108
	s_waitcnt lgkmcnt(0)
	v_cndmask_b32_e32 v21, 0, v26, vcc
	v_cmp_gt_u32_e32 vcc, 62, v108
	v_add_u32_e32 v21, v21, v24
	v_add_u32_e32 v115, 8, v108
	v_cndmask_b32_e64 v24, 0, 1, vcc
	v_lshlrev_b32_e32 v24, 1, v24
	v_add_lshl_u32 v110, v24, v102, 2
	ds_bpermute_b32 v24, v110, v21
	v_cmp_le_u32_e32 vcc, v111, v19
	v_add_u32_e32 v117, 16, v108
	v_add_u32_e32 v119, 32, v108
	s_waitcnt lgkmcnt(0)
	v_cndmask_b32_e32 v24, 0, v24, vcc
	v_cmp_gt_u32_e32 vcc, 60, v108
	v_add_u32_e32 v21, v21, v24
	s_nop 0
	v_cndmask_b32_e64 v24, 0, 1, vcc
	v_lshlrev_b32_e32 v24, 2, v24
	v_add_lshl_u32 v112, v24, v102, 2
	ds_bpermute_b32 v24, v112, v21
	v_cmp_le_u32_e32 vcc, v113, v19
	s_waitcnt lgkmcnt(0)
	s_nop 0
	v_cndmask_b32_e32 v24, 0, v24, vcc
	v_cmp_gt_u32_e32 vcc, 56, v108
	v_add_u32_e32 v21, v21, v24
	s_nop 0
	v_cndmask_b32_e64 v24, 0, 1, vcc
	v_lshlrev_b32_e32 v24, 3, v24
	v_add_lshl_u32 v114, v24, v102, 2
	ds_bpermute_b32 v24, v114, v21
	v_cmp_le_u32_e32 vcc, v115, v19
	s_waitcnt lgkmcnt(0)
	s_nop 0
	;; [unrolled: 11-line block ×4, first 2 shown]
	v_cndmask_b32_e32 v19, 0, v24, vcc
	v_add_u32_e32 v24, v21, v19
	v_mov_b32_e32 v21, 0
	s_branch .LBB2788_90
.LBB2788_89:                            ;   in Loop: Header=BB2788_90 Depth=1
	s_or_b64 exec, exec, s[26:27]
	v_cmp_eq_u16_sdwa s[26:27], v25, v107 src0_sel:BYTE_0 src1_sel:DWORD
	ds_bpermute_b32 v120, v109, v24
	v_subrev_u32_e32 v20, 64, v20
	v_and_b32_e32 v26, s27, v23
	v_or_b32_e32 v26, 0x80000000, v26
	v_and_b32_e32 v27, s26, v22
	v_ffbl_b32_e32 v26, v26
	v_add_u32_e32 v26, 32, v26
	v_ffbl_b32_e32 v27, v27
	v_min_u32_e32 v26, v27, v26
	v_cmp_lt_u32_e32 vcc, v108, v26
	s_waitcnt lgkmcnt(0)
	s_nop 0
	v_cndmask_b32_e32 v27, 0, v120, vcc
	v_add_u32_e32 v24, v27, v24
	ds_bpermute_b32 v27, v110, v24
	v_cmp_le_u32_e32 vcc, v111, v26
	s_waitcnt lgkmcnt(0)
	s_nop 0
	v_cndmask_b32_e32 v27, 0, v27, vcc
	v_add_u32_e32 v24, v24, v27
	ds_bpermute_b32 v27, v112, v24
	v_cmp_le_u32_e32 vcc, v113, v26
	;; [unrolled: 6-line block ×5, first 2 shown]
	s_waitcnt lgkmcnt(0)
	s_nop 0
	v_cndmask_b32_e32 v26, 0, v27, vcc
	v_add3_u32 v24, v26, v19, v24
.LBB2788_90:                            ; =>This Loop Header: Depth=1
                                        ;     Child Loop BB2788_93 Depth 2
                                        ;       Child Loop BB2788_94 Depth 3
	v_cmp_ne_u16_sdwa s[26:27], v25, v107 src0_sel:BYTE_0 src1_sel:DWORD
	s_nop 1
	v_cndmask_b32_e64 v19, 0, 1, s[26:27]
	;;#ASMSTART
	;;#ASMEND
	s_nop 0
	v_cmp_ne_u32_e32 vcc, 0, v19
	s_cmp_lg_u64 vcc, exec
	v_mov_b32_e32 v19, v24
	s_cbranch_scc1 .LBB2788_97
; %bb.91:                               ;   in Loop: Header=BB2788_90 Depth=1
	v_lshl_add_u64 v[26:27], v[20:21], 3, s[24:25]
	global_load_dwordx2 v[24:25], v[26:27], off sc1
	s_waitcnt vmcnt(0)
	v_cmp_eq_u16_sdwa s[28:29], v25, v21 src0_sel:BYTE_0 src1_sel:DWORD
	s_and_saveexec_b64 s[26:27], s[28:29]
	s_cbranch_execz .LBB2788_89
; %bb.92:                               ;   in Loop: Header=BB2788_90 Depth=1
	s_mov_b32 s31, 1
	s_mov_b64 s[28:29], 0
.LBB2788_93:                            ;   Parent Loop BB2788_90 Depth=1
                                        ; =>  This Loop Header: Depth=2
                                        ;       Child Loop BB2788_94 Depth 3
	s_max_u32 s33, s31, 1
.LBB2788_94:                            ;   Parent Loop BB2788_90 Depth=1
                                        ;     Parent Loop BB2788_93 Depth=2
                                        ; =>    This Inner Loop Header: Depth=3
	s_add_i32 s33, s33, -1
	s_cmp_eq_u32 s33, 0
	s_sleep 1
	s_cbranch_scc0 .LBB2788_94
; %bb.95:                               ;   in Loop: Header=BB2788_93 Depth=2
	global_load_dwordx2 v[24:25], v[26:27], off sc1
	s_cmp_lt_u32 s31, 32
	s_cselect_b64 s[34:35], -1, 0
	s_cmp_lg_u64 s[34:35], 0
	s_addc_u32 s31, s31, 0
	s_waitcnt vmcnt(0)
	v_cmp_ne_u16_sdwa s[34:35], v25, v21 src0_sel:BYTE_0 src1_sel:DWORD
	s_or_b64 s[28:29], s[34:35], s[28:29]
	s_andn2_b64 exec, exec, s[28:29]
	s_cbranch_execnz .LBB2788_93
; %bb.96:                               ;   in Loop: Header=BB2788_90 Depth=1
	s_or_b64 exec, exec, s[28:29]
	s_branch .LBB2788_89
.LBB2788_97:                            ;   in Loop: Header=BB2788_90 Depth=1
                                        ; implicit-def: $vgpr24
                                        ; implicit-def: $vgpr25
	s_cbranch_execz .LBB2788_90
; %bb.98:
	s_and_saveexec_b64 s[26:27], s[16:17]
	s_cbranch_execz .LBB2788_100
; %bb.99:
	s_add_i32 s28, s30, 64
	s_mov_b32 s29, 0
	s_lshl_b64 s[28:29], s[28:29], 3
	s_add_u32 s28, s24, s28
	v_add_u32_e32 v20, v19, v18
	v_mov_b32_e32 v21, 2
	s_addc_u32 s29, s25, s29
	v_mov_b32_e32 v22, 0
	global_store_dwordx2 v22, v[20:21], s[28:29] sc1
	ds_write_b64 v22, v[18:19] offset:30720
.LBB2788_100:
	s_or_b64 exec, exec, s[26:27]
	s_and_b64 exec, exec, s[18:19]
	s_cbranch_execz .LBB2788_102
; %bb.101:
	v_mov_b32_e32 v18, 0
	ds_write_b32 v18, v19 offset:28
.LBB2788_102:
	s_or_b64 exec, exec, s[0:1]
	v_mov_b32_e32 v18, 0
	s_waitcnt lgkmcnt(0)
	s_barrier
	ds_read_b32 v20, v18 offset:28
	s_waitcnt lgkmcnt(0)
	s_barrier
	ds_read_b64 v[18:19], v18 offset:30720
	v_cndmask_b32_e64 v21, v106, v105, s[16:17]
	v_cndmask_b32_e64 v21, v21, 0, s[18:19]
	v_add_u32_e32 v20, v20, v21
	s_branch .LBB2788_113
.LBB2788_103:
                                        ; implicit-def: $vgpr19
                                        ; implicit-def: $vgpr20
	s_cbranch_execz .LBB2788_113
; %bb.104:
	s_waitcnt lgkmcnt(0)
	v_mov_b32_dpp v18, v104 row_shr:1 row_mask:0xf bank_mask:0xf
	v_cndmask_b32_e64 v18, v18, 0, s[14:15]
	v_add_u32_e32 v18, v18, v104
	s_nop 1
	v_mov_b32_dpp v19, v18 row_shr:2 row_mask:0xf bank_mask:0xf
	v_cndmask_b32_e64 v19, 0, v19, s[12:13]
	v_add_u32_e32 v18, v18, v19
	s_nop 1
	;; [unrolled: 4-line block ×4, first 2 shown]
	v_mov_b32_dpp v19, v18 row_bcast:15 row_mask:0xf bank_mask:0xf
	v_cndmask_b32_e64 v19, v19, 0, s[6:7]
	v_add_u32_e32 v18, v18, v19
	s_nop 1
	v_mov_b32_dpp v19, v18 row_bcast:31 row_mask:0xf bank_mask:0xf
	v_cndmask_b32_e64 v19, 0, v19, s[2:3]
	v_add_u32_e32 v18, v18, v19
	s_and_saveexec_b64 s[0:1], s[4:5]
	s_cbranch_execz .LBB2788_106
; %bb.105:
	v_lshlrev_b32_e32 v19, 2, v103
	ds_write_b32 v19, v18
.LBB2788_106:
	s_or_b64 exec, exec, s[0:1]
	v_cmp_gt_u32_e32 vcc, 8, v0
	s_waitcnt lgkmcnt(0)
	s_barrier
	s_and_saveexec_b64 s[0:1], vcc
	s_cbranch_execz .LBB2788_108
; %bb.107:
	v_lshlrev_b32_e32 v19, 2, v0
	ds_read_b32 v20, v19
	v_and_b32_e32 v21, 7, v102
	v_cmp_ne_u32_e32 vcc, 0, v21
	s_waitcnt lgkmcnt(0)
	v_mov_b32_dpp v22, v20 row_shr:1 row_mask:0xf bank_mask:0xf
	v_cndmask_b32_e32 v22, 0, v22, vcc
	v_add_u32_e32 v20, v22, v20
	v_cmp_lt_u32_e32 vcc, 1, v21
	s_nop 0
	v_mov_b32_dpp v22, v20 row_shr:2 row_mask:0xf bank_mask:0xf
	v_cndmask_b32_e32 v22, 0, v22, vcc
	v_add_u32_e32 v20, v20, v22
	v_cmp_lt_u32_e32 vcc, 3, v21
	s_nop 0
	v_mov_b32_dpp v22, v20 row_shr:4 row_mask:0xf bank_mask:0xf
	v_cndmask_b32_e32 v21, 0, v22, vcc
	v_add_u32_e32 v20, v20, v21
	ds_write_b32 v19, v20
.LBB2788_108:
	s_or_b64 exec, exec, s[0:1]
	v_cmp_lt_u32_e32 vcc, 63, v0
	v_mov_b32_e32 v19, 0
	v_mov_b32_e32 v0, 0
	s_waitcnt lgkmcnt(0)
	s_barrier
	s_and_saveexec_b64 s[0:1], vcc
	s_cbranch_execz .LBB2788_110
; %bb.109:
	v_lshl_add_u32 v0, v103, 2, -4
	ds_read_b32 v0, v0
.LBB2788_110:
	s_or_b64 exec, exec, s[0:1]
	v_add_u32_e32 v20, -1, v102
	v_and_b32_e32 v21, 64, v102
	v_cmp_lt_i32_e32 vcc, v20, v21
	s_waitcnt lgkmcnt(0)
	v_add_u32_e32 v18, v0, v18
	v_cndmask_b32_e32 v20, v20, v102, vcc
	v_lshlrev_b32_e32 v20, 2, v20
	ds_bpermute_b32 v20, v20, v18
	ds_read_b32 v18, v19 offset:28
	s_and_saveexec_b64 s[0:1], s[18:19]
	s_cbranch_execz .LBB2788_112
; %bb.111:
	v_mov_b32_e32 v21, 0
	v_mov_b32_e32 v19, 2
	s_waitcnt lgkmcnt(0)
	global_store_dwordx2 v21, v[18:19], s[24:25] offset:512 sc1
.LBB2788_112:
	s_or_b64 exec, exec, s[0:1]
	v_cmp_eq_u32_e32 vcc, 0, v102
	v_mov_b32_e32 v19, 0
	s_waitcnt lgkmcnt(0)
	v_cndmask_b32_e32 v0, v20, v0, vcc
	v_cndmask_b32_e64 v20, v0, 0, s[18:19]
	s_barrier
.LBB2788_113:
	v_add_u32_e32 v0, v20, v74
	v_add_u32_e32 v21, v0, v75
	;; [unrolled: 1-line block ×20, first 2 shown]
	s_waitcnt lgkmcnt(0)
	v_add_u32_e32 v41, v18, v41
	v_sub_u32_e32 v20, v20, v19
	v_and_b32_e32 v73, 1, v73
	v_add_u32_e32 v86, v85, v94
	v_sub_u32_e32 v94, v41, v20
	v_cmp_eq_u32_e32 vcc, 1, v73
	v_sub_u32_e32 v0, v0, v19
	v_add_u32_e32 v87, v86, v95
	v_cndmask_b32_e32 v20, v94, v20, vcc
	v_lshlrev_b32_e32 v20, 1, v20
	ds_write_b16 v20, v16
	v_sub_u32_e32 v16, v41, v0
	v_and_b32_e32 v20, 1, v72
	v_add_u32_e32 v16, 1, v16
	v_cmp_eq_u32_e32 vcc, 1, v20
	v_and_b32_e32 v20, 1, v71
	v_add_u32_e32 v88, v87, v96
	v_cndmask_b32_e32 v0, v16, v0, vcc
	v_lshlrev_b32_e32 v0, 1, v0
	ds_write_b16 v0, v43
	v_sub_u32_e32 v0, v21, v19
	v_sub_u32_e32 v16, v41, v0
	v_add_u32_e32 v16, 2, v16
	v_cmp_eq_u32_e32 vcc, 1, v20
	v_add_u32_e32 v89, v88, v97
	v_add_u32_e32 v90, v89, v98
	v_cndmask_b32_e32 v0, v16, v0, vcc
	v_lshlrev_b32_e32 v0, 1, v0
	ds_write_b16 v0, v17
	v_sub_u32_e32 v0, v22, v19
	v_sub_u32_e32 v16, v41, v0
	v_and_b32_e32 v17, 1, v70
	v_add_u32_e32 v16, 3, v16
	v_cmp_eq_u32_e32 vcc, 1, v17
	v_and_b32_e32 v17, 1, v69
	v_add_u32_e32 v91, v90, v99
	v_cndmask_b32_e32 v0, v16, v0, vcc
	v_lshlrev_b32_e32 v0, 1, v0
	ds_write_b16 v0, v42
	v_sub_u32_e32 v0, v23, v19
	v_sub_u32_e32 v16, v41, v0
	v_add_u32_e32 v16, 4, v16
	v_cmp_eq_u32_e32 vcc, 1, v17
	v_add_u32_e32 v92, v91, v100
	v_add_u32_e32 v93, v92, v101
	v_cndmask_b32_e32 v0, v16, v0, vcc
	v_lshlrev_b32_e32 v0, 1, v0
	ds_write_b16 v0, v14
	v_sub_u32_e32 v0, v24, v19
	v_sub_u32_e32 v14, v41, v0
	v_and_b32_e32 v16, 1, v68
	v_add_u32_e32 v14, 5, v14
	v_cmp_eq_u32_e32 vcc, 1, v16
	v_and_b32_e32 v16, 1, v67
	s_and_b64 s[0:1], s[18:19], s[22:23]
	v_cndmask_b32_e32 v0, v14, v0, vcc
	v_lshlrev_b32_e32 v0, 1, v0
	ds_write_b16 v0, v40
	v_sub_u32_e32 v0, v25, v19
	v_sub_u32_e32 v14, v41, v0
	v_add_u32_e32 v14, 6, v14
	v_cmp_eq_u32_e32 vcc, 1, v16
	s_nop 1
	v_cndmask_b32_e32 v0, v14, v0, vcc
	v_lshlrev_b32_e32 v0, 1, v0
	ds_write_b16 v0, v15
	v_sub_u32_e32 v0, v26, v19
	v_sub_u32_e32 v14, v41, v0
	v_and_b32_e32 v15, 1, v66
	v_add_u32_e32 v14, 7, v14
	v_cmp_eq_u32_e32 vcc, 1, v15
	v_and_b32_e32 v15, 1, v65
	s_nop 0
	v_cndmask_b32_e32 v0, v14, v0, vcc
	v_lshlrev_b32_e32 v0, 1, v0
	ds_write_b16 v0, v39
	v_sub_u32_e32 v0, v27, v19
	v_sub_u32_e32 v14, v41, v0
	v_add_u32_e32 v14, 8, v14
	v_cmp_eq_u32_e32 vcc, 1, v15
	s_nop 1
	v_cndmask_b32_e32 v0, v14, v0, vcc
	v_lshlrev_b32_e32 v0, 1, v0
	ds_write_b16 v0, v12
	v_sub_u32_e32 v0, v74, v19
	v_sub_u32_e32 v12, v41, v0
	v_and_b32_e32 v14, 1, v64
	v_add_u32_e32 v12, 9, v12
	v_cmp_eq_u32_e32 vcc, 1, v14
	v_and_b32_e32 v14, 1, v63
	s_nop 0
	;; [unrolled: 18-line block ×11, first 2 shown]
	v_cndmask_b32_e32 v0, v4, v0, vcc
	v_lshlrev_b32_e32 v0, 1, v0
	ds_write_b16 v0, v29
	v_sub_u32_e32 v0, v93, v19
	v_sub_u32_e32 v4, v41, v0
	v_add_u32_e32 v4, 28, v4
	v_cmp_eq_u32_e32 vcc, 1, v5
	v_and_b32_e32 v5, 1, v45
	s_nop 0
	v_cndmask_b32_e32 v0, v4, v0, vcc
	v_lshlrev_b32_e32 v0, 1, v0
	ds_write_b16 v0, v28
	v_sub_u32_sdwa v0, v44, v19 dst_sel:DWORD dst_unused:UNUSED_PAD src0_sel:BYTE_0 src1_sel:DWORD
	v_add_u32_e32 v0, v93, v0
	v_sub_u32_e32 v4, v41, v0
	v_add_u32_e32 v4, 29, v4
	v_cmp_eq_u32_e32 vcc, 1, v5
	s_nop 1
	v_cndmask_b32_e32 v0, v4, v0, vcc
	v_lshlrev_b32_e32 v0, 1, v0
	ds_write_b16 v0, v1
	s_waitcnt lgkmcnt(0)
	s_barrier
	s_and_saveexec_b64 s[2:3], s[0:1]
	s_cbranch_execz .LBB2788_115
; %bb.114:
	v_mov_b32_e32 v1, 0
	v_mov_b32_e32 v0, v18
	s_waitcnt vmcnt(0)
	v_lshl_add_u64 v[2:3], v[2:3], 0, v[0:1]
	v_mov_b32_e32 v0, v19
	v_lshl_add_u64 v[2:3], v[2:3], 0, v[0:1]
	global_store_dwordx2 v1, v[2:3], s[20:21]
.LBB2788_115:
	s_endpgm
	.section	.rodata,"a",@progbits
	.p2align	6, 0x0
	.amdhsa_kernel _ZN7rocprim17ROCPRIM_400000_NS6detail17trampoline_kernelINS0_14default_configENS1_25partition_config_selectorILNS1_17partition_subalgoE0EsNS0_10empty_typeEbEEZZNS1_14partition_implILS5_0ELb0ES3_jN6thrust23THRUST_200600_302600_NS6detail15normal_iteratorINSA_10device_ptrIsEEEEPS6_SG_NS0_5tupleIJNSA_16discard_iteratorINSA_11use_defaultEEESK_EEENSH_IJSG_SG_EEES6_PlJ7is_evenIsEEEE10hipError_tPvRmT3_T4_T5_T6_T7_T9_mT8_P12ihipStream_tbDpT10_ENKUlT_T0_E_clISt17integral_constantIbLb1EES19_EEDaS14_S15_EUlS14_E_NS1_11comp_targetILNS1_3genE5ELNS1_11target_archE942ELNS1_3gpuE9ELNS1_3repE0EEENS1_30default_config_static_selectorELNS0_4arch9wavefront6targetE1EEEvT1_
		.amdhsa_group_segment_fixed_size 30728
		.amdhsa_private_segment_fixed_size 0
		.amdhsa_kernarg_size 152
		.amdhsa_user_sgpr_count 2
		.amdhsa_user_sgpr_dispatch_ptr 0
		.amdhsa_user_sgpr_queue_ptr 0
		.amdhsa_user_sgpr_kernarg_segment_ptr 1
		.amdhsa_user_sgpr_dispatch_id 0
		.amdhsa_user_sgpr_kernarg_preload_length 0
		.amdhsa_user_sgpr_kernarg_preload_offset 0
		.amdhsa_user_sgpr_private_segment_size 0
		.amdhsa_uses_dynamic_stack 0
		.amdhsa_enable_private_segment 0
		.amdhsa_system_sgpr_workgroup_id_x 1
		.amdhsa_system_sgpr_workgroup_id_y 0
		.amdhsa_system_sgpr_workgroup_id_z 0
		.amdhsa_system_sgpr_workgroup_info 0
		.amdhsa_system_vgpr_workitem_id 0
		.amdhsa_next_free_vgpr 121
		.amdhsa_next_free_sgpr 36
		.amdhsa_accum_offset 124
		.amdhsa_reserve_vcc 1
		.amdhsa_float_round_mode_32 0
		.amdhsa_float_round_mode_16_64 0
		.amdhsa_float_denorm_mode_32 3
		.amdhsa_float_denorm_mode_16_64 3
		.amdhsa_dx10_clamp 1
		.amdhsa_ieee_mode 1
		.amdhsa_fp16_overflow 0
		.amdhsa_tg_split 0
		.amdhsa_exception_fp_ieee_invalid_op 0
		.amdhsa_exception_fp_denorm_src 0
		.amdhsa_exception_fp_ieee_div_zero 0
		.amdhsa_exception_fp_ieee_overflow 0
		.amdhsa_exception_fp_ieee_underflow 0
		.amdhsa_exception_fp_ieee_inexact 0
		.amdhsa_exception_int_div_zero 0
	.end_amdhsa_kernel
	.section	.text._ZN7rocprim17ROCPRIM_400000_NS6detail17trampoline_kernelINS0_14default_configENS1_25partition_config_selectorILNS1_17partition_subalgoE0EsNS0_10empty_typeEbEEZZNS1_14partition_implILS5_0ELb0ES3_jN6thrust23THRUST_200600_302600_NS6detail15normal_iteratorINSA_10device_ptrIsEEEEPS6_SG_NS0_5tupleIJNSA_16discard_iteratorINSA_11use_defaultEEESK_EEENSH_IJSG_SG_EEES6_PlJ7is_evenIsEEEE10hipError_tPvRmT3_T4_T5_T6_T7_T9_mT8_P12ihipStream_tbDpT10_ENKUlT_T0_E_clISt17integral_constantIbLb1EES19_EEDaS14_S15_EUlS14_E_NS1_11comp_targetILNS1_3genE5ELNS1_11target_archE942ELNS1_3gpuE9ELNS1_3repE0EEENS1_30default_config_static_selectorELNS0_4arch9wavefront6targetE1EEEvT1_,"axG",@progbits,_ZN7rocprim17ROCPRIM_400000_NS6detail17trampoline_kernelINS0_14default_configENS1_25partition_config_selectorILNS1_17partition_subalgoE0EsNS0_10empty_typeEbEEZZNS1_14partition_implILS5_0ELb0ES3_jN6thrust23THRUST_200600_302600_NS6detail15normal_iteratorINSA_10device_ptrIsEEEEPS6_SG_NS0_5tupleIJNSA_16discard_iteratorINSA_11use_defaultEEESK_EEENSH_IJSG_SG_EEES6_PlJ7is_evenIsEEEE10hipError_tPvRmT3_T4_T5_T6_T7_T9_mT8_P12ihipStream_tbDpT10_ENKUlT_T0_E_clISt17integral_constantIbLb1EES19_EEDaS14_S15_EUlS14_E_NS1_11comp_targetILNS1_3genE5ELNS1_11target_archE942ELNS1_3gpuE9ELNS1_3repE0EEENS1_30default_config_static_selectorELNS0_4arch9wavefront6targetE1EEEvT1_,comdat
.Lfunc_end2788:
	.size	_ZN7rocprim17ROCPRIM_400000_NS6detail17trampoline_kernelINS0_14default_configENS1_25partition_config_selectorILNS1_17partition_subalgoE0EsNS0_10empty_typeEbEEZZNS1_14partition_implILS5_0ELb0ES3_jN6thrust23THRUST_200600_302600_NS6detail15normal_iteratorINSA_10device_ptrIsEEEEPS6_SG_NS0_5tupleIJNSA_16discard_iteratorINSA_11use_defaultEEESK_EEENSH_IJSG_SG_EEES6_PlJ7is_evenIsEEEE10hipError_tPvRmT3_T4_T5_T6_T7_T9_mT8_P12ihipStream_tbDpT10_ENKUlT_T0_E_clISt17integral_constantIbLb1EES19_EEDaS14_S15_EUlS14_E_NS1_11comp_targetILNS1_3genE5ELNS1_11target_archE942ELNS1_3gpuE9ELNS1_3repE0EEENS1_30default_config_static_selectorELNS0_4arch9wavefront6targetE1EEEvT1_, .Lfunc_end2788-_ZN7rocprim17ROCPRIM_400000_NS6detail17trampoline_kernelINS0_14default_configENS1_25partition_config_selectorILNS1_17partition_subalgoE0EsNS0_10empty_typeEbEEZZNS1_14partition_implILS5_0ELb0ES3_jN6thrust23THRUST_200600_302600_NS6detail15normal_iteratorINSA_10device_ptrIsEEEEPS6_SG_NS0_5tupleIJNSA_16discard_iteratorINSA_11use_defaultEEESK_EEENSH_IJSG_SG_EEES6_PlJ7is_evenIsEEEE10hipError_tPvRmT3_T4_T5_T6_T7_T9_mT8_P12ihipStream_tbDpT10_ENKUlT_T0_E_clISt17integral_constantIbLb1EES19_EEDaS14_S15_EUlS14_E_NS1_11comp_targetILNS1_3genE5ELNS1_11target_archE942ELNS1_3gpuE9ELNS1_3repE0EEENS1_30default_config_static_selectorELNS0_4arch9wavefront6targetE1EEEvT1_
                                        ; -- End function
	.section	.AMDGPU.csdata,"",@progbits
; Kernel info:
; codeLenInByte = 7400
; NumSgprs: 42
; NumVgprs: 121
; NumAgprs: 0
; TotalNumVgprs: 121
; ScratchSize: 0
; MemoryBound: 0
; FloatMode: 240
; IeeeMode: 1
; LDSByteSize: 30728 bytes/workgroup (compile time only)
; SGPRBlocks: 5
; VGPRBlocks: 15
; NumSGPRsForWavesPerEU: 42
; NumVGPRsForWavesPerEU: 121
; AccumOffset: 124
; Occupancy: 4
; WaveLimiterHint : 1
; COMPUTE_PGM_RSRC2:SCRATCH_EN: 0
; COMPUTE_PGM_RSRC2:USER_SGPR: 2
; COMPUTE_PGM_RSRC2:TRAP_HANDLER: 0
; COMPUTE_PGM_RSRC2:TGID_X_EN: 1
; COMPUTE_PGM_RSRC2:TGID_Y_EN: 0
; COMPUTE_PGM_RSRC2:TGID_Z_EN: 0
; COMPUTE_PGM_RSRC2:TIDIG_COMP_CNT: 0
; COMPUTE_PGM_RSRC3_GFX90A:ACCUM_OFFSET: 30
; COMPUTE_PGM_RSRC3_GFX90A:TG_SPLIT: 0
	.section	.text._ZN7rocprim17ROCPRIM_400000_NS6detail17trampoline_kernelINS0_14default_configENS1_25partition_config_selectorILNS1_17partition_subalgoE0EsNS0_10empty_typeEbEEZZNS1_14partition_implILS5_0ELb0ES3_jN6thrust23THRUST_200600_302600_NS6detail15normal_iteratorINSA_10device_ptrIsEEEEPS6_SG_NS0_5tupleIJNSA_16discard_iteratorINSA_11use_defaultEEESK_EEENSH_IJSG_SG_EEES6_PlJ7is_evenIsEEEE10hipError_tPvRmT3_T4_T5_T6_T7_T9_mT8_P12ihipStream_tbDpT10_ENKUlT_T0_E_clISt17integral_constantIbLb1EES19_EEDaS14_S15_EUlS14_E_NS1_11comp_targetILNS1_3genE4ELNS1_11target_archE910ELNS1_3gpuE8ELNS1_3repE0EEENS1_30default_config_static_selectorELNS0_4arch9wavefront6targetE1EEEvT1_,"axG",@progbits,_ZN7rocprim17ROCPRIM_400000_NS6detail17trampoline_kernelINS0_14default_configENS1_25partition_config_selectorILNS1_17partition_subalgoE0EsNS0_10empty_typeEbEEZZNS1_14partition_implILS5_0ELb0ES3_jN6thrust23THRUST_200600_302600_NS6detail15normal_iteratorINSA_10device_ptrIsEEEEPS6_SG_NS0_5tupleIJNSA_16discard_iteratorINSA_11use_defaultEEESK_EEENSH_IJSG_SG_EEES6_PlJ7is_evenIsEEEE10hipError_tPvRmT3_T4_T5_T6_T7_T9_mT8_P12ihipStream_tbDpT10_ENKUlT_T0_E_clISt17integral_constantIbLb1EES19_EEDaS14_S15_EUlS14_E_NS1_11comp_targetILNS1_3genE4ELNS1_11target_archE910ELNS1_3gpuE8ELNS1_3repE0EEENS1_30default_config_static_selectorELNS0_4arch9wavefront6targetE1EEEvT1_,comdat
	.protected	_ZN7rocprim17ROCPRIM_400000_NS6detail17trampoline_kernelINS0_14default_configENS1_25partition_config_selectorILNS1_17partition_subalgoE0EsNS0_10empty_typeEbEEZZNS1_14partition_implILS5_0ELb0ES3_jN6thrust23THRUST_200600_302600_NS6detail15normal_iteratorINSA_10device_ptrIsEEEEPS6_SG_NS0_5tupleIJNSA_16discard_iteratorINSA_11use_defaultEEESK_EEENSH_IJSG_SG_EEES6_PlJ7is_evenIsEEEE10hipError_tPvRmT3_T4_T5_T6_T7_T9_mT8_P12ihipStream_tbDpT10_ENKUlT_T0_E_clISt17integral_constantIbLb1EES19_EEDaS14_S15_EUlS14_E_NS1_11comp_targetILNS1_3genE4ELNS1_11target_archE910ELNS1_3gpuE8ELNS1_3repE0EEENS1_30default_config_static_selectorELNS0_4arch9wavefront6targetE1EEEvT1_ ; -- Begin function _ZN7rocprim17ROCPRIM_400000_NS6detail17trampoline_kernelINS0_14default_configENS1_25partition_config_selectorILNS1_17partition_subalgoE0EsNS0_10empty_typeEbEEZZNS1_14partition_implILS5_0ELb0ES3_jN6thrust23THRUST_200600_302600_NS6detail15normal_iteratorINSA_10device_ptrIsEEEEPS6_SG_NS0_5tupleIJNSA_16discard_iteratorINSA_11use_defaultEEESK_EEENSH_IJSG_SG_EEES6_PlJ7is_evenIsEEEE10hipError_tPvRmT3_T4_T5_T6_T7_T9_mT8_P12ihipStream_tbDpT10_ENKUlT_T0_E_clISt17integral_constantIbLb1EES19_EEDaS14_S15_EUlS14_E_NS1_11comp_targetILNS1_3genE4ELNS1_11target_archE910ELNS1_3gpuE8ELNS1_3repE0EEENS1_30default_config_static_selectorELNS0_4arch9wavefront6targetE1EEEvT1_
	.globl	_ZN7rocprim17ROCPRIM_400000_NS6detail17trampoline_kernelINS0_14default_configENS1_25partition_config_selectorILNS1_17partition_subalgoE0EsNS0_10empty_typeEbEEZZNS1_14partition_implILS5_0ELb0ES3_jN6thrust23THRUST_200600_302600_NS6detail15normal_iteratorINSA_10device_ptrIsEEEEPS6_SG_NS0_5tupleIJNSA_16discard_iteratorINSA_11use_defaultEEESK_EEENSH_IJSG_SG_EEES6_PlJ7is_evenIsEEEE10hipError_tPvRmT3_T4_T5_T6_T7_T9_mT8_P12ihipStream_tbDpT10_ENKUlT_T0_E_clISt17integral_constantIbLb1EES19_EEDaS14_S15_EUlS14_E_NS1_11comp_targetILNS1_3genE4ELNS1_11target_archE910ELNS1_3gpuE8ELNS1_3repE0EEENS1_30default_config_static_selectorELNS0_4arch9wavefront6targetE1EEEvT1_
	.p2align	8
	.type	_ZN7rocprim17ROCPRIM_400000_NS6detail17trampoline_kernelINS0_14default_configENS1_25partition_config_selectorILNS1_17partition_subalgoE0EsNS0_10empty_typeEbEEZZNS1_14partition_implILS5_0ELb0ES3_jN6thrust23THRUST_200600_302600_NS6detail15normal_iteratorINSA_10device_ptrIsEEEEPS6_SG_NS0_5tupleIJNSA_16discard_iteratorINSA_11use_defaultEEESK_EEENSH_IJSG_SG_EEES6_PlJ7is_evenIsEEEE10hipError_tPvRmT3_T4_T5_T6_T7_T9_mT8_P12ihipStream_tbDpT10_ENKUlT_T0_E_clISt17integral_constantIbLb1EES19_EEDaS14_S15_EUlS14_E_NS1_11comp_targetILNS1_3genE4ELNS1_11target_archE910ELNS1_3gpuE8ELNS1_3repE0EEENS1_30default_config_static_selectorELNS0_4arch9wavefront6targetE1EEEvT1_,@function
_ZN7rocprim17ROCPRIM_400000_NS6detail17trampoline_kernelINS0_14default_configENS1_25partition_config_selectorILNS1_17partition_subalgoE0EsNS0_10empty_typeEbEEZZNS1_14partition_implILS5_0ELb0ES3_jN6thrust23THRUST_200600_302600_NS6detail15normal_iteratorINSA_10device_ptrIsEEEEPS6_SG_NS0_5tupleIJNSA_16discard_iteratorINSA_11use_defaultEEESK_EEENSH_IJSG_SG_EEES6_PlJ7is_evenIsEEEE10hipError_tPvRmT3_T4_T5_T6_T7_T9_mT8_P12ihipStream_tbDpT10_ENKUlT_T0_E_clISt17integral_constantIbLb1EES19_EEDaS14_S15_EUlS14_E_NS1_11comp_targetILNS1_3genE4ELNS1_11target_archE910ELNS1_3gpuE8ELNS1_3repE0EEENS1_30default_config_static_selectorELNS0_4arch9wavefront6targetE1EEEvT1_: ; @_ZN7rocprim17ROCPRIM_400000_NS6detail17trampoline_kernelINS0_14default_configENS1_25partition_config_selectorILNS1_17partition_subalgoE0EsNS0_10empty_typeEbEEZZNS1_14partition_implILS5_0ELb0ES3_jN6thrust23THRUST_200600_302600_NS6detail15normal_iteratorINSA_10device_ptrIsEEEEPS6_SG_NS0_5tupleIJNSA_16discard_iteratorINSA_11use_defaultEEESK_EEENSH_IJSG_SG_EEES6_PlJ7is_evenIsEEEE10hipError_tPvRmT3_T4_T5_T6_T7_T9_mT8_P12ihipStream_tbDpT10_ENKUlT_T0_E_clISt17integral_constantIbLb1EES19_EEDaS14_S15_EUlS14_E_NS1_11comp_targetILNS1_3genE4ELNS1_11target_archE910ELNS1_3gpuE8ELNS1_3repE0EEENS1_30default_config_static_selectorELNS0_4arch9wavefront6targetE1EEEvT1_
; %bb.0:
	.section	.rodata,"a",@progbits
	.p2align	6, 0x0
	.amdhsa_kernel _ZN7rocprim17ROCPRIM_400000_NS6detail17trampoline_kernelINS0_14default_configENS1_25partition_config_selectorILNS1_17partition_subalgoE0EsNS0_10empty_typeEbEEZZNS1_14partition_implILS5_0ELb0ES3_jN6thrust23THRUST_200600_302600_NS6detail15normal_iteratorINSA_10device_ptrIsEEEEPS6_SG_NS0_5tupleIJNSA_16discard_iteratorINSA_11use_defaultEEESK_EEENSH_IJSG_SG_EEES6_PlJ7is_evenIsEEEE10hipError_tPvRmT3_T4_T5_T6_T7_T9_mT8_P12ihipStream_tbDpT10_ENKUlT_T0_E_clISt17integral_constantIbLb1EES19_EEDaS14_S15_EUlS14_E_NS1_11comp_targetILNS1_3genE4ELNS1_11target_archE910ELNS1_3gpuE8ELNS1_3repE0EEENS1_30default_config_static_selectorELNS0_4arch9wavefront6targetE1EEEvT1_
		.amdhsa_group_segment_fixed_size 0
		.amdhsa_private_segment_fixed_size 0
		.amdhsa_kernarg_size 152
		.amdhsa_user_sgpr_count 2
		.amdhsa_user_sgpr_dispatch_ptr 0
		.amdhsa_user_sgpr_queue_ptr 0
		.amdhsa_user_sgpr_kernarg_segment_ptr 1
		.amdhsa_user_sgpr_dispatch_id 0
		.amdhsa_user_sgpr_kernarg_preload_length 0
		.amdhsa_user_sgpr_kernarg_preload_offset 0
		.amdhsa_user_sgpr_private_segment_size 0
		.amdhsa_uses_dynamic_stack 0
		.amdhsa_enable_private_segment 0
		.amdhsa_system_sgpr_workgroup_id_x 1
		.amdhsa_system_sgpr_workgroup_id_y 0
		.amdhsa_system_sgpr_workgroup_id_z 0
		.amdhsa_system_sgpr_workgroup_info 0
		.amdhsa_system_vgpr_workitem_id 0
		.amdhsa_next_free_vgpr 1
		.amdhsa_next_free_sgpr 0
		.amdhsa_accum_offset 4
		.amdhsa_reserve_vcc 0
		.amdhsa_float_round_mode_32 0
		.amdhsa_float_round_mode_16_64 0
		.amdhsa_float_denorm_mode_32 3
		.amdhsa_float_denorm_mode_16_64 3
		.amdhsa_dx10_clamp 1
		.amdhsa_ieee_mode 1
		.amdhsa_fp16_overflow 0
		.amdhsa_tg_split 0
		.amdhsa_exception_fp_ieee_invalid_op 0
		.amdhsa_exception_fp_denorm_src 0
		.amdhsa_exception_fp_ieee_div_zero 0
		.amdhsa_exception_fp_ieee_overflow 0
		.amdhsa_exception_fp_ieee_underflow 0
		.amdhsa_exception_fp_ieee_inexact 0
		.amdhsa_exception_int_div_zero 0
	.end_amdhsa_kernel
	.section	.text._ZN7rocprim17ROCPRIM_400000_NS6detail17trampoline_kernelINS0_14default_configENS1_25partition_config_selectorILNS1_17partition_subalgoE0EsNS0_10empty_typeEbEEZZNS1_14partition_implILS5_0ELb0ES3_jN6thrust23THRUST_200600_302600_NS6detail15normal_iteratorINSA_10device_ptrIsEEEEPS6_SG_NS0_5tupleIJNSA_16discard_iteratorINSA_11use_defaultEEESK_EEENSH_IJSG_SG_EEES6_PlJ7is_evenIsEEEE10hipError_tPvRmT3_T4_T5_T6_T7_T9_mT8_P12ihipStream_tbDpT10_ENKUlT_T0_E_clISt17integral_constantIbLb1EES19_EEDaS14_S15_EUlS14_E_NS1_11comp_targetILNS1_3genE4ELNS1_11target_archE910ELNS1_3gpuE8ELNS1_3repE0EEENS1_30default_config_static_selectorELNS0_4arch9wavefront6targetE1EEEvT1_,"axG",@progbits,_ZN7rocprim17ROCPRIM_400000_NS6detail17trampoline_kernelINS0_14default_configENS1_25partition_config_selectorILNS1_17partition_subalgoE0EsNS0_10empty_typeEbEEZZNS1_14partition_implILS5_0ELb0ES3_jN6thrust23THRUST_200600_302600_NS6detail15normal_iteratorINSA_10device_ptrIsEEEEPS6_SG_NS0_5tupleIJNSA_16discard_iteratorINSA_11use_defaultEEESK_EEENSH_IJSG_SG_EEES6_PlJ7is_evenIsEEEE10hipError_tPvRmT3_T4_T5_T6_T7_T9_mT8_P12ihipStream_tbDpT10_ENKUlT_T0_E_clISt17integral_constantIbLb1EES19_EEDaS14_S15_EUlS14_E_NS1_11comp_targetILNS1_3genE4ELNS1_11target_archE910ELNS1_3gpuE8ELNS1_3repE0EEENS1_30default_config_static_selectorELNS0_4arch9wavefront6targetE1EEEvT1_,comdat
.Lfunc_end2789:
	.size	_ZN7rocprim17ROCPRIM_400000_NS6detail17trampoline_kernelINS0_14default_configENS1_25partition_config_selectorILNS1_17partition_subalgoE0EsNS0_10empty_typeEbEEZZNS1_14partition_implILS5_0ELb0ES3_jN6thrust23THRUST_200600_302600_NS6detail15normal_iteratorINSA_10device_ptrIsEEEEPS6_SG_NS0_5tupleIJNSA_16discard_iteratorINSA_11use_defaultEEESK_EEENSH_IJSG_SG_EEES6_PlJ7is_evenIsEEEE10hipError_tPvRmT3_T4_T5_T6_T7_T9_mT8_P12ihipStream_tbDpT10_ENKUlT_T0_E_clISt17integral_constantIbLb1EES19_EEDaS14_S15_EUlS14_E_NS1_11comp_targetILNS1_3genE4ELNS1_11target_archE910ELNS1_3gpuE8ELNS1_3repE0EEENS1_30default_config_static_selectorELNS0_4arch9wavefront6targetE1EEEvT1_, .Lfunc_end2789-_ZN7rocprim17ROCPRIM_400000_NS6detail17trampoline_kernelINS0_14default_configENS1_25partition_config_selectorILNS1_17partition_subalgoE0EsNS0_10empty_typeEbEEZZNS1_14partition_implILS5_0ELb0ES3_jN6thrust23THRUST_200600_302600_NS6detail15normal_iteratorINSA_10device_ptrIsEEEEPS6_SG_NS0_5tupleIJNSA_16discard_iteratorINSA_11use_defaultEEESK_EEENSH_IJSG_SG_EEES6_PlJ7is_evenIsEEEE10hipError_tPvRmT3_T4_T5_T6_T7_T9_mT8_P12ihipStream_tbDpT10_ENKUlT_T0_E_clISt17integral_constantIbLb1EES19_EEDaS14_S15_EUlS14_E_NS1_11comp_targetILNS1_3genE4ELNS1_11target_archE910ELNS1_3gpuE8ELNS1_3repE0EEENS1_30default_config_static_selectorELNS0_4arch9wavefront6targetE1EEEvT1_
                                        ; -- End function
	.section	.AMDGPU.csdata,"",@progbits
; Kernel info:
; codeLenInByte = 0
; NumSgprs: 6
; NumVgprs: 0
; NumAgprs: 0
; TotalNumVgprs: 0
; ScratchSize: 0
; MemoryBound: 0
; FloatMode: 240
; IeeeMode: 1
; LDSByteSize: 0 bytes/workgroup (compile time only)
; SGPRBlocks: 0
; VGPRBlocks: 0
; NumSGPRsForWavesPerEU: 6
; NumVGPRsForWavesPerEU: 1
; AccumOffset: 4
; Occupancy: 8
; WaveLimiterHint : 0
; COMPUTE_PGM_RSRC2:SCRATCH_EN: 0
; COMPUTE_PGM_RSRC2:USER_SGPR: 2
; COMPUTE_PGM_RSRC2:TRAP_HANDLER: 0
; COMPUTE_PGM_RSRC2:TGID_X_EN: 1
; COMPUTE_PGM_RSRC2:TGID_Y_EN: 0
; COMPUTE_PGM_RSRC2:TGID_Z_EN: 0
; COMPUTE_PGM_RSRC2:TIDIG_COMP_CNT: 0
; COMPUTE_PGM_RSRC3_GFX90A:ACCUM_OFFSET: 0
; COMPUTE_PGM_RSRC3_GFX90A:TG_SPLIT: 0
	.section	.text._ZN7rocprim17ROCPRIM_400000_NS6detail17trampoline_kernelINS0_14default_configENS1_25partition_config_selectorILNS1_17partition_subalgoE0EsNS0_10empty_typeEbEEZZNS1_14partition_implILS5_0ELb0ES3_jN6thrust23THRUST_200600_302600_NS6detail15normal_iteratorINSA_10device_ptrIsEEEEPS6_SG_NS0_5tupleIJNSA_16discard_iteratorINSA_11use_defaultEEESK_EEENSH_IJSG_SG_EEES6_PlJ7is_evenIsEEEE10hipError_tPvRmT3_T4_T5_T6_T7_T9_mT8_P12ihipStream_tbDpT10_ENKUlT_T0_E_clISt17integral_constantIbLb1EES19_EEDaS14_S15_EUlS14_E_NS1_11comp_targetILNS1_3genE3ELNS1_11target_archE908ELNS1_3gpuE7ELNS1_3repE0EEENS1_30default_config_static_selectorELNS0_4arch9wavefront6targetE1EEEvT1_,"axG",@progbits,_ZN7rocprim17ROCPRIM_400000_NS6detail17trampoline_kernelINS0_14default_configENS1_25partition_config_selectorILNS1_17partition_subalgoE0EsNS0_10empty_typeEbEEZZNS1_14partition_implILS5_0ELb0ES3_jN6thrust23THRUST_200600_302600_NS6detail15normal_iteratorINSA_10device_ptrIsEEEEPS6_SG_NS0_5tupleIJNSA_16discard_iteratorINSA_11use_defaultEEESK_EEENSH_IJSG_SG_EEES6_PlJ7is_evenIsEEEE10hipError_tPvRmT3_T4_T5_T6_T7_T9_mT8_P12ihipStream_tbDpT10_ENKUlT_T0_E_clISt17integral_constantIbLb1EES19_EEDaS14_S15_EUlS14_E_NS1_11comp_targetILNS1_3genE3ELNS1_11target_archE908ELNS1_3gpuE7ELNS1_3repE0EEENS1_30default_config_static_selectorELNS0_4arch9wavefront6targetE1EEEvT1_,comdat
	.protected	_ZN7rocprim17ROCPRIM_400000_NS6detail17trampoline_kernelINS0_14default_configENS1_25partition_config_selectorILNS1_17partition_subalgoE0EsNS0_10empty_typeEbEEZZNS1_14partition_implILS5_0ELb0ES3_jN6thrust23THRUST_200600_302600_NS6detail15normal_iteratorINSA_10device_ptrIsEEEEPS6_SG_NS0_5tupleIJNSA_16discard_iteratorINSA_11use_defaultEEESK_EEENSH_IJSG_SG_EEES6_PlJ7is_evenIsEEEE10hipError_tPvRmT3_T4_T5_T6_T7_T9_mT8_P12ihipStream_tbDpT10_ENKUlT_T0_E_clISt17integral_constantIbLb1EES19_EEDaS14_S15_EUlS14_E_NS1_11comp_targetILNS1_3genE3ELNS1_11target_archE908ELNS1_3gpuE7ELNS1_3repE0EEENS1_30default_config_static_selectorELNS0_4arch9wavefront6targetE1EEEvT1_ ; -- Begin function _ZN7rocprim17ROCPRIM_400000_NS6detail17trampoline_kernelINS0_14default_configENS1_25partition_config_selectorILNS1_17partition_subalgoE0EsNS0_10empty_typeEbEEZZNS1_14partition_implILS5_0ELb0ES3_jN6thrust23THRUST_200600_302600_NS6detail15normal_iteratorINSA_10device_ptrIsEEEEPS6_SG_NS0_5tupleIJNSA_16discard_iteratorINSA_11use_defaultEEESK_EEENSH_IJSG_SG_EEES6_PlJ7is_evenIsEEEE10hipError_tPvRmT3_T4_T5_T6_T7_T9_mT8_P12ihipStream_tbDpT10_ENKUlT_T0_E_clISt17integral_constantIbLb1EES19_EEDaS14_S15_EUlS14_E_NS1_11comp_targetILNS1_3genE3ELNS1_11target_archE908ELNS1_3gpuE7ELNS1_3repE0EEENS1_30default_config_static_selectorELNS0_4arch9wavefront6targetE1EEEvT1_
	.globl	_ZN7rocprim17ROCPRIM_400000_NS6detail17trampoline_kernelINS0_14default_configENS1_25partition_config_selectorILNS1_17partition_subalgoE0EsNS0_10empty_typeEbEEZZNS1_14partition_implILS5_0ELb0ES3_jN6thrust23THRUST_200600_302600_NS6detail15normal_iteratorINSA_10device_ptrIsEEEEPS6_SG_NS0_5tupleIJNSA_16discard_iteratorINSA_11use_defaultEEESK_EEENSH_IJSG_SG_EEES6_PlJ7is_evenIsEEEE10hipError_tPvRmT3_T4_T5_T6_T7_T9_mT8_P12ihipStream_tbDpT10_ENKUlT_T0_E_clISt17integral_constantIbLb1EES19_EEDaS14_S15_EUlS14_E_NS1_11comp_targetILNS1_3genE3ELNS1_11target_archE908ELNS1_3gpuE7ELNS1_3repE0EEENS1_30default_config_static_selectorELNS0_4arch9wavefront6targetE1EEEvT1_
	.p2align	8
	.type	_ZN7rocprim17ROCPRIM_400000_NS6detail17trampoline_kernelINS0_14default_configENS1_25partition_config_selectorILNS1_17partition_subalgoE0EsNS0_10empty_typeEbEEZZNS1_14partition_implILS5_0ELb0ES3_jN6thrust23THRUST_200600_302600_NS6detail15normal_iteratorINSA_10device_ptrIsEEEEPS6_SG_NS0_5tupleIJNSA_16discard_iteratorINSA_11use_defaultEEESK_EEENSH_IJSG_SG_EEES6_PlJ7is_evenIsEEEE10hipError_tPvRmT3_T4_T5_T6_T7_T9_mT8_P12ihipStream_tbDpT10_ENKUlT_T0_E_clISt17integral_constantIbLb1EES19_EEDaS14_S15_EUlS14_E_NS1_11comp_targetILNS1_3genE3ELNS1_11target_archE908ELNS1_3gpuE7ELNS1_3repE0EEENS1_30default_config_static_selectorELNS0_4arch9wavefront6targetE1EEEvT1_,@function
_ZN7rocprim17ROCPRIM_400000_NS6detail17trampoline_kernelINS0_14default_configENS1_25partition_config_selectorILNS1_17partition_subalgoE0EsNS0_10empty_typeEbEEZZNS1_14partition_implILS5_0ELb0ES3_jN6thrust23THRUST_200600_302600_NS6detail15normal_iteratorINSA_10device_ptrIsEEEEPS6_SG_NS0_5tupleIJNSA_16discard_iteratorINSA_11use_defaultEEESK_EEENSH_IJSG_SG_EEES6_PlJ7is_evenIsEEEE10hipError_tPvRmT3_T4_T5_T6_T7_T9_mT8_P12ihipStream_tbDpT10_ENKUlT_T0_E_clISt17integral_constantIbLb1EES19_EEDaS14_S15_EUlS14_E_NS1_11comp_targetILNS1_3genE3ELNS1_11target_archE908ELNS1_3gpuE7ELNS1_3repE0EEENS1_30default_config_static_selectorELNS0_4arch9wavefront6targetE1EEEvT1_: ; @_ZN7rocprim17ROCPRIM_400000_NS6detail17trampoline_kernelINS0_14default_configENS1_25partition_config_selectorILNS1_17partition_subalgoE0EsNS0_10empty_typeEbEEZZNS1_14partition_implILS5_0ELb0ES3_jN6thrust23THRUST_200600_302600_NS6detail15normal_iteratorINSA_10device_ptrIsEEEEPS6_SG_NS0_5tupleIJNSA_16discard_iteratorINSA_11use_defaultEEESK_EEENSH_IJSG_SG_EEES6_PlJ7is_evenIsEEEE10hipError_tPvRmT3_T4_T5_T6_T7_T9_mT8_P12ihipStream_tbDpT10_ENKUlT_T0_E_clISt17integral_constantIbLb1EES19_EEDaS14_S15_EUlS14_E_NS1_11comp_targetILNS1_3genE3ELNS1_11target_archE908ELNS1_3gpuE7ELNS1_3repE0EEENS1_30default_config_static_selectorELNS0_4arch9wavefront6targetE1EEEvT1_
; %bb.0:
	.section	.rodata,"a",@progbits
	.p2align	6, 0x0
	.amdhsa_kernel _ZN7rocprim17ROCPRIM_400000_NS6detail17trampoline_kernelINS0_14default_configENS1_25partition_config_selectorILNS1_17partition_subalgoE0EsNS0_10empty_typeEbEEZZNS1_14partition_implILS5_0ELb0ES3_jN6thrust23THRUST_200600_302600_NS6detail15normal_iteratorINSA_10device_ptrIsEEEEPS6_SG_NS0_5tupleIJNSA_16discard_iteratorINSA_11use_defaultEEESK_EEENSH_IJSG_SG_EEES6_PlJ7is_evenIsEEEE10hipError_tPvRmT3_T4_T5_T6_T7_T9_mT8_P12ihipStream_tbDpT10_ENKUlT_T0_E_clISt17integral_constantIbLb1EES19_EEDaS14_S15_EUlS14_E_NS1_11comp_targetILNS1_3genE3ELNS1_11target_archE908ELNS1_3gpuE7ELNS1_3repE0EEENS1_30default_config_static_selectorELNS0_4arch9wavefront6targetE1EEEvT1_
		.amdhsa_group_segment_fixed_size 0
		.amdhsa_private_segment_fixed_size 0
		.amdhsa_kernarg_size 152
		.amdhsa_user_sgpr_count 2
		.amdhsa_user_sgpr_dispatch_ptr 0
		.amdhsa_user_sgpr_queue_ptr 0
		.amdhsa_user_sgpr_kernarg_segment_ptr 1
		.amdhsa_user_sgpr_dispatch_id 0
		.amdhsa_user_sgpr_kernarg_preload_length 0
		.amdhsa_user_sgpr_kernarg_preload_offset 0
		.amdhsa_user_sgpr_private_segment_size 0
		.amdhsa_uses_dynamic_stack 0
		.amdhsa_enable_private_segment 0
		.amdhsa_system_sgpr_workgroup_id_x 1
		.amdhsa_system_sgpr_workgroup_id_y 0
		.amdhsa_system_sgpr_workgroup_id_z 0
		.amdhsa_system_sgpr_workgroup_info 0
		.amdhsa_system_vgpr_workitem_id 0
		.amdhsa_next_free_vgpr 1
		.amdhsa_next_free_sgpr 0
		.amdhsa_accum_offset 4
		.amdhsa_reserve_vcc 0
		.amdhsa_float_round_mode_32 0
		.amdhsa_float_round_mode_16_64 0
		.amdhsa_float_denorm_mode_32 3
		.amdhsa_float_denorm_mode_16_64 3
		.amdhsa_dx10_clamp 1
		.amdhsa_ieee_mode 1
		.amdhsa_fp16_overflow 0
		.amdhsa_tg_split 0
		.amdhsa_exception_fp_ieee_invalid_op 0
		.amdhsa_exception_fp_denorm_src 0
		.amdhsa_exception_fp_ieee_div_zero 0
		.amdhsa_exception_fp_ieee_overflow 0
		.amdhsa_exception_fp_ieee_underflow 0
		.amdhsa_exception_fp_ieee_inexact 0
		.amdhsa_exception_int_div_zero 0
	.end_amdhsa_kernel
	.section	.text._ZN7rocprim17ROCPRIM_400000_NS6detail17trampoline_kernelINS0_14default_configENS1_25partition_config_selectorILNS1_17partition_subalgoE0EsNS0_10empty_typeEbEEZZNS1_14partition_implILS5_0ELb0ES3_jN6thrust23THRUST_200600_302600_NS6detail15normal_iteratorINSA_10device_ptrIsEEEEPS6_SG_NS0_5tupleIJNSA_16discard_iteratorINSA_11use_defaultEEESK_EEENSH_IJSG_SG_EEES6_PlJ7is_evenIsEEEE10hipError_tPvRmT3_T4_T5_T6_T7_T9_mT8_P12ihipStream_tbDpT10_ENKUlT_T0_E_clISt17integral_constantIbLb1EES19_EEDaS14_S15_EUlS14_E_NS1_11comp_targetILNS1_3genE3ELNS1_11target_archE908ELNS1_3gpuE7ELNS1_3repE0EEENS1_30default_config_static_selectorELNS0_4arch9wavefront6targetE1EEEvT1_,"axG",@progbits,_ZN7rocprim17ROCPRIM_400000_NS6detail17trampoline_kernelINS0_14default_configENS1_25partition_config_selectorILNS1_17partition_subalgoE0EsNS0_10empty_typeEbEEZZNS1_14partition_implILS5_0ELb0ES3_jN6thrust23THRUST_200600_302600_NS6detail15normal_iteratorINSA_10device_ptrIsEEEEPS6_SG_NS0_5tupleIJNSA_16discard_iteratorINSA_11use_defaultEEESK_EEENSH_IJSG_SG_EEES6_PlJ7is_evenIsEEEE10hipError_tPvRmT3_T4_T5_T6_T7_T9_mT8_P12ihipStream_tbDpT10_ENKUlT_T0_E_clISt17integral_constantIbLb1EES19_EEDaS14_S15_EUlS14_E_NS1_11comp_targetILNS1_3genE3ELNS1_11target_archE908ELNS1_3gpuE7ELNS1_3repE0EEENS1_30default_config_static_selectorELNS0_4arch9wavefront6targetE1EEEvT1_,comdat
.Lfunc_end2790:
	.size	_ZN7rocprim17ROCPRIM_400000_NS6detail17trampoline_kernelINS0_14default_configENS1_25partition_config_selectorILNS1_17partition_subalgoE0EsNS0_10empty_typeEbEEZZNS1_14partition_implILS5_0ELb0ES3_jN6thrust23THRUST_200600_302600_NS6detail15normal_iteratorINSA_10device_ptrIsEEEEPS6_SG_NS0_5tupleIJNSA_16discard_iteratorINSA_11use_defaultEEESK_EEENSH_IJSG_SG_EEES6_PlJ7is_evenIsEEEE10hipError_tPvRmT3_T4_T5_T6_T7_T9_mT8_P12ihipStream_tbDpT10_ENKUlT_T0_E_clISt17integral_constantIbLb1EES19_EEDaS14_S15_EUlS14_E_NS1_11comp_targetILNS1_3genE3ELNS1_11target_archE908ELNS1_3gpuE7ELNS1_3repE0EEENS1_30default_config_static_selectorELNS0_4arch9wavefront6targetE1EEEvT1_, .Lfunc_end2790-_ZN7rocprim17ROCPRIM_400000_NS6detail17trampoline_kernelINS0_14default_configENS1_25partition_config_selectorILNS1_17partition_subalgoE0EsNS0_10empty_typeEbEEZZNS1_14partition_implILS5_0ELb0ES3_jN6thrust23THRUST_200600_302600_NS6detail15normal_iteratorINSA_10device_ptrIsEEEEPS6_SG_NS0_5tupleIJNSA_16discard_iteratorINSA_11use_defaultEEESK_EEENSH_IJSG_SG_EEES6_PlJ7is_evenIsEEEE10hipError_tPvRmT3_T4_T5_T6_T7_T9_mT8_P12ihipStream_tbDpT10_ENKUlT_T0_E_clISt17integral_constantIbLb1EES19_EEDaS14_S15_EUlS14_E_NS1_11comp_targetILNS1_3genE3ELNS1_11target_archE908ELNS1_3gpuE7ELNS1_3repE0EEENS1_30default_config_static_selectorELNS0_4arch9wavefront6targetE1EEEvT1_
                                        ; -- End function
	.section	.AMDGPU.csdata,"",@progbits
; Kernel info:
; codeLenInByte = 0
; NumSgprs: 6
; NumVgprs: 0
; NumAgprs: 0
; TotalNumVgprs: 0
; ScratchSize: 0
; MemoryBound: 0
; FloatMode: 240
; IeeeMode: 1
; LDSByteSize: 0 bytes/workgroup (compile time only)
; SGPRBlocks: 0
; VGPRBlocks: 0
; NumSGPRsForWavesPerEU: 6
; NumVGPRsForWavesPerEU: 1
; AccumOffset: 4
; Occupancy: 8
; WaveLimiterHint : 0
; COMPUTE_PGM_RSRC2:SCRATCH_EN: 0
; COMPUTE_PGM_RSRC2:USER_SGPR: 2
; COMPUTE_PGM_RSRC2:TRAP_HANDLER: 0
; COMPUTE_PGM_RSRC2:TGID_X_EN: 1
; COMPUTE_PGM_RSRC2:TGID_Y_EN: 0
; COMPUTE_PGM_RSRC2:TGID_Z_EN: 0
; COMPUTE_PGM_RSRC2:TIDIG_COMP_CNT: 0
; COMPUTE_PGM_RSRC3_GFX90A:ACCUM_OFFSET: 0
; COMPUTE_PGM_RSRC3_GFX90A:TG_SPLIT: 0
	.section	.text._ZN7rocprim17ROCPRIM_400000_NS6detail17trampoline_kernelINS0_14default_configENS1_25partition_config_selectorILNS1_17partition_subalgoE0EsNS0_10empty_typeEbEEZZNS1_14partition_implILS5_0ELb0ES3_jN6thrust23THRUST_200600_302600_NS6detail15normal_iteratorINSA_10device_ptrIsEEEEPS6_SG_NS0_5tupleIJNSA_16discard_iteratorINSA_11use_defaultEEESK_EEENSH_IJSG_SG_EEES6_PlJ7is_evenIsEEEE10hipError_tPvRmT3_T4_T5_T6_T7_T9_mT8_P12ihipStream_tbDpT10_ENKUlT_T0_E_clISt17integral_constantIbLb1EES19_EEDaS14_S15_EUlS14_E_NS1_11comp_targetILNS1_3genE2ELNS1_11target_archE906ELNS1_3gpuE6ELNS1_3repE0EEENS1_30default_config_static_selectorELNS0_4arch9wavefront6targetE1EEEvT1_,"axG",@progbits,_ZN7rocprim17ROCPRIM_400000_NS6detail17trampoline_kernelINS0_14default_configENS1_25partition_config_selectorILNS1_17partition_subalgoE0EsNS0_10empty_typeEbEEZZNS1_14partition_implILS5_0ELb0ES3_jN6thrust23THRUST_200600_302600_NS6detail15normal_iteratorINSA_10device_ptrIsEEEEPS6_SG_NS0_5tupleIJNSA_16discard_iteratorINSA_11use_defaultEEESK_EEENSH_IJSG_SG_EEES6_PlJ7is_evenIsEEEE10hipError_tPvRmT3_T4_T5_T6_T7_T9_mT8_P12ihipStream_tbDpT10_ENKUlT_T0_E_clISt17integral_constantIbLb1EES19_EEDaS14_S15_EUlS14_E_NS1_11comp_targetILNS1_3genE2ELNS1_11target_archE906ELNS1_3gpuE6ELNS1_3repE0EEENS1_30default_config_static_selectorELNS0_4arch9wavefront6targetE1EEEvT1_,comdat
	.protected	_ZN7rocprim17ROCPRIM_400000_NS6detail17trampoline_kernelINS0_14default_configENS1_25partition_config_selectorILNS1_17partition_subalgoE0EsNS0_10empty_typeEbEEZZNS1_14partition_implILS5_0ELb0ES3_jN6thrust23THRUST_200600_302600_NS6detail15normal_iteratorINSA_10device_ptrIsEEEEPS6_SG_NS0_5tupleIJNSA_16discard_iteratorINSA_11use_defaultEEESK_EEENSH_IJSG_SG_EEES6_PlJ7is_evenIsEEEE10hipError_tPvRmT3_T4_T5_T6_T7_T9_mT8_P12ihipStream_tbDpT10_ENKUlT_T0_E_clISt17integral_constantIbLb1EES19_EEDaS14_S15_EUlS14_E_NS1_11comp_targetILNS1_3genE2ELNS1_11target_archE906ELNS1_3gpuE6ELNS1_3repE0EEENS1_30default_config_static_selectorELNS0_4arch9wavefront6targetE1EEEvT1_ ; -- Begin function _ZN7rocprim17ROCPRIM_400000_NS6detail17trampoline_kernelINS0_14default_configENS1_25partition_config_selectorILNS1_17partition_subalgoE0EsNS0_10empty_typeEbEEZZNS1_14partition_implILS5_0ELb0ES3_jN6thrust23THRUST_200600_302600_NS6detail15normal_iteratorINSA_10device_ptrIsEEEEPS6_SG_NS0_5tupleIJNSA_16discard_iteratorINSA_11use_defaultEEESK_EEENSH_IJSG_SG_EEES6_PlJ7is_evenIsEEEE10hipError_tPvRmT3_T4_T5_T6_T7_T9_mT8_P12ihipStream_tbDpT10_ENKUlT_T0_E_clISt17integral_constantIbLb1EES19_EEDaS14_S15_EUlS14_E_NS1_11comp_targetILNS1_3genE2ELNS1_11target_archE906ELNS1_3gpuE6ELNS1_3repE0EEENS1_30default_config_static_selectorELNS0_4arch9wavefront6targetE1EEEvT1_
	.globl	_ZN7rocprim17ROCPRIM_400000_NS6detail17trampoline_kernelINS0_14default_configENS1_25partition_config_selectorILNS1_17partition_subalgoE0EsNS0_10empty_typeEbEEZZNS1_14partition_implILS5_0ELb0ES3_jN6thrust23THRUST_200600_302600_NS6detail15normal_iteratorINSA_10device_ptrIsEEEEPS6_SG_NS0_5tupleIJNSA_16discard_iteratorINSA_11use_defaultEEESK_EEENSH_IJSG_SG_EEES6_PlJ7is_evenIsEEEE10hipError_tPvRmT3_T4_T5_T6_T7_T9_mT8_P12ihipStream_tbDpT10_ENKUlT_T0_E_clISt17integral_constantIbLb1EES19_EEDaS14_S15_EUlS14_E_NS1_11comp_targetILNS1_3genE2ELNS1_11target_archE906ELNS1_3gpuE6ELNS1_3repE0EEENS1_30default_config_static_selectorELNS0_4arch9wavefront6targetE1EEEvT1_
	.p2align	8
	.type	_ZN7rocprim17ROCPRIM_400000_NS6detail17trampoline_kernelINS0_14default_configENS1_25partition_config_selectorILNS1_17partition_subalgoE0EsNS0_10empty_typeEbEEZZNS1_14partition_implILS5_0ELb0ES3_jN6thrust23THRUST_200600_302600_NS6detail15normal_iteratorINSA_10device_ptrIsEEEEPS6_SG_NS0_5tupleIJNSA_16discard_iteratorINSA_11use_defaultEEESK_EEENSH_IJSG_SG_EEES6_PlJ7is_evenIsEEEE10hipError_tPvRmT3_T4_T5_T6_T7_T9_mT8_P12ihipStream_tbDpT10_ENKUlT_T0_E_clISt17integral_constantIbLb1EES19_EEDaS14_S15_EUlS14_E_NS1_11comp_targetILNS1_3genE2ELNS1_11target_archE906ELNS1_3gpuE6ELNS1_3repE0EEENS1_30default_config_static_selectorELNS0_4arch9wavefront6targetE1EEEvT1_,@function
_ZN7rocprim17ROCPRIM_400000_NS6detail17trampoline_kernelINS0_14default_configENS1_25partition_config_selectorILNS1_17partition_subalgoE0EsNS0_10empty_typeEbEEZZNS1_14partition_implILS5_0ELb0ES3_jN6thrust23THRUST_200600_302600_NS6detail15normal_iteratorINSA_10device_ptrIsEEEEPS6_SG_NS0_5tupleIJNSA_16discard_iteratorINSA_11use_defaultEEESK_EEENSH_IJSG_SG_EEES6_PlJ7is_evenIsEEEE10hipError_tPvRmT3_T4_T5_T6_T7_T9_mT8_P12ihipStream_tbDpT10_ENKUlT_T0_E_clISt17integral_constantIbLb1EES19_EEDaS14_S15_EUlS14_E_NS1_11comp_targetILNS1_3genE2ELNS1_11target_archE906ELNS1_3gpuE6ELNS1_3repE0EEENS1_30default_config_static_selectorELNS0_4arch9wavefront6targetE1EEEvT1_: ; @_ZN7rocprim17ROCPRIM_400000_NS6detail17trampoline_kernelINS0_14default_configENS1_25partition_config_selectorILNS1_17partition_subalgoE0EsNS0_10empty_typeEbEEZZNS1_14partition_implILS5_0ELb0ES3_jN6thrust23THRUST_200600_302600_NS6detail15normal_iteratorINSA_10device_ptrIsEEEEPS6_SG_NS0_5tupleIJNSA_16discard_iteratorINSA_11use_defaultEEESK_EEENSH_IJSG_SG_EEES6_PlJ7is_evenIsEEEE10hipError_tPvRmT3_T4_T5_T6_T7_T9_mT8_P12ihipStream_tbDpT10_ENKUlT_T0_E_clISt17integral_constantIbLb1EES19_EEDaS14_S15_EUlS14_E_NS1_11comp_targetILNS1_3genE2ELNS1_11target_archE906ELNS1_3gpuE6ELNS1_3repE0EEENS1_30default_config_static_selectorELNS0_4arch9wavefront6targetE1EEEvT1_
; %bb.0:
	.section	.rodata,"a",@progbits
	.p2align	6, 0x0
	.amdhsa_kernel _ZN7rocprim17ROCPRIM_400000_NS6detail17trampoline_kernelINS0_14default_configENS1_25partition_config_selectorILNS1_17partition_subalgoE0EsNS0_10empty_typeEbEEZZNS1_14partition_implILS5_0ELb0ES3_jN6thrust23THRUST_200600_302600_NS6detail15normal_iteratorINSA_10device_ptrIsEEEEPS6_SG_NS0_5tupleIJNSA_16discard_iteratorINSA_11use_defaultEEESK_EEENSH_IJSG_SG_EEES6_PlJ7is_evenIsEEEE10hipError_tPvRmT3_T4_T5_T6_T7_T9_mT8_P12ihipStream_tbDpT10_ENKUlT_T0_E_clISt17integral_constantIbLb1EES19_EEDaS14_S15_EUlS14_E_NS1_11comp_targetILNS1_3genE2ELNS1_11target_archE906ELNS1_3gpuE6ELNS1_3repE0EEENS1_30default_config_static_selectorELNS0_4arch9wavefront6targetE1EEEvT1_
		.amdhsa_group_segment_fixed_size 0
		.amdhsa_private_segment_fixed_size 0
		.amdhsa_kernarg_size 152
		.amdhsa_user_sgpr_count 2
		.amdhsa_user_sgpr_dispatch_ptr 0
		.amdhsa_user_sgpr_queue_ptr 0
		.amdhsa_user_sgpr_kernarg_segment_ptr 1
		.amdhsa_user_sgpr_dispatch_id 0
		.amdhsa_user_sgpr_kernarg_preload_length 0
		.amdhsa_user_sgpr_kernarg_preload_offset 0
		.amdhsa_user_sgpr_private_segment_size 0
		.amdhsa_uses_dynamic_stack 0
		.amdhsa_enable_private_segment 0
		.amdhsa_system_sgpr_workgroup_id_x 1
		.amdhsa_system_sgpr_workgroup_id_y 0
		.amdhsa_system_sgpr_workgroup_id_z 0
		.amdhsa_system_sgpr_workgroup_info 0
		.amdhsa_system_vgpr_workitem_id 0
		.amdhsa_next_free_vgpr 1
		.amdhsa_next_free_sgpr 0
		.amdhsa_accum_offset 4
		.amdhsa_reserve_vcc 0
		.amdhsa_float_round_mode_32 0
		.amdhsa_float_round_mode_16_64 0
		.amdhsa_float_denorm_mode_32 3
		.amdhsa_float_denorm_mode_16_64 3
		.amdhsa_dx10_clamp 1
		.amdhsa_ieee_mode 1
		.amdhsa_fp16_overflow 0
		.amdhsa_tg_split 0
		.amdhsa_exception_fp_ieee_invalid_op 0
		.amdhsa_exception_fp_denorm_src 0
		.amdhsa_exception_fp_ieee_div_zero 0
		.amdhsa_exception_fp_ieee_overflow 0
		.amdhsa_exception_fp_ieee_underflow 0
		.amdhsa_exception_fp_ieee_inexact 0
		.amdhsa_exception_int_div_zero 0
	.end_amdhsa_kernel
	.section	.text._ZN7rocprim17ROCPRIM_400000_NS6detail17trampoline_kernelINS0_14default_configENS1_25partition_config_selectorILNS1_17partition_subalgoE0EsNS0_10empty_typeEbEEZZNS1_14partition_implILS5_0ELb0ES3_jN6thrust23THRUST_200600_302600_NS6detail15normal_iteratorINSA_10device_ptrIsEEEEPS6_SG_NS0_5tupleIJNSA_16discard_iteratorINSA_11use_defaultEEESK_EEENSH_IJSG_SG_EEES6_PlJ7is_evenIsEEEE10hipError_tPvRmT3_T4_T5_T6_T7_T9_mT8_P12ihipStream_tbDpT10_ENKUlT_T0_E_clISt17integral_constantIbLb1EES19_EEDaS14_S15_EUlS14_E_NS1_11comp_targetILNS1_3genE2ELNS1_11target_archE906ELNS1_3gpuE6ELNS1_3repE0EEENS1_30default_config_static_selectorELNS0_4arch9wavefront6targetE1EEEvT1_,"axG",@progbits,_ZN7rocprim17ROCPRIM_400000_NS6detail17trampoline_kernelINS0_14default_configENS1_25partition_config_selectorILNS1_17partition_subalgoE0EsNS0_10empty_typeEbEEZZNS1_14partition_implILS5_0ELb0ES3_jN6thrust23THRUST_200600_302600_NS6detail15normal_iteratorINSA_10device_ptrIsEEEEPS6_SG_NS0_5tupleIJNSA_16discard_iteratorINSA_11use_defaultEEESK_EEENSH_IJSG_SG_EEES6_PlJ7is_evenIsEEEE10hipError_tPvRmT3_T4_T5_T6_T7_T9_mT8_P12ihipStream_tbDpT10_ENKUlT_T0_E_clISt17integral_constantIbLb1EES19_EEDaS14_S15_EUlS14_E_NS1_11comp_targetILNS1_3genE2ELNS1_11target_archE906ELNS1_3gpuE6ELNS1_3repE0EEENS1_30default_config_static_selectorELNS0_4arch9wavefront6targetE1EEEvT1_,comdat
.Lfunc_end2791:
	.size	_ZN7rocprim17ROCPRIM_400000_NS6detail17trampoline_kernelINS0_14default_configENS1_25partition_config_selectorILNS1_17partition_subalgoE0EsNS0_10empty_typeEbEEZZNS1_14partition_implILS5_0ELb0ES3_jN6thrust23THRUST_200600_302600_NS6detail15normal_iteratorINSA_10device_ptrIsEEEEPS6_SG_NS0_5tupleIJNSA_16discard_iteratorINSA_11use_defaultEEESK_EEENSH_IJSG_SG_EEES6_PlJ7is_evenIsEEEE10hipError_tPvRmT3_T4_T5_T6_T7_T9_mT8_P12ihipStream_tbDpT10_ENKUlT_T0_E_clISt17integral_constantIbLb1EES19_EEDaS14_S15_EUlS14_E_NS1_11comp_targetILNS1_3genE2ELNS1_11target_archE906ELNS1_3gpuE6ELNS1_3repE0EEENS1_30default_config_static_selectorELNS0_4arch9wavefront6targetE1EEEvT1_, .Lfunc_end2791-_ZN7rocprim17ROCPRIM_400000_NS6detail17trampoline_kernelINS0_14default_configENS1_25partition_config_selectorILNS1_17partition_subalgoE0EsNS0_10empty_typeEbEEZZNS1_14partition_implILS5_0ELb0ES3_jN6thrust23THRUST_200600_302600_NS6detail15normal_iteratorINSA_10device_ptrIsEEEEPS6_SG_NS0_5tupleIJNSA_16discard_iteratorINSA_11use_defaultEEESK_EEENSH_IJSG_SG_EEES6_PlJ7is_evenIsEEEE10hipError_tPvRmT3_T4_T5_T6_T7_T9_mT8_P12ihipStream_tbDpT10_ENKUlT_T0_E_clISt17integral_constantIbLb1EES19_EEDaS14_S15_EUlS14_E_NS1_11comp_targetILNS1_3genE2ELNS1_11target_archE906ELNS1_3gpuE6ELNS1_3repE0EEENS1_30default_config_static_selectorELNS0_4arch9wavefront6targetE1EEEvT1_
                                        ; -- End function
	.section	.AMDGPU.csdata,"",@progbits
; Kernel info:
; codeLenInByte = 0
; NumSgprs: 6
; NumVgprs: 0
; NumAgprs: 0
; TotalNumVgprs: 0
; ScratchSize: 0
; MemoryBound: 0
; FloatMode: 240
; IeeeMode: 1
; LDSByteSize: 0 bytes/workgroup (compile time only)
; SGPRBlocks: 0
; VGPRBlocks: 0
; NumSGPRsForWavesPerEU: 6
; NumVGPRsForWavesPerEU: 1
; AccumOffset: 4
; Occupancy: 8
; WaveLimiterHint : 0
; COMPUTE_PGM_RSRC2:SCRATCH_EN: 0
; COMPUTE_PGM_RSRC2:USER_SGPR: 2
; COMPUTE_PGM_RSRC2:TRAP_HANDLER: 0
; COMPUTE_PGM_RSRC2:TGID_X_EN: 1
; COMPUTE_PGM_RSRC2:TGID_Y_EN: 0
; COMPUTE_PGM_RSRC2:TGID_Z_EN: 0
; COMPUTE_PGM_RSRC2:TIDIG_COMP_CNT: 0
; COMPUTE_PGM_RSRC3_GFX90A:ACCUM_OFFSET: 0
; COMPUTE_PGM_RSRC3_GFX90A:TG_SPLIT: 0
	.section	.text._ZN7rocprim17ROCPRIM_400000_NS6detail17trampoline_kernelINS0_14default_configENS1_25partition_config_selectorILNS1_17partition_subalgoE0EsNS0_10empty_typeEbEEZZNS1_14partition_implILS5_0ELb0ES3_jN6thrust23THRUST_200600_302600_NS6detail15normal_iteratorINSA_10device_ptrIsEEEEPS6_SG_NS0_5tupleIJNSA_16discard_iteratorINSA_11use_defaultEEESK_EEENSH_IJSG_SG_EEES6_PlJ7is_evenIsEEEE10hipError_tPvRmT3_T4_T5_T6_T7_T9_mT8_P12ihipStream_tbDpT10_ENKUlT_T0_E_clISt17integral_constantIbLb1EES19_EEDaS14_S15_EUlS14_E_NS1_11comp_targetILNS1_3genE10ELNS1_11target_archE1200ELNS1_3gpuE4ELNS1_3repE0EEENS1_30default_config_static_selectorELNS0_4arch9wavefront6targetE1EEEvT1_,"axG",@progbits,_ZN7rocprim17ROCPRIM_400000_NS6detail17trampoline_kernelINS0_14default_configENS1_25partition_config_selectorILNS1_17partition_subalgoE0EsNS0_10empty_typeEbEEZZNS1_14partition_implILS5_0ELb0ES3_jN6thrust23THRUST_200600_302600_NS6detail15normal_iteratorINSA_10device_ptrIsEEEEPS6_SG_NS0_5tupleIJNSA_16discard_iteratorINSA_11use_defaultEEESK_EEENSH_IJSG_SG_EEES6_PlJ7is_evenIsEEEE10hipError_tPvRmT3_T4_T5_T6_T7_T9_mT8_P12ihipStream_tbDpT10_ENKUlT_T0_E_clISt17integral_constantIbLb1EES19_EEDaS14_S15_EUlS14_E_NS1_11comp_targetILNS1_3genE10ELNS1_11target_archE1200ELNS1_3gpuE4ELNS1_3repE0EEENS1_30default_config_static_selectorELNS0_4arch9wavefront6targetE1EEEvT1_,comdat
	.protected	_ZN7rocprim17ROCPRIM_400000_NS6detail17trampoline_kernelINS0_14default_configENS1_25partition_config_selectorILNS1_17partition_subalgoE0EsNS0_10empty_typeEbEEZZNS1_14partition_implILS5_0ELb0ES3_jN6thrust23THRUST_200600_302600_NS6detail15normal_iteratorINSA_10device_ptrIsEEEEPS6_SG_NS0_5tupleIJNSA_16discard_iteratorINSA_11use_defaultEEESK_EEENSH_IJSG_SG_EEES6_PlJ7is_evenIsEEEE10hipError_tPvRmT3_T4_T5_T6_T7_T9_mT8_P12ihipStream_tbDpT10_ENKUlT_T0_E_clISt17integral_constantIbLb1EES19_EEDaS14_S15_EUlS14_E_NS1_11comp_targetILNS1_3genE10ELNS1_11target_archE1200ELNS1_3gpuE4ELNS1_3repE0EEENS1_30default_config_static_selectorELNS0_4arch9wavefront6targetE1EEEvT1_ ; -- Begin function _ZN7rocprim17ROCPRIM_400000_NS6detail17trampoline_kernelINS0_14default_configENS1_25partition_config_selectorILNS1_17partition_subalgoE0EsNS0_10empty_typeEbEEZZNS1_14partition_implILS5_0ELb0ES3_jN6thrust23THRUST_200600_302600_NS6detail15normal_iteratorINSA_10device_ptrIsEEEEPS6_SG_NS0_5tupleIJNSA_16discard_iteratorINSA_11use_defaultEEESK_EEENSH_IJSG_SG_EEES6_PlJ7is_evenIsEEEE10hipError_tPvRmT3_T4_T5_T6_T7_T9_mT8_P12ihipStream_tbDpT10_ENKUlT_T0_E_clISt17integral_constantIbLb1EES19_EEDaS14_S15_EUlS14_E_NS1_11comp_targetILNS1_3genE10ELNS1_11target_archE1200ELNS1_3gpuE4ELNS1_3repE0EEENS1_30default_config_static_selectorELNS0_4arch9wavefront6targetE1EEEvT1_
	.globl	_ZN7rocprim17ROCPRIM_400000_NS6detail17trampoline_kernelINS0_14default_configENS1_25partition_config_selectorILNS1_17partition_subalgoE0EsNS0_10empty_typeEbEEZZNS1_14partition_implILS5_0ELb0ES3_jN6thrust23THRUST_200600_302600_NS6detail15normal_iteratorINSA_10device_ptrIsEEEEPS6_SG_NS0_5tupleIJNSA_16discard_iteratorINSA_11use_defaultEEESK_EEENSH_IJSG_SG_EEES6_PlJ7is_evenIsEEEE10hipError_tPvRmT3_T4_T5_T6_T7_T9_mT8_P12ihipStream_tbDpT10_ENKUlT_T0_E_clISt17integral_constantIbLb1EES19_EEDaS14_S15_EUlS14_E_NS1_11comp_targetILNS1_3genE10ELNS1_11target_archE1200ELNS1_3gpuE4ELNS1_3repE0EEENS1_30default_config_static_selectorELNS0_4arch9wavefront6targetE1EEEvT1_
	.p2align	8
	.type	_ZN7rocprim17ROCPRIM_400000_NS6detail17trampoline_kernelINS0_14default_configENS1_25partition_config_selectorILNS1_17partition_subalgoE0EsNS0_10empty_typeEbEEZZNS1_14partition_implILS5_0ELb0ES3_jN6thrust23THRUST_200600_302600_NS6detail15normal_iteratorINSA_10device_ptrIsEEEEPS6_SG_NS0_5tupleIJNSA_16discard_iteratorINSA_11use_defaultEEESK_EEENSH_IJSG_SG_EEES6_PlJ7is_evenIsEEEE10hipError_tPvRmT3_T4_T5_T6_T7_T9_mT8_P12ihipStream_tbDpT10_ENKUlT_T0_E_clISt17integral_constantIbLb1EES19_EEDaS14_S15_EUlS14_E_NS1_11comp_targetILNS1_3genE10ELNS1_11target_archE1200ELNS1_3gpuE4ELNS1_3repE0EEENS1_30default_config_static_selectorELNS0_4arch9wavefront6targetE1EEEvT1_,@function
_ZN7rocprim17ROCPRIM_400000_NS6detail17trampoline_kernelINS0_14default_configENS1_25partition_config_selectorILNS1_17partition_subalgoE0EsNS0_10empty_typeEbEEZZNS1_14partition_implILS5_0ELb0ES3_jN6thrust23THRUST_200600_302600_NS6detail15normal_iteratorINSA_10device_ptrIsEEEEPS6_SG_NS0_5tupleIJNSA_16discard_iteratorINSA_11use_defaultEEESK_EEENSH_IJSG_SG_EEES6_PlJ7is_evenIsEEEE10hipError_tPvRmT3_T4_T5_T6_T7_T9_mT8_P12ihipStream_tbDpT10_ENKUlT_T0_E_clISt17integral_constantIbLb1EES19_EEDaS14_S15_EUlS14_E_NS1_11comp_targetILNS1_3genE10ELNS1_11target_archE1200ELNS1_3gpuE4ELNS1_3repE0EEENS1_30default_config_static_selectorELNS0_4arch9wavefront6targetE1EEEvT1_: ; @_ZN7rocprim17ROCPRIM_400000_NS6detail17trampoline_kernelINS0_14default_configENS1_25partition_config_selectorILNS1_17partition_subalgoE0EsNS0_10empty_typeEbEEZZNS1_14partition_implILS5_0ELb0ES3_jN6thrust23THRUST_200600_302600_NS6detail15normal_iteratorINSA_10device_ptrIsEEEEPS6_SG_NS0_5tupleIJNSA_16discard_iteratorINSA_11use_defaultEEESK_EEENSH_IJSG_SG_EEES6_PlJ7is_evenIsEEEE10hipError_tPvRmT3_T4_T5_T6_T7_T9_mT8_P12ihipStream_tbDpT10_ENKUlT_T0_E_clISt17integral_constantIbLb1EES19_EEDaS14_S15_EUlS14_E_NS1_11comp_targetILNS1_3genE10ELNS1_11target_archE1200ELNS1_3gpuE4ELNS1_3repE0EEENS1_30default_config_static_selectorELNS0_4arch9wavefront6targetE1EEEvT1_
; %bb.0:
	.section	.rodata,"a",@progbits
	.p2align	6, 0x0
	.amdhsa_kernel _ZN7rocprim17ROCPRIM_400000_NS6detail17trampoline_kernelINS0_14default_configENS1_25partition_config_selectorILNS1_17partition_subalgoE0EsNS0_10empty_typeEbEEZZNS1_14partition_implILS5_0ELb0ES3_jN6thrust23THRUST_200600_302600_NS6detail15normal_iteratorINSA_10device_ptrIsEEEEPS6_SG_NS0_5tupleIJNSA_16discard_iteratorINSA_11use_defaultEEESK_EEENSH_IJSG_SG_EEES6_PlJ7is_evenIsEEEE10hipError_tPvRmT3_T4_T5_T6_T7_T9_mT8_P12ihipStream_tbDpT10_ENKUlT_T0_E_clISt17integral_constantIbLb1EES19_EEDaS14_S15_EUlS14_E_NS1_11comp_targetILNS1_3genE10ELNS1_11target_archE1200ELNS1_3gpuE4ELNS1_3repE0EEENS1_30default_config_static_selectorELNS0_4arch9wavefront6targetE1EEEvT1_
		.amdhsa_group_segment_fixed_size 0
		.amdhsa_private_segment_fixed_size 0
		.amdhsa_kernarg_size 152
		.amdhsa_user_sgpr_count 2
		.amdhsa_user_sgpr_dispatch_ptr 0
		.amdhsa_user_sgpr_queue_ptr 0
		.amdhsa_user_sgpr_kernarg_segment_ptr 1
		.amdhsa_user_sgpr_dispatch_id 0
		.amdhsa_user_sgpr_kernarg_preload_length 0
		.amdhsa_user_sgpr_kernarg_preload_offset 0
		.amdhsa_user_sgpr_private_segment_size 0
		.amdhsa_uses_dynamic_stack 0
		.amdhsa_enable_private_segment 0
		.amdhsa_system_sgpr_workgroup_id_x 1
		.amdhsa_system_sgpr_workgroup_id_y 0
		.amdhsa_system_sgpr_workgroup_id_z 0
		.amdhsa_system_sgpr_workgroup_info 0
		.amdhsa_system_vgpr_workitem_id 0
		.amdhsa_next_free_vgpr 1
		.amdhsa_next_free_sgpr 0
		.amdhsa_accum_offset 4
		.amdhsa_reserve_vcc 0
		.amdhsa_float_round_mode_32 0
		.amdhsa_float_round_mode_16_64 0
		.amdhsa_float_denorm_mode_32 3
		.amdhsa_float_denorm_mode_16_64 3
		.amdhsa_dx10_clamp 1
		.amdhsa_ieee_mode 1
		.amdhsa_fp16_overflow 0
		.amdhsa_tg_split 0
		.amdhsa_exception_fp_ieee_invalid_op 0
		.amdhsa_exception_fp_denorm_src 0
		.amdhsa_exception_fp_ieee_div_zero 0
		.amdhsa_exception_fp_ieee_overflow 0
		.amdhsa_exception_fp_ieee_underflow 0
		.amdhsa_exception_fp_ieee_inexact 0
		.amdhsa_exception_int_div_zero 0
	.end_amdhsa_kernel
	.section	.text._ZN7rocprim17ROCPRIM_400000_NS6detail17trampoline_kernelINS0_14default_configENS1_25partition_config_selectorILNS1_17partition_subalgoE0EsNS0_10empty_typeEbEEZZNS1_14partition_implILS5_0ELb0ES3_jN6thrust23THRUST_200600_302600_NS6detail15normal_iteratorINSA_10device_ptrIsEEEEPS6_SG_NS0_5tupleIJNSA_16discard_iteratorINSA_11use_defaultEEESK_EEENSH_IJSG_SG_EEES6_PlJ7is_evenIsEEEE10hipError_tPvRmT3_T4_T5_T6_T7_T9_mT8_P12ihipStream_tbDpT10_ENKUlT_T0_E_clISt17integral_constantIbLb1EES19_EEDaS14_S15_EUlS14_E_NS1_11comp_targetILNS1_3genE10ELNS1_11target_archE1200ELNS1_3gpuE4ELNS1_3repE0EEENS1_30default_config_static_selectorELNS0_4arch9wavefront6targetE1EEEvT1_,"axG",@progbits,_ZN7rocprim17ROCPRIM_400000_NS6detail17trampoline_kernelINS0_14default_configENS1_25partition_config_selectorILNS1_17partition_subalgoE0EsNS0_10empty_typeEbEEZZNS1_14partition_implILS5_0ELb0ES3_jN6thrust23THRUST_200600_302600_NS6detail15normal_iteratorINSA_10device_ptrIsEEEEPS6_SG_NS0_5tupleIJNSA_16discard_iteratorINSA_11use_defaultEEESK_EEENSH_IJSG_SG_EEES6_PlJ7is_evenIsEEEE10hipError_tPvRmT3_T4_T5_T6_T7_T9_mT8_P12ihipStream_tbDpT10_ENKUlT_T0_E_clISt17integral_constantIbLb1EES19_EEDaS14_S15_EUlS14_E_NS1_11comp_targetILNS1_3genE10ELNS1_11target_archE1200ELNS1_3gpuE4ELNS1_3repE0EEENS1_30default_config_static_selectorELNS0_4arch9wavefront6targetE1EEEvT1_,comdat
.Lfunc_end2792:
	.size	_ZN7rocprim17ROCPRIM_400000_NS6detail17trampoline_kernelINS0_14default_configENS1_25partition_config_selectorILNS1_17partition_subalgoE0EsNS0_10empty_typeEbEEZZNS1_14partition_implILS5_0ELb0ES3_jN6thrust23THRUST_200600_302600_NS6detail15normal_iteratorINSA_10device_ptrIsEEEEPS6_SG_NS0_5tupleIJNSA_16discard_iteratorINSA_11use_defaultEEESK_EEENSH_IJSG_SG_EEES6_PlJ7is_evenIsEEEE10hipError_tPvRmT3_T4_T5_T6_T7_T9_mT8_P12ihipStream_tbDpT10_ENKUlT_T0_E_clISt17integral_constantIbLb1EES19_EEDaS14_S15_EUlS14_E_NS1_11comp_targetILNS1_3genE10ELNS1_11target_archE1200ELNS1_3gpuE4ELNS1_3repE0EEENS1_30default_config_static_selectorELNS0_4arch9wavefront6targetE1EEEvT1_, .Lfunc_end2792-_ZN7rocprim17ROCPRIM_400000_NS6detail17trampoline_kernelINS0_14default_configENS1_25partition_config_selectorILNS1_17partition_subalgoE0EsNS0_10empty_typeEbEEZZNS1_14partition_implILS5_0ELb0ES3_jN6thrust23THRUST_200600_302600_NS6detail15normal_iteratorINSA_10device_ptrIsEEEEPS6_SG_NS0_5tupleIJNSA_16discard_iteratorINSA_11use_defaultEEESK_EEENSH_IJSG_SG_EEES6_PlJ7is_evenIsEEEE10hipError_tPvRmT3_T4_T5_T6_T7_T9_mT8_P12ihipStream_tbDpT10_ENKUlT_T0_E_clISt17integral_constantIbLb1EES19_EEDaS14_S15_EUlS14_E_NS1_11comp_targetILNS1_3genE10ELNS1_11target_archE1200ELNS1_3gpuE4ELNS1_3repE0EEENS1_30default_config_static_selectorELNS0_4arch9wavefront6targetE1EEEvT1_
                                        ; -- End function
	.section	.AMDGPU.csdata,"",@progbits
; Kernel info:
; codeLenInByte = 0
; NumSgprs: 6
; NumVgprs: 0
; NumAgprs: 0
; TotalNumVgprs: 0
; ScratchSize: 0
; MemoryBound: 0
; FloatMode: 240
; IeeeMode: 1
; LDSByteSize: 0 bytes/workgroup (compile time only)
; SGPRBlocks: 0
; VGPRBlocks: 0
; NumSGPRsForWavesPerEU: 6
; NumVGPRsForWavesPerEU: 1
; AccumOffset: 4
; Occupancy: 8
; WaveLimiterHint : 0
; COMPUTE_PGM_RSRC2:SCRATCH_EN: 0
; COMPUTE_PGM_RSRC2:USER_SGPR: 2
; COMPUTE_PGM_RSRC2:TRAP_HANDLER: 0
; COMPUTE_PGM_RSRC2:TGID_X_EN: 1
; COMPUTE_PGM_RSRC2:TGID_Y_EN: 0
; COMPUTE_PGM_RSRC2:TGID_Z_EN: 0
; COMPUTE_PGM_RSRC2:TIDIG_COMP_CNT: 0
; COMPUTE_PGM_RSRC3_GFX90A:ACCUM_OFFSET: 0
; COMPUTE_PGM_RSRC3_GFX90A:TG_SPLIT: 0
	.section	.text._ZN7rocprim17ROCPRIM_400000_NS6detail17trampoline_kernelINS0_14default_configENS1_25partition_config_selectorILNS1_17partition_subalgoE0EsNS0_10empty_typeEbEEZZNS1_14partition_implILS5_0ELb0ES3_jN6thrust23THRUST_200600_302600_NS6detail15normal_iteratorINSA_10device_ptrIsEEEEPS6_SG_NS0_5tupleIJNSA_16discard_iteratorINSA_11use_defaultEEESK_EEENSH_IJSG_SG_EEES6_PlJ7is_evenIsEEEE10hipError_tPvRmT3_T4_T5_T6_T7_T9_mT8_P12ihipStream_tbDpT10_ENKUlT_T0_E_clISt17integral_constantIbLb1EES19_EEDaS14_S15_EUlS14_E_NS1_11comp_targetILNS1_3genE9ELNS1_11target_archE1100ELNS1_3gpuE3ELNS1_3repE0EEENS1_30default_config_static_selectorELNS0_4arch9wavefront6targetE1EEEvT1_,"axG",@progbits,_ZN7rocprim17ROCPRIM_400000_NS6detail17trampoline_kernelINS0_14default_configENS1_25partition_config_selectorILNS1_17partition_subalgoE0EsNS0_10empty_typeEbEEZZNS1_14partition_implILS5_0ELb0ES3_jN6thrust23THRUST_200600_302600_NS6detail15normal_iteratorINSA_10device_ptrIsEEEEPS6_SG_NS0_5tupleIJNSA_16discard_iteratorINSA_11use_defaultEEESK_EEENSH_IJSG_SG_EEES6_PlJ7is_evenIsEEEE10hipError_tPvRmT3_T4_T5_T6_T7_T9_mT8_P12ihipStream_tbDpT10_ENKUlT_T0_E_clISt17integral_constantIbLb1EES19_EEDaS14_S15_EUlS14_E_NS1_11comp_targetILNS1_3genE9ELNS1_11target_archE1100ELNS1_3gpuE3ELNS1_3repE0EEENS1_30default_config_static_selectorELNS0_4arch9wavefront6targetE1EEEvT1_,comdat
	.protected	_ZN7rocprim17ROCPRIM_400000_NS6detail17trampoline_kernelINS0_14default_configENS1_25partition_config_selectorILNS1_17partition_subalgoE0EsNS0_10empty_typeEbEEZZNS1_14partition_implILS5_0ELb0ES3_jN6thrust23THRUST_200600_302600_NS6detail15normal_iteratorINSA_10device_ptrIsEEEEPS6_SG_NS0_5tupleIJNSA_16discard_iteratorINSA_11use_defaultEEESK_EEENSH_IJSG_SG_EEES6_PlJ7is_evenIsEEEE10hipError_tPvRmT3_T4_T5_T6_T7_T9_mT8_P12ihipStream_tbDpT10_ENKUlT_T0_E_clISt17integral_constantIbLb1EES19_EEDaS14_S15_EUlS14_E_NS1_11comp_targetILNS1_3genE9ELNS1_11target_archE1100ELNS1_3gpuE3ELNS1_3repE0EEENS1_30default_config_static_selectorELNS0_4arch9wavefront6targetE1EEEvT1_ ; -- Begin function _ZN7rocprim17ROCPRIM_400000_NS6detail17trampoline_kernelINS0_14default_configENS1_25partition_config_selectorILNS1_17partition_subalgoE0EsNS0_10empty_typeEbEEZZNS1_14partition_implILS5_0ELb0ES3_jN6thrust23THRUST_200600_302600_NS6detail15normal_iteratorINSA_10device_ptrIsEEEEPS6_SG_NS0_5tupleIJNSA_16discard_iteratorINSA_11use_defaultEEESK_EEENSH_IJSG_SG_EEES6_PlJ7is_evenIsEEEE10hipError_tPvRmT3_T4_T5_T6_T7_T9_mT8_P12ihipStream_tbDpT10_ENKUlT_T0_E_clISt17integral_constantIbLb1EES19_EEDaS14_S15_EUlS14_E_NS1_11comp_targetILNS1_3genE9ELNS1_11target_archE1100ELNS1_3gpuE3ELNS1_3repE0EEENS1_30default_config_static_selectorELNS0_4arch9wavefront6targetE1EEEvT1_
	.globl	_ZN7rocprim17ROCPRIM_400000_NS6detail17trampoline_kernelINS0_14default_configENS1_25partition_config_selectorILNS1_17partition_subalgoE0EsNS0_10empty_typeEbEEZZNS1_14partition_implILS5_0ELb0ES3_jN6thrust23THRUST_200600_302600_NS6detail15normal_iteratorINSA_10device_ptrIsEEEEPS6_SG_NS0_5tupleIJNSA_16discard_iteratorINSA_11use_defaultEEESK_EEENSH_IJSG_SG_EEES6_PlJ7is_evenIsEEEE10hipError_tPvRmT3_T4_T5_T6_T7_T9_mT8_P12ihipStream_tbDpT10_ENKUlT_T0_E_clISt17integral_constantIbLb1EES19_EEDaS14_S15_EUlS14_E_NS1_11comp_targetILNS1_3genE9ELNS1_11target_archE1100ELNS1_3gpuE3ELNS1_3repE0EEENS1_30default_config_static_selectorELNS0_4arch9wavefront6targetE1EEEvT1_
	.p2align	8
	.type	_ZN7rocprim17ROCPRIM_400000_NS6detail17trampoline_kernelINS0_14default_configENS1_25partition_config_selectorILNS1_17partition_subalgoE0EsNS0_10empty_typeEbEEZZNS1_14partition_implILS5_0ELb0ES3_jN6thrust23THRUST_200600_302600_NS6detail15normal_iteratorINSA_10device_ptrIsEEEEPS6_SG_NS0_5tupleIJNSA_16discard_iteratorINSA_11use_defaultEEESK_EEENSH_IJSG_SG_EEES6_PlJ7is_evenIsEEEE10hipError_tPvRmT3_T4_T5_T6_T7_T9_mT8_P12ihipStream_tbDpT10_ENKUlT_T0_E_clISt17integral_constantIbLb1EES19_EEDaS14_S15_EUlS14_E_NS1_11comp_targetILNS1_3genE9ELNS1_11target_archE1100ELNS1_3gpuE3ELNS1_3repE0EEENS1_30default_config_static_selectorELNS0_4arch9wavefront6targetE1EEEvT1_,@function
_ZN7rocprim17ROCPRIM_400000_NS6detail17trampoline_kernelINS0_14default_configENS1_25partition_config_selectorILNS1_17partition_subalgoE0EsNS0_10empty_typeEbEEZZNS1_14partition_implILS5_0ELb0ES3_jN6thrust23THRUST_200600_302600_NS6detail15normal_iteratorINSA_10device_ptrIsEEEEPS6_SG_NS0_5tupleIJNSA_16discard_iteratorINSA_11use_defaultEEESK_EEENSH_IJSG_SG_EEES6_PlJ7is_evenIsEEEE10hipError_tPvRmT3_T4_T5_T6_T7_T9_mT8_P12ihipStream_tbDpT10_ENKUlT_T0_E_clISt17integral_constantIbLb1EES19_EEDaS14_S15_EUlS14_E_NS1_11comp_targetILNS1_3genE9ELNS1_11target_archE1100ELNS1_3gpuE3ELNS1_3repE0EEENS1_30default_config_static_selectorELNS0_4arch9wavefront6targetE1EEEvT1_: ; @_ZN7rocprim17ROCPRIM_400000_NS6detail17trampoline_kernelINS0_14default_configENS1_25partition_config_selectorILNS1_17partition_subalgoE0EsNS0_10empty_typeEbEEZZNS1_14partition_implILS5_0ELb0ES3_jN6thrust23THRUST_200600_302600_NS6detail15normal_iteratorINSA_10device_ptrIsEEEEPS6_SG_NS0_5tupleIJNSA_16discard_iteratorINSA_11use_defaultEEESK_EEENSH_IJSG_SG_EEES6_PlJ7is_evenIsEEEE10hipError_tPvRmT3_T4_T5_T6_T7_T9_mT8_P12ihipStream_tbDpT10_ENKUlT_T0_E_clISt17integral_constantIbLb1EES19_EEDaS14_S15_EUlS14_E_NS1_11comp_targetILNS1_3genE9ELNS1_11target_archE1100ELNS1_3gpuE3ELNS1_3repE0EEENS1_30default_config_static_selectorELNS0_4arch9wavefront6targetE1EEEvT1_
; %bb.0:
	.section	.rodata,"a",@progbits
	.p2align	6, 0x0
	.amdhsa_kernel _ZN7rocprim17ROCPRIM_400000_NS6detail17trampoline_kernelINS0_14default_configENS1_25partition_config_selectorILNS1_17partition_subalgoE0EsNS0_10empty_typeEbEEZZNS1_14partition_implILS5_0ELb0ES3_jN6thrust23THRUST_200600_302600_NS6detail15normal_iteratorINSA_10device_ptrIsEEEEPS6_SG_NS0_5tupleIJNSA_16discard_iteratorINSA_11use_defaultEEESK_EEENSH_IJSG_SG_EEES6_PlJ7is_evenIsEEEE10hipError_tPvRmT3_T4_T5_T6_T7_T9_mT8_P12ihipStream_tbDpT10_ENKUlT_T0_E_clISt17integral_constantIbLb1EES19_EEDaS14_S15_EUlS14_E_NS1_11comp_targetILNS1_3genE9ELNS1_11target_archE1100ELNS1_3gpuE3ELNS1_3repE0EEENS1_30default_config_static_selectorELNS0_4arch9wavefront6targetE1EEEvT1_
		.amdhsa_group_segment_fixed_size 0
		.amdhsa_private_segment_fixed_size 0
		.amdhsa_kernarg_size 152
		.amdhsa_user_sgpr_count 2
		.amdhsa_user_sgpr_dispatch_ptr 0
		.amdhsa_user_sgpr_queue_ptr 0
		.amdhsa_user_sgpr_kernarg_segment_ptr 1
		.amdhsa_user_sgpr_dispatch_id 0
		.amdhsa_user_sgpr_kernarg_preload_length 0
		.amdhsa_user_sgpr_kernarg_preload_offset 0
		.amdhsa_user_sgpr_private_segment_size 0
		.amdhsa_uses_dynamic_stack 0
		.amdhsa_enable_private_segment 0
		.amdhsa_system_sgpr_workgroup_id_x 1
		.amdhsa_system_sgpr_workgroup_id_y 0
		.amdhsa_system_sgpr_workgroup_id_z 0
		.amdhsa_system_sgpr_workgroup_info 0
		.amdhsa_system_vgpr_workitem_id 0
		.amdhsa_next_free_vgpr 1
		.amdhsa_next_free_sgpr 0
		.amdhsa_accum_offset 4
		.amdhsa_reserve_vcc 0
		.amdhsa_float_round_mode_32 0
		.amdhsa_float_round_mode_16_64 0
		.amdhsa_float_denorm_mode_32 3
		.amdhsa_float_denorm_mode_16_64 3
		.amdhsa_dx10_clamp 1
		.amdhsa_ieee_mode 1
		.amdhsa_fp16_overflow 0
		.amdhsa_tg_split 0
		.amdhsa_exception_fp_ieee_invalid_op 0
		.amdhsa_exception_fp_denorm_src 0
		.amdhsa_exception_fp_ieee_div_zero 0
		.amdhsa_exception_fp_ieee_overflow 0
		.amdhsa_exception_fp_ieee_underflow 0
		.amdhsa_exception_fp_ieee_inexact 0
		.amdhsa_exception_int_div_zero 0
	.end_amdhsa_kernel
	.section	.text._ZN7rocprim17ROCPRIM_400000_NS6detail17trampoline_kernelINS0_14default_configENS1_25partition_config_selectorILNS1_17partition_subalgoE0EsNS0_10empty_typeEbEEZZNS1_14partition_implILS5_0ELb0ES3_jN6thrust23THRUST_200600_302600_NS6detail15normal_iteratorINSA_10device_ptrIsEEEEPS6_SG_NS0_5tupleIJNSA_16discard_iteratorINSA_11use_defaultEEESK_EEENSH_IJSG_SG_EEES6_PlJ7is_evenIsEEEE10hipError_tPvRmT3_T4_T5_T6_T7_T9_mT8_P12ihipStream_tbDpT10_ENKUlT_T0_E_clISt17integral_constantIbLb1EES19_EEDaS14_S15_EUlS14_E_NS1_11comp_targetILNS1_3genE9ELNS1_11target_archE1100ELNS1_3gpuE3ELNS1_3repE0EEENS1_30default_config_static_selectorELNS0_4arch9wavefront6targetE1EEEvT1_,"axG",@progbits,_ZN7rocprim17ROCPRIM_400000_NS6detail17trampoline_kernelINS0_14default_configENS1_25partition_config_selectorILNS1_17partition_subalgoE0EsNS0_10empty_typeEbEEZZNS1_14partition_implILS5_0ELb0ES3_jN6thrust23THRUST_200600_302600_NS6detail15normal_iteratorINSA_10device_ptrIsEEEEPS6_SG_NS0_5tupleIJNSA_16discard_iteratorINSA_11use_defaultEEESK_EEENSH_IJSG_SG_EEES6_PlJ7is_evenIsEEEE10hipError_tPvRmT3_T4_T5_T6_T7_T9_mT8_P12ihipStream_tbDpT10_ENKUlT_T0_E_clISt17integral_constantIbLb1EES19_EEDaS14_S15_EUlS14_E_NS1_11comp_targetILNS1_3genE9ELNS1_11target_archE1100ELNS1_3gpuE3ELNS1_3repE0EEENS1_30default_config_static_selectorELNS0_4arch9wavefront6targetE1EEEvT1_,comdat
.Lfunc_end2793:
	.size	_ZN7rocprim17ROCPRIM_400000_NS6detail17trampoline_kernelINS0_14default_configENS1_25partition_config_selectorILNS1_17partition_subalgoE0EsNS0_10empty_typeEbEEZZNS1_14partition_implILS5_0ELb0ES3_jN6thrust23THRUST_200600_302600_NS6detail15normal_iteratorINSA_10device_ptrIsEEEEPS6_SG_NS0_5tupleIJNSA_16discard_iteratorINSA_11use_defaultEEESK_EEENSH_IJSG_SG_EEES6_PlJ7is_evenIsEEEE10hipError_tPvRmT3_T4_T5_T6_T7_T9_mT8_P12ihipStream_tbDpT10_ENKUlT_T0_E_clISt17integral_constantIbLb1EES19_EEDaS14_S15_EUlS14_E_NS1_11comp_targetILNS1_3genE9ELNS1_11target_archE1100ELNS1_3gpuE3ELNS1_3repE0EEENS1_30default_config_static_selectorELNS0_4arch9wavefront6targetE1EEEvT1_, .Lfunc_end2793-_ZN7rocprim17ROCPRIM_400000_NS6detail17trampoline_kernelINS0_14default_configENS1_25partition_config_selectorILNS1_17partition_subalgoE0EsNS0_10empty_typeEbEEZZNS1_14partition_implILS5_0ELb0ES3_jN6thrust23THRUST_200600_302600_NS6detail15normal_iteratorINSA_10device_ptrIsEEEEPS6_SG_NS0_5tupleIJNSA_16discard_iteratorINSA_11use_defaultEEESK_EEENSH_IJSG_SG_EEES6_PlJ7is_evenIsEEEE10hipError_tPvRmT3_T4_T5_T6_T7_T9_mT8_P12ihipStream_tbDpT10_ENKUlT_T0_E_clISt17integral_constantIbLb1EES19_EEDaS14_S15_EUlS14_E_NS1_11comp_targetILNS1_3genE9ELNS1_11target_archE1100ELNS1_3gpuE3ELNS1_3repE0EEENS1_30default_config_static_selectorELNS0_4arch9wavefront6targetE1EEEvT1_
                                        ; -- End function
	.section	.AMDGPU.csdata,"",@progbits
; Kernel info:
; codeLenInByte = 0
; NumSgprs: 6
; NumVgprs: 0
; NumAgprs: 0
; TotalNumVgprs: 0
; ScratchSize: 0
; MemoryBound: 0
; FloatMode: 240
; IeeeMode: 1
; LDSByteSize: 0 bytes/workgroup (compile time only)
; SGPRBlocks: 0
; VGPRBlocks: 0
; NumSGPRsForWavesPerEU: 6
; NumVGPRsForWavesPerEU: 1
; AccumOffset: 4
; Occupancy: 8
; WaveLimiterHint : 0
; COMPUTE_PGM_RSRC2:SCRATCH_EN: 0
; COMPUTE_PGM_RSRC2:USER_SGPR: 2
; COMPUTE_PGM_RSRC2:TRAP_HANDLER: 0
; COMPUTE_PGM_RSRC2:TGID_X_EN: 1
; COMPUTE_PGM_RSRC2:TGID_Y_EN: 0
; COMPUTE_PGM_RSRC2:TGID_Z_EN: 0
; COMPUTE_PGM_RSRC2:TIDIG_COMP_CNT: 0
; COMPUTE_PGM_RSRC3_GFX90A:ACCUM_OFFSET: 0
; COMPUTE_PGM_RSRC3_GFX90A:TG_SPLIT: 0
	.section	.text._ZN7rocprim17ROCPRIM_400000_NS6detail17trampoline_kernelINS0_14default_configENS1_25partition_config_selectorILNS1_17partition_subalgoE0EsNS0_10empty_typeEbEEZZNS1_14partition_implILS5_0ELb0ES3_jN6thrust23THRUST_200600_302600_NS6detail15normal_iteratorINSA_10device_ptrIsEEEEPS6_SG_NS0_5tupleIJNSA_16discard_iteratorINSA_11use_defaultEEESK_EEENSH_IJSG_SG_EEES6_PlJ7is_evenIsEEEE10hipError_tPvRmT3_T4_T5_T6_T7_T9_mT8_P12ihipStream_tbDpT10_ENKUlT_T0_E_clISt17integral_constantIbLb1EES19_EEDaS14_S15_EUlS14_E_NS1_11comp_targetILNS1_3genE8ELNS1_11target_archE1030ELNS1_3gpuE2ELNS1_3repE0EEENS1_30default_config_static_selectorELNS0_4arch9wavefront6targetE1EEEvT1_,"axG",@progbits,_ZN7rocprim17ROCPRIM_400000_NS6detail17trampoline_kernelINS0_14default_configENS1_25partition_config_selectorILNS1_17partition_subalgoE0EsNS0_10empty_typeEbEEZZNS1_14partition_implILS5_0ELb0ES3_jN6thrust23THRUST_200600_302600_NS6detail15normal_iteratorINSA_10device_ptrIsEEEEPS6_SG_NS0_5tupleIJNSA_16discard_iteratorINSA_11use_defaultEEESK_EEENSH_IJSG_SG_EEES6_PlJ7is_evenIsEEEE10hipError_tPvRmT3_T4_T5_T6_T7_T9_mT8_P12ihipStream_tbDpT10_ENKUlT_T0_E_clISt17integral_constantIbLb1EES19_EEDaS14_S15_EUlS14_E_NS1_11comp_targetILNS1_3genE8ELNS1_11target_archE1030ELNS1_3gpuE2ELNS1_3repE0EEENS1_30default_config_static_selectorELNS0_4arch9wavefront6targetE1EEEvT1_,comdat
	.protected	_ZN7rocprim17ROCPRIM_400000_NS6detail17trampoline_kernelINS0_14default_configENS1_25partition_config_selectorILNS1_17partition_subalgoE0EsNS0_10empty_typeEbEEZZNS1_14partition_implILS5_0ELb0ES3_jN6thrust23THRUST_200600_302600_NS6detail15normal_iteratorINSA_10device_ptrIsEEEEPS6_SG_NS0_5tupleIJNSA_16discard_iteratorINSA_11use_defaultEEESK_EEENSH_IJSG_SG_EEES6_PlJ7is_evenIsEEEE10hipError_tPvRmT3_T4_T5_T6_T7_T9_mT8_P12ihipStream_tbDpT10_ENKUlT_T0_E_clISt17integral_constantIbLb1EES19_EEDaS14_S15_EUlS14_E_NS1_11comp_targetILNS1_3genE8ELNS1_11target_archE1030ELNS1_3gpuE2ELNS1_3repE0EEENS1_30default_config_static_selectorELNS0_4arch9wavefront6targetE1EEEvT1_ ; -- Begin function _ZN7rocprim17ROCPRIM_400000_NS6detail17trampoline_kernelINS0_14default_configENS1_25partition_config_selectorILNS1_17partition_subalgoE0EsNS0_10empty_typeEbEEZZNS1_14partition_implILS5_0ELb0ES3_jN6thrust23THRUST_200600_302600_NS6detail15normal_iteratorINSA_10device_ptrIsEEEEPS6_SG_NS0_5tupleIJNSA_16discard_iteratorINSA_11use_defaultEEESK_EEENSH_IJSG_SG_EEES6_PlJ7is_evenIsEEEE10hipError_tPvRmT3_T4_T5_T6_T7_T9_mT8_P12ihipStream_tbDpT10_ENKUlT_T0_E_clISt17integral_constantIbLb1EES19_EEDaS14_S15_EUlS14_E_NS1_11comp_targetILNS1_3genE8ELNS1_11target_archE1030ELNS1_3gpuE2ELNS1_3repE0EEENS1_30default_config_static_selectorELNS0_4arch9wavefront6targetE1EEEvT1_
	.globl	_ZN7rocprim17ROCPRIM_400000_NS6detail17trampoline_kernelINS0_14default_configENS1_25partition_config_selectorILNS1_17partition_subalgoE0EsNS0_10empty_typeEbEEZZNS1_14partition_implILS5_0ELb0ES3_jN6thrust23THRUST_200600_302600_NS6detail15normal_iteratorINSA_10device_ptrIsEEEEPS6_SG_NS0_5tupleIJNSA_16discard_iteratorINSA_11use_defaultEEESK_EEENSH_IJSG_SG_EEES6_PlJ7is_evenIsEEEE10hipError_tPvRmT3_T4_T5_T6_T7_T9_mT8_P12ihipStream_tbDpT10_ENKUlT_T0_E_clISt17integral_constantIbLb1EES19_EEDaS14_S15_EUlS14_E_NS1_11comp_targetILNS1_3genE8ELNS1_11target_archE1030ELNS1_3gpuE2ELNS1_3repE0EEENS1_30default_config_static_selectorELNS0_4arch9wavefront6targetE1EEEvT1_
	.p2align	8
	.type	_ZN7rocprim17ROCPRIM_400000_NS6detail17trampoline_kernelINS0_14default_configENS1_25partition_config_selectorILNS1_17partition_subalgoE0EsNS0_10empty_typeEbEEZZNS1_14partition_implILS5_0ELb0ES3_jN6thrust23THRUST_200600_302600_NS6detail15normal_iteratorINSA_10device_ptrIsEEEEPS6_SG_NS0_5tupleIJNSA_16discard_iteratorINSA_11use_defaultEEESK_EEENSH_IJSG_SG_EEES6_PlJ7is_evenIsEEEE10hipError_tPvRmT3_T4_T5_T6_T7_T9_mT8_P12ihipStream_tbDpT10_ENKUlT_T0_E_clISt17integral_constantIbLb1EES19_EEDaS14_S15_EUlS14_E_NS1_11comp_targetILNS1_3genE8ELNS1_11target_archE1030ELNS1_3gpuE2ELNS1_3repE0EEENS1_30default_config_static_selectorELNS0_4arch9wavefront6targetE1EEEvT1_,@function
_ZN7rocprim17ROCPRIM_400000_NS6detail17trampoline_kernelINS0_14default_configENS1_25partition_config_selectorILNS1_17partition_subalgoE0EsNS0_10empty_typeEbEEZZNS1_14partition_implILS5_0ELb0ES3_jN6thrust23THRUST_200600_302600_NS6detail15normal_iteratorINSA_10device_ptrIsEEEEPS6_SG_NS0_5tupleIJNSA_16discard_iteratorINSA_11use_defaultEEESK_EEENSH_IJSG_SG_EEES6_PlJ7is_evenIsEEEE10hipError_tPvRmT3_T4_T5_T6_T7_T9_mT8_P12ihipStream_tbDpT10_ENKUlT_T0_E_clISt17integral_constantIbLb1EES19_EEDaS14_S15_EUlS14_E_NS1_11comp_targetILNS1_3genE8ELNS1_11target_archE1030ELNS1_3gpuE2ELNS1_3repE0EEENS1_30default_config_static_selectorELNS0_4arch9wavefront6targetE1EEEvT1_: ; @_ZN7rocprim17ROCPRIM_400000_NS6detail17trampoline_kernelINS0_14default_configENS1_25partition_config_selectorILNS1_17partition_subalgoE0EsNS0_10empty_typeEbEEZZNS1_14partition_implILS5_0ELb0ES3_jN6thrust23THRUST_200600_302600_NS6detail15normal_iteratorINSA_10device_ptrIsEEEEPS6_SG_NS0_5tupleIJNSA_16discard_iteratorINSA_11use_defaultEEESK_EEENSH_IJSG_SG_EEES6_PlJ7is_evenIsEEEE10hipError_tPvRmT3_T4_T5_T6_T7_T9_mT8_P12ihipStream_tbDpT10_ENKUlT_T0_E_clISt17integral_constantIbLb1EES19_EEDaS14_S15_EUlS14_E_NS1_11comp_targetILNS1_3genE8ELNS1_11target_archE1030ELNS1_3gpuE2ELNS1_3repE0EEENS1_30default_config_static_selectorELNS0_4arch9wavefront6targetE1EEEvT1_
; %bb.0:
	.section	.rodata,"a",@progbits
	.p2align	6, 0x0
	.amdhsa_kernel _ZN7rocprim17ROCPRIM_400000_NS6detail17trampoline_kernelINS0_14default_configENS1_25partition_config_selectorILNS1_17partition_subalgoE0EsNS0_10empty_typeEbEEZZNS1_14partition_implILS5_0ELb0ES3_jN6thrust23THRUST_200600_302600_NS6detail15normal_iteratorINSA_10device_ptrIsEEEEPS6_SG_NS0_5tupleIJNSA_16discard_iteratorINSA_11use_defaultEEESK_EEENSH_IJSG_SG_EEES6_PlJ7is_evenIsEEEE10hipError_tPvRmT3_T4_T5_T6_T7_T9_mT8_P12ihipStream_tbDpT10_ENKUlT_T0_E_clISt17integral_constantIbLb1EES19_EEDaS14_S15_EUlS14_E_NS1_11comp_targetILNS1_3genE8ELNS1_11target_archE1030ELNS1_3gpuE2ELNS1_3repE0EEENS1_30default_config_static_selectorELNS0_4arch9wavefront6targetE1EEEvT1_
		.amdhsa_group_segment_fixed_size 0
		.amdhsa_private_segment_fixed_size 0
		.amdhsa_kernarg_size 152
		.amdhsa_user_sgpr_count 2
		.amdhsa_user_sgpr_dispatch_ptr 0
		.amdhsa_user_sgpr_queue_ptr 0
		.amdhsa_user_sgpr_kernarg_segment_ptr 1
		.amdhsa_user_sgpr_dispatch_id 0
		.amdhsa_user_sgpr_kernarg_preload_length 0
		.amdhsa_user_sgpr_kernarg_preload_offset 0
		.amdhsa_user_sgpr_private_segment_size 0
		.amdhsa_uses_dynamic_stack 0
		.amdhsa_enable_private_segment 0
		.amdhsa_system_sgpr_workgroup_id_x 1
		.amdhsa_system_sgpr_workgroup_id_y 0
		.amdhsa_system_sgpr_workgroup_id_z 0
		.amdhsa_system_sgpr_workgroup_info 0
		.amdhsa_system_vgpr_workitem_id 0
		.amdhsa_next_free_vgpr 1
		.amdhsa_next_free_sgpr 0
		.amdhsa_accum_offset 4
		.amdhsa_reserve_vcc 0
		.amdhsa_float_round_mode_32 0
		.amdhsa_float_round_mode_16_64 0
		.amdhsa_float_denorm_mode_32 3
		.amdhsa_float_denorm_mode_16_64 3
		.amdhsa_dx10_clamp 1
		.amdhsa_ieee_mode 1
		.amdhsa_fp16_overflow 0
		.amdhsa_tg_split 0
		.amdhsa_exception_fp_ieee_invalid_op 0
		.amdhsa_exception_fp_denorm_src 0
		.amdhsa_exception_fp_ieee_div_zero 0
		.amdhsa_exception_fp_ieee_overflow 0
		.amdhsa_exception_fp_ieee_underflow 0
		.amdhsa_exception_fp_ieee_inexact 0
		.amdhsa_exception_int_div_zero 0
	.end_amdhsa_kernel
	.section	.text._ZN7rocprim17ROCPRIM_400000_NS6detail17trampoline_kernelINS0_14default_configENS1_25partition_config_selectorILNS1_17partition_subalgoE0EsNS0_10empty_typeEbEEZZNS1_14partition_implILS5_0ELb0ES3_jN6thrust23THRUST_200600_302600_NS6detail15normal_iteratorINSA_10device_ptrIsEEEEPS6_SG_NS0_5tupleIJNSA_16discard_iteratorINSA_11use_defaultEEESK_EEENSH_IJSG_SG_EEES6_PlJ7is_evenIsEEEE10hipError_tPvRmT3_T4_T5_T6_T7_T9_mT8_P12ihipStream_tbDpT10_ENKUlT_T0_E_clISt17integral_constantIbLb1EES19_EEDaS14_S15_EUlS14_E_NS1_11comp_targetILNS1_3genE8ELNS1_11target_archE1030ELNS1_3gpuE2ELNS1_3repE0EEENS1_30default_config_static_selectorELNS0_4arch9wavefront6targetE1EEEvT1_,"axG",@progbits,_ZN7rocprim17ROCPRIM_400000_NS6detail17trampoline_kernelINS0_14default_configENS1_25partition_config_selectorILNS1_17partition_subalgoE0EsNS0_10empty_typeEbEEZZNS1_14partition_implILS5_0ELb0ES3_jN6thrust23THRUST_200600_302600_NS6detail15normal_iteratorINSA_10device_ptrIsEEEEPS6_SG_NS0_5tupleIJNSA_16discard_iteratorINSA_11use_defaultEEESK_EEENSH_IJSG_SG_EEES6_PlJ7is_evenIsEEEE10hipError_tPvRmT3_T4_T5_T6_T7_T9_mT8_P12ihipStream_tbDpT10_ENKUlT_T0_E_clISt17integral_constantIbLb1EES19_EEDaS14_S15_EUlS14_E_NS1_11comp_targetILNS1_3genE8ELNS1_11target_archE1030ELNS1_3gpuE2ELNS1_3repE0EEENS1_30default_config_static_selectorELNS0_4arch9wavefront6targetE1EEEvT1_,comdat
.Lfunc_end2794:
	.size	_ZN7rocprim17ROCPRIM_400000_NS6detail17trampoline_kernelINS0_14default_configENS1_25partition_config_selectorILNS1_17partition_subalgoE0EsNS0_10empty_typeEbEEZZNS1_14partition_implILS5_0ELb0ES3_jN6thrust23THRUST_200600_302600_NS6detail15normal_iteratorINSA_10device_ptrIsEEEEPS6_SG_NS0_5tupleIJNSA_16discard_iteratorINSA_11use_defaultEEESK_EEENSH_IJSG_SG_EEES6_PlJ7is_evenIsEEEE10hipError_tPvRmT3_T4_T5_T6_T7_T9_mT8_P12ihipStream_tbDpT10_ENKUlT_T0_E_clISt17integral_constantIbLb1EES19_EEDaS14_S15_EUlS14_E_NS1_11comp_targetILNS1_3genE8ELNS1_11target_archE1030ELNS1_3gpuE2ELNS1_3repE0EEENS1_30default_config_static_selectorELNS0_4arch9wavefront6targetE1EEEvT1_, .Lfunc_end2794-_ZN7rocprim17ROCPRIM_400000_NS6detail17trampoline_kernelINS0_14default_configENS1_25partition_config_selectorILNS1_17partition_subalgoE0EsNS0_10empty_typeEbEEZZNS1_14partition_implILS5_0ELb0ES3_jN6thrust23THRUST_200600_302600_NS6detail15normal_iteratorINSA_10device_ptrIsEEEEPS6_SG_NS0_5tupleIJNSA_16discard_iteratorINSA_11use_defaultEEESK_EEENSH_IJSG_SG_EEES6_PlJ7is_evenIsEEEE10hipError_tPvRmT3_T4_T5_T6_T7_T9_mT8_P12ihipStream_tbDpT10_ENKUlT_T0_E_clISt17integral_constantIbLb1EES19_EEDaS14_S15_EUlS14_E_NS1_11comp_targetILNS1_3genE8ELNS1_11target_archE1030ELNS1_3gpuE2ELNS1_3repE0EEENS1_30default_config_static_selectorELNS0_4arch9wavefront6targetE1EEEvT1_
                                        ; -- End function
	.section	.AMDGPU.csdata,"",@progbits
; Kernel info:
; codeLenInByte = 0
; NumSgprs: 6
; NumVgprs: 0
; NumAgprs: 0
; TotalNumVgprs: 0
; ScratchSize: 0
; MemoryBound: 0
; FloatMode: 240
; IeeeMode: 1
; LDSByteSize: 0 bytes/workgroup (compile time only)
; SGPRBlocks: 0
; VGPRBlocks: 0
; NumSGPRsForWavesPerEU: 6
; NumVGPRsForWavesPerEU: 1
; AccumOffset: 4
; Occupancy: 8
; WaveLimiterHint : 0
; COMPUTE_PGM_RSRC2:SCRATCH_EN: 0
; COMPUTE_PGM_RSRC2:USER_SGPR: 2
; COMPUTE_PGM_RSRC2:TRAP_HANDLER: 0
; COMPUTE_PGM_RSRC2:TGID_X_EN: 1
; COMPUTE_PGM_RSRC2:TGID_Y_EN: 0
; COMPUTE_PGM_RSRC2:TGID_Z_EN: 0
; COMPUTE_PGM_RSRC2:TIDIG_COMP_CNT: 0
; COMPUTE_PGM_RSRC3_GFX90A:ACCUM_OFFSET: 0
; COMPUTE_PGM_RSRC3_GFX90A:TG_SPLIT: 0
	.section	.text._ZN7rocprim17ROCPRIM_400000_NS6detail17trampoline_kernelINS0_14default_configENS1_25partition_config_selectorILNS1_17partition_subalgoE0EsNS0_10empty_typeEbEEZZNS1_14partition_implILS5_0ELb0ES3_jN6thrust23THRUST_200600_302600_NS6detail15normal_iteratorINSA_10device_ptrIsEEEEPS6_SG_NS0_5tupleIJNSA_16discard_iteratorINSA_11use_defaultEEESK_EEENSH_IJSG_SG_EEES6_PlJ7is_evenIsEEEE10hipError_tPvRmT3_T4_T5_T6_T7_T9_mT8_P12ihipStream_tbDpT10_ENKUlT_T0_E_clISt17integral_constantIbLb1EES18_IbLb0EEEEDaS14_S15_EUlS14_E_NS1_11comp_targetILNS1_3genE0ELNS1_11target_archE4294967295ELNS1_3gpuE0ELNS1_3repE0EEENS1_30default_config_static_selectorELNS0_4arch9wavefront6targetE1EEEvT1_,"axG",@progbits,_ZN7rocprim17ROCPRIM_400000_NS6detail17trampoline_kernelINS0_14default_configENS1_25partition_config_selectorILNS1_17partition_subalgoE0EsNS0_10empty_typeEbEEZZNS1_14partition_implILS5_0ELb0ES3_jN6thrust23THRUST_200600_302600_NS6detail15normal_iteratorINSA_10device_ptrIsEEEEPS6_SG_NS0_5tupleIJNSA_16discard_iteratorINSA_11use_defaultEEESK_EEENSH_IJSG_SG_EEES6_PlJ7is_evenIsEEEE10hipError_tPvRmT3_T4_T5_T6_T7_T9_mT8_P12ihipStream_tbDpT10_ENKUlT_T0_E_clISt17integral_constantIbLb1EES18_IbLb0EEEEDaS14_S15_EUlS14_E_NS1_11comp_targetILNS1_3genE0ELNS1_11target_archE4294967295ELNS1_3gpuE0ELNS1_3repE0EEENS1_30default_config_static_selectorELNS0_4arch9wavefront6targetE1EEEvT1_,comdat
	.protected	_ZN7rocprim17ROCPRIM_400000_NS6detail17trampoline_kernelINS0_14default_configENS1_25partition_config_selectorILNS1_17partition_subalgoE0EsNS0_10empty_typeEbEEZZNS1_14partition_implILS5_0ELb0ES3_jN6thrust23THRUST_200600_302600_NS6detail15normal_iteratorINSA_10device_ptrIsEEEEPS6_SG_NS0_5tupleIJNSA_16discard_iteratorINSA_11use_defaultEEESK_EEENSH_IJSG_SG_EEES6_PlJ7is_evenIsEEEE10hipError_tPvRmT3_T4_T5_T6_T7_T9_mT8_P12ihipStream_tbDpT10_ENKUlT_T0_E_clISt17integral_constantIbLb1EES18_IbLb0EEEEDaS14_S15_EUlS14_E_NS1_11comp_targetILNS1_3genE0ELNS1_11target_archE4294967295ELNS1_3gpuE0ELNS1_3repE0EEENS1_30default_config_static_selectorELNS0_4arch9wavefront6targetE1EEEvT1_ ; -- Begin function _ZN7rocprim17ROCPRIM_400000_NS6detail17trampoline_kernelINS0_14default_configENS1_25partition_config_selectorILNS1_17partition_subalgoE0EsNS0_10empty_typeEbEEZZNS1_14partition_implILS5_0ELb0ES3_jN6thrust23THRUST_200600_302600_NS6detail15normal_iteratorINSA_10device_ptrIsEEEEPS6_SG_NS0_5tupleIJNSA_16discard_iteratorINSA_11use_defaultEEESK_EEENSH_IJSG_SG_EEES6_PlJ7is_evenIsEEEE10hipError_tPvRmT3_T4_T5_T6_T7_T9_mT8_P12ihipStream_tbDpT10_ENKUlT_T0_E_clISt17integral_constantIbLb1EES18_IbLb0EEEEDaS14_S15_EUlS14_E_NS1_11comp_targetILNS1_3genE0ELNS1_11target_archE4294967295ELNS1_3gpuE0ELNS1_3repE0EEENS1_30default_config_static_selectorELNS0_4arch9wavefront6targetE1EEEvT1_
	.globl	_ZN7rocprim17ROCPRIM_400000_NS6detail17trampoline_kernelINS0_14default_configENS1_25partition_config_selectorILNS1_17partition_subalgoE0EsNS0_10empty_typeEbEEZZNS1_14partition_implILS5_0ELb0ES3_jN6thrust23THRUST_200600_302600_NS6detail15normal_iteratorINSA_10device_ptrIsEEEEPS6_SG_NS0_5tupleIJNSA_16discard_iteratorINSA_11use_defaultEEESK_EEENSH_IJSG_SG_EEES6_PlJ7is_evenIsEEEE10hipError_tPvRmT3_T4_T5_T6_T7_T9_mT8_P12ihipStream_tbDpT10_ENKUlT_T0_E_clISt17integral_constantIbLb1EES18_IbLb0EEEEDaS14_S15_EUlS14_E_NS1_11comp_targetILNS1_3genE0ELNS1_11target_archE4294967295ELNS1_3gpuE0ELNS1_3repE0EEENS1_30default_config_static_selectorELNS0_4arch9wavefront6targetE1EEEvT1_
	.p2align	8
	.type	_ZN7rocprim17ROCPRIM_400000_NS6detail17trampoline_kernelINS0_14default_configENS1_25partition_config_selectorILNS1_17partition_subalgoE0EsNS0_10empty_typeEbEEZZNS1_14partition_implILS5_0ELb0ES3_jN6thrust23THRUST_200600_302600_NS6detail15normal_iteratorINSA_10device_ptrIsEEEEPS6_SG_NS0_5tupleIJNSA_16discard_iteratorINSA_11use_defaultEEESK_EEENSH_IJSG_SG_EEES6_PlJ7is_evenIsEEEE10hipError_tPvRmT3_T4_T5_T6_T7_T9_mT8_P12ihipStream_tbDpT10_ENKUlT_T0_E_clISt17integral_constantIbLb1EES18_IbLb0EEEEDaS14_S15_EUlS14_E_NS1_11comp_targetILNS1_3genE0ELNS1_11target_archE4294967295ELNS1_3gpuE0ELNS1_3repE0EEENS1_30default_config_static_selectorELNS0_4arch9wavefront6targetE1EEEvT1_,@function
_ZN7rocprim17ROCPRIM_400000_NS6detail17trampoline_kernelINS0_14default_configENS1_25partition_config_selectorILNS1_17partition_subalgoE0EsNS0_10empty_typeEbEEZZNS1_14partition_implILS5_0ELb0ES3_jN6thrust23THRUST_200600_302600_NS6detail15normal_iteratorINSA_10device_ptrIsEEEEPS6_SG_NS0_5tupleIJNSA_16discard_iteratorINSA_11use_defaultEEESK_EEENSH_IJSG_SG_EEES6_PlJ7is_evenIsEEEE10hipError_tPvRmT3_T4_T5_T6_T7_T9_mT8_P12ihipStream_tbDpT10_ENKUlT_T0_E_clISt17integral_constantIbLb1EES18_IbLb0EEEEDaS14_S15_EUlS14_E_NS1_11comp_targetILNS1_3genE0ELNS1_11target_archE4294967295ELNS1_3gpuE0ELNS1_3repE0EEENS1_30default_config_static_selectorELNS0_4arch9wavefront6targetE1EEEvT1_: ; @_ZN7rocprim17ROCPRIM_400000_NS6detail17trampoline_kernelINS0_14default_configENS1_25partition_config_selectorILNS1_17partition_subalgoE0EsNS0_10empty_typeEbEEZZNS1_14partition_implILS5_0ELb0ES3_jN6thrust23THRUST_200600_302600_NS6detail15normal_iteratorINSA_10device_ptrIsEEEEPS6_SG_NS0_5tupleIJNSA_16discard_iteratorINSA_11use_defaultEEESK_EEENSH_IJSG_SG_EEES6_PlJ7is_evenIsEEEE10hipError_tPvRmT3_T4_T5_T6_T7_T9_mT8_P12ihipStream_tbDpT10_ENKUlT_T0_E_clISt17integral_constantIbLb1EES18_IbLb0EEEEDaS14_S15_EUlS14_E_NS1_11comp_targetILNS1_3genE0ELNS1_11target_archE4294967295ELNS1_3gpuE0ELNS1_3repE0EEENS1_30default_config_static_selectorELNS0_4arch9wavefront6targetE1EEEvT1_
; %bb.0:
	.section	.rodata,"a",@progbits
	.p2align	6, 0x0
	.amdhsa_kernel _ZN7rocprim17ROCPRIM_400000_NS6detail17trampoline_kernelINS0_14default_configENS1_25partition_config_selectorILNS1_17partition_subalgoE0EsNS0_10empty_typeEbEEZZNS1_14partition_implILS5_0ELb0ES3_jN6thrust23THRUST_200600_302600_NS6detail15normal_iteratorINSA_10device_ptrIsEEEEPS6_SG_NS0_5tupleIJNSA_16discard_iteratorINSA_11use_defaultEEESK_EEENSH_IJSG_SG_EEES6_PlJ7is_evenIsEEEE10hipError_tPvRmT3_T4_T5_T6_T7_T9_mT8_P12ihipStream_tbDpT10_ENKUlT_T0_E_clISt17integral_constantIbLb1EES18_IbLb0EEEEDaS14_S15_EUlS14_E_NS1_11comp_targetILNS1_3genE0ELNS1_11target_archE4294967295ELNS1_3gpuE0ELNS1_3repE0EEENS1_30default_config_static_selectorELNS0_4arch9wavefront6targetE1EEEvT1_
		.amdhsa_group_segment_fixed_size 0
		.amdhsa_private_segment_fixed_size 0
		.amdhsa_kernarg_size 136
		.amdhsa_user_sgpr_count 2
		.amdhsa_user_sgpr_dispatch_ptr 0
		.amdhsa_user_sgpr_queue_ptr 0
		.amdhsa_user_sgpr_kernarg_segment_ptr 1
		.amdhsa_user_sgpr_dispatch_id 0
		.amdhsa_user_sgpr_kernarg_preload_length 0
		.amdhsa_user_sgpr_kernarg_preload_offset 0
		.amdhsa_user_sgpr_private_segment_size 0
		.amdhsa_uses_dynamic_stack 0
		.amdhsa_enable_private_segment 0
		.amdhsa_system_sgpr_workgroup_id_x 1
		.amdhsa_system_sgpr_workgroup_id_y 0
		.amdhsa_system_sgpr_workgroup_id_z 0
		.amdhsa_system_sgpr_workgroup_info 0
		.amdhsa_system_vgpr_workitem_id 0
		.amdhsa_next_free_vgpr 1
		.amdhsa_next_free_sgpr 0
		.amdhsa_accum_offset 4
		.amdhsa_reserve_vcc 0
		.amdhsa_float_round_mode_32 0
		.amdhsa_float_round_mode_16_64 0
		.amdhsa_float_denorm_mode_32 3
		.amdhsa_float_denorm_mode_16_64 3
		.amdhsa_dx10_clamp 1
		.amdhsa_ieee_mode 1
		.amdhsa_fp16_overflow 0
		.amdhsa_tg_split 0
		.amdhsa_exception_fp_ieee_invalid_op 0
		.amdhsa_exception_fp_denorm_src 0
		.amdhsa_exception_fp_ieee_div_zero 0
		.amdhsa_exception_fp_ieee_overflow 0
		.amdhsa_exception_fp_ieee_underflow 0
		.amdhsa_exception_fp_ieee_inexact 0
		.amdhsa_exception_int_div_zero 0
	.end_amdhsa_kernel
	.section	.text._ZN7rocprim17ROCPRIM_400000_NS6detail17trampoline_kernelINS0_14default_configENS1_25partition_config_selectorILNS1_17partition_subalgoE0EsNS0_10empty_typeEbEEZZNS1_14partition_implILS5_0ELb0ES3_jN6thrust23THRUST_200600_302600_NS6detail15normal_iteratorINSA_10device_ptrIsEEEEPS6_SG_NS0_5tupleIJNSA_16discard_iteratorINSA_11use_defaultEEESK_EEENSH_IJSG_SG_EEES6_PlJ7is_evenIsEEEE10hipError_tPvRmT3_T4_T5_T6_T7_T9_mT8_P12ihipStream_tbDpT10_ENKUlT_T0_E_clISt17integral_constantIbLb1EES18_IbLb0EEEEDaS14_S15_EUlS14_E_NS1_11comp_targetILNS1_3genE0ELNS1_11target_archE4294967295ELNS1_3gpuE0ELNS1_3repE0EEENS1_30default_config_static_selectorELNS0_4arch9wavefront6targetE1EEEvT1_,"axG",@progbits,_ZN7rocprim17ROCPRIM_400000_NS6detail17trampoline_kernelINS0_14default_configENS1_25partition_config_selectorILNS1_17partition_subalgoE0EsNS0_10empty_typeEbEEZZNS1_14partition_implILS5_0ELb0ES3_jN6thrust23THRUST_200600_302600_NS6detail15normal_iteratorINSA_10device_ptrIsEEEEPS6_SG_NS0_5tupleIJNSA_16discard_iteratorINSA_11use_defaultEEESK_EEENSH_IJSG_SG_EEES6_PlJ7is_evenIsEEEE10hipError_tPvRmT3_T4_T5_T6_T7_T9_mT8_P12ihipStream_tbDpT10_ENKUlT_T0_E_clISt17integral_constantIbLb1EES18_IbLb0EEEEDaS14_S15_EUlS14_E_NS1_11comp_targetILNS1_3genE0ELNS1_11target_archE4294967295ELNS1_3gpuE0ELNS1_3repE0EEENS1_30default_config_static_selectorELNS0_4arch9wavefront6targetE1EEEvT1_,comdat
.Lfunc_end2795:
	.size	_ZN7rocprim17ROCPRIM_400000_NS6detail17trampoline_kernelINS0_14default_configENS1_25partition_config_selectorILNS1_17partition_subalgoE0EsNS0_10empty_typeEbEEZZNS1_14partition_implILS5_0ELb0ES3_jN6thrust23THRUST_200600_302600_NS6detail15normal_iteratorINSA_10device_ptrIsEEEEPS6_SG_NS0_5tupleIJNSA_16discard_iteratorINSA_11use_defaultEEESK_EEENSH_IJSG_SG_EEES6_PlJ7is_evenIsEEEE10hipError_tPvRmT3_T4_T5_T6_T7_T9_mT8_P12ihipStream_tbDpT10_ENKUlT_T0_E_clISt17integral_constantIbLb1EES18_IbLb0EEEEDaS14_S15_EUlS14_E_NS1_11comp_targetILNS1_3genE0ELNS1_11target_archE4294967295ELNS1_3gpuE0ELNS1_3repE0EEENS1_30default_config_static_selectorELNS0_4arch9wavefront6targetE1EEEvT1_, .Lfunc_end2795-_ZN7rocprim17ROCPRIM_400000_NS6detail17trampoline_kernelINS0_14default_configENS1_25partition_config_selectorILNS1_17partition_subalgoE0EsNS0_10empty_typeEbEEZZNS1_14partition_implILS5_0ELb0ES3_jN6thrust23THRUST_200600_302600_NS6detail15normal_iteratorINSA_10device_ptrIsEEEEPS6_SG_NS0_5tupleIJNSA_16discard_iteratorINSA_11use_defaultEEESK_EEENSH_IJSG_SG_EEES6_PlJ7is_evenIsEEEE10hipError_tPvRmT3_T4_T5_T6_T7_T9_mT8_P12ihipStream_tbDpT10_ENKUlT_T0_E_clISt17integral_constantIbLb1EES18_IbLb0EEEEDaS14_S15_EUlS14_E_NS1_11comp_targetILNS1_3genE0ELNS1_11target_archE4294967295ELNS1_3gpuE0ELNS1_3repE0EEENS1_30default_config_static_selectorELNS0_4arch9wavefront6targetE1EEEvT1_
                                        ; -- End function
	.section	.AMDGPU.csdata,"",@progbits
; Kernel info:
; codeLenInByte = 0
; NumSgprs: 6
; NumVgprs: 0
; NumAgprs: 0
; TotalNumVgprs: 0
; ScratchSize: 0
; MemoryBound: 0
; FloatMode: 240
; IeeeMode: 1
; LDSByteSize: 0 bytes/workgroup (compile time only)
; SGPRBlocks: 0
; VGPRBlocks: 0
; NumSGPRsForWavesPerEU: 6
; NumVGPRsForWavesPerEU: 1
; AccumOffset: 4
; Occupancy: 8
; WaveLimiterHint : 0
; COMPUTE_PGM_RSRC2:SCRATCH_EN: 0
; COMPUTE_PGM_RSRC2:USER_SGPR: 2
; COMPUTE_PGM_RSRC2:TRAP_HANDLER: 0
; COMPUTE_PGM_RSRC2:TGID_X_EN: 1
; COMPUTE_PGM_RSRC2:TGID_Y_EN: 0
; COMPUTE_PGM_RSRC2:TGID_Z_EN: 0
; COMPUTE_PGM_RSRC2:TIDIG_COMP_CNT: 0
; COMPUTE_PGM_RSRC3_GFX90A:ACCUM_OFFSET: 0
; COMPUTE_PGM_RSRC3_GFX90A:TG_SPLIT: 0
	.section	.text._ZN7rocprim17ROCPRIM_400000_NS6detail17trampoline_kernelINS0_14default_configENS1_25partition_config_selectorILNS1_17partition_subalgoE0EsNS0_10empty_typeEbEEZZNS1_14partition_implILS5_0ELb0ES3_jN6thrust23THRUST_200600_302600_NS6detail15normal_iteratorINSA_10device_ptrIsEEEEPS6_SG_NS0_5tupleIJNSA_16discard_iteratorINSA_11use_defaultEEESK_EEENSH_IJSG_SG_EEES6_PlJ7is_evenIsEEEE10hipError_tPvRmT3_T4_T5_T6_T7_T9_mT8_P12ihipStream_tbDpT10_ENKUlT_T0_E_clISt17integral_constantIbLb1EES18_IbLb0EEEEDaS14_S15_EUlS14_E_NS1_11comp_targetILNS1_3genE5ELNS1_11target_archE942ELNS1_3gpuE9ELNS1_3repE0EEENS1_30default_config_static_selectorELNS0_4arch9wavefront6targetE1EEEvT1_,"axG",@progbits,_ZN7rocprim17ROCPRIM_400000_NS6detail17trampoline_kernelINS0_14default_configENS1_25partition_config_selectorILNS1_17partition_subalgoE0EsNS0_10empty_typeEbEEZZNS1_14partition_implILS5_0ELb0ES3_jN6thrust23THRUST_200600_302600_NS6detail15normal_iteratorINSA_10device_ptrIsEEEEPS6_SG_NS0_5tupleIJNSA_16discard_iteratorINSA_11use_defaultEEESK_EEENSH_IJSG_SG_EEES6_PlJ7is_evenIsEEEE10hipError_tPvRmT3_T4_T5_T6_T7_T9_mT8_P12ihipStream_tbDpT10_ENKUlT_T0_E_clISt17integral_constantIbLb1EES18_IbLb0EEEEDaS14_S15_EUlS14_E_NS1_11comp_targetILNS1_3genE5ELNS1_11target_archE942ELNS1_3gpuE9ELNS1_3repE0EEENS1_30default_config_static_selectorELNS0_4arch9wavefront6targetE1EEEvT1_,comdat
	.protected	_ZN7rocprim17ROCPRIM_400000_NS6detail17trampoline_kernelINS0_14default_configENS1_25partition_config_selectorILNS1_17partition_subalgoE0EsNS0_10empty_typeEbEEZZNS1_14partition_implILS5_0ELb0ES3_jN6thrust23THRUST_200600_302600_NS6detail15normal_iteratorINSA_10device_ptrIsEEEEPS6_SG_NS0_5tupleIJNSA_16discard_iteratorINSA_11use_defaultEEESK_EEENSH_IJSG_SG_EEES6_PlJ7is_evenIsEEEE10hipError_tPvRmT3_T4_T5_T6_T7_T9_mT8_P12ihipStream_tbDpT10_ENKUlT_T0_E_clISt17integral_constantIbLb1EES18_IbLb0EEEEDaS14_S15_EUlS14_E_NS1_11comp_targetILNS1_3genE5ELNS1_11target_archE942ELNS1_3gpuE9ELNS1_3repE0EEENS1_30default_config_static_selectorELNS0_4arch9wavefront6targetE1EEEvT1_ ; -- Begin function _ZN7rocprim17ROCPRIM_400000_NS6detail17trampoline_kernelINS0_14default_configENS1_25partition_config_selectorILNS1_17partition_subalgoE0EsNS0_10empty_typeEbEEZZNS1_14partition_implILS5_0ELb0ES3_jN6thrust23THRUST_200600_302600_NS6detail15normal_iteratorINSA_10device_ptrIsEEEEPS6_SG_NS0_5tupleIJNSA_16discard_iteratorINSA_11use_defaultEEESK_EEENSH_IJSG_SG_EEES6_PlJ7is_evenIsEEEE10hipError_tPvRmT3_T4_T5_T6_T7_T9_mT8_P12ihipStream_tbDpT10_ENKUlT_T0_E_clISt17integral_constantIbLb1EES18_IbLb0EEEEDaS14_S15_EUlS14_E_NS1_11comp_targetILNS1_3genE5ELNS1_11target_archE942ELNS1_3gpuE9ELNS1_3repE0EEENS1_30default_config_static_selectorELNS0_4arch9wavefront6targetE1EEEvT1_
	.globl	_ZN7rocprim17ROCPRIM_400000_NS6detail17trampoline_kernelINS0_14default_configENS1_25partition_config_selectorILNS1_17partition_subalgoE0EsNS0_10empty_typeEbEEZZNS1_14partition_implILS5_0ELb0ES3_jN6thrust23THRUST_200600_302600_NS6detail15normal_iteratorINSA_10device_ptrIsEEEEPS6_SG_NS0_5tupleIJNSA_16discard_iteratorINSA_11use_defaultEEESK_EEENSH_IJSG_SG_EEES6_PlJ7is_evenIsEEEE10hipError_tPvRmT3_T4_T5_T6_T7_T9_mT8_P12ihipStream_tbDpT10_ENKUlT_T0_E_clISt17integral_constantIbLb1EES18_IbLb0EEEEDaS14_S15_EUlS14_E_NS1_11comp_targetILNS1_3genE5ELNS1_11target_archE942ELNS1_3gpuE9ELNS1_3repE0EEENS1_30default_config_static_selectorELNS0_4arch9wavefront6targetE1EEEvT1_
	.p2align	8
	.type	_ZN7rocprim17ROCPRIM_400000_NS6detail17trampoline_kernelINS0_14default_configENS1_25partition_config_selectorILNS1_17partition_subalgoE0EsNS0_10empty_typeEbEEZZNS1_14partition_implILS5_0ELb0ES3_jN6thrust23THRUST_200600_302600_NS6detail15normal_iteratorINSA_10device_ptrIsEEEEPS6_SG_NS0_5tupleIJNSA_16discard_iteratorINSA_11use_defaultEEESK_EEENSH_IJSG_SG_EEES6_PlJ7is_evenIsEEEE10hipError_tPvRmT3_T4_T5_T6_T7_T9_mT8_P12ihipStream_tbDpT10_ENKUlT_T0_E_clISt17integral_constantIbLb1EES18_IbLb0EEEEDaS14_S15_EUlS14_E_NS1_11comp_targetILNS1_3genE5ELNS1_11target_archE942ELNS1_3gpuE9ELNS1_3repE0EEENS1_30default_config_static_selectorELNS0_4arch9wavefront6targetE1EEEvT1_,@function
_ZN7rocprim17ROCPRIM_400000_NS6detail17trampoline_kernelINS0_14default_configENS1_25partition_config_selectorILNS1_17partition_subalgoE0EsNS0_10empty_typeEbEEZZNS1_14partition_implILS5_0ELb0ES3_jN6thrust23THRUST_200600_302600_NS6detail15normal_iteratorINSA_10device_ptrIsEEEEPS6_SG_NS0_5tupleIJNSA_16discard_iteratorINSA_11use_defaultEEESK_EEENSH_IJSG_SG_EEES6_PlJ7is_evenIsEEEE10hipError_tPvRmT3_T4_T5_T6_T7_T9_mT8_P12ihipStream_tbDpT10_ENKUlT_T0_E_clISt17integral_constantIbLb1EES18_IbLb0EEEEDaS14_S15_EUlS14_E_NS1_11comp_targetILNS1_3genE5ELNS1_11target_archE942ELNS1_3gpuE9ELNS1_3repE0EEENS1_30default_config_static_selectorELNS0_4arch9wavefront6targetE1EEEvT1_: ; @_ZN7rocprim17ROCPRIM_400000_NS6detail17trampoline_kernelINS0_14default_configENS1_25partition_config_selectorILNS1_17partition_subalgoE0EsNS0_10empty_typeEbEEZZNS1_14partition_implILS5_0ELb0ES3_jN6thrust23THRUST_200600_302600_NS6detail15normal_iteratorINSA_10device_ptrIsEEEEPS6_SG_NS0_5tupleIJNSA_16discard_iteratorINSA_11use_defaultEEESK_EEENSH_IJSG_SG_EEES6_PlJ7is_evenIsEEEE10hipError_tPvRmT3_T4_T5_T6_T7_T9_mT8_P12ihipStream_tbDpT10_ENKUlT_T0_E_clISt17integral_constantIbLb1EES18_IbLb0EEEEDaS14_S15_EUlS14_E_NS1_11comp_targetILNS1_3genE5ELNS1_11target_archE942ELNS1_3gpuE9ELNS1_3repE0EEENS1_30default_config_static_selectorELNS0_4arch9wavefront6targetE1EEEvT1_
; %bb.0:
	s_load_dwordx2 s[8:9], s[0:1], 0x68
	s_load_dwordx4 s[4:7], s[0:1], 0x8
	s_load_dwordx4 s[20:23], s[0:1], 0x58
	s_load_dword s3, s[0:1], 0x80
	s_waitcnt lgkmcnt(0)
	v_mov_b32_e32 v3, s9
	s_lshl_b64 s[10:11], s[6:7], 1
	s_add_u32 s9, s4, s10
	s_mul_i32 s4, s3, 0x3c00
	s_addc_u32 s12, s5, s11
	s_add_i32 s13, s3, -1
	s_add_i32 s3, s4, s6
	s_sub_i32 s3, s8, s3
	s_add_u32 s4, s6, s4
	s_addc_u32 s5, s7, 0
	s_cmp_eq_u32 s2, s13
	v_mov_b32_e32 v2, s8
	s_load_dwordx2 s[18:19], s[22:23], 0x0
	s_cselect_b64 s[22:23], -1, 0
	s_cmp_lg_u32 s2, s13
	s_mul_i32 s10, s2, 0x3c00
	s_mov_b32 s11, 0
	v_cmp_lt_u64_e32 vcc, s[4:5], v[2:3]
	s_cselect_b64 s[4:5], -1, 0
	s_or_b64 s[4:5], s[4:5], vcc
	s_lshl_b64 s[6:7], s[10:11], 1
	s_add_u32 s6, s9, s6
	s_addc_u32 s7, s12, s7
	s_mov_b64 s[8:9], -1
	s_and_b64 vcc, exec, s[4:5]
	v_lshlrev_b32_e32 v2, 1, v0
	s_cbranch_vccz .LBB2796_2
; %bb.1:
	v_mov_b32_e32 v3, 0
	v_lshl_add_u64 v[4:5], s[6:7], 0, v[2:3]
	v_add_co_u32_e32 v6, vcc, 0x1000, v4
	s_mov_b64 s[8:9], 0
	s_nop 0
	v_addc_co_u32_e32 v7, vcc, 0, v5, vcc
	flat_load_ushort v1, v[4:5]
	flat_load_ushort v3, v[4:5] offset:1024
	flat_load_ushort v10, v[4:5] offset:2048
	flat_load_ushort v11, v[4:5] offset:3072
	flat_load_ushort v12, v[6:7]
	flat_load_ushort v13, v[6:7] offset:1024
	flat_load_ushort v14, v[6:7] offset:2048
	flat_load_ushort v15, v[6:7] offset:3072
	v_add_co_u32_e32 v6, vcc, 0x2000, v4
	s_nop 1
	v_addc_co_u32_e32 v7, vcc, 0, v5, vcc
	v_add_co_u32_e32 v8, vcc, 0x3000, v4
	s_nop 1
	v_addc_co_u32_e32 v9, vcc, 0, v5, vcc
	flat_load_ushort v16, v[6:7]
	flat_load_ushort v17, v[6:7] offset:1024
	flat_load_ushort v18, v[6:7] offset:2048
	flat_load_ushort v19, v[6:7] offset:3072
	flat_load_ushort v20, v[8:9]
	flat_load_ushort v21, v[8:9] offset:1024
	flat_load_ushort v22, v[8:9] offset:2048
	flat_load_ushort v23, v[8:9] offset:3072
	v_add_co_u32_e32 v6, vcc, 0x4000, v4
	s_nop 1
	v_addc_co_u32_e32 v7, vcc, 0, v5, vcc
	v_add_co_u32_e32 v8, vcc, 0x5000, v4
	;; [unrolled: 14-line block ×3, first 2 shown]
	s_nop 1
	v_addc_co_u32_e32 v5, vcc, 0, v5, vcc
	flat_load_ushort v8, v[6:7]
	flat_load_ushort v9, v[6:7] offset:1024
	flat_load_ushort v32, v[6:7] offset:2048
	;; [unrolled: 1-line block ×3, first 2 shown]
	flat_load_ushort v34, v[4:5]
	flat_load_ushort v35, v[4:5] offset:1024
	s_waitcnt vmcnt(0) lgkmcnt(0)
	ds_write_b16 v2, v1
	ds_write_b16 v2, v3 offset:1024
	ds_write_b16 v2, v10 offset:2048
	;; [unrolled: 1-line block ×29, first 2 shown]
	s_waitcnt lgkmcnt(0)
	s_barrier
.LBB2796_2:
	s_andn2_b64 vcc, exec, s[8:9]
	s_addk_i32 s3, 0x3c00
	s_cbranch_vccnz .LBB2796_64
; %bb.3:
	v_cmp_gt_u32_e32 vcc, s3, v0
                                        ; implicit-def: $vgpr1
	s_and_saveexec_b64 s[8:9], vcc
	s_cbranch_execz .LBB2796_5
; %bb.4:
	v_mov_b32_e32 v3, 0
	v_lshl_add_u64 v[4:5], s[6:7], 0, v[2:3]
	flat_load_ushort v1, v[4:5]
.LBB2796_5:
	s_or_b64 exec, exec, s[8:9]
	v_or_b32_e32 v3, 0x200, v0
	v_cmp_gt_u32_e32 vcc, s3, v3
                                        ; implicit-def: $vgpr4
	s_and_saveexec_b64 s[8:9], vcc
	s_cbranch_execz .LBB2796_7
; %bb.6:
	v_mov_b32_e32 v3, 0
	v_lshl_add_u64 v[4:5], s[6:7], 0, v[2:3]
	flat_load_ushort v4, v[4:5] offset:1024
.LBB2796_7:
	s_or_b64 exec, exec, s[8:9]
	v_or_b32_e32 v3, 0x400, v0
	v_cmp_gt_u32_e32 vcc, s3, v3
                                        ; implicit-def: $vgpr5
	s_and_saveexec_b64 s[8:9], vcc
	s_cbranch_execz .LBB2796_9
; %bb.8:
	v_mov_b32_e32 v3, 0
	v_lshl_add_u64 v[6:7], s[6:7], 0, v[2:3]
	flat_load_ushort v5, v[6:7] offset:2048
.LBB2796_9:
	s_or_b64 exec, exec, s[8:9]
	v_or_b32_e32 v3, 0x600, v0
	v_cmp_gt_u32_e32 vcc, s3, v3
                                        ; implicit-def: $vgpr3
	s_and_saveexec_b64 s[8:9], vcc
	s_cbranch_execz .LBB2796_11
; %bb.10:
	v_mov_b32_e32 v3, 0
	v_lshl_add_u64 v[6:7], s[6:7], 0, v[2:3]
	flat_load_ushort v3, v[6:7] offset:3072
.LBB2796_11:
	s_or_b64 exec, exec, s[8:9]
	v_or_b32_e32 v7, 0x800, v0
	v_cmp_gt_u32_e32 vcc, s3, v7
                                        ; implicit-def: $vgpr6
	s_and_saveexec_b64 s[8:9], vcc
	s_cbranch_execz .LBB2796_13
; %bb.12:
	v_lshlrev_b32_e32 v6, 1, v7
	v_mov_b32_e32 v7, 0
	v_lshl_add_u64 v[6:7], s[6:7], 0, v[6:7]
	flat_load_ushort v6, v[6:7]
.LBB2796_13:
	s_or_b64 exec, exec, s[8:9]
	v_or_b32_e32 v8, 0xa00, v0
	v_cmp_gt_u32_e32 vcc, s3, v8
                                        ; implicit-def: $vgpr7
	s_and_saveexec_b64 s[8:9], vcc
	s_cbranch_execz .LBB2796_15
; %bb.14:
	v_lshlrev_b32_e32 v8, 1, v8
	v_mov_b32_e32 v9, 0
	v_lshl_add_u64 v[8:9], s[6:7], 0, v[8:9]
	flat_load_ushort v7, v[8:9]
.LBB2796_15:
	s_or_b64 exec, exec, s[8:9]
	v_or_b32_e32 v9, 0xc00, v0
	v_cmp_gt_u32_e32 vcc, s3, v9
                                        ; implicit-def: $vgpr8
	s_and_saveexec_b64 s[8:9], vcc
	s_cbranch_execz .LBB2796_17
; %bb.16:
	v_lshlrev_b32_e32 v8, 1, v9
	v_mov_b32_e32 v9, 0
	v_lshl_add_u64 v[8:9], s[6:7], 0, v[8:9]
	flat_load_ushort v8, v[8:9]
.LBB2796_17:
	s_or_b64 exec, exec, s[8:9]
	v_or_b32_e32 v10, 0xe00, v0
	v_cmp_gt_u32_e32 vcc, s3, v10
                                        ; implicit-def: $vgpr9
	s_and_saveexec_b64 s[8:9], vcc
	s_cbranch_execz .LBB2796_19
; %bb.18:
	v_lshlrev_b32_e32 v10, 1, v10
	v_mov_b32_e32 v11, 0
	v_lshl_add_u64 v[10:11], s[6:7], 0, v[10:11]
	flat_load_ushort v9, v[10:11]
.LBB2796_19:
	s_or_b64 exec, exec, s[8:9]
	v_or_b32_e32 v11, 0x1000, v0
	v_cmp_gt_u32_e32 vcc, s3, v11
                                        ; implicit-def: $vgpr10
	s_and_saveexec_b64 s[8:9], vcc
	s_cbranch_execz .LBB2796_21
; %bb.20:
	v_lshlrev_b32_e32 v10, 1, v11
	v_mov_b32_e32 v11, 0
	v_lshl_add_u64 v[10:11], s[6:7], 0, v[10:11]
	flat_load_ushort v10, v[10:11]
.LBB2796_21:
	s_or_b64 exec, exec, s[8:9]
	v_or_b32_e32 v12, 0x1200, v0
	v_cmp_gt_u32_e32 vcc, s3, v12
                                        ; implicit-def: $vgpr11
	s_and_saveexec_b64 s[8:9], vcc
	s_cbranch_execz .LBB2796_23
; %bb.22:
	v_lshlrev_b32_e32 v12, 1, v12
	v_mov_b32_e32 v13, 0
	v_lshl_add_u64 v[12:13], s[6:7], 0, v[12:13]
	flat_load_ushort v11, v[12:13]
.LBB2796_23:
	s_or_b64 exec, exec, s[8:9]
	v_or_b32_e32 v13, 0x1400, v0
	v_cmp_gt_u32_e32 vcc, s3, v13
                                        ; implicit-def: $vgpr12
	s_and_saveexec_b64 s[8:9], vcc
	s_cbranch_execz .LBB2796_25
; %bb.24:
	v_lshlrev_b32_e32 v12, 1, v13
	v_mov_b32_e32 v13, 0
	v_lshl_add_u64 v[12:13], s[6:7], 0, v[12:13]
	flat_load_ushort v12, v[12:13]
.LBB2796_25:
	s_or_b64 exec, exec, s[8:9]
	v_or_b32_e32 v14, 0x1600, v0
	v_cmp_gt_u32_e32 vcc, s3, v14
                                        ; implicit-def: $vgpr13
	s_and_saveexec_b64 s[8:9], vcc
	s_cbranch_execz .LBB2796_27
; %bb.26:
	v_lshlrev_b32_e32 v14, 1, v14
	v_mov_b32_e32 v15, 0
	v_lshl_add_u64 v[14:15], s[6:7], 0, v[14:15]
	flat_load_ushort v13, v[14:15]
.LBB2796_27:
	s_or_b64 exec, exec, s[8:9]
	v_or_b32_e32 v15, 0x1800, v0
	v_cmp_gt_u32_e32 vcc, s3, v15
                                        ; implicit-def: $vgpr14
	s_and_saveexec_b64 s[8:9], vcc
	s_cbranch_execz .LBB2796_29
; %bb.28:
	v_lshlrev_b32_e32 v14, 1, v15
	v_mov_b32_e32 v15, 0
	v_lshl_add_u64 v[14:15], s[6:7], 0, v[14:15]
	flat_load_ushort v14, v[14:15]
.LBB2796_29:
	s_or_b64 exec, exec, s[8:9]
	v_or_b32_e32 v16, 0x1a00, v0
	v_cmp_gt_u32_e32 vcc, s3, v16
                                        ; implicit-def: $vgpr15
	s_and_saveexec_b64 s[8:9], vcc
	s_cbranch_execz .LBB2796_31
; %bb.30:
	v_lshlrev_b32_e32 v16, 1, v16
	v_mov_b32_e32 v17, 0
	v_lshl_add_u64 v[16:17], s[6:7], 0, v[16:17]
	flat_load_ushort v15, v[16:17]
.LBB2796_31:
	s_or_b64 exec, exec, s[8:9]
	v_or_b32_e32 v17, 0x1c00, v0
	v_cmp_gt_u32_e32 vcc, s3, v17
                                        ; implicit-def: $vgpr16
	s_and_saveexec_b64 s[8:9], vcc
	s_cbranch_execz .LBB2796_33
; %bb.32:
	v_lshlrev_b32_e32 v16, 1, v17
	v_mov_b32_e32 v17, 0
	v_lshl_add_u64 v[16:17], s[6:7], 0, v[16:17]
	flat_load_ushort v16, v[16:17]
.LBB2796_33:
	s_or_b64 exec, exec, s[8:9]
	v_or_b32_e32 v18, 0x1e00, v0
	v_cmp_gt_u32_e32 vcc, s3, v18
                                        ; implicit-def: $vgpr17
	s_and_saveexec_b64 s[8:9], vcc
	s_cbranch_execz .LBB2796_35
; %bb.34:
	v_lshlrev_b32_e32 v18, 1, v18
	v_mov_b32_e32 v19, 0
	v_lshl_add_u64 v[18:19], s[6:7], 0, v[18:19]
	flat_load_ushort v17, v[18:19]
.LBB2796_35:
	s_or_b64 exec, exec, s[8:9]
	v_or_b32_e32 v19, 0x2000, v0
	v_cmp_gt_u32_e32 vcc, s3, v19
                                        ; implicit-def: $vgpr18
	s_and_saveexec_b64 s[8:9], vcc
	s_cbranch_execz .LBB2796_37
; %bb.36:
	v_lshlrev_b32_e32 v18, 1, v19
	v_mov_b32_e32 v19, 0
	v_lshl_add_u64 v[18:19], s[6:7], 0, v[18:19]
	flat_load_ushort v18, v[18:19]
.LBB2796_37:
	s_or_b64 exec, exec, s[8:9]
	v_or_b32_e32 v20, 0x2200, v0
	v_cmp_gt_u32_e32 vcc, s3, v20
                                        ; implicit-def: $vgpr19
	s_and_saveexec_b64 s[8:9], vcc
	s_cbranch_execz .LBB2796_39
; %bb.38:
	v_lshlrev_b32_e32 v20, 1, v20
	v_mov_b32_e32 v21, 0
	v_lshl_add_u64 v[20:21], s[6:7], 0, v[20:21]
	flat_load_ushort v19, v[20:21]
.LBB2796_39:
	s_or_b64 exec, exec, s[8:9]
	v_or_b32_e32 v21, 0x2400, v0
	v_cmp_gt_u32_e32 vcc, s3, v21
                                        ; implicit-def: $vgpr20
	s_and_saveexec_b64 s[8:9], vcc
	s_cbranch_execz .LBB2796_41
; %bb.40:
	v_lshlrev_b32_e32 v20, 1, v21
	v_mov_b32_e32 v21, 0
	v_lshl_add_u64 v[20:21], s[6:7], 0, v[20:21]
	flat_load_ushort v20, v[20:21]
.LBB2796_41:
	s_or_b64 exec, exec, s[8:9]
	v_or_b32_e32 v22, 0x2600, v0
	v_cmp_gt_u32_e32 vcc, s3, v22
                                        ; implicit-def: $vgpr21
	s_and_saveexec_b64 s[8:9], vcc
	s_cbranch_execz .LBB2796_43
; %bb.42:
	v_lshlrev_b32_e32 v22, 1, v22
	v_mov_b32_e32 v23, 0
	v_lshl_add_u64 v[22:23], s[6:7], 0, v[22:23]
	flat_load_ushort v21, v[22:23]
.LBB2796_43:
	s_or_b64 exec, exec, s[8:9]
	v_or_b32_e32 v23, 0x2800, v0
	v_cmp_gt_u32_e32 vcc, s3, v23
                                        ; implicit-def: $vgpr22
	s_and_saveexec_b64 s[8:9], vcc
	s_cbranch_execz .LBB2796_45
; %bb.44:
	v_lshlrev_b32_e32 v22, 1, v23
	v_mov_b32_e32 v23, 0
	v_lshl_add_u64 v[22:23], s[6:7], 0, v[22:23]
	flat_load_ushort v22, v[22:23]
.LBB2796_45:
	s_or_b64 exec, exec, s[8:9]
	v_or_b32_e32 v24, 0x2a00, v0
	v_cmp_gt_u32_e32 vcc, s3, v24
                                        ; implicit-def: $vgpr23
	s_and_saveexec_b64 s[8:9], vcc
	s_cbranch_execz .LBB2796_47
; %bb.46:
	v_lshlrev_b32_e32 v24, 1, v24
	v_mov_b32_e32 v25, 0
	v_lshl_add_u64 v[24:25], s[6:7], 0, v[24:25]
	flat_load_ushort v23, v[24:25]
.LBB2796_47:
	s_or_b64 exec, exec, s[8:9]
	v_or_b32_e32 v25, 0x2c00, v0
	v_cmp_gt_u32_e32 vcc, s3, v25
                                        ; implicit-def: $vgpr24
	s_and_saveexec_b64 s[8:9], vcc
	s_cbranch_execz .LBB2796_49
; %bb.48:
	v_lshlrev_b32_e32 v24, 1, v25
	v_mov_b32_e32 v25, 0
	v_lshl_add_u64 v[24:25], s[6:7], 0, v[24:25]
	flat_load_ushort v24, v[24:25]
.LBB2796_49:
	s_or_b64 exec, exec, s[8:9]
	v_or_b32_e32 v26, 0x2e00, v0
	v_cmp_gt_u32_e32 vcc, s3, v26
                                        ; implicit-def: $vgpr25
	s_and_saveexec_b64 s[8:9], vcc
	s_cbranch_execz .LBB2796_51
; %bb.50:
	v_lshlrev_b32_e32 v26, 1, v26
	v_mov_b32_e32 v27, 0
	v_lshl_add_u64 v[26:27], s[6:7], 0, v[26:27]
	flat_load_ushort v25, v[26:27]
.LBB2796_51:
	s_or_b64 exec, exec, s[8:9]
	v_or_b32_e32 v27, 0x3000, v0
	v_cmp_gt_u32_e32 vcc, s3, v27
                                        ; implicit-def: $vgpr26
	s_and_saveexec_b64 s[8:9], vcc
	s_cbranch_execz .LBB2796_53
; %bb.52:
	v_lshlrev_b32_e32 v26, 1, v27
	v_mov_b32_e32 v27, 0
	v_lshl_add_u64 v[26:27], s[6:7], 0, v[26:27]
	flat_load_ushort v26, v[26:27]
.LBB2796_53:
	s_or_b64 exec, exec, s[8:9]
	v_or_b32_e32 v28, 0x3200, v0
	v_cmp_gt_u32_e32 vcc, s3, v28
                                        ; implicit-def: $vgpr27
	s_and_saveexec_b64 s[8:9], vcc
	s_cbranch_execz .LBB2796_55
; %bb.54:
	v_lshlrev_b32_e32 v28, 1, v28
	v_mov_b32_e32 v29, 0
	v_lshl_add_u64 v[28:29], s[6:7], 0, v[28:29]
	flat_load_ushort v27, v[28:29]
.LBB2796_55:
	s_or_b64 exec, exec, s[8:9]
	v_or_b32_e32 v29, 0x3400, v0
	v_cmp_gt_u32_e32 vcc, s3, v29
                                        ; implicit-def: $vgpr28
	s_and_saveexec_b64 s[8:9], vcc
	s_cbranch_execz .LBB2796_57
; %bb.56:
	v_lshlrev_b32_e32 v28, 1, v29
	v_mov_b32_e32 v29, 0
	v_lshl_add_u64 v[28:29], s[6:7], 0, v[28:29]
	flat_load_ushort v28, v[28:29]
.LBB2796_57:
	s_or_b64 exec, exec, s[8:9]
	v_or_b32_e32 v30, 0x3600, v0
	v_cmp_gt_u32_e32 vcc, s3, v30
                                        ; implicit-def: $vgpr29
	s_and_saveexec_b64 s[8:9], vcc
	s_cbranch_execz .LBB2796_59
; %bb.58:
	v_lshlrev_b32_e32 v30, 1, v30
	v_mov_b32_e32 v31, 0
	v_lshl_add_u64 v[30:31], s[6:7], 0, v[30:31]
	flat_load_ushort v29, v[30:31]
.LBB2796_59:
	s_or_b64 exec, exec, s[8:9]
	v_or_b32_e32 v31, 0x3800, v0
	v_cmp_gt_u32_e32 vcc, s3, v31
                                        ; implicit-def: $vgpr30
	s_and_saveexec_b64 s[8:9], vcc
	s_cbranch_execz .LBB2796_61
; %bb.60:
	v_lshlrev_b32_e32 v30, 1, v31
	v_mov_b32_e32 v31, 0
	v_lshl_add_u64 v[30:31], s[6:7], 0, v[30:31]
	flat_load_ushort v30, v[30:31]
.LBB2796_61:
	s_or_b64 exec, exec, s[8:9]
	v_or_b32_e32 v32, 0x3a00, v0
	v_cmp_gt_u32_e32 vcc, s3, v32
                                        ; implicit-def: $vgpr31
	s_and_saveexec_b64 s[8:9], vcc
	s_cbranch_execz .LBB2796_63
; %bb.62:
	v_lshlrev_b32_e32 v32, 1, v32
	v_mov_b32_e32 v33, 0
	v_lshl_add_u64 v[32:33], s[6:7], 0, v[32:33]
	flat_load_ushort v31, v[32:33]
.LBB2796_63:
	s_or_b64 exec, exec, s[8:9]
	s_waitcnt vmcnt(0) lgkmcnt(0)
	ds_write_b16 v2, v1
	ds_write_b16 v2, v4 offset:1024
	ds_write_b16 v2, v5 offset:2048
	;; [unrolled: 1-line block ×29, first 2 shown]
	s_waitcnt lgkmcnt(0)
	s_barrier
.LBB2796_64:
	v_mul_u32_u24_e32 v39, 30, v0
	v_lshlrev_b32_e32 v8, 1, v39
	s_waitcnt lgkmcnt(0)
	ds_read_b32 v26, v8 offset:56
	ds_read2_b32 v[2:3], v8 offset0:12 offset1:13
	ds_read2_b32 v[4:5], v8 offset0:10 offset1:11
	;; [unrolled: 1-line block ×3, first 2 shown]
	ds_read2_b32 v[14:15], v8 offset1:1
	ds_read2_b32 v[12:13], v8 offset0:2 offset1:3
	ds_read2_b32 v[10:11], v8 offset0:4 offset1:5
	;; [unrolled: 1-line block ×3, first 2 shown]
	s_waitcnt lgkmcnt(7)
	v_lshrrev_b32_e32 v1, 16, v26
	s_waitcnt lgkmcnt(6)
	v_lshrrev_b32_e32 v28, 16, v2
	v_lshrrev_b32_e32 v27, 16, v3
	s_waitcnt lgkmcnt(5)
	v_lshrrev_b32_e32 v30, 16, v4
	;; [unrolled: 3-line block ×6, first 2 shown]
	v_lshrrev_b32_e32 v33, 16, v9
	v_lshrrev_b32_e32 v32, 16, v6
	;; [unrolled: 1-line block ×3, first 2 shown]
	s_andn2_b64 vcc, exec, s[4:5]
	v_xor_b32_e32 v91, -1, v14
	v_xor_b32_e32 v90, -1, v41
	;; [unrolled: 1-line block ×30, first 2 shown]
	s_barrier
	s_cbranch_vccnz .LBB2796_66
; %bb.65:
	v_and_b32_e32 v71, 1, v91
	v_and_b32_e32 v70, 1, v90
	;; [unrolled: 1-line block ×30, first 2 shown]
	s_load_dwordx2 s[24:25], s[0:1], 0x78
	s_cbranch_execz .LBB2796_67
	s_branch .LBB2796_68
.LBB2796_66:
                                        ; implicit-def: $vgpr71
                                        ; implicit-def: $vgpr70
                                        ; implicit-def: $vgpr69
                                        ; implicit-def: $vgpr68
                                        ; implicit-def: $vgpr67
                                        ; implicit-def: $vgpr66
                                        ; implicit-def: $vgpr65
                                        ; implicit-def: $vgpr64
                                        ; implicit-def: $vgpr63
                                        ; implicit-def: $vgpr62
                                        ; implicit-def: $vgpr61
                                        ; implicit-def: $vgpr60
                                        ; implicit-def: $vgpr59
                                        ; implicit-def: $vgpr58
                                        ; implicit-def: $vgpr57
                                        ; implicit-def: $vgpr56
                                        ; implicit-def: $vgpr55
                                        ; implicit-def: $vgpr54
                                        ; implicit-def: $vgpr53
                                        ; implicit-def: $vgpr52
                                        ; implicit-def: $vgpr51
                                        ; implicit-def: $vgpr50
                                        ; implicit-def: $vgpr49
                                        ; implicit-def: $vgpr48
                                        ; implicit-def: $vgpr47
                                        ; implicit-def: $vgpr46
                                        ; implicit-def: $vgpr45
                                        ; implicit-def: $vgpr44
                                        ; implicit-def: $vgpr42
                                        ; implicit-def: $vgpr43
	s_load_dwordx2 s[24:25], s[0:1], 0x78
.LBB2796_67:
	v_or_b32_e32 v51, 1, v39
	v_cmp_gt_u32_e32 vcc, s3, v39
	v_add_u32_e32 v52, 2, v39
	v_add_u32_e32 v53, 3, v39
	v_cndmask_b32_e64 v61, 0, 1, vcc
	v_cmp_gt_u32_e32 vcc, s3, v51
	v_add_u32_e32 v54, 4, v39
	v_add_u32_e32 v55, 5, v39
	v_cndmask_b32_e64 v51, 0, 1, vcc
	v_cmp_gt_u32_e32 vcc, s3, v52
	v_and_b32_e32 v70, v51, v90
	v_add_u32_e32 v56, 6, v39
	v_cndmask_b32_e64 v51, 0, 1, vcc
	v_cmp_gt_u32_e32 vcc, s3, v53
	v_and_b32_e32 v69, v51, v89
	v_add_u32_e32 v57, 7, v39
	v_cndmask_b32_e64 v51, 0, 1, vcc
	v_cmp_gt_u32_e32 vcc, s3, v54
	v_and_b32_e32 v68, v51, v88
	v_add_u32_e32 v58, 8, v39
	v_cndmask_b32_e64 v51, 0, 1, vcc
	v_cmp_gt_u32_e32 vcc, s3, v55
	v_and_b32_e32 v67, v51, v87
	v_add_u32_e32 v59, 9, v39
	v_cndmask_b32_e64 v51, 0, 1, vcc
	v_cmp_gt_u32_e32 vcc, s3, v56
	v_and_b32_e32 v66, v51, v86
	v_add_u32_e32 v60, 10, v39
	v_cndmask_b32_e64 v51, 0, 1, vcc
	v_cmp_gt_u32_e32 vcc, s3, v57
	v_and_b32_e32 v65, v51, v85
	v_add_u32_e32 v92, 11, v39
	v_cndmask_b32_e64 v51, 0, 1, vcc
	v_cmp_gt_u32_e32 vcc, s3, v58
	v_and_b32_e32 v64, v51, v84
	v_add_u32_e32 v93, 12, v39
	v_cndmask_b32_e64 v51, 0, 1, vcc
	v_cmp_gt_u32_e32 vcc, s3, v59
	v_and_b32_e32 v63, v51, v83
	v_add_u32_e32 v94, 13, v39
	v_cndmask_b32_e64 v51, 0, 1, vcc
	v_cmp_gt_u32_e32 vcc, s3, v60
	v_and_b32_e32 v62, v51, v82
	v_and_b32_e32 v71, v61, v91
	v_cndmask_b32_e64 v51, 0, 1, vcc
	v_cmp_gt_u32_e32 vcc, s3, v92
	v_and_b32_e32 v61, v51, v81
	v_add_u32_e32 v95, 14, v39
	v_cndmask_b32_e64 v51, 0, 1, vcc
	v_cmp_gt_u32_e32 vcc, s3, v93
	v_and_b32_e32 v60, v51, v80
	v_add_u32_e32 v96, 15, v39
	;; [unrolled: 4-line block ×16, first 2 shown]
	v_cndmask_b32_e64 v20, 0, 1, vcc
	v_cmp_gt_u32_e32 vcc, s3, v44
	v_and_b32_e32 v45, v20, v19
	s_nop 0
	v_cndmask_b32_e64 v19, 0, 1, vcc
	v_cmp_gt_u32_e32 vcc, s3, v42
	v_and_b32_e32 v44, v19, v18
	s_nop 0
	;; [unrolled: 4-line block ×3, first 2 shown]
	v_cndmask_b32_e64 v17, 0, 1, vcc
	v_and_b32_e32 v43, v17, v16
.LBB2796_68:
	v_and_b32_e32 v98, 0xff, v45
	v_and_b32_e32 v99, 0xff, v44
	v_add_u32_sdwa v16, v42, v43 dst_sel:DWORD dst_unused:UNUSED_PAD src0_sel:BYTE_0 src1_sel:BYTE_0
	v_and_b32_e32 v96, 0xff, v47
	v_and_b32_e32 v97, 0xff, v46
	v_add3_u32 v16, v16, v99, v98
	v_and_b32_e32 v94, 0xff, v49
	v_and_b32_e32 v95, 0xff, v48
	v_add3_u32 v16, v16, v97, v96
	;; [unrolled: 3-line block ×13, first 2 shown]
	v_add3_u32 v102, v16, v73, v72
	v_mbcnt_lo_u32_b32 v16, -1, 0
	v_mbcnt_hi_u32_b32 v100, -1, v16
	v_and_b32_e32 v16, 15, v100
	v_cmp_eq_u32_e64 s[12:13], 0, v16
	v_cmp_lt_u32_e64 s[10:11], 1, v16
	v_cmp_lt_u32_e64 s[8:9], 3, v16
	;; [unrolled: 1-line block ×3, first 2 shown]
	v_and_b32_e32 v16, 16, v100
	v_cmp_eq_u32_e64 s[4:5], 0, v16
	v_or_b32_e32 v16, 63, v0
	s_cmp_lg_u32 s2, 0
	v_cmp_lt_u32_e64 s[0:1], 31, v100
	v_lshrrev_b32_e32 v101, 6, v0
	v_cmp_eq_u32_e64 s[16:17], v16, v0
	s_cbranch_scc0 .LBB2796_99
; %bb.69:
	v_mov_b32_dpp v16, v102 row_shr:1 row_mask:0xf bank_mask:0xf
	v_cndmask_b32_e64 v16, v16, 0, s[12:13]
	v_add_u32_e32 v16, v16, v102
	s_nop 1
	v_mov_b32_dpp v17, v16 row_shr:2 row_mask:0xf bank_mask:0xf
	v_cndmask_b32_e64 v17, 0, v17, s[10:11]
	v_add_u32_e32 v16, v16, v17
	s_nop 1
	;; [unrolled: 4-line block ×4, first 2 shown]
	v_mov_b32_dpp v17, v16 row_bcast:15 row_mask:0xf bank_mask:0xf
	v_cndmask_b32_e64 v17, v17, 0, s[4:5]
	v_add_u32_e32 v16, v16, v17
	s_nop 1
	v_mov_b32_dpp v17, v16 row_bcast:31 row_mask:0xf bank_mask:0xf
	v_cndmask_b32_e64 v17, 0, v17, s[0:1]
	v_add_u32_e32 v16, v16, v17
	s_and_saveexec_b64 s[14:15], s[16:17]
	s_cbranch_execz .LBB2796_71
; %bb.70:
	v_lshlrev_b32_e32 v17, 2, v101
	ds_write_b32 v17, v16
.LBB2796_71:
	s_or_b64 exec, exec, s[14:15]
	v_cmp_gt_u32_e32 vcc, 8, v0
	s_waitcnt lgkmcnt(0)
	s_barrier
	s_and_saveexec_b64 s[14:15], vcc
	s_cbranch_execz .LBB2796_73
; %bb.72:
	v_lshlrev_b32_e32 v17, 2, v0
	ds_read_b32 v18, v17
	v_and_b32_e32 v19, 7, v100
	v_cmp_ne_u32_e32 vcc, 0, v19
	s_waitcnt lgkmcnt(0)
	v_mov_b32_dpp v20, v18 row_shr:1 row_mask:0xf bank_mask:0xf
	v_cndmask_b32_e32 v20, 0, v20, vcc
	v_add_u32_e32 v18, v20, v18
	v_cmp_lt_u32_e32 vcc, 1, v19
	s_nop 0
	v_mov_b32_dpp v20, v18 row_shr:2 row_mask:0xf bank_mask:0xf
	v_cndmask_b32_e32 v20, 0, v20, vcc
	v_add_u32_e32 v18, v18, v20
	v_cmp_lt_u32_e32 vcc, 3, v19
	s_nop 0
	v_mov_b32_dpp v20, v18 row_shr:4 row_mask:0xf bank_mask:0xf
	v_cndmask_b32_e32 v19, 0, v20, vcc
	v_add_u32_e32 v18, v18, v19
	ds_write_b32 v17, v18
.LBB2796_73:
	s_or_b64 exec, exec, s[14:15]
	v_cmp_gt_u32_e32 vcc, 64, v0
	v_cmp_lt_u32_e64 s[14:15], 63, v0
	s_waitcnt lgkmcnt(0)
	s_barrier
	s_waitcnt lgkmcnt(0)
                                        ; implicit-def: $vgpr103
	s_and_saveexec_b64 s[26:27], s[14:15]
	s_cbranch_execz .LBB2796_75
; %bb.74:
	v_lshl_add_u32 v17, v101, 2, -4
	ds_read_b32 v103, v17
	s_waitcnt lgkmcnt(0)
	v_add_u32_e32 v16, v103, v16
.LBB2796_75:
	s_or_b64 exec, exec, s[26:27]
	v_add_u32_e32 v17, -1, v100
	v_and_b32_e32 v18, 64, v100
	v_cmp_lt_i32_e64 s[14:15], v17, v18
	s_nop 1
	v_cndmask_b32_e64 v17, v17, v100, s[14:15]
	v_lshlrev_b32_e32 v17, 2, v17
	ds_bpermute_b32 v104, v17, v16
	v_cmp_eq_u32_e64 s[14:15], 0, v100
	s_and_saveexec_b64 s[26:27], vcc
	s_cbranch_execz .LBB2796_98
; %bb.76:
	v_mov_b32_e32 v25, 0
	ds_read_b32 v16, v25 offset:28
	s_and_saveexec_b64 s[28:29], s[14:15]
	s_cbranch_execz .LBB2796_78
; %bb.77:
	s_add_i32 s30, s2, 64
	s_mov_b32 s31, 0
	s_lshl_b64 s[30:31], s[30:31], 3
	s_add_u32 s30, s24, s30
	v_mov_b32_e32 v17, 1
	s_addc_u32 s31, s25, s31
	s_waitcnt lgkmcnt(0)
	global_store_dwordx2 v25, v[16:17], s[30:31] sc1
.LBB2796_78:
	s_or_b64 exec, exec, s[28:29]
	v_xad_u32 v18, v100, -1, s2
	v_add_u32_e32 v24, 64, v18
	v_lshl_add_u64 v[20:21], v[24:25], 3, s[24:25]
	global_load_dwordx2 v[22:23], v[20:21], off sc1
	s_waitcnt vmcnt(0)
	v_cmp_eq_u16_sdwa s[30:31], v23, v25 src0_sel:BYTE_0 src1_sel:DWORD
	s_and_saveexec_b64 s[28:29], s[30:31]
	s_cbranch_execz .LBB2796_84
; %bb.79:
	s_mov_b32 s3, 1
	s_mov_b64 s[30:31], 0
	v_mov_b32_e32 v17, 0
.LBB2796_80:                            ; =>This Loop Header: Depth=1
                                        ;     Child Loop BB2796_81 Depth 2
	s_max_u32 s33, s3, 1
.LBB2796_81:                            ;   Parent Loop BB2796_80 Depth=1
                                        ; =>  This Inner Loop Header: Depth=2
	s_add_i32 s33, s33, -1
	s_cmp_eq_u32 s33, 0
	s_sleep 1
	s_cbranch_scc0 .LBB2796_81
; %bb.82:                               ;   in Loop: Header=BB2796_80 Depth=1
	global_load_dwordx2 v[22:23], v[20:21], off sc1
	s_cmp_lt_u32 s3, 32
	s_cselect_b64 s[34:35], -1, 0
	s_cmp_lg_u64 s[34:35], 0
	s_addc_u32 s3, s3, 0
	s_waitcnt vmcnt(0)
	v_cmp_ne_u16_sdwa s[34:35], v23, v17 src0_sel:BYTE_0 src1_sel:DWORD
	s_or_b64 s[30:31], s[34:35], s[30:31]
	s_andn2_b64 exec, exec, s[30:31]
	s_cbranch_execnz .LBB2796_80
; %bb.83:
	s_or_b64 exec, exec, s[30:31]
.LBB2796_84:
	s_or_b64 exec, exec, s[28:29]
	v_and_b32_e32 v106, 63, v100
	v_mov_b32_e32 v105, 2
	v_cmp_ne_u32_e32 vcc, 63, v106
	v_cmp_eq_u16_sdwa s[28:29], v23, v105 src0_sel:BYTE_0 src1_sel:DWORD
	v_lshlrev_b64 v[20:21], v100, -1
	v_addc_co_u32_e32 v24, vcc, 0, v100, vcc
	v_and_b32_e32 v17, s29, v21
	v_lshlrev_b32_e32 v107, 2, v24
	v_or_b32_e32 v17, 0x80000000, v17
	ds_bpermute_b32 v24, v107, v22
	v_and_b32_e32 v19, s28, v20
	v_ffbl_b32_e32 v17, v17
	v_add_u32_e32 v17, 32, v17
	v_ffbl_b32_e32 v19, v19
	v_min_u32_e32 v17, v19, v17
	v_cmp_lt_u32_e32 vcc, v106, v17
	v_add_u32_e32 v109, 2, v106
	v_add_u32_e32 v111, 4, v106
	s_waitcnt lgkmcnt(0)
	v_cndmask_b32_e32 v19, 0, v24, vcc
	v_cmp_gt_u32_e32 vcc, 62, v106
	v_add_u32_e32 v19, v19, v22
	v_add_u32_e32 v113, 8, v106
	v_cndmask_b32_e64 v22, 0, 1, vcc
	v_lshlrev_b32_e32 v22, 1, v22
	v_add_lshl_u32 v108, v22, v100, 2
	ds_bpermute_b32 v22, v108, v19
	v_cmp_le_u32_e32 vcc, v109, v17
	v_add_u32_e32 v115, 16, v106
	v_add_u32_e32 v117, 32, v106
	s_waitcnt lgkmcnt(0)
	v_cndmask_b32_e32 v22, 0, v22, vcc
	v_cmp_gt_u32_e32 vcc, 60, v106
	v_add_u32_e32 v19, v19, v22
	s_nop 0
	v_cndmask_b32_e64 v22, 0, 1, vcc
	v_lshlrev_b32_e32 v22, 2, v22
	v_add_lshl_u32 v110, v22, v100, 2
	ds_bpermute_b32 v22, v110, v19
	v_cmp_le_u32_e32 vcc, v111, v17
	s_waitcnt lgkmcnt(0)
	s_nop 0
	v_cndmask_b32_e32 v22, 0, v22, vcc
	v_cmp_gt_u32_e32 vcc, 56, v106
	v_add_u32_e32 v19, v19, v22
	s_nop 0
	v_cndmask_b32_e64 v22, 0, 1, vcc
	v_lshlrev_b32_e32 v22, 3, v22
	v_add_lshl_u32 v112, v22, v100, 2
	ds_bpermute_b32 v22, v112, v19
	v_cmp_le_u32_e32 vcc, v113, v17
	s_waitcnt lgkmcnt(0)
	s_nop 0
	;; [unrolled: 11-line block ×4, first 2 shown]
	v_cndmask_b32_e32 v17, 0, v22, vcc
	v_add_u32_e32 v22, v19, v17
	v_mov_b32_e32 v19, 0
	s_branch .LBB2796_86
.LBB2796_85:                            ;   in Loop: Header=BB2796_86 Depth=1
	s_or_b64 exec, exec, s[28:29]
	v_cmp_eq_u16_sdwa s[28:29], v23, v105 src0_sel:BYTE_0 src1_sel:DWORD
	ds_bpermute_b32 v118, v107, v22
	v_subrev_u32_e32 v18, 64, v18
	v_and_b32_e32 v24, s29, v21
	v_or_b32_e32 v24, 0x80000000, v24
	v_and_b32_e32 v25, s28, v20
	v_ffbl_b32_e32 v24, v24
	v_add_u32_e32 v24, 32, v24
	v_ffbl_b32_e32 v25, v25
	v_min_u32_e32 v24, v25, v24
	v_cmp_lt_u32_e32 vcc, v106, v24
	s_waitcnt lgkmcnt(0)
	s_nop 0
	v_cndmask_b32_e32 v25, 0, v118, vcc
	v_add_u32_e32 v22, v25, v22
	ds_bpermute_b32 v25, v108, v22
	v_cmp_le_u32_e32 vcc, v109, v24
	s_waitcnt lgkmcnt(0)
	s_nop 0
	v_cndmask_b32_e32 v25, 0, v25, vcc
	v_add_u32_e32 v22, v22, v25
	ds_bpermute_b32 v25, v110, v22
	v_cmp_le_u32_e32 vcc, v111, v24
	;; [unrolled: 6-line block ×5, first 2 shown]
	s_waitcnt lgkmcnt(0)
	s_nop 0
	v_cndmask_b32_e32 v24, 0, v25, vcc
	v_add3_u32 v22, v24, v17, v22
.LBB2796_86:                            ; =>This Loop Header: Depth=1
                                        ;     Child Loop BB2796_89 Depth 2
                                        ;       Child Loop BB2796_90 Depth 3
	v_cmp_ne_u16_sdwa s[28:29], v23, v105 src0_sel:BYTE_0 src1_sel:DWORD
	s_nop 1
	v_cndmask_b32_e64 v17, 0, 1, s[28:29]
	;;#ASMSTART
	;;#ASMEND
	s_nop 0
	v_cmp_ne_u32_e32 vcc, 0, v17
	s_cmp_lg_u64 vcc, exec
	v_mov_b32_e32 v17, v22
	s_cbranch_scc1 .LBB2796_93
; %bb.87:                               ;   in Loop: Header=BB2796_86 Depth=1
	v_lshl_add_u64 v[24:25], v[18:19], 3, s[24:25]
	global_load_dwordx2 v[22:23], v[24:25], off sc1
	s_waitcnt vmcnt(0)
	v_cmp_eq_u16_sdwa s[30:31], v23, v19 src0_sel:BYTE_0 src1_sel:DWORD
	s_and_saveexec_b64 s[28:29], s[30:31]
	s_cbranch_execz .LBB2796_85
; %bb.88:                               ;   in Loop: Header=BB2796_86 Depth=1
	s_mov_b32 s3, 1
	s_mov_b64 s[30:31], 0
.LBB2796_89:                            ;   Parent Loop BB2796_86 Depth=1
                                        ; =>  This Loop Header: Depth=2
                                        ;       Child Loop BB2796_90 Depth 3
	s_max_u32 s33, s3, 1
.LBB2796_90:                            ;   Parent Loop BB2796_86 Depth=1
                                        ;     Parent Loop BB2796_89 Depth=2
                                        ; =>    This Inner Loop Header: Depth=3
	s_add_i32 s33, s33, -1
	s_cmp_eq_u32 s33, 0
	s_sleep 1
	s_cbranch_scc0 .LBB2796_90
; %bb.91:                               ;   in Loop: Header=BB2796_89 Depth=2
	global_load_dwordx2 v[22:23], v[24:25], off sc1
	s_cmp_lt_u32 s3, 32
	s_cselect_b64 s[34:35], -1, 0
	s_cmp_lg_u64 s[34:35], 0
	s_addc_u32 s3, s3, 0
	s_waitcnt vmcnt(0)
	v_cmp_ne_u16_sdwa s[34:35], v23, v19 src0_sel:BYTE_0 src1_sel:DWORD
	s_or_b64 s[30:31], s[34:35], s[30:31]
	s_andn2_b64 exec, exec, s[30:31]
	s_cbranch_execnz .LBB2796_89
; %bb.92:                               ;   in Loop: Header=BB2796_86 Depth=1
	s_or_b64 exec, exec, s[30:31]
	s_branch .LBB2796_85
.LBB2796_93:                            ;   in Loop: Header=BB2796_86 Depth=1
                                        ; implicit-def: $vgpr22
                                        ; implicit-def: $vgpr23
	s_cbranch_execz .LBB2796_86
; %bb.94:
	s_and_saveexec_b64 s[28:29], s[14:15]
	s_cbranch_execz .LBB2796_96
; %bb.95:
	s_add_i32 s2, s2, 64
	s_mov_b32 s3, 0
	s_lshl_b64 s[2:3], s[2:3], 3
	s_add_u32 s2, s24, s2
	v_add_u32_e32 v18, v17, v16
	v_mov_b32_e32 v19, 2
	s_addc_u32 s3, s25, s3
	v_mov_b32_e32 v20, 0
	global_store_dwordx2 v20, v[18:19], s[2:3] sc1
	ds_write_b64 v20, v[16:17] offset:30720
.LBB2796_96:
	s_or_b64 exec, exec, s[28:29]
	v_cmp_eq_u32_e32 vcc, 0, v0
	s_and_b64 exec, exec, vcc
	s_cbranch_execz .LBB2796_98
; %bb.97:
	v_mov_b32_e32 v16, 0
	ds_write_b32 v16, v17 offset:28
.LBB2796_98:
	s_or_b64 exec, exec, s[26:27]
	v_mov_b32_e32 v16, 0
	s_waitcnt lgkmcnt(0)
	s_barrier
	ds_read_b32 v19, v16 offset:28
	s_waitcnt lgkmcnt(0)
	s_barrier
	ds_read_b64 v[16:17], v16 offset:30720
	v_cndmask_b32_e64 v18, v104, v103, s[14:15]
	v_cmp_ne_u32_e32 vcc, 0, v0
	s_nop 1
	v_cndmask_b32_e32 v18, 0, v18, vcc
	v_add_u32_e32 v18, v19, v18
	s_branch .LBB2796_109
.LBB2796_99:
                                        ; implicit-def: $vgpr17
                                        ; implicit-def: $vgpr18
	s_cbranch_execz .LBB2796_109
; %bb.100:
	s_waitcnt lgkmcnt(0)
	v_mov_b32_dpp v16, v102 row_shr:1 row_mask:0xf bank_mask:0xf
	v_cndmask_b32_e64 v16, v16, 0, s[12:13]
	v_add_u32_e32 v16, v16, v102
	s_nop 1
	v_mov_b32_dpp v17, v16 row_shr:2 row_mask:0xf bank_mask:0xf
	v_cndmask_b32_e64 v17, 0, v17, s[10:11]
	v_add_u32_e32 v16, v16, v17
	s_nop 1
	;; [unrolled: 4-line block ×4, first 2 shown]
	v_mov_b32_dpp v17, v16 row_bcast:15 row_mask:0xf bank_mask:0xf
	v_cndmask_b32_e64 v17, v17, 0, s[4:5]
	v_add_u32_e32 v16, v16, v17
	s_nop 1
	v_mov_b32_dpp v17, v16 row_bcast:31 row_mask:0xf bank_mask:0xf
	v_cndmask_b32_e64 v17, 0, v17, s[0:1]
	v_add_u32_e32 v16, v16, v17
	s_and_saveexec_b64 s[0:1], s[16:17]
	s_cbranch_execz .LBB2796_102
; %bb.101:
	v_lshlrev_b32_e32 v17, 2, v101
	ds_write_b32 v17, v16
.LBB2796_102:
	s_or_b64 exec, exec, s[0:1]
	v_cmp_gt_u32_e32 vcc, 8, v0
	s_waitcnt lgkmcnt(0)
	s_barrier
	s_and_saveexec_b64 s[0:1], vcc
	s_cbranch_execz .LBB2796_104
; %bb.103:
	v_lshlrev_b32_e32 v17, 2, v0
	ds_read_b32 v18, v17
	v_and_b32_e32 v19, 7, v100
	v_cmp_ne_u32_e32 vcc, 0, v19
	s_waitcnt lgkmcnt(0)
	v_mov_b32_dpp v20, v18 row_shr:1 row_mask:0xf bank_mask:0xf
	v_cndmask_b32_e32 v20, 0, v20, vcc
	v_add_u32_e32 v18, v20, v18
	v_cmp_lt_u32_e32 vcc, 1, v19
	s_nop 0
	v_mov_b32_dpp v20, v18 row_shr:2 row_mask:0xf bank_mask:0xf
	v_cndmask_b32_e32 v20, 0, v20, vcc
	v_add_u32_e32 v18, v18, v20
	v_cmp_lt_u32_e32 vcc, 3, v19
	s_nop 0
	v_mov_b32_dpp v20, v18 row_shr:4 row_mask:0xf bank_mask:0xf
	v_cndmask_b32_e32 v19, 0, v20, vcc
	v_add_u32_e32 v18, v18, v19
	ds_write_b32 v17, v18
.LBB2796_104:
	s_or_b64 exec, exec, s[0:1]
	v_cmp_lt_u32_e32 vcc, 63, v0
	v_mov_b32_e32 v17, 0
	v_mov_b32_e32 v18, 0
	s_waitcnt lgkmcnt(0)
	s_barrier
	s_and_saveexec_b64 s[0:1], vcc
	s_cbranch_execz .LBB2796_106
; %bb.105:
	v_lshl_add_u32 v18, v101, 2, -4
	ds_read_b32 v18, v18
.LBB2796_106:
	s_or_b64 exec, exec, s[0:1]
	v_add_u32_e32 v19, -1, v100
	v_and_b32_e32 v20, 64, v100
	v_cmp_lt_i32_e32 vcc, v19, v20
	s_waitcnt lgkmcnt(0)
	v_add_u32_e32 v16, v18, v16
	v_cndmask_b32_e32 v19, v19, v100, vcc
	v_lshlrev_b32_e32 v19, 2, v19
	ds_bpermute_b32 v19, v19, v16
	ds_read_b32 v16, v17 offset:28
	v_cmp_eq_u32_e32 vcc, 0, v0
	s_and_saveexec_b64 s[0:1], vcc
	s_cbranch_execz .LBB2796_108
; %bb.107:
	v_mov_b32_e32 v20, 0
	v_mov_b32_e32 v17, 2
	s_waitcnt lgkmcnt(0)
	global_store_dwordx2 v20, v[16:17], s[24:25] offset:512 sc1
.LBB2796_108:
	s_or_b64 exec, exec, s[0:1]
	v_cmp_eq_u32_e64 s[0:1], 0, v100
	v_mov_b32_e32 v17, 0
	s_waitcnt lgkmcnt(0)
	v_cndmask_b32_e64 v18, v19, v18, s[0:1]
	v_cndmask_b32_e64 v18, v18, 0, vcc
	s_barrier
.LBB2796_109:
	v_add_u32_e32 v19, v18, v72
	v_add_u32_e32 v20, v19, v73
	;; [unrolled: 1-line block ×21, first 2 shown]
	s_waitcnt lgkmcnt(0)
	v_add_u32_e32 v39, v16, v39
	v_sub_u32_e32 v18, v18, v17
	v_and_b32_e32 v71, 1, v71
	v_add_u32_e32 v86, v85, v93
	v_sub_u32_e32 v93, v39, v18
	v_cmp_eq_u32_e32 vcc, 1, v71
	v_add_u32_e32 v87, v86, v94
	v_add_u32_e32 v88, v87, v95
	v_cndmask_b32_e32 v18, v93, v18, vcc
	v_lshlrev_b32_e32 v18, 1, v18
	ds_write_b16 v18, v14
	v_sub_u32_e32 v14, v19, v17
	v_sub_u32_e32 v18, v39, v14
	v_and_b32_e32 v19, 1, v70
	v_add_u32_e32 v18, 1, v18
	v_cmp_eq_u32_e32 vcc, 1, v19
	v_and_b32_e32 v19, 1, v69
	v_add_u32_e32 v89, v88, v96
	v_cndmask_b32_e32 v14, v18, v14, vcc
	v_lshlrev_b32_e32 v14, 1, v14
	ds_write_b16 v14, v41
	v_sub_u32_e32 v14, v20, v17
	v_sub_u32_e32 v18, v39, v14
	v_add_u32_e32 v18, 2, v18
	v_cmp_eq_u32_e32 vcc, 1, v19
	v_add_u32_e32 v90, v89, v97
	v_add_u32_e32 v91, v90, v98
	v_cndmask_b32_e32 v14, v18, v14, vcc
	v_lshlrev_b32_e32 v14, 1, v14
	ds_write_b16 v14, v15
	v_sub_u32_e32 v14, v21, v17
	v_sub_u32_e32 v15, v39, v14
	v_and_b32_e32 v18, 1, v68
	v_add_u32_e32 v15, 3, v15
	v_cmp_eq_u32_e32 vcc, 1, v18
	v_and_b32_e32 v18, 1, v67
	v_add_u32_e32 v92, v91, v99
	v_cndmask_b32_e32 v14, v15, v14, vcc
	v_lshlrev_b32_e32 v14, 1, v14
	ds_write_b16 v14, v40
	v_sub_u32_e32 v14, v22, v17
	v_sub_u32_e32 v15, v39, v14
	v_add_u32_e32 v15, 4, v15
	v_cmp_eq_u32_e32 vcc, 1, v18
	s_nop 1
	v_cndmask_b32_e32 v14, v15, v14, vcc
	v_lshlrev_b32_e32 v14, 1, v14
	ds_write_b16 v14, v12
	v_sub_u32_e32 v12, v23, v17
	v_sub_u32_e32 v14, v39, v12
	v_and_b32_e32 v15, 1, v66
	v_add_u32_e32 v14, 5, v14
	v_cmp_eq_u32_e32 vcc, 1, v15
	v_and_b32_e32 v15, 1, v65
	s_nop 0
	v_cndmask_b32_e32 v12, v14, v12, vcc
	v_lshlrev_b32_e32 v12, 1, v12
	ds_write_b16 v12, v38
	v_sub_u32_e32 v12, v24, v17
	v_sub_u32_e32 v14, v39, v12
	v_add_u32_e32 v14, 6, v14
	v_cmp_eq_u32_e32 vcc, 1, v15
	s_nop 1
	v_cndmask_b32_e32 v12, v14, v12, vcc
	v_lshlrev_b32_e32 v12, 1, v12
	ds_write_b16 v12, v13
	v_sub_u32_e32 v12, v25, v17
	v_sub_u32_e32 v13, v39, v12
	v_and_b32_e32 v14, 1, v64
	v_add_u32_e32 v13, 7, v13
	v_cmp_eq_u32_e32 vcc, 1, v14
	v_and_b32_e32 v14, 1, v63
	s_nop 0
	;; [unrolled: 18-line block ×12, first 2 shown]
	v_cndmask_b32_e32 v2, v3, v2, vcc
	v_lshlrev_b32_e32 v2, 1, v2
	ds_write_b16 v2, v27
	v_sub_u32_e32 v2, v92, v17
	v_sub_u32_e32 v3, v39, v2
	v_add_u32_e32 v3, 28, v3
	v_cmp_eq_u32_e32 vcc, 1, v4
	v_and_b32_e32 v4, 1, v43
	s_nop 0
	v_cndmask_b32_e32 v2, v3, v2, vcc
	v_lshlrev_b32_e32 v2, 1, v2
	ds_write_b16 v2, v26
	v_sub_u32_sdwa v2, v42, v17 dst_sel:DWORD dst_unused:UNUSED_PAD src0_sel:BYTE_0 src1_sel:DWORD
	v_add_u32_e32 v2, v92, v2
	v_sub_u32_e32 v3, v39, v2
	v_add_u32_e32 v3, 29, v3
	v_cmp_eq_u32_e32 vcc, 1, v4
	s_nop 1
	v_cndmask_b32_e32 v2, v3, v2, vcc
	v_cmp_eq_u32_e32 vcc, 0, v0
	v_lshlrev_b32_e32 v2, 1, v2
	s_and_b64 s[0:1], vcc, s[22:23]
	ds_write_b16 v2, v1
	s_waitcnt lgkmcnt(0)
	s_barrier
	s_and_saveexec_b64 s[2:3], s[0:1]
	s_cbranch_execz .LBB2796_111
; %bb.110:
	v_mov_b32_e32 v1, 0
	v_mov_b32_e32 v0, v16
	v_lshl_add_u64 v[2:3], s[18:19], 0, v[0:1]
	v_mov_b32_e32 v0, v17
	v_lshl_add_u64 v[2:3], v[2:3], 0, v[0:1]
	global_store_dwordx2 v1, v[2:3], s[20:21]
.LBB2796_111:
	s_endpgm
	.section	.rodata,"a",@progbits
	.p2align	6, 0x0
	.amdhsa_kernel _ZN7rocprim17ROCPRIM_400000_NS6detail17trampoline_kernelINS0_14default_configENS1_25partition_config_selectorILNS1_17partition_subalgoE0EsNS0_10empty_typeEbEEZZNS1_14partition_implILS5_0ELb0ES3_jN6thrust23THRUST_200600_302600_NS6detail15normal_iteratorINSA_10device_ptrIsEEEEPS6_SG_NS0_5tupleIJNSA_16discard_iteratorINSA_11use_defaultEEESK_EEENSH_IJSG_SG_EEES6_PlJ7is_evenIsEEEE10hipError_tPvRmT3_T4_T5_T6_T7_T9_mT8_P12ihipStream_tbDpT10_ENKUlT_T0_E_clISt17integral_constantIbLb1EES18_IbLb0EEEEDaS14_S15_EUlS14_E_NS1_11comp_targetILNS1_3genE5ELNS1_11target_archE942ELNS1_3gpuE9ELNS1_3repE0EEENS1_30default_config_static_selectorELNS0_4arch9wavefront6targetE1EEEvT1_
		.amdhsa_group_segment_fixed_size 30728
		.amdhsa_private_segment_fixed_size 0
		.amdhsa_kernarg_size 136
		.amdhsa_user_sgpr_count 2
		.amdhsa_user_sgpr_dispatch_ptr 0
		.amdhsa_user_sgpr_queue_ptr 0
		.amdhsa_user_sgpr_kernarg_segment_ptr 1
		.amdhsa_user_sgpr_dispatch_id 0
		.amdhsa_user_sgpr_kernarg_preload_length 0
		.amdhsa_user_sgpr_kernarg_preload_offset 0
		.amdhsa_user_sgpr_private_segment_size 0
		.amdhsa_uses_dynamic_stack 0
		.amdhsa_enable_private_segment 0
		.amdhsa_system_sgpr_workgroup_id_x 1
		.amdhsa_system_sgpr_workgroup_id_y 0
		.amdhsa_system_sgpr_workgroup_id_z 0
		.amdhsa_system_sgpr_workgroup_info 0
		.amdhsa_system_vgpr_workitem_id 0
		.amdhsa_next_free_vgpr 119
		.amdhsa_next_free_sgpr 36
		.amdhsa_accum_offset 120
		.amdhsa_reserve_vcc 1
		.amdhsa_float_round_mode_32 0
		.amdhsa_float_round_mode_16_64 0
		.amdhsa_float_denorm_mode_32 3
		.amdhsa_float_denorm_mode_16_64 3
		.amdhsa_dx10_clamp 1
		.amdhsa_ieee_mode 1
		.amdhsa_fp16_overflow 0
		.amdhsa_tg_split 0
		.amdhsa_exception_fp_ieee_invalid_op 0
		.amdhsa_exception_fp_denorm_src 0
		.amdhsa_exception_fp_ieee_div_zero 0
		.amdhsa_exception_fp_ieee_overflow 0
		.amdhsa_exception_fp_ieee_underflow 0
		.amdhsa_exception_fp_ieee_inexact 0
		.amdhsa_exception_int_div_zero 0
	.end_amdhsa_kernel
	.section	.text._ZN7rocprim17ROCPRIM_400000_NS6detail17trampoline_kernelINS0_14default_configENS1_25partition_config_selectorILNS1_17partition_subalgoE0EsNS0_10empty_typeEbEEZZNS1_14partition_implILS5_0ELb0ES3_jN6thrust23THRUST_200600_302600_NS6detail15normal_iteratorINSA_10device_ptrIsEEEEPS6_SG_NS0_5tupleIJNSA_16discard_iteratorINSA_11use_defaultEEESK_EEENSH_IJSG_SG_EEES6_PlJ7is_evenIsEEEE10hipError_tPvRmT3_T4_T5_T6_T7_T9_mT8_P12ihipStream_tbDpT10_ENKUlT_T0_E_clISt17integral_constantIbLb1EES18_IbLb0EEEEDaS14_S15_EUlS14_E_NS1_11comp_targetILNS1_3genE5ELNS1_11target_archE942ELNS1_3gpuE9ELNS1_3repE0EEENS1_30default_config_static_selectorELNS0_4arch9wavefront6targetE1EEEvT1_,"axG",@progbits,_ZN7rocprim17ROCPRIM_400000_NS6detail17trampoline_kernelINS0_14default_configENS1_25partition_config_selectorILNS1_17partition_subalgoE0EsNS0_10empty_typeEbEEZZNS1_14partition_implILS5_0ELb0ES3_jN6thrust23THRUST_200600_302600_NS6detail15normal_iteratorINSA_10device_ptrIsEEEEPS6_SG_NS0_5tupleIJNSA_16discard_iteratorINSA_11use_defaultEEESK_EEENSH_IJSG_SG_EEES6_PlJ7is_evenIsEEEE10hipError_tPvRmT3_T4_T5_T6_T7_T9_mT8_P12ihipStream_tbDpT10_ENKUlT_T0_E_clISt17integral_constantIbLb1EES18_IbLb0EEEEDaS14_S15_EUlS14_E_NS1_11comp_targetILNS1_3genE5ELNS1_11target_archE942ELNS1_3gpuE9ELNS1_3repE0EEENS1_30default_config_static_selectorELNS0_4arch9wavefront6targetE1EEEvT1_,comdat
.Lfunc_end2796:
	.size	_ZN7rocprim17ROCPRIM_400000_NS6detail17trampoline_kernelINS0_14default_configENS1_25partition_config_selectorILNS1_17partition_subalgoE0EsNS0_10empty_typeEbEEZZNS1_14partition_implILS5_0ELb0ES3_jN6thrust23THRUST_200600_302600_NS6detail15normal_iteratorINSA_10device_ptrIsEEEEPS6_SG_NS0_5tupleIJNSA_16discard_iteratorINSA_11use_defaultEEESK_EEENSH_IJSG_SG_EEES6_PlJ7is_evenIsEEEE10hipError_tPvRmT3_T4_T5_T6_T7_T9_mT8_P12ihipStream_tbDpT10_ENKUlT_T0_E_clISt17integral_constantIbLb1EES18_IbLb0EEEEDaS14_S15_EUlS14_E_NS1_11comp_targetILNS1_3genE5ELNS1_11target_archE942ELNS1_3gpuE9ELNS1_3repE0EEENS1_30default_config_static_selectorELNS0_4arch9wavefront6targetE1EEEvT1_, .Lfunc_end2796-_ZN7rocprim17ROCPRIM_400000_NS6detail17trampoline_kernelINS0_14default_configENS1_25partition_config_selectorILNS1_17partition_subalgoE0EsNS0_10empty_typeEbEEZZNS1_14partition_implILS5_0ELb0ES3_jN6thrust23THRUST_200600_302600_NS6detail15normal_iteratorINSA_10device_ptrIsEEEEPS6_SG_NS0_5tupleIJNSA_16discard_iteratorINSA_11use_defaultEEESK_EEENSH_IJSG_SG_EEES6_PlJ7is_evenIsEEEE10hipError_tPvRmT3_T4_T5_T6_T7_T9_mT8_P12ihipStream_tbDpT10_ENKUlT_T0_E_clISt17integral_constantIbLb1EES18_IbLb0EEEEDaS14_S15_EUlS14_E_NS1_11comp_targetILNS1_3genE5ELNS1_11target_archE942ELNS1_3gpuE9ELNS1_3repE0EEENS1_30default_config_static_selectorELNS0_4arch9wavefront6targetE1EEEvT1_
                                        ; -- End function
	.section	.AMDGPU.csdata,"",@progbits
; Kernel info:
; codeLenInByte = 7296
; NumSgprs: 42
; NumVgprs: 119
; NumAgprs: 0
; TotalNumVgprs: 119
; ScratchSize: 0
; MemoryBound: 0
; FloatMode: 240
; IeeeMode: 1
; LDSByteSize: 30728 bytes/workgroup (compile time only)
; SGPRBlocks: 5
; VGPRBlocks: 14
; NumSGPRsForWavesPerEU: 42
; NumVGPRsForWavesPerEU: 119
; AccumOffset: 120
; Occupancy: 4
; WaveLimiterHint : 1
; COMPUTE_PGM_RSRC2:SCRATCH_EN: 0
; COMPUTE_PGM_RSRC2:USER_SGPR: 2
; COMPUTE_PGM_RSRC2:TRAP_HANDLER: 0
; COMPUTE_PGM_RSRC2:TGID_X_EN: 1
; COMPUTE_PGM_RSRC2:TGID_Y_EN: 0
; COMPUTE_PGM_RSRC2:TGID_Z_EN: 0
; COMPUTE_PGM_RSRC2:TIDIG_COMP_CNT: 0
; COMPUTE_PGM_RSRC3_GFX90A:ACCUM_OFFSET: 29
; COMPUTE_PGM_RSRC3_GFX90A:TG_SPLIT: 0
	.section	.text._ZN7rocprim17ROCPRIM_400000_NS6detail17trampoline_kernelINS0_14default_configENS1_25partition_config_selectorILNS1_17partition_subalgoE0EsNS0_10empty_typeEbEEZZNS1_14partition_implILS5_0ELb0ES3_jN6thrust23THRUST_200600_302600_NS6detail15normal_iteratorINSA_10device_ptrIsEEEEPS6_SG_NS0_5tupleIJNSA_16discard_iteratorINSA_11use_defaultEEESK_EEENSH_IJSG_SG_EEES6_PlJ7is_evenIsEEEE10hipError_tPvRmT3_T4_T5_T6_T7_T9_mT8_P12ihipStream_tbDpT10_ENKUlT_T0_E_clISt17integral_constantIbLb1EES18_IbLb0EEEEDaS14_S15_EUlS14_E_NS1_11comp_targetILNS1_3genE4ELNS1_11target_archE910ELNS1_3gpuE8ELNS1_3repE0EEENS1_30default_config_static_selectorELNS0_4arch9wavefront6targetE1EEEvT1_,"axG",@progbits,_ZN7rocprim17ROCPRIM_400000_NS6detail17trampoline_kernelINS0_14default_configENS1_25partition_config_selectorILNS1_17partition_subalgoE0EsNS0_10empty_typeEbEEZZNS1_14partition_implILS5_0ELb0ES3_jN6thrust23THRUST_200600_302600_NS6detail15normal_iteratorINSA_10device_ptrIsEEEEPS6_SG_NS0_5tupleIJNSA_16discard_iteratorINSA_11use_defaultEEESK_EEENSH_IJSG_SG_EEES6_PlJ7is_evenIsEEEE10hipError_tPvRmT3_T4_T5_T6_T7_T9_mT8_P12ihipStream_tbDpT10_ENKUlT_T0_E_clISt17integral_constantIbLb1EES18_IbLb0EEEEDaS14_S15_EUlS14_E_NS1_11comp_targetILNS1_3genE4ELNS1_11target_archE910ELNS1_3gpuE8ELNS1_3repE0EEENS1_30default_config_static_selectorELNS0_4arch9wavefront6targetE1EEEvT1_,comdat
	.protected	_ZN7rocprim17ROCPRIM_400000_NS6detail17trampoline_kernelINS0_14default_configENS1_25partition_config_selectorILNS1_17partition_subalgoE0EsNS0_10empty_typeEbEEZZNS1_14partition_implILS5_0ELb0ES3_jN6thrust23THRUST_200600_302600_NS6detail15normal_iteratorINSA_10device_ptrIsEEEEPS6_SG_NS0_5tupleIJNSA_16discard_iteratorINSA_11use_defaultEEESK_EEENSH_IJSG_SG_EEES6_PlJ7is_evenIsEEEE10hipError_tPvRmT3_T4_T5_T6_T7_T9_mT8_P12ihipStream_tbDpT10_ENKUlT_T0_E_clISt17integral_constantIbLb1EES18_IbLb0EEEEDaS14_S15_EUlS14_E_NS1_11comp_targetILNS1_3genE4ELNS1_11target_archE910ELNS1_3gpuE8ELNS1_3repE0EEENS1_30default_config_static_selectorELNS0_4arch9wavefront6targetE1EEEvT1_ ; -- Begin function _ZN7rocprim17ROCPRIM_400000_NS6detail17trampoline_kernelINS0_14default_configENS1_25partition_config_selectorILNS1_17partition_subalgoE0EsNS0_10empty_typeEbEEZZNS1_14partition_implILS5_0ELb0ES3_jN6thrust23THRUST_200600_302600_NS6detail15normal_iteratorINSA_10device_ptrIsEEEEPS6_SG_NS0_5tupleIJNSA_16discard_iteratorINSA_11use_defaultEEESK_EEENSH_IJSG_SG_EEES6_PlJ7is_evenIsEEEE10hipError_tPvRmT3_T4_T5_T6_T7_T9_mT8_P12ihipStream_tbDpT10_ENKUlT_T0_E_clISt17integral_constantIbLb1EES18_IbLb0EEEEDaS14_S15_EUlS14_E_NS1_11comp_targetILNS1_3genE4ELNS1_11target_archE910ELNS1_3gpuE8ELNS1_3repE0EEENS1_30default_config_static_selectorELNS0_4arch9wavefront6targetE1EEEvT1_
	.globl	_ZN7rocprim17ROCPRIM_400000_NS6detail17trampoline_kernelINS0_14default_configENS1_25partition_config_selectorILNS1_17partition_subalgoE0EsNS0_10empty_typeEbEEZZNS1_14partition_implILS5_0ELb0ES3_jN6thrust23THRUST_200600_302600_NS6detail15normal_iteratorINSA_10device_ptrIsEEEEPS6_SG_NS0_5tupleIJNSA_16discard_iteratorINSA_11use_defaultEEESK_EEENSH_IJSG_SG_EEES6_PlJ7is_evenIsEEEE10hipError_tPvRmT3_T4_T5_T6_T7_T9_mT8_P12ihipStream_tbDpT10_ENKUlT_T0_E_clISt17integral_constantIbLb1EES18_IbLb0EEEEDaS14_S15_EUlS14_E_NS1_11comp_targetILNS1_3genE4ELNS1_11target_archE910ELNS1_3gpuE8ELNS1_3repE0EEENS1_30default_config_static_selectorELNS0_4arch9wavefront6targetE1EEEvT1_
	.p2align	8
	.type	_ZN7rocprim17ROCPRIM_400000_NS6detail17trampoline_kernelINS0_14default_configENS1_25partition_config_selectorILNS1_17partition_subalgoE0EsNS0_10empty_typeEbEEZZNS1_14partition_implILS5_0ELb0ES3_jN6thrust23THRUST_200600_302600_NS6detail15normal_iteratorINSA_10device_ptrIsEEEEPS6_SG_NS0_5tupleIJNSA_16discard_iteratorINSA_11use_defaultEEESK_EEENSH_IJSG_SG_EEES6_PlJ7is_evenIsEEEE10hipError_tPvRmT3_T4_T5_T6_T7_T9_mT8_P12ihipStream_tbDpT10_ENKUlT_T0_E_clISt17integral_constantIbLb1EES18_IbLb0EEEEDaS14_S15_EUlS14_E_NS1_11comp_targetILNS1_3genE4ELNS1_11target_archE910ELNS1_3gpuE8ELNS1_3repE0EEENS1_30default_config_static_selectorELNS0_4arch9wavefront6targetE1EEEvT1_,@function
_ZN7rocprim17ROCPRIM_400000_NS6detail17trampoline_kernelINS0_14default_configENS1_25partition_config_selectorILNS1_17partition_subalgoE0EsNS0_10empty_typeEbEEZZNS1_14partition_implILS5_0ELb0ES3_jN6thrust23THRUST_200600_302600_NS6detail15normal_iteratorINSA_10device_ptrIsEEEEPS6_SG_NS0_5tupleIJNSA_16discard_iteratorINSA_11use_defaultEEESK_EEENSH_IJSG_SG_EEES6_PlJ7is_evenIsEEEE10hipError_tPvRmT3_T4_T5_T6_T7_T9_mT8_P12ihipStream_tbDpT10_ENKUlT_T0_E_clISt17integral_constantIbLb1EES18_IbLb0EEEEDaS14_S15_EUlS14_E_NS1_11comp_targetILNS1_3genE4ELNS1_11target_archE910ELNS1_3gpuE8ELNS1_3repE0EEENS1_30default_config_static_selectorELNS0_4arch9wavefront6targetE1EEEvT1_: ; @_ZN7rocprim17ROCPRIM_400000_NS6detail17trampoline_kernelINS0_14default_configENS1_25partition_config_selectorILNS1_17partition_subalgoE0EsNS0_10empty_typeEbEEZZNS1_14partition_implILS5_0ELb0ES3_jN6thrust23THRUST_200600_302600_NS6detail15normal_iteratorINSA_10device_ptrIsEEEEPS6_SG_NS0_5tupleIJNSA_16discard_iteratorINSA_11use_defaultEEESK_EEENSH_IJSG_SG_EEES6_PlJ7is_evenIsEEEE10hipError_tPvRmT3_T4_T5_T6_T7_T9_mT8_P12ihipStream_tbDpT10_ENKUlT_T0_E_clISt17integral_constantIbLb1EES18_IbLb0EEEEDaS14_S15_EUlS14_E_NS1_11comp_targetILNS1_3genE4ELNS1_11target_archE910ELNS1_3gpuE8ELNS1_3repE0EEENS1_30default_config_static_selectorELNS0_4arch9wavefront6targetE1EEEvT1_
; %bb.0:
	.section	.rodata,"a",@progbits
	.p2align	6, 0x0
	.amdhsa_kernel _ZN7rocprim17ROCPRIM_400000_NS6detail17trampoline_kernelINS0_14default_configENS1_25partition_config_selectorILNS1_17partition_subalgoE0EsNS0_10empty_typeEbEEZZNS1_14partition_implILS5_0ELb0ES3_jN6thrust23THRUST_200600_302600_NS6detail15normal_iteratorINSA_10device_ptrIsEEEEPS6_SG_NS0_5tupleIJNSA_16discard_iteratorINSA_11use_defaultEEESK_EEENSH_IJSG_SG_EEES6_PlJ7is_evenIsEEEE10hipError_tPvRmT3_T4_T5_T6_T7_T9_mT8_P12ihipStream_tbDpT10_ENKUlT_T0_E_clISt17integral_constantIbLb1EES18_IbLb0EEEEDaS14_S15_EUlS14_E_NS1_11comp_targetILNS1_3genE4ELNS1_11target_archE910ELNS1_3gpuE8ELNS1_3repE0EEENS1_30default_config_static_selectorELNS0_4arch9wavefront6targetE1EEEvT1_
		.amdhsa_group_segment_fixed_size 0
		.amdhsa_private_segment_fixed_size 0
		.amdhsa_kernarg_size 136
		.amdhsa_user_sgpr_count 2
		.amdhsa_user_sgpr_dispatch_ptr 0
		.amdhsa_user_sgpr_queue_ptr 0
		.amdhsa_user_sgpr_kernarg_segment_ptr 1
		.amdhsa_user_sgpr_dispatch_id 0
		.amdhsa_user_sgpr_kernarg_preload_length 0
		.amdhsa_user_sgpr_kernarg_preload_offset 0
		.amdhsa_user_sgpr_private_segment_size 0
		.amdhsa_uses_dynamic_stack 0
		.amdhsa_enable_private_segment 0
		.amdhsa_system_sgpr_workgroup_id_x 1
		.amdhsa_system_sgpr_workgroup_id_y 0
		.amdhsa_system_sgpr_workgroup_id_z 0
		.amdhsa_system_sgpr_workgroup_info 0
		.amdhsa_system_vgpr_workitem_id 0
		.amdhsa_next_free_vgpr 1
		.amdhsa_next_free_sgpr 0
		.amdhsa_accum_offset 4
		.amdhsa_reserve_vcc 0
		.amdhsa_float_round_mode_32 0
		.amdhsa_float_round_mode_16_64 0
		.amdhsa_float_denorm_mode_32 3
		.amdhsa_float_denorm_mode_16_64 3
		.amdhsa_dx10_clamp 1
		.amdhsa_ieee_mode 1
		.amdhsa_fp16_overflow 0
		.amdhsa_tg_split 0
		.amdhsa_exception_fp_ieee_invalid_op 0
		.amdhsa_exception_fp_denorm_src 0
		.amdhsa_exception_fp_ieee_div_zero 0
		.amdhsa_exception_fp_ieee_overflow 0
		.amdhsa_exception_fp_ieee_underflow 0
		.amdhsa_exception_fp_ieee_inexact 0
		.amdhsa_exception_int_div_zero 0
	.end_amdhsa_kernel
	.section	.text._ZN7rocprim17ROCPRIM_400000_NS6detail17trampoline_kernelINS0_14default_configENS1_25partition_config_selectorILNS1_17partition_subalgoE0EsNS0_10empty_typeEbEEZZNS1_14partition_implILS5_0ELb0ES3_jN6thrust23THRUST_200600_302600_NS6detail15normal_iteratorINSA_10device_ptrIsEEEEPS6_SG_NS0_5tupleIJNSA_16discard_iteratorINSA_11use_defaultEEESK_EEENSH_IJSG_SG_EEES6_PlJ7is_evenIsEEEE10hipError_tPvRmT3_T4_T5_T6_T7_T9_mT8_P12ihipStream_tbDpT10_ENKUlT_T0_E_clISt17integral_constantIbLb1EES18_IbLb0EEEEDaS14_S15_EUlS14_E_NS1_11comp_targetILNS1_3genE4ELNS1_11target_archE910ELNS1_3gpuE8ELNS1_3repE0EEENS1_30default_config_static_selectorELNS0_4arch9wavefront6targetE1EEEvT1_,"axG",@progbits,_ZN7rocprim17ROCPRIM_400000_NS6detail17trampoline_kernelINS0_14default_configENS1_25partition_config_selectorILNS1_17partition_subalgoE0EsNS0_10empty_typeEbEEZZNS1_14partition_implILS5_0ELb0ES3_jN6thrust23THRUST_200600_302600_NS6detail15normal_iteratorINSA_10device_ptrIsEEEEPS6_SG_NS0_5tupleIJNSA_16discard_iteratorINSA_11use_defaultEEESK_EEENSH_IJSG_SG_EEES6_PlJ7is_evenIsEEEE10hipError_tPvRmT3_T4_T5_T6_T7_T9_mT8_P12ihipStream_tbDpT10_ENKUlT_T0_E_clISt17integral_constantIbLb1EES18_IbLb0EEEEDaS14_S15_EUlS14_E_NS1_11comp_targetILNS1_3genE4ELNS1_11target_archE910ELNS1_3gpuE8ELNS1_3repE0EEENS1_30default_config_static_selectorELNS0_4arch9wavefront6targetE1EEEvT1_,comdat
.Lfunc_end2797:
	.size	_ZN7rocprim17ROCPRIM_400000_NS6detail17trampoline_kernelINS0_14default_configENS1_25partition_config_selectorILNS1_17partition_subalgoE0EsNS0_10empty_typeEbEEZZNS1_14partition_implILS5_0ELb0ES3_jN6thrust23THRUST_200600_302600_NS6detail15normal_iteratorINSA_10device_ptrIsEEEEPS6_SG_NS0_5tupleIJNSA_16discard_iteratorINSA_11use_defaultEEESK_EEENSH_IJSG_SG_EEES6_PlJ7is_evenIsEEEE10hipError_tPvRmT3_T4_T5_T6_T7_T9_mT8_P12ihipStream_tbDpT10_ENKUlT_T0_E_clISt17integral_constantIbLb1EES18_IbLb0EEEEDaS14_S15_EUlS14_E_NS1_11comp_targetILNS1_3genE4ELNS1_11target_archE910ELNS1_3gpuE8ELNS1_3repE0EEENS1_30default_config_static_selectorELNS0_4arch9wavefront6targetE1EEEvT1_, .Lfunc_end2797-_ZN7rocprim17ROCPRIM_400000_NS6detail17trampoline_kernelINS0_14default_configENS1_25partition_config_selectorILNS1_17partition_subalgoE0EsNS0_10empty_typeEbEEZZNS1_14partition_implILS5_0ELb0ES3_jN6thrust23THRUST_200600_302600_NS6detail15normal_iteratorINSA_10device_ptrIsEEEEPS6_SG_NS0_5tupleIJNSA_16discard_iteratorINSA_11use_defaultEEESK_EEENSH_IJSG_SG_EEES6_PlJ7is_evenIsEEEE10hipError_tPvRmT3_T4_T5_T6_T7_T9_mT8_P12ihipStream_tbDpT10_ENKUlT_T0_E_clISt17integral_constantIbLb1EES18_IbLb0EEEEDaS14_S15_EUlS14_E_NS1_11comp_targetILNS1_3genE4ELNS1_11target_archE910ELNS1_3gpuE8ELNS1_3repE0EEENS1_30default_config_static_selectorELNS0_4arch9wavefront6targetE1EEEvT1_
                                        ; -- End function
	.section	.AMDGPU.csdata,"",@progbits
; Kernel info:
; codeLenInByte = 0
; NumSgprs: 6
; NumVgprs: 0
; NumAgprs: 0
; TotalNumVgprs: 0
; ScratchSize: 0
; MemoryBound: 0
; FloatMode: 240
; IeeeMode: 1
; LDSByteSize: 0 bytes/workgroup (compile time only)
; SGPRBlocks: 0
; VGPRBlocks: 0
; NumSGPRsForWavesPerEU: 6
; NumVGPRsForWavesPerEU: 1
; AccumOffset: 4
; Occupancy: 8
; WaveLimiterHint : 0
; COMPUTE_PGM_RSRC2:SCRATCH_EN: 0
; COMPUTE_PGM_RSRC2:USER_SGPR: 2
; COMPUTE_PGM_RSRC2:TRAP_HANDLER: 0
; COMPUTE_PGM_RSRC2:TGID_X_EN: 1
; COMPUTE_PGM_RSRC2:TGID_Y_EN: 0
; COMPUTE_PGM_RSRC2:TGID_Z_EN: 0
; COMPUTE_PGM_RSRC2:TIDIG_COMP_CNT: 0
; COMPUTE_PGM_RSRC3_GFX90A:ACCUM_OFFSET: 0
; COMPUTE_PGM_RSRC3_GFX90A:TG_SPLIT: 0
	.section	.text._ZN7rocprim17ROCPRIM_400000_NS6detail17trampoline_kernelINS0_14default_configENS1_25partition_config_selectorILNS1_17partition_subalgoE0EsNS0_10empty_typeEbEEZZNS1_14partition_implILS5_0ELb0ES3_jN6thrust23THRUST_200600_302600_NS6detail15normal_iteratorINSA_10device_ptrIsEEEEPS6_SG_NS0_5tupleIJNSA_16discard_iteratorINSA_11use_defaultEEESK_EEENSH_IJSG_SG_EEES6_PlJ7is_evenIsEEEE10hipError_tPvRmT3_T4_T5_T6_T7_T9_mT8_P12ihipStream_tbDpT10_ENKUlT_T0_E_clISt17integral_constantIbLb1EES18_IbLb0EEEEDaS14_S15_EUlS14_E_NS1_11comp_targetILNS1_3genE3ELNS1_11target_archE908ELNS1_3gpuE7ELNS1_3repE0EEENS1_30default_config_static_selectorELNS0_4arch9wavefront6targetE1EEEvT1_,"axG",@progbits,_ZN7rocprim17ROCPRIM_400000_NS6detail17trampoline_kernelINS0_14default_configENS1_25partition_config_selectorILNS1_17partition_subalgoE0EsNS0_10empty_typeEbEEZZNS1_14partition_implILS5_0ELb0ES3_jN6thrust23THRUST_200600_302600_NS6detail15normal_iteratorINSA_10device_ptrIsEEEEPS6_SG_NS0_5tupleIJNSA_16discard_iteratorINSA_11use_defaultEEESK_EEENSH_IJSG_SG_EEES6_PlJ7is_evenIsEEEE10hipError_tPvRmT3_T4_T5_T6_T7_T9_mT8_P12ihipStream_tbDpT10_ENKUlT_T0_E_clISt17integral_constantIbLb1EES18_IbLb0EEEEDaS14_S15_EUlS14_E_NS1_11comp_targetILNS1_3genE3ELNS1_11target_archE908ELNS1_3gpuE7ELNS1_3repE0EEENS1_30default_config_static_selectorELNS0_4arch9wavefront6targetE1EEEvT1_,comdat
	.protected	_ZN7rocprim17ROCPRIM_400000_NS6detail17trampoline_kernelINS0_14default_configENS1_25partition_config_selectorILNS1_17partition_subalgoE0EsNS0_10empty_typeEbEEZZNS1_14partition_implILS5_0ELb0ES3_jN6thrust23THRUST_200600_302600_NS6detail15normal_iteratorINSA_10device_ptrIsEEEEPS6_SG_NS0_5tupleIJNSA_16discard_iteratorINSA_11use_defaultEEESK_EEENSH_IJSG_SG_EEES6_PlJ7is_evenIsEEEE10hipError_tPvRmT3_T4_T5_T6_T7_T9_mT8_P12ihipStream_tbDpT10_ENKUlT_T0_E_clISt17integral_constantIbLb1EES18_IbLb0EEEEDaS14_S15_EUlS14_E_NS1_11comp_targetILNS1_3genE3ELNS1_11target_archE908ELNS1_3gpuE7ELNS1_3repE0EEENS1_30default_config_static_selectorELNS0_4arch9wavefront6targetE1EEEvT1_ ; -- Begin function _ZN7rocprim17ROCPRIM_400000_NS6detail17trampoline_kernelINS0_14default_configENS1_25partition_config_selectorILNS1_17partition_subalgoE0EsNS0_10empty_typeEbEEZZNS1_14partition_implILS5_0ELb0ES3_jN6thrust23THRUST_200600_302600_NS6detail15normal_iteratorINSA_10device_ptrIsEEEEPS6_SG_NS0_5tupleIJNSA_16discard_iteratorINSA_11use_defaultEEESK_EEENSH_IJSG_SG_EEES6_PlJ7is_evenIsEEEE10hipError_tPvRmT3_T4_T5_T6_T7_T9_mT8_P12ihipStream_tbDpT10_ENKUlT_T0_E_clISt17integral_constantIbLb1EES18_IbLb0EEEEDaS14_S15_EUlS14_E_NS1_11comp_targetILNS1_3genE3ELNS1_11target_archE908ELNS1_3gpuE7ELNS1_3repE0EEENS1_30default_config_static_selectorELNS0_4arch9wavefront6targetE1EEEvT1_
	.globl	_ZN7rocprim17ROCPRIM_400000_NS6detail17trampoline_kernelINS0_14default_configENS1_25partition_config_selectorILNS1_17partition_subalgoE0EsNS0_10empty_typeEbEEZZNS1_14partition_implILS5_0ELb0ES3_jN6thrust23THRUST_200600_302600_NS6detail15normal_iteratorINSA_10device_ptrIsEEEEPS6_SG_NS0_5tupleIJNSA_16discard_iteratorINSA_11use_defaultEEESK_EEENSH_IJSG_SG_EEES6_PlJ7is_evenIsEEEE10hipError_tPvRmT3_T4_T5_T6_T7_T9_mT8_P12ihipStream_tbDpT10_ENKUlT_T0_E_clISt17integral_constantIbLb1EES18_IbLb0EEEEDaS14_S15_EUlS14_E_NS1_11comp_targetILNS1_3genE3ELNS1_11target_archE908ELNS1_3gpuE7ELNS1_3repE0EEENS1_30default_config_static_selectorELNS0_4arch9wavefront6targetE1EEEvT1_
	.p2align	8
	.type	_ZN7rocprim17ROCPRIM_400000_NS6detail17trampoline_kernelINS0_14default_configENS1_25partition_config_selectorILNS1_17partition_subalgoE0EsNS0_10empty_typeEbEEZZNS1_14partition_implILS5_0ELb0ES3_jN6thrust23THRUST_200600_302600_NS6detail15normal_iteratorINSA_10device_ptrIsEEEEPS6_SG_NS0_5tupleIJNSA_16discard_iteratorINSA_11use_defaultEEESK_EEENSH_IJSG_SG_EEES6_PlJ7is_evenIsEEEE10hipError_tPvRmT3_T4_T5_T6_T7_T9_mT8_P12ihipStream_tbDpT10_ENKUlT_T0_E_clISt17integral_constantIbLb1EES18_IbLb0EEEEDaS14_S15_EUlS14_E_NS1_11comp_targetILNS1_3genE3ELNS1_11target_archE908ELNS1_3gpuE7ELNS1_3repE0EEENS1_30default_config_static_selectorELNS0_4arch9wavefront6targetE1EEEvT1_,@function
_ZN7rocprim17ROCPRIM_400000_NS6detail17trampoline_kernelINS0_14default_configENS1_25partition_config_selectorILNS1_17partition_subalgoE0EsNS0_10empty_typeEbEEZZNS1_14partition_implILS5_0ELb0ES3_jN6thrust23THRUST_200600_302600_NS6detail15normal_iteratorINSA_10device_ptrIsEEEEPS6_SG_NS0_5tupleIJNSA_16discard_iteratorINSA_11use_defaultEEESK_EEENSH_IJSG_SG_EEES6_PlJ7is_evenIsEEEE10hipError_tPvRmT3_T4_T5_T6_T7_T9_mT8_P12ihipStream_tbDpT10_ENKUlT_T0_E_clISt17integral_constantIbLb1EES18_IbLb0EEEEDaS14_S15_EUlS14_E_NS1_11comp_targetILNS1_3genE3ELNS1_11target_archE908ELNS1_3gpuE7ELNS1_3repE0EEENS1_30default_config_static_selectorELNS0_4arch9wavefront6targetE1EEEvT1_: ; @_ZN7rocprim17ROCPRIM_400000_NS6detail17trampoline_kernelINS0_14default_configENS1_25partition_config_selectorILNS1_17partition_subalgoE0EsNS0_10empty_typeEbEEZZNS1_14partition_implILS5_0ELb0ES3_jN6thrust23THRUST_200600_302600_NS6detail15normal_iteratorINSA_10device_ptrIsEEEEPS6_SG_NS0_5tupleIJNSA_16discard_iteratorINSA_11use_defaultEEESK_EEENSH_IJSG_SG_EEES6_PlJ7is_evenIsEEEE10hipError_tPvRmT3_T4_T5_T6_T7_T9_mT8_P12ihipStream_tbDpT10_ENKUlT_T0_E_clISt17integral_constantIbLb1EES18_IbLb0EEEEDaS14_S15_EUlS14_E_NS1_11comp_targetILNS1_3genE3ELNS1_11target_archE908ELNS1_3gpuE7ELNS1_3repE0EEENS1_30default_config_static_selectorELNS0_4arch9wavefront6targetE1EEEvT1_
; %bb.0:
	.section	.rodata,"a",@progbits
	.p2align	6, 0x0
	.amdhsa_kernel _ZN7rocprim17ROCPRIM_400000_NS6detail17trampoline_kernelINS0_14default_configENS1_25partition_config_selectorILNS1_17partition_subalgoE0EsNS0_10empty_typeEbEEZZNS1_14partition_implILS5_0ELb0ES3_jN6thrust23THRUST_200600_302600_NS6detail15normal_iteratorINSA_10device_ptrIsEEEEPS6_SG_NS0_5tupleIJNSA_16discard_iteratorINSA_11use_defaultEEESK_EEENSH_IJSG_SG_EEES6_PlJ7is_evenIsEEEE10hipError_tPvRmT3_T4_T5_T6_T7_T9_mT8_P12ihipStream_tbDpT10_ENKUlT_T0_E_clISt17integral_constantIbLb1EES18_IbLb0EEEEDaS14_S15_EUlS14_E_NS1_11comp_targetILNS1_3genE3ELNS1_11target_archE908ELNS1_3gpuE7ELNS1_3repE0EEENS1_30default_config_static_selectorELNS0_4arch9wavefront6targetE1EEEvT1_
		.amdhsa_group_segment_fixed_size 0
		.amdhsa_private_segment_fixed_size 0
		.amdhsa_kernarg_size 136
		.amdhsa_user_sgpr_count 2
		.amdhsa_user_sgpr_dispatch_ptr 0
		.amdhsa_user_sgpr_queue_ptr 0
		.amdhsa_user_sgpr_kernarg_segment_ptr 1
		.amdhsa_user_sgpr_dispatch_id 0
		.amdhsa_user_sgpr_kernarg_preload_length 0
		.amdhsa_user_sgpr_kernarg_preload_offset 0
		.amdhsa_user_sgpr_private_segment_size 0
		.amdhsa_uses_dynamic_stack 0
		.amdhsa_enable_private_segment 0
		.amdhsa_system_sgpr_workgroup_id_x 1
		.amdhsa_system_sgpr_workgroup_id_y 0
		.amdhsa_system_sgpr_workgroup_id_z 0
		.amdhsa_system_sgpr_workgroup_info 0
		.amdhsa_system_vgpr_workitem_id 0
		.amdhsa_next_free_vgpr 1
		.amdhsa_next_free_sgpr 0
		.amdhsa_accum_offset 4
		.amdhsa_reserve_vcc 0
		.amdhsa_float_round_mode_32 0
		.amdhsa_float_round_mode_16_64 0
		.amdhsa_float_denorm_mode_32 3
		.amdhsa_float_denorm_mode_16_64 3
		.amdhsa_dx10_clamp 1
		.amdhsa_ieee_mode 1
		.amdhsa_fp16_overflow 0
		.amdhsa_tg_split 0
		.amdhsa_exception_fp_ieee_invalid_op 0
		.amdhsa_exception_fp_denorm_src 0
		.amdhsa_exception_fp_ieee_div_zero 0
		.amdhsa_exception_fp_ieee_overflow 0
		.amdhsa_exception_fp_ieee_underflow 0
		.amdhsa_exception_fp_ieee_inexact 0
		.amdhsa_exception_int_div_zero 0
	.end_amdhsa_kernel
	.section	.text._ZN7rocprim17ROCPRIM_400000_NS6detail17trampoline_kernelINS0_14default_configENS1_25partition_config_selectorILNS1_17partition_subalgoE0EsNS0_10empty_typeEbEEZZNS1_14partition_implILS5_0ELb0ES3_jN6thrust23THRUST_200600_302600_NS6detail15normal_iteratorINSA_10device_ptrIsEEEEPS6_SG_NS0_5tupleIJNSA_16discard_iteratorINSA_11use_defaultEEESK_EEENSH_IJSG_SG_EEES6_PlJ7is_evenIsEEEE10hipError_tPvRmT3_T4_T5_T6_T7_T9_mT8_P12ihipStream_tbDpT10_ENKUlT_T0_E_clISt17integral_constantIbLb1EES18_IbLb0EEEEDaS14_S15_EUlS14_E_NS1_11comp_targetILNS1_3genE3ELNS1_11target_archE908ELNS1_3gpuE7ELNS1_3repE0EEENS1_30default_config_static_selectorELNS0_4arch9wavefront6targetE1EEEvT1_,"axG",@progbits,_ZN7rocprim17ROCPRIM_400000_NS6detail17trampoline_kernelINS0_14default_configENS1_25partition_config_selectorILNS1_17partition_subalgoE0EsNS0_10empty_typeEbEEZZNS1_14partition_implILS5_0ELb0ES3_jN6thrust23THRUST_200600_302600_NS6detail15normal_iteratorINSA_10device_ptrIsEEEEPS6_SG_NS0_5tupleIJNSA_16discard_iteratorINSA_11use_defaultEEESK_EEENSH_IJSG_SG_EEES6_PlJ7is_evenIsEEEE10hipError_tPvRmT3_T4_T5_T6_T7_T9_mT8_P12ihipStream_tbDpT10_ENKUlT_T0_E_clISt17integral_constantIbLb1EES18_IbLb0EEEEDaS14_S15_EUlS14_E_NS1_11comp_targetILNS1_3genE3ELNS1_11target_archE908ELNS1_3gpuE7ELNS1_3repE0EEENS1_30default_config_static_selectorELNS0_4arch9wavefront6targetE1EEEvT1_,comdat
.Lfunc_end2798:
	.size	_ZN7rocprim17ROCPRIM_400000_NS6detail17trampoline_kernelINS0_14default_configENS1_25partition_config_selectorILNS1_17partition_subalgoE0EsNS0_10empty_typeEbEEZZNS1_14partition_implILS5_0ELb0ES3_jN6thrust23THRUST_200600_302600_NS6detail15normal_iteratorINSA_10device_ptrIsEEEEPS6_SG_NS0_5tupleIJNSA_16discard_iteratorINSA_11use_defaultEEESK_EEENSH_IJSG_SG_EEES6_PlJ7is_evenIsEEEE10hipError_tPvRmT3_T4_T5_T6_T7_T9_mT8_P12ihipStream_tbDpT10_ENKUlT_T0_E_clISt17integral_constantIbLb1EES18_IbLb0EEEEDaS14_S15_EUlS14_E_NS1_11comp_targetILNS1_3genE3ELNS1_11target_archE908ELNS1_3gpuE7ELNS1_3repE0EEENS1_30default_config_static_selectorELNS0_4arch9wavefront6targetE1EEEvT1_, .Lfunc_end2798-_ZN7rocprim17ROCPRIM_400000_NS6detail17trampoline_kernelINS0_14default_configENS1_25partition_config_selectorILNS1_17partition_subalgoE0EsNS0_10empty_typeEbEEZZNS1_14partition_implILS5_0ELb0ES3_jN6thrust23THRUST_200600_302600_NS6detail15normal_iteratorINSA_10device_ptrIsEEEEPS6_SG_NS0_5tupleIJNSA_16discard_iteratorINSA_11use_defaultEEESK_EEENSH_IJSG_SG_EEES6_PlJ7is_evenIsEEEE10hipError_tPvRmT3_T4_T5_T6_T7_T9_mT8_P12ihipStream_tbDpT10_ENKUlT_T0_E_clISt17integral_constantIbLb1EES18_IbLb0EEEEDaS14_S15_EUlS14_E_NS1_11comp_targetILNS1_3genE3ELNS1_11target_archE908ELNS1_3gpuE7ELNS1_3repE0EEENS1_30default_config_static_selectorELNS0_4arch9wavefront6targetE1EEEvT1_
                                        ; -- End function
	.section	.AMDGPU.csdata,"",@progbits
; Kernel info:
; codeLenInByte = 0
; NumSgprs: 6
; NumVgprs: 0
; NumAgprs: 0
; TotalNumVgprs: 0
; ScratchSize: 0
; MemoryBound: 0
; FloatMode: 240
; IeeeMode: 1
; LDSByteSize: 0 bytes/workgroup (compile time only)
; SGPRBlocks: 0
; VGPRBlocks: 0
; NumSGPRsForWavesPerEU: 6
; NumVGPRsForWavesPerEU: 1
; AccumOffset: 4
; Occupancy: 8
; WaveLimiterHint : 0
; COMPUTE_PGM_RSRC2:SCRATCH_EN: 0
; COMPUTE_PGM_RSRC2:USER_SGPR: 2
; COMPUTE_PGM_RSRC2:TRAP_HANDLER: 0
; COMPUTE_PGM_RSRC2:TGID_X_EN: 1
; COMPUTE_PGM_RSRC2:TGID_Y_EN: 0
; COMPUTE_PGM_RSRC2:TGID_Z_EN: 0
; COMPUTE_PGM_RSRC2:TIDIG_COMP_CNT: 0
; COMPUTE_PGM_RSRC3_GFX90A:ACCUM_OFFSET: 0
; COMPUTE_PGM_RSRC3_GFX90A:TG_SPLIT: 0
	.section	.text._ZN7rocprim17ROCPRIM_400000_NS6detail17trampoline_kernelINS0_14default_configENS1_25partition_config_selectorILNS1_17partition_subalgoE0EsNS0_10empty_typeEbEEZZNS1_14partition_implILS5_0ELb0ES3_jN6thrust23THRUST_200600_302600_NS6detail15normal_iteratorINSA_10device_ptrIsEEEEPS6_SG_NS0_5tupleIJNSA_16discard_iteratorINSA_11use_defaultEEESK_EEENSH_IJSG_SG_EEES6_PlJ7is_evenIsEEEE10hipError_tPvRmT3_T4_T5_T6_T7_T9_mT8_P12ihipStream_tbDpT10_ENKUlT_T0_E_clISt17integral_constantIbLb1EES18_IbLb0EEEEDaS14_S15_EUlS14_E_NS1_11comp_targetILNS1_3genE2ELNS1_11target_archE906ELNS1_3gpuE6ELNS1_3repE0EEENS1_30default_config_static_selectorELNS0_4arch9wavefront6targetE1EEEvT1_,"axG",@progbits,_ZN7rocprim17ROCPRIM_400000_NS6detail17trampoline_kernelINS0_14default_configENS1_25partition_config_selectorILNS1_17partition_subalgoE0EsNS0_10empty_typeEbEEZZNS1_14partition_implILS5_0ELb0ES3_jN6thrust23THRUST_200600_302600_NS6detail15normal_iteratorINSA_10device_ptrIsEEEEPS6_SG_NS0_5tupleIJNSA_16discard_iteratorINSA_11use_defaultEEESK_EEENSH_IJSG_SG_EEES6_PlJ7is_evenIsEEEE10hipError_tPvRmT3_T4_T5_T6_T7_T9_mT8_P12ihipStream_tbDpT10_ENKUlT_T0_E_clISt17integral_constantIbLb1EES18_IbLb0EEEEDaS14_S15_EUlS14_E_NS1_11comp_targetILNS1_3genE2ELNS1_11target_archE906ELNS1_3gpuE6ELNS1_3repE0EEENS1_30default_config_static_selectorELNS0_4arch9wavefront6targetE1EEEvT1_,comdat
	.protected	_ZN7rocprim17ROCPRIM_400000_NS6detail17trampoline_kernelINS0_14default_configENS1_25partition_config_selectorILNS1_17partition_subalgoE0EsNS0_10empty_typeEbEEZZNS1_14partition_implILS5_0ELb0ES3_jN6thrust23THRUST_200600_302600_NS6detail15normal_iteratorINSA_10device_ptrIsEEEEPS6_SG_NS0_5tupleIJNSA_16discard_iteratorINSA_11use_defaultEEESK_EEENSH_IJSG_SG_EEES6_PlJ7is_evenIsEEEE10hipError_tPvRmT3_T4_T5_T6_T7_T9_mT8_P12ihipStream_tbDpT10_ENKUlT_T0_E_clISt17integral_constantIbLb1EES18_IbLb0EEEEDaS14_S15_EUlS14_E_NS1_11comp_targetILNS1_3genE2ELNS1_11target_archE906ELNS1_3gpuE6ELNS1_3repE0EEENS1_30default_config_static_selectorELNS0_4arch9wavefront6targetE1EEEvT1_ ; -- Begin function _ZN7rocprim17ROCPRIM_400000_NS6detail17trampoline_kernelINS0_14default_configENS1_25partition_config_selectorILNS1_17partition_subalgoE0EsNS0_10empty_typeEbEEZZNS1_14partition_implILS5_0ELb0ES3_jN6thrust23THRUST_200600_302600_NS6detail15normal_iteratorINSA_10device_ptrIsEEEEPS6_SG_NS0_5tupleIJNSA_16discard_iteratorINSA_11use_defaultEEESK_EEENSH_IJSG_SG_EEES6_PlJ7is_evenIsEEEE10hipError_tPvRmT3_T4_T5_T6_T7_T9_mT8_P12ihipStream_tbDpT10_ENKUlT_T0_E_clISt17integral_constantIbLb1EES18_IbLb0EEEEDaS14_S15_EUlS14_E_NS1_11comp_targetILNS1_3genE2ELNS1_11target_archE906ELNS1_3gpuE6ELNS1_3repE0EEENS1_30default_config_static_selectorELNS0_4arch9wavefront6targetE1EEEvT1_
	.globl	_ZN7rocprim17ROCPRIM_400000_NS6detail17trampoline_kernelINS0_14default_configENS1_25partition_config_selectorILNS1_17partition_subalgoE0EsNS0_10empty_typeEbEEZZNS1_14partition_implILS5_0ELb0ES3_jN6thrust23THRUST_200600_302600_NS6detail15normal_iteratorINSA_10device_ptrIsEEEEPS6_SG_NS0_5tupleIJNSA_16discard_iteratorINSA_11use_defaultEEESK_EEENSH_IJSG_SG_EEES6_PlJ7is_evenIsEEEE10hipError_tPvRmT3_T4_T5_T6_T7_T9_mT8_P12ihipStream_tbDpT10_ENKUlT_T0_E_clISt17integral_constantIbLb1EES18_IbLb0EEEEDaS14_S15_EUlS14_E_NS1_11comp_targetILNS1_3genE2ELNS1_11target_archE906ELNS1_3gpuE6ELNS1_3repE0EEENS1_30default_config_static_selectorELNS0_4arch9wavefront6targetE1EEEvT1_
	.p2align	8
	.type	_ZN7rocprim17ROCPRIM_400000_NS6detail17trampoline_kernelINS0_14default_configENS1_25partition_config_selectorILNS1_17partition_subalgoE0EsNS0_10empty_typeEbEEZZNS1_14partition_implILS5_0ELb0ES3_jN6thrust23THRUST_200600_302600_NS6detail15normal_iteratorINSA_10device_ptrIsEEEEPS6_SG_NS0_5tupleIJNSA_16discard_iteratorINSA_11use_defaultEEESK_EEENSH_IJSG_SG_EEES6_PlJ7is_evenIsEEEE10hipError_tPvRmT3_T4_T5_T6_T7_T9_mT8_P12ihipStream_tbDpT10_ENKUlT_T0_E_clISt17integral_constantIbLb1EES18_IbLb0EEEEDaS14_S15_EUlS14_E_NS1_11comp_targetILNS1_3genE2ELNS1_11target_archE906ELNS1_3gpuE6ELNS1_3repE0EEENS1_30default_config_static_selectorELNS0_4arch9wavefront6targetE1EEEvT1_,@function
_ZN7rocprim17ROCPRIM_400000_NS6detail17trampoline_kernelINS0_14default_configENS1_25partition_config_selectorILNS1_17partition_subalgoE0EsNS0_10empty_typeEbEEZZNS1_14partition_implILS5_0ELb0ES3_jN6thrust23THRUST_200600_302600_NS6detail15normal_iteratorINSA_10device_ptrIsEEEEPS6_SG_NS0_5tupleIJNSA_16discard_iteratorINSA_11use_defaultEEESK_EEENSH_IJSG_SG_EEES6_PlJ7is_evenIsEEEE10hipError_tPvRmT3_T4_T5_T6_T7_T9_mT8_P12ihipStream_tbDpT10_ENKUlT_T0_E_clISt17integral_constantIbLb1EES18_IbLb0EEEEDaS14_S15_EUlS14_E_NS1_11comp_targetILNS1_3genE2ELNS1_11target_archE906ELNS1_3gpuE6ELNS1_3repE0EEENS1_30default_config_static_selectorELNS0_4arch9wavefront6targetE1EEEvT1_: ; @_ZN7rocprim17ROCPRIM_400000_NS6detail17trampoline_kernelINS0_14default_configENS1_25partition_config_selectorILNS1_17partition_subalgoE0EsNS0_10empty_typeEbEEZZNS1_14partition_implILS5_0ELb0ES3_jN6thrust23THRUST_200600_302600_NS6detail15normal_iteratorINSA_10device_ptrIsEEEEPS6_SG_NS0_5tupleIJNSA_16discard_iteratorINSA_11use_defaultEEESK_EEENSH_IJSG_SG_EEES6_PlJ7is_evenIsEEEE10hipError_tPvRmT3_T4_T5_T6_T7_T9_mT8_P12ihipStream_tbDpT10_ENKUlT_T0_E_clISt17integral_constantIbLb1EES18_IbLb0EEEEDaS14_S15_EUlS14_E_NS1_11comp_targetILNS1_3genE2ELNS1_11target_archE906ELNS1_3gpuE6ELNS1_3repE0EEENS1_30default_config_static_selectorELNS0_4arch9wavefront6targetE1EEEvT1_
; %bb.0:
	.section	.rodata,"a",@progbits
	.p2align	6, 0x0
	.amdhsa_kernel _ZN7rocprim17ROCPRIM_400000_NS6detail17trampoline_kernelINS0_14default_configENS1_25partition_config_selectorILNS1_17partition_subalgoE0EsNS0_10empty_typeEbEEZZNS1_14partition_implILS5_0ELb0ES3_jN6thrust23THRUST_200600_302600_NS6detail15normal_iteratorINSA_10device_ptrIsEEEEPS6_SG_NS0_5tupleIJNSA_16discard_iteratorINSA_11use_defaultEEESK_EEENSH_IJSG_SG_EEES6_PlJ7is_evenIsEEEE10hipError_tPvRmT3_T4_T5_T6_T7_T9_mT8_P12ihipStream_tbDpT10_ENKUlT_T0_E_clISt17integral_constantIbLb1EES18_IbLb0EEEEDaS14_S15_EUlS14_E_NS1_11comp_targetILNS1_3genE2ELNS1_11target_archE906ELNS1_3gpuE6ELNS1_3repE0EEENS1_30default_config_static_selectorELNS0_4arch9wavefront6targetE1EEEvT1_
		.amdhsa_group_segment_fixed_size 0
		.amdhsa_private_segment_fixed_size 0
		.amdhsa_kernarg_size 136
		.amdhsa_user_sgpr_count 2
		.amdhsa_user_sgpr_dispatch_ptr 0
		.amdhsa_user_sgpr_queue_ptr 0
		.amdhsa_user_sgpr_kernarg_segment_ptr 1
		.amdhsa_user_sgpr_dispatch_id 0
		.amdhsa_user_sgpr_kernarg_preload_length 0
		.amdhsa_user_sgpr_kernarg_preload_offset 0
		.amdhsa_user_sgpr_private_segment_size 0
		.amdhsa_uses_dynamic_stack 0
		.amdhsa_enable_private_segment 0
		.amdhsa_system_sgpr_workgroup_id_x 1
		.amdhsa_system_sgpr_workgroup_id_y 0
		.amdhsa_system_sgpr_workgroup_id_z 0
		.amdhsa_system_sgpr_workgroup_info 0
		.amdhsa_system_vgpr_workitem_id 0
		.amdhsa_next_free_vgpr 1
		.amdhsa_next_free_sgpr 0
		.amdhsa_accum_offset 4
		.amdhsa_reserve_vcc 0
		.amdhsa_float_round_mode_32 0
		.amdhsa_float_round_mode_16_64 0
		.amdhsa_float_denorm_mode_32 3
		.amdhsa_float_denorm_mode_16_64 3
		.amdhsa_dx10_clamp 1
		.amdhsa_ieee_mode 1
		.amdhsa_fp16_overflow 0
		.amdhsa_tg_split 0
		.amdhsa_exception_fp_ieee_invalid_op 0
		.amdhsa_exception_fp_denorm_src 0
		.amdhsa_exception_fp_ieee_div_zero 0
		.amdhsa_exception_fp_ieee_overflow 0
		.amdhsa_exception_fp_ieee_underflow 0
		.amdhsa_exception_fp_ieee_inexact 0
		.amdhsa_exception_int_div_zero 0
	.end_amdhsa_kernel
	.section	.text._ZN7rocprim17ROCPRIM_400000_NS6detail17trampoline_kernelINS0_14default_configENS1_25partition_config_selectorILNS1_17partition_subalgoE0EsNS0_10empty_typeEbEEZZNS1_14partition_implILS5_0ELb0ES3_jN6thrust23THRUST_200600_302600_NS6detail15normal_iteratorINSA_10device_ptrIsEEEEPS6_SG_NS0_5tupleIJNSA_16discard_iteratorINSA_11use_defaultEEESK_EEENSH_IJSG_SG_EEES6_PlJ7is_evenIsEEEE10hipError_tPvRmT3_T4_T5_T6_T7_T9_mT8_P12ihipStream_tbDpT10_ENKUlT_T0_E_clISt17integral_constantIbLb1EES18_IbLb0EEEEDaS14_S15_EUlS14_E_NS1_11comp_targetILNS1_3genE2ELNS1_11target_archE906ELNS1_3gpuE6ELNS1_3repE0EEENS1_30default_config_static_selectorELNS0_4arch9wavefront6targetE1EEEvT1_,"axG",@progbits,_ZN7rocprim17ROCPRIM_400000_NS6detail17trampoline_kernelINS0_14default_configENS1_25partition_config_selectorILNS1_17partition_subalgoE0EsNS0_10empty_typeEbEEZZNS1_14partition_implILS5_0ELb0ES3_jN6thrust23THRUST_200600_302600_NS6detail15normal_iteratorINSA_10device_ptrIsEEEEPS6_SG_NS0_5tupleIJNSA_16discard_iteratorINSA_11use_defaultEEESK_EEENSH_IJSG_SG_EEES6_PlJ7is_evenIsEEEE10hipError_tPvRmT3_T4_T5_T6_T7_T9_mT8_P12ihipStream_tbDpT10_ENKUlT_T0_E_clISt17integral_constantIbLb1EES18_IbLb0EEEEDaS14_S15_EUlS14_E_NS1_11comp_targetILNS1_3genE2ELNS1_11target_archE906ELNS1_3gpuE6ELNS1_3repE0EEENS1_30default_config_static_selectorELNS0_4arch9wavefront6targetE1EEEvT1_,comdat
.Lfunc_end2799:
	.size	_ZN7rocprim17ROCPRIM_400000_NS6detail17trampoline_kernelINS0_14default_configENS1_25partition_config_selectorILNS1_17partition_subalgoE0EsNS0_10empty_typeEbEEZZNS1_14partition_implILS5_0ELb0ES3_jN6thrust23THRUST_200600_302600_NS6detail15normal_iteratorINSA_10device_ptrIsEEEEPS6_SG_NS0_5tupleIJNSA_16discard_iteratorINSA_11use_defaultEEESK_EEENSH_IJSG_SG_EEES6_PlJ7is_evenIsEEEE10hipError_tPvRmT3_T4_T5_T6_T7_T9_mT8_P12ihipStream_tbDpT10_ENKUlT_T0_E_clISt17integral_constantIbLb1EES18_IbLb0EEEEDaS14_S15_EUlS14_E_NS1_11comp_targetILNS1_3genE2ELNS1_11target_archE906ELNS1_3gpuE6ELNS1_3repE0EEENS1_30default_config_static_selectorELNS0_4arch9wavefront6targetE1EEEvT1_, .Lfunc_end2799-_ZN7rocprim17ROCPRIM_400000_NS6detail17trampoline_kernelINS0_14default_configENS1_25partition_config_selectorILNS1_17partition_subalgoE0EsNS0_10empty_typeEbEEZZNS1_14partition_implILS5_0ELb0ES3_jN6thrust23THRUST_200600_302600_NS6detail15normal_iteratorINSA_10device_ptrIsEEEEPS6_SG_NS0_5tupleIJNSA_16discard_iteratorINSA_11use_defaultEEESK_EEENSH_IJSG_SG_EEES6_PlJ7is_evenIsEEEE10hipError_tPvRmT3_T4_T5_T6_T7_T9_mT8_P12ihipStream_tbDpT10_ENKUlT_T0_E_clISt17integral_constantIbLb1EES18_IbLb0EEEEDaS14_S15_EUlS14_E_NS1_11comp_targetILNS1_3genE2ELNS1_11target_archE906ELNS1_3gpuE6ELNS1_3repE0EEENS1_30default_config_static_selectorELNS0_4arch9wavefront6targetE1EEEvT1_
                                        ; -- End function
	.section	.AMDGPU.csdata,"",@progbits
; Kernel info:
; codeLenInByte = 0
; NumSgprs: 6
; NumVgprs: 0
; NumAgprs: 0
; TotalNumVgprs: 0
; ScratchSize: 0
; MemoryBound: 0
; FloatMode: 240
; IeeeMode: 1
; LDSByteSize: 0 bytes/workgroup (compile time only)
; SGPRBlocks: 0
; VGPRBlocks: 0
; NumSGPRsForWavesPerEU: 6
; NumVGPRsForWavesPerEU: 1
; AccumOffset: 4
; Occupancy: 8
; WaveLimiterHint : 0
; COMPUTE_PGM_RSRC2:SCRATCH_EN: 0
; COMPUTE_PGM_RSRC2:USER_SGPR: 2
; COMPUTE_PGM_RSRC2:TRAP_HANDLER: 0
; COMPUTE_PGM_RSRC2:TGID_X_EN: 1
; COMPUTE_PGM_RSRC2:TGID_Y_EN: 0
; COMPUTE_PGM_RSRC2:TGID_Z_EN: 0
; COMPUTE_PGM_RSRC2:TIDIG_COMP_CNT: 0
; COMPUTE_PGM_RSRC3_GFX90A:ACCUM_OFFSET: 0
; COMPUTE_PGM_RSRC3_GFX90A:TG_SPLIT: 0
	.section	.text._ZN7rocprim17ROCPRIM_400000_NS6detail17trampoline_kernelINS0_14default_configENS1_25partition_config_selectorILNS1_17partition_subalgoE0EsNS0_10empty_typeEbEEZZNS1_14partition_implILS5_0ELb0ES3_jN6thrust23THRUST_200600_302600_NS6detail15normal_iteratorINSA_10device_ptrIsEEEEPS6_SG_NS0_5tupleIJNSA_16discard_iteratorINSA_11use_defaultEEESK_EEENSH_IJSG_SG_EEES6_PlJ7is_evenIsEEEE10hipError_tPvRmT3_T4_T5_T6_T7_T9_mT8_P12ihipStream_tbDpT10_ENKUlT_T0_E_clISt17integral_constantIbLb1EES18_IbLb0EEEEDaS14_S15_EUlS14_E_NS1_11comp_targetILNS1_3genE10ELNS1_11target_archE1200ELNS1_3gpuE4ELNS1_3repE0EEENS1_30default_config_static_selectorELNS0_4arch9wavefront6targetE1EEEvT1_,"axG",@progbits,_ZN7rocprim17ROCPRIM_400000_NS6detail17trampoline_kernelINS0_14default_configENS1_25partition_config_selectorILNS1_17partition_subalgoE0EsNS0_10empty_typeEbEEZZNS1_14partition_implILS5_0ELb0ES3_jN6thrust23THRUST_200600_302600_NS6detail15normal_iteratorINSA_10device_ptrIsEEEEPS6_SG_NS0_5tupleIJNSA_16discard_iteratorINSA_11use_defaultEEESK_EEENSH_IJSG_SG_EEES6_PlJ7is_evenIsEEEE10hipError_tPvRmT3_T4_T5_T6_T7_T9_mT8_P12ihipStream_tbDpT10_ENKUlT_T0_E_clISt17integral_constantIbLb1EES18_IbLb0EEEEDaS14_S15_EUlS14_E_NS1_11comp_targetILNS1_3genE10ELNS1_11target_archE1200ELNS1_3gpuE4ELNS1_3repE0EEENS1_30default_config_static_selectorELNS0_4arch9wavefront6targetE1EEEvT1_,comdat
	.protected	_ZN7rocprim17ROCPRIM_400000_NS6detail17trampoline_kernelINS0_14default_configENS1_25partition_config_selectorILNS1_17partition_subalgoE0EsNS0_10empty_typeEbEEZZNS1_14partition_implILS5_0ELb0ES3_jN6thrust23THRUST_200600_302600_NS6detail15normal_iteratorINSA_10device_ptrIsEEEEPS6_SG_NS0_5tupleIJNSA_16discard_iteratorINSA_11use_defaultEEESK_EEENSH_IJSG_SG_EEES6_PlJ7is_evenIsEEEE10hipError_tPvRmT3_T4_T5_T6_T7_T9_mT8_P12ihipStream_tbDpT10_ENKUlT_T0_E_clISt17integral_constantIbLb1EES18_IbLb0EEEEDaS14_S15_EUlS14_E_NS1_11comp_targetILNS1_3genE10ELNS1_11target_archE1200ELNS1_3gpuE4ELNS1_3repE0EEENS1_30default_config_static_selectorELNS0_4arch9wavefront6targetE1EEEvT1_ ; -- Begin function _ZN7rocprim17ROCPRIM_400000_NS6detail17trampoline_kernelINS0_14default_configENS1_25partition_config_selectorILNS1_17partition_subalgoE0EsNS0_10empty_typeEbEEZZNS1_14partition_implILS5_0ELb0ES3_jN6thrust23THRUST_200600_302600_NS6detail15normal_iteratorINSA_10device_ptrIsEEEEPS6_SG_NS0_5tupleIJNSA_16discard_iteratorINSA_11use_defaultEEESK_EEENSH_IJSG_SG_EEES6_PlJ7is_evenIsEEEE10hipError_tPvRmT3_T4_T5_T6_T7_T9_mT8_P12ihipStream_tbDpT10_ENKUlT_T0_E_clISt17integral_constantIbLb1EES18_IbLb0EEEEDaS14_S15_EUlS14_E_NS1_11comp_targetILNS1_3genE10ELNS1_11target_archE1200ELNS1_3gpuE4ELNS1_3repE0EEENS1_30default_config_static_selectorELNS0_4arch9wavefront6targetE1EEEvT1_
	.globl	_ZN7rocprim17ROCPRIM_400000_NS6detail17trampoline_kernelINS0_14default_configENS1_25partition_config_selectorILNS1_17partition_subalgoE0EsNS0_10empty_typeEbEEZZNS1_14partition_implILS5_0ELb0ES3_jN6thrust23THRUST_200600_302600_NS6detail15normal_iteratorINSA_10device_ptrIsEEEEPS6_SG_NS0_5tupleIJNSA_16discard_iteratorINSA_11use_defaultEEESK_EEENSH_IJSG_SG_EEES6_PlJ7is_evenIsEEEE10hipError_tPvRmT3_T4_T5_T6_T7_T9_mT8_P12ihipStream_tbDpT10_ENKUlT_T0_E_clISt17integral_constantIbLb1EES18_IbLb0EEEEDaS14_S15_EUlS14_E_NS1_11comp_targetILNS1_3genE10ELNS1_11target_archE1200ELNS1_3gpuE4ELNS1_3repE0EEENS1_30default_config_static_selectorELNS0_4arch9wavefront6targetE1EEEvT1_
	.p2align	8
	.type	_ZN7rocprim17ROCPRIM_400000_NS6detail17trampoline_kernelINS0_14default_configENS1_25partition_config_selectorILNS1_17partition_subalgoE0EsNS0_10empty_typeEbEEZZNS1_14partition_implILS5_0ELb0ES3_jN6thrust23THRUST_200600_302600_NS6detail15normal_iteratorINSA_10device_ptrIsEEEEPS6_SG_NS0_5tupleIJNSA_16discard_iteratorINSA_11use_defaultEEESK_EEENSH_IJSG_SG_EEES6_PlJ7is_evenIsEEEE10hipError_tPvRmT3_T4_T5_T6_T7_T9_mT8_P12ihipStream_tbDpT10_ENKUlT_T0_E_clISt17integral_constantIbLb1EES18_IbLb0EEEEDaS14_S15_EUlS14_E_NS1_11comp_targetILNS1_3genE10ELNS1_11target_archE1200ELNS1_3gpuE4ELNS1_3repE0EEENS1_30default_config_static_selectorELNS0_4arch9wavefront6targetE1EEEvT1_,@function
_ZN7rocprim17ROCPRIM_400000_NS6detail17trampoline_kernelINS0_14default_configENS1_25partition_config_selectorILNS1_17partition_subalgoE0EsNS0_10empty_typeEbEEZZNS1_14partition_implILS5_0ELb0ES3_jN6thrust23THRUST_200600_302600_NS6detail15normal_iteratorINSA_10device_ptrIsEEEEPS6_SG_NS0_5tupleIJNSA_16discard_iteratorINSA_11use_defaultEEESK_EEENSH_IJSG_SG_EEES6_PlJ7is_evenIsEEEE10hipError_tPvRmT3_T4_T5_T6_T7_T9_mT8_P12ihipStream_tbDpT10_ENKUlT_T0_E_clISt17integral_constantIbLb1EES18_IbLb0EEEEDaS14_S15_EUlS14_E_NS1_11comp_targetILNS1_3genE10ELNS1_11target_archE1200ELNS1_3gpuE4ELNS1_3repE0EEENS1_30default_config_static_selectorELNS0_4arch9wavefront6targetE1EEEvT1_: ; @_ZN7rocprim17ROCPRIM_400000_NS6detail17trampoline_kernelINS0_14default_configENS1_25partition_config_selectorILNS1_17partition_subalgoE0EsNS0_10empty_typeEbEEZZNS1_14partition_implILS5_0ELb0ES3_jN6thrust23THRUST_200600_302600_NS6detail15normal_iteratorINSA_10device_ptrIsEEEEPS6_SG_NS0_5tupleIJNSA_16discard_iteratorINSA_11use_defaultEEESK_EEENSH_IJSG_SG_EEES6_PlJ7is_evenIsEEEE10hipError_tPvRmT3_T4_T5_T6_T7_T9_mT8_P12ihipStream_tbDpT10_ENKUlT_T0_E_clISt17integral_constantIbLb1EES18_IbLb0EEEEDaS14_S15_EUlS14_E_NS1_11comp_targetILNS1_3genE10ELNS1_11target_archE1200ELNS1_3gpuE4ELNS1_3repE0EEENS1_30default_config_static_selectorELNS0_4arch9wavefront6targetE1EEEvT1_
; %bb.0:
	.section	.rodata,"a",@progbits
	.p2align	6, 0x0
	.amdhsa_kernel _ZN7rocprim17ROCPRIM_400000_NS6detail17trampoline_kernelINS0_14default_configENS1_25partition_config_selectorILNS1_17partition_subalgoE0EsNS0_10empty_typeEbEEZZNS1_14partition_implILS5_0ELb0ES3_jN6thrust23THRUST_200600_302600_NS6detail15normal_iteratorINSA_10device_ptrIsEEEEPS6_SG_NS0_5tupleIJNSA_16discard_iteratorINSA_11use_defaultEEESK_EEENSH_IJSG_SG_EEES6_PlJ7is_evenIsEEEE10hipError_tPvRmT3_T4_T5_T6_T7_T9_mT8_P12ihipStream_tbDpT10_ENKUlT_T0_E_clISt17integral_constantIbLb1EES18_IbLb0EEEEDaS14_S15_EUlS14_E_NS1_11comp_targetILNS1_3genE10ELNS1_11target_archE1200ELNS1_3gpuE4ELNS1_3repE0EEENS1_30default_config_static_selectorELNS0_4arch9wavefront6targetE1EEEvT1_
		.amdhsa_group_segment_fixed_size 0
		.amdhsa_private_segment_fixed_size 0
		.amdhsa_kernarg_size 136
		.amdhsa_user_sgpr_count 2
		.amdhsa_user_sgpr_dispatch_ptr 0
		.amdhsa_user_sgpr_queue_ptr 0
		.amdhsa_user_sgpr_kernarg_segment_ptr 1
		.amdhsa_user_sgpr_dispatch_id 0
		.amdhsa_user_sgpr_kernarg_preload_length 0
		.amdhsa_user_sgpr_kernarg_preload_offset 0
		.amdhsa_user_sgpr_private_segment_size 0
		.amdhsa_uses_dynamic_stack 0
		.amdhsa_enable_private_segment 0
		.amdhsa_system_sgpr_workgroup_id_x 1
		.amdhsa_system_sgpr_workgroup_id_y 0
		.amdhsa_system_sgpr_workgroup_id_z 0
		.amdhsa_system_sgpr_workgroup_info 0
		.amdhsa_system_vgpr_workitem_id 0
		.amdhsa_next_free_vgpr 1
		.amdhsa_next_free_sgpr 0
		.amdhsa_accum_offset 4
		.amdhsa_reserve_vcc 0
		.amdhsa_float_round_mode_32 0
		.amdhsa_float_round_mode_16_64 0
		.amdhsa_float_denorm_mode_32 3
		.amdhsa_float_denorm_mode_16_64 3
		.amdhsa_dx10_clamp 1
		.amdhsa_ieee_mode 1
		.amdhsa_fp16_overflow 0
		.amdhsa_tg_split 0
		.amdhsa_exception_fp_ieee_invalid_op 0
		.amdhsa_exception_fp_denorm_src 0
		.amdhsa_exception_fp_ieee_div_zero 0
		.amdhsa_exception_fp_ieee_overflow 0
		.amdhsa_exception_fp_ieee_underflow 0
		.amdhsa_exception_fp_ieee_inexact 0
		.amdhsa_exception_int_div_zero 0
	.end_amdhsa_kernel
	.section	.text._ZN7rocprim17ROCPRIM_400000_NS6detail17trampoline_kernelINS0_14default_configENS1_25partition_config_selectorILNS1_17partition_subalgoE0EsNS0_10empty_typeEbEEZZNS1_14partition_implILS5_0ELb0ES3_jN6thrust23THRUST_200600_302600_NS6detail15normal_iteratorINSA_10device_ptrIsEEEEPS6_SG_NS0_5tupleIJNSA_16discard_iteratorINSA_11use_defaultEEESK_EEENSH_IJSG_SG_EEES6_PlJ7is_evenIsEEEE10hipError_tPvRmT3_T4_T5_T6_T7_T9_mT8_P12ihipStream_tbDpT10_ENKUlT_T0_E_clISt17integral_constantIbLb1EES18_IbLb0EEEEDaS14_S15_EUlS14_E_NS1_11comp_targetILNS1_3genE10ELNS1_11target_archE1200ELNS1_3gpuE4ELNS1_3repE0EEENS1_30default_config_static_selectorELNS0_4arch9wavefront6targetE1EEEvT1_,"axG",@progbits,_ZN7rocprim17ROCPRIM_400000_NS6detail17trampoline_kernelINS0_14default_configENS1_25partition_config_selectorILNS1_17partition_subalgoE0EsNS0_10empty_typeEbEEZZNS1_14partition_implILS5_0ELb0ES3_jN6thrust23THRUST_200600_302600_NS6detail15normal_iteratorINSA_10device_ptrIsEEEEPS6_SG_NS0_5tupleIJNSA_16discard_iteratorINSA_11use_defaultEEESK_EEENSH_IJSG_SG_EEES6_PlJ7is_evenIsEEEE10hipError_tPvRmT3_T4_T5_T6_T7_T9_mT8_P12ihipStream_tbDpT10_ENKUlT_T0_E_clISt17integral_constantIbLb1EES18_IbLb0EEEEDaS14_S15_EUlS14_E_NS1_11comp_targetILNS1_3genE10ELNS1_11target_archE1200ELNS1_3gpuE4ELNS1_3repE0EEENS1_30default_config_static_selectorELNS0_4arch9wavefront6targetE1EEEvT1_,comdat
.Lfunc_end2800:
	.size	_ZN7rocprim17ROCPRIM_400000_NS6detail17trampoline_kernelINS0_14default_configENS1_25partition_config_selectorILNS1_17partition_subalgoE0EsNS0_10empty_typeEbEEZZNS1_14partition_implILS5_0ELb0ES3_jN6thrust23THRUST_200600_302600_NS6detail15normal_iteratorINSA_10device_ptrIsEEEEPS6_SG_NS0_5tupleIJNSA_16discard_iteratorINSA_11use_defaultEEESK_EEENSH_IJSG_SG_EEES6_PlJ7is_evenIsEEEE10hipError_tPvRmT3_T4_T5_T6_T7_T9_mT8_P12ihipStream_tbDpT10_ENKUlT_T0_E_clISt17integral_constantIbLb1EES18_IbLb0EEEEDaS14_S15_EUlS14_E_NS1_11comp_targetILNS1_3genE10ELNS1_11target_archE1200ELNS1_3gpuE4ELNS1_3repE0EEENS1_30default_config_static_selectorELNS0_4arch9wavefront6targetE1EEEvT1_, .Lfunc_end2800-_ZN7rocprim17ROCPRIM_400000_NS6detail17trampoline_kernelINS0_14default_configENS1_25partition_config_selectorILNS1_17partition_subalgoE0EsNS0_10empty_typeEbEEZZNS1_14partition_implILS5_0ELb0ES3_jN6thrust23THRUST_200600_302600_NS6detail15normal_iteratorINSA_10device_ptrIsEEEEPS6_SG_NS0_5tupleIJNSA_16discard_iteratorINSA_11use_defaultEEESK_EEENSH_IJSG_SG_EEES6_PlJ7is_evenIsEEEE10hipError_tPvRmT3_T4_T5_T6_T7_T9_mT8_P12ihipStream_tbDpT10_ENKUlT_T0_E_clISt17integral_constantIbLb1EES18_IbLb0EEEEDaS14_S15_EUlS14_E_NS1_11comp_targetILNS1_3genE10ELNS1_11target_archE1200ELNS1_3gpuE4ELNS1_3repE0EEENS1_30default_config_static_selectorELNS0_4arch9wavefront6targetE1EEEvT1_
                                        ; -- End function
	.section	.AMDGPU.csdata,"",@progbits
; Kernel info:
; codeLenInByte = 0
; NumSgprs: 6
; NumVgprs: 0
; NumAgprs: 0
; TotalNumVgprs: 0
; ScratchSize: 0
; MemoryBound: 0
; FloatMode: 240
; IeeeMode: 1
; LDSByteSize: 0 bytes/workgroup (compile time only)
; SGPRBlocks: 0
; VGPRBlocks: 0
; NumSGPRsForWavesPerEU: 6
; NumVGPRsForWavesPerEU: 1
; AccumOffset: 4
; Occupancy: 8
; WaveLimiterHint : 0
; COMPUTE_PGM_RSRC2:SCRATCH_EN: 0
; COMPUTE_PGM_RSRC2:USER_SGPR: 2
; COMPUTE_PGM_RSRC2:TRAP_HANDLER: 0
; COMPUTE_PGM_RSRC2:TGID_X_EN: 1
; COMPUTE_PGM_RSRC2:TGID_Y_EN: 0
; COMPUTE_PGM_RSRC2:TGID_Z_EN: 0
; COMPUTE_PGM_RSRC2:TIDIG_COMP_CNT: 0
; COMPUTE_PGM_RSRC3_GFX90A:ACCUM_OFFSET: 0
; COMPUTE_PGM_RSRC3_GFX90A:TG_SPLIT: 0
	.section	.text._ZN7rocprim17ROCPRIM_400000_NS6detail17trampoline_kernelINS0_14default_configENS1_25partition_config_selectorILNS1_17partition_subalgoE0EsNS0_10empty_typeEbEEZZNS1_14partition_implILS5_0ELb0ES3_jN6thrust23THRUST_200600_302600_NS6detail15normal_iteratorINSA_10device_ptrIsEEEEPS6_SG_NS0_5tupleIJNSA_16discard_iteratorINSA_11use_defaultEEESK_EEENSH_IJSG_SG_EEES6_PlJ7is_evenIsEEEE10hipError_tPvRmT3_T4_T5_T6_T7_T9_mT8_P12ihipStream_tbDpT10_ENKUlT_T0_E_clISt17integral_constantIbLb1EES18_IbLb0EEEEDaS14_S15_EUlS14_E_NS1_11comp_targetILNS1_3genE9ELNS1_11target_archE1100ELNS1_3gpuE3ELNS1_3repE0EEENS1_30default_config_static_selectorELNS0_4arch9wavefront6targetE1EEEvT1_,"axG",@progbits,_ZN7rocprim17ROCPRIM_400000_NS6detail17trampoline_kernelINS0_14default_configENS1_25partition_config_selectorILNS1_17partition_subalgoE0EsNS0_10empty_typeEbEEZZNS1_14partition_implILS5_0ELb0ES3_jN6thrust23THRUST_200600_302600_NS6detail15normal_iteratorINSA_10device_ptrIsEEEEPS6_SG_NS0_5tupleIJNSA_16discard_iteratorINSA_11use_defaultEEESK_EEENSH_IJSG_SG_EEES6_PlJ7is_evenIsEEEE10hipError_tPvRmT3_T4_T5_T6_T7_T9_mT8_P12ihipStream_tbDpT10_ENKUlT_T0_E_clISt17integral_constantIbLb1EES18_IbLb0EEEEDaS14_S15_EUlS14_E_NS1_11comp_targetILNS1_3genE9ELNS1_11target_archE1100ELNS1_3gpuE3ELNS1_3repE0EEENS1_30default_config_static_selectorELNS0_4arch9wavefront6targetE1EEEvT1_,comdat
	.protected	_ZN7rocprim17ROCPRIM_400000_NS6detail17trampoline_kernelINS0_14default_configENS1_25partition_config_selectorILNS1_17partition_subalgoE0EsNS0_10empty_typeEbEEZZNS1_14partition_implILS5_0ELb0ES3_jN6thrust23THRUST_200600_302600_NS6detail15normal_iteratorINSA_10device_ptrIsEEEEPS6_SG_NS0_5tupleIJNSA_16discard_iteratorINSA_11use_defaultEEESK_EEENSH_IJSG_SG_EEES6_PlJ7is_evenIsEEEE10hipError_tPvRmT3_T4_T5_T6_T7_T9_mT8_P12ihipStream_tbDpT10_ENKUlT_T0_E_clISt17integral_constantIbLb1EES18_IbLb0EEEEDaS14_S15_EUlS14_E_NS1_11comp_targetILNS1_3genE9ELNS1_11target_archE1100ELNS1_3gpuE3ELNS1_3repE0EEENS1_30default_config_static_selectorELNS0_4arch9wavefront6targetE1EEEvT1_ ; -- Begin function _ZN7rocprim17ROCPRIM_400000_NS6detail17trampoline_kernelINS0_14default_configENS1_25partition_config_selectorILNS1_17partition_subalgoE0EsNS0_10empty_typeEbEEZZNS1_14partition_implILS5_0ELb0ES3_jN6thrust23THRUST_200600_302600_NS6detail15normal_iteratorINSA_10device_ptrIsEEEEPS6_SG_NS0_5tupleIJNSA_16discard_iteratorINSA_11use_defaultEEESK_EEENSH_IJSG_SG_EEES6_PlJ7is_evenIsEEEE10hipError_tPvRmT3_T4_T5_T6_T7_T9_mT8_P12ihipStream_tbDpT10_ENKUlT_T0_E_clISt17integral_constantIbLb1EES18_IbLb0EEEEDaS14_S15_EUlS14_E_NS1_11comp_targetILNS1_3genE9ELNS1_11target_archE1100ELNS1_3gpuE3ELNS1_3repE0EEENS1_30default_config_static_selectorELNS0_4arch9wavefront6targetE1EEEvT1_
	.globl	_ZN7rocprim17ROCPRIM_400000_NS6detail17trampoline_kernelINS0_14default_configENS1_25partition_config_selectorILNS1_17partition_subalgoE0EsNS0_10empty_typeEbEEZZNS1_14partition_implILS5_0ELb0ES3_jN6thrust23THRUST_200600_302600_NS6detail15normal_iteratorINSA_10device_ptrIsEEEEPS6_SG_NS0_5tupleIJNSA_16discard_iteratorINSA_11use_defaultEEESK_EEENSH_IJSG_SG_EEES6_PlJ7is_evenIsEEEE10hipError_tPvRmT3_T4_T5_T6_T7_T9_mT8_P12ihipStream_tbDpT10_ENKUlT_T0_E_clISt17integral_constantIbLb1EES18_IbLb0EEEEDaS14_S15_EUlS14_E_NS1_11comp_targetILNS1_3genE9ELNS1_11target_archE1100ELNS1_3gpuE3ELNS1_3repE0EEENS1_30default_config_static_selectorELNS0_4arch9wavefront6targetE1EEEvT1_
	.p2align	8
	.type	_ZN7rocprim17ROCPRIM_400000_NS6detail17trampoline_kernelINS0_14default_configENS1_25partition_config_selectorILNS1_17partition_subalgoE0EsNS0_10empty_typeEbEEZZNS1_14partition_implILS5_0ELb0ES3_jN6thrust23THRUST_200600_302600_NS6detail15normal_iteratorINSA_10device_ptrIsEEEEPS6_SG_NS0_5tupleIJNSA_16discard_iteratorINSA_11use_defaultEEESK_EEENSH_IJSG_SG_EEES6_PlJ7is_evenIsEEEE10hipError_tPvRmT3_T4_T5_T6_T7_T9_mT8_P12ihipStream_tbDpT10_ENKUlT_T0_E_clISt17integral_constantIbLb1EES18_IbLb0EEEEDaS14_S15_EUlS14_E_NS1_11comp_targetILNS1_3genE9ELNS1_11target_archE1100ELNS1_3gpuE3ELNS1_3repE0EEENS1_30default_config_static_selectorELNS0_4arch9wavefront6targetE1EEEvT1_,@function
_ZN7rocprim17ROCPRIM_400000_NS6detail17trampoline_kernelINS0_14default_configENS1_25partition_config_selectorILNS1_17partition_subalgoE0EsNS0_10empty_typeEbEEZZNS1_14partition_implILS5_0ELb0ES3_jN6thrust23THRUST_200600_302600_NS6detail15normal_iteratorINSA_10device_ptrIsEEEEPS6_SG_NS0_5tupleIJNSA_16discard_iteratorINSA_11use_defaultEEESK_EEENSH_IJSG_SG_EEES6_PlJ7is_evenIsEEEE10hipError_tPvRmT3_T4_T5_T6_T7_T9_mT8_P12ihipStream_tbDpT10_ENKUlT_T0_E_clISt17integral_constantIbLb1EES18_IbLb0EEEEDaS14_S15_EUlS14_E_NS1_11comp_targetILNS1_3genE9ELNS1_11target_archE1100ELNS1_3gpuE3ELNS1_3repE0EEENS1_30default_config_static_selectorELNS0_4arch9wavefront6targetE1EEEvT1_: ; @_ZN7rocprim17ROCPRIM_400000_NS6detail17trampoline_kernelINS0_14default_configENS1_25partition_config_selectorILNS1_17partition_subalgoE0EsNS0_10empty_typeEbEEZZNS1_14partition_implILS5_0ELb0ES3_jN6thrust23THRUST_200600_302600_NS6detail15normal_iteratorINSA_10device_ptrIsEEEEPS6_SG_NS0_5tupleIJNSA_16discard_iteratorINSA_11use_defaultEEESK_EEENSH_IJSG_SG_EEES6_PlJ7is_evenIsEEEE10hipError_tPvRmT3_T4_T5_T6_T7_T9_mT8_P12ihipStream_tbDpT10_ENKUlT_T0_E_clISt17integral_constantIbLb1EES18_IbLb0EEEEDaS14_S15_EUlS14_E_NS1_11comp_targetILNS1_3genE9ELNS1_11target_archE1100ELNS1_3gpuE3ELNS1_3repE0EEENS1_30default_config_static_selectorELNS0_4arch9wavefront6targetE1EEEvT1_
; %bb.0:
	.section	.rodata,"a",@progbits
	.p2align	6, 0x0
	.amdhsa_kernel _ZN7rocprim17ROCPRIM_400000_NS6detail17trampoline_kernelINS0_14default_configENS1_25partition_config_selectorILNS1_17partition_subalgoE0EsNS0_10empty_typeEbEEZZNS1_14partition_implILS5_0ELb0ES3_jN6thrust23THRUST_200600_302600_NS6detail15normal_iteratorINSA_10device_ptrIsEEEEPS6_SG_NS0_5tupleIJNSA_16discard_iteratorINSA_11use_defaultEEESK_EEENSH_IJSG_SG_EEES6_PlJ7is_evenIsEEEE10hipError_tPvRmT3_T4_T5_T6_T7_T9_mT8_P12ihipStream_tbDpT10_ENKUlT_T0_E_clISt17integral_constantIbLb1EES18_IbLb0EEEEDaS14_S15_EUlS14_E_NS1_11comp_targetILNS1_3genE9ELNS1_11target_archE1100ELNS1_3gpuE3ELNS1_3repE0EEENS1_30default_config_static_selectorELNS0_4arch9wavefront6targetE1EEEvT1_
		.amdhsa_group_segment_fixed_size 0
		.amdhsa_private_segment_fixed_size 0
		.amdhsa_kernarg_size 136
		.amdhsa_user_sgpr_count 2
		.amdhsa_user_sgpr_dispatch_ptr 0
		.amdhsa_user_sgpr_queue_ptr 0
		.amdhsa_user_sgpr_kernarg_segment_ptr 1
		.amdhsa_user_sgpr_dispatch_id 0
		.amdhsa_user_sgpr_kernarg_preload_length 0
		.amdhsa_user_sgpr_kernarg_preload_offset 0
		.amdhsa_user_sgpr_private_segment_size 0
		.amdhsa_uses_dynamic_stack 0
		.amdhsa_enable_private_segment 0
		.amdhsa_system_sgpr_workgroup_id_x 1
		.amdhsa_system_sgpr_workgroup_id_y 0
		.amdhsa_system_sgpr_workgroup_id_z 0
		.amdhsa_system_sgpr_workgroup_info 0
		.amdhsa_system_vgpr_workitem_id 0
		.amdhsa_next_free_vgpr 1
		.amdhsa_next_free_sgpr 0
		.amdhsa_accum_offset 4
		.amdhsa_reserve_vcc 0
		.amdhsa_float_round_mode_32 0
		.amdhsa_float_round_mode_16_64 0
		.amdhsa_float_denorm_mode_32 3
		.amdhsa_float_denorm_mode_16_64 3
		.amdhsa_dx10_clamp 1
		.amdhsa_ieee_mode 1
		.amdhsa_fp16_overflow 0
		.amdhsa_tg_split 0
		.amdhsa_exception_fp_ieee_invalid_op 0
		.amdhsa_exception_fp_denorm_src 0
		.amdhsa_exception_fp_ieee_div_zero 0
		.amdhsa_exception_fp_ieee_overflow 0
		.amdhsa_exception_fp_ieee_underflow 0
		.amdhsa_exception_fp_ieee_inexact 0
		.amdhsa_exception_int_div_zero 0
	.end_amdhsa_kernel
	.section	.text._ZN7rocprim17ROCPRIM_400000_NS6detail17trampoline_kernelINS0_14default_configENS1_25partition_config_selectorILNS1_17partition_subalgoE0EsNS0_10empty_typeEbEEZZNS1_14partition_implILS5_0ELb0ES3_jN6thrust23THRUST_200600_302600_NS6detail15normal_iteratorINSA_10device_ptrIsEEEEPS6_SG_NS0_5tupleIJNSA_16discard_iteratorINSA_11use_defaultEEESK_EEENSH_IJSG_SG_EEES6_PlJ7is_evenIsEEEE10hipError_tPvRmT3_T4_T5_T6_T7_T9_mT8_P12ihipStream_tbDpT10_ENKUlT_T0_E_clISt17integral_constantIbLb1EES18_IbLb0EEEEDaS14_S15_EUlS14_E_NS1_11comp_targetILNS1_3genE9ELNS1_11target_archE1100ELNS1_3gpuE3ELNS1_3repE0EEENS1_30default_config_static_selectorELNS0_4arch9wavefront6targetE1EEEvT1_,"axG",@progbits,_ZN7rocprim17ROCPRIM_400000_NS6detail17trampoline_kernelINS0_14default_configENS1_25partition_config_selectorILNS1_17partition_subalgoE0EsNS0_10empty_typeEbEEZZNS1_14partition_implILS5_0ELb0ES3_jN6thrust23THRUST_200600_302600_NS6detail15normal_iteratorINSA_10device_ptrIsEEEEPS6_SG_NS0_5tupleIJNSA_16discard_iteratorINSA_11use_defaultEEESK_EEENSH_IJSG_SG_EEES6_PlJ7is_evenIsEEEE10hipError_tPvRmT3_T4_T5_T6_T7_T9_mT8_P12ihipStream_tbDpT10_ENKUlT_T0_E_clISt17integral_constantIbLb1EES18_IbLb0EEEEDaS14_S15_EUlS14_E_NS1_11comp_targetILNS1_3genE9ELNS1_11target_archE1100ELNS1_3gpuE3ELNS1_3repE0EEENS1_30default_config_static_selectorELNS0_4arch9wavefront6targetE1EEEvT1_,comdat
.Lfunc_end2801:
	.size	_ZN7rocprim17ROCPRIM_400000_NS6detail17trampoline_kernelINS0_14default_configENS1_25partition_config_selectorILNS1_17partition_subalgoE0EsNS0_10empty_typeEbEEZZNS1_14partition_implILS5_0ELb0ES3_jN6thrust23THRUST_200600_302600_NS6detail15normal_iteratorINSA_10device_ptrIsEEEEPS6_SG_NS0_5tupleIJNSA_16discard_iteratorINSA_11use_defaultEEESK_EEENSH_IJSG_SG_EEES6_PlJ7is_evenIsEEEE10hipError_tPvRmT3_T4_T5_T6_T7_T9_mT8_P12ihipStream_tbDpT10_ENKUlT_T0_E_clISt17integral_constantIbLb1EES18_IbLb0EEEEDaS14_S15_EUlS14_E_NS1_11comp_targetILNS1_3genE9ELNS1_11target_archE1100ELNS1_3gpuE3ELNS1_3repE0EEENS1_30default_config_static_selectorELNS0_4arch9wavefront6targetE1EEEvT1_, .Lfunc_end2801-_ZN7rocprim17ROCPRIM_400000_NS6detail17trampoline_kernelINS0_14default_configENS1_25partition_config_selectorILNS1_17partition_subalgoE0EsNS0_10empty_typeEbEEZZNS1_14partition_implILS5_0ELb0ES3_jN6thrust23THRUST_200600_302600_NS6detail15normal_iteratorINSA_10device_ptrIsEEEEPS6_SG_NS0_5tupleIJNSA_16discard_iteratorINSA_11use_defaultEEESK_EEENSH_IJSG_SG_EEES6_PlJ7is_evenIsEEEE10hipError_tPvRmT3_T4_T5_T6_T7_T9_mT8_P12ihipStream_tbDpT10_ENKUlT_T0_E_clISt17integral_constantIbLb1EES18_IbLb0EEEEDaS14_S15_EUlS14_E_NS1_11comp_targetILNS1_3genE9ELNS1_11target_archE1100ELNS1_3gpuE3ELNS1_3repE0EEENS1_30default_config_static_selectorELNS0_4arch9wavefront6targetE1EEEvT1_
                                        ; -- End function
	.section	.AMDGPU.csdata,"",@progbits
; Kernel info:
; codeLenInByte = 0
; NumSgprs: 6
; NumVgprs: 0
; NumAgprs: 0
; TotalNumVgprs: 0
; ScratchSize: 0
; MemoryBound: 0
; FloatMode: 240
; IeeeMode: 1
; LDSByteSize: 0 bytes/workgroup (compile time only)
; SGPRBlocks: 0
; VGPRBlocks: 0
; NumSGPRsForWavesPerEU: 6
; NumVGPRsForWavesPerEU: 1
; AccumOffset: 4
; Occupancy: 8
; WaveLimiterHint : 0
; COMPUTE_PGM_RSRC2:SCRATCH_EN: 0
; COMPUTE_PGM_RSRC2:USER_SGPR: 2
; COMPUTE_PGM_RSRC2:TRAP_HANDLER: 0
; COMPUTE_PGM_RSRC2:TGID_X_EN: 1
; COMPUTE_PGM_RSRC2:TGID_Y_EN: 0
; COMPUTE_PGM_RSRC2:TGID_Z_EN: 0
; COMPUTE_PGM_RSRC2:TIDIG_COMP_CNT: 0
; COMPUTE_PGM_RSRC3_GFX90A:ACCUM_OFFSET: 0
; COMPUTE_PGM_RSRC3_GFX90A:TG_SPLIT: 0
	.section	.text._ZN7rocprim17ROCPRIM_400000_NS6detail17trampoline_kernelINS0_14default_configENS1_25partition_config_selectorILNS1_17partition_subalgoE0EsNS0_10empty_typeEbEEZZNS1_14partition_implILS5_0ELb0ES3_jN6thrust23THRUST_200600_302600_NS6detail15normal_iteratorINSA_10device_ptrIsEEEEPS6_SG_NS0_5tupleIJNSA_16discard_iteratorINSA_11use_defaultEEESK_EEENSH_IJSG_SG_EEES6_PlJ7is_evenIsEEEE10hipError_tPvRmT3_T4_T5_T6_T7_T9_mT8_P12ihipStream_tbDpT10_ENKUlT_T0_E_clISt17integral_constantIbLb1EES18_IbLb0EEEEDaS14_S15_EUlS14_E_NS1_11comp_targetILNS1_3genE8ELNS1_11target_archE1030ELNS1_3gpuE2ELNS1_3repE0EEENS1_30default_config_static_selectorELNS0_4arch9wavefront6targetE1EEEvT1_,"axG",@progbits,_ZN7rocprim17ROCPRIM_400000_NS6detail17trampoline_kernelINS0_14default_configENS1_25partition_config_selectorILNS1_17partition_subalgoE0EsNS0_10empty_typeEbEEZZNS1_14partition_implILS5_0ELb0ES3_jN6thrust23THRUST_200600_302600_NS6detail15normal_iteratorINSA_10device_ptrIsEEEEPS6_SG_NS0_5tupleIJNSA_16discard_iteratorINSA_11use_defaultEEESK_EEENSH_IJSG_SG_EEES6_PlJ7is_evenIsEEEE10hipError_tPvRmT3_T4_T5_T6_T7_T9_mT8_P12ihipStream_tbDpT10_ENKUlT_T0_E_clISt17integral_constantIbLb1EES18_IbLb0EEEEDaS14_S15_EUlS14_E_NS1_11comp_targetILNS1_3genE8ELNS1_11target_archE1030ELNS1_3gpuE2ELNS1_3repE0EEENS1_30default_config_static_selectorELNS0_4arch9wavefront6targetE1EEEvT1_,comdat
	.protected	_ZN7rocprim17ROCPRIM_400000_NS6detail17trampoline_kernelINS0_14default_configENS1_25partition_config_selectorILNS1_17partition_subalgoE0EsNS0_10empty_typeEbEEZZNS1_14partition_implILS5_0ELb0ES3_jN6thrust23THRUST_200600_302600_NS6detail15normal_iteratorINSA_10device_ptrIsEEEEPS6_SG_NS0_5tupleIJNSA_16discard_iteratorINSA_11use_defaultEEESK_EEENSH_IJSG_SG_EEES6_PlJ7is_evenIsEEEE10hipError_tPvRmT3_T4_T5_T6_T7_T9_mT8_P12ihipStream_tbDpT10_ENKUlT_T0_E_clISt17integral_constantIbLb1EES18_IbLb0EEEEDaS14_S15_EUlS14_E_NS1_11comp_targetILNS1_3genE8ELNS1_11target_archE1030ELNS1_3gpuE2ELNS1_3repE0EEENS1_30default_config_static_selectorELNS0_4arch9wavefront6targetE1EEEvT1_ ; -- Begin function _ZN7rocprim17ROCPRIM_400000_NS6detail17trampoline_kernelINS0_14default_configENS1_25partition_config_selectorILNS1_17partition_subalgoE0EsNS0_10empty_typeEbEEZZNS1_14partition_implILS5_0ELb0ES3_jN6thrust23THRUST_200600_302600_NS6detail15normal_iteratorINSA_10device_ptrIsEEEEPS6_SG_NS0_5tupleIJNSA_16discard_iteratorINSA_11use_defaultEEESK_EEENSH_IJSG_SG_EEES6_PlJ7is_evenIsEEEE10hipError_tPvRmT3_T4_T5_T6_T7_T9_mT8_P12ihipStream_tbDpT10_ENKUlT_T0_E_clISt17integral_constantIbLb1EES18_IbLb0EEEEDaS14_S15_EUlS14_E_NS1_11comp_targetILNS1_3genE8ELNS1_11target_archE1030ELNS1_3gpuE2ELNS1_3repE0EEENS1_30default_config_static_selectorELNS0_4arch9wavefront6targetE1EEEvT1_
	.globl	_ZN7rocprim17ROCPRIM_400000_NS6detail17trampoline_kernelINS0_14default_configENS1_25partition_config_selectorILNS1_17partition_subalgoE0EsNS0_10empty_typeEbEEZZNS1_14partition_implILS5_0ELb0ES3_jN6thrust23THRUST_200600_302600_NS6detail15normal_iteratorINSA_10device_ptrIsEEEEPS6_SG_NS0_5tupleIJNSA_16discard_iteratorINSA_11use_defaultEEESK_EEENSH_IJSG_SG_EEES6_PlJ7is_evenIsEEEE10hipError_tPvRmT3_T4_T5_T6_T7_T9_mT8_P12ihipStream_tbDpT10_ENKUlT_T0_E_clISt17integral_constantIbLb1EES18_IbLb0EEEEDaS14_S15_EUlS14_E_NS1_11comp_targetILNS1_3genE8ELNS1_11target_archE1030ELNS1_3gpuE2ELNS1_3repE0EEENS1_30default_config_static_selectorELNS0_4arch9wavefront6targetE1EEEvT1_
	.p2align	8
	.type	_ZN7rocprim17ROCPRIM_400000_NS6detail17trampoline_kernelINS0_14default_configENS1_25partition_config_selectorILNS1_17partition_subalgoE0EsNS0_10empty_typeEbEEZZNS1_14partition_implILS5_0ELb0ES3_jN6thrust23THRUST_200600_302600_NS6detail15normal_iteratorINSA_10device_ptrIsEEEEPS6_SG_NS0_5tupleIJNSA_16discard_iteratorINSA_11use_defaultEEESK_EEENSH_IJSG_SG_EEES6_PlJ7is_evenIsEEEE10hipError_tPvRmT3_T4_T5_T6_T7_T9_mT8_P12ihipStream_tbDpT10_ENKUlT_T0_E_clISt17integral_constantIbLb1EES18_IbLb0EEEEDaS14_S15_EUlS14_E_NS1_11comp_targetILNS1_3genE8ELNS1_11target_archE1030ELNS1_3gpuE2ELNS1_3repE0EEENS1_30default_config_static_selectorELNS0_4arch9wavefront6targetE1EEEvT1_,@function
_ZN7rocprim17ROCPRIM_400000_NS6detail17trampoline_kernelINS0_14default_configENS1_25partition_config_selectorILNS1_17partition_subalgoE0EsNS0_10empty_typeEbEEZZNS1_14partition_implILS5_0ELb0ES3_jN6thrust23THRUST_200600_302600_NS6detail15normal_iteratorINSA_10device_ptrIsEEEEPS6_SG_NS0_5tupleIJNSA_16discard_iteratorINSA_11use_defaultEEESK_EEENSH_IJSG_SG_EEES6_PlJ7is_evenIsEEEE10hipError_tPvRmT3_T4_T5_T6_T7_T9_mT8_P12ihipStream_tbDpT10_ENKUlT_T0_E_clISt17integral_constantIbLb1EES18_IbLb0EEEEDaS14_S15_EUlS14_E_NS1_11comp_targetILNS1_3genE8ELNS1_11target_archE1030ELNS1_3gpuE2ELNS1_3repE0EEENS1_30default_config_static_selectorELNS0_4arch9wavefront6targetE1EEEvT1_: ; @_ZN7rocprim17ROCPRIM_400000_NS6detail17trampoline_kernelINS0_14default_configENS1_25partition_config_selectorILNS1_17partition_subalgoE0EsNS0_10empty_typeEbEEZZNS1_14partition_implILS5_0ELb0ES3_jN6thrust23THRUST_200600_302600_NS6detail15normal_iteratorINSA_10device_ptrIsEEEEPS6_SG_NS0_5tupleIJNSA_16discard_iteratorINSA_11use_defaultEEESK_EEENSH_IJSG_SG_EEES6_PlJ7is_evenIsEEEE10hipError_tPvRmT3_T4_T5_T6_T7_T9_mT8_P12ihipStream_tbDpT10_ENKUlT_T0_E_clISt17integral_constantIbLb1EES18_IbLb0EEEEDaS14_S15_EUlS14_E_NS1_11comp_targetILNS1_3genE8ELNS1_11target_archE1030ELNS1_3gpuE2ELNS1_3repE0EEENS1_30default_config_static_selectorELNS0_4arch9wavefront6targetE1EEEvT1_
; %bb.0:
	.section	.rodata,"a",@progbits
	.p2align	6, 0x0
	.amdhsa_kernel _ZN7rocprim17ROCPRIM_400000_NS6detail17trampoline_kernelINS0_14default_configENS1_25partition_config_selectorILNS1_17partition_subalgoE0EsNS0_10empty_typeEbEEZZNS1_14partition_implILS5_0ELb0ES3_jN6thrust23THRUST_200600_302600_NS6detail15normal_iteratorINSA_10device_ptrIsEEEEPS6_SG_NS0_5tupleIJNSA_16discard_iteratorINSA_11use_defaultEEESK_EEENSH_IJSG_SG_EEES6_PlJ7is_evenIsEEEE10hipError_tPvRmT3_T4_T5_T6_T7_T9_mT8_P12ihipStream_tbDpT10_ENKUlT_T0_E_clISt17integral_constantIbLb1EES18_IbLb0EEEEDaS14_S15_EUlS14_E_NS1_11comp_targetILNS1_3genE8ELNS1_11target_archE1030ELNS1_3gpuE2ELNS1_3repE0EEENS1_30default_config_static_selectorELNS0_4arch9wavefront6targetE1EEEvT1_
		.amdhsa_group_segment_fixed_size 0
		.amdhsa_private_segment_fixed_size 0
		.amdhsa_kernarg_size 136
		.amdhsa_user_sgpr_count 2
		.amdhsa_user_sgpr_dispatch_ptr 0
		.amdhsa_user_sgpr_queue_ptr 0
		.amdhsa_user_sgpr_kernarg_segment_ptr 1
		.amdhsa_user_sgpr_dispatch_id 0
		.amdhsa_user_sgpr_kernarg_preload_length 0
		.amdhsa_user_sgpr_kernarg_preload_offset 0
		.amdhsa_user_sgpr_private_segment_size 0
		.amdhsa_uses_dynamic_stack 0
		.amdhsa_enable_private_segment 0
		.amdhsa_system_sgpr_workgroup_id_x 1
		.amdhsa_system_sgpr_workgroup_id_y 0
		.amdhsa_system_sgpr_workgroup_id_z 0
		.amdhsa_system_sgpr_workgroup_info 0
		.amdhsa_system_vgpr_workitem_id 0
		.amdhsa_next_free_vgpr 1
		.amdhsa_next_free_sgpr 0
		.amdhsa_accum_offset 4
		.amdhsa_reserve_vcc 0
		.amdhsa_float_round_mode_32 0
		.amdhsa_float_round_mode_16_64 0
		.amdhsa_float_denorm_mode_32 3
		.amdhsa_float_denorm_mode_16_64 3
		.amdhsa_dx10_clamp 1
		.amdhsa_ieee_mode 1
		.amdhsa_fp16_overflow 0
		.amdhsa_tg_split 0
		.amdhsa_exception_fp_ieee_invalid_op 0
		.amdhsa_exception_fp_denorm_src 0
		.amdhsa_exception_fp_ieee_div_zero 0
		.amdhsa_exception_fp_ieee_overflow 0
		.amdhsa_exception_fp_ieee_underflow 0
		.amdhsa_exception_fp_ieee_inexact 0
		.amdhsa_exception_int_div_zero 0
	.end_amdhsa_kernel
	.section	.text._ZN7rocprim17ROCPRIM_400000_NS6detail17trampoline_kernelINS0_14default_configENS1_25partition_config_selectorILNS1_17partition_subalgoE0EsNS0_10empty_typeEbEEZZNS1_14partition_implILS5_0ELb0ES3_jN6thrust23THRUST_200600_302600_NS6detail15normal_iteratorINSA_10device_ptrIsEEEEPS6_SG_NS0_5tupleIJNSA_16discard_iteratorINSA_11use_defaultEEESK_EEENSH_IJSG_SG_EEES6_PlJ7is_evenIsEEEE10hipError_tPvRmT3_T4_T5_T6_T7_T9_mT8_P12ihipStream_tbDpT10_ENKUlT_T0_E_clISt17integral_constantIbLb1EES18_IbLb0EEEEDaS14_S15_EUlS14_E_NS1_11comp_targetILNS1_3genE8ELNS1_11target_archE1030ELNS1_3gpuE2ELNS1_3repE0EEENS1_30default_config_static_selectorELNS0_4arch9wavefront6targetE1EEEvT1_,"axG",@progbits,_ZN7rocprim17ROCPRIM_400000_NS6detail17trampoline_kernelINS0_14default_configENS1_25partition_config_selectorILNS1_17partition_subalgoE0EsNS0_10empty_typeEbEEZZNS1_14partition_implILS5_0ELb0ES3_jN6thrust23THRUST_200600_302600_NS6detail15normal_iteratorINSA_10device_ptrIsEEEEPS6_SG_NS0_5tupleIJNSA_16discard_iteratorINSA_11use_defaultEEESK_EEENSH_IJSG_SG_EEES6_PlJ7is_evenIsEEEE10hipError_tPvRmT3_T4_T5_T6_T7_T9_mT8_P12ihipStream_tbDpT10_ENKUlT_T0_E_clISt17integral_constantIbLb1EES18_IbLb0EEEEDaS14_S15_EUlS14_E_NS1_11comp_targetILNS1_3genE8ELNS1_11target_archE1030ELNS1_3gpuE2ELNS1_3repE0EEENS1_30default_config_static_selectorELNS0_4arch9wavefront6targetE1EEEvT1_,comdat
.Lfunc_end2802:
	.size	_ZN7rocprim17ROCPRIM_400000_NS6detail17trampoline_kernelINS0_14default_configENS1_25partition_config_selectorILNS1_17partition_subalgoE0EsNS0_10empty_typeEbEEZZNS1_14partition_implILS5_0ELb0ES3_jN6thrust23THRUST_200600_302600_NS6detail15normal_iteratorINSA_10device_ptrIsEEEEPS6_SG_NS0_5tupleIJNSA_16discard_iteratorINSA_11use_defaultEEESK_EEENSH_IJSG_SG_EEES6_PlJ7is_evenIsEEEE10hipError_tPvRmT3_T4_T5_T6_T7_T9_mT8_P12ihipStream_tbDpT10_ENKUlT_T0_E_clISt17integral_constantIbLb1EES18_IbLb0EEEEDaS14_S15_EUlS14_E_NS1_11comp_targetILNS1_3genE8ELNS1_11target_archE1030ELNS1_3gpuE2ELNS1_3repE0EEENS1_30default_config_static_selectorELNS0_4arch9wavefront6targetE1EEEvT1_, .Lfunc_end2802-_ZN7rocprim17ROCPRIM_400000_NS6detail17trampoline_kernelINS0_14default_configENS1_25partition_config_selectorILNS1_17partition_subalgoE0EsNS0_10empty_typeEbEEZZNS1_14partition_implILS5_0ELb0ES3_jN6thrust23THRUST_200600_302600_NS6detail15normal_iteratorINSA_10device_ptrIsEEEEPS6_SG_NS0_5tupleIJNSA_16discard_iteratorINSA_11use_defaultEEESK_EEENSH_IJSG_SG_EEES6_PlJ7is_evenIsEEEE10hipError_tPvRmT3_T4_T5_T6_T7_T9_mT8_P12ihipStream_tbDpT10_ENKUlT_T0_E_clISt17integral_constantIbLb1EES18_IbLb0EEEEDaS14_S15_EUlS14_E_NS1_11comp_targetILNS1_3genE8ELNS1_11target_archE1030ELNS1_3gpuE2ELNS1_3repE0EEENS1_30default_config_static_selectorELNS0_4arch9wavefront6targetE1EEEvT1_
                                        ; -- End function
	.section	.AMDGPU.csdata,"",@progbits
; Kernel info:
; codeLenInByte = 0
; NumSgprs: 6
; NumVgprs: 0
; NumAgprs: 0
; TotalNumVgprs: 0
; ScratchSize: 0
; MemoryBound: 0
; FloatMode: 240
; IeeeMode: 1
; LDSByteSize: 0 bytes/workgroup (compile time only)
; SGPRBlocks: 0
; VGPRBlocks: 0
; NumSGPRsForWavesPerEU: 6
; NumVGPRsForWavesPerEU: 1
; AccumOffset: 4
; Occupancy: 8
; WaveLimiterHint : 0
; COMPUTE_PGM_RSRC2:SCRATCH_EN: 0
; COMPUTE_PGM_RSRC2:USER_SGPR: 2
; COMPUTE_PGM_RSRC2:TRAP_HANDLER: 0
; COMPUTE_PGM_RSRC2:TGID_X_EN: 1
; COMPUTE_PGM_RSRC2:TGID_Y_EN: 0
; COMPUTE_PGM_RSRC2:TGID_Z_EN: 0
; COMPUTE_PGM_RSRC2:TIDIG_COMP_CNT: 0
; COMPUTE_PGM_RSRC3_GFX90A:ACCUM_OFFSET: 0
; COMPUTE_PGM_RSRC3_GFX90A:TG_SPLIT: 0
	.section	.text._ZN7rocprim17ROCPRIM_400000_NS6detail17trampoline_kernelINS0_14default_configENS1_25partition_config_selectorILNS1_17partition_subalgoE0EsNS0_10empty_typeEbEEZZNS1_14partition_implILS5_0ELb0ES3_jN6thrust23THRUST_200600_302600_NS6detail15normal_iteratorINSA_10device_ptrIsEEEEPS6_SG_NS0_5tupleIJNSA_16discard_iteratorINSA_11use_defaultEEESK_EEENSH_IJSG_SG_EEES6_PlJ7is_evenIsEEEE10hipError_tPvRmT3_T4_T5_T6_T7_T9_mT8_P12ihipStream_tbDpT10_ENKUlT_T0_E_clISt17integral_constantIbLb0EES18_IbLb1EEEEDaS14_S15_EUlS14_E_NS1_11comp_targetILNS1_3genE0ELNS1_11target_archE4294967295ELNS1_3gpuE0ELNS1_3repE0EEENS1_30default_config_static_selectorELNS0_4arch9wavefront6targetE1EEEvT1_,"axG",@progbits,_ZN7rocprim17ROCPRIM_400000_NS6detail17trampoline_kernelINS0_14default_configENS1_25partition_config_selectorILNS1_17partition_subalgoE0EsNS0_10empty_typeEbEEZZNS1_14partition_implILS5_0ELb0ES3_jN6thrust23THRUST_200600_302600_NS6detail15normal_iteratorINSA_10device_ptrIsEEEEPS6_SG_NS0_5tupleIJNSA_16discard_iteratorINSA_11use_defaultEEESK_EEENSH_IJSG_SG_EEES6_PlJ7is_evenIsEEEE10hipError_tPvRmT3_T4_T5_T6_T7_T9_mT8_P12ihipStream_tbDpT10_ENKUlT_T0_E_clISt17integral_constantIbLb0EES18_IbLb1EEEEDaS14_S15_EUlS14_E_NS1_11comp_targetILNS1_3genE0ELNS1_11target_archE4294967295ELNS1_3gpuE0ELNS1_3repE0EEENS1_30default_config_static_selectorELNS0_4arch9wavefront6targetE1EEEvT1_,comdat
	.protected	_ZN7rocprim17ROCPRIM_400000_NS6detail17trampoline_kernelINS0_14default_configENS1_25partition_config_selectorILNS1_17partition_subalgoE0EsNS0_10empty_typeEbEEZZNS1_14partition_implILS5_0ELb0ES3_jN6thrust23THRUST_200600_302600_NS6detail15normal_iteratorINSA_10device_ptrIsEEEEPS6_SG_NS0_5tupleIJNSA_16discard_iteratorINSA_11use_defaultEEESK_EEENSH_IJSG_SG_EEES6_PlJ7is_evenIsEEEE10hipError_tPvRmT3_T4_T5_T6_T7_T9_mT8_P12ihipStream_tbDpT10_ENKUlT_T0_E_clISt17integral_constantIbLb0EES18_IbLb1EEEEDaS14_S15_EUlS14_E_NS1_11comp_targetILNS1_3genE0ELNS1_11target_archE4294967295ELNS1_3gpuE0ELNS1_3repE0EEENS1_30default_config_static_selectorELNS0_4arch9wavefront6targetE1EEEvT1_ ; -- Begin function _ZN7rocprim17ROCPRIM_400000_NS6detail17trampoline_kernelINS0_14default_configENS1_25partition_config_selectorILNS1_17partition_subalgoE0EsNS0_10empty_typeEbEEZZNS1_14partition_implILS5_0ELb0ES3_jN6thrust23THRUST_200600_302600_NS6detail15normal_iteratorINSA_10device_ptrIsEEEEPS6_SG_NS0_5tupleIJNSA_16discard_iteratorINSA_11use_defaultEEESK_EEENSH_IJSG_SG_EEES6_PlJ7is_evenIsEEEE10hipError_tPvRmT3_T4_T5_T6_T7_T9_mT8_P12ihipStream_tbDpT10_ENKUlT_T0_E_clISt17integral_constantIbLb0EES18_IbLb1EEEEDaS14_S15_EUlS14_E_NS1_11comp_targetILNS1_3genE0ELNS1_11target_archE4294967295ELNS1_3gpuE0ELNS1_3repE0EEENS1_30default_config_static_selectorELNS0_4arch9wavefront6targetE1EEEvT1_
	.globl	_ZN7rocprim17ROCPRIM_400000_NS6detail17trampoline_kernelINS0_14default_configENS1_25partition_config_selectorILNS1_17partition_subalgoE0EsNS0_10empty_typeEbEEZZNS1_14partition_implILS5_0ELb0ES3_jN6thrust23THRUST_200600_302600_NS6detail15normal_iteratorINSA_10device_ptrIsEEEEPS6_SG_NS0_5tupleIJNSA_16discard_iteratorINSA_11use_defaultEEESK_EEENSH_IJSG_SG_EEES6_PlJ7is_evenIsEEEE10hipError_tPvRmT3_T4_T5_T6_T7_T9_mT8_P12ihipStream_tbDpT10_ENKUlT_T0_E_clISt17integral_constantIbLb0EES18_IbLb1EEEEDaS14_S15_EUlS14_E_NS1_11comp_targetILNS1_3genE0ELNS1_11target_archE4294967295ELNS1_3gpuE0ELNS1_3repE0EEENS1_30default_config_static_selectorELNS0_4arch9wavefront6targetE1EEEvT1_
	.p2align	8
	.type	_ZN7rocprim17ROCPRIM_400000_NS6detail17trampoline_kernelINS0_14default_configENS1_25partition_config_selectorILNS1_17partition_subalgoE0EsNS0_10empty_typeEbEEZZNS1_14partition_implILS5_0ELb0ES3_jN6thrust23THRUST_200600_302600_NS6detail15normal_iteratorINSA_10device_ptrIsEEEEPS6_SG_NS0_5tupleIJNSA_16discard_iteratorINSA_11use_defaultEEESK_EEENSH_IJSG_SG_EEES6_PlJ7is_evenIsEEEE10hipError_tPvRmT3_T4_T5_T6_T7_T9_mT8_P12ihipStream_tbDpT10_ENKUlT_T0_E_clISt17integral_constantIbLb0EES18_IbLb1EEEEDaS14_S15_EUlS14_E_NS1_11comp_targetILNS1_3genE0ELNS1_11target_archE4294967295ELNS1_3gpuE0ELNS1_3repE0EEENS1_30default_config_static_selectorELNS0_4arch9wavefront6targetE1EEEvT1_,@function
_ZN7rocprim17ROCPRIM_400000_NS6detail17trampoline_kernelINS0_14default_configENS1_25partition_config_selectorILNS1_17partition_subalgoE0EsNS0_10empty_typeEbEEZZNS1_14partition_implILS5_0ELb0ES3_jN6thrust23THRUST_200600_302600_NS6detail15normal_iteratorINSA_10device_ptrIsEEEEPS6_SG_NS0_5tupleIJNSA_16discard_iteratorINSA_11use_defaultEEESK_EEENSH_IJSG_SG_EEES6_PlJ7is_evenIsEEEE10hipError_tPvRmT3_T4_T5_T6_T7_T9_mT8_P12ihipStream_tbDpT10_ENKUlT_T0_E_clISt17integral_constantIbLb0EES18_IbLb1EEEEDaS14_S15_EUlS14_E_NS1_11comp_targetILNS1_3genE0ELNS1_11target_archE4294967295ELNS1_3gpuE0ELNS1_3repE0EEENS1_30default_config_static_selectorELNS0_4arch9wavefront6targetE1EEEvT1_: ; @_ZN7rocprim17ROCPRIM_400000_NS6detail17trampoline_kernelINS0_14default_configENS1_25partition_config_selectorILNS1_17partition_subalgoE0EsNS0_10empty_typeEbEEZZNS1_14partition_implILS5_0ELb0ES3_jN6thrust23THRUST_200600_302600_NS6detail15normal_iteratorINSA_10device_ptrIsEEEEPS6_SG_NS0_5tupleIJNSA_16discard_iteratorINSA_11use_defaultEEESK_EEENSH_IJSG_SG_EEES6_PlJ7is_evenIsEEEE10hipError_tPvRmT3_T4_T5_T6_T7_T9_mT8_P12ihipStream_tbDpT10_ENKUlT_T0_E_clISt17integral_constantIbLb0EES18_IbLb1EEEEDaS14_S15_EUlS14_E_NS1_11comp_targetILNS1_3genE0ELNS1_11target_archE4294967295ELNS1_3gpuE0ELNS1_3repE0EEENS1_30default_config_static_selectorELNS0_4arch9wavefront6targetE1EEEvT1_
; %bb.0:
	.section	.rodata,"a",@progbits
	.p2align	6, 0x0
	.amdhsa_kernel _ZN7rocprim17ROCPRIM_400000_NS6detail17trampoline_kernelINS0_14default_configENS1_25partition_config_selectorILNS1_17partition_subalgoE0EsNS0_10empty_typeEbEEZZNS1_14partition_implILS5_0ELb0ES3_jN6thrust23THRUST_200600_302600_NS6detail15normal_iteratorINSA_10device_ptrIsEEEEPS6_SG_NS0_5tupleIJNSA_16discard_iteratorINSA_11use_defaultEEESK_EEENSH_IJSG_SG_EEES6_PlJ7is_evenIsEEEE10hipError_tPvRmT3_T4_T5_T6_T7_T9_mT8_P12ihipStream_tbDpT10_ENKUlT_T0_E_clISt17integral_constantIbLb0EES18_IbLb1EEEEDaS14_S15_EUlS14_E_NS1_11comp_targetILNS1_3genE0ELNS1_11target_archE4294967295ELNS1_3gpuE0ELNS1_3repE0EEENS1_30default_config_static_selectorELNS0_4arch9wavefront6targetE1EEEvT1_
		.amdhsa_group_segment_fixed_size 0
		.amdhsa_private_segment_fixed_size 0
		.amdhsa_kernarg_size 152
		.amdhsa_user_sgpr_count 2
		.amdhsa_user_sgpr_dispatch_ptr 0
		.amdhsa_user_sgpr_queue_ptr 0
		.amdhsa_user_sgpr_kernarg_segment_ptr 1
		.amdhsa_user_sgpr_dispatch_id 0
		.amdhsa_user_sgpr_kernarg_preload_length 0
		.amdhsa_user_sgpr_kernarg_preload_offset 0
		.amdhsa_user_sgpr_private_segment_size 0
		.amdhsa_uses_dynamic_stack 0
		.amdhsa_enable_private_segment 0
		.amdhsa_system_sgpr_workgroup_id_x 1
		.amdhsa_system_sgpr_workgroup_id_y 0
		.amdhsa_system_sgpr_workgroup_id_z 0
		.amdhsa_system_sgpr_workgroup_info 0
		.amdhsa_system_vgpr_workitem_id 0
		.amdhsa_next_free_vgpr 1
		.amdhsa_next_free_sgpr 0
		.amdhsa_accum_offset 4
		.amdhsa_reserve_vcc 0
		.amdhsa_float_round_mode_32 0
		.amdhsa_float_round_mode_16_64 0
		.amdhsa_float_denorm_mode_32 3
		.amdhsa_float_denorm_mode_16_64 3
		.amdhsa_dx10_clamp 1
		.amdhsa_ieee_mode 1
		.amdhsa_fp16_overflow 0
		.amdhsa_tg_split 0
		.amdhsa_exception_fp_ieee_invalid_op 0
		.amdhsa_exception_fp_denorm_src 0
		.amdhsa_exception_fp_ieee_div_zero 0
		.amdhsa_exception_fp_ieee_overflow 0
		.amdhsa_exception_fp_ieee_underflow 0
		.amdhsa_exception_fp_ieee_inexact 0
		.amdhsa_exception_int_div_zero 0
	.end_amdhsa_kernel
	.section	.text._ZN7rocprim17ROCPRIM_400000_NS6detail17trampoline_kernelINS0_14default_configENS1_25partition_config_selectorILNS1_17partition_subalgoE0EsNS0_10empty_typeEbEEZZNS1_14partition_implILS5_0ELb0ES3_jN6thrust23THRUST_200600_302600_NS6detail15normal_iteratorINSA_10device_ptrIsEEEEPS6_SG_NS0_5tupleIJNSA_16discard_iteratorINSA_11use_defaultEEESK_EEENSH_IJSG_SG_EEES6_PlJ7is_evenIsEEEE10hipError_tPvRmT3_T4_T5_T6_T7_T9_mT8_P12ihipStream_tbDpT10_ENKUlT_T0_E_clISt17integral_constantIbLb0EES18_IbLb1EEEEDaS14_S15_EUlS14_E_NS1_11comp_targetILNS1_3genE0ELNS1_11target_archE4294967295ELNS1_3gpuE0ELNS1_3repE0EEENS1_30default_config_static_selectorELNS0_4arch9wavefront6targetE1EEEvT1_,"axG",@progbits,_ZN7rocprim17ROCPRIM_400000_NS6detail17trampoline_kernelINS0_14default_configENS1_25partition_config_selectorILNS1_17partition_subalgoE0EsNS0_10empty_typeEbEEZZNS1_14partition_implILS5_0ELb0ES3_jN6thrust23THRUST_200600_302600_NS6detail15normal_iteratorINSA_10device_ptrIsEEEEPS6_SG_NS0_5tupleIJNSA_16discard_iteratorINSA_11use_defaultEEESK_EEENSH_IJSG_SG_EEES6_PlJ7is_evenIsEEEE10hipError_tPvRmT3_T4_T5_T6_T7_T9_mT8_P12ihipStream_tbDpT10_ENKUlT_T0_E_clISt17integral_constantIbLb0EES18_IbLb1EEEEDaS14_S15_EUlS14_E_NS1_11comp_targetILNS1_3genE0ELNS1_11target_archE4294967295ELNS1_3gpuE0ELNS1_3repE0EEENS1_30default_config_static_selectorELNS0_4arch9wavefront6targetE1EEEvT1_,comdat
.Lfunc_end2803:
	.size	_ZN7rocprim17ROCPRIM_400000_NS6detail17trampoline_kernelINS0_14default_configENS1_25partition_config_selectorILNS1_17partition_subalgoE0EsNS0_10empty_typeEbEEZZNS1_14partition_implILS5_0ELb0ES3_jN6thrust23THRUST_200600_302600_NS6detail15normal_iteratorINSA_10device_ptrIsEEEEPS6_SG_NS0_5tupleIJNSA_16discard_iteratorINSA_11use_defaultEEESK_EEENSH_IJSG_SG_EEES6_PlJ7is_evenIsEEEE10hipError_tPvRmT3_T4_T5_T6_T7_T9_mT8_P12ihipStream_tbDpT10_ENKUlT_T0_E_clISt17integral_constantIbLb0EES18_IbLb1EEEEDaS14_S15_EUlS14_E_NS1_11comp_targetILNS1_3genE0ELNS1_11target_archE4294967295ELNS1_3gpuE0ELNS1_3repE0EEENS1_30default_config_static_selectorELNS0_4arch9wavefront6targetE1EEEvT1_, .Lfunc_end2803-_ZN7rocprim17ROCPRIM_400000_NS6detail17trampoline_kernelINS0_14default_configENS1_25partition_config_selectorILNS1_17partition_subalgoE0EsNS0_10empty_typeEbEEZZNS1_14partition_implILS5_0ELb0ES3_jN6thrust23THRUST_200600_302600_NS6detail15normal_iteratorINSA_10device_ptrIsEEEEPS6_SG_NS0_5tupleIJNSA_16discard_iteratorINSA_11use_defaultEEESK_EEENSH_IJSG_SG_EEES6_PlJ7is_evenIsEEEE10hipError_tPvRmT3_T4_T5_T6_T7_T9_mT8_P12ihipStream_tbDpT10_ENKUlT_T0_E_clISt17integral_constantIbLb0EES18_IbLb1EEEEDaS14_S15_EUlS14_E_NS1_11comp_targetILNS1_3genE0ELNS1_11target_archE4294967295ELNS1_3gpuE0ELNS1_3repE0EEENS1_30default_config_static_selectorELNS0_4arch9wavefront6targetE1EEEvT1_
                                        ; -- End function
	.section	.AMDGPU.csdata,"",@progbits
; Kernel info:
; codeLenInByte = 0
; NumSgprs: 6
; NumVgprs: 0
; NumAgprs: 0
; TotalNumVgprs: 0
; ScratchSize: 0
; MemoryBound: 0
; FloatMode: 240
; IeeeMode: 1
; LDSByteSize: 0 bytes/workgroup (compile time only)
; SGPRBlocks: 0
; VGPRBlocks: 0
; NumSGPRsForWavesPerEU: 6
; NumVGPRsForWavesPerEU: 1
; AccumOffset: 4
; Occupancy: 8
; WaveLimiterHint : 0
; COMPUTE_PGM_RSRC2:SCRATCH_EN: 0
; COMPUTE_PGM_RSRC2:USER_SGPR: 2
; COMPUTE_PGM_RSRC2:TRAP_HANDLER: 0
; COMPUTE_PGM_RSRC2:TGID_X_EN: 1
; COMPUTE_PGM_RSRC2:TGID_Y_EN: 0
; COMPUTE_PGM_RSRC2:TGID_Z_EN: 0
; COMPUTE_PGM_RSRC2:TIDIG_COMP_CNT: 0
; COMPUTE_PGM_RSRC3_GFX90A:ACCUM_OFFSET: 0
; COMPUTE_PGM_RSRC3_GFX90A:TG_SPLIT: 0
	.section	.text._ZN7rocprim17ROCPRIM_400000_NS6detail17trampoline_kernelINS0_14default_configENS1_25partition_config_selectorILNS1_17partition_subalgoE0EsNS0_10empty_typeEbEEZZNS1_14partition_implILS5_0ELb0ES3_jN6thrust23THRUST_200600_302600_NS6detail15normal_iteratorINSA_10device_ptrIsEEEEPS6_SG_NS0_5tupleIJNSA_16discard_iteratorINSA_11use_defaultEEESK_EEENSH_IJSG_SG_EEES6_PlJ7is_evenIsEEEE10hipError_tPvRmT3_T4_T5_T6_T7_T9_mT8_P12ihipStream_tbDpT10_ENKUlT_T0_E_clISt17integral_constantIbLb0EES18_IbLb1EEEEDaS14_S15_EUlS14_E_NS1_11comp_targetILNS1_3genE5ELNS1_11target_archE942ELNS1_3gpuE9ELNS1_3repE0EEENS1_30default_config_static_selectorELNS0_4arch9wavefront6targetE1EEEvT1_,"axG",@progbits,_ZN7rocprim17ROCPRIM_400000_NS6detail17trampoline_kernelINS0_14default_configENS1_25partition_config_selectorILNS1_17partition_subalgoE0EsNS0_10empty_typeEbEEZZNS1_14partition_implILS5_0ELb0ES3_jN6thrust23THRUST_200600_302600_NS6detail15normal_iteratorINSA_10device_ptrIsEEEEPS6_SG_NS0_5tupleIJNSA_16discard_iteratorINSA_11use_defaultEEESK_EEENSH_IJSG_SG_EEES6_PlJ7is_evenIsEEEE10hipError_tPvRmT3_T4_T5_T6_T7_T9_mT8_P12ihipStream_tbDpT10_ENKUlT_T0_E_clISt17integral_constantIbLb0EES18_IbLb1EEEEDaS14_S15_EUlS14_E_NS1_11comp_targetILNS1_3genE5ELNS1_11target_archE942ELNS1_3gpuE9ELNS1_3repE0EEENS1_30default_config_static_selectorELNS0_4arch9wavefront6targetE1EEEvT1_,comdat
	.protected	_ZN7rocprim17ROCPRIM_400000_NS6detail17trampoline_kernelINS0_14default_configENS1_25partition_config_selectorILNS1_17partition_subalgoE0EsNS0_10empty_typeEbEEZZNS1_14partition_implILS5_0ELb0ES3_jN6thrust23THRUST_200600_302600_NS6detail15normal_iteratorINSA_10device_ptrIsEEEEPS6_SG_NS0_5tupleIJNSA_16discard_iteratorINSA_11use_defaultEEESK_EEENSH_IJSG_SG_EEES6_PlJ7is_evenIsEEEE10hipError_tPvRmT3_T4_T5_T6_T7_T9_mT8_P12ihipStream_tbDpT10_ENKUlT_T0_E_clISt17integral_constantIbLb0EES18_IbLb1EEEEDaS14_S15_EUlS14_E_NS1_11comp_targetILNS1_3genE5ELNS1_11target_archE942ELNS1_3gpuE9ELNS1_3repE0EEENS1_30default_config_static_selectorELNS0_4arch9wavefront6targetE1EEEvT1_ ; -- Begin function _ZN7rocprim17ROCPRIM_400000_NS6detail17trampoline_kernelINS0_14default_configENS1_25partition_config_selectorILNS1_17partition_subalgoE0EsNS0_10empty_typeEbEEZZNS1_14partition_implILS5_0ELb0ES3_jN6thrust23THRUST_200600_302600_NS6detail15normal_iteratorINSA_10device_ptrIsEEEEPS6_SG_NS0_5tupleIJNSA_16discard_iteratorINSA_11use_defaultEEESK_EEENSH_IJSG_SG_EEES6_PlJ7is_evenIsEEEE10hipError_tPvRmT3_T4_T5_T6_T7_T9_mT8_P12ihipStream_tbDpT10_ENKUlT_T0_E_clISt17integral_constantIbLb0EES18_IbLb1EEEEDaS14_S15_EUlS14_E_NS1_11comp_targetILNS1_3genE5ELNS1_11target_archE942ELNS1_3gpuE9ELNS1_3repE0EEENS1_30default_config_static_selectorELNS0_4arch9wavefront6targetE1EEEvT1_
	.globl	_ZN7rocprim17ROCPRIM_400000_NS6detail17trampoline_kernelINS0_14default_configENS1_25partition_config_selectorILNS1_17partition_subalgoE0EsNS0_10empty_typeEbEEZZNS1_14partition_implILS5_0ELb0ES3_jN6thrust23THRUST_200600_302600_NS6detail15normal_iteratorINSA_10device_ptrIsEEEEPS6_SG_NS0_5tupleIJNSA_16discard_iteratorINSA_11use_defaultEEESK_EEENSH_IJSG_SG_EEES6_PlJ7is_evenIsEEEE10hipError_tPvRmT3_T4_T5_T6_T7_T9_mT8_P12ihipStream_tbDpT10_ENKUlT_T0_E_clISt17integral_constantIbLb0EES18_IbLb1EEEEDaS14_S15_EUlS14_E_NS1_11comp_targetILNS1_3genE5ELNS1_11target_archE942ELNS1_3gpuE9ELNS1_3repE0EEENS1_30default_config_static_selectorELNS0_4arch9wavefront6targetE1EEEvT1_
	.p2align	8
	.type	_ZN7rocprim17ROCPRIM_400000_NS6detail17trampoline_kernelINS0_14default_configENS1_25partition_config_selectorILNS1_17partition_subalgoE0EsNS0_10empty_typeEbEEZZNS1_14partition_implILS5_0ELb0ES3_jN6thrust23THRUST_200600_302600_NS6detail15normal_iteratorINSA_10device_ptrIsEEEEPS6_SG_NS0_5tupleIJNSA_16discard_iteratorINSA_11use_defaultEEESK_EEENSH_IJSG_SG_EEES6_PlJ7is_evenIsEEEE10hipError_tPvRmT3_T4_T5_T6_T7_T9_mT8_P12ihipStream_tbDpT10_ENKUlT_T0_E_clISt17integral_constantIbLb0EES18_IbLb1EEEEDaS14_S15_EUlS14_E_NS1_11comp_targetILNS1_3genE5ELNS1_11target_archE942ELNS1_3gpuE9ELNS1_3repE0EEENS1_30default_config_static_selectorELNS0_4arch9wavefront6targetE1EEEvT1_,@function
_ZN7rocprim17ROCPRIM_400000_NS6detail17trampoline_kernelINS0_14default_configENS1_25partition_config_selectorILNS1_17partition_subalgoE0EsNS0_10empty_typeEbEEZZNS1_14partition_implILS5_0ELb0ES3_jN6thrust23THRUST_200600_302600_NS6detail15normal_iteratorINSA_10device_ptrIsEEEEPS6_SG_NS0_5tupleIJNSA_16discard_iteratorINSA_11use_defaultEEESK_EEENSH_IJSG_SG_EEES6_PlJ7is_evenIsEEEE10hipError_tPvRmT3_T4_T5_T6_T7_T9_mT8_P12ihipStream_tbDpT10_ENKUlT_T0_E_clISt17integral_constantIbLb0EES18_IbLb1EEEEDaS14_S15_EUlS14_E_NS1_11comp_targetILNS1_3genE5ELNS1_11target_archE942ELNS1_3gpuE9ELNS1_3repE0EEENS1_30default_config_static_selectorELNS0_4arch9wavefront6targetE1EEEvT1_: ; @_ZN7rocprim17ROCPRIM_400000_NS6detail17trampoline_kernelINS0_14default_configENS1_25partition_config_selectorILNS1_17partition_subalgoE0EsNS0_10empty_typeEbEEZZNS1_14partition_implILS5_0ELb0ES3_jN6thrust23THRUST_200600_302600_NS6detail15normal_iteratorINSA_10device_ptrIsEEEEPS6_SG_NS0_5tupleIJNSA_16discard_iteratorINSA_11use_defaultEEESK_EEENSH_IJSG_SG_EEES6_PlJ7is_evenIsEEEE10hipError_tPvRmT3_T4_T5_T6_T7_T9_mT8_P12ihipStream_tbDpT10_ENKUlT_T0_E_clISt17integral_constantIbLb0EES18_IbLb1EEEEDaS14_S15_EUlS14_E_NS1_11comp_targetILNS1_3genE5ELNS1_11target_archE942ELNS1_3gpuE9ELNS1_3repE0EEENS1_30default_config_static_selectorELNS0_4arch9wavefront6targetE1EEEvT1_
; %bb.0:
	s_load_dwordx2 s[2:3], s[0:1], 0x68
	s_load_dwordx4 s[20:23], s[0:1], 0x58
	s_load_dwordx2 s[24:25], s[0:1], 0x78
	v_cmp_eq_u32_e64 s[18:19], 0, v0
	s_and_saveexec_b64 s[4:5], s[18:19]
	s_cbranch_execz .LBB2804_4
; %bb.1:
	s_mov_b64 s[8:9], exec
	v_mbcnt_lo_u32_b32 v1, s8, 0
	v_mbcnt_hi_u32_b32 v1, s9, v1
	v_cmp_eq_u32_e32 vcc, 0, v1
                                        ; implicit-def: $vgpr2
	s_and_saveexec_b64 s[6:7], vcc
	s_cbranch_execz .LBB2804_3
; %bb.2:
	s_load_dwordx2 s[10:11], s[0:1], 0x88
	s_bcnt1_i32_b64 s8, s[8:9]
	v_mov_b32_e32 v2, 0
	v_mov_b32_e32 v3, s8
	s_waitcnt lgkmcnt(0)
	global_atomic_add v2, v2, v3, s[10:11] sc0
.LBB2804_3:
	s_or_b64 exec, exec, s[6:7]
	s_waitcnt vmcnt(0)
	v_readfirstlane_b32 s6, v2
	v_mov_b32_e32 v2, 0
	s_nop 0
	v_add_u32_e32 v1, s6, v1
	ds_write_b32 v2, v1
.LBB2804_4:
	s_or_b64 exec, exec, s[4:5]
	v_mov_b32_e32 v5, 0
	s_load_dwordx4 s[4:7], s[0:1], 0x8
	s_load_dword s8, s[0:1], 0x80
	s_waitcnt lgkmcnt(0)
	s_barrier
	ds_read_b32 v1, v5
	s_waitcnt lgkmcnt(0)
	s_barrier
	global_load_dwordx2 v[2:3], v5, s[22:23]
	s_lshl_b64 s[0:1], s[6:7], 1
	s_add_u32 s10, s4, s0
	s_movk_i32 s0, 0x3c00
	v_mul_lo_u32 v4, v1, s0
	s_mul_i32 s0, s8, 0x3c00
	s_addc_u32 s11, s5, s1
	s_add_i32 s1, s0, s6
	v_mov_b32_e32 v7, s3
	s_add_i32 s3, s8, -1
	s_sub_i32 s4, s2, s1
	s_add_u32 s0, s6, s0
	v_readfirstlane_b32 s30, v1
	s_addc_u32 s1, s7, 0
	s_cmp_eq_u32 s30, s3
	v_mov_b32_e32 v6, s2
	s_cselect_b64 s[22:23], -1, 0
	s_cmp_lg_u32 s30, s3
	v_cmp_lt_u64_e32 vcc, s[0:1], v[6:7]
	s_cselect_b64 s[0:1], -1, 0
	s_or_b64 s[0:1], vcc, s[0:1]
	v_lshlrev_b64 v[6:7], 1, v[4:5]
	v_lshl_add_u64 v[6:7], s[10:11], 0, v[6:7]
	s_mov_b64 s[2:3], -1
	s_and_b64 vcc, exec, s[0:1]
	v_lshlrev_b32_e32 v4, 1, v0
	s_cbranch_vccz .LBB2804_6
; %bb.5:
	v_lshl_add_u64 v[8:9], v[6:7], 0, v[4:5]
	v_add_co_u32_e32 v10, vcc, 0x1000, v8
	s_mov_b64 s[2:3], 0
	s_nop 0
	v_addc_co_u32_e32 v11, vcc, 0, v9, vcc
	flat_load_ushort v1, v[8:9]
	flat_load_ushort v5, v[8:9] offset:1024
	flat_load_ushort v14, v[8:9] offset:2048
	flat_load_ushort v15, v[8:9] offset:3072
	flat_load_ushort v16, v[10:11]
	flat_load_ushort v17, v[10:11] offset:1024
	flat_load_ushort v18, v[10:11] offset:2048
	flat_load_ushort v19, v[10:11] offset:3072
	v_add_co_u32_e32 v10, vcc, 0x2000, v8
	s_nop 1
	v_addc_co_u32_e32 v11, vcc, 0, v9, vcc
	v_add_co_u32_e32 v12, vcc, 0x3000, v8
	s_nop 1
	v_addc_co_u32_e32 v13, vcc, 0, v9, vcc
	flat_load_ushort v20, v[10:11]
	flat_load_ushort v21, v[10:11] offset:1024
	flat_load_ushort v22, v[10:11] offset:2048
	flat_load_ushort v23, v[10:11] offset:3072
	flat_load_ushort v24, v[12:13]
	flat_load_ushort v25, v[12:13] offset:1024
	flat_load_ushort v26, v[12:13] offset:2048
	flat_load_ushort v27, v[12:13] offset:3072
	v_add_co_u32_e32 v10, vcc, 0x4000, v8
	s_nop 1
	v_addc_co_u32_e32 v11, vcc, 0, v9, vcc
	v_add_co_u32_e32 v12, vcc, 0x5000, v8
	;; [unrolled: 14-line block ×3, first 2 shown]
	s_nop 1
	v_addc_co_u32_e32 v9, vcc, 0, v9, vcc
	flat_load_ushort v12, v[10:11]
	flat_load_ushort v13, v[10:11] offset:1024
	flat_load_ushort v36, v[10:11] offset:2048
	;; [unrolled: 1-line block ×3, first 2 shown]
	flat_load_ushort v38, v[8:9]
	flat_load_ushort v39, v[8:9] offset:1024
	s_waitcnt vmcnt(0) lgkmcnt(0)
	ds_write_b16 v4, v1
	ds_write_b16 v4, v5 offset:1024
	ds_write_b16 v4, v14 offset:2048
	;; [unrolled: 1-line block ×29, first 2 shown]
	s_waitcnt lgkmcnt(0)
	s_barrier
.LBB2804_6:
	s_andn2_b64 vcc, exec, s[2:3]
	s_addk_i32 s4, 0x3c00
	s_cbranch_vccnz .LBB2804_68
; %bb.7:
	v_cmp_gt_u32_e32 vcc, s4, v0
                                        ; implicit-def: $vgpr1
	s_and_saveexec_b64 s[2:3], vcc
	s_cbranch_execz .LBB2804_9
; %bb.8:
	v_mov_b32_e32 v5, 0
	v_lshl_add_u64 v[8:9], v[6:7], 0, v[4:5]
	flat_load_ushort v1, v[8:9]
.LBB2804_9:
	s_or_b64 exec, exec, s[2:3]
	v_or_b32_e32 v5, 0x200, v0
	v_cmp_gt_u32_e32 vcc, s4, v5
                                        ; implicit-def: $vgpr8
	s_and_saveexec_b64 s[2:3], vcc
	s_cbranch_execz .LBB2804_11
; %bb.10:
	v_mov_b32_e32 v5, 0
	v_lshl_add_u64 v[8:9], v[6:7], 0, v[4:5]
	flat_load_ushort v8, v[8:9] offset:1024
.LBB2804_11:
	s_or_b64 exec, exec, s[2:3]
	v_or_b32_e32 v5, 0x400, v0
	v_cmp_gt_u32_e32 vcc, s4, v5
                                        ; implicit-def: $vgpr9
	s_and_saveexec_b64 s[2:3], vcc
	s_cbranch_execz .LBB2804_13
; %bb.12:
	v_mov_b32_e32 v5, 0
	v_lshl_add_u64 v[10:11], v[6:7], 0, v[4:5]
	flat_load_ushort v9, v[10:11] offset:2048
.LBB2804_13:
	s_or_b64 exec, exec, s[2:3]
	v_or_b32_e32 v5, 0x600, v0
	v_cmp_gt_u32_e32 vcc, s4, v5
                                        ; implicit-def: $vgpr5
	s_and_saveexec_b64 s[2:3], vcc
	s_cbranch_execz .LBB2804_15
; %bb.14:
	v_mov_b32_e32 v5, 0
	v_lshl_add_u64 v[10:11], v[6:7], 0, v[4:5]
	flat_load_ushort v5, v[10:11] offset:3072
.LBB2804_15:
	s_or_b64 exec, exec, s[2:3]
	v_or_b32_e32 v11, 0x800, v0
	v_cmp_gt_u32_e32 vcc, s4, v11
                                        ; implicit-def: $vgpr10
	s_and_saveexec_b64 s[2:3], vcc
	s_cbranch_execz .LBB2804_17
; %bb.16:
	v_lshlrev_b32_e32 v10, 1, v11
	v_mov_b32_e32 v11, 0
	v_lshl_add_u64 v[10:11], v[6:7], 0, v[10:11]
	flat_load_ushort v10, v[10:11]
.LBB2804_17:
	s_or_b64 exec, exec, s[2:3]
	v_or_b32_e32 v12, 0xa00, v0
	v_cmp_gt_u32_e32 vcc, s4, v12
                                        ; implicit-def: $vgpr11
	s_and_saveexec_b64 s[2:3], vcc
	s_cbranch_execz .LBB2804_19
; %bb.18:
	v_lshlrev_b32_e32 v12, 1, v12
	v_mov_b32_e32 v13, 0
	v_lshl_add_u64 v[12:13], v[6:7], 0, v[12:13]
	flat_load_ushort v11, v[12:13]
.LBB2804_19:
	s_or_b64 exec, exec, s[2:3]
	v_or_b32_e32 v13, 0xc00, v0
	v_cmp_gt_u32_e32 vcc, s4, v13
                                        ; implicit-def: $vgpr12
	s_and_saveexec_b64 s[2:3], vcc
	s_cbranch_execz .LBB2804_21
; %bb.20:
	v_lshlrev_b32_e32 v12, 1, v13
	v_mov_b32_e32 v13, 0
	v_lshl_add_u64 v[12:13], v[6:7], 0, v[12:13]
	flat_load_ushort v12, v[12:13]
.LBB2804_21:
	s_or_b64 exec, exec, s[2:3]
	v_or_b32_e32 v14, 0xe00, v0
	v_cmp_gt_u32_e32 vcc, s4, v14
                                        ; implicit-def: $vgpr13
	s_and_saveexec_b64 s[2:3], vcc
	s_cbranch_execz .LBB2804_23
; %bb.22:
	v_lshlrev_b32_e32 v14, 1, v14
	v_mov_b32_e32 v15, 0
	v_lshl_add_u64 v[14:15], v[6:7], 0, v[14:15]
	flat_load_ushort v13, v[14:15]
.LBB2804_23:
	s_or_b64 exec, exec, s[2:3]
	v_or_b32_e32 v15, 0x1000, v0
	v_cmp_gt_u32_e32 vcc, s4, v15
                                        ; implicit-def: $vgpr14
	s_and_saveexec_b64 s[2:3], vcc
	s_cbranch_execz .LBB2804_25
; %bb.24:
	v_lshlrev_b32_e32 v14, 1, v15
	v_mov_b32_e32 v15, 0
	v_lshl_add_u64 v[14:15], v[6:7], 0, v[14:15]
	flat_load_ushort v14, v[14:15]
.LBB2804_25:
	s_or_b64 exec, exec, s[2:3]
	v_or_b32_e32 v16, 0x1200, v0
	v_cmp_gt_u32_e32 vcc, s4, v16
                                        ; implicit-def: $vgpr15
	s_and_saveexec_b64 s[2:3], vcc
	s_cbranch_execz .LBB2804_27
; %bb.26:
	v_lshlrev_b32_e32 v16, 1, v16
	v_mov_b32_e32 v17, 0
	v_lshl_add_u64 v[16:17], v[6:7], 0, v[16:17]
	flat_load_ushort v15, v[16:17]
.LBB2804_27:
	s_or_b64 exec, exec, s[2:3]
	v_or_b32_e32 v17, 0x1400, v0
	v_cmp_gt_u32_e32 vcc, s4, v17
                                        ; implicit-def: $vgpr16
	s_and_saveexec_b64 s[2:3], vcc
	s_cbranch_execz .LBB2804_29
; %bb.28:
	v_lshlrev_b32_e32 v16, 1, v17
	v_mov_b32_e32 v17, 0
	v_lshl_add_u64 v[16:17], v[6:7], 0, v[16:17]
	flat_load_ushort v16, v[16:17]
.LBB2804_29:
	s_or_b64 exec, exec, s[2:3]
	v_or_b32_e32 v18, 0x1600, v0
	v_cmp_gt_u32_e32 vcc, s4, v18
                                        ; implicit-def: $vgpr17
	s_and_saveexec_b64 s[2:3], vcc
	s_cbranch_execz .LBB2804_31
; %bb.30:
	v_lshlrev_b32_e32 v18, 1, v18
	v_mov_b32_e32 v19, 0
	v_lshl_add_u64 v[18:19], v[6:7], 0, v[18:19]
	flat_load_ushort v17, v[18:19]
.LBB2804_31:
	s_or_b64 exec, exec, s[2:3]
	v_or_b32_e32 v19, 0x1800, v0
	v_cmp_gt_u32_e32 vcc, s4, v19
                                        ; implicit-def: $vgpr18
	s_and_saveexec_b64 s[2:3], vcc
	s_cbranch_execz .LBB2804_33
; %bb.32:
	v_lshlrev_b32_e32 v18, 1, v19
	v_mov_b32_e32 v19, 0
	v_lshl_add_u64 v[18:19], v[6:7], 0, v[18:19]
	flat_load_ushort v18, v[18:19]
.LBB2804_33:
	s_or_b64 exec, exec, s[2:3]
	v_or_b32_e32 v20, 0x1a00, v0
	v_cmp_gt_u32_e32 vcc, s4, v20
                                        ; implicit-def: $vgpr19
	s_and_saveexec_b64 s[2:3], vcc
	s_cbranch_execz .LBB2804_35
; %bb.34:
	v_lshlrev_b32_e32 v20, 1, v20
	v_mov_b32_e32 v21, 0
	v_lshl_add_u64 v[20:21], v[6:7], 0, v[20:21]
	flat_load_ushort v19, v[20:21]
.LBB2804_35:
	s_or_b64 exec, exec, s[2:3]
	v_or_b32_e32 v21, 0x1c00, v0
	v_cmp_gt_u32_e32 vcc, s4, v21
                                        ; implicit-def: $vgpr20
	s_and_saveexec_b64 s[2:3], vcc
	s_cbranch_execz .LBB2804_37
; %bb.36:
	v_lshlrev_b32_e32 v20, 1, v21
	v_mov_b32_e32 v21, 0
	v_lshl_add_u64 v[20:21], v[6:7], 0, v[20:21]
	flat_load_ushort v20, v[20:21]
.LBB2804_37:
	s_or_b64 exec, exec, s[2:3]
	v_or_b32_e32 v22, 0x1e00, v0
	v_cmp_gt_u32_e32 vcc, s4, v22
                                        ; implicit-def: $vgpr21
	s_and_saveexec_b64 s[2:3], vcc
	s_cbranch_execz .LBB2804_39
; %bb.38:
	v_lshlrev_b32_e32 v22, 1, v22
	v_mov_b32_e32 v23, 0
	v_lshl_add_u64 v[22:23], v[6:7], 0, v[22:23]
	flat_load_ushort v21, v[22:23]
.LBB2804_39:
	s_or_b64 exec, exec, s[2:3]
	v_or_b32_e32 v23, 0x2000, v0
	v_cmp_gt_u32_e32 vcc, s4, v23
                                        ; implicit-def: $vgpr22
	s_and_saveexec_b64 s[2:3], vcc
	s_cbranch_execz .LBB2804_41
; %bb.40:
	v_lshlrev_b32_e32 v22, 1, v23
	v_mov_b32_e32 v23, 0
	v_lshl_add_u64 v[22:23], v[6:7], 0, v[22:23]
	flat_load_ushort v22, v[22:23]
.LBB2804_41:
	s_or_b64 exec, exec, s[2:3]
	v_or_b32_e32 v24, 0x2200, v0
	v_cmp_gt_u32_e32 vcc, s4, v24
                                        ; implicit-def: $vgpr23
	s_and_saveexec_b64 s[2:3], vcc
	s_cbranch_execz .LBB2804_43
; %bb.42:
	v_lshlrev_b32_e32 v24, 1, v24
	v_mov_b32_e32 v25, 0
	v_lshl_add_u64 v[24:25], v[6:7], 0, v[24:25]
	flat_load_ushort v23, v[24:25]
.LBB2804_43:
	s_or_b64 exec, exec, s[2:3]
	v_or_b32_e32 v25, 0x2400, v0
	v_cmp_gt_u32_e32 vcc, s4, v25
                                        ; implicit-def: $vgpr24
	s_and_saveexec_b64 s[2:3], vcc
	s_cbranch_execz .LBB2804_45
; %bb.44:
	v_lshlrev_b32_e32 v24, 1, v25
	v_mov_b32_e32 v25, 0
	v_lshl_add_u64 v[24:25], v[6:7], 0, v[24:25]
	flat_load_ushort v24, v[24:25]
.LBB2804_45:
	s_or_b64 exec, exec, s[2:3]
	v_or_b32_e32 v26, 0x2600, v0
	v_cmp_gt_u32_e32 vcc, s4, v26
                                        ; implicit-def: $vgpr25
	s_and_saveexec_b64 s[2:3], vcc
	s_cbranch_execz .LBB2804_47
; %bb.46:
	v_lshlrev_b32_e32 v26, 1, v26
	v_mov_b32_e32 v27, 0
	v_lshl_add_u64 v[26:27], v[6:7], 0, v[26:27]
	flat_load_ushort v25, v[26:27]
.LBB2804_47:
	s_or_b64 exec, exec, s[2:3]
	v_or_b32_e32 v27, 0x2800, v0
	v_cmp_gt_u32_e32 vcc, s4, v27
                                        ; implicit-def: $vgpr26
	s_and_saveexec_b64 s[2:3], vcc
	s_cbranch_execz .LBB2804_49
; %bb.48:
	v_lshlrev_b32_e32 v26, 1, v27
	v_mov_b32_e32 v27, 0
	v_lshl_add_u64 v[26:27], v[6:7], 0, v[26:27]
	flat_load_ushort v26, v[26:27]
.LBB2804_49:
	s_or_b64 exec, exec, s[2:3]
	v_or_b32_e32 v28, 0x2a00, v0
	v_cmp_gt_u32_e32 vcc, s4, v28
                                        ; implicit-def: $vgpr27
	s_and_saveexec_b64 s[2:3], vcc
	s_cbranch_execz .LBB2804_51
; %bb.50:
	v_lshlrev_b32_e32 v28, 1, v28
	v_mov_b32_e32 v29, 0
	v_lshl_add_u64 v[28:29], v[6:7], 0, v[28:29]
	flat_load_ushort v27, v[28:29]
.LBB2804_51:
	s_or_b64 exec, exec, s[2:3]
	v_or_b32_e32 v29, 0x2c00, v0
	v_cmp_gt_u32_e32 vcc, s4, v29
                                        ; implicit-def: $vgpr28
	s_and_saveexec_b64 s[2:3], vcc
	s_cbranch_execz .LBB2804_53
; %bb.52:
	v_lshlrev_b32_e32 v28, 1, v29
	v_mov_b32_e32 v29, 0
	v_lshl_add_u64 v[28:29], v[6:7], 0, v[28:29]
	flat_load_ushort v28, v[28:29]
.LBB2804_53:
	s_or_b64 exec, exec, s[2:3]
	v_or_b32_e32 v30, 0x2e00, v0
	v_cmp_gt_u32_e32 vcc, s4, v30
                                        ; implicit-def: $vgpr29
	s_and_saveexec_b64 s[2:3], vcc
	s_cbranch_execz .LBB2804_55
; %bb.54:
	v_lshlrev_b32_e32 v30, 1, v30
	v_mov_b32_e32 v31, 0
	v_lshl_add_u64 v[30:31], v[6:7], 0, v[30:31]
	flat_load_ushort v29, v[30:31]
.LBB2804_55:
	s_or_b64 exec, exec, s[2:3]
	v_or_b32_e32 v31, 0x3000, v0
	v_cmp_gt_u32_e32 vcc, s4, v31
                                        ; implicit-def: $vgpr30
	s_and_saveexec_b64 s[2:3], vcc
	s_cbranch_execz .LBB2804_57
; %bb.56:
	v_lshlrev_b32_e32 v30, 1, v31
	v_mov_b32_e32 v31, 0
	v_lshl_add_u64 v[30:31], v[6:7], 0, v[30:31]
	flat_load_ushort v30, v[30:31]
.LBB2804_57:
	s_or_b64 exec, exec, s[2:3]
	v_or_b32_e32 v32, 0x3200, v0
	v_cmp_gt_u32_e32 vcc, s4, v32
                                        ; implicit-def: $vgpr31
	s_and_saveexec_b64 s[2:3], vcc
	s_cbranch_execz .LBB2804_59
; %bb.58:
	v_lshlrev_b32_e32 v32, 1, v32
	v_mov_b32_e32 v33, 0
	v_lshl_add_u64 v[32:33], v[6:7], 0, v[32:33]
	flat_load_ushort v31, v[32:33]
.LBB2804_59:
	s_or_b64 exec, exec, s[2:3]
	v_or_b32_e32 v33, 0x3400, v0
	v_cmp_gt_u32_e32 vcc, s4, v33
                                        ; implicit-def: $vgpr32
	s_and_saveexec_b64 s[2:3], vcc
	s_cbranch_execz .LBB2804_61
; %bb.60:
	v_lshlrev_b32_e32 v32, 1, v33
	v_mov_b32_e32 v33, 0
	v_lshl_add_u64 v[32:33], v[6:7], 0, v[32:33]
	flat_load_ushort v32, v[32:33]
.LBB2804_61:
	s_or_b64 exec, exec, s[2:3]
	v_or_b32_e32 v34, 0x3600, v0
	v_cmp_gt_u32_e32 vcc, s4, v34
                                        ; implicit-def: $vgpr33
	s_and_saveexec_b64 s[2:3], vcc
	s_cbranch_execz .LBB2804_63
; %bb.62:
	v_lshlrev_b32_e32 v34, 1, v34
	v_mov_b32_e32 v35, 0
	v_lshl_add_u64 v[34:35], v[6:7], 0, v[34:35]
	flat_load_ushort v33, v[34:35]
.LBB2804_63:
	s_or_b64 exec, exec, s[2:3]
	v_or_b32_e32 v35, 0x3800, v0
	v_cmp_gt_u32_e32 vcc, s4, v35
                                        ; implicit-def: $vgpr34
	s_and_saveexec_b64 s[2:3], vcc
	s_cbranch_execz .LBB2804_65
; %bb.64:
	v_lshlrev_b32_e32 v34, 1, v35
	v_mov_b32_e32 v35, 0
	v_lshl_add_u64 v[34:35], v[6:7], 0, v[34:35]
	flat_load_ushort v34, v[34:35]
.LBB2804_65:
	s_or_b64 exec, exec, s[2:3]
	v_or_b32_e32 v36, 0x3a00, v0
	v_cmp_gt_u32_e32 vcc, s4, v36
                                        ; implicit-def: $vgpr35
	s_and_saveexec_b64 s[2:3], vcc
	s_cbranch_execz .LBB2804_67
; %bb.66:
	v_lshlrev_b32_e32 v36, 1, v36
	v_mov_b32_e32 v37, 0
	v_lshl_add_u64 v[6:7], v[6:7], 0, v[36:37]
	flat_load_ushort v35, v[6:7]
.LBB2804_67:
	s_or_b64 exec, exec, s[2:3]
	s_waitcnt vmcnt(0) lgkmcnt(0)
	ds_write_b16 v4, v1
	ds_write_b16 v4, v8 offset:1024
	ds_write_b16 v4, v9 offset:2048
	;; [unrolled: 1-line block ×29, first 2 shown]
	s_waitcnt lgkmcnt(0)
	s_barrier
.LBB2804_68:
	v_mul_u32_u24_e32 v41, 30, v0
	v_lshlrev_b32_e32 v10, 1, v41
	ds_read_b32 v28, v10 offset:56
	ds_read2_b32 v[4:5], v10 offset0:12 offset1:13
	ds_read2_b32 v[6:7], v10 offset0:10 offset1:11
	;; [unrolled: 1-line block ×3, first 2 shown]
	ds_read2_b32 v[16:17], v10 offset1:1
	ds_read2_b32 v[14:15], v10 offset0:2 offset1:3
	ds_read2_b32 v[12:13], v10 offset0:4 offset1:5
	;; [unrolled: 1-line block ×3, first 2 shown]
	s_waitcnt lgkmcnt(7)
	v_lshrrev_b32_e32 v1, 16, v28
	s_waitcnt lgkmcnt(6)
	v_lshrrev_b32_e32 v30, 16, v4
	v_lshrrev_b32_e32 v29, 16, v5
	s_waitcnt lgkmcnt(5)
	v_lshrrev_b32_e32 v32, 16, v6
	;; [unrolled: 3-line block ×6, first 2 shown]
	v_lshrrev_b32_e32 v35, 16, v11
	v_lshrrev_b32_e32 v34, 16, v8
	;; [unrolled: 1-line block ×3, first 2 shown]
	s_andn2_b64 vcc, exec, s[0:1]
	v_xor_b32_e32 v93, -1, v16
	v_xor_b32_e32 v92, -1, v43
	;; [unrolled: 1-line block ×30, first 2 shown]
	s_barrier
	s_cbranch_vccnz .LBB2804_70
; %bb.69:
	v_and_b32_e32 v73, 1, v93
	v_and_b32_e32 v72, 1, v92
	;; [unrolled: 1-line block ×30, first 2 shown]
	s_cbranch_execz .LBB2804_71
	s_branch .LBB2804_72
.LBB2804_70:
                                        ; implicit-def: $vgpr73
                                        ; implicit-def: $vgpr72
                                        ; implicit-def: $vgpr71
                                        ; implicit-def: $vgpr70
                                        ; implicit-def: $vgpr69
                                        ; implicit-def: $vgpr68
                                        ; implicit-def: $vgpr67
                                        ; implicit-def: $vgpr66
                                        ; implicit-def: $vgpr65
                                        ; implicit-def: $vgpr64
                                        ; implicit-def: $vgpr63
                                        ; implicit-def: $vgpr62
                                        ; implicit-def: $vgpr61
                                        ; implicit-def: $vgpr60
                                        ; implicit-def: $vgpr59
                                        ; implicit-def: $vgpr58
                                        ; implicit-def: $vgpr57
                                        ; implicit-def: $vgpr56
                                        ; implicit-def: $vgpr55
                                        ; implicit-def: $vgpr54
                                        ; implicit-def: $vgpr53
                                        ; implicit-def: $vgpr52
                                        ; implicit-def: $vgpr51
                                        ; implicit-def: $vgpr50
                                        ; implicit-def: $vgpr49
                                        ; implicit-def: $vgpr48
                                        ; implicit-def: $vgpr47
                                        ; implicit-def: $vgpr46
                                        ; implicit-def: $vgpr44
                                        ; implicit-def: $vgpr45
.LBB2804_71:
	v_or_b32_e32 v53, 1, v41
	v_cmp_gt_u32_e32 vcc, s4, v41
	v_add_u32_e32 v54, 2, v41
	v_add_u32_e32 v55, 3, v41
	v_cndmask_b32_e64 v63, 0, 1, vcc
	v_cmp_gt_u32_e32 vcc, s4, v53
	v_add_u32_e32 v56, 4, v41
	v_add_u32_e32 v57, 5, v41
	v_cndmask_b32_e64 v53, 0, 1, vcc
	v_cmp_gt_u32_e32 vcc, s4, v54
	v_and_b32_e32 v72, v53, v92
	v_add_u32_e32 v58, 6, v41
	v_cndmask_b32_e64 v53, 0, 1, vcc
	v_cmp_gt_u32_e32 vcc, s4, v55
	v_and_b32_e32 v71, v53, v91
	;; [unrolled: 4-line block ×9, first 2 shown]
	v_and_b32_e32 v73, v63, v93
	v_cndmask_b32_e64 v53, 0, 1, vcc
	v_cmp_gt_u32_e32 vcc, s4, v94
	v_and_b32_e32 v63, v53, v83
	v_add_u32_e32 v97, 14, v41
	v_cndmask_b32_e64 v53, 0, 1, vcc
	v_cmp_gt_u32_e32 vcc, s4, v95
	v_and_b32_e32 v62, v53, v82
	v_add_u32_e32 v98, 15, v41
	v_cndmask_b32_e64 v53, 0, 1, vcc
	v_cmp_gt_u32_e32 vcc, s4, v96
	v_and_b32_e32 v61, v53, v81
	v_add_u32_e32 v99, 16, v41
	v_cndmask_b32_e64 v53, 0, 1, vcc
	v_cmp_gt_u32_e32 vcc, s4, v97
	v_and_b32_e32 v60, v53, v80
	v_add_u32_e32 v100, 17, v41
	v_cndmask_b32_e64 v53, 0, 1, vcc
	v_cmp_gt_u32_e32 vcc, s4, v98
	v_and_b32_e32 v59, v53, v79
	v_add_u32_e32 v101, 18, v41
	v_cndmask_b32_e64 v53, 0, 1, vcc
	v_cmp_gt_u32_e32 vcc, s4, v99
	v_and_b32_e32 v58, v53, v78
	v_add_u32_e32 v102, 19, v41
	v_cndmask_b32_e64 v53, 0, 1, vcc
	v_cmp_gt_u32_e32 vcc, s4, v100
	v_and_b32_e32 v57, v53, v77
	v_add_u32_e32 v103, 20, v41
	v_cndmask_b32_e64 v53, 0, 1, vcc
	v_cmp_gt_u32_e32 vcc, s4, v101
	v_and_b32_e32 v56, v53, v76
	v_add_u32_e32 v52, 21, v41
	v_cndmask_b32_e64 v53, 0, 1, vcc
	v_cmp_gt_u32_e32 vcc, s4, v102
	v_and_b32_e32 v55, v53, v75
	v_add_u32_e32 v51, 22, v41
	v_cndmask_b32_e64 v53, 0, 1, vcc
	v_cmp_gt_u32_e32 vcc, s4, v103
	v_and_b32_e32 v54, v53, v74
	v_add_u32_e32 v50, 23, v41
	v_cndmask_b32_e64 v53, 0, 1, vcc
	v_cmp_gt_u32_e32 vcc, s4, v52
	v_and_b32_e32 v53, v53, v27
	v_add_u32_e32 v49, 24, v41
	v_cndmask_b32_e64 v27, 0, 1, vcc
	v_cmp_gt_u32_e32 vcc, s4, v51
	v_and_b32_e32 v52, v27, v26
	v_add_u32_e32 v48, 25, v41
	v_cndmask_b32_e64 v26, 0, 1, vcc
	v_cmp_gt_u32_e32 vcc, s4, v50
	v_and_b32_e32 v51, v26, v25
	v_add_u32_e32 v47, 26, v41
	v_cndmask_b32_e64 v25, 0, 1, vcc
	v_cmp_gt_u32_e32 vcc, s4, v49
	v_and_b32_e32 v50, v25, v24
	v_add_u32_e32 v46, 27, v41
	v_cndmask_b32_e64 v24, 0, 1, vcc
	v_cmp_gt_u32_e32 vcc, s4, v48
	v_and_b32_e32 v49, v24, v23
	v_add_u32_e32 v44, 28, v41
	v_cndmask_b32_e64 v23, 0, 1, vcc
	v_cmp_gt_u32_e32 vcc, s4, v47
	v_and_b32_e32 v48, v23, v22
	v_add_u32_e32 v45, 29, v41
	v_cndmask_b32_e64 v22, 0, 1, vcc
	v_cmp_gt_u32_e32 vcc, s4, v46
	v_and_b32_e32 v47, v22, v21
	s_nop 0
	v_cndmask_b32_e64 v21, 0, 1, vcc
	v_cmp_gt_u32_e32 vcc, s4, v44
	v_and_b32_e32 v46, v21, v20
	s_nop 0
	;; [unrolled: 4-line block ×3, first 2 shown]
	v_cndmask_b32_e64 v19, 0, 1, vcc
	v_and_b32_e32 v45, v19, v18
.LBB2804_72:
	v_and_b32_e32 v100, 0xff, v47
	v_and_b32_e32 v101, 0xff, v46
	v_add_u32_sdwa v18, v44, v45 dst_sel:DWORD dst_unused:UNUSED_PAD src0_sel:BYTE_0 src1_sel:BYTE_0
	v_and_b32_e32 v98, 0xff, v49
	v_and_b32_e32 v99, 0xff, v48
	v_add3_u32 v18, v18, v101, v100
	v_and_b32_e32 v96, 0xff, v51
	v_and_b32_e32 v97, 0xff, v50
	v_add3_u32 v18, v18, v99, v98
	;; [unrolled: 3-line block ×13, first 2 shown]
	v_add3_u32 v104, v18, v75, v74
	v_mbcnt_lo_u32_b32 v18, -1, 0
	v_mbcnt_hi_u32_b32 v102, -1, v18
	v_and_b32_e32 v18, 15, v102
	v_cmp_eq_u32_e64 s[14:15], 0, v18
	v_cmp_lt_u32_e64 s[12:13], 1, v18
	v_cmp_lt_u32_e64 s[10:11], 3, v18
	;; [unrolled: 1-line block ×3, first 2 shown]
	v_and_b32_e32 v18, 16, v102
	v_cmp_eq_u32_e64 s[6:7], 0, v18
	v_or_b32_e32 v18, 63, v0
	s_cmp_lg_u32 s30, 0
	v_cmp_lt_u32_e64 s[2:3], 31, v102
	v_lshrrev_b32_e32 v103, 6, v0
	v_cmp_eq_u32_e64 s[4:5], v18, v0
	s_cbranch_scc0 .LBB2804_99
; %bb.73:
	v_mov_b32_dpp v18, v104 row_shr:1 row_mask:0xf bank_mask:0xf
	v_cndmask_b32_e64 v18, v18, 0, s[14:15]
	v_add_u32_e32 v18, v18, v104
	s_nop 1
	v_mov_b32_dpp v19, v18 row_shr:2 row_mask:0xf bank_mask:0xf
	v_cndmask_b32_e64 v19, 0, v19, s[12:13]
	v_add_u32_e32 v18, v18, v19
	s_nop 1
	;; [unrolled: 4-line block ×4, first 2 shown]
	v_mov_b32_dpp v19, v18 row_bcast:15 row_mask:0xf bank_mask:0xf
	v_cndmask_b32_e64 v19, v19, 0, s[6:7]
	v_add_u32_e32 v18, v18, v19
	s_nop 1
	v_mov_b32_dpp v19, v18 row_bcast:31 row_mask:0xf bank_mask:0xf
	v_cndmask_b32_e64 v19, 0, v19, s[2:3]
	v_add_u32_e32 v18, v18, v19
	s_and_saveexec_b64 s[0:1], s[4:5]
	s_cbranch_execz .LBB2804_75
; %bb.74:
	v_lshlrev_b32_e32 v19, 2, v103
	ds_write_b32 v19, v18
.LBB2804_75:
	s_or_b64 exec, exec, s[0:1]
	v_cmp_gt_u32_e32 vcc, 8, v0
	s_waitcnt lgkmcnt(0)
	s_barrier
	s_and_saveexec_b64 s[0:1], vcc
	s_cbranch_execz .LBB2804_77
; %bb.76:
	v_lshlrev_b32_e32 v19, 2, v0
	ds_read_b32 v20, v19
	v_and_b32_e32 v21, 7, v102
	v_cmp_ne_u32_e32 vcc, 0, v21
	s_waitcnt lgkmcnt(0)
	v_mov_b32_dpp v22, v20 row_shr:1 row_mask:0xf bank_mask:0xf
	v_cndmask_b32_e32 v22, 0, v22, vcc
	v_add_u32_e32 v20, v22, v20
	v_cmp_lt_u32_e32 vcc, 1, v21
	s_nop 0
	v_mov_b32_dpp v22, v20 row_shr:2 row_mask:0xf bank_mask:0xf
	v_cndmask_b32_e32 v22, 0, v22, vcc
	v_add_u32_e32 v20, v20, v22
	v_cmp_lt_u32_e32 vcc, 3, v21
	s_nop 0
	v_mov_b32_dpp v22, v20 row_shr:4 row_mask:0xf bank_mask:0xf
	v_cndmask_b32_e32 v21, 0, v22, vcc
	v_add_u32_e32 v20, v20, v21
	ds_write_b32 v19, v20
.LBB2804_77:
	s_or_b64 exec, exec, s[0:1]
	v_cmp_gt_u32_e32 vcc, 64, v0
	v_cmp_lt_u32_e64 s[0:1], 63, v0
	s_waitcnt lgkmcnt(0)
	s_barrier
	s_waitcnt lgkmcnt(0)
                                        ; implicit-def: $vgpr105
	s_and_saveexec_b64 s[16:17], s[0:1]
	s_cbranch_execz .LBB2804_79
; %bb.78:
	v_lshl_add_u32 v19, v103, 2, -4
	ds_read_b32 v105, v19
	s_waitcnt lgkmcnt(0)
	v_add_u32_e32 v18, v105, v18
.LBB2804_79:
	s_or_b64 exec, exec, s[16:17]
	v_add_u32_e32 v19, -1, v102
	v_and_b32_e32 v20, 64, v102
	v_cmp_lt_i32_e64 s[0:1], v19, v20
	v_cmp_eq_u32_e64 s[16:17], 0, v102
	s_nop 0
	v_cndmask_b32_e64 v19, v19, v102, s[0:1]
	v_lshlrev_b32_e32 v19, 2, v19
	ds_bpermute_b32 v106, v19, v18
	s_and_saveexec_b64 s[0:1], vcc
	s_cbranch_execz .LBB2804_98
; %bb.80:
	v_mov_b32_e32 v25, 0
	ds_read_b32 v18, v25 offset:28
	s_and_saveexec_b64 s[26:27], s[16:17]
	s_cbranch_execz .LBB2804_82
; %bb.81:
	s_add_i32 s28, s30, 64
	s_mov_b32 s29, 0
	s_lshl_b64 s[28:29], s[28:29], 3
	s_add_u32 s28, s24, s28
	v_mov_b32_e32 v19, 1
	s_addc_u32 s29, s25, s29
	s_waitcnt lgkmcnt(0)
	global_store_dwordx2 v25, v[18:19], s[28:29] sc1
.LBB2804_82:
	s_or_b64 exec, exec, s[26:27]
	v_xad_u32 v20, v102, -1, s30
	v_add_u32_e32 v24, 64, v20
	v_lshl_add_u64 v[26:27], v[24:25], 3, s[24:25]
	global_load_dwordx2 v[22:23], v[26:27], off sc1
	s_waitcnt vmcnt(0)
	v_cmp_eq_u16_sdwa s[28:29], v23, v25 src0_sel:BYTE_0 src1_sel:DWORD
	s_and_saveexec_b64 s[26:27], s[28:29]
	s_cbranch_execz .LBB2804_86
; %bb.83:
	s_mov_b64 s[28:29], 0
	v_mov_b32_e32 v19, 0
.LBB2804_84:                            ; =>This Inner Loop Header: Depth=1
	global_load_dwordx2 v[22:23], v[26:27], off sc1
	s_waitcnt vmcnt(0)
	v_cmp_ne_u16_sdwa s[34:35], v23, v19 src0_sel:BYTE_0 src1_sel:DWORD
	s_or_b64 s[28:29], s[34:35], s[28:29]
	s_andn2_b64 exec, exec, s[28:29]
	s_cbranch_execnz .LBB2804_84
; %bb.85:
	s_or_b64 exec, exec, s[28:29]
.LBB2804_86:
	s_or_b64 exec, exec, s[26:27]
	v_and_b32_e32 v108, 63, v102
	v_mov_b32_e32 v107, 2
	v_cmp_ne_u32_e32 vcc, 63, v108
	v_cmp_eq_u16_sdwa s[26:27], v23, v107 src0_sel:BYTE_0 src1_sel:DWORD
	v_lshlrev_b64 v[24:25], v102, -1
	v_addc_co_u32_e32 v26, vcc, 0, v102, vcc
	v_and_b32_e32 v19, s27, v25
	v_lshlrev_b32_e32 v109, 2, v26
	v_or_b32_e32 v19, 0x80000000, v19
	ds_bpermute_b32 v26, v109, v22
	v_and_b32_e32 v21, s26, v24
	v_ffbl_b32_e32 v19, v19
	v_add_u32_e32 v19, 32, v19
	v_ffbl_b32_e32 v21, v21
	v_min_u32_e32 v19, v21, v19
	v_cmp_lt_u32_e32 vcc, v108, v19
	v_add_u32_e32 v111, 2, v108
	v_add_u32_e32 v113, 4, v108
	s_waitcnt lgkmcnt(0)
	v_cndmask_b32_e32 v21, 0, v26, vcc
	v_cmp_gt_u32_e32 vcc, 62, v108
	v_add_u32_e32 v21, v21, v22
	v_add_u32_e32 v115, 8, v108
	v_cndmask_b32_e64 v22, 0, 1, vcc
	v_lshlrev_b32_e32 v22, 1, v22
	v_add_lshl_u32 v110, v22, v102, 2
	ds_bpermute_b32 v22, v110, v21
	v_cmp_le_u32_e32 vcc, v111, v19
	v_add_u32_e32 v117, 16, v108
	v_add_u32_e32 v119, 32, v108
	s_waitcnt lgkmcnt(0)
	v_cndmask_b32_e32 v22, 0, v22, vcc
	v_cmp_gt_u32_e32 vcc, 60, v108
	v_add_u32_e32 v21, v21, v22
	s_nop 0
	v_cndmask_b32_e64 v22, 0, 1, vcc
	v_lshlrev_b32_e32 v22, 2, v22
	v_add_lshl_u32 v112, v22, v102, 2
	ds_bpermute_b32 v22, v112, v21
	v_cmp_le_u32_e32 vcc, v113, v19
	s_waitcnt lgkmcnt(0)
	s_nop 0
	v_cndmask_b32_e32 v22, 0, v22, vcc
	v_cmp_gt_u32_e32 vcc, 56, v108
	v_add_u32_e32 v21, v21, v22
	s_nop 0
	v_cndmask_b32_e64 v22, 0, 1, vcc
	v_lshlrev_b32_e32 v22, 3, v22
	v_add_lshl_u32 v114, v22, v102, 2
	ds_bpermute_b32 v22, v114, v21
	v_cmp_le_u32_e32 vcc, v115, v19
	s_waitcnt lgkmcnt(0)
	s_nop 0
	;; [unrolled: 11-line block ×4, first 2 shown]
	v_cndmask_b32_e32 v19, 0, v22, vcc
	v_add_u32_e32 v22, v21, v19
	v_mov_b32_e32 v21, 0
	s_branch .LBB2804_88
.LBB2804_87:                            ;   in Loop: Header=BB2804_88 Depth=1
	s_or_b64 exec, exec, s[26:27]
	v_cmp_eq_u16_sdwa s[26:27], v23, v107 src0_sel:BYTE_0 src1_sel:DWORD
	ds_bpermute_b32 v120, v109, v22
	v_subrev_u32_e32 v20, 64, v20
	v_and_b32_e32 v26, s27, v25
	v_or_b32_e32 v26, 0x80000000, v26
	v_and_b32_e32 v27, s26, v24
	v_ffbl_b32_e32 v26, v26
	v_add_u32_e32 v26, 32, v26
	v_ffbl_b32_e32 v27, v27
	v_min_u32_e32 v26, v27, v26
	v_cmp_lt_u32_e32 vcc, v108, v26
	s_waitcnt lgkmcnt(0)
	s_nop 0
	v_cndmask_b32_e32 v27, 0, v120, vcc
	v_add_u32_e32 v22, v27, v22
	ds_bpermute_b32 v27, v110, v22
	v_cmp_le_u32_e32 vcc, v111, v26
	s_waitcnt lgkmcnt(0)
	s_nop 0
	v_cndmask_b32_e32 v27, 0, v27, vcc
	v_add_u32_e32 v22, v22, v27
	ds_bpermute_b32 v27, v112, v22
	v_cmp_le_u32_e32 vcc, v113, v26
	;; [unrolled: 6-line block ×5, first 2 shown]
	s_waitcnt lgkmcnt(0)
	s_nop 0
	v_cndmask_b32_e32 v26, 0, v27, vcc
	v_add3_u32 v22, v26, v19, v22
.LBB2804_88:                            ; =>This Loop Header: Depth=1
                                        ;     Child Loop BB2804_91 Depth 2
	v_cmp_ne_u16_sdwa s[26:27], v23, v107 src0_sel:BYTE_0 src1_sel:DWORD
	s_nop 1
	v_cndmask_b32_e64 v19, 0, 1, s[26:27]
	;;#ASMSTART
	;;#ASMEND
	s_nop 0
	v_cmp_ne_u32_e32 vcc, 0, v19
	s_cmp_lg_u64 vcc, exec
	v_mov_b32_e32 v19, v22
	s_cbranch_scc1 .LBB2804_93
; %bb.89:                               ;   in Loop: Header=BB2804_88 Depth=1
	v_lshl_add_u64 v[26:27], v[20:21], 3, s[24:25]
	global_load_dwordx2 v[22:23], v[26:27], off sc1
	s_waitcnt vmcnt(0)
	v_cmp_eq_u16_sdwa s[28:29], v23, v21 src0_sel:BYTE_0 src1_sel:DWORD
	s_and_saveexec_b64 s[26:27], s[28:29]
	s_cbranch_execz .LBB2804_87
; %bb.90:                               ;   in Loop: Header=BB2804_88 Depth=1
	s_mov_b64 s[28:29], 0
.LBB2804_91:                            ;   Parent Loop BB2804_88 Depth=1
                                        ; =>  This Inner Loop Header: Depth=2
	global_load_dwordx2 v[22:23], v[26:27], off sc1
	s_waitcnt vmcnt(0)
	v_cmp_ne_u16_sdwa s[34:35], v23, v21 src0_sel:BYTE_0 src1_sel:DWORD
	s_or_b64 s[28:29], s[34:35], s[28:29]
	s_andn2_b64 exec, exec, s[28:29]
	s_cbranch_execnz .LBB2804_91
; %bb.92:                               ;   in Loop: Header=BB2804_88 Depth=1
	s_or_b64 exec, exec, s[28:29]
	s_branch .LBB2804_87
.LBB2804_93:                            ;   in Loop: Header=BB2804_88 Depth=1
                                        ; implicit-def: $vgpr22
                                        ; implicit-def: $vgpr23
	s_cbranch_execz .LBB2804_88
; %bb.94:
	s_and_saveexec_b64 s[26:27], s[16:17]
	s_cbranch_execz .LBB2804_96
; %bb.95:
	s_add_i32 s28, s30, 64
	s_mov_b32 s29, 0
	s_lshl_b64 s[28:29], s[28:29], 3
	s_add_u32 s28, s24, s28
	v_add_u32_e32 v20, v19, v18
	v_mov_b32_e32 v21, 2
	s_addc_u32 s29, s25, s29
	v_mov_b32_e32 v22, 0
	global_store_dwordx2 v22, v[20:21], s[28:29] sc1
	ds_write_b64 v22, v[18:19] offset:30720
.LBB2804_96:
	s_or_b64 exec, exec, s[26:27]
	s_and_b64 exec, exec, s[18:19]
	s_cbranch_execz .LBB2804_98
; %bb.97:
	v_mov_b32_e32 v18, 0
	ds_write_b32 v18, v19 offset:28
.LBB2804_98:
	s_or_b64 exec, exec, s[0:1]
	v_mov_b32_e32 v18, 0
	s_waitcnt lgkmcnt(0)
	s_barrier
	ds_read_b32 v20, v18 offset:28
	s_waitcnt lgkmcnt(0)
	s_barrier
	ds_read_b64 v[18:19], v18 offset:30720
	v_cndmask_b32_e64 v21, v106, v105, s[16:17]
	v_cndmask_b32_e64 v21, v21, 0, s[18:19]
	v_add_u32_e32 v20, v20, v21
	s_branch .LBB2804_109
.LBB2804_99:
                                        ; implicit-def: $vgpr19
                                        ; implicit-def: $vgpr20
	s_cbranch_execz .LBB2804_109
; %bb.100:
	s_waitcnt lgkmcnt(0)
	v_mov_b32_dpp v18, v104 row_shr:1 row_mask:0xf bank_mask:0xf
	v_cndmask_b32_e64 v18, v18, 0, s[14:15]
	v_add_u32_e32 v18, v18, v104
	s_nop 1
	v_mov_b32_dpp v19, v18 row_shr:2 row_mask:0xf bank_mask:0xf
	v_cndmask_b32_e64 v19, 0, v19, s[12:13]
	v_add_u32_e32 v18, v18, v19
	s_nop 1
	;; [unrolled: 4-line block ×4, first 2 shown]
	v_mov_b32_dpp v19, v18 row_bcast:15 row_mask:0xf bank_mask:0xf
	v_cndmask_b32_e64 v19, v19, 0, s[6:7]
	v_add_u32_e32 v18, v18, v19
	s_nop 1
	v_mov_b32_dpp v19, v18 row_bcast:31 row_mask:0xf bank_mask:0xf
	v_cndmask_b32_e64 v19, 0, v19, s[2:3]
	v_add_u32_e32 v18, v18, v19
	s_and_saveexec_b64 s[0:1], s[4:5]
	s_cbranch_execz .LBB2804_102
; %bb.101:
	v_lshlrev_b32_e32 v19, 2, v103
	ds_write_b32 v19, v18
.LBB2804_102:
	s_or_b64 exec, exec, s[0:1]
	v_cmp_gt_u32_e32 vcc, 8, v0
	s_waitcnt lgkmcnt(0)
	s_barrier
	s_and_saveexec_b64 s[0:1], vcc
	s_cbranch_execz .LBB2804_104
; %bb.103:
	v_lshlrev_b32_e32 v19, 2, v0
	ds_read_b32 v20, v19
	v_and_b32_e32 v21, 7, v102
	v_cmp_ne_u32_e32 vcc, 0, v21
	s_waitcnt lgkmcnt(0)
	v_mov_b32_dpp v22, v20 row_shr:1 row_mask:0xf bank_mask:0xf
	v_cndmask_b32_e32 v22, 0, v22, vcc
	v_add_u32_e32 v20, v22, v20
	v_cmp_lt_u32_e32 vcc, 1, v21
	s_nop 0
	v_mov_b32_dpp v22, v20 row_shr:2 row_mask:0xf bank_mask:0xf
	v_cndmask_b32_e32 v22, 0, v22, vcc
	v_add_u32_e32 v20, v20, v22
	v_cmp_lt_u32_e32 vcc, 3, v21
	s_nop 0
	v_mov_b32_dpp v22, v20 row_shr:4 row_mask:0xf bank_mask:0xf
	v_cndmask_b32_e32 v21, 0, v22, vcc
	v_add_u32_e32 v20, v20, v21
	ds_write_b32 v19, v20
.LBB2804_104:
	s_or_b64 exec, exec, s[0:1]
	v_cmp_lt_u32_e32 vcc, 63, v0
	v_mov_b32_e32 v19, 0
	v_mov_b32_e32 v0, 0
	s_waitcnt lgkmcnt(0)
	s_barrier
	s_and_saveexec_b64 s[0:1], vcc
	s_cbranch_execz .LBB2804_106
; %bb.105:
	v_lshl_add_u32 v0, v103, 2, -4
	ds_read_b32 v0, v0
.LBB2804_106:
	s_or_b64 exec, exec, s[0:1]
	v_add_u32_e32 v20, -1, v102
	v_and_b32_e32 v21, 64, v102
	v_cmp_lt_i32_e32 vcc, v20, v21
	s_waitcnt lgkmcnt(0)
	v_add_u32_e32 v18, v0, v18
	v_cndmask_b32_e32 v20, v20, v102, vcc
	v_lshlrev_b32_e32 v20, 2, v20
	ds_bpermute_b32 v20, v20, v18
	ds_read_b32 v18, v19 offset:28
	s_and_saveexec_b64 s[0:1], s[18:19]
	s_cbranch_execz .LBB2804_108
; %bb.107:
	v_mov_b32_e32 v21, 0
	v_mov_b32_e32 v19, 2
	s_waitcnt lgkmcnt(0)
	global_store_dwordx2 v21, v[18:19], s[24:25] offset:512 sc1
.LBB2804_108:
	s_or_b64 exec, exec, s[0:1]
	v_cmp_eq_u32_e32 vcc, 0, v102
	v_mov_b32_e32 v19, 0
	s_waitcnt lgkmcnt(0)
	v_cndmask_b32_e32 v0, v20, v0, vcc
	v_cndmask_b32_e64 v20, v0, 0, s[18:19]
	s_barrier
.LBB2804_109:
	v_add_u32_e32 v0, v20, v74
	v_add_u32_e32 v21, v0, v75
	;; [unrolled: 1-line block ×20, first 2 shown]
	s_waitcnt lgkmcnt(0)
	v_add_u32_e32 v41, v18, v41
	v_sub_u32_e32 v20, v20, v19
	v_and_b32_e32 v73, 1, v73
	v_add_u32_e32 v86, v85, v94
	v_sub_u32_e32 v94, v41, v20
	v_cmp_eq_u32_e32 vcc, 1, v73
	v_sub_u32_e32 v0, v0, v19
	v_add_u32_e32 v87, v86, v95
	v_cndmask_b32_e32 v20, v94, v20, vcc
	v_lshlrev_b32_e32 v20, 1, v20
	ds_write_b16 v20, v16
	v_sub_u32_e32 v16, v41, v0
	v_and_b32_e32 v20, 1, v72
	v_add_u32_e32 v16, 1, v16
	v_cmp_eq_u32_e32 vcc, 1, v20
	v_and_b32_e32 v20, 1, v71
	v_add_u32_e32 v88, v87, v96
	v_cndmask_b32_e32 v0, v16, v0, vcc
	v_lshlrev_b32_e32 v0, 1, v0
	ds_write_b16 v0, v43
	v_sub_u32_e32 v0, v21, v19
	v_sub_u32_e32 v16, v41, v0
	v_add_u32_e32 v16, 2, v16
	v_cmp_eq_u32_e32 vcc, 1, v20
	v_add_u32_e32 v89, v88, v97
	v_add_u32_e32 v90, v89, v98
	v_cndmask_b32_e32 v0, v16, v0, vcc
	v_lshlrev_b32_e32 v0, 1, v0
	ds_write_b16 v0, v17
	v_sub_u32_e32 v0, v22, v19
	v_sub_u32_e32 v16, v41, v0
	v_and_b32_e32 v17, 1, v70
	v_add_u32_e32 v16, 3, v16
	v_cmp_eq_u32_e32 vcc, 1, v17
	v_and_b32_e32 v17, 1, v69
	v_add_u32_e32 v91, v90, v99
	v_cndmask_b32_e32 v0, v16, v0, vcc
	v_lshlrev_b32_e32 v0, 1, v0
	ds_write_b16 v0, v42
	v_sub_u32_e32 v0, v23, v19
	v_sub_u32_e32 v16, v41, v0
	v_add_u32_e32 v16, 4, v16
	v_cmp_eq_u32_e32 vcc, 1, v17
	v_add_u32_e32 v92, v91, v100
	v_add_u32_e32 v93, v92, v101
	v_cndmask_b32_e32 v0, v16, v0, vcc
	v_lshlrev_b32_e32 v0, 1, v0
	ds_write_b16 v0, v14
	v_sub_u32_e32 v0, v24, v19
	v_sub_u32_e32 v14, v41, v0
	v_and_b32_e32 v16, 1, v68
	v_add_u32_e32 v14, 5, v14
	v_cmp_eq_u32_e32 vcc, 1, v16
	v_and_b32_e32 v16, 1, v67
	s_and_b64 s[0:1], s[18:19], s[22:23]
	v_cndmask_b32_e32 v0, v14, v0, vcc
	v_lshlrev_b32_e32 v0, 1, v0
	ds_write_b16 v0, v40
	v_sub_u32_e32 v0, v25, v19
	v_sub_u32_e32 v14, v41, v0
	v_add_u32_e32 v14, 6, v14
	v_cmp_eq_u32_e32 vcc, 1, v16
	s_nop 1
	v_cndmask_b32_e32 v0, v14, v0, vcc
	v_lshlrev_b32_e32 v0, 1, v0
	ds_write_b16 v0, v15
	v_sub_u32_e32 v0, v26, v19
	v_sub_u32_e32 v14, v41, v0
	v_and_b32_e32 v15, 1, v66
	v_add_u32_e32 v14, 7, v14
	v_cmp_eq_u32_e32 vcc, 1, v15
	v_and_b32_e32 v15, 1, v65
	s_nop 0
	v_cndmask_b32_e32 v0, v14, v0, vcc
	v_lshlrev_b32_e32 v0, 1, v0
	ds_write_b16 v0, v39
	v_sub_u32_e32 v0, v27, v19
	v_sub_u32_e32 v14, v41, v0
	v_add_u32_e32 v14, 8, v14
	v_cmp_eq_u32_e32 vcc, 1, v15
	s_nop 1
	v_cndmask_b32_e32 v0, v14, v0, vcc
	v_lshlrev_b32_e32 v0, 1, v0
	ds_write_b16 v0, v12
	v_sub_u32_e32 v0, v74, v19
	v_sub_u32_e32 v12, v41, v0
	v_and_b32_e32 v14, 1, v64
	v_add_u32_e32 v12, 9, v12
	v_cmp_eq_u32_e32 vcc, 1, v14
	v_and_b32_e32 v14, 1, v63
	s_nop 0
	;; [unrolled: 18-line block ×11, first 2 shown]
	v_cndmask_b32_e32 v0, v4, v0, vcc
	v_lshlrev_b32_e32 v0, 1, v0
	ds_write_b16 v0, v29
	v_sub_u32_e32 v0, v93, v19
	v_sub_u32_e32 v4, v41, v0
	v_add_u32_e32 v4, 28, v4
	v_cmp_eq_u32_e32 vcc, 1, v5
	v_and_b32_e32 v5, 1, v45
	s_nop 0
	v_cndmask_b32_e32 v0, v4, v0, vcc
	v_lshlrev_b32_e32 v0, 1, v0
	ds_write_b16 v0, v28
	v_sub_u32_sdwa v0, v44, v19 dst_sel:DWORD dst_unused:UNUSED_PAD src0_sel:BYTE_0 src1_sel:DWORD
	v_add_u32_e32 v0, v93, v0
	v_sub_u32_e32 v4, v41, v0
	v_add_u32_e32 v4, 29, v4
	v_cmp_eq_u32_e32 vcc, 1, v5
	s_nop 1
	v_cndmask_b32_e32 v0, v4, v0, vcc
	v_lshlrev_b32_e32 v0, 1, v0
	ds_write_b16 v0, v1
	s_waitcnt lgkmcnt(0)
	s_barrier
	s_and_saveexec_b64 s[2:3], s[0:1]
	s_cbranch_execz .LBB2804_111
; %bb.110:
	v_mov_b32_e32 v1, 0
	v_mov_b32_e32 v0, v18
	s_waitcnt vmcnt(0)
	v_lshl_add_u64 v[2:3], v[2:3], 0, v[0:1]
	v_mov_b32_e32 v0, v19
	v_lshl_add_u64 v[2:3], v[2:3], 0, v[0:1]
	global_store_dwordx2 v1, v[2:3], s[20:21]
.LBB2804_111:
	s_endpgm
	.section	.rodata,"a",@progbits
	.p2align	6, 0x0
	.amdhsa_kernel _ZN7rocprim17ROCPRIM_400000_NS6detail17trampoline_kernelINS0_14default_configENS1_25partition_config_selectorILNS1_17partition_subalgoE0EsNS0_10empty_typeEbEEZZNS1_14partition_implILS5_0ELb0ES3_jN6thrust23THRUST_200600_302600_NS6detail15normal_iteratorINSA_10device_ptrIsEEEEPS6_SG_NS0_5tupleIJNSA_16discard_iteratorINSA_11use_defaultEEESK_EEENSH_IJSG_SG_EEES6_PlJ7is_evenIsEEEE10hipError_tPvRmT3_T4_T5_T6_T7_T9_mT8_P12ihipStream_tbDpT10_ENKUlT_T0_E_clISt17integral_constantIbLb0EES18_IbLb1EEEEDaS14_S15_EUlS14_E_NS1_11comp_targetILNS1_3genE5ELNS1_11target_archE942ELNS1_3gpuE9ELNS1_3repE0EEENS1_30default_config_static_selectorELNS0_4arch9wavefront6targetE1EEEvT1_
		.amdhsa_group_segment_fixed_size 30728
		.amdhsa_private_segment_fixed_size 0
		.amdhsa_kernarg_size 152
		.amdhsa_user_sgpr_count 2
		.amdhsa_user_sgpr_dispatch_ptr 0
		.amdhsa_user_sgpr_queue_ptr 0
		.amdhsa_user_sgpr_kernarg_segment_ptr 1
		.amdhsa_user_sgpr_dispatch_id 0
		.amdhsa_user_sgpr_kernarg_preload_length 0
		.amdhsa_user_sgpr_kernarg_preload_offset 0
		.amdhsa_user_sgpr_private_segment_size 0
		.amdhsa_uses_dynamic_stack 0
		.amdhsa_enable_private_segment 0
		.amdhsa_system_sgpr_workgroup_id_x 1
		.amdhsa_system_sgpr_workgroup_id_y 0
		.amdhsa_system_sgpr_workgroup_id_z 0
		.amdhsa_system_sgpr_workgroup_info 0
		.amdhsa_system_vgpr_workitem_id 0
		.amdhsa_next_free_vgpr 121
		.amdhsa_next_free_sgpr 36
		.amdhsa_accum_offset 124
		.amdhsa_reserve_vcc 1
		.amdhsa_float_round_mode_32 0
		.amdhsa_float_round_mode_16_64 0
		.amdhsa_float_denorm_mode_32 3
		.amdhsa_float_denorm_mode_16_64 3
		.amdhsa_dx10_clamp 1
		.amdhsa_ieee_mode 1
		.amdhsa_fp16_overflow 0
		.amdhsa_tg_split 0
		.amdhsa_exception_fp_ieee_invalid_op 0
		.amdhsa_exception_fp_denorm_src 0
		.amdhsa_exception_fp_ieee_div_zero 0
		.amdhsa_exception_fp_ieee_overflow 0
		.amdhsa_exception_fp_ieee_underflow 0
		.amdhsa_exception_fp_ieee_inexact 0
		.amdhsa_exception_int_div_zero 0
	.end_amdhsa_kernel
	.section	.text._ZN7rocprim17ROCPRIM_400000_NS6detail17trampoline_kernelINS0_14default_configENS1_25partition_config_selectorILNS1_17partition_subalgoE0EsNS0_10empty_typeEbEEZZNS1_14partition_implILS5_0ELb0ES3_jN6thrust23THRUST_200600_302600_NS6detail15normal_iteratorINSA_10device_ptrIsEEEEPS6_SG_NS0_5tupleIJNSA_16discard_iteratorINSA_11use_defaultEEESK_EEENSH_IJSG_SG_EEES6_PlJ7is_evenIsEEEE10hipError_tPvRmT3_T4_T5_T6_T7_T9_mT8_P12ihipStream_tbDpT10_ENKUlT_T0_E_clISt17integral_constantIbLb0EES18_IbLb1EEEEDaS14_S15_EUlS14_E_NS1_11comp_targetILNS1_3genE5ELNS1_11target_archE942ELNS1_3gpuE9ELNS1_3repE0EEENS1_30default_config_static_selectorELNS0_4arch9wavefront6targetE1EEEvT1_,"axG",@progbits,_ZN7rocprim17ROCPRIM_400000_NS6detail17trampoline_kernelINS0_14default_configENS1_25partition_config_selectorILNS1_17partition_subalgoE0EsNS0_10empty_typeEbEEZZNS1_14partition_implILS5_0ELb0ES3_jN6thrust23THRUST_200600_302600_NS6detail15normal_iteratorINSA_10device_ptrIsEEEEPS6_SG_NS0_5tupleIJNSA_16discard_iteratorINSA_11use_defaultEEESK_EEENSH_IJSG_SG_EEES6_PlJ7is_evenIsEEEE10hipError_tPvRmT3_T4_T5_T6_T7_T9_mT8_P12ihipStream_tbDpT10_ENKUlT_T0_E_clISt17integral_constantIbLb0EES18_IbLb1EEEEDaS14_S15_EUlS14_E_NS1_11comp_targetILNS1_3genE5ELNS1_11target_archE942ELNS1_3gpuE9ELNS1_3repE0EEENS1_30default_config_static_selectorELNS0_4arch9wavefront6targetE1EEEvT1_,comdat
.Lfunc_end2804:
	.size	_ZN7rocprim17ROCPRIM_400000_NS6detail17trampoline_kernelINS0_14default_configENS1_25partition_config_selectorILNS1_17partition_subalgoE0EsNS0_10empty_typeEbEEZZNS1_14partition_implILS5_0ELb0ES3_jN6thrust23THRUST_200600_302600_NS6detail15normal_iteratorINSA_10device_ptrIsEEEEPS6_SG_NS0_5tupleIJNSA_16discard_iteratorINSA_11use_defaultEEESK_EEENSH_IJSG_SG_EEES6_PlJ7is_evenIsEEEE10hipError_tPvRmT3_T4_T5_T6_T7_T9_mT8_P12ihipStream_tbDpT10_ENKUlT_T0_E_clISt17integral_constantIbLb0EES18_IbLb1EEEEDaS14_S15_EUlS14_E_NS1_11comp_targetILNS1_3genE5ELNS1_11target_archE942ELNS1_3gpuE9ELNS1_3repE0EEENS1_30default_config_static_selectorELNS0_4arch9wavefront6targetE1EEEvT1_, .Lfunc_end2804-_ZN7rocprim17ROCPRIM_400000_NS6detail17trampoline_kernelINS0_14default_configENS1_25partition_config_selectorILNS1_17partition_subalgoE0EsNS0_10empty_typeEbEEZZNS1_14partition_implILS5_0ELb0ES3_jN6thrust23THRUST_200600_302600_NS6detail15normal_iteratorINSA_10device_ptrIsEEEEPS6_SG_NS0_5tupleIJNSA_16discard_iteratorINSA_11use_defaultEEESK_EEENSH_IJSG_SG_EEES6_PlJ7is_evenIsEEEE10hipError_tPvRmT3_T4_T5_T6_T7_T9_mT8_P12ihipStream_tbDpT10_ENKUlT_T0_E_clISt17integral_constantIbLb0EES18_IbLb1EEEEDaS14_S15_EUlS14_E_NS1_11comp_targetILNS1_3genE5ELNS1_11target_archE942ELNS1_3gpuE9ELNS1_3repE0EEENS1_30default_config_static_selectorELNS0_4arch9wavefront6targetE1EEEvT1_
                                        ; -- End function
	.section	.AMDGPU.csdata,"",@progbits
; Kernel info:
; codeLenInByte = 7320
; NumSgprs: 42
; NumVgprs: 121
; NumAgprs: 0
; TotalNumVgprs: 121
; ScratchSize: 0
; MemoryBound: 0
; FloatMode: 240
; IeeeMode: 1
; LDSByteSize: 30728 bytes/workgroup (compile time only)
; SGPRBlocks: 5
; VGPRBlocks: 15
; NumSGPRsForWavesPerEU: 42
; NumVGPRsForWavesPerEU: 121
; AccumOffset: 124
; Occupancy: 4
; WaveLimiterHint : 1
; COMPUTE_PGM_RSRC2:SCRATCH_EN: 0
; COMPUTE_PGM_RSRC2:USER_SGPR: 2
; COMPUTE_PGM_RSRC2:TRAP_HANDLER: 0
; COMPUTE_PGM_RSRC2:TGID_X_EN: 1
; COMPUTE_PGM_RSRC2:TGID_Y_EN: 0
; COMPUTE_PGM_RSRC2:TGID_Z_EN: 0
; COMPUTE_PGM_RSRC2:TIDIG_COMP_CNT: 0
; COMPUTE_PGM_RSRC3_GFX90A:ACCUM_OFFSET: 30
; COMPUTE_PGM_RSRC3_GFX90A:TG_SPLIT: 0
	.section	.text._ZN7rocprim17ROCPRIM_400000_NS6detail17trampoline_kernelINS0_14default_configENS1_25partition_config_selectorILNS1_17partition_subalgoE0EsNS0_10empty_typeEbEEZZNS1_14partition_implILS5_0ELb0ES3_jN6thrust23THRUST_200600_302600_NS6detail15normal_iteratorINSA_10device_ptrIsEEEEPS6_SG_NS0_5tupleIJNSA_16discard_iteratorINSA_11use_defaultEEESK_EEENSH_IJSG_SG_EEES6_PlJ7is_evenIsEEEE10hipError_tPvRmT3_T4_T5_T6_T7_T9_mT8_P12ihipStream_tbDpT10_ENKUlT_T0_E_clISt17integral_constantIbLb0EES18_IbLb1EEEEDaS14_S15_EUlS14_E_NS1_11comp_targetILNS1_3genE4ELNS1_11target_archE910ELNS1_3gpuE8ELNS1_3repE0EEENS1_30default_config_static_selectorELNS0_4arch9wavefront6targetE1EEEvT1_,"axG",@progbits,_ZN7rocprim17ROCPRIM_400000_NS6detail17trampoline_kernelINS0_14default_configENS1_25partition_config_selectorILNS1_17partition_subalgoE0EsNS0_10empty_typeEbEEZZNS1_14partition_implILS5_0ELb0ES3_jN6thrust23THRUST_200600_302600_NS6detail15normal_iteratorINSA_10device_ptrIsEEEEPS6_SG_NS0_5tupleIJNSA_16discard_iteratorINSA_11use_defaultEEESK_EEENSH_IJSG_SG_EEES6_PlJ7is_evenIsEEEE10hipError_tPvRmT3_T4_T5_T6_T7_T9_mT8_P12ihipStream_tbDpT10_ENKUlT_T0_E_clISt17integral_constantIbLb0EES18_IbLb1EEEEDaS14_S15_EUlS14_E_NS1_11comp_targetILNS1_3genE4ELNS1_11target_archE910ELNS1_3gpuE8ELNS1_3repE0EEENS1_30default_config_static_selectorELNS0_4arch9wavefront6targetE1EEEvT1_,comdat
	.protected	_ZN7rocprim17ROCPRIM_400000_NS6detail17trampoline_kernelINS0_14default_configENS1_25partition_config_selectorILNS1_17partition_subalgoE0EsNS0_10empty_typeEbEEZZNS1_14partition_implILS5_0ELb0ES3_jN6thrust23THRUST_200600_302600_NS6detail15normal_iteratorINSA_10device_ptrIsEEEEPS6_SG_NS0_5tupleIJNSA_16discard_iteratorINSA_11use_defaultEEESK_EEENSH_IJSG_SG_EEES6_PlJ7is_evenIsEEEE10hipError_tPvRmT3_T4_T5_T6_T7_T9_mT8_P12ihipStream_tbDpT10_ENKUlT_T0_E_clISt17integral_constantIbLb0EES18_IbLb1EEEEDaS14_S15_EUlS14_E_NS1_11comp_targetILNS1_3genE4ELNS1_11target_archE910ELNS1_3gpuE8ELNS1_3repE0EEENS1_30default_config_static_selectorELNS0_4arch9wavefront6targetE1EEEvT1_ ; -- Begin function _ZN7rocprim17ROCPRIM_400000_NS6detail17trampoline_kernelINS0_14default_configENS1_25partition_config_selectorILNS1_17partition_subalgoE0EsNS0_10empty_typeEbEEZZNS1_14partition_implILS5_0ELb0ES3_jN6thrust23THRUST_200600_302600_NS6detail15normal_iteratorINSA_10device_ptrIsEEEEPS6_SG_NS0_5tupleIJNSA_16discard_iteratorINSA_11use_defaultEEESK_EEENSH_IJSG_SG_EEES6_PlJ7is_evenIsEEEE10hipError_tPvRmT3_T4_T5_T6_T7_T9_mT8_P12ihipStream_tbDpT10_ENKUlT_T0_E_clISt17integral_constantIbLb0EES18_IbLb1EEEEDaS14_S15_EUlS14_E_NS1_11comp_targetILNS1_3genE4ELNS1_11target_archE910ELNS1_3gpuE8ELNS1_3repE0EEENS1_30default_config_static_selectorELNS0_4arch9wavefront6targetE1EEEvT1_
	.globl	_ZN7rocprim17ROCPRIM_400000_NS6detail17trampoline_kernelINS0_14default_configENS1_25partition_config_selectorILNS1_17partition_subalgoE0EsNS0_10empty_typeEbEEZZNS1_14partition_implILS5_0ELb0ES3_jN6thrust23THRUST_200600_302600_NS6detail15normal_iteratorINSA_10device_ptrIsEEEEPS6_SG_NS0_5tupleIJNSA_16discard_iteratorINSA_11use_defaultEEESK_EEENSH_IJSG_SG_EEES6_PlJ7is_evenIsEEEE10hipError_tPvRmT3_T4_T5_T6_T7_T9_mT8_P12ihipStream_tbDpT10_ENKUlT_T0_E_clISt17integral_constantIbLb0EES18_IbLb1EEEEDaS14_S15_EUlS14_E_NS1_11comp_targetILNS1_3genE4ELNS1_11target_archE910ELNS1_3gpuE8ELNS1_3repE0EEENS1_30default_config_static_selectorELNS0_4arch9wavefront6targetE1EEEvT1_
	.p2align	8
	.type	_ZN7rocprim17ROCPRIM_400000_NS6detail17trampoline_kernelINS0_14default_configENS1_25partition_config_selectorILNS1_17partition_subalgoE0EsNS0_10empty_typeEbEEZZNS1_14partition_implILS5_0ELb0ES3_jN6thrust23THRUST_200600_302600_NS6detail15normal_iteratorINSA_10device_ptrIsEEEEPS6_SG_NS0_5tupleIJNSA_16discard_iteratorINSA_11use_defaultEEESK_EEENSH_IJSG_SG_EEES6_PlJ7is_evenIsEEEE10hipError_tPvRmT3_T4_T5_T6_T7_T9_mT8_P12ihipStream_tbDpT10_ENKUlT_T0_E_clISt17integral_constantIbLb0EES18_IbLb1EEEEDaS14_S15_EUlS14_E_NS1_11comp_targetILNS1_3genE4ELNS1_11target_archE910ELNS1_3gpuE8ELNS1_3repE0EEENS1_30default_config_static_selectorELNS0_4arch9wavefront6targetE1EEEvT1_,@function
_ZN7rocprim17ROCPRIM_400000_NS6detail17trampoline_kernelINS0_14default_configENS1_25partition_config_selectorILNS1_17partition_subalgoE0EsNS0_10empty_typeEbEEZZNS1_14partition_implILS5_0ELb0ES3_jN6thrust23THRUST_200600_302600_NS6detail15normal_iteratorINSA_10device_ptrIsEEEEPS6_SG_NS0_5tupleIJNSA_16discard_iteratorINSA_11use_defaultEEESK_EEENSH_IJSG_SG_EEES6_PlJ7is_evenIsEEEE10hipError_tPvRmT3_T4_T5_T6_T7_T9_mT8_P12ihipStream_tbDpT10_ENKUlT_T0_E_clISt17integral_constantIbLb0EES18_IbLb1EEEEDaS14_S15_EUlS14_E_NS1_11comp_targetILNS1_3genE4ELNS1_11target_archE910ELNS1_3gpuE8ELNS1_3repE0EEENS1_30default_config_static_selectorELNS0_4arch9wavefront6targetE1EEEvT1_: ; @_ZN7rocprim17ROCPRIM_400000_NS6detail17trampoline_kernelINS0_14default_configENS1_25partition_config_selectorILNS1_17partition_subalgoE0EsNS0_10empty_typeEbEEZZNS1_14partition_implILS5_0ELb0ES3_jN6thrust23THRUST_200600_302600_NS6detail15normal_iteratorINSA_10device_ptrIsEEEEPS6_SG_NS0_5tupleIJNSA_16discard_iteratorINSA_11use_defaultEEESK_EEENSH_IJSG_SG_EEES6_PlJ7is_evenIsEEEE10hipError_tPvRmT3_T4_T5_T6_T7_T9_mT8_P12ihipStream_tbDpT10_ENKUlT_T0_E_clISt17integral_constantIbLb0EES18_IbLb1EEEEDaS14_S15_EUlS14_E_NS1_11comp_targetILNS1_3genE4ELNS1_11target_archE910ELNS1_3gpuE8ELNS1_3repE0EEENS1_30default_config_static_selectorELNS0_4arch9wavefront6targetE1EEEvT1_
; %bb.0:
	.section	.rodata,"a",@progbits
	.p2align	6, 0x0
	.amdhsa_kernel _ZN7rocprim17ROCPRIM_400000_NS6detail17trampoline_kernelINS0_14default_configENS1_25partition_config_selectorILNS1_17partition_subalgoE0EsNS0_10empty_typeEbEEZZNS1_14partition_implILS5_0ELb0ES3_jN6thrust23THRUST_200600_302600_NS6detail15normal_iteratorINSA_10device_ptrIsEEEEPS6_SG_NS0_5tupleIJNSA_16discard_iteratorINSA_11use_defaultEEESK_EEENSH_IJSG_SG_EEES6_PlJ7is_evenIsEEEE10hipError_tPvRmT3_T4_T5_T6_T7_T9_mT8_P12ihipStream_tbDpT10_ENKUlT_T0_E_clISt17integral_constantIbLb0EES18_IbLb1EEEEDaS14_S15_EUlS14_E_NS1_11comp_targetILNS1_3genE4ELNS1_11target_archE910ELNS1_3gpuE8ELNS1_3repE0EEENS1_30default_config_static_selectorELNS0_4arch9wavefront6targetE1EEEvT1_
		.amdhsa_group_segment_fixed_size 0
		.amdhsa_private_segment_fixed_size 0
		.amdhsa_kernarg_size 152
		.amdhsa_user_sgpr_count 2
		.amdhsa_user_sgpr_dispatch_ptr 0
		.amdhsa_user_sgpr_queue_ptr 0
		.amdhsa_user_sgpr_kernarg_segment_ptr 1
		.amdhsa_user_sgpr_dispatch_id 0
		.amdhsa_user_sgpr_kernarg_preload_length 0
		.amdhsa_user_sgpr_kernarg_preload_offset 0
		.amdhsa_user_sgpr_private_segment_size 0
		.amdhsa_uses_dynamic_stack 0
		.amdhsa_enable_private_segment 0
		.amdhsa_system_sgpr_workgroup_id_x 1
		.amdhsa_system_sgpr_workgroup_id_y 0
		.amdhsa_system_sgpr_workgroup_id_z 0
		.amdhsa_system_sgpr_workgroup_info 0
		.amdhsa_system_vgpr_workitem_id 0
		.amdhsa_next_free_vgpr 1
		.amdhsa_next_free_sgpr 0
		.amdhsa_accum_offset 4
		.amdhsa_reserve_vcc 0
		.amdhsa_float_round_mode_32 0
		.amdhsa_float_round_mode_16_64 0
		.amdhsa_float_denorm_mode_32 3
		.amdhsa_float_denorm_mode_16_64 3
		.amdhsa_dx10_clamp 1
		.amdhsa_ieee_mode 1
		.amdhsa_fp16_overflow 0
		.amdhsa_tg_split 0
		.amdhsa_exception_fp_ieee_invalid_op 0
		.amdhsa_exception_fp_denorm_src 0
		.amdhsa_exception_fp_ieee_div_zero 0
		.amdhsa_exception_fp_ieee_overflow 0
		.amdhsa_exception_fp_ieee_underflow 0
		.amdhsa_exception_fp_ieee_inexact 0
		.amdhsa_exception_int_div_zero 0
	.end_amdhsa_kernel
	.section	.text._ZN7rocprim17ROCPRIM_400000_NS6detail17trampoline_kernelINS0_14default_configENS1_25partition_config_selectorILNS1_17partition_subalgoE0EsNS0_10empty_typeEbEEZZNS1_14partition_implILS5_0ELb0ES3_jN6thrust23THRUST_200600_302600_NS6detail15normal_iteratorINSA_10device_ptrIsEEEEPS6_SG_NS0_5tupleIJNSA_16discard_iteratorINSA_11use_defaultEEESK_EEENSH_IJSG_SG_EEES6_PlJ7is_evenIsEEEE10hipError_tPvRmT3_T4_T5_T6_T7_T9_mT8_P12ihipStream_tbDpT10_ENKUlT_T0_E_clISt17integral_constantIbLb0EES18_IbLb1EEEEDaS14_S15_EUlS14_E_NS1_11comp_targetILNS1_3genE4ELNS1_11target_archE910ELNS1_3gpuE8ELNS1_3repE0EEENS1_30default_config_static_selectorELNS0_4arch9wavefront6targetE1EEEvT1_,"axG",@progbits,_ZN7rocprim17ROCPRIM_400000_NS6detail17trampoline_kernelINS0_14default_configENS1_25partition_config_selectorILNS1_17partition_subalgoE0EsNS0_10empty_typeEbEEZZNS1_14partition_implILS5_0ELb0ES3_jN6thrust23THRUST_200600_302600_NS6detail15normal_iteratorINSA_10device_ptrIsEEEEPS6_SG_NS0_5tupleIJNSA_16discard_iteratorINSA_11use_defaultEEESK_EEENSH_IJSG_SG_EEES6_PlJ7is_evenIsEEEE10hipError_tPvRmT3_T4_T5_T6_T7_T9_mT8_P12ihipStream_tbDpT10_ENKUlT_T0_E_clISt17integral_constantIbLb0EES18_IbLb1EEEEDaS14_S15_EUlS14_E_NS1_11comp_targetILNS1_3genE4ELNS1_11target_archE910ELNS1_3gpuE8ELNS1_3repE0EEENS1_30default_config_static_selectorELNS0_4arch9wavefront6targetE1EEEvT1_,comdat
.Lfunc_end2805:
	.size	_ZN7rocprim17ROCPRIM_400000_NS6detail17trampoline_kernelINS0_14default_configENS1_25partition_config_selectorILNS1_17partition_subalgoE0EsNS0_10empty_typeEbEEZZNS1_14partition_implILS5_0ELb0ES3_jN6thrust23THRUST_200600_302600_NS6detail15normal_iteratorINSA_10device_ptrIsEEEEPS6_SG_NS0_5tupleIJNSA_16discard_iteratorINSA_11use_defaultEEESK_EEENSH_IJSG_SG_EEES6_PlJ7is_evenIsEEEE10hipError_tPvRmT3_T4_T5_T6_T7_T9_mT8_P12ihipStream_tbDpT10_ENKUlT_T0_E_clISt17integral_constantIbLb0EES18_IbLb1EEEEDaS14_S15_EUlS14_E_NS1_11comp_targetILNS1_3genE4ELNS1_11target_archE910ELNS1_3gpuE8ELNS1_3repE0EEENS1_30default_config_static_selectorELNS0_4arch9wavefront6targetE1EEEvT1_, .Lfunc_end2805-_ZN7rocprim17ROCPRIM_400000_NS6detail17trampoline_kernelINS0_14default_configENS1_25partition_config_selectorILNS1_17partition_subalgoE0EsNS0_10empty_typeEbEEZZNS1_14partition_implILS5_0ELb0ES3_jN6thrust23THRUST_200600_302600_NS6detail15normal_iteratorINSA_10device_ptrIsEEEEPS6_SG_NS0_5tupleIJNSA_16discard_iteratorINSA_11use_defaultEEESK_EEENSH_IJSG_SG_EEES6_PlJ7is_evenIsEEEE10hipError_tPvRmT3_T4_T5_T6_T7_T9_mT8_P12ihipStream_tbDpT10_ENKUlT_T0_E_clISt17integral_constantIbLb0EES18_IbLb1EEEEDaS14_S15_EUlS14_E_NS1_11comp_targetILNS1_3genE4ELNS1_11target_archE910ELNS1_3gpuE8ELNS1_3repE0EEENS1_30default_config_static_selectorELNS0_4arch9wavefront6targetE1EEEvT1_
                                        ; -- End function
	.section	.AMDGPU.csdata,"",@progbits
; Kernel info:
; codeLenInByte = 0
; NumSgprs: 6
; NumVgprs: 0
; NumAgprs: 0
; TotalNumVgprs: 0
; ScratchSize: 0
; MemoryBound: 0
; FloatMode: 240
; IeeeMode: 1
; LDSByteSize: 0 bytes/workgroup (compile time only)
; SGPRBlocks: 0
; VGPRBlocks: 0
; NumSGPRsForWavesPerEU: 6
; NumVGPRsForWavesPerEU: 1
; AccumOffset: 4
; Occupancy: 8
; WaveLimiterHint : 0
; COMPUTE_PGM_RSRC2:SCRATCH_EN: 0
; COMPUTE_PGM_RSRC2:USER_SGPR: 2
; COMPUTE_PGM_RSRC2:TRAP_HANDLER: 0
; COMPUTE_PGM_RSRC2:TGID_X_EN: 1
; COMPUTE_PGM_RSRC2:TGID_Y_EN: 0
; COMPUTE_PGM_RSRC2:TGID_Z_EN: 0
; COMPUTE_PGM_RSRC2:TIDIG_COMP_CNT: 0
; COMPUTE_PGM_RSRC3_GFX90A:ACCUM_OFFSET: 0
; COMPUTE_PGM_RSRC3_GFX90A:TG_SPLIT: 0
	.section	.text._ZN7rocprim17ROCPRIM_400000_NS6detail17trampoline_kernelINS0_14default_configENS1_25partition_config_selectorILNS1_17partition_subalgoE0EsNS0_10empty_typeEbEEZZNS1_14partition_implILS5_0ELb0ES3_jN6thrust23THRUST_200600_302600_NS6detail15normal_iteratorINSA_10device_ptrIsEEEEPS6_SG_NS0_5tupleIJNSA_16discard_iteratorINSA_11use_defaultEEESK_EEENSH_IJSG_SG_EEES6_PlJ7is_evenIsEEEE10hipError_tPvRmT3_T4_T5_T6_T7_T9_mT8_P12ihipStream_tbDpT10_ENKUlT_T0_E_clISt17integral_constantIbLb0EES18_IbLb1EEEEDaS14_S15_EUlS14_E_NS1_11comp_targetILNS1_3genE3ELNS1_11target_archE908ELNS1_3gpuE7ELNS1_3repE0EEENS1_30default_config_static_selectorELNS0_4arch9wavefront6targetE1EEEvT1_,"axG",@progbits,_ZN7rocprim17ROCPRIM_400000_NS6detail17trampoline_kernelINS0_14default_configENS1_25partition_config_selectorILNS1_17partition_subalgoE0EsNS0_10empty_typeEbEEZZNS1_14partition_implILS5_0ELb0ES3_jN6thrust23THRUST_200600_302600_NS6detail15normal_iteratorINSA_10device_ptrIsEEEEPS6_SG_NS0_5tupleIJNSA_16discard_iteratorINSA_11use_defaultEEESK_EEENSH_IJSG_SG_EEES6_PlJ7is_evenIsEEEE10hipError_tPvRmT3_T4_T5_T6_T7_T9_mT8_P12ihipStream_tbDpT10_ENKUlT_T0_E_clISt17integral_constantIbLb0EES18_IbLb1EEEEDaS14_S15_EUlS14_E_NS1_11comp_targetILNS1_3genE3ELNS1_11target_archE908ELNS1_3gpuE7ELNS1_3repE0EEENS1_30default_config_static_selectorELNS0_4arch9wavefront6targetE1EEEvT1_,comdat
	.protected	_ZN7rocprim17ROCPRIM_400000_NS6detail17trampoline_kernelINS0_14default_configENS1_25partition_config_selectorILNS1_17partition_subalgoE0EsNS0_10empty_typeEbEEZZNS1_14partition_implILS5_0ELb0ES3_jN6thrust23THRUST_200600_302600_NS6detail15normal_iteratorINSA_10device_ptrIsEEEEPS6_SG_NS0_5tupleIJNSA_16discard_iteratorINSA_11use_defaultEEESK_EEENSH_IJSG_SG_EEES6_PlJ7is_evenIsEEEE10hipError_tPvRmT3_T4_T5_T6_T7_T9_mT8_P12ihipStream_tbDpT10_ENKUlT_T0_E_clISt17integral_constantIbLb0EES18_IbLb1EEEEDaS14_S15_EUlS14_E_NS1_11comp_targetILNS1_3genE3ELNS1_11target_archE908ELNS1_3gpuE7ELNS1_3repE0EEENS1_30default_config_static_selectorELNS0_4arch9wavefront6targetE1EEEvT1_ ; -- Begin function _ZN7rocprim17ROCPRIM_400000_NS6detail17trampoline_kernelINS0_14default_configENS1_25partition_config_selectorILNS1_17partition_subalgoE0EsNS0_10empty_typeEbEEZZNS1_14partition_implILS5_0ELb0ES3_jN6thrust23THRUST_200600_302600_NS6detail15normal_iteratorINSA_10device_ptrIsEEEEPS6_SG_NS0_5tupleIJNSA_16discard_iteratorINSA_11use_defaultEEESK_EEENSH_IJSG_SG_EEES6_PlJ7is_evenIsEEEE10hipError_tPvRmT3_T4_T5_T6_T7_T9_mT8_P12ihipStream_tbDpT10_ENKUlT_T0_E_clISt17integral_constantIbLb0EES18_IbLb1EEEEDaS14_S15_EUlS14_E_NS1_11comp_targetILNS1_3genE3ELNS1_11target_archE908ELNS1_3gpuE7ELNS1_3repE0EEENS1_30default_config_static_selectorELNS0_4arch9wavefront6targetE1EEEvT1_
	.globl	_ZN7rocprim17ROCPRIM_400000_NS6detail17trampoline_kernelINS0_14default_configENS1_25partition_config_selectorILNS1_17partition_subalgoE0EsNS0_10empty_typeEbEEZZNS1_14partition_implILS5_0ELb0ES3_jN6thrust23THRUST_200600_302600_NS6detail15normal_iteratorINSA_10device_ptrIsEEEEPS6_SG_NS0_5tupleIJNSA_16discard_iteratorINSA_11use_defaultEEESK_EEENSH_IJSG_SG_EEES6_PlJ7is_evenIsEEEE10hipError_tPvRmT3_T4_T5_T6_T7_T9_mT8_P12ihipStream_tbDpT10_ENKUlT_T0_E_clISt17integral_constantIbLb0EES18_IbLb1EEEEDaS14_S15_EUlS14_E_NS1_11comp_targetILNS1_3genE3ELNS1_11target_archE908ELNS1_3gpuE7ELNS1_3repE0EEENS1_30default_config_static_selectorELNS0_4arch9wavefront6targetE1EEEvT1_
	.p2align	8
	.type	_ZN7rocprim17ROCPRIM_400000_NS6detail17trampoline_kernelINS0_14default_configENS1_25partition_config_selectorILNS1_17partition_subalgoE0EsNS0_10empty_typeEbEEZZNS1_14partition_implILS5_0ELb0ES3_jN6thrust23THRUST_200600_302600_NS6detail15normal_iteratorINSA_10device_ptrIsEEEEPS6_SG_NS0_5tupleIJNSA_16discard_iteratorINSA_11use_defaultEEESK_EEENSH_IJSG_SG_EEES6_PlJ7is_evenIsEEEE10hipError_tPvRmT3_T4_T5_T6_T7_T9_mT8_P12ihipStream_tbDpT10_ENKUlT_T0_E_clISt17integral_constantIbLb0EES18_IbLb1EEEEDaS14_S15_EUlS14_E_NS1_11comp_targetILNS1_3genE3ELNS1_11target_archE908ELNS1_3gpuE7ELNS1_3repE0EEENS1_30default_config_static_selectorELNS0_4arch9wavefront6targetE1EEEvT1_,@function
_ZN7rocprim17ROCPRIM_400000_NS6detail17trampoline_kernelINS0_14default_configENS1_25partition_config_selectorILNS1_17partition_subalgoE0EsNS0_10empty_typeEbEEZZNS1_14partition_implILS5_0ELb0ES3_jN6thrust23THRUST_200600_302600_NS6detail15normal_iteratorINSA_10device_ptrIsEEEEPS6_SG_NS0_5tupleIJNSA_16discard_iteratorINSA_11use_defaultEEESK_EEENSH_IJSG_SG_EEES6_PlJ7is_evenIsEEEE10hipError_tPvRmT3_T4_T5_T6_T7_T9_mT8_P12ihipStream_tbDpT10_ENKUlT_T0_E_clISt17integral_constantIbLb0EES18_IbLb1EEEEDaS14_S15_EUlS14_E_NS1_11comp_targetILNS1_3genE3ELNS1_11target_archE908ELNS1_3gpuE7ELNS1_3repE0EEENS1_30default_config_static_selectorELNS0_4arch9wavefront6targetE1EEEvT1_: ; @_ZN7rocprim17ROCPRIM_400000_NS6detail17trampoline_kernelINS0_14default_configENS1_25partition_config_selectorILNS1_17partition_subalgoE0EsNS0_10empty_typeEbEEZZNS1_14partition_implILS5_0ELb0ES3_jN6thrust23THRUST_200600_302600_NS6detail15normal_iteratorINSA_10device_ptrIsEEEEPS6_SG_NS0_5tupleIJNSA_16discard_iteratorINSA_11use_defaultEEESK_EEENSH_IJSG_SG_EEES6_PlJ7is_evenIsEEEE10hipError_tPvRmT3_T4_T5_T6_T7_T9_mT8_P12ihipStream_tbDpT10_ENKUlT_T0_E_clISt17integral_constantIbLb0EES18_IbLb1EEEEDaS14_S15_EUlS14_E_NS1_11comp_targetILNS1_3genE3ELNS1_11target_archE908ELNS1_3gpuE7ELNS1_3repE0EEENS1_30default_config_static_selectorELNS0_4arch9wavefront6targetE1EEEvT1_
; %bb.0:
	.section	.rodata,"a",@progbits
	.p2align	6, 0x0
	.amdhsa_kernel _ZN7rocprim17ROCPRIM_400000_NS6detail17trampoline_kernelINS0_14default_configENS1_25partition_config_selectorILNS1_17partition_subalgoE0EsNS0_10empty_typeEbEEZZNS1_14partition_implILS5_0ELb0ES3_jN6thrust23THRUST_200600_302600_NS6detail15normal_iteratorINSA_10device_ptrIsEEEEPS6_SG_NS0_5tupleIJNSA_16discard_iteratorINSA_11use_defaultEEESK_EEENSH_IJSG_SG_EEES6_PlJ7is_evenIsEEEE10hipError_tPvRmT3_T4_T5_T6_T7_T9_mT8_P12ihipStream_tbDpT10_ENKUlT_T0_E_clISt17integral_constantIbLb0EES18_IbLb1EEEEDaS14_S15_EUlS14_E_NS1_11comp_targetILNS1_3genE3ELNS1_11target_archE908ELNS1_3gpuE7ELNS1_3repE0EEENS1_30default_config_static_selectorELNS0_4arch9wavefront6targetE1EEEvT1_
		.amdhsa_group_segment_fixed_size 0
		.amdhsa_private_segment_fixed_size 0
		.amdhsa_kernarg_size 152
		.amdhsa_user_sgpr_count 2
		.amdhsa_user_sgpr_dispatch_ptr 0
		.amdhsa_user_sgpr_queue_ptr 0
		.amdhsa_user_sgpr_kernarg_segment_ptr 1
		.amdhsa_user_sgpr_dispatch_id 0
		.amdhsa_user_sgpr_kernarg_preload_length 0
		.amdhsa_user_sgpr_kernarg_preload_offset 0
		.amdhsa_user_sgpr_private_segment_size 0
		.amdhsa_uses_dynamic_stack 0
		.amdhsa_enable_private_segment 0
		.amdhsa_system_sgpr_workgroup_id_x 1
		.amdhsa_system_sgpr_workgroup_id_y 0
		.amdhsa_system_sgpr_workgroup_id_z 0
		.amdhsa_system_sgpr_workgroup_info 0
		.amdhsa_system_vgpr_workitem_id 0
		.amdhsa_next_free_vgpr 1
		.amdhsa_next_free_sgpr 0
		.amdhsa_accum_offset 4
		.amdhsa_reserve_vcc 0
		.amdhsa_float_round_mode_32 0
		.amdhsa_float_round_mode_16_64 0
		.amdhsa_float_denorm_mode_32 3
		.amdhsa_float_denorm_mode_16_64 3
		.amdhsa_dx10_clamp 1
		.amdhsa_ieee_mode 1
		.amdhsa_fp16_overflow 0
		.amdhsa_tg_split 0
		.amdhsa_exception_fp_ieee_invalid_op 0
		.amdhsa_exception_fp_denorm_src 0
		.amdhsa_exception_fp_ieee_div_zero 0
		.amdhsa_exception_fp_ieee_overflow 0
		.amdhsa_exception_fp_ieee_underflow 0
		.amdhsa_exception_fp_ieee_inexact 0
		.amdhsa_exception_int_div_zero 0
	.end_amdhsa_kernel
	.section	.text._ZN7rocprim17ROCPRIM_400000_NS6detail17trampoline_kernelINS0_14default_configENS1_25partition_config_selectorILNS1_17partition_subalgoE0EsNS0_10empty_typeEbEEZZNS1_14partition_implILS5_0ELb0ES3_jN6thrust23THRUST_200600_302600_NS6detail15normal_iteratorINSA_10device_ptrIsEEEEPS6_SG_NS0_5tupleIJNSA_16discard_iteratorINSA_11use_defaultEEESK_EEENSH_IJSG_SG_EEES6_PlJ7is_evenIsEEEE10hipError_tPvRmT3_T4_T5_T6_T7_T9_mT8_P12ihipStream_tbDpT10_ENKUlT_T0_E_clISt17integral_constantIbLb0EES18_IbLb1EEEEDaS14_S15_EUlS14_E_NS1_11comp_targetILNS1_3genE3ELNS1_11target_archE908ELNS1_3gpuE7ELNS1_3repE0EEENS1_30default_config_static_selectorELNS0_4arch9wavefront6targetE1EEEvT1_,"axG",@progbits,_ZN7rocprim17ROCPRIM_400000_NS6detail17trampoline_kernelINS0_14default_configENS1_25partition_config_selectorILNS1_17partition_subalgoE0EsNS0_10empty_typeEbEEZZNS1_14partition_implILS5_0ELb0ES3_jN6thrust23THRUST_200600_302600_NS6detail15normal_iteratorINSA_10device_ptrIsEEEEPS6_SG_NS0_5tupleIJNSA_16discard_iteratorINSA_11use_defaultEEESK_EEENSH_IJSG_SG_EEES6_PlJ7is_evenIsEEEE10hipError_tPvRmT3_T4_T5_T6_T7_T9_mT8_P12ihipStream_tbDpT10_ENKUlT_T0_E_clISt17integral_constantIbLb0EES18_IbLb1EEEEDaS14_S15_EUlS14_E_NS1_11comp_targetILNS1_3genE3ELNS1_11target_archE908ELNS1_3gpuE7ELNS1_3repE0EEENS1_30default_config_static_selectorELNS0_4arch9wavefront6targetE1EEEvT1_,comdat
.Lfunc_end2806:
	.size	_ZN7rocprim17ROCPRIM_400000_NS6detail17trampoline_kernelINS0_14default_configENS1_25partition_config_selectorILNS1_17partition_subalgoE0EsNS0_10empty_typeEbEEZZNS1_14partition_implILS5_0ELb0ES3_jN6thrust23THRUST_200600_302600_NS6detail15normal_iteratorINSA_10device_ptrIsEEEEPS6_SG_NS0_5tupleIJNSA_16discard_iteratorINSA_11use_defaultEEESK_EEENSH_IJSG_SG_EEES6_PlJ7is_evenIsEEEE10hipError_tPvRmT3_T4_T5_T6_T7_T9_mT8_P12ihipStream_tbDpT10_ENKUlT_T0_E_clISt17integral_constantIbLb0EES18_IbLb1EEEEDaS14_S15_EUlS14_E_NS1_11comp_targetILNS1_3genE3ELNS1_11target_archE908ELNS1_3gpuE7ELNS1_3repE0EEENS1_30default_config_static_selectorELNS0_4arch9wavefront6targetE1EEEvT1_, .Lfunc_end2806-_ZN7rocprim17ROCPRIM_400000_NS6detail17trampoline_kernelINS0_14default_configENS1_25partition_config_selectorILNS1_17partition_subalgoE0EsNS0_10empty_typeEbEEZZNS1_14partition_implILS5_0ELb0ES3_jN6thrust23THRUST_200600_302600_NS6detail15normal_iteratorINSA_10device_ptrIsEEEEPS6_SG_NS0_5tupleIJNSA_16discard_iteratorINSA_11use_defaultEEESK_EEENSH_IJSG_SG_EEES6_PlJ7is_evenIsEEEE10hipError_tPvRmT3_T4_T5_T6_T7_T9_mT8_P12ihipStream_tbDpT10_ENKUlT_T0_E_clISt17integral_constantIbLb0EES18_IbLb1EEEEDaS14_S15_EUlS14_E_NS1_11comp_targetILNS1_3genE3ELNS1_11target_archE908ELNS1_3gpuE7ELNS1_3repE0EEENS1_30default_config_static_selectorELNS0_4arch9wavefront6targetE1EEEvT1_
                                        ; -- End function
	.section	.AMDGPU.csdata,"",@progbits
; Kernel info:
; codeLenInByte = 0
; NumSgprs: 6
; NumVgprs: 0
; NumAgprs: 0
; TotalNumVgprs: 0
; ScratchSize: 0
; MemoryBound: 0
; FloatMode: 240
; IeeeMode: 1
; LDSByteSize: 0 bytes/workgroup (compile time only)
; SGPRBlocks: 0
; VGPRBlocks: 0
; NumSGPRsForWavesPerEU: 6
; NumVGPRsForWavesPerEU: 1
; AccumOffset: 4
; Occupancy: 8
; WaveLimiterHint : 0
; COMPUTE_PGM_RSRC2:SCRATCH_EN: 0
; COMPUTE_PGM_RSRC2:USER_SGPR: 2
; COMPUTE_PGM_RSRC2:TRAP_HANDLER: 0
; COMPUTE_PGM_RSRC2:TGID_X_EN: 1
; COMPUTE_PGM_RSRC2:TGID_Y_EN: 0
; COMPUTE_PGM_RSRC2:TGID_Z_EN: 0
; COMPUTE_PGM_RSRC2:TIDIG_COMP_CNT: 0
; COMPUTE_PGM_RSRC3_GFX90A:ACCUM_OFFSET: 0
; COMPUTE_PGM_RSRC3_GFX90A:TG_SPLIT: 0
	.section	.text._ZN7rocprim17ROCPRIM_400000_NS6detail17trampoline_kernelINS0_14default_configENS1_25partition_config_selectorILNS1_17partition_subalgoE0EsNS0_10empty_typeEbEEZZNS1_14partition_implILS5_0ELb0ES3_jN6thrust23THRUST_200600_302600_NS6detail15normal_iteratorINSA_10device_ptrIsEEEEPS6_SG_NS0_5tupleIJNSA_16discard_iteratorINSA_11use_defaultEEESK_EEENSH_IJSG_SG_EEES6_PlJ7is_evenIsEEEE10hipError_tPvRmT3_T4_T5_T6_T7_T9_mT8_P12ihipStream_tbDpT10_ENKUlT_T0_E_clISt17integral_constantIbLb0EES18_IbLb1EEEEDaS14_S15_EUlS14_E_NS1_11comp_targetILNS1_3genE2ELNS1_11target_archE906ELNS1_3gpuE6ELNS1_3repE0EEENS1_30default_config_static_selectorELNS0_4arch9wavefront6targetE1EEEvT1_,"axG",@progbits,_ZN7rocprim17ROCPRIM_400000_NS6detail17trampoline_kernelINS0_14default_configENS1_25partition_config_selectorILNS1_17partition_subalgoE0EsNS0_10empty_typeEbEEZZNS1_14partition_implILS5_0ELb0ES3_jN6thrust23THRUST_200600_302600_NS6detail15normal_iteratorINSA_10device_ptrIsEEEEPS6_SG_NS0_5tupleIJNSA_16discard_iteratorINSA_11use_defaultEEESK_EEENSH_IJSG_SG_EEES6_PlJ7is_evenIsEEEE10hipError_tPvRmT3_T4_T5_T6_T7_T9_mT8_P12ihipStream_tbDpT10_ENKUlT_T0_E_clISt17integral_constantIbLb0EES18_IbLb1EEEEDaS14_S15_EUlS14_E_NS1_11comp_targetILNS1_3genE2ELNS1_11target_archE906ELNS1_3gpuE6ELNS1_3repE0EEENS1_30default_config_static_selectorELNS0_4arch9wavefront6targetE1EEEvT1_,comdat
	.protected	_ZN7rocprim17ROCPRIM_400000_NS6detail17trampoline_kernelINS0_14default_configENS1_25partition_config_selectorILNS1_17partition_subalgoE0EsNS0_10empty_typeEbEEZZNS1_14partition_implILS5_0ELb0ES3_jN6thrust23THRUST_200600_302600_NS6detail15normal_iteratorINSA_10device_ptrIsEEEEPS6_SG_NS0_5tupleIJNSA_16discard_iteratorINSA_11use_defaultEEESK_EEENSH_IJSG_SG_EEES6_PlJ7is_evenIsEEEE10hipError_tPvRmT3_T4_T5_T6_T7_T9_mT8_P12ihipStream_tbDpT10_ENKUlT_T0_E_clISt17integral_constantIbLb0EES18_IbLb1EEEEDaS14_S15_EUlS14_E_NS1_11comp_targetILNS1_3genE2ELNS1_11target_archE906ELNS1_3gpuE6ELNS1_3repE0EEENS1_30default_config_static_selectorELNS0_4arch9wavefront6targetE1EEEvT1_ ; -- Begin function _ZN7rocprim17ROCPRIM_400000_NS6detail17trampoline_kernelINS0_14default_configENS1_25partition_config_selectorILNS1_17partition_subalgoE0EsNS0_10empty_typeEbEEZZNS1_14partition_implILS5_0ELb0ES3_jN6thrust23THRUST_200600_302600_NS6detail15normal_iteratorINSA_10device_ptrIsEEEEPS6_SG_NS0_5tupleIJNSA_16discard_iteratorINSA_11use_defaultEEESK_EEENSH_IJSG_SG_EEES6_PlJ7is_evenIsEEEE10hipError_tPvRmT3_T4_T5_T6_T7_T9_mT8_P12ihipStream_tbDpT10_ENKUlT_T0_E_clISt17integral_constantIbLb0EES18_IbLb1EEEEDaS14_S15_EUlS14_E_NS1_11comp_targetILNS1_3genE2ELNS1_11target_archE906ELNS1_3gpuE6ELNS1_3repE0EEENS1_30default_config_static_selectorELNS0_4arch9wavefront6targetE1EEEvT1_
	.globl	_ZN7rocprim17ROCPRIM_400000_NS6detail17trampoline_kernelINS0_14default_configENS1_25partition_config_selectorILNS1_17partition_subalgoE0EsNS0_10empty_typeEbEEZZNS1_14partition_implILS5_0ELb0ES3_jN6thrust23THRUST_200600_302600_NS6detail15normal_iteratorINSA_10device_ptrIsEEEEPS6_SG_NS0_5tupleIJNSA_16discard_iteratorINSA_11use_defaultEEESK_EEENSH_IJSG_SG_EEES6_PlJ7is_evenIsEEEE10hipError_tPvRmT3_T4_T5_T6_T7_T9_mT8_P12ihipStream_tbDpT10_ENKUlT_T0_E_clISt17integral_constantIbLb0EES18_IbLb1EEEEDaS14_S15_EUlS14_E_NS1_11comp_targetILNS1_3genE2ELNS1_11target_archE906ELNS1_3gpuE6ELNS1_3repE0EEENS1_30default_config_static_selectorELNS0_4arch9wavefront6targetE1EEEvT1_
	.p2align	8
	.type	_ZN7rocprim17ROCPRIM_400000_NS6detail17trampoline_kernelINS0_14default_configENS1_25partition_config_selectorILNS1_17partition_subalgoE0EsNS0_10empty_typeEbEEZZNS1_14partition_implILS5_0ELb0ES3_jN6thrust23THRUST_200600_302600_NS6detail15normal_iteratorINSA_10device_ptrIsEEEEPS6_SG_NS0_5tupleIJNSA_16discard_iteratorINSA_11use_defaultEEESK_EEENSH_IJSG_SG_EEES6_PlJ7is_evenIsEEEE10hipError_tPvRmT3_T4_T5_T6_T7_T9_mT8_P12ihipStream_tbDpT10_ENKUlT_T0_E_clISt17integral_constantIbLb0EES18_IbLb1EEEEDaS14_S15_EUlS14_E_NS1_11comp_targetILNS1_3genE2ELNS1_11target_archE906ELNS1_3gpuE6ELNS1_3repE0EEENS1_30default_config_static_selectorELNS0_4arch9wavefront6targetE1EEEvT1_,@function
_ZN7rocprim17ROCPRIM_400000_NS6detail17trampoline_kernelINS0_14default_configENS1_25partition_config_selectorILNS1_17partition_subalgoE0EsNS0_10empty_typeEbEEZZNS1_14partition_implILS5_0ELb0ES3_jN6thrust23THRUST_200600_302600_NS6detail15normal_iteratorINSA_10device_ptrIsEEEEPS6_SG_NS0_5tupleIJNSA_16discard_iteratorINSA_11use_defaultEEESK_EEENSH_IJSG_SG_EEES6_PlJ7is_evenIsEEEE10hipError_tPvRmT3_T4_T5_T6_T7_T9_mT8_P12ihipStream_tbDpT10_ENKUlT_T0_E_clISt17integral_constantIbLb0EES18_IbLb1EEEEDaS14_S15_EUlS14_E_NS1_11comp_targetILNS1_3genE2ELNS1_11target_archE906ELNS1_3gpuE6ELNS1_3repE0EEENS1_30default_config_static_selectorELNS0_4arch9wavefront6targetE1EEEvT1_: ; @_ZN7rocprim17ROCPRIM_400000_NS6detail17trampoline_kernelINS0_14default_configENS1_25partition_config_selectorILNS1_17partition_subalgoE0EsNS0_10empty_typeEbEEZZNS1_14partition_implILS5_0ELb0ES3_jN6thrust23THRUST_200600_302600_NS6detail15normal_iteratorINSA_10device_ptrIsEEEEPS6_SG_NS0_5tupleIJNSA_16discard_iteratorINSA_11use_defaultEEESK_EEENSH_IJSG_SG_EEES6_PlJ7is_evenIsEEEE10hipError_tPvRmT3_T4_T5_T6_T7_T9_mT8_P12ihipStream_tbDpT10_ENKUlT_T0_E_clISt17integral_constantIbLb0EES18_IbLb1EEEEDaS14_S15_EUlS14_E_NS1_11comp_targetILNS1_3genE2ELNS1_11target_archE906ELNS1_3gpuE6ELNS1_3repE0EEENS1_30default_config_static_selectorELNS0_4arch9wavefront6targetE1EEEvT1_
; %bb.0:
	.section	.rodata,"a",@progbits
	.p2align	6, 0x0
	.amdhsa_kernel _ZN7rocprim17ROCPRIM_400000_NS6detail17trampoline_kernelINS0_14default_configENS1_25partition_config_selectorILNS1_17partition_subalgoE0EsNS0_10empty_typeEbEEZZNS1_14partition_implILS5_0ELb0ES3_jN6thrust23THRUST_200600_302600_NS6detail15normal_iteratorINSA_10device_ptrIsEEEEPS6_SG_NS0_5tupleIJNSA_16discard_iteratorINSA_11use_defaultEEESK_EEENSH_IJSG_SG_EEES6_PlJ7is_evenIsEEEE10hipError_tPvRmT3_T4_T5_T6_T7_T9_mT8_P12ihipStream_tbDpT10_ENKUlT_T0_E_clISt17integral_constantIbLb0EES18_IbLb1EEEEDaS14_S15_EUlS14_E_NS1_11comp_targetILNS1_3genE2ELNS1_11target_archE906ELNS1_3gpuE6ELNS1_3repE0EEENS1_30default_config_static_selectorELNS0_4arch9wavefront6targetE1EEEvT1_
		.amdhsa_group_segment_fixed_size 0
		.amdhsa_private_segment_fixed_size 0
		.amdhsa_kernarg_size 152
		.amdhsa_user_sgpr_count 2
		.amdhsa_user_sgpr_dispatch_ptr 0
		.amdhsa_user_sgpr_queue_ptr 0
		.amdhsa_user_sgpr_kernarg_segment_ptr 1
		.amdhsa_user_sgpr_dispatch_id 0
		.amdhsa_user_sgpr_kernarg_preload_length 0
		.amdhsa_user_sgpr_kernarg_preload_offset 0
		.amdhsa_user_sgpr_private_segment_size 0
		.amdhsa_uses_dynamic_stack 0
		.amdhsa_enable_private_segment 0
		.amdhsa_system_sgpr_workgroup_id_x 1
		.amdhsa_system_sgpr_workgroup_id_y 0
		.amdhsa_system_sgpr_workgroup_id_z 0
		.amdhsa_system_sgpr_workgroup_info 0
		.amdhsa_system_vgpr_workitem_id 0
		.amdhsa_next_free_vgpr 1
		.amdhsa_next_free_sgpr 0
		.amdhsa_accum_offset 4
		.amdhsa_reserve_vcc 0
		.amdhsa_float_round_mode_32 0
		.amdhsa_float_round_mode_16_64 0
		.amdhsa_float_denorm_mode_32 3
		.amdhsa_float_denorm_mode_16_64 3
		.amdhsa_dx10_clamp 1
		.amdhsa_ieee_mode 1
		.amdhsa_fp16_overflow 0
		.amdhsa_tg_split 0
		.amdhsa_exception_fp_ieee_invalid_op 0
		.amdhsa_exception_fp_denorm_src 0
		.amdhsa_exception_fp_ieee_div_zero 0
		.amdhsa_exception_fp_ieee_overflow 0
		.amdhsa_exception_fp_ieee_underflow 0
		.amdhsa_exception_fp_ieee_inexact 0
		.amdhsa_exception_int_div_zero 0
	.end_amdhsa_kernel
	.section	.text._ZN7rocprim17ROCPRIM_400000_NS6detail17trampoline_kernelINS0_14default_configENS1_25partition_config_selectorILNS1_17partition_subalgoE0EsNS0_10empty_typeEbEEZZNS1_14partition_implILS5_0ELb0ES3_jN6thrust23THRUST_200600_302600_NS6detail15normal_iteratorINSA_10device_ptrIsEEEEPS6_SG_NS0_5tupleIJNSA_16discard_iteratorINSA_11use_defaultEEESK_EEENSH_IJSG_SG_EEES6_PlJ7is_evenIsEEEE10hipError_tPvRmT3_T4_T5_T6_T7_T9_mT8_P12ihipStream_tbDpT10_ENKUlT_T0_E_clISt17integral_constantIbLb0EES18_IbLb1EEEEDaS14_S15_EUlS14_E_NS1_11comp_targetILNS1_3genE2ELNS1_11target_archE906ELNS1_3gpuE6ELNS1_3repE0EEENS1_30default_config_static_selectorELNS0_4arch9wavefront6targetE1EEEvT1_,"axG",@progbits,_ZN7rocprim17ROCPRIM_400000_NS6detail17trampoline_kernelINS0_14default_configENS1_25partition_config_selectorILNS1_17partition_subalgoE0EsNS0_10empty_typeEbEEZZNS1_14partition_implILS5_0ELb0ES3_jN6thrust23THRUST_200600_302600_NS6detail15normal_iteratorINSA_10device_ptrIsEEEEPS6_SG_NS0_5tupleIJNSA_16discard_iteratorINSA_11use_defaultEEESK_EEENSH_IJSG_SG_EEES6_PlJ7is_evenIsEEEE10hipError_tPvRmT3_T4_T5_T6_T7_T9_mT8_P12ihipStream_tbDpT10_ENKUlT_T0_E_clISt17integral_constantIbLb0EES18_IbLb1EEEEDaS14_S15_EUlS14_E_NS1_11comp_targetILNS1_3genE2ELNS1_11target_archE906ELNS1_3gpuE6ELNS1_3repE0EEENS1_30default_config_static_selectorELNS0_4arch9wavefront6targetE1EEEvT1_,comdat
.Lfunc_end2807:
	.size	_ZN7rocprim17ROCPRIM_400000_NS6detail17trampoline_kernelINS0_14default_configENS1_25partition_config_selectorILNS1_17partition_subalgoE0EsNS0_10empty_typeEbEEZZNS1_14partition_implILS5_0ELb0ES3_jN6thrust23THRUST_200600_302600_NS6detail15normal_iteratorINSA_10device_ptrIsEEEEPS6_SG_NS0_5tupleIJNSA_16discard_iteratorINSA_11use_defaultEEESK_EEENSH_IJSG_SG_EEES6_PlJ7is_evenIsEEEE10hipError_tPvRmT3_T4_T5_T6_T7_T9_mT8_P12ihipStream_tbDpT10_ENKUlT_T0_E_clISt17integral_constantIbLb0EES18_IbLb1EEEEDaS14_S15_EUlS14_E_NS1_11comp_targetILNS1_3genE2ELNS1_11target_archE906ELNS1_3gpuE6ELNS1_3repE0EEENS1_30default_config_static_selectorELNS0_4arch9wavefront6targetE1EEEvT1_, .Lfunc_end2807-_ZN7rocprim17ROCPRIM_400000_NS6detail17trampoline_kernelINS0_14default_configENS1_25partition_config_selectorILNS1_17partition_subalgoE0EsNS0_10empty_typeEbEEZZNS1_14partition_implILS5_0ELb0ES3_jN6thrust23THRUST_200600_302600_NS6detail15normal_iteratorINSA_10device_ptrIsEEEEPS6_SG_NS0_5tupleIJNSA_16discard_iteratorINSA_11use_defaultEEESK_EEENSH_IJSG_SG_EEES6_PlJ7is_evenIsEEEE10hipError_tPvRmT3_T4_T5_T6_T7_T9_mT8_P12ihipStream_tbDpT10_ENKUlT_T0_E_clISt17integral_constantIbLb0EES18_IbLb1EEEEDaS14_S15_EUlS14_E_NS1_11comp_targetILNS1_3genE2ELNS1_11target_archE906ELNS1_3gpuE6ELNS1_3repE0EEENS1_30default_config_static_selectorELNS0_4arch9wavefront6targetE1EEEvT1_
                                        ; -- End function
	.section	.AMDGPU.csdata,"",@progbits
; Kernel info:
; codeLenInByte = 0
; NumSgprs: 6
; NumVgprs: 0
; NumAgprs: 0
; TotalNumVgprs: 0
; ScratchSize: 0
; MemoryBound: 0
; FloatMode: 240
; IeeeMode: 1
; LDSByteSize: 0 bytes/workgroup (compile time only)
; SGPRBlocks: 0
; VGPRBlocks: 0
; NumSGPRsForWavesPerEU: 6
; NumVGPRsForWavesPerEU: 1
; AccumOffset: 4
; Occupancy: 8
; WaveLimiterHint : 0
; COMPUTE_PGM_RSRC2:SCRATCH_EN: 0
; COMPUTE_PGM_RSRC2:USER_SGPR: 2
; COMPUTE_PGM_RSRC2:TRAP_HANDLER: 0
; COMPUTE_PGM_RSRC2:TGID_X_EN: 1
; COMPUTE_PGM_RSRC2:TGID_Y_EN: 0
; COMPUTE_PGM_RSRC2:TGID_Z_EN: 0
; COMPUTE_PGM_RSRC2:TIDIG_COMP_CNT: 0
; COMPUTE_PGM_RSRC3_GFX90A:ACCUM_OFFSET: 0
; COMPUTE_PGM_RSRC3_GFX90A:TG_SPLIT: 0
	.section	.text._ZN7rocprim17ROCPRIM_400000_NS6detail17trampoline_kernelINS0_14default_configENS1_25partition_config_selectorILNS1_17partition_subalgoE0EsNS0_10empty_typeEbEEZZNS1_14partition_implILS5_0ELb0ES3_jN6thrust23THRUST_200600_302600_NS6detail15normal_iteratorINSA_10device_ptrIsEEEEPS6_SG_NS0_5tupleIJNSA_16discard_iteratorINSA_11use_defaultEEESK_EEENSH_IJSG_SG_EEES6_PlJ7is_evenIsEEEE10hipError_tPvRmT3_T4_T5_T6_T7_T9_mT8_P12ihipStream_tbDpT10_ENKUlT_T0_E_clISt17integral_constantIbLb0EES18_IbLb1EEEEDaS14_S15_EUlS14_E_NS1_11comp_targetILNS1_3genE10ELNS1_11target_archE1200ELNS1_3gpuE4ELNS1_3repE0EEENS1_30default_config_static_selectorELNS0_4arch9wavefront6targetE1EEEvT1_,"axG",@progbits,_ZN7rocprim17ROCPRIM_400000_NS6detail17trampoline_kernelINS0_14default_configENS1_25partition_config_selectorILNS1_17partition_subalgoE0EsNS0_10empty_typeEbEEZZNS1_14partition_implILS5_0ELb0ES3_jN6thrust23THRUST_200600_302600_NS6detail15normal_iteratorINSA_10device_ptrIsEEEEPS6_SG_NS0_5tupleIJNSA_16discard_iteratorINSA_11use_defaultEEESK_EEENSH_IJSG_SG_EEES6_PlJ7is_evenIsEEEE10hipError_tPvRmT3_T4_T5_T6_T7_T9_mT8_P12ihipStream_tbDpT10_ENKUlT_T0_E_clISt17integral_constantIbLb0EES18_IbLb1EEEEDaS14_S15_EUlS14_E_NS1_11comp_targetILNS1_3genE10ELNS1_11target_archE1200ELNS1_3gpuE4ELNS1_3repE0EEENS1_30default_config_static_selectorELNS0_4arch9wavefront6targetE1EEEvT1_,comdat
	.protected	_ZN7rocprim17ROCPRIM_400000_NS6detail17trampoline_kernelINS0_14default_configENS1_25partition_config_selectorILNS1_17partition_subalgoE0EsNS0_10empty_typeEbEEZZNS1_14partition_implILS5_0ELb0ES3_jN6thrust23THRUST_200600_302600_NS6detail15normal_iteratorINSA_10device_ptrIsEEEEPS6_SG_NS0_5tupleIJNSA_16discard_iteratorINSA_11use_defaultEEESK_EEENSH_IJSG_SG_EEES6_PlJ7is_evenIsEEEE10hipError_tPvRmT3_T4_T5_T6_T7_T9_mT8_P12ihipStream_tbDpT10_ENKUlT_T0_E_clISt17integral_constantIbLb0EES18_IbLb1EEEEDaS14_S15_EUlS14_E_NS1_11comp_targetILNS1_3genE10ELNS1_11target_archE1200ELNS1_3gpuE4ELNS1_3repE0EEENS1_30default_config_static_selectorELNS0_4arch9wavefront6targetE1EEEvT1_ ; -- Begin function _ZN7rocprim17ROCPRIM_400000_NS6detail17trampoline_kernelINS0_14default_configENS1_25partition_config_selectorILNS1_17partition_subalgoE0EsNS0_10empty_typeEbEEZZNS1_14partition_implILS5_0ELb0ES3_jN6thrust23THRUST_200600_302600_NS6detail15normal_iteratorINSA_10device_ptrIsEEEEPS6_SG_NS0_5tupleIJNSA_16discard_iteratorINSA_11use_defaultEEESK_EEENSH_IJSG_SG_EEES6_PlJ7is_evenIsEEEE10hipError_tPvRmT3_T4_T5_T6_T7_T9_mT8_P12ihipStream_tbDpT10_ENKUlT_T0_E_clISt17integral_constantIbLb0EES18_IbLb1EEEEDaS14_S15_EUlS14_E_NS1_11comp_targetILNS1_3genE10ELNS1_11target_archE1200ELNS1_3gpuE4ELNS1_3repE0EEENS1_30default_config_static_selectorELNS0_4arch9wavefront6targetE1EEEvT1_
	.globl	_ZN7rocprim17ROCPRIM_400000_NS6detail17trampoline_kernelINS0_14default_configENS1_25partition_config_selectorILNS1_17partition_subalgoE0EsNS0_10empty_typeEbEEZZNS1_14partition_implILS5_0ELb0ES3_jN6thrust23THRUST_200600_302600_NS6detail15normal_iteratorINSA_10device_ptrIsEEEEPS6_SG_NS0_5tupleIJNSA_16discard_iteratorINSA_11use_defaultEEESK_EEENSH_IJSG_SG_EEES6_PlJ7is_evenIsEEEE10hipError_tPvRmT3_T4_T5_T6_T7_T9_mT8_P12ihipStream_tbDpT10_ENKUlT_T0_E_clISt17integral_constantIbLb0EES18_IbLb1EEEEDaS14_S15_EUlS14_E_NS1_11comp_targetILNS1_3genE10ELNS1_11target_archE1200ELNS1_3gpuE4ELNS1_3repE0EEENS1_30default_config_static_selectorELNS0_4arch9wavefront6targetE1EEEvT1_
	.p2align	8
	.type	_ZN7rocprim17ROCPRIM_400000_NS6detail17trampoline_kernelINS0_14default_configENS1_25partition_config_selectorILNS1_17partition_subalgoE0EsNS0_10empty_typeEbEEZZNS1_14partition_implILS5_0ELb0ES3_jN6thrust23THRUST_200600_302600_NS6detail15normal_iteratorINSA_10device_ptrIsEEEEPS6_SG_NS0_5tupleIJNSA_16discard_iteratorINSA_11use_defaultEEESK_EEENSH_IJSG_SG_EEES6_PlJ7is_evenIsEEEE10hipError_tPvRmT3_T4_T5_T6_T7_T9_mT8_P12ihipStream_tbDpT10_ENKUlT_T0_E_clISt17integral_constantIbLb0EES18_IbLb1EEEEDaS14_S15_EUlS14_E_NS1_11comp_targetILNS1_3genE10ELNS1_11target_archE1200ELNS1_3gpuE4ELNS1_3repE0EEENS1_30default_config_static_selectorELNS0_4arch9wavefront6targetE1EEEvT1_,@function
_ZN7rocprim17ROCPRIM_400000_NS6detail17trampoline_kernelINS0_14default_configENS1_25partition_config_selectorILNS1_17partition_subalgoE0EsNS0_10empty_typeEbEEZZNS1_14partition_implILS5_0ELb0ES3_jN6thrust23THRUST_200600_302600_NS6detail15normal_iteratorINSA_10device_ptrIsEEEEPS6_SG_NS0_5tupleIJNSA_16discard_iteratorINSA_11use_defaultEEESK_EEENSH_IJSG_SG_EEES6_PlJ7is_evenIsEEEE10hipError_tPvRmT3_T4_T5_T6_T7_T9_mT8_P12ihipStream_tbDpT10_ENKUlT_T0_E_clISt17integral_constantIbLb0EES18_IbLb1EEEEDaS14_S15_EUlS14_E_NS1_11comp_targetILNS1_3genE10ELNS1_11target_archE1200ELNS1_3gpuE4ELNS1_3repE0EEENS1_30default_config_static_selectorELNS0_4arch9wavefront6targetE1EEEvT1_: ; @_ZN7rocprim17ROCPRIM_400000_NS6detail17trampoline_kernelINS0_14default_configENS1_25partition_config_selectorILNS1_17partition_subalgoE0EsNS0_10empty_typeEbEEZZNS1_14partition_implILS5_0ELb0ES3_jN6thrust23THRUST_200600_302600_NS6detail15normal_iteratorINSA_10device_ptrIsEEEEPS6_SG_NS0_5tupleIJNSA_16discard_iteratorINSA_11use_defaultEEESK_EEENSH_IJSG_SG_EEES6_PlJ7is_evenIsEEEE10hipError_tPvRmT3_T4_T5_T6_T7_T9_mT8_P12ihipStream_tbDpT10_ENKUlT_T0_E_clISt17integral_constantIbLb0EES18_IbLb1EEEEDaS14_S15_EUlS14_E_NS1_11comp_targetILNS1_3genE10ELNS1_11target_archE1200ELNS1_3gpuE4ELNS1_3repE0EEENS1_30default_config_static_selectorELNS0_4arch9wavefront6targetE1EEEvT1_
; %bb.0:
	.section	.rodata,"a",@progbits
	.p2align	6, 0x0
	.amdhsa_kernel _ZN7rocprim17ROCPRIM_400000_NS6detail17trampoline_kernelINS0_14default_configENS1_25partition_config_selectorILNS1_17partition_subalgoE0EsNS0_10empty_typeEbEEZZNS1_14partition_implILS5_0ELb0ES3_jN6thrust23THRUST_200600_302600_NS6detail15normal_iteratorINSA_10device_ptrIsEEEEPS6_SG_NS0_5tupleIJNSA_16discard_iteratorINSA_11use_defaultEEESK_EEENSH_IJSG_SG_EEES6_PlJ7is_evenIsEEEE10hipError_tPvRmT3_T4_T5_T6_T7_T9_mT8_P12ihipStream_tbDpT10_ENKUlT_T0_E_clISt17integral_constantIbLb0EES18_IbLb1EEEEDaS14_S15_EUlS14_E_NS1_11comp_targetILNS1_3genE10ELNS1_11target_archE1200ELNS1_3gpuE4ELNS1_3repE0EEENS1_30default_config_static_selectorELNS0_4arch9wavefront6targetE1EEEvT1_
		.amdhsa_group_segment_fixed_size 0
		.amdhsa_private_segment_fixed_size 0
		.amdhsa_kernarg_size 152
		.amdhsa_user_sgpr_count 2
		.amdhsa_user_sgpr_dispatch_ptr 0
		.amdhsa_user_sgpr_queue_ptr 0
		.amdhsa_user_sgpr_kernarg_segment_ptr 1
		.amdhsa_user_sgpr_dispatch_id 0
		.amdhsa_user_sgpr_kernarg_preload_length 0
		.amdhsa_user_sgpr_kernarg_preload_offset 0
		.amdhsa_user_sgpr_private_segment_size 0
		.amdhsa_uses_dynamic_stack 0
		.amdhsa_enable_private_segment 0
		.amdhsa_system_sgpr_workgroup_id_x 1
		.amdhsa_system_sgpr_workgroup_id_y 0
		.amdhsa_system_sgpr_workgroup_id_z 0
		.amdhsa_system_sgpr_workgroup_info 0
		.amdhsa_system_vgpr_workitem_id 0
		.amdhsa_next_free_vgpr 1
		.amdhsa_next_free_sgpr 0
		.amdhsa_accum_offset 4
		.amdhsa_reserve_vcc 0
		.amdhsa_float_round_mode_32 0
		.amdhsa_float_round_mode_16_64 0
		.amdhsa_float_denorm_mode_32 3
		.amdhsa_float_denorm_mode_16_64 3
		.amdhsa_dx10_clamp 1
		.amdhsa_ieee_mode 1
		.amdhsa_fp16_overflow 0
		.amdhsa_tg_split 0
		.amdhsa_exception_fp_ieee_invalid_op 0
		.amdhsa_exception_fp_denorm_src 0
		.amdhsa_exception_fp_ieee_div_zero 0
		.amdhsa_exception_fp_ieee_overflow 0
		.amdhsa_exception_fp_ieee_underflow 0
		.amdhsa_exception_fp_ieee_inexact 0
		.amdhsa_exception_int_div_zero 0
	.end_amdhsa_kernel
	.section	.text._ZN7rocprim17ROCPRIM_400000_NS6detail17trampoline_kernelINS0_14default_configENS1_25partition_config_selectorILNS1_17partition_subalgoE0EsNS0_10empty_typeEbEEZZNS1_14partition_implILS5_0ELb0ES3_jN6thrust23THRUST_200600_302600_NS6detail15normal_iteratorINSA_10device_ptrIsEEEEPS6_SG_NS0_5tupleIJNSA_16discard_iteratorINSA_11use_defaultEEESK_EEENSH_IJSG_SG_EEES6_PlJ7is_evenIsEEEE10hipError_tPvRmT3_T4_T5_T6_T7_T9_mT8_P12ihipStream_tbDpT10_ENKUlT_T0_E_clISt17integral_constantIbLb0EES18_IbLb1EEEEDaS14_S15_EUlS14_E_NS1_11comp_targetILNS1_3genE10ELNS1_11target_archE1200ELNS1_3gpuE4ELNS1_3repE0EEENS1_30default_config_static_selectorELNS0_4arch9wavefront6targetE1EEEvT1_,"axG",@progbits,_ZN7rocprim17ROCPRIM_400000_NS6detail17trampoline_kernelINS0_14default_configENS1_25partition_config_selectorILNS1_17partition_subalgoE0EsNS0_10empty_typeEbEEZZNS1_14partition_implILS5_0ELb0ES3_jN6thrust23THRUST_200600_302600_NS6detail15normal_iteratorINSA_10device_ptrIsEEEEPS6_SG_NS0_5tupleIJNSA_16discard_iteratorINSA_11use_defaultEEESK_EEENSH_IJSG_SG_EEES6_PlJ7is_evenIsEEEE10hipError_tPvRmT3_T4_T5_T6_T7_T9_mT8_P12ihipStream_tbDpT10_ENKUlT_T0_E_clISt17integral_constantIbLb0EES18_IbLb1EEEEDaS14_S15_EUlS14_E_NS1_11comp_targetILNS1_3genE10ELNS1_11target_archE1200ELNS1_3gpuE4ELNS1_3repE0EEENS1_30default_config_static_selectorELNS0_4arch9wavefront6targetE1EEEvT1_,comdat
.Lfunc_end2808:
	.size	_ZN7rocprim17ROCPRIM_400000_NS6detail17trampoline_kernelINS0_14default_configENS1_25partition_config_selectorILNS1_17partition_subalgoE0EsNS0_10empty_typeEbEEZZNS1_14partition_implILS5_0ELb0ES3_jN6thrust23THRUST_200600_302600_NS6detail15normal_iteratorINSA_10device_ptrIsEEEEPS6_SG_NS0_5tupleIJNSA_16discard_iteratorINSA_11use_defaultEEESK_EEENSH_IJSG_SG_EEES6_PlJ7is_evenIsEEEE10hipError_tPvRmT3_T4_T5_T6_T7_T9_mT8_P12ihipStream_tbDpT10_ENKUlT_T0_E_clISt17integral_constantIbLb0EES18_IbLb1EEEEDaS14_S15_EUlS14_E_NS1_11comp_targetILNS1_3genE10ELNS1_11target_archE1200ELNS1_3gpuE4ELNS1_3repE0EEENS1_30default_config_static_selectorELNS0_4arch9wavefront6targetE1EEEvT1_, .Lfunc_end2808-_ZN7rocprim17ROCPRIM_400000_NS6detail17trampoline_kernelINS0_14default_configENS1_25partition_config_selectorILNS1_17partition_subalgoE0EsNS0_10empty_typeEbEEZZNS1_14partition_implILS5_0ELb0ES3_jN6thrust23THRUST_200600_302600_NS6detail15normal_iteratorINSA_10device_ptrIsEEEEPS6_SG_NS0_5tupleIJNSA_16discard_iteratorINSA_11use_defaultEEESK_EEENSH_IJSG_SG_EEES6_PlJ7is_evenIsEEEE10hipError_tPvRmT3_T4_T5_T6_T7_T9_mT8_P12ihipStream_tbDpT10_ENKUlT_T0_E_clISt17integral_constantIbLb0EES18_IbLb1EEEEDaS14_S15_EUlS14_E_NS1_11comp_targetILNS1_3genE10ELNS1_11target_archE1200ELNS1_3gpuE4ELNS1_3repE0EEENS1_30default_config_static_selectorELNS0_4arch9wavefront6targetE1EEEvT1_
                                        ; -- End function
	.section	.AMDGPU.csdata,"",@progbits
; Kernel info:
; codeLenInByte = 0
; NumSgprs: 6
; NumVgprs: 0
; NumAgprs: 0
; TotalNumVgprs: 0
; ScratchSize: 0
; MemoryBound: 0
; FloatMode: 240
; IeeeMode: 1
; LDSByteSize: 0 bytes/workgroup (compile time only)
; SGPRBlocks: 0
; VGPRBlocks: 0
; NumSGPRsForWavesPerEU: 6
; NumVGPRsForWavesPerEU: 1
; AccumOffset: 4
; Occupancy: 8
; WaveLimiterHint : 0
; COMPUTE_PGM_RSRC2:SCRATCH_EN: 0
; COMPUTE_PGM_RSRC2:USER_SGPR: 2
; COMPUTE_PGM_RSRC2:TRAP_HANDLER: 0
; COMPUTE_PGM_RSRC2:TGID_X_EN: 1
; COMPUTE_PGM_RSRC2:TGID_Y_EN: 0
; COMPUTE_PGM_RSRC2:TGID_Z_EN: 0
; COMPUTE_PGM_RSRC2:TIDIG_COMP_CNT: 0
; COMPUTE_PGM_RSRC3_GFX90A:ACCUM_OFFSET: 0
; COMPUTE_PGM_RSRC3_GFX90A:TG_SPLIT: 0
	.section	.text._ZN7rocprim17ROCPRIM_400000_NS6detail17trampoline_kernelINS0_14default_configENS1_25partition_config_selectorILNS1_17partition_subalgoE0EsNS0_10empty_typeEbEEZZNS1_14partition_implILS5_0ELb0ES3_jN6thrust23THRUST_200600_302600_NS6detail15normal_iteratorINSA_10device_ptrIsEEEEPS6_SG_NS0_5tupleIJNSA_16discard_iteratorINSA_11use_defaultEEESK_EEENSH_IJSG_SG_EEES6_PlJ7is_evenIsEEEE10hipError_tPvRmT3_T4_T5_T6_T7_T9_mT8_P12ihipStream_tbDpT10_ENKUlT_T0_E_clISt17integral_constantIbLb0EES18_IbLb1EEEEDaS14_S15_EUlS14_E_NS1_11comp_targetILNS1_3genE9ELNS1_11target_archE1100ELNS1_3gpuE3ELNS1_3repE0EEENS1_30default_config_static_selectorELNS0_4arch9wavefront6targetE1EEEvT1_,"axG",@progbits,_ZN7rocprim17ROCPRIM_400000_NS6detail17trampoline_kernelINS0_14default_configENS1_25partition_config_selectorILNS1_17partition_subalgoE0EsNS0_10empty_typeEbEEZZNS1_14partition_implILS5_0ELb0ES3_jN6thrust23THRUST_200600_302600_NS6detail15normal_iteratorINSA_10device_ptrIsEEEEPS6_SG_NS0_5tupleIJNSA_16discard_iteratorINSA_11use_defaultEEESK_EEENSH_IJSG_SG_EEES6_PlJ7is_evenIsEEEE10hipError_tPvRmT3_T4_T5_T6_T7_T9_mT8_P12ihipStream_tbDpT10_ENKUlT_T0_E_clISt17integral_constantIbLb0EES18_IbLb1EEEEDaS14_S15_EUlS14_E_NS1_11comp_targetILNS1_3genE9ELNS1_11target_archE1100ELNS1_3gpuE3ELNS1_3repE0EEENS1_30default_config_static_selectorELNS0_4arch9wavefront6targetE1EEEvT1_,comdat
	.protected	_ZN7rocprim17ROCPRIM_400000_NS6detail17trampoline_kernelINS0_14default_configENS1_25partition_config_selectorILNS1_17partition_subalgoE0EsNS0_10empty_typeEbEEZZNS1_14partition_implILS5_0ELb0ES3_jN6thrust23THRUST_200600_302600_NS6detail15normal_iteratorINSA_10device_ptrIsEEEEPS6_SG_NS0_5tupleIJNSA_16discard_iteratorINSA_11use_defaultEEESK_EEENSH_IJSG_SG_EEES6_PlJ7is_evenIsEEEE10hipError_tPvRmT3_T4_T5_T6_T7_T9_mT8_P12ihipStream_tbDpT10_ENKUlT_T0_E_clISt17integral_constantIbLb0EES18_IbLb1EEEEDaS14_S15_EUlS14_E_NS1_11comp_targetILNS1_3genE9ELNS1_11target_archE1100ELNS1_3gpuE3ELNS1_3repE0EEENS1_30default_config_static_selectorELNS0_4arch9wavefront6targetE1EEEvT1_ ; -- Begin function _ZN7rocprim17ROCPRIM_400000_NS6detail17trampoline_kernelINS0_14default_configENS1_25partition_config_selectorILNS1_17partition_subalgoE0EsNS0_10empty_typeEbEEZZNS1_14partition_implILS5_0ELb0ES3_jN6thrust23THRUST_200600_302600_NS6detail15normal_iteratorINSA_10device_ptrIsEEEEPS6_SG_NS0_5tupleIJNSA_16discard_iteratorINSA_11use_defaultEEESK_EEENSH_IJSG_SG_EEES6_PlJ7is_evenIsEEEE10hipError_tPvRmT3_T4_T5_T6_T7_T9_mT8_P12ihipStream_tbDpT10_ENKUlT_T0_E_clISt17integral_constantIbLb0EES18_IbLb1EEEEDaS14_S15_EUlS14_E_NS1_11comp_targetILNS1_3genE9ELNS1_11target_archE1100ELNS1_3gpuE3ELNS1_3repE0EEENS1_30default_config_static_selectorELNS0_4arch9wavefront6targetE1EEEvT1_
	.globl	_ZN7rocprim17ROCPRIM_400000_NS6detail17trampoline_kernelINS0_14default_configENS1_25partition_config_selectorILNS1_17partition_subalgoE0EsNS0_10empty_typeEbEEZZNS1_14partition_implILS5_0ELb0ES3_jN6thrust23THRUST_200600_302600_NS6detail15normal_iteratorINSA_10device_ptrIsEEEEPS6_SG_NS0_5tupleIJNSA_16discard_iteratorINSA_11use_defaultEEESK_EEENSH_IJSG_SG_EEES6_PlJ7is_evenIsEEEE10hipError_tPvRmT3_T4_T5_T6_T7_T9_mT8_P12ihipStream_tbDpT10_ENKUlT_T0_E_clISt17integral_constantIbLb0EES18_IbLb1EEEEDaS14_S15_EUlS14_E_NS1_11comp_targetILNS1_3genE9ELNS1_11target_archE1100ELNS1_3gpuE3ELNS1_3repE0EEENS1_30default_config_static_selectorELNS0_4arch9wavefront6targetE1EEEvT1_
	.p2align	8
	.type	_ZN7rocprim17ROCPRIM_400000_NS6detail17trampoline_kernelINS0_14default_configENS1_25partition_config_selectorILNS1_17partition_subalgoE0EsNS0_10empty_typeEbEEZZNS1_14partition_implILS5_0ELb0ES3_jN6thrust23THRUST_200600_302600_NS6detail15normal_iteratorINSA_10device_ptrIsEEEEPS6_SG_NS0_5tupleIJNSA_16discard_iteratorINSA_11use_defaultEEESK_EEENSH_IJSG_SG_EEES6_PlJ7is_evenIsEEEE10hipError_tPvRmT3_T4_T5_T6_T7_T9_mT8_P12ihipStream_tbDpT10_ENKUlT_T0_E_clISt17integral_constantIbLb0EES18_IbLb1EEEEDaS14_S15_EUlS14_E_NS1_11comp_targetILNS1_3genE9ELNS1_11target_archE1100ELNS1_3gpuE3ELNS1_3repE0EEENS1_30default_config_static_selectorELNS0_4arch9wavefront6targetE1EEEvT1_,@function
_ZN7rocprim17ROCPRIM_400000_NS6detail17trampoline_kernelINS0_14default_configENS1_25partition_config_selectorILNS1_17partition_subalgoE0EsNS0_10empty_typeEbEEZZNS1_14partition_implILS5_0ELb0ES3_jN6thrust23THRUST_200600_302600_NS6detail15normal_iteratorINSA_10device_ptrIsEEEEPS6_SG_NS0_5tupleIJNSA_16discard_iteratorINSA_11use_defaultEEESK_EEENSH_IJSG_SG_EEES6_PlJ7is_evenIsEEEE10hipError_tPvRmT3_T4_T5_T6_T7_T9_mT8_P12ihipStream_tbDpT10_ENKUlT_T0_E_clISt17integral_constantIbLb0EES18_IbLb1EEEEDaS14_S15_EUlS14_E_NS1_11comp_targetILNS1_3genE9ELNS1_11target_archE1100ELNS1_3gpuE3ELNS1_3repE0EEENS1_30default_config_static_selectorELNS0_4arch9wavefront6targetE1EEEvT1_: ; @_ZN7rocprim17ROCPRIM_400000_NS6detail17trampoline_kernelINS0_14default_configENS1_25partition_config_selectorILNS1_17partition_subalgoE0EsNS0_10empty_typeEbEEZZNS1_14partition_implILS5_0ELb0ES3_jN6thrust23THRUST_200600_302600_NS6detail15normal_iteratorINSA_10device_ptrIsEEEEPS6_SG_NS0_5tupleIJNSA_16discard_iteratorINSA_11use_defaultEEESK_EEENSH_IJSG_SG_EEES6_PlJ7is_evenIsEEEE10hipError_tPvRmT3_T4_T5_T6_T7_T9_mT8_P12ihipStream_tbDpT10_ENKUlT_T0_E_clISt17integral_constantIbLb0EES18_IbLb1EEEEDaS14_S15_EUlS14_E_NS1_11comp_targetILNS1_3genE9ELNS1_11target_archE1100ELNS1_3gpuE3ELNS1_3repE0EEENS1_30default_config_static_selectorELNS0_4arch9wavefront6targetE1EEEvT1_
; %bb.0:
	.section	.rodata,"a",@progbits
	.p2align	6, 0x0
	.amdhsa_kernel _ZN7rocprim17ROCPRIM_400000_NS6detail17trampoline_kernelINS0_14default_configENS1_25partition_config_selectorILNS1_17partition_subalgoE0EsNS0_10empty_typeEbEEZZNS1_14partition_implILS5_0ELb0ES3_jN6thrust23THRUST_200600_302600_NS6detail15normal_iteratorINSA_10device_ptrIsEEEEPS6_SG_NS0_5tupleIJNSA_16discard_iteratorINSA_11use_defaultEEESK_EEENSH_IJSG_SG_EEES6_PlJ7is_evenIsEEEE10hipError_tPvRmT3_T4_T5_T6_T7_T9_mT8_P12ihipStream_tbDpT10_ENKUlT_T0_E_clISt17integral_constantIbLb0EES18_IbLb1EEEEDaS14_S15_EUlS14_E_NS1_11comp_targetILNS1_3genE9ELNS1_11target_archE1100ELNS1_3gpuE3ELNS1_3repE0EEENS1_30default_config_static_selectorELNS0_4arch9wavefront6targetE1EEEvT1_
		.amdhsa_group_segment_fixed_size 0
		.amdhsa_private_segment_fixed_size 0
		.amdhsa_kernarg_size 152
		.amdhsa_user_sgpr_count 2
		.amdhsa_user_sgpr_dispatch_ptr 0
		.amdhsa_user_sgpr_queue_ptr 0
		.amdhsa_user_sgpr_kernarg_segment_ptr 1
		.amdhsa_user_sgpr_dispatch_id 0
		.amdhsa_user_sgpr_kernarg_preload_length 0
		.amdhsa_user_sgpr_kernarg_preload_offset 0
		.amdhsa_user_sgpr_private_segment_size 0
		.amdhsa_uses_dynamic_stack 0
		.amdhsa_enable_private_segment 0
		.amdhsa_system_sgpr_workgroup_id_x 1
		.amdhsa_system_sgpr_workgroup_id_y 0
		.amdhsa_system_sgpr_workgroup_id_z 0
		.amdhsa_system_sgpr_workgroup_info 0
		.amdhsa_system_vgpr_workitem_id 0
		.amdhsa_next_free_vgpr 1
		.amdhsa_next_free_sgpr 0
		.amdhsa_accum_offset 4
		.amdhsa_reserve_vcc 0
		.amdhsa_float_round_mode_32 0
		.amdhsa_float_round_mode_16_64 0
		.amdhsa_float_denorm_mode_32 3
		.amdhsa_float_denorm_mode_16_64 3
		.amdhsa_dx10_clamp 1
		.amdhsa_ieee_mode 1
		.amdhsa_fp16_overflow 0
		.amdhsa_tg_split 0
		.amdhsa_exception_fp_ieee_invalid_op 0
		.amdhsa_exception_fp_denorm_src 0
		.amdhsa_exception_fp_ieee_div_zero 0
		.amdhsa_exception_fp_ieee_overflow 0
		.amdhsa_exception_fp_ieee_underflow 0
		.amdhsa_exception_fp_ieee_inexact 0
		.amdhsa_exception_int_div_zero 0
	.end_amdhsa_kernel
	.section	.text._ZN7rocprim17ROCPRIM_400000_NS6detail17trampoline_kernelINS0_14default_configENS1_25partition_config_selectorILNS1_17partition_subalgoE0EsNS0_10empty_typeEbEEZZNS1_14partition_implILS5_0ELb0ES3_jN6thrust23THRUST_200600_302600_NS6detail15normal_iteratorINSA_10device_ptrIsEEEEPS6_SG_NS0_5tupleIJNSA_16discard_iteratorINSA_11use_defaultEEESK_EEENSH_IJSG_SG_EEES6_PlJ7is_evenIsEEEE10hipError_tPvRmT3_T4_T5_T6_T7_T9_mT8_P12ihipStream_tbDpT10_ENKUlT_T0_E_clISt17integral_constantIbLb0EES18_IbLb1EEEEDaS14_S15_EUlS14_E_NS1_11comp_targetILNS1_3genE9ELNS1_11target_archE1100ELNS1_3gpuE3ELNS1_3repE0EEENS1_30default_config_static_selectorELNS0_4arch9wavefront6targetE1EEEvT1_,"axG",@progbits,_ZN7rocprim17ROCPRIM_400000_NS6detail17trampoline_kernelINS0_14default_configENS1_25partition_config_selectorILNS1_17partition_subalgoE0EsNS0_10empty_typeEbEEZZNS1_14partition_implILS5_0ELb0ES3_jN6thrust23THRUST_200600_302600_NS6detail15normal_iteratorINSA_10device_ptrIsEEEEPS6_SG_NS0_5tupleIJNSA_16discard_iteratorINSA_11use_defaultEEESK_EEENSH_IJSG_SG_EEES6_PlJ7is_evenIsEEEE10hipError_tPvRmT3_T4_T5_T6_T7_T9_mT8_P12ihipStream_tbDpT10_ENKUlT_T0_E_clISt17integral_constantIbLb0EES18_IbLb1EEEEDaS14_S15_EUlS14_E_NS1_11comp_targetILNS1_3genE9ELNS1_11target_archE1100ELNS1_3gpuE3ELNS1_3repE0EEENS1_30default_config_static_selectorELNS0_4arch9wavefront6targetE1EEEvT1_,comdat
.Lfunc_end2809:
	.size	_ZN7rocprim17ROCPRIM_400000_NS6detail17trampoline_kernelINS0_14default_configENS1_25partition_config_selectorILNS1_17partition_subalgoE0EsNS0_10empty_typeEbEEZZNS1_14partition_implILS5_0ELb0ES3_jN6thrust23THRUST_200600_302600_NS6detail15normal_iteratorINSA_10device_ptrIsEEEEPS6_SG_NS0_5tupleIJNSA_16discard_iteratorINSA_11use_defaultEEESK_EEENSH_IJSG_SG_EEES6_PlJ7is_evenIsEEEE10hipError_tPvRmT3_T4_T5_T6_T7_T9_mT8_P12ihipStream_tbDpT10_ENKUlT_T0_E_clISt17integral_constantIbLb0EES18_IbLb1EEEEDaS14_S15_EUlS14_E_NS1_11comp_targetILNS1_3genE9ELNS1_11target_archE1100ELNS1_3gpuE3ELNS1_3repE0EEENS1_30default_config_static_selectorELNS0_4arch9wavefront6targetE1EEEvT1_, .Lfunc_end2809-_ZN7rocprim17ROCPRIM_400000_NS6detail17trampoline_kernelINS0_14default_configENS1_25partition_config_selectorILNS1_17partition_subalgoE0EsNS0_10empty_typeEbEEZZNS1_14partition_implILS5_0ELb0ES3_jN6thrust23THRUST_200600_302600_NS6detail15normal_iteratorINSA_10device_ptrIsEEEEPS6_SG_NS0_5tupleIJNSA_16discard_iteratorINSA_11use_defaultEEESK_EEENSH_IJSG_SG_EEES6_PlJ7is_evenIsEEEE10hipError_tPvRmT3_T4_T5_T6_T7_T9_mT8_P12ihipStream_tbDpT10_ENKUlT_T0_E_clISt17integral_constantIbLb0EES18_IbLb1EEEEDaS14_S15_EUlS14_E_NS1_11comp_targetILNS1_3genE9ELNS1_11target_archE1100ELNS1_3gpuE3ELNS1_3repE0EEENS1_30default_config_static_selectorELNS0_4arch9wavefront6targetE1EEEvT1_
                                        ; -- End function
	.section	.AMDGPU.csdata,"",@progbits
; Kernel info:
; codeLenInByte = 0
; NumSgprs: 6
; NumVgprs: 0
; NumAgprs: 0
; TotalNumVgprs: 0
; ScratchSize: 0
; MemoryBound: 0
; FloatMode: 240
; IeeeMode: 1
; LDSByteSize: 0 bytes/workgroup (compile time only)
; SGPRBlocks: 0
; VGPRBlocks: 0
; NumSGPRsForWavesPerEU: 6
; NumVGPRsForWavesPerEU: 1
; AccumOffset: 4
; Occupancy: 8
; WaveLimiterHint : 0
; COMPUTE_PGM_RSRC2:SCRATCH_EN: 0
; COMPUTE_PGM_RSRC2:USER_SGPR: 2
; COMPUTE_PGM_RSRC2:TRAP_HANDLER: 0
; COMPUTE_PGM_RSRC2:TGID_X_EN: 1
; COMPUTE_PGM_RSRC2:TGID_Y_EN: 0
; COMPUTE_PGM_RSRC2:TGID_Z_EN: 0
; COMPUTE_PGM_RSRC2:TIDIG_COMP_CNT: 0
; COMPUTE_PGM_RSRC3_GFX90A:ACCUM_OFFSET: 0
; COMPUTE_PGM_RSRC3_GFX90A:TG_SPLIT: 0
	.section	.text._ZN7rocprim17ROCPRIM_400000_NS6detail17trampoline_kernelINS0_14default_configENS1_25partition_config_selectorILNS1_17partition_subalgoE0EsNS0_10empty_typeEbEEZZNS1_14partition_implILS5_0ELb0ES3_jN6thrust23THRUST_200600_302600_NS6detail15normal_iteratorINSA_10device_ptrIsEEEEPS6_SG_NS0_5tupleIJNSA_16discard_iteratorINSA_11use_defaultEEESK_EEENSH_IJSG_SG_EEES6_PlJ7is_evenIsEEEE10hipError_tPvRmT3_T4_T5_T6_T7_T9_mT8_P12ihipStream_tbDpT10_ENKUlT_T0_E_clISt17integral_constantIbLb0EES18_IbLb1EEEEDaS14_S15_EUlS14_E_NS1_11comp_targetILNS1_3genE8ELNS1_11target_archE1030ELNS1_3gpuE2ELNS1_3repE0EEENS1_30default_config_static_selectorELNS0_4arch9wavefront6targetE1EEEvT1_,"axG",@progbits,_ZN7rocprim17ROCPRIM_400000_NS6detail17trampoline_kernelINS0_14default_configENS1_25partition_config_selectorILNS1_17partition_subalgoE0EsNS0_10empty_typeEbEEZZNS1_14partition_implILS5_0ELb0ES3_jN6thrust23THRUST_200600_302600_NS6detail15normal_iteratorINSA_10device_ptrIsEEEEPS6_SG_NS0_5tupleIJNSA_16discard_iteratorINSA_11use_defaultEEESK_EEENSH_IJSG_SG_EEES6_PlJ7is_evenIsEEEE10hipError_tPvRmT3_T4_T5_T6_T7_T9_mT8_P12ihipStream_tbDpT10_ENKUlT_T0_E_clISt17integral_constantIbLb0EES18_IbLb1EEEEDaS14_S15_EUlS14_E_NS1_11comp_targetILNS1_3genE8ELNS1_11target_archE1030ELNS1_3gpuE2ELNS1_3repE0EEENS1_30default_config_static_selectorELNS0_4arch9wavefront6targetE1EEEvT1_,comdat
	.protected	_ZN7rocprim17ROCPRIM_400000_NS6detail17trampoline_kernelINS0_14default_configENS1_25partition_config_selectorILNS1_17partition_subalgoE0EsNS0_10empty_typeEbEEZZNS1_14partition_implILS5_0ELb0ES3_jN6thrust23THRUST_200600_302600_NS6detail15normal_iteratorINSA_10device_ptrIsEEEEPS6_SG_NS0_5tupleIJNSA_16discard_iteratorINSA_11use_defaultEEESK_EEENSH_IJSG_SG_EEES6_PlJ7is_evenIsEEEE10hipError_tPvRmT3_T4_T5_T6_T7_T9_mT8_P12ihipStream_tbDpT10_ENKUlT_T0_E_clISt17integral_constantIbLb0EES18_IbLb1EEEEDaS14_S15_EUlS14_E_NS1_11comp_targetILNS1_3genE8ELNS1_11target_archE1030ELNS1_3gpuE2ELNS1_3repE0EEENS1_30default_config_static_selectorELNS0_4arch9wavefront6targetE1EEEvT1_ ; -- Begin function _ZN7rocprim17ROCPRIM_400000_NS6detail17trampoline_kernelINS0_14default_configENS1_25partition_config_selectorILNS1_17partition_subalgoE0EsNS0_10empty_typeEbEEZZNS1_14partition_implILS5_0ELb0ES3_jN6thrust23THRUST_200600_302600_NS6detail15normal_iteratorINSA_10device_ptrIsEEEEPS6_SG_NS0_5tupleIJNSA_16discard_iteratorINSA_11use_defaultEEESK_EEENSH_IJSG_SG_EEES6_PlJ7is_evenIsEEEE10hipError_tPvRmT3_T4_T5_T6_T7_T9_mT8_P12ihipStream_tbDpT10_ENKUlT_T0_E_clISt17integral_constantIbLb0EES18_IbLb1EEEEDaS14_S15_EUlS14_E_NS1_11comp_targetILNS1_3genE8ELNS1_11target_archE1030ELNS1_3gpuE2ELNS1_3repE0EEENS1_30default_config_static_selectorELNS0_4arch9wavefront6targetE1EEEvT1_
	.globl	_ZN7rocprim17ROCPRIM_400000_NS6detail17trampoline_kernelINS0_14default_configENS1_25partition_config_selectorILNS1_17partition_subalgoE0EsNS0_10empty_typeEbEEZZNS1_14partition_implILS5_0ELb0ES3_jN6thrust23THRUST_200600_302600_NS6detail15normal_iteratorINSA_10device_ptrIsEEEEPS6_SG_NS0_5tupleIJNSA_16discard_iteratorINSA_11use_defaultEEESK_EEENSH_IJSG_SG_EEES6_PlJ7is_evenIsEEEE10hipError_tPvRmT3_T4_T5_T6_T7_T9_mT8_P12ihipStream_tbDpT10_ENKUlT_T0_E_clISt17integral_constantIbLb0EES18_IbLb1EEEEDaS14_S15_EUlS14_E_NS1_11comp_targetILNS1_3genE8ELNS1_11target_archE1030ELNS1_3gpuE2ELNS1_3repE0EEENS1_30default_config_static_selectorELNS0_4arch9wavefront6targetE1EEEvT1_
	.p2align	8
	.type	_ZN7rocprim17ROCPRIM_400000_NS6detail17trampoline_kernelINS0_14default_configENS1_25partition_config_selectorILNS1_17partition_subalgoE0EsNS0_10empty_typeEbEEZZNS1_14partition_implILS5_0ELb0ES3_jN6thrust23THRUST_200600_302600_NS6detail15normal_iteratorINSA_10device_ptrIsEEEEPS6_SG_NS0_5tupleIJNSA_16discard_iteratorINSA_11use_defaultEEESK_EEENSH_IJSG_SG_EEES6_PlJ7is_evenIsEEEE10hipError_tPvRmT3_T4_T5_T6_T7_T9_mT8_P12ihipStream_tbDpT10_ENKUlT_T0_E_clISt17integral_constantIbLb0EES18_IbLb1EEEEDaS14_S15_EUlS14_E_NS1_11comp_targetILNS1_3genE8ELNS1_11target_archE1030ELNS1_3gpuE2ELNS1_3repE0EEENS1_30default_config_static_selectorELNS0_4arch9wavefront6targetE1EEEvT1_,@function
_ZN7rocprim17ROCPRIM_400000_NS6detail17trampoline_kernelINS0_14default_configENS1_25partition_config_selectorILNS1_17partition_subalgoE0EsNS0_10empty_typeEbEEZZNS1_14partition_implILS5_0ELb0ES3_jN6thrust23THRUST_200600_302600_NS6detail15normal_iteratorINSA_10device_ptrIsEEEEPS6_SG_NS0_5tupleIJNSA_16discard_iteratorINSA_11use_defaultEEESK_EEENSH_IJSG_SG_EEES6_PlJ7is_evenIsEEEE10hipError_tPvRmT3_T4_T5_T6_T7_T9_mT8_P12ihipStream_tbDpT10_ENKUlT_T0_E_clISt17integral_constantIbLb0EES18_IbLb1EEEEDaS14_S15_EUlS14_E_NS1_11comp_targetILNS1_3genE8ELNS1_11target_archE1030ELNS1_3gpuE2ELNS1_3repE0EEENS1_30default_config_static_selectorELNS0_4arch9wavefront6targetE1EEEvT1_: ; @_ZN7rocprim17ROCPRIM_400000_NS6detail17trampoline_kernelINS0_14default_configENS1_25partition_config_selectorILNS1_17partition_subalgoE0EsNS0_10empty_typeEbEEZZNS1_14partition_implILS5_0ELb0ES3_jN6thrust23THRUST_200600_302600_NS6detail15normal_iteratorINSA_10device_ptrIsEEEEPS6_SG_NS0_5tupleIJNSA_16discard_iteratorINSA_11use_defaultEEESK_EEENSH_IJSG_SG_EEES6_PlJ7is_evenIsEEEE10hipError_tPvRmT3_T4_T5_T6_T7_T9_mT8_P12ihipStream_tbDpT10_ENKUlT_T0_E_clISt17integral_constantIbLb0EES18_IbLb1EEEEDaS14_S15_EUlS14_E_NS1_11comp_targetILNS1_3genE8ELNS1_11target_archE1030ELNS1_3gpuE2ELNS1_3repE0EEENS1_30default_config_static_selectorELNS0_4arch9wavefront6targetE1EEEvT1_
; %bb.0:
	.section	.rodata,"a",@progbits
	.p2align	6, 0x0
	.amdhsa_kernel _ZN7rocprim17ROCPRIM_400000_NS6detail17trampoline_kernelINS0_14default_configENS1_25partition_config_selectorILNS1_17partition_subalgoE0EsNS0_10empty_typeEbEEZZNS1_14partition_implILS5_0ELb0ES3_jN6thrust23THRUST_200600_302600_NS6detail15normal_iteratorINSA_10device_ptrIsEEEEPS6_SG_NS0_5tupleIJNSA_16discard_iteratorINSA_11use_defaultEEESK_EEENSH_IJSG_SG_EEES6_PlJ7is_evenIsEEEE10hipError_tPvRmT3_T4_T5_T6_T7_T9_mT8_P12ihipStream_tbDpT10_ENKUlT_T0_E_clISt17integral_constantIbLb0EES18_IbLb1EEEEDaS14_S15_EUlS14_E_NS1_11comp_targetILNS1_3genE8ELNS1_11target_archE1030ELNS1_3gpuE2ELNS1_3repE0EEENS1_30default_config_static_selectorELNS0_4arch9wavefront6targetE1EEEvT1_
		.amdhsa_group_segment_fixed_size 0
		.amdhsa_private_segment_fixed_size 0
		.amdhsa_kernarg_size 152
		.amdhsa_user_sgpr_count 2
		.amdhsa_user_sgpr_dispatch_ptr 0
		.amdhsa_user_sgpr_queue_ptr 0
		.amdhsa_user_sgpr_kernarg_segment_ptr 1
		.amdhsa_user_sgpr_dispatch_id 0
		.amdhsa_user_sgpr_kernarg_preload_length 0
		.amdhsa_user_sgpr_kernarg_preload_offset 0
		.amdhsa_user_sgpr_private_segment_size 0
		.amdhsa_uses_dynamic_stack 0
		.amdhsa_enable_private_segment 0
		.amdhsa_system_sgpr_workgroup_id_x 1
		.amdhsa_system_sgpr_workgroup_id_y 0
		.amdhsa_system_sgpr_workgroup_id_z 0
		.amdhsa_system_sgpr_workgroup_info 0
		.amdhsa_system_vgpr_workitem_id 0
		.amdhsa_next_free_vgpr 1
		.amdhsa_next_free_sgpr 0
		.amdhsa_accum_offset 4
		.amdhsa_reserve_vcc 0
		.amdhsa_float_round_mode_32 0
		.amdhsa_float_round_mode_16_64 0
		.amdhsa_float_denorm_mode_32 3
		.amdhsa_float_denorm_mode_16_64 3
		.amdhsa_dx10_clamp 1
		.amdhsa_ieee_mode 1
		.amdhsa_fp16_overflow 0
		.amdhsa_tg_split 0
		.amdhsa_exception_fp_ieee_invalid_op 0
		.amdhsa_exception_fp_denorm_src 0
		.amdhsa_exception_fp_ieee_div_zero 0
		.amdhsa_exception_fp_ieee_overflow 0
		.amdhsa_exception_fp_ieee_underflow 0
		.amdhsa_exception_fp_ieee_inexact 0
		.amdhsa_exception_int_div_zero 0
	.end_amdhsa_kernel
	.section	.text._ZN7rocprim17ROCPRIM_400000_NS6detail17trampoline_kernelINS0_14default_configENS1_25partition_config_selectorILNS1_17partition_subalgoE0EsNS0_10empty_typeEbEEZZNS1_14partition_implILS5_0ELb0ES3_jN6thrust23THRUST_200600_302600_NS6detail15normal_iteratorINSA_10device_ptrIsEEEEPS6_SG_NS0_5tupleIJNSA_16discard_iteratorINSA_11use_defaultEEESK_EEENSH_IJSG_SG_EEES6_PlJ7is_evenIsEEEE10hipError_tPvRmT3_T4_T5_T6_T7_T9_mT8_P12ihipStream_tbDpT10_ENKUlT_T0_E_clISt17integral_constantIbLb0EES18_IbLb1EEEEDaS14_S15_EUlS14_E_NS1_11comp_targetILNS1_3genE8ELNS1_11target_archE1030ELNS1_3gpuE2ELNS1_3repE0EEENS1_30default_config_static_selectorELNS0_4arch9wavefront6targetE1EEEvT1_,"axG",@progbits,_ZN7rocprim17ROCPRIM_400000_NS6detail17trampoline_kernelINS0_14default_configENS1_25partition_config_selectorILNS1_17partition_subalgoE0EsNS0_10empty_typeEbEEZZNS1_14partition_implILS5_0ELb0ES3_jN6thrust23THRUST_200600_302600_NS6detail15normal_iteratorINSA_10device_ptrIsEEEEPS6_SG_NS0_5tupleIJNSA_16discard_iteratorINSA_11use_defaultEEESK_EEENSH_IJSG_SG_EEES6_PlJ7is_evenIsEEEE10hipError_tPvRmT3_T4_T5_T6_T7_T9_mT8_P12ihipStream_tbDpT10_ENKUlT_T0_E_clISt17integral_constantIbLb0EES18_IbLb1EEEEDaS14_S15_EUlS14_E_NS1_11comp_targetILNS1_3genE8ELNS1_11target_archE1030ELNS1_3gpuE2ELNS1_3repE0EEENS1_30default_config_static_selectorELNS0_4arch9wavefront6targetE1EEEvT1_,comdat
.Lfunc_end2810:
	.size	_ZN7rocprim17ROCPRIM_400000_NS6detail17trampoline_kernelINS0_14default_configENS1_25partition_config_selectorILNS1_17partition_subalgoE0EsNS0_10empty_typeEbEEZZNS1_14partition_implILS5_0ELb0ES3_jN6thrust23THRUST_200600_302600_NS6detail15normal_iteratorINSA_10device_ptrIsEEEEPS6_SG_NS0_5tupleIJNSA_16discard_iteratorINSA_11use_defaultEEESK_EEENSH_IJSG_SG_EEES6_PlJ7is_evenIsEEEE10hipError_tPvRmT3_T4_T5_T6_T7_T9_mT8_P12ihipStream_tbDpT10_ENKUlT_T0_E_clISt17integral_constantIbLb0EES18_IbLb1EEEEDaS14_S15_EUlS14_E_NS1_11comp_targetILNS1_3genE8ELNS1_11target_archE1030ELNS1_3gpuE2ELNS1_3repE0EEENS1_30default_config_static_selectorELNS0_4arch9wavefront6targetE1EEEvT1_, .Lfunc_end2810-_ZN7rocprim17ROCPRIM_400000_NS6detail17trampoline_kernelINS0_14default_configENS1_25partition_config_selectorILNS1_17partition_subalgoE0EsNS0_10empty_typeEbEEZZNS1_14partition_implILS5_0ELb0ES3_jN6thrust23THRUST_200600_302600_NS6detail15normal_iteratorINSA_10device_ptrIsEEEEPS6_SG_NS0_5tupleIJNSA_16discard_iteratorINSA_11use_defaultEEESK_EEENSH_IJSG_SG_EEES6_PlJ7is_evenIsEEEE10hipError_tPvRmT3_T4_T5_T6_T7_T9_mT8_P12ihipStream_tbDpT10_ENKUlT_T0_E_clISt17integral_constantIbLb0EES18_IbLb1EEEEDaS14_S15_EUlS14_E_NS1_11comp_targetILNS1_3genE8ELNS1_11target_archE1030ELNS1_3gpuE2ELNS1_3repE0EEENS1_30default_config_static_selectorELNS0_4arch9wavefront6targetE1EEEvT1_
                                        ; -- End function
	.section	.AMDGPU.csdata,"",@progbits
; Kernel info:
; codeLenInByte = 0
; NumSgprs: 6
; NumVgprs: 0
; NumAgprs: 0
; TotalNumVgprs: 0
; ScratchSize: 0
; MemoryBound: 0
; FloatMode: 240
; IeeeMode: 1
; LDSByteSize: 0 bytes/workgroup (compile time only)
; SGPRBlocks: 0
; VGPRBlocks: 0
; NumSGPRsForWavesPerEU: 6
; NumVGPRsForWavesPerEU: 1
; AccumOffset: 4
; Occupancy: 8
; WaveLimiterHint : 0
; COMPUTE_PGM_RSRC2:SCRATCH_EN: 0
; COMPUTE_PGM_RSRC2:USER_SGPR: 2
; COMPUTE_PGM_RSRC2:TRAP_HANDLER: 0
; COMPUTE_PGM_RSRC2:TGID_X_EN: 1
; COMPUTE_PGM_RSRC2:TGID_Y_EN: 0
; COMPUTE_PGM_RSRC2:TGID_Z_EN: 0
; COMPUTE_PGM_RSRC2:TIDIG_COMP_CNT: 0
; COMPUTE_PGM_RSRC3_GFX90A:ACCUM_OFFSET: 0
; COMPUTE_PGM_RSRC3_GFX90A:TG_SPLIT: 0
	.section	.text._ZN7rocprim17ROCPRIM_400000_NS6detail17trampoline_kernelINS0_14default_configENS1_25partition_config_selectorILNS1_17partition_subalgoE0EsNS0_10empty_typeEbEEZZNS1_14partition_implILS5_0ELb0ES3_jN6thrust23THRUST_200600_302600_NS6detail15normal_iteratorINSA_10device_ptrIsEEEEPS6_SG_NS0_5tupleIJSF_NSA_16discard_iteratorINSA_11use_defaultEEEEEENSH_IJSG_SG_EEES6_PlJ7is_evenIsEEEE10hipError_tPvRmT3_T4_T5_T6_T7_T9_mT8_P12ihipStream_tbDpT10_ENKUlT_T0_E_clISt17integral_constantIbLb0EES19_EEDaS14_S15_EUlS14_E_NS1_11comp_targetILNS1_3genE0ELNS1_11target_archE4294967295ELNS1_3gpuE0ELNS1_3repE0EEENS1_30default_config_static_selectorELNS0_4arch9wavefront6targetE1EEEvT1_,"axG",@progbits,_ZN7rocprim17ROCPRIM_400000_NS6detail17trampoline_kernelINS0_14default_configENS1_25partition_config_selectorILNS1_17partition_subalgoE0EsNS0_10empty_typeEbEEZZNS1_14partition_implILS5_0ELb0ES3_jN6thrust23THRUST_200600_302600_NS6detail15normal_iteratorINSA_10device_ptrIsEEEEPS6_SG_NS0_5tupleIJSF_NSA_16discard_iteratorINSA_11use_defaultEEEEEENSH_IJSG_SG_EEES6_PlJ7is_evenIsEEEE10hipError_tPvRmT3_T4_T5_T6_T7_T9_mT8_P12ihipStream_tbDpT10_ENKUlT_T0_E_clISt17integral_constantIbLb0EES19_EEDaS14_S15_EUlS14_E_NS1_11comp_targetILNS1_3genE0ELNS1_11target_archE4294967295ELNS1_3gpuE0ELNS1_3repE0EEENS1_30default_config_static_selectorELNS0_4arch9wavefront6targetE1EEEvT1_,comdat
	.protected	_ZN7rocprim17ROCPRIM_400000_NS6detail17trampoline_kernelINS0_14default_configENS1_25partition_config_selectorILNS1_17partition_subalgoE0EsNS0_10empty_typeEbEEZZNS1_14partition_implILS5_0ELb0ES3_jN6thrust23THRUST_200600_302600_NS6detail15normal_iteratorINSA_10device_ptrIsEEEEPS6_SG_NS0_5tupleIJSF_NSA_16discard_iteratorINSA_11use_defaultEEEEEENSH_IJSG_SG_EEES6_PlJ7is_evenIsEEEE10hipError_tPvRmT3_T4_T5_T6_T7_T9_mT8_P12ihipStream_tbDpT10_ENKUlT_T0_E_clISt17integral_constantIbLb0EES19_EEDaS14_S15_EUlS14_E_NS1_11comp_targetILNS1_3genE0ELNS1_11target_archE4294967295ELNS1_3gpuE0ELNS1_3repE0EEENS1_30default_config_static_selectorELNS0_4arch9wavefront6targetE1EEEvT1_ ; -- Begin function _ZN7rocprim17ROCPRIM_400000_NS6detail17trampoline_kernelINS0_14default_configENS1_25partition_config_selectorILNS1_17partition_subalgoE0EsNS0_10empty_typeEbEEZZNS1_14partition_implILS5_0ELb0ES3_jN6thrust23THRUST_200600_302600_NS6detail15normal_iteratorINSA_10device_ptrIsEEEEPS6_SG_NS0_5tupleIJSF_NSA_16discard_iteratorINSA_11use_defaultEEEEEENSH_IJSG_SG_EEES6_PlJ7is_evenIsEEEE10hipError_tPvRmT3_T4_T5_T6_T7_T9_mT8_P12ihipStream_tbDpT10_ENKUlT_T0_E_clISt17integral_constantIbLb0EES19_EEDaS14_S15_EUlS14_E_NS1_11comp_targetILNS1_3genE0ELNS1_11target_archE4294967295ELNS1_3gpuE0ELNS1_3repE0EEENS1_30default_config_static_selectorELNS0_4arch9wavefront6targetE1EEEvT1_
	.globl	_ZN7rocprim17ROCPRIM_400000_NS6detail17trampoline_kernelINS0_14default_configENS1_25partition_config_selectorILNS1_17partition_subalgoE0EsNS0_10empty_typeEbEEZZNS1_14partition_implILS5_0ELb0ES3_jN6thrust23THRUST_200600_302600_NS6detail15normal_iteratorINSA_10device_ptrIsEEEEPS6_SG_NS0_5tupleIJSF_NSA_16discard_iteratorINSA_11use_defaultEEEEEENSH_IJSG_SG_EEES6_PlJ7is_evenIsEEEE10hipError_tPvRmT3_T4_T5_T6_T7_T9_mT8_P12ihipStream_tbDpT10_ENKUlT_T0_E_clISt17integral_constantIbLb0EES19_EEDaS14_S15_EUlS14_E_NS1_11comp_targetILNS1_3genE0ELNS1_11target_archE4294967295ELNS1_3gpuE0ELNS1_3repE0EEENS1_30default_config_static_selectorELNS0_4arch9wavefront6targetE1EEEvT1_
	.p2align	8
	.type	_ZN7rocprim17ROCPRIM_400000_NS6detail17trampoline_kernelINS0_14default_configENS1_25partition_config_selectorILNS1_17partition_subalgoE0EsNS0_10empty_typeEbEEZZNS1_14partition_implILS5_0ELb0ES3_jN6thrust23THRUST_200600_302600_NS6detail15normal_iteratorINSA_10device_ptrIsEEEEPS6_SG_NS0_5tupleIJSF_NSA_16discard_iteratorINSA_11use_defaultEEEEEENSH_IJSG_SG_EEES6_PlJ7is_evenIsEEEE10hipError_tPvRmT3_T4_T5_T6_T7_T9_mT8_P12ihipStream_tbDpT10_ENKUlT_T0_E_clISt17integral_constantIbLb0EES19_EEDaS14_S15_EUlS14_E_NS1_11comp_targetILNS1_3genE0ELNS1_11target_archE4294967295ELNS1_3gpuE0ELNS1_3repE0EEENS1_30default_config_static_selectorELNS0_4arch9wavefront6targetE1EEEvT1_,@function
_ZN7rocprim17ROCPRIM_400000_NS6detail17trampoline_kernelINS0_14default_configENS1_25partition_config_selectorILNS1_17partition_subalgoE0EsNS0_10empty_typeEbEEZZNS1_14partition_implILS5_0ELb0ES3_jN6thrust23THRUST_200600_302600_NS6detail15normal_iteratorINSA_10device_ptrIsEEEEPS6_SG_NS0_5tupleIJSF_NSA_16discard_iteratorINSA_11use_defaultEEEEEENSH_IJSG_SG_EEES6_PlJ7is_evenIsEEEE10hipError_tPvRmT3_T4_T5_T6_T7_T9_mT8_P12ihipStream_tbDpT10_ENKUlT_T0_E_clISt17integral_constantIbLb0EES19_EEDaS14_S15_EUlS14_E_NS1_11comp_targetILNS1_3genE0ELNS1_11target_archE4294967295ELNS1_3gpuE0ELNS1_3repE0EEENS1_30default_config_static_selectorELNS0_4arch9wavefront6targetE1EEEvT1_: ; @_ZN7rocprim17ROCPRIM_400000_NS6detail17trampoline_kernelINS0_14default_configENS1_25partition_config_selectorILNS1_17partition_subalgoE0EsNS0_10empty_typeEbEEZZNS1_14partition_implILS5_0ELb0ES3_jN6thrust23THRUST_200600_302600_NS6detail15normal_iteratorINSA_10device_ptrIsEEEEPS6_SG_NS0_5tupleIJSF_NSA_16discard_iteratorINSA_11use_defaultEEEEEENSH_IJSG_SG_EEES6_PlJ7is_evenIsEEEE10hipError_tPvRmT3_T4_T5_T6_T7_T9_mT8_P12ihipStream_tbDpT10_ENKUlT_T0_E_clISt17integral_constantIbLb0EES19_EEDaS14_S15_EUlS14_E_NS1_11comp_targetILNS1_3genE0ELNS1_11target_archE4294967295ELNS1_3gpuE0ELNS1_3repE0EEENS1_30default_config_static_selectorELNS0_4arch9wavefront6targetE1EEEvT1_
; %bb.0:
	.section	.rodata,"a",@progbits
	.p2align	6, 0x0
	.amdhsa_kernel _ZN7rocprim17ROCPRIM_400000_NS6detail17trampoline_kernelINS0_14default_configENS1_25partition_config_selectorILNS1_17partition_subalgoE0EsNS0_10empty_typeEbEEZZNS1_14partition_implILS5_0ELb0ES3_jN6thrust23THRUST_200600_302600_NS6detail15normal_iteratorINSA_10device_ptrIsEEEEPS6_SG_NS0_5tupleIJSF_NSA_16discard_iteratorINSA_11use_defaultEEEEEENSH_IJSG_SG_EEES6_PlJ7is_evenIsEEEE10hipError_tPvRmT3_T4_T5_T6_T7_T9_mT8_P12ihipStream_tbDpT10_ENKUlT_T0_E_clISt17integral_constantIbLb0EES19_EEDaS14_S15_EUlS14_E_NS1_11comp_targetILNS1_3genE0ELNS1_11target_archE4294967295ELNS1_3gpuE0ELNS1_3repE0EEENS1_30default_config_static_selectorELNS0_4arch9wavefront6targetE1EEEvT1_
		.amdhsa_group_segment_fixed_size 0
		.amdhsa_private_segment_fixed_size 0
		.amdhsa_kernarg_size 128
		.amdhsa_user_sgpr_count 2
		.amdhsa_user_sgpr_dispatch_ptr 0
		.amdhsa_user_sgpr_queue_ptr 0
		.amdhsa_user_sgpr_kernarg_segment_ptr 1
		.amdhsa_user_sgpr_dispatch_id 0
		.amdhsa_user_sgpr_kernarg_preload_length 0
		.amdhsa_user_sgpr_kernarg_preload_offset 0
		.amdhsa_user_sgpr_private_segment_size 0
		.amdhsa_uses_dynamic_stack 0
		.amdhsa_enable_private_segment 0
		.amdhsa_system_sgpr_workgroup_id_x 1
		.amdhsa_system_sgpr_workgroup_id_y 0
		.amdhsa_system_sgpr_workgroup_id_z 0
		.amdhsa_system_sgpr_workgroup_info 0
		.amdhsa_system_vgpr_workitem_id 0
		.amdhsa_next_free_vgpr 1
		.amdhsa_next_free_sgpr 0
		.amdhsa_accum_offset 4
		.amdhsa_reserve_vcc 0
		.amdhsa_float_round_mode_32 0
		.amdhsa_float_round_mode_16_64 0
		.amdhsa_float_denorm_mode_32 3
		.amdhsa_float_denorm_mode_16_64 3
		.amdhsa_dx10_clamp 1
		.amdhsa_ieee_mode 1
		.amdhsa_fp16_overflow 0
		.amdhsa_tg_split 0
		.amdhsa_exception_fp_ieee_invalid_op 0
		.amdhsa_exception_fp_denorm_src 0
		.amdhsa_exception_fp_ieee_div_zero 0
		.amdhsa_exception_fp_ieee_overflow 0
		.amdhsa_exception_fp_ieee_underflow 0
		.amdhsa_exception_fp_ieee_inexact 0
		.amdhsa_exception_int_div_zero 0
	.end_amdhsa_kernel
	.section	.text._ZN7rocprim17ROCPRIM_400000_NS6detail17trampoline_kernelINS0_14default_configENS1_25partition_config_selectorILNS1_17partition_subalgoE0EsNS0_10empty_typeEbEEZZNS1_14partition_implILS5_0ELb0ES3_jN6thrust23THRUST_200600_302600_NS6detail15normal_iteratorINSA_10device_ptrIsEEEEPS6_SG_NS0_5tupleIJSF_NSA_16discard_iteratorINSA_11use_defaultEEEEEENSH_IJSG_SG_EEES6_PlJ7is_evenIsEEEE10hipError_tPvRmT3_T4_T5_T6_T7_T9_mT8_P12ihipStream_tbDpT10_ENKUlT_T0_E_clISt17integral_constantIbLb0EES19_EEDaS14_S15_EUlS14_E_NS1_11comp_targetILNS1_3genE0ELNS1_11target_archE4294967295ELNS1_3gpuE0ELNS1_3repE0EEENS1_30default_config_static_selectorELNS0_4arch9wavefront6targetE1EEEvT1_,"axG",@progbits,_ZN7rocprim17ROCPRIM_400000_NS6detail17trampoline_kernelINS0_14default_configENS1_25partition_config_selectorILNS1_17partition_subalgoE0EsNS0_10empty_typeEbEEZZNS1_14partition_implILS5_0ELb0ES3_jN6thrust23THRUST_200600_302600_NS6detail15normal_iteratorINSA_10device_ptrIsEEEEPS6_SG_NS0_5tupleIJSF_NSA_16discard_iteratorINSA_11use_defaultEEEEEENSH_IJSG_SG_EEES6_PlJ7is_evenIsEEEE10hipError_tPvRmT3_T4_T5_T6_T7_T9_mT8_P12ihipStream_tbDpT10_ENKUlT_T0_E_clISt17integral_constantIbLb0EES19_EEDaS14_S15_EUlS14_E_NS1_11comp_targetILNS1_3genE0ELNS1_11target_archE4294967295ELNS1_3gpuE0ELNS1_3repE0EEENS1_30default_config_static_selectorELNS0_4arch9wavefront6targetE1EEEvT1_,comdat
.Lfunc_end2811:
	.size	_ZN7rocprim17ROCPRIM_400000_NS6detail17trampoline_kernelINS0_14default_configENS1_25partition_config_selectorILNS1_17partition_subalgoE0EsNS0_10empty_typeEbEEZZNS1_14partition_implILS5_0ELb0ES3_jN6thrust23THRUST_200600_302600_NS6detail15normal_iteratorINSA_10device_ptrIsEEEEPS6_SG_NS0_5tupleIJSF_NSA_16discard_iteratorINSA_11use_defaultEEEEEENSH_IJSG_SG_EEES6_PlJ7is_evenIsEEEE10hipError_tPvRmT3_T4_T5_T6_T7_T9_mT8_P12ihipStream_tbDpT10_ENKUlT_T0_E_clISt17integral_constantIbLb0EES19_EEDaS14_S15_EUlS14_E_NS1_11comp_targetILNS1_3genE0ELNS1_11target_archE4294967295ELNS1_3gpuE0ELNS1_3repE0EEENS1_30default_config_static_selectorELNS0_4arch9wavefront6targetE1EEEvT1_, .Lfunc_end2811-_ZN7rocprim17ROCPRIM_400000_NS6detail17trampoline_kernelINS0_14default_configENS1_25partition_config_selectorILNS1_17partition_subalgoE0EsNS0_10empty_typeEbEEZZNS1_14partition_implILS5_0ELb0ES3_jN6thrust23THRUST_200600_302600_NS6detail15normal_iteratorINSA_10device_ptrIsEEEEPS6_SG_NS0_5tupleIJSF_NSA_16discard_iteratorINSA_11use_defaultEEEEEENSH_IJSG_SG_EEES6_PlJ7is_evenIsEEEE10hipError_tPvRmT3_T4_T5_T6_T7_T9_mT8_P12ihipStream_tbDpT10_ENKUlT_T0_E_clISt17integral_constantIbLb0EES19_EEDaS14_S15_EUlS14_E_NS1_11comp_targetILNS1_3genE0ELNS1_11target_archE4294967295ELNS1_3gpuE0ELNS1_3repE0EEENS1_30default_config_static_selectorELNS0_4arch9wavefront6targetE1EEEvT1_
                                        ; -- End function
	.section	.AMDGPU.csdata,"",@progbits
; Kernel info:
; codeLenInByte = 0
; NumSgprs: 6
; NumVgprs: 0
; NumAgprs: 0
; TotalNumVgprs: 0
; ScratchSize: 0
; MemoryBound: 0
; FloatMode: 240
; IeeeMode: 1
; LDSByteSize: 0 bytes/workgroup (compile time only)
; SGPRBlocks: 0
; VGPRBlocks: 0
; NumSGPRsForWavesPerEU: 6
; NumVGPRsForWavesPerEU: 1
; AccumOffset: 4
; Occupancy: 8
; WaveLimiterHint : 0
; COMPUTE_PGM_RSRC2:SCRATCH_EN: 0
; COMPUTE_PGM_RSRC2:USER_SGPR: 2
; COMPUTE_PGM_RSRC2:TRAP_HANDLER: 0
; COMPUTE_PGM_RSRC2:TGID_X_EN: 1
; COMPUTE_PGM_RSRC2:TGID_Y_EN: 0
; COMPUTE_PGM_RSRC2:TGID_Z_EN: 0
; COMPUTE_PGM_RSRC2:TIDIG_COMP_CNT: 0
; COMPUTE_PGM_RSRC3_GFX90A:ACCUM_OFFSET: 0
; COMPUTE_PGM_RSRC3_GFX90A:TG_SPLIT: 0
	.section	.text._ZN7rocprim17ROCPRIM_400000_NS6detail17trampoline_kernelINS0_14default_configENS1_25partition_config_selectorILNS1_17partition_subalgoE0EsNS0_10empty_typeEbEEZZNS1_14partition_implILS5_0ELb0ES3_jN6thrust23THRUST_200600_302600_NS6detail15normal_iteratorINSA_10device_ptrIsEEEEPS6_SG_NS0_5tupleIJSF_NSA_16discard_iteratorINSA_11use_defaultEEEEEENSH_IJSG_SG_EEES6_PlJ7is_evenIsEEEE10hipError_tPvRmT3_T4_T5_T6_T7_T9_mT8_P12ihipStream_tbDpT10_ENKUlT_T0_E_clISt17integral_constantIbLb0EES19_EEDaS14_S15_EUlS14_E_NS1_11comp_targetILNS1_3genE5ELNS1_11target_archE942ELNS1_3gpuE9ELNS1_3repE0EEENS1_30default_config_static_selectorELNS0_4arch9wavefront6targetE1EEEvT1_,"axG",@progbits,_ZN7rocprim17ROCPRIM_400000_NS6detail17trampoline_kernelINS0_14default_configENS1_25partition_config_selectorILNS1_17partition_subalgoE0EsNS0_10empty_typeEbEEZZNS1_14partition_implILS5_0ELb0ES3_jN6thrust23THRUST_200600_302600_NS6detail15normal_iteratorINSA_10device_ptrIsEEEEPS6_SG_NS0_5tupleIJSF_NSA_16discard_iteratorINSA_11use_defaultEEEEEENSH_IJSG_SG_EEES6_PlJ7is_evenIsEEEE10hipError_tPvRmT3_T4_T5_T6_T7_T9_mT8_P12ihipStream_tbDpT10_ENKUlT_T0_E_clISt17integral_constantIbLb0EES19_EEDaS14_S15_EUlS14_E_NS1_11comp_targetILNS1_3genE5ELNS1_11target_archE942ELNS1_3gpuE9ELNS1_3repE0EEENS1_30default_config_static_selectorELNS0_4arch9wavefront6targetE1EEEvT1_,comdat
	.protected	_ZN7rocprim17ROCPRIM_400000_NS6detail17trampoline_kernelINS0_14default_configENS1_25partition_config_selectorILNS1_17partition_subalgoE0EsNS0_10empty_typeEbEEZZNS1_14partition_implILS5_0ELb0ES3_jN6thrust23THRUST_200600_302600_NS6detail15normal_iteratorINSA_10device_ptrIsEEEEPS6_SG_NS0_5tupleIJSF_NSA_16discard_iteratorINSA_11use_defaultEEEEEENSH_IJSG_SG_EEES6_PlJ7is_evenIsEEEE10hipError_tPvRmT3_T4_T5_T6_T7_T9_mT8_P12ihipStream_tbDpT10_ENKUlT_T0_E_clISt17integral_constantIbLb0EES19_EEDaS14_S15_EUlS14_E_NS1_11comp_targetILNS1_3genE5ELNS1_11target_archE942ELNS1_3gpuE9ELNS1_3repE0EEENS1_30default_config_static_selectorELNS0_4arch9wavefront6targetE1EEEvT1_ ; -- Begin function _ZN7rocprim17ROCPRIM_400000_NS6detail17trampoline_kernelINS0_14default_configENS1_25partition_config_selectorILNS1_17partition_subalgoE0EsNS0_10empty_typeEbEEZZNS1_14partition_implILS5_0ELb0ES3_jN6thrust23THRUST_200600_302600_NS6detail15normal_iteratorINSA_10device_ptrIsEEEEPS6_SG_NS0_5tupleIJSF_NSA_16discard_iteratorINSA_11use_defaultEEEEEENSH_IJSG_SG_EEES6_PlJ7is_evenIsEEEE10hipError_tPvRmT3_T4_T5_T6_T7_T9_mT8_P12ihipStream_tbDpT10_ENKUlT_T0_E_clISt17integral_constantIbLb0EES19_EEDaS14_S15_EUlS14_E_NS1_11comp_targetILNS1_3genE5ELNS1_11target_archE942ELNS1_3gpuE9ELNS1_3repE0EEENS1_30default_config_static_selectorELNS0_4arch9wavefront6targetE1EEEvT1_
	.globl	_ZN7rocprim17ROCPRIM_400000_NS6detail17trampoline_kernelINS0_14default_configENS1_25partition_config_selectorILNS1_17partition_subalgoE0EsNS0_10empty_typeEbEEZZNS1_14partition_implILS5_0ELb0ES3_jN6thrust23THRUST_200600_302600_NS6detail15normal_iteratorINSA_10device_ptrIsEEEEPS6_SG_NS0_5tupleIJSF_NSA_16discard_iteratorINSA_11use_defaultEEEEEENSH_IJSG_SG_EEES6_PlJ7is_evenIsEEEE10hipError_tPvRmT3_T4_T5_T6_T7_T9_mT8_P12ihipStream_tbDpT10_ENKUlT_T0_E_clISt17integral_constantIbLb0EES19_EEDaS14_S15_EUlS14_E_NS1_11comp_targetILNS1_3genE5ELNS1_11target_archE942ELNS1_3gpuE9ELNS1_3repE0EEENS1_30default_config_static_selectorELNS0_4arch9wavefront6targetE1EEEvT1_
	.p2align	8
	.type	_ZN7rocprim17ROCPRIM_400000_NS6detail17trampoline_kernelINS0_14default_configENS1_25partition_config_selectorILNS1_17partition_subalgoE0EsNS0_10empty_typeEbEEZZNS1_14partition_implILS5_0ELb0ES3_jN6thrust23THRUST_200600_302600_NS6detail15normal_iteratorINSA_10device_ptrIsEEEEPS6_SG_NS0_5tupleIJSF_NSA_16discard_iteratorINSA_11use_defaultEEEEEENSH_IJSG_SG_EEES6_PlJ7is_evenIsEEEE10hipError_tPvRmT3_T4_T5_T6_T7_T9_mT8_P12ihipStream_tbDpT10_ENKUlT_T0_E_clISt17integral_constantIbLb0EES19_EEDaS14_S15_EUlS14_E_NS1_11comp_targetILNS1_3genE5ELNS1_11target_archE942ELNS1_3gpuE9ELNS1_3repE0EEENS1_30default_config_static_selectorELNS0_4arch9wavefront6targetE1EEEvT1_,@function
_ZN7rocprim17ROCPRIM_400000_NS6detail17trampoline_kernelINS0_14default_configENS1_25partition_config_selectorILNS1_17partition_subalgoE0EsNS0_10empty_typeEbEEZZNS1_14partition_implILS5_0ELb0ES3_jN6thrust23THRUST_200600_302600_NS6detail15normal_iteratorINSA_10device_ptrIsEEEEPS6_SG_NS0_5tupleIJSF_NSA_16discard_iteratorINSA_11use_defaultEEEEEENSH_IJSG_SG_EEES6_PlJ7is_evenIsEEEE10hipError_tPvRmT3_T4_T5_T6_T7_T9_mT8_P12ihipStream_tbDpT10_ENKUlT_T0_E_clISt17integral_constantIbLb0EES19_EEDaS14_S15_EUlS14_E_NS1_11comp_targetILNS1_3genE5ELNS1_11target_archE942ELNS1_3gpuE9ELNS1_3repE0EEENS1_30default_config_static_selectorELNS0_4arch9wavefront6targetE1EEEvT1_: ; @_ZN7rocprim17ROCPRIM_400000_NS6detail17trampoline_kernelINS0_14default_configENS1_25partition_config_selectorILNS1_17partition_subalgoE0EsNS0_10empty_typeEbEEZZNS1_14partition_implILS5_0ELb0ES3_jN6thrust23THRUST_200600_302600_NS6detail15normal_iteratorINSA_10device_ptrIsEEEEPS6_SG_NS0_5tupleIJSF_NSA_16discard_iteratorINSA_11use_defaultEEEEEENSH_IJSG_SG_EEES6_PlJ7is_evenIsEEEE10hipError_tPvRmT3_T4_T5_T6_T7_T9_mT8_P12ihipStream_tbDpT10_ENKUlT_T0_E_clISt17integral_constantIbLb0EES19_EEDaS14_S15_EUlS14_E_NS1_11comp_targetILNS1_3genE5ELNS1_11target_archE942ELNS1_3gpuE9ELNS1_3repE0EEENS1_30default_config_static_selectorELNS0_4arch9wavefront6targetE1EEEvT1_
; %bb.0:
	s_load_dwordx2 s[8:9], s[0:1], 0x60
	s_load_dwordx4 s[4:7], s[0:1], 0x8
	s_load_dwordx4 s[24:27], s[0:1], 0x50
	s_load_dword s3, s[0:1], 0x78
	s_waitcnt lgkmcnt(0)
	v_mov_b32_e32 v3, s9
	s_lshl_b64 s[10:11], s[6:7], 1
	s_add_u32 s9, s4, s10
	s_addc_u32 s12, s5, s11
	s_add_i32 s13, s3, -1
	s_mulk_i32 s3, 0x3c00
	s_add_i32 s4, s3, s6
	s_sub_i32 s33, s8, s4
	s_add_u32 s4, s6, s3
	s_addc_u32 s5, s7, 0
	s_cmp_eq_u32 s2, s13
	v_mov_b32_e32 v2, s8
	s_load_dwordx2 s[22:23], s[26:27], 0x0
	s_cselect_b64 s[26:27], -1, 0
	s_cmp_lg_u32 s2, s13
	s_mul_i32 s10, s2, 0x3c00
	s_mov_b32 s11, 0
	v_cmp_lt_u64_e32 vcc, s[4:5], v[2:3]
	s_cselect_b64 s[4:5], -1, 0
	s_or_b64 s[4:5], s[4:5], vcc
	s_lshl_b64 s[6:7], s[10:11], 1
	s_add_u32 s6, s9, s6
	s_addc_u32 s7, s12, s7
	s_mov_b64 s[8:9], -1
	s_and_b64 vcc, exec, s[4:5]
	v_lshlrev_b32_e32 v2, 1, v0
	s_cbranch_vccz .LBB2812_2
; %bb.1:
	v_mov_b32_e32 v3, 0
	v_lshl_add_u64 v[4:5], s[6:7], 0, v[2:3]
	v_add_co_u32_e32 v6, vcc, 0x1000, v4
	s_mov_b64 s[8:9], 0
	s_nop 0
	v_addc_co_u32_e32 v7, vcc, 0, v5, vcc
	flat_load_ushort v1, v[4:5]
	flat_load_ushort v3, v[4:5] offset:1024
	flat_load_ushort v10, v[4:5] offset:2048
	flat_load_ushort v11, v[4:5] offset:3072
	flat_load_ushort v12, v[6:7]
	flat_load_ushort v13, v[6:7] offset:1024
	flat_load_ushort v14, v[6:7] offset:2048
	flat_load_ushort v15, v[6:7] offset:3072
	v_add_co_u32_e32 v6, vcc, 0x2000, v4
	s_nop 1
	v_addc_co_u32_e32 v7, vcc, 0, v5, vcc
	v_add_co_u32_e32 v8, vcc, 0x3000, v4
	s_nop 1
	v_addc_co_u32_e32 v9, vcc, 0, v5, vcc
	flat_load_ushort v16, v[6:7]
	flat_load_ushort v17, v[6:7] offset:1024
	flat_load_ushort v18, v[6:7] offset:2048
	flat_load_ushort v19, v[6:7] offset:3072
	flat_load_ushort v20, v[8:9]
	flat_load_ushort v21, v[8:9] offset:1024
	flat_load_ushort v22, v[8:9] offset:2048
	flat_load_ushort v23, v[8:9] offset:3072
	v_add_co_u32_e32 v6, vcc, 0x4000, v4
	s_nop 1
	v_addc_co_u32_e32 v7, vcc, 0, v5, vcc
	v_add_co_u32_e32 v8, vcc, 0x5000, v4
	;; [unrolled: 14-line block ×3, first 2 shown]
	s_nop 1
	v_addc_co_u32_e32 v5, vcc, 0, v5, vcc
	flat_load_ushort v8, v[6:7]
	flat_load_ushort v9, v[6:7] offset:1024
	flat_load_ushort v32, v[6:7] offset:2048
	;; [unrolled: 1-line block ×3, first 2 shown]
	flat_load_ushort v34, v[4:5]
	flat_load_ushort v35, v[4:5] offset:1024
	s_waitcnt vmcnt(0) lgkmcnt(0)
	ds_write_b16 v2, v1
	ds_write_b16 v2, v3 offset:1024
	ds_write_b16 v2, v10 offset:2048
	;; [unrolled: 1-line block ×29, first 2 shown]
	s_waitcnt lgkmcnt(0)
	s_barrier
.LBB2812_2:
	s_andn2_b64 vcc, exec, s[8:9]
	s_addk_i32 s33, 0x3c00
	s_cbranch_vccnz .LBB2812_64
; %bb.3:
	v_cmp_gt_u32_e32 vcc, s33, v0
                                        ; implicit-def: $vgpr1
	s_and_saveexec_b64 s[8:9], vcc
	s_cbranch_execz .LBB2812_5
; %bb.4:
	v_mov_b32_e32 v3, 0
	v_lshl_add_u64 v[4:5], s[6:7], 0, v[2:3]
	flat_load_ushort v1, v[4:5]
.LBB2812_5:
	s_or_b64 exec, exec, s[8:9]
	v_or_b32_e32 v3, 0x200, v0
	v_cmp_gt_u32_e32 vcc, s33, v3
                                        ; implicit-def: $vgpr4
	s_and_saveexec_b64 s[8:9], vcc
	s_cbranch_execz .LBB2812_7
; %bb.6:
	v_mov_b32_e32 v3, 0
	v_lshl_add_u64 v[4:5], s[6:7], 0, v[2:3]
	flat_load_ushort v4, v[4:5] offset:1024
.LBB2812_7:
	s_or_b64 exec, exec, s[8:9]
	v_or_b32_e32 v3, 0x400, v0
	v_cmp_gt_u32_e32 vcc, s33, v3
                                        ; implicit-def: $vgpr5
	s_and_saveexec_b64 s[8:9], vcc
	s_cbranch_execz .LBB2812_9
; %bb.8:
	v_mov_b32_e32 v3, 0
	v_lshl_add_u64 v[6:7], s[6:7], 0, v[2:3]
	flat_load_ushort v5, v[6:7] offset:2048
.LBB2812_9:
	s_or_b64 exec, exec, s[8:9]
	v_or_b32_e32 v3, 0x600, v0
	v_cmp_gt_u32_e32 vcc, s33, v3
                                        ; implicit-def: $vgpr3
	s_and_saveexec_b64 s[8:9], vcc
	s_cbranch_execz .LBB2812_11
; %bb.10:
	v_mov_b32_e32 v3, 0
	v_lshl_add_u64 v[6:7], s[6:7], 0, v[2:3]
	flat_load_ushort v3, v[6:7] offset:3072
.LBB2812_11:
	s_or_b64 exec, exec, s[8:9]
	v_or_b32_e32 v7, 0x800, v0
	v_cmp_gt_u32_e32 vcc, s33, v7
                                        ; implicit-def: $vgpr6
	s_and_saveexec_b64 s[8:9], vcc
	s_cbranch_execz .LBB2812_13
; %bb.12:
	v_lshlrev_b32_e32 v6, 1, v7
	v_mov_b32_e32 v7, 0
	v_lshl_add_u64 v[6:7], s[6:7], 0, v[6:7]
	flat_load_ushort v6, v[6:7]
.LBB2812_13:
	s_or_b64 exec, exec, s[8:9]
	v_or_b32_e32 v8, 0xa00, v0
	v_cmp_gt_u32_e32 vcc, s33, v8
                                        ; implicit-def: $vgpr7
	s_and_saveexec_b64 s[8:9], vcc
	s_cbranch_execz .LBB2812_15
; %bb.14:
	v_lshlrev_b32_e32 v8, 1, v8
	v_mov_b32_e32 v9, 0
	v_lshl_add_u64 v[8:9], s[6:7], 0, v[8:9]
	flat_load_ushort v7, v[8:9]
.LBB2812_15:
	s_or_b64 exec, exec, s[8:9]
	v_or_b32_e32 v9, 0xc00, v0
	v_cmp_gt_u32_e32 vcc, s33, v9
                                        ; implicit-def: $vgpr8
	s_and_saveexec_b64 s[8:9], vcc
	s_cbranch_execz .LBB2812_17
; %bb.16:
	v_lshlrev_b32_e32 v8, 1, v9
	v_mov_b32_e32 v9, 0
	v_lshl_add_u64 v[8:9], s[6:7], 0, v[8:9]
	flat_load_ushort v8, v[8:9]
.LBB2812_17:
	s_or_b64 exec, exec, s[8:9]
	v_or_b32_e32 v10, 0xe00, v0
	v_cmp_gt_u32_e32 vcc, s33, v10
                                        ; implicit-def: $vgpr9
	s_and_saveexec_b64 s[8:9], vcc
	s_cbranch_execz .LBB2812_19
; %bb.18:
	v_lshlrev_b32_e32 v10, 1, v10
	v_mov_b32_e32 v11, 0
	v_lshl_add_u64 v[10:11], s[6:7], 0, v[10:11]
	flat_load_ushort v9, v[10:11]
.LBB2812_19:
	s_or_b64 exec, exec, s[8:9]
	v_or_b32_e32 v11, 0x1000, v0
	v_cmp_gt_u32_e32 vcc, s33, v11
                                        ; implicit-def: $vgpr10
	s_and_saveexec_b64 s[8:9], vcc
	s_cbranch_execz .LBB2812_21
; %bb.20:
	v_lshlrev_b32_e32 v10, 1, v11
	v_mov_b32_e32 v11, 0
	v_lshl_add_u64 v[10:11], s[6:7], 0, v[10:11]
	flat_load_ushort v10, v[10:11]
.LBB2812_21:
	s_or_b64 exec, exec, s[8:9]
	v_or_b32_e32 v12, 0x1200, v0
	v_cmp_gt_u32_e32 vcc, s33, v12
                                        ; implicit-def: $vgpr11
	s_and_saveexec_b64 s[8:9], vcc
	s_cbranch_execz .LBB2812_23
; %bb.22:
	v_lshlrev_b32_e32 v12, 1, v12
	v_mov_b32_e32 v13, 0
	v_lshl_add_u64 v[12:13], s[6:7], 0, v[12:13]
	flat_load_ushort v11, v[12:13]
.LBB2812_23:
	s_or_b64 exec, exec, s[8:9]
	v_or_b32_e32 v13, 0x1400, v0
	v_cmp_gt_u32_e32 vcc, s33, v13
                                        ; implicit-def: $vgpr12
	s_and_saveexec_b64 s[8:9], vcc
	s_cbranch_execz .LBB2812_25
; %bb.24:
	v_lshlrev_b32_e32 v12, 1, v13
	v_mov_b32_e32 v13, 0
	v_lshl_add_u64 v[12:13], s[6:7], 0, v[12:13]
	flat_load_ushort v12, v[12:13]
.LBB2812_25:
	s_or_b64 exec, exec, s[8:9]
	v_or_b32_e32 v14, 0x1600, v0
	v_cmp_gt_u32_e32 vcc, s33, v14
                                        ; implicit-def: $vgpr13
	s_and_saveexec_b64 s[8:9], vcc
	s_cbranch_execz .LBB2812_27
; %bb.26:
	v_lshlrev_b32_e32 v14, 1, v14
	v_mov_b32_e32 v15, 0
	v_lshl_add_u64 v[14:15], s[6:7], 0, v[14:15]
	flat_load_ushort v13, v[14:15]
.LBB2812_27:
	s_or_b64 exec, exec, s[8:9]
	v_or_b32_e32 v15, 0x1800, v0
	v_cmp_gt_u32_e32 vcc, s33, v15
                                        ; implicit-def: $vgpr14
	s_and_saveexec_b64 s[8:9], vcc
	s_cbranch_execz .LBB2812_29
; %bb.28:
	v_lshlrev_b32_e32 v14, 1, v15
	v_mov_b32_e32 v15, 0
	v_lshl_add_u64 v[14:15], s[6:7], 0, v[14:15]
	flat_load_ushort v14, v[14:15]
.LBB2812_29:
	s_or_b64 exec, exec, s[8:9]
	v_or_b32_e32 v16, 0x1a00, v0
	v_cmp_gt_u32_e32 vcc, s33, v16
                                        ; implicit-def: $vgpr15
	s_and_saveexec_b64 s[8:9], vcc
	s_cbranch_execz .LBB2812_31
; %bb.30:
	v_lshlrev_b32_e32 v16, 1, v16
	v_mov_b32_e32 v17, 0
	v_lshl_add_u64 v[16:17], s[6:7], 0, v[16:17]
	flat_load_ushort v15, v[16:17]
.LBB2812_31:
	s_or_b64 exec, exec, s[8:9]
	v_or_b32_e32 v17, 0x1c00, v0
	v_cmp_gt_u32_e32 vcc, s33, v17
                                        ; implicit-def: $vgpr16
	s_and_saveexec_b64 s[8:9], vcc
	s_cbranch_execz .LBB2812_33
; %bb.32:
	v_lshlrev_b32_e32 v16, 1, v17
	v_mov_b32_e32 v17, 0
	v_lshl_add_u64 v[16:17], s[6:7], 0, v[16:17]
	flat_load_ushort v16, v[16:17]
.LBB2812_33:
	s_or_b64 exec, exec, s[8:9]
	v_or_b32_e32 v18, 0x1e00, v0
	v_cmp_gt_u32_e32 vcc, s33, v18
                                        ; implicit-def: $vgpr17
	s_and_saveexec_b64 s[8:9], vcc
	s_cbranch_execz .LBB2812_35
; %bb.34:
	v_lshlrev_b32_e32 v18, 1, v18
	v_mov_b32_e32 v19, 0
	v_lshl_add_u64 v[18:19], s[6:7], 0, v[18:19]
	flat_load_ushort v17, v[18:19]
.LBB2812_35:
	s_or_b64 exec, exec, s[8:9]
	v_or_b32_e32 v19, 0x2000, v0
	v_cmp_gt_u32_e32 vcc, s33, v19
                                        ; implicit-def: $vgpr18
	s_and_saveexec_b64 s[8:9], vcc
	s_cbranch_execz .LBB2812_37
; %bb.36:
	v_lshlrev_b32_e32 v18, 1, v19
	v_mov_b32_e32 v19, 0
	v_lshl_add_u64 v[18:19], s[6:7], 0, v[18:19]
	flat_load_ushort v18, v[18:19]
.LBB2812_37:
	s_or_b64 exec, exec, s[8:9]
	v_or_b32_e32 v20, 0x2200, v0
	v_cmp_gt_u32_e32 vcc, s33, v20
                                        ; implicit-def: $vgpr19
	s_and_saveexec_b64 s[8:9], vcc
	s_cbranch_execz .LBB2812_39
; %bb.38:
	v_lshlrev_b32_e32 v20, 1, v20
	v_mov_b32_e32 v21, 0
	v_lshl_add_u64 v[20:21], s[6:7], 0, v[20:21]
	flat_load_ushort v19, v[20:21]
.LBB2812_39:
	s_or_b64 exec, exec, s[8:9]
	v_or_b32_e32 v21, 0x2400, v0
	v_cmp_gt_u32_e32 vcc, s33, v21
                                        ; implicit-def: $vgpr20
	s_and_saveexec_b64 s[8:9], vcc
	s_cbranch_execz .LBB2812_41
; %bb.40:
	v_lshlrev_b32_e32 v20, 1, v21
	v_mov_b32_e32 v21, 0
	v_lshl_add_u64 v[20:21], s[6:7], 0, v[20:21]
	flat_load_ushort v20, v[20:21]
.LBB2812_41:
	s_or_b64 exec, exec, s[8:9]
	v_or_b32_e32 v22, 0x2600, v0
	v_cmp_gt_u32_e32 vcc, s33, v22
                                        ; implicit-def: $vgpr21
	s_and_saveexec_b64 s[8:9], vcc
	s_cbranch_execz .LBB2812_43
; %bb.42:
	v_lshlrev_b32_e32 v22, 1, v22
	v_mov_b32_e32 v23, 0
	v_lshl_add_u64 v[22:23], s[6:7], 0, v[22:23]
	flat_load_ushort v21, v[22:23]
.LBB2812_43:
	s_or_b64 exec, exec, s[8:9]
	v_or_b32_e32 v23, 0x2800, v0
	v_cmp_gt_u32_e32 vcc, s33, v23
                                        ; implicit-def: $vgpr22
	s_and_saveexec_b64 s[8:9], vcc
	s_cbranch_execz .LBB2812_45
; %bb.44:
	v_lshlrev_b32_e32 v22, 1, v23
	v_mov_b32_e32 v23, 0
	v_lshl_add_u64 v[22:23], s[6:7], 0, v[22:23]
	flat_load_ushort v22, v[22:23]
.LBB2812_45:
	s_or_b64 exec, exec, s[8:9]
	v_or_b32_e32 v24, 0x2a00, v0
	v_cmp_gt_u32_e32 vcc, s33, v24
                                        ; implicit-def: $vgpr23
	s_and_saveexec_b64 s[8:9], vcc
	s_cbranch_execz .LBB2812_47
; %bb.46:
	v_lshlrev_b32_e32 v24, 1, v24
	v_mov_b32_e32 v25, 0
	v_lshl_add_u64 v[24:25], s[6:7], 0, v[24:25]
	flat_load_ushort v23, v[24:25]
.LBB2812_47:
	s_or_b64 exec, exec, s[8:9]
	v_or_b32_e32 v25, 0x2c00, v0
	v_cmp_gt_u32_e32 vcc, s33, v25
                                        ; implicit-def: $vgpr24
	s_and_saveexec_b64 s[8:9], vcc
	s_cbranch_execz .LBB2812_49
; %bb.48:
	v_lshlrev_b32_e32 v24, 1, v25
	v_mov_b32_e32 v25, 0
	v_lshl_add_u64 v[24:25], s[6:7], 0, v[24:25]
	flat_load_ushort v24, v[24:25]
.LBB2812_49:
	s_or_b64 exec, exec, s[8:9]
	v_or_b32_e32 v26, 0x2e00, v0
	v_cmp_gt_u32_e32 vcc, s33, v26
                                        ; implicit-def: $vgpr25
	s_and_saveexec_b64 s[8:9], vcc
	s_cbranch_execz .LBB2812_51
; %bb.50:
	v_lshlrev_b32_e32 v26, 1, v26
	v_mov_b32_e32 v27, 0
	v_lshl_add_u64 v[26:27], s[6:7], 0, v[26:27]
	flat_load_ushort v25, v[26:27]
.LBB2812_51:
	s_or_b64 exec, exec, s[8:9]
	v_or_b32_e32 v27, 0x3000, v0
	v_cmp_gt_u32_e32 vcc, s33, v27
                                        ; implicit-def: $vgpr26
	s_and_saveexec_b64 s[8:9], vcc
	s_cbranch_execz .LBB2812_53
; %bb.52:
	v_lshlrev_b32_e32 v26, 1, v27
	v_mov_b32_e32 v27, 0
	v_lshl_add_u64 v[26:27], s[6:7], 0, v[26:27]
	flat_load_ushort v26, v[26:27]
.LBB2812_53:
	s_or_b64 exec, exec, s[8:9]
	v_or_b32_e32 v28, 0x3200, v0
	v_cmp_gt_u32_e32 vcc, s33, v28
                                        ; implicit-def: $vgpr27
	s_and_saveexec_b64 s[8:9], vcc
	s_cbranch_execz .LBB2812_55
; %bb.54:
	v_lshlrev_b32_e32 v28, 1, v28
	v_mov_b32_e32 v29, 0
	v_lshl_add_u64 v[28:29], s[6:7], 0, v[28:29]
	flat_load_ushort v27, v[28:29]
.LBB2812_55:
	s_or_b64 exec, exec, s[8:9]
	v_or_b32_e32 v29, 0x3400, v0
	v_cmp_gt_u32_e32 vcc, s33, v29
                                        ; implicit-def: $vgpr28
	s_and_saveexec_b64 s[8:9], vcc
	s_cbranch_execz .LBB2812_57
; %bb.56:
	v_lshlrev_b32_e32 v28, 1, v29
	v_mov_b32_e32 v29, 0
	v_lshl_add_u64 v[28:29], s[6:7], 0, v[28:29]
	flat_load_ushort v28, v[28:29]
.LBB2812_57:
	s_or_b64 exec, exec, s[8:9]
	v_or_b32_e32 v30, 0x3600, v0
	v_cmp_gt_u32_e32 vcc, s33, v30
                                        ; implicit-def: $vgpr29
	s_and_saveexec_b64 s[8:9], vcc
	s_cbranch_execz .LBB2812_59
; %bb.58:
	v_lshlrev_b32_e32 v30, 1, v30
	v_mov_b32_e32 v31, 0
	v_lshl_add_u64 v[30:31], s[6:7], 0, v[30:31]
	flat_load_ushort v29, v[30:31]
.LBB2812_59:
	s_or_b64 exec, exec, s[8:9]
	v_or_b32_e32 v31, 0x3800, v0
	v_cmp_gt_u32_e32 vcc, s33, v31
                                        ; implicit-def: $vgpr30
	s_and_saveexec_b64 s[8:9], vcc
	s_cbranch_execz .LBB2812_61
; %bb.60:
	v_lshlrev_b32_e32 v30, 1, v31
	v_mov_b32_e32 v31, 0
	v_lshl_add_u64 v[30:31], s[6:7], 0, v[30:31]
	flat_load_ushort v30, v[30:31]
.LBB2812_61:
	s_or_b64 exec, exec, s[8:9]
	v_or_b32_e32 v32, 0x3a00, v0
	v_cmp_gt_u32_e32 vcc, s33, v32
                                        ; implicit-def: $vgpr31
	s_and_saveexec_b64 s[8:9], vcc
	s_cbranch_execz .LBB2812_63
; %bb.62:
	v_lshlrev_b32_e32 v32, 1, v32
	v_mov_b32_e32 v33, 0
	v_lshl_add_u64 v[32:33], s[6:7], 0, v[32:33]
	flat_load_ushort v31, v[32:33]
.LBB2812_63:
	s_or_b64 exec, exec, s[8:9]
	s_waitcnt vmcnt(0) lgkmcnt(0)
	ds_write_b16 v2, v1
	ds_write_b16 v2, v4 offset:1024
	ds_write_b16 v2, v5 offset:2048
	;; [unrolled: 1-line block ×29, first 2 shown]
	s_waitcnt lgkmcnt(0)
	s_barrier
.LBB2812_64:
	v_mul_u32_u24_e32 v40, 30, v0
	v_lshlrev_b32_e32 v4, 1, v40
	s_waitcnt lgkmcnt(0)
	ds_read_b32 v3, v4 offset:56
	ds_read2_b32 v[8:9], v4 offset0:12 offset1:13
	ds_read2_b32 v[10:11], v4 offset0:10 offset1:11
	;; [unrolled: 1-line block ×3, first 2 shown]
	ds_read2_b32 v[20:21], v4 offset1:1
	ds_read2_b32 v[18:19], v4 offset0:2 offset1:3
	ds_read2_b32 v[16:17], v4 offset0:4 offset1:5
	;; [unrolled: 1-line block ×3, first 2 shown]
	s_waitcnt lgkmcnt(7)
	v_lshrrev_b32_e32 v1, 16, v3
	s_waitcnt lgkmcnt(6)
	v_lshrrev_b32_e32 v29, 16, v8
	v_lshrrev_b32_e32 v28, 16, v9
	s_waitcnt lgkmcnt(5)
	v_lshrrev_b32_e32 v31, 16, v10
	;; [unrolled: 3-line block ×6, first 2 shown]
	v_lshrrev_b32_e32 v34, 16, v15
	v_lshrrev_b32_e32 v33, 16, v12
	;; [unrolled: 1-line block ×3, first 2 shown]
	v_cndmask_b32_e64 v4, 0, 1, s[4:5]
	v_cmp_ne_u32_e64 s[20:21], 1, v4
	s_andn2_b64 vcc, exec, s[4:5]
	v_xor_b32_e32 v92, -1, v20
	v_xor_b32_e32 v91, -1, v42
	;; [unrolled: 1-line block ×30, first 2 shown]
	s_barrier
	s_cbranch_vccnz .LBB2812_66
; %bb.65:
	v_and_b32_e32 v72, 1, v92
	v_and_b32_e32 v71, 1, v91
	;; [unrolled: 1-line block ×30, first 2 shown]
	s_load_dwordx2 s[28:29], s[0:1], 0x70
	s_cbranch_execz .LBB2812_67
	s_branch .LBB2812_68
.LBB2812_66:
                                        ; implicit-def: $vgpr72
                                        ; implicit-def: $vgpr71
                                        ; implicit-def: $vgpr70
                                        ; implicit-def: $vgpr69
                                        ; implicit-def: $vgpr68
                                        ; implicit-def: $vgpr67
                                        ; implicit-def: $vgpr66
                                        ; implicit-def: $vgpr65
                                        ; implicit-def: $vgpr64
                                        ; implicit-def: $vgpr63
                                        ; implicit-def: $vgpr62
                                        ; implicit-def: $vgpr61
                                        ; implicit-def: $vgpr60
                                        ; implicit-def: $vgpr59
                                        ; implicit-def: $vgpr58
                                        ; implicit-def: $vgpr57
                                        ; implicit-def: $vgpr56
                                        ; implicit-def: $vgpr55
                                        ; implicit-def: $vgpr54
                                        ; implicit-def: $vgpr53
                                        ; implicit-def: $vgpr52
                                        ; implicit-def: $vgpr51
                                        ; implicit-def: $vgpr50
                                        ; implicit-def: $vgpr49
                                        ; implicit-def: $vgpr48
                                        ; implicit-def: $vgpr47
                                        ; implicit-def: $vgpr46
                                        ; implicit-def: $vgpr45
                                        ; implicit-def: $vgpr43
                                        ; implicit-def: $vgpr44
	s_load_dwordx2 s[28:29], s[0:1], 0x70
.LBB2812_67:
	v_or_b32_e32 v52, 1, v40
	v_cmp_gt_u32_e32 vcc, s33, v40
	v_add_u32_e32 v53, 2, v40
	v_add_u32_e32 v54, 3, v40
	v_cndmask_b32_e64 v62, 0, 1, vcc
	v_cmp_gt_u32_e32 vcc, s33, v52
	v_add_u32_e32 v55, 4, v40
	v_add_u32_e32 v56, 5, v40
	v_cndmask_b32_e64 v52, 0, 1, vcc
	v_cmp_gt_u32_e32 vcc, s33, v53
	v_and_b32_e32 v71, v52, v91
	v_add_u32_e32 v57, 6, v40
	v_cndmask_b32_e64 v52, 0, 1, vcc
	v_cmp_gt_u32_e32 vcc, s33, v54
	v_and_b32_e32 v70, v52, v90
	;; [unrolled: 4-line block ×9, first 2 shown]
	v_and_b32_e32 v72, v62, v92
	v_cndmask_b32_e64 v52, 0, 1, vcc
	v_cmp_gt_u32_e32 vcc, s33, v93
	v_and_b32_e32 v62, v52, v82
	v_add_u32_e32 v96, 14, v40
	v_cndmask_b32_e64 v52, 0, 1, vcc
	v_cmp_gt_u32_e32 vcc, s33, v94
	v_and_b32_e32 v61, v52, v81
	v_add_u32_e32 v97, 15, v40
	;; [unrolled: 4-line block ×16, first 2 shown]
	v_cndmask_b32_e64 v22, 0, 1, vcc
	v_cmp_gt_u32_e32 vcc, s33, v45
	v_and_b32_e32 v46, v22, v7
	s_nop 0
	v_cndmask_b32_e64 v7, 0, 1, vcc
	v_cmp_gt_u32_e32 vcc, s33, v43
	v_and_b32_e32 v45, v7, v6
	s_nop 0
	;; [unrolled: 4-line block ×3, first 2 shown]
	v_cndmask_b32_e64 v5, 0, 1, vcc
	v_and_b32_e32 v44, v5, v4
.LBB2812_68:
	v_and_b32_e32 v99, 0xff, v46
	v_and_b32_e32 v100, 0xff, v45
	v_add_u32_sdwa v4, v43, v44 dst_sel:DWORD dst_unused:UNUSED_PAD src0_sel:BYTE_0 src1_sel:BYTE_0
	v_and_b32_e32 v97, 0xff, v48
	v_and_b32_e32 v98, 0xff, v47
	v_add3_u32 v4, v4, v100, v99
	v_and_b32_e32 v95, 0xff, v50
	v_and_b32_e32 v96, 0xff, v49
	v_add3_u32 v4, v4, v98, v97
	;; [unrolled: 3-line block ×13, first 2 shown]
	v_add3_u32 v103, v4, v74, v73
	v_mbcnt_lo_u32_b32 v4, -1, 0
	v_mbcnt_hi_u32_b32 v101, -1, v4
	v_and_b32_e32 v4, 15, v101
	v_cmp_eq_u32_e64 s[16:17], 0, v4
	v_cmp_lt_u32_e64 s[14:15], 1, v4
	v_cmp_lt_u32_e64 s[12:13], 3, v4
	;; [unrolled: 1-line block ×3, first 2 shown]
	v_and_b32_e32 v4, 16, v101
	v_cmp_eq_u32_e64 s[8:9], 0, v4
	v_or_b32_e32 v4, 63, v0
	s_cmp_lg_u32 s2, 0
	v_cmp_lt_u32_e64 s[4:5], 31, v101
	v_lshrrev_b32_e32 v102, 6, v0
	v_cmp_eq_u32_e64 s[6:7], v4, v0
	s_cbranch_scc0 .LBB2812_95
; %bb.69:
	v_mov_b32_dpp v4, v103 row_shr:1 row_mask:0xf bank_mask:0xf
	v_cndmask_b32_e64 v4, v4, 0, s[16:17]
	v_add_u32_e32 v4, v4, v103
	s_nop 1
	v_mov_b32_dpp v5, v4 row_shr:2 row_mask:0xf bank_mask:0xf
	v_cndmask_b32_e64 v5, 0, v5, s[14:15]
	v_add_u32_e32 v4, v4, v5
	s_nop 1
	;; [unrolled: 4-line block ×4, first 2 shown]
	v_mov_b32_dpp v5, v4 row_bcast:15 row_mask:0xf bank_mask:0xf
	v_cndmask_b32_e64 v5, v5, 0, s[8:9]
	v_add_u32_e32 v4, v4, v5
	s_nop 1
	v_mov_b32_dpp v5, v4 row_bcast:31 row_mask:0xf bank_mask:0xf
	v_cndmask_b32_e64 v5, 0, v5, s[4:5]
	v_add_u32_e32 v4, v4, v5
	s_and_saveexec_b64 s[18:19], s[6:7]
	s_cbranch_execz .LBB2812_71
; %bb.70:
	v_lshlrev_b32_e32 v5, 2, v102
	ds_write_b32 v5, v4
.LBB2812_71:
	s_or_b64 exec, exec, s[18:19]
	v_cmp_gt_u32_e32 vcc, 8, v0
	s_waitcnt lgkmcnt(0)
	s_barrier
	s_and_saveexec_b64 s[18:19], vcc
	s_cbranch_execz .LBB2812_73
; %bb.72:
	v_lshlrev_b32_e32 v5, 2, v0
	ds_read_b32 v6, v5
	v_and_b32_e32 v7, 7, v101
	v_cmp_ne_u32_e32 vcc, 0, v7
	s_waitcnt lgkmcnt(0)
	v_mov_b32_dpp v22, v6 row_shr:1 row_mask:0xf bank_mask:0xf
	v_cndmask_b32_e32 v22, 0, v22, vcc
	v_add_u32_e32 v6, v22, v6
	v_cmp_lt_u32_e32 vcc, 1, v7
	s_nop 0
	v_mov_b32_dpp v22, v6 row_shr:2 row_mask:0xf bank_mask:0xf
	v_cndmask_b32_e32 v22, 0, v22, vcc
	v_add_u32_e32 v6, v6, v22
	v_cmp_lt_u32_e32 vcc, 3, v7
	s_nop 0
	v_mov_b32_dpp v22, v6 row_shr:4 row_mask:0xf bank_mask:0xf
	v_cndmask_b32_e32 v7, 0, v22, vcc
	v_add_u32_e32 v6, v6, v7
	ds_write_b32 v5, v6
.LBB2812_73:
	s_or_b64 exec, exec, s[18:19]
	v_cmp_gt_u32_e32 vcc, 64, v0
	v_cmp_lt_u32_e64 s[18:19], 63, v0
	s_waitcnt lgkmcnt(0)
	s_barrier
	s_waitcnt lgkmcnt(0)
                                        ; implicit-def: $vgpr104
	s_and_saveexec_b64 s[30:31], s[18:19]
	s_cbranch_execz .LBB2812_75
; %bb.74:
	v_lshl_add_u32 v5, v102, 2, -4
	ds_read_b32 v104, v5
	s_waitcnt lgkmcnt(0)
	v_add_u32_e32 v4, v104, v4
.LBB2812_75:
	s_or_b64 exec, exec, s[30:31]
	v_add_u32_e32 v5, -1, v101
	v_and_b32_e32 v6, 64, v101
	v_cmp_lt_i32_e64 s[18:19], v5, v6
	s_nop 1
	v_cndmask_b32_e64 v5, v5, v101, s[18:19]
	v_lshlrev_b32_e32 v5, 2, v5
	ds_bpermute_b32 v105, v5, v4
	v_cmp_eq_u32_e64 s[18:19], 0, v101
	s_and_saveexec_b64 s[30:31], vcc
	s_cbranch_execz .LBB2812_94
; %bb.76:
	v_mov_b32_e32 v25, 0
	ds_read_b32 v4, v25 offset:28
	s_and_saveexec_b64 s[34:35], s[18:19]
	s_cbranch_execz .LBB2812_78
; %bb.77:
	s_add_i32 s36, s2, 64
	s_mov_b32 s37, 0
	s_lshl_b64 s[36:37], s[36:37], 3
	s_add_u32 s36, s28, s36
	v_mov_b32_e32 v5, 1
	s_addc_u32 s37, s29, s37
	s_waitcnt lgkmcnt(0)
	global_store_dwordx2 v25, v[4:5], s[36:37] sc1
.LBB2812_78:
	s_or_b64 exec, exec, s[34:35]
	v_xad_u32 v6, v101, -1, s2
	v_add_u32_e32 v24, 64, v6
	v_lshl_add_u64 v[26:27], v[24:25], 3, s[28:29]
	global_load_dwordx2 v[22:23], v[26:27], off sc1
	s_waitcnt vmcnt(0)
	v_cmp_eq_u16_sdwa s[36:37], v23, v25 src0_sel:BYTE_0 src1_sel:DWORD
	s_and_saveexec_b64 s[34:35], s[36:37]
	s_cbranch_execz .LBB2812_82
; %bb.79:
	s_mov_b64 s[36:37], 0
	v_mov_b32_e32 v5, 0
.LBB2812_80:                            ; =>This Inner Loop Header: Depth=1
	global_load_dwordx2 v[22:23], v[26:27], off sc1
	s_waitcnt vmcnt(0)
	v_cmp_ne_u16_sdwa s[38:39], v23, v5 src0_sel:BYTE_0 src1_sel:DWORD
	s_or_b64 s[36:37], s[38:39], s[36:37]
	s_andn2_b64 exec, exec, s[36:37]
	s_cbranch_execnz .LBB2812_80
; %bb.81:
	s_or_b64 exec, exec, s[36:37]
.LBB2812_82:
	s_or_b64 exec, exec, s[34:35]
	v_and_b32_e32 v107, 63, v101
	v_mov_b32_e32 v106, 2
	v_cmp_ne_u32_e32 vcc, 63, v107
	v_cmp_eq_u16_sdwa s[34:35], v23, v106 src0_sel:BYTE_0 src1_sel:DWORD
	v_lshlrev_b64 v[24:25], v101, -1
	v_addc_co_u32_e32 v26, vcc, 0, v101, vcc
	v_and_b32_e32 v5, s35, v25
	v_lshlrev_b32_e32 v108, 2, v26
	v_or_b32_e32 v5, 0x80000000, v5
	ds_bpermute_b32 v26, v108, v22
	v_and_b32_e32 v7, s34, v24
	v_ffbl_b32_e32 v5, v5
	v_add_u32_e32 v5, 32, v5
	v_ffbl_b32_e32 v7, v7
	v_min_u32_e32 v5, v7, v5
	v_cmp_lt_u32_e32 vcc, v107, v5
	v_add_u32_e32 v110, 2, v107
	v_add_u32_e32 v112, 4, v107
	s_waitcnt lgkmcnt(0)
	v_cndmask_b32_e32 v7, 0, v26, vcc
	v_cmp_gt_u32_e32 vcc, 62, v107
	v_add_u32_e32 v7, v7, v22
	v_add_u32_e32 v114, 8, v107
	v_cndmask_b32_e64 v22, 0, 1, vcc
	v_lshlrev_b32_e32 v22, 1, v22
	v_add_lshl_u32 v109, v22, v101, 2
	ds_bpermute_b32 v22, v109, v7
	v_cmp_le_u32_e32 vcc, v110, v5
	v_add_u32_e32 v116, 16, v107
	v_add_u32_e32 v118, 32, v107
	s_waitcnt lgkmcnt(0)
	v_cndmask_b32_e32 v22, 0, v22, vcc
	v_cmp_gt_u32_e32 vcc, 60, v107
	v_add_u32_e32 v7, v7, v22
	s_nop 0
	v_cndmask_b32_e64 v22, 0, 1, vcc
	v_lshlrev_b32_e32 v22, 2, v22
	v_add_lshl_u32 v111, v22, v101, 2
	ds_bpermute_b32 v22, v111, v7
	v_cmp_le_u32_e32 vcc, v112, v5
	s_waitcnt lgkmcnt(0)
	s_nop 0
	v_cndmask_b32_e32 v22, 0, v22, vcc
	v_cmp_gt_u32_e32 vcc, 56, v107
	v_add_u32_e32 v7, v7, v22
	s_nop 0
	v_cndmask_b32_e64 v22, 0, 1, vcc
	v_lshlrev_b32_e32 v22, 3, v22
	v_add_lshl_u32 v113, v22, v101, 2
	ds_bpermute_b32 v22, v113, v7
	v_cmp_le_u32_e32 vcc, v114, v5
	s_waitcnt lgkmcnt(0)
	s_nop 0
	;; [unrolled: 11-line block ×4, first 2 shown]
	v_cndmask_b32_e32 v5, 0, v22, vcc
	v_add_u32_e32 v22, v7, v5
	v_mov_b32_e32 v7, 0
	s_branch .LBB2812_84
.LBB2812_83:                            ;   in Loop: Header=BB2812_84 Depth=1
	s_or_b64 exec, exec, s[34:35]
	v_cmp_eq_u16_sdwa s[34:35], v23, v106 src0_sel:BYTE_0 src1_sel:DWORD
	ds_bpermute_b32 v119, v108, v22
	v_subrev_u32_e32 v6, 64, v6
	v_and_b32_e32 v26, s35, v25
	v_or_b32_e32 v26, 0x80000000, v26
	v_and_b32_e32 v27, s34, v24
	v_ffbl_b32_e32 v26, v26
	v_add_u32_e32 v26, 32, v26
	v_ffbl_b32_e32 v27, v27
	v_min_u32_e32 v26, v27, v26
	v_cmp_lt_u32_e32 vcc, v107, v26
	s_waitcnt lgkmcnt(0)
	s_nop 0
	v_cndmask_b32_e32 v27, 0, v119, vcc
	v_add_u32_e32 v22, v27, v22
	ds_bpermute_b32 v27, v109, v22
	v_cmp_le_u32_e32 vcc, v110, v26
	s_waitcnt lgkmcnt(0)
	s_nop 0
	v_cndmask_b32_e32 v27, 0, v27, vcc
	v_add_u32_e32 v22, v22, v27
	ds_bpermute_b32 v27, v111, v22
	v_cmp_le_u32_e32 vcc, v112, v26
	;; [unrolled: 6-line block ×5, first 2 shown]
	s_waitcnt lgkmcnt(0)
	s_nop 0
	v_cndmask_b32_e32 v26, 0, v27, vcc
	v_add3_u32 v22, v26, v5, v22
.LBB2812_84:                            ; =>This Loop Header: Depth=1
                                        ;     Child Loop BB2812_87 Depth 2
	v_cmp_ne_u16_sdwa s[34:35], v23, v106 src0_sel:BYTE_0 src1_sel:DWORD
	s_nop 1
	v_cndmask_b32_e64 v5, 0, 1, s[34:35]
	;;#ASMSTART
	;;#ASMEND
	s_nop 0
	v_cmp_ne_u32_e32 vcc, 0, v5
	s_cmp_lg_u64 vcc, exec
	v_mov_b32_e32 v5, v22
	s_cbranch_scc1 .LBB2812_89
; %bb.85:                               ;   in Loop: Header=BB2812_84 Depth=1
	v_lshl_add_u64 v[26:27], v[6:7], 3, s[28:29]
	global_load_dwordx2 v[22:23], v[26:27], off sc1
	s_waitcnt vmcnt(0)
	v_cmp_eq_u16_sdwa s[36:37], v23, v7 src0_sel:BYTE_0 src1_sel:DWORD
	s_and_saveexec_b64 s[34:35], s[36:37]
	s_cbranch_execz .LBB2812_83
; %bb.86:                               ;   in Loop: Header=BB2812_84 Depth=1
	s_mov_b64 s[36:37], 0
.LBB2812_87:                            ;   Parent Loop BB2812_84 Depth=1
                                        ; =>  This Inner Loop Header: Depth=2
	global_load_dwordx2 v[22:23], v[26:27], off sc1
	s_waitcnt vmcnt(0)
	v_cmp_ne_u16_sdwa s[38:39], v23, v7 src0_sel:BYTE_0 src1_sel:DWORD
	s_or_b64 s[36:37], s[38:39], s[36:37]
	s_andn2_b64 exec, exec, s[36:37]
	s_cbranch_execnz .LBB2812_87
; %bb.88:                               ;   in Loop: Header=BB2812_84 Depth=1
	s_or_b64 exec, exec, s[36:37]
	s_branch .LBB2812_83
.LBB2812_89:                            ;   in Loop: Header=BB2812_84 Depth=1
                                        ; implicit-def: $vgpr22
                                        ; implicit-def: $vgpr23
	s_cbranch_execz .LBB2812_84
; %bb.90:
	s_and_saveexec_b64 s[34:35], s[18:19]
	s_cbranch_execz .LBB2812_92
; %bb.91:
	s_add_i32 s2, s2, 64
	s_mov_b32 s3, 0
	s_lshl_b64 s[2:3], s[2:3], 3
	s_add_u32 s2, s28, s2
	v_add_u32_e32 v6, v5, v4
	v_mov_b32_e32 v7, 2
	s_addc_u32 s3, s29, s3
	v_mov_b32_e32 v22, 0
	global_store_dwordx2 v22, v[6:7], s[2:3] sc1
	ds_write_b64 v22, v[4:5] offset:30720
.LBB2812_92:
	s_or_b64 exec, exec, s[34:35]
	v_cmp_eq_u32_e32 vcc, 0, v0
	s_and_b64 exec, exec, vcc
	s_cbranch_execz .LBB2812_94
; %bb.93:
	v_mov_b32_e32 v4, 0
	ds_write_b32 v4, v5 offset:28
.LBB2812_94:
	s_or_b64 exec, exec, s[30:31]
	v_mov_b32_e32 v4, 0
	s_waitcnt lgkmcnt(0)
	s_barrier
	ds_read_b32 v7, v4 offset:28
	s_waitcnt lgkmcnt(0)
	s_barrier
	ds_read_b64 v[4:5], v4 offset:30720
	v_cndmask_b32_e64 v6, v105, v104, s[18:19]
	v_cmp_ne_u32_e32 vcc, 0, v0
	s_nop 1
	v_cndmask_b32_e32 v6, 0, v6, vcc
	v_add_u32_e32 v7, v7, v6
	s_waitcnt lgkmcnt(0)
	v_mov_b32_e32 v6, v5
	s_load_dwordx2 s[2:3], s[0:1], 0x28
	s_branch .LBB2812_105
.LBB2812_95:
                                        ; implicit-def: $vgpr6
                                        ; implicit-def: $vgpr4
                                        ; implicit-def: $vgpr7
	s_load_dwordx2 s[2:3], s[0:1], 0x28
	s_cbranch_execz .LBB2812_105
; %bb.96:
	v_mov_b32_dpp v4, v103 row_shr:1 row_mask:0xf bank_mask:0xf
	v_cndmask_b32_e64 v4, v4, 0, s[16:17]
	v_add_u32_e32 v4, v4, v103
	s_nop 1
	v_mov_b32_dpp v5, v4 row_shr:2 row_mask:0xf bank_mask:0xf
	v_cndmask_b32_e64 v5, 0, v5, s[14:15]
	v_add_u32_e32 v4, v4, v5
	s_nop 1
	;; [unrolled: 4-line block ×4, first 2 shown]
	v_mov_b32_dpp v5, v4 row_bcast:15 row_mask:0xf bank_mask:0xf
	v_cndmask_b32_e64 v5, v5, 0, s[8:9]
	v_add_u32_e32 v4, v4, v5
	s_nop 1
	v_mov_b32_dpp v5, v4 row_bcast:31 row_mask:0xf bank_mask:0xf
	v_cndmask_b32_e64 v5, 0, v5, s[4:5]
	v_add_u32_e32 v4, v4, v5
	s_and_saveexec_b64 s[0:1], s[6:7]
	s_cbranch_execz .LBB2812_98
; %bb.97:
	v_lshlrev_b32_e32 v5, 2, v102
	ds_write_b32 v5, v4
.LBB2812_98:
	s_or_b64 exec, exec, s[0:1]
	v_cmp_gt_u32_e32 vcc, 8, v0
	s_waitcnt lgkmcnt(0)
	s_barrier
	s_and_saveexec_b64 s[0:1], vcc
	s_cbranch_execz .LBB2812_100
; %bb.99:
	v_lshlrev_b32_e32 v5, 2, v0
	ds_read_b32 v6, v5
	v_and_b32_e32 v7, 7, v101
	v_cmp_ne_u32_e32 vcc, 0, v7
	s_waitcnt lgkmcnt(0)
	v_mov_b32_dpp v22, v6 row_shr:1 row_mask:0xf bank_mask:0xf
	v_cndmask_b32_e32 v22, 0, v22, vcc
	v_add_u32_e32 v6, v22, v6
	v_cmp_lt_u32_e32 vcc, 1, v7
	s_nop 0
	v_mov_b32_dpp v22, v6 row_shr:2 row_mask:0xf bank_mask:0xf
	v_cndmask_b32_e32 v22, 0, v22, vcc
	v_add_u32_e32 v6, v6, v22
	v_cmp_lt_u32_e32 vcc, 3, v7
	s_nop 0
	v_mov_b32_dpp v22, v6 row_shr:4 row_mask:0xf bank_mask:0xf
	v_cndmask_b32_e32 v7, 0, v22, vcc
	v_add_u32_e32 v6, v6, v7
	ds_write_b32 v5, v6
.LBB2812_100:
	s_or_b64 exec, exec, s[0:1]
	v_cmp_lt_u32_e32 vcc, 63, v0
	v_mov_b32_e32 v5, 0
	v_mov_b32_e32 v6, 0
	s_waitcnt lgkmcnt(0)
	s_barrier
	s_and_saveexec_b64 s[0:1], vcc
	s_cbranch_execz .LBB2812_102
; %bb.101:
	v_lshl_add_u32 v6, v102, 2, -4
	ds_read_b32 v6, v6
.LBB2812_102:
	s_or_b64 exec, exec, s[0:1]
	v_add_u32_e32 v7, -1, v101
	v_and_b32_e32 v22, 64, v101
	v_cmp_lt_i32_e32 vcc, v7, v22
	s_waitcnt lgkmcnt(0)
	v_add_u32_e32 v4, v6, v4
	v_cndmask_b32_e32 v7, v7, v101, vcc
	v_lshlrev_b32_e32 v7, 2, v7
	ds_bpermute_b32 v7, v7, v4
	ds_read_b32 v4, v5 offset:28
	v_cmp_eq_u32_e32 vcc, 0, v0
	s_and_saveexec_b64 s[0:1], vcc
	s_cbranch_execz .LBB2812_104
; %bb.103:
	v_mov_b32_e32 v22, 0
	v_mov_b32_e32 v5, 2
	s_waitcnt lgkmcnt(0)
	global_store_dwordx2 v22, v[4:5], s[28:29] offset:512 sc1
.LBB2812_104:
	s_or_b64 exec, exec, s[0:1]
	v_cmp_eq_u32_e64 s[0:1], 0, v101
	s_waitcnt lgkmcnt(0)
	s_barrier
	v_cndmask_b32_e64 v5, v7, v6, s[0:1]
	v_mov_b32_e32 v6, 0
	v_cndmask_b32_e64 v7, v5, 0, vcc
.LBB2812_105:
	v_add_u32_e32 v5, v7, v73
	v_add_u32_e32 v22, v5, v74
	;; [unrolled: 1-line block ×22, first 2 shown]
	v_sub_u32_e32 v7, v7, v6
	v_and_b32_e32 v72, 1, v72
	v_add_u32_e32 v87, v86, v94
	v_sub_u32_e32 v94, v40, v7
	v_cmp_eq_u32_e32 vcc, 1, v72
	v_sub_u32_e32 v5, v5, v6
	v_add_u32_e32 v88, v87, v95
	v_cndmask_b32_e32 v7, v94, v7, vcc
	v_lshlrev_b32_e32 v7, 1, v7
	ds_write_b16 v7, v20
	v_sub_u32_e32 v7, v40, v5
	v_and_b32_e32 v20, 1, v71
	v_add_u32_e32 v7, 1, v7
	v_cmp_eq_u32_e32 vcc, 1, v20
	v_and_b32_e32 v20, 1, v70
	v_add_u32_e32 v89, v88, v96
	v_cndmask_b32_e32 v5, v7, v5, vcc
	v_lshlrev_b32_e32 v5, 1, v5
	ds_write_b16 v5, v42
	v_sub_u32_e32 v5, v22, v6
	v_sub_u32_e32 v7, v40, v5
	v_add_u32_e32 v7, 2, v7
	v_cmp_eq_u32_e32 vcc, 1, v20
	v_and_b32_e32 v20, 1, v69
	v_add_u32_e32 v90, v89, v97
	v_cndmask_b32_e32 v5, v7, v5, vcc
	v_lshlrev_b32_e32 v5, 1, v5
	ds_write_b16 v5, v21
	v_sub_u32_e32 v5, v23, v6
	v_sub_u32_e32 v7, v40, v5
	;; [unrolled: 9-line block ×3, first 2 shown]
	v_add_u32_e32 v7, 4, v7
	v_cmp_eq_u32_e32 vcc, 1, v20
	v_add_u32_e32 v92, v91, v99
	v_add_u32_e32 v93, v92, v100
	v_cndmask_b32_e32 v5, v7, v5, vcc
	v_lshlrev_b32_e32 v5, 1, v5
	ds_write_b16 v5, v18
	v_sub_u32_e32 v5, v25, v6
	v_sub_u32_e32 v7, v40, v5
	v_and_b32_e32 v18, 1, v67
	v_add_u32_e32 v7, 5, v7
	v_cmp_eq_u32_e32 vcc, 1, v18
	v_and_b32_e32 v18, 1, v66
	v_or_b32_e32 v41, 0x1800, v0
	v_cndmask_b32_e32 v5, v7, v5, vcc
	v_lshlrev_b32_e32 v5, 1, v5
	ds_write_b16 v5, v39
	v_sub_u32_e32 v5, v26, v6
	v_sub_u32_e32 v7, v40, v5
	v_add_u32_e32 v7, 6, v7
	v_cmp_eq_u32_e32 vcc, 1, v18
	v_and_b32_e32 v18, 1, v65
	v_or_b32_e32 v39, 0x1a00, v0
	v_cndmask_b32_e32 v5, v7, v5, vcc
	v_lshlrev_b32_e32 v5, 1, v5
	ds_write_b16 v5, v19
	v_sub_u32_e32 v5, v27, v6
	v_sub_u32_e32 v7, v40, v5
	v_add_u32_e32 v7, 7, v7
	v_cmp_eq_u32_e32 vcc, 1, v18
	v_and_b32_e32 v18, 1, v64
	v_or_b32_e32 v27, 0x2600, v0
	v_cndmask_b32_e32 v5, v7, v5, vcc
	v_lshlrev_b32_e32 v5, 1, v5
	ds_write_b16 v5, v38
	v_sub_u32_e32 v5, v73, v6
	v_sub_u32_e32 v7, v40, v5
	v_add_u32_e32 v7, 8, v7
	v_cmp_eq_u32_e32 vcc, 1, v18
	v_or_b32_e32 v25, 0x2800, v0
	v_or_b32_e32 v23, 0x2a00, v0
	v_cndmask_b32_e32 v5, v7, v5, vcc
	v_lshlrev_b32_e32 v5, 1, v5
	ds_write_b16 v5, v16
	v_sub_u32_e32 v5, v74, v6
	v_sub_u32_e32 v7, v40, v5
	v_and_b32_e32 v16, 1, v63
	v_add_u32_e32 v7, 9, v7
	v_cmp_eq_u32_e32 vcc, 1, v16
	v_and_b32_e32 v16, 1, v62
	v_or_b32_e32 v63, 0x200, v0
	v_cndmask_b32_e32 v5, v7, v5, vcc
	v_lshlrev_b32_e32 v5, 1, v5
	ds_write_b16 v5, v37
	v_sub_u32_e32 v5, v75, v6
	v_sub_u32_e32 v7, v40, v5
	v_add_u32_e32 v7, 10, v7
	v_cmp_eq_u32_e32 vcc, 1, v16
	v_and_b32_e32 v16, 1, v61
	v_or_b32_e32 v61, 0x400, v0
	v_cndmask_b32_e32 v5, v7, v5, vcc
	v_lshlrev_b32_e32 v5, 1, v5
	ds_write_b16 v5, v17
	v_sub_u32_e32 v5, v76, v6
	v_sub_u32_e32 v7, v40, v5
	v_add_u32_e32 v7, 11, v7
	v_cmp_eq_u32_e32 vcc, 1, v16
	v_and_b32_e32 v16, 1, v60
	v_or_b32_e32 v37, 0x1c00, v0
	v_cndmask_b32_e32 v5, v7, v5, vcc
	v_lshlrev_b32_e32 v5, 1, v5
	ds_write_b16 v5, v36
	v_sub_u32_e32 v5, v77, v6
	v_sub_u32_e32 v7, v40, v5
	v_add_u32_e32 v7, 12, v7
	v_cmp_eq_u32_e32 vcc, 1, v16
	v_or_b32_e32 v21, 0x2c00, v0
	v_or_b32_e32 v19, 0x2e00, v0
	v_cndmask_b32_e32 v5, v7, v5, vcc
	v_lshlrev_b32_e32 v5, 1, v5
	ds_write_b16 v5, v14
	v_sub_u32_e32 v5, v78, v6
	v_sub_u32_e32 v7, v40, v5
	v_and_b32_e32 v14, 1, v59
	v_add_u32_e32 v7, 13, v7
	v_cmp_eq_u32_e32 vcc, 1, v14
	v_and_b32_e32 v14, 1, v58
	v_or_b32_e32 v59, 0x600, v0
	v_cndmask_b32_e32 v5, v7, v5, vcc
	v_lshlrev_b32_e32 v5, 1, v5
	ds_write_b16 v5, v35
	v_sub_u32_e32 v5, v79, v6
	v_sub_u32_e32 v7, v40, v5
	v_add_u32_e32 v7, 14, v7
	v_cmp_eq_u32_e32 vcc, 1, v14
	v_and_b32_e32 v14, 1, v57
	v_or_b32_e32 v57, 0x800, v0
	v_cndmask_b32_e32 v5, v7, v5, vcc
	v_lshlrev_b32_e32 v5, 1, v5
	ds_write_b16 v5, v15
	v_sub_u32_e32 v5, v80, v6
	v_sub_u32_e32 v7, v40, v5
	v_add_u32_e32 v7, 15, v7
	v_cmp_eq_u32_e32 vcc, 1, v14
	v_and_b32_e32 v14, 1, v56
	v_or_b32_e32 v18, 0x3000, v0
	v_cndmask_b32_e32 v5, v7, v5, vcc
	v_lshlrev_b32_e32 v5, 1, v5
	ds_write_b16 v5, v34
	v_sub_u32_e32 v5, v81, v6
	v_sub_u32_e32 v7, v40, v5
	v_add_u32_e32 v7, 16, v7
	v_cmp_eq_u32_e32 vcc, 1, v14
	v_or_b32_e32 v34, 0x1e00, v0
	v_or_b32_e32 v16, 0x3200, v0
	v_cndmask_b32_e32 v5, v7, v5, vcc
	v_lshlrev_b32_e32 v5, 1, v5
	ds_write_b16 v5, v12
	v_sub_u32_e32 v5, v82, v6
	v_sub_u32_e32 v7, v40, v5
	v_and_b32_e32 v12, 1, v55
	v_add_u32_e32 v7, 17, v7
	v_cmp_eq_u32_e32 vcc, 1, v12
	v_and_b32_e32 v12, 1, v54
	v_or_b32_e32 v55, 0xa00, v0
	v_cndmask_b32_e32 v5, v7, v5, vcc
	v_lshlrev_b32_e32 v5, 1, v5
	ds_write_b16 v5, v33
	v_sub_u32_e32 v5, v83, v6
	v_sub_u32_e32 v7, v40, v5
	v_add_u32_e32 v7, 18, v7
	v_cmp_eq_u32_e32 vcc, 1, v12
	v_and_b32_e32 v12, 1, v53
	v_or_b32_e32 v53, 0xc00, v0
	v_cndmask_b32_e32 v5, v7, v5, vcc
	v_lshlrev_b32_e32 v5, 1, v5
	ds_write_b16 v5, v13
	v_sub_u32_e32 v5, v84, v6
	v_sub_u32_e32 v7, v40, v5
	v_add_u32_e32 v7, 19, v7
	v_cmp_eq_u32_e32 vcc, 1, v12
	v_and_b32_e32 v12, 1, v52
	v_or_b32_e32 v33, 0x2000, v0
	v_cndmask_b32_e32 v5, v7, v5, vcc
	v_lshlrev_b32_e32 v5, 1, v5
	ds_write_b16 v5, v32
	v_sub_u32_e32 v5, v85, v6
	v_sub_u32_e32 v7, v40, v5
	v_add_u32_e32 v7, 20, v7
	v_cmp_eq_u32_e32 vcc, 1, v12
	v_or_b32_e32 v14, 0x3400, v0
	v_or_b32_e32 v12, 0x3600, v0
	v_cndmask_b32_e32 v5, v7, v5, vcc
	v_lshlrev_b32_e32 v5, 1, v5
	ds_write_b16 v5, v10
	v_sub_u32_e32 v5, v86, v6
	v_sub_u32_e32 v7, v40, v5
	v_and_b32_e32 v10, 1, v51
	v_add_u32_e32 v7, 21, v7
	v_cmp_eq_u32_e32 vcc, 1, v10
	v_and_b32_e32 v10, 1, v50
	v_or_b32_e32 v50, 0xe00, v0
	v_cndmask_b32_e32 v5, v7, v5, vcc
	v_lshlrev_b32_e32 v5, 1, v5
	ds_write_b16 v5, v31
	v_sub_u32_e32 v5, v87, v6
	v_sub_u32_e32 v7, v40, v5
	v_add_u32_e32 v7, 22, v7
	v_cmp_eq_u32_e32 vcc, 1, v10
	v_and_b32_e32 v10, 1, v49
	v_or_b32_e32 v49, 0x1000, v0
	v_cndmask_b32_e32 v5, v7, v5, vcc
	v_lshlrev_b32_e32 v5, 1, v5
	ds_write_b16 v5, v11
	v_sub_u32_e32 v5, v88, v6
	v_sub_u32_e32 v7, v40, v5
	;; [unrolled: 9-line block ×3, first 2 shown]
	v_add_u32_e32 v7, 24, v7
	v_cmp_eq_u32_e32 vcc, 1, v10
	v_or_b32_e32 v10, 0x3800, v0
	s_nop 0
	v_cndmask_b32_e32 v5, v7, v5, vcc
	v_lshlrev_b32_e32 v5, 1, v5
	ds_write_b16 v5, v8
	v_sub_u32_e32 v5, v90, v6
	v_sub_u32_e32 v7, v40, v5
	v_and_b32_e32 v8, 1, v47
	v_add_u32_e32 v7, 25, v7
	v_cmp_eq_u32_e32 vcc, 1, v8
	v_and_b32_e32 v8, 1, v46
	v_or_b32_e32 v47, 0x1200, v0
	v_cndmask_b32_e32 v5, v7, v5, vcc
	v_lshlrev_b32_e32 v5, 1, v5
	ds_write_b16 v5, v29
	v_sub_u32_e32 v5, v91, v6
	v_sub_u32_e32 v7, v40, v5
	v_add_u32_e32 v7, 26, v7
	v_cmp_eq_u32_e32 vcc, 1, v8
	v_and_b32_e32 v8, 1, v45
	v_or_b32_e32 v45, 0x1400, v0
	v_cndmask_b32_e32 v5, v7, v5, vcc
	v_lshlrev_b32_e32 v5, 1, v5
	ds_write_b16 v5, v9
	v_sub_u32_e32 v5, v92, v6
	v_sub_u32_e32 v7, v40, v5
	;; [unrolled: 9-line block ×3, first 2 shown]
	v_add_u32_e32 v7, 28, v7
	v_cmp_eq_u32_e32 vcc, 1, v8
	s_nop 1
	v_cndmask_b32_e32 v5, v7, v5, vcc
	v_lshlrev_b32_e32 v5, 1, v5
	ds_write_b16 v5, v3
	v_sub_u32_sdwa v3, v43, v6 dst_sel:DWORD dst_unused:UNUSED_PAD src0_sel:BYTE_0 src1_sel:DWORD
	v_add_u32_e32 v3, v93, v3
	v_sub_u32_e32 v5, v40, v3
	v_and_b32_e32 v7, 1, v44
	v_add_u32_e32 v5, 29, v5
	v_cmp_eq_u32_e32 vcc, 1, v7
	v_or_b32_e32 v43, 0x1600, v0
	s_nop 0
	v_cndmask_b32_e32 v3, v5, v3, vcc
	v_lshlrev_b32_e32 v3, 1, v3
	ds_write_b16 v3, v1
	s_waitcnt lgkmcnt(0)
	s_barrier
	ds_read_u16 v65, v2
	ds_read_u16 v64, v2 offset:1024
	ds_read_u16 v62, v2 offset:2048
	;; [unrolled: 1-line block ×29, first 2 shown]
	s_and_b64 vcc, exec, s[20:21]
	v_or_b32_e32 v3, 0x3a00, v0
	s_cbranch_vccnz .LBB2812_137
; %bb.106:
	s_lshl_b64 s[0:1], s[22:23], 1
	v_mov_b32_e32 v7, 0
	s_add_u32 s0, s2, s0
	s_addc_u32 s1, s3, s1
	v_lshlrev_b64 v[8:9], 1, v[6:7]
	v_lshl_add_u64 v[8:9], s[0:1], 0, v[8:9]
	v_cmp_lt_u32_e32 vcc, v0, v4
	s_and_saveexec_b64 s[0:1], vcc
	s_cbranch_execnz .LBB2812_174
; %bb.107:
	s_or_b64 exec, exec, s[0:1]
	v_cmp_lt_u32_e32 vcc, v63, v4
	s_and_saveexec_b64 s[0:1], vcc
	s_cbranch_execnz .LBB2812_175
.LBB2812_108:
	s_or_b64 exec, exec, s[0:1]
	v_cmp_lt_u32_e32 vcc, v61, v4
	s_and_saveexec_b64 s[0:1], vcc
	s_cbranch_execnz .LBB2812_176
.LBB2812_109:
	s_or_b64 exec, exec, s[0:1]
	v_cmp_lt_u32_e32 vcc, v59, v4
	s_and_saveexec_b64 s[0:1], vcc
	s_cbranch_execnz .LBB2812_177
.LBB2812_110:
	s_or_b64 exec, exec, s[0:1]
	v_cmp_lt_u32_e32 vcc, v57, v4
	s_and_saveexec_b64 s[0:1], vcc
	s_cbranch_execnz .LBB2812_178
.LBB2812_111:
	s_or_b64 exec, exec, s[0:1]
	v_cmp_lt_u32_e32 vcc, v55, v4
	s_and_saveexec_b64 s[0:1], vcc
	s_cbranch_execnz .LBB2812_179
.LBB2812_112:
	s_or_b64 exec, exec, s[0:1]
	v_cmp_lt_u32_e32 vcc, v53, v4
	s_and_saveexec_b64 s[0:1], vcc
	s_cbranch_execnz .LBB2812_180
.LBB2812_113:
	s_or_b64 exec, exec, s[0:1]
	v_cmp_lt_u32_e32 vcc, v50, v4
	s_and_saveexec_b64 s[0:1], vcc
	s_cbranch_execnz .LBB2812_181
.LBB2812_114:
	s_or_b64 exec, exec, s[0:1]
	v_cmp_lt_u32_e32 vcc, v49, v4
	s_and_saveexec_b64 s[0:1], vcc
	s_cbranch_execnz .LBB2812_182
.LBB2812_115:
	s_or_b64 exec, exec, s[0:1]
	v_cmp_lt_u32_e32 vcc, v47, v4
	s_and_saveexec_b64 s[0:1], vcc
	s_cbranch_execnz .LBB2812_183
.LBB2812_116:
	s_or_b64 exec, exec, s[0:1]
	v_cmp_lt_u32_e32 vcc, v45, v4
	s_and_saveexec_b64 s[0:1], vcc
	s_cbranch_execnz .LBB2812_184
.LBB2812_117:
	s_or_b64 exec, exec, s[0:1]
	v_cmp_lt_u32_e32 vcc, v43, v4
	s_and_saveexec_b64 s[0:1], vcc
	s_cbranch_execnz .LBB2812_185
.LBB2812_118:
	s_or_b64 exec, exec, s[0:1]
	v_cmp_lt_u32_e32 vcc, v41, v4
	s_and_saveexec_b64 s[0:1], vcc
	s_cbranch_execnz .LBB2812_186
.LBB2812_119:
	s_or_b64 exec, exec, s[0:1]
	v_cmp_lt_u32_e32 vcc, v39, v4
	s_and_saveexec_b64 s[0:1], vcc
	s_cbranch_execnz .LBB2812_187
.LBB2812_120:
	s_or_b64 exec, exec, s[0:1]
	v_cmp_lt_u32_e32 vcc, v37, v4
	s_and_saveexec_b64 s[0:1], vcc
	s_cbranch_execnz .LBB2812_188
.LBB2812_121:
	s_or_b64 exec, exec, s[0:1]
	v_cmp_lt_u32_e32 vcc, v34, v4
	s_and_saveexec_b64 s[0:1], vcc
	s_cbranch_execnz .LBB2812_189
.LBB2812_122:
	s_or_b64 exec, exec, s[0:1]
	v_cmp_lt_u32_e32 vcc, v33, v4
	s_and_saveexec_b64 s[0:1], vcc
	s_cbranch_execnz .LBB2812_190
.LBB2812_123:
	s_or_b64 exec, exec, s[0:1]
	v_cmp_lt_u32_e32 vcc, v31, v4
	s_and_saveexec_b64 s[0:1], vcc
	s_cbranch_execnz .LBB2812_191
.LBB2812_124:
	s_or_b64 exec, exec, s[0:1]
	v_cmp_lt_u32_e32 vcc, v29, v4
	s_and_saveexec_b64 s[0:1], vcc
	s_cbranch_execnz .LBB2812_192
.LBB2812_125:
	s_or_b64 exec, exec, s[0:1]
	v_cmp_lt_u32_e32 vcc, v27, v4
	s_and_saveexec_b64 s[0:1], vcc
	s_cbranch_execnz .LBB2812_193
.LBB2812_126:
	s_or_b64 exec, exec, s[0:1]
	v_cmp_lt_u32_e32 vcc, v25, v4
	s_and_saveexec_b64 s[0:1], vcc
	s_cbranch_execnz .LBB2812_194
.LBB2812_127:
	s_or_b64 exec, exec, s[0:1]
	v_cmp_lt_u32_e32 vcc, v23, v4
	s_and_saveexec_b64 s[0:1], vcc
	s_cbranch_execnz .LBB2812_195
.LBB2812_128:
	s_or_b64 exec, exec, s[0:1]
	v_cmp_lt_u32_e32 vcc, v21, v4
	s_and_saveexec_b64 s[0:1], vcc
	s_cbranch_execnz .LBB2812_196
.LBB2812_129:
	s_or_b64 exec, exec, s[0:1]
	v_cmp_lt_u32_e32 vcc, v19, v4
	s_and_saveexec_b64 s[0:1], vcc
	s_cbranch_execnz .LBB2812_197
.LBB2812_130:
	s_or_b64 exec, exec, s[0:1]
	v_cmp_lt_u32_e32 vcc, v18, v4
	s_and_saveexec_b64 s[0:1], vcc
	s_cbranch_execnz .LBB2812_198
.LBB2812_131:
	s_or_b64 exec, exec, s[0:1]
	v_cmp_lt_u32_e32 vcc, v16, v4
	s_and_saveexec_b64 s[0:1], vcc
	s_cbranch_execnz .LBB2812_199
.LBB2812_132:
	s_or_b64 exec, exec, s[0:1]
	v_cmp_lt_u32_e32 vcc, v14, v4
	s_and_saveexec_b64 s[0:1], vcc
	s_cbranch_execnz .LBB2812_200
.LBB2812_133:
	s_or_b64 exec, exec, s[0:1]
	v_cmp_lt_u32_e32 vcc, v12, v4
	s_and_saveexec_b64 s[0:1], vcc
	s_cbranch_execnz .LBB2812_201
.LBB2812_134:
	s_or_b64 exec, exec, s[0:1]
	v_cmp_lt_u32_e32 vcc, v10, v4
	s_and_saveexec_b64 s[0:1], vcc
	s_cbranch_execz .LBB2812_136
.LBB2812_135:
	v_lshlrev_b32_e32 v7, 1, v10
	v_readfirstlane_b32 s4, v8
	v_readfirstlane_b32 s5, v9
	s_waitcnt lgkmcnt(1)
	s_nop 3
	global_store_short v7, v5, s[4:5]
.LBB2812_136:
	s_or_b64 exec, exec, s[0:1]
	v_cmp_lt_u32_e64 s[0:1], v3, v4
	s_branch .LBB2812_169
.LBB2812_137:
	s_mov_b64 s[0:1], 0
                                        ; implicit-def: $vgpr8_vgpr9
	s_cbranch_execz .LBB2812_169
; %bb.138:
	s_lshl_b64 s[0:1], s[22:23], 1
	v_mov_b32_e32 v7, 0
	s_add_u32 s0, s2, s0
	v_min_u32_e32 v66, s33, v4
	s_addc_u32 s1, s3, s1
	v_lshlrev_b64 v[8:9], 1, v[6:7]
	v_lshl_add_u64 v[8:9], s[0:1], 0, v[8:9]
	v_cmp_gt_u32_e32 vcc, v66, v0
	s_and_saveexec_b64 s[0:1], vcc
	s_cbranch_execnz .LBB2812_202
; %bb.139:
	s_or_b64 exec, exec, s[0:1]
	v_cmp_lt_u32_e32 vcc, v63, v66
	s_and_saveexec_b64 s[0:1], vcc
	s_cbranch_execnz .LBB2812_203
.LBB2812_140:
	s_or_b64 exec, exec, s[0:1]
	v_cmp_lt_u32_e32 vcc, v61, v66
	s_and_saveexec_b64 s[0:1], vcc
	s_cbranch_execnz .LBB2812_204
.LBB2812_141:
	s_or_b64 exec, exec, s[0:1]
	v_cmp_lt_u32_e32 vcc, v59, v66
	s_and_saveexec_b64 s[0:1], vcc
	s_cbranch_execnz .LBB2812_205
.LBB2812_142:
	s_or_b64 exec, exec, s[0:1]
	v_cmp_lt_u32_e32 vcc, v57, v66
	s_and_saveexec_b64 s[0:1], vcc
	s_cbranch_execnz .LBB2812_206
.LBB2812_143:
	s_or_b64 exec, exec, s[0:1]
	v_cmp_lt_u32_e32 vcc, v55, v66
	s_and_saveexec_b64 s[0:1], vcc
	s_cbranch_execnz .LBB2812_207
.LBB2812_144:
	s_or_b64 exec, exec, s[0:1]
	v_cmp_lt_u32_e32 vcc, v53, v66
	s_and_saveexec_b64 s[0:1], vcc
	s_cbranch_execnz .LBB2812_208
.LBB2812_145:
	s_or_b64 exec, exec, s[0:1]
	v_cmp_lt_u32_e32 vcc, v50, v66
	s_and_saveexec_b64 s[0:1], vcc
	s_cbranch_execnz .LBB2812_209
.LBB2812_146:
	s_or_b64 exec, exec, s[0:1]
	v_cmp_lt_u32_e32 vcc, v49, v66
	s_and_saveexec_b64 s[0:1], vcc
	s_cbranch_execnz .LBB2812_210
.LBB2812_147:
	s_or_b64 exec, exec, s[0:1]
	v_cmp_lt_u32_e32 vcc, v47, v66
	s_and_saveexec_b64 s[0:1], vcc
	s_cbranch_execnz .LBB2812_211
.LBB2812_148:
	s_or_b64 exec, exec, s[0:1]
	v_cmp_lt_u32_e32 vcc, v45, v66
	s_and_saveexec_b64 s[0:1], vcc
	s_cbranch_execnz .LBB2812_212
.LBB2812_149:
	s_or_b64 exec, exec, s[0:1]
	v_cmp_lt_u32_e32 vcc, v43, v66
	s_and_saveexec_b64 s[0:1], vcc
	s_cbranch_execnz .LBB2812_213
.LBB2812_150:
	s_or_b64 exec, exec, s[0:1]
	v_cmp_lt_u32_e32 vcc, v41, v66
	s_and_saveexec_b64 s[0:1], vcc
	s_cbranch_execnz .LBB2812_214
.LBB2812_151:
	s_or_b64 exec, exec, s[0:1]
	v_cmp_lt_u32_e32 vcc, v39, v66
	s_and_saveexec_b64 s[0:1], vcc
	s_cbranch_execnz .LBB2812_215
.LBB2812_152:
	s_or_b64 exec, exec, s[0:1]
	v_cmp_lt_u32_e32 vcc, v37, v66
	s_and_saveexec_b64 s[0:1], vcc
	s_cbranch_execnz .LBB2812_216
.LBB2812_153:
	s_or_b64 exec, exec, s[0:1]
	v_cmp_lt_u32_e32 vcc, v34, v66
	s_and_saveexec_b64 s[0:1], vcc
	s_cbranch_execnz .LBB2812_217
.LBB2812_154:
	s_or_b64 exec, exec, s[0:1]
	v_cmp_lt_u32_e32 vcc, v33, v66
	s_and_saveexec_b64 s[0:1], vcc
	s_cbranch_execnz .LBB2812_218
.LBB2812_155:
	s_or_b64 exec, exec, s[0:1]
	v_cmp_lt_u32_e32 vcc, v31, v66
	s_and_saveexec_b64 s[0:1], vcc
	s_cbranch_execnz .LBB2812_219
.LBB2812_156:
	s_or_b64 exec, exec, s[0:1]
	v_cmp_lt_u32_e32 vcc, v29, v66
	s_and_saveexec_b64 s[0:1], vcc
	s_cbranch_execnz .LBB2812_220
.LBB2812_157:
	s_or_b64 exec, exec, s[0:1]
	v_cmp_lt_u32_e32 vcc, v27, v66
	s_and_saveexec_b64 s[0:1], vcc
	s_cbranch_execnz .LBB2812_221
.LBB2812_158:
	s_or_b64 exec, exec, s[0:1]
	v_cmp_lt_u32_e32 vcc, v25, v66
	s_and_saveexec_b64 s[0:1], vcc
	s_cbranch_execnz .LBB2812_222
.LBB2812_159:
	s_or_b64 exec, exec, s[0:1]
	v_cmp_lt_u32_e32 vcc, v23, v66
	s_and_saveexec_b64 s[0:1], vcc
	s_cbranch_execnz .LBB2812_223
.LBB2812_160:
	s_or_b64 exec, exec, s[0:1]
	v_cmp_lt_u32_e32 vcc, v21, v66
	s_and_saveexec_b64 s[0:1], vcc
	s_cbranch_execnz .LBB2812_224
.LBB2812_161:
	s_or_b64 exec, exec, s[0:1]
	v_cmp_lt_u32_e32 vcc, v19, v66
	s_and_saveexec_b64 s[0:1], vcc
	s_cbranch_execnz .LBB2812_225
.LBB2812_162:
	s_or_b64 exec, exec, s[0:1]
	v_cmp_lt_u32_e32 vcc, v18, v66
	s_and_saveexec_b64 s[0:1], vcc
	s_cbranch_execnz .LBB2812_226
.LBB2812_163:
	s_or_b64 exec, exec, s[0:1]
	v_cmp_lt_u32_e32 vcc, v16, v66
	s_and_saveexec_b64 s[0:1], vcc
	s_cbranch_execnz .LBB2812_227
.LBB2812_164:
	s_or_b64 exec, exec, s[0:1]
	v_cmp_lt_u32_e32 vcc, v14, v66
	s_and_saveexec_b64 s[0:1], vcc
	s_cbranch_execnz .LBB2812_228
.LBB2812_165:
	s_or_b64 exec, exec, s[0:1]
	v_cmp_lt_u32_e32 vcc, v12, v66
	s_and_saveexec_b64 s[0:1], vcc
	s_cbranch_execnz .LBB2812_229
.LBB2812_166:
	s_or_b64 exec, exec, s[0:1]
	v_cmp_lt_u32_e32 vcc, v10, v66
	s_and_saveexec_b64 s[0:1], vcc
	s_cbranch_execz .LBB2812_168
.LBB2812_167:
	v_lshlrev_b32_e32 v2, 1, v10
	v_readfirstlane_b32 s2, v8
	v_readfirstlane_b32 s3, v9
	s_waitcnt lgkmcnt(1)
	s_nop 3
	global_store_short v2, v5, s[2:3]
.LBB2812_168:
	s_or_b64 exec, exec, s[0:1]
	v_cmp_lt_u32_e64 s[0:1], v3, v66
.LBB2812_169:
	s_and_saveexec_b64 s[2:3], s[0:1]
	s_cbranch_execz .LBB2812_171
; %bb.170:
	v_lshlrev_b32_e32 v2, 1, v3
	v_readfirstlane_b32 s0, v8
	v_readfirstlane_b32 s1, v9
	s_waitcnt lgkmcnt(0)
	s_nop 3
	global_store_short v2, v1, s[0:1]
.LBB2812_171:
	s_or_b64 exec, exec, s[2:3]
	v_cmp_eq_u32_e32 vcc, 0, v0
	s_and_b64 s[0:1], vcc, s[26:27]
	s_and_saveexec_b64 s[2:3], s[0:1]
	s_cbranch_execz .LBB2812_173
; %bb.172:
	s_waitcnt lgkmcnt(1)
	v_mov_b32_e32 v5, 0
	s_waitcnt lgkmcnt(0)
	v_lshl_add_u64 v[0:1], s[22:23], 0, v[4:5]
	v_mov_b32_e32 v7, v5
	v_lshl_add_u64 v[0:1], v[0:1], 0, v[6:7]
	global_store_dwordx2 v5, v[0:1], s[24:25]
.LBB2812_173:
	s_endpgm
.LBB2812_174:
	v_readfirstlane_b32 s4, v8
	v_readfirstlane_b32 s5, v9
	s_waitcnt lgkmcnt(14)
	s_nop 3
	global_store_short v2, v65, s[4:5]
	s_or_b64 exec, exec, s[0:1]
	v_cmp_lt_u32_e32 vcc, v63, v4
	s_and_saveexec_b64 s[0:1], vcc
	s_cbranch_execz .LBB2812_108
.LBB2812_175:
	v_readfirstlane_b32 s4, v8
	v_readfirstlane_b32 s5, v9
	s_waitcnt lgkmcnt(14)
	s_nop 3
	global_store_short v2, v64, s[4:5] offset:1024
	s_or_b64 exec, exec, s[0:1]
	v_cmp_lt_u32_e32 vcc, v61, v4
	s_and_saveexec_b64 s[0:1], vcc
	s_cbranch_execz .LBB2812_109
.LBB2812_176:
	v_readfirstlane_b32 s4, v8
	v_readfirstlane_b32 s5, v9
	s_waitcnt lgkmcnt(14)
	s_nop 3
	global_store_short v2, v62, s[4:5] offset:2048
	s_or_b64 exec, exec, s[0:1]
	v_cmp_lt_u32_e32 vcc, v59, v4
	s_and_saveexec_b64 s[0:1], vcc
	s_cbranch_execz .LBB2812_110
.LBB2812_177:
	v_readfirstlane_b32 s4, v8
	v_readfirstlane_b32 s5, v9
	s_waitcnt lgkmcnt(14)
	s_nop 3
	global_store_short v2, v60, s[4:5] offset:3072
	s_or_b64 exec, exec, s[0:1]
	v_cmp_lt_u32_e32 vcc, v57, v4
	s_and_saveexec_b64 s[0:1], vcc
	s_cbranch_execz .LBB2812_111
.LBB2812_178:
	v_lshlrev_b32_e32 v7, 1, v57
	v_readfirstlane_b32 s4, v8
	v_readfirstlane_b32 s5, v9
	s_waitcnt lgkmcnt(14)
	s_nop 3
	global_store_short v7, v58, s[4:5]
	s_or_b64 exec, exec, s[0:1]
	v_cmp_lt_u32_e32 vcc, v55, v4
	s_and_saveexec_b64 s[0:1], vcc
	s_cbranch_execz .LBB2812_112
.LBB2812_179:
	v_lshlrev_b32_e32 v7, 1, v55
	v_readfirstlane_b32 s4, v8
	v_readfirstlane_b32 s5, v9
	s_waitcnt lgkmcnt(14)
	s_nop 3
	global_store_short v7, v56, s[4:5]
	s_or_b64 exec, exec, s[0:1]
	v_cmp_lt_u32_e32 vcc, v53, v4
	s_and_saveexec_b64 s[0:1], vcc
	s_cbranch_execz .LBB2812_113
.LBB2812_180:
	v_lshlrev_b32_e32 v7, 1, v53
	v_readfirstlane_b32 s4, v8
	v_readfirstlane_b32 s5, v9
	s_waitcnt lgkmcnt(14)
	s_nop 3
	global_store_short v7, v54, s[4:5]
	s_or_b64 exec, exec, s[0:1]
	v_cmp_lt_u32_e32 vcc, v50, v4
	s_and_saveexec_b64 s[0:1], vcc
	s_cbranch_execz .LBB2812_114
.LBB2812_181:
	v_lshlrev_b32_e32 v7, 1, v50
	v_readfirstlane_b32 s4, v8
	v_readfirstlane_b32 s5, v9
	s_waitcnt lgkmcnt(14)
	s_nop 3
	global_store_short v7, v51, s[4:5]
	s_or_b64 exec, exec, s[0:1]
	v_cmp_lt_u32_e32 vcc, v49, v4
	s_and_saveexec_b64 s[0:1], vcc
	s_cbranch_execz .LBB2812_115
.LBB2812_182:
	v_lshlrev_b32_e32 v7, 1, v49
	v_readfirstlane_b32 s4, v8
	v_readfirstlane_b32 s5, v9
	s_waitcnt lgkmcnt(14)
	s_nop 3
	global_store_short v7, v52, s[4:5]
	s_or_b64 exec, exec, s[0:1]
	v_cmp_lt_u32_e32 vcc, v47, v4
	s_and_saveexec_b64 s[0:1], vcc
	s_cbranch_execz .LBB2812_116
.LBB2812_183:
	v_lshlrev_b32_e32 v7, 1, v47
	v_readfirstlane_b32 s4, v8
	v_readfirstlane_b32 s5, v9
	s_waitcnt lgkmcnt(14)
	s_nop 3
	global_store_short v7, v48, s[4:5]
	s_or_b64 exec, exec, s[0:1]
	v_cmp_lt_u32_e32 vcc, v45, v4
	s_and_saveexec_b64 s[0:1], vcc
	s_cbranch_execz .LBB2812_117
.LBB2812_184:
	v_lshlrev_b32_e32 v7, 1, v45
	v_readfirstlane_b32 s4, v8
	v_readfirstlane_b32 s5, v9
	s_waitcnt lgkmcnt(14)
	s_nop 3
	global_store_short v7, v46, s[4:5]
	s_or_b64 exec, exec, s[0:1]
	v_cmp_lt_u32_e32 vcc, v43, v4
	s_and_saveexec_b64 s[0:1], vcc
	s_cbranch_execz .LBB2812_118
.LBB2812_185:
	v_lshlrev_b32_e32 v7, 1, v43
	v_readfirstlane_b32 s4, v8
	v_readfirstlane_b32 s5, v9
	s_waitcnt lgkmcnt(14)
	s_nop 3
	global_store_short v7, v44, s[4:5]
	s_or_b64 exec, exec, s[0:1]
	v_cmp_lt_u32_e32 vcc, v41, v4
	s_and_saveexec_b64 s[0:1], vcc
	s_cbranch_execz .LBB2812_119
.LBB2812_186:
	v_lshlrev_b32_e32 v7, 1, v41
	v_readfirstlane_b32 s4, v8
	v_readfirstlane_b32 s5, v9
	s_waitcnt lgkmcnt(14)
	s_nop 3
	global_store_short v7, v42, s[4:5]
	s_or_b64 exec, exec, s[0:1]
	v_cmp_lt_u32_e32 vcc, v39, v4
	s_and_saveexec_b64 s[0:1], vcc
	s_cbranch_execz .LBB2812_120
.LBB2812_187:
	v_lshlrev_b32_e32 v7, 1, v39
	v_readfirstlane_b32 s4, v8
	v_readfirstlane_b32 s5, v9
	s_waitcnt lgkmcnt(14)
	s_nop 3
	global_store_short v7, v40, s[4:5]
	s_or_b64 exec, exec, s[0:1]
	v_cmp_lt_u32_e32 vcc, v37, v4
	s_and_saveexec_b64 s[0:1], vcc
	s_cbranch_execz .LBB2812_121
.LBB2812_188:
	v_lshlrev_b32_e32 v7, 1, v37
	v_readfirstlane_b32 s4, v8
	v_readfirstlane_b32 s5, v9
	s_waitcnt lgkmcnt(14)
	s_nop 3
	global_store_short v7, v38, s[4:5]
	s_or_b64 exec, exec, s[0:1]
	v_cmp_lt_u32_e32 vcc, v34, v4
	s_and_saveexec_b64 s[0:1], vcc
	s_cbranch_execz .LBB2812_122
.LBB2812_189:
	v_lshlrev_b32_e32 v7, 1, v34
	v_readfirstlane_b32 s4, v8
	v_readfirstlane_b32 s5, v9
	s_waitcnt lgkmcnt(14)
	s_nop 3
	global_store_short v7, v35, s[4:5]
	s_or_b64 exec, exec, s[0:1]
	v_cmp_lt_u32_e32 vcc, v33, v4
	s_and_saveexec_b64 s[0:1], vcc
	s_cbranch_execz .LBB2812_123
.LBB2812_190:
	v_lshlrev_b32_e32 v7, 1, v33
	v_readfirstlane_b32 s4, v8
	v_readfirstlane_b32 s5, v9
	s_waitcnt lgkmcnt(13)
	s_nop 3
	global_store_short v7, v36, s[4:5]
	s_or_b64 exec, exec, s[0:1]
	v_cmp_lt_u32_e32 vcc, v31, v4
	s_and_saveexec_b64 s[0:1], vcc
	s_cbranch_execz .LBB2812_124
.LBB2812_191:
	v_lshlrev_b32_e32 v7, 1, v31
	v_readfirstlane_b32 s4, v8
	v_readfirstlane_b32 s5, v9
	s_waitcnt lgkmcnt(12)
	s_nop 3
	global_store_short v7, v32, s[4:5]
	s_or_b64 exec, exec, s[0:1]
	v_cmp_lt_u32_e32 vcc, v29, v4
	s_and_saveexec_b64 s[0:1], vcc
	s_cbranch_execz .LBB2812_125
.LBB2812_192:
	v_lshlrev_b32_e32 v7, 1, v29
	v_readfirstlane_b32 s4, v8
	v_readfirstlane_b32 s5, v9
	s_waitcnt lgkmcnt(11)
	s_nop 3
	global_store_short v7, v30, s[4:5]
	s_or_b64 exec, exec, s[0:1]
	v_cmp_lt_u32_e32 vcc, v27, v4
	s_and_saveexec_b64 s[0:1], vcc
	s_cbranch_execz .LBB2812_126
.LBB2812_193:
	v_lshlrev_b32_e32 v7, 1, v27
	v_readfirstlane_b32 s4, v8
	v_readfirstlane_b32 s5, v9
	s_waitcnt lgkmcnt(10)
	s_nop 3
	global_store_short v7, v28, s[4:5]
	s_or_b64 exec, exec, s[0:1]
	v_cmp_lt_u32_e32 vcc, v25, v4
	s_and_saveexec_b64 s[0:1], vcc
	s_cbranch_execz .LBB2812_127
.LBB2812_194:
	v_lshlrev_b32_e32 v7, 1, v25
	v_readfirstlane_b32 s4, v8
	v_readfirstlane_b32 s5, v9
	s_waitcnt lgkmcnt(9)
	s_nop 3
	global_store_short v7, v26, s[4:5]
	s_or_b64 exec, exec, s[0:1]
	v_cmp_lt_u32_e32 vcc, v23, v4
	s_and_saveexec_b64 s[0:1], vcc
	s_cbranch_execz .LBB2812_128
.LBB2812_195:
	v_lshlrev_b32_e32 v7, 1, v23
	v_readfirstlane_b32 s4, v8
	v_readfirstlane_b32 s5, v9
	s_waitcnt lgkmcnt(8)
	s_nop 3
	global_store_short v7, v24, s[4:5]
	s_or_b64 exec, exec, s[0:1]
	v_cmp_lt_u32_e32 vcc, v21, v4
	s_and_saveexec_b64 s[0:1], vcc
	s_cbranch_execz .LBB2812_129
.LBB2812_196:
	v_lshlrev_b32_e32 v7, 1, v21
	v_readfirstlane_b32 s4, v8
	v_readfirstlane_b32 s5, v9
	s_waitcnt lgkmcnt(7)
	s_nop 3
	global_store_short v7, v22, s[4:5]
	s_or_b64 exec, exec, s[0:1]
	v_cmp_lt_u32_e32 vcc, v19, v4
	s_and_saveexec_b64 s[0:1], vcc
	s_cbranch_execz .LBB2812_130
.LBB2812_197:
	v_lshlrev_b32_e32 v7, 1, v19
	v_readfirstlane_b32 s4, v8
	v_readfirstlane_b32 s5, v9
	s_waitcnt lgkmcnt(6)
	s_nop 3
	global_store_short v7, v20, s[4:5]
	s_or_b64 exec, exec, s[0:1]
	v_cmp_lt_u32_e32 vcc, v18, v4
	s_and_saveexec_b64 s[0:1], vcc
	s_cbranch_execz .LBB2812_131
.LBB2812_198:
	v_lshlrev_b32_e32 v7, 1, v18
	v_readfirstlane_b32 s4, v8
	v_readfirstlane_b32 s5, v9
	s_waitcnt lgkmcnt(5)
	s_nop 3
	global_store_short v7, v17, s[4:5]
	s_or_b64 exec, exec, s[0:1]
	v_cmp_lt_u32_e32 vcc, v16, v4
	s_and_saveexec_b64 s[0:1], vcc
	s_cbranch_execz .LBB2812_132
.LBB2812_199:
	v_lshlrev_b32_e32 v7, 1, v16
	v_readfirstlane_b32 s4, v8
	v_readfirstlane_b32 s5, v9
	s_waitcnt lgkmcnt(4)
	s_nop 3
	global_store_short v7, v15, s[4:5]
	s_or_b64 exec, exec, s[0:1]
	v_cmp_lt_u32_e32 vcc, v14, v4
	s_and_saveexec_b64 s[0:1], vcc
	s_cbranch_execz .LBB2812_133
.LBB2812_200:
	v_lshlrev_b32_e32 v7, 1, v14
	v_readfirstlane_b32 s4, v8
	v_readfirstlane_b32 s5, v9
	s_waitcnt lgkmcnt(3)
	s_nop 3
	global_store_short v7, v13, s[4:5]
	s_or_b64 exec, exec, s[0:1]
	v_cmp_lt_u32_e32 vcc, v12, v4
	s_and_saveexec_b64 s[0:1], vcc
	s_cbranch_execz .LBB2812_134
.LBB2812_201:
	v_lshlrev_b32_e32 v7, 1, v12
	v_readfirstlane_b32 s4, v8
	v_readfirstlane_b32 s5, v9
	s_waitcnt lgkmcnt(2)
	s_nop 3
	global_store_short v7, v11, s[4:5]
	s_or_b64 exec, exec, s[0:1]
	v_cmp_lt_u32_e32 vcc, v10, v4
	s_and_saveexec_b64 s[0:1], vcc
	s_cbranch_execnz .LBB2812_135
	s_branch .LBB2812_136
.LBB2812_202:
	v_readfirstlane_b32 s2, v8
	v_readfirstlane_b32 s3, v9
	s_waitcnt lgkmcnt(14)
	s_nop 3
	global_store_short v2, v65, s[2:3]
	s_or_b64 exec, exec, s[0:1]
	v_cmp_lt_u32_e32 vcc, v63, v66
	s_and_saveexec_b64 s[0:1], vcc
	s_cbranch_execz .LBB2812_140
.LBB2812_203:
	v_readfirstlane_b32 s2, v8
	v_readfirstlane_b32 s3, v9
	s_waitcnt lgkmcnt(14)
	s_nop 3
	global_store_short v2, v64, s[2:3] offset:1024
	s_or_b64 exec, exec, s[0:1]
	v_cmp_lt_u32_e32 vcc, v61, v66
	s_and_saveexec_b64 s[0:1], vcc
	s_cbranch_execz .LBB2812_141
.LBB2812_204:
	v_readfirstlane_b32 s2, v8
	v_readfirstlane_b32 s3, v9
	s_waitcnt lgkmcnt(14)
	s_nop 3
	global_store_short v2, v62, s[2:3] offset:2048
	s_or_b64 exec, exec, s[0:1]
	v_cmp_lt_u32_e32 vcc, v59, v66
	s_and_saveexec_b64 s[0:1], vcc
	s_cbranch_execz .LBB2812_142
.LBB2812_205:
	v_readfirstlane_b32 s2, v8
	v_readfirstlane_b32 s3, v9
	s_waitcnt lgkmcnt(14)
	s_nop 3
	global_store_short v2, v60, s[2:3] offset:3072
	s_or_b64 exec, exec, s[0:1]
	v_cmp_lt_u32_e32 vcc, v57, v66
	s_and_saveexec_b64 s[0:1], vcc
	s_cbranch_execz .LBB2812_143
.LBB2812_206:
	v_lshlrev_b32_e32 v2, 1, v57
	v_readfirstlane_b32 s2, v8
	v_readfirstlane_b32 s3, v9
	s_waitcnt lgkmcnt(14)
	s_nop 3
	global_store_short v2, v58, s[2:3]
	s_or_b64 exec, exec, s[0:1]
	v_cmp_lt_u32_e32 vcc, v55, v66
	s_and_saveexec_b64 s[0:1], vcc
	s_cbranch_execz .LBB2812_144
.LBB2812_207:
	v_lshlrev_b32_e32 v2, 1, v55
	v_readfirstlane_b32 s2, v8
	v_readfirstlane_b32 s3, v9
	s_waitcnt lgkmcnt(14)
	s_nop 3
	global_store_short v2, v56, s[2:3]
	s_or_b64 exec, exec, s[0:1]
	v_cmp_lt_u32_e32 vcc, v53, v66
	s_and_saveexec_b64 s[0:1], vcc
	s_cbranch_execz .LBB2812_145
.LBB2812_208:
	v_lshlrev_b32_e32 v2, 1, v53
	v_readfirstlane_b32 s2, v8
	v_readfirstlane_b32 s3, v9
	s_waitcnt lgkmcnt(14)
	s_nop 3
	global_store_short v2, v54, s[2:3]
	s_or_b64 exec, exec, s[0:1]
	v_cmp_lt_u32_e32 vcc, v50, v66
	s_and_saveexec_b64 s[0:1], vcc
	s_cbranch_execz .LBB2812_146
.LBB2812_209:
	v_lshlrev_b32_e32 v2, 1, v50
	v_readfirstlane_b32 s2, v8
	v_readfirstlane_b32 s3, v9
	s_waitcnt lgkmcnt(14)
	s_nop 3
	global_store_short v2, v51, s[2:3]
	s_or_b64 exec, exec, s[0:1]
	v_cmp_lt_u32_e32 vcc, v49, v66
	s_and_saveexec_b64 s[0:1], vcc
	s_cbranch_execz .LBB2812_147
.LBB2812_210:
	v_lshlrev_b32_e32 v2, 1, v49
	v_readfirstlane_b32 s2, v8
	v_readfirstlane_b32 s3, v9
	s_waitcnt lgkmcnt(14)
	s_nop 3
	global_store_short v2, v52, s[2:3]
	s_or_b64 exec, exec, s[0:1]
	v_cmp_lt_u32_e32 vcc, v47, v66
	s_and_saveexec_b64 s[0:1], vcc
	s_cbranch_execz .LBB2812_148
.LBB2812_211:
	v_lshlrev_b32_e32 v2, 1, v47
	v_readfirstlane_b32 s2, v8
	v_readfirstlane_b32 s3, v9
	s_waitcnt lgkmcnt(14)
	s_nop 3
	global_store_short v2, v48, s[2:3]
	s_or_b64 exec, exec, s[0:1]
	v_cmp_lt_u32_e32 vcc, v45, v66
	s_and_saveexec_b64 s[0:1], vcc
	s_cbranch_execz .LBB2812_149
.LBB2812_212:
	v_lshlrev_b32_e32 v2, 1, v45
	v_readfirstlane_b32 s2, v8
	v_readfirstlane_b32 s3, v9
	s_waitcnt lgkmcnt(14)
	s_nop 3
	global_store_short v2, v46, s[2:3]
	s_or_b64 exec, exec, s[0:1]
	v_cmp_lt_u32_e32 vcc, v43, v66
	s_and_saveexec_b64 s[0:1], vcc
	s_cbranch_execz .LBB2812_150
.LBB2812_213:
	v_lshlrev_b32_e32 v2, 1, v43
	v_readfirstlane_b32 s2, v8
	v_readfirstlane_b32 s3, v9
	s_waitcnt lgkmcnt(14)
	s_nop 3
	global_store_short v2, v44, s[2:3]
	s_or_b64 exec, exec, s[0:1]
	v_cmp_lt_u32_e32 vcc, v41, v66
	s_and_saveexec_b64 s[0:1], vcc
	s_cbranch_execz .LBB2812_151
.LBB2812_214:
	v_lshlrev_b32_e32 v2, 1, v41
	v_readfirstlane_b32 s2, v8
	v_readfirstlane_b32 s3, v9
	s_waitcnt lgkmcnt(14)
	s_nop 3
	global_store_short v2, v42, s[2:3]
	s_or_b64 exec, exec, s[0:1]
	v_cmp_lt_u32_e32 vcc, v39, v66
	s_and_saveexec_b64 s[0:1], vcc
	s_cbranch_execz .LBB2812_152
.LBB2812_215:
	v_lshlrev_b32_e32 v2, 1, v39
	v_readfirstlane_b32 s2, v8
	v_readfirstlane_b32 s3, v9
	s_waitcnt lgkmcnt(14)
	s_nop 3
	global_store_short v2, v40, s[2:3]
	s_or_b64 exec, exec, s[0:1]
	v_cmp_lt_u32_e32 vcc, v37, v66
	s_and_saveexec_b64 s[0:1], vcc
	s_cbranch_execz .LBB2812_153
.LBB2812_216:
	v_lshlrev_b32_e32 v2, 1, v37
	v_readfirstlane_b32 s2, v8
	v_readfirstlane_b32 s3, v9
	s_waitcnt lgkmcnt(14)
	s_nop 3
	global_store_short v2, v38, s[2:3]
	s_or_b64 exec, exec, s[0:1]
	v_cmp_lt_u32_e32 vcc, v34, v66
	s_and_saveexec_b64 s[0:1], vcc
	s_cbranch_execz .LBB2812_154
.LBB2812_217:
	v_lshlrev_b32_e32 v2, 1, v34
	v_readfirstlane_b32 s2, v8
	v_readfirstlane_b32 s3, v9
	s_waitcnt lgkmcnt(14)
	s_nop 3
	global_store_short v2, v35, s[2:3]
	s_or_b64 exec, exec, s[0:1]
	v_cmp_lt_u32_e32 vcc, v33, v66
	s_and_saveexec_b64 s[0:1], vcc
	s_cbranch_execz .LBB2812_155
.LBB2812_218:
	v_lshlrev_b32_e32 v2, 1, v33
	v_readfirstlane_b32 s2, v8
	v_readfirstlane_b32 s3, v9
	s_waitcnt lgkmcnt(13)
	s_nop 3
	global_store_short v2, v36, s[2:3]
	s_or_b64 exec, exec, s[0:1]
	v_cmp_lt_u32_e32 vcc, v31, v66
	s_and_saveexec_b64 s[0:1], vcc
	s_cbranch_execz .LBB2812_156
.LBB2812_219:
	v_lshlrev_b32_e32 v2, 1, v31
	v_readfirstlane_b32 s2, v8
	v_readfirstlane_b32 s3, v9
	s_waitcnt lgkmcnt(12)
	s_nop 3
	global_store_short v2, v32, s[2:3]
	s_or_b64 exec, exec, s[0:1]
	v_cmp_lt_u32_e32 vcc, v29, v66
	s_and_saveexec_b64 s[0:1], vcc
	s_cbranch_execz .LBB2812_157
.LBB2812_220:
	v_lshlrev_b32_e32 v2, 1, v29
	v_readfirstlane_b32 s2, v8
	v_readfirstlane_b32 s3, v9
	s_waitcnt lgkmcnt(11)
	s_nop 3
	global_store_short v2, v30, s[2:3]
	s_or_b64 exec, exec, s[0:1]
	v_cmp_lt_u32_e32 vcc, v27, v66
	s_and_saveexec_b64 s[0:1], vcc
	s_cbranch_execz .LBB2812_158
.LBB2812_221:
	v_lshlrev_b32_e32 v2, 1, v27
	v_readfirstlane_b32 s2, v8
	v_readfirstlane_b32 s3, v9
	s_waitcnt lgkmcnt(10)
	s_nop 3
	global_store_short v2, v28, s[2:3]
	s_or_b64 exec, exec, s[0:1]
	v_cmp_lt_u32_e32 vcc, v25, v66
	s_and_saveexec_b64 s[0:1], vcc
	s_cbranch_execz .LBB2812_159
.LBB2812_222:
	v_lshlrev_b32_e32 v2, 1, v25
	v_readfirstlane_b32 s2, v8
	v_readfirstlane_b32 s3, v9
	s_waitcnt lgkmcnt(9)
	s_nop 3
	global_store_short v2, v26, s[2:3]
	s_or_b64 exec, exec, s[0:1]
	v_cmp_lt_u32_e32 vcc, v23, v66
	s_and_saveexec_b64 s[0:1], vcc
	s_cbranch_execz .LBB2812_160
.LBB2812_223:
	v_lshlrev_b32_e32 v2, 1, v23
	v_readfirstlane_b32 s2, v8
	v_readfirstlane_b32 s3, v9
	s_waitcnt lgkmcnt(8)
	s_nop 3
	global_store_short v2, v24, s[2:3]
	s_or_b64 exec, exec, s[0:1]
	v_cmp_lt_u32_e32 vcc, v21, v66
	s_and_saveexec_b64 s[0:1], vcc
	s_cbranch_execz .LBB2812_161
.LBB2812_224:
	v_lshlrev_b32_e32 v2, 1, v21
	v_readfirstlane_b32 s2, v8
	v_readfirstlane_b32 s3, v9
	s_waitcnt lgkmcnt(7)
	s_nop 3
	global_store_short v2, v22, s[2:3]
	s_or_b64 exec, exec, s[0:1]
	v_cmp_lt_u32_e32 vcc, v19, v66
	s_and_saveexec_b64 s[0:1], vcc
	s_cbranch_execz .LBB2812_162
.LBB2812_225:
	v_lshlrev_b32_e32 v2, 1, v19
	v_readfirstlane_b32 s2, v8
	v_readfirstlane_b32 s3, v9
	s_waitcnt lgkmcnt(6)
	s_nop 3
	global_store_short v2, v20, s[2:3]
	s_or_b64 exec, exec, s[0:1]
	v_cmp_lt_u32_e32 vcc, v18, v66
	s_and_saveexec_b64 s[0:1], vcc
	s_cbranch_execz .LBB2812_163
.LBB2812_226:
	v_lshlrev_b32_e32 v2, 1, v18
	v_readfirstlane_b32 s2, v8
	v_readfirstlane_b32 s3, v9
	s_waitcnt lgkmcnt(5)
	s_nop 3
	global_store_short v2, v17, s[2:3]
	s_or_b64 exec, exec, s[0:1]
	v_cmp_lt_u32_e32 vcc, v16, v66
	s_and_saveexec_b64 s[0:1], vcc
	s_cbranch_execz .LBB2812_164
.LBB2812_227:
	v_lshlrev_b32_e32 v2, 1, v16
	v_readfirstlane_b32 s2, v8
	v_readfirstlane_b32 s3, v9
	s_waitcnt lgkmcnt(4)
	s_nop 3
	global_store_short v2, v15, s[2:3]
	s_or_b64 exec, exec, s[0:1]
	v_cmp_lt_u32_e32 vcc, v14, v66
	s_and_saveexec_b64 s[0:1], vcc
	s_cbranch_execz .LBB2812_165
.LBB2812_228:
	v_lshlrev_b32_e32 v2, 1, v14
	v_readfirstlane_b32 s2, v8
	v_readfirstlane_b32 s3, v9
	s_waitcnt lgkmcnt(3)
	s_nop 3
	global_store_short v2, v13, s[2:3]
	s_or_b64 exec, exec, s[0:1]
	v_cmp_lt_u32_e32 vcc, v12, v66
	s_and_saveexec_b64 s[0:1], vcc
	s_cbranch_execz .LBB2812_166
.LBB2812_229:
	v_lshlrev_b32_e32 v2, 1, v12
	v_readfirstlane_b32 s2, v8
	v_readfirstlane_b32 s3, v9
	s_waitcnt lgkmcnt(2)
	s_nop 3
	global_store_short v2, v11, s[2:3]
	s_or_b64 exec, exec, s[0:1]
	v_cmp_lt_u32_e32 vcc, v10, v66
	s_and_saveexec_b64 s[0:1], vcc
	s_cbranch_execnz .LBB2812_167
	s_branch .LBB2812_168
	.section	.rodata,"a",@progbits
	.p2align	6, 0x0
	.amdhsa_kernel _ZN7rocprim17ROCPRIM_400000_NS6detail17trampoline_kernelINS0_14default_configENS1_25partition_config_selectorILNS1_17partition_subalgoE0EsNS0_10empty_typeEbEEZZNS1_14partition_implILS5_0ELb0ES3_jN6thrust23THRUST_200600_302600_NS6detail15normal_iteratorINSA_10device_ptrIsEEEEPS6_SG_NS0_5tupleIJSF_NSA_16discard_iteratorINSA_11use_defaultEEEEEENSH_IJSG_SG_EEES6_PlJ7is_evenIsEEEE10hipError_tPvRmT3_T4_T5_T6_T7_T9_mT8_P12ihipStream_tbDpT10_ENKUlT_T0_E_clISt17integral_constantIbLb0EES19_EEDaS14_S15_EUlS14_E_NS1_11comp_targetILNS1_3genE5ELNS1_11target_archE942ELNS1_3gpuE9ELNS1_3repE0EEENS1_30default_config_static_selectorELNS0_4arch9wavefront6targetE1EEEvT1_
		.amdhsa_group_segment_fixed_size 30728
		.amdhsa_private_segment_fixed_size 0
		.amdhsa_kernarg_size 128
		.amdhsa_user_sgpr_count 2
		.amdhsa_user_sgpr_dispatch_ptr 0
		.amdhsa_user_sgpr_queue_ptr 0
		.amdhsa_user_sgpr_kernarg_segment_ptr 1
		.amdhsa_user_sgpr_dispatch_id 0
		.amdhsa_user_sgpr_kernarg_preload_length 0
		.amdhsa_user_sgpr_kernarg_preload_offset 0
		.amdhsa_user_sgpr_private_segment_size 0
		.amdhsa_uses_dynamic_stack 0
		.amdhsa_enable_private_segment 0
		.amdhsa_system_sgpr_workgroup_id_x 1
		.amdhsa_system_sgpr_workgroup_id_y 0
		.amdhsa_system_sgpr_workgroup_id_z 0
		.amdhsa_system_sgpr_workgroup_info 0
		.amdhsa_system_vgpr_workitem_id 0
		.amdhsa_next_free_vgpr 120
		.amdhsa_next_free_sgpr 40
		.amdhsa_accum_offset 120
		.amdhsa_reserve_vcc 1
		.amdhsa_float_round_mode_32 0
		.amdhsa_float_round_mode_16_64 0
		.amdhsa_float_denorm_mode_32 3
		.amdhsa_float_denorm_mode_16_64 3
		.amdhsa_dx10_clamp 1
		.amdhsa_ieee_mode 1
		.amdhsa_fp16_overflow 0
		.amdhsa_tg_split 0
		.amdhsa_exception_fp_ieee_invalid_op 0
		.amdhsa_exception_fp_denorm_src 0
		.amdhsa_exception_fp_ieee_div_zero 0
		.amdhsa_exception_fp_ieee_overflow 0
		.amdhsa_exception_fp_ieee_underflow 0
		.amdhsa_exception_fp_ieee_inexact 0
		.amdhsa_exception_int_div_zero 0
	.end_amdhsa_kernel
	.section	.text._ZN7rocprim17ROCPRIM_400000_NS6detail17trampoline_kernelINS0_14default_configENS1_25partition_config_selectorILNS1_17partition_subalgoE0EsNS0_10empty_typeEbEEZZNS1_14partition_implILS5_0ELb0ES3_jN6thrust23THRUST_200600_302600_NS6detail15normal_iteratorINSA_10device_ptrIsEEEEPS6_SG_NS0_5tupleIJSF_NSA_16discard_iteratorINSA_11use_defaultEEEEEENSH_IJSG_SG_EEES6_PlJ7is_evenIsEEEE10hipError_tPvRmT3_T4_T5_T6_T7_T9_mT8_P12ihipStream_tbDpT10_ENKUlT_T0_E_clISt17integral_constantIbLb0EES19_EEDaS14_S15_EUlS14_E_NS1_11comp_targetILNS1_3genE5ELNS1_11target_archE942ELNS1_3gpuE9ELNS1_3repE0EEENS1_30default_config_static_selectorELNS0_4arch9wavefront6targetE1EEEvT1_,"axG",@progbits,_ZN7rocprim17ROCPRIM_400000_NS6detail17trampoline_kernelINS0_14default_configENS1_25partition_config_selectorILNS1_17partition_subalgoE0EsNS0_10empty_typeEbEEZZNS1_14partition_implILS5_0ELb0ES3_jN6thrust23THRUST_200600_302600_NS6detail15normal_iteratorINSA_10device_ptrIsEEEEPS6_SG_NS0_5tupleIJSF_NSA_16discard_iteratorINSA_11use_defaultEEEEEENSH_IJSG_SG_EEES6_PlJ7is_evenIsEEEE10hipError_tPvRmT3_T4_T5_T6_T7_T9_mT8_P12ihipStream_tbDpT10_ENKUlT_T0_E_clISt17integral_constantIbLb0EES19_EEDaS14_S15_EUlS14_E_NS1_11comp_targetILNS1_3genE5ELNS1_11target_archE942ELNS1_3gpuE9ELNS1_3repE0EEENS1_30default_config_static_selectorELNS0_4arch9wavefront6targetE1EEEvT1_,comdat
.Lfunc_end2812:
	.size	_ZN7rocprim17ROCPRIM_400000_NS6detail17trampoline_kernelINS0_14default_configENS1_25partition_config_selectorILNS1_17partition_subalgoE0EsNS0_10empty_typeEbEEZZNS1_14partition_implILS5_0ELb0ES3_jN6thrust23THRUST_200600_302600_NS6detail15normal_iteratorINSA_10device_ptrIsEEEEPS6_SG_NS0_5tupleIJSF_NSA_16discard_iteratorINSA_11use_defaultEEEEEENSH_IJSG_SG_EEES6_PlJ7is_evenIsEEEE10hipError_tPvRmT3_T4_T5_T6_T7_T9_mT8_P12ihipStream_tbDpT10_ENKUlT_T0_E_clISt17integral_constantIbLb0EES19_EEDaS14_S15_EUlS14_E_NS1_11comp_targetILNS1_3genE5ELNS1_11target_archE942ELNS1_3gpuE9ELNS1_3repE0EEENS1_30default_config_static_selectorELNS0_4arch9wavefront6targetE1EEEvT1_, .Lfunc_end2812-_ZN7rocprim17ROCPRIM_400000_NS6detail17trampoline_kernelINS0_14default_configENS1_25partition_config_selectorILNS1_17partition_subalgoE0EsNS0_10empty_typeEbEEZZNS1_14partition_implILS5_0ELb0ES3_jN6thrust23THRUST_200600_302600_NS6detail15normal_iteratorINSA_10device_ptrIsEEEEPS6_SG_NS0_5tupleIJSF_NSA_16discard_iteratorINSA_11use_defaultEEEEEENSH_IJSG_SG_EEES6_PlJ7is_evenIsEEEE10hipError_tPvRmT3_T4_T5_T6_T7_T9_mT8_P12ihipStream_tbDpT10_ENKUlT_T0_E_clISt17integral_constantIbLb0EES19_EEDaS14_S15_EUlS14_E_NS1_11comp_targetILNS1_3genE5ELNS1_11target_archE942ELNS1_3gpuE9ELNS1_3repE0EEENS1_30default_config_static_selectorELNS0_4arch9wavefront6targetE1EEEvT1_
                                        ; -- End function
	.section	.AMDGPU.csdata,"",@progbits
; Kernel info:
; codeLenInByte = 11196
; NumSgprs: 46
; NumVgprs: 120
; NumAgprs: 0
; TotalNumVgprs: 120
; ScratchSize: 0
; MemoryBound: 0
; FloatMode: 240
; IeeeMode: 1
; LDSByteSize: 30728 bytes/workgroup (compile time only)
; SGPRBlocks: 5
; VGPRBlocks: 14
; NumSGPRsForWavesPerEU: 46
; NumVGPRsForWavesPerEU: 120
; AccumOffset: 120
; Occupancy: 4
; WaveLimiterHint : 1
; COMPUTE_PGM_RSRC2:SCRATCH_EN: 0
; COMPUTE_PGM_RSRC2:USER_SGPR: 2
; COMPUTE_PGM_RSRC2:TRAP_HANDLER: 0
; COMPUTE_PGM_RSRC2:TGID_X_EN: 1
; COMPUTE_PGM_RSRC2:TGID_Y_EN: 0
; COMPUTE_PGM_RSRC2:TGID_Z_EN: 0
; COMPUTE_PGM_RSRC2:TIDIG_COMP_CNT: 0
; COMPUTE_PGM_RSRC3_GFX90A:ACCUM_OFFSET: 29
; COMPUTE_PGM_RSRC3_GFX90A:TG_SPLIT: 0
	.section	.text._ZN7rocprim17ROCPRIM_400000_NS6detail17trampoline_kernelINS0_14default_configENS1_25partition_config_selectorILNS1_17partition_subalgoE0EsNS0_10empty_typeEbEEZZNS1_14partition_implILS5_0ELb0ES3_jN6thrust23THRUST_200600_302600_NS6detail15normal_iteratorINSA_10device_ptrIsEEEEPS6_SG_NS0_5tupleIJSF_NSA_16discard_iteratorINSA_11use_defaultEEEEEENSH_IJSG_SG_EEES6_PlJ7is_evenIsEEEE10hipError_tPvRmT3_T4_T5_T6_T7_T9_mT8_P12ihipStream_tbDpT10_ENKUlT_T0_E_clISt17integral_constantIbLb0EES19_EEDaS14_S15_EUlS14_E_NS1_11comp_targetILNS1_3genE4ELNS1_11target_archE910ELNS1_3gpuE8ELNS1_3repE0EEENS1_30default_config_static_selectorELNS0_4arch9wavefront6targetE1EEEvT1_,"axG",@progbits,_ZN7rocprim17ROCPRIM_400000_NS6detail17trampoline_kernelINS0_14default_configENS1_25partition_config_selectorILNS1_17partition_subalgoE0EsNS0_10empty_typeEbEEZZNS1_14partition_implILS5_0ELb0ES3_jN6thrust23THRUST_200600_302600_NS6detail15normal_iteratorINSA_10device_ptrIsEEEEPS6_SG_NS0_5tupleIJSF_NSA_16discard_iteratorINSA_11use_defaultEEEEEENSH_IJSG_SG_EEES6_PlJ7is_evenIsEEEE10hipError_tPvRmT3_T4_T5_T6_T7_T9_mT8_P12ihipStream_tbDpT10_ENKUlT_T0_E_clISt17integral_constantIbLb0EES19_EEDaS14_S15_EUlS14_E_NS1_11comp_targetILNS1_3genE4ELNS1_11target_archE910ELNS1_3gpuE8ELNS1_3repE0EEENS1_30default_config_static_selectorELNS0_4arch9wavefront6targetE1EEEvT1_,comdat
	.protected	_ZN7rocprim17ROCPRIM_400000_NS6detail17trampoline_kernelINS0_14default_configENS1_25partition_config_selectorILNS1_17partition_subalgoE0EsNS0_10empty_typeEbEEZZNS1_14partition_implILS5_0ELb0ES3_jN6thrust23THRUST_200600_302600_NS6detail15normal_iteratorINSA_10device_ptrIsEEEEPS6_SG_NS0_5tupleIJSF_NSA_16discard_iteratorINSA_11use_defaultEEEEEENSH_IJSG_SG_EEES6_PlJ7is_evenIsEEEE10hipError_tPvRmT3_T4_T5_T6_T7_T9_mT8_P12ihipStream_tbDpT10_ENKUlT_T0_E_clISt17integral_constantIbLb0EES19_EEDaS14_S15_EUlS14_E_NS1_11comp_targetILNS1_3genE4ELNS1_11target_archE910ELNS1_3gpuE8ELNS1_3repE0EEENS1_30default_config_static_selectorELNS0_4arch9wavefront6targetE1EEEvT1_ ; -- Begin function _ZN7rocprim17ROCPRIM_400000_NS6detail17trampoline_kernelINS0_14default_configENS1_25partition_config_selectorILNS1_17partition_subalgoE0EsNS0_10empty_typeEbEEZZNS1_14partition_implILS5_0ELb0ES3_jN6thrust23THRUST_200600_302600_NS6detail15normal_iteratorINSA_10device_ptrIsEEEEPS6_SG_NS0_5tupleIJSF_NSA_16discard_iteratorINSA_11use_defaultEEEEEENSH_IJSG_SG_EEES6_PlJ7is_evenIsEEEE10hipError_tPvRmT3_T4_T5_T6_T7_T9_mT8_P12ihipStream_tbDpT10_ENKUlT_T0_E_clISt17integral_constantIbLb0EES19_EEDaS14_S15_EUlS14_E_NS1_11comp_targetILNS1_3genE4ELNS1_11target_archE910ELNS1_3gpuE8ELNS1_3repE0EEENS1_30default_config_static_selectorELNS0_4arch9wavefront6targetE1EEEvT1_
	.globl	_ZN7rocprim17ROCPRIM_400000_NS6detail17trampoline_kernelINS0_14default_configENS1_25partition_config_selectorILNS1_17partition_subalgoE0EsNS0_10empty_typeEbEEZZNS1_14partition_implILS5_0ELb0ES3_jN6thrust23THRUST_200600_302600_NS6detail15normal_iteratorINSA_10device_ptrIsEEEEPS6_SG_NS0_5tupleIJSF_NSA_16discard_iteratorINSA_11use_defaultEEEEEENSH_IJSG_SG_EEES6_PlJ7is_evenIsEEEE10hipError_tPvRmT3_T4_T5_T6_T7_T9_mT8_P12ihipStream_tbDpT10_ENKUlT_T0_E_clISt17integral_constantIbLb0EES19_EEDaS14_S15_EUlS14_E_NS1_11comp_targetILNS1_3genE4ELNS1_11target_archE910ELNS1_3gpuE8ELNS1_3repE0EEENS1_30default_config_static_selectorELNS0_4arch9wavefront6targetE1EEEvT1_
	.p2align	8
	.type	_ZN7rocprim17ROCPRIM_400000_NS6detail17trampoline_kernelINS0_14default_configENS1_25partition_config_selectorILNS1_17partition_subalgoE0EsNS0_10empty_typeEbEEZZNS1_14partition_implILS5_0ELb0ES3_jN6thrust23THRUST_200600_302600_NS6detail15normal_iteratorINSA_10device_ptrIsEEEEPS6_SG_NS0_5tupleIJSF_NSA_16discard_iteratorINSA_11use_defaultEEEEEENSH_IJSG_SG_EEES6_PlJ7is_evenIsEEEE10hipError_tPvRmT3_T4_T5_T6_T7_T9_mT8_P12ihipStream_tbDpT10_ENKUlT_T0_E_clISt17integral_constantIbLb0EES19_EEDaS14_S15_EUlS14_E_NS1_11comp_targetILNS1_3genE4ELNS1_11target_archE910ELNS1_3gpuE8ELNS1_3repE0EEENS1_30default_config_static_selectorELNS0_4arch9wavefront6targetE1EEEvT1_,@function
_ZN7rocprim17ROCPRIM_400000_NS6detail17trampoline_kernelINS0_14default_configENS1_25partition_config_selectorILNS1_17partition_subalgoE0EsNS0_10empty_typeEbEEZZNS1_14partition_implILS5_0ELb0ES3_jN6thrust23THRUST_200600_302600_NS6detail15normal_iteratorINSA_10device_ptrIsEEEEPS6_SG_NS0_5tupleIJSF_NSA_16discard_iteratorINSA_11use_defaultEEEEEENSH_IJSG_SG_EEES6_PlJ7is_evenIsEEEE10hipError_tPvRmT3_T4_T5_T6_T7_T9_mT8_P12ihipStream_tbDpT10_ENKUlT_T0_E_clISt17integral_constantIbLb0EES19_EEDaS14_S15_EUlS14_E_NS1_11comp_targetILNS1_3genE4ELNS1_11target_archE910ELNS1_3gpuE8ELNS1_3repE0EEENS1_30default_config_static_selectorELNS0_4arch9wavefront6targetE1EEEvT1_: ; @_ZN7rocprim17ROCPRIM_400000_NS6detail17trampoline_kernelINS0_14default_configENS1_25partition_config_selectorILNS1_17partition_subalgoE0EsNS0_10empty_typeEbEEZZNS1_14partition_implILS5_0ELb0ES3_jN6thrust23THRUST_200600_302600_NS6detail15normal_iteratorINSA_10device_ptrIsEEEEPS6_SG_NS0_5tupleIJSF_NSA_16discard_iteratorINSA_11use_defaultEEEEEENSH_IJSG_SG_EEES6_PlJ7is_evenIsEEEE10hipError_tPvRmT3_T4_T5_T6_T7_T9_mT8_P12ihipStream_tbDpT10_ENKUlT_T0_E_clISt17integral_constantIbLb0EES19_EEDaS14_S15_EUlS14_E_NS1_11comp_targetILNS1_3genE4ELNS1_11target_archE910ELNS1_3gpuE8ELNS1_3repE0EEENS1_30default_config_static_selectorELNS0_4arch9wavefront6targetE1EEEvT1_
; %bb.0:
	.section	.rodata,"a",@progbits
	.p2align	6, 0x0
	.amdhsa_kernel _ZN7rocprim17ROCPRIM_400000_NS6detail17trampoline_kernelINS0_14default_configENS1_25partition_config_selectorILNS1_17partition_subalgoE0EsNS0_10empty_typeEbEEZZNS1_14partition_implILS5_0ELb0ES3_jN6thrust23THRUST_200600_302600_NS6detail15normal_iteratorINSA_10device_ptrIsEEEEPS6_SG_NS0_5tupleIJSF_NSA_16discard_iteratorINSA_11use_defaultEEEEEENSH_IJSG_SG_EEES6_PlJ7is_evenIsEEEE10hipError_tPvRmT3_T4_T5_T6_T7_T9_mT8_P12ihipStream_tbDpT10_ENKUlT_T0_E_clISt17integral_constantIbLb0EES19_EEDaS14_S15_EUlS14_E_NS1_11comp_targetILNS1_3genE4ELNS1_11target_archE910ELNS1_3gpuE8ELNS1_3repE0EEENS1_30default_config_static_selectorELNS0_4arch9wavefront6targetE1EEEvT1_
		.amdhsa_group_segment_fixed_size 0
		.amdhsa_private_segment_fixed_size 0
		.amdhsa_kernarg_size 128
		.amdhsa_user_sgpr_count 2
		.amdhsa_user_sgpr_dispatch_ptr 0
		.amdhsa_user_sgpr_queue_ptr 0
		.amdhsa_user_sgpr_kernarg_segment_ptr 1
		.amdhsa_user_sgpr_dispatch_id 0
		.amdhsa_user_sgpr_kernarg_preload_length 0
		.amdhsa_user_sgpr_kernarg_preload_offset 0
		.amdhsa_user_sgpr_private_segment_size 0
		.amdhsa_uses_dynamic_stack 0
		.amdhsa_enable_private_segment 0
		.amdhsa_system_sgpr_workgroup_id_x 1
		.amdhsa_system_sgpr_workgroup_id_y 0
		.amdhsa_system_sgpr_workgroup_id_z 0
		.amdhsa_system_sgpr_workgroup_info 0
		.amdhsa_system_vgpr_workitem_id 0
		.amdhsa_next_free_vgpr 1
		.amdhsa_next_free_sgpr 0
		.amdhsa_accum_offset 4
		.amdhsa_reserve_vcc 0
		.amdhsa_float_round_mode_32 0
		.amdhsa_float_round_mode_16_64 0
		.amdhsa_float_denorm_mode_32 3
		.amdhsa_float_denorm_mode_16_64 3
		.amdhsa_dx10_clamp 1
		.amdhsa_ieee_mode 1
		.amdhsa_fp16_overflow 0
		.amdhsa_tg_split 0
		.amdhsa_exception_fp_ieee_invalid_op 0
		.amdhsa_exception_fp_denorm_src 0
		.amdhsa_exception_fp_ieee_div_zero 0
		.amdhsa_exception_fp_ieee_overflow 0
		.amdhsa_exception_fp_ieee_underflow 0
		.amdhsa_exception_fp_ieee_inexact 0
		.amdhsa_exception_int_div_zero 0
	.end_amdhsa_kernel
	.section	.text._ZN7rocprim17ROCPRIM_400000_NS6detail17trampoline_kernelINS0_14default_configENS1_25partition_config_selectorILNS1_17partition_subalgoE0EsNS0_10empty_typeEbEEZZNS1_14partition_implILS5_0ELb0ES3_jN6thrust23THRUST_200600_302600_NS6detail15normal_iteratorINSA_10device_ptrIsEEEEPS6_SG_NS0_5tupleIJSF_NSA_16discard_iteratorINSA_11use_defaultEEEEEENSH_IJSG_SG_EEES6_PlJ7is_evenIsEEEE10hipError_tPvRmT3_T4_T5_T6_T7_T9_mT8_P12ihipStream_tbDpT10_ENKUlT_T0_E_clISt17integral_constantIbLb0EES19_EEDaS14_S15_EUlS14_E_NS1_11comp_targetILNS1_3genE4ELNS1_11target_archE910ELNS1_3gpuE8ELNS1_3repE0EEENS1_30default_config_static_selectorELNS0_4arch9wavefront6targetE1EEEvT1_,"axG",@progbits,_ZN7rocprim17ROCPRIM_400000_NS6detail17trampoline_kernelINS0_14default_configENS1_25partition_config_selectorILNS1_17partition_subalgoE0EsNS0_10empty_typeEbEEZZNS1_14partition_implILS5_0ELb0ES3_jN6thrust23THRUST_200600_302600_NS6detail15normal_iteratorINSA_10device_ptrIsEEEEPS6_SG_NS0_5tupleIJSF_NSA_16discard_iteratorINSA_11use_defaultEEEEEENSH_IJSG_SG_EEES6_PlJ7is_evenIsEEEE10hipError_tPvRmT3_T4_T5_T6_T7_T9_mT8_P12ihipStream_tbDpT10_ENKUlT_T0_E_clISt17integral_constantIbLb0EES19_EEDaS14_S15_EUlS14_E_NS1_11comp_targetILNS1_3genE4ELNS1_11target_archE910ELNS1_3gpuE8ELNS1_3repE0EEENS1_30default_config_static_selectorELNS0_4arch9wavefront6targetE1EEEvT1_,comdat
.Lfunc_end2813:
	.size	_ZN7rocprim17ROCPRIM_400000_NS6detail17trampoline_kernelINS0_14default_configENS1_25partition_config_selectorILNS1_17partition_subalgoE0EsNS0_10empty_typeEbEEZZNS1_14partition_implILS5_0ELb0ES3_jN6thrust23THRUST_200600_302600_NS6detail15normal_iteratorINSA_10device_ptrIsEEEEPS6_SG_NS0_5tupleIJSF_NSA_16discard_iteratorINSA_11use_defaultEEEEEENSH_IJSG_SG_EEES6_PlJ7is_evenIsEEEE10hipError_tPvRmT3_T4_T5_T6_T7_T9_mT8_P12ihipStream_tbDpT10_ENKUlT_T0_E_clISt17integral_constantIbLb0EES19_EEDaS14_S15_EUlS14_E_NS1_11comp_targetILNS1_3genE4ELNS1_11target_archE910ELNS1_3gpuE8ELNS1_3repE0EEENS1_30default_config_static_selectorELNS0_4arch9wavefront6targetE1EEEvT1_, .Lfunc_end2813-_ZN7rocprim17ROCPRIM_400000_NS6detail17trampoline_kernelINS0_14default_configENS1_25partition_config_selectorILNS1_17partition_subalgoE0EsNS0_10empty_typeEbEEZZNS1_14partition_implILS5_0ELb0ES3_jN6thrust23THRUST_200600_302600_NS6detail15normal_iteratorINSA_10device_ptrIsEEEEPS6_SG_NS0_5tupleIJSF_NSA_16discard_iteratorINSA_11use_defaultEEEEEENSH_IJSG_SG_EEES6_PlJ7is_evenIsEEEE10hipError_tPvRmT3_T4_T5_T6_T7_T9_mT8_P12ihipStream_tbDpT10_ENKUlT_T0_E_clISt17integral_constantIbLb0EES19_EEDaS14_S15_EUlS14_E_NS1_11comp_targetILNS1_3genE4ELNS1_11target_archE910ELNS1_3gpuE8ELNS1_3repE0EEENS1_30default_config_static_selectorELNS0_4arch9wavefront6targetE1EEEvT1_
                                        ; -- End function
	.section	.AMDGPU.csdata,"",@progbits
; Kernel info:
; codeLenInByte = 0
; NumSgprs: 6
; NumVgprs: 0
; NumAgprs: 0
; TotalNumVgprs: 0
; ScratchSize: 0
; MemoryBound: 0
; FloatMode: 240
; IeeeMode: 1
; LDSByteSize: 0 bytes/workgroup (compile time only)
; SGPRBlocks: 0
; VGPRBlocks: 0
; NumSGPRsForWavesPerEU: 6
; NumVGPRsForWavesPerEU: 1
; AccumOffset: 4
; Occupancy: 8
; WaveLimiterHint : 0
; COMPUTE_PGM_RSRC2:SCRATCH_EN: 0
; COMPUTE_PGM_RSRC2:USER_SGPR: 2
; COMPUTE_PGM_RSRC2:TRAP_HANDLER: 0
; COMPUTE_PGM_RSRC2:TGID_X_EN: 1
; COMPUTE_PGM_RSRC2:TGID_Y_EN: 0
; COMPUTE_PGM_RSRC2:TGID_Z_EN: 0
; COMPUTE_PGM_RSRC2:TIDIG_COMP_CNT: 0
; COMPUTE_PGM_RSRC3_GFX90A:ACCUM_OFFSET: 0
; COMPUTE_PGM_RSRC3_GFX90A:TG_SPLIT: 0
	.section	.text._ZN7rocprim17ROCPRIM_400000_NS6detail17trampoline_kernelINS0_14default_configENS1_25partition_config_selectorILNS1_17partition_subalgoE0EsNS0_10empty_typeEbEEZZNS1_14partition_implILS5_0ELb0ES3_jN6thrust23THRUST_200600_302600_NS6detail15normal_iteratorINSA_10device_ptrIsEEEEPS6_SG_NS0_5tupleIJSF_NSA_16discard_iteratorINSA_11use_defaultEEEEEENSH_IJSG_SG_EEES6_PlJ7is_evenIsEEEE10hipError_tPvRmT3_T4_T5_T6_T7_T9_mT8_P12ihipStream_tbDpT10_ENKUlT_T0_E_clISt17integral_constantIbLb0EES19_EEDaS14_S15_EUlS14_E_NS1_11comp_targetILNS1_3genE3ELNS1_11target_archE908ELNS1_3gpuE7ELNS1_3repE0EEENS1_30default_config_static_selectorELNS0_4arch9wavefront6targetE1EEEvT1_,"axG",@progbits,_ZN7rocprim17ROCPRIM_400000_NS6detail17trampoline_kernelINS0_14default_configENS1_25partition_config_selectorILNS1_17partition_subalgoE0EsNS0_10empty_typeEbEEZZNS1_14partition_implILS5_0ELb0ES3_jN6thrust23THRUST_200600_302600_NS6detail15normal_iteratorINSA_10device_ptrIsEEEEPS6_SG_NS0_5tupleIJSF_NSA_16discard_iteratorINSA_11use_defaultEEEEEENSH_IJSG_SG_EEES6_PlJ7is_evenIsEEEE10hipError_tPvRmT3_T4_T5_T6_T7_T9_mT8_P12ihipStream_tbDpT10_ENKUlT_T0_E_clISt17integral_constantIbLb0EES19_EEDaS14_S15_EUlS14_E_NS1_11comp_targetILNS1_3genE3ELNS1_11target_archE908ELNS1_3gpuE7ELNS1_3repE0EEENS1_30default_config_static_selectorELNS0_4arch9wavefront6targetE1EEEvT1_,comdat
	.protected	_ZN7rocprim17ROCPRIM_400000_NS6detail17trampoline_kernelINS0_14default_configENS1_25partition_config_selectorILNS1_17partition_subalgoE0EsNS0_10empty_typeEbEEZZNS1_14partition_implILS5_0ELb0ES3_jN6thrust23THRUST_200600_302600_NS6detail15normal_iteratorINSA_10device_ptrIsEEEEPS6_SG_NS0_5tupleIJSF_NSA_16discard_iteratorINSA_11use_defaultEEEEEENSH_IJSG_SG_EEES6_PlJ7is_evenIsEEEE10hipError_tPvRmT3_T4_T5_T6_T7_T9_mT8_P12ihipStream_tbDpT10_ENKUlT_T0_E_clISt17integral_constantIbLb0EES19_EEDaS14_S15_EUlS14_E_NS1_11comp_targetILNS1_3genE3ELNS1_11target_archE908ELNS1_3gpuE7ELNS1_3repE0EEENS1_30default_config_static_selectorELNS0_4arch9wavefront6targetE1EEEvT1_ ; -- Begin function _ZN7rocprim17ROCPRIM_400000_NS6detail17trampoline_kernelINS0_14default_configENS1_25partition_config_selectorILNS1_17partition_subalgoE0EsNS0_10empty_typeEbEEZZNS1_14partition_implILS5_0ELb0ES3_jN6thrust23THRUST_200600_302600_NS6detail15normal_iteratorINSA_10device_ptrIsEEEEPS6_SG_NS0_5tupleIJSF_NSA_16discard_iteratorINSA_11use_defaultEEEEEENSH_IJSG_SG_EEES6_PlJ7is_evenIsEEEE10hipError_tPvRmT3_T4_T5_T6_T7_T9_mT8_P12ihipStream_tbDpT10_ENKUlT_T0_E_clISt17integral_constantIbLb0EES19_EEDaS14_S15_EUlS14_E_NS1_11comp_targetILNS1_3genE3ELNS1_11target_archE908ELNS1_3gpuE7ELNS1_3repE0EEENS1_30default_config_static_selectorELNS0_4arch9wavefront6targetE1EEEvT1_
	.globl	_ZN7rocprim17ROCPRIM_400000_NS6detail17trampoline_kernelINS0_14default_configENS1_25partition_config_selectorILNS1_17partition_subalgoE0EsNS0_10empty_typeEbEEZZNS1_14partition_implILS5_0ELb0ES3_jN6thrust23THRUST_200600_302600_NS6detail15normal_iteratorINSA_10device_ptrIsEEEEPS6_SG_NS0_5tupleIJSF_NSA_16discard_iteratorINSA_11use_defaultEEEEEENSH_IJSG_SG_EEES6_PlJ7is_evenIsEEEE10hipError_tPvRmT3_T4_T5_T6_T7_T9_mT8_P12ihipStream_tbDpT10_ENKUlT_T0_E_clISt17integral_constantIbLb0EES19_EEDaS14_S15_EUlS14_E_NS1_11comp_targetILNS1_3genE3ELNS1_11target_archE908ELNS1_3gpuE7ELNS1_3repE0EEENS1_30default_config_static_selectorELNS0_4arch9wavefront6targetE1EEEvT1_
	.p2align	8
	.type	_ZN7rocprim17ROCPRIM_400000_NS6detail17trampoline_kernelINS0_14default_configENS1_25partition_config_selectorILNS1_17partition_subalgoE0EsNS0_10empty_typeEbEEZZNS1_14partition_implILS5_0ELb0ES3_jN6thrust23THRUST_200600_302600_NS6detail15normal_iteratorINSA_10device_ptrIsEEEEPS6_SG_NS0_5tupleIJSF_NSA_16discard_iteratorINSA_11use_defaultEEEEEENSH_IJSG_SG_EEES6_PlJ7is_evenIsEEEE10hipError_tPvRmT3_T4_T5_T6_T7_T9_mT8_P12ihipStream_tbDpT10_ENKUlT_T0_E_clISt17integral_constantIbLb0EES19_EEDaS14_S15_EUlS14_E_NS1_11comp_targetILNS1_3genE3ELNS1_11target_archE908ELNS1_3gpuE7ELNS1_3repE0EEENS1_30default_config_static_selectorELNS0_4arch9wavefront6targetE1EEEvT1_,@function
_ZN7rocprim17ROCPRIM_400000_NS6detail17trampoline_kernelINS0_14default_configENS1_25partition_config_selectorILNS1_17partition_subalgoE0EsNS0_10empty_typeEbEEZZNS1_14partition_implILS5_0ELb0ES3_jN6thrust23THRUST_200600_302600_NS6detail15normal_iteratorINSA_10device_ptrIsEEEEPS6_SG_NS0_5tupleIJSF_NSA_16discard_iteratorINSA_11use_defaultEEEEEENSH_IJSG_SG_EEES6_PlJ7is_evenIsEEEE10hipError_tPvRmT3_T4_T5_T6_T7_T9_mT8_P12ihipStream_tbDpT10_ENKUlT_T0_E_clISt17integral_constantIbLb0EES19_EEDaS14_S15_EUlS14_E_NS1_11comp_targetILNS1_3genE3ELNS1_11target_archE908ELNS1_3gpuE7ELNS1_3repE0EEENS1_30default_config_static_selectorELNS0_4arch9wavefront6targetE1EEEvT1_: ; @_ZN7rocprim17ROCPRIM_400000_NS6detail17trampoline_kernelINS0_14default_configENS1_25partition_config_selectorILNS1_17partition_subalgoE0EsNS0_10empty_typeEbEEZZNS1_14partition_implILS5_0ELb0ES3_jN6thrust23THRUST_200600_302600_NS6detail15normal_iteratorINSA_10device_ptrIsEEEEPS6_SG_NS0_5tupleIJSF_NSA_16discard_iteratorINSA_11use_defaultEEEEEENSH_IJSG_SG_EEES6_PlJ7is_evenIsEEEE10hipError_tPvRmT3_T4_T5_T6_T7_T9_mT8_P12ihipStream_tbDpT10_ENKUlT_T0_E_clISt17integral_constantIbLb0EES19_EEDaS14_S15_EUlS14_E_NS1_11comp_targetILNS1_3genE3ELNS1_11target_archE908ELNS1_3gpuE7ELNS1_3repE0EEENS1_30default_config_static_selectorELNS0_4arch9wavefront6targetE1EEEvT1_
; %bb.0:
	.section	.rodata,"a",@progbits
	.p2align	6, 0x0
	.amdhsa_kernel _ZN7rocprim17ROCPRIM_400000_NS6detail17trampoline_kernelINS0_14default_configENS1_25partition_config_selectorILNS1_17partition_subalgoE0EsNS0_10empty_typeEbEEZZNS1_14partition_implILS5_0ELb0ES3_jN6thrust23THRUST_200600_302600_NS6detail15normal_iteratorINSA_10device_ptrIsEEEEPS6_SG_NS0_5tupleIJSF_NSA_16discard_iteratorINSA_11use_defaultEEEEEENSH_IJSG_SG_EEES6_PlJ7is_evenIsEEEE10hipError_tPvRmT3_T4_T5_T6_T7_T9_mT8_P12ihipStream_tbDpT10_ENKUlT_T0_E_clISt17integral_constantIbLb0EES19_EEDaS14_S15_EUlS14_E_NS1_11comp_targetILNS1_3genE3ELNS1_11target_archE908ELNS1_3gpuE7ELNS1_3repE0EEENS1_30default_config_static_selectorELNS0_4arch9wavefront6targetE1EEEvT1_
		.amdhsa_group_segment_fixed_size 0
		.amdhsa_private_segment_fixed_size 0
		.amdhsa_kernarg_size 128
		.amdhsa_user_sgpr_count 2
		.amdhsa_user_sgpr_dispatch_ptr 0
		.amdhsa_user_sgpr_queue_ptr 0
		.amdhsa_user_sgpr_kernarg_segment_ptr 1
		.amdhsa_user_sgpr_dispatch_id 0
		.amdhsa_user_sgpr_kernarg_preload_length 0
		.amdhsa_user_sgpr_kernarg_preload_offset 0
		.amdhsa_user_sgpr_private_segment_size 0
		.amdhsa_uses_dynamic_stack 0
		.amdhsa_enable_private_segment 0
		.amdhsa_system_sgpr_workgroup_id_x 1
		.amdhsa_system_sgpr_workgroup_id_y 0
		.amdhsa_system_sgpr_workgroup_id_z 0
		.amdhsa_system_sgpr_workgroup_info 0
		.amdhsa_system_vgpr_workitem_id 0
		.amdhsa_next_free_vgpr 1
		.amdhsa_next_free_sgpr 0
		.amdhsa_accum_offset 4
		.amdhsa_reserve_vcc 0
		.amdhsa_float_round_mode_32 0
		.amdhsa_float_round_mode_16_64 0
		.amdhsa_float_denorm_mode_32 3
		.amdhsa_float_denorm_mode_16_64 3
		.amdhsa_dx10_clamp 1
		.amdhsa_ieee_mode 1
		.amdhsa_fp16_overflow 0
		.amdhsa_tg_split 0
		.amdhsa_exception_fp_ieee_invalid_op 0
		.amdhsa_exception_fp_denorm_src 0
		.amdhsa_exception_fp_ieee_div_zero 0
		.amdhsa_exception_fp_ieee_overflow 0
		.amdhsa_exception_fp_ieee_underflow 0
		.amdhsa_exception_fp_ieee_inexact 0
		.amdhsa_exception_int_div_zero 0
	.end_amdhsa_kernel
	.section	.text._ZN7rocprim17ROCPRIM_400000_NS6detail17trampoline_kernelINS0_14default_configENS1_25partition_config_selectorILNS1_17partition_subalgoE0EsNS0_10empty_typeEbEEZZNS1_14partition_implILS5_0ELb0ES3_jN6thrust23THRUST_200600_302600_NS6detail15normal_iteratorINSA_10device_ptrIsEEEEPS6_SG_NS0_5tupleIJSF_NSA_16discard_iteratorINSA_11use_defaultEEEEEENSH_IJSG_SG_EEES6_PlJ7is_evenIsEEEE10hipError_tPvRmT3_T4_T5_T6_T7_T9_mT8_P12ihipStream_tbDpT10_ENKUlT_T0_E_clISt17integral_constantIbLb0EES19_EEDaS14_S15_EUlS14_E_NS1_11comp_targetILNS1_3genE3ELNS1_11target_archE908ELNS1_3gpuE7ELNS1_3repE0EEENS1_30default_config_static_selectorELNS0_4arch9wavefront6targetE1EEEvT1_,"axG",@progbits,_ZN7rocprim17ROCPRIM_400000_NS6detail17trampoline_kernelINS0_14default_configENS1_25partition_config_selectorILNS1_17partition_subalgoE0EsNS0_10empty_typeEbEEZZNS1_14partition_implILS5_0ELb0ES3_jN6thrust23THRUST_200600_302600_NS6detail15normal_iteratorINSA_10device_ptrIsEEEEPS6_SG_NS0_5tupleIJSF_NSA_16discard_iteratorINSA_11use_defaultEEEEEENSH_IJSG_SG_EEES6_PlJ7is_evenIsEEEE10hipError_tPvRmT3_T4_T5_T6_T7_T9_mT8_P12ihipStream_tbDpT10_ENKUlT_T0_E_clISt17integral_constantIbLb0EES19_EEDaS14_S15_EUlS14_E_NS1_11comp_targetILNS1_3genE3ELNS1_11target_archE908ELNS1_3gpuE7ELNS1_3repE0EEENS1_30default_config_static_selectorELNS0_4arch9wavefront6targetE1EEEvT1_,comdat
.Lfunc_end2814:
	.size	_ZN7rocprim17ROCPRIM_400000_NS6detail17trampoline_kernelINS0_14default_configENS1_25partition_config_selectorILNS1_17partition_subalgoE0EsNS0_10empty_typeEbEEZZNS1_14partition_implILS5_0ELb0ES3_jN6thrust23THRUST_200600_302600_NS6detail15normal_iteratorINSA_10device_ptrIsEEEEPS6_SG_NS0_5tupleIJSF_NSA_16discard_iteratorINSA_11use_defaultEEEEEENSH_IJSG_SG_EEES6_PlJ7is_evenIsEEEE10hipError_tPvRmT3_T4_T5_T6_T7_T9_mT8_P12ihipStream_tbDpT10_ENKUlT_T0_E_clISt17integral_constantIbLb0EES19_EEDaS14_S15_EUlS14_E_NS1_11comp_targetILNS1_3genE3ELNS1_11target_archE908ELNS1_3gpuE7ELNS1_3repE0EEENS1_30default_config_static_selectorELNS0_4arch9wavefront6targetE1EEEvT1_, .Lfunc_end2814-_ZN7rocprim17ROCPRIM_400000_NS6detail17trampoline_kernelINS0_14default_configENS1_25partition_config_selectorILNS1_17partition_subalgoE0EsNS0_10empty_typeEbEEZZNS1_14partition_implILS5_0ELb0ES3_jN6thrust23THRUST_200600_302600_NS6detail15normal_iteratorINSA_10device_ptrIsEEEEPS6_SG_NS0_5tupleIJSF_NSA_16discard_iteratorINSA_11use_defaultEEEEEENSH_IJSG_SG_EEES6_PlJ7is_evenIsEEEE10hipError_tPvRmT3_T4_T5_T6_T7_T9_mT8_P12ihipStream_tbDpT10_ENKUlT_T0_E_clISt17integral_constantIbLb0EES19_EEDaS14_S15_EUlS14_E_NS1_11comp_targetILNS1_3genE3ELNS1_11target_archE908ELNS1_3gpuE7ELNS1_3repE0EEENS1_30default_config_static_selectorELNS0_4arch9wavefront6targetE1EEEvT1_
                                        ; -- End function
	.section	.AMDGPU.csdata,"",@progbits
; Kernel info:
; codeLenInByte = 0
; NumSgprs: 6
; NumVgprs: 0
; NumAgprs: 0
; TotalNumVgprs: 0
; ScratchSize: 0
; MemoryBound: 0
; FloatMode: 240
; IeeeMode: 1
; LDSByteSize: 0 bytes/workgroup (compile time only)
; SGPRBlocks: 0
; VGPRBlocks: 0
; NumSGPRsForWavesPerEU: 6
; NumVGPRsForWavesPerEU: 1
; AccumOffset: 4
; Occupancy: 8
; WaveLimiterHint : 0
; COMPUTE_PGM_RSRC2:SCRATCH_EN: 0
; COMPUTE_PGM_RSRC2:USER_SGPR: 2
; COMPUTE_PGM_RSRC2:TRAP_HANDLER: 0
; COMPUTE_PGM_RSRC2:TGID_X_EN: 1
; COMPUTE_PGM_RSRC2:TGID_Y_EN: 0
; COMPUTE_PGM_RSRC2:TGID_Z_EN: 0
; COMPUTE_PGM_RSRC2:TIDIG_COMP_CNT: 0
; COMPUTE_PGM_RSRC3_GFX90A:ACCUM_OFFSET: 0
; COMPUTE_PGM_RSRC3_GFX90A:TG_SPLIT: 0
	.section	.text._ZN7rocprim17ROCPRIM_400000_NS6detail17trampoline_kernelINS0_14default_configENS1_25partition_config_selectorILNS1_17partition_subalgoE0EsNS0_10empty_typeEbEEZZNS1_14partition_implILS5_0ELb0ES3_jN6thrust23THRUST_200600_302600_NS6detail15normal_iteratorINSA_10device_ptrIsEEEEPS6_SG_NS0_5tupleIJSF_NSA_16discard_iteratorINSA_11use_defaultEEEEEENSH_IJSG_SG_EEES6_PlJ7is_evenIsEEEE10hipError_tPvRmT3_T4_T5_T6_T7_T9_mT8_P12ihipStream_tbDpT10_ENKUlT_T0_E_clISt17integral_constantIbLb0EES19_EEDaS14_S15_EUlS14_E_NS1_11comp_targetILNS1_3genE2ELNS1_11target_archE906ELNS1_3gpuE6ELNS1_3repE0EEENS1_30default_config_static_selectorELNS0_4arch9wavefront6targetE1EEEvT1_,"axG",@progbits,_ZN7rocprim17ROCPRIM_400000_NS6detail17trampoline_kernelINS0_14default_configENS1_25partition_config_selectorILNS1_17partition_subalgoE0EsNS0_10empty_typeEbEEZZNS1_14partition_implILS5_0ELb0ES3_jN6thrust23THRUST_200600_302600_NS6detail15normal_iteratorINSA_10device_ptrIsEEEEPS6_SG_NS0_5tupleIJSF_NSA_16discard_iteratorINSA_11use_defaultEEEEEENSH_IJSG_SG_EEES6_PlJ7is_evenIsEEEE10hipError_tPvRmT3_T4_T5_T6_T7_T9_mT8_P12ihipStream_tbDpT10_ENKUlT_T0_E_clISt17integral_constantIbLb0EES19_EEDaS14_S15_EUlS14_E_NS1_11comp_targetILNS1_3genE2ELNS1_11target_archE906ELNS1_3gpuE6ELNS1_3repE0EEENS1_30default_config_static_selectorELNS0_4arch9wavefront6targetE1EEEvT1_,comdat
	.protected	_ZN7rocprim17ROCPRIM_400000_NS6detail17trampoline_kernelINS0_14default_configENS1_25partition_config_selectorILNS1_17partition_subalgoE0EsNS0_10empty_typeEbEEZZNS1_14partition_implILS5_0ELb0ES3_jN6thrust23THRUST_200600_302600_NS6detail15normal_iteratorINSA_10device_ptrIsEEEEPS6_SG_NS0_5tupleIJSF_NSA_16discard_iteratorINSA_11use_defaultEEEEEENSH_IJSG_SG_EEES6_PlJ7is_evenIsEEEE10hipError_tPvRmT3_T4_T5_T6_T7_T9_mT8_P12ihipStream_tbDpT10_ENKUlT_T0_E_clISt17integral_constantIbLb0EES19_EEDaS14_S15_EUlS14_E_NS1_11comp_targetILNS1_3genE2ELNS1_11target_archE906ELNS1_3gpuE6ELNS1_3repE0EEENS1_30default_config_static_selectorELNS0_4arch9wavefront6targetE1EEEvT1_ ; -- Begin function _ZN7rocprim17ROCPRIM_400000_NS6detail17trampoline_kernelINS0_14default_configENS1_25partition_config_selectorILNS1_17partition_subalgoE0EsNS0_10empty_typeEbEEZZNS1_14partition_implILS5_0ELb0ES3_jN6thrust23THRUST_200600_302600_NS6detail15normal_iteratorINSA_10device_ptrIsEEEEPS6_SG_NS0_5tupleIJSF_NSA_16discard_iteratorINSA_11use_defaultEEEEEENSH_IJSG_SG_EEES6_PlJ7is_evenIsEEEE10hipError_tPvRmT3_T4_T5_T6_T7_T9_mT8_P12ihipStream_tbDpT10_ENKUlT_T0_E_clISt17integral_constantIbLb0EES19_EEDaS14_S15_EUlS14_E_NS1_11comp_targetILNS1_3genE2ELNS1_11target_archE906ELNS1_3gpuE6ELNS1_3repE0EEENS1_30default_config_static_selectorELNS0_4arch9wavefront6targetE1EEEvT1_
	.globl	_ZN7rocprim17ROCPRIM_400000_NS6detail17trampoline_kernelINS0_14default_configENS1_25partition_config_selectorILNS1_17partition_subalgoE0EsNS0_10empty_typeEbEEZZNS1_14partition_implILS5_0ELb0ES3_jN6thrust23THRUST_200600_302600_NS6detail15normal_iteratorINSA_10device_ptrIsEEEEPS6_SG_NS0_5tupleIJSF_NSA_16discard_iteratorINSA_11use_defaultEEEEEENSH_IJSG_SG_EEES6_PlJ7is_evenIsEEEE10hipError_tPvRmT3_T4_T5_T6_T7_T9_mT8_P12ihipStream_tbDpT10_ENKUlT_T0_E_clISt17integral_constantIbLb0EES19_EEDaS14_S15_EUlS14_E_NS1_11comp_targetILNS1_3genE2ELNS1_11target_archE906ELNS1_3gpuE6ELNS1_3repE0EEENS1_30default_config_static_selectorELNS0_4arch9wavefront6targetE1EEEvT1_
	.p2align	8
	.type	_ZN7rocprim17ROCPRIM_400000_NS6detail17trampoline_kernelINS0_14default_configENS1_25partition_config_selectorILNS1_17partition_subalgoE0EsNS0_10empty_typeEbEEZZNS1_14partition_implILS5_0ELb0ES3_jN6thrust23THRUST_200600_302600_NS6detail15normal_iteratorINSA_10device_ptrIsEEEEPS6_SG_NS0_5tupleIJSF_NSA_16discard_iteratorINSA_11use_defaultEEEEEENSH_IJSG_SG_EEES6_PlJ7is_evenIsEEEE10hipError_tPvRmT3_T4_T5_T6_T7_T9_mT8_P12ihipStream_tbDpT10_ENKUlT_T0_E_clISt17integral_constantIbLb0EES19_EEDaS14_S15_EUlS14_E_NS1_11comp_targetILNS1_3genE2ELNS1_11target_archE906ELNS1_3gpuE6ELNS1_3repE0EEENS1_30default_config_static_selectorELNS0_4arch9wavefront6targetE1EEEvT1_,@function
_ZN7rocprim17ROCPRIM_400000_NS6detail17trampoline_kernelINS0_14default_configENS1_25partition_config_selectorILNS1_17partition_subalgoE0EsNS0_10empty_typeEbEEZZNS1_14partition_implILS5_0ELb0ES3_jN6thrust23THRUST_200600_302600_NS6detail15normal_iteratorINSA_10device_ptrIsEEEEPS6_SG_NS0_5tupleIJSF_NSA_16discard_iteratorINSA_11use_defaultEEEEEENSH_IJSG_SG_EEES6_PlJ7is_evenIsEEEE10hipError_tPvRmT3_T4_T5_T6_T7_T9_mT8_P12ihipStream_tbDpT10_ENKUlT_T0_E_clISt17integral_constantIbLb0EES19_EEDaS14_S15_EUlS14_E_NS1_11comp_targetILNS1_3genE2ELNS1_11target_archE906ELNS1_3gpuE6ELNS1_3repE0EEENS1_30default_config_static_selectorELNS0_4arch9wavefront6targetE1EEEvT1_: ; @_ZN7rocprim17ROCPRIM_400000_NS6detail17trampoline_kernelINS0_14default_configENS1_25partition_config_selectorILNS1_17partition_subalgoE0EsNS0_10empty_typeEbEEZZNS1_14partition_implILS5_0ELb0ES3_jN6thrust23THRUST_200600_302600_NS6detail15normal_iteratorINSA_10device_ptrIsEEEEPS6_SG_NS0_5tupleIJSF_NSA_16discard_iteratorINSA_11use_defaultEEEEEENSH_IJSG_SG_EEES6_PlJ7is_evenIsEEEE10hipError_tPvRmT3_T4_T5_T6_T7_T9_mT8_P12ihipStream_tbDpT10_ENKUlT_T0_E_clISt17integral_constantIbLb0EES19_EEDaS14_S15_EUlS14_E_NS1_11comp_targetILNS1_3genE2ELNS1_11target_archE906ELNS1_3gpuE6ELNS1_3repE0EEENS1_30default_config_static_selectorELNS0_4arch9wavefront6targetE1EEEvT1_
; %bb.0:
	.section	.rodata,"a",@progbits
	.p2align	6, 0x0
	.amdhsa_kernel _ZN7rocprim17ROCPRIM_400000_NS6detail17trampoline_kernelINS0_14default_configENS1_25partition_config_selectorILNS1_17partition_subalgoE0EsNS0_10empty_typeEbEEZZNS1_14partition_implILS5_0ELb0ES3_jN6thrust23THRUST_200600_302600_NS6detail15normal_iteratorINSA_10device_ptrIsEEEEPS6_SG_NS0_5tupleIJSF_NSA_16discard_iteratorINSA_11use_defaultEEEEEENSH_IJSG_SG_EEES6_PlJ7is_evenIsEEEE10hipError_tPvRmT3_T4_T5_T6_T7_T9_mT8_P12ihipStream_tbDpT10_ENKUlT_T0_E_clISt17integral_constantIbLb0EES19_EEDaS14_S15_EUlS14_E_NS1_11comp_targetILNS1_3genE2ELNS1_11target_archE906ELNS1_3gpuE6ELNS1_3repE0EEENS1_30default_config_static_selectorELNS0_4arch9wavefront6targetE1EEEvT1_
		.amdhsa_group_segment_fixed_size 0
		.amdhsa_private_segment_fixed_size 0
		.amdhsa_kernarg_size 128
		.amdhsa_user_sgpr_count 2
		.amdhsa_user_sgpr_dispatch_ptr 0
		.amdhsa_user_sgpr_queue_ptr 0
		.amdhsa_user_sgpr_kernarg_segment_ptr 1
		.amdhsa_user_sgpr_dispatch_id 0
		.amdhsa_user_sgpr_kernarg_preload_length 0
		.amdhsa_user_sgpr_kernarg_preload_offset 0
		.amdhsa_user_sgpr_private_segment_size 0
		.amdhsa_uses_dynamic_stack 0
		.amdhsa_enable_private_segment 0
		.amdhsa_system_sgpr_workgroup_id_x 1
		.amdhsa_system_sgpr_workgroup_id_y 0
		.amdhsa_system_sgpr_workgroup_id_z 0
		.amdhsa_system_sgpr_workgroup_info 0
		.amdhsa_system_vgpr_workitem_id 0
		.amdhsa_next_free_vgpr 1
		.amdhsa_next_free_sgpr 0
		.amdhsa_accum_offset 4
		.amdhsa_reserve_vcc 0
		.amdhsa_float_round_mode_32 0
		.amdhsa_float_round_mode_16_64 0
		.amdhsa_float_denorm_mode_32 3
		.amdhsa_float_denorm_mode_16_64 3
		.amdhsa_dx10_clamp 1
		.amdhsa_ieee_mode 1
		.amdhsa_fp16_overflow 0
		.amdhsa_tg_split 0
		.amdhsa_exception_fp_ieee_invalid_op 0
		.amdhsa_exception_fp_denorm_src 0
		.amdhsa_exception_fp_ieee_div_zero 0
		.amdhsa_exception_fp_ieee_overflow 0
		.amdhsa_exception_fp_ieee_underflow 0
		.amdhsa_exception_fp_ieee_inexact 0
		.amdhsa_exception_int_div_zero 0
	.end_amdhsa_kernel
	.section	.text._ZN7rocprim17ROCPRIM_400000_NS6detail17trampoline_kernelINS0_14default_configENS1_25partition_config_selectorILNS1_17partition_subalgoE0EsNS0_10empty_typeEbEEZZNS1_14partition_implILS5_0ELb0ES3_jN6thrust23THRUST_200600_302600_NS6detail15normal_iteratorINSA_10device_ptrIsEEEEPS6_SG_NS0_5tupleIJSF_NSA_16discard_iteratorINSA_11use_defaultEEEEEENSH_IJSG_SG_EEES6_PlJ7is_evenIsEEEE10hipError_tPvRmT3_T4_T5_T6_T7_T9_mT8_P12ihipStream_tbDpT10_ENKUlT_T0_E_clISt17integral_constantIbLb0EES19_EEDaS14_S15_EUlS14_E_NS1_11comp_targetILNS1_3genE2ELNS1_11target_archE906ELNS1_3gpuE6ELNS1_3repE0EEENS1_30default_config_static_selectorELNS0_4arch9wavefront6targetE1EEEvT1_,"axG",@progbits,_ZN7rocprim17ROCPRIM_400000_NS6detail17trampoline_kernelINS0_14default_configENS1_25partition_config_selectorILNS1_17partition_subalgoE0EsNS0_10empty_typeEbEEZZNS1_14partition_implILS5_0ELb0ES3_jN6thrust23THRUST_200600_302600_NS6detail15normal_iteratorINSA_10device_ptrIsEEEEPS6_SG_NS0_5tupleIJSF_NSA_16discard_iteratorINSA_11use_defaultEEEEEENSH_IJSG_SG_EEES6_PlJ7is_evenIsEEEE10hipError_tPvRmT3_T4_T5_T6_T7_T9_mT8_P12ihipStream_tbDpT10_ENKUlT_T0_E_clISt17integral_constantIbLb0EES19_EEDaS14_S15_EUlS14_E_NS1_11comp_targetILNS1_3genE2ELNS1_11target_archE906ELNS1_3gpuE6ELNS1_3repE0EEENS1_30default_config_static_selectorELNS0_4arch9wavefront6targetE1EEEvT1_,comdat
.Lfunc_end2815:
	.size	_ZN7rocprim17ROCPRIM_400000_NS6detail17trampoline_kernelINS0_14default_configENS1_25partition_config_selectorILNS1_17partition_subalgoE0EsNS0_10empty_typeEbEEZZNS1_14partition_implILS5_0ELb0ES3_jN6thrust23THRUST_200600_302600_NS6detail15normal_iteratorINSA_10device_ptrIsEEEEPS6_SG_NS0_5tupleIJSF_NSA_16discard_iteratorINSA_11use_defaultEEEEEENSH_IJSG_SG_EEES6_PlJ7is_evenIsEEEE10hipError_tPvRmT3_T4_T5_T6_T7_T9_mT8_P12ihipStream_tbDpT10_ENKUlT_T0_E_clISt17integral_constantIbLb0EES19_EEDaS14_S15_EUlS14_E_NS1_11comp_targetILNS1_3genE2ELNS1_11target_archE906ELNS1_3gpuE6ELNS1_3repE0EEENS1_30default_config_static_selectorELNS0_4arch9wavefront6targetE1EEEvT1_, .Lfunc_end2815-_ZN7rocprim17ROCPRIM_400000_NS6detail17trampoline_kernelINS0_14default_configENS1_25partition_config_selectorILNS1_17partition_subalgoE0EsNS0_10empty_typeEbEEZZNS1_14partition_implILS5_0ELb0ES3_jN6thrust23THRUST_200600_302600_NS6detail15normal_iteratorINSA_10device_ptrIsEEEEPS6_SG_NS0_5tupleIJSF_NSA_16discard_iteratorINSA_11use_defaultEEEEEENSH_IJSG_SG_EEES6_PlJ7is_evenIsEEEE10hipError_tPvRmT3_T4_T5_T6_T7_T9_mT8_P12ihipStream_tbDpT10_ENKUlT_T0_E_clISt17integral_constantIbLb0EES19_EEDaS14_S15_EUlS14_E_NS1_11comp_targetILNS1_3genE2ELNS1_11target_archE906ELNS1_3gpuE6ELNS1_3repE0EEENS1_30default_config_static_selectorELNS0_4arch9wavefront6targetE1EEEvT1_
                                        ; -- End function
	.section	.AMDGPU.csdata,"",@progbits
; Kernel info:
; codeLenInByte = 0
; NumSgprs: 6
; NumVgprs: 0
; NumAgprs: 0
; TotalNumVgprs: 0
; ScratchSize: 0
; MemoryBound: 0
; FloatMode: 240
; IeeeMode: 1
; LDSByteSize: 0 bytes/workgroup (compile time only)
; SGPRBlocks: 0
; VGPRBlocks: 0
; NumSGPRsForWavesPerEU: 6
; NumVGPRsForWavesPerEU: 1
; AccumOffset: 4
; Occupancy: 8
; WaveLimiterHint : 0
; COMPUTE_PGM_RSRC2:SCRATCH_EN: 0
; COMPUTE_PGM_RSRC2:USER_SGPR: 2
; COMPUTE_PGM_RSRC2:TRAP_HANDLER: 0
; COMPUTE_PGM_RSRC2:TGID_X_EN: 1
; COMPUTE_PGM_RSRC2:TGID_Y_EN: 0
; COMPUTE_PGM_RSRC2:TGID_Z_EN: 0
; COMPUTE_PGM_RSRC2:TIDIG_COMP_CNT: 0
; COMPUTE_PGM_RSRC3_GFX90A:ACCUM_OFFSET: 0
; COMPUTE_PGM_RSRC3_GFX90A:TG_SPLIT: 0
	.section	.text._ZN7rocprim17ROCPRIM_400000_NS6detail17trampoline_kernelINS0_14default_configENS1_25partition_config_selectorILNS1_17partition_subalgoE0EsNS0_10empty_typeEbEEZZNS1_14partition_implILS5_0ELb0ES3_jN6thrust23THRUST_200600_302600_NS6detail15normal_iteratorINSA_10device_ptrIsEEEEPS6_SG_NS0_5tupleIJSF_NSA_16discard_iteratorINSA_11use_defaultEEEEEENSH_IJSG_SG_EEES6_PlJ7is_evenIsEEEE10hipError_tPvRmT3_T4_T5_T6_T7_T9_mT8_P12ihipStream_tbDpT10_ENKUlT_T0_E_clISt17integral_constantIbLb0EES19_EEDaS14_S15_EUlS14_E_NS1_11comp_targetILNS1_3genE10ELNS1_11target_archE1200ELNS1_3gpuE4ELNS1_3repE0EEENS1_30default_config_static_selectorELNS0_4arch9wavefront6targetE1EEEvT1_,"axG",@progbits,_ZN7rocprim17ROCPRIM_400000_NS6detail17trampoline_kernelINS0_14default_configENS1_25partition_config_selectorILNS1_17partition_subalgoE0EsNS0_10empty_typeEbEEZZNS1_14partition_implILS5_0ELb0ES3_jN6thrust23THRUST_200600_302600_NS6detail15normal_iteratorINSA_10device_ptrIsEEEEPS6_SG_NS0_5tupleIJSF_NSA_16discard_iteratorINSA_11use_defaultEEEEEENSH_IJSG_SG_EEES6_PlJ7is_evenIsEEEE10hipError_tPvRmT3_T4_T5_T6_T7_T9_mT8_P12ihipStream_tbDpT10_ENKUlT_T0_E_clISt17integral_constantIbLb0EES19_EEDaS14_S15_EUlS14_E_NS1_11comp_targetILNS1_3genE10ELNS1_11target_archE1200ELNS1_3gpuE4ELNS1_3repE0EEENS1_30default_config_static_selectorELNS0_4arch9wavefront6targetE1EEEvT1_,comdat
	.protected	_ZN7rocprim17ROCPRIM_400000_NS6detail17trampoline_kernelINS0_14default_configENS1_25partition_config_selectorILNS1_17partition_subalgoE0EsNS0_10empty_typeEbEEZZNS1_14partition_implILS5_0ELb0ES3_jN6thrust23THRUST_200600_302600_NS6detail15normal_iteratorINSA_10device_ptrIsEEEEPS6_SG_NS0_5tupleIJSF_NSA_16discard_iteratorINSA_11use_defaultEEEEEENSH_IJSG_SG_EEES6_PlJ7is_evenIsEEEE10hipError_tPvRmT3_T4_T5_T6_T7_T9_mT8_P12ihipStream_tbDpT10_ENKUlT_T0_E_clISt17integral_constantIbLb0EES19_EEDaS14_S15_EUlS14_E_NS1_11comp_targetILNS1_3genE10ELNS1_11target_archE1200ELNS1_3gpuE4ELNS1_3repE0EEENS1_30default_config_static_selectorELNS0_4arch9wavefront6targetE1EEEvT1_ ; -- Begin function _ZN7rocprim17ROCPRIM_400000_NS6detail17trampoline_kernelINS0_14default_configENS1_25partition_config_selectorILNS1_17partition_subalgoE0EsNS0_10empty_typeEbEEZZNS1_14partition_implILS5_0ELb0ES3_jN6thrust23THRUST_200600_302600_NS6detail15normal_iteratorINSA_10device_ptrIsEEEEPS6_SG_NS0_5tupleIJSF_NSA_16discard_iteratorINSA_11use_defaultEEEEEENSH_IJSG_SG_EEES6_PlJ7is_evenIsEEEE10hipError_tPvRmT3_T4_T5_T6_T7_T9_mT8_P12ihipStream_tbDpT10_ENKUlT_T0_E_clISt17integral_constantIbLb0EES19_EEDaS14_S15_EUlS14_E_NS1_11comp_targetILNS1_3genE10ELNS1_11target_archE1200ELNS1_3gpuE4ELNS1_3repE0EEENS1_30default_config_static_selectorELNS0_4arch9wavefront6targetE1EEEvT1_
	.globl	_ZN7rocprim17ROCPRIM_400000_NS6detail17trampoline_kernelINS0_14default_configENS1_25partition_config_selectorILNS1_17partition_subalgoE0EsNS0_10empty_typeEbEEZZNS1_14partition_implILS5_0ELb0ES3_jN6thrust23THRUST_200600_302600_NS6detail15normal_iteratorINSA_10device_ptrIsEEEEPS6_SG_NS0_5tupleIJSF_NSA_16discard_iteratorINSA_11use_defaultEEEEEENSH_IJSG_SG_EEES6_PlJ7is_evenIsEEEE10hipError_tPvRmT3_T4_T5_T6_T7_T9_mT8_P12ihipStream_tbDpT10_ENKUlT_T0_E_clISt17integral_constantIbLb0EES19_EEDaS14_S15_EUlS14_E_NS1_11comp_targetILNS1_3genE10ELNS1_11target_archE1200ELNS1_3gpuE4ELNS1_3repE0EEENS1_30default_config_static_selectorELNS0_4arch9wavefront6targetE1EEEvT1_
	.p2align	8
	.type	_ZN7rocprim17ROCPRIM_400000_NS6detail17trampoline_kernelINS0_14default_configENS1_25partition_config_selectorILNS1_17partition_subalgoE0EsNS0_10empty_typeEbEEZZNS1_14partition_implILS5_0ELb0ES3_jN6thrust23THRUST_200600_302600_NS6detail15normal_iteratorINSA_10device_ptrIsEEEEPS6_SG_NS0_5tupleIJSF_NSA_16discard_iteratorINSA_11use_defaultEEEEEENSH_IJSG_SG_EEES6_PlJ7is_evenIsEEEE10hipError_tPvRmT3_T4_T5_T6_T7_T9_mT8_P12ihipStream_tbDpT10_ENKUlT_T0_E_clISt17integral_constantIbLb0EES19_EEDaS14_S15_EUlS14_E_NS1_11comp_targetILNS1_3genE10ELNS1_11target_archE1200ELNS1_3gpuE4ELNS1_3repE0EEENS1_30default_config_static_selectorELNS0_4arch9wavefront6targetE1EEEvT1_,@function
_ZN7rocprim17ROCPRIM_400000_NS6detail17trampoline_kernelINS0_14default_configENS1_25partition_config_selectorILNS1_17partition_subalgoE0EsNS0_10empty_typeEbEEZZNS1_14partition_implILS5_0ELb0ES3_jN6thrust23THRUST_200600_302600_NS6detail15normal_iteratorINSA_10device_ptrIsEEEEPS6_SG_NS0_5tupleIJSF_NSA_16discard_iteratorINSA_11use_defaultEEEEEENSH_IJSG_SG_EEES6_PlJ7is_evenIsEEEE10hipError_tPvRmT3_T4_T5_T6_T7_T9_mT8_P12ihipStream_tbDpT10_ENKUlT_T0_E_clISt17integral_constantIbLb0EES19_EEDaS14_S15_EUlS14_E_NS1_11comp_targetILNS1_3genE10ELNS1_11target_archE1200ELNS1_3gpuE4ELNS1_3repE0EEENS1_30default_config_static_selectorELNS0_4arch9wavefront6targetE1EEEvT1_: ; @_ZN7rocprim17ROCPRIM_400000_NS6detail17trampoline_kernelINS0_14default_configENS1_25partition_config_selectorILNS1_17partition_subalgoE0EsNS0_10empty_typeEbEEZZNS1_14partition_implILS5_0ELb0ES3_jN6thrust23THRUST_200600_302600_NS6detail15normal_iteratorINSA_10device_ptrIsEEEEPS6_SG_NS0_5tupleIJSF_NSA_16discard_iteratorINSA_11use_defaultEEEEEENSH_IJSG_SG_EEES6_PlJ7is_evenIsEEEE10hipError_tPvRmT3_T4_T5_T6_T7_T9_mT8_P12ihipStream_tbDpT10_ENKUlT_T0_E_clISt17integral_constantIbLb0EES19_EEDaS14_S15_EUlS14_E_NS1_11comp_targetILNS1_3genE10ELNS1_11target_archE1200ELNS1_3gpuE4ELNS1_3repE0EEENS1_30default_config_static_selectorELNS0_4arch9wavefront6targetE1EEEvT1_
; %bb.0:
	.section	.rodata,"a",@progbits
	.p2align	6, 0x0
	.amdhsa_kernel _ZN7rocprim17ROCPRIM_400000_NS6detail17trampoline_kernelINS0_14default_configENS1_25partition_config_selectorILNS1_17partition_subalgoE0EsNS0_10empty_typeEbEEZZNS1_14partition_implILS5_0ELb0ES3_jN6thrust23THRUST_200600_302600_NS6detail15normal_iteratorINSA_10device_ptrIsEEEEPS6_SG_NS0_5tupleIJSF_NSA_16discard_iteratorINSA_11use_defaultEEEEEENSH_IJSG_SG_EEES6_PlJ7is_evenIsEEEE10hipError_tPvRmT3_T4_T5_T6_T7_T9_mT8_P12ihipStream_tbDpT10_ENKUlT_T0_E_clISt17integral_constantIbLb0EES19_EEDaS14_S15_EUlS14_E_NS1_11comp_targetILNS1_3genE10ELNS1_11target_archE1200ELNS1_3gpuE4ELNS1_3repE0EEENS1_30default_config_static_selectorELNS0_4arch9wavefront6targetE1EEEvT1_
		.amdhsa_group_segment_fixed_size 0
		.amdhsa_private_segment_fixed_size 0
		.amdhsa_kernarg_size 128
		.amdhsa_user_sgpr_count 2
		.amdhsa_user_sgpr_dispatch_ptr 0
		.amdhsa_user_sgpr_queue_ptr 0
		.amdhsa_user_sgpr_kernarg_segment_ptr 1
		.amdhsa_user_sgpr_dispatch_id 0
		.amdhsa_user_sgpr_kernarg_preload_length 0
		.amdhsa_user_sgpr_kernarg_preload_offset 0
		.amdhsa_user_sgpr_private_segment_size 0
		.amdhsa_uses_dynamic_stack 0
		.amdhsa_enable_private_segment 0
		.amdhsa_system_sgpr_workgroup_id_x 1
		.amdhsa_system_sgpr_workgroup_id_y 0
		.amdhsa_system_sgpr_workgroup_id_z 0
		.amdhsa_system_sgpr_workgroup_info 0
		.amdhsa_system_vgpr_workitem_id 0
		.amdhsa_next_free_vgpr 1
		.amdhsa_next_free_sgpr 0
		.amdhsa_accum_offset 4
		.amdhsa_reserve_vcc 0
		.amdhsa_float_round_mode_32 0
		.amdhsa_float_round_mode_16_64 0
		.amdhsa_float_denorm_mode_32 3
		.amdhsa_float_denorm_mode_16_64 3
		.amdhsa_dx10_clamp 1
		.amdhsa_ieee_mode 1
		.amdhsa_fp16_overflow 0
		.amdhsa_tg_split 0
		.amdhsa_exception_fp_ieee_invalid_op 0
		.amdhsa_exception_fp_denorm_src 0
		.amdhsa_exception_fp_ieee_div_zero 0
		.amdhsa_exception_fp_ieee_overflow 0
		.amdhsa_exception_fp_ieee_underflow 0
		.amdhsa_exception_fp_ieee_inexact 0
		.amdhsa_exception_int_div_zero 0
	.end_amdhsa_kernel
	.section	.text._ZN7rocprim17ROCPRIM_400000_NS6detail17trampoline_kernelINS0_14default_configENS1_25partition_config_selectorILNS1_17partition_subalgoE0EsNS0_10empty_typeEbEEZZNS1_14partition_implILS5_0ELb0ES3_jN6thrust23THRUST_200600_302600_NS6detail15normal_iteratorINSA_10device_ptrIsEEEEPS6_SG_NS0_5tupleIJSF_NSA_16discard_iteratorINSA_11use_defaultEEEEEENSH_IJSG_SG_EEES6_PlJ7is_evenIsEEEE10hipError_tPvRmT3_T4_T5_T6_T7_T9_mT8_P12ihipStream_tbDpT10_ENKUlT_T0_E_clISt17integral_constantIbLb0EES19_EEDaS14_S15_EUlS14_E_NS1_11comp_targetILNS1_3genE10ELNS1_11target_archE1200ELNS1_3gpuE4ELNS1_3repE0EEENS1_30default_config_static_selectorELNS0_4arch9wavefront6targetE1EEEvT1_,"axG",@progbits,_ZN7rocprim17ROCPRIM_400000_NS6detail17trampoline_kernelINS0_14default_configENS1_25partition_config_selectorILNS1_17partition_subalgoE0EsNS0_10empty_typeEbEEZZNS1_14partition_implILS5_0ELb0ES3_jN6thrust23THRUST_200600_302600_NS6detail15normal_iteratorINSA_10device_ptrIsEEEEPS6_SG_NS0_5tupleIJSF_NSA_16discard_iteratorINSA_11use_defaultEEEEEENSH_IJSG_SG_EEES6_PlJ7is_evenIsEEEE10hipError_tPvRmT3_T4_T5_T6_T7_T9_mT8_P12ihipStream_tbDpT10_ENKUlT_T0_E_clISt17integral_constantIbLb0EES19_EEDaS14_S15_EUlS14_E_NS1_11comp_targetILNS1_3genE10ELNS1_11target_archE1200ELNS1_3gpuE4ELNS1_3repE0EEENS1_30default_config_static_selectorELNS0_4arch9wavefront6targetE1EEEvT1_,comdat
.Lfunc_end2816:
	.size	_ZN7rocprim17ROCPRIM_400000_NS6detail17trampoline_kernelINS0_14default_configENS1_25partition_config_selectorILNS1_17partition_subalgoE0EsNS0_10empty_typeEbEEZZNS1_14partition_implILS5_0ELb0ES3_jN6thrust23THRUST_200600_302600_NS6detail15normal_iteratorINSA_10device_ptrIsEEEEPS6_SG_NS0_5tupleIJSF_NSA_16discard_iteratorINSA_11use_defaultEEEEEENSH_IJSG_SG_EEES6_PlJ7is_evenIsEEEE10hipError_tPvRmT3_T4_T5_T6_T7_T9_mT8_P12ihipStream_tbDpT10_ENKUlT_T0_E_clISt17integral_constantIbLb0EES19_EEDaS14_S15_EUlS14_E_NS1_11comp_targetILNS1_3genE10ELNS1_11target_archE1200ELNS1_3gpuE4ELNS1_3repE0EEENS1_30default_config_static_selectorELNS0_4arch9wavefront6targetE1EEEvT1_, .Lfunc_end2816-_ZN7rocprim17ROCPRIM_400000_NS6detail17trampoline_kernelINS0_14default_configENS1_25partition_config_selectorILNS1_17partition_subalgoE0EsNS0_10empty_typeEbEEZZNS1_14partition_implILS5_0ELb0ES3_jN6thrust23THRUST_200600_302600_NS6detail15normal_iteratorINSA_10device_ptrIsEEEEPS6_SG_NS0_5tupleIJSF_NSA_16discard_iteratorINSA_11use_defaultEEEEEENSH_IJSG_SG_EEES6_PlJ7is_evenIsEEEE10hipError_tPvRmT3_T4_T5_T6_T7_T9_mT8_P12ihipStream_tbDpT10_ENKUlT_T0_E_clISt17integral_constantIbLb0EES19_EEDaS14_S15_EUlS14_E_NS1_11comp_targetILNS1_3genE10ELNS1_11target_archE1200ELNS1_3gpuE4ELNS1_3repE0EEENS1_30default_config_static_selectorELNS0_4arch9wavefront6targetE1EEEvT1_
                                        ; -- End function
	.section	.AMDGPU.csdata,"",@progbits
; Kernel info:
; codeLenInByte = 0
; NumSgprs: 6
; NumVgprs: 0
; NumAgprs: 0
; TotalNumVgprs: 0
; ScratchSize: 0
; MemoryBound: 0
; FloatMode: 240
; IeeeMode: 1
; LDSByteSize: 0 bytes/workgroup (compile time only)
; SGPRBlocks: 0
; VGPRBlocks: 0
; NumSGPRsForWavesPerEU: 6
; NumVGPRsForWavesPerEU: 1
; AccumOffset: 4
; Occupancy: 8
; WaveLimiterHint : 0
; COMPUTE_PGM_RSRC2:SCRATCH_EN: 0
; COMPUTE_PGM_RSRC2:USER_SGPR: 2
; COMPUTE_PGM_RSRC2:TRAP_HANDLER: 0
; COMPUTE_PGM_RSRC2:TGID_X_EN: 1
; COMPUTE_PGM_RSRC2:TGID_Y_EN: 0
; COMPUTE_PGM_RSRC2:TGID_Z_EN: 0
; COMPUTE_PGM_RSRC2:TIDIG_COMP_CNT: 0
; COMPUTE_PGM_RSRC3_GFX90A:ACCUM_OFFSET: 0
; COMPUTE_PGM_RSRC3_GFX90A:TG_SPLIT: 0
	.section	.text._ZN7rocprim17ROCPRIM_400000_NS6detail17trampoline_kernelINS0_14default_configENS1_25partition_config_selectorILNS1_17partition_subalgoE0EsNS0_10empty_typeEbEEZZNS1_14partition_implILS5_0ELb0ES3_jN6thrust23THRUST_200600_302600_NS6detail15normal_iteratorINSA_10device_ptrIsEEEEPS6_SG_NS0_5tupleIJSF_NSA_16discard_iteratorINSA_11use_defaultEEEEEENSH_IJSG_SG_EEES6_PlJ7is_evenIsEEEE10hipError_tPvRmT3_T4_T5_T6_T7_T9_mT8_P12ihipStream_tbDpT10_ENKUlT_T0_E_clISt17integral_constantIbLb0EES19_EEDaS14_S15_EUlS14_E_NS1_11comp_targetILNS1_3genE9ELNS1_11target_archE1100ELNS1_3gpuE3ELNS1_3repE0EEENS1_30default_config_static_selectorELNS0_4arch9wavefront6targetE1EEEvT1_,"axG",@progbits,_ZN7rocprim17ROCPRIM_400000_NS6detail17trampoline_kernelINS0_14default_configENS1_25partition_config_selectorILNS1_17partition_subalgoE0EsNS0_10empty_typeEbEEZZNS1_14partition_implILS5_0ELb0ES3_jN6thrust23THRUST_200600_302600_NS6detail15normal_iteratorINSA_10device_ptrIsEEEEPS6_SG_NS0_5tupleIJSF_NSA_16discard_iteratorINSA_11use_defaultEEEEEENSH_IJSG_SG_EEES6_PlJ7is_evenIsEEEE10hipError_tPvRmT3_T4_T5_T6_T7_T9_mT8_P12ihipStream_tbDpT10_ENKUlT_T0_E_clISt17integral_constantIbLb0EES19_EEDaS14_S15_EUlS14_E_NS1_11comp_targetILNS1_3genE9ELNS1_11target_archE1100ELNS1_3gpuE3ELNS1_3repE0EEENS1_30default_config_static_selectorELNS0_4arch9wavefront6targetE1EEEvT1_,comdat
	.protected	_ZN7rocprim17ROCPRIM_400000_NS6detail17trampoline_kernelINS0_14default_configENS1_25partition_config_selectorILNS1_17partition_subalgoE0EsNS0_10empty_typeEbEEZZNS1_14partition_implILS5_0ELb0ES3_jN6thrust23THRUST_200600_302600_NS6detail15normal_iteratorINSA_10device_ptrIsEEEEPS6_SG_NS0_5tupleIJSF_NSA_16discard_iteratorINSA_11use_defaultEEEEEENSH_IJSG_SG_EEES6_PlJ7is_evenIsEEEE10hipError_tPvRmT3_T4_T5_T6_T7_T9_mT8_P12ihipStream_tbDpT10_ENKUlT_T0_E_clISt17integral_constantIbLb0EES19_EEDaS14_S15_EUlS14_E_NS1_11comp_targetILNS1_3genE9ELNS1_11target_archE1100ELNS1_3gpuE3ELNS1_3repE0EEENS1_30default_config_static_selectorELNS0_4arch9wavefront6targetE1EEEvT1_ ; -- Begin function _ZN7rocprim17ROCPRIM_400000_NS6detail17trampoline_kernelINS0_14default_configENS1_25partition_config_selectorILNS1_17partition_subalgoE0EsNS0_10empty_typeEbEEZZNS1_14partition_implILS5_0ELb0ES3_jN6thrust23THRUST_200600_302600_NS6detail15normal_iteratorINSA_10device_ptrIsEEEEPS6_SG_NS0_5tupleIJSF_NSA_16discard_iteratorINSA_11use_defaultEEEEEENSH_IJSG_SG_EEES6_PlJ7is_evenIsEEEE10hipError_tPvRmT3_T4_T5_T6_T7_T9_mT8_P12ihipStream_tbDpT10_ENKUlT_T0_E_clISt17integral_constantIbLb0EES19_EEDaS14_S15_EUlS14_E_NS1_11comp_targetILNS1_3genE9ELNS1_11target_archE1100ELNS1_3gpuE3ELNS1_3repE0EEENS1_30default_config_static_selectorELNS0_4arch9wavefront6targetE1EEEvT1_
	.globl	_ZN7rocprim17ROCPRIM_400000_NS6detail17trampoline_kernelINS0_14default_configENS1_25partition_config_selectorILNS1_17partition_subalgoE0EsNS0_10empty_typeEbEEZZNS1_14partition_implILS5_0ELb0ES3_jN6thrust23THRUST_200600_302600_NS6detail15normal_iteratorINSA_10device_ptrIsEEEEPS6_SG_NS0_5tupleIJSF_NSA_16discard_iteratorINSA_11use_defaultEEEEEENSH_IJSG_SG_EEES6_PlJ7is_evenIsEEEE10hipError_tPvRmT3_T4_T5_T6_T7_T9_mT8_P12ihipStream_tbDpT10_ENKUlT_T0_E_clISt17integral_constantIbLb0EES19_EEDaS14_S15_EUlS14_E_NS1_11comp_targetILNS1_3genE9ELNS1_11target_archE1100ELNS1_3gpuE3ELNS1_3repE0EEENS1_30default_config_static_selectorELNS0_4arch9wavefront6targetE1EEEvT1_
	.p2align	8
	.type	_ZN7rocprim17ROCPRIM_400000_NS6detail17trampoline_kernelINS0_14default_configENS1_25partition_config_selectorILNS1_17partition_subalgoE0EsNS0_10empty_typeEbEEZZNS1_14partition_implILS5_0ELb0ES3_jN6thrust23THRUST_200600_302600_NS6detail15normal_iteratorINSA_10device_ptrIsEEEEPS6_SG_NS0_5tupleIJSF_NSA_16discard_iteratorINSA_11use_defaultEEEEEENSH_IJSG_SG_EEES6_PlJ7is_evenIsEEEE10hipError_tPvRmT3_T4_T5_T6_T7_T9_mT8_P12ihipStream_tbDpT10_ENKUlT_T0_E_clISt17integral_constantIbLb0EES19_EEDaS14_S15_EUlS14_E_NS1_11comp_targetILNS1_3genE9ELNS1_11target_archE1100ELNS1_3gpuE3ELNS1_3repE0EEENS1_30default_config_static_selectorELNS0_4arch9wavefront6targetE1EEEvT1_,@function
_ZN7rocprim17ROCPRIM_400000_NS6detail17trampoline_kernelINS0_14default_configENS1_25partition_config_selectorILNS1_17partition_subalgoE0EsNS0_10empty_typeEbEEZZNS1_14partition_implILS5_0ELb0ES3_jN6thrust23THRUST_200600_302600_NS6detail15normal_iteratorINSA_10device_ptrIsEEEEPS6_SG_NS0_5tupleIJSF_NSA_16discard_iteratorINSA_11use_defaultEEEEEENSH_IJSG_SG_EEES6_PlJ7is_evenIsEEEE10hipError_tPvRmT3_T4_T5_T6_T7_T9_mT8_P12ihipStream_tbDpT10_ENKUlT_T0_E_clISt17integral_constantIbLb0EES19_EEDaS14_S15_EUlS14_E_NS1_11comp_targetILNS1_3genE9ELNS1_11target_archE1100ELNS1_3gpuE3ELNS1_3repE0EEENS1_30default_config_static_selectorELNS0_4arch9wavefront6targetE1EEEvT1_: ; @_ZN7rocprim17ROCPRIM_400000_NS6detail17trampoline_kernelINS0_14default_configENS1_25partition_config_selectorILNS1_17partition_subalgoE0EsNS0_10empty_typeEbEEZZNS1_14partition_implILS5_0ELb0ES3_jN6thrust23THRUST_200600_302600_NS6detail15normal_iteratorINSA_10device_ptrIsEEEEPS6_SG_NS0_5tupleIJSF_NSA_16discard_iteratorINSA_11use_defaultEEEEEENSH_IJSG_SG_EEES6_PlJ7is_evenIsEEEE10hipError_tPvRmT3_T4_T5_T6_T7_T9_mT8_P12ihipStream_tbDpT10_ENKUlT_T0_E_clISt17integral_constantIbLb0EES19_EEDaS14_S15_EUlS14_E_NS1_11comp_targetILNS1_3genE9ELNS1_11target_archE1100ELNS1_3gpuE3ELNS1_3repE0EEENS1_30default_config_static_selectorELNS0_4arch9wavefront6targetE1EEEvT1_
; %bb.0:
	.section	.rodata,"a",@progbits
	.p2align	6, 0x0
	.amdhsa_kernel _ZN7rocprim17ROCPRIM_400000_NS6detail17trampoline_kernelINS0_14default_configENS1_25partition_config_selectorILNS1_17partition_subalgoE0EsNS0_10empty_typeEbEEZZNS1_14partition_implILS5_0ELb0ES3_jN6thrust23THRUST_200600_302600_NS6detail15normal_iteratorINSA_10device_ptrIsEEEEPS6_SG_NS0_5tupleIJSF_NSA_16discard_iteratorINSA_11use_defaultEEEEEENSH_IJSG_SG_EEES6_PlJ7is_evenIsEEEE10hipError_tPvRmT3_T4_T5_T6_T7_T9_mT8_P12ihipStream_tbDpT10_ENKUlT_T0_E_clISt17integral_constantIbLb0EES19_EEDaS14_S15_EUlS14_E_NS1_11comp_targetILNS1_3genE9ELNS1_11target_archE1100ELNS1_3gpuE3ELNS1_3repE0EEENS1_30default_config_static_selectorELNS0_4arch9wavefront6targetE1EEEvT1_
		.amdhsa_group_segment_fixed_size 0
		.amdhsa_private_segment_fixed_size 0
		.amdhsa_kernarg_size 128
		.amdhsa_user_sgpr_count 2
		.amdhsa_user_sgpr_dispatch_ptr 0
		.amdhsa_user_sgpr_queue_ptr 0
		.amdhsa_user_sgpr_kernarg_segment_ptr 1
		.amdhsa_user_sgpr_dispatch_id 0
		.amdhsa_user_sgpr_kernarg_preload_length 0
		.amdhsa_user_sgpr_kernarg_preload_offset 0
		.amdhsa_user_sgpr_private_segment_size 0
		.amdhsa_uses_dynamic_stack 0
		.amdhsa_enable_private_segment 0
		.amdhsa_system_sgpr_workgroup_id_x 1
		.amdhsa_system_sgpr_workgroup_id_y 0
		.amdhsa_system_sgpr_workgroup_id_z 0
		.amdhsa_system_sgpr_workgroup_info 0
		.amdhsa_system_vgpr_workitem_id 0
		.amdhsa_next_free_vgpr 1
		.amdhsa_next_free_sgpr 0
		.amdhsa_accum_offset 4
		.amdhsa_reserve_vcc 0
		.amdhsa_float_round_mode_32 0
		.amdhsa_float_round_mode_16_64 0
		.amdhsa_float_denorm_mode_32 3
		.amdhsa_float_denorm_mode_16_64 3
		.amdhsa_dx10_clamp 1
		.amdhsa_ieee_mode 1
		.amdhsa_fp16_overflow 0
		.amdhsa_tg_split 0
		.amdhsa_exception_fp_ieee_invalid_op 0
		.amdhsa_exception_fp_denorm_src 0
		.amdhsa_exception_fp_ieee_div_zero 0
		.amdhsa_exception_fp_ieee_overflow 0
		.amdhsa_exception_fp_ieee_underflow 0
		.amdhsa_exception_fp_ieee_inexact 0
		.amdhsa_exception_int_div_zero 0
	.end_amdhsa_kernel
	.section	.text._ZN7rocprim17ROCPRIM_400000_NS6detail17trampoline_kernelINS0_14default_configENS1_25partition_config_selectorILNS1_17partition_subalgoE0EsNS0_10empty_typeEbEEZZNS1_14partition_implILS5_0ELb0ES3_jN6thrust23THRUST_200600_302600_NS6detail15normal_iteratorINSA_10device_ptrIsEEEEPS6_SG_NS0_5tupleIJSF_NSA_16discard_iteratorINSA_11use_defaultEEEEEENSH_IJSG_SG_EEES6_PlJ7is_evenIsEEEE10hipError_tPvRmT3_T4_T5_T6_T7_T9_mT8_P12ihipStream_tbDpT10_ENKUlT_T0_E_clISt17integral_constantIbLb0EES19_EEDaS14_S15_EUlS14_E_NS1_11comp_targetILNS1_3genE9ELNS1_11target_archE1100ELNS1_3gpuE3ELNS1_3repE0EEENS1_30default_config_static_selectorELNS0_4arch9wavefront6targetE1EEEvT1_,"axG",@progbits,_ZN7rocprim17ROCPRIM_400000_NS6detail17trampoline_kernelINS0_14default_configENS1_25partition_config_selectorILNS1_17partition_subalgoE0EsNS0_10empty_typeEbEEZZNS1_14partition_implILS5_0ELb0ES3_jN6thrust23THRUST_200600_302600_NS6detail15normal_iteratorINSA_10device_ptrIsEEEEPS6_SG_NS0_5tupleIJSF_NSA_16discard_iteratorINSA_11use_defaultEEEEEENSH_IJSG_SG_EEES6_PlJ7is_evenIsEEEE10hipError_tPvRmT3_T4_T5_T6_T7_T9_mT8_P12ihipStream_tbDpT10_ENKUlT_T0_E_clISt17integral_constantIbLb0EES19_EEDaS14_S15_EUlS14_E_NS1_11comp_targetILNS1_3genE9ELNS1_11target_archE1100ELNS1_3gpuE3ELNS1_3repE0EEENS1_30default_config_static_selectorELNS0_4arch9wavefront6targetE1EEEvT1_,comdat
.Lfunc_end2817:
	.size	_ZN7rocprim17ROCPRIM_400000_NS6detail17trampoline_kernelINS0_14default_configENS1_25partition_config_selectorILNS1_17partition_subalgoE0EsNS0_10empty_typeEbEEZZNS1_14partition_implILS5_0ELb0ES3_jN6thrust23THRUST_200600_302600_NS6detail15normal_iteratorINSA_10device_ptrIsEEEEPS6_SG_NS0_5tupleIJSF_NSA_16discard_iteratorINSA_11use_defaultEEEEEENSH_IJSG_SG_EEES6_PlJ7is_evenIsEEEE10hipError_tPvRmT3_T4_T5_T6_T7_T9_mT8_P12ihipStream_tbDpT10_ENKUlT_T0_E_clISt17integral_constantIbLb0EES19_EEDaS14_S15_EUlS14_E_NS1_11comp_targetILNS1_3genE9ELNS1_11target_archE1100ELNS1_3gpuE3ELNS1_3repE0EEENS1_30default_config_static_selectorELNS0_4arch9wavefront6targetE1EEEvT1_, .Lfunc_end2817-_ZN7rocprim17ROCPRIM_400000_NS6detail17trampoline_kernelINS0_14default_configENS1_25partition_config_selectorILNS1_17partition_subalgoE0EsNS0_10empty_typeEbEEZZNS1_14partition_implILS5_0ELb0ES3_jN6thrust23THRUST_200600_302600_NS6detail15normal_iteratorINSA_10device_ptrIsEEEEPS6_SG_NS0_5tupleIJSF_NSA_16discard_iteratorINSA_11use_defaultEEEEEENSH_IJSG_SG_EEES6_PlJ7is_evenIsEEEE10hipError_tPvRmT3_T4_T5_T6_T7_T9_mT8_P12ihipStream_tbDpT10_ENKUlT_T0_E_clISt17integral_constantIbLb0EES19_EEDaS14_S15_EUlS14_E_NS1_11comp_targetILNS1_3genE9ELNS1_11target_archE1100ELNS1_3gpuE3ELNS1_3repE0EEENS1_30default_config_static_selectorELNS0_4arch9wavefront6targetE1EEEvT1_
                                        ; -- End function
	.section	.AMDGPU.csdata,"",@progbits
; Kernel info:
; codeLenInByte = 0
; NumSgprs: 6
; NumVgprs: 0
; NumAgprs: 0
; TotalNumVgprs: 0
; ScratchSize: 0
; MemoryBound: 0
; FloatMode: 240
; IeeeMode: 1
; LDSByteSize: 0 bytes/workgroup (compile time only)
; SGPRBlocks: 0
; VGPRBlocks: 0
; NumSGPRsForWavesPerEU: 6
; NumVGPRsForWavesPerEU: 1
; AccumOffset: 4
; Occupancy: 8
; WaveLimiterHint : 0
; COMPUTE_PGM_RSRC2:SCRATCH_EN: 0
; COMPUTE_PGM_RSRC2:USER_SGPR: 2
; COMPUTE_PGM_RSRC2:TRAP_HANDLER: 0
; COMPUTE_PGM_RSRC2:TGID_X_EN: 1
; COMPUTE_PGM_RSRC2:TGID_Y_EN: 0
; COMPUTE_PGM_RSRC2:TGID_Z_EN: 0
; COMPUTE_PGM_RSRC2:TIDIG_COMP_CNT: 0
; COMPUTE_PGM_RSRC3_GFX90A:ACCUM_OFFSET: 0
; COMPUTE_PGM_RSRC3_GFX90A:TG_SPLIT: 0
	.section	.text._ZN7rocprim17ROCPRIM_400000_NS6detail17trampoline_kernelINS0_14default_configENS1_25partition_config_selectorILNS1_17partition_subalgoE0EsNS0_10empty_typeEbEEZZNS1_14partition_implILS5_0ELb0ES3_jN6thrust23THRUST_200600_302600_NS6detail15normal_iteratorINSA_10device_ptrIsEEEEPS6_SG_NS0_5tupleIJSF_NSA_16discard_iteratorINSA_11use_defaultEEEEEENSH_IJSG_SG_EEES6_PlJ7is_evenIsEEEE10hipError_tPvRmT3_T4_T5_T6_T7_T9_mT8_P12ihipStream_tbDpT10_ENKUlT_T0_E_clISt17integral_constantIbLb0EES19_EEDaS14_S15_EUlS14_E_NS1_11comp_targetILNS1_3genE8ELNS1_11target_archE1030ELNS1_3gpuE2ELNS1_3repE0EEENS1_30default_config_static_selectorELNS0_4arch9wavefront6targetE1EEEvT1_,"axG",@progbits,_ZN7rocprim17ROCPRIM_400000_NS6detail17trampoline_kernelINS0_14default_configENS1_25partition_config_selectorILNS1_17partition_subalgoE0EsNS0_10empty_typeEbEEZZNS1_14partition_implILS5_0ELb0ES3_jN6thrust23THRUST_200600_302600_NS6detail15normal_iteratorINSA_10device_ptrIsEEEEPS6_SG_NS0_5tupleIJSF_NSA_16discard_iteratorINSA_11use_defaultEEEEEENSH_IJSG_SG_EEES6_PlJ7is_evenIsEEEE10hipError_tPvRmT3_T4_T5_T6_T7_T9_mT8_P12ihipStream_tbDpT10_ENKUlT_T0_E_clISt17integral_constantIbLb0EES19_EEDaS14_S15_EUlS14_E_NS1_11comp_targetILNS1_3genE8ELNS1_11target_archE1030ELNS1_3gpuE2ELNS1_3repE0EEENS1_30default_config_static_selectorELNS0_4arch9wavefront6targetE1EEEvT1_,comdat
	.protected	_ZN7rocprim17ROCPRIM_400000_NS6detail17trampoline_kernelINS0_14default_configENS1_25partition_config_selectorILNS1_17partition_subalgoE0EsNS0_10empty_typeEbEEZZNS1_14partition_implILS5_0ELb0ES3_jN6thrust23THRUST_200600_302600_NS6detail15normal_iteratorINSA_10device_ptrIsEEEEPS6_SG_NS0_5tupleIJSF_NSA_16discard_iteratorINSA_11use_defaultEEEEEENSH_IJSG_SG_EEES6_PlJ7is_evenIsEEEE10hipError_tPvRmT3_T4_T5_T6_T7_T9_mT8_P12ihipStream_tbDpT10_ENKUlT_T0_E_clISt17integral_constantIbLb0EES19_EEDaS14_S15_EUlS14_E_NS1_11comp_targetILNS1_3genE8ELNS1_11target_archE1030ELNS1_3gpuE2ELNS1_3repE0EEENS1_30default_config_static_selectorELNS0_4arch9wavefront6targetE1EEEvT1_ ; -- Begin function _ZN7rocprim17ROCPRIM_400000_NS6detail17trampoline_kernelINS0_14default_configENS1_25partition_config_selectorILNS1_17partition_subalgoE0EsNS0_10empty_typeEbEEZZNS1_14partition_implILS5_0ELb0ES3_jN6thrust23THRUST_200600_302600_NS6detail15normal_iteratorINSA_10device_ptrIsEEEEPS6_SG_NS0_5tupleIJSF_NSA_16discard_iteratorINSA_11use_defaultEEEEEENSH_IJSG_SG_EEES6_PlJ7is_evenIsEEEE10hipError_tPvRmT3_T4_T5_T6_T7_T9_mT8_P12ihipStream_tbDpT10_ENKUlT_T0_E_clISt17integral_constantIbLb0EES19_EEDaS14_S15_EUlS14_E_NS1_11comp_targetILNS1_3genE8ELNS1_11target_archE1030ELNS1_3gpuE2ELNS1_3repE0EEENS1_30default_config_static_selectorELNS0_4arch9wavefront6targetE1EEEvT1_
	.globl	_ZN7rocprim17ROCPRIM_400000_NS6detail17trampoline_kernelINS0_14default_configENS1_25partition_config_selectorILNS1_17partition_subalgoE0EsNS0_10empty_typeEbEEZZNS1_14partition_implILS5_0ELb0ES3_jN6thrust23THRUST_200600_302600_NS6detail15normal_iteratorINSA_10device_ptrIsEEEEPS6_SG_NS0_5tupleIJSF_NSA_16discard_iteratorINSA_11use_defaultEEEEEENSH_IJSG_SG_EEES6_PlJ7is_evenIsEEEE10hipError_tPvRmT3_T4_T5_T6_T7_T9_mT8_P12ihipStream_tbDpT10_ENKUlT_T0_E_clISt17integral_constantIbLb0EES19_EEDaS14_S15_EUlS14_E_NS1_11comp_targetILNS1_3genE8ELNS1_11target_archE1030ELNS1_3gpuE2ELNS1_3repE0EEENS1_30default_config_static_selectorELNS0_4arch9wavefront6targetE1EEEvT1_
	.p2align	8
	.type	_ZN7rocprim17ROCPRIM_400000_NS6detail17trampoline_kernelINS0_14default_configENS1_25partition_config_selectorILNS1_17partition_subalgoE0EsNS0_10empty_typeEbEEZZNS1_14partition_implILS5_0ELb0ES3_jN6thrust23THRUST_200600_302600_NS6detail15normal_iteratorINSA_10device_ptrIsEEEEPS6_SG_NS0_5tupleIJSF_NSA_16discard_iteratorINSA_11use_defaultEEEEEENSH_IJSG_SG_EEES6_PlJ7is_evenIsEEEE10hipError_tPvRmT3_T4_T5_T6_T7_T9_mT8_P12ihipStream_tbDpT10_ENKUlT_T0_E_clISt17integral_constantIbLb0EES19_EEDaS14_S15_EUlS14_E_NS1_11comp_targetILNS1_3genE8ELNS1_11target_archE1030ELNS1_3gpuE2ELNS1_3repE0EEENS1_30default_config_static_selectorELNS0_4arch9wavefront6targetE1EEEvT1_,@function
_ZN7rocprim17ROCPRIM_400000_NS6detail17trampoline_kernelINS0_14default_configENS1_25partition_config_selectorILNS1_17partition_subalgoE0EsNS0_10empty_typeEbEEZZNS1_14partition_implILS5_0ELb0ES3_jN6thrust23THRUST_200600_302600_NS6detail15normal_iteratorINSA_10device_ptrIsEEEEPS6_SG_NS0_5tupleIJSF_NSA_16discard_iteratorINSA_11use_defaultEEEEEENSH_IJSG_SG_EEES6_PlJ7is_evenIsEEEE10hipError_tPvRmT3_T4_T5_T6_T7_T9_mT8_P12ihipStream_tbDpT10_ENKUlT_T0_E_clISt17integral_constantIbLb0EES19_EEDaS14_S15_EUlS14_E_NS1_11comp_targetILNS1_3genE8ELNS1_11target_archE1030ELNS1_3gpuE2ELNS1_3repE0EEENS1_30default_config_static_selectorELNS0_4arch9wavefront6targetE1EEEvT1_: ; @_ZN7rocprim17ROCPRIM_400000_NS6detail17trampoline_kernelINS0_14default_configENS1_25partition_config_selectorILNS1_17partition_subalgoE0EsNS0_10empty_typeEbEEZZNS1_14partition_implILS5_0ELb0ES3_jN6thrust23THRUST_200600_302600_NS6detail15normal_iteratorINSA_10device_ptrIsEEEEPS6_SG_NS0_5tupleIJSF_NSA_16discard_iteratorINSA_11use_defaultEEEEEENSH_IJSG_SG_EEES6_PlJ7is_evenIsEEEE10hipError_tPvRmT3_T4_T5_T6_T7_T9_mT8_P12ihipStream_tbDpT10_ENKUlT_T0_E_clISt17integral_constantIbLb0EES19_EEDaS14_S15_EUlS14_E_NS1_11comp_targetILNS1_3genE8ELNS1_11target_archE1030ELNS1_3gpuE2ELNS1_3repE0EEENS1_30default_config_static_selectorELNS0_4arch9wavefront6targetE1EEEvT1_
; %bb.0:
	.section	.rodata,"a",@progbits
	.p2align	6, 0x0
	.amdhsa_kernel _ZN7rocprim17ROCPRIM_400000_NS6detail17trampoline_kernelINS0_14default_configENS1_25partition_config_selectorILNS1_17partition_subalgoE0EsNS0_10empty_typeEbEEZZNS1_14partition_implILS5_0ELb0ES3_jN6thrust23THRUST_200600_302600_NS6detail15normal_iteratorINSA_10device_ptrIsEEEEPS6_SG_NS0_5tupleIJSF_NSA_16discard_iteratorINSA_11use_defaultEEEEEENSH_IJSG_SG_EEES6_PlJ7is_evenIsEEEE10hipError_tPvRmT3_T4_T5_T6_T7_T9_mT8_P12ihipStream_tbDpT10_ENKUlT_T0_E_clISt17integral_constantIbLb0EES19_EEDaS14_S15_EUlS14_E_NS1_11comp_targetILNS1_3genE8ELNS1_11target_archE1030ELNS1_3gpuE2ELNS1_3repE0EEENS1_30default_config_static_selectorELNS0_4arch9wavefront6targetE1EEEvT1_
		.amdhsa_group_segment_fixed_size 0
		.amdhsa_private_segment_fixed_size 0
		.amdhsa_kernarg_size 128
		.amdhsa_user_sgpr_count 2
		.amdhsa_user_sgpr_dispatch_ptr 0
		.amdhsa_user_sgpr_queue_ptr 0
		.amdhsa_user_sgpr_kernarg_segment_ptr 1
		.amdhsa_user_sgpr_dispatch_id 0
		.amdhsa_user_sgpr_kernarg_preload_length 0
		.amdhsa_user_sgpr_kernarg_preload_offset 0
		.amdhsa_user_sgpr_private_segment_size 0
		.amdhsa_uses_dynamic_stack 0
		.amdhsa_enable_private_segment 0
		.amdhsa_system_sgpr_workgroup_id_x 1
		.amdhsa_system_sgpr_workgroup_id_y 0
		.amdhsa_system_sgpr_workgroup_id_z 0
		.amdhsa_system_sgpr_workgroup_info 0
		.amdhsa_system_vgpr_workitem_id 0
		.amdhsa_next_free_vgpr 1
		.amdhsa_next_free_sgpr 0
		.amdhsa_accum_offset 4
		.amdhsa_reserve_vcc 0
		.amdhsa_float_round_mode_32 0
		.amdhsa_float_round_mode_16_64 0
		.amdhsa_float_denorm_mode_32 3
		.amdhsa_float_denorm_mode_16_64 3
		.amdhsa_dx10_clamp 1
		.amdhsa_ieee_mode 1
		.amdhsa_fp16_overflow 0
		.amdhsa_tg_split 0
		.amdhsa_exception_fp_ieee_invalid_op 0
		.amdhsa_exception_fp_denorm_src 0
		.amdhsa_exception_fp_ieee_div_zero 0
		.amdhsa_exception_fp_ieee_overflow 0
		.amdhsa_exception_fp_ieee_underflow 0
		.amdhsa_exception_fp_ieee_inexact 0
		.amdhsa_exception_int_div_zero 0
	.end_amdhsa_kernel
	.section	.text._ZN7rocprim17ROCPRIM_400000_NS6detail17trampoline_kernelINS0_14default_configENS1_25partition_config_selectorILNS1_17partition_subalgoE0EsNS0_10empty_typeEbEEZZNS1_14partition_implILS5_0ELb0ES3_jN6thrust23THRUST_200600_302600_NS6detail15normal_iteratorINSA_10device_ptrIsEEEEPS6_SG_NS0_5tupleIJSF_NSA_16discard_iteratorINSA_11use_defaultEEEEEENSH_IJSG_SG_EEES6_PlJ7is_evenIsEEEE10hipError_tPvRmT3_T4_T5_T6_T7_T9_mT8_P12ihipStream_tbDpT10_ENKUlT_T0_E_clISt17integral_constantIbLb0EES19_EEDaS14_S15_EUlS14_E_NS1_11comp_targetILNS1_3genE8ELNS1_11target_archE1030ELNS1_3gpuE2ELNS1_3repE0EEENS1_30default_config_static_selectorELNS0_4arch9wavefront6targetE1EEEvT1_,"axG",@progbits,_ZN7rocprim17ROCPRIM_400000_NS6detail17trampoline_kernelINS0_14default_configENS1_25partition_config_selectorILNS1_17partition_subalgoE0EsNS0_10empty_typeEbEEZZNS1_14partition_implILS5_0ELb0ES3_jN6thrust23THRUST_200600_302600_NS6detail15normal_iteratorINSA_10device_ptrIsEEEEPS6_SG_NS0_5tupleIJSF_NSA_16discard_iteratorINSA_11use_defaultEEEEEENSH_IJSG_SG_EEES6_PlJ7is_evenIsEEEE10hipError_tPvRmT3_T4_T5_T6_T7_T9_mT8_P12ihipStream_tbDpT10_ENKUlT_T0_E_clISt17integral_constantIbLb0EES19_EEDaS14_S15_EUlS14_E_NS1_11comp_targetILNS1_3genE8ELNS1_11target_archE1030ELNS1_3gpuE2ELNS1_3repE0EEENS1_30default_config_static_selectorELNS0_4arch9wavefront6targetE1EEEvT1_,comdat
.Lfunc_end2818:
	.size	_ZN7rocprim17ROCPRIM_400000_NS6detail17trampoline_kernelINS0_14default_configENS1_25partition_config_selectorILNS1_17partition_subalgoE0EsNS0_10empty_typeEbEEZZNS1_14partition_implILS5_0ELb0ES3_jN6thrust23THRUST_200600_302600_NS6detail15normal_iteratorINSA_10device_ptrIsEEEEPS6_SG_NS0_5tupleIJSF_NSA_16discard_iteratorINSA_11use_defaultEEEEEENSH_IJSG_SG_EEES6_PlJ7is_evenIsEEEE10hipError_tPvRmT3_T4_T5_T6_T7_T9_mT8_P12ihipStream_tbDpT10_ENKUlT_T0_E_clISt17integral_constantIbLb0EES19_EEDaS14_S15_EUlS14_E_NS1_11comp_targetILNS1_3genE8ELNS1_11target_archE1030ELNS1_3gpuE2ELNS1_3repE0EEENS1_30default_config_static_selectorELNS0_4arch9wavefront6targetE1EEEvT1_, .Lfunc_end2818-_ZN7rocprim17ROCPRIM_400000_NS6detail17trampoline_kernelINS0_14default_configENS1_25partition_config_selectorILNS1_17partition_subalgoE0EsNS0_10empty_typeEbEEZZNS1_14partition_implILS5_0ELb0ES3_jN6thrust23THRUST_200600_302600_NS6detail15normal_iteratorINSA_10device_ptrIsEEEEPS6_SG_NS0_5tupleIJSF_NSA_16discard_iteratorINSA_11use_defaultEEEEEENSH_IJSG_SG_EEES6_PlJ7is_evenIsEEEE10hipError_tPvRmT3_T4_T5_T6_T7_T9_mT8_P12ihipStream_tbDpT10_ENKUlT_T0_E_clISt17integral_constantIbLb0EES19_EEDaS14_S15_EUlS14_E_NS1_11comp_targetILNS1_3genE8ELNS1_11target_archE1030ELNS1_3gpuE2ELNS1_3repE0EEENS1_30default_config_static_selectorELNS0_4arch9wavefront6targetE1EEEvT1_
                                        ; -- End function
	.section	.AMDGPU.csdata,"",@progbits
; Kernel info:
; codeLenInByte = 0
; NumSgprs: 6
; NumVgprs: 0
; NumAgprs: 0
; TotalNumVgprs: 0
; ScratchSize: 0
; MemoryBound: 0
; FloatMode: 240
; IeeeMode: 1
; LDSByteSize: 0 bytes/workgroup (compile time only)
; SGPRBlocks: 0
; VGPRBlocks: 0
; NumSGPRsForWavesPerEU: 6
; NumVGPRsForWavesPerEU: 1
; AccumOffset: 4
; Occupancy: 8
; WaveLimiterHint : 0
; COMPUTE_PGM_RSRC2:SCRATCH_EN: 0
; COMPUTE_PGM_RSRC2:USER_SGPR: 2
; COMPUTE_PGM_RSRC2:TRAP_HANDLER: 0
; COMPUTE_PGM_RSRC2:TGID_X_EN: 1
; COMPUTE_PGM_RSRC2:TGID_Y_EN: 0
; COMPUTE_PGM_RSRC2:TGID_Z_EN: 0
; COMPUTE_PGM_RSRC2:TIDIG_COMP_CNT: 0
; COMPUTE_PGM_RSRC3_GFX90A:ACCUM_OFFSET: 0
; COMPUTE_PGM_RSRC3_GFX90A:TG_SPLIT: 0
	.section	.text._ZN7rocprim17ROCPRIM_400000_NS6detail17trampoline_kernelINS0_14default_configENS1_25partition_config_selectorILNS1_17partition_subalgoE0EsNS0_10empty_typeEbEEZZNS1_14partition_implILS5_0ELb0ES3_jN6thrust23THRUST_200600_302600_NS6detail15normal_iteratorINSA_10device_ptrIsEEEEPS6_SG_NS0_5tupleIJSF_NSA_16discard_iteratorINSA_11use_defaultEEEEEENSH_IJSG_SG_EEES6_PlJ7is_evenIsEEEE10hipError_tPvRmT3_T4_T5_T6_T7_T9_mT8_P12ihipStream_tbDpT10_ENKUlT_T0_E_clISt17integral_constantIbLb1EES19_EEDaS14_S15_EUlS14_E_NS1_11comp_targetILNS1_3genE0ELNS1_11target_archE4294967295ELNS1_3gpuE0ELNS1_3repE0EEENS1_30default_config_static_selectorELNS0_4arch9wavefront6targetE1EEEvT1_,"axG",@progbits,_ZN7rocprim17ROCPRIM_400000_NS6detail17trampoline_kernelINS0_14default_configENS1_25partition_config_selectorILNS1_17partition_subalgoE0EsNS0_10empty_typeEbEEZZNS1_14partition_implILS5_0ELb0ES3_jN6thrust23THRUST_200600_302600_NS6detail15normal_iteratorINSA_10device_ptrIsEEEEPS6_SG_NS0_5tupleIJSF_NSA_16discard_iteratorINSA_11use_defaultEEEEEENSH_IJSG_SG_EEES6_PlJ7is_evenIsEEEE10hipError_tPvRmT3_T4_T5_T6_T7_T9_mT8_P12ihipStream_tbDpT10_ENKUlT_T0_E_clISt17integral_constantIbLb1EES19_EEDaS14_S15_EUlS14_E_NS1_11comp_targetILNS1_3genE0ELNS1_11target_archE4294967295ELNS1_3gpuE0ELNS1_3repE0EEENS1_30default_config_static_selectorELNS0_4arch9wavefront6targetE1EEEvT1_,comdat
	.protected	_ZN7rocprim17ROCPRIM_400000_NS6detail17trampoline_kernelINS0_14default_configENS1_25partition_config_selectorILNS1_17partition_subalgoE0EsNS0_10empty_typeEbEEZZNS1_14partition_implILS5_0ELb0ES3_jN6thrust23THRUST_200600_302600_NS6detail15normal_iteratorINSA_10device_ptrIsEEEEPS6_SG_NS0_5tupleIJSF_NSA_16discard_iteratorINSA_11use_defaultEEEEEENSH_IJSG_SG_EEES6_PlJ7is_evenIsEEEE10hipError_tPvRmT3_T4_T5_T6_T7_T9_mT8_P12ihipStream_tbDpT10_ENKUlT_T0_E_clISt17integral_constantIbLb1EES19_EEDaS14_S15_EUlS14_E_NS1_11comp_targetILNS1_3genE0ELNS1_11target_archE4294967295ELNS1_3gpuE0ELNS1_3repE0EEENS1_30default_config_static_selectorELNS0_4arch9wavefront6targetE1EEEvT1_ ; -- Begin function _ZN7rocprim17ROCPRIM_400000_NS6detail17trampoline_kernelINS0_14default_configENS1_25partition_config_selectorILNS1_17partition_subalgoE0EsNS0_10empty_typeEbEEZZNS1_14partition_implILS5_0ELb0ES3_jN6thrust23THRUST_200600_302600_NS6detail15normal_iteratorINSA_10device_ptrIsEEEEPS6_SG_NS0_5tupleIJSF_NSA_16discard_iteratorINSA_11use_defaultEEEEEENSH_IJSG_SG_EEES6_PlJ7is_evenIsEEEE10hipError_tPvRmT3_T4_T5_T6_T7_T9_mT8_P12ihipStream_tbDpT10_ENKUlT_T0_E_clISt17integral_constantIbLb1EES19_EEDaS14_S15_EUlS14_E_NS1_11comp_targetILNS1_3genE0ELNS1_11target_archE4294967295ELNS1_3gpuE0ELNS1_3repE0EEENS1_30default_config_static_selectorELNS0_4arch9wavefront6targetE1EEEvT1_
	.globl	_ZN7rocprim17ROCPRIM_400000_NS6detail17trampoline_kernelINS0_14default_configENS1_25partition_config_selectorILNS1_17partition_subalgoE0EsNS0_10empty_typeEbEEZZNS1_14partition_implILS5_0ELb0ES3_jN6thrust23THRUST_200600_302600_NS6detail15normal_iteratorINSA_10device_ptrIsEEEEPS6_SG_NS0_5tupleIJSF_NSA_16discard_iteratorINSA_11use_defaultEEEEEENSH_IJSG_SG_EEES6_PlJ7is_evenIsEEEE10hipError_tPvRmT3_T4_T5_T6_T7_T9_mT8_P12ihipStream_tbDpT10_ENKUlT_T0_E_clISt17integral_constantIbLb1EES19_EEDaS14_S15_EUlS14_E_NS1_11comp_targetILNS1_3genE0ELNS1_11target_archE4294967295ELNS1_3gpuE0ELNS1_3repE0EEENS1_30default_config_static_selectorELNS0_4arch9wavefront6targetE1EEEvT1_
	.p2align	8
	.type	_ZN7rocprim17ROCPRIM_400000_NS6detail17trampoline_kernelINS0_14default_configENS1_25partition_config_selectorILNS1_17partition_subalgoE0EsNS0_10empty_typeEbEEZZNS1_14partition_implILS5_0ELb0ES3_jN6thrust23THRUST_200600_302600_NS6detail15normal_iteratorINSA_10device_ptrIsEEEEPS6_SG_NS0_5tupleIJSF_NSA_16discard_iteratorINSA_11use_defaultEEEEEENSH_IJSG_SG_EEES6_PlJ7is_evenIsEEEE10hipError_tPvRmT3_T4_T5_T6_T7_T9_mT8_P12ihipStream_tbDpT10_ENKUlT_T0_E_clISt17integral_constantIbLb1EES19_EEDaS14_S15_EUlS14_E_NS1_11comp_targetILNS1_3genE0ELNS1_11target_archE4294967295ELNS1_3gpuE0ELNS1_3repE0EEENS1_30default_config_static_selectorELNS0_4arch9wavefront6targetE1EEEvT1_,@function
_ZN7rocprim17ROCPRIM_400000_NS6detail17trampoline_kernelINS0_14default_configENS1_25partition_config_selectorILNS1_17partition_subalgoE0EsNS0_10empty_typeEbEEZZNS1_14partition_implILS5_0ELb0ES3_jN6thrust23THRUST_200600_302600_NS6detail15normal_iteratorINSA_10device_ptrIsEEEEPS6_SG_NS0_5tupleIJSF_NSA_16discard_iteratorINSA_11use_defaultEEEEEENSH_IJSG_SG_EEES6_PlJ7is_evenIsEEEE10hipError_tPvRmT3_T4_T5_T6_T7_T9_mT8_P12ihipStream_tbDpT10_ENKUlT_T0_E_clISt17integral_constantIbLb1EES19_EEDaS14_S15_EUlS14_E_NS1_11comp_targetILNS1_3genE0ELNS1_11target_archE4294967295ELNS1_3gpuE0ELNS1_3repE0EEENS1_30default_config_static_selectorELNS0_4arch9wavefront6targetE1EEEvT1_: ; @_ZN7rocprim17ROCPRIM_400000_NS6detail17trampoline_kernelINS0_14default_configENS1_25partition_config_selectorILNS1_17partition_subalgoE0EsNS0_10empty_typeEbEEZZNS1_14partition_implILS5_0ELb0ES3_jN6thrust23THRUST_200600_302600_NS6detail15normal_iteratorINSA_10device_ptrIsEEEEPS6_SG_NS0_5tupleIJSF_NSA_16discard_iteratorINSA_11use_defaultEEEEEENSH_IJSG_SG_EEES6_PlJ7is_evenIsEEEE10hipError_tPvRmT3_T4_T5_T6_T7_T9_mT8_P12ihipStream_tbDpT10_ENKUlT_T0_E_clISt17integral_constantIbLb1EES19_EEDaS14_S15_EUlS14_E_NS1_11comp_targetILNS1_3genE0ELNS1_11target_archE4294967295ELNS1_3gpuE0ELNS1_3repE0EEENS1_30default_config_static_selectorELNS0_4arch9wavefront6targetE1EEEvT1_
; %bb.0:
	.section	.rodata,"a",@progbits
	.p2align	6, 0x0
	.amdhsa_kernel _ZN7rocprim17ROCPRIM_400000_NS6detail17trampoline_kernelINS0_14default_configENS1_25partition_config_selectorILNS1_17partition_subalgoE0EsNS0_10empty_typeEbEEZZNS1_14partition_implILS5_0ELb0ES3_jN6thrust23THRUST_200600_302600_NS6detail15normal_iteratorINSA_10device_ptrIsEEEEPS6_SG_NS0_5tupleIJSF_NSA_16discard_iteratorINSA_11use_defaultEEEEEENSH_IJSG_SG_EEES6_PlJ7is_evenIsEEEE10hipError_tPvRmT3_T4_T5_T6_T7_T9_mT8_P12ihipStream_tbDpT10_ENKUlT_T0_E_clISt17integral_constantIbLb1EES19_EEDaS14_S15_EUlS14_E_NS1_11comp_targetILNS1_3genE0ELNS1_11target_archE4294967295ELNS1_3gpuE0ELNS1_3repE0EEENS1_30default_config_static_selectorELNS0_4arch9wavefront6targetE1EEEvT1_
		.amdhsa_group_segment_fixed_size 0
		.amdhsa_private_segment_fixed_size 0
		.amdhsa_kernarg_size 144
		.amdhsa_user_sgpr_count 2
		.amdhsa_user_sgpr_dispatch_ptr 0
		.amdhsa_user_sgpr_queue_ptr 0
		.amdhsa_user_sgpr_kernarg_segment_ptr 1
		.amdhsa_user_sgpr_dispatch_id 0
		.amdhsa_user_sgpr_kernarg_preload_length 0
		.amdhsa_user_sgpr_kernarg_preload_offset 0
		.amdhsa_user_sgpr_private_segment_size 0
		.amdhsa_uses_dynamic_stack 0
		.amdhsa_enable_private_segment 0
		.amdhsa_system_sgpr_workgroup_id_x 1
		.amdhsa_system_sgpr_workgroup_id_y 0
		.amdhsa_system_sgpr_workgroup_id_z 0
		.amdhsa_system_sgpr_workgroup_info 0
		.amdhsa_system_vgpr_workitem_id 0
		.amdhsa_next_free_vgpr 1
		.amdhsa_next_free_sgpr 0
		.amdhsa_accum_offset 4
		.amdhsa_reserve_vcc 0
		.amdhsa_float_round_mode_32 0
		.amdhsa_float_round_mode_16_64 0
		.amdhsa_float_denorm_mode_32 3
		.amdhsa_float_denorm_mode_16_64 3
		.amdhsa_dx10_clamp 1
		.amdhsa_ieee_mode 1
		.amdhsa_fp16_overflow 0
		.amdhsa_tg_split 0
		.amdhsa_exception_fp_ieee_invalid_op 0
		.amdhsa_exception_fp_denorm_src 0
		.amdhsa_exception_fp_ieee_div_zero 0
		.amdhsa_exception_fp_ieee_overflow 0
		.amdhsa_exception_fp_ieee_underflow 0
		.amdhsa_exception_fp_ieee_inexact 0
		.amdhsa_exception_int_div_zero 0
	.end_amdhsa_kernel
	.section	.text._ZN7rocprim17ROCPRIM_400000_NS6detail17trampoline_kernelINS0_14default_configENS1_25partition_config_selectorILNS1_17partition_subalgoE0EsNS0_10empty_typeEbEEZZNS1_14partition_implILS5_0ELb0ES3_jN6thrust23THRUST_200600_302600_NS6detail15normal_iteratorINSA_10device_ptrIsEEEEPS6_SG_NS0_5tupleIJSF_NSA_16discard_iteratorINSA_11use_defaultEEEEEENSH_IJSG_SG_EEES6_PlJ7is_evenIsEEEE10hipError_tPvRmT3_T4_T5_T6_T7_T9_mT8_P12ihipStream_tbDpT10_ENKUlT_T0_E_clISt17integral_constantIbLb1EES19_EEDaS14_S15_EUlS14_E_NS1_11comp_targetILNS1_3genE0ELNS1_11target_archE4294967295ELNS1_3gpuE0ELNS1_3repE0EEENS1_30default_config_static_selectorELNS0_4arch9wavefront6targetE1EEEvT1_,"axG",@progbits,_ZN7rocprim17ROCPRIM_400000_NS6detail17trampoline_kernelINS0_14default_configENS1_25partition_config_selectorILNS1_17partition_subalgoE0EsNS0_10empty_typeEbEEZZNS1_14partition_implILS5_0ELb0ES3_jN6thrust23THRUST_200600_302600_NS6detail15normal_iteratorINSA_10device_ptrIsEEEEPS6_SG_NS0_5tupleIJSF_NSA_16discard_iteratorINSA_11use_defaultEEEEEENSH_IJSG_SG_EEES6_PlJ7is_evenIsEEEE10hipError_tPvRmT3_T4_T5_T6_T7_T9_mT8_P12ihipStream_tbDpT10_ENKUlT_T0_E_clISt17integral_constantIbLb1EES19_EEDaS14_S15_EUlS14_E_NS1_11comp_targetILNS1_3genE0ELNS1_11target_archE4294967295ELNS1_3gpuE0ELNS1_3repE0EEENS1_30default_config_static_selectorELNS0_4arch9wavefront6targetE1EEEvT1_,comdat
.Lfunc_end2819:
	.size	_ZN7rocprim17ROCPRIM_400000_NS6detail17trampoline_kernelINS0_14default_configENS1_25partition_config_selectorILNS1_17partition_subalgoE0EsNS0_10empty_typeEbEEZZNS1_14partition_implILS5_0ELb0ES3_jN6thrust23THRUST_200600_302600_NS6detail15normal_iteratorINSA_10device_ptrIsEEEEPS6_SG_NS0_5tupleIJSF_NSA_16discard_iteratorINSA_11use_defaultEEEEEENSH_IJSG_SG_EEES6_PlJ7is_evenIsEEEE10hipError_tPvRmT3_T4_T5_T6_T7_T9_mT8_P12ihipStream_tbDpT10_ENKUlT_T0_E_clISt17integral_constantIbLb1EES19_EEDaS14_S15_EUlS14_E_NS1_11comp_targetILNS1_3genE0ELNS1_11target_archE4294967295ELNS1_3gpuE0ELNS1_3repE0EEENS1_30default_config_static_selectorELNS0_4arch9wavefront6targetE1EEEvT1_, .Lfunc_end2819-_ZN7rocprim17ROCPRIM_400000_NS6detail17trampoline_kernelINS0_14default_configENS1_25partition_config_selectorILNS1_17partition_subalgoE0EsNS0_10empty_typeEbEEZZNS1_14partition_implILS5_0ELb0ES3_jN6thrust23THRUST_200600_302600_NS6detail15normal_iteratorINSA_10device_ptrIsEEEEPS6_SG_NS0_5tupleIJSF_NSA_16discard_iteratorINSA_11use_defaultEEEEEENSH_IJSG_SG_EEES6_PlJ7is_evenIsEEEE10hipError_tPvRmT3_T4_T5_T6_T7_T9_mT8_P12ihipStream_tbDpT10_ENKUlT_T0_E_clISt17integral_constantIbLb1EES19_EEDaS14_S15_EUlS14_E_NS1_11comp_targetILNS1_3genE0ELNS1_11target_archE4294967295ELNS1_3gpuE0ELNS1_3repE0EEENS1_30default_config_static_selectorELNS0_4arch9wavefront6targetE1EEEvT1_
                                        ; -- End function
	.section	.AMDGPU.csdata,"",@progbits
; Kernel info:
; codeLenInByte = 0
; NumSgprs: 6
; NumVgprs: 0
; NumAgprs: 0
; TotalNumVgprs: 0
; ScratchSize: 0
; MemoryBound: 0
; FloatMode: 240
; IeeeMode: 1
; LDSByteSize: 0 bytes/workgroup (compile time only)
; SGPRBlocks: 0
; VGPRBlocks: 0
; NumSGPRsForWavesPerEU: 6
; NumVGPRsForWavesPerEU: 1
; AccumOffset: 4
; Occupancy: 8
; WaveLimiterHint : 0
; COMPUTE_PGM_RSRC2:SCRATCH_EN: 0
; COMPUTE_PGM_RSRC2:USER_SGPR: 2
; COMPUTE_PGM_RSRC2:TRAP_HANDLER: 0
; COMPUTE_PGM_RSRC2:TGID_X_EN: 1
; COMPUTE_PGM_RSRC2:TGID_Y_EN: 0
; COMPUTE_PGM_RSRC2:TGID_Z_EN: 0
; COMPUTE_PGM_RSRC2:TIDIG_COMP_CNT: 0
; COMPUTE_PGM_RSRC3_GFX90A:ACCUM_OFFSET: 0
; COMPUTE_PGM_RSRC3_GFX90A:TG_SPLIT: 0
	.section	.text._ZN7rocprim17ROCPRIM_400000_NS6detail17trampoline_kernelINS0_14default_configENS1_25partition_config_selectorILNS1_17partition_subalgoE0EsNS0_10empty_typeEbEEZZNS1_14partition_implILS5_0ELb0ES3_jN6thrust23THRUST_200600_302600_NS6detail15normal_iteratorINSA_10device_ptrIsEEEEPS6_SG_NS0_5tupleIJSF_NSA_16discard_iteratorINSA_11use_defaultEEEEEENSH_IJSG_SG_EEES6_PlJ7is_evenIsEEEE10hipError_tPvRmT3_T4_T5_T6_T7_T9_mT8_P12ihipStream_tbDpT10_ENKUlT_T0_E_clISt17integral_constantIbLb1EES19_EEDaS14_S15_EUlS14_E_NS1_11comp_targetILNS1_3genE5ELNS1_11target_archE942ELNS1_3gpuE9ELNS1_3repE0EEENS1_30default_config_static_selectorELNS0_4arch9wavefront6targetE1EEEvT1_,"axG",@progbits,_ZN7rocprim17ROCPRIM_400000_NS6detail17trampoline_kernelINS0_14default_configENS1_25partition_config_selectorILNS1_17partition_subalgoE0EsNS0_10empty_typeEbEEZZNS1_14partition_implILS5_0ELb0ES3_jN6thrust23THRUST_200600_302600_NS6detail15normal_iteratorINSA_10device_ptrIsEEEEPS6_SG_NS0_5tupleIJSF_NSA_16discard_iteratorINSA_11use_defaultEEEEEENSH_IJSG_SG_EEES6_PlJ7is_evenIsEEEE10hipError_tPvRmT3_T4_T5_T6_T7_T9_mT8_P12ihipStream_tbDpT10_ENKUlT_T0_E_clISt17integral_constantIbLb1EES19_EEDaS14_S15_EUlS14_E_NS1_11comp_targetILNS1_3genE5ELNS1_11target_archE942ELNS1_3gpuE9ELNS1_3repE0EEENS1_30default_config_static_selectorELNS0_4arch9wavefront6targetE1EEEvT1_,comdat
	.protected	_ZN7rocprim17ROCPRIM_400000_NS6detail17trampoline_kernelINS0_14default_configENS1_25partition_config_selectorILNS1_17partition_subalgoE0EsNS0_10empty_typeEbEEZZNS1_14partition_implILS5_0ELb0ES3_jN6thrust23THRUST_200600_302600_NS6detail15normal_iteratorINSA_10device_ptrIsEEEEPS6_SG_NS0_5tupleIJSF_NSA_16discard_iteratorINSA_11use_defaultEEEEEENSH_IJSG_SG_EEES6_PlJ7is_evenIsEEEE10hipError_tPvRmT3_T4_T5_T6_T7_T9_mT8_P12ihipStream_tbDpT10_ENKUlT_T0_E_clISt17integral_constantIbLb1EES19_EEDaS14_S15_EUlS14_E_NS1_11comp_targetILNS1_3genE5ELNS1_11target_archE942ELNS1_3gpuE9ELNS1_3repE0EEENS1_30default_config_static_selectorELNS0_4arch9wavefront6targetE1EEEvT1_ ; -- Begin function _ZN7rocprim17ROCPRIM_400000_NS6detail17trampoline_kernelINS0_14default_configENS1_25partition_config_selectorILNS1_17partition_subalgoE0EsNS0_10empty_typeEbEEZZNS1_14partition_implILS5_0ELb0ES3_jN6thrust23THRUST_200600_302600_NS6detail15normal_iteratorINSA_10device_ptrIsEEEEPS6_SG_NS0_5tupleIJSF_NSA_16discard_iteratorINSA_11use_defaultEEEEEENSH_IJSG_SG_EEES6_PlJ7is_evenIsEEEE10hipError_tPvRmT3_T4_T5_T6_T7_T9_mT8_P12ihipStream_tbDpT10_ENKUlT_T0_E_clISt17integral_constantIbLb1EES19_EEDaS14_S15_EUlS14_E_NS1_11comp_targetILNS1_3genE5ELNS1_11target_archE942ELNS1_3gpuE9ELNS1_3repE0EEENS1_30default_config_static_selectorELNS0_4arch9wavefront6targetE1EEEvT1_
	.globl	_ZN7rocprim17ROCPRIM_400000_NS6detail17trampoline_kernelINS0_14default_configENS1_25partition_config_selectorILNS1_17partition_subalgoE0EsNS0_10empty_typeEbEEZZNS1_14partition_implILS5_0ELb0ES3_jN6thrust23THRUST_200600_302600_NS6detail15normal_iteratorINSA_10device_ptrIsEEEEPS6_SG_NS0_5tupleIJSF_NSA_16discard_iteratorINSA_11use_defaultEEEEEENSH_IJSG_SG_EEES6_PlJ7is_evenIsEEEE10hipError_tPvRmT3_T4_T5_T6_T7_T9_mT8_P12ihipStream_tbDpT10_ENKUlT_T0_E_clISt17integral_constantIbLb1EES19_EEDaS14_S15_EUlS14_E_NS1_11comp_targetILNS1_3genE5ELNS1_11target_archE942ELNS1_3gpuE9ELNS1_3repE0EEENS1_30default_config_static_selectorELNS0_4arch9wavefront6targetE1EEEvT1_
	.p2align	8
	.type	_ZN7rocprim17ROCPRIM_400000_NS6detail17trampoline_kernelINS0_14default_configENS1_25partition_config_selectorILNS1_17partition_subalgoE0EsNS0_10empty_typeEbEEZZNS1_14partition_implILS5_0ELb0ES3_jN6thrust23THRUST_200600_302600_NS6detail15normal_iteratorINSA_10device_ptrIsEEEEPS6_SG_NS0_5tupleIJSF_NSA_16discard_iteratorINSA_11use_defaultEEEEEENSH_IJSG_SG_EEES6_PlJ7is_evenIsEEEE10hipError_tPvRmT3_T4_T5_T6_T7_T9_mT8_P12ihipStream_tbDpT10_ENKUlT_T0_E_clISt17integral_constantIbLb1EES19_EEDaS14_S15_EUlS14_E_NS1_11comp_targetILNS1_3genE5ELNS1_11target_archE942ELNS1_3gpuE9ELNS1_3repE0EEENS1_30default_config_static_selectorELNS0_4arch9wavefront6targetE1EEEvT1_,@function
_ZN7rocprim17ROCPRIM_400000_NS6detail17trampoline_kernelINS0_14default_configENS1_25partition_config_selectorILNS1_17partition_subalgoE0EsNS0_10empty_typeEbEEZZNS1_14partition_implILS5_0ELb0ES3_jN6thrust23THRUST_200600_302600_NS6detail15normal_iteratorINSA_10device_ptrIsEEEEPS6_SG_NS0_5tupleIJSF_NSA_16discard_iteratorINSA_11use_defaultEEEEEENSH_IJSG_SG_EEES6_PlJ7is_evenIsEEEE10hipError_tPvRmT3_T4_T5_T6_T7_T9_mT8_P12ihipStream_tbDpT10_ENKUlT_T0_E_clISt17integral_constantIbLb1EES19_EEDaS14_S15_EUlS14_E_NS1_11comp_targetILNS1_3genE5ELNS1_11target_archE942ELNS1_3gpuE9ELNS1_3repE0EEENS1_30default_config_static_selectorELNS0_4arch9wavefront6targetE1EEEvT1_: ; @_ZN7rocprim17ROCPRIM_400000_NS6detail17trampoline_kernelINS0_14default_configENS1_25partition_config_selectorILNS1_17partition_subalgoE0EsNS0_10empty_typeEbEEZZNS1_14partition_implILS5_0ELb0ES3_jN6thrust23THRUST_200600_302600_NS6detail15normal_iteratorINSA_10device_ptrIsEEEEPS6_SG_NS0_5tupleIJSF_NSA_16discard_iteratorINSA_11use_defaultEEEEEENSH_IJSG_SG_EEES6_PlJ7is_evenIsEEEE10hipError_tPvRmT3_T4_T5_T6_T7_T9_mT8_P12ihipStream_tbDpT10_ENKUlT_T0_E_clISt17integral_constantIbLb1EES19_EEDaS14_S15_EUlS14_E_NS1_11comp_targetILNS1_3genE5ELNS1_11target_archE942ELNS1_3gpuE9ELNS1_3repE0EEENS1_30default_config_static_selectorELNS0_4arch9wavefront6targetE1EEEvT1_
; %bb.0:
	s_load_dwordx2 s[2:3], s[0:1], 0x60
	s_load_dwordx4 s[24:27], s[0:1], 0x50
	s_load_dwordx2 s[30:31], s[0:1], 0x70
	v_cmp_eq_u32_e64 s[20:21], 0, v0
	s_and_saveexec_b64 s[4:5], s[20:21]
	s_cbranch_execz .LBB2820_4
; %bb.1:
	s_mov_b64 s[8:9], exec
	v_mbcnt_lo_u32_b32 v1, s8, 0
	v_mbcnt_hi_u32_b32 v1, s9, v1
	v_cmp_eq_u32_e32 vcc, 0, v1
                                        ; implicit-def: $vgpr2
	s_and_saveexec_b64 s[6:7], vcc
	s_cbranch_execz .LBB2820_3
; %bb.2:
	s_load_dwordx2 s[10:11], s[0:1], 0x80
	s_bcnt1_i32_b64 s8, s[8:9]
	v_mov_b32_e32 v2, 0
	v_mov_b32_e32 v3, s8
	s_waitcnt lgkmcnt(0)
	global_atomic_add v2, v2, v3, s[10:11] sc0
.LBB2820_3:
	s_or_b64 exec, exec, s[6:7]
	s_waitcnt vmcnt(0)
	v_readfirstlane_b32 s6, v2
	v_mov_b32_e32 v2, 0
	s_nop 0
	v_add_u32_e32 v1, s6, v1
	ds_write_b32 v2, v1
.LBB2820_4:
	s_or_b64 exec, exec, s[4:5]
	v_mov_b32_e32 v5, 0
	s_load_dwordx4 s[4:7], s[0:1], 0x8
	s_load_dwordx2 s[28:29], s[0:1], 0x28
	s_load_dword s8, s[0:1], 0x78
	s_waitcnt lgkmcnt(0)
	s_barrier
	ds_read_b32 v1, v5
	s_waitcnt lgkmcnt(0)
	s_barrier
	global_load_dwordx2 v[2:3], v5, s[26:27]
	s_lshl_b64 s[0:1], s[6:7], 1
	s_add_u32 s4, s4, s0
	s_movk_i32 s0, 0x3c00
	v_mul_lo_u32 v4, v1, s0
	s_mul_i32 s0, s8, 0x3c00
	s_addc_u32 s5, s5, s1
	s_add_i32 s1, s0, s6
	v_mov_b32_e32 v7, s3
	s_add_i32 s3, s8, -1
	s_sub_i32 s33, s2, s1
	s_add_u32 s0, s6, s0
	v_readfirstlane_b32 s36, v1
	s_addc_u32 s1, s7, 0
	s_cmp_eq_u32 s36, s3
	v_mov_b32_e32 v6, s2
	s_cselect_b64 s[22:23], -1, 0
	s_cmp_lg_u32 s36, s3
	v_cmp_lt_u64_e32 vcc, s[0:1], v[6:7]
	s_cselect_b64 s[0:1], -1, 0
	s_or_b64 s[0:1], vcc, s[0:1]
	v_lshlrev_b64 v[6:7], 1, v[4:5]
	v_lshl_add_u64 v[6:7], s[4:5], 0, v[6:7]
	s_mov_b64 s[2:3], -1
	s_and_b64 vcc, exec, s[0:1]
	v_lshlrev_b32_e32 v4, 1, v0
	s_cbranch_vccz .LBB2820_6
; %bb.5:
	v_lshl_add_u64 v[8:9], v[6:7], 0, v[4:5]
	v_add_co_u32_e32 v10, vcc, 0x1000, v8
	s_mov_b64 s[2:3], 0
	s_nop 0
	v_addc_co_u32_e32 v11, vcc, 0, v9, vcc
	flat_load_ushort v1, v[8:9]
	flat_load_ushort v5, v[8:9] offset:1024
	flat_load_ushort v14, v[8:9] offset:2048
	flat_load_ushort v15, v[8:9] offset:3072
	flat_load_ushort v16, v[10:11]
	flat_load_ushort v17, v[10:11] offset:1024
	flat_load_ushort v18, v[10:11] offset:2048
	flat_load_ushort v19, v[10:11] offset:3072
	v_add_co_u32_e32 v10, vcc, 0x2000, v8
	s_nop 1
	v_addc_co_u32_e32 v11, vcc, 0, v9, vcc
	v_add_co_u32_e32 v12, vcc, 0x3000, v8
	s_nop 1
	v_addc_co_u32_e32 v13, vcc, 0, v9, vcc
	flat_load_ushort v20, v[10:11]
	flat_load_ushort v21, v[10:11] offset:1024
	flat_load_ushort v22, v[10:11] offset:2048
	flat_load_ushort v23, v[10:11] offset:3072
	flat_load_ushort v24, v[12:13]
	flat_load_ushort v25, v[12:13] offset:1024
	flat_load_ushort v26, v[12:13] offset:2048
	flat_load_ushort v27, v[12:13] offset:3072
	v_add_co_u32_e32 v10, vcc, 0x4000, v8
	s_nop 1
	v_addc_co_u32_e32 v11, vcc, 0, v9, vcc
	v_add_co_u32_e32 v12, vcc, 0x5000, v8
	;; [unrolled: 14-line block ×3, first 2 shown]
	s_nop 1
	v_addc_co_u32_e32 v9, vcc, 0, v9, vcc
	flat_load_ushort v12, v[10:11]
	flat_load_ushort v13, v[10:11] offset:1024
	flat_load_ushort v36, v[10:11] offset:2048
	flat_load_ushort v37, v[10:11] offset:3072
	flat_load_ushort v38, v[8:9]
	flat_load_ushort v39, v[8:9] offset:1024
	s_waitcnt vmcnt(0) lgkmcnt(0)
	ds_write_b16 v4, v1
	ds_write_b16 v4, v5 offset:1024
	ds_write_b16 v4, v14 offset:2048
	;; [unrolled: 1-line block ×29, first 2 shown]
	s_waitcnt lgkmcnt(0)
	s_barrier
.LBB2820_6:
	s_andn2_b64 vcc, exec, s[2:3]
	s_addk_i32 s33, 0x3c00
	s_cbranch_vccnz .LBB2820_68
; %bb.7:
	v_cmp_gt_u32_e32 vcc, s33, v0
                                        ; implicit-def: $vgpr1
	s_and_saveexec_b64 s[2:3], vcc
	s_cbranch_execz .LBB2820_9
; %bb.8:
	v_mov_b32_e32 v5, 0
	v_lshl_add_u64 v[8:9], v[6:7], 0, v[4:5]
	flat_load_ushort v1, v[8:9]
.LBB2820_9:
	s_or_b64 exec, exec, s[2:3]
	v_or_b32_e32 v5, 0x200, v0
	v_cmp_gt_u32_e32 vcc, s33, v5
                                        ; implicit-def: $vgpr8
	s_and_saveexec_b64 s[2:3], vcc
	s_cbranch_execz .LBB2820_11
; %bb.10:
	v_mov_b32_e32 v5, 0
	v_lshl_add_u64 v[8:9], v[6:7], 0, v[4:5]
	flat_load_ushort v8, v[8:9] offset:1024
.LBB2820_11:
	s_or_b64 exec, exec, s[2:3]
	v_or_b32_e32 v5, 0x400, v0
	v_cmp_gt_u32_e32 vcc, s33, v5
                                        ; implicit-def: $vgpr9
	s_and_saveexec_b64 s[2:3], vcc
	s_cbranch_execz .LBB2820_13
; %bb.12:
	v_mov_b32_e32 v5, 0
	v_lshl_add_u64 v[10:11], v[6:7], 0, v[4:5]
	flat_load_ushort v9, v[10:11] offset:2048
.LBB2820_13:
	s_or_b64 exec, exec, s[2:3]
	v_or_b32_e32 v5, 0x600, v0
	v_cmp_gt_u32_e32 vcc, s33, v5
                                        ; implicit-def: $vgpr5
	s_and_saveexec_b64 s[2:3], vcc
	s_cbranch_execz .LBB2820_15
; %bb.14:
	v_mov_b32_e32 v5, 0
	v_lshl_add_u64 v[10:11], v[6:7], 0, v[4:5]
	flat_load_ushort v5, v[10:11] offset:3072
.LBB2820_15:
	s_or_b64 exec, exec, s[2:3]
	v_or_b32_e32 v11, 0x800, v0
	v_cmp_gt_u32_e32 vcc, s33, v11
                                        ; implicit-def: $vgpr10
	s_and_saveexec_b64 s[2:3], vcc
	s_cbranch_execz .LBB2820_17
; %bb.16:
	v_lshlrev_b32_e32 v10, 1, v11
	v_mov_b32_e32 v11, 0
	v_lshl_add_u64 v[10:11], v[6:7], 0, v[10:11]
	flat_load_ushort v10, v[10:11]
.LBB2820_17:
	s_or_b64 exec, exec, s[2:3]
	v_or_b32_e32 v12, 0xa00, v0
	v_cmp_gt_u32_e32 vcc, s33, v12
                                        ; implicit-def: $vgpr11
	s_and_saveexec_b64 s[2:3], vcc
	s_cbranch_execz .LBB2820_19
; %bb.18:
	v_lshlrev_b32_e32 v12, 1, v12
	v_mov_b32_e32 v13, 0
	v_lshl_add_u64 v[12:13], v[6:7], 0, v[12:13]
	flat_load_ushort v11, v[12:13]
.LBB2820_19:
	s_or_b64 exec, exec, s[2:3]
	v_or_b32_e32 v13, 0xc00, v0
	v_cmp_gt_u32_e32 vcc, s33, v13
                                        ; implicit-def: $vgpr12
	s_and_saveexec_b64 s[2:3], vcc
	s_cbranch_execz .LBB2820_21
; %bb.20:
	v_lshlrev_b32_e32 v12, 1, v13
	v_mov_b32_e32 v13, 0
	v_lshl_add_u64 v[12:13], v[6:7], 0, v[12:13]
	flat_load_ushort v12, v[12:13]
.LBB2820_21:
	s_or_b64 exec, exec, s[2:3]
	v_or_b32_e32 v14, 0xe00, v0
	v_cmp_gt_u32_e32 vcc, s33, v14
                                        ; implicit-def: $vgpr13
	s_and_saveexec_b64 s[2:3], vcc
	s_cbranch_execz .LBB2820_23
; %bb.22:
	v_lshlrev_b32_e32 v14, 1, v14
	v_mov_b32_e32 v15, 0
	v_lshl_add_u64 v[14:15], v[6:7], 0, v[14:15]
	flat_load_ushort v13, v[14:15]
.LBB2820_23:
	s_or_b64 exec, exec, s[2:3]
	v_or_b32_e32 v15, 0x1000, v0
	v_cmp_gt_u32_e32 vcc, s33, v15
                                        ; implicit-def: $vgpr14
	s_and_saveexec_b64 s[2:3], vcc
	s_cbranch_execz .LBB2820_25
; %bb.24:
	v_lshlrev_b32_e32 v14, 1, v15
	v_mov_b32_e32 v15, 0
	v_lshl_add_u64 v[14:15], v[6:7], 0, v[14:15]
	flat_load_ushort v14, v[14:15]
.LBB2820_25:
	s_or_b64 exec, exec, s[2:3]
	v_or_b32_e32 v16, 0x1200, v0
	v_cmp_gt_u32_e32 vcc, s33, v16
                                        ; implicit-def: $vgpr15
	s_and_saveexec_b64 s[2:3], vcc
	s_cbranch_execz .LBB2820_27
; %bb.26:
	v_lshlrev_b32_e32 v16, 1, v16
	v_mov_b32_e32 v17, 0
	v_lshl_add_u64 v[16:17], v[6:7], 0, v[16:17]
	flat_load_ushort v15, v[16:17]
.LBB2820_27:
	s_or_b64 exec, exec, s[2:3]
	v_or_b32_e32 v17, 0x1400, v0
	v_cmp_gt_u32_e32 vcc, s33, v17
                                        ; implicit-def: $vgpr16
	s_and_saveexec_b64 s[2:3], vcc
	s_cbranch_execz .LBB2820_29
; %bb.28:
	v_lshlrev_b32_e32 v16, 1, v17
	v_mov_b32_e32 v17, 0
	v_lshl_add_u64 v[16:17], v[6:7], 0, v[16:17]
	flat_load_ushort v16, v[16:17]
.LBB2820_29:
	s_or_b64 exec, exec, s[2:3]
	v_or_b32_e32 v18, 0x1600, v0
	v_cmp_gt_u32_e32 vcc, s33, v18
                                        ; implicit-def: $vgpr17
	s_and_saveexec_b64 s[2:3], vcc
	s_cbranch_execz .LBB2820_31
; %bb.30:
	v_lshlrev_b32_e32 v18, 1, v18
	v_mov_b32_e32 v19, 0
	v_lshl_add_u64 v[18:19], v[6:7], 0, v[18:19]
	flat_load_ushort v17, v[18:19]
.LBB2820_31:
	s_or_b64 exec, exec, s[2:3]
	v_or_b32_e32 v19, 0x1800, v0
	v_cmp_gt_u32_e32 vcc, s33, v19
                                        ; implicit-def: $vgpr18
	s_and_saveexec_b64 s[2:3], vcc
	s_cbranch_execz .LBB2820_33
; %bb.32:
	v_lshlrev_b32_e32 v18, 1, v19
	v_mov_b32_e32 v19, 0
	v_lshl_add_u64 v[18:19], v[6:7], 0, v[18:19]
	flat_load_ushort v18, v[18:19]
.LBB2820_33:
	s_or_b64 exec, exec, s[2:3]
	v_or_b32_e32 v20, 0x1a00, v0
	v_cmp_gt_u32_e32 vcc, s33, v20
                                        ; implicit-def: $vgpr19
	s_and_saveexec_b64 s[2:3], vcc
	s_cbranch_execz .LBB2820_35
; %bb.34:
	v_lshlrev_b32_e32 v20, 1, v20
	v_mov_b32_e32 v21, 0
	v_lshl_add_u64 v[20:21], v[6:7], 0, v[20:21]
	flat_load_ushort v19, v[20:21]
.LBB2820_35:
	s_or_b64 exec, exec, s[2:3]
	v_or_b32_e32 v21, 0x1c00, v0
	v_cmp_gt_u32_e32 vcc, s33, v21
                                        ; implicit-def: $vgpr20
	s_and_saveexec_b64 s[2:3], vcc
	s_cbranch_execz .LBB2820_37
; %bb.36:
	v_lshlrev_b32_e32 v20, 1, v21
	v_mov_b32_e32 v21, 0
	v_lshl_add_u64 v[20:21], v[6:7], 0, v[20:21]
	flat_load_ushort v20, v[20:21]
.LBB2820_37:
	s_or_b64 exec, exec, s[2:3]
	v_or_b32_e32 v22, 0x1e00, v0
	v_cmp_gt_u32_e32 vcc, s33, v22
                                        ; implicit-def: $vgpr21
	s_and_saveexec_b64 s[2:3], vcc
	s_cbranch_execz .LBB2820_39
; %bb.38:
	v_lshlrev_b32_e32 v22, 1, v22
	v_mov_b32_e32 v23, 0
	v_lshl_add_u64 v[22:23], v[6:7], 0, v[22:23]
	flat_load_ushort v21, v[22:23]
.LBB2820_39:
	s_or_b64 exec, exec, s[2:3]
	v_or_b32_e32 v23, 0x2000, v0
	v_cmp_gt_u32_e32 vcc, s33, v23
                                        ; implicit-def: $vgpr22
	s_and_saveexec_b64 s[2:3], vcc
	s_cbranch_execz .LBB2820_41
; %bb.40:
	v_lshlrev_b32_e32 v22, 1, v23
	v_mov_b32_e32 v23, 0
	v_lshl_add_u64 v[22:23], v[6:7], 0, v[22:23]
	flat_load_ushort v22, v[22:23]
.LBB2820_41:
	s_or_b64 exec, exec, s[2:3]
	v_or_b32_e32 v24, 0x2200, v0
	v_cmp_gt_u32_e32 vcc, s33, v24
                                        ; implicit-def: $vgpr23
	s_and_saveexec_b64 s[2:3], vcc
	s_cbranch_execz .LBB2820_43
; %bb.42:
	v_lshlrev_b32_e32 v24, 1, v24
	v_mov_b32_e32 v25, 0
	v_lshl_add_u64 v[24:25], v[6:7], 0, v[24:25]
	flat_load_ushort v23, v[24:25]
.LBB2820_43:
	s_or_b64 exec, exec, s[2:3]
	v_or_b32_e32 v25, 0x2400, v0
	v_cmp_gt_u32_e32 vcc, s33, v25
                                        ; implicit-def: $vgpr24
	s_and_saveexec_b64 s[2:3], vcc
	s_cbranch_execz .LBB2820_45
; %bb.44:
	v_lshlrev_b32_e32 v24, 1, v25
	v_mov_b32_e32 v25, 0
	v_lshl_add_u64 v[24:25], v[6:7], 0, v[24:25]
	flat_load_ushort v24, v[24:25]
.LBB2820_45:
	s_or_b64 exec, exec, s[2:3]
	v_or_b32_e32 v26, 0x2600, v0
	v_cmp_gt_u32_e32 vcc, s33, v26
                                        ; implicit-def: $vgpr25
	s_and_saveexec_b64 s[2:3], vcc
	s_cbranch_execz .LBB2820_47
; %bb.46:
	v_lshlrev_b32_e32 v26, 1, v26
	v_mov_b32_e32 v27, 0
	v_lshl_add_u64 v[26:27], v[6:7], 0, v[26:27]
	flat_load_ushort v25, v[26:27]
.LBB2820_47:
	s_or_b64 exec, exec, s[2:3]
	v_or_b32_e32 v27, 0x2800, v0
	v_cmp_gt_u32_e32 vcc, s33, v27
                                        ; implicit-def: $vgpr26
	s_and_saveexec_b64 s[2:3], vcc
	s_cbranch_execz .LBB2820_49
; %bb.48:
	v_lshlrev_b32_e32 v26, 1, v27
	v_mov_b32_e32 v27, 0
	v_lshl_add_u64 v[26:27], v[6:7], 0, v[26:27]
	flat_load_ushort v26, v[26:27]
.LBB2820_49:
	s_or_b64 exec, exec, s[2:3]
	v_or_b32_e32 v28, 0x2a00, v0
	v_cmp_gt_u32_e32 vcc, s33, v28
                                        ; implicit-def: $vgpr27
	s_and_saveexec_b64 s[2:3], vcc
	s_cbranch_execz .LBB2820_51
; %bb.50:
	v_lshlrev_b32_e32 v28, 1, v28
	v_mov_b32_e32 v29, 0
	v_lshl_add_u64 v[28:29], v[6:7], 0, v[28:29]
	flat_load_ushort v27, v[28:29]
.LBB2820_51:
	s_or_b64 exec, exec, s[2:3]
	v_or_b32_e32 v29, 0x2c00, v0
	v_cmp_gt_u32_e32 vcc, s33, v29
                                        ; implicit-def: $vgpr28
	s_and_saveexec_b64 s[2:3], vcc
	s_cbranch_execz .LBB2820_53
; %bb.52:
	v_lshlrev_b32_e32 v28, 1, v29
	v_mov_b32_e32 v29, 0
	v_lshl_add_u64 v[28:29], v[6:7], 0, v[28:29]
	flat_load_ushort v28, v[28:29]
.LBB2820_53:
	s_or_b64 exec, exec, s[2:3]
	v_or_b32_e32 v30, 0x2e00, v0
	v_cmp_gt_u32_e32 vcc, s33, v30
                                        ; implicit-def: $vgpr29
	s_and_saveexec_b64 s[2:3], vcc
	s_cbranch_execz .LBB2820_55
; %bb.54:
	v_lshlrev_b32_e32 v30, 1, v30
	v_mov_b32_e32 v31, 0
	v_lshl_add_u64 v[30:31], v[6:7], 0, v[30:31]
	flat_load_ushort v29, v[30:31]
.LBB2820_55:
	s_or_b64 exec, exec, s[2:3]
	v_or_b32_e32 v31, 0x3000, v0
	v_cmp_gt_u32_e32 vcc, s33, v31
                                        ; implicit-def: $vgpr30
	s_and_saveexec_b64 s[2:3], vcc
	s_cbranch_execz .LBB2820_57
; %bb.56:
	v_lshlrev_b32_e32 v30, 1, v31
	v_mov_b32_e32 v31, 0
	v_lshl_add_u64 v[30:31], v[6:7], 0, v[30:31]
	flat_load_ushort v30, v[30:31]
.LBB2820_57:
	s_or_b64 exec, exec, s[2:3]
	v_or_b32_e32 v32, 0x3200, v0
	v_cmp_gt_u32_e32 vcc, s33, v32
                                        ; implicit-def: $vgpr31
	s_and_saveexec_b64 s[2:3], vcc
	s_cbranch_execz .LBB2820_59
; %bb.58:
	v_lshlrev_b32_e32 v32, 1, v32
	v_mov_b32_e32 v33, 0
	v_lshl_add_u64 v[32:33], v[6:7], 0, v[32:33]
	flat_load_ushort v31, v[32:33]
.LBB2820_59:
	s_or_b64 exec, exec, s[2:3]
	v_or_b32_e32 v33, 0x3400, v0
	v_cmp_gt_u32_e32 vcc, s33, v33
                                        ; implicit-def: $vgpr32
	s_and_saveexec_b64 s[2:3], vcc
	s_cbranch_execz .LBB2820_61
; %bb.60:
	v_lshlrev_b32_e32 v32, 1, v33
	v_mov_b32_e32 v33, 0
	v_lshl_add_u64 v[32:33], v[6:7], 0, v[32:33]
	flat_load_ushort v32, v[32:33]
.LBB2820_61:
	s_or_b64 exec, exec, s[2:3]
	v_or_b32_e32 v34, 0x3600, v0
	v_cmp_gt_u32_e32 vcc, s33, v34
                                        ; implicit-def: $vgpr33
	s_and_saveexec_b64 s[2:3], vcc
	s_cbranch_execz .LBB2820_63
; %bb.62:
	v_lshlrev_b32_e32 v34, 1, v34
	v_mov_b32_e32 v35, 0
	v_lshl_add_u64 v[34:35], v[6:7], 0, v[34:35]
	flat_load_ushort v33, v[34:35]
.LBB2820_63:
	s_or_b64 exec, exec, s[2:3]
	v_or_b32_e32 v35, 0x3800, v0
	v_cmp_gt_u32_e32 vcc, s33, v35
                                        ; implicit-def: $vgpr34
	s_and_saveexec_b64 s[2:3], vcc
	s_cbranch_execz .LBB2820_65
; %bb.64:
	v_lshlrev_b32_e32 v34, 1, v35
	v_mov_b32_e32 v35, 0
	v_lshl_add_u64 v[34:35], v[6:7], 0, v[34:35]
	flat_load_ushort v34, v[34:35]
.LBB2820_65:
	s_or_b64 exec, exec, s[2:3]
	v_or_b32_e32 v36, 0x3a00, v0
	v_cmp_gt_u32_e32 vcc, s33, v36
                                        ; implicit-def: $vgpr35
	s_and_saveexec_b64 s[2:3], vcc
	s_cbranch_execz .LBB2820_67
; %bb.66:
	v_lshlrev_b32_e32 v36, 1, v36
	v_mov_b32_e32 v37, 0
	v_lshl_add_u64 v[6:7], v[6:7], 0, v[36:37]
	flat_load_ushort v35, v[6:7]
.LBB2820_67:
	s_or_b64 exec, exec, s[2:3]
	s_waitcnt vmcnt(0) lgkmcnt(0)
	ds_write_b16 v4, v1
	ds_write_b16 v4, v8 offset:1024
	ds_write_b16 v4, v9 offset:2048
	ds_write_b16 v4, v5 offset:3072
	ds_write_b16 v4, v10 offset:4096
	ds_write_b16 v4, v11 offset:5120
	ds_write_b16 v4, v12 offset:6144
	ds_write_b16 v4, v13 offset:7168
	ds_write_b16 v4, v14 offset:8192
	ds_write_b16 v4, v15 offset:9216
	ds_write_b16 v4, v16 offset:10240
	ds_write_b16 v4, v17 offset:11264
	ds_write_b16 v4, v18 offset:12288
	ds_write_b16 v4, v19 offset:13312
	ds_write_b16 v4, v20 offset:14336
	ds_write_b16 v4, v21 offset:15360
	ds_write_b16 v4, v22 offset:16384
	ds_write_b16 v4, v23 offset:17408
	ds_write_b16 v4, v24 offset:18432
	ds_write_b16 v4, v25 offset:19456
	ds_write_b16 v4, v26 offset:20480
	ds_write_b16 v4, v27 offset:21504
	ds_write_b16 v4, v28 offset:22528
	ds_write_b16 v4, v29 offset:23552
	ds_write_b16 v4, v30 offset:24576
	ds_write_b16 v4, v31 offset:25600
	ds_write_b16 v4, v32 offset:26624
	ds_write_b16 v4, v33 offset:27648
	ds_write_b16 v4, v34 offset:28672
	ds_write_b16 v4, v35 offset:29696
	s_waitcnt lgkmcnt(0)
	s_barrier
.LBB2820_68:
	v_mul_u32_u24_e32 v42, 30, v0
	v_lshlrev_b32_e32 v6, 1, v42
	ds_read_b32 v5, v6 offset:56
	ds_read2_b32 v[10:11], v6 offset0:12 offset1:13
	ds_read2_b32 v[12:13], v6 offset0:10 offset1:11
	;; [unrolled: 1-line block ×3, first 2 shown]
	ds_read2_b32 v[22:23], v6 offset1:1
	ds_read2_b32 v[20:21], v6 offset0:2 offset1:3
	ds_read2_b32 v[18:19], v6 offset0:4 offset1:5
	;; [unrolled: 1-line block ×3, first 2 shown]
	s_waitcnt lgkmcnt(7)
	v_lshrrev_b32_e32 v1, 16, v5
	s_waitcnt lgkmcnt(6)
	v_lshrrev_b32_e32 v31, 16, v10
	v_lshrrev_b32_e32 v30, 16, v11
	s_waitcnt lgkmcnt(5)
	v_lshrrev_b32_e32 v33, 16, v12
	;; [unrolled: 3-line block ×6, first 2 shown]
	v_lshrrev_b32_e32 v36, 16, v17
	v_lshrrev_b32_e32 v35, 16, v14
	;; [unrolled: 1-line block ×3, first 2 shown]
	v_cndmask_b32_e64 v6, 0, 1, s[0:1]
	v_cmp_ne_u32_e64 s[2:3], 1, v6
	s_andn2_b64 vcc, exec, s[0:1]
	v_xor_b32_e32 v94, -1, v22
	v_xor_b32_e32 v93, -1, v44
	;; [unrolled: 1-line block ×30, first 2 shown]
	s_barrier
	s_cbranch_vccnz .LBB2820_70
; %bb.69:
	v_and_b32_e32 v74, 1, v94
	v_and_b32_e32 v73, 1, v93
	;; [unrolled: 1-line block ×30, first 2 shown]
	s_cbranch_execz .LBB2820_71
	s_branch .LBB2820_72
.LBB2820_70:
                                        ; implicit-def: $vgpr74
                                        ; implicit-def: $vgpr73
                                        ; implicit-def: $vgpr72
                                        ; implicit-def: $vgpr71
                                        ; implicit-def: $vgpr70
                                        ; implicit-def: $vgpr69
                                        ; implicit-def: $vgpr68
                                        ; implicit-def: $vgpr67
                                        ; implicit-def: $vgpr66
                                        ; implicit-def: $vgpr65
                                        ; implicit-def: $vgpr64
                                        ; implicit-def: $vgpr63
                                        ; implicit-def: $vgpr62
                                        ; implicit-def: $vgpr61
                                        ; implicit-def: $vgpr60
                                        ; implicit-def: $vgpr59
                                        ; implicit-def: $vgpr58
                                        ; implicit-def: $vgpr57
                                        ; implicit-def: $vgpr56
                                        ; implicit-def: $vgpr55
                                        ; implicit-def: $vgpr54
                                        ; implicit-def: $vgpr53
                                        ; implicit-def: $vgpr52
                                        ; implicit-def: $vgpr51
                                        ; implicit-def: $vgpr50
                                        ; implicit-def: $vgpr49
                                        ; implicit-def: $vgpr48
                                        ; implicit-def: $vgpr47
                                        ; implicit-def: $vgpr45
                                        ; implicit-def: $vgpr46
.LBB2820_71:
	v_or_b32_e32 v54, 1, v42
	v_cmp_gt_u32_e32 vcc, s33, v42
	v_add_u32_e32 v55, 2, v42
	v_add_u32_e32 v56, 3, v42
	v_cndmask_b32_e64 v64, 0, 1, vcc
	v_cmp_gt_u32_e32 vcc, s33, v54
	v_add_u32_e32 v57, 4, v42
	v_add_u32_e32 v58, 5, v42
	v_cndmask_b32_e64 v54, 0, 1, vcc
	v_cmp_gt_u32_e32 vcc, s33, v55
	v_and_b32_e32 v73, v54, v93
	v_add_u32_e32 v59, 6, v42
	v_cndmask_b32_e64 v54, 0, 1, vcc
	v_cmp_gt_u32_e32 vcc, s33, v56
	v_and_b32_e32 v72, v54, v92
	;; [unrolled: 4-line block ×9, first 2 shown]
	v_and_b32_e32 v74, v64, v94
	v_cndmask_b32_e64 v54, 0, 1, vcc
	v_cmp_gt_u32_e32 vcc, s33, v95
	v_and_b32_e32 v64, v54, v84
	v_add_u32_e32 v98, 14, v42
	v_cndmask_b32_e64 v54, 0, 1, vcc
	v_cmp_gt_u32_e32 vcc, s33, v96
	v_and_b32_e32 v63, v54, v83
	v_add_u32_e32 v99, 15, v42
	;; [unrolled: 4-line block ×16, first 2 shown]
	v_cndmask_b32_e64 v24, 0, 1, vcc
	v_cmp_gt_u32_e32 vcc, s33, v47
	v_and_b32_e32 v48, v24, v9
	s_nop 0
	v_cndmask_b32_e64 v9, 0, 1, vcc
	v_cmp_gt_u32_e32 vcc, s33, v45
	v_and_b32_e32 v47, v9, v8
	s_nop 0
	;; [unrolled: 4-line block ×3, first 2 shown]
	v_cndmask_b32_e64 v7, 0, 1, vcc
	v_and_b32_e32 v46, v7, v6
.LBB2820_72:
	v_and_b32_e32 v101, 0xff, v48
	v_and_b32_e32 v102, 0xff, v47
	v_add_u32_sdwa v6, v45, v46 dst_sel:DWORD dst_unused:UNUSED_PAD src0_sel:BYTE_0 src1_sel:BYTE_0
	v_and_b32_e32 v99, 0xff, v50
	v_and_b32_e32 v100, 0xff, v49
	v_add3_u32 v6, v6, v102, v101
	v_and_b32_e32 v97, 0xff, v52
	v_and_b32_e32 v98, 0xff, v51
	v_add3_u32 v6, v6, v100, v99
	;; [unrolled: 3-line block ×13, first 2 shown]
	v_add3_u32 v105, v6, v76, v75
	v_mbcnt_lo_u32_b32 v6, -1, 0
	v_mbcnt_hi_u32_b32 v103, -1, v6
	v_and_b32_e32 v6, 15, v103
	v_cmp_eq_u32_e64 s[16:17], 0, v6
	v_cmp_lt_u32_e64 s[14:15], 1, v6
	v_cmp_lt_u32_e64 s[12:13], 3, v6
	;; [unrolled: 1-line block ×3, first 2 shown]
	v_and_b32_e32 v6, 16, v103
	v_cmp_eq_u32_e64 s[8:9], 0, v6
	v_or_b32_e32 v6, 63, v0
	s_cmp_lg_u32 s36, 0
	v_cmp_lt_u32_e64 s[4:5], 31, v103
	v_lshrrev_b32_e32 v104, 6, v0
	v_cmp_eq_u32_e64 s[6:7], v6, v0
	s_cbranch_scc0 .LBB2820_103
; %bb.73:
	v_mov_b32_dpp v6, v105 row_shr:1 row_mask:0xf bank_mask:0xf
	v_cndmask_b32_e64 v6, v6, 0, s[16:17]
	v_add_u32_e32 v6, v6, v105
	s_nop 1
	v_mov_b32_dpp v7, v6 row_shr:2 row_mask:0xf bank_mask:0xf
	v_cndmask_b32_e64 v7, 0, v7, s[14:15]
	v_add_u32_e32 v6, v6, v7
	s_nop 1
	;; [unrolled: 4-line block ×4, first 2 shown]
	v_mov_b32_dpp v7, v6 row_bcast:15 row_mask:0xf bank_mask:0xf
	v_cndmask_b32_e64 v7, v7, 0, s[8:9]
	v_add_u32_e32 v6, v6, v7
	s_nop 1
	v_mov_b32_dpp v7, v6 row_bcast:31 row_mask:0xf bank_mask:0xf
	v_cndmask_b32_e64 v7, 0, v7, s[4:5]
	v_add_u32_e32 v6, v6, v7
	s_and_saveexec_b64 s[0:1], s[6:7]
	s_cbranch_execz .LBB2820_75
; %bb.74:
	v_lshlrev_b32_e32 v7, 2, v104
	ds_write_b32 v7, v6
.LBB2820_75:
	s_or_b64 exec, exec, s[0:1]
	v_cmp_gt_u32_e32 vcc, 8, v0
	s_waitcnt lgkmcnt(0)
	s_barrier
	s_and_saveexec_b64 s[0:1], vcc
	s_cbranch_execz .LBB2820_77
; %bb.76:
	v_lshlrev_b32_e32 v7, 2, v0
	ds_read_b32 v8, v7
	v_and_b32_e32 v9, 7, v103
	v_cmp_ne_u32_e32 vcc, 0, v9
	s_waitcnt lgkmcnt(0)
	v_mov_b32_dpp v24, v8 row_shr:1 row_mask:0xf bank_mask:0xf
	v_cndmask_b32_e32 v24, 0, v24, vcc
	v_add_u32_e32 v8, v24, v8
	v_cmp_lt_u32_e32 vcc, 1, v9
	s_nop 0
	v_mov_b32_dpp v24, v8 row_shr:2 row_mask:0xf bank_mask:0xf
	v_cndmask_b32_e32 v24, 0, v24, vcc
	v_add_u32_e32 v8, v8, v24
	v_cmp_lt_u32_e32 vcc, 3, v9
	s_nop 0
	v_mov_b32_dpp v24, v8 row_shr:4 row_mask:0xf bank_mask:0xf
	v_cndmask_b32_e32 v9, 0, v24, vcc
	v_add_u32_e32 v8, v8, v9
	ds_write_b32 v7, v8
.LBB2820_77:
	s_or_b64 exec, exec, s[0:1]
	v_cmp_gt_u32_e32 vcc, 64, v0
	v_cmp_lt_u32_e64 s[0:1], 63, v0
	s_waitcnt lgkmcnt(0)
	s_barrier
	s_waitcnt lgkmcnt(0)
                                        ; implicit-def: $vgpr106
	s_and_saveexec_b64 s[18:19], s[0:1]
	s_cbranch_execz .LBB2820_79
; %bb.78:
	v_lshl_add_u32 v7, v104, 2, -4
	ds_read_b32 v106, v7
	s_waitcnt lgkmcnt(0)
	v_add_u32_e32 v6, v106, v6
.LBB2820_79:
	s_or_b64 exec, exec, s[18:19]
	v_add_u32_e32 v7, -1, v103
	v_and_b32_e32 v8, 64, v103
	v_cmp_lt_i32_e64 s[0:1], v7, v8
	v_cmp_eq_u32_e64 s[18:19], 0, v103
	s_nop 0
	v_cndmask_b32_e64 v7, v7, v103, s[0:1]
	v_lshlrev_b32_e32 v7, 2, v7
	ds_bpermute_b32 v107, v7, v6
	s_and_saveexec_b64 s[0:1], vcc
	s_cbranch_execz .LBB2820_102
; %bb.80:
	v_mov_b32_e32 v29, 0
	ds_read_b32 v6, v29 offset:28
	s_and_saveexec_b64 s[26:27], s[18:19]
	s_cbranch_execz .LBB2820_82
; %bb.81:
	s_add_i32 s34, s36, 64
	s_mov_b32 s35, 0
	s_lshl_b64 s[34:35], s[34:35], 3
	s_add_u32 s34, s30, s34
	v_mov_b32_e32 v7, 1
	s_addc_u32 s35, s31, s35
	s_waitcnt lgkmcnt(0)
	global_store_dwordx2 v29, v[6:7], s[34:35] sc1
.LBB2820_82:
	s_or_b64 exec, exec, s[26:27]
	v_xad_u32 v8, v103, -1, s36
	v_add_u32_e32 v28, 64, v8
	v_lshl_add_u64 v[24:25], v[28:29], 3, s[30:31]
	global_load_dwordx2 v[26:27], v[24:25], off sc1
	s_waitcnt vmcnt(0)
	v_cmp_eq_u16_sdwa s[34:35], v27, v29 src0_sel:BYTE_0 src1_sel:DWORD
	s_and_saveexec_b64 s[26:27], s[34:35]
	s_cbranch_execz .LBB2820_88
; %bb.83:
	s_mov_b32 s37, 1
	s_mov_b64 s[34:35], 0
	v_mov_b32_e32 v7, 0
.LBB2820_84:                            ; =>This Loop Header: Depth=1
                                        ;     Child Loop BB2820_85 Depth 2
	s_max_u32 s38, s37, 1
.LBB2820_85:                            ;   Parent Loop BB2820_84 Depth=1
                                        ; =>  This Inner Loop Header: Depth=2
	s_add_i32 s38, s38, -1
	s_cmp_eq_u32 s38, 0
	s_sleep 1
	s_cbranch_scc0 .LBB2820_85
; %bb.86:                               ;   in Loop: Header=BB2820_84 Depth=1
	global_load_dwordx2 v[26:27], v[24:25], off sc1
	s_cmp_lt_u32 s37, 32
	s_cselect_b64 s[38:39], -1, 0
	s_cmp_lg_u64 s[38:39], 0
	s_addc_u32 s37, s37, 0
	s_waitcnt vmcnt(0)
	v_cmp_ne_u16_sdwa s[38:39], v27, v7 src0_sel:BYTE_0 src1_sel:DWORD
	s_or_b64 s[34:35], s[38:39], s[34:35]
	s_andn2_b64 exec, exec, s[34:35]
	s_cbranch_execnz .LBB2820_84
; %bb.87:
	s_or_b64 exec, exec, s[34:35]
.LBB2820_88:
	s_or_b64 exec, exec, s[26:27]
	v_and_b32_e32 v109, 63, v103
	v_mov_b32_e32 v108, 2
	v_cmp_ne_u32_e32 vcc, 63, v109
	v_cmp_eq_u16_sdwa s[26:27], v27, v108 src0_sel:BYTE_0 src1_sel:DWORD
	v_lshlrev_b64 v[24:25], v103, -1
	v_addc_co_u32_e32 v28, vcc, 0, v103, vcc
	v_and_b32_e32 v7, s27, v25
	v_lshlrev_b32_e32 v110, 2, v28
	v_or_b32_e32 v7, 0x80000000, v7
	ds_bpermute_b32 v28, v110, v26
	v_and_b32_e32 v9, s26, v24
	v_ffbl_b32_e32 v7, v7
	v_add_u32_e32 v7, 32, v7
	v_ffbl_b32_e32 v9, v9
	v_min_u32_e32 v7, v9, v7
	v_cmp_lt_u32_e32 vcc, v109, v7
	v_add_u32_e32 v112, 2, v109
	v_add_u32_e32 v114, 4, v109
	s_waitcnt lgkmcnt(0)
	v_cndmask_b32_e32 v9, 0, v28, vcc
	v_cmp_gt_u32_e32 vcc, 62, v109
	v_add_u32_e32 v9, v9, v26
	v_add_u32_e32 v116, 8, v109
	v_cndmask_b32_e64 v26, 0, 1, vcc
	v_lshlrev_b32_e32 v26, 1, v26
	v_add_lshl_u32 v111, v26, v103, 2
	ds_bpermute_b32 v26, v111, v9
	v_cmp_le_u32_e32 vcc, v112, v7
	v_add_u32_e32 v118, 16, v109
	v_add_u32_e32 v120, 32, v109
	s_waitcnt lgkmcnt(0)
	v_cndmask_b32_e32 v26, 0, v26, vcc
	v_cmp_gt_u32_e32 vcc, 60, v109
	v_add_u32_e32 v9, v9, v26
	s_nop 0
	v_cndmask_b32_e64 v26, 0, 1, vcc
	v_lshlrev_b32_e32 v26, 2, v26
	v_add_lshl_u32 v113, v26, v103, 2
	ds_bpermute_b32 v26, v113, v9
	v_cmp_le_u32_e32 vcc, v114, v7
	s_waitcnt lgkmcnt(0)
	s_nop 0
	v_cndmask_b32_e32 v26, 0, v26, vcc
	v_cmp_gt_u32_e32 vcc, 56, v109
	v_add_u32_e32 v9, v9, v26
	s_nop 0
	v_cndmask_b32_e64 v26, 0, 1, vcc
	v_lshlrev_b32_e32 v26, 3, v26
	v_add_lshl_u32 v115, v26, v103, 2
	ds_bpermute_b32 v26, v115, v9
	v_cmp_le_u32_e32 vcc, v116, v7
	s_waitcnt lgkmcnt(0)
	s_nop 0
	;; [unrolled: 11-line block ×4, first 2 shown]
	v_cndmask_b32_e32 v7, 0, v26, vcc
	v_add_u32_e32 v26, v9, v7
	v_mov_b32_e32 v9, 0
	s_branch .LBB2820_90
.LBB2820_89:                            ;   in Loop: Header=BB2820_90 Depth=1
	s_or_b64 exec, exec, s[26:27]
	v_cmp_eq_u16_sdwa s[26:27], v27, v108 src0_sel:BYTE_0 src1_sel:DWORD
	ds_bpermute_b32 v121, v110, v26
	v_subrev_u32_e32 v8, 64, v8
	v_and_b32_e32 v28, s27, v25
	v_or_b32_e32 v28, 0x80000000, v28
	v_and_b32_e32 v29, s26, v24
	v_ffbl_b32_e32 v28, v28
	v_add_u32_e32 v28, 32, v28
	v_ffbl_b32_e32 v29, v29
	v_min_u32_e32 v28, v29, v28
	v_cmp_lt_u32_e32 vcc, v109, v28
	s_waitcnt lgkmcnt(0)
	s_nop 0
	v_cndmask_b32_e32 v29, 0, v121, vcc
	v_add_u32_e32 v26, v29, v26
	ds_bpermute_b32 v29, v111, v26
	v_cmp_le_u32_e32 vcc, v112, v28
	s_waitcnt lgkmcnt(0)
	s_nop 0
	v_cndmask_b32_e32 v29, 0, v29, vcc
	v_add_u32_e32 v26, v26, v29
	ds_bpermute_b32 v29, v113, v26
	v_cmp_le_u32_e32 vcc, v114, v28
	;; [unrolled: 6-line block ×5, first 2 shown]
	s_waitcnt lgkmcnt(0)
	s_nop 0
	v_cndmask_b32_e32 v28, 0, v29, vcc
	v_add3_u32 v26, v28, v7, v26
.LBB2820_90:                            ; =>This Loop Header: Depth=1
                                        ;     Child Loop BB2820_93 Depth 2
                                        ;       Child Loop BB2820_94 Depth 3
	v_cmp_ne_u16_sdwa s[26:27], v27, v108 src0_sel:BYTE_0 src1_sel:DWORD
	s_nop 1
	v_cndmask_b32_e64 v7, 0, 1, s[26:27]
	;;#ASMSTART
	;;#ASMEND
	s_nop 0
	v_cmp_ne_u32_e32 vcc, 0, v7
	s_cmp_lg_u64 vcc, exec
	v_mov_b32_e32 v7, v26
	s_cbranch_scc1 .LBB2820_97
; %bb.91:                               ;   in Loop: Header=BB2820_90 Depth=1
	v_lshl_add_u64 v[28:29], v[8:9], 3, s[30:31]
	global_load_dwordx2 v[26:27], v[28:29], off sc1
	s_waitcnt vmcnt(0)
	v_cmp_eq_u16_sdwa s[34:35], v27, v9 src0_sel:BYTE_0 src1_sel:DWORD
	s_and_saveexec_b64 s[26:27], s[34:35]
	s_cbranch_execz .LBB2820_89
; %bb.92:                               ;   in Loop: Header=BB2820_90 Depth=1
	s_mov_b32 s37, 1
	s_mov_b64 s[34:35], 0
.LBB2820_93:                            ;   Parent Loop BB2820_90 Depth=1
                                        ; =>  This Loop Header: Depth=2
                                        ;       Child Loop BB2820_94 Depth 3
	s_max_u32 s38, s37, 1
.LBB2820_94:                            ;   Parent Loop BB2820_90 Depth=1
                                        ;     Parent Loop BB2820_93 Depth=2
                                        ; =>    This Inner Loop Header: Depth=3
	s_add_i32 s38, s38, -1
	s_cmp_eq_u32 s38, 0
	s_sleep 1
	s_cbranch_scc0 .LBB2820_94
; %bb.95:                               ;   in Loop: Header=BB2820_93 Depth=2
	global_load_dwordx2 v[26:27], v[28:29], off sc1
	s_cmp_lt_u32 s37, 32
	s_cselect_b64 s[38:39], -1, 0
	s_cmp_lg_u64 s[38:39], 0
	s_addc_u32 s37, s37, 0
	s_waitcnt vmcnt(0)
	v_cmp_ne_u16_sdwa s[38:39], v27, v9 src0_sel:BYTE_0 src1_sel:DWORD
	s_or_b64 s[34:35], s[38:39], s[34:35]
	s_andn2_b64 exec, exec, s[34:35]
	s_cbranch_execnz .LBB2820_93
; %bb.96:                               ;   in Loop: Header=BB2820_90 Depth=1
	s_or_b64 exec, exec, s[34:35]
	s_branch .LBB2820_89
.LBB2820_97:                            ;   in Loop: Header=BB2820_90 Depth=1
                                        ; implicit-def: $vgpr26
                                        ; implicit-def: $vgpr27
	s_cbranch_execz .LBB2820_90
; %bb.98:
	s_and_saveexec_b64 s[26:27], s[18:19]
	s_cbranch_execz .LBB2820_100
; %bb.99:
	s_add_i32 s34, s36, 64
	s_mov_b32 s35, 0
	s_lshl_b64 s[34:35], s[34:35], 3
	s_add_u32 s34, s30, s34
	v_add_u32_e32 v8, v7, v6
	v_mov_b32_e32 v9, 2
	s_addc_u32 s35, s31, s35
	v_mov_b32_e32 v24, 0
	global_store_dwordx2 v24, v[8:9], s[34:35] sc1
	ds_write_b64 v24, v[6:7] offset:30720
.LBB2820_100:
	s_or_b64 exec, exec, s[26:27]
	s_and_b64 exec, exec, s[20:21]
	s_cbranch_execz .LBB2820_102
; %bb.101:
	v_mov_b32_e32 v6, 0
	ds_write_b32 v6, v7 offset:28
.LBB2820_102:
	s_or_b64 exec, exec, s[0:1]
	v_mov_b32_e32 v6, 0
	s_waitcnt lgkmcnt(0)
	s_barrier
	ds_read_b32 v8, v6 offset:28
	s_waitcnt lgkmcnt(0)
	s_barrier
	ds_read_b64 v[6:7], v6 offset:30720
	v_cndmask_b32_e64 v9, v107, v106, s[18:19]
	v_cndmask_b32_e64 v9, v9, 0, s[20:21]
	v_add_u32_e32 v9, v8, v9
	s_waitcnt lgkmcnt(0)
	v_mov_b32_e32 v8, v7
	s_branch .LBB2820_113
.LBB2820_103:
                                        ; implicit-def: $vgpr8
                                        ; implicit-def: $vgpr6
                                        ; implicit-def: $vgpr9
	s_cbranch_execz .LBB2820_113
; %bb.104:
	s_nop 0
	v_mov_b32_dpp v6, v105 row_shr:1 row_mask:0xf bank_mask:0xf
	v_cndmask_b32_e64 v6, v6, 0, s[16:17]
	v_add_u32_e32 v6, v6, v105
	s_nop 1
	v_mov_b32_dpp v7, v6 row_shr:2 row_mask:0xf bank_mask:0xf
	v_cndmask_b32_e64 v7, 0, v7, s[14:15]
	v_add_u32_e32 v6, v6, v7
	;; [unrolled: 4-line block ×4, first 2 shown]
	s_nop 1
	v_mov_b32_dpp v7, v6 row_bcast:15 row_mask:0xf bank_mask:0xf
	v_cndmask_b32_e64 v7, v7, 0, s[8:9]
	v_add_u32_e32 v6, v6, v7
	s_nop 1
	v_mov_b32_dpp v7, v6 row_bcast:31 row_mask:0xf bank_mask:0xf
	v_cndmask_b32_e64 v7, 0, v7, s[4:5]
	v_add_u32_e32 v6, v6, v7
	s_and_saveexec_b64 s[0:1], s[6:7]
	s_cbranch_execz .LBB2820_106
; %bb.105:
	v_lshlrev_b32_e32 v7, 2, v104
	ds_write_b32 v7, v6
.LBB2820_106:
	s_or_b64 exec, exec, s[0:1]
	v_cmp_gt_u32_e32 vcc, 8, v0
	s_waitcnt lgkmcnt(0)
	s_barrier
	s_and_saveexec_b64 s[0:1], vcc
	s_cbranch_execz .LBB2820_108
; %bb.107:
	v_lshlrev_b32_e32 v7, 2, v0
	ds_read_b32 v8, v7
	v_and_b32_e32 v9, 7, v103
	v_cmp_ne_u32_e32 vcc, 0, v9
	s_waitcnt lgkmcnt(0)
	v_mov_b32_dpp v24, v8 row_shr:1 row_mask:0xf bank_mask:0xf
	v_cndmask_b32_e32 v24, 0, v24, vcc
	v_add_u32_e32 v8, v24, v8
	v_cmp_lt_u32_e32 vcc, 1, v9
	s_nop 0
	v_mov_b32_dpp v24, v8 row_shr:2 row_mask:0xf bank_mask:0xf
	v_cndmask_b32_e32 v24, 0, v24, vcc
	v_add_u32_e32 v8, v8, v24
	v_cmp_lt_u32_e32 vcc, 3, v9
	s_nop 0
	v_mov_b32_dpp v24, v8 row_shr:4 row_mask:0xf bank_mask:0xf
	v_cndmask_b32_e32 v9, 0, v24, vcc
	v_add_u32_e32 v8, v8, v9
	ds_write_b32 v7, v8
.LBB2820_108:
	s_or_b64 exec, exec, s[0:1]
	v_cmp_lt_u32_e32 vcc, 63, v0
	v_mov_b32_e32 v7, 0
	v_mov_b32_e32 v8, 0
	s_waitcnt lgkmcnt(0)
	s_barrier
	s_and_saveexec_b64 s[0:1], vcc
	s_cbranch_execz .LBB2820_110
; %bb.109:
	v_lshl_add_u32 v8, v104, 2, -4
	ds_read_b32 v8, v8
.LBB2820_110:
	s_or_b64 exec, exec, s[0:1]
	v_add_u32_e32 v9, -1, v103
	v_and_b32_e32 v24, 64, v103
	v_cmp_lt_i32_e32 vcc, v9, v24
	s_waitcnt lgkmcnt(0)
	v_add_u32_e32 v6, v8, v6
	v_cndmask_b32_e32 v9, v9, v103, vcc
	v_lshlrev_b32_e32 v9, 2, v9
	ds_bpermute_b32 v9, v9, v6
	ds_read_b32 v6, v7 offset:28
	s_and_saveexec_b64 s[0:1], s[20:21]
	s_cbranch_execz .LBB2820_112
; %bb.111:
	v_mov_b32_e32 v24, 0
	v_mov_b32_e32 v7, 2
	s_waitcnt lgkmcnt(0)
	global_store_dwordx2 v24, v[6:7], s[30:31] offset:512 sc1
.LBB2820_112:
	s_or_b64 exec, exec, s[0:1]
	v_cmp_eq_u32_e32 vcc, 0, v103
	s_waitcnt lgkmcnt(0)
	s_barrier
	v_cndmask_b32_e32 v7, v9, v8, vcc
	v_mov_b32_e32 v8, 0
	v_cndmask_b32_e64 v9, v7, 0, s[20:21]
.LBB2820_113:
	v_add_u32_e32 v7, v9, v75
	v_add_u32_e32 v24, v7, v76
	;; [unrolled: 1-line block ×22, first 2 shown]
	v_sub_u32_e32 v9, v9, v8
	v_and_b32_e32 v74, 1, v74
	v_add_u32_e32 v89, v88, v96
	v_sub_u32_e32 v96, v42, v9
	v_cmp_eq_u32_e32 vcc, 1, v74
	v_sub_u32_e32 v7, v7, v8
	v_add_u32_e32 v90, v89, v97
	v_cndmask_b32_e32 v9, v96, v9, vcc
	v_lshlrev_b32_e32 v9, 1, v9
	ds_write_b16 v9, v22
	v_sub_u32_e32 v9, v42, v7
	v_and_b32_e32 v22, 1, v73
	v_add_u32_e32 v9, 1, v9
	v_cmp_eq_u32_e32 vcc, 1, v22
	v_and_b32_e32 v22, 1, v72
	v_add_u32_e32 v91, v90, v98
	v_cndmask_b32_e32 v7, v9, v7, vcc
	v_lshlrev_b32_e32 v7, 1, v7
	ds_write_b16 v7, v44
	v_sub_u32_e32 v7, v24, v8
	v_sub_u32_e32 v9, v42, v7
	v_add_u32_e32 v9, 2, v9
	v_cmp_eq_u32_e32 vcc, 1, v22
	v_and_b32_e32 v22, 1, v71
	v_add_u32_e32 v92, v91, v99
	v_cndmask_b32_e32 v7, v9, v7, vcc
	v_lshlrev_b32_e32 v7, 1, v7
	ds_write_b16 v7, v23
	v_sub_u32_e32 v7, v25, v8
	v_sub_u32_e32 v9, v42, v7
	;; [unrolled: 9-line block ×3, first 2 shown]
	v_add_u32_e32 v9, 4, v9
	v_cmp_eq_u32_e32 vcc, 1, v22
	v_add_u32_e32 v94, v93, v101
	v_add_u32_e32 v95, v94, v102
	v_cndmask_b32_e32 v7, v9, v7, vcc
	v_lshlrev_b32_e32 v7, 1, v7
	ds_write_b16 v7, v20
	v_sub_u32_e32 v7, v27, v8
	v_sub_u32_e32 v9, v42, v7
	v_and_b32_e32 v20, 1, v69
	v_add_u32_e32 v9, 5, v9
	v_cmp_eq_u32_e32 vcc, 1, v20
	v_and_b32_e32 v20, 1, v68
	v_or_b32_e32 v43, 0x1a00, v0
	v_cndmask_b32_e32 v7, v9, v7, vcc
	v_lshlrev_b32_e32 v7, 1, v7
	ds_write_b16 v7, v41
	v_sub_u32_e32 v7, v28, v8
	v_sub_u32_e32 v9, v42, v7
	v_add_u32_e32 v9, 6, v9
	v_cmp_eq_u32_e32 vcc, 1, v20
	v_and_b32_e32 v20, 1, v67
	v_or_b32_e32 v67, 0x200, v0
	v_cndmask_b32_e32 v7, v9, v7, vcc
	v_lshlrev_b32_e32 v7, 1, v7
	ds_write_b16 v7, v21
	v_sub_u32_e32 v7, v29, v8
	v_sub_u32_e32 v9, v42, v7
	v_add_u32_e32 v9, 7, v9
	v_cmp_eq_u32_e32 vcc, 1, v20
	v_and_b32_e32 v20, 1, v66
	v_or_b32_e32 v41, 0x1c00, v0
	v_cndmask_b32_e32 v7, v9, v7, vcc
	v_lshlrev_b32_e32 v7, 1, v7
	ds_write_b16 v7, v40
	v_sub_u32_e32 v7, v75, v8
	v_sub_u32_e32 v9, v42, v7
	v_add_u32_e32 v9, 8, v9
	v_cmp_eq_u32_e32 vcc, 1, v20
	v_or_b32_e32 v29, 0x2800, v0
	v_or_b32_e32 v27, 0x2a00, v0
	v_cndmask_b32_e32 v7, v9, v7, vcc
	v_lshlrev_b32_e32 v7, 1, v7
	ds_write_b16 v7, v18
	v_sub_u32_e32 v7, v76, v8
	v_sub_u32_e32 v9, v42, v7
	v_and_b32_e32 v18, 1, v65
	v_add_u32_e32 v9, 9, v9
	v_cmp_eq_u32_e32 vcc, 1, v18
	v_and_b32_e32 v18, 1, v64
	v_or_b32_e32 v65, 0x400, v0
	v_cndmask_b32_e32 v7, v9, v7, vcc
	v_lshlrev_b32_e32 v7, 1, v7
	ds_write_b16 v7, v39
	v_sub_u32_e32 v7, v77, v8
	v_sub_u32_e32 v9, v42, v7
	v_add_u32_e32 v9, 10, v9
	v_cmp_eq_u32_e32 vcc, 1, v18
	v_and_b32_e32 v18, 1, v63
	v_or_b32_e32 v63, 0x600, v0
	v_cndmask_b32_e32 v7, v9, v7, vcc
	v_lshlrev_b32_e32 v7, 1, v7
	ds_write_b16 v7, v19
	v_sub_u32_e32 v7, v78, v8
	v_sub_u32_e32 v9, v42, v7
	v_add_u32_e32 v9, 11, v9
	v_cmp_eq_u32_e32 vcc, 1, v18
	v_and_b32_e32 v18, 1, v62
	v_or_b32_e32 v25, 0x2c00, v0
	v_cndmask_b32_e32 v7, v9, v7, vcc
	v_lshlrev_b32_e32 v7, 1, v7
	ds_write_b16 v7, v38
	v_sub_u32_e32 v7, v79, v8
	v_sub_u32_e32 v9, v42, v7
	v_add_u32_e32 v9, 12, v9
	v_cmp_eq_u32_e32 vcc, 1, v18
	v_or_b32_e32 v38, 0x1e00, v0
	v_or_b32_e32 v23, 0x2e00, v0
	;; [unrolled: 37-line block ×4, first 2 shown]
	v_cndmask_b32_e32 v7, v9, v7, vcc
	v_lshlrev_b32_e32 v7, 1, v7
	ds_write_b16 v7, v12
	v_sub_u32_e32 v7, v88, v8
	v_sub_u32_e32 v9, v42, v7
	v_and_b32_e32 v12, 1, v53
	v_add_u32_e32 v9, 21, v9
	v_cmp_eq_u32_e32 vcc, 1, v12
	v_and_b32_e32 v12, 1, v52
	v_or_b32_e32 v53, 0x1000, v0
	v_cndmask_b32_e32 v7, v9, v7, vcc
	v_lshlrev_b32_e32 v7, 1, v7
	ds_write_b16 v7, v33
	v_sub_u32_e32 v7, v89, v8
	v_sub_u32_e32 v9, v42, v7
	v_add_u32_e32 v9, 22, v9
	v_cmp_eq_u32_e32 vcc, 1, v12
	v_and_b32_e32 v12, 1, v51
	v_or_b32_e32 v51, 0x1200, v0
	v_cndmask_b32_e32 v7, v9, v7, vcc
	v_lshlrev_b32_e32 v7, 1, v7
	ds_write_b16 v7, v13
	v_sub_u32_e32 v7, v90, v8
	v_sub_u32_e32 v9, v42, v7
	;; [unrolled: 9-line block ×3, first 2 shown]
	v_add_u32_e32 v9, 24, v9
	v_cmp_eq_u32_e32 vcc, 1, v12
	v_or_b32_e32 v14, 0x3800, v0
	s_waitcnt vmcnt(0)
	v_lshlrev_b64 v[12:13], 1, v[2:3]
	v_cndmask_b32_e32 v7, v9, v7, vcc
	v_lshlrev_b32_e32 v7, 1, v7
	ds_write_b16 v7, v10
	v_sub_u32_e32 v7, v92, v8
	v_sub_u32_e32 v9, v42, v7
	v_and_b32_e32 v10, 1, v49
	v_add_u32_e32 v9, 25, v9
	v_cmp_eq_u32_e32 vcc, 1, v10
	v_and_b32_e32 v10, 1, v48
	v_or_b32_e32 v49, 0x1400, v0
	v_cndmask_b32_e32 v7, v9, v7, vcc
	v_lshlrev_b32_e32 v7, 1, v7
	ds_write_b16 v7, v31
	v_sub_u32_e32 v7, v93, v8
	v_sub_u32_e32 v9, v42, v7
	v_add_u32_e32 v9, 26, v9
	v_cmp_eq_u32_e32 vcc, 1, v10
	v_and_b32_e32 v10, 1, v47
	v_or_b32_e32 v47, 0x1600, v0
	v_cndmask_b32_e32 v7, v9, v7, vcc
	v_lshlrev_b32_e32 v7, 1, v7
	ds_write_b16 v7, v11
	v_sub_u32_e32 v7, v94, v8
	v_sub_u32_e32 v9, v42, v7
	;; [unrolled: 9-line block ×3, first 2 shown]
	v_add_u32_e32 v9, 28, v9
	v_cmp_eq_u32_e32 vcc, 1, v10
	s_nop 1
	v_cndmask_b32_e32 v7, v9, v7, vcc
	v_lshlrev_b32_e32 v7, 1, v7
	ds_write_b16 v7, v5
	v_sub_u32_sdwa v5, v45, v8 dst_sel:DWORD dst_unused:UNUSED_PAD src0_sel:BYTE_0 src1_sel:DWORD
	v_add_u32_e32 v5, v95, v5
	v_sub_u32_e32 v7, v42, v5
	v_and_b32_e32 v9, 1, v46
	v_add_u32_e32 v7, 29, v7
	v_cmp_eq_u32_e32 vcc, 1, v9
	v_or_b32_e32 v45, 0x1800, v0
	s_nop 0
	v_cndmask_b32_e32 v5, v7, v5, vcc
	v_lshlrev_b32_e32 v5, 1, v5
	ds_write_b16 v5, v1
	s_waitcnt lgkmcnt(0)
	s_barrier
	ds_read_u16 v69, v4
	ds_read_u16 v68, v4 offset:1024
	ds_read_u16 v66, v4 offset:2048
	;; [unrolled: 1-line block ×29, first 2 shown]
	v_or_b32_e32 v5, 0x3a00, v0
	s_and_b64 vcc, exec, s[2:3]
	s_cbranch_vccnz .LBB2820_145
; %bb.114:
	v_mov_b32_e32 v9, 0
	v_lshl_add_u64 v[10:11], s[28:29], 0, v[12:13]
	v_lshlrev_b64 v[70:71], 1, v[8:9]
	v_lshl_add_u64 v[10:11], v[10:11], 0, v[70:71]
	v_cmp_lt_u32_e32 vcc, v0, v6
	s_and_saveexec_b64 s[0:1], vcc
	s_cbranch_execnz .LBB2820_182
; %bb.115:
	s_or_b64 exec, exec, s[0:1]
	v_cmp_lt_u32_e32 vcc, v67, v6
	s_and_saveexec_b64 s[0:1], vcc
	s_cbranch_execnz .LBB2820_183
.LBB2820_116:
	s_or_b64 exec, exec, s[0:1]
	v_cmp_lt_u32_e32 vcc, v65, v6
	s_and_saveexec_b64 s[0:1], vcc
	s_cbranch_execnz .LBB2820_184
.LBB2820_117:
	s_or_b64 exec, exec, s[0:1]
	v_cmp_lt_u32_e32 vcc, v63, v6
	s_and_saveexec_b64 s[0:1], vcc
	s_cbranch_execnz .LBB2820_185
.LBB2820_118:
	s_or_b64 exec, exec, s[0:1]
	v_cmp_lt_u32_e32 vcc, v61, v6
	s_and_saveexec_b64 s[0:1], vcc
	s_cbranch_execnz .LBB2820_186
.LBB2820_119:
	s_or_b64 exec, exec, s[0:1]
	v_cmp_lt_u32_e32 vcc, v59, v6
	s_and_saveexec_b64 s[0:1], vcc
	s_cbranch_execnz .LBB2820_187
.LBB2820_120:
	s_or_b64 exec, exec, s[0:1]
	v_cmp_lt_u32_e32 vcc, v57, v6
	s_and_saveexec_b64 s[0:1], vcc
	s_cbranch_execnz .LBB2820_188
.LBB2820_121:
	s_or_b64 exec, exec, s[0:1]
	v_cmp_lt_u32_e32 vcc, v54, v6
	s_and_saveexec_b64 s[0:1], vcc
	s_cbranch_execnz .LBB2820_189
.LBB2820_122:
	s_or_b64 exec, exec, s[0:1]
	v_cmp_lt_u32_e32 vcc, v53, v6
	s_and_saveexec_b64 s[0:1], vcc
	s_cbranch_execnz .LBB2820_190
.LBB2820_123:
	s_or_b64 exec, exec, s[0:1]
	v_cmp_lt_u32_e32 vcc, v51, v6
	s_and_saveexec_b64 s[0:1], vcc
	s_cbranch_execnz .LBB2820_191
.LBB2820_124:
	s_or_b64 exec, exec, s[0:1]
	v_cmp_lt_u32_e32 vcc, v49, v6
	s_and_saveexec_b64 s[0:1], vcc
	s_cbranch_execnz .LBB2820_192
.LBB2820_125:
	s_or_b64 exec, exec, s[0:1]
	v_cmp_lt_u32_e32 vcc, v47, v6
	s_and_saveexec_b64 s[0:1], vcc
	s_cbranch_execnz .LBB2820_193
.LBB2820_126:
	s_or_b64 exec, exec, s[0:1]
	v_cmp_lt_u32_e32 vcc, v45, v6
	s_and_saveexec_b64 s[0:1], vcc
	s_cbranch_execnz .LBB2820_194
.LBB2820_127:
	s_or_b64 exec, exec, s[0:1]
	v_cmp_lt_u32_e32 vcc, v43, v6
	s_and_saveexec_b64 s[0:1], vcc
	s_cbranch_execnz .LBB2820_195
.LBB2820_128:
	s_or_b64 exec, exec, s[0:1]
	v_cmp_lt_u32_e32 vcc, v41, v6
	s_and_saveexec_b64 s[0:1], vcc
	s_cbranch_execnz .LBB2820_196
.LBB2820_129:
	s_or_b64 exec, exec, s[0:1]
	v_cmp_lt_u32_e32 vcc, v38, v6
	s_and_saveexec_b64 s[0:1], vcc
	s_cbranch_execnz .LBB2820_197
.LBB2820_130:
	s_or_b64 exec, exec, s[0:1]
	v_cmp_lt_u32_e32 vcc, v37, v6
	s_and_saveexec_b64 s[0:1], vcc
	s_cbranch_execnz .LBB2820_198
.LBB2820_131:
	s_or_b64 exec, exec, s[0:1]
	v_cmp_lt_u32_e32 vcc, v35, v6
	s_and_saveexec_b64 s[0:1], vcc
	s_cbranch_execnz .LBB2820_199
.LBB2820_132:
	s_or_b64 exec, exec, s[0:1]
	v_cmp_lt_u32_e32 vcc, v33, v6
	s_and_saveexec_b64 s[0:1], vcc
	s_cbranch_execnz .LBB2820_200
.LBB2820_133:
	s_or_b64 exec, exec, s[0:1]
	v_cmp_lt_u32_e32 vcc, v31, v6
	s_and_saveexec_b64 s[0:1], vcc
	s_cbranch_execnz .LBB2820_201
.LBB2820_134:
	s_or_b64 exec, exec, s[0:1]
	v_cmp_lt_u32_e32 vcc, v29, v6
	s_and_saveexec_b64 s[0:1], vcc
	s_cbranch_execnz .LBB2820_202
.LBB2820_135:
	s_or_b64 exec, exec, s[0:1]
	v_cmp_lt_u32_e32 vcc, v27, v6
	s_and_saveexec_b64 s[0:1], vcc
	s_cbranch_execnz .LBB2820_203
.LBB2820_136:
	s_or_b64 exec, exec, s[0:1]
	v_cmp_lt_u32_e32 vcc, v25, v6
	s_and_saveexec_b64 s[0:1], vcc
	s_cbranch_execnz .LBB2820_204
.LBB2820_137:
	s_or_b64 exec, exec, s[0:1]
	v_cmp_lt_u32_e32 vcc, v23, v6
	s_and_saveexec_b64 s[0:1], vcc
	s_cbranch_execnz .LBB2820_205
.LBB2820_138:
	s_or_b64 exec, exec, s[0:1]
	v_cmp_lt_u32_e32 vcc, v21, v6
	s_and_saveexec_b64 s[0:1], vcc
	s_cbranch_execnz .LBB2820_206
.LBB2820_139:
	s_or_b64 exec, exec, s[0:1]
	v_cmp_lt_u32_e32 vcc, v19, v6
	s_and_saveexec_b64 s[0:1], vcc
	s_cbranch_execnz .LBB2820_207
.LBB2820_140:
	s_or_b64 exec, exec, s[0:1]
	v_cmp_lt_u32_e32 vcc, v18, v6
	s_and_saveexec_b64 s[0:1], vcc
	s_cbranch_execnz .LBB2820_208
.LBB2820_141:
	s_or_b64 exec, exec, s[0:1]
	v_cmp_lt_u32_e32 vcc, v16, v6
	s_and_saveexec_b64 s[0:1], vcc
	s_cbranch_execnz .LBB2820_209
.LBB2820_142:
	s_or_b64 exec, exec, s[0:1]
	v_cmp_lt_u32_e32 vcc, v14, v6
	s_and_saveexec_b64 s[0:1], vcc
	s_cbranch_execz .LBB2820_144
.LBB2820_143:
	v_lshlrev_b32_e32 v9, 1, v14
	v_readfirstlane_b32 s2, v10
	v_readfirstlane_b32 s3, v11
	s_waitcnt lgkmcnt(1)
	s_nop 3
	global_store_short v9, v7, s[2:3]
.LBB2820_144:
	s_or_b64 exec, exec, s[0:1]
	v_cmp_lt_u32_e64 s[0:1], v5, v6
	s_branch .LBB2820_177
.LBB2820_145:
	s_mov_b64 s[0:1], 0
                                        ; implicit-def: $vgpr10_vgpr11
	s_cbranch_execz .LBB2820_177
; %bb.146:
	v_mov_b32_e32 v9, 0
	v_min_u32_e32 v70, s33, v6
	v_lshl_add_u64 v[10:11], s[28:29], 0, v[12:13]
	v_lshlrev_b64 v[12:13], 1, v[8:9]
	v_lshl_add_u64 v[10:11], v[10:11], 0, v[12:13]
	v_cmp_gt_u32_e32 vcc, v70, v0
	s_and_saveexec_b64 s[0:1], vcc
	s_cbranch_execnz .LBB2820_210
; %bb.147:
	s_or_b64 exec, exec, s[0:1]
	v_cmp_lt_u32_e32 vcc, v67, v70
	s_and_saveexec_b64 s[0:1], vcc
	s_cbranch_execnz .LBB2820_211
.LBB2820_148:
	s_or_b64 exec, exec, s[0:1]
	v_cmp_lt_u32_e32 vcc, v65, v70
	s_and_saveexec_b64 s[0:1], vcc
	s_cbranch_execnz .LBB2820_212
.LBB2820_149:
	s_or_b64 exec, exec, s[0:1]
	v_cmp_lt_u32_e32 vcc, v63, v70
	s_and_saveexec_b64 s[0:1], vcc
	s_cbranch_execnz .LBB2820_213
.LBB2820_150:
	s_or_b64 exec, exec, s[0:1]
	v_cmp_lt_u32_e32 vcc, v61, v70
	s_and_saveexec_b64 s[0:1], vcc
	s_cbranch_execnz .LBB2820_214
.LBB2820_151:
	s_or_b64 exec, exec, s[0:1]
	v_cmp_lt_u32_e32 vcc, v59, v70
	s_and_saveexec_b64 s[0:1], vcc
	s_cbranch_execnz .LBB2820_215
.LBB2820_152:
	s_or_b64 exec, exec, s[0:1]
	v_cmp_lt_u32_e32 vcc, v57, v70
	s_and_saveexec_b64 s[0:1], vcc
	s_cbranch_execnz .LBB2820_216
.LBB2820_153:
	s_or_b64 exec, exec, s[0:1]
	v_cmp_lt_u32_e32 vcc, v54, v70
	s_and_saveexec_b64 s[0:1], vcc
	s_cbranch_execnz .LBB2820_217
.LBB2820_154:
	s_or_b64 exec, exec, s[0:1]
	v_cmp_lt_u32_e32 vcc, v53, v70
	s_and_saveexec_b64 s[0:1], vcc
	s_cbranch_execnz .LBB2820_218
.LBB2820_155:
	s_or_b64 exec, exec, s[0:1]
	v_cmp_lt_u32_e32 vcc, v51, v70
	s_and_saveexec_b64 s[0:1], vcc
	s_cbranch_execnz .LBB2820_219
.LBB2820_156:
	s_or_b64 exec, exec, s[0:1]
	v_cmp_lt_u32_e32 vcc, v49, v70
	s_and_saveexec_b64 s[0:1], vcc
	s_cbranch_execnz .LBB2820_220
.LBB2820_157:
	s_or_b64 exec, exec, s[0:1]
	v_cmp_lt_u32_e32 vcc, v47, v70
	s_and_saveexec_b64 s[0:1], vcc
	s_cbranch_execnz .LBB2820_221
.LBB2820_158:
	s_or_b64 exec, exec, s[0:1]
	v_cmp_lt_u32_e32 vcc, v45, v70
	s_and_saveexec_b64 s[0:1], vcc
	s_cbranch_execnz .LBB2820_222
.LBB2820_159:
	s_or_b64 exec, exec, s[0:1]
	v_cmp_lt_u32_e32 vcc, v43, v70
	s_and_saveexec_b64 s[0:1], vcc
	s_cbranch_execnz .LBB2820_223
.LBB2820_160:
	s_or_b64 exec, exec, s[0:1]
	v_cmp_lt_u32_e32 vcc, v41, v70
	s_and_saveexec_b64 s[0:1], vcc
	s_cbranch_execnz .LBB2820_224
.LBB2820_161:
	s_or_b64 exec, exec, s[0:1]
	v_cmp_lt_u32_e32 vcc, v38, v70
	s_and_saveexec_b64 s[0:1], vcc
	s_cbranch_execnz .LBB2820_225
.LBB2820_162:
	s_or_b64 exec, exec, s[0:1]
	v_cmp_lt_u32_e32 vcc, v37, v70
	s_and_saveexec_b64 s[0:1], vcc
	s_cbranch_execnz .LBB2820_226
.LBB2820_163:
	s_or_b64 exec, exec, s[0:1]
	v_cmp_lt_u32_e32 vcc, v35, v70
	s_and_saveexec_b64 s[0:1], vcc
	s_cbranch_execnz .LBB2820_227
.LBB2820_164:
	s_or_b64 exec, exec, s[0:1]
	v_cmp_lt_u32_e32 vcc, v33, v70
	s_and_saveexec_b64 s[0:1], vcc
	s_cbranch_execnz .LBB2820_228
.LBB2820_165:
	s_or_b64 exec, exec, s[0:1]
	v_cmp_lt_u32_e32 vcc, v31, v70
	s_and_saveexec_b64 s[0:1], vcc
	s_cbranch_execnz .LBB2820_229
.LBB2820_166:
	s_or_b64 exec, exec, s[0:1]
	v_cmp_lt_u32_e32 vcc, v29, v70
	s_and_saveexec_b64 s[0:1], vcc
	s_cbranch_execnz .LBB2820_230
.LBB2820_167:
	s_or_b64 exec, exec, s[0:1]
	v_cmp_lt_u32_e32 vcc, v27, v70
	s_and_saveexec_b64 s[0:1], vcc
	s_cbranch_execnz .LBB2820_231
.LBB2820_168:
	s_or_b64 exec, exec, s[0:1]
	v_cmp_lt_u32_e32 vcc, v25, v70
	s_and_saveexec_b64 s[0:1], vcc
	s_cbranch_execnz .LBB2820_232
.LBB2820_169:
	s_or_b64 exec, exec, s[0:1]
	v_cmp_lt_u32_e32 vcc, v23, v70
	s_and_saveexec_b64 s[0:1], vcc
	s_cbranch_execnz .LBB2820_233
.LBB2820_170:
	s_or_b64 exec, exec, s[0:1]
	v_cmp_lt_u32_e32 vcc, v21, v70
	s_and_saveexec_b64 s[0:1], vcc
	s_cbranch_execnz .LBB2820_234
.LBB2820_171:
	s_or_b64 exec, exec, s[0:1]
	v_cmp_lt_u32_e32 vcc, v19, v70
	s_and_saveexec_b64 s[0:1], vcc
	s_cbranch_execnz .LBB2820_235
.LBB2820_172:
	s_or_b64 exec, exec, s[0:1]
	v_cmp_lt_u32_e32 vcc, v18, v70
	s_and_saveexec_b64 s[0:1], vcc
	s_cbranch_execnz .LBB2820_236
.LBB2820_173:
	s_or_b64 exec, exec, s[0:1]
	v_cmp_lt_u32_e32 vcc, v16, v70
	s_and_saveexec_b64 s[0:1], vcc
	s_cbranch_execnz .LBB2820_237
.LBB2820_174:
	s_or_b64 exec, exec, s[0:1]
	v_cmp_lt_u32_e32 vcc, v14, v70
	s_and_saveexec_b64 s[0:1], vcc
	s_cbranch_execz .LBB2820_176
.LBB2820_175:
	v_lshlrev_b32_e32 v0, 1, v14
	v_readfirstlane_b32 s2, v10
	v_readfirstlane_b32 s3, v11
	s_waitcnt lgkmcnt(1)
	s_nop 3
	global_store_short v0, v7, s[2:3]
.LBB2820_176:
	s_or_b64 exec, exec, s[0:1]
	v_cmp_lt_u32_e64 s[0:1], v5, v70
.LBB2820_177:
	s_and_saveexec_b64 s[2:3], s[0:1]
	s_cbranch_execnz .LBB2820_180
; %bb.178:
	s_or_b64 exec, exec, s[2:3]
	s_and_b64 s[0:1], s[20:21], s[22:23]
	s_and_saveexec_b64 s[2:3], s[0:1]
	s_cbranch_execnz .LBB2820_181
.LBB2820_179:
	s_endpgm
.LBB2820_180:
	v_lshlrev_b32_e32 v0, 1, v5
	v_readfirstlane_b32 s0, v10
	v_readfirstlane_b32 s1, v11
	s_waitcnt lgkmcnt(0)
	s_nop 3
	global_store_short v0, v1, s[0:1]
	s_or_b64 exec, exec, s[2:3]
	s_and_b64 s[0:1], s[20:21], s[22:23]
	s_and_saveexec_b64 s[2:3], s[0:1]
	s_cbranch_execz .LBB2820_179
.LBB2820_181:
	s_waitcnt lgkmcnt(1)
	v_mov_b32_e32 v7, 0
	s_waitcnt lgkmcnt(0)
	v_lshl_add_u64 v[0:1], v[2:3], 0, v[6:7]
	v_mov_b32_e32 v9, v7
	v_lshl_add_u64 v[0:1], v[0:1], 0, v[8:9]
	global_store_dwordx2 v7, v[0:1], s[24:25]
	s_endpgm
.LBB2820_182:
	v_readfirstlane_b32 s2, v10
	v_readfirstlane_b32 s3, v11
	s_waitcnt lgkmcnt(14)
	s_nop 3
	global_store_short v4, v69, s[2:3]
	s_or_b64 exec, exec, s[0:1]
	v_cmp_lt_u32_e32 vcc, v67, v6
	s_and_saveexec_b64 s[0:1], vcc
	s_cbranch_execz .LBB2820_116
.LBB2820_183:
	v_readfirstlane_b32 s2, v10
	v_readfirstlane_b32 s3, v11
	s_waitcnt lgkmcnt(14)
	s_nop 3
	global_store_short v4, v68, s[2:3] offset:1024
	s_or_b64 exec, exec, s[0:1]
	v_cmp_lt_u32_e32 vcc, v65, v6
	s_and_saveexec_b64 s[0:1], vcc
	s_cbranch_execz .LBB2820_117
.LBB2820_184:
	v_readfirstlane_b32 s2, v10
	v_readfirstlane_b32 s3, v11
	s_waitcnt lgkmcnt(14)
	s_nop 3
	global_store_short v4, v66, s[2:3] offset:2048
	s_or_b64 exec, exec, s[0:1]
	v_cmp_lt_u32_e32 vcc, v63, v6
	s_and_saveexec_b64 s[0:1], vcc
	s_cbranch_execz .LBB2820_118
.LBB2820_185:
	v_readfirstlane_b32 s2, v10
	v_readfirstlane_b32 s3, v11
	s_waitcnt lgkmcnt(14)
	s_nop 3
	global_store_short v4, v64, s[2:3] offset:3072
	s_or_b64 exec, exec, s[0:1]
	v_cmp_lt_u32_e32 vcc, v61, v6
	s_and_saveexec_b64 s[0:1], vcc
	s_cbranch_execz .LBB2820_119
.LBB2820_186:
	v_lshlrev_b32_e32 v9, 1, v61
	v_readfirstlane_b32 s2, v10
	v_readfirstlane_b32 s3, v11
	s_waitcnt lgkmcnt(14)
	s_nop 3
	global_store_short v9, v62, s[2:3]
	s_or_b64 exec, exec, s[0:1]
	v_cmp_lt_u32_e32 vcc, v59, v6
	s_and_saveexec_b64 s[0:1], vcc
	s_cbranch_execz .LBB2820_120
.LBB2820_187:
	v_lshlrev_b32_e32 v9, 1, v59
	v_readfirstlane_b32 s2, v10
	v_readfirstlane_b32 s3, v11
	s_waitcnt lgkmcnt(14)
	s_nop 3
	global_store_short v9, v60, s[2:3]
	s_or_b64 exec, exec, s[0:1]
	v_cmp_lt_u32_e32 vcc, v57, v6
	s_and_saveexec_b64 s[0:1], vcc
	s_cbranch_execz .LBB2820_121
.LBB2820_188:
	v_lshlrev_b32_e32 v9, 1, v57
	v_readfirstlane_b32 s2, v10
	v_readfirstlane_b32 s3, v11
	s_waitcnt lgkmcnt(14)
	s_nop 3
	global_store_short v9, v58, s[2:3]
	s_or_b64 exec, exec, s[0:1]
	v_cmp_lt_u32_e32 vcc, v54, v6
	s_and_saveexec_b64 s[0:1], vcc
	s_cbranch_execz .LBB2820_122
.LBB2820_189:
	v_lshlrev_b32_e32 v9, 1, v54
	v_readfirstlane_b32 s2, v10
	v_readfirstlane_b32 s3, v11
	s_waitcnt lgkmcnt(14)
	s_nop 3
	global_store_short v9, v55, s[2:3]
	s_or_b64 exec, exec, s[0:1]
	v_cmp_lt_u32_e32 vcc, v53, v6
	s_and_saveexec_b64 s[0:1], vcc
	s_cbranch_execz .LBB2820_123
.LBB2820_190:
	v_lshlrev_b32_e32 v9, 1, v53
	v_readfirstlane_b32 s2, v10
	v_readfirstlane_b32 s3, v11
	s_waitcnt lgkmcnt(14)
	s_nop 3
	global_store_short v9, v56, s[2:3]
	s_or_b64 exec, exec, s[0:1]
	v_cmp_lt_u32_e32 vcc, v51, v6
	s_and_saveexec_b64 s[0:1], vcc
	s_cbranch_execz .LBB2820_124
.LBB2820_191:
	v_lshlrev_b32_e32 v9, 1, v51
	v_readfirstlane_b32 s2, v10
	v_readfirstlane_b32 s3, v11
	s_waitcnt lgkmcnt(14)
	s_nop 3
	global_store_short v9, v52, s[2:3]
	s_or_b64 exec, exec, s[0:1]
	v_cmp_lt_u32_e32 vcc, v49, v6
	s_and_saveexec_b64 s[0:1], vcc
	s_cbranch_execz .LBB2820_125
.LBB2820_192:
	v_lshlrev_b32_e32 v9, 1, v49
	v_readfirstlane_b32 s2, v10
	v_readfirstlane_b32 s3, v11
	s_waitcnt lgkmcnt(14)
	s_nop 3
	global_store_short v9, v50, s[2:3]
	s_or_b64 exec, exec, s[0:1]
	v_cmp_lt_u32_e32 vcc, v47, v6
	s_and_saveexec_b64 s[0:1], vcc
	s_cbranch_execz .LBB2820_126
.LBB2820_193:
	v_lshlrev_b32_e32 v9, 1, v47
	v_readfirstlane_b32 s2, v10
	v_readfirstlane_b32 s3, v11
	s_waitcnt lgkmcnt(14)
	s_nop 3
	global_store_short v9, v48, s[2:3]
	s_or_b64 exec, exec, s[0:1]
	v_cmp_lt_u32_e32 vcc, v45, v6
	s_and_saveexec_b64 s[0:1], vcc
	s_cbranch_execz .LBB2820_127
.LBB2820_194:
	v_lshlrev_b32_e32 v9, 1, v45
	v_readfirstlane_b32 s2, v10
	v_readfirstlane_b32 s3, v11
	s_waitcnt lgkmcnt(14)
	s_nop 3
	global_store_short v9, v46, s[2:3]
	s_or_b64 exec, exec, s[0:1]
	v_cmp_lt_u32_e32 vcc, v43, v6
	s_and_saveexec_b64 s[0:1], vcc
	s_cbranch_execz .LBB2820_128
.LBB2820_195:
	v_lshlrev_b32_e32 v9, 1, v43
	v_readfirstlane_b32 s2, v10
	v_readfirstlane_b32 s3, v11
	s_waitcnt lgkmcnt(14)
	s_nop 3
	global_store_short v9, v44, s[2:3]
	s_or_b64 exec, exec, s[0:1]
	v_cmp_lt_u32_e32 vcc, v41, v6
	s_and_saveexec_b64 s[0:1], vcc
	s_cbranch_execz .LBB2820_129
.LBB2820_196:
	v_lshlrev_b32_e32 v9, 1, v41
	v_readfirstlane_b32 s2, v10
	v_readfirstlane_b32 s3, v11
	s_waitcnt lgkmcnt(14)
	s_nop 3
	global_store_short v9, v42, s[2:3]
	s_or_b64 exec, exec, s[0:1]
	v_cmp_lt_u32_e32 vcc, v38, v6
	s_and_saveexec_b64 s[0:1], vcc
	s_cbranch_execz .LBB2820_130
.LBB2820_197:
	v_lshlrev_b32_e32 v9, 1, v38
	v_readfirstlane_b32 s2, v10
	v_readfirstlane_b32 s3, v11
	s_waitcnt lgkmcnt(14)
	s_nop 3
	global_store_short v9, v39, s[2:3]
	s_or_b64 exec, exec, s[0:1]
	v_cmp_lt_u32_e32 vcc, v37, v6
	s_and_saveexec_b64 s[0:1], vcc
	s_cbranch_execz .LBB2820_131
.LBB2820_198:
	v_lshlrev_b32_e32 v9, 1, v37
	v_readfirstlane_b32 s2, v10
	v_readfirstlane_b32 s3, v11
	s_waitcnt lgkmcnt(13)
	s_nop 3
	global_store_short v9, v40, s[2:3]
	s_or_b64 exec, exec, s[0:1]
	v_cmp_lt_u32_e32 vcc, v35, v6
	s_and_saveexec_b64 s[0:1], vcc
	s_cbranch_execz .LBB2820_132
.LBB2820_199:
	v_lshlrev_b32_e32 v9, 1, v35
	v_readfirstlane_b32 s2, v10
	v_readfirstlane_b32 s3, v11
	s_waitcnt lgkmcnt(12)
	s_nop 3
	global_store_short v9, v36, s[2:3]
	s_or_b64 exec, exec, s[0:1]
	v_cmp_lt_u32_e32 vcc, v33, v6
	s_and_saveexec_b64 s[0:1], vcc
	s_cbranch_execz .LBB2820_133
.LBB2820_200:
	v_lshlrev_b32_e32 v9, 1, v33
	v_readfirstlane_b32 s2, v10
	v_readfirstlane_b32 s3, v11
	s_waitcnt lgkmcnt(11)
	s_nop 3
	global_store_short v9, v34, s[2:3]
	s_or_b64 exec, exec, s[0:1]
	v_cmp_lt_u32_e32 vcc, v31, v6
	s_and_saveexec_b64 s[0:1], vcc
	s_cbranch_execz .LBB2820_134
.LBB2820_201:
	v_lshlrev_b32_e32 v9, 1, v31
	v_readfirstlane_b32 s2, v10
	v_readfirstlane_b32 s3, v11
	s_waitcnt lgkmcnt(10)
	s_nop 3
	global_store_short v9, v32, s[2:3]
	s_or_b64 exec, exec, s[0:1]
	v_cmp_lt_u32_e32 vcc, v29, v6
	s_and_saveexec_b64 s[0:1], vcc
	s_cbranch_execz .LBB2820_135
.LBB2820_202:
	v_lshlrev_b32_e32 v9, 1, v29
	v_readfirstlane_b32 s2, v10
	v_readfirstlane_b32 s3, v11
	s_waitcnt lgkmcnt(9)
	s_nop 3
	global_store_short v9, v30, s[2:3]
	s_or_b64 exec, exec, s[0:1]
	v_cmp_lt_u32_e32 vcc, v27, v6
	s_and_saveexec_b64 s[0:1], vcc
	s_cbranch_execz .LBB2820_136
.LBB2820_203:
	v_lshlrev_b32_e32 v9, 1, v27
	v_readfirstlane_b32 s2, v10
	v_readfirstlane_b32 s3, v11
	s_waitcnt lgkmcnt(8)
	s_nop 3
	global_store_short v9, v28, s[2:3]
	s_or_b64 exec, exec, s[0:1]
	v_cmp_lt_u32_e32 vcc, v25, v6
	s_and_saveexec_b64 s[0:1], vcc
	s_cbranch_execz .LBB2820_137
.LBB2820_204:
	v_lshlrev_b32_e32 v9, 1, v25
	v_readfirstlane_b32 s2, v10
	v_readfirstlane_b32 s3, v11
	s_waitcnt lgkmcnt(7)
	s_nop 3
	global_store_short v9, v26, s[2:3]
	s_or_b64 exec, exec, s[0:1]
	v_cmp_lt_u32_e32 vcc, v23, v6
	s_and_saveexec_b64 s[0:1], vcc
	s_cbranch_execz .LBB2820_138
.LBB2820_205:
	v_lshlrev_b32_e32 v9, 1, v23
	v_readfirstlane_b32 s2, v10
	v_readfirstlane_b32 s3, v11
	s_waitcnt lgkmcnt(6)
	s_nop 3
	global_store_short v9, v24, s[2:3]
	s_or_b64 exec, exec, s[0:1]
	v_cmp_lt_u32_e32 vcc, v21, v6
	s_and_saveexec_b64 s[0:1], vcc
	s_cbranch_execz .LBB2820_139
.LBB2820_206:
	v_lshlrev_b32_e32 v9, 1, v21
	v_readfirstlane_b32 s2, v10
	v_readfirstlane_b32 s3, v11
	s_waitcnt lgkmcnt(5)
	s_nop 3
	global_store_short v9, v22, s[2:3]
	s_or_b64 exec, exec, s[0:1]
	v_cmp_lt_u32_e32 vcc, v19, v6
	s_and_saveexec_b64 s[0:1], vcc
	s_cbranch_execz .LBB2820_140
.LBB2820_207:
	v_lshlrev_b32_e32 v9, 1, v19
	v_readfirstlane_b32 s2, v10
	v_readfirstlane_b32 s3, v11
	s_waitcnt lgkmcnt(4)
	s_nop 3
	global_store_short v9, v20, s[2:3]
	s_or_b64 exec, exec, s[0:1]
	v_cmp_lt_u32_e32 vcc, v18, v6
	s_and_saveexec_b64 s[0:1], vcc
	s_cbranch_execz .LBB2820_141
.LBB2820_208:
	v_lshlrev_b32_e32 v9, 1, v18
	v_readfirstlane_b32 s2, v10
	v_readfirstlane_b32 s3, v11
	s_waitcnt lgkmcnt(3)
	s_nop 3
	global_store_short v9, v17, s[2:3]
	s_or_b64 exec, exec, s[0:1]
	v_cmp_lt_u32_e32 vcc, v16, v6
	s_and_saveexec_b64 s[0:1], vcc
	s_cbranch_execz .LBB2820_142
.LBB2820_209:
	v_lshlrev_b32_e32 v9, 1, v16
	v_readfirstlane_b32 s2, v10
	v_readfirstlane_b32 s3, v11
	s_waitcnt lgkmcnt(2)
	s_nop 3
	global_store_short v9, v15, s[2:3]
	s_or_b64 exec, exec, s[0:1]
	v_cmp_lt_u32_e32 vcc, v14, v6
	s_and_saveexec_b64 s[0:1], vcc
	s_cbranch_execnz .LBB2820_143
	s_branch .LBB2820_144
.LBB2820_210:
	v_readfirstlane_b32 s2, v10
	v_readfirstlane_b32 s3, v11
	s_waitcnt lgkmcnt(14)
	s_nop 3
	global_store_short v4, v69, s[2:3]
	s_or_b64 exec, exec, s[0:1]
	v_cmp_lt_u32_e32 vcc, v67, v70
	s_and_saveexec_b64 s[0:1], vcc
	s_cbranch_execz .LBB2820_148
.LBB2820_211:
	v_readfirstlane_b32 s2, v10
	v_readfirstlane_b32 s3, v11
	s_waitcnt lgkmcnt(14)
	s_nop 3
	global_store_short v4, v68, s[2:3] offset:1024
	s_or_b64 exec, exec, s[0:1]
	v_cmp_lt_u32_e32 vcc, v65, v70
	s_and_saveexec_b64 s[0:1], vcc
	s_cbranch_execz .LBB2820_149
.LBB2820_212:
	v_readfirstlane_b32 s2, v10
	v_readfirstlane_b32 s3, v11
	s_waitcnt lgkmcnt(14)
	s_nop 3
	global_store_short v4, v66, s[2:3] offset:2048
	s_or_b64 exec, exec, s[0:1]
	v_cmp_lt_u32_e32 vcc, v63, v70
	s_and_saveexec_b64 s[0:1], vcc
	s_cbranch_execz .LBB2820_150
.LBB2820_213:
	v_readfirstlane_b32 s2, v10
	v_readfirstlane_b32 s3, v11
	s_waitcnt lgkmcnt(14)
	s_nop 3
	global_store_short v4, v64, s[2:3] offset:3072
	s_or_b64 exec, exec, s[0:1]
	v_cmp_lt_u32_e32 vcc, v61, v70
	s_and_saveexec_b64 s[0:1], vcc
	s_cbranch_execz .LBB2820_151
.LBB2820_214:
	v_lshlrev_b32_e32 v0, 1, v61
	v_readfirstlane_b32 s2, v10
	v_readfirstlane_b32 s3, v11
	s_waitcnt lgkmcnt(14)
	s_nop 3
	global_store_short v0, v62, s[2:3]
	s_or_b64 exec, exec, s[0:1]
	v_cmp_lt_u32_e32 vcc, v59, v70
	s_and_saveexec_b64 s[0:1], vcc
	s_cbranch_execz .LBB2820_152
.LBB2820_215:
	v_lshlrev_b32_e32 v0, 1, v59
	v_readfirstlane_b32 s2, v10
	v_readfirstlane_b32 s3, v11
	s_waitcnt lgkmcnt(14)
	s_nop 3
	global_store_short v0, v60, s[2:3]
	s_or_b64 exec, exec, s[0:1]
	v_cmp_lt_u32_e32 vcc, v57, v70
	s_and_saveexec_b64 s[0:1], vcc
	s_cbranch_execz .LBB2820_153
.LBB2820_216:
	v_lshlrev_b32_e32 v0, 1, v57
	v_readfirstlane_b32 s2, v10
	v_readfirstlane_b32 s3, v11
	s_waitcnt lgkmcnt(14)
	s_nop 3
	global_store_short v0, v58, s[2:3]
	s_or_b64 exec, exec, s[0:1]
	v_cmp_lt_u32_e32 vcc, v54, v70
	s_and_saveexec_b64 s[0:1], vcc
	s_cbranch_execz .LBB2820_154
.LBB2820_217:
	v_lshlrev_b32_e32 v0, 1, v54
	v_readfirstlane_b32 s2, v10
	v_readfirstlane_b32 s3, v11
	s_waitcnt lgkmcnt(14)
	s_nop 3
	global_store_short v0, v55, s[2:3]
	s_or_b64 exec, exec, s[0:1]
	v_cmp_lt_u32_e32 vcc, v53, v70
	s_and_saveexec_b64 s[0:1], vcc
	s_cbranch_execz .LBB2820_155
.LBB2820_218:
	v_lshlrev_b32_e32 v0, 1, v53
	v_readfirstlane_b32 s2, v10
	v_readfirstlane_b32 s3, v11
	s_waitcnt lgkmcnt(14)
	s_nop 3
	global_store_short v0, v56, s[2:3]
	s_or_b64 exec, exec, s[0:1]
	v_cmp_lt_u32_e32 vcc, v51, v70
	s_and_saveexec_b64 s[0:1], vcc
	s_cbranch_execz .LBB2820_156
.LBB2820_219:
	v_lshlrev_b32_e32 v0, 1, v51
	v_readfirstlane_b32 s2, v10
	v_readfirstlane_b32 s3, v11
	s_waitcnt lgkmcnt(14)
	s_nop 3
	global_store_short v0, v52, s[2:3]
	s_or_b64 exec, exec, s[0:1]
	v_cmp_lt_u32_e32 vcc, v49, v70
	s_and_saveexec_b64 s[0:1], vcc
	s_cbranch_execz .LBB2820_157
.LBB2820_220:
	v_lshlrev_b32_e32 v0, 1, v49
	v_readfirstlane_b32 s2, v10
	v_readfirstlane_b32 s3, v11
	s_waitcnt lgkmcnt(14)
	s_nop 3
	global_store_short v0, v50, s[2:3]
	s_or_b64 exec, exec, s[0:1]
	v_cmp_lt_u32_e32 vcc, v47, v70
	s_and_saveexec_b64 s[0:1], vcc
	s_cbranch_execz .LBB2820_158
.LBB2820_221:
	v_lshlrev_b32_e32 v0, 1, v47
	v_readfirstlane_b32 s2, v10
	v_readfirstlane_b32 s3, v11
	s_waitcnt lgkmcnt(14)
	s_nop 3
	global_store_short v0, v48, s[2:3]
	s_or_b64 exec, exec, s[0:1]
	v_cmp_lt_u32_e32 vcc, v45, v70
	s_and_saveexec_b64 s[0:1], vcc
	s_cbranch_execz .LBB2820_159
.LBB2820_222:
	v_lshlrev_b32_e32 v0, 1, v45
	v_readfirstlane_b32 s2, v10
	v_readfirstlane_b32 s3, v11
	s_waitcnt lgkmcnt(14)
	s_nop 3
	global_store_short v0, v46, s[2:3]
	s_or_b64 exec, exec, s[0:1]
	v_cmp_lt_u32_e32 vcc, v43, v70
	s_and_saveexec_b64 s[0:1], vcc
	s_cbranch_execz .LBB2820_160
.LBB2820_223:
	v_lshlrev_b32_e32 v0, 1, v43
	v_readfirstlane_b32 s2, v10
	v_readfirstlane_b32 s3, v11
	s_waitcnt lgkmcnt(14)
	s_nop 3
	global_store_short v0, v44, s[2:3]
	s_or_b64 exec, exec, s[0:1]
	v_cmp_lt_u32_e32 vcc, v41, v70
	s_and_saveexec_b64 s[0:1], vcc
	s_cbranch_execz .LBB2820_161
.LBB2820_224:
	v_lshlrev_b32_e32 v0, 1, v41
	v_readfirstlane_b32 s2, v10
	v_readfirstlane_b32 s3, v11
	s_waitcnt lgkmcnt(14)
	s_nop 3
	global_store_short v0, v42, s[2:3]
	s_or_b64 exec, exec, s[0:1]
	v_cmp_lt_u32_e32 vcc, v38, v70
	s_and_saveexec_b64 s[0:1], vcc
	s_cbranch_execz .LBB2820_162
.LBB2820_225:
	v_lshlrev_b32_e32 v0, 1, v38
	v_readfirstlane_b32 s2, v10
	v_readfirstlane_b32 s3, v11
	s_waitcnt lgkmcnt(14)
	s_nop 3
	global_store_short v0, v39, s[2:3]
	s_or_b64 exec, exec, s[0:1]
	v_cmp_lt_u32_e32 vcc, v37, v70
	s_and_saveexec_b64 s[0:1], vcc
	s_cbranch_execz .LBB2820_163
.LBB2820_226:
	v_lshlrev_b32_e32 v0, 1, v37
	v_readfirstlane_b32 s2, v10
	v_readfirstlane_b32 s3, v11
	s_waitcnt lgkmcnt(13)
	s_nop 3
	global_store_short v0, v40, s[2:3]
	s_or_b64 exec, exec, s[0:1]
	v_cmp_lt_u32_e32 vcc, v35, v70
	s_and_saveexec_b64 s[0:1], vcc
	s_cbranch_execz .LBB2820_164
.LBB2820_227:
	v_lshlrev_b32_e32 v0, 1, v35
	v_readfirstlane_b32 s2, v10
	v_readfirstlane_b32 s3, v11
	s_waitcnt lgkmcnt(12)
	s_nop 3
	global_store_short v0, v36, s[2:3]
	s_or_b64 exec, exec, s[0:1]
	v_cmp_lt_u32_e32 vcc, v33, v70
	s_and_saveexec_b64 s[0:1], vcc
	s_cbranch_execz .LBB2820_165
.LBB2820_228:
	v_lshlrev_b32_e32 v0, 1, v33
	v_readfirstlane_b32 s2, v10
	v_readfirstlane_b32 s3, v11
	s_waitcnt lgkmcnt(11)
	s_nop 3
	global_store_short v0, v34, s[2:3]
	s_or_b64 exec, exec, s[0:1]
	v_cmp_lt_u32_e32 vcc, v31, v70
	s_and_saveexec_b64 s[0:1], vcc
	s_cbranch_execz .LBB2820_166
.LBB2820_229:
	v_lshlrev_b32_e32 v0, 1, v31
	v_readfirstlane_b32 s2, v10
	v_readfirstlane_b32 s3, v11
	s_waitcnt lgkmcnt(10)
	s_nop 3
	global_store_short v0, v32, s[2:3]
	s_or_b64 exec, exec, s[0:1]
	v_cmp_lt_u32_e32 vcc, v29, v70
	s_and_saveexec_b64 s[0:1], vcc
	s_cbranch_execz .LBB2820_167
.LBB2820_230:
	v_lshlrev_b32_e32 v0, 1, v29
	v_readfirstlane_b32 s2, v10
	v_readfirstlane_b32 s3, v11
	s_waitcnt lgkmcnt(9)
	s_nop 3
	global_store_short v0, v30, s[2:3]
	s_or_b64 exec, exec, s[0:1]
	v_cmp_lt_u32_e32 vcc, v27, v70
	s_and_saveexec_b64 s[0:1], vcc
	s_cbranch_execz .LBB2820_168
.LBB2820_231:
	v_lshlrev_b32_e32 v0, 1, v27
	v_readfirstlane_b32 s2, v10
	v_readfirstlane_b32 s3, v11
	s_waitcnt lgkmcnt(8)
	s_nop 3
	global_store_short v0, v28, s[2:3]
	s_or_b64 exec, exec, s[0:1]
	v_cmp_lt_u32_e32 vcc, v25, v70
	s_and_saveexec_b64 s[0:1], vcc
	s_cbranch_execz .LBB2820_169
.LBB2820_232:
	v_lshlrev_b32_e32 v0, 1, v25
	v_readfirstlane_b32 s2, v10
	v_readfirstlane_b32 s3, v11
	s_waitcnt lgkmcnt(7)
	s_nop 3
	global_store_short v0, v26, s[2:3]
	s_or_b64 exec, exec, s[0:1]
	v_cmp_lt_u32_e32 vcc, v23, v70
	s_and_saveexec_b64 s[0:1], vcc
	s_cbranch_execz .LBB2820_170
.LBB2820_233:
	v_lshlrev_b32_e32 v0, 1, v23
	v_readfirstlane_b32 s2, v10
	v_readfirstlane_b32 s3, v11
	s_waitcnt lgkmcnt(6)
	s_nop 3
	global_store_short v0, v24, s[2:3]
	s_or_b64 exec, exec, s[0:1]
	v_cmp_lt_u32_e32 vcc, v21, v70
	s_and_saveexec_b64 s[0:1], vcc
	s_cbranch_execz .LBB2820_171
.LBB2820_234:
	v_lshlrev_b32_e32 v0, 1, v21
	v_readfirstlane_b32 s2, v10
	v_readfirstlane_b32 s3, v11
	s_waitcnt lgkmcnt(5)
	s_nop 3
	global_store_short v0, v22, s[2:3]
	s_or_b64 exec, exec, s[0:1]
	v_cmp_lt_u32_e32 vcc, v19, v70
	s_and_saveexec_b64 s[0:1], vcc
	s_cbranch_execz .LBB2820_172
.LBB2820_235:
	v_lshlrev_b32_e32 v0, 1, v19
	v_readfirstlane_b32 s2, v10
	v_readfirstlane_b32 s3, v11
	s_waitcnt lgkmcnt(4)
	s_nop 3
	global_store_short v0, v20, s[2:3]
	s_or_b64 exec, exec, s[0:1]
	v_cmp_lt_u32_e32 vcc, v18, v70
	s_and_saveexec_b64 s[0:1], vcc
	s_cbranch_execz .LBB2820_173
.LBB2820_236:
	v_lshlrev_b32_e32 v0, 1, v18
	v_readfirstlane_b32 s2, v10
	v_readfirstlane_b32 s3, v11
	s_waitcnt lgkmcnt(3)
	s_nop 3
	global_store_short v0, v17, s[2:3]
	s_or_b64 exec, exec, s[0:1]
	v_cmp_lt_u32_e32 vcc, v16, v70
	s_and_saveexec_b64 s[0:1], vcc
	s_cbranch_execz .LBB2820_174
.LBB2820_237:
	v_lshlrev_b32_e32 v0, 1, v16
	v_readfirstlane_b32 s2, v10
	v_readfirstlane_b32 s3, v11
	s_waitcnt lgkmcnt(2)
	s_nop 3
	global_store_short v0, v15, s[2:3]
	s_or_b64 exec, exec, s[0:1]
	v_cmp_lt_u32_e32 vcc, v14, v70
	s_and_saveexec_b64 s[0:1], vcc
	s_cbranch_execnz .LBB2820_175
	s_branch .LBB2820_176
	.section	.rodata,"a",@progbits
	.p2align	6, 0x0
	.amdhsa_kernel _ZN7rocprim17ROCPRIM_400000_NS6detail17trampoline_kernelINS0_14default_configENS1_25partition_config_selectorILNS1_17partition_subalgoE0EsNS0_10empty_typeEbEEZZNS1_14partition_implILS5_0ELb0ES3_jN6thrust23THRUST_200600_302600_NS6detail15normal_iteratorINSA_10device_ptrIsEEEEPS6_SG_NS0_5tupleIJSF_NSA_16discard_iteratorINSA_11use_defaultEEEEEENSH_IJSG_SG_EEES6_PlJ7is_evenIsEEEE10hipError_tPvRmT3_T4_T5_T6_T7_T9_mT8_P12ihipStream_tbDpT10_ENKUlT_T0_E_clISt17integral_constantIbLb1EES19_EEDaS14_S15_EUlS14_E_NS1_11comp_targetILNS1_3genE5ELNS1_11target_archE942ELNS1_3gpuE9ELNS1_3repE0EEENS1_30default_config_static_selectorELNS0_4arch9wavefront6targetE1EEEvT1_
		.amdhsa_group_segment_fixed_size 30728
		.amdhsa_private_segment_fixed_size 0
		.amdhsa_kernarg_size 144
		.amdhsa_user_sgpr_count 2
		.amdhsa_user_sgpr_dispatch_ptr 0
		.amdhsa_user_sgpr_queue_ptr 0
		.amdhsa_user_sgpr_kernarg_segment_ptr 1
		.amdhsa_user_sgpr_dispatch_id 0
		.amdhsa_user_sgpr_kernarg_preload_length 0
		.amdhsa_user_sgpr_kernarg_preload_offset 0
		.amdhsa_user_sgpr_private_segment_size 0
		.amdhsa_uses_dynamic_stack 0
		.amdhsa_enable_private_segment 0
		.amdhsa_system_sgpr_workgroup_id_x 1
		.amdhsa_system_sgpr_workgroup_id_y 0
		.amdhsa_system_sgpr_workgroup_id_z 0
		.amdhsa_system_sgpr_workgroup_info 0
		.amdhsa_system_vgpr_workitem_id 0
		.amdhsa_next_free_vgpr 122
		.amdhsa_next_free_sgpr 40
		.amdhsa_accum_offset 124
		.amdhsa_reserve_vcc 1
		.amdhsa_float_round_mode_32 0
		.amdhsa_float_round_mode_16_64 0
		.amdhsa_float_denorm_mode_32 3
		.amdhsa_float_denorm_mode_16_64 3
		.amdhsa_dx10_clamp 1
		.amdhsa_ieee_mode 1
		.amdhsa_fp16_overflow 0
		.amdhsa_tg_split 0
		.amdhsa_exception_fp_ieee_invalid_op 0
		.amdhsa_exception_fp_denorm_src 0
		.amdhsa_exception_fp_ieee_div_zero 0
		.amdhsa_exception_fp_ieee_overflow 0
		.amdhsa_exception_fp_ieee_underflow 0
		.amdhsa_exception_fp_ieee_inexact 0
		.amdhsa_exception_int_div_zero 0
	.end_amdhsa_kernel
	.section	.text._ZN7rocprim17ROCPRIM_400000_NS6detail17trampoline_kernelINS0_14default_configENS1_25partition_config_selectorILNS1_17partition_subalgoE0EsNS0_10empty_typeEbEEZZNS1_14partition_implILS5_0ELb0ES3_jN6thrust23THRUST_200600_302600_NS6detail15normal_iteratorINSA_10device_ptrIsEEEEPS6_SG_NS0_5tupleIJSF_NSA_16discard_iteratorINSA_11use_defaultEEEEEENSH_IJSG_SG_EEES6_PlJ7is_evenIsEEEE10hipError_tPvRmT3_T4_T5_T6_T7_T9_mT8_P12ihipStream_tbDpT10_ENKUlT_T0_E_clISt17integral_constantIbLb1EES19_EEDaS14_S15_EUlS14_E_NS1_11comp_targetILNS1_3genE5ELNS1_11target_archE942ELNS1_3gpuE9ELNS1_3repE0EEENS1_30default_config_static_selectorELNS0_4arch9wavefront6targetE1EEEvT1_,"axG",@progbits,_ZN7rocprim17ROCPRIM_400000_NS6detail17trampoline_kernelINS0_14default_configENS1_25partition_config_selectorILNS1_17partition_subalgoE0EsNS0_10empty_typeEbEEZZNS1_14partition_implILS5_0ELb0ES3_jN6thrust23THRUST_200600_302600_NS6detail15normal_iteratorINSA_10device_ptrIsEEEEPS6_SG_NS0_5tupleIJSF_NSA_16discard_iteratorINSA_11use_defaultEEEEEENSH_IJSG_SG_EEES6_PlJ7is_evenIsEEEE10hipError_tPvRmT3_T4_T5_T6_T7_T9_mT8_P12ihipStream_tbDpT10_ENKUlT_T0_E_clISt17integral_constantIbLb1EES19_EEDaS14_S15_EUlS14_E_NS1_11comp_targetILNS1_3genE5ELNS1_11target_archE942ELNS1_3gpuE9ELNS1_3repE0EEENS1_30default_config_static_selectorELNS0_4arch9wavefront6targetE1EEEvT1_,comdat
.Lfunc_end2820:
	.size	_ZN7rocprim17ROCPRIM_400000_NS6detail17trampoline_kernelINS0_14default_configENS1_25partition_config_selectorILNS1_17partition_subalgoE0EsNS0_10empty_typeEbEEZZNS1_14partition_implILS5_0ELb0ES3_jN6thrust23THRUST_200600_302600_NS6detail15normal_iteratorINSA_10device_ptrIsEEEEPS6_SG_NS0_5tupleIJSF_NSA_16discard_iteratorINSA_11use_defaultEEEEEENSH_IJSG_SG_EEES6_PlJ7is_evenIsEEEE10hipError_tPvRmT3_T4_T5_T6_T7_T9_mT8_P12ihipStream_tbDpT10_ENKUlT_T0_E_clISt17integral_constantIbLb1EES19_EEDaS14_S15_EUlS14_E_NS1_11comp_targetILNS1_3genE5ELNS1_11target_archE942ELNS1_3gpuE9ELNS1_3repE0EEENS1_30default_config_static_selectorELNS0_4arch9wavefront6targetE1EEEvT1_, .Lfunc_end2820-_ZN7rocprim17ROCPRIM_400000_NS6detail17trampoline_kernelINS0_14default_configENS1_25partition_config_selectorILNS1_17partition_subalgoE0EsNS0_10empty_typeEbEEZZNS1_14partition_implILS5_0ELb0ES3_jN6thrust23THRUST_200600_302600_NS6detail15normal_iteratorINSA_10device_ptrIsEEEEPS6_SG_NS0_5tupleIJSF_NSA_16discard_iteratorINSA_11use_defaultEEEEEENSH_IJSG_SG_EEES6_PlJ7is_evenIsEEEE10hipError_tPvRmT3_T4_T5_T6_T7_T9_mT8_P12ihipStream_tbDpT10_ENKUlT_T0_E_clISt17integral_constantIbLb1EES19_EEDaS14_S15_EUlS14_E_NS1_11comp_targetILNS1_3genE5ELNS1_11target_archE942ELNS1_3gpuE9ELNS1_3repE0EEENS1_30default_config_static_selectorELNS0_4arch9wavefront6targetE1EEEvT1_
                                        ; -- End function
	.section	.AMDGPU.csdata,"",@progbits
; Kernel info:
; codeLenInByte = 11404
; NumSgprs: 46
; NumVgprs: 122
; NumAgprs: 0
; TotalNumVgprs: 122
; ScratchSize: 0
; MemoryBound: 0
; FloatMode: 240
; IeeeMode: 1
; LDSByteSize: 30728 bytes/workgroup (compile time only)
; SGPRBlocks: 5
; VGPRBlocks: 15
; NumSGPRsForWavesPerEU: 46
; NumVGPRsForWavesPerEU: 122
; AccumOffset: 124
; Occupancy: 4
; WaveLimiterHint : 1
; COMPUTE_PGM_RSRC2:SCRATCH_EN: 0
; COMPUTE_PGM_RSRC2:USER_SGPR: 2
; COMPUTE_PGM_RSRC2:TRAP_HANDLER: 0
; COMPUTE_PGM_RSRC2:TGID_X_EN: 1
; COMPUTE_PGM_RSRC2:TGID_Y_EN: 0
; COMPUTE_PGM_RSRC2:TGID_Z_EN: 0
; COMPUTE_PGM_RSRC2:TIDIG_COMP_CNT: 0
; COMPUTE_PGM_RSRC3_GFX90A:ACCUM_OFFSET: 30
; COMPUTE_PGM_RSRC3_GFX90A:TG_SPLIT: 0
	.section	.text._ZN7rocprim17ROCPRIM_400000_NS6detail17trampoline_kernelINS0_14default_configENS1_25partition_config_selectorILNS1_17partition_subalgoE0EsNS0_10empty_typeEbEEZZNS1_14partition_implILS5_0ELb0ES3_jN6thrust23THRUST_200600_302600_NS6detail15normal_iteratorINSA_10device_ptrIsEEEEPS6_SG_NS0_5tupleIJSF_NSA_16discard_iteratorINSA_11use_defaultEEEEEENSH_IJSG_SG_EEES6_PlJ7is_evenIsEEEE10hipError_tPvRmT3_T4_T5_T6_T7_T9_mT8_P12ihipStream_tbDpT10_ENKUlT_T0_E_clISt17integral_constantIbLb1EES19_EEDaS14_S15_EUlS14_E_NS1_11comp_targetILNS1_3genE4ELNS1_11target_archE910ELNS1_3gpuE8ELNS1_3repE0EEENS1_30default_config_static_selectorELNS0_4arch9wavefront6targetE1EEEvT1_,"axG",@progbits,_ZN7rocprim17ROCPRIM_400000_NS6detail17trampoline_kernelINS0_14default_configENS1_25partition_config_selectorILNS1_17partition_subalgoE0EsNS0_10empty_typeEbEEZZNS1_14partition_implILS5_0ELb0ES3_jN6thrust23THRUST_200600_302600_NS6detail15normal_iteratorINSA_10device_ptrIsEEEEPS6_SG_NS0_5tupleIJSF_NSA_16discard_iteratorINSA_11use_defaultEEEEEENSH_IJSG_SG_EEES6_PlJ7is_evenIsEEEE10hipError_tPvRmT3_T4_T5_T6_T7_T9_mT8_P12ihipStream_tbDpT10_ENKUlT_T0_E_clISt17integral_constantIbLb1EES19_EEDaS14_S15_EUlS14_E_NS1_11comp_targetILNS1_3genE4ELNS1_11target_archE910ELNS1_3gpuE8ELNS1_3repE0EEENS1_30default_config_static_selectorELNS0_4arch9wavefront6targetE1EEEvT1_,comdat
	.protected	_ZN7rocprim17ROCPRIM_400000_NS6detail17trampoline_kernelINS0_14default_configENS1_25partition_config_selectorILNS1_17partition_subalgoE0EsNS0_10empty_typeEbEEZZNS1_14partition_implILS5_0ELb0ES3_jN6thrust23THRUST_200600_302600_NS6detail15normal_iteratorINSA_10device_ptrIsEEEEPS6_SG_NS0_5tupleIJSF_NSA_16discard_iteratorINSA_11use_defaultEEEEEENSH_IJSG_SG_EEES6_PlJ7is_evenIsEEEE10hipError_tPvRmT3_T4_T5_T6_T7_T9_mT8_P12ihipStream_tbDpT10_ENKUlT_T0_E_clISt17integral_constantIbLb1EES19_EEDaS14_S15_EUlS14_E_NS1_11comp_targetILNS1_3genE4ELNS1_11target_archE910ELNS1_3gpuE8ELNS1_3repE0EEENS1_30default_config_static_selectorELNS0_4arch9wavefront6targetE1EEEvT1_ ; -- Begin function _ZN7rocprim17ROCPRIM_400000_NS6detail17trampoline_kernelINS0_14default_configENS1_25partition_config_selectorILNS1_17partition_subalgoE0EsNS0_10empty_typeEbEEZZNS1_14partition_implILS5_0ELb0ES3_jN6thrust23THRUST_200600_302600_NS6detail15normal_iteratorINSA_10device_ptrIsEEEEPS6_SG_NS0_5tupleIJSF_NSA_16discard_iteratorINSA_11use_defaultEEEEEENSH_IJSG_SG_EEES6_PlJ7is_evenIsEEEE10hipError_tPvRmT3_T4_T5_T6_T7_T9_mT8_P12ihipStream_tbDpT10_ENKUlT_T0_E_clISt17integral_constantIbLb1EES19_EEDaS14_S15_EUlS14_E_NS1_11comp_targetILNS1_3genE4ELNS1_11target_archE910ELNS1_3gpuE8ELNS1_3repE0EEENS1_30default_config_static_selectorELNS0_4arch9wavefront6targetE1EEEvT1_
	.globl	_ZN7rocprim17ROCPRIM_400000_NS6detail17trampoline_kernelINS0_14default_configENS1_25partition_config_selectorILNS1_17partition_subalgoE0EsNS0_10empty_typeEbEEZZNS1_14partition_implILS5_0ELb0ES3_jN6thrust23THRUST_200600_302600_NS6detail15normal_iteratorINSA_10device_ptrIsEEEEPS6_SG_NS0_5tupleIJSF_NSA_16discard_iteratorINSA_11use_defaultEEEEEENSH_IJSG_SG_EEES6_PlJ7is_evenIsEEEE10hipError_tPvRmT3_T4_T5_T6_T7_T9_mT8_P12ihipStream_tbDpT10_ENKUlT_T0_E_clISt17integral_constantIbLb1EES19_EEDaS14_S15_EUlS14_E_NS1_11comp_targetILNS1_3genE4ELNS1_11target_archE910ELNS1_3gpuE8ELNS1_3repE0EEENS1_30default_config_static_selectorELNS0_4arch9wavefront6targetE1EEEvT1_
	.p2align	8
	.type	_ZN7rocprim17ROCPRIM_400000_NS6detail17trampoline_kernelINS0_14default_configENS1_25partition_config_selectorILNS1_17partition_subalgoE0EsNS0_10empty_typeEbEEZZNS1_14partition_implILS5_0ELb0ES3_jN6thrust23THRUST_200600_302600_NS6detail15normal_iteratorINSA_10device_ptrIsEEEEPS6_SG_NS0_5tupleIJSF_NSA_16discard_iteratorINSA_11use_defaultEEEEEENSH_IJSG_SG_EEES6_PlJ7is_evenIsEEEE10hipError_tPvRmT3_T4_T5_T6_T7_T9_mT8_P12ihipStream_tbDpT10_ENKUlT_T0_E_clISt17integral_constantIbLb1EES19_EEDaS14_S15_EUlS14_E_NS1_11comp_targetILNS1_3genE4ELNS1_11target_archE910ELNS1_3gpuE8ELNS1_3repE0EEENS1_30default_config_static_selectorELNS0_4arch9wavefront6targetE1EEEvT1_,@function
_ZN7rocprim17ROCPRIM_400000_NS6detail17trampoline_kernelINS0_14default_configENS1_25partition_config_selectorILNS1_17partition_subalgoE0EsNS0_10empty_typeEbEEZZNS1_14partition_implILS5_0ELb0ES3_jN6thrust23THRUST_200600_302600_NS6detail15normal_iteratorINSA_10device_ptrIsEEEEPS6_SG_NS0_5tupleIJSF_NSA_16discard_iteratorINSA_11use_defaultEEEEEENSH_IJSG_SG_EEES6_PlJ7is_evenIsEEEE10hipError_tPvRmT3_T4_T5_T6_T7_T9_mT8_P12ihipStream_tbDpT10_ENKUlT_T0_E_clISt17integral_constantIbLb1EES19_EEDaS14_S15_EUlS14_E_NS1_11comp_targetILNS1_3genE4ELNS1_11target_archE910ELNS1_3gpuE8ELNS1_3repE0EEENS1_30default_config_static_selectorELNS0_4arch9wavefront6targetE1EEEvT1_: ; @_ZN7rocprim17ROCPRIM_400000_NS6detail17trampoline_kernelINS0_14default_configENS1_25partition_config_selectorILNS1_17partition_subalgoE0EsNS0_10empty_typeEbEEZZNS1_14partition_implILS5_0ELb0ES3_jN6thrust23THRUST_200600_302600_NS6detail15normal_iteratorINSA_10device_ptrIsEEEEPS6_SG_NS0_5tupleIJSF_NSA_16discard_iteratorINSA_11use_defaultEEEEEENSH_IJSG_SG_EEES6_PlJ7is_evenIsEEEE10hipError_tPvRmT3_T4_T5_T6_T7_T9_mT8_P12ihipStream_tbDpT10_ENKUlT_T0_E_clISt17integral_constantIbLb1EES19_EEDaS14_S15_EUlS14_E_NS1_11comp_targetILNS1_3genE4ELNS1_11target_archE910ELNS1_3gpuE8ELNS1_3repE0EEENS1_30default_config_static_selectorELNS0_4arch9wavefront6targetE1EEEvT1_
; %bb.0:
	.section	.rodata,"a",@progbits
	.p2align	6, 0x0
	.amdhsa_kernel _ZN7rocprim17ROCPRIM_400000_NS6detail17trampoline_kernelINS0_14default_configENS1_25partition_config_selectorILNS1_17partition_subalgoE0EsNS0_10empty_typeEbEEZZNS1_14partition_implILS5_0ELb0ES3_jN6thrust23THRUST_200600_302600_NS6detail15normal_iteratorINSA_10device_ptrIsEEEEPS6_SG_NS0_5tupleIJSF_NSA_16discard_iteratorINSA_11use_defaultEEEEEENSH_IJSG_SG_EEES6_PlJ7is_evenIsEEEE10hipError_tPvRmT3_T4_T5_T6_T7_T9_mT8_P12ihipStream_tbDpT10_ENKUlT_T0_E_clISt17integral_constantIbLb1EES19_EEDaS14_S15_EUlS14_E_NS1_11comp_targetILNS1_3genE4ELNS1_11target_archE910ELNS1_3gpuE8ELNS1_3repE0EEENS1_30default_config_static_selectorELNS0_4arch9wavefront6targetE1EEEvT1_
		.amdhsa_group_segment_fixed_size 0
		.amdhsa_private_segment_fixed_size 0
		.amdhsa_kernarg_size 144
		.amdhsa_user_sgpr_count 2
		.amdhsa_user_sgpr_dispatch_ptr 0
		.amdhsa_user_sgpr_queue_ptr 0
		.amdhsa_user_sgpr_kernarg_segment_ptr 1
		.amdhsa_user_sgpr_dispatch_id 0
		.amdhsa_user_sgpr_kernarg_preload_length 0
		.amdhsa_user_sgpr_kernarg_preload_offset 0
		.amdhsa_user_sgpr_private_segment_size 0
		.amdhsa_uses_dynamic_stack 0
		.amdhsa_enable_private_segment 0
		.amdhsa_system_sgpr_workgroup_id_x 1
		.amdhsa_system_sgpr_workgroup_id_y 0
		.amdhsa_system_sgpr_workgroup_id_z 0
		.amdhsa_system_sgpr_workgroup_info 0
		.amdhsa_system_vgpr_workitem_id 0
		.amdhsa_next_free_vgpr 1
		.amdhsa_next_free_sgpr 0
		.amdhsa_accum_offset 4
		.amdhsa_reserve_vcc 0
		.amdhsa_float_round_mode_32 0
		.amdhsa_float_round_mode_16_64 0
		.amdhsa_float_denorm_mode_32 3
		.amdhsa_float_denorm_mode_16_64 3
		.amdhsa_dx10_clamp 1
		.amdhsa_ieee_mode 1
		.amdhsa_fp16_overflow 0
		.amdhsa_tg_split 0
		.amdhsa_exception_fp_ieee_invalid_op 0
		.amdhsa_exception_fp_denorm_src 0
		.amdhsa_exception_fp_ieee_div_zero 0
		.amdhsa_exception_fp_ieee_overflow 0
		.amdhsa_exception_fp_ieee_underflow 0
		.amdhsa_exception_fp_ieee_inexact 0
		.amdhsa_exception_int_div_zero 0
	.end_amdhsa_kernel
	.section	.text._ZN7rocprim17ROCPRIM_400000_NS6detail17trampoline_kernelINS0_14default_configENS1_25partition_config_selectorILNS1_17partition_subalgoE0EsNS0_10empty_typeEbEEZZNS1_14partition_implILS5_0ELb0ES3_jN6thrust23THRUST_200600_302600_NS6detail15normal_iteratorINSA_10device_ptrIsEEEEPS6_SG_NS0_5tupleIJSF_NSA_16discard_iteratorINSA_11use_defaultEEEEEENSH_IJSG_SG_EEES6_PlJ7is_evenIsEEEE10hipError_tPvRmT3_T4_T5_T6_T7_T9_mT8_P12ihipStream_tbDpT10_ENKUlT_T0_E_clISt17integral_constantIbLb1EES19_EEDaS14_S15_EUlS14_E_NS1_11comp_targetILNS1_3genE4ELNS1_11target_archE910ELNS1_3gpuE8ELNS1_3repE0EEENS1_30default_config_static_selectorELNS0_4arch9wavefront6targetE1EEEvT1_,"axG",@progbits,_ZN7rocprim17ROCPRIM_400000_NS6detail17trampoline_kernelINS0_14default_configENS1_25partition_config_selectorILNS1_17partition_subalgoE0EsNS0_10empty_typeEbEEZZNS1_14partition_implILS5_0ELb0ES3_jN6thrust23THRUST_200600_302600_NS6detail15normal_iteratorINSA_10device_ptrIsEEEEPS6_SG_NS0_5tupleIJSF_NSA_16discard_iteratorINSA_11use_defaultEEEEEENSH_IJSG_SG_EEES6_PlJ7is_evenIsEEEE10hipError_tPvRmT3_T4_T5_T6_T7_T9_mT8_P12ihipStream_tbDpT10_ENKUlT_T0_E_clISt17integral_constantIbLb1EES19_EEDaS14_S15_EUlS14_E_NS1_11comp_targetILNS1_3genE4ELNS1_11target_archE910ELNS1_3gpuE8ELNS1_3repE0EEENS1_30default_config_static_selectorELNS0_4arch9wavefront6targetE1EEEvT1_,comdat
.Lfunc_end2821:
	.size	_ZN7rocprim17ROCPRIM_400000_NS6detail17trampoline_kernelINS0_14default_configENS1_25partition_config_selectorILNS1_17partition_subalgoE0EsNS0_10empty_typeEbEEZZNS1_14partition_implILS5_0ELb0ES3_jN6thrust23THRUST_200600_302600_NS6detail15normal_iteratorINSA_10device_ptrIsEEEEPS6_SG_NS0_5tupleIJSF_NSA_16discard_iteratorINSA_11use_defaultEEEEEENSH_IJSG_SG_EEES6_PlJ7is_evenIsEEEE10hipError_tPvRmT3_T4_T5_T6_T7_T9_mT8_P12ihipStream_tbDpT10_ENKUlT_T0_E_clISt17integral_constantIbLb1EES19_EEDaS14_S15_EUlS14_E_NS1_11comp_targetILNS1_3genE4ELNS1_11target_archE910ELNS1_3gpuE8ELNS1_3repE0EEENS1_30default_config_static_selectorELNS0_4arch9wavefront6targetE1EEEvT1_, .Lfunc_end2821-_ZN7rocprim17ROCPRIM_400000_NS6detail17trampoline_kernelINS0_14default_configENS1_25partition_config_selectorILNS1_17partition_subalgoE0EsNS0_10empty_typeEbEEZZNS1_14partition_implILS5_0ELb0ES3_jN6thrust23THRUST_200600_302600_NS6detail15normal_iteratorINSA_10device_ptrIsEEEEPS6_SG_NS0_5tupleIJSF_NSA_16discard_iteratorINSA_11use_defaultEEEEEENSH_IJSG_SG_EEES6_PlJ7is_evenIsEEEE10hipError_tPvRmT3_T4_T5_T6_T7_T9_mT8_P12ihipStream_tbDpT10_ENKUlT_T0_E_clISt17integral_constantIbLb1EES19_EEDaS14_S15_EUlS14_E_NS1_11comp_targetILNS1_3genE4ELNS1_11target_archE910ELNS1_3gpuE8ELNS1_3repE0EEENS1_30default_config_static_selectorELNS0_4arch9wavefront6targetE1EEEvT1_
                                        ; -- End function
	.section	.AMDGPU.csdata,"",@progbits
; Kernel info:
; codeLenInByte = 0
; NumSgprs: 6
; NumVgprs: 0
; NumAgprs: 0
; TotalNumVgprs: 0
; ScratchSize: 0
; MemoryBound: 0
; FloatMode: 240
; IeeeMode: 1
; LDSByteSize: 0 bytes/workgroup (compile time only)
; SGPRBlocks: 0
; VGPRBlocks: 0
; NumSGPRsForWavesPerEU: 6
; NumVGPRsForWavesPerEU: 1
; AccumOffset: 4
; Occupancy: 8
; WaveLimiterHint : 0
; COMPUTE_PGM_RSRC2:SCRATCH_EN: 0
; COMPUTE_PGM_RSRC2:USER_SGPR: 2
; COMPUTE_PGM_RSRC2:TRAP_HANDLER: 0
; COMPUTE_PGM_RSRC2:TGID_X_EN: 1
; COMPUTE_PGM_RSRC2:TGID_Y_EN: 0
; COMPUTE_PGM_RSRC2:TGID_Z_EN: 0
; COMPUTE_PGM_RSRC2:TIDIG_COMP_CNT: 0
; COMPUTE_PGM_RSRC3_GFX90A:ACCUM_OFFSET: 0
; COMPUTE_PGM_RSRC3_GFX90A:TG_SPLIT: 0
	.section	.text._ZN7rocprim17ROCPRIM_400000_NS6detail17trampoline_kernelINS0_14default_configENS1_25partition_config_selectorILNS1_17partition_subalgoE0EsNS0_10empty_typeEbEEZZNS1_14partition_implILS5_0ELb0ES3_jN6thrust23THRUST_200600_302600_NS6detail15normal_iteratorINSA_10device_ptrIsEEEEPS6_SG_NS0_5tupleIJSF_NSA_16discard_iteratorINSA_11use_defaultEEEEEENSH_IJSG_SG_EEES6_PlJ7is_evenIsEEEE10hipError_tPvRmT3_T4_T5_T6_T7_T9_mT8_P12ihipStream_tbDpT10_ENKUlT_T0_E_clISt17integral_constantIbLb1EES19_EEDaS14_S15_EUlS14_E_NS1_11comp_targetILNS1_3genE3ELNS1_11target_archE908ELNS1_3gpuE7ELNS1_3repE0EEENS1_30default_config_static_selectorELNS0_4arch9wavefront6targetE1EEEvT1_,"axG",@progbits,_ZN7rocprim17ROCPRIM_400000_NS6detail17trampoline_kernelINS0_14default_configENS1_25partition_config_selectorILNS1_17partition_subalgoE0EsNS0_10empty_typeEbEEZZNS1_14partition_implILS5_0ELb0ES3_jN6thrust23THRUST_200600_302600_NS6detail15normal_iteratorINSA_10device_ptrIsEEEEPS6_SG_NS0_5tupleIJSF_NSA_16discard_iteratorINSA_11use_defaultEEEEEENSH_IJSG_SG_EEES6_PlJ7is_evenIsEEEE10hipError_tPvRmT3_T4_T5_T6_T7_T9_mT8_P12ihipStream_tbDpT10_ENKUlT_T0_E_clISt17integral_constantIbLb1EES19_EEDaS14_S15_EUlS14_E_NS1_11comp_targetILNS1_3genE3ELNS1_11target_archE908ELNS1_3gpuE7ELNS1_3repE0EEENS1_30default_config_static_selectorELNS0_4arch9wavefront6targetE1EEEvT1_,comdat
	.protected	_ZN7rocprim17ROCPRIM_400000_NS6detail17trampoline_kernelINS0_14default_configENS1_25partition_config_selectorILNS1_17partition_subalgoE0EsNS0_10empty_typeEbEEZZNS1_14partition_implILS5_0ELb0ES3_jN6thrust23THRUST_200600_302600_NS6detail15normal_iteratorINSA_10device_ptrIsEEEEPS6_SG_NS0_5tupleIJSF_NSA_16discard_iteratorINSA_11use_defaultEEEEEENSH_IJSG_SG_EEES6_PlJ7is_evenIsEEEE10hipError_tPvRmT3_T4_T5_T6_T7_T9_mT8_P12ihipStream_tbDpT10_ENKUlT_T0_E_clISt17integral_constantIbLb1EES19_EEDaS14_S15_EUlS14_E_NS1_11comp_targetILNS1_3genE3ELNS1_11target_archE908ELNS1_3gpuE7ELNS1_3repE0EEENS1_30default_config_static_selectorELNS0_4arch9wavefront6targetE1EEEvT1_ ; -- Begin function _ZN7rocprim17ROCPRIM_400000_NS6detail17trampoline_kernelINS0_14default_configENS1_25partition_config_selectorILNS1_17partition_subalgoE0EsNS0_10empty_typeEbEEZZNS1_14partition_implILS5_0ELb0ES3_jN6thrust23THRUST_200600_302600_NS6detail15normal_iteratorINSA_10device_ptrIsEEEEPS6_SG_NS0_5tupleIJSF_NSA_16discard_iteratorINSA_11use_defaultEEEEEENSH_IJSG_SG_EEES6_PlJ7is_evenIsEEEE10hipError_tPvRmT3_T4_T5_T6_T7_T9_mT8_P12ihipStream_tbDpT10_ENKUlT_T0_E_clISt17integral_constantIbLb1EES19_EEDaS14_S15_EUlS14_E_NS1_11comp_targetILNS1_3genE3ELNS1_11target_archE908ELNS1_3gpuE7ELNS1_3repE0EEENS1_30default_config_static_selectorELNS0_4arch9wavefront6targetE1EEEvT1_
	.globl	_ZN7rocprim17ROCPRIM_400000_NS6detail17trampoline_kernelINS0_14default_configENS1_25partition_config_selectorILNS1_17partition_subalgoE0EsNS0_10empty_typeEbEEZZNS1_14partition_implILS5_0ELb0ES3_jN6thrust23THRUST_200600_302600_NS6detail15normal_iteratorINSA_10device_ptrIsEEEEPS6_SG_NS0_5tupleIJSF_NSA_16discard_iteratorINSA_11use_defaultEEEEEENSH_IJSG_SG_EEES6_PlJ7is_evenIsEEEE10hipError_tPvRmT3_T4_T5_T6_T7_T9_mT8_P12ihipStream_tbDpT10_ENKUlT_T0_E_clISt17integral_constantIbLb1EES19_EEDaS14_S15_EUlS14_E_NS1_11comp_targetILNS1_3genE3ELNS1_11target_archE908ELNS1_3gpuE7ELNS1_3repE0EEENS1_30default_config_static_selectorELNS0_4arch9wavefront6targetE1EEEvT1_
	.p2align	8
	.type	_ZN7rocprim17ROCPRIM_400000_NS6detail17trampoline_kernelINS0_14default_configENS1_25partition_config_selectorILNS1_17partition_subalgoE0EsNS0_10empty_typeEbEEZZNS1_14partition_implILS5_0ELb0ES3_jN6thrust23THRUST_200600_302600_NS6detail15normal_iteratorINSA_10device_ptrIsEEEEPS6_SG_NS0_5tupleIJSF_NSA_16discard_iteratorINSA_11use_defaultEEEEEENSH_IJSG_SG_EEES6_PlJ7is_evenIsEEEE10hipError_tPvRmT3_T4_T5_T6_T7_T9_mT8_P12ihipStream_tbDpT10_ENKUlT_T0_E_clISt17integral_constantIbLb1EES19_EEDaS14_S15_EUlS14_E_NS1_11comp_targetILNS1_3genE3ELNS1_11target_archE908ELNS1_3gpuE7ELNS1_3repE0EEENS1_30default_config_static_selectorELNS0_4arch9wavefront6targetE1EEEvT1_,@function
_ZN7rocprim17ROCPRIM_400000_NS6detail17trampoline_kernelINS0_14default_configENS1_25partition_config_selectorILNS1_17partition_subalgoE0EsNS0_10empty_typeEbEEZZNS1_14partition_implILS5_0ELb0ES3_jN6thrust23THRUST_200600_302600_NS6detail15normal_iteratorINSA_10device_ptrIsEEEEPS6_SG_NS0_5tupleIJSF_NSA_16discard_iteratorINSA_11use_defaultEEEEEENSH_IJSG_SG_EEES6_PlJ7is_evenIsEEEE10hipError_tPvRmT3_T4_T5_T6_T7_T9_mT8_P12ihipStream_tbDpT10_ENKUlT_T0_E_clISt17integral_constantIbLb1EES19_EEDaS14_S15_EUlS14_E_NS1_11comp_targetILNS1_3genE3ELNS1_11target_archE908ELNS1_3gpuE7ELNS1_3repE0EEENS1_30default_config_static_selectorELNS0_4arch9wavefront6targetE1EEEvT1_: ; @_ZN7rocprim17ROCPRIM_400000_NS6detail17trampoline_kernelINS0_14default_configENS1_25partition_config_selectorILNS1_17partition_subalgoE0EsNS0_10empty_typeEbEEZZNS1_14partition_implILS5_0ELb0ES3_jN6thrust23THRUST_200600_302600_NS6detail15normal_iteratorINSA_10device_ptrIsEEEEPS6_SG_NS0_5tupleIJSF_NSA_16discard_iteratorINSA_11use_defaultEEEEEENSH_IJSG_SG_EEES6_PlJ7is_evenIsEEEE10hipError_tPvRmT3_T4_T5_T6_T7_T9_mT8_P12ihipStream_tbDpT10_ENKUlT_T0_E_clISt17integral_constantIbLb1EES19_EEDaS14_S15_EUlS14_E_NS1_11comp_targetILNS1_3genE3ELNS1_11target_archE908ELNS1_3gpuE7ELNS1_3repE0EEENS1_30default_config_static_selectorELNS0_4arch9wavefront6targetE1EEEvT1_
; %bb.0:
	.section	.rodata,"a",@progbits
	.p2align	6, 0x0
	.amdhsa_kernel _ZN7rocprim17ROCPRIM_400000_NS6detail17trampoline_kernelINS0_14default_configENS1_25partition_config_selectorILNS1_17partition_subalgoE0EsNS0_10empty_typeEbEEZZNS1_14partition_implILS5_0ELb0ES3_jN6thrust23THRUST_200600_302600_NS6detail15normal_iteratorINSA_10device_ptrIsEEEEPS6_SG_NS0_5tupleIJSF_NSA_16discard_iteratorINSA_11use_defaultEEEEEENSH_IJSG_SG_EEES6_PlJ7is_evenIsEEEE10hipError_tPvRmT3_T4_T5_T6_T7_T9_mT8_P12ihipStream_tbDpT10_ENKUlT_T0_E_clISt17integral_constantIbLb1EES19_EEDaS14_S15_EUlS14_E_NS1_11comp_targetILNS1_3genE3ELNS1_11target_archE908ELNS1_3gpuE7ELNS1_3repE0EEENS1_30default_config_static_selectorELNS0_4arch9wavefront6targetE1EEEvT1_
		.amdhsa_group_segment_fixed_size 0
		.amdhsa_private_segment_fixed_size 0
		.amdhsa_kernarg_size 144
		.amdhsa_user_sgpr_count 2
		.amdhsa_user_sgpr_dispatch_ptr 0
		.amdhsa_user_sgpr_queue_ptr 0
		.amdhsa_user_sgpr_kernarg_segment_ptr 1
		.amdhsa_user_sgpr_dispatch_id 0
		.amdhsa_user_sgpr_kernarg_preload_length 0
		.amdhsa_user_sgpr_kernarg_preload_offset 0
		.amdhsa_user_sgpr_private_segment_size 0
		.amdhsa_uses_dynamic_stack 0
		.amdhsa_enable_private_segment 0
		.amdhsa_system_sgpr_workgroup_id_x 1
		.amdhsa_system_sgpr_workgroup_id_y 0
		.amdhsa_system_sgpr_workgroup_id_z 0
		.amdhsa_system_sgpr_workgroup_info 0
		.amdhsa_system_vgpr_workitem_id 0
		.amdhsa_next_free_vgpr 1
		.amdhsa_next_free_sgpr 0
		.amdhsa_accum_offset 4
		.amdhsa_reserve_vcc 0
		.amdhsa_float_round_mode_32 0
		.amdhsa_float_round_mode_16_64 0
		.amdhsa_float_denorm_mode_32 3
		.amdhsa_float_denorm_mode_16_64 3
		.amdhsa_dx10_clamp 1
		.amdhsa_ieee_mode 1
		.amdhsa_fp16_overflow 0
		.amdhsa_tg_split 0
		.amdhsa_exception_fp_ieee_invalid_op 0
		.amdhsa_exception_fp_denorm_src 0
		.amdhsa_exception_fp_ieee_div_zero 0
		.amdhsa_exception_fp_ieee_overflow 0
		.amdhsa_exception_fp_ieee_underflow 0
		.amdhsa_exception_fp_ieee_inexact 0
		.amdhsa_exception_int_div_zero 0
	.end_amdhsa_kernel
	.section	.text._ZN7rocprim17ROCPRIM_400000_NS6detail17trampoline_kernelINS0_14default_configENS1_25partition_config_selectorILNS1_17partition_subalgoE0EsNS0_10empty_typeEbEEZZNS1_14partition_implILS5_0ELb0ES3_jN6thrust23THRUST_200600_302600_NS6detail15normal_iteratorINSA_10device_ptrIsEEEEPS6_SG_NS0_5tupleIJSF_NSA_16discard_iteratorINSA_11use_defaultEEEEEENSH_IJSG_SG_EEES6_PlJ7is_evenIsEEEE10hipError_tPvRmT3_T4_T5_T6_T7_T9_mT8_P12ihipStream_tbDpT10_ENKUlT_T0_E_clISt17integral_constantIbLb1EES19_EEDaS14_S15_EUlS14_E_NS1_11comp_targetILNS1_3genE3ELNS1_11target_archE908ELNS1_3gpuE7ELNS1_3repE0EEENS1_30default_config_static_selectorELNS0_4arch9wavefront6targetE1EEEvT1_,"axG",@progbits,_ZN7rocprim17ROCPRIM_400000_NS6detail17trampoline_kernelINS0_14default_configENS1_25partition_config_selectorILNS1_17partition_subalgoE0EsNS0_10empty_typeEbEEZZNS1_14partition_implILS5_0ELb0ES3_jN6thrust23THRUST_200600_302600_NS6detail15normal_iteratorINSA_10device_ptrIsEEEEPS6_SG_NS0_5tupleIJSF_NSA_16discard_iteratorINSA_11use_defaultEEEEEENSH_IJSG_SG_EEES6_PlJ7is_evenIsEEEE10hipError_tPvRmT3_T4_T5_T6_T7_T9_mT8_P12ihipStream_tbDpT10_ENKUlT_T0_E_clISt17integral_constantIbLb1EES19_EEDaS14_S15_EUlS14_E_NS1_11comp_targetILNS1_3genE3ELNS1_11target_archE908ELNS1_3gpuE7ELNS1_3repE0EEENS1_30default_config_static_selectorELNS0_4arch9wavefront6targetE1EEEvT1_,comdat
.Lfunc_end2822:
	.size	_ZN7rocprim17ROCPRIM_400000_NS6detail17trampoline_kernelINS0_14default_configENS1_25partition_config_selectorILNS1_17partition_subalgoE0EsNS0_10empty_typeEbEEZZNS1_14partition_implILS5_0ELb0ES3_jN6thrust23THRUST_200600_302600_NS6detail15normal_iteratorINSA_10device_ptrIsEEEEPS6_SG_NS0_5tupleIJSF_NSA_16discard_iteratorINSA_11use_defaultEEEEEENSH_IJSG_SG_EEES6_PlJ7is_evenIsEEEE10hipError_tPvRmT3_T4_T5_T6_T7_T9_mT8_P12ihipStream_tbDpT10_ENKUlT_T0_E_clISt17integral_constantIbLb1EES19_EEDaS14_S15_EUlS14_E_NS1_11comp_targetILNS1_3genE3ELNS1_11target_archE908ELNS1_3gpuE7ELNS1_3repE0EEENS1_30default_config_static_selectorELNS0_4arch9wavefront6targetE1EEEvT1_, .Lfunc_end2822-_ZN7rocprim17ROCPRIM_400000_NS6detail17trampoline_kernelINS0_14default_configENS1_25partition_config_selectorILNS1_17partition_subalgoE0EsNS0_10empty_typeEbEEZZNS1_14partition_implILS5_0ELb0ES3_jN6thrust23THRUST_200600_302600_NS6detail15normal_iteratorINSA_10device_ptrIsEEEEPS6_SG_NS0_5tupleIJSF_NSA_16discard_iteratorINSA_11use_defaultEEEEEENSH_IJSG_SG_EEES6_PlJ7is_evenIsEEEE10hipError_tPvRmT3_T4_T5_T6_T7_T9_mT8_P12ihipStream_tbDpT10_ENKUlT_T0_E_clISt17integral_constantIbLb1EES19_EEDaS14_S15_EUlS14_E_NS1_11comp_targetILNS1_3genE3ELNS1_11target_archE908ELNS1_3gpuE7ELNS1_3repE0EEENS1_30default_config_static_selectorELNS0_4arch9wavefront6targetE1EEEvT1_
                                        ; -- End function
	.section	.AMDGPU.csdata,"",@progbits
; Kernel info:
; codeLenInByte = 0
; NumSgprs: 6
; NumVgprs: 0
; NumAgprs: 0
; TotalNumVgprs: 0
; ScratchSize: 0
; MemoryBound: 0
; FloatMode: 240
; IeeeMode: 1
; LDSByteSize: 0 bytes/workgroup (compile time only)
; SGPRBlocks: 0
; VGPRBlocks: 0
; NumSGPRsForWavesPerEU: 6
; NumVGPRsForWavesPerEU: 1
; AccumOffset: 4
; Occupancy: 8
; WaveLimiterHint : 0
; COMPUTE_PGM_RSRC2:SCRATCH_EN: 0
; COMPUTE_PGM_RSRC2:USER_SGPR: 2
; COMPUTE_PGM_RSRC2:TRAP_HANDLER: 0
; COMPUTE_PGM_RSRC2:TGID_X_EN: 1
; COMPUTE_PGM_RSRC2:TGID_Y_EN: 0
; COMPUTE_PGM_RSRC2:TGID_Z_EN: 0
; COMPUTE_PGM_RSRC2:TIDIG_COMP_CNT: 0
; COMPUTE_PGM_RSRC3_GFX90A:ACCUM_OFFSET: 0
; COMPUTE_PGM_RSRC3_GFX90A:TG_SPLIT: 0
	.section	.text._ZN7rocprim17ROCPRIM_400000_NS6detail17trampoline_kernelINS0_14default_configENS1_25partition_config_selectorILNS1_17partition_subalgoE0EsNS0_10empty_typeEbEEZZNS1_14partition_implILS5_0ELb0ES3_jN6thrust23THRUST_200600_302600_NS6detail15normal_iteratorINSA_10device_ptrIsEEEEPS6_SG_NS0_5tupleIJSF_NSA_16discard_iteratorINSA_11use_defaultEEEEEENSH_IJSG_SG_EEES6_PlJ7is_evenIsEEEE10hipError_tPvRmT3_T4_T5_T6_T7_T9_mT8_P12ihipStream_tbDpT10_ENKUlT_T0_E_clISt17integral_constantIbLb1EES19_EEDaS14_S15_EUlS14_E_NS1_11comp_targetILNS1_3genE2ELNS1_11target_archE906ELNS1_3gpuE6ELNS1_3repE0EEENS1_30default_config_static_selectorELNS0_4arch9wavefront6targetE1EEEvT1_,"axG",@progbits,_ZN7rocprim17ROCPRIM_400000_NS6detail17trampoline_kernelINS0_14default_configENS1_25partition_config_selectorILNS1_17partition_subalgoE0EsNS0_10empty_typeEbEEZZNS1_14partition_implILS5_0ELb0ES3_jN6thrust23THRUST_200600_302600_NS6detail15normal_iteratorINSA_10device_ptrIsEEEEPS6_SG_NS0_5tupleIJSF_NSA_16discard_iteratorINSA_11use_defaultEEEEEENSH_IJSG_SG_EEES6_PlJ7is_evenIsEEEE10hipError_tPvRmT3_T4_T5_T6_T7_T9_mT8_P12ihipStream_tbDpT10_ENKUlT_T0_E_clISt17integral_constantIbLb1EES19_EEDaS14_S15_EUlS14_E_NS1_11comp_targetILNS1_3genE2ELNS1_11target_archE906ELNS1_3gpuE6ELNS1_3repE0EEENS1_30default_config_static_selectorELNS0_4arch9wavefront6targetE1EEEvT1_,comdat
	.protected	_ZN7rocprim17ROCPRIM_400000_NS6detail17trampoline_kernelINS0_14default_configENS1_25partition_config_selectorILNS1_17partition_subalgoE0EsNS0_10empty_typeEbEEZZNS1_14partition_implILS5_0ELb0ES3_jN6thrust23THRUST_200600_302600_NS6detail15normal_iteratorINSA_10device_ptrIsEEEEPS6_SG_NS0_5tupleIJSF_NSA_16discard_iteratorINSA_11use_defaultEEEEEENSH_IJSG_SG_EEES6_PlJ7is_evenIsEEEE10hipError_tPvRmT3_T4_T5_T6_T7_T9_mT8_P12ihipStream_tbDpT10_ENKUlT_T0_E_clISt17integral_constantIbLb1EES19_EEDaS14_S15_EUlS14_E_NS1_11comp_targetILNS1_3genE2ELNS1_11target_archE906ELNS1_3gpuE6ELNS1_3repE0EEENS1_30default_config_static_selectorELNS0_4arch9wavefront6targetE1EEEvT1_ ; -- Begin function _ZN7rocprim17ROCPRIM_400000_NS6detail17trampoline_kernelINS0_14default_configENS1_25partition_config_selectorILNS1_17partition_subalgoE0EsNS0_10empty_typeEbEEZZNS1_14partition_implILS5_0ELb0ES3_jN6thrust23THRUST_200600_302600_NS6detail15normal_iteratorINSA_10device_ptrIsEEEEPS6_SG_NS0_5tupleIJSF_NSA_16discard_iteratorINSA_11use_defaultEEEEEENSH_IJSG_SG_EEES6_PlJ7is_evenIsEEEE10hipError_tPvRmT3_T4_T5_T6_T7_T9_mT8_P12ihipStream_tbDpT10_ENKUlT_T0_E_clISt17integral_constantIbLb1EES19_EEDaS14_S15_EUlS14_E_NS1_11comp_targetILNS1_3genE2ELNS1_11target_archE906ELNS1_3gpuE6ELNS1_3repE0EEENS1_30default_config_static_selectorELNS0_4arch9wavefront6targetE1EEEvT1_
	.globl	_ZN7rocprim17ROCPRIM_400000_NS6detail17trampoline_kernelINS0_14default_configENS1_25partition_config_selectorILNS1_17partition_subalgoE0EsNS0_10empty_typeEbEEZZNS1_14partition_implILS5_0ELb0ES3_jN6thrust23THRUST_200600_302600_NS6detail15normal_iteratorINSA_10device_ptrIsEEEEPS6_SG_NS0_5tupleIJSF_NSA_16discard_iteratorINSA_11use_defaultEEEEEENSH_IJSG_SG_EEES6_PlJ7is_evenIsEEEE10hipError_tPvRmT3_T4_T5_T6_T7_T9_mT8_P12ihipStream_tbDpT10_ENKUlT_T0_E_clISt17integral_constantIbLb1EES19_EEDaS14_S15_EUlS14_E_NS1_11comp_targetILNS1_3genE2ELNS1_11target_archE906ELNS1_3gpuE6ELNS1_3repE0EEENS1_30default_config_static_selectorELNS0_4arch9wavefront6targetE1EEEvT1_
	.p2align	8
	.type	_ZN7rocprim17ROCPRIM_400000_NS6detail17trampoline_kernelINS0_14default_configENS1_25partition_config_selectorILNS1_17partition_subalgoE0EsNS0_10empty_typeEbEEZZNS1_14partition_implILS5_0ELb0ES3_jN6thrust23THRUST_200600_302600_NS6detail15normal_iteratorINSA_10device_ptrIsEEEEPS6_SG_NS0_5tupleIJSF_NSA_16discard_iteratorINSA_11use_defaultEEEEEENSH_IJSG_SG_EEES6_PlJ7is_evenIsEEEE10hipError_tPvRmT3_T4_T5_T6_T7_T9_mT8_P12ihipStream_tbDpT10_ENKUlT_T0_E_clISt17integral_constantIbLb1EES19_EEDaS14_S15_EUlS14_E_NS1_11comp_targetILNS1_3genE2ELNS1_11target_archE906ELNS1_3gpuE6ELNS1_3repE0EEENS1_30default_config_static_selectorELNS0_4arch9wavefront6targetE1EEEvT1_,@function
_ZN7rocprim17ROCPRIM_400000_NS6detail17trampoline_kernelINS0_14default_configENS1_25partition_config_selectorILNS1_17partition_subalgoE0EsNS0_10empty_typeEbEEZZNS1_14partition_implILS5_0ELb0ES3_jN6thrust23THRUST_200600_302600_NS6detail15normal_iteratorINSA_10device_ptrIsEEEEPS6_SG_NS0_5tupleIJSF_NSA_16discard_iteratorINSA_11use_defaultEEEEEENSH_IJSG_SG_EEES6_PlJ7is_evenIsEEEE10hipError_tPvRmT3_T4_T5_T6_T7_T9_mT8_P12ihipStream_tbDpT10_ENKUlT_T0_E_clISt17integral_constantIbLb1EES19_EEDaS14_S15_EUlS14_E_NS1_11comp_targetILNS1_3genE2ELNS1_11target_archE906ELNS1_3gpuE6ELNS1_3repE0EEENS1_30default_config_static_selectorELNS0_4arch9wavefront6targetE1EEEvT1_: ; @_ZN7rocprim17ROCPRIM_400000_NS6detail17trampoline_kernelINS0_14default_configENS1_25partition_config_selectorILNS1_17partition_subalgoE0EsNS0_10empty_typeEbEEZZNS1_14partition_implILS5_0ELb0ES3_jN6thrust23THRUST_200600_302600_NS6detail15normal_iteratorINSA_10device_ptrIsEEEEPS6_SG_NS0_5tupleIJSF_NSA_16discard_iteratorINSA_11use_defaultEEEEEENSH_IJSG_SG_EEES6_PlJ7is_evenIsEEEE10hipError_tPvRmT3_T4_T5_T6_T7_T9_mT8_P12ihipStream_tbDpT10_ENKUlT_T0_E_clISt17integral_constantIbLb1EES19_EEDaS14_S15_EUlS14_E_NS1_11comp_targetILNS1_3genE2ELNS1_11target_archE906ELNS1_3gpuE6ELNS1_3repE0EEENS1_30default_config_static_selectorELNS0_4arch9wavefront6targetE1EEEvT1_
; %bb.0:
	.section	.rodata,"a",@progbits
	.p2align	6, 0x0
	.amdhsa_kernel _ZN7rocprim17ROCPRIM_400000_NS6detail17trampoline_kernelINS0_14default_configENS1_25partition_config_selectorILNS1_17partition_subalgoE0EsNS0_10empty_typeEbEEZZNS1_14partition_implILS5_0ELb0ES3_jN6thrust23THRUST_200600_302600_NS6detail15normal_iteratorINSA_10device_ptrIsEEEEPS6_SG_NS0_5tupleIJSF_NSA_16discard_iteratorINSA_11use_defaultEEEEEENSH_IJSG_SG_EEES6_PlJ7is_evenIsEEEE10hipError_tPvRmT3_T4_T5_T6_T7_T9_mT8_P12ihipStream_tbDpT10_ENKUlT_T0_E_clISt17integral_constantIbLb1EES19_EEDaS14_S15_EUlS14_E_NS1_11comp_targetILNS1_3genE2ELNS1_11target_archE906ELNS1_3gpuE6ELNS1_3repE0EEENS1_30default_config_static_selectorELNS0_4arch9wavefront6targetE1EEEvT1_
		.amdhsa_group_segment_fixed_size 0
		.amdhsa_private_segment_fixed_size 0
		.amdhsa_kernarg_size 144
		.amdhsa_user_sgpr_count 2
		.amdhsa_user_sgpr_dispatch_ptr 0
		.amdhsa_user_sgpr_queue_ptr 0
		.amdhsa_user_sgpr_kernarg_segment_ptr 1
		.amdhsa_user_sgpr_dispatch_id 0
		.amdhsa_user_sgpr_kernarg_preload_length 0
		.amdhsa_user_sgpr_kernarg_preload_offset 0
		.amdhsa_user_sgpr_private_segment_size 0
		.amdhsa_uses_dynamic_stack 0
		.amdhsa_enable_private_segment 0
		.amdhsa_system_sgpr_workgroup_id_x 1
		.amdhsa_system_sgpr_workgroup_id_y 0
		.amdhsa_system_sgpr_workgroup_id_z 0
		.amdhsa_system_sgpr_workgroup_info 0
		.amdhsa_system_vgpr_workitem_id 0
		.amdhsa_next_free_vgpr 1
		.amdhsa_next_free_sgpr 0
		.amdhsa_accum_offset 4
		.amdhsa_reserve_vcc 0
		.amdhsa_float_round_mode_32 0
		.amdhsa_float_round_mode_16_64 0
		.amdhsa_float_denorm_mode_32 3
		.amdhsa_float_denorm_mode_16_64 3
		.amdhsa_dx10_clamp 1
		.amdhsa_ieee_mode 1
		.amdhsa_fp16_overflow 0
		.amdhsa_tg_split 0
		.amdhsa_exception_fp_ieee_invalid_op 0
		.amdhsa_exception_fp_denorm_src 0
		.amdhsa_exception_fp_ieee_div_zero 0
		.amdhsa_exception_fp_ieee_overflow 0
		.amdhsa_exception_fp_ieee_underflow 0
		.amdhsa_exception_fp_ieee_inexact 0
		.amdhsa_exception_int_div_zero 0
	.end_amdhsa_kernel
	.section	.text._ZN7rocprim17ROCPRIM_400000_NS6detail17trampoline_kernelINS0_14default_configENS1_25partition_config_selectorILNS1_17partition_subalgoE0EsNS0_10empty_typeEbEEZZNS1_14partition_implILS5_0ELb0ES3_jN6thrust23THRUST_200600_302600_NS6detail15normal_iteratorINSA_10device_ptrIsEEEEPS6_SG_NS0_5tupleIJSF_NSA_16discard_iteratorINSA_11use_defaultEEEEEENSH_IJSG_SG_EEES6_PlJ7is_evenIsEEEE10hipError_tPvRmT3_T4_T5_T6_T7_T9_mT8_P12ihipStream_tbDpT10_ENKUlT_T0_E_clISt17integral_constantIbLb1EES19_EEDaS14_S15_EUlS14_E_NS1_11comp_targetILNS1_3genE2ELNS1_11target_archE906ELNS1_3gpuE6ELNS1_3repE0EEENS1_30default_config_static_selectorELNS0_4arch9wavefront6targetE1EEEvT1_,"axG",@progbits,_ZN7rocprim17ROCPRIM_400000_NS6detail17trampoline_kernelINS0_14default_configENS1_25partition_config_selectorILNS1_17partition_subalgoE0EsNS0_10empty_typeEbEEZZNS1_14partition_implILS5_0ELb0ES3_jN6thrust23THRUST_200600_302600_NS6detail15normal_iteratorINSA_10device_ptrIsEEEEPS6_SG_NS0_5tupleIJSF_NSA_16discard_iteratorINSA_11use_defaultEEEEEENSH_IJSG_SG_EEES6_PlJ7is_evenIsEEEE10hipError_tPvRmT3_T4_T5_T6_T7_T9_mT8_P12ihipStream_tbDpT10_ENKUlT_T0_E_clISt17integral_constantIbLb1EES19_EEDaS14_S15_EUlS14_E_NS1_11comp_targetILNS1_3genE2ELNS1_11target_archE906ELNS1_3gpuE6ELNS1_3repE0EEENS1_30default_config_static_selectorELNS0_4arch9wavefront6targetE1EEEvT1_,comdat
.Lfunc_end2823:
	.size	_ZN7rocprim17ROCPRIM_400000_NS6detail17trampoline_kernelINS0_14default_configENS1_25partition_config_selectorILNS1_17partition_subalgoE0EsNS0_10empty_typeEbEEZZNS1_14partition_implILS5_0ELb0ES3_jN6thrust23THRUST_200600_302600_NS6detail15normal_iteratorINSA_10device_ptrIsEEEEPS6_SG_NS0_5tupleIJSF_NSA_16discard_iteratorINSA_11use_defaultEEEEEENSH_IJSG_SG_EEES6_PlJ7is_evenIsEEEE10hipError_tPvRmT3_T4_T5_T6_T7_T9_mT8_P12ihipStream_tbDpT10_ENKUlT_T0_E_clISt17integral_constantIbLb1EES19_EEDaS14_S15_EUlS14_E_NS1_11comp_targetILNS1_3genE2ELNS1_11target_archE906ELNS1_3gpuE6ELNS1_3repE0EEENS1_30default_config_static_selectorELNS0_4arch9wavefront6targetE1EEEvT1_, .Lfunc_end2823-_ZN7rocprim17ROCPRIM_400000_NS6detail17trampoline_kernelINS0_14default_configENS1_25partition_config_selectorILNS1_17partition_subalgoE0EsNS0_10empty_typeEbEEZZNS1_14partition_implILS5_0ELb0ES3_jN6thrust23THRUST_200600_302600_NS6detail15normal_iteratorINSA_10device_ptrIsEEEEPS6_SG_NS0_5tupleIJSF_NSA_16discard_iteratorINSA_11use_defaultEEEEEENSH_IJSG_SG_EEES6_PlJ7is_evenIsEEEE10hipError_tPvRmT3_T4_T5_T6_T7_T9_mT8_P12ihipStream_tbDpT10_ENKUlT_T0_E_clISt17integral_constantIbLb1EES19_EEDaS14_S15_EUlS14_E_NS1_11comp_targetILNS1_3genE2ELNS1_11target_archE906ELNS1_3gpuE6ELNS1_3repE0EEENS1_30default_config_static_selectorELNS0_4arch9wavefront6targetE1EEEvT1_
                                        ; -- End function
	.section	.AMDGPU.csdata,"",@progbits
; Kernel info:
; codeLenInByte = 0
; NumSgprs: 6
; NumVgprs: 0
; NumAgprs: 0
; TotalNumVgprs: 0
; ScratchSize: 0
; MemoryBound: 0
; FloatMode: 240
; IeeeMode: 1
; LDSByteSize: 0 bytes/workgroup (compile time only)
; SGPRBlocks: 0
; VGPRBlocks: 0
; NumSGPRsForWavesPerEU: 6
; NumVGPRsForWavesPerEU: 1
; AccumOffset: 4
; Occupancy: 8
; WaveLimiterHint : 0
; COMPUTE_PGM_RSRC2:SCRATCH_EN: 0
; COMPUTE_PGM_RSRC2:USER_SGPR: 2
; COMPUTE_PGM_RSRC2:TRAP_HANDLER: 0
; COMPUTE_PGM_RSRC2:TGID_X_EN: 1
; COMPUTE_PGM_RSRC2:TGID_Y_EN: 0
; COMPUTE_PGM_RSRC2:TGID_Z_EN: 0
; COMPUTE_PGM_RSRC2:TIDIG_COMP_CNT: 0
; COMPUTE_PGM_RSRC3_GFX90A:ACCUM_OFFSET: 0
; COMPUTE_PGM_RSRC3_GFX90A:TG_SPLIT: 0
	.section	.text._ZN7rocprim17ROCPRIM_400000_NS6detail17trampoline_kernelINS0_14default_configENS1_25partition_config_selectorILNS1_17partition_subalgoE0EsNS0_10empty_typeEbEEZZNS1_14partition_implILS5_0ELb0ES3_jN6thrust23THRUST_200600_302600_NS6detail15normal_iteratorINSA_10device_ptrIsEEEEPS6_SG_NS0_5tupleIJSF_NSA_16discard_iteratorINSA_11use_defaultEEEEEENSH_IJSG_SG_EEES6_PlJ7is_evenIsEEEE10hipError_tPvRmT3_T4_T5_T6_T7_T9_mT8_P12ihipStream_tbDpT10_ENKUlT_T0_E_clISt17integral_constantIbLb1EES19_EEDaS14_S15_EUlS14_E_NS1_11comp_targetILNS1_3genE10ELNS1_11target_archE1200ELNS1_3gpuE4ELNS1_3repE0EEENS1_30default_config_static_selectorELNS0_4arch9wavefront6targetE1EEEvT1_,"axG",@progbits,_ZN7rocprim17ROCPRIM_400000_NS6detail17trampoline_kernelINS0_14default_configENS1_25partition_config_selectorILNS1_17partition_subalgoE0EsNS0_10empty_typeEbEEZZNS1_14partition_implILS5_0ELb0ES3_jN6thrust23THRUST_200600_302600_NS6detail15normal_iteratorINSA_10device_ptrIsEEEEPS6_SG_NS0_5tupleIJSF_NSA_16discard_iteratorINSA_11use_defaultEEEEEENSH_IJSG_SG_EEES6_PlJ7is_evenIsEEEE10hipError_tPvRmT3_T4_T5_T6_T7_T9_mT8_P12ihipStream_tbDpT10_ENKUlT_T0_E_clISt17integral_constantIbLb1EES19_EEDaS14_S15_EUlS14_E_NS1_11comp_targetILNS1_3genE10ELNS1_11target_archE1200ELNS1_3gpuE4ELNS1_3repE0EEENS1_30default_config_static_selectorELNS0_4arch9wavefront6targetE1EEEvT1_,comdat
	.protected	_ZN7rocprim17ROCPRIM_400000_NS6detail17trampoline_kernelINS0_14default_configENS1_25partition_config_selectorILNS1_17partition_subalgoE0EsNS0_10empty_typeEbEEZZNS1_14partition_implILS5_0ELb0ES3_jN6thrust23THRUST_200600_302600_NS6detail15normal_iteratorINSA_10device_ptrIsEEEEPS6_SG_NS0_5tupleIJSF_NSA_16discard_iteratorINSA_11use_defaultEEEEEENSH_IJSG_SG_EEES6_PlJ7is_evenIsEEEE10hipError_tPvRmT3_T4_T5_T6_T7_T9_mT8_P12ihipStream_tbDpT10_ENKUlT_T0_E_clISt17integral_constantIbLb1EES19_EEDaS14_S15_EUlS14_E_NS1_11comp_targetILNS1_3genE10ELNS1_11target_archE1200ELNS1_3gpuE4ELNS1_3repE0EEENS1_30default_config_static_selectorELNS0_4arch9wavefront6targetE1EEEvT1_ ; -- Begin function _ZN7rocprim17ROCPRIM_400000_NS6detail17trampoline_kernelINS0_14default_configENS1_25partition_config_selectorILNS1_17partition_subalgoE0EsNS0_10empty_typeEbEEZZNS1_14partition_implILS5_0ELb0ES3_jN6thrust23THRUST_200600_302600_NS6detail15normal_iteratorINSA_10device_ptrIsEEEEPS6_SG_NS0_5tupleIJSF_NSA_16discard_iteratorINSA_11use_defaultEEEEEENSH_IJSG_SG_EEES6_PlJ7is_evenIsEEEE10hipError_tPvRmT3_T4_T5_T6_T7_T9_mT8_P12ihipStream_tbDpT10_ENKUlT_T0_E_clISt17integral_constantIbLb1EES19_EEDaS14_S15_EUlS14_E_NS1_11comp_targetILNS1_3genE10ELNS1_11target_archE1200ELNS1_3gpuE4ELNS1_3repE0EEENS1_30default_config_static_selectorELNS0_4arch9wavefront6targetE1EEEvT1_
	.globl	_ZN7rocprim17ROCPRIM_400000_NS6detail17trampoline_kernelINS0_14default_configENS1_25partition_config_selectorILNS1_17partition_subalgoE0EsNS0_10empty_typeEbEEZZNS1_14partition_implILS5_0ELb0ES3_jN6thrust23THRUST_200600_302600_NS6detail15normal_iteratorINSA_10device_ptrIsEEEEPS6_SG_NS0_5tupleIJSF_NSA_16discard_iteratorINSA_11use_defaultEEEEEENSH_IJSG_SG_EEES6_PlJ7is_evenIsEEEE10hipError_tPvRmT3_T4_T5_T6_T7_T9_mT8_P12ihipStream_tbDpT10_ENKUlT_T0_E_clISt17integral_constantIbLb1EES19_EEDaS14_S15_EUlS14_E_NS1_11comp_targetILNS1_3genE10ELNS1_11target_archE1200ELNS1_3gpuE4ELNS1_3repE0EEENS1_30default_config_static_selectorELNS0_4arch9wavefront6targetE1EEEvT1_
	.p2align	8
	.type	_ZN7rocprim17ROCPRIM_400000_NS6detail17trampoline_kernelINS0_14default_configENS1_25partition_config_selectorILNS1_17partition_subalgoE0EsNS0_10empty_typeEbEEZZNS1_14partition_implILS5_0ELb0ES3_jN6thrust23THRUST_200600_302600_NS6detail15normal_iteratorINSA_10device_ptrIsEEEEPS6_SG_NS0_5tupleIJSF_NSA_16discard_iteratorINSA_11use_defaultEEEEEENSH_IJSG_SG_EEES6_PlJ7is_evenIsEEEE10hipError_tPvRmT3_T4_T5_T6_T7_T9_mT8_P12ihipStream_tbDpT10_ENKUlT_T0_E_clISt17integral_constantIbLb1EES19_EEDaS14_S15_EUlS14_E_NS1_11comp_targetILNS1_3genE10ELNS1_11target_archE1200ELNS1_3gpuE4ELNS1_3repE0EEENS1_30default_config_static_selectorELNS0_4arch9wavefront6targetE1EEEvT1_,@function
_ZN7rocprim17ROCPRIM_400000_NS6detail17trampoline_kernelINS0_14default_configENS1_25partition_config_selectorILNS1_17partition_subalgoE0EsNS0_10empty_typeEbEEZZNS1_14partition_implILS5_0ELb0ES3_jN6thrust23THRUST_200600_302600_NS6detail15normal_iteratorINSA_10device_ptrIsEEEEPS6_SG_NS0_5tupleIJSF_NSA_16discard_iteratorINSA_11use_defaultEEEEEENSH_IJSG_SG_EEES6_PlJ7is_evenIsEEEE10hipError_tPvRmT3_T4_T5_T6_T7_T9_mT8_P12ihipStream_tbDpT10_ENKUlT_T0_E_clISt17integral_constantIbLb1EES19_EEDaS14_S15_EUlS14_E_NS1_11comp_targetILNS1_3genE10ELNS1_11target_archE1200ELNS1_3gpuE4ELNS1_3repE0EEENS1_30default_config_static_selectorELNS0_4arch9wavefront6targetE1EEEvT1_: ; @_ZN7rocprim17ROCPRIM_400000_NS6detail17trampoline_kernelINS0_14default_configENS1_25partition_config_selectorILNS1_17partition_subalgoE0EsNS0_10empty_typeEbEEZZNS1_14partition_implILS5_0ELb0ES3_jN6thrust23THRUST_200600_302600_NS6detail15normal_iteratorINSA_10device_ptrIsEEEEPS6_SG_NS0_5tupleIJSF_NSA_16discard_iteratorINSA_11use_defaultEEEEEENSH_IJSG_SG_EEES6_PlJ7is_evenIsEEEE10hipError_tPvRmT3_T4_T5_T6_T7_T9_mT8_P12ihipStream_tbDpT10_ENKUlT_T0_E_clISt17integral_constantIbLb1EES19_EEDaS14_S15_EUlS14_E_NS1_11comp_targetILNS1_3genE10ELNS1_11target_archE1200ELNS1_3gpuE4ELNS1_3repE0EEENS1_30default_config_static_selectorELNS0_4arch9wavefront6targetE1EEEvT1_
; %bb.0:
	.section	.rodata,"a",@progbits
	.p2align	6, 0x0
	.amdhsa_kernel _ZN7rocprim17ROCPRIM_400000_NS6detail17trampoline_kernelINS0_14default_configENS1_25partition_config_selectorILNS1_17partition_subalgoE0EsNS0_10empty_typeEbEEZZNS1_14partition_implILS5_0ELb0ES3_jN6thrust23THRUST_200600_302600_NS6detail15normal_iteratorINSA_10device_ptrIsEEEEPS6_SG_NS0_5tupleIJSF_NSA_16discard_iteratorINSA_11use_defaultEEEEEENSH_IJSG_SG_EEES6_PlJ7is_evenIsEEEE10hipError_tPvRmT3_T4_T5_T6_T7_T9_mT8_P12ihipStream_tbDpT10_ENKUlT_T0_E_clISt17integral_constantIbLb1EES19_EEDaS14_S15_EUlS14_E_NS1_11comp_targetILNS1_3genE10ELNS1_11target_archE1200ELNS1_3gpuE4ELNS1_3repE0EEENS1_30default_config_static_selectorELNS0_4arch9wavefront6targetE1EEEvT1_
		.amdhsa_group_segment_fixed_size 0
		.amdhsa_private_segment_fixed_size 0
		.amdhsa_kernarg_size 144
		.amdhsa_user_sgpr_count 2
		.amdhsa_user_sgpr_dispatch_ptr 0
		.amdhsa_user_sgpr_queue_ptr 0
		.amdhsa_user_sgpr_kernarg_segment_ptr 1
		.amdhsa_user_sgpr_dispatch_id 0
		.amdhsa_user_sgpr_kernarg_preload_length 0
		.amdhsa_user_sgpr_kernarg_preload_offset 0
		.amdhsa_user_sgpr_private_segment_size 0
		.amdhsa_uses_dynamic_stack 0
		.amdhsa_enable_private_segment 0
		.amdhsa_system_sgpr_workgroup_id_x 1
		.amdhsa_system_sgpr_workgroup_id_y 0
		.amdhsa_system_sgpr_workgroup_id_z 0
		.amdhsa_system_sgpr_workgroup_info 0
		.amdhsa_system_vgpr_workitem_id 0
		.amdhsa_next_free_vgpr 1
		.amdhsa_next_free_sgpr 0
		.amdhsa_accum_offset 4
		.amdhsa_reserve_vcc 0
		.amdhsa_float_round_mode_32 0
		.amdhsa_float_round_mode_16_64 0
		.amdhsa_float_denorm_mode_32 3
		.amdhsa_float_denorm_mode_16_64 3
		.amdhsa_dx10_clamp 1
		.amdhsa_ieee_mode 1
		.amdhsa_fp16_overflow 0
		.amdhsa_tg_split 0
		.amdhsa_exception_fp_ieee_invalid_op 0
		.amdhsa_exception_fp_denorm_src 0
		.amdhsa_exception_fp_ieee_div_zero 0
		.amdhsa_exception_fp_ieee_overflow 0
		.amdhsa_exception_fp_ieee_underflow 0
		.amdhsa_exception_fp_ieee_inexact 0
		.amdhsa_exception_int_div_zero 0
	.end_amdhsa_kernel
	.section	.text._ZN7rocprim17ROCPRIM_400000_NS6detail17trampoline_kernelINS0_14default_configENS1_25partition_config_selectorILNS1_17partition_subalgoE0EsNS0_10empty_typeEbEEZZNS1_14partition_implILS5_0ELb0ES3_jN6thrust23THRUST_200600_302600_NS6detail15normal_iteratorINSA_10device_ptrIsEEEEPS6_SG_NS0_5tupleIJSF_NSA_16discard_iteratorINSA_11use_defaultEEEEEENSH_IJSG_SG_EEES6_PlJ7is_evenIsEEEE10hipError_tPvRmT3_T4_T5_T6_T7_T9_mT8_P12ihipStream_tbDpT10_ENKUlT_T0_E_clISt17integral_constantIbLb1EES19_EEDaS14_S15_EUlS14_E_NS1_11comp_targetILNS1_3genE10ELNS1_11target_archE1200ELNS1_3gpuE4ELNS1_3repE0EEENS1_30default_config_static_selectorELNS0_4arch9wavefront6targetE1EEEvT1_,"axG",@progbits,_ZN7rocprim17ROCPRIM_400000_NS6detail17trampoline_kernelINS0_14default_configENS1_25partition_config_selectorILNS1_17partition_subalgoE0EsNS0_10empty_typeEbEEZZNS1_14partition_implILS5_0ELb0ES3_jN6thrust23THRUST_200600_302600_NS6detail15normal_iteratorINSA_10device_ptrIsEEEEPS6_SG_NS0_5tupleIJSF_NSA_16discard_iteratorINSA_11use_defaultEEEEEENSH_IJSG_SG_EEES6_PlJ7is_evenIsEEEE10hipError_tPvRmT3_T4_T5_T6_T7_T9_mT8_P12ihipStream_tbDpT10_ENKUlT_T0_E_clISt17integral_constantIbLb1EES19_EEDaS14_S15_EUlS14_E_NS1_11comp_targetILNS1_3genE10ELNS1_11target_archE1200ELNS1_3gpuE4ELNS1_3repE0EEENS1_30default_config_static_selectorELNS0_4arch9wavefront6targetE1EEEvT1_,comdat
.Lfunc_end2824:
	.size	_ZN7rocprim17ROCPRIM_400000_NS6detail17trampoline_kernelINS0_14default_configENS1_25partition_config_selectorILNS1_17partition_subalgoE0EsNS0_10empty_typeEbEEZZNS1_14partition_implILS5_0ELb0ES3_jN6thrust23THRUST_200600_302600_NS6detail15normal_iteratorINSA_10device_ptrIsEEEEPS6_SG_NS0_5tupleIJSF_NSA_16discard_iteratorINSA_11use_defaultEEEEEENSH_IJSG_SG_EEES6_PlJ7is_evenIsEEEE10hipError_tPvRmT3_T4_T5_T6_T7_T9_mT8_P12ihipStream_tbDpT10_ENKUlT_T0_E_clISt17integral_constantIbLb1EES19_EEDaS14_S15_EUlS14_E_NS1_11comp_targetILNS1_3genE10ELNS1_11target_archE1200ELNS1_3gpuE4ELNS1_3repE0EEENS1_30default_config_static_selectorELNS0_4arch9wavefront6targetE1EEEvT1_, .Lfunc_end2824-_ZN7rocprim17ROCPRIM_400000_NS6detail17trampoline_kernelINS0_14default_configENS1_25partition_config_selectorILNS1_17partition_subalgoE0EsNS0_10empty_typeEbEEZZNS1_14partition_implILS5_0ELb0ES3_jN6thrust23THRUST_200600_302600_NS6detail15normal_iteratorINSA_10device_ptrIsEEEEPS6_SG_NS0_5tupleIJSF_NSA_16discard_iteratorINSA_11use_defaultEEEEEENSH_IJSG_SG_EEES6_PlJ7is_evenIsEEEE10hipError_tPvRmT3_T4_T5_T6_T7_T9_mT8_P12ihipStream_tbDpT10_ENKUlT_T0_E_clISt17integral_constantIbLb1EES19_EEDaS14_S15_EUlS14_E_NS1_11comp_targetILNS1_3genE10ELNS1_11target_archE1200ELNS1_3gpuE4ELNS1_3repE0EEENS1_30default_config_static_selectorELNS0_4arch9wavefront6targetE1EEEvT1_
                                        ; -- End function
	.section	.AMDGPU.csdata,"",@progbits
; Kernel info:
; codeLenInByte = 0
; NumSgprs: 6
; NumVgprs: 0
; NumAgprs: 0
; TotalNumVgprs: 0
; ScratchSize: 0
; MemoryBound: 0
; FloatMode: 240
; IeeeMode: 1
; LDSByteSize: 0 bytes/workgroup (compile time only)
; SGPRBlocks: 0
; VGPRBlocks: 0
; NumSGPRsForWavesPerEU: 6
; NumVGPRsForWavesPerEU: 1
; AccumOffset: 4
; Occupancy: 8
; WaveLimiterHint : 0
; COMPUTE_PGM_RSRC2:SCRATCH_EN: 0
; COMPUTE_PGM_RSRC2:USER_SGPR: 2
; COMPUTE_PGM_RSRC2:TRAP_HANDLER: 0
; COMPUTE_PGM_RSRC2:TGID_X_EN: 1
; COMPUTE_PGM_RSRC2:TGID_Y_EN: 0
; COMPUTE_PGM_RSRC2:TGID_Z_EN: 0
; COMPUTE_PGM_RSRC2:TIDIG_COMP_CNT: 0
; COMPUTE_PGM_RSRC3_GFX90A:ACCUM_OFFSET: 0
; COMPUTE_PGM_RSRC3_GFX90A:TG_SPLIT: 0
	.section	.text._ZN7rocprim17ROCPRIM_400000_NS6detail17trampoline_kernelINS0_14default_configENS1_25partition_config_selectorILNS1_17partition_subalgoE0EsNS0_10empty_typeEbEEZZNS1_14partition_implILS5_0ELb0ES3_jN6thrust23THRUST_200600_302600_NS6detail15normal_iteratorINSA_10device_ptrIsEEEEPS6_SG_NS0_5tupleIJSF_NSA_16discard_iteratorINSA_11use_defaultEEEEEENSH_IJSG_SG_EEES6_PlJ7is_evenIsEEEE10hipError_tPvRmT3_T4_T5_T6_T7_T9_mT8_P12ihipStream_tbDpT10_ENKUlT_T0_E_clISt17integral_constantIbLb1EES19_EEDaS14_S15_EUlS14_E_NS1_11comp_targetILNS1_3genE9ELNS1_11target_archE1100ELNS1_3gpuE3ELNS1_3repE0EEENS1_30default_config_static_selectorELNS0_4arch9wavefront6targetE1EEEvT1_,"axG",@progbits,_ZN7rocprim17ROCPRIM_400000_NS6detail17trampoline_kernelINS0_14default_configENS1_25partition_config_selectorILNS1_17partition_subalgoE0EsNS0_10empty_typeEbEEZZNS1_14partition_implILS5_0ELb0ES3_jN6thrust23THRUST_200600_302600_NS6detail15normal_iteratorINSA_10device_ptrIsEEEEPS6_SG_NS0_5tupleIJSF_NSA_16discard_iteratorINSA_11use_defaultEEEEEENSH_IJSG_SG_EEES6_PlJ7is_evenIsEEEE10hipError_tPvRmT3_T4_T5_T6_T7_T9_mT8_P12ihipStream_tbDpT10_ENKUlT_T0_E_clISt17integral_constantIbLb1EES19_EEDaS14_S15_EUlS14_E_NS1_11comp_targetILNS1_3genE9ELNS1_11target_archE1100ELNS1_3gpuE3ELNS1_3repE0EEENS1_30default_config_static_selectorELNS0_4arch9wavefront6targetE1EEEvT1_,comdat
	.protected	_ZN7rocprim17ROCPRIM_400000_NS6detail17trampoline_kernelINS0_14default_configENS1_25partition_config_selectorILNS1_17partition_subalgoE0EsNS0_10empty_typeEbEEZZNS1_14partition_implILS5_0ELb0ES3_jN6thrust23THRUST_200600_302600_NS6detail15normal_iteratorINSA_10device_ptrIsEEEEPS6_SG_NS0_5tupleIJSF_NSA_16discard_iteratorINSA_11use_defaultEEEEEENSH_IJSG_SG_EEES6_PlJ7is_evenIsEEEE10hipError_tPvRmT3_T4_T5_T6_T7_T9_mT8_P12ihipStream_tbDpT10_ENKUlT_T0_E_clISt17integral_constantIbLb1EES19_EEDaS14_S15_EUlS14_E_NS1_11comp_targetILNS1_3genE9ELNS1_11target_archE1100ELNS1_3gpuE3ELNS1_3repE0EEENS1_30default_config_static_selectorELNS0_4arch9wavefront6targetE1EEEvT1_ ; -- Begin function _ZN7rocprim17ROCPRIM_400000_NS6detail17trampoline_kernelINS0_14default_configENS1_25partition_config_selectorILNS1_17partition_subalgoE0EsNS0_10empty_typeEbEEZZNS1_14partition_implILS5_0ELb0ES3_jN6thrust23THRUST_200600_302600_NS6detail15normal_iteratorINSA_10device_ptrIsEEEEPS6_SG_NS0_5tupleIJSF_NSA_16discard_iteratorINSA_11use_defaultEEEEEENSH_IJSG_SG_EEES6_PlJ7is_evenIsEEEE10hipError_tPvRmT3_T4_T5_T6_T7_T9_mT8_P12ihipStream_tbDpT10_ENKUlT_T0_E_clISt17integral_constantIbLb1EES19_EEDaS14_S15_EUlS14_E_NS1_11comp_targetILNS1_3genE9ELNS1_11target_archE1100ELNS1_3gpuE3ELNS1_3repE0EEENS1_30default_config_static_selectorELNS0_4arch9wavefront6targetE1EEEvT1_
	.globl	_ZN7rocprim17ROCPRIM_400000_NS6detail17trampoline_kernelINS0_14default_configENS1_25partition_config_selectorILNS1_17partition_subalgoE0EsNS0_10empty_typeEbEEZZNS1_14partition_implILS5_0ELb0ES3_jN6thrust23THRUST_200600_302600_NS6detail15normal_iteratorINSA_10device_ptrIsEEEEPS6_SG_NS0_5tupleIJSF_NSA_16discard_iteratorINSA_11use_defaultEEEEEENSH_IJSG_SG_EEES6_PlJ7is_evenIsEEEE10hipError_tPvRmT3_T4_T5_T6_T7_T9_mT8_P12ihipStream_tbDpT10_ENKUlT_T0_E_clISt17integral_constantIbLb1EES19_EEDaS14_S15_EUlS14_E_NS1_11comp_targetILNS1_3genE9ELNS1_11target_archE1100ELNS1_3gpuE3ELNS1_3repE0EEENS1_30default_config_static_selectorELNS0_4arch9wavefront6targetE1EEEvT1_
	.p2align	8
	.type	_ZN7rocprim17ROCPRIM_400000_NS6detail17trampoline_kernelINS0_14default_configENS1_25partition_config_selectorILNS1_17partition_subalgoE0EsNS0_10empty_typeEbEEZZNS1_14partition_implILS5_0ELb0ES3_jN6thrust23THRUST_200600_302600_NS6detail15normal_iteratorINSA_10device_ptrIsEEEEPS6_SG_NS0_5tupleIJSF_NSA_16discard_iteratorINSA_11use_defaultEEEEEENSH_IJSG_SG_EEES6_PlJ7is_evenIsEEEE10hipError_tPvRmT3_T4_T5_T6_T7_T9_mT8_P12ihipStream_tbDpT10_ENKUlT_T0_E_clISt17integral_constantIbLb1EES19_EEDaS14_S15_EUlS14_E_NS1_11comp_targetILNS1_3genE9ELNS1_11target_archE1100ELNS1_3gpuE3ELNS1_3repE0EEENS1_30default_config_static_selectorELNS0_4arch9wavefront6targetE1EEEvT1_,@function
_ZN7rocprim17ROCPRIM_400000_NS6detail17trampoline_kernelINS0_14default_configENS1_25partition_config_selectorILNS1_17partition_subalgoE0EsNS0_10empty_typeEbEEZZNS1_14partition_implILS5_0ELb0ES3_jN6thrust23THRUST_200600_302600_NS6detail15normal_iteratorINSA_10device_ptrIsEEEEPS6_SG_NS0_5tupleIJSF_NSA_16discard_iteratorINSA_11use_defaultEEEEEENSH_IJSG_SG_EEES6_PlJ7is_evenIsEEEE10hipError_tPvRmT3_T4_T5_T6_T7_T9_mT8_P12ihipStream_tbDpT10_ENKUlT_T0_E_clISt17integral_constantIbLb1EES19_EEDaS14_S15_EUlS14_E_NS1_11comp_targetILNS1_3genE9ELNS1_11target_archE1100ELNS1_3gpuE3ELNS1_3repE0EEENS1_30default_config_static_selectorELNS0_4arch9wavefront6targetE1EEEvT1_: ; @_ZN7rocprim17ROCPRIM_400000_NS6detail17trampoline_kernelINS0_14default_configENS1_25partition_config_selectorILNS1_17partition_subalgoE0EsNS0_10empty_typeEbEEZZNS1_14partition_implILS5_0ELb0ES3_jN6thrust23THRUST_200600_302600_NS6detail15normal_iteratorINSA_10device_ptrIsEEEEPS6_SG_NS0_5tupleIJSF_NSA_16discard_iteratorINSA_11use_defaultEEEEEENSH_IJSG_SG_EEES6_PlJ7is_evenIsEEEE10hipError_tPvRmT3_T4_T5_T6_T7_T9_mT8_P12ihipStream_tbDpT10_ENKUlT_T0_E_clISt17integral_constantIbLb1EES19_EEDaS14_S15_EUlS14_E_NS1_11comp_targetILNS1_3genE9ELNS1_11target_archE1100ELNS1_3gpuE3ELNS1_3repE0EEENS1_30default_config_static_selectorELNS0_4arch9wavefront6targetE1EEEvT1_
; %bb.0:
	.section	.rodata,"a",@progbits
	.p2align	6, 0x0
	.amdhsa_kernel _ZN7rocprim17ROCPRIM_400000_NS6detail17trampoline_kernelINS0_14default_configENS1_25partition_config_selectorILNS1_17partition_subalgoE0EsNS0_10empty_typeEbEEZZNS1_14partition_implILS5_0ELb0ES3_jN6thrust23THRUST_200600_302600_NS6detail15normal_iteratorINSA_10device_ptrIsEEEEPS6_SG_NS0_5tupleIJSF_NSA_16discard_iteratorINSA_11use_defaultEEEEEENSH_IJSG_SG_EEES6_PlJ7is_evenIsEEEE10hipError_tPvRmT3_T4_T5_T6_T7_T9_mT8_P12ihipStream_tbDpT10_ENKUlT_T0_E_clISt17integral_constantIbLb1EES19_EEDaS14_S15_EUlS14_E_NS1_11comp_targetILNS1_3genE9ELNS1_11target_archE1100ELNS1_3gpuE3ELNS1_3repE0EEENS1_30default_config_static_selectorELNS0_4arch9wavefront6targetE1EEEvT1_
		.amdhsa_group_segment_fixed_size 0
		.amdhsa_private_segment_fixed_size 0
		.amdhsa_kernarg_size 144
		.amdhsa_user_sgpr_count 2
		.amdhsa_user_sgpr_dispatch_ptr 0
		.amdhsa_user_sgpr_queue_ptr 0
		.amdhsa_user_sgpr_kernarg_segment_ptr 1
		.amdhsa_user_sgpr_dispatch_id 0
		.amdhsa_user_sgpr_kernarg_preload_length 0
		.amdhsa_user_sgpr_kernarg_preload_offset 0
		.amdhsa_user_sgpr_private_segment_size 0
		.amdhsa_uses_dynamic_stack 0
		.amdhsa_enable_private_segment 0
		.amdhsa_system_sgpr_workgroup_id_x 1
		.amdhsa_system_sgpr_workgroup_id_y 0
		.amdhsa_system_sgpr_workgroup_id_z 0
		.amdhsa_system_sgpr_workgroup_info 0
		.amdhsa_system_vgpr_workitem_id 0
		.amdhsa_next_free_vgpr 1
		.amdhsa_next_free_sgpr 0
		.amdhsa_accum_offset 4
		.amdhsa_reserve_vcc 0
		.amdhsa_float_round_mode_32 0
		.amdhsa_float_round_mode_16_64 0
		.amdhsa_float_denorm_mode_32 3
		.amdhsa_float_denorm_mode_16_64 3
		.amdhsa_dx10_clamp 1
		.amdhsa_ieee_mode 1
		.amdhsa_fp16_overflow 0
		.amdhsa_tg_split 0
		.amdhsa_exception_fp_ieee_invalid_op 0
		.amdhsa_exception_fp_denorm_src 0
		.amdhsa_exception_fp_ieee_div_zero 0
		.amdhsa_exception_fp_ieee_overflow 0
		.amdhsa_exception_fp_ieee_underflow 0
		.amdhsa_exception_fp_ieee_inexact 0
		.amdhsa_exception_int_div_zero 0
	.end_amdhsa_kernel
	.section	.text._ZN7rocprim17ROCPRIM_400000_NS6detail17trampoline_kernelINS0_14default_configENS1_25partition_config_selectorILNS1_17partition_subalgoE0EsNS0_10empty_typeEbEEZZNS1_14partition_implILS5_0ELb0ES3_jN6thrust23THRUST_200600_302600_NS6detail15normal_iteratorINSA_10device_ptrIsEEEEPS6_SG_NS0_5tupleIJSF_NSA_16discard_iteratorINSA_11use_defaultEEEEEENSH_IJSG_SG_EEES6_PlJ7is_evenIsEEEE10hipError_tPvRmT3_T4_T5_T6_T7_T9_mT8_P12ihipStream_tbDpT10_ENKUlT_T0_E_clISt17integral_constantIbLb1EES19_EEDaS14_S15_EUlS14_E_NS1_11comp_targetILNS1_3genE9ELNS1_11target_archE1100ELNS1_3gpuE3ELNS1_3repE0EEENS1_30default_config_static_selectorELNS0_4arch9wavefront6targetE1EEEvT1_,"axG",@progbits,_ZN7rocprim17ROCPRIM_400000_NS6detail17trampoline_kernelINS0_14default_configENS1_25partition_config_selectorILNS1_17partition_subalgoE0EsNS0_10empty_typeEbEEZZNS1_14partition_implILS5_0ELb0ES3_jN6thrust23THRUST_200600_302600_NS6detail15normal_iteratorINSA_10device_ptrIsEEEEPS6_SG_NS0_5tupleIJSF_NSA_16discard_iteratorINSA_11use_defaultEEEEEENSH_IJSG_SG_EEES6_PlJ7is_evenIsEEEE10hipError_tPvRmT3_T4_T5_T6_T7_T9_mT8_P12ihipStream_tbDpT10_ENKUlT_T0_E_clISt17integral_constantIbLb1EES19_EEDaS14_S15_EUlS14_E_NS1_11comp_targetILNS1_3genE9ELNS1_11target_archE1100ELNS1_3gpuE3ELNS1_3repE0EEENS1_30default_config_static_selectorELNS0_4arch9wavefront6targetE1EEEvT1_,comdat
.Lfunc_end2825:
	.size	_ZN7rocprim17ROCPRIM_400000_NS6detail17trampoline_kernelINS0_14default_configENS1_25partition_config_selectorILNS1_17partition_subalgoE0EsNS0_10empty_typeEbEEZZNS1_14partition_implILS5_0ELb0ES3_jN6thrust23THRUST_200600_302600_NS6detail15normal_iteratorINSA_10device_ptrIsEEEEPS6_SG_NS0_5tupleIJSF_NSA_16discard_iteratorINSA_11use_defaultEEEEEENSH_IJSG_SG_EEES6_PlJ7is_evenIsEEEE10hipError_tPvRmT3_T4_T5_T6_T7_T9_mT8_P12ihipStream_tbDpT10_ENKUlT_T0_E_clISt17integral_constantIbLb1EES19_EEDaS14_S15_EUlS14_E_NS1_11comp_targetILNS1_3genE9ELNS1_11target_archE1100ELNS1_3gpuE3ELNS1_3repE0EEENS1_30default_config_static_selectorELNS0_4arch9wavefront6targetE1EEEvT1_, .Lfunc_end2825-_ZN7rocprim17ROCPRIM_400000_NS6detail17trampoline_kernelINS0_14default_configENS1_25partition_config_selectorILNS1_17partition_subalgoE0EsNS0_10empty_typeEbEEZZNS1_14partition_implILS5_0ELb0ES3_jN6thrust23THRUST_200600_302600_NS6detail15normal_iteratorINSA_10device_ptrIsEEEEPS6_SG_NS0_5tupleIJSF_NSA_16discard_iteratorINSA_11use_defaultEEEEEENSH_IJSG_SG_EEES6_PlJ7is_evenIsEEEE10hipError_tPvRmT3_T4_T5_T6_T7_T9_mT8_P12ihipStream_tbDpT10_ENKUlT_T0_E_clISt17integral_constantIbLb1EES19_EEDaS14_S15_EUlS14_E_NS1_11comp_targetILNS1_3genE9ELNS1_11target_archE1100ELNS1_3gpuE3ELNS1_3repE0EEENS1_30default_config_static_selectorELNS0_4arch9wavefront6targetE1EEEvT1_
                                        ; -- End function
	.section	.AMDGPU.csdata,"",@progbits
; Kernel info:
; codeLenInByte = 0
; NumSgprs: 6
; NumVgprs: 0
; NumAgprs: 0
; TotalNumVgprs: 0
; ScratchSize: 0
; MemoryBound: 0
; FloatMode: 240
; IeeeMode: 1
; LDSByteSize: 0 bytes/workgroup (compile time only)
; SGPRBlocks: 0
; VGPRBlocks: 0
; NumSGPRsForWavesPerEU: 6
; NumVGPRsForWavesPerEU: 1
; AccumOffset: 4
; Occupancy: 8
; WaveLimiterHint : 0
; COMPUTE_PGM_RSRC2:SCRATCH_EN: 0
; COMPUTE_PGM_RSRC2:USER_SGPR: 2
; COMPUTE_PGM_RSRC2:TRAP_HANDLER: 0
; COMPUTE_PGM_RSRC2:TGID_X_EN: 1
; COMPUTE_PGM_RSRC2:TGID_Y_EN: 0
; COMPUTE_PGM_RSRC2:TGID_Z_EN: 0
; COMPUTE_PGM_RSRC2:TIDIG_COMP_CNT: 0
; COMPUTE_PGM_RSRC3_GFX90A:ACCUM_OFFSET: 0
; COMPUTE_PGM_RSRC3_GFX90A:TG_SPLIT: 0
	.section	.text._ZN7rocprim17ROCPRIM_400000_NS6detail17trampoline_kernelINS0_14default_configENS1_25partition_config_selectorILNS1_17partition_subalgoE0EsNS0_10empty_typeEbEEZZNS1_14partition_implILS5_0ELb0ES3_jN6thrust23THRUST_200600_302600_NS6detail15normal_iteratorINSA_10device_ptrIsEEEEPS6_SG_NS0_5tupleIJSF_NSA_16discard_iteratorINSA_11use_defaultEEEEEENSH_IJSG_SG_EEES6_PlJ7is_evenIsEEEE10hipError_tPvRmT3_T4_T5_T6_T7_T9_mT8_P12ihipStream_tbDpT10_ENKUlT_T0_E_clISt17integral_constantIbLb1EES19_EEDaS14_S15_EUlS14_E_NS1_11comp_targetILNS1_3genE8ELNS1_11target_archE1030ELNS1_3gpuE2ELNS1_3repE0EEENS1_30default_config_static_selectorELNS0_4arch9wavefront6targetE1EEEvT1_,"axG",@progbits,_ZN7rocprim17ROCPRIM_400000_NS6detail17trampoline_kernelINS0_14default_configENS1_25partition_config_selectorILNS1_17partition_subalgoE0EsNS0_10empty_typeEbEEZZNS1_14partition_implILS5_0ELb0ES3_jN6thrust23THRUST_200600_302600_NS6detail15normal_iteratorINSA_10device_ptrIsEEEEPS6_SG_NS0_5tupleIJSF_NSA_16discard_iteratorINSA_11use_defaultEEEEEENSH_IJSG_SG_EEES6_PlJ7is_evenIsEEEE10hipError_tPvRmT3_T4_T5_T6_T7_T9_mT8_P12ihipStream_tbDpT10_ENKUlT_T0_E_clISt17integral_constantIbLb1EES19_EEDaS14_S15_EUlS14_E_NS1_11comp_targetILNS1_3genE8ELNS1_11target_archE1030ELNS1_3gpuE2ELNS1_3repE0EEENS1_30default_config_static_selectorELNS0_4arch9wavefront6targetE1EEEvT1_,comdat
	.protected	_ZN7rocprim17ROCPRIM_400000_NS6detail17trampoline_kernelINS0_14default_configENS1_25partition_config_selectorILNS1_17partition_subalgoE0EsNS0_10empty_typeEbEEZZNS1_14partition_implILS5_0ELb0ES3_jN6thrust23THRUST_200600_302600_NS6detail15normal_iteratorINSA_10device_ptrIsEEEEPS6_SG_NS0_5tupleIJSF_NSA_16discard_iteratorINSA_11use_defaultEEEEEENSH_IJSG_SG_EEES6_PlJ7is_evenIsEEEE10hipError_tPvRmT3_T4_T5_T6_T7_T9_mT8_P12ihipStream_tbDpT10_ENKUlT_T0_E_clISt17integral_constantIbLb1EES19_EEDaS14_S15_EUlS14_E_NS1_11comp_targetILNS1_3genE8ELNS1_11target_archE1030ELNS1_3gpuE2ELNS1_3repE0EEENS1_30default_config_static_selectorELNS0_4arch9wavefront6targetE1EEEvT1_ ; -- Begin function _ZN7rocprim17ROCPRIM_400000_NS6detail17trampoline_kernelINS0_14default_configENS1_25partition_config_selectorILNS1_17partition_subalgoE0EsNS0_10empty_typeEbEEZZNS1_14partition_implILS5_0ELb0ES3_jN6thrust23THRUST_200600_302600_NS6detail15normal_iteratorINSA_10device_ptrIsEEEEPS6_SG_NS0_5tupleIJSF_NSA_16discard_iteratorINSA_11use_defaultEEEEEENSH_IJSG_SG_EEES6_PlJ7is_evenIsEEEE10hipError_tPvRmT3_T4_T5_T6_T7_T9_mT8_P12ihipStream_tbDpT10_ENKUlT_T0_E_clISt17integral_constantIbLb1EES19_EEDaS14_S15_EUlS14_E_NS1_11comp_targetILNS1_3genE8ELNS1_11target_archE1030ELNS1_3gpuE2ELNS1_3repE0EEENS1_30default_config_static_selectorELNS0_4arch9wavefront6targetE1EEEvT1_
	.globl	_ZN7rocprim17ROCPRIM_400000_NS6detail17trampoline_kernelINS0_14default_configENS1_25partition_config_selectorILNS1_17partition_subalgoE0EsNS0_10empty_typeEbEEZZNS1_14partition_implILS5_0ELb0ES3_jN6thrust23THRUST_200600_302600_NS6detail15normal_iteratorINSA_10device_ptrIsEEEEPS6_SG_NS0_5tupleIJSF_NSA_16discard_iteratorINSA_11use_defaultEEEEEENSH_IJSG_SG_EEES6_PlJ7is_evenIsEEEE10hipError_tPvRmT3_T4_T5_T6_T7_T9_mT8_P12ihipStream_tbDpT10_ENKUlT_T0_E_clISt17integral_constantIbLb1EES19_EEDaS14_S15_EUlS14_E_NS1_11comp_targetILNS1_3genE8ELNS1_11target_archE1030ELNS1_3gpuE2ELNS1_3repE0EEENS1_30default_config_static_selectorELNS0_4arch9wavefront6targetE1EEEvT1_
	.p2align	8
	.type	_ZN7rocprim17ROCPRIM_400000_NS6detail17trampoline_kernelINS0_14default_configENS1_25partition_config_selectorILNS1_17partition_subalgoE0EsNS0_10empty_typeEbEEZZNS1_14partition_implILS5_0ELb0ES3_jN6thrust23THRUST_200600_302600_NS6detail15normal_iteratorINSA_10device_ptrIsEEEEPS6_SG_NS0_5tupleIJSF_NSA_16discard_iteratorINSA_11use_defaultEEEEEENSH_IJSG_SG_EEES6_PlJ7is_evenIsEEEE10hipError_tPvRmT3_T4_T5_T6_T7_T9_mT8_P12ihipStream_tbDpT10_ENKUlT_T0_E_clISt17integral_constantIbLb1EES19_EEDaS14_S15_EUlS14_E_NS1_11comp_targetILNS1_3genE8ELNS1_11target_archE1030ELNS1_3gpuE2ELNS1_3repE0EEENS1_30default_config_static_selectorELNS0_4arch9wavefront6targetE1EEEvT1_,@function
_ZN7rocprim17ROCPRIM_400000_NS6detail17trampoline_kernelINS0_14default_configENS1_25partition_config_selectorILNS1_17partition_subalgoE0EsNS0_10empty_typeEbEEZZNS1_14partition_implILS5_0ELb0ES3_jN6thrust23THRUST_200600_302600_NS6detail15normal_iteratorINSA_10device_ptrIsEEEEPS6_SG_NS0_5tupleIJSF_NSA_16discard_iteratorINSA_11use_defaultEEEEEENSH_IJSG_SG_EEES6_PlJ7is_evenIsEEEE10hipError_tPvRmT3_T4_T5_T6_T7_T9_mT8_P12ihipStream_tbDpT10_ENKUlT_T0_E_clISt17integral_constantIbLb1EES19_EEDaS14_S15_EUlS14_E_NS1_11comp_targetILNS1_3genE8ELNS1_11target_archE1030ELNS1_3gpuE2ELNS1_3repE0EEENS1_30default_config_static_selectorELNS0_4arch9wavefront6targetE1EEEvT1_: ; @_ZN7rocprim17ROCPRIM_400000_NS6detail17trampoline_kernelINS0_14default_configENS1_25partition_config_selectorILNS1_17partition_subalgoE0EsNS0_10empty_typeEbEEZZNS1_14partition_implILS5_0ELb0ES3_jN6thrust23THRUST_200600_302600_NS6detail15normal_iteratorINSA_10device_ptrIsEEEEPS6_SG_NS0_5tupleIJSF_NSA_16discard_iteratorINSA_11use_defaultEEEEEENSH_IJSG_SG_EEES6_PlJ7is_evenIsEEEE10hipError_tPvRmT3_T4_T5_T6_T7_T9_mT8_P12ihipStream_tbDpT10_ENKUlT_T0_E_clISt17integral_constantIbLb1EES19_EEDaS14_S15_EUlS14_E_NS1_11comp_targetILNS1_3genE8ELNS1_11target_archE1030ELNS1_3gpuE2ELNS1_3repE0EEENS1_30default_config_static_selectorELNS0_4arch9wavefront6targetE1EEEvT1_
; %bb.0:
	.section	.rodata,"a",@progbits
	.p2align	6, 0x0
	.amdhsa_kernel _ZN7rocprim17ROCPRIM_400000_NS6detail17trampoline_kernelINS0_14default_configENS1_25partition_config_selectorILNS1_17partition_subalgoE0EsNS0_10empty_typeEbEEZZNS1_14partition_implILS5_0ELb0ES3_jN6thrust23THRUST_200600_302600_NS6detail15normal_iteratorINSA_10device_ptrIsEEEEPS6_SG_NS0_5tupleIJSF_NSA_16discard_iteratorINSA_11use_defaultEEEEEENSH_IJSG_SG_EEES6_PlJ7is_evenIsEEEE10hipError_tPvRmT3_T4_T5_T6_T7_T9_mT8_P12ihipStream_tbDpT10_ENKUlT_T0_E_clISt17integral_constantIbLb1EES19_EEDaS14_S15_EUlS14_E_NS1_11comp_targetILNS1_3genE8ELNS1_11target_archE1030ELNS1_3gpuE2ELNS1_3repE0EEENS1_30default_config_static_selectorELNS0_4arch9wavefront6targetE1EEEvT1_
		.amdhsa_group_segment_fixed_size 0
		.amdhsa_private_segment_fixed_size 0
		.amdhsa_kernarg_size 144
		.amdhsa_user_sgpr_count 2
		.amdhsa_user_sgpr_dispatch_ptr 0
		.amdhsa_user_sgpr_queue_ptr 0
		.amdhsa_user_sgpr_kernarg_segment_ptr 1
		.amdhsa_user_sgpr_dispatch_id 0
		.amdhsa_user_sgpr_kernarg_preload_length 0
		.amdhsa_user_sgpr_kernarg_preload_offset 0
		.amdhsa_user_sgpr_private_segment_size 0
		.amdhsa_uses_dynamic_stack 0
		.amdhsa_enable_private_segment 0
		.amdhsa_system_sgpr_workgroup_id_x 1
		.amdhsa_system_sgpr_workgroup_id_y 0
		.amdhsa_system_sgpr_workgroup_id_z 0
		.amdhsa_system_sgpr_workgroup_info 0
		.amdhsa_system_vgpr_workitem_id 0
		.amdhsa_next_free_vgpr 1
		.amdhsa_next_free_sgpr 0
		.amdhsa_accum_offset 4
		.amdhsa_reserve_vcc 0
		.amdhsa_float_round_mode_32 0
		.amdhsa_float_round_mode_16_64 0
		.amdhsa_float_denorm_mode_32 3
		.amdhsa_float_denorm_mode_16_64 3
		.amdhsa_dx10_clamp 1
		.amdhsa_ieee_mode 1
		.amdhsa_fp16_overflow 0
		.amdhsa_tg_split 0
		.amdhsa_exception_fp_ieee_invalid_op 0
		.amdhsa_exception_fp_denorm_src 0
		.amdhsa_exception_fp_ieee_div_zero 0
		.amdhsa_exception_fp_ieee_overflow 0
		.amdhsa_exception_fp_ieee_underflow 0
		.amdhsa_exception_fp_ieee_inexact 0
		.amdhsa_exception_int_div_zero 0
	.end_amdhsa_kernel
	.section	.text._ZN7rocprim17ROCPRIM_400000_NS6detail17trampoline_kernelINS0_14default_configENS1_25partition_config_selectorILNS1_17partition_subalgoE0EsNS0_10empty_typeEbEEZZNS1_14partition_implILS5_0ELb0ES3_jN6thrust23THRUST_200600_302600_NS6detail15normal_iteratorINSA_10device_ptrIsEEEEPS6_SG_NS0_5tupleIJSF_NSA_16discard_iteratorINSA_11use_defaultEEEEEENSH_IJSG_SG_EEES6_PlJ7is_evenIsEEEE10hipError_tPvRmT3_T4_T5_T6_T7_T9_mT8_P12ihipStream_tbDpT10_ENKUlT_T0_E_clISt17integral_constantIbLb1EES19_EEDaS14_S15_EUlS14_E_NS1_11comp_targetILNS1_3genE8ELNS1_11target_archE1030ELNS1_3gpuE2ELNS1_3repE0EEENS1_30default_config_static_selectorELNS0_4arch9wavefront6targetE1EEEvT1_,"axG",@progbits,_ZN7rocprim17ROCPRIM_400000_NS6detail17trampoline_kernelINS0_14default_configENS1_25partition_config_selectorILNS1_17partition_subalgoE0EsNS0_10empty_typeEbEEZZNS1_14partition_implILS5_0ELb0ES3_jN6thrust23THRUST_200600_302600_NS6detail15normal_iteratorINSA_10device_ptrIsEEEEPS6_SG_NS0_5tupleIJSF_NSA_16discard_iteratorINSA_11use_defaultEEEEEENSH_IJSG_SG_EEES6_PlJ7is_evenIsEEEE10hipError_tPvRmT3_T4_T5_T6_T7_T9_mT8_P12ihipStream_tbDpT10_ENKUlT_T0_E_clISt17integral_constantIbLb1EES19_EEDaS14_S15_EUlS14_E_NS1_11comp_targetILNS1_3genE8ELNS1_11target_archE1030ELNS1_3gpuE2ELNS1_3repE0EEENS1_30default_config_static_selectorELNS0_4arch9wavefront6targetE1EEEvT1_,comdat
.Lfunc_end2826:
	.size	_ZN7rocprim17ROCPRIM_400000_NS6detail17trampoline_kernelINS0_14default_configENS1_25partition_config_selectorILNS1_17partition_subalgoE0EsNS0_10empty_typeEbEEZZNS1_14partition_implILS5_0ELb0ES3_jN6thrust23THRUST_200600_302600_NS6detail15normal_iteratorINSA_10device_ptrIsEEEEPS6_SG_NS0_5tupleIJSF_NSA_16discard_iteratorINSA_11use_defaultEEEEEENSH_IJSG_SG_EEES6_PlJ7is_evenIsEEEE10hipError_tPvRmT3_T4_T5_T6_T7_T9_mT8_P12ihipStream_tbDpT10_ENKUlT_T0_E_clISt17integral_constantIbLb1EES19_EEDaS14_S15_EUlS14_E_NS1_11comp_targetILNS1_3genE8ELNS1_11target_archE1030ELNS1_3gpuE2ELNS1_3repE0EEENS1_30default_config_static_selectorELNS0_4arch9wavefront6targetE1EEEvT1_, .Lfunc_end2826-_ZN7rocprim17ROCPRIM_400000_NS6detail17trampoline_kernelINS0_14default_configENS1_25partition_config_selectorILNS1_17partition_subalgoE0EsNS0_10empty_typeEbEEZZNS1_14partition_implILS5_0ELb0ES3_jN6thrust23THRUST_200600_302600_NS6detail15normal_iteratorINSA_10device_ptrIsEEEEPS6_SG_NS0_5tupleIJSF_NSA_16discard_iteratorINSA_11use_defaultEEEEEENSH_IJSG_SG_EEES6_PlJ7is_evenIsEEEE10hipError_tPvRmT3_T4_T5_T6_T7_T9_mT8_P12ihipStream_tbDpT10_ENKUlT_T0_E_clISt17integral_constantIbLb1EES19_EEDaS14_S15_EUlS14_E_NS1_11comp_targetILNS1_3genE8ELNS1_11target_archE1030ELNS1_3gpuE2ELNS1_3repE0EEENS1_30default_config_static_selectorELNS0_4arch9wavefront6targetE1EEEvT1_
                                        ; -- End function
	.section	.AMDGPU.csdata,"",@progbits
; Kernel info:
; codeLenInByte = 0
; NumSgprs: 6
; NumVgprs: 0
; NumAgprs: 0
; TotalNumVgprs: 0
; ScratchSize: 0
; MemoryBound: 0
; FloatMode: 240
; IeeeMode: 1
; LDSByteSize: 0 bytes/workgroup (compile time only)
; SGPRBlocks: 0
; VGPRBlocks: 0
; NumSGPRsForWavesPerEU: 6
; NumVGPRsForWavesPerEU: 1
; AccumOffset: 4
; Occupancy: 8
; WaveLimiterHint : 0
; COMPUTE_PGM_RSRC2:SCRATCH_EN: 0
; COMPUTE_PGM_RSRC2:USER_SGPR: 2
; COMPUTE_PGM_RSRC2:TRAP_HANDLER: 0
; COMPUTE_PGM_RSRC2:TGID_X_EN: 1
; COMPUTE_PGM_RSRC2:TGID_Y_EN: 0
; COMPUTE_PGM_RSRC2:TGID_Z_EN: 0
; COMPUTE_PGM_RSRC2:TIDIG_COMP_CNT: 0
; COMPUTE_PGM_RSRC3_GFX90A:ACCUM_OFFSET: 0
; COMPUTE_PGM_RSRC3_GFX90A:TG_SPLIT: 0
	.section	.text._ZN7rocprim17ROCPRIM_400000_NS6detail17trampoline_kernelINS0_14default_configENS1_25partition_config_selectorILNS1_17partition_subalgoE0EsNS0_10empty_typeEbEEZZNS1_14partition_implILS5_0ELb0ES3_jN6thrust23THRUST_200600_302600_NS6detail15normal_iteratorINSA_10device_ptrIsEEEEPS6_SG_NS0_5tupleIJSF_NSA_16discard_iteratorINSA_11use_defaultEEEEEENSH_IJSG_SG_EEES6_PlJ7is_evenIsEEEE10hipError_tPvRmT3_T4_T5_T6_T7_T9_mT8_P12ihipStream_tbDpT10_ENKUlT_T0_E_clISt17integral_constantIbLb1EES18_IbLb0EEEEDaS14_S15_EUlS14_E_NS1_11comp_targetILNS1_3genE0ELNS1_11target_archE4294967295ELNS1_3gpuE0ELNS1_3repE0EEENS1_30default_config_static_selectorELNS0_4arch9wavefront6targetE1EEEvT1_,"axG",@progbits,_ZN7rocprim17ROCPRIM_400000_NS6detail17trampoline_kernelINS0_14default_configENS1_25partition_config_selectorILNS1_17partition_subalgoE0EsNS0_10empty_typeEbEEZZNS1_14partition_implILS5_0ELb0ES3_jN6thrust23THRUST_200600_302600_NS6detail15normal_iteratorINSA_10device_ptrIsEEEEPS6_SG_NS0_5tupleIJSF_NSA_16discard_iteratorINSA_11use_defaultEEEEEENSH_IJSG_SG_EEES6_PlJ7is_evenIsEEEE10hipError_tPvRmT3_T4_T5_T6_T7_T9_mT8_P12ihipStream_tbDpT10_ENKUlT_T0_E_clISt17integral_constantIbLb1EES18_IbLb0EEEEDaS14_S15_EUlS14_E_NS1_11comp_targetILNS1_3genE0ELNS1_11target_archE4294967295ELNS1_3gpuE0ELNS1_3repE0EEENS1_30default_config_static_selectorELNS0_4arch9wavefront6targetE1EEEvT1_,comdat
	.protected	_ZN7rocprim17ROCPRIM_400000_NS6detail17trampoline_kernelINS0_14default_configENS1_25partition_config_selectorILNS1_17partition_subalgoE0EsNS0_10empty_typeEbEEZZNS1_14partition_implILS5_0ELb0ES3_jN6thrust23THRUST_200600_302600_NS6detail15normal_iteratorINSA_10device_ptrIsEEEEPS6_SG_NS0_5tupleIJSF_NSA_16discard_iteratorINSA_11use_defaultEEEEEENSH_IJSG_SG_EEES6_PlJ7is_evenIsEEEE10hipError_tPvRmT3_T4_T5_T6_T7_T9_mT8_P12ihipStream_tbDpT10_ENKUlT_T0_E_clISt17integral_constantIbLb1EES18_IbLb0EEEEDaS14_S15_EUlS14_E_NS1_11comp_targetILNS1_3genE0ELNS1_11target_archE4294967295ELNS1_3gpuE0ELNS1_3repE0EEENS1_30default_config_static_selectorELNS0_4arch9wavefront6targetE1EEEvT1_ ; -- Begin function _ZN7rocprim17ROCPRIM_400000_NS6detail17trampoline_kernelINS0_14default_configENS1_25partition_config_selectorILNS1_17partition_subalgoE0EsNS0_10empty_typeEbEEZZNS1_14partition_implILS5_0ELb0ES3_jN6thrust23THRUST_200600_302600_NS6detail15normal_iteratorINSA_10device_ptrIsEEEEPS6_SG_NS0_5tupleIJSF_NSA_16discard_iteratorINSA_11use_defaultEEEEEENSH_IJSG_SG_EEES6_PlJ7is_evenIsEEEE10hipError_tPvRmT3_T4_T5_T6_T7_T9_mT8_P12ihipStream_tbDpT10_ENKUlT_T0_E_clISt17integral_constantIbLb1EES18_IbLb0EEEEDaS14_S15_EUlS14_E_NS1_11comp_targetILNS1_3genE0ELNS1_11target_archE4294967295ELNS1_3gpuE0ELNS1_3repE0EEENS1_30default_config_static_selectorELNS0_4arch9wavefront6targetE1EEEvT1_
	.globl	_ZN7rocprim17ROCPRIM_400000_NS6detail17trampoline_kernelINS0_14default_configENS1_25partition_config_selectorILNS1_17partition_subalgoE0EsNS0_10empty_typeEbEEZZNS1_14partition_implILS5_0ELb0ES3_jN6thrust23THRUST_200600_302600_NS6detail15normal_iteratorINSA_10device_ptrIsEEEEPS6_SG_NS0_5tupleIJSF_NSA_16discard_iteratorINSA_11use_defaultEEEEEENSH_IJSG_SG_EEES6_PlJ7is_evenIsEEEE10hipError_tPvRmT3_T4_T5_T6_T7_T9_mT8_P12ihipStream_tbDpT10_ENKUlT_T0_E_clISt17integral_constantIbLb1EES18_IbLb0EEEEDaS14_S15_EUlS14_E_NS1_11comp_targetILNS1_3genE0ELNS1_11target_archE4294967295ELNS1_3gpuE0ELNS1_3repE0EEENS1_30default_config_static_selectorELNS0_4arch9wavefront6targetE1EEEvT1_
	.p2align	8
	.type	_ZN7rocprim17ROCPRIM_400000_NS6detail17trampoline_kernelINS0_14default_configENS1_25partition_config_selectorILNS1_17partition_subalgoE0EsNS0_10empty_typeEbEEZZNS1_14partition_implILS5_0ELb0ES3_jN6thrust23THRUST_200600_302600_NS6detail15normal_iteratorINSA_10device_ptrIsEEEEPS6_SG_NS0_5tupleIJSF_NSA_16discard_iteratorINSA_11use_defaultEEEEEENSH_IJSG_SG_EEES6_PlJ7is_evenIsEEEE10hipError_tPvRmT3_T4_T5_T6_T7_T9_mT8_P12ihipStream_tbDpT10_ENKUlT_T0_E_clISt17integral_constantIbLb1EES18_IbLb0EEEEDaS14_S15_EUlS14_E_NS1_11comp_targetILNS1_3genE0ELNS1_11target_archE4294967295ELNS1_3gpuE0ELNS1_3repE0EEENS1_30default_config_static_selectorELNS0_4arch9wavefront6targetE1EEEvT1_,@function
_ZN7rocprim17ROCPRIM_400000_NS6detail17trampoline_kernelINS0_14default_configENS1_25partition_config_selectorILNS1_17partition_subalgoE0EsNS0_10empty_typeEbEEZZNS1_14partition_implILS5_0ELb0ES3_jN6thrust23THRUST_200600_302600_NS6detail15normal_iteratorINSA_10device_ptrIsEEEEPS6_SG_NS0_5tupleIJSF_NSA_16discard_iteratorINSA_11use_defaultEEEEEENSH_IJSG_SG_EEES6_PlJ7is_evenIsEEEE10hipError_tPvRmT3_T4_T5_T6_T7_T9_mT8_P12ihipStream_tbDpT10_ENKUlT_T0_E_clISt17integral_constantIbLb1EES18_IbLb0EEEEDaS14_S15_EUlS14_E_NS1_11comp_targetILNS1_3genE0ELNS1_11target_archE4294967295ELNS1_3gpuE0ELNS1_3repE0EEENS1_30default_config_static_selectorELNS0_4arch9wavefront6targetE1EEEvT1_: ; @_ZN7rocprim17ROCPRIM_400000_NS6detail17trampoline_kernelINS0_14default_configENS1_25partition_config_selectorILNS1_17partition_subalgoE0EsNS0_10empty_typeEbEEZZNS1_14partition_implILS5_0ELb0ES3_jN6thrust23THRUST_200600_302600_NS6detail15normal_iteratorINSA_10device_ptrIsEEEEPS6_SG_NS0_5tupleIJSF_NSA_16discard_iteratorINSA_11use_defaultEEEEEENSH_IJSG_SG_EEES6_PlJ7is_evenIsEEEE10hipError_tPvRmT3_T4_T5_T6_T7_T9_mT8_P12ihipStream_tbDpT10_ENKUlT_T0_E_clISt17integral_constantIbLb1EES18_IbLb0EEEEDaS14_S15_EUlS14_E_NS1_11comp_targetILNS1_3genE0ELNS1_11target_archE4294967295ELNS1_3gpuE0ELNS1_3repE0EEENS1_30default_config_static_selectorELNS0_4arch9wavefront6targetE1EEEvT1_
; %bb.0:
	.section	.rodata,"a",@progbits
	.p2align	6, 0x0
	.amdhsa_kernel _ZN7rocprim17ROCPRIM_400000_NS6detail17trampoline_kernelINS0_14default_configENS1_25partition_config_selectorILNS1_17partition_subalgoE0EsNS0_10empty_typeEbEEZZNS1_14partition_implILS5_0ELb0ES3_jN6thrust23THRUST_200600_302600_NS6detail15normal_iteratorINSA_10device_ptrIsEEEEPS6_SG_NS0_5tupleIJSF_NSA_16discard_iteratorINSA_11use_defaultEEEEEENSH_IJSG_SG_EEES6_PlJ7is_evenIsEEEE10hipError_tPvRmT3_T4_T5_T6_T7_T9_mT8_P12ihipStream_tbDpT10_ENKUlT_T0_E_clISt17integral_constantIbLb1EES18_IbLb0EEEEDaS14_S15_EUlS14_E_NS1_11comp_targetILNS1_3genE0ELNS1_11target_archE4294967295ELNS1_3gpuE0ELNS1_3repE0EEENS1_30default_config_static_selectorELNS0_4arch9wavefront6targetE1EEEvT1_
		.amdhsa_group_segment_fixed_size 0
		.amdhsa_private_segment_fixed_size 0
		.amdhsa_kernarg_size 128
		.amdhsa_user_sgpr_count 2
		.amdhsa_user_sgpr_dispatch_ptr 0
		.amdhsa_user_sgpr_queue_ptr 0
		.amdhsa_user_sgpr_kernarg_segment_ptr 1
		.amdhsa_user_sgpr_dispatch_id 0
		.amdhsa_user_sgpr_kernarg_preload_length 0
		.amdhsa_user_sgpr_kernarg_preload_offset 0
		.amdhsa_user_sgpr_private_segment_size 0
		.amdhsa_uses_dynamic_stack 0
		.amdhsa_enable_private_segment 0
		.amdhsa_system_sgpr_workgroup_id_x 1
		.amdhsa_system_sgpr_workgroup_id_y 0
		.amdhsa_system_sgpr_workgroup_id_z 0
		.amdhsa_system_sgpr_workgroup_info 0
		.amdhsa_system_vgpr_workitem_id 0
		.amdhsa_next_free_vgpr 1
		.amdhsa_next_free_sgpr 0
		.amdhsa_accum_offset 4
		.amdhsa_reserve_vcc 0
		.amdhsa_float_round_mode_32 0
		.amdhsa_float_round_mode_16_64 0
		.amdhsa_float_denorm_mode_32 3
		.amdhsa_float_denorm_mode_16_64 3
		.amdhsa_dx10_clamp 1
		.amdhsa_ieee_mode 1
		.amdhsa_fp16_overflow 0
		.amdhsa_tg_split 0
		.amdhsa_exception_fp_ieee_invalid_op 0
		.amdhsa_exception_fp_denorm_src 0
		.amdhsa_exception_fp_ieee_div_zero 0
		.amdhsa_exception_fp_ieee_overflow 0
		.amdhsa_exception_fp_ieee_underflow 0
		.amdhsa_exception_fp_ieee_inexact 0
		.amdhsa_exception_int_div_zero 0
	.end_amdhsa_kernel
	.section	.text._ZN7rocprim17ROCPRIM_400000_NS6detail17trampoline_kernelINS0_14default_configENS1_25partition_config_selectorILNS1_17partition_subalgoE0EsNS0_10empty_typeEbEEZZNS1_14partition_implILS5_0ELb0ES3_jN6thrust23THRUST_200600_302600_NS6detail15normal_iteratorINSA_10device_ptrIsEEEEPS6_SG_NS0_5tupleIJSF_NSA_16discard_iteratorINSA_11use_defaultEEEEEENSH_IJSG_SG_EEES6_PlJ7is_evenIsEEEE10hipError_tPvRmT3_T4_T5_T6_T7_T9_mT8_P12ihipStream_tbDpT10_ENKUlT_T0_E_clISt17integral_constantIbLb1EES18_IbLb0EEEEDaS14_S15_EUlS14_E_NS1_11comp_targetILNS1_3genE0ELNS1_11target_archE4294967295ELNS1_3gpuE0ELNS1_3repE0EEENS1_30default_config_static_selectorELNS0_4arch9wavefront6targetE1EEEvT1_,"axG",@progbits,_ZN7rocprim17ROCPRIM_400000_NS6detail17trampoline_kernelINS0_14default_configENS1_25partition_config_selectorILNS1_17partition_subalgoE0EsNS0_10empty_typeEbEEZZNS1_14partition_implILS5_0ELb0ES3_jN6thrust23THRUST_200600_302600_NS6detail15normal_iteratorINSA_10device_ptrIsEEEEPS6_SG_NS0_5tupleIJSF_NSA_16discard_iteratorINSA_11use_defaultEEEEEENSH_IJSG_SG_EEES6_PlJ7is_evenIsEEEE10hipError_tPvRmT3_T4_T5_T6_T7_T9_mT8_P12ihipStream_tbDpT10_ENKUlT_T0_E_clISt17integral_constantIbLb1EES18_IbLb0EEEEDaS14_S15_EUlS14_E_NS1_11comp_targetILNS1_3genE0ELNS1_11target_archE4294967295ELNS1_3gpuE0ELNS1_3repE0EEENS1_30default_config_static_selectorELNS0_4arch9wavefront6targetE1EEEvT1_,comdat
.Lfunc_end2827:
	.size	_ZN7rocprim17ROCPRIM_400000_NS6detail17trampoline_kernelINS0_14default_configENS1_25partition_config_selectorILNS1_17partition_subalgoE0EsNS0_10empty_typeEbEEZZNS1_14partition_implILS5_0ELb0ES3_jN6thrust23THRUST_200600_302600_NS6detail15normal_iteratorINSA_10device_ptrIsEEEEPS6_SG_NS0_5tupleIJSF_NSA_16discard_iteratorINSA_11use_defaultEEEEEENSH_IJSG_SG_EEES6_PlJ7is_evenIsEEEE10hipError_tPvRmT3_T4_T5_T6_T7_T9_mT8_P12ihipStream_tbDpT10_ENKUlT_T0_E_clISt17integral_constantIbLb1EES18_IbLb0EEEEDaS14_S15_EUlS14_E_NS1_11comp_targetILNS1_3genE0ELNS1_11target_archE4294967295ELNS1_3gpuE0ELNS1_3repE0EEENS1_30default_config_static_selectorELNS0_4arch9wavefront6targetE1EEEvT1_, .Lfunc_end2827-_ZN7rocprim17ROCPRIM_400000_NS6detail17trampoline_kernelINS0_14default_configENS1_25partition_config_selectorILNS1_17partition_subalgoE0EsNS0_10empty_typeEbEEZZNS1_14partition_implILS5_0ELb0ES3_jN6thrust23THRUST_200600_302600_NS6detail15normal_iteratorINSA_10device_ptrIsEEEEPS6_SG_NS0_5tupleIJSF_NSA_16discard_iteratorINSA_11use_defaultEEEEEENSH_IJSG_SG_EEES6_PlJ7is_evenIsEEEE10hipError_tPvRmT3_T4_T5_T6_T7_T9_mT8_P12ihipStream_tbDpT10_ENKUlT_T0_E_clISt17integral_constantIbLb1EES18_IbLb0EEEEDaS14_S15_EUlS14_E_NS1_11comp_targetILNS1_3genE0ELNS1_11target_archE4294967295ELNS1_3gpuE0ELNS1_3repE0EEENS1_30default_config_static_selectorELNS0_4arch9wavefront6targetE1EEEvT1_
                                        ; -- End function
	.section	.AMDGPU.csdata,"",@progbits
; Kernel info:
; codeLenInByte = 0
; NumSgprs: 6
; NumVgprs: 0
; NumAgprs: 0
; TotalNumVgprs: 0
; ScratchSize: 0
; MemoryBound: 0
; FloatMode: 240
; IeeeMode: 1
; LDSByteSize: 0 bytes/workgroup (compile time only)
; SGPRBlocks: 0
; VGPRBlocks: 0
; NumSGPRsForWavesPerEU: 6
; NumVGPRsForWavesPerEU: 1
; AccumOffset: 4
; Occupancy: 8
; WaveLimiterHint : 0
; COMPUTE_PGM_RSRC2:SCRATCH_EN: 0
; COMPUTE_PGM_RSRC2:USER_SGPR: 2
; COMPUTE_PGM_RSRC2:TRAP_HANDLER: 0
; COMPUTE_PGM_RSRC2:TGID_X_EN: 1
; COMPUTE_PGM_RSRC2:TGID_Y_EN: 0
; COMPUTE_PGM_RSRC2:TGID_Z_EN: 0
; COMPUTE_PGM_RSRC2:TIDIG_COMP_CNT: 0
; COMPUTE_PGM_RSRC3_GFX90A:ACCUM_OFFSET: 0
; COMPUTE_PGM_RSRC3_GFX90A:TG_SPLIT: 0
	.section	.text._ZN7rocprim17ROCPRIM_400000_NS6detail17trampoline_kernelINS0_14default_configENS1_25partition_config_selectorILNS1_17partition_subalgoE0EsNS0_10empty_typeEbEEZZNS1_14partition_implILS5_0ELb0ES3_jN6thrust23THRUST_200600_302600_NS6detail15normal_iteratorINSA_10device_ptrIsEEEEPS6_SG_NS0_5tupleIJSF_NSA_16discard_iteratorINSA_11use_defaultEEEEEENSH_IJSG_SG_EEES6_PlJ7is_evenIsEEEE10hipError_tPvRmT3_T4_T5_T6_T7_T9_mT8_P12ihipStream_tbDpT10_ENKUlT_T0_E_clISt17integral_constantIbLb1EES18_IbLb0EEEEDaS14_S15_EUlS14_E_NS1_11comp_targetILNS1_3genE5ELNS1_11target_archE942ELNS1_3gpuE9ELNS1_3repE0EEENS1_30default_config_static_selectorELNS0_4arch9wavefront6targetE1EEEvT1_,"axG",@progbits,_ZN7rocprim17ROCPRIM_400000_NS6detail17trampoline_kernelINS0_14default_configENS1_25partition_config_selectorILNS1_17partition_subalgoE0EsNS0_10empty_typeEbEEZZNS1_14partition_implILS5_0ELb0ES3_jN6thrust23THRUST_200600_302600_NS6detail15normal_iteratorINSA_10device_ptrIsEEEEPS6_SG_NS0_5tupleIJSF_NSA_16discard_iteratorINSA_11use_defaultEEEEEENSH_IJSG_SG_EEES6_PlJ7is_evenIsEEEE10hipError_tPvRmT3_T4_T5_T6_T7_T9_mT8_P12ihipStream_tbDpT10_ENKUlT_T0_E_clISt17integral_constantIbLb1EES18_IbLb0EEEEDaS14_S15_EUlS14_E_NS1_11comp_targetILNS1_3genE5ELNS1_11target_archE942ELNS1_3gpuE9ELNS1_3repE0EEENS1_30default_config_static_selectorELNS0_4arch9wavefront6targetE1EEEvT1_,comdat
	.protected	_ZN7rocprim17ROCPRIM_400000_NS6detail17trampoline_kernelINS0_14default_configENS1_25partition_config_selectorILNS1_17partition_subalgoE0EsNS0_10empty_typeEbEEZZNS1_14partition_implILS5_0ELb0ES3_jN6thrust23THRUST_200600_302600_NS6detail15normal_iteratorINSA_10device_ptrIsEEEEPS6_SG_NS0_5tupleIJSF_NSA_16discard_iteratorINSA_11use_defaultEEEEEENSH_IJSG_SG_EEES6_PlJ7is_evenIsEEEE10hipError_tPvRmT3_T4_T5_T6_T7_T9_mT8_P12ihipStream_tbDpT10_ENKUlT_T0_E_clISt17integral_constantIbLb1EES18_IbLb0EEEEDaS14_S15_EUlS14_E_NS1_11comp_targetILNS1_3genE5ELNS1_11target_archE942ELNS1_3gpuE9ELNS1_3repE0EEENS1_30default_config_static_selectorELNS0_4arch9wavefront6targetE1EEEvT1_ ; -- Begin function _ZN7rocprim17ROCPRIM_400000_NS6detail17trampoline_kernelINS0_14default_configENS1_25partition_config_selectorILNS1_17partition_subalgoE0EsNS0_10empty_typeEbEEZZNS1_14partition_implILS5_0ELb0ES3_jN6thrust23THRUST_200600_302600_NS6detail15normal_iteratorINSA_10device_ptrIsEEEEPS6_SG_NS0_5tupleIJSF_NSA_16discard_iteratorINSA_11use_defaultEEEEEENSH_IJSG_SG_EEES6_PlJ7is_evenIsEEEE10hipError_tPvRmT3_T4_T5_T6_T7_T9_mT8_P12ihipStream_tbDpT10_ENKUlT_T0_E_clISt17integral_constantIbLb1EES18_IbLb0EEEEDaS14_S15_EUlS14_E_NS1_11comp_targetILNS1_3genE5ELNS1_11target_archE942ELNS1_3gpuE9ELNS1_3repE0EEENS1_30default_config_static_selectorELNS0_4arch9wavefront6targetE1EEEvT1_
	.globl	_ZN7rocprim17ROCPRIM_400000_NS6detail17trampoline_kernelINS0_14default_configENS1_25partition_config_selectorILNS1_17partition_subalgoE0EsNS0_10empty_typeEbEEZZNS1_14partition_implILS5_0ELb0ES3_jN6thrust23THRUST_200600_302600_NS6detail15normal_iteratorINSA_10device_ptrIsEEEEPS6_SG_NS0_5tupleIJSF_NSA_16discard_iteratorINSA_11use_defaultEEEEEENSH_IJSG_SG_EEES6_PlJ7is_evenIsEEEE10hipError_tPvRmT3_T4_T5_T6_T7_T9_mT8_P12ihipStream_tbDpT10_ENKUlT_T0_E_clISt17integral_constantIbLb1EES18_IbLb0EEEEDaS14_S15_EUlS14_E_NS1_11comp_targetILNS1_3genE5ELNS1_11target_archE942ELNS1_3gpuE9ELNS1_3repE0EEENS1_30default_config_static_selectorELNS0_4arch9wavefront6targetE1EEEvT1_
	.p2align	8
	.type	_ZN7rocprim17ROCPRIM_400000_NS6detail17trampoline_kernelINS0_14default_configENS1_25partition_config_selectorILNS1_17partition_subalgoE0EsNS0_10empty_typeEbEEZZNS1_14partition_implILS5_0ELb0ES3_jN6thrust23THRUST_200600_302600_NS6detail15normal_iteratorINSA_10device_ptrIsEEEEPS6_SG_NS0_5tupleIJSF_NSA_16discard_iteratorINSA_11use_defaultEEEEEENSH_IJSG_SG_EEES6_PlJ7is_evenIsEEEE10hipError_tPvRmT3_T4_T5_T6_T7_T9_mT8_P12ihipStream_tbDpT10_ENKUlT_T0_E_clISt17integral_constantIbLb1EES18_IbLb0EEEEDaS14_S15_EUlS14_E_NS1_11comp_targetILNS1_3genE5ELNS1_11target_archE942ELNS1_3gpuE9ELNS1_3repE0EEENS1_30default_config_static_selectorELNS0_4arch9wavefront6targetE1EEEvT1_,@function
_ZN7rocprim17ROCPRIM_400000_NS6detail17trampoline_kernelINS0_14default_configENS1_25partition_config_selectorILNS1_17partition_subalgoE0EsNS0_10empty_typeEbEEZZNS1_14partition_implILS5_0ELb0ES3_jN6thrust23THRUST_200600_302600_NS6detail15normal_iteratorINSA_10device_ptrIsEEEEPS6_SG_NS0_5tupleIJSF_NSA_16discard_iteratorINSA_11use_defaultEEEEEENSH_IJSG_SG_EEES6_PlJ7is_evenIsEEEE10hipError_tPvRmT3_T4_T5_T6_T7_T9_mT8_P12ihipStream_tbDpT10_ENKUlT_T0_E_clISt17integral_constantIbLb1EES18_IbLb0EEEEDaS14_S15_EUlS14_E_NS1_11comp_targetILNS1_3genE5ELNS1_11target_archE942ELNS1_3gpuE9ELNS1_3repE0EEENS1_30default_config_static_selectorELNS0_4arch9wavefront6targetE1EEEvT1_: ; @_ZN7rocprim17ROCPRIM_400000_NS6detail17trampoline_kernelINS0_14default_configENS1_25partition_config_selectorILNS1_17partition_subalgoE0EsNS0_10empty_typeEbEEZZNS1_14partition_implILS5_0ELb0ES3_jN6thrust23THRUST_200600_302600_NS6detail15normal_iteratorINSA_10device_ptrIsEEEEPS6_SG_NS0_5tupleIJSF_NSA_16discard_iteratorINSA_11use_defaultEEEEEENSH_IJSG_SG_EEES6_PlJ7is_evenIsEEEE10hipError_tPvRmT3_T4_T5_T6_T7_T9_mT8_P12ihipStream_tbDpT10_ENKUlT_T0_E_clISt17integral_constantIbLb1EES18_IbLb0EEEEDaS14_S15_EUlS14_E_NS1_11comp_targetILNS1_3genE5ELNS1_11target_archE942ELNS1_3gpuE9ELNS1_3repE0EEENS1_30default_config_static_selectorELNS0_4arch9wavefront6targetE1EEEvT1_
; %bb.0:
	s_load_dwordx2 s[8:9], s[0:1], 0x60
	s_load_dwordx4 s[4:7], s[0:1], 0x8
	s_load_dwordx4 s[24:27], s[0:1], 0x50
	s_load_dword s3, s[0:1], 0x78
	s_waitcnt lgkmcnt(0)
	v_mov_b32_e32 v3, s9
	s_lshl_b64 s[10:11], s[6:7], 1
	s_add_u32 s9, s4, s10
	s_addc_u32 s12, s5, s11
	s_add_i32 s13, s3, -1
	s_mulk_i32 s3, 0x3c00
	s_add_i32 s4, s3, s6
	s_sub_i32 s33, s8, s4
	s_add_u32 s4, s6, s3
	s_addc_u32 s5, s7, 0
	s_cmp_eq_u32 s2, s13
	v_mov_b32_e32 v2, s8
	s_load_dwordx2 s[22:23], s[26:27], 0x0
	s_cselect_b64 s[26:27], -1, 0
	s_cmp_lg_u32 s2, s13
	s_mul_i32 s10, s2, 0x3c00
	s_mov_b32 s11, 0
	v_cmp_lt_u64_e32 vcc, s[4:5], v[2:3]
	s_cselect_b64 s[4:5], -1, 0
	s_or_b64 s[4:5], s[4:5], vcc
	s_lshl_b64 s[6:7], s[10:11], 1
	s_add_u32 s6, s9, s6
	s_addc_u32 s7, s12, s7
	s_mov_b64 s[8:9], -1
	s_and_b64 vcc, exec, s[4:5]
	v_lshlrev_b32_e32 v2, 1, v0
	s_cbranch_vccz .LBB2828_2
; %bb.1:
	v_mov_b32_e32 v3, 0
	v_lshl_add_u64 v[4:5], s[6:7], 0, v[2:3]
	v_add_co_u32_e32 v6, vcc, 0x1000, v4
	s_mov_b64 s[8:9], 0
	s_nop 0
	v_addc_co_u32_e32 v7, vcc, 0, v5, vcc
	flat_load_ushort v1, v[4:5]
	flat_load_ushort v3, v[4:5] offset:1024
	flat_load_ushort v10, v[4:5] offset:2048
	flat_load_ushort v11, v[4:5] offset:3072
	flat_load_ushort v12, v[6:7]
	flat_load_ushort v13, v[6:7] offset:1024
	flat_load_ushort v14, v[6:7] offset:2048
	flat_load_ushort v15, v[6:7] offset:3072
	v_add_co_u32_e32 v6, vcc, 0x2000, v4
	s_nop 1
	v_addc_co_u32_e32 v7, vcc, 0, v5, vcc
	v_add_co_u32_e32 v8, vcc, 0x3000, v4
	s_nop 1
	v_addc_co_u32_e32 v9, vcc, 0, v5, vcc
	flat_load_ushort v16, v[6:7]
	flat_load_ushort v17, v[6:7] offset:1024
	flat_load_ushort v18, v[6:7] offset:2048
	flat_load_ushort v19, v[6:7] offset:3072
	flat_load_ushort v20, v[8:9]
	flat_load_ushort v21, v[8:9] offset:1024
	flat_load_ushort v22, v[8:9] offset:2048
	flat_load_ushort v23, v[8:9] offset:3072
	v_add_co_u32_e32 v6, vcc, 0x4000, v4
	s_nop 1
	v_addc_co_u32_e32 v7, vcc, 0, v5, vcc
	v_add_co_u32_e32 v8, vcc, 0x5000, v4
	;; [unrolled: 14-line block ×3, first 2 shown]
	s_nop 1
	v_addc_co_u32_e32 v5, vcc, 0, v5, vcc
	flat_load_ushort v8, v[6:7]
	flat_load_ushort v9, v[6:7] offset:1024
	flat_load_ushort v32, v[6:7] offset:2048
	;; [unrolled: 1-line block ×3, first 2 shown]
	flat_load_ushort v34, v[4:5]
	flat_load_ushort v35, v[4:5] offset:1024
	s_waitcnt vmcnt(0) lgkmcnt(0)
	ds_write_b16 v2, v1
	ds_write_b16 v2, v3 offset:1024
	ds_write_b16 v2, v10 offset:2048
	;; [unrolled: 1-line block ×29, first 2 shown]
	s_waitcnt lgkmcnt(0)
	s_barrier
.LBB2828_2:
	s_andn2_b64 vcc, exec, s[8:9]
	s_addk_i32 s33, 0x3c00
	s_cbranch_vccnz .LBB2828_64
; %bb.3:
	v_cmp_gt_u32_e32 vcc, s33, v0
                                        ; implicit-def: $vgpr1
	s_and_saveexec_b64 s[8:9], vcc
	s_cbranch_execz .LBB2828_5
; %bb.4:
	v_mov_b32_e32 v3, 0
	v_lshl_add_u64 v[4:5], s[6:7], 0, v[2:3]
	flat_load_ushort v1, v[4:5]
.LBB2828_5:
	s_or_b64 exec, exec, s[8:9]
	v_or_b32_e32 v3, 0x200, v0
	v_cmp_gt_u32_e32 vcc, s33, v3
                                        ; implicit-def: $vgpr4
	s_and_saveexec_b64 s[8:9], vcc
	s_cbranch_execz .LBB2828_7
; %bb.6:
	v_mov_b32_e32 v3, 0
	v_lshl_add_u64 v[4:5], s[6:7], 0, v[2:3]
	flat_load_ushort v4, v[4:5] offset:1024
.LBB2828_7:
	s_or_b64 exec, exec, s[8:9]
	v_or_b32_e32 v3, 0x400, v0
	v_cmp_gt_u32_e32 vcc, s33, v3
                                        ; implicit-def: $vgpr5
	s_and_saveexec_b64 s[8:9], vcc
	s_cbranch_execz .LBB2828_9
; %bb.8:
	v_mov_b32_e32 v3, 0
	v_lshl_add_u64 v[6:7], s[6:7], 0, v[2:3]
	flat_load_ushort v5, v[6:7] offset:2048
.LBB2828_9:
	s_or_b64 exec, exec, s[8:9]
	v_or_b32_e32 v3, 0x600, v0
	v_cmp_gt_u32_e32 vcc, s33, v3
                                        ; implicit-def: $vgpr3
	s_and_saveexec_b64 s[8:9], vcc
	s_cbranch_execz .LBB2828_11
; %bb.10:
	v_mov_b32_e32 v3, 0
	v_lshl_add_u64 v[6:7], s[6:7], 0, v[2:3]
	flat_load_ushort v3, v[6:7] offset:3072
.LBB2828_11:
	s_or_b64 exec, exec, s[8:9]
	v_or_b32_e32 v7, 0x800, v0
	v_cmp_gt_u32_e32 vcc, s33, v7
                                        ; implicit-def: $vgpr6
	s_and_saveexec_b64 s[8:9], vcc
	s_cbranch_execz .LBB2828_13
; %bb.12:
	v_lshlrev_b32_e32 v6, 1, v7
	v_mov_b32_e32 v7, 0
	v_lshl_add_u64 v[6:7], s[6:7], 0, v[6:7]
	flat_load_ushort v6, v[6:7]
.LBB2828_13:
	s_or_b64 exec, exec, s[8:9]
	v_or_b32_e32 v8, 0xa00, v0
	v_cmp_gt_u32_e32 vcc, s33, v8
                                        ; implicit-def: $vgpr7
	s_and_saveexec_b64 s[8:9], vcc
	s_cbranch_execz .LBB2828_15
; %bb.14:
	v_lshlrev_b32_e32 v8, 1, v8
	v_mov_b32_e32 v9, 0
	v_lshl_add_u64 v[8:9], s[6:7], 0, v[8:9]
	flat_load_ushort v7, v[8:9]
.LBB2828_15:
	s_or_b64 exec, exec, s[8:9]
	v_or_b32_e32 v9, 0xc00, v0
	v_cmp_gt_u32_e32 vcc, s33, v9
                                        ; implicit-def: $vgpr8
	s_and_saveexec_b64 s[8:9], vcc
	s_cbranch_execz .LBB2828_17
; %bb.16:
	v_lshlrev_b32_e32 v8, 1, v9
	v_mov_b32_e32 v9, 0
	v_lshl_add_u64 v[8:9], s[6:7], 0, v[8:9]
	flat_load_ushort v8, v[8:9]
.LBB2828_17:
	s_or_b64 exec, exec, s[8:9]
	v_or_b32_e32 v10, 0xe00, v0
	v_cmp_gt_u32_e32 vcc, s33, v10
                                        ; implicit-def: $vgpr9
	s_and_saveexec_b64 s[8:9], vcc
	s_cbranch_execz .LBB2828_19
; %bb.18:
	v_lshlrev_b32_e32 v10, 1, v10
	v_mov_b32_e32 v11, 0
	v_lshl_add_u64 v[10:11], s[6:7], 0, v[10:11]
	flat_load_ushort v9, v[10:11]
.LBB2828_19:
	s_or_b64 exec, exec, s[8:9]
	v_or_b32_e32 v11, 0x1000, v0
	v_cmp_gt_u32_e32 vcc, s33, v11
                                        ; implicit-def: $vgpr10
	s_and_saveexec_b64 s[8:9], vcc
	s_cbranch_execz .LBB2828_21
; %bb.20:
	v_lshlrev_b32_e32 v10, 1, v11
	v_mov_b32_e32 v11, 0
	v_lshl_add_u64 v[10:11], s[6:7], 0, v[10:11]
	flat_load_ushort v10, v[10:11]
.LBB2828_21:
	s_or_b64 exec, exec, s[8:9]
	v_or_b32_e32 v12, 0x1200, v0
	v_cmp_gt_u32_e32 vcc, s33, v12
                                        ; implicit-def: $vgpr11
	s_and_saveexec_b64 s[8:9], vcc
	s_cbranch_execz .LBB2828_23
; %bb.22:
	v_lshlrev_b32_e32 v12, 1, v12
	v_mov_b32_e32 v13, 0
	v_lshl_add_u64 v[12:13], s[6:7], 0, v[12:13]
	flat_load_ushort v11, v[12:13]
.LBB2828_23:
	s_or_b64 exec, exec, s[8:9]
	v_or_b32_e32 v13, 0x1400, v0
	v_cmp_gt_u32_e32 vcc, s33, v13
                                        ; implicit-def: $vgpr12
	s_and_saveexec_b64 s[8:9], vcc
	s_cbranch_execz .LBB2828_25
; %bb.24:
	v_lshlrev_b32_e32 v12, 1, v13
	v_mov_b32_e32 v13, 0
	v_lshl_add_u64 v[12:13], s[6:7], 0, v[12:13]
	flat_load_ushort v12, v[12:13]
.LBB2828_25:
	s_or_b64 exec, exec, s[8:9]
	v_or_b32_e32 v14, 0x1600, v0
	v_cmp_gt_u32_e32 vcc, s33, v14
                                        ; implicit-def: $vgpr13
	s_and_saveexec_b64 s[8:9], vcc
	s_cbranch_execz .LBB2828_27
; %bb.26:
	v_lshlrev_b32_e32 v14, 1, v14
	v_mov_b32_e32 v15, 0
	v_lshl_add_u64 v[14:15], s[6:7], 0, v[14:15]
	flat_load_ushort v13, v[14:15]
.LBB2828_27:
	s_or_b64 exec, exec, s[8:9]
	v_or_b32_e32 v15, 0x1800, v0
	v_cmp_gt_u32_e32 vcc, s33, v15
                                        ; implicit-def: $vgpr14
	s_and_saveexec_b64 s[8:9], vcc
	s_cbranch_execz .LBB2828_29
; %bb.28:
	v_lshlrev_b32_e32 v14, 1, v15
	v_mov_b32_e32 v15, 0
	v_lshl_add_u64 v[14:15], s[6:7], 0, v[14:15]
	flat_load_ushort v14, v[14:15]
.LBB2828_29:
	s_or_b64 exec, exec, s[8:9]
	v_or_b32_e32 v16, 0x1a00, v0
	v_cmp_gt_u32_e32 vcc, s33, v16
                                        ; implicit-def: $vgpr15
	s_and_saveexec_b64 s[8:9], vcc
	s_cbranch_execz .LBB2828_31
; %bb.30:
	v_lshlrev_b32_e32 v16, 1, v16
	v_mov_b32_e32 v17, 0
	v_lshl_add_u64 v[16:17], s[6:7], 0, v[16:17]
	flat_load_ushort v15, v[16:17]
.LBB2828_31:
	s_or_b64 exec, exec, s[8:9]
	v_or_b32_e32 v17, 0x1c00, v0
	v_cmp_gt_u32_e32 vcc, s33, v17
                                        ; implicit-def: $vgpr16
	s_and_saveexec_b64 s[8:9], vcc
	s_cbranch_execz .LBB2828_33
; %bb.32:
	v_lshlrev_b32_e32 v16, 1, v17
	v_mov_b32_e32 v17, 0
	v_lshl_add_u64 v[16:17], s[6:7], 0, v[16:17]
	flat_load_ushort v16, v[16:17]
.LBB2828_33:
	s_or_b64 exec, exec, s[8:9]
	v_or_b32_e32 v18, 0x1e00, v0
	v_cmp_gt_u32_e32 vcc, s33, v18
                                        ; implicit-def: $vgpr17
	s_and_saveexec_b64 s[8:9], vcc
	s_cbranch_execz .LBB2828_35
; %bb.34:
	v_lshlrev_b32_e32 v18, 1, v18
	v_mov_b32_e32 v19, 0
	v_lshl_add_u64 v[18:19], s[6:7], 0, v[18:19]
	flat_load_ushort v17, v[18:19]
.LBB2828_35:
	s_or_b64 exec, exec, s[8:9]
	v_or_b32_e32 v19, 0x2000, v0
	v_cmp_gt_u32_e32 vcc, s33, v19
                                        ; implicit-def: $vgpr18
	s_and_saveexec_b64 s[8:9], vcc
	s_cbranch_execz .LBB2828_37
; %bb.36:
	v_lshlrev_b32_e32 v18, 1, v19
	v_mov_b32_e32 v19, 0
	v_lshl_add_u64 v[18:19], s[6:7], 0, v[18:19]
	flat_load_ushort v18, v[18:19]
.LBB2828_37:
	s_or_b64 exec, exec, s[8:9]
	v_or_b32_e32 v20, 0x2200, v0
	v_cmp_gt_u32_e32 vcc, s33, v20
                                        ; implicit-def: $vgpr19
	s_and_saveexec_b64 s[8:9], vcc
	s_cbranch_execz .LBB2828_39
; %bb.38:
	v_lshlrev_b32_e32 v20, 1, v20
	v_mov_b32_e32 v21, 0
	v_lshl_add_u64 v[20:21], s[6:7], 0, v[20:21]
	flat_load_ushort v19, v[20:21]
.LBB2828_39:
	s_or_b64 exec, exec, s[8:9]
	v_or_b32_e32 v21, 0x2400, v0
	v_cmp_gt_u32_e32 vcc, s33, v21
                                        ; implicit-def: $vgpr20
	s_and_saveexec_b64 s[8:9], vcc
	s_cbranch_execz .LBB2828_41
; %bb.40:
	v_lshlrev_b32_e32 v20, 1, v21
	v_mov_b32_e32 v21, 0
	v_lshl_add_u64 v[20:21], s[6:7], 0, v[20:21]
	flat_load_ushort v20, v[20:21]
.LBB2828_41:
	s_or_b64 exec, exec, s[8:9]
	v_or_b32_e32 v22, 0x2600, v0
	v_cmp_gt_u32_e32 vcc, s33, v22
                                        ; implicit-def: $vgpr21
	s_and_saveexec_b64 s[8:9], vcc
	s_cbranch_execz .LBB2828_43
; %bb.42:
	v_lshlrev_b32_e32 v22, 1, v22
	v_mov_b32_e32 v23, 0
	v_lshl_add_u64 v[22:23], s[6:7], 0, v[22:23]
	flat_load_ushort v21, v[22:23]
.LBB2828_43:
	s_or_b64 exec, exec, s[8:9]
	v_or_b32_e32 v23, 0x2800, v0
	v_cmp_gt_u32_e32 vcc, s33, v23
                                        ; implicit-def: $vgpr22
	s_and_saveexec_b64 s[8:9], vcc
	s_cbranch_execz .LBB2828_45
; %bb.44:
	v_lshlrev_b32_e32 v22, 1, v23
	v_mov_b32_e32 v23, 0
	v_lshl_add_u64 v[22:23], s[6:7], 0, v[22:23]
	flat_load_ushort v22, v[22:23]
.LBB2828_45:
	s_or_b64 exec, exec, s[8:9]
	v_or_b32_e32 v24, 0x2a00, v0
	v_cmp_gt_u32_e32 vcc, s33, v24
                                        ; implicit-def: $vgpr23
	s_and_saveexec_b64 s[8:9], vcc
	s_cbranch_execz .LBB2828_47
; %bb.46:
	v_lshlrev_b32_e32 v24, 1, v24
	v_mov_b32_e32 v25, 0
	v_lshl_add_u64 v[24:25], s[6:7], 0, v[24:25]
	flat_load_ushort v23, v[24:25]
.LBB2828_47:
	s_or_b64 exec, exec, s[8:9]
	v_or_b32_e32 v25, 0x2c00, v0
	v_cmp_gt_u32_e32 vcc, s33, v25
                                        ; implicit-def: $vgpr24
	s_and_saveexec_b64 s[8:9], vcc
	s_cbranch_execz .LBB2828_49
; %bb.48:
	v_lshlrev_b32_e32 v24, 1, v25
	v_mov_b32_e32 v25, 0
	v_lshl_add_u64 v[24:25], s[6:7], 0, v[24:25]
	flat_load_ushort v24, v[24:25]
.LBB2828_49:
	s_or_b64 exec, exec, s[8:9]
	v_or_b32_e32 v26, 0x2e00, v0
	v_cmp_gt_u32_e32 vcc, s33, v26
                                        ; implicit-def: $vgpr25
	s_and_saveexec_b64 s[8:9], vcc
	s_cbranch_execz .LBB2828_51
; %bb.50:
	v_lshlrev_b32_e32 v26, 1, v26
	v_mov_b32_e32 v27, 0
	v_lshl_add_u64 v[26:27], s[6:7], 0, v[26:27]
	flat_load_ushort v25, v[26:27]
.LBB2828_51:
	s_or_b64 exec, exec, s[8:9]
	v_or_b32_e32 v27, 0x3000, v0
	v_cmp_gt_u32_e32 vcc, s33, v27
                                        ; implicit-def: $vgpr26
	s_and_saveexec_b64 s[8:9], vcc
	s_cbranch_execz .LBB2828_53
; %bb.52:
	v_lshlrev_b32_e32 v26, 1, v27
	v_mov_b32_e32 v27, 0
	v_lshl_add_u64 v[26:27], s[6:7], 0, v[26:27]
	flat_load_ushort v26, v[26:27]
.LBB2828_53:
	s_or_b64 exec, exec, s[8:9]
	v_or_b32_e32 v28, 0x3200, v0
	v_cmp_gt_u32_e32 vcc, s33, v28
                                        ; implicit-def: $vgpr27
	s_and_saveexec_b64 s[8:9], vcc
	s_cbranch_execz .LBB2828_55
; %bb.54:
	v_lshlrev_b32_e32 v28, 1, v28
	v_mov_b32_e32 v29, 0
	v_lshl_add_u64 v[28:29], s[6:7], 0, v[28:29]
	flat_load_ushort v27, v[28:29]
.LBB2828_55:
	s_or_b64 exec, exec, s[8:9]
	v_or_b32_e32 v29, 0x3400, v0
	v_cmp_gt_u32_e32 vcc, s33, v29
                                        ; implicit-def: $vgpr28
	s_and_saveexec_b64 s[8:9], vcc
	s_cbranch_execz .LBB2828_57
; %bb.56:
	v_lshlrev_b32_e32 v28, 1, v29
	v_mov_b32_e32 v29, 0
	v_lshl_add_u64 v[28:29], s[6:7], 0, v[28:29]
	flat_load_ushort v28, v[28:29]
.LBB2828_57:
	s_or_b64 exec, exec, s[8:9]
	v_or_b32_e32 v30, 0x3600, v0
	v_cmp_gt_u32_e32 vcc, s33, v30
                                        ; implicit-def: $vgpr29
	s_and_saveexec_b64 s[8:9], vcc
	s_cbranch_execz .LBB2828_59
; %bb.58:
	v_lshlrev_b32_e32 v30, 1, v30
	v_mov_b32_e32 v31, 0
	v_lshl_add_u64 v[30:31], s[6:7], 0, v[30:31]
	flat_load_ushort v29, v[30:31]
.LBB2828_59:
	s_or_b64 exec, exec, s[8:9]
	v_or_b32_e32 v31, 0x3800, v0
	v_cmp_gt_u32_e32 vcc, s33, v31
                                        ; implicit-def: $vgpr30
	s_and_saveexec_b64 s[8:9], vcc
	s_cbranch_execz .LBB2828_61
; %bb.60:
	v_lshlrev_b32_e32 v30, 1, v31
	v_mov_b32_e32 v31, 0
	v_lshl_add_u64 v[30:31], s[6:7], 0, v[30:31]
	flat_load_ushort v30, v[30:31]
.LBB2828_61:
	s_or_b64 exec, exec, s[8:9]
	v_or_b32_e32 v32, 0x3a00, v0
	v_cmp_gt_u32_e32 vcc, s33, v32
                                        ; implicit-def: $vgpr31
	s_and_saveexec_b64 s[8:9], vcc
	s_cbranch_execz .LBB2828_63
; %bb.62:
	v_lshlrev_b32_e32 v32, 1, v32
	v_mov_b32_e32 v33, 0
	v_lshl_add_u64 v[32:33], s[6:7], 0, v[32:33]
	flat_load_ushort v31, v[32:33]
.LBB2828_63:
	s_or_b64 exec, exec, s[8:9]
	s_waitcnt vmcnt(0) lgkmcnt(0)
	ds_write_b16 v2, v1
	ds_write_b16 v2, v4 offset:1024
	ds_write_b16 v2, v5 offset:2048
	;; [unrolled: 1-line block ×29, first 2 shown]
	s_waitcnt lgkmcnt(0)
	s_barrier
.LBB2828_64:
	v_mul_u32_u24_e32 v40, 30, v0
	v_lshlrev_b32_e32 v4, 1, v40
	s_waitcnt lgkmcnt(0)
	ds_read_b32 v3, v4 offset:56
	ds_read2_b32 v[8:9], v4 offset0:12 offset1:13
	ds_read2_b32 v[10:11], v4 offset0:10 offset1:11
	;; [unrolled: 1-line block ×3, first 2 shown]
	ds_read2_b32 v[20:21], v4 offset1:1
	ds_read2_b32 v[18:19], v4 offset0:2 offset1:3
	ds_read2_b32 v[16:17], v4 offset0:4 offset1:5
	ds_read2_b32 v[14:15], v4 offset0:6 offset1:7
	s_waitcnt lgkmcnt(7)
	v_lshrrev_b32_e32 v1, 16, v3
	s_waitcnt lgkmcnt(6)
	v_lshrrev_b32_e32 v29, 16, v8
	v_lshrrev_b32_e32 v28, 16, v9
	s_waitcnt lgkmcnt(5)
	v_lshrrev_b32_e32 v31, 16, v10
	;; [unrolled: 3-line block ×6, first 2 shown]
	v_lshrrev_b32_e32 v34, 16, v15
	v_lshrrev_b32_e32 v33, 16, v12
	;; [unrolled: 1-line block ×3, first 2 shown]
	v_cndmask_b32_e64 v4, 0, 1, s[4:5]
	v_cmp_ne_u32_e64 s[20:21], 1, v4
	s_andn2_b64 vcc, exec, s[4:5]
	v_xor_b32_e32 v92, -1, v20
	v_xor_b32_e32 v91, -1, v42
	;; [unrolled: 1-line block ×30, first 2 shown]
	s_barrier
	s_cbranch_vccnz .LBB2828_66
; %bb.65:
	v_and_b32_e32 v72, 1, v92
	v_and_b32_e32 v71, 1, v91
	;; [unrolled: 1-line block ×30, first 2 shown]
	s_load_dwordx2 s[28:29], s[0:1], 0x70
	s_cbranch_execz .LBB2828_67
	s_branch .LBB2828_68
.LBB2828_66:
                                        ; implicit-def: $vgpr72
                                        ; implicit-def: $vgpr71
                                        ; implicit-def: $vgpr70
                                        ; implicit-def: $vgpr69
                                        ; implicit-def: $vgpr68
                                        ; implicit-def: $vgpr67
                                        ; implicit-def: $vgpr66
                                        ; implicit-def: $vgpr65
                                        ; implicit-def: $vgpr64
                                        ; implicit-def: $vgpr63
                                        ; implicit-def: $vgpr62
                                        ; implicit-def: $vgpr61
                                        ; implicit-def: $vgpr60
                                        ; implicit-def: $vgpr59
                                        ; implicit-def: $vgpr58
                                        ; implicit-def: $vgpr57
                                        ; implicit-def: $vgpr56
                                        ; implicit-def: $vgpr55
                                        ; implicit-def: $vgpr54
                                        ; implicit-def: $vgpr53
                                        ; implicit-def: $vgpr52
                                        ; implicit-def: $vgpr51
                                        ; implicit-def: $vgpr50
                                        ; implicit-def: $vgpr49
                                        ; implicit-def: $vgpr48
                                        ; implicit-def: $vgpr47
                                        ; implicit-def: $vgpr46
                                        ; implicit-def: $vgpr45
                                        ; implicit-def: $vgpr43
                                        ; implicit-def: $vgpr44
	s_load_dwordx2 s[28:29], s[0:1], 0x70
.LBB2828_67:
	v_or_b32_e32 v52, 1, v40
	v_cmp_gt_u32_e32 vcc, s33, v40
	v_add_u32_e32 v53, 2, v40
	v_add_u32_e32 v54, 3, v40
	v_cndmask_b32_e64 v62, 0, 1, vcc
	v_cmp_gt_u32_e32 vcc, s33, v52
	v_add_u32_e32 v55, 4, v40
	v_add_u32_e32 v56, 5, v40
	v_cndmask_b32_e64 v52, 0, 1, vcc
	v_cmp_gt_u32_e32 vcc, s33, v53
	v_and_b32_e32 v71, v52, v91
	v_add_u32_e32 v57, 6, v40
	v_cndmask_b32_e64 v52, 0, 1, vcc
	v_cmp_gt_u32_e32 vcc, s33, v54
	v_and_b32_e32 v70, v52, v90
	;; [unrolled: 4-line block ×9, first 2 shown]
	v_and_b32_e32 v72, v62, v92
	v_cndmask_b32_e64 v52, 0, 1, vcc
	v_cmp_gt_u32_e32 vcc, s33, v93
	v_and_b32_e32 v62, v52, v82
	v_add_u32_e32 v96, 14, v40
	v_cndmask_b32_e64 v52, 0, 1, vcc
	v_cmp_gt_u32_e32 vcc, s33, v94
	v_and_b32_e32 v61, v52, v81
	v_add_u32_e32 v97, 15, v40
	;; [unrolled: 4-line block ×16, first 2 shown]
	v_cndmask_b32_e64 v22, 0, 1, vcc
	v_cmp_gt_u32_e32 vcc, s33, v45
	v_and_b32_e32 v46, v22, v7
	s_nop 0
	v_cndmask_b32_e64 v7, 0, 1, vcc
	v_cmp_gt_u32_e32 vcc, s33, v43
	v_and_b32_e32 v45, v7, v6
	s_nop 0
	;; [unrolled: 4-line block ×3, first 2 shown]
	v_cndmask_b32_e64 v5, 0, 1, vcc
	v_and_b32_e32 v44, v5, v4
.LBB2828_68:
	v_and_b32_e32 v99, 0xff, v46
	v_and_b32_e32 v100, 0xff, v45
	v_add_u32_sdwa v4, v43, v44 dst_sel:DWORD dst_unused:UNUSED_PAD src0_sel:BYTE_0 src1_sel:BYTE_0
	v_and_b32_e32 v97, 0xff, v48
	v_and_b32_e32 v98, 0xff, v47
	v_add3_u32 v4, v4, v100, v99
	v_and_b32_e32 v95, 0xff, v50
	v_and_b32_e32 v96, 0xff, v49
	v_add3_u32 v4, v4, v98, v97
	;; [unrolled: 3-line block ×13, first 2 shown]
	v_add3_u32 v103, v4, v74, v73
	v_mbcnt_lo_u32_b32 v4, -1, 0
	v_mbcnt_hi_u32_b32 v101, -1, v4
	v_and_b32_e32 v4, 15, v101
	v_cmp_eq_u32_e64 s[16:17], 0, v4
	v_cmp_lt_u32_e64 s[14:15], 1, v4
	v_cmp_lt_u32_e64 s[12:13], 3, v4
	v_cmp_lt_u32_e64 s[10:11], 7, v4
	v_and_b32_e32 v4, 16, v101
	v_cmp_eq_u32_e64 s[8:9], 0, v4
	v_or_b32_e32 v4, 63, v0
	s_cmp_lg_u32 s2, 0
	v_cmp_lt_u32_e64 s[4:5], 31, v101
	v_lshrrev_b32_e32 v102, 6, v0
	v_cmp_eq_u32_e64 s[6:7], v4, v0
	s_cbranch_scc0 .LBB2828_99
; %bb.69:
	v_mov_b32_dpp v4, v103 row_shr:1 row_mask:0xf bank_mask:0xf
	v_cndmask_b32_e64 v4, v4, 0, s[16:17]
	v_add_u32_e32 v4, v4, v103
	s_nop 1
	v_mov_b32_dpp v5, v4 row_shr:2 row_mask:0xf bank_mask:0xf
	v_cndmask_b32_e64 v5, 0, v5, s[14:15]
	v_add_u32_e32 v4, v4, v5
	s_nop 1
	;; [unrolled: 4-line block ×4, first 2 shown]
	v_mov_b32_dpp v5, v4 row_bcast:15 row_mask:0xf bank_mask:0xf
	v_cndmask_b32_e64 v5, v5, 0, s[8:9]
	v_add_u32_e32 v4, v4, v5
	s_nop 1
	v_mov_b32_dpp v5, v4 row_bcast:31 row_mask:0xf bank_mask:0xf
	v_cndmask_b32_e64 v5, 0, v5, s[4:5]
	v_add_u32_e32 v4, v4, v5
	s_and_saveexec_b64 s[18:19], s[6:7]
	s_cbranch_execz .LBB2828_71
; %bb.70:
	v_lshlrev_b32_e32 v5, 2, v102
	ds_write_b32 v5, v4
.LBB2828_71:
	s_or_b64 exec, exec, s[18:19]
	v_cmp_gt_u32_e32 vcc, 8, v0
	s_waitcnt lgkmcnt(0)
	s_barrier
	s_and_saveexec_b64 s[18:19], vcc
	s_cbranch_execz .LBB2828_73
; %bb.72:
	v_lshlrev_b32_e32 v5, 2, v0
	ds_read_b32 v6, v5
	v_and_b32_e32 v7, 7, v101
	v_cmp_ne_u32_e32 vcc, 0, v7
	s_waitcnt lgkmcnt(0)
	v_mov_b32_dpp v22, v6 row_shr:1 row_mask:0xf bank_mask:0xf
	v_cndmask_b32_e32 v22, 0, v22, vcc
	v_add_u32_e32 v6, v22, v6
	v_cmp_lt_u32_e32 vcc, 1, v7
	s_nop 0
	v_mov_b32_dpp v22, v6 row_shr:2 row_mask:0xf bank_mask:0xf
	v_cndmask_b32_e32 v22, 0, v22, vcc
	v_add_u32_e32 v6, v6, v22
	v_cmp_lt_u32_e32 vcc, 3, v7
	s_nop 0
	v_mov_b32_dpp v22, v6 row_shr:4 row_mask:0xf bank_mask:0xf
	v_cndmask_b32_e32 v7, 0, v22, vcc
	v_add_u32_e32 v6, v6, v7
	ds_write_b32 v5, v6
.LBB2828_73:
	s_or_b64 exec, exec, s[18:19]
	v_cmp_gt_u32_e32 vcc, 64, v0
	v_cmp_lt_u32_e64 s[18:19], 63, v0
	s_waitcnt lgkmcnt(0)
	s_barrier
	s_waitcnt lgkmcnt(0)
                                        ; implicit-def: $vgpr104
	s_and_saveexec_b64 s[30:31], s[18:19]
	s_cbranch_execz .LBB2828_75
; %bb.74:
	v_lshl_add_u32 v5, v102, 2, -4
	ds_read_b32 v104, v5
	s_waitcnt lgkmcnt(0)
	v_add_u32_e32 v4, v104, v4
.LBB2828_75:
	s_or_b64 exec, exec, s[30:31]
	v_add_u32_e32 v5, -1, v101
	v_and_b32_e32 v6, 64, v101
	v_cmp_lt_i32_e64 s[18:19], v5, v6
	s_nop 1
	v_cndmask_b32_e64 v5, v5, v101, s[18:19]
	v_lshlrev_b32_e32 v5, 2, v5
	ds_bpermute_b32 v105, v5, v4
	v_cmp_eq_u32_e64 s[18:19], 0, v101
	s_and_saveexec_b64 s[30:31], vcc
	s_cbranch_execz .LBB2828_98
; %bb.76:
	v_mov_b32_e32 v27, 0
	ds_read_b32 v4, v27 offset:28
	s_and_saveexec_b64 s[34:35], s[18:19]
	s_cbranch_execz .LBB2828_78
; %bb.77:
	s_add_i32 s36, s2, 64
	s_mov_b32 s37, 0
	s_lshl_b64 s[36:37], s[36:37], 3
	s_add_u32 s36, s28, s36
	v_mov_b32_e32 v5, 1
	s_addc_u32 s37, s29, s37
	s_waitcnt lgkmcnt(0)
	global_store_dwordx2 v27, v[4:5], s[36:37] sc1
.LBB2828_78:
	s_or_b64 exec, exec, s[34:35]
	v_xad_u32 v6, v101, -1, s2
	v_add_u32_e32 v26, 64, v6
	v_lshl_add_u64 v[22:23], v[26:27], 3, s[28:29]
	global_load_dwordx2 v[24:25], v[22:23], off sc1
	s_waitcnt vmcnt(0)
	v_cmp_eq_u16_sdwa s[36:37], v25, v27 src0_sel:BYTE_0 src1_sel:DWORD
	s_and_saveexec_b64 s[34:35], s[36:37]
	s_cbranch_execz .LBB2828_84
; %bb.79:
	s_mov_b32 s3, 1
	s_mov_b64 s[36:37], 0
	v_mov_b32_e32 v5, 0
.LBB2828_80:                            ; =>This Loop Header: Depth=1
                                        ;     Child Loop BB2828_81 Depth 2
	s_max_u32 s38, s3, 1
.LBB2828_81:                            ;   Parent Loop BB2828_80 Depth=1
                                        ; =>  This Inner Loop Header: Depth=2
	s_add_i32 s38, s38, -1
	s_cmp_eq_u32 s38, 0
	s_sleep 1
	s_cbranch_scc0 .LBB2828_81
; %bb.82:                               ;   in Loop: Header=BB2828_80 Depth=1
	global_load_dwordx2 v[24:25], v[22:23], off sc1
	s_cmp_lt_u32 s3, 32
	s_cselect_b64 s[38:39], -1, 0
	s_cmp_lg_u64 s[38:39], 0
	s_addc_u32 s3, s3, 0
	s_waitcnt vmcnt(0)
	v_cmp_ne_u16_sdwa s[38:39], v25, v5 src0_sel:BYTE_0 src1_sel:DWORD
	s_or_b64 s[36:37], s[38:39], s[36:37]
	s_andn2_b64 exec, exec, s[36:37]
	s_cbranch_execnz .LBB2828_80
; %bb.83:
	s_or_b64 exec, exec, s[36:37]
.LBB2828_84:
	s_or_b64 exec, exec, s[34:35]
	v_and_b32_e32 v107, 63, v101
	v_mov_b32_e32 v106, 2
	v_cmp_ne_u32_e32 vcc, 63, v107
	v_cmp_eq_u16_sdwa s[34:35], v25, v106 src0_sel:BYTE_0 src1_sel:DWORD
	v_lshlrev_b64 v[22:23], v101, -1
	v_addc_co_u32_e32 v26, vcc, 0, v101, vcc
	v_and_b32_e32 v5, s35, v23
	v_lshlrev_b32_e32 v108, 2, v26
	v_or_b32_e32 v5, 0x80000000, v5
	ds_bpermute_b32 v26, v108, v24
	v_and_b32_e32 v7, s34, v22
	v_ffbl_b32_e32 v5, v5
	v_add_u32_e32 v5, 32, v5
	v_ffbl_b32_e32 v7, v7
	v_min_u32_e32 v5, v7, v5
	v_cmp_lt_u32_e32 vcc, v107, v5
	v_add_u32_e32 v110, 2, v107
	v_add_u32_e32 v112, 4, v107
	s_waitcnt lgkmcnt(0)
	v_cndmask_b32_e32 v7, 0, v26, vcc
	v_cmp_gt_u32_e32 vcc, 62, v107
	v_add_u32_e32 v7, v7, v24
	v_add_u32_e32 v114, 8, v107
	v_cndmask_b32_e64 v24, 0, 1, vcc
	v_lshlrev_b32_e32 v24, 1, v24
	v_add_lshl_u32 v109, v24, v101, 2
	ds_bpermute_b32 v24, v109, v7
	v_cmp_le_u32_e32 vcc, v110, v5
	v_add_u32_e32 v116, 16, v107
	v_add_u32_e32 v118, 32, v107
	s_waitcnt lgkmcnt(0)
	v_cndmask_b32_e32 v24, 0, v24, vcc
	v_cmp_gt_u32_e32 vcc, 60, v107
	v_add_u32_e32 v7, v7, v24
	s_nop 0
	v_cndmask_b32_e64 v24, 0, 1, vcc
	v_lshlrev_b32_e32 v24, 2, v24
	v_add_lshl_u32 v111, v24, v101, 2
	ds_bpermute_b32 v24, v111, v7
	v_cmp_le_u32_e32 vcc, v112, v5
	s_waitcnt lgkmcnt(0)
	s_nop 0
	v_cndmask_b32_e32 v24, 0, v24, vcc
	v_cmp_gt_u32_e32 vcc, 56, v107
	v_add_u32_e32 v7, v7, v24
	s_nop 0
	v_cndmask_b32_e64 v24, 0, 1, vcc
	v_lshlrev_b32_e32 v24, 3, v24
	v_add_lshl_u32 v113, v24, v101, 2
	ds_bpermute_b32 v24, v113, v7
	v_cmp_le_u32_e32 vcc, v114, v5
	s_waitcnt lgkmcnt(0)
	s_nop 0
	;; [unrolled: 11-line block ×4, first 2 shown]
	v_cndmask_b32_e32 v5, 0, v24, vcc
	v_add_u32_e32 v24, v7, v5
	v_mov_b32_e32 v7, 0
	s_branch .LBB2828_86
.LBB2828_85:                            ;   in Loop: Header=BB2828_86 Depth=1
	s_or_b64 exec, exec, s[34:35]
	v_cmp_eq_u16_sdwa s[34:35], v25, v106 src0_sel:BYTE_0 src1_sel:DWORD
	ds_bpermute_b32 v119, v108, v24
	v_subrev_u32_e32 v6, 64, v6
	v_and_b32_e32 v26, s35, v23
	v_or_b32_e32 v26, 0x80000000, v26
	v_and_b32_e32 v27, s34, v22
	v_ffbl_b32_e32 v26, v26
	v_add_u32_e32 v26, 32, v26
	v_ffbl_b32_e32 v27, v27
	v_min_u32_e32 v26, v27, v26
	v_cmp_lt_u32_e32 vcc, v107, v26
	s_waitcnt lgkmcnt(0)
	s_nop 0
	v_cndmask_b32_e32 v27, 0, v119, vcc
	v_add_u32_e32 v24, v27, v24
	ds_bpermute_b32 v27, v109, v24
	v_cmp_le_u32_e32 vcc, v110, v26
	s_waitcnt lgkmcnt(0)
	s_nop 0
	v_cndmask_b32_e32 v27, 0, v27, vcc
	v_add_u32_e32 v24, v24, v27
	ds_bpermute_b32 v27, v111, v24
	v_cmp_le_u32_e32 vcc, v112, v26
	;; [unrolled: 6-line block ×5, first 2 shown]
	s_waitcnt lgkmcnt(0)
	s_nop 0
	v_cndmask_b32_e32 v26, 0, v27, vcc
	v_add3_u32 v24, v26, v5, v24
.LBB2828_86:                            ; =>This Loop Header: Depth=1
                                        ;     Child Loop BB2828_89 Depth 2
                                        ;       Child Loop BB2828_90 Depth 3
	v_cmp_ne_u16_sdwa s[34:35], v25, v106 src0_sel:BYTE_0 src1_sel:DWORD
	s_nop 1
	v_cndmask_b32_e64 v5, 0, 1, s[34:35]
	;;#ASMSTART
	;;#ASMEND
	s_nop 0
	v_cmp_ne_u32_e32 vcc, 0, v5
	s_cmp_lg_u64 vcc, exec
	v_mov_b32_e32 v5, v24
	s_cbranch_scc1 .LBB2828_93
; %bb.87:                               ;   in Loop: Header=BB2828_86 Depth=1
	v_lshl_add_u64 v[26:27], v[6:7], 3, s[28:29]
	global_load_dwordx2 v[24:25], v[26:27], off sc1
	s_waitcnt vmcnt(0)
	v_cmp_eq_u16_sdwa s[36:37], v25, v7 src0_sel:BYTE_0 src1_sel:DWORD
	s_and_saveexec_b64 s[34:35], s[36:37]
	s_cbranch_execz .LBB2828_85
; %bb.88:                               ;   in Loop: Header=BB2828_86 Depth=1
	s_mov_b32 s3, 1
	s_mov_b64 s[36:37], 0
.LBB2828_89:                            ;   Parent Loop BB2828_86 Depth=1
                                        ; =>  This Loop Header: Depth=2
                                        ;       Child Loop BB2828_90 Depth 3
	s_max_u32 s38, s3, 1
.LBB2828_90:                            ;   Parent Loop BB2828_86 Depth=1
                                        ;     Parent Loop BB2828_89 Depth=2
                                        ; =>    This Inner Loop Header: Depth=3
	s_add_i32 s38, s38, -1
	s_cmp_eq_u32 s38, 0
	s_sleep 1
	s_cbranch_scc0 .LBB2828_90
; %bb.91:                               ;   in Loop: Header=BB2828_89 Depth=2
	global_load_dwordx2 v[24:25], v[26:27], off sc1
	s_cmp_lt_u32 s3, 32
	s_cselect_b64 s[38:39], -1, 0
	s_cmp_lg_u64 s[38:39], 0
	s_addc_u32 s3, s3, 0
	s_waitcnt vmcnt(0)
	v_cmp_ne_u16_sdwa s[38:39], v25, v7 src0_sel:BYTE_0 src1_sel:DWORD
	s_or_b64 s[36:37], s[38:39], s[36:37]
	s_andn2_b64 exec, exec, s[36:37]
	s_cbranch_execnz .LBB2828_89
; %bb.92:                               ;   in Loop: Header=BB2828_86 Depth=1
	s_or_b64 exec, exec, s[36:37]
	s_branch .LBB2828_85
.LBB2828_93:                            ;   in Loop: Header=BB2828_86 Depth=1
                                        ; implicit-def: $vgpr24
                                        ; implicit-def: $vgpr25
	s_cbranch_execz .LBB2828_86
; %bb.94:
	s_and_saveexec_b64 s[34:35], s[18:19]
	s_cbranch_execz .LBB2828_96
; %bb.95:
	s_add_i32 s2, s2, 64
	s_mov_b32 s3, 0
	s_lshl_b64 s[2:3], s[2:3], 3
	s_add_u32 s2, s28, s2
	v_add_u32_e32 v6, v5, v4
	v_mov_b32_e32 v7, 2
	s_addc_u32 s3, s29, s3
	v_mov_b32_e32 v22, 0
	global_store_dwordx2 v22, v[6:7], s[2:3] sc1
	ds_write_b64 v22, v[4:5] offset:30720
.LBB2828_96:
	s_or_b64 exec, exec, s[34:35]
	v_cmp_eq_u32_e32 vcc, 0, v0
	s_and_b64 exec, exec, vcc
	s_cbranch_execz .LBB2828_98
; %bb.97:
	v_mov_b32_e32 v4, 0
	ds_write_b32 v4, v5 offset:28
.LBB2828_98:
	s_or_b64 exec, exec, s[30:31]
	v_mov_b32_e32 v4, 0
	s_waitcnt lgkmcnt(0)
	s_barrier
	ds_read_b32 v7, v4 offset:28
	s_waitcnt lgkmcnt(0)
	s_barrier
	ds_read_b64 v[4:5], v4 offset:30720
	v_cndmask_b32_e64 v6, v105, v104, s[18:19]
	v_cmp_ne_u32_e32 vcc, 0, v0
	s_nop 1
	v_cndmask_b32_e32 v6, 0, v6, vcc
	v_add_u32_e32 v7, v7, v6
	s_waitcnt lgkmcnt(0)
	v_mov_b32_e32 v6, v5
	s_load_dwordx2 s[2:3], s[0:1], 0x28
	s_branch .LBB2828_109
.LBB2828_99:
                                        ; implicit-def: $vgpr6
                                        ; implicit-def: $vgpr4
                                        ; implicit-def: $vgpr7
	s_load_dwordx2 s[2:3], s[0:1], 0x28
	s_cbranch_execz .LBB2828_109
; %bb.100:
	v_mov_b32_dpp v4, v103 row_shr:1 row_mask:0xf bank_mask:0xf
	v_cndmask_b32_e64 v4, v4, 0, s[16:17]
	v_add_u32_e32 v4, v4, v103
	s_nop 1
	v_mov_b32_dpp v5, v4 row_shr:2 row_mask:0xf bank_mask:0xf
	v_cndmask_b32_e64 v5, 0, v5, s[14:15]
	v_add_u32_e32 v4, v4, v5
	s_nop 1
	;; [unrolled: 4-line block ×4, first 2 shown]
	v_mov_b32_dpp v5, v4 row_bcast:15 row_mask:0xf bank_mask:0xf
	v_cndmask_b32_e64 v5, v5, 0, s[8:9]
	v_add_u32_e32 v4, v4, v5
	s_nop 1
	v_mov_b32_dpp v5, v4 row_bcast:31 row_mask:0xf bank_mask:0xf
	v_cndmask_b32_e64 v5, 0, v5, s[4:5]
	v_add_u32_e32 v4, v4, v5
	s_and_saveexec_b64 s[0:1], s[6:7]
	s_cbranch_execz .LBB2828_102
; %bb.101:
	v_lshlrev_b32_e32 v5, 2, v102
	ds_write_b32 v5, v4
.LBB2828_102:
	s_or_b64 exec, exec, s[0:1]
	v_cmp_gt_u32_e32 vcc, 8, v0
	s_waitcnt lgkmcnt(0)
	s_barrier
	s_and_saveexec_b64 s[0:1], vcc
	s_cbranch_execz .LBB2828_104
; %bb.103:
	v_lshlrev_b32_e32 v5, 2, v0
	ds_read_b32 v6, v5
	v_and_b32_e32 v7, 7, v101
	v_cmp_ne_u32_e32 vcc, 0, v7
	s_waitcnt lgkmcnt(0)
	v_mov_b32_dpp v22, v6 row_shr:1 row_mask:0xf bank_mask:0xf
	v_cndmask_b32_e32 v22, 0, v22, vcc
	v_add_u32_e32 v6, v22, v6
	v_cmp_lt_u32_e32 vcc, 1, v7
	s_nop 0
	v_mov_b32_dpp v22, v6 row_shr:2 row_mask:0xf bank_mask:0xf
	v_cndmask_b32_e32 v22, 0, v22, vcc
	v_add_u32_e32 v6, v6, v22
	v_cmp_lt_u32_e32 vcc, 3, v7
	s_nop 0
	v_mov_b32_dpp v22, v6 row_shr:4 row_mask:0xf bank_mask:0xf
	v_cndmask_b32_e32 v7, 0, v22, vcc
	v_add_u32_e32 v6, v6, v7
	ds_write_b32 v5, v6
.LBB2828_104:
	s_or_b64 exec, exec, s[0:1]
	v_cmp_lt_u32_e32 vcc, 63, v0
	v_mov_b32_e32 v5, 0
	v_mov_b32_e32 v6, 0
	s_waitcnt lgkmcnt(0)
	s_barrier
	s_and_saveexec_b64 s[0:1], vcc
	s_cbranch_execz .LBB2828_106
; %bb.105:
	v_lshl_add_u32 v6, v102, 2, -4
	ds_read_b32 v6, v6
.LBB2828_106:
	s_or_b64 exec, exec, s[0:1]
	v_add_u32_e32 v7, -1, v101
	v_and_b32_e32 v22, 64, v101
	v_cmp_lt_i32_e32 vcc, v7, v22
	s_waitcnt lgkmcnt(0)
	v_add_u32_e32 v4, v6, v4
	v_cndmask_b32_e32 v7, v7, v101, vcc
	v_lshlrev_b32_e32 v7, 2, v7
	ds_bpermute_b32 v7, v7, v4
	ds_read_b32 v4, v5 offset:28
	v_cmp_eq_u32_e32 vcc, 0, v0
	s_and_saveexec_b64 s[0:1], vcc
	s_cbranch_execz .LBB2828_108
; %bb.107:
	v_mov_b32_e32 v22, 0
	v_mov_b32_e32 v5, 2
	s_waitcnt lgkmcnt(0)
	global_store_dwordx2 v22, v[4:5], s[28:29] offset:512 sc1
.LBB2828_108:
	s_or_b64 exec, exec, s[0:1]
	v_cmp_eq_u32_e64 s[0:1], 0, v101
	s_waitcnt lgkmcnt(0)
	s_barrier
	v_cndmask_b32_e64 v5, v7, v6, s[0:1]
	v_mov_b32_e32 v6, 0
	v_cndmask_b32_e64 v7, v5, 0, vcc
.LBB2828_109:
	v_add_u32_e32 v5, v7, v73
	v_add_u32_e32 v22, v5, v74
	;; [unrolled: 1-line block ×22, first 2 shown]
	v_sub_u32_e32 v7, v7, v6
	v_and_b32_e32 v72, 1, v72
	v_add_u32_e32 v87, v86, v94
	v_sub_u32_e32 v94, v40, v7
	v_cmp_eq_u32_e32 vcc, 1, v72
	v_sub_u32_e32 v5, v5, v6
	v_add_u32_e32 v88, v87, v95
	v_cndmask_b32_e32 v7, v94, v7, vcc
	v_lshlrev_b32_e32 v7, 1, v7
	ds_write_b16 v7, v20
	v_sub_u32_e32 v7, v40, v5
	v_and_b32_e32 v20, 1, v71
	v_add_u32_e32 v7, 1, v7
	v_cmp_eq_u32_e32 vcc, 1, v20
	v_and_b32_e32 v20, 1, v70
	v_add_u32_e32 v89, v88, v96
	v_cndmask_b32_e32 v5, v7, v5, vcc
	v_lshlrev_b32_e32 v5, 1, v5
	ds_write_b16 v5, v42
	v_sub_u32_e32 v5, v22, v6
	v_sub_u32_e32 v7, v40, v5
	v_add_u32_e32 v7, 2, v7
	v_cmp_eq_u32_e32 vcc, 1, v20
	v_and_b32_e32 v20, 1, v69
	v_add_u32_e32 v90, v89, v97
	v_cndmask_b32_e32 v5, v7, v5, vcc
	v_lshlrev_b32_e32 v5, 1, v5
	ds_write_b16 v5, v21
	v_sub_u32_e32 v5, v23, v6
	v_sub_u32_e32 v7, v40, v5
	v_add_u32_e32 v7, 3, v7
	v_cmp_eq_u32_e32 vcc, 1, v20
	v_and_b32_e32 v20, 1, v68
	v_add_u32_e32 v91, v90, v98
	v_cndmask_b32_e32 v5, v7, v5, vcc
	v_lshlrev_b32_e32 v5, 1, v5
	ds_write_b16 v5, v41
	v_sub_u32_e32 v5, v24, v6
	v_sub_u32_e32 v7, v40, v5
	v_add_u32_e32 v7, 4, v7
	v_cmp_eq_u32_e32 vcc, 1, v20
	v_add_u32_e32 v92, v91, v99
	v_add_u32_e32 v93, v92, v100
	v_cndmask_b32_e32 v5, v7, v5, vcc
	v_lshlrev_b32_e32 v5, 1, v5
	ds_write_b16 v5, v18
	v_sub_u32_e32 v5, v25, v6
	v_sub_u32_e32 v7, v40, v5
	v_and_b32_e32 v18, 1, v67
	v_add_u32_e32 v7, 5, v7
	v_cmp_eq_u32_e32 vcc, 1, v18
	v_and_b32_e32 v18, 1, v66
	v_or_b32_e32 v41, 0x1800, v0
	v_cndmask_b32_e32 v5, v7, v5, vcc
	v_lshlrev_b32_e32 v5, 1, v5
	ds_write_b16 v5, v39
	v_sub_u32_e32 v5, v26, v6
	v_sub_u32_e32 v7, v40, v5
	v_add_u32_e32 v7, 6, v7
	v_cmp_eq_u32_e32 vcc, 1, v18
	v_and_b32_e32 v18, 1, v65
	v_or_b32_e32 v39, 0x1a00, v0
	v_cndmask_b32_e32 v5, v7, v5, vcc
	v_lshlrev_b32_e32 v5, 1, v5
	ds_write_b16 v5, v19
	v_sub_u32_e32 v5, v27, v6
	v_sub_u32_e32 v7, v40, v5
	v_add_u32_e32 v7, 7, v7
	v_cmp_eq_u32_e32 vcc, 1, v18
	v_and_b32_e32 v18, 1, v64
	v_or_b32_e32 v27, 0x2600, v0
	v_cndmask_b32_e32 v5, v7, v5, vcc
	v_lshlrev_b32_e32 v5, 1, v5
	ds_write_b16 v5, v38
	v_sub_u32_e32 v5, v73, v6
	v_sub_u32_e32 v7, v40, v5
	v_add_u32_e32 v7, 8, v7
	v_cmp_eq_u32_e32 vcc, 1, v18
	v_or_b32_e32 v25, 0x2800, v0
	v_or_b32_e32 v23, 0x2a00, v0
	v_cndmask_b32_e32 v5, v7, v5, vcc
	v_lshlrev_b32_e32 v5, 1, v5
	ds_write_b16 v5, v16
	v_sub_u32_e32 v5, v74, v6
	v_sub_u32_e32 v7, v40, v5
	v_and_b32_e32 v16, 1, v63
	v_add_u32_e32 v7, 9, v7
	v_cmp_eq_u32_e32 vcc, 1, v16
	v_and_b32_e32 v16, 1, v62
	v_or_b32_e32 v63, 0x200, v0
	v_cndmask_b32_e32 v5, v7, v5, vcc
	v_lshlrev_b32_e32 v5, 1, v5
	ds_write_b16 v5, v37
	v_sub_u32_e32 v5, v75, v6
	v_sub_u32_e32 v7, v40, v5
	v_add_u32_e32 v7, 10, v7
	v_cmp_eq_u32_e32 vcc, 1, v16
	v_and_b32_e32 v16, 1, v61
	v_or_b32_e32 v61, 0x400, v0
	v_cndmask_b32_e32 v5, v7, v5, vcc
	v_lshlrev_b32_e32 v5, 1, v5
	ds_write_b16 v5, v17
	v_sub_u32_e32 v5, v76, v6
	v_sub_u32_e32 v7, v40, v5
	v_add_u32_e32 v7, 11, v7
	v_cmp_eq_u32_e32 vcc, 1, v16
	v_and_b32_e32 v16, 1, v60
	v_or_b32_e32 v37, 0x1c00, v0
	v_cndmask_b32_e32 v5, v7, v5, vcc
	v_lshlrev_b32_e32 v5, 1, v5
	ds_write_b16 v5, v36
	v_sub_u32_e32 v5, v77, v6
	v_sub_u32_e32 v7, v40, v5
	v_add_u32_e32 v7, 12, v7
	v_cmp_eq_u32_e32 vcc, 1, v16
	v_or_b32_e32 v21, 0x2c00, v0
	v_or_b32_e32 v19, 0x2e00, v0
	;; [unrolled: 37-line block ×4, first 2 shown]
	v_cndmask_b32_e32 v5, v7, v5, vcc
	v_lshlrev_b32_e32 v5, 1, v5
	ds_write_b16 v5, v10
	v_sub_u32_e32 v5, v86, v6
	v_sub_u32_e32 v7, v40, v5
	v_and_b32_e32 v10, 1, v51
	v_add_u32_e32 v7, 21, v7
	v_cmp_eq_u32_e32 vcc, 1, v10
	v_and_b32_e32 v10, 1, v50
	v_or_b32_e32 v50, 0xe00, v0
	v_cndmask_b32_e32 v5, v7, v5, vcc
	v_lshlrev_b32_e32 v5, 1, v5
	ds_write_b16 v5, v31
	v_sub_u32_e32 v5, v87, v6
	v_sub_u32_e32 v7, v40, v5
	v_add_u32_e32 v7, 22, v7
	v_cmp_eq_u32_e32 vcc, 1, v10
	v_and_b32_e32 v10, 1, v49
	v_or_b32_e32 v49, 0x1000, v0
	v_cndmask_b32_e32 v5, v7, v5, vcc
	v_lshlrev_b32_e32 v5, 1, v5
	ds_write_b16 v5, v11
	v_sub_u32_e32 v5, v88, v6
	v_sub_u32_e32 v7, v40, v5
	;; [unrolled: 9-line block ×3, first 2 shown]
	v_add_u32_e32 v7, 24, v7
	v_cmp_eq_u32_e32 vcc, 1, v10
	v_or_b32_e32 v10, 0x3800, v0
	s_nop 0
	v_cndmask_b32_e32 v5, v7, v5, vcc
	v_lshlrev_b32_e32 v5, 1, v5
	ds_write_b16 v5, v8
	v_sub_u32_e32 v5, v90, v6
	v_sub_u32_e32 v7, v40, v5
	v_and_b32_e32 v8, 1, v47
	v_add_u32_e32 v7, 25, v7
	v_cmp_eq_u32_e32 vcc, 1, v8
	v_and_b32_e32 v8, 1, v46
	v_or_b32_e32 v47, 0x1200, v0
	v_cndmask_b32_e32 v5, v7, v5, vcc
	v_lshlrev_b32_e32 v5, 1, v5
	ds_write_b16 v5, v29
	v_sub_u32_e32 v5, v91, v6
	v_sub_u32_e32 v7, v40, v5
	v_add_u32_e32 v7, 26, v7
	v_cmp_eq_u32_e32 vcc, 1, v8
	v_and_b32_e32 v8, 1, v45
	v_or_b32_e32 v45, 0x1400, v0
	v_cndmask_b32_e32 v5, v7, v5, vcc
	v_lshlrev_b32_e32 v5, 1, v5
	ds_write_b16 v5, v9
	v_sub_u32_e32 v5, v92, v6
	v_sub_u32_e32 v7, v40, v5
	;; [unrolled: 9-line block ×3, first 2 shown]
	v_add_u32_e32 v7, 28, v7
	v_cmp_eq_u32_e32 vcc, 1, v8
	s_nop 1
	v_cndmask_b32_e32 v5, v7, v5, vcc
	v_lshlrev_b32_e32 v5, 1, v5
	ds_write_b16 v5, v3
	v_sub_u32_sdwa v3, v43, v6 dst_sel:DWORD dst_unused:UNUSED_PAD src0_sel:BYTE_0 src1_sel:DWORD
	v_add_u32_e32 v3, v93, v3
	v_sub_u32_e32 v5, v40, v3
	v_and_b32_e32 v7, 1, v44
	v_add_u32_e32 v5, 29, v5
	v_cmp_eq_u32_e32 vcc, 1, v7
	v_or_b32_e32 v43, 0x1600, v0
	s_nop 0
	v_cndmask_b32_e32 v3, v5, v3, vcc
	v_lshlrev_b32_e32 v3, 1, v3
	ds_write_b16 v3, v1
	s_waitcnt lgkmcnt(0)
	s_barrier
	ds_read_u16 v65, v2
	ds_read_u16 v64, v2 offset:1024
	ds_read_u16 v62, v2 offset:2048
	;; [unrolled: 1-line block ×29, first 2 shown]
	s_and_b64 vcc, exec, s[20:21]
	v_or_b32_e32 v3, 0x3a00, v0
	s_cbranch_vccnz .LBB2828_141
; %bb.110:
	s_lshl_b64 s[0:1], s[22:23], 1
	v_mov_b32_e32 v7, 0
	s_add_u32 s0, s2, s0
	s_addc_u32 s1, s3, s1
	v_lshlrev_b64 v[8:9], 1, v[6:7]
	v_lshl_add_u64 v[8:9], s[0:1], 0, v[8:9]
	v_cmp_lt_u32_e32 vcc, v0, v4
	s_and_saveexec_b64 s[0:1], vcc
	s_cbranch_execnz .LBB2828_178
; %bb.111:
	s_or_b64 exec, exec, s[0:1]
	v_cmp_lt_u32_e32 vcc, v63, v4
	s_and_saveexec_b64 s[0:1], vcc
	s_cbranch_execnz .LBB2828_179
.LBB2828_112:
	s_or_b64 exec, exec, s[0:1]
	v_cmp_lt_u32_e32 vcc, v61, v4
	s_and_saveexec_b64 s[0:1], vcc
	s_cbranch_execnz .LBB2828_180
.LBB2828_113:
	s_or_b64 exec, exec, s[0:1]
	v_cmp_lt_u32_e32 vcc, v59, v4
	s_and_saveexec_b64 s[0:1], vcc
	s_cbranch_execnz .LBB2828_181
.LBB2828_114:
	s_or_b64 exec, exec, s[0:1]
	v_cmp_lt_u32_e32 vcc, v57, v4
	s_and_saveexec_b64 s[0:1], vcc
	s_cbranch_execnz .LBB2828_182
.LBB2828_115:
	s_or_b64 exec, exec, s[0:1]
	v_cmp_lt_u32_e32 vcc, v55, v4
	s_and_saveexec_b64 s[0:1], vcc
	s_cbranch_execnz .LBB2828_183
.LBB2828_116:
	s_or_b64 exec, exec, s[0:1]
	v_cmp_lt_u32_e32 vcc, v53, v4
	s_and_saveexec_b64 s[0:1], vcc
	s_cbranch_execnz .LBB2828_184
.LBB2828_117:
	s_or_b64 exec, exec, s[0:1]
	v_cmp_lt_u32_e32 vcc, v50, v4
	s_and_saveexec_b64 s[0:1], vcc
	s_cbranch_execnz .LBB2828_185
.LBB2828_118:
	s_or_b64 exec, exec, s[0:1]
	v_cmp_lt_u32_e32 vcc, v49, v4
	s_and_saveexec_b64 s[0:1], vcc
	s_cbranch_execnz .LBB2828_186
.LBB2828_119:
	s_or_b64 exec, exec, s[0:1]
	v_cmp_lt_u32_e32 vcc, v47, v4
	s_and_saveexec_b64 s[0:1], vcc
	s_cbranch_execnz .LBB2828_187
.LBB2828_120:
	s_or_b64 exec, exec, s[0:1]
	v_cmp_lt_u32_e32 vcc, v45, v4
	s_and_saveexec_b64 s[0:1], vcc
	s_cbranch_execnz .LBB2828_188
.LBB2828_121:
	s_or_b64 exec, exec, s[0:1]
	v_cmp_lt_u32_e32 vcc, v43, v4
	s_and_saveexec_b64 s[0:1], vcc
	s_cbranch_execnz .LBB2828_189
.LBB2828_122:
	s_or_b64 exec, exec, s[0:1]
	v_cmp_lt_u32_e32 vcc, v41, v4
	s_and_saveexec_b64 s[0:1], vcc
	s_cbranch_execnz .LBB2828_190
.LBB2828_123:
	s_or_b64 exec, exec, s[0:1]
	v_cmp_lt_u32_e32 vcc, v39, v4
	s_and_saveexec_b64 s[0:1], vcc
	s_cbranch_execnz .LBB2828_191
.LBB2828_124:
	s_or_b64 exec, exec, s[0:1]
	v_cmp_lt_u32_e32 vcc, v37, v4
	s_and_saveexec_b64 s[0:1], vcc
	s_cbranch_execnz .LBB2828_192
.LBB2828_125:
	s_or_b64 exec, exec, s[0:1]
	v_cmp_lt_u32_e32 vcc, v34, v4
	s_and_saveexec_b64 s[0:1], vcc
	s_cbranch_execnz .LBB2828_193
.LBB2828_126:
	s_or_b64 exec, exec, s[0:1]
	v_cmp_lt_u32_e32 vcc, v33, v4
	s_and_saveexec_b64 s[0:1], vcc
	s_cbranch_execnz .LBB2828_194
.LBB2828_127:
	s_or_b64 exec, exec, s[0:1]
	v_cmp_lt_u32_e32 vcc, v31, v4
	s_and_saveexec_b64 s[0:1], vcc
	s_cbranch_execnz .LBB2828_195
.LBB2828_128:
	s_or_b64 exec, exec, s[0:1]
	v_cmp_lt_u32_e32 vcc, v29, v4
	s_and_saveexec_b64 s[0:1], vcc
	s_cbranch_execnz .LBB2828_196
.LBB2828_129:
	s_or_b64 exec, exec, s[0:1]
	v_cmp_lt_u32_e32 vcc, v27, v4
	s_and_saveexec_b64 s[0:1], vcc
	s_cbranch_execnz .LBB2828_197
.LBB2828_130:
	s_or_b64 exec, exec, s[0:1]
	v_cmp_lt_u32_e32 vcc, v25, v4
	s_and_saveexec_b64 s[0:1], vcc
	s_cbranch_execnz .LBB2828_198
.LBB2828_131:
	s_or_b64 exec, exec, s[0:1]
	v_cmp_lt_u32_e32 vcc, v23, v4
	s_and_saveexec_b64 s[0:1], vcc
	s_cbranch_execnz .LBB2828_199
.LBB2828_132:
	s_or_b64 exec, exec, s[0:1]
	v_cmp_lt_u32_e32 vcc, v21, v4
	s_and_saveexec_b64 s[0:1], vcc
	s_cbranch_execnz .LBB2828_200
.LBB2828_133:
	s_or_b64 exec, exec, s[0:1]
	v_cmp_lt_u32_e32 vcc, v19, v4
	s_and_saveexec_b64 s[0:1], vcc
	s_cbranch_execnz .LBB2828_201
.LBB2828_134:
	s_or_b64 exec, exec, s[0:1]
	v_cmp_lt_u32_e32 vcc, v18, v4
	s_and_saveexec_b64 s[0:1], vcc
	s_cbranch_execnz .LBB2828_202
.LBB2828_135:
	s_or_b64 exec, exec, s[0:1]
	v_cmp_lt_u32_e32 vcc, v16, v4
	s_and_saveexec_b64 s[0:1], vcc
	s_cbranch_execnz .LBB2828_203
.LBB2828_136:
	s_or_b64 exec, exec, s[0:1]
	v_cmp_lt_u32_e32 vcc, v14, v4
	s_and_saveexec_b64 s[0:1], vcc
	s_cbranch_execnz .LBB2828_204
.LBB2828_137:
	s_or_b64 exec, exec, s[0:1]
	v_cmp_lt_u32_e32 vcc, v12, v4
	s_and_saveexec_b64 s[0:1], vcc
	s_cbranch_execnz .LBB2828_205
.LBB2828_138:
	s_or_b64 exec, exec, s[0:1]
	v_cmp_lt_u32_e32 vcc, v10, v4
	s_and_saveexec_b64 s[0:1], vcc
	s_cbranch_execz .LBB2828_140
.LBB2828_139:
	v_lshlrev_b32_e32 v7, 1, v10
	v_readfirstlane_b32 s4, v8
	v_readfirstlane_b32 s5, v9
	s_waitcnt lgkmcnt(1)
	s_nop 3
	global_store_short v7, v5, s[4:5]
.LBB2828_140:
	s_or_b64 exec, exec, s[0:1]
	v_cmp_lt_u32_e64 s[0:1], v3, v4
	s_branch .LBB2828_173
.LBB2828_141:
	s_mov_b64 s[0:1], 0
                                        ; implicit-def: $vgpr8_vgpr9
	s_cbranch_execz .LBB2828_173
; %bb.142:
	s_lshl_b64 s[0:1], s[22:23], 1
	v_mov_b32_e32 v7, 0
	s_add_u32 s0, s2, s0
	v_min_u32_e32 v66, s33, v4
	s_addc_u32 s1, s3, s1
	v_lshlrev_b64 v[8:9], 1, v[6:7]
	v_lshl_add_u64 v[8:9], s[0:1], 0, v[8:9]
	v_cmp_gt_u32_e32 vcc, v66, v0
	s_and_saveexec_b64 s[0:1], vcc
	s_cbranch_execnz .LBB2828_206
; %bb.143:
	s_or_b64 exec, exec, s[0:1]
	v_cmp_lt_u32_e32 vcc, v63, v66
	s_and_saveexec_b64 s[0:1], vcc
	s_cbranch_execnz .LBB2828_207
.LBB2828_144:
	s_or_b64 exec, exec, s[0:1]
	v_cmp_lt_u32_e32 vcc, v61, v66
	s_and_saveexec_b64 s[0:1], vcc
	s_cbranch_execnz .LBB2828_208
.LBB2828_145:
	s_or_b64 exec, exec, s[0:1]
	v_cmp_lt_u32_e32 vcc, v59, v66
	s_and_saveexec_b64 s[0:1], vcc
	s_cbranch_execnz .LBB2828_209
.LBB2828_146:
	s_or_b64 exec, exec, s[0:1]
	v_cmp_lt_u32_e32 vcc, v57, v66
	s_and_saveexec_b64 s[0:1], vcc
	s_cbranch_execnz .LBB2828_210
.LBB2828_147:
	s_or_b64 exec, exec, s[0:1]
	v_cmp_lt_u32_e32 vcc, v55, v66
	s_and_saveexec_b64 s[0:1], vcc
	s_cbranch_execnz .LBB2828_211
.LBB2828_148:
	s_or_b64 exec, exec, s[0:1]
	v_cmp_lt_u32_e32 vcc, v53, v66
	s_and_saveexec_b64 s[0:1], vcc
	s_cbranch_execnz .LBB2828_212
.LBB2828_149:
	s_or_b64 exec, exec, s[0:1]
	v_cmp_lt_u32_e32 vcc, v50, v66
	s_and_saveexec_b64 s[0:1], vcc
	s_cbranch_execnz .LBB2828_213
.LBB2828_150:
	s_or_b64 exec, exec, s[0:1]
	v_cmp_lt_u32_e32 vcc, v49, v66
	s_and_saveexec_b64 s[0:1], vcc
	s_cbranch_execnz .LBB2828_214
.LBB2828_151:
	s_or_b64 exec, exec, s[0:1]
	v_cmp_lt_u32_e32 vcc, v47, v66
	s_and_saveexec_b64 s[0:1], vcc
	s_cbranch_execnz .LBB2828_215
.LBB2828_152:
	s_or_b64 exec, exec, s[0:1]
	v_cmp_lt_u32_e32 vcc, v45, v66
	s_and_saveexec_b64 s[0:1], vcc
	s_cbranch_execnz .LBB2828_216
.LBB2828_153:
	s_or_b64 exec, exec, s[0:1]
	v_cmp_lt_u32_e32 vcc, v43, v66
	s_and_saveexec_b64 s[0:1], vcc
	s_cbranch_execnz .LBB2828_217
.LBB2828_154:
	s_or_b64 exec, exec, s[0:1]
	v_cmp_lt_u32_e32 vcc, v41, v66
	s_and_saveexec_b64 s[0:1], vcc
	s_cbranch_execnz .LBB2828_218
.LBB2828_155:
	s_or_b64 exec, exec, s[0:1]
	v_cmp_lt_u32_e32 vcc, v39, v66
	s_and_saveexec_b64 s[0:1], vcc
	s_cbranch_execnz .LBB2828_219
.LBB2828_156:
	s_or_b64 exec, exec, s[0:1]
	v_cmp_lt_u32_e32 vcc, v37, v66
	s_and_saveexec_b64 s[0:1], vcc
	s_cbranch_execnz .LBB2828_220
.LBB2828_157:
	s_or_b64 exec, exec, s[0:1]
	v_cmp_lt_u32_e32 vcc, v34, v66
	s_and_saveexec_b64 s[0:1], vcc
	s_cbranch_execnz .LBB2828_221
.LBB2828_158:
	s_or_b64 exec, exec, s[0:1]
	v_cmp_lt_u32_e32 vcc, v33, v66
	s_and_saveexec_b64 s[0:1], vcc
	s_cbranch_execnz .LBB2828_222
.LBB2828_159:
	s_or_b64 exec, exec, s[0:1]
	v_cmp_lt_u32_e32 vcc, v31, v66
	s_and_saveexec_b64 s[0:1], vcc
	s_cbranch_execnz .LBB2828_223
.LBB2828_160:
	s_or_b64 exec, exec, s[0:1]
	v_cmp_lt_u32_e32 vcc, v29, v66
	s_and_saveexec_b64 s[0:1], vcc
	s_cbranch_execnz .LBB2828_224
.LBB2828_161:
	s_or_b64 exec, exec, s[0:1]
	v_cmp_lt_u32_e32 vcc, v27, v66
	s_and_saveexec_b64 s[0:1], vcc
	s_cbranch_execnz .LBB2828_225
.LBB2828_162:
	s_or_b64 exec, exec, s[0:1]
	v_cmp_lt_u32_e32 vcc, v25, v66
	s_and_saveexec_b64 s[0:1], vcc
	s_cbranch_execnz .LBB2828_226
.LBB2828_163:
	s_or_b64 exec, exec, s[0:1]
	v_cmp_lt_u32_e32 vcc, v23, v66
	s_and_saveexec_b64 s[0:1], vcc
	s_cbranch_execnz .LBB2828_227
.LBB2828_164:
	s_or_b64 exec, exec, s[0:1]
	v_cmp_lt_u32_e32 vcc, v21, v66
	s_and_saveexec_b64 s[0:1], vcc
	s_cbranch_execnz .LBB2828_228
.LBB2828_165:
	s_or_b64 exec, exec, s[0:1]
	v_cmp_lt_u32_e32 vcc, v19, v66
	s_and_saveexec_b64 s[0:1], vcc
	s_cbranch_execnz .LBB2828_229
.LBB2828_166:
	s_or_b64 exec, exec, s[0:1]
	v_cmp_lt_u32_e32 vcc, v18, v66
	s_and_saveexec_b64 s[0:1], vcc
	s_cbranch_execnz .LBB2828_230
.LBB2828_167:
	s_or_b64 exec, exec, s[0:1]
	v_cmp_lt_u32_e32 vcc, v16, v66
	s_and_saveexec_b64 s[0:1], vcc
	s_cbranch_execnz .LBB2828_231
.LBB2828_168:
	s_or_b64 exec, exec, s[0:1]
	v_cmp_lt_u32_e32 vcc, v14, v66
	s_and_saveexec_b64 s[0:1], vcc
	s_cbranch_execnz .LBB2828_232
.LBB2828_169:
	s_or_b64 exec, exec, s[0:1]
	v_cmp_lt_u32_e32 vcc, v12, v66
	s_and_saveexec_b64 s[0:1], vcc
	s_cbranch_execnz .LBB2828_233
.LBB2828_170:
	s_or_b64 exec, exec, s[0:1]
	v_cmp_lt_u32_e32 vcc, v10, v66
	s_and_saveexec_b64 s[0:1], vcc
	s_cbranch_execz .LBB2828_172
.LBB2828_171:
	v_lshlrev_b32_e32 v2, 1, v10
	v_readfirstlane_b32 s2, v8
	v_readfirstlane_b32 s3, v9
	s_waitcnt lgkmcnt(1)
	s_nop 3
	global_store_short v2, v5, s[2:3]
.LBB2828_172:
	s_or_b64 exec, exec, s[0:1]
	v_cmp_lt_u32_e64 s[0:1], v3, v66
.LBB2828_173:
	s_and_saveexec_b64 s[2:3], s[0:1]
	s_cbranch_execz .LBB2828_175
; %bb.174:
	v_lshlrev_b32_e32 v2, 1, v3
	v_readfirstlane_b32 s0, v8
	v_readfirstlane_b32 s1, v9
	s_waitcnt lgkmcnt(0)
	s_nop 3
	global_store_short v2, v1, s[0:1]
.LBB2828_175:
	s_or_b64 exec, exec, s[2:3]
	v_cmp_eq_u32_e32 vcc, 0, v0
	s_and_b64 s[0:1], vcc, s[26:27]
	s_and_saveexec_b64 s[2:3], s[0:1]
	s_cbranch_execz .LBB2828_177
; %bb.176:
	s_waitcnt lgkmcnt(1)
	v_mov_b32_e32 v5, 0
	s_waitcnt lgkmcnt(0)
	v_lshl_add_u64 v[0:1], s[22:23], 0, v[4:5]
	v_mov_b32_e32 v7, v5
	v_lshl_add_u64 v[0:1], v[0:1], 0, v[6:7]
	global_store_dwordx2 v5, v[0:1], s[24:25]
.LBB2828_177:
	s_endpgm
.LBB2828_178:
	v_readfirstlane_b32 s4, v8
	v_readfirstlane_b32 s5, v9
	s_waitcnt lgkmcnt(14)
	s_nop 3
	global_store_short v2, v65, s[4:5]
	s_or_b64 exec, exec, s[0:1]
	v_cmp_lt_u32_e32 vcc, v63, v4
	s_and_saveexec_b64 s[0:1], vcc
	s_cbranch_execz .LBB2828_112
.LBB2828_179:
	v_readfirstlane_b32 s4, v8
	v_readfirstlane_b32 s5, v9
	s_waitcnt lgkmcnt(14)
	s_nop 3
	global_store_short v2, v64, s[4:5] offset:1024
	s_or_b64 exec, exec, s[0:1]
	v_cmp_lt_u32_e32 vcc, v61, v4
	s_and_saveexec_b64 s[0:1], vcc
	s_cbranch_execz .LBB2828_113
.LBB2828_180:
	v_readfirstlane_b32 s4, v8
	v_readfirstlane_b32 s5, v9
	s_waitcnt lgkmcnt(14)
	s_nop 3
	global_store_short v2, v62, s[4:5] offset:2048
	s_or_b64 exec, exec, s[0:1]
	v_cmp_lt_u32_e32 vcc, v59, v4
	s_and_saveexec_b64 s[0:1], vcc
	s_cbranch_execz .LBB2828_114
.LBB2828_181:
	v_readfirstlane_b32 s4, v8
	v_readfirstlane_b32 s5, v9
	s_waitcnt lgkmcnt(14)
	s_nop 3
	global_store_short v2, v60, s[4:5] offset:3072
	s_or_b64 exec, exec, s[0:1]
	v_cmp_lt_u32_e32 vcc, v57, v4
	s_and_saveexec_b64 s[0:1], vcc
	s_cbranch_execz .LBB2828_115
.LBB2828_182:
	v_lshlrev_b32_e32 v7, 1, v57
	v_readfirstlane_b32 s4, v8
	v_readfirstlane_b32 s5, v9
	s_waitcnt lgkmcnt(14)
	s_nop 3
	global_store_short v7, v58, s[4:5]
	s_or_b64 exec, exec, s[0:1]
	v_cmp_lt_u32_e32 vcc, v55, v4
	s_and_saveexec_b64 s[0:1], vcc
	s_cbranch_execz .LBB2828_116
.LBB2828_183:
	v_lshlrev_b32_e32 v7, 1, v55
	v_readfirstlane_b32 s4, v8
	v_readfirstlane_b32 s5, v9
	s_waitcnt lgkmcnt(14)
	s_nop 3
	global_store_short v7, v56, s[4:5]
	s_or_b64 exec, exec, s[0:1]
	v_cmp_lt_u32_e32 vcc, v53, v4
	s_and_saveexec_b64 s[0:1], vcc
	s_cbranch_execz .LBB2828_117
.LBB2828_184:
	v_lshlrev_b32_e32 v7, 1, v53
	v_readfirstlane_b32 s4, v8
	v_readfirstlane_b32 s5, v9
	s_waitcnt lgkmcnt(14)
	s_nop 3
	global_store_short v7, v54, s[4:5]
	s_or_b64 exec, exec, s[0:1]
	v_cmp_lt_u32_e32 vcc, v50, v4
	s_and_saveexec_b64 s[0:1], vcc
	s_cbranch_execz .LBB2828_118
.LBB2828_185:
	v_lshlrev_b32_e32 v7, 1, v50
	v_readfirstlane_b32 s4, v8
	v_readfirstlane_b32 s5, v9
	s_waitcnt lgkmcnt(14)
	s_nop 3
	global_store_short v7, v51, s[4:5]
	s_or_b64 exec, exec, s[0:1]
	v_cmp_lt_u32_e32 vcc, v49, v4
	s_and_saveexec_b64 s[0:1], vcc
	s_cbranch_execz .LBB2828_119
.LBB2828_186:
	v_lshlrev_b32_e32 v7, 1, v49
	v_readfirstlane_b32 s4, v8
	v_readfirstlane_b32 s5, v9
	s_waitcnt lgkmcnt(14)
	s_nop 3
	global_store_short v7, v52, s[4:5]
	s_or_b64 exec, exec, s[0:1]
	v_cmp_lt_u32_e32 vcc, v47, v4
	s_and_saveexec_b64 s[0:1], vcc
	s_cbranch_execz .LBB2828_120
.LBB2828_187:
	v_lshlrev_b32_e32 v7, 1, v47
	v_readfirstlane_b32 s4, v8
	v_readfirstlane_b32 s5, v9
	s_waitcnt lgkmcnt(14)
	s_nop 3
	global_store_short v7, v48, s[4:5]
	s_or_b64 exec, exec, s[0:1]
	v_cmp_lt_u32_e32 vcc, v45, v4
	s_and_saveexec_b64 s[0:1], vcc
	s_cbranch_execz .LBB2828_121
.LBB2828_188:
	v_lshlrev_b32_e32 v7, 1, v45
	v_readfirstlane_b32 s4, v8
	v_readfirstlane_b32 s5, v9
	s_waitcnt lgkmcnt(14)
	s_nop 3
	global_store_short v7, v46, s[4:5]
	s_or_b64 exec, exec, s[0:1]
	v_cmp_lt_u32_e32 vcc, v43, v4
	s_and_saveexec_b64 s[0:1], vcc
	s_cbranch_execz .LBB2828_122
.LBB2828_189:
	v_lshlrev_b32_e32 v7, 1, v43
	v_readfirstlane_b32 s4, v8
	v_readfirstlane_b32 s5, v9
	s_waitcnt lgkmcnt(14)
	s_nop 3
	global_store_short v7, v44, s[4:5]
	s_or_b64 exec, exec, s[0:1]
	v_cmp_lt_u32_e32 vcc, v41, v4
	s_and_saveexec_b64 s[0:1], vcc
	s_cbranch_execz .LBB2828_123
.LBB2828_190:
	v_lshlrev_b32_e32 v7, 1, v41
	v_readfirstlane_b32 s4, v8
	v_readfirstlane_b32 s5, v9
	s_waitcnt lgkmcnt(14)
	s_nop 3
	global_store_short v7, v42, s[4:5]
	s_or_b64 exec, exec, s[0:1]
	v_cmp_lt_u32_e32 vcc, v39, v4
	s_and_saveexec_b64 s[0:1], vcc
	s_cbranch_execz .LBB2828_124
.LBB2828_191:
	v_lshlrev_b32_e32 v7, 1, v39
	v_readfirstlane_b32 s4, v8
	v_readfirstlane_b32 s5, v9
	s_waitcnt lgkmcnt(14)
	s_nop 3
	global_store_short v7, v40, s[4:5]
	s_or_b64 exec, exec, s[0:1]
	v_cmp_lt_u32_e32 vcc, v37, v4
	s_and_saveexec_b64 s[0:1], vcc
	s_cbranch_execz .LBB2828_125
.LBB2828_192:
	v_lshlrev_b32_e32 v7, 1, v37
	v_readfirstlane_b32 s4, v8
	v_readfirstlane_b32 s5, v9
	s_waitcnt lgkmcnt(14)
	s_nop 3
	global_store_short v7, v38, s[4:5]
	s_or_b64 exec, exec, s[0:1]
	v_cmp_lt_u32_e32 vcc, v34, v4
	s_and_saveexec_b64 s[0:1], vcc
	s_cbranch_execz .LBB2828_126
.LBB2828_193:
	v_lshlrev_b32_e32 v7, 1, v34
	v_readfirstlane_b32 s4, v8
	v_readfirstlane_b32 s5, v9
	s_waitcnt lgkmcnt(14)
	s_nop 3
	global_store_short v7, v35, s[4:5]
	s_or_b64 exec, exec, s[0:1]
	v_cmp_lt_u32_e32 vcc, v33, v4
	s_and_saveexec_b64 s[0:1], vcc
	s_cbranch_execz .LBB2828_127
.LBB2828_194:
	v_lshlrev_b32_e32 v7, 1, v33
	v_readfirstlane_b32 s4, v8
	v_readfirstlane_b32 s5, v9
	s_waitcnt lgkmcnt(13)
	s_nop 3
	global_store_short v7, v36, s[4:5]
	s_or_b64 exec, exec, s[0:1]
	v_cmp_lt_u32_e32 vcc, v31, v4
	s_and_saveexec_b64 s[0:1], vcc
	s_cbranch_execz .LBB2828_128
.LBB2828_195:
	v_lshlrev_b32_e32 v7, 1, v31
	v_readfirstlane_b32 s4, v8
	v_readfirstlane_b32 s5, v9
	s_waitcnt lgkmcnt(12)
	s_nop 3
	global_store_short v7, v32, s[4:5]
	s_or_b64 exec, exec, s[0:1]
	v_cmp_lt_u32_e32 vcc, v29, v4
	s_and_saveexec_b64 s[0:1], vcc
	s_cbranch_execz .LBB2828_129
.LBB2828_196:
	v_lshlrev_b32_e32 v7, 1, v29
	v_readfirstlane_b32 s4, v8
	v_readfirstlane_b32 s5, v9
	s_waitcnt lgkmcnt(11)
	s_nop 3
	global_store_short v7, v30, s[4:5]
	s_or_b64 exec, exec, s[0:1]
	v_cmp_lt_u32_e32 vcc, v27, v4
	s_and_saveexec_b64 s[0:1], vcc
	s_cbranch_execz .LBB2828_130
.LBB2828_197:
	v_lshlrev_b32_e32 v7, 1, v27
	v_readfirstlane_b32 s4, v8
	v_readfirstlane_b32 s5, v9
	s_waitcnt lgkmcnt(10)
	s_nop 3
	global_store_short v7, v28, s[4:5]
	s_or_b64 exec, exec, s[0:1]
	v_cmp_lt_u32_e32 vcc, v25, v4
	s_and_saveexec_b64 s[0:1], vcc
	s_cbranch_execz .LBB2828_131
.LBB2828_198:
	v_lshlrev_b32_e32 v7, 1, v25
	v_readfirstlane_b32 s4, v8
	v_readfirstlane_b32 s5, v9
	s_waitcnt lgkmcnt(9)
	s_nop 3
	global_store_short v7, v26, s[4:5]
	s_or_b64 exec, exec, s[0:1]
	v_cmp_lt_u32_e32 vcc, v23, v4
	s_and_saveexec_b64 s[0:1], vcc
	s_cbranch_execz .LBB2828_132
.LBB2828_199:
	v_lshlrev_b32_e32 v7, 1, v23
	v_readfirstlane_b32 s4, v8
	v_readfirstlane_b32 s5, v9
	s_waitcnt lgkmcnt(8)
	s_nop 3
	global_store_short v7, v24, s[4:5]
	s_or_b64 exec, exec, s[0:1]
	v_cmp_lt_u32_e32 vcc, v21, v4
	s_and_saveexec_b64 s[0:1], vcc
	s_cbranch_execz .LBB2828_133
.LBB2828_200:
	v_lshlrev_b32_e32 v7, 1, v21
	v_readfirstlane_b32 s4, v8
	v_readfirstlane_b32 s5, v9
	s_waitcnt lgkmcnt(7)
	s_nop 3
	global_store_short v7, v22, s[4:5]
	s_or_b64 exec, exec, s[0:1]
	v_cmp_lt_u32_e32 vcc, v19, v4
	s_and_saveexec_b64 s[0:1], vcc
	s_cbranch_execz .LBB2828_134
.LBB2828_201:
	v_lshlrev_b32_e32 v7, 1, v19
	v_readfirstlane_b32 s4, v8
	v_readfirstlane_b32 s5, v9
	s_waitcnt lgkmcnt(6)
	s_nop 3
	global_store_short v7, v20, s[4:5]
	s_or_b64 exec, exec, s[0:1]
	v_cmp_lt_u32_e32 vcc, v18, v4
	s_and_saveexec_b64 s[0:1], vcc
	s_cbranch_execz .LBB2828_135
.LBB2828_202:
	v_lshlrev_b32_e32 v7, 1, v18
	v_readfirstlane_b32 s4, v8
	v_readfirstlane_b32 s5, v9
	s_waitcnt lgkmcnt(5)
	s_nop 3
	global_store_short v7, v17, s[4:5]
	s_or_b64 exec, exec, s[0:1]
	v_cmp_lt_u32_e32 vcc, v16, v4
	s_and_saveexec_b64 s[0:1], vcc
	s_cbranch_execz .LBB2828_136
.LBB2828_203:
	v_lshlrev_b32_e32 v7, 1, v16
	v_readfirstlane_b32 s4, v8
	v_readfirstlane_b32 s5, v9
	s_waitcnt lgkmcnt(4)
	s_nop 3
	global_store_short v7, v15, s[4:5]
	s_or_b64 exec, exec, s[0:1]
	v_cmp_lt_u32_e32 vcc, v14, v4
	s_and_saveexec_b64 s[0:1], vcc
	s_cbranch_execz .LBB2828_137
.LBB2828_204:
	v_lshlrev_b32_e32 v7, 1, v14
	v_readfirstlane_b32 s4, v8
	v_readfirstlane_b32 s5, v9
	s_waitcnt lgkmcnt(3)
	s_nop 3
	global_store_short v7, v13, s[4:5]
	s_or_b64 exec, exec, s[0:1]
	v_cmp_lt_u32_e32 vcc, v12, v4
	s_and_saveexec_b64 s[0:1], vcc
	s_cbranch_execz .LBB2828_138
.LBB2828_205:
	v_lshlrev_b32_e32 v7, 1, v12
	v_readfirstlane_b32 s4, v8
	v_readfirstlane_b32 s5, v9
	s_waitcnt lgkmcnt(2)
	s_nop 3
	global_store_short v7, v11, s[4:5]
	s_or_b64 exec, exec, s[0:1]
	v_cmp_lt_u32_e32 vcc, v10, v4
	s_and_saveexec_b64 s[0:1], vcc
	s_cbranch_execnz .LBB2828_139
	s_branch .LBB2828_140
.LBB2828_206:
	v_readfirstlane_b32 s2, v8
	v_readfirstlane_b32 s3, v9
	s_waitcnt lgkmcnt(14)
	s_nop 3
	global_store_short v2, v65, s[2:3]
	s_or_b64 exec, exec, s[0:1]
	v_cmp_lt_u32_e32 vcc, v63, v66
	s_and_saveexec_b64 s[0:1], vcc
	s_cbranch_execz .LBB2828_144
.LBB2828_207:
	v_readfirstlane_b32 s2, v8
	v_readfirstlane_b32 s3, v9
	s_waitcnt lgkmcnt(14)
	s_nop 3
	global_store_short v2, v64, s[2:3] offset:1024
	s_or_b64 exec, exec, s[0:1]
	v_cmp_lt_u32_e32 vcc, v61, v66
	s_and_saveexec_b64 s[0:1], vcc
	s_cbranch_execz .LBB2828_145
.LBB2828_208:
	v_readfirstlane_b32 s2, v8
	v_readfirstlane_b32 s3, v9
	s_waitcnt lgkmcnt(14)
	s_nop 3
	global_store_short v2, v62, s[2:3] offset:2048
	s_or_b64 exec, exec, s[0:1]
	v_cmp_lt_u32_e32 vcc, v59, v66
	s_and_saveexec_b64 s[0:1], vcc
	s_cbranch_execz .LBB2828_146
.LBB2828_209:
	v_readfirstlane_b32 s2, v8
	v_readfirstlane_b32 s3, v9
	s_waitcnt lgkmcnt(14)
	s_nop 3
	global_store_short v2, v60, s[2:3] offset:3072
	s_or_b64 exec, exec, s[0:1]
	v_cmp_lt_u32_e32 vcc, v57, v66
	s_and_saveexec_b64 s[0:1], vcc
	s_cbranch_execz .LBB2828_147
.LBB2828_210:
	v_lshlrev_b32_e32 v2, 1, v57
	v_readfirstlane_b32 s2, v8
	v_readfirstlane_b32 s3, v9
	s_waitcnt lgkmcnt(14)
	s_nop 3
	global_store_short v2, v58, s[2:3]
	s_or_b64 exec, exec, s[0:1]
	v_cmp_lt_u32_e32 vcc, v55, v66
	s_and_saveexec_b64 s[0:1], vcc
	s_cbranch_execz .LBB2828_148
.LBB2828_211:
	v_lshlrev_b32_e32 v2, 1, v55
	v_readfirstlane_b32 s2, v8
	v_readfirstlane_b32 s3, v9
	s_waitcnt lgkmcnt(14)
	s_nop 3
	global_store_short v2, v56, s[2:3]
	s_or_b64 exec, exec, s[0:1]
	v_cmp_lt_u32_e32 vcc, v53, v66
	s_and_saveexec_b64 s[0:1], vcc
	s_cbranch_execz .LBB2828_149
.LBB2828_212:
	v_lshlrev_b32_e32 v2, 1, v53
	v_readfirstlane_b32 s2, v8
	v_readfirstlane_b32 s3, v9
	s_waitcnt lgkmcnt(14)
	s_nop 3
	global_store_short v2, v54, s[2:3]
	s_or_b64 exec, exec, s[0:1]
	v_cmp_lt_u32_e32 vcc, v50, v66
	s_and_saveexec_b64 s[0:1], vcc
	s_cbranch_execz .LBB2828_150
.LBB2828_213:
	v_lshlrev_b32_e32 v2, 1, v50
	v_readfirstlane_b32 s2, v8
	v_readfirstlane_b32 s3, v9
	s_waitcnt lgkmcnt(14)
	s_nop 3
	global_store_short v2, v51, s[2:3]
	s_or_b64 exec, exec, s[0:1]
	v_cmp_lt_u32_e32 vcc, v49, v66
	s_and_saveexec_b64 s[0:1], vcc
	s_cbranch_execz .LBB2828_151
.LBB2828_214:
	v_lshlrev_b32_e32 v2, 1, v49
	v_readfirstlane_b32 s2, v8
	v_readfirstlane_b32 s3, v9
	s_waitcnt lgkmcnt(14)
	s_nop 3
	global_store_short v2, v52, s[2:3]
	s_or_b64 exec, exec, s[0:1]
	v_cmp_lt_u32_e32 vcc, v47, v66
	s_and_saveexec_b64 s[0:1], vcc
	s_cbranch_execz .LBB2828_152
.LBB2828_215:
	v_lshlrev_b32_e32 v2, 1, v47
	v_readfirstlane_b32 s2, v8
	v_readfirstlane_b32 s3, v9
	s_waitcnt lgkmcnt(14)
	s_nop 3
	global_store_short v2, v48, s[2:3]
	s_or_b64 exec, exec, s[0:1]
	v_cmp_lt_u32_e32 vcc, v45, v66
	s_and_saveexec_b64 s[0:1], vcc
	s_cbranch_execz .LBB2828_153
.LBB2828_216:
	v_lshlrev_b32_e32 v2, 1, v45
	v_readfirstlane_b32 s2, v8
	v_readfirstlane_b32 s3, v9
	s_waitcnt lgkmcnt(14)
	s_nop 3
	global_store_short v2, v46, s[2:3]
	s_or_b64 exec, exec, s[0:1]
	v_cmp_lt_u32_e32 vcc, v43, v66
	s_and_saveexec_b64 s[0:1], vcc
	s_cbranch_execz .LBB2828_154
.LBB2828_217:
	v_lshlrev_b32_e32 v2, 1, v43
	v_readfirstlane_b32 s2, v8
	v_readfirstlane_b32 s3, v9
	s_waitcnt lgkmcnt(14)
	s_nop 3
	global_store_short v2, v44, s[2:3]
	s_or_b64 exec, exec, s[0:1]
	v_cmp_lt_u32_e32 vcc, v41, v66
	s_and_saveexec_b64 s[0:1], vcc
	s_cbranch_execz .LBB2828_155
.LBB2828_218:
	v_lshlrev_b32_e32 v2, 1, v41
	v_readfirstlane_b32 s2, v8
	v_readfirstlane_b32 s3, v9
	s_waitcnt lgkmcnt(14)
	s_nop 3
	global_store_short v2, v42, s[2:3]
	s_or_b64 exec, exec, s[0:1]
	v_cmp_lt_u32_e32 vcc, v39, v66
	s_and_saveexec_b64 s[0:1], vcc
	s_cbranch_execz .LBB2828_156
.LBB2828_219:
	v_lshlrev_b32_e32 v2, 1, v39
	v_readfirstlane_b32 s2, v8
	v_readfirstlane_b32 s3, v9
	s_waitcnt lgkmcnt(14)
	s_nop 3
	global_store_short v2, v40, s[2:3]
	s_or_b64 exec, exec, s[0:1]
	v_cmp_lt_u32_e32 vcc, v37, v66
	s_and_saveexec_b64 s[0:1], vcc
	s_cbranch_execz .LBB2828_157
.LBB2828_220:
	v_lshlrev_b32_e32 v2, 1, v37
	v_readfirstlane_b32 s2, v8
	v_readfirstlane_b32 s3, v9
	s_waitcnt lgkmcnt(14)
	s_nop 3
	global_store_short v2, v38, s[2:3]
	s_or_b64 exec, exec, s[0:1]
	v_cmp_lt_u32_e32 vcc, v34, v66
	s_and_saveexec_b64 s[0:1], vcc
	s_cbranch_execz .LBB2828_158
.LBB2828_221:
	v_lshlrev_b32_e32 v2, 1, v34
	v_readfirstlane_b32 s2, v8
	v_readfirstlane_b32 s3, v9
	s_waitcnt lgkmcnt(14)
	s_nop 3
	global_store_short v2, v35, s[2:3]
	s_or_b64 exec, exec, s[0:1]
	v_cmp_lt_u32_e32 vcc, v33, v66
	s_and_saveexec_b64 s[0:1], vcc
	s_cbranch_execz .LBB2828_159
.LBB2828_222:
	v_lshlrev_b32_e32 v2, 1, v33
	v_readfirstlane_b32 s2, v8
	v_readfirstlane_b32 s3, v9
	s_waitcnt lgkmcnt(13)
	s_nop 3
	global_store_short v2, v36, s[2:3]
	s_or_b64 exec, exec, s[0:1]
	v_cmp_lt_u32_e32 vcc, v31, v66
	s_and_saveexec_b64 s[0:1], vcc
	s_cbranch_execz .LBB2828_160
.LBB2828_223:
	v_lshlrev_b32_e32 v2, 1, v31
	v_readfirstlane_b32 s2, v8
	v_readfirstlane_b32 s3, v9
	s_waitcnt lgkmcnt(12)
	s_nop 3
	global_store_short v2, v32, s[2:3]
	s_or_b64 exec, exec, s[0:1]
	v_cmp_lt_u32_e32 vcc, v29, v66
	s_and_saveexec_b64 s[0:1], vcc
	s_cbranch_execz .LBB2828_161
.LBB2828_224:
	v_lshlrev_b32_e32 v2, 1, v29
	v_readfirstlane_b32 s2, v8
	v_readfirstlane_b32 s3, v9
	s_waitcnt lgkmcnt(11)
	s_nop 3
	global_store_short v2, v30, s[2:3]
	s_or_b64 exec, exec, s[0:1]
	v_cmp_lt_u32_e32 vcc, v27, v66
	s_and_saveexec_b64 s[0:1], vcc
	s_cbranch_execz .LBB2828_162
.LBB2828_225:
	v_lshlrev_b32_e32 v2, 1, v27
	v_readfirstlane_b32 s2, v8
	v_readfirstlane_b32 s3, v9
	s_waitcnt lgkmcnt(10)
	s_nop 3
	global_store_short v2, v28, s[2:3]
	s_or_b64 exec, exec, s[0:1]
	v_cmp_lt_u32_e32 vcc, v25, v66
	s_and_saveexec_b64 s[0:1], vcc
	s_cbranch_execz .LBB2828_163
.LBB2828_226:
	v_lshlrev_b32_e32 v2, 1, v25
	v_readfirstlane_b32 s2, v8
	v_readfirstlane_b32 s3, v9
	s_waitcnt lgkmcnt(9)
	s_nop 3
	global_store_short v2, v26, s[2:3]
	s_or_b64 exec, exec, s[0:1]
	v_cmp_lt_u32_e32 vcc, v23, v66
	s_and_saveexec_b64 s[0:1], vcc
	s_cbranch_execz .LBB2828_164
.LBB2828_227:
	v_lshlrev_b32_e32 v2, 1, v23
	v_readfirstlane_b32 s2, v8
	v_readfirstlane_b32 s3, v9
	s_waitcnt lgkmcnt(8)
	s_nop 3
	global_store_short v2, v24, s[2:3]
	s_or_b64 exec, exec, s[0:1]
	v_cmp_lt_u32_e32 vcc, v21, v66
	s_and_saveexec_b64 s[0:1], vcc
	s_cbranch_execz .LBB2828_165
.LBB2828_228:
	v_lshlrev_b32_e32 v2, 1, v21
	v_readfirstlane_b32 s2, v8
	v_readfirstlane_b32 s3, v9
	s_waitcnt lgkmcnt(7)
	s_nop 3
	global_store_short v2, v22, s[2:3]
	s_or_b64 exec, exec, s[0:1]
	v_cmp_lt_u32_e32 vcc, v19, v66
	s_and_saveexec_b64 s[0:1], vcc
	s_cbranch_execz .LBB2828_166
.LBB2828_229:
	v_lshlrev_b32_e32 v2, 1, v19
	v_readfirstlane_b32 s2, v8
	v_readfirstlane_b32 s3, v9
	s_waitcnt lgkmcnt(6)
	s_nop 3
	global_store_short v2, v20, s[2:3]
	s_or_b64 exec, exec, s[0:1]
	v_cmp_lt_u32_e32 vcc, v18, v66
	s_and_saveexec_b64 s[0:1], vcc
	s_cbranch_execz .LBB2828_167
.LBB2828_230:
	v_lshlrev_b32_e32 v2, 1, v18
	v_readfirstlane_b32 s2, v8
	v_readfirstlane_b32 s3, v9
	s_waitcnt lgkmcnt(5)
	s_nop 3
	global_store_short v2, v17, s[2:3]
	s_or_b64 exec, exec, s[0:1]
	v_cmp_lt_u32_e32 vcc, v16, v66
	s_and_saveexec_b64 s[0:1], vcc
	s_cbranch_execz .LBB2828_168
.LBB2828_231:
	v_lshlrev_b32_e32 v2, 1, v16
	v_readfirstlane_b32 s2, v8
	v_readfirstlane_b32 s3, v9
	s_waitcnt lgkmcnt(4)
	s_nop 3
	global_store_short v2, v15, s[2:3]
	s_or_b64 exec, exec, s[0:1]
	v_cmp_lt_u32_e32 vcc, v14, v66
	s_and_saveexec_b64 s[0:1], vcc
	s_cbranch_execz .LBB2828_169
.LBB2828_232:
	v_lshlrev_b32_e32 v2, 1, v14
	v_readfirstlane_b32 s2, v8
	v_readfirstlane_b32 s3, v9
	s_waitcnt lgkmcnt(3)
	s_nop 3
	global_store_short v2, v13, s[2:3]
	s_or_b64 exec, exec, s[0:1]
	v_cmp_lt_u32_e32 vcc, v12, v66
	s_and_saveexec_b64 s[0:1], vcc
	s_cbranch_execz .LBB2828_170
.LBB2828_233:
	v_lshlrev_b32_e32 v2, 1, v12
	v_readfirstlane_b32 s2, v8
	v_readfirstlane_b32 s3, v9
	s_waitcnt lgkmcnt(2)
	s_nop 3
	global_store_short v2, v11, s[2:3]
	s_or_b64 exec, exec, s[0:1]
	v_cmp_lt_u32_e32 vcc, v10, v66
	s_and_saveexec_b64 s[0:1], vcc
	s_cbranch_execnz .LBB2828_171
	s_branch .LBB2828_172
	.section	.rodata,"a",@progbits
	.p2align	6, 0x0
	.amdhsa_kernel _ZN7rocprim17ROCPRIM_400000_NS6detail17trampoline_kernelINS0_14default_configENS1_25partition_config_selectorILNS1_17partition_subalgoE0EsNS0_10empty_typeEbEEZZNS1_14partition_implILS5_0ELb0ES3_jN6thrust23THRUST_200600_302600_NS6detail15normal_iteratorINSA_10device_ptrIsEEEEPS6_SG_NS0_5tupleIJSF_NSA_16discard_iteratorINSA_11use_defaultEEEEEENSH_IJSG_SG_EEES6_PlJ7is_evenIsEEEE10hipError_tPvRmT3_T4_T5_T6_T7_T9_mT8_P12ihipStream_tbDpT10_ENKUlT_T0_E_clISt17integral_constantIbLb1EES18_IbLb0EEEEDaS14_S15_EUlS14_E_NS1_11comp_targetILNS1_3genE5ELNS1_11target_archE942ELNS1_3gpuE9ELNS1_3repE0EEENS1_30default_config_static_selectorELNS0_4arch9wavefront6targetE1EEEvT1_
		.amdhsa_group_segment_fixed_size 30728
		.amdhsa_private_segment_fixed_size 0
		.amdhsa_kernarg_size 128
		.amdhsa_user_sgpr_count 2
		.amdhsa_user_sgpr_dispatch_ptr 0
		.amdhsa_user_sgpr_queue_ptr 0
		.amdhsa_user_sgpr_kernarg_segment_ptr 1
		.amdhsa_user_sgpr_dispatch_id 0
		.amdhsa_user_sgpr_kernarg_preload_length 0
		.amdhsa_user_sgpr_kernarg_preload_offset 0
		.amdhsa_user_sgpr_private_segment_size 0
		.amdhsa_uses_dynamic_stack 0
		.amdhsa_enable_private_segment 0
		.amdhsa_system_sgpr_workgroup_id_x 1
		.amdhsa_system_sgpr_workgroup_id_y 0
		.amdhsa_system_sgpr_workgroup_id_z 0
		.amdhsa_system_sgpr_workgroup_info 0
		.amdhsa_system_vgpr_workitem_id 0
		.amdhsa_next_free_vgpr 120
		.amdhsa_next_free_sgpr 40
		.amdhsa_accum_offset 120
		.amdhsa_reserve_vcc 1
		.amdhsa_float_round_mode_32 0
		.amdhsa_float_round_mode_16_64 0
		.amdhsa_float_denorm_mode_32 3
		.amdhsa_float_denorm_mode_16_64 3
		.amdhsa_dx10_clamp 1
		.amdhsa_ieee_mode 1
		.amdhsa_fp16_overflow 0
		.amdhsa_tg_split 0
		.amdhsa_exception_fp_ieee_invalid_op 0
		.amdhsa_exception_fp_denorm_src 0
		.amdhsa_exception_fp_ieee_div_zero 0
		.amdhsa_exception_fp_ieee_overflow 0
		.amdhsa_exception_fp_ieee_underflow 0
		.amdhsa_exception_fp_ieee_inexact 0
		.amdhsa_exception_int_div_zero 0
	.end_amdhsa_kernel
	.section	.text._ZN7rocprim17ROCPRIM_400000_NS6detail17trampoline_kernelINS0_14default_configENS1_25partition_config_selectorILNS1_17partition_subalgoE0EsNS0_10empty_typeEbEEZZNS1_14partition_implILS5_0ELb0ES3_jN6thrust23THRUST_200600_302600_NS6detail15normal_iteratorINSA_10device_ptrIsEEEEPS6_SG_NS0_5tupleIJSF_NSA_16discard_iteratorINSA_11use_defaultEEEEEENSH_IJSG_SG_EEES6_PlJ7is_evenIsEEEE10hipError_tPvRmT3_T4_T5_T6_T7_T9_mT8_P12ihipStream_tbDpT10_ENKUlT_T0_E_clISt17integral_constantIbLb1EES18_IbLb0EEEEDaS14_S15_EUlS14_E_NS1_11comp_targetILNS1_3genE5ELNS1_11target_archE942ELNS1_3gpuE9ELNS1_3repE0EEENS1_30default_config_static_selectorELNS0_4arch9wavefront6targetE1EEEvT1_,"axG",@progbits,_ZN7rocprim17ROCPRIM_400000_NS6detail17trampoline_kernelINS0_14default_configENS1_25partition_config_selectorILNS1_17partition_subalgoE0EsNS0_10empty_typeEbEEZZNS1_14partition_implILS5_0ELb0ES3_jN6thrust23THRUST_200600_302600_NS6detail15normal_iteratorINSA_10device_ptrIsEEEEPS6_SG_NS0_5tupleIJSF_NSA_16discard_iteratorINSA_11use_defaultEEEEEENSH_IJSG_SG_EEES6_PlJ7is_evenIsEEEE10hipError_tPvRmT3_T4_T5_T6_T7_T9_mT8_P12ihipStream_tbDpT10_ENKUlT_T0_E_clISt17integral_constantIbLb1EES18_IbLb0EEEEDaS14_S15_EUlS14_E_NS1_11comp_targetILNS1_3genE5ELNS1_11target_archE942ELNS1_3gpuE9ELNS1_3repE0EEENS1_30default_config_static_selectorELNS0_4arch9wavefront6targetE1EEEvT1_,comdat
.Lfunc_end2828:
	.size	_ZN7rocprim17ROCPRIM_400000_NS6detail17trampoline_kernelINS0_14default_configENS1_25partition_config_selectorILNS1_17partition_subalgoE0EsNS0_10empty_typeEbEEZZNS1_14partition_implILS5_0ELb0ES3_jN6thrust23THRUST_200600_302600_NS6detail15normal_iteratorINSA_10device_ptrIsEEEEPS6_SG_NS0_5tupleIJSF_NSA_16discard_iteratorINSA_11use_defaultEEEEEENSH_IJSG_SG_EEES6_PlJ7is_evenIsEEEE10hipError_tPvRmT3_T4_T5_T6_T7_T9_mT8_P12ihipStream_tbDpT10_ENKUlT_T0_E_clISt17integral_constantIbLb1EES18_IbLb0EEEEDaS14_S15_EUlS14_E_NS1_11comp_targetILNS1_3genE5ELNS1_11target_archE942ELNS1_3gpuE9ELNS1_3repE0EEENS1_30default_config_static_selectorELNS0_4arch9wavefront6targetE1EEEvT1_, .Lfunc_end2828-_ZN7rocprim17ROCPRIM_400000_NS6detail17trampoline_kernelINS0_14default_configENS1_25partition_config_selectorILNS1_17partition_subalgoE0EsNS0_10empty_typeEbEEZZNS1_14partition_implILS5_0ELb0ES3_jN6thrust23THRUST_200600_302600_NS6detail15normal_iteratorINSA_10device_ptrIsEEEEPS6_SG_NS0_5tupleIJSF_NSA_16discard_iteratorINSA_11use_defaultEEEEEENSH_IJSG_SG_EEES6_PlJ7is_evenIsEEEE10hipError_tPvRmT3_T4_T5_T6_T7_T9_mT8_P12ihipStream_tbDpT10_ENKUlT_T0_E_clISt17integral_constantIbLb1EES18_IbLb0EEEEDaS14_S15_EUlS14_E_NS1_11comp_targetILNS1_3genE5ELNS1_11target_archE942ELNS1_3gpuE9ELNS1_3repE0EEENS1_30default_config_static_selectorELNS0_4arch9wavefront6targetE1EEEvT1_
                                        ; -- End function
	.section	.AMDGPU.csdata,"",@progbits
; Kernel info:
; codeLenInByte = 11276
; NumSgprs: 46
; NumVgprs: 120
; NumAgprs: 0
; TotalNumVgprs: 120
; ScratchSize: 0
; MemoryBound: 0
; FloatMode: 240
; IeeeMode: 1
; LDSByteSize: 30728 bytes/workgroup (compile time only)
; SGPRBlocks: 5
; VGPRBlocks: 14
; NumSGPRsForWavesPerEU: 46
; NumVGPRsForWavesPerEU: 120
; AccumOffset: 120
; Occupancy: 4
; WaveLimiterHint : 1
; COMPUTE_PGM_RSRC2:SCRATCH_EN: 0
; COMPUTE_PGM_RSRC2:USER_SGPR: 2
; COMPUTE_PGM_RSRC2:TRAP_HANDLER: 0
; COMPUTE_PGM_RSRC2:TGID_X_EN: 1
; COMPUTE_PGM_RSRC2:TGID_Y_EN: 0
; COMPUTE_PGM_RSRC2:TGID_Z_EN: 0
; COMPUTE_PGM_RSRC2:TIDIG_COMP_CNT: 0
; COMPUTE_PGM_RSRC3_GFX90A:ACCUM_OFFSET: 29
; COMPUTE_PGM_RSRC3_GFX90A:TG_SPLIT: 0
	.section	.text._ZN7rocprim17ROCPRIM_400000_NS6detail17trampoline_kernelINS0_14default_configENS1_25partition_config_selectorILNS1_17partition_subalgoE0EsNS0_10empty_typeEbEEZZNS1_14partition_implILS5_0ELb0ES3_jN6thrust23THRUST_200600_302600_NS6detail15normal_iteratorINSA_10device_ptrIsEEEEPS6_SG_NS0_5tupleIJSF_NSA_16discard_iteratorINSA_11use_defaultEEEEEENSH_IJSG_SG_EEES6_PlJ7is_evenIsEEEE10hipError_tPvRmT3_T4_T5_T6_T7_T9_mT8_P12ihipStream_tbDpT10_ENKUlT_T0_E_clISt17integral_constantIbLb1EES18_IbLb0EEEEDaS14_S15_EUlS14_E_NS1_11comp_targetILNS1_3genE4ELNS1_11target_archE910ELNS1_3gpuE8ELNS1_3repE0EEENS1_30default_config_static_selectorELNS0_4arch9wavefront6targetE1EEEvT1_,"axG",@progbits,_ZN7rocprim17ROCPRIM_400000_NS6detail17trampoline_kernelINS0_14default_configENS1_25partition_config_selectorILNS1_17partition_subalgoE0EsNS0_10empty_typeEbEEZZNS1_14partition_implILS5_0ELb0ES3_jN6thrust23THRUST_200600_302600_NS6detail15normal_iteratorINSA_10device_ptrIsEEEEPS6_SG_NS0_5tupleIJSF_NSA_16discard_iteratorINSA_11use_defaultEEEEEENSH_IJSG_SG_EEES6_PlJ7is_evenIsEEEE10hipError_tPvRmT3_T4_T5_T6_T7_T9_mT8_P12ihipStream_tbDpT10_ENKUlT_T0_E_clISt17integral_constantIbLb1EES18_IbLb0EEEEDaS14_S15_EUlS14_E_NS1_11comp_targetILNS1_3genE4ELNS1_11target_archE910ELNS1_3gpuE8ELNS1_3repE0EEENS1_30default_config_static_selectorELNS0_4arch9wavefront6targetE1EEEvT1_,comdat
	.protected	_ZN7rocprim17ROCPRIM_400000_NS6detail17trampoline_kernelINS0_14default_configENS1_25partition_config_selectorILNS1_17partition_subalgoE0EsNS0_10empty_typeEbEEZZNS1_14partition_implILS5_0ELb0ES3_jN6thrust23THRUST_200600_302600_NS6detail15normal_iteratorINSA_10device_ptrIsEEEEPS6_SG_NS0_5tupleIJSF_NSA_16discard_iteratorINSA_11use_defaultEEEEEENSH_IJSG_SG_EEES6_PlJ7is_evenIsEEEE10hipError_tPvRmT3_T4_T5_T6_T7_T9_mT8_P12ihipStream_tbDpT10_ENKUlT_T0_E_clISt17integral_constantIbLb1EES18_IbLb0EEEEDaS14_S15_EUlS14_E_NS1_11comp_targetILNS1_3genE4ELNS1_11target_archE910ELNS1_3gpuE8ELNS1_3repE0EEENS1_30default_config_static_selectorELNS0_4arch9wavefront6targetE1EEEvT1_ ; -- Begin function _ZN7rocprim17ROCPRIM_400000_NS6detail17trampoline_kernelINS0_14default_configENS1_25partition_config_selectorILNS1_17partition_subalgoE0EsNS0_10empty_typeEbEEZZNS1_14partition_implILS5_0ELb0ES3_jN6thrust23THRUST_200600_302600_NS6detail15normal_iteratorINSA_10device_ptrIsEEEEPS6_SG_NS0_5tupleIJSF_NSA_16discard_iteratorINSA_11use_defaultEEEEEENSH_IJSG_SG_EEES6_PlJ7is_evenIsEEEE10hipError_tPvRmT3_T4_T5_T6_T7_T9_mT8_P12ihipStream_tbDpT10_ENKUlT_T0_E_clISt17integral_constantIbLb1EES18_IbLb0EEEEDaS14_S15_EUlS14_E_NS1_11comp_targetILNS1_3genE4ELNS1_11target_archE910ELNS1_3gpuE8ELNS1_3repE0EEENS1_30default_config_static_selectorELNS0_4arch9wavefront6targetE1EEEvT1_
	.globl	_ZN7rocprim17ROCPRIM_400000_NS6detail17trampoline_kernelINS0_14default_configENS1_25partition_config_selectorILNS1_17partition_subalgoE0EsNS0_10empty_typeEbEEZZNS1_14partition_implILS5_0ELb0ES3_jN6thrust23THRUST_200600_302600_NS6detail15normal_iteratorINSA_10device_ptrIsEEEEPS6_SG_NS0_5tupleIJSF_NSA_16discard_iteratorINSA_11use_defaultEEEEEENSH_IJSG_SG_EEES6_PlJ7is_evenIsEEEE10hipError_tPvRmT3_T4_T5_T6_T7_T9_mT8_P12ihipStream_tbDpT10_ENKUlT_T0_E_clISt17integral_constantIbLb1EES18_IbLb0EEEEDaS14_S15_EUlS14_E_NS1_11comp_targetILNS1_3genE4ELNS1_11target_archE910ELNS1_3gpuE8ELNS1_3repE0EEENS1_30default_config_static_selectorELNS0_4arch9wavefront6targetE1EEEvT1_
	.p2align	8
	.type	_ZN7rocprim17ROCPRIM_400000_NS6detail17trampoline_kernelINS0_14default_configENS1_25partition_config_selectorILNS1_17partition_subalgoE0EsNS0_10empty_typeEbEEZZNS1_14partition_implILS5_0ELb0ES3_jN6thrust23THRUST_200600_302600_NS6detail15normal_iteratorINSA_10device_ptrIsEEEEPS6_SG_NS0_5tupleIJSF_NSA_16discard_iteratorINSA_11use_defaultEEEEEENSH_IJSG_SG_EEES6_PlJ7is_evenIsEEEE10hipError_tPvRmT3_T4_T5_T6_T7_T9_mT8_P12ihipStream_tbDpT10_ENKUlT_T0_E_clISt17integral_constantIbLb1EES18_IbLb0EEEEDaS14_S15_EUlS14_E_NS1_11comp_targetILNS1_3genE4ELNS1_11target_archE910ELNS1_3gpuE8ELNS1_3repE0EEENS1_30default_config_static_selectorELNS0_4arch9wavefront6targetE1EEEvT1_,@function
_ZN7rocprim17ROCPRIM_400000_NS6detail17trampoline_kernelINS0_14default_configENS1_25partition_config_selectorILNS1_17partition_subalgoE0EsNS0_10empty_typeEbEEZZNS1_14partition_implILS5_0ELb0ES3_jN6thrust23THRUST_200600_302600_NS6detail15normal_iteratorINSA_10device_ptrIsEEEEPS6_SG_NS0_5tupleIJSF_NSA_16discard_iteratorINSA_11use_defaultEEEEEENSH_IJSG_SG_EEES6_PlJ7is_evenIsEEEE10hipError_tPvRmT3_T4_T5_T6_T7_T9_mT8_P12ihipStream_tbDpT10_ENKUlT_T0_E_clISt17integral_constantIbLb1EES18_IbLb0EEEEDaS14_S15_EUlS14_E_NS1_11comp_targetILNS1_3genE4ELNS1_11target_archE910ELNS1_3gpuE8ELNS1_3repE0EEENS1_30default_config_static_selectorELNS0_4arch9wavefront6targetE1EEEvT1_: ; @_ZN7rocprim17ROCPRIM_400000_NS6detail17trampoline_kernelINS0_14default_configENS1_25partition_config_selectorILNS1_17partition_subalgoE0EsNS0_10empty_typeEbEEZZNS1_14partition_implILS5_0ELb0ES3_jN6thrust23THRUST_200600_302600_NS6detail15normal_iteratorINSA_10device_ptrIsEEEEPS6_SG_NS0_5tupleIJSF_NSA_16discard_iteratorINSA_11use_defaultEEEEEENSH_IJSG_SG_EEES6_PlJ7is_evenIsEEEE10hipError_tPvRmT3_T4_T5_T6_T7_T9_mT8_P12ihipStream_tbDpT10_ENKUlT_T0_E_clISt17integral_constantIbLb1EES18_IbLb0EEEEDaS14_S15_EUlS14_E_NS1_11comp_targetILNS1_3genE4ELNS1_11target_archE910ELNS1_3gpuE8ELNS1_3repE0EEENS1_30default_config_static_selectorELNS0_4arch9wavefront6targetE1EEEvT1_
; %bb.0:
	.section	.rodata,"a",@progbits
	.p2align	6, 0x0
	.amdhsa_kernel _ZN7rocprim17ROCPRIM_400000_NS6detail17trampoline_kernelINS0_14default_configENS1_25partition_config_selectorILNS1_17partition_subalgoE0EsNS0_10empty_typeEbEEZZNS1_14partition_implILS5_0ELb0ES3_jN6thrust23THRUST_200600_302600_NS6detail15normal_iteratorINSA_10device_ptrIsEEEEPS6_SG_NS0_5tupleIJSF_NSA_16discard_iteratorINSA_11use_defaultEEEEEENSH_IJSG_SG_EEES6_PlJ7is_evenIsEEEE10hipError_tPvRmT3_T4_T5_T6_T7_T9_mT8_P12ihipStream_tbDpT10_ENKUlT_T0_E_clISt17integral_constantIbLb1EES18_IbLb0EEEEDaS14_S15_EUlS14_E_NS1_11comp_targetILNS1_3genE4ELNS1_11target_archE910ELNS1_3gpuE8ELNS1_3repE0EEENS1_30default_config_static_selectorELNS0_4arch9wavefront6targetE1EEEvT1_
		.amdhsa_group_segment_fixed_size 0
		.amdhsa_private_segment_fixed_size 0
		.amdhsa_kernarg_size 128
		.amdhsa_user_sgpr_count 2
		.amdhsa_user_sgpr_dispatch_ptr 0
		.amdhsa_user_sgpr_queue_ptr 0
		.amdhsa_user_sgpr_kernarg_segment_ptr 1
		.amdhsa_user_sgpr_dispatch_id 0
		.amdhsa_user_sgpr_kernarg_preload_length 0
		.amdhsa_user_sgpr_kernarg_preload_offset 0
		.amdhsa_user_sgpr_private_segment_size 0
		.amdhsa_uses_dynamic_stack 0
		.amdhsa_enable_private_segment 0
		.amdhsa_system_sgpr_workgroup_id_x 1
		.amdhsa_system_sgpr_workgroup_id_y 0
		.amdhsa_system_sgpr_workgroup_id_z 0
		.amdhsa_system_sgpr_workgroup_info 0
		.amdhsa_system_vgpr_workitem_id 0
		.amdhsa_next_free_vgpr 1
		.amdhsa_next_free_sgpr 0
		.amdhsa_accum_offset 4
		.amdhsa_reserve_vcc 0
		.amdhsa_float_round_mode_32 0
		.amdhsa_float_round_mode_16_64 0
		.amdhsa_float_denorm_mode_32 3
		.amdhsa_float_denorm_mode_16_64 3
		.amdhsa_dx10_clamp 1
		.amdhsa_ieee_mode 1
		.amdhsa_fp16_overflow 0
		.amdhsa_tg_split 0
		.amdhsa_exception_fp_ieee_invalid_op 0
		.amdhsa_exception_fp_denorm_src 0
		.amdhsa_exception_fp_ieee_div_zero 0
		.amdhsa_exception_fp_ieee_overflow 0
		.amdhsa_exception_fp_ieee_underflow 0
		.amdhsa_exception_fp_ieee_inexact 0
		.amdhsa_exception_int_div_zero 0
	.end_amdhsa_kernel
	.section	.text._ZN7rocprim17ROCPRIM_400000_NS6detail17trampoline_kernelINS0_14default_configENS1_25partition_config_selectorILNS1_17partition_subalgoE0EsNS0_10empty_typeEbEEZZNS1_14partition_implILS5_0ELb0ES3_jN6thrust23THRUST_200600_302600_NS6detail15normal_iteratorINSA_10device_ptrIsEEEEPS6_SG_NS0_5tupleIJSF_NSA_16discard_iteratorINSA_11use_defaultEEEEEENSH_IJSG_SG_EEES6_PlJ7is_evenIsEEEE10hipError_tPvRmT3_T4_T5_T6_T7_T9_mT8_P12ihipStream_tbDpT10_ENKUlT_T0_E_clISt17integral_constantIbLb1EES18_IbLb0EEEEDaS14_S15_EUlS14_E_NS1_11comp_targetILNS1_3genE4ELNS1_11target_archE910ELNS1_3gpuE8ELNS1_3repE0EEENS1_30default_config_static_selectorELNS0_4arch9wavefront6targetE1EEEvT1_,"axG",@progbits,_ZN7rocprim17ROCPRIM_400000_NS6detail17trampoline_kernelINS0_14default_configENS1_25partition_config_selectorILNS1_17partition_subalgoE0EsNS0_10empty_typeEbEEZZNS1_14partition_implILS5_0ELb0ES3_jN6thrust23THRUST_200600_302600_NS6detail15normal_iteratorINSA_10device_ptrIsEEEEPS6_SG_NS0_5tupleIJSF_NSA_16discard_iteratorINSA_11use_defaultEEEEEENSH_IJSG_SG_EEES6_PlJ7is_evenIsEEEE10hipError_tPvRmT3_T4_T5_T6_T7_T9_mT8_P12ihipStream_tbDpT10_ENKUlT_T0_E_clISt17integral_constantIbLb1EES18_IbLb0EEEEDaS14_S15_EUlS14_E_NS1_11comp_targetILNS1_3genE4ELNS1_11target_archE910ELNS1_3gpuE8ELNS1_3repE0EEENS1_30default_config_static_selectorELNS0_4arch9wavefront6targetE1EEEvT1_,comdat
.Lfunc_end2829:
	.size	_ZN7rocprim17ROCPRIM_400000_NS6detail17trampoline_kernelINS0_14default_configENS1_25partition_config_selectorILNS1_17partition_subalgoE0EsNS0_10empty_typeEbEEZZNS1_14partition_implILS5_0ELb0ES3_jN6thrust23THRUST_200600_302600_NS6detail15normal_iteratorINSA_10device_ptrIsEEEEPS6_SG_NS0_5tupleIJSF_NSA_16discard_iteratorINSA_11use_defaultEEEEEENSH_IJSG_SG_EEES6_PlJ7is_evenIsEEEE10hipError_tPvRmT3_T4_T5_T6_T7_T9_mT8_P12ihipStream_tbDpT10_ENKUlT_T0_E_clISt17integral_constantIbLb1EES18_IbLb0EEEEDaS14_S15_EUlS14_E_NS1_11comp_targetILNS1_3genE4ELNS1_11target_archE910ELNS1_3gpuE8ELNS1_3repE0EEENS1_30default_config_static_selectorELNS0_4arch9wavefront6targetE1EEEvT1_, .Lfunc_end2829-_ZN7rocprim17ROCPRIM_400000_NS6detail17trampoline_kernelINS0_14default_configENS1_25partition_config_selectorILNS1_17partition_subalgoE0EsNS0_10empty_typeEbEEZZNS1_14partition_implILS5_0ELb0ES3_jN6thrust23THRUST_200600_302600_NS6detail15normal_iteratorINSA_10device_ptrIsEEEEPS6_SG_NS0_5tupleIJSF_NSA_16discard_iteratorINSA_11use_defaultEEEEEENSH_IJSG_SG_EEES6_PlJ7is_evenIsEEEE10hipError_tPvRmT3_T4_T5_T6_T7_T9_mT8_P12ihipStream_tbDpT10_ENKUlT_T0_E_clISt17integral_constantIbLb1EES18_IbLb0EEEEDaS14_S15_EUlS14_E_NS1_11comp_targetILNS1_3genE4ELNS1_11target_archE910ELNS1_3gpuE8ELNS1_3repE0EEENS1_30default_config_static_selectorELNS0_4arch9wavefront6targetE1EEEvT1_
                                        ; -- End function
	.section	.AMDGPU.csdata,"",@progbits
; Kernel info:
; codeLenInByte = 0
; NumSgprs: 6
; NumVgprs: 0
; NumAgprs: 0
; TotalNumVgprs: 0
; ScratchSize: 0
; MemoryBound: 0
; FloatMode: 240
; IeeeMode: 1
; LDSByteSize: 0 bytes/workgroup (compile time only)
; SGPRBlocks: 0
; VGPRBlocks: 0
; NumSGPRsForWavesPerEU: 6
; NumVGPRsForWavesPerEU: 1
; AccumOffset: 4
; Occupancy: 8
; WaveLimiterHint : 0
; COMPUTE_PGM_RSRC2:SCRATCH_EN: 0
; COMPUTE_PGM_RSRC2:USER_SGPR: 2
; COMPUTE_PGM_RSRC2:TRAP_HANDLER: 0
; COMPUTE_PGM_RSRC2:TGID_X_EN: 1
; COMPUTE_PGM_RSRC2:TGID_Y_EN: 0
; COMPUTE_PGM_RSRC2:TGID_Z_EN: 0
; COMPUTE_PGM_RSRC2:TIDIG_COMP_CNT: 0
; COMPUTE_PGM_RSRC3_GFX90A:ACCUM_OFFSET: 0
; COMPUTE_PGM_RSRC3_GFX90A:TG_SPLIT: 0
	.section	.text._ZN7rocprim17ROCPRIM_400000_NS6detail17trampoline_kernelINS0_14default_configENS1_25partition_config_selectorILNS1_17partition_subalgoE0EsNS0_10empty_typeEbEEZZNS1_14partition_implILS5_0ELb0ES3_jN6thrust23THRUST_200600_302600_NS6detail15normal_iteratorINSA_10device_ptrIsEEEEPS6_SG_NS0_5tupleIJSF_NSA_16discard_iteratorINSA_11use_defaultEEEEEENSH_IJSG_SG_EEES6_PlJ7is_evenIsEEEE10hipError_tPvRmT3_T4_T5_T6_T7_T9_mT8_P12ihipStream_tbDpT10_ENKUlT_T0_E_clISt17integral_constantIbLb1EES18_IbLb0EEEEDaS14_S15_EUlS14_E_NS1_11comp_targetILNS1_3genE3ELNS1_11target_archE908ELNS1_3gpuE7ELNS1_3repE0EEENS1_30default_config_static_selectorELNS0_4arch9wavefront6targetE1EEEvT1_,"axG",@progbits,_ZN7rocprim17ROCPRIM_400000_NS6detail17trampoline_kernelINS0_14default_configENS1_25partition_config_selectorILNS1_17partition_subalgoE0EsNS0_10empty_typeEbEEZZNS1_14partition_implILS5_0ELb0ES3_jN6thrust23THRUST_200600_302600_NS6detail15normal_iteratorINSA_10device_ptrIsEEEEPS6_SG_NS0_5tupleIJSF_NSA_16discard_iteratorINSA_11use_defaultEEEEEENSH_IJSG_SG_EEES6_PlJ7is_evenIsEEEE10hipError_tPvRmT3_T4_T5_T6_T7_T9_mT8_P12ihipStream_tbDpT10_ENKUlT_T0_E_clISt17integral_constantIbLb1EES18_IbLb0EEEEDaS14_S15_EUlS14_E_NS1_11comp_targetILNS1_3genE3ELNS1_11target_archE908ELNS1_3gpuE7ELNS1_3repE0EEENS1_30default_config_static_selectorELNS0_4arch9wavefront6targetE1EEEvT1_,comdat
	.protected	_ZN7rocprim17ROCPRIM_400000_NS6detail17trampoline_kernelINS0_14default_configENS1_25partition_config_selectorILNS1_17partition_subalgoE0EsNS0_10empty_typeEbEEZZNS1_14partition_implILS5_0ELb0ES3_jN6thrust23THRUST_200600_302600_NS6detail15normal_iteratorINSA_10device_ptrIsEEEEPS6_SG_NS0_5tupleIJSF_NSA_16discard_iteratorINSA_11use_defaultEEEEEENSH_IJSG_SG_EEES6_PlJ7is_evenIsEEEE10hipError_tPvRmT3_T4_T5_T6_T7_T9_mT8_P12ihipStream_tbDpT10_ENKUlT_T0_E_clISt17integral_constantIbLb1EES18_IbLb0EEEEDaS14_S15_EUlS14_E_NS1_11comp_targetILNS1_3genE3ELNS1_11target_archE908ELNS1_3gpuE7ELNS1_3repE0EEENS1_30default_config_static_selectorELNS0_4arch9wavefront6targetE1EEEvT1_ ; -- Begin function _ZN7rocprim17ROCPRIM_400000_NS6detail17trampoline_kernelINS0_14default_configENS1_25partition_config_selectorILNS1_17partition_subalgoE0EsNS0_10empty_typeEbEEZZNS1_14partition_implILS5_0ELb0ES3_jN6thrust23THRUST_200600_302600_NS6detail15normal_iteratorINSA_10device_ptrIsEEEEPS6_SG_NS0_5tupleIJSF_NSA_16discard_iteratorINSA_11use_defaultEEEEEENSH_IJSG_SG_EEES6_PlJ7is_evenIsEEEE10hipError_tPvRmT3_T4_T5_T6_T7_T9_mT8_P12ihipStream_tbDpT10_ENKUlT_T0_E_clISt17integral_constantIbLb1EES18_IbLb0EEEEDaS14_S15_EUlS14_E_NS1_11comp_targetILNS1_3genE3ELNS1_11target_archE908ELNS1_3gpuE7ELNS1_3repE0EEENS1_30default_config_static_selectorELNS0_4arch9wavefront6targetE1EEEvT1_
	.globl	_ZN7rocprim17ROCPRIM_400000_NS6detail17trampoline_kernelINS0_14default_configENS1_25partition_config_selectorILNS1_17partition_subalgoE0EsNS0_10empty_typeEbEEZZNS1_14partition_implILS5_0ELb0ES3_jN6thrust23THRUST_200600_302600_NS6detail15normal_iteratorINSA_10device_ptrIsEEEEPS6_SG_NS0_5tupleIJSF_NSA_16discard_iteratorINSA_11use_defaultEEEEEENSH_IJSG_SG_EEES6_PlJ7is_evenIsEEEE10hipError_tPvRmT3_T4_T5_T6_T7_T9_mT8_P12ihipStream_tbDpT10_ENKUlT_T0_E_clISt17integral_constantIbLb1EES18_IbLb0EEEEDaS14_S15_EUlS14_E_NS1_11comp_targetILNS1_3genE3ELNS1_11target_archE908ELNS1_3gpuE7ELNS1_3repE0EEENS1_30default_config_static_selectorELNS0_4arch9wavefront6targetE1EEEvT1_
	.p2align	8
	.type	_ZN7rocprim17ROCPRIM_400000_NS6detail17trampoline_kernelINS0_14default_configENS1_25partition_config_selectorILNS1_17partition_subalgoE0EsNS0_10empty_typeEbEEZZNS1_14partition_implILS5_0ELb0ES3_jN6thrust23THRUST_200600_302600_NS6detail15normal_iteratorINSA_10device_ptrIsEEEEPS6_SG_NS0_5tupleIJSF_NSA_16discard_iteratorINSA_11use_defaultEEEEEENSH_IJSG_SG_EEES6_PlJ7is_evenIsEEEE10hipError_tPvRmT3_T4_T5_T6_T7_T9_mT8_P12ihipStream_tbDpT10_ENKUlT_T0_E_clISt17integral_constantIbLb1EES18_IbLb0EEEEDaS14_S15_EUlS14_E_NS1_11comp_targetILNS1_3genE3ELNS1_11target_archE908ELNS1_3gpuE7ELNS1_3repE0EEENS1_30default_config_static_selectorELNS0_4arch9wavefront6targetE1EEEvT1_,@function
_ZN7rocprim17ROCPRIM_400000_NS6detail17trampoline_kernelINS0_14default_configENS1_25partition_config_selectorILNS1_17partition_subalgoE0EsNS0_10empty_typeEbEEZZNS1_14partition_implILS5_0ELb0ES3_jN6thrust23THRUST_200600_302600_NS6detail15normal_iteratorINSA_10device_ptrIsEEEEPS6_SG_NS0_5tupleIJSF_NSA_16discard_iteratorINSA_11use_defaultEEEEEENSH_IJSG_SG_EEES6_PlJ7is_evenIsEEEE10hipError_tPvRmT3_T4_T5_T6_T7_T9_mT8_P12ihipStream_tbDpT10_ENKUlT_T0_E_clISt17integral_constantIbLb1EES18_IbLb0EEEEDaS14_S15_EUlS14_E_NS1_11comp_targetILNS1_3genE3ELNS1_11target_archE908ELNS1_3gpuE7ELNS1_3repE0EEENS1_30default_config_static_selectorELNS0_4arch9wavefront6targetE1EEEvT1_: ; @_ZN7rocprim17ROCPRIM_400000_NS6detail17trampoline_kernelINS0_14default_configENS1_25partition_config_selectorILNS1_17partition_subalgoE0EsNS0_10empty_typeEbEEZZNS1_14partition_implILS5_0ELb0ES3_jN6thrust23THRUST_200600_302600_NS6detail15normal_iteratorINSA_10device_ptrIsEEEEPS6_SG_NS0_5tupleIJSF_NSA_16discard_iteratorINSA_11use_defaultEEEEEENSH_IJSG_SG_EEES6_PlJ7is_evenIsEEEE10hipError_tPvRmT3_T4_T5_T6_T7_T9_mT8_P12ihipStream_tbDpT10_ENKUlT_T0_E_clISt17integral_constantIbLb1EES18_IbLb0EEEEDaS14_S15_EUlS14_E_NS1_11comp_targetILNS1_3genE3ELNS1_11target_archE908ELNS1_3gpuE7ELNS1_3repE0EEENS1_30default_config_static_selectorELNS0_4arch9wavefront6targetE1EEEvT1_
; %bb.0:
	.section	.rodata,"a",@progbits
	.p2align	6, 0x0
	.amdhsa_kernel _ZN7rocprim17ROCPRIM_400000_NS6detail17trampoline_kernelINS0_14default_configENS1_25partition_config_selectorILNS1_17partition_subalgoE0EsNS0_10empty_typeEbEEZZNS1_14partition_implILS5_0ELb0ES3_jN6thrust23THRUST_200600_302600_NS6detail15normal_iteratorINSA_10device_ptrIsEEEEPS6_SG_NS0_5tupleIJSF_NSA_16discard_iteratorINSA_11use_defaultEEEEEENSH_IJSG_SG_EEES6_PlJ7is_evenIsEEEE10hipError_tPvRmT3_T4_T5_T6_T7_T9_mT8_P12ihipStream_tbDpT10_ENKUlT_T0_E_clISt17integral_constantIbLb1EES18_IbLb0EEEEDaS14_S15_EUlS14_E_NS1_11comp_targetILNS1_3genE3ELNS1_11target_archE908ELNS1_3gpuE7ELNS1_3repE0EEENS1_30default_config_static_selectorELNS0_4arch9wavefront6targetE1EEEvT1_
		.amdhsa_group_segment_fixed_size 0
		.amdhsa_private_segment_fixed_size 0
		.amdhsa_kernarg_size 128
		.amdhsa_user_sgpr_count 2
		.amdhsa_user_sgpr_dispatch_ptr 0
		.amdhsa_user_sgpr_queue_ptr 0
		.amdhsa_user_sgpr_kernarg_segment_ptr 1
		.amdhsa_user_sgpr_dispatch_id 0
		.amdhsa_user_sgpr_kernarg_preload_length 0
		.amdhsa_user_sgpr_kernarg_preload_offset 0
		.amdhsa_user_sgpr_private_segment_size 0
		.amdhsa_uses_dynamic_stack 0
		.amdhsa_enable_private_segment 0
		.amdhsa_system_sgpr_workgroup_id_x 1
		.amdhsa_system_sgpr_workgroup_id_y 0
		.amdhsa_system_sgpr_workgroup_id_z 0
		.amdhsa_system_sgpr_workgroup_info 0
		.amdhsa_system_vgpr_workitem_id 0
		.amdhsa_next_free_vgpr 1
		.amdhsa_next_free_sgpr 0
		.amdhsa_accum_offset 4
		.amdhsa_reserve_vcc 0
		.amdhsa_float_round_mode_32 0
		.amdhsa_float_round_mode_16_64 0
		.amdhsa_float_denorm_mode_32 3
		.amdhsa_float_denorm_mode_16_64 3
		.amdhsa_dx10_clamp 1
		.amdhsa_ieee_mode 1
		.amdhsa_fp16_overflow 0
		.amdhsa_tg_split 0
		.amdhsa_exception_fp_ieee_invalid_op 0
		.amdhsa_exception_fp_denorm_src 0
		.amdhsa_exception_fp_ieee_div_zero 0
		.amdhsa_exception_fp_ieee_overflow 0
		.amdhsa_exception_fp_ieee_underflow 0
		.amdhsa_exception_fp_ieee_inexact 0
		.amdhsa_exception_int_div_zero 0
	.end_amdhsa_kernel
	.section	.text._ZN7rocprim17ROCPRIM_400000_NS6detail17trampoline_kernelINS0_14default_configENS1_25partition_config_selectorILNS1_17partition_subalgoE0EsNS0_10empty_typeEbEEZZNS1_14partition_implILS5_0ELb0ES3_jN6thrust23THRUST_200600_302600_NS6detail15normal_iteratorINSA_10device_ptrIsEEEEPS6_SG_NS0_5tupleIJSF_NSA_16discard_iteratorINSA_11use_defaultEEEEEENSH_IJSG_SG_EEES6_PlJ7is_evenIsEEEE10hipError_tPvRmT3_T4_T5_T6_T7_T9_mT8_P12ihipStream_tbDpT10_ENKUlT_T0_E_clISt17integral_constantIbLb1EES18_IbLb0EEEEDaS14_S15_EUlS14_E_NS1_11comp_targetILNS1_3genE3ELNS1_11target_archE908ELNS1_3gpuE7ELNS1_3repE0EEENS1_30default_config_static_selectorELNS0_4arch9wavefront6targetE1EEEvT1_,"axG",@progbits,_ZN7rocprim17ROCPRIM_400000_NS6detail17trampoline_kernelINS0_14default_configENS1_25partition_config_selectorILNS1_17partition_subalgoE0EsNS0_10empty_typeEbEEZZNS1_14partition_implILS5_0ELb0ES3_jN6thrust23THRUST_200600_302600_NS6detail15normal_iteratorINSA_10device_ptrIsEEEEPS6_SG_NS0_5tupleIJSF_NSA_16discard_iteratorINSA_11use_defaultEEEEEENSH_IJSG_SG_EEES6_PlJ7is_evenIsEEEE10hipError_tPvRmT3_T4_T5_T6_T7_T9_mT8_P12ihipStream_tbDpT10_ENKUlT_T0_E_clISt17integral_constantIbLb1EES18_IbLb0EEEEDaS14_S15_EUlS14_E_NS1_11comp_targetILNS1_3genE3ELNS1_11target_archE908ELNS1_3gpuE7ELNS1_3repE0EEENS1_30default_config_static_selectorELNS0_4arch9wavefront6targetE1EEEvT1_,comdat
.Lfunc_end2830:
	.size	_ZN7rocprim17ROCPRIM_400000_NS6detail17trampoline_kernelINS0_14default_configENS1_25partition_config_selectorILNS1_17partition_subalgoE0EsNS0_10empty_typeEbEEZZNS1_14partition_implILS5_0ELb0ES3_jN6thrust23THRUST_200600_302600_NS6detail15normal_iteratorINSA_10device_ptrIsEEEEPS6_SG_NS0_5tupleIJSF_NSA_16discard_iteratorINSA_11use_defaultEEEEEENSH_IJSG_SG_EEES6_PlJ7is_evenIsEEEE10hipError_tPvRmT3_T4_T5_T6_T7_T9_mT8_P12ihipStream_tbDpT10_ENKUlT_T0_E_clISt17integral_constantIbLb1EES18_IbLb0EEEEDaS14_S15_EUlS14_E_NS1_11comp_targetILNS1_3genE3ELNS1_11target_archE908ELNS1_3gpuE7ELNS1_3repE0EEENS1_30default_config_static_selectorELNS0_4arch9wavefront6targetE1EEEvT1_, .Lfunc_end2830-_ZN7rocprim17ROCPRIM_400000_NS6detail17trampoline_kernelINS0_14default_configENS1_25partition_config_selectorILNS1_17partition_subalgoE0EsNS0_10empty_typeEbEEZZNS1_14partition_implILS5_0ELb0ES3_jN6thrust23THRUST_200600_302600_NS6detail15normal_iteratorINSA_10device_ptrIsEEEEPS6_SG_NS0_5tupleIJSF_NSA_16discard_iteratorINSA_11use_defaultEEEEEENSH_IJSG_SG_EEES6_PlJ7is_evenIsEEEE10hipError_tPvRmT3_T4_T5_T6_T7_T9_mT8_P12ihipStream_tbDpT10_ENKUlT_T0_E_clISt17integral_constantIbLb1EES18_IbLb0EEEEDaS14_S15_EUlS14_E_NS1_11comp_targetILNS1_3genE3ELNS1_11target_archE908ELNS1_3gpuE7ELNS1_3repE0EEENS1_30default_config_static_selectorELNS0_4arch9wavefront6targetE1EEEvT1_
                                        ; -- End function
	.section	.AMDGPU.csdata,"",@progbits
; Kernel info:
; codeLenInByte = 0
; NumSgprs: 6
; NumVgprs: 0
; NumAgprs: 0
; TotalNumVgprs: 0
; ScratchSize: 0
; MemoryBound: 0
; FloatMode: 240
; IeeeMode: 1
; LDSByteSize: 0 bytes/workgroup (compile time only)
; SGPRBlocks: 0
; VGPRBlocks: 0
; NumSGPRsForWavesPerEU: 6
; NumVGPRsForWavesPerEU: 1
; AccumOffset: 4
; Occupancy: 8
; WaveLimiterHint : 0
; COMPUTE_PGM_RSRC2:SCRATCH_EN: 0
; COMPUTE_PGM_RSRC2:USER_SGPR: 2
; COMPUTE_PGM_RSRC2:TRAP_HANDLER: 0
; COMPUTE_PGM_RSRC2:TGID_X_EN: 1
; COMPUTE_PGM_RSRC2:TGID_Y_EN: 0
; COMPUTE_PGM_RSRC2:TGID_Z_EN: 0
; COMPUTE_PGM_RSRC2:TIDIG_COMP_CNT: 0
; COMPUTE_PGM_RSRC3_GFX90A:ACCUM_OFFSET: 0
; COMPUTE_PGM_RSRC3_GFX90A:TG_SPLIT: 0
	.section	.text._ZN7rocprim17ROCPRIM_400000_NS6detail17trampoline_kernelINS0_14default_configENS1_25partition_config_selectorILNS1_17partition_subalgoE0EsNS0_10empty_typeEbEEZZNS1_14partition_implILS5_0ELb0ES3_jN6thrust23THRUST_200600_302600_NS6detail15normal_iteratorINSA_10device_ptrIsEEEEPS6_SG_NS0_5tupleIJSF_NSA_16discard_iteratorINSA_11use_defaultEEEEEENSH_IJSG_SG_EEES6_PlJ7is_evenIsEEEE10hipError_tPvRmT3_T4_T5_T6_T7_T9_mT8_P12ihipStream_tbDpT10_ENKUlT_T0_E_clISt17integral_constantIbLb1EES18_IbLb0EEEEDaS14_S15_EUlS14_E_NS1_11comp_targetILNS1_3genE2ELNS1_11target_archE906ELNS1_3gpuE6ELNS1_3repE0EEENS1_30default_config_static_selectorELNS0_4arch9wavefront6targetE1EEEvT1_,"axG",@progbits,_ZN7rocprim17ROCPRIM_400000_NS6detail17trampoline_kernelINS0_14default_configENS1_25partition_config_selectorILNS1_17partition_subalgoE0EsNS0_10empty_typeEbEEZZNS1_14partition_implILS5_0ELb0ES3_jN6thrust23THRUST_200600_302600_NS6detail15normal_iteratorINSA_10device_ptrIsEEEEPS6_SG_NS0_5tupleIJSF_NSA_16discard_iteratorINSA_11use_defaultEEEEEENSH_IJSG_SG_EEES6_PlJ7is_evenIsEEEE10hipError_tPvRmT3_T4_T5_T6_T7_T9_mT8_P12ihipStream_tbDpT10_ENKUlT_T0_E_clISt17integral_constantIbLb1EES18_IbLb0EEEEDaS14_S15_EUlS14_E_NS1_11comp_targetILNS1_3genE2ELNS1_11target_archE906ELNS1_3gpuE6ELNS1_3repE0EEENS1_30default_config_static_selectorELNS0_4arch9wavefront6targetE1EEEvT1_,comdat
	.protected	_ZN7rocprim17ROCPRIM_400000_NS6detail17trampoline_kernelINS0_14default_configENS1_25partition_config_selectorILNS1_17partition_subalgoE0EsNS0_10empty_typeEbEEZZNS1_14partition_implILS5_0ELb0ES3_jN6thrust23THRUST_200600_302600_NS6detail15normal_iteratorINSA_10device_ptrIsEEEEPS6_SG_NS0_5tupleIJSF_NSA_16discard_iteratorINSA_11use_defaultEEEEEENSH_IJSG_SG_EEES6_PlJ7is_evenIsEEEE10hipError_tPvRmT3_T4_T5_T6_T7_T9_mT8_P12ihipStream_tbDpT10_ENKUlT_T0_E_clISt17integral_constantIbLb1EES18_IbLb0EEEEDaS14_S15_EUlS14_E_NS1_11comp_targetILNS1_3genE2ELNS1_11target_archE906ELNS1_3gpuE6ELNS1_3repE0EEENS1_30default_config_static_selectorELNS0_4arch9wavefront6targetE1EEEvT1_ ; -- Begin function _ZN7rocprim17ROCPRIM_400000_NS6detail17trampoline_kernelINS0_14default_configENS1_25partition_config_selectorILNS1_17partition_subalgoE0EsNS0_10empty_typeEbEEZZNS1_14partition_implILS5_0ELb0ES3_jN6thrust23THRUST_200600_302600_NS6detail15normal_iteratorINSA_10device_ptrIsEEEEPS6_SG_NS0_5tupleIJSF_NSA_16discard_iteratorINSA_11use_defaultEEEEEENSH_IJSG_SG_EEES6_PlJ7is_evenIsEEEE10hipError_tPvRmT3_T4_T5_T6_T7_T9_mT8_P12ihipStream_tbDpT10_ENKUlT_T0_E_clISt17integral_constantIbLb1EES18_IbLb0EEEEDaS14_S15_EUlS14_E_NS1_11comp_targetILNS1_3genE2ELNS1_11target_archE906ELNS1_3gpuE6ELNS1_3repE0EEENS1_30default_config_static_selectorELNS0_4arch9wavefront6targetE1EEEvT1_
	.globl	_ZN7rocprim17ROCPRIM_400000_NS6detail17trampoline_kernelINS0_14default_configENS1_25partition_config_selectorILNS1_17partition_subalgoE0EsNS0_10empty_typeEbEEZZNS1_14partition_implILS5_0ELb0ES3_jN6thrust23THRUST_200600_302600_NS6detail15normal_iteratorINSA_10device_ptrIsEEEEPS6_SG_NS0_5tupleIJSF_NSA_16discard_iteratorINSA_11use_defaultEEEEEENSH_IJSG_SG_EEES6_PlJ7is_evenIsEEEE10hipError_tPvRmT3_T4_T5_T6_T7_T9_mT8_P12ihipStream_tbDpT10_ENKUlT_T0_E_clISt17integral_constantIbLb1EES18_IbLb0EEEEDaS14_S15_EUlS14_E_NS1_11comp_targetILNS1_3genE2ELNS1_11target_archE906ELNS1_3gpuE6ELNS1_3repE0EEENS1_30default_config_static_selectorELNS0_4arch9wavefront6targetE1EEEvT1_
	.p2align	8
	.type	_ZN7rocprim17ROCPRIM_400000_NS6detail17trampoline_kernelINS0_14default_configENS1_25partition_config_selectorILNS1_17partition_subalgoE0EsNS0_10empty_typeEbEEZZNS1_14partition_implILS5_0ELb0ES3_jN6thrust23THRUST_200600_302600_NS6detail15normal_iteratorINSA_10device_ptrIsEEEEPS6_SG_NS0_5tupleIJSF_NSA_16discard_iteratorINSA_11use_defaultEEEEEENSH_IJSG_SG_EEES6_PlJ7is_evenIsEEEE10hipError_tPvRmT3_T4_T5_T6_T7_T9_mT8_P12ihipStream_tbDpT10_ENKUlT_T0_E_clISt17integral_constantIbLb1EES18_IbLb0EEEEDaS14_S15_EUlS14_E_NS1_11comp_targetILNS1_3genE2ELNS1_11target_archE906ELNS1_3gpuE6ELNS1_3repE0EEENS1_30default_config_static_selectorELNS0_4arch9wavefront6targetE1EEEvT1_,@function
_ZN7rocprim17ROCPRIM_400000_NS6detail17trampoline_kernelINS0_14default_configENS1_25partition_config_selectorILNS1_17partition_subalgoE0EsNS0_10empty_typeEbEEZZNS1_14partition_implILS5_0ELb0ES3_jN6thrust23THRUST_200600_302600_NS6detail15normal_iteratorINSA_10device_ptrIsEEEEPS6_SG_NS0_5tupleIJSF_NSA_16discard_iteratorINSA_11use_defaultEEEEEENSH_IJSG_SG_EEES6_PlJ7is_evenIsEEEE10hipError_tPvRmT3_T4_T5_T6_T7_T9_mT8_P12ihipStream_tbDpT10_ENKUlT_T0_E_clISt17integral_constantIbLb1EES18_IbLb0EEEEDaS14_S15_EUlS14_E_NS1_11comp_targetILNS1_3genE2ELNS1_11target_archE906ELNS1_3gpuE6ELNS1_3repE0EEENS1_30default_config_static_selectorELNS0_4arch9wavefront6targetE1EEEvT1_: ; @_ZN7rocprim17ROCPRIM_400000_NS6detail17trampoline_kernelINS0_14default_configENS1_25partition_config_selectorILNS1_17partition_subalgoE0EsNS0_10empty_typeEbEEZZNS1_14partition_implILS5_0ELb0ES3_jN6thrust23THRUST_200600_302600_NS6detail15normal_iteratorINSA_10device_ptrIsEEEEPS6_SG_NS0_5tupleIJSF_NSA_16discard_iteratorINSA_11use_defaultEEEEEENSH_IJSG_SG_EEES6_PlJ7is_evenIsEEEE10hipError_tPvRmT3_T4_T5_T6_T7_T9_mT8_P12ihipStream_tbDpT10_ENKUlT_T0_E_clISt17integral_constantIbLb1EES18_IbLb0EEEEDaS14_S15_EUlS14_E_NS1_11comp_targetILNS1_3genE2ELNS1_11target_archE906ELNS1_3gpuE6ELNS1_3repE0EEENS1_30default_config_static_selectorELNS0_4arch9wavefront6targetE1EEEvT1_
; %bb.0:
	.section	.rodata,"a",@progbits
	.p2align	6, 0x0
	.amdhsa_kernel _ZN7rocprim17ROCPRIM_400000_NS6detail17trampoline_kernelINS0_14default_configENS1_25partition_config_selectorILNS1_17partition_subalgoE0EsNS0_10empty_typeEbEEZZNS1_14partition_implILS5_0ELb0ES3_jN6thrust23THRUST_200600_302600_NS6detail15normal_iteratorINSA_10device_ptrIsEEEEPS6_SG_NS0_5tupleIJSF_NSA_16discard_iteratorINSA_11use_defaultEEEEEENSH_IJSG_SG_EEES6_PlJ7is_evenIsEEEE10hipError_tPvRmT3_T4_T5_T6_T7_T9_mT8_P12ihipStream_tbDpT10_ENKUlT_T0_E_clISt17integral_constantIbLb1EES18_IbLb0EEEEDaS14_S15_EUlS14_E_NS1_11comp_targetILNS1_3genE2ELNS1_11target_archE906ELNS1_3gpuE6ELNS1_3repE0EEENS1_30default_config_static_selectorELNS0_4arch9wavefront6targetE1EEEvT1_
		.amdhsa_group_segment_fixed_size 0
		.amdhsa_private_segment_fixed_size 0
		.amdhsa_kernarg_size 128
		.amdhsa_user_sgpr_count 2
		.amdhsa_user_sgpr_dispatch_ptr 0
		.amdhsa_user_sgpr_queue_ptr 0
		.amdhsa_user_sgpr_kernarg_segment_ptr 1
		.amdhsa_user_sgpr_dispatch_id 0
		.amdhsa_user_sgpr_kernarg_preload_length 0
		.amdhsa_user_sgpr_kernarg_preload_offset 0
		.amdhsa_user_sgpr_private_segment_size 0
		.amdhsa_uses_dynamic_stack 0
		.amdhsa_enable_private_segment 0
		.amdhsa_system_sgpr_workgroup_id_x 1
		.amdhsa_system_sgpr_workgroup_id_y 0
		.amdhsa_system_sgpr_workgroup_id_z 0
		.amdhsa_system_sgpr_workgroup_info 0
		.amdhsa_system_vgpr_workitem_id 0
		.amdhsa_next_free_vgpr 1
		.amdhsa_next_free_sgpr 0
		.amdhsa_accum_offset 4
		.amdhsa_reserve_vcc 0
		.amdhsa_float_round_mode_32 0
		.amdhsa_float_round_mode_16_64 0
		.amdhsa_float_denorm_mode_32 3
		.amdhsa_float_denorm_mode_16_64 3
		.amdhsa_dx10_clamp 1
		.amdhsa_ieee_mode 1
		.amdhsa_fp16_overflow 0
		.amdhsa_tg_split 0
		.amdhsa_exception_fp_ieee_invalid_op 0
		.amdhsa_exception_fp_denorm_src 0
		.amdhsa_exception_fp_ieee_div_zero 0
		.amdhsa_exception_fp_ieee_overflow 0
		.amdhsa_exception_fp_ieee_underflow 0
		.amdhsa_exception_fp_ieee_inexact 0
		.amdhsa_exception_int_div_zero 0
	.end_amdhsa_kernel
	.section	.text._ZN7rocprim17ROCPRIM_400000_NS6detail17trampoline_kernelINS0_14default_configENS1_25partition_config_selectorILNS1_17partition_subalgoE0EsNS0_10empty_typeEbEEZZNS1_14partition_implILS5_0ELb0ES3_jN6thrust23THRUST_200600_302600_NS6detail15normal_iteratorINSA_10device_ptrIsEEEEPS6_SG_NS0_5tupleIJSF_NSA_16discard_iteratorINSA_11use_defaultEEEEEENSH_IJSG_SG_EEES6_PlJ7is_evenIsEEEE10hipError_tPvRmT3_T4_T5_T6_T7_T9_mT8_P12ihipStream_tbDpT10_ENKUlT_T0_E_clISt17integral_constantIbLb1EES18_IbLb0EEEEDaS14_S15_EUlS14_E_NS1_11comp_targetILNS1_3genE2ELNS1_11target_archE906ELNS1_3gpuE6ELNS1_3repE0EEENS1_30default_config_static_selectorELNS0_4arch9wavefront6targetE1EEEvT1_,"axG",@progbits,_ZN7rocprim17ROCPRIM_400000_NS6detail17trampoline_kernelINS0_14default_configENS1_25partition_config_selectorILNS1_17partition_subalgoE0EsNS0_10empty_typeEbEEZZNS1_14partition_implILS5_0ELb0ES3_jN6thrust23THRUST_200600_302600_NS6detail15normal_iteratorINSA_10device_ptrIsEEEEPS6_SG_NS0_5tupleIJSF_NSA_16discard_iteratorINSA_11use_defaultEEEEEENSH_IJSG_SG_EEES6_PlJ7is_evenIsEEEE10hipError_tPvRmT3_T4_T5_T6_T7_T9_mT8_P12ihipStream_tbDpT10_ENKUlT_T0_E_clISt17integral_constantIbLb1EES18_IbLb0EEEEDaS14_S15_EUlS14_E_NS1_11comp_targetILNS1_3genE2ELNS1_11target_archE906ELNS1_3gpuE6ELNS1_3repE0EEENS1_30default_config_static_selectorELNS0_4arch9wavefront6targetE1EEEvT1_,comdat
.Lfunc_end2831:
	.size	_ZN7rocprim17ROCPRIM_400000_NS6detail17trampoline_kernelINS0_14default_configENS1_25partition_config_selectorILNS1_17partition_subalgoE0EsNS0_10empty_typeEbEEZZNS1_14partition_implILS5_0ELb0ES3_jN6thrust23THRUST_200600_302600_NS6detail15normal_iteratorINSA_10device_ptrIsEEEEPS6_SG_NS0_5tupleIJSF_NSA_16discard_iteratorINSA_11use_defaultEEEEEENSH_IJSG_SG_EEES6_PlJ7is_evenIsEEEE10hipError_tPvRmT3_T4_T5_T6_T7_T9_mT8_P12ihipStream_tbDpT10_ENKUlT_T0_E_clISt17integral_constantIbLb1EES18_IbLb0EEEEDaS14_S15_EUlS14_E_NS1_11comp_targetILNS1_3genE2ELNS1_11target_archE906ELNS1_3gpuE6ELNS1_3repE0EEENS1_30default_config_static_selectorELNS0_4arch9wavefront6targetE1EEEvT1_, .Lfunc_end2831-_ZN7rocprim17ROCPRIM_400000_NS6detail17trampoline_kernelINS0_14default_configENS1_25partition_config_selectorILNS1_17partition_subalgoE0EsNS0_10empty_typeEbEEZZNS1_14partition_implILS5_0ELb0ES3_jN6thrust23THRUST_200600_302600_NS6detail15normal_iteratorINSA_10device_ptrIsEEEEPS6_SG_NS0_5tupleIJSF_NSA_16discard_iteratorINSA_11use_defaultEEEEEENSH_IJSG_SG_EEES6_PlJ7is_evenIsEEEE10hipError_tPvRmT3_T4_T5_T6_T7_T9_mT8_P12ihipStream_tbDpT10_ENKUlT_T0_E_clISt17integral_constantIbLb1EES18_IbLb0EEEEDaS14_S15_EUlS14_E_NS1_11comp_targetILNS1_3genE2ELNS1_11target_archE906ELNS1_3gpuE6ELNS1_3repE0EEENS1_30default_config_static_selectorELNS0_4arch9wavefront6targetE1EEEvT1_
                                        ; -- End function
	.section	.AMDGPU.csdata,"",@progbits
; Kernel info:
; codeLenInByte = 0
; NumSgprs: 6
; NumVgprs: 0
; NumAgprs: 0
; TotalNumVgprs: 0
; ScratchSize: 0
; MemoryBound: 0
; FloatMode: 240
; IeeeMode: 1
; LDSByteSize: 0 bytes/workgroup (compile time only)
; SGPRBlocks: 0
; VGPRBlocks: 0
; NumSGPRsForWavesPerEU: 6
; NumVGPRsForWavesPerEU: 1
; AccumOffset: 4
; Occupancy: 8
; WaveLimiterHint : 0
; COMPUTE_PGM_RSRC2:SCRATCH_EN: 0
; COMPUTE_PGM_RSRC2:USER_SGPR: 2
; COMPUTE_PGM_RSRC2:TRAP_HANDLER: 0
; COMPUTE_PGM_RSRC2:TGID_X_EN: 1
; COMPUTE_PGM_RSRC2:TGID_Y_EN: 0
; COMPUTE_PGM_RSRC2:TGID_Z_EN: 0
; COMPUTE_PGM_RSRC2:TIDIG_COMP_CNT: 0
; COMPUTE_PGM_RSRC3_GFX90A:ACCUM_OFFSET: 0
; COMPUTE_PGM_RSRC3_GFX90A:TG_SPLIT: 0
	.section	.text._ZN7rocprim17ROCPRIM_400000_NS6detail17trampoline_kernelINS0_14default_configENS1_25partition_config_selectorILNS1_17partition_subalgoE0EsNS0_10empty_typeEbEEZZNS1_14partition_implILS5_0ELb0ES3_jN6thrust23THRUST_200600_302600_NS6detail15normal_iteratorINSA_10device_ptrIsEEEEPS6_SG_NS0_5tupleIJSF_NSA_16discard_iteratorINSA_11use_defaultEEEEEENSH_IJSG_SG_EEES6_PlJ7is_evenIsEEEE10hipError_tPvRmT3_T4_T5_T6_T7_T9_mT8_P12ihipStream_tbDpT10_ENKUlT_T0_E_clISt17integral_constantIbLb1EES18_IbLb0EEEEDaS14_S15_EUlS14_E_NS1_11comp_targetILNS1_3genE10ELNS1_11target_archE1200ELNS1_3gpuE4ELNS1_3repE0EEENS1_30default_config_static_selectorELNS0_4arch9wavefront6targetE1EEEvT1_,"axG",@progbits,_ZN7rocprim17ROCPRIM_400000_NS6detail17trampoline_kernelINS0_14default_configENS1_25partition_config_selectorILNS1_17partition_subalgoE0EsNS0_10empty_typeEbEEZZNS1_14partition_implILS5_0ELb0ES3_jN6thrust23THRUST_200600_302600_NS6detail15normal_iteratorINSA_10device_ptrIsEEEEPS6_SG_NS0_5tupleIJSF_NSA_16discard_iteratorINSA_11use_defaultEEEEEENSH_IJSG_SG_EEES6_PlJ7is_evenIsEEEE10hipError_tPvRmT3_T4_T5_T6_T7_T9_mT8_P12ihipStream_tbDpT10_ENKUlT_T0_E_clISt17integral_constantIbLb1EES18_IbLb0EEEEDaS14_S15_EUlS14_E_NS1_11comp_targetILNS1_3genE10ELNS1_11target_archE1200ELNS1_3gpuE4ELNS1_3repE0EEENS1_30default_config_static_selectorELNS0_4arch9wavefront6targetE1EEEvT1_,comdat
	.protected	_ZN7rocprim17ROCPRIM_400000_NS6detail17trampoline_kernelINS0_14default_configENS1_25partition_config_selectorILNS1_17partition_subalgoE0EsNS0_10empty_typeEbEEZZNS1_14partition_implILS5_0ELb0ES3_jN6thrust23THRUST_200600_302600_NS6detail15normal_iteratorINSA_10device_ptrIsEEEEPS6_SG_NS0_5tupleIJSF_NSA_16discard_iteratorINSA_11use_defaultEEEEEENSH_IJSG_SG_EEES6_PlJ7is_evenIsEEEE10hipError_tPvRmT3_T4_T5_T6_T7_T9_mT8_P12ihipStream_tbDpT10_ENKUlT_T0_E_clISt17integral_constantIbLb1EES18_IbLb0EEEEDaS14_S15_EUlS14_E_NS1_11comp_targetILNS1_3genE10ELNS1_11target_archE1200ELNS1_3gpuE4ELNS1_3repE0EEENS1_30default_config_static_selectorELNS0_4arch9wavefront6targetE1EEEvT1_ ; -- Begin function _ZN7rocprim17ROCPRIM_400000_NS6detail17trampoline_kernelINS0_14default_configENS1_25partition_config_selectorILNS1_17partition_subalgoE0EsNS0_10empty_typeEbEEZZNS1_14partition_implILS5_0ELb0ES3_jN6thrust23THRUST_200600_302600_NS6detail15normal_iteratorINSA_10device_ptrIsEEEEPS6_SG_NS0_5tupleIJSF_NSA_16discard_iteratorINSA_11use_defaultEEEEEENSH_IJSG_SG_EEES6_PlJ7is_evenIsEEEE10hipError_tPvRmT3_T4_T5_T6_T7_T9_mT8_P12ihipStream_tbDpT10_ENKUlT_T0_E_clISt17integral_constantIbLb1EES18_IbLb0EEEEDaS14_S15_EUlS14_E_NS1_11comp_targetILNS1_3genE10ELNS1_11target_archE1200ELNS1_3gpuE4ELNS1_3repE0EEENS1_30default_config_static_selectorELNS0_4arch9wavefront6targetE1EEEvT1_
	.globl	_ZN7rocprim17ROCPRIM_400000_NS6detail17trampoline_kernelINS0_14default_configENS1_25partition_config_selectorILNS1_17partition_subalgoE0EsNS0_10empty_typeEbEEZZNS1_14partition_implILS5_0ELb0ES3_jN6thrust23THRUST_200600_302600_NS6detail15normal_iteratorINSA_10device_ptrIsEEEEPS6_SG_NS0_5tupleIJSF_NSA_16discard_iteratorINSA_11use_defaultEEEEEENSH_IJSG_SG_EEES6_PlJ7is_evenIsEEEE10hipError_tPvRmT3_T4_T5_T6_T7_T9_mT8_P12ihipStream_tbDpT10_ENKUlT_T0_E_clISt17integral_constantIbLb1EES18_IbLb0EEEEDaS14_S15_EUlS14_E_NS1_11comp_targetILNS1_3genE10ELNS1_11target_archE1200ELNS1_3gpuE4ELNS1_3repE0EEENS1_30default_config_static_selectorELNS0_4arch9wavefront6targetE1EEEvT1_
	.p2align	8
	.type	_ZN7rocprim17ROCPRIM_400000_NS6detail17trampoline_kernelINS0_14default_configENS1_25partition_config_selectorILNS1_17partition_subalgoE0EsNS0_10empty_typeEbEEZZNS1_14partition_implILS5_0ELb0ES3_jN6thrust23THRUST_200600_302600_NS6detail15normal_iteratorINSA_10device_ptrIsEEEEPS6_SG_NS0_5tupleIJSF_NSA_16discard_iteratorINSA_11use_defaultEEEEEENSH_IJSG_SG_EEES6_PlJ7is_evenIsEEEE10hipError_tPvRmT3_T4_T5_T6_T7_T9_mT8_P12ihipStream_tbDpT10_ENKUlT_T0_E_clISt17integral_constantIbLb1EES18_IbLb0EEEEDaS14_S15_EUlS14_E_NS1_11comp_targetILNS1_3genE10ELNS1_11target_archE1200ELNS1_3gpuE4ELNS1_3repE0EEENS1_30default_config_static_selectorELNS0_4arch9wavefront6targetE1EEEvT1_,@function
_ZN7rocprim17ROCPRIM_400000_NS6detail17trampoline_kernelINS0_14default_configENS1_25partition_config_selectorILNS1_17partition_subalgoE0EsNS0_10empty_typeEbEEZZNS1_14partition_implILS5_0ELb0ES3_jN6thrust23THRUST_200600_302600_NS6detail15normal_iteratorINSA_10device_ptrIsEEEEPS6_SG_NS0_5tupleIJSF_NSA_16discard_iteratorINSA_11use_defaultEEEEEENSH_IJSG_SG_EEES6_PlJ7is_evenIsEEEE10hipError_tPvRmT3_T4_T5_T6_T7_T9_mT8_P12ihipStream_tbDpT10_ENKUlT_T0_E_clISt17integral_constantIbLb1EES18_IbLb0EEEEDaS14_S15_EUlS14_E_NS1_11comp_targetILNS1_3genE10ELNS1_11target_archE1200ELNS1_3gpuE4ELNS1_3repE0EEENS1_30default_config_static_selectorELNS0_4arch9wavefront6targetE1EEEvT1_: ; @_ZN7rocprim17ROCPRIM_400000_NS6detail17trampoline_kernelINS0_14default_configENS1_25partition_config_selectorILNS1_17partition_subalgoE0EsNS0_10empty_typeEbEEZZNS1_14partition_implILS5_0ELb0ES3_jN6thrust23THRUST_200600_302600_NS6detail15normal_iteratorINSA_10device_ptrIsEEEEPS6_SG_NS0_5tupleIJSF_NSA_16discard_iteratorINSA_11use_defaultEEEEEENSH_IJSG_SG_EEES6_PlJ7is_evenIsEEEE10hipError_tPvRmT3_T4_T5_T6_T7_T9_mT8_P12ihipStream_tbDpT10_ENKUlT_T0_E_clISt17integral_constantIbLb1EES18_IbLb0EEEEDaS14_S15_EUlS14_E_NS1_11comp_targetILNS1_3genE10ELNS1_11target_archE1200ELNS1_3gpuE4ELNS1_3repE0EEENS1_30default_config_static_selectorELNS0_4arch9wavefront6targetE1EEEvT1_
; %bb.0:
	.section	.rodata,"a",@progbits
	.p2align	6, 0x0
	.amdhsa_kernel _ZN7rocprim17ROCPRIM_400000_NS6detail17trampoline_kernelINS0_14default_configENS1_25partition_config_selectorILNS1_17partition_subalgoE0EsNS0_10empty_typeEbEEZZNS1_14partition_implILS5_0ELb0ES3_jN6thrust23THRUST_200600_302600_NS6detail15normal_iteratorINSA_10device_ptrIsEEEEPS6_SG_NS0_5tupleIJSF_NSA_16discard_iteratorINSA_11use_defaultEEEEEENSH_IJSG_SG_EEES6_PlJ7is_evenIsEEEE10hipError_tPvRmT3_T4_T5_T6_T7_T9_mT8_P12ihipStream_tbDpT10_ENKUlT_T0_E_clISt17integral_constantIbLb1EES18_IbLb0EEEEDaS14_S15_EUlS14_E_NS1_11comp_targetILNS1_3genE10ELNS1_11target_archE1200ELNS1_3gpuE4ELNS1_3repE0EEENS1_30default_config_static_selectorELNS0_4arch9wavefront6targetE1EEEvT1_
		.amdhsa_group_segment_fixed_size 0
		.amdhsa_private_segment_fixed_size 0
		.amdhsa_kernarg_size 128
		.amdhsa_user_sgpr_count 2
		.amdhsa_user_sgpr_dispatch_ptr 0
		.amdhsa_user_sgpr_queue_ptr 0
		.amdhsa_user_sgpr_kernarg_segment_ptr 1
		.amdhsa_user_sgpr_dispatch_id 0
		.amdhsa_user_sgpr_kernarg_preload_length 0
		.amdhsa_user_sgpr_kernarg_preload_offset 0
		.amdhsa_user_sgpr_private_segment_size 0
		.amdhsa_uses_dynamic_stack 0
		.amdhsa_enable_private_segment 0
		.amdhsa_system_sgpr_workgroup_id_x 1
		.amdhsa_system_sgpr_workgroup_id_y 0
		.amdhsa_system_sgpr_workgroup_id_z 0
		.amdhsa_system_sgpr_workgroup_info 0
		.amdhsa_system_vgpr_workitem_id 0
		.amdhsa_next_free_vgpr 1
		.amdhsa_next_free_sgpr 0
		.amdhsa_accum_offset 4
		.amdhsa_reserve_vcc 0
		.amdhsa_float_round_mode_32 0
		.amdhsa_float_round_mode_16_64 0
		.amdhsa_float_denorm_mode_32 3
		.amdhsa_float_denorm_mode_16_64 3
		.amdhsa_dx10_clamp 1
		.amdhsa_ieee_mode 1
		.amdhsa_fp16_overflow 0
		.amdhsa_tg_split 0
		.amdhsa_exception_fp_ieee_invalid_op 0
		.amdhsa_exception_fp_denorm_src 0
		.amdhsa_exception_fp_ieee_div_zero 0
		.amdhsa_exception_fp_ieee_overflow 0
		.amdhsa_exception_fp_ieee_underflow 0
		.amdhsa_exception_fp_ieee_inexact 0
		.amdhsa_exception_int_div_zero 0
	.end_amdhsa_kernel
	.section	.text._ZN7rocprim17ROCPRIM_400000_NS6detail17trampoline_kernelINS0_14default_configENS1_25partition_config_selectorILNS1_17partition_subalgoE0EsNS0_10empty_typeEbEEZZNS1_14partition_implILS5_0ELb0ES3_jN6thrust23THRUST_200600_302600_NS6detail15normal_iteratorINSA_10device_ptrIsEEEEPS6_SG_NS0_5tupleIJSF_NSA_16discard_iteratorINSA_11use_defaultEEEEEENSH_IJSG_SG_EEES6_PlJ7is_evenIsEEEE10hipError_tPvRmT3_T4_T5_T6_T7_T9_mT8_P12ihipStream_tbDpT10_ENKUlT_T0_E_clISt17integral_constantIbLb1EES18_IbLb0EEEEDaS14_S15_EUlS14_E_NS1_11comp_targetILNS1_3genE10ELNS1_11target_archE1200ELNS1_3gpuE4ELNS1_3repE0EEENS1_30default_config_static_selectorELNS0_4arch9wavefront6targetE1EEEvT1_,"axG",@progbits,_ZN7rocprim17ROCPRIM_400000_NS6detail17trampoline_kernelINS0_14default_configENS1_25partition_config_selectorILNS1_17partition_subalgoE0EsNS0_10empty_typeEbEEZZNS1_14partition_implILS5_0ELb0ES3_jN6thrust23THRUST_200600_302600_NS6detail15normal_iteratorINSA_10device_ptrIsEEEEPS6_SG_NS0_5tupleIJSF_NSA_16discard_iteratorINSA_11use_defaultEEEEEENSH_IJSG_SG_EEES6_PlJ7is_evenIsEEEE10hipError_tPvRmT3_T4_T5_T6_T7_T9_mT8_P12ihipStream_tbDpT10_ENKUlT_T0_E_clISt17integral_constantIbLb1EES18_IbLb0EEEEDaS14_S15_EUlS14_E_NS1_11comp_targetILNS1_3genE10ELNS1_11target_archE1200ELNS1_3gpuE4ELNS1_3repE0EEENS1_30default_config_static_selectorELNS0_4arch9wavefront6targetE1EEEvT1_,comdat
.Lfunc_end2832:
	.size	_ZN7rocprim17ROCPRIM_400000_NS6detail17trampoline_kernelINS0_14default_configENS1_25partition_config_selectorILNS1_17partition_subalgoE0EsNS0_10empty_typeEbEEZZNS1_14partition_implILS5_0ELb0ES3_jN6thrust23THRUST_200600_302600_NS6detail15normal_iteratorINSA_10device_ptrIsEEEEPS6_SG_NS0_5tupleIJSF_NSA_16discard_iteratorINSA_11use_defaultEEEEEENSH_IJSG_SG_EEES6_PlJ7is_evenIsEEEE10hipError_tPvRmT3_T4_T5_T6_T7_T9_mT8_P12ihipStream_tbDpT10_ENKUlT_T0_E_clISt17integral_constantIbLb1EES18_IbLb0EEEEDaS14_S15_EUlS14_E_NS1_11comp_targetILNS1_3genE10ELNS1_11target_archE1200ELNS1_3gpuE4ELNS1_3repE0EEENS1_30default_config_static_selectorELNS0_4arch9wavefront6targetE1EEEvT1_, .Lfunc_end2832-_ZN7rocprim17ROCPRIM_400000_NS6detail17trampoline_kernelINS0_14default_configENS1_25partition_config_selectorILNS1_17partition_subalgoE0EsNS0_10empty_typeEbEEZZNS1_14partition_implILS5_0ELb0ES3_jN6thrust23THRUST_200600_302600_NS6detail15normal_iteratorINSA_10device_ptrIsEEEEPS6_SG_NS0_5tupleIJSF_NSA_16discard_iteratorINSA_11use_defaultEEEEEENSH_IJSG_SG_EEES6_PlJ7is_evenIsEEEE10hipError_tPvRmT3_T4_T5_T6_T7_T9_mT8_P12ihipStream_tbDpT10_ENKUlT_T0_E_clISt17integral_constantIbLb1EES18_IbLb0EEEEDaS14_S15_EUlS14_E_NS1_11comp_targetILNS1_3genE10ELNS1_11target_archE1200ELNS1_3gpuE4ELNS1_3repE0EEENS1_30default_config_static_selectorELNS0_4arch9wavefront6targetE1EEEvT1_
                                        ; -- End function
	.section	.AMDGPU.csdata,"",@progbits
; Kernel info:
; codeLenInByte = 0
; NumSgprs: 6
; NumVgprs: 0
; NumAgprs: 0
; TotalNumVgprs: 0
; ScratchSize: 0
; MemoryBound: 0
; FloatMode: 240
; IeeeMode: 1
; LDSByteSize: 0 bytes/workgroup (compile time only)
; SGPRBlocks: 0
; VGPRBlocks: 0
; NumSGPRsForWavesPerEU: 6
; NumVGPRsForWavesPerEU: 1
; AccumOffset: 4
; Occupancy: 8
; WaveLimiterHint : 0
; COMPUTE_PGM_RSRC2:SCRATCH_EN: 0
; COMPUTE_PGM_RSRC2:USER_SGPR: 2
; COMPUTE_PGM_RSRC2:TRAP_HANDLER: 0
; COMPUTE_PGM_RSRC2:TGID_X_EN: 1
; COMPUTE_PGM_RSRC2:TGID_Y_EN: 0
; COMPUTE_PGM_RSRC2:TGID_Z_EN: 0
; COMPUTE_PGM_RSRC2:TIDIG_COMP_CNT: 0
; COMPUTE_PGM_RSRC3_GFX90A:ACCUM_OFFSET: 0
; COMPUTE_PGM_RSRC3_GFX90A:TG_SPLIT: 0
	.section	.text._ZN7rocprim17ROCPRIM_400000_NS6detail17trampoline_kernelINS0_14default_configENS1_25partition_config_selectorILNS1_17partition_subalgoE0EsNS0_10empty_typeEbEEZZNS1_14partition_implILS5_0ELb0ES3_jN6thrust23THRUST_200600_302600_NS6detail15normal_iteratorINSA_10device_ptrIsEEEEPS6_SG_NS0_5tupleIJSF_NSA_16discard_iteratorINSA_11use_defaultEEEEEENSH_IJSG_SG_EEES6_PlJ7is_evenIsEEEE10hipError_tPvRmT3_T4_T5_T6_T7_T9_mT8_P12ihipStream_tbDpT10_ENKUlT_T0_E_clISt17integral_constantIbLb1EES18_IbLb0EEEEDaS14_S15_EUlS14_E_NS1_11comp_targetILNS1_3genE9ELNS1_11target_archE1100ELNS1_3gpuE3ELNS1_3repE0EEENS1_30default_config_static_selectorELNS0_4arch9wavefront6targetE1EEEvT1_,"axG",@progbits,_ZN7rocprim17ROCPRIM_400000_NS6detail17trampoline_kernelINS0_14default_configENS1_25partition_config_selectorILNS1_17partition_subalgoE0EsNS0_10empty_typeEbEEZZNS1_14partition_implILS5_0ELb0ES3_jN6thrust23THRUST_200600_302600_NS6detail15normal_iteratorINSA_10device_ptrIsEEEEPS6_SG_NS0_5tupleIJSF_NSA_16discard_iteratorINSA_11use_defaultEEEEEENSH_IJSG_SG_EEES6_PlJ7is_evenIsEEEE10hipError_tPvRmT3_T4_T5_T6_T7_T9_mT8_P12ihipStream_tbDpT10_ENKUlT_T0_E_clISt17integral_constantIbLb1EES18_IbLb0EEEEDaS14_S15_EUlS14_E_NS1_11comp_targetILNS1_3genE9ELNS1_11target_archE1100ELNS1_3gpuE3ELNS1_3repE0EEENS1_30default_config_static_selectorELNS0_4arch9wavefront6targetE1EEEvT1_,comdat
	.protected	_ZN7rocprim17ROCPRIM_400000_NS6detail17trampoline_kernelINS0_14default_configENS1_25partition_config_selectorILNS1_17partition_subalgoE0EsNS0_10empty_typeEbEEZZNS1_14partition_implILS5_0ELb0ES3_jN6thrust23THRUST_200600_302600_NS6detail15normal_iteratorINSA_10device_ptrIsEEEEPS6_SG_NS0_5tupleIJSF_NSA_16discard_iteratorINSA_11use_defaultEEEEEENSH_IJSG_SG_EEES6_PlJ7is_evenIsEEEE10hipError_tPvRmT3_T4_T5_T6_T7_T9_mT8_P12ihipStream_tbDpT10_ENKUlT_T0_E_clISt17integral_constantIbLb1EES18_IbLb0EEEEDaS14_S15_EUlS14_E_NS1_11comp_targetILNS1_3genE9ELNS1_11target_archE1100ELNS1_3gpuE3ELNS1_3repE0EEENS1_30default_config_static_selectorELNS0_4arch9wavefront6targetE1EEEvT1_ ; -- Begin function _ZN7rocprim17ROCPRIM_400000_NS6detail17trampoline_kernelINS0_14default_configENS1_25partition_config_selectorILNS1_17partition_subalgoE0EsNS0_10empty_typeEbEEZZNS1_14partition_implILS5_0ELb0ES3_jN6thrust23THRUST_200600_302600_NS6detail15normal_iteratorINSA_10device_ptrIsEEEEPS6_SG_NS0_5tupleIJSF_NSA_16discard_iteratorINSA_11use_defaultEEEEEENSH_IJSG_SG_EEES6_PlJ7is_evenIsEEEE10hipError_tPvRmT3_T4_T5_T6_T7_T9_mT8_P12ihipStream_tbDpT10_ENKUlT_T0_E_clISt17integral_constantIbLb1EES18_IbLb0EEEEDaS14_S15_EUlS14_E_NS1_11comp_targetILNS1_3genE9ELNS1_11target_archE1100ELNS1_3gpuE3ELNS1_3repE0EEENS1_30default_config_static_selectorELNS0_4arch9wavefront6targetE1EEEvT1_
	.globl	_ZN7rocprim17ROCPRIM_400000_NS6detail17trampoline_kernelINS0_14default_configENS1_25partition_config_selectorILNS1_17partition_subalgoE0EsNS0_10empty_typeEbEEZZNS1_14partition_implILS5_0ELb0ES3_jN6thrust23THRUST_200600_302600_NS6detail15normal_iteratorINSA_10device_ptrIsEEEEPS6_SG_NS0_5tupleIJSF_NSA_16discard_iteratorINSA_11use_defaultEEEEEENSH_IJSG_SG_EEES6_PlJ7is_evenIsEEEE10hipError_tPvRmT3_T4_T5_T6_T7_T9_mT8_P12ihipStream_tbDpT10_ENKUlT_T0_E_clISt17integral_constantIbLb1EES18_IbLb0EEEEDaS14_S15_EUlS14_E_NS1_11comp_targetILNS1_3genE9ELNS1_11target_archE1100ELNS1_3gpuE3ELNS1_3repE0EEENS1_30default_config_static_selectorELNS0_4arch9wavefront6targetE1EEEvT1_
	.p2align	8
	.type	_ZN7rocprim17ROCPRIM_400000_NS6detail17trampoline_kernelINS0_14default_configENS1_25partition_config_selectorILNS1_17partition_subalgoE0EsNS0_10empty_typeEbEEZZNS1_14partition_implILS5_0ELb0ES3_jN6thrust23THRUST_200600_302600_NS6detail15normal_iteratorINSA_10device_ptrIsEEEEPS6_SG_NS0_5tupleIJSF_NSA_16discard_iteratorINSA_11use_defaultEEEEEENSH_IJSG_SG_EEES6_PlJ7is_evenIsEEEE10hipError_tPvRmT3_T4_T5_T6_T7_T9_mT8_P12ihipStream_tbDpT10_ENKUlT_T0_E_clISt17integral_constantIbLb1EES18_IbLb0EEEEDaS14_S15_EUlS14_E_NS1_11comp_targetILNS1_3genE9ELNS1_11target_archE1100ELNS1_3gpuE3ELNS1_3repE0EEENS1_30default_config_static_selectorELNS0_4arch9wavefront6targetE1EEEvT1_,@function
_ZN7rocprim17ROCPRIM_400000_NS6detail17trampoline_kernelINS0_14default_configENS1_25partition_config_selectorILNS1_17partition_subalgoE0EsNS0_10empty_typeEbEEZZNS1_14partition_implILS5_0ELb0ES3_jN6thrust23THRUST_200600_302600_NS6detail15normal_iteratorINSA_10device_ptrIsEEEEPS6_SG_NS0_5tupleIJSF_NSA_16discard_iteratorINSA_11use_defaultEEEEEENSH_IJSG_SG_EEES6_PlJ7is_evenIsEEEE10hipError_tPvRmT3_T4_T5_T6_T7_T9_mT8_P12ihipStream_tbDpT10_ENKUlT_T0_E_clISt17integral_constantIbLb1EES18_IbLb0EEEEDaS14_S15_EUlS14_E_NS1_11comp_targetILNS1_3genE9ELNS1_11target_archE1100ELNS1_3gpuE3ELNS1_3repE0EEENS1_30default_config_static_selectorELNS0_4arch9wavefront6targetE1EEEvT1_: ; @_ZN7rocprim17ROCPRIM_400000_NS6detail17trampoline_kernelINS0_14default_configENS1_25partition_config_selectorILNS1_17partition_subalgoE0EsNS0_10empty_typeEbEEZZNS1_14partition_implILS5_0ELb0ES3_jN6thrust23THRUST_200600_302600_NS6detail15normal_iteratorINSA_10device_ptrIsEEEEPS6_SG_NS0_5tupleIJSF_NSA_16discard_iteratorINSA_11use_defaultEEEEEENSH_IJSG_SG_EEES6_PlJ7is_evenIsEEEE10hipError_tPvRmT3_T4_T5_T6_T7_T9_mT8_P12ihipStream_tbDpT10_ENKUlT_T0_E_clISt17integral_constantIbLb1EES18_IbLb0EEEEDaS14_S15_EUlS14_E_NS1_11comp_targetILNS1_3genE9ELNS1_11target_archE1100ELNS1_3gpuE3ELNS1_3repE0EEENS1_30default_config_static_selectorELNS0_4arch9wavefront6targetE1EEEvT1_
; %bb.0:
	.section	.rodata,"a",@progbits
	.p2align	6, 0x0
	.amdhsa_kernel _ZN7rocprim17ROCPRIM_400000_NS6detail17trampoline_kernelINS0_14default_configENS1_25partition_config_selectorILNS1_17partition_subalgoE0EsNS0_10empty_typeEbEEZZNS1_14partition_implILS5_0ELb0ES3_jN6thrust23THRUST_200600_302600_NS6detail15normal_iteratorINSA_10device_ptrIsEEEEPS6_SG_NS0_5tupleIJSF_NSA_16discard_iteratorINSA_11use_defaultEEEEEENSH_IJSG_SG_EEES6_PlJ7is_evenIsEEEE10hipError_tPvRmT3_T4_T5_T6_T7_T9_mT8_P12ihipStream_tbDpT10_ENKUlT_T0_E_clISt17integral_constantIbLb1EES18_IbLb0EEEEDaS14_S15_EUlS14_E_NS1_11comp_targetILNS1_3genE9ELNS1_11target_archE1100ELNS1_3gpuE3ELNS1_3repE0EEENS1_30default_config_static_selectorELNS0_4arch9wavefront6targetE1EEEvT1_
		.amdhsa_group_segment_fixed_size 0
		.amdhsa_private_segment_fixed_size 0
		.amdhsa_kernarg_size 128
		.amdhsa_user_sgpr_count 2
		.amdhsa_user_sgpr_dispatch_ptr 0
		.amdhsa_user_sgpr_queue_ptr 0
		.amdhsa_user_sgpr_kernarg_segment_ptr 1
		.amdhsa_user_sgpr_dispatch_id 0
		.amdhsa_user_sgpr_kernarg_preload_length 0
		.amdhsa_user_sgpr_kernarg_preload_offset 0
		.amdhsa_user_sgpr_private_segment_size 0
		.amdhsa_uses_dynamic_stack 0
		.amdhsa_enable_private_segment 0
		.amdhsa_system_sgpr_workgroup_id_x 1
		.amdhsa_system_sgpr_workgroup_id_y 0
		.amdhsa_system_sgpr_workgroup_id_z 0
		.amdhsa_system_sgpr_workgroup_info 0
		.amdhsa_system_vgpr_workitem_id 0
		.amdhsa_next_free_vgpr 1
		.amdhsa_next_free_sgpr 0
		.amdhsa_accum_offset 4
		.amdhsa_reserve_vcc 0
		.amdhsa_float_round_mode_32 0
		.amdhsa_float_round_mode_16_64 0
		.amdhsa_float_denorm_mode_32 3
		.amdhsa_float_denorm_mode_16_64 3
		.amdhsa_dx10_clamp 1
		.amdhsa_ieee_mode 1
		.amdhsa_fp16_overflow 0
		.amdhsa_tg_split 0
		.amdhsa_exception_fp_ieee_invalid_op 0
		.amdhsa_exception_fp_denorm_src 0
		.amdhsa_exception_fp_ieee_div_zero 0
		.amdhsa_exception_fp_ieee_overflow 0
		.amdhsa_exception_fp_ieee_underflow 0
		.amdhsa_exception_fp_ieee_inexact 0
		.amdhsa_exception_int_div_zero 0
	.end_amdhsa_kernel
	.section	.text._ZN7rocprim17ROCPRIM_400000_NS6detail17trampoline_kernelINS0_14default_configENS1_25partition_config_selectorILNS1_17partition_subalgoE0EsNS0_10empty_typeEbEEZZNS1_14partition_implILS5_0ELb0ES3_jN6thrust23THRUST_200600_302600_NS6detail15normal_iteratorINSA_10device_ptrIsEEEEPS6_SG_NS0_5tupleIJSF_NSA_16discard_iteratorINSA_11use_defaultEEEEEENSH_IJSG_SG_EEES6_PlJ7is_evenIsEEEE10hipError_tPvRmT3_T4_T5_T6_T7_T9_mT8_P12ihipStream_tbDpT10_ENKUlT_T0_E_clISt17integral_constantIbLb1EES18_IbLb0EEEEDaS14_S15_EUlS14_E_NS1_11comp_targetILNS1_3genE9ELNS1_11target_archE1100ELNS1_3gpuE3ELNS1_3repE0EEENS1_30default_config_static_selectorELNS0_4arch9wavefront6targetE1EEEvT1_,"axG",@progbits,_ZN7rocprim17ROCPRIM_400000_NS6detail17trampoline_kernelINS0_14default_configENS1_25partition_config_selectorILNS1_17partition_subalgoE0EsNS0_10empty_typeEbEEZZNS1_14partition_implILS5_0ELb0ES3_jN6thrust23THRUST_200600_302600_NS6detail15normal_iteratorINSA_10device_ptrIsEEEEPS6_SG_NS0_5tupleIJSF_NSA_16discard_iteratorINSA_11use_defaultEEEEEENSH_IJSG_SG_EEES6_PlJ7is_evenIsEEEE10hipError_tPvRmT3_T4_T5_T6_T7_T9_mT8_P12ihipStream_tbDpT10_ENKUlT_T0_E_clISt17integral_constantIbLb1EES18_IbLb0EEEEDaS14_S15_EUlS14_E_NS1_11comp_targetILNS1_3genE9ELNS1_11target_archE1100ELNS1_3gpuE3ELNS1_3repE0EEENS1_30default_config_static_selectorELNS0_4arch9wavefront6targetE1EEEvT1_,comdat
.Lfunc_end2833:
	.size	_ZN7rocprim17ROCPRIM_400000_NS6detail17trampoline_kernelINS0_14default_configENS1_25partition_config_selectorILNS1_17partition_subalgoE0EsNS0_10empty_typeEbEEZZNS1_14partition_implILS5_0ELb0ES3_jN6thrust23THRUST_200600_302600_NS6detail15normal_iteratorINSA_10device_ptrIsEEEEPS6_SG_NS0_5tupleIJSF_NSA_16discard_iteratorINSA_11use_defaultEEEEEENSH_IJSG_SG_EEES6_PlJ7is_evenIsEEEE10hipError_tPvRmT3_T4_T5_T6_T7_T9_mT8_P12ihipStream_tbDpT10_ENKUlT_T0_E_clISt17integral_constantIbLb1EES18_IbLb0EEEEDaS14_S15_EUlS14_E_NS1_11comp_targetILNS1_3genE9ELNS1_11target_archE1100ELNS1_3gpuE3ELNS1_3repE0EEENS1_30default_config_static_selectorELNS0_4arch9wavefront6targetE1EEEvT1_, .Lfunc_end2833-_ZN7rocprim17ROCPRIM_400000_NS6detail17trampoline_kernelINS0_14default_configENS1_25partition_config_selectorILNS1_17partition_subalgoE0EsNS0_10empty_typeEbEEZZNS1_14partition_implILS5_0ELb0ES3_jN6thrust23THRUST_200600_302600_NS6detail15normal_iteratorINSA_10device_ptrIsEEEEPS6_SG_NS0_5tupleIJSF_NSA_16discard_iteratorINSA_11use_defaultEEEEEENSH_IJSG_SG_EEES6_PlJ7is_evenIsEEEE10hipError_tPvRmT3_T4_T5_T6_T7_T9_mT8_P12ihipStream_tbDpT10_ENKUlT_T0_E_clISt17integral_constantIbLb1EES18_IbLb0EEEEDaS14_S15_EUlS14_E_NS1_11comp_targetILNS1_3genE9ELNS1_11target_archE1100ELNS1_3gpuE3ELNS1_3repE0EEENS1_30default_config_static_selectorELNS0_4arch9wavefront6targetE1EEEvT1_
                                        ; -- End function
	.section	.AMDGPU.csdata,"",@progbits
; Kernel info:
; codeLenInByte = 0
; NumSgprs: 6
; NumVgprs: 0
; NumAgprs: 0
; TotalNumVgprs: 0
; ScratchSize: 0
; MemoryBound: 0
; FloatMode: 240
; IeeeMode: 1
; LDSByteSize: 0 bytes/workgroup (compile time only)
; SGPRBlocks: 0
; VGPRBlocks: 0
; NumSGPRsForWavesPerEU: 6
; NumVGPRsForWavesPerEU: 1
; AccumOffset: 4
; Occupancy: 8
; WaveLimiterHint : 0
; COMPUTE_PGM_RSRC2:SCRATCH_EN: 0
; COMPUTE_PGM_RSRC2:USER_SGPR: 2
; COMPUTE_PGM_RSRC2:TRAP_HANDLER: 0
; COMPUTE_PGM_RSRC2:TGID_X_EN: 1
; COMPUTE_PGM_RSRC2:TGID_Y_EN: 0
; COMPUTE_PGM_RSRC2:TGID_Z_EN: 0
; COMPUTE_PGM_RSRC2:TIDIG_COMP_CNT: 0
; COMPUTE_PGM_RSRC3_GFX90A:ACCUM_OFFSET: 0
; COMPUTE_PGM_RSRC3_GFX90A:TG_SPLIT: 0
	.section	.text._ZN7rocprim17ROCPRIM_400000_NS6detail17trampoline_kernelINS0_14default_configENS1_25partition_config_selectorILNS1_17partition_subalgoE0EsNS0_10empty_typeEbEEZZNS1_14partition_implILS5_0ELb0ES3_jN6thrust23THRUST_200600_302600_NS6detail15normal_iteratorINSA_10device_ptrIsEEEEPS6_SG_NS0_5tupleIJSF_NSA_16discard_iteratorINSA_11use_defaultEEEEEENSH_IJSG_SG_EEES6_PlJ7is_evenIsEEEE10hipError_tPvRmT3_T4_T5_T6_T7_T9_mT8_P12ihipStream_tbDpT10_ENKUlT_T0_E_clISt17integral_constantIbLb1EES18_IbLb0EEEEDaS14_S15_EUlS14_E_NS1_11comp_targetILNS1_3genE8ELNS1_11target_archE1030ELNS1_3gpuE2ELNS1_3repE0EEENS1_30default_config_static_selectorELNS0_4arch9wavefront6targetE1EEEvT1_,"axG",@progbits,_ZN7rocprim17ROCPRIM_400000_NS6detail17trampoline_kernelINS0_14default_configENS1_25partition_config_selectorILNS1_17partition_subalgoE0EsNS0_10empty_typeEbEEZZNS1_14partition_implILS5_0ELb0ES3_jN6thrust23THRUST_200600_302600_NS6detail15normal_iteratorINSA_10device_ptrIsEEEEPS6_SG_NS0_5tupleIJSF_NSA_16discard_iteratorINSA_11use_defaultEEEEEENSH_IJSG_SG_EEES6_PlJ7is_evenIsEEEE10hipError_tPvRmT3_T4_T5_T6_T7_T9_mT8_P12ihipStream_tbDpT10_ENKUlT_T0_E_clISt17integral_constantIbLb1EES18_IbLb0EEEEDaS14_S15_EUlS14_E_NS1_11comp_targetILNS1_3genE8ELNS1_11target_archE1030ELNS1_3gpuE2ELNS1_3repE0EEENS1_30default_config_static_selectorELNS0_4arch9wavefront6targetE1EEEvT1_,comdat
	.protected	_ZN7rocprim17ROCPRIM_400000_NS6detail17trampoline_kernelINS0_14default_configENS1_25partition_config_selectorILNS1_17partition_subalgoE0EsNS0_10empty_typeEbEEZZNS1_14partition_implILS5_0ELb0ES3_jN6thrust23THRUST_200600_302600_NS6detail15normal_iteratorINSA_10device_ptrIsEEEEPS6_SG_NS0_5tupleIJSF_NSA_16discard_iteratorINSA_11use_defaultEEEEEENSH_IJSG_SG_EEES6_PlJ7is_evenIsEEEE10hipError_tPvRmT3_T4_T5_T6_T7_T9_mT8_P12ihipStream_tbDpT10_ENKUlT_T0_E_clISt17integral_constantIbLb1EES18_IbLb0EEEEDaS14_S15_EUlS14_E_NS1_11comp_targetILNS1_3genE8ELNS1_11target_archE1030ELNS1_3gpuE2ELNS1_3repE0EEENS1_30default_config_static_selectorELNS0_4arch9wavefront6targetE1EEEvT1_ ; -- Begin function _ZN7rocprim17ROCPRIM_400000_NS6detail17trampoline_kernelINS0_14default_configENS1_25partition_config_selectorILNS1_17partition_subalgoE0EsNS0_10empty_typeEbEEZZNS1_14partition_implILS5_0ELb0ES3_jN6thrust23THRUST_200600_302600_NS6detail15normal_iteratorINSA_10device_ptrIsEEEEPS6_SG_NS0_5tupleIJSF_NSA_16discard_iteratorINSA_11use_defaultEEEEEENSH_IJSG_SG_EEES6_PlJ7is_evenIsEEEE10hipError_tPvRmT3_T4_T5_T6_T7_T9_mT8_P12ihipStream_tbDpT10_ENKUlT_T0_E_clISt17integral_constantIbLb1EES18_IbLb0EEEEDaS14_S15_EUlS14_E_NS1_11comp_targetILNS1_3genE8ELNS1_11target_archE1030ELNS1_3gpuE2ELNS1_3repE0EEENS1_30default_config_static_selectorELNS0_4arch9wavefront6targetE1EEEvT1_
	.globl	_ZN7rocprim17ROCPRIM_400000_NS6detail17trampoline_kernelINS0_14default_configENS1_25partition_config_selectorILNS1_17partition_subalgoE0EsNS0_10empty_typeEbEEZZNS1_14partition_implILS5_0ELb0ES3_jN6thrust23THRUST_200600_302600_NS6detail15normal_iteratorINSA_10device_ptrIsEEEEPS6_SG_NS0_5tupleIJSF_NSA_16discard_iteratorINSA_11use_defaultEEEEEENSH_IJSG_SG_EEES6_PlJ7is_evenIsEEEE10hipError_tPvRmT3_T4_T5_T6_T7_T9_mT8_P12ihipStream_tbDpT10_ENKUlT_T0_E_clISt17integral_constantIbLb1EES18_IbLb0EEEEDaS14_S15_EUlS14_E_NS1_11comp_targetILNS1_3genE8ELNS1_11target_archE1030ELNS1_3gpuE2ELNS1_3repE0EEENS1_30default_config_static_selectorELNS0_4arch9wavefront6targetE1EEEvT1_
	.p2align	8
	.type	_ZN7rocprim17ROCPRIM_400000_NS6detail17trampoline_kernelINS0_14default_configENS1_25partition_config_selectorILNS1_17partition_subalgoE0EsNS0_10empty_typeEbEEZZNS1_14partition_implILS5_0ELb0ES3_jN6thrust23THRUST_200600_302600_NS6detail15normal_iteratorINSA_10device_ptrIsEEEEPS6_SG_NS0_5tupleIJSF_NSA_16discard_iteratorINSA_11use_defaultEEEEEENSH_IJSG_SG_EEES6_PlJ7is_evenIsEEEE10hipError_tPvRmT3_T4_T5_T6_T7_T9_mT8_P12ihipStream_tbDpT10_ENKUlT_T0_E_clISt17integral_constantIbLb1EES18_IbLb0EEEEDaS14_S15_EUlS14_E_NS1_11comp_targetILNS1_3genE8ELNS1_11target_archE1030ELNS1_3gpuE2ELNS1_3repE0EEENS1_30default_config_static_selectorELNS0_4arch9wavefront6targetE1EEEvT1_,@function
_ZN7rocprim17ROCPRIM_400000_NS6detail17trampoline_kernelINS0_14default_configENS1_25partition_config_selectorILNS1_17partition_subalgoE0EsNS0_10empty_typeEbEEZZNS1_14partition_implILS5_0ELb0ES3_jN6thrust23THRUST_200600_302600_NS6detail15normal_iteratorINSA_10device_ptrIsEEEEPS6_SG_NS0_5tupleIJSF_NSA_16discard_iteratorINSA_11use_defaultEEEEEENSH_IJSG_SG_EEES6_PlJ7is_evenIsEEEE10hipError_tPvRmT3_T4_T5_T6_T7_T9_mT8_P12ihipStream_tbDpT10_ENKUlT_T0_E_clISt17integral_constantIbLb1EES18_IbLb0EEEEDaS14_S15_EUlS14_E_NS1_11comp_targetILNS1_3genE8ELNS1_11target_archE1030ELNS1_3gpuE2ELNS1_3repE0EEENS1_30default_config_static_selectorELNS0_4arch9wavefront6targetE1EEEvT1_: ; @_ZN7rocprim17ROCPRIM_400000_NS6detail17trampoline_kernelINS0_14default_configENS1_25partition_config_selectorILNS1_17partition_subalgoE0EsNS0_10empty_typeEbEEZZNS1_14partition_implILS5_0ELb0ES3_jN6thrust23THRUST_200600_302600_NS6detail15normal_iteratorINSA_10device_ptrIsEEEEPS6_SG_NS0_5tupleIJSF_NSA_16discard_iteratorINSA_11use_defaultEEEEEENSH_IJSG_SG_EEES6_PlJ7is_evenIsEEEE10hipError_tPvRmT3_T4_T5_T6_T7_T9_mT8_P12ihipStream_tbDpT10_ENKUlT_T0_E_clISt17integral_constantIbLb1EES18_IbLb0EEEEDaS14_S15_EUlS14_E_NS1_11comp_targetILNS1_3genE8ELNS1_11target_archE1030ELNS1_3gpuE2ELNS1_3repE0EEENS1_30default_config_static_selectorELNS0_4arch9wavefront6targetE1EEEvT1_
; %bb.0:
	.section	.rodata,"a",@progbits
	.p2align	6, 0x0
	.amdhsa_kernel _ZN7rocprim17ROCPRIM_400000_NS6detail17trampoline_kernelINS0_14default_configENS1_25partition_config_selectorILNS1_17partition_subalgoE0EsNS0_10empty_typeEbEEZZNS1_14partition_implILS5_0ELb0ES3_jN6thrust23THRUST_200600_302600_NS6detail15normal_iteratorINSA_10device_ptrIsEEEEPS6_SG_NS0_5tupleIJSF_NSA_16discard_iteratorINSA_11use_defaultEEEEEENSH_IJSG_SG_EEES6_PlJ7is_evenIsEEEE10hipError_tPvRmT3_T4_T5_T6_T7_T9_mT8_P12ihipStream_tbDpT10_ENKUlT_T0_E_clISt17integral_constantIbLb1EES18_IbLb0EEEEDaS14_S15_EUlS14_E_NS1_11comp_targetILNS1_3genE8ELNS1_11target_archE1030ELNS1_3gpuE2ELNS1_3repE0EEENS1_30default_config_static_selectorELNS0_4arch9wavefront6targetE1EEEvT1_
		.amdhsa_group_segment_fixed_size 0
		.amdhsa_private_segment_fixed_size 0
		.amdhsa_kernarg_size 128
		.amdhsa_user_sgpr_count 2
		.amdhsa_user_sgpr_dispatch_ptr 0
		.amdhsa_user_sgpr_queue_ptr 0
		.amdhsa_user_sgpr_kernarg_segment_ptr 1
		.amdhsa_user_sgpr_dispatch_id 0
		.amdhsa_user_sgpr_kernarg_preload_length 0
		.amdhsa_user_sgpr_kernarg_preload_offset 0
		.amdhsa_user_sgpr_private_segment_size 0
		.amdhsa_uses_dynamic_stack 0
		.amdhsa_enable_private_segment 0
		.amdhsa_system_sgpr_workgroup_id_x 1
		.amdhsa_system_sgpr_workgroup_id_y 0
		.amdhsa_system_sgpr_workgroup_id_z 0
		.amdhsa_system_sgpr_workgroup_info 0
		.amdhsa_system_vgpr_workitem_id 0
		.amdhsa_next_free_vgpr 1
		.amdhsa_next_free_sgpr 0
		.amdhsa_accum_offset 4
		.amdhsa_reserve_vcc 0
		.amdhsa_float_round_mode_32 0
		.amdhsa_float_round_mode_16_64 0
		.amdhsa_float_denorm_mode_32 3
		.amdhsa_float_denorm_mode_16_64 3
		.amdhsa_dx10_clamp 1
		.amdhsa_ieee_mode 1
		.amdhsa_fp16_overflow 0
		.amdhsa_tg_split 0
		.amdhsa_exception_fp_ieee_invalid_op 0
		.amdhsa_exception_fp_denorm_src 0
		.amdhsa_exception_fp_ieee_div_zero 0
		.amdhsa_exception_fp_ieee_overflow 0
		.amdhsa_exception_fp_ieee_underflow 0
		.amdhsa_exception_fp_ieee_inexact 0
		.amdhsa_exception_int_div_zero 0
	.end_amdhsa_kernel
	.section	.text._ZN7rocprim17ROCPRIM_400000_NS6detail17trampoline_kernelINS0_14default_configENS1_25partition_config_selectorILNS1_17partition_subalgoE0EsNS0_10empty_typeEbEEZZNS1_14partition_implILS5_0ELb0ES3_jN6thrust23THRUST_200600_302600_NS6detail15normal_iteratorINSA_10device_ptrIsEEEEPS6_SG_NS0_5tupleIJSF_NSA_16discard_iteratorINSA_11use_defaultEEEEEENSH_IJSG_SG_EEES6_PlJ7is_evenIsEEEE10hipError_tPvRmT3_T4_T5_T6_T7_T9_mT8_P12ihipStream_tbDpT10_ENKUlT_T0_E_clISt17integral_constantIbLb1EES18_IbLb0EEEEDaS14_S15_EUlS14_E_NS1_11comp_targetILNS1_3genE8ELNS1_11target_archE1030ELNS1_3gpuE2ELNS1_3repE0EEENS1_30default_config_static_selectorELNS0_4arch9wavefront6targetE1EEEvT1_,"axG",@progbits,_ZN7rocprim17ROCPRIM_400000_NS6detail17trampoline_kernelINS0_14default_configENS1_25partition_config_selectorILNS1_17partition_subalgoE0EsNS0_10empty_typeEbEEZZNS1_14partition_implILS5_0ELb0ES3_jN6thrust23THRUST_200600_302600_NS6detail15normal_iteratorINSA_10device_ptrIsEEEEPS6_SG_NS0_5tupleIJSF_NSA_16discard_iteratorINSA_11use_defaultEEEEEENSH_IJSG_SG_EEES6_PlJ7is_evenIsEEEE10hipError_tPvRmT3_T4_T5_T6_T7_T9_mT8_P12ihipStream_tbDpT10_ENKUlT_T0_E_clISt17integral_constantIbLb1EES18_IbLb0EEEEDaS14_S15_EUlS14_E_NS1_11comp_targetILNS1_3genE8ELNS1_11target_archE1030ELNS1_3gpuE2ELNS1_3repE0EEENS1_30default_config_static_selectorELNS0_4arch9wavefront6targetE1EEEvT1_,comdat
.Lfunc_end2834:
	.size	_ZN7rocprim17ROCPRIM_400000_NS6detail17trampoline_kernelINS0_14default_configENS1_25partition_config_selectorILNS1_17partition_subalgoE0EsNS0_10empty_typeEbEEZZNS1_14partition_implILS5_0ELb0ES3_jN6thrust23THRUST_200600_302600_NS6detail15normal_iteratorINSA_10device_ptrIsEEEEPS6_SG_NS0_5tupleIJSF_NSA_16discard_iteratorINSA_11use_defaultEEEEEENSH_IJSG_SG_EEES6_PlJ7is_evenIsEEEE10hipError_tPvRmT3_T4_T5_T6_T7_T9_mT8_P12ihipStream_tbDpT10_ENKUlT_T0_E_clISt17integral_constantIbLb1EES18_IbLb0EEEEDaS14_S15_EUlS14_E_NS1_11comp_targetILNS1_3genE8ELNS1_11target_archE1030ELNS1_3gpuE2ELNS1_3repE0EEENS1_30default_config_static_selectorELNS0_4arch9wavefront6targetE1EEEvT1_, .Lfunc_end2834-_ZN7rocprim17ROCPRIM_400000_NS6detail17trampoline_kernelINS0_14default_configENS1_25partition_config_selectorILNS1_17partition_subalgoE0EsNS0_10empty_typeEbEEZZNS1_14partition_implILS5_0ELb0ES3_jN6thrust23THRUST_200600_302600_NS6detail15normal_iteratorINSA_10device_ptrIsEEEEPS6_SG_NS0_5tupleIJSF_NSA_16discard_iteratorINSA_11use_defaultEEEEEENSH_IJSG_SG_EEES6_PlJ7is_evenIsEEEE10hipError_tPvRmT3_T4_T5_T6_T7_T9_mT8_P12ihipStream_tbDpT10_ENKUlT_T0_E_clISt17integral_constantIbLb1EES18_IbLb0EEEEDaS14_S15_EUlS14_E_NS1_11comp_targetILNS1_3genE8ELNS1_11target_archE1030ELNS1_3gpuE2ELNS1_3repE0EEENS1_30default_config_static_selectorELNS0_4arch9wavefront6targetE1EEEvT1_
                                        ; -- End function
	.section	.AMDGPU.csdata,"",@progbits
; Kernel info:
; codeLenInByte = 0
; NumSgprs: 6
; NumVgprs: 0
; NumAgprs: 0
; TotalNumVgprs: 0
; ScratchSize: 0
; MemoryBound: 0
; FloatMode: 240
; IeeeMode: 1
; LDSByteSize: 0 bytes/workgroup (compile time only)
; SGPRBlocks: 0
; VGPRBlocks: 0
; NumSGPRsForWavesPerEU: 6
; NumVGPRsForWavesPerEU: 1
; AccumOffset: 4
; Occupancy: 8
; WaveLimiterHint : 0
; COMPUTE_PGM_RSRC2:SCRATCH_EN: 0
; COMPUTE_PGM_RSRC2:USER_SGPR: 2
; COMPUTE_PGM_RSRC2:TRAP_HANDLER: 0
; COMPUTE_PGM_RSRC2:TGID_X_EN: 1
; COMPUTE_PGM_RSRC2:TGID_Y_EN: 0
; COMPUTE_PGM_RSRC2:TGID_Z_EN: 0
; COMPUTE_PGM_RSRC2:TIDIG_COMP_CNT: 0
; COMPUTE_PGM_RSRC3_GFX90A:ACCUM_OFFSET: 0
; COMPUTE_PGM_RSRC3_GFX90A:TG_SPLIT: 0
	.section	.text._ZN7rocprim17ROCPRIM_400000_NS6detail17trampoline_kernelINS0_14default_configENS1_25partition_config_selectorILNS1_17partition_subalgoE0EsNS0_10empty_typeEbEEZZNS1_14partition_implILS5_0ELb0ES3_jN6thrust23THRUST_200600_302600_NS6detail15normal_iteratorINSA_10device_ptrIsEEEEPS6_SG_NS0_5tupleIJSF_NSA_16discard_iteratorINSA_11use_defaultEEEEEENSH_IJSG_SG_EEES6_PlJ7is_evenIsEEEE10hipError_tPvRmT3_T4_T5_T6_T7_T9_mT8_P12ihipStream_tbDpT10_ENKUlT_T0_E_clISt17integral_constantIbLb0EES18_IbLb1EEEEDaS14_S15_EUlS14_E_NS1_11comp_targetILNS1_3genE0ELNS1_11target_archE4294967295ELNS1_3gpuE0ELNS1_3repE0EEENS1_30default_config_static_selectorELNS0_4arch9wavefront6targetE1EEEvT1_,"axG",@progbits,_ZN7rocprim17ROCPRIM_400000_NS6detail17trampoline_kernelINS0_14default_configENS1_25partition_config_selectorILNS1_17partition_subalgoE0EsNS0_10empty_typeEbEEZZNS1_14partition_implILS5_0ELb0ES3_jN6thrust23THRUST_200600_302600_NS6detail15normal_iteratorINSA_10device_ptrIsEEEEPS6_SG_NS0_5tupleIJSF_NSA_16discard_iteratorINSA_11use_defaultEEEEEENSH_IJSG_SG_EEES6_PlJ7is_evenIsEEEE10hipError_tPvRmT3_T4_T5_T6_T7_T9_mT8_P12ihipStream_tbDpT10_ENKUlT_T0_E_clISt17integral_constantIbLb0EES18_IbLb1EEEEDaS14_S15_EUlS14_E_NS1_11comp_targetILNS1_3genE0ELNS1_11target_archE4294967295ELNS1_3gpuE0ELNS1_3repE0EEENS1_30default_config_static_selectorELNS0_4arch9wavefront6targetE1EEEvT1_,comdat
	.protected	_ZN7rocprim17ROCPRIM_400000_NS6detail17trampoline_kernelINS0_14default_configENS1_25partition_config_selectorILNS1_17partition_subalgoE0EsNS0_10empty_typeEbEEZZNS1_14partition_implILS5_0ELb0ES3_jN6thrust23THRUST_200600_302600_NS6detail15normal_iteratorINSA_10device_ptrIsEEEEPS6_SG_NS0_5tupleIJSF_NSA_16discard_iteratorINSA_11use_defaultEEEEEENSH_IJSG_SG_EEES6_PlJ7is_evenIsEEEE10hipError_tPvRmT3_T4_T5_T6_T7_T9_mT8_P12ihipStream_tbDpT10_ENKUlT_T0_E_clISt17integral_constantIbLb0EES18_IbLb1EEEEDaS14_S15_EUlS14_E_NS1_11comp_targetILNS1_3genE0ELNS1_11target_archE4294967295ELNS1_3gpuE0ELNS1_3repE0EEENS1_30default_config_static_selectorELNS0_4arch9wavefront6targetE1EEEvT1_ ; -- Begin function _ZN7rocprim17ROCPRIM_400000_NS6detail17trampoline_kernelINS0_14default_configENS1_25partition_config_selectorILNS1_17partition_subalgoE0EsNS0_10empty_typeEbEEZZNS1_14partition_implILS5_0ELb0ES3_jN6thrust23THRUST_200600_302600_NS6detail15normal_iteratorINSA_10device_ptrIsEEEEPS6_SG_NS0_5tupleIJSF_NSA_16discard_iteratorINSA_11use_defaultEEEEEENSH_IJSG_SG_EEES6_PlJ7is_evenIsEEEE10hipError_tPvRmT3_T4_T5_T6_T7_T9_mT8_P12ihipStream_tbDpT10_ENKUlT_T0_E_clISt17integral_constantIbLb0EES18_IbLb1EEEEDaS14_S15_EUlS14_E_NS1_11comp_targetILNS1_3genE0ELNS1_11target_archE4294967295ELNS1_3gpuE0ELNS1_3repE0EEENS1_30default_config_static_selectorELNS0_4arch9wavefront6targetE1EEEvT1_
	.globl	_ZN7rocprim17ROCPRIM_400000_NS6detail17trampoline_kernelINS0_14default_configENS1_25partition_config_selectorILNS1_17partition_subalgoE0EsNS0_10empty_typeEbEEZZNS1_14partition_implILS5_0ELb0ES3_jN6thrust23THRUST_200600_302600_NS6detail15normal_iteratorINSA_10device_ptrIsEEEEPS6_SG_NS0_5tupleIJSF_NSA_16discard_iteratorINSA_11use_defaultEEEEEENSH_IJSG_SG_EEES6_PlJ7is_evenIsEEEE10hipError_tPvRmT3_T4_T5_T6_T7_T9_mT8_P12ihipStream_tbDpT10_ENKUlT_T0_E_clISt17integral_constantIbLb0EES18_IbLb1EEEEDaS14_S15_EUlS14_E_NS1_11comp_targetILNS1_3genE0ELNS1_11target_archE4294967295ELNS1_3gpuE0ELNS1_3repE0EEENS1_30default_config_static_selectorELNS0_4arch9wavefront6targetE1EEEvT1_
	.p2align	8
	.type	_ZN7rocprim17ROCPRIM_400000_NS6detail17trampoline_kernelINS0_14default_configENS1_25partition_config_selectorILNS1_17partition_subalgoE0EsNS0_10empty_typeEbEEZZNS1_14partition_implILS5_0ELb0ES3_jN6thrust23THRUST_200600_302600_NS6detail15normal_iteratorINSA_10device_ptrIsEEEEPS6_SG_NS0_5tupleIJSF_NSA_16discard_iteratorINSA_11use_defaultEEEEEENSH_IJSG_SG_EEES6_PlJ7is_evenIsEEEE10hipError_tPvRmT3_T4_T5_T6_T7_T9_mT8_P12ihipStream_tbDpT10_ENKUlT_T0_E_clISt17integral_constantIbLb0EES18_IbLb1EEEEDaS14_S15_EUlS14_E_NS1_11comp_targetILNS1_3genE0ELNS1_11target_archE4294967295ELNS1_3gpuE0ELNS1_3repE0EEENS1_30default_config_static_selectorELNS0_4arch9wavefront6targetE1EEEvT1_,@function
_ZN7rocprim17ROCPRIM_400000_NS6detail17trampoline_kernelINS0_14default_configENS1_25partition_config_selectorILNS1_17partition_subalgoE0EsNS0_10empty_typeEbEEZZNS1_14partition_implILS5_0ELb0ES3_jN6thrust23THRUST_200600_302600_NS6detail15normal_iteratorINSA_10device_ptrIsEEEEPS6_SG_NS0_5tupleIJSF_NSA_16discard_iteratorINSA_11use_defaultEEEEEENSH_IJSG_SG_EEES6_PlJ7is_evenIsEEEE10hipError_tPvRmT3_T4_T5_T6_T7_T9_mT8_P12ihipStream_tbDpT10_ENKUlT_T0_E_clISt17integral_constantIbLb0EES18_IbLb1EEEEDaS14_S15_EUlS14_E_NS1_11comp_targetILNS1_3genE0ELNS1_11target_archE4294967295ELNS1_3gpuE0ELNS1_3repE0EEENS1_30default_config_static_selectorELNS0_4arch9wavefront6targetE1EEEvT1_: ; @_ZN7rocprim17ROCPRIM_400000_NS6detail17trampoline_kernelINS0_14default_configENS1_25partition_config_selectorILNS1_17partition_subalgoE0EsNS0_10empty_typeEbEEZZNS1_14partition_implILS5_0ELb0ES3_jN6thrust23THRUST_200600_302600_NS6detail15normal_iteratorINSA_10device_ptrIsEEEEPS6_SG_NS0_5tupleIJSF_NSA_16discard_iteratorINSA_11use_defaultEEEEEENSH_IJSG_SG_EEES6_PlJ7is_evenIsEEEE10hipError_tPvRmT3_T4_T5_T6_T7_T9_mT8_P12ihipStream_tbDpT10_ENKUlT_T0_E_clISt17integral_constantIbLb0EES18_IbLb1EEEEDaS14_S15_EUlS14_E_NS1_11comp_targetILNS1_3genE0ELNS1_11target_archE4294967295ELNS1_3gpuE0ELNS1_3repE0EEENS1_30default_config_static_selectorELNS0_4arch9wavefront6targetE1EEEvT1_
; %bb.0:
	.section	.rodata,"a",@progbits
	.p2align	6, 0x0
	.amdhsa_kernel _ZN7rocprim17ROCPRIM_400000_NS6detail17trampoline_kernelINS0_14default_configENS1_25partition_config_selectorILNS1_17partition_subalgoE0EsNS0_10empty_typeEbEEZZNS1_14partition_implILS5_0ELb0ES3_jN6thrust23THRUST_200600_302600_NS6detail15normal_iteratorINSA_10device_ptrIsEEEEPS6_SG_NS0_5tupleIJSF_NSA_16discard_iteratorINSA_11use_defaultEEEEEENSH_IJSG_SG_EEES6_PlJ7is_evenIsEEEE10hipError_tPvRmT3_T4_T5_T6_T7_T9_mT8_P12ihipStream_tbDpT10_ENKUlT_T0_E_clISt17integral_constantIbLb0EES18_IbLb1EEEEDaS14_S15_EUlS14_E_NS1_11comp_targetILNS1_3genE0ELNS1_11target_archE4294967295ELNS1_3gpuE0ELNS1_3repE0EEENS1_30default_config_static_selectorELNS0_4arch9wavefront6targetE1EEEvT1_
		.amdhsa_group_segment_fixed_size 0
		.amdhsa_private_segment_fixed_size 0
		.amdhsa_kernarg_size 144
		.amdhsa_user_sgpr_count 2
		.amdhsa_user_sgpr_dispatch_ptr 0
		.amdhsa_user_sgpr_queue_ptr 0
		.amdhsa_user_sgpr_kernarg_segment_ptr 1
		.amdhsa_user_sgpr_dispatch_id 0
		.amdhsa_user_sgpr_kernarg_preload_length 0
		.amdhsa_user_sgpr_kernarg_preload_offset 0
		.amdhsa_user_sgpr_private_segment_size 0
		.amdhsa_uses_dynamic_stack 0
		.amdhsa_enable_private_segment 0
		.amdhsa_system_sgpr_workgroup_id_x 1
		.amdhsa_system_sgpr_workgroup_id_y 0
		.amdhsa_system_sgpr_workgroup_id_z 0
		.amdhsa_system_sgpr_workgroup_info 0
		.amdhsa_system_vgpr_workitem_id 0
		.amdhsa_next_free_vgpr 1
		.amdhsa_next_free_sgpr 0
		.amdhsa_accum_offset 4
		.amdhsa_reserve_vcc 0
		.amdhsa_float_round_mode_32 0
		.amdhsa_float_round_mode_16_64 0
		.amdhsa_float_denorm_mode_32 3
		.amdhsa_float_denorm_mode_16_64 3
		.amdhsa_dx10_clamp 1
		.amdhsa_ieee_mode 1
		.amdhsa_fp16_overflow 0
		.amdhsa_tg_split 0
		.amdhsa_exception_fp_ieee_invalid_op 0
		.amdhsa_exception_fp_denorm_src 0
		.amdhsa_exception_fp_ieee_div_zero 0
		.amdhsa_exception_fp_ieee_overflow 0
		.amdhsa_exception_fp_ieee_underflow 0
		.amdhsa_exception_fp_ieee_inexact 0
		.amdhsa_exception_int_div_zero 0
	.end_amdhsa_kernel
	.section	.text._ZN7rocprim17ROCPRIM_400000_NS6detail17trampoline_kernelINS0_14default_configENS1_25partition_config_selectorILNS1_17partition_subalgoE0EsNS0_10empty_typeEbEEZZNS1_14partition_implILS5_0ELb0ES3_jN6thrust23THRUST_200600_302600_NS6detail15normal_iteratorINSA_10device_ptrIsEEEEPS6_SG_NS0_5tupleIJSF_NSA_16discard_iteratorINSA_11use_defaultEEEEEENSH_IJSG_SG_EEES6_PlJ7is_evenIsEEEE10hipError_tPvRmT3_T4_T5_T6_T7_T9_mT8_P12ihipStream_tbDpT10_ENKUlT_T0_E_clISt17integral_constantIbLb0EES18_IbLb1EEEEDaS14_S15_EUlS14_E_NS1_11comp_targetILNS1_3genE0ELNS1_11target_archE4294967295ELNS1_3gpuE0ELNS1_3repE0EEENS1_30default_config_static_selectorELNS0_4arch9wavefront6targetE1EEEvT1_,"axG",@progbits,_ZN7rocprim17ROCPRIM_400000_NS6detail17trampoline_kernelINS0_14default_configENS1_25partition_config_selectorILNS1_17partition_subalgoE0EsNS0_10empty_typeEbEEZZNS1_14partition_implILS5_0ELb0ES3_jN6thrust23THRUST_200600_302600_NS6detail15normal_iteratorINSA_10device_ptrIsEEEEPS6_SG_NS0_5tupleIJSF_NSA_16discard_iteratorINSA_11use_defaultEEEEEENSH_IJSG_SG_EEES6_PlJ7is_evenIsEEEE10hipError_tPvRmT3_T4_T5_T6_T7_T9_mT8_P12ihipStream_tbDpT10_ENKUlT_T0_E_clISt17integral_constantIbLb0EES18_IbLb1EEEEDaS14_S15_EUlS14_E_NS1_11comp_targetILNS1_3genE0ELNS1_11target_archE4294967295ELNS1_3gpuE0ELNS1_3repE0EEENS1_30default_config_static_selectorELNS0_4arch9wavefront6targetE1EEEvT1_,comdat
.Lfunc_end2835:
	.size	_ZN7rocprim17ROCPRIM_400000_NS6detail17trampoline_kernelINS0_14default_configENS1_25partition_config_selectorILNS1_17partition_subalgoE0EsNS0_10empty_typeEbEEZZNS1_14partition_implILS5_0ELb0ES3_jN6thrust23THRUST_200600_302600_NS6detail15normal_iteratorINSA_10device_ptrIsEEEEPS6_SG_NS0_5tupleIJSF_NSA_16discard_iteratorINSA_11use_defaultEEEEEENSH_IJSG_SG_EEES6_PlJ7is_evenIsEEEE10hipError_tPvRmT3_T4_T5_T6_T7_T9_mT8_P12ihipStream_tbDpT10_ENKUlT_T0_E_clISt17integral_constantIbLb0EES18_IbLb1EEEEDaS14_S15_EUlS14_E_NS1_11comp_targetILNS1_3genE0ELNS1_11target_archE4294967295ELNS1_3gpuE0ELNS1_3repE0EEENS1_30default_config_static_selectorELNS0_4arch9wavefront6targetE1EEEvT1_, .Lfunc_end2835-_ZN7rocprim17ROCPRIM_400000_NS6detail17trampoline_kernelINS0_14default_configENS1_25partition_config_selectorILNS1_17partition_subalgoE0EsNS0_10empty_typeEbEEZZNS1_14partition_implILS5_0ELb0ES3_jN6thrust23THRUST_200600_302600_NS6detail15normal_iteratorINSA_10device_ptrIsEEEEPS6_SG_NS0_5tupleIJSF_NSA_16discard_iteratorINSA_11use_defaultEEEEEENSH_IJSG_SG_EEES6_PlJ7is_evenIsEEEE10hipError_tPvRmT3_T4_T5_T6_T7_T9_mT8_P12ihipStream_tbDpT10_ENKUlT_T0_E_clISt17integral_constantIbLb0EES18_IbLb1EEEEDaS14_S15_EUlS14_E_NS1_11comp_targetILNS1_3genE0ELNS1_11target_archE4294967295ELNS1_3gpuE0ELNS1_3repE0EEENS1_30default_config_static_selectorELNS0_4arch9wavefront6targetE1EEEvT1_
                                        ; -- End function
	.section	.AMDGPU.csdata,"",@progbits
; Kernel info:
; codeLenInByte = 0
; NumSgprs: 6
; NumVgprs: 0
; NumAgprs: 0
; TotalNumVgprs: 0
; ScratchSize: 0
; MemoryBound: 0
; FloatMode: 240
; IeeeMode: 1
; LDSByteSize: 0 bytes/workgroup (compile time only)
; SGPRBlocks: 0
; VGPRBlocks: 0
; NumSGPRsForWavesPerEU: 6
; NumVGPRsForWavesPerEU: 1
; AccumOffset: 4
; Occupancy: 8
; WaveLimiterHint : 0
; COMPUTE_PGM_RSRC2:SCRATCH_EN: 0
; COMPUTE_PGM_RSRC2:USER_SGPR: 2
; COMPUTE_PGM_RSRC2:TRAP_HANDLER: 0
; COMPUTE_PGM_RSRC2:TGID_X_EN: 1
; COMPUTE_PGM_RSRC2:TGID_Y_EN: 0
; COMPUTE_PGM_RSRC2:TGID_Z_EN: 0
; COMPUTE_PGM_RSRC2:TIDIG_COMP_CNT: 0
; COMPUTE_PGM_RSRC3_GFX90A:ACCUM_OFFSET: 0
; COMPUTE_PGM_RSRC3_GFX90A:TG_SPLIT: 0
	.section	.text._ZN7rocprim17ROCPRIM_400000_NS6detail17trampoline_kernelINS0_14default_configENS1_25partition_config_selectorILNS1_17partition_subalgoE0EsNS0_10empty_typeEbEEZZNS1_14partition_implILS5_0ELb0ES3_jN6thrust23THRUST_200600_302600_NS6detail15normal_iteratorINSA_10device_ptrIsEEEEPS6_SG_NS0_5tupleIJSF_NSA_16discard_iteratorINSA_11use_defaultEEEEEENSH_IJSG_SG_EEES6_PlJ7is_evenIsEEEE10hipError_tPvRmT3_T4_T5_T6_T7_T9_mT8_P12ihipStream_tbDpT10_ENKUlT_T0_E_clISt17integral_constantIbLb0EES18_IbLb1EEEEDaS14_S15_EUlS14_E_NS1_11comp_targetILNS1_3genE5ELNS1_11target_archE942ELNS1_3gpuE9ELNS1_3repE0EEENS1_30default_config_static_selectorELNS0_4arch9wavefront6targetE1EEEvT1_,"axG",@progbits,_ZN7rocprim17ROCPRIM_400000_NS6detail17trampoline_kernelINS0_14default_configENS1_25partition_config_selectorILNS1_17partition_subalgoE0EsNS0_10empty_typeEbEEZZNS1_14partition_implILS5_0ELb0ES3_jN6thrust23THRUST_200600_302600_NS6detail15normal_iteratorINSA_10device_ptrIsEEEEPS6_SG_NS0_5tupleIJSF_NSA_16discard_iteratorINSA_11use_defaultEEEEEENSH_IJSG_SG_EEES6_PlJ7is_evenIsEEEE10hipError_tPvRmT3_T4_T5_T6_T7_T9_mT8_P12ihipStream_tbDpT10_ENKUlT_T0_E_clISt17integral_constantIbLb0EES18_IbLb1EEEEDaS14_S15_EUlS14_E_NS1_11comp_targetILNS1_3genE5ELNS1_11target_archE942ELNS1_3gpuE9ELNS1_3repE0EEENS1_30default_config_static_selectorELNS0_4arch9wavefront6targetE1EEEvT1_,comdat
	.protected	_ZN7rocprim17ROCPRIM_400000_NS6detail17trampoline_kernelINS0_14default_configENS1_25partition_config_selectorILNS1_17partition_subalgoE0EsNS0_10empty_typeEbEEZZNS1_14partition_implILS5_0ELb0ES3_jN6thrust23THRUST_200600_302600_NS6detail15normal_iteratorINSA_10device_ptrIsEEEEPS6_SG_NS0_5tupleIJSF_NSA_16discard_iteratorINSA_11use_defaultEEEEEENSH_IJSG_SG_EEES6_PlJ7is_evenIsEEEE10hipError_tPvRmT3_T4_T5_T6_T7_T9_mT8_P12ihipStream_tbDpT10_ENKUlT_T0_E_clISt17integral_constantIbLb0EES18_IbLb1EEEEDaS14_S15_EUlS14_E_NS1_11comp_targetILNS1_3genE5ELNS1_11target_archE942ELNS1_3gpuE9ELNS1_3repE0EEENS1_30default_config_static_selectorELNS0_4arch9wavefront6targetE1EEEvT1_ ; -- Begin function _ZN7rocprim17ROCPRIM_400000_NS6detail17trampoline_kernelINS0_14default_configENS1_25partition_config_selectorILNS1_17partition_subalgoE0EsNS0_10empty_typeEbEEZZNS1_14partition_implILS5_0ELb0ES3_jN6thrust23THRUST_200600_302600_NS6detail15normal_iteratorINSA_10device_ptrIsEEEEPS6_SG_NS0_5tupleIJSF_NSA_16discard_iteratorINSA_11use_defaultEEEEEENSH_IJSG_SG_EEES6_PlJ7is_evenIsEEEE10hipError_tPvRmT3_T4_T5_T6_T7_T9_mT8_P12ihipStream_tbDpT10_ENKUlT_T0_E_clISt17integral_constantIbLb0EES18_IbLb1EEEEDaS14_S15_EUlS14_E_NS1_11comp_targetILNS1_3genE5ELNS1_11target_archE942ELNS1_3gpuE9ELNS1_3repE0EEENS1_30default_config_static_selectorELNS0_4arch9wavefront6targetE1EEEvT1_
	.globl	_ZN7rocprim17ROCPRIM_400000_NS6detail17trampoline_kernelINS0_14default_configENS1_25partition_config_selectorILNS1_17partition_subalgoE0EsNS0_10empty_typeEbEEZZNS1_14partition_implILS5_0ELb0ES3_jN6thrust23THRUST_200600_302600_NS6detail15normal_iteratorINSA_10device_ptrIsEEEEPS6_SG_NS0_5tupleIJSF_NSA_16discard_iteratorINSA_11use_defaultEEEEEENSH_IJSG_SG_EEES6_PlJ7is_evenIsEEEE10hipError_tPvRmT3_T4_T5_T6_T7_T9_mT8_P12ihipStream_tbDpT10_ENKUlT_T0_E_clISt17integral_constantIbLb0EES18_IbLb1EEEEDaS14_S15_EUlS14_E_NS1_11comp_targetILNS1_3genE5ELNS1_11target_archE942ELNS1_3gpuE9ELNS1_3repE0EEENS1_30default_config_static_selectorELNS0_4arch9wavefront6targetE1EEEvT1_
	.p2align	8
	.type	_ZN7rocprim17ROCPRIM_400000_NS6detail17trampoline_kernelINS0_14default_configENS1_25partition_config_selectorILNS1_17partition_subalgoE0EsNS0_10empty_typeEbEEZZNS1_14partition_implILS5_0ELb0ES3_jN6thrust23THRUST_200600_302600_NS6detail15normal_iteratorINSA_10device_ptrIsEEEEPS6_SG_NS0_5tupleIJSF_NSA_16discard_iteratorINSA_11use_defaultEEEEEENSH_IJSG_SG_EEES6_PlJ7is_evenIsEEEE10hipError_tPvRmT3_T4_T5_T6_T7_T9_mT8_P12ihipStream_tbDpT10_ENKUlT_T0_E_clISt17integral_constantIbLb0EES18_IbLb1EEEEDaS14_S15_EUlS14_E_NS1_11comp_targetILNS1_3genE5ELNS1_11target_archE942ELNS1_3gpuE9ELNS1_3repE0EEENS1_30default_config_static_selectorELNS0_4arch9wavefront6targetE1EEEvT1_,@function
_ZN7rocprim17ROCPRIM_400000_NS6detail17trampoline_kernelINS0_14default_configENS1_25partition_config_selectorILNS1_17partition_subalgoE0EsNS0_10empty_typeEbEEZZNS1_14partition_implILS5_0ELb0ES3_jN6thrust23THRUST_200600_302600_NS6detail15normal_iteratorINSA_10device_ptrIsEEEEPS6_SG_NS0_5tupleIJSF_NSA_16discard_iteratorINSA_11use_defaultEEEEEENSH_IJSG_SG_EEES6_PlJ7is_evenIsEEEE10hipError_tPvRmT3_T4_T5_T6_T7_T9_mT8_P12ihipStream_tbDpT10_ENKUlT_T0_E_clISt17integral_constantIbLb0EES18_IbLb1EEEEDaS14_S15_EUlS14_E_NS1_11comp_targetILNS1_3genE5ELNS1_11target_archE942ELNS1_3gpuE9ELNS1_3repE0EEENS1_30default_config_static_selectorELNS0_4arch9wavefront6targetE1EEEvT1_: ; @_ZN7rocprim17ROCPRIM_400000_NS6detail17trampoline_kernelINS0_14default_configENS1_25partition_config_selectorILNS1_17partition_subalgoE0EsNS0_10empty_typeEbEEZZNS1_14partition_implILS5_0ELb0ES3_jN6thrust23THRUST_200600_302600_NS6detail15normal_iteratorINSA_10device_ptrIsEEEEPS6_SG_NS0_5tupleIJSF_NSA_16discard_iteratorINSA_11use_defaultEEEEEENSH_IJSG_SG_EEES6_PlJ7is_evenIsEEEE10hipError_tPvRmT3_T4_T5_T6_T7_T9_mT8_P12ihipStream_tbDpT10_ENKUlT_T0_E_clISt17integral_constantIbLb0EES18_IbLb1EEEEDaS14_S15_EUlS14_E_NS1_11comp_targetILNS1_3genE5ELNS1_11target_archE942ELNS1_3gpuE9ELNS1_3repE0EEENS1_30default_config_static_selectorELNS0_4arch9wavefront6targetE1EEEvT1_
; %bb.0:
	s_load_dwordx2 s[2:3], s[0:1], 0x60
	s_load_dwordx4 s[24:27], s[0:1], 0x50
	s_load_dwordx2 s[30:31], s[0:1], 0x70
	v_cmp_eq_u32_e64 s[20:21], 0, v0
	s_and_saveexec_b64 s[4:5], s[20:21]
	s_cbranch_execz .LBB2836_4
; %bb.1:
	s_mov_b64 s[8:9], exec
	v_mbcnt_lo_u32_b32 v1, s8, 0
	v_mbcnt_hi_u32_b32 v1, s9, v1
	v_cmp_eq_u32_e32 vcc, 0, v1
                                        ; implicit-def: $vgpr2
	s_and_saveexec_b64 s[6:7], vcc
	s_cbranch_execz .LBB2836_3
; %bb.2:
	s_load_dwordx2 s[10:11], s[0:1], 0x80
	s_bcnt1_i32_b64 s8, s[8:9]
	v_mov_b32_e32 v2, 0
	v_mov_b32_e32 v3, s8
	s_waitcnt lgkmcnt(0)
	global_atomic_add v2, v2, v3, s[10:11] sc0
.LBB2836_3:
	s_or_b64 exec, exec, s[6:7]
	s_waitcnt vmcnt(0)
	v_readfirstlane_b32 s6, v2
	v_mov_b32_e32 v2, 0
	s_nop 0
	v_add_u32_e32 v1, s6, v1
	ds_write_b32 v2, v1
.LBB2836_4:
	s_or_b64 exec, exec, s[4:5]
	v_mov_b32_e32 v5, 0
	s_load_dwordx4 s[4:7], s[0:1], 0x8
	s_load_dwordx2 s[28:29], s[0:1], 0x28
	s_load_dword s8, s[0:1], 0x78
	s_waitcnt lgkmcnt(0)
	s_barrier
	ds_read_b32 v1, v5
	s_waitcnt lgkmcnt(0)
	s_barrier
	global_load_dwordx2 v[2:3], v5, s[26:27]
	s_lshl_b64 s[0:1], s[6:7], 1
	s_add_u32 s4, s4, s0
	s_movk_i32 s0, 0x3c00
	v_mul_lo_u32 v4, v1, s0
	s_mul_i32 s0, s8, 0x3c00
	s_addc_u32 s5, s5, s1
	s_add_i32 s1, s0, s6
	v_mov_b32_e32 v7, s3
	s_add_i32 s3, s8, -1
	s_sub_i32 s33, s2, s1
	s_add_u32 s0, s6, s0
	v_readfirstlane_b32 s36, v1
	s_addc_u32 s1, s7, 0
	s_cmp_eq_u32 s36, s3
	v_mov_b32_e32 v6, s2
	s_cselect_b64 s[22:23], -1, 0
	s_cmp_lg_u32 s36, s3
	v_cmp_lt_u64_e32 vcc, s[0:1], v[6:7]
	s_cselect_b64 s[0:1], -1, 0
	s_or_b64 s[0:1], vcc, s[0:1]
	v_lshlrev_b64 v[6:7], 1, v[4:5]
	v_lshl_add_u64 v[6:7], s[4:5], 0, v[6:7]
	s_mov_b64 s[2:3], -1
	s_and_b64 vcc, exec, s[0:1]
	v_lshlrev_b32_e32 v4, 1, v0
	s_cbranch_vccz .LBB2836_6
; %bb.5:
	v_lshl_add_u64 v[8:9], v[6:7], 0, v[4:5]
	v_add_co_u32_e32 v10, vcc, 0x1000, v8
	s_mov_b64 s[2:3], 0
	s_nop 0
	v_addc_co_u32_e32 v11, vcc, 0, v9, vcc
	flat_load_ushort v1, v[8:9]
	flat_load_ushort v5, v[8:9] offset:1024
	flat_load_ushort v14, v[8:9] offset:2048
	flat_load_ushort v15, v[8:9] offset:3072
	flat_load_ushort v16, v[10:11]
	flat_load_ushort v17, v[10:11] offset:1024
	flat_load_ushort v18, v[10:11] offset:2048
	flat_load_ushort v19, v[10:11] offset:3072
	v_add_co_u32_e32 v10, vcc, 0x2000, v8
	s_nop 1
	v_addc_co_u32_e32 v11, vcc, 0, v9, vcc
	v_add_co_u32_e32 v12, vcc, 0x3000, v8
	s_nop 1
	v_addc_co_u32_e32 v13, vcc, 0, v9, vcc
	flat_load_ushort v20, v[10:11]
	flat_load_ushort v21, v[10:11] offset:1024
	flat_load_ushort v22, v[10:11] offset:2048
	flat_load_ushort v23, v[10:11] offset:3072
	flat_load_ushort v24, v[12:13]
	flat_load_ushort v25, v[12:13] offset:1024
	flat_load_ushort v26, v[12:13] offset:2048
	flat_load_ushort v27, v[12:13] offset:3072
	v_add_co_u32_e32 v10, vcc, 0x4000, v8
	s_nop 1
	v_addc_co_u32_e32 v11, vcc, 0, v9, vcc
	v_add_co_u32_e32 v12, vcc, 0x5000, v8
	;; [unrolled: 14-line block ×3, first 2 shown]
	s_nop 1
	v_addc_co_u32_e32 v9, vcc, 0, v9, vcc
	flat_load_ushort v12, v[10:11]
	flat_load_ushort v13, v[10:11] offset:1024
	flat_load_ushort v36, v[10:11] offset:2048
	;; [unrolled: 1-line block ×3, first 2 shown]
	flat_load_ushort v38, v[8:9]
	flat_load_ushort v39, v[8:9] offset:1024
	s_waitcnt vmcnt(0) lgkmcnt(0)
	ds_write_b16 v4, v1
	ds_write_b16 v4, v5 offset:1024
	ds_write_b16 v4, v14 offset:2048
	;; [unrolled: 1-line block ×29, first 2 shown]
	s_waitcnt lgkmcnt(0)
	s_barrier
.LBB2836_6:
	s_andn2_b64 vcc, exec, s[2:3]
	s_addk_i32 s33, 0x3c00
	s_cbranch_vccnz .LBB2836_68
; %bb.7:
	v_cmp_gt_u32_e32 vcc, s33, v0
                                        ; implicit-def: $vgpr1
	s_and_saveexec_b64 s[2:3], vcc
	s_cbranch_execz .LBB2836_9
; %bb.8:
	v_mov_b32_e32 v5, 0
	v_lshl_add_u64 v[8:9], v[6:7], 0, v[4:5]
	flat_load_ushort v1, v[8:9]
.LBB2836_9:
	s_or_b64 exec, exec, s[2:3]
	v_or_b32_e32 v5, 0x200, v0
	v_cmp_gt_u32_e32 vcc, s33, v5
                                        ; implicit-def: $vgpr8
	s_and_saveexec_b64 s[2:3], vcc
	s_cbranch_execz .LBB2836_11
; %bb.10:
	v_mov_b32_e32 v5, 0
	v_lshl_add_u64 v[8:9], v[6:7], 0, v[4:5]
	flat_load_ushort v8, v[8:9] offset:1024
.LBB2836_11:
	s_or_b64 exec, exec, s[2:3]
	v_or_b32_e32 v5, 0x400, v0
	v_cmp_gt_u32_e32 vcc, s33, v5
                                        ; implicit-def: $vgpr9
	s_and_saveexec_b64 s[2:3], vcc
	s_cbranch_execz .LBB2836_13
; %bb.12:
	v_mov_b32_e32 v5, 0
	v_lshl_add_u64 v[10:11], v[6:7], 0, v[4:5]
	flat_load_ushort v9, v[10:11] offset:2048
.LBB2836_13:
	s_or_b64 exec, exec, s[2:3]
	v_or_b32_e32 v5, 0x600, v0
	v_cmp_gt_u32_e32 vcc, s33, v5
                                        ; implicit-def: $vgpr5
	s_and_saveexec_b64 s[2:3], vcc
	s_cbranch_execz .LBB2836_15
; %bb.14:
	v_mov_b32_e32 v5, 0
	v_lshl_add_u64 v[10:11], v[6:7], 0, v[4:5]
	flat_load_ushort v5, v[10:11] offset:3072
.LBB2836_15:
	s_or_b64 exec, exec, s[2:3]
	v_or_b32_e32 v11, 0x800, v0
	v_cmp_gt_u32_e32 vcc, s33, v11
                                        ; implicit-def: $vgpr10
	s_and_saveexec_b64 s[2:3], vcc
	s_cbranch_execz .LBB2836_17
; %bb.16:
	v_lshlrev_b32_e32 v10, 1, v11
	v_mov_b32_e32 v11, 0
	v_lshl_add_u64 v[10:11], v[6:7], 0, v[10:11]
	flat_load_ushort v10, v[10:11]
.LBB2836_17:
	s_or_b64 exec, exec, s[2:3]
	v_or_b32_e32 v12, 0xa00, v0
	v_cmp_gt_u32_e32 vcc, s33, v12
                                        ; implicit-def: $vgpr11
	s_and_saveexec_b64 s[2:3], vcc
	s_cbranch_execz .LBB2836_19
; %bb.18:
	v_lshlrev_b32_e32 v12, 1, v12
	v_mov_b32_e32 v13, 0
	v_lshl_add_u64 v[12:13], v[6:7], 0, v[12:13]
	flat_load_ushort v11, v[12:13]
.LBB2836_19:
	s_or_b64 exec, exec, s[2:3]
	v_or_b32_e32 v13, 0xc00, v0
	v_cmp_gt_u32_e32 vcc, s33, v13
                                        ; implicit-def: $vgpr12
	s_and_saveexec_b64 s[2:3], vcc
	s_cbranch_execz .LBB2836_21
; %bb.20:
	v_lshlrev_b32_e32 v12, 1, v13
	v_mov_b32_e32 v13, 0
	v_lshl_add_u64 v[12:13], v[6:7], 0, v[12:13]
	flat_load_ushort v12, v[12:13]
.LBB2836_21:
	s_or_b64 exec, exec, s[2:3]
	v_or_b32_e32 v14, 0xe00, v0
	v_cmp_gt_u32_e32 vcc, s33, v14
                                        ; implicit-def: $vgpr13
	s_and_saveexec_b64 s[2:3], vcc
	s_cbranch_execz .LBB2836_23
; %bb.22:
	v_lshlrev_b32_e32 v14, 1, v14
	v_mov_b32_e32 v15, 0
	v_lshl_add_u64 v[14:15], v[6:7], 0, v[14:15]
	flat_load_ushort v13, v[14:15]
.LBB2836_23:
	s_or_b64 exec, exec, s[2:3]
	v_or_b32_e32 v15, 0x1000, v0
	v_cmp_gt_u32_e32 vcc, s33, v15
                                        ; implicit-def: $vgpr14
	s_and_saveexec_b64 s[2:3], vcc
	s_cbranch_execz .LBB2836_25
; %bb.24:
	v_lshlrev_b32_e32 v14, 1, v15
	v_mov_b32_e32 v15, 0
	v_lshl_add_u64 v[14:15], v[6:7], 0, v[14:15]
	flat_load_ushort v14, v[14:15]
.LBB2836_25:
	s_or_b64 exec, exec, s[2:3]
	v_or_b32_e32 v16, 0x1200, v0
	v_cmp_gt_u32_e32 vcc, s33, v16
                                        ; implicit-def: $vgpr15
	s_and_saveexec_b64 s[2:3], vcc
	s_cbranch_execz .LBB2836_27
; %bb.26:
	v_lshlrev_b32_e32 v16, 1, v16
	v_mov_b32_e32 v17, 0
	v_lshl_add_u64 v[16:17], v[6:7], 0, v[16:17]
	flat_load_ushort v15, v[16:17]
.LBB2836_27:
	s_or_b64 exec, exec, s[2:3]
	v_or_b32_e32 v17, 0x1400, v0
	v_cmp_gt_u32_e32 vcc, s33, v17
                                        ; implicit-def: $vgpr16
	s_and_saveexec_b64 s[2:3], vcc
	s_cbranch_execz .LBB2836_29
; %bb.28:
	v_lshlrev_b32_e32 v16, 1, v17
	v_mov_b32_e32 v17, 0
	v_lshl_add_u64 v[16:17], v[6:7], 0, v[16:17]
	flat_load_ushort v16, v[16:17]
.LBB2836_29:
	s_or_b64 exec, exec, s[2:3]
	v_or_b32_e32 v18, 0x1600, v0
	v_cmp_gt_u32_e32 vcc, s33, v18
                                        ; implicit-def: $vgpr17
	s_and_saveexec_b64 s[2:3], vcc
	s_cbranch_execz .LBB2836_31
; %bb.30:
	v_lshlrev_b32_e32 v18, 1, v18
	v_mov_b32_e32 v19, 0
	v_lshl_add_u64 v[18:19], v[6:7], 0, v[18:19]
	flat_load_ushort v17, v[18:19]
.LBB2836_31:
	s_or_b64 exec, exec, s[2:3]
	v_or_b32_e32 v19, 0x1800, v0
	v_cmp_gt_u32_e32 vcc, s33, v19
                                        ; implicit-def: $vgpr18
	s_and_saveexec_b64 s[2:3], vcc
	s_cbranch_execz .LBB2836_33
; %bb.32:
	v_lshlrev_b32_e32 v18, 1, v19
	v_mov_b32_e32 v19, 0
	v_lshl_add_u64 v[18:19], v[6:7], 0, v[18:19]
	flat_load_ushort v18, v[18:19]
.LBB2836_33:
	s_or_b64 exec, exec, s[2:3]
	v_or_b32_e32 v20, 0x1a00, v0
	v_cmp_gt_u32_e32 vcc, s33, v20
                                        ; implicit-def: $vgpr19
	s_and_saveexec_b64 s[2:3], vcc
	s_cbranch_execz .LBB2836_35
; %bb.34:
	v_lshlrev_b32_e32 v20, 1, v20
	v_mov_b32_e32 v21, 0
	v_lshl_add_u64 v[20:21], v[6:7], 0, v[20:21]
	flat_load_ushort v19, v[20:21]
.LBB2836_35:
	s_or_b64 exec, exec, s[2:3]
	v_or_b32_e32 v21, 0x1c00, v0
	v_cmp_gt_u32_e32 vcc, s33, v21
                                        ; implicit-def: $vgpr20
	s_and_saveexec_b64 s[2:3], vcc
	s_cbranch_execz .LBB2836_37
; %bb.36:
	v_lshlrev_b32_e32 v20, 1, v21
	v_mov_b32_e32 v21, 0
	v_lshl_add_u64 v[20:21], v[6:7], 0, v[20:21]
	flat_load_ushort v20, v[20:21]
.LBB2836_37:
	s_or_b64 exec, exec, s[2:3]
	v_or_b32_e32 v22, 0x1e00, v0
	v_cmp_gt_u32_e32 vcc, s33, v22
                                        ; implicit-def: $vgpr21
	s_and_saveexec_b64 s[2:3], vcc
	s_cbranch_execz .LBB2836_39
; %bb.38:
	v_lshlrev_b32_e32 v22, 1, v22
	v_mov_b32_e32 v23, 0
	v_lshl_add_u64 v[22:23], v[6:7], 0, v[22:23]
	flat_load_ushort v21, v[22:23]
.LBB2836_39:
	s_or_b64 exec, exec, s[2:3]
	v_or_b32_e32 v23, 0x2000, v0
	v_cmp_gt_u32_e32 vcc, s33, v23
                                        ; implicit-def: $vgpr22
	s_and_saveexec_b64 s[2:3], vcc
	s_cbranch_execz .LBB2836_41
; %bb.40:
	v_lshlrev_b32_e32 v22, 1, v23
	v_mov_b32_e32 v23, 0
	v_lshl_add_u64 v[22:23], v[6:7], 0, v[22:23]
	flat_load_ushort v22, v[22:23]
.LBB2836_41:
	s_or_b64 exec, exec, s[2:3]
	v_or_b32_e32 v24, 0x2200, v0
	v_cmp_gt_u32_e32 vcc, s33, v24
                                        ; implicit-def: $vgpr23
	s_and_saveexec_b64 s[2:3], vcc
	s_cbranch_execz .LBB2836_43
; %bb.42:
	v_lshlrev_b32_e32 v24, 1, v24
	v_mov_b32_e32 v25, 0
	v_lshl_add_u64 v[24:25], v[6:7], 0, v[24:25]
	flat_load_ushort v23, v[24:25]
.LBB2836_43:
	s_or_b64 exec, exec, s[2:3]
	v_or_b32_e32 v25, 0x2400, v0
	v_cmp_gt_u32_e32 vcc, s33, v25
                                        ; implicit-def: $vgpr24
	s_and_saveexec_b64 s[2:3], vcc
	s_cbranch_execz .LBB2836_45
; %bb.44:
	v_lshlrev_b32_e32 v24, 1, v25
	v_mov_b32_e32 v25, 0
	v_lshl_add_u64 v[24:25], v[6:7], 0, v[24:25]
	flat_load_ushort v24, v[24:25]
.LBB2836_45:
	s_or_b64 exec, exec, s[2:3]
	v_or_b32_e32 v26, 0x2600, v0
	v_cmp_gt_u32_e32 vcc, s33, v26
                                        ; implicit-def: $vgpr25
	s_and_saveexec_b64 s[2:3], vcc
	s_cbranch_execz .LBB2836_47
; %bb.46:
	v_lshlrev_b32_e32 v26, 1, v26
	v_mov_b32_e32 v27, 0
	v_lshl_add_u64 v[26:27], v[6:7], 0, v[26:27]
	flat_load_ushort v25, v[26:27]
.LBB2836_47:
	s_or_b64 exec, exec, s[2:3]
	v_or_b32_e32 v27, 0x2800, v0
	v_cmp_gt_u32_e32 vcc, s33, v27
                                        ; implicit-def: $vgpr26
	s_and_saveexec_b64 s[2:3], vcc
	s_cbranch_execz .LBB2836_49
; %bb.48:
	v_lshlrev_b32_e32 v26, 1, v27
	v_mov_b32_e32 v27, 0
	v_lshl_add_u64 v[26:27], v[6:7], 0, v[26:27]
	flat_load_ushort v26, v[26:27]
.LBB2836_49:
	s_or_b64 exec, exec, s[2:3]
	v_or_b32_e32 v28, 0x2a00, v0
	v_cmp_gt_u32_e32 vcc, s33, v28
                                        ; implicit-def: $vgpr27
	s_and_saveexec_b64 s[2:3], vcc
	s_cbranch_execz .LBB2836_51
; %bb.50:
	v_lshlrev_b32_e32 v28, 1, v28
	v_mov_b32_e32 v29, 0
	v_lshl_add_u64 v[28:29], v[6:7], 0, v[28:29]
	flat_load_ushort v27, v[28:29]
.LBB2836_51:
	s_or_b64 exec, exec, s[2:3]
	v_or_b32_e32 v29, 0x2c00, v0
	v_cmp_gt_u32_e32 vcc, s33, v29
                                        ; implicit-def: $vgpr28
	s_and_saveexec_b64 s[2:3], vcc
	s_cbranch_execz .LBB2836_53
; %bb.52:
	v_lshlrev_b32_e32 v28, 1, v29
	v_mov_b32_e32 v29, 0
	v_lshl_add_u64 v[28:29], v[6:7], 0, v[28:29]
	flat_load_ushort v28, v[28:29]
.LBB2836_53:
	s_or_b64 exec, exec, s[2:3]
	v_or_b32_e32 v30, 0x2e00, v0
	v_cmp_gt_u32_e32 vcc, s33, v30
                                        ; implicit-def: $vgpr29
	s_and_saveexec_b64 s[2:3], vcc
	s_cbranch_execz .LBB2836_55
; %bb.54:
	v_lshlrev_b32_e32 v30, 1, v30
	v_mov_b32_e32 v31, 0
	v_lshl_add_u64 v[30:31], v[6:7], 0, v[30:31]
	flat_load_ushort v29, v[30:31]
.LBB2836_55:
	s_or_b64 exec, exec, s[2:3]
	v_or_b32_e32 v31, 0x3000, v0
	v_cmp_gt_u32_e32 vcc, s33, v31
                                        ; implicit-def: $vgpr30
	s_and_saveexec_b64 s[2:3], vcc
	s_cbranch_execz .LBB2836_57
; %bb.56:
	v_lshlrev_b32_e32 v30, 1, v31
	v_mov_b32_e32 v31, 0
	v_lshl_add_u64 v[30:31], v[6:7], 0, v[30:31]
	flat_load_ushort v30, v[30:31]
.LBB2836_57:
	s_or_b64 exec, exec, s[2:3]
	v_or_b32_e32 v32, 0x3200, v0
	v_cmp_gt_u32_e32 vcc, s33, v32
                                        ; implicit-def: $vgpr31
	s_and_saveexec_b64 s[2:3], vcc
	s_cbranch_execz .LBB2836_59
; %bb.58:
	v_lshlrev_b32_e32 v32, 1, v32
	v_mov_b32_e32 v33, 0
	v_lshl_add_u64 v[32:33], v[6:7], 0, v[32:33]
	flat_load_ushort v31, v[32:33]
.LBB2836_59:
	s_or_b64 exec, exec, s[2:3]
	v_or_b32_e32 v33, 0x3400, v0
	v_cmp_gt_u32_e32 vcc, s33, v33
                                        ; implicit-def: $vgpr32
	s_and_saveexec_b64 s[2:3], vcc
	s_cbranch_execz .LBB2836_61
; %bb.60:
	v_lshlrev_b32_e32 v32, 1, v33
	v_mov_b32_e32 v33, 0
	v_lshl_add_u64 v[32:33], v[6:7], 0, v[32:33]
	flat_load_ushort v32, v[32:33]
.LBB2836_61:
	s_or_b64 exec, exec, s[2:3]
	v_or_b32_e32 v34, 0x3600, v0
	v_cmp_gt_u32_e32 vcc, s33, v34
                                        ; implicit-def: $vgpr33
	s_and_saveexec_b64 s[2:3], vcc
	s_cbranch_execz .LBB2836_63
; %bb.62:
	v_lshlrev_b32_e32 v34, 1, v34
	v_mov_b32_e32 v35, 0
	v_lshl_add_u64 v[34:35], v[6:7], 0, v[34:35]
	flat_load_ushort v33, v[34:35]
.LBB2836_63:
	s_or_b64 exec, exec, s[2:3]
	v_or_b32_e32 v35, 0x3800, v0
	v_cmp_gt_u32_e32 vcc, s33, v35
                                        ; implicit-def: $vgpr34
	s_and_saveexec_b64 s[2:3], vcc
	s_cbranch_execz .LBB2836_65
; %bb.64:
	v_lshlrev_b32_e32 v34, 1, v35
	v_mov_b32_e32 v35, 0
	v_lshl_add_u64 v[34:35], v[6:7], 0, v[34:35]
	flat_load_ushort v34, v[34:35]
.LBB2836_65:
	s_or_b64 exec, exec, s[2:3]
	v_or_b32_e32 v36, 0x3a00, v0
	v_cmp_gt_u32_e32 vcc, s33, v36
                                        ; implicit-def: $vgpr35
	s_and_saveexec_b64 s[2:3], vcc
	s_cbranch_execz .LBB2836_67
; %bb.66:
	v_lshlrev_b32_e32 v36, 1, v36
	v_mov_b32_e32 v37, 0
	v_lshl_add_u64 v[6:7], v[6:7], 0, v[36:37]
	flat_load_ushort v35, v[6:7]
.LBB2836_67:
	s_or_b64 exec, exec, s[2:3]
	s_waitcnt vmcnt(0) lgkmcnt(0)
	ds_write_b16 v4, v1
	ds_write_b16 v4, v8 offset:1024
	ds_write_b16 v4, v9 offset:2048
	;; [unrolled: 1-line block ×29, first 2 shown]
	s_waitcnt lgkmcnt(0)
	s_barrier
.LBB2836_68:
	v_mul_u32_u24_e32 v42, 30, v0
	v_lshlrev_b32_e32 v6, 1, v42
	ds_read_b32 v5, v6 offset:56
	ds_read2_b32 v[10:11], v6 offset0:12 offset1:13
	ds_read2_b32 v[12:13], v6 offset0:10 offset1:11
	;; [unrolled: 1-line block ×3, first 2 shown]
	ds_read2_b32 v[22:23], v6 offset1:1
	ds_read2_b32 v[20:21], v6 offset0:2 offset1:3
	ds_read2_b32 v[18:19], v6 offset0:4 offset1:5
	;; [unrolled: 1-line block ×3, first 2 shown]
	s_waitcnt lgkmcnt(7)
	v_lshrrev_b32_e32 v1, 16, v5
	s_waitcnt lgkmcnt(6)
	v_lshrrev_b32_e32 v31, 16, v10
	v_lshrrev_b32_e32 v30, 16, v11
	s_waitcnt lgkmcnt(5)
	v_lshrrev_b32_e32 v33, 16, v12
	v_lshrrev_b32_e32 v32, 16, v13
	s_waitcnt lgkmcnt(3)
	v_lshrrev_b32_e32 v44, 16, v22
	v_lshrrev_b32_e32 v43, 16, v23
	s_waitcnt lgkmcnt(2)
	v_lshrrev_b32_e32 v41, 16, v20
	v_lshrrev_b32_e32 v40, 16, v21
	s_waitcnt lgkmcnt(1)
	v_lshrrev_b32_e32 v39, 16, v18
	v_lshrrev_b32_e32 v38, 16, v19
	s_waitcnt lgkmcnt(0)
	v_lshrrev_b32_e32 v37, 16, v16
	v_lshrrev_b32_e32 v36, 16, v17
	v_lshrrev_b32_e32 v35, 16, v14
	;; [unrolled: 1-line block ×3, first 2 shown]
	v_cndmask_b32_e64 v6, 0, 1, s[0:1]
	v_cmp_ne_u32_e64 s[2:3], 1, v6
	s_andn2_b64 vcc, exec, s[0:1]
	v_xor_b32_e32 v94, -1, v22
	v_xor_b32_e32 v93, -1, v44
	;; [unrolled: 1-line block ×30, first 2 shown]
	s_barrier
	s_cbranch_vccnz .LBB2836_70
; %bb.69:
	v_and_b32_e32 v74, 1, v94
	v_and_b32_e32 v73, 1, v93
	;; [unrolled: 1-line block ×30, first 2 shown]
	s_cbranch_execz .LBB2836_71
	s_branch .LBB2836_72
.LBB2836_70:
                                        ; implicit-def: $vgpr74
                                        ; implicit-def: $vgpr73
                                        ; implicit-def: $vgpr72
                                        ; implicit-def: $vgpr71
                                        ; implicit-def: $vgpr70
                                        ; implicit-def: $vgpr69
                                        ; implicit-def: $vgpr68
                                        ; implicit-def: $vgpr67
                                        ; implicit-def: $vgpr66
                                        ; implicit-def: $vgpr65
                                        ; implicit-def: $vgpr64
                                        ; implicit-def: $vgpr63
                                        ; implicit-def: $vgpr62
                                        ; implicit-def: $vgpr61
                                        ; implicit-def: $vgpr60
                                        ; implicit-def: $vgpr59
                                        ; implicit-def: $vgpr58
                                        ; implicit-def: $vgpr57
                                        ; implicit-def: $vgpr56
                                        ; implicit-def: $vgpr55
                                        ; implicit-def: $vgpr54
                                        ; implicit-def: $vgpr53
                                        ; implicit-def: $vgpr52
                                        ; implicit-def: $vgpr51
                                        ; implicit-def: $vgpr50
                                        ; implicit-def: $vgpr49
                                        ; implicit-def: $vgpr48
                                        ; implicit-def: $vgpr47
                                        ; implicit-def: $vgpr45
                                        ; implicit-def: $vgpr46
.LBB2836_71:
	v_or_b32_e32 v54, 1, v42
	v_cmp_gt_u32_e32 vcc, s33, v42
	v_add_u32_e32 v55, 2, v42
	v_add_u32_e32 v56, 3, v42
	v_cndmask_b32_e64 v64, 0, 1, vcc
	v_cmp_gt_u32_e32 vcc, s33, v54
	v_add_u32_e32 v57, 4, v42
	v_add_u32_e32 v58, 5, v42
	v_cndmask_b32_e64 v54, 0, 1, vcc
	v_cmp_gt_u32_e32 vcc, s33, v55
	v_and_b32_e32 v73, v54, v93
	v_add_u32_e32 v59, 6, v42
	v_cndmask_b32_e64 v54, 0, 1, vcc
	v_cmp_gt_u32_e32 vcc, s33, v56
	v_and_b32_e32 v72, v54, v92
	v_add_u32_e32 v60, 7, v42
	v_cndmask_b32_e64 v54, 0, 1, vcc
	v_cmp_gt_u32_e32 vcc, s33, v57
	v_and_b32_e32 v71, v54, v91
	v_add_u32_e32 v61, 8, v42
	v_cndmask_b32_e64 v54, 0, 1, vcc
	v_cmp_gt_u32_e32 vcc, s33, v58
	v_and_b32_e32 v70, v54, v90
	v_add_u32_e32 v62, 9, v42
	v_cndmask_b32_e64 v54, 0, 1, vcc
	v_cmp_gt_u32_e32 vcc, s33, v59
	v_and_b32_e32 v69, v54, v89
	v_add_u32_e32 v63, 10, v42
	v_cndmask_b32_e64 v54, 0, 1, vcc
	v_cmp_gt_u32_e32 vcc, s33, v60
	v_and_b32_e32 v68, v54, v88
	v_add_u32_e32 v95, 11, v42
	v_cndmask_b32_e64 v54, 0, 1, vcc
	v_cmp_gt_u32_e32 vcc, s33, v61
	v_and_b32_e32 v67, v54, v87
	v_add_u32_e32 v96, 12, v42
	v_cndmask_b32_e64 v54, 0, 1, vcc
	v_cmp_gt_u32_e32 vcc, s33, v62
	v_and_b32_e32 v66, v54, v86
	v_add_u32_e32 v97, 13, v42
	v_cndmask_b32_e64 v54, 0, 1, vcc
	v_cmp_gt_u32_e32 vcc, s33, v63
	v_and_b32_e32 v65, v54, v85
	v_and_b32_e32 v74, v64, v94
	v_cndmask_b32_e64 v54, 0, 1, vcc
	v_cmp_gt_u32_e32 vcc, s33, v95
	v_and_b32_e32 v64, v54, v84
	v_add_u32_e32 v98, 14, v42
	v_cndmask_b32_e64 v54, 0, 1, vcc
	v_cmp_gt_u32_e32 vcc, s33, v96
	v_and_b32_e32 v63, v54, v83
	v_add_u32_e32 v99, 15, v42
	;; [unrolled: 4-line block ×16, first 2 shown]
	v_cndmask_b32_e64 v24, 0, 1, vcc
	v_cmp_gt_u32_e32 vcc, s33, v47
	v_and_b32_e32 v48, v24, v9
	s_nop 0
	v_cndmask_b32_e64 v9, 0, 1, vcc
	v_cmp_gt_u32_e32 vcc, s33, v45
	v_and_b32_e32 v47, v9, v8
	s_nop 0
	;; [unrolled: 4-line block ×3, first 2 shown]
	v_cndmask_b32_e64 v7, 0, 1, vcc
	v_and_b32_e32 v46, v7, v6
.LBB2836_72:
	v_and_b32_e32 v101, 0xff, v48
	v_and_b32_e32 v102, 0xff, v47
	v_add_u32_sdwa v6, v45, v46 dst_sel:DWORD dst_unused:UNUSED_PAD src0_sel:BYTE_0 src1_sel:BYTE_0
	v_and_b32_e32 v99, 0xff, v50
	v_and_b32_e32 v100, 0xff, v49
	v_add3_u32 v6, v6, v102, v101
	v_and_b32_e32 v97, 0xff, v52
	v_and_b32_e32 v98, 0xff, v51
	v_add3_u32 v6, v6, v100, v99
	;; [unrolled: 3-line block ×13, first 2 shown]
	v_add3_u32 v105, v6, v76, v75
	v_mbcnt_lo_u32_b32 v6, -1, 0
	v_mbcnt_hi_u32_b32 v103, -1, v6
	v_and_b32_e32 v6, 15, v103
	v_cmp_eq_u32_e64 s[16:17], 0, v6
	v_cmp_lt_u32_e64 s[14:15], 1, v6
	v_cmp_lt_u32_e64 s[12:13], 3, v6
	;; [unrolled: 1-line block ×3, first 2 shown]
	v_and_b32_e32 v6, 16, v103
	v_cmp_eq_u32_e64 s[8:9], 0, v6
	v_or_b32_e32 v6, 63, v0
	s_cmp_lg_u32 s36, 0
	v_cmp_lt_u32_e64 s[4:5], 31, v103
	v_lshrrev_b32_e32 v104, 6, v0
	v_cmp_eq_u32_e64 s[6:7], v6, v0
	s_cbranch_scc0 .LBB2836_99
; %bb.73:
	v_mov_b32_dpp v6, v105 row_shr:1 row_mask:0xf bank_mask:0xf
	v_cndmask_b32_e64 v6, v6, 0, s[16:17]
	v_add_u32_e32 v6, v6, v105
	s_nop 1
	v_mov_b32_dpp v7, v6 row_shr:2 row_mask:0xf bank_mask:0xf
	v_cndmask_b32_e64 v7, 0, v7, s[14:15]
	v_add_u32_e32 v6, v6, v7
	s_nop 1
	;; [unrolled: 4-line block ×4, first 2 shown]
	v_mov_b32_dpp v7, v6 row_bcast:15 row_mask:0xf bank_mask:0xf
	v_cndmask_b32_e64 v7, v7, 0, s[8:9]
	v_add_u32_e32 v6, v6, v7
	s_nop 1
	v_mov_b32_dpp v7, v6 row_bcast:31 row_mask:0xf bank_mask:0xf
	v_cndmask_b32_e64 v7, 0, v7, s[4:5]
	v_add_u32_e32 v6, v6, v7
	s_and_saveexec_b64 s[0:1], s[6:7]
	s_cbranch_execz .LBB2836_75
; %bb.74:
	v_lshlrev_b32_e32 v7, 2, v104
	ds_write_b32 v7, v6
.LBB2836_75:
	s_or_b64 exec, exec, s[0:1]
	v_cmp_gt_u32_e32 vcc, 8, v0
	s_waitcnt lgkmcnt(0)
	s_barrier
	s_and_saveexec_b64 s[0:1], vcc
	s_cbranch_execz .LBB2836_77
; %bb.76:
	v_lshlrev_b32_e32 v7, 2, v0
	ds_read_b32 v8, v7
	v_and_b32_e32 v9, 7, v103
	v_cmp_ne_u32_e32 vcc, 0, v9
	s_waitcnt lgkmcnt(0)
	v_mov_b32_dpp v24, v8 row_shr:1 row_mask:0xf bank_mask:0xf
	v_cndmask_b32_e32 v24, 0, v24, vcc
	v_add_u32_e32 v8, v24, v8
	v_cmp_lt_u32_e32 vcc, 1, v9
	s_nop 0
	v_mov_b32_dpp v24, v8 row_shr:2 row_mask:0xf bank_mask:0xf
	v_cndmask_b32_e32 v24, 0, v24, vcc
	v_add_u32_e32 v8, v8, v24
	v_cmp_lt_u32_e32 vcc, 3, v9
	s_nop 0
	v_mov_b32_dpp v24, v8 row_shr:4 row_mask:0xf bank_mask:0xf
	v_cndmask_b32_e32 v9, 0, v24, vcc
	v_add_u32_e32 v8, v8, v9
	ds_write_b32 v7, v8
.LBB2836_77:
	s_or_b64 exec, exec, s[0:1]
	v_cmp_gt_u32_e32 vcc, 64, v0
	v_cmp_lt_u32_e64 s[0:1], 63, v0
	s_waitcnt lgkmcnt(0)
	s_barrier
	s_waitcnt lgkmcnt(0)
                                        ; implicit-def: $vgpr106
	s_and_saveexec_b64 s[18:19], s[0:1]
	s_cbranch_execz .LBB2836_79
; %bb.78:
	v_lshl_add_u32 v7, v104, 2, -4
	ds_read_b32 v106, v7
	s_waitcnt lgkmcnt(0)
	v_add_u32_e32 v6, v106, v6
.LBB2836_79:
	s_or_b64 exec, exec, s[18:19]
	v_add_u32_e32 v7, -1, v103
	v_and_b32_e32 v8, 64, v103
	v_cmp_lt_i32_e64 s[0:1], v7, v8
	v_cmp_eq_u32_e64 s[18:19], 0, v103
	s_nop 0
	v_cndmask_b32_e64 v7, v7, v103, s[0:1]
	v_lshlrev_b32_e32 v7, 2, v7
	ds_bpermute_b32 v107, v7, v6
	s_and_saveexec_b64 s[0:1], vcc
	s_cbranch_execz .LBB2836_98
; %bb.80:
	v_mov_b32_e32 v27, 0
	ds_read_b32 v6, v27 offset:28
	s_and_saveexec_b64 s[26:27], s[18:19]
	s_cbranch_execz .LBB2836_82
; %bb.81:
	s_add_i32 s34, s36, 64
	s_mov_b32 s35, 0
	s_lshl_b64 s[34:35], s[34:35], 3
	s_add_u32 s34, s30, s34
	v_mov_b32_e32 v7, 1
	s_addc_u32 s35, s31, s35
	s_waitcnt lgkmcnt(0)
	global_store_dwordx2 v27, v[6:7], s[34:35] sc1
.LBB2836_82:
	s_or_b64 exec, exec, s[26:27]
	v_xad_u32 v8, v103, -1, s36
	v_add_u32_e32 v26, 64, v8
	v_lshl_add_u64 v[28:29], v[26:27], 3, s[30:31]
	global_load_dwordx2 v[24:25], v[28:29], off sc1
	s_waitcnt vmcnt(0)
	v_cmp_eq_u16_sdwa s[34:35], v25, v27 src0_sel:BYTE_0 src1_sel:DWORD
	s_and_saveexec_b64 s[26:27], s[34:35]
	s_cbranch_execz .LBB2836_86
; %bb.83:
	s_mov_b64 s[34:35], 0
	v_mov_b32_e32 v7, 0
.LBB2836_84:                            ; =>This Inner Loop Header: Depth=1
	global_load_dwordx2 v[24:25], v[28:29], off sc1
	s_waitcnt vmcnt(0)
	v_cmp_ne_u16_sdwa s[38:39], v25, v7 src0_sel:BYTE_0 src1_sel:DWORD
	s_or_b64 s[34:35], s[38:39], s[34:35]
	s_andn2_b64 exec, exec, s[34:35]
	s_cbranch_execnz .LBB2836_84
; %bb.85:
	s_or_b64 exec, exec, s[34:35]
.LBB2836_86:
	s_or_b64 exec, exec, s[26:27]
	v_and_b32_e32 v109, 63, v103
	v_mov_b32_e32 v108, 2
	v_cmp_ne_u32_e32 vcc, 63, v109
	v_cmp_eq_u16_sdwa s[26:27], v25, v108 src0_sel:BYTE_0 src1_sel:DWORD
	v_lshlrev_b64 v[26:27], v103, -1
	v_addc_co_u32_e32 v28, vcc, 0, v103, vcc
	v_and_b32_e32 v7, s27, v27
	v_lshlrev_b32_e32 v110, 2, v28
	v_or_b32_e32 v7, 0x80000000, v7
	ds_bpermute_b32 v28, v110, v24
	v_and_b32_e32 v9, s26, v26
	v_ffbl_b32_e32 v7, v7
	v_add_u32_e32 v7, 32, v7
	v_ffbl_b32_e32 v9, v9
	v_min_u32_e32 v7, v9, v7
	v_cmp_lt_u32_e32 vcc, v109, v7
	v_add_u32_e32 v112, 2, v109
	v_add_u32_e32 v114, 4, v109
	s_waitcnt lgkmcnt(0)
	v_cndmask_b32_e32 v9, 0, v28, vcc
	v_cmp_gt_u32_e32 vcc, 62, v109
	v_add_u32_e32 v9, v9, v24
	v_add_u32_e32 v116, 8, v109
	v_cndmask_b32_e64 v24, 0, 1, vcc
	v_lshlrev_b32_e32 v24, 1, v24
	v_add_lshl_u32 v111, v24, v103, 2
	ds_bpermute_b32 v24, v111, v9
	v_cmp_le_u32_e32 vcc, v112, v7
	v_add_u32_e32 v118, 16, v109
	v_add_u32_e32 v120, 32, v109
	s_waitcnt lgkmcnt(0)
	v_cndmask_b32_e32 v24, 0, v24, vcc
	v_cmp_gt_u32_e32 vcc, 60, v109
	v_add_u32_e32 v9, v9, v24
	s_nop 0
	v_cndmask_b32_e64 v24, 0, 1, vcc
	v_lshlrev_b32_e32 v24, 2, v24
	v_add_lshl_u32 v113, v24, v103, 2
	ds_bpermute_b32 v24, v113, v9
	v_cmp_le_u32_e32 vcc, v114, v7
	s_waitcnt lgkmcnt(0)
	s_nop 0
	v_cndmask_b32_e32 v24, 0, v24, vcc
	v_cmp_gt_u32_e32 vcc, 56, v109
	v_add_u32_e32 v9, v9, v24
	s_nop 0
	v_cndmask_b32_e64 v24, 0, 1, vcc
	v_lshlrev_b32_e32 v24, 3, v24
	v_add_lshl_u32 v115, v24, v103, 2
	ds_bpermute_b32 v24, v115, v9
	v_cmp_le_u32_e32 vcc, v116, v7
	s_waitcnt lgkmcnt(0)
	s_nop 0
	;; [unrolled: 11-line block ×4, first 2 shown]
	v_cndmask_b32_e32 v7, 0, v24, vcc
	v_add_u32_e32 v24, v9, v7
	v_mov_b32_e32 v9, 0
	s_branch .LBB2836_88
.LBB2836_87:                            ;   in Loop: Header=BB2836_88 Depth=1
	s_or_b64 exec, exec, s[26:27]
	v_cmp_eq_u16_sdwa s[26:27], v25, v108 src0_sel:BYTE_0 src1_sel:DWORD
	ds_bpermute_b32 v121, v110, v24
	v_subrev_u32_e32 v8, 64, v8
	v_and_b32_e32 v28, s27, v27
	v_or_b32_e32 v28, 0x80000000, v28
	v_and_b32_e32 v29, s26, v26
	v_ffbl_b32_e32 v28, v28
	v_add_u32_e32 v28, 32, v28
	v_ffbl_b32_e32 v29, v29
	v_min_u32_e32 v28, v29, v28
	v_cmp_lt_u32_e32 vcc, v109, v28
	s_waitcnt lgkmcnt(0)
	s_nop 0
	v_cndmask_b32_e32 v29, 0, v121, vcc
	v_add_u32_e32 v24, v29, v24
	ds_bpermute_b32 v29, v111, v24
	v_cmp_le_u32_e32 vcc, v112, v28
	s_waitcnt lgkmcnt(0)
	s_nop 0
	v_cndmask_b32_e32 v29, 0, v29, vcc
	v_add_u32_e32 v24, v24, v29
	ds_bpermute_b32 v29, v113, v24
	v_cmp_le_u32_e32 vcc, v114, v28
	;; [unrolled: 6-line block ×5, first 2 shown]
	s_waitcnt lgkmcnt(0)
	s_nop 0
	v_cndmask_b32_e32 v28, 0, v29, vcc
	v_add3_u32 v24, v28, v7, v24
.LBB2836_88:                            ; =>This Loop Header: Depth=1
                                        ;     Child Loop BB2836_91 Depth 2
	v_cmp_ne_u16_sdwa s[26:27], v25, v108 src0_sel:BYTE_0 src1_sel:DWORD
	s_nop 1
	v_cndmask_b32_e64 v7, 0, 1, s[26:27]
	;;#ASMSTART
	;;#ASMEND
	s_nop 0
	v_cmp_ne_u32_e32 vcc, 0, v7
	s_cmp_lg_u64 vcc, exec
	v_mov_b32_e32 v7, v24
	s_cbranch_scc1 .LBB2836_93
; %bb.89:                               ;   in Loop: Header=BB2836_88 Depth=1
	v_lshl_add_u64 v[28:29], v[8:9], 3, s[30:31]
	global_load_dwordx2 v[24:25], v[28:29], off sc1
	s_waitcnt vmcnt(0)
	v_cmp_eq_u16_sdwa s[34:35], v25, v9 src0_sel:BYTE_0 src1_sel:DWORD
	s_and_saveexec_b64 s[26:27], s[34:35]
	s_cbranch_execz .LBB2836_87
; %bb.90:                               ;   in Loop: Header=BB2836_88 Depth=1
	s_mov_b64 s[34:35], 0
.LBB2836_91:                            ;   Parent Loop BB2836_88 Depth=1
                                        ; =>  This Inner Loop Header: Depth=2
	global_load_dwordx2 v[24:25], v[28:29], off sc1
	s_waitcnt vmcnt(0)
	v_cmp_ne_u16_sdwa s[38:39], v25, v9 src0_sel:BYTE_0 src1_sel:DWORD
	s_or_b64 s[34:35], s[38:39], s[34:35]
	s_andn2_b64 exec, exec, s[34:35]
	s_cbranch_execnz .LBB2836_91
; %bb.92:                               ;   in Loop: Header=BB2836_88 Depth=1
	s_or_b64 exec, exec, s[34:35]
	s_branch .LBB2836_87
.LBB2836_93:                            ;   in Loop: Header=BB2836_88 Depth=1
                                        ; implicit-def: $vgpr24
                                        ; implicit-def: $vgpr25
	s_cbranch_execz .LBB2836_88
; %bb.94:
	s_and_saveexec_b64 s[26:27], s[18:19]
	s_cbranch_execz .LBB2836_96
; %bb.95:
	s_add_i32 s34, s36, 64
	s_mov_b32 s35, 0
	s_lshl_b64 s[34:35], s[34:35], 3
	s_add_u32 s34, s30, s34
	v_add_u32_e32 v8, v7, v6
	v_mov_b32_e32 v9, 2
	s_addc_u32 s35, s31, s35
	v_mov_b32_e32 v24, 0
	global_store_dwordx2 v24, v[8:9], s[34:35] sc1
	ds_write_b64 v24, v[6:7] offset:30720
.LBB2836_96:
	s_or_b64 exec, exec, s[26:27]
	s_and_b64 exec, exec, s[20:21]
	s_cbranch_execz .LBB2836_98
; %bb.97:
	v_mov_b32_e32 v6, 0
	ds_write_b32 v6, v7 offset:28
.LBB2836_98:
	s_or_b64 exec, exec, s[0:1]
	v_mov_b32_e32 v6, 0
	s_waitcnt lgkmcnt(0)
	s_barrier
	ds_read_b32 v8, v6 offset:28
	s_waitcnt lgkmcnt(0)
	s_barrier
	ds_read_b64 v[6:7], v6 offset:30720
	v_cndmask_b32_e64 v9, v107, v106, s[18:19]
	v_cndmask_b32_e64 v9, v9, 0, s[20:21]
	v_add_u32_e32 v9, v8, v9
	s_waitcnt lgkmcnt(0)
	v_mov_b32_e32 v8, v7
	s_branch .LBB2836_109
.LBB2836_99:
                                        ; implicit-def: $vgpr8
                                        ; implicit-def: $vgpr6
                                        ; implicit-def: $vgpr9
	s_cbranch_execz .LBB2836_109
; %bb.100:
	s_nop 0
	v_mov_b32_dpp v6, v105 row_shr:1 row_mask:0xf bank_mask:0xf
	v_cndmask_b32_e64 v6, v6, 0, s[16:17]
	v_add_u32_e32 v6, v6, v105
	s_nop 1
	v_mov_b32_dpp v7, v6 row_shr:2 row_mask:0xf bank_mask:0xf
	v_cndmask_b32_e64 v7, 0, v7, s[14:15]
	v_add_u32_e32 v6, v6, v7
	;; [unrolled: 4-line block ×4, first 2 shown]
	s_nop 1
	v_mov_b32_dpp v7, v6 row_bcast:15 row_mask:0xf bank_mask:0xf
	v_cndmask_b32_e64 v7, v7, 0, s[8:9]
	v_add_u32_e32 v6, v6, v7
	s_nop 1
	v_mov_b32_dpp v7, v6 row_bcast:31 row_mask:0xf bank_mask:0xf
	v_cndmask_b32_e64 v7, 0, v7, s[4:5]
	v_add_u32_e32 v6, v6, v7
	s_and_saveexec_b64 s[0:1], s[6:7]
	s_cbranch_execz .LBB2836_102
; %bb.101:
	v_lshlrev_b32_e32 v7, 2, v104
	ds_write_b32 v7, v6
.LBB2836_102:
	s_or_b64 exec, exec, s[0:1]
	v_cmp_gt_u32_e32 vcc, 8, v0
	s_waitcnt lgkmcnt(0)
	s_barrier
	s_and_saveexec_b64 s[0:1], vcc
	s_cbranch_execz .LBB2836_104
; %bb.103:
	v_lshlrev_b32_e32 v7, 2, v0
	ds_read_b32 v8, v7
	v_and_b32_e32 v9, 7, v103
	v_cmp_ne_u32_e32 vcc, 0, v9
	s_waitcnt lgkmcnt(0)
	v_mov_b32_dpp v24, v8 row_shr:1 row_mask:0xf bank_mask:0xf
	v_cndmask_b32_e32 v24, 0, v24, vcc
	v_add_u32_e32 v8, v24, v8
	v_cmp_lt_u32_e32 vcc, 1, v9
	s_nop 0
	v_mov_b32_dpp v24, v8 row_shr:2 row_mask:0xf bank_mask:0xf
	v_cndmask_b32_e32 v24, 0, v24, vcc
	v_add_u32_e32 v8, v8, v24
	v_cmp_lt_u32_e32 vcc, 3, v9
	s_nop 0
	v_mov_b32_dpp v24, v8 row_shr:4 row_mask:0xf bank_mask:0xf
	v_cndmask_b32_e32 v9, 0, v24, vcc
	v_add_u32_e32 v8, v8, v9
	ds_write_b32 v7, v8
.LBB2836_104:
	s_or_b64 exec, exec, s[0:1]
	v_cmp_lt_u32_e32 vcc, 63, v0
	v_mov_b32_e32 v7, 0
	v_mov_b32_e32 v8, 0
	s_waitcnt lgkmcnt(0)
	s_barrier
	s_and_saveexec_b64 s[0:1], vcc
	s_cbranch_execz .LBB2836_106
; %bb.105:
	v_lshl_add_u32 v8, v104, 2, -4
	ds_read_b32 v8, v8
.LBB2836_106:
	s_or_b64 exec, exec, s[0:1]
	v_add_u32_e32 v9, -1, v103
	v_and_b32_e32 v24, 64, v103
	v_cmp_lt_i32_e32 vcc, v9, v24
	s_waitcnt lgkmcnt(0)
	v_add_u32_e32 v6, v8, v6
	v_cndmask_b32_e32 v9, v9, v103, vcc
	v_lshlrev_b32_e32 v9, 2, v9
	ds_bpermute_b32 v9, v9, v6
	ds_read_b32 v6, v7 offset:28
	s_and_saveexec_b64 s[0:1], s[20:21]
	s_cbranch_execz .LBB2836_108
; %bb.107:
	v_mov_b32_e32 v24, 0
	v_mov_b32_e32 v7, 2
	s_waitcnt lgkmcnt(0)
	global_store_dwordx2 v24, v[6:7], s[30:31] offset:512 sc1
.LBB2836_108:
	s_or_b64 exec, exec, s[0:1]
	v_cmp_eq_u32_e32 vcc, 0, v103
	s_waitcnt lgkmcnt(0)
	s_barrier
	v_cndmask_b32_e32 v7, v9, v8, vcc
	v_mov_b32_e32 v8, 0
	v_cndmask_b32_e64 v9, v7, 0, s[20:21]
.LBB2836_109:
	v_add_u32_e32 v7, v9, v75
	v_add_u32_e32 v24, v7, v76
	;; [unrolled: 1-line block ×22, first 2 shown]
	v_sub_u32_e32 v9, v9, v8
	v_and_b32_e32 v74, 1, v74
	v_add_u32_e32 v89, v88, v96
	v_sub_u32_e32 v96, v42, v9
	v_cmp_eq_u32_e32 vcc, 1, v74
	v_sub_u32_e32 v7, v7, v8
	v_add_u32_e32 v90, v89, v97
	v_cndmask_b32_e32 v9, v96, v9, vcc
	v_lshlrev_b32_e32 v9, 1, v9
	ds_write_b16 v9, v22
	v_sub_u32_e32 v9, v42, v7
	v_and_b32_e32 v22, 1, v73
	v_add_u32_e32 v9, 1, v9
	v_cmp_eq_u32_e32 vcc, 1, v22
	v_and_b32_e32 v22, 1, v72
	v_add_u32_e32 v91, v90, v98
	v_cndmask_b32_e32 v7, v9, v7, vcc
	v_lshlrev_b32_e32 v7, 1, v7
	ds_write_b16 v7, v44
	v_sub_u32_e32 v7, v24, v8
	v_sub_u32_e32 v9, v42, v7
	v_add_u32_e32 v9, 2, v9
	v_cmp_eq_u32_e32 vcc, 1, v22
	v_and_b32_e32 v22, 1, v71
	v_add_u32_e32 v92, v91, v99
	v_cndmask_b32_e32 v7, v9, v7, vcc
	v_lshlrev_b32_e32 v7, 1, v7
	ds_write_b16 v7, v23
	v_sub_u32_e32 v7, v25, v8
	v_sub_u32_e32 v9, v42, v7
	;; [unrolled: 9-line block ×3, first 2 shown]
	v_add_u32_e32 v9, 4, v9
	v_cmp_eq_u32_e32 vcc, 1, v22
	v_add_u32_e32 v94, v93, v101
	v_add_u32_e32 v95, v94, v102
	v_cndmask_b32_e32 v7, v9, v7, vcc
	v_lshlrev_b32_e32 v7, 1, v7
	ds_write_b16 v7, v20
	v_sub_u32_e32 v7, v27, v8
	v_sub_u32_e32 v9, v42, v7
	v_and_b32_e32 v20, 1, v69
	v_add_u32_e32 v9, 5, v9
	v_cmp_eq_u32_e32 vcc, 1, v20
	v_and_b32_e32 v20, 1, v68
	v_or_b32_e32 v43, 0x1a00, v0
	v_cndmask_b32_e32 v7, v9, v7, vcc
	v_lshlrev_b32_e32 v7, 1, v7
	ds_write_b16 v7, v41
	v_sub_u32_e32 v7, v28, v8
	v_sub_u32_e32 v9, v42, v7
	v_add_u32_e32 v9, 6, v9
	v_cmp_eq_u32_e32 vcc, 1, v20
	v_and_b32_e32 v20, 1, v67
	v_or_b32_e32 v67, 0x200, v0
	v_cndmask_b32_e32 v7, v9, v7, vcc
	v_lshlrev_b32_e32 v7, 1, v7
	ds_write_b16 v7, v21
	v_sub_u32_e32 v7, v29, v8
	v_sub_u32_e32 v9, v42, v7
	v_add_u32_e32 v9, 7, v9
	v_cmp_eq_u32_e32 vcc, 1, v20
	v_and_b32_e32 v20, 1, v66
	v_or_b32_e32 v41, 0x1c00, v0
	v_cndmask_b32_e32 v7, v9, v7, vcc
	v_lshlrev_b32_e32 v7, 1, v7
	ds_write_b16 v7, v40
	v_sub_u32_e32 v7, v75, v8
	v_sub_u32_e32 v9, v42, v7
	v_add_u32_e32 v9, 8, v9
	v_cmp_eq_u32_e32 vcc, 1, v20
	v_or_b32_e32 v29, 0x2800, v0
	v_or_b32_e32 v27, 0x2a00, v0
	v_cndmask_b32_e32 v7, v9, v7, vcc
	v_lshlrev_b32_e32 v7, 1, v7
	ds_write_b16 v7, v18
	v_sub_u32_e32 v7, v76, v8
	v_sub_u32_e32 v9, v42, v7
	v_and_b32_e32 v18, 1, v65
	v_add_u32_e32 v9, 9, v9
	v_cmp_eq_u32_e32 vcc, 1, v18
	v_and_b32_e32 v18, 1, v64
	v_or_b32_e32 v65, 0x400, v0
	v_cndmask_b32_e32 v7, v9, v7, vcc
	v_lshlrev_b32_e32 v7, 1, v7
	ds_write_b16 v7, v39
	v_sub_u32_e32 v7, v77, v8
	v_sub_u32_e32 v9, v42, v7
	v_add_u32_e32 v9, 10, v9
	v_cmp_eq_u32_e32 vcc, 1, v18
	v_and_b32_e32 v18, 1, v63
	v_or_b32_e32 v63, 0x600, v0
	v_cndmask_b32_e32 v7, v9, v7, vcc
	v_lshlrev_b32_e32 v7, 1, v7
	ds_write_b16 v7, v19
	v_sub_u32_e32 v7, v78, v8
	v_sub_u32_e32 v9, v42, v7
	v_add_u32_e32 v9, 11, v9
	v_cmp_eq_u32_e32 vcc, 1, v18
	v_and_b32_e32 v18, 1, v62
	v_or_b32_e32 v25, 0x2c00, v0
	v_cndmask_b32_e32 v7, v9, v7, vcc
	v_lshlrev_b32_e32 v7, 1, v7
	ds_write_b16 v7, v38
	v_sub_u32_e32 v7, v79, v8
	v_sub_u32_e32 v9, v42, v7
	v_add_u32_e32 v9, 12, v9
	v_cmp_eq_u32_e32 vcc, 1, v18
	v_or_b32_e32 v38, 0x1e00, v0
	v_or_b32_e32 v23, 0x2e00, v0
	;; [unrolled: 37-line block ×4, first 2 shown]
	v_cndmask_b32_e32 v7, v9, v7, vcc
	v_lshlrev_b32_e32 v7, 1, v7
	ds_write_b16 v7, v12
	v_sub_u32_e32 v7, v88, v8
	v_sub_u32_e32 v9, v42, v7
	v_and_b32_e32 v12, 1, v53
	v_add_u32_e32 v9, 21, v9
	v_cmp_eq_u32_e32 vcc, 1, v12
	v_and_b32_e32 v12, 1, v52
	v_or_b32_e32 v53, 0x1000, v0
	v_cndmask_b32_e32 v7, v9, v7, vcc
	v_lshlrev_b32_e32 v7, 1, v7
	ds_write_b16 v7, v33
	v_sub_u32_e32 v7, v89, v8
	v_sub_u32_e32 v9, v42, v7
	v_add_u32_e32 v9, 22, v9
	v_cmp_eq_u32_e32 vcc, 1, v12
	v_and_b32_e32 v12, 1, v51
	v_or_b32_e32 v51, 0x1200, v0
	v_cndmask_b32_e32 v7, v9, v7, vcc
	v_lshlrev_b32_e32 v7, 1, v7
	ds_write_b16 v7, v13
	v_sub_u32_e32 v7, v90, v8
	v_sub_u32_e32 v9, v42, v7
	;; [unrolled: 9-line block ×3, first 2 shown]
	v_add_u32_e32 v9, 24, v9
	v_cmp_eq_u32_e32 vcc, 1, v12
	v_or_b32_e32 v14, 0x3800, v0
	s_waitcnt vmcnt(0)
	v_lshlrev_b64 v[12:13], 1, v[2:3]
	v_cndmask_b32_e32 v7, v9, v7, vcc
	v_lshlrev_b32_e32 v7, 1, v7
	ds_write_b16 v7, v10
	v_sub_u32_e32 v7, v92, v8
	v_sub_u32_e32 v9, v42, v7
	v_and_b32_e32 v10, 1, v49
	v_add_u32_e32 v9, 25, v9
	v_cmp_eq_u32_e32 vcc, 1, v10
	v_and_b32_e32 v10, 1, v48
	v_or_b32_e32 v49, 0x1400, v0
	v_cndmask_b32_e32 v7, v9, v7, vcc
	v_lshlrev_b32_e32 v7, 1, v7
	ds_write_b16 v7, v31
	v_sub_u32_e32 v7, v93, v8
	v_sub_u32_e32 v9, v42, v7
	v_add_u32_e32 v9, 26, v9
	v_cmp_eq_u32_e32 vcc, 1, v10
	v_and_b32_e32 v10, 1, v47
	v_or_b32_e32 v47, 0x1600, v0
	v_cndmask_b32_e32 v7, v9, v7, vcc
	v_lshlrev_b32_e32 v7, 1, v7
	ds_write_b16 v7, v11
	v_sub_u32_e32 v7, v94, v8
	v_sub_u32_e32 v9, v42, v7
	;; [unrolled: 9-line block ×3, first 2 shown]
	v_add_u32_e32 v9, 28, v9
	v_cmp_eq_u32_e32 vcc, 1, v10
	s_nop 1
	v_cndmask_b32_e32 v7, v9, v7, vcc
	v_lshlrev_b32_e32 v7, 1, v7
	ds_write_b16 v7, v5
	v_sub_u32_sdwa v5, v45, v8 dst_sel:DWORD dst_unused:UNUSED_PAD src0_sel:BYTE_0 src1_sel:DWORD
	v_add_u32_e32 v5, v95, v5
	v_sub_u32_e32 v7, v42, v5
	v_and_b32_e32 v9, 1, v46
	v_add_u32_e32 v7, 29, v7
	v_cmp_eq_u32_e32 vcc, 1, v9
	v_or_b32_e32 v45, 0x1800, v0
	s_nop 0
	v_cndmask_b32_e32 v5, v7, v5, vcc
	v_lshlrev_b32_e32 v5, 1, v5
	ds_write_b16 v5, v1
	s_waitcnt lgkmcnt(0)
	s_barrier
	ds_read_u16 v69, v4
	ds_read_u16 v68, v4 offset:1024
	ds_read_u16 v66, v4 offset:2048
	;; [unrolled: 1-line block ×29, first 2 shown]
	v_or_b32_e32 v5, 0x3a00, v0
	s_and_b64 vcc, exec, s[2:3]
	s_cbranch_vccnz .LBB2836_141
; %bb.110:
	v_mov_b32_e32 v9, 0
	v_lshl_add_u64 v[10:11], s[28:29], 0, v[12:13]
	v_lshlrev_b64 v[70:71], 1, v[8:9]
	v_lshl_add_u64 v[10:11], v[10:11], 0, v[70:71]
	v_cmp_lt_u32_e32 vcc, v0, v6
	s_and_saveexec_b64 s[0:1], vcc
	s_cbranch_execnz .LBB2836_178
; %bb.111:
	s_or_b64 exec, exec, s[0:1]
	v_cmp_lt_u32_e32 vcc, v67, v6
	s_and_saveexec_b64 s[0:1], vcc
	s_cbranch_execnz .LBB2836_179
.LBB2836_112:
	s_or_b64 exec, exec, s[0:1]
	v_cmp_lt_u32_e32 vcc, v65, v6
	s_and_saveexec_b64 s[0:1], vcc
	s_cbranch_execnz .LBB2836_180
.LBB2836_113:
	s_or_b64 exec, exec, s[0:1]
	v_cmp_lt_u32_e32 vcc, v63, v6
	s_and_saveexec_b64 s[0:1], vcc
	s_cbranch_execnz .LBB2836_181
.LBB2836_114:
	s_or_b64 exec, exec, s[0:1]
	v_cmp_lt_u32_e32 vcc, v61, v6
	s_and_saveexec_b64 s[0:1], vcc
	s_cbranch_execnz .LBB2836_182
.LBB2836_115:
	s_or_b64 exec, exec, s[0:1]
	v_cmp_lt_u32_e32 vcc, v59, v6
	s_and_saveexec_b64 s[0:1], vcc
	s_cbranch_execnz .LBB2836_183
.LBB2836_116:
	s_or_b64 exec, exec, s[0:1]
	v_cmp_lt_u32_e32 vcc, v57, v6
	s_and_saveexec_b64 s[0:1], vcc
	s_cbranch_execnz .LBB2836_184
.LBB2836_117:
	s_or_b64 exec, exec, s[0:1]
	v_cmp_lt_u32_e32 vcc, v54, v6
	s_and_saveexec_b64 s[0:1], vcc
	s_cbranch_execnz .LBB2836_185
.LBB2836_118:
	s_or_b64 exec, exec, s[0:1]
	v_cmp_lt_u32_e32 vcc, v53, v6
	s_and_saveexec_b64 s[0:1], vcc
	s_cbranch_execnz .LBB2836_186
.LBB2836_119:
	s_or_b64 exec, exec, s[0:1]
	v_cmp_lt_u32_e32 vcc, v51, v6
	s_and_saveexec_b64 s[0:1], vcc
	s_cbranch_execnz .LBB2836_187
.LBB2836_120:
	s_or_b64 exec, exec, s[0:1]
	v_cmp_lt_u32_e32 vcc, v49, v6
	s_and_saveexec_b64 s[0:1], vcc
	s_cbranch_execnz .LBB2836_188
.LBB2836_121:
	s_or_b64 exec, exec, s[0:1]
	v_cmp_lt_u32_e32 vcc, v47, v6
	s_and_saveexec_b64 s[0:1], vcc
	s_cbranch_execnz .LBB2836_189
.LBB2836_122:
	s_or_b64 exec, exec, s[0:1]
	v_cmp_lt_u32_e32 vcc, v45, v6
	s_and_saveexec_b64 s[0:1], vcc
	s_cbranch_execnz .LBB2836_190
.LBB2836_123:
	s_or_b64 exec, exec, s[0:1]
	v_cmp_lt_u32_e32 vcc, v43, v6
	s_and_saveexec_b64 s[0:1], vcc
	s_cbranch_execnz .LBB2836_191
.LBB2836_124:
	s_or_b64 exec, exec, s[0:1]
	v_cmp_lt_u32_e32 vcc, v41, v6
	s_and_saveexec_b64 s[0:1], vcc
	s_cbranch_execnz .LBB2836_192
.LBB2836_125:
	s_or_b64 exec, exec, s[0:1]
	v_cmp_lt_u32_e32 vcc, v38, v6
	s_and_saveexec_b64 s[0:1], vcc
	s_cbranch_execnz .LBB2836_193
.LBB2836_126:
	s_or_b64 exec, exec, s[0:1]
	v_cmp_lt_u32_e32 vcc, v37, v6
	s_and_saveexec_b64 s[0:1], vcc
	s_cbranch_execnz .LBB2836_194
.LBB2836_127:
	s_or_b64 exec, exec, s[0:1]
	v_cmp_lt_u32_e32 vcc, v35, v6
	s_and_saveexec_b64 s[0:1], vcc
	s_cbranch_execnz .LBB2836_195
.LBB2836_128:
	s_or_b64 exec, exec, s[0:1]
	v_cmp_lt_u32_e32 vcc, v33, v6
	s_and_saveexec_b64 s[0:1], vcc
	s_cbranch_execnz .LBB2836_196
.LBB2836_129:
	s_or_b64 exec, exec, s[0:1]
	v_cmp_lt_u32_e32 vcc, v31, v6
	s_and_saveexec_b64 s[0:1], vcc
	s_cbranch_execnz .LBB2836_197
.LBB2836_130:
	s_or_b64 exec, exec, s[0:1]
	v_cmp_lt_u32_e32 vcc, v29, v6
	s_and_saveexec_b64 s[0:1], vcc
	s_cbranch_execnz .LBB2836_198
.LBB2836_131:
	s_or_b64 exec, exec, s[0:1]
	v_cmp_lt_u32_e32 vcc, v27, v6
	s_and_saveexec_b64 s[0:1], vcc
	s_cbranch_execnz .LBB2836_199
.LBB2836_132:
	s_or_b64 exec, exec, s[0:1]
	v_cmp_lt_u32_e32 vcc, v25, v6
	s_and_saveexec_b64 s[0:1], vcc
	s_cbranch_execnz .LBB2836_200
.LBB2836_133:
	s_or_b64 exec, exec, s[0:1]
	v_cmp_lt_u32_e32 vcc, v23, v6
	s_and_saveexec_b64 s[0:1], vcc
	s_cbranch_execnz .LBB2836_201
.LBB2836_134:
	s_or_b64 exec, exec, s[0:1]
	v_cmp_lt_u32_e32 vcc, v21, v6
	s_and_saveexec_b64 s[0:1], vcc
	s_cbranch_execnz .LBB2836_202
.LBB2836_135:
	s_or_b64 exec, exec, s[0:1]
	v_cmp_lt_u32_e32 vcc, v19, v6
	s_and_saveexec_b64 s[0:1], vcc
	s_cbranch_execnz .LBB2836_203
.LBB2836_136:
	s_or_b64 exec, exec, s[0:1]
	v_cmp_lt_u32_e32 vcc, v18, v6
	s_and_saveexec_b64 s[0:1], vcc
	s_cbranch_execnz .LBB2836_204
.LBB2836_137:
	s_or_b64 exec, exec, s[0:1]
	v_cmp_lt_u32_e32 vcc, v16, v6
	s_and_saveexec_b64 s[0:1], vcc
	s_cbranch_execnz .LBB2836_205
.LBB2836_138:
	s_or_b64 exec, exec, s[0:1]
	v_cmp_lt_u32_e32 vcc, v14, v6
	s_and_saveexec_b64 s[0:1], vcc
	s_cbranch_execz .LBB2836_140
.LBB2836_139:
	v_lshlrev_b32_e32 v9, 1, v14
	v_readfirstlane_b32 s2, v10
	v_readfirstlane_b32 s3, v11
	s_waitcnt lgkmcnt(1)
	s_nop 3
	global_store_short v9, v7, s[2:3]
.LBB2836_140:
	s_or_b64 exec, exec, s[0:1]
	v_cmp_lt_u32_e64 s[0:1], v5, v6
	s_branch .LBB2836_173
.LBB2836_141:
	s_mov_b64 s[0:1], 0
                                        ; implicit-def: $vgpr10_vgpr11
	s_cbranch_execz .LBB2836_173
; %bb.142:
	v_mov_b32_e32 v9, 0
	v_min_u32_e32 v70, s33, v6
	v_lshl_add_u64 v[10:11], s[28:29], 0, v[12:13]
	v_lshlrev_b64 v[12:13], 1, v[8:9]
	v_lshl_add_u64 v[10:11], v[10:11], 0, v[12:13]
	v_cmp_gt_u32_e32 vcc, v70, v0
	s_and_saveexec_b64 s[0:1], vcc
	s_cbranch_execnz .LBB2836_206
; %bb.143:
	s_or_b64 exec, exec, s[0:1]
	v_cmp_lt_u32_e32 vcc, v67, v70
	s_and_saveexec_b64 s[0:1], vcc
	s_cbranch_execnz .LBB2836_207
.LBB2836_144:
	s_or_b64 exec, exec, s[0:1]
	v_cmp_lt_u32_e32 vcc, v65, v70
	s_and_saveexec_b64 s[0:1], vcc
	s_cbranch_execnz .LBB2836_208
.LBB2836_145:
	s_or_b64 exec, exec, s[0:1]
	v_cmp_lt_u32_e32 vcc, v63, v70
	s_and_saveexec_b64 s[0:1], vcc
	s_cbranch_execnz .LBB2836_209
.LBB2836_146:
	s_or_b64 exec, exec, s[0:1]
	v_cmp_lt_u32_e32 vcc, v61, v70
	s_and_saveexec_b64 s[0:1], vcc
	s_cbranch_execnz .LBB2836_210
.LBB2836_147:
	s_or_b64 exec, exec, s[0:1]
	v_cmp_lt_u32_e32 vcc, v59, v70
	s_and_saveexec_b64 s[0:1], vcc
	s_cbranch_execnz .LBB2836_211
.LBB2836_148:
	s_or_b64 exec, exec, s[0:1]
	v_cmp_lt_u32_e32 vcc, v57, v70
	s_and_saveexec_b64 s[0:1], vcc
	s_cbranch_execnz .LBB2836_212
.LBB2836_149:
	s_or_b64 exec, exec, s[0:1]
	v_cmp_lt_u32_e32 vcc, v54, v70
	s_and_saveexec_b64 s[0:1], vcc
	s_cbranch_execnz .LBB2836_213
.LBB2836_150:
	s_or_b64 exec, exec, s[0:1]
	v_cmp_lt_u32_e32 vcc, v53, v70
	s_and_saveexec_b64 s[0:1], vcc
	s_cbranch_execnz .LBB2836_214
.LBB2836_151:
	s_or_b64 exec, exec, s[0:1]
	v_cmp_lt_u32_e32 vcc, v51, v70
	s_and_saveexec_b64 s[0:1], vcc
	s_cbranch_execnz .LBB2836_215
.LBB2836_152:
	s_or_b64 exec, exec, s[0:1]
	v_cmp_lt_u32_e32 vcc, v49, v70
	s_and_saveexec_b64 s[0:1], vcc
	s_cbranch_execnz .LBB2836_216
.LBB2836_153:
	s_or_b64 exec, exec, s[0:1]
	v_cmp_lt_u32_e32 vcc, v47, v70
	s_and_saveexec_b64 s[0:1], vcc
	s_cbranch_execnz .LBB2836_217
.LBB2836_154:
	s_or_b64 exec, exec, s[0:1]
	v_cmp_lt_u32_e32 vcc, v45, v70
	s_and_saveexec_b64 s[0:1], vcc
	s_cbranch_execnz .LBB2836_218
.LBB2836_155:
	s_or_b64 exec, exec, s[0:1]
	v_cmp_lt_u32_e32 vcc, v43, v70
	s_and_saveexec_b64 s[0:1], vcc
	s_cbranch_execnz .LBB2836_219
.LBB2836_156:
	s_or_b64 exec, exec, s[0:1]
	v_cmp_lt_u32_e32 vcc, v41, v70
	s_and_saveexec_b64 s[0:1], vcc
	s_cbranch_execnz .LBB2836_220
.LBB2836_157:
	s_or_b64 exec, exec, s[0:1]
	v_cmp_lt_u32_e32 vcc, v38, v70
	s_and_saveexec_b64 s[0:1], vcc
	s_cbranch_execnz .LBB2836_221
.LBB2836_158:
	s_or_b64 exec, exec, s[0:1]
	v_cmp_lt_u32_e32 vcc, v37, v70
	s_and_saveexec_b64 s[0:1], vcc
	s_cbranch_execnz .LBB2836_222
.LBB2836_159:
	s_or_b64 exec, exec, s[0:1]
	v_cmp_lt_u32_e32 vcc, v35, v70
	s_and_saveexec_b64 s[0:1], vcc
	s_cbranch_execnz .LBB2836_223
.LBB2836_160:
	s_or_b64 exec, exec, s[0:1]
	v_cmp_lt_u32_e32 vcc, v33, v70
	s_and_saveexec_b64 s[0:1], vcc
	s_cbranch_execnz .LBB2836_224
.LBB2836_161:
	s_or_b64 exec, exec, s[0:1]
	v_cmp_lt_u32_e32 vcc, v31, v70
	s_and_saveexec_b64 s[0:1], vcc
	s_cbranch_execnz .LBB2836_225
.LBB2836_162:
	s_or_b64 exec, exec, s[0:1]
	v_cmp_lt_u32_e32 vcc, v29, v70
	s_and_saveexec_b64 s[0:1], vcc
	s_cbranch_execnz .LBB2836_226
.LBB2836_163:
	s_or_b64 exec, exec, s[0:1]
	v_cmp_lt_u32_e32 vcc, v27, v70
	s_and_saveexec_b64 s[0:1], vcc
	s_cbranch_execnz .LBB2836_227
.LBB2836_164:
	s_or_b64 exec, exec, s[0:1]
	v_cmp_lt_u32_e32 vcc, v25, v70
	s_and_saveexec_b64 s[0:1], vcc
	s_cbranch_execnz .LBB2836_228
.LBB2836_165:
	s_or_b64 exec, exec, s[0:1]
	v_cmp_lt_u32_e32 vcc, v23, v70
	s_and_saveexec_b64 s[0:1], vcc
	s_cbranch_execnz .LBB2836_229
.LBB2836_166:
	s_or_b64 exec, exec, s[0:1]
	v_cmp_lt_u32_e32 vcc, v21, v70
	s_and_saveexec_b64 s[0:1], vcc
	s_cbranch_execnz .LBB2836_230
.LBB2836_167:
	s_or_b64 exec, exec, s[0:1]
	v_cmp_lt_u32_e32 vcc, v19, v70
	s_and_saveexec_b64 s[0:1], vcc
	s_cbranch_execnz .LBB2836_231
.LBB2836_168:
	s_or_b64 exec, exec, s[0:1]
	v_cmp_lt_u32_e32 vcc, v18, v70
	s_and_saveexec_b64 s[0:1], vcc
	s_cbranch_execnz .LBB2836_232
.LBB2836_169:
	s_or_b64 exec, exec, s[0:1]
	v_cmp_lt_u32_e32 vcc, v16, v70
	s_and_saveexec_b64 s[0:1], vcc
	s_cbranch_execnz .LBB2836_233
.LBB2836_170:
	s_or_b64 exec, exec, s[0:1]
	v_cmp_lt_u32_e32 vcc, v14, v70
	s_and_saveexec_b64 s[0:1], vcc
	s_cbranch_execz .LBB2836_172
.LBB2836_171:
	v_lshlrev_b32_e32 v0, 1, v14
	v_readfirstlane_b32 s2, v10
	v_readfirstlane_b32 s3, v11
	s_waitcnt lgkmcnt(1)
	s_nop 3
	global_store_short v0, v7, s[2:3]
.LBB2836_172:
	s_or_b64 exec, exec, s[0:1]
	v_cmp_lt_u32_e64 s[0:1], v5, v70
.LBB2836_173:
	s_and_saveexec_b64 s[2:3], s[0:1]
	s_cbranch_execnz .LBB2836_176
; %bb.174:
	s_or_b64 exec, exec, s[2:3]
	s_and_b64 s[0:1], s[20:21], s[22:23]
	s_and_saveexec_b64 s[2:3], s[0:1]
	s_cbranch_execnz .LBB2836_177
.LBB2836_175:
	s_endpgm
.LBB2836_176:
	v_lshlrev_b32_e32 v0, 1, v5
	v_readfirstlane_b32 s0, v10
	v_readfirstlane_b32 s1, v11
	s_waitcnt lgkmcnt(0)
	s_nop 3
	global_store_short v0, v1, s[0:1]
	s_or_b64 exec, exec, s[2:3]
	s_and_b64 s[0:1], s[20:21], s[22:23]
	s_and_saveexec_b64 s[2:3], s[0:1]
	s_cbranch_execz .LBB2836_175
.LBB2836_177:
	s_waitcnt lgkmcnt(1)
	v_mov_b32_e32 v7, 0
	s_waitcnt lgkmcnt(0)
	v_lshl_add_u64 v[0:1], v[2:3], 0, v[6:7]
	v_mov_b32_e32 v9, v7
	v_lshl_add_u64 v[0:1], v[0:1], 0, v[8:9]
	global_store_dwordx2 v7, v[0:1], s[24:25]
	s_endpgm
.LBB2836_178:
	v_readfirstlane_b32 s2, v10
	v_readfirstlane_b32 s3, v11
	s_waitcnt lgkmcnt(14)
	s_nop 3
	global_store_short v4, v69, s[2:3]
	s_or_b64 exec, exec, s[0:1]
	v_cmp_lt_u32_e32 vcc, v67, v6
	s_and_saveexec_b64 s[0:1], vcc
	s_cbranch_execz .LBB2836_112
.LBB2836_179:
	v_readfirstlane_b32 s2, v10
	v_readfirstlane_b32 s3, v11
	s_waitcnt lgkmcnt(14)
	s_nop 3
	global_store_short v4, v68, s[2:3] offset:1024
	s_or_b64 exec, exec, s[0:1]
	v_cmp_lt_u32_e32 vcc, v65, v6
	s_and_saveexec_b64 s[0:1], vcc
	s_cbranch_execz .LBB2836_113
.LBB2836_180:
	v_readfirstlane_b32 s2, v10
	v_readfirstlane_b32 s3, v11
	s_waitcnt lgkmcnt(14)
	s_nop 3
	global_store_short v4, v66, s[2:3] offset:2048
	s_or_b64 exec, exec, s[0:1]
	v_cmp_lt_u32_e32 vcc, v63, v6
	s_and_saveexec_b64 s[0:1], vcc
	s_cbranch_execz .LBB2836_114
.LBB2836_181:
	v_readfirstlane_b32 s2, v10
	v_readfirstlane_b32 s3, v11
	s_waitcnt lgkmcnt(14)
	s_nop 3
	global_store_short v4, v64, s[2:3] offset:3072
	s_or_b64 exec, exec, s[0:1]
	v_cmp_lt_u32_e32 vcc, v61, v6
	s_and_saveexec_b64 s[0:1], vcc
	s_cbranch_execz .LBB2836_115
.LBB2836_182:
	v_lshlrev_b32_e32 v9, 1, v61
	v_readfirstlane_b32 s2, v10
	v_readfirstlane_b32 s3, v11
	s_waitcnt lgkmcnt(14)
	s_nop 3
	global_store_short v9, v62, s[2:3]
	s_or_b64 exec, exec, s[0:1]
	v_cmp_lt_u32_e32 vcc, v59, v6
	s_and_saveexec_b64 s[0:1], vcc
	s_cbranch_execz .LBB2836_116
.LBB2836_183:
	v_lshlrev_b32_e32 v9, 1, v59
	v_readfirstlane_b32 s2, v10
	v_readfirstlane_b32 s3, v11
	s_waitcnt lgkmcnt(14)
	s_nop 3
	global_store_short v9, v60, s[2:3]
	s_or_b64 exec, exec, s[0:1]
	v_cmp_lt_u32_e32 vcc, v57, v6
	s_and_saveexec_b64 s[0:1], vcc
	s_cbranch_execz .LBB2836_117
.LBB2836_184:
	v_lshlrev_b32_e32 v9, 1, v57
	v_readfirstlane_b32 s2, v10
	v_readfirstlane_b32 s3, v11
	s_waitcnt lgkmcnt(14)
	s_nop 3
	global_store_short v9, v58, s[2:3]
	s_or_b64 exec, exec, s[0:1]
	v_cmp_lt_u32_e32 vcc, v54, v6
	s_and_saveexec_b64 s[0:1], vcc
	s_cbranch_execz .LBB2836_118
.LBB2836_185:
	v_lshlrev_b32_e32 v9, 1, v54
	v_readfirstlane_b32 s2, v10
	v_readfirstlane_b32 s3, v11
	s_waitcnt lgkmcnt(14)
	s_nop 3
	global_store_short v9, v55, s[2:3]
	s_or_b64 exec, exec, s[0:1]
	v_cmp_lt_u32_e32 vcc, v53, v6
	s_and_saveexec_b64 s[0:1], vcc
	s_cbranch_execz .LBB2836_119
.LBB2836_186:
	v_lshlrev_b32_e32 v9, 1, v53
	v_readfirstlane_b32 s2, v10
	v_readfirstlane_b32 s3, v11
	s_waitcnt lgkmcnt(14)
	s_nop 3
	global_store_short v9, v56, s[2:3]
	s_or_b64 exec, exec, s[0:1]
	v_cmp_lt_u32_e32 vcc, v51, v6
	s_and_saveexec_b64 s[0:1], vcc
	s_cbranch_execz .LBB2836_120
.LBB2836_187:
	v_lshlrev_b32_e32 v9, 1, v51
	v_readfirstlane_b32 s2, v10
	v_readfirstlane_b32 s3, v11
	s_waitcnt lgkmcnt(14)
	s_nop 3
	global_store_short v9, v52, s[2:3]
	s_or_b64 exec, exec, s[0:1]
	v_cmp_lt_u32_e32 vcc, v49, v6
	s_and_saveexec_b64 s[0:1], vcc
	s_cbranch_execz .LBB2836_121
.LBB2836_188:
	v_lshlrev_b32_e32 v9, 1, v49
	v_readfirstlane_b32 s2, v10
	v_readfirstlane_b32 s3, v11
	s_waitcnt lgkmcnt(14)
	s_nop 3
	global_store_short v9, v50, s[2:3]
	s_or_b64 exec, exec, s[0:1]
	v_cmp_lt_u32_e32 vcc, v47, v6
	s_and_saveexec_b64 s[0:1], vcc
	s_cbranch_execz .LBB2836_122
.LBB2836_189:
	v_lshlrev_b32_e32 v9, 1, v47
	v_readfirstlane_b32 s2, v10
	v_readfirstlane_b32 s3, v11
	s_waitcnt lgkmcnt(14)
	s_nop 3
	global_store_short v9, v48, s[2:3]
	s_or_b64 exec, exec, s[0:1]
	v_cmp_lt_u32_e32 vcc, v45, v6
	s_and_saveexec_b64 s[0:1], vcc
	s_cbranch_execz .LBB2836_123
.LBB2836_190:
	v_lshlrev_b32_e32 v9, 1, v45
	v_readfirstlane_b32 s2, v10
	v_readfirstlane_b32 s3, v11
	s_waitcnt lgkmcnt(14)
	s_nop 3
	global_store_short v9, v46, s[2:3]
	s_or_b64 exec, exec, s[0:1]
	v_cmp_lt_u32_e32 vcc, v43, v6
	s_and_saveexec_b64 s[0:1], vcc
	s_cbranch_execz .LBB2836_124
.LBB2836_191:
	v_lshlrev_b32_e32 v9, 1, v43
	v_readfirstlane_b32 s2, v10
	v_readfirstlane_b32 s3, v11
	s_waitcnt lgkmcnt(14)
	s_nop 3
	global_store_short v9, v44, s[2:3]
	s_or_b64 exec, exec, s[0:1]
	v_cmp_lt_u32_e32 vcc, v41, v6
	s_and_saveexec_b64 s[0:1], vcc
	s_cbranch_execz .LBB2836_125
.LBB2836_192:
	v_lshlrev_b32_e32 v9, 1, v41
	v_readfirstlane_b32 s2, v10
	v_readfirstlane_b32 s3, v11
	s_waitcnt lgkmcnt(14)
	s_nop 3
	global_store_short v9, v42, s[2:3]
	s_or_b64 exec, exec, s[0:1]
	v_cmp_lt_u32_e32 vcc, v38, v6
	s_and_saveexec_b64 s[0:1], vcc
	s_cbranch_execz .LBB2836_126
.LBB2836_193:
	v_lshlrev_b32_e32 v9, 1, v38
	v_readfirstlane_b32 s2, v10
	v_readfirstlane_b32 s3, v11
	s_waitcnt lgkmcnt(14)
	s_nop 3
	global_store_short v9, v39, s[2:3]
	s_or_b64 exec, exec, s[0:1]
	v_cmp_lt_u32_e32 vcc, v37, v6
	s_and_saveexec_b64 s[0:1], vcc
	s_cbranch_execz .LBB2836_127
.LBB2836_194:
	v_lshlrev_b32_e32 v9, 1, v37
	v_readfirstlane_b32 s2, v10
	v_readfirstlane_b32 s3, v11
	s_waitcnt lgkmcnt(13)
	s_nop 3
	global_store_short v9, v40, s[2:3]
	s_or_b64 exec, exec, s[0:1]
	v_cmp_lt_u32_e32 vcc, v35, v6
	s_and_saveexec_b64 s[0:1], vcc
	s_cbranch_execz .LBB2836_128
.LBB2836_195:
	v_lshlrev_b32_e32 v9, 1, v35
	v_readfirstlane_b32 s2, v10
	v_readfirstlane_b32 s3, v11
	s_waitcnt lgkmcnt(12)
	s_nop 3
	global_store_short v9, v36, s[2:3]
	s_or_b64 exec, exec, s[0:1]
	v_cmp_lt_u32_e32 vcc, v33, v6
	s_and_saveexec_b64 s[0:1], vcc
	s_cbranch_execz .LBB2836_129
.LBB2836_196:
	v_lshlrev_b32_e32 v9, 1, v33
	v_readfirstlane_b32 s2, v10
	v_readfirstlane_b32 s3, v11
	s_waitcnt lgkmcnt(11)
	s_nop 3
	global_store_short v9, v34, s[2:3]
	s_or_b64 exec, exec, s[0:1]
	v_cmp_lt_u32_e32 vcc, v31, v6
	s_and_saveexec_b64 s[0:1], vcc
	s_cbranch_execz .LBB2836_130
.LBB2836_197:
	v_lshlrev_b32_e32 v9, 1, v31
	v_readfirstlane_b32 s2, v10
	v_readfirstlane_b32 s3, v11
	s_waitcnt lgkmcnt(10)
	s_nop 3
	global_store_short v9, v32, s[2:3]
	s_or_b64 exec, exec, s[0:1]
	v_cmp_lt_u32_e32 vcc, v29, v6
	s_and_saveexec_b64 s[0:1], vcc
	s_cbranch_execz .LBB2836_131
.LBB2836_198:
	v_lshlrev_b32_e32 v9, 1, v29
	v_readfirstlane_b32 s2, v10
	v_readfirstlane_b32 s3, v11
	s_waitcnt lgkmcnt(9)
	s_nop 3
	global_store_short v9, v30, s[2:3]
	s_or_b64 exec, exec, s[0:1]
	v_cmp_lt_u32_e32 vcc, v27, v6
	s_and_saveexec_b64 s[0:1], vcc
	s_cbranch_execz .LBB2836_132
.LBB2836_199:
	v_lshlrev_b32_e32 v9, 1, v27
	v_readfirstlane_b32 s2, v10
	v_readfirstlane_b32 s3, v11
	s_waitcnt lgkmcnt(8)
	s_nop 3
	global_store_short v9, v28, s[2:3]
	s_or_b64 exec, exec, s[0:1]
	v_cmp_lt_u32_e32 vcc, v25, v6
	s_and_saveexec_b64 s[0:1], vcc
	s_cbranch_execz .LBB2836_133
.LBB2836_200:
	v_lshlrev_b32_e32 v9, 1, v25
	v_readfirstlane_b32 s2, v10
	v_readfirstlane_b32 s3, v11
	s_waitcnt lgkmcnt(7)
	s_nop 3
	global_store_short v9, v26, s[2:3]
	s_or_b64 exec, exec, s[0:1]
	v_cmp_lt_u32_e32 vcc, v23, v6
	s_and_saveexec_b64 s[0:1], vcc
	s_cbranch_execz .LBB2836_134
.LBB2836_201:
	v_lshlrev_b32_e32 v9, 1, v23
	v_readfirstlane_b32 s2, v10
	v_readfirstlane_b32 s3, v11
	s_waitcnt lgkmcnt(6)
	s_nop 3
	global_store_short v9, v24, s[2:3]
	s_or_b64 exec, exec, s[0:1]
	v_cmp_lt_u32_e32 vcc, v21, v6
	s_and_saveexec_b64 s[0:1], vcc
	s_cbranch_execz .LBB2836_135
.LBB2836_202:
	v_lshlrev_b32_e32 v9, 1, v21
	v_readfirstlane_b32 s2, v10
	v_readfirstlane_b32 s3, v11
	s_waitcnt lgkmcnt(5)
	s_nop 3
	global_store_short v9, v22, s[2:3]
	s_or_b64 exec, exec, s[0:1]
	v_cmp_lt_u32_e32 vcc, v19, v6
	s_and_saveexec_b64 s[0:1], vcc
	s_cbranch_execz .LBB2836_136
.LBB2836_203:
	v_lshlrev_b32_e32 v9, 1, v19
	v_readfirstlane_b32 s2, v10
	v_readfirstlane_b32 s3, v11
	s_waitcnt lgkmcnt(4)
	s_nop 3
	global_store_short v9, v20, s[2:3]
	s_or_b64 exec, exec, s[0:1]
	v_cmp_lt_u32_e32 vcc, v18, v6
	s_and_saveexec_b64 s[0:1], vcc
	s_cbranch_execz .LBB2836_137
.LBB2836_204:
	v_lshlrev_b32_e32 v9, 1, v18
	v_readfirstlane_b32 s2, v10
	v_readfirstlane_b32 s3, v11
	s_waitcnt lgkmcnt(3)
	s_nop 3
	global_store_short v9, v17, s[2:3]
	s_or_b64 exec, exec, s[0:1]
	v_cmp_lt_u32_e32 vcc, v16, v6
	s_and_saveexec_b64 s[0:1], vcc
	s_cbranch_execz .LBB2836_138
.LBB2836_205:
	v_lshlrev_b32_e32 v9, 1, v16
	v_readfirstlane_b32 s2, v10
	v_readfirstlane_b32 s3, v11
	s_waitcnt lgkmcnt(2)
	s_nop 3
	global_store_short v9, v15, s[2:3]
	s_or_b64 exec, exec, s[0:1]
	v_cmp_lt_u32_e32 vcc, v14, v6
	s_and_saveexec_b64 s[0:1], vcc
	s_cbranch_execnz .LBB2836_139
	s_branch .LBB2836_140
.LBB2836_206:
	v_readfirstlane_b32 s2, v10
	v_readfirstlane_b32 s3, v11
	s_waitcnt lgkmcnt(14)
	s_nop 3
	global_store_short v4, v69, s[2:3]
	s_or_b64 exec, exec, s[0:1]
	v_cmp_lt_u32_e32 vcc, v67, v70
	s_and_saveexec_b64 s[0:1], vcc
	s_cbranch_execz .LBB2836_144
.LBB2836_207:
	v_readfirstlane_b32 s2, v10
	v_readfirstlane_b32 s3, v11
	s_waitcnt lgkmcnt(14)
	s_nop 3
	global_store_short v4, v68, s[2:3] offset:1024
	s_or_b64 exec, exec, s[0:1]
	v_cmp_lt_u32_e32 vcc, v65, v70
	s_and_saveexec_b64 s[0:1], vcc
	s_cbranch_execz .LBB2836_145
.LBB2836_208:
	v_readfirstlane_b32 s2, v10
	v_readfirstlane_b32 s3, v11
	s_waitcnt lgkmcnt(14)
	s_nop 3
	global_store_short v4, v66, s[2:3] offset:2048
	s_or_b64 exec, exec, s[0:1]
	v_cmp_lt_u32_e32 vcc, v63, v70
	s_and_saveexec_b64 s[0:1], vcc
	s_cbranch_execz .LBB2836_146
.LBB2836_209:
	v_readfirstlane_b32 s2, v10
	v_readfirstlane_b32 s3, v11
	s_waitcnt lgkmcnt(14)
	s_nop 3
	global_store_short v4, v64, s[2:3] offset:3072
	s_or_b64 exec, exec, s[0:1]
	v_cmp_lt_u32_e32 vcc, v61, v70
	s_and_saveexec_b64 s[0:1], vcc
	s_cbranch_execz .LBB2836_147
.LBB2836_210:
	v_lshlrev_b32_e32 v0, 1, v61
	v_readfirstlane_b32 s2, v10
	v_readfirstlane_b32 s3, v11
	s_waitcnt lgkmcnt(14)
	s_nop 3
	global_store_short v0, v62, s[2:3]
	s_or_b64 exec, exec, s[0:1]
	v_cmp_lt_u32_e32 vcc, v59, v70
	s_and_saveexec_b64 s[0:1], vcc
	s_cbranch_execz .LBB2836_148
.LBB2836_211:
	v_lshlrev_b32_e32 v0, 1, v59
	v_readfirstlane_b32 s2, v10
	v_readfirstlane_b32 s3, v11
	s_waitcnt lgkmcnt(14)
	s_nop 3
	global_store_short v0, v60, s[2:3]
	s_or_b64 exec, exec, s[0:1]
	v_cmp_lt_u32_e32 vcc, v57, v70
	s_and_saveexec_b64 s[0:1], vcc
	s_cbranch_execz .LBB2836_149
.LBB2836_212:
	v_lshlrev_b32_e32 v0, 1, v57
	v_readfirstlane_b32 s2, v10
	v_readfirstlane_b32 s3, v11
	s_waitcnt lgkmcnt(14)
	s_nop 3
	global_store_short v0, v58, s[2:3]
	s_or_b64 exec, exec, s[0:1]
	v_cmp_lt_u32_e32 vcc, v54, v70
	s_and_saveexec_b64 s[0:1], vcc
	s_cbranch_execz .LBB2836_150
.LBB2836_213:
	v_lshlrev_b32_e32 v0, 1, v54
	v_readfirstlane_b32 s2, v10
	v_readfirstlane_b32 s3, v11
	s_waitcnt lgkmcnt(14)
	s_nop 3
	global_store_short v0, v55, s[2:3]
	s_or_b64 exec, exec, s[0:1]
	v_cmp_lt_u32_e32 vcc, v53, v70
	s_and_saveexec_b64 s[0:1], vcc
	s_cbranch_execz .LBB2836_151
.LBB2836_214:
	v_lshlrev_b32_e32 v0, 1, v53
	v_readfirstlane_b32 s2, v10
	v_readfirstlane_b32 s3, v11
	s_waitcnt lgkmcnt(14)
	s_nop 3
	global_store_short v0, v56, s[2:3]
	s_or_b64 exec, exec, s[0:1]
	v_cmp_lt_u32_e32 vcc, v51, v70
	s_and_saveexec_b64 s[0:1], vcc
	s_cbranch_execz .LBB2836_152
.LBB2836_215:
	v_lshlrev_b32_e32 v0, 1, v51
	v_readfirstlane_b32 s2, v10
	v_readfirstlane_b32 s3, v11
	s_waitcnt lgkmcnt(14)
	s_nop 3
	global_store_short v0, v52, s[2:3]
	s_or_b64 exec, exec, s[0:1]
	v_cmp_lt_u32_e32 vcc, v49, v70
	s_and_saveexec_b64 s[0:1], vcc
	s_cbranch_execz .LBB2836_153
.LBB2836_216:
	v_lshlrev_b32_e32 v0, 1, v49
	v_readfirstlane_b32 s2, v10
	v_readfirstlane_b32 s3, v11
	s_waitcnt lgkmcnt(14)
	s_nop 3
	global_store_short v0, v50, s[2:3]
	s_or_b64 exec, exec, s[0:1]
	v_cmp_lt_u32_e32 vcc, v47, v70
	s_and_saveexec_b64 s[0:1], vcc
	s_cbranch_execz .LBB2836_154
.LBB2836_217:
	v_lshlrev_b32_e32 v0, 1, v47
	v_readfirstlane_b32 s2, v10
	v_readfirstlane_b32 s3, v11
	s_waitcnt lgkmcnt(14)
	s_nop 3
	global_store_short v0, v48, s[2:3]
	s_or_b64 exec, exec, s[0:1]
	v_cmp_lt_u32_e32 vcc, v45, v70
	s_and_saveexec_b64 s[0:1], vcc
	s_cbranch_execz .LBB2836_155
.LBB2836_218:
	v_lshlrev_b32_e32 v0, 1, v45
	v_readfirstlane_b32 s2, v10
	v_readfirstlane_b32 s3, v11
	s_waitcnt lgkmcnt(14)
	s_nop 3
	global_store_short v0, v46, s[2:3]
	s_or_b64 exec, exec, s[0:1]
	v_cmp_lt_u32_e32 vcc, v43, v70
	s_and_saveexec_b64 s[0:1], vcc
	s_cbranch_execz .LBB2836_156
.LBB2836_219:
	v_lshlrev_b32_e32 v0, 1, v43
	v_readfirstlane_b32 s2, v10
	v_readfirstlane_b32 s3, v11
	s_waitcnt lgkmcnt(14)
	s_nop 3
	global_store_short v0, v44, s[2:3]
	s_or_b64 exec, exec, s[0:1]
	v_cmp_lt_u32_e32 vcc, v41, v70
	s_and_saveexec_b64 s[0:1], vcc
	s_cbranch_execz .LBB2836_157
.LBB2836_220:
	v_lshlrev_b32_e32 v0, 1, v41
	v_readfirstlane_b32 s2, v10
	v_readfirstlane_b32 s3, v11
	s_waitcnt lgkmcnt(14)
	s_nop 3
	global_store_short v0, v42, s[2:3]
	s_or_b64 exec, exec, s[0:1]
	v_cmp_lt_u32_e32 vcc, v38, v70
	s_and_saveexec_b64 s[0:1], vcc
	s_cbranch_execz .LBB2836_158
.LBB2836_221:
	v_lshlrev_b32_e32 v0, 1, v38
	v_readfirstlane_b32 s2, v10
	v_readfirstlane_b32 s3, v11
	s_waitcnt lgkmcnt(14)
	s_nop 3
	global_store_short v0, v39, s[2:3]
	s_or_b64 exec, exec, s[0:1]
	v_cmp_lt_u32_e32 vcc, v37, v70
	s_and_saveexec_b64 s[0:1], vcc
	s_cbranch_execz .LBB2836_159
.LBB2836_222:
	v_lshlrev_b32_e32 v0, 1, v37
	v_readfirstlane_b32 s2, v10
	v_readfirstlane_b32 s3, v11
	s_waitcnt lgkmcnt(13)
	s_nop 3
	global_store_short v0, v40, s[2:3]
	s_or_b64 exec, exec, s[0:1]
	v_cmp_lt_u32_e32 vcc, v35, v70
	s_and_saveexec_b64 s[0:1], vcc
	s_cbranch_execz .LBB2836_160
.LBB2836_223:
	v_lshlrev_b32_e32 v0, 1, v35
	v_readfirstlane_b32 s2, v10
	v_readfirstlane_b32 s3, v11
	s_waitcnt lgkmcnt(12)
	s_nop 3
	global_store_short v0, v36, s[2:3]
	s_or_b64 exec, exec, s[0:1]
	v_cmp_lt_u32_e32 vcc, v33, v70
	s_and_saveexec_b64 s[0:1], vcc
	s_cbranch_execz .LBB2836_161
.LBB2836_224:
	v_lshlrev_b32_e32 v0, 1, v33
	v_readfirstlane_b32 s2, v10
	v_readfirstlane_b32 s3, v11
	s_waitcnt lgkmcnt(11)
	s_nop 3
	global_store_short v0, v34, s[2:3]
	s_or_b64 exec, exec, s[0:1]
	v_cmp_lt_u32_e32 vcc, v31, v70
	s_and_saveexec_b64 s[0:1], vcc
	s_cbranch_execz .LBB2836_162
.LBB2836_225:
	v_lshlrev_b32_e32 v0, 1, v31
	v_readfirstlane_b32 s2, v10
	v_readfirstlane_b32 s3, v11
	s_waitcnt lgkmcnt(10)
	s_nop 3
	global_store_short v0, v32, s[2:3]
	s_or_b64 exec, exec, s[0:1]
	v_cmp_lt_u32_e32 vcc, v29, v70
	s_and_saveexec_b64 s[0:1], vcc
	s_cbranch_execz .LBB2836_163
.LBB2836_226:
	v_lshlrev_b32_e32 v0, 1, v29
	v_readfirstlane_b32 s2, v10
	v_readfirstlane_b32 s3, v11
	s_waitcnt lgkmcnt(9)
	s_nop 3
	global_store_short v0, v30, s[2:3]
	s_or_b64 exec, exec, s[0:1]
	v_cmp_lt_u32_e32 vcc, v27, v70
	s_and_saveexec_b64 s[0:1], vcc
	s_cbranch_execz .LBB2836_164
.LBB2836_227:
	v_lshlrev_b32_e32 v0, 1, v27
	v_readfirstlane_b32 s2, v10
	v_readfirstlane_b32 s3, v11
	s_waitcnt lgkmcnt(8)
	s_nop 3
	global_store_short v0, v28, s[2:3]
	s_or_b64 exec, exec, s[0:1]
	v_cmp_lt_u32_e32 vcc, v25, v70
	s_and_saveexec_b64 s[0:1], vcc
	s_cbranch_execz .LBB2836_165
.LBB2836_228:
	v_lshlrev_b32_e32 v0, 1, v25
	v_readfirstlane_b32 s2, v10
	v_readfirstlane_b32 s3, v11
	s_waitcnt lgkmcnt(7)
	s_nop 3
	global_store_short v0, v26, s[2:3]
	s_or_b64 exec, exec, s[0:1]
	v_cmp_lt_u32_e32 vcc, v23, v70
	s_and_saveexec_b64 s[0:1], vcc
	s_cbranch_execz .LBB2836_166
.LBB2836_229:
	v_lshlrev_b32_e32 v0, 1, v23
	v_readfirstlane_b32 s2, v10
	v_readfirstlane_b32 s3, v11
	s_waitcnt lgkmcnt(6)
	s_nop 3
	global_store_short v0, v24, s[2:3]
	s_or_b64 exec, exec, s[0:1]
	v_cmp_lt_u32_e32 vcc, v21, v70
	s_and_saveexec_b64 s[0:1], vcc
	s_cbranch_execz .LBB2836_167
.LBB2836_230:
	v_lshlrev_b32_e32 v0, 1, v21
	v_readfirstlane_b32 s2, v10
	v_readfirstlane_b32 s3, v11
	s_waitcnt lgkmcnt(5)
	s_nop 3
	global_store_short v0, v22, s[2:3]
	s_or_b64 exec, exec, s[0:1]
	v_cmp_lt_u32_e32 vcc, v19, v70
	s_and_saveexec_b64 s[0:1], vcc
	s_cbranch_execz .LBB2836_168
.LBB2836_231:
	v_lshlrev_b32_e32 v0, 1, v19
	v_readfirstlane_b32 s2, v10
	v_readfirstlane_b32 s3, v11
	s_waitcnt lgkmcnt(4)
	s_nop 3
	global_store_short v0, v20, s[2:3]
	s_or_b64 exec, exec, s[0:1]
	v_cmp_lt_u32_e32 vcc, v18, v70
	s_and_saveexec_b64 s[0:1], vcc
	s_cbranch_execz .LBB2836_169
.LBB2836_232:
	v_lshlrev_b32_e32 v0, 1, v18
	v_readfirstlane_b32 s2, v10
	v_readfirstlane_b32 s3, v11
	s_waitcnt lgkmcnt(3)
	s_nop 3
	global_store_short v0, v17, s[2:3]
	s_or_b64 exec, exec, s[0:1]
	v_cmp_lt_u32_e32 vcc, v16, v70
	s_and_saveexec_b64 s[0:1], vcc
	s_cbranch_execz .LBB2836_170
.LBB2836_233:
	v_lshlrev_b32_e32 v0, 1, v16
	v_readfirstlane_b32 s2, v10
	v_readfirstlane_b32 s3, v11
	s_waitcnt lgkmcnt(2)
	s_nop 3
	global_store_short v0, v15, s[2:3]
	s_or_b64 exec, exec, s[0:1]
	v_cmp_lt_u32_e32 vcc, v14, v70
	s_and_saveexec_b64 s[0:1], vcc
	s_cbranch_execnz .LBB2836_171
	s_branch .LBB2836_172
	.section	.rodata,"a",@progbits
	.p2align	6, 0x0
	.amdhsa_kernel _ZN7rocprim17ROCPRIM_400000_NS6detail17trampoline_kernelINS0_14default_configENS1_25partition_config_selectorILNS1_17partition_subalgoE0EsNS0_10empty_typeEbEEZZNS1_14partition_implILS5_0ELb0ES3_jN6thrust23THRUST_200600_302600_NS6detail15normal_iteratorINSA_10device_ptrIsEEEEPS6_SG_NS0_5tupleIJSF_NSA_16discard_iteratorINSA_11use_defaultEEEEEENSH_IJSG_SG_EEES6_PlJ7is_evenIsEEEE10hipError_tPvRmT3_T4_T5_T6_T7_T9_mT8_P12ihipStream_tbDpT10_ENKUlT_T0_E_clISt17integral_constantIbLb0EES18_IbLb1EEEEDaS14_S15_EUlS14_E_NS1_11comp_targetILNS1_3genE5ELNS1_11target_archE942ELNS1_3gpuE9ELNS1_3repE0EEENS1_30default_config_static_selectorELNS0_4arch9wavefront6targetE1EEEvT1_
		.amdhsa_group_segment_fixed_size 30728
		.amdhsa_private_segment_fixed_size 0
		.amdhsa_kernarg_size 144
		.amdhsa_user_sgpr_count 2
		.amdhsa_user_sgpr_dispatch_ptr 0
		.amdhsa_user_sgpr_queue_ptr 0
		.amdhsa_user_sgpr_kernarg_segment_ptr 1
		.amdhsa_user_sgpr_dispatch_id 0
		.amdhsa_user_sgpr_kernarg_preload_length 0
		.amdhsa_user_sgpr_kernarg_preload_offset 0
		.amdhsa_user_sgpr_private_segment_size 0
		.amdhsa_uses_dynamic_stack 0
		.amdhsa_enable_private_segment 0
		.amdhsa_system_sgpr_workgroup_id_x 1
		.amdhsa_system_sgpr_workgroup_id_y 0
		.amdhsa_system_sgpr_workgroup_id_z 0
		.amdhsa_system_sgpr_workgroup_info 0
		.amdhsa_system_vgpr_workitem_id 0
		.amdhsa_next_free_vgpr 122
		.amdhsa_next_free_sgpr 40
		.amdhsa_accum_offset 124
		.amdhsa_reserve_vcc 1
		.amdhsa_float_round_mode_32 0
		.amdhsa_float_round_mode_16_64 0
		.amdhsa_float_denorm_mode_32 3
		.amdhsa_float_denorm_mode_16_64 3
		.amdhsa_dx10_clamp 1
		.amdhsa_ieee_mode 1
		.amdhsa_fp16_overflow 0
		.amdhsa_tg_split 0
		.amdhsa_exception_fp_ieee_invalid_op 0
		.amdhsa_exception_fp_denorm_src 0
		.amdhsa_exception_fp_ieee_div_zero 0
		.amdhsa_exception_fp_ieee_overflow 0
		.amdhsa_exception_fp_ieee_underflow 0
		.amdhsa_exception_fp_ieee_inexact 0
		.amdhsa_exception_int_div_zero 0
	.end_amdhsa_kernel
	.section	.text._ZN7rocprim17ROCPRIM_400000_NS6detail17trampoline_kernelINS0_14default_configENS1_25partition_config_selectorILNS1_17partition_subalgoE0EsNS0_10empty_typeEbEEZZNS1_14partition_implILS5_0ELb0ES3_jN6thrust23THRUST_200600_302600_NS6detail15normal_iteratorINSA_10device_ptrIsEEEEPS6_SG_NS0_5tupleIJSF_NSA_16discard_iteratorINSA_11use_defaultEEEEEENSH_IJSG_SG_EEES6_PlJ7is_evenIsEEEE10hipError_tPvRmT3_T4_T5_T6_T7_T9_mT8_P12ihipStream_tbDpT10_ENKUlT_T0_E_clISt17integral_constantIbLb0EES18_IbLb1EEEEDaS14_S15_EUlS14_E_NS1_11comp_targetILNS1_3genE5ELNS1_11target_archE942ELNS1_3gpuE9ELNS1_3repE0EEENS1_30default_config_static_selectorELNS0_4arch9wavefront6targetE1EEEvT1_,"axG",@progbits,_ZN7rocprim17ROCPRIM_400000_NS6detail17trampoline_kernelINS0_14default_configENS1_25partition_config_selectorILNS1_17partition_subalgoE0EsNS0_10empty_typeEbEEZZNS1_14partition_implILS5_0ELb0ES3_jN6thrust23THRUST_200600_302600_NS6detail15normal_iteratorINSA_10device_ptrIsEEEEPS6_SG_NS0_5tupleIJSF_NSA_16discard_iteratorINSA_11use_defaultEEEEEENSH_IJSG_SG_EEES6_PlJ7is_evenIsEEEE10hipError_tPvRmT3_T4_T5_T6_T7_T9_mT8_P12ihipStream_tbDpT10_ENKUlT_T0_E_clISt17integral_constantIbLb0EES18_IbLb1EEEEDaS14_S15_EUlS14_E_NS1_11comp_targetILNS1_3genE5ELNS1_11target_archE942ELNS1_3gpuE9ELNS1_3repE0EEENS1_30default_config_static_selectorELNS0_4arch9wavefront6targetE1EEEvT1_,comdat
.Lfunc_end2836:
	.size	_ZN7rocprim17ROCPRIM_400000_NS6detail17trampoline_kernelINS0_14default_configENS1_25partition_config_selectorILNS1_17partition_subalgoE0EsNS0_10empty_typeEbEEZZNS1_14partition_implILS5_0ELb0ES3_jN6thrust23THRUST_200600_302600_NS6detail15normal_iteratorINSA_10device_ptrIsEEEEPS6_SG_NS0_5tupleIJSF_NSA_16discard_iteratorINSA_11use_defaultEEEEEENSH_IJSG_SG_EEES6_PlJ7is_evenIsEEEE10hipError_tPvRmT3_T4_T5_T6_T7_T9_mT8_P12ihipStream_tbDpT10_ENKUlT_T0_E_clISt17integral_constantIbLb0EES18_IbLb1EEEEDaS14_S15_EUlS14_E_NS1_11comp_targetILNS1_3genE5ELNS1_11target_archE942ELNS1_3gpuE9ELNS1_3repE0EEENS1_30default_config_static_selectorELNS0_4arch9wavefront6targetE1EEEvT1_, .Lfunc_end2836-_ZN7rocprim17ROCPRIM_400000_NS6detail17trampoline_kernelINS0_14default_configENS1_25partition_config_selectorILNS1_17partition_subalgoE0EsNS0_10empty_typeEbEEZZNS1_14partition_implILS5_0ELb0ES3_jN6thrust23THRUST_200600_302600_NS6detail15normal_iteratorINSA_10device_ptrIsEEEEPS6_SG_NS0_5tupleIJSF_NSA_16discard_iteratorINSA_11use_defaultEEEEEENSH_IJSG_SG_EEES6_PlJ7is_evenIsEEEE10hipError_tPvRmT3_T4_T5_T6_T7_T9_mT8_P12ihipStream_tbDpT10_ENKUlT_T0_E_clISt17integral_constantIbLb0EES18_IbLb1EEEEDaS14_S15_EUlS14_E_NS1_11comp_targetILNS1_3genE5ELNS1_11target_archE942ELNS1_3gpuE9ELNS1_3repE0EEENS1_30default_config_static_selectorELNS0_4arch9wavefront6targetE1EEEvT1_
                                        ; -- End function
	.section	.AMDGPU.csdata,"",@progbits
; Kernel info:
; codeLenInByte = 11324
; NumSgprs: 46
; NumVgprs: 122
; NumAgprs: 0
; TotalNumVgprs: 122
; ScratchSize: 0
; MemoryBound: 0
; FloatMode: 240
; IeeeMode: 1
; LDSByteSize: 30728 bytes/workgroup (compile time only)
; SGPRBlocks: 5
; VGPRBlocks: 15
; NumSGPRsForWavesPerEU: 46
; NumVGPRsForWavesPerEU: 122
; AccumOffset: 124
; Occupancy: 4
; WaveLimiterHint : 1
; COMPUTE_PGM_RSRC2:SCRATCH_EN: 0
; COMPUTE_PGM_RSRC2:USER_SGPR: 2
; COMPUTE_PGM_RSRC2:TRAP_HANDLER: 0
; COMPUTE_PGM_RSRC2:TGID_X_EN: 1
; COMPUTE_PGM_RSRC2:TGID_Y_EN: 0
; COMPUTE_PGM_RSRC2:TGID_Z_EN: 0
; COMPUTE_PGM_RSRC2:TIDIG_COMP_CNT: 0
; COMPUTE_PGM_RSRC3_GFX90A:ACCUM_OFFSET: 30
; COMPUTE_PGM_RSRC3_GFX90A:TG_SPLIT: 0
	.section	.text._ZN7rocprim17ROCPRIM_400000_NS6detail17trampoline_kernelINS0_14default_configENS1_25partition_config_selectorILNS1_17partition_subalgoE0EsNS0_10empty_typeEbEEZZNS1_14partition_implILS5_0ELb0ES3_jN6thrust23THRUST_200600_302600_NS6detail15normal_iteratorINSA_10device_ptrIsEEEEPS6_SG_NS0_5tupleIJSF_NSA_16discard_iteratorINSA_11use_defaultEEEEEENSH_IJSG_SG_EEES6_PlJ7is_evenIsEEEE10hipError_tPvRmT3_T4_T5_T6_T7_T9_mT8_P12ihipStream_tbDpT10_ENKUlT_T0_E_clISt17integral_constantIbLb0EES18_IbLb1EEEEDaS14_S15_EUlS14_E_NS1_11comp_targetILNS1_3genE4ELNS1_11target_archE910ELNS1_3gpuE8ELNS1_3repE0EEENS1_30default_config_static_selectorELNS0_4arch9wavefront6targetE1EEEvT1_,"axG",@progbits,_ZN7rocprim17ROCPRIM_400000_NS6detail17trampoline_kernelINS0_14default_configENS1_25partition_config_selectorILNS1_17partition_subalgoE0EsNS0_10empty_typeEbEEZZNS1_14partition_implILS5_0ELb0ES3_jN6thrust23THRUST_200600_302600_NS6detail15normal_iteratorINSA_10device_ptrIsEEEEPS6_SG_NS0_5tupleIJSF_NSA_16discard_iteratorINSA_11use_defaultEEEEEENSH_IJSG_SG_EEES6_PlJ7is_evenIsEEEE10hipError_tPvRmT3_T4_T5_T6_T7_T9_mT8_P12ihipStream_tbDpT10_ENKUlT_T0_E_clISt17integral_constantIbLb0EES18_IbLb1EEEEDaS14_S15_EUlS14_E_NS1_11comp_targetILNS1_3genE4ELNS1_11target_archE910ELNS1_3gpuE8ELNS1_3repE0EEENS1_30default_config_static_selectorELNS0_4arch9wavefront6targetE1EEEvT1_,comdat
	.protected	_ZN7rocprim17ROCPRIM_400000_NS6detail17trampoline_kernelINS0_14default_configENS1_25partition_config_selectorILNS1_17partition_subalgoE0EsNS0_10empty_typeEbEEZZNS1_14partition_implILS5_0ELb0ES3_jN6thrust23THRUST_200600_302600_NS6detail15normal_iteratorINSA_10device_ptrIsEEEEPS6_SG_NS0_5tupleIJSF_NSA_16discard_iteratorINSA_11use_defaultEEEEEENSH_IJSG_SG_EEES6_PlJ7is_evenIsEEEE10hipError_tPvRmT3_T4_T5_T6_T7_T9_mT8_P12ihipStream_tbDpT10_ENKUlT_T0_E_clISt17integral_constantIbLb0EES18_IbLb1EEEEDaS14_S15_EUlS14_E_NS1_11comp_targetILNS1_3genE4ELNS1_11target_archE910ELNS1_3gpuE8ELNS1_3repE0EEENS1_30default_config_static_selectorELNS0_4arch9wavefront6targetE1EEEvT1_ ; -- Begin function _ZN7rocprim17ROCPRIM_400000_NS6detail17trampoline_kernelINS0_14default_configENS1_25partition_config_selectorILNS1_17partition_subalgoE0EsNS0_10empty_typeEbEEZZNS1_14partition_implILS5_0ELb0ES3_jN6thrust23THRUST_200600_302600_NS6detail15normal_iteratorINSA_10device_ptrIsEEEEPS6_SG_NS0_5tupleIJSF_NSA_16discard_iteratorINSA_11use_defaultEEEEEENSH_IJSG_SG_EEES6_PlJ7is_evenIsEEEE10hipError_tPvRmT3_T4_T5_T6_T7_T9_mT8_P12ihipStream_tbDpT10_ENKUlT_T0_E_clISt17integral_constantIbLb0EES18_IbLb1EEEEDaS14_S15_EUlS14_E_NS1_11comp_targetILNS1_3genE4ELNS1_11target_archE910ELNS1_3gpuE8ELNS1_3repE0EEENS1_30default_config_static_selectorELNS0_4arch9wavefront6targetE1EEEvT1_
	.globl	_ZN7rocprim17ROCPRIM_400000_NS6detail17trampoline_kernelINS0_14default_configENS1_25partition_config_selectorILNS1_17partition_subalgoE0EsNS0_10empty_typeEbEEZZNS1_14partition_implILS5_0ELb0ES3_jN6thrust23THRUST_200600_302600_NS6detail15normal_iteratorINSA_10device_ptrIsEEEEPS6_SG_NS0_5tupleIJSF_NSA_16discard_iteratorINSA_11use_defaultEEEEEENSH_IJSG_SG_EEES6_PlJ7is_evenIsEEEE10hipError_tPvRmT3_T4_T5_T6_T7_T9_mT8_P12ihipStream_tbDpT10_ENKUlT_T0_E_clISt17integral_constantIbLb0EES18_IbLb1EEEEDaS14_S15_EUlS14_E_NS1_11comp_targetILNS1_3genE4ELNS1_11target_archE910ELNS1_3gpuE8ELNS1_3repE0EEENS1_30default_config_static_selectorELNS0_4arch9wavefront6targetE1EEEvT1_
	.p2align	8
	.type	_ZN7rocprim17ROCPRIM_400000_NS6detail17trampoline_kernelINS0_14default_configENS1_25partition_config_selectorILNS1_17partition_subalgoE0EsNS0_10empty_typeEbEEZZNS1_14partition_implILS5_0ELb0ES3_jN6thrust23THRUST_200600_302600_NS6detail15normal_iteratorINSA_10device_ptrIsEEEEPS6_SG_NS0_5tupleIJSF_NSA_16discard_iteratorINSA_11use_defaultEEEEEENSH_IJSG_SG_EEES6_PlJ7is_evenIsEEEE10hipError_tPvRmT3_T4_T5_T6_T7_T9_mT8_P12ihipStream_tbDpT10_ENKUlT_T0_E_clISt17integral_constantIbLb0EES18_IbLb1EEEEDaS14_S15_EUlS14_E_NS1_11comp_targetILNS1_3genE4ELNS1_11target_archE910ELNS1_3gpuE8ELNS1_3repE0EEENS1_30default_config_static_selectorELNS0_4arch9wavefront6targetE1EEEvT1_,@function
_ZN7rocprim17ROCPRIM_400000_NS6detail17trampoline_kernelINS0_14default_configENS1_25partition_config_selectorILNS1_17partition_subalgoE0EsNS0_10empty_typeEbEEZZNS1_14partition_implILS5_0ELb0ES3_jN6thrust23THRUST_200600_302600_NS6detail15normal_iteratorINSA_10device_ptrIsEEEEPS6_SG_NS0_5tupleIJSF_NSA_16discard_iteratorINSA_11use_defaultEEEEEENSH_IJSG_SG_EEES6_PlJ7is_evenIsEEEE10hipError_tPvRmT3_T4_T5_T6_T7_T9_mT8_P12ihipStream_tbDpT10_ENKUlT_T0_E_clISt17integral_constantIbLb0EES18_IbLb1EEEEDaS14_S15_EUlS14_E_NS1_11comp_targetILNS1_3genE4ELNS1_11target_archE910ELNS1_3gpuE8ELNS1_3repE0EEENS1_30default_config_static_selectorELNS0_4arch9wavefront6targetE1EEEvT1_: ; @_ZN7rocprim17ROCPRIM_400000_NS6detail17trampoline_kernelINS0_14default_configENS1_25partition_config_selectorILNS1_17partition_subalgoE0EsNS0_10empty_typeEbEEZZNS1_14partition_implILS5_0ELb0ES3_jN6thrust23THRUST_200600_302600_NS6detail15normal_iteratorINSA_10device_ptrIsEEEEPS6_SG_NS0_5tupleIJSF_NSA_16discard_iteratorINSA_11use_defaultEEEEEENSH_IJSG_SG_EEES6_PlJ7is_evenIsEEEE10hipError_tPvRmT3_T4_T5_T6_T7_T9_mT8_P12ihipStream_tbDpT10_ENKUlT_T0_E_clISt17integral_constantIbLb0EES18_IbLb1EEEEDaS14_S15_EUlS14_E_NS1_11comp_targetILNS1_3genE4ELNS1_11target_archE910ELNS1_3gpuE8ELNS1_3repE0EEENS1_30default_config_static_selectorELNS0_4arch9wavefront6targetE1EEEvT1_
; %bb.0:
	.section	.rodata,"a",@progbits
	.p2align	6, 0x0
	.amdhsa_kernel _ZN7rocprim17ROCPRIM_400000_NS6detail17trampoline_kernelINS0_14default_configENS1_25partition_config_selectorILNS1_17partition_subalgoE0EsNS0_10empty_typeEbEEZZNS1_14partition_implILS5_0ELb0ES3_jN6thrust23THRUST_200600_302600_NS6detail15normal_iteratorINSA_10device_ptrIsEEEEPS6_SG_NS0_5tupleIJSF_NSA_16discard_iteratorINSA_11use_defaultEEEEEENSH_IJSG_SG_EEES6_PlJ7is_evenIsEEEE10hipError_tPvRmT3_T4_T5_T6_T7_T9_mT8_P12ihipStream_tbDpT10_ENKUlT_T0_E_clISt17integral_constantIbLb0EES18_IbLb1EEEEDaS14_S15_EUlS14_E_NS1_11comp_targetILNS1_3genE4ELNS1_11target_archE910ELNS1_3gpuE8ELNS1_3repE0EEENS1_30default_config_static_selectorELNS0_4arch9wavefront6targetE1EEEvT1_
		.amdhsa_group_segment_fixed_size 0
		.amdhsa_private_segment_fixed_size 0
		.amdhsa_kernarg_size 144
		.amdhsa_user_sgpr_count 2
		.amdhsa_user_sgpr_dispatch_ptr 0
		.amdhsa_user_sgpr_queue_ptr 0
		.amdhsa_user_sgpr_kernarg_segment_ptr 1
		.amdhsa_user_sgpr_dispatch_id 0
		.amdhsa_user_sgpr_kernarg_preload_length 0
		.amdhsa_user_sgpr_kernarg_preload_offset 0
		.amdhsa_user_sgpr_private_segment_size 0
		.amdhsa_uses_dynamic_stack 0
		.amdhsa_enable_private_segment 0
		.amdhsa_system_sgpr_workgroup_id_x 1
		.amdhsa_system_sgpr_workgroup_id_y 0
		.amdhsa_system_sgpr_workgroup_id_z 0
		.amdhsa_system_sgpr_workgroup_info 0
		.amdhsa_system_vgpr_workitem_id 0
		.amdhsa_next_free_vgpr 1
		.amdhsa_next_free_sgpr 0
		.amdhsa_accum_offset 4
		.amdhsa_reserve_vcc 0
		.amdhsa_float_round_mode_32 0
		.amdhsa_float_round_mode_16_64 0
		.amdhsa_float_denorm_mode_32 3
		.amdhsa_float_denorm_mode_16_64 3
		.amdhsa_dx10_clamp 1
		.amdhsa_ieee_mode 1
		.amdhsa_fp16_overflow 0
		.amdhsa_tg_split 0
		.amdhsa_exception_fp_ieee_invalid_op 0
		.amdhsa_exception_fp_denorm_src 0
		.amdhsa_exception_fp_ieee_div_zero 0
		.amdhsa_exception_fp_ieee_overflow 0
		.amdhsa_exception_fp_ieee_underflow 0
		.amdhsa_exception_fp_ieee_inexact 0
		.amdhsa_exception_int_div_zero 0
	.end_amdhsa_kernel
	.section	.text._ZN7rocprim17ROCPRIM_400000_NS6detail17trampoline_kernelINS0_14default_configENS1_25partition_config_selectorILNS1_17partition_subalgoE0EsNS0_10empty_typeEbEEZZNS1_14partition_implILS5_0ELb0ES3_jN6thrust23THRUST_200600_302600_NS6detail15normal_iteratorINSA_10device_ptrIsEEEEPS6_SG_NS0_5tupleIJSF_NSA_16discard_iteratorINSA_11use_defaultEEEEEENSH_IJSG_SG_EEES6_PlJ7is_evenIsEEEE10hipError_tPvRmT3_T4_T5_T6_T7_T9_mT8_P12ihipStream_tbDpT10_ENKUlT_T0_E_clISt17integral_constantIbLb0EES18_IbLb1EEEEDaS14_S15_EUlS14_E_NS1_11comp_targetILNS1_3genE4ELNS1_11target_archE910ELNS1_3gpuE8ELNS1_3repE0EEENS1_30default_config_static_selectorELNS0_4arch9wavefront6targetE1EEEvT1_,"axG",@progbits,_ZN7rocprim17ROCPRIM_400000_NS6detail17trampoline_kernelINS0_14default_configENS1_25partition_config_selectorILNS1_17partition_subalgoE0EsNS0_10empty_typeEbEEZZNS1_14partition_implILS5_0ELb0ES3_jN6thrust23THRUST_200600_302600_NS6detail15normal_iteratorINSA_10device_ptrIsEEEEPS6_SG_NS0_5tupleIJSF_NSA_16discard_iteratorINSA_11use_defaultEEEEEENSH_IJSG_SG_EEES6_PlJ7is_evenIsEEEE10hipError_tPvRmT3_T4_T5_T6_T7_T9_mT8_P12ihipStream_tbDpT10_ENKUlT_T0_E_clISt17integral_constantIbLb0EES18_IbLb1EEEEDaS14_S15_EUlS14_E_NS1_11comp_targetILNS1_3genE4ELNS1_11target_archE910ELNS1_3gpuE8ELNS1_3repE0EEENS1_30default_config_static_selectorELNS0_4arch9wavefront6targetE1EEEvT1_,comdat
.Lfunc_end2837:
	.size	_ZN7rocprim17ROCPRIM_400000_NS6detail17trampoline_kernelINS0_14default_configENS1_25partition_config_selectorILNS1_17partition_subalgoE0EsNS0_10empty_typeEbEEZZNS1_14partition_implILS5_0ELb0ES3_jN6thrust23THRUST_200600_302600_NS6detail15normal_iteratorINSA_10device_ptrIsEEEEPS6_SG_NS0_5tupleIJSF_NSA_16discard_iteratorINSA_11use_defaultEEEEEENSH_IJSG_SG_EEES6_PlJ7is_evenIsEEEE10hipError_tPvRmT3_T4_T5_T6_T7_T9_mT8_P12ihipStream_tbDpT10_ENKUlT_T0_E_clISt17integral_constantIbLb0EES18_IbLb1EEEEDaS14_S15_EUlS14_E_NS1_11comp_targetILNS1_3genE4ELNS1_11target_archE910ELNS1_3gpuE8ELNS1_3repE0EEENS1_30default_config_static_selectorELNS0_4arch9wavefront6targetE1EEEvT1_, .Lfunc_end2837-_ZN7rocprim17ROCPRIM_400000_NS6detail17trampoline_kernelINS0_14default_configENS1_25partition_config_selectorILNS1_17partition_subalgoE0EsNS0_10empty_typeEbEEZZNS1_14partition_implILS5_0ELb0ES3_jN6thrust23THRUST_200600_302600_NS6detail15normal_iteratorINSA_10device_ptrIsEEEEPS6_SG_NS0_5tupleIJSF_NSA_16discard_iteratorINSA_11use_defaultEEEEEENSH_IJSG_SG_EEES6_PlJ7is_evenIsEEEE10hipError_tPvRmT3_T4_T5_T6_T7_T9_mT8_P12ihipStream_tbDpT10_ENKUlT_T0_E_clISt17integral_constantIbLb0EES18_IbLb1EEEEDaS14_S15_EUlS14_E_NS1_11comp_targetILNS1_3genE4ELNS1_11target_archE910ELNS1_3gpuE8ELNS1_3repE0EEENS1_30default_config_static_selectorELNS0_4arch9wavefront6targetE1EEEvT1_
                                        ; -- End function
	.section	.AMDGPU.csdata,"",@progbits
; Kernel info:
; codeLenInByte = 0
; NumSgprs: 6
; NumVgprs: 0
; NumAgprs: 0
; TotalNumVgprs: 0
; ScratchSize: 0
; MemoryBound: 0
; FloatMode: 240
; IeeeMode: 1
; LDSByteSize: 0 bytes/workgroup (compile time only)
; SGPRBlocks: 0
; VGPRBlocks: 0
; NumSGPRsForWavesPerEU: 6
; NumVGPRsForWavesPerEU: 1
; AccumOffset: 4
; Occupancy: 8
; WaveLimiterHint : 0
; COMPUTE_PGM_RSRC2:SCRATCH_EN: 0
; COMPUTE_PGM_RSRC2:USER_SGPR: 2
; COMPUTE_PGM_RSRC2:TRAP_HANDLER: 0
; COMPUTE_PGM_RSRC2:TGID_X_EN: 1
; COMPUTE_PGM_RSRC2:TGID_Y_EN: 0
; COMPUTE_PGM_RSRC2:TGID_Z_EN: 0
; COMPUTE_PGM_RSRC2:TIDIG_COMP_CNT: 0
; COMPUTE_PGM_RSRC3_GFX90A:ACCUM_OFFSET: 0
; COMPUTE_PGM_RSRC3_GFX90A:TG_SPLIT: 0
	.section	.text._ZN7rocprim17ROCPRIM_400000_NS6detail17trampoline_kernelINS0_14default_configENS1_25partition_config_selectorILNS1_17partition_subalgoE0EsNS0_10empty_typeEbEEZZNS1_14partition_implILS5_0ELb0ES3_jN6thrust23THRUST_200600_302600_NS6detail15normal_iteratorINSA_10device_ptrIsEEEEPS6_SG_NS0_5tupleIJSF_NSA_16discard_iteratorINSA_11use_defaultEEEEEENSH_IJSG_SG_EEES6_PlJ7is_evenIsEEEE10hipError_tPvRmT3_T4_T5_T6_T7_T9_mT8_P12ihipStream_tbDpT10_ENKUlT_T0_E_clISt17integral_constantIbLb0EES18_IbLb1EEEEDaS14_S15_EUlS14_E_NS1_11comp_targetILNS1_3genE3ELNS1_11target_archE908ELNS1_3gpuE7ELNS1_3repE0EEENS1_30default_config_static_selectorELNS0_4arch9wavefront6targetE1EEEvT1_,"axG",@progbits,_ZN7rocprim17ROCPRIM_400000_NS6detail17trampoline_kernelINS0_14default_configENS1_25partition_config_selectorILNS1_17partition_subalgoE0EsNS0_10empty_typeEbEEZZNS1_14partition_implILS5_0ELb0ES3_jN6thrust23THRUST_200600_302600_NS6detail15normal_iteratorINSA_10device_ptrIsEEEEPS6_SG_NS0_5tupleIJSF_NSA_16discard_iteratorINSA_11use_defaultEEEEEENSH_IJSG_SG_EEES6_PlJ7is_evenIsEEEE10hipError_tPvRmT3_T4_T5_T6_T7_T9_mT8_P12ihipStream_tbDpT10_ENKUlT_T0_E_clISt17integral_constantIbLb0EES18_IbLb1EEEEDaS14_S15_EUlS14_E_NS1_11comp_targetILNS1_3genE3ELNS1_11target_archE908ELNS1_3gpuE7ELNS1_3repE0EEENS1_30default_config_static_selectorELNS0_4arch9wavefront6targetE1EEEvT1_,comdat
	.protected	_ZN7rocprim17ROCPRIM_400000_NS6detail17trampoline_kernelINS0_14default_configENS1_25partition_config_selectorILNS1_17partition_subalgoE0EsNS0_10empty_typeEbEEZZNS1_14partition_implILS5_0ELb0ES3_jN6thrust23THRUST_200600_302600_NS6detail15normal_iteratorINSA_10device_ptrIsEEEEPS6_SG_NS0_5tupleIJSF_NSA_16discard_iteratorINSA_11use_defaultEEEEEENSH_IJSG_SG_EEES6_PlJ7is_evenIsEEEE10hipError_tPvRmT3_T4_T5_T6_T7_T9_mT8_P12ihipStream_tbDpT10_ENKUlT_T0_E_clISt17integral_constantIbLb0EES18_IbLb1EEEEDaS14_S15_EUlS14_E_NS1_11comp_targetILNS1_3genE3ELNS1_11target_archE908ELNS1_3gpuE7ELNS1_3repE0EEENS1_30default_config_static_selectorELNS0_4arch9wavefront6targetE1EEEvT1_ ; -- Begin function _ZN7rocprim17ROCPRIM_400000_NS6detail17trampoline_kernelINS0_14default_configENS1_25partition_config_selectorILNS1_17partition_subalgoE0EsNS0_10empty_typeEbEEZZNS1_14partition_implILS5_0ELb0ES3_jN6thrust23THRUST_200600_302600_NS6detail15normal_iteratorINSA_10device_ptrIsEEEEPS6_SG_NS0_5tupleIJSF_NSA_16discard_iteratorINSA_11use_defaultEEEEEENSH_IJSG_SG_EEES6_PlJ7is_evenIsEEEE10hipError_tPvRmT3_T4_T5_T6_T7_T9_mT8_P12ihipStream_tbDpT10_ENKUlT_T0_E_clISt17integral_constantIbLb0EES18_IbLb1EEEEDaS14_S15_EUlS14_E_NS1_11comp_targetILNS1_3genE3ELNS1_11target_archE908ELNS1_3gpuE7ELNS1_3repE0EEENS1_30default_config_static_selectorELNS0_4arch9wavefront6targetE1EEEvT1_
	.globl	_ZN7rocprim17ROCPRIM_400000_NS6detail17trampoline_kernelINS0_14default_configENS1_25partition_config_selectorILNS1_17partition_subalgoE0EsNS0_10empty_typeEbEEZZNS1_14partition_implILS5_0ELb0ES3_jN6thrust23THRUST_200600_302600_NS6detail15normal_iteratorINSA_10device_ptrIsEEEEPS6_SG_NS0_5tupleIJSF_NSA_16discard_iteratorINSA_11use_defaultEEEEEENSH_IJSG_SG_EEES6_PlJ7is_evenIsEEEE10hipError_tPvRmT3_T4_T5_T6_T7_T9_mT8_P12ihipStream_tbDpT10_ENKUlT_T0_E_clISt17integral_constantIbLb0EES18_IbLb1EEEEDaS14_S15_EUlS14_E_NS1_11comp_targetILNS1_3genE3ELNS1_11target_archE908ELNS1_3gpuE7ELNS1_3repE0EEENS1_30default_config_static_selectorELNS0_4arch9wavefront6targetE1EEEvT1_
	.p2align	8
	.type	_ZN7rocprim17ROCPRIM_400000_NS6detail17trampoline_kernelINS0_14default_configENS1_25partition_config_selectorILNS1_17partition_subalgoE0EsNS0_10empty_typeEbEEZZNS1_14partition_implILS5_0ELb0ES3_jN6thrust23THRUST_200600_302600_NS6detail15normal_iteratorINSA_10device_ptrIsEEEEPS6_SG_NS0_5tupleIJSF_NSA_16discard_iteratorINSA_11use_defaultEEEEEENSH_IJSG_SG_EEES6_PlJ7is_evenIsEEEE10hipError_tPvRmT3_T4_T5_T6_T7_T9_mT8_P12ihipStream_tbDpT10_ENKUlT_T0_E_clISt17integral_constantIbLb0EES18_IbLb1EEEEDaS14_S15_EUlS14_E_NS1_11comp_targetILNS1_3genE3ELNS1_11target_archE908ELNS1_3gpuE7ELNS1_3repE0EEENS1_30default_config_static_selectorELNS0_4arch9wavefront6targetE1EEEvT1_,@function
_ZN7rocprim17ROCPRIM_400000_NS6detail17trampoline_kernelINS0_14default_configENS1_25partition_config_selectorILNS1_17partition_subalgoE0EsNS0_10empty_typeEbEEZZNS1_14partition_implILS5_0ELb0ES3_jN6thrust23THRUST_200600_302600_NS6detail15normal_iteratorINSA_10device_ptrIsEEEEPS6_SG_NS0_5tupleIJSF_NSA_16discard_iteratorINSA_11use_defaultEEEEEENSH_IJSG_SG_EEES6_PlJ7is_evenIsEEEE10hipError_tPvRmT3_T4_T5_T6_T7_T9_mT8_P12ihipStream_tbDpT10_ENKUlT_T0_E_clISt17integral_constantIbLb0EES18_IbLb1EEEEDaS14_S15_EUlS14_E_NS1_11comp_targetILNS1_3genE3ELNS1_11target_archE908ELNS1_3gpuE7ELNS1_3repE0EEENS1_30default_config_static_selectorELNS0_4arch9wavefront6targetE1EEEvT1_: ; @_ZN7rocprim17ROCPRIM_400000_NS6detail17trampoline_kernelINS0_14default_configENS1_25partition_config_selectorILNS1_17partition_subalgoE0EsNS0_10empty_typeEbEEZZNS1_14partition_implILS5_0ELb0ES3_jN6thrust23THRUST_200600_302600_NS6detail15normal_iteratorINSA_10device_ptrIsEEEEPS6_SG_NS0_5tupleIJSF_NSA_16discard_iteratorINSA_11use_defaultEEEEEENSH_IJSG_SG_EEES6_PlJ7is_evenIsEEEE10hipError_tPvRmT3_T4_T5_T6_T7_T9_mT8_P12ihipStream_tbDpT10_ENKUlT_T0_E_clISt17integral_constantIbLb0EES18_IbLb1EEEEDaS14_S15_EUlS14_E_NS1_11comp_targetILNS1_3genE3ELNS1_11target_archE908ELNS1_3gpuE7ELNS1_3repE0EEENS1_30default_config_static_selectorELNS0_4arch9wavefront6targetE1EEEvT1_
; %bb.0:
	.section	.rodata,"a",@progbits
	.p2align	6, 0x0
	.amdhsa_kernel _ZN7rocprim17ROCPRIM_400000_NS6detail17trampoline_kernelINS0_14default_configENS1_25partition_config_selectorILNS1_17partition_subalgoE0EsNS0_10empty_typeEbEEZZNS1_14partition_implILS5_0ELb0ES3_jN6thrust23THRUST_200600_302600_NS6detail15normal_iteratorINSA_10device_ptrIsEEEEPS6_SG_NS0_5tupleIJSF_NSA_16discard_iteratorINSA_11use_defaultEEEEEENSH_IJSG_SG_EEES6_PlJ7is_evenIsEEEE10hipError_tPvRmT3_T4_T5_T6_T7_T9_mT8_P12ihipStream_tbDpT10_ENKUlT_T0_E_clISt17integral_constantIbLb0EES18_IbLb1EEEEDaS14_S15_EUlS14_E_NS1_11comp_targetILNS1_3genE3ELNS1_11target_archE908ELNS1_3gpuE7ELNS1_3repE0EEENS1_30default_config_static_selectorELNS0_4arch9wavefront6targetE1EEEvT1_
		.amdhsa_group_segment_fixed_size 0
		.amdhsa_private_segment_fixed_size 0
		.amdhsa_kernarg_size 144
		.amdhsa_user_sgpr_count 2
		.amdhsa_user_sgpr_dispatch_ptr 0
		.amdhsa_user_sgpr_queue_ptr 0
		.amdhsa_user_sgpr_kernarg_segment_ptr 1
		.amdhsa_user_sgpr_dispatch_id 0
		.amdhsa_user_sgpr_kernarg_preload_length 0
		.amdhsa_user_sgpr_kernarg_preload_offset 0
		.amdhsa_user_sgpr_private_segment_size 0
		.amdhsa_uses_dynamic_stack 0
		.amdhsa_enable_private_segment 0
		.amdhsa_system_sgpr_workgroup_id_x 1
		.amdhsa_system_sgpr_workgroup_id_y 0
		.amdhsa_system_sgpr_workgroup_id_z 0
		.amdhsa_system_sgpr_workgroup_info 0
		.amdhsa_system_vgpr_workitem_id 0
		.amdhsa_next_free_vgpr 1
		.amdhsa_next_free_sgpr 0
		.amdhsa_accum_offset 4
		.amdhsa_reserve_vcc 0
		.amdhsa_float_round_mode_32 0
		.amdhsa_float_round_mode_16_64 0
		.amdhsa_float_denorm_mode_32 3
		.amdhsa_float_denorm_mode_16_64 3
		.amdhsa_dx10_clamp 1
		.amdhsa_ieee_mode 1
		.amdhsa_fp16_overflow 0
		.amdhsa_tg_split 0
		.amdhsa_exception_fp_ieee_invalid_op 0
		.amdhsa_exception_fp_denorm_src 0
		.amdhsa_exception_fp_ieee_div_zero 0
		.amdhsa_exception_fp_ieee_overflow 0
		.amdhsa_exception_fp_ieee_underflow 0
		.amdhsa_exception_fp_ieee_inexact 0
		.amdhsa_exception_int_div_zero 0
	.end_amdhsa_kernel
	.section	.text._ZN7rocprim17ROCPRIM_400000_NS6detail17trampoline_kernelINS0_14default_configENS1_25partition_config_selectorILNS1_17partition_subalgoE0EsNS0_10empty_typeEbEEZZNS1_14partition_implILS5_0ELb0ES3_jN6thrust23THRUST_200600_302600_NS6detail15normal_iteratorINSA_10device_ptrIsEEEEPS6_SG_NS0_5tupleIJSF_NSA_16discard_iteratorINSA_11use_defaultEEEEEENSH_IJSG_SG_EEES6_PlJ7is_evenIsEEEE10hipError_tPvRmT3_T4_T5_T6_T7_T9_mT8_P12ihipStream_tbDpT10_ENKUlT_T0_E_clISt17integral_constantIbLb0EES18_IbLb1EEEEDaS14_S15_EUlS14_E_NS1_11comp_targetILNS1_3genE3ELNS1_11target_archE908ELNS1_3gpuE7ELNS1_3repE0EEENS1_30default_config_static_selectorELNS0_4arch9wavefront6targetE1EEEvT1_,"axG",@progbits,_ZN7rocprim17ROCPRIM_400000_NS6detail17trampoline_kernelINS0_14default_configENS1_25partition_config_selectorILNS1_17partition_subalgoE0EsNS0_10empty_typeEbEEZZNS1_14partition_implILS5_0ELb0ES3_jN6thrust23THRUST_200600_302600_NS6detail15normal_iteratorINSA_10device_ptrIsEEEEPS6_SG_NS0_5tupleIJSF_NSA_16discard_iteratorINSA_11use_defaultEEEEEENSH_IJSG_SG_EEES6_PlJ7is_evenIsEEEE10hipError_tPvRmT3_T4_T5_T6_T7_T9_mT8_P12ihipStream_tbDpT10_ENKUlT_T0_E_clISt17integral_constantIbLb0EES18_IbLb1EEEEDaS14_S15_EUlS14_E_NS1_11comp_targetILNS1_3genE3ELNS1_11target_archE908ELNS1_3gpuE7ELNS1_3repE0EEENS1_30default_config_static_selectorELNS0_4arch9wavefront6targetE1EEEvT1_,comdat
.Lfunc_end2838:
	.size	_ZN7rocprim17ROCPRIM_400000_NS6detail17trampoline_kernelINS0_14default_configENS1_25partition_config_selectorILNS1_17partition_subalgoE0EsNS0_10empty_typeEbEEZZNS1_14partition_implILS5_0ELb0ES3_jN6thrust23THRUST_200600_302600_NS6detail15normal_iteratorINSA_10device_ptrIsEEEEPS6_SG_NS0_5tupleIJSF_NSA_16discard_iteratorINSA_11use_defaultEEEEEENSH_IJSG_SG_EEES6_PlJ7is_evenIsEEEE10hipError_tPvRmT3_T4_T5_T6_T7_T9_mT8_P12ihipStream_tbDpT10_ENKUlT_T0_E_clISt17integral_constantIbLb0EES18_IbLb1EEEEDaS14_S15_EUlS14_E_NS1_11comp_targetILNS1_3genE3ELNS1_11target_archE908ELNS1_3gpuE7ELNS1_3repE0EEENS1_30default_config_static_selectorELNS0_4arch9wavefront6targetE1EEEvT1_, .Lfunc_end2838-_ZN7rocprim17ROCPRIM_400000_NS6detail17trampoline_kernelINS0_14default_configENS1_25partition_config_selectorILNS1_17partition_subalgoE0EsNS0_10empty_typeEbEEZZNS1_14partition_implILS5_0ELb0ES3_jN6thrust23THRUST_200600_302600_NS6detail15normal_iteratorINSA_10device_ptrIsEEEEPS6_SG_NS0_5tupleIJSF_NSA_16discard_iteratorINSA_11use_defaultEEEEEENSH_IJSG_SG_EEES6_PlJ7is_evenIsEEEE10hipError_tPvRmT3_T4_T5_T6_T7_T9_mT8_P12ihipStream_tbDpT10_ENKUlT_T0_E_clISt17integral_constantIbLb0EES18_IbLb1EEEEDaS14_S15_EUlS14_E_NS1_11comp_targetILNS1_3genE3ELNS1_11target_archE908ELNS1_3gpuE7ELNS1_3repE0EEENS1_30default_config_static_selectorELNS0_4arch9wavefront6targetE1EEEvT1_
                                        ; -- End function
	.section	.AMDGPU.csdata,"",@progbits
; Kernel info:
; codeLenInByte = 0
; NumSgprs: 6
; NumVgprs: 0
; NumAgprs: 0
; TotalNumVgprs: 0
; ScratchSize: 0
; MemoryBound: 0
; FloatMode: 240
; IeeeMode: 1
; LDSByteSize: 0 bytes/workgroup (compile time only)
; SGPRBlocks: 0
; VGPRBlocks: 0
; NumSGPRsForWavesPerEU: 6
; NumVGPRsForWavesPerEU: 1
; AccumOffset: 4
; Occupancy: 8
; WaveLimiterHint : 0
; COMPUTE_PGM_RSRC2:SCRATCH_EN: 0
; COMPUTE_PGM_RSRC2:USER_SGPR: 2
; COMPUTE_PGM_RSRC2:TRAP_HANDLER: 0
; COMPUTE_PGM_RSRC2:TGID_X_EN: 1
; COMPUTE_PGM_RSRC2:TGID_Y_EN: 0
; COMPUTE_PGM_RSRC2:TGID_Z_EN: 0
; COMPUTE_PGM_RSRC2:TIDIG_COMP_CNT: 0
; COMPUTE_PGM_RSRC3_GFX90A:ACCUM_OFFSET: 0
; COMPUTE_PGM_RSRC3_GFX90A:TG_SPLIT: 0
	.section	.text._ZN7rocprim17ROCPRIM_400000_NS6detail17trampoline_kernelINS0_14default_configENS1_25partition_config_selectorILNS1_17partition_subalgoE0EsNS0_10empty_typeEbEEZZNS1_14partition_implILS5_0ELb0ES3_jN6thrust23THRUST_200600_302600_NS6detail15normal_iteratorINSA_10device_ptrIsEEEEPS6_SG_NS0_5tupleIJSF_NSA_16discard_iteratorINSA_11use_defaultEEEEEENSH_IJSG_SG_EEES6_PlJ7is_evenIsEEEE10hipError_tPvRmT3_T4_T5_T6_T7_T9_mT8_P12ihipStream_tbDpT10_ENKUlT_T0_E_clISt17integral_constantIbLb0EES18_IbLb1EEEEDaS14_S15_EUlS14_E_NS1_11comp_targetILNS1_3genE2ELNS1_11target_archE906ELNS1_3gpuE6ELNS1_3repE0EEENS1_30default_config_static_selectorELNS0_4arch9wavefront6targetE1EEEvT1_,"axG",@progbits,_ZN7rocprim17ROCPRIM_400000_NS6detail17trampoline_kernelINS0_14default_configENS1_25partition_config_selectorILNS1_17partition_subalgoE0EsNS0_10empty_typeEbEEZZNS1_14partition_implILS5_0ELb0ES3_jN6thrust23THRUST_200600_302600_NS6detail15normal_iteratorINSA_10device_ptrIsEEEEPS6_SG_NS0_5tupleIJSF_NSA_16discard_iteratorINSA_11use_defaultEEEEEENSH_IJSG_SG_EEES6_PlJ7is_evenIsEEEE10hipError_tPvRmT3_T4_T5_T6_T7_T9_mT8_P12ihipStream_tbDpT10_ENKUlT_T0_E_clISt17integral_constantIbLb0EES18_IbLb1EEEEDaS14_S15_EUlS14_E_NS1_11comp_targetILNS1_3genE2ELNS1_11target_archE906ELNS1_3gpuE6ELNS1_3repE0EEENS1_30default_config_static_selectorELNS0_4arch9wavefront6targetE1EEEvT1_,comdat
	.protected	_ZN7rocprim17ROCPRIM_400000_NS6detail17trampoline_kernelINS0_14default_configENS1_25partition_config_selectorILNS1_17partition_subalgoE0EsNS0_10empty_typeEbEEZZNS1_14partition_implILS5_0ELb0ES3_jN6thrust23THRUST_200600_302600_NS6detail15normal_iteratorINSA_10device_ptrIsEEEEPS6_SG_NS0_5tupleIJSF_NSA_16discard_iteratorINSA_11use_defaultEEEEEENSH_IJSG_SG_EEES6_PlJ7is_evenIsEEEE10hipError_tPvRmT3_T4_T5_T6_T7_T9_mT8_P12ihipStream_tbDpT10_ENKUlT_T0_E_clISt17integral_constantIbLb0EES18_IbLb1EEEEDaS14_S15_EUlS14_E_NS1_11comp_targetILNS1_3genE2ELNS1_11target_archE906ELNS1_3gpuE6ELNS1_3repE0EEENS1_30default_config_static_selectorELNS0_4arch9wavefront6targetE1EEEvT1_ ; -- Begin function _ZN7rocprim17ROCPRIM_400000_NS6detail17trampoline_kernelINS0_14default_configENS1_25partition_config_selectorILNS1_17partition_subalgoE0EsNS0_10empty_typeEbEEZZNS1_14partition_implILS5_0ELb0ES3_jN6thrust23THRUST_200600_302600_NS6detail15normal_iteratorINSA_10device_ptrIsEEEEPS6_SG_NS0_5tupleIJSF_NSA_16discard_iteratorINSA_11use_defaultEEEEEENSH_IJSG_SG_EEES6_PlJ7is_evenIsEEEE10hipError_tPvRmT3_T4_T5_T6_T7_T9_mT8_P12ihipStream_tbDpT10_ENKUlT_T0_E_clISt17integral_constantIbLb0EES18_IbLb1EEEEDaS14_S15_EUlS14_E_NS1_11comp_targetILNS1_3genE2ELNS1_11target_archE906ELNS1_3gpuE6ELNS1_3repE0EEENS1_30default_config_static_selectorELNS0_4arch9wavefront6targetE1EEEvT1_
	.globl	_ZN7rocprim17ROCPRIM_400000_NS6detail17trampoline_kernelINS0_14default_configENS1_25partition_config_selectorILNS1_17partition_subalgoE0EsNS0_10empty_typeEbEEZZNS1_14partition_implILS5_0ELb0ES3_jN6thrust23THRUST_200600_302600_NS6detail15normal_iteratorINSA_10device_ptrIsEEEEPS6_SG_NS0_5tupleIJSF_NSA_16discard_iteratorINSA_11use_defaultEEEEEENSH_IJSG_SG_EEES6_PlJ7is_evenIsEEEE10hipError_tPvRmT3_T4_T5_T6_T7_T9_mT8_P12ihipStream_tbDpT10_ENKUlT_T0_E_clISt17integral_constantIbLb0EES18_IbLb1EEEEDaS14_S15_EUlS14_E_NS1_11comp_targetILNS1_3genE2ELNS1_11target_archE906ELNS1_3gpuE6ELNS1_3repE0EEENS1_30default_config_static_selectorELNS0_4arch9wavefront6targetE1EEEvT1_
	.p2align	8
	.type	_ZN7rocprim17ROCPRIM_400000_NS6detail17trampoline_kernelINS0_14default_configENS1_25partition_config_selectorILNS1_17partition_subalgoE0EsNS0_10empty_typeEbEEZZNS1_14partition_implILS5_0ELb0ES3_jN6thrust23THRUST_200600_302600_NS6detail15normal_iteratorINSA_10device_ptrIsEEEEPS6_SG_NS0_5tupleIJSF_NSA_16discard_iteratorINSA_11use_defaultEEEEEENSH_IJSG_SG_EEES6_PlJ7is_evenIsEEEE10hipError_tPvRmT3_T4_T5_T6_T7_T9_mT8_P12ihipStream_tbDpT10_ENKUlT_T0_E_clISt17integral_constantIbLb0EES18_IbLb1EEEEDaS14_S15_EUlS14_E_NS1_11comp_targetILNS1_3genE2ELNS1_11target_archE906ELNS1_3gpuE6ELNS1_3repE0EEENS1_30default_config_static_selectorELNS0_4arch9wavefront6targetE1EEEvT1_,@function
_ZN7rocprim17ROCPRIM_400000_NS6detail17trampoline_kernelINS0_14default_configENS1_25partition_config_selectorILNS1_17partition_subalgoE0EsNS0_10empty_typeEbEEZZNS1_14partition_implILS5_0ELb0ES3_jN6thrust23THRUST_200600_302600_NS6detail15normal_iteratorINSA_10device_ptrIsEEEEPS6_SG_NS0_5tupleIJSF_NSA_16discard_iteratorINSA_11use_defaultEEEEEENSH_IJSG_SG_EEES6_PlJ7is_evenIsEEEE10hipError_tPvRmT3_T4_T5_T6_T7_T9_mT8_P12ihipStream_tbDpT10_ENKUlT_T0_E_clISt17integral_constantIbLb0EES18_IbLb1EEEEDaS14_S15_EUlS14_E_NS1_11comp_targetILNS1_3genE2ELNS1_11target_archE906ELNS1_3gpuE6ELNS1_3repE0EEENS1_30default_config_static_selectorELNS0_4arch9wavefront6targetE1EEEvT1_: ; @_ZN7rocprim17ROCPRIM_400000_NS6detail17trampoline_kernelINS0_14default_configENS1_25partition_config_selectorILNS1_17partition_subalgoE0EsNS0_10empty_typeEbEEZZNS1_14partition_implILS5_0ELb0ES3_jN6thrust23THRUST_200600_302600_NS6detail15normal_iteratorINSA_10device_ptrIsEEEEPS6_SG_NS0_5tupleIJSF_NSA_16discard_iteratorINSA_11use_defaultEEEEEENSH_IJSG_SG_EEES6_PlJ7is_evenIsEEEE10hipError_tPvRmT3_T4_T5_T6_T7_T9_mT8_P12ihipStream_tbDpT10_ENKUlT_T0_E_clISt17integral_constantIbLb0EES18_IbLb1EEEEDaS14_S15_EUlS14_E_NS1_11comp_targetILNS1_3genE2ELNS1_11target_archE906ELNS1_3gpuE6ELNS1_3repE0EEENS1_30default_config_static_selectorELNS0_4arch9wavefront6targetE1EEEvT1_
; %bb.0:
	.section	.rodata,"a",@progbits
	.p2align	6, 0x0
	.amdhsa_kernel _ZN7rocprim17ROCPRIM_400000_NS6detail17trampoline_kernelINS0_14default_configENS1_25partition_config_selectorILNS1_17partition_subalgoE0EsNS0_10empty_typeEbEEZZNS1_14partition_implILS5_0ELb0ES3_jN6thrust23THRUST_200600_302600_NS6detail15normal_iteratorINSA_10device_ptrIsEEEEPS6_SG_NS0_5tupleIJSF_NSA_16discard_iteratorINSA_11use_defaultEEEEEENSH_IJSG_SG_EEES6_PlJ7is_evenIsEEEE10hipError_tPvRmT3_T4_T5_T6_T7_T9_mT8_P12ihipStream_tbDpT10_ENKUlT_T0_E_clISt17integral_constantIbLb0EES18_IbLb1EEEEDaS14_S15_EUlS14_E_NS1_11comp_targetILNS1_3genE2ELNS1_11target_archE906ELNS1_3gpuE6ELNS1_3repE0EEENS1_30default_config_static_selectorELNS0_4arch9wavefront6targetE1EEEvT1_
		.amdhsa_group_segment_fixed_size 0
		.amdhsa_private_segment_fixed_size 0
		.amdhsa_kernarg_size 144
		.amdhsa_user_sgpr_count 2
		.amdhsa_user_sgpr_dispatch_ptr 0
		.amdhsa_user_sgpr_queue_ptr 0
		.amdhsa_user_sgpr_kernarg_segment_ptr 1
		.amdhsa_user_sgpr_dispatch_id 0
		.amdhsa_user_sgpr_kernarg_preload_length 0
		.amdhsa_user_sgpr_kernarg_preload_offset 0
		.amdhsa_user_sgpr_private_segment_size 0
		.amdhsa_uses_dynamic_stack 0
		.amdhsa_enable_private_segment 0
		.amdhsa_system_sgpr_workgroup_id_x 1
		.amdhsa_system_sgpr_workgroup_id_y 0
		.amdhsa_system_sgpr_workgroup_id_z 0
		.amdhsa_system_sgpr_workgroup_info 0
		.amdhsa_system_vgpr_workitem_id 0
		.amdhsa_next_free_vgpr 1
		.amdhsa_next_free_sgpr 0
		.amdhsa_accum_offset 4
		.amdhsa_reserve_vcc 0
		.amdhsa_float_round_mode_32 0
		.amdhsa_float_round_mode_16_64 0
		.amdhsa_float_denorm_mode_32 3
		.amdhsa_float_denorm_mode_16_64 3
		.amdhsa_dx10_clamp 1
		.amdhsa_ieee_mode 1
		.amdhsa_fp16_overflow 0
		.amdhsa_tg_split 0
		.amdhsa_exception_fp_ieee_invalid_op 0
		.amdhsa_exception_fp_denorm_src 0
		.amdhsa_exception_fp_ieee_div_zero 0
		.amdhsa_exception_fp_ieee_overflow 0
		.amdhsa_exception_fp_ieee_underflow 0
		.amdhsa_exception_fp_ieee_inexact 0
		.amdhsa_exception_int_div_zero 0
	.end_amdhsa_kernel
	.section	.text._ZN7rocprim17ROCPRIM_400000_NS6detail17trampoline_kernelINS0_14default_configENS1_25partition_config_selectorILNS1_17partition_subalgoE0EsNS0_10empty_typeEbEEZZNS1_14partition_implILS5_0ELb0ES3_jN6thrust23THRUST_200600_302600_NS6detail15normal_iteratorINSA_10device_ptrIsEEEEPS6_SG_NS0_5tupleIJSF_NSA_16discard_iteratorINSA_11use_defaultEEEEEENSH_IJSG_SG_EEES6_PlJ7is_evenIsEEEE10hipError_tPvRmT3_T4_T5_T6_T7_T9_mT8_P12ihipStream_tbDpT10_ENKUlT_T0_E_clISt17integral_constantIbLb0EES18_IbLb1EEEEDaS14_S15_EUlS14_E_NS1_11comp_targetILNS1_3genE2ELNS1_11target_archE906ELNS1_3gpuE6ELNS1_3repE0EEENS1_30default_config_static_selectorELNS0_4arch9wavefront6targetE1EEEvT1_,"axG",@progbits,_ZN7rocprim17ROCPRIM_400000_NS6detail17trampoline_kernelINS0_14default_configENS1_25partition_config_selectorILNS1_17partition_subalgoE0EsNS0_10empty_typeEbEEZZNS1_14partition_implILS5_0ELb0ES3_jN6thrust23THRUST_200600_302600_NS6detail15normal_iteratorINSA_10device_ptrIsEEEEPS6_SG_NS0_5tupleIJSF_NSA_16discard_iteratorINSA_11use_defaultEEEEEENSH_IJSG_SG_EEES6_PlJ7is_evenIsEEEE10hipError_tPvRmT3_T4_T5_T6_T7_T9_mT8_P12ihipStream_tbDpT10_ENKUlT_T0_E_clISt17integral_constantIbLb0EES18_IbLb1EEEEDaS14_S15_EUlS14_E_NS1_11comp_targetILNS1_3genE2ELNS1_11target_archE906ELNS1_3gpuE6ELNS1_3repE0EEENS1_30default_config_static_selectorELNS0_4arch9wavefront6targetE1EEEvT1_,comdat
.Lfunc_end2839:
	.size	_ZN7rocprim17ROCPRIM_400000_NS6detail17trampoline_kernelINS0_14default_configENS1_25partition_config_selectorILNS1_17partition_subalgoE0EsNS0_10empty_typeEbEEZZNS1_14partition_implILS5_0ELb0ES3_jN6thrust23THRUST_200600_302600_NS6detail15normal_iteratorINSA_10device_ptrIsEEEEPS6_SG_NS0_5tupleIJSF_NSA_16discard_iteratorINSA_11use_defaultEEEEEENSH_IJSG_SG_EEES6_PlJ7is_evenIsEEEE10hipError_tPvRmT3_T4_T5_T6_T7_T9_mT8_P12ihipStream_tbDpT10_ENKUlT_T0_E_clISt17integral_constantIbLb0EES18_IbLb1EEEEDaS14_S15_EUlS14_E_NS1_11comp_targetILNS1_3genE2ELNS1_11target_archE906ELNS1_3gpuE6ELNS1_3repE0EEENS1_30default_config_static_selectorELNS0_4arch9wavefront6targetE1EEEvT1_, .Lfunc_end2839-_ZN7rocprim17ROCPRIM_400000_NS6detail17trampoline_kernelINS0_14default_configENS1_25partition_config_selectorILNS1_17partition_subalgoE0EsNS0_10empty_typeEbEEZZNS1_14partition_implILS5_0ELb0ES3_jN6thrust23THRUST_200600_302600_NS6detail15normal_iteratorINSA_10device_ptrIsEEEEPS6_SG_NS0_5tupleIJSF_NSA_16discard_iteratorINSA_11use_defaultEEEEEENSH_IJSG_SG_EEES6_PlJ7is_evenIsEEEE10hipError_tPvRmT3_T4_T5_T6_T7_T9_mT8_P12ihipStream_tbDpT10_ENKUlT_T0_E_clISt17integral_constantIbLb0EES18_IbLb1EEEEDaS14_S15_EUlS14_E_NS1_11comp_targetILNS1_3genE2ELNS1_11target_archE906ELNS1_3gpuE6ELNS1_3repE0EEENS1_30default_config_static_selectorELNS0_4arch9wavefront6targetE1EEEvT1_
                                        ; -- End function
	.section	.AMDGPU.csdata,"",@progbits
; Kernel info:
; codeLenInByte = 0
; NumSgprs: 6
; NumVgprs: 0
; NumAgprs: 0
; TotalNumVgprs: 0
; ScratchSize: 0
; MemoryBound: 0
; FloatMode: 240
; IeeeMode: 1
; LDSByteSize: 0 bytes/workgroup (compile time only)
; SGPRBlocks: 0
; VGPRBlocks: 0
; NumSGPRsForWavesPerEU: 6
; NumVGPRsForWavesPerEU: 1
; AccumOffset: 4
; Occupancy: 8
; WaveLimiterHint : 0
; COMPUTE_PGM_RSRC2:SCRATCH_EN: 0
; COMPUTE_PGM_RSRC2:USER_SGPR: 2
; COMPUTE_PGM_RSRC2:TRAP_HANDLER: 0
; COMPUTE_PGM_RSRC2:TGID_X_EN: 1
; COMPUTE_PGM_RSRC2:TGID_Y_EN: 0
; COMPUTE_PGM_RSRC2:TGID_Z_EN: 0
; COMPUTE_PGM_RSRC2:TIDIG_COMP_CNT: 0
; COMPUTE_PGM_RSRC3_GFX90A:ACCUM_OFFSET: 0
; COMPUTE_PGM_RSRC3_GFX90A:TG_SPLIT: 0
	.section	.text._ZN7rocprim17ROCPRIM_400000_NS6detail17trampoline_kernelINS0_14default_configENS1_25partition_config_selectorILNS1_17partition_subalgoE0EsNS0_10empty_typeEbEEZZNS1_14partition_implILS5_0ELb0ES3_jN6thrust23THRUST_200600_302600_NS6detail15normal_iteratorINSA_10device_ptrIsEEEEPS6_SG_NS0_5tupleIJSF_NSA_16discard_iteratorINSA_11use_defaultEEEEEENSH_IJSG_SG_EEES6_PlJ7is_evenIsEEEE10hipError_tPvRmT3_T4_T5_T6_T7_T9_mT8_P12ihipStream_tbDpT10_ENKUlT_T0_E_clISt17integral_constantIbLb0EES18_IbLb1EEEEDaS14_S15_EUlS14_E_NS1_11comp_targetILNS1_3genE10ELNS1_11target_archE1200ELNS1_3gpuE4ELNS1_3repE0EEENS1_30default_config_static_selectorELNS0_4arch9wavefront6targetE1EEEvT1_,"axG",@progbits,_ZN7rocprim17ROCPRIM_400000_NS6detail17trampoline_kernelINS0_14default_configENS1_25partition_config_selectorILNS1_17partition_subalgoE0EsNS0_10empty_typeEbEEZZNS1_14partition_implILS5_0ELb0ES3_jN6thrust23THRUST_200600_302600_NS6detail15normal_iteratorINSA_10device_ptrIsEEEEPS6_SG_NS0_5tupleIJSF_NSA_16discard_iteratorINSA_11use_defaultEEEEEENSH_IJSG_SG_EEES6_PlJ7is_evenIsEEEE10hipError_tPvRmT3_T4_T5_T6_T7_T9_mT8_P12ihipStream_tbDpT10_ENKUlT_T0_E_clISt17integral_constantIbLb0EES18_IbLb1EEEEDaS14_S15_EUlS14_E_NS1_11comp_targetILNS1_3genE10ELNS1_11target_archE1200ELNS1_3gpuE4ELNS1_3repE0EEENS1_30default_config_static_selectorELNS0_4arch9wavefront6targetE1EEEvT1_,comdat
	.protected	_ZN7rocprim17ROCPRIM_400000_NS6detail17trampoline_kernelINS0_14default_configENS1_25partition_config_selectorILNS1_17partition_subalgoE0EsNS0_10empty_typeEbEEZZNS1_14partition_implILS5_0ELb0ES3_jN6thrust23THRUST_200600_302600_NS6detail15normal_iteratorINSA_10device_ptrIsEEEEPS6_SG_NS0_5tupleIJSF_NSA_16discard_iteratorINSA_11use_defaultEEEEEENSH_IJSG_SG_EEES6_PlJ7is_evenIsEEEE10hipError_tPvRmT3_T4_T5_T6_T7_T9_mT8_P12ihipStream_tbDpT10_ENKUlT_T0_E_clISt17integral_constantIbLb0EES18_IbLb1EEEEDaS14_S15_EUlS14_E_NS1_11comp_targetILNS1_3genE10ELNS1_11target_archE1200ELNS1_3gpuE4ELNS1_3repE0EEENS1_30default_config_static_selectorELNS0_4arch9wavefront6targetE1EEEvT1_ ; -- Begin function _ZN7rocprim17ROCPRIM_400000_NS6detail17trampoline_kernelINS0_14default_configENS1_25partition_config_selectorILNS1_17partition_subalgoE0EsNS0_10empty_typeEbEEZZNS1_14partition_implILS5_0ELb0ES3_jN6thrust23THRUST_200600_302600_NS6detail15normal_iteratorINSA_10device_ptrIsEEEEPS6_SG_NS0_5tupleIJSF_NSA_16discard_iteratorINSA_11use_defaultEEEEEENSH_IJSG_SG_EEES6_PlJ7is_evenIsEEEE10hipError_tPvRmT3_T4_T5_T6_T7_T9_mT8_P12ihipStream_tbDpT10_ENKUlT_T0_E_clISt17integral_constantIbLb0EES18_IbLb1EEEEDaS14_S15_EUlS14_E_NS1_11comp_targetILNS1_3genE10ELNS1_11target_archE1200ELNS1_3gpuE4ELNS1_3repE0EEENS1_30default_config_static_selectorELNS0_4arch9wavefront6targetE1EEEvT1_
	.globl	_ZN7rocprim17ROCPRIM_400000_NS6detail17trampoline_kernelINS0_14default_configENS1_25partition_config_selectorILNS1_17partition_subalgoE0EsNS0_10empty_typeEbEEZZNS1_14partition_implILS5_0ELb0ES3_jN6thrust23THRUST_200600_302600_NS6detail15normal_iteratorINSA_10device_ptrIsEEEEPS6_SG_NS0_5tupleIJSF_NSA_16discard_iteratorINSA_11use_defaultEEEEEENSH_IJSG_SG_EEES6_PlJ7is_evenIsEEEE10hipError_tPvRmT3_T4_T5_T6_T7_T9_mT8_P12ihipStream_tbDpT10_ENKUlT_T0_E_clISt17integral_constantIbLb0EES18_IbLb1EEEEDaS14_S15_EUlS14_E_NS1_11comp_targetILNS1_3genE10ELNS1_11target_archE1200ELNS1_3gpuE4ELNS1_3repE0EEENS1_30default_config_static_selectorELNS0_4arch9wavefront6targetE1EEEvT1_
	.p2align	8
	.type	_ZN7rocprim17ROCPRIM_400000_NS6detail17trampoline_kernelINS0_14default_configENS1_25partition_config_selectorILNS1_17partition_subalgoE0EsNS0_10empty_typeEbEEZZNS1_14partition_implILS5_0ELb0ES3_jN6thrust23THRUST_200600_302600_NS6detail15normal_iteratorINSA_10device_ptrIsEEEEPS6_SG_NS0_5tupleIJSF_NSA_16discard_iteratorINSA_11use_defaultEEEEEENSH_IJSG_SG_EEES6_PlJ7is_evenIsEEEE10hipError_tPvRmT3_T4_T5_T6_T7_T9_mT8_P12ihipStream_tbDpT10_ENKUlT_T0_E_clISt17integral_constantIbLb0EES18_IbLb1EEEEDaS14_S15_EUlS14_E_NS1_11comp_targetILNS1_3genE10ELNS1_11target_archE1200ELNS1_3gpuE4ELNS1_3repE0EEENS1_30default_config_static_selectorELNS0_4arch9wavefront6targetE1EEEvT1_,@function
_ZN7rocprim17ROCPRIM_400000_NS6detail17trampoline_kernelINS0_14default_configENS1_25partition_config_selectorILNS1_17partition_subalgoE0EsNS0_10empty_typeEbEEZZNS1_14partition_implILS5_0ELb0ES3_jN6thrust23THRUST_200600_302600_NS6detail15normal_iteratorINSA_10device_ptrIsEEEEPS6_SG_NS0_5tupleIJSF_NSA_16discard_iteratorINSA_11use_defaultEEEEEENSH_IJSG_SG_EEES6_PlJ7is_evenIsEEEE10hipError_tPvRmT3_T4_T5_T6_T7_T9_mT8_P12ihipStream_tbDpT10_ENKUlT_T0_E_clISt17integral_constantIbLb0EES18_IbLb1EEEEDaS14_S15_EUlS14_E_NS1_11comp_targetILNS1_3genE10ELNS1_11target_archE1200ELNS1_3gpuE4ELNS1_3repE0EEENS1_30default_config_static_selectorELNS0_4arch9wavefront6targetE1EEEvT1_: ; @_ZN7rocprim17ROCPRIM_400000_NS6detail17trampoline_kernelINS0_14default_configENS1_25partition_config_selectorILNS1_17partition_subalgoE0EsNS0_10empty_typeEbEEZZNS1_14partition_implILS5_0ELb0ES3_jN6thrust23THRUST_200600_302600_NS6detail15normal_iteratorINSA_10device_ptrIsEEEEPS6_SG_NS0_5tupleIJSF_NSA_16discard_iteratorINSA_11use_defaultEEEEEENSH_IJSG_SG_EEES6_PlJ7is_evenIsEEEE10hipError_tPvRmT3_T4_T5_T6_T7_T9_mT8_P12ihipStream_tbDpT10_ENKUlT_T0_E_clISt17integral_constantIbLb0EES18_IbLb1EEEEDaS14_S15_EUlS14_E_NS1_11comp_targetILNS1_3genE10ELNS1_11target_archE1200ELNS1_3gpuE4ELNS1_3repE0EEENS1_30default_config_static_selectorELNS0_4arch9wavefront6targetE1EEEvT1_
; %bb.0:
	.section	.rodata,"a",@progbits
	.p2align	6, 0x0
	.amdhsa_kernel _ZN7rocprim17ROCPRIM_400000_NS6detail17trampoline_kernelINS0_14default_configENS1_25partition_config_selectorILNS1_17partition_subalgoE0EsNS0_10empty_typeEbEEZZNS1_14partition_implILS5_0ELb0ES3_jN6thrust23THRUST_200600_302600_NS6detail15normal_iteratorINSA_10device_ptrIsEEEEPS6_SG_NS0_5tupleIJSF_NSA_16discard_iteratorINSA_11use_defaultEEEEEENSH_IJSG_SG_EEES6_PlJ7is_evenIsEEEE10hipError_tPvRmT3_T4_T5_T6_T7_T9_mT8_P12ihipStream_tbDpT10_ENKUlT_T0_E_clISt17integral_constantIbLb0EES18_IbLb1EEEEDaS14_S15_EUlS14_E_NS1_11comp_targetILNS1_3genE10ELNS1_11target_archE1200ELNS1_3gpuE4ELNS1_3repE0EEENS1_30default_config_static_selectorELNS0_4arch9wavefront6targetE1EEEvT1_
		.amdhsa_group_segment_fixed_size 0
		.amdhsa_private_segment_fixed_size 0
		.amdhsa_kernarg_size 144
		.amdhsa_user_sgpr_count 2
		.amdhsa_user_sgpr_dispatch_ptr 0
		.amdhsa_user_sgpr_queue_ptr 0
		.amdhsa_user_sgpr_kernarg_segment_ptr 1
		.amdhsa_user_sgpr_dispatch_id 0
		.amdhsa_user_sgpr_kernarg_preload_length 0
		.amdhsa_user_sgpr_kernarg_preload_offset 0
		.amdhsa_user_sgpr_private_segment_size 0
		.amdhsa_uses_dynamic_stack 0
		.amdhsa_enable_private_segment 0
		.amdhsa_system_sgpr_workgroup_id_x 1
		.amdhsa_system_sgpr_workgroup_id_y 0
		.amdhsa_system_sgpr_workgroup_id_z 0
		.amdhsa_system_sgpr_workgroup_info 0
		.amdhsa_system_vgpr_workitem_id 0
		.amdhsa_next_free_vgpr 1
		.amdhsa_next_free_sgpr 0
		.amdhsa_accum_offset 4
		.amdhsa_reserve_vcc 0
		.amdhsa_float_round_mode_32 0
		.amdhsa_float_round_mode_16_64 0
		.amdhsa_float_denorm_mode_32 3
		.amdhsa_float_denorm_mode_16_64 3
		.amdhsa_dx10_clamp 1
		.amdhsa_ieee_mode 1
		.amdhsa_fp16_overflow 0
		.amdhsa_tg_split 0
		.amdhsa_exception_fp_ieee_invalid_op 0
		.amdhsa_exception_fp_denorm_src 0
		.amdhsa_exception_fp_ieee_div_zero 0
		.amdhsa_exception_fp_ieee_overflow 0
		.amdhsa_exception_fp_ieee_underflow 0
		.amdhsa_exception_fp_ieee_inexact 0
		.amdhsa_exception_int_div_zero 0
	.end_amdhsa_kernel
	.section	.text._ZN7rocprim17ROCPRIM_400000_NS6detail17trampoline_kernelINS0_14default_configENS1_25partition_config_selectorILNS1_17partition_subalgoE0EsNS0_10empty_typeEbEEZZNS1_14partition_implILS5_0ELb0ES3_jN6thrust23THRUST_200600_302600_NS6detail15normal_iteratorINSA_10device_ptrIsEEEEPS6_SG_NS0_5tupleIJSF_NSA_16discard_iteratorINSA_11use_defaultEEEEEENSH_IJSG_SG_EEES6_PlJ7is_evenIsEEEE10hipError_tPvRmT3_T4_T5_T6_T7_T9_mT8_P12ihipStream_tbDpT10_ENKUlT_T0_E_clISt17integral_constantIbLb0EES18_IbLb1EEEEDaS14_S15_EUlS14_E_NS1_11comp_targetILNS1_3genE10ELNS1_11target_archE1200ELNS1_3gpuE4ELNS1_3repE0EEENS1_30default_config_static_selectorELNS0_4arch9wavefront6targetE1EEEvT1_,"axG",@progbits,_ZN7rocprim17ROCPRIM_400000_NS6detail17trampoline_kernelINS0_14default_configENS1_25partition_config_selectorILNS1_17partition_subalgoE0EsNS0_10empty_typeEbEEZZNS1_14partition_implILS5_0ELb0ES3_jN6thrust23THRUST_200600_302600_NS6detail15normal_iteratorINSA_10device_ptrIsEEEEPS6_SG_NS0_5tupleIJSF_NSA_16discard_iteratorINSA_11use_defaultEEEEEENSH_IJSG_SG_EEES6_PlJ7is_evenIsEEEE10hipError_tPvRmT3_T4_T5_T6_T7_T9_mT8_P12ihipStream_tbDpT10_ENKUlT_T0_E_clISt17integral_constantIbLb0EES18_IbLb1EEEEDaS14_S15_EUlS14_E_NS1_11comp_targetILNS1_3genE10ELNS1_11target_archE1200ELNS1_3gpuE4ELNS1_3repE0EEENS1_30default_config_static_selectorELNS0_4arch9wavefront6targetE1EEEvT1_,comdat
.Lfunc_end2840:
	.size	_ZN7rocprim17ROCPRIM_400000_NS6detail17trampoline_kernelINS0_14default_configENS1_25partition_config_selectorILNS1_17partition_subalgoE0EsNS0_10empty_typeEbEEZZNS1_14partition_implILS5_0ELb0ES3_jN6thrust23THRUST_200600_302600_NS6detail15normal_iteratorINSA_10device_ptrIsEEEEPS6_SG_NS0_5tupleIJSF_NSA_16discard_iteratorINSA_11use_defaultEEEEEENSH_IJSG_SG_EEES6_PlJ7is_evenIsEEEE10hipError_tPvRmT3_T4_T5_T6_T7_T9_mT8_P12ihipStream_tbDpT10_ENKUlT_T0_E_clISt17integral_constantIbLb0EES18_IbLb1EEEEDaS14_S15_EUlS14_E_NS1_11comp_targetILNS1_3genE10ELNS1_11target_archE1200ELNS1_3gpuE4ELNS1_3repE0EEENS1_30default_config_static_selectorELNS0_4arch9wavefront6targetE1EEEvT1_, .Lfunc_end2840-_ZN7rocprim17ROCPRIM_400000_NS6detail17trampoline_kernelINS0_14default_configENS1_25partition_config_selectorILNS1_17partition_subalgoE0EsNS0_10empty_typeEbEEZZNS1_14partition_implILS5_0ELb0ES3_jN6thrust23THRUST_200600_302600_NS6detail15normal_iteratorINSA_10device_ptrIsEEEEPS6_SG_NS0_5tupleIJSF_NSA_16discard_iteratorINSA_11use_defaultEEEEEENSH_IJSG_SG_EEES6_PlJ7is_evenIsEEEE10hipError_tPvRmT3_T4_T5_T6_T7_T9_mT8_P12ihipStream_tbDpT10_ENKUlT_T0_E_clISt17integral_constantIbLb0EES18_IbLb1EEEEDaS14_S15_EUlS14_E_NS1_11comp_targetILNS1_3genE10ELNS1_11target_archE1200ELNS1_3gpuE4ELNS1_3repE0EEENS1_30default_config_static_selectorELNS0_4arch9wavefront6targetE1EEEvT1_
                                        ; -- End function
	.section	.AMDGPU.csdata,"",@progbits
; Kernel info:
; codeLenInByte = 0
; NumSgprs: 6
; NumVgprs: 0
; NumAgprs: 0
; TotalNumVgprs: 0
; ScratchSize: 0
; MemoryBound: 0
; FloatMode: 240
; IeeeMode: 1
; LDSByteSize: 0 bytes/workgroup (compile time only)
; SGPRBlocks: 0
; VGPRBlocks: 0
; NumSGPRsForWavesPerEU: 6
; NumVGPRsForWavesPerEU: 1
; AccumOffset: 4
; Occupancy: 8
; WaveLimiterHint : 0
; COMPUTE_PGM_RSRC2:SCRATCH_EN: 0
; COMPUTE_PGM_RSRC2:USER_SGPR: 2
; COMPUTE_PGM_RSRC2:TRAP_HANDLER: 0
; COMPUTE_PGM_RSRC2:TGID_X_EN: 1
; COMPUTE_PGM_RSRC2:TGID_Y_EN: 0
; COMPUTE_PGM_RSRC2:TGID_Z_EN: 0
; COMPUTE_PGM_RSRC2:TIDIG_COMP_CNT: 0
; COMPUTE_PGM_RSRC3_GFX90A:ACCUM_OFFSET: 0
; COMPUTE_PGM_RSRC3_GFX90A:TG_SPLIT: 0
	.section	.text._ZN7rocprim17ROCPRIM_400000_NS6detail17trampoline_kernelINS0_14default_configENS1_25partition_config_selectorILNS1_17partition_subalgoE0EsNS0_10empty_typeEbEEZZNS1_14partition_implILS5_0ELb0ES3_jN6thrust23THRUST_200600_302600_NS6detail15normal_iteratorINSA_10device_ptrIsEEEEPS6_SG_NS0_5tupleIJSF_NSA_16discard_iteratorINSA_11use_defaultEEEEEENSH_IJSG_SG_EEES6_PlJ7is_evenIsEEEE10hipError_tPvRmT3_T4_T5_T6_T7_T9_mT8_P12ihipStream_tbDpT10_ENKUlT_T0_E_clISt17integral_constantIbLb0EES18_IbLb1EEEEDaS14_S15_EUlS14_E_NS1_11comp_targetILNS1_3genE9ELNS1_11target_archE1100ELNS1_3gpuE3ELNS1_3repE0EEENS1_30default_config_static_selectorELNS0_4arch9wavefront6targetE1EEEvT1_,"axG",@progbits,_ZN7rocprim17ROCPRIM_400000_NS6detail17trampoline_kernelINS0_14default_configENS1_25partition_config_selectorILNS1_17partition_subalgoE0EsNS0_10empty_typeEbEEZZNS1_14partition_implILS5_0ELb0ES3_jN6thrust23THRUST_200600_302600_NS6detail15normal_iteratorINSA_10device_ptrIsEEEEPS6_SG_NS0_5tupleIJSF_NSA_16discard_iteratorINSA_11use_defaultEEEEEENSH_IJSG_SG_EEES6_PlJ7is_evenIsEEEE10hipError_tPvRmT3_T4_T5_T6_T7_T9_mT8_P12ihipStream_tbDpT10_ENKUlT_T0_E_clISt17integral_constantIbLb0EES18_IbLb1EEEEDaS14_S15_EUlS14_E_NS1_11comp_targetILNS1_3genE9ELNS1_11target_archE1100ELNS1_3gpuE3ELNS1_3repE0EEENS1_30default_config_static_selectorELNS0_4arch9wavefront6targetE1EEEvT1_,comdat
	.protected	_ZN7rocprim17ROCPRIM_400000_NS6detail17trampoline_kernelINS0_14default_configENS1_25partition_config_selectorILNS1_17partition_subalgoE0EsNS0_10empty_typeEbEEZZNS1_14partition_implILS5_0ELb0ES3_jN6thrust23THRUST_200600_302600_NS6detail15normal_iteratorINSA_10device_ptrIsEEEEPS6_SG_NS0_5tupleIJSF_NSA_16discard_iteratorINSA_11use_defaultEEEEEENSH_IJSG_SG_EEES6_PlJ7is_evenIsEEEE10hipError_tPvRmT3_T4_T5_T6_T7_T9_mT8_P12ihipStream_tbDpT10_ENKUlT_T0_E_clISt17integral_constantIbLb0EES18_IbLb1EEEEDaS14_S15_EUlS14_E_NS1_11comp_targetILNS1_3genE9ELNS1_11target_archE1100ELNS1_3gpuE3ELNS1_3repE0EEENS1_30default_config_static_selectorELNS0_4arch9wavefront6targetE1EEEvT1_ ; -- Begin function _ZN7rocprim17ROCPRIM_400000_NS6detail17trampoline_kernelINS0_14default_configENS1_25partition_config_selectorILNS1_17partition_subalgoE0EsNS0_10empty_typeEbEEZZNS1_14partition_implILS5_0ELb0ES3_jN6thrust23THRUST_200600_302600_NS6detail15normal_iteratorINSA_10device_ptrIsEEEEPS6_SG_NS0_5tupleIJSF_NSA_16discard_iteratorINSA_11use_defaultEEEEEENSH_IJSG_SG_EEES6_PlJ7is_evenIsEEEE10hipError_tPvRmT3_T4_T5_T6_T7_T9_mT8_P12ihipStream_tbDpT10_ENKUlT_T0_E_clISt17integral_constantIbLb0EES18_IbLb1EEEEDaS14_S15_EUlS14_E_NS1_11comp_targetILNS1_3genE9ELNS1_11target_archE1100ELNS1_3gpuE3ELNS1_3repE0EEENS1_30default_config_static_selectorELNS0_4arch9wavefront6targetE1EEEvT1_
	.globl	_ZN7rocprim17ROCPRIM_400000_NS6detail17trampoline_kernelINS0_14default_configENS1_25partition_config_selectorILNS1_17partition_subalgoE0EsNS0_10empty_typeEbEEZZNS1_14partition_implILS5_0ELb0ES3_jN6thrust23THRUST_200600_302600_NS6detail15normal_iteratorINSA_10device_ptrIsEEEEPS6_SG_NS0_5tupleIJSF_NSA_16discard_iteratorINSA_11use_defaultEEEEEENSH_IJSG_SG_EEES6_PlJ7is_evenIsEEEE10hipError_tPvRmT3_T4_T5_T6_T7_T9_mT8_P12ihipStream_tbDpT10_ENKUlT_T0_E_clISt17integral_constantIbLb0EES18_IbLb1EEEEDaS14_S15_EUlS14_E_NS1_11comp_targetILNS1_3genE9ELNS1_11target_archE1100ELNS1_3gpuE3ELNS1_3repE0EEENS1_30default_config_static_selectorELNS0_4arch9wavefront6targetE1EEEvT1_
	.p2align	8
	.type	_ZN7rocprim17ROCPRIM_400000_NS6detail17trampoline_kernelINS0_14default_configENS1_25partition_config_selectorILNS1_17partition_subalgoE0EsNS0_10empty_typeEbEEZZNS1_14partition_implILS5_0ELb0ES3_jN6thrust23THRUST_200600_302600_NS6detail15normal_iteratorINSA_10device_ptrIsEEEEPS6_SG_NS0_5tupleIJSF_NSA_16discard_iteratorINSA_11use_defaultEEEEEENSH_IJSG_SG_EEES6_PlJ7is_evenIsEEEE10hipError_tPvRmT3_T4_T5_T6_T7_T9_mT8_P12ihipStream_tbDpT10_ENKUlT_T0_E_clISt17integral_constantIbLb0EES18_IbLb1EEEEDaS14_S15_EUlS14_E_NS1_11comp_targetILNS1_3genE9ELNS1_11target_archE1100ELNS1_3gpuE3ELNS1_3repE0EEENS1_30default_config_static_selectorELNS0_4arch9wavefront6targetE1EEEvT1_,@function
_ZN7rocprim17ROCPRIM_400000_NS6detail17trampoline_kernelINS0_14default_configENS1_25partition_config_selectorILNS1_17partition_subalgoE0EsNS0_10empty_typeEbEEZZNS1_14partition_implILS5_0ELb0ES3_jN6thrust23THRUST_200600_302600_NS6detail15normal_iteratorINSA_10device_ptrIsEEEEPS6_SG_NS0_5tupleIJSF_NSA_16discard_iteratorINSA_11use_defaultEEEEEENSH_IJSG_SG_EEES6_PlJ7is_evenIsEEEE10hipError_tPvRmT3_T4_T5_T6_T7_T9_mT8_P12ihipStream_tbDpT10_ENKUlT_T0_E_clISt17integral_constantIbLb0EES18_IbLb1EEEEDaS14_S15_EUlS14_E_NS1_11comp_targetILNS1_3genE9ELNS1_11target_archE1100ELNS1_3gpuE3ELNS1_3repE0EEENS1_30default_config_static_selectorELNS0_4arch9wavefront6targetE1EEEvT1_: ; @_ZN7rocprim17ROCPRIM_400000_NS6detail17trampoline_kernelINS0_14default_configENS1_25partition_config_selectorILNS1_17partition_subalgoE0EsNS0_10empty_typeEbEEZZNS1_14partition_implILS5_0ELb0ES3_jN6thrust23THRUST_200600_302600_NS6detail15normal_iteratorINSA_10device_ptrIsEEEEPS6_SG_NS0_5tupleIJSF_NSA_16discard_iteratorINSA_11use_defaultEEEEEENSH_IJSG_SG_EEES6_PlJ7is_evenIsEEEE10hipError_tPvRmT3_T4_T5_T6_T7_T9_mT8_P12ihipStream_tbDpT10_ENKUlT_T0_E_clISt17integral_constantIbLb0EES18_IbLb1EEEEDaS14_S15_EUlS14_E_NS1_11comp_targetILNS1_3genE9ELNS1_11target_archE1100ELNS1_3gpuE3ELNS1_3repE0EEENS1_30default_config_static_selectorELNS0_4arch9wavefront6targetE1EEEvT1_
; %bb.0:
	.section	.rodata,"a",@progbits
	.p2align	6, 0x0
	.amdhsa_kernel _ZN7rocprim17ROCPRIM_400000_NS6detail17trampoline_kernelINS0_14default_configENS1_25partition_config_selectorILNS1_17partition_subalgoE0EsNS0_10empty_typeEbEEZZNS1_14partition_implILS5_0ELb0ES3_jN6thrust23THRUST_200600_302600_NS6detail15normal_iteratorINSA_10device_ptrIsEEEEPS6_SG_NS0_5tupleIJSF_NSA_16discard_iteratorINSA_11use_defaultEEEEEENSH_IJSG_SG_EEES6_PlJ7is_evenIsEEEE10hipError_tPvRmT3_T4_T5_T6_T7_T9_mT8_P12ihipStream_tbDpT10_ENKUlT_T0_E_clISt17integral_constantIbLb0EES18_IbLb1EEEEDaS14_S15_EUlS14_E_NS1_11comp_targetILNS1_3genE9ELNS1_11target_archE1100ELNS1_3gpuE3ELNS1_3repE0EEENS1_30default_config_static_selectorELNS0_4arch9wavefront6targetE1EEEvT1_
		.amdhsa_group_segment_fixed_size 0
		.amdhsa_private_segment_fixed_size 0
		.amdhsa_kernarg_size 144
		.amdhsa_user_sgpr_count 2
		.amdhsa_user_sgpr_dispatch_ptr 0
		.amdhsa_user_sgpr_queue_ptr 0
		.amdhsa_user_sgpr_kernarg_segment_ptr 1
		.amdhsa_user_sgpr_dispatch_id 0
		.amdhsa_user_sgpr_kernarg_preload_length 0
		.amdhsa_user_sgpr_kernarg_preload_offset 0
		.amdhsa_user_sgpr_private_segment_size 0
		.amdhsa_uses_dynamic_stack 0
		.amdhsa_enable_private_segment 0
		.amdhsa_system_sgpr_workgroup_id_x 1
		.amdhsa_system_sgpr_workgroup_id_y 0
		.amdhsa_system_sgpr_workgroup_id_z 0
		.amdhsa_system_sgpr_workgroup_info 0
		.amdhsa_system_vgpr_workitem_id 0
		.amdhsa_next_free_vgpr 1
		.amdhsa_next_free_sgpr 0
		.amdhsa_accum_offset 4
		.amdhsa_reserve_vcc 0
		.amdhsa_float_round_mode_32 0
		.amdhsa_float_round_mode_16_64 0
		.amdhsa_float_denorm_mode_32 3
		.amdhsa_float_denorm_mode_16_64 3
		.amdhsa_dx10_clamp 1
		.amdhsa_ieee_mode 1
		.amdhsa_fp16_overflow 0
		.amdhsa_tg_split 0
		.amdhsa_exception_fp_ieee_invalid_op 0
		.amdhsa_exception_fp_denorm_src 0
		.amdhsa_exception_fp_ieee_div_zero 0
		.amdhsa_exception_fp_ieee_overflow 0
		.amdhsa_exception_fp_ieee_underflow 0
		.amdhsa_exception_fp_ieee_inexact 0
		.amdhsa_exception_int_div_zero 0
	.end_amdhsa_kernel
	.section	.text._ZN7rocprim17ROCPRIM_400000_NS6detail17trampoline_kernelINS0_14default_configENS1_25partition_config_selectorILNS1_17partition_subalgoE0EsNS0_10empty_typeEbEEZZNS1_14partition_implILS5_0ELb0ES3_jN6thrust23THRUST_200600_302600_NS6detail15normal_iteratorINSA_10device_ptrIsEEEEPS6_SG_NS0_5tupleIJSF_NSA_16discard_iteratorINSA_11use_defaultEEEEEENSH_IJSG_SG_EEES6_PlJ7is_evenIsEEEE10hipError_tPvRmT3_T4_T5_T6_T7_T9_mT8_P12ihipStream_tbDpT10_ENKUlT_T0_E_clISt17integral_constantIbLb0EES18_IbLb1EEEEDaS14_S15_EUlS14_E_NS1_11comp_targetILNS1_3genE9ELNS1_11target_archE1100ELNS1_3gpuE3ELNS1_3repE0EEENS1_30default_config_static_selectorELNS0_4arch9wavefront6targetE1EEEvT1_,"axG",@progbits,_ZN7rocprim17ROCPRIM_400000_NS6detail17trampoline_kernelINS0_14default_configENS1_25partition_config_selectorILNS1_17partition_subalgoE0EsNS0_10empty_typeEbEEZZNS1_14partition_implILS5_0ELb0ES3_jN6thrust23THRUST_200600_302600_NS6detail15normal_iteratorINSA_10device_ptrIsEEEEPS6_SG_NS0_5tupleIJSF_NSA_16discard_iteratorINSA_11use_defaultEEEEEENSH_IJSG_SG_EEES6_PlJ7is_evenIsEEEE10hipError_tPvRmT3_T4_T5_T6_T7_T9_mT8_P12ihipStream_tbDpT10_ENKUlT_T0_E_clISt17integral_constantIbLb0EES18_IbLb1EEEEDaS14_S15_EUlS14_E_NS1_11comp_targetILNS1_3genE9ELNS1_11target_archE1100ELNS1_3gpuE3ELNS1_3repE0EEENS1_30default_config_static_selectorELNS0_4arch9wavefront6targetE1EEEvT1_,comdat
.Lfunc_end2841:
	.size	_ZN7rocprim17ROCPRIM_400000_NS6detail17trampoline_kernelINS0_14default_configENS1_25partition_config_selectorILNS1_17partition_subalgoE0EsNS0_10empty_typeEbEEZZNS1_14partition_implILS5_0ELb0ES3_jN6thrust23THRUST_200600_302600_NS6detail15normal_iteratorINSA_10device_ptrIsEEEEPS6_SG_NS0_5tupleIJSF_NSA_16discard_iteratorINSA_11use_defaultEEEEEENSH_IJSG_SG_EEES6_PlJ7is_evenIsEEEE10hipError_tPvRmT3_T4_T5_T6_T7_T9_mT8_P12ihipStream_tbDpT10_ENKUlT_T0_E_clISt17integral_constantIbLb0EES18_IbLb1EEEEDaS14_S15_EUlS14_E_NS1_11comp_targetILNS1_3genE9ELNS1_11target_archE1100ELNS1_3gpuE3ELNS1_3repE0EEENS1_30default_config_static_selectorELNS0_4arch9wavefront6targetE1EEEvT1_, .Lfunc_end2841-_ZN7rocprim17ROCPRIM_400000_NS6detail17trampoline_kernelINS0_14default_configENS1_25partition_config_selectorILNS1_17partition_subalgoE0EsNS0_10empty_typeEbEEZZNS1_14partition_implILS5_0ELb0ES3_jN6thrust23THRUST_200600_302600_NS6detail15normal_iteratorINSA_10device_ptrIsEEEEPS6_SG_NS0_5tupleIJSF_NSA_16discard_iteratorINSA_11use_defaultEEEEEENSH_IJSG_SG_EEES6_PlJ7is_evenIsEEEE10hipError_tPvRmT3_T4_T5_T6_T7_T9_mT8_P12ihipStream_tbDpT10_ENKUlT_T0_E_clISt17integral_constantIbLb0EES18_IbLb1EEEEDaS14_S15_EUlS14_E_NS1_11comp_targetILNS1_3genE9ELNS1_11target_archE1100ELNS1_3gpuE3ELNS1_3repE0EEENS1_30default_config_static_selectorELNS0_4arch9wavefront6targetE1EEEvT1_
                                        ; -- End function
	.section	.AMDGPU.csdata,"",@progbits
; Kernel info:
; codeLenInByte = 0
; NumSgprs: 6
; NumVgprs: 0
; NumAgprs: 0
; TotalNumVgprs: 0
; ScratchSize: 0
; MemoryBound: 0
; FloatMode: 240
; IeeeMode: 1
; LDSByteSize: 0 bytes/workgroup (compile time only)
; SGPRBlocks: 0
; VGPRBlocks: 0
; NumSGPRsForWavesPerEU: 6
; NumVGPRsForWavesPerEU: 1
; AccumOffset: 4
; Occupancy: 8
; WaveLimiterHint : 0
; COMPUTE_PGM_RSRC2:SCRATCH_EN: 0
; COMPUTE_PGM_RSRC2:USER_SGPR: 2
; COMPUTE_PGM_RSRC2:TRAP_HANDLER: 0
; COMPUTE_PGM_RSRC2:TGID_X_EN: 1
; COMPUTE_PGM_RSRC2:TGID_Y_EN: 0
; COMPUTE_PGM_RSRC2:TGID_Z_EN: 0
; COMPUTE_PGM_RSRC2:TIDIG_COMP_CNT: 0
; COMPUTE_PGM_RSRC3_GFX90A:ACCUM_OFFSET: 0
; COMPUTE_PGM_RSRC3_GFX90A:TG_SPLIT: 0
	.section	.text._ZN7rocprim17ROCPRIM_400000_NS6detail17trampoline_kernelINS0_14default_configENS1_25partition_config_selectorILNS1_17partition_subalgoE0EsNS0_10empty_typeEbEEZZNS1_14partition_implILS5_0ELb0ES3_jN6thrust23THRUST_200600_302600_NS6detail15normal_iteratorINSA_10device_ptrIsEEEEPS6_SG_NS0_5tupleIJSF_NSA_16discard_iteratorINSA_11use_defaultEEEEEENSH_IJSG_SG_EEES6_PlJ7is_evenIsEEEE10hipError_tPvRmT3_T4_T5_T6_T7_T9_mT8_P12ihipStream_tbDpT10_ENKUlT_T0_E_clISt17integral_constantIbLb0EES18_IbLb1EEEEDaS14_S15_EUlS14_E_NS1_11comp_targetILNS1_3genE8ELNS1_11target_archE1030ELNS1_3gpuE2ELNS1_3repE0EEENS1_30default_config_static_selectorELNS0_4arch9wavefront6targetE1EEEvT1_,"axG",@progbits,_ZN7rocprim17ROCPRIM_400000_NS6detail17trampoline_kernelINS0_14default_configENS1_25partition_config_selectorILNS1_17partition_subalgoE0EsNS0_10empty_typeEbEEZZNS1_14partition_implILS5_0ELb0ES3_jN6thrust23THRUST_200600_302600_NS6detail15normal_iteratorINSA_10device_ptrIsEEEEPS6_SG_NS0_5tupleIJSF_NSA_16discard_iteratorINSA_11use_defaultEEEEEENSH_IJSG_SG_EEES6_PlJ7is_evenIsEEEE10hipError_tPvRmT3_T4_T5_T6_T7_T9_mT8_P12ihipStream_tbDpT10_ENKUlT_T0_E_clISt17integral_constantIbLb0EES18_IbLb1EEEEDaS14_S15_EUlS14_E_NS1_11comp_targetILNS1_3genE8ELNS1_11target_archE1030ELNS1_3gpuE2ELNS1_3repE0EEENS1_30default_config_static_selectorELNS0_4arch9wavefront6targetE1EEEvT1_,comdat
	.protected	_ZN7rocprim17ROCPRIM_400000_NS6detail17trampoline_kernelINS0_14default_configENS1_25partition_config_selectorILNS1_17partition_subalgoE0EsNS0_10empty_typeEbEEZZNS1_14partition_implILS5_0ELb0ES3_jN6thrust23THRUST_200600_302600_NS6detail15normal_iteratorINSA_10device_ptrIsEEEEPS6_SG_NS0_5tupleIJSF_NSA_16discard_iteratorINSA_11use_defaultEEEEEENSH_IJSG_SG_EEES6_PlJ7is_evenIsEEEE10hipError_tPvRmT3_T4_T5_T6_T7_T9_mT8_P12ihipStream_tbDpT10_ENKUlT_T0_E_clISt17integral_constantIbLb0EES18_IbLb1EEEEDaS14_S15_EUlS14_E_NS1_11comp_targetILNS1_3genE8ELNS1_11target_archE1030ELNS1_3gpuE2ELNS1_3repE0EEENS1_30default_config_static_selectorELNS0_4arch9wavefront6targetE1EEEvT1_ ; -- Begin function _ZN7rocprim17ROCPRIM_400000_NS6detail17trampoline_kernelINS0_14default_configENS1_25partition_config_selectorILNS1_17partition_subalgoE0EsNS0_10empty_typeEbEEZZNS1_14partition_implILS5_0ELb0ES3_jN6thrust23THRUST_200600_302600_NS6detail15normal_iteratorINSA_10device_ptrIsEEEEPS6_SG_NS0_5tupleIJSF_NSA_16discard_iteratorINSA_11use_defaultEEEEEENSH_IJSG_SG_EEES6_PlJ7is_evenIsEEEE10hipError_tPvRmT3_T4_T5_T6_T7_T9_mT8_P12ihipStream_tbDpT10_ENKUlT_T0_E_clISt17integral_constantIbLb0EES18_IbLb1EEEEDaS14_S15_EUlS14_E_NS1_11comp_targetILNS1_3genE8ELNS1_11target_archE1030ELNS1_3gpuE2ELNS1_3repE0EEENS1_30default_config_static_selectorELNS0_4arch9wavefront6targetE1EEEvT1_
	.globl	_ZN7rocprim17ROCPRIM_400000_NS6detail17trampoline_kernelINS0_14default_configENS1_25partition_config_selectorILNS1_17partition_subalgoE0EsNS0_10empty_typeEbEEZZNS1_14partition_implILS5_0ELb0ES3_jN6thrust23THRUST_200600_302600_NS6detail15normal_iteratorINSA_10device_ptrIsEEEEPS6_SG_NS0_5tupleIJSF_NSA_16discard_iteratorINSA_11use_defaultEEEEEENSH_IJSG_SG_EEES6_PlJ7is_evenIsEEEE10hipError_tPvRmT3_T4_T5_T6_T7_T9_mT8_P12ihipStream_tbDpT10_ENKUlT_T0_E_clISt17integral_constantIbLb0EES18_IbLb1EEEEDaS14_S15_EUlS14_E_NS1_11comp_targetILNS1_3genE8ELNS1_11target_archE1030ELNS1_3gpuE2ELNS1_3repE0EEENS1_30default_config_static_selectorELNS0_4arch9wavefront6targetE1EEEvT1_
	.p2align	8
	.type	_ZN7rocprim17ROCPRIM_400000_NS6detail17trampoline_kernelINS0_14default_configENS1_25partition_config_selectorILNS1_17partition_subalgoE0EsNS0_10empty_typeEbEEZZNS1_14partition_implILS5_0ELb0ES3_jN6thrust23THRUST_200600_302600_NS6detail15normal_iteratorINSA_10device_ptrIsEEEEPS6_SG_NS0_5tupleIJSF_NSA_16discard_iteratorINSA_11use_defaultEEEEEENSH_IJSG_SG_EEES6_PlJ7is_evenIsEEEE10hipError_tPvRmT3_T4_T5_T6_T7_T9_mT8_P12ihipStream_tbDpT10_ENKUlT_T0_E_clISt17integral_constantIbLb0EES18_IbLb1EEEEDaS14_S15_EUlS14_E_NS1_11comp_targetILNS1_3genE8ELNS1_11target_archE1030ELNS1_3gpuE2ELNS1_3repE0EEENS1_30default_config_static_selectorELNS0_4arch9wavefront6targetE1EEEvT1_,@function
_ZN7rocprim17ROCPRIM_400000_NS6detail17trampoline_kernelINS0_14default_configENS1_25partition_config_selectorILNS1_17partition_subalgoE0EsNS0_10empty_typeEbEEZZNS1_14partition_implILS5_0ELb0ES3_jN6thrust23THRUST_200600_302600_NS6detail15normal_iteratorINSA_10device_ptrIsEEEEPS6_SG_NS0_5tupleIJSF_NSA_16discard_iteratorINSA_11use_defaultEEEEEENSH_IJSG_SG_EEES6_PlJ7is_evenIsEEEE10hipError_tPvRmT3_T4_T5_T6_T7_T9_mT8_P12ihipStream_tbDpT10_ENKUlT_T0_E_clISt17integral_constantIbLb0EES18_IbLb1EEEEDaS14_S15_EUlS14_E_NS1_11comp_targetILNS1_3genE8ELNS1_11target_archE1030ELNS1_3gpuE2ELNS1_3repE0EEENS1_30default_config_static_selectorELNS0_4arch9wavefront6targetE1EEEvT1_: ; @_ZN7rocprim17ROCPRIM_400000_NS6detail17trampoline_kernelINS0_14default_configENS1_25partition_config_selectorILNS1_17partition_subalgoE0EsNS0_10empty_typeEbEEZZNS1_14partition_implILS5_0ELb0ES3_jN6thrust23THRUST_200600_302600_NS6detail15normal_iteratorINSA_10device_ptrIsEEEEPS6_SG_NS0_5tupleIJSF_NSA_16discard_iteratorINSA_11use_defaultEEEEEENSH_IJSG_SG_EEES6_PlJ7is_evenIsEEEE10hipError_tPvRmT3_T4_T5_T6_T7_T9_mT8_P12ihipStream_tbDpT10_ENKUlT_T0_E_clISt17integral_constantIbLb0EES18_IbLb1EEEEDaS14_S15_EUlS14_E_NS1_11comp_targetILNS1_3genE8ELNS1_11target_archE1030ELNS1_3gpuE2ELNS1_3repE0EEENS1_30default_config_static_selectorELNS0_4arch9wavefront6targetE1EEEvT1_
; %bb.0:
	.section	.rodata,"a",@progbits
	.p2align	6, 0x0
	.amdhsa_kernel _ZN7rocprim17ROCPRIM_400000_NS6detail17trampoline_kernelINS0_14default_configENS1_25partition_config_selectorILNS1_17partition_subalgoE0EsNS0_10empty_typeEbEEZZNS1_14partition_implILS5_0ELb0ES3_jN6thrust23THRUST_200600_302600_NS6detail15normal_iteratorINSA_10device_ptrIsEEEEPS6_SG_NS0_5tupleIJSF_NSA_16discard_iteratorINSA_11use_defaultEEEEEENSH_IJSG_SG_EEES6_PlJ7is_evenIsEEEE10hipError_tPvRmT3_T4_T5_T6_T7_T9_mT8_P12ihipStream_tbDpT10_ENKUlT_T0_E_clISt17integral_constantIbLb0EES18_IbLb1EEEEDaS14_S15_EUlS14_E_NS1_11comp_targetILNS1_3genE8ELNS1_11target_archE1030ELNS1_3gpuE2ELNS1_3repE0EEENS1_30default_config_static_selectorELNS0_4arch9wavefront6targetE1EEEvT1_
		.amdhsa_group_segment_fixed_size 0
		.amdhsa_private_segment_fixed_size 0
		.amdhsa_kernarg_size 144
		.amdhsa_user_sgpr_count 2
		.amdhsa_user_sgpr_dispatch_ptr 0
		.amdhsa_user_sgpr_queue_ptr 0
		.amdhsa_user_sgpr_kernarg_segment_ptr 1
		.amdhsa_user_sgpr_dispatch_id 0
		.amdhsa_user_sgpr_kernarg_preload_length 0
		.amdhsa_user_sgpr_kernarg_preload_offset 0
		.amdhsa_user_sgpr_private_segment_size 0
		.amdhsa_uses_dynamic_stack 0
		.amdhsa_enable_private_segment 0
		.amdhsa_system_sgpr_workgroup_id_x 1
		.amdhsa_system_sgpr_workgroup_id_y 0
		.amdhsa_system_sgpr_workgroup_id_z 0
		.amdhsa_system_sgpr_workgroup_info 0
		.amdhsa_system_vgpr_workitem_id 0
		.amdhsa_next_free_vgpr 1
		.amdhsa_next_free_sgpr 0
		.amdhsa_accum_offset 4
		.amdhsa_reserve_vcc 0
		.amdhsa_float_round_mode_32 0
		.amdhsa_float_round_mode_16_64 0
		.amdhsa_float_denorm_mode_32 3
		.amdhsa_float_denorm_mode_16_64 3
		.amdhsa_dx10_clamp 1
		.amdhsa_ieee_mode 1
		.amdhsa_fp16_overflow 0
		.amdhsa_tg_split 0
		.amdhsa_exception_fp_ieee_invalid_op 0
		.amdhsa_exception_fp_denorm_src 0
		.amdhsa_exception_fp_ieee_div_zero 0
		.amdhsa_exception_fp_ieee_overflow 0
		.amdhsa_exception_fp_ieee_underflow 0
		.amdhsa_exception_fp_ieee_inexact 0
		.amdhsa_exception_int_div_zero 0
	.end_amdhsa_kernel
	.section	.text._ZN7rocprim17ROCPRIM_400000_NS6detail17trampoline_kernelINS0_14default_configENS1_25partition_config_selectorILNS1_17partition_subalgoE0EsNS0_10empty_typeEbEEZZNS1_14partition_implILS5_0ELb0ES3_jN6thrust23THRUST_200600_302600_NS6detail15normal_iteratorINSA_10device_ptrIsEEEEPS6_SG_NS0_5tupleIJSF_NSA_16discard_iteratorINSA_11use_defaultEEEEEENSH_IJSG_SG_EEES6_PlJ7is_evenIsEEEE10hipError_tPvRmT3_T4_T5_T6_T7_T9_mT8_P12ihipStream_tbDpT10_ENKUlT_T0_E_clISt17integral_constantIbLb0EES18_IbLb1EEEEDaS14_S15_EUlS14_E_NS1_11comp_targetILNS1_3genE8ELNS1_11target_archE1030ELNS1_3gpuE2ELNS1_3repE0EEENS1_30default_config_static_selectorELNS0_4arch9wavefront6targetE1EEEvT1_,"axG",@progbits,_ZN7rocprim17ROCPRIM_400000_NS6detail17trampoline_kernelINS0_14default_configENS1_25partition_config_selectorILNS1_17partition_subalgoE0EsNS0_10empty_typeEbEEZZNS1_14partition_implILS5_0ELb0ES3_jN6thrust23THRUST_200600_302600_NS6detail15normal_iteratorINSA_10device_ptrIsEEEEPS6_SG_NS0_5tupleIJSF_NSA_16discard_iteratorINSA_11use_defaultEEEEEENSH_IJSG_SG_EEES6_PlJ7is_evenIsEEEE10hipError_tPvRmT3_T4_T5_T6_T7_T9_mT8_P12ihipStream_tbDpT10_ENKUlT_T0_E_clISt17integral_constantIbLb0EES18_IbLb1EEEEDaS14_S15_EUlS14_E_NS1_11comp_targetILNS1_3genE8ELNS1_11target_archE1030ELNS1_3gpuE2ELNS1_3repE0EEENS1_30default_config_static_selectorELNS0_4arch9wavefront6targetE1EEEvT1_,comdat
.Lfunc_end2842:
	.size	_ZN7rocprim17ROCPRIM_400000_NS6detail17trampoline_kernelINS0_14default_configENS1_25partition_config_selectorILNS1_17partition_subalgoE0EsNS0_10empty_typeEbEEZZNS1_14partition_implILS5_0ELb0ES3_jN6thrust23THRUST_200600_302600_NS6detail15normal_iteratorINSA_10device_ptrIsEEEEPS6_SG_NS0_5tupleIJSF_NSA_16discard_iteratorINSA_11use_defaultEEEEEENSH_IJSG_SG_EEES6_PlJ7is_evenIsEEEE10hipError_tPvRmT3_T4_T5_T6_T7_T9_mT8_P12ihipStream_tbDpT10_ENKUlT_T0_E_clISt17integral_constantIbLb0EES18_IbLb1EEEEDaS14_S15_EUlS14_E_NS1_11comp_targetILNS1_3genE8ELNS1_11target_archE1030ELNS1_3gpuE2ELNS1_3repE0EEENS1_30default_config_static_selectorELNS0_4arch9wavefront6targetE1EEEvT1_, .Lfunc_end2842-_ZN7rocprim17ROCPRIM_400000_NS6detail17trampoline_kernelINS0_14default_configENS1_25partition_config_selectorILNS1_17partition_subalgoE0EsNS0_10empty_typeEbEEZZNS1_14partition_implILS5_0ELb0ES3_jN6thrust23THRUST_200600_302600_NS6detail15normal_iteratorINSA_10device_ptrIsEEEEPS6_SG_NS0_5tupleIJSF_NSA_16discard_iteratorINSA_11use_defaultEEEEEENSH_IJSG_SG_EEES6_PlJ7is_evenIsEEEE10hipError_tPvRmT3_T4_T5_T6_T7_T9_mT8_P12ihipStream_tbDpT10_ENKUlT_T0_E_clISt17integral_constantIbLb0EES18_IbLb1EEEEDaS14_S15_EUlS14_E_NS1_11comp_targetILNS1_3genE8ELNS1_11target_archE1030ELNS1_3gpuE2ELNS1_3repE0EEENS1_30default_config_static_selectorELNS0_4arch9wavefront6targetE1EEEvT1_
                                        ; -- End function
	.section	.AMDGPU.csdata,"",@progbits
; Kernel info:
; codeLenInByte = 0
; NumSgprs: 6
; NumVgprs: 0
; NumAgprs: 0
; TotalNumVgprs: 0
; ScratchSize: 0
; MemoryBound: 0
; FloatMode: 240
; IeeeMode: 1
; LDSByteSize: 0 bytes/workgroup (compile time only)
; SGPRBlocks: 0
; VGPRBlocks: 0
; NumSGPRsForWavesPerEU: 6
; NumVGPRsForWavesPerEU: 1
; AccumOffset: 4
; Occupancy: 8
; WaveLimiterHint : 0
; COMPUTE_PGM_RSRC2:SCRATCH_EN: 0
; COMPUTE_PGM_RSRC2:USER_SGPR: 2
; COMPUTE_PGM_RSRC2:TRAP_HANDLER: 0
; COMPUTE_PGM_RSRC2:TGID_X_EN: 1
; COMPUTE_PGM_RSRC2:TGID_Y_EN: 0
; COMPUTE_PGM_RSRC2:TGID_Z_EN: 0
; COMPUTE_PGM_RSRC2:TIDIG_COMP_CNT: 0
; COMPUTE_PGM_RSRC3_GFX90A:ACCUM_OFFSET: 0
; COMPUTE_PGM_RSRC3_GFX90A:TG_SPLIT: 0
	.section	.text._ZN7rocprim17ROCPRIM_400000_NS6detail17trampoline_kernelINS0_14default_configENS1_25partition_config_selectorILNS1_17partition_subalgoE0EsNS0_10empty_typeEbEEZZNS1_14partition_implILS5_0ELb0ES3_jN6thrust23THRUST_200600_302600_NS6detail15normal_iteratorINSA_10device_ptrIsEEEEPS6_SG_NS0_5tupleIJNSA_16discard_iteratorINSA_11use_defaultEEESF_EEENSH_IJSG_SG_EEES6_PlJ7is_evenIsEEEE10hipError_tPvRmT3_T4_T5_T6_T7_T9_mT8_P12ihipStream_tbDpT10_ENKUlT_T0_E_clISt17integral_constantIbLb0EES19_EEDaS14_S15_EUlS14_E_NS1_11comp_targetILNS1_3genE0ELNS1_11target_archE4294967295ELNS1_3gpuE0ELNS1_3repE0EEENS1_30default_config_static_selectorELNS0_4arch9wavefront6targetE1EEEvT1_,"axG",@progbits,_ZN7rocprim17ROCPRIM_400000_NS6detail17trampoline_kernelINS0_14default_configENS1_25partition_config_selectorILNS1_17partition_subalgoE0EsNS0_10empty_typeEbEEZZNS1_14partition_implILS5_0ELb0ES3_jN6thrust23THRUST_200600_302600_NS6detail15normal_iteratorINSA_10device_ptrIsEEEEPS6_SG_NS0_5tupleIJNSA_16discard_iteratorINSA_11use_defaultEEESF_EEENSH_IJSG_SG_EEES6_PlJ7is_evenIsEEEE10hipError_tPvRmT3_T4_T5_T6_T7_T9_mT8_P12ihipStream_tbDpT10_ENKUlT_T0_E_clISt17integral_constantIbLb0EES19_EEDaS14_S15_EUlS14_E_NS1_11comp_targetILNS1_3genE0ELNS1_11target_archE4294967295ELNS1_3gpuE0ELNS1_3repE0EEENS1_30default_config_static_selectorELNS0_4arch9wavefront6targetE1EEEvT1_,comdat
	.protected	_ZN7rocprim17ROCPRIM_400000_NS6detail17trampoline_kernelINS0_14default_configENS1_25partition_config_selectorILNS1_17partition_subalgoE0EsNS0_10empty_typeEbEEZZNS1_14partition_implILS5_0ELb0ES3_jN6thrust23THRUST_200600_302600_NS6detail15normal_iteratorINSA_10device_ptrIsEEEEPS6_SG_NS0_5tupleIJNSA_16discard_iteratorINSA_11use_defaultEEESF_EEENSH_IJSG_SG_EEES6_PlJ7is_evenIsEEEE10hipError_tPvRmT3_T4_T5_T6_T7_T9_mT8_P12ihipStream_tbDpT10_ENKUlT_T0_E_clISt17integral_constantIbLb0EES19_EEDaS14_S15_EUlS14_E_NS1_11comp_targetILNS1_3genE0ELNS1_11target_archE4294967295ELNS1_3gpuE0ELNS1_3repE0EEENS1_30default_config_static_selectorELNS0_4arch9wavefront6targetE1EEEvT1_ ; -- Begin function _ZN7rocprim17ROCPRIM_400000_NS6detail17trampoline_kernelINS0_14default_configENS1_25partition_config_selectorILNS1_17partition_subalgoE0EsNS0_10empty_typeEbEEZZNS1_14partition_implILS5_0ELb0ES3_jN6thrust23THRUST_200600_302600_NS6detail15normal_iteratorINSA_10device_ptrIsEEEEPS6_SG_NS0_5tupleIJNSA_16discard_iteratorINSA_11use_defaultEEESF_EEENSH_IJSG_SG_EEES6_PlJ7is_evenIsEEEE10hipError_tPvRmT3_T4_T5_T6_T7_T9_mT8_P12ihipStream_tbDpT10_ENKUlT_T0_E_clISt17integral_constantIbLb0EES19_EEDaS14_S15_EUlS14_E_NS1_11comp_targetILNS1_3genE0ELNS1_11target_archE4294967295ELNS1_3gpuE0ELNS1_3repE0EEENS1_30default_config_static_selectorELNS0_4arch9wavefront6targetE1EEEvT1_
	.globl	_ZN7rocprim17ROCPRIM_400000_NS6detail17trampoline_kernelINS0_14default_configENS1_25partition_config_selectorILNS1_17partition_subalgoE0EsNS0_10empty_typeEbEEZZNS1_14partition_implILS5_0ELb0ES3_jN6thrust23THRUST_200600_302600_NS6detail15normal_iteratorINSA_10device_ptrIsEEEEPS6_SG_NS0_5tupleIJNSA_16discard_iteratorINSA_11use_defaultEEESF_EEENSH_IJSG_SG_EEES6_PlJ7is_evenIsEEEE10hipError_tPvRmT3_T4_T5_T6_T7_T9_mT8_P12ihipStream_tbDpT10_ENKUlT_T0_E_clISt17integral_constantIbLb0EES19_EEDaS14_S15_EUlS14_E_NS1_11comp_targetILNS1_3genE0ELNS1_11target_archE4294967295ELNS1_3gpuE0ELNS1_3repE0EEENS1_30default_config_static_selectorELNS0_4arch9wavefront6targetE1EEEvT1_
	.p2align	8
	.type	_ZN7rocprim17ROCPRIM_400000_NS6detail17trampoline_kernelINS0_14default_configENS1_25partition_config_selectorILNS1_17partition_subalgoE0EsNS0_10empty_typeEbEEZZNS1_14partition_implILS5_0ELb0ES3_jN6thrust23THRUST_200600_302600_NS6detail15normal_iteratorINSA_10device_ptrIsEEEEPS6_SG_NS0_5tupleIJNSA_16discard_iteratorINSA_11use_defaultEEESF_EEENSH_IJSG_SG_EEES6_PlJ7is_evenIsEEEE10hipError_tPvRmT3_T4_T5_T6_T7_T9_mT8_P12ihipStream_tbDpT10_ENKUlT_T0_E_clISt17integral_constantIbLb0EES19_EEDaS14_S15_EUlS14_E_NS1_11comp_targetILNS1_3genE0ELNS1_11target_archE4294967295ELNS1_3gpuE0ELNS1_3repE0EEENS1_30default_config_static_selectorELNS0_4arch9wavefront6targetE1EEEvT1_,@function
_ZN7rocprim17ROCPRIM_400000_NS6detail17trampoline_kernelINS0_14default_configENS1_25partition_config_selectorILNS1_17partition_subalgoE0EsNS0_10empty_typeEbEEZZNS1_14partition_implILS5_0ELb0ES3_jN6thrust23THRUST_200600_302600_NS6detail15normal_iteratorINSA_10device_ptrIsEEEEPS6_SG_NS0_5tupleIJNSA_16discard_iteratorINSA_11use_defaultEEESF_EEENSH_IJSG_SG_EEES6_PlJ7is_evenIsEEEE10hipError_tPvRmT3_T4_T5_T6_T7_T9_mT8_P12ihipStream_tbDpT10_ENKUlT_T0_E_clISt17integral_constantIbLb0EES19_EEDaS14_S15_EUlS14_E_NS1_11comp_targetILNS1_3genE0ELNS1_11target_archE4294967295ELNS1_3gpuE0ELNS1_3repE0EEENS1_30default_config_static_selectorELNS0_4arch9wavefront6targetE1EEEvT1_: ; @_ZN7rocprim17ROCPRIM_400000_NS6detail17trampoline_kernelINS0_14default_configENS1_25partition_config_selectorILNS1_17partition_subalgoE0EsNS0_10empty_typeEbEEZZNS1_14partition_implILS5_0ELb0ES3_jN6thrust23THRUST_200600_302600_NS6detail15normal_iteratorINSA_10device_ptrIsEEEEPS6_SG_NS0_5tupleIJNSA_16discard_iteratorINSA_11use_defaultEEESF_EEENSH_IJSG_SG_EEES6_PlJ7is_evenIsEEEE10hipError_tPvRmT3_T4_T5_T6_T7_T9_mT8_P12ihipStream_tbDpT10_ENKUlT_T0_E_clISt17integral_constantIbLb0EES19_EEDaS14_S15_EUlS14_E_NS1_11comp_targetILNS1_3genE0ELNS1_11target_archE4294967295ELNS1_3gpuE0ELNS1_3repE0EEENS1_30default_config_static_selectorELNS0_4arch9wavefront6targetE1EEEvT1_
; %bb.0:
	.section	.rodata,"a",@progbits
	.p2align	6, 0x0
	.amdhsa_kernel _ZN7rocprim17ROCPRIM_400000_NS6detail17trampoline_kernelINS0_14default_configENS1_25partition_config_selectorILNS1_17partition_subalgoE0EsNS0_10empty_typeEbEEZZNS1_14partition_implILS5_0ELb0ES3_jN6thrust23THRUST_200600_302600_NS6detail15normal_iteratorINSA_10device_ptrIsEEEEPS6_SG_NS0_5tupleIJNSA_16discard_iteratorINSA_11use_defaultEEESF_EEENSH_IJSG_SG_EEES6_PlJ7is_evenIsEEEE10hipError_tPvRmT3_T4_T5_T6_T7_T9_mT8_P12ihipStream_tbDpT10_ENKUlT_T0_E_clISt17integral_constantIbLb0EES19_EEDaS14_S15_EUlS14_E_NS1_11comp_targetILNS1_3genE0ELNS1_11target_archE4294967295ELNS1_3gpuE0ELNS1_3repE0EEENS1_30default_config_static_selectorELNS0_4arch9wavefront6targetE1EEEvT1_
		.amdhsa_group_segment_fixed_size 0
		.amdhsa_private_segment_fixed_size 0
		.amdhsa_kernarg_size 128
		.amdhsa_user_sgpr_count 2
		.amdhsa_user_sgpr_dispatch_ptr 0
		.amdhsa_user_sgpr_queue_ptr 0
		.amdhsa_user_sgpr_kernarg_segment_ptr 1
		.amdhsa_user_sgpr_dispatch_id 0
		.amdhsa_user_sgpr_kernarg_preload_length 0
		.amdhsa_user_sgpr_kernarg_preload_offset 0
		.amdhsa_user_sgpr_private_segment_size 0
		.amdhsa_uses_dynamic_stack 0
		.amdhsa_enable_private_segment 0
		.amdhsa_system_sgpr_workgroup_id_x 1
		.amdhsa_system_sgpr_workgroup_id_y 0
		.amdhsa_system_sgpr_workgroup_id_z 0
		.amdhsa_system_sgpr_workgroup_info 0
		.amdhsa_system_vgpr_workitem_id 0
		.amdhsa_next_free_vgpr 1
		.amdhsa_next_free_sgpr 0
		.amdhsa_accum_offset 4
		.amdhsa_reserve_vcc 0
		.amdhsa_float_round_mode_32 0
		.amdhsa_float_round_mode_16_64 0
		.amdhsa_float_denorm_mode_32 3
		.amdhsa_float_denorm_mode_16_64 3
		.amdhsa_dx10_clamp 1
		.amdhsa_ieee_mode 1
		.amdhsa_fp16_overflow 0
		.amdhsa_tg_split 0
		.amdhsa_exception_fp_ieee_invalid_op 0
		.amdhsa_exception_fp_denorm_src 0
		.amdhsa_exception_fp_ieee_div_zero 0
		.amdhsa_exception_fp_ieee_overflow 0
		.amdhsa_exception_fp_ieee_underflow 0
		.amdhsa_exception_fp_ieee_inexact 0
		.amdhsa_exception_int_div_zero 0
	.end_amdhsa_kernel
	.section	.text._ZN7rocprim17ROCPRIM_400000_NS6detail17trampoline_kernelINS0_14default_configENS1_25partition_config_selectorILNS1_17partition_subalgoE0EsNS0_10empty_typeEbEEZZNS1_14partition_implILS5_0ELb0ES3_jN6thrust23THRUST_200600_302600_NS6detail15normal_iteratorINSA_10device_ptrIsEEEEPS6_SG_NS0_5tupleIJNSA_16discard_iteratorINSA_11use_defaultEEESF_EEENSH_IJSG_SG_EEES6_PlJ7is_evenIsEEEE10hipError_tPvRmT3_T4_T5_T6_T7_T9_mT8_P12ihipStream_tbDpT10_ENKUlT_T0_E_clISt17integral_constantIbLb0EES19_EEDaS14_S15_EUlS14_E_NS1_11comp_targetILNS1_3genE0ELNS1_11target_archE4294967295ELNS1_3gpuE0ELNS1_3repE0EEENS1_30default_config_static_selectorELNS0_4arch9wavefront6targetE1EEEvT1_,"axG",@progbits,_ZN7rocprim17ROCPRIM_400000_NS6detail17trampoline_kernelINS0_14default_configENS1_25partition_config_selectorILNS1_17partition_subalgoE0EsNS0_10empty_typeEbEEZZNS1_14partition_implILS5_0ELb0ES3_jN6thrust23THRUST_200600_302600_NS6detail15normal_iteratorINSA_10device_ptrIsEEEEPS6_SG_NS0_5tupleIJNSA_16discard_iteratorINSA_11use_defaultEEESF_EEENSH_IJSG_SG_EEES6_PlJ7is_evenIsEEEE10hipError_tPvRmT3_T4_T5_T6_T7_T9_mT8_P12ihipStream_tbDpT10_ENKUlT_T0_E_clISt17integral_constantIbLb0EES19_EEDaS14_S15_EUlS14_E_NS1_11comp_targetILNS1_3genE0ELNS1_11target_archE4294967295ELNS1_3gpuE0ELNS1_3repE0EEENS1_30default_config_static_selectorELNS0_4arch9wavefront6targetE1EEEvT1_,comdat
.Lfunc_end2843:
	.size	_ZN7rocprim17ROCPRIM_400000_NS6detail17trampoline_kernelINS0_14default_configENS1_25partition_config_selectorILNS1_17partition_subalgoE0EsNS0_10empty_typeEbEEZZNS1_14partition_implILS5_0ELb0ES3_jN6thrust23THRUST_200600_302600_NS6detail15normal_iteratorINSA_10device_ptrIsEEEEPS6_SG_NS0_5tupleIJNSA_16discard_iteratorINSA_11use_defaultEEESF_EEENSH_IJSG_SG_EEES6_PlJ7is_evenIsEEEE10hipError_tPvRmT3_T4_T5_T6_T7_T9_mT8_P12ihipStream_tbDpT10_ENKUlT_T0_E_clISt17integral_constantIbLb0EES19_EEDaS14_S15_EUlS14_E_NS1_11comp_targetILNS1_3genE0ELNS1_11target_archE4294967295ELNS1_3gpuE0ELNS1_3repE0EEENS1_30default_config_static_selectorELNS0_4arch9wavefront6targetE1EEEvT1_, .Lfunc_end2843-_ZN7rocprim17ROCPRIM_400000_NS6detail17trampoline_kernelINS0_14default_configENS1_25partition_config_selectorILNS1_17partition_subalgoE0EsNS0_10empty_typeEbEEZZNS1_14partition_implILS5_0ELb0ES3_jN6thrust23THRUST_200600_302600_NS6detail15normal_iteratorINSA_10device_ptrIsEEEEPS6_SG_NS0_5tupleIJNSA_16discard_iteratorINSA_11use_defaultEEESF_EEENSH_IJSG_SG_EEES6_PlJ7is_evenIsEEEE10hipError_tPvRmT3_T4_T5_T6_T7_T9_mT8_P12ihipStream_tbDpT10_ENKUlT_T0_E_clISt17integral_constantIbLb0EES19_EEDaS14_S15_EUlS14_E_NS1_11comp_targetILNS1_3genE0ELNS1_11target_archE4294967295ELNS1_3gpuE0ELNS1_3repE0EEENS1_30default_config_static_selectorELNS0_4arch9wavefront6targetE1EEEvT1_
                                        ; -- End function
	.section	.AMDGPU.csdata,"",@progbits
; Kernel info:
; codeLenInByte = 0
; NumSgprs: 6
; NumVgprs: 0
; NumAgprs: 0
; TotalNumVgprs: 0
; ScratchSize: 0
; MemoryBound: 0
; FloatMode: 240
; IeeeMode: 1
; LDSByteSize: 0 bytes/workgroup (compile time only)
; SGPRBlocks: 0
; VGPRBlocks: 0
; NumSGPRsForWavesPerEU: 6
; NumVGPRsForWavesPerEU: 1
; AccumOffset: 4
; Occupancy: 8
; WaveLimiterHint : 0
; COMPUTE_PGM_RSRC2:SCRATCH_EN: 0
; COMPUTE_PGM_RSRC2:USER_SGPR: 2
; COMPUTE_PGM_RSRC2:TRAP_HANDLER: 0
; COMPUTE_PGM_RSRC2:TGID_X_EN: 1
; COMPUTE_PGM_RSRC2:TGID_Y_EN: 0
; COMPUTE_PGM_RSRC2:TGID_Z_EN: 0
; COMPUTE_PGM_RSRC2:TIDIG_COMP_CNT: 0
; COMPUTE_PGM_RSRC3_GFX90A:ACCUM_OFFSET: 0
; COMPUTE_PGM_RSRC3_GFX90A:TG_SPLIT: 0
	.section	.text._ZN7rocprim17ROCPRIM_400000_NS6detail17trampoline_kernelINS0_14default_configENS1_25partition_config_selectorILNS1_17partition_subalgoE0EsNS0_10empty_typeEbEEZZNS1_14partition_implILS5_0ELb0ES3_jN6thrust23THRUST_200600_302600_NS6detail15normal_iteratorINSA_10device_ptrIsEEEEPS6_SG_NS0_5tupleIJNSA_16discard_iteratorINSA_11use_defaultEEESF_EEENSH_IJSG_SG_EEES6_PlJ7is_evenIsEEEE10hipError_tPvRmT3_T4_T5_T6_T7_T9_mT8_P12ihipStream_tbDpT10_ENKUlT_T0_E_clISt17integral_constantIbLb0EES19_EEDaS14_S15_EUlS14_E_NS1_11comp_targetILNS1_3genE5ELNS1_11target_archE942ELNS1_3gpuE9ELNS1_3repE0EEENS1_30default_config_static_selectorELNS0_4arch9wavefront6targetE1EEEvT1_,"axG",@progbits,_ZN7rocprim17ROCPRIM_400000_NS6detail17trampoline_kernelINS0_14default_configENS1_25partition_config_selectorILNS1_17partition_subalgoE0EsNS0_10empty_typeEbEEZZNS1_14partition_implILS5_0ELb0ES3_jN6thrust23THRUST_200600_302600_NS6detail15normal_iteratorINSA_10device_ptrIsEEEEPS6_SG_NS0_5tupleIJNSA_16discard_iteratorINSA_11use_defaultEEESF_EEENSH_IJSG_SG_EEES6_PlJ7is_evenIsEEEE10hipError_tPvRmT3_T4_T5_T6_T7_T9_mT8_P12ihipStream_tbDpT10_ENKUlT_T0_E_clISt17integral_constantIbLb0EES19_EEDaS14_S15_EUlS14_E_NS1_11comp_targetILNS1_3genE5ELNS1_11target_archE942ELNS1_3gpuE9ELNS1_3repE0EEENS1_30default_config_static_selectorELNS0_4arch9wavefront6targetE1EEEvT1_,comdat
	.protected	_ZN7rocprim17ROCPRIM_400000_NS6detail17trampoline_kernelINS0_14default_configENS1_25partition_config_selectorILNS1_17partition_subalgoE0EsNS0_10empty_typeEbEEZZNS1_14partition_implILS5_0ELb0ES3_jN6thrust23THRUST_200600_302600_NS6detail15normal_iteratorINSA_10device_ptrIsEEEEPS6_SG_NS0_5tupleIJNSA_16discard_iteratorINSA_11use_defaultEEESF_EEENSH_IJSG_SG_EEES6_PlJ7is_evenIsEEEE10hipError_tPvRmT3_T4_T5_T6_T7_T9_mT8_P12ihipStream_tbDpT10_ENKUlT_T0_E_clISt17integral_constantIbLb0EES19_EEDaS14_S15_EUlS14_E_NS1_11comp_targetILNS1_3genE5ELNS1_11target_archE942ELNS1_3gpuE9ELNS1_3repE0EEENS1_30default_config_static_selectorELNS0_4arch9wavefront6targetE1EEEvT1_ ; -- Begin function _ZN7rocprim17ROCPRIM_400000_NS6detail17trampoline_kernelINS0_14default_configENS1_25partition_config_selectorILNS1_17partition_subalgoE0EsNS0_10empty_typeEbEEZZNS1_14partition_implILS5_0ELb0ES3_jN6thrust23THRUST_200600_302600_NS6detail15normal_iteratorINSA_10device_ptrIsEEEEPS6_SG_NS0_5tupleIJNSA_16discard_iteratorINSA_11use_defaultEEESF_EEENSH_IJSG_SG_EEES6_PlJ7is_evenIsEEEE10hipError_tPvRmT3_T4_T5_T6_T7_T9_mT8_P12ihipStream_tbDpT10_ENKUlT_T0_E_clISt17integral_constantIbLb0EES19_EEDaS14_S15_EUlS14_E_NS1_11comp_targetILNS1_3genE5ELNS1_11target_archE942ELNS1_3gpuE9ELNS1_3repE0EEENS1_30default_config_static_selectorELNS0_4arch9wavefront6targetE1EEEvT1_
	.globl	_ZN7rocprim17ROCPRIM_400000_NS6detail17trampoline_kernelINS0_14default_configENS1_25partition_config_selectorILNS1_17partition_subalgoE0EsNS0_10empty_typeEbEEZZNS1_14partition_implILS5_0ELb0ES3_jN6thrust23THRUST_200600_302600_NS6detail15normal_iteratorINSA_10device_ptrIsEEEEPS6_SG_NS0_5tupleIJNSA_16discard_iteratorINSA_11use_defaultEEESF_EEENSH_IJSG_SG_EEES6_PlJ7is_evenIsEEEE10hipError_tPvRmT3_T4_T5_T6_T7_T9_mT8_P12ihipStream_tbDpT10_ENKUlT_T0_E_clISt17integral_constantIbLb0EES19_EEDaS14_S15_EUlS14_E_NS1_11comp_targetILNS1_3genE5ELNS1_11target_archE942ELNS1_3gpuE9ELNS1_3repE0EEENS1_30default_config_static_selectorELNS0_4arch9wavefront6targetE1EEEvT1_
	.p2align	8
	.type	_ZN7rocprim17ROCPRIM_400000_NS6detail17trampoline_kernelINS0_14default_configENS1_25partition_config_selectorILNS1_17partition_subalgoE0EsNS0_10empty_typeEbEEZZNS1_14partition_implILS5_0ELb0ES3_jN6thrust23THRUST_200600_302600_NS6detail15normal_iteratorINSA_10device_ptrIsEEEEPS6_SG_NS0_5tupleIJNSA_16discard_iteratorINSA_11use_defaultEEESF_EEENSH_IJSG_SG_EEES6_PlJ7is_evenIsEEEE10hipError_tPvRmT3_T4_T5_T6_T7_T9_mT8_P12ihipStream_tbDpT10_ENKUlT_T0_E_clISt17integral_constantIbLb0EES19_EEDaS14_S15_EUlS14_E_NS1_11comp_targetILNS1_3genE5ELNS1_11target_archE942ELNS1_3gpuE9ELNS1_3repE0EEENS1_30default_config_static_selectorELNS0_4arch9wavefront6targetE1EEEvT1_,@function
_ZN7rocprim17ROCPRIM_400000_NS6detail17trampoline_kernelINS0_14default_configENS1_25partition_config_selectorILNS1_17partition_subalgoE0EsNS0_10empty_typeEbEEZZNS1_14partition_implILS5_0ELb0ES3_jN6thrust23THRUST_200600_302600_NS6detail15normal_iteratorINSA_10device_ptrIsEEEEPS6_SG_NS0_5tupleIJNSA_16discard_iteratorINSA_11use_defaultEEESF_EEENSH_IJSG_SG_EEES6_PlJ7is_evenIsEEEE10hipError_tPvRmT3_T4_T5_T6_T7_T9_mT8_P12ihipStream_tbDpT10_ENKUlT_T0_E_clISt17integral_constantIbLb0EES19_EEDaS14_S15_EUlS14_E_NS1_11comp_targetILNS1_3genE5ELNS1_11target_archE942ELNS1_3gpuE9ELNS1_3repE0EEENS1_30default_config_static_selectorELNS0_4arch9wavefront6targetE1EEEvT1_: ; @_ZN7rocprim17ROCPRIM_400000_NS6detail17trampoline_kernelINS0_14default_configENS1_25partition_config_selectorILNS1_17partition_subalgoE0EsNS0_10empty_typeEbEEZZNS1_14partition_implILS5_0ELb0ES3_jN6thrust23THRUST_200600_302600_NS6detail15normal_iteratorINSA_10device_ptrIsEEEEPS6_SG_NS0_5tupleIJNSA_16discard_iteratorINSA_11use_defaultEEESF_EEENSH_IJSG_SG_EEES6_PlJ7is_evenIsEEEE10hipError_tPvRmT3_T4_T5_T6_T7_T9_mT8_P12ihipStream_tbDpT10_ENKUlT_T0_E_clISt17integral_constantIbLb0EES19_EEDaS14_S15_EUlS14_E_NS1_11comp_targetILNS1_3genE5ELNS1_11target_archE942ELNS1_3gpuE9ELNS1_3repE0EEENS1_30default_config_static_selectorELNS0_4arch9wavefront6targetE1EEEvT1_
; %bb.0:
	s_load_dwordx2 s[4:5], s[0:1], 0x60
	s_load_dwordx4 s[20:23], s[0:1], 0x8
	s_load_dwordx4 s[24:27], s[0:1], 0x50
	s_load_dword s3, s[0:1], 0x78
	s_mul_i32 s8, s2, 0x3c00
	s_waitcnt lgkmcnt(0)
	v_mov_b32_e32 v3, s5
	s_lshl_b64 s[6:7], s[22:23], 1
	s_add_u32 s10, s20, s6
	s_addc_u32 s11, s21, s7
	s_add_i32 s6, s3, -1
	s_mulk_i32 s3, 0x3c00
	s_add_i32 s5, s3, s22
	s_sub_i32 s33, s4, s5
	s_addk_i32 s33, 0x3c00
	v_mov_b32_e32 v2, s4
	s_add_u32 s4, s22, s3
	s_addc_u32 s5, s23, 0
	s_cmp_eq_u32 s2, s6
	s_load_dwordx2 s[28:29], s[26:27], 0x0
	s_cselect_b64 s[26:27], -1, 0
	s_cmp_lg_u32 s2, s6
	s_mov_b32 s9, 0
	v_cmp_lt_u64_e32 vcc, s[4:5], v[2:3]
	s_cselect_b64 s[4:5], -1, 0
	s_or_b64 s[6:7], s[4:5], vcc
	s_lshl_b64 s[30:31], s[8:9], 1
	s_add_u32 s8, s10, s30
	s_addc_u32 s9, s11, s31
	s_mov_b64 s[4:5], -1
	s_and_b64 vcc, exec, s[6:7]
	v_lshlrev_b32_e32 v2, 1, v0
	s_cbranch_vccz .LBB2844_2
; %bb.1:
	v_mov_b32_e32 v3, 0
	v_lshl_add_u64 v[4:5], s[8:9], 0, v[2:3]
	v_add_co_u32_e32 v6, vcc, 0x1000, v4
	s_mov_b64 s[4:5], 0
	s_nop 0
	v_addc_co_u32_e32 v7, vcc, 0, v5, vcc
	flat_load_ushort v1, v[4:5]
	flat_load_ushort v3, v[4:5] offset:1024
	flat_load_ushort v10, v[4:5] offset:2048
	flat_load_ushort v11, v[4:5] offset:3072
	flat_load_ushort v12, v[6:7]
	flat_load_ushort v13, v[6:7] offset:1024
	flat_load_ushort v14, v[6:7] offset:2048
	flat_load_ushort v15, v[6:7] offset:3072
	v_add_co_u32_e32 v6, vcc, 0x2000, v4
	s_nop 1
	v_addc_co_u32_e32 v7, vcc, 0, v5, vcc
	v_add_co_u32_e32 v8, vcc, 0x3000, v4
	s_nop 1
	v_addc_co_u32_e32 v9, vcc, 0, v5, vcc
	flat_load_ushort v16, v[6:7]
	flat_load_ushort v17, v[6:7] offset:1024
	flat_load_ushort v18, v[6:7] offset:2048
	flat_load_ushort v19, v[6:7] offset:3072
	flat_load_ushort v20, v[8:9]
	flat_load_ushort v21, v[8:9] offset:1024
	flat_load_ushort v22, v[8:9] offset:2048
	flat_load_ushort v23, v[8:9] offset:3072
	v_add_co_u32_e32 v6, vcc, 0x4000, v4
	s_nop 1
	v_addc_co_u32_e32 v7, vcc, 0, v5, vcc
	v_add_co_u32_e32 v8, vcc, 0x5000, v4
	;; [unrolled: 14-line block ×3, first 2 shown]
	s_nop 1
	v_addc_co_u32_e32 v5, vcc, 0, v5, vcc
	flat_load_ushort v8, v[6:7]
	flat_load_ushort v9, v[6:7] offset:1024
	flat_load_ushort v32, v[6:7] offset:2048
	;; [unrolled: 1-line block ×3, first 2 shown]
	flat_load_ushort v34, v[4:5]
	flat_load_ushort v35, v[4:5] offset:1024
	s_waitcnt vmcnt(0) lgkmcnt(0)
	ds_write_b16 v2, v1
	ds_write_b16 v2, v3 offset:1024
	ds_write_b16 v2, v10 offset:2048
	;; [unrolled: 1-line block ×29, first 2 shown]
	s_waitcnt lgkmcnt(0)
	s_barrier
.LBB2844_2:
	s_andn2_b64 vcc, exec, s[4:5]
	v_cmp_gt_u32_e64 s[4:5], s33, v0
	s_cbranch_vccnz .LBB2844_64
; %bb.3:
                                        ; implicit-def: $vgpr1
	s_and_saveexec_b64 s[10:11], s[4:5]
	s_cbranch_execz .LBB2844_5
; %bb.4:
	v_mov_b32_e32 v3, 0
	v_lshl_add_u64 v[4:5], s[8:9], 0, v[2:3]
	flat_load_ushort v1, v[4:5]
.LBB2844_5:
	s_or_b64 exec, exec, s[10:11]
	v_or_b32_e32 v3, 0x200, v0
	v_cmp_gt_u32_e32 vcc, s33, v3
                                        ; implicit-def: $vgpr4
	s_and_saveexec_b64 s[4:5], vcc
	s_cbranch_execz .LBB2844_7
; %bb.6:
	v_mov_b32_e32 v3, 0
	v_lshl_add_u64 v[4:5], s[8:9], 0, v[2:3]
	flat_load_ushort v4, v[4:5] offset:1024
.LBB2844_7:
	s_or_b64 exec, exec, s[4:5]
	v_or_b32_e32 v3, 0x400, v0
	v_cmp_gt_u32_e32 vcc, s33, v3
                                        ; implicit-def: $vgpr5
	s_and_saveexec_b64 s[4:5], vcc
	s_cbranch_execz .LBB2844_9
; %bb.8:
	v_mov_b32_e32 v3, 0
	v_lshl_add_u64 v[6:7], s[8:9], 0, v[2:3]
	flat_load_ushort v5, v[6:7] offset:2048
.LBB2844_9:
	s_or_b64 exec, exec, s[4:5]
	v_or_b32_e32 v3, 0x600, v0
	v_cmp_gt_u32_e32 vcc, s33, v3
                                        ; implicit-def: $vgpr3
	s_and_saveexec_b64 s[4:5], vcc
	s_cbranch_execz .LBB2844_11
; %bb.10:
	v_mov_b32_e32 v3, 0
	v_lshl_add_u64 v[6:7], s[8:9], 0, v[2:3]
	flat_load_ushort v3, v[6:7] offset:3072
.LBB2844_11:
	s_or_b64 exec, exec, s[4:5]
	v_or_b32_e32 v7, 0x800, v0
	v_cmp_gt_u32_e32 vcc, s33, v7
                                        ; implicit-def: $vgpr6
	s_and_saveexec_b64 s[4:5], vcc
	s_cbranch_execz .LBB2844_13
; %bb.12:
	v_lshlrev_b32_e32 v6, 1, v7
	v_mov_b32_e32 v7, 0
	v_lshl_add_u64 v[6:7], s[8:9], 0, v[6:7]
	flat_load_ushort v6, v[6:7]
.LBB2844_13:
	s_or_b64 exec, exec, s[4:5]
	v_or_b32_e32 v8, 0xa00, v0
	v_cmp_gt_u32_e32 vcc, s33, v8
                                        ; implicit-def: $vgpr7
	s_and_saveexec_b64 s[4:5], vcc
	s_cbranch_execz .LBB2844_15
; %bb.14:
	v_lshlrev_b32_e32 v8, 1, v8
	v_mov_b32_e32 v9, 0
	v_lshl_add_u64 v[8:9], s[8:9], 0, v[8:9]
	flat_load_ushort v7, v[8:9]
.LBB2844_15:
	s_or_b64 exec, exec, s[4:5]
	v_or_b32_e32 v9, 0xc00, v0
	v_cmp_gt_u32_e32 vcc, s33, v9
                                        ; implicit-def: $vgpr8
	s_and_saveexec_b64 s[4:5], vcc
	s_cbranch_execz .LBB2844_17
; %bb.16:
	v_lshlrev_b32_e32 v8, 1, v9
	v_mov_b32_e32 v9, 0
	v_lshl_add_u64 v[8:9], s[8:9], 0, v[8:9]
	flat_load_ushort v8, v[8:9]
.LBB2844_17:
	s_or_b64 exec, exec, s[4:5]
	v_or_b32_e32 v10, 0xe00, v0
	v_cmp_gt_u32_e32 vcc, s33, v10
                                        ; implicit-def: $vgpr9
	s_and_saveexec_b64 s[4:5], vcc
	s_cbranch_execz .LBB2844_19
; %bb.18:
	v_lshlrev_b32_e32 v10, 1, v10
	v_mov_b32_e32 v11, 0
	v_lshl_add_u64 v[10:11], s[8:9], 0, v[10:11]
	flat_load_ushort v9, v[10:11]
.LBB2844_19:
	s_or_b64 exec, exec, s[4:5]
	v_or_b32_e32 v11, 0x1000, v0
	v_cmp_gt_u32_e32 vcc, s33, v11
                                        ; implicit-def: $vgpr10
	s_and_saveexec_b64 s[4:5], vcc
	s_cbranch_execz .LBB2844_21
; %bb.20:
	v_lshlrev_b32_e32 v10, 1, v11
	v_mov_b32_e32 v11, 0
	v_lshl_add_u64 v[10:11], s[8:9], 0, v[10:11]
	flat_load_ushort v10, v[10:11]
.LBB2844_21:
	s_or_b64 exec, exec, s[4:5]
	v_or_b32_e32 v12, 0x1200, v0
	v_cmp_gt_u32_e32 vcc, s33, v12
                                        ; implicit-def: $vgpr11
	s_and_saveexec_b64 s[4:5], vcc
	s_cbranch_execz .LBB2844_23
; %bb.22:
	v_lshlrev_b32_e32 v12, 1, v12
	v_mov_b32_e32 v13, 0
	v_lshl_add_u64 v[12:13], s[8:9], 0, v[12:13]
	flat_load_ushort v11, v[12:13]
.LBB2844_23:
	s_or_b64 exec, exec, s[4:5]
	v_or_b32_e32 v13, 0x1400, v0
	v_cmp_gt_u32_e32 vcc, s33, v13
                                        ; implicit-def: $vgpr12
	s_and_saveexec_b64 s[4:5], vcc
	s_cbranch_execz .LBB2844_25
; %bb.24:
	v_lshlrev_b32_e32 v12, 1, v13
	v_mov_b32_e32 v13, 0
	v_lshl_add_u64 v[12:13], s[8:9], 0, v[12:13]
	flat_load_ushort v12, v[12:13]
.LBB2844_25:
	s_or_b64 exec, exec, s[4:5]
	v_or_b32_e32 v14, 0x1600, v0
	v_cmp_gt_u32_e32 vcc, s33, v14
                                        ; implicit-def: $vgpr13
	s_and_saveexec_b64 s[4:5], vcc
	s_cbranch_execz .LBB2844_27
; %bb.26:
	v_lshlrev_b32_e32 v14, 1, v14
	v_mov_b32_e32 v15, 0
	v_lshl_add_u64 v[14:15], s[8:9], 0, v[14:15]
	flat_load_ushort v13, v[14:15]
.LBB2844_27:
	s_or_b64 exec, exec, s[4:5]
	v_or_b32_e32 v15, 0x1800, v0
	v_cmp_gt_u32_e32 vcc, s33, v15
                                        ; implicit-def: $vgpr14
	s_and_saveexec_b64 s[4:5], vcc
	s_cbranch_execz .LBB2844_29
; %bb.28:
	v_lshlrev_b32_e32 v14, 1, v15
	v_mov_b32_e32 v15, 0
	v_lshl_add_u64 v[14:15], s[8:9], 0, v[14:15]
	flat_load_ushort v14, v[14:15]
.LBB2844_29:
	s_or_b64 exec, exec, s[4:5]
	v_or_b32_e32 v16, 0x1a00, v0
	v_cmp_gt_u32_e32 vcc, s33, v16
                                        ; implicit-def: $vgpr15
	s_and_saveexec_b64 s[4:5], vcc
	s_cbranch_execz .LBB2844_31
; %bb.30:
	v_lshlrev_b32_e32 v16, 1, v16
	v_mov_b32_e32 v17, 0
	v_lshl_add_u64 v[16:17], s[8:9], 0, v[16:17]
	flat_load_ushort v15, v[16:17]
.LBB2844_31:
	s_or_b64 exec, exec, s[4:5]
	v_or_b32_e32 v17, 0x1c00, v0
	v_cmp_gt_u32_e32 vcc, s33, v17
                                        ; implicit-def: $vgpr16
	s_and_saveexec_b64 s[4:5], vcc
	s_cbranch_execz .LBB2844_33
; %bb.32:
	v_lshlrev_b32_e32 v16, 1, v17
	v_mov_b32_e32 v17, 0
	v_lshl_add_u64 v[16:17], s[8:9], 0, v[16:17]
	flat_load_ushort v16, v[16:17]
.LBB2844_33:
	s_or_b64 exec, exec, s[4:5]
	v_or_b32_e32 v18, 0x1e00, v0
	v_cmp_gt_u32_e32 vcc, s33, v18
                                        ; implicit-def: $vgpr17
	s_and_saveexec_b64 s[4:5], vcc
	s_cbranch_execz .LBB2844_35
; %bb.34:
	v_lshlrev_b32_e32 v18, 1, v18
	v_mov_b32_e32 v19, 0
	v_lshl_add_u64 v[18:19], s[8:9], 0, v[18:19]
	flat_load_ushort v17, v[18:19]
.LBB2844_35:
	s_or_b64 exec, exec, s[4:5]
	v_or_b32_e32 v19, 0x2000, v0
	v_cmp_gt_u32_e32 vcc, s33, v19
                                        ; implicit-def: $vgpr18
	s_and_saveexec_b64 s[4:5], vcc
	s_cbranch_execz .LBB2844_37
; %bb.36:
	v_lshlrev_b32_e32 v18, 1, v19
	v_mov_b32_e32 v19, 0
	v_lshl_add_u64 v[18:19], s[8:9], 0, v[18:19]
	flat_load_ushort v18, v[18:19]
.LBB2844_37:
	s_or_b64 exec, exec, s[4:5]
	v_or_b32_e32 v20, 0x2200, v0
	v_cmp_gt_u32_e32 vcc, s33, v20
                                        ; implicit-def: $vgpr19
	s_and_saveexec_b64 s[4:5], vcc
	s_cbranch_execz .LBB2844_39
; %bb.38:
	v_lshlrev_b32_e32 v20, 1, v20
	v_mov_b32_e32 v21, 0
	v_lshl_add_u64 v[20:21], s[8:9], 0, v[20:21]
	flat_load_ushort v19, v[20:21]
.LBB2844_39:
	s_or_b64 exec, exec, s[4:5]
	v_or_b32_e32 v21, 0x2400, v0
	v_cmp_gt_u32_e32 vcc, s33, v21
                                        ; implicit-def: $vgpr20
	s_and_saveexec_b64 s[4:5], vcc
	s_cbranch_execz .LBB2844_41
; %bb.40:
	v_lshlrev_b32_e32 v20, 1, v21
	v_mov_b32_e32 v21, 0
	v_lshl_add_u64 v[20:21], s[8:9], 0, v[20:21]
	flat_load_ushort v20, v[20:21]
.LBB2844_41:
	s_or_b64 exec, exec, s[4:5]
	v_or_b32_e32 v22, 0x2600, v0
	v_cmp_gt_u32_e32 vcc, s33, v22
                                        ; implicit-def: $vgpr21
	s_and_saveexec_b64 s[4:5], vcc
	s_cbranch_execz .LBB2844_43
; %bb.42:
	v_lshlrev_b32_e32 v22, 1, v22
	v_mov_b32_e32 v23, 0
	v_lshl_add_u64 v[22:23], s[8:9], 0, v[22:23]
	flat_load_ushort v21, v[22:23]
.LBB2844_43:
	s_or_b64 exec, exec, s[4:5]
	v_or_b32_e32 v23, 0x2800, v0
	v_cmp_gt_u32_e32 vcc, s33, v23
                                        ; implicit-def: $vgpr22
	s_and_saveexec_b64 s[4:5], vcc
	s_cbranch_execz .LBB2844_45
; %bb.44:
	v_lshlrev_b32_e32 v22, 1, v23
	v_mov_b32_e32 v23, 0
	v_lshl_add_u64 v[22:23], s[8:9], 0, v[22:23]
	flat_load_ushort v22, v[22:23]
.LBB2844_45:
	s_or_b64 exec, exec, s[4:5]
	v_or_b32_e32 v24, 0x2a00, v0
	v_cmp_gt_u32_e32 vcc, s33, v24
                                        ; implicit-def: $vgpr23
	s_and_saveexec_b64 s[4:5], vcc
	s_cbranch_execz .LBB2844_47
; %bb.46:
	v_lshlrev_b32_e32 v24, 1, v24
	v_mov_b32_e32 v25, 0
	v_lshl_add_u64 v[24:25], s[8:9], 0, v[24:25]
	flat_load_ushort v23, v[24:25]
.LBB2844_47:
	s_or_b64 exec, exec, s[4:5]
	v_or_b32_e32 v25, 0x2c00, v0
	v_cmp_gt_u32_e32 vcc, s33, v25
                                        ; implicit-def: $vgpr24
	s_and_saveexec_b64 s[4:5], vcc
	s_cbranch_execz .LBB2844_49
; %bb.48:
	v_lshlrev_b32_e32 v24, 1, v25
	v_mov_b32_e32 v25, 0
	v_lshl_add_u64 v[24:25], s[8:9], 0, v[24:25]
	flat_load_ushort v24, v[24:25]
.LBB2844_49:
	s_or_b64 exec, exec, s[4:5]
	v_or_b32_e32 v26, 0x2e00, v0
	v_cmp_gt_u32_e32 vcc, s33, v26
                                        ; implicit-def: $vgpr25
	s_and_saveexec_b64 s[4:5], vcc
	s_cbranch_execz .LBB2844_51
; %bb.50:
	v_lshlrev_b32_e32 v26, 1, v26
	v_mov_b32_e32 v27, 0
	v_lshl_add_u64 v[26:27], s[8:9], 0, v[26:27]
	flat_load_ushort v25, v[26:27]
.LBB2844_51:
	s_or_b64 exec, exec, s[4:5]
	v_or_b32_e32 v27, 0x3000, v0
	v_cmp_gt_u32_e32 vcc, s33, v27
                                        ; implicit-def: $vgpr26
	s_and_saveexec_b64 s[4:5], vcc
	s_cbranch_execz .LBB2844_53
; %bb.52:
	v_lshlrev_b32_e32 v26, 1, v27
	v_mov_b32_e32 v27, 0
	v_lshl_add_u64 v[26:27], s[8:9], 0, v[26:27]
	flat_load_ushort v26, v[26:27]
.LBB2844_53:
	s_or_b64 exec, exec, s[4:5]
	v_or_b32_e32 v28, 0x3200, v0
	v_cmp_gt_u32_e32 vcc, s33, v28
                                        ; implicit-def: $vgpr27
	s_and_saveexec_b64 s[4:5], vcc
	s_cbranch_execz .LBB2844_55
; %bb.54:
	v_lshlrev_b32_e32 v28, 1, v28
	v_mov_b32_e32 v29, 0
	v_lshl_add_u64 v[28:29], s[8:9], 0, v[28:29]
	flat_load_ushort v27, v[28:29]
.LBB2844_55:
	s_or_b64 exec, exec, s[4:5]
	v_or_b32_e32 v29, 0x3400, v0
	v_cmp_gt_u32_e32 vcc, s33, v29
                                        ; implicit-def: $vgpr28
	s_and_saveexec_b64 s[4:5], vcc
	s_cbranch_execz .LBB2844_57
; %bb.56:
	v_lshlrev_b32_e32 v28, 1, v29
	v_mov_b32_e32 v29, 0
	v_lshl_add_u64 v[28:29], s[8:9], 0, v[28:29]
	flat_load_ushort v28, v[28:29]
.LBB2844_57:
	s_or_b64 exec, exec, s[4:5]
	v_or_b32_e32 v30, 0x3600, v0
	v_cmp_gt_u32_e32 vcc, s33, v30
                                        ; implicit-def: $vgpr29
	s_and_saveexec_b64 s[4:5], vcc
	s_cbranch_execz .LBB2844_59
; %bb.58:
	v_lshlrev_b32_e32 v30, 1, v30
	v_mov_b32_e32 v31, 0
	v_lshl_add_u64 v[30:31], s[8:9], 0, v[30:31]
	flat_load_ushort v29, v[30:31]
.LBB2844_59:
	s_or_b64 exec, exec, s[4:5]
	v_or_b32_e32 v31, 0x3800, v0
	v_cmp_gt_u32_e32 vcc, s33, v31
                                        ; implicit-def: $vgpr30
	s_and_saveexec_b64 s[4:5], vcc
	s_cbranch_execz .LBB2844_61
; %bb.60:
	v_lshlrev_b32_e32 v30, 1, v31
	v_mov_b32_e32 v31, 0
	v_lshl_add_u64 v[30:31], s[8:9], 0, v[30:31]
	flat_load_ushort v30, v[30:31]
.LBB2844_61:
	s_or_b64 exec, exec, s[4:5]
	v_or_b32_e32 v32, 0x3a00, v0
	v_cmp_gt_u32_e32 vcc, s33, v32
                                        ; implicit-def: $vgpr31
	s_and_saveexec_b64 s[4:5], vcc
	s_cbranch_execz .LBB2844_63
; %bb.62:
	v_lshlrev_b32_e32 v32, 1, v32
	v_mov_b32_e32 v33, 0
	v_lshl_add_u64 v[32:33], s[8:9], 0, v[32:33]
	flat_load_ushort v31, v[32:33]
.LBB2844_63:
	s_or_b64 exec, exec, s[4:5]
	s_waitcnt vmcnt(0) lgkmcnt(0)
	ds_write_b16 v2, v1
	ds_write_b16 v2, v4 offset:1024
	ds_write_b16 v2, v5 offset:2048
	;; [unrolled: 1-line block ×29, first 2 shown]
	s_waitcnt lgkmcnt(0)
	s_barrier
.LBB2844_64:
	v_mul_u32_u24_e32 v40, 30, v0
	v_lshlrev_b32_e32 v4, 1, v40
	s_waitcnt lgkmcnt(0)
	ds_read_b32 v3, v4 offset:56
	ds_read2_b32 v[6:7], v4 offset0:12 offset1:13
	ds_read2_b32 v[8:9], v4 offset0:10 offset1:11
	;; [unrolled: 1-line block ×3, first 2 shown]
	ds_read2_b32 v[18:19], v4 offset1:1
	ds_read2_b32 v[16:17], v4 offset0:2 offset1:3
	ds_read2_b32 v[14:15], v4 offset0:4 offset1:5
	ds_read2_b32 v[12:13], v4 offset0:6 offset1:7
	s_waitcnt lgkmcnt(7)
	v_lshrrev_b32_e32 v1, 16, v3
	s_waitcnt lgkmcnt(6)
	v_lshrrev_b32_e32 v29, 16, v6
	v_lshrrev_b32_e32 v28, 16, v7
	s_waitcnt lgkmcnt(5)
	v_lshrrev_b32_e32 v31, 16, v8
	;; [unrolled: 3-line block ×6, first 2 shown]
	v_lshrrev_b32_e32 v34, 16, v13
	v_lshrrev_b32_e32 v33, 16, v10
	v_lshrrev_b32_e32 v32, 16, v11
	v_cndmask_b32_e64 v4, 0, 1, s[6:7]
	v_cmp_ne_u32_e64 s[20:21], 1, v4
	s_andn2_b64 vcc, exec, s[6:7]
	v_xor_b32_e32 v92, -1, v18
	v_xor_b32_e32 v91, -1, v42
	v_xor_b32_e32 v90, -1, v19
	v_xor_b32_e32 v89, -1, v41
	v_xor_b32_e32 v88, -1, v16
	v_xor_b32_e32 v87, -1, v39
	v_xor_b32_e32 v86, -1, v17
	v_xor_b32_e32 v85, -1, v38
	v_xor_b32_e32 v84, -1, v14
	v_xor_b32_e32 v83, -1, v37
	v_xor_b32_e32 v82, -1, v15
	v_xor_b32_e32 v81, -1, v36
	v_xor_b32_e32 v80, -1, v12
	v_xor_b32_e32 v79, -1, v35
	v_xor_b32_e32 v78, -1, v13
	v_xor_b32_e32 v77, -1, v34
	v_xor_b32_e32 v76, -1, v10
	v_xor_b32_e32 v75, -1, v33
	v_xor_b32_e32 v74, -1, v11
	v_xor_b32_e32 v73, -1, v32
	v_xor_b32_e32 v27, -1, v8
	v_xor_b32_e32 v26, -1, v31
	v_xor_b32_e32 v25, -1, v9
	v_xor_b32_e32 v24, -1, v30
	v_xor_b32_e32 v23, -1, v6
	v_xor_b32_e32 v22, -1, v29
	v_xor_b32_e32 v21, -1, v7
	v_xor_b32_e32 v20, -1, v28
	v_xor_b32_e32 v5, -1, v3
	v_xor_b32_e32 v4, -1, v1
	s_barrier
	s_cbranch_vccnz .LBB2844_66
; %bb.65:
	v_and_b32_e32 v72, 1, v92
	v_and_b32_e32 v71, 1, v91
	;; [unrolled: 1-line block ×30, first 2 shown]
	s_load_dwordx2 s[34:35], s[0:1], 0x70
	s_cbranch_execz .LBB2844_67
	s_branch .LBB2844_68
.LBB2844_66:
                                        ; implicit-def: $vgpr72
                                        ; implicit-def: $vgpr71
                                        ; implicit-def: $vgpr70
                                        ; implicit-def: $vgpr69
                                        ; implicit-def: $vgpr68
                                        ; implicit-def: $vgpr67
                                        ; implicit-def: $vgpr66
                                        ; implicit-def: $vgpr65
                                        ; implicit-def: $vgpr64
                                        ; implicit-def: $vgpr63
                                        ; implicit-def: $vgpr62
                                        ; implicit-def: $vgpr61
                                        ; implicit-def: $vgpr60
                                        ; implicit-def: $vgpr59
                                        ; implicit-def: $vgpr58
                                        ; implicit-def: $vgpr57
                                        ; implicit-def: $vgpr56
                                        ; implicit-def: $vgpr55
                                        ; implicit-def: $vgpr54
                                        ; implicit-def: $vgpr53
                                        ; implicit-def: $vgpr52
                                        ; implicit-def: $vgpr51
                                        ; implicit-def: $vgpr50
                                        ; implicit-def: $vgpr49
                                        ; implicit-def: $vgpr48
                                        ; implicit-def: $vgpr47
                                        ; implicit-def: $vgpr46
                                        ; implicit-def: $vgpr45
                                        ; implicit-def: $vgpr43
                                        ; implicit-def: $vgpr44
	s_load_dwordx2 s[34:35], s[0:1], 0x70
.LBB2844_67:
	v_or_b32_e32 v52, 1, v40
	v_cmp_gt_u32_e32 vcc, s33, v40
	v_add_u32_e32 v53, 2, v40
	v_add_u32_e32 v54, 3, v40
	v_cndmask_b32_e64 v62, 0, 1, vcc
	v_cmp_gt_u32_e32 vcc, s33, v52
	v_add_u32_e32 v55, 4, v40
	v_add_u32_e32 v56, 5, v40
	v_cndmask_b32_e64 v52, 0, 1, vcc
	v_cmp_gt_u32_e32 vcc, s33, v53
	v_and_b32_e32 v71, v52, v91
	v_add_u32_e32 v57, 6, v40
	v_cndmask_b32_e64 v52, 0, 1, vcc
	v_cmp_gt_u32_e32 vcc, s33, v54
	v_and_b32_e32 v70, v52, v90
	;; [unrolled: 4-line block ×9, first 2 shown]
	v_and_b32_e32 v72, v62, v92
	v_cndmask_b32_e64 v52, 0, 1, vcc
	v_cmp_gt_u32_e32 vcc, s33, v93
	v_and_b32_e32 v62, v52, v82
	v_add_u32_e32 v96, 14, v40
	v_cndmask_b32_e64 v52, 0, 1, vcc
	v_cmp_gt_u32_e32 vcc, s33, v94
	v_and_b32_e32 v61, v52, v81
	v_add_u32_e32 v97, 15, v40
	;; [unrolled: 4-line block ×16, first 2 shown]
	v_cndmask_b32_e64 v22, 0, 1, vcc
	v_cmp_gt_u32_e32 vcc, s33, v45
	v_and_b32_e32 v46, v22, v21
	s_nop 0
	v_cndmask_b32_e64 v21, 0, 1, vcc
	v_cmp_gt_u32_e32 vcc, s33, v43
	v_and_b32_e32 v45, v21, v20
	s_nop 0
	v_cndmask_b32_e64 v20, 0, 1, vcc
	v_cmp_gt_u32_e32 vcc, s33, v44
	v_and_b32_e32 v43, v20, v5
	s_nop 0
	v_cndmask_b32_e64 v5, 0, 1, vcc
	v_and_b32_e32 v44, v5, v4
.LBB2844_68:
	v_and_b32_e32 v99, 0xff, v46
	v_and_b32_e32 v100, 0xff, v45
	v_add_u32_sdwa v4, v43, v44 dst_sel:DWORD dst_unused:UNUSED_PAD src0_sel:BYTE_0 src1_sel:BYTE_0
	v_and_b32_e32 v97, 0xff, v48
	v_and_b32_e32 v98, 0xff, v47
	v_add3_u32 v4, v4, v100, v99
	v_and_b32_e32 v95, 0xff, v50
	v_and_b32_e32 v96, 0xff, v49
	v_add3_u32 v4, v4, v98, v97
	;; [unrolled: 3-line block ×13, first 2 shown]
	v_add3_u32 v103, v4, v74, v73
	v_mbcnt_lo_u32_b32 v4, -1, 0
	v_mbcnt_hi_u32_b32 v101, -1, v4
	v_and_b32_e32 v4, 15, v101
	v_cmp_eq_u32_e64 s[16:17], 0, v4
	v_cmp_lt_u32_e64 s[14:15], 1, v4
	v_cmp_lt_u32_e64 s[12:13], 3, v4
	;; [unrolled: 1-line block ×3, first 2 shown]
	v_and_b32_e32 v4, 16, v101
	v_cmp_eq_u32_e64 s[8:9], 0, v4
	v_or_b32_e32 v4, 63, v0
	s_cmp_lg_u32 s2, 0
	v_cmp_lt_u32_e64 s[4:5], 31, v101
	v_lshrrev_b32_e32 v102, 6, v0
	v_cmp_eq_u32_e64 s[6:7], v4, v0
	s_cbranch_scc0 .LBB2844_95
; %bb.69:
	v_mov_b32_dpp v4, v103 row_shr:1 row_mask:0xf bank_mask:0xf
	v_cndmask_b32_e64 v4, v4, 0, s[16:17]
	v_add_u32_e32 v4, v4, v103
	s_nop 1
	v_mov_b32_dpp v5, v4 row_shr:2 row_mask:0xf bank_mask:0xf
	v_cndmask_b32_e64 v5, 0, v5, s[14:15]
	v_add_u32_e32 v4, v4, v5
	s_nop 1
	;; [unrolled: 4-line block ×4, first 2 shown]
	v_mov_b32_dpp v5, v4 row_bcast:15 row_mask:0xf bank_mask:0xf
	v_cndmask_b32_e64 v5, v5, 0, s[8:9]
	v_add_u32_e32 v4, v4, v5
	s_nop 1
	v_mov_b32_dpp v5, v4 row_bcast:31 row_mask:0xf bank_mask:0xf
	v_cndmask_b32_e64 v5, 0, v5, s[4:5]
	v_add_u32_e32 v4, v4, v5
	s_and_saveexec_b64 s[18:19], s[6:7]
	s_cbranch_execz .LBB2844_71
; %bb.70:
	v_lshlrev_b32_e32 v5, 2, v102
	ds_write_b32 v5, v4
.LBB2844_71:
	s_or_b64 exec, exec, s[18:19]
	v_cmp_gt_u32_e32 vcc, 8, v0
	s_waitcnt lgkmcnt(0)
	s_barrier
	s_and_saveexec_b64 s[18:19], vcc
	s_cbranch_execz .LBB2844_73
; %bb.72:
	v_lshlrev_b32_e32 v5, 2, v0
	ds_read_b32 v20, v5
	v_and_b32_e32 v21, 7, v101
	v_cmp_ne_u32_e32 vcc, 0, v21
	s_waitcnt lgkmcnt(0)
	v_mov_b32_dpp v22, v20 row_shr:1 row_mask:0xf bank_mask:0xf
	v_cndmask_b32_e32 v22, 0, v22, vcc
	v_add_u32_e32 v20, v22, v20
	v_cmp_lt_u32_e32 vcc, 1, v21
	s_nop 0
	v_mov_b32_dpp v22, v20 row_shr:2 row_mask:0xf bank_mask:0xf
	v_cndmask_b32_e32 v22, 0, v22, vcc
	v_add_u32_e32 v20, v20, v22
	v_cmp_lt_u32_e32 vcc, 3, v21
	s_nop 0
	v_mov_b32_dpp v22, v20 row_shr:4 row_mask:0xf bank_mask:0xf
	v_cndmask_b32_e32 v21, 0, v22, vcc
	v_add_u32_e32 v20, v20, v21
	ds_write_b32 v5, v20
.LBB2844_73:
	s_or_b64 exec, exec, s[18:19]
	v_cmp_gt_u32_e32 vcc, 64, v0
	v_cmp_lt_u32_e64 s[18:19], 63, v0
	s_waitcnt lgkmcnt(0)
	s_barrier
	s_waitcnt lgkmcnt(0)
                                        ; implicit-def: $vgpr104
	s_and_saveexec_b64 s[36:37], s[18:19]
	s_cbranch_execz .LBB2844_75
; %bb.74:
	v_lshl_add_u32 v5, v102, 2, -4
	ds_read_b32 v104, v5
	s_waitcnt lgkmcnt(0)
	v_add_u32_e32 v4, v104, v4
.LBB2844_75:
	s_or_b64 exec, exec, s[36:37]
	v_add_u32_e32 v5, -1, v101
	v_and_b32_e32 v20, 64, v101
	v_cmp_lt_i32_e64 s[18:19], v5, v20
	s_nop 1
	v_cndmask_b32_e64 v5, v5, v101, s[18:19]
	v_lshlrev_b32_e32 v5, 2, v5
	ds_bpermute_b32 v105, v5, v4
	v_cmp_eq_u32_e64 s[18:19], 0, v101
	s_and_saveexec_b64 s[36:37], vcc
	s_cbranch_execz .LBB2844_94
; %bb.76:
	v_mov_b32_e32 v25, 0
	ds_read_b32 v4, v25 offset:28
	s_and_saveexec_b64 s[38:39], s[18:19]
	s_cbranch_execz .LBB2844_78
; %bb.77:
	s_add_i32 s40, s2, 64
	s_mov_b32 s41, 0
	s_lshl_b64 s[40:41], s[40:41], 3
	s_add_u32 s40, s34, s40
	v_mov_b32_e32 v5, 1
	s_addc_u32 s41, s35, s41
	s_waitcnt lgkmcnt(0)
	global_store_dwordx2 v25, v[4:5], s[40:41] sc1
.LBB2844_78:
	s_or_b64 exec, exec, s[38:39]
	v_xad_u32 v20, v101, -1, s2
	v_add_u32_e32 v24, 64, v20
	v_lshl_add_u64 v[26:27], v[24:25], 3, s[34:35]
	global_load_dwordx2 v[22:23], v[26:27], off sc1
	s_waitcnt vmcnt(0)
	v_cmp_eq_u16_sdwa s[40:41], v23, v25 src0_sel:BYTE_0 src1_sel:DWORD
	s_and_saveexec_b64 s[38:39], s[40:41]
	s_cbranch_execz .LBB2844_82
; %bb.79:
	s_mov_b64 s[40:41], 0
	v_mov_b32_e32 v5, 0
.LBB2844_80:                            ; =>This Inner Loop Header: Depth=1
	global_load_dwordx2 v[22:23], v[26:27], off sc1
	s_waitcnt vmcnt(0)
	v_cmp_ne_u16_sdwa s[42:43], v23, v5 src0_sel:BYTE_0 src1_sel:DWORD
	s_or_b64 s[40:41], s[42:43], s[40:41]
	s_andn2_b64 exec, exec, s[40:41]
	s_cbranch_execnz .LBB2844_80
; %bb.81:
	s_or_b64 exec, exec, s[40:41]
.LBB2844_82:
	s_or_b64 exec, exec, s[38:39]
	v_and_b32_e32 v107, 63, v101
	v_mov_b32_e32 v106, 2
	v_cmp_ne_u32_e32 vcc, 63, v107
	v_cmp_eq_u16_sdwa s[38:39], v23, v106 src0_sel:BYTE_0 src1_sel:DWORD
	v_lshlrev_b64 v[24:25], v101, -1
	v_addc_co_u32_e32 v26, vcc, 0, v101, vcc
	v_and_b32_e32 v5, s39, v25
	v_lshlrev_b32_e32 v108, 2, v26
	v_or_b32_e32 v5, 0x80000000, v5
	ds_bpermute_b32 v26, v108, v22
	v_and_b32_e32 v21, s38, v24
	v_ffbl_b32_e32 v5, v5
	v_add_u32_e32 v5, 32, v5
	v_ffbl_b32_e32 v21, v21
	v_min_u32_e32 v5, v21, v5
	v_cmp_lt_u32_e32 vcc, v107, v5
	v_add_u32_e32 v110, 2, v107
	v_add_u32_e32 v112, 4, v107
	s_waitcnt lgkmcnt(0)
	v_cndmask_b32_e32 v21, 0, v26, vcc
	v_cmp_gt_u32_e32 vcc, 62, v107
	v_add_u32_e32 v21, v21, v22
	v_add_u32_e32 v114, 8, v107
	v_cndmask_b32_e64 v22, 0, 1, vcc
	v_lshlrev_b32_e32 v22, 1, v22
	v_add_lshl_u32 v109, v22, v101, 2
	ds_bpermute_b32 v22, v109, v21
	v_cmp_le_u32_e32 vcc, v110, v5
	v_add_u32_e32 v116, 16, v107
	v_add_u32_e32 v118, 32, v107
	s_waitcnt lgkmcnt(0)
	v_cndmask_b32_e32 v22, 0, v22, vcc
	v_cmp_gt_u32_e32 vcc, 60, v107
	v_add_u32_e32 v21, v21, v22
	s_nop 0
	v_cndmask_b32_e64 v22, 0, 1, vcc
	v_lshlrev_b32_e32 v22, 2, v22
	v_add_lshl_u32 v111, v22, v101, 2
	ds_bpermute_b32 v22, v111, v21
	v_cmp_le_u32_e32 vcc, v112, v5
	s_waitcnt lgkmcnt(0)
	s_nop 0
	v_cndmask_b32_e32 v22, 0, v22, vcc
	v_cmp_gt_u32_e32 vcc, 56, v107
	v_add_u32_e32 v21, v21, v22
	s_nop 0
	v_cndmask_b32_e64 v22, 0, 1, vcc
	v_lshlrev_b32_e32 v22, 3, v22
	v_add_lshl_u32 v113, v22, v101, 2
	ds_bpermute_b32 v22, v113, v21
	v_cmp_le_u32_e32 vcc, v114, v5
	s_waitcnt lgkmcnt(0)
	s_nop 0
	;; [unrolled: 11-line block ×4, first 2 shown]
	v_cndmask_b32_e32 v5, 0, v22, vcc
	v_add_u32_e32 v22, v21, v5
	v_mov_b32_e32 v21, 0
	s_branch .LBB2844_84
.LBB2844_83:                            ;   in Loop: Header=BB2844_84 Depth=1
	s_or_b64 exec, exec, s[38:39]
	v_cmp_eq_u16_sdwa s[38:39], v23, v106 src0_sel:BYTE_0 src1_sel:DWORD
	ds_bpermute_b32 v119, v108, v22
	v_subrev_u32_e32 v20, 64, v20
	v_and_b32_e32 v26, s39, v25
	v_or_b32_e32 v26, 0x80000000, v26
	v_and_b32_e32 v27, s38, v24
	v_ffbl_b32_e32 v26, v26
	v_add_u32_e32 v26, 32, v26
	v_ffbl_b32_e32 v27, v27
	v_min_u32_e32 v26, v27, v26
	v_cmp_lt_u32_e32 vcc, v107, v26
	s_waitcnt lgkmcnt(0)
	s_nop 0
	v_cndmask_b32_e32 v27, 0, v119, vcc
	v_add_u32_e32 v22, v27, v22
	ds_bpermute_b32 v27, v109, v22
	v_cmp_le_u32_e32 vcc, v110, v26
	s_waitcnt lgkmcnt(0)
	s_nop 0
	v_cndmask_b32_e32 v27, 0, v27, vcc
	v_add_u32_e32 v22, v22, v27
	ds_bpermute_b32 v27, v111, v22
	v_cmp_le_u32_e32 vcc, v112, v26
	s_waitcnt lgkmcnt(0)
	s_nop 0
	v_cndmask_b32_e32 v27, 0, v27, vcc
	v_add_u32_e32 v22, v22, v27
	ds_bpermute_b32 v27, v113, v22
	v_cmp_le_u32_e32 vcc, v114, v26
	s_waitcnt lgkmcnt(0)
	s_nop 0
	v_cndmask_b32_e32 v27, 0, v27, vcc
	v_add_u32_e32 v22, v22, v27
	ds_bpermute_b32 v27, v115, v22
	v_cmp_le_u32_e32 vcc, v116, v26
	s_waitcnt lgkmcnt(0)
	s_nop 0
	v_cndmask_b32_e32 v27, 0, v27, vcc
	v_add_u32_e32 v22, v22, v27
	ds_bpermute_b32 v27, v117, v22
	v_cmp_le_u32_e32 vcc, v118, v26
	s_waitcnt lgkmcnt(0)
	s_nop 0
	v_cndmask_b32_e32 v26, 0, v27, vcc
	v_add3_u32 v22, v26, v5, v22
.LBB2844_84:                            ; =>This Loop Header: Depth=1
                                        ;     Child Loop BB2844_87 Depth 2
	v_cmp_ne_u16_sdwa s[38:39], v23, v106 src0_sel:BYTE_0 src1_sel:DWORD
	s_nop 1
	v_cndmask_b32_e64 v5, 0, 1, s[38:39]
	;;#ASMSTART
	;;#ASMEND
	s_nop 0
	v_cmp_ne_u32_e32 vcc, 0, v5
	s_cmp_lg_u64 vcc, exec
	v_mov_b32_e32 v5, v22
	s_cbranch_scc1 .LBB2844_89
; %bb.85:                               ;   in Loop: Header=BB2844_84 Depth=1
	v_lshl_add_u64 v[26:27], v[20:21], 3, s[34:35]
	global_load_dwordx2 v[22:23], v[26:27], off sc1
	s_waitcnt vmcnt(0)
	v_cmp_eq_u16_sdwa s[40:41], v23, v21 src0_sel:BYTE_0 src1_sel:DWORD
	s_and_saveexec_b64 s[38:39], s[40:41]
	s_cbranch_execz .LBB2844_83
; %bb.86:                               ;   in Loop: Header=BB2844_84 Depth=1
	s_mov_b64 s[40:41], 0
.LBB2844_87:                            ;   Parent Loop BB2844_84 Depth=1
                                        ; =>  This Inner Loop Header: Depth=2
	global_load_dwordx2 v[22:23], v[26:27], off sc1
	s_waitcnt vmcnt(0)
	v_cmp_ne_u16_sdwa s[42:43], v23, v21 src0_sel:BYTE_0 src1_sel:DWORD
	s_or_b64 s[40:41], s[42:43], s[40:41]
	s_andn2_b64 exec, exec, s[40:41]
	s_cbranch_execnz .LBB2844_87
; %bb.88:                               ;   in Loop: Header=BB2844_84 Depth=1
	s_or_b64 exec, exec, s[40:41]
	s_branch .LBB2844_83
.LBB2844_89:                            ;   in Loop: Header=BB2844_84 Depth=1
                                        ; implicit-def: $vgpr22
                                        ; implicit-def: $vgpr23
	s_cbranch_execz .LBB2844_84
; %bb.90:
	s_and_saveexec_b64 s[38:39], s[18:19]
	s_cbranch_execz .LBB2844_92
; %bb.91:
	s_add_i32 s2, s2, 64
	s_mov_b32 s3, 0
	s_lshl_b64 s[2:3], s[2:3], 3
	s_add_u32 s2, s34, s2
	v_add_u32_e32 v20, v5, v4
	v_mov_b32_e32 v21, 2
	s_addc_u32 s3, s35, s3
	v_mov_b32_e32 v22, 0
	global_store_dwordx2 v22, v[20:21], s[2:3] sc1
	ds_write_b64 v22, v[4:5] offset:30720
.LBB2844_92:
	s_or_b64 exec, exec, s[38:39]
	v_cmp_eq_u32_e32 vcc, 0, v0
	s_and_b64 exec, exec, vcc
	s_cbranch_execz .LBB2844_94
; %bb.93:
	v_mov_b32_e32 v4, 0
	ds_write_b32 v4, v5 offset:28
.LBB2844_94:
	s_or_b64 exec, exec, s[36:37]
	v_mov_b32_e32 v4, 0
	s_waitcnt lgkmcnt(0)
	s_barrier
	ds_read_b32 v21, v4 offset:28
	s_waitcnt lgkmcnt(0)
	s_barrier
	ds_read_b64 v[4:5], v4 offset:30720
	v_cndmask_b32_e64 v20, v105, v104, s[18:19]
	v_cmp_ne_u32_e32 vcc, 0, v0
	s_nop 1
	v_cndmask_b32_e32 v20, 0, v20, vcc
	v_add_u32_e32 v21, v21, v20
	s_waitcnt lgkmcnt(0)
	v_mov_b32_e32 v20, v5
	s_branch .LBB2844_105
.LBB2844_95:
                                        ; implicit-def: $vgpr20
                                        ; implicit-def: $vgpr4
                                        ; implicit-def: $vgpr21
	s_cbranch_execz .LBB2844_105
; %bb.96:
	s_nop 0
	v_mov_b32_dpp v4, v103 row_shr:1 row_mask:0xf bank_mask:0xf
	v_cndmask_b32_e64 v4, v4, 0, s[16:17]
	v_add_u32_e32 v4, v4, v103
	s_nop 1
	v_mov_b32_dpp v5, v4 row_shr:2 row_mask:0xf bank_mask:0xf
	v_cndmask_b32_e64 v5, 0, v5, s[14:15]
	v_add_u32_e32 v4, v4, v5
	s_nop 1
	v_mov_b32_dpp v5, v4 row_shr:4 row_mask:0xf bank_mask:0xf
	v_cndmask_b32_e64 v5, 0, v5, s[12:13]
	v_add_u32_e32 v4, v4, v5
	s_nop 1
	v_mov_b32_dpp v5, v4 row_shr:8 row_mask:0xf bank_mask:0xf
	v_cndmask_b32_e64 v5, 0, v5, s[10:11]
	v_add_u32_e32 v4, v4, v5
	s_nop 1
	v_mov_b32_dpp v5, v4 row_bcast:15 row_mask:0xf bank_mask:0xf
	v_cndmask_b32_e64 v5, v5, 0, s[8:9]
	v_add_u32_e32 v4, v4, v5
	s_nop 1
	v_mov_b32_dpp v5, v4 row_bcast:31 row_mask:0xf bank_mask:0xf
	v_cndmask_b32_e64 v5, 0, v5, s[4:5]
	v_add_u32_e32 v4, v4, v5
	s_and_saveexec_b64 s[2:3], s[6:7]
	s_cbranch_execz .LBB2844_98
; %bb.97:
	v_lshlrev_b32_e32 v5, 2, v102
	ds_write_b32 v5, v4
.LBB2844_98:
	s_or_b64 exec, exec, s[2:3]
	v_cmp_gt_u32_e32 vcc, 8, v0
	s_waitcnt lgkmcnt(0)
	s_barrier
	s_and_saveexec_b64 s[2:3], vcc
	s_cbranch_execz .LBB2844_100
; %bb.99:
	v_lshlrev_b32_e32 v5, 2, v0
	ds_read_b32 v20, v5
	v_and_b32_e32 v21, 7, v101
	v_cmp_ne_u32_e32 vcc, 0, v21
	s_waitcnt lgkmcnt(0)
	v_mov_b32_dpp v22, v20 row_shr:1 row_mask:0xf bank_mask:0xf
	v_cndmask_b32_e32 v22, 0, v22, vcc
	v_add_u32_e32 v20, v22, v20
	v_cmp_lt_u32_e32 vcc, 1, v21
	s_nop 0
	v_mov_b32_dpp v22, v20 row_shr:2 row_mask:0xf bank_mask:0xf
	v_cndmask_b32_e32 v22, 0, v22, vcc
	v_add_u32_e32 v20, v20, v22
	v_cmp_lt_u32_e32 vcc, 3, v21
	s_nop 0
	v_mov_b32_dpp v22, v20 row_shr:4 row_mask:0xf bank_mask:0xf
	v_cndmask_b32_e32 v21, 0, v22, vcc
	v_add_u32_e32 v20, v20, v21
	ds_write_b32 v5, v20
.LBB2844_100:
	s_or_b64 exec, exec, s[2:3]
	v_cmp_lt_u32_e32 vcc, 63, v0
	v_mov_b32_e32 v5, 0
	v_mov_b32_e32 v20, 0
	s_waitcnt lgkmcnt(0)
	s_barrier
	s_and_saveexec_b64 s[2:3], vcc
	s_cbranch_execz .LBB2844_102
; %bb.101:
	v_lshl_add_u32 v20, v102, 2, -4
	ds_read_b32 v20, v20
.LBB2844_102:
	s_or_b64 exec, exec, s[2:3]
	v_add_u32_e32 v21, -1, v101
	v_and_b32_e32 v22, 64, v101
	v_cmp_lt_i32_e32 vcc, v21, v22
	s_waitcnt lgkmcnt(0)
	v_add_u32_e32 v4, v20, v4
	v_cndmask_b32_e32 v21, v21, v101, vcc
	v_lshlrev_b32_e32 v21, 2, v21
	ds_bpermute_b32 v21, v21, v4
	ds_read_b32 v4, v5 offset:28
	v_cmp_eq_u32_e32 vcc, 0, v0
	s_and_saveexec_b64 s[2:3], vcc
	s_cbranch_execz .LBB2844_104
; %bb.103:
	v_mov_b32_e32 v22, 0
	v_mov_b32_e32 v5, 2
	s_waitcnt lgkmcnt(0)
	global_store_dwordx2 v22, v[4:5], s[34:35] offset:512 sc1
.LBB2844_104:
	s_or_b64 exec, exec, s[2:3]
	v_cmp_eq_u32_e64 s[2:3], 0, v101
	s_waitcnt lgkmcnt(0)
	s_barrier
	v_cndmask_b32_e64 v5, v21, v20, s[2:3]
	v_mov_b32_e32 v20, 0
	v_cndmask_b32_e64 v21, v5, 0, vcc
.LBB2844_105:
	v_add_u32_e32 v5, v21, v73
	v_add_u32_e32 v22, v5, v74
	v_add_u32_e32 v23, v22, v75
	v_add_u32_e32 v24, v23, v76
	v_add_u32_e32 v25, v24, v77
	v_add_u32_e32 v26, v25, v78
	v_add_u32_e32 v27, v26, v79
	v_add_u32_e32 v73, v27, v80
	v_add_u32_e32 v74, v73, v81
	v_add_u32_e32 v75, v74, v82
	v_add_u32_e32 v76, v75, v83
	v_add_u32_e32 v77, v76, v84
	v_add_u32_e32 v78, v77, v85
	v_add_u32_e32 v79, v78, v86
	v_add_u32_e32 v80, v79, v87
	v_add_u32_e32 v81, v80, v88
	v_add_u32_e32 v82, v81, v89
	v_add_u32_e32 v83, v82, v90
	v_add_u32_e32 v84, v83, v91
	v_add_u32_e32 v85, v84, v92
	v_add_u32_e32 v86, v85, v93
	v_add_u32_e32 v40, v4, v40
	v_sub_u32_e32 v21, v21, v20
	v_and_b32_e32 v72, 1, v72
	v_add_u32_e32 v87, v86, v94
	v_sub_u32_e32 v94, v40, v21
	v_cmp_eq_u32_e32 vcc, 1, v72
	v_sub_u32_e32 v5, v5, v20
	v_add_u32_e32 v88, v87, v95
	v_cndmask_b32_e32 v21, v94, v21, vcc
	v_lshlrev_b32_e32 v21, 1, v21
	ds_write_b16 v21, v18
	v_sub_u32_e32 v18, v40, v5
	v_and_b32_e32 v21, 1, v71
	v_add_u32_e32 v18, 1, v18
	v_cmp_eq_u32_e32 vcc, 1, v21
	v_and_b32_e32 v21, 1, v70
	v_add_u32_e32 v89, v88, v96
	v_cndmask_b32_e32 v5, v18, v5, vcc
	v_lshlrev_b32_e32 v5, 1, v5
	ds_write_b16 v5, v42
	v_sub_u32_e32 v5, v22, v20
	v_sub_u32_e32 v18, v40, v5
	v_add_u32_e32 v18, 2, v18
	v_cmp_eq_u32_e32 vcc, 1, v21
	v_add_u32_e32 v90, v89, v97
	v_add_u32_e32 v91, v90, v98
	v_cndmask_b32_e32 v5, v18, v5, vcc
	v_lshlrev_b32_e32 v5, 1, v5
	ds_write_b16 v5, v19
	v_sub_u32_e32 v5, v23, v20
	v_sub_u32_e32 v18, v40, v5
	v_and_b32_e32 v19, 1, v69
	v_add_u32_e32 v18, 3, v18
	v_cmp_eq_u32_e32 vcc, 1, v19
	v_and_b32_e32 v19, 1, v68
	v_add_u32_e32 v92, v91, v99
	v_cndmask_b32_e32 v5, v18, v5, vcc
	v_lshlrev_b32_e32 v5, 1, v5
	ds_write_b16 v5, v41
	v_sub_u32_e32 v5, v24, v20
	v_sub_u32_e32 v18, v40, v5
	v_add_u32_e32 v18, 4, v18
	v_cmp_eq_u32_e32 vcc, 1, v19
	v_add_u32_e32 v93, v92, v100
	v_mov_b32_e32 v21, 0
	v_cndmask_b32_e32 v5, v18, v5, vcc
	v_lshlrev_b32_e32 v5, 1, v5
	ds_write_b16 v5, v16
	v_sub_u32_e32 v5, v25, v20
	v_sub_u32_e32 v16, v40, v5
	v_and_b32_e32 v18, 1, v67
	v_add_u32_e32 v16, 5, v16
	v_cmp_eq_u32_e32 vcc, 1, v18
	v_and_b32_e32 v18, 1, v66
	s_load_dwordx2 s[0:1], s[0:1], 0x38
	v_cndmask_b32_e32 v5, v16, v5, vcc
	v_lshlrev_b32_e32 v5, 1, v5
	ds_write_b16 v5, v39
	v_sub_u32_e32 v5, v26, v20
	v_sub_u32_e32 v16, v40, v5
	v_add_u32_e32 v16, 6, v16
	v_cmp_eq_u32_e32 vcc, 1, v18
	v_or_b32_e32 v66, 0x200, v0
	v_or_b32_e32 v42, 0x1a00, v0
	v_cndmask_b32_e32 v5, v16, v5, vcc
	v_lshlrev_b32_e32 v5, 1, v5
	ds_write_b16 v5, v17
	v_sub_u32_e32 v5, v27, v20
	v_sub_u32_e32 v16, v40, v5
	v_and_b32_e32 v17, 1, v65
	v_add_u32_e32 v16, 7, v16
	v_cmp_eq_u32_e32 vcc, 1, v17
	v_and_b32_e32 v17, 1, v64
	v_or_b32_e32 v64, 0x400, v0
	v_cndmask_b32_e32 v5, v16, v5, vcc
	v_lshlrev_b32_e32 v5, 1, v5
	ds_write_b16 v5, v38
	v_sub_u32_e32 v5, v73, v20
	v_sub_u32_e32 v16, v40, v5
	v_add_u32_e32 v16, 8, v16
	v_cmp_eq_u32_e32 vcc, 1, v17
	v_or_b32_e32 v26, 0x2a00, v0
	v_or_b32_e32 v24, 0x2c00, v0
	v_cndmask_b32_e32 v5, v16, v5, vcc
	v_lshlrev_b32_e32 v5, 1, v5
	ds_write_b16 v5, v14
	v_sub_u32_e32 v5, v74, v20
	v_sub_u32_e32 v14, v40, v5
	v_and_b32_e32 v16, 1, v63
	v_add_u32_e32 v14, 9, v14
	v_cmp_eq_u32_e32 vcc, 1, v16
	v_and_b32_e32 v16, 1, v62
	v_or_b32_e32 v62, 0x600, v0
	;; [unrolled: 19-line block ×5, first 2 shown]
	v_cndmask_b32_e32 v5, v12, v5, vcc
	v_lshlrev_b32_e32 v5, 1, v5
	ds_write_b16 v5, v34
	v_sub_u32_e32 v5, v81, v20
	v_sub_u32_e32 v12, v40, v5
	v_add_u32_e32 v12, 16, v12
	v_cmp_eq_u32_e32 vcc, 1, v13
	v_or_b32_e32 v34, 0x2200, v0
	s_nop 0
	v_cndmask_b32_e32 v5, v12, v5, vcc
	v_lshlrev_b32_e32 v5, 1, v5
	ds_write_b16 v5, v10
	v_sub_u32_e32 v5, v82, v20
	v_sub_u32_e32 v10, v40, v5
	v_and_b32_e32 v12, 1, v55
	v_add_u32_e32 v10, 17, v10
	v_cmp_eq_u32_e32 vcc, 1, v12
	v_and_b32_e32 v12, 1, v54
	s_nop 0
	v_cndmask_b32_e32 v5, v10, v5, vcc
	v_lshlrev_b32_e32 v5, 1, v5
	ds_write_b16 v5, v33
	v_sub_u32_e32 v5, v83, v20
	v_sub_u32_e32 v10, v40, v5
	v_add_u32_e32 v10, 18, v10
	v_cmp_eq_u32_e32 vcc, 1, v12
	v_or_b32_e32 v12, 0x3600, v0
	s_nop 0
	v_cndmask_b32_e32 v5, v10, v5, vcc
	v_lshlrev_b32_e32 v5, 1, v5
	ds_write_b16 v5, v11
	v_sub_u32_e32 v5, v84, v20
	v_sub_u32_e32 v10, v40, v5
	v_and_b32_e32 v11, 1, v53
	v_add_u32_e32 v10, 19, v10
	v_cmp_eq_u32_e32 vcc, 1, v11
	v_and_b32_e32 v11, 1, v52
	v_or_b32_e32 v53, 0xe00, v0
	v_cndmask_b32_e32 v5, v10, v5, vcc
	v_lshlrev_b32_e32 v5, 1, v5
	ds_write_b16 v5, v32
	v_sub_u32_e32 v5, v85, v20
	v_sub_u32_e32 v10, v40, v5
	v_add_u32_e32 v10, 20, v10
	v_cmp_eq_u32_e32 vcc, 1, v11
	v_or_b32_e32 v52, 0x1000, v0
	v_or_b32_e32 v32, 0x2400, v0
	v_cndmask_b32_e32 v5, v10, v5, vcc
	v_lshlrev_b32_e32 v5, 1, v5
	ds_write_b16 v5, v8
	v_sub_u32_e32 v5, v86, v20
	v_sub_u32_e32 v8, v40, v5
	v_and_b32_e32 v10, 1, v51
	v_add_u32_e32 v8, 21, v8
	v_cmp_eq_u32_e32 vcc, 1, v10
	v_and_b32_e32 v10, 1, v50
	v_or_b32_e32 v50, 0x1200, v0
	v_cndmask_b32_e32 v5, v8, v5, vcc
	v_lshlrev_b32_e32 v5, 1, v5
	ds_write_b16 v5, v31
	v_sub_u32_e32 v5, v87, v20
	v_sub_u32_e32 v8, v40, v5
	v_add_u32_e32 v8, 22, v8
	v_cmp_eq_u32_e32 vcc, 1, v10
	v_or_b32_e32 v10, 0x3800, v0
	s_nop 0
	v_cndmask_b32_e32 v5, v8, v5, vcc
	v_lshlrev_b32_e32 v5, 1, v5
	ds_write_b16 v5, v9
	v_sub_u32_e32 v5, v88, v20
	v_sub_u32_e32 v8, v40, v5
	v_and_b32_e32 v9, 1, v49
	v_add_u32_e32 v8, 23, v8
	v_cmp_eq_u32_e32 vcc, 1, v9
	v_and_b32_e32 v9, 1, v48
	v_or_b32_e32 v48, 0x1400, v0
	v_cndmask_b32_e32 v5, v8, v5, vcc
	v_lshlrev_b32_e32 v5, 1, v5
	ds_write_b16 v5, v30
	v_sub_u32_e32 v5, v89, v20
	v_sub_u32_e32 v8, v40, v5
	v_add_u32_e32 v8, 24, v8
	v_cmp_eq_u32_e32 vcc, 1, v9
	v_or_b32_e32 v30, 0x2600, v0
	s_nop 0
	v_cndmask_b32_e32 v5, v8, v5, vcc
	v_lshlrev_b32_e32 v5, 1, v5
	ds_write_b16 v5, v6
	v_sub_u32_e32 v5, v90, v20
	v_sub_u32_e32 v6, v40, v5
	v_and_b32_e32 v8, 1, v47
	v_add_u32_e32 v6, 25, v6
	v_cmp_eq_u32_e32 vcc, 1, v8
	v_and_b32_e32 v8, 1, v46
	v_or_b32_e32 v46, 0x1600, v0
	v_cndmask_b32_e32 v5, v6, v5, vcc
	v_lshlrev_b32_e32 v5, 1, v5
	ds_write_b16 v5, v29
	v_sub_u32_e32 v5, v91, v20
	v_sub_u32_e32 v6, v40, v5
	v_add_u32_e32 v6, 26, v6
	v_cmp_eq_u32_e32 vcc, 1, v8
	s_nop 1
	v_cndmask_b32_e32 v5, v6, v5, vcc
	v_lshlrev_b32_e32 v5, 1, v5
	ds_write_b16 v5, v7
	v_sub_u32_e32 v5, v92, v20
	v_sub_u32_e32 v6, v40, v5
	v_and_b32_e32 v7, 1, v45
	v_add_u32_e32 v6, 27, v6
	v_cmp_eq_u32_e32 vcc, 1, v7
	v_and_b32_e32 v7, 1, v43
	s_nop 0
	v_cndmask_b32_e32 v5, v6, v5, vcc
	v_lshlrev_b32_e32 v5, 1, v5
	ds_write_b16 v5, v28
	v_sub_u32_e32 v5, v93, v20
	v_sub_u32_e32 v6, v40, v5
	v_add_u32_e32 v6, 28, v6
	v_cmp_eq_u32_e32 vcc, 1, v7
	v_or_b32_e32 v28, 0x2800, v0
	s_nop 0
	v_cndmask_b32_e32 v5, v6, v5, vcc
	v_lshlrev_b32_e32 v5, 1, v5
	ds_write_b16 v5, v3
	v_sub_u32_sdwa v3, v43, v20 dst_sel:DWORD dst_unused:UNUSED_PAD src0_sel:BYTE_0 src1_sel:DWORD
	v_add_u32_e32 v3, v93, v3
	v_sub_u32_e32 v5, v40, v3
	v_and_b32_e32 v6, 1, v44
	v_add_u32_e32 v5, 29, v5
	v_cmp_eq_u32_e32 vcc, 1, v6
	v_or_b32_e32 v44, 0x1800, v0
	v_or_b32_e32 v40, 0x1c00, v0
	v_cndmask_b32_e32 v3, v5, v3, vcc
	v_lshlrev_b32_e32 v3, 1, v3
	ds_write_b16 v3, v1
	s_waitcnt lgkmcnt(0)
	s_barrier
	ds_read_u16 v68, v2
	ds_read_u16 v67, v2 offset:1024
	ds_read_u16 v65, v2 offset:2048
	;; [unrolled: 1-line block ×29, first 2 shown]
	v_mov_b32_e32 v5, v21
	v_lshl_add_u64 v[6:7], s[28:29], 0, v[4:5]
	v_lshl_add_u64 v[6:7], v[6:7], 0, v[20:21]
	v_mov_b32_e32 v5, s23
	v_sub_co_u32_e32 v8, vcc, s22, v6
	v_or_b32_e32 v1, 0x3a00, v0
	s_nop 0
	v_subb_co_u32_e32 v9, vcc, v5, v7, vcc
	v_lshlrev_b64 v[8:9], 1, v[8:9]
	v_lshl_add_u64 v[8:9], s[0:1], 0, v[8:9]
	v_lshl_add_u64 v[8:9], v[8:9], 0, s[30:31]
	s_and_b64 vcc, exec, s[20:21]
	v_cmp_ge_u32_e64 s[0:1], v0, v4
	s_cbranch_vccnz .LBB2844_137
; %bb.106:
	s_and_saveexec_b64 s[2:3], s[0:1]
	s_cbranch_execnz .LBB2844_202
; %bb.107:
	s_or_b64 exec, exec, s[2:3]
	v_cmp_ge_u32_e32 vcc, v66, v4
	s_and_saveexec_b64 s[0:1], vcc
	s_cbranch_execnz .LBB2844_203
.LBB2844_108:
	s_or_b64 exec, exec, s[0:1]
	v_cmp_ge_u32_e32 vcc, v64, v4
	s_and_saveexec_b64 s[0:1], vcc
	s_cbranch_execnz .LBB2844_204
.LBB2844_109:
	s_or_b64 exec, exec, s[0:1]
	v_cmp_ge_u32_e32 vcc, v62, v4
	s_and_saveexec_b64 s[0:1], vcc
	s_cbranch_execnz .LBB2844_205
.LBB2844_110:
	s_or_b64 exec, exec, s[0:1]
	v_cmp_ge_u32_e32 vcc, v60, v4
	s_and_saveexec_b64 s[0:1], vcc
	s_cbranch_execnz .LBB2844_206
.LBB2844_111:
	s_or_b64 exec, exec, s[0:1]
	v_cmp_ge_u32_e32 vcc, v58, v4
	s_and_saveexec_b64 s[0:1], vcc
	s_cbranch_execnz .LBB2844_207
.LBB2844_112:
	s_or_b64 exec, exec, s[0:1]
	v_cmp_ge_u32_e32 vcc, v56, v4
	s_and_saveexec_b64 s[0:1], vcc
	s_cbranch_execnz .LBB2844_208
.LBB2844_113:
	s_or_b64 exec, exec, s[0:1]
	v_cmp_ge_u32_e32 vcc, v53, v4
	s_and_saveexec_b64 s[0:1], vcc
	s_cbranch_execnz .LBB2844_209
.LBB2844_114:
	s_or_b64 exec, exec, s[0:1]
	v_cmp_ge_u32_e32 vcc, v52, v4
	s_and_saveexec_b64 s[0:1], vcc
	s_cbranch_execnz .LBB2844_210
.LBB2844_115:
	s_or_b64 exec, exec, s[0:1]
	v_cmp_ge_u32_e32 vcc, v50, v4
	s_and_saveexec_b64 s[0:1], vcc
	s_cbranch_execnz .LBB2844_211
.LBB2844_116:
	s_or_b64 exec, exec, s[0:1]
	v_cmp_ge_u32_e32 vcc, v48, v4
	s_and_saveexec_b64 s[0:1], vcc
	s_cbranch_execnz .LBB2844_212
.LBB2844_117:
	s_or_b64 exec, exec, s[0:1]
	v_cmp_ge_u32_e32 vcc, v46, v4
	s_and_saveexec_b64 s[0:1], vcc
	s_cbranch_execnz .LBB2844_213
.LBB2844_118:
	s_or_b64 exec, exec, s[0:1]
	v_cmp_ge_u32_e32 vcc, v44, v4
	s_and_saveexec_b64 s[0:1], vcc
	s_cbranch_execnz .LBB2844_214
.LBB2844_119:
	s_or_b64 exec, exec, s[0:1]
	v_cmp_ge_u32_e32 vcc, v42, v4
	s_and_saveexec_b64 s[0:1], vcc
	s_cbranch_execnz .LBB2844_215
.LBB2844_120:
	s_or_b64 exec, exec, s[0:1]
	v_cmp_ge_u32_e32 vcc, v40, v4
	s_and_saveexec_b64 s[0:1], vcc
	s_cbranch_execnz .LBB2844_216
.LBB2844_121:
	s_or_b64 exec, exec, s[0:1]
	v_cmp_ge_u32_e32 vcc, v37, v4
	s_and_saveexec_b64 s[0:1], vcc
	s_cbranch_execnz .LBB2844_217
.LBB2844_122:
	s_or_b64 exec, exec, s[0:1]
	v_cmp_ge_u32_e32 vcc, v36, v4
	s_and_saveexec_b64 s[0:1], vcc
	s_cbranch_execnz .LBB2844_218
.LBB2844_123:
	s_or_b64 exec, exec, s[0:1]
	v_cmp_ge_u32_e32 vcc, v34, v4
	s_and_saveexec_b64 s[0:1], vcc
	s_cbranch_execnz .LBB2844_219
.LBB2844_124:
	s_or_b64 exec, exec, s[0:1]
	v_cmp_ge_u32_e32 vcc, v32, v4
	s_and_saveexec_b64 s[0:1], vcc
	s_cbranch_execnz .LBB2844_220
.LBB2844_125:
	s_or_b64 exec, exec, s[0:1]
	v_cmp_ge_u32_e32 vcc, v30, v4
	s_and_saveexec_b64 s[0:1], vcc
	s_cbranch_execnz .LBB2844_221
.LBB2844_126:
	s_or_b64 exec, exec, s[0:1]
	v_cmp_ge_u32_e32 vcc, v28, v4
	s_and_saveexec_b64 s[0:1], vcc
	s_cbranch_execnz .LBB2844_222
.LBB2844_127:
	s_or_b64 exec, exec, s[0:1]
	v_cmp_ge_u32_e32 vcc, v26, v4
	s_and_saveexec_b64 s[0:1], vcc
	s_cbranch_execnz .LBB2844_223
.LBB2844_128:
	s_or_b64 exec, exec, s[0:1]
	v_cmp_ge_u32_e32 vcc, v24, v4
	s_and_saveexec_b64 s[0:1], vcc
	s_cbranch_execnz .LBB2844_224
.LBB2844_129:
	s_or_b64 exec, exec, s[0:1]
	v_cmp_ge_u32_e32 vcc, v22, v4
	s_and_saveexec_b64 s[0:1], vcc
	s_cbranch_execnz .LBB2844_225
.LBB2844_130:
	s_or_b64 exec, exec, s[0:1]
	v_cmp_ge_u32_e32 vcc, v18, v4
	s_and_saveexec_b64 s[0:1], vcc
	s_cbranch_execnz .LBB2844_226
.LBB2844_131:
	s_or_b64 exec, exec, s[0:1]
	v_cmp_ge_u32_e32 vcc, v16, v4
	s_and_saveexec_b64 s[0:1], vcc
	s_cbranch_execnz .LBB2844_227
.LBB2844_132:
	s_or_b64 exec, exec, s[0:1]
	v_cmp_ge_u32_e32 vcc, v14, v4
	s_and_saveexec_b64 s[0:1], vcc
	s_cbranch_execnz .LBB2844_228
.LBB2844_133:
	s_or_b64 exec, exec, s[0:1]
	v_cmp_ge_u32_e32 vcc, v12, v4
	s_and_saveexec_b64 s[0:1], vcc
	s_cbranch_execnz .LBB2844_229
.LBB2844_134:
	s_or_b64 exec, exec, s[0:1]
	v_cmp_ge_u32_e32 vcc, v10, v4
	s_and_saveexec_b64 s[0:1], vcc
	s_cbranch_execz .LBB2844_136
.LBB2844_135:
	v_lshlrev_b32_e32 v5, 1, v10
	v_readfirstlane_b32 s2, v8
	v_readfirstlane_b32 s3, v9
	s_waitcnt lgkmcnt(1)
	s_nop 3
	global_store_short v5, v11, s[2:3]
.LBB2844_136:
	s_or_b64 exec, exec, s[0:1]
	v_cmp_ge_u32_e64 s[0:1], v1, v4
	s_branch .LBB2844_197
.LBB2844_137:
	s_mov_b64 s[0:1], 0
	s_cbranch_execz .LBB2844_197
; %bb.138:
	v_cmp_gt_u32_e32 vcc, s33, v0
	v_cmp_ge_u32_e64 s[0:1], v0, v4
	s_and_b64 s[2:3], vcc, s[0:1]
	s_and_saveexec_b64 s[0:1], s[2:3]
	s_cbranch_execz .LBB2844_140
; %bb.139:
	v_readfirstlane_b32 s2, v8
	v_readfirstlane_b32 s3, v9
	s_waitcnt lgkmcnt(14)
	s_nop 3
	global_store_short v2, v68, s[2:3]
.LBB2844_140:
	s_or_b64 exec, exec, s[0:1]
	v_cmp_gt_u32_e32 vcc, s33, v66
	v_cmp_ge_u32_e64 s[0:1], v66, v4
	s_and_b64 s[2:3], vcc, s[0:1]
	s_and_saveexec_b64 s[0:1], s[2:3]
	s_cbranch_execz .LBB2844_142
; %bb.141:
	v_readfirstlane_b32 s2, v8
	v_readfirstlane_b32 s3, v9
	s_waitcnt lgkmcnt(14)
	s_nop 3
	global_store_short v2, v67, s[2:3] offset:1024
.LBB2844_142:
	s_or_b64 exec, exec, s[0:1]
	v_cmp_gt_u32_e32 vcc, s33, v64
	v_cmp_ge_u32_e64 s[0:1], v64, v4
	s_and_b64 s[2:3], vcc, s[0:1]
	s_and_saveexec_b64 s[0:1], s[2:3]
	s_cbranch_execz .LBB2844_144
; %bb.143:
	v_readfirstlane_b32 s2, v8
	v_readfirstlane_b32 s3, v9
	s_waitcnt lgkmcnt(14)
	s_nop 3
	global_store_short v2, v65, s[2:3] offset:2048
.LBB2844_144:
	;; [unrolled: 13-line block ×3, first 2 shown]
	s_or_b64 exec, exec, s[0:1]
	v_cmp_gt_u32_e32 vcc, s33, v60
	v_cmp_ge_u32_e64 s[0:1], v60, v4
	s_and_b64 s[2:3], vcc, s[0:1]
	s_and_saveexec_b64 s[0:1], s[2:3]
	s_cbranch_execz .LBB2844_148
; %bb.147:
	v_lshlrev_b32_e32 v2, 1, v60
	v_readfirstlane_b32 s2, v8
	v_readfirstlane_b32 s3, v9
	s_waitcnt lgkmcnt(14)
	s_nop 3
	global_store_short v2, v61, s[2:3]
.LBB2844_148:
	s_or_b64 exec, exec, s[0:1]
	v_cmp_gt_u32_e32 vcc, s33, v58
	v_cmp_ge_u32_e64 s[0:1], v58, v4
	s_and_b64 s[2:3], vcc, s[0:1]
	s_and_saveexec_b64 s[0:1], s[2:3]
	s_cbranch_execz .LBB2844_150
; %bb.149:
	v_lshlrev_b32_e32 v2, 1, v58
	v_readfirstlane_b32 s2, v8
	v_readfirstlane_b32 s3, v9
	s_waitcnt lgkmcnt(14)
	s_nop 3
	global_store_short v2, v59, s[2:3]
.LBB2844_150:
	;; [unrolled: 14-line block ×25, first 2 shown]
	s_or_b64 exec, exec, s[0:1]
	v_cmp_gt_u32_e32 vcc, s33, v1
	v_cmp_ge_u32_e64 s[0:1], v1, v4
	s_and_b64 s[0:1], vcc, s[0:1]
.LBB2844_197:
	s_and_saveexec_b64 s[2:3], s[0:1]
	s_cbranch_execz .LBB2844_199
; %bb.198:
	v_lshlrev_b32_e32 v1, 1, v1
	v_readfirstlane_b32 s0, v8
	v_readfirstlane_b32 s1, v9
	s_waitcnt lgkmcnt(0)
	s_nop 3
	global_store_short v1, v3, s[0:1]
.LBB2844_199:
	s_or_b64 exec, exec, s[2:3]
	v_cmp_eq_u32_e32 vcc, 0, v0
	s_and_b64 s[0:1], vcc, s[26:27]
	s_and_saveexec_b64 s[2:3], s[0:1]
	s_cbranch_execz .LBB2844_201
; %bb.200:
	v_mov_b32_e32 v0, 0
	global_store_dwordx2 v0, v[6:7], s[24:25]
.LBB2844_201:
	s_endpgm
.LBB2844_202:
	v_readfirstlane_b32 s0, v8
	v_readfirstlane_b32 s1, v9
	s_waitcnt lgkmcnt(14)
	s_nop 3
	global_store_short v2, v68, s[0:1]
	s_or_b64 exec, exec, s[2:3]
	v_cmp_ge_u32_e32 vcc, v66, v4
	s_and_saveexec_b64 s[0:1], vcc
	s_cbranch_execz .LBB2844_108
.LBB2844_203:
	v_readfirstlane_b32 s2, v8
	v_readfirstlane_b32 s3, v9
	s_waitcnt lgkmcnt(14)
	s_nop 3
	global_store_short v2, v67, s[2:3] offset:1024
	s_or_b64 exec, exec, s[0:1]
	v_cmp_ge_u32_e32 vcc, v64, v4
	s_and_saveexec_b64 s[0:1], vcc
	s_cbranch_execz .LBB2844_109
.LBB2844_204:
	v_readfirstlane_b32 s2, v8
	v_readfirstlane_b32 s3, v9
	s_waitcnt lgkmcnt(14)
	s_nop 3
	global_store_short v2, v65, s[2:3] offset:2048
	s_or_b64 exec, exec, s[0:1]
	v_cmp_ge_u32_e32 vcc, v62, v4
	s_and_saveexec_b64 s[0:1], vcc
	s_cbranch_execz .LBB2844_110
.LBB2844_205:
	v_readfirstlane_b32 s2, v8
	v_readfirstlane_b32 s3, v9
	s_waitcnt lgkmcnt(14)
	s_nop 3
	global_store_short v2, v63, s[2:3] offset:3072
	s_or_b64 exec, exec, s[0:1]
	v_cmp_ge_u32_e32 vcc, v60, v4
	s_and_saveexec_b64 s[0:1], vcc
	s_cbranch_execz .LBB2844_111
.LBB2844_206:
	v_lshlrev_b32_e32 v5, 1, v60
	v_readfirstlane_b32 s2, v8
	v_readfirstlane_b32 s3, v9
	s_waitcnt lgkmcnt(14)
	s_nop 3
	global_store_short v5, v61, s[2:3]
	s_or_b64 exec, exec, s[0:1]
	v_cmp_ge_u32_e32 vcc, v58, v4
	s_and_saveexec_b64 s[0:1], vcc
	s_cbranch_execz .LBB2844_112
.LBB2844_207:
	v_lshlrev_b32_e32 v5, 1, v58
	v_readfirstlane_b32 s2, v8
	v_readfirstlane_b32 s3, v9
	s_waitcnt lgkmcnt(14)
	s_nop 3
	global_store_short v5, v59, s[2:3]
	s_or_b64 exec, exec, s[0:1]
	v_cmp_ge_u32_e32 vcc, v56, v4
	s_and_saveexec_b64 s[0:1], vcc
	s_cbranch_execz .LBB2844_113
.LBB2844_208:
	v_lshlrev_b32_e32 v5, 1, v56
	v_readfirstlane_b32 s2, v8
	v_readfirstlane_b32 s3, v9
	s_waitcnt lgkmcnt(14)
	s_nop 3
	global_store_short v5, v57, s[2:3]
	s_or_b64 exec, exec, s[0:1]
	v_cmp_ge_u32_e32 vcc, v53, v4
	s_and_saveexec_b64 s[0:1], vcc
	s_cbranch_execz .LBB2844_114
.LBB2844_209:
	v_lshlrev_b32_e32 v5, 1, v53
	v_readfirstlane_b32 s2, v8
	v_readfirstlane_b32 s3, v9
	s_waitcnt lgkmcnt(14)
	s_nop 3
	global_store_short v5, v55, s[2:3]
	s_or_b64 exec, exec, s[0:1]
	v_cmp_ge_u32_e32 vcc, v52, v4
	s_and_saveexec_b64 s[0:1], vcc
	s_cbranch_execz .LBB2844_115
.LBB2844_210:
	v_lshlrev_b32_e32 v5, 1, v52
	v_readfirstlane_b32 s2, v8
	v_readfirstlane_b32 s3, v9
	s_waitcnt lgkmcnt(14)
	s_nop 3
	global_store_short v5, v54, s[2:3]
	s_or_b64 exec, exec, s[0:1]
	v_cmp_ge_u32_e32 vcc, v50, v4
	s_and_saveexec_b64 s[0:1], vcc
	s_cbranch_execz .LBB2844_116
.LBB2844_211:
	v_lshlrev_b32_e32 v5, 1, v50
	v_readfirstlane_b32 s2, v8
	v_readfirstlane_b32 s3, v9
	s_waitcnt lgkmcnt(14)
	s_nop 3
	global_store_short v5, v51, s[2:3]
	s_or_b64 exec, exec, s[0:1]
	v_cmp_ge_u32_e32 vcc, v48, v4
	s_and_saveexec_b64 s[0:1], vcc
	s_cbranch_execz .LBB2844_117
.LBB2844_212:
	v_lshlrev_b32_e32 v5, 1, v48
	v_readfirstlane_b32 s2, v8
	v_readfirstlane_b32 s3, v9
	s_waitcnt lgkmcnt(14)
	s_nop 3
	global_store_short v5, v49, s[2:3]
	s_or_b64 exec, exec, s[0:1]
	v_cmp_ge_u32_e32 vcc, v46, v4
	s_and_saveexec_b64 s[0:1], vcc
	s_cbranch_execz .LBB2844_118
.LBB2844_213:
	v_lshlrev_b32_e32 v5, 1, v46
	v_readfirstlane_b32 s2, v8
	v_readfirstlane_b32 s3, v9
	s_waitcnt lgkmcnt(14)
	s_nop 3
	global_store_short v5, v47, s[2:3]
	s_or_b64 exec, exec, s[0:1]
	v_cmp_ge_u32_e32 vcc, v44, v4
	s_and_saveexec_b64 s[0:1], vcc
	s_cbranch_execz .LBB2844_119
.LBB2844_214:
	v_lshlrev_b32_e32 v5, 1, v44
	v_readfirstlane_b32 s2, v8
	v_readfirstlane_b32 s3, v9
	s_waitcnt lgkmcnt(14)
	s_nop 3
	global_store_short v5, v45, s[2:3]
	s_or_b64 exec, exec, s[0:1]
	v_cmp_ge_u32_e32 vcc, v42, v4
	s_and_saveexec_b64 s[0:1], vcc
	s_cbranch_execz .LBB2844_120
.LBB2844_215:
	v_lshlrev_b32_e32 v5, 1, v42
	v_readfirstlane_b32 s2, v8
	v_readfirstlane_b32 s3, v9
	s_waitcnt lgkmcnt(14)
	s_nop 3
	global_store_short v5, v43, s[2:3]
	s_or_b64 exec, exec, s[0:1]
	v_cmp_ge_u32_e32 vcc, v40, v4
	s_and_saveexec_b64 s[0:1], vcc
	s_cbranch_execz .LBB2844_121
.LBB2844_216:
	v_lshlrev_b32_e32 v5, 1, v40
	v_readfirstlane_b32 s2, v8
	v_readfirstlane_b32 s3, v9
	s_waitcnt lgkmcnt(14)
	s_nop 3
	global_store_short v5, v41, s[2:3]
	s_or_b64 exec, exec, s[0:1]
	v_cmp_ge_u32_e32 vcc, v37, v4
	s_and_saveexec_b64 s[0:1], vcc
	s_cbranch_execz .LBB2844_122
.LBB2844_217:
	v_lshlrev_b32_e32 v5, 1, v37
	v_readfirstlane_b32 s2, v8
	v_readfirstlane_b32 s3, v9
	s_waitcnt lgkmcnt(14)
	s_nop 3
	global_store_short v5, v39, s[2:3]
	s_or_b64 exec, exec, s[0:1]
	v_cmp_ge_u32_e32 vcc, v36, v4
	s_and_saveexec_b64 s[0:1], vcc
	s_cbranch_execz .LBB2844_123
.LBB2844_218:
	v_lshlrev_b32_e32 v5, 1, v36
	v_readfirstlane_b32 s2, v8
	v_readfirstlane_b32 s3, v9
	s_waitcnt lgkmcnt(13)
	s_nop 3
	global_store_short v5, v38, s[2:3]
	s_or_b64 exec, exec, s[0:1]
	v_cmp_ge_u32_e32 vcc, v34, v4
	s_and_saveexec_b64 s[0:1], vcc
	s_cbranch_execz .LBB2844_124
.LBB2844_219:
	v_lshlrev_b32_e32 v5, 1, v34
	v_readfirstlane_b32 s2, v8
	v_readfirstlane_b32 s3, v9
	s_waitcnt lgkmcnt(12)
	s_nop 3
	global_store_short v5, v35, s[2:3]
	s_or_b64 exec, exec, s[0:1]
	v_cmp_ge_u32_e32 vcc, v32, v4
	s_and_saveexec_b64 s[0:1], vcc
	s_cbranch_execz .LBB2844_125
.LBB2844_220:
	v_lshlrev_b32_e32 v5, 1, v32
	v_readfirstlane_b32 s2, v8
	v_readfirstlane_b32 s3, v9
	s_waitcnt lgkmcnt(11)
	s_nop 3
	global_store_short v5, v33, s[2:3]
	s_or_b64 exec, exec, s[0:1]
	v_cmp_ge_u32_e32 vcc, v30, v4
	s_and_saveexec_b64 s[0:1], vcc
	s_cbranch_execz .LBB2844_126
.LBB2844_221:
	v_lshlrev_b32_e32 v5, 1, v30
	v_readfirstlane_b32 s2, v8
	v_readfirstlane_b32 s3, v9
	s_waitcnt lgkmcnt(10)
	s_nop 3
	global_store_short v5, v31, s[2:3]
	s_or_b64 exec, exec, s[0:1]
	v_cmp_ge_u32_e32 vcc, v28, v4
	s_and_saveexec_b64 s[0:1], vcc
	s_cbranch_execz .LBB2844_127
.LBB2844_222:
	v_lshlrev_b32_e32 v5, 1, v28
	v_readfirstlane_b32 s2, v8
	v_readfirstlane_b32 s3, v9
	s_waitcnt lgkmcnt(9)
	s_nop 3
	global_store_short v5, v29, s[2:3]
	s_or_b64 exec, exec, s[0:1]
	v_cmp_ge_u32_e32 vcc, v26, v4
	s_and_saveexec_b64 s[0:1], vcc
	s_cbranch_execz .LBB2844_128
.LBB2844_223:
	v_lshlrev_b32_e32 v5, 1, v26
	v_readfirstlane_b32 s2, v8
	v_readfirstlane_b32 s3, v9
	s_waitcnt lgkmcnt(8)
	s_nop 3
	global_store_short v5, v27, s[2:3]
	s_or_b64 exec, exec, s[0:1]
	v_cmp_ge_u32_e32 vcc, v24, v4
	s_and_saveexec_b64 s[0:1], vcc
	s_cbranch_execz .LBB2844_129
.LBB2844_224:
	v_lshlrev_b32_e32 v5, 1, v24
	v_readfirstlane_b32 s2, v8
	v_readfirstlane_b32 s3, v9
	s_waitcnt lgkmcnt(7)
	s_nop 3
	global_store_short v5, v25, s[2:3]
	s_or_b64 exec, exec, s[0:1]
	v_cmp_ge_u32_e32 vcc, v22, v4
	s_and_saveexec_b64 s[0:1], vcc
	s_cbranch_execz .LBB2844_130
.LBB2844_225:
	v_lshlrev_b32_e32 v5, 1, v22
	v_readfirstlane_b32 s2, v8
	v_readfirstlane_b32 s3, v9
	s_waitcnt lgkmcnt(6)
	s_nop 3
	global_store_short v5, v23, s[2:3]
	s_or_b64 exec, exec, s[0:1]
	v_cmp_ge_u32_e32 vcc, v18, v4
	s_and_saveexec_b64 s[0:1], vcc
	s_cbranch_execz .LBB2844_131
.LBB2844_226:
	v_lshlrev_b32_e32 v5, 1, v18
	v_readfirstlane_b32 s2, v8
	v_readfirstlane_b32 s3, v9
	s_waitcnt lgkmcnt(5)
	s_nop 3
	global_store_short v5, v19, s[2:3]
	s_or_b64 exec, exec, s[0:1]
	v_cmp_ge_u32_e32 vcc, v16, v4
	s_and_saveexec_b64 s[0:1], vcc
	s_cbranch_execz .LBB2844_132
.LBB2844_227:
	v_lshlrev_b32_e32 v5, 1, v16
	v_readfirstlane_b32 s2, v8
	v_readfirstlane_b32 s3, v9
	s_waitcnt lgkmcnt(4)
	s_nop 3
	global_store_short v5, v17, s[2:3]
	s_or_b64 exec, exec, s[0:1]
	v_cmp_ge_u32_e32 vcc, v14, v4
	s_and_saveexec_b64 s[0:1], vcc
	s_cbranch_execz .LBB2844_133
.LBB2844_228:
	v_lshlrev_b32_e32 v5, 1, v14
	v_readfirstlane_b32 s2, v8
	v_readfirstlane_b32 s3, v9
	s_waitcnt lgkmcnt(3)
	s_nop 3
	global_store_short v5, v15, s[2:3]
	s_or_b64 exec, exec, s[0:1]
	v_cmp_ge_u32_e32 vcc, v12, v4
	s_and_saveexec_b64 s[0:1], vcc
	s_cbranch_execz .LBB2844_134
.LBB2844_229:
	v_lshlrev_b32_e32 v5, 1, v12
	v_readfirstlane_b32 s2, v8
	v_readfirstlane_b32 s3, v9
	s_waitcnt lgkmcnt(2)
	s_nop 3
	global_store_short v5, v13, s[2:3]
	s_or_b64 exec, exec, s[0:1]
	v_cmp_ge_u32_e32 vcc, v10, v4
	s_and_saveexec_b64 s[0:1], vcc
	s_cbranch_execnz .LBB2844_135
	s_branch .LBB2844_136
	.section	.rodata,"a",@progbits
	.p2align	6, 0x0
	.amdhsa_kernel _ZN7rocprim17ROCPRIM_400000_NS6detail17trampoline_kernelINS0_14default_configENS1_25partition_config_selectorILNS1_17partition_subalgoE0EsNS0_10empty_typeEbEEZZNS1_14partition_implILS5_0ELb0ES3_jN6thrust23THRUST_200600_302600_NS6detail15normal_iteratorINSA_10device_ptrIsEEEEPS6_SG_NS0_5tupleIJNSA_16discard_iteratorINSA_11use_defaultEEESF_EEENSH_IJSG_SG_EEES6_PlJ7is_evenIsEEEE10hipError_tPvRmT3_T4_T5_T6_T7_T9_mT8_P12ihipStream_tbDpT10_ENKUlT_T0_E_clISt17integral_constantIbLb0EES19_EEDaS14_S15_EUlS14_E_NS1_11comp_targetILNS1_3genE5ELNS1_11target_archE942ELNS1_3gpuE9ELNS1_3repE0EEENS1_30default_config_static_selectorELNS0_4arch9wavefront6targetE1EEEvT1_
		.amdhsa_group_segment_fixed_size 30728
		.amdhsa_private_segment_fixed_size 0
		.amdhsa_kernarg_size 128
		.amdhsa_user_sgpr_count 2
		.amdhsa_user_sgpr_dispatch_ptr 0
		.amdhsa_user_sgpr_queue_ptr 0
		.amdhsa_user_sgpr_kernarg_segment_ptr 1
		.amdhsa_user_sgpr_dispatch_id 0
		.amdhsa_user_sgpr_kernarg_preload_length 0
		.amdhsa_user_sgpr_kernarg_preload_offset 0
		.amdhsa_user_sgpr_private_segment_size 0
		.amdhsa_uses_dynamic_stack 0
		.amdhsa_enable_private_segment 0
		.amdhsa_system_sgpr_workgroup_id_x 1
		.amdhsa_system_sgpr_workgroup_id_y 0
		.amdhsa_system_sgpr_workgroup_id_z 0
		.amdhsa_system_sgpr_workgroup_info 0
		.amdhsa_system_vgpr_workitem_id 0
		.amdhsa_next_free_vgpr 120
		.amdhsa_next_free_sgpr 44
		.amdhsa_accum_offset 120
		.amdhsa_reserve_vcc 1
		.amdhsa_float_round_mode_32 0
		.amdhsa_float_round_mode_16_64 0
		.amdhsa_float_denorm_mode_32 3
		.amdhsa_float_denorm_mode_16_64 3
		.amdhsa_dx10_clamp 1
		.amdhsa_ieee_mode 1
		.amdhsa_fp16_overflow 0
		.amdhsa_tg_split 0
		.amdhsa_exception_fp_ieee_invalid_op 0
		.amdhsa_exception_fp_denorm_src 0
		.amdhsa_exception_fp_ieee_div_zero 0
		.amdhsa_exception_fp_ieee_overflow 0
		.amdhsa_exception_fp_ieee_underflow 0
		.amdhsa_exception_fp_ieee_inexact 0
		.amdhsa_exception_int_div_zero 0
	.end_amdhsa_kernel
	.section	.text._ZN7rocprim17ROCPRIM_400000_NS6detail17trampoline_kernelINS0_14default_configENS1_25partition_config_selectorILNS1_17partition_subalgoE0EsNS0_10empty_typeEbEEZZNS1_14partition_implILS5_0ELb0ES3_jN6thrust23THRUST_200600_302600_NS6detail15normal_iteratorINSA_10device_ptrIsEEEEPS6_SG_NS0_5tupleIJNSA_16discard_iteratorINSA_11use_defaultEEESF_EEENSH_IJSG_SG_EEES6_PlJ7is_evenIsEEEE10hipError_tPvRmT3_T4_T5_T6_T7_T9_mT8_P12ihipStream_tbDpT10_ENKUlT_T0_E_clISt17integral_constantIbLb0EES19_EEDaS14_S15_EUlS14_E_NS1_11comp_targetILNS1_3genE5ELNS1_11target_archE942ELNS1_3gpuE9ELNS1_3repE0EEENS1_30default_config_static_selectorELNS0_4arch9wavefront6targetE1EEEvT1_,"axG",@progbits,_ZN7rocprim17ROCPRIM_400000_NS6detail17trampoline_kernelINS0_14default_configENS1_25partition_config_selectorILNS1_17partition_subalgoE0EsNS0_10empty_typeEbEEZZNS1_14partition_implILS5_0ELb0ES3_jN6thrust23THRUST_200600_302600_NS6detail15normal_iteratorINSA_10device_ptrIsEEEEPS6_SG_NS0_5tupleIJNSA_16discard_iteratorINSA_11use_defaultEEESF_EEENSH_IJSG_SG_EEES6_PlJ7is_evenIsEEEE10hipError_tPvRmT3_T4_T5_T6_T7_T9_mT8_P12ihipStream_tbDpT10_ENKUlT_T0_E_clISt17integral_constantIbLb0EES19_EEDaS14_S15_EUlS14_E_NS1_11comp_targetILNS1_3genE5ELNS1_11target_archE942ELNS1_3gpuE9ELNS1_3repE0EEENS1_30default_config_static_selectorELNS0_4arch9wavefront6targetE1EEEvT1_,comdat
.Lfunc_end2844:
	.size	_ZN7rocprim17ROCPRIM_400000_NS6detail17trampoline_kernelINS0_14default_configENS1_25partition_config_selectorILNS1_17partition_subalgoE0EsNS0_10empty_typeEbEEZZNS1_14partition_implILS5_0ELb0ES3_jN6thrust23THRUST_200600_302600_NS6detail15normal_iteratorINSA_10device_ptrIsEEEEPS6_SG_NS0_5tupleIJNSA_16discard_iteratorINSA_11use_defaultEEESF_EEENSH_IJSG_SG_EEES6_PlJ7is_evenIsEEEE10hipError_tPvRmT3_T4_T5_T6_T7_T9_mT8_P12ihipStream_tbDpT10_ENKUlT_T0_E_clISt17integral_constantIbLb0EES19_EEDaS14_S15_EUlS14_E_NS1_11comp_targetILNS1_3genE5ELNS1_11target_archE942ELNS1_3gpuE9ELNS1_3repE0EEENS1_30default_config_static_selectorELNS0_4arch9wavefront6targetE1EEEvT1_, .Lfunc_end2844-_ZN7rocprim17ROCPRIM_400000_NS6detail17trampoline_kernelINS0_14default_configENS1_25partition_config_selectorILNS1_17partition_subalgoE0EsNS0_10empty_typeEbEEZZNS1_14partition_implILS5_0ELb0ES3_jN6thrust23THRUST_200600_302600_NS6detail15normal_iteratorINSA_10device_ptrIsEEEEPS6_SG_NS0_5tupleIJNSA_16discard_iteratorINSA_11use_defaultEEESF_EEENSH_IJSG_SG_EEES6_PlJ7is_evenIsEEEE10hipError_tPvRmT3_T4_T5_T6_T7_T9_mT8_P12ihipStream_tbDpT10_ENKUlT_T0_E_clISt17integral_constantIbLb0EES19_EEDaS14_S15_EUlS14_E_NS1_11comp_targetILNS1_3genE5ELNS1_11target_archE942ELNS1_3gpuE9ELNS1_3repE0EEENS1_30default_config_static_selectorELNS0_4arch9wavefront6targetE1EEEvT1_
                                        ; -- End function
	.section	.AMDGPU.csdata,"",@progbits
; Kernel info:
; codeLenInByte = 11092
; NumSgprs: 50
; NumVgprs: 120
; NumAgprs: 0
; TotalNumVgprs: 120
; ScratchSize: 0
; MemoryBound: 0
; FloatMode: 240
; IeeeMode: 1
; LDSByteSize: 30728 bytes/workgroup (compile time only)
; SGPRBlocks: 6
; VGPRBlocks: 14
; NumSGPRsForWavesPerEU: 50
; NumVGPRsForWavesPerEU: 120
; AccumOffset: 120
; Occupancy: 4
; WaveLimiterHint : 1
; COMPUTE_PGM_RSRC2:SCRATCH_EN: 0
; COMPUTE_PGM_RSRC2:USER_SGPR: 2
; COMPUTE_PGM_RSRC2:TRAP_HANDLER: 0
; COMPUTE_PGM_RSRC2:TGID_X_EN: 1
; COMPUTE_PGM_RSRC2:TGID_Y_EN: 0
; COMPUTE_PGM_RSRC2:TGID_Z_EN: 0
; COMPUTE_PGM_RSRC2:TIDIG_COMP_CNT: 0
; COMPUTE_PGM_RSRC3_GFX90A:ACCUM_OFFSET: 29
; COMPUTE_PGM_RSRC3_GFX90A:TG_SPLIT: 0
	.section	.text._ZN7rocprim17ROCPRIM_400000_NS6detail17trampoline_kernelINS0_14default_configENS1_25partition_config_selectorILNS1_17partition_subalgoE0EsNS0_10empty_typeEbEEZZNS1_14partition_implILS5_0ELb0ES3_jN6thrust23THRUST_200600_302600_NS6detail15normal_iteratorINSA_10device_ptrIsEEEEPS6_SG_NS0_5tupleIJNSA_16discard_iteratorINSA_11use_defaultEEESF_EEENSH_IJSG_SG_EEES6_PlJ7is_evenIsEEEE10hipError_tPvRmT3_T4_T5_T6_T7_T9_mT8_P12ihipStream_tbDpT10_ENKUlT_T0_E_clISt17integral_constantIbLb0EES19_EEDaS14_S15_EUlS14_E_NS1_11comp_targetILNS1_3genE4ELNS1_11target_archE910ELNS1_3gpuE8ELNS1_3repE0EEENS1_30default_config_static_selectorELNS0_4arch9wavefront6targetE1EEEvT1_,"axG",@progbits,_ZN7rocprim17ROCPRIM_400000_NS6detail17trampoline_kernelINS0_14default_configENS1_25partition_config_selectorILNS1_17partition_subalgoE0EsNS0_10empty_typeEbEEZZNS1_14partition_implILS5_0ELb0ES3_jN6thrust23THRUST_200600_302600_NS6detail15normal_iteratorINSA_10device_ptrIsEEEEPS6_SG_NS0_5tupleIJNSA_16discard_iteratorINSA_11use_defaultEEESF_EEENSH_IJSG_SG_EEES6_PlJ7is_evenIsEEEE10hipError_tPvRmT3_T4_T5_T6_T7_T9_mT8_P12ihipStream_tbDpT10_ENKUlT_T0_E_clISt17integral_constantIbLb0EES19_EEDaS14_S15_EUlS14_E_NS1_11comp_targetILNS1_3genE4ELNS1_11target_archE910ELNS1_3gpuE8ELNS1_3repE0EEENS1_30default_config_static_selectorELNS0_4arch9wavefront6targetE1EEEvT1_,comdat
	.protected	_ZN7rocprim17ROCPRIM_400000_NS6detail17trampoline_kernelINS0_14default_configENS1_25partition_config_selectorILNS1_17partition_subalgoE0EsNS0_10empty_typeEbEEZZNS1_14partition_implILS5_0ELb0ES3_jN6thrust23THRUST_200600_302600_NS6detail15normal_iteratorINSA_10device_ptrIsEEEEPS6_SG_NS0_5tupleIJNSA_16discard_iteratorINSA_11use_defaultEEESF_EEENSH_IJSG_SG_EEES6_PlJ7is_evenIsEEEE10hipError_tPvRmT3_T4_T5_T6_T7_T9_mT8_P12ihipStream_tbDpT10_ENKUlT_T0_E_clISt17integral_constantIbLb0EES19_EEDaS14_S15_EUlS14_E_NS1_11comp_targetILNS1_3genE4ELNS1_11target_archE910ELNS1_3gpuE8ELNS1_3repE0EEENS1_30default_config_static_selectorELNS0_4arch9wavefront6targetE1EEEvT1_ ; -- Begin function _ZN7rocprim17ROCPRIM_400000_NS6detail17trampoline_kernelINS0_14default_configENS1_25partition_config_selectorILNS1_17partition_subalgoE0EsNS0_10empty_typeEbEEZZNS1_14partition_implILS5_0ELb0ES3_jN6thrust23THRUST_200600_302600_NS6detail15normal_iteratorINSA_10device_ptrIsEEEEPS6_SG_NS0_5tupleIJNSA_16discard_iteratorINSA_11use_defaultEEESF_EEENSH_IJSG_SG_EEES6_PlJ7is_evenIsEEEE10hipError_tPvRmT3_T4_T5_T6_T7_T9_mT8_P12ihipStream_tbDpT10_ENKUlT_T0_E_clISt17integral_constantIbLb0EES19_EEDaS14_S15_EUlS14_E_NS1_11comp_targetILNS1_3genE4ELNS1_11target_archE910ELNS1_3gpuE8ELNS1_3repE0EEENS1_30default_config_static_selectorELNS0_4arch9wavefront6targetE1EEEvT1_
	.globl	_ZN7rocprim17ROCPRIM_400000_NS6detail17trampoline_kernelINS0_14default_configENS1_25partition_config_selectorILNS1_17partition_subalgoE0EsNS0_10empty_typeEbEEZZNS1_14partition_implILS5_0ELb0ES3_jN6thrust23THRUST_200600_302600_NS6detail15normal_iteratorINSA_10device_ptrIsEEEEPS6_SG_NS0_5tupleIJNSA_16discard_iteratorINSA_11use_defaultEEESF_EEENSH_IJSG_SG_EEES6_PlJ7is_evenIsEEEE10hipError_tPvRmT3_T4_T5_T6_T7_T9_mT8_P12ihipStream_tbDpT10_ENKUlT_T0_E_clISt17integral_constantIbLb0EES19_EEDaS14_S15_EUlS14_E_NS1_11comp_targetILNS1_3genE4ELNS1_11target_archE910ELNS1_3gpuE8ELNS1_3repE0EEENS1_30default_config_static_selectorELNS0_4arch9wavefront6targetE1EEEvT1_
	.p2align	8
	.type	_ZN7rocprim17ROCPRIM_400000_NS6detail17trampoline_kernelINS0_14default_configENS1_25partition_config_selectorILNS1_17partition_subalgoE0EsNS0_10empty_typeEbEEZZNS1_14partition_implILS5_0ELb0ES3_jN6thrust23THRUST_200600_302600_NS6detail15normal_iteratorINSA_10device_ptrIsEEEEPS6_SG_NS0_5tupleIJNSA_16discard_iteratorINSA_11use_defaultEEESF_EEENSH_IJSG_SG_EEES6_PlJ7is_evenIsEEEE10hipError_tPvRmT3_T4_T5_T6_T7_T9_mT8_P12ihipStream_tbDpT10_ENKUlT_T0_E_clISt17integral_constantIbLb0EES19_EEDaS14_S15_EUlS14_E_NS1_11comp_targetILNS1_3genE4ELNS1_11target_archE910ELNS1_3gpuE8ELNS1_3repE0EEENS1_30default_config_static_selectorELNS0_4arch9wavefront6targetE1EEEvT1_,@function
_ZN7rocprim17ROCPRIM_400000_NS6detail17trampoline_kernelINS0_14default_configENS1_25partition_config_selectorILNS1_17partition_subalgoE0EsNS0_10empty_typeEbEEZZNS1_14partition_implILS5_0ELb0ES3_jN6thrust23THRUST_200600_302600_NS6detail15normal_iteratorINSA_10device_ptrIsEEEEPS6_SG_NS0_5tupleIJNSA_16discard_iteratorINSA_11use_defaultEEESF_EEENSH_IJSG_SG_EEES6_PlJ7is_evenIsEEEE10hipError_tPvRmT3_T4_T5_T6_T7_T9_mT8_P12ihipStream_tbDpT10_ENKUlT_T0_E_clISt17integral_constantIbLb0EES19_EEDaS14_S15_EUlS14_E_NS1_11comp_targetILNS1_3genE4ELNS1_11target_archE910ELNS1_3gpuE8ELNS1_3repE0EEENS1_30default_config_static_selectorELNS0_4arch9wavefront6targetE1EEEvT1_: ; @_ZN7rocprim17ROCPRIM_400000_NS6detail17trampoline_kernelINS0_14default_configENS1_25partition_config_selectorILNS1_17partition_subalgoE0EsNS0_10empty_typeEbEEZZNS1_14partition_implILS5_0ELb0ES3_jN6thrust23THRUST_200600_302600_NS6detail15normal_iteratorINSA_10device_ptrIsEEEEPS6_SG_NS0_5tupleIJNSA_16discard_iteratorINSA_11use_defaultEEESF_EEENSH_IJSG_SG_EEES6_PlJ7is_evenIsEEEE10hipError_tPvRmT3_T4_T5_T6_T7_T9_mT8_P12ihipStream_tbDpT10_ENKUlT_T0_E_clISt17integral_constantIbLb0EES19_EEDaS14_S15_EUlS14_E_NS1_11comp_targetILNS1_3genE4ELNS1_11target_archE910ELNS1_3gpuE8ELNS1_3repE0EEENS1_30default_config_static_selectorELNS0_4arch9wavefront6targetE1EEEvT1_
; %bb.0:
	.section	.rodata,"a",@progbits
	.p2align	6, 0x0
	.amdhsa_kernel _ZN7rocprim17ROCPRIM_400000_NS6detail17trampoline_kernelINS0_14default_configENS1_25partition_config_selectorILNS1_17partition_subalgoE0EsNS0_10empty_typeEbEEZZNS1_14partition_implILS5_0ELb0ES3_jN6thrust23THRUST_200600_302600_NS6detail15normal_iteratorINSA_10device_ptrIsEEEEPS6_SG_NS0_5tupleIJNSA_16discard_iteratorINSA_11use_defaultEEESF_EEENSH_IJSG_SG_EEES6_PlJ7is_evenIsEEEE10hipError_tPvRmT3_T4_T5_T6_T7_T9_mT8_P12ihipStream_tbDpT10_ENKUlT_T0_E_clISt17integral_constantIbLb0EES19_EEDaS14_S15_EUlS14_E_NS1_11comp_targetILNS1_3genE4ELNS1_11target_archE910ELNS1_3gpuE8ELNS1_3repE0EEENS1_30default_config_static_selectorELNS0_4arch9wavefront6targetE1EEEvT1_
		.amdhsa_group_segment_fixed_size 0
		.amdhsa_private_segment_fixed_size 0
		.amdhsa_kernarg_size 128
		.amdhsa_user_sgpr_count 2
		.amdhsa_user_sgpr_dispatch_ptr 0
		.amdhsa_user_sgpr_queue_ptr 0
		.amdhsa_user_sgpr_kernarg_segment_ptr 1
		.amdhsa_user_sgpr_dispatch_id 0
		.amdhsa_user_sgpr_kernarg_preload_length 0
		.amdhsa_user_sgpr_kernarg_preload_offset 0
		.amdhsa_user_sgpr_private_segment_size 0
		.amdhsa_uses_dynamic_stack 0
		.amdhsa_enable_private_segment 0
		.amdhsa_system_sgpr_workgroup_id_x 1
		.amdhsa_system_sgpr_workgroup_id_y 0
		.amdhsa_system_sgpr_workgroup_id_z 0
		.amdhsa_system_sgpr_workgroup_info 0
		.amdhsa_system_vgpr_workitem_id 0
		.amdhsa_next_free_vgpr 1
		.amdhsa_next_free_sgpr 0
		.amdhsa_accum_offset 4
		.amdhsa_reserve_vcc 0
		.amdhsa_float_round_mode_32 0
		.amdhsa_float_round_mode_16_64 0
		.amdhsa_float_denorm_mode_32 3
		.amdhsa_float_denorm_mode_16_64 3
		.amdhsa_dx10_clamp 1
		.amdhsa_ieee_mode 1
		.amdhsa_fp16_overflow 0
		.amdhsa_tg_split 0
		.amdhsa_exception_fp_ieee_invalid_op 0
		.amdhsa_exception_fp_denorm_src 0
		.amdhsa_exception_fp_ieee_div_zero 0
		.amdhsa_exception_fp_ieee_overflow 0
		.amdhsa_exception_fp_ieee_underflow 0
		.amdhsa_exception_fp_ieee_inexact 0
		.amdhsa_exception_int_div_zero 0
	.end_amdhsa_kernel
	.section	.text._ZN7rocprim17ROCPRIM_400000_NS6detail17trampoline_kernelINS0_14default_configENS1_25partition_config_selectorILNS1_17partition_subalgoE0EsNS0_10empty_typeEbEEZZNS1_14partition_implILS5_0ELb0ES3_jN6thrust23THRUST_200600_302600_NS6detail15normal_iteratorINSA_10device_ptrIsEEEEPS6_SG_NS0_5tupleIJNSA_16discard_iteratorINSA_11use_defaultEEESF_EEENSH_IJSG_SG_EEES6_PlJ7is_evenIsEEEE10hipError_tPvRmT3_T4_T5_T6_T7_T9_mT8_P12ihipStream_tbDpT10_ENKUlT_T0_E_clISt17integral_constantIbLb0EES19_EEDaS14_S15_EUlS14_E_NS1_11comp_targetILNS1_3genE4ELNS1_11target_archE910ELNS1_3gpuE8ELNS1_3repE0EEENS1_30default_config_static_selectorELNS0_4arch9wavefront6targetE1EEEvT1_,"axG",@progbits,_ZN7rocprim17ROCPRIM_400000_NS6detail17trampoline_kernelINS0_14default_configENS1_25partition_config_selectorILNS1_17partition_subalgoE0EsNS0_10empty_typeEbEEZZNS1_14partition_implILS5_0ELb0ES3_jN6thrust23THRUST_200600_302600_NS6detail15normal_iteratorINSA_10device_ptrIsEEEEPS6_SG_NS0_5tupleIJNSA_16discard_iteratorINSA_11use_defaultEEESF_EEENSH_IJSG_SG_EEES6_PlJ7is_evenIsEEEE10hipError_tPvRmT3_T4_T5_T6_T7_T9_mT8_P12ihipStream_tbDpT10_ENKUlT_T0_E_clISt17integral_constantIbLb0EES19_EEDaS14_S15_EUlS14_E_NS1_11comp_targetILNS1_3genE4ELNS1_11target_archE910ELNS1_3gpuE8ELNS1_3repE0EEENS1_30default_config_static_selectorELNS0_4arch9wavefront6targetE1EEEvT1_,comdat
.Lfunc_end2845:
	.size	_ZN7rocprim17ROCPRIM_400000_NS6detail17trampoline_kernelINS0_14default_configENS1_25partition_config_selectorILNS1_17partition_subalgoE0EsNS0_10empty_typeEbEEZZNS1_14partition_implILS5_0ELb0ES3_jN6thrust23THRUST_200600_302600_NS6detail15normal_iteratorINSA_10device_ptrIsEEEEPS6_SG_NS0_5tupleIJNSA_16discard_iteratorINSA_11use_defaultEEESF_EEENSH_IJSG_SG_EEES6_PlJ7is_evenIsEEEE10hipError_tPvRmT3_T4_T5_T6_T7_T9_mT8_P12ihipStream_tbDpT10_ENKUlT_T0_E_clISt17integral_constantIbLb0EES19_EEDaS14_S15_EUlS14_E_NS1_11comp_targetILNS1_3genE4ELNS1_11target_archE910ELNS1_3gpuE8ELNS1_3repE0EEENS1_30default_config_static_selectorELNS0_4arch9wavefront6targetE1EEEvT1_, .Lfunc_end2845-_ZN7rocprim17ROCPRIM_400000_NS6detail17trampoline_kernelINS0_14default_configENS1_25partition_config_selectorILNS1_17partition_subalgoE0EsNS0_10empty_typeEbEEZZNS1_14partition_implILS5_0ELb0ES3_jN6thrust23THRUST_200600_302600_NS6detail15normal_iteratorINSA_10device_ptrIsEEEEPS6_SG_NS0_5tupleIJNSA_16discard_iteratorINSA_11use_defaultEEESF_EEENSH_IJSG_SG_EEES6_PlJ7is_evenIsEEEE10hipError_tPvRmT3_T4_T5_T6_T7_T9_mT8_P12ihipStream_tbDpT10_ENKUlT_T0_E_clISt17integral_constantIbLb0EES19_EEDaS14_S15_EUlS14_E_NS1_11comp_targetILNS1_3genE4ELNS1_11target_archE910ELNS1_3gpuE8ELNS1_3repE0EEENS1_30default_config_static_selectorELNS0_4arch9wavefront6targetE1EEEvT1_
                                        ; -- End function
	.section	.AMDGPU.csdata,"",@progbits
; Kernel info:
; codeLenInByte = 0
; NumSgprs: 6
; NumVgprs: 0
; NumAgprs: 0
; TotalNumVgprs: 0
; ScratchSize: 0
; MemoryBound: 0
; FloatMode: 240
; IeeeMode: 1
; LDSByteSize: 0 bytes/workgroup (compile time only)
; SGPRBlocks: 0
; VGPRBlocks: 0
; NumSGPRsForWavesPerEU: 6
; NumVGPRsForWavesPerEU: 1
; AccumOffset: 4
; Occupancy: 8
; WaveLimiterHint : 0
; COMPUTE_PGM_RSRC2:SCRATCH_EN: 0
; COMPUTE_PGM_RSRC2:USER_SGPR: 2
; COMPUTE_PGM_RSRC2:TRAP_HANDLER: 0
; COMPUTE_PGM_RSRC2:TGID_X_EN: 1
; COMPUTE_PGM_RSRC2:TGID_Y_EN: 0
; COMPUTE_PGM_RSRC2:TGID_Z_EN: 0
; COMPUTE_PGM_RSRC2:TIDIG_COMP_CNT: 0
; COMPUTE_PGM_RSRC3_GFX90A:ACCUM_OFFSET: 0
; COMPUTE_PGM_RSRC3_GFX90A:TG_SPLIT: 0
	.section	.text._ZN7rocprim17ROCPRIM_400000_NS6detail17trampoline_kernelINS0_14default_configENS1_25partition_config_selectorILNS1_17partition_subalgoE0EsNS0_10empty_typeEbEEZZNS1_14partition_implILS5_0ELb0ES3_jN6thrust23THRUST_200600_302600_NS6detail15normal_iteratorINSA_10device_ptrIsEEEEPS6_SG_NS0_5tupleIJNSA_16discard_iteratorINSA_11use_defaultEEESF_EEENSH_IJSG_SG_EEES6_PlJ7is_evenIsEEEE10hipError_tPvRmT3_T4_T5_T6_T7_T9_mT8_P12ihipStream_tbDpT10_ENKUlT_T0_E_clISt17integral_constantIbLb0EES19_EEDaS14_S15_EUlS14_E_NS1_11comp_targetILNS1_3genE3ELNS1_11target_archE908ELNS1_3gpuE7ELNS1_3repE0EEENS1_30default_config_static_selectorELNS0_4arch9wavefront6targetE1EEEvT1_,"axG",@progbits,_ZN7rocprim17ROCPRIM_400000_NS6detail17trampoline_kernelINS0_14default_configENS1_25partition_config_selectorILNS1_17partition_subalgoE0EsNS0_10empty_typeEbEEZZNS1_14partition_implILS5_0ELb0ES3_jN6thrust23THRUST_200600_302600_NS6detail15normal_iteratorINSA_10device_ptrIsEEEEPS6_SG_NS0_5tupleIJNSA_16discard_iteratorINSA_11use_defaultEEESF_EEENSH_IJSG_SG_EEES6_PlJ7is_evenIsEEEE10hipError_tPvRmT3_T4_T5_T6_T7_T9_mT8_P12ihipStream_tbDpT10_ENKUlT_T0_E_clISt17integral_constantIbLb0EES19_EEDaS14_S15_EUlS14_E_NS1_11comp_targetILNS1_3genE3ELNS1_11target_archE908ELNS1_3gpuE7ELNS1_3repE0EEENS1_30default_config_static_selectorELNS0_4arch9wavefront6targetE1EEEvT1_,comdat
	.protected	_ZN7rocprim17ROCPRIM_400000_NS6detail17trampoline_kernelINS0_14default_configENS1_25partition_config_selectorILNS1_17partition_subalgoE0EsNS0_10empty_typeEbEEZZNS1_14partition_implILS5_0ELb0ES3_jN6thrust23THRUST_200600_302600_NS6detail15normal_iteratorINSA_10device_ptrIsEEEEPS6_SG_NS0_5tupleIJNSA_16discard_iteratorINSA_11use_defaultEEESF_EEENSH_IJSG_SG_EEES6_PlJ7is_evenIsEEEE10hipError_tPvRmT3_T4_T5_T6_T7_T9_mT8_P12ihipStream_tbDpT10_ENKUlT_T0_E_clISt17integral_constantIbLb0EES19_EEDaS14_S15_EUlS14_E_NS1_11comp_targetILNS1_3genE3ELNS1_11target_archE908ELNS1_3gpuE7ELNS1_3repE0EEENS1_30default_config_static_selectorELNS0_4arch9wavefront6targetE1EEEvT1_ ; -- Begin function _ZN7rocprim17ROCPRIM_400000_NS6detail17trampoline_kernelINS0_14default_configENS1_25partition_config_selectorILNS1_17partition_subalgoE0EsNS0_10empty_typeEbEEZZNS1_14partition_implILS5_0ELb0ES3_jN6thrust23THRUST_200600_302600_NS6detail15normal_iteratorINSA_10device_ptrIsEEEEPS6_SG_NS0_5tupleIJNSA_16discard_iteratorINSA_11use_defaultEEESF_EEENSH_IJSG_SG_EEES6_PlJ7is_evenIsEEEE10hipError_tPvRmT3_T4_T5_T6_T7_T9_mT8_P12ihipStream_tbDpT10_ENKUlT_T0_E_clISt17integral_constantIbLb0EES19_EEDaS14_S15_EUlS14_E_NS1_11comp_targetILNS1_3genE3ELNS1_11target_archE908ELNS1_3gpuE7ELNS1_3repE0EEENS1_30default_config_static_selectorELNS0_4arch9wavefront6targetE1EEEvT1_
	.globl	_ZN7rocprim17ROCPRIM_400000_NS6detail17trampoline_kernelINS0_14default_configENS1_25partition_config_selectorILNS1_17partition_subalgoE0EsNS0_10empty_typeEbEEZZNS1_14partition_implILS5_0ELb0ES3_jN6thrust23THRUST_200600_302600_NS6detail15normal_iteratorINSA_10device_ptrIsEEEEPS6_SG_NS0_5tupleIJNSA_16discard_iteratorINSA_11use_defaultEEESF_EEENSH_IJSG_SG_EEES6_PlJ7is_evenIsEEEE10hipError_tPvRmT3_T4_T5_T6_T7_T9_mT8_P12ihipStream_tbDpT10_ENKUlT_T0_E_clISt17integral_constantIbLb0EES19_EEDaS14_S15_EUlS14_E_NS1_11comp_targetILNS1_3genE3ELNS1_11target_archE908ELNS1_3gpuE7ELNS1_3repE0EEENS1_30default_config_static_selectorELNS0_4arch9wavefront6targetE1EEEvT1_
	.p2align	8
	.type	_ZN7rocprim17ROCPRIM_400000_NS6detail17trampoline_kernelINS0_14default_configENS1_25partition_config_selectorILNS1_17partition_subalgoE0EsNS0_10empty_typeEbEEZZNS1_14partition_implILS5_0ELb0ES3_jN6thrust23THRUST_200600_302600_NS6detail15normal_iteratorINSA_10device_ptrIsEEEEPS6_SG_NS0_5tupleIJNSA_16discard_iteratorINSA_11use_defaultEEESF_EEENSH_IJSG_SG_EEES6_PlJ7is_evenIsEEEE10hipError_tPvRmT3_T4_T5_T6_T7_T9_mT8_P12ihipStream_tbDpT10_ENKUlT_T0_E_clISt17integral_constantIbLb0EES19_EEDaS14_S15_EUlS14_E_NS1_11comp_targetILNS1_3genE3ELNS1_11target_archE908ELNS1_3gpuE7ELNS1_3repE0EEENS1_30default_config_static_selectorELNS0_4arch9wavefront6targetE1EEEvT1_,@function
_ZN7rocprim17ROCPRIM_400000_NS6detail17trampoline_kernelINS0_14default_configENS1_25partition_config_selectorILNS1_17partition_subalgoE0EsNS0_10empty_typeEbEEZZNS1_14partition_implILS5_0ELb0ES3_jN6thrust23THRUST_200600_302600_NS6detail15normal_iteratorINSA_10device_ptrIsEEEEPS6_SG_NS0_5tupleIJNSA_16discard_iteratorINSA_11use_defaultEEESF_EEENSH_IJSG_SG_EEES6_PlJ7is_evenIsEEEE10hipError_tPvRmT3_T4_T5_T6_T7_T9_mT8_P12ihipStream_tbDpT10_ENKUlT_T0_E_clISt17integral_constantIbLb0EES19_EEDaS14_S15_EUlS14_E_NS1_11comp_targetILNS1_3genE3ELNS1_11target_archE908ELNS1_3gpuE7ELNS1_3repE0EEENS1_30default_config_static_selectorELNS0_4arch9wavefront6targetE1EEEvT1_: ; @_ZN7rocprim17ROCPRIM_400000_NS6detail17trampoline_kernelINS0_14default_configENS1_25partition_config_selectorILNS1_17partition_subalgoE0EsNS0_10empty_typeEbEEZZNS1_14partition_implILS5_0ELb0ES3_jN6thrust23THRUST_200600_302600_NS6detail15normal_iteratorINSA_10device_ptrIsEEEEPS6_SG_NS0_5tupleIJNSA_16discard_iteratorINSA_11use_defaultEEESF_EEENSH_IJSG_SG_EEES6_PlJ7is_evenIsEEEE10hipError_tPvRmT3_T4_T5_T6_T7_T9_mT8_P12ihipStream_tbDpT10_ENKUlT_T0_E_clISt17integral_constantIbLb0EES19_EEDaS14_S15_EUlS14_E_NS1_11comp_targetILNS1_3genE3ELNS1_11target_archE908ELNS1_3gpuE7ELNS1_3repE0EEENS1_30default_config_static_selectorELNS0_4arch9wavefront6targetE1EEEvT1_
; %bb.0:
	.section	.rodata,"a",@progbits
	.p2align	6, 0x0
	.amdhsa_kernel _ZN7rocprim17ROCPRIM_400000_NS6detail17trampoline_kernelINS0_14default_configENS1_25partition_config_selectorILNS1_17partition_subalgoE0EsNS0_10empty_typeEbEEZZNS1_14partition_implILS5_0ELb0ES3_jN6thrust23THRUST_200600_302600_NS6detail15normal_iteratorINSA_10device_ptrIsEEEEPS6_SG_NS0_5tupleIJNSA_16discard_iteratorINSA_11use_defaultEEESF_EEENSH_IJSG_SG_EEES6_PlJ7is_evenIsEEEE10hipError_tPvRmT3_T4_T5_T6_T7_T9_mT8_P12ihipStream_tbDpT10_ENKUlT_T0_E_clISt17integral_constantIbLb0EES19_EEDaS14_S15_EUlS14_E_NS1_11comp_targetILNS1_3genE3ELNS1_11target_archE908ELNS1_3gpuE7ELNS1_3repE0EEENS1_30default_config_static_selectorELNS0_4arch9wavefront6targetE1EEEvT1_
		.amdhsa_group_segment_fixed_size 0
		.amdhsa_private_segment_fixed_size 0
		.amdhsa_kernarg_size 128
		.amdhsa_user_sgpr_count 2
		.amdhsa_user_sgpr_dispatch_ptr 0
		.amdhsa_user_sgpr_queue_ptr 0
		.amdhsa_user_sgpr_kernarg_segment_ptr 1
		.amdhsa_user_sgpr_dispatch_id 0
		.amdhsa_user_sgpr_kernarg_preload_length 0
		.amdhsa_user_sgpr_kernarg_preload_offset 0
		.amdhsa_user_sgpr_private_segment_size 0
		.amdhsa_uses_dynamic_stack 0
		.amdhsa_enable_private_segment 0
		.amdhsa_system_sgpr_workgroup_id_x 1
		.amdhsa_system_sgpr_workgroup_id_y 0
		.amdhsa_system_sgpr_workgroup_id_z 0
		.amdhsa_system_sgpr_workgroup_info 0
		.amdhsa_system_vgpr_workitem_id 0
		.amdhsa_next_free_vgpr 1
		.amdhsa_next_free_sgpr 0
		.amdhsa_accum_offset 4
		.amdhsa_reserve_vcc 0
		.amdhsa_float_round_mode_32 0
		.amdhsa_float_round_mode_16_64 0
		.amdhsa_float_denorm_mode_32 3
		.amdhsa_float_denorm_mode_16_64 3
		.amdhsa_dx10_clamp 1
		.amdhsa_ieee_mode 1
		.amdhsa_fp16_overflow 0
		.amdhsa_tg_split 0
		.amdhsa_exception_fp_ieee_invalid_op 0
		.amdhsa_exception_fp_denorm_src 0
		.amdhsa_exception_fp_ieee_div_zero 0
		.amdhsa_exception_fp_ieee_overflow 0
		.amdhsa_exception_fp_ieee_underflow 0
		.amdhsa_exception_fp_ieee_inexact 0
		.amdhsa_exception_int_div_zero 0
	.end_amdhsa_kernel
	.section	.text._ZN7rocprim17ROCPRIM_400000_NS6detail17trampoline_kernelINS0_14default_configENS1_25partition_config_selectorILNS1_17partition_subalgoE0EsNS0_10empty_typeEbEEZZNS1_14partition_implILS5_0ELb0ES3_jN6thrust23THRUST_200600_302600_NS6detail15normal_iteratorINSA_10device_ptrIsEEEEPS6_SG_NS0_5tupleIJNSA_16discard_iteratorINSA_11use_defaultEEESF_EEENSH_IJSG_SG_EEES6_PlJ7is_evenIsEEEE10hipError_tPvRmT3_T4_T5_T6_T7_T9_mT8_P12ihipStream_tbDpT10_ENKUlT_T0_E_clISt17integral_constantIbLb0EES19_EEDaS14_S15_EUlS14_E_NS1_11comp_targetILNS1_3genE3ELNS1_11target_archE908ELNS1_3gpuE7ELNS1_3repE0EEENS1_30default_config_static_selectorELNS0_4arch9wavefront6targetE1EEEvT1_,"axG",@progbits,_ZN7rocprim17ROCPRIM_400000_NS6detail17trampoline_kernelINS0_14default_configENS1_25partition_config_selectorILNS1_17partition_subalgoE0EsNS0_10empty_typeEbEEZZNS1_14partition_implILS5_0ELb0ES3_jN6thrust23THRUST_200600_302600_NS6detail15normal_iteratorINSA_10device_ptrIsEEEEPS6_SG_NS0_5tupleIJNSA_16discard_iteratorINSA_11use_defaultEEESF_EEENSH_IJSG_SG_EEES6_PlJ7is_evenIsEEEE10hipError_tPvRmT3_T4_T5_T6_T7_T9_mT8_P12ihipStream_tbDpT10_ENKUlT_T0_E_clISt17integral_constantIbLb0EES19_EEDaS14_S15_EUlS14_E_NS1_11comp_targetILNS1_3genE3ELNS1_11target_archE908ELNS1_3gpuE7ELNS1_3repE0EEENS1_30default_config_static_selectorELNS0_4arch9wavefront6targetE1EEEvT1_,comdat
.Lfunc_end2846:
	.size	_ZN7rocprim17ROCPRIM_400000_NS6detail17trampoline_kernelINS0_14default_configENS1_25partition_config_selectorILNS1_17partition_subalgoE0EsNS0_10empty_typeEbEEZZNS1_14partition_implILS5_0ELb0ES3_jN6thrust23THRUST_200600_302600_NS6detail15normal_iteratorINSA_10device_ptrIsEEEEPS6_SG_NS0_5tupleIJNSA_16discard_iteratorINSA_11use_defaultEEESF_EEENSH_IJSG_SG_EEES6_PlJ7is_evenIsEEEE10hipError_tPvRmT3_T4_T5_T6_T7_T9_mT8_P12ihipStream_tbDpT10_ENKUlT_T0_E_clISt17integral_constantIbLb0EES19_EEDaS14_S15_EUlS14_E_NS1_11comp_targetILNS1_3genE3ELNS1_11target_archE908ELNS1_3gpuE7ELNS1_3repE0EEENS1_30default_config_static_selectorELNS0_4arch9wavefront6targetE1EEEvT1_, .Lfunc_end2846-_ZN7rocprim17ROCPRIM_400000_NS6detail17trampoline_kernelINS0_14default_configENS1_25partition_config_selectorILNS1_17partition_subalgoE0EsNS0_10empty_typeEbEEZZNS1_14partition_implILS5_0ELb0ES3_jN6thrust23THRUST_200600_302600_NS6detail15normal_iteratorINSA_10device_ptrIsEEEEPS6_SG_NS0_5tupleIJNSA_16discard_iteratorINSA_11use_defaultEEESF_EEENSH_IJSG_SG_EEES6_PlJ7is_evenIsEEEE10hipError_tPvRmT3_T4_T5_T6_T7_T9_mT8_P12ihipStream_tbDpT10_ENKUlT_T0_E_clISt17integral_constantIbLb0EES19_EEDaS14_S15_EUlS14_E_NS1_11comp_targetILNS1_3genE3ELNS1_11target_archE908ELNS1_3gpuE7ELNS1_3repE0EEENS1_30default_config_static_selectorELNS0_4arch9wavefront6targetE1EEEvT1_
                                        ; -- End function
	.section	.AMDGPU.csdata,"",@progbits
; Kernel info:
; codeLenInByte = 0
; NumSgprs: 6
; NumVgprs: 0
; NumAgprs: 0
; TotalNumVgprs: 0
; ScratchSize: 0
; MemoryBound: 0
; FloatMode: 240
; IeeeMode: 1
; LDSByteSize: 0 bytes/workgroup (compile time only)
; SGPRBlocks: 0
; VGPRBlocks: 0
; NumSGPRsForWavesPerEU: 6
; NumVGPRsForWavesPerEU: 1
; AccumOffset: 4
; Occupancy: 8
; WaveLimiterHint : 0
; COMPUTE_PGM_RSRC2:SCRATCH_EN: 0
; COMPUTE_PGM_RSRC2:USER_SGPR: 2
; COMPUTE_PGM_RSRC2:TRAP_HANDLER: 0
; COMPUTE_PGM_RSRC2:TGID_X_EN: 1
; COMPUTE_PGM_RSRC2:TGID_Y_EN: 0
; COMPUTE_PGM_RSRC2:TGID_Z_EN: 0
; COMPUTE_PGM_RSRC2:TIDIG_COMP_CNT: 0
; COMPUTE_PGM_RSRC3_GFX90A:ACCUM_OFFSET: 0
; COMPUTE_PGM_RSRC3_GFX90A:TG_SPLIT: 0
	.section	.text._ZN7rocprim17ROCPRIM_400000_NS6detail17trampoline_kernelINS0_14default_configENS1_25partition_config_selectorILNS1_17partition_subalgoE0EsNS0_10empty_typeEbEEZZNS1_14partition_implILS5_0ELb0ES3_jN6thrust23THRUST_200600_302600_NS6detail15normal_iteratorINSA_10device_ptrIsEEEEPS6_SG_NS0_5tupleIJNSA_16discard_iteratorINSA_11use_defaultEEESF_EEENSH_IJSG_SG_EEES6_PlJ7is_evenIsEEEE10hipError_tPvRmT3_T4_T5_T6_T7_T9_mT8_P12ihipStream_tbDpT10_ENKUlT_T0_E_clISt17integral_constantIbLb0EES19_EEDaS14_S15_EUlS14_E_NS1_11comp_targetILNS1_3genE2ELNS1_11target_archE906ELNS1_3gpuE6ELNS1_3repE0EEENS1_30default_config_static_selectorELNS0_4arch9wavefront6targetE1EEEvT1_,"axG",@progbits,_ZN7rocprim17ROCPRIM_400000_NS6detail17trampoline_kernelINS0_14default_configENS1_25partition_config_selectorILNS1_17partition_subalgoE0EsNS0_10empty_typeEbEEZZNS1_14partition_implILS5_0ELb0ES3_jN6thrust23THRUST_200600_302600_NS6detail15normal_iteratorINSA_10device_ptrIsEEEEPS6_SG_NS0_5tupleIJNSA_16discard_iteratorINSA_11use_defaultEEESF_EEENSH_IJSG_SG_EEES6_PlJ7is_evenIsEEEE10hipError_tPvRmT3_T4_T5_T6_T7_T9_mT8_P12ihipStream_tbDpT10_ENKUlT_T0_E_clISt17integral_constantIbLb0EES19_EEDaS14_S15_EUlS14_E_NS1_11comp_targetILNS1_3genE2ELNS1_11target_archE906ELNS1_3gpuE6ELNS1_3repE0EEENS1_30default_config_static_selectorELNS0_4arch9wavefront6targetE1EEEvT1_,comdat
	.protected	_ZN7rocprim17ROCPRIM_400000_NS6detail17trampoline_kernelINS0_14default_configENS1_25partition_config_selectorILNS1_17partition_subalgoE0EsNS0_10empty_typeEbEEZZNS1_14partition_implILS5_0ELb0ES3_jN6thrust23THRUST_200600_302600_NS6detail15normal_iteratorINSA_10device_ptrIsEEEEPS6_SG_NS0_5tupleIJNSA_16discard_iteratorINSA_11use_defaultEEESF_EEENSH_IJSG_SG_EEES6_PlJ7is_evenIsEEEE10hipError_tPvRmT3_T4_T5_T6_T7_T9_mT8_P12ihipStream_tbDpT10_ENKUlT_T0_E_clISt17integral_constantIbLb0EES19_EEDaS14_S15_EUlS14_E_NS1_11comp_targetILNS1_3genE2ELNS1_11target_archE906ELNS1_3gpuE6ELNS1_3repE0EEENS1_30default_config_static_selectorELNS0_4arch9wavefront6targetE1EEEvT1_ ; -- Begin function _ZN7rocprim17ROCPRIM_400000_NS6detail17trampoline_kernelINS0_14default_configENS1_25partition_config_selectorILNS1_17partition_subalgoE0EsNS0_10empty_typeEbEEZZNS1_14partition_implILS5_0ELb0ES3_jN6thrust23THRUST_200600_302600_NS6detail15normal_iteratorINSA_10device_ptrIsEEEEPS6_SG_NS0_5tupleIJNSA_16discard_iteratorINSA_11use_defaultEEESF_EEENSH_IJSG_SG_EEES6_PlJ7is_evenIsEEEE10hipError_tPvRmT3_T4_T5_T6_T7_T9_mT8_P12ihipStream_tbDpT10_ENKUlT_T0_E_clISt17integral_constantIbLb0EES19_EEDaS14_S15_EUlS14_E_NS1_11comp_targetILNS1_3genE2ELNS1_11target_archE906ELNS1_3gpuE6ELNS1_3repE0EEENS1_30default_config_static_selectorELNS0_4arch9wavefront6targetE1EEEvT1_
	.globl	_ZN7rocprim17ROCPRIM_400000_NS6detail17trampoline_kernelINS0_14default_configENS1_25partition_config_selectorILNS1_17partition_subalgoE0EsNS0_10empty_typeEbEEZZNS1_14partition_implILS5_0ELb0ES3_jN6thrust23THRUST_200600_302600_NS6detail15normal_iteratorINSA_10device_ptrIsEEEEPS6_SG_NS0_5tupleIJNSA_16discard_iteratorINSA_11use_defaultEEESF_EEENSH_IJSG_SG_EEES6_PlJ7is_evenIsEEEE10hipError_tPvRmT3_T4_T5_T6_T7_T9_mT8_P12ihipStream_tbDpT10_ENKUlT_T0_E_clISt17integral_constantIbLb0EES19_EEDaS14_S15_EUlS14_E_NS1_11comp_targetILNS1_3genE2ELNS1_11target_archE906ELNS1_3gpuE6ELNS1_3repE0EEENS1_30default_config_static_selectorELNS0_4arch9wavefront6targetE1EEEvT1_
	.p2align	8
	.type	_ZN7rocprim17ROCPRIM_400000_NS6detail17trampoline_kernelINS0_14default_configENS1_25partition_config_selectorILNS1_17partition_subalgoE0EsNS0_10empty_typeEbEEZZNS1_14partition_implILS5_0ELb0ES3_jN6thrust23THRUST_200600_302600_NS6detail15normal_iteratorINSA_10device_ptrIsEEEEPS6_SG_NS0_5tupleIJNSA_16discard_iteratorINSA_11use_defaultEEESF_EEENSH_IJSG_SG_EEES6_PlJ7is_evenIsEEEE10hipError_tPvRmT3_T4_T5_T6_T7_T9_mT8_P12ihipStream_tbDpT10_ENKUlT_T0_E_clISt17integral_constantIbLb0EES19_EEDaS14_S15_EUlS14_E_NS1_11comp_targetILNS1_3genE2ELNS1_11target_archE906ELNS1_3gpuE6ELNS1_3repE0EEENS1_30default_config_static_selectorELNS0_4arch9wavefront6targetE1EEEvT1_,@function
_ZN7rocprim17ROCPRIM_400000_NS6detail17trampoline_kernelINS0_14default_configENS1_25partition_config_selectorILNS1_17partition_subalgoE0EsNS0_10empty_typeEbEEZZNS1_14partition_implILS5_0ELb0ES3_jN6thrust23THRUST_200600_302600_NS6detail15normal_iteratorINSA_10device_ptrIsEEEEPS6_SG_NS0_5tupleIJNSA_16discard_iteratorINSA_11use_defaultEEESF_EEENSH_IJSG_SG_EEES6_PlJ7is_evenIsEEEE10hipError_tPvRmT3_T4_T5_T6_T7_T9_mT8_P12ihipStream_tbDpT10_ENKUlT_T0_E_clISt17integral_constantIbLb0EES19_EEDaS14_S15_EUlS14_E_NS1_11comp_targetILNS1_3genE2ELNS1_11target_archE906ELNS1_3gpuE6ELNS1_3repE0EEENS1_30default_config_static_selectorELNS0_4arch9wavefront6targetE1EEEvT1_: ; @_ZN7rocprim17ROCPRIM_400000_NS6detail17trampoline_kernelINS0_14default_configENS1_25partition_config_selectorILNS1_17partition_subalgoE0EsNS0_10empty_typeEbEEZZNS1_14partition_implILS5_0ELb0ES3_jN6thrust23THRUST_200600_302600_NS6detail15normal_iteratorINSA_10device_ptrIsEEEEPS6_SG_NS0_5tupleIJNSA_16discard_iteratorINSA_11use_defaultEEESF_EEENSH_IJSG_SG_EEES6_PlJ7is_evenIsEEEE10hipError_tPvRmT3_T4_T5_T6_T7_T9_mT8_P12ihipStream_tbDpT10_ENKUlT_T0_E_clISt17integral_constantIbLb0EES19_EEDaS14_S15_EUlS14_E_NS1_11comp_targetILNS1_3genE2ELNS1_11target_archE906ELNS1_3gpuE6ELNS1_3repE0EEENS1_30default_config_static_selectorELNS0_4arch9wavefront6targetE1EEEvT1_
; %bb.0:
	.section	.rodata,"a",@progbits
	.p2align	6, 0x0
	.amdhsa_kernel _ZN7rocprim17ROCPRIM_400000_NS6detail17trampoline_kernelINS0_14default_configENS1_25partition_config_selectorILNS1_17partition_subalgoE0EsNS0_10empty_typeEbEEZZNS1_14partition_implILS5_0ELb0ES3_jN6thrust23THRUST_200600_302600_NS6detail15normal_iteratorINSA_10device_ptrIsEEEEPS6_SG_NS0_5tupleIJNSA_16discard_iteratorINSA_11use_defaultEEESF_EEENSH_IJSG_SG_EEES6_PlJ7is_evenIsEEEE10hipError_tPvRmT3_T4_T5_T6_T7_T9_mT8_P12ihipStream_tbDpT10_ENKUlT_T0_E_clISt17integral_constantIbLb0EES19_EEDaS14_S15_EUlS14_E_NS1_11comp_targetILNS1_3genE2ELNS1_11target_archE906ELNS1_3gpuE6ELNS1_3repE0EEENS1_30default_config_static_selectorELNS0_4arch9wavefront6targetE1EEEvT1_
		.amdhsa_group_segment_fixed_size 0
		.amdhsa_private_segment_fixed_size 0
		.amdhsa_kernarg_size 128
		.amdhsa_user_sgpr_count 2
		.amdhsa_user_sgpr_dispatch_ptr 0
		.amdhsa_user_sgpr_queue_ptr 0
		.amdhsa_user_sgpr_kernarg_segment_ptr 1
		.amdhsa_user_sgpr_dispatch_id 0
		.amdhsa_user_sgpr_kernarg_preload_length 0
		.amdhsa_user_sgpr_kernarg_preload_offset 0
		.amdhsa_user_sgpr_private_segment_size 0
		.amdhsa_uses_dynamic_stack 0
		.amdhsa_enable_private_segment 0
		.amdhsa_system_sgpr_workgroup_id_x 1
		.amdhsa_system_sgpr_workgroup_id_y 0
		.amdhsa_system_sgpr_workgroup_id_z 0
		.amdhsa_system_sgpr_workgroup_info 0
		.amdhsa_system_vgpr_workitem_id 0
		.amdhsa_next_free_vgpr 1
		.amdhsa_next_free_sgpr 0
		.amdhsa_accum_offset 4
		.amdhsa_reserve_vcc 0
		.amdhsa_float_round_mode_32 0
		.amdhsa_float_round_mode_16_64 0
		.amdhsa_float_denorm_mode_32 3
		.amdhsa_float_denorm_mode_16_64 3
		.amdhsa_dx10_clamp 1
		.amdhsa_ieee_mode 1
		.amdhsa_fp16_overflow 0
		.amdhsa_tg_split 0
		.amdhsa_exception_fp_ieee_invalid_op 0
		.amdhsa_exception_fp_denorm_src 0
		.amdhsa_exception_fp_ieee_div_zero 0
		.amdhsa_exception_fp_ieee_overflow 0
		.amdhsa_exception_fp_ieee_underflow 0
		.amdhsa_exception_fp_ieee_inexact 0
		.amdhsa_exception_int_div_zero 0
	.end_amdhsa_kernel
	.section	.text._ZN7rocprim17ROCPRIM_400000_NS6detail17trampoline_kernelINS0_14default_configENS1_25partition_config_selectorILNS1_17partition_subalgoE0EsNS0_10empty_typeEbEEZZNS1_14partition_implILS5_0ELb0ES3_jN6thrust23THRUST_200600_302600_NS6detail15normal_iteratorINSA_10device_ptrIsEEEEPS6_SG_NS0_5tupleIJNSA_16discard_iteratorINSA_11use_defaultEEESF_EEENSH_IJSG_SG_EEES6_PlJ7is_evenIsEEEE10hipError_tPvRmT3_T4_T5_T6_T7_T9_mT8_P12ihipStream_tbDpT10_ENKUlT_T0_E_clISt17integral_constantIbLb0EES19_EEDaS14_S15_EUlS14_E_NS1_11comp_targetILNS1_3genE2ELNS1_11target_archE906ELNS1_3gpuE6ELNS1_3repE0EEENS1_30default_config_static_selectorELNS0_4arch9wavefront6targetE1EEEvT1_,"axG",@progbits,_ZN7rocprim17ROCPRIM_400000_NS6detail17trampoline_kernelINS0_14default_configENS1_25partition_config_selectorILNS1_17partition_subalgoE0EsNS0_10empty_typeEbEEZZNS1_14partition_implILS5_0ELb0ES3_jN6thrust23THRUST_200600_302600_NS6detail15normal_iteratorINSA_10device_ptrIsEEEEPS6_SG_NS0_5tupleIJNSA_16discard_iteratorINSA_11use_defaultEEESF_EEENSH_IJSG_SG_EEES6_PlJ7is_evenIsEEEE10hipError_tPvRmT3_T4_T5_T6_T7_T9_mT8_P12ihipStream_tbDpT10_ENKUlT_T0_E_clISt17integral_constantIbLb0EES19_EEDaS14_S15_EUlS14_E_NS1_11comp_targetILNS1_3genE2ELNS1_11target_archE906ELNS1_3gpuE6ELNS1_3repE0EEENS1_30default_config_static_selectorELNS0_4arch9wavefront6targetE1EEEvT1_,comdat
.Lfunc_end2847:
	.size	_ZN7rocprim17ROCPRIM_400000_NS6detail17trampoline_kernelINS0_14default_configENS1_25partition_config_selectorILNS1_17partition_subalgoE0EsNS0_10empty_typeEbEEZZNS1_14partition_implILS5_0ELb0ES3_jN6thrust23THRUST_200600_302600_NS6detail15normal_iteratorINSA_10device_ptrIsEEEEPS6_SG_NS0_5tupleIJNSA_16discard_iteratorINSA_11use_defaultEEESF_EEENSH_IJSG_SG_EEES6_PlJ7is_evenIsEEEE10hipError_tPvRmT3_T4_T5_T6_T7_T9_mT8_P12ihipStream_tbDpT10_ENKUlT_T0_E_clISt17integral_constantIbLb0EES19_EEDaS14_S15_EUlS14_E_NS1_11comp_targetILNS1_3genE2ELNS1_11target_archE906ELNS1_3gpuE6ELNS1_3repE0EEENS1_30default_config_static_selectorELNS0_4arch9wavefront6targetE1EEEvT1_, .Lfunc_end2847-_ZN7rocprim17ROCPRIM_400000_NS6detail17trampoline_kernelINS0_14default_configENS1_25partition_config_selectorILNS1_17partition_subalgoE0EsNS0_10empty_typeEbEEZZNS1_14partition_implILS5_0ELb0ES3_jN6thrust23THRUST_200600_302600_NS6detail15normal_iteratorINSA_10device_ptrIsEEEEPS6_SG_NS0_5tupleIJNSA_16discard_iteratorINSA_11use_defaultEEESF_EEENSH_IJSG_SG_EEES6_PlJ7is_evenIsEEEE10hipError_tPvRmT3_T4_T5_T6_T7_T9_mT8_P12ihipStream_tbDpT10_ENKUlT_T0_E_clISt17integral_constantIbLb0EES19_EEDaS14_S15_EUlS14_E_NS1_11comp_targetILNS1_3genE2ELNS1_11target_archE906ELNS1_3gpuE6ELNS1_3repE0EEENS1_30default_config_static_selectorELNS0_4arch9wavefront6targetE1EEEvT1_
                                        ; -- End function
	.section	.AMDGPU.csdata,"",@progbits
; Kernel info:
; codeLenInByte = 0
; NumSgprs: 6
; NumVgprs: 0
; NumAgprs: 0
; TotalNumVgprs: 0
; ScratchSize: 0
; MemoryBound: 0
; FloatMode: 240
; IeeeMode: 1
; LDSByteSize: 0 bytes/workgroup (compile time only)
; SGPRBlocks: 0
; VGPRBlocks: 0
; NumSGPRsForWavesPerEU: 6
; NumVGPRsForWavesPerEU: 1
; AccumOffset: 4
; Occupancy: 8
; WaveLimiterHint : 0
; COMPUTE_PGM_RSRC2:SCRATCH_EN: 0
; COMPUTE_PGM_RSRC2:USER_SGPR: 2
; COMPUTE_PGM_RSRC2:TRAP_HANDLER: 0
; COMPUTE_PGM_RSRC2:TGID_X_EN: 1
; COMPUTE_PGM_RSRC2:TGID_Y_EN: 0
; COMPUTE_PGM_RSRC2:TGID_Z_EN: 0
; COMPUTE_PGM_RSRC2:TIDIG_COMP_CNT: 0
; COMPUTE_PGM_RSRC3_GFX90A:ACCUM_OFFSET: 0
; COMPUTE_PGM_RSRC3_GFX90A:TG_SPLIT: 0
	.section	.text._ZN7rocprim17ROCPRIM_400000_NS6detail17trampoline_kernelINS0_14default_configENS1_25partition_config_selectorILNS1_17partition_subalgoE0EsNS0_10empty_typeEbEEZZNS1_14partition_implILS5_0ELb0ES3_jN6thrust23THRUST_200600_302600_NS6detail15normal_iteratorINSA_10device_ptrIsEEEEPS6_SG_NS0_5tupleIJNSA_16discard_iteratorINSA_11use_defaultEEESF_EEENSH_IJSG_SG_EEES6_PlJ7is_evenIsEEEE10hipError_tPvRmT3_T4_T5_T6_T7_T9_mT8_P12ihipStream_tbDpT10_ENKUlT_T0_E_clISt17integral_constantIbLb0EES19_EEDaS14_S15_EUlS14_E_NS1_11comp_targetILNS1_3genE10ELNS1_11target_archE1200ELNS1_3gpuE4ELNS1_3repE0EEENS1_30default_config_static_selectorELNS0_4arch9wavefront6targetE1EEEvT1_,"axG",@progbits,_ZN7rocprim17ROCPRIM_400000_NS6detail17trampoline_kernelINS0_14default_configENS1_25partition_config_selectorILNS1_17partition_subalgoE0EsNS0_10empty_typeEbEEZZNS1_14partition_implILS5_0ELb0ES3_jN6thrust23THRUST_200600_302600_NS6detail15normal_iteratorINSA_10device_ptrIsEEEEPS6_SG_NS0_5tupleIJNSA_16discard_iteratorINSA_11use_defaultEEESF_EEENSH_IJSG_SG_EEES6_PlJ7is_evenIsEEEE10hipError_tPvRmT3_T4_T5_T6_T7_T9_mT8_P12ihipStream_tbDpT10_ENKUlT_T0_E_clISt17integral_constantIbLb0EES19_EEDaS14_S15_EUlS14_E_NS1_11comp_targetILNS1_3genE10ELNS1_11target_archE1200ELNS1_3gpuE4ELNS1_3repE0EEENS1_30default_config_static_selectorELNS0_4arch9wavefront6targetE1EEEvT1_,comdat
	.protected	_ZN7rocprim17ROCPRIM_400000_NS6detail17trampoline_kernelINS0_14default_configENS1_25partition_config_selectorILNS1_17partition_subalgoE0EsNS0_10empty_typeEbEEZZNS1_14partition_implILS5_0ELb0ES3_jN6thrust23THRUST_200600_302600_NS6detail15normal_iteratorINSA_10device_ptrIsEEEEPS6_SG_NS0_5tupleIJNSA_16discard_iteratorINSA_11use_defaultEEESF_EEENSH_IJSG_SG_EEES6_PlJ7is_evenIsEEEE10hipError_tPvRmT3_T4_T5_T6_T7_T9_mT8_P12ihipStream_tbDpT10_ENKUlT_T0_E_clISt17integral_constantIbLb0EES19_EEDaS14_S15_EUlS14_E_NS1_11comp_targetILNS1_3genE10ELNS1_11target_archE1200ELNS1_3gpuE4ELNS1_3repE0EEENS1_30default_config_static_selectorELNS0_4arch9wavefront6targetE1EEEvT1_ ; -- Begin function _ZN7rocprim17ROCPRIM_400000_NS6detail17trampoline_kernelINS0_14default_configENS1_25partition_config_selectorILNS1_17partition_subalgoE0EsNS0_10empty_typeEbEEZZNS1_14partition_implILS5_0ELb0ES3_jN6thrust23THRUST_200600_302600_NS6detail15normal_iteratorINSA_10device_ptrIsEEEEPS6_SG_NS0_5tupleIJNSA_16discard_iteratorINSA_11use_defaultEEESF_EEENSH_IJSG_SG_EEES6_PlJ7is_evenIsEEEE10hipError_tPvRmT3_T4_T5_T6_T7_T9_mT8_P12ihipStream_tbDpT10_ENKUlT_T0_E_clISt17integral_constantIbLb0EES19_EEDaS14_S15_EUlS14_E_NS1_11comp_targetILNS1_3genE10ELNS1_11target_archE1200ELNS1_3gpuE4ELNS1_3repE0EEENS1_30default_config_static_selectorELNS0_4arch9wavefront6targetE1EEEvT1_
	.globl	_ZN7rocprim17ROCPRIM_400000_NS6detail17trampoline_kernelINS0_14default_configENS1_25partition_config_selectorILNS1_17partition_subalgoE0EsNS0_10empty_typeEbEEZZNS1_14partition_implILS5_0ELb0ES3_jN6thrust23THRUST_200600_302600_NS6detail15normal_iteratorINSA_10device_ptrIsEEEEPS6_SG_NS0_5tupleIJNSA_16discard_iteratorINSA_11use_defaultEEESF_EEENSH_IJSG_SG_EEES6_PlJ7is_evenIsEEEE10hipError_tPvRmT3_T4_T5_T6_T7_T9_mT8_P12ihipStream_tbDpT10_ENKUlT_T0_E_clISt17integral_constantIbLb0EES19_EEDaS14_S15_EUlS14_E_NS1_11comp_targetILNS1_3genE10ELNS1_11target_archE1200ELNS1_3gpuE4ELNS1_3repE0EEENS1_30default_config_static_selectorELNS0_4arch9wavefront6targetE1EEEvT1_
	.p2align	8
	.type	_ZN7rocprim17ROCPRIM_400000_NS6detail17trampoline_kernelINS0_14default_configENS1_25partition_config_selectorILNS1_17partition_subalgoE0EsNS0_10empty_typeEbEEZZNS1_14partition_implILS5_0ELb0ES3_jN6thrust23THRUST_200600_302600_NS6detail15normal_iteratorINSA_10device_ptrIsEEEEPS6_SG_NS0_5tupleIJNSA_16discard_iteratorINSA_11use_defaultEEESF_EEENSH_IJSG_SG_EEES6_PlJ7is_evenIsEEEE10hipError_tPvRmT3_T4_T5_T6_T7_T9_mT8_P12ihipStream_tbDpT10_ENKUlT_T0_E_clISt17integral_constantIbLb0EES19_EEDaS14_S15_EUlS14_E_NS1_11comp_targetILNS1_3genE10ELNS1_11target_archE1200ELNS1_3gpuE4ELNS1_3repE0EEENS1_30default_config_static_selectorELNS0_4arch9wavefront6targetE1EEEvT1_,@function
_ZN7rocprim17ROCPRIM_400000_NS6detail17trampoline_kernelINS0_14default_configENS1_25partition_config_selectorILNS1_17partition_subalgoE0EsNS0_10empty_typeEbEEZZNS1_14partition_implILS5_0ELb0ES3_jN6thrust23THRUST_200600_302600_NS6detail15normal_iteratorINSA_10device_ptrIsEEEEPS6_SG_NS0_5tupleIJNSA_16discard_iteratorINSA_11use_defaultEEESF_EEENSH_IJSG_SG_EEES6_PlJ7is_evenIsEEEE10hipError_tPvRmT3_T4_T5_T6_T7_T9_mT8_P12ihipStream_tbDpT10_ENKUlT_T0_E_clISt17integral_constantIbLb0EES19_EEDaS14_S15_EUlS14_E_NS1_11comp_targetILNS1_3genE10ELNS1_11target_archE1200ELNS1_3gpuE4ELNS1_3repE0EEENS1_30default_config_static_selectorELNS0_4arch9wavefront6targetE1EEEvT1_: ; @_ZN7rocprim17ROCPRIM_400000_NS6detail17trampoline_kernelINS0_14default_configENS1_25partition_config_selectorILNS1_17partition_subalgoE0EsNS0_10empty_typeEbEEZZNS1_14partition_implILS5_0ELb0ES3_jN6thrust23THRUST_200600_302600_NS6detail15normal_iteratorINSA_10device_ptrIsEEEEPS6_SG_NS0_5tupleIJNSA_16discard_iteratorINSA_11use_defaultEEESF_EEENSH_IJSG_SG_EEES6_PlJ7is_evenIsEEEE10hipError_tPvRmT3_T4_T5_T6_T7_T9_mT8_P12ihipStream_tbDpT10_ENKUlT_T0_E_clISt17integral_constantIbLb0EES19_EEDaS14_S15_EUlS14_E_NS1_11comp_targetILNS1_3genE10ELNS1_11target_archE1200ELNS1_3gpuE4ELNS1_3repE0EEENS1_30default_config_static_selectorELNS0_4arch9wavefront6targetE1EEEvT1_
; %bb.0:
	.section	.rodata,"a",@progbits
	.p2align	6, 0x0
	.amdhsa_kernel _ZN7rocprim17ROCPRIM_400000_NS6detail17trampoline_kernelINS0_14default_configENS1_25partition_config_selectorILNS1_17partition_subalgoE0EsNS0_10empty_typeEbEEZZNS1_14partition_implILS5_0ELb0ES3_jN6thrust23THRUST_200600_302600_NS6detail15normal_iteratorINSA_10device_ptrIsEEEEPS6_SG_NS0_5tupleIJNSA_16discard_iteratorINSA_11use_defaultEEESF_EEENSH_IJSG_SG_EEES6_PlJ7is_evenIsEEEE10hipError_tPvRmT3_T4_T5_T6_T7_T9_mT8_P12ihipStream_tbDpT10_ENKUlT_T0_E_clISt17integral_constantIbLb0EES19_EEDaS14_S15_EUlS14_E_NS1_11comp_targetILNS1_3genE10ELNS1_11target_archE1200ELNS1_3gpuE4ELNS1_3repE0EEENS1_30default_config_static_selectorELNS0_4arch9wavefront6targetE1EEEvT1_
		.amdhsa_group_segment_fixed_size 0
		.amdhsa_private_segment_fixed_size 0
		.amdhsa_kernarg_size 128
		.amdhsa_user_sgpr_count 2
		.amdhsa_user_sgpr_dispatch_ptr 0
		.amdhsa_user_sgpr_queue_ptr 0
		.amdhsa_user_sgpr_kernarg_segment_ptr 1
		.amdhsa_user_sgpr_dispatch_id 0
		.amdhsa_user_sgpr_kernarg_preload_length 0
		.amdhsa_user_sgpr_kernarg_preload_offset 0
		.amdhsa_user_sgpr_private_segment_size 0
		.amdhsa_uses_dynamic_stack 0
		.amdhsa_enable_private_segment 0
		.amdhsa_system_sgpr_workgroup_id_x 1
		.amdhsa_system_sgpr_workgroup_id_y 0
		.amdhsa_system_sgpr_workgroup_id_z 0
		.amdhsa_system_sgpr_workgroup_info 0
		.amdhsa_system_vgpr_workitem_id 0
		.amdhsa_next_free_vgpr 1
		.amdhsa_next_free_sgpr 0
		.amdhsa_accum_offset 4
		.amdhsa_reserve_vcc 0
		.amdhsa_float_round_mode_32 0
		.amdhsa_float_round_mode_16_64 0
		.amdhsa_float_denorm_mode_32 3
		.amdhsa_float_denorm_mode_16_64 3
		.amdhsa_dx10_clamp 1
		.amdhsa_ieee_mode 1
		.amdhsa_fp16_overflow 0
		.amdhsa_tg_split 0
		.amdhsa_exception_fp_ieee_invalid_op 0
		.amdhsa_exception_fp_denorm_src 0
		.amdhsa_exception_fp_ieee_div_zero 0
		.amdhsa_exception_fp_ieee_overflow 0
		.amdhsa_exception_fp_ieee_underflow 0
		.amdhsa_exception_fp_ieee_inexact 0
		.amdhsa_exception_int_div_zero 0
	.end_amdhsa_kernel
	.section	.text._ZN7rocprim17ROCPRIM_400000_NS6detail17trampoline_kernelINS0_14default_configENS1_25partition_config_selectorILNS1_17partition_subalgoE0EsNS0_10empty_typeEbEEZZNS1_14partition_implILS5_0ELb0ES3_jN6thrust23THRUST_200600_302600_NS6detail15normal_iteratorINSA_10device_ptrIsEEEEPS6_SG_NS0_5tupleIJNSA_16discard_iteratorINSA_11use_defaultEEESF_EEENSH_IJSG_SG_EEES6_PlJ7is_evenIsEEEE10hipError_tPvRmT3_T4_T5_T6_T7_T9_mT8_P12ihipStream_tbDpT10_ENKUlT_T0_E_clISt17integral_constantIbLb0EES19_EEDaS14_S15_EUlS14_E_NS1_11comp_targetILNS1_3genE10ELNS1_11target_archE1200ELNS1_3gpuE4ELNS1_3repE0EEENS1_30default_config_static_selectorELNS0_4arch9wavefront6targetE1EEEvT1_,"axG",@progbits,_ZN7rocprim17ROCPRIM_400000_NS6detail17trampoline_kernelINS0_14default_configENS1_25partition_config_selectorILNS1_17partition_subalgoE0EsNS0_10empty_typeEbEEZZNS1_14partition_implILS5_0ELb0ES3_jN6thrust23THRUST_200600_302600_NS6detail15normal_iteratorINSA_10device_ptrIsEEEEPS6_SG_NS0_5tupleIJNSA_16discard_iteratorINSA_11use_defaultEEESF_EEENSH_IJSG_SG_EEES6_PlJ7is_evenIsEEEE10hipError_tPvRmT3_T4_T5_T6_T7_T9_mT8_P12ihipStream_tbDpT10_ENKUlT_T0_E_clISt17integral_constantIbLb0EES19_EEDaS14_S15_EUlS14_E_NS1_11comp_targetILNS1_3genE10ELNS1_11target_archE1200ELNS1_3gpuE4ELNS1_3repE0EEENS1_30default_config_static_selectorELNS0_4arch9wavefront6targetE1EEEvT1_,comdat
.Lfunc_end2848:
	.size	_ZN7rocprim17ROCPRIM_400000_NS6detail17trampoline_kernelINS0_14default_configENS1_25partition_config_selectorILNS1_17partition_subalgoE0EsNS0_10empty_typeEbEEZZNS1_14partition_implILS5_0ELb0ES3_jN6thrust23THRUST_200600_302600_NS6detail15normal_iteratorINSA_10device_ptrIsEEEEPS6_SG_NS0_5tupleIJNSA_16discard_iteratorINSA_11use_defaultEEESF_EEENSH_IJSG_SG_EEES6_PlJ7is_evenIsEEEE10hipError_tPvRmT3_T4_T5_T6_T7_T9_mT8_P12ihipStream_tbDpT10_ENKUlT_T0_E_clISt17integral_constantIbLb0EES19_EEDaS14_S15_EUlS14_E_NS1_11comp_targetILNS1_3genE10ELNS1_11target_archE1200ELNS1_3gpuE4ELNS1_3repE0EEENS1_30default_config_static_selectorELNS0_4arch9wavefront6targetE1EEEvT1_, .Lfunc_end2848-_ZN7rocprim17ROCPRIM_400000_NS6detail17trampoline_kernelINS0_14default_configENS1_25partition_config_selectorILNS1_17partition_subalgoE0EsNS0_10empty_typeEbEEZZNS1_14partition_implILS5_0ELb0ES3_jN6thrust23THRUST_200600_302600_NS6detail15normal_iteratorINSA_10device_ptrIsEEEEPS6_SG_NS0_5tupleIJNSA_16discard_iteratorINSA_11use_defaultEEESF_EEENSH_IJSG_SG_EEES6_PlJ7is_evenIsEEEE10hipError_tPvRmT3_T4_T5_T6_T7_T9_mT8_P12ihipStream_tbDpT10_ENKUlT_T0_E_clISt17integral_constantIbLb0EES19_EEDaS14_S15_EUlS14_E_NS1_11comp_targetILNS1_3genE10ELNS1_11target_archE1200ELNS1_3gpuE4ELNS1_3repE0EEENS1_30default_config_static_selectorELNS0_4arch9wavefront6targetE1EEEvT1_
                                        ; -- End function
	.section	.AMDGPU.csdata,"",@progbits
; Kernel info:
; codeLenInByte = 0
; NumSgprs: 6
; NumVgprs: 0
; NumAgprs: 0
; TotalNumVgprs: 0
; ScratchSize: 0
; MemoryBound: 0
; FloatMode: 240
; IeeeMode: 1
; LDSByteSize: 0 bytes/workgroup (compile time only)
; SGPRBlocks: 0
; VGPRBlocks: 0
; NumSGPRsForWavesPerEU: 6
; NumVGPRsForWavesPerEU: 1
; AccumOffset: 4
; Occupancy: 8
; WaveLimiterHint : 0
; COMPUTE_PGM_RSRC2:SCRATCH_EN: 0
; COMPUTE_PGM_RSRC2:USER_SGPR: 2
; COMPUTE_PGM_RSRC2:TRAP_HANDLER: 0
; COMPUTE_PGM_RSRC2:TGID_X_EN: 1
; COMPUTE_PGM_RSRC2:TGID_Y_EN: 0
; COMPUTE_PGM_RSRC2:TGID_Z_EN: 0
; COMPUTE_PGM_RSRC2:TIDIG_COMP_CNT: 0
; COMPUTE_PGM_RSRC3_GFX90A:ACCUM_OFFSET: 0
; COMPUTE_PGM_RSRC3_GFX90A:TG_SPLIT: 0
	.section	.text._ZN7rocprim17ROCPRIM_400000_NS6detail17trampoline_kernelINS0_14default_configENS1_25partition_config_selectorILNS1_17partition_subalgoE0EsNS0_10empty_typeEbEEZZNS1_14partition_implILS5_0ELb0ES3_jN6thrust23THRUST_200600_302600_NS6detail15normal_iteratorINSA_10device_ptrIsEEEEPS6_SG_NS0_5tupleIJNSA_16discard_iteratorINSA_11use_defaultEEESF_EEENSH_IJSG_SG_EEES6_PlJ7is_evenIsEEEE10hipError_tPvRmT3_T4_T5_T6_T7_T9_mT8_P12ihipStream_tbDpT10_ENKUlT_T0_E_clISt17integral_constantIbLb0EES19_EEDaS14_S15_EUlS14_E_NS1_11comp_targetILNS1_3genE9ELNS1_11target_archE1100ELNS1_3gpuE3ELNS1_3repE0EEENS1_30default_config_static_selectorELNS0_4arch9wavefront6targetE1EEEvT1_,"axG",@progbits,_ZN7rocprim17ROCPRIM_400000_NS6detail17trampoline_kernelINS0_14default_configENS1_25partition_config_selectorILNS1_17partition_subalgoE0EsNS0_10empty_typeEbEEZZNS1_14partition_implILS5_0ELb0ES3_jN6thrust23THRUST_200600_302600_NS6detail15normal_iteratorINSA_10device_ptrIsEEEEPS6_SG_NS0_5tupleIJNSA_16discard_iteratorINSA_11use_defaultEEESF_EEENSH_IJSG_SG_EEES6_PlJ7is_evenIsEEEE10hipError_tPvRmT3_T4_T5_T6_T7_T9_mT8_P12ihipStream_tbDpT10_ENKUlT_T0_E_clISt17integral_constantIbLb0EES19_EEDaS14_S15_EUlS14_E_NS1_11comp_targetILNS1_3genE9ELNS1_11target_archE1100ELNS1_3gpuE3ELNS1_3repE0EEENS1_30default_config_static_selectorELNS0_4arch9wavefront6targetE1EEEvT1_,comdat
	.protected	_ZN7rocprim17ROCPRIM_400000_NS6detail17trampoline_kernelINS0_14default_configENS1_25partition_config_selectorILNS1_17partition_subalgoE0EsNS0_10empty_typeEbEEZZNS1_14partition_implILS5_0ELb0ES3_jN6thrust23THRUST_200600_302600_NS6detail15normal_iteratorINSA_10device_ptrIsEEEEPS6_SG_NS0_5tupleIJNSA_16discard_iteratorINSA_11use_defaultEEESF_EEENSH_IJSG_SG_EEES6_PlJ7is_evenIsEEEE10hipError_tPvRmT3_T4_T5_T6_T7_T9_mT8_P12ihipStream_tbDpT10_ENKUlT_T0_E_clISt17integral_constantIbLb0EES19_EEDaS14_S15_EUlS14_E_NS1_11comp_targetILNS1_3genE9ELNS1_11target_archE1100ELNS1_3gpuE3ELNS1_3repE0EEENS1_30default_config_static_selectorELNS0_4arch9wavefront6targetE1EEEvT1_ ; -- Begin function _ZN7rocprim17ROCPRIM_400000_NS6detail17trampoline_kernelINS0_14default_configENS1_25partition_config_selectorILNS1_17partition_subalgoE0EsNS0_10empty_typeEbEEZZNS1_14partition_implILS5_0ELb0ES3_jN6thrust23THRUST_200600_302600_NS6detail15normal_iteratorINSA_10device_ptrIsEEEEPS6_SG_NS0_5tupleIJNSA_16discard_iteratorINSA_11use_defaultEEESF_EEENSH_IJSG_SG_EEES6_PlJ7is_evenIsEEEE10hipError_tPvRmT3_T4_T5_T6_T7_T9_mT8_P12ihipStream_tbDpT10_ENKUlT_T0_E_clISt17integral_constantIbLb0EES19_EEDaS14_S15_EUlS14_E_NS1_11comp_targetILNS1_3genE9ELNS1_11target_archE1100ELNS1_3gpuE3ELNS1_3repE0EEENS1_30default_config_static_selectorELNS0_4arch9wavefront6targetE1EEEvT1_
	.globl	_ZN7rocprim17ROCPRIM_400000_NS6detail17trampoline_kernelINS0_14default_configENS1_25partition_config_selectorILNS1_17partition_subalgoE0EsNS0_10empty_typeEbEEZZNS1_14partition_implILS5_0ELb0ES3_jN6thrust23THRUST_200600_302600_NS6detail15normal_iteratorINSA_10device_ptrIsEEEEPS6_SG_NS0_5tupleIJNSA_16discard_iteratorINSA_11use_defaultEEESF_EEENSH_IJSG_SG_EEES6_PlJ7is_evenIsEEEE10hipError_tPvRmT3_T4_T5_T6_T7_T9_mT8_P12ihipStream_tbDpT10_ENKUlT_T0_E_clISt17integral_constantIbLb0EES19_EEDaS14_S15_EUlS14_E_NS1_11comp_targetILNS1_3genE9ELNS1_11target_archE1100ELNS1_3gpuE3ELNS1_3repE0EEENS1_30default_config_static_selectorELNS0_4arch9wavefront6targetE1EEEvT1_
	.p2align	8
	.type	_ZN7rocprim17ROCPRIM_400000_NS6detail17trampoline_kernelINS0_14default_configENS1_25partition_config_selectorILNS1_17partition_subalgoE0EsNS0_10empty_typeEbEEZZNS1_14partition_implILS5_0ELb0ES3_jN6thrust23THRUST_200600_302600_NS6detail15normal_iteratorINSA_10device_ptrIsEEEEPS6_SG_NS0_5tupleIJNSA_16discard_iteratorINSA_11use_defaultEEESF_EEENSH_IJSG_SG_EEES6_PlJ7is_evenIsEEEE10hipError_tPvRmT3_T4_T5_T6_T7_T9_mT8_P12ihipStream_tbDpT10_ENKUlT_T0_E_clISt17integral_constantIbLb0EES19_EEDaS14_S15_EUlS14_E_NS1_11comp_targetILNS1_3genE9ELNS1_11target_archE1100ELNS1_3gpuE3ELNS1_3repE0EEENS1_30default_config_static_selectorELNS0_4arch9wavefront6targetE1EEEvT1_,@function
_ZN7rocprim17ROCPRIM_400000_NS6detail17trampoline_kernelINS0_14default_configENS1_25partition_config_selectorILNS1_17partition_subalgoE0EsNS0_10empty_typeEbEEZZNS1_14partition_implILS5_0ELb0ES3_jN6thrust23THRUST_200600_302600_NS6detail15normal_iteratorINSA_10device_ptrIsEEEEPS6_SG_NS0_5tupleIJNSA_16discard_iteratorINSA_11use_defaultEEESF_EEENSH_IJSG_SG_EEES6_PlJ7is_evenIsEEEE10hipError_tPvRmT3_T4_T5_T6_T7_T9_mT8_P12ihipStream_tbDpT10_ENKUlT_T0_E_clISt17integral_constantIbLb0EES19_EEDaS14_S15_EUlS14_E_NS1_11comp_targetILNS1_3genE9ELNS1_11target_archE1100ELNS1_3gpuE3ELNS1_3repE0EEENS1_30default_config_static_selectorELNS0_4arch9wavefront6targetE1EEEvT1_: ; @_ZN7rocprim17ROCPRIM_400000_NS6detail17trampoline_kernelINS0_14default_configENS1_25partition_config_selectorILNS1_17partition_subalgoE0EsNS0_10empty_typeEbEEZZNS1_14partition_implILS5_0ELb0ES3_jN6thrust23THRUST_200600_302600_NS6detail15normal_iteratorINSA_10device_ptrIsEEEEPS6_SG_NS0_5tupleIJNSA_16discard_iteratorINSA_11use_defaultEEESF_EEENSH_IJSG_SG_EEES6_PlJ7is_evenIsEEEE10hipError_tPvRmT3_T4_T5_T6_T7_T9_mT8_P12ihipStream_tbDpT10_ENKUlT_T0_E_clISt17integral_constantIbLb0EES19_EEDaS14_S15_EUlS14_E_NS1_11comp_targetILNS1_3genE9ELNS1_11target_archE1100ELNS1_3gpuE3ELNS1_3repE0EEENS1_30default_config_static_selectorELNS0_4arch9wavefront6targetE1EEEvT1_
; %bb.0:
	.section	.rodata,"a",@progbits
	.p2align	6, 0x0
	.amdhsa_kernel _ZN7rocprim17ROCPRIM_400000_NS6detail17trampoline_kernelINS0_14default_configENS1_25partition_config_selectorILNS1_17partition_subalgoE0EsNS0_10empty_typeEbEEZZNS1_14partition_implILS5_0ELb0ES3_jN6thrust23THRUST_200600_302600_NS6detail15normal_iteratorINSA_10device_ptrIsEEEEPS6_SG_NS0_5tupleIJNSA_16discard_iteratorINSA_11use_defaultEEESF_EEENSH_IJSG_SG_EEES6_PlJ7is_evenIsEEEE10hipError_tPvRmT3_T4_T5_T6_T7_T9_mT8_P12ihipStream_tbDpT10_ENKUlT_T0_E_clISt17integral_constantIbLb0EES19_EEDaS14_S15_EUlS14_E_NS1_11comp_targetILNS1_3genE9ELNS1_11target_archE1100ELNS1_3gpuE3ELNS1_3repE0EEENS1_30default_config_static_selectorELNS0_4arch9wavefront6targetE1EEEvT1_
		.amdhsa_group_segment_fixed_size 0
		.amdhsa_private_segment_fixed_size 0
		.amdhsa_kernarg_size 128
		.amdhsa_user_sgpr_count 2
		.amdhsa_user_sgpr_dispatch_ptr 0
		.amdhsa_user_sgpr_queue_ptr 0
		.amdhsa_user_sgpr_kernarg_segment_ptr 1
		.amdhsa_user_sgpr_dispatch_id 0
		.amdhsa_user_sgpr_kernarg_preload_length 0
		.amdhsa_user_sgpr_kernarg_preload_offset 0
		.amdhsa_user_sgpr_private_segment_size 0
		.amdhsa_uses_dynamic_stack 0
		.amdhsa_enable_private_segment 0
		.amdhsa_system_sgpr_workgroup_id_x 1
		.amdhsa_system_sgpr_workgroup_id_y 0
		.amdhsa_system_sgpr_workgroup_id_z 0
		.amdhsa_system_sgpr_workgroup_info 0
		.amdhsa_system_vgpr_workitem_id 0
		.amdhsa_next_free_vgpr 1
		.amdhsa_next_free_sgpr 0
		.amdhsa_accum_offset 4
		.amdhsa_reserve_vcc 0
		.amdhsa_float_round_mode_32 0
		.amdhsa_float_round_mode_16_64 0
		.amdhsa_float_denorm_mode_32 3
		.amdhsa_float_denorm_mode_16_64 3
		.amdhsa_dx10_clamp 1
		.amdhsa_ieee_mode 1
		.amdhsa_fp16_overflow 0
		.amdhsa_tg_split 0
		.amdhsa_exception_fp_ieee_invalid_op 0
		.amdhsa_exception_fp_denorm_src 0
		.amdhsa_exception_fp_ieee_div_zero 0
		.amdhsa_exception_fp_ieee_overflow 0
		.amdhsa_exception_fp_ieee_underflow 0
		.amdhsa_exception_fp_ieee_inexact 0
		.amdhsa_exception_int_div_zero 0
	.end_amdhsa_kernel
	.section	.text._ZN7rocprim17ROCPRIM_400000_NS6detail17trampoline_kernelINS0_14default_configENS1_25partition_config_selectorILNS1_17partition_subalgoE0EsNS0_10empty_typeEbEEZZNS1_14partition_implILS5_0ELb0ES3_jN6thrust23THRUST_200600_302600_NS6detail15normal_iteratorINSA_10device_ptrIsEEEEPS6_SG_NS0_5tupleIJNSA_16discard_iteratorINSA_11use_defaultEEESF_EEENSH_IJSG_SG_EEES6_PlJ7is_evenIsEEEE10hipError_tPvRmT3_T4_T5_T6_T7_T9_mT8_P12ihipStream_tbDpT10_ENKUlT_T0_E_clISt17integral_constantIbLb0EES19_EEDaS14_S15_EUlS14_E_NS1_11comp_targetILNS1_3genE9ELNS1_11target_archE1100ELNS1_3gpuE3ELNS1_3repE0EEENS1_30default_config_static_selectorELNS0_4arch9wavefront6targetE1EEEvT1_,"axG",@progbits,_ZN7rocprim17ROCPRIM_400000_NS6detail17trampoline_kernelINS0_14default_configENS1_25partition_config_selectorILNS1_17partition_subalgoE0EsNS0_10empty_typeEbEEZZNS1_14partition_implILS5_0ELb0ES3_jN6thrust23THRUST_200600_302600_NS6detail15normal_iteratorINSA_10device_ptrIsEEEEPS6_SG_NS0_5tupleIJNSA_16discard_iteratorINSA_11use_defaultEEESF_EEENSH_IJSG_SG_EEES6_PlJ7is_evenIsEEEE10hipError_tPvRmT3_T4_T5_T6_T7_T9_mT8_P12ihipStream_tbDpT10_ENKUlT_T0_E_clISt17integral_constantIbLb0EES19_EEDaS14_S15_EUlS14_E_NS1_11comp_targetILNS1_3genE9ELNS1_11target_archE1100ELNS1_3gpuE3ELNS1_3repE0EEENS1_30default_config_static_selectorELNS0_4arch9wavefront6targetE1EEEvT1_,comdat
.Lfunc_end2849:
	.size	_ZN7rocprim17ROCPRIM_400000_NS6detail17trampoline_kernelINS0_14default_configENS1_25partition_config_selectorILNS1_17partition_subalgoE0EsNS0_10empty_typeEbEEZZNS1_14partition_implILS5_0ELb0ES3_jN6thrust23THRUST_200600_302600_NS6detail15normal_iteratorINSA_10device_ptrIsEEEEPS6_SG_NS0_5tupleIJNSA_16discard_iteratorINSA_11use_defaultEEESF_EEENSH_IJSG_SG_EEES6_PlJ7is_evenIsEEEE10hipError_tPvRmT3_T4_T5_T6_T7_T9_mT8_P12ihipStream_tbDpT10_ENKUlT_T0_E_clISt17integral_constantIbLb0EES19_EEDaS14_S15_EUlS14_E_NS1_11comp_targetILNS1_3genE9ELNS1_11target_archE1100ELNS1_3gpuE3ELNS1_3repE0EEENS1_30default_config_static_selectorELNS0_4arch9wavefront6targetE1EEEvT1_, .Lfunc_end2849-_ZN7rocprim17ROCPRIM_400000_NS6detail17trampoline_kernelINS0_14default_configENS1_25partition_config_selectorILNS1_17partition_subalgoE0EsNS0_10empty_typeEbEEZZNS1_14partition_implILS5_0ELb0ES3_jN6thrust23THRUST_200600_302600_NS6detail15normal_iteratorINSA_10device_ptrIsEEEEPS6_SG_NS0_5tupleIJNSA_16discard_iteratorINSA_11use_defaultEEESF_EEENSH_IJSG_SG_EEES6_PlJ7is_evenIsEEEE10hipError_tPvRmT3_T4_T5_T6_T7_T9_mT8_P12ihipStream_tbDpT10_ENKUlT_T0_E_clISt17integral_constantIbLb0EES19_EEDaS14_S15_EUlS14_E_NS1_11comp_targetILNS1_3genE9ELNS1_11target_archE1100ELNS1_3gpuE3ELNS1_3repE0EEENS1_30default_config_static_selectorELNS0_4arch9wavefront6targetE1EEEvT1_
                                        ; -- End function
	.section	.AMDGPU.csdata,"",@progbits
; Kernel info:
; codeLenInByte = 0
; NumSgprs: 6
; NumVgprs: 0
; NumAgprs: 0
; TotalNumVgprs: 0
; ScratchSize: 0
; MemoryBound: 0
; FloatMode: 240
; IeeeMode: 1
; LDSByteSize: 0 bytes/workgroup (compile time only)
; SGPRBlocks: 0
; VGPRBlocks: 0
; NumSGPRsForWavesPerEU: 6
; NumVGPRsForWavesPerEU: 1
; AccumOffset: 4
; Occupancy: 8
; WaveLimiterHint : 0
; COMPUTE_PGM_RSRC2:SCRATCH_EN: 0
; COMPUTE_PGM_RSRC2:USER_SGPR: 2
; COMPUTE_PGM_RSRC2:TRAP_HANDLER: 0
; COMPUTE_PGM_RSRC2:TGID_X_EN: 1
; COMPUTE_PGM_RSRC2:TGID_Y_EN: 0
; COMPUTE_PGM_RSRC2:TGID_Z_EN: 0
; COMPUTE_PGM_RSRC2:TIDIG_COMP_CNT: 0
; COMPUTE_PGM_RSRC3_GFX90A:ACCUM_OFFSET: 0
; COMPUTE_PGM_RSRC3_GFX90A:TG_SPLIT: 0
	.section	.text._ZN7rocprim17ROCPRIM_400000_NS6detail17trampoline_kernelINS0_14default_configENS1_25partition_config_selectorILNS1_17partition_subalgoE0EsNS0_10empty_typeEbEEZZNS1_14partition_implILS5_0ELb0ES3_jN6thrust23THRUST_200600_302600_NS6detail15normal_iteratorINSA_10device_ptrIsEEEEPS6_SG_NS0_5tupleIJNSA_16discard_iteratorINSA_11use_defaultEEESF_EEENSH_IJSG_SG_EEES6_PlJ7is_evenIsEEEE10hipError_tPvRmT3_T4_T5_T6_T7_T9_mT8_P12ihipStream_tbDpT10_ENKUlT_T0_E_clISt17integral_constantIbLb0EES19_EEDaS14_S15_EUlS14_E_NS1_11comp_targetILNS1_3genE8ELNS1_11target_archE1030ELNS1_3gpuE2ELNS1_3repE0EEENS1_30default_config_static_selectorELNS0_4arch9wavefront6targetE1EEEvT1_,"axG",@progbits,_ZN7rocprim17ROCPRIM_400000_NS6detail17trampoline_kernelINS0_14default_configENS1_25partition_config_selectorILNS1_17partition_subalgoE0EsNS0_10empty_typeEbEEZZNS1_14partition_implILS5_0ELb0ES3_jN6thrust23THRUST_200600_302600_NS6detail15normal_iteratorINSA_10device_ptrIsEEEEPS6_SG_NS0_5tupleIJNSA_16discard_iteratorINSA_11use_defaultEEESF_EEENSH_IJSG_SG_EEES6_PlJ7is_evenIsEEEE10hipError_tPvRmT3_T4_T5_T6_T7_T9_mT8_P12ihipStream_tbDpT10_ENKUlT_T0_E_clISt17integral_constantIbLb0EES19_EEDaS14_S15_EUlS14_E_NS1_11comp_targetILNS1_3genE8ELNS1_11target_archE1030ELNS1_3gpuE2ELNS1_3repE0EEENS1_30default_config_static_selectorELNS0_4arch9wavefront6targetE1EEEvT1_,comdat
	.protected	_ZN7rocprim17ROCPRIM_400000_NS6detail17trampoline_kernelINS0_14default_configENS1_25partition_config_selectorILNS1_17partition_subalgoE0EsNS0_10empty_typeEbEEZZNS1_14partition_implILS5_0ELb0ES3_jN6thrust23THRUST_200600_302600_NS6detail15normal_iteratorINSA_10device_ptrIsEEEEPS6_SG_NS0_5tupleIJNSA_16discard_iteratorINSA_11use_defaultEEESF_EEENSH_IJSG_SG_EEES6_PlJ7is_evenIsEEEE10hipError_tPvRmT3_T4_T5_T6_T7_T9_mT8_P12ihipStream_tbDpT10_ENKUlT_T0_E_clISt17integral_constantIbLb0EES19_EEDaS14_S15_EUlS14_E_NS1_11comp_targetILNS1_3genE8ELNS1_11target_archE1030ELNS1_3gpuE2ELNS1_3repE0EEENS1_30default_config_static_selectorELNS0_4arch9wavefront6targetE1EEEvT1_ ; -- Begin function _ZN7rocprim17ROCPRIM_400000_NS6detail17trampoline_kernelINS0_14default_configENS1_25partition_config_selectorILNS1_17partition_subalgoE0EsNS0_10empty_typeEbEEZZNS1_14partition_implILS5_0ELb0ES3_jN6thrust23THRUST_200600_302600_NS6detail15normal_iteratorINSA_10device_ptrIsEEEEPS6_SG_NS0_5tupleIJNSA_16discard_iteratorINSA_11use_defaultEEESF_EEENSH_IJSG_SG_EEES6_PlJ7is_evenIsEEEE10hipError_tPvRmT3_T4_T5_T6_T7_T9_mT8_P12ihipStream_tbDpT10_ENKUlT_T0_E_clISt17integral_constantIbLb0EES19_EEDaS14_S15_EUlS14_E_NS1_11comp_targetILNS1_3genE8ELNS1_11target_archE1030ELNS1_3gpuE2ELNS1_3repE0EEENS1_30default_config_static_selectorELNS0_4arch9wavefront6targetE1EEEvT1_
	.globl	_ZN7rocprim17ROCPRIM_400000_NS6detail17trampoline_kernelINS0_14default_configENS1_25partition_config_selectorILNS1_17partition_subalgoE0EsNS0_10empty_typeEbEEZZNS1_14partition_implILS5_0ELb0ES3_jN6thrust23THRUST_200600_302600_NS6detail15normal_iteratorINSA_10device_ptrIsEEEEPS6_SG_NS0_5tupleIJNSA_16discard_iteratorINSA_11use_defaultEEESF_EEENSH_IJSG_SG_EEES6_PlJ7is_evenIsEEEE10hipError_tPvRmT3_T4_T5_T6_T7_T9_mT8_P12ihipStream_tbDpT10_ENKUlT_T0_E_clISt17integral_constantIbLb0EES19_EEDaS14_S15_EUlS14_E_NS1_11comp_targetILNS1_3genE8ELNS1_11target_archE1030ELNS1_3gpuE2ELNS1_3repE0EEENS1_30default_config_static_selectorELNS0_4arch9wavefront6targetE1EEEvT1_
	.p2align	8
	.type	_ZN7rocprim17ROCPRIM_400000_NS6detail17trampoline_kernelINS0_14default_configENS1_25partition_config_selectorILNS1_17partition_subalgoE0EsNS0_10empty_typeEbEEZZNS1_14partition_implILS5_0ELb0ES3_jN6thrust23THRUST_200600_302600_NS6detail15normal_iteratorINSA_10device_ptrIsEEEEPS6_SG_NS0_5tupleIJNSA_16discard_iteratorINSA_11use_defaultEEESF_EEENSH_IJSG_SG_EEES6_PlJ7is_evenIsEEEE10hipError_tPvRmT3_T4_T5_T6_T7_T9_mT8_P12ihipStream_tbDpT10_ENKUlT_T0_E_clISt17integral_constantIbLb0EES19_EEDaS14_S15_EUlS14_E_NS1_11comp_targetILNS1_3genE8ELNS1_11target_archE1030ELNS1_3gpuE2ELNS1_3repE0EEENS1_30default_config_static_selectorELNS0_4arch9wavefront6targetE1EEEvT1_,@function
_ZN7rocprim17ROCPRIM_400000_NS6detail17trampoline_kernelINS0_14default_configENS1_25partition_config_selectorILNS1_17partition_subalgoE0EsNS0_10empty_typeEbEEZZNS1_14partition_implILS5_0ELb0ES3_jN6thrust23THRUST_200600_302600_NS6detail15normal_iteratorINSA_10device_ptrIsEEEEPS6_SG_NS0_5tupleIJNSA_16discard_iteratorINSA_11use_defaultEEESF_EEENSH_IJSG_SG_EEES6_PlJ7is_evenIsEEEE10hipError_tPvRmT3_T4_T5_T6_T7_T9_mT8_P12ihipStream_tbDpT10_ENKUlT_T0_E_clISt17integral_constantIbLb0EES19_EEDaS14_S15_EUlS14_E_NS1_11comp_targetILNS1_3genE8ELNS1_11target_archE1030ELNS1_3gpuE2ELNS1_3repE0EEENS1_30default_config_static_selectorELNS0_4arch9wavefront6targetE1EEEvT1_: ; @_ZN7rocprim17ROCPRIM_400000_NS6detail17trampoline_kernelINS0_14default_configENS1_25partition_config_selectorILNS1_17partition_subalgoE0EsNS0_10empty_typeEbEEZZNS1_14partition_implILS5_0ELb0ES3_jN6thrust23THRUST_200600_302600_NS6detail15normal_iteratorINSA_10device_ptrIsEEEEPS6_SG_NS0_5tupleIJNSA_16discard_iteratorINSA_11use_defaultEEESF_EEENSH_IJSG_SG_EEES6_PlJ7is_evenIsEEEE10hipError_tPvRmT3_T4_T5_T6_T7_T9_mT8_P12ihipStream_tbDpT10_ENKUlT_T0_E_clISt17integral_constantIbLb0EES19_EEDaS14_S15_EUlS14_E_NS1_11comp_targetILNS1_3genE8ELNS1_11target_archE1030ELNS1_3gpuE2ELNS1_3repE0EEENS1_30default_config_static_selectorELNS0_4arch9wavefront6targetE1EEEvT1_
; %bb.0:
	.section	.rodata,"a",@progbits
	.p2align	6, 0x0
	.amdhsa_kernel _ZN7rocprim17ROCPRIM_400000_NS6detail17trampoline_kernelINS0_14default_configENS1_25partition_config_selectorILNS1_17partition_subalgoE0EsNS0_10empty_typeEbEEZZNS1_14partition_implILS5_0ELb0ES3_jN6thrust23THRUST_200600_302600_NS6detail15normal_iteratorINSA_10device_ptrIsEEEEPS6_SG_NS0_5tupleIJNSA_16discard_iteratorINSA_11use_defaultEEESF_EEENSH_IJSG_SG_EEES6_PlJ7is_evenIsEEEE10hipError_tPvRmT3_T4_T5_T6_T7_T9_mT8_P12ihipStream_tbDpT10_ENKUlT_T0_E_clISt17integral_constantIbLb0EES19_EEDaS14_S15_EUlS14_E_NS1_11comp_targetILNS1_3genE8ELNS1_11target_archE1030ELNS1_3gpuE2ELNS1_3repE0EEENS1_30default_config_static_selectorELNS0_4arch9wavefront6targetE1EEEvT1_
		.amdhsa_group_segment_fixed_size 0
		.amdhsa_private_segment_fixed_size 0
		.amdhsa_kernarg_size 128
		.amdhsa_user_sgpr_count 2
		.amdhsa_user_sgpr_dispatch_ptr 0
		.amdhsa_user_sgpr_queue_ptr 0
		.amdhsa_user_sgpr_kernarg_segment_ptr 1
		.amdhsa_user_sgpr_dispatch_id 0
		.amdhsa_user_sgpr_kernarg_preload_length 0
		.amdhsa_user_sgpr_kernarg_preload_offset 0
		.amdhsa_user_sgpr_private_segment_size 0
		.amdhsa_uses_dynamic_stack 0
		.amdhsa_enable_private_segment 0
		.amdhsa_system_sgpr_workgroup_id_x 1
		.amdhsa_system_sgpr_workgroup_id_y 0
		.amdhsa_system_sgpr_workgroup_id_z 0
		.amdhsa_system_sgpr_workgroup_info 0
		.amdhsa_system_vgpr_workitem_id 0
		.amdhsa_next_free_vgpr 1
		.amdhsa_next_free_sgpr 0
		.amdhsa_accum_offset 4
		.amdhsa_reserve_vcc 0
		.amdhsa_float_round_mode_32 0
		.amdhsa_float_round_mode_16_64 0
		.amdhsa_float_denorm_mode_32 3
		.amdhsa_float_denorm_mode_16_64 3
		.amdhsa_dx10_clamp 1
		.amdhsa_ieee_mode 1
		.amdhsa_fp16_overflow 0
		.amdhsa_tg_split 0
		.amdhsa_exception_fp_ieee_invalid_op 0
		.amdhsa_exception_fp_denorm_src 0
		.amdhsa_exception_fp_ieee_div_zero 0
		.amdhsa_exception_fp_ieee_overflow 0
		.amdhsa_exception_fp_ieee_underflow 0
		.amdhsa_exception_fp_ieee_inexact 0
		.amdhsa_exception_int_div_zero 0
	.end_amdhsa_kernel
	.section	.text._ZN7rocprim17ROCPRIM_400000_NS6detail17trampoline_kernelINS0_14default_configENS1_25partition_config_selectorILNS1_17partition_subalgoE0EsNS0_10empty_typeEbEEZZNS1_14partition_implILS5_0ELb0ES3_jN6thrust23THRUST_200600_302600_NS6detail15normal_iteratorINSA_10device_ptrIsEEEEPS6_SG_NS0_5tupleIJNSA_16discard_iteratorINSA_11use_defaultEEESF_EEENSH_IJSG_SG_EEES6_PlJ7is_evenIsEEEE10hipError_tPvRmT3_T4_T5_T6_T7_T9_mT8_P12ihipStream_tbDpT10_ENKUlT_T0_E_clISt17integral_constantIbLb0EES19_EEDaS14_S15_EUlS14_E_NS1_11comp_targetILNS1_3genE8ELNS1_11target_archE1030ELNS1_3gpuE2ELNS1_3repE0EEENS1_30default_config_static_selectorELNS0_4arch9wavefront6targetE1EEEvT1_,"axG",@progbits,_ZN7rocprim17ROCPRIM_400000_NS6detail17trampoline_kernelINS0_14default_configENS1_25partition_config_selectorILNS1_17partition_subalgoE0EsNS0_10empty_typeEbEEZZNS1_14partition_implILS5_0ELb0ES3_jN6thrust23THRUST_200600_302600_NS6detail15normal_iteratorINSA_10device_ptrIsEEEEPS6_SG_NS0_5tupleIJNSA_16discard_iteratorINSA_11use_defaultEEESF_EEENSH_IJSG_SG_EEES6_PlJ7is_evenIsEEEE10hipError_tPvRmT3_T4_T5_T6_T7_T9_mT8_P12ihipStream_tbDpT10_ENKUlT_T0_E_clISt17integral_constantIbLb0EES19_EEDaS14_S15_EUlS14_E_NS1_11comp_targetILNS1_3genE8ELNS1_11target_archE1030ELNS1_3gpuE2ELNS1_3repE0EEENS1_30default_config_static_selectorELNS0_4arch9wavefront6targetE1EEEvT1_,comdat
.Lfunc_end2850:
	.size	_ZN7rocprim17ROCPRIM_400000_NS6detail17trampoline_kernelINS0_14default_configENS1_25partition_config_selectorILNS1_17partition_subalgoE0EsNS0_10empty_typeEbEEZZNS1_14partition_implILS5_0ELb0ES3_jN6thrust23THRUST_200600_302600_NS6detail15normal_iteratorINSA_10device_ptrIsEEEEPS6_SG_NS0_5tupleIJNSA_16discard_iteratorINSA_11use_defaultEEESF_EEENSH_IJSG_SG_EEES6_PlJ7is_evenIsEEEE10hipError_tPvRmT3_T4_T5_T6_T7_T9_mT8_P12ihipStream_tbDpT10_ENKUlT_T0_E_clISt17integral_constantIbLb0EES19_EEDaS14_S15_EUlS14_E_NS1_11comp_targetILNS1_3genE8ELNS1_11target_archE1030ELNS1_3gpuE2ELNS1_3repE0EEENS1_30default_config_static_selectorELNS0_4arch9wavefront6targetE1EEEvT1_, .Lfunc_end2850-_ZN7rocprim17ROCPRIM_400000_NS6detail17trampoline_kernelINS0_14default_configENS1_25partition_config_selectorILNS1_17partition_subalgoE0EsNS0_10empty_typeEbEEZZNS1_14partition_implILS5_0ELb0ES3_jN6thrust23THRUST_200600_302600_NS6detail15normal_iteratorINSA_10device_ptrIsEEEEPS6_SG_NS0_5tupleIJNSA_16discard_iteratorINSA_11use_defaultEEESF_EEENSH_IJSG_SG_EEES6_PlJ7is_evenIsEEEE10hipError_tPvRmT3_T4_T5_T6_T7_T9_mT8_P12ihipStream_tbDpT10_ENKUlT_T0_E_clISt17integral_constantIbLb0EES19_EEDaS14_S15_EUlS14_E_NS1_11comp_targetILNS1_3genE8ELNS1_11target_archE1030ELNS1_3gpuE2ELNS1_3repE0EEENS1_30default_config_static_selectorELNS0_4arch9wavefront6targetE1EEEvT1_
                                        ; -- End function
	.section	.AMDGPU.csdata,"",@progbits
; Kernel info:
; codeLenInByte = 0
; NumSgprs: 6
; NumVgprs: 0
; NumAgprs: 0
; TotalNumVgprs: 0
; ScratchSize: 0
; MemoryBound: 0
; FloatMode: 240
; IeeeMode: 1
; LDSByteSize: 0 bytes/workgroup (compile time only)
; SGPRBlocks: 0
; VGPRBlocks: 0
; NumSGPRsForWavesPerEU: 6
; NumVGPRsForWavesPerEU: 1
; AccumOffset: 4
; Occupancy: 8
; WaveLimiterHint : 0
; COMPUTE_PGM_RSRC2:SCRATCH_EN: 0
; COMPUTE_PGM_RSRC2:USER_SGPR: 2
; COMPUTE_PGM_RSRC2:TRAP_HANDLER: 0
; COMPUTE_PGM_RSRC2:TGID_X_EN: 1
; COMPUTE_PGM_RSRC2:TGID_Y_EN: 0
; COMPUTE_PGM_RSRC2:TGID_Z_EN: 0
; COMPUTE_PGM_RSRC2:TIDIG_COMP_CNT: 0
; COMPUTE_PGM_RSRC3_GFX90A:ACCUM_OFFSET: 0
; COMPUTE_PGM_RSRC3_GFX90A:TG_SPLIT: 0
	.section	.text._ZN7rocprim17ROCPRIM_400000_NS6detail17trampoline_kernelINS0_14default_configENS1_25partition_config_selectorILNS1_17partition_subalgoE0EsNS0_10empty_typeEbEEZZNS1_14partition_implILS5_0ELb0ES3_jN6thrust23THRUST_200600_302600_NS6detail15normal_iteratorINSA_10device_ptrIsEEEEPS6_SG_NS0_5tupleIJNSA_16discard_iteratorINSA_11use_defaultEEESF_EEENSH_IJSG_SG_EEES6_PlJ7is_evenIsEEEE10hipError_tPvRmT3_T4_T5_T6_T7_T9_mT8_P12ihipStream_tbDpT10_ENKUlT_T0_E_clISt17integral_constantIbLb1EES19_EEDaS14_S15_EUlS14_E_NS1_11comp_targetILNS1_3genE0ELNS1_11target_archE4294967295ELNS1_3gpuE0ELNS1_3repE0EEENS1_30default_config_static_selectorELNS0_4arch9wavefront6targetE1EEEvT1_,"axG",@progbits,_ZN7rocprim17ROCPRIM_400000_NS6detail17trampoline_kernelINS0_14default_configENS1_25partition_config_selectorILNS1_17partition_subalgoE0EsNS0_10empty_typeEbEEZZNS1_14partition_implILS5_0ELb0ES3_jN6thrust23THRUST_200600_302600_NS6detail15normal_iteratorINSA_10device_ptrIsEEEEPS6_SG_NS0_5tupleIJNSA_16discard_iteratorINSA_11use_defaultEEESF_EEENSH_IJSG_SG_EEES6_PlJ7is_evenIsEEEE10hipError_tPvRmT3_T4_T5_T6_T7_T9_mT8_P12ihipStream_tbDpT10_ENKUlT_T0_E_clISt17integral_constantIbLb1EES19_EEDaS14_S15_EUlS14_E_NS1_11comp_targetILNS1_3genE0ELNS1_11target_archE4294967295ELNS1_3gpuE0ELNS1_3repE0EEENS1_30default_config_static_selectorELNS0_4arch9wavefront6targetE1EEEvT1_,comdat
	.protected	_ZN7rocprim17ROCPRIM_400000_NS6detail17trampoline_kernelINS0_14default_configENS1_25partition_config_selectorILNS1_17partition_subalgoE0EsNS0_10empty_typeEbEEZZNS1_14partition_implILS5_0ELb0ES3_jN6thrust23THRUST_200600_302600_NS6detail15normal_iteratorINSA_10device_ptrIsEEEEPS6_SG_NS0_5tupleIJNSA_16discard_iteratorINSA_11use_defaultEEESF_EEENSH_IJSG_SG_EEES6_PlJ7is_evenIsEEEE10hipError_tPvRmT3_T4_T5_T6_T7_T9_mT8_P12ihipStream_tbDpT10_ENKUlT_T0_E_clISt17integral_constantIbLb1EES19_EEDaS14_S15_EUlS14_E_NS1_11comp_targetILNS1_3genE0ELNS1_11target_archE4294967295ELNS1_3gpuE0ELNS1_3repE0EEENS1_30default_config_static_selectorELNS0_4arch9wavefront6targetE1EEEvT1_ ; -- Begin function _ZN7rocprim17ROCPRIM_400000_NS6detail17trampoline_kernelINS0_14default_configENS1_25partition_config_selectorILNS1_17partition_subalgoE0EsNS0_10empty_typeEbEEZZNS1_14partition_implILS5_0ELb0ES3_jN6thrust23THRUST_200600_302600_NS6detail15normal_iteratorINSA_10device_ptrIsEEEEPS6_SG_NS0_5tupleIJNSA_16discard_iteratorINSA_11use_defaultEEESF_EEENSH_IJSG_SG_EEES6_PlJ7is_evenIsEEEE10hipError_tPvRmT3_T4_T5_T6_T7_T9_mT8_P12ihipStream_tbDpT10_ENKUlT_T0_E_clISt17integral_constantIbLb1EES19_EEDaS14_S15_EUlS14_E_NS1_11comp_targetILNS1_3genE0ELNS1_11target_archE4294967295ELNS1_3gpuE0ELNS1_3repE0EEENS1_30default_config_static_selectorELNS0_4arch9wavefront6targetE1EEEvT1_
	.globl	_ZN7rocprim17ROCPRIM_400000_NS6detail17trampoline_kernelINS0_14default_configENS1_25partition_config_selectorILNS1_17partition_subalgoE0EsNS0_10empty_typeEbEEZZNS1_14partition_implILS5_0ELb0ES3_jN6thrust23THRUST_200600_302600_NS6detail15normal_iteratorINSA_10device_ptrIsEEEEPS6_SG_NS0_5tupleIJNSA_16discard_iteratorINSA_11use_defaultEEESF_EEENSH_IJSG_SG_EEES6_PlJ7is_evenIsEEEE10hipError_tPvRmT3_T4_T5_T6_T7_T9_mT8_P12ihipStream_tbDpT10_ENKUlT_T0_E_clISt17integral_constantIbLb1EES19_EEDaS14_S15_EUlS14_E_NS1_11comp_targetILNS1_3genE0ELNS1_11target_archE4294967295ELNS1_3gpuE0ELNS1_3repE0EEENS1_30default_config_static_selectorELNS0_4arch9wavefront6targetE1EEEvT1_
	.p2align	8
	.type	_ZN7rocprim17ROCPRIM_400000_NS6detail17trampoline_kernelINS0_14default_configENS1_25partition_config_selectorILNS1_17partition_subalgoE0EsNS0_10empty_typeEbEEZZNS1_14partition_implILS5_0ELb0ES3_jN6thrust23THRUST_200600_302600_NS6detail15normal_iteratorINSA_10device_ptrIsEEEEPS6_SG_NS0_5tupleIJNSA_16discard_iteratorINSA_11use_defaultEEESF_EEENSH_IJSG_SG_EEES6_PlJ7is_evenIsEEEE10hipError_tPvRmT3_T4_T5_T6_T7_T9_mT8_P12ihipStream_tbDpT10_ENKUlT_T0_E_clISt17integral_constantIbLb1EES19_EEDaS14_S15_EUlS14_E_NS1_11comp_targetILNS1_3genE0ELNS1_11target_archE4294967295ELNS1_3gpuE0ELNS1_3repE0EEENS1_30default_config_static_selectorELNS0_4arch9wavefront6targetE1EEEvT1_,@function
_ZN7rocprim17ROCPRIM_400000_NS6detail17trampoline_kernelINS0_14default_configENS1_25partition_config_selectorILNS1_17partition_subalgoE0EsNS0_10empty_typeEbEEZZNS1_14partition_implILS5_0ELb0ES3_jN6thrust23THRUST_200600_302600_NS6detail15normal_iteratorINSA_10device_ptrIsEEEEPS6_SG_NS0_5tupleIJNSA_16discard_iteratorINSA_11use_defaultEEESF_EEENSH_IJSG_SG_EEES6_PlJ7is_evenIsEEEE10hipError_tPvRmT3_T4_T5_T6_T7_T9_mT8_P12ihipStream_tbDpT10_ENKUlT_T0_E_clISt17integral_constantIbLb1EES19_EEDaS14_S15_EUlS14_E_NS1_11comp_targetILNS1_3genE0ELNS1_11target_archE4294967295ELNS1_3gpuE0ELNS1_3repE0EEENS1_30default_config_static_selectorELNS0_4arch9wavefront6targetE1EEEvT1_: ; @_ZN7rocprim17ROCPRIM_400000_NS6detail17trampoline_kernelINS0_14default_configENS1_25partition_config_selectorILNS1_17partition_subalgoE0EsNS0_10empty_typeEbEEZZNS1_14partition_implILS5_0ELb0ES3_jN6thrust23THRUST_200600_302600_NS6detail15normal_iteratorINSA_10device_ptrIsEEEEPS6_SG_NS0_5tupleIJNSA_16discard_iteratorINSA_11use_defaultEEESF_EEENSH_IJSG_SG_EEES6_PlJ7is_evenIsEEEE10hipError_tPvRmT3_T4_T5_T6_T7_T9_mT8_P12ihipStream_tbDpT10_ENKUlT_T0_E_clISt17integral_constantIbLb1EES19_EEDaS14_S15_EUlS14_E_NS1_11comp_targetILNS1_3genE0ELNS1_11target_archE4294967295ELNS1_3gpuE0ELNS1_3repE0EEENS1_30default_config_static_selectorELNS0_4arch9wavefront6targetE1EEEvT1_
; %bb.0:
	.section	.rodata,"a",@progbits
	.p2align	6, 0x0
	.amdhsa_kernel _ZN7rocprim17ROCPRIM_400000_NS6detail17trampoline_kernelINS0_14default_configENS1_25partition_config_selectorILNS1_17partition_subalgoE0EsNS0_10empty_typeEbEEZZNS1_14partition_implILS5_0ELb0ES3_jN6thrust23THRUST_200600_302600_NS6detail15normal_iteratorINSA_10device_ptrIsEEEEPS6_SG_NS0_5tupleIJNSA_16discard_iteratorINSA_11use_defaultEEESF_EEENSH_IJSG_SG_EEES6_PlJ7is_evenIsEEEE10hipError_tPvRmT3_T4_T5_T6_T7_T9_mT8_P12ihipStream_tbDpT10_ENKUlT_T0_E_clISt17integral_constantIbLb1EES19_EEDaS14_S15_EUlS14_E_NS1_11comp_targetILNS1_3genE0ELNS1_11target_archE4294967295ELNS1_3gpuE0ELNS1_3repE0EEENS1_30default_config_static_selectorELNS0_4arch9wavefront6targetE1EEEvT1_
		.amdhsa_group_segment_fixed_size 0
		.amdhsa_private_segment_fixed_size 0
		.amdhsa_kernarg_size 144
		.amdhsa_user_sgpr_count 2
		.amdhsa_user_sgpr_dispatch_ptr 0
		.amdhsa_user_sgpr_queue_ptr 0
		.amdhsa_user_sgpr_kernarg_segment_ptr 1
		.amdhsa_user_sgpr_dispatch_id 0
		.amdhsa_user_sgpr_kernarg_preload_length 0
		.amdhsa_user_sgpr_kernarg_preload_offset 0
		.amdhsa_user_sgpr_private_segment_size 0
		.amdhsa_uses_dynamic_stack 0
		.amdhsa_enable_private_segment 0
		.amdhsa_system_sgpr_workgroup_id_x 1
		.amdhsa_system_sgpr_workgroup_id_y 0
		.amdhsa_system_sgpr_workgroup_id_z 0
		.amdhsa_system_sgpr_workgroup_info 0
		.amdhsa_system_vgpr_workitem_id 0
		.amdhsa_next_free_vgpr 1
		.amdhsa_next_free_sgpr 0
		.amdhsa_accum_offset 4
		.amdhsa_reserve_vcc 0
		.amdhsa_float_round_mode_32 0
		.amdhsa_float_round_mode_16_64 0
		.amdhsa_float_denorm_mode_32 3
		.amdhsa_float_denorm_mode_16_64 3
		.amdhsa_dx10_clamp 1
		.amdhsa_ieee_mode 1
		.amdhsa_fp16_overflow 0
		.amdhsa_tg_split 0
		.amdhsa_exception_fp_ieee_invalid_op 0
		.amdhsa_exception_fp_denorm_src 0
		.amdhsa_exception_fp_ieee_div_zero 0
		.amdhsa_exception_fp_ieee_overflow 0
		.amdhsa_exception_fp_ieee_underflow 0
		.amdhsa_exception_fp_ieee_inexact 0
		.amdhsa_exception_int_div_zero 0
	.end_amdhsa_kernel
	.section	.text._ZN7rocprim17ROCPRIM_400000_NS6detail17trampoline_kernelINS0_14default_configENS1_25partition_config_selectorILNS1_17partition_subalgoE0EsNS0_10empty_typeEbEEZZNS1_14partition_implILS5_0ELb0ES3_jN6thrust23THRUST_200600_302600_NS6detail15normal_iteratorINSA_10device_ptrIsEEEEPS6_SG_NS0_5tupleIJNSA_16discard_iteratorINSA_11use_defaultEEESF_EEENSH_IJSG_SG_EEES6_PlJ7is_evenIsEEEE10hipError_tPvRmT3_T4_T5_T6_T7_T9_mT8_P12ihipStream_tbDpT10_ENKUlT_T0_E_clISt17integral_constantIbLb1EES19_EEDaS14_S15_EUlS14_E_NS1_11comp_targetILNS1_3genE0ELNS1_11target_archE4294967295ELNS1_3gpuE0ELNS1_3repE0EEENS1_30default_config_static_selectorELNS0_4arch9wavefront6targetE1EEEvT1_,"axG",@progbits,_ZN7rocprim17ROCPRIM_400000_NS6detail17trampoline_kernelINS0_14default_configENS1_25partition_config_selectorILNS1_17partition_subalgoE0EsNS0_10empty_typeEbEEZZNS1_14partition_implILS5_0ELb0ES3_jN6thrust23THRUST_200600_302600_NS6detail15normal_iteratorINSA_10device_ptrIsEEEEPS6_SG_NS0_5tupleIJNSA_16discard_iteratorINSA_11use_defaultEEESF_EEENSH_IJSG_SG_EEES6_PlJ7is_evenIsEEEE10hipError_tPvRmT3_T4_T5_T6_T7_T9_mT8_P12ihipStream_tbDpT10_ENKUlT_T0_E_clISt17integral_constantIbLb1EES19_EEDaS14_S15_EUlS14_E_NS1_11comp_targetILNS1_3genE0ELNS1_11target_archE4294967295ELNS1_3gpuE0ELNS1_3repE0EEENS1_30default_config_static_selectorELNS0_4arch9wavefront6targetE1EEEvT1_,comdat
.Lfunc_end2851:
	.size	_ZN7rocprim17ROCPRIM_400000_NS6detail17trampoline_kernelINS0_14default_configENS1_25partition_config_selectorILNS1_17partition_subalgoE0EsNS0_10empty_typeEbEEZZNS1_14partition_implILS5_0ELb0ES3_jN6thrust23THRUST_200600_302600_NS6detail15normal_iteratorINSA_10device_ptrIsEEEEPS6_SG_NS0_5tupleIJNSA_16discard_iteratorINSA_11use_defaultEEESF_EEENSH_IJSG_SG_EEES6_PlJ7is_evenIsEEEE10hipError_tPvRmT3_T4_T5_T6_T7_T9_mT8_P12ihipStream_tbDpT10_ENKUlT_T0_E_clISt17integral_constantIbLb1EES19_EEDaS14_S15_EUlS14_E_NS1_11comp_targetILNS1_3genE0ELNS1_11target_archE4294967295ELNS1_3gpuE0ELNS1_3repE0EEENS1_30default_config_static_selectorELNS0_4arch9wavefront6targetE1EEEvT1_, .Lfunc_end2851-_ZN7rocprim17ROCPRIM_400000_NS6detail17trampoline_kernelINS0_14default_configENS1_25partition_config_selectorILNS1_17partition_subalgoE0EsNS0_10empty_typeEbEEZZNS1_14partition_implILS5_0ELb0ES3_jN6thrust23THRUST_200600_302600_NS6detail15normal_iteratorINSA_10device_ptrIsEEEEPS6_SG_NS0_5tupleIJNSA_16discard_iteratorINSA_11use_defaultEEESF_EEENSH_IJSG_SG_EEES6_PlJ7is_evenIsEEEE10hipError_tPvRmT3_T4_T5_T6_T7_T9_mT8_P12ihipStream_tbDpT10_ENKUlT_T0_E_clISt17integral_constantIbLb1EES19_EEDaS14_S15_EUlS14_E_NS1_11comp_targetILNS1_3genE0ELNS1_11target_archE4294967295ELNS1_3gpuE0ELNS1_3repE0EEENS1_30default_config_static_selectorELNS0_4arch9wavefront6targetE1EEEvT1_
                                        ; -- End function
	.section	.AMDGPU.csdata,"",@progbits
; Kernel info:
; codeLenInByte = 0
; NumSgprs: 6
; NumVgprs: 0
; NumAgprs: 0
; TotalNumVgprs: 0
; ScratchSize: 0
; MemoryBound: 0
; FloatMode: 240
; IeeeMode: 1
; LDSByteSize: 0 bytes/workgroup (compile time only)
; SGPRBlocks: 0
; VGPRBlocks: 0
; NumSGPRsForWavesPerEU: 6
; NumVGPRsForWavesPerEU: 1
; AccumOffset: 4
; Occupancy: 8
; WaveLimiterHint : 0
; COMPUTE_PGM_RSRC2:SCRATCH_EN: 0
; COMPUTE_PGM_RSRC2:USER_SGPR: 2
; COMPUTE_PGM_RSRC2:TRAP_HANDLER: 0
; COMPUTE_PGM_RSRC2:TGID_X_EN: 1
; COMPUTE_PGM_RSRC2:TGID_Y_EN: 0
; COMPUTE_PGM_RSRC2:TGID_Z_EN: 0
; COMPUTE_PGM_RSRC2:TIDIG_COMP_CNT: 0
; COMPUTE_PGM_RSRC3_GFX90A:ACCUM_OFFSET: 0
; COMPUTE_PGM_RSRC3_GFX90A:TG_SPLIT: 0
	.section	.text._ZN7rocprim17ROCPRIM_400000_NS6detail17trampoline_kernelINS0_14default_configENS1_25partition_config_selectorILNS1_17partition_subalgoE0EsNS0_10empty_typeEbEEZZNS1_14partition_implILS5_0ELb0ES3_jN6thrust23THRUST_200600_302600_NS6detail15normal_iteratorINSA_10device_ptrIsEEEEPS6_SG_NS0_5tupleIJNSA_16discard_iteratorINSA_11use_defaultEEESF_EEENSH_IJSG_SG_EEES6_PlJ7is_evenIsEEEE10hipError_tPvRmT3_T4_T5_T6_T7_T9_mT8_P12ihipStream_tbDpT10_ENKUlT_T0_E_clISt17integral_constantIbLb1EES19_EEDaS14_S15_EUlS14_E_NS1_11comp_targetILNS1_3genE5ELNS1_11target_archE942ELNS1_3gpuE9ELNS1_3repE0EEENS1_30default_config_static_selectorELNS0_4arch9wavefront6targetE1EEEvT1_,"axG",@progbits,_ZN7rocprim17ROCPRIM_400000_NS6detail17trampoline_kernelINS0_14default_configENS1_25partition_config_selectorILNS1_17partition_subalgoE0EsNS0_10empty_typeEbEEZZNS1_14partition_implILS5_0ELb0ES3_jN6thrust23THRUST_200600_302600_NS6detail15normal_iteratorINSA_10device_ptrIsEEEEPS6_SG_NS0_5tupleIJNSA_16discard_iteratorINSA_11use_defaultEEESF_EEENSH_IJSG_SG_EEES6_PlJ7is_evenIsEEEE10hipError_tPvRmT3_T4_T5_T6_T7_T9_mT8_P12ihipStream_tbDpT10_ENKUlT_T0_E_clISt17integral_constantIbLb1EES19_EEDaS14_S15_EUlS14_E_NS1_11comp_targetILNS1_3genE5ELNS1_11target_archE942ELNS1_3gpuE9ELNS1_3repE0EEENS1_30default_config_static_selectorELNS0_4arch9wavefront6targetE1EEEvT1_,comdat
	.protected	_ZN7rocprim17ROCPRIM_400000_NS6detail17trampoline_kernelINS0_14default_configENS1_25partition_config_selectorILNS1_17partition_subalgoE0EsNS0_10empty_typeEbEEZZNS1_14partition_implILS5_0ELb0ES3_jN6thrust23THRUST_200600_302600_NS6detail15normal_iteratorINSA_10device_ptrIsEEEEPS6_SG_NS0_5tupleIJNSA_16discard_iteratorINSA_11use_defaultEEESF_EEENSH_IJSG_SG_EEES6_PlJ7is_evenIsEEEE10hipError_tPvRmT3_T4_T5_T6_T7_T9_mT8_P12ihipStream_tbDpT10_ENKUlT_T0_E_clISt17integral_constantIbLb1EES19_EEDaS14_S15_EUlS14_E_NS1_11comp_targetILNS1_3genE5ELNS1_11target_archE942ELNS1_3gpuE9ELNS1_3repE0EEENS1_30default_config_static_selectorELNS0_4arch9wavefront6targetE1EEEvT1_ ; -- Begin function _ZN7rocprim17ROCPRIM_400000_NS6detail17trampoline_kernelINS0_14default_configENS1_25partition_config_selectorILNS1_17partition_subalgoE0EsNS0_10empty_typeEbEEZZNS1_14partition_implILS5_0ELb0ES3_jN6thrust23THRUST_200600_302600_NS6detail15normal_iteratorINSA_10device_ptrIsEEEEPS6_SG_NS0_5tupleIJNSA_16discard_iteratorINSA_11use_defaultEEESF_EEENSH_IJSG_SG_EEES6_PlJ7is_evenIsEEEE10hipError_tPvRmT3_T4_T5_T6_T7_T9_mT8_P12ihipStream_tbDpT10_ENKUlT_T0_E_clISt17integral_constantIbLb1EES19_EEDaS14_S15_EUlS14_E_NS1_11comp_targetILNS1_3genE5ELNS1_11target_archE942ELNS1_3gpuE9ELNS1_3repE0EEENS1_30default_config_static_selectorELNS0_4arch9wavefront6targetE1EEEvT1_
	.globl	_ZN7rocprim17ROCPRIM_400000_NS6detail17trampoline_kernelINS0_14default_configENS1_25partition_config_selectorILNS1_17partition_subalgoE0EsNS0_10empty_typeEbEEZZNS1_14partition_implILS5_0ELb0ES3_jN6thrust23THRUST_200600_302600_NS6detail15normal_iteratorINSA_10device_ptrIsEEEEPS6_SG_NS0_5tupleIJNSA_16discard_iteratorINSA_11use_defaultEEESF_EEENSH_IJSG_SG_EEES6_PlJ7is_evenIsEEEE10hipError_tPvRmT3_T4_T5_T6_T7_T9_mT8_P12ihipStream_tbDpT10_ENKUlT_T0_E_clISt17integral_constantIbLb1EES19_EEDaS14_S15_EUlS14_E_NS1_11comp_targetILNS1_3genE5ELNS1_11target_archE942ELNS1_3gpuE9ELNS1_3repE0EEENS1_30default_config_static_selectorELNS0_4arch9wavefront6targetE1EEEvT1_
	.p2align	8
	.type	_ZN7rocprim17ROCPRIM_400000_NS6detail17trampoline_kernelINS0_14default_configENS1_25partition_config_selectorILNS1_17partition_subalgoE0EsNS0_10empty_typeEbEEZZNS1_14partition_implILS5_0ELb0ES3_jN6thrust23THRUST_200600_302600_NS6detail15normal_iteratorINSA_10device_ptrIsEEEEPS6_SG_NS0_5tupleIJNSA_16discard_iteratorINSA_11use_defaultEEESF_EEENSH_IJSG_SG_EEES6_PlJ7is_evenIsEEEE10hipError_tPvRmT3_T4_T5_T6_T7_T9_mT8_P12ihipStream_tbDpT10_ENKUlT_T0_E_clISt17integral_constantIbLb1EES19_EEDaS14_S15_EUlS14_E_NS1_11comp_targetILNS1_3genE5ELNS1_11target_archE942ELNS1_3gpuE9ELNS1_3repE0EEENS1_30default_config_static_selectorELNS0_4arch9wavefront6targetE1EEEvT1_,@function
_ZN7rocprim17ROCPRIM_400000_NS6detail17trampoline_kernelINS0_14default_configENS1_25partition_config_selectorILNS1_17partition_subalgoE0EsNS0_10empty_typeEbEEZZNS1_14partition_implILS5_0ELb0ES3_jN6thrust23THRUST_200600_302600_NS6detail15normal_iteratorINSA_10device_ptrIsEEEEPS6_SG_NS0_5tupleIJNSA_16discard_iteratorINSA_11use_defaultEEESF_EEENSH_IJSG_SG_EEES6_PlJ7is_evenIsEEEE10hipError_tPvRmT3_T4_T5_T6_T7_T9_mT8_P12ihipStream_tbDpT10_ENKUlT_T0_E_clISt17integral_constantIbLb1EES19_EEDaS14_S15_EUlS14_E_NS1_11comp_targetILNS1_3genE5ELNS1_11target_archE942ELNS1_3gpuE9ELNS1_3repE0EEENS1_30default_config_static_selectorELNS0_4arch9wavefront6targetE1EEEvT1_: ; @_ZN7rocprim17ROCPRIM_400000_NS6detail17trampoline_kernelINS0_14default_configENS1_25partition_config_selectorILNS1_17partition_subalgoE0EsNS0_10empty_typeEbEEZZNS1_14partition_implILS5_0ELb0ES3_jN6thrust23THRUST_200600_302600_NS6detail15normal_iteratorINSA_10device_ptrIsEEEEPS6_SG_NS0_5tupleIJNSA_16discard_iteratorINSA_11use_defaultEEESF_EEENSH_IJSG_SG_EEES6_PlJ7is_evenIsEEEE10hipError_tPvRmT3_T4_T5_T6_T7_T9_mT8_P12ihipStream_tbDpT10_ENKUlT_T0_E_clISt17integral_constantIbLb1EES19_EEDaS14_S15_EUlS14_E_NS1_11comp_targetILNS1_3genE5ELNS1_11target_archE942ELNS1_3gpuE9ELNS1_3repE0EEENS1_30default_config_static_selectorELNS0_4arch9wavefront6targetE1EEEvT1_
; %bb.0:
	s_load_dwordx2 s[2:3], s[0:1], 0x60
	s_load_dwordx4 s[24:27], s[0:1], 0x50
	s_load_dwordx2 s[36:37], s[0:1], 0x70
	v_cmp_eq_u32_e64 s[20:21], 0, v0
	s_and_saveexec_b64 s[4:5], s[20:21]
	s_cbranch_execz .LBB2852_4
; %bb.1:
	s_mov_b64 s[8:9], exec
	v_mbcnt_lo_u32_b32 v1, s8, 0
	v_mbcnt_hi_u32_b32 v1, s9, v1
	v_cmp_eq_u32_e32 vcc, 0, v1
                                        ; implicit-def: $vgpr2
	s_and_saveexec_b64 s[6:7], vcc
	s_cbranch_execz .LBB2852_3
; %bb.2:
	s_load_dwordx2 s[10:11], s[0:1], 0x80
	s_bcnt1_i32_b64 s8, s[8:9]
	v_mov_b32_e32 v2, 0
	v_mov_b32_e32 v3, s8
	s_waitcnt lgkmcnt(0)
	global_atomic_add v2, v2, v3, s[10:11] sc0
.LBB2852_3:
	s_or_b64 exec, exec, s[6:7]
	s_waitcnt vmcnt(0)
	v_readfirstlane_b32 s6, v2
	v_mov_b32_e32 v2, 0
	s_nop 0
	v_add_u32_e32 v1, s6, v1
	ds_write_b32 v2, v1
.LBB2852_4:
	s_or_b64 exec, exec, s[4:5]
	v_mov_b32_e32 v3, 0
	s_load_dwordx4 s[28:31], s[0:1], 0x8
	s_load_dwordx2 s[34:35], s[0:1], 0x38
	s_load_dword s4, s[0:1], 0x78
	s_waitcnt lgkmcnt(0)
	s_barrier
	ds_read_b32 v1, v3
	s_waitcnt lgkmcnt(0)
	s_barrier
	global_load_dwordx2 v[4:5], v3, s[26:27]
	v_mov_b32_e32 v7, s3
	s_lshl_b64 s[0:1], s[30:31], 1
	s_movk_i32 s3, 0x3c00
	s_add_u32 s0, s28, s0
	v_mul_lo_u32 v2, v1, s3
	s_mul_i32 s3, s4, 0x3c00
	s_addc_u32 s1, s29, s1
	s_add_i32 s5, s4, -1
	s_add_i32 s4, s3, s30
	s_sub_i32 s33, s2, s4
	s_addk_i32 s33, 0x3c00
	v_mov_b32_e32 v6, s2
	s_add_u32 s2, s30, s3
	v_readfirstlane_b32 s38, v1
	s_addc_u32 s3, s31, 0
	s_cmp_eq_u32 s38, s5
	s_cselect_b64 s[22:23], -1, 0
	s_cmp_lg_u32 s38, s5
	v_cmp_lt_u64_e32 vcc, s[2:3], v[6:7]
	s_cselect_b64 s[2:3], -1, 0
	s_or_b64 s[4:5], vcc, s[2:3]
	v_lshlrev_b64 v[6:7], 1, v[2:3]
	v_lshl_add_u64 v[8:9], s[0:1], 0, v[6:7]
	s_mov_b64 s[0:1], -1
	s_and_b64 vcc, exec, s[4:5]
	v_lshlrev_b32_e32 v2, 1, v0
	s_cbranch_vccz .LBB2852_6
; %bb.5:
	v_lshl_add_u64 v[10:11], v[8:9], 0, v[2:3]
	v_add_co_u32_e32 v12, vcc, 0x1000, v10
	s_mov_b64 s[0:1], 0
	s_nop 0
	v_addc_co_u32_e32 v13, vcc, 0, v11, vcc
	flat_load_ushort v1, v[10:11]
	flat_load_ushort v3, v[10:11] offset:1024
	flat_load_ushort v16, v[10:11] offset:2048
	flat_load_ushort v17, v[10:11] offset:3072
	flat_load_ushort v18, v[12:13]
	flat_load_ushort v19, v[12:13] offset:1024
	flat_load_ushort v20, v[12:13] offset:2048
	flat_load_ushort v21, v[12:13] offset:3072
	v_add_co_u32_e32 v12, vcc, 0x2000, v10
	s_nop 1
	v_addc_co_u32_e32 v13, vcc, 0, v11, vcc
	v_add_co_u32_e32 v14, vcc, 0x3000, v10
	s_nop 1
	v_addc_co_u32_e32 v15, vcc, 0, v11, vcc
	flat_load_ushort v22, v[12:13]
	flat_load_ushort v23, v[12:13] offset:1024
	flat_load_ushort v24, v[12:13] offset:2048
	flat_load_ushort v25, v[12:13] offset:3072
	flat_load_ushort v26, v[14:15]
	flat_load_ushort v27, v[14:15] offset:1024
	flat_load_ushort v28, v[14:15] offset:2048
	flat_load_ushort v29, v[14:15] offset:3072
	v_add_co_u32_e32 v12, vcc, 0x4000, v10
	s_nop 1
	v_addc_co_u32_e32 v13, vcc, 0, v11, vcc
	v_add_co_u32_e32 v14, vcc, 0x5000, v10
	;; [unrolled: 14-line block ×3, first 2 shown]
	s_nop 1
	v_addc_co_u32_e32 v11, vcc, 0, v11, vcc
	flat_load_ushort v14, v[12:13]
	flat_load_ushort v15, v[12:13] offset:1024
	flat_load_ushort v38, v[12:13] offset:2048
	;; [unrolled: 1-line block ×3, first 2 shown]
	flat_load_ushort v40, v[10:11]
	flat_load_ushort v41, v[10:11] offset:1024
	s_waitcnt vmcnt(0) lgkmcnt(0)
	ds_write_b16 v2, v1
	ds_write_b16 v2, v3 offset:1024
	ds_write_b16 v2, v16 offset:2048
	;; [unrolled: 1-line block ×29, first 2 shown]
	s_waitcnt lgkmcnt(0)
	s_barrier
.LBB2852_6:
	s_andn2_b64 vcc, exec, s[0:1]
	v_cmp_gt_u32_e64 s[0:1], s33, v0
	s_cbranch_vccnz .LBB2852_68
; %bb.7:
                                        ; implicit-def: $vgpr1
	s_and_saveexec_b64 s[2:3], s[0:1]
	s_cbranch_execz .LBB2852_9
; %bb.8:
	v_mov_b32_e32 v3, 0
	v_lshl_add_u64 v[10:11], v[8:9], 0, v[2:3]
	flat_load_ushort v1, v[10:11]
.LBB2852_9:
	s_or_b64 exec, exec, s[2:3]
	v_or_b32_e32 v3, 0x200, v0
	v_cmp_gt_u32_e32 vcc, s33, v3
                                        ; implicit-def: $vgpr10
	s_and_saveexec_b64 s[0:1], vcc
	s_cbranch_execz .LBB2852_11
; %bb.10:
	v_mov_b32_e32 v3, 0
	v_lshl_add_u64 v[10:11], v[8:9], 0, v[2:3]
	flat_load_ushort v10, v[10:11] offset:1024
.LBB2852_11:
	s_or_b64 exec, exec, s[0:1]
	v_or_b32_e32 v3, 0x400, v0
	v_cmp_gt_u32_e32 vcc, s33, v3
                                        ; implicit-def: $vgpr11
	s_and_saveexec_b64 s[0:1], vcc
	s_cbranch_execz .LBB2852_13
; %bb.12:
	v_mov_b32_e32 v3, 0
	v_lshl_add_u64 v[12:13], v[8:9], 0, v[2:3]
	flat_load_ushort v11, v[12:13] offset:2048
.LBB2852_13:
	s_or_b64 exec, exec, s[0:1]
	v_or_b32_e32 v3, 0x600, v0
	v_cmp_gt_u32_e32 vcc, s33, v3
                                        ; implicit-def: $vgpr3
	s_and_saveexec_b64 s[0:1], vcc
	s_cbranch_execz .LBB2852_15
; %bb.14:
	v_mov_b32_e32 v3, 0
	v_lshl_add_u64 v[12:13], v[8:9], 0, v[2:3]
	flat_load_ushort v3, v[12:13] offset:3072
.LBB2852_15:
	s_or_b64 exec, exec, s[0:1]
	v_or_b32_e32 v13, 0x800, v0
	v_cmp_gt_u32_e32 vcc, s33, v13
                                        ; implicit-def: $vgpr12
	s_and_saveexec_b64 s[0:1], vcc
	s_cbranch_execz .LBB2852_17
; %bb.16:
	v_lshlrev_b32_e32 v12, 1, v13
	v_mov_b32_e32 v13, 0
	v_lshl_add_u64 v[12:13], v[8:9], 0, v[12:13]
	flat_load_ushort v12, v[12:13]
.LBB2852_17:
	s_or_b64 exec, exec, s[0:1]
	v_or_b32_e32 v14, 0xa00, v0
	v_cmp_gt_u32_e32 vcc, s33, v14
                                        ; implicit-def: $vgpr13
	s_and_saveexec_b64 s[0:1], vcc
	s_cbranch_execz .LBB2852_19
; %bb.18:
	v_lshlrev_b32_e32 v14, 1, v14
	v_mov_b32_e32 v15, 0
	v_lshl_add_u64 v[14:15], v[8:9], 0, v[14:15]
	flat_load_ushort v13, v[14:15]
.LBB2852_19:
	s_or_b64 exec, exec, s[0:1]
	v_or_b32_e32 v15, 0xc00, v0
	v_cmp_gt_u32_e32 vcc, s33, v15
                                        ; implicit-def: $vgpr14
	s_and_saveexec_b64 s[0:1], vcc
	s_cbranch_execz .LBB2852_21
; %bb.20:
	v_lshlrev_b32_e32 v14, 1, v15
	v_mov_b32_e32 v15, 0
	v_lshl_add_u64 v[14:15], v[8:9], 0, v[14:15]
	flat_load_ushort v14, v[14:15]
.LBB2852_21:
	s_or_b64 exec, exec, s[0:1]
	v_or_b32_e32 v16, 0xe00, v0
	v_cmp_gt_u32_e32 vcc, s33, v16
                                        ; implicit-def: $vgpr15
	s_and_saveexec_b64 s[0:1], vcc
	s_cbranch_execz .LBB2852_23
; %bb.22:
	v_lshlrev_b32_e32 v16, 1, v16
	v_mov_b32_e32 v17, 0
	v_lshl_add_u64 v[16:17], v[8:9], 0, v[16:17]
	flat_load_ushort v15, v[16:17]
.LBB2852_23:
	s_or_b64 exec, exec, s[0:1]
	v_or_b32_e32 v17, 0x1000, v0
	v_cmp_gt_u32_e32 vcc, s33, v17
                                        ; implicit-def: $vgpr16
	s_and_saveexec_b64 s[0:1], vcc
	s_cbranch_execz .LBB2852_25
; %bb.24:
	v_lshlrev_b32_e32 v16, 1, v17
	v_mov_b32_e32 v17, 0
	v_lshl_add_u64 v[16:17], v[8:9], 0, v[16:17]
	flat_load_ushort v16, v[16:17]
.LBB2852_25:
	s_or_b64 exec, exec, s[0:1]
	v_or_b32_e32 v18, 0x1200, v0
	v_cmp_gt_u32_e32 vcc, s33, v18
                                        ; implicit-def: $vgpr17
	s_and_saveexec_b64 s[0:1], vcc
	s_cbranch_execz .LBB2852_27
; %bb.26:
	v_lshlrev_b32_e32 v18, 1, v18
	v_mov_b32_e32 v19, 0
	v_lshl_add_u64 v[18:19], v[8:9], 0, v[18:19]
	flat_load_ushort v17, v[18:19]
.LBB2852_27:
	s_or_b64 exec, exec, s[0:1]
	v_or_b32_e32 v19, 0x1400, v0
	v_cmp_gt_u32_e32 vcc, s33, v19
                                        ; implicit-def: $vgpr18
	s_and_saveexec_b64 s[0:1], vcc
	s_cbranch_execz .LBB2852_29
; %bb.28:
	v_lshlrev_b32_e32 v18, 1, v19
	v_mov_b32_e32 v19, 0
	v_lshl_add_u64 v[18:19], v[8:9], 0, v[18:19]
	flat_load_ushort v18, v[18:19]
.LBB2852_29:
	s_or_b64 exec, exec, s[0:1]
	v_or_b32_e32 v20, 0x1600, v0
	v_cmp_gt_u32_e32 vcc, s33, v20
                                        ; implicit-def: $vgpr19
	s_and_saveexec_b64 s[0:1], vcc
	s_cbranch_execz .LBB2852_31
; %bb.30:
	v_lshlrev_b32_e32 v20, 1, v20
	v_mov_b32_e32 v21, 0
	v_lshl_add_u64 v[20:21], v[8:9], 0, v[20:21]
	flat_load_ushort v19, v[20:21]
.LBB2852_31:
	s_or_b64 exec, exec, s[0:1]
	v_or_b32_e32 v21, 0x1800, v0
	v_cmp_gt_u32_e32 vcc, s33, v21
                                        ; implicit-def: $vgpr20
	s_and_saveexec_b64 s[0:1], vcc
	s_cbranch_execz .LBB2852_33
; %bb.32:
	v_lshlrev_b32_e32 v20, 1, v21
	v_mov_b32_e32 v21, 0
	v_lshl_add_u64 v[20:21], v[8:9], 0, v[20:21]
	flat_load_ushort v20, v[20:21]
.LBB2852_33:
	s_or_b64 exec, exec, s[0:1]
	v_or_b32_e32 v22, 0x1a00, v0
	v_cmp_gt_u32_e32 vcc, s33, v22
                                        ; implicit-def: $vgpr21
	s_and_saveexec_b64 s[0:1], vcc
	s_cbranch_execz .LBB2852_35
; %bb.34:
	v_lshlrev_b32_e32 v22, 1, v22
	v_mov_b32_e32 v23, 0
	v_lshl_add_u64 v[22:23], v[8:9], 0, v[22:23]
	flat_load_ushort v21, v[22:23]
.LBB2852_35:
	s_or_b64 exec, exec, s[0:1]
	v_or_b32_e32 v23, 0x1c00, v0
	v_cmp_gt_u32_e32 vcc, s33, v23
                                        ; implicit-def: $vgpr22
	s_and_saveexec_b64 s[0:1], vcc
	s_cbranch_execz .LBB2852_37
; %bb.36:
	v_lshlrev_b32_e32 v22, 1, v23
	v_mov_b32_e32 v23, 0
	v_lshl_add_u64 v[22:23], v[8:9], 0, v[22:23]
	flat_load_ushort v22, v[22:23]
.LBB2852_37:
	s_or_b64 exec, exec, s[0:1]
	v_or_b32_e32 v24, 0x1e00, v0
	v_cmp_gt_u32_e32 vcc, s33, v24
                                        ; implicit-def: $vgpr23
	s_and_saveexec_b64 s[0:1], vcc
	s_cbranch_execz .LBB2852_39
; %bb.38:
	v_lshlrev_b32_e32 v24, 1, v24
	v_mov_b32_e32 v25, 0
	v_lshl_add_u64 v[24:25], v[8:9], 0, v[24:25]
	flat_load_ushort v23, v[24:25]
.LBB2852_39:
	s_or_b64 exec, exec, s[0:1]
	v_or_b32_e32 v25, 0x2000, v0
	v_cmp_gt_u32_e32 vcc, s33, v25
                                        ; implicit-def: $vgpr24
	s_and_saveexec_b64 s[0:1], vcc
	s_cbranch_execz .LBB2852_41
; %bb.40:
	v_lshlrev_b32_e32 v24, 1, v25
	v_mov_b32_e32 v25, 0
	v_lshl_add_u64 v[24:25], v[8:9], 0, v[24:25]
	flat_load_ushort v24, v[24:25]
.LBB2852_41:
	s_or_b64 exec, exec, s[0:1]
	v_or_b32_e32 v26, 0x2200, v0
	v_cmp_gt_u32_e32 vcc, s33, v26
                                        ; implicit-def: $vgpr25
	s_and_saveexec_b64 s[0:1], vcc
	s_cbranch_execz .LBB2852_43
; %bb.42:
	v_lshlrev_b32_e32 v26, 1, v26
	v_mov_b32_e32 v27, 0
	v_lshl_add_u64 v[26:27], v[8:9], 0, v[26:27]
	flat_load_ushort v25, v[26:27]
.LBB2852_43:
	s_or_b64 exec, exec, s[0:1]
	v_or_b32_e32 v27, 0x2400, v0
	v_cmp_gt_u32_e32 vcc, s33, v27
                                        ; implicit-def: $vgpr26
	s_and_saveexec_b64 s[0:1], vcc
	s_cbranch_execz .LBB2852_45
; %bb.44:
	v_lshlrev_b32_e32 v26, 1, v27
	v_mov_b32_e32 v27, 0
	v_lshl_add_u64 v[26:27], v[8:9], 0, v[26:27]
	flat_load_ushort v26, v[26:27]
.LBB2852_45:
	s_or_b64 exec, exec, s[0:1]
	v_or_b32_e32 v28, 0x2600, v0
	v_cmp_gt_u32_e32 vcc, s33, v28
                                        ; implicit-def: $vgpr27
	s_and_saveexec_b64 s[0:1], vcc
	s_cbranch_execz .LBB2852_47
; %bb.46:
	v_lshlrev_b32_e32 v28, 1, v28
	v_mov_b32_e32 v29, 0
	v_lshl_add_u64 v[28:29], v[8:9], 0, v[28:29]
	flat_load_ushort v27, v[28:29]
.LBB2852_47:
	s_or_b64 exec, exec, s[0:1]
	v_or_b32_e32 v29, 0x2800, v0
	v_cmp_gt_u32_e32 vcc, s33, v29
                                        ; implicit-def: $vgpr28
	s_and_saveexec_b64 s[0:1], vcc
	s_cbranch_execz .LBB2852_49
; %bb.48:
	v_lshlrev_b32_e32 v28, 1, v29
	v_mov_b32_e32 v29, 0
	v_lshl_add_u64 v[28:29], v[8:9], 0, v[28:29]
	flat_load_ushort v28, v[28:29]
.LBB2852_49:
	s_or_b64 exec, exec, s[0:1]
	v_or_b32_e32 v30, 0x2a00, v0
	v_cmp_gt_u32_e32 vcc, s33, v30
                                        ; implicit-def: $vgpr29
	s_and_saveexec_b64 s[0:1], vcc
	s_cbranch_execz .LBB2852_51
; %bb.50:
	v_lshlrev_b32_e32 v30, 1, v30
	v_mov_b32_e32 v31, 0
	v_lshl_add_u64 v[30:31], v[8:9], 0, v[30:31]
	flat_load_ushort v29, v[30:31]
.LBB2852_51:
	s_or_b64 exec, exec, s[0:1]
	v_or_b32_e32 v31, 0x2c00, v0
	v_cmp_gt_u32_e32 vcc, s33, v31
                                        ; implicit-def: $vgpr30
	s_and_saveexec_b64 s[0:1], vcc
	s_cbranch_execz .LBB2852_53
; %bb.52:
	v_lshlrev_b32_e32 v30, 1, v31
	v_mov_b32_e32 v31, 0
	v_lshl_add_u64 v[30:31], v[8:9], 0, v[30:31]
	flat_load_ushort v30, v[30:31]
.LBB2852_53:
	s_or_b64 exec, exec, s[0:1]
	v_or_b32_e32 v32, 0x2e00, v0
	v_cmp_gt_u32_e32 vcc, s33, v32
                                        ; implicit-def: $vgpr31
	s_and_saveexec_b64 s[0:1], vcc
	s_cbranch_execz .LBB2852_55
; %bb.54:
	v_lshlrev_b32_e32 v32, 1, v32
	v_mov_b32_e32 v33, 0
	v_lshl_add_u64 v[32:33], v[8:9], 0, v[32:33]
	flat_load_ushort v31, v[32:33]
.LBB2852_55:
	s_or_b64 exec, exec, s[0:1]
	v_or_b32_e32 v33, 0x3000, v0
	v_cmp_gt_u32_e32 vcc, s33, v33
                                        ; implicit-def: $vgpr32
	s_and_saveexec_b64 s[0:1], vcc
	s_cbranch_execz .LBB2852_57
; %bb.56:
	v_lshlrev_b32_e32 v32, 1, v33
	v_mov_b32_e32 v33, 0
	v_lshl_add_u64 v[32:33], v[8:9], 0, v[32:33]
	flat_load_ushort v32, v[32:33]
.LBB2852_57:
	s_or_b64 exec, exec, s[0:1]
	v_or_b32_e32 v34, 0x3200, v0
	v_cmp_gt_u32_e32 vcc, s33, v34
                                        ; implicit-def: $vgpr33
	s_and_saveexec_b64 s[0:1], vcc
	s_cbranch_execz .LBB2852_59
; %bb.58:
	v_lshlrev_b32_e32 v34, 1, v34
	v_mov_b32_e32 v35, 0
	v_lshl_add_u64 v[34:35], v[8:9], 0, v[34:35]
	flat_load_ushort v33, v[34:35]
.LBB2852_59:
	s_or_b64 exec, exec, s[0:1]
	v_or_b32_e32 v35, 0x3400, v0
	v_cmp_gt_u32_e32 vcc, s33, v35
                                        ; implicit-def: $vgpr34
	s_and_saveexec_b64 s[0:1], vcc
	s_cbranch_execz .LBB2852_61
; %bb.60:
	v_lshlrev_b32_e32 v34, 1, v35
	v_mov_b32_e32 v35, 0
	v_lshl_add_u64 v[34:35], v[8:9], 0, v[34:35]
	flat_load_ushort v34, v[34:35]
.LBB2852_61:
	s_or_b64 exec, exec, s[0:1]
	v_or_b32_e32 v36, 0x3600, v0
	v_cmp_gt_u32_e32 vcc, s33, v36
                                        ; implicit-def: $vgpr35
	s_and_saveexec_b64 s[0:1], vcc
	s_cbranch_execz .LBB2852_63
; %bb.62:
	v_lshlrev_b32_e32 v36, 1, v36
	v_mov_b32_e32 v37, 0
	v_lshl_add_u64 v[36:37], v[8:9], 0, v[36:37]
	flat_load_ushort v35, v[36:37]
.LBB2852_63:
	s_or_b64 exec, exec, s[0:1]
	v_or_b32_e32 v37, 0x3800, v0
	v_cmp_gt_u32_e32 vcc, s33, v37
                                        ; implicit-def: $vgpr36
	s_and_saveexec_b64 s[0:1], vcc
	s_cbranch_execz .LBB2852_65
; %bb.64:
	v_lshlrev_b32_e32 v36, 1, v37
	v_mov_b32_e32 v37, 0
	v_lshl_add_u64 v[36:37], v[8:9], 0, v[36:37]
	flat_load_ushort v36, v[36:37]
.LBB2852_65:
	s_or_b64 exec, exec, s[0:1]
	v_or_b32_e32 v38, 0x3a00, v0
	v_cmp_gt_u32_e32 vcc, s33, v38
                                        ; implicit-def: $vgpr37
	s_and_saveexec_b64 s[0:1], vcc
	s_cbranch_execz .LBB2852_67
; %bb.66:
	v_lshlrev_b32_e32 v38, 1, v38
	v_mov_b32_e32 v39, 0
	v_lshl_add_u64 v[8:9], v[8:9], 0, v[38:39]
	flat_load_ushort v37, v[8:9]
.LBB2852_67:
	s_or_b64 exec, exec, s[0:1]
	s_waitcnt vmcnt(0) lgkmcnt(0)
	ds_write_b16 v2, v1
	ds_write_b16 v2, v10 offset:1024
	ds_write_b16 v2, v11 offset:2048
	;; [unrolled: 1-line block ×29, first 2 shown]
	s_waitcnt lgkmcnt(0)
	s_barrier
.LBB2852_68:
	v_mul_u32_u24_e32 v44, 30, v0
	v_lshlrev_b32_e32 v8, 1, v44
	ds_read_b32 v3, v8 offset:56
	ds_read2_b32 v[10:11], v8 offset0:12 offset1:13
	ds_read2_b32 v[12:13], v8 offset0:10 offset1:11
	;; [unrolled: 1-line block ×3, first 2 shown]
	ds_read2_b32 v[22:23], v8 offset1:1
	ds_read2_b32 v[20:21], v8 offset0:2 offset1:3
	ds_read2_b32 v[18:19], v8 offset0:4 offset1:5
	;; [unrolled: 1-line block ×3, first 2 shown]
	s_waitcnt lgkmcnt(7)
	v_lshrrev_b32_e32 v1, 16, v3
	s_waitcnt lgkmcnt(6)
	v_lshrrev_b32_e32 v33, 16, v10
	v_lshrrev_b32_e32 v32, 16, v11
	s_waitcnt lgkmcnt(5)
	v_lshrrev_b32_e32 v35, 16, v12
	;; [unrolled: 3-line block ×6, first 2 shown]
	v_lshrrev_b32_e32 v38, 16, v17
	v_lshrrev_b32_e32 v37, 16, v14
	;; [unrolled: 1-line block ×3, first 2 shown]
	v_cndmask_b32_e64 v8, 0, 1, s[4:5]
	v_cmp_ne_u32_e64 s[2:3], 1, v8
	s_andn2_b64 vcc, exec, s[4:5]
	v_xor_b32_e32 v96, -1, v22
	v_xor_b32_e32 v95, -1, v46
	;; [unrolled: 1-line block ×30, first 2 shown]
	s_barrier
	s_cbranch_vccnz .LBB2852_70
; %bb.69:
	v_and_b32_e32 v76, 1, v96
	v_and_b32_e32 v75, 1, v95
	;; [unrolled: 1-line block ×30, first 2 shown]
	s_cbranch_execz .LBB2852_71
	s_branch .LBB2852_72
.LBB2852_70:
                                        ; implicit-def: $vgpr76
                                        ; implicit-def: $vgpr75
                                        ; implicit-def: $vgpr74
                                        ; implicit-def: $vgpr73
                                        ; implicit-def: $vgpr72
                                        ; implicit-def: $vgpr71
                                        ; implicit-def: $vgpr70
                                        ; implicit-def: $vgpr69
                                        ; implicit-def: $vgpr68
                                        ; implicit-def: $vgpr67
                                        ; implicit-def: $vgpr66
                                        ; implicit-def: $vgpr65
                                        ; implicit-def: $vgpr64
                                        ; implicit-def: $vgpr63
                                        ; implicit-def: $vgpr62
                                        ; implicit-def: $vgpr61
                                        ; implicit-def: $vgpr60
                                        ; implicit-def: $vgpr59
                                        ; implicit-def: $vgpr58
                                        ; implicit-def: $vgpr57
                                        ; implicit-def: $vgpr56
                                        ; implicit-def: $vgpr55
                                        ; implicit-def: $vgpr54
                                        ; implicit-def: $vgpr53
                                        ; implicit-def: $vgpr52
                                        ; implicit-def: $vgpr51
                                        ; implicit-def: $vgpr50
                                        ; implicit-def: $vgpr49
                                        ; implicit-def: $vgpr47
                                        ; implicit-def: $vgpr48
.LBB2852_71:
	v_or_b32_e32 v56, 1, v44
	v_cmp_gt_u32_e32 vcc, s33, v44
	v_add_u32_e32 v57, 2, v44
	v_add_u32_e32 v58, 3, v44
	v_cndmask_b32_e64 v66, 0, 1, vcc
	v_cmp_gt_u32_e32 vcc, s33, v56
	v_add_u32_e32 v59, 4, v44
	v_add_u32_e32 v60, 5, v44
	v_cndmask_b32_e64 v56, 0, 1, vcc
	v_cmp_gt_u32_e32 vcc, s33, v57
	v_and_b32_e32 v75, v56, v95
	v_add_u32_e32 v61, 6, v44
	v_cndmask_b32_e64 v56, 0, 1, vcc
	v_cmp_gt_u32_e32 vcc, s33, v58
	v_and_b32_e32 v74, v56, v94
	;; [unrolled: 4-line block ×9, first 2 shown]
	v_and_b32_e32 v76, v66, v96
	v_cndmask_b32_e64 v56, 0, 1, vcc
	v_cmp_gt_u32_e32 vcc, s33, v97
	v_and_b32_e32 v66, v56, v86
	v_add_u32_e32 v100, 14, v44
	v_cndmask_b32_e64 v56, 0, 1, vcc
	v_cmp_gt_u32_e32 vcc, s33, v98
	v_and_b32_e32 v65, v56, v85
	v_add_u32_e32 v101, 15, v44
	;; [unrolled: 4-line block ×16, first 2 shown]
	v_cndmask_b32_e64 v26, 0, 1, vcc
	v_cmp_gt_u32_e32 vcc, s33, v49
	v_and_b32_e32 v50, v26, v25
	s_nop 0
	v_cndmask_b32_e64 v25, 0, 1, vcc
	v_cmp_gt_u32_e32 vcc, s33, v47
	v_and_b32_e32 v49, v25, v24
	s_nop 0
	;; [unrolled: 4-line block ×3, first 2 shown]
	v_cndmask_b32_e64 v9, 0, 1, vcc
	v_and_b32_e32 v48, v9, v8
.LBB2852_72:
	v_and_b32_e32 v103, 0xff, v50
	v_and_b32_e32 v104, 0xff, v49
	v_add_u32_sdwa v8, v47, v48 dst_sel:DWORD dst_unused:UNUSED_PAD src0_sel:BYTE_0 src1_sel:BYTE_0
	v_and_b32_e32 v101, 0xff, v52
	v_and_b32_e32 v102, 0xff, v51
	v_add3_u32 v8, v8, v104, v103
	v_and_b32_e32 v99, 0xff, v54
	v_and_b32_e32 v100, 0xff, v53
	v_add3_u32 v8, v8, v102, v101
	;; [unrolled: 3-line block ×13, first 2 shown]
	v_add3_u32 v107, v8, v78, v77
	v_mbcnt_lo_u32_b32 v8, -1, 0
	v_mbcnt_hi_u32_b32 v105, -1, v8
	v_and_b32_e32 v8, 15, v105
	v_cmp_eq_u32_e64 s[16:17], 0, v8
	v_cmp_lt_u32_e64 s[14:15], 1, v8
	v_cmp_lt_u32_e64 s[12:13], 3, v8
	;; [unrolled: 1-line block ×3, first 2 shown]
	v_and_b32_e32 v8, 16, v105
	v_cmp_eq_u32_e64 s[8:9], 0, v8
	v_or_b32_e32 v8, 63, v0
	s_cmp_lg_u32 s38, 0
	v_cmp_lt_u32_e64 s[4:5], 31, v105
	v_lshrrev_b32_e32 v106, 6, v0
	v_cmp_eq_u32_e64 s[6:7], v8, v0
	s_cbranch_scc0 .LBB2852_103
; %bb.73:
	v_mov_b32_dpp v8, v107 row_shr:1 row_mask:0xf bank_mask:0xf
	v_cndmask_b32_e64 v8, v8, 0, s[16:17]
	v_add_u32_e32 v8, v8, v107
	s_nop 1
	v_mov_b32_dpp v9, v8 row_shr:2 row_mask:0xf bank_mask:0xf
	v_cndmask_b32_e64 v9, 0, v9, s[14:15]
	v_add_u32_e32 v8, v8, v9
	s_nop 1
	;; [unrolled: 4-line block ×4, first 2 shown]
	v_mov_b32_dpp v9, v8 row_bcast:15 row_mask:0xf bank_mask:0xf
	v_cndmask_b32_e64 v9, v9, 0, s[8:9]
	v_add_u32_e32 v8, v8, v9
	s_nop 1
	v_mov_b32_dpp v9, v8 row_bcast:31 row_mask:0xf bank_mask:0xf
	v_cndmask_b32_e64 v9, 0, v9, s[4:5]
	v_add_u32_e32 v8, v8, v9
	s_and_saveexec_b64 s[0:1], s[6:7]
	s_cbranch_execz .LBB2852_75
; %bb.74:
	v_lshlrev_b32_e32 v9, 2, v106
	ds_write_b32 v9, v8
.LBB2852_75:
	s_or_b64 exec, exec, s[0:1]
	v_cmp_gt_u32_e32 vcc, 8, v0
	s_waitcnt lgkmcnt(0)
	s_barrier
	s_and_saveexec_b64 s[0:1], vcc
	s_cbranch_execz .LBB2852_77
; %bb.76:
	v_lshlrev_b32_e32 v9, 2, v0
	ds_read_b32 v24, v9
	v_and_b32_e32 v25, 7, v105
	v_cmp_ne_u32_e32 vcc, 0, v25
	s_waitcnt lgkmcnt(0)
	v_mov_b32_dpp v26, v24 row_shr:1 row_mask:0xf bank_mask:0xf
	v_cndmask_b32_e32 v26, 0, v26, vcc
	v_add_u32_e32 v24, v26, v24
	v_cmp_lt_u32_e32 vcc, 1, v25
	s_nop 0
	v_mov_b32_dpp v26, v24 row_shr:2 row_mask:0xf bank_mask:0xf
	v_cndmask_b32_e32 v26, 0, v26, vcc
	v_add_u32_e32 v24, v24, v26
	v_cmp_lt_u32_e32 vcc, 3, v25
	s_nop 0
	v_mov_b32_dpp v26, v24 row_shr:4 row_mask:0xf bank_mask:0xf
	v_cndmask_b32_e32 v25, 0, v26, vcc
	v_add_u32_e32 v24, v24, v25
	ds_write_b32 v9, v24
.LBB2852_77:
	s_or_b64 exec, exec, s[0:1]
	v_cmp_gt_u32_e32 vcc, 64, v0
	v_cmp_lt_u32_e64 s[0:1], 63, v0
	s_waitcnt lgkmcnt(0)
	s_barrier
	s_waitcnt lgkmcnt(0)
                                        ; implicit-def: $vgpr108
	s_and_saveexec_b64 s[18:19], s[0:1]
	s_cbranch_execz .LBB2852_79
; %bb.78:
	v_lshl_add_u32 v9, v106, 2, -4
	ds_read_b32 v108, v9
	s_waitcnt lgkmcnt(0)
	v_add_u32_e32 v8, v108, v8
.LBB2852_79:
	s_or_b64 exec, exec, s[18:19]
	v_add_u32_e32 v9, -1, v105
	v_and_b32_e32 v24, 64, v105
	v_cmp_lt_i32_e64 s[0:1], v9, v24
	v_cmp_eq_u32_e64 s[18:19], 0, v105
	s_nop 0
	v_cndmask_b32_e64 v9, v9, v105, s[0:1]
	v_lshlrev_b32_e32 v9, 2, v9
	ds_bpermute_b32 v109, v9, v8
	s_and_saveexec_b64 s[0:1], vcc
	s_cbranch_execz .LBB2852_102
; %bb.80:
	v_mov_b32_e32 v31, 0
	ds_read_b32 v8, v31 offset:28
	s_and_saveexec_b64 s[26:27], s[18:19]
	s_cbranch_execz .LBB2852_82
; %bb.81:
	s_add_i32 s28, s38, 64
	s_mov_b32 s29, 0
	s_lshl_b64 s[28:29], s[28:29], 3
	s_add_u32 s28, s36, s28
	v_mov_b32_e32 v9, 1
	s_addc_u32 s29, s37, s29
	s_waitcnt lgkmcnt(0)
	global_store_dwordx2 v31, v[8:9], s[28:29] sc1
.LBB2852_82:
	s_or_b64 exec, exec, s[26:27]
	v_xad_u32 v24, v105, -1, s38
	v_add_u32_e32 v30, 64, v24
	v_lshl_add_u64 v[26:27], v[30:31], 3, s[36:37]
	global_load_dwordx2 v[28:29], v[26:27], off sc1
	s_waitcnt vmcnt(0)
	v_cmp_eq_u16_sdwa s[28:29], v29, v31 src0_sel:BYTE_0 src1_sel:DWORD
	s_and_saveexec_b64 s[26:27], s[28:29]
	s_cbranch_execz .LBB2852_88
; %bb.83:
	s_mov_b32 s39, 1
	s_mov_b64 s[28:29], 0
	v_mov_b32_e32 v9, 0
.LBB2852_84:                            ; =>This Loop Header: Depth=1
                                        ;     Child Loop BB2852_85 Depth 2
	s_max_u32 s40, s39, 1
.LBB2852_85:                            ;   Parent Loop BB2852_84 Depth=1
                                        ; =>  This Inner Loop Header: Depth=2
	s_add_i32 s40, s40, -1
	s_cmp_eq_u32 s40, 0
	s_sleep 1
	s_cbranch_scc0 .LBB2852_85
; %bb.86:                               ;   in Loop: Header=BB2852_84 Depth=1
	global_load_dwordx2 v[28:29], v[26:27], off sc1
	s_cmp_lt_u32 s39, 32
	s_cselect_b64 s[40:41], -1, 0
	s_cmp_lg_u64 s[40:41], 0
	s_addc_u32 s39, s39, 0
	s_waitcnt vmcnt(0)
	v_cmp_ne_u16_sdwa s[40:41], v29, v9 src0_sel:BYTE_0 src1_sel:DWORD
	s_or_b64 s[28:29], s[40:41], s[28:29]
	s_andn2_b64 exec, exec, s[28:29]
	s_cbranch_execnz .LBB2852_84
; %bb.87:
	s_or_b64 exec, exec, s[28:29]
.LBB2852_88:
	s_or_b64 exec, exec, s[26:27]
	v_and_b32_e32 v111, 63, v105
	v_mov_b32_e32 v110, 2
	v_cmp_ne_u32_e32 vcc, 63, v111
	v_cmp_eq_u16_sdwa s[26:27], v29, v110 src0_sel:BYTE_0 src1_sel:DWORD
	v_lshlrev_b64 v[26:27], v105, -1
	v_addc_co_u32_e32 v30, vcc, 0, v105, vcc
	v_and_b32_e32 v9, s27, v27
	v_lshlrev_b32_e32 v112, 2, v30
	v_or_b32_e32 v9, 0x80000000, v9
	ds_bpermute_b32 v30, v112, v28
	v_and_b32_e32 v25, s26, v26
	v_ffbl_b32_e32 v9, v9
	v_add_u32_e32 v9, 32, v9
	v_ffbl_b32_e32 v25, v25
	v_min_u32_e32 v9, v25, v9
	v_cmp_lt_u32_e32 vcc, v111, v9
	v_add_u32_e32 v114, 2, v111
	v_add_u32_e32 v116, 4, v111
	s_waitcnt lgkmcnt(0)
	v_cndmask_b32_e32 v25, 0, v30, vcc
	v_cmp_gt_u32_e32 vcc, 62, v111
	v_add_u32_e32 v25, v25, v28
	v_add_u32_e32 v118, 8, v111
	v_cndmask_b32_e64 v28, 0, 1, vcc
	v_lshlrev_b32_e32 v28, 1, v28
	v_add_lshl_u32 v113, v28, v105, 2
	ds_bpermute_b32 v28, v113, v25
	v_cmp_le_u32_e32 vcc, v114, v9
	v_add_u32_e32 v120, 16, v111
	v_add_u32_e32 v122, 32, v111
	s_waitcnt lgkmcnt(0)
	v_cndmask_b32_e32 v28, 0, v28, vcc
	v_cmp_gt_u32_e32 vcc, 60, v111
	v_add_u32_e32 v25, v25, v28
	s_nop 0
	v_cndmask_b32_e64 v28, 0, 1, vcc
	v_lshlrev_b32_e32 v28, 2, v28
	v_add_lshl_u32 v115, v28, v105, 2
	ds_bpermute_b32 v28, v115, v25
	v_cmp_le_u32_e32 vcc, v116, v9
	s_waitcnt lgkmcnt(0)
	s_nop 0
	v_cndmask_b32_e32 v28, 0, v28, vcc
	v_cmp_gt_u32_e32 vcc, 56, v111
	v_add_u32_e32 v25, v25, v28
	s_nop 0
	v_cndmask_b32_e64 v28, 0, 1, vcc
	v_lshlrev_b32_e32 v28, 3, v28
	v_add_lshl_u32 v117, v28, v105, 2
	ds_bpermute_b32 v28, v117, v25
	v_cmp_le_u32_e32 vcc, v118, v9
	s_waitcnt lgkmcnt(0)
	s_nop 0
	;; [unrolled: 11-line block ×4, first 2 shown]
	v_cndmask_b32_e32 v9, 0, v28, vcc
	v_add_u32_e32 v28, v25, v9
	v_mov_b32_e32 v25, 0
	s_branch .LBB2852_90
.LBB2852_89:                            ;   in Loop: Header=BB2852_90 Depth=1
	s_or_b64 exec, exec, s[26:27]
	v_cmp_eq_u16_sdwa s[26:27], v29, v110 src0_sel:BYTE_0 src1_sel:DWORD
	ds_bpermute_b32 v123, v112, v28
	v_subrev_u32_e32 v24, 64, v24
	v_and_b32_e32 v30, s27, v27
	v_or_b32_e32 v30, 0x80000000, v30
	v_and_b32_e32 v31, s26, v26
	v_ffbl_b32_e32 v30, v30
	v_add_u32_e32 v30, 32, v30
	v_ffbl_b32_e32 v31, v31
	v_min_u32_e32 v30, v31, v30
	v_cmp_lt_u32_e32 vcc, v111, v30
	s_waitcnt lgkmcnt(0)
	s_nop 0
	v_cndmask_b32_e32 v31, 0, v123, vcc
	v_add_u32_e32 v28, v31, v28
	ds_bpermute_b32 v31, v113, v28
	v_cmp_le_u32_e32 vcc, v114, v30
	s_waitcnt lgkmcnt(0)
	s_nop 0
	v_cndmask_b32_e32 v31, 0, v31, vcc
	v_add_u32_e32 v28, v28, v31
	ds_bpermute_b32 v31, v115, v28
	v_cmp_le_u32_e32 vcc, v116, v30
	s_waitcnt lgkmcnt(0)
	s_nop 0
	v_cndmask_b32_e32 v31, 0, v31, vcc
	v_add_u32_e32 v28, v28, v31
	ds_bpermute_b32 v31, v117, v28
	v_cmp_le_u32_e32 vcc, v118, v30
	s_waitcnt lgkmcnt(0)
	s_nop 0
	v_cndmask_b32_e32 v31, 0, v31, vcc
	v_add_u32_e32 v28, v28, v31
	ds_bpermute_b32 v31, v119, v28
	v_cmp_le_u32_e32 vcc, v120, v30
	s_waitcnt lgkmcnt(0)
	s_nop 0
	v_cndmask_b32_e32 v31, 0, v31, vcc
	v_add_u32_e32 v28, v28, v31
	ds_bpermute_b32 v31, v121, v28
	v_cmp_le_u32_e32 vcc, v122, v30
	s_waitcnt lgkmcnt(0)
	s_nop 0
	v_cndmask_b32_e32 v30, 0, v31, vcc
	v_add3_u32 v28, v30, v9, v28
.LBB2852_90:                            ; =>This Loop Header: Depth=1
                                        ;     Child Loop BB2852_93 Depth 2
                                        ;       Child Loop BB2852_94 Depth 3
	v_cmp_ne_u16_sdwa s[26:27], v29, v110 src0_sel:BYTE_0 src1_sel:DWORD
	s_nop 1
	v_cndmask_b32_e64 v9, 0, 1, s[26:27]
	;;#ASMSTART
	;;#ASMEND
	s_nop 0
	v_cmp_ne_u32_e32 vcc, 0, v9
	s_cmp_lg_u64 vcc, exec
	v_mov_b32_e32 v9, v28
	s_cbranch_scc1 .LBB2852_97
; %bb.91:                               ;   in Loop: Header=BB2852_90 Depth=1
	v_lshl_add_u64 v[30:31], v[24:25], 3, s[36:37]
	global_load_dwordx2 v[28:29], v[30:31], off sc1
	s_waitcnt vmcnt(0)
	v_cmp_eq_u16_sdwa s[28:29], v29, v25 src0_sel:BYTE_0 src1_sel:DWORD
	s_and_saveexec_b64 s[26:27], s[28:29]
	s_cbranch_execz .LBB2852_89
; %bb.92:                               ;   in Loop: Header=BB2852_90 Depth=1
	s_mov_b32 s39, 1
	s_mov_b64 s[28:29], 0
.LBB2852_93:                            ;   Parent Loop BB2852_90 Depth=1
                                        ; =>  This Loop Header: Depth=2
                                        ;       Child Loop BB2852_94 Depth 3
	s_max_u32 s40, s39, 1
.LBB2852_94:                            ;   Parent Loop BB2852_90 Depth=1
                                        ;     Parent Loop BB2852_93 Depth=2
                                        ; =>    This Inner Loop Header: Depth=3
	s_add_i32 s40, s40, -1
	s_cmp_eq_u32 s40, 0
	s_sleep 1
	s_cbranch_scc0 .LBB2852_94
; %bb.95:                               ;   in Loop: Header=BB2852_93 Depth=2
	global_load_dwordx2 v[28:29], v[30:31], off sc1
	s_cmp_lt_u32 s39, 32
	s_cselect_b64 s[40:41], -1, 0
	s_cmp_lg_u64 s[40:41], 0
	s_addc_u32 s39, s39, 0
	s_waitcnt vmcnt(0)
	v_cmp_ne_u16_sdwa s[40:41], v29, v25 src0_sel:BYTE_0 src1_sel:DWORD
	s_or_b64 s[28:29], s[40:41], s[28:29]
	s_andn2_b64 exec, exec, s[28:29]
	s_cbranch_execnz .LBB2852_93
; %bb.96:                               ;   in Loop: Header=BB2852_90 Depth=1
	s_or_b64 exec, exec, s[28:29]
	s_branch .LBB2852_89
.LBB2852_97:                            ;   in Loop: Header=BB2852_90 Depth=1
                                        ; implicit-def: $vgpr28
                                        ; implicit-def: $vgpr29
	s_cbranch_execz .LBB2852_90
; %bb.98:
	s_and_saveexec_b64 s[26:27], s[18:19]
	s_cbranch_execz .LBB2852_100
; %bb.99:
	s_add_i32 s28, s38, 64
	s_mov_b32 s29, 0
	s_lshl_b64 s[28:29], s[28:29], 3
	s_add_u32 s28, s36, s28
	v_add_u32_e32 v24, v9, v8
	v_mov_b32_e32 v25, 2
	s_addc_u32 s29, s37, s29
	v_mov_b32_e32 v26, 0
	global_store_dwordx2 v26, v[24:25], s[28:29] sc1
	ds_write_b64 v26, v[8:9] offset:30720
.LBB2852_100:
	s_or_b64 exec, exec, s[26:27]
	s_and_b64 exec, exec, s[20:21]
	s_cbranch_execz .LBB2852_102
; %bb.101:
	v_mov_b32_e32 v8, 0
	ds_write_b32 v8, v9 offset:28
.LBB2852_102:
	s_or_b64 exec, exec, s[0:1]
	v_mov_b32_e32 v8, 0
	s_waitcnt lgkmcnt(0)
	s_barrier
	ds_read_b32 v24, v8 offset:28
	s_waitcnt lgkmcnt(0)
	s_barrier
	ds_read_b64 v[8:9], v8 offset:30720
	v_cndmask_b32_e64 v25, v109, v108, s[18:19]
	v_cndmask_b32_e64 v25, v25, 0, s[20:21]
	v_add_u32_e32 v25, v24, v25
	s_waitcnt lgkmcnt(0)
	v_mov_b32_e32 v24, v9
	s_branch .LBB2852_113
.LBB2852_103:
                                        ; implicit-def: $vgpr24
                                        ; implicit-def: $vgpr8
                                        ; implicit-def: $vgpr25
	s_cbranch_execz .LBB2852_113
; %bb.104:
	s_nop 0
	v_mov_b32_dpp v8, v107 row_shr:1 row_mask:0xf bank_mask:0xf
	v_cndmask_b32_e64 v8, v8, 0, s[16:17]
	v_add_u32_e32 v8, v8, v107
	s_nop 1
	v_mov_b32_dpp v9, v8 row_shr:2 row_mask:0xf bank_mask:0xf
	v_cndmask_b32_e64 v9, 0, v9, s[14:15]
	v_add_u32_e32 v8, v8, v9
	;; [unrolled: 4-line block ×4, first 2 shown]
	s_nop 1
	v_mov_b32_dpp v9, v8 row_bcast:15 row_mask:0xf bank_mask:0xf
	v_cndmask_b32_e64 v9, v9, 0, s[8:9]
	v_add_u32_e32 v8, v8, v9
	s_nop 1
	v_mov_b32_dpp v9, v8 row_bcast:31 row_mask:0xf bank_mask:0xf
	v_cndmask_b32_e64 v9, 0, v9, s[4:5]
	v_add_u32_e32 v8, v8, v9
	s_and_saveexec_b64 s[0:1], s[6:7]
	s_cbranch_execz .LBB2852_106
; %bb.105:
	v_lshlrev_b32_e32 v9, 2, v106
	ds_write_b32 v9, v8
.LBB2852_106:
	s_or_b64 exec, exec, s[0:1]
	v_cmp_gt_u32_e32 vcc, 8, v0
	s_waitcnt lgkmcnt(0)
	s_barrier
	s_and_saveexec_b64 s[0:1], vcc
	s_cbranch_execz .LBB2852_108
; %bb.107:
	v_lshlrev_b32_e32 v9, 2, v0
	ds_read_b32 v24, v9
	v_and_b32_e32 v25, 7, v105
	v_cmp_ne_u32_e32 vcc, 0, v25
	s_waitcnt lgkmcnt(0)
	v_mov_b32_dpp v26, v24 row_shr:1 row_mask:0xf bank_mask:0xf
	v_cndmask_b32_e32 v26, 0, v26, vcc
	v_add_u32_e32 v24, v26, v24
	v_cmp_lt_u32_e32 vcc, 1, v25
	s_nop 0
	v_mov_b32_dpp v26, v24 row_shr:2 row_mask:0xf bank_mask:0xf
	v_cndmask_b32_e32 v26, 0, v26, vcc
	v_add_u32_e32 v24, v24, v26
	v_cmp_lt_u32_e32 vcc, 3, v25
	s_nop 0
	v_mov_b32_dpp v26, v24 row_shr:4 row_mask:0xf bank_mask:0xf
	v_cndmask_b32_e32 v25, 0, v26, vcc
	v_add_u32_e32 v24, v24, v25
	ds_write_b32 v9, v24
.LBB2852_108:
	s_or_b64 exec, exec, s[0:1]
	v_cmp_lt_u32_e32 vcc, 63, v0
	v_mov_b32_e32 v9, 0
	v_mov_b32_e32 v24, 0
	s_waitcnt lgkmcnt(0)
	s_barrier
	s_and_saveexec_b64 s[0:1], vcc
	s_cbranch_execz .LBB2852_110
; %bb.109:
	v_lshl_add_u32 v24, v106, 2, -4
	ds_read_b32 v24, v24
.LBB2852_110:
	s_or_b64 exec, exec, s[0:1]
	v_add_u32_e32 v25, -1, v105
	v_and_b32_e32 v26, 64, v105
	v_cmp_lt_i32_e32 vcc, v25, v26
	s_waitcnt lgkmcnt(0)
	v_add_u32_e32 v8, v24, v8
	v_cndmask_b32_e32 v25, v25, v105, vcc
	v_lshlrev_b32_e32 v25, 2, v25
	ds_bpermute_b32 v25, v25, v8
	ds_read_b32 v8, v9 offset:28
	s_and_saveexec_b64 s[0:1], s[20:21]
	s_cbranch_execz .LBB2852_112
; %bb.111:
	v_mov_b32_e32 v26, 0
	v_mov_b32_e32 v9, 2
	s_waitcnt lgkmcnt(0)
	global_store_dwordx2 v26, v[8:9], s[36:37] offset:512 sc1
.LBB2852_112:
	s_or_b64 exec, exec, s[0:1]
	v_cmp_eq_u32_e32 vcc, 0, v105
	s_waitcnt lgkmcnt(0)
	s_barrier
	v_cndmask_b32_e32 v9, v25, v24, vcc
	v_mov_b32_e32 v24, 0
	v_cndmask_b32_e64 v25, v9, 0, s[20:21]
.LBB2852_113:
	v_add_u32_e32 v9, v25, v77
	v_add_u32_e32 v26, v9, v78
	;; [unrolled: 1-line block ×22, first 2 shown]
	v_sub_u32_e32 v25, v25, v24
	v_and_b32_e32 v76, 1, v76
	v_add_u32_e32 v91, v90, v98
	v_sub_u32_e32 v98, v44, v25
	v_cmp_eq_u32_e32 vcc, 1, v76
	v_sub_u32_e32 v9, v9, v24
	v_add_u32_e32 v92, v91, v99
	v_cndmask_b32_e32 v25, v98, v25, vcc
	v_lshlrev_b32_e32 v25, 1, v25
	ds_write_b16 v25, v22
	v_sub_u32_e32 v22, v44, v9
	v_and_b32_e32 v25, 1, v75
	v_add_u32_e32 v22, 1, v22
	v_cmp_eq_u32_e32 vcc, 1, v25
	v_and_b32_e32 v25, 1, v74
	v_add_u32_e32 v93, v92, v100
	v_cndmask_b32_e32 v9, v22, v9, vcc
	v_lshlrev_b32_e32 v9, 1, v9
	ds_write_b16 v9, v46
	v_sub_u32_e32 v9, v26, v24
	v_sub_u32_e32 v22, v44, v9
	v_add_u32_e32 v22, 2, v22
	v_cmp_eq_u32_e32 vcc, 1, v25
	v_add_u32_e32 v94, v93, v101
	v_add_u32_e32 v95, v94, v102
	v_cndmask_b32_e32 v9, v22, v9, vcc
	v_lshlrev_b32_e32 v9, 1, v9
	ds_write_b16 v9, v23
	v_sub_u32_e32 v9, v27, v24
	v_sub_u32_e32 v22, v44, v9
	v_and_b32_e32 v23, 1, v73
	v_add_u32_e32 v22, 3, v22
	v_cmp_eq_u32_e32 vcc, 1, v23
	v_and_b32_e32 v23, 1, v72
	v_add_u32_e32 v96, v95, v103
	v_cndmask_b32_e32 v9, v22, v9, vcc
	v_lshlrev_b32_e32 v9, 1, v9
	ds_write_b16 v9, v45
	v_sub_u32_e32 v9, v28, v24
	v_sub_u32_e32 v22, v44, v9
	v_add_u32_e32 v22, 4, v22
	v_cmp_eq_u32_e32 vcc, 1, v23
	v_add_u32_e32 v97, v96, v104
	v_mov_b32_e32 v25, 0
	v_cndmask_b32_e32 v9, v22, v9, vcc
	v_lshlrev_b32_e32 v9, 1, v9
	ds_write_b16 v9, v20
	v_sub_u32_e32 v9, v29, v24
	v_sub_u32_e32 v20, v44, v9
	v_and_b32_e32 v22, 1, v71
	v_add_u32_e32 v20, 5, v20
	v_cmp_eq_u32_e32 vcc, 1, v22
	v_and_b32_e32 v22, 1, v70
	v_or_b32_e32 v46, 0x1600, v0
	v_cndmask_b32_e32 v9, v20, v9, vcc
	v_lshlrev_b32_e32 v9, 1, v9
	ds_write_b16 v9, v43
	v_sub_u32_e32 v9, v30, v24
	v_sub_u32_e32 v20, v44, v9
	v_add_u32_e32 v20, 6, v20
	v_cmp_eq_u32_e32 vcc, 1, v22
	v_or_b32_e32 v30, 0x2600, v0
	v_or_b32_e32 v28, 0x2800, v0
	v_cndmask_b32_e32 v9, v20, v9, vcc
	v_lshlrev_b32_e32 v9, 1, v9
	ds_write_b16 v9, v21
	v_sub_u32_e32 v9, v31, v24
	v_sub_u32_e32 v20, v44, v9
	v_and_b32_e32 v21, 1, v69
	v_add_u32_e32 v20, 7, v20
	v_cmp_eq_u32_e32 vcc, 1, v21
	v_and_b32_e32 v21, 1, v68
	v_or_b32_e32 v26, 0x2a00, v0
	v_cndmask_b32_e32 v9, v20, v9, vcc
	v_lshlrev_b32_e32 v9, 1, v9
	ds_write_b16 v9, v42
	v_sub_u32_e32 v9, v77, v24
	v_sub_u32_e32 v20, v44, v9
	v_add_u32_e32 v20, 8, v20
	v_cmp_eq_u32_e32 vcc, 1, v21
	v_or_b32_e32 v42, 0x1a00, v0
	v_or_b32_e32 v22, 0x2c00, v0
	v_cndmask_b32_e32 v9, v20, v9, vcc
	v_lshlrev_b32_e32 v9, 1, v9
	ds_write_b16 v9, v18
	v_sub_u32_e32 v9, v78, v24
	v_sub_u32_e32 v18, v44, v9
	v_and_b32_e32 v20, 1, v67
	v_add_u32_e32 v18, 9, v18
	v_cmp_eq_u32_e32 vcc, 1, v20
	v_and_b32_e32 v20, 1, v66
	v_or_b32_e32 v66, 0x200, v0
	v_cndmask_b32_e32 v9, v18, v9, vcc
	v_lshlrev_b32_e32 v9, 1, v9
	ds_write_b16 v9, v41
	v_sub_u32_e32 v9, v79, v24
	v_sub_u32_e32 v18, v44, v9
	v_add_u32_e32 v18, 10, v18
	v_cmp_eq_u32_e32 vcc, 1, v20
	v_or_b32_e32 v20, 0x2e00, v0
	v_cmp_ge_u32_e64 s[0:1], v0, v8
	v_cndmask_b32_e32 v9, v18, v9, vcc
	v_lshlrev_b32_e32 v9, 1, v9
	ds_write_b16 v9, v19
	v_sub_u32_e32 v9, v80, v24
	v_sub_u32_e32 v18, v44, v9
	v_and_b32_e32 v19, 1, v65
	v_add_u32_e32 v18, 11, v18
	v_cmp_eq_u32_e32 vcc, 1, v19
	v_and_b32_e32 v19, 1, v64
	v_or_b32_e32 v64, 0x400, v0
	v_cndmask_b32_e32 v9, v18, v9, vcc
	v_lshlrev_b32_e32 v9, 1, v9
	ds_write_b16 v9, v40
	v_sub_u32_e32 v9, v81, v24
	v_sub_u32_e32 v18, v44, v9
	v_add_u32_e32 v18, 12, v18
	v_cmp_eq_u32_e32 vcc, 1, v19
	v_or_b32_e32 v40, 0x1c00, v0
	s_nop 0
	v_cndmask_b32_e32 v9, v18, v9, vcc
	v_lshlrev_b32_e32 v9, 1, v9
	ds_write_b16 v9, v16
	v_sub_u32_e32 v9, v82, v24
	v_sub_u32_e32 v16, v44, v9
	v_and_b32_e32 v18, 1, v63
	v_add_u32_e32 v16, 13, v16
	v_cmp_eq_u32_e32 vcc, 1, v18
	v_and_b32_e32 v18, 1, v62
	v_or_b32_e32 v62, 0x600, v0
	v_cndmask_b32_e32 v9, v16, v9, vcc
	v_lshlrev_b32_e32 v9, 1, v9
	ds_write_b16 v9, v39
	v_sub_u32_e32 v9, v83, v24
	v_sub_u32_e32 v16, v44, v9
	v_add_u32_e32 v16, 14, v16
	v_cmp_eq_u32_e32 vcc, 1, v18
	v_or_b32_e32 v18, 0x3000, v0
	s_nop 0
	v_cndmask_b32_e32 v9, v16, v9, vcc
	v_lshlrev_b32_e32 v9, 1, v9
	ds_write_b16 v9, v17
	v_sub_u32_e32 v9, v84, v24
	v_sub_u32_e32 v16, v44, v9
	v_and_b32_e32 v17, 1, v61
	v_add_u32_e32 v16, 15, v16
	v_cmp_eq_u32_e32 vcc, 1, v17
	v_and_b32_e32 v17, 1, v60
	v_or_b32_e32 v60, 0x800, v0
	v_cndmask_b32_e32 v9, v16, v9, vcc
	v_lshlrev_b32_e32 v9, 1, v9
	ds_write_b16 v9, v38
	v_sub_u32_e32 v9, v85, v24
	v_sub_u32_e32 v16, v44, v9
	v_add_u32_e32 v16, 16, v16
	v_cmp_eq_u32_e32 vcc, 1, v17
	s_nop 1
	v_cndmask_b32_e32 v9, v16, v9, vcc
	v_lshlrev_b32_e32 v9, 1, v9
	ds_write_b16 v9, v14
	v_sub_u32_e32 v9, v86, v24
	v_sub_u32_e32 v14, v44, v9
	v_and_b32_e32 v16, 1, v59
	v_add_u32_e32 v14, 17, v14
	v_cmp_eq_u32_e32 vcc, 1, v16
	v_and_b32_e32 v16, 1, v58
	v_or_b32_e32 v58, 0xa00, v0
	v_cndmask_b32_e32 v9, v14, v9, vcc
	v_lshlrev_b32_e32 v9, 1, v9
	ds_write_b16 v9, v37
	v_sub_u32_e32 v9, v87, v24
	v_sub_u32_e32 v14, v44, v9
	v_add_u32_e32 v14, 18, v14
	v_cmp_eq_u32_e32 vcc, 1, v16
	v_or_b32_e32 v37, 0x1e00, v0
	v_or_b32_e32 v16, 0x3200, v0
	v_cndmask_b32_e32 v9, v14, v9, vcc
	v_lshlrev_b32_e32 v9, 1, v9
	ds_write_b16 v9, v15
	v_sub_u32_e32 v9, v88, v24
	v_sub_u32_e32 v14, v44, v9
	v_and_b32_e32 v15, 1, v57
	v_add_u32_e32 v14, 19, v14
	v_cmp_eq_u32_e32 vcc, 1, v15
	v_and_b32_e32 v15, 1, v56
	v_or_b32_e32 v56, 0xc00, v0
	v_cndmask_b32_e32 v9, v14, v9, vcc
	v_lshlrev_b32_e32 v9, 1, v9
	ds_write_b16 v9, v36
	v_sub_u32_e32 v9, v89, v24
	v_sub_u32_e32 v14, v44, v9
	v_add_u32_e32 v14, 20, v14
	v_cmp_eq_u32_e32 vcc, 1, v15
	v_or_b32_e32 v36, 0x2000, v0
	s_nop 0
	v_cndmask_b32_e32 v9, v14, v9, vcc
	v_lshlrev_b32_e32 v9, 1, v9
	ds_write_b16 v9, v12
	v_sub_u32_e32 v9, v90, v24
	v_sub_u32_e32 v12, v44, v9
	v_and_b32_e32 v14, 1, v55
	v_add_u32_e32 v12, 21, v12
	v_cmp_eq_u32_e32 vcc, 1, v14
	v_and_b32_e32 v14, 1, v54
	s_nop 0
	v_cndmask_b32_e32 v9, v12, v9, vcc
	v_lshlrev_b32_e32 v9, 1, v9
	ds_write_b16 v9, v35
	v_sub_u32_e32 v9, v91, v24
	v_sub_u32_e32 v12, v44, v9
	v_add_u32_e32 v12, 22, v12
	v_cmp_eq_u32_e32 vcc, 1, v14
	v_or_b32_e32 v14, 0x3400, v0
	s_nop 0
	v_cndmask_b32_e32 v9, v12, v9, vcc
	v_lshlrev_b32_e32 v9, 1, v9
	ds_write_b16 v9, v13
	v_sub_u32_e32 v9, v92, v24
	v_sub_u32_e32 v12, v44, v9
	v_and_b32_e32 v13, 1, v53
	v_add_u32_e32 v12, 23, v12
	v_cmp_eq_u32_e32 vcc, 1, v13
	v_and_b32_e32 v13, 1, v52
	v_or_b32_e32 v53, 0xe00, v0
	v_cndmask_b32_e32 v9, v12, v9, vcc
	v_lshlrev_b32_e32 v9, 1, v9
	ds_write_b16 v9, v34
	v_sub_u32_e32 v9, v93, v24
	v_sub_u32_e32 v12, v44, v9
	v_add_u32_e32 v12, 24, v12
	v_cmp_eq_u32_e32 vcc, 1, v13
	v_or_b32_e32 v52, 0x1000, v0
	v_or_b32_e32 v34, 0x2200, v0
	v_cndmask_b32_e32 v9, v12, v9, vcc
	v_lshlrev_b32_e32 v9, 1, v9
	ds_write_b16 v9, v10
	v_sub_u32_e32 v9, v94, v24
	v_sub_u32_e32 v10, v44, v9
	v_and_b32_e32 v12, 1, v51
	v_add_u32_e32 v10, 25, v10
	v_cmp_eq_u32_e32 vcc, 1, v12
	v_and_b32_e32 v12, 1, v50
	v_or_b32_e32 v50, 0x1200, v0
	v_cndmask_b32_e32 v9, v10, v9, vcc
	v_lshlrev_b32_e32 v9, 1, v9
	ds_write_b16 v9, v33
	v_sub_u32_e32 v9, v95, v24
	v_sub_u32_e32 v10, v44, v9
	v_add_u32_e32 v10, 26, v10
	v_cmp_eq_u32_e32 vcc, 1, v12
	v_or_b32_e32 v12, 0x3600, v0
	s_nop 0
	v_cndmask_b32_e32 v9, v10, v9, vcc
	v_lshlrev_b32_e32 v9, 1, v9
	ds_write_b16 v9, v11
	v_sub_u32_e32 v9, v96, v24
	v_sub_u32_e32 v10, v44, v9
	v_and_b32_e32 v11, 1, v49
	v_add_u32_e32 v10, 27, v10
	v_cmp_eq_u32_e32 vcc, 1, v11
	v_and_b32_e32 v11, 1, v47
	s_nop 0
	v_cndmask_b32_e32 v9, v10, v9, vcc
	v_lshlrev_b32_e32 v9, 1, v9
	ds_write_b16 v9, v32
	v_sub_u32_e32 v9, v97, v24
	v_sub_u32_e32 v10, v44, v9
	v_add_u32_e32 v10, 28, v10
	v_cmp_eq_u32_e32 vcc, 1, v11
	v_or_b32_e32 v32, 0x2400, v0
	s_nop 0
	v_cndmask_b32_e32 v9, v10, v9, vcc
	v_lshlrev_b32_e32 v9, 1, v9
	ds_write_b16 v9, v3
	v_sub_u32_sdwa v3, v47, v24 dst_sel:DWORD dst_unused:UNUSED_PAD src0_sel:BYTE_0 src1_sel:DWORD
	v_add_u32_e32 v3, v97, v3
	v_sub_u32_e32 v9, v44, v3
	v_and_b32_e32 v10, 1, v48
	v_add_u32_e32 v9, 29, v9
	v_cmp_eq_u32_e32 vcc, 1, v10
	v_or_b32_e32 v48, 0x1400, v0
	v_or_b32_e32 v44, 0x1800, v0
	v_cndmask_b32_e32 v3, v9, v3, vcc
	v_lshlrev_b32_e32 v3, 1, v3
	ds_write_b16 v3, v1
	s_waitcnt lgkmcnt(0)
	s_barrier
	ds_read_u16 v68, v2
	ds_read_u16 v67, v2 offset:1024
	ds_read_u16 v65, v2 offset:2048
	;; [unrolled: 1-line block ×29, first 2 shown]
	v_mov_b32_e32 v9, v25
	s_waitcnt vmcnt(0)
	v_lshl_add_u64 v[4:5], v[4:5], 0, v[8:9]
	v_lshl_add_u64 v[4:5], v[4:5], 0, v[24:25]
	v_mov_b32_e32 v9, s31
	v_sub_co_u32_e32 v24, vcc, s30, v4
	v_or_b32_e32 v10, 0x3800, v0
	s_nop 0
	v_subb_co_u32_e32 v25, vcc, v9, v5, vcc
	v_lshlrev_b64 v[24:25], 1, v[24:25]
	v_lshl_add_u64 v[24:25], s[34:35], 0, v[24:25]
	v_or_b32_e32 v1, 0x3a00, v0
	v_lshl_add_u64 v[6:7], v[24:25], 0, v[6:7]
	s_and_b64 vcc, exec, s[2:3]
	s_cbranch_vccnz .LBB2852_145
; %bb.114:
	s_and_saveexec_b64 s[2:3], s[0:1]
	s_cbranch_execnz .LBB2852_210
; %bb.115:
	s_or_b64 exec, exec, s[2:3]
	v_cmp_ge_u32_e32 vcc, v66, v8
	s_and_saveexec_b64 s[0:1], vcc
	s_cbranch_execnz .LBB2852_211
.LBB2852_116:
	s_or_b64 exec, exec, s[0:1]
	v_cmp_ge_u32_e32 vcc, v64, v8
	s_and_saveexec_b64 s[0:1], vcc
	s_cbranch_execnz .LBB2852_212
.LBB2852_117:
	s_or_b64 exec, exec, s[0:1]
	v_cmp_ge_u32_e32 vcc, v62, v8
	s_and_saveexec_b64 s[0:1], vcc
	s_cbranch_execnz .LBB2852_213
.LBB2852_118:
	s_or_b64 exec, exec, s[0:1]
	v_cmp_ge_u32_e32 vcc, v60, v8
	s_and_saveexec_b64 s[0:1], vcc
	s_cbranch_execnz .LBB2852_214
.LBB2852_119:
	s_or_b64 exec, exec, s[0:1]
	v_cmp_ge_u32_e32 vcc, v58, v8
	s_and_saveexec_b64 s[0:1], vcc
	s_cbranch_execnz .LBB2852_215
.LBB2852_120:
	s_or_b64 exec, exec, s[0:1]
	v_cmp_ge_u32_e32 vcc, v56, v8
	s_and_saveexec_b64 s[0:1], vcc
	s_cbranch_execnz .LBB2852_216
.LBB2852_121:
	s_or_b64 exec, exec, s[0:1]
	v_cmp_ge_u32_e32 vcc, v53, v8
	s_and_saveexec_b64 s[0:1], vcc
	s_cbranch_execnz .LBB2852_217
.LBB2852_122:
	s_or_b64 exec, exec, s[0:1]
	v_cmp_ge_u32_e32 vcc, v52, v8
	s_and_saveexec_b64 s[0:1], vcc
	s_cbranch_execnz .LBB2852_218
.LBB2852_123:
	s_or_b64 exec, exec, s[0:1]
	v_cmp_ge_u32_e32 vcc, v50, v8
	s_and_saveexec_b64 s[0:1], vcc
	s_cbranch_execnz .LBB2852_219
.LBB2852_124:
	s_or_b64 exec, exec, s[0:1]
	v_cmp_ge_u32_e32 vcc, v48, v8
	s_and_saveexec_b64 s[0:1], vcc
	s_cbranch_execnz .LBB2852_220
.LBB2852_125:
	s_or_b64 exec, exec, s[0:1]
	v_cmp_ge_u32_e32 vcc, v46, v8
	s_and_saveexec_b64 s[0:1], vcc
	s_cbranch_execnz .LBB2852_221
.LBB2852_126:
	s_or_b64 exec, exec, s[0:1]
	v_cmp_ge_u32_e32 vcc, v44, v8
	s_and_saveexec_b64 s[0:1], vcc
	s_cbranch_execnz .LBB2852_222
.LBB2852_127:
	s_or_b64 exec, exec, s[0:1]
	v_cmp_ge_u32_e32 vcc, v42, v8
	s_and_saveexec_b64 s[0:1], vcc
	s_cbranch_execnz .LBB2852_223
.LBB2852_128:
	s_or_b64 exec, exec, s[0:1]
	v_cmp_ge_u32_e32 vcc, v40, v8
	s_and_saveexec_b64 s[0:1], vcc
	s_cbranch_execnz .LBB2852_224
.LBB2852_129:
	s_or_b64 exec, exec, s[0:1]
	v_cmp_ge_u32_e32 vcc, v37, v8
	s_and_saveexec_b64 s[0:1], vcc
	s_cbranch_execnz .LBB2852_225
.LBB2852_130:
	s_or_b64 exec, exec, s[0:1]
	v_cmp_ge_u32_e32 vcc, v36, v8
	s_and_saveexec_b64 s[0:1], vcc
	s_cbranch_execnz .LBB2852_226
.LBB2852_131:
	s_or_b64 exec, exec, s[0:1]
	v_cmp_ge_u32_e32 vcc, v34, v8
	s_and_saveexec_b64 s[0:1], vcc
	s_cbranch_execnz .LBB2852_227
.LBB2852_132:
	s_or_b64 exec, exec, s[0:1]
	v_cmp_ge_u32_e32 vcc, v32, v8
	s_and_saveexec_b64 s[0:1], vcc
	s_cbranch_execnz .LBB2852_228
.LBB2852_133:
	s_or_b64 exec, exec, s[0:1]
	v_cmp_ge_u32_e32 vcc, v30, v8
	s_and_saveexec_b64 s[0:1], vcc
	s_cbranch_execnz .LBB2852_229
.LBB2852_134:
	s_or_b64 exec, exec, s[0:1]
	v_cmp_ge_u32_e32 vcc, v28, v8
	s_and_saveexec_b64 s[0:1], vcc
	s_cbranch_execnz .LBB2852_230
.LBB2852_135:
	s_or_b64 exec, exec, s[0:1]
	v_cmp_ge_u32_e32 vcc, v26, v8
	s_and_saveexec_b64 s[0:1], vcc
	s_cbranch_execnz .LBB2852_231
.LBB2852_136:
	s_or_b64 exec, exec, s[0:1]
	v_cmp_ge_u32_e32 vcc, v22, v8
	s_and_saveexec_b64 s[0:1], vcc
	s_cbranch_execnz .LBB2852_232
.LBB2852_137:
	s_or_b64 exec, exec, s[0:1]
	v_cmp_ge_u32_e32 vcc, v20, v8
	s_and_saveexec_b64 s[0:1], vcc
	s_cbranch_execnz .LBB2852_233
.LBB2852_138:
	s_or_b64 exec, exec, s[0:1]
	v_cmp_ge_u32_e32 vcc, v18, v8
	s_and_saveexec_b64 s[0:1], vcc
	s_cbranch_execnz .LBB2852_234
.LBB2852_139:
	s_or_b64 exec, exec, s[0:1]
	v_cmp_ge_u32_e32 vcc, v16, v8
	s_and_saveexec_b64 s[0:1], vcc
	s_cbranch_execnz .LBB2852_235
.LBB2852_140:
	s_or_b64 exec, exec, s[0:1]
	v_cmp_ge_u32_e32 vcc, v14, v8
	s_and_saveexec_b64 s[0:1], vcc
	s_cbranch_execnz .LBB2852_236
.LBB2852_141:
	s_or_b64 exec, exec, s[0:1]
	v_cmp_ge_u32_e32 vcc, v12, v8
	s_and_saveexec_b64 s[0:1], vcc
	s_cbranch_execnz .LBB2852_237
.LBB2852_142:
	s_or_b64 exec, exec, s[0:1]
	v_cmp_ge_u32_e32 vcc, v10, v8
	s_and_saveexec_b64 s[0:1], vcc
	s_cbranch_execz .LBB2852_144
.LBB2852_143:
	v_lshlrev_b32_e32 v9, 1, v10
	v_readfirstlane_b32 s2, v6
	v_readfirstlane_b32 s3, v7
	s_waitcnt lgkmcnt(1)
	s_nop 3
	global_store_short v9, v11, s[2:3]
.LBB2852_144:
	s_or_b64 exec, exec, s[0:1]
	v_cmp_ge_u32_e64 s[0:1], v1, v8
	s_branch .LBB2852_205
.LBB2852_145:
	s_mov_b64 s[0:1], 0
	s_cbranch_execz .LBB2852_205
; %bb.146:
	v_cmp_gt_u32_e32 vcc, s33, v0
	v_cmp_ge_u32_e64 s[0:1], v0, v8
	s_and_b64 s[2:3], vcc, s[0:1]
	s_and_saveexec_b64 s[0:1], s[2:3]
	s_cbranch_execz .LBB2852_148
; %bb.147:
	v_readfirstlane_b32 s2, v6
	v_readfirstlane_b32 s3, v7
	s_waitcnt lgkmcnt(14)
	s_nop 3
	global_store_short v2, v68, s[2:3]
.LBB2852_148:
	s_or_b64 exec, exec, s[0:1]
	v_cmp_gt_u32_e32 vcc, s33, v66
	v_cmp_ge_u32_e64 s[0:1], v66, v8
	s_and_b64 s[2:3], vcc, s[0:1]
	s_and_saveexec_b64 s[0:1], s[2:3]
	s_cbranch_execz .LBB2852_150
; %bb.149:
	v_readfirstlane_b32 s2, v6
	v_readfirstlane_b32 s3, v7
	s_waitcnt lgkmcnt(14)
	s_nop 3
	global_store_short v2, v67, s[2:3] offset:1024
.LBB2852_150:
	s_or_b64 exec, exec, s[0:1]
	v_cmp_gt_u32_e32 vcc, s33, v64
	v_cmp_ge_u32_e64 s[0:1], v64, v8
	s_and_b64 s[2:3], vcc, s[0:1]
	s_and_saveexec_b64 s[0:1], s[2:3]
	s_cbranch_execz .LBB2852_152
; %bb.151:
	v_readfirstlane_b32 s2, v6
	v_readfirstlane_b32 s3, v7
	s_waitcnt lgkmcnt(14)
	s_nop 3
	global_store_short v2, v65, s[2:3] offset:2048
.LBB2852_152:
	;; [unrolled: 13-line block ×3, first 2 shown]
	s_or_b64 exec, exec, s[0:1]
	v_cmp_gt_u32_e32 vcc, s33, v60
	v_cmp_ge_u32_e64 s[0:1], v60, v8
	s_and_b64 s[2:3], vcc, s[0:1]
	s_and_saveexec_b64 s[0:1], s[2:3]
	s_cbranch_execz .LBB2852_156
; %bb.155:
	v_lshlrev_b32_e32 v0, 1, v60
	v_readfirstlane_b32 s2, v6
	v_readfirstlane_b32 s3, v7
	s_waitcnt lgkmcnt(14)
	s_nop 3
	global_store_short v0, v61, s[2:3]
.LBB2852_156:
	s_or_b64 exec, exec, s[0:1]
	v_cmp_gt_u32_e32 vcc, s33, v58
	v_cmp_ge_u32_e64 s[0:1], v58, v8
	s_and_b64 s[2:3], vcc, s[0:1]
	s_and_saveexec_b64 s[0:1], s[2:3]
	s_cbranch_execz .LBB2852_158
; %bb.157:
	v_lshlrev_b32_e32 v0, 1, v58
	v_readfirstlane_b32 s2, v6
	v_readfirstlane_b32 s3, v7
	s_waitcnt lgkmcnt(14)
	s_nop 3
	global_store_short v0, v59, s[2:3]
.LBB2852_158:
	;; [unrolled: 14-line block ×25, first 2 shown]
	s_or_b64 exec, exec, s[0:1]
	v_cmp_gt_u32_e32 vcc, s33, v1
	v_cmp_ge_u32_e64 s[0:1], v1, v8
	s_and_b64 s[0:1], vcc, s[0:1]
.LBB2852_205:
	s_and_saveexec_b64 s[2:3], s[0:1]
	s_cbranch_execnz .LBB2852_208
; %bb.206:
	s_or_b64 exec, exec, s[2:3]
	s_and_b64 s[0:1], s[20:21], s[22:23]
	s_and_saveexec_b64 s[2:3], s[0:1]
	s_cbranch_execnz .LBB2852_209
.LBB2852_207:
	s_endpgm
.LBB2852_208:
	v_lshlrev_b32_e32 v0, 1, v1
	v_readfirstlane_b32 s0, v6
	v_readfirstlane_b32 s1, v7
	s_waitcnt lgkmcnt(0)
	s_nop 3
	global_store_short v0, v3, s[0:1]
	s_or_b64 exec, exec, s[2:3]
	s_and_b64 s[0:1], s[20:21], s[22:23]
	s_and_saveexec_b64 s[2:3], s[0:1]
	s_cbranch_execz .LBB2852_207
.LBB2852_209:
	v_mov_b32_e32 v0, 0
	global_store_dwordx2 v0, v[4:5], s[24:25]
	s_endpgm
.LBB2852_210:
	v_readfirstlane_b32 s0, v6
	v_readfirstlane_b32 s1, v7
	s_waitcnt lgkmcnt(14)
	s_nop 3
	global_store_short v2, v68, s[0:1]
	s_or_b64 exec, exec, s[2:3]
	v_cmp_ge_u32_e32 vcc, v66, v8
	s_and_saveexec_b64 s[0:1], vcc
	s_cbranch_execz .LBB2852_116
.LBB2852_211:
	v_readfirstlane_b32 s2, v6
	v_readfirstlane_b32 s3, v7
	s_waitcnt lgkmcnt(14)
	s_nop 3
	global_store_short v2, v67, s[2:3] offset:1024
	s_or_b64 exec, exec, s[0:1]
	v_cmp_ge_u32_e32 vcc, v64, v8
	s_and_saveexec_b64 s[0:1], vcc
	s_cbranch_execz .LBB2852_117
.LBB2852_212:
	v_readfirstlane_b32 s2, v6
	v_readfirstlane_b32 s3, v7
	s_waitcnt lgkmcnt(14)
	s_nop 3
	global_store_short v2, v65, s[2:3] offset:2048
	s_or_b64 exec, exec, s[0:1]
	v_cmp_ge_u32_e32 vcc, v62, v8
	s_and_saveexec_b64 s[0:1], vcc
	s_cbranch_execz .LBB2852_118
.LBB2852_213:
	v_readfirstlane_b32 s2, v6
	v_readfirstlane_b32 s3, v7
	s_waitcnt lgkmcnt(14)
	s_nop 3
	global_store_short v2, v63, s[2:3] offset:3072
	s_or_b64 exec, exec, s[0:1]
	v_cmp_ge_u32_e32 vcc, v60, v8
	s_and_saveexec_b64 s[0:1], vcc
	s_cbranch_execz .LBB2852_119
.LBB2852_214:
	v_lshlrev_b32_e32 v9, 1, v60
	v_readfirstlane_b32 s2, v6
	v_readfirstlane_b32 s3, v7
	s_waitcnt lgkmcnt(14)
	s_nop 3
	global_store_short v9, v61, s[2:3]
	s_or_b64 exec, exec, s[0:1]
	v_cmp_ge_u32_e32 vcc, v58, v8
	s_and_saveexec_b64 s[0:1], vcc
	s_cbranch_execz .LBB2852_120
.LBB2852_215:
	v_lshlrev_b32_e32 v9, 1, v58
	v_readfirstlane_b32 s2, v6
	v_readfirstlane_b32 s3, v7
	s_waitcnt lgkmcnt(14)
	s_nop 3
	global_store_short v9, v59, s[2:3]
	s_or_b64 exec, exec, s[0:1]
	v_cmp_ge_u32_e32 vcc, v56, v8
	s_and_saveexec_b64 s[0:1], vcc
	s_cbranch_execz .LBB2852_121
.LBB2852_216:
	v_lshlrev_b32_e32 v9, 1, v56
	v_readfirstlane_b32 s2, v6
	v_readfirstlane_b32 s3, v7
	s_waitcnt lgkmcnt(14)
	s_nop 3
	global_store_short v9, v57, s[2:3]
	s_or_b64 exec, exec, s[0:1]
	v_cmp_ge_u32_e32 vcc, v53, v8
	s_and_saveexec_b64 s[0:1], vcc
	s_cbranch_execz .LBB2852_122
.LBB2852_217:
	v_lshlrev_b32_e32 v9, 1, v53
	v_readfirstlane_b32 s2, v6
	v_readfirstlane_b32 s3, v7
	s_waitcnt lgkmcnt(14)
	s_nop 3
	global_store_short v9, v55, s[2:3]
	s_or_b64 exec, exec, s[0:1]
	v_cmp_ge_u32_e32 vcc, v52, v8
	s_and_saveexec_b64 s[0:1], vcc
	s_cbranch_execz .LBB2852_123
.LBB2852_218:
	v_lshlrev_b32_e32 v9, 1, v52
	v_readfirstlane_b32 s2, v6
	v_readfirstlane_b32 s3, v7
	s_waitcnt lgkmcnt(14)
	s_nop 3
	global_store_short v9, v54, s[2:3]
	s_or_b64 exec, exec, s[0:1]
	v_cmp_ge_u32_e32 vcc, v50, v8
	s_and_saveexec_b64 s[0:1], vcc
	s_cbranch_execz .LBB2852_124
.LBB2852_219:
	v_lshlrev_b32_e32 v9, 1, v50
	v_readfirstlane_b32 s2, v6
	v_readfirstlane_b32 s3, v7
	s_waitcnt lgkmcnt(14)
	s_nop 3
	global_store_short v9, v51, s[2:3]
	s_or_b64 exec, exec, s[0:1]
	v_cmp_ge_u32_e32 vcc, v48, v8
	s_and_saveexec_b64 s[0:1], vcc
	s_cbranch_execz .LBB2852_125
.LBB2852_220:
	v_lshlrev_b32_e32 v9, 1, v48
	v_readfirstlane_b32 s2, v6
	v_readfirstlane_b32 s3, v7
	s_waitcnt lgkmcnt(14)
	s_nop 3
	global_store_short v9, v49, s[2:3]
	s_or_b64 exec, exec, s[0:1]
	v_cmp_ge_u32_e32 vcc, v46, v8
	s_and_saveexec_b64 s[0:1], vcc
	s_cbranch_execz .LBB2852_126
.LBB2852_221:
	v_lshlrev_b32_e32 v9, 1, v46
	v_readfirstlane_b32 s2, v6
	v_readfirstlane_b32 s3, v7
	s_waitcnt lgkmcnt(14)
	s_nop 3
	global_store_short v9, v47, s[2:3]
	s_or_b64 exec, exec, s[0:1]
	v_cmp_ge_u32_e32 vcc, v44, v8
	s_and_saveexec_b64 s[0:1], vcc
	s_cbranch_execz .LBB2852_127
.LBB2852_222:
	v_lshlrev_b32_e32 v9, 1, v44
	v_readfirstlane_b32 s2, v6
	v_readfirstlane_b32 s3, v7
	s_waitcnt lgkmcnt(14)
	s_nop 3
	global_store_short v9, v45, s[2:3]
	s_or_b64 exec, exec, s[0:1]
	v_cmp_ge_u32_e32 vcc, v42, v8
	s_and_saveexec_b64 s[0:1], vcc
	s_cbranch_execz .LBB2852_128
.LBB2852_223:
	v_lshlrev_b32_e32 v9, 1, v42
	v_readfirstlane_b32 s2, v6
	v_readfirstlane_b32 s3, v7
	s_waitcnt lgkmcnt(14)
	s_nop 3
	global_store_short v9, v43, s[2:3]
	s_or_b64 exec, exec, s[0:1]
	v_cmp_ge_u32_e32 vcc, v40, v8
	s_and_saveexec_b64 s[0:1], vcc
	s_cbranch_execz .LBB2852_129
.LBB2852_224:
	v_lshlrev_b32_e32 v9, 1, v40
	v_readfirstlane_b32 s2, v6
	v_readfirstlane_b32 s3, v7
	s_waitcnt lgkmcnt(14)
	s_nop 3
	global_store_short v9, v41, s[2:3]
	s_or_b64 exec, exec, s[0:1]
	v_cmp_ge_u32_e32 vcc, v37, v8
	s_and_saveexec_b64 s[0:1], vcc
	s_cbranch_execz .LBB2852_130
.LBB2852_225:
	v_lshlrev_b32_e32 v9, 1, v37
	v_readfirstlane_b32 s2, v6
	v_readfirstlane_b32 s3, v7
	s_waitcnt lgkmcnt(14)
	s_nop 3
	global_store_short v9, v39, s[2:3]
	s_or_b64 exec, exec, s[0:1]
	v_cmp_ge_u32_e32 vcc, v36, v8
	s_and_saveexec_b64 s[0:1], vcc
	s_cbranch_execz .LBB2852_131
.LBB2852_226:
	v_lshlrev_b32_e32 v9, 1, v36
	v_readfirstlane_b32 s2, v6
	v_readfirstlane_b32 s3, v7
	s_waitcnt lgkmcnt(13)
	s_nop 3
	global_store_short v9, v38, s[2:3]
	s_or_b64 exec, exec, s[0:1]
	v_cmp_ge_u32_e32 vcc, v34, v8
	s_and_saveexec_b64 s[0:1], vcc
	s_cbranch_execz .LBB2852_132
.LBB2852_227:
	v_lshlrev_b32_e32 v9, 1, v34
	v_readfirstlane_b32 s2, v6
	v_readfirstlane_b32 s3, v7
	s_waitcnt lgkmcnt(12)
	s_nop 3
	global_store_short v9, v35, s[2:3]
	s_or_b64 exec, exec, s[0:1]
	v_cmp_ge_u32_e32 vcc, v32, v8
	s_and_saveexec_b64 s[0:1], vcc
	s_cbranch_execz .LBB2852_133
.LBB2852_228:
	v_lshlrev_b32_e32 v9, 1, v32
	v_readfirstlane_b32 s2, v6
	v_readfirstlane_b32 s3, v7
	s_waitcnt lgkmcnt(11)
	s_nop 3
	global_store_short v9, v33, s[2:3]
	s_or_b64 exec, exec, s[0:1]
	v_cmp_ge_u32_e32 vcc, v30, v8
	s_and_saveexec_b64 s[0:1], vcc
	s_cbranch_execz .LBB2852_134
.LBB2852_229:
	v_lshlrev_b32_e32 v9, 1, v30
	v_readfirstlane_b32 s2, v6
	v_readfirstlane_b32 s3, v7
	s_waitcnt lgkmcnt(10)
	s_nop 3
	global_store_short v9, v31, s[2:3]
	s_or_b64 exec, exec, s[0:1]
	v_cmp_ge_u32_e32 vcc, v28, v8
	s_and_saveexec_b64 s[0:1], vcc
	s_cbranch_execz .LBB2852_135
.LBB2852_230:
	v_lshlrev_b32_e32 v9, 1, v28
	v_readfirstlane_b32 s2, v6
	v_readfirstlane_b32 s3, v7
	s_waitcnt lgkmcnt(9)
	s_nop 3
	global_store_short v9, v29, s[2:3]
	s_or_b64 exec, exec, s[0:1]
	v_cmp_ge_u32_e32 vcc, v26, v8
	s_and_saveexec_b64 s[0:1], vcc
	s_cbranch_execz .LBB2852_136
.LBB2852_231:
	v_lshlrev_b32_e32 v9, 1, v26
	v_readfirstlane_b32 s2, v6
	v_readfirstlane_b32 s3, v7
	s_waitcnt lgkmcnt(8)
	s_nop 3
	global_store_short v9, v27, s[2:3]
	s_or_b64 exec, exec, s[0:1]
	v_cmp_ge_u32_e32 vcc, v22, v8
	s_and_saveexec_b64 s[0:1], vcc
	s_cbranch_execz .LBB2852_137
.LBB2852_232:
	v_lshlrev_b32_e32 v9, 1, v22
	v_readfirstlane_b32 s2, v6
	v_readfirstlane_b32 s3, v7
	s_waitcnt lgkmcnt(7)
	s_nop 3
	global_store_short v9, v23, s[2:3]
	s_or_b64 exec, exec, s[0:1]
	v_cmp_ge_u32_e32 vcc, v20, v8
	s_and_saveexec_b64 s[0:1], vcc
	s_cbranch_execz .LBB2852_138
.LBB2852_233:
	v_lshlrev_b32_e32 v9, 1, v20
	v_readfirstlane_b32 s2, v6
	v_readfirstlane_b32 s3, v7
	s_waitcnt lgkmcnt(6)
	s_nop 3
	global_store_short v9, v21, s[2:3]
	s_or_b64 exec, exec, s[0:1]
	v_cmp_ge_u32_e32 vcc, v18, v8
	s_and_saveexec_b64 s[0:1], vcc
	s_cbranch_execz .LBB2852_139
.LBB2852_234:
	v_lshlrev_b32_e32 v9, 1, v18
	v_readfirstlane_b32 s2, v6
	v_readfirstlane_b32 s3, v7
	s_waitcnt lgkmcnt(5)
	s_nop 3
	global_store_short v9, v19, s[2:3]
	s_or_b64 exec, exec, s[0:1]
	v_cmp_ge_u32_e32 vcc, v16, v8
	s_and_saveexec_b64 s[0:1], vcc
	s_cbranch_execz .LBB2852_140
.LBB2852_235:
	v_lshlrev_b32_e32 v9, 1, v16
	v_readfirstlane_b32 s2, v6
	v_readfirstlane_b32 s3, v7
	s_waitcnt lgkmcnt(4)
	s_nop 3
	global_store_short v9, v17, s[2:3]
	s_or_b64 exec, exec, s[0:1]
	v_cmp_ge_u32_e32 vcc, v14, v8
	s_and_saveexec_b64 s[0:1], vcc
	s_cbranch_execz .LBB2852_141
.LBB2852_236:
	v_lshlrev_b32_e32 v9, 1, v14
	v_readfirstlane_b32 s2, v6
	v_readfirstlane_b32 s3, v7
	s_waitcnt lgkmcnt(3)
	s_nop 3
	global_store_short v9, v15, s[2:3]
	s_or_b64 exec, exec, s[0:1]
	v_cmp_ge_u32_e32 vcc, v12, v8
	s_and_saveexec_b64 s[0:1], vcc
	s_cbranch_execz .LBB2852_142
.LBB2852_237:
	v_lshlrev_b32_e32 v9, 1, v12
	v_readfirstlane_b32 s2, v6
	v_readfirstlane_b32 s3, v7
	s_waitcnt lgkmcnt(2)
	s_nop 3
	global_store_short v9, v13, s[2:3]
	s_or_b64 exec, exec, s[0:1]
	v_cmp_ge_u32_e32 vcc, v10, v8
	s_and_saveexec_b64 s[0:1], vcc
	s_cbranch_execnz .LBB2852_143
	s_branch .LBB2852_144
	.section	.rodata,"a",@progbits
	.p2align	6, 0x0
	.amdhsa_kernel _ZN7rocprim17ROCPRIM_400000_NS6detail17trampoline_kernelINS0_14default_configENS1_25partition_config_selectorILNS1_17partition_subalgoE0EsNS0_10empty_typeEbEEZZNS1_14partition_implILS5_0ELb0ES3_jN6thrust23THRUST_200600_302600_NS6detail15normal_iteratorINSA_10device_ptrIsEEEEPS6_SG_NS0_5tupleIJNSA_16discard_iteratorINSA_11use_defaultEEESF_EEENSH_IJSG_SG_EEES6_PlJ7is_evenIsEEEE10hipError_tPvRmT3_T4_T5_T6_T7_T9_mT8_P12ihipStream_tbDpT10_ENKUlT_T0_E_clISt17integral_constantIbLb1EES19_EEDaS14_S15_EUlS14_E_NS1_11comp_targetILNS1_3genE5ELNS1_11target_archE942ELNS1_3gpuE9ELNS1_3repE0EEENS1_30default_config_static_selectorELNS0_4arch9wavefront6targetE1EEEvT1_
		.amdhsa_group_segment_fixed_size 30728
		.amdhsa_private_segment_fixed_size 0
		.amdhsa_kernarg_size 144
		.amdhsa_user_sgpr_count 2
		.amdhsa_user_sgpr_dispatch_ptr 0
		.amdhsa_user_sgpr_queue_ptr 0
		.amdhsa_user_sgpr_kernarg_segment_ptr 1
		.amdhsa_user_sgpr_dispatch_id 0
		.amdhsa_user_sgpr_kernarg_preload_length 0
		.amdhsa_user_sgpr_kernarg_preload_offset 0
		.amdhsa_user_sgpr_private_segment_size 0
		.amdhsa_uses_dynamic_stack 0
		.amdhsa_enable_private_segment 0
		.amdhsa_system_sgpr_workgroup_id_x 1
		.amdhsa_system_sgpr_workgroup_id_y 0
		.amdhsa_system_sgpr_workgroup_id_z 0
		.amdhsa_system_sgpr_workgroup_info 0
		.amdhsa_system_vgpr_workitem_id 0
		.amdhsa_next_free_vgpr 124
		.amdhsa_next_free_sgpr 42
		.amdhsa_accum_offset 124
		.amdhsa_reserve_vcc 1
		.amdhsa_float_round_mode_32 0
		.amdhsa_float_round_mode_16_64 0
		.amdhsa_float_denorm_mode_32 3
		.amdhsa_float_denorm_mode_16_64 3
		.amdhsa_dx10_clamp 1
		.amdhsa_ieee_mode 1
		.amdhsa_fp16_overflow 0
		.amdhsa_tg_split 0
		.amdhsa_exception_fp_ieee_invalid_op 0
		.amdhsa_exception_fp_denorm_src 0
		.amdhsa_exception_fp_ieee_div_zero 0
		.amdhsa_exception_fp_ieee_overflow 0
		.amdhsa_exception_fp_ieee_underflow 0
		.amdhsa_exception_fp_ieee_inexact 0
		.amdhsa_exception_int_div_zero 0
	.end_amdhsa_kernel
	.section	.text._ZN7rocprim17ROCPRIM_400000_NS6detail17trampoline_kernelINS0_14default_configENS1_25partition_config_selectorILNS1_17partition_subalgoE0EsNS0_10empty_typeEbEEZZNS1_14partition_implILS5_0ELb0ES3_jN6thrust23THRUST_200600_302600_NS6detail15normal_iteratorINSA_10device_ptrIsEEEEPS6_SG_NS0_5tupleIJNSA_16discard_iteratorINSA_11use_defaultEEESF_EEENSH_IJSG_SG_EEES6_PlJ7is_evenIsEEEE10hipError_tPvRmT3_T4_T5_T6_T7_T9_mT8_P12ihipStream_tbDpT10_ENKUlT_T0_E_clISt17integral_constantIbLb1EES19_EEDaS14_S15_EUlS14_E_NS1_11comp_targetILNS1_3genE5ELNS1_11target_archE942ELNS1_3gpuE9ELNS1_3repE0EEENS1_30default_config_static_selectorELNS0_4arch9wavefront6targetE1EEEvT1_,"axG",@progbits,_ZN7rocprim17ROCPRIM_400000_NS6detail17trampoline_kernelINS0_14default_configENS1_25partition_config_selectorILNS1_17partition_subalgoE0EsNS0_10empty_typeEbEEZZNS1_14partition_implILS5_0ELb0ES3_jN6thrust23THRUST_200600_302600_NS6detail15normal_iteratorINSA_10device_ptrIsEEEEPS6_SG_NS0_5tupleIJNSA_16discard_iteratorINSA_11use_defaultEEESF_EEENSH_IJSG_SG_EEES6_PlJ7is_evenIsEEEE10hipError_tPvRmT3_T4_T5_T6_T7_T9_mT8_P12ihipStream_tbDpT10_ENKUlT_T0_E_clISt17integral_constantIbLb1EES19_EEDaS14_S15_EUlS14_E_NS1_11comp_targetILNS1_3genE5ELNS1_11target_archE942ELNS1_3gpuE9ELNS1_3repE0EEENS1_30default_config_static_selectorELNS0_4arch9wavefront6targetE1EEEvT1_,comdat
.Lfunc_end2852:
	.size	_ZN7rocprim17ROCPRIM_400000_NS6detail17trampoline_kernelINS0_14default_configENS1_25partition_config_selectorILNS1_17partition_subalgoE0EsNS0_10empty_typeEbEEZZNS1_14partition_implILS5_0ELb0ES3_jN6thrust23THRUST_200600_302600_NS6detail15normal_iteratorINSA_10device_ptrIsEEEEPS6_SG_NS0_5tupleIJNSA_16discard_iteratorINSA_11use_defaultEEESF_EEENSH_IJSG_SG_EEES6_PlJ7is_evenIsEEEE10hipError_tPvRmT3_T4_T5_T6_T7_T9_mT8_P12ihipStream_tbDpT10_ENKUlT_T0_E_clISt17integral_constantIbLb1EES19_EEDaS14_S15_EUlS14_E_NS1_11comp_targetILNS1_3genE5ELNS1_11target_archE942ELNS1_3gpuE9ELNS1_3repE0EEENS1_30default_config_static_selectorELNS0_4arch9wavefront6targetE1EEEvT1_, .Lfunc_end2852-_ZN7rocprim17ROCPRIM_400000_NS6detail17trampoline_kernelINS0_14default_configENS1_25partition_config_selectorILNS1_17partition_subalgoE0EsNS0_10empty_typeEbEEZZNS1_14partition_implILS5_0ELb0ES3_jN6thrust23THRUST_200600_302600_NS6detail15normal_iteratorINSA_10device_ptrIsEEEEPS6_SG_NS0_5tupleIJNSA_16discard_iteratorINSA_11use_defaultEEESF_EEENSH_IJSG_SG_EEES6_PlJ7is_evenIsEEEE10hipError_tPvRmT3_T4_T5_T6_T7_T9_mT8_P12ihipStream_tbDpT10_ENKUlT_T0_E_clISt17integral_constantIbLb1EES19_EEDaS14_S15_EUlS14_E_NS1_11comp_targetILNS1_3genE5ELNS1_11target_archE942ELNS1_3gpuE9ELNS1_3repE0EEENS1_30default_config_static_selectorELNS0_4arch9wavefront6targetE1EEEvT1_
                                        ; -- End function
	.section	.AMDGPU.csdata,"",@progbits
; Kernel info:
; codeLenInByte = 11312
; NumSgprs: 48
; NumVgprs: 124
; NumAgprs: 0
; TotalNumVgprs: 124
; ScratchSize: 0
; MemoryBound: 0
; FloatMode: 240
; IeeeMode: 1
; LDSByteSize: 30728 bytes/workgroup (compile time only)
; SGPRBlocks: 5
; VGPRBlocks: 15
; NumSGPRsForWavesPerEU: 48
; NumVGPRsForWavesPerEU: 124
; AccumOffset: 124
; Occupancy: 4
; WaveLimiterHint : 1
; COMPUTE_PGM_RSRC2:SCRATCH_EN: 0
; COMPUTE_PGM_RSRC2:USER_SGPR: 2
; COMPUTE_PGM_RSRC2:TRAP_HANDLER: 0
; COMPUTE_PGM_RSRC2:TGID_X_EN: 1
; COMPUTE_PGM_RSRC2:TGID_Y_EN: 0
; COMPUTE_PGM_RSRC2:TGID_Z_EN: 0
; COMPUTE_PGM_RSRC2:TIDIG_COMP_CNT: 0
; COMPUTE_PGM_RSRC3_GFX90A:ACCUM_OFFSET: 30
; COMPUTE_PGM_RSRC3_GFX90A:TG_SPLIT: 0
	.section	.text._ZN7rocprim17ROCPRIM_400000_NS6detail17trampoline_kernelINS0_14default_configENS1_25partition_config_selectorILNS1_17partition_subalgoE0EsNS0_10empty_typeEbEEZZNS1_14partition_implILS5_0ELb0ES3_jN6thrust23THRUST_200600_302600_NS6detail15normal_iteratorINSA_10device_ptrIsEEEEPS6_SG_NS0_5tupleIJNSA_16discard_iteratorINSA_11use_defaultEEESF_EEENSH_IJSG_SG_EEES6_PlJ7is_evenIsEEEE10hipError_tPvRmT3_T4_T5_T6_T7_T9_mT8_P12ihipStream_tbDpT10_ENKUlT_T0_E_clISt17integral_constantIbLb1EES19_EEDaS14_S15_EUlS14_E_NS1_11comp_targetILNS1_3genE4ELNS1_11target_archE910ELNS1_3gpuE8ELNS1_3repE0EEENS1_30default_config_static_selectorELNS0_4arch9wavefront6targetE1EEEvT1_,"axG",@progbits,_ZN7rocprim17ROCPRIM_400000_NS6detail17trampoline_kernelINS0_14default_configENS1_25partition_config_selectorILNS1_17partition_subalgoE0EsNS0_10empty_typeEbEEZZNS1_14partition_implILS5_0ELb0ES3_jN6thrust23THRUST_200600_302600_NS6detail15normal_iteratorINSA_10device_ptrIsEEEEPS6_SG_NS0_5tupleIJNSA_16discard_iteratorINSA_11use_defaultEEESF_EEENSH_IJSG_SG_EEES6_PlJ7is_evenIsEEEE10hipError_tPvRmT3_T4_T5_T6_T7_T9_mT8_P12ihipStream_tbDpT10_ENKUlT_T0_E_clISt17integral_constantIbLb1EES19_EEDaS14_S15_EUlS14_E_NS1_11comp_targetILNS1_3genE4ELNS1_11target_archE910ELNS1_3gpuE8ELNS1_3repE0EEENS1_30default_config_static_selectorELNS0_4arch9wavefront6targetE1EEEvT1_,comdat
	.protected	_ZN7rocprim17ROCPRIM_400000_NS6detail17trampoline_kernelINS0_14default_configENS1_25partition_config_selectorILNS1_17partition_subalgoE0EsNS0_10empty_typeEbEEZZNS1_14partition_implILS5_0ELb0ES3_jN6thrust23THRUST_200600_302600_NS6detail15normal_iteratorINSA_10device_ptrIsEEEEPS6_SG_NS0_5tupleIJNSA_16discard_iteratorINSA_11use_defaultEEESF_EEENSH_IJSG_SG_EEES6_PlJ7is_evenIsEEEE10hipError_tPvRmT3_T4_T5_T6_T7_T9_mT8_P12ihipStream_tbDpT10_ENKUlT_T0_E_clISt17integral_constantIbLb1EES19_EEDaS14_S15_EUlS14_E_NS1_11comp_targetILNS1_3genE4ELNS1_11target_archE910ELNS1_3gpuE8ELNS1_3repE0EEENS1_30default_config_static_selectorELNS0_4arch9wavefront6targetE1EEEvT1_ ; -- Begin function _ZN7rocprim17ROCPRIM_400000_NS6detail17trampoline_kernelINS0_14default_configENS1_25partition_config_selectorILNS1_17partition_subalgoE0EsNS0_10empty_typeEbEEZZNS1_14partition_implILS5_0ELb0ES3_jN6thrust23THRUST_200600_302600_NS6detail15normal_iteratorINSA_10device_ptrIsEEEEPS6_SG_NS0_5tupleIJNSA_16discard_iteratorINSA_11use_defaultEEESF_EEENSH_IJSG_SG_EEES6_PlJ7is_evenIsEEEE10hipError_tPvRmT3_T4_T5_T6_T7_T9_mT8_P12ihipStream_tbDpT10_ENKUlT_T0_E_clISt17integral_constantIbLb1EES19_EEDaS14_S15_EUlS14_E_NS1_11comp_targetILNS1_3genE4ELNS1_11target_archE910ELNS1_3gpuE8ELNS1_3repE0EEENS1_30default_config_static_selectorELNS0_4arch9wavefront6targetE1EEEvT1_
	.globl	_ZN7rocprim17ROCPRIM_400000_NS6detail17trampoline_kernelINS0_14default_configENS1_25partition_config_selectorILNS1_17partition_subalgoE0EsNS0_10empty_typeEbEEZZNS1_14partition_implILS5_0ELb0ES3_jN6thrust23THRUST_200600_302600_NS6detail15normal_iteratorINSA_10device_ptrIsEEEEPS6_SG_NS0_5tupleIJNSA_16discard_iteratorINSA_11use_defaultEEESF_EEENSH_IJSG_SG_EEES6_PlJ7is_evenIsEEEE10hipError_tPvRmT3_T4_T5_T6_T7_T9_mT8_P12ihipStream_tbDpT10_ENKUlT_T0_E_clISt17integral_constantIbLb1EES19_EEDaS14_S15_EUlS14_E_NS1_11comp_targetILNS1_3genE4ELNS1_11target_archE910ELNS1_3gpuE8ELNS1_3repE0EEENS1_30default_config_static_selectorELNS0_4arch9wavefront6targetE1EEEvT1_
	.p2align	8
	.type	_ZN7rocprim17ROCPRIM_400000_NS6detail17trampoline_kernelINS0_14default_configENS1_25partition_config_selectorILNS1_17partition_subalgoE0EsNS0_10empty_typeEbEEZZNS1_14partition_implILS5_0ELb0ES3_jN6thrust23THRUST_200600_302600_NS6detail15normal_iteratorINSA_10device_ptrIsEEEEPS6_SG_NS0_5tupleIJNSA_16discard_iteratorINSA_11use_defaultEEESF_EEENSH_IJSG_SG_EEES6_PlJ7is_evenIsEEEE10hipError_tPvRmT3_T4_T5_T6_T7_T9_mT8_P12ihipStream_tbDpT10_ENKUlT_T0_E_clISt17integral_constantIbLb1EES19_EEDaS14_S15_EUlS14_E_NS1_11comp_targetILNS1_3genE4ELNS1_11target_archE910ELNS1_3gpuE8ELNS1_3repE0EEENS1_30default_config_static_selectorELNS0_4arch9wavefront6targetE1EEEvT1_,@function
_ZN7rocprim17ROCPRIM_400000_NS6detail17trampoline_kernelINS0_14default_configENS1_25partition_config_selectorILNS1_17partition_subalgoE0EsNS0_10empty_typeEbEEZZNS1_14partition_implILS5_0ELb0ES3_jN6thrust23THRUST_200600_302600_NS6detail15normal_iteratorINSA_10device_ptrIsEEEEPS6_SG_NS0_5tupleIJNSA_16discard_iteratorINSA_11use_defaultEEESF_EEENSH_IJSG_SG_EEES6_PlJ7is_evenIsEEEE10hipError_tPvRmT3_T4_T5_T6_T7_T9_mT8_P12ihipStream_tbDpT10_ENKUlT_T0_E_clISt17integral_constantIbLb1EES19_EEDaS14_S15_EUlS14_E_NS1_11comp_targetILNS1_3genE4ELNS1_11target_archE910ELNS1_3gpuE8ELNS1_3repE0EEENS1_30default_config_static_selectorELNS0_4arch9wavefront6targetE1EEEvT1_: ; @_ZN7rocprim17ROCPRIM_400000_NS6detail17trampoline_kernelINS0_14default_configENS1_25partition_config_selectorILNS1_17partition_subalgoE0EsNS0_10empty_typeEbEEZZNS1_14partition_implILS5_0ELb0ES3_jN6thrust23THRUST_200600_302600_NS6detail15normal_iteratorINSA_10device_ptrIsEEEEPS6_SG_NS0_5tupleIJNSA_16discard_iteratorINSA_11use_defaultEEESF_EEENSH_IJSG_SG_EEES6_PlJ7is_evenIsEEEE10hipError_tPvRmT3_T4_T5_T6_T7_T9_mT8_P12ihipStream_tbDpT10_ENKUlT_T0_E_clISt17integral_constantIbLb1EES19_EEDaS14_S15_EUlS14_E_NS1_11comp_targetILNS1_3genE4ELNS1_11target_archE910ELNS1_3gpuE8ELNS1_3repE0EEENS1_30default_config_static_selectorELNS0_4arch9wavefront6targetE1EEEvT1_
; %bb.0:
	.section	.rodata,"a",@progbits
	.p2align	6, 0x0
	.amdhsa_kernel _ZN7rocprim17ROCPRIM_400000_NS6detail17trampoline_kernelINS0_14default_configENS1_25partition_config_selectorILNS1_17partition_subalgoE0EsNS0_10empty_typeEbEEZZNS1_14partition_implILS5_0ELb0ES3_jN6thrust23THRUST_200600_302600_NS6detail15normal_iteratorINSA_10device_ptrIsEEEEPS6_SG_NS0_5tupleIJNSA_16discard_iteratorINSA_11use_defaultEEESF_EEENSH_IJSG_SG_EEES6_PlJ7is_evenIsEEEE10hipError_tPvRmT3_T4_T5_T6_T7_T9_mT8_P12ihipStream_tbDpT10_ENKUlT_T0_E_clISt17integral_constantIbLb1EES19_EEDaS14_S15_EUlS14_E_NS1_11comp_targetILNS1_3genE4ELNS1_11target_archE910ELNS1_3gpuE8ELNS1_3repE0EEENS1_30default_config_static_selectorELNS0_4arch9wavefront6targetE1EEEvT1_
		.amdhsa_group_segment_fixed_size 0
		.amdhsa_private_segment_fixed_size 0
		.amdhsa_kernarg_size 144
		.amdhsa_user_sgpr_count 2
		.amdhsa_user_sgpr_dispatch_ptr 0
		.amdhsa_user_sgpr_queue_ptr 0
		.amdhsa_user_sgpr_kernarg_segment_ptr 1
		.amdhsa_user_sgpr_dispatch_id 0
		.amdhsa_user_sgpr_kernarg_preload_length 0
		.amdhsa_user_sgpr_kernarg_preload_offset 0
		.amdhsa_user_sgpr_private_segment_size 0
		.amdhsa_uses_dynamic_stack 0
		.amdhsa_enable_private_segment 0
		.amdhsa_system_sgpr_workgroup_id_x 1
		.amdhsa_system_sgpr_workgroup_id_y 0
		.amdhsa_system_sgpr_workgroup_id_z 0
		.amdhsa_system_sgpr_workgroup_info 0
		.amdhsa_system_vgpr_workitem_id 0
		.amdhsa_next_free_vgpr 1
		.amdhsa_next_free_sgpr 0
		.amdhsa_accum_offset 4
		.amdhsa_reserve_vcc 0
		.amdhsa_float_round_mode_32 0
		.amdhsa_float_round_mode_16_64 0
		.amdhsa_float_denorm_mode_32 3
		.amdhsa_float_denorm_mode_16_64 3
		.amdhsa_dx10_clamp 1
		.amdhsa_ieee_mode 1
		.amdhsa_fp16_overflow 0
		.amdhsa_tg_split 0
		.amdhsa_exception_fp_ieee_invalid_op 0
		.amdhsa_exception_fp_denorm_src 0
		.amdhsa_exception_fp_ieee_div_zero 0
		.amdhsa_exception_fp_ieee_overflow 0
		.amdhsa_exception_fp_ieee_underflow 0
		.amdhsa_exception_fp_ieee_inexact 0
		.amdhsa_exception_int_div_zero 0
	.end_amdhsa_kernel
	.section	.text._ZN7rocprim17ROCPRIM_400000_NS6detail17trampoline_kernelINS0_14default_configENS1_25partition_config_selectorILNS1_17partition_subalgoE0EsNS0_10empty_typeEbEEZZNS1_14partition_implILS5_0ELb0ES3_jN6thrust23THRUST_200600_302600_NS6detail15normal_iteratorINSA_10device_ptrIsEEEEPS6_SG_NS0_5tupleIJNSA_16discard_iteratorINSA_11use_defaultEEESF_EEENSH_IJSG_SG_EEES6_PlJ7is_evenIsEEEE10hipError_tPvRmT3_T4_T5_T6_T7_T9_mT8_P12ihipStream_tbDpT10_ENKUlT_T0_E_clISt17integral_constantIbLb1EES19_EEDaS14_S15_EUlS14_E_NS1_11comp_targetILNS1_3genE4ELNS1_11target_archE910ELNS1_3gpuE8ELNS1_3repE0EEENS1_30default_config_static_selectorELNS0_4arch9wavefront6targetE1EEEvT1_,"axG",@progbits,_ZN7rocprim17ROCPRIM_400000_NS6detail17trampoline_kernelINS0_14default_configENS1_25partition_config_selectorILNS1_17partition_subalgoE0EsNS0_10empty_typeEbEEZZNS1_14partition_implILS5_0ELb0ES3_jN6thrust23THRUST_200600_302600_NS6detail15normal_iteratorINSA_10device_ptrIsEEEEPS6_SG_NS0_5tupleIJNSA_16discard_iteratorINSA_11use_defaultEEESF_EEENSH_IJSG_SG_EEES6_PlJ7is_evenIsEEEE10hipError_tPvRmT3_T4_T5_T6_T7_T9_mT8_P12ihipStream_tbDpT10_ENKUlT_T0_E_clISt17integral_constantIbLb1EES19_EEDaS14_S15_EUlS14_E_NS1_11comp_targetILNS1_3genE4ELNS1_11target_archE910ELNS1_3gpuE8ELNS1_3repE0EEENS1_30default_config_static_selectorELNS0_4arch9wavefront6targetE1EEEvT1_,comdat
.Lfunc_end2853:
	.size	_ZN7rocprim17ROCPRIM_400000_NS6detail17trampoline_kernelINS0_14default_configENS1_25partition_config_selectorILNS1_17partition_subalgoE0EsNS0_10empty_typeEbEEZZNS1_14partition_implILS5_0ELb0ES3_jN6thrust23THRUST_200600_302600_NS6detail15normal_iteratorINSA_10device_ptrIsEEEEPS6_SG_NS0_5tupleIJNSA_16discard_iteratorINSA_11use_defaultEEESF_EEENSH_IJSG_SG_EEES6_PlJ7is_evenIsEEEE10hipError_tPvRmT3_T4_T5_T6_T7_T9_mT8_P12ihipStream_tbDpT10_ENKUlT_T0_E_clISt17integral_constantIbLb1EES19_EEDaS14_S15_EUlS14_E_NS1_11comp_targetILNS1_3genE4ELNS1_11target_archE910ELNS1_3gpuE8ELNS1_3repE0EEENS1_30default_config_static_selectorELNS0_4arch9wavefront6targetE1EEEvT1_, .Lfunc_end2853-_ZN7rocprim17ROCPRIM_400000_NS6detail17trampoline_kernelINS0_14default_configENS1_25partition_config_selectorILNS1_17partition_subalgoE0EsNS0_10empty_typeEbEEZZNS1_14partition_implILS5_0ELb0ES3_jN6thrust23THRUST_200600_302600_NS6detail15normal_iteratorINSA_10device_ptrIsEEEEPS6_SG_NS0_5tupleIJNSA_16discard_iteratorINSA_11use_defaultEEESF_EEENSH_IJSG_SG_EEES6_PlJ7is_evenIsEEEE10hipError_tPvRmT3_T4_T5_T6_T7_T9_mT8_P12ihipStream_tbDpT10_ENKUlT_T0_E_clISt17integral_constantIbLb1EES19_EEDaS14_S15_EUlS14_E_NS1_11comp_targetILNS1_3genE4ELNS1_11target_archE910ELNS1_3gpuE8ELNS1_3repE0EEENS1_30default_config_static_selectorELNS0_4arch9wavefront6targetE1EEEvT1_
                                        ; -- End function
	.section	.AMDGPU.csdata,"",@progbits
; Kernel info:
; codeLenInByte = 0
; NumSgprs: 6
; NumVgprs: 0
; NumAgprs: 0
; TotalNumVgprs: 0
; ScratchSize: 0
; MemoryBound: 0
; FloatMode: 240
; IeeeMode: 1
; LDSByteSize: 0 bytes/workgroup (compile time only)
; SGPRBlocks: 0
; VGPRBlocks: 0
; NumSGPRsForWavesPerEU: 6
; NumVGPRsForWavesPerEU: 1
; AccumOffset: 4
; Occupancy: 8
; WaveLimiterHint : 0
; COMPUTE_PGM_RSRC2:SCRATCH_EN: 0
; COMPUTE_PGM_RSRC2:USER_SGPR: 2
; COMPUTE_PGM_RSRC2:TRAP_HANDLER: 0
; COMPUTE_PGM_RSRC2:TGID_X_EN: 1
; COMPUTE_PGM_RSRC2:TGID_Y_EN: 0
; COMPUTE_PGM_RSRC2:TGID_Z_EN: 0
; COMPUTE_PGM_RSRC2:TIDIG_COMP_CNT: 0
; COMPUTE_PGM_RSRC3_GFX90A:ACCUM_OFFSET: 0
; COMPUTE_PGM_RSRC3_GFX90A:TG_SPLIT: 0
	.section	.text._ZN7rocprim17ROCPRIM_400000_NS6detail17trampoline_kernelINS0_14default_configENS1_25partition_config_selectorILNS1_17partition_subalgoE0EsNS0_10empty_typeEbEEZZNS1_14partition_implILS5_0ELb0ES3_jN6thrust23THRUST_200600_302600_NS6detail15normal_iteratorINSA_10device_ptrIsEEEEPS6_SG_NS0_5tupleIJNSA_16discard_iteratorINSA_11use_defaultEEESF_EEENSH_IJSG_SG_EEES6_PlJ7is_evenIsEEEE10hipError_tPvRmT3_T4_T5_T6_T7_T9_mT8_P12ihipStream_tbDpT10_ENKUlT_T0_E_clISt17integral_constantIbLb1EES19_EEDaS14_S15_EUlS14_E_NS1_11comp_targetILNS1_3genE3ELNS1_11target_archE908ELNS1_3gpuE7ELNS1_3repE0EEENS1_30default_config_static_selectorELNS0_4arch9wavefront6targetE1EEEvT1_,"axG",@progbits,_ZN7rocprim17ROCPRIM_400000_NS6detail17trampoline_kernelINS0_14default_configENS1_25partition_config_selectorILNS1_17partition_subalgoE0EsNS0_10empty_typeEbEEZZNS1_14partition_implILS5_0ELb0ES3_jN6thrust23THRUST_200600_302600_NS6detail15normal_iteratorINSA_10device_ptrIsEEEEPS6_SG_NS0_5tupleIJNSA_16discard_iteratorINSA_11use_defaultEEESF_EEENSH_IJSG_SG_EEES6_PlJ7is_evenIsEEEE10hipError_tPvRmT3_T4_T5_T6_T7_T9_mT8_P12ihipStream_tbDpT10_ENKUlT_T0_E_clISt17integral_constantIbLb1EES19_EEDaS14_S15_EUlS14_E_NS1_11comp_targetILNS1_3genE3ELNS1_11target_archE908ELNS1_3gpuE7ELNS1_3repE0EEENS1_30default_config_static_selectorELNS0_4arch9wavefront6targetE1EEEvT1_,comdat
	.protected	_ZN7rocprim17ROCPRIM_400000_NS6detail17trampoline_kernelINS0_14default_configENS1_25partition_config_selectorILNS1_17partition_subalgoE0EsNS0_10empty_typeEbEEZZNS1_14partition_implILS5_0ELb0ES3_jN6thrust23THRUST_200600_302600_NS6detail15normal_iteratorINSA_10device_ptrIsEEEEPS6_SG_NS0_5tupleIJNSA_16discard_iteratorINSA_11use_defaultEEESF_EEENSH_IJSG_SG_EEES6_PlJ7is_evenIsEEEE10hipError_tPvRmT3_T4_T5_T6_T7_T9_mT8_P12ihipStream_tbDpT10_ENKUlT_T0_E_clISt17integral_constantIbLb1EES19_EEDaS14_S15_EUlS14_E_NS1_11comp_targetILNS1_3genE3ELNS1_11target_archE908ELNS1_3gpuE7ELNS1_3repE0EEENS1_30default_config_static_selectorELNS0_4arch9wavefront6targetE1EEEvT1_ ; -- Begin function _ZN7rocprim17ROCPRIM_400000_NS6detail17trampoline_kernelINS0_14default_configENS1_25partition_config_selectorILNS1_17partition_subalgoE0EsNS0_10empty_typeEbEEZZNS1_14partition_implILS5_0ELb0ES3_jN6thrust23THRUST_200600_302600_NS6detail15normal_iteratorINSA_10device_ptrIsEEEEPS6_SG_NS0_5tupleIJNSA_16discard_iteratorINSA_11use_defaultEEESF_EEENSH_IJSG_SG_EEES6_PlJ7is_evenIsEEEE10hipError_tPvRmT3_T4_T5_T6_T7_T9_mT8_P12ihipStream_tbDpT10_ENKUlT_T0_E_clISt17integral_constantIbLb1EES19_EEDaS14_S15_EUlS14_E_NS1_11comp_targetILNS1_3genE3ELNS1_11target_archE908ELNS1_3gpuE7ELNS1_3repE0EEENS1_30default_config_static_selectorELNS0_4arch9wavefront6targetE1EEEvT1_
	.globl	_ZN7rocprim17ROCPRIM_400000_NS6detail17trampoline_kernelINS0_14default_configENS1_25partition_config_selectorILNS1_17partition_subalgoE0EsNS0_10empty_typeEbEEZZNS1_14partition_implILS5_0ELb0ES3_jN6thrust23THRUST_200600_302600_NS6detail15normal_iteratorINSA_10device_ptrIsEEEEPS6_SG_NS0_5tupleIJNSA_16discard_iteratorINSA_11use_defaultEEESF_EEENSH_IJSG_SG_EEES6_PlJ7is_evenIsEEEE10hipError_tPvRmT3_T4_T5_T6_T7_T9_mT8_P12ihipStream_tbDpT10_ENKUlT_T0_E_clISt17integral_constantIbLb1EES19_EEDaS14_S15_EUlS14_E_NS1_11comp_targetILNS1_3genE3ELNS1_11target_archE908ELNS1_3gpuE7ELNS1_3repE0EEENS1_30default_config_static_selectorELNS0_4arch9wavefront6targetE1EEEvT1_
	.p2align	8
	.type	_ZN7rocprim17ROCPRIM_400000_NS6detail17trampoline_kernelINS0_14default_configENS1_25partition_config_selectorILNS1_17partition_subalgoE0EsNS0_10empty_typeEbEEZZNS1_14partition_implILS5_0ELb0ES3_jN6thrust23THRUST_200600_302600_NS6detail15normal_iteratorINSA_10device_ptrIsEEEEPS6_SG_NS0_5tupleIJNSA_16discard_iteratorINSA_11use_defaultEEESF_EEENSH_IJSG_SG_EEES6_PlJ7is_evenIsEEEE10hipError_tPvRmT3_T4_T5_T6_T7_T9_mT8_P12ihipStream_tbDpT10_ENKUlT_T0_E_clISt17integral_constantIbLb1EES19_EEDaS14_S15_EUlS14_E_NS1_11comp_targetILNS1_3genE3ELNS1_11target_archE908ELNS1_3gpuE7ELNS1_3repE0EEENS1_30default_config_static_selectorELNS0_4arch9wavefront6targetE1EEEvT1_,@function
_ZN7rocprim17ROCPRIM_400000_NS6detail17trampoline_kernelINS0_14default_configENS1_25partition_config_selectorILNS1_17partition_subalgoE0EsNS0_10empty_typeEbEEZZNS1_14partition_implILS5_0ELb0ES3_jN6thrust23THRUST_200600_302600_NS6detail15normal_iteratorINSA_10device_ptrIsEEEEPS6_SG_NS0_5tupleIJNSA_16discard_iteratorINSA_11use_defaultEEESF_EEENSH_IJSG_SG_EEES6_PlJ7is_evenIsEEEE10hipError_tPvRmT3_T4_T5_T6_T7_T9_mT8_P12ihipStream_tbDpT10_ENKUlT_T0_E_clISt17integral_constantIbLb1EES19_EEDaS14_S15_EUlS14_E_NS1_11comp_targetILNS1_3genE3ELNS1_11target_archE908ELNS1_3gpuE7ELNS1_3repE0EEENS1_30default_config_static_selectorELNS0_4arch9wavefront6targetE1EEEvT1_: ; @_ZN7rocprim17ROCPRIM_400000_NS6detail17trampoline_kernelINS0_14default_configENS1_25partition_config_selectorILNS1_17partition_subalgoE0EsNS0_10empty_typeEbEEZZNS1_14partition_implILS5_0ELb0ES3_jN6thrust23THRUST_200600_302600_NS6detail15normal_iteratorINSA_10device_ptrIsEEEEPS6_SG_NS0_5tupleIJNSA_16discard_iteratorINSA_11use_defaultEEESF_EEENSH_IJSG_SG_EEES6_PlJ7is_evenIsEEEE10hipError_tPvRmT3_T4_T5_T6_T7_T9_mT8_P12ihipStream_tbDpT10_ENKUlT_T0_E_clISt17integral_constantIbLb1EES19_EEDaS14_S15_EUlS14_E_NS1_11comp_targetILNS1_3genE3ELNS1_11target_archE908ELNS1_3gpuE7ELNS1_3repE0EEENS1_30default_config_static_selectorELNS0_4arch9wavefront6targetE1EEEvT1_
; %bb.0:
	.section	.rodata,"a",@progbits
	.p2align	6, 0x0
	.amdhsa_kernel _ZN7rocprim17ROCPRIM_400000_NS6detail17trampoline_kernelINS0_14default_configENS1_25partition_config_selectorILNS1_17partition_subalgoE0EsNS0_10empty_typeEbEEZZNS1_14partition_implILS5_0ELb0ES3_jN6thrust23THRUST_200600_302600_NS6detail15normal_iteratorINSA_10device_ptrIsEEEEPS6_SG_NS0_5tupleIJNSA_16discard_iteratorINSA_11use_defaultEEESF_EEENSH_IJSG_SG_EEES6_PlJ7is_evenIsEEEE10hipError_tPvRmT3_T4_T5_T6_T7_T9_mT8_P12ihipStream_tbDpT10_ENKUlT_T0_E_clISt17integral_constantIbLb1EES19_EEDaS14_S15_EUlS14_E_NS1_11comp_targetILNS1_3genE3ELNS1_11target_archE908ELNS1_3gpuE7ELNS1_3repE0EEENS1_30default_config_static_selectorELNS0_4arch9wavefront6targetE1EEEvT1_
		.amdhsa_group_segment_fixed_size 0
		.amdhsa_private_segment_fixed_size 0
		.amdhsa_kernarg_size 144
		.amdhsa_user_sgpr_count 2
		.amdhsa_user_sgpr_dispatch_ptr 0
		.amdhsa_user_sgpr_queue_ptr 0
		.amdhsa_user_sgpr_kernarg_segment_ptr 1
		.amdhsa_user_sgpr_dispatch_id 0
		.amdhsa_user_sgpr_kernarg_preload_length 0
		.amdhsa_user_sgpr_kernarg_preload_offset 0
		.amdhsa_user_sgpr_private_segment_size 0
		.amdhsa_uses_dynamic_stack 0
		.amdhsa_enable_private_segment 0
		.amdhsa_system_sgpr_workgroup_id_x 1
		.amdhsa_system_sgpr_workgroup_id_y 0
		.amdhsa_system_sgpr_workgroup_id_z 0
		.amdhsa_system_sgpr_workgroup_info 0
		.amdhsa_system_vgpr_workitem_id 0
		.amdhsa_next_free_vgpr 1
		.amdhsa_next_free_sgpr 0
		.amdhsa_accum_offset 4
		.amdhsa_reserve_vcc 0
		.amdhsa_float_round_mode_32 0
		.amdhsa_float_round_mode_16_64 0
		.amdhsa_float_denorm_mode_32 3
		.amdhsa_float_denorm_mode_16_64 3
		.amdhsa_dx10_clamp 1
		.amdhsa_ieee_mode 1
		.amdhsa_fp16_overflow 0
		.amdhsa_tg_split 0
		.amdhsa_exception_fp_ieee_invalid_op 0
		.amdhsa_exception_fp_denorm_src 0
		.amdhsa_exception_fp_ieee_div_zero 0
		.amdhsa_exception_fp_ieee_overflow 0
		.amdhsa_exception_fp_ieee_underflow 0
		.amdhsa_exception_fp_ieee_inexact 0
		.amdhsa_exception_int_div_zero 0
	.end_amdhsa_kernel
	.section	.text._ZN7rocprim17ROCPRIM_400000_NS6detail17trampoline_kernelINS0_14default_configENS1_25partition_config_selectorILNS1_17partition_subalgoE0EsNS0_10empty_typeEbEEZZNS1_14partition_implILS5_0ELb0ES3_jN6thrust23THRUST_200600_302600_NS6detail15normal_iteratorINSA_10device_ptrIsEEEEPS6_SG_NS0_5tupleIJNSA_16discard_iteratorINSA_11use_defaultEEESF_EEENSH_IJSG_SG_EEES6_PlJ7is_evenIsEEEE10hipError_tPvRmT3_T4_T5_T6_T7_T9_mT8_P12ihipStream_tbDpT10_ENKUlT_T0_E_clISt17integral_constantIbLb1EES19_EEDaS14_S15_EUlS14_E_NS1_11comp_targetILNS1_3genE3ELNS1_11target_archE908ELNS1_3gpuE7ELNS1_3repE0EEENS1_30default_config_static_selectorELNS0_4arch9wavefront6targetE1EEEvT1_,"axG",@progbits,_ZN7rocprim17ROCPRIM_400000_NS6detail17trampoline_kernelINS0_14default_configENS1_25partition_config_selectorILNS1_17partition_subalgoE0EsNS0_10empty_typeEbEEZZNS1_14partition_implILS5_0ELb0ES3_jN6thrust23THRUST_200600_302600_NS6detail15normal_iteratorINSA_10device_ptrIsEEEEPS6_SG_NS0_5tupleIJNSA_16discard_iteratorINSA_11use_defaultEEESF_EEENSH_IJSG_SG_EEES6_PlJ7is_evenIsEEEE10hipError_tPvRmT3_T4_T5_T6_T7_T9_mT8_P12ihipStream_tbDpT10_ENKUlT_T0_E_clISt17integral_constantIbLb1EES19_EEDaS14_S15_EUlS14_E_NS1_11comp_targetILNS1_3genE3ELNS1_11target_archE908ELNS1_3gpuE7ELNS1_3repE0EEENS1_30default_config_static_selectorELNS0_4arch9wavefront6targetE1EEEvT1_,comdat
.Lfunc_end2854:
	.size	_ZN7rocprim17ROCPRIM_400000_NS6detail17trampoline_kernelINS0_14default_configENS1_25partition_config_selectorILNS1_17partition_subalgoE0EsNS0_10empty_typeEbEEZZNS1_14partition_implILS5_0ELb0ES3_jN6thrust23THRUST_200600_302600_NS6detail15normal_iteratorINSA_10device_ptrIsEEEEPS6_SG_NS0_5tupleIJNSA_16discard_iteratorINSA_11use_defaultEEESF_EEENSH_IJSG_SG_EEES6_PlJ7is_evenIsEEEE10hipError_tPvRmT3_T4_T5_T6_T7_T9_mT8_P12ihipStream_tbDpT10_ENKUlT_T0_E_clISt17integral_constantIbLb1EES19_EEDaS14_S15_EUlS14_E_NS1_11comp_targetILNS1_3genE3ELNS1_11target_archE908ELNS1_3gpuE7ELNS1_3repE0EEENS1_30default_config_static_selectorELNS0_4arch9wavefront6targetE1EEEvT1_, .Lfunc_end2854-_ZN7rocprim17ROCPRIM_400000_NS6detail17trampoline_kernelINS0_14default_configENS1_25partition_config_selectorILNS1_17partition_subalgoE0EsNS0_10empty_typeEbEEZZNS1_14partition_implILS5_0ELb0ES3_jN6thrust23THRUST_200600_302600_NS6detail15normal_iteratorINSA_10device_ptrIsEEEEPS6_SG_NS0_5tupleIJNSA_16discard_iteratorINSA_11use_defaultEEESF_EEENSH_IJSG_SG_EEES6_PlJ7is_evenIsEEEE10hipError_tPvRmT3_T4_T5_T6_T7_T9_mT8_P12ihipStream_tbDpT10_ENKUlT_T0_E_clISt17integral_constantIbLb1EES19_EEDaS14_S15_EUlS14_E_NS1_11comp_targetILNS1_3genE3ELNS1_11target_archE908ELNS1_3gpuE7ELNS1_3repE0EEENS1_30default_config_static_selectorELNS0_4arch9wavefront6targetE1EEEvT1_
                                        ; -- End function
	.section	.AMDGPU.csdata,"",@progbits
; Kernel info:
; codeLenInByte = 0
; NumSgprs: 6
; NumVgprs: 0
; NumAgprs: 0
; TotalNumVgprs: 0
; ScratchSize: 0
; MemoryBound: 0
; FloatMode: 240
; IeeeMode: 1
; LDSByteSize: 0 bytes/workgroup (compile time only)
; SGPRBlocks: 0
; VGPRBlocks: 0
; NumSGPRsForWavesPerEU: 6
; NumVGPRsForWavesPerEU: 1
; AccumOffset: 4
; Occupancy: 8
; WaveLimiterHint : 0
; COMPUTE_PGM_RSRC2:SCRATCH_EN: 0
; COMPUTE_PGM_RSRC2:USER_SGPR: 2
; COMPUTE_PGM_RSRC2:TRAP_HANDLER: 0
; COMPUTE_PGM_RSRC2:TGID_X_EN: 1
; COMPUTE_PGM_RSRC2:TGID_Y_EN: 0
; COMPUTE_PGM_RSRC2:TGID_Z_EN: 0
; COMPUTE_PGM_RSRC2:TIDIG_COMP_CNT: 0
; COMPUTE_PGM_RSRC3_GFX90A:ACCUM_OFFSET: 0
; COMPUTE_PGM_RSRC3_GFX90A:TG_SPLIT: 0
	.section	.text._ZN7rocprim17ROCPRIM_400000_NS6detail17trampoline_kernelINS0_14default_configENS1_25partition_config_selectorILNS1_17partition_subalgoE0EsNS0_10empty_typeEbEEZZNS1_14partition_implILS5_0ELb0ES3_jN6thrust23THRUST_200600_302600_NS6detail15normal_iteratorINSA_10device_ptrIsEEEEPS6_SG_NS0_5tupleIJNSA_16discard_iteratorINSA_11use_defaultEEESF_EEENSH_IJSG_SG_EEES6_PlJ7is_evenIsEEEE10hipError_tPvRmT3_T4_T5_T6_T7_T9_mT8_P12ihipStream_tbDpT10_ENKUlT_T0_E_clISt17integral_constantIbLb1EES19_EEDaS14_S15_EUlS14_E_NS1_11comp_targetILNS1_3genE2ELNS1_11target_archE906ELNS1_3gpuE6ELNS1_3repE0EEENS1_30default_config_static_selectorELNS0_4arch9wavefront6targetE1EEEvT1_,"axG",@progbits,_ZN7rocprim17ROCPRIM_400000_NS6detail17trampoline_kernelINS0_14default_configENS1_25partition_config_selectorILNS1_17partition_subalgoE0EsNS0_10empty_typeEbEEZZNS1_14partition_implILS5_0ELb0ES3_jN6thrust23THRUST_200600_302600_NS6detail15normal_iteratorINSA_10device_ptrIsEEEEPS6_SG_NS0_5tupleIJNSA_16discard_iteratorINSA_11use_defaultEEESF_EEENSH_IJSG_SG_EEES6_PlJ7is_evenIsEEEE10hipError_tPvRmT3_T4_T5_T6_T7_T9_mT8_P12ihipStream_tbDpT10_ENKUlT_T0_E_clISt17integral_constantIbLb1EES19_EEDaS14_S15_EUlS14_E_NS1_11comp_targetILNS1_3genE2ELNS1_11target_archE906ELNS1_3gpuE6ELNS1_3repE0EEENS1_30default_config_static_selectorELNS0_4arch9wavefront6targetE1EEEvT1_,comdat
	.protected	_ZN7rocprim17ROCPRIM_400000_NS6detail17trampoline_kernelINS0_14default_configENS1_25partition_config_selectorILNS1_17partition_subalgoE0EsNS0_10empty_typeEbEEZZNS1_14partition_implILS5_0ELb0ES3_jN6thrust23THRUST_200600_302600_NS6detail15normal_iteratorINSA_10device_ptrIsEEEEPS6_SG_NS0_5tupleIJNSA_16discard_iteratorINSA_11use_defaultEEESF_EEENSH_IJSG_SG_EEES6_PlJ7is_evenIsEEEE10hipError_tPvRmT3_T4_T5_T6_T7_T9_mT8_P12ihipStream_tbDpT10_ENKUlT_T0_E_clISt17integral_constantIbLb1EES19_EEDaS14_S15_EUlS14_E_NS1_11comp_targetILNS1_3genE2ELNS1_11target_archE906ELNS1_3gpuE6ELNS1_3repE0EEENS1_30default_config_static_selectorELNS0_4arch9wavefront6targetE1EEEvT1_ ; -- Begin function _ZN7rocprim17ROCPRIM_400000_NS6detail17trampoline_kernelINS0_14default_configENS1_25partition_config_selectorILNS1_17partition_subalgoE0EsNS0_10empty_typeEbEEZZNS1_14partition_implILS5_0ELb0ES3_jN6thrust23THRUST_200600_302600_NS6detail15normal_iteratorINSA_10device_ptrIsEEEEPS6_SG_NS0_5tupleIJNSA_16discard_iteratorINSA_11use_defaultEEESF_EEENSH_IJSG_SG_EEES6_PlJ7is_evenIsEEEE10hipError_tPvRmT3_T4_T5_T6_T7_T9_mT8_P12ihipStream_tbDpT10_ENKUlT_T0_E_clISt17integral_constantIbLb1EES19_EEDaS14_S15_EUlS14_E_NS1_11comp_targetILNS1_3genE2ELNS1_11target_archE906ELNS1_3gpuE6ELNS1_3repE0EEENS1_30default_config_static_selectorELNS0_4arch9wavefront6targetE1EEEvT1_
	.globl	_ZN7rocprim17ROCPRIM_400000_NS6detail17trampoline_kernelINS0_14default_configENS1_25partition_config_selectorILNS1_17partition_subalgoE0EsNS0_10empty_typeEbEEZZNS1_14partition_implILS5_0ELb0ES3_jN6thrust23THRUST_200600_302600_NS6detail15normal_iteratorINSA_10device_ptrIsEEEEPS6_SG_NS0_5tupleIJNSA_16discard_iteratorINSA_11use_defaultEEESF_EEENSH_IJSG_SG_EEES6_PlJ7is_evenIsEEEE10hipError_tPvRmT3_T4_T5_T6_T7_T9_mT8_P12ihipStream_tbDpT10_ENKUlT_T0_E_clISt17integral_constantIbLb1EES19_EEDaS14_S15_EUlS14_E_NS1_11comp_targetILNS1_3genE2ELNS1_11target_archE906ELNS1_3gpuE6ELNS1_3repE0EEENS1_30default_config_static_selectorELNS0_4arch9wavefront6targetE1EEEvT1_
	.p2align	8
	.type	_ZN7rocprim17ROCPRIM_400000_NS6detail17trampoline_kernelINS0_14default_configENS1_25partition_config_selectorILNS1_17partition_subalgoE0EsNS0_10empty_typeEbEEZZNS1_14partition_implILS5_0ELb0ES3_jN6thrust23THRUST_200600_302600_NS6detail15normal_iteratorINSA_10device_ptrIsEEEEPS6_SG_NS0_5tupleIJNSA_16discard_iteratorINSA_11use_defaultEEESF_EEENSH_IJSG_SG_EEES6_PlJ7is_evenIsEEEE10hipError_tPvRmT3_T4_T5_T6_T7_T9_mT8_P12ihipStream_tbDpT10_ENKUlT_T0_E_clISt17integral_constantIbLb1EES19_EEDaS14_S15_EUlS14_E_NS1_11comp_targetILNS1_3genE2ELNS1_11target_archE906ELNS1_3gpuE6ELNS1_3repE0EEENS1_30default_config_static_selectorELNS0_4arch9wavefront6targetE1EEEvT1_,@function
_ZN7rocprim17ROCPRIM_400000_NS6detail17trampoline_kernelINS0_14default_configENS1_25partition_config_selectorILNS1_17partition_subalgoE0EsNS0_10empty_typeEbEEZZNS1_14partition_implILS5_0ELb0ES3_jN6thrust23THRUST_200600_302600_NS6detail15normal_iteratorINSA_10device_ptrIsEEEEPS6_SG_NS0_5tupleIJNSA_16discard_iteratorINSA_11use_defaultEEESF_EEENSH_IJSG_SG_EEES6_PlJ7is_evenIsEEEE10hipError_tPvRmT3_T4_T5_T6_T7_T9_mT8_P12ihipStream_tbDpT10_ENKUlT_T0_E_clISt17integral_constantIbLb1EES19_EEDaS14_S15_EUlS14_E_NS1_11comp_targetILNS1_3genE2ELNS1_11target_archE906ELNS1_3gpuE6ELNS1_3repE0EEENS1_30default_config_static_selectorELNS0_4arch9wavefront6targetE1EEEvT1_: ; @_ZN7rocprim17ROCPRIM_400000_NS6detail17trampoline_kernelINS0_14default_configENS1_25partition_config_selectorILNS1_17partition_subalgoE0EsNS0_10empty_typeEbEEZZNS1_14partition_implILS5_0ELb0ES3_jN6thrust23THRUST_200600_302600_NS6detail15normal_iteratorINSA_10device_ptrIsEEEEPS6_SG_NS0_5tupleIJNSA_16discard_iteratorINSA_11use_defaultEEESF_EEENSH_IJSG_SG_EEES6_PlJ7is_evenIsEEEE10hipError_tPvRmT3_T4_T5_T6_T7_T9_mT8_P12ihipStream_tbDpT10_ENKUlT_T0_E_clISt17integral_constantIbLb1EES19_EEDaS14_S15_EUlS14_E_NS1_11comp_targetILNS1_3genE2ELNS1_11target_archE906ELNS1_3gpuE6ELNS1_3repE0EEENS1_30default_config_static_selectorELNS0_4arch9wavefront6targetE1EEEvT1_
; %bb.0:
	.section	.rodata,"a",@progbits
	.p2align	6, 0x0
	.amdhsa_kernel _ZN7rocprim17ROCPRIM_400000_NS6detail17trampoline_kernelINS0_14default_configENS1_25partition_config_selectorILNS1_17partition_subalgoE0EsNS0_10empty_typeEbEEZZNS1_14partition_implILS5_0ELb0ES3_jN6thrust23THRUST_200600_302600_NS6detail15normal_iteratorINSA_10device_ptrIsEEEEPS6_SG_NS0_5tupleIJNSA_16discard_iteratorINSA_11use_defaultEEESF_EEENSH_IJSG_SG_EEES6_PlJ7is_evenIsEEEE10hipError_tPvRmT3_T4_T5_T6_T7_T9_mT8_P12ihipStream_tbDpT10_ENKUlT_T0_E_clISt17integral_constantIbLb1EES19_EEDaS14_S15_EUlS14_E_NS1_11comp_targetILNS1_3genE2ELNS1_11target_archE906ELNS1_3gpuE6ELNS1_3repE0EEENS1_30default_config_static_selectorELNS0_4arch9wavefront6targetE1EEEvT1_
		.amdhsa_group_segment_fixed_size 0
		.amdhsa_private_segment_fixed_size 0
		.amdhsa_kernarg_size 144
		.amdhsa_user_sgpr_count 2
		.amdhsa_user_sgpr_dispatch_ptr 0
		.amdhsa_user_sgpr_queue_ptr 0
		.amdhsa_user_sgpr_kernarg_segment_ptr 1
		.amdhsa_user_sgpr_dispatch_id 0
		.amdhsa_user_sgpr_kernarg_preload_length 0
		.amdhsa_user_sgpr_kernarg_preload_offset 0
		.amdhsa_user_sgpr_private_segment_size 0
		.amdhsa_uses_dynamic_stack 0
		.amdhsa_enable_private_segment 0
		.amdhsa_system_sgpr_workgroup_id_x 1
		.amdhsa_system_sgpr_workgroup_id_y 0
		.amdhsa_system_sgpr_workgroup_id_z 0
		.amdhsa_system_sgpr_workgroup_info 0
		.amdhsa_system_vgpr_workitem_id 0
		.amdhsa_next_free_vgpr 1
		.amdhsa_next_free_sgpr 0
		.amdhsa_accum_offset 4
		.amdhsa_reserve_vcc 0
		.amdhsa_float_round_mode_32 0
		.amdhsa_float_round_mode_16_64 0
		.amdhsa_float_denorm_mode_32 3
		.amdhsa_float_denorm_mode_16_64 3
		.amdhsa_dx10_clamp 1
		.amdhsa_ieee_mode 1
		.amdhsa_fp16_overflow 0
		.amdhsa_tg_split 0
		.amdhsa_exception_fp_ieee_invalid_op 0
		.amdhsa_exception_fp_denorm_src 0
		.amdhsa_exception_fp_ieee_div_zero 0
		.amdhsa_exception_fp_ieee_overflow 0
		.amdhsa_exception_fp_ieee_underflow 0
		.amdhsa_exception_fp_ieee_inexact 0
		.amdhsa_exception_int_div_zero 0
	.end_amdhsa_kernel
	.section	.text._ZN7rocprim17ROCPRIM_400000_NS6detail17trampoline_kernelINS0_14default_configENS1_25partition_config_selectorILNS1_17partition_subalgoE0EsNS0_10empty_typeEbEEZZNS1_14partition_implILS5_0ELb0ES3_jN6thrust23THRUST_200600_302600_NS6detail15normal_iteratorINSA_10device_ptrIsEEEEPS6_SG_NS0_5tupleIJNSA_16discard_iteratorINSA_11use_defaultEEESF_EEENSH_IJSG_SG_EEES6_PlJ7is_evenIsEEEE10hipError_tPvRmT3_T4_T5_T6_T7_T9_mT8_P12ihipStream_tbDpT10_ENKUlT_T0_E_clISt17integral_constantIbLb1EES19_EEDaS14_S15_EUlS14_E_NS1_11comp_targetILNS1_3genE2ELNS1_11target_archE906ELNS1_3gpuE6ELNS1_3repE0EEENS1_30default_config_static_selectorELNS0_4arch9wavefront6targetE1EEEvT1_,"axG",@progbits,_ZN7rocprim17ROCPRIM_400000_NS6detail17trampoline_kernelINS0_14default_configENS1_25partition_config_selectorILNS1_17partition_subalgoE0EsNS0_10empty_typeEbEEZZNS1_14partition_implILS5_0ELb0ES3_jN6thrust23THRUST_200600_302600_NS6detail15normal_iteratorINSA_10device_ptrIsEEEEPS6_SG_NS0_5tupleIJNSA_16discard_iteratorINSA_11use_defaultEEESF_EEENSH_IJSG_SG_EEES6_PlJ7is_evenIsEEEE10hipError_tPvRmT3_T4_T5_T6_T7_T9_mT8_P12ihipStream_tbDpT10_ENKUlT_T0_E_clISt17integral_constantIbLb1EES19_EEDaS14_S15_EUlS14_E_NS1_11comp_targetILNS1_3genE2ELNS1_11target_archE906ELNS1_3gpuE6ELNS1_3repE0EEENS1_30default_config_static_selectorELNS0_4arch9wavefront6targetE1EEEvT1_,comdat
.Lfunc_end2855:
	.size	_ZN7rocprim17ROCPRIM_400000_NS6detail17trampoline_kernelINS0_14default_configENS1_25partition_config_selectorILNS1_17partition_subalgoE0EsNS0_10empty_typeEbEEZZNS1_14partition_implILS5_0ELb0ES3_jN6thrust23THRUST_200600_302600_NS6detail15normal_iteratorINSA_10device_ptrIsEEEEPS6_SG_NS0_5tupleIJNSA_16discard_iteratorINSA_11use_defaultEEESF_EEENSH_IJSG_SG_EEES6_PlJ7is_evenIsEEEE10hipError_tPvRmT3_T4_T5_T6_T7_T9_mT8_P12ihipStream_tbDpT10_ENKUlT_T0_E_clISt17integral_constantIbLb1EES19_EEDaS14_S15_EUlS14_E_NS1_11comp_targetILNS1_3genE2ELNS1_11target_archE906ELNS1_3gpuE6ELNS1_3repE0EEENS1_30default_config_static_selectorELNS0_4arch9wavefront6targetE1EEEvT1_, .Lfunc_end2855-_ZN7rocprim17ROCPRIM_400000_NS6detail17trampoline_kernelINS0_14default_configENS1_25partition_config_selectorILNS1_17partition_subalgoE0EsNS0_10empty_typeEbEEZZNS1_14partition_implILS5_0ELb0ES3_jN6thrust23THRUST_200600_302600_NS6detail15normal_iteratorINSA_10device_ptrIsEEEEPS6_SG_NS0_5tupleIJNSA_16discard_iteratorINSA_11use_defaultEEESF_EEENSH_IJSG_SG_EEES6_PlJ7is_evenIsEEEE10hipError_tPvRmT3_T4_T5_T6_T7_T9_mT8_P12ihipStream_tbDpT10_ENKUlT_T0_E_clISt17integral_constantIbLb1EES19_EEDaS14_S15_EUlS14_E_NS1_11comp_targetILNS1_3genE2ELNS1_11target_archE906ELNS1_3gpuE6ELNS1_3repE0EEENS1_30default_config_static_selectorELNS0_4arch9wavefront6targetE1EEEvT1_
                                        ; -- End function
	.section	.AMDGPU.csdata,"",@progbits
; Kernel info:
; codeLenInByte = 0
; NumSgprs: 6
; NumVgprs: 0
; NumAgprs: 0
; TotalNumVgprs: 0
; ScratchSize: 0
; MemoryBound: 0
; FloatMode: 240
; IeeeMode: 1
; LDSByteSize: 0 bytes/workgroup (compile time only)
; SGPRBlocks: 0
; VGPRBlocks: 0
; NumSGPRsForWavesPerEU: 6
; NumVGPRsForWavesPerEU: 1
; AccumOffset: 4
; Occupancy: 8
; WaveLimiterHint : 0
; COMPUTE_PGM_RSRC2:SCRATCH_EN: 0
; COMPUTE_PGM_RSRC2:USER_SGPR: 2
; COMPUTE_PGM_RSRC2:TRAP_HANDLER: 0
; COMPUTE_PGM_RSRC2:TGID_X_EN: 1
; COMPUTE_PGM_RSRC2:TGID_Y_EN: 0
; COMPUTE_PGM_RSRC2:TGID_Z_EN: 0
; COMPUTE_PGM_RSRC2:TIDIG_COMP_CNT: 0
; COMPUTE_PGM_RSRC3_GFX90A:ACCUM_OFFSET: 0
; COMPUTE_PGM_RSRC3_GFX90A:TG_SPLIT: 0
	.section	.text._ZN7rocprim17ROCPRIM_400000_NS6detail17trampoline_kernelINS0_14default_configENS1_25partition_config_selectorILNS1_17partition_subalgoE0EsNS0_10empty_typeEbEEZZNS1_14partition_implILS5_0ELb0ES3_jN6thrust23THRUST_200600_302600_NS6detail15normal_iteratorINSA_10device_ptrIsEEEEPS6_SG_NS0_5tupleIJNSA_16discard_iteratorINSA_11use_defaultEEESF_EEENSH_IJSG_SG_EEES6_PlJ7is_evenIsEEEE10hipError_tPvRmT3_T4_T5_T6_T7_T9_mT8_P12ihipStream_tbDpT10_ENKUlT_T0_E_clISt17integral_constantIbLb1EES19_EEDaS14_S15_EUlS14_E_NS1_11comp_targetILNS1_3genE10ELNS1_11target_archE1200ELNS1_3gpuE4ELNS1_3repE0EEENS1_30default_config_static_selectorELNS0_4arch9wavefront6targetE1EEEvT1_,"axG",@progbits,_ZN7rocprim17ROCPRIM_400000_NS6detail17trampoline_kernelINS0_14default_configENS1_25partition_config_selectorILNS1_17partition_subalgoE0EsNS0_10empty_typeEbEEZZNS1_14partition_implILS5_0ELb0ES3_jN6thrust23THRUST_200600_302600_NS6detail15normal_iteratorINSA_10device_ptrIsEEEEPS6_SG_NS0_5tupleIJNSA_16discard_iteratorINSA_11use_defaultEEESF_EEENSH_IJSG_SG_EEES6_PlJ7is_evenIsEEEE10hipError_tPvRmT3_T4_T5_T6_T7_T9_mT8_P12ihipStream_tbDpT10_ENKUlT_T0_E_clISt17integral_constantIbLb1EES19_EEDaS14_S15_EUlS14_E_NS1_11comp_targetILNS1_3genE10ELNS1_11target_archE1200ELNS1_3gpuE4ELNS1_3repE0EEENS1_30default_config_static_selectorELNS0_4arch9wavefront6targetE1EEEvT1_,comdat
	.protected	_ZN7rocprim17ROCPRIM_400000_NS6detail17trampoline_kernelINS0_14default_configENS1_25partition_config_selectorILNS1_17partition_subalgoE0EsNS0_10empty_typeEbEEZZNS1_14partition_implILS5_0ELb0ES3_jN6thrust23THRUST_200600_302600_NS6detail15normal_iteratorINSA_10device_ptrIsEEEEPS6_SG_NS0_5tupleIJNSA_16discard_iteratorINSA_11use_defaultEEESF_EEENSH_IJSG_SG_EEES6_PlJ7is_evenIsEEEE10hipError_tPvRmT3_T4_T5_T6_T7_T9_mT8_P12ihipStream_tbDpT10_ENKUlT_T0_E_clISt17integral_constantIbLb1EES19_EEDaS14_S15_EUlS14_E_NS1_11comp_targetILNS1_3genE10ELNS1_11target_archE1200ELNS1_3gpuE4ELNS1_3repE0EEENS1_30default_config_static_selectorELNS0_4arch9wavefront6targetE1EEEvT1_ ; -- Begin function _ZN7rocprim17ROCPRIM_400000_NS6detail17trampoline_kernelINS0_14default_configENS1_25partition_config_selectorILNS1_17partition_subalgoE0EsNS0_10empty_typeEbEEZZNS1_14partition_implILS5_0ELb0ES3_jN6thrust23THRUST_200600_302600_NS6detail15normal_iteratorINSA_10device_ptrIsEEEEPS6_SG_NS0_5tupleIJNSA_16discard_iteratorINSA_11use_defaultEEESF_EEENSH_IJSG_SG_EEES6_PlJ7is_evenIsEEEE10hipError_tPvRmT3_T4_T5_T6_T7_T9_mT8_P12ihipStream_tbDpT10_ENKUlT_T0_E_clISt17integral_constantIbLb1EES19_EEDaS14_S15_EUlS14_E_NS1_11comp_targetILNS1_3genE10ELNS1_11target_archE1200ELNS1_3gpuE4ELNS1_3repE0EEENS1_30default_config_static_selectorELNS0_4arch9wavefront6targetE1EEEvT1_
	.globl	_ZN7rocprim17ROCPRIM_400000_NS6detail17trampoline_kernelINS0_14default_configENS1_25partition_config_selectorILNS1_17partition_subalgoE0EsNS0_10empty_typeEbEEZZNS1_14partition_implILS5_0ELb0ES3_jN6thrust23THRUST_200600_302600_NS6detail15normal_iteratorINSA_10device_ptrIsEEEEPS6_SG_NS0_5tupleIJNSA_16discard_iteratorINSA_11use_defaultEEESF_EEENSH_IJSG_SG_EEES6_PlJ7is_evenIsEEEE10hipError_tPvRmT3_T4_T5_T6_T7_T9_mT8_P12ihipStream_tbDpT10_ENKUlT_T0_E_clISt17integral_constantIbLb1EES19_EEDaS14_S15_EUlS14_E_NS1_11comp_targetILNS1_3genE10ELNS1_11target_archE1200ELNS1_3gpuE4ELNS1_3repE0EEENS1_30default_config_static_selectorELNS0_4arch9wavefront6targetE1EEEvT1_
	.p2align	8
	.type	_ZN7rocprim17ROCPRIM_400000_NS6detail17trampoline_kernelINS0_14default_configENS1_25partition_config_selectorILNS1_17partition_subalgoE0EsNS0_10empty_typeEbEEZZNS1_14partition_implILS5_0ELb0ES3_jN6thrust23THRUST_200600_302600_NS6detail15normal_iteratorINSA_10device_ptrIsEEEEPS6_SG_NS0_5tupleIJNSA_16discard_iteratorINSA_11use_defaultEEESF_EEENSH_IJSG_SG_EEES6_PlJ7is_evenIsEEEE10hipError_tPvRmT3_T4_T5_T6_T7_T9_mT8_P12ihipStream_tbDpT10_ENKUlT_T0_E_clISt17integral_constantIbLb1EES19_EEDaS14_S15_EUlS14_E_NS1_11comp_targetILNS1_3genE10ELNS1_11target_archE1200ELNS1_3gpuE4ELNS1_3repE0EEENS1_30default_config_static_selectorELNS0_4arch9wavefront6targetE1EEEvT1_,@function
_ZN7rocprim17ROCPRIM_400000_NS6detail17trampoline_kernelINS0_14default_configENS1_25partition_config_selectorILNS1_17partition_subalgoE0EsNS0_10empty_typeEbEEZZNS1_14partition_implILS5_0ELb0ES3_jN6thrust23THRUST_200600_302600_NS6detail15normal_iteratorINSA_10device_ptrIsEEEEPS6_SG_NS0_5tupleIJNSA_16discard_iteratorINSA_11use_defaultEEESF_EEENSH_IJSG_SG_EEES6_PlJ7is_evenIsEEEE10hipError_tPvRmT3_T4_T5_T6_T7_T9_mT8_P12ihipStream_tbDpT10_ENKUlT_T0_E_clISt17integral_constantIbLb1EES19_EEDaS14_S15_EUlS14_E_NS1_11comp_targetILNS1_3genE10ELNS1_11target_archE1200ELNS1_3gpuE4ELNS1_3repE0EEENS1_30default_config_static_selectorELNS0_4arch9wavefront6targetE1EEEvT1_: ; @_ZN7rocprim17ROCPRIM_400000_NS6detail17trampoline_kernelINS0_14default_configENS1_25partition_config_selectorILNS1_17partition_subalgoE0EsNS0_10empty_typeEbEEZZNS1_14partition_implILS5_0ELb0ES3_jN6thrust23THRUST_200600_302600_NS6detail15normal_iteratorINSA_10device_ptrIsEEEEPS6_SG_NS0_5tupleIJNSA_16discard_iteratorINSA_11use_defaultEEESF_EEENSH_IJSG_SG_EEES6_PlJ7is_evenIsEEEE10hipError_tPvRmT3_T4_T5_T6_T7_T9_mT8_P12ihipStream_tbDpT10_ENKUlT_T0_E_clISt17integral_constantIbLb1EES19_EEDaS14_S15_EUlS14_E_NS1_11comp_targetILNS1_3genE10ELNS1_11target_archE1200ELNS1_3gpuE4ELNS1_3repE0EEENS1_30default_config_static_selectorELNS0_4arch9wavefront6targetE1EEEvT1_
; %bb.0:
	.section	.rodata,"a",@progbits
	.p2align	6, 0x0
	.amdhsa_kernel _ZN7rocprim17ROCPRIM_400000_NS6detail17trampoline_kernelINS0_14default_configENS1_25partition_config_selectorILNS1_17partition_subalgoE0EsNS0_10empty_typeEbEEZZNS1_14partition_implILS5_0ELb0ES3_jN6thrust23THRUST_200600_302600_NS6detail15normal_iteratorINSA_10device_ptrIsEEEEPS6_SG_NS0_5tupleIJNSA_16discard_iteratorINSA_11use_defaultEEESF_EEENSH_IJSG_SG_EEES6_PlJ7is_evenIsEEEE10hipError_tPvRmT3_T4_T5_T6_T7_T9_mT8_P12ihipStream_tbDpT10_ENKUlT_T0_E_clISt17integral_constantIbLb1EES19_EEDaS14_S15_EUlS14_E_NS1_11comp_targetILNS1_3genE10ELNS1_11target_archE1200ELNS1_3gpuE4ELNS1_3repE0EEENS1_30default_config_static_selectorELNS0_4arch9wavefront6targetE1EEEvT1_
		.amdhsa_group_segment_fixed_size 0
		.amdhsa_private_segment_fixed_size 0
		.amdhsa_kernarg_size 144
		.amdhsa_user_sgpr_count 2
		.amdhsa_user_sgpr_dispatch_ptr 0
		.amdhsa_user_sgpr_queue_ptr 0
		.amdhsa_user_sgpr_kernarg_segment_ptr 1
		.amdhsa_user_sgpr_dispatch_id 0
		.amdhsa_user_sgpr_kernarg_preload_length 0
		.amdhsa_user_sgpr_kernarg_preload_offset 0
		.amdhsa_user_sgpr_private_segment_size 0
		.amdhsa_uses_dynamic_stack 0
		.amdhsa_enable_private_segment 0
		.amdhsa_system_sgpr_workgroup_id_x 1
		.amdhsa_system_sgpr_workgroup_id_y 0
		.amdhsa_system_sgpr_workgroup_id_z 0
		.amdhsa_system_sgpr_workgroup_info 0
		.amdhsa_system_vgpr_workitem_id 0
		.amdhsa_next_free_vgpr 1
		.amdhsa_next_free_sgpr 0
		.amdhsa_accum_offset 4
		.amdhsa_reserve_vcc 0
		.amdhsa_float_round_mode_32 0
		.amdhsa_float_round_mode_16_64 0
		.amdhsa_float_denorm_mode_32 3
		.amdhsa_float_denorm_mode_16_64 3
		.amdhsa_dx10_clamp 1
		.amdhsa_ieee_mode 1
		.amdhsa_fp16_overflow 0
		.amdhsa_tg_split 0
		.amdhsa_exception_fp_ieee_invalid_op 0
		.amdhsa_exception_fp_denorm_src 0
		.amdhsa_exception_fp_ieee_div_zero 0
		.amdhsa_exception_fp_ieee_overflow 0
		.amdhsa_exception_fp_ieee_underflow 0
		.amdhsa_exception_fp_ieee_inexact 0
		.amdhsa_exception_int_div_zero 0
	.end_amdhsa_kernel
	.section	.text._ZN7rocprim17ROCPRIM_400000_NS6detail17trampoline_kernelINS0_14default_configENS1_25partition_config_selectorILNS1_17partition_subalgoE0EsNS0_10empty_typeEbEEZZNS1_14partition_implILS5_0ELb0ES3_jN6thrust23THRUST_200600_302600_NS6detail15normal_iteratorINSA_10device_ptrIsEEEEPS6_SG_NS0_5tupleIJNSA_16discard_iteratorINSA_11use_defaultEEESF_EEENSH_IJSG_SG_EEES6_PlJ7is_evenIsEEEE10hipError_tPvRmT3_T4_T5_T6_T7_T9_mT8_P12ihipStream_tbDpT10_ENKUlT_T0_E_clISt17integral_constantIbLb1EES19_EEDaS14_S15_EUlS14_E_NS1_11comp_targetILNS1_3genE10ELNS1_11target_archE1200ELNS1_3gpuE4ELNS1_3repE0EEENS1_30default_config_static_selectorELNS0_4arch9wavefront6targetE1EEEvT1_,"axG",@progbits,_ZN7rocprim17ROCPRIM_400000_NS6detail17trampoline_kernelINS0_14default_configENS1_25partition_config_selectorILNS1_17partition_subalgoE0EsNS0_10empty_typeEbEEZZNS1_14partition_implILS5_0ELb0ES3_jN6thrust23THRUST_200600_302600_NS6detail15normal_iteratorINSA_10device_ptrIsEEEEPS6_SG_NS0_5tupleIJNSA_16discard_iteratorINSA_11use_defaultEEESF_EEENSH_IJSG_SG_EEES6_PlJ7is_evenIsEEEE10hipError_tPvRmT3_T4_T5_T6_T7_T9_mT8_P12ihipStream_tbDpT10_ENKUlT_T0_E_clISt17integral_constantIbLb1EES19_EEDaS14_S15_EUlS14_E_NS1_11comp_targetILNS1_3genE10ELNS1_11target_archE1200ELNS1_3gpuE4ELNS1_3repE0EEENS1_30default_config_static_selectorELNS0_4arch9wavefront6targetE1EEEvT1_,comdat
.Lfunc_end2856:
	.size	_ZN7rocprim17ROCPRIM_400000_NS6detail17trampoline_kernelINS0_14default_configENS1_25partition_config_selectorILNS1_17partition_subalgoE0EsNS0_10empty_typeEbEEZZNS1_14partition_implILS5_0ELb0ES3_jN6thrust23THRUST_200600_302600_NS6detail15normal_iteratorINSA_10device_ptrIsEEEEPS6_SG_NS0_5tupleIJNSA_16discard_iteratorINSA_11use_defaultEEESF_EEENSH_IJSG_SG_EEES6_PlJ7is_evenIsEEEE10hipError_tPvRmT3_T4_T5_T6_T7_T9_mT8_P12ihipStream_tbDpT10_ENKUlT_T0_E_clISt17integral_constantIbLb1EES19_EEDaS14_S15_EUlS14_E_NS1_11comp_targetILNS1_3genE10ELNS1_11target_archE1200ELNS1_3gpuE4ELNS1_3repE0EEENS1_30default_config_static_selectorELNS0_4arch9wavefront6targetE1EEEvT1_, .Lfunc_end2856-_ZN7rocprim17ROCPRIM_400000_NS6detail17trampoline_kernelINS0_14default_configENS1_25partition_config_selectorILNS1_17partition_subalgoE0EsNS0_10empty_typeEbEEZZNS1_14partition_implILS5_0ELb0ES3_jN6thrust23THRUST_200600_302600_NS6detail15normal_iteratorINSA_10device_ptrIsEEEEPS6_SG_NS0_5tupleIJNSA_16discard_iteratorINSA_11use_defaultEEESF_EEENSH_IJSG_SG_EEES6_PlJ7is_evenIsEEEE10hipError_tPvRmT3_T4_T5_T6_T7_T9_mT8_P12ihipStream_tbDpT10_ENKUlT_T0_E_clISt17integral_constantIbLb1EES19_EEDaS14_S15_EUlS14_E_NS1_11comp_targetILNS1_3genE10ELNS1_11target_archE1200ELNS1_3gpuE4ELNS1_3repE0EEENS1_30default_config_static_selectorELNS0_4arch9wavefront6targetE1EEEvT1_
                                        ; -- End function
	.section	.AMDGPU.csdata,"",@progbits
; Kernel info:
; codeLenInByte = 0
; NumSgprs: 6
; NumVgprs: 0
; NumAgprs: 0
; TotalNumVgprs: 0
; ScratchSize: 0
; MemoryBound: 0
; FloatMode: 240
; IeeeMode: 1
; LDSByteSize: 0 bytes/workgroup (compile time only)
; SGPRBlocks: 0
; VGPRBlocks: 0
; NumSGPRsForWavesPerEU: 6
; NumVGPRsForWavesPerEU: 1
; AccumOffset: 4
; Occupancy: 8
; WaveLimiterHint : 0
; COMPUTE_PGM_RSRC2:SCRATCH_EN: 0
; COMPUTE_PGM_RSRC2:USER_SGPR: 2
; COMPUTE_PGM_RSRC2:TRAP_HANDLER: 0
; COMPUTE_PGM_RSRC2:TGID_X_EN: 1
; COMPUTE_PGM_RSRC2:TGID_Y_EN: 0
; COMPUTE_PGM_RSRC2:TGID_Z_EN: 0
; COMPUTE_PGM_RSRC2:TIDIG_COMP_CNT: 0
; COMPUTE_PGM_RSRC3_GFX90A:ACCUM_OFFSET: 0
; COMPUTE_PGM_RSRC3_GFX90A:TG_SPLIT: 0
	.section	.text._ZN7rocprim17ROCPRIM_400000_NS6detail17trampoline_kernelINS0_14default_configENS1_25partition_config_selectorILNS1_17partition_subalgoE0EsNS0_10empty_typeEbEEZZNS1_14partition_implILS5_0ELb0ES3_jN6thrust23THRUST_200600_302600_NS6detail15normal_iteratorINSA_10device_ptrIsEEEEPS6_SG_NS0_5tupleIJNSA_16discard_iteratorINSA_11use_defaultEEESF_EEENSH_IJSG_SG_EEES6_PlJ7is_evenIsEEEE10hipError_tPvRmT3_T4_T5_T6_T7_T9_mT8_P12ihipStream_tbDpT10_ENKUlT_T0_E_clISt17integral_constantIbLb1EES19_EEDaS14_S15_EUlS14_E_NS1_11comp_targetILNS1_3genE9ELNS1_11target_archE1100ELNS1_3gpuE3ELNS1_3repE0EEENS1_30default_config_static_selectorELNS0_4arch9wavefront6targetE1EEEvT1_,"axG",@progbits,_ZN7rocprim17ROCPRIM_400000_NS6detail17trampoline_kernelINS0_14default_configENS1_25partition_config_selectorILNS1_17partition_subalgoE0EsNS0_10empty_typeEbEEZZNS1_14partition_implILS5_0ELb0ES3_jN6thrust23THRUST_200600_302600_NS6detail15normal_iteratorINSA_10device_ptrIsEEEEPS6_SG_NS0_5tupleIJNSA_16discard_iteratorINSA_11use_defaultEEESF_EEENSH_IJSG_SG_EEES6_PlJ7is_evenIsEEEE10hipError_tPvRmT3_T4_T5_T6_T7_T9_mT8_P12ihipStream_tbDpT10_ENKUlT_T0_E_clISt17integral_constantIbLb1EES19_EEDaS14_S15_EUlS14_E_NS1_11comp_targetILNS1_3genE9ELNS1_11target_archE1100ELNS1_3gpuE3ELNS1_3repE0EEENS1_30default_config_static_selectorELNS0_4arch9wavefront6targetE1EEEvT1_,comdat
	.protected	_ZN7rocprim17ROCPRIM_400000_NS6detail17trampoline_kernelINS0_14default_configENS1_25partition_config_selectorILNS1_17partition_subalgoE0EsNS0_10empty_typeEbEEZZNS1_14partition_implILS5_0ELb0ES3_jN6thrust23THRUST_200600_302600_NS6detail15normal_iteratorINSA_10device_ptrIsEEEEPS6_SG_NS0_5tupleIJNSA_16discard_iteratorINSA_11use_defaultEEESF_EEENSH_IJSG_SG_EEES6_PlJ7is_evenIsEEEE10hipError_tPvRmT3_T4_T5_T6_T7_T9_mT8_P12ihipStream_tbDpT10_ENKUlT_T0_E_clISt17integral_constantIbLb1EES19_EEDaS14_S15_EUlS14_E_NS1_11comp_targetILNS1_3genE9ELNS1_11target_archE1100ELNS1_3gpuE3ELNS1_3repE0EEENS1_30default_config_static_selectorELNS0_4arch9wavefront6targetE1EEEvT1_ ; -- Begin function _ZN7rocprim17ROCPRIM_400000_NS6detail17trampoline_kernelINS0_14default_configENS1_25partition_config_selectorILNS1_17partition_subalgoE0EsNS0_10empty_typeEbEEZZNS1_14partition_implILS5_0ELb0ES3_jN6thrust23THRUST_200600_302600_NS6detail15normal_iteratorINSA_10device_ptrIsEEEEPS6_SG_NS0_5tupleIJNSA_16discard_iteratorINSA_11use_defaultEEESF_EEENSH_IJSG_SG_EEES6_PlJ7is_evenIsEEEE10hipError_tPvRmT3_T4_T5_T6_T7_T9_mT8_P12ihipStream_tbDpT10_ENKUlT_T0_E_clISt17integral_constantIbLb1EES19_EEDaS14_S15_EUlS14_E_NS1_11comp_targetILNS1_3genE9ELNS1_11target_archE1100ELNS1_3gpuE3ELNS1_3repE0EEENS1_30default_config_static_selectorELNS0_4arch9wavefront6targetE1EEEvT1_
	.globl	_ZN7rocprim17ROCPRIM_400000_NS6detail17trampoline_kernelINS0_14default_configENS1_25partition_config_selectorILNS1_17partition_subalgoE0EsNS0_10empty_typeEbEEZZNS1_14partition_implILS5_0ELb0ES3_jN6thrust23THRUST_200600_302600_NS6detail15normal_iteratorINSA_10device_ptrIsEEEEPS6_SG_NS0_5tupleIJNSA_16discard_iteratorINSA_11use_defaultEEESF_EEENSH_IJSG_SG_EEES6_PlJ7is_evenIsEEEE10hipError_tPvRmT3_T4_T5_T6_T7_T9_mT8_P12ihipStream_tbDpT10_ENKUlT_T0_E_clISt17integral_constantIbLb1EES19_EEDaS14_S15_EUlS14_E_NS1_11comp_targetILNS1_3genE9ELNS1_11target_archE1100ELNS1_3gpuE3ELNS1_3repE0EEENS1_30default_config_static_selectorELNS0_4arch9wavefront6targetE1EEEvT1_
	.p2align	8
	.type	_ZN7rocprim17ROCPRIM_400000_NS6detail17trampoline_kernelINS0_14default_configENS1_25partition_config_selectorILNS1_17partition_subalgoE0EsNS0_10empty_typeEbEEZZNS1_14partition_implILS5_0ELb0ES3_jN6thrust23THRUST_200600_302600_NS6detail15normal_iteratorINSA_10device_ptrIsEEEEPS6_SG_NS0_5tupleIJNSA_16discard_iteratorINSA_11use_defaultEEESF_EEENSH_IJSG_SG_EEES6_PlJ7is_evenIsEEEE10hipError_tPvRmT3_T4_T5_T6_T7_T9_mT8_P12ihipStream_tbDpT10_ENKUlT_T0_E_clISt17integral_constantIbLb1EES19_EEDaS14_S15_EUlS14_E_NS1_11comp_targetILNS1_3genE9ELNS1_11target_archE1100ELNS1_3gpuE3ELNS1_3repE0EEENS1_30default_config_static_selectorELNS0_4arch9wavefront6targetE1EEEvT1_,@function
_ZN7rocprim17ROCPRIM_400000_NS6detail17trampoline_kernelINS0_14default_configENS1_25partition_config_selectorILNS1_17partition_subalgoE0EsNS0_10empty_typeEbEEZZNS1_14partition_implILS5_0ELb0ES3_jN6thrust23THRUST_200600_302600_NS6detail15normal_iteratorINSA_10device_ptrIsEEEEPS6_SG_NS0_5tupleIJNSA_16discard_iteratorINSA_11use_defaultEEESF_EEENSH_IJSG_SG_EEES6_PlJ7is_evenIsEEEE10hipError_tPvRmT3_T4_T5_T6_T7_T9_mT8_P12ihipStream_tbDpT10_ENKUlT_T0_E_clISt17integral_constantIbLb1EES19_EEDaS14_S15_EUlS14_E_NS1_11comp_targetILNS1_3genE9ELNS1_11target_archE1100ELNS1_3gpuE3ELNS1_3repE0EEENS1_30default_config_static_selectorELNS0_4arch9wavefront6targetE1EEEvT1_: ; @_ZN7rocprim17ROCPRIM_400000_NS6detail17trampoline_kernelINS0_14default_configENS1_25partition_config_selectorILNS1_17partition_subalgoE0EsNS0_10empty_typeEbEEZZNS1_14partition_implILS5_0ELb0ES3_jN6thrust23THRUST_200600_302600_NS6detail15normal_iteratorINSA_10device_ptrIsEEEEPS6_SG_NS0_5tupleIJNSA_16discard_iteratorINSA_11use_defaultEEESF_EEENSH_IJSG_SG_EEES6_PlJ7is_evenIsEEEE10hipError_tPvRmT3_T4_T5_T6_T7_T9_mT8_P12ihipStream_tbDpT10_ENKUlT_T0_E_clISt17integral_constantIbLb1EES19_EEDaS14_S15_EUlS14_E_NS1_11comp_targetILNS1_3genE9ELNS1_11target_archE1100ELNS1_3gpuE3ELNS1_3repE0EEENS1_30default_config_static_selectorELNS0_4arch9wavefront6targetE1EEEvT1_
; %bb.0:
	.section	.rodata,"a",@progbits
	.p2align	6, 0x0
	.amdhsa_kernel _ZN7rocprim17ROCPRIM_400000_NS6detail17trampoline_kernelINS0_14default_configENS1_25partition_config_selectorILNS1_17partition_subalgoE0EsNS0_10empty_typeEbEEZZNS1_14partition_implILS5_0ELb0ES3_jN6thrust23THRUST_200600_302600_NS6detail15normal_iteratorINSA_10device_ptrIsEEEEPS6_SG_NS0_5tupleIJNSA_16discard_iteratorINSA_11use_defaultEEESF_EEENSH_IJSG_SG_EEES6_PlJ7is_evenIsEEEE10hipError_tPvRmT3_T4_T5_T6_T7_T9_mT8_P12ihipStream_tbDpT10_ENKUlT_T0_E_clISt17integral_constantIbLb1EES19_EEDaS14_S15_EUlS14_E_NS1_11comp_targetILNS1_3genE9ELNS1_11target_archE1100ELNS1_3gpuE3ELNS1_3repE0EEENS1_30default_config_static_selectorELNS0_4arch9wavefront6targetE1EEEvT1_
		.amdhsa_group_segment_fixed_size 0
		.amdhsa_private_segment_fixed_size 0
		.amdhsa_kernarg_size 144
		.amdhsa_user_sgpr_count 2
		.amdhsa_user_sgpr_dispatch_ptr 0
		.amdhsa_user_sgpr_queue_ptr 0
		.amdhsa_user_sgpr_kernarg_segment_ptr 1
		.amdhsa_user_sgpr_dispatch_id 0
		.amdhsa_user_sgpr_kernarg_preload_length 0
		.amdhsa_user_sgpr_kernarg_preload_offset 0
		.amdhsa_user_sgpr_private_segment_size 0
		.amdhsa_uses_dynamic_stack 0
		.amdhsa_enable_private_segment 0
		.amdhsa_system_sgpr_workgroup_id_x 1
		.amdhsa_system_sgpr_workgroup_id_y 0
		.amdhsa_system_sgpr_workgroup_id_z 0
		.amdhsa_system_sgpr_workgroup_info 0
		.amdhsa_system_vgpr_workitem_id 0
		.amdhsa_next_free_vgpr 1
		.amdhsa_next_free_sgpr 0
		.amdhsa_accum_offset 4
		.amdhsa_reserve_vcc 0
		.amdhsa_float_round_mode_32 0
		.amdhsa_float_round_mode_16_64 0
		.amdhsa_float_denorm_mode_32 3
		.amdhsa_float_denorm_mode_16_64 3
		.amdhsa_dx10_clamp 1
		.amdhsa_ieee_mode 1
		.amdhsa_fp16_overflow 0
		.amdhsa_tg_split 0
		.amdhsa_exception_fp_ieee_invalid_op 0
		.amdhsa_exception_fp_denorm_src 0
		.amdhsa_exception_fp_ieee_div_zero 0
		.amdhsa_exception_fp_ieee_overflow 0
		.amdhsa_exception_fp_ieee_underflow 0
		.amdhsa_exception_fp_ieee_inexact 0
		.amdhsa_exception_int_div_zero 0
	.end_amdhsa_kernel
	.section	.text._ZN7rocprim17ROCPRIM_400000_NS6detail17trampoline_kernelINS0_14default_configENS1_25partition_config_selectorILNS1_17partition_subalgoE0EsNS0_10empty_typeEbEEZZNS1_14partition_implILS5_0ELb0ES3_jN6thrust23THRUST_200600_302600_NS6detail15normal_iteratorINSA_10device_ptrIsEEEEPS6_SG_NS0_5tupleIJNSA_16discard_iteratorINSA_11use_defaultEEESF_EEENSH_IJSG_SG_EEES6_PlJ7is_evenIsEEEE10hipError_tPvRmT3_T4_T5_T6_T7_T9_mT8_P12ihipStream_tbDpT10_ENKUlT_T0_E_clISt17integral_constantIbLb1EES19_EEDaS14_S15_EUlS14_E_NS1_11comp_targetILNS1_3genE9ELNS1_11target_archE1100ELNS1_3gpuE3ELNS1_3repE0EEENS1_30default_config_static_selectorELNS0_4arch9wavefront6targetE1EEEvT1_,"axG",@progbits,_ZN7rocprim17ROCPRIM_400000_NS6detail17trampoline_kernelINS0_14default_configENS1_25partition_config_selectorILNS1_17partition_subalgoE0EsNS0_10empty_typeEbEEZZNS1_14partition_implILS5_0ELb0ES3_jN6thrust23THRUST_200600_302600_NS6detail15normal_iteratorINSA_10device_ptrIsEEEEPS6_SG_NS0_5tupleIJNSA_16discard_iteratorINSA_11use_defaultEEESF_EEENSH_IJSG_SG_EEES6_PlJ7is_evenIsEEEE10hipError_tPvRmT3_T4_T5_T6_T7_T9_mT8_P12ihipStream_tbDpT10_ENKUlT_T0_E_clISt17integral_constantIbLb1EES19_EEDaS14_S15_EUlS14_E_NS1_11comp_targetILNS1_3genE9ELNS1_11target_archE1100ELNS1_3gpuE3ELNS1_3repE0EEENS1_30default_config_static_selectorELNS0_4arch9wavefront6targetE1EEEvT1_,comdat
.Lfunc_end2857:
	.size	_ZN7rocprim17ROCPRIM_400000_NS6detail17trampoline_kernelINS0_14default_configENS1_25partition_config_selectorILNS1_17partition_subalgoE0EsNS0_10empty_typeEbEEZZNS1_14partition_implILS5_0ELb0ES3_jN6thrust23THRUST_200600_302600_NS6detail15normal_iteratorINSA_10device_ptrIsEEEEPS6_SG_NS0_5tupleIJNSA_16discard_iteratorINSA_11use_defaultEEESF_EEENSH_IJSG_SG_EEES6_PlJ7is_evenIsEEEE10hipError_tPvRmT3_T4_T5_T6_T7_T9_mT8_P12ihipStream_tbDpT10_ENKUlT_T0_E_clISt17integral_constantIbLb1EES19_EEDaS14_S15_EUlS14_E_NS1_11comp_targetILNS1_3genE9ELNS1_11target_archE1100ELNS1_3gpuE3ELNS1_3repE0EEENS1_30default_config_static_selectorELNS0_4arch9wavefront6targetE1EEEvT1_, .Lfunc_end2857-_ZN7rocprim17ROCPRIM_400000_NS6detail17trampoline_kernelINS0_14default_configENS1_25partition_config_selectorILNS1_17partition_subalgoE0EsNS0_10empty_typeEbEEZZNS1_14partition_implILS5_0ELb0ES3_jN6thrust23THRUST_200600_302600_NS6detail15normal_iteratorINSA_10device_ptrIsEEEEPS6_SG_NS0_5tupleIJNSA_16discard_iteratorINSA_11use_defaultEEESF_EEENSH_IJSG_SG_EEES6_PlJ7is_evenIsEEEE10hipError_tPvRmT3_T4_T5_T6_T7_T9_mT8_P12ihipStream_tbDpT10_ENKUlT_T0_E_clISt17integral_constantIbLb1EES19_EEDaS14_S15_EUlS14_E_NS1_11comp_targetILNS1_3genE9ELNS1_11target_archE1100ELNS1_3gpuE3ELNS1_3repE0EEENS1_30default_config_static_selectorELNS0_4arch9wavefront6targetE1EEEvT1_
                                        ; -- End function
	.section	.AMDGPU.csdata,"",@progbits
; Kernel info:
; codeLenInByte = 0
; NumSgprs: 6
; NumVgprs: 0
; NumAgprs: 0
; TotalNumVgprs: 0
; ScratchSize: 0
; MemoryBound: 0
; FloatMode: 240
; IeeeMode: 1
; LDSByteSize: 0 bytes/workgroup (compile time only)
; SGPRBlocks: 0
; VGPRBlocks: 0
; NumSGPRsForWavesPerEU: 6
; NumVGPRsForWavesPerEU: 1
; AccumOffset: 4
; Occupancy: 8
; WaveLimiterHint : 0
; COMPUTE_PGM_RSRC2:SCRATCH_EN: 0
; COMPUTE_PGM_RSRC2:USER_SGPR: 2
; COMPUTE_PGM_RSRC2:TRAP_HANDLER: 0
; COMPUTE_PGM_RSRC2:TGID_X_EN: 1
; COMPUTE_PGM_RSRC2:TGID_Y_EN: 0
; COMPUTE_PGM_RSRC2:TGID_Z_EN: 0
; COMPUTE_PGM_RSRC2:TIDIG_COMP_CNT: 0
; COMPUTE_PGM_RSRC3_GFX90A:ACCUM_OFFSET: 0
; COMPUTE_PGM_RSRC3_GFX90A:TG_SPLIT: 0
	.section	.text._ZN7rocprim17ROCPRIM_400000_NS6detail17trampoline_kernelINS0_14default_configENS1_25partition_config_selectorILNS1_17partition_subalgoE0EsNS0_10empty_typeEbEEZZNS1_14partition_implILS5_0ELb0ES3_jN6thrust23THRUST_200600_302600_NS6detail15normal_iteratorINSA_10device_ptrIsEEEEPS6_SG_NS0_5tupleIJNSA_16discard_iteratorINSA_11use_defaultEEESF_EEENSH_IJSG_SG_EEES6_PlJ7is_evenIsEEEE10hipError_tPvRmT3_T4_T5_T6_T7_T9_mT8_P12ihipStream_tbDpT10_ENKUlT_T0_E_clISt17integral_constantIbLb1EES19_EEDaS14_S15_EUlS14_E_NS1_11comp_targetILNS1_3genE8ELNS1_11target_archE1030ELNS1_3gpuE2ELNS1_3repE0EEENS1_30default_config_static_selectorELNS0_4arch9wavefront6targetE1EEEvT1_,"axG",@progbits,_ZN7rocprim17ROCPRIM_400000_NS6detail17trampoline_kernelINS0_14default_configENS1_25partition_config_selectorILNS1_17partition_subalgoE0EsNS0_10empty_typeEbEEZZNS1_14partition_implILS5_0ELb0ES3_jN6thrust23THRUST_200600_302600_NS6detail15normal_iteratorINSA_10device_ptrIsEEEEPS6_SG_NS0_5tupleIJNSA_16discard_iteratorINSA_11use_defaultEEESF_EEENSH_IJSG_SG_EEES6_PlJ7is_evenIsEEEE10hipError_tPvRmT3_T4_T5_T6_T7_T9_mT8_P12ihipStream_tbDpT10_ENKUlT_T0_E_clISt17integral_constantIbLb1EES19_EEDaS14_S15_EUlS14_E_NS1_11comp_targetILNS1_3genE8ELNS1_11target_archE1030ELNS1_3gpuE2ELNS1_3repE0EEENS1_30default_config_static_selectorELNS0_4arch9wavefront6targetE1EEEvT1_,comdat
	.protected	_ZN7rocprim17ROCPRIM_400000_NS6detail17trampoline_kernelINS0_14default_configENS1_25partition_config_selectorILNS1_17partition_subalgoE0EsNS0_10empty_typeEbEEZZNS1_14partition_implILS5_0ELb0ES3_jN6thrust23THRUST_200600_302600_NS6detail15normal_iteratorINSA_10device_ptrIsEEEEPS6_SG_NS0_5tupleIJNSA_16discard_iteratorINSA_11use_defaultEEESF_EEENSH_IJSG_SG_EEES6_PlJ7is_evenIsEEEE10hipError_tPvRmT3_T4_T5_T6_T7_T9_mT8_P12ihipStream_tbDpT10_ENKUlT_T0_E_clISt17integral_constantIbLb1EES19_EEDaS14_S15_EUlS14_E_NS1_11comp_targetILNS1_3genE8ELNS1_11target_archE1030ELNS1_3gpuE2ELNS1_3repE0EEENS1_30default_config_static_selectorELNS0_4arch9wavefront6targetE1EEEvT1_ ; -- Begin function _ZN7rocprim17ROCPRIM_400000_NS6detail17trampoline_kernelINS0_14default_configENS1_25partition_config_selectorILNS1_17partition_subalgoE0EsNS0_10empty_typeEbEEZZNS1_14partition_implILS5_0ELb0ES3_jN6thrust23THRUST_200600_302600_NS6detail15normal_iteratorINSA_10device_ptrIsEEEEPS6_SG_NS0_5tupleIJNSA_16discard_iteratorINSA_11use_defaultEEESF_EEENSH_IJSG_SG_EEES6_PlJ7is_evenIsEEEE10hipError_tPvRmT3_T4_T5_T6_T7_T9_mT8_P12ihipStream_tbDpT10_ENKUlT_T0_E_clISt17integral_constantIbLb1EES19_EEDaS14_S15_EUlS14_E_NS1_11comp_targetILNS1_3genE8ELNS1_11target_archE1030ELNS1_3gpuE2ELNS1_3repE0EEENS1_30default_config_static_selectorELNS0_4arch9wavefront6targetE1EEEvT1_
	.globl	_ZN7rocprim17ROCPRIM_400000_NS6detail17trampoline_kernelINS0_14default_configENS1_25partition_config_selectorILNS1_17partition_subalgoE0EsNS0_10empty_typeEbEEZZNS1_14partition_implILS5_0ELb0ES3_jN6thrust23THRUST_200600_302600_NS6detail15normal_iteratorINSA_10device_ptrIsEEEEPS6_SG_NS0_5tupleIJNSA_16discard_iteratorINSA_11use_defaultEEESF_EEENSH_IJSG_SG_EEES6_PlJ7is_evenIsEEEE10hipError_tPvRmT3_T4_T5_T6_T7_T9_mT8_P12ihipStream_tbDpT10_ENKUlT_T0_E_clISt17integral_constantIbLb1EES19_EEDaS14_S15_EUlS14_E_NS1_11comp_targetILNS1_3genE8ELNS1_11target_archE1030ELNS1_3gpuE2ELNS1_3repE0EEENS1_30default_config_static_selectorELNS0_4arch9wavefront6targetE1EEEvT1_
	.p2align	8
	.type	_ZN7rocprim17ROCPRIM_400000_NS6detail17trampoline_kernelINS0_14default_configENS1_25partition_config_selectorILNS1_17partition_subalgoE0EsNS0_10empty_typeEbEEZZNS1_14partition_implILS5_0ELb0ES3_jN6thrust23THRUST_200600_302600_NS6detail15normal_iteratorINSA_10device_ptrIsEEEEPS6_SG_NS0_5tupleIJNSA_16discard_iteratorINSA_11use_defaultEEESF_EEENSH_IJSG_SG_EEES6_PlJ7is_evenIsEEEE10hipError_tPvRmT3_T4_T5_T6_T7_T9_mT8_P12ihipStream_tbDpT10_ENKUlT_T0_E_clISt17integral_constantIbLb1EES19_EEDaS14_S15_EUlS14_E_NS1_11comp_targetILNS1_3genE8ELNS1_11target_archE1030ELNS1_3gpuE2ELNS1_3repE0EEENS1_30default_config_static_selectorELNS0_4arch9wavefront6targetE1EEEvT1_,@function
_ZN7rocprim17ROCPRIM_400000_NS6detail17trampoline_kernelINS0_14default_configENS1_25partition_config_selectorILNS1_17partition_subalgoE0EsNS0_10empty_typeEbEEZZNS1_14partition_implILS5_0ELb0ES3_jN6thrust23THRUST_200600_302600_NS6detail15normal_iteratorINSA_10device_ptrIsEEEEPS6_SG_NS0_5tupleIJNSA_16discard_iteratorINSA_11use_defaultEEESF_EEENSH_IJSG_SG_EEES6_PlJ7is_evenIsEEEE10hipError_tPvRmT3_T4_T5_T6_T7_T9_mT8_P12ihipStream_tbDpT10_ENKUlT_T0_E_clISt17integral_constantIbLb1EES19_EEDaS14_S15_EUlS14_E_NS1_11comp_targetILNS1_3genE8ELNS1_11target_archE1030ELNS1_3gpuE2ELNS1_3repE0EEENS1_30default_config_static_selectorELNS0_4arch9wavefront6targetE1EEEvT1_: ; @_ZN7rocprim17ROCPRIM_400000_NS6detail17trampoline_kernelINS0_14default_configENS1_25partition_config_selectorILNS1_17partition_subalgoE0EsNS0_10empty_typeEbEEZZNS1_14partition_implILS5_0ELb0ES3_jN6thrust23THRUST_200600_302600_NS6detail15normal_iteratorINSA_10device_ptrIsEEEEPS6_SG_NS0_5tupleIJNSA_16discard_iteratorINSA_11use_defaultEEESF_EEENSH_IJSG_SG_EEES6_PlJ7is_evenIsEEEE10hipError_tPvRmT3_T4_T5_T6_T7_T9_mT8_P12ihipStream_tbDpT10_ENKUlT_T0_E_clISt17integral_constantIbLb1EES19_EEDaS14_S15_EUlS14_E_NS1_11comp_targetILNS1_3genE8ELNS1_11target_archE1030ELNS1_3gpuE2ELNS1_3repE0EEENS1_30default_config_static_selectorELNS0_4arch9wavefront6targetE1EEEvT1_
; %bb.0:
	.section	.rodata,"a",@progbits
	.p2align	6, 0x0
	.amdhsa_kernel _ZN7rocprim17ROCPRIM_400000_NS6detail17trampoline_kernelINS0_14default_configENS1_25partition_config_selectorILNS1_17partition_subalgoE0EsNS0_10empty_typeEbEEZZNS1_14partition_implILS5_0ELb0ES3_jN6thrust23THRUST_200600_302600_NS6detail15normal_iteratorINSA_10device_ptrIsEEEEPS6_SG_NS0_5tupleIJNSA_16discard_iteratorINSA_11use_defaultEEESF_EEENSH_IJSG_SG_EEES6_PlJ7is_evenIsEEEE10hipError_tPvRmT3_T4_T5_T6_T7_T9_mT8_P12ihipStream_tbDpT10_ENKUlT_T0_E_clISt17integral_constantIbLb1EES19_EEDaS14_S15_EUlS14_E_NS1_11comp_targetILNS1_3genE8ELNS1_11target_archE1030ELNS1_3gpuE2ELNS1_3repE0EEENS1_30default_config_static_selectorELNS0_4arch9wavefront6targetE1EEEvT1_
		.amdhsa_group_segment_fixed_size 0
		.amdhsa_private_segment_fixed_size 0
		.amdhsa_kernarg_size 144
		.amdhsa_user_sgpr_count 2
		.amdhsa_user_sgpr_dispatch_ptr 0
		.amdhsa_user_sgpr_queue_ptr 0
		.amdhsa_user_sgpr_kernarg_segment_ptr 1
		.amdhsa_user_sgpr_dispatch_id 0
		.amdhsa_user_sgpr_kernarg_preload_length 0
		.amdhsa_user_sgpr_kernarg_preload_offset 0
		.amdhsa_user_sgpr_private_segment_size 0
		.amdhsa_uses_dynamic_stack 0
		.amdhsa_enable_private_segment 0
		.amdhsa_system_sgpr_workgroup_id_x 1
		.amdhsa_system_sgpr_workgroup_id_y 0
		.amdhsa_system_sgpr_workgroup_id_z 0
		.amdhsa_system_sgpr_workgroup_info 0
		.amdhsa_system_vgpr_workitem_id 0
		.amdhsa_next_free_vgpr 1
		.amdhsa_next_free_sgpr 0
		.amdhsa_accum_offset 4
		.amdhsa_reserve_vcc 0
		.amdhsa_float_round_mode_32 0
		.amdhsa_float_round_mode_16_64 0
		.amdhsa_float_denorm_mode_32 3
		.amdhsa_float_denorm_mode_16_64 3
		.amdhsa_dx10_clamp 1
		.amdhsa_ieee_mode 1
		.amdhsa_fp16_overflow 0
		.amdhsa_tg_split 0
		.amdhsa_exception_fp_ieee_invalid_op 0
		.amdhsa_exception_fp_denorm_src 0
		.amdhsa_exception_fp_ieee_div_zero 0
		.amdhsa_exception_fp_ieee_overflow 0
		.amdhsa_exception_fp_ieee_underflow 0
		.amdhsa_exception_fp_ieee_inexact 0
		.amdhsa_exception_int_div_zero 0
	.end_amdhsa_kernel
	.section	.text._ZN7rocprim17ROCPRIM_400000_NS6detail17trampoline_kernelINS0_14default_configENS1_25partition_config_selectorILNS1_17partition_subalgoE0EsNS0_10empty_typeEbEEZZNS1_14partition_implILS5_0ELb0ES3_jN6thrust23THRUST_200600_302600_NS6detail15normal_iteratorINSA_10device_ptrIsEEEEPS6_SG_NS0_5tupleIJNSA_16discard_iteratorINSA_11use_defaultEEESF_EEENSH_IJSG_SG_EEES6_PlJ7is_evenIsEEEE10hipError_tPvRmT3_T4_T5_T6_T7_T9_mT8_P12ihipStream_tbDpT10_ENKUlT_T0_E_clISt17integral_constantIbLb1EES19_EEDaS14_S15_EUlS14_E_NS1_11comp_targetILNS1_3genE8ELNS1_11target_archE1030ELNS1_3gpuE2ELNS1_3repE0EEENS1_30default_config_static_selectorELNS0_4arch9wavefront6targetE1EEEvT1_,"axG",@progbits,_ZN7rocprim17ROCPRIM_400000_NS6detail17trampoline_kernelINS0_14default_configENS1_25partition_config_selectorILNS1_17partition_subalgoE0EsNS0_10empty_typeEbEEZZNS1_14partition_implILS5_0ELb0ES3_jN6thrust23THRUST_200600_302600_NS6detail15normal_iteratorINSA_10device_ptrIsEEEEPS6_SG_NS0_5tupleIJNSA_16discard_iteratorINSA_11use_defaultEEESF_EEENSH_IJSG_SG_EEES6_PlJ7is_evenIsEEEE10hipError_tPvRmT3_T4_T5_T6_T7_T9_mT8_P12ihipStream_tbDpT10_ENKUlT_T0_E_clISt17integral_constantIbLb1EES19_EEDaS14_S15_EUlS14_E_NS1_11comp_targetILNS1_3genE8ELNS1_11target_archE1030ELNS1_3gpuE2ELNS1_3repE0EEENS1_30default_config_static_selectorELNS0_4arch9wavefront6targetE1EEEvT1_,comdat
.Lfunc_end2858:
	.size	_ZN7rocprim17ROCPRIM_400000_NS6detail17trampoline_kernelINS0_14default_configENS1_25partition_config_selectorILNS1_17partition_subalgoE0EsNS0_10empty_typeEbEEZZNS1_14partition_implILS5_0ELb0ES3_jN6thrust23THRUST_200600_302600_NS6detail15normal_iteratorINSA_10device_ptrIsEEEEPS6_SG_NS0_5tupleIJNSA_16discard_iteratorINSA_11use_defaultEEESF_EEENSH_IJSG_SG_EEES6_PlJ7is_evenIsEEEE10hipError_tPvRmT3_T4_T5_T6_T7_T9_mT8_P12ihipStream_tbDpT10_ENKUlT_T0_E_clISt17integral_constantIbLb1EES19_EEDaS14_S15_EUlS14_E_NS1_11comp_targetILNS1_3genE8ELNS1_11target_archE1030ELNS1_3gpuE2ELNS1_3repE0EEENS1_30default_config_static_selectorELNS0_4arch9wavefront6targetE1EEEvT1_, .Lfunc_end2858-_ZN7rocprim17ROCPRIM_400000_NS6detail17trampoline_kernelINS0_14default_configENS1_25partition_config_selectorILNS1_17partition_subalgoE0EsNS0_10empty_typeEbEEZZNS1_14partition_implILS5_0ELb0ES3_jN6thrust23THRUST_200600_302600_NS6detail15normal_iteratorINSA_10device_ptrIsEEEEPS6_SG_NS0_5tupleIJNSA_16discard_iteratorINSA_11use_defaultEEESF_EEENSH_IJSG_SG_EEES6_PlJ7is_evenIsEEEE10hipError_tPvRmT3_T4_T5_T6_T7_T9_mT8_P12ihipStream_tbDpT10_ENKUlT_T0_E_clISt17integral_constantIbLb1EES19_EEDaS14_S15_EUlS14_E_NS1_11comp_targetILNS1_3genE8ELNS1_11target_archE1030ELNS1_3gpuE2ELNS1_3repE0EEENS1_30default_config_static_selectorELNS0_4arch9wavefront6targetE1EEEvT1_
                                        ; -- End function
	.section	.AMDGPU.csdata,"",@progbits
; Kernel info:
; codeLenInByte = 0
; NumSgprs: 6
; NumVgprs: 0
; NumAgprs: 0
; TotalNumVgprs: 0
; ScratchSize: 0
; MemoryBound: 0
; FloatMode: 240
; IeeeMode: 1
; LDSByteSize: 0 bytes/workgroup (compile time only)
; SGPRBlocks: 0
; VGPRBlocks: 0
; NumSGPRsForWavesPerEU: 6
; NumVGPRsForWavesPerEU: 1
; AccumOffset: 4
; Occupancy: 8
; WaveLimiterHint : 0
; COMPUTE_PGM_RSRC2:SCRATCH_EN: 0
; COMPUTE_PGM_RSRC2:USER_SGPR: 2
; COMPUTE_PGM_RSRC2:TRAP_HANDLER: 0
; COMPUTE_PGM_RSRC2:TGID_X_EN: 1
; COMPUTE_PGM_RSRC2:TGID_Y_EN: 0
; COMPUTE_PGM_RSRC2:TGID_Z_EN: 0
; COMPUTE_PGM_RSRC2:TIDIG_COMP_CNT: 0
; COMPUTE_PGM_RSRC3_GFX90A:ACCUM_OFFSET: 0
; COMPUTE_PGM_RSRC3_GFX90A:TG_SPLIT: 0
	.section	.text._ZN7rocprim17ROCPRIM_400000_NS6detail17trampoline_kernelINS0_14default_configENS1_25partition_config_selectorILNS1_17partition_subalgoE0EsNS0_10empty_typeEbEEZZNS1_14partition_implILS5_0ELb0ES3_jN6thrust23THRUST_200600_302600_NS6detail15normal_iteratorINSA_10device_ptrIsEEEEPS6_SG_NS0_5tupleIJNSA_16discard_iteratorINSA_11use_defaultEEESF_EEENSH_IJSG_SG_EEES6_PlJ7is_evenIsEEEE10hipError_tPvRmT3_T4_T5_T6_T7_T9_mT8_P12ihipStream_tbDpT10_ENKUlT_T0_E_clISt17integral_constantIbLb1EES18_IbLb0EEEEDaS14_S15_EUlS14_E_NS1_11comp_targetILNS1_3genE0ELNS1_11target_archE4294967295ELNS1_3gpuE0ELNS1_3repE0EEENS1_30default_config_static_selectorELNS0_4arch9wavefront6targetE1EEEvT1_,"axG",@progbits,_ZN7rocprim17ROCPRIM_400000_NS6detail17trampoline_kernelINS0_14default_configENS1_25partition_config_selectorILNS1_17partition_subalgoE0EsNS0_10empty_typeEbEEZZNS1_14partition_implILS5_0ELb0ES3_jN6thrust23THRUST_200600_302600_NS6detail15normal_iteratorINSA_10device_ptrIsEEEEPS6_SG_NS0_5tupleIJNSA_16discard_iteratorINSA_11use_defaultEEESF_EEENSH_IJSG_SG_EEES6_PlJ7is_evenIsEEEE10hipError_tPvRmT3_T4_T5_T6_T7_T9_mT8_P12ihipStream_tbDpT10_ENKUlT_T0_E_clISt17integral_constantIbLb1EES18_IbLb0EEEEDaS14_S15_EUlS14_E_NS1_11comp_targetILNS1_3genE0ELNS1_11target_archE4294967295ELNS1_3gpuE0ELNS1_3repE0EEENS1_30default_config_static_selectorELNS0_4arch9wavefront6targetE1EEEvT1_,comdat
	.protected	_ZN7rocprim17ROCPRIM_400000_NS6detail17trampoline_kernelINS0_14default_configENS1_25partition_config_selectorILNS1_17partition_subalgoE0EsNS0_10empty_typeEbEEZZNS1_14partition_implILS5_0ELb0ES3_jN6thrust23THRUST_200600_302600_NS6detail15normal_iteratorINSA_10device_ptrIsEEEEPS6_SG_NS0_5tupleIJNSA_16discard_iteratorINSA_11use_defaultEEESF_EEENSH_IJSG_SG_EEES6_PlJ7is_evenIsEEEE10hipError_tPvRmT3_T4_T5_T6_T7_T9_mT8_P12ihipStream_tbDpT10_ENKUlT_T0_E_clISt17integral_constantIbLb1EES18_IbLb0EEEEDaS14_S15_EUlS14_E_NS1_11comp_targetILNS1_3genE0ELNS1_11target_archE4294967295ELNS1_3gpuE0ELNS1_3repE0EEENS1_30default_config_static_selectorELNS0_4arch9wavefront6targetE1EEEvT1_ ; -- Begin function _ZN7rocprim17ROCPRIM_400000_NS6detail17trampoline_kernelINS0_14default_configENS1_25partition_config_selectorILNS1_17partition_subalgoE0EsNS0_10empty_typeEbEEZZNS1_14partition_implILS5_0ELb0ES3_jN6thrust23THRUST_200600_302600_NS6detail15normal_iteratorINSA_10device_ptrIsEEEEPS6_SG_NS0_5tupleIJNSA_16discard_iteratorINSA_11use_defaultEEESF_EEENSH_IJSG_SG_EEES6_PlJ7is_evenIsEEEE10hipError_tPvRmT3_T4_T5_T6_T7_T9_mT8_P12ihipStream_tbDpT10_ENKUlT_T0_E_clISt17integral_constantIbLb1EES18_IbLb0EEEEDaS14_S15_EUlS14_E_NS1_11comp_targetILNS1_3genE0ELNS1_11target_archE4294967295ELNS1_3gpuE0ELNS1_3repE0EEENS1_30default_config_static_selectorELNS0_4arch9wavefront6targetE1EEEvT1_
	.globl	_ZN7rocprim17ROCPRIM_400000_NS6detail17trampoline_kernelINS0_14default_configENS1_25partition_config_selectorILNS1_17partition_subalgoE0EsNS0_10empty_typeEbEEZZNS1_14partition_implILS5_0ELb0ES3_jN6thrust23THRUST_200600_302600_NS6detail15normal_iteratorINSA_10device_ptrIsEEEEPS6_SG_NS0_5tupleIJNSA_16discard_iteratorINSA_11use_defaultEEESF_EEENSH_IJSG_SG_EEES6_PlJ7is_evenIsEEEE10hipError_tPvRmT3_T4_T5_T6_T7_T9_mT8_P12ihipStream_tbDpT10_ENKUlT_T0_E_clISt17integral_constantIbLb1EES18_IbLb0EEEEDaS14_S15_EUlS14_E_NS1_11comp_targetILNS1_3genE0ELNS1_11target_archE4294967295ELNS1_3gpuE0ELNS1_3repE0EEENS1_30default_config_static_selectorELNS0_4arch9wavefront6targetE1EEEvT1_
	.p2align	8
	.type	_ZN7rocprim17ROCPRIM_400000_NS6detail17trampoline_kernelINS0_14default_configENS1_25partition_config_selectorILNS1_17partition_subalgoE0EsNS0_10empty_typeEbEEZZNS1_14partition_implILS5_0ELb0ES3_jN6thrust23THRUST_200600_302600_NS6detail15normal_iteratorINSA_10device_ptrIsEEEEPS6_SG_NS0_5tupleIJNSA_16discard_iteratorINSA_11use_defaultEEESF_EEENSH_IJSG_SG_EEES6_PlJ7is_evenIsEEEE10hipError_tPvRmT3_T4_T5_T6_T7_T9_mT8_P12ihipStream_tbDpT10_ENKUlT_T0_E_clISt17integral_constantIbLb1EES18_IbLb0EEEEDaS14_S15_EUlS14_E_NS1_11comp_targetILNS1_3genE0ELNS1_11target_archE4294967295ELNS1_3gpuE0ELNS1_3repE0EEENS1_30default_config_static_selectorELNS0_4arch9wavefront6targetE1EEEvT1_,@function
_ZN7rocprim17ROCPRIM_400000_NS6detail17trampoline_kernelINS0_14default_configENS1_25partition_config_selectorILNS1_17partition_subalgoE0EsNS0_10empty_typeEbEEZZNS1_14partition_implILS5_0ELb0ES3_jN6thrust23THRUST_200600_302600_NS6detail15normal_iteratorINSA_10device_ptrIsEEEEPS6_SG_NS0_5tupleIJNSA_16discard_iteratorINSA_11use_defaultEEESF_EEENSH_IJSG_SG_EEES6_PlJ7is_evenIsEEEE10hipError_tPvRmT3_T4_T5_T6_T7_T9_mT8_P12ihipStream_tbDpT10_ENKUlT_T0_E_clISt17integral_constantIbLb1EES18_IbLb0EEEEDaS14_S15_EUlS14_E_NS1_11comp_targetILNS1_3genE0ELNS1_11target_archE4294967295ELNS1_3gpuE0ELNS1_3repE0EEENS1_30default_config_static_selectorELNS0_4arch9wavefront6targetE1EEEvT1_: ; @_ZN7rocprim17ROCPRIM_400000_NS6detail17trampoline_kernelINS0_14default_configENS1_25partition_config_selectorILNS1_17partition_subalgoE0EsNS0_10empty_typeEbEEZZNS1_14partition_implILS5_0ELb0ES3_jN6thrust23THRUST_200600_302600_NS6detail15normal_iteratorINSA_10device_ptrIsEEEEPS6_SG_NS0_5tupleIJNSA_16discard_iteratorINSA_11use_defaultEEESF_EEENSH_IJSG_SG_EEES6_PlJ7is_evenIsEEEE10hipError_tPvRmT3_T4_T5_T6_T7_T9_mT8_P12ihipStream_tbDpT10_ENKUlT_T0_E_clISt17integral_constantIbLb1EES18_IbLb0EEEEDaS14_S15_EUlS14_E_NS1_11comp_targetILNS1_3genE0ELNS1_11target_archE4294967295ELNS1_3gpuE0ELNS1_3repE0EEENS1_30default_config_static_selectorELNS0_4arch9wavefront6targetE1EEEvT1_
; %bb.0:
	.section	.rodata,"a",@progbits
	.p2align	6, 0x0
	.amdhsa_kernel _ZN7rocprim17ROCPRIM_400000_NS6detail17trampoline_kernelINS0_14default_configENS1_25partition_config_selectorILNS1_17partition_subalgoE0EsNS0_10empty_typeEbEEZZNS1_14partition_implILS5_0ELb0ES3_jN6thrust23THRUST_200600_302600_NS6detail15normal_iteratorINSA_10device_ptrIsEEEEPS6_SG_NS0_5tupleIJNSA_16discard_iteratorINSA_11use_defaultEEESF_EEENSH_IJSG_SG_EEES6_PlJ7is_evenIsEEEE10hipError_tPvRmT3_T4_T5_T6_T7_T9_mT8_P12ihipStream_tbDpT10_ENKUlT_T0_E_clISt17integral_constantIbLb1EES18_IbLb0EEEEDaS14_S15_EUlS14_E_NS1_11comp_targetILNS1_3genE0ELNS1_11target_archE4294967295ELNS1_3gpuE0ELNS1_3repE0EEENS1_30default_config_static_selectorELNS0_4arch9wavefront6targetE1EEEvT1_
		.amdhsa_group_segment_fixed_size 0
		.amdhsa_private_segment_fixed_size 0
		.amdhsa_kernarg_size 128
		.amdhsa_user_sgpr_count 2
		.amdhsa_user_sgpr_dispatch_ptr 0
		.amdhsa_user_sgpr_queue_ptr 0
		.amdhsa_user_sgpr_kernarg_segment_ptr 1
		.amdhsa_user_sgpr_dispatch_id 0
		.amdhsa_user_sgpr_kernarg_preload_length 0
		.amdhsa_user_sgpr_kernarg_preload_offset 0
		.amdhsa_user_sgpr_private_segment_size 0
		.amdhsa_uses_dynamic_stack 0
		.amdhsa_enable_private_segment 0
		.amdhsa_system_sgpr_workgroup_id_x 1
		.amdhsa_system_sgpr_workgroup_id_y 0
		.amdhsa_system_sgpr_workgroup_id_z 0
		.amdhsa_system_sgpr_workgroup_info 0
		.amdhsa_system_vgpr_workitem_id 0
		.amdhsa_next_free_vgpr 1
		.amdhsa_next_free_sgpr 0
		.amdhsa_accum_offset 4
		.amdhsa_reserve_vcc 0
		.amdhsa_float_round_mode_32 0
		.amdhsa_float_round_mode_16_64 0
		.amdhsa_float_denorm_mode_32 3
		.amdhsa_float_denorm_mode_16_64 3
		.amdhsa_dx10_clamp 1
		.amdhsa_ieee_mode 1
		.amdhsa_fp16_overflow 0
		.amdhsa_tg_split 0
		.amdhsa_exception_fp_ieee_invalid_op 0
		.amdhsa_exception_fp_denorm_src 0
		.amdhsa_exception_fp_ieee_div_zero 0
		.amdhsa_exception_fp_ieee_overflow 0
		.amdhsa_exception_fp_ieee_underflow 0
		.amdhsa_exception_fp_ieee_inexact 0
		.amdhsa_exception_int_div_zero 0
	.end_amdhsa_kernel
	.section	.text._ZN7rocprim17ROCPRIM_400000_NS6detail17trampoline_kernelINS0_14default_configENS1_25partition_config_selectorILNS1_17partition_subalgoE0EsNS0_10empty_typeEbEEZZNS1_14partition_implILS5_0ELb0ES3_jN6thrust23THRUST_200600_302600_NS6detail15normal_iteratorINSA_10device_ptrIsEEEEPS6_SG_NS0_5tupleIJNSA_16discard_iteratorINSA_11use_defaultEEESF_EEENSH_IJSG_SG_EEES6_PlJ7is_evenIsEEEE10hipError_tPvRmT3_T4_T5_T6_T7_T9_mT8_P12ihipStream_tbDpT10_ENKUlT_T0_E_clISt17integral_constantIbLb1EES18_IbLb0EEEEDaS14_S15_EUlS14_E_NS1_11comp_targetILNS1_3genE0ELNS1_11target_archE4294967295ELNS1_3gpuE0ELNS1_3repE0EEENS1_30default_config_static_selectorELNS0_4arch9wavefront6targetE1EEEvT1_,"axG",@progbits,_ZN7rocprim17ROCPRIM_400000_NS6detail17trampoline_kernelINS0_14default_configENS1_25partition_config_selectorILNS1_17partition_subalgoE0EsNS0_10empty_typeEbEEZZNS1_14partition_implILS5_0ELb0ES3_jN6thrust23THRUST_200600_302600_NS6detail15normal_iteratorINSA_10device_ptrIsEEEEPS6_SG_NS0_5tupleIJNSA_16discard_iteratorINSA_11use_defaultEEESF_EEENSH_IJSG_SG_EEES6_PlJ7is_evenIsEEEE10hipError_tPvRmT3_T4_T5_T6_T7_T9_mT8_P12ihipStream_tbDpT10_ENKUlT_T0_E_clISt17integral_constantIbLb1EES18_IbLb0EEEEDaS14_S15_EUlS14_E_NS1_11comp_targetILNS1_3genE0ELNS1_11target_archE4294967295ELNS1_3gpuE0ELNS1_3repE0EEENS1_30default_config_static_selectorELNS0_4arch9wavefront6targetE1EEEvT1_,comdat
.Lfunc_end2859:
	.size	_ZN7rocprim17ROCPRIM_400000_NS6detail17trampoline_kernelINS0_14default_configENS1_25partition_config_selectorILNS1_17partition_subalgoE0EsNS0_10empty_typeEbEEZZNS1_14partition_implILS5_0ELb0ES3_jN6thrust23THRUST_200600_302600_NS6detail15normal_iteratorINSA_10device_ptrIsEEEEPS6_SG_NS0_5tupleIJNSA_16discard_iteratorINSA_11use_defaultEEESF_EEENSH_IJSG_SG_EEES6_PlJ7is_evenIsEEEE10hipError_tPvRmT3_T4_T5_T6_T7_T9_mT8_P12ihipStream_tbDpT10_ENKUlT_T0_E_clISt17integral_constantIbLb1EES18_IbLb0EEEEDaS14_S15_EUlS14_E_NS1_11comp_targetILNS1_3genE0ELNS1_11target_archE4294967295ELNS1_3gpuE0ELNS1_3repE0EEENS1_30default_config_static_selectorELNS0_4arch9wavefront6targetE1EEEvT1_, .Lfunc_end2859-_ZN7rocprim17ROCPRIM_400000_NS6detail17trampoline_kernelINS0_14default_configENS1_25partition_config_selectorILNS1_17partition_subalgoE0EsNS0_10empty_typeEbEEZZNS1_14partition_implILS5_0ELb0ES3_jN6thrust23THRUST_200600_302600_NS6detail15normal_iteratorINSA_10device_ptrIsEEEEPS6_SG_NS0_5tupleIJNSA_16discard_iteratorINSA_11use_defaultEEESF_EEENSH_IJSG_SG_EEES6_PlJ7is_evenIsEEEE10hipError_tPvRmT3_T4_T5_T6_T7_T9_mT8_P12ihipStream_tbDpT10_ENKUlT_T0_E_clISt17integral_constantIbLb1EES18_IbLb0EEEEDaS14_S15_EUlS14_E_NS1_11comp_targetILNS1_3genE0ELNS1_11target_archE4294967295ELNS1_3gpuE0ELNS1_3repE0EEENS1_30default_config_static_selectorELNS0_4arch9wavefront6targetE1EEEvT1_
                                        ; -- End function
	.section	.AMDGPU.csdata,"",@progbits
; Kernel info:
; codeLenInByte = 0
; NumSgprs: 6
; NumVgprs: 0
; NumAgprs: 0
; TotalNumVgprs: 0
; ScratchSize: 0
; MemoryBound: 0
; FloatMode: 240
; IeeeMode: 1
; LDSByteSize: 0 bytes/workgroup (compile time only)
; SGPRBlocks: 0
; VGPRBlocks: 0
; NumSGPRsForWavesPerEU: 6
; NumVGPRsForWavesPerEU: 1
; AccumOffset: 4
; Occupancy: 8
; WaveLimiterHint : 0
; COMPUTE_PGM_RSRC2:SCRATCH_EN: 0
; COMPUTE_PGM_RSRC2:USER_SGPR: 2
; COMPUTE_PGM_RSRC2:TRAP_HANDLER: 0
; COMPUTE_PGM_RSRC2:TGID_X_EN: 1
; COMPUTE_PGM_RSRC2:TGID_Y_EN: 0
; COMPUTE_PGM_RSRC2:TGID_Z_EN: 0
; COMPUTE_PGM_RSRC2:TIDIG_COMP_CNT: 0
; COMPUTE_PGM_RSRC3_GFX90A:ACCUM_OFFSET: 0
; COMPUTE_PGM_RSRC3_GFX90A:TG_SPLIT: 0
	.section	.text._ZN7rocprim17ROCPRIM_400000_NS6detail17trampoline_kernelINS0_14default_configENS1_25partition_config_selectorILNS1_17partition_subalgoE0EsNS0_10empty_typeEbEEZZNS1_14partition_implILS5_0ELb0ES3_jN6thrust23THRUST_200600_302600_NS6detail15normal_iteratorINSA_10device_ptrIsEEEEPS6_SG_NS0_5tupleIJNSA_16discard_iteratorINSA_11use_defaultEEESF_EEENSH_IJSG_SG_EEES6_PlJ7is_evenIsEEEE10hipError_tPvRmT3_T4_T5_T6_T7_T9_mT8_P12ihipStream_tbDpT10_ENKUlT_T0_E_clISt17integral_constantIbLb1EES18_IbLb0EEEEDaS14_S15_EUlS14_E_NS1_11comp_targetILNS1_3genE5ELNS1_11target_archE942ELNS1_3gpuE9ELNS1_3repE0EEENS1_30default_config_static_selectorELNS0_4arch9wavefront6targetE1EEEvT1_,"axG",@progbits,_ZN7rocprim17ROCPRIM_400000_NS6detail17trampoline_kernelINS0_14default_configENS1_25partition_config_selectorILNS1_17partition_subalgoE0EsNS0_10empty_typeEbEEZZNS1_14partition_implILS5_0ELb0ES3_jN6thrust23THRUST_200600_302600_NS6detail15normal_iteratorINSA_10device_ptrIsEEEEPS6_SG_NS0_5tupleIJNSA_16discard_iteratorINSA_11use_defaultEEESF_EEENSH_IJSG_SG_EEES6_PlJ7is_evenIsEEEE10hipError_tPvRmT3_T4_T5_T6_T7_T9_mT8_P12ihipStream_tbDpT10_ENKUlT_T0_E_clISt17integral_constantIbLb1EES18_IbLb0EEEEDaS14_S15_EUlS14_E_NS1_11comp_targetILNS1_3genE5ELNS1_11target_archE942ELNS1_3gpuE9ELNS1_3repE0EEENS1_30default_config_static_selectorELNS0_4arch9wavefront6targetE1EEEvT1_,comdat
	.protected	_ZN7rocprim17ROCPRIM_400000_NS6detail17trampoline_kernelINS0_14default_configENS1_25partition_config_selectorILNS1_17partition_subalgoE0EsNS0_10empty_typeEbEEZZNS1_14partition_implILS5_0ELb0ES3_jN6thrust23THRUST_200600_302600_NS6detail15normal_iteratorINSA_10device_ptrIsEEEEPS6_SG_NS0_5tupleIJNSA_16discard_iteratorINSA_11use_defaultEEESF_EEENSH_IJSG_SG_EEES6_PlJ7is_evenIsEEEE10hipError_tPvRmT3_T4_T5_T6_T7_T9_mT8_P12ihipStream_tbDpT10_ENKUlT_T0_E_clISt17integral_constantIbLb1EES18_IbLb0EEEEDaS14_S15_EUlS14_E_NS1_11comp_targetILNS1_3genE5ELNS1_11target_archE942ELNS1_3gpuE9ELNS1_3repE0EEENS1_30default_config_static_selectorELNS0_4arch9wavefront6targetE1EEEvT1_ ; -- Begin function _ZN7rocprim17ROCPRIM_400000_NS6detail17trampoline_kernelINS0_14default_configENS1_25partition_config_selectorILNS1_17partition_subalgoE0EsNS0_10empty_typeEbEEZZNS1_14partition_implILS5_0ELb0ES3_jN6thrust23THRUST_200600_302600_NS6detail15normal_iteratorINSA_10device_ptrIsEEEEPS6_SG_NS0_5tupleIJNSA_16discard_iteratorINSA_11use_defaultEEESF_EEENSH_IJSG_SG_EEES6_PlJ7is_evenIsEEEE10hipError_tPvRmT3_T4_T5_T6_T7_T9_mT8_P12ihipStream_tbDpT10_ENKUlT_T0_E_clISt17integral_constantIbLb1EES18_IbLb0EEEEDaS14_S15_EUlS14_E_NS1_11comp_targetILNS1_3genE5ELNS1_11target_archE942ELNS1_3gpuE9ELNS1_3repE0EEENS1_30default_config_static_selectorELNS0_4arch9wavefront6targetE1EEEvT1_
	.globl	_ZN7rocprim17ROCPRIM_400000_NS6detail17trampoline_kernelINS0_14default_configENS1_25partition_config_selectorILNS1_17partition_subalgoE0EsNS0_10empty_typeEbEEZZNS1_14partition_implILS5_0ELb0ES3_jN6thrust23THRUST_200600_302600_NS6detail15normal_iteratorINSA_10device_ptrIsEEEEPS6_SG_NS0_5tupleIJNSA_16discard_iteratorINSA_11use_defaultEEESF_EEENSH_IJSG_SG_EEES6_PlJ7is_evenIsEEEE10hipError_tPvRmT3_T4_T5_T6_T7_T9_mT8_P12ihipStream_tbDpT10_ENKUlT_T0_E_clISt17integral_constantIbLb1EES18_IbLb0EEEEDaS14_S15_EUlS14_E_NS1_11comp_targetILNS1_3genE5ELNS1_11target_archE942ELNS1_3gpuE9ELNS1_3repE0EEENS1_30default_config_static_selectorELNS0_4arch9wavefront6targetE1EEEvT1_
	.p2align	8
	.type	_ZN7rocprim17ROCPRIM_400000_NS6detail17trampoline_kernelINS0_14default_configENS1_25partition_config_selectorILNS1_17partition_subalgoE0EsNS0_10empty_typeEbEEZZNS1_14partition_implILS5_0ELb0ES3_jN6thrust23THRUST_200600_302600_NS6detail15normal_iteratorINSA_10device_ptrIsEEEEPS6_SG_NS0_5tupleIJNSA_16discard_iteratorINSA_11use_defaultEEESF_EEENSH_IJSG_SG_EEES6_PlJ7is_evenIsEEEE10hipError_tPvRmT3_T4_T5_T6_T7_T9_mT8_P12ihipStream_tbDpT10_ENKUlT_T0_E_clISt17integral_constantIbLb1EES18_IbLb0EEEEDaS14_S15_EUlS14_E_NS1_11comp_targetILNS1_3genE5ELNS1_11target_archE942ELNS1_3gpuE9ELNS1_3repE0EEENS1_30default_config_static_selectorELNS0_4arch9wavefront6targetE1EEEvT1_,@function
_ZN7rocprim17ROCPRIM_400000_NS6detail17trampoline_kernelINS0_14default_configENS1_25partition_config_selectorILNS1_17partition_subalgoE0EsNS0_10empty_typeEbEEZZNS1_14partition_implILS5_0ELb0ES3_jN6thrust23THRUST_200600_302600_NS6detail15normal_iteratorINSA_10device_ptrIsEEEEPS6_SG_NS0_5tupleIJNSA_16discard_iteratorINSA_11use_defaultEEESF_EEENSH_IJSG_SG_EEES6_PlJ7is_evenIsEEEE10hipError_tPvRmT3_T4_T5_T6_T7_T9_mT8_P12ihipStream_tbDpT10_ENKUlT_T0_E_clISt17integral_constantIbLb1EES18_IbLb0EEEEDaS14_S15_EUlS14_E_NS1_11comp_targetILNS1_3genE5ELNS1_11target_archE942ELNS1_3gpuE9ELNS1_3repE0EEENS1_30default_config_static_selectorELNS0_4arch9wavefront6targetE1EEEvT1_: ; @_ZN7rocprim17ROCPRIM_400000_NS6detail17trampoline_kernelINS0_14default_configENS1_25partition_config_selectorILNS1_17partition_subalgoE0EsNS0_10empty_typeEbEEZZNS1_14partition_implILS5_0ELb0ES3_jN6thrust23THRUST_200600_302600_NS6detail15normal_iteratorINSA_10device_ptrIsEEEEPS6_SG_NS0_5tupleIJNSA_16discard_iteratorINSA_11use_defaultEEESF_EEENSH_IJSG_SG_EEES6_PlJ7is_evenIsEEEE10hipError_tPvRmT3_T4_T5_T6_T7_T9_mT8_P12ihipStream_tbDpT10_ENKUlT_T0_E_clISt17integral_constantIbLb1EES18_IbLb0EEEEDaS14_S15_EUlS14_E_NS1_11comp_targetILNS1_3genE5ELNS1_11target_archE942ELNS1_3gpuE9ELNS1_3repE0EEENS1_30default_config_static_selectorELNS0_4arch9wavefront6targetE1EEEvT1_
; %bb.0:
	s_load_dwordx2 s[4:5], s[0:1], 0x60
	s_load_dwordx4 s[20:23], s[0:1], 0x8
	s_load_dwordx4 s[24:27], s[0:1], 0x50
	s_load_dword s3, s[0:1], 0x78
	s_mul_i32 s8, s2, 0x3c00
	s_waitcnt lgkmcnt(0)
	v_mov_b32_e32 v3, s5
	s_lshl_b64 s[6:7], s[22:23], 1
	s_add_u32 s10, s20, s6
	s_addc_u32 s11, s21, s7
	s_add_i32 s6, s3, -1
	s_mulk_i32 s3, 0x3c00
	s_add_i32 s5, s3, s22
	s_sub_i32 s33, s4, s5
	s_addk_i32 s33, 0x3c00
	v_mov_b32_e32 v2, s4
	s_add_u32 s4, s22, s3
	s_addc_u32 s5, s23, 0
	s_cmp_eq_u32 s2, s6
	s_load_dwordx2 s[28:29], s[26:27], 0x0
	s_cselect_b64 s[26:27], -1, 0
	s_cmp_lg_u32 s2, s6
	s_mov_b32 s9, 0
	v_cmp_lt_u64_e32 vcc, s[4:5], v[2:3]
	s_cselect_b64 s[4:5], -1, 0
	s_or_b64 s[6:7], s[4:5], vcc
	s_lshl_b64 s[30:31], s[8:9], 1
	s_add_u32 s8, s10, s30
	s_addc_u32 s9, s11, s31
	s_mov_b64 s[4:5], -1
	s_and_b64 vcc, exec, s[6:7]
	v_lshlrev_b32_e32 v2, 1, v0
	s_cbranch_vccz .LBB2860_2
; %bb.1:
	v_mov_b32_e32 v3, 0
	v_lshl_add_u64 v[4:5], s[8:9], 0, v[2:3]
	v_add_co_u32_e32 v6, vcc, 0x1000, v4
	s_mov_b64 s[4:5], 0
	s_nop 0
	v_addc_co_u32_e32 v7, vcc, 0, v5, vcc
	flat_load_ushort v1, v[4:5]
	flat_load_ushort v3, v[4:5] offset:1024
	flat_load_ushort v10, v[4:5] offset:2048
	flat_load_ushort v11, v[4:5] offset:3072
	flat_load_ushort v12, v[6:7]
	flat_load_ushort v13, v[6:7] offset:1024
	flat_load_ushort v14, v[6:7] offset:2048
	flat_load_ushort v15, v[6:7] offset:3072
	v_add_co_u32_e32 v6, vcc, 0x2000, v4
	s_nop 1
	v_addc_co_u32_e32 v7, vcc, 0, v5, vcc
	v_add_co_u32_e32 v8, vcc, 0x3000, v4
	s_nop 1
	v_addc_co_u32_e32 v9, vcc, 0, v5, vcc
	flat_load_ushort v16, v[6:7]
	flat_load_ushort v17, v[6:7] offset:1024
	flat_load_ushort v18, v[6:7] offset:2048
	flat_load_ushort v19, v[6:7] offset:3072
	flat_load_ushort v20, v[8:9]
	flat_load_ushort v21, v[8:9] offset:1024
	flat_load_ushort v22, v[8:9] offset:2048
	flat_load_ushort v23, v[8:9] offset:3072
	v_add_co_u32_e32 v6, vcc, 0x4000, v4
	s_nop 1
	v_addc_co_u32_e32 v7, vcc, 0, v5, vcc
	v_add_co_u32_e32 v8, vcc, 0x5000, v4
	;; [unrolled: 14-line block ×3, first 2 shown]
	s_nop 1
	v_addc_co_u32_e32 v5, vcc, 0, v5, vcc
	flat_load_ushort v8, v[6:7]
	flat_load_ushort v9, v[6:7] offset:1024
	flat_load_ushort v32, v[6:7] offset:2048
	flat_load_ushort v33, v[6:7] offset:3072
	flat_load_ushort v34, v[4:5]
	flat_load_ushort v35, v[4:5] offset:1024
	s_waitcnt vmcnt(0) lgkmcnt(0)
	ds_write_b16 v2, v1
	ds_write_b16 v2, v3 offset:1024
	ds_write_b16 v2, v10 offset:2048
	ds_write_b16 v2, v11 offset:3072
	ds_write_b16 v2, v12 offset:4096
	ds_write_b16 v2, v13 offset:5120
	ds_write_b16 v2, v14 offset:6144
	ds_write_b16 v2, v15 offset:7168
	ds_write_b16 v2, v16 offset:8192
	ds_write_b16 v2, v17 offset:9216
	ds_write_b16 v2, v18 offset:10240
	ds_write_b16 v2, v19 offset:11264
	ds_write_b16 v2, v20 offset:12288
	ds_write_b16 v2, v21 offset:13312
	ds_write_b16 v2, v22 offset:14336
	ds_write_b16 v2, v23 offset:15360
	ds_write_b16 v2, v24 offset:16384
	ds_write_b16 v2, v25 offset:17408
	ds_write_b16 v2, v26 offset:18432
	ds_write_b16 v2, v27 offset:19456
	ds_write_b16 v2, v28 offset:20480
	ds_write_b16 v2, v29 offset:21504
	ds_write_b16 v2, v30 offset:22528
	ds_write_b16 v2, v31 offset:23552
	ds_write_b16 v2, v8 offset:24576
	ds_write_b16 v2, v9 offset:25600
	ds_write_b16 v2, v32 offset:26624
	ds_write_b16 v2, v33 offset:27648
	ds_write_b16 v2, v34 offset:28672
	ds_write_b16 v2, v35 offset:29696
	s_waitcnt lgkmcnt(0)
	s_barrier
.LBB2860_2:
	s_andn2_b64 vcc, exec, s[4:5]
	v_cmp_gt_u32_e64 s[4:5], s33, v0
	s_cbranch_vccnz .LBB2860_64
; %bb.3:
                                        ; implicit-def: $vgpr1
	s_and_saveexec_b64 s[10:11], s[4:5]
	s_cbranch_execz .LBB2860_5
; %bb.4:
	v_mov_b32_e32 v3, 0
	v_lshl_add_u64 v[4:5], s[8:9], 0, v[2:3]
	flat_load_ushort v1, v[4:5]
.LBB2860_5:
	s_or_b64 exec, exec, s[10:11]
	v_or_b32_e32 v3, 0x200, v0
	v_cmp_gt_u32_e32 vcc, s33, v3
                                        ; implicit-def: $vgpr4
	s_and_saveexec_b64 s[4:5], vcc
	s_cbranch_execz .LBB2860_7
; %bb.6:
	v_mov_b32_e32 v3, 0
	v_lshl_add_u64 v[4:5], s[8:9], 0, v[2:3]
	flat_load_ushort v4, v[4:5] offset:1024
.LBB2860_7:
	s_or_b64 exec, exec, s[4:5]
	v_or_b32_e32 v3, 0x400, v0
	v_cmp_gt_u32_e32 vcc, s33, v3
                                        ; implicit-def: $vgpr5
	s_and_saveexec_b64 s[4:5], vcc
	s_cbranch_execz .LBB2860_9
; %bb.8:
	v_mov_b32_e32 v3, 0
	v_lshl_add_u64 v[6:7], s[8:9], 0, v[2:3]
	flat_load_ushort v5, v[6:7] offset:2048
.LBB2860_9:
	s_or_b64 exec, exec, s[4:5]
	v_or_b32_e32 v3, 0x600, v0
	v_cmp_gt_u32_e32 vcc, s33, v3
                                        ; implicit-def: $vgpr3
	s_and_saveexec_b64 s[4:5], vcc
	s_cbranch_execz .LBB2860_11
; %bb.10:
	v_mov_b32_e32 v3, 0
	v_lshl_add_u64 v[6:7], s[8:9], 0, v[2:3]
	flat_load_ushort v3, v[6:7] offset:3072
.LBB2860_11:
	s_or_b64 exec, exec, s[4:5]
	v_or_b32_e32 v7, 0x800, v0
	v_cmp_gt_u32_e32 vcc, s33, v7
                                        ; implicit-def: $vgpr6
	s_and_saveexec_b64 s[4:5], vcc
	s_cbranch_execz .LBB2860_13
; %bb.12:
	v_lshlrev_b32_e32 v6, 1, v7
	v_mov_b32_e32 v7, 0
	v_lshl_add_u64 v[6:7], s[8:9], 0, v[6:7]
	flat_load_ushort v6, v[6:7]
.LBB2860_13:
	s_or_b64 exec, exec, s[4:5]
	v_or_b32_e32 v8, 0xa00, v0
	v_cmp_gt_u32_e32 vcc, s33, v8
                                        ; implicit-def: $vgpr7
	s_and_saveexec_b64 s[4:5], vcc
	s_cbranch_execz .LBB2860_15
; %bb.14:
	v_lshlrev_b32_e32 v8, 1, v8
	v_mov_b32_e32 v9, 0
	v_lshl_add_u64 v[8:9], s[8:9], 0, v[8:9]
	flat_load_ushort v7, v[8:9]
.LBB2860_15:
	s_or_b64 exec, exec, s[4:5]
	v_or_b32_e32 v9, 0xc00, v0
	v_cmp_gt_u32_e32 vcc, s33, v9
                                        ; implicit-def: $vgpr8
	s_and_saveexec_b64 s[4:5], vcc
	s_cbranch_execz .LBB2860_17
; %bb.16:
	v_lshlrev_b32_e32 v8, 1, v9
	v_mov_b32_e32 v9, 0
	v_lshl_add_u64 v[8:9], s[8:9], 0, v[8:9]
	flat_load_ushort v8, v[8:9]
.LBB2860_17:
	s_or_b64 exec, exec, s[4:5]
	v_or_b32_e32 v10, 0xe00, v0
	v_cmp_gt_u32_e32 vcc, s33, v10
                                        ; implicit-def: $vgpr9
	s_and_saveexec_b64 s[4:5], vcc
	s_cbranch_execz .LBB2860_19
; %bb.18:
	v_lshlrev_b32_e32 v10, 1, v10
	v_mov_b32_e32 v11, 0
	v_lshl_add_u64 v[10:11], s[8:9], 0, v[10:11]
	flat_load_ushort v9, v[10:11]
.LBB2860_19:
	s_or_b64 exec, exec, s[4:5]
	v_or_b32_e32 v11, 0x1000, v0
	v_cmp_gt_u32_e32 vcc, s33, v11
                                        ; implicit-def: $vgpr10
	s_and_saveexec_b64 s[4:5], vcc
	s_cbranch_execz .LBB2860_21
; %bb.20:
	v_lshlrev_b32_e32 v10, 1, v11
	v_mov_b32_e32 v11, 0
	v_lshl_add_u64 v[10:11], s[8:9], 0, v[10:11]
	flat_load_ushort v10, v[10:11]
.LBB2860_21:
	s_or_b64 exec, exec, s[4:5]
	v_or_b32_e32 v12, 0x1200, v0
	v_cmp_gt_u32_e32 vcc, s33, v12
                                        ; implicit-def: $vgpr11
	s_and_saveexec_b64 s[4:5], vcc
	s_cbranch_execz .LBB2860_23
; %bb.22:
	v_lshlrev_b32_e32 v12, 1, v12
	v_mov_b32_e32 v13, 0
	v_lshl_add_u64 v[12:13], s[8:9], 0, v[12:13]
	flat_load_ushort v11, v[12:13]
.LBB2860_23:
	s_or_b64 exec, exec, s[4:5]
	v_or_b32_e32 v13, 0x1400, v0
	v_cmp_gt_u32_e32 vcc, s33, v13
                                        ; implicit-def: $vgpr12
	s_and_saveexec_b64 s[4:5], vcc
	s_cbranch_execz .LBB2860_25
; %bb.24:
	v_lshlrev_b32_e32 v12, 1, v13
	v_mov_b32_e32 v13, 0
	v_lshl_add_u64 v[12:13], s[8:9], 0, v[12:13]
	flat_load_ushort v12, v[12:13]
.LBB2860_25:
	s_or_b64 exec, exec, s[4:5]
	v_or_b32_e32 v14, 0x1600, v0
	v_cmp_gt_u32_e32 vcc, s33, v14
                                        ; implicit-def: $vgpr13
	s_and_saveexec_b64 s[4:5], vcc
	s_cbranch_execz .LBB2860_27
; %bb.26:
	v_lshlrev_b32_e32 v14, 1, v14
	v_mov_b32_e32 v15, 0
	v_lshl_add_u64 v[14:15], s[8:9], 0, v[14:15]
	flat_load_ushort v13, v[14:15]
.LBB2860_27:
	s_or_b64 exec, exec, s[4:5]
	v_or_b32_e32 v15, 0x1800, v0
	v_cmp_gt_u32_e32 vcc, s33, v15
                                        ; implicit-def: $vgpr14
	s_and_saveexec_b64 s[4:5], vcc
	s_cbranch_execz .LBB2860_29
; %bb.28:
	v_lshlrev_b32_e32 v14, 1, v15
	v_mov_b32_e32 v15, 0
	v_lshl_add_u64 v[14:15], s[8:9], 0, v[14:15]
	flat_load_ushort v14, v[14:15]
.LBB2860_29:
	s_or_b64 exec, exec, s[4:5]
	v_or_b32_e32 v16, 0x1a00, v0
	v_cmp_gt_u32_e32 vcc, s33, v16
                                        ; implicit-def: $vgpr15
	s_and_saveexec_b64 s[4:5], vcc
	s_cbranch_execz .LBB2860_31
; %bb.30:
	v_lshlrev_b32_e32 v16, 1, v16
	v_mov_b32_e32 v17, 0
	v_lshl_add_u64 v[16:17], s[8:9], 0, v[16:17]
	flat_load_ushort v15, v[16:17]
.LBB2860_31:
	s_or_b64 exec, exec, s[4:5]
	v_or_b32_e32 v17, 0x1c00, v0
	v_cmp_gt_u32_e32 vcc, s33, v17
                                        ; implicit-def: $vgpr16
	s_and_saveexec_b64 s[4:5], vcc
	s_cbranch_execz .LBB2860_33
; %bb.32:
	v_lshlrev_b32_e32 v16, 1, v17
	v_mov_b32_e32 v17, 0
	v_lshl_add_u64 v[16:17], s[8:9], 0, v[16:17]
	flat_load_ushort v16, v[16:17]
.LBB2860_33:
	s_or_b64 exec, exec, s[4:5]
	v_or_b32_e32 v18, 0x1e00, v0
	v_cmp_gt_u32_e32 vcc, s33, v18
                                        ; implicit-def: $vgpr17
	s_and_saveexec_b64 s[4:5], vcc
	s_cbranch_execz .LBB2860_35
; %bb.34:
	v_lshlrev_b32_e32 v18, 1, v18
	v_mov_b32_e32 v19, 0
	v_lshl_add_u64 v[18:19], s[8:9], 0, v[18:19]
	flat_load_ushort v17, v[18:19]
.LBB2860_35:
	s_or_b64 exec, exec, s[4:5]
	v_or_b32_e32 v19, 0x2000, v0
	v_cmp_gt_u32_e32 vcc, s33, v19
                                        ; implicit-def: $vgpr18
	s_and_saveexec_b64 s[4:5], vcc
	s_cbranch_execz .LBB2860_37
; %bb.36:
	v_lshlrev_b32_e32 v18, 1, v19
	v_mov_b32_e32 v19, 0
	v_lshl_add_u64 v[18:19], s[8:9], 0, v[18:19]
	flat_load_ushort v18, v[18:19]
.LBB2860_37:
	s_or_b64 exec, exec, s[4:5]
	v_or_b32_e32 v20, 0x2200, v0
	v_cmp_gt_u32_e32 vcc, s33, v20
                                        ; implicit-def: $vgpr19
	s_and_saveexec_b64 s[4:5], vcc
	s_cbranch_execz .LBB2860_39
; %bb.38:
	v_lshlrev_b32_e32 v20, 1, v20
	v_mov_b32_e32 v21, 0
	v_lshl_add_u64 v[20:21], s[8:9], 0, v[20:21]
	flat_load_ushort v19, v[20:21]
.LBB2860_39:
	s_or_b64 exec, exec, s[4:5]
	v_or_b32_e32 v21, 0x2400, v0
	v_cmp_gt_u32_e32 vcc, s33, v21
                                        ; implicit-def: $vgpr20
	s_and_saveexec_b64 s[4:5], vcc
	s_cbranch_execz .LBB2860_41
; %bb.40:
	v_lshlrev_b32_e32 v20, 1, v21
	v_mov_b32_e32 v21, 0
	v_lshl_add_u64 v[20:21], s[8:9], 0, v[20:21]
	flat_load_ushort v20, v[20:21]
.LBB2860_41:
	s_or_b64 exec, exec, s[4:5]
	v_or_b32_e32 v22, 0x2600, v0
	v_cmp_gt_u32_e32 vcc, s33, v22
                                        ; implicit-def: $vgpr21
	s_and_saveexec_b64 s[4:5], vcc
	s_cbranch_execz .LBB2860_43
; %bb.42:
	v_lshlrev_b32_e32 v22, 1, v22
	v_mov_b32_e32 v23, 0
	v_lshl_add_u64 v[22:23], s[8:9], 0, v[22:23]
	flat_load_ushort v21, v[22:23]
.LBB2860_43:
	s_or_b64 exec, exec, s[4:5]
	v_or_b32_e32 v23, 0x2800, v0
	v_cmp_gt_u32_e32 vcc, s33, v23
                                        ; implicit-def: $vgpr22
	s_and_saveexec_b64 s[4:5], vcc
	s_cbranch_execz .LBB2860_45
; %bb.44:
	v_lshlrev_b32_e32 v22, 1, v23
	v_mov_b32_e32 v23, 0
	v_lshl_add_u64 v[22:23], s[8:9], 0, v[22:23]
	flat_load_ushort v22, v[22:23]
.LBB2860_45:
	s_or_b64 exec, exec, s[4:5]
	v_or_b32_e32 v24, 0x2a00, v0
	v_cmp_gt_u32_e32 vcc, s33, v24
                                        ; implicit-def: $vgpr23
	s_and_saveexec_b64 s[4:5], vcc
	s_cbranch_execz .LBB2860_47
; %bb.46:
	v_lshlrev_b32_e32 v24, 1, v24
	v_mov_b32_e32 v25, 0
	v_lshl_add_u64 v[24:25], s[8:9], 0, v[24:25]
	flat_load_ushort v23, v[24:25]
.LBB2860_47:
	s_or_b64 exec, exec, s[4:5]
	v_or_b32_e32 v25, 0x2c00, v0
	v_cmp_gt_u32_e32 vcc, s33, v25
                                        ; implicit-def: $vgpr24
	s_and_saveexec_b64 s[4:5], vcc
	s_cbranch_execz .LBB2860_49
; %bb.48:
	v_lshlrev_b32_e32 v24, 1, v25
	v_mov_b32_e32 v25, 0
	v_lshl_add_u64 v[24:25], s[8:9], 0, v[24:25]
	flat_load_ushort v24, v[24:25]
.LBB2860_49:
	s_or_b64 exec, exec, s[4:5]
	v_or_b32_e32 v26, 0x2e00, v0
	v_cmp_gt_u32_e32 vcc, s33, v26
                                        ; implicit-def: $vgpr25
	s_and_saveexec_b64 s[4:5], vcc
	s_cbranch_execz .LBB2860_51
; %bb.50:
	v_lshlrev_b32_e32 v26, 1, v26
	v_mov_b32_e32 v27, 0
	v_lshl_add_u64 v[26:27], s[8:9], 0, v[26:27]
	flat_load_ushort v25, v[26:27]
.LBB2860_51:
	s_or_b64 exec, exec, s[4:5]
	v_or_b32_e32 v27, 0x3000, v0
	v_cmp_gt_u32_e32 vcc, s33, v27
                                        ; implicit-def: $vgpr26
	s_and_saveexec_b64 s[4:5], vcc
	s_cbranch_execz .LBB2860_53
; %bb.52:
	v_lshlrev_b32_e32 v26, 1, v27
	v_mov_b32_e32 v27, 0
	v_lshl_add_u64 v[26:27], s[8:9], 0, v[26:27]
	flat_load_ushort v26, v[26:27]
.LBB2860_53:
	s_or_b64 exec, exec, s[4:5]
	v_or_b32_e32 v28, 0x3200, v0
	v_cmp_gt_u32_e32 vcc, s33, v28
                                        ; implicit-def: $vgpr27
	s_and_saveexec_b64 s[4:5], vcc
	s_cbranch_execz .LBB2860_55
; %bb.54:
	v_lshlrev_b32_e32 v28, 1, v28
	v_mov_b32_e32 v29, 0
	v_lshl_add_u64 v[28:29], s[8:9], 0, v[28:29]
	flat_load_ushort v27, v[28:29]
.LBB2860_55:
	s_or_b64 exec, exec, s[4:5]
	v_or_b32_e32 v29, 0x3400, v0
	v_cmp_gt_u32_e32 vcc, s33, v29
                                        ; implicit-def: $vgpr28
	s_and_saveexec_b64 s[4:5], vcc
	s_cbranch_execz .LBB2860_57
; %bb.56:
	v_lshlrev_b32_e32 v28, 1, v29
	v_mov_b32_e32 v29, 0
	v_lshl_add_u64 v[28:29], s[8:9], 0, v[28:29]
	flat_load_ushort v28, v[28:29]
.LBB2860_57:
	s_or_b64 exec, exec, s[4:5]
	v_or_b32_e32 v30, 0x3600, v0
	v_cmp_gt_u32_e32 vcc, s33, v30
                                        ; implicit-def: $vgpr29
	s_and_saveexec_b64 s[4:5], vcc
	s_cbranch_execz .LBB2860_59
; %bb.58:
	v_lshlrev_b32_e32 v30, 1, v30
	v_mov_b32_e32 v31, 0
	v_lshl_add_u64 v[30:31], s[8:9], 0, v[30:31]
	flat_load_ushort v29, v[30:31]
.LBB2860_59:
	s_or_b64 exec, exec, s[4:5]
	v_or_b32_e32 v31, 0x3800, v0
	v_cmp_gt_u32_e32 vcc, s33, v31
                                        ; implicit-def: $vgpr30
	s_and_saveexec_b64 s[4:5], vcc
	s_cbranch_execz .LBB2860_61
; %bb.60:
	v_lshlrev_b32_e32 v30, 1, v31
	v_mov_b32_e32 v31, 0
	v_lshl_add_u64 v[30:31], s[8:9], 0, v[30:31]
	flat_load_ushort v30, v[30:31]
.LBB2860_61:
	s_or_b64 exec, exec, s[4:5]
	v_or_b32_e32 v32, 0x3a00, v0
	v_cmp_gt_u32_e32 vcc, s33, v32
                                        ; implicit-def: $vgpr31
	s_and_saveexec_b64 s[4:5], vcc
	s_cbranch_execz .LBB2860_63
; %bb.62:
	v_lshlrev_b32_e32 v32, 1, v32
	v_mov_b32_e32 v33, 0
	v_lshl_add_u64 v[32:33], s[8:9], 0, v[32:33]
	flat_load_ushort v31, v[32:33]
.LBB2860_63:
	s_or_b64 exec, exec, s[4:5]
	s_waitcnt vmcnt(0) lgkmcnt(0)
	ds_write_b16 v2, v1
	ds_write_b16 v2, v4 offset:1024
	ds_write_b16 v2, v5 offset:2048
	ds_write_b16 v2, v3 offset:3072
	ds_write_b16 v2, v6 offset:4096
	ds_write_b16 v2, v7 offset:5120
	ds_write_b16 v2, v8 offset:6144
	ds_write_b16 v2, v9 offset:7168
	ds_write_b16 v2, v10 offset:8192
	ds_write_b16 v2, v11 offset:9216
	ds_write_b16 v2, v12 offset:10240
	ds_write_b16 v2, v13 offset:11264
	ds_write_b16 v2, v14 offset:12288
	ds_write_b16 v2, v15 offset:13312
	ds_write_b16 v2, v16 offset:14336
	ds_write_b16 v2, v17 offset:15360
	ds_write_b16 v2, v18 offset:16384
	ds_write_b16 v2, v19 offset:17408
	ds_write_b16 v2, v20 offset:18432
	ds_write_b16 v2, v21 offset:19456
	ds_write_b16 v2, v22 offset:20480
	ds_write_b16 v2, v23 offset:21504
	ds_write_b16 v2, v24 offset:22528
	ds_write_b16 v2, v25 offset:23552
	ds_write_b16 v2, v26 offset:24576
	ds_write_b16 v2, v27 offset:25600
	ds_write_b16 v2, v28 offset:26624
	ds_write_b16 v2, v29 offset:27648
	ds_write_b16 v2, v30 offset:28672
	ds_write_b16 v2, v31 offset:29696
	s_waitcnt lgkmcnt(0)
	s_barrier
.LBB2860_64:
	v_mul_u32_u24_e32 v40, 30, v0
	v_lshlrev_b32_e32 v4, 1, v40
	s_waitcnt lgkmcnt(0)
	ds_read_b32 v3, v4 offset:56
	ds_read2_b32 v[6:7], v4 offset0:12 offset1:13
	ds_read2_b32 v[8:9], v4 offset0:10 offset1:11
	;; [unrolled: 1-line block ×3, first 2 shown]
	ds_read2_b32 v[18:19], v4 offset1:1
	ds_read2_b32 v[16:17], v4 offset0:2 offset1:3
	ds_read2_b32 v[14:15], v4 offset0:4 offset1:5
	ds_read2_b32 v[12:13], v4 offset0:6 offset1:7
	s_waitcnt lgkmcnt(7)
	v_lshrrev_b32_e32 v1, 16, v3
	s_waitcnt lgkmcnt(6)
	v_lshrrev_b32_e32 v29, 16, v6
	v_lshrrev_b32_e32 v28, 16, v7
	s_waitcnt lgkmcnt(5)
	v_lshrrev_b32_e32 v31, 16, v8
	;; [unrolled: 3-line block ×6, first 2 shown]
	v_lshrrev_b32_e32 v34, 16, v13
	v_lshrrev_b32_e32 v33, 16, v10
	;; [unrolled: 1-line block ×3, first 2 shown]
	v_cndmask_b32_e64 v4, 0, 1, s[6:7]
	v_cmp_ne_u32_e64 s[20:21], 1, v4
	s_andn2_b64 vcc, exec, s[6:7]
	v_xor_b32_e32 v92, -1, v18
	v_xor_b32_e32 v91, -1, v42
	;; [unrolled: 1-line block ×30, first 2 shown]
	s_barrier
	s_cbranch_vccnz .LBB2860_66
; %bb.65:
	v_and_b32_e32 v72, 1, v92
	v_and_b32_e32 v71, 1, v91
	;; [unrolled: 1-line block ×30, first 2 shown]
	s_load_dwordx2 s[34:35], s[0:1], 0x70
	s_cbranch_execz .LBB2860_67
	s_branch .LBB2860_68
.LBB2860_66:
                                        ; implicit-def: $vgpr72
                                        ; implicit-def: $vgpr71
                                        ; implicit-def: $vgpr70
                                        ; implicit-def: $vgpr69
                                        ; implicit-def: $vgpr68
                                        ; implicit-def: $vgpr67
                                        ; implicit-def: $vgpr66
                                        ; implicit-def: $vgpr65
                                        ; implicit-def: $vgpr64
                                        ; implicit-def: $vgpr63
                                        ; implicit-def: $vgpr62
                                        ; implicit-def: $vgpr61
                                        ; implicit-def: $vgpr60
                                        ; implicit-def: $vgpr59
                                        ; implicit-def: $vgpr58
                                        ; implicit-def: $vgpr57
                                        ; implicit-def: $vgpr56
                                        ; implicit-def: $vgpr55
                                        ; implicit-def: $vgpr54
                                        ; implicit-def: $vgpr53
                                        ; implicit-def: $vgpr52
                                        ; implicit-def: $vgpr51
                                        ; implicit-def: $vgpr50
                                        ; implicit-def: $vgpr49
                                        ; implicit-def: $vgpr48
                                        ; implicit-def: $vgpr47
                                        ; implicit-def: $vgpr46
                                        ; implicit-def: $vgpr45
                                        ; implicit-def: $vgpr43
                                        ; implicit-def: $vgpr44
	s_load_dwordx2 s[34:35], s[0:1], 0x70
.LBB2860_67:
	v_or_b32_e32 v52, 1, v40
	v_cmp_gt_u32_e32 vcc, s33, v40
	v_add_u32_e32 v53, 2, v40
	v_add_u32_e32 v54, 3, v40
	v_cndmask_b32_e64 v62, 0, 1, vcc
	v_cmp_gt_u32_e32 vcc, s33, v52
	v_add_u32_e32 v55, 4, v40
	v_add_u32_e32 v56, 5, v40
	v_cndmask_b32_e64 v52, 0, 1, vcc
	v_cmp_gt_u32_e32 vcc, s33, v53
	v_and_b32_e32 v71, v52, v91
	v_add_u32_e32 v57, 6, v40
	v_cndmask_b32_e64 v52, 0, 1, vcc
	v_cmp_gt_u32_e32 vcc, s33, v54
	v_and_b32_e32 v70, v52, v90
	v_add_u32_e32 v58, 7, v40
	v_cndmask_b32_e64 v52, 0, 1, vcc
	v_cmp_gt_u32_e32 vcc, s33, v55
	v_and_b32_e32 v69, v52, v89
	v_add_u32_e32 v59, 8, v40
	v_cndmask_b32_e64 v52, 0, 1, vcc
	v_cmp_gt_u32_e32 vcc, s33, v56
	v_and_b32_e32 v68, v52, v88
	v_add_u32_e32 v60, 9, v40
	v_cndmask_b32_e64 v52, 0, 1, vcc
	v_cmp_gt_u32_e32 vcc, s33, v57
	v_and_b32_e32 v67, v52, v87
	v_add_u32_e32 v61, 10, v40
	v_cndmask_b32_e64 v52, 0, 1, vcc
	v_cmp_gt_u32_e32 vcc, s33, v58
	v_and_b32_e32 v66, v52, v86
	v_add_u32_e32 v93, 11, v40
	v_cndmask_b32_e64 v52, 0, 1, vcc
	v_cmp_gt_u32_e32 vcc, s33, v59
	v_and_b32_e32 v65, v52, v85
	v_add_u32_e32 v94, 12, v40
	v_cndmask_b32_e64 v52, 0, 1, vcc
	v_cmp_gt_u32_e32 vcc, s33, v60
	v_and_b32_e32 v64, v52, v84
	v_add_u32_e32 v95, 13, v40
	v_cndmask_b32_e64 v52, 0, 1, vcc
	v_cmp_gt_u32_e32 vcc, s33, v61
	v_and_b32_e32 v63, v52, v83
	v_and_b32_e32 v72, v62, v92
	v_cndmask_b32_e64 v52, 0, 1, vcc
	v_cmp_gt_u32_e32 vcc, s33, v93
	v_and_b32_e32 v62, v52, v82
	v_add_u32_e32 v96, 14, v40
	v_cndmask_b32_e64 v52, 0, 1, vcc
	v_cmp_gt_u32_e32 vcc, s33, v94
	v_and_b32_e32 v61, v52, v81
	v_add_u32_e32 v97, 15, v40
	;; [unrolled: 4-line block ×16, first 2 shown]
	v_cndmask_b32_e64 v22, 0, 1, vcc
	v_cmp_gt_u32_e32 vcc, s33, v45
	v_and_b32_e32 v46, v22, v21
	s_nop 0
	v_cndmask_b32_e64 v21, 0, 1, vcc
	v_cmp_gt_u32_e32 vcc, s33, v43
	v_and_b32_e32 v45, v21, v20
	s_nop 0
	;; [unrolled: 4-line block ×3, first 2 shown]
	v_cndmask_b32_e64 v5, 0, 1, vcc
	v_and_b32_e32 v44, v5, v4
.LBB2860_68:
	v_and_b32_e32 v99, 0xff, v46
	v_and_b32_e32 v100, 0xff, v45
	v_add_u32_sdwa v4, v43, v44 dst_sel:DWORD dst_unused:UNUSED_PAD src0_sel:BYTE_0 src1_sel:BYTE_0
	v_and_b32_e32 v97, 0xff, v48
	v_and_b32_e32 v98, 0xff, v47
	v_add3_u32 v4, v4, v100, v99
	v_and_b32_e32 v95, 0xff, v50
	v_and_b32_e32 v96, 0xff, v49
	v_add3_u32 v4, v4, v98, v97
	;; [unrolled: 3-line block ×13, first 2 shown]
	v_add3_u32 v103, v4, v74, v73
	v_mbcnt_lo_u32_b32 v4, -1, 0
	v_mbcnt_hi_u32_b32 v101, -1, v4
	v_and_b32_e32 v4, 15, v101
	v_cmp_eq_u32_e64 s[16:17], 0, v4
	v_cmp_lt_u32_e64 s[14:15], 1, v4
	v_cmp_lt_u32_e64 s[12:13], 3, v4
	;; [unrolled: 1-line block ×3, first 2 shown]
	v_and_b32_e32 v4, 16, v101
	v_cmp_eq_u32_e64 s[8:9], 0, v4
	v_or_b32_e32 v4, 63, v0
	s_cmp_lg_u32 s2, 0
	v_cmp_lt_u32_e64 s[4:5], 31, v101
	v_lshrrev_b32_e32 v102, 6, v0
	v_cmp_eq_u32_e64 s[6:7], v4, v0
	s_cbranch_scc0 .LBB2860_99
; %bb.69:
	v_mov_b32_dpp v4, v103 row_shr:1 row_mask:0xf bank_mask:0xf
	v_cndmask_b32_e64 v4, v4, 0, s[16:17]
	v_add_u32_e32 v4, v4, v103
	s_nop 1
	v_mov_b32_dpp v5, v4 row_shr:2 row_mask:0xf bank_mask:0xf
	v_cndmask_b32_e64 v5, 0, v5, s[14:15]
	v_add_u32_e32 v4, v4, v5
	s_nop 1
	;; [unrolled: 4-line block ×4, first 2 shown]
	v_mov_b32_dpp v5, v4 row_bcast:15 row_mask:0xf bank_mask:0xf
	v_cndmask_b32_e64 v5, v5, 0, s[8:9]
	v_add_u32_e32 v4, v4, v5
	s_nop 1
	v_mov_b32_dpp v5, v4 row_bcast:31 row_mask:0xf bank_mask:0xf
	v_cndmask_b32_e64 v5, 0, v5, s[4:5]
	v_add_u32_e32 v4, v4, v5
	s_and_saveexec_b64 s[18:19], s[6:7]
	s_cbranch_execz .LBB2860_71
; %bb.70:
	v_lshlrev_b32_e32 v5, 2, v102
	ds_write_b32 v5, v4
.LBB2860_71:
	s_or_b64 exec, exec, s[18:19]
	v_cmp_gt_u32_e32 vcc, 8, v0
	s_waitcnt lgkmcnt(0)
	s_barrier
	s_and_saveexec_b64 s[18:19], vcc
	s_cbranch_execz .LBB2860_73
; %bb.72:
	v_lshlrev_b32_e32 v5, 2, v0
	ds_read_b32 v20, v5
	v_and_b32_e32 v21, 7, v101
	v_cmp_ne_u32_e32 vcc, 0, v21
	s_waitcnt lgkmcnt(0)
	v_mov_b32_dpp v22, v20 row_shr:1 row_mask:0xf bank_mask:0xf
	v_cndmask_b32_e32 v22, 0, v22, vcc
	v_add_u32_e32 v20, v22, v20
	v_cmp_lt_u32_e32 vcc, 1, v21
	s_nop 0
	v_mov_b32_dpp v22, v20 row_shr:2 row_mask:0xf bank_mask:0xf
	v_cndmask_b32_e32 v22, 0, v22, vcc
	v_add_u32_e32 v20, v20, v22
	v_cmp_lt_u32_e32 vcc, 3, v21
	s_nop 0
	v_mov_b32_dpp v22, v20 row_shr:4 row_mask:0xf bank_mask:0xf
	v_cndmask_b32_e32 v21, 0, v22, vcc
	v_add_u32_e32 v20, v20, v21
	ds_write_b32 v5, v20
.LBB2860_73:
	s_or_b64 exec, exec, s[18:19]
	v_cmp_gt_u32_e32 vcc, 64, v0
	v_cmp_lt_u32_e64 s[18:19], 63, v0
	s_waitcnt lgkmcnt(0)
	s_barrier
	s_waitcnt lgkmcnt(0)
                                        ; implicit-def: $vgpr104
	s_and_saveexec_b64 s[36:37], s[18:19]
	s_cbranch_execz .LBB2860_75
; %bb.74:
	v_lshl_add_u32 v5, v102, 2, -4
	ds_read_b32 v104, v5
	s_waitcnt lgkmcnt(0)
	v_add_u32_e32 v4, v104, v4
.LBB2860_75:
	s_or_b64 exec, exec, s[36:37]
	v_add_u32_e32 v5, -1, v101
	v_and_b32_e32 v20, 64, v101
	v_cmp_lt_i32_e64 s[18:19], v5, v20
	s_nop 1
	v_cndmask_b32_e64 v5, v5, v101, s[18:19]
	v_lshlrev_b32_e32 v5, 2, v5
	ds_bpermute_b32 v105, v5, v4
	v_cmp_eq_u32_e64 s[18:19], 0, v101
	s_and_saveexec_b64 s[36:37], vcc
	s_cbranch_execz .LBB2860_98
; %bb.76:
	v_mov_b32_e32 v27, 0
	ds_read_b32 v4, v27 offset:28
	s_and_saveexec_b64 s[38:39], s[18:19]
	s_cbranch_execz .LBB2860_78
; %bb.77:
	s_add_i32 s40, s2, 64
	s_mov_b32 s41, 0
	s_lshl_b64 s[40:41], s[40:41], 3
	s_add_u32 s40, s34, s40
	v_mov_b32_e32 v5, 1
	s_addc_u32 s41, s35, s41
	s_waitcnt lgkmcnt(0)
	global_store_dwordx2 v27, v[4:5], s[40:41] sc1
.LBB2860_78:
	s_or_b64 exec, exec, s[38:39]
	v_xad_u32 v20, v101, -1, s2
	v_add_u32_e32 v26, 64, v20
	v_lshl_add_u64 v[22:23], v[26:27], 3, s[34:35]
	global_load_dwordx2 v[24:25], v[22:23], off sc1
	s_waitcnt vmcnt(0)
	v_cmp_eq_u16_sdwa s[40:41], v25, v27 src0_sel:BYTE_0 src1_sel:DWORD
	s_and_saveexec_b64 s[38:39], s[40:41]
	s_cbranch_execz .LBB2860_84
; %bb.79:
	s_mov_b32 s3, 1
	s_mov_b64 s[40:41], 0
	v_mov_b32_e32 v5, 0
.LBB2860_80:                            ; =>This Loop Header: Depth=1
                                        ;     Child Loop BB2860_81 Depth 2
	s_max_u32 s42, s3, 1
.LBB2860_81:                            ;   Parent Loop BB2860_80 Depth=1
                                        ; =>  This Inner Loop Header: Depth=2
	s_add_i32 s42, s42, -1
	s_cmp_eq_u32 s42, 0
	s_sleep 1
	s_cbranch_scc0 .LBB2860_81
; %bb.82:                               ;   in Loop: Header=BB2860_80 Depth=1
	global_load_dwordx2 v[24:25], v[22:23], off sc1
	s_cmp_lt_u32 s3, 32
	s_cselect_b64 s[42:43], -1, 0
	s_cmp_lg_u64 s[42:43], 0
	s_addc_u32 s3, s3, 0
	s_waitcnt vmcnt(0)
	v_cmp_ne_u16_sdwa s[42:43], v25, v5 src0_sel:BYTE_0 src1_sel:DWORD
	s_or_b64 s[40:41], s[42:43], s[40:41]
	s_andn2_b64 exec, exec, s[40:41]
	s_cbranch_execnz .LBB2860_80
; %bb.83:
	s_or_b64 exec, exec, s[40:41]
.LBB2860_84:
	s_or_b64 exec, exec, s[38:39]
	v_and_b32_e32 v107, 63, v101
	v_mov_b32_e32 v106, 2
	v_cmp_ne_u32_e32 vcc, 63, v107
	v_cmp_eq_u16_sdwa s[38:39], v25, v106 src0_sel:BYTE_0 src1_sel:DWORD
	v_lshlrev_b64 v[22:23], v101, -1
	v_addc_co_u32_e32 v26, vcc, 0, v101, vcc
	v_and_b32_e32 v5, s39, v23
	v_lshlrev_b32_e32 v108, 2, v26
	v_or_b32_e32 v5, 0x80000000, v5
	ds_bpermute_b32 v26, v108, v24
	v_and_b32_e32 v21, s38, v22
	v_ffbl_b32_e32 v5, v5
	v_add_u32_e32 v5, 32, v5
	v_ffbl_b32_e32 v21, v21
	v_min_u32_e32 v5, v21, v5
	v_cmp_lt_u32_e32 vcc, v107, v5
	v_add_u32_e32 v110, 2, v107
	v_add_u32_e32 v112, 4, v107
	s_waitcnt lgkmcnt(0)
	v_cndmask_b32_e32 v21, 0, v26, vcc
	v_cmp_gt_u32_e32 vcc, 62, v107
	v_add_u32_e32 v21, v21, v24
	v_add_u32_e32 v114, 8, v107
	v_cndmask_b32_e64 v24, 0, 1, vcc
	v_lshlrev_b32_e32 v24, 1, v24
	v_add_lshl_u32 v109, v24, v101, 2
	ds_bpermute_b32 v24, v109, v21
	v_cmp_le_u32_e32 vcc, v110, v5
	v_add_u32_e32 v116, 16, v107
	v_add_u32_e32 v118, 32, v107
	s_waitcnt lgkmcnt(0)
	v_cndmask_b32_e32 v24, 0, v24, vcc
	v_cmp_gt_u32_e32 vcc, 60, v107
	v_add_u32_e32 v21, v21, v24
	s_nop 0
	v_cndmask_b32_e64 v24, 0, 1, vcc
	v_lshlrev_b32_e32 v24, 2, v24
	v_add_lshl_u32 v111, v24, v101, 2
	ds_bpermute_b32 v24, v111, v21
	v_cmp_le_u32_e32 vcc, v112, v5
	s_waitcnt lgkmcnt(0)
	s_nop 0
	v_cndmask_b32_e32 v24, 0, v24, vcc
	v_cmp_gt_u32_e32 vcc, 56, v107
	v_add_u32_e32 v21, v21, v24
	s_nop 0
	v_cndmask_b32_e64 v24, 0, 1, vcc
	v_lshlrev_b32_e32 v24, 3, v24
	v_add_lshl_u32 v113, v24, v101, 2
	ds_bpermute_b32 v24, v113, v21
	v_cmp_le_u32_e32 vcc, v114, v5
	s_waitcnt lgkmcnt(0)
	s_nop 0
	;; [unrolled: 11-line block ×4, first 2 shown]
	v_cndmask_b32_e32 v5, 0, v24, vcc
	v_add_u32_e32 v24, v21, v5
	v_mov_b32_e32 v21, 0
	s_branch .LBB2860_86
.LBB2860_85:                            ;   in Loop: Header=BB2860_86 Depth=1
	s_or_b64 exec, exec, s[38:39]
	v_cmp_eq_u16_sdwa s[38:39], v25, v106 src0_sel:BYTE_0 src1_sel:DWORD
	ds_bpermute_b32 v119, v108, v24
	v_subrev_u32_e32 v20, 64, v20
	v_and_b32_e32 v26, s39, v23
	v_or_b32_e32 v26, 0x80000000, v26
	v_and_b32_e32 v27, s38, v22
	v_ffbl_b32_e32 v26, v26
	v_add_u32_e32 v26, 32, v26
	v_ffbl_b32_e32 v27, v27
	v_min_u32_e32 v26, v27, v26
	v_cmp_lt_u32_e32 vcc, v107, v26
	s_waitcnt lgkmcnt(0)
	s_nop 0
	v_cndmask_b32_e32 v27, 0, v119, vcc
	v_add_u32_e32 v24, v27, v24
	ds_bpermute_b32 v27, v109, v24
	v_cmp_le_u32_e32 vcc, v110, v26
	s_waitcnt lgkmcnt(0)
	s_nop 0
	v_cndmask_b32_e32 v27, 0, v27, vcc
	v_add_u32_e32 v24, v24, v27
	ds_bpermute_b32 v27, v111, v24
	v_cmp_le_u32_e32 vcc, v112, v26
	;; [unrolled: 6-line block ×5, first 2 shown]
	s_waitcnt lgkmcnt(0)
	s_nop 0
	v_cndmask_b32_e32 v26, 0, v27, vcc
	v_add3_u32 v24, v26, v5, v24
.LBB2860_86:                            ; =>This Loop Header: Depth=1
                                        ;     Child Loop BB2860_89 Depth 2
                                        ;       Child Loop BB2860_90 Depth 3
	v_cmp_ne_u16_sdwa s[38:39], v25, v106 src0_sel:BYTE_0 src1_sel:DWORD
	s_nop 1
	v_cndmask_b32_e64 v5, 0, 1, s[38:39]
	;;#ASMSTART
	;;#ASMEND
	s_nop 0
	v_cmp_ne_u32_e32 vcc, 0, v5
	s_cmp_lg_u64 vcc, exec
	v_mov_b32_e32 v5, v24
	s_cbranch_scc1 .LBB2860_93
; %bb.87:                               ;   in Loop: Header=BB2860_86 Depth=1
	v_lshl_add_u64 v[26:27], v[20:21], 3, s[34:35]
	global_load_dwordx2 v[24:25], v[26:27], off sc1
	s_waitcnt vmcnt(0)
	v_cmp_eq_u16_sdwa s[40:41], v25, v21 src0_sel:BYTE_0 src1_sel:DWORD
	s_and_saveexec_b64 s[38:39], s[40:41]
	s_cbranch_execz .LBB2860_85
; %bb.88:                               ;   in Loop: Header=BB2860_86 Depth=1
	s_mov_b32 s3, 1
	s_mov_b64 s[40:41], 0
.LBB2860_89:                            ;   Parent Loop BB2860_86 Depth=1
                                        ; =>  This Loop Header: Depth=2
                                        ;       Child Loop BB2860_90 Depth 3
	s_max_u32 s42, s3, 1
.LBB2860_90:                            ;   Parent Loop BB2860_86 Depth=1
                                        ;     Parent Loop BB2860_89 Depth=2
                                        ; =>    This Inner Loop Header: Depth=3
	s_add_i32 s42, s42, -1
	s_cmp_eq_u32 s42, 0
	s_sleep 1
	s_cbranch_scc0 .LBB2860_90
; %bb.91:                               ;   in Loop: Header=BB2860_89 Depth=2
	global_load_dwordx2 v[24:25], v[26:27], off sc1
	s_cmp_lt_u32 s3, 32
	s_cselect_b64 s[42:43], -1, 0
	s_cmp_lg_u64 s[42:43], 0
	s_addc_u32 s3, s3, 0
	s_waitcnt vmcnt(0)
	v_cmp_ne_u16_sdwa s[42:43], v25, v21 src0_sel:BYTE_0 src1_sel:DWORD
	s_or_b64 s[40:41], s[42:43], s[40:41]
	s_andn2_b64 exec, exec, s[40:41]
	s_cbranch_execnz .LBB2860_89
; %bb.92:                               ;   in Loop: Header=BB2860_86 Depth=1
	s_or_b64 exec, exec, s[40:41]
	s_branch .LBB2860_85
.LBB2860_93:                            ;   in Loop: Header=BB2860_86 Depth=1
                                        ; implicit-def: $vgpr24
                                        ; implicit-def: $vgpr25
	s_cbranch_execz .LBB2860_86
; %bb.94:
	s_and_saveexec_b64 s[38:39], s[18:19]
	s_cbranch_execz .LBB2860_96
; %bb.95:
	s_add_i32 s2, s2, 64
	s_mov_b32 s3, 0
	s_lshl_b64 s[2:3], s[2:3], 3
	s_add_u32 s2, s34, s2
	v_add_u32_e32 v20, v5, v4
	v_mov_b32_e32 v21, 2
	s_addc_u32 s3, s35, s3
	v_mov_b32_e32 v22, 0
	global_store_dwordx2 v22, v[20:21], s[2:3] sc1
	ds_write_b64 v22, v[4:5] offset:30720
.LBB2860_96:
	s_or_b64 exec, exec, s[38:39]
	v_cmp_eq_u32_e32 vcc, 0, v0
	s_and_b64 exec, exec, vcc
	s_cbranch_execz .LBB2860_98
; %bb.97:
	v_mov_b32_e32 v4, 0
	ds_write_b32 v4, v5 offset:28
.LBB2860_98:
	s_or_b64 exec, exec, s[36:37]
	v_mov_b32_e32 v4, 0
	s_waitcnt lgkmcnt(0)
	s_barrier
	ds_read_b32 v21, v4 offset:28
	s_waitcnt lgkmcnt(0)
	s_barrier
	ds_read_b64 v[4:5], v4 offset:30720
	v_cndmask_b32_e64 v20, v105, v104, s[18:19]
	v_cmp_ne_u32_e32 vcc, 0, v0
	s_nop 1
	v_cndmask_b32_e32 v20, 0, v20, vcc
	v_add_u32_e32 v21, v21, v20
	s_waitcnt lgkmcnt(0)
	v_mov_b32_e32 v20, v5
	s_branch .LBB2860_109
.LBB2860_99:
                                        ; implicit-def: $vgpr20
                                        ; implicit-def: $vgpr4
                                        ; implicit-def: $vgpr21
	s_cbranch_execz .LBB2860_109
; %bb.100:
	s_nop 0
	v_mov_b32_dpp v4, v103 row_shr:1 row_mask:0xf bank_mask:0xf
	v_cndmask_b32_e64 v4, v4, 0, s[16:17]
	v_add_u32_e32 v4, v4, v103
	s_nop 1
	v_mov_b32_dpp v5, v4 row_shr:2 row_mask:0xf bank_mask:0xf
	v_cndmask_b32_e64 v5, 0, v5, s[14:15]
	v_add_u32_e32 v4, v4, v5
	;; [unrolled: 4-line block ×4, first 2 shown]
	s_nop 1
	v_mov_b32_dpp v5, v4 row_bcast:15 row_mask:0xf bank_mask:0xf
	v_cndmask_b32_e64 v5, v5, 0, s[8:9]
	v_add_u32_e32 v4, v4, v5
	s_nop 1
	v_mov_b32_dpp v5, v4 row_bcast:31 row_mask:0xf bank_mask:0xf
	v_cndmask_b32_e64 v5, 0, v5, s[4:5]
	v_add_u32_e32 v4, v4, v5
	s_and_saveexec_b64 s[2:3], s[6:7]
	s_cbranch_execz .LBB2860_102
; %bb.101:
	v_lshlrev_b32_e32 v5, 2, v102
	ds_write_b32 v5, v4
.LBB2860_102:
	s_or_b64 exec, exec, s[2:3]
	v_cmp_gt_u32_e32 vcc, 8, v0
	s_waitcnt lgkmcnt(0)
	s_barrier
	s_and_saveexec_b64 s[2:3], vcc
	s_cbranch_execz .LBB2860_104
; %bb.103:
	v_lshlrev_b32_e32 v5, 2, v0
	ds_read_b32 v20, v5
	v_and_b32_e32 v21, 7, v101
	v_cmp_ne_u32_e32 vcc, 0, v21
	s_waitcnt lgkmcnt(0)
	v_mov_b32_dpp v22, v20 row_shr:1 row_mask:0xf bank_mask:0xf
	v_cndmask_b32_e32 v22, 0, v22, vcc
	v_add_u32_e32 v20, v22, v20
	v_cmp_lt_u32_e32 vcc, 1, v21
	s_nop 0
	v_mov_b32_dpp v22, v20 row_shr:2 row_mask:0xf bank_mask:0xf
	v_cndmask_b32_e32 v22, 0, v22, vcc
	v_add_u32_e32 v20, v20, v22
	v_cmp_lt_u32_e32 vcc, 3, v21
	s_nop 0
	v_mov_b32_dpp v22, v20 row_shr:4 row_mask:0xf bank_mask:0xf
	v_cndmask_b32_e32 v21, 0, v22, vcc
	v_add_u32_e32 v20, v20, v21
	ds_write_b32 v5, v20
.LBB2860_104:
	s_or_b64 exec, exec, s[2:3]
	v_cmp_lt_u32_e32 vcc, 63, v0
	v_mov_b32_e32 v5, 0
	v_mov_b32_e32 v20, 0
	s_waitcnt lgkmcnt(0)
	s_barrier
	s_and_saveexec_b64 s[2:3], vcc
	s_cbranch_execz .LBB2860_106
; %bb.105:
	v_lshl_add_u32 v20, v102, 2, -4
	ds_read_b32 v20, v20
.LBB2860_106:
	s_or_b64 exec, exec, s[2:3]
	v_add_u32_e32 v21, -1, v101
	v_and_b32_e32 v22, 64, v101
	v_cmp_lt_i32_e32 vcc, v21, v22
	s_waitcnt lgkmcnt(0)
	v_add_u32_e32 v4, v20, v4
	v_cndmask_b32_e32 v21, v21, v101, vcc
	v_lshlrev_b32_e32 v21, 2, v21
	ds_bpermute_b32 v21, v21, v4
	ds_read_b32 v4, v5 offset:28
	v_cmp_eq_u32_e32 vcc, 0, v0
	s_and_saveexec_b64 s[2:3], vcc
	s_cbranch_execz .LBB2860_108
; %bb.107:
	v_mov_b32_e32 v22, 0
	v_mov_b32_e32 v5, 2
	s_waitcnt lgkmcnt(0)
	global_store_dwordx2 v22, v[4:5], s[34:35] offset:512 sc1
.LBB2860_108:
	s_or_b64 exec, exec, s[2:3]
	v_cmp_eq_u32_e64 s[2:3], 0, v101
	s_waitcnt lgkmcnt(0)
	s_barrier
	v_cndmask_b32_e64 v5, v21, v20, s[2:3]
	v_mov_b32_e32 v20, 0
	v_cndmask_b32_e64 v21, v5, 0, vcc
.LBB2860_109:
	v_add_u32_e32 v5, v21, v73
	v_add_u32_e32 v22, v5, v74
	;; [unrolled: 1-line block ×22, first 2 shown]
	v_sub_u32_e32 v21, v21, v20
	v_and_b32_e32 v72, 1, v72
	v_add_u32_e32 v87, v86, v94
	v_sub_u32_e32 v94, v40, v21
	v_cmp_eq_u32_e32 vcc, 1, v72
	v_sub_u32_e32 v5, v5, v20
	v_add_u32_e32 v88, v87, v95
	v_cndmask_b32_e32 v21, v94, v21, vcc
	v_lshlrev_b32_e32 v21, 1, v21
	ds_write_b16 v21, v18
	v_sub_u32_e32 v18, v40, v5
	v_and_b32_e32 v21, 1, v71
	v_add_u32_e32 v18, 1, v18
	v_cmp_eq_u32_e32 vcc, 1, v21
	v_and_b32_e32 v21, 1, v70
	v_add_u32_e32 v89, v88, v96
	v_cndmask_b32_e32 v5, v18, v5, vcc
	v_lshlrev_b32_e32 v5, 1, v5
	ds_write_b16 v5, v42
	v_sub_u32_e32 v5, v22, v20
	v_sub_u32_e32 v18, v40, v5
	v_add_u32_e32 v18, 2, v18
	v_cmp_eq_u32_e32 vcc, 1, v21
	v_add_u32_e32 v90, v89, v97
	v_add_u32_e32 v91, v90, v98
	v_cndmask_b32_e32 v5, v18, v5, vcc
	v_lshlrev_b32_e32 v5, 1, v5
	ds_write_b16 v5, v19
	v_sub_u32_e32 v5, v23, v20
	v_sub_u32_e32 v18, v40, v5
	v_and_b32_e32 v19, 1, v69
	v_add_u32_e32 v18, 3, v18
	v_cmp_eq_u32_e32 vcc, 1, v19
	v_and_b32_e32 v19, 1, v68
	v_add_u32_e32 v92, v91, v99
	v_cndmask_b32_e32 v5, v18, v5, vcc
	v_lshlrev_b32_e32 v5, 1, v5
	ds_write_b16 v5, v41
	v_sub_u32_e32 v5, v24, v20
	v_sub_u32_e32 v18, v40, v5
	v_add_u32_e32 v18, 4, v18
	v_cmp_eq_u32_e32 vcc, 1, v19
	v_add_u32_e32 v93, v92, v100
	v_mov_b32_e32 v21, 0
	v_cndmask_b32_e32 v5, v18, v5, vcc
	v_lshlrev_b32_e32 v5, 1, v5
	ds_write_b16 v5, v16
	v_sub_u32_e32 v5, v25, v20
	v_sub_u32_e32 v16, v40, v5
	v_and_b32_e32 v18, 1, v67
	v_add_u32_e32 v16, 5, v16
	v_cmp_eq_u32_e32 vcc, 1, v18
	v_and_b32_e32 v18, 1, v66
	s_load_dwordx2 s[0:1], s[0:1], 0x38
	v_cndmask_b32_e32 v5, v16, v5, vcc
	v_lshlrev_b32_e32 v5, 1, v5
	ds_write_b16 v5, v39
	v_sub_u32_e32 v5, v26, v20
	v_sub_u32_e32 v16, v40, v5
	v_add_u32_e32 v16, 6, v16
	v_cmp_eq_u32_e32 vcc, 1, v18
	v_or_b32_e32 v66, 0x200, v0
	v_or_b32_e32 v42, 0x1a00, v0
	v_cndmask_b32_e32 v5, v16, v5, vcc
	v_lshlrev_b32_e32 v5, 1, v5
	ds_write_b16 v5, v17
	v_sub_u32_e32 v5, v27, v20
	v_sub_u32_e32 v16, v40, v5
	v_and_b32_e32 v17, 1, v65
	v_add_u32_e32 v16, 7, v16
	v_cmp_eq_u32_e32 vcc, 1, v17
	v_and_b32_e32 v17, 1, v64
	v_or_b32_e32 v64, 0x400, v0
	v_cndmask_b32_e32 v5, v16, v5, vcc
	v_lshlrev_b32_e32 v5, 1, v5
	ds_write_b16 v5, v38
	v_sub_u32_e32 v5, v73, v20
	v_sub_u32_e32 v16, v40, v5
	v_add_u32_e32 v16, 8, v16
	v_cmp_eq_u32_e32 vcc, 1, v17
	v_or_b32_e32 v26, 0x2a00, v0
	v_or_b32_e32 v24, 0x2c00, v0
	v_cndmask_b32_e32 v5, v16, v5, vcc
	v_lshlrev_b32_e32 v5, 1, v5
	ds_write_b16 v5, v14
	v_sub_u32_e32 v5, v74, v20
	v_sub_u32_e32 v14, v40, v5
	v_and_b32_e32 v16, 1, v63
	v_add_u32_e32 v14, 9, v14
	v_cmp_eq_u32_e32 vcc, 1, v16
	v_and_b32_e32 v16, 1, v62
	v_or_b32_e32 v62, 0x600, v0
	;; [unrolled: 19-line block ×5, first 2 shown]
	v_cndmask_b32_e32 v5, v12, v5, vcc
	v_lshlrev_b32_e32 v5, 1, v5
	ds_write_b16 v5, v34
	v_sub_u32_e32 v5, v81, v20
	v_sub_u32_e32 v12, v40, v5
	v_add_u32_e32 v12, 16, v12
	v_cmp_eq_u32_e32 vcc, 1, v13
	v_or_b32_e32 v34, 0x2200, v0
	s_nop 0
	v_cndmask_b32_e32 v5, v12, v5, vcc
	v_lshlrev_b32_e32 v5, 1, v5
	ds_write_b16 v5, v10
	v_sub_u32_e32 v5, v82, v20
	v_sub_u32_e32 v10, v40, v5
	v_and_b32_e32 v12, 1, v55
	v_add_u32_e32 v10, 17, v10
	v_cmp_eq_u32_e32 vcc, 1, v12
	v_and_b32_e32 v12, 1, v54
	s_nop 0
	v_cndmask_b32_e32 v5, v10, v5, vcc
	v_lshlrev_b32_e32 v5, 1, v5
	ds_write_b16 v5, v33
	v_sub_u32_e32 v5, v83, v20
	v_sub_u32_e32 v10, v40, v5
	v_add_u32_e32 v10, 18, v10
	v_cmp_eq_u32_e32 vcc, 1, v12
	v_or_b32_e32 v12, 0x3600, v0
	s_nop 0
	v_cndmask_b32_e32 v5, v10, v5, vcc
	v_lshlrev_b32_e32 v5, 1, v5
	ds_write_b16 v5, v11
	v_sub_u32_e32 v5, v84, v20
	v_sub_u32_e32 v10, v40, v5
	v_and_b32_e32 v11, 1, v53
	v_add_u32_e32 v10, 19, v10
	v_cmp_eq_u32_e32 vcc, 1, v11
	v_and_b32_e32 v11, 1, v52
	v_or_b32_e32 v53, 0xe00, v0
	v_cndmask_b32_e32 v5, v10, v5, vcc
	v_lshlrev_b32_e32 v5, 1, v5
	ds_write_b16 v5, v32
	v_sub_u32_e32 v5, v85, v20
	v_sub_u32_e32 v10, v40, v5
	v_add_u32_e32 v10, 20, v10
	v_cmp_eq_u32_e32 vcc, 1, v11
	v_or_b32_e32 v52, 0x1000, v0
	v_or_b32_e32 v32, 0x2400, v0
	v_cndmask_b32_e32 v5, v10, v5, vcc
	v_lshlrev_b32_e32 v5, 1, v5
	ds_write_b16 v5, v8
	v_sub_u32_e32 v5, v86, v20
	v_sub_u32_e32 v8, v40, v5
	v_and_b32_e32 v10, 1, v51
	v_add_u32_e32 v8, 21, v8
	v_cmp_eq_u32_e32 vcc, 1, v10
	v_and_b32_e32 v10, 1, v50
	v_or_b32_e32 v50, 0x1200, v0
	v_cndmask_b32_e32 v5, v8, v5, vcc
	v_lshlrev_b32_e32 v5, 1, v5
	ds_write_b16 v5, v31
	v_sub_u32_e32 v5, v87, v20
	v_sub_u32_e32 v8, v40, v5
	v_add_u32_e32 v8, 22, v8
	v_cmp_eq_u32_e32 vcc, 1, v10
	v_or_b32_e32 v10, 0x3800, v0
	s_nop 0
	v_cndmask_b32_e32 v5, v8, v5, vcc
	v_lshlrev_b32_e32 v5, 1, v5
	ds_write_b16 v5, v9
	v_sub_u32_e32 v5, v88, v20
	v_sub_u32_e32 v8, v40, v5
	v_and_b32_e32 v9, 1, v49
	v_add_u32_e32 v8, 23, v8
	v_cmp_eq_u32_e32 vcc, 1, v9
	v_and_b32_e32 v9, 1, v48
	v_or_b32_e32 v48, 0x1400, v0
	v_cndmask_b32_e32 v5, v8, v5, vcc
	v_lshlrev_b32_e32 v5, 1, v5
	ds_write_b16 v5, v30
	v_sub_u32_e32 v5, v89, v20
	v_sub_u32_e32 v8, v40, v5
	v_add_u32_e32 v8, 24, v8
	v_cmp_eq_u32_e32 vcc, 1, v9
	v_or_b32_e32 v30, 0x2600, v0
	s_nop 0
	v_cndmask_b32_e32 v5, v8, v5, vcc
	v_lshlrev_b32_e32 v5, 1, v5
	ds_write_b16 v5, v6
	v_sub_u32_e32 v5, v90, v20
	v_sub_u32_e32 v6, v40, v5
	v_and_b32_e32 v8, 1, v47
	v_add_u32_e32 v6, 25, v6
	v_cmp_eq_u32_e32 vcc, 1, v8
	v_and_b32_e32 v8, 1, v46
	v_or_b32_e32 v46, 0x1600, v0
	v_cndmask_b32_e32 v5, v6, v5, vcc
	v_lshlrev_b32_e32 v5, 1, v5
	ds_write_b16 v5, v29
	v_sub_u32_e32 v5, v91, v20
	v_sub_u32_e32 v6, v40, v5
	v_add_u32_e32 v6, 26, v6
	v_cmp_eq_u32_e32 vcc, 1, v8
	s_nop 1
	v_cndmask_b32_e32 v5, v6, v5, vcc
	v_lshlrev_b32_e32 v5, 1, v5
	ds_write_b16 v5, v7
	v_sub_u32_e32 v5, v92, v20
	v_sub_u32_e32 v6, v40, v5
	v_and_b32_e32 v7, 1, v45
	v_add_u32_e32 v6, 27, v6
	v_cmp_eq_u32_e32 vcc, 1, v7
	v_and_b32_e32 v7, 1, v43
	s_nop 0
	v_cndmask_b32_e32 v5, v6, v5, vcc
	v_lshlrev_b32_e32 v5, 1, v5
	ds_write_b16 v5, v28
	v_sub_u32_e32 v5, v93, v20
	v_sub_u32_e32 v6, v40, v5
	v_add_u32_e32 v6, 28, v6
	v_cmp_eq_u32_e32 vcc, 1, v7
	v_or_b32_e32 v28, 0x2800, v0
	s_nop 0
	v_cndmask_b32_e32 v5, v6, v5, vcc
	v_lshlrev_b32_e32 v5, 1, v5
	ds_write_b16 v5, v3
	v_sub_u32_sdwa v3, v43, v20 dst_sel:DWORD dst_unused:UNUSED_PAD src0_sel:BYTE_0 src1_sel:DWORD
	v_add_u32_e32 v3, v93, v3
	v_sub_u32_e32 v5, v40, v3
	v_and_b32_e32 v6, 1, v44
	v_add_u32_e32 v5, 29, v5
	v_cmp_eq_u32_e32 vcc, 1, v6
	v_or_b32_e32 v44, 0x1800, v0
	v_or_b32_e32 v40, 0x1c00, v0
	v_cndmask_b32_e32 v3, v5, v3, vcc
	v_lshlrev_b32_e32 v3, 1, v3
	ds_write_b16 v3, v1
	s_waitcnt lgkmcnt(0)
	s_barrier
	ds_read_u16 v68, v2
	ds_read_u16 v67, v2 offset:1024
	ds_read_u16 v65, v2 offset:2048
	;; [unrolled: 1-line block ×29, first 2 shown]
	v_mov_b32_e32 v5, v21
	v_lshl_add_u64 v[6:7], s[28:29], 0, v[4:5]
	v_lshl_add_u64 v[6:7], v[6:7], 0, v[20:21]
	v_mov_b32_e32 v5, s23
	v_sub_co_u32_e32 v8, vcc, s22, v6
	v_or_b32_e32 v1, 0x3a00, v0
	s_nop 0
	v_subb_co_u32_e32 v9, vcc, v5, v7, vcc
	v_lshlrev_b64 v[8:9], 1, v[8:9]
	v_lshl_add_u64 v[8:9], s[0:1], 0, v[8:9]
	v_lshl_add_u64 v[8:9], v[8:9], 0, s[30:31]
	s_and_b64 vcc, exec, s[20:21]
	v_cmp_ge_u32_e64 s[0:1], v0, v4
	s_cbranch_vccnz .LBB2860_141
; %bb.110:
	s_and_saveexec_b64 s[2:3], s[0:1]
	s_cbranch_execnz .LBB2860_206
; %bb.111:
	s_or_b64 exec, exec, s[2:3]
	v_cmp_ge_u32_e32 vcc, v66, v4
	s_and_saveexec_b64 s[0:1], vcc
	s_cbranch_execnz .LBB2860_207
.LBB2860_112:
	s_or_b64 exec, exec, s[0:1]
	v_cmp_ge_u32_e32 vcc, v64, v4
	s_and_saveexec_b64 s[0:1], vcc
	s_cbranch_execnz .LBB2860_208
.LBB2860_113:
	s_or_b64 exec, exec, s[0:1]
	v_cmp_ge_u32_e32 vcc, v62, v4
	s_and_saveexec_b64 s[0:1], vcc
	s_cbranch_execnz .LBB2860_209
.LBB2860_114:
	s_or_b64 exec, exec, s[0:1]
	v_cmp_ge_u32_e32 vcc, v60, v4
	s_and_saveexec_b64 s[0:1], vcc
	s_cbranch_execnz .LBB2860_210
.LBB2860_115:
	s_or_b64 exec, exec, s[0:1]
	v_cmp_ge_u32_e32 vcc, v58, v4
	s_and_saveexec_b64 s[0:1], vcc
	s_cbranch_execnz .LBB2860_211
.LBB2860_116:
	s_or_b64 exec, exec, s[0:1]
	v_cmp_ge_u32_e32 vcc, v56, v4
	s_and_saveexec_b64 s[0:1], vcc
	s_cbranch_execnz .LBB2860_212
.LBB2860_117:
	s_or_b64 exec, exec, s[0:1]
	v_cmp_ge_u32_e32 vcc, v53, v4
	s_and_saveexec_b64 s[0:1], vcc
	s_cbranch_execnz .LBB2860_213
.LBB2860_118:
	s_or_b64 exec, exec, s[0:1]
	v_cmp_ge_u32_e32 vcc, v52, v4
	s_and_saveexec_b64 s[0:1], vcc
	s_cbranch_execnz .LBB2860_214
.LBB2860_119:
	s_or_b64 exec, exec, s[0:1]
	v_cmp_ge_u32_e32 vcc, v50, v4
	s_and_saveexec_b64 s[0:1], vcc
	s_cbranch_execnz .LBB2860_215
.LBB2860_120:
	s_or_b64 exec, exec, s[0:1]
	v_cmp_ge_u32_e32 vcc, v48, v4
	s_and_saveexec_b64 s[0:1], vcc
	s_cbranch_execnz .LBB2860_216
.LBB2860_121:
	s_or_b64 exec, exec, s[0:1]
	v_cmp_ge_u32_e32 vcc, v46, v4
	s_and_saveexec_b64 s[0:1], vcc
	s_cbranch_execnz .LBB2860_217
.LBB2860_122:
	s_or_b64 exec, exec, s[0:1]
	v_cmp_ge_u32_e32 vcc, v44, v4
	s_and_saveexec_b64 s[0:1], vcc
	s_cbranch_execnz .LBB2860_218
.LBB2860_123:
	s_or_b64 exec, exec, s[0:1]
	v_cmp_ge_u32_e32 vcc, v42, v4
	s_and_saveexec_b64 s[0:1], vcc
	s_cbranch_execnz .LBB2860_219
.LBB2860_124:
	s_or_b64 exec, exec, s[0:1]
	v_cmp_ge_u32_e32 vcc, v40, v4
	s_and_saveexec_b64 s[0:1], vcc
	s_cbranch_execnz .LBB2860_220
.LBB2860_125:
	s_or_b64 exec, exec, s[0:1]
	v_cmp_ge_u32_e32 vcc, v37, v4
	s_and_saveexec_b64 s[0:1], vcc
	s_cbranch_execnz .LBB2860_221
.LBB2860_126:
	s_or_b64 exec, exec, s[0:1]
	v_cmp_ge_u32_e32 vcc, v36, v4
	s_and_saveexec_b64 s[0:1], vcc
	s_cbranch_execnz .LBB2860_222
.LBB2860_127:
	s_or_b64 exec, exec, s[0:1]
	v_cmp_ge_u32_e32 vcc, v34, v4
	s_and_saveexec_b64 s[0:1], vcc
	s_cbranch_execnz .LBB2860_223
.LBB2860_128:
	s_or_b64 exec, exec, s[0:1]
	v_cmp_ge_u32_e32 vcc, v32, v4
	s_and_saveexec_b64 s[0:1], vcc
	s_cbranch_execnz .LBB2860_224
.LBB2860_129:
	s_or_b64 exec, exec, s[0:1]
	v_cmp_ge_u32_e32 vcc, v30, v4
	s_and_saveexec_b64 s[0:1], vcc
	s_cbranch_execnz .LBB2860_225
.LBB2860_130:
	s_or_b64 exec, exec, s[0:1]
	v_cmp_ge_u32_e32 vcc, v28, v4
	s_and_saveexec_b64 s[0:1], vcc
	s_cbranch_execnz .LBB2860_226
.LBB2860_131:
	s_or_b64 exec, exec, s[0:1]
	v_cmp_ge_u32_e32 vcc, v26, v4
	s_and_saveexec_b64 s[0:1], vcc
	s_cbranch_execnz .LBB2860_227
.LBB2860_132:
	s_or_b64 exec, exec, s[0:1]
	v_cmp_ge_u32_e32 vcc, v24, v4
	s_and_saveexec_b64 s[0:1], vcc
	s_cbranch_execnz .LBB2860_228
.LBB2860_133:
	s_or_b64 exec, exec, s[0:1]
	v_cmp_ge_u32_e32 vcc, v22, v4
	s_and_saveexec_b64 s[0:1], vcc
	s_cbranch_execnz .LBB2860_229
.LBB2860_134:
	s_or_b64 exec, exec, s[0:1]
	v_cmp_ge_u32_e32 vcc, v18, v4
	s_and_saveexec_b64 s[0:1], vcc
	s_cbranch_execnz .LBB2860_230
.LBB2860_135:
	s_or_b64 exec, exec, s[0:1]
	v_cmp_ge_u32_e32 vcc, v16, v4
	s_and_saveexec_b64 s[0:1], vcc
	s_cbranch_execnz .LBB2860_231
.LBB2860_136:
	s_or_b64 exec, exec, s[0:1]
	v_cmp_ge_u32_e32 vcc, v14, v4
	s_and_saveexec_b64 s[0:1], vcc
	s_cbranch_execnz .LBB2860_232
.LBB2860_137:
	s_or_b64 exec, exec, s[0:1]
	v_cmp_ge_u32_e32 vcc, v12, v4
	s_and_saveexec_b64 s[0:1], vcc
	s_cbranch_execnz .LBB2860_233
.LBB2860_138:
	s_or_b64 exec, exec, s[0:1]
	v_cmp_ge_u32_e32 vcc, v10, v4
	s_and_saveexec_b64 s[0:1], vcc
	s_cbranch_execz .LBB2860_140
.LBB2860_139:
	v_lshlrev_b32_e32 v5, 1, v10
	v_readfirstlane_b32 s2, v8
	v_readfirstlane_b32 s3, v9
	s_waitcnt lgkmcnt(1)
	s_nop 3
	global_store_short v5, v11, s[2:3]
.LBB2860_140:
	s_or_b64 exec, exec, s[0:1]
	v_cmp_ge_u32_e64 s[0:1], v1, v4
	s_branch .LBB2860_201
.LBB2860_141:
	s_mov_b64 s[0:1], 0
	s_cbranch_execz .LBB2860_201
; %bb.142:
	v_cmp_gt_u32_e32 vcc, s33, v0
	v_cmp_ge_u32_e64 s[0:1], v0, v4
	s_and_b64 s[2:3], vcc, s[0:1]
	s_and_saveexec_b64 s[0:1], s[2:3]
	s_cbranch_execz .LBB2860_144
; %bb.143:
	v_readfirstlane_b32 s2, v8
	v_readfirstlane_b32 s3, v9
	s_waitcnt lgkmcnt(14)
	s_nop 3
	global_store_short v2, v68, s[2:3]
.LBB2860_144:
	s_or_b64 exec, exec, s[0:1]
	v_cmp_gt_u32_e32 vcc, s33, v66
	v_cmp_ge_u32_e64 s[0:1], v66, v4
	s_and_b64 s[2:3], vcc, s[0:1]
	s_and_saveexec_b64 s[0:1], s[2:3]
	s_cbranch_execz .LBB2860_146
; %bb.145:
	v_readfirstlane_b32 s2, v8
	v_readfirstlane_b32 s3, v9
	s_waitcnt lgkmcnt(14)
	s_nop 3
	global_store_short v2, v67, s[2:3] offset:1024
.LBB2860_146:
	s_or_b64 exec, exec, s[0:1]
	v_cmp_gt_u32_e32 vcc, s33, v64
	v_cmp_ge_u32_e64 s[0:1], v64, v4
	s_and_b64 s[2:3], vcc, s[0:1]
	s_and_saveexec_b64 s[0:1], s[2:3]
	s_cbranch_execz .LBB2860_148
; %bb.147:
	v_readfirstlane_b32 s2, v8
	v_readfirstlane_b32 s3, v9
	s_waitcnt lgkmcnt(14)
	s_nop 3
	global_store_short v2, v65, s[2:3] offset:2048
.LBB2860_148:
	;; [unrolled: 13-line block ×3, first 2 shown]
	s_or_b64 exec, exec, s[0:1]
	v_cmp_gt_u32_e32 vcc, s33, v60
	v_cmp_ge_u32_e64 s[0:1], v60, v4
	s_and_b64 s[2:3], vcc, s[0:1]
	s_and_saveexec_b64 s[0:1], s[2:3]
	s_cbranch_execz .LBB2860_152
; %bb.151:
	v_lshlrev_b32_e32 v2, 1, v60
	v_readfirstlane_b32 s2, v8
	v_readfirstlane_b32 s3, v9
	s_waitcnt lgkmcnt(14)
	s_nop 3
	global_store_short v2, v61, s[2:3]
.LBB2860_152:
	s_or_b64 exec, exec, s[0:1]
	v_cmp_gt_u32_e32 vcc, s33, v58
	v_cmp_ge_u32_e64 s[0:1], v58, v4
	s_and_b64 s[2:3], vcc, s[0:1]
	s_and_saveexec_b64 s[0:1], s[2:3]
	s_cbranch_execz .LBB2860_154
; %bb.153:
	v_lshlrev_b32_e32 v2, 1, v58
	v_readfirstlane_b32 s2, v8
	v_readfirstlane_b32 s3, v9
	s_waitcnt lgkmcnt(14)
	s_nop 3
	global_store_short v2, v59, s[2:3]
.LBB2860_154:
	s_or_b64 exec, exec, s[0:1]
	v_cmp_gt_u32_e32 vcc, s33, v56
	v_cmp_ge_u32_e64 s[0:1], v56, v4
	s_and_b64 s[2:3], vcc, s[0:1]
	s_and_saveexec_b64 s[0:1], s[2:3]
	s_cbranch_execz .LBB2860_156
; %bb.155:
	v_lshlrev_b32_e32 v2, 1, v56
	v_readfirstlane_b32 s2, v8
	v_readfirstlane_b32 s3, v9
	s_waitcnt lgkmcnt(14)
	s_nop 3
	global_store_short v2, v57, s[2:3]
.LBB2860_156:
	s_or_b64 exec, exec, s[0:1]
	v_cmp_gt_u32_e32 vcc, s33, v53
	v_cmp_ge_u32_e64 s[0:1], v53, v4
	s_and_b64 s[2:3], vcc, s[0:1]
	s_and_saveexec_b64 s[0:1], s[2:3]
	s_cbranch_execz .LBB2860_158
; %bb.157:
	v_lshlrev_b32_e32 v2, 1, v53
	v_readfirstlane_b32 s2, v8
	v_readfirstlane_b32 s3, v9
	s_waitcnt lgkmcnt(14)
	s_nop 3
	global_store_short v2, v55, s[2:3]
.LBB2860_158:
	s_or_b64 exec, exec, s[0:1]
	v_cmp_gt_u32_e32 vcc, s33, v52
	v_cmp_ge_u32_e64 s[0:1], v52, v4
	s_and_b64 s[2:3], vcc, s[0:1]
	s_and_saveexec_b64 s[0:1], s[2:3]
	s_cbranch_execz .LBB2860_160
; %bb.159:
	v_lshlrev_b32_e32 v2, 1, v52
	v_readfirstlane_b32 s2, v8
	v_readfirstlane_b32 s3, v9
	s_waitcnt lgkmcnt(14)
	s_nop 3
	global_store_short v2, v54, s[2:3]
.LBB2860_160:
	s_or_b64 exec, exec, s[0:1]
	v_cmp_gt_u32_e32 vcc, s33, v50
	v_cmp_ge_u32_e64 s[0:1], v50, v4
	s_and_b64 s[2:3], vcc, s[0:1]
	s_and_saveexec_b64 s[0:1], s[2:3]
	s_cbranch_execz .LBB2860_162
; %bb.161:
	v_lshlrev_b32_e32 v2, 1, v50
	v_readfirstlane_b32 s2, v8
	v_readfirstlane_b32 s3, v9
	s_waitcnt lgkmcnt(14)
	s_nop 3
	global_store_short v2, v51, s[2:3]
.LBB2860_162:
	s_or_b64 exec, exec, s[0:1]
	v_cmp_gt_u32_e32 vcc, s33, v48
	v_cmp_ge_u32_e64 s[0:1], v48, v4
	s_and_b64 s[2:3], vcc, s[0:1]
	s_and_saveexec_b64 s[0:1], s[2:3]
	s_cbranch_execz .LBB2860_164
; %bb.163:
	v_lshlrev_b32_e32 v2, 1, v48
	v_readfirstlane_b32 s2, v8
	v_readfirstlane_b32 s3, v9
	s_waitcnt lgkmcnt(14)
	s_nop 3
	global_store_short v2, v49, s[2:3]
.LBB2860_164:
	s_or_b64 exec, exec, s[0:1]
	v_cmp_gt_u32_e32 vcc, s33, v46
	v_cmp_ge_u32_e64 s[0:1], v46, v4
	s_and_b64 s[2:3], vcc, s[0:1]
	s_and_saveexec_b64 s[0:1], s[2:3]
	s_cbranch_execz .LBB2860_166
; %bb.165:
	v_lshlrev_b32_e32 v2, 1, v46
	v_readfirstlane_b32 s2, v8
	v_readfirstlane_b32 s3, v9
	s_waitcnt lgkmcnt(14)
	s_nop 3
	global_store_short v2, v47, s[2:3]
.LBB2860_166:
	s_or_b64 exec, exec, s[0:1]
	v_cmp_gt_u32_e32 vcc, s33, v44
	v_cmp_ge_u32_e64 s[0:1], v44, v4
	s_and_b64 s[2:3], vcc, s[0:1]
	s_and_saveexec_b64 s[0:1], s[2:3]
	s_cbranch_execz .LBB2860_168
; %bb.167:
	v_lshlrev_b32_e32 v2, 1, v44
	v_readfirstlane_b32 s2, v8
	v_readfirstlane_b32 s3, v9
	s_waitcnt lgkmcnt(14)
	s_nop 3
	global_store_short v2, v45, s[2:3]
.LBB2860_168:
	s_or_b64 exec, exec, s[0:1]
	v_cmp_gt_u32_e32 vcc, s33, v42
	v_cmp_ge_u32_e64 s[0:1], v42, v4
	s_and_b64 s[2:3], vcc, s[0:1]
	s_and_saveexec_b64 s[0:1], s[2:3]
	s_cbranch_execz .LBB2860_170
; %bb.169:
	v_lshlrev_b32_e32 v2, 1, v42
	v_readfirstlane_b32 s2, v8
	v_readfirstlane_b32 s3, v9
	s_waitcnt lgkmcnt(14)
	s_nop 3
	global_store_short v2, v43, s[2:3]
.LBB2860_170:
	s_or_b64 exec, exec, s[0:1]
	v_cmp_gt_u32_e32 vcc, s33, v40
	v_cmp_ge_u32_e64 s[0:1], v40, v4
	s_and_b64 s[2:3], vcc, s[0:1]
	s_and_saveexec_b64 s[0:1], s[2:3]
	s_cbranch_execz .LBB2860_172
; %bb.171:
	v_lshlrev_b32_e32 v2, 1, v40
	v_readfirstlane_b32 s2, v8
	v_readfirstlane_b32 s3, v9
	s_waitcnt lgkmcnt(14)
	s_nop 3
	global_store_short v2, v41, s[2:3]
.LBB2860_172:
	s_or_b64 exec, exec, s[0:1]
	v_cmp_gt_u32_e32 vcc, s33, v37
	v_cmp_ge_u32_e64 s[0:1], v37, v4
	s_and_b64 s[2:3], vcc, s[0:1]
	s_and_saveexec_b64 s[0:1], s[2:3]
	s_cbranch_execz .LBB2860_174
; %bb.173:
	v_lshlrev_b32_e32 v2, 1, v37
	v_readfirstlane_b32 s2, v8
	v_readfirstlane_b32 s3, v9
	s_waitcnt lgkmcnt(14)
	s_nop 3
	global_store_short v2, v39, s[2:3]
.LBB2860_174:
	s_or_b64 exec, exec, s[0:1]
	v_cmp_gt_u32_e32 vcc, s33, v36
	v_cmp_ge_u32_e64 s[0:1], v36, v4
	s_and_b64 s[2:3], vcc, s[0:1]
	s_and_saveexec_b64 s[0:1], s[2:3]
	s_cbranch_execz .LBB2860_176
; %bb.175:
	v_lshlrev_b32_e32 v2, 1, v36
	v_readfirstlane_b32 s2, v8
	v_readfirstlane_b32 s3, v9
	s_waitcnt lgkmcnt(13)
	s_nop 3
	global_store_short v2, v38, s[2:3]
.LBB2860_176:
	s_or_b64 exec, exec, s[0:1]
	v_cmp_gt_u32_e32 vcc, s33, v34
	v_cmp_ge_u32_e64 s[0:1], v34, v4
	s_and_b64 s[2:3], vcc, s[0:1]
	s_and_saveexec_b64 s[0:1], s[2:3]
	s_cbranch_execz .LBB2860_178
; %bb.177:
	v_lshlrev_b32_e32 v2, 1, v34
	v_readfirstlane_b32 s2, v8
	v_readfirstlane_b32 s3, v9
	s_waitcnt lgkmcnt(12)
	s_nop 3
	global_store_short v2, v35, s[2:3]
.LBB2860_178:
	s_or_b64 exec, exec, s[0:1]
	v_cmp_gt_u32_e32 vcc, s33, v32
	v_cmp_ge_u32_e64 s[0:1], v32, v4
	s_and_b64 s[2:3], vcc, s[0:1]
	s_and_saveexec_b64 s[0:1], s[2:3]
	s_cbranch_execz .LBB2860_180
; %bb.179:
	v_lshlrev_b32_e32 v2, 1, v32
	v_readfirstlane_b32 s2, v8
	v_readfirstlane_b32 s3, v9
	s_waitcnt lgkmcnt(11)
	s_nop 3
	global_store_short v2, v33, s[2:3]
.LBB2860_180:
	s_or_b64 exec, exec, s[0:1]
	v_cmp_gt_u32_e32 vcc, s33, v30
	v_cmp_ge_u32_e64 s[0:1], v30, v4
	s_and_b64 s[2:3], vcc, s[0:1]
	s_and_saveexec_b64 s[0:1], s[2:3]
	s_cbranch_execz .LBB2860_182
; %bb.181:
	v_lshlrev_b32_e32 v2, 1, v30
	v_readfirstlane_b32 s2, v8
	v_readfirstlane_b32 s3, v9
	s_waitcnt lgkmcnt(10)
	s_nop 3
	global_store_short v2, v31, s[2:3]
.LBB2860_182:
	s_or_b64 exec, exec, s[0:1]
	v_cmp_gt_u32_e32 vcc, s33, v28
	v_cmp_ge_u32_e64 s[0:1], v28, v4
	s_and_b64 s[2:3], vcc, s[0:1]
	s_and_saveexec_b64 s[0:1], s[2:3]
	s_cbranch_execz .LBB2860_184
; %bb.183:
	v_lshlrev_b32_e32 v2, 1, v28
	v_readfirstlane_b32 s2, v8
	v_readfirstlane_b32 s3, v9
	s_waitcnt lgkmcnt(9)
	s_nop 3
	global_store_short v2, v29, s[2:3]
.LBB2860_184:
	s_or_b64 exec, exec, s[0:1]
	v_cmp_gt_u32_e32 vcc, s33, v26
	v_cmp_ge_u32_e64 s[0:1], v26, v4
	s_and_b64 s[2:3], vcc, s[0:1]
	s_and_saveexec_b64 s[0:1], s[2:3]
	s_cbranch_execz .LBB2860_186
; %bb.185:
	v_lshlrev_b32_e32 v2, 1, v26
	v_readfirstlane_b32 s2, v8
	v_readfirstlane_b32 s3, v9
	s_waitcnt lgkmcnt(8)
	s_nop 3
	global_store_short v2, v27, s[2:3]
.LBB2860_186:
	s_or_b64 exec, exec, s[0:1]
	v_cmp_gt_u32_e32 vcc, s33, v24
	v_cmp_ge_u32_e64 s[0:1], v24, v4
	s_and_b64 s[2:3], vcc, s[0:1]
	s_and_saveexec_b64 s[0:1], s[2:3]
	s_cbranch_execz .LBB2860_188
; %bb.187:
	v_lshlrev_b32_e32 v2, 1, v24
	v_readfirstlane_b32 s2, v8
	v_readfirstlane_b32 s3, v9
	s_waitcnt lgkmcnt(7)
	s_nop 3
	global_store_short v2, v25, s[2:3]
.LBB2860_188:
	s_or_b64 exec, exec, s[0:1]
	v_cmp_gt_u32_e32 vcc, s33, v22
	v_cmp_ge_u32_e64 s[0:1], v22, v4
	s_and_b64 s[2:3], vcc, s[0:1]
	s_and_saveexec_b64 s[0:1], s[2:3]
	s_cbranch_execz .LBB2860_190
; %bb.189:
	v_lshlrev_b32_e32 v2, 1, v22
	v_readfirstlane_b32 s2, v8
	v_readfirstlane_b32 s3, v9
	s_waitcnt lgkmcnt(6)
	s_nop 3
	global_store_short v2, v23, s[2:3]
.LBB2860_190:
	s_or_b64 exec, exec, s[0:1]
	v_cmp_gt_u32_e32 vcc, s33, v18
	v_cmp_ge_u32_e64 s[0:1], v18, v4
	s_and_b64 s[2:3], vcc, s[0:1]
	s_and_saveexec_b64 s[0:1], s[2:3]
	s_cbranch_execz .LBB2860_192
; %bb.191:
	v_lshlrev_b32_e32 v2, 1, v18
	v_readfirstlane_b32 s2, v8
	v_readfirstlane_b32 s3, v9
	s_waitcnt lgkmcnt(5)
	s_nop 3
	global_store_short v2, v19, s[2:3]
.LBB2860_192:
	s_or_b64 exec, exec, s[0:1]
	v_cmp_gt_u32_e32 vcc, s33, v16
	v_cmp_ge_u32_e64 s[0:1], v16, v4
	s_and_b64 s[2:3], vcc, s[0:1]
	s_and_saveexec_b64 s[0:1], s[2:3]
	s_cbranch_execz .LBB2860_194
; %bb.193:
	v_lshlrev_b32_e32 v2, 1, v16
	v_readfirstlane_b32 s2, v8
	v_readfirstlane_b32 s3, v9
	s_waitcnt lgkmcnt(4)
	s_nop 3
	global_store_short v2, v17, s[2:3]
.LBB2860_194:
	s_or_b64 exec, exec, s[0:1]
	v_cmp_gt_u32_e32 vcc, s33, v14
	v_cmp_ge_u32_e64 s[0:1], v14, v4
	s_and_b64 s[2:3], vcc, s[0:1]
	s_and_saveexec_b64 s[0:1], s[2:3]
	s_cbranch_execz .LBB2860_196
; %bb.195:
	v_lshlrev_b32_e32 v2, 1, v14
	v_readfirstlane_b32 s2, v8
	v_readfirstlane_b32 s3, v9
	s_waitcnt lgkmcnt(3)
	s_nop 3
	global_store_short v2, v15, s[2:3]
.LBB2860_196:
	s_or_b64 exec, exec, s[0:1]
	v_cmp_gt_u32_e32 vcc, s33, v12
	v_cmp_ge_u32_e64 s[0:1], v12, v4
	s_and_b64 s[2:3], vcc, s[0:1]
	s_and_saveexec_b64 s[0:1], s[2:3]
	s_cbranch_execz .LBB2860_198
; %bb.197:
	v_lshlrev_b32_e32 v2, 1, v12
	v_readfirstlane_b32 s2, v8
	v_readfirstlane_b32 s3, v9
	s_waitcnt lgkmcnt(2)
	s_nop 3
	global_store_short v2, v13, s[2:3]
.LBB2860_198:
	s_or_b64 exec, exec, s[0:1]
	v_cmp_gt_u32_e32 vcc, s33, v10
	v_cmp_ge_u32_e64 s[0:1], v10, v4
	s_and_b64 s[2:3], vcc, s[0:1]
	s_and_saveexec_b64 s[0:1], s[2:3]
	s_cbranch_execz .LBB2860_200
; %bb.199:
	v_lshlrev_b32_e32 v2, 1, v10
	v_readfirstlane_b32 s2, v8
	v_readfirstlane_b32 s3, v9
	s_waitcnt lgkmcnt(1)
	s_nop 3
	global_store_short v2, v11, s[2:3]
.LBB2860_200:
	s_or_b64 exec, exec, s[0:1]
	v_cmp_gt_u32_e32 vcc, s33, v1
	v_cmp_ge_u32_e64 s[0:1], v1, v4
	s_and_b64 s[0:1], vcc, s[0:1]
.LBB2860_201:
	s_and_saveexec_b64 s[2:3], s[0:1]
	s_cbranch_execz .LBB2860_203
; %bb.202:
	v_lshlrev_b32_e32 v1, 1, v1
	v_readfirstlane_b32 s0, v8
	v_readfirstlane_b32 s1, v9
	s_waitcnt lgkmcnt(0)
	s_nop 3
	global_store_short v1, v3, s[0:1]
.LBB2860_203:
	s_or_b64 exec, exec, s[2:3]
	v_cmp_eq_u32_e32 vcc, 0, v0
	s_and_b64 s[0:1], vcc, s[26:27]
	s_and_saveexec_b64 s[2:3], s[0:1]
	s_cbranch_execz .LBB2860_205
; %bb.204:
	v_mov_b32_e32 v0, 0
	global_store_dwordx2 v0, v[6:7], s[24:25]
.LBB2860_205:
	s_endpgm
.LBB2860_206:
	v_readfirstlane_b32 s0, v8
	v_readfirstlane_b32 s1, v9
	s_waitcnt lgkmcnt(14)
	s_nop 3
	global_store_short v2, v68, s[0:1]
	s_or_b64 exec, exec, s[2:3]
	v_cmp_ge_u32_e32 vcc, v66, v4
	s_and_saveexec_b64 s[0:1], vcc
	s_cbranch_execz .LBB2860_112
.LBB2860_207:
	v_readfirstlane_b32 s2, v8
	v_readfirstlane_b32 s3, v9
	s_waitcnt lgkmcnt(14)
	s_nop 3
	global_store_short v2, v67, s[2:3] offset:1024
	s_or_b64 exec, exec, s[0:1]
	v_cmp_ge_u32_e32 vcc, v64, v4
	s_and_saveexec_b64 s[0:1], vcc
	s_cbranch_execz .LBB2860_113
.LBB2860_208:
	v_readfirstlane_b32 s2, v8
	v_readfirstlane_b32 s3, v9
	s_waitcnt lgkmcnt(14)
	s_nop 3
	global_store_short v2, v65, s[2:3] offset:2048
	s_or_b64 exec, exec, s[0:1]
	v_cmp_ge_u32_e32 vcc, v62, v4
	s_and_saveexec_b64 s[0:1], vcc
	s_cbranch_execz .LBB2860_114
.LBB2860_209:
	v_readfirstlane_b32 s2, v8
	v_readfirstlane_b32 s3, v9
	s_waitcnt lgkmcnt(14)
	s_nop 3
	global_store_short v2, v63, s[2:3] offset:3072
	s_or_b64 exec, exec, s[0:1]
	v_cmp_ge_u32_e32 vcc, v60, v4
	s_and_saveexec_b64 s[0:1], vcc
	s_cbranch_execz .LBB2860_115
.LBB2860_210:
	v_lshlrev_b32_e32 v5, 1, v60
	v_readfirstlane_b32 s2, v8
	v_readfirstlane_b32 s3, v9
	s_waitcnt lgkmcnt(14)
	s_nop 3
	global_store_short v5, v61, s[2:3]
	s_or_b64 exec, exec, s[0:1]
	v_cmp_ge_u32_e32 vcc, v58, v4
	s_and_saveexec_b64 s[0:1], vcc
	s_cbranch_execz .LBB2860_116
.LBB2860_211:
	v_lshlrev_b32_e32 v5, 1, v58
	v_readfirstlane_b32 s2, v8
	v_readfirstlane_b32 s3, v9
	s_waitcnt lgkmcnt(14)
	s_nop 3
	global_store_short v5, v59, s[2:3]
	s_or_b64 exec, exec, s[0:1]
	v_cmp_ge_u32_e32 vcc, v56, v4
	s_and_saveexec_b64 s[0:1], vcc
	s_cbranch_execz .LBB2860_117
.LBB2860_212:
	v_lshlrev_b32_e32 v5, 1, v56
	v_readfirstlane_b32 s2, v8
	v_readfirstlane_b32 s3, v9
	s_waitcnt lgkmcnt(14)
	s_nop 3
	global_store_short v5, v57, s[2:3]
	s_or_b64 exec, exec, s[0:1]
	v_cmp_ge_u32_e32 vcc, v53, v4
	s_and_saveexec_b64 s[0:1], vcc
	s_cbranch_execz .LBB2860_118
.LBB2860_213:
	v_lshlrev_b32_e32 v5, 1, v53
	v_readfirstlane_b32 s2, v8
	v_readfirstlane_b32 s3, v9
	s_waitcnt lgkmcnt(14)
	s_nop 3
	global_store_short v5, v55, s[2:3]
	s_or_b64 exec, exec, s[0:1]
	v_cmp_ge_u32_e32 vcc, v52, v4
	s_and_saveexec_b64 s[0:1], vcc
	s_cbranch_execz .LBB2860_119
.LBB2860_214:
	v_lshlrev_b32_e32 v5, 1, v52
	v_readfirstlane_b32 s2, v8
	v_readfirstlane_b32 s3, v9
	s_waitcnt lgkmcnt(14)
	s_nop 3
	global_store_short v5, v54, s[2:3]
	s_or_b64 exec, exec, s[0:1]
	v_cmp_ge_u32_e32 vcc, v50, v4
	s_and_saveexec_b64 s[0:1], vcc
	s_cbranch_execz .LBB2860_120
.LBB2860_215:
	v_lshlrev_b32_e32 v5, 1, v50
	v_readfirstlane_b32 s2, v8
	v_readfirstlane_b32 s3, v9
	s_waitcnt lgkmcnt(14)
	s_nop 3
	global_store_short v5, v51, s[2:3]
	s_or_b64 exec, exec, s[0:1]
	v_cmp_ge_u32_e32 vcc, v48, v4
	s_and_saveexec_b64 s[0:1], vcc
	s_cbranch_execz .LBB2860_121
.LBB2860_216:
	v_lshlrev_b32_e32 v5, 1, v48
	v_readfirstlane_b32 s2, v8
	v_readfirstlane_b32 s3, v9
	s_waitcnt lgkmcnt(14)
	s_nop 3
	global_store_short v5, v49, s[2:3]
	s_or_b64 exec, exec, s[0:1]
	v_cmp_ge_u32_e32 vcc, v46, v4
	s_and_saveexec_b64 s[0:1], vcc
	s_cbranch_execz .LBB2860_122
.LBB2860_217:
	v_lshlrev_b32_e32 v5, 1, v46
	v_readfirstlane_b32 s2, v8
	v_readfirstlane_b32 s3, v9
	s_waitcnt lgkmcnt(14)
	s_nop 3
	global_store_short v5, v47, s[2:3]
	s_or_b64 exec, exec, s[0:1]
	v_cmp_ge_u32_e32 vcc, v44, v4
	s_and_saveexec_b64 s[0:1], vcc
	s_cbranch_execz .LBB2860_123
.LBB2860_218:
	v_lshlrev_b32_e32 v5, 1, v44
	v_readfirstlane_b32 s2, v8
	v_readfirstlane_b32 s3, v9
	s_waitcnt lgkmcnt(14)
	s_nop 3
	global_store_short v5, v45, s[2:3]
	s_or_b64 exec, exec, s[0:1]
	v_cmp_ge_u32_e32 vcc, v42, v4
	s_and_saveexec_b64 s[0:1], vcc
	s_cbranch_execz .LBB2860_124
.LBB2860_219:
	v_lshlrev_b32_e32 v5, 1, v42
	v_readfirstlane_b32 s2, v8
	v_readfirstlane_b32 s3, v9
	s_waitcnt lgkmcnt(14)
	s_nop 3
	global_store_short v5, v43, s[2:3]
	s_or_b64 exec, exec, s[0:1]
	v_cmp_ge_u32_e32 vcc, v40, v4
	s_and_saveexec_b64 s[0:1], vcc
	s_cbranch_execz .LBB2860_125
.LBB2860_220:
	v_lshlrev_b32_e32 v5, 1, v40
	v_readfirstlane_b32 s2, v8
	v_readfirstlane_b32 s3, v9
	s_waitcnt lgkmcnt(14)
	s_nop 3
	global_store_short v5, v41, s[2:3]
	s_or_b64 exec, exec, s[0:1]
	v_cmp_ge_u32_e32 vcc, v37, v4
	s_and_saveexec_b64 s[0:1], vcc
	s_cbranch_execz .LBB2860_126
.LBB2860_221:
	v_lshlrev_b32_e32 v5, 1, v37
	v_readfirstlane_b32 s2, v8
	v_readfirstlane_b32 s3, v9
	s_waitcnt lgkmcnt(14)
	s_nop 3
	global_store_short v5, v39, s[2:3]
	s_or_b64 exec, exec, s[0:1]
	v_cmp_ge_u32_e32 vcc, v36, v4
	s_and_saveexec_b64 s[0:1], vcc
	s_cbranch_execz .LBB2860_127
.LBB2860_222:
	v_lshlrev_b32_e32 v5, 1, v36
	v_readfirstlane_b32 s2, v8
	v_readfirstlane_b32 s3, v9
	s_waitcnt lgkmcnt(13)
	s_nop 3
	global_store_short v5, v38, s[2:3]
	s_or_b64 exec, exec, s[0:1]
	v_cmp_ge_u32_e32 vcc, v34, v4
	s_and_saveexec_b64 s[0:1], vcc
	s_cbranch_execz .LBB2860_128
.LBB2860_223:
	v_lshlrev_b32_e32 v5, 1, v34
	v_readfirstlane_b32 s2, v8
	v_readfirstlane_b32 s3, v9
	s_waitcnt lgkmcnt(12)
	s_nop 3
	global_store_short v5, v35, s[2:3]
	s_or_b64 exec, exec, s[0:1]
	v_cmp_ge_u32_e32 vcc, v32, v4
	s_and_saveexec_b64 s[0:1], vcc
	s_cbranch_execz .LBB2860_129
.LBB2860_224:
	v_lshlrev_b32_e32 v5, 1, v32
	v_readfirstlane_b32 s2, v8
	v_readfirstlane_b32 s3, v9
	s_waitcnt lgkmcnt(11)
	s_nop 3
	global_store_short v5, v33, s[2:3]
	s_or_b64 exec, exec, s[0:1]
	v_cmp_ge_u32_e32 vcc, v30, v4
	s_and_saveexec_b64 s[0:1], vcc
	s_cbranch_execz .LBB2860_130
.LBB2860_225:
	v_lshlrev_b32_e32 v5, 1, v30
	v_readfirstlane_b32 s2, v8
	v_readfirstlane_b32 s3, v9
	s_waitcnt lgkmcnt(10)
	s_nop 3
	global_store_short v5, v31, s[2:3]
	s_or_b64 exec, exec, s[0:1]
	v_cmp_ge_u32_e32 vcc, v28, v4
	s_and_saveexec_b64 s[0:1], vcc
	s_cbranch_execz .LBB2860_131
.LBB2860_226:
	v_lshlrev_b32_e32 v5, 1, v28
	v_readfirstlane_b32 s2, v8
	v_readfirstlane_b32 s3, v9
	s_waitcnt lgkmcnt(9)
	s_nop 3
	global_store_short v5, v29, s[2:3]
	s_or_b64 exec, exec, s[0:1]
	v_cmp_ge_u32_e32 vcc, v26, v4
	s_and_saveexec_b64 s[0:1], vcc
	s_cbranch_execz .LBB2860_132
.LBB2860_227:
	v_lshlrev_b32_e32 v5, 1, v26
	v_readfirstlane_b32 s2, v8
	v_readfirstlane_b32 s3, v9
	s_waitcnt lgkmcnt(8)
	s_nop 3
	global_store_short v5, v27, s[2:3]
	s_or_b64 exec, exec, s[0:1]
	v_cmp_ge_u32_e32 vcc, v24, v4
	s_and_saveexec_b64 s[0:1], vcc
	s_cbranch_execz .LBB2860_133
.LBB2860_228:
	v_lshlrev_b32_e32 v5, 1, v24
	v_readfirstlane_b32 s2, v8
	v_readfirstlane_b32 s3, v9
	s_waitcnt lgkmcnt(7)
	s_nop 3
	global_store_short v5, v25, s[2:3]
	s_or_b64 exec, exec, s[0:1]
	v_cmp_ge_u32_e32 vcc, v22, v4
	s_and_saveexec_b64 s[0:1], vcc
	s_cbranch_execz .LBB2860_134
.LBB2860_229:
	v_lshlrev_b32_e32 v5, 1, v22
	v_readfirstlane_b32 s2, v8
	v_readfirstlane_b32 s3, v9
	s_waitcnt lgkmcnt(6)
	s_nop 3
	global_store_short v5, v23, s[2:3]
	s_or_b64 exec, exec, s[0:1]
	v_cmp_ge_u32_e32 vcc, v18, v4
	s_and_saveexec_b64 s[0:1], vcc
	s_cbranch_execz .LBB2860_135
.LBB2860_230:
	v_lshlrev_b32_e32 v5, 1, v18
	v_readfirstlane_b32 s2, v8
	v_readfirstlane_b32 s3, v9
	s_waitcnt lgkmcnt(5)
	s_nop 3
	global_store_short v5, v19, s[2:3]
	s_or_b64 exec, exec, s[0:1]
	v_cmp_ge_u32_e32 vcc, v16, v4
	s_and_saveexec_b64 s[0:1], vcc
	s_cbranch_execz .LBB2860_136
.LBB2860_231:
	v_lshlrev_b32_e32 v5, 1, v16
	v_readfirstlane_b32 s2, v8
	v_readfirstlane_b32 s3, v9
	s_waitcnt lgkmcnt(4)
	s_nop 3
	global_store_short v5, v17, s[2:3]
	s_or_b64 exec, exec, s[0:1]
	v_cmp_ge_u32_e32 vcc, v14, v4
	s_and_saveexec_b64 s[0:1], vcc
	s_cbranch_execz .LBB2860_137
.LBB2860_232:
	v_lshlrev_b32_e32 v5, 1, v14
	v_readfirstlane_b32 s2, v8
	v_readfirstlane_b32 s3, v9
	s_waitcnt lgkmcnt(3)
	s_nop 3
	global_store_short v5, v15, s[2:3]
	s_or_b64 exec, exec, s[0:1]
	v_cmp_ge_u32_e32 vcc, v12, v4
	s_and_saveexec_b64 s[0:1], vcc
	s_cbranch_execz .LBB2860_138
.LBB2860_233:
	v_lshlrev_b32_e32 v5, 1, v12
	v_readfirstlane_b32 s2, v8
	v_readfirstlane_b32 s3, v9
	s_waitcnt lgkmcnt(2)
	s_nop 3
	global_store_short v5, v13, s[2:3]
	s_or_b64 exec, exec, s[0:1]
	v_cmp_ge_u32_e32 vcc, v10, v4
	s_and_saveexec_b64 s[0:1], vcc
	s_cbranch_execnz .LBB2860_139
	s_branch .LBB2860_140
	.section	.rodata,"a",@progbits
	.p2align	6, 0x0
	.amdhsa_kernel _ZN7rocprim17ROCPRIM_400000_NS6detail17trampoline_kernelINS0_14default_configENS1_25partition_config_selectorILNS1_17partition_subalgoE0EsNS0_10empty_typeEbEEZZNS1_14partition_implILS5_0ELb0ES3_jN6thrust23THRUST_200600_302600_NS6detail15normal_iteratorINSA_10device_ptrIsEEEEPS6_SG_NS0_5tupleIJNSA_16discard_iteratorINSA_11use_defaultEEESF_EEENSH_IJSG_SG_EEES6_PlJ7is_evenIsEEEE10hipError_tPvRmT3_T4_T5_T6_T7_T9_mT8_P12ihipStream_tbDpT10_ENKUlT_T0_E_clISt17integral_constantIbLb1EES18_IbLb0EEEEDaS14_S15_EUlS14_E_NS1_11comp_targetILNS1_3genE5ELNS1_11target_archE942ELNS1_3gpuE9ELNS1_3repE0EEENS1_30default_config_static_selectorELNS0_4arch9wavefront6targetE1EEEvT1_
		.amdhsa_group_segment_fixed_size 30728
		.amdhsa_private_segment_fixed_size 0
		.amdhsa_kernarg_size 128
		.amdhsa_user_sgpr_count 2
		.amdhsa_user_sgpr_dispatch_ptr 0
		.amdhsa_user_sgpr_queue_ptr 0
		.amdhsa_user_sgpr_kernarg_segment_ptr 1
		.amdhsa_user_sgpr_dispatch_id 0
		.amdhsa_user_sgpr_kernarg_preload_length 0
		.amdhsa_user_sgpr_kernarg_preload_offset 0
		.amdhsa_user_sgpr_private_segment_size 0
		.amdhsa_uses_dynamic_stack 0
		.amdhsa_enable_private_segment 0
		.amdhsa_system_sgpr_workgroup_id_x 1
		.amdhsa_system_sgpr_workgroup_id_y 0
		.amdhsa_system_sgpr_workgroup_id_z 0
		.amdhsa_system_sgpr_workgroup_info 0
		.amdhsa_system_vgpr_workitem_id 0
		.amdhsa_next_free_vgpr 120
		.amdhsa_next_free_sgpr 44
		.amdhsa_accum_offset 120
		.amdhsa_reserve_vcc 1
		.amdhsa_float_round_mode_32 0
		.amdhsa_float_round_mode_16_64 0
		.amdhsa_float_denorm_mode_32 3
		.amdhsa_float_denorm_mode_16_64 3
		.amdhsa_dx10_clamp 1
		.amdhsa_ieee_mode 1
		.amdhsa_fp16_overflow 0
		.amdhsa_tg_split 0
		.amdhsa_exception_fp_ieee_invalid_op 0
		.amdhsa_exception_fp_denorm_src 0
		.amdhsa_exception_fp_ieee_div_zero 0
		.amdhsa_exception_fp_ieee_overflow 0
		.amdhsa_exception_fp_ieee_underflow 0
		.amdhsa_exception_fp_ieee_inexact 0
		.amdhsa_exception_int_div_zero 0
	.end_amdhsa_kernel
	.section	.text._ZN7rocprim17ROCPRIM_400000_NS6detail17trampoline_kernelINS0_14default_configENS1_25partition_config_selectorILNS1_17partition_subalgoE0EsNS0_10empty_typeEbEEZZNS1_14partition_implILS5_0ELb0ES3_jN6thrust23THRUST_200600_302600_NS6detail15normal_iteratorINSA_10device_ptrIsEEEEPS6_SG_NS0_5tupleIJNSA_16discard_iteratorINSA_11use_defaultEEESF_EEENSH_IJSG_SG_EEES6_PlJ7is_evenIsEEEE10hipError_tPvRmT3_T4_T5_T6_T7_T9_mT8_P12ihipStream_tbDpT10_ENKUlT_T0_E_clISt17integral_constantIbLb1EES18_IbLb0EEEEDaS14_S15_EUlS14_E_NS1_11comp_targetILNS1_3genE5ELNS1_11target_archE942ELNS1_3gpuE9ELNS1_3repE0EEENS1_30default_config_static_selectorELNS0_4arch9wavefront6targetE1EEEvT1_,"axG",@progbits,_ZN7rocprim17ROCPRIM_400000_NS6detail17trampoline_kernelINS0_14default_configENS1_25partition_config_selectorILNS1_17partition_subalgoE0EsNS0_10empty_typeEbEEZZNS1_14partition_implILS5_0ELb0ES3_jN6thrust23THRUST_200600_302600_NS6detail15normal_iteratorINSA_10device_ptrIsEEEEPS6_SG_NS0_5tupleIJNSA_16discard_iteratorINSA_11use_defaultEEESF_EEENSH_IJSG_SG_EEES6_PlJ7is_evenIsEEEE10hipError_tPvRmT3_T4_T5_T6_T7_T9_mT8_P12ihipStream_tbDpT10_ENKUlT_T0_E_clISt17integral_constantIbLb1EES18_IbLb0EEEEDaS14_S15_EUlS14_E_NS1_11comp_targetILNS1_3genE5ELNS1_11target_archE942ELNS1_3gpuE9ELNS1_3repE0EEENS1_30default_config_static_selectorELNS0_4arch9wavefront6targetE1EEEvT1_,comdat
.Lfunc_end2860:
	.size	_ZN7rocprim17ROCPRIM_400000_NS6detail17trampoline_kernelINS0_14default_configENS1_25partition_config_selectorILNS1_17partition_subalgoE0EsNS0_10empty_typeEbEEZZNS1_14partition_implILS5_0ELb0ES3_jN6thrust23THRUST_200600_302600_NS6detail15normal_iteratorINSA_10device_ptrIsEEEEPS6_SG_NS0_5tupleIJNSA_16discard_iteratorINSA_11use_defaultEEESF_EEENSH_IJSG_SG_EEES6_PlJ7is_evenIsEEEE10hipError_tPvRmT3_T4_T5_T6_T7_T9_mT8_P12ihipStream_tbDpT10_ENKUlT_T0_E_clISt17integral_constantIbLb1EES18_IbLb0EEEEDaS14_S15_EUlS14_E_NS1_11comp_targetILNS1_3genE5ELNS1_11target_archE942ELNS1_3gpuE9ELNS1_3repE0EEENS1_30default_config_static_selectorELNS0_4arch9wavefront6targetE1EEEvT1_, .Lfunc_end2860-_ZN7rocprim17ROCPRIM_400000_NS6detail17trampoline_kernelINS0_14default_configENS1_25partition_config_selectorILNS1_17partition_subalgoE0EsNS0_10empty_typeEbEEZZNS1_14partition_implILS5_0ELb0ES3_jN6thrust23THRUST_200600_302600_NS6detail15normal_iteratorINSA_10device_ptrIsEEEEPS6_SG_NS0_5tupleIJNSA_16discard_iteratorINSA_11use_defaultEEESF_EEENSH_IJSG_SG_EEES6_PlJ7is_evenIsEEEE10hipError_tPvRmT3_T4_T5_T6_T7_T9_mT8_P12ihipStream_tbDpT10_ENKUlT_T0_E_clISt17integral_constantIbLb1EES18_IbLb0EEEEDaS14_S15_EUlS14_E_NS1_11comp_targetILNS1_3genE5ELNS1_11target_archE942ELNS1_3gpuE9ELNS1_3repE0EEENS1_30default_config_static_selectorELNS0_4arch9wavefront6targetE1EEEvT1_
                                        ; -- End function
	.section	.AMDGPU.csdata,"",@progbits
; Kernel info:
; codeLenInByte = 11172
; NumSgprs: 50
; NumVgprs: 120
; NumAgprs: 0
; TotalNumVgprs: 120
; ScratchSize: 0
; MemoryBound: 0
; FloatMode: 240
; IeeeMode: 1
; LDSByteSize: 30728 bytes/workgroup (compile time only)
; SGPRBlocks: 6
; VGPRBlocks: 14
; NumSGPRsForWavesPerEU: 50
; NumVGPRsForWavesPerEU: 120
; AccumOffset: 120
; Occupancy: 4
; WaveLimiterHint : 1
; COMPUTE_PGM_RSRC2:SCRATCH_EN: 0
; COMPUTE_PGM_RSRC2:USER_SGPR: 2
; COMPUTE_PGM_RSRC2:TRAP_HANDLER: 0
; COMPUTE_PGM_RSRC2:TGID_X_EN: 1
; COMPUTE_PGM_RSRC2:TGID_Y_EN: 0
; COMPUTE_PGM_RSRC2:TGID_Z_EN: 0
; COMPUTE_PGM_RSRC2:TIDIG_COMP_CNT: 0
; COMPUTE_PGM_RSRC3_GFX90A:ACCUM_OFFSET: 29
; COMPUTE_PGM_RSRC3_GFX90A:TG_SPLIT: 0
	.section	.text._ZN7rocprim17ROCPRIM_400000_NS6detail17trampoline_kernelINS0_14default_configENS1_25partition_config_selectorILNS1_17partition_subalgoE0EsNS0_10empty_typeEbEEZZNS1_14partition_implILS5_0ELb0ES3_jN6thrust23THRUST_200600_302600_NS6detail15normal_iteratorINSA_10device_ptrIsEEEEPS6_SG_NS0_5tupleIJNSA_16discard_iteratorINSA_11use_defaultEEESF_EEENSH_IJSG_SG_EEES6_PlJ7is_evenIsEEEE10hipError_tPvRmT3_T4_T5_T6_T7_T9_mT8_P12ihipStream_tbDpT10_ENKUlT_T0_E_clISt17integral_constantIbLb1EES18_IbLb0EEEEDaS14_S15_EUlS14_E_NS1_11comp_targetILNS1_3genE4ELNS1_11target_archE910ELNS1_3gpuE8ELNS1_3repE0EEENS1_30default_config_static_selectorELNS0_4arch9wavefront6targetE1EEEvT1_,"axG",@progbits,_ZN7rocprim17ROCPRIM_400000_NS6detail17trampoline_kernelINS0_14default_configENS1_25partition_config_selectorILNS1_17partition_subalgoE0EsNS0_10empty_typeEbEEZZNS1_14partition_implILS5_0ELb0ES3_jN6thrust23THRUST_200600_302600_NS6detail15normal_iteratorINSA_10device_ptrIsEEEEPS6_SG_NS0_5tupleIJNSA_16discard_iteratorINSA_11use_defaultEEESF_EEENSH_IJSG_SG_EEES6_PlJ7is_evenIsEEEE10hipError_tPvRmT3_T4_T5_T6_T7_T9_mT8_P12ihipStream_tbDpT10_ENKUlT_T0_E_clISt17integral_constantIbLb1EES18_IbLb0EEEEDaS14_S15_EUlS14_E_NS1_11comp_targetILNS1_3genE4ELNS1_11target_archE910ELNS1_3gpuE8ELNS1_3repE0EEENS1_30default_config_static_selectorELNS0_4arch9wavefront6targetE1EEEvT1_,comdat
	.protected	_ZN7rocprim17ROCPRIM_400000_NS6detail17trampoline_kernelINS0_14default_configENS1_25partition_config_selectorILNS1_17partition_subalgoE0EsNS0_10empty_typeEbEEZZNS1_14partition_implILS5_0ELb0ES3_jN6thrust23THRUST_200600_302600_NS6detail15normal_iteratorINSA_10device_ptrIsEEEEPS6_SG_NS0_5tupleIJNSA_16discard_iteratorINSA_11use_defaultEEESF_EEENSH_IJSG_SG_EEES6_PlJ7is_evenIsEEEE10hipError_tPvRmT3_T4_T5_T6_T7_T9_mT8_P12ihipStream_tbDpT10_ENKUlT_T0_E_clISt17integral_constantIbLb1EES18_IbLb0EEEEDaS14_S15_EUlS14_E_NS1_11comp_targetILNS1_3genE4ELNS1_11target_archE910ELNS1_3gpuE8ELNS1_3repE0EEENS1_30default_config_static_selectorELNS0_4arch9wavefront6targetE1EEEvT1_ ; -- Begin function _ZN7rocprim17ROCPRIM_400000_NS6detail17trampoline_kernelINS0_14default_configENS1_25partition_config_selectorILNS1_17partition_subalgoE0EsNS0_10empty_typeEbEEZZNS1_14partition_implILS5_0ELb0ES3_jN6thrust23THRUST_200600_302600_NS6detail15normal_iteratorINSA_10device_ptrIsEEEEPS6_SG_NS0_5tupleIJNSA_16discard_iteratorINSA_11use_defaultEEESF_EEENSH_IJSG_SG_EEES6_PlJ7is_evenIsEEEE10hipError_tPvRmT3_T4_T5_T6_T7_T9_mT8_P12ihipStream_tbDpT10_ENKUlT_T0_E_clISt17integral_constantIbLb1EES18_IbLb0EEEEDaS14_S15_EUlS14_E_NS1_11comp_targetILNS1_3genE4ELNS1_11target_archE910ELNS1_3gpuE8ELNS1_3repE0EEENS1_30default_config_static_selectorELNS0_4arch9wavefront6targetE1EEEvT1_
	.globl	_ZN7rocprim17ROCPRIM_400000_NS6detail17trampoline_kernelINS0_14default_configENS1_25partition_config_selectorILNS1_17partition_subalgoE0EsNS0_10empty_typeEbEEZZNS1_14partition_implILS5_0ELb0ES3_jN6thrust23THRUST_200600_302600_NS6detail15normal_iteratorINSA_10device_ptrIsEEEEPS6_SG_NS0_5tupleIJNSA_16discard_iteratorINSA_11use_defaultEEESF_EEENSH_IJSG_SG_EEES6_PlJ7is_evenIsEEEE10hipError_tPvRmT3_T4_T5_T6_T7_T9_mT8_P12ihipStream_tbDpT10_ENKUlT_T0_E_clISt17integral_constantIbLb1EES18_IbLb0EEEEDaS14_S15_EUlS14_E_NS1_11comp_targetILNS1_3genE4ELNS1_11target_archE910ELNS1_3gpuE8ELNS1_3repE0EEENS1_30default_config_static_selectorELNS0_4arch9wavefront6targetE1EEEvT1_
	.p2align	8
	.type	_ZN7rocprim17ROCPRIM_400000_NS6detail17trampoline_kernelINS0_14default_configENS1_25partition_config_selectorILNS1_17partition_subalgoE0EsNS0_10empty_typeEbEEZZNS1_14partition_implILS5_0ELb0ES3_jN6thrust23THRUST_200600_302600_NS6detail15normal_iteratorINSA_10device_ptrIsEEEEPS6_SG_NS0_5tupleIJNSA_16discard_iteratorINSA_11use_defaultEEESF_EEENSH_IJSG_SG_EEES6_PlJ7is_evenIsEEEE10hipError_tPvRmT3_T4_T5_T6_T7_T9_mT8_P12ihipStream_tbDpT10_ENKUlT_T0_E_clISt17integral_constantIbLb1EES18_IbLb0EEEEDaS14_S15_EUlS14_E_NS1_11comp_targetILNS1_3genE4ELNS1_11target_archE910ELNS1_3gpuE8ELNS1_3repE0EEENS1_30default_config_static_selectorELNS0_4arch9wavefront6targetE1EEEvT1_,@function
_ZN7rocprim17ROCPRIM_400000_NS6detail17trampoline_kernelINS0_14default_configENS1_25partition_config_selectorILNS1_17partition_subalgoE0EsNS0_10empty_typeEbEEZZNS1_14partition_implILS5_0ELb0ES3_jN6thrust23THRUST_200600_302600_NS6detail15normal_iteratorINSA_10device_ptrIsEEEEPS6_SG_NS0_5tupleIJNSA_16discard_iteratorINSA_11use_defaultEEESF_EEENSH_IJSG_SG_EEES6_PlJ7is_evenIsEEEE10hipError_tPvRmT3_T4_T5_T6_T7_T9_mT8_P12ihipStream_tbDpT10_ENKUlT_T0_E_clISt17integral_constantIbLb1EES18_IbLb0EEEEDaS14_S15_EUlS14_E_NS1_11comp_targetILNS1_3genE4ELNS1_11target_archE910ELNS1_3gpuE8ELNS1_3repE0EEENS1_30default_config_static_selectorELNS0_4arch9wavefront6targetE1EEEvT1_: ; @_ZN7rocprim17ROCPRIM_400000_NS6detail17trampoline_kernelINS0_14default_configENS1_25partition_config_selectorILNS1_17partition_subalgoE0EsNS0_10empty_typeEbEEZZNS1_14partition_implILS5_0ELb0ES3_jN6thrust23THRUST_200600_302600_NS6detail15normal_iteratorINSA_10device_ptrIsEEEEPS6_SG_NS0_5tupleIJNSA_16discard_iteratorINSA_11use_defaultEEESF_EEENSH_IJSG_SG_EEES6_PlJ7is_evenIsEEEE10hipError_tPvRmT3_T4_T5_T6_T7_T9_mT8_P12ihipStream_tbDpT10_ENKUlT_T0_E_clISt17integral_constantIbLb1EES18_IbLb0EEEEDaS14_S15_EUlS14_E_NS1_11comp_targetILNS1_3genE4ELNS1_11target_archE910ELNS1_3gpuE8ELNS1_3repE0EEENS1_30default_config_static_selectorELNS0_4arch9wavefront6targetE1EEEvT1_
; %bb.0:
	.section	.rodata,"a",@progbits
	.p2align	6, 0x0
	.amdhsa_kernel _ZN7rocprim17ROCPRIM_400000_NS6detail17trampoline_kernelINS0_14default_configENS1_25partition_config_selectorILNS1_17partition_subalgoE0EsNS0_10empty_typeEbEEZZNS1_14partition_implILS5_0ELb0ES3_jN6thrust23THRUST_200600_302600_NS6detail15normal_iteratorINSA_10device_ptrIsEEEEPS6_SG_NS0_5tupleIJNSA_16discard_iteratorINSA_11use_defaultEEESF_EEENSH_IJSG_SG_EEES6_PlJ7is_evenIsEEEE10hipError_tPvRmT3_T4_T5_T6_T7_T9_mT8_P12ihipStream_tbDpT10_ENKUlT_T0_E_clISt17integral_constantIbLb1EES18_IbLb0EEEEDaS14_S15_EUlS14_E_NS1_11comp_targetILNS1_3genE4ELNS1_11target_archE910ELNS1_3gpuE8ELNS1_3repE0EEENS1_30default_config_static_selectorELNS0_4arch9wavefront6targetE1EEEvT1_
		.amdhsa_group_segment_fixed_size 0
		.amdhsa_private_segment_fixed_size 0
		.amdhsa_kernarg_size 128
		.amdhsa_user_sgpr_count 2
		.amdhsa_user_sgpr_dispatch_ptr 0
		.amdhsa_user_sgpr_queue_ptr 0
		.amdhsa_user_sgpr_kernarg_segment_ptr 1
		.amdhsa_user_sgpr_dispatch_id 0
		.amdhsa_user_sgpr_kernarg_preload_length 0
		.amdhsa_user_sgpr_kernarg_preload_offset 0
		.amdhsa_user_sgpr_private_segment_size 0
		.amdhsa_uses_dynamic_stack 0
		.amdhsa_enable_private_segment 0
		.amdhsa_system_sgpr_workgroup_id_x 1
		.amdhsa_system_sgpr_workgroup_id_y 0
		.amdhsa_system_sgpr_workgroup_id_z 0
		.amdhsa_system_sgpr_workgroup_info 0
		.amdhsa_system_vgpr_workitem_id 0
		.amdhsa_next_free_vgpr 1
		.amdhsa_next_free_sgpr 0
		.amdhsa_accum_offset 4
		.amdhsa_reserve_vcc 0
		.amdhsa_float_round_mode_32 0
		.amdhsa_float_round_mode_16_64 0
		.amdhsa_float_denorm_mode_32 3
		.amdhsa_float_denorm_mode_16_64 3
		.amdhsa_dx10_clamp 1
		.amdhsa_ieee_mode 1
		.amdhsa_fp16_overflow 0
		.amdhsa_tg_split 0
		.amdhsa_exception_fp_ieee_invalid_op 0
		.amdhsa_exception_fp_denorm_src 0
		.amdhsa_exception_fp_ieee_div_zero 0
		.amdhsa_exception_fp_ieee_overflow 0
		.amdhsa_exception_fp_ieee_underflow 0
		.amdhsa_exception_fp_ieee_inexact 0
		.amdhsa_exception_int_div_zero 0
	.end_amdhsa_kernel
	.section	.text._ZN7rocprim17ROCPRIM_400000_NS6detail17trampoline_kernelINS0_14default_configENS1_25partition_config_selectorILNS1_17partition_subalgoE0EsNS0_10empty_typeEbEEZZNS1_14partition_implILS5_0ELb0ES3_jN6thrust23THRUST_200600_302600_NS6detail15normal_iteratorINSA_10device_ptrIsEEEEPS6_SG_NS0_5tupleIJNSA_16discard_iteratorINSA_11use_defaultEEESF_EEENSH_IJSG_SG_EEES6_PlJ7is_evenIsEEEE10hipError_tPvRmT3_T4_T5_T6_T7_T9_mT8_P12ihipStream_tbDpT10_ENKUlT_T0_E_clISt17integral_constantIbLb1EES18_IbLb0EEEEDaS14_S15_EUlS14_E_NS1_11comp_targetILNS1_3genE4ELNS1_11target_archE910ELNS1_3gpuE8ELNS1_3repE0EEENS1_30default_config_static_selectorELNS0_4arch9wavefront6targetE1EEEvT1_,"axG",@progbits,_ZN7rocprim17ROCPRIM_400000_NS6detail17trampoline_kernelINS0_14default_configENS1_25partition_config_selectorILNS1_17partition_subalgoE0EsNS0_10empty_typeEbEEZZNS1_14partition_implILS5_0ELb0ES3_jN6thrust23THRUST_200600_302600_NS6detail15normal_iteratorINSA_10device_ptrIsEEEEPS6_SG_NS0_5tupleIJNSA_16discard_iteratorINSA_11use_defaultEEESF_EEENSH_IJSG_SG_EEES6_PlJ7is_evenIsEEEE10hipError_tPvRmT3_T4_T5_T6_T7_T9_mT8_P12ihipStream_tbDpT10_ENKUlT_T0_E_clISt17integral_constantIbLb1EES18_IbLb0EEEEDaS14_S15_EUlS14_E_NS1_11comp_targetILNS1_3genE4ELNS1_11target_archE910ELNS1_3gpuE8ELNS1_3repE0EEENS1_30default_config_static_selectorELNS0_4arch9wavefront6targetE1EEEvT1_,comdat
.Lfunc_end2861:
	.size	_ZN7rocprim17ROCPRIM_400000_NS6detail17trampoline_kernelINS0_14default_configENS1_25partition_config_selectorILNS1_17partition_subalgoE0EsNS0_10empty_typeEbEEZZNS1_14partition_implILS5_0ELb0ES3_jN6thrust23THRUST_200600_302600_NS6detail15normal_iteratorINSA_10device_ptrIsEEEEPS6_SG_NS0_5tupleIJNSA_16discard_iteratorINSA_11use_defaultEEESF_EEENSH_IJSG_SG_EEES6_PlJ7is_evenIsEEEE10hipError_tPvRmT3_T4_T5_T6_T7_T9_mT8_P12ihipStream_tbDpT10_ENKUlT_T0_E_clISt17integral_constantIbLb1EES18_IbLb0EEEEDaS14_S15_EUlS14_E_NS1_11comp_targetILNS1_3genE4ELNS1_11target_archE910ELNS1_3gpuE8ELNS1_3repE0EEENS1_30default_config_static_selectorELNS0_4arch9wavefront6targetE1EEEvT1_, .Lfunc_end2861-_ZN7rocprim17ROCPRIM_400000_NS6detail17trampoline_kernelINS0_14default_configENS1_25partition_config_selectorILNS1_17partition_subalgoE0EsNS0_10empty_typeEbEEZZNS1_14partition_implILS5_0ELb0ES3_jN6thrust23THRUST_200600_302600_NS6detail15normal_iteratorINSA_10device_ptrIsEEEEPS6_SG_NS0_5tupleIJNSA_16discard_iteratorINSA_11use_defaultEEESF_EEENSH_IJSG_SG_EEES6_PlJ7is_evenIsEEEE10hipError_tPvRmT3_T4_T5_T6_T7_T9_mT8_P12ihipStream_tbDpT10_ENKUlT_T0_E_clISt17integral_constantIbLb1EES18_IbLb0EEEEDaS14_S15_EUlS14_E_NS1_11comp_targetILNS1_3genE4ELNS1_11target_archE910ELNS1_3gpuE8ELNS1_3repE0EEENS1_30default_config_static_selectorELNS0_4arch9wavefront6targetE1EEEvT1_
                                        ; -- End function
	.section	.AMDGPU.csdata,"",@progbits
; Kernel info:
; codeLenInByte = 0
; NumSgprs: 6
; NumVgprs: 0
; NumAgprs: 0
; TotalNumVgprs: 0
; ScratchSize: 0
; MemoryBound: 0
; FloatMode: 240
; IeeeMode: 1
; LDSByteSize: 0 bytes/workgroup (compile time only)
; SGPRBlocks: 0
; VGPRBlocks: 0
; NumSGPRsForWavesPerEU: 6
; NumVGPRsForWavesPerEU: 1
; AccumOffset: 4
; Occupancy: 8
; WaveLimiterHint : 0
; COMPUTE_PGM_RSRC2:SCRATCH_EN: 0
; COMPUTE_PGM_RSRC2:USER_SGPR: 2
; COMPUTE_PGM_RSRC2:TRAP_HANDLER: 0
; COMPUTE_PGM_RSRC2:TGID_X_EN: 1
; COMPUTE_PGM_RSRC2:TGID_Y_EN: 0
; COMPUTE_PGM_RSRC2:TGID_Z_EN: 0
; COMPUTE_PGM_RSRC2:TIDIG_COMP_CNT: 0
; COMPUTE_PGM_RSRC3_GFX90A:ACCUM_OFFSET: 0
; COMPUTE_PGM_RSRC3_GFX90A:TG_SPLIT: 0
	.section	.text._ZN7rocprim17ROCPRIM_400000_NS6detail17trampoline_kernelINS0_14default_configENS1_25partition_config_selectorILNS1_17partition_subalgoE0EsNS0_10empty_typeEbEEZZNS1_14partition_implILS5_0ELb0ES3_jN6thrust23THRUST_200600_302600_NS6detail15normal_iteratorINSA_10device_ptrIsEEEEPS6_SG_NS0_5tupleIJNSA_16discard_iteratorINSA_11use_defaultEEESF_EEENSH_IJSG_SG_EEES6_PlJ7is_evenIsEEEE10hipError_tPvRmT3_T4_T5_T6_T7_T9_mT8_P12ihipStream_tbDpT10_ENKUlT_T0_E_clISt17integral_constantIbLb1EES18_IbLb0EEEEDaS14_S15_EUlS14_E_NS1_11comp_targetILNS1_3genE3ELNS1_11target_archE908ELNS1_3gpuE7ELNS1_3repE0EEENS1_30default_config_static_selectorELNS0_4arch9wavefront6targetE1EEEvT1_,"axG",@progbits,_ZN7rocprim17ROCPRIM_400000_NS6detail17trampoline_kernelINS0_14default_configENS1_25partition_config_selectorILNS1_17partition_subalgoE0EsNS0_10empty_typeEbEEZZNS1_14partition_implILS5_0ELb0ES3_jN6thrust23THRUST_200600_302600_NS6detail15normal_iteratorINSA_10device_ptrIsEEEEPS6_SG_NS0_5tupleIJNSA_16discard_iteratorINSA_11use_defaultEEESF_EEENSH_IJSG_SG_EEES6_PlJ7is_evenIsEEEE10hipError_tPvRmT3_T4_T5_T6_T7_T9_mT8_P12ihipStream_tbDpT10_ENKUlT_T0_E_clISt17integral_constantIbLb1EES18_IbLb0EEEEDaS14_S15_EUlS14_E_NS1_11comp_targetILNS1_3genE3ELNS1_11target_archE908ELNS1_3gpuE7ELNS1_3repE0EEENS1_30default_config_static_selectorELNS0_4arch9wavefront6targetE1EEEvT1_,comdat
	.protected	_ZN7rocprim17ROCPRIM_400000_NS6detail17trampoline_kernelINS0_14default_configENS1_25partition_config_selectorILNS1_17partition_subalgoE0EsNS0_10empty_typeEbEEZZNS1_14partition_implILS5_0ELb0ES3_jN6thrust23THRUST_200600_302600_NS6detail15normal_iteratorINSA_10device_ptrIsEEEEPS6_SG_NS0_5tupleIJNSA_16discard_iteratorINSA_11use_defaultEEESF_EEENSH_IJSG_SG_EEES6_PlJ7is_evenIsEEEE10hipError_tPvRmT3_T4_T5_T6_T7_T9_mT8_P12ihipStream_tbDpT10_ENKUlT_T0_E_clISt17integral_constantIbLb1EES18_IbLb0EEEEDaS14_S15_EUlS14_E_NS1_11comp_targetILNS1_3genE3ELNS1_11target_archE908ELNS1_3gpuE7ELNS1_3repE0EEENS1_30default_config_static_selectorELNS0_4arch9wavefront6targetE1EEEvT1_ ; -- Begin function _ZN7rocprim17ROCPRIM_400000_NS6detail17trampoline_kernelINS0_14default_configENS1_25partition_config_selectorILNS1_17partition_subalgoE0EsNS0_10empty_typeEbEEZZNS1_14partition_implILS5_0ELb0ES3_jN6thrust23THRUST_200600_302600_NS6detail15normal_iteratorINSA_10device_ptrIsEEEEPS6_SG_NS0_5tupleIJNSA_16discard_iteratorINSA_11use_defaultEEESF_EEENSH_IJSG_SG_EEES6_PlJ7is_evenIsEEEE10hipError_tPvRmT3_T4_T5_T6_T7_T9_mT8_P12ihipStream_tbDpT10_ENKUlT_T0_E_clISt17integral_constantIbLb1EES18_IbLb0EEEEDaS14_S15_EUlS14_E_NS1_11comp_targetILNS1_3genE3ELNS1_11target_archE908ELNS1_3gpuE7ELNS1_3repE0EEENS1_30default_config_static_selectorELNS0_4arch9wavefront6targetE1EEEvT1_
	.globl	_ZN7rocprim17ROCPRIM_400000_NS6detail17trampoline_kernelINS0_14default_configENS1_25partition_config_selectorILNS1_17partition_subalgoE0EsNS0_10empty_typeEbEEZZNS1_14partition_implILS5_0ELb0ES3_jN6thrust23THRUST_200600_302600_NS6detail15normal_iteratorINSA_10device_ptrIsEEEEPS6_SG_NS0_5tupleIJNSA_16discard_iteratorINSA_11use_defaultEEESF_EEENSH_IJSG_SG_EEES6_PlJ7is_evenIsEEEE10hipError_tPvRmT3_T4_T5_T6_T7_T9_mT8_P12ihipStream_tbDpT10_ENKUlT_T0_E_clISt17integral_constantIbLb1EES18_IbLb0EEEEDaS14_S15_EUlS14_E_NS1_11comp_targetILNS1_3genE3ELNS1_11target_archE908ELNS1_3gpuE7ELNS1_3repE0EEENS1_30default_config_static_selectorELNS0_4arch9wavefront6targetE1EEEvT1_
	.p2align	8
	.type	_ZN7rocprim17ROCPRIM_400000_NS6detail17trampoline_kernelINS0_14default_configENS1_25partition_config_selectorILNS1_17partition_subalgoE0EsNS0_10empty_typeEbEEZZNS1_14partition_implILS5_0ELb0ES3_jN6thrust23THRUST_200600_302600_NS6detail15normal_iteratorINSA_10device_ptrIsEEEEPS6_SG_NS0_5tupleIJNSA_16discard_iteratorINSA_11use_defaultEEESF_EEENSH_IJSG_SG_EEES6_PlJ7is_evenIsEEEE10hipError_tPvRmT3_T4_T5_T6_T7_T9_mT8_P12ihipStream_tbDpT10_ENKUlT_T0_E_clISt17integral_constantIbLb1EES18_IbLb0EEEEDaS14_S15_EUlS14_E_NS1_11comp_targetILNS1_3genE3ELNS1_11target_archE908ELNS1_3gpuE7ELNS1_3repE0EEENS1_30default_config_static_selectorELNS0_4arch9wavefront6targetE1EEEvT1_,@function
_ZN7rocprim17ROCPRIM_400000_NS6detail17trampoline_kernelINS0_14default_configENS1_25partition_config_selectorILNS1_17partition_subalgoE0EsNS0_10empty_typeEbEEZZNS1_14partition_implILS5_0ELb0ES3_jN6thrust23THRUST_200600_302600_NS6detail15normal_iteratorINSA_10device_ptrIsEEEEPS6_SG_NS0_5tupleIJNSA_16discard_iteratorINSA_11use_defaultEEESF_EEENSH_IJSG_SG_EEES6_PlJ7is_evenIsEEEE10hipError_tPvRmT3_T4_T5_T6_T7_T9_mT8_P12ihipStream_tbDpT10_ENKUlT_T0_E_clISt17integral_constantIbLb1EES18_IbLb0EEEEDaS14_S15_EUlS14_E_NS1_11comp_targetILNS1_3genE3ELNS1_11target_archE908ELNS1_3gpuE7ELNS1_3repE0EEENS1_30default_config_static_selectorELNS0_4arch9wavefront6targetE1EEEvT1_: ; @_ZN7rocprim17ROCPRIM_400000_NS6detail17trampoline_kernelINS0_14default_configENS1_25partition_config_selectorILNS1_17partition_subalgoE0EsNS0_10empty_typeEbEEZZNS1_14partition_implILS5_0ELb0ES3_jN6thrust23THRUST_200600_302600_NS6detail15normal_iteratorINSA_10device_ptrIsEEEEPS6_SG_NS0_5tupleIJNSA_16discard_iteratorINSA_11use_defaultEEESF_EEENSH_IJSG_SG_EEES6_PlJ7is_evenIsEEEE10hipError_tPvRmT3_T4_T5_T6_T7_T9_mT8_P12ihipStream_tbDpT10_ENKUlT_T0_E_clISt17integral_constantIbLb1EES18_IbLb0EEEEDaS14_S15_EUlS14_E_NS1_11comp_targetILNS1_3genE3ELNS1_11target_archE908ELNS1_3gpuE7ELNS1_3repE0EEENS1_30default_config_static_selectorELNS0_4arch9wavefront6targetE1EEEvT1_
; %bb.0:
	.section	.rodata,"a",@progbits
	.p2align	6, 0x0
	.amdhsa_kernel _ZN7rocprim17ROCPRIM_400000_NS6detail17trampoline_kernelINS0_14default_configENS1_25partition_config_selectorILNS1_17partition_subalgoE0EsNS0_10empty_typeEbEEZZNS1_14partition_implILS5_0ELb0ES3_jN6thrust23THRUST_200600_302600_NS6detail15normal_iteratorINSA_10device_ptrIsEEEEPS6_SG_NS0_5tupleIJNSA_16discard_iteratorINSA_11use_defaultEEESF_EEENSH_IJSG_SG_EEES6_PlJ7is_evenIsEEEE10hipError_tPvRmT3_T4_T5_T6_T7_T9_mT8_P12ihipStream_tbDpT10_ENKUlT_T0_E_clISt17integral_constantIbLb1EES18_IbLb0EEEEDaS14_S15_EUlS14_E_NS1_11comp_targetILNS1_3genE3ELNS1_11target_archE908ELNS1_3gpuE7ELNS1_3repE0EEENS1_30default_config_static_selectorELNS0_4arch9wavefront6targetE1EEEvT1_
		.amdhsa_group_segment_fixed_size 0
		.amdhsa_private_segment_fixed_size 0
		.amdhsa_kernarg_size 128
		.amdhsa_user_sgpr_count 2
		.amdhsa_user_sgpr_dispatch_ptr 0
		.amdhsa_user_sgpr_queue_ptr 0
		.amdhsa_user_sgpr_kernarg_segment_ptr 1
		.amdhsa_user_sgpr_dispatch_id 0
		.amdhsa_user_sgpr_kernarg_preload_length 0
		.amdhsa_user_sgpr_kernarg_preload_offset 0
		.amdhsa_user_sgpr_private_segment_size 0
		.amdhsa_uses_dynamic_stack 0
		.amdhsa_enable_private_segment 0
		.amdhsa_system_sgpr_workgroup_id_x 1
		.amdhsa_system_sgpr_workgroup_id_y 0
		.amdhsa_system_sgpr_workgroup_id_z 0
		.amdhsa_system_sgpr_workgroup_info 0
		.amdhsa_system_vgpr_workitem_id 0
		.amdhsa_next_free_vgpr 1
		.amdhsa_next_free_sgpr 0
		.amdhsa_accum_offset 4
		.amdhsa_reserve_vcc 0
		.amdhsa_float_round_mode_32 0
		.amdhsa_float_round_mode_16_64 0
		.amdhsa_float_denorm_mode_32 3
		.amdhsa_float_denorm_mode_16_64 3
		.amdhsa_dx10_clamp 1
		.amdhsa_ieee_mode 1
		.amdhsa_fp16_overflow 0
		.amdhsa_tg_split 0
		.amdhsa_exception_fp_ieee_invalid_op 0
		.amdhsa_exception_fp_denorm_src 0
		.amdhsa_exception_fp_ieee_div_zero 0
		.amdhsa_exception_fp_ieee_overflow 0
		.amdhsa_exception_fp_ieee_underflow 0
		.amdhsa_exception_fp_ieee_inexact 0
		.amdhsa_exception_int_div_zero 0
	.end_amdhsa_kernel
	.section	.text._ZN7rocprim17ROCPRIM_400000_NS6detail17trampoline_kernelINS0_14default_configENS1_25partition_config_selectorILNS1_17partition_subalgoE0EsNS0_10empty_typeEbEEZZNS1_14partition_implILS5_0ELb0ES3_jN6thrust23THRUST_200600_302600_NS6detail15normal_iteratorINSA_10device_ptrIsEEEEPS6_SG_NS0_5tupleIJNSA_16discard_iteratorINSA_11use_defaultEEESF_EEENSH_IJSG_SG_EEES6_PlJ7is_evenIsEEEE10hipError_tPvRmT3_T4_T5_T6_T7_T9_mT8_P12ihipStream_tbDpT10_ENKUlT_T0_E_clISt17integral_constantIbLb1EES18_IbLb0EEEEDaS14_S15_EUlS14_E_NS1_11comp_targetILNS1_3genE3ELNS1_11target_archE908ELNS1_3gpuE7ELNS1_3repE0EEENS1_30default_config_static_selectorELNS0_4arch9wavefront6targetE1EEEvT1_,"axG",@progbits,_ZN7rocprim17ROCPRIM_400000_NS6detail17trampoline_kernelINS0_14default_configENS1_25partition_config_selectorILNS1_17partition_subalgoE0EsNS0_10empty_typeEbEEZZNS1_14partition_implILS5_0ELb0ES3_jN6thrust23THRUST_200600_302600_NS6detail15normal_iteratorINSA_10device_ptrIsEEEEPS6_SG_NS0_5tupleIJNSA_16discard_iteratorINSA_11use_defaultEEESF_EEENSH_IJSG_SG_EEES6_PlJ7is_evenIsEEEE10hipError_tPvRmT3_T4_T5_T6_T7_T9_mT8_P12ihipStream_tbDpT10_ENKUlT_T0_E_clISt17integral_constantIbLb1EES18_IbLb0EEEEDaS14_S15_EUlS14_E_NS1_11comp_targetILNS1_3genE3ELNS1_11target_archE908ELNS1_3gpuE7ELNS1_3repE0EEENS1_30default_config_static_selectorELNS0_4arch9wavefront6targetE1EEEvT1_,comdat
.Lfunc_end2862:
	.size	_ZN7rocprim17ROCPRIM_400000_NS6detail17trampoline_kernelINS0_14default_configENS1_25partition_config_selectorILNS1_17partition_subalgoE0EsNS0_10empty_typeEbEEZZNS1_14partition_implILS5_0ELb0ES3_jN6thrust23THRUST_200600_302600_NS6detail15normal_iteratorINSA_10device_ptrIsEEEEPS6_SG_NS0_5tupleIJNSA_16discard_iteratorINSA_11use_defaultEEESF_EEENSH_IJSG_SG_EEES6_PlJ7is_evenIsEEEE10hipError_tPvRmT3_T4_T5_T6_T7_T9_mT8_P12ihipStream_tbDpT10_ENKUlT_T0_E_clISt17integral_constantIbLb1EES18_IbLb0EEEEDaS14_S15_EUlS14_E_NS1_11comp_targetILNS1_3genE3ELNS1_11target_archE908ELNS1_3gpuE7ELNS1_3repE0EEENS1_30default_config_static_selectorELNS0_4arch9wavefront6targetE1EEEvT1_, .Lfunc_end2862-_ZN7rocprim17ROCPRIM_400000_NS6detail17trampoline_kernelINS0_14default_configENS1_25partition_config_selectorILNS1_17partition_subalgoE0EsNS0_10empty_typeEbEEZZNS1_14partition_implILS5_0ELb0ES3_jN6thrust23THRUST_200600_302600_NS6detail15normal_iteratorINSA_10device_ptrIsEEEEPS6_SG_NS0_5tupleIJNSA_16discard_iteratorINSA_11use_defaultEEESF_EEENSH_IJSG_SG_EEES6_PlJ7is_evenIsEEEE10hipError_tPvRmT3_T4_T5_T6_T7_T9_mT8_P12ihipStream_tbDpT10_ENKUlT_T0_E_clISt17integral_constantIbLb1EES18_IbLb0EEEEDaS14_S15_EUlS14_E_NS1_11comp_targetILNS1_3genE3ELNS1_11target_archE908ELNS1_3gpuE7ELNS1_3repE0EEENS1_30default_config_static_selectorELNS0_4arch9wavefront6targetE1EEEvT1_
                                        ; -- End function
	.section	.AMDGPU.csdata,"",@progbits
; Kernel info:
; codeLenInByte = 0
; NumSgprs: 6
; NumVgprs: 0
; NumAgprs: 0
; TotalNumVgprs: 0
; ScratchSize: 0
; MemoryBound: 0
; FloatMode: 240
; IeeeMode: 1
; LDSByteSize: 0 bytes/workgroup (compile time only)
; SGPRBlocks: 0
; VGPRBlocks: 0
; NumSGPRsForWavesPerEU: 6
; NumVGPRsForWavesPerEU: 1
; AccumOffset: 4
; Occupancy: 8
; WaveLimiterHint : 0
; COMPUTE_PGM_RSRC2:SCRATCH_EN: 0
; COMPUTE_PGM_RSRC2:USER_SGPR: 2
; COMPUTE_PGM_RSRC2:TRAP_HANDLER: 0
; COMPUTE_PGM_RSRC2:TGID_X_EN: 1
; COMPUTE_PGM_RSRC2:TGID_Y_EN: 0
; COMPUTE_PGM_RSRC2:TGID_Z_EN: 0
; COMPUTE_PGM_RSRC2:TIDIG_COMP_CNT: 0
; COMPUTE_PGM_RSRC3_GFX90A:ACCUM_OFFSET: 0
; COMPUTE_PGM_RSRC3_GFX90A:TG_SPLIT: 0
	.section	.text._ZN7rocprim17ROCPRIM_400000_NS6detail17trampoline_kernelINS0_14default_configENS1_25partition_config_selectorILNS1_17partition_subalgoE0EsNS0_10empty_typeEbEEZZNS1_14partition_implILS5_0ELb0ES3_jN6thrust23THRUST_200600_302600_NS6detail15normal_iteratorINSA_10device_ptrIsEEEEPS6_SG_NS0_5tupleIJNSA_16discard_iteratorINSA_11use_defaultEEESF_EEENSH_IJSG_SG_EEES6_PlJ7is_evenIsEEEE10hipError_tPvRmT3_T4_T5_T6_T7_T9_mT8_P12ihipStream_tbDpT10_ENKUlT_T0_E_clISt17integral_constantIbLb1EES18_IbLb0EEEEDaS14_S15_EUlS14_E_NS1_11comp_targetILNS1_3genE2ELNS1_11target_archE906ELNS1_3gpuE6ELNS1_3repE0EEENS1_30default_config_static_selectorELNS0_4arch9wavefront6targetE1EEEvT1_,"axG",@progbits,_ZN7rocprim17ROCPRIM_400000_NS6detail17trampoline_kernelINS0_14default_configENS1_25partition_config_selectorILNS1_17partition_subalgoE0EsNS0_10empty_typeEbEEZZNS1_14partition_implILS5_0ELb0ES3_jN6thrust23THRUST_200600_302600_NS6detail15normal_iteratorINSA_10device_ptrIsEEEEPS6_SG_NS0_5tupleIJNSA_16discard_iteratorINSA_11use_defaultEEESF_EEENSH_IJSG_SG_EEES6_PlJ7is_evenIsEEEE10hipError_tPvRmT3_T4_T5_T6_T7_T9_mT8_P12ihipStream_tbDpT10_ENKUlT_T0_E_clISt17integral_constantIbLb1EES18_IbLb0EEEEDaS14_S15_EUlS14_E_NS1_11comp_targetILNS1_3genE2ELNS1_11target_archE906ELNS1_3gpuE6ELNS1_3repE0EEENS1_30default_config_static_selectorELNS0_4arch9wavefront6targetE1EEEvT1_,comdat
	.protected	_ZN7rocprim17ROCPRIM_400000_NS6detail17trampoline_kernelINS0_14default_configENS1_25partition_config_selectorILNS1_17partition_subalgoE0EsNS0_10empty_typeEbEEZZNS1_14partition_implILS5_0ELb0ES3_jN6thrust23THRUST_200600_302600_NS6detail15normal_iteratorINSA_10device_ptrIsEEEEPS6_SG_NS0_5tupleIJNSA_16discard_iteratorINSA_11use_defaultEEESF_EEENSH_IJSG_SG_EEES6_PlJ7is_evenIsEEEE10hipError_tPvRmT3_T4_T5_T6_T7_T9_mT8_P12ihipStream_tbDpT10_ENKUlT_T0_E_clISt17integral_constantIbLb1EES18_IbLb0EEEEDaS14_S15_EUlS14_E_NS1_11comp_targetILNS1_3genE2ELNS1_11target_archE906ELNS1_3gpuE6ELNS1_3repE0EEENS1_30default_config_static_selectorELNS0_4arch9wavefront6targetE1EEEvT1_ ; -- Begin function _ZN7rocprim17ROCPRIM_400000_NS6detail17trampoline_kernelINS0_14default_configENS1_25partition_config_selectorILNS1_17partition_subalgoE0EsNS0_10empty_typeEbEEZZNS1_14partition_implILS5_0ELb0ES3_jN6thrust23THRUST_200600_302600_NS6detail15normal_iteratorINSA_10device_ptrIsEEEEPS6_SG_NS0_5tupleIJNSA_16discard_iteratorINSA_11use_defaultEEESF_EEENSH_IJSG_SG_EEES6_PlJ7is_evenIsEEEE10hipError_tPvRmT3_T4_T5_T6_T7_T9_mT8_P12ihipStream_tbDpT10_ENKUlT_T0_E_clISt17integral_constantIbLb1EES18_IbLb0EEEEDaS14_S15_EUlS14_E_NS1_11comp_targetILNS1_3genE2ELNS1_11target_archE906ELNS1_3gpuE6ELNS1_3repE0EEENS1_30default_config_static_selectorELNS0_4arch9wavefront6targetE1EEEvT1_
	.globl	_ZN7rocprim17ROCPRIM_400000_NS6detail17trampoline_kernelINS0_14default_configENS1_25partition_config_selectorILNS1_17partition_subalgoE0EsNS0_10empty_typeEbEEZZNS1_14partition_implILS5_0ELb0ES3_jN6thrust23THRUST_200600_302600_NS6detail15normal_iteratorINSA_10device_ptrIsEEEEPS6_SG_NS0_5tupleIJNSA_16discard_iteratorINSA_11use_defaultEEESF_EEENSH_IJSG_SG_EEES6_PlJ7is_evenIsEEEE10hipError_tPvRmT3_T4_T5_T6_T7_T9_mT8_P12ihipStream_tbDpT10_ENKUlT_T0_E_clISt17integral_constantIbLb1EES18_IbLb0EEEEDaS14_S15_EUlS14_E_NS1_11comp_targetILNS1_3genE2ELNS1_11target_archE906ELNS1_3gpuE6ELNS1_3repE0EEENS1_30default_config_static_selectorELNS0_4arch9wavefront6targetE1EEEvT1_
	.p2align	8
	.type	_ZN7rocprim17ROCPRIM_400000_NS6detail17trampoline_kernelINS0_14default_configENS1_25partition_config_selectorILNS1_17partition_subalgoE0EsNS0_10empty_typeEbEEZZNS1_14partition_implILS5_0ELb0ES3_jN6thrust23THRUST_200600_302600_NS6detail15normal_iteratorINSA_10device_ptrIsEEEEPS6_SG_NS0_5tupleIJNSA_16discard_iteratorINSA_11use_defaultEEESF_EEENSH_IJSG_SG_EEES6_PlJ7is_evenIsEEEE10hipError_tPvRmT3_T4_T5_T6_T7_T9_mT8_P12ihipStream_tbDpT10_ENKUlT_T0_E_clISt17integral_constantIbLb1EES18_IbLb0EEEEDaS14_S15_EUlS14_E_NS1_11comp_targetILNS1_3genE2ELNS1_11target_archE906ELNS1_3gpuE6ELNS1_3repE0EEENS1_30default_config_static_selectorELNS0_4arch9wavefront6targetE1EEEvT1_,@function
_ZN7rocprim17ROCPRIM_400000_NS6detail17trampoline_kernelINS0_14default_configENS1_25partition_config_selectorILNS1_17partition_subalgoE0EsNS0_10empty_typeEbEEZZNS1_14partition_implILS5_0ELb0ES3_jN6thrust23THRUST_200600_302600_NS6detail15normal_iteratorINSA_10device_ptrIsEEEEPS6_SG_NS0_5tupleIJNSA_16discard_iteratorINSA_11use_defaultEEESF_EEENSH_IJSG_SG_EEES6_PlJ7is_evenIsEEEE10hipError_tPvRmT3_T4_T5_T6_T7_T9_mT8_P12ihipStream_tbDpT10_ENKUlT_T0_E_clISt17integral_constantIbLb1EES18_IbLb0EEEEDaS14_S15_EUlS14_E_NS1_11comp_targetILNS1_3genE2ELNS1_11target_archE906ELNS1_3gpuE6ELNS1_3repE0EEENS1_30default_config_static_selectorELNS0_4arch9wavefront6targetE1EEEvT1_: ; @_ZN7rocprim17ROCPRIM_400000_NS6detail17trampoline_kernelINS0_14default_configENS1_25partition_config_selectorILNS1_17partition_subalgoE0EsNS0_10empty_typeEbEEZZNS1_14partition_implILS5_0ELb0ES3_jN6thrust23THRUST_200600_302600_NS6detail15normal_iteratorINSA_10device_ptrIsEEEEPS6_SG_NS0_5tupleIJNSA_16discard_iteratorINSA_11use_defaultEEESF_EEENSH_IJSG_SG_EEES6_PlJ7is_evenIsEEEE10hipError_tPvRmT3_T4_T5_T6_T7_T9_mT8_P12ihipStream_tbDpT10_ENKUlT_T0_E_clISt17integral_constantIbLb1EES18_IbLb0EEEEDaS14_S15_EUlS14_E_NS1_11comp_targetILNS1_3genE2ELNS1_11target_archE906ELNS1_3gpuE6ELNS1_3repE0EEENS1_30default_config_static_selectorELNS0_4arch9wavefront6targetE1EEEvT1_
; %bb.0:
	.section	.rodata,"a",@progbits
	.p2align	6, 0x0
	.amdhsa_kernel _ZN7rocprim17ROCPRIM_400000_NS6detail17trampoline_kernelINS0_14default_configENS1_25partition_config_selectorILNS1_17partition_subalgoE0EsNS0_10empty_typeEbEEZZNS1_14partition_implILS5_0ELb0ES3_jN6thrust23THRUST_200600_302600_NS6detail15normal_iteratorINSA_10device_ptrIsEEEEPS6_SG_NS0_5tupleIJNSA_16discard_iteratorINSA_11use_defaultEEESF_EEENSH_IJSG_SG_EEES6_PlJ7is_evenIsEEEE10hipError_tPvRmT3_T4_T5_T6_T7_T9_mT8_P12ihipStream_tbDpT10_ENKUlT_T0_E_clISt17integral_constantIbLb1EES18_IbLb0EEEEDaS14_S15_EUlS14_E_NS1_11comp_targetILNS1_3genE2ELNS1_11target_archE906ELNS1_3gpuE6ELNS1_3repE0EEENS1_30default_config_static_selectorELNS0_4arch9wavefront6targetE1EEEvT1_
		.amdhsa_group_segment_fixed_size 0
		.amdhsa_private_segment_fixed_size 0
		.amdhsa_kernarg_size 128
		.amdhsa_user_sgpr_count 2
		.amdhsa_user_sgpr_dispatch_ptr 0
		.amdhsa_user_sgpr_queue_ptr 0
		.amdhsa_user_sgpr_kernarg_segment_ptr 1
		.amdhsa_user_sgpr_dispatch_id 0
		.amdhsa_user_sgpr_kernarg_preload_length 0
		.amdhsa_user_sgpr_kernarg_preload_offset 0
		.amdhsa_user_sgpr_private_segment_size 0
		.amdhsa_uses_dynamic_stack 0
		.amdhsa_enable_private_segment 0
		.amdhsa_system_sgpr_workgroup_id_x 1
		.amdhsa_system_sgpr_workgroup_id_y 0
		.amdhsa_system_sgpr_workgroup_id_z 0
		.amdhsa_system_sgpr_workgroup_info 0
		.amdhsa_system_vgpr_workitem_id 0
		.amdhsa_next_free_vgpr 1
		.amdhsa_next_free_sgpr 0
		.amdhsa_accum_offset 4
		.amdhsa_reserve_vcc 0
		.amdhsa_float_round_mode_32 0
		.amdhsa_float_round_mode_16_64 0
		.amdhsa_float_denorm_mode_32 3
		.amdhsa_float_denorm_mode_16_64 3
		.amdhsa_dx10_clamp 1
		.amdhsa_ieee_mode 1
		.amdhsa_fp16_overflow 0
		.amdhsa_tg_split 0
		.amdhsa_exception_fp_ieee_invalid_op 0
		.amdhsa_exception_fp_denorm_src 0
		.amdhsa_exception_fp_ieee_div_zero 0
		.amdhsa_exception_fp_ieee_overflow 0
		.amdhsa_exception_fp_ieee_underflow 0
		.amdhsa_exception_fp_ieee_inexact 0
		.amdhsa_exception_int_div_zero 0
	.end_amdhsa_kernel
	.section	.text._ZN7rocprim17ROCPRIM_400000_NS6detail17trampoline_kernelINS0_14default_configENS1_25partition_config_selectorILNS1_17partition_subalgoE0EsNS0_10empty_typeEbEEZZNS1_14partition_implILS5_0ELb0ES3_jN6thrust23THRUST_200600_302600_NS6detail15normal_iteratorINSA_10device_ptrIsEEEEPS6_SG_NS0_5tupleIJNSA_16discard_iteratorINSA_11use_defaultEEESF_EEENSH_IJSG_SG_EEES6_PlJ7is_evenIsEEEE10hipError_tPvRmT3_T4_T5_T6_T7_T9_mT8_P12ihipStream_tbDpT10_ENKUlT_T0_E_clISt17integral_constantIbLb1EES18_IbLb0EEEEDaS14_S15_EUlS14_E_NS1_11comp_targetILNS1_3genE2ELNS1_11target_archE906ELNS1_3gpuE6ELNS1_3repE0EEENS1_30default_config_static_selectorELNS0_4arch9wavefront6targetE1EEEvT1_,"axG",@progbits,_ZN7rocprim17ROCPRIM_400000_NS6detail17trampoline_kernelINS0_14default_configENS1_25partition_config_selectorILNS1_17partition_subalgoE0EsNS0_10empty_typeEbEEZZNS1_14partition_implILS5_0ELb0ES3_jN6thrust23THRUST_200600_302600_NS6detail15normal_iteratorINSA_10device_ptrIsEEEEPS6_SG_NS0_5tupleIJNSA_16discard_iteratorINSA_11use_defaultEEESF_EEENSH_IJSG_SG_EEES6_PlJ7is_evenIsEEEE10hipError_tPvRmT3_T4_T5_T6_T7_T9_mT8_P12ihipStream_tbDpT10_ENKUlT_T0_E_clISt17integral_constantIbLb1EES18_IbLb0EEEEDaS14_S15_EUlS14_E_NS1_11comp_targetILNS1_3genE2ELNS1_11target_archE906ELNS1_3gpuE6ELNS1_3repE0EEENS1_30default_config_static_selectorELNS0_4arch9wavefront6targetE1EEEvT1_,comdat
.Lfunc_end2863:
	.size	_ZN7rocprim17ROCPRIM_400000_NS6detail17trampoline_kernelINS0_14default_configENS1_25partition_config_selectorILNS1_17partition_subalgoE0EsNS0_10empty_typeEbEEZZNS1_14partition_implILS5_0ELb0ES3_jN6thrust23THRUST_200600_302600_NS6detail15normal_iteratorINSA_10device_ptrIsEEEEPS6_SG_NS0_5tupleIJNSA_16discard_iteratorINSA_11use_defaultEEESF_EEENSH_IJSG_SG_EEES6_PlJ7is_evenIsEEEE10hipError_tPvRmT3_T4_T5_T6_T7_T9_mT8_P12ihipStream_tbDpT10_ENKUlT_T0_E_clISt17integral_constantIbLb1EES18_IbLb0EEEEDaS14_S15_EUlS14_E_NS1_11comp_targetILNS1_3genE2ELNS1_11target_archE906ELNS1_3gpuE6ELNS1_3repE0EEENS1_30default_config_static_selectorELNS0_4arch9wavefront6targetE1EEEvT1_, .Lfunc_end2863-_ZN7rocprim17ROCPRIM_400000_NS6detail17trampoline_kernelINS0_14default_configENS1_25partition_config_selectorILNS1_17partition_subalgoE0EsNS0_10empty_typeEbEEZZNS1_14partition_implILS5_0ELb0ES3_jN6thrust23THRUST_200600_302600_NS6detail15normal_iteratorINSA_10device_ptrIsEEEEPS6_SG_NS0_5tupleIJNSA_16discard_iteratorINSA_11use_defaultEEESF_EEENSH_IJSG_SG_EEES6_PlJ7is_evenIsEEEE10hipError_tPvRmT3_T4_T5_T6_T7_T9_mT8_P12ihipStream_tbDpT10_ENKUlT_T0_E_clISt17integral_constantIbLb1EES18_IbLb0EEEEDaS14_S15_EUlS14_E_NS1_11comp_targetILNS1_3genE2ELNS1_11target_archE906ELNS1_3gpuE6ELNS1_3repE0EEENS1_30default_config_static_selectorELNS0_4arch9wavefront6targetE1EEEvT1_
                                        ; -- End function
	.section	.AMDGPU.csdata,"",@progbits
; Kernel info:
; codeLenInByte = 0
; NumSgprs: 6
; NumVgprs: 0
; NumAgprs: 0
; TotalNumVgprs: 0
; ScratchSize: 0
; MemoryBound: 0
; FloatMode: 240
; IeeeMode: 1
; LDSByteSize: 0 bytes/workgroup (compile time only)
; SGPRBlocks: 0
; VGPRBlocks: 0
; NumSGPRsForWavesPerEU: 6
; NumVGPRsForWavesPerEU: 1
; AccumOffset: 4
; Occupancy: 8
; WaveLimiterHint : 0
; COMPUTE_PGM_RSRC2:SCRATCH_EN: 0
; COMPUTE_PGM_RSRC2:USER_SGPR: 2
; COMPUTE_PGM_RSRC2:TRAP_HANDLER: 0
; COMPUTE_PGM_RSRC2:TGID_X_EN: 1
; COMPUTE_PGM_RSRC2:TGID_Y_EN: 0
; COMPUTE_PGM_RSRC2:TGID_Z_EN: 0
; COMPUTE_PGM_RSRC2:TIDIG_COMP_CNT: 0
; COMPUTE_PGM_RSRC3_GFX90A:ACCUM_OFFSET: 0
; COMPUTE_PGM_RSRC3_GFX90A:TG_SPLIT: 0
	.section	.text._ZN7rocprim17ROCPRIM_400000_NS6detail17trampoline_kernelINS0_14default_configENS1_25partition_config_selectorILNS1_17partition_subalgoE0EsNS0_10empty_typeEbEEZZNS1_14partition_implILS5_0ELb0ES3_jN6thrust23THRUST_200600_302600_NS6detail15normal_iteratorINSA_10device_ptrIsEEEEPS6_SG_NS0_5tupleIJNSA_16discard_iteratorINSA_11use_defaultEEESF_EEENSH_IJSG_SG_EEES6_PlJ7is_evenIsEEEE10hipError_tPvRmT3_T4_T5_T6_T7_T9_mT8_P12ihipStream_tbDpT10_ENKUlT_T0_E_clISt17integral_constantIbLb1EES18_IbLb0EEEEDaS14_S15_EUlS14_E_NS1_11comp_targetILNS1_3genE10ELNS1_11target_archE1200ELNS1_3gpuE4ELNS1_3repE0EEENS1_30default_config_static_selectorELNS0_4arch9wavefront6targetE1EEEvT1_,"axG",@progbits,_ZN7rocprim17ROCPRIM_400000_NS6detail17trampoline_kernelINS0_14default_configENS1_25partition_config_selectorILNS1_17partition_subalgoE0EsNS0_10empty_typeEbEEZZNS1_14partition_implILS5_0ELb0ES3_jN6thrust23THRUST_200600_302600_NS6detail15normal_iteratorINSA_10device_ptrIsEEEEPS6_SG_NS0_5tupleIJNSA_16discard_iteratorINSA_11use_defaultEEESF_EEENSH_IJSG_SG_EEES6_PlJ7is_evenIsEEEE10hipError_tPvRmT3_T4_T5_T6_T7_T9_mT8_P12ihipStream_tbDpT10_ENKUlT_T0_E_clISt17integral_constantIbLb1EES18_IbLb0EEEEDaS14_S15_EUlS14_E_NS1_11comp_targetILNS1_3genE10ELNS1_11target_archE1200ELNS1_3gpuE4ELNS1_3repE0EEENS1_30default_config_static_selectorELNS0_4arch9wavefront6targetE1EEEvT1_,comdat
	.protected	_ZN7rocprim17ROCPRIM_400000_NS6detail17trampoline_kernelINS0_14default_configENS1_25partition_config_selectorILNS1_17partition_subalgoE0EsNS0_10empty_typeEbEEZZNS1_14partition_implILS5_0ELb0ES3_jN6thrust23THRUST_200600_302600_NS6detail15normal_iteratorINSA_10device_ptrIsEEEEPS6_SG_NS0_5tupleIJNSA_16discard_iteratorINSA_11use_defaultEEESF_EEENSH_IJSG_SG_EEES6_PlJ7is_evenIsEEEE10hipError_tPvRmT3_T4_T5_T6_T7_T9_mT8_P12ihipStream_tbDpT10_ENKUlT_T0_E_clISt17integral_constantIbLb1EES18_IbLb0EEEEDaS14_S15_EUlS14_E_NS1_11comp_targetILNS1_3genE10ELNS1_11target_archE1200ELNS1_3gpuE4ELNS1_3repE0EEENS1_30default_config_static_selectorELNS0_4arch9wavefront6targetE1EEEvT1_ ; -- Begin function _ZN7rocprim17ROCPRIM_400000_NS6detail17trampoline_kernelINS0_14default_configENS1_25partition_config_selectorILNS1_17partition_subalgoE0EsNS0_10empty_typeEbEEZZNS1_14partition_implILS5_0ELb0ES3_jN6thrust23THRUST_200600_302600_NS6detail15normal_iteratorINSA_10device_ptrIsEEEEPS6_SG_NS0_5tupleIJNSA_16discard_iteratorINSA_11use_defaultEEESF_EEENSH_IJSG_SG_EEES6_PlJ7is_evenIsEEEE10hipError_tPvRmT3_T4_T5_T6_T7_T9_mT8_P12ihipStream_tbDpT10_ENKUlT_T0_E_clISt17integral_constantIbLb1EES18_IbLb0EEEEDaS14_S15_EUlS14_E_NS1_11comp_targetILNS1_3genE10ELNS1_11target_archE1200ELNS1_3gpuE4ELNS1_3repE0EEENS1_30default_config_static_selectorELNS0_4arch9wavefront6targetE1EEEvT1_
	.globl	_ZN7rocprim17ROCPRIM_400000_NS6detail17trampoline_kernelINS0_14default_configENS1_25partition_config_selectorILNS1_17partition_subalgoE0EsNS0_10empty_typeEbEEZZNS1_14partition_implILS5_0ELb0ES3_jN6thrust23THRUST_200600_302600_NS6detail15normal_iteratorINSA_10device_ptrIsEEEEPS6_SG_NS0_5tupleIJNSA_16discard_iteratorINSA_11use_defaultEEESF_EEENSH_IJSG_SG_EEES6_PlJ7is_evenIsEEEE10hipError_tPvRmT3_T4_T5_T6_T7_T9_mT8_P12ihipStream_tbDpT10_ENKUlT_T0_E_clISt17integral_constantIbLb1EES18_IbLb0EEEEDaS14_S15_EUlS14_E_NS1_11comp_targetILNS1_3genE10ELNS1_11target_archE1200ELNS1_3gpuE4ELNS1_3repE0EEENS1_30default_config_static_selectorELNS0_4arch9wavefront6targetE1EEEvT1_
	.p2align	8
	.type	_ZN7rocprim17ROCPRIM_400000_NS6detail17trampoline_kernelINS0_14default_configENS1_25partition_config_selectorILNS1_17partition_subalgoE0EsNS0_10empty_typeEbEEZZNS1_14partition_implILS5_0ELb0ES3_jN6thrust23THRUST_200600_302600_NS6detail15normal_iteratorINSA_10device_ptrIsEEEEPS6_SG_NS0_5tupleIJNSA_16discard_iteratorINSA_11use_defaultEEESF_EEENSH_IJSG_SG_EEES6_PlJ7is_evenIsEEEE10hipError_tPvRmT3_T4_T5_T6_T7_T9_mT8_P12ihipStream_tbDpT10_ENKUlT_T0_E_clISt17integral_constantIbLb1EES18_IbLb0EEEEDaS14_S15_EUlS14_E_NS1_11comp_targetILNS1_3genE10ELNS1_11target_archE1200ELNS1_3gpuE4ELNS1_3repE0EEENS1_30default_config_static_selectorELNS0_4arch9wavefront6targetE1EEEvT1_,@function
_ZN7rocprim17ROCPRIM_400000_NS6detail17trampoline_kernelINS0_14default_configENS1_25partition_config_selectorILNS1_17partition_subalgoE0EsNS0_10empty_typeEbEEZZNS1_14partition_implILS5_0ELb0ES3_jN6thrust23THRUST_200600_302600_NS6detail15normal_iteratorINSA_10device_ptrIsEEEEPS6_SG_NS0_5tupleIJNSA_16discard_iteratorINSA_11use_defaultEEESF_EEENSH_IJSG_SG_EEES6_PlJ7is_evenIsEEEE10hipError_tPvRmT3_T4_T5_T6_T7_T9_mT8_P12ihipStream_tbDpT10_ENKUlT_T0_E_clISt17integral_constantIbLb1EES18_IbLb0EEEEDaS14_S15_EUlS14_E_NS1_11comp_targetILNS1_3genE10ELNS1_11target_archE1200ELNS1_3gpuE4ELNS1_3repE0EEENS1_30default_config_static_selectorELNS0_4arch9wavefront6targetE1EEEvT1_: ; @_ZN7rocprim17ROCPRIM_400000_NS6detail17trampoline_kernelINS0_14default_configENS1_25partition_config_selectorILNS1_17partition_subalgoE0EsNS0_10empty_typeEbEEZZNS1_14partition_implILS5_0ELb0ES3_jN6thrust23THRUST_200600_302600_NS6detail15normal_iteratorINSA_10device_ptrIsEEEEPS6_SG_NS0_5tupleIJNSA_16discard_iteratorINSA_11use_defaultEEESF_EEENSH_IJSG_SG_EEES6_PlJ7is_evenIsEEEE10hipError_tPvRmT3_T4_T5_T6_T7_T9_mT8_P12ihipStream_tbDpT10_ENKUlT_T0_E_clISt17integral_constantIbLb1EES18_IbLb0EEEEDaS14_S15_EUlS14_E_NS1_11comp_targetILNS1_3genE10ELNS1_11target_archE1200ELNS1_3gpuE4ELNS1_3repE0EEENS1_30default_config_static_selectorELNS0_4arch9wavefront6targetE1EEEvT1_
; %bb.0:
	.section	.rodata,"a",@progbits
	.p2align	6, 0x0
	.amdhsa_kernel _ZN7rocprim17ROCPRIM_400000_NS6detail17trampoline_kernelINS0_14default_configENS1_25partition_config_selectorILNS1_17partition_subalgoE0EsNS0_10empty_typeEbEEZZNS1_14partition_implILS5_0ELb0ES3_jN6thrust23THRUST_200600_302600_NS6detail15normal_iteratorINSA_10device_ptrIsEEEEPS6_SG_NS0_5tupleIJNSA_16discard_iteratorINSA_11use_defaultEEESF_EEENSH_IJSG_SG_EEES6_PlJ7is_evenIsEEEE10hipError_tPvRmT3_T4_T5_T6_T7_T9_mT8_P12ihipStream_tbDpT10_ENKUlT_T0_E_clISt17integral_constantIbLb1EES18_IbLb0EEEEDaS14_S15_EUlS14_E_NS1_11comp_targetILNS1_3genE10ELNS1_11target_archE1200ELNS1_3gpuE4ELNS1_3repE0EEENS1_30default_config_static_selectorELNS0_4arch9wavefront6targetE1EEEvT1_
		.amdhsa_group_segment_fixed_size 0
		.amdhsa_private_segment_fixed_size 0
		.amdhsa_kernarg_size 128
		.amdhsa_user_sgpr_count 2
		.amdhsa_user_sgpr_dispatch_ptr 0
		.amdhsa_user_sgpr_queue_ptr 0
		.amdhsa_user_sgpr_kernarg_segment_ptr 1
		.amdhsa_user_sgpr_dispatch_id 0
		.amdhsa_user_sgpr_kernarg_preload_length 0
		.amdhsa_user_sgpr_kernarg_preload_offset 0
		.amdhsa_user_sgpr_private_segment_size 0
		.amdhsa_uses_dynamic_stack 0
		.amdhsa_enable_private_segment 0
		.amdhsa_system_sgpr_workgroup_id_x 1
		.amdhsa_system_sgpr_workgroup_id_y 0
		.amdhsa_system_sgpr_workgroup_id_z 0
		.amdhsa_system_sgpr_workgroup_info 0
		.amdhsa_system_vgpr_workitem_id 0
		.amdhsa_next_free_vgpr 1
		.amdhsa_next_free_sgpr 0
		.amdhsa_accum_offset 4
		.amdhsa_reserve_vcc 0
		.amdhsa_float_round_mode_32 0
		.amdhsa_float_round_mode_16_64 0
		.amdhsa_float_denorm_mode_32 3
		.amdhsa_float_denorm_mode_16_64 3
		.amdhsa_dx10_clamp 1
		.amdhsa_ieee_mode 1
		.amdhsa_fp16_overflow 0
		.amdhsa_tg_split 0
		.amdhsa_exception_fp_ieee_invalid_op 0
		.amdhsa_exception_fp_denorm_src 0
		.amdhsa_exception_fp_ieee_div_zero 0
		.amdhsa_exception_fp_ieee_overflow 0
		.amdhsa_exception_fp_ieee_underflow 0
		.amdhsa_exception_fp_ieee_inexact 0
		.amdhsa_exception_int_div_zero 0
	.end_amdhsa_kernel
	.section	.text._ZN7rocprim17ROCPRIM_400000_NS6detail17trampoline_kernelINS0_14default_configENS1_25partition_config_selectorILNS1_17partition_subalgoE0EsNS0_10empty_typeEbEEZZNS1_14partition_implILS5_0ELb0ES3_jN6thrust23THRUST_200600_302600_NS6detail15normal_iteratorINSA_10device_ptrIsEEEEPS6_SG_NS0_5tupleIJNSA_16discard_iteratorINSA_11use_defaultEEESF_EEENSH_IJSG_SG_EEES6_PlJ7is_evenIsEEEE10hipError_tPvRmT3_T4_T5_T6_T7_T9_mT8_P12ihipStream_tbDpT10_ENKUlT_T0_E_clISt17integral_constantIbLb1EES18_IbLb0EEEEDaS14_S15_EUlS14_E_NS1_11comp_targetILNS1_3genE10ELNS1_11target_archE1200ELNS1_3gpuE4ELNS1_3repE0EEENS1_30default_config_static_selectorELNS0_4arch9wavefront6targetE1EEEvT1_,"axG",@progbits,_ZN7rocprim17ROCPRIM_400000_NS6detail17trampoline_kernelINS0_14default_configENS1_25partition_config_selectorILNS1_17partition_subalgoE0EsNS0_10empty_typeEbEEZZNS1_14partition_implILS5_0ELb0ES3_jN6thrust23THRUST_200600_302600_NS6detail15normal_iteratorINSA_10device_ptrIsEEEEPS6_SG_NS0_5tupleIJNSA_16discard_iteratorINSA_11use_defaultEEESF_EEENSH_IJSG_SG_EEES6_PlJ7is_evenIsEEEE10hipError_tPvRmT3_T4_T5_T6_T7_T9_mT8_P12ihipStream_tbDpT10_ENKUlT_T0_E_clISt17integral_constantIbLb1EES18_IbLb0EEEEDaS14_S15_EUlS14_E_NS1_11comp_targetILNS1_3genE10ELNS1_11target_archE1200ELNS1_3gpuE4ELNS1_3repE0EEENS1_30default_config_static_selectorELNS0_4arch9wavefront6targetE1EEEvT1_,comdat
.Lfunc_end2864:
	.size	_ZN7rocprim17ROCPRIM_400000_NS6detail17trampoline_kernelINS0_14default_configENS1_25partition_config_selectorILNS1_17partition_subalgoE0EsNS0_10empty_typeEbEEZZNS1_14partition_implILS5_0ELb0ES3_jN6thrust23THRUST_200600_302600_NS6detail15normal_iteratorINSA_10device_ptrIsEEEEPS6_SG_NS0_5tupleIJNSA_16discard_iteratorINSA_11use_defaultEEESF_EEENSH_IJSG_SG_EEES6_PlJ7is_evenIsEEEE10hipError_tPvRmT3_T4_T5_T6_T7_T9_mT8_P12ihipStream_tbDpT10_ENKUlT_T0_E_clISt17integral_constantIbLb1EES18_IbLb0EEEEDaS14_S15_EUlS14_E_NS1_11comp_targetILNS1_3genE10ELNS1_11target_archE1200ELNS1_3gpuE4ELNS1_3repE0EEENS1_30default_config_static_selectorELNS0_4arch9wavefront6targetE1EEEvT1_, .Lfunc_end2864-_ZN7rocprim17ROCPRIM_400000_NS6detail17trampoline_kernelINS0_14default_configENS1_25partition_config_selectorILNS1_17partition_subalgoE0EsNS0_10empty_typeEbEEZZNS1_14partition_implILS5_0ELb0ES3_jN6thrust23THRUST_200600_302600_NS6detail15normal_iteratorINSA_10device_ptrIsEEEEPS6_SG_NS0_5tupleIJNSA_16discard_iteratorINSA_11use_defaultEEESF_EEENSH_IJSG_SG_EEES6_PlJ7is_evenIsEEEE10hipError_tPvRmT3_T4_T5_T6_T7_T9_mT8_P12ihipStream_tbDpT10_ENKUlT_T0_E_clISt17integral_constantIbLb1EES18_IbLb0EEEEDaS14_S15_EUlS14_E_NS1_11comp_targetILNS1_3genE10ELNS1_11target_archE1200ELNS1_3gpuE4ELNS1_3repE0EEENS1_30default_config_static_selectorELNS0_4arch9wavefront6targetE1EEEvT1_
                                        ; -- End function
	.section	.AMDGPU.csdata,"",@progbits
; Kernel info:
; codeLenInByte = 0
; NumSgprs: 6
; NumVgprs: 0
; NumAgprs: 0
; TotalNumVgprs: 0
; ScratchSize: 0
; MemoryBound: 0
; FloatMode: 240
; IeeeMode: 1
; LDSByteSize: 0 bytes/workgroup (compile time only)
; SGPRBlocks: 0
; VGPRBlocks: 0
; NumSGPRsForWavesPerEU: 6
; NumVGPRsForWavesPerEU: 1
; AccumOffset: 4
; Occupancy: 8
; WaveLimiterHint : 0
; COMPUTE_PGM_RSRC2:SCRATCH_EN: 0
; COMPUTE_PGM_RSRC2:USER_SGPR: 2
; COMPUTE_PGM_RSRC2:TRAP_HANDLER: 0
; COMPUTE_PGM_RSRC2:TGID_X_EN: 1
; COMPUTE_PGM_RSRC2:TGID_Y_EN: 0
; COMPUTE_PGM_RSRC2:TGID_Z_EN: 0
; COMPUTE_PGM_RSRC2:TIDIG_COMP_CNT: 0
; COMPUTE_PGM_RSRC3_GFX90A:ACCUM_OFFSET: 0
; COMPUTE_PGM_RSRC3_GFX90A:TG_SPLIT: 0
	.section	.text._ZN7rocprim17ROCPRIM_400000_NS6detail17trampoline_kernelINS0_14default_configENS1_25partition_config_selectorILNS1_17partition_subalgoE0EsNS0_10empty_typeEbEEZZNS1_14partition_implILS5_0ELb0ES3_jN6thrust23THRUST_200600_302600_NS6detail15normal_iteratorINSA_10device_ptrIsEEEEPS6_SG_NS0_5tupleIJNSA_16discard_iteratorINSA_11use_defaultEEESF_EEENSH_IJSG_SG_EEES6_PlJ7is_evenIsEEEE10hipError_tPvRmT3_T4_T5_T6_T7_T9_mT8_P12ihipStream_tbDpT10_ENKUlT_T0_E_clISt17integral_constantIbLb1EES18_IbLb0EEEEDaS14_S15_EUlS14_E_NS1_11comp_targetILNS1_3genE9ELNS1_11target_archE1100ELNS1_3gpuE3ELNS1_3repE0EEENS1_30default_config_static_selectorELNS0_4arch9wavefront6targetE1EEEvT1_,"axG",@progbits,_ZN7rocprim17ROCPRIM_400000_NS6detail17trampoline_kernelINS0_14default_configENS1_25partition_config_selectorILNS1_17partition_subalgoE0EsNS0_10empty_typeEbEEZZNS1_14partition_implILS5_0ELb0ES3_jN6thrust23THRUST_200600_302600_NS6detail15normal_iteratorINSA_10device_ptrIsEEEEPS6_SG_NS0_5tupleIJNSA_16discard_iteratorINSA_11use_defaultEEESF_EEENSH_IJSG_SG_EEES6_PlJ7is_evenIsEEEE10hipError_tPvRmT3_T4_T5_T6_T7_T9_mT8_P12ihipStream_tbDpT10_ENKUlT_T0_E_clISt17integral_constantIbLb1EES18_IbLb0EEEEDaS14_S15_EUlS14_E_NS1_11comp_targetILNS1_3genE9ELNS1_11target_archE1100ELNS1_3gpuE3ELNS1_3repE0EEENS1_30default_config_static_selectorELNS0_4arch9wavefront6targetE1EEEvT1_,comdat
	.protected	_ZN7rocprim17ROCPRIM_400000_NS6detail17trampoline_kernelINS0_14default_configENS1_25partition_config_selectorILNS1_17partition_subalgoE0EsNS0_10empty_typeEbEEZZNS1_14partition_implILS5_0ELb0ES3_jN6thrust23THRUST_200600_302600_NS6detail15normal_iteratorINSA_10device_ptrIsEEEEPS6_SG_NS0_5tupleIJNSA_16discard_iteratorINSA_11use_defaultEEESF_EEENSH_IJSG_SG_EEES6_PlJ7is_evenIsEEEE10hipError_tPvRmT3_T4_T5_T6_T7_T9_mT8_P12ihipStream_tbDpT10_ENKUlT_T0_E_clISt17integral_constantIbLb1EES18_IbLb0EEEEDaS14_S15_EUlS14_E_NS1_11comp_targetILNS1_3genE9ELNS1_11target_archE1100ELNS1_3gpuE3ELNS1_3repE0EEENS1_30default_config_static_selectorELNS0_4arch9wavefront6targetE1EEEvT1_ ; -- Begin function _ZN7rocprim17ROCPRIM_400000_NS6detail17trampoline_kernelINS0_14default_configENS1_25partition_config_selectorILNS1_17partition_subalgoE0EsNS0_10empty_typeEbEEZZNS1_14partition_implILS5_0ELb0ES3_jN6thrust23THRUST_200600_302600_NS6detail15normal_iteratorINSA_10device_ptrIsEEEEPS6_SG_NS0_5tupleIJNSA_16discard_iteratorINSA_11use_defaultEEESF_EEENSH_IJSG_SG_EEES6_PlJ7is_evenIsEEEE10hipError_tPvRmT3_T4_T5_T6_T7_T9_mT8_P12ihipStream_tbDpT10_ENKUlT_T0_E_clISt17integral_constantIbLb1EES18_IbLb0EEEEDaS14_S15_EUlS14_E_NS1_11comp_targetILNS1_3genE9ELNS1_11target_archE1100ELNS1_3gpuE3ELNS1_3repE0EEENS1_30default_config_static_selectorELNS0_4arch9wavefront6targetE1EEEvT1_
	.globl	_ZN7rocprim17ROCPRIM_400000_NS6detail17trampoline_kernelINS0_14default_configENS1_25partition_config_selectorILNS1_17partition_subalgoE0EsNS0_10empty_typeEbEEZZNS1_14partition_implILS5_0ELb0ES3_jN6thrust23THRUST_200600_302600_NS6detail15normal_iteratorINSA_10device_ptrIsEEEEPS6_SG_NS0_5tupleIJNSA_16discard_iteratorINSA_11use_defaultEEESF_EEENSH_IJSG_SG_EEES6_PlJ7is_evenIsEEEE10hipError_tPvRmT3_T4_T5_T6_T7_T9_mT8_P12ihipStream_tbDpT10_ENKUlT_T0_E_clISt17integral_constantIbLb1EES18_IbLb0EEEEDaS14_S15_EUlS14_E_NS1_11comp_targetILNS1_3genE9ELNS1_11target_archE1100ELNS1_3gpuE3ELNS1_3repE0EEENS1_30default_config_static_selectorELNS0_4arch9wavefront6targetE1EEEvT1_
	.p2align	8
	.type	_ZN7rocprim17ROCPRIM_400000_NS6detail17trampoline_kernelINS0_14default_configENS1_25partition_config_selectorILNS1_17partition_subalgoE0EsNS0_10empty_typeEbEEZZNS1_14partition_implILS5_0ELb0ES3_jN6thrust23THRUST_200600_302600_NS6detail15normal_iteratorINSA_10device_ptrIsEEEEPS6_SG_NS0_5tupleIJNSA_16discard_iteratorINSA_11use_defaultEEESF_EEENSH_IJSG_SG_EEES6_PlJ7is_evenIsEEEE10hipError_tPvRmT3_T4_T5_T6_T7_T9_mT8_P12ihipStream_tbDpT10_ENKUlT_T0_E_clISt17integral_constantIbLb1EES18_IbLb0EEEEDaS14_S15_EUlS14_E_NS1_11comp_targetILNS1_3genE9ELNS1_11target_archE1100ELNS1_3gpuE3ELNS1_3repE0EEENS1_30default_config_static_selectorELNS0_4arch9wavefront6targetE1EEEvT1_,@function
_ZN7rocprim17ROCPRIM_400000_NS6detail17trampoline_kernelINS0_14default_configENS1_25partition_config_selectorILNS1_17partition_subalgoE0EsNS0_10empty_typeEbEEZZNS1_14partition_implILS5_0ELb0ES3_jN6thrust23THRUST_200600_302600_NS6detail15normal_iteratorINSA_10device_ptrIsEEEEPS6_SG_NS0_5tupleIJNSA_16discard_iteratorINSA_11use_defaultEEESF_EEENSH_IJSG_SG_EEES6_PlJ7is_evenIsEEEE10hipError_tPvRmT3_T4_T5_T6_T7_T9_mT8_P12ihipStream_tbDpT10_ENKUlT_T0_E_clISt17integral_constantIbLb1EES18_IbLb0EEEEDaS14_S15_EUlS14_E_NS1_11comp_targetILNS1_3genE9ELNS1_11target_archE1100ELNS1_3gpuE3ELNS1_3repE0EEENS1_30default_config_static_selectorELNS0_4arch9wavefront6targetE1EEEvT1_: ; @_ZN7rocprim17ROCPRIM_400000_NS6detail17trampoline_kernelINS0_14default_configENS1_25partition_config_selectorILNS1_17partition_subalgoE0EsNS0_10empty_typeEbEEZZNS1_14partition_implILS5_0ELb0ES3_jN6thrust23THRUST_200600_302600_NS6detail15normal_iteratorINSA_10device_ptrIsEEEEPS6_SG_NS0_5tupleIJNSA_16discard_iteratorINSA_11use_defaultEEESF_EEENSH_IJSG_SG_EEES6_PlJ7is_evenIsEEEE10hipError_tPvRmT3_T4_T5_T6_T7_T9_mT8_P12ihipStream_tbDpT10_ENKUlT_T0_E_clISt17integral_constantIbLb1EES18_IbLb0EEEEDaS14_S15_EUlS14_E_NS1_11comp_targetILNS1_3genE9ELNS1_11target_archE1100ELNS1_3gpuE3ELNS1_3repE0EEENS1_30default_config_static_selectorELNS0_4arch9wavefront6targetE1EEEvT1_
; %bb.0:
	.section	.rodata,"a",@progbits
	.p2align	6, 0x0
	.amdhsa_kernel _ZN7rocprim17ROCPRIM_400000_NS6detail17trampoline_kernelINS0_14default_configENS1_25partition_config_selectorILNS1_17partition_subalgoE0EsNS0_10empty_typeEbEEZZNS1_14partition_implILS5_0ELb0ES3_jN6thrust23THRUST_200600_302600_NS6detail15normal_iteratorINSA_10device_ptrIsEEEEPS6_SG_NS0_5tupleIJNSA_16discard_iteratorINSA_11use_defaultEEESF_EEENSH_IJSG_SG_EEES6_PlJ7is_evenIsEEEE10hipError_tPvRmT3_T4_T5_T6_T7_T9_mT8_P12ihipStream_tbDpT10_ENKUlT_T0_E_clISt17integral_constantIbLb1EES18_IbLb0EEEEDaS14_S15_EUlS14_E_NS1_11comp_targetILNS1_3genE9ELNS1_11target_archE1100ELNS1_3gpuE3ELNS1_3repE0EEENS1_30default_config_static_selectorELNS0_4arch9wavefront6targetE1EEEvT1_
		.amdhsa_group_segment_fixed_size 0
		.amdhsa_private_segment_fixed_size 0
		.amdhsa_kernarg_size 128
		.amdhsa_user_sgpr_count 2
		.amdhsa_user_sgpr_dispatch_ptr 0
		.amdhsa_user_sgpr_queue_ptr 0
		.amdhsa_user_sgpr_kernarg_segment_ptr 1
		.amdhsa_user_sgpr_dispatch_id 0
		.amdhsa_user_sgpr_kernarg_preload_length 0
		.amdhsa_user_sgpr_kernarg_preload_offset 0
		.amdhsa_user_sgpr_private_segment_size 0
		.amdhsa_uses_dynamic_stack 0
		.amdhsa_enable_private_segment 0
		.amdhsa_system_sgpr_workgroup_id_x 1
		.amdhsa_system_sgpr_workgroup_id_y 0
		.amdhsa_system_sgpr_workgroup_id_z 0
		.amdhsa_system_sgpr_workgroup_info 0
		.amdhsa_system_vgpr_workitem_id 0
		.amdhsa_next_free_vgpr 1
		.amdhsa_next_free_sgpr 0
		.amdhsa_accum_offset 4
		.amdhsa_reserve_vcc 0
		.amdhsa_float_round_mode_32 0
		.amdhsa_float_round_mode_16_64 0
		.amdhsa_float_denorm_mode_32 3
		.amdhsa_float_denorm_mode_16_64 3
		.amdhsa_dx10_clamp 1
		.amdhsa_ieee_mode 1
		.amdhsa_fp16_overflow 0
		.amdhsa_tg_split 0
		.amdhsa_exception_fp_ieee_invalid_op 0
		.amdhsa_exception_fp_denorm_src 0
		.amdhsa_exception_fp_ieee_div_zero 0
		.amdhsa_exception_fp_ieee_overflow 0
		.amdhsa_exception_fp_ieee_underflow 0
		.amdhsa_exception_fp_ieee_inexact 0
		.amdhsa_exception_int_div_zero 0
	.end_amdhsa_kernel
	.section	.text._ZN7rocprim17ROCPRIM_400000_NS6detail17trampoline_kernelINS0_14default_configENS1_25partition_config_selectorILNS1_17partition_subalgoE0EsNS0_10empty_typeEbEEZZNS1_14partition_implILS5_0ELb0ES3_jN6thrust23THRUST_200600_302600_NS6detail15normal_iteratorINSA_10device_ptrIsEEEEPS6_SG_NS0_5tupleIJNSA_16discard_iteratorINSA_11use_defaultEEESF_EEENSH_IJSG_SG_EEES6_PlJ7is_evenIsEEEE10hipError_tPvRmT3_T4_T5_T6_T7_T9_mT8_P12ihipStream_tbDpT10_ENKUlT_T0_E_clISt17integral_constantIbLb1EES18_IbLb0EEEEDaS14_S15_EUlS14_E_NS1_11comp_targetILNS1_3genE9ELNS1_11target_archE1100ELNS1_3gpuE3ELNS1_3repE0EEENS1_30default_config_static_selectorELNS0_4arch9wavefront6targetE1EEEvT1_,"axG",@progbits,_ZN7rocprim17ROCPRIM_400000_NS6detail17trampoline_kernelINS0_14default_configENS1_25partition_config_selectorILNS1_17partition_subalgoE0EsNS0_10empty_typeEbEEZZNS1_14partition_implILS5_0ELb0ES3_jN6thrust23THRUST_200600_302600_NS6detail15normal_iteratorINSA_10device_ptrIsEEEEPS6_SG_NS0_5tupleIJNSA_16discard_iteratorINSA_11use_defaultEEESF_EEENSH_IJSG_SG_EEES6_PlJ7is_evenIsEEEE10hipError_tPvRmT3_T4_T5_T6_T7_T9_mT8_P12ihipStream_tbDpT10_ENKUlT_T0_E_clISt17integral_constantIbLb1EES18_IbLb0EEEEDaS14_S15_EUlS14_E_NS1_11comp_targetILNS1_3genE9ELNS1_11target_archE1100ELNS1_3gpuE3ELNS1_3repE0EEENS1_30default_config_static_selectorELNS0_4arch9wavefront6targetE1EEEvT1_,comdat
.Lfunc_end2865:
	.size	_ZN7rocprim17ROCPRIM_400000_NS6detail17trampoline_kernelINS0_14default_configENS1_25partition_config_selectorILNS1_17partition_subalgoE0EsNS0_10empty_typeEbEEZZNS1_14partition_implILS5_0ELb0ES3_jN6thrust23THRUST_200600_302600_NS6detail15normal_iteratorINSA_10device_ptrIsEEEEPS6_SG_NS0_5tupleIJNSA_16discard_iteratorINSA_11use_defaultEEESF_EEENSH_IJSG_SG_EEES6_PlJ7is_evenIsEEEE10hipError_tPvRmT3_T4_T5_T6_T7_T9_mT8_P12ihipStream_tbDpT10_ENKUlT_T0_E_clISt17integral_constantIbLb1EES18_IbLb0EEEEDaS14_S15_EUlS14_E_NS1_11comp_targetILNS1_3genE9ELNS1_11target_archE1100ELNS1_3gpuE3ELNS1_3repE0EEENS1_30default_config_static_selectorELNS0_4arch9wavefront6targetE1EEEvT1_, .Lfunc_end2865-_ZN7rocprim17ROCPRIM_400000_NS6detail17trampoline_kernelINS0_14default_configENS1_25partition_config_selectorILNS1_17partition_subalgoE0EsNS0_10empty_typeEbEEZZNS1_14partition_implILS5_0ELb0ES3_jN6thrust23THRUST_200600_302600_NS6detail15normal_iteratorINSA_10device_ptrIsEEEEPS6_SG_NS0_5tupleIJNSA_16discard_iteratorINSA_11use_defaultEEESF_EEENSH_IJSG_SG_EEES6_PlJ7is_evenIsEEEE10hipError_tPvRmT3_T4_T5_T6_T7_T9_mT8_P12ihipStream_tbDpT10_ENKUlT_T0_E_clISt17integral_constantIbLb1EES18_IbLb0EEEEDaS14_S15_EUlS14_E_NS1_11comp_targetILNS1_3genE9ELNS1_11target_archE1100ELNS1_3gpuE3ELNS1_3repE0EEENS1_30default_config_static_selectorELNS0_4arch9wavefront6targetE1EEEvT1_
                                        ; -- End function
	.section	.AMDGPU.csdata,"",@progbits
; Kernel info:
; codeLenInByte = 0
; NumSgprs: 6
; NumVgprs: 0
; NumAgprs: 0
; TotalNumVgprs: 0
; ScratchSize: 0
; MemoryBound: 0
; FloatMode: 240
; IeeeMode: 1
; LDSByteSize: 0 bytes/workgroup (compile time only)
; SGPRBlocks: 0
; VGPRBlocks: 0
; NumSGPRsForWavesPerEU: 6
; NumVGPRsForWavesPerEU: 1
; AccumOffset: 4
; Occupancy: 8
; WaveLimiterHint : 0
; COMPUTE_PGM_RSRC2:SCRATCH_EN: 0
; COMPUTE_PGM_RSRC2:USER_SGPR: 2
; COMPUTE_PGM_RSRC2:TRAP_HANDLER: 0
; COMPUTE_PGM_RSRC2:TGID_X_EN: 1
; COMPUTE_PGM_RSRC2:TGID_Y_EN: 0
; COMPUTE_PGM_RSRC2:TGID_Z_EN: 0
; COMPUTE_PGM_RSRC2:TIDIG_COMP_CNT: 0
; COMPUTE_PGM_RSRC3_GFX90A:ACCUM_OFFSET: 0
; COMPUTE_PGM_RSRC3_GFX90A:TG_SPLIT: 0
	.section	.text._ZN7rocprim17ROCPRIM_400000_NS6detail17trampoline_kernelINS0_14default_configENS1_25partition_config_selectorILNS1_17partition_subalgoE0EsNS0_10empty_typeEbEEZZNS1_14partition_implILS5_0ELb0ES3_jN6thrust23THRUST_200600_302600_NS6detail15normal_iteratorINSA_10device_ptrIsEEEEPS6_SG_NS0_5tupleIJNSA_16discard_iteratorINSA_11use_defaultEEESF_EEENSH_IJSG_SG_EEES6_PlJ7is_evenIsEEEE10hipError_tPvRmT3_T4_T5_T6_T7_T9_mT8_P12ihipStream_tbDpT10_ENKUlT_T0_E_clISt17integral_constantIbLb1EES18_IbLb0EEEEDaS14_S15_EUlS14_E_NS1_11comp_targetILNS1_3genE8ELNS1_11target_archE1030ELNS1_3gpuE2ELNS1_3repE0EEENS1_30default_config_static_selectorELNS0_4arch9wavefront6targetE1EEEvT1_,"axG",@progbits,_ZN7rocprim17ROCPRIM_400000_NS6detail17trampoline_kernelINS0_14default_configENS1_25partition_config_selectorILNS1_17partition_subalgoE0EsNS0_10empty_typeEbEEZZNS1_14partition_implILS5_0ELb0ES3_jN6thrust23THRUST_200600_302600_NS6detail15normal_iteratorINSA_10device_ptrIsEEEEPS6_SG_NS0_5tupleIJNSA_16discard_iteratorINSA_11use_defaultEEESF_EEENSH_IJSG_SG_EEES6_PlJ7is_evenIsEEEE10hipError_tPvRmT3_T4_T5_T6_T7_T9_mT8_P12ihipStream_tbDpT10_ENKUlT_T0_E_clISt17integral_constantIbLb1EES18_IbLb0EEEEDaS14_S15_EUlS14_E_NS1_11comp_targetILNS1_3genE8ELNS1_11target_archE1030ELNS1_3gpuE2ELNS1_3repE0EEENS1_30default_config_static_selectorELNS0_4arch9wavefront6targetE1EEEvT1_,comdat
	.protected	_ZN7rocprim17ROCPRIM_400000_NS6detail17trampoline_kernelINS0_14default_configENS1_25partition_config_selectorILNS1_17partition_subalgoE0EsNS0_10empty_typeEbEEZZNS1_14partition_implILS5_0ELb0ES3_jN6thrust23THRUST_200600_302600_NS6detail15normal_iteratorINSA_10device_ptrIsEEEEPS6_SG_NS0_5tupleIJNSA_16discard_iteratorINSA_11use_defaultEEESF_EEENSH_IJSG_SG_EEES6_PlJ7is_evenIsEEEE10hipError_tPvRmT3_T4_T5_T6_T7_T9_mT8_P12ihipStream_tbDpT10_ENKUlT_T0_E_clISt17integral_constantIbLb1EES18_IbLb0EEEEDaS14_S15_EUlS14_E_NS1_11comp_targetILNS1_3genE8ELNS1_11target_archE1030ELNS1_3gpuE2ELNS1_3repE0EEENS1_30default_config_static_selectorELNS0_4arch9wavefront6targetE1EEEvT1_ ; -- Begin function _ZN7rocprim17ROCPRIM_400000_NS6detail17trampoline_kernelINS0_14default_configENS1_25partition_config_selectorILNS1_17partition_subalgoE0EsNS0_10empty_typeEbEEZZNS1_14partition_implILS5_0ELb0ES3_jN6thrust23THRUST_200600_302600_NS6detail15normal_iteratorINSA_10device_ptrIsEEEEPS6_SG_NS0_5tupleIJNSA_16discard_iteratorINSA_11use_defaultEEESF_EEENSH_IJSG_SG_EEES6_PlJ7is_evenIsEEEE10hipError_tPvRmT3_T4_T5_T6_T7_T9_mT8_P12ihipStream_tbDpT10_ENKUlT_T0_E_clISt17integral_constantIbLb1EES18_IbLb0EEEEDaS14_S15_EUlS14_E_NS1_11comp_targetILNS1_3genE8ELNS1_11target_archE1030ELNS1_3gpuE2ELNS1_3repE0EEENS1_30default_config_static_selectorELNS0_4arch9wavefront6targetE1EEEvT1_
	.globl	_ZN7rocprim17ROCPRIM_400000_NS6detail17trampoline_kernelINS0_14default_configENS1_25partition_config_selectorILNS1_17partition_subalgoE0EsNS0_10empty_typeEbEEZZNS1_14partition_implILS5_0ELb0ES3_jN6thrust23THRUST_200600_302600_NS6detail15normal_iteratorINSA_10device_ptrIsEEEEPS6_SG_NS0_5tupleIJNSA_16discard_iteratorINSA_11use_defaultEEESF_EEENSH_IJSG_SG_EEES6_PlJ7is_evenIsEEEE10hipError_tPvRmT3_T4_T5_T6_T7_T9_mT8_P12ihipStream_tbDpT10_ENKUlT_T0_E_clISt17integral_constantIbLb1EES18_IbLb0EEEEDaS14_S15_EUlS14_E_NS1_11comp_targetILNS1_3genE8ELNS1_11target_archE1030ELNS1_3gpuE2ELNS1_3repE0EEENS1_30default_config_static_selectorELNS0_4arch9wavefront6targetE1EEEvT1_
	.p2align	8
	.type	_ZN7rocprim17ROCPRIM_400000_NS6detail17trampoline_kernelINS0_14default_configENS1_25partition_config_selectorILNS1_17partition_subalgoE0EsNS0_10empty_typeEbEEZZNS1_14partition_implILS5_0ELb0ES3_jN6thrust23THRUST_200600_302600_NS6detail15normal_iteratorINSA_10device_ptrIsEEEEPS6_SG_NS0_5tupleIJNSA_16discard_iteratorINSA_11use_defaultEEESF_EEENSH_IJSG_SG_EEES6_PlJ7is_evenIsEEEE10hipError_tPvRmT3_T4_T5_T6_T7_T9_mT8_P12ihipStream_tbDpT10_ENKUlT_T0_E_clISt17integral_constantIbLb1EES18_IbLb0EEEEDaS14_S15_EUlS14_E_NS1_11comp_targetILNS1_3genE8ELNS1_11target_archE1030ELNS1_3gpuE2ELNS1_3repE0EEENS1_30default_config_static_selectorELNS0_4arch9wavefront6targetE1EEEvT1_,@function
_ZN7rocprim17ROCPRIM_400000_NS6detail17trampoline_kernelINS0_14default_configENS1_25partition_config_selectorILNS1_17partition_subalgoE0EsNS0_10empty_typeEbEEZZNS1_14partition_implILS5_0ELb0ES3_jN6thrust23THRUST_200600_302600_NS6detail15normal_iteratorINSA_10device_ptrIsEEEEPS6_SG_NS0_5tupleIJNSA_16discard_iteratorINSA_11use_defaultEEESF_EEENSH_IJSG_SG_EEES6_PlJ7is_evenIsEEEE10hipError_tPvRmT3_T4_T5_T6_T7_T9_mT8_P12ihipStream_tbDpT10_ENKUlT_T0_E_clISt17integral_constantIbLb1EES18_IbLb0EEEEDaS14_S15_EUlS14_E_NS1_11comp_targetILNS1_3genE8ELNS1_11target_archE1030ELNS1_3gpuE2ELNS1_3repE0EEENS1_30default_config_static_selectorELNS0_4arch9wavefront6targetE1EEEvT1_: ; @_ZN7rocprim17ROCPRIM_400000_NS6detail17trampoline_kernelINS0_14default_configENS1_25partition_config_selectorILNS1_17partition_subalgoE0EsNS0_10empty_typeEbEEZZNS1_14partition_implILS5_0ELb0ES3_jN6thrust23THRUST_200600_302600_NS6detail15normal_iteratorINSA_10device_ptrIsEEEEPS6_SG_NS0_5tupleIJNSA_16discard_iteratorINSA_11use_defaultEEESF_EEENSH_IJSG_SG_EEES6_PlJ7is_evenIsEEEE10hipError_tPvRmT3_T4_T5_T6_T7_T9_mT8_P12ihipStream_tbDpT10_ENKUlT_T0_E_clISt17integral_constantIbLb1EES18_IbLb0EEEEDaS14_S15_EUlS14_E_NS1_11comp_targetILNS1_3genE8ELNS1_11target_archE1030ELNS1_3gpuE2ELNS1_3repE0EEENS1_30default_config_static_selectorELNS0_4arch9wavefront6targetE1EEEvT1_
; %bb.0:
	.section	.rodata,"a",@progbits
	.p2align	6, 0x0
	.amdhsa_kernel _ZN7rocprim17ROCPRIM_400000_NS6detail17trampoline_kernelINS0_14default_configENS1_25partition_config_selectorILNS1_17partition_subalgoE0EsNS0_10empty_typeEbEEZZNS1_14partition_implILS5_0ELb0ES3_jN6thrust23THRUST_200600_302600_NS6detail15normal_iteratorINSA_10device_ptrIsEEEEPS6_SG_NS0_5tupleIJNSA_16discard_iteratorINSA_11use_defaultEEESF_EEENSH_IJSG_SG_EEES6_PlJ7is_evenIsEEEE10hipError_tPvRmT3_T4_T5_T6_T7_T9_mT8_P12ihipStream_tbDpT10_ENKUlT_T0_E_clISt17integral_constantIbLb1EES18_IbLb0EEEEDaS14_S15_EUlS14_E_NS1_11comp_targetILNS1_3genE8ELNS1_11target_archE1030ELNS1_3gpuE2ELNS1_3repE0EEENS1_30default_config_static_selectorELNS0_4arch9wavefront6targetE1EEEvT1_
		.amdhsa_group_segment_fixed_size 0
		.amdhsa_private_segment_fixed_size 0
		.amdhsa_kernarg_size 128
		.amdhsa_user_sgpr_count 2
		.amdhsa_user_sgpr_dispatch_ptr 0
		.amdhsa_user_sgpr_queue_ptr 0
		.amdhsa_user_sgpr_kernarg_segment_ptr 1
		.amdhsa_user_sgpr_dispatch_id 0
		.amdhsa_user_sgpr_kernarg_preload_length 0
		.amdhsa_user_sgpr_kernarg_preload_offset 0
		.amdhsa_user_sgpr_private_segment_size 0
		.amdhsa_uses_dynamic_stack 0
		.amdhsa_enable_private_segment 0
		.amdhsa_system_sgpr_workgroup_id_x 1
		.amdhsa_system_sgpr_workgroup_id_y 0
		.amdhsa_system_sgpr_workgroup_id_z 0
		.amdhsa_system_sgpr_workgroup_info 0
		.amdhsa_system_vgpr_workitem_id 0
		.amdhsa_next_free_vgpr 1
		.amdhsa_next_free_sgpr 0
		.amdhsa_accum_offset 4
		.amdhsa_reserve_vcc 0
		.amdhsa_float_round_mode_32 0
		.amdhsa_float_round_mode_16_64 0
		.amdhsa_float_denorm_mode_32 3
		.amdhsa_float_denorm_mode_16_64 3
		.amdhsa_dx10_clamp 1
		.amdhsa_ieee_mode 1
		.amdhsa_fp16_overflow 0
		.amdhsa_tg_split 0
		.amdhsa_exception_fp_ieee_invalid_op 0
		.amdhsa_exception_fp_denorm_src 0
		.amdhsa_exception_fp_ieee_div_zero 0
		.amdhsa_exception_fp_ieee_overflow 0
		.amdhsa_exception_fp_ieee_underflow 0
		.amdhsa_exception_fp_ieee_inexact 0
		.amdhsa_exception_int_div_zero 0
	.end_amdhsa_kernel
	.section	.text._ZN7rocprim17ROCPRIM_400000_NS6detail17trampoline_kernelINS0_14default_configENS1_25partition_config_selectorILNS1_17partition_subalgoE0EsNS0_10empty_typeEbEEZZNS1_14partition_implILS5_0ELb0ES3_jN6thrust23THRUST_200600_302600_NS6detail15normal_iteratorINSA_10device_ptrIsEEEEPS6_SG_NS0_5tupleIJNSA_16discard_iteratorINSA_11use_defaultEEESF_EEENSH_IJSG_SG_EEES6_PlJ7is_evenIsEEEE10hipError_tPvRmT3_T4_T5_T6_T7_T9_mT8_P12ihipStream_tbDpT10_ENKUlT_T0_E_clISt17integral_constantIbLb1EES18_IbLb0EEEEDaS14_S15_EUlS14_E_NS1_11comp_targetILNS1_3genE8ELNS1_11target_archE1030ELNS1_3gpuE2ELNS1_3repE0EEENS1_30default_config_static_selectorELNS0_4arch9wavefront6targetE1EEEvT1_,"axG",@progbits,_ZN7rocprim17ROCPRIM_400000_NS6detail17trampoline_kernelINS0_14default_configENS1_25partition_config_selectorILNS1_17partition_subalgoE0EsNS0_10empty_typeEbEEZZNS1_14partition_implILS5_0ELb0ES3_jN6thrust23THRUST_200600_302600_NS6detail15normal_iteratorINSA_10device_ptrIsEEEEPS6_SG_NS0_5tupleIJNSA_16discard_iteratorINSA_11use_defaultEEESF_EEENSH_IJSG_SG_EEES6_PlJ7is_evenIsEEEE10hipError_tPvRmT3_T4_T5_T6_T7_T9_mT8_P12ihipStream_tbDpT10_ENKUlT_T0_E_clISt17integral_constantIbLb1EES18_IbLb0EEEEDaS14_S15_EUlS14_E_NS1_11comp_targetILNS1_3genE8ELNS1_11target_archE1030ELNS1_3gpuE2ELNS1_3repE0EEENS1_30default_config_static_selectorELNS0_4arch9wavefront6targetE1EEEvT1_,comdat
.Lfunc_end2866:
	.size	_ZN7rocprim17ROCPRIM_400000_NS6detail17trampoline_kernelINS0_14default_configENS1_25partition_config_selectorILNS1_17partition_subalgoE0EsNS0_10empty_typeEbEEZZNS1_14partition_implILS5_0ELb0ES3_jN6thrust23THRUST_200600_302600_NS6detail15normal_iteratorINSA_10device_ptrIsEEEEPS6_SG_NS0_5tupleIJNSA_16discard_iteratorINSA_11use_defaultEEESF_EEENSH_IJSG_SG_EEES6_PlJ7is_evenIsEEEE10hipError_tPvRmT3_T4_T5_T6_T7_T9_mT8_P12ihipStream_tbDpT10_ENKUlT_T0_E_clISt17integral_constantIbLb1EES18_IbLb0EEEEDaS14_S15_EUlS14_E_NS1_11comp_targetILNS1_3genE8ELNS1_11target_archE1030ELNS1_3gpuE2ELNS1_3repE0EEENS1_30default_config_static_selectorELNS0_4arch9wavefront6targetE1EEEvT1_, .Lfunc_end2866-_ZN7rocprim17ROCPRIM_400000_NS6detail17trampoline_kernelINS0_14default_configENS1_25partition_config_selectorILNS1_17partition_subalgoE0EsNS0_10empty_typeEbEEZZNS1_14partition_implILS5_0ELb0ES3_jN6thrust23THRUST_200600_302600_NS6detail15normal_iteratorINSA_10device_ptrIsEEEEPS6_SG_NS0_5tupleIJNSA_16discard_iteratorINSA_11use_defaultEEESF_EEENSH_IJSG_SG_EEES6_PlJ7is_evenIsEEEE10hipError_tPvRmT3_T4_T5_T6_T7_T9_mT8_P12ihipStream_tbDpT10_ENKUlT_T0_E_clISt17integral_constantIbLb1EES18_IbLb0EEEEDaS14_S15_EUlS14_E_NS1_11comp_targetILNS1_3genE8ELNS1_11target_archE1030ELNS1_3gpuE2ELNS1_3repE0EEENS1_30default_config_static_selectorELNS0_4arch9wavefront6targetE1EEEvT1_
                                        ; -- End function
	.section	.AMDGPU.csdata,"",@progbits
; Kernel info:
; codeLenInByte = 0
; NumSgprs: 6
; NumVgprs: 0
; NumAgprs: 0
; TotalNumVgprs: 0
; ScratchSize: 0
; MemoryBound: 0
; FloatMode: 240
; IeeeMode: 1
; LDSByteSize: 0 bytes/workgroup (compile time only)
; SGPRBlocks: 0
; VGPRBlocks: 0
; NumSGPRsForWavesPerEU: 6
; NumVGPRsForWavesPerEU: 1
; AccumOffset: 4
; Occupancy: 8
; WaveLimiterHint : 0
; COMPUTE_PGM_RSRC2:SCRATCH_EN: 0
; COMPUTE_PGM_RSRC2:USER_SGPR: 2
; COMPUTE_PGM_RSRC2:TRAP_HANDLER: 0
; COMPUTE_PGM_RSRC2:TGID_X_EN: 1
; COMPUTE_PGM_RSRC2:TGID_Y_EN: 0
; COMPUTE_PGM_RSRC2:TGID_Z_EN: 0
; COMPUTE_PGM_RSRC2:TIDIG_COMP_CNT: 0
; COMPUTE_PGM_RSRC3_GFX90A:ACCUM_OFFSET: 0
; COMPUTE_PGM_RSRC3_GFX90A:TG_SPLIT: 0
	.section	.text._ZN7rocprim17ROCPRIM_400000_NS6detail17trampoline_kernelINS0_14default_configENS1_25partition_config_selectorILNS1_17partition_subalgoE0EsNS0_10empty_typeEbEEZZNS1_14partition_implILS5_0ELb0ES3_jN6thrust23THRUST_200600_302600_NS6detail15normal_iteratorINSA_10device_ptrIsEEEEPS6_SG_NS0_5tupleIJNSA_16discard_iteratorINSA_11use_defaultEEESF_EEENSH_IJSG_SG_EEES6_PlJ7is_evenIsEEEE10hipError_tPvRmT3_T4_T5_T6_T7_T9_mT8_P12ihipStream_tbDpT10_ENKUlT_T0_E_clISt17integral_constantIbLb0EES18_IbLb1EEEEDaS14_S15_EUlS14_E_NS1_11comp_targetILNS1_3genE0ELNS1_11target_archE4294967295ELNS1_3gpuE0ELNS1_3repE0EEENS1_30default_config_static_selectorELNS0_4arch9wavefront6targetE1EEEvT1_,"axG",@progbits,_ZN7rocprim17ROCPRIM_400000_NS6detail17trampoline_kernelINS0_14default_configENS1_25partition_config_selectorILNS1_17partition_subalgoE0EsNS0_10empty_typeEbEEZZNS1_14partition_implILS5_0ELb0ES3_jN6thrust23THRUST_200600_302600_NS6detail15normal_iteratorINSA_10device_ptrIsEEEEPS6_SG_NS0_5tupleIJNSA_16discard_iteratorINSA_11use_defaultEEESF_EEENSH_IJSG_SG_EEES6_PlJ7is_evenIsEEEE10hipError_tPvRmT3_T4_T5_T6_T7_T9_mT8_P12ihipStream_tbDpT10_ENKUlT_T0_E_clISt17integral_constantIbLb0EES18_IbLb1EEEEDaS14_S15_EUlS14_E_NS1_11comp_targetILNS1_3genE0ELNS1_11target_archE4294967295ELNS1_3gpuE0ELNS1_3repE0EEENS1_30default_config_static_selectorELNS0_4arch9wavefront6targetE1EEEvT1_,comdat
	.protected	_ZN7rocprim17ROCPRIM_400000_NS6detail17trampoline_kernelINS0_14default_configENS1_25partition_config_selectorILNS1_17partition_subalgoE0EsNS0_10empty_typeEbEEZZNS1_14partition_implILS5_0ELb0ES3_jN6thrust23THRUST_200600_302600_NS6detail15normal_iteratorINSA_10device_ptrIsEEEEPS6_SG_NS0_5tupleIJNSA_16discard_iteratorINSA_11use_defaultEEESF_EEENSH_IJSG_SG_EEES6_PlJ7is_evenIsEEEE10hipError_tPvRmT3_T4_T5_T6_T7_T9_mT8_P12ihipStream_tbDpT10_ENKUlT_T0_E_clISt17integral_constantIbLb0EES18_IbLb1EEEEDaS14_S15_EUlS14_E_NS1_11comp_targetILNS1_3genE0ELNS1_11target_archE4294967295ELNS1_3gpuE0ELNS1_3repE0EEENS1_30default_config_static_selectorELNS0_4arch9wavefront6targetE1EEEvT1_ ; -- Begin function _ZN7rocprim17ROCPRIM_400000_NS6detail17trampoline_kernelINS0_14default_configENS1_25partition_config_selectorILNS1_17partition_subalgoE0EsNS0_10empty_typeEbEEZZNS1_14partition_implILS5_0ELb0ES3_jN6thrust23THRUST_200600_302600_NS6detail15normal_iteratorINSA_10device_ptrIsEEEEPS6_SG_NS0_5tupleIJNSA_16discard_iteratorINSA_11use_defaultEEESF_EEENSH_IJSG_SG_EEES6_PlJ7is_evenIsEEEE10hipError_tPvRmT3_T4_T5_T6_T7_T9_mT8_P12ihipStream_tbDpT10_ENKUlT_T0_E_clISt17integral_constantIbLb0EES18_IbLb1EEEEDaS14_S15_EUlS14_E_NS1_11comp_targetILNS1_3genE0ELNS1_11target_archE4294967295ELNS1_3gpuE0ELNS1_3repE0EEENS1_30default_config_static_selectorELNS0_4arch9wavefront6targetE1EEEvT1_
	.globl	_ZN7rocprim17ROCPRIM_400000_NS6detail17trampoline_kernelINS0_14default_configENS1_25partition_config_selectorILNS1_17partition_subalgoE0EsNS0_10empty_typeEbEEZZNS1_14partition_implILS5_0ELb0ES3_jN6thrust23THRUST_200600_302600_NS6detail15normal_iteratorINSA_10device_ptrIsEEEEPS6_SG_NS0_5tupleIJNSA_16discard_iteratorINSA_11use_defaultEEESF_EEENSH_IJSG_SG_EEES6_PlJ7is_evenIsEEEE10hipError_tPvRmT3_T4_T5_T6_T7_T9_mT8_P12ihipStream_tbDpT10_ENKUlT_T0_E_clISt17integral_constantIbLb0EES18_IbLb1EEEEDaS14_S15_EUlS14_E_NS1_11comp_targetILNS1_3genE0ELNS1_11target_archE4294967295ELNS1_3gpuE0ELNS1_3repE0EEENS1_30default_config_static_selectorELNS0_4arch9wavefront6targetE1EEEvT1_
	.p2align	8
	.type	_ZN7rocprim17ROCPRIM_400000_NS6detail17trampoline_kernelINS0_14default_configENS1_25partition_config_selectorILNS1_17partition_subalgoE0EsNS0_10empty_typeEbEEZZNS1_14partition_implILS5_0ELb0ES3_jN6thrust23THRUST_200600_302600_NS6detail15normal_iteratorINSA_10device_ptrIsEEEEPS6_SG_NS0_5tupleIJNSA_16discard_iteratorINSA_11use_defaultEEESF_EEENSH_IJSG_SG_EEES6_PlJ7is_evenIsEEEE10hipError_tPvRmT3_T4_T5_T6_T7_T9_mT8_P12ihipStream_tbDpT10_ENKUlT_T0_E_clISt17integral_constantIbLb0EES18_IbLb1EEEEDaS14_S15_EUlS14_E_NS1_11comp_targetILNS1_3genE0ELNS1_11target_archE4294967295ELNS1_3gpuE0ELNS1_3repE0EEENS1_30default_config_static_selectorELNS0_4arch9wavefront6targetE1EEEvT1_,@function
_ZN7rocprim17ROCPRIM_400000_NS6detail17trampoline_kernelINS0_14default_configENS1_25partition_config_selectorILNS1_17partition_subalgoE0EsNS0_10empty_typeEbEEZZNS1_14partition_implILS5_0ELb0ES3_jN6thrust23THRUST_200600_302600_NS6detail15normal_iteratorINSA_10device_ptrIsEEEEPS6_SG_NS0_5tupleIJNSA_16discard_iteratorINSA_11use_defaultEEESF_EEENSH_IJSG_SG_EEES6_PlJ7is_evenIsEEEE10hipError_tPvRmT3_T4_T5_T6_T7_T9_mT8_P12ihipStream_tbDpT10_ENKUlT_T0_E_clISt17integral_constantIbLb0EES18_IbLb1EEEEDaS14_S15_EUlS14_E_NS1_11comp_targetILNS1_3genE0ELNS1_11target_archE4294967295ELNS1_3gpuE0ELNS1_3repE0EEENS1_30default_config_static_selectorELNS0_4arch9wavefront6targetE1EEEvT1_: ; @_ZN7rocprim17ROCPRIM_400000_NS6detail17trampoline_kernelINS0_14default_configENS1_25partition_config_selectorILNS1_17partition_subalgoE0EsNS0_10empty_typeEbEEZZNS1_14partition_implILS5_0ELb0ES3_jN6thrust23THRUST_200600_302600_NS6detail15normal_iteratorINSA_10device_ptrIsEEEEPS6_SG_NS0_5tupleIJNSA_16discard_iteratorINSA_11use_defaultEEESF_EEENSH_IJSG_SG_EEES6_PlJ7is_evenIsEEEE10hipError_tPvRmT3_T4_T5_T6_T7_T9_mT8_P12ihipStream_tbDpT10_ENKUlT_T0_E_clISt17integral_constantIbLb0EES18_IbLb1EEEEDaS14_S15_EUlS14_E_NS1_11comp_targetILNS1_3genE0ELNS1_11target_archE4294967295ELNS1_3gpuE0ELNS1_3repE0EEENS1_30default_config_static_selectorELNS0_4arch9wavefront6targetE1EEEvT1_
; %bb.0:
	.section	.rodata,"a",@progbits
	.p2align	6, 0x0
	.amdhsa_kernel _ZN7rocprim17ROCPRIM_400000_NS6detail17trampoline_kernelINS0_14default_configENS1_25partition_config_selectorILNS1_17partition_subalgoE0EsNS0_10empty_typeEbEEZZNS1_14partition_implILS5_0ELb0ES3_jN6thrust23THRUST_200600_302600_NS6detail15normal_iteratorINSA_10device_ptrIsEEEEPS6_SG_NS0_5tupleIJNSA_16discard_iteratorINSA_11use_defaultEEESF_EEENSH_IJSG_SG_EEES6_PlJ7is_evenIsEEEE10hipError_tPvRmT3_T4_T5_T6_T7_T9_mT8_P12ihipStream_tbDpT10_ENKUlT_T0_E_clISt17integral_constantIbLb0EES18_IbLb1EEEEDaS14_S15_EUlS14_E_NS1_11comp_targetILNS1_3genE0ELNS1_11target_archE4294967295ELNS1_3gpuE0ELNS1_3repE0EEENS1_30default_config_static_selectorELNS0_4arch9wavefront6targetE1EEEvT1_
		.amdhsa_group_segment_fixed_size 0
		.amdhsa_private_segment_fixed_size 0
		.amdhsa_kernarg_size 144
		.amdhsa_user_sgpr_count 2
		.amdhsa_user_sgpr_dispatch_ptr 0
		.amdhsa_user_sgpr_queue_ptr 0
		.amdhsa_user_sgpr_kernarg_segment_ptr 1
		.amdhsa_user_sgpr_dispatch_id 0
		.amdhsa_user_sgpr_kernarg_preload_length 0
		.amdhsa_user_sgpr_kernarg_preload_offset 0
		.amdhsa_user_sgpr_private_segment_size 0
		.amdhsa_uses_dynamic_stack 0
		.amdhsa_enable_private_segment 0
		.amdhsa_system_sgpr_workgroup_id_x 1
		.amdhsa_system_sgpr_workgroup_id_y 0
		.amdhsa_system_sgpr_workgroup_id_z 0
		.amdhsa_system_sgpr_workgroup_info 0
		.amdhsa_system_vgpr_workitem_id 0
		.amdhsa_next_free_vgpr 1
		.amdhsa_next_free_sgpr 0
		.amdhsa_accum_offset 4
		.amdhsa_reserve_vcc 0
		.amdhsa_float_round_mode_32 0
		.amdhsa_float_round_mode_16_64 0
		.amdhsa_float_denorm_mode_32 3
		.amdhsa_float_denorm_mode_16_64 3
		.amdhsa_dx10_clamp 1
		.amdhsa_ieee_mode 1
		.amdhsa_fp16_overflow 0
		.amdhsa_tg_split 0
		.amdhsa_exception_fp_ieee_invalid_op 0
		.amdhsa_exception_fp_denorm_src 0
		.amdhsa_exception_fp_ieee_div_zero 0
		.amdhsa_exception_fp_ieee_overflow 0
		.amdhsa_exception_fp_ieee_underflow 0
		.amdhsa_exception_fp_ieee_inexact 0
		.amdhsa_exception_int_div_zero 0
	.end_amdhsa_kernel
	.section	.text._ZN7rocprim17ROCPRIM_400000_NS6detail17trampoline_kernelINS0_14default_configENS1_25partition_config_selectorILNS1_17partition_subalgoE0EsNS0_10empty_typeEbEEZZNS1_14partition_implILS5_0ELb0ES3_jN6thrust23THRUST_200600_302600_NS6detail15normal_iteratorINSA_10device_ptrIsEEEEPS6_SG_NS0_5tupleIJNSA_16discard_iteratorINSA_11use_defaultEEESF_EEENSH_IJSG_SG_EEES6_PlJ7is_evenIsEEEE10hipError_tPvRmT3_T4_T5_T6_T7_T9_mT8_P12ihipStream_tbDpT10_ENKUlT_T0_E_clISt17integral_constantIbLb0EES18_IbLb1EEEEDaS14_S15_EUlS14_E_NS1_11comp_targetILNS1_3genE0ELNS1_11target_archE4294967295ELNS1_3gpuE0ELNS1_3repE0EEENS1_30default_config_static_selectorELNS0_4arch9wavefront6targetE1EEEvT1_,"axG",@progbits,_ZN7rocprim17ROCPRIM_400000_NS6detail17trampoline_kernelINS0_14default_configENS1_25partition_config_selectorILNS1_17partition_subalgoE0EsNS0_10empty_typeEbEEZZNS1_14partition_implILS5_0ELb0ES3_jN6thrust23THRUST_200600_302600_NS6detail15normal_iteratorINSA_10device_ptrIsEEEEPS6_SG_NS0_5tupleIJNSA_16discard_iteratorINSA_11use_defaultEEESF_EEENSH_IJSG_SG_EEES6_PlJ7is_evenIsEEEE10hipError_tPvRmT3_T4_T5_T6_T7_T9_mT8_P12ihipStream_tbDpT10_ENKUlT_T0_E_clISt17integral_constantIbLb0EES18_IbLb1EEEEDaS14_S15_EUlS14_E_NS1_11comp_targetILNS1_3genE0ELNS1_11target_archE4294967295ELNS1_3gpuE0ELNS1_3repE0EEENS1_30default_config_static_selectorELNS0_4arch9wavefront6targetE1EEEvT1_,comdat
.Lfunc_end2867:
	.size	_ZN7rocprim17ROCPRIM_400000_NS6detail17trampoline_kernelINS0_14default_configENS1_25partition_config_selectorILNS1_17partition_subalgoE0EsNS0_10empty_typeEbEEZZNS1_14partition_implILS5_0ELb0ES3_jN6thrust23THRUST_200600_302600_NS6detail15normal_iteratorINSA_10device_ptrIsEEEEPS6_SG_NS0_5tupleIJNSA_16discard_iteratorINSA_11use_defaultEEESF_EEENSH_IJSG_SG_EEES6_PlJ7is_evenIsEEEE10hipError_tPvRmT3_T4_T5_T6_T7_T9_mT8_P12ihipStream_tbDpT10_ENKUlT_T0_E_clISt17integral_constantIbLb0EES18_IbLb1EEEEDaS14_S15_EUlS14_E_NS1_11comp_targetILNS1_3genE0ELNS1_11target_archE4294967295ELNS1_3gpuE0ELNS1_3repE0EEENS1_30default_config_static_selectorELNS0_4arch9wavefront6targetE1EEEvT1_, .Lfunc_end2867-_ZN7rocprim17ROCPRIM_400000_NS6detail17trampoline_kernelINS0_14default_configENS1_25partition_config_selectorILNS1_17partition_subalgoE0EsNS0_10empty_typeEbEEZZNS1_14partition_implILS5_0ELb0ES3_jN6thrust23THRUST_200600_302600_NS6detail15normal_iteratorINSA_10device_ptrIsEEEEPS6_SG_NS0_5tupleIJNSA_16discard_iteratorINSA_11use_defaultEEESF_EEENSH_IJSG_SG_EEES6_PlJ7is_evenIsEEEE10hipError_tPvRmT3_T4_T5_T6_T7_T9_mT8_P12ihipStream_tbDpT10_ENKUlT_T0_E_clISt17integral_constantIbLb0EES18_IbLb1EEEEDaS14_S15_EUlS14_E_NS1_11comp_targetILNS1_3genE0ELNS1_11target_archE4294967295ELNS1_3gpuE0ELNS1_3repE0EEENS1_30default_config_static_selectorELNS0_4arch9wavefront6targetE1EEEvT1_
                                        ; -- End function
	.section	.AMDGPU.csdata,"",@progbits
; Kernel info:
; codeLenInByte = 0
; NumSgprs: 6
; NumVgprs: 0
; NumAgprs: 0
; TotalNumVgprs: 0
; ScratchSize: 0
; MemoryBound: 0
; FloatMode: 240
; IeeeMode: 1
; LDSByteSize: 0 bytes/workgroup (compile time only)
; SGPRBlocks: 0
; VGPRBlocks: 0
; NumSGPRsForWavesPerEU: 6
; NumVGPRsForWavesPerEU: 1
; AccumOffset: 4
; Occupancy: 8
; WaveLimiterHint : 0
; COMPUTE_PGM_RSRC2:SCRATCH_EN: 0
; COMPUTE_PGM_RSRC2:USER_SGPR: 2
; COMPUTE_PGM_RSRC2:TRAP_HANDLER: 0
; COMPUTE_PGM_RSRC2:TGID_X_EN: 1
; COMPUTE_PGM_RSRC2:TGID_Y_EN: 0
; COMPUTE_PGM_RSRC2:TGID_Z_EN: 0
; COMPUTE_PGM_RSRC2:TIDIG_COMP_CNT: 0
; COMPUTE_PGM_RSRC3_GFX90A:ACCUM_OFFSET: 0
; COMPUTE_PGM_RSRC3_GFX90A:TG_SPLIT: 0
	.section	.text._ZN7rocprim17ROCPRIM_400000_NS6detail17trampoline_kernelINS0_14default_configENS1_25partition_config_selectorILNS1_17partition_subalgoE0EsNS0_10empty_typeEbEEZZNS1_14partition_implILS5_0ELb0ES3_jN6thrust23THRUST_200600_302600_NS6detail15normal_iteratorINSA_10device_ptrIsEEEEPS6_SG_NS0_5tupleIJNSA_16discard_iteratorINSA_11use_defaultEEESF_EEENSH_IJSG_SG_EEES6_PlJ7is_evenIsEEEE10hipError_tPvRmT3_T4_T5_T6_T7_T9_mT8_P12ihipStream_tbDpT10_ENKUlT_T0_E_clISt17integral_constantIbLb0EES18_IbLb1EEEEDaS14_S15_EUlS14_E_NS1_11comp_targetILNS1_3genE5ELNS1_11target_archE942ELNS1_3gpuE9ELNS1_3repE0EEENS1_30default_config_static_selectorELNS0_4arch9wavefront6targetE1EEEvT1_,"axG",@progbits,_ZN7rocprim17ROCPRIM_400000_NS6detail17trampoline_kernelINS0_14default_configENS1_25partition_config_selectorILNS1_17partition_subalgoE0EsNS0_10empty_typeEbEEZZNS1_14partition_implILS5_0ELb0ES3_jN6thrust23THRUST_200600_302600_NS6detail15normal_iteratorINSA_10device_ptrIsEEEEPS6_SG_NS0_5tupleIJNSA_16discard_iteratorINSA_11use_defaultEEESF_EEENSH_IJSG_SG_EEES6_PlJ7is_evenIsEEEE10hipError_tPvRmT3_T4_T5_T6_T7_T9_mT8_P12ihipStream_tbDpT10_ENKUlT_T0_E_clISt17integral_constantIbLb0EES18_IbLb1EEEEDaS14_S15_EUlS14_E_NS1_11comp_targetILNS1_3genE5ELNS1_11target_archE942ELNS1_3gpuE9ELNS1_3repE0EEENS1_30default_config_static_selectorELNS0_4arch9wavefront6targetE1EEEvT1_,comdat
	.protected	_ZN7rocprim17ROCPRIM_400000_NS6detail17trampoline_kernelINS0_14default_configENS1_25partition_config_selectorILNS1_17partition_subalgoE0EsNS0_10empty_typeEbEEZZNS1_14partition_implILS5_0ELb0ES3_jN6thrust23THRUST_200600_302600_NS6detail15normal_iteratorINSA_10device_ptrIsEEEEPS6_SG_NS0_5tupleIJNSA_16discard_iteratorINSA_11use_defaultEEESF_EEENSH_IJSG_SG_EEES6_PlJ7is_evenIsEEEE10hipError_tPvRmT3_T4_T5_T6_T7_T9_mT8_P12ihipStream_tbDpT10_ENKUlT_T0_E_clISt17integral_constantIbLb0EES18_IbLb1EEEEDaS14_S15_EUlS14_E_NS1_11comp_targetILNS1_3genE5ELNS1_11target_archE942ELNS1_3gpuE9ELNS1_3repE0EEENS1_30default_config_static_selectorELNS0_4arch9wavefront6targetE1EEEvT1_ ; -- Begin function _ZN7rocprim17ROCPRIM_400000_NS6detail17trampoline_kernelINS0_14default_configENS1_25partition_config_selectorILNS1_17partition_subalgoE0EsNS0_10empty_typeEbEEZZNS1_14partition_implILS5_0ELb0ES3_jN6thrust23THRUST_200600_302600_NS6detail15normal_iteratorINSA_10device_ptrIsEEEEPS6_SG_NS0_5tupleIJNSA_16discard_iteratorINSA_11use_defaultEEESF_EEENSH_IJSG_SG_EEES6_PlJ7is_evenIsEEEE10hipError_tPvRmT3_T4_T5_T6_T7_T9_mT8_P12ihipStream_tbDpT10_ENKUlT_T0_E_clISt17integral_constantIbLb0EES18_IbLb1EEEEDaS14_S15_EUlS14_E_NS1_11comp_targetILNS1_3genE5ELNS1_11target_archE942ELNS1_3gpuE9ELNS1_3repE0EEENS1_30default_config_static_selectorELNS0_4arch9wavefront6targetE1EEEvT1_
	.globl	_ZN7rocprim17ROCPRIM_400000_NS6detail17trampoline_kernelINS0_14default_configENS1_25partition_config_selectorILNS1_17partition_subalgoE0EsNS0_10empty_typeEbEEZZNS1_14partition_implILS5_0ELb0ES3_jN6thrust23THRUST_200600_302600_NS6detail15normal_iteratorINSA_10device_ptrIsEEEEPS6_SG_NS0_5tupleIJNSA_16discard_iteratorINSA_11use_defaultEEESF_EEENSH_IJSG_SG_EEES6_PlJ7is_evenIsEEEE10hipError_tPvRmT3_T4_T5_T6_T7_T9_mT8_P12ihipStream_tbDpT10_ENKUlT_T0_E_clISt17integral_constantIbLb0EES18_IbLb1EEEEDaS14_S15_EUlS14_E_NS1_11comp_targetILNS1_3genE5ELNS1_11target_archE942ELNS1_3gpuE9ELNS1_3repE0EEENS1_30default_config_static_selectorELNS0_4arch9wavefront6targetE1EEEvT1_
	.p2align	8
	.type	_ZN7rocprim17ROCPRIM_400000_NS6detail17trampoline_kernelINS0_14default_configENS1_25partition_config_selectorILNS1_17partition_subalgoE0EsNS0_10empty_typeEbEEZZNS1_14partition_implILS5_0ELb0ES3_jN6thrust23THRUST_200600_302600_NS6detail15normal_iteratorINSA_10device_ptrIsEEEEPS6_SG_NS0_5tupleIJNSA_16discard_iteratorINSA_11use_defaultEEESF_EEENSH_IJSG_SG_EEES6_PlJ7is_evenIsEEEE10hipError_tPvRmT3_T4_T5_T6_T7_T9_mT8_P12ihipStream_tbDpT10_ENKUlT_T0_E_clISt17integral_constantIbLb0EES18_IbLb1EEEEDaS14_S15_EUlS14_E_NS1_11comp_targetILNS1_3genE5ELNS1_11target_archE942ELNS1_3gpuE9ELNS1_3repE0EEENS1_30default_config_static_selectorELNS0_4arch9wavefront6targetE1EEEvT1_,@function
_ZN7rocprim17ROCPRIM_400000_NS6detail17trampoline_kernelINS0_14default_configENS1_25partition_config_selectorILNS1_17partition_subalgoE0EsNS0_10empty_typeEbEEZZNS1_14partition_implILS5_0ELb0ES3_jN6thrust23THRUST_200600_302600_NS6detail15normal_iteratorINSA_10device_ptrIsEEEEPS6_SG_NS0_5tupleIJNSA_16discard_iteratorINSA_11use_defaultEEESF_EEENSH_IJSG_SG_EEES6_PlJ7is_evenIsEEEE10hipError_tPvRmT3_T4_T5_T6_T7_T9_mT8_P12ihipStream_tbDpT10_ENKUlT_T0_E_clISt17integral_constantIbLb0EES18_IbLb1EEEEDaS14_S15_EUlS14_E_NS1_11comp_targetILNS1_3genE5ELNS1_11target_archE942ELNS1_3gpuE9ELNS1_3repE0EEENS1_30default_config_static_selectorELNS0_4arch9wavefront6targetE1EEEvT1_: ; @_ZN7rocprim17ROCPRIM_400000_NS6detail17trampoline_kernelINS0_14default_configENS1_25partition_config_selectorILNS1_17partition_subalgoE0EsNS0_10empty_typeEbEEZZNS1_14partition_implILS5_0ELb0ES3_jN6thrust23THRUST_200600_302600_NS6detail15normal_iteratorINSA_10device_ptrIsEEEEPS6_SG_NS0_5tupleIJNSA_16discard_iteratorINSA_11use_defaultEEESF_EEENSH_IJSG_SG_EEES6_PlJ7is_evenIsEEEE10hipError_tPvRmT3_T4_T5_T6_T7_T9_mT8_P12ihipStream_tbDpT10_ENKUlT_T0_E_clISt17integral_constantIbLb0EES18_IbLb1EEEEDaS14_S15_EUlS14_E_NS1_11comp_targetILNS1_3genE5ELNS1_11target_archE942ELNS1_3gpuE9ELNS1_3repE0EEENS1_30default_config_static_selectorELNS0_4arch9wavefront6targetE1EEEvT1_
; %bb.0:
	s_load_dwordx2 s[2:3], s[0:1], 0x60
	s_load_dwordx4 s[24:27], s[0:1], 0x50
	s_load_dwordx2 s[36:37], s[0:1], 0x70
	v_cmp_eq_u32_e64 s[20:21], 0, v0
	s_and_saveexec_b64 s[4:5], s[20:21]
	s_cbranch_execz .LBB2868_4
; %bb.1:
	s_mov_b64 s[8:9], exec
	v_mbcnt_lo_u32_b32 v1, s8, 0
	v_mbcnt_hi_u32_b32 v1, s9, v1
	v_cmp_eq_u32_e32 vcc, 0, v1
                                        ; implicit-def: $vgpr2
	s_and_saveexec_b64 s[6:7], vcc
	s_cbranch_execz .LBB2868_3
; %bb.2:
	s_load_dwordx2 s[10:11], s[0:1], 0x80
	s_bcnt1_i32_b64 s8, s[8:9]
	v_mov_b32_e32 v2, 0
	v_mov_b32_e32 v3, s8
	s_waitcnt lgkmcnt(0)
	global_atomic_add v2, v2, v3, s[10:11] sc0
.LBB2868_3:
	s_or_b64 exec, exec, s[6:7]
	s_waitcnt vmcnt(0)
	v_readfirstlane_b32 s6, v2
	v_mov_b32_e32 v2, 0
	s_nop 0
	v_add_u32_e32 v1, s6, v1
	ds_write_b32 v2, v1
.LBB2868_4:
	s_or_b64 exec, exec, s[4:5]
	v_mov_b32_e32 v3, 0
	s_load_dwordx4 s[28:31], s[0:1], 0x8
	s_load_dwordx2 s[34:35], s[0:1], 0x38
	s_load_dword s4, s[0:1], 0x78
	s_waitcnt lgkmcnt(0)
	s_barrier
	ds_read_b32 v1, v3
	s_waitcnt lgkmcnt(0)
	s_barrier
	global_load_dwordx2 v[4:5], v3, s[26:27]
	v_mov_b32_e32 v7, s3
	s_lshl_b64 s[0:1], s[30:31], 1
	s_movk_i32 s3, 0x3c00
	s_add_u32 s0, s28, s0
	v_mul_lo_u32 v2, v1, s3
	s_mul_i32 s3, s4, 0x3c00
	s_addc_u32 s1, s29, s1
	s_add_i32 s5, s4, -1
	s_add_i32 s4, s3, s30
	s_sub_i32 s33, s2, s4
	s_addk_i32 s33, 0x3c00
	v_mov_b32_e32 v6, s2
	s_add_u32 s2, s30, s3
	v_readfirstlane_b32 s38, v1
	s_addc_u32 s3, s31, 0
	s_cmp_eq_u32 s38, s5
	s_cselect_b64 s[22:23], -1, 0
	s_cmp_lg_u32 s38, s5
	v_cmp_lt_u64_e32 vcc, s[2:3], v[6:7]
	s_cselect_b64 s[2:3], -1, 0
	s_or_b64 s[4:5], vcc, s[2:3]
	v_lshlrev_b64 v[6:7], 1, v[2:3]
	v_lshl_add_u64 v[8:9], s[0:1], 0, v[6:7]
	s_mov_b64 s[0:1], -1
	s_and_b64 vcc, exec, s[4:5]
	v_lshlrev_b32_e32 v2, 1, v0
	s_cbranch_vccz .LBB2868_6
; %bb.5:
	v_lshl_add_u64 v[10:11], v[8:9], 0, v[2:3]
	v_add_co_u32_e32 v12, vcc, 0x1000, v10
	s_mov_b64 s[0:1], 0
	s_nop 0
	v_addc_co_u32_e32 v13, vcc, 0, v11, vcc
	flat_load_ushort v1, v[10:11]
	flat_load_ushort v3, v[10:11] offset:1024
	flat_load_ushort v16, v[10:11] offset:2048
	flat_load_ushort v17, v[10:11] offset:3072
	flat_load_ushort v18, v[12:13]
	flat_load_ushort v19, v[12:13] offset:1024
	flat_load_ushort v20, v[12:13] offset:2048
	flat_load_ushort v21, v[12:13] offset:3072
	v_add_co_u32_e32 v12, vcc, 0x2000, v10
	s_nop 1
	v_addc_co_u32_e32 v13, vcc, 0, v11, vcc
	v_add_co_u32_e32 v14, vcc, 0x3000, v10
	s_nop 1
	v_addc_co_u32_e32 v15, vcc, 0, v11, vcc
	flat_load_ushort v22, v[12:13]
	flat_load_ushort v23, v[12:13] offset:1024
	flat_load_ushort v24, v[12:13] offset:2048
	flat_load_ushort v25, v[12:13] offset:3072
	flat_load_ushort v26, v[14:15]
	flat_load_ushort v27, v[14:15] offset:1024
	flat_load_ushort v28, v[14:15] offset:2048
	flat_load_ushort v29, v[14:15] offset:3072
	v_add_co_u32_e32 v12, vcc, 0x4000, v10
	s_nop 1
	v_addc_co_u32_e32 v13, vcc, 0, v11, vcc
	v_add_co_u32_e32 v14, vcc, 0x5000, v10
	;; [unrolled: 14-line block ×3, first 2 shown]
	s_nop 1
	v_addc_co_u32_e32 v11, vcc, 0, v11, vcc
	flat_load_ushort v14, v[12:13]
	flat_load_ushort v15, v[12:13] offset:1024
	flat_load_ushort v38, v[12:13] offset:2048
	;; [unrolled: 1-line block ×3, first 2 shown]
	flat_load_ushort v40, v[10:11]
	flat_load_ushort v41, v[10:11] offset:1024
	s_waitcnt vmcnt(0) lgkmcnt(0)
	ds_write_b16 v2, v1
	ds_write_b16 v2, v3 offset:1024
	ds_write_b16 v2, v16 offset:2048
	;; [unrolled: 1-line block ×29, first 2 shown]
	s_waitcnt lgkmcnt(0)
	s_barrier
.LBB2868_6:
	s_andn2_b64 vcc, exec, s[0:1]
	v_cmp_gt_u32_e64 s[0:1], s33, v0
	s_cbranch_vccnz .LBB2868_68
; %bb.7:
                                        ; implicit-def: $vgpr1
	s_and_saveexec_b64 s[2:3], s[0:1]
	s_cbranch_execz .LBB2868_9
; %bb.8:
	v_mov_b32_e32 v3, 0
	v_lshl_add_u64 v[10:11], v[8:9], 0, v[2:3]
	flat_load_ushort v1, v[10:11]
.LBB2868_9:
	s_or_b64 exec, exec, s[2:3]
	v_or_b32_e32 v3, 0x200, v0
	v_cmp_gt_u32_e32 vcc, s33, v3
                                        ; implicit-def: $vgpr10
	s_and_saveexec_b64 s[0:1], vcc
	s_cbranch_execz .LBB2868_11
; %bb.10:
	v_mov_b32_e32 v3, 0
	v_lshl_add_u64 v[10:11], v[8:9], 0, v[2:3]
	flat_load_ushort v10, v[10:11] offset:1024
.LBB2868_11:
	s_or_b64 exec, exec, s[0:1]
	v_or_b32_e32 v3, 0x400, v0
	v_cmp_gt_u32_e32 vcc, s33, v3
                                        ; implicit-def: $vgpr11
	s_and_saveexec_b64 s[0:1], vcc
	s_cbranch_execz .LBB2868_13
; %bb.12:
	v_mov_b32_e32 v3, 0
	v_lshl_add_u64 v[12:13], v[8:9], 0, v[2:3]
	flat_load_ushort v11, v[12:13] offset:2048
.LBB2868_13:
	s_or_b64 exec, exec, s[0:1]
	v_or_b32_e32 v3, 0x600, v0
	v_cmp_gt_u32_e32 vcc, s33, v3
                                        ; implicit-def: $vgpr3
	s_and_saveexec_b64 s[0:1], vcc
	s_cbranch_execz .LBB2868_15
; %bb.14:
	v_mov_b32_e32 v3, 0
	v_lshl_add_u64 v[12:13], v[8:9], 0, v[2:3]
	flat_load_ushort v3, v[12:13] offset:3072
.LBB2868_15:
	s_or_b64 exec, exec, s[0:1]
	v_or_b32_e32 v13, 0x800, v0
	v_cmp_gt_u32_e32 vcc, s33, v13
                                        ; implicit-def: $vgpr12
	s_and_saveexec_b64 s[0:1], vcc
	s_cbranch_execz .LBB2868_17
; %bb.16:
	v_lshlrev_b32_e32 v12, 1, v13
	v_mov_b32_e32 v13, 0
	v_lshl_add_u64 v[12:13], v[8:9], 0, v[12:13]
	flat_load_ushort v12, v[12:13]
.LBB2868_17:
	s_or_b64 exec, exec, s[0:1]
	v_or_b32_e32 v14, 0xa00, v0
	v_cmp_gt_u32_e32 vcc, s33, v14
                                        ; implicit-def: $vgpr13
	s_and_saveexec_b64 s[0:1], vcc
	s_cbranch_execz .LBB2868_19
; %bb.18:
	v_lshlrev_b32_e32 v14, 1, v14
	v_mov_b32_e32 v15, 0
	v_lshl_add_u64 v[14:15], v[8:9], 0, v[14:15]
	flat_load_ushort v13, v[14:15]
.LBB2868_19:
	s_or_b64 exec, exec, s[0:1]
	v_or_b32_e32 v15, 0xc00, v0
	v_cmp_gt_u32_e32 vcc, s33, v15
                                        ; implicit-def: $vgpr14
	s_and_saveexec_b64 s[0:1], vcc
	s_cbranch_execz .LBB2868_21
; %bb.20:
	v_lshlrev_b32_e32 v14, 1, v15
	v_mov_b32_e32 v15, 0
	v_lshl_add_u64 v[14:15], v[8:9], 0, v[14:15]
	flat_load_ushort v14, v[14:15]
.LBB2868_21:
	s_or_b64 exec, exec, s[0:1]
	v_or_b32_e32 v16, 0xe00, v0
	v_cmp_gt_u32_e32 vcc, s33, v16
                                        ; implicit-def: $vgpr15
	s_and_saveexec_b64 s[0:1], vcc
	s_cbranch_execz .LBB2868_23
; %bb.22:
	v_lshlrev_b32_e32 v16, 1, v16
	v_mov_b32_e32 v17, 0
	v_lshl_add_u64 v[16:17], v[8:9], 0, v[16:17]
	flat_load_ushort v15, v[16:17]
.LBB2868_23:
	s_or_b64 exec, exec, s[0:1]
	v_or_b32_e32 v17, 0x1000, v0
	v_cmp_gt_u32_e32 vcc, s33, v17
                                        ; implicit-def: $vgpr16
	s_and_saveexec_b64 s[0:1], vcc
	s_cbranch_execz .LBB2868_25
; %bb.24:
	v_lshlrev_b32_e32 v16, 1, v17
	v_mov_b32_e32 v17, 0
	v_lshl_add_u64 v[16:17], v[8:9], 0, v[16:17]
	flat_load_ushort v16, v[16:17]
.LBB2868_25:
	s_or_b64 exec, exec, s[0:1]
	v_or_b32_e32 v18, 0x1200, v0
	v_cmp_gt_u32_e32 vcc, s33, v18
                                        ; implicit-def: $vgpr17
	s_and_saveexec_b64 s[0:1], vcc
	s_cbranch_execz .LBB2868_27
; %bb.26:
	v_lshlrev_b32_e32 v18, 1, v18
	v_mov_b32_e32 v19, 0
	v_lshl_add_u64 v[18:19], v[8:9], 0, v[18:19]
	flat_load_ushort v17, v[18:19]
.LBB2868_27:
	s_or_b64 exec, exec, s[0:1]
	v_or_b32_e32 v19, 0x1400, v0
	v_cmp_gt_u32_e32 vcc, s33, v19
                                        ; implicit-def: $vgpr18
	s_and_saveexec_b64 s[0:1], vcc
	s_cbranch_execz .LBB2868_29
; %bb.28:
	v_lshlrev_b32_e32 v18, 1, v19
	v_mov_b32_e32 v19, 0
	v_lshl_add_u64 v[18:19], v[8:9], 0, v[18:19]
	flat_load_ushort v18, v[18:19]
.LBB2868_29:
	s_or_b64 exec, exec, s[0:1]
	v_or_b32_e32 v20, 0x1600, v0
	v_cmp_gt_u32_e32 vcc, s33, v20
                                        ; implicit-def: $vgpr19
	s_and_saveexec_b64 s[0:1], vcc
	s_cbranch_execz .LBB2868_31
; %bb.30:
	v_lshlrev_b32_e32 v20, 1, v20
	v_mov_b32_e32 v21, 0
	v_lshl_add_u64 v[20:21], v[8:9], 0, v[20:21]
	flat_load_ushort v19, v[20:21]
.LBB2868_31:
	s_or_b64 exec, exec, s[0:1]
	v_or_b32_e32 v21, 0x1800, v0
	v_cmp_gt_u32_e32 vcc, s33, v21
                                        ; implicit-def: $vgpr20
	s_and_saveexec_b64 s[0:1], vcc
	s_cbranch_execz .LBB2868_33
; %bb.32:
	v_lshlrev_b32_e32 v20, 1, v21
	v_mov_b32_e32 v21, 0
	v_lshl_add_u64 v[20:21], v[8:9], 0, v[20:21]
	flat_load_ushort v20, v[20:21]
.LBB2868_33:
	s_or_b64 exec, exec, s[0:1]
	v_or_b32_e32 v22, 0x1a00, v0
	v_cmp_gt_u32_e32 vcc, s33, v22
                                        ; implicit-def: $vgpr21
	s_and_saveexec_b64 s[0:1], vcc
	s_cbranch_execz .LBB2868_35
; %bb.34:
	v_lshlrev_b32_e32 v22, 1, v22
	v_mov_b32_e32 v23, 0
	v_lshl_add_u64 v[22:23], v[8:9], 0, v[22:23]
	flat_load_ushort v21, v[22:23]
.LBB2868_35:
	s_or_b64 exec, exec, s[0:1]
	v_or_b32_e32 v23, 0x1c00, v0
	v_cmp_gt_u32_e32 vcc, s33, v23
                                        ; implicit-def: $vgpr22
	s_and_saveexec_b64 s[0:1], vcc
	s_cbranch_execz .LBB2868_37
; %bb.36:
	v_lshlrev_b32_e32 v22, 1, v23
	v_mov_b32_e32 v23, 0
	v_lshl_add_u64 v[22:23], v[8:9], 0, v[22:23]
	flat_load_ushort v22, v[22:23]
.LBB2868_37:
	s_or_b64 exec, exec, s[0:1]
	v_or_b32_e32 v24, 0x1e00, v0
	v_cmp_gt_u32_e32 vcc, s33, v24
                                        ; implicit-def: $vgpr23
	s_and_saveexec_b64 s[0:1], vcc
	s_cbranch_execz .LBB2868_39
; %bb.38:
	v_lshlrev_b32_e32 v24, 1, v24
	v_mov_b32_e32 v25, 0
	v_lshl_add_u64 v[24:25], v[8:9], 0, v[24:25]
	flat_load_ushort v23, v[24:25]
.LBB2868_39:
	s_or_b64 exec, exec, s[0:1]
	v_or_b32_e32 v25, 0x2000, v0
	v_cmp_gt_u32_e32 vcc, s33, v25
                                        ; implicit-def: $vgpr24
	s_and_saveexec_b64 s[0:1], vcc
	s_cbranch_execz .LBB2868_41
; %bb.40:
	v_lshlrev_b32_e32 v24, 1, v25
	v_mov_b32_e32 v25, 0
	v_lshl_add_u64 v[24:25], v[8:9], 0, v[24:25]
	flat_load_ushort v24, v[24:25]
.LBB2868_41:
	s_or_b64 exec, exec, s[0:1]
	v_or_b32_e32 v26, 0x2200, v0
	v_cmp_gt_u32_e32 vcc, s33, v26
                                        ; implicit-def: $vgpr25
	s_and_saveexec_b64 s[0:1], vcc
	s_cbranch_execz .LBB2868_43
; %bb.42:
	v_lshlrev_b32_e32 v26, 1, v26
	v_mov_b32_e32 v27, 0
	v_lshl_add_u64 v[26:27], v[8:9], 0, v[26:27]
	flat_load_ushort v25, v[26:27]
.LBB2868_43:
	s_or_b64 exec, exec, s[0:1]
	v_or_b32_e32 v27, 0x2400, v0
	v_cmp_gt_u32_e32 vcc, s33, v27
                                        ; implicit-def: $vgpr26
	s_and_saveexec_b64 s[0:1], vcc
	s_cbranch_execz .LBB2868_45
; %bb.44:
	v_lshlrev_b32_e32 v26, 1, v27
	v_mov_b32_e32 v27, 0
	v_lshl_add_u64 v[26:27], v[8:9], 0, v[26:27]
	flat_load_ushort v26, v[26:27]
.LBB2868_45:
	s_or_b64 exec, exec, s[0:1]
	v_or_b32_e32 v28, 0x2600, v0
	v_cmp_gt_u32_e32 vcc, s33, v28
                                        ; implicit-def: $vgpr27
	s_and_saveexec_b64 s[0:1], vcc
	s_cbranch_execz .LBB2868_47
; %bb.46:
	v_lshlrev_b32_e32 v28, 1, v28
	v_mov_b32_e32 v29, 0
	v_lshl_add_u64 v[28:29], v[8:9], 0, v[28:29]
	flat_load_ushort v27, v[28:29]
.LBB2868_47:
	s_or_b64 exec, exec, s[0:1]
	v_or_b32_e32 v29, 0x2800, v0
	v_cmp_gt_u32_e32 vcc, s33, v29
                                        ; implicit-def: $vgpr28
	s_and_saveexec_b64 s[0:1], vcc
	s_cbranch_execz .LBB2868_49
; %bb.48:
	v_lshlrev_b32_e32 v28, 1, v29
	v_mov_b32_e32 v29, 0
	v_lshl_add_u64 v[28:29], v[8:9], 0, v[28:29]
	flat_load_ushort v28, v[28:29]
.LBB2868_49:
	s_or_b64 exec, exec, s[0:1]
	v_or_b32_e32 v30, 0x2a00, v0
	v_cmp_gt_u32_e32 vcc, s33, v30
                                        ; implicit-def: $vgpr29
	s_and_saveexec_b64 s[0:1], vcc
	s_cbranch_execz .LBB2868_51
; %bb.50:
	v_lshlrev_b32_e32 v30, 1, v30
	v_mov_b32_e32 v31, 0
	v_lshl_add_u64 v[30:31], v[8:9], 0, v[30:31]
	flat_load_ushort v29, v[30:31]
.LBB2868_51:
	s_or_b64 exec, exec, s[0:1]
	v_or_b32_e32 v31, 0x2c00, v0
	v_cmp_gt_u32_e32 vcc, s33, v31
                                        ; implicit-def: $vgpr30
	s_and_saveexec_b64 s[0:1], vcc
	s_cbranch_execz .LBB2868_53
; %bb.52:
	v_lshlrev_b32_e32 v30, 1, v31
	v_mov_b32_e32 v31, 0
	v_lshl_add_u64 v[30:31], v[8:9], 0, v[30:31]
	flat_load_ushort v30, v[30:31]
.LBB2868_53:
	s_or_b64 exec, exec, s[0:1]
	v_or_b32_e32 v32, 0x2e00, v0
	v_cmp_gt_u32_e32 vcc, s33, v32
                                        ; implicit-def: $vgpr31
	s_and_saveexec_b64 s[0:1], vcc
	s_cbranch_execz .LBB2868_55
; %bb.54:
	v_lshlrev_b32_e32 v32, 1, v32
	v_mov_b32_e32 v33, 0
	v_lshl_add_u64 v[32:33], v[8:9], 0, v[32:33]
	flat_load_ushort v31, v[32:33]
.LBB2868_55:
	s_or_b64 exec, exec, s[0:1]
	v_or_b32_e32 v33, 0x3000, v0
	v_cmp_gt_u32_e32 vcc, s33, v33
                                        ; implicit-def: $vgpr32
	s_and_saveexec_b64 s[0:1], vcc
	s_cbranch_execz .LBB2868_57
; %bb.56:
	v_lshlrev_b32_e32 v32, 1, v33
	v_mov_b32_e32 v33, 0
	v_lshl_add_u64 v[32:33], v[8:9], 0, v[32:33]
	flat_load_ushort v32, v[32:33]
.LBB2868_57:
	s_or_b64 exec, exec, s[0:1]
	v_or_b32_e32 v34, 0x3200, v0
	v_cmp_gt_u32_e32 vcc, s33, v34
                                        ; implicit-def: $vgpr33
	s_and_saveexec_b64 s[0:1], vcc
	s_cbranch_execz .LBB2868_59
; %bb.58:
	v_lshlrev_b32_e32 v34, 1, v34
	v_mov_b32_e32 v35, 0
	v_lshl_add_u64 v[34:35], v[8:9], 0, v[34:35]
	flat_load_ushort v33, v[34:35]
.LBB2868_59:
	s_or_b64 exec, exec, s[0:1]
	v_or_b32_e32 v35, 0x3400, v0
	v_cmp_gt_u32_e32 vcc, s33, v35
                                        ; implicit-def: $vgpr34
	s_and_saveexec_b64 s[0:1], vcc
	s_cbranch_execz .LBB2868_61
; %bb.60:
	v_lshlrev_b32_e32 v34, 1, v35
	v_mov_b32_e32 v35, 0
	v_lshl_add_u64 v[34:35], v[8:9], 0, v[34:35]
	flat_load_ushort v34, v[34:35]
.LBB2868_61:
	s_or_b64 exec, exec, s[0:1]
	v_or_b32_e32 v36, 0x3600, v0
	v_cmp_gt_u32_e32 vcc, s33, v36
                                        ; implicit-def: $vgpr35
	s_and_saveexec_b64 s[0:1], vcc
	s_cbranch_execz .LBB2868_63
; %bb.62:
	v_lshlrev_b32_e32 v36, 1, v36
	v_mov_b32_e32 v37, 0
	v_lshl_add_u64 v[36:37], v[8:9], 0, v[36:37]
	flat_load_ushort v35, v[36:37]
.LBB2868_63:
	s_or_b64 exec, exec, s[0:1]
	v_or_b32_e32 v37, 0x3800, v0
	v_cmp_gt_u32_e32 vcc, s33, v37
                                        ; implicit-def: $vgpr36
	s_and_saveexec_b64 s[0:1], vcc
	s_cbranch_execz .LBB2868_65
; %bb.64:
	v_lshlrev_b32_e32 v36, 1, v37
	v_mov_b32_e32 v37, 0
	v_lshl_add_u64 v[36:37], v[8:9], 0, v[36:37]
	flat_load_ushort v36, v[36:37]
.LBB2868_65:
	s_or_b64 exec, exec, s[0:1]
	v_or_b32_e32 v38, 0x3a00, v0
	v_cmp_gt_u32_e32 vcc, s33, v38
                                        ; implicit-def: $vgpr37
	s_and_saveexec_b64 s[0:1], vcc
	s_cbranch_execz .LBB2868_67
; %bb.66:
	v_lshlrev_b32_e32 v38, 1, v38
	v_mov_b32_e32 v39, 0
	v_lshl_add_u64 v[8:9], v[8:9], 0, v[38:39]
	flat_load_ushort v37, v[8:9]
.LBB2868_67:
	s_or_b64 exec, exec, s[0:1]
	s_waitcnt vmcnt(0) lgkmcnt(0)
	ds_write_b16 v2, v1
	ds_write_b16 v2, v10 offset:1024
	ds_write_b16 v2, v11 offset:2048
	;; [unrolled: 1-line block ×29, first 2 shown]
	s_waitcnt lgkmcnt(0)
	s_barrier
.LBB2868_68:
	v_mul_u32_u24_e32 v44, 30, v0
	v_lshlrev_b32_e32 v8, 1, v44
	ds_read_b32 v3, v8 offset:56
	ds_read2_b32 v[10:11], v8 offset0:12 offset1:13
	ds_read2_b32 v[12:13], v8 offset0:10 offset1:11
	;; [unrolled: 1-line block ×3, first 2 shown]
	ds_read2_b32 v[22:23], v8 offset1:1
	ds_read2_b32 v[20:21], v8 offset0:2 offset1:3
	ds_read2_b32 v[18:19], v8 offset0:4 offset1:5
	;; [unrolled: 1-line block ×3, first 2 shown]
	s_waitcnt lgkmcnt(7)
	v_lshrrev_b32_e32 v1, 16, v3
	s_waitcnt lgkmcnt(6)
	v_lshrrev_b32_e32 v33, 16, v10
	v_lshrrev_b32_e32 v32, 16, v11
	s_waitcnt lgkmcnt(5)
	v_lshrrev_b32_e32 v35, 16, v12
	;; [unrolled: 3-line block ×6, first 2 shown]
	v_lshrrev_b32_e32 v38, 16, v17
	v_lshrrev_b32_e32 v37, 16, v14
	;; [unrolled: 1-line block ×3, first 2 shown]
	v_cndmask_b32_e64 v8, 0, 1, s[4:5]
	v_cmp_ne_u32_e64 s[2:3], 1, v8
	s_andn2_b64 vcc, exec, s[4:5]
	v_xor_b32_e32 v96, -1, v22
	v_xor_b32_e32 v95, -1, v46
	;; [unrolled: 1-line block ×30, first 2 shown]
	s_barrier
	s_cbranch_vccnz .LBB2868_70
; %bb.69:
	v_and_b32_e32 v76, 1, v96
	v_and_b32_e32 v75, 1, v95
	;; [unrolled: 1-line block ×30, first 2 shown]
	s_cbranch_execz .LBB2868_71
	s_branch .LBB2868_72
.LBB2868_70:
                                        ; implicit-def: $vgpr76
                                        ; implicit-def: $vgpr75
                                        ; implicit-def: $vgpr74
                                        ; implicit-def: $vgpr73
                                        ; implicit-def: $vgpr72
                                        ; implicit-def: $vgpr71
                                        ; implicit-def: $vgpr70
                                        ; implicit-def: $vgpr69
                                        ; implicit-def: $vgpr68
                                        ; implicit-def: $vgpr67
                                        ; implicit-def: $vgpr66
                                        ; implicit-def: $vgpr65
                                        ; implicit-def: $vgpr64
                                        ; implicit-def: $vgpr63
                                        ; implicit-def: $vgpr62
                                        ; implicit-def: $vgpr61
                                        ; implicit-def: $vgpr60
                                        ; implicit-def: $vgpr59
                                        ; implicit-def: $vgpr58
                                        ; implicit-def: $vgpr57
                                        ; implicit-def: $vgpr56
                                        ; implicit-def: $vgpr55
                                        ; implicit-def: $vgpr54
                                        ; implicit-def: $vgpr53
                                        ; implicit-def: $vgpr52
                                        ; implicit-def: $vgpr51
                                        ; implicit-def: $vgpr50
                                        ; implicit-def: $vgpr49
                                        ; implicit-def: $vgpr47
                                        ; implicit-def: $vgpr48
.LBB2868_71:
	v_or_b32_e32 v56, 1, v44
	v_cmp_gt_u32_e32 vcc, s33, v44
	v_add_u32_e32 v57, 2, v44
	v_add_u32_e32 v58, 3, v44
	v_cndmask_b32_e64 v66, 0, 1, vcc
	v_cmp_gt_u32_e32 vcc, s33, v56
	v_add_u32_e32 v59, 4, v44
	v_add_u32_e32 v60, 5, v44
	v_cndmask_b32_e64 v56, 0, 1, vcc
	v_cmp_gt_u32_e32 vcc, s33, v57
	v_and_b32_e32 v75, v56, v95
	v_add_u32_e32 v61, 6, v44
	v_cndmask_b32_e64 v56, 0, 1, vcc
	v_cmp_gt_u32_e32 vcc, s33, v58
	v_and_b32_e32 v74, v56, v94
	;; [unrolled: 4-line block ×9, first 2 shown]
	v_and_b32_e32 v76, v66, v96
	v_cndmask_b32_e64 v56, 0, 1, vcc
	v_cmp_gt_u32_e32 vcc, s33, v97
	v_and_b32_e32 v66, v56, v86
	v_add_u32_e32 v100, 14, v44
	v_cndmask_b32_e64 v56, 0, 1, vcc
	v_cmp_gt_u32_e32 vcc, s33, v98
	v_and_b32_e32 v65, v56, v85
	v_add_u32_e32 v101, 15, v44
	;; [unrolled: 4-line block ×16, first 2 shown]
	v_cndmask_b32_e64 v26, 0, 1, vcc
	v_cmp_gt_u32_e32 vcc, s33, v49
	v_and_b32_e32 v50, v26, v25
	s_nop 0
	v_cndmask_b32_e64 v25, 0, 1, vcc
	v_cmp_gt_u32_e32 vcc, s33, v47
	v_and_b32_e32 v49, v25, v24
	s_nop 0
	;; [unrolled: 4-line block ×3, first 2 shown]
	v_cndmask_b32_e64 v9, 0, 1, vcc
	v_and_b32_e32 v48, v9, v8
.LBB2868_72:
	v_and_b32_e32 v103, 0xff, v50
	v_and_b32_e32 v104, 0xff, v49
	v_add_u32_sdwa v8, v47, v48 dst_sel:DWORD dst_unused:UNUSED_PAD src0_sel:BYTE_0 src1_sel:BYTE_0
	v_and_b32_e32 v101, 0xff, v52
	v_and_b32_e32 v102, 0xff, v51
	v_add3_u32 v8, v8, v104, v103
	v_and_b32_e32 v99, 0xff, v54
	v_and_b32_e32 v100, 0xff, v53
	v_add3_u32 v8, v8, v102, v101
	;; [unrolled: 3-line block ×13, first 2 shown]
	v_add3_u32 v107, v8, v78, v77
	v_mbcnt_lo_u32_b32 v8, -1, 0
	v_mbcnt_hi_u32_b32 v105, -1, v8
	v_and_b32_e32 v8, 15, v105
	v_cmp_eq_u32_e64 s[16:17], 0, v8
	v_cmp_lt_u32_e64 s[14:15], 1, v8
	v_cmp_lt_u32_e64 s[12:13], 3, v8
	;; [unrolled: 1-line block ×3, first 2 shown]
	v_and_b32_e32 v8, 16, v105
	v_cmp_eq_u32_e64 s[8:9], 0, v8
	v_or_b32_e32 v8, 63, v0
	s_cmp_lg_u32 s38, 0
	v_cmp_lt_u32_e64 s[4:5], 31, v105
	v_lshrrev_b32_e32 v106, 6, v0
	v_cmp_eq_u32_e64 s[6:7], v8, v0
	s_cbranch_scc0 .LBB2868_99
; %bb.73:
	v_mov_b32_dpp v8, v107 row_shr:1 row_mask:0xf bank_mask:0xf
	v_cndmask_b32_e64 v8, v8, 0, s[16:17]
	v_add_u32_e32 v8, v8, v107
	s_nop 1
	v_mov_b32_dpp v9, v8 row_shr:2 row_mask:0xf bank_mask:0xf
	v_cndmask_b32_e64 v9, 0, v9, s[14:15]
	v_add_u32_e32 v8, v8, v9
	s_nop 1
	;; [unrolled: 4-line block ×4, first 2 shown]
	v_mov_b32_dpp v9, v8 row_bcast:15 row_mask:0xf bank_mask:0xf
	v_cndmask_b32_e64 v9, v9, 0, s[8:9]
	v_add_u32_e32 v8, v8, v9
	s_nop 1
	v_mov_b32_dpp v9, v8 row_bcast:31 row_mask:0xf bank_mask:0xf
	v_cndmask_b32_e64 v9, 0, v9, s[4:5]
	v_add_u32_e32 v8, v8, v9
	s_and_saveexec_b64 s[0:1], s[6:7]
	s_cbranch_execz .LBB2868_75
; %bb.74:
	v_lshlrev_b32_e32 v9, 2, v106
	ds_write_b32 v9, v8
.LBB2868_75:
	s_or_b64 exec, exec, s[0:1]
	v_cmp_gt_u32_e32 vcc, 8, v0
	s_waitcnt lgkmcnt(0)
	s_barrier
	s_and_saveexec_b64 s[0:1], vcc
	s_cbranch_execz .LBB2868_77
; %bb.76:
	v_lshlrev_b32_e32 v9, 2, v0
	ds_read_b32 v24, v9
	v_and_b32_e32 v25, 7, v105
	v_cmp_ne_u32_e32 vcc, 0, v25
	s_waitcnt lgkmcnt(0)
	v_mov_b32_dpp v26, v24 row_shr:1 row_mask:0xf bank_mask:0xf
	v_cndmask_b32_e32 v26, 0, v26, vcc
	v_add_u32_e32 v24, v26, v24
	v_cmp_lt_u32_e32 vcc, 1, v25
	s_nop 0
	v_mov_b32_dpp v26, v24 row_shr:2 row_mask:0xf bank_mask:0xf
	v_cndmask_b32_e32 v26, 0, v26, vcc
	v_add_u32_e32 v24, v24, v26
	v_cmp_lt_u32_e32 vcc, 3, v25
	s_nop 0
	v_mov_b32_dpp v26, v24 row_shr:4 row_mask:0xf bank_mask:0xf
	v_cndmask_b32_e32 v25, 0, v26, vcc
	v_add_u32_e32 v24, v24, v25
	ds_write_b32 v9, v24
.LBB2868_77:
	s_or_b64 exec, exec, s[0:1]
	v_cmp_gt_u32_e32 vcc, 64, v0
	v_cmp_lt_u32_e64 s[0:1], 63, v0
	s_waitcnt lgkmcnt(0)
	s_barrier
	s_waitcnt lgkmcnt(0)
                                        ; implicit-def: $vgpr108
	s_and_saveexec_b64 s[18:19], s[0:1]
	s_cbranch_execz .LBB2868_79
; %bb.78:
	v_lshl_add_u32 v9, v106, 2, -4
	ds_read_b32 v108, v9
	s_waitcnt lgkmcnt(0)
	v_add_u32_e32 v8, v108, v8
.LBB2868_79:
	s_or_b64 exec, exec, s[18:19]
	v_add_u32_e32 v9, -1, v105
	v_and_b32_e32 v24, 64, v105
	v_cmp_lt_i32_e64 s[0:1], v9, v24
	v_cmp_eq_u32_e64 s[18:19], 0, v105
	s_nop 0
	v_cndmask_b32_e64 v9, v9, v105, s[0:1]
	v_lshlrev_b32_e32 v9, 2, v9
	ds_bpermute_b32 v109, v9, v8
	s_and_saveexec_b64 s[0:1], vcc
	s_cbranch_execz .LBB2868_98
; %bb.80:
	v_mov_b32_e32 v29, 0
	ds_read_b32 v8, v29 offset:28
	s_and_saveexec_b64 s[26:27], s[18:19]
	s_cbranch_execz .LBB2868_82
; %bb.81:
	s_add_i32 s28, s38, 64
	s_mov_b32 s29, 0
	s_lshl_b64 s[28:29], s[28:29], 3
	s_add_u32 s28, s36, s28
	v_mov_b32_e32 v9, 1
	s_addc_u32 s29, s37, s29
	s_waitcnt lgkmcnt(0)
	global_store_dwordx2 v29, v[8:9], s[28:29] sc1
.LBB2868_82:
	s_or_b64 exec, exec, s[26:27]
	v_xad_u32 v24, v105, -1, s38
	v_add_u32_e32 v28, 64, v24
	v_lshl_add_u64 v[30:31], v[28:29], 3, s[36:37]
	global_load_dwordx2 v[26:27], v[30:31], off sc1
	s_waitcnt vmcnt(0)
	v_cmp_eq_u16_sdwa s[28:29], v27, v29 src0_sel:BYTE_0 src1_sel:DWORD
	s_and_saveexec_b64 s[26:27], s[28:29]
	s_cbranch_execz .LBB2868_86
; %bb.83:
	s_mov_b64 s[28:29], 0
	v_mov_b32_e32 v9, 0
.LBB2868_84:                            ; =>This Inner Loop Header: Depth=1
	global_load_dwordx2 v[26:27], v[30:31], off sc1
	s_waitcnt vmcnt(0)
	v_cmp_ne_u16_sdwa s[40:41], v27, v9 src0_sel:BYTE_0 src1_sel:DWORD
	s_or_b64 s[28:29], s[40:41], s[28:29]
	s_andn2_b64 exec, exec, s[28:29]
	s_cbranch_execnz .LBB2868_84
; %bb.85:
	s_or_b64 exec, exec, s[28:29]
.LBB2868_86:
	s_or_b64 exec, exec, s[26:27]
	v_and_b32_e32 v111, 63, v105
	v_mov_b32_e32 v110, 2
	v_cmp_ne_u32_e32 vcc, 63, v111
	v_cmp_eq_u16_sdwa s[26:27], v27, v110 src0_sel:BYTE_0 src1_sel:DWORD
	v_lshlrev_b64 v[28:29], v105, -1
	v_addc_co_u32_e32 v30, vcc, 0, v105, vcc
	v_and_b32_e32 v9, s27, v29
	v_lshlrev_b32_e32 v112, 2, v30
	v_or_b32_e32 v9, 0x80000000, v9
	ds_bpermute_b32 v30, v112, v26
	v_and_b32_e32 v25, s26, v28
	v_ffbl_b32_e32 v9, v9
	v_add_u32_e32 v9, 32, v9
	v_ffbl_b32_e32 v25, v25
	v_min_u32_e32 v9, v25, v9
	v_cmp_lt_u32_e32 vcc, v111, v9
	v_add_u32_e32 v114, 2, v111
	v_add_u32_e32 v116, 4, v111
	s_waitcnt lgkmcnt(0)
	v_cndmask_b32_e32 v25, 0, v30, vcc
	v_cmp_gt_u32_e32 vcc, 62, v111
	v_add_u32_e32 v25, v25, v26
	v_add_u32_e32 v118, 8, v111
	v_cndmask_b32_e64 v26, 0, 1, vcc
	v_lshlrev_b32_e32 v26, 1, v26
	v_add_lshl_u32 v113, v26, v105, 2
	ds_bpermute_b32 v26, v113, v25
	v_cmp_le_u32_e32 vcc, v114, v9
	v_add_u32_e32 v120, 16, v111
	v_add_u32_e32 v122, 32, v111
	s_waitcnt lgkmcnt(0)
	v_cndmask_b32_e32 v26, 0, v26, vcc
	v_cmp_gt_u32_e32 vcc, 60, v111
	v_add_u32_e32 v25, v25, v26
	s_nop 0
	v_cndmask_b32_e64 v26, 0, 1, vcc
	v_lshlrev_b32_e32 v26, 2, v26
	v_add_lshl_u32 v115, v26, v105, 2
	ds_bpermute_b32 v26, v115, v25
	v_cmp_le_u32_e32 vcc, v116, v9
	s_waitcnt lgkmcnt(0)
	s_nop 0
	v_cndmask_b32_e32 v26, 0, v26, vcc
	v_cmp_gt_u32_e32 vcc, 56, v111
	v_add_u32_e32 v25, v25, v26
	s_nop 0
	v_cndmask_b32_e64 v26, 0, 1, vcc
	v_lshlrev_b32_e32 v26, 3, v26
	v_add_lshl_u32 v117, v26, v105, 2
	ds_bpermute_b32 v26, v117, v25
	v_cmp_le_u32_e32 vcc, v118, v9
	s_waitcnt lgkmcnt(0)
	s_nop 0
	v_cndmask_b32_e32 v26, 0, v26, vcc
	v_cmp_gt_u32_e32 vcc, 48, v111
	v_add_u32_e32 v25, v25, v26
	s_nop 0
	v_cndmask_b32_e64 v26, 0, 1, vcc
	v_lshlrev_b32_e32 v26, 4, v26
	v_add_lshl_u32 v119, v26, v105, 2
	ds_bpermute_b32 v26, v119, v25
	v_cmp_le_u32_e32 vcc, v120, v9
	s_waitcnt lgkmcnt(0)
	s_nop 0
	v_cndmask_b32_e32 v26, 0, v26, vcc
	v_cmp_gt_u32_e32 vcc, 32, v111
	v_add_u32_e32 v25, v25, v26
	s_nop 0
	v_cndmask_b32_e64 v26, 0, 1, vcc
	v_lshlrev_b32_e32 v26, 5, v26
	v_add_lshl_u32 v121, v26, v105, 2
	ds_bpermute_b32 v26, v121, v25
	v_cmp_le_u32_e32 vcc, v122, v9
	s_waitcnt lgkmcnt(0)
	s_nop 0
	v_cndmask_b32_e32 v9, 0, v26, vcc
	v_add_u32_e32 v26, v25, v9
	v_mov_b32_e32 v25, 0
	s_branch .LBB2868_88
.LBB2868_87:                            ;   in Loop: Header=BB2868_88 Depth=1
	s_or_b64 exec, exec, s[26:27]
	v_cmp_eq_u16_sdwa s[26:27], v27, v110 src0_sel:BYTE_0 src1_sel:DWORD
	ds_bpermute_b32 v123, v112, v26
	v_subrev_u32_e32 v24, 64, v24
	v_and_b32_e32 v30, s27, v29
	v_or_b32_e32 v30, 0x80000000, v30
	v_and_b32_e32 v31, s26, v28
	v_ffbl_b32_e32 v30, v30
	v_add_u32_e32 v30, 32, v30
	v_ffbl_b32_e32 v31, v31
	v_min_u32_e32 v30, v31, v30
	v_cmp_lt_u32_e32 vcc, v111, v30
	s_waitcnt lgkmcnt(0)
	s_nop 0
	v_cndmask_b32_e32 v31, 0, v123, vcc
	v_add_u32_e32 v26, v31, v26
	ds_bpermute_b32 v31, v113, v26
	v_cmp_le_u32_e32 vcc, v114, v30
	s_waitcnt lgkmcnt(0)
	s_nop 0
	v_cndmask_b32_e32 v31, 0, v31, vcc
	v_add_u32_e32 v26, v26, v31
	ds_bpermute_b32 v31, v115, v26
	v_cmp_le_u32_e32 vcc, v116, v30
	;; [unrolled: 6-line block ×5, first 2 shown]
	s_waitcnt lgkmcnt(0)
	s_nop 0
	v_cndmask_b32_e32 v30, 0, v31, vcc
	v_add3_u32 v26, v30, v9, v26
.LBB2868_88:                            ; =>This Loop Header: Depth=1
                                        ;     Child Loop BB2868_91 Depth 2
	v_cmp_ne_u16_sdwa s[26:27], v27, v110 src0_sel:BYTE_0 src1_sel:DWORD
	s_nop 1
	v_cndmask_b32_e64 v9, 0, 1, s[26:27]
	;;#ASMSTART
	;;#ASMEND
	s_nop 0
	v_cmp_ne_u32_e32 vcc, 0, v9
	s_cmp_lg_u64 vcc, exec
	v_mov_b32_e32 v9, v26
	s_cbranch_scc1 .LBB2868_93
; %bb.89:                               ;   in Loop: Header=BB2868_88 Depth=1
	v_lshl_add_u64 v[30:31], v[24:25], 3, s[36:37]
	global_load_dwordx2 v[26:27], v[30:31], off sc1
	s_waitcnt vmcnt(0)
	v_cmp_eq_u16_sdwa s[28:29], v27, v25 src0_sel:BYTE_0 src1_sel:DWORD
	s_and_saveexec_b64 s[26:27], s[28:29]
	s_cbranch_execz .LBB2868_87
; %bb.90:                               ;   in Loop: Header=BB2868_88 Depth=1
	s_mov_b64 s[28:29], 0
.LBB2868_91:                            ;   Parent Loop BB2868_88 Depth=1
                                        ; =>  This Inner Loop Header: Depth=2
	global_load_dwordx2 v[26:27], v[30:31], off sc1
	s_waitcnt vmcnt(0)
	v_cmp_ne_u16_sdwa s[40:41], v27, v25 src0_sel:BYTE_0 src1_sel:DWORD
	s_or_b64 s[28:29], s[40:41], s[28:29]
	s_andn2_b64 exec, exec, s[28:29]
	s_cbranch_execnz .LBB2868_91
; %bb.92:                               ;   in Loop: Header=BB2868_88 Depth=1
	s_or_b64 exec, exec, s[28:29]
	s_branch .LBB2868_87
.LBB2868_93:                            ;   in Loop: Header=BB2868_88 Depth=1
                                        ; implicit-def: $vgpr26
                                        ; implicit-def: $vgpr27
	s_cbranch_execz .LBB2868_88
; %bb.94:
	s_and_saveexec_b64 s[26:27], s[18:19]
	s_cbranch_execz .LBB2868_96
; %bb.95:
	s_add_i32 s28, s38, 64
	s_mov_b32 s29, 0
	s_lshl_b64 s[28:29], s[28:29], 3
	s_add_u32 s28, s36, s28
	v_add_u32_e32 v24, v9, v8
	v_mov_b32_e32 v25, 2
	s_addc_u32 s29, s37, s29
	v_mov_b32_e32 v26, 0
	global_store_dwordx2 v26, v[24:25], s[28:29] sc1
	ds_write_b64 v26, v[8:9] offset:30720
.LBB2868_96:
	s_or_b64 exec, exec, s[26:27]
	s_and_b64 exec, exec, s[20:21]
	s_cbranch_execz .LBB2868_98
; %bb.97:
	v_mov_b32_e32 v8, 0
	ds_write_b32 v8, v9 offset:28
.LBB2868_98:
	s_or_b64 exec, exec, s[0:1]
	v_mov_b32_e32 v8, 0
	s_waitcnt lgkmcnt(0)
	s_barrier
	ds_read_b32 v24, v8 offset:28
	s_waitcnt lgkmcnt(0)
	s_barrier
	ds_read_b64 v[8:9], v8 offset:30720
	v_cndmask_b32_e64 v25, v109, v108, s[18:19]
	v_cndmask_b32_e64 v25, v25, 0, s[20:21]
	v_add_u32_e32 v25, v24, v25
	s_waitcnt lgkmcnt(0)
	v_mov_b32_e32 v24, v9
	s_branch .LBB2868_109
.LBB2868_99:
                                        ; implicit-def: $vgpr24
                                        ; implicit-def: $vgpr8
                                        ; implicit-def: $vgpr25
	s_cbranch_execz .LBB2868_109
; %bb.100:
	s_nop 0
	v_mov_b32_dpp v8, v107 row_shr:1 row_mask:0xf bank_mask:0xf
	v_cndmask_b32_e64 v8, v8, 0, s[16:17]
	v_add_u32_e32 v8, v8, v107
	s_nop 1
	v_mov_b32_dpp v9, v8 row_shr:2 row_mask:0xf bank_mask:0xf
	v_cndmask_b32_e64 v9, 0, v9, s[14:15]
	v_add_u32_e32 v8, v8, v9
	;; [unrolled: 4-line block ×4, first 2 shown]
	s_nop 1
	v_mov_b32_dpp v9, v8 row_bcast:15 row_mask:0xf bank_mask:0xf
	v_cndmask_b32_e64 v9, v9, 0, s[8:9]
	v_add_u32_e32 v8, v8, v9
	s_nop 1
	v_mov_b32_dpp v9, v8 row_bcast:31 row_mask:0xf bank_mask:0xf
	v_cndmask_b32_e64 v9, 0, v9, s[4:5]
	v_add_u32_e32 v8, v8, v9
	s_and_saveexec_b64 s[0:1], s[6:7]
	s_cbranch_execz .LBB2868_102
; %bb.101:
	v_lshlrev_b32_e32 v9, 2, v106
	ds_write_b32 v9, v8
.LBB2868_102:
	s_or_b64 exec, exec, s[0:1]
	v_cmp_gt_u32_e32 vcc, 8, v0
	s_waitcnt lgkmcnt(0)
	s_barrier
	s_and_saveexec_b64 s[0:1], vcc
	s_cbranch_execz .LBB2868_104
; %bb.103:
	v_lshlrev_b32_e32 v9, 2, v0
	ds_read_b32 v24, v9
	v_and_b32_e32 v25, 7, v105
	v_cmp_ne_u32_e32 vcc, 0, v25
	s_waitcnt lgkmcnt(0)
	v_mov_b32_dpp v26, v24 row_shr:1 row_mask:0xf bank_mask:0xf
	v_cndmask_b32_e32 v26, 0, v26, vcc
	v_add_u32_e32 v24, v26, v24
	v_cmp_lt_u32_e32 vcc, 1, v25
	s_nop 0
	v_mov_b32_dpp v26, v24 row_shr:2 row_mask:0xf bank_mask:0xf
	v_cndmask_b32_e32 v26, 0, v26, vcc
	v_add_u32_e32 v24, v24, v26
	v_cmp_lt_u32_e32 vcc, 3, v25
	s_nop 0
	v_mov_b32_dpp v26, v24 row_shr:4 row_mask:0xf bank_mask:0xf
	v_cndmask_b32_e32 v25, 0, v26, vcc
	v_add_u32_e32 v24, v24, v25
	ds_write_b32 v9, v24
.LBB2868_104:
	s_or_b64 exec, exec, s[0:1]
	v_cmp_lt_u32_e32 vcc, 63, v0
	v_mov_b32_e32 v9, 0
	v_mov_b32_e32 v24, 0
	s_waitcnt lgkmcnt(0)
	s_barrier
	s_and_saveexec_b64 s[0:1], vcc
	s_cbranch_execz .LBB2868_106
; %bb.105:
	v_lshl_add_u32 v24, v106, 2, -4
	ds_read_b32 v24, v24
.LBB2868_106:
	s_or_b64 exec, exec, s[0:1]
	v_add_u32_e32 v25, -1, v105
	v_and_b32_e32 v26, 64, v105
	v_cmp_lt_i32_e32 vcc, v25, v26
	s_waitcnt lgkmcnt(0)
	v_add_u32_e32 v8, v24, v8
	v_cndmask_b32_e32 v25, v25, v105, vcc
	v_lshlrev_b32_e32 v25, 2, v25
	ds_bpermute_b32 v25, v25, v8
	ds_read_b32 v8, v9 offset:28
	s_and_saveexec_b64 s[0:1], s[20:21]
	s_cbranch_execz .LBB2868_108
; %bb.107:
	v_mov_b32_e32 v26, 0
	v_mov_b32_e32 v9, 2
	s_waitcnt lgkmcnt(0)
	global_store_dwordx2 v26, v[8:9], s[36:37] offset:512 sc1
.LBB2868_108:
	s_or_b64 exec, exec, s[0:1]
	v_cmp_eq_u32_e32 vcc, 0, v105
	s_waitcnt lgkmcnt(0)
	s_barrier
	v_cndmask_b32_e32 v9, v25, v24, vcc
	v_mov_b32_e32 v24, 0
	v_cndmask_b32_e64 v25, v9, 0, s[20:21]
.LBB2868_109:
	v_add_u32_e32 v9, v25, v77
	v_add_u32_e32 v26, v9, v78
	;; [unrolled: 1-line block ×22, first 2 shown]
	v_sub_u32_e32 v25, v25, v24
	v_and_b32_e32 v76, 1, v76
	v_add_u32_e32 v91, v90, v98
	v_sub_u32_e32 v98, v44, v25
	v_cmp_eq_u32_e32 vcc, 1, v76
	v_sub_u32_e32 v9, v9, v24
	v_add_u32_e32 v92, v91, v99
	v_cndmask_b32_e32 v25, v98, v25, vcc
	v_lshlrev_b32_e32 v25, 1, v25
	ds_write_b16 v25, v22
	v_sub_u32_e32 v22, v44, v9
	v_and_b32_e32 v25, 1, v75
	v_add_u32_e32 v22, 1, v22
	v_cmp_eq_u32_e32 vcc, 1, v25
	v_and_b32_e32 v25, 1, v74
	v_add_u32_e32 v93, v92, v100
	v_cndmask_b32_e32 v9, v22, v9, vcc
	v_lshlrev_b32_e32 v9, 1, v9
	ds_write_b16 v9, v46
	v_sub_u32_e32 v9, v26, v24
	v_sub_u32_e32 v22, v44, v9
	v_add_u32_e32 v22, 2, v22
	v_cmp_eq_u32_e32 vcc, 1, v25
	v_add_u32_e32 v94, v93, v101
	v_add_u32_e32 v95, v94, v102
	v_cndmask_b32_e32 v9, v22, v9, vcc
	v_lshlrev_b32_e32 v9, 1, v9
	ds_write_b16 v9, v23
	v_sub_u32_e32 v9, v27, v24
	v_sub_u32_e32 v22, v44, v9
	v_and_b32_e32 v23, 1, v73
	v_add_u32_e32 v22, 3, v22
	v_cmp_eq_u32_e32 vcc, 1, v23
	v_and_b32_e32 v23, 1, v72
	v_add_u32_e32 v96, v95, v103
	v_cndmask_b32_e32 v9, v22, v9, vcc
	v_lshlrev_b32_e32 v9, 1, v9
	ds_write_b16 v9, v45
	v_sub_u32_e32 v9, v28, v24
	v_sub_u32_e32 v22, v44, v9
	v_add_u32_e32 v22, 4, v22
	v_cmp_eq_u32_e32 vcc, 1, v23
	v_add_u32_e32 v97, v96, v104
	v_mov_b32_e32 v25, 0
	v_cndmask_b32_e32 v9, v22, v9, vcc
	v_lshlrev_b32_e32 v9, 1, v9
	ds_write_b16 v9, v20
	v_sub_u32_e32 v9, v29, v24
	v_sub_u32_e32 v20, v44, v9
	v_and_b32_e32 v22, 1, v71
	v_add_u32_e32 v20, 5, v20
	v_cmp_eq_u32_e32 vcc, 1, v22
	v_and_b32_e32 v22, 1, v70
	v_or_b32_e32 v46, 0x1600, v0
	v_cndmask_b32_e32 v9, v20, v9, vcc
	v_lshlrev_b32_e32 v9, 1, v9
	ds_write_b16 v9, v43
	v_sub_u32_e32 v9, v30, v24
	v_sub_u32_e32 v20, v44, v9
	v_add_u32_e32 v20, 6, v20
	v_cmp_eq_u32_e32 vcc, 1, v22
	v_or_b32_e32 v30, 0x2600, v0
	v_or_b32_e32 v28, 0x2800, v0
	v_cndmask_b32_e32 v9, v20, v9, vcc
	v_lshlrev_b32_e32 v9, 1, v9
	ds_write_b16 v9, v21
	v_sub_u32_e32 v9, v31, v24
	v_sub_u32_e32 v20, v44, v9
	v_and_b32_e32 v21, 1, v69
	v_add_u32_e32 v20, 7, v20
	v_cmp_eq_u32_e32 vcc, 1, v21
	v_and_b32_e32 v21, 1, v68
	v_or_b32_e32 v26, 0x2a00, v0
	v_cndmask_b32_e32 v9, v20, v9, vcc
	v_lshlrev_b32_e32 v9, 1, v9
	ds_write_b16 v9, v42
	v_sub_u32_e32 v9, v77, v24
	v_sub_u32_e32 v20, v44, v9
	v_add_u32_e32 v20, 8, v20
	v_cmp_eq_u32_e32 vcc, 1, v21
	v_or_b32_e32 v42, 0x1a00, v0
	v_or_b32_e32 v22, 0x2c00, v0
	v_cndmask_b32_e32 v9, v20, v9, vcc
	v_lshlrev_b32_e32 v9, 1, v9
	ds_write_b16 v9, v18
	v_sub_u32_e32 v9, v78, v24
	v_sub_u32_e32 v18, v44, v9
	v_and_b32_e32 v20, 1, v67
	v_add_u32_e32 v18, 9, v18
	v_cmp_eq_u32_e32 vcc, 1, v20
	v_and_b32_e32 v20, 1, v66
	v_or_b32_e32 v66, 0x200, v0
	v_cndmask_b32_e32 v9, v18, v9, vcc
	v_lshlrev_b32_e32 v9, 1, v9
	ds_write_b16 v9, v41
	v_sub_u32_e32 v9, v79, v24
	v_sub_u32_e32 v18, v44, v9
	v_add_u32_e32 v18, 10, v18
	v_cmp_eq_u32_e32 vcc, 1, v20
	v_or_b32_e32 v20, 0x2e00, v0
	v_cmp_ge_u32_e64 s[0:1], v0, v8
	v_cndmask_b32_e32 v9, v18, v9, vcc
	v_lshlrev_b32_e32 v9, 1, v9
	ds_write_b16 v9, v19
	v_sub_u32_e32 v9, v80, v24
	v_sub_u32_e32 v18, v44, v9
	v_and_b32_e32 v19, 1, v65
	v_add_u32_e32 v18, 11, v18
	v_cmp_eq_u32_e32 vcc, 1, v19
	v_and_b32_e32 v19, 1, v64
	v_or_b32_e32 v64, 0x400, v0
	v_cndmask_b32_e32 v9, v18, v9, vcc
	v_lshlrev_b32_e32 v9, 1, v9
	ds_write_b16 v9, v40
	v_sub_u32_e32 v9, v81, v24
	v_sub_u32_e32 v18, v44, v9
	v_add_u32_e32 v18, 12, v18
	v_cmp_eq_u32_e32 vcc, 1, v19
	v_or_b32_e32 v40, 0x1c00, v0
	s_nop 0
	v_cndmask_b32_e32 v9, v18, v9, vcc
	v_lshlrev_b32_e32 v9, 1, v9
	ds_write_b16 v9, v16
	v_sub_u32_e32 v9, v82, v24
	v_sub_u32_e32 v16, v44, v9
	v_and_b32_e32 v18, 1, v63
	v_add_u32_e32 v16, 13, v16
	v_cmp_eq_u32_e32 vcc, 1, v18
	v_and_b32_e32 v18, 1, v62
	v_or_b32_e32 v62, 0x600, v0
	v_cndmask_b32_e32 v9, v16, v9, vcc
	v_lshlrev_b32_e32 v9, 1, v9
	ds_write_b16 v9, v39
	v_sub_u32_e32 v9, v83, v24
	v_sub_u32_e32 v16, v44, v9
	v_add_u32_e32 v16, 14, v16
	v_cmp_eq_u32_e32 vcc, 1, v18
	v_or_b32_e32 v18, 0x3000, v0
	s_nop 0
	v_cndmask_b32_e32 v9, v16, v9, vcc
	v_lshlrev_b32_e32 v9, 1, v9
	ds_write_b16 v9, v17
	v_sub_u32_e32 v9, v84, v24
	v_sub_u32_e32 v16, v44, v9
	v_and_b32_e32 v17, 1, v61
	v_add_u32_e32 v16, 15, v16
	v_cmp_eq_u32_e32 vcc, 1, v17
	v_and_b32_e32 v17, 1, v60
	v_or_b32_e32 v60, 0x800, v0
	v_cndmask_b32_e32 v9, v16, v9, vcc
	v_lshlrev_b32_e32 v9, 1, v9
	ds_write_b16 v9, v38
	v_sub_u32_e32 v9, v85, v24
	v_sub_u32_e32 v16, v44, v9
	v_add_u32_e32 v16, 16, v16
	v_cmp_eq_u32_e32 vcc, 1, v17
	s_nop 1
	v_cndmask_b32_e32 v9, v16, v9, vcc
	v_lshlrev_b32_e32 v9, 1, v9
	ds_write_b16 v9, v14
	v_sub_u32_e32 v9, v86, v24
	v_sub_u32_e32 v14, v44, v9
	v_and_b32_e32 v16, 1, v59
	v_add_u32_e32 v14, 17, v14
	v_cmp_eq_u32_e32 vcc, 1, v16
	v_and_b32_e32 v16, 1, v58
	v_or_b32_e32 v58, 0xa00, v0
	v_cndmask_b32_e32 v9, v14, v9, vcc
	v_lshlrev_b32_e32 v9, 1, v9
	ds_write_b16 v9, v37
	v_sub_u32_e32 v9, v87, v24
	v_sub_u32_e32 v14, v44, v9
	v_add_u32_e32 v14, 18, v14
	v_cmp_eq_u32_e32 vcc, 1, v16
	v_or_b32_e32 v37, 0x1e00, v0
	v_or_b32_e32 v16, 0x3200, v0
	v_cndmask_b32_e32 v9, v14, v9, vcc
	v_lshlrev_b32_e32 v9, 1, v9
	ds_write_b16 v9, v15
	v_sub_u32_e32 v9, v88, v24
	v_sub_u32_e32 v14, v44, v9
	v_and_b32_e32 v15, 1, v57
	v_add_u32_e32 v14, 19, v14
	v_cmp_eq_u32_e32 vcc, 1, v15
	v_and_b32_e32 v15, 1, v56
	v_or_b32_e32 v56, 0xc00, v0
	v_cndmask_b32_e32 v9, v14, v9, vcc
	v_lshlrev_b32_e32 v9, 1, v9
	ds_write_b16 v9, v36
	v_sub_u32_e32 v9, v89, v24
	v_sub_u32_e32 v14, v44, v9
	v_add_u32_e32 v14, 20, v14
	v_cmp_eq_u32_e32 vcc, 1, v15
	v_or_b32_e32 v36, 0x2000, v0
	s_nop 0
	v_cndmask_b32_e32 v9, v14, v9, vcc
	v_lshlrev_b32_e32 v9, 1, v9
	ds_write_b16 v9, v12
	v_sub_u32_e32 v9, v90, v24
	v_sub_u32_e32 v12, v44, v9
	v_and_b32_e32 v14, 1, v55
	v_add_u32_e32 v12, 21, v12
	v_cmp_eq_u32_e32 vcc, 1, v14
	v_and_b32_e32 v14, 1, v54
	s_nop 0
	v_cndmask_b32_e32 v9, v12, v9, vcc
	v_lshlrev_b32_e32 v9, 1, v9
	ds_write_b16 v9, v35
	v_sub_u32_e32 v9, v91, v24
	v_sub_u32_e32 v12, v44, v9
	v_add_u32_e32 v12, 22, v12
	v_cmp_eq_u32_e32 vcc, 1, v14
	v_or_b32_e32 v14, 0x3400, v0
	s_nop 0
	v_cndmask_b32_e32 v9, v12, v9, vcc
	v_lshlrev_b32_e32 v9, 1, v9
	ds_write_b16 v9, v13
	v_sub_u32_e32 v9, v92, v24
	v_sub_u32_e32 v12, v44, v9
	v_and_b32_e32 v13, 1, v53
	v_add_u32_e32 v12, 23, v12
	v_cmp_eq_u32_e32 vcc, 1, v13
	v_and_b32_e32 v13, 1, v52
	v_or_b32_e32 v53, 0xe00, v0
	v_cndmask_b32_e32 v9, v12, v9, vcc
	v_lshlrev_b32_e32 v9, 1, v9
	ds_write_b16 v9, v34
	v_sub_u32_e32 v9, v93, v24
	v_sub_u32_e32 v12, v44, v9
	v_add_u32_e32 v12, 24, v12
	v_cmp_eq_u32_e32 vcc, 1, v13
	v_or_b32_e32 v52, 0x1000, v0
	v_or_b32_e32 v34, 0x2200, v0
	v_cndmask_b32_e32 v9, v12, v9, vcc
	v_lshlrev_b32_e32 v9, 1, v9
	ds_write_b16 v9, v10
	v_sub_u32_e32 v9, v94, v24
	v_sub_u32_e32 v10, v44, v9
	v_and_b32_e32 v12, 1, v51
	v_add_u32_e32 v10, 25, v10
	v_cmp_eq_u32_e32 vcc, 1, v12
	v_and_b32_e32 v12, 1, v50
	v_or_b32_e32 v50, 0x1200, v0
	v_cndmask_b32_e32 v9, v10, v9, vcc
	v_lshlrev_b32_e32 v9, 1, v9
	ds_write_b16 v9, v33
	v_sub_u32_e32 v9, v95, v24
	v_sub_u32_e32 v10, v44, v9
	v_add_u32_e32 v10, 26, v10
	v_cmp_eq_u32_e32 vcc, 1, v12
	v_or_b32_e32 v12, 0x3600, v0
	s_nop 0
	v_cndmask_b32_e32 v9, v10, v9, vcc
	v_lshlrev_b32_e32 v9, 1, v9
	ds_write_b16 v9, v11
	v_sub_u32_e32 v9, v96, v24
	v_sub_u32_e32 v10, v44, v9
	v_and_b32_e32 v11, 1, v49
	v_add_u32_e32 v10, 27, v10
	v_cmp_eq_u32_e32 vcc, 1, v11
	v_and_b32_e32 v11, 1, v47
	s_nop 0
	v_cndmask_b32_e32 v9, v10, v9, vcc
	v_lshlrev_b32_e32 v9, 1, v9
	ds_write_b16 v9, v32
	v_sub_u32_e32 v9, v97, v24
	v_sub_u32_e32 v10, v44, v9
	v_add_u32_e32 v10, 28, v10
	v_cmp_eq_u32_e32 vcc, 1, v11
	v_or_b32_e32 v32, 0x2400, v0
	s_nop 0
	v_cndmask_b32_e32 v9, v10, v9, vcc
	v_lshlrev_b32_e32 v9, 1, v9
	ds_write_b16 v9, v3
	v_sub_u32_sdwa v3, v47, v24 dst_sel:DWORD dst_unused:UNUSED_PAD src0_sel:BYTE_0 src1_sel:DWORD
	v_add_u32_e32 v3, v97, v3
	v_sub_u32_e32 v9, v44, v3
	v_and_b32_e32 v10, 1, v48
	v_add_u32_e32 v9, 29, v9
	v_cmp_eq_u32_e32 vcc, 1, v10
	v_or_b32_e32 v48, 0x1400, v0
	v_or_b32_e32 v44, 0x1800, v0
	v_cndmask_b32_e32 v3, v9, v3, vcc
	v_lshlrev_b32_e32 v3, 1, v3
	ds_write_b16 v3, v1
	s_waitcnt lgkmcnt(0)
	s_barrier
	ds_read_u16 v68, v2
	ds_read_u16 v67, v2 offset:1024
	ds_read_u16 v65, v2 offset:2048
	;; [unrolled: 1-line block ×29, first 2 shown]
	v_mov_b32_e32 v9, v25
	s_waitcnt vmcnt(0)
	v_lshl_add_u64 v[4:5], v[4:5], 0, v[8:9]
	v_lshl_add_u64 v[4:5], v[4:5], 0, v[24:25]
	v_mov_b32_e32 v9, s31
	v_sub_co_u32_e32 v24, vcc, s30, v4
	v_or_b32_e32 v10, 0x3800, v0
	s_nop 0
	v_subb_co_u32_e32 v25, vcc, v9, v5, vcc
	v_lshlrev_b64 v[24:25], 1, v[24:25]
	v_lshl_add_u64 v[24:25], s[34:35], 0, v[24:25]
	v_or_b32_e32 v1, 0x3a00, v0
	v_lshl_add_u64 v[6:7], v[24:25], 0, v[6:7]
	s_and_b64 vcc, exec, s[2:3]
	s_cbranch_vccnz .LBB2868_141
; %bb.110:
	s_and_saveexec_b64 s[2:3], s[0:1]
	s_cbranch_execnz .LBB2868_206
; %bb.111:
	s_or_b64 exec, exec, s[2:3]
	v_cmp_ge_u32_e32 vcc, v66, v8
	s_and_saveexec_b64 s[0:1], vcc
	s_cbranch_execnz .LBB2868_207
.LBB2868_112:
	s_or_b64 exec, exec, s[0:1]
	v_cmp_ge_u32_e32 vcc, v64, v8
	s_and_saveexec_b64 s[0:1], vcc
	s_cbranch_execnz .LBB2868_208
.LBB2868_113:
	s_or_b64 exec, exec, s[0:1]
	v_cmp_ge_u32_e32 vcc, v62, v8
	s_and_saveexec_b64 s[0:1], vcc
	s_cbranch_execnz .LBB2868_209
.LBB2868_114:
	s_or_b64 exec, exec, s[0:1]
	v_cmp_ge_u32_e32 vcc, v60, v8
	s_and_saveexec_b64 s[0:1], vcc
	s_cbranch_execnz .LBB2868_210
.LBB2868_115:
	s_or_b64 exec, exec, s[0:1]
	v_cmp_ge_u32_e32 vcc, v58, v8
	s_and_saveexec_b64 s[0:1], vcc
	s_cbranch_execnz .LBB2868_211
.LBB2868_116:
	s_or_b64 exec, exec, s[0:1]
	v_cmp_ge_u32_e32 vcc, v56, v8
	s_and_saveexec_b64 s[0:1], vcc
	s_cbranch_execnz .LBB2868_212
.LBB2868_117:
	s_or_b64 exec, exec, s[0:1]
	v_cmp_ge_u32_e32 vcc, v53, v8
	s_and_saveexec_b64 s[0:1], vcc
	s_cbranch_execnz .LBB2868_213
.LBB2868_118:
	s_or_b64 exec, exec, s[0:1]
	v_cmp_ge_u32_e32 vcc, v52, v8
	s_and_saveexec_b64 s[0:1], vcc
	s_cbranch_execnz .LBB2868_214
.LBB2868_119:
	s_or_b64 exec, exec, s[0:1]
	v_cmp_ge_u32_e32 vcc, v50, v8
	s_and_saveexec_b64 s[0:1], vcc
	s_cbranch_execnz .LBB2868_215
.LBB2868_120:
	s_or_b64 exec, exec, s[0:1]
	v_cmp_ge_u32_e32 vcc, v48, v8
	s_and_saveexec_b64 s[0:1], vcc
	s_cbranch_execnz .LBB2868_216
.LBB2868_121:
	s_or_b64 exec, exec, s[0:1]
	v_cmp_ge_u32_e32 vcc, v46, v8
	s_and_saveexec_b64 s[0:1], vcc
	s_cbranch_execnz .LBB2868_217
.LBB2868_122:
	s_or_b64 exec, exec, s[0:1]
	v_cmp_ge_u32_e32 vcc, v44, v8
	s_and_saveexec_b64 s[0:1], vcc
	s_cbranch_execnz .LBB2868_218
.LBB2868_123:
	s_or_b64 exec, exec, s[0:1]
	v_cmp_ge_u32_e32 vcc, v42, v8
	s_and_saveexec_b64 s[0:1], vcc
	s_cbranch_execnz .LBB2868_219
.LBB2868_124:
	s_or_b64 exec, exec, s[0:1]
	v_cmp_ge_u32_e32 vcc, v40, v8
	s_and_saveexec_b64 s[0:1], vcc
	s_cbranch_execnz .LBB2868_220
.LBB2868_125:
	s_or_b64 exec, exec, s[0:1]
	v_cmp_ge_u32_e32 vcc, v37, v8
	s_and_saveexec_b64 s[0:1], vcc
	s_cbranch_execnz .LBB2868_221
.LBB2868_126:
	s_or_b64 exec, exec, s[0:1]
	v_cmp_ge_u32_e32 vcc, v36, v8
	s_and_saveexec_b64 s[0:1], vcc
	s_cbranch_execnz .LBB2868_222
.LBB2868_127:
	s_or_b64 exec, exec, s[0:1]
	v_cmp_ge_u32_e32 vcc, v34, v8
	s_and_saveexec_b64 s[0:1], vcc
	s_cbranch_execnz .LBB2868_223
.LBB2868_128:
	s_or_b64 exec, exec, s[0:1]
	v_cmp_ge_u32_e32 vcc, v32, v8
	s_and_saveexec_b64 s[0:1], vcc
	s_cbranch_execnz .LBB2868_224
.LBB2868_129:
	s_or_b64 exec, exec, s[0:1]
	v_cmp_ge_u32_e32 vcc, v30, v8
	s_and_saveexec_b64 s[0:1], vcc
	s_cbranch_execnz .LBB2868_225
.LBB2868_130:
	s_or_b64 exec, exec, s[0:1]
	v_cmp_ge_u32_e32 vcc, v28, v8
	s_and_saveexec_b64 s[0:1], vcc
	s_cbranch_execnz .LBB2868_226
.LBB2868_131:
	s_or_b64 exec, exec, s[0:1]
	v_cmp_ge_u32_e32 vcc, v26, v8
	s_and_saveexec_b64 s[0:1], vcc
	s_cbranch_execnz .LBB2868_227
.LBB2868_132:
	s_or_b64 exec, exec, s[0:1]
	v_cmp_ge_u32_e32 vcc, v22, v8
	s_and_saveexec_b64 s[0:1], vcc
	s_cbranch_execnz .LBB2868_228
.LBB2868_133:
	s_or_b64 exec, exec, s[0:1]
	v_cmp_ge_u32_e32 vcc, v20, v8
	s_and_saveexec_b64 s[0:1], vcc
	s_cbranch_execnz .LBB2868_229
.LBB2868_134:
	s_or_b64 exec, exec, s[0:1]
	v_cmp_ge_u32_e32 vcc, v18, v8
	s_and_saveexec_b64 s[0:1], vcc
	s_cbranch_execnz .LBB2868_230
.LBB2868_135:
	s_or_b64 exec, exec, s[0:1]
	v_cmp_ge_u32_e32 vcc, v16, v8
	s_and_saveexec_b64 s[0:1], vcc
	s_cbranch_execnz .LBB2868_231
.LBB2868_136:
	s_or_b64 exec, exec, s[0:1]
	v_cmp_ge_u32_e32 vcc, v14, v8
	s_and_saveexec_b64 s[0:1], vcc
	s_cbranch_execnz .LBB2868_232
.LBB2868_137:
	s_or_b64 exec, exec, s[0:1]
	v_cmp_ge_u32_e32 vcc, v12, v8
	s_and_saveexec_b64 s[0:1], vcc
	s_cbranch_execnz .LBB2868_233
.LBB2868_138:
	s_or_b64 exec, exec, s[0:1]
	v_cmp_ge_u32_e32 vcc, v10, v8
	s_and_saveexec_b64 s[0:1], vcc
	s_cbranch_execz .LBB2868_140
.LBB2868_139:
	v_lshlrev_b32_e32 v9, 1, v10
	v_readfirstlane_b32 s2, v6
	v_readfirstlane_b32 s3, v7
	s_waitcnt lgkmcnt(1)
	s_nop 3
	global_store_short v9, v11, s[2:3]
.LBB2868_140:
	s_or_b64 exec, exec, s[0:1]
	v_cmp_ge_u32_e64 s[0:1], v1, v8
	s_branch .LBB2868_201
.LBB2868_141:
	s_mov_b64 s[0:1], 0
	s_cbranch_execz .LBB2868_201
; %bb.142:
	v_cmp_gt_u32_e32 vcc, s33, v0
	v_cmp_ge_u32_e64 s[0:1], v0, v8
	s_and_b64 s[2:3], vcc, s[0:1]
	s_and_saveexec_b64 s[0:1], s[2:3]
	s_cbranch_execz .LBB2868_144
; %bb.143:
	v_readfirstlane_b32 s2, v6
	v_readfirstlane_b32 s3, v7
	s_waitcnt lgkmcnt(14)
	s_nop 3
	global_store_short v2, v68, s[2:3]
.LBB2868_144:
	s_or_b64 exec, exec, s[0:1]
	v_cmp_gt_u32_e32 vcc, s33, v66
	v_cmp_ge_u32_e64 s[0:1], v66, v8
	s_and_b64 s[2:3], vcc, s[0:1]
	s_and_saveexec_b64 s[0:1], s[2:3]
	s_cbranch_execz .LBB2868_146
; %bb.145:
	v_readfirstlane_b32 s2, v6
	v_readfirstlane_b32 s3, v7
	s_waitcnt lgkmcnt(14)
	s_nop 3
	global_store_short v2, v67, s[2:3] offset:1024
.LBB2868_146:
	s_or_b64 exec, exec, s[0:1]
	v_cmp_gt_u32_e32 vcc, s33, v64
	v_cmp_ge_u32_e64 s[0:1], v64, v8
	s_and_b64 s[2:3], vcc, s[0:1]
	s_and_saveexec_b64 s[0:1], s[2:3]
	s_cbranch_execz .LBB2868_148
; %bb.147:
	v_readfirstlane_b32 s2, v6
	v_readfirstlane_b32 s3, v7
	s_waitcnt lgkmcnt(14)
	s_nop 3
	global_store_short v2, v65, s[2:3] offset:2048
.LBB2868_148:
	;; [unrolled: 13-line block ×3, first 2 shown]
	s_or_b64 exec, exec, s[0:1]
	v_cmp_gt_u32_e32 vcc, s33, v60
	v_cmp_ge_u32_e64 s[0:1], v60, v8
	s_and_b64 s[2:3], vcc, s[0:1]
	s_and_saveexec_b64 s[0:1], s[2:3]
	s_cbranch_execz .LBB2868_152
; %bb.151:
	v_lshlrev_b32_e32 v0, 1, v60
	v_readfirstlane_b32 s2, v6
	v_readfirstlane_b32 s3, v7
	s_waitcnt lgkmcnt(14)
	s_nop 3
	global_store_short v0, v61, s[2:3]
.LBB2868_152:
	s_or_b64 exec, exec, s[0:1]
	v_cmp_gt_u32_e32 vcc, s33, v58
	v_cmp_ge_u32_e64 s[0:1], v58, v8
	s_and_b64 s[2:3], vcc, s[0:1]
	s_and_saveexec_b64 s[0:1], s[2:3]
	s_cbranch_execz .LBB2868_154
; %bb.153:
	v_lshlrev_b32_e32 v0, 1, v58
	v_readfirstlane_b32 s2, v6
	v_readfirstlane_b32 s3, v7
	s_waitcnt lgkmcnt(14)
	s_nop 3
	global_store_short v0, v59, s[2:3]
.LBB2868_154:
	;; [unrolled: 14-line block ×25, first 2 shown]
	s_or_b64 exec, exec, s[0:1]
	v_cmp_gt_u32_e32 vcc, s33, v1
	v_cmp_ge_u32_e64 s[0:1], v1, v8
	s_and_b64 s[0:1], vcc, s[0:1]
.LBB2868_201:
	s_and_saveexec_b64 s[2:3], s[0:1]
	s_cbranch_execnz .LBB2868_204
; %bb.202:
	s_or_b64 exec, exec, s[2:3]
	s_and_b64 s[0:1], s[20:21], s[22:23]
	s_and_saveexec_b64 s[2:3], s[0:1]
	s_cbranch_execnz .LBB2868_205
.LBB2868_203:
	s_endpgm
.LBB2868_204:
	v_lshlrev_b32_e32 v0, 1, v1
	v_readfirstlane_b32 s0, v6
	v_readfirstlane_b32 s1, v7
	s_waitcnt lgkmcnt(0)
	s_nop 3
	global_store_short v0, v3, s[0:1]
	s_or_b64 exec, exec, s[2:3]
	s_and_b64 s[0:1], s[20:21], s[22:23]
	s_and_saveexec_b64 s[2:3], s[0:1]
	s_cbranch_execz .LBB2868_203
.LBB2868_205:
	v_mov_b32_e32 v0, 0
	global_store_dwordx2 v0, v[4:5], s[24:25]
	s_endpgm
.LBB2868_206:
	v_readfirstlane_b32 s0, v6
	v_readfirstlane_b32 s1, v7
	s_waitcnt lgkmcnt(14)
	s_nop 3
	global_store_short v2, v68, s[0:1]
	s_or_b64 exec, exec, s[2:3]
	v_cmp_ge_u32_e32 vcc, v66, v8
	s_and_saveexec_b64 s[0:1], vcc
	s_cbranch_execz .LBB2868_112
.LBB2868_207:
	v_readfirstlane_b32 s2, v6
	v_readfirstlane_b32 s3, v7
	s_waitcnt lgkmcnt(14)
	s_nop 3
	global_store_short v2, v67, s[2:3] offset:1024
	s_or_b64 exec, exec, s[0:1]
	v_cmp_ge_u32_e32 vcc, v64, v8
	s_and_saveexec_b64 s[0:1], vcc
	s_cbranch_execz .LBB2868_113
.LBB2868_208:
	v_readfirstlane_b32 s2, v6
	v_readfirstlane_b32 s3, v7
	s_waitcnt lgkmcnt(14)
	s_nop 3
	global_store_short v2, v65, s[2:3] offset:2048
	s_or_b64 exec, exec, s[0:1]
	v_cmp_ge_u32_e32 vcc, v62, v8
	s_and_saveexec_b64 s[0:1], vcc
	s_cbranch_execz .LBB2868_114
.LBB2868_209:
	v_readfirstlane_b32 s2, v6
	v_readfirstlane_b32 s3, v7
	s_waitcnt lgkmcnt(14)
	s_nop 3
	global_store_short v2, v63, s[2:3] offset:3072
	s_or_b64 exec, exec, s[0:1]
	v_cmp_ge_u32_e32 vcc, v60, v8
	s_and_saveexec_b64 s[0:1], vcc
	s_cbranch_execz .LBB2868_115
.LBB2868_210:
	v_lshlrev_b32_e32 v9, 1, v60
	v_readfirstlane_b32 s2, v6
	v_readfirstlane_b32 s3, v7
	s_waitcnt lgkmcnt(14)
	s_nop 3
	global_store_short v9, v61, s[2:3]
	s_or_b64 exec, exec, s[0:1]
	v_cmp_ge_u32_e32 vcc, v58, v8
	s_and_saveexec_b64 s[0:1], vcc
	s_cbranch_execz .LBB2868_116
.LBB2868_211:
	v_lshlrev_b32_e32 v9, 1, v58
	v_readfirstlane_b32 s2, v6
	v_readfirstlane_b32 s3, v7
	s_waitcnt lgkmcnt(14)
	s_nop 3
	global_store_short v9, v59, s[2:3]
	s_or_b64 exec, exec, s[0:1]
	v_cmp_ge_u32_e32 vcc, v56, v8
	s_and_saveexec_b64 s[0:1], vcc
	s_cbranch_execz .LBB2868_117
.LBB2868_212:
	v_lshlrev_b32_e32 v9, 1, v56
	v_readfirstlane_b32 s2, v6
	v_readfirstlane_b32 s3, v7
	s_waitcnt lgkmcnt(14)
	s_nop 3
	global_store_short v9, v57, s[2:3]
	s_or_b64 exec, exec, s[0:1]
	v_cmp_ge_u32_e32 vcc, v53, v8
	s_and_saveexec_b64 s[0:1], vcc
	s_cbranch_execz .LBB2868_118
.LBB2868_213:
	v_lshlrev_b32_e32 v9, 1, v53
	v_readfirstlane_b32 s2, v6
	v_readfirstlane_b32 s3, v7
	s_waitcnt lgkmcnt(14)
	s_nop 3
	global_store_short v9, v55, s[2:3]
	s_or_b64 exec, exec, s[0:1]
	v_cmp_ge_u32_e32 vcc, v52, v8
	s_and_saveexec_b64 s[0:1], vcc
	s_cbranch_execz .LBB2868_119
.LBB2868_214:
	v_lshlrev_b32_e32 v9, 1, v52
	v_readfirstlane_b32 s2, v6
	v_readfirstlane_b32 s3, v7
	s_waitcnt lgkmcnt(14)
	s_nop 3
	global_store_short v9, v54, s[2:3]
	s_or_b64 exec, exec, s[0:1]
	v_cmp_ge_u32_e32 vcc, v50, v8
	s_and_saveexec_b64 s[0:1], vcc
	s_cbranch_execz .LBB2868_120
.LBB2868_215:
	v_lshlrev_b32_e32 v9, 1, v50
	v_readfirstlane_b32 s2, v6
	v_readfirstlane_b32 s3, v7
	s_waitcnt lgkmcnt(14)
	s_nop 3
	global_store_short v9, v51, s[2:3]
	s_or_b64 exec, exec, s[0:1]
	v_cmp_ge_u32_e32 vcc, v48, v8
	s_and_saveexec_b64 s[0:1], vcc
	s_cbranch_execz .LBB2868_121
.LBB2868_216:
	v_lshlrev_b32_e32 v9, 1, v48
	v_readfirstlane_b32 s2, v6
	v_readfirstlane_b32 s3, v7
	s_waitcnt lgkmcnt(14)
	s_nop 3
	global_store_short v9, v49, s[2:3]
	s_or_b64 exec, exec, s[0:1]
	v_cmp_ge_u32_e32 vcc, v46, v8
	s_and_saveexec_b64 s[0:1], vcc
	s_cbranch_execz .LBB2868_122
.LBB2868_217:
	v_lshlrev_b32_e32 v9, 1, v46
	v_readfirstlane_b32 s2, v6
	v_readfirstlane_b32 s3, v7
	s_waitcnt lgkmcnt(14)
	s_nop 3
	global_store_short v9, v47, s[2:3]
	s_or_b64 exec, exec, s[0:1]
	v_cmp_ge_u32_e32 vcc, v44, v8
	s_and_saveexec_b64 s[0:1], vcc
	s_cbranch_execz .LBB2868_123
.LBB2868_218:
	v_lshlrev_b32_e32 v9, 1, v44
	v_readfirstlane_b32 s2, v6
	v_readfirstlane_b32 s3, v7
	s_waitcnt lgkmcnt(14)
	s_nop 3
	global_store_short v9, v45, s[2:3]
	s_or_b64 exec, exec, s[0:1]
	v_cmp_ge_u32_e32 vcc, v42, v8
	s_and_saveexec_b64 s[0:1], vcc
	s_cbranch_execz .LBB2868_124
.LBB2868_219:
	v_lshlrev_b32_e32 v9, 1, v42
	v_readfirstlane_b32 s2, v6
	v_readfirstlane_b32 s3, v7
	s_waitcnt lgkmcnt(14)
	s_nop 3
	global_store_short v9, v43, s[2:3]
	s_or_b64 exec, exec, s[0:1]
	v_cmp_ge_u32_e32 vcc, v40, v8
	s_and_saveexec_b64 s[0:1], vcc
	s_cbranch_execz .LBB2868_125
.LBB2868_220:
	v_lshlrev_b32_e32 v9, 1, v40
	v_readfirstlane_b32 s2, v6
	v_readfirstlane_b32 s3, v7
	s_waitcnt lgkmcnt(14)
	s_nop 3
	global_store_short v9, v41, s[2:3]
	s_or_b64 exec, exec, s[0:1]
	v_cmp_ge_u32_e32 vcc, v37, v8
	s_and_saveexec_b64 s[0:1], vcc
	s_cbranch_execz .LBB2868_126
.LBB2868_221:
	v_lshlrev_b32_e32 v9, 1, v37
	v_readfirstlane_b32 s2, v6
	v_readfirstlane_b32 s3, v7
	s_waitcnt lgkmcnt(14)
	s_nop 3
	global_store_short v9, v39, s[2:3]
	s_or_b64 exec, exec, s[0:1]
	v_cmp_ge_u32_e32 vcc, v36, v8
	s_and_saveexec_b64 s[0:1], vcc
	s_cbranch_execz .LBB2868_127
.LBB2868_222:
	v_lshlrev_b32_e32 v9, 1, v36
	v_readfirstlane_b32 s2, v6
	v_readfirstlane_b32 s3, v7
	s_waitcnt lgkmcnt(13)
	s_nop 3
	global_store_short v9, v38, s[2:3]
	s_or_b64 exec, exec, s[0:1]
	v_cmp_ge_u32_e32 vcc, v34, v8
	s_and_saveexec_b64 s[0:1], vcc
	s_cbranch_execz .LBB2868_128
.LBB2868_223:
	v_lshlrev_b32_e32 v9, 1, v34
	v_readfirstlane_b32 s2, v6
	v_readfirstlane_b32 s3, v7
	s_waitcnt lgkmcnt(12)
	s_nop 3
	global_store_short v9, v35, s[2:3]
	s_or_b64 exec, exec, s[0:1]
	v_cmp_ge_u32_e32 vcc, v32, v8
	s_and_saveexec_b64 s[0:1], vcc
	s_cbranch_execz .LBB2868_129
.LBB2868_224:
	v_lshlrev_b32_e32 v9, 1, v32
	v_readfirstlane_b32 s2, v6
	v_readfirstlane_b32 s3, v7
	s_waitcnt lgkmcnt(11)
	s_nop 3
	global_store_short v9, v33, s[2:3]
	s_or_b64 exec, exec, s[0:1]
	v_cmp_ge_u32_e32 vcc, v30, v8
	s_and_saveexec_b64 s[0:1], vcc
	s_cbranch_execz .LBB2868_130
.LBB2868_225:
	v_lshlrev_b32_e32 v9, 1, v30
	v_readfirstlane_b32 s2, v6
	v_readfirstlane_b32 s3, v7
	s_waitcnt lgkmcnt(10)
	s_nop 3
	global_store_short v9, v31, s[2:3]
	s_or_b64 exec, exec, s[0:1]
	v_cmp_ge_u32_e32 vcc, v28, v8
	s_and_saveexec_b64 s[0:1], vcc
	s_cbranch_execz .LBB2868_131
.LBB2868_226:
	v_lshlrev_b32_e32 v9, 1, v28
	v_readfirstlane_b32 s2, v6
	v_readfirstlane_b32 s3, v7
	s_waitcnt lgkmcnt(9)
	s_nop 3
	global_store_short v9, v29, s[2:3]
	s_or_b64 exec, exec, s[0:1]
	v_cmp_ge_u32_e32 vcc, v26, v8
	s_and_saveexec_b64 s[0:1], vcc
	s_cbranch_execz .LBB2868_132
.LBB2868_227:
	v_lshlrev_b32_e32 v9, 1, v26
	v_readfirstlane_b32 s2, v6
	v_readfirstlane_b32 s3, v7
	s_waitcnt lgkmcnt(8)
	s_nop 3
	global_store_short v9, v27, s[2:3]
	s_or_b64 exec, exec, s[0:1]
	v_cmp_ge_u32_e32 vcc, v22, v8
	s_and_saveexec_b64 s[0:1], vcc
	s_cbranch_execz .LBB2868_133
.LBB2868_228:
	v_lshlrev_b32_e32 v9, 1, v22
	v_readfirstlane_b32 s2, v6
	v_readfirstlane_b32 s3, v7
	s_waitcnt lgkmcnt(7)
	s_nop 3
	global_store_short v9, v23, s[2:3]
	s_or_b64 exec, exec, s[0:1]
	v_cmp_ge_u32_e32 vcc, v20, v8
	s_and_saveexec_b64 s[0:1], vcc
	s_cbranch_execz .LBB2868_134
.LBB2868_229:
	v_lshlrev_b32_e32 v9, 1, v20
	v_readfirstlane_b32 s2, v6
	v_readfirstlane_b32 s3, v7
	s_waitcnt lgkmcnt(6)
	s_nop 3
	global_store_short v9, v21, s[2:3]
	s_or_b64 exec, exec, s[0:1]
	v_cmp_ge_u32_e32 vcc, v18, v8
	s_and_saveexec_b64 s[0:1], vcc
	s_cbranch_execz .LBB2868_135
.LBB2868_230:
	v_lshlrev_b32_e32 v9, 1, v18
	v_readfirstlane_b32 s2, v6
	v_readfirstlane_b32 s3, v7
	s_waitcnt lgkmcnt(5)
	s_nop 3
	global_store_short v9, v19, s[2:3]
	s_or_b64 exec, exec, s[0:1]
	v_cmp_ge_u32_e32 vcc, v16, v8
	s_and_saveexec_b64 s[0:1], vcc
	s_cbranch_execz .LBB2868_136
.LBB2868_231:
	v_lshlrev_b32_e32 v9, 1, v16
	v_readfirstlane_b32 s2, v6
	v_readfirstlane_b32 s3, v7
	s_waitcnt lgkmcnt(4)
	s_nop 3
	global_store_short v9, v17, s[2:3]
	s_or_b64 exec, exec, s[0:1]
	v_cmp_ge_u32_e32 vcc, v14, v8
	s_and_saveexec_b64 s[0:1], vcc
	s_cbranch_execz .LBB2868_137
.LBB2868_232:
	v_lshlrev_b32_e32 v9, 1, v14
	v_readfirstlane_b32 s2, v6
	v_readfirstlane_b32 s3, v7
	s_waitcnt lgkmcnt(3)
	s_nop 3
	global_store_short v9, v15, s[2:3]
	s_or_b64 exec, exec, s[0:1]
	v_cmp_ge_u32_e32 vcc, v12, v8
	s_and_saveexec_b64 s[0:1], vcc
	s_cbranch_execz .LBB2868_138
.LBB2868_233:
	v_lshlrev_b32_e32 v9, 1, v12
	v_readfirstlane_b32 s2, v6
	v_readfirstlane_b32 s3, v7
	s_waitcnt lgkmcnt(2)
	s_nop 3
	global_store_short v9, v13, s[2:3]
	s_or_b64 exec, exec, s[0:1]
	v_cmp_ge_u32_e32 vcc, v10, v8
	s_and_saveexec_b64 s[0:1], vcc
	s_cbranch_execnz .LBB2868_139
	s_branch .LBB2868_140
	.section	.rodata,"a",@progbits
	.p2align	6, 0x0
	.amdhsa_kernel _ZN7rocprim17ROCPRIM_400000_NS6detail17trampoline_kernelINS0_14default_configENS1_25partition_config_selectorILNS1_17partition_subalgoE0EsNS0_10empty_typeEbEEZZNS1_14partition_implILS5_0ELb0ES3_jN6thrust23THRUST_200600_302600_NS6detail15normal_iteratorINSA_10device_ptrIsEEEEPS6_SG_NS0_5tupleIJNSA_16discard_iteratorINSA_11use_defaultEEESF_EEENSH_IJSG_SG_EEES6_PlJ7is_evenIsEEEE10hipError_tPvRmT3_T4_T5_T6_T7_T9_mT8_P12ihipStream_tbDpT10_ENKUlT_T0_E_clISt17integral_constantIbLb0EES18_IbLb1EEEEDaS14_S15_EUlS14_E_NS1_11comp_targetILNS1_3genE5ELNS1_11target_archE942ELNS1_3gpuE9ELNS1_3repE0EEENS1_30default_config_static_selectorELNS0_4arch9wavefront6targetE1EEEvT1_
		.amdhsa_group_segment_fixed_size 30728
		.amdhsa_private_segment_fixed_size 0
		.amdhsa_kernarg_size 144
		.amdhsa_user_sgpr_count 2
		.amdhsa_user_sgpr_dispatch_ptr 0
		.amdhsa_user_sgpr_queue_ptr 0
		.amdhsa_user_sgpr_kernarg_segment_ptr 1
		.amdhsa_user_sgpr_dispatch_id 0
		.amdhsa_user_sgpr_kernarg_preload_length 0
		.amdhsa_user_sgpr_kernarg_preload_offset 0
		.amdhsa_user_sgpr_private_segment_size 0
		.amdhsa_uses_dynamic_stack 0
		.amdhsa_enable_private_segment 0
		.amdhsa_system_sgpr_workgroup_id_x 1
		.amdhsa_system_sgpr_workgroup_id_y 0
		.amdhsa_system_sgpr_workgroup_id_z 0
		.amdhsa_system_sgpr_workgroup_info 0
		.amdhsa_system_vgpr_workitem_id 0
		.amdhsa_next_free_vgpr 124
		.amdhsa_next_free_sgpr 42
		.amdhsa_accum_offset 124
		.amdhsa_reserve_vcc 1
		.amdhsa_float_round_mode_32 0
		.amdhsa_float_round_mode_16_64 0
		.amdhsa_float_denorm_mode_32 3
		.amdhsa_float_denorm_mode_16_64 3
		.amdhsa_dx10_clamp 1
		.amdhsa_ieee_mode 1
		.amdhsa_fp16_overflow 0
		.amdhsa_tg_split 0
		.amdhsa_exception_fp_ieee_invalid_op 0
		.amdhsa_exception_fp_denorm_src 0
		.amdhsa_exception_fp_ieee_div_zero 0
		.amdhsa_exception_fp_ieee_overflow 0
		.amdhsa_exception_fp_ieee_underflow 0
		.amdhsa_exception_fp_ieee_inexact 0
		.amdhsa_exception_int_div_zero 0
	.end_amdhsa_kernel
	.section	.text._ZN7rocprim17ROCPRIM_400000_NS6detail17trampoline_kernelINS0_14default_configENS1_25partition_config_selectorILNS1_17partition_subalgoE0EsNS0_10empty_typeEbEEZZNS1_14partition_implILS5_0ELb0ES3_jN6thrust23THRUST_200600_302600_NS6detail15normal_iteratorINSA_10device_ptrIsEEEEPS6_SG_NS0_5tupleIJNSA_16discard_iteratorINSA_11use_defaultEEESF_EEENSH_IJSG_SG_EEES6_PlJ7is_evenIsEEEE10hipError_tPvRmT3_T4_T5_T6_T7_T9_mT8_P12ihipStream_tbDpT10_ENKUlT_T0_E_clISt17integral_constantIbLb0EES18_IbLb1EEEEDaS14_S15_EUlS14_E_NS1_11comp_targetILNS1_3genE5ELNS1_11target_archE942ELNS1_3gpuE9ELNS1_3repE0EEENS1_30default_config_static_selectorELNS0_4arch9wavefront6targetE1EEEvT1_,"axG",@progbits,_ZN7rocprim17ROCPRIM_400000_NS6detail17trampoline_kernelINS0_14default_configENS1_25partition_config_selectorILNS1_17partition_subalgoE0EsNS0_10empty_typeEbEEZZNS1_14partition_implILS5_0ELb0ES3_jN6thrust23THRUST_200600_302600_NS6detail15normal_iteratorINSA_10device_ptrIsEEEEPS6_SG_NS0_5tupleIJNSA_16discard_iteratorINSA_11use_defaultEEESF_EEENSH_IJSG_SG_EEES6_PlJ7is_evenIsEEEE10hipError_tPvRmT3_T4_T5_T6_T7_T9_mT8_P12ihipStream_tbDpT10_ENKUlT_T0_E_clISt17integral_constantIbLb0EES18_IbLb1EEEEDaS14_S15_EUlS14_E_NS1_11comp_targetILNS1_3genE5ELNS1_11target_archE942ELNS1_3gpuE9ELNS1_3repE0EEENS1_30default_config_static_selectorELNS0_4arch9wavefront6targetE1EEEvT1_,comdat
.Lfunc_end2868:
	.size	_ZN7rocprim17ROCPRIM_400000_NS6detail17trampoline_kernelINS0_14default_configENS1_25partition_config_selectorILNS1_17partition_subalgoE0EsNS0_10empty_typeEbEEZZNS1_14partition_implILS5_0ELb0ES3_jN6thrust23THRUST_200600_302600_NS6detail15normal_iteratorINSA_10device_ptrIsEEEEPS6_SG_NS0_5tupleIJNSA_16discard_iteratorINSA_11use_defaultEEESF_EEENSH_IJSG_SG_EEES6_PlJ7is_evenIsEEEE10hipError_tPvRmT3_T4_T5_T6_T7_T9_mT8_P12ihipStream_tbDpT10_ENKUlT_T0_E_clISt17integral_constantIbLb0EES18_IbLb1EEEEDaS14_S15_EUlS14_E_NS1_11comp_targetILNS1_3genE5ELNS1_11target_archE942ELNS1_3gpuE9ELNS1_3repE0EEENS1_30default_config_static_selectorELNS0_4arch9wavefront6targetE1EEEvT1_, .Lfunc_end2868-_ZN7rocprim17ROCPRIM_400000_NS6detail17trampoline_kernelINS0_14default_configENS1_25partition_config_selectorILNS1_17partition_subalgoE0EsNS0_10empty_typeEbEEZZNS1_14partition_implILS5_0ELb0ES3_jN6thrust23THRUST_200600_302600_NS6detail15normal_iteratorINSA_10device_ptrIsEEEEPS6_SG_NS0_5tupleIJNSA_16discard_iteratorINSA_11use_defaultEEESF_EEENSH_IJSG_SG_EEES6_PlJ7is_evenIsEEEE10hipError_tPvRmT3_T4_T5_T6_T7_T9_mT8_P12ihipStream_tbDpT10_ENKUlT_T0_E_clISt17integral_constantIbLb0EES18_IbLb1EEEEDaS14_S15_EUlS14_E_NS1_11comp_targetILNS1_3genE5ELNS1_11target_archE942ELNS1_3gpuE9ELNS1_3repE0EEENS1_30default_config_static_selectorELNS0_4arch9wavefront6targetE1EEEvT1_
                                        ; -- End function
	.section	.AMDGPU.csdata,"",@progbits
; Kernel info:
; codeLenInByte = 11232
; NumSgprs: 48
; NumVgprs: 124
; NumAgprs: 0
; TotalNumVgprs: 124
; ScratchSize: 0
; MemoryBound: 0
; FloatMode: 240
; IeeeMode: 1
; LDSByteSize: 30728 bytes/workgroup (compile time only)
; SGPRBlocks: 5
; VGPRBlocks: 15
; NumSGPRsForWavesPerEU: 48
; NumVGPRsForWavesPerEU: 124
; AccumOffset: 124
; Occupancy: 4
; WaveLimiterHint : 1
; COMPUTE_PGM_RSRC2:SCRATCH_EN: 0
; COMPUTE_PGM_RSRC2:USER_SGPR: 2
; COMPUTE_PGM_RSRC2:TRAP_HANDLER: 0
; COMPUTE_PGM_RSRC2:TGID_X_EN: 1
; COMPUTE_PGM_RSRC2:TGID_Y_EN: 0
; COMPUTE_PGM_RSRC2:TGID_Z_EN: 0
; COMPUTE_PGM_RSRC2:TIDIG_COMP_CNT: 0
; COMPUTE_PGM_RSRC3_GFX90A:ACCUM_OFFSET: 30
; COMPUTE_PGM_RSRC3_GFX90A:TG_SPLIT: 0
	.section	.text._ZN7rocprim17ROCPRIM_400000_NS6detail17trampoline_kernelINS0_14default_configENS1_25partition_config_selectorILNS1_17partition_subalgoE0EsNS0_10empty_typeEbEEZZNS1_14partition_implILS5_0ELb0ES3_jN6thrust23THRUST_200600_302600_NS6detail15normal_iteratorINSA_10device_ptrIsEEEEPS6_SG_NS0_5tupleIJNSA_16discard_iteratorINSA_11use_defaultEEESF_EEENSH_IJSG_SG_EEES6_PlJ7is_evenIsEEEE10hipError_tPvRmT3_T4_T5_T6_T7_T9_mT8_P12ihipStream_tbDpT10_ENKUlT_T0_E_clISt17integral_constantIbLb0EES18_IbLb1EEEEDaS14_S15_EUlS14_E_NS1_11comp_targetILNS1_3genE4ELNS1_11target_archE910ELNS1_3gpuE8ELNS1_3repE0EEENS1_30default_config_static_selectorELNS0_4arch9wavefront6targetE1EEEvT1_,"axG",@progbits,_ZN7rocprim17ROCPRIM_400000_NS6detail17trampoline_kernelINS0_14default_configENS1_25partition_config_selectorILNS1_17partition_subalgoE0EsNS0_10empty_typeEbEEZZNS1_14partition_implILS5_0ELb0ES3_jN6thrust23THRUST_200600_302600_NS6detail15normal_iteratorINSA_10device_ptrIsEEEEPS6_SG_NS0_5tupleIJNSA_16discard_iteratorINSA_11use_defaultEEESF_EEENSH_IJSG_SG_EEES6_PlJ7is_evenIsEEEE10hipError_tPvRmT3_T4_T5_T6_T7_T9_mT8_P12ihipStream_tbDpT10_ENKUlT_T0_E_clISt17integral_constantIbLb0EES18_IbLb1EEEEDaS14_S15_EUlS14_E_NS1_11comp_targetILNS1_3genE4ELNS1_11target_archE910ELNS1_3gpuE8ELNS1_3repE0EEENS1_30default_config_static_selectorELNS0_4arch9wavefront6targetE1EEEvT1_,comdat
	.protected	_ZN7rocprim17ROCPRIM_400000_NS6detail17trampoline_kernelINS0_14default_configENS1_25partition_config_selectorILNS1_17partition_subalgoE0EsNS0_10empty_typeEbEEZZNS1_14partition_implILS5_0ELb0ES3_jN6thrust23THRUST_200600_302600_NS6detail15normal_iteratorINSA_10device_ptrIsEEEEPS6_SG_NS0_5tupleIJNSA_16discard_iteratorINSA_11use_defaultEEESF_EEENSH_IJSG_SG_EEES6_PlJ7is_evenIsEEEE10hipError_tPvRmT3_T4_T5_T6_T7_T9_mT8_P12ihipStream_tbDpT10_ENKUlT_T0_E_clISt17integral_constantIbLb0EES18_IbLb1EEEEDaS14_S15_EUlS14_E_NS1_11comp_targetILNS1_3genE4ELNS1_11target_archE910ELNS1_3gpuE8ELNS1_3repE0EEENS1_30default_config_static_selectorELNS0_4arch9wavefront6targetE1EEEvT1_ ; -- Begin function _ZN7rocprim17ROCPRIM_400000_NS6detail17trampoline_kernelINS0_14default_configENS1_25partition_config_selectorILNS1_17partition_subalgoE0EsNS0_10empty_typeEbEEZZNS1_14partition_implILS5_0ELb0ES3_jN6thrust23THRUST_200600_302600_NS6detail15normal_iteratorINSA_10device_ptrIsEEEEPS6_SG_NS0_5tupleIJNSA_16discard_iteratorINSA_11use_defaultEEESF_EEENSH_IJSG_SG_EEES6_PlJ7is_evenIsEEEE10hipError_tPvRmT3_T4_T5_T6_T7_T9_mT8_P12ihipStream_tbDpT10_ENKUlT_T0_E_clISt17integral_constantIbLb0EES18_IbLb1EEEEDaS14_S15_EUlS14_E_NS1_11comp_targetILNS1_3genE4ELNS1_11target_archE910ELNS1_3gpuE8ELNS1_3repE0EEENS1_30default_config_static_selectorELNS0_4arch9wavefront6targetE1EEEvT1_
	.globl	_ZN7rocprim17ROCPRIM_400000_NS6detail17trampoline_kernelINS0_14default_configENS1_25partition_config_selectorILNS1_17partition_subalgoE0EsNS0_10empty_typeEbEEZZNS1_14partition_implILS5_0ELb0ES3_jN6thrust23THRUST_200600_302600_NS6detail15normal_iteratorINSA_10device_ptrIsEEEEPS6_SG_NS0_5tupleIJNSA_16discard_iteratorINSA_11use_defaultEEESF_EEENSH_IJSG_SG_EEES6_PlJ7is_evenIsEEEE10hipError_tPvRmT3_T4_T5_T6_T7_T9_mT8_P12ihipStream_tbDpT10_ENKUlT_T0_E_clISt17integral_constantIbLb0EES18_IbLb1EEEEDaS14_S15_EUlS14_E_NS1_11comp_targetILNS1_3genE4ELNS1_11target_archE910ELNS1_3gpuE8ELNS1_3repE0EEENS1_30default_config_static_selectorELNS0_4arch9wavefront6targetE1EEEvT1_
	.p2align	8
	.type	_ZN7rocprim17ROCPRIM_400000_NS6detail17trampoline_kernelINS0_14default_configENS1_25partition_config_selectorILNS1_17partition_subalgoE0EsNS0_10empty_typeEbEEZZNS1_14partition_implILS5_0ELb0ES3_jN6thrust23THRUST_200600_302600_NS6detail15normal_iteratorINSA_10device_ptrIsEEEEPS6_SG_NS0_5tupleIJNSA_16discard_iteratorINSA_11use_defaultEEESF_EEENSH_IJSG_SG_EEES6_PlJ7is_evenIsEEEE10hipError_tPvRmT3_T4_T5_T6_T7_T9_mT8_P12ihipStream_tbDpT10_ENKUlT_T0_E_clISt17integral_constantIbLb0EES18_IbLb1EEEEDaS14_S15_EUlS14_E_NS1_11comp_targetILNS1_3genE4ELNS1_11target_archE910ELNS1_3gpuE8ELNS1_3repE0EEENS1_30default_config_static_selectorELNS0_4arch9wavefront6targetE1EEEvT1_,@function
_ZN7rocprim17ROCPRIM_400000_NS6detail17trampoline_kernelINS0_14default_configENS1_25partition_config_selectorILNS1_17partition_subalgoE0EsNS0_10empty_typeEbEEZZNS1_14partition_implILS5_0ELb0ES3_jN6thrust23THRUST_200600_302600_NS6detail15normal_iteratorINSA_10device_ptrIsEEEEPS6_SG_NS0_5tupleIJNSA_16discard_iteratorINSA_11use_defaultEEESF_EEENSH_IJSG_SG_EEES6_PlJ7is_evenIsEEEE10hipError_tPvRmT3_T4_T5_T6_T7_T9_mT8_P12ihipStream_tbDpT10_ENKUlT_T0_E_clISt17integral_constantIbLb0EES18_IbLb1EEEEDaS14_S15_EUlS14_E_NS1_11comp_targetILNS1_3genE4ELNS1_11target_archE910ELNS1_3gpuE8ELNS1_3repE0EEENS1_30default_config_static_selectorELNS0_4arch9wavefront6targetE1EEEvT1_: ; @_ZN7rocprim17ROCPRIM_400000_NS6detail17trampoline_kernelINS0_14default_configENS1_25partition_config_selectorILNS1_17partition_subalgoE0EsNS0_10empty_typeEbEEZZNS1_14partition_implILS5_0ELb0ES3_jN6thrust23THRUST_200600_302600_NS6detail15normal_iteratorINSA_10device_ptrIsEEEEPS6_SG_NS0_5tupleIJNSA_16discard_iteratorINSA_11use_defaultEEESF_EEENSH_IJSG_SG_EEES6_PlJ7is_evenIsEEEE10hipError_tPvRmT3_T4_T5_T6_T7_T9_mT8_P12ihipStream_tbDpT10_ENKUlT_T0_E_clISt17integral_constantIbLb0EES18_IbLb1EEEEDaS14_S15_EUlS14_E_NS1_11comp_targetILNS1_3genE4ELNS1_11target_archE910ELNS1_3gpuE8ELNS1_3repE0EEENS1_30default_config_static_selectorELNS0_4arch9wavefront6targetE1EEEvT1_
; %bb.0:
	.section	.rodata,"a",@progbits
	.p2align	6, 0x0
	.amdhsa_kernel _ZN7rocprim17ROCPRIM_400000_NS6detail17trampoline_kernelINS0_14default_configENS1_25partition_config_selectorILNS1_17partition_subalgoE0EsNS0_10empty_typeEbEEZZNS1_14partition_implILS5_0ELb0ES3_jN6thrust23THRUST_200600_302600_NS6detail15normal_iteratorINSA_10device_ptrIsEEEEPS6_SG_NS0_5tupleIJNSA_16discard_iteratorINSA_11use_defaultEEESF_EEENSH_IJSG_SG_EEES6_PlJ7is_evenIsEEEE10hipError_tPvRmT3_T4_T5_T6_T7_T9_mT8_P12ihipStream_tbDpT10_ENKUlT_T0_E_clISt17integral_constantIbLb0EES18_IbLb1EEEEDaS14_S15_EUlS14_E_NS1_11comp_targetILNS1_3genE4ELNS1_11target_archE910ELNS1_3gpuE8ELNS1_3repE0EEENS1_30default_config_static_selectorELNS0_4arch9wavefront6targetE1EEEvT1_
		.amdhsa_group_segment_fixed_size 0
		.amdhsa_private_segment_fixed_size 0
		.amdhsa_kernarg_size 144
		.amdhsa_user_sgpr_count 2
		.amdhsa_user_sgpr_dispatch_ptr 0
		.amdhsa_user_sgpr_queue_ptr 0
		.amdhsa_user_sgpr_kernarg_segment_ptr 1
		.amdhsa_user_sgpr_dispatch_id 0
		.amdhsa_user_sgpr_kernarg_preload_length 0
		.amdhsa_user_sgpr_kernarg_preload_offset 0
		.amdhsa_user_sgpr_private_segment_size 0
		.amdhsa_uses_dynamic_stack 0
		.amdhsa_enable_private_segment 0
		.amdhsa_system_sgpr_workgroup_id_x 1
		.amdhsa_system_sgpr_workgroup_id_y 0
		.amdhsa_system_sgpr_workgroup_id_z 0
		.amdhsa_system_sgpr_workgroup_info 0
		.amdhsa_system_vgpr_workitem_id 0
		.amdhsa_next_free_vgpr 1
		.amdhsa_next_free_sgpr 0
		.amdhsa_accum_offset 4
		.amdhsa_reserve_vcc 0
		.amdhsa_float_round_mode_32 0
		.amdhsa_float_round_mode_16_64 0
		.amdhsa_float_denorm_mode_32 3
		.amdhsa_float_denorm_mode_16_64 3
		.amdhsa_dx10_clamp 1
		.amdhsa_ieee_mode 1
		.amdhsa_fp16_overflow 0
		.amdhsa_tg_split 0
		.amdhsa_exception_fp_ieee_invalid_op 0
		.amdhsa_exception_fp_denorm_src 0
		.amdhsa_exception_fp_ieee_div_zero 0
		.amdhsa_exception_fp_ieee_overflow 0
		.amdhsa_exception_fp_ieee_underflow 0
		.amdhsa_exception_fp_ieee_inexact 0
		.amdhsa_exception_int_div_zero 0
	.end_amdhsa_kernel
	.section	.text._ZN7rocprim17ROCPRIM_400000_NS6detail17trampoline_kernelINS0_14default_configENS1_25partition_config_selectorILNS1_17partition_subalgoE0EsNS0_10empty_typeEbEEZZNS1_14partition_implILS5_0ELb0ES3_jN6thrust23THRUST_200600_302600_NS6detail15normal_iteratorINSA_10device_ptrIsEEEEPS6_SG_NS0_5tupleIJNSA_16discard_iteratorINSA_11use_defaultEEESF_EEENSH_IJSG_SG_EEES6_PlJ7is_evenIsEEEE10hipError_tPvRmT3_T4_T5_T6_T7_T9_mT8_P12ihipStream_tbDpT10_ENKUlT_T0_E_clISt17integral_constantIbLb0EES18_IbLb1EEEEDaS14_S15_EUlS14_E_NS1_11comp_targetILNS1_3genE4ELNS1_11target_archE910ELNS1_3gpuE8ELNS1_3repE0EEENS1_30default_config_static_selectorELNS0_4arch9wavefront6targetE1EEEvT1_,"axG",@progbits,_ZN7rocprim17ROCPRIM_400000_NS6detail17trampoline_kernelINS0_14default_configENS1_25partition_config_selectorILNS1_17partition_subalgoE0EsNS0_10empty_typeEbEEZZNS1_14partition_implILS5_0ELb0ES3_jN6thrust23THRUST_200600_302600_NS6detail15normal_iteratorINSA_10device_ptrIsEEEEPS6_SG_NS0_5tupleIJNSA_16discard_iteratorINSA_11use_defaultEEESF_EEENSH_IJSG_SG_EEES6_PlJ7is_evenIsEEEE10hipError_tPvRmT3_T4_T5_T6_T7_T9_mT8_P12ihipStream_tbDpT10_ENKUlT_T0_E_clISt17integral_constantIbLb0EES18_IbLb1EEEEDaS14_S15_EUlS14_E_NS1_11comp_targetILNS1_3genE4ELNS1_11target_archE910ELNS1_3gpuE8ELNS1_3repE0EEENS1_30default_config_static_selectorELNS0_4arch9wavefront6targetE1EEEvT1_,comdat
.Lfunc_end2869:
	.size	_ZN7rocprim17ROCPRIM_400000_NS6detail17trampoline_kernelINS0_14default_configENS1_25partition_config_selectorILNS1_17partition_subalgoE0EsNS0_10empty_typeEbEEZZNS1_14partition_implILS5_0ELb0ES3_jN6thrust23THRUST_200600_302600_NS6detail15normal_iteratorINSA_10device_ptrIsEEEEPS6_SG_NS0_5tupleIJNSA_16discard_iteratorINSA_11use_defaultEEESF_EEENSH_IJSG_SG_EEES6_PlJ7is_evenIsEEEE10hipError_tPvRmT3_T4_T5_T6_T7_T9_mT8_P12ihipStream_tbDpT10_ENKUlT_T0_E_clISt17integral_constantIbLb0EES18_IbLb1EEEEDaS14_S15_EUlS14_E_NS1_11comp_targetILNS1_3genE4ELNS1_11target_archE910ELNS1_3gpuE8ELNS1_3repE0EEENS1_30default_config_static_selectorELNS0_4arch9wavefront6targetE1EEEvT1_, .Lfunc_end2869-_ZN7rocprim17ROCPRIM_400000_NS6detail17trampoline_kernelINS0_14default_configENS1_25partition_config_selectorILNS1_17partition_subalgoE0EsNS0_10empty_typeEbEEZZNS1_14partition_implILS5_0ELb0ES3_jN6thrust23THRUST_200600_302600_NS6detail15normal_iteratorINSA_10device_ptrIsEEEEPS6_SG_NS0_5tupleIJNSA_16discard_iteratorINSA_11use_defaultEEESF_EEENSH_IJSG_SG_EEES6_PlJ7is_evenIsEEEE10hipError_tPvRmT3_T4_T5_T6_T7_T9_mT8_P12ihipStream_tbDpT10_ENKUlT_T0_E_clISt17integral_constantIbLb0EES18_IbLb1EEEEDaS14_S15_EUlS14_E_NS1_11comp_targetILNS1_3genE4ELNS1_11target_archE910ELNS1_3gpuE8ELNS1_3repE0EEENS1_30default_config_static_selectorELNS0_4arch9wavefront6targetE1EEEvT1_
                                        ; -- End function
	.section	.AMDGPU.csdata,"",@progbits
; Kernel info:
; codeLenInByte = 0
; NumSgprs: 6
; NumVgprs: 0
; NumAgprs: 0
; TotalNumVgprs: 0
; ScratchSize: 0
; MemoryBound: 0
; FloatMode: 240
; IeeeMode: 1
; LDSByteSize: 0 bytes/workgroup (compile time only)
; SGPRBlocks: 0
; VGPRBlocks: 0
; NumSGPRsForWavesPerEU: 6
; NumVGPRsForWavesPerEU: 1
; AccumOffset: 4
; Occupancy: 8
; WaveLimiterHint : 0
; COMPUTE_PGM_RSRC2:SCRATCH_EN: 0
; COMPUTE_PGM_RSRC2:USER_SGPR: 2
; COMPUTE_PGM_RSRC2:TRAP_HANDLER: 0
; COMPUTE_PGM_RSRC2:TGID_X_EN: 1
; COMPUTE_PGM_RSRC2:TGID_Y_EN: 0
; COMPUTE_PGM_RSRC2:TGID_Z_EN: 0
; COMPUTE_PGM_RSRC2:TIDIG_COMP_CNT: 0
; COMPUTE_PGM_RSRC3_GFX90A:ACCUM_OFFSET: 0
; COMPUTE_PGM_RSRC3_GFX90A:TG_SPLIT: 0
	.section	.text._ZN7rocprim17ROCPRIM_400000_NS6detail17trampoline_kernelINS0_14default_configENS1_25partition_config_selectorILNS1_17partition_subalgoE0EsNS0_10empty_typeEbEEZZNS1_14partition_implILS5_0ELb0ES3_jN6thrust23THRUST_200600_302600_NS6detail15normal_iteratorINSA_10device_ptrIsEEEEPS6_SG_NS0_5tupleIJNSA_16discard_iteratorINSA_11use_defaultEEESF_EEENSH_IJSG_SG_EEES6_PlJ7is_evenIsEEEE10hipError_tPvRmT3_T4_T5_T6_T7_T9_mT8_P12ihipStream_tbDpT10_ENKUlT_T0_E_clISt17integral_constantIbLb0EES18_IbLb1EEEEDaS14_S15_EUlS14_E_NS1_11comp_targetILNS1_3genE3ELNS1_11target_archE908ELNS1_3gpuE7ELNS1_3repE0EEENS1_30default_config_static_selectorELNS0_4arch9wavefront6targetE1EEEvT1_,"axG",@progbits,_ZN7rocprim17ROCPRIM_400000_NS6detail17trampoline_kernelINS0_14default_configENS1_25partition_config_selectorILNS1_17partition_subalgoE0EsNS0_10empty_typeEbEEZZNS1_14partition_implILS5_0ELb0ES3_jN6thrust23THRUST_200600_302600_NS6detail15normal_iteratorINSA_10device_ptrIsEEEEPS6_SG_NS0_5tupleIJNSA_16discard_iteratorINSA_11use_defaultEEESF_EEENSH_IJSG_SG_EEES6_PlJ7is_evenIsEEEE10hipError_tPvRmT3_T4_T5_T6_T7_T9_mT8_P12ihipStream_tbDpT10_ENKUlT_T0_E_clISt17integral_constantIbLb0EES18_IbLb1EEEEDaS14_S15_EUlS14_E_NS1_11comp_targetILNS1_3genE3ELNS1_11target_archE908ELNS1_3gpuE7ELNS1_3repE0EEENS1_30default_config_static_selectorELNS0_4arch9wavefront6targetE1EEEvT1_,comdat
	.protected	_ZN7rocprim17ROCPRIM_400000_NS6detail17trampoline_kernelINS0_14default_configENS1_25partition_config_selectorILNS1_17partition_subalgoE0EsNS0_10empty_typeEbEEZZNS1_14partition_implILS5_0ELb0ES3_jN6thrust23THRUST_200600_302600_NS6detail15normal_iteratorINSA_10device_ptrIsEEEEPS6_SG_NS0_5tupleIJNSA_16discard_iteratorINSA_11use_defaultEEESF_EEENSH_IJSG_SG_EEES6_PlJ7is_evenIsEEEE10hipError_tPvRmT3_T4_T5_T6_T7_T9_mT8_P12ihipStream_tbDpT10_ENKUlT_T0_E_clISt17integral_constantIbLb0EES18_IbLb1EEEEDaS14_S15_EUlS14_E_NS1_11comp_targetILNS1_3genE3ELNS1_11target_archE908ELNS1_3gpuE7ELNS1_3repE0EEENS1_30default_config_static_selectorELNS0_4arch9wavefront6targetE1EEEvT1_ ; -- Begin function _ZN7rocprim17ROCPRIM_400000_NS6detail17trampoline_kernelINS0_14default_configENS1_25partition_config_selectorILNS1_17partition_subalgoE0EsNS0_10empty_typeEbEEZZNS1_14partition_implILS5_0ELb0ES3_jN6thrust23THRUST_200600_302600_NS6detail15normal_iteratorINSA_10device_ptrIsEEEEPS6_SG_NS0_5tupleIJNSA_16discard_iteratorINSA_11use_defaultEEESF_EEENSH_IJSG_SG_EEES6_PlJ7is_evenIsEEEE10hipError_tPvRmT3_T4_T5_T6_T7_T9_mT8_P12ihipStream_tbDpT10_ENKUlT_T0_E_clISt17integral_constantIbLb0EES18_IbLb1EEEEDaS14_S15_EUlS14_E_NS1_11comp_targetILNS1_3genE3ELNS1_11target_archE908ELNS1_3gpuE7ELNS1_3repE0EEENS1_30default_config_static_selectorELNS0_4arch9wavefront6targetE1EEEvT1_
	.globl	_ZN7rocprim17ROCPRIM_400000_NS6detail17trampoline_kernelINS0_14default_configENS1_25partition_config_selectorILNS1_17partition_subalgoE0EsNS0_10empty_typeEbEEZZNS1_14partition_implILS5_0ELb0ES3_jN6thrust23THRUST_200600_302600_NS6detail15normal_iteratorINSA_10device_ptrIsEEEEPS6_SG_NS0_5tupleIJNSA_16discard_iteratorINSA_11use_defaultEEESF_EEENSH_IJSG_SG_EEES6_PlJ7is_evenIsEEEE10hipError_tPvRmT3_T4_T5_T6_T7_T9_mT8_P12ihipStream_tbDpT10_ENKUlT_T0_E_clISt17integral_constantIbLb0EES18_IbLb1EEEEDaS14_S15_EUlS14_E_NS1_11comp_targetILNS1_3genE3ELNS1_11target_archE908ELNS1_3gpuE7ELNS1_3repE0EEENS1_30default_config_static_selectorELNS0_4arch9wavefront6targetE1EEEvT1_
	.p2align	8
	.type	_ZN7rocprim17ROCPRIM_400000_NS6detail17trampoline_kernelINS0_14default_configENS1_25partition_config_selectorILNS1_17partition_subalgoE0EsNS0_10empty_typeEbEEZZNS1_14partition_implILS5_0ELb0ES3_jN6thrust23THRUST_200600_302600_NS6detail15normal_iteratorINSA_10device_ptrIsEEEEPS6_SG_NS0_5tupleIJNSA_16discard_iteratorINSA_11use_defaultEEESF_EEENSH_IJSG_SG_EEES6_PlJ7is_evenIsEEEE10hipError_tPvRmT3_T4_T5_T6_T7_T9_mT8_P12ihipStream_tbDpT10_ENKUlT_T0_E_clISt17integral_constantIbLb0EES18_IbLb1EEEEDaS14_S15_EUlS14_E_NS1_11comp_targetILNS1_3genE3ELNS1_11target_archE908ELNS1_3gpuE7ELNS1_3repE0EEENS1_30default_config_static_selectorELNS0_4arch9wavefront6targetE1EEEvT1_,@function
_ZN7rocprim17ROCPRIM_400000_NS6detail17trampoline_kernelINS0_14default_configENS1_25partition_config_selectorILNS1_17partition_subalgoE0EsNS0_10empty_typeEbEEZZNS1_14partition_implILS5_0ELb0ES3_jN6thrust23THRUST_200600_302600_NS6detail15normal_iteratorINSA_10device_ptrIsEEEEPS6_SG_NS0_5tupleIJNSA_16discard_iteratorINSA_11use_defaultEEESF_EEENSH_IJSG_SG_EEES6_PlJ7is_evenIsEEEE10hipError_tPvRmT3_T4_T5_T6_T7_T9_mT8_P12ihipStream_tbDpT10_ENKUlT_T0_E_clISt17integral_constantIbLb0EES18_IbLb1EEEEDaS14_S15_EUlS14_E_NS1_11comp_targetILNS1_3genE3ELNS1_11target_archE908ELNS1_3gpuE7ELNS1_3repE0EEENS1_30default_config_static_selectorELNS0_4arch9wavefront6targetE1EEEvT1_: ; @_ZN7rocprim17ROCPRIM_400000_NS6detail17trampoline_kernelINS0_14default_configENS1_25partition_config_selectorILNS1_17partition_subalgoE0EsNS0_10empty_typeEbEEZZNS1_14partition_implILS5_0ELb0ES3_jN6thrust23THRUST_200600_302600_NS6detail15normal_iteratorINSA_10device_ptrIsEEEEPS6_SG_NS0_5tupleIJNSA_16discard_iteratorINSA_11use_defaultEEESF_EEENSH_IJSG_SG_EEES6_PlJ7is_evenIsEEEE10hipError_tPvRmT3_T4_T5_T6_T7_T9_mT8_P12ihipStream_tbDpT10_ENKUlT_T0_E_clISt17integral_constantIbLb0EES18_IbLb1EEEEDaS14_S15_EUlS14_E_NS1_11comp_targetILNS1_3genE3ELNS1_11target_archE908ELNS1_3gpuE7ELNS1_3repE0EEENS1_30default_config_static_selectorELNS0_4arch9wavefront6targetE1EEEvT1_
; %bb.0:
	.section	.rodata,"a",@progbits
	.p2align	6, 0x0
	.amdhsa_kernel _ZN7rocprim17ROCPRIM_400000_NS6detail17trampoline_kernelINS0_14default_configENS1_25partition_config_selectorILNS1_17partition_subalgoE0EsNS0_10empty_typeEbEEZZNS1_14partition_implILS5_0ELb0ES3_jN6thrust23THRUST_200600_302600_NS6detail15normal_iteratorINSA_10device_ptrIsEEEEPS6_SG_NS0_5tupleIJNSA_16discard_iteratorINSA_11use_defaultEEESF_EEENSH_IJSG_SG_EEES6_PlJ7is_evenIsEEEE10hipError_tPvRmT3_T4_T5_T6_T7_T9_mT8_P12ihipStream_tbDpT10_ENKUlT_T0_E_clISt17integral_constantIbLb0EES18_IbLb1EEEEDaS14_S15_EUlS14_E_NS1_11comp_targetILNS1_3genE3ELNS1_11target_archE908ELNS1_3gpuE7ELNS1_3repE0EEENS1_30default_config_static_selectorELNS0_4arch9wavefront6targetE1EEEvT1_
		.amdhsa_group_segment_fixed_size 0
		.amdhsa_private_segment_fixed_size 0
		.amdhsa_kernarg_size 144
		.amdhsa_user_sgpr_count 2
		.amdhsa_user_sgpr_dispatch_ptr 0
		.amdhsa_user_sgpr_queue_ptr 0
		.amdhsa_user_sgpr_kernarg_segment_ptr 1
		.amdhsa_user_sgpr_dispatch_id 0
		.amdhsa_user_sgpr_kernarg_preload_length 0
		.amdhsa_user_sgpr_kernarg_preload_offset 0
		.amdhsa_user_sgpr_private_segment_size 0
		.amdhsa_uses_dynamic_stack 0
		.amdhsa_enable_private_segment 0
		.amdhsa_system_sgpr_workgroup_id_x 1
		.amdhsa_system_sgpr_workgroup_id_y 0
		.amdhsa_system_sgpr_workgroup_id_z 0
		.amdhsa_system_sgpr_workgroup_info 0
		.amdhsa_system_vgpr_workitem_id 0
		.amdhsa_next_free_vgpr 1
		.amdhsa_next_free_sgpr 0
		.amdhsa_accum_offset 4
		.amdhsa_reserve_vcc 0
		.amdhsa_float_round_mode_32 0
		.amdhsa_float_round_mode_16_64 0
		.amdhsa_float_denorm_mode_32 3
		.amdhsa_float_denorm_mode_16_64 3
		.amdhsa_dx10_clamp 1
		.amdhsa_ieee_mode 1
		.amdhsa_fp16_overflow 0
		.amdhsa_tg_split 0
		.amdhsa_exception_fp_ieee_invalid_op 0
		.amdhsa_exception_fp_denorm_src 0
		.amdhsa_exception_fp_ieee_div_zero 0
		.amdhsa_exception_fp_ieee_overflow 0
		.amdhsa_exception_fp_ieee_underflow 0
		.amdhsa_exception_fp_ieee_inexact 0
		.amdhsa_exception_int_div_zero 0
	.end_amdhsa_kernel
	.section	.text._ZN7rocprim17ROCPRIM_400000_NS6detail17trampoline_kernelINS0_14default_configENS1_25partition_config_selectorILNS1_17partition_subalgoE0EsNS0_10empty_typeEbEEZZNS1_14partition_implILS5_0ELb0ES3_jN6thrust23THRUST_200600_302600_NS6detail15normal_iteratorINSA_10device_ptrIsEEEEPS6_SG_NS0_5tupleIJNSA_16discard_iteratorINSA_11use_defaultEEESF_EEENSH_IJSG_SG_EEES6_PlJ7is_evenIsEEEE10hipError_tPvRmT3_T4_T5_T6_T7_T9_mT8_P12ihipStream_tbDpT10_ENKUlT_T0_E_clISt17integral_constantIbLb0EES18_IbLb1EEEEDaS14_S15_EUlS14_E_NS1_11comp_targetILNS1_3genE3ELNS1_11target_archE908ELNS1_3gpuE7ELNS1_3repE0EEENS1_30default_config_static_selectorELNS0_4arch9wavefront6targetE1EEEvT1_,"axG",@progbits,_ZN7rocprim17ROCPRIM_400000_NS6detail17trampoline_kernelINS0_14default_configENS1_25partition_config_selectorILNS1_17partition_subalgoE0EsNS0_10empty_typeEbEEZZNS1_14partition_implILS5_0ELb0ES3_jN6thrust23THRUST_200600_302600_NS6detail15normal_iteratorINSA_10device_ptrIsEEEEPS6_SG_NS0_5tupleIJNSA_16discard_iteratorINSA_11use_defaultEEESF_EEENSH_IJSG_SG_EEES6_PlJ7is_evenIsEEEE10hipError_tPvRmT3_T4_T5_T6_T7_T9_mT8_P12ihipStream_tbDpT10_ENKUlT_T0_E_clISt17integral_constantIbLb0EES18_IbLb1EEEEDaS14_S15_EUlS14_E_NS1_11comp_targetILNS1_3genE3ELNS1_11target_archE908ELNS1_3gpuE7ELNS1_3repE0EEENS1_30default_config_static_selectorELNS0_4arch9wavefront6targetE1EEEvT1_,comdat
.Lfunc_end2870:
	.size	_ZN7rocprim17ROCPRIM_400000_NS6detail17trampoline_kernelINS0_14default_configENS1_25partition_config_selectorILNS1_17partition_subalgoE0EsNS0_10empty_typeEbEEZZNS1_14partition_implILS5_0ELb0ES3_jN6thrust23THRUST_200600_302600_NS6detail15normal_iteratorINSA_10device_ptrIsEEEEPS6_SG_NS0_5tupleIJNSA_16discard_iteratorINSA_11use_defaultEEESF_EEENSH_IJSG_SG_EEES6_PlJ7is_evenIsEEEE10hipError_tPvRmT3_T4_T5_T6_T7_T9_mT8_P12ihipStream_tbDpT10_ENKUlT_T0_E_clISt17integral_constantIbLb0EES18_IbLb1EEEEDaS14_S15_EUlS14_E_NS1_11comp_targetILNS1_3genE3ELNS1_11target_archE908ELNS1_3gpuE7ELNS1_3repE0EEENS1_30default_config_static_selectorELNS0_4arch9wavefront6targetE1EEEvT1_, .Lfunc_end2870-_ZN7rocprim17ROCPRIM_400000_NS6detail17trampoline_kernelINS0_14default_configENS1_25partition_config_selectorILNS1_17partition_subalgoE0EsNS0_10empty_typeEbEEZZNS1_14partition_implILS5_0ELb0ES3_jN6thrust23THRUST_200600_302600_NS6detail15normal_iteratorINSA_10device_ptrIsEEEEPS6_SG_NS0_5tupleIJNSA_16discard_iteratorINSA_11use_defaultEEESF_EEENSH_IJSG_SG_EEES6_PlJ7is_evenIsEEEE10hipError_tPvRmT3_T4_T5_T6_T7_T9_mT8_P12ihipStream_tbDpT10_ENKUlT_T0_E_clISt17integral_constantIbLb0EES18_IbLb1EEEEDaS14_S15_EUlS14_E_NS1_11comp_targetILNS1_3genE3ELNS1_11target_archE908ELNS1_3gpuE7ELNS1_3repE0EEENS1_30default_config_static_selectorELNS0_4arch9wavefront6targetE1EEEvT1_
                                        ; -- End function
	.section	.AMDGPU.csdata,"",@progbits
; Kernel info:
; codeLenInByte = 0
; NumSgprs: 6
; NumVgprs: 0
; NumAgprs: 0
; TotalNumVgprs: 0
; ScratchSize: 0
; MemoryBound: 0
; FloatMode: 240
; IeeeMode: 1
; LDSByteSize: 0 bytes/workgroup (compile time only)
; SGPRBlocks: 0
; VGPRBlocks: 0
; NumSGPRsForWavesPerEU: 6
; NumVGPRsForWavesPerEU: 1
; AccumOffset: 4
; Occupancy: 8
; WaveLimiterHint : 0
; COMPUTE_PGM_RSRC2:SCRATCH_EN: 0
; COMPUTE_PGM_RSRC2:USER_SGPR: 2
; COMPUTE_PGM_RSRC2:TRAP_HANDLER: 0
; COMPUTE_PGM_RSRC2:TGID_X_EN: 1
; COMPUTE_PGM_RSRC2:TGID_Y_EN: 0
; COMPUTE_PGM_RSRC2:TGID_Z_EN: 0
; COMPUTE_PGM_RSRC2:TIDIG_COMP_CNT: 0
; COMPUTE_PGM_RSRC3_GFX90A:ACCUM_OFFSET: 0
; COMPUTE_PGM_RSRC3_GFX90A:TG_SPLIT: 0
	.section	.text._ZN7rocprim17ROCPRIM_400000_NS6detail17trampoline_kernelINS0_14default_configENS1_25partition_config_selectorILNS1_17partition_subalgoE0EsNS0_10empty_typeEbEEZZNS1_14partition_implILS5_0ELb0ES3_jN6thrust23THRUST_200600_302600_NS6detail15normal_iteratorINSA_10device_ptrIsEEEEPS6_SG_NS0_5tupleIJNSA_16discard_iteratorINSA_11use_defaultEEESF_EEENSH_IJSG_SG_EEES6_PlJ7is_evenIsEEEE10hipError_tPvRmT3_T4_T5_T6_T7_T9_mT8_P12ihipStream_tbDpT10_ENKUlT_T0_E_clISt17integral_constantIbLb0EES18_IbLb1EEEEDaS14_S15_EUlS14_E_NS1_11comp_targetILNS1_3genE2ELNS1_11target_archE906ELNS1_3gpuE6ELNS1_3repE0EEENS1_30default_config_static_selectorELNS0_4arch9wavefront6targetE1EEEvT1_,"axG",@progbits,_ZN7rocprim17ROCPRIM_400000_NS6detail17trampoline_kernelINS0_14default_configENS1_25partition_config_selectorILNS1_17partition_subalgoE0EsNS0_10empty_typeEbEEZZNS1_14partition_implILS5_0ELb0ES3_jN6thrust23THRUST_200600_302600_NS6detail15normal_iteratorINSA_10device_ptrIsEEEEPS6_SG_NS0_5tupleIJNSA_16discard_iteratorINSA_11use_defaultEEESF_EEENSH_IJSG_SG_EEES6_PlJ7is_evenIsEEEE10hipError_tPvRmT3_T4_T5_T6_T7_T9_mT8_P12ihipStream_tbDpT10_ENKUlT_T0_E_clISt17integral_constantIbLb0EES18_IbLb1EEEEDaS14_S15_EUlS14_E_NS1_11comp_targetILNS1_3genE2ELNS1_11target_archE906ELNS1_3gpuE6ELNS1_3repE0EEENS1_30default_config_static_selectorELNS0_4arch9wavefront6targetE1EEEvT1_,comdat
	.protected	_ZN7rocprim17ROCPRIM_400000_NS6detail17trampoline_kernelINS0_14default_configENS1_25partition_config_selectorILNS1_17partition_subalgoE0EsNS0_10empty_typeEbEEZZNS1_14partition_implILS5_0ELb0ES3_jN6thrust23THRUST_200600_302600_NS6detail15normal_iteratorINSA_10device_ptrIsEEEEPS6_SG_NS0_5tupleIJNSA_16discard_iteratorINSA_11use_defaultEEESF_EEENSH_IJSG_SG_EEES6_PlJ7is_evenIsEEEE10hipError_tPvRmT3_T4_T5_T6_T7_T9_mT8_P12ihipStream_tbDpT10_ENKUlT_T0_E_clISt17integral_constantIbLb0EES18_IbLb1EEEEDaS14_S15_EUlS14_E_NS1_11comp_targetILNS1_3genE2ELNS1_11target_archE906ELNS1_3gpuE6ELNS1_3repE0EEENS1_30default_config_static_selectorELNS0_4arch9wavefront6targetE1EEEvT1_ ; -- Begin function _ZN7rocprim17ROCPRIM_400000_NS6detail17trampoline_kernelINS0_14default_configENS1_25partition_config_selectorILNS1_17partition_subalgoE0EsNS0_10empty_typeEbEEZZNS1_14partition_implILS5_0ELb0ES3_jN6thrust23THRUST_200600_302600_NS6detail15normal_iteratorINSA_10device_ptrIsEEEEPS6_SG_NS0_5tupleIJNSA_16discard_iteratorINSA_11use_defaultEEESF_EEENSH_IJSG_SG_EEES6_PlJ7is_evenIsEEEE10hipError_tPvRmT3_T4_T5_T6_T7_T9_mT8_P12ihipStream_tbDpT10_ENKUlT_T0_E_clISt17integral_constantIbLb0EES18_IbLb1EEEEDaS14_S15_EUlS14_E_NS1_11comp_targetILNS1_3genE2ELNS1_11target_archE906ELNS1_3gpuE6ELNS1_3repE0EEENS1_30default_config_static_selectorELNS0_4arch9wavefront6targetE1EEEvT1_
	.globl	_ZN7rocprim17ROCPRIM_400000_NS6detail17trampoline_kernelINS0_14default_configENS1_25partition_config_selectorILNS1_17partition_subalgoE0EsNS0_10empty_typeEbEEZZNS1_14partition_implILS5_0ELb0ES3_jN6thrust23THRUST_200600_302600_NS6detail15normal_iteratorINSA_10device_ptrIsEEEEPS6_SG_NS0_5tupleIJNSA_16discard_iteratorINSA_11use_defaultEEESF_EEENSH_IJSG_SG_EEES6_PlJ7is_evenIsEEEE10hipError_tPvRmT3_T4_T5_T6_T7_T9_mT8_P12ihipStream_tbDpT10_ENKUlT_T0_E_clISt17integral_constantIbLb0EES18_IbLb1EEEEDaS14_S15_EUlS14_E_NS1_11comp_targetILNS1_3genE2ELNS1_11target_archE906ELNS1_3gpuE6ELNS1_3repE0EEENS1_30default_config_static_selectorELNS0_4arch9wavefront6targetE1EEEvT1_
	.p2align	8
	.type	_ZN7rocprim17ROCPRIM_400000_NS6detail17trampoline_kernelINS0_14default_configENS1_25partition_config_selectorILNS1_17partition_subalgoE0EsNS0_10empty_typeEbEEZZNS1_14partition_implILS5_0ELb0ES3_jN6thrust23THRUST_200600_302600_NS6detail15normal_iteratorINSA_10device_ptrIsEEEEPS6_SG_NS0_5tupleIJNSA_16discard_iteratorINSA_11use_defaultEEESF_EEENSH_IJSG_SG_EEES6_PlJ7is_evenIsEEEE10hipError_tPvRmT3_T4_T5_T6_T7_T9_mT8_P12ihipStream_tbDpT10_ENKUlT_T0_E_clISt17integral_constantIbLb0EES18_IbLb1EEEEDaS14_S15_EUlS14_E_NS1_11comp_targetILNS1_3genE2ELNS1_11target_archE906ELNS1_3gpuE6ELNS1_3repE0EEENS1_30default_config_static_selectorELNS0_4arch9wavefront6targetE1EEEvT1_,@function
_ZN7rocprim17ROCPRIM_400000_NS6detail17trampoline_kernelINS0_14default_configENS1_25partition_config_selectorILNS1_17partition_subalgoE0EsNS0_10empty_typeEbEEZZNS1_14partition_implILS5_0ELb0ES3_jN6thrust23THRUST_200600_302600_NS6detail15normal_iteratorINSA_10device_ptrIsEEEEPS6_SG_NS0_5tupleIJNSA_16discard_iteratorINSA_11use_defaultEEESF_EEENSH_IJSG_SG_EEES6_PlJ7is_evenIsEEEE10hipError_tPvRmT3_T4_T5_T6_T7_T9_mT8_P12ihipStream_tbDpT10_ENKUlT_T0_E_clISt17integral_constantIbLb0EES18_IbLb1EEEEDaS14_S15_EUlS14_E_NS1_11comp_targetILNS1_3genE2ELNS1_11target_archE906ELNS1_3gpuE6ELNS1_3repE0EEENS1_30default_config_static_selectorELNS0_4arch9wavefront6targetE1EEEvT1_: ; @_ZN7rocprim17ROCPRIM_400000_NS6detail17trampoline_kernelINS0_14default_configENS1_25partition_config_selectorILNS1_17partition_subalgoE0EsNS0_10empty_typeEbEEZZNS1_14partition_implILS5_0ELb0ES3_jN6thrust23THRUST_200600_302600_NS6detail15normal_iteratorINSA_10device_ptrIsEEEEPS6_SG_NS0_5tupleIJNSA_16discard_iteratorINSA_11use_defaultEEESF_EEENSH_IJSG_SG_EEES6_PlJ7is_evenIsEEEE10hipError_tPvRmT3_T4_T5_T6_T7_T9_mT8_P12ihipStream_tbDpT10_ENKUlT_T0_E_clISt17integral_constantIbLb0EES18_IbLb1EEEEDaS14_S15_EUlS14_E_NS1_11comp_targetILNS1_3genE2ELNS1_11target_archE906ELNS1_3gpuE6ELNS1_3repE0EEENS1_30default_config_static_selectorELNS0_4arch9wavefront6targetE1EEEvT1_
; %bb.0:
	.section	.rodata,"a",@progbits
	.p2align	6, 0x0
	.amdhsa_kernel _ZN7rocprim17ROCPRIM_400000_NS6detail17trampoline_kernelINS0_14default_configENS1_25partition_config_selectorILNS1_17partition_subalgoE0EsNS0_10empty_typeEbEEZZNS1_14partition_implILS5_0ELb0ES3_jN6thrust23THRUST_200600_302600_NS6detail15normal_iteratorINSA_10device_ptrIsEEEEPS6_SG_NS0_5tupleIJNSA_16discard_iteratorINSA_11use_defaultEEESF_EEENSH_IJSG_SG_EEES6_PlJ7is_evenIsEEEE10hipError_tPvRmT3_T4_T5_T6_T7_T9_mT8_P12ihipStream_tbDpT10_ENKUlT_T0_E_clISt17integral_constantIbLb0EES18_IbLb1EEEEDaS14_S15_EUlS14_E_NS1_11comp_targetILNS1_3genE2ELNS1_11target_archE906ELNS1_3gpuE6ELNS1_3repE0EEENS1_30default_config_static_selectorELNS0_4arch9wavefront6targetE1EEEvT1_
		.amdhsa_group_segment_fixed_size 0
		.amdhsa_private_segment_fixed_size 0
		.amdhsa_kernarg_size 144
		.amdhsa_user_sgpr_count 2
		.amdhsa_user_sgpr_dispatch_ptr 0
		.amdhsa_user_sgpr_queue_ptr 0
		.amdhsa_user_sgpr_kernarg_segment_ptr 1
		.amdhsa_user_sgpr_dispatch_id 0
		.amdhsa_user_sgpr_kernarg_preload_length 0
		.amdhsa_user_sgpr_kernarg_preload_offset 0
		.amdhsa_user_sgpr_private_segment_size 0
		.amdhsa_uses_dynamic_stack 0
		.amdhsa_enable_private_segment 0
		.amdhsa_system_sgpr_workgroup_id_x 1
		.amdhsa_system_sgpr_workgroup_id_y 0
		.amdhsa_system_sgpr_workgroup_id_z 0
		.amdhsa_system_sgpr_workgroup_info 0
		.amdhsa_system_vgpr_workitem_id 0
		.amdhsa_next_free_vgpr 1
		.amdhsa_next_free_sgpr 0
		.amdhsa_accum_offset 4
		.amdhsa_reserve_vcc 0
		.amdhsa_float_round_mode_32 0
		.amdhsa_float_round_mode_16_64 0
		.amdhsa_float_denorm_mode_32 3
		.amdhsa_float_denorm_mode_16_64 3
		.amdhsa_dx10_clamp 1
		.amdhsa_ieee_mode 1
		.amdhsa_fp16_overflow 0
		.amdhsa_tg_split 0
		.amdhsa_exception_fp_ieee_invalid_op 0
		.amdhsa_exception_fp_denorm_src 0
		.amdhsa_exception_fp_ieee_div_zero 0
		.amdhsa_exception_fp_ieee_overflow 0
		.amdhsa_exception_fp_ieee_underflow 0
		.amdhsa_exception_fp_ieee_inexact 0
		.amdhsa_exception_int_div_zero 0
	.end_amdhsa_kernel
	.section	.text._ZN7rocprim17ROCPRIM_400000_NS6detail17trampoline_kernelINS0_14default_configENS1_25partition_config_selectorILNS1_17partition_subalgoE0EsNS0_10empty_typeEbEEZZNS1_14partition_implILS5_0ELb0ES3_jN6thrust23THRUST_200600_302600_NS6detail15normal_iteratorINSA_10device_ptrIsEEEEPS6_SG_NS0_5tupleIJNSA_16discard_iteratorINSA_11use_defaultEEESF_EEENSH_IJSG_SG_EEES6_PlJ7is_evenIsEEEE10hipError_tPvRmT3_T4_T5_T6_T7_T9_mT8_P12ihipStream_tbDpT10_ENKUlT_T0_E_clISt17integral_constantIbLb0EES18_IbLb1EEEEDaS14_S15_EUlS14_E_NS1_11comp_targetILNS1_3genE2ELNS1_11target_archE906ELNS1_3gpuE6ELNS1_3repE0EEENS1_30default_config_static_selectorELNS0_4arch9wavefront6targetE1EEEvT1_,"axG",@progbits,_ZN7rocprim17ROCPRIM_400000_NS6detail17trampoline_kernelINS0_14default_configENS1_25partition_config_selectorILNS1_17partition_subalgoE0EsNS0_10empty_typeEbEEZZNS1_14partition_implILS5_0ELb0ES3_jN6thrust23THRUST_200600_302600_NS6detail15normal_iteratorINSA_10device_ptrIsEEEEPS6_SG_NS0_5tupleIJNSA_16discard_iteratorINSA_11use_defaultEEESF_EEENSH_IJSG_SG_EEES6_PlJ7is_evenIsEEEE10hipError_tPvRmT3_T4_T5_T6_T7_T9_mT8_P12ihipStream_tbDpT10_ENKUlT_T0_E_clISt17integral_constantIbLb0EES18_IbLb1EEEEDaS14_S15_EUlS14_E_NS1_11comp_targetILNS1_3genE2ELNS1_11target_archE906ELNS1_3gpuE6ELNS1_3repE0EEENS1_30default_config_static_selectorELNS0_4arch9wavefront6targetE1EEEvT1_,comdat
.Lfunc_end2871:
	.size	_ZN7rocprim17ROCPRIM_400000_NS6detail17trampoline_kernelINS0_14default_configENS1_25partition_config_selectorILNS1_17partition_subalgoE0EsNS0_10empty_typeEbEEZZNS1_14partition_implILS5_0ELb0ES3_jN6thrust23THRUST_200600_302600_NS6detail15normal_iteratorINSA_10device_ptrIsEEEEPS6_SG_NS0_5tupleIJNSA_16discard_iteratorINSA_11use_defaultEEESF_EEENSH_IJSG_SG_EEES6_PlJ7is_evenIsEEEE10hipError_tPvRmT3_T4_T5_T6_T7_T9_mT8_P12ihipStream_tbDpT10_ENKUlT_T0_E_clISt17integral_constantIbLb0EES18_IbLb1EEEEDaS14_S15_EUlS14_E_NS1_11comp_targetILNS1_3genE2ELNS1_11target_archE906ELNS1_3gpuE6ELNS1_3repE0EEENS1_30default_config_static_selectorELNS0_4arch9wavefront6targetE1EEEvT1_, .Lfunc_end2871-_ZN7rocprim17ROCPRIM_400000_NS6detail17trampoline_kernelINS0_14default_configENS1_25partition_config_selectorILNS1_17partition_subalgoE0EsNS0_10empty_typeEbEEZZNS1_14partition_implILS5_0ELb0ES3_jN6thrust23THRUST_200600_302600_NS6detail15normal_iteratorINSA_10device_ptrIsEEEEPS6_SG_NS0_5tupleIJNSA_16discard_iteratorINSA_11use_defaultEEESF_EEENSH_IJSG_SG_EEES6_PlJ7is_evenIsEEEE10hipError_tPvRmT3_T4_T5_T6_T7_T9_mT8_P12ihipStream_tbDpT10_ENKUlT_T0_E_clISt17integral_constantIbLb0EES18_IbLb1EEEEDaS14_S15_EUlS14_E_NS1_11comp_targetILNS1_3genE2ELNS1_11target_archE906ELNS1_3gpuE6ELNS1_3repE0EEENS1_30default_config_static_selectorELNS0_4arch9wavefront6targetE1EEEvT1_
                                        ; -- End function
	.section	.AMDGPU.csdata,"",@progbits
; Kernel info:
; codeLenInByte = 0
; NumSgprs: 6
; NumVgprs: 0
; NumAgprs: 0
; TotalNumVgprs: 0
; ScratchSize: 0
; MemoryBound: 0
; FloatMode: 240
; IeeeMode: 1
; LDSByteSize: 0 bytes/workgroup (compile time only)
; SGPRBlocks: 0
; VGPRBlocks: 0
; NumSGPRsForWavesPerEU: 6
; NumVGPRsForWavesPerEU: 1
; AccumOffset: 4
; Occupancy: 8
; WaveLimiterHint : 0
; COMPUTE_PGM_RSRC2:SCRATCH_EN: 0
; COMPUTE_PGM_RSRC2:USER_SGPR: 2
; COMPUTE_PGM_RSRC2:TRAP_HANDLER: 0
; COMPUTE_PGM_RSRC2:TGID_X_EN: 1
; COMPUTE_PGM_RSRC2:TGID_Y_EN: 0
; COMPUTE_PGM_RSRC2:TGID_Z_EN: 0
; COMPUTE_PGM_RSRC2:TIDIG_COMP_CNT: 0
; COMPUTE_PGM_RSRC3_GFX90A:ACCUM_OFFSET: 0
; COMPUTE_PGM_RSRC3_GFX90A:TG_SPLIT: 0
	.section	.text._ZN7rocprim17ROCPRIM_400000_NS6detail17trampoline_kernelINS0_14default_configENS1_25partition_config_selectorILNS1_17partition_subalgoE0EsNS0_10empty_typeEbEEZZNS1_14partition_implILS5_0ELb0ES3_jN6thrust23THRUST_200600_302600_NS6detail15normal_iteratorINSA_10device_ptrIsEEEEPS6_SG_NS0_5tupleIJNSA_16discard_iteratorINSA_11use_defaultEEESF_EEENSH_IJSG_SG_EEES6_PlJ7is_evenIsEEEE10hipError_tPvRmT3_T4_T5_T6_T7_T9_mT8_P12ihipStream_tbDpT10_ENKUlT_T0_E_clISt17integral_constantIbLb0EES18_IbLb1EEEEDaS14_S15_EUlS14_E_NS1_11comp_targetILNS1_3genE10ELNS1_11target_archE1200ELNS1_3gpuE4ELNS1_3repE0EEENS1_30default_config_static_selectorELNS0_4arch9wavefront6targetE1EEEvT1_,"axG",@progbits,_ZN7rocprim17ROCPRIM_400000_NS6detail17trampoline_kernelINS0_14default_configENS1_25partition_config_selectorILNS1_17partition_subalgoE0EsNS0_10empty_typeEbEEZZNS1_14partition_implILS5_0ELb0ES3_jN6thrust23THRUST_200600_302600_NS6detail15normal_iteratorINSA_10device_ptrIsEEEEPS6_SG_NS0_5tupleIJNSA_16discard_iteratorINSA_11use_defaultEEESF_EEENSH_IJSG_SG_EEES6_PlJ7is_evenIsEEEE10hipError_tPvRmT3_T4_T5_T6_T7_T9_mT8_P12ihipStream_tbDpT10_ENKUlT_T0_E_clISt17integral_constantIbLb0EES18_IbLb1EEEEDaS14_S15_EUlS14_E_NS1_11comp_targetILNS1_3genE10ELNS1_11target_archE1200ELNS1_3gpuE4ELNS1_3repE0EEENS1_30default_config_static_selectorELNS0_4arch9wavefront6targetE1EEEvT1_,comdat
	.protected	_ZN7rocprim17ROCPRIM_400000_NS6detail17trampoline_kernelINS0_14default_configENS1_25partition_config_selectorILNS1_17partition_subalgoE0EsNS0_10empty_typeEbEEZZNS1_14partition_implILS5_0ELb0ES3_jN6thrust23THRUST_200600_302600_NS6detail15normal_iteratorINSA_10device_ptrIsEEEEPS6_SG_NS0_5tupleIJNSA_16discard_iteratorINSA_11use_defaultEEESF_EEENSH_IJSG_SG_EEES6_PlJ7is_evenIsEEEE10hipError_tPvRmT3_T4_T5_T6_T7_T9_mT8_P12ihipStream_tbDpT10_ENKUlT_T0_E_clISt17integral_constantIbLb0EES18_IbLb1EEEEDaS14_S15_EUlS14_E_NS1_11comp_targetILNS1_3genE10ELNS1_11target_archE1200ELNS1_3gpuE4ELNS1_3repE0EEENS1_30default_config_static_selectorELNS0_4arch9wavefront6targetE1EEEvT1_ ; -- Begin function _ZN7rocprim17ROCPRIM_400000_NS6detail17trampoline_kernelINS0_14default_configENS1_25partition_config_selectorILNS1_17partition_subalgoE0EsNS0_10empty_typeEbEEZZNS1_14partition_implILS5_0ELb0ES3_jN6thrust23THRUST_200600_302600_NS6detail15normal_iteratorINSA_10device_ptrIsEEEEPS6_SG_NS0_5tupleIJNSA_16discard_iteratorINSA_11use_defaultEEESF_EEENSH_IJSG_SG_EEES6_PlJ7is_evenIsEEEE10hipError_tPvRmT3_T4_T5_T6_T7_T9_mT8_P12ihipStream_tbDpT10_ENKUlT_T0_E_clISt17integral_constantIbLb0EES18_IbLb1EEEEDaS14_S15_EUlS14_E_NS1_11comp_targetILNS1_3genE10ELNS1_11target_archE1200ELNS1_3gpuE4ELNS1_3repE0EEENS1_30default_config_static_selectorELNS0_4arch9wavefront6targetE1EEEvT1_
	.globl	_ZN7rocprim17ROCPRIM_400000_NS6detail17trampoline_kernelINS0_14default_configENS1_25partition_config_selectorILNS1_17partition_subalgoE0EsNS0_10empty_typeEbEEZZNS1_14partition_implILS5_0ELb0ES3_jN6thrust23THRUST_200600_302600_NS6detail15normal_iteratorINSA_10device_ptrIsEEEEPS6_SG_NS0_5tupleIJNSA_16discard_iteratorINSA_11use_defaultEEESF_EEENSH_IJSG_SG_EEES6_PlJ7is_evenIsEEEE10hipError_tPvRmT3_T4_T5_T6_T7_T9_mT8_P12ihipStream_tbDpT10_ENKUlT_T0_E_clISt17integral_constantIbLb0EES18_IbLb1EEEEDaS14_S15_EUlS14_E_NS1_11comp_targetILNS1_3genE10ELNS1_11target_archE1200ELNS1_3gpuE4ELNS1_3repE0EEENS1_30default_config_static_selectorELNS0_4arch9wavefront6targetE1EEEvT1_
	.p2align	8
	.type	_ZN7rocprim17ROCPRIM_400000_NS6detail17trampoline_kernelINS0_14default_configENS1_25partition_config_selectorILNS1_17partition_subalgoE0EsNS0_10empty_typeEbEEZZNS1_14partition_implILS5_0ELb0ES3_jN6thrust23THRUST_200600_302600_NS6detail15normal_iteratorINSA_10device_ptrIsEEEEPS6_SG_NS0_5tupleIJNSA_16discard_iteratorINSA_11use_defaultEEESF_EEENSH_IJSG_SG_EEES6_PlJ7is_evenIsEEEE10hipError_tPvRmT3_T4_T5_T6_T7_T9_mT8_P12ihipStream_tbDpT10_ENKUlT_T0_E_clISt17integral_constantIbLb0EES18_IbLb1EEEEDaS14_S15_EUlS14_E_NS1_11comp_targetILNS1_3genE10ELNS1_11target_archE1200ELNS1_3gpuE4ELNS1_3repE0EEENS1_30default_config_static_selectorELNS0_4arch9wavefront6targetE1EEEvT1_,@function
_ZN7rocprim17ROCPRIM_400000_NS6detail17trampoline_kernelINS0_14default_configENS1_25partition_config_selectorILNS1_17partition_subalgoE0EsNS0_10empty_typeEbEEZZNS1_14partition_implILS5_0ELb0ES3_jN6thrust23THRUST_200600_302600_NS6detail15normal_iteratorINSA_10device_ptrIsEEEEPS6_SG_NS0_5tupleIJNSA_16discard_iteratorINSA_11use_defaultEEESF_EEENSH_IJSG_SG_EEES6_PlJ7is_evenIsEEEE10hipError_tPvRmT3_T4_T5_T6_T7_T9_mT8_P12ihipStream_tbDpT10_ENKUlT_T0_E_clISt17integral_constantIbLb0EES18_IbLb1EEEEDaS14_S15_EUlS14_E_NS1_11comp_targetILNS1_3genE10ELNS1_11target_archE1200ELNS1_3gpuE4ELNS1_3repE0EEENS1_30default_config_static_selectorELNS0_4arch9wavefront6targetE1EEEvT1_: ; @_ZN7rocprim17ROCPRIM_400000_NS6detail17trampoline_kernelINS0_14default_configENS1_25partition_config_selectorILNS1_17partition_subalgoE0EsNS0_10empty_typeEbEEZZNS1_14partition_implILS5_0ELb0ES3_jN6thrust23THRUST_200600_302600_NS6detail15normal_iteratorINSA_10device_ptrIsEEEEPS6_SG_NS0_5tupleIJNSA_16discard_iteratorINSA_11use_defaultEEESF_EEENSH_IJSG_SG_EEES6_PlJ7is_evenIsEEEE10hipError_tPvRmT3_T4_T5_T6_T7_T9_mT8_P12ihipStream_tbDpT10_ENKUlT_T0_E_clISt17integral_constantIbLb0EES18_IbLb1EEEEDaS14_S15_EUlS14_E_NS1_11comp_targetILNS1_3genE10ELNS1_11target_archE1200ELNS1_3gpuE4ELNS1_3repE0EEENS1_30default_config_static_selectorELNS0_4arch9wavefront6targetE1EEEvT1_
; %bb.0:
	.section	.rodata,"a",@progbits
	.p2align	6, 0x0
	.amdhsa_kernel _ZN7rocprim17ROCPRIM_400000_NS6detail17trampoline_kernelINS0_14default_configENS1_25partition_config_selectorILNS1_17partition_subalgoE0EsNS0_10empty_typeEbEEZZNS1_14partition_implILS5_0ELb0ES3_jN6thrust23THRUST_200600_302600_NS6detail15normal_iteratorINSA_10device_ptrIsEEEEPS6_SG_NS0_5tupleIJNSA_16discard_iteratorINSA_11use_defaultEEESF_EEENSH_IJSG_SG_EEES6_PlJ7is_evenIsEEEE10hipError_tPvRmT3_T4_T5_T6_T7_T9_mT8_P12ihipStream_tbDpT10_ENKUlT_T0_E_clISt17integral_constantIbLb0EES18_IbLb1EEEEDaS14_S15_EUlS14_E_NS1_11comp_targetILNS1_3genE10ELNS1_11target_archE1200ELNS1_3gpuE4ELNS1_3repE0EEENS1_30default_config_static_selectorELNS0_4arch9wavefront6targetE1EEEvT1_
		.amdhsa_group_segment_fixed_size 0
		.amdhsa_private_segment_fixed_size 0
		.amdhsa_kernarg_size 144
		.amdhsa_user_sgpr_count 2
		.amdhsa_user_sgpr_dispatch_ptr 0
		.amdhsa_user_sgpr_queue_ptr 0
		.amdhsa_user_sgpr_kernarg_segment_ptr 1
		.amdhsa_user_sgpr_dispatch_id 0
		.amdhsa_user_sgpr_kernarg_preload_length 0
		.amdhsa_user_sgpr_kernarg_preload_offset 0
		.amdhsa_user_sgpr_private_segment_size 0
		.amdhsa_uses_dynamic_stack 0
		.amdhsa_enable_private_segment 0
		.amdhsa_system_sgpr_workgroup_id_x 1
		.amdhsa_system_sgpr_workgroup_id_y 0
		.amdhsa_system_sgpr_workgroup_id_z 0
		.amdhsa_system_sgpr_workgroup_info 0
		.amdhsa_system_vgpr_workitem_id 0
		.amdhsa_next_free_vgpr 1
		.amdhsa_next_free_sgpr 0
		.amdhsa_accum_offset 4
		.amdhsa_reserve_vcc 0
		.amdhsa_float_round_mode_32 0
		.amdhsa_float_round_mode_16_64 0
		.amdhsa_float_denorm_mode_32 3
		.amdhsa_float_denorm_mode_16_64 3
		.amdhsa_dx10_clamp 1
		.amdhsa_ieee_mode 1
		.amdhsa_fp16_overflow 0
		.amdhsa_tg_split 0
		.amdhsa_exception_fp_ieee_invalid_op 0
		.amdhsa_exception_fp_denorm_src 0
		.amdhsa_exception_fp_ieee_div_zero 0
		.amdhsa_exception_fp_ieee_overflow 0
		.amdhsa_exception_fp_ieee_underflow 0
		.amdhsa_exception_fp_ieee_inexact 0
		.amdhsa_exception_int_div_zero 0
	.end_amdhsa_kernel
	.section	.text._ZN7rocprim17ROCPRIM_400000_NS6detail17trampoline_kernelINS0_14default_configENS1_25partition_config_selectorILNS1_17partition_subalgoE0EsNS0_10empty_typeEbEEZZNS1_14partition_implILS5_0ELb0ES3_jN6thrust23THRUST_200600_302600_NS6detail15normal_iteratorINSA_10device_ptrIsEEEEPS6_SG_NS0_5tupleIJNSA_16discard_iteratorINSA_11use_defaultEEESF_EEENSH_IJSG_SG_EEES6_PlJ7is_evenIsEEEE10hipError_tPvRmT3_T4_T5_T6_T7_T9_mT8_P12ihipStream_tbDpT10_ENKUlT_T0_E_clISt17integral_constantIbLb0EES18_IbLb1EEEEDaS14_S15_EUlS14_E_NS1_11comp_targetILNS1_3genE10ELNS1_11target_archE1200ELNS1_3gpuE4ELNS1_3repE0EEENS1_30default_config_static_selectorELNS0_4arch9wavefront6targetE1EEEvT1_,"axG",@progbits,_ZN7rocprim17ROCPRIM_400000_NS6detail17trampoline_kernelINS0_14default_configENS1_25partition_config_selectorILNS1_17partition_subalgoE0EsNS0_10empty_typeEbEEZZNS1_14partition_implILS5_0ELb0ES3_jN6thrust23THRUST_200600_302600_NS6detail15normal_iteratorINSA_10device_ptrIsEEEEPS6_SG_NS0_5tupleIJNSA_16discard_iteratorINSA_11use_defaultEEESF_EEENSH_IJSG_SG_EEES6_PlJ7is_evenIsEEEE10hipError_tPvRmT3_T4_T5_T6_T7_T9_mT8_P12ihipStream_tbDpT10_ENKUlT_T0_E_clISt17integral_constantIbLb0EES18_IbLb1EEEEDaS14_S15_EUlS14_E_NS1_11comp_targetILNS1_3genE10ELNS1_11target_archE1200ELNS1_3gpuE4ELNS1_3repE0EEENS1_30default_config_static_selectorELNS0_4arch9wavefront6targetE1EEEvT1_,comdat
.Lfunc_end2872:
	.size	_ZN7rocprim17ROCPRIM_400000_NS6detail17trampoline_kernelINS0_14default_configENS1_25partition_config_selectorILNS1_17partition_subalgoE0EsNS0_10empty_typeEbEEZZNS1_14partition_implILS5_0ELb0ES3_jN6thrust23THRUST_200600_302600_NS6detail15normal_iteratorINSA_10device_ptrIsEEEEPS6_SG_NS0_5tupleIJNSA_16discard_iteratorINSA_11use_defaultEEESF_EEENSH_IJSG_SG_EEES6_PlJ7is_evenIsEEEE10hipError_tPvRmT3_T4_T5_T6_T7_T9_mT8_P12ihipStream_tbDpT10_ENKUlT_T0_E_clISt17integral_constantIbLb0EES18_IbLb1EEEEDaS14_S15_EUlS14_E_NS1_11comp_targetILNS1_3genE10ELNS1_11target_archE1200ELNS1_3gpuE4ELNS1_3repE0EEENS1_30default_config_static_selectorELNS0_4arch9wavefront6targetE1EEEvT1_, .Lfunc_end2872-_ZN7rocprim17ROCPRIM_400000_NS6detail17trampoline_kernelINS0_14default_configENS1_25partition_config_selectorILNS1_17partition_subalgoE0EsNS0_10empty_typeEbEEZZNS1_14partition_implILS5_0ELb0ES3_jN6thrust23THRUST_200600_302600_NS6detail15normal_iteratorINSA_10device_ptrIsEEEEPS6_SG_NS0_5tupleIJNSA_16discard_iteratorINSA_11use_defaultEEESF_EEENSH_IJSG_SG_EEES6_PlJ7is_evenIsEEEE10hipError_tPvRmT3_T4_T5_T6_T7_T9_mT8_P12ihipStream_tbDpT10_ENKUlT_T0_E_clISt17integral_constantIbLb0EES18_IbLb1EEEEDaS14_S15_EUlS14_E_NS1_11comp_targetILNS1_3genE10ELNS1_11target_archE1200ELNS1_3gpuE4ELNS1_3repE0EEENS1_30default_config_static_selectorELNS0_4arch9wavefront6targetE1EEEvT1_
                                        ; -- End function
	.section	.AMDGPU.csdata,"",@progbits
; Kernel info:
; codeLenInByte = 0
; NumSgprs: 6
; NumVgprs: 0
; NumAgprs: 0
; TotalNumVgprs: 0
; ScratchSize: 0
; MemoryBound: 0
; FloatMode: 240
; IeeeMode: 1
; LDSByteSize: 0 bytes/workgroup (compile time only)
; SGPRBlocks: 0
; VGPRBlocks: 0
; NumSGPRsForWavesPerEU: 6
; NumVGPRsForWavesPerEU: 1
; AccumOffset: 4
; Occupancy: 8
; WaveLimiterHint : 0
; COMPUTE_PGM_RSRC2:SCRATCH_EN: 0
; COMPUTE_PGM_RSRC2:USER_SGPR: 2
; COMPUTE_PGM_RSRC2:TRAP_HANDLER: 0
; COMPUTE_PGM_RSRC2:TGID_X_EN: 1
; COMPUTE_PGM_RSRC2:TGID_Y_EN: 0
; COMPUTE_PGM_RSRC2:TGID_Z_EN: 0
; COMPUTE_PGM_RSRC2:TIDIG_COMP_CNT: 0
; COMPUTE_PGM_RSRC3_GFX90A:ACCUM_OFFSET: 0
; COMPUTE_PGM_RSRC3_GFX90A:TG_SPLIT: 0
	.section	.text._ZN7rocprim17ROCPRIM_400000_NS6detail17trampoline_kernelINS0_14default_configENS1_25partition_config_selectorILNS1_17partition_subalgoE0EsNS0_10empty_typeEbEEZZNS1_14partition_implILS5_0ELb0ES3_jN6thrust23THRUST_200600_302600_NS6detail15normal_iteratorINSA_10device_ptrIsEEEEPS6_SG_NS0_5tupleIJNSA_16discard_iteratorINSA_11use_defaultEEESF_EEENSH_IJSG_SG_EEES6_PlJ7is_evenIsEEEE10hipError_tPvRmT3_T4_T5_T6_T7_T9_mT8_P12ihipStream_tbDpT10_ENKUlT_T0_E_clISt17integral_constantIbLb0EES18_IbLb1EEEEDaS14_S15_EUlS14_E_NS1_11comp_targetILNS1_3genE9ELNS1_11target_archE1100ELNS1_3gpuE3ELNS1_3repE0EEENS1_30default_config_static_selectorELNS0_4arch9wavefront6targetE1EEEvT1_,"axG",@progbits,_ZN7rocprim17ROCPRIM_400000_NS6detail17trampoline_kernelINS0_14default_configENS1_25partition_config_selectorILNS1_17partition_subalgoE0EsNS0_10empty_typeEbEEZZNS1_14partition_implILS5_0ELb0ES3_jN6thrust23THRUST_200600_302600_NS6detail15normal_iteratorINSA_10device_ptrIsEEEEPS6_SG_NS0_5tupleIJNSA_16discard_iteratorINSA_11use_defaultEEESF_EEENSH_IJSG_SG_EEES6_PlJ7is_evenIsEEEE10hipError_tPvRmT3_T4_T5_T6_T7_T9_mT8_P12ihipStream_tbDpT10_ENKUlT_T0_E_clISt17integral_constantIbLb0EES18_IbLb1EEEEDaS14_S15_EUlS14_E_NS1_11comp_targetILNS1_3genE9ELNS1_11target_archE1100ELNS1_3gpuE3ELNS1_3repE0EEENS1_30default_config_static_selectorELNS0_4arch9wavefront6targetE1EEEvT1_,comdat
	.protected	_ZN7rocprim17ROCPRIM_400000_NS6detail17trampoline_kernelINS0_14default_configENS1_25partition_config_selectorILNS1_17partition_subalgoE0EsNS0_10empty_typeEbEEZZNS1_14partition_implILS5_0ELb0ES3_jN6thrust23THRUST_200600_302600_NS6detail15normal_iteratorINSA_10device_ptrIsEEEEPS6_SG_NS0_5tupleIJNSA_16discard_iteratorINSA_11use_defaultEEESF_EEENSH_IJSG_SG_EEES6_PlJ7is_evenIsEEEE10hipError_tPvRmT3_T4_T5_T6_T7_T9_mT8_P12ihipStream_tbDpT10_ENKUlT_T0_E_clISt17integral_constantIbLb0EES18_IbLb1EEEEDaS14_S15_EUlS14_E_NS1_11comp_targetILNS1_3genE9ELNS1_11target_archE1100ELNS1_3gpuE3ELNS1_3repE0EEENS1_30default_config_static_selectorELNS0_4arch9wavefront6targetE1EEEvT1_ ; -- Begin function _ZN7rocprim17ROCPRIM_400000_NS6detail17trampoline_kernelINS0_14default_configENS1_25partition_config_selectorILNS1_17partition_subalgoE0EsNS0_10empty_typeEbEEZZNS1_14partition_implILS5_0ELb0ES3_jN6thrust23THRUST_200600_302600_NS6detail15normal_iteratorINSA_10device_ptrIsEEEEPS6_SG_NS0_5tupleIJNSA_16discard_iteratorINSA_11use_defaultEEESF_EEENSH_IJSG_SG_EEES6_PlJ7is_evenIsEEEE10hipError_tPvRmT3_T4_T5_T6_T7_T9_mT8_P12ihipStream_tbDpT10_ENKUlT_T0_E_clISt17integral_constantIbLb0EES18_IbLb1EEEEDaS14_S15_EUlS14_E_NS1_11comp_targetILNS1_3genE9ELNS1_11target_archE1100ELNS1_3gpuE3ELNS1_3repE0EEENS1_30default_config_static_selectorELNS0_4arch9wavefront6targetE1EEEvT1_
	.globl	_ZN7rocprim17ROCPRIM_400000_NS6detail17trampoline_kernelINS0_14default_configENS1_25partition_config_selectorILNS1_17partition_subalgoE0EsNS0_10empty_typeEbEEZZNS1_14partition_implILS5_0ELb0ES3_jN6thrust23THRUST_200600_302600_NS6detail15normal_iteratorINSA_10device_ptrIsEEEEPS6_SG_NS0_5tupleIJNSA_16discard_iteratorINSA_11use_defaultEEESF_EEENSH_IJSG_SG_EEES6_PlJ7is_evenIsEEEE10hipError_tPvRmT3_T4_T5_T6_T7_T9_mT8_P12ihipStream_tbDpT10_ENKUlT_T0_E_clISt17integral_constantIbLb0EES18_IbLb1EEEEDaS14_S15_EUlS14_E_NS1_11comp_targetILNS1_3genE9ELNS1_11target_archE1100ELNS1_3gpuE3ELNS1_3repE0EEENS1_30default_config_static_selectorELNS0_4arch9wavefront6targetE1EEEvT1_
	.p2align	8
	.type	_ZN7rocprim17ROCPRIM_400000_NS6detail17trampoline_kernelINS0_14default_configENS1_25partition_config_selectorILNS1_17partition_subalgoE0EsNS0_10empty_typeEbEEZZNS1_14partition_implILS5_0ELb0ES3_jN6thrust23THRUST_200600_302600_NS6detail15normal_iteratorINSA_10device_ptrIsEEEEPS6_SG_NS0_5tupleIJNSA_16discard_iteratorINSA_11use_defaultEEESF_EEENSH_IJSG_SG_EEES6_PlJ7is_evenIsEEEE10hipError_tPvRmT3_T4_T5_T6_T7_T9_mT8_P12ihipStream_tbDpT10_ENKUlT_T0_E_clISt17integral_constantIbLb0EES18_IbLb1EEEEDaS14_S15_EUlS14_E_NS1_11comp_targetILNS1_3genE9ELNS1_11target_archE1100ELNS1_3gpuE3ELNS1_3repE0EEENS1_30default_config_static_selectorELNS0_4arch9wavefront6targetE1EEEvT1_,@function
_ZN7rocprim17ROCPRIM_400000_NS6detail17trampoline_kernelINS0_14default_configENS1_25partition_config_selectorILNS1_17partition_subalgoE0EsNS0_10empty_typeEbEEZZNS1_14partition_implILS5_0ELb0ES3_jN6thrust23THRUST_200600_302600_NS6detail15normal_iteratorINSA_10device_ptrIsEEEEPS6_SG_NS0_5tupleIJNSA_16discard_iteratorINSA_11use_defaultEEESF_EEENSH_IJSG_SG_EEES6_PlJ7is_evenIsEEEE10hipError_tPvRmT3_T4_T5_T6_T7_T9_mT8_P12ihipStream_tbDpT10_ENKUlT_T0_E_clISt17integral_constantIbLb0EES18_IbLb1EEEEDaS14_S15_EUlS14_E_NS1_11comp_targetILNS1_3genE9ELNS1_11target_archE1100ELNS1_3gpuE3ELNS1_3repE0EEENS1_30default_config_static_selectorELNS0_4arch9wavefront6targetE1EEEvT1_: ; @_ZN7rocprim17ROCPRIM_400000_NS6detail17trampoline_kernelINS0_14default_configENS1_25partition_config_selectorILNS1_17partition_subalgoE0EsNS0_10empty_typeEbEEZZNS1_14partition_implILS5_0ELb0ES3_jN6thrust23THRUST_200600_302600_NS6detail15normal_iteratorINSA_10device_ptrIsEEEEPS6_SG_NS0_5tupleIJNSA_16discard_iteratorINSA_11use_defaultEEESF_EEENSH_IJSG_SG_EEES6_PlJ7is_evenIsEEEE10hipError_tPvRmT3_T4_T5_T6_T7_T9_mT8_P12ihipStream_tbDpT10_ENKUlT_T0_E_clISt17integral_constantIbLb0EES18_IbLb1EEEEDaS14_S15_EUlS14_E_NS1_11comp_targetILNS1_3genE9ELNS1_11target_archE1100ELNS1_3gpuE3ELNS1_3repE0EEENS1_30default_config_static_selectorELNS0_4arch9wavefront6targetE1EEEvT1_
; %bb.0:
	.section	.rodata,"a",@progbits
	.p2align	6, 0x0
	.amdhsa_kernel _ZN7rocprim17ROCPRIM_400000_NS6detail17trampoline_kernelINS0_14default_configENS1_25partition_config_selectorILNS1_17partition_subalgoE0EsNS0_10empty_typeEbEEZZNS1_14partition_implILS5_0ELb0ES3_jN6thrust23THRUST_200600_302600_NS6detail15normal_iteratorINSA_10device_ptrIsEEEEPS6_SG_NS0_5tupleIJNSA_16discard_iteratorINSA_11use_defaultEEESF_EEENSH_IJSG_SG_EEES6_PlJ7is_evenIsEEEE10hipError_tPvRmT3_T4_T5_T6_T7_T9_mT8_P12ihipStream_tbDpT10_ENKUlT_T0_E_clISt17integral_constantIbLb0EES18_IbLb1EEEEDaS14_S15_EUlS14_E_NS1_11comp_targetILNS1_3genE9ELNS1_11target_archE1100ELNS1_3gpuE3ELNS1_3repE0EEENS1_30default_config_static_selectorELNS0_4arch9wavefront6targetE1EEEvT1_
		.amdhsa_group_segment_fixed_size 0
		.amdhsa_private_segment_fixed_size 0
		.amdhsa_kernarg_size 144
		.amdhsa_user_sgpr_count 2
		.amdhsa_user_sgpr_dispatch_ptr 0
		.amdhsa_user_sgpr_queue_ptr 0
		.amdhsa_user_sgpr_kernarg_segment_ptr 1
		.amdhsa_user_sgpr_dispatch_id 0
		.amdhsa_user_sgpr_kernarg_preload_length 0
		.amdhsa_user_sgpr_kernarg_preload_offset 0
		.amdhsa_user_sgpr_private_segment_size 0
		.amdhsa_uses_dynamic_stack 0
		.amdhsa_enable_private_segment 0
		.amdhsa_system_sgpr_workgroup_id_x 1
		.amdhsa_system_sgpr_workgroup_id_y 0
		.amdhsa_system_sgpr_workgroup_id_z 0
		.amdhsa_system_sgpr_workgroup_info 0
		.amdhsa_system_vgpr_workitem_id 0
		.amdhsa_next_free_vgpr 1
		.amdhsa_next_free_sgpr 0
		.amdhsa_accum_offset 4
		.amdhsa_reserve_vcc 0
		.amdhsa_float_round_mode_32 0
		.amdhsa_float_round_mode_16_64 0
		.amdhsa_float_denorm_mode_32 3
		.amdhsa_float_denorm_mode_16_64 3
		.amdhsa_dx10_clamp 1
		.amdhsa_ieee_mode 1
		.amdhsa_fp16_overflow 0
		.amdhsa_tg_split 0
		.amdhsa_exception_fp_ieee_invalid_op 0
		.amdhsa_exception_fp_denorm_src 0
		.amdhsa_exception_fp_ieee_div_zero 0
		.amdhsa_exception_fp_ieee_overflow 0
		.amdhsa_exception_fp_ieee_underflow 0
		.amdhsa_exception_fp_ieee_inexact 0
		.amdhsa_exception_int_div_zero 0
	.end_amdhsa_kernel
	.section	.text._ZN7rocprim17ROCPRIM_400000_NS6detail17trampoline_kernelINS0_14default_configENS1_25partition_config_selectorILNS1_17partition_subalgoE0EsNS0_10empty_typeEbEEZZNS1_14partition_implILS5_0ELb0ES3_jN6thrust23THRUST_200600_302600_NS6detail15normal_iteratorINSA_10device_ptrIsEEEEPS6_SG_NS0_5tupleIJNSA_16discard_iteratorINSA_11use_defaultEEESF_EEENSH_IJSG_SG_EEES6_PlJ7is_evenIsEEEE10hipError_tPvRmT3_T4_T5_T6_T7_T9_mT8_P12ihipStream_tbDpT10_ENKUlT_T0_E_clISt17integral_constantIbLb0EES18_IbLb1EEEEDaS14_S15_EUlS14_E_NS1_11comp_targetILNS1_3genE9ELNS1_11target_archE1100ELNS1_3gpuE3ELNS1_3repE0EEENS1_30default_config_static_selectorELNS0_4arch9wavefront6targetE1EEEvT1_,"axG",@progbits,_ZN7rocprim17ROCPRIM_400000_NS6detail17trampoline_kernelINS0_14default_configENS1_25partition_config_selectorILNS1_17partition_subalgoE0EsNS0_10empty_typeEbEEZZNS1_14partition_implILS5_0ELb0ES3_jN6thrust23THRUST_200600_302600_NS6detail15normal_iteratorINSA_10device_ptrIsEEEEPS6_SG_NS0_5tupleIJNSA_16discard_iteratorINSA_11use_defaultEEESF_EEENSH_IJSG_SG_EEES6_PlJ7is_evenIsEEEE10hipError_tPvRmT3_T4_T5_T6_T7_T9_mT8_P12ihipStream_tbDpT10_ENKUlT_T0_E_clISt17integral_constantIbLb0EES18_IbLb1EEEEDaS14_S15_EUlS14_E_NS1_11comp_targetILNS1_3genE9ELNS1_11target_archE1100ELNS1_3gpuE3ELNS1_3repE0EEENS1_30default_config_static_selectorELNS0_4arch9wavefront6targetE1EEEvT1_,comdat
.Lfunc_end2873:
	.size	_ZN7rocprim17ROCPRIM_400000_NS6detail17trampoline_kernelINS0_14default_configENS1_25partition_config_selectorILNS1_17partition_subalgoE0EsNS0_10empty_typeEbEEZZNS1_14partition_implILS5_0ELb0ES3_jN6thrust23THRUST_200600_302600_NS6detail15normal_iteratorINSA_10device_ptrIsEEEEPS6_SG_NS0_5tupleIJNSA_16discard_iteratorINSA_11use_defaultEEESF_EEENSH_IJSG_SG_EEES6_PlJ7is_evenIsEEEE10hipError_tPvRmT3_T4_T5_T6_T7_T9_mT8_P12ihipStream_tbDpT10_ENKUlT_T0_E_clISt17integral_constantIbLb0EES18_IbLb1EEEEDaS14_S15_EUlS14_E_NS1_11comp_targetILNS1_3genE9ELNS1_11target_archE1100ELNS1_3gpuE3ELNS1_3repE0EEENS1_30default_config_static_selectorELNS0_4arch9wavefront6targetE1EEEvT1_, .Lfunc_end2873-_ZN7rocprim17ROCPRIM_400000_NS6detail17trampoline_kernelINS0_14default_configENS1_25partition_config_selectorILNS1_17partition_subalgoE0EsNS0_10empty_typeEbEEZZNS1_14partition_implILS5_0ELb0ES3_jN6thrust23THRUST_200600_302600_NS6detail15normal_iteratorINSA_10device_ptrIsEEEEPS6_SG_NS0_5tupleIJNSA_16discard_iteratorINSA_11use_defaultEEESF_EEENSH_IJSG_SG_EEES6_PlJ7is_evenIsEEEE10hipError_tPvRmT3_T4_T5_T6_T7_T9_mT8_P12ihipStream_tbDpT10_ENKUlT_T0_E_clISt17integral_constantIbLb0EES18_IbLb1EEEEDaS14_S15_EUlS14_E_NS1_11comp_targetILNS1_3genE9ELNS1_11target_archE1100ELNS1_3gpuE3ELNS1_3repE0EEENS1_30default_config_static_selectorELNS0_4arch9wavefront6targetE1EEEvT1_
                                        ; -- End function
	.section	.AMDGPU.csdata,"",@progbits
; Kernel info:
; codeLenInByte = 0
; NumSgprs: 6
; NumVgprs: 0
; NumAgprs: 0
; TotalNumVgprs: 0
; ScratchSize: 0
; MemoryBound: 0
; FloatMode: 240
; IeeeMode: 1
; LDSByteSize: 0 bytes/workgroup (compile time only)
; SGPRBlocks: 0
; VGPRBlocks: 0
; NumSGPRsForWavesPerEU: 6
; NumVGPRsForWavesPerEU: 1
; AccumOffset: 4
; Occupancy: 8
; WaveLimiterHint : 0
; COMPUTE_PGM_RSRC2:SCRATCH_EN: 0
; COMPUTE_PGM_RSRC2:USER_SGPR: 2
; COMPUTE_PGM_RSRC2:TRAP_HANDLER: 0
; COMPUTE_PGM_RSRC2:TGID_X_EN: 1
; COMPUTE_PGM_RSRC2:TGID_Y_EN: 0
; COMPUTE_PGM_RSRC2:TGID_Z_EN: 0
; COMPUTE_PGM_RSRC2:TIDIG_COMP_CNT: 0
; COMPUTE_PGM_RSRC3_GFX90A:ACCUM_OFFSET: 0
; COMPUTE_PGM_RSRC3_GFX90A:TG_SPLIT: 0
	.section	.text._ZN7rocprim17ROCPRIM_400000_NS6detail17trampoline_kernelINS0_14default_configENS1_25partition_config_selectorILNS1_17partition_subalgoE0EsNS0_10empty_typeEbEEZZNS1_14partition_implILS5_0ELb0ES3_jN6thrust23THRUST_200600_302600_NS6detail15normal_iteratorINSA_10device_ptrIsEEEEPS6_SG_NS0_5tupleIJNSA_16discard_iteratorINSA_11use_defaultEEESF_EEENSH_IJSG_SG_EEES6_PlJ7is_evenIsEEEE10hipError_tPvRmT3_T4_T5_T6_T7_T9_mT8_P12ihipStream_tbDpT10_ENKUlT_T0_E_clISt17integral_constantIbLb0EES18_IbLb1EEEEDaS14_S15_EUlS14_E_NS1_11comp_targetILNS1_3genE8ELNS1_11target_archE1030ELNS1_3gpuE2ELNS1_3repE0EEENS1_30default_config_static_selectorELNS0_4arch9wavefront6targetE1EEEvT1_,"axG",@progbits,_ZN7rocprim17ROCPRIM_400000_NS6detail17trampoline_kernelINS0_14default_configENS1_25partition_config_selectorILNS1_17partition_subalgoE0EsNS0_10empty_typeEbEEZZNS1_14partition_implILS5_0ELb0ES3_jN6thrust23THRUST_200600_302600_NS6detail15normal_iteratorINSA_10device_ptrIsEEEEPS6_SG_NS0_5tupleIJNSA_16discard_iteratorINSA_11use_defaultEEESF_EEENSH_IJSG_SG_EEES6_PlJ7is_evenIsEEEE10hipError_tPvRmT3_T4_T5_T6_T7_T9_mT8_P12ihipStream_tbDpT10_ENKUlT_T0_E_clISt17integral_constantIbLb0EES18_IbLb1EEEEDaS14_S15_EUlS14_E_NS1_11comp_targetILNS1_3genE8ELNS1_11target_archE1030ELNS1_3gpuE2ELNS1_3repE0EEENS1_30default_config_static_selectorELNS0_4arch9wavefront6targetE1EEEvT1_,comdat
	.protected	_ZN7rocprim17ROCPRIM_400000_NS6detail17trampoline_kernelINS0_14default_configENS1_25partition_config_selectorILNS1_17partition_subalgoE0EsNS0_10empty_typeEbEEZZNS1_14partition_implILS5_0ELb0ES3_jN6thrust23THRUST_200600_302600_NS6detail15normal_iteratorINSA_10device_ptrIsEEEEPS6_SG_NS0_5tupleIJNSA_16discard_iteratorINSA_11use_defaultEEESF_EEENSH_IJSG_SG_EEES6_PlJ7is_evenIsEEEE10hipError_tPvRmT3_T4_T5_T6_T7_T9_mT8_P12ihipStream_tbDpT10_ENKUlT_T0_E_clISt17integral_constantIbLb0EES18_IbLb1EEEEDaS14_S15_EUlS14_E_NS1_11comp_targetILNS1_3genE8ELNS1_11target_archE1030ELNS1_3gpuE2ELNS1_3repE0EEENS1_30default_config_static_selectorELNS0_4arch9wavefront6targetE1EEEvT1_ ; -- Begin function _ZN7rocprim17ROCPRIM_400000_NS6detail17trampoline_kernelINS0_14default_configENS1_25partition_config_selectorILNS1_17partition_subalgoE0EsNS0_10empty_typeEbEEZZNS1_14partition_implILS5_0ELb0ES3_jN6thrust23THRUST_200600_302600_NS6detail15normal_iteratorINSA_10device_ptrIsEEEEPS6_SG_NS0_5tupleIJNSA_16discard_iteratorINSA_11use_defaultEEESF_EEENSH_IJSG_SG_EEES6_PlJ7is_evenIsEEEE10hipError_tPvRmT3_T4_T5_T6_T7_T9_mT8_P12ihipStream_tbDpT10_ENKUlT_T0_E_clISt17integral_constantIbLb0EES18_IbLb1EEEEDaS14_S15_EUlS14_E_NS1_11comp_targetILNS1_3genE8ELNS1_11target_archE1030ELNS1_3gpuE2ELNS1_3repE0EEENS1_30default_config_static_selectorELNS0_4arch9wavefront6targetE1EEEvT1_
	.globl	_ZN7rocprim17ROCPRIM_400000_NS6detail17trampoline_kernelINS0_14default_configENS1_25partition_config_selectorILNS1_17partition_subalgoE0EsNS0_10empty_typeEbEEZZNS1_14partition_implILS5_0ELb0ES3_jN6thrust23THRUST_200600_302600_NS6detail15normal_iteratorINSA_10device_ptrIsEEEEPS6_SG_NS0_5tupleIJNSA_16discard_iteratorINSA_11use_defaultEEESF_EEENSH_IJSG_SG_EEES6_PlJ7is_evenIsEEEE10hipError_tPvRmT3_T4_T5_T6_T7_T9_mT8_P12ihipStream_tbDpT10_ENKUlT_T0_E_clISt17integral_constantIbLb0EES18_IbLb1EEEEDaS14_S15_EUlS14_E_NS1_11comp_targetILNS1_3genE8ELNS1_11target_archE1030ELNS1_3gpuE2ELNS1_3repE0EEENS1_30default_config_static_selectorELNS0_4arch9wavefront6targetE1EEEvT1_
	.p2align	8
	.type	_ZN7rocprim17ROCPRIM_400000_NS6detail17trampoline_kernelINS0_14default_configENS1_25partition_config_selectorILNS1_17partition_subalgoE0EsNS0_10empty_typeEbEEZZNS1_14partition_implILS5_0ELb0ES3_jN6thrust23THRUST_200600_302600_NS6detail15normal_iteratorINSA_10device_ptrIsEEEEPS6_SG_NS0_5tupleIJNSA_16discard_iteratorINSA_11use_defaultEEESF_EEENSH_IJSG_SG_EEES6_PlJ7is_evenIsEEEE10hipError_tPvRmT3_T4_T5_T6_T7_T9_mT8_P12ihipStream_tbDpT10_ENKUlT_T0_E_clISt17integral_constantIbLb0EES18_IbLb1EEEEDaS14_S15_EUlS14_E_NS1_11comp_targetILNS1_3genE8ELNS1_11target_archE1030ELNS1_3gpuE2ELNS1_3repE0EEENS1_30default_config_static_selectorELNS0_4arch9wavefront6targetE1EEEvT1_,@function
_ZN7rocprim17ROCPRIM_400000_NS6detail17trampoline_kernelINS0_14default_configENS1_25partition_config_selectorILNS1_17partition_subalgoE0EsNS0_10empty_typeEbEEZZNS1_14partition_implILS5_0ELb0ES3_jN6thrust23THRUST_200600_302600_NS6detail15normal_iteratorINSA_10device_ptrIsEEEEPS6_SG_NS0_5tupleIJNSA_16discard_iteratorINSA_11use_defaultEEESF_EEENSH_IJSG_SG_EEES6_PlJ7is_evenIsEEEE10hipError_tPvRmT3_T4_T5_T6_T7_T9_mT8_P12ihipStream_tbDpT10_ENKUlT_T0_E_clISt17integral_constantIbLb0EES18_IbLb1EEEEDaS14_S15_EUlS14_E_NS1_11comp_targetILNS1_3genE8ELNS1_11target_archE1030ELNS1_3gpuE2ELNS1_3repE0EEENS1_30default_config_static_selectorELNS0_4arch9wavefront6targetE1EEEvT1_: ; @_ZN7rocprim17ROCPRIM_400000_NS6detail17trampoline_kernelINS0_14default_configENS1_25partition_config_selectorILNS1_17partition_subalgoE0EsNS0_10empty_typeEbEEZZNS1_14partition_implILS5_0ELb0ES3_jN6thrust23THRUST_200600_302600_NS6detail15normal_iteratorINSA_10device_ptrIsEEEEPS6_SG_NS0_5tupleIJNSA_16discard_iteratorINSA_11use_defaultEEESF_EEENSH_IJSG_SG_EEES6_PlJ7is_evenIsEEEE10hipError_tPvRmT3_T4_T5_T6_T7_T9_mT8_P12ihipStream_tbDpT10_ENKUlT_T0_E_clISt17integral_constantIbLb0EES18_IbLb1EEEEDaS14_S15_EUlS14_E_NS1_11comp_targetILNS1_3genE8ELNS1_11target_archE1030ELNS1_3gpuE2ELNS1_3repE0EEENS1_30default_config_static_selectorELNS0_4arch9wavefront6targetE1EEEvT1_
; %bb.0:
	.section	.rodata,"a",@progbits
	.p2align	6, 0x0
	.amdhsa_kernel _ZN7rocprim17ROCPRIM_400000_NS6detail17trampoline_kernelINS0_14default_configENS1_25partition_config_selectorILNS1_17partition_subalgoE0EsNS0_10empty_typeEbEEZZNS1_14partition_implILS5_0ELb0ES3_jN6thrust23THRUST_200600_302600_NS6detail15normal_iteratorINSA_10device_ptrIsEEEEPS6_SG_NS0_5tupleIJNSA_16discard_iteratorINSA_11use_defaultEEESF_EEENSH_IJSG_SG_EEES6_PlJ7is_evenIsEEEE10hipError_tPvRmT3_T4_T5_T6_T7_T9_mT8_P12ihipStream_tbDpT10_ENKUlT_T0_E_clISt17integral_constantIbLb0EES18_IbLb1EEEEDaS14_S15_EUlS14_E_NS1_11comp_targetILNS1_3genE8ELNS1_11target_archE1030ELNS1_3gpuE2ELNS1_3repE0EEENS1_30default_config_static_selectorELNS0_4arch9wavefront6targetE1EEEvT1_
		.amdhsa_group_segment_fixed_size 0
		.amdhsa_private_segment_fixed_size 0
		.amdhsa_kernarg_size 144
		.amdhsa_user_sgpr_count 2
		.amdhsa_user_sgpr_dispatch_ptr 0
		.amdhsa_user_sgpr_queue_ptr 0
		.amdhsa_user_sgpr_kernarg_segment_ptr 1
		.amdhsa_user_sgpr_dispatch_id 0
		.amdhsa_user_sgpr_kernarg_preload_length 0
		.amdhsa_user_sgpr_kernarg_preload_offset 0
		.amdhsa_user_sgpr_private_segment_size 0
		.amdhsa_uses_dynamic_stack 0
		.amdhsa_enable_private_segment 0
		.amdhsa_system_sgpr_workgroup_id_x 1
		.amdhsa_system_sgpr_workgroup_id_y 0
		.amdhsa_system_sgpr_workgroup_id_z 0
		.amdhsa_system_sgpr_workgroup_info 0
		.amdhsa_system_vgpr_workitem_id 0
		.amdhsa_next_free_vgpr 1
		.amdhsa_next_free_sgpr 0
		.amdhsa_accum_offset 4
		.amdhsa_reserve_vcc 0
		.amdhsa_float_round_mode_32 0
		.amdhsa_float_round_mode_16_64 0
		.amdhsa_float_denorm_mode_32 3
		.amdhsa_float_denorm_mode_16_64 3
		.amdhsa_dx10_clamp 1
		.amdhsa_ieee_mode 1
		.amdhsa_fp16_overflow 0
		.amdhsa_tg_split 0
		.amdhsa_exception_fp_ieee_invalid_op 0
		.amdhsa_exception_fp_denorm_src 0
		.amdhsa_exception_fp_ieee_div_zero 0
		.amdhsa_exception_fp_ieee_overflow 0
		.amdhsa_exception_fp_ieee_underflow 0
		.amdhsa_exception_fp_ieee_inexact 0
		.amdhsa_exception_int_div_zero 0
	.end_amdhsa_kernel
	.section	.text._ZN7rocprim17ROCPRIM_400000_NS6detail17trampoline_kernelINS0_14default_configENS1_25partition_config_selectorILNS1_17partition_subalgoE0EsNS0_10empty_typeEbEEZZNS1_14partition_implILS5_0ELb0ES3_jN6thrust23THRUST_200600_302600_NS6detail15normal_iteratorINSA_10device_ptrIsEEEEPS6_SG_NS0_5tupleIJNSA_16discard_iteratorINSA_11use_defaultEEESF_EEENSH_IJSG_SG_EEES6_PlJ7is_evenIsEEEE10hipError_tPvRmT3_T4_T5_T6_T7_T9_mT8_P12ihipStream_tbDpT10_ENKUlT_T0_E_clISt17integral_constantIbLb0EES18_IbLb1EEEEDaS14_S15_EUlS14_E_NS1_11comp_targetILNS1_3genE8ELNS1_11target_archE1030ELNS1_3gpuE2ELNS1_3repE0EEENS1_30default_config_static_selectorELNS0_4arch9wavefront6targetE1EEEvT1_,"axG",@progbits,_ZN7rocprim17ROCPRIM_400000_NS6detail17trampoline_kernelINS0_14default_configENS1_25partition_config_selectorILNS1_17partition_subalgoE0EsNS0_10empty_typeEbEEZZNS1_14partition_implILS5_0ELb0ES3_jN6thrust23THRUST_200600_302600_NS6detail15normal_iteratorINSA_10device_ptrIsEEEEPS6_SG_NS0_5tupleIJNSA_16discard_iteratorINSA_11use_defaultEEESF_EEENSH_IJSG_SG_EEES6_PlJ7is_evenIsEEEE10hipError_tPvRmT3_T4_T5_T6_T7_T9_mT8_P12ihipStream_tbDpT10_ENKUlT_T0_E_clISt17integral_constantIbLb0EES18_IbLb1EEEEDaS14_S15_EUlS14_E_NS1_11comp_targetILNS1_3genE8ELNS1_11target_archE1030ELNS1_3gpuE2ELNS1_3repE0EEENS1_30default_config_static_selectorELNS0_4arch9wavefront6targetE1EEEvT1_,comdat
.Lfunc_end2874:
	.size	_ZN7rocprim17ROCPRIM_400000_NS6detail17trampoline_kernelINS0_14default_configENS1_25partition_config_selectorILNS1_17partition_subalgoE0EsNS0_10empty_typeEbEEZZNS1_14partition_implILS5_0ELb0ES3_jN6thrust23THRUST_200600_302600_NS6detail15normal_iteratorINSA_10device_ptrIsEEEEPS6_SG_NS0_5tupleIJNSA_16discard_iteratorINSA_11use_defaultEEESF_EEENSH_IJSG_SG_EEES6_PlJ7is_evenIsEEEE10hipError_tPvRmT3_T4_T5_T6_T7_T9_mT8_P12ihipStream_tbDpT10_ENKUlT_T0_E_clISt17integral_constantIbLb0EES18_IbLb1EEEEDaS14_S15_EUlS14_E_NS1_11comp_targetILNS1_3genE8ELNS1_11target_archE1030ELNS1_3gpuE2ELNS1_3repE0EEENS1_30default_config_static_selectorELNS0_4arch9wavefront6targetE1EEEvT1_, .Lfunc_end2874-_ZN7rocprim17ROCPRIM_400000_NS6detail17trampoline_kernelINS0_14default_configENS1_25partition_config_selectorILNS1_17partition_subalgoE0EsNS0_10empty_typeEbEEZZNS1_14partition_implILS5_0ELb0ES3_jN6thrust23THRUST_200600_302600_NS6detail15normal_iteratorINSA_10device_ptrIsEEEEPS6_SG_NS0_5tupleIJNSA_16discard_iteratorINSA_11use_defaultEEESF_EEENSH_IJSG_SG_EEES6_PlJ7is_evenIsEEEE10hipError_tPvRmT3_T4_T5_T6_T7_T9_mT8_P12ihipStream_tbDpT10_ENKUlT_T0_E_clISt17integral_constantIbLb0EES18_IbLb1EEEEDaS14_S15_EUlS14_E_NS1_11comp_targetILNS1_3genE8ELNS1_11target_archE1030ELNS1_3gpuE2ELNS1_3repE0EEENS1_30default_config_static_selectorELNS0_4arch9wavefront6targetE1EEEvT1_
                                        ; -- End function
	.section	.AMDGPU.csdata,"",@progbits
; Kernel info:
; codeLenInByte = 0
; NumSgprs: 6
; NumVgprs: 0
; NumAgprs: 0
; TotalNumVgprs: 0
; ScratchSize: 0
; MemoryBound: 0
; FloatMode: 240
; IeeeMode: 1
; LDSByteSize: 0 bytes/workgroup (compile time only)
; SGPRBlocks: 0
; VGPRBlocks: 0
; NumSGPRsForWavesPerEU: 6
; NumVGPRsForWavesPerEU: 1
; AccumOffset: 4
; Occupancy: 8
; WaveLimiterHint : 0
; COMPUTE_PGM_RSRC2:SCRATCH_EN: 0
; COMPUTE_PGM_RSRC2:USER_SGPR: 2
; COMPUTE_PGM_RSRC2:TRAP_HANDLER: 0
; COMPUTE_PGM_RSRC2:TGID_X_EN: 1
; COMPUTE_PGM_RSRC2:TGID_Y_EN: 0
; COMPUTE_PGM_RSRC2:TGID_Z_EN: 0
; COMPUTE_PGM_RSRC2:TIDIG_COMP_CNT: 0
; COMPUTE_PGM_RSRC3_GFX90A:ACCUM_OFFSET: 0
; COMPUTE_PGM_RSRC3_GFX90A:TG_SPLIT: 0
	.section	.text._ZN7rocprim17ROCPRIM_400000_NS6detail17trampoline_kernelINS0_14default_configENS1_25partition_config_selectorILNS1_17partition_subalgoE1EyNS0_10empty_typeEbEEZZNS1_14partition_implILS5_1ELb0ES3_jN6thrust23THRUST_200600_302600_NS6detail15normal_iteratorINSA_10device_ptrIyEEEEPS6_NSA_18transform_iteratorI7is_evenIyESF_NSA_11use_defaultESK_EENS0_5tupleIJNSA_16discard_iteratorISK_EESO_EEENSM_IJSG_SG_EEES6_PlJS6_EEE10hipError_tPvRmT3_T4_T5_T6_T7_T9_mT8_P12ihipStream_tbDpT10_ENKUlT_T0_E_clISt17integral_constantIbLb0EES1B_EEDaS16_S17_EUlS16_E_NS1_11comp_targetILNS1_3genE0ELNS1_11target_archE4294967295ELNS1_3gpuE0ELNS1_3repE0EEENS1_30default_config_static_selectorELNS0_4arch9wavefront6targetE1EEEvT1_,"axG",@progbits,_ZN7rocprim17ROCPRIM_400000_NS6detail17trampoline_kernelINS0_14default_configENS1_25partition_config_selectorILNS1_17partition_subalgoE1EyNS0_10empty_typeEbEEZZNS1_14partition_implILS5_1ELb0ES3_jN6thrust23THRUST_200600_302600_NS6detail15normal_iteratorINSA_10device_ptrIyEEEEPS6_NSA_18transform_iteratorI7is_evenIyESF_NSA_11use_defaultESK_EENS0_5tupleIJNSA_16discard_iteratorISK_EESO_EEENSM_IJSG_SG_EEES6_PlJS6_EEE10hipError_tPvRmT3_T4_T5_T6_T7_T9_mT8_P12ihipStream_tbDpT10_ENKUlT_T0_E_clISt17integral_constantIbLb0EES1B_EEDaS16_S17_EUlS16_E_NS1_11comp_targetILNS1_3genE0ELNS1_11target_archE4294967295ELNS1_3gpuE0ELNS1_3repE0EEENS1_30default_config_static_selectorELNS0_4arch9wavefront6targetE1EEEvT1_,comdat
	.protected	_ZN7rocprim17ROCPRIM_400000_NS6detail17trampoline_kernelINS0_14default_configENS1_25partition_config_selectorILNS1_17partition_subalgoE1EyNS0_10empty_typeEbEEZZNS1_14partition_implILS5_1ELb0ES3_jN6thrust23THRUST_200600_302600_NS6detail15normal_iteratorINSA_10device_ptrIyEEEEPS6_NSA_18transform_iteratorI7is_evenIyESF_NSA_11use_defaultESK_EENS0_5tupleIJNSA_16discard_iteratorISK_EESO_EEENSM_IJSG_SG_EEES6_PlJS6_EEE10hipError_tPvRmT3_T4_T5_T6_T7_T9_mT8_P12ihipStream_tbDpT10_ENKUlT_T0_E_clISt17integral_constantIbLb0EES1B_EEDaS16_S17_EUlS16_E_NS1_11comp_targetILNS1_3genE0ELNS1_11target_archE4294967295ELNS1_3gpuE0ELNS1_3repE0EEENS1_30default_config_static_selectorELNS0_4arch9wavefront6targetE1EEEvT1_ ; -- Begin function _ZN7rocprim17ROCPRIM_400000_NS6detail17trampoline_kernelINS0_14default_configENS1_25partition_config_selectorILNS1_17partition_subalgoE1EyNS0_10empty_typeEbEEZZNS1_14partition_implILS5_1ELb0ES3_jN6thrust23THRUST_200600_302600_NS6detail15normal_iteratorINSA_10device_ptrIyEEEEPS6_NSA_18transform_iteratorI7is_evenIyESF_NSA_11use_defaultESK_EENS0_5tupleIJNSA_16discard_iteratorISK_EESO_EEENSM_IJSG_SG_EEES6_PlJS6_EEE10hipError_tPvRmT3_T4_T5_T6_T7_T9_mT8_P12ihipStream_tbDpT10_ENKUlT_T0_E_clISt17integral_constantIbLb0EES1B_EEDaS16_S17_EUlS16_E_NS1_11comp_targetILNS1_3genE0ELNS1_11target_archE4294967295ELNS1_3gpuE0ELNS1_3repE0EEENS1_30default_config_static_selectorELNS0_4arch9wavefront6targetE1EEEvT1_
	.globl	_ZN7rocprim17ROCPRIM_400000_NS6detail17trampoline_kernelINS0_14default_configENS1_25partition_config_selectorILNS1_17partition_subalgoE1EyNS0_10empty_typeEbEEZZNS1_14partition_implILS5_1ELb0ES3_jN6thrust23THRUST_200600_302600_NS6detail15normal_iteratorINSA_10device_ptrIyEEEEPS6_NSA_18transform_iteratorI7is_evenIyESF_NSA_11use_defaultESK_EENS0_5tupleIJNSA_16discard_iteratorISK_EESO_EEENSM_IJSG_SG_EEES6_PlJS6_EEE10hipError_tPvRmT3_T4_T5_T6_T7_T9_mT8_P12ihipStream_tbDpT10_ENKUlT_T0_E_clISt17integral_constantIbLb0EES1B_EEDaS16_S17_EUlS16_E_NS1_11comp_targetILNS1_3genE0ELNS1_11target_archE4294967295ELNS1_3gpuE0ELNS1_3repE0EEENS1_30default_config_static_selectorELNS0_4arch9wavefront6targetE1EEEvT1_
	.p2align	8
	.type	_ZN7rocprim17ROCPRIM_400000_NS6detail17trampoline_kernelINS0_14default_configENS1_25partition_config_selectorILNS1_17partition_subalgoE1EyNS0_10empty_typeEbEEZZNS1_14partition_implILS5_1ELb0ES3_jN6thrust23THRUST_200600_302600_NS6detail15normal_iteratorINSA_10device_ptrIyEEEEPS6_NSA_18transform_iteratorI7is_evenIyESF_NSA_11use_defaultESK_EENS0_5tupleIJNSA_16discard_iteratorISK_EESO_EEENSM_IJSG_SG_EEES6_PlJS6_EEE10hipError_tPvRmT3_T4_T5_T6_T7_T9_mT8_P12ihipStream_tbDpT10_ENKUlT_T0_E_clISt17integral_constantIbLb0EES1B_EEDaS16_S17_EUlS16_E_NS1_11comp_targetILNS1_3genE0ELNS1_11target_archE4294967295ELNS1_3gpuE0ELNS1_3repE0EEENS1_30default_config_static_selectorELNS0_4arch9wavefront6targetE1EEEvT1_,@function
_ZN7rocprim17ROCPRIM_400000_NS6detail17trampoline_kernelINS0_14default_configENS1_25partition_config_selectorILNS1_17partition_subalgoE1EyNS0_10empty_typeEbEEZZNS1_14partition_implILS5_1ELb0ES3_jN6thrust23THRUST_200600_302600_NS6detail15normal_iteratorINSA_10device_ptrIyEEEEPS6_NSA_18transform_iteratorI7is_evenIyESF_NSA_11use_defaultESK_EENS0_5tupleIJNSA_16discard_iteratorISK_EESO_EEENSM_IJSG_SG_EEES6_PlJS6_EEE10hipError_tPvRmT3_T4_T5_T6_T7_T9_mT8_P12ihipStream_tbDpT10_ENKUlT_T0_E_clISt17integral_constantIbLb0EES1B_EEDaS16_S17_EUlS16_E_NS1_11comp_targetILNS1_3genE0ELNS1_11target_archE4294967295ELNS1_3gpuE0ELNS1_3repE0EEENS1_30default_config_static_selectorELNS0_4arch9wavefront6targetE1EEEvT1_: ; @_ZN7rocprim17ROCPRIM_400000_NS6detail17trampoline_kernelINS0_14default_configENS1_25partition_config_selectorILNS1_17partition_subalgoE1EyNS0_10empty_typeEbEEZZNS1_14partition_implILS5_1ELb0ES3_jN6thrust23THRUST_200600_302600_NS6detail15normal_iteratorINSA_10device_ptrIyEEEEPS6_NSA_18transform_iteratorI7is_evenIyESF_NSA_11use_defaultESK_EENS0_5tupleIJNSA_16discard_iteratorISK_EESO_EEENSM_IJSG_SG_EEES6_PlJS6_EEE10hipError_tPvRmT3_T4_T5_T6_T7_T9_mT8_P12ihipStream_tbDpT10_ENKUlT_T0_E_clISt17integral_constantIbLb0EES1B_EEDaS16_S17_EUlS16_E_NS1_11comp_targetILNS1_3genE0ELNS1_11target_archE4294967295ELNS1_3gpuE0ELNS1_3repE0EEENS1_30default_config_static_selectorELNS0_4arch9wavefront6targetE1EEEvT1_
; %bb.0:
	.section	.rodata,"a",@progbits
	.p2align	6, 0x0
	.amdhsa_kernel _ZN7rocprim17ROCPRIM_400000_NS6detail17trampoline_kernelINS0_14default_configENS1_25partition_config_selectorILNS1_17partition_subalgoE1EyNS0_10empty_typeEbEEZZNS1_14partition_implILS5_1ELb0ES3_jN6thrust23THRUST_200600_302600_NS6detail15normal_iteratorINSA_10device_ptrIyEEEEPS6_NSA_18transform_iteratorI7is_evenIyESF_NSA_11use_defaultESK_EENS0_5tupleIJNSA_16discard_iteratorISK_EESO_EEENSM_IJSG_SG_EEES6_PlJS6_EEE10hipError_tPvRmT3_T4_T5_T6_T7_T9_mT8_P12ihipStream_tbDpT10_ENKUlT_T0_E_clISt17integral_constantIbLb0EES1B_EEDaS16_S17_EUlS16_E_NS1_11comp_targetILNS1_3genE0ELNS1_11target_archE4294967295ELNS1_3gpuE0ELNS1_3repE0EEENS1_30default_config_static_selectorELNS0_4arch9wavefront6targetE1EEEvT1_
		.amdhsa_group_segment_fixed_size 0
		.amdhsa_private_segment_fixed_size 0
		.amdhsa_kernarg_size 144
		.amdhsa_user_sgpr_count 2
		.amdhsa_user_sgpr_dispatch_ptr 0
		.amdhsa_user_sgpr_queue_ptr 0
		.amdhsa_user_sgpr_kernarg_segment_ptr 1
		.amdhsa_user_sgpr_dispatch_id 0
		.amdhsa_user_sgpr_kernarg_preload_length 0
		.amdhsa_user_sgpr_kernarg_preload_offset 0
		.amdhsa_user_sgpr_private_segment_size 0
		.amdhsa_uses_dynamic_stack 0
		.amdhsa_enable_private_segment 0
		.amdhsa_system_sgpr_workgroup_id_x 1
		.amdhsa_system_sgpr_workgroup_id_y 0
		.amdhsa_system_sgpr_workgroup_id_z 0
		.amdhsa_system_sgpr_workgroup_info 0
		.amdhsa_system_vgpr_workitem_id 0
		.amdhsa_next_free_vgpr 1
		.amdhsa_next_free_sgpr 0
		.amdhsa_accum_offset 4
		.amdhsa_reserve_vcc 0
		.amdhsa_float_round_mode_32 0
		.amdhsa_float_round_mode_16_64 0
		.amdhsa_float_denorm_mode_32 3
		.amdhsa_float_denorm_mode_16_64 3
		.amdhsa_dx10_clamp 1
		.amdhsa_ieee_mode 1
		.amdhsa_fp16_overflow 0
		.amdhsa_tg_split 0
		.amdhsa_exception_fp_ieee_invalid_op 0
		.amdhsa_exception_fp_denorm_src 0
		.amdhsa_exception_fp_ieee_div_zero 0
		.amdhsa_exception_fp_ieee_overflow 0
		.amdhsa_exception_fp_ieee_underflow 0
		.amdhsa_exception_fp_ieee_inexact 0
		.amdhsa_exception_int_div_zero 0
	.end_amdhsa_kernel
	.section	.text._ZN7rocprim17ROCPRIM_400000_NS6detail17trampoline_kernelINS0_14default_configENS1_25partition_config_selectorILNS1_17partition_subalgoE1EyNS0_10empty_typeEbEEZZNS1_14partition_implILS5_1ELb0ES3_jN6thrust23THRUST_200600_302600_NS6detail15normal_iteratorINSA_10device_ptrIyEEEEPS6_NSA_18transform_iteratorI7is_evenIyESF_NSA_11use_defaultESK_EENS0_5tupleIJNSA_16discard_iteratorISK_EESO_EEENSM_IJSG_SG_EEES6_PlJS6_EEE10hipError_tPvRmT3_T4_T5_T6_T7_T9_mT8_P12ihipStream_tbDpT10_ENKUlT_T0_E_clISt17integral_constantIbLb0EES1B_EEDaS16_S17_EUlS16_E_NS1_11comp_targetILNS1_3genE0ELNS1_11target_archE4294967295ELNS1_3gpuE0ELNS1_3repE0EEENS1_30default_config_static_selectorELNS0_4arch9wavefront6targetE1EEEvT1_,"axG",@progbits,_ZN7rocprim17ROCPRIM_400000_NS6detail17trampoline_kernelINS0_14default_configENS1_25partition_config_selectorILNS1_17partition_subalgoE1EyNS0_10empty_typeEbEEZZNS1_14partition_implILS5_1ELb0ES3_jN6thrust23THRUST_200600_302600_NS6detail15normal_iteratorINSA_10device_ptrIyEEEEPS6_NSA_18transform_iteratorI7is_evenIyESF_NSA_11use_defaultESK_EENS0_5tupleIJNSA_16discard_iteratorISK_EESO_EEENSM_IJSG_SG_EEES6_PlJS6_EEE10hipError_tPvRmT3_T4_T5_T6_T7_T9_mT8_P12ihipStream_tbDpT10_ENKUlT_T0_E_clISt17integral_constantIbLb0EES1B_EEDaS16_S17_EUlS16_E_NS1_11comp_targetILNS1_3genE0ELNS1_11target_archE4294967295ELNS1_3gpuE0ELNS1_3repE0EEENS1_30default_config_static_selectorELNS0_4arch9wavefront6targetE1EEEvT1_,comdat
.Lfunc_end2875:
	.size	_ZN7rocprim17ROCPRIM_400000_NS6detail17trampoline_kernelINS0_14default_configENS1_25partition_config_selectorILNS1_17partition_subalgoE1EyNS0_10empty_typeEbEEZZNS1_14partition_implILS5_1ELb0ES3_jN6thrust23THRUST_200600_302600_NS6detail15normal_iteratorINSA_10device_ptrIyEEEEPS6_NSA_18transform_iteratorI7is_evenIyESF_NSA_11use_defaultESK_EENS0_5tupleIJNSA_16discard_iteratorISK_EESO_EEENSM_IJSG_SG_EEES6_PlJS6_EEE10hipError_tPvRmT3_T4_T5_T6_T7_T9_mT8_P12ihipStream_tbDpT10_ENKUlT_T0_E_clISt17integral_constantIbLb0EES1B_EEDaS16_S17_EUlS16_E_NS1_11comp_targetILNS1_3genE0ELNS1_11target_archE4294967295ELNS1_3gpuE0ELNS1_3repE0EEENS1_30default_config_static_selectorELNS0_4arch9wavefront6targetE1EEEvT1_, .Lfunc_end2875-_ZN7rocprim17ROCPRIM_400000_NS6detail17trampoline_kernelINS0_14default_configENS1_25partition_config_selectorILNS1_17partition_subalgoE1EyNS0_10empty_typeEbEEZZNS1_14partition_implILS5_1ELb0ES3_jN6thrust23THRUST_200600_302600_NS6detail15normal_iteratorINSA_10device_ptrIyEEEEPS6_NSA_18transform_iteratorI7is_evenIyESF_NSA_11use_defaultESK_EENS0_5tupleIJNSA_16discard_iteratorISK_EESO_EEENSM_IJSG_SG_EEES6_PlJS6_EEE10hipError_tPvRmT3_T4_T5_T6_T7_T9_mT8_P12ihipStream_tbDpT10_ENKUlT_T0_E_clISt17integral_constantIbLb0EES1B_EEDaS16_S17_EUlS16_E_NS1_11comp_targetILNS1_3genE0ELNS1_11target_archE4294967295ELNS1_3gpuE0ELNS1_3repE0EEENS1_30default_config_static_selectorELNS0_4arch9wavefront6targetE1EEEvT1_
                                        ; -- End function
	.section	.AMDGPU.csdata,"",@progbits
; Kernel info:
; codeLenInByte = 0
; NumSgprs: 6
; NumVgprs: 0
; NumAgprs: 0
; TotalNumVgprs: 0
; ScratchSize: 0
; MemoryBound: 0
; FloatMode: 240
; IeeeMode: 1
; LDSByteSize: 0 bytes/workgroup (compile time only)
; SGPRBlocks: 0
; VGPRBlocks: 0
; NumSGPRsForWavesPerEU: 6
; NumVGPRsForWavesPerEU: 1
; AccumOffset: 4
; Occupancy: 8
; WaveLimiterHint : 0
; COMPUTE_PGM_RSRC2:SCRATCH_EN: 0
; COMPUTE_PGM_RSRC2:USER_SGPR: 2
; COMPUTE_PGM_RSRC2:TRAP_HANDLER: 0
; COMPUTE_PGM_RSRC2:TGID_X_EN: 1
; COMPUTE_PGM_RSRC2:TGID_Y_EN: 0
; COMPUTE_PGM_RSRC2:TGID_Z_EN: 0
; COMPUTE_PGM_RSRC2:TIDIG_COMP_CNT: 0
; COMPUTE_PGM_RSRC3_GFX90A:ACCUM_OFFSET: 0
; COMPUTE_PGM_RSRC3_GFX90A:TG_SPLIT: 0
	.section	.text._ZN7rocprim17ROCPRIM_400000_NS6detail17trampoline_kernelINS0_14default_configENS1_25partition_config_selectorILNS1_17partition_subalgoE1EyNS0_10empty_typeEbEEZZNS1_14partition_implILS5_1ELb0ES3_jN6thrust23THRUST_200600_302600_NS6detail15normal_iteratorINSA_10device_ptrIyEEEEPS6_NSA_18transform_iteratorI7is_evenIyESF_NSA_11use_defaultESK_EENS0_5tupleIJNSA_16discard_iteratorISK_EESO_EEENSM_IJSG_SG_EEES6_PlJS6_EEE10hipError_tPvRmT3_T4_T5_T6_T7_T9_mT8_P12ihipStream_tbDpT10_ENKUlT_T0_E_clISt17integral_constantIbLb0EES1B_EEDaS16_S17_EUlS16_E_NS1_11comp_targetILNS1_3genE5ELNS1_11target_archE942ELNS1_3gpuE9ELNS1_3repE0EEENS1_30default_config_static_selectorELNS0_4arch9wavefront6targetE1EEEvT1_,"axG",@progbits,_ZN7rocprim17ROCPRIM_400000_NS6detail17trampoline_kernelINS0_14default_configENS1_25partition_config_selectorILNS1_17partition_subalgoE1EyNS0_10empty_typeEbEEZZNS1_14partition_implILS5_1ELb0ES3_jN6thrust23THRUST_200600_302600_NS6detail15normal_iteratorINSA_10device_ptrIyEEEEPS6_NSA_18transform_iteratorI7is_evenIyESF_NSA_11use_defaultESK_EENS0_5tupleIJNSA_16discard_iteratorISK_EESO_EEENSM_IJSG_SG_EEES6_PlJS6_EEE10hipError_tPvRmT3_T4_T5_T6_T7_T9_mT8_P12ihipStream_tbDpT10_ENKUlT_T0_E_clISt17integral_constantIbLb0EES1B_EEDaS16_S17_EUlS16_E_NS1_11comp_targetILNS1_3genE5ELNS1_11target_archE942ELNS1_3gpuE9ELNS1_3repE0EEENS1_30default_config_static_selectorELNS0_4arch9wavefront6targetE1EEEvT1_,comdat
	.protected	_ZN7rocprim17ROCPRIM_400000_NS6detail17trampoline_kernelINS0_14default_configENS1_25partition_config_selectorILNS1_17partition_subalgoE1EyNS0_10empty_typeEbEEZZNS1_14partition_implILS5_1ELb0ES3_jN6thrust23THRUST_200600_302600_NS6detail15normal_iteratorINSA_10device_ptrIyEEEEPS6_NSA_18transform_iteratorI7is_evenIyESF_NSA_11use_defaultESK_EENS0_5tupleIJNSA_16discard_iteratorISK_EESO_EEENSM_IJSG_SG_EEES6_PlJS6_EEE10hipError_tPvRmT3_T4_T5_T6_T7_T9_mT8_P12ihipStream_tbDpT10_ENKUlT_T0_E_clISt17integral_constantIbLb0EES1B_EEDaS16_S17_EUlS16_E_NS1_11comp_targetILNS1_3genE5ELNS1_11target_archE942ELNS1_3gpuE9ELNS1_3repE0EEENS1_30default_config_static_selectorELNS0_4arch9wavefront6targetE1EEEvT1_ ; -- Begin function _ZN7rocprim17ROCPRIM_400000_NS6detail17trampoline_kernelINS0_14default_configENS1_25partition_config_selectorILNS1_17partition_subalgoE1EyNS0_10empty_typeEbEEZZNS1_14partition_implILS5_1ELb0ES3_jN6thrust23THRUST_200600_302600_NS6detail15normal_iteratorINSA_10device_ptrIyEEEEPS6_NSA_18transform_iteratorI7is_evenIyESF_NSA_11use_defaultESK_EENS0_5tupleIJNSA_16discard_iteratorISK_EESO_EEENSM_IJSG_SG_EEES6_PlJS6_EEE10hipError_tPvRmT3_T4_T5_T6_T7_T9_mT8_P12ihipStream_tbDpT10_ENKUlT_T0_E_clISt17integral_constantIbLb0EES1B_EEDaS16_S17_EUlS16_E_NS1_11comp_targetILNS1_3genE5ELNS1_11target_archE942ELNS1_3gpuE9ELNS1_3repE0EEENS1_30default_config_static_selectorELNS0_4arch9wavefront6targetE1EEEvT1_
	.globl	_ZN7rocprim17ROCPRIM_400000_NS6detail17trampoline_kernelINS0_14default_configENS1_25partition_config_selectorILNS1_17partition_subalgoE1EyNS0_10empty_typeEbEEZZNS1_14partition_implILS5_1ELb0ES3_jN6thrust23THRUST_200600_302600_NS6detail15normal_iteratorINSA_10device_ptrIyEEEEPS6_NSA_18transform_iteratorI7is_evenIyESF_NSA_11use_defaultESK_EENS0_5tupleIJNSA_16discard_iteratorISK_EESO_EEENSM_IJSG_SG_EEES6_PlJS6_EEE10hipError_tPvRmT3_T4_T5_T6_T7_T9_mT8_P12ihipStream_tbDpT10_ENKUlT_T0_E_clISt17integral_constantIbLb0EES1B_EEDaS16_S17_EUlS16_E_NS1_11comp_targetILNS1_3genE5ELNS1_11target_archE942ELNS1_3gpuE9ELNS1_3repE0EEENS1_30default_config_static_selectorELNS0_4arch9wavefront6targetE1EEEvT1_
	.p2align	8
	.type	_ZN7rocprim17ROCPRIM_400000_NS6detail17trampoline_kernelINS0_14default_configENS1_25partition_config_selectorILNS1_17partition_subalgoE1EyNS0_10empty_typeEbEEZZNS1_14partition_implILS5_1ELb0ES3_jN6thrust23THRUST_200600_302600_NS6detail15normal_iteratorINSA_10device_ptrIyEEEEPS6_NSA_18transform_iteratorI7is_evenIyESF_NSA_11use_defaultESK_EENS0_5tupleIJNSA_16discard_iteratorISK_EESO_EEENSM_IJSG_SG_EEES6_PlJS6_EEE10hipError_tPvRmT3_T4_T5_T6_T7_T9_mT8_P12ihipStream_tbDpT10_ENKUlT_T0_E_clISt17integral_constantIbLb0EES1B_EEDaS16_S17_EUlS16_E_NS1_11comp_targetILNS1_3genE5ELNS1_11target_archE942ELNS1_3gpuE9ELNS1_3repE0EEENS1_30default_config_static_selectorELNS0_4arch9wavefront6targetE1EEEvT1_,@function
_ZN7rocprim17ROCPRIM_400000_NS6detail17trampoline_kernelINS0_14default_configENS1_25partition_config_selectorILNS1_17partition_subalgoE1EyNS0_10empty_typeEbEEZZNS1_14partition_implILS5_1ELb0ES3_jN6thrust23THRUST_200600_302600_NS6detail15normal_iteratorINSA_10device_ptrIyEEEEPS6_NSA_18transform_iteratorI7is_evenIyESF_NSA_11use_defaultESK_EENS0_5tupleIJNSA_16discard_iteratorISK_EESO_EEENSM_IJSG_SG_EEES6_PlJS6_EEE10hipError_tPvRmT3_T4_T5_T6_T7_T9_mT8_P12ihipStream_tbDpT10_ENKUlT_T0_E_clISt17integral_constantIbLb0EES1B_EEDaS16_S17_EUlS16_E_NS1_11comp_targetILNS1_3genE5ELNS1_11target_archE942ELNS1_3gpuE9ELNS1_3repE0EEENS1_30default_config_static_selectorELNS0_4arch9wavefront6targetE1EEEvT1_: ; @_ZN7rocprim17ROCPRIM_400000_NS6detail17trampoline_kernelINS0_14default_configENS1_25partition_config_selectorILNS1_17partition_subalgoE1EyNS0_10empty_typeEbEEZZNS1_14partition_implILS5_1ELb0ES3_jN6thrust23THRUST_200600_302600_NS6detail15normal_iteratorINSA_10device_ptrIyEEEEPS6_NSA_18transform_iteratorI7is_evenIyESF_NSA_11use_defaultESK_EENS0_5tupleIJNSA_16discard_iteratorISK_EESO_EEENSM_IJSG_SG_EEES6_PlJS6_EEE10hipError_tPvRmT3_T4_T5_T6_T7_T9_mT8_P12ihipStream_tbDpT10_ENKUlT_T0_E_clISt17integral_constantIbLb0EES1B_EEDaS16_S17_EUlS16_E_NS1_11comp_targetILNS1_3genE5ELNS1_11target_archE942ELNS1_3gpuE9ELNS1_3repE0EEENS1_30default_config_static_selectorELNS0_4arch9wavefront6targetE1EEEvT1_
; %bb.0:
	s_load_dword s3, s[0:1], 0x88
	s_load_dwordx2 s[4:5], s[0:1], 0x70
	s_load_dwordx4 s[12:15], s[0:1], 0x8
	s_load_dwordx2 s[6:7], s[0:1], 0x20
	s_load_dwordx4 s[20:23], s[0:1], 0x60
	s_waitcnt lgkmcnt(0)
	v_mov_b32_e32 v3, s5
	s_lshl_b64 s[8:9], s[14:15], 3
	s_add_u32 s16, s12, s8
	s_mul_i32 s5, s3, 0xe00
	s_addc_u32 s17, s13, s9
	s_add_i32 s10, s3, -1
	s_add_i32 s3, s5, s14
	s_sub_i32 s3, s4, s3
	s_addk_i32 s3, 0xe00
	v_mov_b32_e32 v2, s4
	s_add_u32 s4, s14, s5
	s_addc_u32 s5, s15, 0
	s_cmp_eq_u32 s2, s10
	s_load_dwordx2 s[18:19], s[22:23], 0x0
	s_cselect_b64 s[22:23], -1, 0
	s_cmp_lg_u32 s2, s10
	s_mul_i32 s12, s2, 0xe00
	s_mov_b32 s13, 0
	v_cmp_lt_u64_e32 vcc, s[4:5], v[2:3]
	s_cselect_b64 s[4:5], -1, 0
	s_or_b64 s[10:11], s[4:5], vcc
	s_lshl_b64 s[12:13], s[12:13], 3
	s_add_u32 s14, s16, s12
	s_addc_u32 s15, s17, s13
	s_mov_b64 s[4:5], -1
	s_and_b64 vcc, exec, s[10:11]
	s_cbranch_vccz .LBB2876_2
; %bb.1:
	v_lshlrev_b32_e32 v2, 3, v0
	v_mov_b32_e32 v3, 0
	v_lshl_add_u64 v[4:5], s[14:15], 0, v[2:3]
	v_add_co_u32_e32 v6, vcc, 0x1000, v4
	s_mov_b64 s[4:5], 0
	s_nop 0
	v_addc_co_u32_e32 v7, vcc, 0, v5, vcc
	v_add_co_u32_e32 v8, vcc, 0x2000, v4
	s_nop 1
	v_addc_co_u32_e32 v9, vcc, 0, v5, vcc
	v_add_co_u32_e32 v10, vcc, 0x3000, v4
	s_nop 1
	v_addc_co_u32_e32 v11, vcc, 0, v5, vcc
	flat_load_dwordx2 v[12:13], v[4:5]
	flat_load_dwordx2 v[14:15], v[6:7]
	;; [unrolled: 1-line block ×4, first 2 shown]
	v_add_co_u32_e32 v6, vcc, 0x4000, v4
	s_nop 1
	v_addc_co_u32_e32 v7, vcc, 0, v5, vcc
	v_add_co_u32_e32 v8, vcc, 0x5000, v4
	s_nop 1
	v_addc_co_u32_e32 v9, vcc, 0, v5, vcc
	;; [unrolled: 3-line block ×3, first 2 shown]
	flat_load_dwordx2 v[10:11], v[6:7]
	flat_load_dwordx2 v[20:21], v[8:9]
	;; [unrolled: 1-line block ×3, first 2 shown]
	s_waitcnt vmcnt(0) lgkmcnt(0)
	ds_write2st64_b64 v2, v[12:13], v[14:15] offset1:8
	ds_write2st64_b64 v2, v[16:17], v[18:19] offset0:16 offset1:24
	ds_write2st64_b64 v2, v[10:11], v[20:21] offset0:32 offset1:40
	ds_write_b64 v2, v[22:23] offset:24576
	s_waitcnt lgkmcnt(0)
	s_barrier
.LBB2876_2:
	s_andn2_b64 vcc, exec, s[4:5]
	v_cmp_gt_u32_e64 s[4:5], s3, v0
	s_cbranch_vccnz .LBB2876_18
; %bb.3:
                                        ; implicit-def: $vgpr2_vgpr3_vgpr4_vgpr5_vgpr6_vgpr7_vgpr8_vgpr9_vgpr10_vgpr11_vgpr12_vgpr13_vgpr14_vgpr15_vgpr16_vgpr17
	s_and_saveexec_b64 s[16:17], s[4:5]
	s_cbranch_execz .LBB2876_5
; %bb.4:
	v_lshlrev_b32_e32 v2, 3, v0
	v_mov_b32_e32 v3, 0
	v_lshl_add_u64 v[2:3], s[14:15], 0, v[2:3]
	flat_load_dwordx2 v[2:3], v[2:3]
.LBB2876_5:
	s_or_b64 exec, exec, s[16:17]
	v_or_b32_e32 v1, 0x200, v0
	v_cmp_gt_u32_e32 vcc, s3, v1
	s_and_saveexec_b64 s[4:5], vcc
	s_cbranch_execz .LBB2876_7
; %bb.6:
	v_lshlrev_b32_e32 v4, 3, v1
	v_mov_b32_e32 v5, 0
	v_lshl_add_u64 v[4:5], s[14:15], 0, v[4:5]
	flat_load_dwordx2 v[4:5], v[4:5]
.LBB2876_7:
	s_or_b64 exec, exec, s[4:5]
	v_or_b32_e32 v1, 0x400, v0
	v_cmp_gt_u32_e32 vcc, s3, v1
	s_and_saveexec_b64 s[4:5], vcc
	;; [unrolled: 11-line block ×6, first 2 shown]
	s_cbranch_execz .LBB2876_17
; %bb.16:
	v_lshlrev_b32_e32 v14, 3, v1
	v_mov_b32_e32 v15, 0
	v_lshl_add_u64 v[14:15], s[14:15], 0, v[14:15]
	flat_load_dwordx2 v[14:15], v[14:15]
.LBB2876_17:
	s_or_b64 exec, exec, s[4:5]
	v_lshlrev_b32_e32 v1, 3, v0
	s_waitcnt vmcnt(0) lgkmcnt(0)
	ds_write2st64_b64 v1, v[2:3], v[4:5] offset1:8
	ds_write2st64_b64 v1, v[6:7], v[8:9] offset0:16 offset1:24
	ds_write2st64_b64 v1, v[10:11], v[12:13] offset0:32 offset1:40
	ds_write_b64 v1, v[14:15] offset:24576
	s_waitcnt lgkmcnt(0)
	s_barrier
.LBB2876_18:
	v_mul_u32_u24_e32 v1, 7, v0
	v_lshlrev_b32_e32 v16, 3, v1
	s_waitcnt lgkmcnt(0)
	ds_read2_b64 v[10:13], v16 offset1:1
	ds_read2_b64 v[6:9], v16 offset0:2 offset1:3
	ds_read2_b64 v[2:5], v16 offset0:4 offset1:5
	ds_read_b64 v[14:15], v16 offset:48
	s_add_u32 s4, s6, s8
	s_addc_u32 s5, s7, s9
	s_add_u32 s4, s4, s12
	s_addc_u32 s5, s5, s13
	s_mov_b64 s[6:7], -1
	s_and_b64 vcc, exec, s[10:11]
	s_waitcnt lgkmcnt(0)
	s_barrier
	s_cbranch_vccz .LBB2876_20
; %bb.19:
	v_lshlrev_b32_e32 v18, 3, v0
	v_mov_b32_e32 v19, 0
	v_lshl_add_u64 v[20:21], s[4:5], 0, v[18:19]
	v_add_co_u32_e32 v22, vcc, 0x1000, v20
	global_load_dwordx2 v[18:19], v18, s[4:5]
	s_nop 0
	v_addc_co_u32_e32 v23, vcc, 0, v21, vcc
	v_add_co_u32_e32 v24, vcc, 0x2000, v20
	s_mov_b64 s[6:7], 0
	s_nop 0
	v_addc_co_u32_e32 v25, vcc, 0, v21, vcc
	v_add_co_u32_e32 v26, vcc, 0x3000, v20
	s_waitcnt vmcnt(0)
	v_xor_b32_e32 v17, -1, v18
	v_addc_co_u32_e32 v27, vcc, 0, v21, vcc
	v_add_co_u32_e32 v28, vcc, 0x4000, v20
	v_and_b32_e32 v17, 1, v17
	s_nop 0
	v_addc_co_u32_e32 v29, vcc, 0, v21, vcc
	global_load_dwordx2 v[30:31], v[22:23], off
	global_load_dwordx2 v[32:33], v[24:25], off
	;; [unrolled: 1-line block ×4, first 2 shown]
	v_add_co_u32_e32 v22, vcc, 0x5000, v20
	ds_write_b8 v0, v17
	s_nop 0
	v_addc_co_u32_e32 v23, vcc, 0, v21, vcc
	v_add_co_u32_e32 v20, vcc, 0x6000, v20
	global_load_dwordx2 v[22:23], v[22:23], off
	s_nop 0
	v_addc_co_u32_e32 v21, vcc, 0, v21, vcc
	global_load_dwordx2 v[20:21], v[20:21], off
	s_waitcnt vmcnt(5)
	v_xor_b32_e32 v17, -1, v30
	v_and_b32_e32 v17, 1, v17
	s_waitcnt vmcnt(4)
	v_xor_b32_e32 v18, -1, v32
	s_waitcnt vmcnt(3)
	v_xor_b32_e32 v19, -1, v34
	v_and_b32_e32 v18, 1, v18
	ds_write_b8 v0, v17 offset:512
	v_and_b32_e32 v17, 1, v19
	s_waitcnt vmcnt(2)
	v_xor_b32_e32 v19, -1, v36
	ds_write_b8 v0, v18 offset:1024
	v_and_b32_e32 v18, 1, v19
	ds_write_b8 v0, v17 offset:1536
	s_waitcnt vmcnt(1)
	v_xor_b32_e32 v19, -1, v22
	v_and_b32_e32 v17, 1, v19
	ds_write_b8 v0, v18 offset:2048
	s_waitcnt vmcnt(0)
	v_xor_b32_e32 v19, -1, v20
	v_and_b32_e32 v18, 1, v19
	ds_write_b8 v0, v17 offset:2560
	ds_write_b8 v0, v18 offset:3072
	s_waitcnt lgkmcnt(0)
	s_barrier
.LBB2876_20:
	s_load_dwordx2 s[24:25], s[0:1], 0x80
	s_andn2_b64 vcc, exec, s[6:7]
	s_cbranch_vccnz .LBB2876_36
; %bb.21:
	v_cmp_gt_u32_e32 vcc, s3, v0
	v_mov_b32_e32 v17, 0
	v_mov_b32_e32 v18, 0
	s_and_saveexec_b64 s[0:1], vcc
	s_cbranch_execz .LBB2876_23
; %bb.22:
	v_lshlrev_b32_e32 v18, 3, v0
	global_load_dwordx2 v[18:19], v18, s[4:5]
	s_waitcnt vmcnt(0)
	v_xor_b32_e32 v18, -1, v18
	v_and_b32_e32 v18, 1, v18
.LBB2876_23:
	s_or_b64 exec, exec, s[0:1]
	v_or_b32_e32 v19, 0x200, v0
	v_cmp_gt_u32_e32 vcc, s3, v19
	s_and_saveexec_b64 s[0:1], vcc
	s_cbranch_execz .LBB2876_25
; %bb.24:
	v_lshlrev_b32_e32 v17, 3, v19
	global_load_dwordx2 v[20:21], v17, s[4:5]
	s_waitcnt vmcnt(0)
	v_xor_b32_e32 v17, -1, v20
	v_and_b32_e32 v17, 1, v17
.LBB2876_25:
	s_or_b64 exec, exec, s[0:1]
	v_or_b32_e32 v21, 0x400, v0
	v_cmp_gt_u32_e32 vcc, s3, v21
	v_mov_b32_e32 v19, 0
	v_mov_b32_e32 v20, 0
	s_and_saveexec_b64 s[0:1], vcc
	s_cbranch_execz .LBB2876_27
; %bb.26:
	v_lshlrev_b32_e32 v20, 3, v21
	global_load_dwordx2 v[20:21], v20, s[4:5]
	s_waitcnt vmcnt(0)
	v_xor_b32_e32 v20, -1, v20
	v_and_b32_e32 v20, 1, v20
.LBB2876_27:
	s_or_b64 exec, exec, s[0:1]
	v_or_b32_e32 v21, 0x600, v0
	v_cmp_gt_u32_e32 vcc, s3, v21
	s_and_saveexec_b64 s[0:1], vcc
	s_cbranch_execz .LBB2876_29
; %bb.28:
	v_lshlrev_b32_e32 v19, 3, v21
	global_load_dwordx2 v[22:23], v19, s[4:5]
	s_waitcnt vmcnt(0)
	v_xor_b32_e32 v19, -1, v22
	v_and_b32_e32 v19, 1, v19
.LBB2876_29:
	s_or_b64 exec, exec, s[0:1]
	v_or_b32_e32 v23, 0x800, v0
	v_cmp_gt_u32_e32 vcc, s3, v23
	v_mov_b32_e32 v21, 0
	v_mov_b32_e32 v22, 0
	s_and_saveexec_b64 s[0:1], vcc
	s_cbranch_execz .LBB2876_31
; %bb.30:
	v_lshlrev_b32_e32 v22, 3, v23
	global_load_dwordx2 v[22:23], v22, s[4:5]
	s_waitcnt vmcnt(0)
	v_xor_b32_e32 v22, -1, v22
	v_and_b32_e32 v22, 1, v22
.LBB2876_31:
	s_or_b64 exec, exec, s[0:1]
	v_or_b32_e32 v23, 0xa00, v0
	v_cmp_gt_u32_e32 vcc, s3, v23
	s_and_saveexec_b64 s[0:1], vcc
	s_cbranch_execz .LBB2876_33
; %bb.32:
	v_lshlrev_b32_e32 v21, 3, v23
	global_load_dwordx2 v[24:25], v21, s[4:5]
	s_waitcnt vmcnt(0)
	v_xor_b32_e32 v21, -1, v24
	v_and_b32_e32 v21, 1, v21
.LBB2876_33:
	s_or_b64 exec, exec, s[0:1]
	v_or_b32_e32 v24, 0xc00, v0
	v_cmp_gt_u32_e32 vcc, s3, v24
	v_mov_b32_e32 v23, 0
	s_and_saveexec_b64 s[0:1], vcc
	s_cbranch_execz .LBB2876_35
; %bb.34:
	v_lshlrev_b32_e32 v23, 3, v24
	global_load_dwordx2 v[24:25], v23, s[4:5]
	s_waitcnt vmcnt(0)
	v_xor_b32_e32 v23, -1, v24
	v_and_b32_e32 v23, 1, v23
.LBB2876_35:
	s_or_b64 exec, exec, s[0:1]
	ds_write_b8 v0, v18
	ds_write_b8 v0, v17 offset:512
	ds_write_b8 v0, v20 offset:1024
	;; [unrolled: 1-line block ×6, first 2 shown]
	s_waitcnt lgkmcnt(0)
	s_barrier
.LBB2876_36:
	s_movk_i32 s0, 0xffcf
	v_mad_i32_i24 v34, v0, s0, v16
	s_waitcnt lgkmcnt(0)
	ds_read_u8 v16, v34
	ds_read_u8 v17, v34 offset:1
	ds_read_u8 v18, v34 offset:2
	;; [unrolled: 1-line block ×6, first 2 shown]
	s_waitcnt lgkmcnt(6)
	v_and_b32_e32 v32, 1, v16
	s_waitcnt lgkmcnt(5)
	v_and_b32_e32 v31, 1, v17
	;; [unrolled: 2-line block ×5, first 2 shown]
	v_add3_u32 v16, v31, v32, v30
	s_waitcnt lgkmcnt(1)
	v_and_b32_e32 v27, 1, v21
	s_waitcnt lgkmcnt(0)
	v_and_b32_e32 v26, 1, v22
	v_add3_u32 v16, v16, v29, v28
	v_add3_u32 v36, v16, v27, v26
	v_mbcnt_lo_u32_b32 v16, -1, 0
	v_mbcnt_hi_u32_b32 v33, -1, v16
	v_and_b32_e32 v16, 15, v33
	v_cmp_eq_u32_e64 s[12:13], 0, v16
	v_cmp_lt_u32_e64 s[10:11], 1, v16
	v_cmp_lt_u32_e64 s[8:9], 3, v16
	;; [unrolled: 1-line block ×3, first 2 shown]
	v_and_b32_e32 v16, 16, v33
	v_cmp_eq_u32_e64 s[4:5], 0, v16
	v_or_b32_e32 v16, 63, v0
	s_cmp_lg_u32 s2, 0
	v_cmp_lt_u32_e64 s[0:1], 31, v33
	v_lshrrev_b32_e32 v35, 6, v0
	v_cmp_eq_u32_e64 s[16:17], v16, v0
	s_barrier
	s_cbranch_scc0 .LBB2876_63
; %bb.37:
	v_mov_b32_dpp v16, v36 row_shr:1 row_mask:0xf bank_mask:0xf
	v_cndmask_b32_e64 v16, v16, 0, s[12:13]
	v_add_u32_e32 v16, v16, v36
	s_nop 1
	v_mov_b32_dpp v17, v16 row_shr:2 row_mask:0xf bank_mask:0xf
	v_cndmask_b32_e64 v17, 0, v17, s[10:11]
	v_add_u32_e32 v16, v16, v17
	s_nop 1
	;; [unrolled: 4-line block ×4, first 2 shown]
	v_mov_b32_dpp v17, v16 row_bcast:15 row_mask:0xf bank_mask:0xf
	v_cndmask_b32_e64 v17, v17, 0, s[4:5]
	v_add_u32_e32 v16, v16, v17
	s_nop 1
	v_mov_b32_dpp v17, v16 row_bcast:31 row_mask:0xf bank_mask:0xf
	v_cndmask_b32_e64 v17, 0, v17, s[0:1]
	v_add_u32_e32 v16, v16, v17
	s_and_saveexec_b64 s[14:15], s[16:17]
	s_cbranch_execz .LBB2876_39
; %bb.38:
	v_lshlrev_b32_e32 v17, 2, v35
	ds_write_b32 v17, v16
.LBB2876_39:
	s_or_b64 exec, exec, s[14:15]
	v_cmp_gt_u32_e32 vcc, 8, v0
	s_waitcnt lgkmcnt(0)
	s_barrier
	s_and_saveexec_b64 s[14:15], vcc
	s_cbranch_execz .LBB2876_41
; %bb.40:
	v_lshlrev_b32_e32 v17, 2, v0
	ds_read_b32 v18, v17
	v_and_b32_e32 v19, 7, v33
	v_cmp_ne_u32_e32 vcc, 0, v19
	s_waitcnt lgkmcnt(0)
	v_mov_b32_dpp v20, v18 row_shr:1 row_mask:0xf bank_mask:0xf
	v_cndmask_b32_e32 v20, 0, v20, vcc
	v_add_u32_e32 v18, v20, v18
	v_cmp_lt_u32_e32 vcc, 1, v19
	s_nop 0
	v_mov_b32_dpp v20, v18 row_shr:2 row_mask:0xf bank_mask:0xf
	v_cndmask_b32_e32 v20, 0, v20, vcc
	v_add_u32_e32 v18, v18, v20
	v_cmp_lt_u32_e32 vcc, 3, v19
	s_nop 0
	v_mov_b32_dpp v20, v18 row_shr:4 row_mask:0xf bank_mask:0xf
	v_cndmask_b32_e32 v19, 0, v20, vcc
	v_add_u32_e32 v18, v18, v19
	ds_write_b32 v17, v18
.LBB2876_41:
	s_or_b64 exec, exec, s[14:15]
	v_cmp_gt_u32_e32 vcc, 64, v0
	v_cmp_lt_u32_e64 s[14:15], 63, v0
	s_waitcnt lgkmcnt(0)
	s_barrier
	s_waitcnt lgkmcnt(0)
                                        ; implicit-def: $vgpr37
	s_and_saveexec_b64 s[26:27], s[14:15]
	s_cbranch_execz .LBB2876_43
; %bb.42:
	v_lshl_add_u32 v17, v35, 2, -4
	ds_read_b32 v37, v17
	s_waitcnt lgkmcnt(0)
	v_add_u32_e32 v16, v37, v16
.LBB2876_43:
	s_or_b64 exec, exec, s[26:27]
	v_add_u32_e32 v17, -1, v33
	v_and_b32_e32 v18, 64, v33
	v_cmp_lt_i32_e64 s[14:15], v17, v18
	s_nop 1
	v_cndmask_b32_e64 v17, v17, v33, s[14:15]
	v_lshlrev_b32_e32 v17, 2, v17
	ds_bpermute_b32 v38, v17, v16
	v_cmp_eq_u32_e64 s[14:15], 0, v33
	s_and_saveexec_b64 s[26:27], vcc
	s_cbranch_execz .LBB2876_62
; %bb.44:
	v_mov_b32_e32 v23, 0
	ds_read_b32 v16, v23 offset:28
	s_and_saveexec_b64 s[28:29], s[14:15]
	s_cbranch_execz .LBB2876_46
; %bb.45:
	s_add_i32 s30, s2, 64
	s_mov_b32 s31, 0
	s_lshl_b64 s[30:31], s[30:31], 3
	s_add_u32 s30, s24, s30
	v_mov_b32_e32 v17, 1
	s_addc_u32 s31, s25, s31
	s_waitcnt lgkmcnt(0)
	global_store_dwordx2 v23, v[16:17], s[30:31] sc1
.LBB2876_46:
	s_or_b64 exec, exec, s[28:29]
	v_xad_u32 v18, v33, -1, s2
	v_add_u32_e32 v22, 64, v18
	v_lshl_add_u64 v[24:25], v[22:23], 3, s[24:25]
	global_load_dwordx2 v[20:21], v[24:25], off sc1
	s_waitcnt vmcnt(0)
	v_cmp_eq_u16_sdwa s[30:31], v21, v23 src0_sel:BYTE_0 src1_sel:DWORD
	s_and_saveexec_b64 s[28:29], s[30:31]
	s_cbranch_execz .LBB2876_50
; %bb.47:
	s_mov_b64 s[30:31], 0
	v_mov_b32_e32 v17, 0
.LBB2876_48:                            ; =>This Inner Loop Header: Depth=1
	global_load_dwordx2 v[20:21], v[24:25], off sc1
	s_waitcnt vmcnt(0)
	v_cmp_ne_u16_sdwa s[34:35], v21, v17 src0_sel:BYTE_0 src1_sel:DWORD
	s_or_b64 s[30:31], s[34:35], s[30:31]
	s_andn2_b64 exec, exec, s[30:31]
	s_cbranch_execnz .LBB2876_48
; %bb.49:
	s_or_b64 exec, exec, s[30:31]
.LBB2876_50:
	s_or_b64 exec, exec, s[28:29]
	v_and_b32_e32 v40, 63, v33
	v_mov_b32_e32 v39, 2
	v_cmp_ne_u32_e32 vcc, 63, v40
	v_cmp_eq_u16_sdwa s[28:29], v21, v39 src0_sel:BYTE_0 src1_sel:DWORD
	v_lshlrev_b64 v[22:23], v33, -1
	v_addc_co_u32_e32 v24, vcc, 0, v33, vcc
	v_and_b32_e32 v17, s29, v23
	v_lshlrev_b32_e32 v41, 2, v24
	v_or_b32_e32 v17, 0x80000000, v17
	ds_bpermute_b32 v24, v41, v20
	v_and_b32_e32 v19, s28, v22
	v_ffbl_b32_e32 v17, v17
	v_add_u32_e32 v17, 32, v17
	v_ffbl_b32_e32 v19, v19
	v_min_u32_e32 v17, v19, v17
	v_cmp_lt_u32_e32 vcc, v40, v17
	v_add_u32_e32 v43, 2, v40
	v_add_u32_e32 v45, 4, v40
	s_waitcnt lgkmcnt(0)
	v_cndmask_b32_e32 v19, 0, v24, vcc
	v_cmp_gt_u32_e32 vcc, 62, v40
	v_add_u32_e32 v19, v19, v20
	v_add_u32_e32 v47, 8, v40
	v_cndmask_b32_e64 v20, 0, 1, vcc
	v_lshlrev_b32_e32 v20, 1, v20
	v_add_lshl_u32 v42, v20, v33, 2
	ds_bpermute_b32 v20, v42, v19
	v_cmp_le_u32_e32 vcc, v43, v17
	v_add_u32_e32 v49, 16, v40
	v_add_u32_e32 v51, 32, v40
	s_waitcnt lgkmcnt(0)
	v_cndmask_b32_e32 v20, 0, v20, vcc
	v_cmp_gt_u32_e32 vcc, 60, v40
	v_add_u32_e32 v19, v19, v20
	s_nop 0
	v_cndmask_b32_e64 v20, 0, 1, vcc
	v_lshlrev_b32_e32 v20, 2, v20
	v_add_lshl_u32 v44, v20, v33, 2
	ds_bpermute_b32 v20, v44, v19
	v_cmp_le_u32_e32 vcc, v45, v17
	s_waitcnt lgkmcnt(0)
	s_nop 0
	v_cndmask_b32_e32 v20, 0, v20, vcc
	v_cmp_gt_u32_e32 vcc, 56, v40
	v_add_u32_e32 v19, v19, v20
	s_nop 0
	v_cndmask_b32_e64 v20, 0, 1, vcc
	v_lshlrev_b32_e32 v20, 3, v20
	v_add_lshl_u32 v46, v20, v33, 2
	ds_bpermute_b32 v20, v46, v19
	v_cmp_le_u32_e32 vcc, v47, v17
	s_waitcnt lgkmcnt(0)
	s_nop 0
	;; [unrolled: 11-line block ×4, first 2 shown]
	v_cndmask_b32_e32 v17, 0, v20, vcc
	v_add_u32_e32 v20, v19, v17
	v_mov_b32_e32 v19, 0
	s_branch .LBB2876_52
.LBB2876_51:                            ;   in Loop: Header=BB2876_52 Depth=1
	s_or_b64 exec, exec, s[28:29]
	v_cmp_eq_u16_sdwa s[28:29], v21, v39 src0_sel:BYTE_0 src1_sel:DWORD
	ds_bpermute_b32 v52, v41, v20
	v_subrev_u32_e32 v18, 64, v18
	v_and_b32_e32 v24, s29, v23
	v_or_b32_e32 v24, 0x80000000, v24
	v_and_b32_e32 v25, s28, v22
	v_ffbl_b32_e32 v24, v24
	v_add_u32_e32 v24, 32, v24
	v_ffbl_b32_e32 v25, v25
	v_min_u32_e32 v24, v25, v24
	v_cmp_lt_u32_e32 vcc, v40, v24
	s_waitcnt lgkmcnt(0)
	s_nop 0
	v_cndmask_b32_e32 v25, 0, v52, vcc
	v_add_u32_e32 v20, v25, v20
	ds_bpermute_b32 v25, v42, v20
	v_cmp_le_u32_e32 vcc, v43, v24
	s_waitcnt lgkmcnt(0)
	s_nop 0
	v_cndmask_b32_e32 v25, 0, v25, vcc
	v_add_u32_e32 v20, v20, v25
	ds_bpermute_b32 v25, v44, v20
	v_cmp_le_u32_e32 vcc, v45, v24
	s_waitcnt lgkmcnt(0)
	s_nop 0
	v_cndmask_b32_e32 v25, 0, v25, vcc
	v_add_u32_e32 v20, v20, v25
	ds_bpermute_b32 v25, v46, v20
	v_cmp_le_u32_e32 vcc, v47, v24
	s_waitcnt lgkmcnt(0)
	s_nop 0
	v_cndmask_b32_e32 v25, 0, v25, vcc
	v_add_u32_e32 v20, v20, v25
	ds_bpermute_b32 v25, v48, v20
	v_cmp_le_u32_e32 vcc, v49, v24
	s_waitcnt lgkmcnt(0)
	s_nop 0
	v_cndmask_b32_e32 v25, 0, v25, vcc
	v_add_u32_e32 v20, v20, v25
	ds_bpermute_b32 v25, v50, v20
	v_cmp_le_u32_e32 vcc, v51, v24
	s_waitcnt lgkmcnt(0)
	s_nop 0
	v_cndmask_b32_e32 v24, 0, v25, vcc
	v_add3_u32 v20, v24, v17, v20
.LBB2876_52:                            ; =>This Loop Header: Depth=1
                                        ;     Child Loop BB2876_55 Depth 2
	v_cmp_ne_u16_sdwa s[28:29], v21, v39 src0_sel:BYTE_0 src1_sel:DWORD
	s_nop 1
	v_cndmask_b32_e64 v17, 0, 1, s[28:29]
	;;#ASMSTART
	;;#ASMEND
	s_nop 0
	v_cmp_ne_u32_e32 vcc, 0, v17
	s_cmp_lg_u64 vcc, exec
	v_mov_b32_e32 v17, v20
	s_cbranch_scc1 .LBB2876_57
; %bb.53:                               ;   in Loop: Header=BB2876_52 Depth=1
	v_lshl_add_u64 v[24:25], v[18:19], 3, s[24:25]
	global_load_dwordx2 v[20:21], v[24:25], off sc1
	s_waitcnt vmcnt(0)
	v_cmp_eq_u16_sdwa s[30:31], v21, v19 src0_sel:BYTE_0 src1_sel:DWORD
	s_and_saveexec_b64 s[28:29], s[30:31]
	s_cbranch_execz .LBB2876_51
; %bb.54:                               ;   in Loop: Header=BB2876_52 Depth=1
	s_mov_b64 s[30:31], 0
.LBB2876_55:                            ;   Parent Loop BB2876_52 Depth=1
                                        ; =>  This Inner Loop Header: Depth=2
	global_load_dwordx2 v[20:21], v[24:25], off sc1
	s_waitcnt vmcnt(0)
	v_cmp_ne_u16_sdwa s[34:35], v21, v19 src0_sel:BYTE_0 src1_sel:DWORD
	s_or_b64 s[30:31], s[34:35], s[30:31]
	s_andn2_b64 exec, exec, s[30:31]
	s_cbranch_execnz .LBB2876_55
; %bb.56:                               ;   in Loop: Header=BB2876_52 Depth=1
	s_or_b64 exec, exec, s[30:31]
	s_branch .LBB2876_51
.LBB2876_57:                            ;   in Loop: Header=BB2876_52 Depth=1
                                        ; implicit-def: $vgpr20
                                        ; implicit-def: $vgpr21
	s_cbranch_execz .LBB2876_52
; %bb.58:
	s_and_saveexec_b64 s[28:29], s[14:15]
	s_cbranch_execz .LBB2876_60
; %bb.59:
	s_add_i32 s2, s2, 64
	s_mov_b32 s3, 0
	s_lshl_b64 s[2:3], s[2:3], 3
	s_add_u32 s2, s24, s2
	v_add_u32_e32 v18, v17, v16
	v_mov_b32_e32 v19, 2
	s_addc_u32 s3, s25, s3
	v_mov_b32_e32 v20, 0
	global_store_dwordx2 v20, v[18:19], s[2:3] sc1
	ds_write_b64 v20, v[16:17] offset:28672
.LBB2876_60:
	s_or_b64 exec, exec, s[28:29]
	v_cmp_eq_u32_e32 vcc, 0, v0
	s_and_b64 exec, exec, vcc
	s_cbranch_execz .LBB2876_62
; %bb.61:
	v_mov_b32_e32 v16, 0
	ds_write_b32 v16, v17 offset:28
.LBB2876_62:
	s_or_b64 exec, exec, s[26:27]
	v_mov_b32_e32 v16, 0
	s_waitcnt lgkmcnt(0)
	s_barrier
	ds_read_b32 v17, v16 offset:28
	v_cndmask_b32_e64 v18, v38, v37, s[14:15]
	v_cmp_ne_u32_e32 vcc, 0, v0
	s_waitcnt lgkmcnt(0)
	s_barrier
	v_cndmask_b32_e32 v18, 0, v18, vcc
	v_add_u32_e32 v24, v17, v18
	v_add_u32_e32 v23, v24, v32
	;; [unrolled: 1-line block ×3, first 2 shown]
	ds_read_b64 v[16:17], v16 offset:28672
	v_add_u32_e32 v20, v22, v30
	v_add_u32_e32 v21, v20, v29
	;; [unrolled: 1-line block ×4, first 2 shown]
	s_branch .LBB2876_73
.LBB2876_63:
                                        ; implicit-def: $vgpr17
                                        ; implicit-def: $vgpr18
                                        ; implicit-def: $vgpr19
                                        ; implicit-def: $vgpr21
                                        ; implicit-def: $vgpr20
                                        ; implicit-def: $vgpr22
                                        ; implicit-def: $vgpr23
                                        ; implicit-def: $vgpr24
	s_cbranch_execz .LBB2876_73
; %bb.64:
	s_waitcnt lgkmcnt(0)
	v_mov_b32_dpp v16, v36 row_shr:1 row_mask:0xf bank_mask:0xf
	v_cndmask_b32_e64 v16, v16, 0, s[12:13]
	v_add_u32_e32 v16, v16, v36
	s_nop 1
	v_mov_b32_dpp v17, v16 row_shr:2 row_mask:0xf bank_mask:0xf
	v_cndmask_b32_e64 v17, 0, v17, s[10:11]
	v_add_u32_e32 v16, v16, v17
	s_nop 1
	;; [unrolled: 4-line block ×4, first 2 shown]
	v_mov_b32_dpp v17, v16 row_bcast:15 row_mask:0xf bank_mask:0xf
	v_cndmask_b32_e64 v17, v17, 0, s[4:5]
	v_add_u32_e32 v16, v16, v17
	s_nop 1
	v_mov_b32_dpp v17, v16 row_bcast:31 row_mask:0xf bank_mask:0xf
	v_cndmask_b32_e64 v17, 0, v17, s[0:1]
	v_add_u32_e32 v16, v16, v17
	s_and_saveexec_b64 s[0:1], s[16:17]
	s_cbranch_execz .LBB2876_66
; %bb.65:
	v_lshlrev_b32_e32 v17, 2, v35
	ds_write_b32 v17, v16
.LBB2876_66:
	s_or_b64 exec, exec, s[0:1]
	v_cmp_gt_u32_e32 vcc, 8, v0
	s_waitcnt lgkmcnt(0)
	s_barrier
	s_and_saveexec_b64 s[0:1], vcc
	s_cbranch_execz .LBB2876_68
; %bb.67:
	v_mad_i32_i24 v17, v0, -3, v34
	ds_read_b32 v18, v17
	v_and_b32_e32 v19, 7, v33
	v_cmp_ne_u32_e32 vcc, 0, v19
	s_waitcnt lgkmcnt(0)
	v_mov_b32_dpp v20, v18 row_shr:1 row_mask:0xf bank_mask:0xf
	v_cndmask_b32_e32 v20, 0, v20, vcc
	v_add_u32_e32 v18, v20, v18
	v_cmp_lt_u32_e32 vcc, 1, v19
	s_nop 0
	v_mov_b32_dpp v20, v18 row_shr:2 row_mask:0xf bank_mask:0xf
	v_cndmask_b32_e32 v20, 0, v20, vcc
	v_add_u32_e32 v18, v18, v20
	v_cmp_lt_u32_e32 vcc, 3, v19
	s_nop 0
	v_mov_b32_dpp v20, v18 row_shr:4 row_mask:0xf bank_mask:0xf
	v_cndmask_b32_e32 v19, 0, v20, vcc
	v_add_u32_e32 v18, v18, v19
	ds_write_b32 v17, v18
.LBB2876_68:
	s_or_b64 exec, exec, s[0:1]
	v_cmp_lt_u32_e32 vcc, 63, v0
	v_mov_b32_e32 v17, 0
	v_mov_b32_e32 v18, 0
	s_waitcnt lgkmcnt(0)
	s_barrier
	s_and_saveexec_b64 s[0:1], vcc
	s_cbranch_execz .LBB2876_70
; %bb.69:
	v_lshl_add_u32 v18, v35, 2, -4
	ds_read_b32 v18, v18
.LBB2876_70:
	s_or_b64 exec, exec, s[0:1]
	v_add_u32_e32 v19, -1, v33
	v_and_b32_e32 v20, 64, v33
	v_cmp_lt_i32_e32 vcc, v19, v20
	s_waitcnt lgkmcnt(0)
	v_add_u32_e32 v16, v18, v16
	v_cndmask_b32_e32 v19, v19, v33, vcc
	v_lshlrev_b32_e32 v19, 2, v19
	ds_bpermute_b32 v19, v19, v16
	ds_read_b32 v16, v17 offset:28
	v_cmp_eq_u32_e32 vcc, 0, v0
	s_and_saveexec_b64 s[0:1], vcc
	s_cbranch_execz .LBB2876_72
; %bb.71:
	v_mov_b32_e32 v20, 0
	v_mov_b32_e32 v17, 2
	s_waitcnt lgkmcnt(0)
	global_store_dwordx2 v20, v[16:17], s[24:25] offset:512 sc1
.LBB2876_72:
	s_or_b64 exec, exec, s[0:1]
	v_cmp_eq_u32_e64 s[0:1], 0, v33
	v_mov_b32_e32 v17, 0
	s_waitcnt lgkmcnt(0)
	v_cndmask_b32_e64 v18, v19, v18, s[0:1]
	v_cndmask_b32_e64 v24, v18, 0, vcc
	v_add_u32_e32 v23, v24, v32
	v_add_u32_e32 v22, v23, v31
	v_add_u32_e32 v20, v22, v30
	v_add_u32_e32 v21, v20, v29
	v_add_u32_e32 v19, v21, v28
	v_add_u32_e32 v18, v19, v27
	s_barrier
.LBB2876_73:
	s_waitcnt lgkmcnt(0)
	v_add_u32_e32 v1, v16, v1
	v_sub_u32_e32 v24, v24, v17
	v_sub_u32_e32 v25, v1, v24
	v_cmp_eq_u32_e32 vcc, 1, v32
	s_nop 1
	v_cndmask_b32_e32 v24, v25, v24, vcc
	v_lshlrev_b32_e32 v24, 3, v24
	ds_write_b64 v24, v[10:11]
	v_sub_u32_e32 v10, v23, v17
	v_sub_u32_e32 v11, v1, v10
	v_add_u32_e32 v11, 1, v11
	v_cmp_eq_u32_e32 vcc, 1, v31
	s_nop 1
	v_cndmask_b32_e32 v10, v11, v10, vcc
	v_lshlrev_b32_e32 v10, 3, v10
	ds_write_b64 v10, v[12:13]
	v_sub_u32_e32 v10, v22, v17
	v_sub_u32_e32 v11, v1, v10
	v_add_u32_e32 v11, 2, v11
	;; [unrolled: 8-line block ×6, first 2 shown]
	v_cmp_eq_u32_e32 vcc, 1, v26
	s_nop 1
	v_cndmask_b32_e32 v1, v1, v2, vcc
	v_cmp_eq_u32_e32 vcc, 0, v0
	v_lshlrev_b32_e32 v1, 3, v1
	s_and_b64 s[0:1], vcc, s[22:23]
	ds_write_b64 v1, v[14:15]
	s_waitcnt lgkmcnt(0)
	s_barrier
	s_and_saveexec_b64 s[2:3], s[0:1]
	s_cbranch_execz .LBB2876_75
; %bb.74:
	v_mov_b32_e32 v1, 0
	v_mov_b32_e32 v0, v16
	v_lshl_add_u64 v[2:3], s[18:19], 0, v[0:1]
	v_mov_b32_e32 v0, v17
	v_lshl_add_u64 v[2:3], v[2:3], 0, v[0:1]
	global_store_dwordx2 v1, v[2:3], s[20:21]
.LBB2876_75:
	s_endpgm
	.section	.rodata,"a",@progbits
	.p2align	6, 0x0
	.amdhsa_kernel _ZN7rocprim17ROCPRIM_400000_NS6detail17trampoline_kernelINS0_14default_configENS1_25partition_config_selectorILNS1_17partition_subalgoE1EyNS0_10empty_typeEbEEZZNS1_14partition_implILS5_1ELb0ES3_jN6thrust23THRUST_200600_302600_NS6detail15normal_iteratorINSA_10device_ptrIyEEEEPS6_NSA_18transform_iteratorI7is_evenIyESF_NSA_11use_defaultESK_EENS0_5tupleIJNSA_16discard_iteratorISK_EESO_EEENSM_IJSG_SG_EEES6_PlJS6_EEE10hipError_tPvRmT3_T4_T5_T6_T7_T9_mT8_P12ihipStream_tbDpT10_ENKUlT_T0_E_clISt17integral_constantIbLb0EES1B_EEDaS16_S17_EUlS16_E_NS1_11comp_targetILNS1_3genE5ELNS1_11target_archE942ELNS1_3gpuE9ELNS1_3repE0EEENS1_30default_config_static_selectorELNS0_4arch9wavefront6targetE1EEEvT1_
		.amdhsa_group_segment_fixed_size 28680
		.amdhsa_private_segment_fixed_size 0
		.amdhsa_kernarg_size 144
		.amdhsa_user_sgpr_count 2
		.amdhsa_user_sgpr_dispatch_ptr 0
		.amdhsa_user_sgpr_queue_ptr 0
		.amdhsa_user_sgpr_kernarg_segment_ptr 1
		.amdhsa_user_sgpr_dispatch_id 0
		.amdhsa_user_sgpr_kernarg_preload_length 0
		.amdhsa_user_sgpr_kernarg_preload_offset 0
		.amdhsa_user_sgpr_private_segment_size 0
		.amdhsa_uses_dynamic_stack 0
		.amdhsa_enable_private_segment 0
		.amdhsa_system_sgpr_workgroup_id_x 1
		.amdhsa_system_sgpr_workgroup_id_y 0
		.amdhsa_system_sgpr_workgroup_id_z 0
		.amdhsa_system_sgpr_workgroup_info 0
		.amdhsa_system_vgpr_workitem_id 0
		.amdhsa_next_free_vgpr 53
		.amdhsa_next_free_sgpr 36
		.amdhsa_accum_offset 56
		.amdhsa_reserve_vcc 1
		.amdhsa_float_round_mode_32 0
		.amdhsa_float_round_mode_16_64 0
		.amdhsa_float_denorm_mode_32 3
		.amdhsa_float_denorm_mode_16_64 3
		.amdhsa_dx10_clamp 1
		.amdhsa_ieee_mode 1
		.amdhsa_fp16_overflow 0
		.amdhsa_tg_split 0
		.amdhsa_exception_fp_ieee_invalid_op 0
		.amdhsa_exception_fp_denorm_src 0
		.amdhsa_exception_fp_ieee_div_zero 0
		.amdhsa_exception_fp_ieee_overflow 0
		.amdhsa_exception_fp_ieee_underflow 0
		.amdhsa_exception_fp_ieee_inexact 0
		.amdhsa_exception_int_div_zero 0
	.end_amdhsa_kernel
	.section	.text._ZN7rocprim17ROCPRIM_400000_NS6detail17trampoline_kernelINS0_14default_configENS1_25partition_config_selectorILNS1_17partition_subalgoE1EyNS0_10empty_typeEbEEZZNS1_14partition_implILS5_1ELb0ES3_jN6thrust23THRUST_200600_302600_NS6detail15normal_iteratorINSA_10device_ptrIyEEEEPS6_NSA_18transform_iteratorI7is_evenIyESF_NSA_11use_defaultESK_EENS0_5tupleIJNSA_16discard_iteratorISK_EESO_EEENSM_IJSG_SG_EEES6_PlJS6_EEE10hipError_tPvRmT3_T4_T5_T6_T7_T9_mT8_P12ihipStream_tbDpT10_ENKUlT_T0_E_clISt17integral_constantIbLb0EES1B_EEDaS16_S17_EUlS16_E_NS1_11comp_targetILNS1_3genE5ELNS1_11target_archE942ELNS1_3gpuE9ELNS1_3repE0EEENS1_30default_config_static_selectorELNS0_4arch9wavefront6targetE1EEEvT1_,"axG",@progbits,_ZN7rocprim17ROCPRIM_400000_NS6detail17trampoline_kernelINS0_14default_configENS1_25partition_config_selectorILNS1_17partition_subalgoE1EyNS0_10empty_typeEbEEZZNS1_14partition_implILS5_1ELb0ES3_jN6thrust23THRUST_200600_302600_NS6detail15normal_iteratorINSA_10device_ptrIyEEEEPS6_NSA_18transform_iteratorI7is_evenIyESF_NSA_11use_defaultESK_EENS0_5tupleIJNSA_16discard_iteratorISK_EESO_EEENSM_IJSG_SG_EEES6_PlJS6_EEE10hipError_tPvRmT3_T4_T5_T6_T7_T9_mT8_P12ihipStream_tbDpT10_ENKUlT_T0_E_clISt17integral_constantIbLb0EES1B_EEDaS16_S17_EUlS16_E_NS1_11comp_targetILNS1_3genE5ELNS1_11target_archE942ELNS1_3gpuE9ELNS1_3repE0EEENS1_30default_config_static_selectorELNS0_4arch9wavefront6targetE1EEEvT1_,comdat
.Lfunc_end2876:
	.size	_ZN7rocprim17ROCPRIM_400000_NS6detail17trampoline_kernelINS0_14default_configENS1_25partition_config_selectorILNS1_17partition_subalgoE1EyNS0_10empty_typeEbEEZZNS1_14partition_implILS5_1ELb0ES3_jN6thrust23THRUST_200600_302600_NS6detail15normal_iteratorINSA_10device_ptrIyEEEEPS6_NSA_18transform_iteratorI7is_evenIyESF_NSA_11use_defaultESK_EENS0_5tupleIJNSA_16discard_iteratorISK_EESO_EEENSM_IJSG_SG_EEES6_PlJS6_EEE10hipError_tPvRmT3_T4_T5_T6_T7_T9_mT8_P12ihipStream_tbDpT10_ENKUlT_T0_E_clISt17integral_constantIbLb0EES1B_EEDaS16_S17_EUlS16_E_NS1_11comp_targetILNS1_3genE5ELNS1_11target_archE942ELNS1_3gpuE9ELNS1_3repE0EEENS1_30default_config_static_selectorELNS0_4arch9wavefront6targetE1EEEvT1_, .Lfunc_end2876-_ZN7rocprim17ROCPRIM_400000_NS6detail17trampoline_kernelINS0_14default_configENS1_25partition_config_selectorILNS1_17partition_subalgoE1EyNS0_10empty_typeEbEEZZNS1_14partition_implILS5_1ELb0ES3_jN6thrust23THRUST_200600_302600_NS6detail15normal_iteratorINSA_10device_ptrIyEEEEPS6_NSA_18transform_iteratorI7is_evenIyESF_NSA_11use_defaultESK_EENS0_5tupleIJNSA_16discard_iteratorISK_EESO_EEENSM_IJSG_SG_EEES6_PlJS6_EEE10hipError_tPvRmT3_T4_T5_T6_T7_T9_mT8_P12ihipStream_tbDpT10_ENKUlT_T0_E_clISt17integral_constantIbLb0EES1B_EEDaS16_S17_EUlS16_E_NS1_11comp_targetILNS1_3genE5ELNS1_11target_archE942ELNS1_3gpuE9ELNS1_3repE0EEENS1_30default_config_static_selectorELNS0_4arch9wavefront6targetE1EEEvT1_
                                        ; -- End function
	.section	.AMDGPU.csdata,"",@progbits
; Kernel info:
; codeLenInByte = 4120
; NumSgprs: 42
; NumVgprs: 53
; NumAgprs: 0
; TotalNumVgprs: 53
; ScratchSize: 0
; MemoryBound: 0
; FloatMode: 240
; IeeeMode: 1
; LDSByteSize: 28680 bytes/workgroup (compile time only)
; SGPRBlocks: 5
; VGPRBlocks: 6
; NumSGPRsForWavesPerEU: 42
; NumVGPRsForWavesPerEU: 53
; AccumOffset: 56
; Occupancy: 4
; WaveLimiterHint : 1
; COMPUTE_PGM_RSRC2:SCRATCH_EN: 0
; COMPUTE_PGM_RSRC2:USER_SGPR: 2
; COMPUTE_PGM_RSRC2:TRAP_HANDLER: 0
; COMPUTE_PGM_RSRC2:TGID_X_EN: 1
; COMPUTE_PGM_RSRC2:TGID_Y_EN: 0
; COMPUTE_PGM_RSRC2:TGID_Z_EN: 0
; COMPUTE_PGM_RSRC2:TIDIG_COMP_CNT: 0
; COMPUTE_PGM_RSRC3_GFX90A:ACCUM_OFFSET: 13
; COMPUTE_PGM_RSRC3_GFX90A:TG_SPLIT: 0
	.section	.text._ZN7rocprim17ROCPRIM_400000_NS6detail17trampoline_kernelINS0_14default_configENS1_25partition_config_selectorILNS1_17partition_subalgoE1EyNS0_10empty_typeEbEEZZNS1_14partition_implILS5_1ELb0ES3_jN6thrust23THRUST_200600_302600_NS6detail15normal_iteratorINSA_10device_ptrIyEEEEPS6_NSA_18transform_iteratorI7is_evenIyESF_NSA_11use_defaultESK_EENS0_5tupleIJNSA_16discard_iteratorISK_EESO_EEENSM_IJSG_SG_EEES6_PlJS6_EEE10hipError_tPvRmT3_T4_T5_T6_T7_T9_mT8_P12ihipStream_tbDpT10_ENKUlT_T0_E_clISt17integral_constantIbLb0EES1B_EEDaS16_S17_EUlS16_E_NS1_11comp_targetILNS1_3genE4ELNS1_11target_archE910ELNS1_3gpuE8ELNS1_3repE0EEENS1_30default_config_static_selectorELNS0_4arch9wavefront6targetE1EEEvT1_,"axG",@progbits,_ZN7rocprim17ROCPRIM_400000_NS6detail17trampoline_kernelINS0_14default_configENS1_25partition_config_selectorILNS1_17partition_subalgoE1EyNS0_10empty_typeEbEEZZNS1_14partition_implILS5_1ELb0ES3_jN6thrust23THRUST_200600_302600_NS6detail15normal_iteratorINSA_10device_ptrIyEEEEPS6_NSA_18transform_iteratorI7is_evenIyESF_NSA_11use_defaultESK_EENS0_5tupleIJNSA_16discard_iteratorISK_EESO_EEENSM_IJSG_SG_EEES6_PlJS6_EEE10hipError_tPvRmT3_T4_T5_T6_T7_T9_mT8_P12ihipStream_tbDpT10_ENKUlT_T0_E_clISt17integral_constantIbLb0EES1B_EEDaS16_S17_EUlS16_E_NS1_11comp_targetILNS1_3genE4ELNS1_11target_archE910ELNS1_3gpuE8ELNS1_3repE0EEENS1_30default_config_static_selectorELNS0_4arch9wavefront6targetE1EEEvT1_,comdat
	.protected	_ZN7rocprim17ROCPRIM_400000_NS6detail17trampoline_kernelINS0_14default_configENS1_25partition_config_selectorILNS1_17partition_subalgoE1EyNS0_10empty_typeEbEEZZNS1_14partition_implILS5_1ELb0ES3_jN6thrust23THRUST_200600_302600_NS6detail15normal_iteratorINSA_10device_ptrIyEEEEPS6_NSA_18transform_iteratorI7is_evenIyESF_NSA_11use_defaultESK_EENS0_5tupleIJNSA_16discard_iteratorISK_EESO_EEENSM_IJSG_SG_EEES6_PlJS6_EEE10hipError_tPvRmT3_T4_T5_T6_T7_T9_mT8_P12ihipStream_tbDpT10_ENKUlT_T0_E_clISt17integral_constantIbLb0EES1B_EEDaS16_S17_EUlS16_E_NS1_11comp_targetILNS1_3genE4ELNS1_11target_archE910ELNS1_3gpuE8ELNS1_3repE0EEENS1_30default_config_static_selectorELNS0_4arch9wavefront6targetE1EEEvT1_ ; -- Begin function _ZN7rocprim17ROCPRIM_400000_NS6detail17trampoline_kernelINS0_14default_configENS1_25partition_config_selectorILNS1_17partition_subalgoE1EyNS0_10empty_typeEbEEZZNS1_14partition_implILS5_1ELb0ES3_jN6thrust23THRUST_200600_302600_NS6detail15normal_iteratorINSA_10device_ptrIyEEEEPS6_NSA_18transform_iteratorI7is_evenIyESF_NSA_11use_defaultESK_EENS0_5tupleIJNSA_16discard_iteratorISK_EESO_EEENSM_IJSG_SG_EEES6_PlJS6_EEE10hipError_tPvRmT3_T4_T5_T6_T7_T9_mT8_P12ihipStream_tbDpT10_ENKUlT_T0_E_clISt17integral_constantIbLb0EES1B_EEDaS16_S17_EUlS16_E_NS1_11comp_targetILNS1_3genE4ELNS1_11target_archE910ELNS1_3gpuE8ELNS1_3repE0EEENS1_30default_config_static_selectorELNS0_4arch9wavefront6targetE1EEEvT1_
	.globl	_ZN7rocprim17ROCPRIM_400000_NS6detail17trampoline_kernelINS0_14default_configENS1_25partition_config_selectorILNS1_17partition_subalgoE1EyNS0_10empty_typeEbEEZZNS1_14partition_implILS5_1ELb0ES3_jN6thrust23THRUST_200600_302600_NS6detail15normal_iteratorINSA_10device_ptrIyEEEEPS6_NSA_18transform_iteratorI7is_evenIyESF_NSA_11use_defaultESK_EENS0_5tupleIJNSA_16discard_iteratorISK_EESO_EEENSM_IJSG_SG_EEES6_PlJS6_EEE10hipError_tPvRmT3_T4_T5_T6_T7_T9_mT8_P12ihipStream_tbDpT10_ENKUlT_T0_E_clISt17integral_constantIbLb0EES1B_EEDaS16_S17_EUlS16_E_NS1_11comp_targetILNS1_3genE4ELNS1_11target_archE910ELNS1_3gpuE8ELNS1_3repE0EEENS1_30default_config_static_selectorELNS0_4arch9wavefront6targetE1EEEvT1_
	.p2align	8
	.type	_ZN7rocprim17ROCPRIM_400000_NS6detail17trampoline_kernelINS0_14default_configENS1_25partition_config_selectorILNS1_17partition_subalgoE1EyNS0_10empty_typeEbEEZZNS1_14partition_implILS5_1ELb0ES3_jN6thrust23THRUST_200600_302600_NS6detail15normal_iteratorINSA_10device_ptrIyEEEEPS6_NSA_18transform_iteratorI7is_evenIyESF_NSA_11use_defaultESK_EENS0_5tupleIJNSA_16discard_iteratorISK_EESO_EEENSM_IJSG_SG_EEES6_PlJS6_EEE10hipError_tPvRmT3_T4_T5_T6_T7_T9_mT8_P12ihipStream_tbDpT10_ENKUlT_T0_E_clISt17integral_constantIbLb0EES1B_EEDaS16_S17_EUlS16_E_NS1_11comp_targetILNS1_3genE4ELNS1_11target_archE910ELNS1_3gpuE8ELNS1_3repE0EEENS1_30default_config_static_selectorELNS0_4arch9wavefront6targetE1EEEvT1_,@function
_ZN7rocprim17ROCPRIM_400000_NS6detail17trampoline_kernelINS0_14default_configENS1_25partition_config_selectorILNS1_17partition_subalgoE1EyNS0_10empty_typeEbEEZZNS1_14partition_implILS5_1ELb0ES3_jN6thrust23THRUST_200600_302600_NS6detail15normal_iteratorINSA_10device_ptrIyEEEEPS6_NSA_18transform_iteratorI7is_evenIyESF_NSA_11use_defaultESK_EENS0_5tupleIJNSA_16discard_iteratorISK_EESO_EEENSM_IJSG_SG_EEES6_PlJS6_EEE10hipError_tPvRmT3_T4_T5_T6_T7_T9_mT8_P12ihipStream_tbDpT10_ENKUlT_T0_E_clISt17integral_constantIbLb0EES1B_EEDaS16_S17_EUlS16_E_NS1_11comp_targetILNS1_3genE4ELNS1_11target_archE910ELNS1_3gpuE8ELNS1_3repE0EEENS1_30default_config_static_selectorELNS0_4arch9wavefront6targetE1EEEvT1_: ; @_ZN7rocprim17ROCPRIM_400000_NS6detail17trampoline_kernelINS0_14default_configENS1_25partition_config_selectorILNS1_17partition_subalgoE1EyNS0_10empty_typeEbEEZZNS1_14partition_implILS5_1ELb0ES3_jN6thrust23THRUST_200600_302600_NS6detail15normal_iteratorINSA_10device_ptrIyEEEEPS6_NSA_18transform_iteratorI7is_evenIyESF_NSA_11use_defaultESK_EENS0_5tupleIJNSA_16discard_iteratorISK_EESO_EEENSM_IJSG_SG_EEES6_PlJS6_EEE10hipError_tPvRmT3_T4_T5_T6_T7_T9_mT8_P12ihipStream_tbDpT10_ENKUlT_T0_E_clISt17integral_constantIbLb0EES1B_EEDaS16_S17_EUlS16_E_NS1_11comp_targetILNS1_3genE4ELNS1_11target_archE910ELNS1_3gpuE8ELNS1_3repE0EEENS1_30default_config_static_selectorELNS0_4arch9wavefront6targetE1EEEvT1_
; %bb.0:
	.section	.rodata,"a",@progbits
	.p2align	6, 0x0
	.amdhsa_kernel _ZN7rocprim17ROCPRIM_400000_NS6detail17trampoline_kernelINS0_14default_configENS1_25partition_config_selectorILNS1_17partition_subalgoE1EyNS0_10empty_typeEbEEZZNS1_14partition_implILS5_1ELb0ES3_jN6thrust23THRUST_200600_302600_NS6detail15normal_iteratorINSA_10device_ptrIyEEEEPS6_NSA_18transform_iteratorI7is_evenIyESF_NSA_11use_defaultESK_EENS0_5tupleIJNSA_16discard_iteratorISK_EESO_EEENSM_IJSG_SG_EEES6_PlJS6_EEE10hipError_tPvRmT3_T4_T5_T6_T7_T9_mT8_P12ihipStream_tbDpT10_ENKUlT_T0_E_clISt17integral_constantIbLb0EES1B_EEDaS16_S17_EUlS16_E_NS1_11comp_targetILNS1_3genE4ELNS1_11target_archE910ELNS1_3gpuE8ELNS1_3repE0EEENS1_30default_config_static_selectorELNS0_4arch9wavefront6targetE1EEEvT1_
		.amdhsa_group_segment_fixed_size 0
		.amdhsa_private_segment_fixed_size 0
		.amdhsa_kernarg_size 144
		.amdhsa_user_sgpr_count 2
		.amdhsa_user_sgpr_dispatch_ptr 0
		.amdhsa_user_sgpr_queue_ptr 0
		.amdhsa_user_sgpr_kernarg_segment_ptr 1
		.amdhsa_user_sgpr_dispatch_id 0
		.amdhsa_user_sgpr_kernarg_preload_length 0
		.amdhsa_user_sgpr_kernarg_preload_offset 0
		.amdhsa_user_sgpr_private_segment_size 0
		.amdhsa_uses_dynamic_stack 0
		.amdhsa_enable_private_segment 0
		.amdhsa_system_sgpr_workgroup_id_x 1
		.amdhsa_system_sgpr_workgroup_id_y 0
		.amdhsa_system_sgpr_workgroup_id_z 0
		.amdhsa_system_sgpr_workgroup_info 0
		.amdhsa_system_vgpr_workitem_id 0
		.amdhsa_next_free_vgpr 1
		.amdhsa_next_free_sgpr 0
		.amdhsa_accum_offset 4
		.amdhsa_reserve_vcc 0
		.amdhsa_float_round_mode_32 0
		.amdhsa_float_round_mode_16_64 0
		.amdhsa_float_denorm_mode_32 3
		.amdhsa_float_denorm_mode_16_64 3
		.amdhsa_dx10_clamp 1
		.amdhsa_ieee_mode 1
		.amdhsa_fp16_overflow 0
		.amdhsa_tg_split 0
		.amdhsa_exception_fp_ieee_invalid_op 0
		.amdhsa_exception_fp_denorm_src 0
		.amdhsa_exception_fp_ieee_div_zero 0
		.amdhsa_exception_fp_ieee_overflow 0
		.amdhsa_exception_fp_ieee_underflow 0
		.amdhsa_exception_fp_ieee_inexact 0
		.amdhsa_exception_int_div_zero 0
	.end_amdhsa_kernel
	.section	.text._ZN7rocprim17ROCPRIM_400000_NS6detail17trampoline_kernelINS0_14default_configENS1_25partition_config_selectorILNS1_17partition_subalgoE1EyNS0_10empty_typeEbEEZZNS1_14partition_implILS5_1ELb0ES3_jN6thrust23THRUST_200600_302600_NS6detail15normal_iteratorINSA_10device_ptrIyEEEEPS6_NSA_18transform_iteratorI7is_evenIyESF_NSA_11use_defaultESK_EENS0_5tupleIJNSA_16discard_iteratorISK_EESO_EEENSM_IJSG_SG_EEES6_PlJS6_EEE10hipError_tPvRmT3_T4_T5_T6_T7_T9_mT8_P12ihipStream_tbDpT10_ENKUlT_T0_E_clISt17integral_constantIbLb0EES1B_EEDaS16_S17_EUlS16_E_NS1_11comp_targetILNS1_3genE4ELNS1_11target_archE910ELNS1_3gpuE8ELNS1_3repE0EEENS1_30default_config_static_selectorELNS0_4arch9wavefront6targetE1EEEvT1_,"axG",@progbits,_ZN7rocprim17ROCPRIM_400000_NS6detail17trampoline_kernelINS0_14default_configENS1_25partition_config_selectorILNS1_17partition_subalgoE1EyNS0_10empty_typeEbEEZZNS1_14partition_implILS5_1ELb0ES3_jN6thrust23THRUST_200600_302600_NS6detail15normal_iteratorINSA_10device_ptrIyEEEEPS6_NSA_18transform_iteratorI7is_evenIyESF_NSA_11use_defaultESK_EENS0_5tupleIJNSA_16discard_iteratorISK_EESO_EEENSM_IJSG_SG_EEES6_PlJS6_EEE10hipError_tPvRmT3_T4_T5_T6_T7_T9_mT8_P12ihipStream_tbDpT10_ENKUlT_T0_E_clISt17integral_constantIbLb0EES1B_EEDaS16_S17_EUlS16_E_NS1_11comp_targetILNS1_3genE4ELNS1_11target_archE910ELNS1_3gpuE8ELNS1_3repE0EEENS1_30default_config_static_selectorELNS0_4arch9wavefront6targetE1EEEvT1_,comdat
.Lfunc_end2877:
	.size	_ZN7rocprim17ROCPRIM_400000_NS6detail17trampoline_kernelINS0_14default_configENS1_25partition_config_selectorILNS1_17partition_subalgoE1EyNS0_10empty_typeEbEEZZNS1_14partition_implILS5_1ELb0ES3_jN6thrust23THRUST_200600_302600_NS6detail15normal_iteratorINSA_10device_ptrIyEEEEPS6_NSA_18transform_iteratorI7is_evenIyESF_NSA_11use_defaultESK_EENS0_5tupleIJNSA_16discard_iteratorISK_EESO_EEENSM_IJSG_SG_EEES6_PlJS6_EEE10hipError_tPvRmT3_T4_T5_T6_T7_T9_mT8_P12ihipStream_tbDpT10_ENKUlT_T0_E_clISt17integral_constantIbLb0EES1B_EEDaS16_S17_EUlS16_E_NS1_11comp_targetILNS1_3genE4ELNS1_11target_archE910ELNS1_3gpuE8ELNS1_3repE0EEENS1_30default_config_static_selectorELNS0_4arch9wavefront6targetE1EEEvT1_, .Lfunc_end2877-_ZN7rocprim17ROCPRIM_400000_NS6detail17trampoline_kernelINS0_14default_configENS1_25partition_config_selectorILNS1_17partition_subalgoE1EyNS0_10empty_typeEbEEZZNS1_14partition_implILS5_1ELb0ES3_jN6thrust23THRUST_200600_302600_NS6detail15normal_iteratorINSA_10device_ptrIyEEEEPS6_NSA_18transform_iteratorI7is_evenIyESF_NSA_11use_defaultESK_EENS0_5tupleIJNSA_16discard_iteratorISK_EESO_EEENSM_IJSG_SG_EEES6_PlJS6_EEE10hipError_tPvRmT3_T4_T5_T6_T7_T9_mT8_P12ihipStream_tbDpT10_ENKUlT_T0_E_clISt17integral_constantIbLb0EES1B_EEDaS16_S17_EUlS16_E_NS1_11comp_targetILNS1_3genE4ELNS1_11target_archE910ELNS1_3gpuE8ELNS1_3repE0EEENS1_30default_config_static_selectorELNS0_4arch9wavefront6targetE1EEEvT1_
                                        ; -- End function
	.section	.AMDGPU.csdata,"",@progbits
; Kernel info:
; codeLenInByte = 0
; NumSgprs: 6
; NumVgprs: 0
; NumAgprs: 0
; TotalNumVgprs: 0
; ScratchSize: 0
; MemoryBound: 0
; FloatMode: 240
; IeeeMode: 1
; LDSByteSize: 0 bytes/workgroup (compile time only)
; SGPRBlocks: 0
; VGPRBlocks: 0
; NumSGPRsForWavesPerEU: 6
; NumVGPRsForWavesPerEU: 1
; AccumOffset: 4
; Occupancy: 8
; WaveLimiterHint : 0
; COMPUTE_PGM_RSRC2:SCRATCH_EN: 0
; COMPUTE_PGM_RSRC2:USER_SGPR: 2
; COMPUTE_PGM_RSRC2:TRAP_HANDLER: 0
; COMPUTE_PGM_RSRC2:TGID_X_EN: 1
; COMPUTE_PGM_RSRC2:TGID_Y_EN: 0
; COMPUTE_PGM_RSRC2:TGID_Z_EN: 0
; COMPUTE_PGM_RSRC2:TIDIG_COMP_CNT: 0
; COMPUTE_PGM_RSRC3_GFX90A:ACCUM_OFFSET: 0
; COMPUTE_PGM_RSRC3_GFX90A:TG_SPLIT: 0
	.section	.text._ZN7rocprim17ROCPRIM_400000_NS6detail17trampoline_kernelINS0_14default_configENS1_25partition_config_selectorILNS1_17partition_subalgoE1EyNS0_10empty_typeEbEEZZNS1_14partition_implILS5_1ELb0ES3_jN6thrust23THRUST_200600_302600_NS6detail15normal_iteratorINSA_10device_ptrIyEEEEPS6_NSA_18transform_iteratorI7is_evenIyESF_NSA_11use_defaultESK_EENS0_5tupleIJNSA_16discard_iteratorISK_EESO_EEENSM_IJSG_SG_EEES6_PlJS6_EEE10hipError_tPvRmT3_T4_T5_T6_T7_T9_mT8_P12ihipStream_tbDpT10_ENKUlT_T0_E_clISt17integral_constantIbLb0EES1B_EEDaS16_S17_EUlS16_E_NS1_11comp_targetILNS1_3genE3ELNS1_11target_archE908ELNS1_3gpuE7ELNS1_3repE0EEENS1_30default_config_static_selectorELNS0_4arch9wavefront6targetE1EEEvT1_,"axG",@progbits,_ZN7rocprim17ROCPRIM_400000_NS6detail17trampoline_kernelINS0_14default_configENS1_25partition_config_selectorILNS1_17partition_subalgoE1EyNS0_10empty_typeEbEEZZNS1_14partition_implILS5_1ELb0ES3_jN6thrust23THRUST_200600_302600_NS6detail15normal_iteratorINSA_10device_ptrIyEEEEPS6_NSA_18transform_iteratorI7is_evenIyESF_NSA_11use_defaultESK_EENS0_5tupleIJNSA_16discard_iteratorISK_EESO_EEENSM_IJSG_SG_EEES6_PlJS6_EEE10hipError_tPvRmT3_T4_T5_T6_T7_T9_mT8_P12ihipStream_tbDpT10_ENKUlT_T0_E_clISt17integral_constantIbLb0EES1B_EEDaS16_S17_EUlS16_E_NS1_11comp_targetILNS1_3genE3ELNS1_11target_archE908ELNS1_3gpuE7ELNS1_3repE0EEENS1_30default_config_static_selectorELNS0_4arch9wavefront6targetE1EEEvT1_,comdat
	.protected	_ZN7rocprim17ROCPRIM_400000_NS6detail17trampoline_kernelINS0_14default_configENS1_25partition_config_selectorILNS1_17partition_subalgoE1EyNS0_10empty_typeEbEEZZNS1_14partition_implILS5_1ELb0ES3_jN6thrust23THRUST_200600_302600_NS6detail15normal_iteratorINSA_10device_ptrIyEEEEPS6_NSA_18transform_iteratorI7is_evenIyESF_NSA_11use_defaultESK_EENS0_5tupleIJNSA_16discard_iteratorISK_EESO_EEENSM_IJSG_SG_EEES6_PlJS6_EEE10hipError_tPvRmT3_T4_T5_T6_T7_T9_mT8_P12ihipStream_tbDpT10_ENKUlT_T0_E_clISt17integral_constantIbLb0EES1B_EEDaS16_S17_EUlS16_E_NS1_11comp_targetILNS1_3genE3ELNS1_11target_archE908ELNS1_3gpuE7ELNS1_3repE0EEENS1_30default_config_static_selectorELNS0_4arch9wavefront6targetE1EEEvT1_ ; -- Begin function _ZN7rocprim17ROCPRIM_400000_NS6detail17trampoline_kernelINS0_14default_configENS1_25partition_config_selectorILNS1_17partition_subalgoE1EyNS0_10empty_typeEbEEZZNS1_14partition_implILS5_1ELb0ES3_jN6thrust23THRUST_200600_302600_NS6detail15normal_iteratorINSA_10device_ptrIyEEEEPS6_NSA_18transform_iteratorI7is_evenIyESF_NSA_11use_defaultESK_EENS0_5tupleIJNSA_16discard_iteratorISK_EESO_EEENSM_IJSG_SG_EEES6_PlJS6_EEE10hipError_tPvRmT3_T4_T5_T6_T7_T9_mT8_P12ihipStream_tbDpT10_ENKUlT_T0_E_clISt17integral_constantIbLb0EES1B_EEDaS16_S17_EUlS16_E_NS1_11comp_targetILNS1_3genE3ELNS1_11target_archE908ELNS1_3gpuE7ELNS1_3repE0EEENS1_30default_config_static_selectorELNS0_4arch9wavefront6targetE1EEEvT1_
	.globl	_ZN7rocprim17ROCPRIM_400000_NS6detail17trampoline_kernelINS0_14default_configENS1_25partition_config_selectorILNS1_17partition_subalgoE1EyNS0_10empty_typeEbEEZZNS1_14partition_implILS5_1ELb0ES3_jN6thrust23THRUST_200600_302600_NS6detail15normal_iteratorINSA_10device_ptrIyEEEEPS6_NSA_18transform_iteratorI7is_evenIyESF_NSA_11use_defaultESK_EENS0_5tupleIJNSA_16discard_iteratorISK_EESO_EEENSM_IJSG_SG_EEES6_PlJS6_EEE10hipError_tPvRmT3_T4_T5_T6_T7_T9_mT8_P12ihipStream_tbDpT10_ENKUlT_T0_E_clISt17integral_constantIbLb0EES1B_EEDaS16_S17_EUlS16_E_NS1_11comp_targetILNS1_3genE3ELNS1_11target_archE908ELNS1_3gpuE7ELNS1_3repE0EEENS1_30default_config_static_selectorELNS0_4arch9wavefront6targetE1EEEvT1_
	.p2align	8
	.type	_ZN7rocprim17ROCPRIM_400000_NS6detail17trampoline_kernelINS0_14default_configENS1_25partition_config_selectorILNS1_17partition_subalgoE1EyNS0_10empty_typeEbEEZZNS1_14partition_implILS5_1ELb0ES3_jN6thrust23THRUST_200600_302600_NS6detail15normal_iteratorINSA_10device_ptrIyEEEEPS6_NSA_18transform_iteratorI7is_evenIyESF_NSA_11use_defaultESK_EENS0_5tupleIJNSA_16discard_iteratorISK_EESO_EEENSM_IJSG_SG_EEES6_PlJS6_EEE10hipError_tPvRmT3_T4_T5_T6_T7_T9_mT8_P12ihipStream_tbDpT10_ENKUlT_T0_E_clISt17integral_constantIbLb0EES1B_EEDaS16_S17_EUlS16_E_NS1_11comp_targetILNS1_3genE3ELNS1_11target_archE908ELNS1_3gpuE7ELNS1_3repE0EEENS1_30default_config_static_selectorELNS0_4arch9wavefront6targetE1EEEvT1_,@function
_ZN7rocprim17ROCPRIM_400000_NS6detail17trampoline_kernelINS0_14default_configENS1_25partition_config_selectorILNS1_17partition_subalgoE1EyNS0_10empty_typeEbEEZZNS1_14partition_implILS5_1ELb0ES3_jN6thrust23THRUST_200600_302600_NS6detail15normal_iteratorINSA_10device_ptrIyEEEEPS6_NSA_18transform_iteratorI7is_evenIyESF_NSA_11use_defaultESK_EENS0_5tupleIJNSA_16discard_iteratorISK_EESO_EEENSM_IJSG_SG_EEES6_PlJS6_EEE10hipError_tPvRmT3_T4_T5_T6_T7_T9_mT8_P12ihipStream_tbDpT10_ENKUlT_T0_E_clISt17integral_constantIbLb0EES1B_EEDaS16_S17_EUlS16_E_NS1_11comp_targetILNS1_3genE3ELNS1_11target_archE908ELNS1_3gpuE7ELNS1_3repE0EEENS1_30default_config_static_selectorELNS0_4arch9wavefront6targetE1EEEvT1_: ; @_ZN7rocprim17ROCPRIM_400000_NS6detail17trampoline_kernelINS0_14default_configENS1_25partition_config_selectorILNS1_17partition_subalgoE1EyNS0_10empty_typeEbEEZZNS1_14partition_implILS5_1ELb0ES3_jN6thrust23THRUST_200600_302600_NS6detail15normal_iteratorINSA_10device_ptrIyEEEEPS6_NSA_18transform_iteratorI7is_evenIyESF_NSA_11use_defaultESK_EENS0_5tupleIJNSA_16discard_iteratorISK_EESO_EEENSM_IJSG_SG_EEES6_PlJS6_EEE10hipError_tPvRmT3_T4_T5_T6_T7_T9_mT8_P12ihipStream_tbDpT10_ENKUlT_T0_E_clISt17integral_constantIbLb0EES1B_EEDaS16_S17_EUlS16_E_NS1_11comp_targetILNS1_3genE3ELNS1_11target_archE908ELNS1_3gpuE7ELNS1_3repE0EEENS1_30default_config_static_selectorELNS0_4arch9wavefront6targetE1EEEvT1_
; %bb.0:
	.section	.rodata,"a",@progbits
	.p2align	6, 0x0
	.amdhsa_kernel _ZN7rocprim17ROCPRIM_400000_NS6detail17trampoline_kernelINS0_14default_configENS1_25partition_config_selectorILNS1_17partition_subalgoE1EyNS0_10empty_typeEbEEZZNS1_14partition_implILS5_1ELb0ES3_jN6thrust23THRUST_200600_302600_NS6detail15normal_iteratorINSA_10device_ptrIyEEEEPS6_NSA_18transform_iteratorI7is_evenIyESF_NSA_11use_defaultESK_EENS0_5tupleIJNSA_16discard_iteratorISK_EESO_EEENSM_IJSG_SG_EEES6_PlJS6_EEE10hipError_tPvRmT3_T4_T5_T6_T7_T9_mT8_P12ihipStream_tbDpT10_ENKUlT_T0_E_clISt17integral_constantIbLb0EES1B_EEDaS16_S17_EUlS16_E_NS1_11comp_targetILNS1_3genE3ELNS1_11target_archE908ELNS1_3gpuE7ELNS1_3repE0EEENS1_30default_config_static_selectorELNS0_4arch9wavefront6targetE1EEEvT1_
		.amdhsa_group_segment_fixed_size 0
		.amdhsa_private_segment_fixed_size 0
		.amdhsa_kernarg_size 144
		.amdhsa_user_sgpr_count 2
		.amdhsa_user_sgpr_dispatch_ptr 0
		.amdhsa_user_sgpr_queue_ptr 0
		.amdhsa_user_sgpr_kernarg_segment_ptr 1
		.amdhsa_user_sgpr_dispatch_id 0
		.amdhsa_user_sgpr_kernarg_preload_length 0
		.amdhsa_user_sgpr_kernarg_preload_offset 0
		.amdhsa_user_sgpr_private_segment_size 0
		.amdhsa_uses_dynamic_stack 0
		.amdhsa_enable_private_segment 0
		.amdhsa_system_sgpr_workgroup_id_x 1
		.amdhsa_system_sgpr_workgroup_id_y 0
		.amdhsa_system_sgpr_workgroup_id_z 0
		.amdhsa_system_sgpr_workgroup_info 0
		.amdhsa_system_vgpr_workitem_id 0
		.amdhsa_next_free_vgpr 1
		.amdhsa_next_free_sgpr 0
		.amdhsa_accum_offset 4
		.amdhsa_reserve_vcc 0
		.amdhsa_float_round_mode_32 0
		.amdhsa_float_round_mode_16_64 0
		.amdhsa_float_denorm_mode_32 3
		.amdhsa_float_denorm_mode_16_64 3
		.amdhsa_dx10_clamp 1
		.amdhsa_ieee_mode 1
		.amdhsa_fp16_overflow 0
		.amdhsa_tg_split 0
		.amdhsa_exception_fp_ieee_invalid_op 0
		.amdhsa_exception_fp_denorm_src 0
		.amdhsa_exception_fp_ieee_div_zero 0
		.amdhsa_exception_fp_ieee_overflow 0
		.amdhsa_exception_fp_ieee_underflow 0
		.amdhsa_exception_fp_ieee_inexact 0
		.amdhsa_exception_int_div_zero 0
	.end_amdhsa_kernel
	.section	.text._ZN7rocprim17ROCPRIM_400000_NS6detail17trampoline_kernelINS0_14default_configENS1_25partition_config_selectorILNS1_17partition_subalgoE1EyNS0_10empty_typeEbEEZZNS1_14partition_implILS5_1ELb0ES3_jN6thrust23THRUST_200600_302600_NS6detail15normal_iteratorINSA_10device_ptrIyEEEEPS6_NSA_18transform_iteratorI7is_evenIyESF_NSA_11use_defaultESK_EENS0_5tupleIJNSA_16discard_iteratorISK_EESO_EEENSM_IJSG_SG_EEES6_PlJS6_EEE10hipError_tPvRmT3_T4_T5_T6_T7_T9_mT8_P12ihipStream_tbDpT10_ENKUlT_T0_E_clISt17integral_constantIbLb0EES1B_EEDaS16_S17_EUlS16_E_NS1_11comp_targetILNS1_3genE3ELNS1_11target_archE908ELNS1_3gpuE7ELNS1_3repE0EEENS1_30default_config_static_selectorELNS0_4arch9wavefront6targetE1EEEvT1_,"axG",@progbits,_ZN7rocprim17ROCPRIM_400000_NS6detail17trampoline_kernelINS0_14default_configENS1_25partition_config_selectorILNS1_17partition_subalgoE1EyNS0_10empty_typeEbEEZZNS1_14partition_implILS5_1ELb0ES3_jN6thrust23THRUST_200600_302600_NS6detail15normal_iteratorINSA_10device_ptrIyEEEEPS6_NSA_18transform_iteratorI7is_evenIyESF_NSA_11use_defaultESK_EENS0_5tupleIJNSA_16discard_iteratorISK_EESO_EEENSM_IJSG_SG_EEES6_PlJS6_EEE10hipError_tPvRmT3_T4_T5_T6_T7_T9_mT8_P12ihipStream_tbDpT10_ENKUlT_T0_E_clISt17integral_constantIbLb0EES1B_EEDaS16_S17_EUlS16_E_NS1_11comp_targetILNS1_3genE3ELNS1_11target_archE908ELNS1_3gpuE7ELNS1_3repE0EEENS1_30default_config_static_selectorELNS0_4arch9wavefront6targetE1EEEvT1_,comdat
.Lfunc_end2878:
	.size	_ZN7rocprim17ROCPRIM_400000_NS6detail17trampoline_kernelINS0_14default_configENS1_25partition_config_selectorILNS1_17partition_subalgoE1EyNS0_10empty_typeEbEEZZNS1_14partition_implILS5_1ELb0ES3_jN6thrust23THRUST_200600_302600_NS6detail15normal_iteratorINSA_10device_ptrIyEEEEPS6_NSA_18transform_iteratorI7is_evenIyESF_NSA_11use_defaultESK_EENS0_5tupleIJNSA_16discard_iteratorISK_EESO_EEENSM_IJSG_SG_EEES6_PlJS6_EEE10hipError_tPvRmT3_T4_T5_T6_T7_T9_mT8_P12ihipStream_tbDpT10_ENKUlT_T0_E_clISt17integral_constantIbLb0EES1B_EEDaS16_S17_EUlS16_E_NS1_11comp_targetILNS1_3genE3ELNS1_11target_archE908ELNS1_3gpuE7ELNS1_3repE0EEENS1_30default_config_static_selectorELNS0_4arch9wavefront6targetE1EEEvT1_, .Lfunc_end2878-_ZN7rocprim17ROCPRIM_400000_NS6detail17trampoline_kernelINS0_14default_configENS1_25partition_config_selectorILNS1_17partition_subalgoE1EyNS0_10empty_typeEbEEZZNS1_14partition_implILS5_1ELb0ES3_jN6thrust23THRUST_200600_302600_NS6detail15normal_iteratorINSA_10device_ptrIyEEEEPS6_NSA_18transform_iteratorI7is_evenIyESF_NSA_11use_defaultESK_EENS0_5tupleIJNSA_16discard_iteratorISK_EESO_EEENSM_IJSG_SG_EEES6_PlJS6_EEE10hipError_tPvRmT3_T4_T5_T6_T7_T9_mT8_P12ihipStream_tbDpT10_ENKUlT_T0_E_clISt17integral_constantIbLb0EES1B_EEDaS16_S17_EUlS16_E_NS1_11comp_targetILNS1_3genE3ELNS1_11target_archE908ELNS1_3gpuE7ELNS1_3repE0EEENS1_30default_config_static_selectorELNS0_4arch9wavefront6targetE1EEEvT1_
                                        ; -- End function
	.section	.AMDGPU.csdata,"",@progbits
; Kernel info:
; codeLenInByte = 0
; NumSgprs: 6
; NumVgprs: 0
; NumAgprs: 0
; TotalNumVgprs: 0
; ScratchSize: 0
; MemoryBound: 0
; FloatMode: 240
; IeeeMode: 1
; LDSByteSize: 0 bytes/workgroup (compile time only)
; SGPRBlocks: 0
; VGPRBlocks: 0
; NumSGPRsForWavesPerEU: 6
; NumVGPRsForWavesPerEU: 1
; AccumOffset: 4
; Occupancy: 8
; WaveLimiterHint : 0
; COMPUTE_PGM_RSRC2:SCRATCH_EN: 0
; COMPUTE_PGM_RSRC2:USER_SGPR: 2
; COMPUTE_PGM_RSRC2:TRAP_HANDLER: 0
; COMPUTE_PGM_RSRC2:TGID_X_EN: 1
; COMPUTE_PGM_RSRC2:TGID_Y_EN: 0
; COMPUTE_PGM_RSRC2:TGID_Z_EN: 0
; COMPUTE_PGM_RSRC2:TIDIG_COMP_CNT: 0
; COMPUTE_PGM_RSRC3_GFX90A:ACCUM_OFFSET: 0
; COMPUTE_PGM_RSRC3_GFX90A:TG_SPLIT: 0
	.section	.text._ZN7rocprim17ROCPRIM_400000_NS6detail17trampoline_kernelINS0_14default_configENS1_25partition_config_selectorILNS1_17partition_subalgoE1EyNS0_10empty_typeEbEEZZNS1_14partition_implILS5_1ELb0ES3_jN6thrust23THRUST_200600_302600_NS6detail15normal_iteratorINSA_10device_ptrIyEEEEPS6_NSA_18transform_iteratorI7is_evenIyESF_NSA_11use_defaultESK_EENS0_5tupleIJNSA_16discard_iteratorISK_EESO_EEENSM_IJSG_SG_EEES6_PlJS6_EEE10hipError_tPvRmT3_T4_T5_T6_T7_T9_mT8_P12ihipStream_tbDpT10_ENKUlT_T0_E_clISt17integral_constantIbLb0EES1B_EEDaS16_S17_EUlS16_E_NS1_11comp_targetILNS1_3genE2ELNS1_11target_archE906ELNS1_3gpuE6ELNS1_3repE0EEENS1_30default_config_static_selectorELNS0_4arch9wavefront6targetE1EEEvT1_,"axG",@progbits,_ZN7rocprim17ROCPRIM_400000_NS6detail17trampoline_kernelINS0_14default_configENS1_25partition_config_selectorILNS1_17partition_subalgoE1EyNS0_10empty_typeEbEEZZNS1_14partition_implILS5_1ELb0ES3_jN6thrust23THRUST_200600_302600_NS6detail15normal_iteratorINSA_10device_ptrIyEEEEPS6_NSA_18transform_iteratorI7is_evenIyESF_NSA_11use_defaultESK_EENS0_5tupleIJNSA_16discard_iteratorISK_EESO_EEENSM_IJSG_SG_EEES6_PlJS6_EEE10hipError_tPvRmT3_T4_T5_T6_T7_T9_mT8_P12ihipStream_tbDpT10_ENKUlT_T0_E_clISt17integral_constantIbLb0EES1B_EEDaS16_S17_EUlS16_E_NS1_11comp_targetILNS1_3genE2ELNS1_11target_archE906ELNS1_3gpuE6ELNS1_3repE0EEENS1_30default_config_static_selectorELNS0_4arch9wavefront6targetE1EEEvT1_,comdat
	.protected	_ZN7rocprim17ROCPRIM_400000_NS6detail17trampoline_kernelINS0_14default_configENS1_25partition_config_selectorILNS1_17partition_subalgoE1EyNS0_10empty_typeEbEEZZNS1_14partition_implILS5_1ELb0ES3_jN6thrust23THRUST_200600_302600_NS6detail15normal_iteratorINSA_10device_ptrIyEEEEPS6_NSA_18transform_iteratorI7is_evenIyESF_NSA_11use_defaultESK_EENS0_5tupleIJNSA_16discard_iteratorISK_EESO_EEENSM_IJSG_SG_EEES6_PlJS6_EEE10hipError_tPvRmT3_T4_T5_T6_T7_T9_mT8_P12ihipStream_tbDpT10_ENKUlT_T0_E_clISt17integral_constantIbLb0EES1B_EEDaS16_S17_EUlS16_E_NS1_11comp_targetILNS1_3genE2ELNS1_11target_archE906ELNS1_3gpuE6ELNS1_3repE0EEENS1_30default_config_static_selectorELNS0_4arch9wavefront6targetE1EEEvT1_ ; -- Begin function _ZN7rocprim17ROCPRIM_400000_NS6detail17trampoline_kernelINS0_14default_configENS1_25partition_config_selectorILNS1_17partition_subalgoE1EyNS0_10empty_typeEbEEZZNS1_14partition_implILS5_1ELb0ES3_jN6thrust23THRUST_200600_302600_NS6detail15normal_iteratorINSA_10device_ptrIyEEEEPS6_NSA_18transform_iteratorI7is_evenIyESF_NSA_11use_defaultESK_EENS0_5tupleIJNSA_16discard_iteratorISK_EESO_EEENSM_IJSG_SG_EEES6_PlJS6_EEE10hipError_tPvRmT3_T4_T5_T6_T7_T9_mT8_P12ihipStream_tbDpT10_ENKUlT_T0_E_clISt17integral_constantIbLb0EES1B_EEDaS16_S17_EUlS16_E_NS1_11comp_targetILNS1_3genE2ELNS1_11target_archE906ELNS1_3gpuE6ELNS1_3repE0EEENS1_30default_config_static_selectorELNS0_4arch9wavefront6targetE1EEEvT1_
	.globl	_ZN7rocprim17ROCPRIM_400000_NS6detail17trampoline_kernelINS0_14default_configENS1_25partition_config_selectorILNS1_17partition_subalgoE1EyNS0_10empty_typeEbEEZZNS1_14partition_implILS5_1ELb0ES3_jN6thrust23THRUST_200600_302600_NS6detail15normal_iteratorINSA_10device_ptrIyEEEEPS6_NSA_18transform_iteratorI7is_evenIyESF_NSA_11use_defaultESK_EENS0_5tupleIJNSA_16discard_iteratorISK_EESO_EEENSM_IJSG_SG_EEES6_PlJS6_EEE10hipError_tPvRmT3_T4_T5_T6_T7_T9_mT8_P12ihipStream_tbDpT10_ENKUlT_T0_E_clISt17integral_constantIbLb0EES1B_EEDaS16_S17_EUlS16_E_NS1_11comp_targetILNS1_3genE2ELNS1_11target_archE906ELNS1_3gpuE6ELNS1_3repE0EEENS1_30default_config_static_selectorELNS0_4arch9wavefront6targetE1EEEvT1_
	.p2align	8
	.type	_ZN7rocprim17ROCPRIM_400000_NS6detail17trampoline_kernelINS0_14default_configENS1_25partition_config_selectorILNS1_17partition_subalgoE1EyNS0_10empty_typeEbEEZZNS1_14partition_implILS5_1ELb0ES3_jN6thrust23THRUST_200600_302600_NS6detail15normal_iteratorINSA_10device_ptrIyEEEEPS6_NSA_18transform_iteratorI7is_evenIyESF_NSA_11use_defaultESK_EENS0_5tupleIJNSA_16discard_iteratorISK_EESO_EEENSM_IJSG_SG_EEES6_PlJS6_EEE10hipError_tPvRmT3_T4_T5_T6_T7_T9_mT8_P12ihipStream_tbDpT10_ENKUlT_T0_E_clISt17integral_constantIbLb0EES1B_EEDaS16_S17_EUlS16_E_NS1_11comp_targetILNS1_3genE2ELNS1_11target_archE906ELNS1_3gpuE6ELNS1_3repE0EEENS1_30default_config_static_selectorELNS0_4arch9wavefront6targetE1EEEvT1_,@function
_ZN7rocprim17ROCPRIM_400000_NS6detail17trampoline_kernelINS0_14default_configENS1_25partition_config_selectorILNS1_17partition_subalgoE1EyNS0_10empty_typeEbEEZZNS1_14partition_implILS5_1ELb0ES3_jN6thrust23THRUST_200600_302600_NS6detail15normal_iteratorINSA_10device_ptrIyEEEEPS6_NSA_18transform_iteratorI7is_evenIyESF_NSA_11use_defaultESK_EENS0_5tupleIJNSA_16discard_iteratorISK_EESO_EEENSM_IJSG_SG_EEES6_PlJS6_EEE10hipError_tPvRmT3_T4_T5_T6_T7_T9_mT8_P12ihipStream_tbDpT10_ENKUlT_T0_E_clISt17integral_constantIbLb0EES1B_EEDaS16_S17_EUlS16_E_NS1_11comp_targetILNS1_3genE2ELNS1_11target_archE906ELNS1_3gpuE6ELNS1_3repE0EEENS1_30default_config_static_selectorELNS0_4arch9wavefront6targetE1EEEvT1_: ; @_ZN7rocprim17ROCPRIM_400000_NS6detail17trampoline_kernelINS0_14default_configENS1_25partition_config_selectorILNS1_17partition_subalgoE1EyNS0_10empty_typeEbEEZZNS1_14partition_implILS5_1ELb0ES3_jN6thrust23THRUST_200600_302600_NS6detail15normal_iteratorINSA_10device_ptrIyEEEEPS6_NSA_18transform_iteratorI7is_evenIyESF_NSA_11use_defaultESK_EENS0_5tupleIJNSA_16discard_iteratorISK_EESO_EEENSM_IJSG_SG_EEES6_PlJS6_EEE10hipError_tPvRmT3_T4_T5_T6_T7_T9_mT8_P12ihipStream_tbDpT10_ENKUlT_T0_E_clISt17integral_constantIbLb0EES1B_EEDaS16_S17_EUlS16_E_NS1_11comp_targetILNS1_3genE2ELNS1_11target_archE906ELNS1_3gpuE6ELNS1_3repE0EEENS1_30default_config_static_selectorELNS0_4arch9wavefront6targetE1EEEvT1_
; %bb.0:
	.section	.rodata,"a",@progbits
	.p2align	6, 0x0
	.amdhsa_kernel _ZN7rocprim17ROCPRIM_400000_NS6detail17trampoline_kernelINS0_14default_configENS1_25partition_config_selectorILNS1_17partition_subalgoE1EyNS0_10empty_typeEbEEZZNS1_14partition_implILS5_1ELb0ES3_jN6thrust23THRUST_200600_302600_NS6detail15normal_iteratorINSA_10device_ptrIyEEEEPS6_NSA_18transform_iteratorI7is_evenIyESF_NSA_11use_defaultESK_EENS0_5tupleIJNSA_16discard_iteratorISK_EESO_EEENSM_IJSG_SG_EEES6_PlJS6_EEE10hipError_tPvRmT3_T4_T5_T6_T7_T9_mT8_P12ihipStream_tbDpT10_ENKUlT_T0_E_clISt17integral_constantIbLb0EES1B_EEDaS16_S17_EUlS16_E_NS1_11comp_targetILNS1_3genE2ELNS1_11target_archE906ELNS1_3gpuE6ELNS1_3repE0EEENS1_30default_config_static_selectorELNS0_4arch9wavefront6targetE1EEEvT1_
		.amdhsa_group_segment_fixed_size 0
		.amdhsa_private_segment_fixed_size 0
		.amdhsa_kernarg_size 144
		.amdhsa_user_sgpr_count 2
		.amdhsa_user_sgpr_dispatch_ptr 0
		.amdhsa_user_sgpr_queue_ptr 0
		.amdhsa_user_sgpr_kernarg_segment_ptr 1
		.amdhsa_user_sgpr_dispatch_id 0
		.amdhsa_user_sgpr_kernarg_preload_length 0
		.amdhsa_user_sgpr_kernarg_preload_offset 0
		.amdhsa_user_sgpr_private_segment_size 0
		.amdhsa_uses_dynamic_stack 0
		.amdhsa_enable_private_segment 0
		.amdhsa_system_sgpr_workgroup_id_x 1
		.amdhsa_system_sgpr_workgroup_id_y 0
		.amdhsa_system_sgpr_workgroup_id_z 0
		.amdhsa_system_sgpr_workgroup_info 0
		.amdhsa_system_vgpr_workitem_id 0
		.amdhsa_next_free_vgpr 1
		.amdhsa_next_free_sgpr 0
		.amdhsa_accum_offset 4
		.amdhsa_reserve_vcc 0
		.amdhsa_float_round_mode_32 0
		.amdhsa_float_round_mode_16_64 0
		.amdhsa_float_denorm_mode_32 3
		.amdhsa_float_denorm_mode_16_64 3
		.amdhsa_dx10_clamp 1
		.amdhsa_ieee_mode 1
		.amdhsa_fp16_overflow 0
		.amdhsa_tg_split 0
		.amdhsa_exception_fp_ieee_invalid_op 0
		.amdhsa_exception_fp_denorm_src 0
		.amdhsa_exception_fp_ieee_div_zero 0
		.amdhsa_exception_fp_ieee_overflow 0
		.amdhsa_exception_fp_ieee_underflow 0
		.amdhsa_exception_fp_ieee_inexact 0
		.amdhsa_exception_int_div_zero 0
	.end_amdhsa_kernel
	.section	.text._ZN7rocprim17ROCPRIM_400000_NS6detail17trampoline_kernelINS0_14default_configENS1_25partition_config_selectorILNS1_17partition_subalgoE1EyNS0_10empty_typeEbEEZZNS1_14partition_implILS5_1ELb0ES3_jN6thrust23THRUST_200600_302600_NS6detail15normal_iteratorINSA_10device_ptrIyEEEEPS6_NSA_18transform_iteratorI7is_evenIyESF_NSA_11use_defaultESK_EENS0_5tupleIJNSA_16discard_iteratorISK_EESO_EEENSM_IJSG_SG_EEES6_PlJS6_EEE10hipError_tPvRmT3_T4_T5_T6_T7_T9_mT8_P12ihipStream_tbDpT10_ENKUlT_T0_E_clISt17integral_constantIbLb0EES1B_EEDaS16_S17_EUlS16_E_NS1_11comp_targetILNS1_3genE2ELNS1_11target_archE906ELNS1_3gpuE6ELNS1_3repE0EEENS1_30default_config_static_selectorELNS0_4arch9wavefront6targetE1EEEvT1_,"axG",@progbits,_ZN7rocprim17ROCPRIM_400000_NS6detail17trampoline_kernelINS0_14default_configENS1_25partition_config_selectorILNS1_17partition_subalgoE1EyNS0_10empty_typeEbEEZZNS1_14partition_implILS5_1ELb0ES3_jN6thrust23THRUST_200600_302600_NS6detail15normal_iteratorINSA_10device_ptrIyEEEEPS6_NSA_18transform_iteratorI7is_evenIyESF_NSA_11use_defaultESK_EENS0_5tupleIJNSA_16discard_iteratorISK_EESO_EEENSM_IJSG_SG_EEES6_PlJS6_EEE10hipError_tPvRmT3_T4_T5_T6_T7_T9_mT8_P12ihipStream_tbDpT10_ENKUlT_T0_E_clISt17integral_constantIbLb0EES1B_EEDaS16_S17_EUlS16_E_NS1_11comp_targetILNS1_3genE2ELNS1_11target_archE906ELNS1_3gpuE6ELNS1_3repE0EEENS1_30default_config_static_selectorELNS0_4arch9wavefront6targetE1EEEvT1_,comdat
.Lfunc_end2879:
	.size	_ZN7rocprim17ROCPRIM_400000_NS6detail17trampoline_kernelINS0_14default_configENS1_25partition_config_selectorILNS1_17partition_subalgoE1EyNS0_10empty_typeEbEEZZNS1_14partition_implILS5_1ELb0ES3_jN6thrust23THRUST_200600_302600_NS6detail15normal_iteratorINSA_10device_ptrIyEEEEPS6_NSA_18transform_iteratorI7is_evenIyESF_NSA_11use_defaultESK_EENS0_5tupleIJNSA_16discard_iteratorISK_EESO_EEENSM_IJSG_SG_EEES6_PlJS6_EEE10hipError_tPvRmT3_T4_T5_T6_T7_T9_mT8_P12ihipStream_tbDpT10_ENKUlT_T0_E_clISt17integral_constantIbLb0EES1B_EEDaS16_S17_EUlS16_E_NS1_11comp_targetILNS1_3genE2ELNS1_11target_archE906ELNS1_3gpuE6ELNS1_3repE0EEENS1_30default_config_static_selectorELNS0_4arch9wavefront6targetE1EEEvT1_, .Lfunc_end2879-_ZN7rocprim17ROCPRIM_400000_NS6detail17trampoline_kernelINS0_14default_configENS1_25partition_config_selectorILNS1_17partition_subalgoE1EyNS0_10empty_typeEbEEZZNS1_14partition_implILS5_1ELb0ES3_jN6thrust23THRUST_200600_302600_NS6detail15normal_iteratorINSA_10device_ptrIyEEEEPS6_NSA_18transform_iteratorI7is_evenIyESF_NSA_11use_defaultESK_EENS0_5tupleIJNSA_16discard_iteratorISK_EESO_EEENSM_IJSG_SG_EEES6_PlJS6_EEE10hipError_tPvRmT3_T4_T5_T6_T7_T9_mT8_P12ihipStream_tbDpT10_ENKUlT_T0_E_clISt17integral_constantIbLb0EES1B_EEDaS16_S17_EUlS16_E_NS1_11comp_targetILNS1_3genE2ELNS1_11target_archE906ELNS1_3gpuE6ELNS1_3repE0EEENS1_30default_config_static_selectorELNS0_4arch9wavefront6targetE1EEEvT1_
                                        ; -- End function
	.section	.AMDGPU.csdata,"",@progbits
; Kernel info:
; codeLenInByte = 0
; NumSgprs: 6
; NumVgprs: 0
; NumAgprs: 0
; TotalNumVgprs: 0
; ScratchSize: 0
; MemoryBound: 0
; FloatMode: 240
; IeeeMode: 1
; LDSByteSize: 0 bytes/workgroup (compile time only)
; SGPRBlocks: 0
; VGPRBlocks: 0
; NumSGPRsForWavesPerEU: 6
; NumVGPRsForWavesPerEU: 1
; AccumOffset: 4
; Occupancy: 8
; WaveLimiterHint : 0
; COMPUTE_PGM_RSRC2:SCRATCH_EN: 0
; COMPUTE_PGM_RSRC2:USER_SGPR: 2
; COMPUTE_PGM_RSRC2:TRAP_HANDLER: 0
; COMPUTE_PGM_RSRC2:TGID_X_EN: 1
; COMPUTE_PGM_RSRC2:TGID_Y_EN: 0
; COMPUTE_PGM_RSRC2:TGID_Z_EN: 0
; COMPUTE_PGM_RSRC2:TIDIG_COMP_CNT: 0
; COMPUTE_PGM_RSRC3_GFX90A:ACCUM_OFFSET: 0
; COMPUTE_PGM_RSRC3_GFX90A:TG_SPLIT: 0
	.section	.text._ZN7rocprim17ROCPRIM_400000_NS6detail17trampoline_kernelINS0_14default_configENS1_25partition_config_selectorILNS1_17partition_subalgoE1EyNS0_10empty_typeEbEEZZNS1_14partition_implILS5_1ELb0ES3_jN6thrust23THRUST_200600_302600_NS6detail15normal_iteratorINSA_10device_ptrIyEEEEPS6_NSA_18transform_iteratorI7is_evenIyESF_NSA_11use_defaultESK_EENS0_5tupleIJNSA_16discard_iteratorISK_EESO_EEENSM_IJSG_SG_EEES6_PlJS6_EEE10hipError_tPvRmT3_T4_T5_T6_T7_T9_mT8_P12ihipStream_tbDpT10_ENKUlT_T0_E_clISt17integral_constantIbLb0EES1B_EEDaS16_S17_EUlS16_E_NS1_11comp_targetILNS1_3genE10ELNS1_11target_archE1200ELNS1_3gpuE4ELNS1_3repE0EEENS1_30default_config_static_selectorELNS0_4arch9wavefront6targetE1EEEvT1_,"axG",@progbits,_ZN7rocprim17ROCPRIM_400000_NS6detail17trampoline_kernelINS0_14default_configENS1_25partition_config_selectorILNS1_17partition_subalgoE1EyNS0_10empty_typeEbEEZZNS1_14partition_implILS5_1ELb0ES3_jN6thrust23THRUST_200600_302600_NS6detail15normal_iteratorINSA_10device_ptrIyEEEEPS6_NSA_18transform_iteratorI7is_evenIyESF_NSA_11use_defaultESK_EENS0_5tupleIJNSA_16discard_iteratorISK_EESO_EEENSM_IJSG_SG_EEES6_PlJS6_EEE10hipError_tPvRmT3_T4_T5_T6_T7_T9_mT8_P12ihipStream_tbDpT10_ENKUlT_T0_E_clISt17integral_constantIbLb0EES1B_EEDaS16_S17_EUlS16_E_NS1_11comp_targetILNS1_3genE10ELNS1_11target_archE1200ELNS1_3gpuE4ELNS1_3repE0EEENS1_30default_config_static_selectorELNS0_4arch9wavefront6targetE1EEEvT1_,comdat
	.protected	_ZN7rocprim17ROCPRIM_400000_NS6detail17trampoline_kernelINS0_14default_configENS1_25partition_config_selectorILNS1_17partition_subalgoE1EyNS0_10empty_typeEbEEZZNS1_14partition_implILS5_1ELb0ES3_jN6thrust23THRUST_200600_302600_NS6detail15normal_iteratorINSA_10device_ptrIyEEEEPS6_NSA_18transform_iteratorI7is_evenIyESF_NSA_11use_defaultESK_EENS0_5tupleIJNSA_16discard_iteratorISK_EESO_EEENSM_IJSG_SG_EEES6_PlJS6_EEE10hipError_tPvRmT3_T4_T5_T6_T7_T9_mT8_P12ihipStream_tbDpT10_ENKUlT_T0_E_clISt17integral_constantIbLb0EES1B_EEDaS16_S17_EUlS16_E_NS1_11comp_targetILNS1_3genE10ELNS1_11target_archE1200ELNS1_3gpuE4ELNS1_3repE0EEENS1_30default_config_static_selectorELNS0_4arch9wavefront6targetE1EEEvT1_ ; -- Begin function _ZN7rocprim17ROCPRIM_400000_NS6detail17trampoline_kernelINS0_14default_configENS1_25partition_config_selectorILNS1_17partition_subalgoE1EyNS0_10empty_typeEbEEZZNS1_14partition_implILS5_1ELb0ES3_jN6thrust23THRUST_200600_302600_NS6detail15normal_iteratorINSA_10device_ptrIyEEEEPS6_NSA_18transform_iteratorI7is_evenIyESF_NSA_11use_defaultESK_EENS0_5tupleIJNSA_16discard_iteratorISK_EESO_EEENSM_IJSG_SG_EEES6_PlJS6_EEE10hipError_tPvRmT3_T4_T5_T6_T7_T9_mT8_P12ihipStream_tbDpT10_ENKUlT_T0_E_clISt17integral_constantIbLb0EES1B_EEDaS16_S17_EUlS16_E_NS1_11comp_targetILNS1_3genE10ELNS1_11target_archE1200ELNS1_3gpuE4ELNS1_3repE0EEENS1_30default_config_static_selectorELNS0_4arch9wavefront6targetE1EEEvT1_
	.globl	_ZN7rocprim17ROCPRIM_400000_NS6detail17trampoline_kernelINS0_14default_configENS1_25partition_config_selectorILNS1_17partition_subalgoE1EyNS0_10empty_typeEbEEZZNS1_14partition_implILS5_1ELb0ES3_jN6thrust23THRUST_200600_302600_NS6detail15normal_iteratorINSA_10device_ptrIyEEEEPS6_NSA_18transform_iteratorI7is_evenIyESF_NSA_11use_defaultESK_EENS0_5tupleIJNSA_16discard_iteratorISK_EESO_EEENSM_IJSG_SG_EEES6_PlJS6_EEE10hipError_tPvRmT3_T4_T5_T6_T7_T9_mT8_P12ihipStream_tbDpT10_ENKUlT_T0_E_clISt17integral_constantIbLb0EES1B_EEDaS16_S17_EUlS16_E_NS1_11comp_targetILNS1_3genE10ELNS1_11target_archE1200ELNS1_3gpuE4ELNS1_3repE0EEENS1_30default_config_static_selectorELNS0_4arch9wavefront6targetE1EEEvT1_
	.p2align	8
	.type	_ZN7rocprim17ROCPRIM_400000_NS6detail17trampoline_kernelINS0_14default_configENS1_25partition_config_selectorILNS1_17partition_subalgoE1EyNS0_10empty_typeEbEEZZNS1_14partition_implILS5_1ELb0ES3_jN6thrust23THRUST_200600_302600_NS6detail15normal_iteratorINSA_10device_ptrIyEEEEPS6_NSA_18transform_iteratorI7is_evenIyESF_NSA_11use_defaultESK_EENS0_5tupleIJNSA_16discard_iteratorISK_EESO_EEENSM_IJSG_SG_EEES6_PlJS6_EEE10hipError_tPvRmT3_T4_T5_T6_T7_T9_mT8_P12ihipStream_tbDpT10_ENKUlT_T0_E_clISt17integral_constantIbLb0EES1B_EEDaS16_S17_EUlS16_E_NS1_11comp_targetILNS1_3genE10ELNS1_11target_archE1200ELNS1_3gpuE4ELNS1_3repE0EEENS1_30default_config_static_selectorELNS0_4arch9wavefront6targetE1EEEvT1_,@function
_ZN7rocprim17ROCPRIM_400000_NS6detail17trampoline_kernelINS0_14default_configENS1_25partition_config_selectorILNS1_17partition_subalgoE1EyNS0_10empty_typeEbEEZZNS1_14partition_implILS5_1ELb0ES3_jN6thrust23THRUST_200600_302600_NS6detail15normal_iteratorINSA_10device_ptrIyEEEEPS6_NSA_18transform_iteratorI7is_evenIyESF_NSA_11use_defaultESK_EENS0_5tupleIJNSA_16discard_iteratorISK_EESO_EEENSM_IJSG_SG_EEES6_PlJS6_EEE10hipError_tPvRmT3_T4_T5_T6_T7_T9_mT8_P12ihipStream_tbDpT10_ENKUlT_T0_E_clISt17integral_constantIbLb0EES1B_EEDaS16_S17_EUlS16_E_NS1_11comp_targetILNS1_3genE10ELNS1_11target_archE1200ELNS1_3gpuE4ELNS1_3repE0EEENS1_30default_config_static_selectorELNS0_4arch9wavefront6targetE1EEEvT1_: ; @_ZN7rocprim17ROCPRIM_400000_NS6detail17trampoline_kernelINS0_14default_configENS1_25partition_config_selectorILNS1_17partition_subalgoE1EyNS0_10empty_typeEbEEZZNS1_14partition_implILS5_1ELb0ES3_jN6thrust23THRUST_200600_302600_NS6detail15normal_iteratorINSA_10device_ptrIyEEEEPS6_NSA_18transform_iteratorI7is_evenIyESF_NSA_11use_defaultESK_EENS0_5tupleIJNSA_16discard_iteratorISK_EESO_EEENSM_IJSG_SG_EEES6_PlJS6_EEE10hipError_tPvRmT3_T4_T5_T6_T7_T9_mT8_P12ihipStream_tbDpT10_ENKUlT_T0_E_clISt17integral_constantIbLb0EES1B_EEDaS16_S17_EUlS16_E_NS1_11comp_targetILNS1_3genE10ELNS1_11target_archE1200ELNS1_3gpuE4ELNS1_3repE0EEENS1_30default_config_static_selectorELNS0_4arch9wavefront6targetE1EEEvT1_
; %bb.0:
	.section	.rodata,"a",@progbits
	.p2align	6, 0x0
	.amdhsa_kernel _ZN7rocprim17ROCPRIM_400000_NS6detail17trampoline_kernelINS0_14default_configENS1_25partition_config_selectorILNS1_17partition_subalgoE1EyNS0_10empty_typeEbEEZZNS1_14partition_implILS5_1ELb0ES3_jN6thrust23THRUST_200600_302600_NS6detail15normal_iteratorINSA_10device_ptrIyEEEEPS6_NSA_18transform_iteratorI7is_evenIyESF_NSA_11use_defaultESK_EENS0_5tupleIJNSA_16discard_iteratorISK_EESO_EEENSM_IJSG_SG_EEES6_PlJS6_EEE10hipError_tPvRmT3_T4_T5_T6_T7_T9_mT8_P12ihipStream_tbDpT10_ENKUlT_T0_E_clISt17integral_constantIbLb0EES1B_EEDaS16_S17_EUlS16_E_NS1_11comp_targetILNS1_3genE10ELNS1_11target_archE1200ELNS1_3gpuE4ELNS1_3repE0EEENS1_30default_config_static_selectorELNS0_4arch9wavefront6targetE1EEEvT1_
		.amdhsa_group_segment_fixed_size 0
		.amdhsa_private_segment_fixed_size 0
		.amdhsa_kernarg_size 144
		.amdhsa_user_sgpr_count 2
		.amdhsa_user_sgpr_dispatch_ptr 0
		.amdhsa_user_sgpr_queue_ptr 0
		.amdhsa_user_sgpr_kernarg_segment_ptr 1
		.amdhsa_user_sgpr_dispatch_id 0
		.amdhsa_user_sgpr_kernarg_preload_length 0
		.amdhsa_user_sgpr_kernarg_preload_offset 0
		.amdhsa_user_sgpr_private_segment_size 0
		.amdhsa_uses_dynamic_stack 0
		.amdhsa_enable_private_segment 0
		.amdhsa_system_sgpr_workgroup_id_x 1
		.amdhsa_system_sgpr_workgroup_id_y 0
		.amdhsa_system_sgpr_workgroup_id_z 0
		.amdhsa_system_sgpr_workgroup_info 0
		.amdhsa_system_vgpr_workitem_id 0
		.amdhsa_next_free_vgpr 1
		.amdhsa_next_free_sgpr 0
		.amdhsa_accum_offset 4
		.amdhsa_reserve_vcc 0
		.amdhsa_float_round_mode_32 0
		.amdhsa_float_round_mode_16_64 0
		.amdhsa_float_denorm_mode_32 3
		.amdhsa_float_denorm_mode_16_64 3
		.amdhsa_dx10_clamp 1
		.amdhsa_ieee_mode 1
		.amdhsa_fp16_overflow 0
		.amdhsa_tg_split 0
		.amdhsa_exception_fp_ieee_invalid_op 0
		.amdhsa_exception_fp_denorm_src 0
		.amdhsa_exception_fp_ieee_div_zero 0
		.amdhsa_exception_fp_ieee_overflow 0
		.amdhsa_exception_fp_ieee_underflow 0
		.amdhsa_exception_fp_ieee_inexact 0
		.amdhsa_exception_int_div_zero 0
	.end_amdhsa_kernel
	.section	.text._ZN7rocprim17ROCPRIM_400000_NS6detail17trampoline_kernelINS0_14default_configENS1_25partition_config_selectorILNS1_17partition_subalgoE1EyNS0_10empty_typeEbEEZZNS1_14partition_implILS5_1ELb0ES3_jN6thrust23THRUST_200600_302600_NS6detail15normal_iteratorINSA_10device_ptrIyEEEEPS6_NSA_18transform_iteratorI7is_evenIyESF_NSA_11use_defaultESK_EENS0_5tupleIJNSA_16discard_iteratorISK_EESO_EEENSM_IJSG_SG_EEES6_PlJS6_EEE10hipError_tPvRmT3_T4_T5_T6_T7_T9_mT8_P12ihipStream_tbDpT10_ENKUlT_T0_E_clISt17integral_constantIbLb0EES1B_EEDaS16_S17_EUlS16_E_NS1_11comp_targetILNS1_3genE10ELNS1_11target_archE1200ELNS1_3gpuE4ELNS1_3repE0EEENS1_30default_config_static_selectorELNS0_4arch9wavefront6targetE1EEEvT1_,"axG",@progbits,_ZN7rocprim17ROCPRIM_400000_NS6detail17trampoline_kernelINS0_14default_configENS1_25partition_config_selectorILNS1_17partition_subalgoE1EyNS0_10empty_typeEbEEZZNS1_14partition_implILS5_1ELb0ES3_jN6thrust23THRUST_200600_302600_NS6detail15normal_iteratorINSA_10device_ptrIyEEEEPS6_NSA_18transform_iteratorI7is_evenIyESF_NSA_11use_defaultESK_EENS0_5tupleIJNSA_16discard_iteratorISK_EESO_EEENSM_IJSG_SG_EEES6_PlJS6_EEE10hipError_tPvRmT3_T4_T5_T6_T7_T9_mT8_P12ihipStream_tbDpT10_ENKUlT_T0_E_clISt17integral_constantIbLb0EES1B_EEDaS16_S17_EUlS16_E_NS1_11comp_targetILNS1_3genE10ELNS1_11target_archE1200ELNS1_3gpuE4ELNS1_3repE0EEENS1_30default_config_static_selectorELNS0_4arch9wavefront6targetE1EEEvT1_,comdat
.Lfunc_end2880:
	.size	_ZN7rocprim17ROCPRIM_400000_NS6detail17trampoline_kernelINS0_14default_configENS1_25partition_config_selectorILNS1_17partition_subalgoE1EyNS0_10empty_typeEbEEZZNS1_14partition_implILS5_1ELb0ES3_jN6thrust23THRUST_200600_302600_NS6detail15normal_iteratorINSA_10device_ptrIyEEEEPS6_NSA_18transform_iteratorI7is_evenIyESF_NSA_11use_defaultESK_EENS0_5tupleIJNSA_16discard_iteratorISK_EESO_EEENSM_IJSG_SG_EEES6_PlJS6_EEE10hipError_tPvRmT3_T4_T5_T6_T7_T9_mT8_P12ihipStream_tbDpT10_ENKUlT_T0_E_clISt17integral_constantIbLb0EES1B_EEDaS16_S17_EUlS16_E_NS1_11comp_targetILNS1_3genE10ELNS1_11target_archE1200ELNS1_3gpuE4ELNS1_3repE0EEENS1_30default_config_static_selectorELNS0_4arch9wavefront6targetE1EEEvT1_, .Lfunc_end2880-_ZN7rocprim17ROCPRIM_400000_NS6detail17trampoline_kernelINS0_14default_configENS1_25partition_config_selectorILNS1_17partition_subalgoE1EyNS0_10empty_typeEbEEZZNS1_14partition_implILS5_1ELb0ES3_jN6thrust23THRUST_200600_302600_NS6detail15normal_iteratorINSA_10device_ptrIyEEEEPS6_NSA_18transform_iteratorI7is_evenIyESF_NSA_11use_defaultESK_EENS0_5tupleIJNSA_16discard_iteratorISK_EESO_EEENSM_IJSG_SG_EEES6_PlJS6_EEE10hipError_tPvRmT3_T4_T5_T6_T7_T9_mT8_P12ihipStream_tbDpT10_ENKUlT_T0_E_clISt17integral_constantIbLb0EES1B_EEDaS16_S17_EUlS16_E_NS1_11comp_targetILNS1_3genE10ELNS1_11target_archE1200ELNS1_3gpuE4ELNS1_3repE0EEENS1_30default_config_static_selectorELNS0_4arch9wavefront6targetE1EEEvT1_
                                        ; -- End function
	.section	.AMDGPU.csdata,"",@progbits
; Kernel info:
; codeLenInByte = 0
; NumSgprs: 6
; NumVgprs: 0
; NumAgprs: 0
; TotalNumVgprs: 0
; ScratchSize: 0
; MemoryBound: 0
; FloatMode: 240
; IeeeMode: 1
; LDSByteSize: 0 bytes/workgroup (compile time only)
; SGPRBlocks: 0
; VGPRBlocks: 0
; NumSGPRsForWavesPerEU: 6
; NumVGPRsForWavesPerEU: 1
; AccumOffset: 4
; Occupancy: 8
; WaveLimiterHint : 0
; COMPUTE_PGM_RSRC2:SCRATCH_EN: 0
; COMPUTE_PGM_RSRC2:USER_SGPR: 2
; COMPUTE_PGM_RSRC2:TRAP_HANDLER: 0
; COMPUTE_PGM_RSRC2:TGID_X_EN: 1
; COMPUTE_PGM_RSRC2:TGID_Y_EN: 0
; COMPUTE_PGM_RSRC2:TGID_Z_EN: 0
; COMPUTE_PGM_RSRC2:TIDIG_COMP_CNT: 0
; COMPUTE_PGM_RSRC3_GFX90A:ACCUM_OFFSET: 0
; COMPUTE_PGM_RSRC3_GFX90A:TG_SPLIT: 0
	.section	.text._ZN7rocprim17ROCPRIM_400000_NS6detail17trampoline_kernelINS0_14default_configENS1_25partition_config_selectorILNS1_17partition_subalgoE1EyNS0_10empty_typeEbEEZZNS1_14partition_implILS5_1ELb0ES3_jN6thrust23THRUST_200600_302600_NS6detail15normal_iteratorINSA_10device_ptrIyEEEEPS6_NSA_18transform_iteratorI7is_evenIyESF_NSA_11use_defaultESK_EENS0_5tupleIJNSA_16discard_iteratorISK_EESO_EEENSM_IJSG_SG_EEES6_PlJS6_EEE10hipError_tPvRmT3_T4_T5_T6_T7_T9_mT8_P12ihipStream_tbDpT10_ENKUlT_T0_E_clISt17integral_constantIbLb0EES1B_EEDaS16_S17_EUlS16_E_NS1_11comp_targetILNS1_3genE9ELNS1_11target_archE1100ELNS1_3gpuE3ELNS1_3repE0EEENS1_30default_config_static_selectorELNS0_4arch9wavefront6targetE1EEEvT1_,"axG",@progbits,_ZN7rocprim17ROCPRIM_400000_NS6detail17trampoline_kernelINS0_14default_configENS1_25partition_config_selectorILNS1_17partition_subalgoE1EyNS0_10empty_typeEbEEZZNS1_14partition_implILS5_1ELb0ES3_jN6thrust23THRUST_200600_302600_NS6detail15normal_iteratorINSA_10device_ptrIyEEEEPS6_NSA_18transform_iteratorI7is_evenIyESF_NSA_11use_defaultESK_EENS0_5tupleIJNSA_16discard_iteratorISK_EESO_EEENSM_IJSG_SG_EEES6_PlJS6_EEE10hipError_tPvRmT3_T4_T5_T6_T7_T9_mT8_P12ihipStream_tbDpT10_ENKUlT_T0_E_clISt17integral_constantIbLb0EES1B_EEDaS16_S17_EUlS16_E_NS1_11comp_targetILNS1_3genE9ELNS1_11target_archE1100ELNS1_3gpuE3ELNS1_3repE0EEENS1_30default_config_static_selectorELNS0_4arch9wavefront6targetE1EEEvT1_,comdat
	.protected	_ZN7rocprim17ROCPRIM_400000_NS6detail17trampoline_kernelINS0_14default_configENS1_25partition_config_selectorILNS1_17partition_subalgoE1EyNS0_10empty_typeEbEEZZNS1_14partition_implILS5_1ELb0ES3_jN6thrust23THRUST_200600_302600_NS6detail15normal_iteratorINSA_10device_ptrIyEEEEPS6_NSA_18transform_iteratorI7is_evenIyESF_NSA_11use_defaultESK_EENS0_5tupleIJNSA_16discard_iteratorISK_EESO_EEENSM_IJSG_SG_EEES6_PlJS6_EEE10hipError_tPvRmT3_T4_T5_T6_T7_T9_mT8_P12ihipStream_tbDpT10_ENKUlT_T0_E_clISt17integral_constantIbLb0EES1B_EEDaS16_S17_EUlS16_E_NS1_11comp_targetILNS1_3genE9ELNS1_11target_archE1100ELNS1_3gpuE3ELNS1_3repE0EEENS1_30default_config_static_selectorELNS0_4arch9wavefront6targetE1EEEvT1_ ; -- Begin function _ZN7rocprim17ROCPRIM_400000_NS6detail17trampoline_kernelINS0_14default_configENS1_25partition_config_selectorILNS1_17partition_subalgoE1EyNS0_10empty_typeEbEEZZNS1_14partition_implILS5_1ELb0ES3_jN6thrust23THRUST_200600_302600_NS6detail15normal_iteratorINSA_10device_ptrIyEEEEPS6_NSA_18transform_iteratorI7is_evenIyESF_NSA_11use_defaultESK_EENS0_5tupleIJNSA_16discard_iteratorISK_EESO_EEENSM_IJSG_SG_EEES6_PlJS6_EEE10hipError_tPvRmT3_T4_T5_T6_T7_T9_mT8_P12ihipStream_tbDpT10_ENKUlT_T0_E_clISt17integral_constantIbLb0EES1B_EEDaS16_S17_EUlS16_E_NS1_11comp_targetILNS1_3genE9ELNS1_11target_archE1100ELNS1_3gpuE3ELNS1_3repE0EEENS1_30default_config_static_selectorELNS0_4arch9wavefront6targetE1EEEvT1_
	.globl	_ZN7rocprim17ROCPRIM_400000_NS6detail17trampoline_kernelINS0_14default_configENS1_25partition_config_selectorILNS1_17partition_subalgoE1EyNS0_10empty_typeEbEEZZNS1_14partition_implILS5_1ELb0ES3_jN6thrust23THRUST_200600_302600_NS6detail15normal_iteratorINSA_10device_ptrIyEEEEPS6_NSA_18transform_iteratorI7is_evenIyESF_NSA_11use_defaultESK_EENS0_5tupleIJNSA_16discard_iteratorISK_EESO_EEENSM_IJSG_SG_EEES6_PlJS6_EEE10hipError_tPvRmT3_T4_T5_T6_T7_T9_mT8_P12ihipStream_tbDpT10_ENKUlT_T0_E_clISt17integral_constantIbLb0EES1B_EEDaS16_S17_EUlS16_E_NS1_11comp_targetILNS1_3genE9ELNS1_11target_archE1100ELNS1_3gpuE3ELNS1_3repE0EEENS1_30default_config_static_selectorELNS0_4arch9wavefront6targetE1EEEvT1_
	.p2align	8
	.type	_ZN7rocprim17ROCPRIM_400000_NS6detail17trampoline_kernelINS0_14default_configENS1_25partition_config_selectorILNS1_17partition_subalgoE1EyNS0_10empty_typeEbEEZZNS1_14partition_implILS5_1ELb0ES3_jN6thrust23THRUST_200600_302600_NS6detail15normal_iteratorINSA_10device_ptrIyEEEEPS6_NSA_18transform_iteratorI7is_evenIyESF_NSA_11use_defaultESK_EENS0_5tupleIJNSA_16discard_iteratorISK_EESO_EEENSM_IJSG_SG_EEES6_PlJS6_EEE10hipError_tPvRmT3_T4_T5_T6_T7_T9_mT8_P12ihipStream_tbDpT10_ENKUlT_T0_E_clISt17integral_constantIbLb0EES1B_EEDaS16_S17_EUlS16_E_NS1_11comp_targetILNS1_3genE9ELNS1_11target_archE1100ELNS1_3gpuE3ELNS1_3repE0EEENS1_30default_config_static_selectorELNS0_4arch9wavefront6targetE1EEEvT1_,@function
_ZN7rocprim17ROCPRIM_400000_NS6detail17trampoline_kernelINS0_14default_configENS1_25partition_config_selectorILNS1_17partition_subalgoE1EyNS0_10empty_typeEbEEZZNS1_14partition_implILS5_1ELb0ES3_jN6thrust23THRUST_200600_302600_NS6detail15normal_iteratorINSA_10device_ptrIyEEEEPS6_NSA_18transform_iteratorI7is_evenIyESF_NSA_11use_defaultESK_EENS0_5tupleIJNSA_16discard_iteratorISK_EESO_EEENSM_IJSG_SG_EEES6_PlJS6_EEE10hipError_tPvRmT3_T4_T5_T6_T7_T9_mT8_P12ihipStream_tbDpT10_ENKUlT_T0_E_clISt17integral_constantIbLb0EES1B_EEDaS16_S17_EUlS16_E_NS1_11comp_targetILNS1_3genE9ELNS1_11target_archE1100ELNS1_3gpuE3ELNS1_3repE0EEENS1_30default_config_static_selectorELNS0_4arch9wavefront6targetE1EEEvT1_: ; @_ZN7rocprim17ROCPRIM_400000_NS6detail17trampoline_kernelINS0_14default_configENS1_25partition_config_selectorILNS1_17partition_subalgoE1EyNS0_10empty_typeEbEEZZNS1_14partition_implILS5_1ELb0ES3_jN6thrust23THRUST_200600_302600_NS6detail15normal_iteratorINSA_10device_ptrIyEEEEPS6_NSA_18transform_iteratorI7is_evenIyESF_NSA_11use_defaultESK_EENS0_5tupleIJNSA_16discard_iteratorISK_EESO_EEENSM_IJSG_SG_EEES6_PlJS6_EEE10hipError_tPvRmT3_T4_T5_T6_T7_T9_mT8_P12ihipStream_tbDpT10_ENKUlT_T0_E_clISt17integral_constantIbLb0EES1B_EEDaS16_S17_EUlS16_E_NS1_11comp_targetILNS1_3genE9ELNS1_11target_archE1100ELNS1_3gpuE3ELNS1_3repE0EEENS1_30default_config_static_selectorELNS0_4arch9wavefront6targetE1EEEvT1_
; %bb.0:
	.section	.rodata,"a",@progbits
	.p2align	6, 0x0
	.amdhsa_kernel _ZN7rocprim17ROCPRIM_400000_NS6detail17trampoline_kernelINS0_14default_configENS1_25partition_config_selectorILNS1_17partition_subalgoE1EyNS0_10empty_typeEbEEZZNS1_14partition_implILS5_1ELb0ES3_jN6thrust23THRUST_200600_302600_NS6detail15normal_iteratorINSA_10device_ptrIyEEEEPS6_NSA_18transform_iteratorI7is_evenIyESF_NSA_11use_defaultESK_EENS0_5tupleIJNSA_16discard_iteratorISK_EESO_EEENSM_IJSG_SG_EEES6_PlJS6_EEE10hipError_tPvRmT3_T4_T5_T6_T7_T9_mT8_P12ihipStream_tbDpT10_ENKUlT_T0_E_clISt17integral_constantIbLb0EES1B_EEDaS16_S17_EUlS16_E_NS1_11comp_targetILNS1_3genE9ELNS1_11target_archE1100ELNS1_3gpuE3ELNS1_3repE0EEENS1_30default_config_static_selectorELNS0_4arch9wavefront6targetE1EEEvT1_
		.amdhsa_group_segment_fixed_size 0
		.amdhsa_private_segment_fixed_size 0
		.amdhsa_kernarg_size 144
		.amdhsa_user_sgpr_count 2
		.amdhsa_user_sgpr_dispatch_ptr 0
		.amdhsa_user_sgpr_queue_ptr 0
		.amdhsa_user_sgpr_kernarg_segment_ptr 1
		.amdhsa_user_sgpr_dispatch_id 0
		.amdhsa_user_sgpr_kernarg_preload_length 0
		.amdhsa_user_sgpr_kernarg_preload_offset 0
		.amdhsa_user_sgpr_private_segment_size 0
		.amdhsa_uses_dynamic_stack 0
		.amdhsa_enable_private_segment 0
		.amdhsa_system_sgpr_workgroup_id_x 1
		.amdhsa_system_sgpr_workgroup_id_y 0
		.amdhsa_system_sgpr_workgroup_id_z 0
		.amdhsa_system_sgpr_workgroup_info 0
		.amdhsa_system_vgpr_workitem_id 0
		.amdhsa_next_free_vgpr 1
		.amdhsa_next_free_sgpr 0
		.amdhsa_accum_offset 4
		.amdhsa_reserve_vcc 0
		.amdhsa_float_round_mode_32 0
		.amdhsa_float_round_mode_16_64 0
		.amdhsa_float_denorm_mode_32 3
		.amdhsa_float_denorm_mode_16_64 3
		.amdhsa_dx10_clamp 1
		.amdhsa_ieee_mode 1
		.amdhsa_fp16_overflow 0
		.amdhsa_tg_split 0
		.amdhsa_exception_fp_ieee_invalid_op 0
		.amdhsa_exception_fp_denorm_src 0
		.amdhsa_exception_fp_ieee_div_zero 0
		.amdhsa_exception_fp_ieee_overflow 0
		.amdhsa_exception_fp_ieee_underflow 0
		.amdhsa_exception_fp_ieee_inexact 0
		.amdhsa_exception_int_div_zero 0
	.end_amdhsa_kernel
	.section	.text._ZN7rocprim17ROCPRIM_400000_NS6detail17trampoline_kernelINS0_14default_configENS1_25partition_config_selectorILNS1_17partition_subalgoE1EyNS0_10empty_typeEbEEZZNS1_14partition_implILS5_1ELb0ES3_jN6thrust23THRUST_200600_302600_NS6detail15normal_iteratorINSA_10device_ptrIyEEEEPS6_NSA_18transform_iteratorI7is_evenIyESF_NSA_11use_defaultESK_EENS0_5tupleIJNSA_16discard_iteratorISK_EESO_EEENSM_IJSG_SG_EEES6_PlJS6_EEE10hipError_tPvRmT3_T4_T5_T6_T7_T9_mT8_P12ihipStream_tbDpT10_ENKUlT_T0_E_clISt17integral_constantIbLb0EES1B_EEDaS16_S17_EUlS16_E_NS1_11comp_targetILNS1_3genE9ELNS1_11target_archE1100ELNS1_3gpuE3ELNS1_3repE0EEENS1_30default_config_static_selectorELNS0_4arch9wavefront6targetE1EEEvT1_,"axG",@progbits,_ZN7rocprim17ROCPRIM_400000_NS6detail17trampoline_kernelINS0_14default_configENS1_25partition_config_selectorILNS1_17partition_subalgoE1EyNS0_10empty_typeEbEEZZNS1_14partition_implILS5_1ELb0ES3_jN6thrust23THRUST_200600_302600_NS6detail15normal_iteratorINSA_10device_ptrIyEEEEPS6_NSA_18transform_iteratorI7is_evenIyESF_NSA_11use_defaultESK_EENS0_5tupleIJNSA_16discard_iteratorISK_EESO_EEENSM_IJSG_SG_EEES6_PlJS6_EEE10hipError_tPvRmT3_T4_T5_T6_T7_T9_mT8_P12ihipStream_tbDpT10_ENKUlT_T0_E_clISt17integral_constantIbLb0EES1B_EEDaS16_S17_EUlS16_E_NS1_11comp_targetILNS1_3genE9ELNS1_11target_archE1100ELNS1_3gpuE3ELNS1_3repE0EEENS1_30default_config_static_selectorELNS0_4arch9wavefront6targetE1EEEvT1_,comdat
.Lfunc_end2881:
	.size	_ZN7rocprim17ROCPRIM_400000_NS6detail17trampoline_kernelINS0_14default_configENS1_25partition_config_selectorILNS1_17partition_subalgoE1EyNS0_10empty_typeEbEEZZNS1_14partition_implILS5_1ELb0ES3_jN6thrust23THRUST_200600_302600_NS6detail15normal_iteratorINSA_10device_ptrIyEEEEPS6_NSA_18transform_iteratorI7is_evenIyESF_NSA_11use_defaultESK_EENS0_5tupleIJNSA_16discard_iteratorISK_EESO_EEENSM_IJSG_SG_EEES6_PlJS6_EEE10hipError_tPvRmT3_T4_T5_T6_T7_T9_mT8_P12ihipStream_tbDpT10_ENKUlT_T0_E_clISt17integral_constantIbLb0EES1B_EEDaS16_S17_EUlS16_E_NS1_11comp_targetILNS1_3genE9ELNS1_11target_archE1100ELNS1_3gpuE3ELNS1_3repE0EEENS1_30default_config_static_selectorELNS0_4arch9wavefront6targetE1EEEvT1_, .Lfunc_end2881-_ZN7rocprim17ROCPRIM_400000_NS6detail17trampoline_kernelINS0_14default_configENS1_25partition_config_selectorILNS1_17partition_subalgoE1EyNS0_10empty_typeEbEEZZNS1_14partition_implILS5_1ELb0ES3_jN6thrust23THRUST_200600_302600_NS6detail15normal_iteratorINSA_10device_ptrIyEEEEPS6_NSA_18transform_iteratorI7is_evenIyESF_NSA_11use_defaultESK_EENS0_5tupleIJNSA_16discard_iteratorISK_EESO_EEENSM_IJSG_SG_EEES6_PlJS6_EEE10hipError_tPvRmT3_T4_T5_T6_T7_T9_mT8_P12ihipStream_tbDpT10_ENKUlT_T0_E_clISt17integral_constantIbLb0EES1B_EEDaS16_S17_EUlS16_E_NS1_11comp_targetILNS1_3genE9ELNS1_11target_archE1100ELNS1_3gpuE3ELNS1_3repE0EEENS1_30default_config_static_selectorELNS0_4arch9wavefront6targetE1EEEvT1_
                                        ; -- End function
	.section	.AMDGPU.csdata,"",@progbits
; Kernel info:
; codeLenInByte = 0
; NumSgprs: 6
; NumVgprs: 0
; NumAgprs: 0
; TotalNumVgprs: 0
; ScratchSize: 0
; MemoryBound: 0
; FloatMode: 240
; IeeeMode: 1
; LDSByteSize: 0 bytes/workgroup (compile time only)
; SGPRBlocks: 0
; VGPRBlocks: 0
; NumSGPRsForWavesPerEU: 6
; NumVGPRsForWavesPerEU: 1
; AccumOffset: 4
; Occupancy: 8
; WaveLimiterHint : 0
; COMPUTE_PGM_RSRC2:SCRATCH_EN: 0
; COMPUTE_PGM_RSRC2:USER_SGPR: 2
; COMPUTE_PGM_RSRC2:TRAP_HANDLER: 0
; COMPUTE_PGM_RSRC2:TGID_X_EN: 1
; COMPUTE_PGM_RSRC2:TGID_Y_EN: 0
; COMPUTE_PGM_RSRC2:TGID_Z_EN: 0
; COMPUTE_PGM_RSRC2:TIDIG_COMP_CNT: 0
; COMPUTE_PGM_RSRC3_GFX90A:ACCUM_OFFSET: 0
; COMPUTE_PGM_RSRC3_GFX90A:TG_SPLIT: 0
	.section	.text._ZN7rocprim17ROCPRIM_400000_NS6detail17trampoline_kernelINS0_14default_configENS1_25partition_config_selectorILNS1_17partition_subalgoE1EyNS0_10empty_typeEbEEZZNS1_14partition_implILS5_1ELb0ES3_jN6thrust23THRUST_200600_302600_NS6detail15normal_iteratorINSA_10device_ptrIyEEEEPS6_NSA_18transform_iteratorI7is_evenIyESF_NSA_11use_defaultESK_EENS0_5tupleIJNSA_16discard_iteratorISK_EESO_EEENSM_IJSG_SG_EEES6_PlJS6_EEE10hipError_tPvRmT3_T4_T5_T6_T7_T9_mT8_P12ihipStream_tbDpT10_ENKUlT_T0_E_clISt17integral_constantIbLb0EES1B_EEDaS16_S17_EUlS16_E_NS1_11comp_targetILNS1_3genE8ELNS1_11target_archE1030ELNS1_3gpuE2ELNS1_3repE0EEENS1_30default_config_static_selectorELNS0_4arch9wavefront6targetE1EEEvT1_,"axG",@progbits,_ZN7rocprim17ROCPRIM_400000_NS6detail17trampoline_kernelINS0_14default_configENS1_25partition_config_selectorILNS1_17partition_subalgoE1EyNS0_10empty_typeEbEEZZNS1_14partition_implILS5_1ELb0ES3_jN6thrust23THRUST_200600_302600_NS6detail15normal_iteratorINSA_10device_ptrIyEEEEPS6_NSA_18transform_iteratorI7is_evenIyESF_NSA_11use_defaultESK_EENS0_5tupleIJNSA_16discard_iteratorISK_EESO_EEENSM_IJSG_SG_EEES6_PlJS6_EEE10hipError_tPvRmT3_T4_T5_T6_T7_T9_mT8_P12ihipStream_tbDpT10_ENKUlT_T0_E_clISt17integral_constantIbLb0EES1B_EEDaS16_S17_EUlS16_E_NS1_11comp_targetILNS1_3genE8ELNS1_11target_archE1030ELNS1_3gpuE2ELNS1_3repE0EEENS1_30default_config_static_selectorELNS0_4arch9wavefront6targetE1EEEvT1_,comdat
	.protected	_ZN7rocprim17ROCPRIM_400000_NS6detail17trampoline_kernelINS0_14default_configENS1_25partition_config_selectorILNS1_17partition_subalgoE1EyNS0_10empty_typeEbEEZZNS1_14partition_implILS5_1ELb0ES3_jN6thrust23THRUST_200600_302600_NS6detail15normal_iteratorINSA_10device_ptrIyEEEEPS6_NSA_18transform_iteratorI7is_evenIyESF_NSA_11use_defaultESK_EENS0_5tupleIJNSA_16discard_iteratorISK_EESO_EEENSM_IJSG_SG_EEES6_PlJS6_EEE10hipError_tPvRmT3_T4_T5_T6_T7_T9_mT8_P12ihipStream_tbDpT10_ENKUlT_T0_E_clISt17integral_constantIbLb0EES1B_EEDaS16_S17_EUlS16_E_NS1_11comp_targetILNS1_3genE8ELNS1_11target_archE1030ELNS1_3gpuE2ELNS1_3repE0EEENS1_30default_config_static_selectorELNS0_4arch9wavefront6targetE1EEEvT1_ ; -- Begin function _ZN7rocprim17ROCPRIM_400000_NS6detail17trampoline_kernelINS0_14default_configENS1_25partition_config_selectorILNS1_17partition_subalgoE1EyNS0_10empty_typeEbEEZZNS1_14partition_implILS5_1ELb0ES3_jN6thrust23THRUST_200600_302600_NS6detail15normal_iteratorINSA_10device_ptrIyEEEEPS6_NSA_18transform_iteratorI7is_evenIyESF_NSA_11use_defaultESK_EENS0_5tupleIJNSA_16discard_iteratorISK_EESO_EEENSM_IJSG_SG_EEES6_PlJS6_EEE10hipError_tPvRmT3_T4_T5_T6_T7_T9_mT8_P12ihipStream_tbDpT10_ENKUlT_T0_E_clISt17integral_constantIbLb0EES1B_EEDaS16_S17_EUlS16_E_NS1_11comp_targetILNS1_3genE8ELNS1_11target_archE1030ELNS1_3gpuE2ELNS1_3repE0EEENS1_30default_config_static_selectorELNS0_4arch9wavefront6targetE1EEEvT1_
	.globl	_ZN7rocprim17ROCPRIM_400000_NS6detail17trampoline_kernelINS0_14default_configENS1_25partition_config_selectorILNS1_17partition_subalgoE1EyNS0_10empty_typeEbEEZZNS1_14partition_implILS5_1ELb0ES3_jN6thrust23THRUST_200600_302600_NS6detail15normal_iteratorINSA_10device_ptrIyEEEEPS6_NSA_18transform_iteratorI7is_evenIyESF_NSA_11use_defaultESK_EENS0_5tupleIJNSA_16discard_iteratorISK_EESO_EEENSM_IJSG_SG_EEES6_PlJS6_EEE10hipError_tPvRmT3_T4_T5_T6_T7_T9_mT8_P12ihipStream_tbDpT10_ENKUlT_T0_E_clISt17integral_constantIbLb0EES1B_EEDaS16_S17_EUlS16_E_NS1_11comp_targetILNS1_3genE8ELNS1_11target_archE1030ELNS1_3gpuE2ELNS1_3repE0EEENS1_30default_config_static_selectorELNS0_4arch9wavefront6targetE1EEEvT1_
	.p2align	8
	.type	_ZN7rocprim17ROCPRIM_400000_NS6detail17trampoline_kernelINS0_14default_configENS1_25partition_config_selectorILNS1_17partition_subalgoE1EyNS0_10empty_typeEbEEZZNS1_14partition_implILS5_1ELb0ES3_jN6thrust23THRUST_200600_302600_NS6detail15normal_iteratorINSA_10device_ptrIyEEEEPS6_NSA_18transform_iteratorI7is_evenIyESF_NSA_11use_defaultESK_EENS0_5tupleIJNSA_16discard_iteratorISK_EESO_EEENSM_IJSG_SG_EEES6_PlJS6_EEE10hipError_tPvRmT3_T4_T5_T6_T7_T9_mT8_P12ihipStream_tbDpT10_ENKUlT_T0_E_clISt17integral_constantIbLb0EES1B_EEDaS16_S17_EUlS16_E_NS1_11comp_targetILNS1_3genE8ELNS1_11target_archE1030ELNS1_3gpuE2ELNS1_3repE0EEENS1_30default_config_static_selectorELNS0_4arch9wavefront6targetE1EEEvT1_,@function
_ZN7rocprim17ROCPRIM_400000_NS6detail17trampoline_kernelINS0_14default_configENS1_25partition_config_selectorILNS1_17partition_subalgoE1EyNS0_10empty_typeEbEEZZNS1_14partition_implILS5_1ELb0ES3_jN6thrust23THRUST_200600_302600_NS6detail15normal_iteratorINSA_10device_ptrIyEEEEPS6_NSA_18transform_iteratorI7is_evenIyESF_NSA_11use_defaultESK_EENS0_5tupleIJNSA_16discard_iteratorISK_EESO_EEENSM_IJSG_SG_EEES6_PlJS6_EEE10hipError_tPvRmT3_T4_T5_T6_T7_T9_mT8_P12ihipStream_tbDpT10_ENKUlT_T0_E_clISt17integral_constantIbLb0EES1B_EEDaS16_S17_EUlS16_E_NS1_11comp_targetILNS1_3genE8ELNS1_11target_archE1030ELNS1_3gpuE2ELNS1_3repE0EEENS1_30default_config_static_selectorELNS0_4arch9wavefront6targetE1EEEvT1_: ; @_ZN7rocprim17ROCPRIM_400000_NS6detail17trampoline_kernelINS0_14default_configENS1_25partition_config_selectorILNS1_17partition_subalgoE1EyNS0_10empty_typeEbEEZZNS1_14partition_implILS5_1ELb0ES3_jN6thrust23THRUST_200600_302600_NS6detail15normal_iteratorINSA_10device_ptrIyEEEEPS6_NSA_18transform_iteratorI7is_evenIyESF_NSA_11use_defaultESK_EENS0_5tupleIJNSA_16discard_iteratorISK_EESO_EEENSM_IJSG_SG_EEES6_PlJS6_EEE10hipError_tPvRmT3_T4_T5_T6_T7_T9_mT8_P12ihipStream_tbDpT10_ENKUlT_T0_E_clISt17integral_constantIbLb0EES1B_EEDaS16_S17_EUlS16_E_NS1_11comp_targetILNS1_3genE8ELNS1_11target_archE1030ELNS1_3gpuE2ELNS1_3repE0EEENS1_30default_config_static_selectorELNS0_4arch9wavefront6targetE1EEEvT1_
; %bb.0:
	.section	.rodata,"a",@progbits
	.p2align	6, 0x0
	.amdhsa_kernel _ZN7rocprim17ROCPRIM_400000_NS6detail17trampoline_kernelINS0_14default_configENS1_25partition_config_selectorILNS1_17partition_subalgoE1EyNS0_10empty_typeEbEEZZNS1_14partition_implILS5_1ELb0ES3_jN6thrust23THRUST_200600_302600_NS6detail15normal_iteratorINSA_10device_ptrIyEEEEPS6_NSA_18transform_iteratorI7is_evenIyESF_NSA_11use_defaultESK_EENS0_5tupleIJNSA_16discard_iteratorISK_EESO_EEENSM_IJSG_SG_EEES6_PlJS6_EEE10hipError_tPvRmT3_T4_T5_T6_T7_T9_mT8_P12ihipStream_tbDpT10_ENKUlT_T0_E_clISt17integral_constantIbLb0EES1B_EEDaS16_S17_EUlS16_E_NS1_11comp_targetILNS1_3genE8ELNS1_11target_archE1030ELNS1_3gpuE2ELNS1_3repE0EEENS1_30default_config_static_selectorELNS0_4arch9wavefront6targetE1EEEvT1_
		.amdhsa_group_segment_fixed_size 0
		.amdhsa_private_segment_fixed_size 0
		.amdhsa_kernarg_size 144
		.amdhsa_user_sgpr_count 2
		.amdhsa_user_sgpr_dispatch_ptr 0
		.amdhsa_user_sgpr_queue_ptr 0
		.amdhsa_user_sgpr_kernarg_segment_ptr 1
		.amdhsa_user_sgpr_dispatch_id 0
		.amdhsa_user_sgpr_kernarg_preload_length 0
		.amdhsa_user_sgpr_kernarg_preload_offset 0
		.amdhsa_user_sgpr_private_segment_size 0
		.amdhsa_uses_dynamic_stack 0
		.amdhsa_enable_private_segment 0
		.amdhsa_system_sgpr_workgroup_id_x 1
		.amdhsa_system_sgpr_workgroup_id_y 0
		.amdhsa_system_sgpr_workgroup_id_z 0
		.amdhsa_system_sgpr_workgroup_info 0
		.amdhsa_system_vgpr_workitem_id 0
		.amdhsa_next_free_vgpr 1
		.amdhsa_next_free_sgpr 0
		.amdhsa_accum_offset 4
		.amdhsa_reserve_vcc 0
		.amdhsa_float_round_mode_32 0
		.amdhsa_float_round_mode_16_64 0
		.amdhsa_float_denorm_mode_32 3
		.amdhsa_float_denorm_mode_16_64 3
		.amdhsa_dx10_clamp 1
		.amdhsa_ieee_mode 1
		.amdhsa_fp16_overflow 0
		.amdhsa_tg_split 0
		.amdhsa_exception_fp_ieee_invalid_op 0
		.amdhsa_exception_fp_denorm_src 0
		.amdhsa_exception_fp_ieee_div_zero 0
		.amdhsa_exception_fp_ieee_overflow 0
		.amdhsa_exception_fp_ieee_underflow 0
		.amdhsa_exception_fp_ieee_inexact 0
		.amdhsa_exception_int_div_zero 0
	.end_amdhsa_kernel
	.section	.text._ZN7rocprim17ROCPRIM_400000_NS6detail17trampoline_kernelINS0_14default_configENS1_25partition_config_selectorILNS1_17partition_subalgoE1EyNS0_10empty_typeEbEEZZNS1_14partition_implILS5_1ELb0ES3_jN6thrust23THRUST_200600_302600_NS6detail15normal_iteratorINSA_10device_ptrIyEEEEPS6_NSA_18transform_iteratorI7is_evenIyESF_NSA_11use_defaultESK_EENS0_5tupleIJNSA_16discard_iteratorISK_EESO_EEENSM_IJSG_SG_EEES6_PlJS6_EEE10hipError_tPvRmT3_T4_T5_T6_T7_T9_mT8_P12ihipStream_tbDpT10_ENKUlT_T0_E_clISt17integral_constantIbLb0EES1B_EEDaS16_S17_EUlS16_E_NS1_11comp_targetILNS1_3genE8ELNS1_11target_archE1030ELNS1_3gpuE2ELNS1_3repE0EEENS1_30default_config_static_selectorELNS0_4arch9wavefront6targetE1EEEvT1_,"axG",@progbits,_ZN7rocprim17ROCPRIM_400000_NS6detail17trampoline_kernelINS0_14default_configENS1_25partition_config_selectorILNS1_17partition_subalgoE1EyNS0_10empty_typeEbEEZZNS1_14partition_implILS5_1ELb0ES3_jN6thrust23THRUST_200600_302600_NS6detail15normal_iteratorINSA_10device_ptrIyEEEEPS6_NSA_18transform_iteratorI7is_evenIyESF_NSA_11use_defaultESK_EENS0_5tupleIJNSA_16discard_iteratorISK_EESO_EEENSM_IJSG_SG_EEES6_PlJS6_EEE10hipError_tPvRmT3_T4_T5_T6_T7_T9_mT8_P12ihipStream_tbDpT10_ENKUlT_T0_E_clISt17integral_constantIbLb0EES1B_EEDaS16_S17_EUlS16_E_NS1_11comp_targetILNS1_3genE8ELNS1_11target_archE1030ELNS1_3gpuE2ELNS1_3repE0EEENS1_30default_config_static_selectorELNS0_4arch9wavefront6targetE1EEEvT1_,comdat
.Lfunc_end2882:
	.size	_ZN7rocprim17ROCPRIM_400000_NS6detail17trampoline_kernelINS0_14default_configENS1_25partition_config_selectorILNS1_17partition_subalgoE1EyNS0_10empty_typeEbEEZZNS1_14partition_implILS5_1ELb0ES3_jN6thrust23THRUST_200600_302600_NS6detail15normal_iteratorINSA_10device_ptrIyEEEEPS6_NSA_18transform_iteratorI7is_evenIyESF_NSA_11use_defaultESK_EENS0_5tupleIJNSA_16discard_iteratorISK_EESO_EEENSM_IJSG_SG_EEES6_PlJS6_EEE10hipError_tPvRmT3_T4_T5_T6_T7_T9_mT8_P12ihipStream_tbDpT10_ENKUlT_T0_E_clISt17integral_constantIbLb0EES1B_EEDaS16_S17_EUlS16_E_NS1_11comp_targetILNS1_3genE8ELNS1_11target_archE1030ELNS1_3gpuE2ELNS1_3repE0EEENS1_30default_config_static_selectorELNS0_4arch9wavefront6targetE1EEEvT1_, .Lfunc_end2882-_ZN7rocprim17ROCPRIM_400000_NS6detail17trampoline_kernelINS0_14default_configENS1_25partition_config_selectorILNS1_17partition_subalgoE1EyNS0_10empty_typeEbEEZZNS1_14partition_implILS5_1ELb0ES3_jN6thrust23THRUST_200600_302600_NS6detail15normal_iteratorINSA_10device_ptrIyEEEEPS6_NSA_18transform_iteratorI7is_evenIyESF_NSA_11use_defaultESK_EENS0_5tupleIJNSA_16discard_iteratorISK_EESO_EEENSM_IJSG_SG_EEES6_PlJS6_EEE10hipError_tPvRmT3_T4_T5_T6_T7_T9_mT8_P12ihipStream_tbDpT10_ENKUlT_T0_E_clISt17integral_constantIbLb0EES1B_EEDaS16_S17_EUlS16_E_NS1_11comp_targetILNS1_3genE8ELNS1_11target_archE1030ELNS1_3gpuE2ELNS1_3repE0EEENS1_30default_config_static_selectorELNS0_4arch9wavefront6targetE1EEEvT1_
                                        ; -- End function
	.section	.AMDGPU.csdata,"",@progbits
; Kernel info:
; codeLenInByte = 0
; NumSgprs: 6
; NumVgprs: 0
; NumAgprs: 0
; TotalNumVgprs: 0
; ScratchSize: 0
; MemoryBound: 0
; FloatMode: 240
; IeeeMode: 1
; LDSByteSize: 0 bytes/workgroup (compile time only)
; SGPRBlocks: 0
; VGPRBlocks: 0
; NumSGPRsForWavesPerEU: 6
; NumVGPRsForWavesPerEU: 1
; AccumOffset: 4
; Occupancy: 8
; WaveLimiterHint : 0
; COMPUTE_PGM_RSRC2:SCRATCH_EN: 0
; COMPUTE_PGM_RSRC2:USER_SGPR: 2
; COMPUTE_PGM_RSRC2:TRAP_HANDLER: 0
; COMPUTE_PGM_RSRC2:TGID_X_EN: 1
; COMPUTE_PGM_RSRC2:TGID_Y_EN: 0
; COMPUTE_PGM_RSRC2:TGID_Z_EN: 0
; COMPUTE_PGM_RSRC2:TIDIG_COMP_CNT: 0
; COMPUTE_PGM_RSRC3_GFX90A:ACCUM_OFFSET: 0
; COMPUTE_PGM_RSRC3_GFX90A:TG_SPLIT: 0
	.section	.text._ZN7rocprim17ROCPRIM_400000_NS6detail17trampoline_kernelINS0_14default_configENS1_25partition_config_selectorILNS1_17partition_subalgoE1EyNS0_10empty_typeEbEEZZNS1_14partition_implILS5_1ELb0ES3_jN6thrust23THRUST_200600_302600_NS6detail15normal_iteratorINSA_10device_ptrIyEEEEPS6_NSA_18transform_iteratorI7is_evenIyESF_NSA_11use_defaultESK_EENS0_5tupleIJNSA_16discard_iteratorISK_EESO_EEENSM_IJSG_SG_EEES6_PlJS6_EEE10hipError_tPvRmT3_T4_T5_T6_T7_T9_mT8_P12ihipStream_tbDpT10_ENKUlT_T0_E_clISt17integral_constantIbLb1EES1B_EEDaS16_S17_EUlS16_E_NS1_11comp_targetILNS1_3genE0ELNS1_11target_archE4294967295ELNS1_3gpuE0ELNS1_3repE0EEENS1_30default_config_static_selectorELNS0_4arch9wavefront6targetE1EEEvT1_,"axG",@progbits,_ZN7rocprim17ROCPRIM_400000_NS6detail17trampoline_kernelINS0_14default_configENS1_25partition_config_selectorILNS1_17partition_subalgoE1EyNS0_10empty_typeEbEEZZNS1_14partition_implILS5_1ELb0ES3_jN6thrust23THRUST_200600_302600_NS6detail15normal_iteratorINSA_10device_ptrIyEEEEPS6_NSA_18transform_iteratorI7is_evenIyESF_NSA_11use_defaultESK_EENS0_5tupleIJNSA_16discard_iteratorISK_EESO_EEENSM_IJSG_SG_EEES6_PlJS6_EEE10hipError_tPvRmT3_T4_T5_T6_T7_T9_mT8_P12ihipStream_tbDpT10_ENKUlT_T0_E_clISt17integral_constantIbLb1EES1B_EEDaS16_S17_EUlS16_E_NS1_11comp_targetILNS1_3genE0ELNS1_11target_archE4294967295ELNS1_3gpuE0ELNS1_3repE0EEENS1_30default_config_static_selectorELNS0_4arch9wavefront6targetE1EEEvT1_,comdat
	.protected	_ZN7rocprim17ROCPRIM_400000_NS6detail17trampoline_kernelINS0_14default_configENS1_25partition_config_selectorILNS1_17partition_subalgoE1EyNS0_10empty_typeEbEEZZNS1_14partition_implILS5_1ELb0ES3_jN6thrust23THRUST_200600_302600_NS6detail15normal_iteratorINSA_10device_ptrIyEEEEPS6_NSA_18transform_iteratorI7is_evenIyESF_NSA_11use_defaultESK_EENS0_5tupleIJNSA_16discard_iteratorISK_EESO_EEENSM_IJSG_SG_EEES6_PlJS6_EEE10hipError_tPvRmT3_T4_T5_T6_T7_T9_mT8_P12ihipStream_tbDpT10_ENKUlT_T0_E_clISt17integral_constantIbLb1EES1B_EEDaS16_S17_EUlS16_E_NS1_11comp_targetILNS1_3genE0ELNS1_11target_archE4294967295ELNS1_3gpuE0ELNS1_3repE0EEENS1_30default_config_static_selectorELNS0_4arch9wavefront6targetE1EEEvT1_ ; -- Begin function _ZN7rocprim17ROCPRIM_400000_NS6detail17trampoline_kernelINS0_14default_configENS1_25partition_config_selectorILNS1_17partition_subalgoE1EyNS0_10empty_typeEbEEZZNS1_14partition_implILS5_1ELb0ES3_jN6thrust23THRUST_200600_302600_NS6detail15normal_iteratorINSA_10device_ptrIyEEEEPS6_NSA_18transform_iteratorI7is_evenIyESF_NSA_11use_defaultESK_EENS0_5tupleIJNSA_16discard_iteratorISK_EESO_EEENSM_IJSG_SG_EEES6_PlJS6_EEE10hipError_tPvRmT3_T4_T5_T6_T7_T9_mT8_P12ihipStream_tbDpT10_ENKUlT_T0_E_clISt17integral_constantIbLb1EES1B_EEDaS16_S17_EUlS16_E_NS1_11comp_targetILNS1_3genE0ELNS1_11target_archE4294967295ELNS1_3gpuE0ELNS1_3repE0EEENS1_30default_config_static_selectorELNS0_4arch9wavefront6targetE1EEEvT1_
	.globl	_ZN7rocprim17ROCPRIM_400000_NS6detail17trampoline_kernelINS0_14default_configENS1_25partition_config_selectorILNS1_17partition_subalgoE1EyNS0_10empty_typeEbEEZZNS1_14partition_implILS5_1ELb0ES3_jN6thrust23THRUST_200600_302600_NS6detail15normal_iteratorINSA_10device_ptrIyEEEEPS6_NSA_18transform_iteratorI7is_evenIyESF_NSA_11use_defaultESK_EENS0_5tupleIJNSA_16discard_iteratorISK_EESO_EEENSM_IJSG_SG_EEES6_PlJS6_EEE10hipError_tPvRmT3_T4_T5_T6_T7_T9_mT8_P12ihipStream_tbDpT10_ENKUlT_T0_E_clISt17integral_constantIbLb1EES1B_EEDaS16_S17_EUlS16_E_NS1_11comp_targetILNS1_3genE0ELNS1_11target_archE4294967295ELNS1_3gpuE0ELNS1_3repE0EEENS1_30default_config_static_selectorELNS0_4arch9wavefront6targetE1EEEvT1_
	.p2align	8
	.type	_ZN7rocprim17ROCPRIM_400000_NS6detail17trampoline_kernelINS0_14default_configENS1_25partition_config_selectorILNS1_17partition_subalgoE1EyNS0_10empty_typeEbEEZZNS1_14partition_implILS5_1ELb0ES3_jN6thrust23THRUST_200600_302600_NS6detail15normal_iteratorINSA_10device_ptrIyEEEEPS6_NSA_18transform_iteratorI7is_evenIyESF_NSA_11use_defaultESK_EENS0_5tupleIJNSA_16discard_iteratorISK_EESO_EEENSM_IJSG_SG_EEES6_PlJS6_EEE10hipError_tPvRmT3_T4_T5_T6_T7_T9_mT8_P12ihipStream_tbDpT10_ENKUlT_T0_E_clISt17integral_constantIbLb1EES1B_EEDaS16_S17_EUlS16_E_NS1_11comp_targetILNS1_3genE0ELNS1_11target_archE4294967295ELNS1_3gpuE0ELNS1_3repE0EEENS1_30default_config_static_selectorELNS0_4arch9wavefront6targetE1EEEvT1_,@function
_ZN7rocprim17ROCPRIM_400000_NS6detail17trampoline_kernelINS0_14default_configENS1_25partition_config_selectorILNS1_17partition_subalgoE1EyNS0_10empty_typeEbEEZZNS1_14partition_implILS5_1ELb0ES3_jN6thrust23THRUST_200600_302600_NS6detail15normal_iteratorINSA_10device_ptrIyEEEEPS6_NSA_18transform_iteratorI7is_evenIyESF_NSA_11use_defaultESK_EENS0_5tupleIJNSA_16discard_iteratorISK_EESO_EEENSM_IJSG_SG_EEES6_PlJS6_EEE10hipError_tPvRmT3_T4_T5_T6_T7_T9_mT8_P12ihipStream_tbDpT10_ENKUlT_T0_E_clISt17integral_constantIbLb1EES1B_EEDaS16_S17_EUlS16_E_NS1_11comp_targetILNS1_3genE0ELNS1_11target_archE4294967295ELNS1_3gpuE0ELNS1_3repE0EEENS1_30default_config_static_selectorELNS0_4arch9wavefront6targetE1EEEvT1_: ; @_ZN7rocprim17ROCPRIM_400000_NS6detail17trampoline_kernelINS0_14default_configENS1_25partition_config_selectorILNS1_17partition_subalgoE1EyNS0_10empty_typeEbEEZZNS1_14partition_implILS5_1ELb0ES3_jN6thrust23THRUST_200600_302600_NS6detail15normal_iteratorINSA_10device_ptrIyEEEEPS6_NSA_18transform_iteratorI7is_evenIyESF_NSA_11use_defaultESK_EENS0_5tupleIJNSA_16discard_iteratorISK_EESO_EEENSM_IJSG_SG_EEES6_PlJS6_EEE10hipError_tPvRmT3_T4_T5_T6_T7_T9_mT8_P12ihipStream_tbDpT10_ENKUlT_T0_E_clISt17integral_constantIbLb1EES1B_EEDaS16_S17_EUlS16_E_NS1_11comp_targetILNS1_3genE0ELNS1_11target_archE4294967295ELNS1_3gpuE0ELNS1_3repE0EEENS1_30default_config_static_selectorELNS0_4arch9wavefront6targetE1EEEvT1_
; %bb.0:
	.section	.rodata,"a",@progbits
	.p2align	6, 0x0
	.amdhsa_kernel _ZN7rocprim17ROCPRIM_400000_NS6detail17trampoline_kernelINS0_14default_configENS1_25partition_config_selectorILNS1_17partition_subalgoE1EyNS0_10empty_typeEbEEZZNS1_14partition_implILS5_1ELb0ES3_jN6thrust23THRUST_200600_302600_NS6detail15normal_iteratorINSA_10device_ptrIyEEEEPS6_NSA_18transform_iteratorI7is_evenIyESF_NSA_11use_defaultESK_EENS0_5tupleIJNSA_16discard_iteratorISK_EESO_EEENSM_IJSG_SG_EEES6_PlJS6_EEE10hipError_tPvRmT3_T4_T5_T6_T7_T9_mT8_P12ihipStream_tbDpT10_ENKUlT_T0_E_clISt17integral_constantIbLb1EES1B_EEDaS16_S17_EUlS16_E_NS1_11comp_targetILNS1_3genE0ELNS1_11target_archE4294967295ELNS1_3gpuE0ELNS1_3repE0EEENS1_30default_config_static_selectorELNS0_4arch9wavefront6targetE1EEEvT1_
		.amdhsa_group_segment_fixed_size 0
		.amdhsa_private_segment_fixed_size 0
		.amdhsa_kernarg_size 160
		.amdhsa_user_sgpr_count 2
		.amdhsa_user_sgpr_dispatch_ptr 0
		.amdhsa_user_sgpr_queue_ptr 0
		.amdhsa_user_sgpr_kernarg_segment_ptr 1
		.amdhsa_user_sgpr_dispatch_id 0
		.amdhsa_user_sgpr_kernarg_preload_length 0
		.amdhsa_user_sgpr_kernarg_preload_offset 0
		.amdhsa_user_sgpr_private_segment_size 0
		.amdhsa_uses_dynamic_stack 0
		.amdhsa_enable_private_segment 0
		.amdhsa_system_sgpr_workgroup_id_x 1
		.amdhsa_system_sgpr_workgroup_id_y 0
		.amdhsa_system_sgpr_workgroup_id_z 0
		.amdhsa_system_sgpr_workgroup_info 0
		.amdhsa_system_vgpr_workitem_id 0
		.amdhsa_next_free_vgpr 1
		.amdhsa_next_free_sgpr 0
		.amdhsa_accum_offset 4
		.amdhsa_reserve_vcc 0
		.amdhsa_float_round_mode_32 0
		.amdhsa_float_round_mode_16_64 0
		.amdhsa_float_denorm_mode_32 3
		.amdhsa_float_denorm_mode_16_64 3
		.amdhsa_dx10_clamp 1
		.amdhsa_ieee_mode 1
		.amdhsa_fp16_overflow 0
		.amdhsa_tg_split 0
		.amdhsa_exception_fp_ieee_invalid_op 0
		.amdhsa_exception_fp_denorm_src 0
		.amdhsa_exception_fp_ieee_div_zero 0
		.amdhsa_exception_fp_ieee_overflow 0
		.amdhsa_exception_fp_ieee_underflow 0
		.amdhsa_exception_fp_ieee_inexact 0
		.amdhsa_exception_int_div_zero 0
	.end_amdhsa_kernel
	.section	.text._ZN7rocprim17ROCPRIM_400000_NS6detail17trampoline_kernelINS0_14default_configENS1_25partition_config_selectorILNS1_17partition_subalgoE1EyNS0_10empty_typeEbEEZZNS1_14partition_implILS5_1ELb0ES3_jN6thrust23THRUST_200600_302600_NS6detail15normal_iteratorINSA_10device_ptrIyEEEEPS6_NSA_18transform_iteratorI7is_evenIyESF_NSA_11use_defaultESK_EENS0_5tupleIJNSA_16discard_iteratorISK_EESO_EEENSM_IJSG_SG_EEES6_PlJS6_EEE10hipError_tPvRmT3_T4_T5_T6_T7_T9_mT8_P12ihipStream_tbDpT10_ENKUlT_T0_E_clISt17integral_constantIbLb1EES1B_EEDaS16_S17_EUlS16_E_NS1_11comp_targetILNS1_3genE0ELNS1_11target_archE4294967295ELNS1_3gpuE0ELNS1_3repE0EEENS1_30default_config_static_selectorELNS0_4arch9wavefront6targetE1EEEvT1_,"axG",@progbits,_ZN7rocprim17ROCPRIM_400000_NS6detail17trampoline_kernelINS0_14default_configENS1_25partition_config_selectorILNS1_17partition_subalgoE1EyNS0_10empty_typeEbEEZZNS1_14partition_implILS5_1ELb0ES3_jN6thrust23THRUST_200600_302600_NS6detail15normal_iteratorINSA_10device_ptrIyEEEEPS6_NSA_18transform_iteratorI7is_evenIyESF_NSA_11use_defaultESK_EENS0_5tupleIJNSA_16discard_iteratorISK_EESO_EEENSM_IJSG_SG_EEES6_PlJS6_EEE10hipError_tPvRmT3_T4_T5_T6_T7_T9_mT8_P12ihipStream_tbDpT10_ENKUlT_T0_E_clISt17integral_constantIbLb1EES1B_EEDaS16_S17_EUlS16_E_NS1_11comp_targetILNS1_3genE0ELNS1_11target_archE4294967295ELNS1_3gpuE0ELNS1_3repE0EEENS1_30default_config_static_selectorELNS0_4arch9wavefront6targetE1EEEvT1_,comdat
.Lfunc_end2883:
	.size	_ZN7rocprim17ROCPRIM_400000_NS6detail17trampoline_kernelINS0_14default_configENS1_25partition_config_selectorILNS1_17partition_subalgoE1EyNS0_10empty_typeEbEEZZNS1_14partition_implILS5_1ELb0ES3_jN6thrust23THRUST_200600_302600_NS6detail15normal_iteratorINSA_10device_ptrIyEEEEPS6_NSA_18transform_iteratorI7is_evenIyESF_NSA_11use_defaultESK_EENS0_5tupleIJNSA_16discard_iteratorISK_EESO_EEENSM_IJSG_SG_EEES6_PlJS6_EEE10hipError_tPvRmT3_T4_T5_T6_T7_T9_mT8_P12ihipStream_tbDpT10_ENKUlT_T0_E_clISt17integral_constantIbLb1EES1B_EEDaS16_S17_EUlS16_E_NS1_11comp_targetILNS1_3genE0ELNS1_11target_archE4294967295ELNS1_3gpuE0ELNS1_3repE0EEENS1_30default_config_static_selectorELNS0_4arch9wavefront6targetE1EEEvT1_, .Lfunc_end2883-_ZN7rocprim17ROCPRIM_400000_NS6detail17trampoline_kernelINS0_14default_configENS1_25partition_config_selectorILNS1_17partition_subalgoE1EyNS0_10empty_typeEbEEZZNS1_14partition_implILS5_1ELb0ES3_jN6thrust23THRUST_200600_302600_NS6detail15normal_iteratorINSA_10device_ptrIyEEEEPS6_NSA_18transform_iteratorI7is_evenIyESF_NSA_11use_defaultESK_EENS0_5tupleIJNSA_16discard_iteratorISK_EESO_EEENSM_IJSG_SG_EEES6_PlJS6_EEE10hipError_tPvRmT3_T4_T5_T6_T7_T9_mT8_P12ihipStream_tbDpT10_ENKUlT_T0_E_clISt17integral_constantIbLb1EES1B_EEDaS16_S17_EUlS16_E_NS1_11comp_targetILNS1_3genE0ELNS1_11target_archE4294967295ELNS1_3gpuE0ELNS1_3repE0EEENS1_30default_config_static_selectorELNS0_4arch9wavefront6targetE1EEEvT1_
                                        ; -- End function
	.section	.AMDGPU.csdata,"",@progbits
; Kernel info:
; codeLenInByte = 0
; NumSgprs: 6
; NumVgprs: 0
; NumAgprs: 0
; TotalNumVgprs: 0
; ScratchSize: 0
; MemoryBound: 0
; FloatMode: 240
; IeeeMode: 1
; LDSByteSize: 0 bytes/workgroup (compile time only)
; SGPRBlocks: 0
; VGPRBlocks: 0
; NumSGPRsForWavesPerEU: 6
; NumVGPRsForWavesPerEU: 1
; AccumOffset: 4
; Occupancy: 8
; WaveLimiterHint : 0
; COMPUTE_PGM_RSRC2:SCRATCH_EN: 0
; COMPUTE_PGM_RSRC2:USER_SGPR: 2
; COMPUTE_PGM_RSRC2:TRAP_HANDLER: 0
; COMPUTE_PGM_RSRC2:TGID_X_EN: 1
; COMPUTE_PGM_RSRC2:TGID_Y_EN: 0
; COMPUTE_PGM_RSRC2:TGID_Z_EN: 0
; COMPUTE_PGM_RSRC2:TIDIG_COMP_CNT: 0
; COMPUTE_PGM_RSRC3_GFX90A:ACCUM_OFFSET: 0
; COMPUTE_PGM_RSRC3_GFX90A:TG_SPLIT: 0
	.section	.text._ZN7rocprim17ROCPRIM_400000_NS6detail17trampoline_kernelINS0_14default_configENS1_25partition_config_selectorILNS1_17partition_subalgoE1EyNS0_10empty_typeEbEEZZNS1_14partition_implILS5_1ELb0ES3_jN6thrust23THRUST_200600_302600_NS6detail15normal_iteratorINSA_10device_ptrIyEEEEPS6_NSA_18transform_iteratorI7is_evenIyESF_NSA_11use_defaultESK_EENS0_5tupleIJNSA_16discard_iteratorISK_EESO_EEENSM_IJSG_SG_EEES6_PlJS6_EEE10hipError_tPvRmT3_T4_T5_T6_T7_T9_mT8_P12ihipStream_tbDpT10_ENKUlT_T0_E_clISt17integral_constantIbLb1EES1B_EEDaS16_S17_EUlS16_E_NS1_11comp_targetILNS1_3genE5ELNS1_11target_archE942ELNS1_3gpuE9ELNS1_3repE0EEENS1_30default_config_static_selectorELNS0_4arch9wavefront6targetE1EEEvT1_,"axG",@progbits,_ZN7rocprim17ROCPRIM_400000_NS6detail17trampoline_kernelINS0_14default_configENS1_25partition_config_selectorILNS1_17partition_subalgoE1EyNS0_10empty_typeEbEEZZNS1_14partition_implILS5_1ELb0ES3_jN6thrust23THRUST_200600_302600_NS6detail15normal_iteratorINSA_10device_ptrIyEEEEPS6_NSA_18transform_iteratorI7is_evenIyESF_NSA_11use_defaultESK_EENS0_5tupleIJNSA_16discard_iteratorISK_EESO_EEENSM_IJSG_SG_EEES6_PlJS6_EEE10hipError_tPvRmT3_T4_T5_T6_T7_T9_mT8_P12ihipStream_tbDpT10_ENKUlT_T0_E_clISt17integral_constantIbLb1EES1B_EEDaS16_S17_EUlS16_E_NS1_11comp_targetILNS1_3genE5ELNS1_11target_archE942ELNS1_3gpuE9ELNS1_3repE0EEENS1_30default_config_static_selectorELNS0_4arch9wavefront6targetE1EEEvT1_,comdat
	.protected	_ZN7rocprim17ROCPRIM_400000_NS6detail17trampoline_kernelINS0_14default_configENS1_25partition_config_selectorILNS1_17partition_subalgoE1EyNS0_10empty_typeEbEEZZNS1_14partition_implILS5_1ELb0ES3_jN6thrust23THRUST_200600_302600_NS6detail15normal_iteratorINSA_10device_ptrIyEEEEPS6_NSA_18transform_iteratorI7is_evenIyESF_NSA_11use_defaultESK_EENS0_5tupleIJNSA_16discard_iteratorISK_EESO_EEENSM_IJSG_SG_EEES6_PlJS6_EEE10hipError_tPvRmT3_T4_T5_T6_T7_T9_mT8_P12ihipStream_tbDpT10_ENKUlT_T0_E_clISt17integral_constantIbLb1EES1B_EEDaS16_S17_EUlS16_E_NS1_11comp_targetILNS1_3genE5ELNS1_11target_archE942ELNS1_3gpuE9ELNS1_3repE0EEENS1_30default_config_static_selectorELNS0_4arch9wavefront6targetE1EEEvT1_ ; -- Begin function _ZN7rocprim17ROCPRIM_400000_NS6detail17trampoline_kernelINS0_14default_configENS1_25partition_config_selectorILNS1_17partition_subalgoE1EyNS0_10empty_typeEbEEZZNS1_14partition_implILS5_1ELb0ES3_jN6thrust23THRUST_200600_302600_NS6detail15normal_iteratorINSA_10device_ptrIyEEEEPS6_NSA_18transform_iteratorI7is_evenIyESF_NSA_11use_defaultESK_EENS0_5tupleIJNSA_16discard_iteratorISK_EESO_EEENSM_IJSG_SG_EEES6_PlJS6_EEE10hipError_tPvRmT3_T4_T5_T6_T7_T9_mT8_P12ihipStream_tbDpT10_ENKUlT_T0_E_clISt17integral_constantIbLb1EES1B_EEDaS16_S17_EUlS16_E_NS1_11comp_targetILNS1_3genE5ELNS1_11target_archE942ELNS1_3gpuE9ELNS1_3repE0EEENS1_30default_config_static_selectorELNS0_4arch9wavefront6targetE1EEEvT1_
	.globl	_ZN7rocprim17ROCPRIM_400000_NS6detail17trampoline_kernelINS0_14default_configENS1_25partition_config_selectorILNS1_17partition_subalgoE1EyNS0_10empty_typeEbEEZZNS1_14partition_implILS5_1ELb0ES3_jN6thrust23THRUST_200600_302600_NS6detail15normal_iteratorINSA_10device_ptrIyEEEEPS6_NSA_18transform_iteratorI7is_evenIyESF_NSA_11use_defaultESK_EENS0_5tupleIJNSA_16discard_iteratorISK_EESO_EEENSM_IJSG_SG_EEES6_PlJS6_EEE10hipError_tPvRmT3_T4_T5_T6_T7_T9_mT8_P12ihipStream_tbDpT10_ENKUlT_T0_E_clISt17integral_constantIbLb1EES1B_EEDaS16_S17_EUlS16_E_NS1_11comp_targetILNS1_3genE5ELNS1_11target_archE942ELNS1_3gpuE9ELNS1_3repE0EEENS1_30default_config_static_selectorELNS0_4arch9wavefront6targetE1EEEvT1_
	.p2align	8
	.type	_ZN7rocprim17ROCPRIM_400000_NS6detail17trampoline_kernelINS0_14default_configENS1_25partition_config_selectorILNS1_17partition_subalgoE1EyNS0_10empty_typeEbEEZZNS1_14partition_implILS5_1ELb0ES3_jN6thrust23THRUST_200600_302600_NS6detail15normal_iteratorINSA_10device_ptrIyEEEEPS6_NSA_18transform_iteratorI7is_evenIyESF_NSA_11use_defaultESK_EENS0_5tupleIJNSA_16discard_iteratorISK_EESO_EEENSM_IJSG_SG_EEES6_PlJS6_EEE10hipError_tPvRmT3_T4_T5_T6_T7_T9_mT8_P12ihipStream_tbDpT10_ENKUlT_T0_E_clISt17integral_constantIbLb1EES1B_EEDaS16_S17_EUlS16_E_NS1_11comp_targetILNS1_3genE5ELNS1_11target_archE942ELNS1_3gpuE9ELNS1_3repE0EEENS1_30default_config_static_selectorELNS0_4arch9wavefront6targetE1EEEvT1_,@function
_ZN7rocprim17ROCPRIM_400000_NS6detail17trampoline_kernelINS0_14default_configENS1_25partition_config_selectorILNS1_17partition_subalgoE1EyNS0_10empty_typeEbEEZZNS1_14partition_implILS5_1ELb0ES3_jN6thrust23THRUST_200600_302600_NS6detail15normal_iteratorINSA_10device_ptrIyEEEEPS6_NSA_18transform_iteratorI7is_evenIyESF_NSA_11use_defaultESK_EENS0_5tupleIJNSA_16discard_iteratorISK_EESO_EEENSM_IJSG_SG_EEES6_PlJS6_EEE10hipError_tPvRmT3_T4_T5_T6_T7_T9_mT8_P12ihipStream_tbDpT10_ENKUlT_T0_E_clISt17integral_constantIbLb1EES1B_EEDaS16_S17_EUlS16_E_NS1_11comp_targetILNS1_3genE5ELNS1_11target_archE942ELNS1_3gpuE9ELNS1_3repE0EEENS1_30default_config_static_selectorELNS0_4arch9wavefront6targetE1EEEvT1_: ; @_ZN7rocprim17ROCPRIM_400000_NS6detail17trampoline_kernelINS0_14default_configENS1_25partition_config_selectorILNS1_17partition_subalgoE1EyNS0_10empty_typeEbEEZZNS1_14partition_implILS5_1ELb0ES3_jN6thrust23THRUST_200600_302600_NS6detail15normal_iteratorINSA_10device_ptrIyEEEEPS6_NSA_18transform_iteratorI7is_evenIyESF_NSA_11use_defaultESK_EENS0_5tupleIJNSA_16discard_iteratorISK_EESO_EEENSM_IJSG_SG_EEES6_PlJS6_EEE10hipError_tPvRmT3_T4_T5_T6_T7_T9_mT8_P12ihipStream_tbDpT10_ENKUlT_T0_E_clISt17integral_constantIbLb1EES1B_EEDaS16_S17_EUlS16_E_NS1_11comp_targetILNS1_3genE5ELNS1_11target_archE942ELNS1_3gpuE9ELNS1_3repE0EEENS1_30default_config_static_selectorELNS0_4arch9wavefront6targetE1EEEvT1_
; %bb.0:
	s_load_dwordx2 s[2:3], s[0:1], 0x20
	s_load_dwordx4 s[20:23], s[0:1], 0x60
	s_load_dwordx2 s[10:11], s[0:1], 0x70
	s_load_dwordx2 s[24:25], s[0:1], 0x80
	v_cmp_eq_u32_e64 s[18:19], 0, v0
	s_and_saveexec_b64 s[4:5], s[18:19]
	s_cbranch_execz .LBB2884_4
; %bb.1:
	s_mov_b64 s[8:9], exec
	v_mbcnt_lo_u32_b32 v1, s8, 0
	v_mbcnt_hi_u32_b32 v1, s9, v1
	v_cmp_eq_u32_e32 vcc, 0, v1
                                        ; implicit-def: $vgpr2
	s_and_saveexec_b64 s[6:7], vcc
	s_cbranch_execz .LBB2884_3
; %bb.2:
	s_load_dwordx2 s[12:13], s[0:1], 0x90
	s_bcnt1_i32_b64 s8, s[8:9]
	v_mov_b32_e32 v2, 0
	v_mov_b32_e32 v3, s8
	s_waitcnt lgkmcnt(0)
	global_atomic_add v2, v2, v3, s[12:13] sc0
.LBB2884_3:
	s_or_b64 exec, exec, s[6:7]
	s_waitcnt vmcnt(0)
	v_readfirstlane_b32 s6, v2
	v_mov_b32_e32 v2, 0
	s_nop 0
	v_add_u32_e32 v1, s6, v1
	ds_write_b32 v2, v1
.LBB2884_4:
	s_or_b64 exec, exec, s[4:5]
	v_mov_b32_e32 v3, 0
	s_load_dwordx4 s[4:7], s[0:1], 0x8
	s_load_dword s12, s[0:1], 0x88
	s_waitcnt lgkmcnt(0)
	s_barrier
	ds_read_b32 v1, v3
	s_waitcnt lgkmcnt(0)
	s_barrier
	global_load_dwordx2 v[18:19], v3, s[22:23]
	s_lshl_b64 s[8:9], s[6:7], 3
	v_mov_b32_e32 v5, s11
	s_add_u32 s11, s4, s8
	s_mul_i32 s4, s12, 0xe00
	s_addc_u32 s13, s5, s9
	s_add_i32 s1, s4, s6
	s_sub_i32 s14, s10, s1
	s_add_i32 s15, s12, -1
	s_addk_i32 s14, 0xe00
	s_add_u32 s4, s6, s4
	v_readfirstlane_b32 s30, v1
	s_addc_u32 s5, s7, 0
	s_cmp_eq_u32 s30, s15
	v_mov_b32_e32 v4, s10
	s_cselect_b64 s[22:23], -1, 0
	s_cmp_lg_u32 s30, s15
	s_mul_i32 s0, s30, 0xe00
	s_mov_b32 s1, 0
	v_cmp_lt_u64_e32 vcc, s[4:5], v[4:5]
	s_cselect_b64 s[4:5], -1, 0
	s_or_b64 s[4:5], vcc, s[4:5]
	s_lshl_b64 s[6:7], s[0:1], 3
	s_add_u32 s10, s11, s6
	s_addc_u32 s11, s13, s7
	s_mov_b64 s[0:1], -1
	s_and_b64 vcc, exec, s[4:5]
	s_cbranch_vccz .LBB2884_6
; %bb.5:
	v_lshlrev_b32_e32 v2, 3, v0
	v_lshl_add_u64 v[4:5], s[10:11], 0, v[2:3]
	v_add_co_u32_e32 v6, vcc, 0x1000, v4
	s_mov_b64 s[0:1], 0
	s_nop 0
	v_addc_co_u32_e32 v7, vcc, 0, v5, vcc
	v_add_co_u32_e32 v8, vcc, 0x2000, v4
	s_nop 1
	v_addc_co_u32_e32 v9, vcc, 0, v5, vcc
	v_add_co_u32_e32 v10, vcc, 0x3000, v4
	s_nop 1
	v_addc_co_u32_e32 v11, vcc, 0, v5, vcc
	flat_load_dwordx2 v[12:13], v[4:5]
	flat_load_dwordx2 v[14:15], v[6:7]
	;; [unrolled: 1-line block ×4, first 2 shown]
	v_add_co_u32_e32 v6, vcc, 0x4000, v4
	s_nop 1
	v_addc_co_u32_e32 v7, vcc, 0, v5, vcc
	v_add_co_u32_e32 v8, vcc, 0x5000, v4
	s_nop 1
	v_addc_co_u32_e32 v9, vcc, 0, v5, vcc
	;; [unrolled: 3-line block ×3, first 2 shown]
	flat_load_dwordx2 v[10:11], v[6:7]
	flat_load_dwordx2 v[22:23], v[8:9]
	;; [unrolled: 1-line block ×3, first 2 shown]
	s_waitcnt vmcnt(0) lgkmcnt(0)
	ds_write2st64_b64 v2, v[12:13], v[14:15] offset1:8
	ds_write2st64_b64 v2, v[16:17], v[20:21] offset0:16 offset1:24
	ds_write2st64_b64 v2, v[10:11], v[22:23] offset0:32 offset1:40
	ds_write_b64 v2, v[24:25] offset:24576
	s_waitcnt lgkmcnt(0)
	s_barrier
.LBB2884_6:
	s_andn2_b64 vcc, exec, s[0:1]
	v_cmp_gt_u32_e64 s[0:1], s14, v0
	s_cbranch_vccnz .LBB2884_22
; %bb.7:
                                        ; implicit-def: $vgpr2_vgpr3_vgpr4_vgpr5_vgpr6_vgpr7_vgpr8_vgpr9_vgpr10_vgpr11_vgpr12_vgpr13_vgpr14_vgpr15_vgpr16_vgpr17
	s_and_saveexec_b64 s[12:13], s[0:1]
	s_cbranch_execz .LBB2884_9
; %bb.8:
	v_lshlrev_b32_e32 v2, 3, v0
	v_mov_b32_e32 v3, 0
	v_lshl_add_u64 v[2:3], s[10:11], 0, v[2:3]
	flat_load_dwordx2 v[2:3], v[2:3]
.LBB2884_9:
	s_or_b64 exec, exec, s[12:13]
	v_or_b32_e32 v1, 0x200, v0
	v_cmp_gt_u32_e32 vcc, s14, v1
	s_and_saveexec_b64 s[0:1], vcc
	s_cbranch_execz .LBB2884_11
; %bb.10:
	v_lshlrev_b32_e32 v4, 3, v1
	v_mov_b32_e32 v5, 0
	v_lshl_add_u64 v[4:5], s[10:11], 0, v[4:5]
	flat_load_dwordx2 v[4:5], v[4:5]
.LBB2884_11:
	s_or_b64 exec, exec, s[0:1]
	v_or_b32_e32 v1, 0x400, v0
	v_cmp_gt_u32_e32 vcc, s14, v1
	s_and_saveexec_b64 s[0:1], vcc
	;; [unrolled: 11-line block ×6, first 2 shown]
	s_cbranch_execz .LBB2884_21
; %bb.20:
	v_lshlrev_b32_e32 v14, 3, v1
	v_mov_b32_e32 v15, 0
	v_lshl_add_u64 v[14:15], s[10:11], 0, v[14:15]
	flat_load_dwordx2 v[14:15], v[14:15]
.LBB2884_21:
	s_or_b64 exec, exec, s[0:1]
	v_lshlrev_b32_e32 v1, 3, v0
	s_waitcnt vmcnt(0) lgkmcnt(0)
	ds_write2st64_b64 v1, v[2:3], v[4:5] offset1:8
	ds_write2st64_b64 v1, v[6:7], v[8:9] offset0:16 offset1:24
	ds_write2st64_b64 v1, v[10:11], v[12:13] offset0:32 offset1:40
	ds_write_b64 v1, v[14:15] offset:24576
	s_waitcnt lgkmcnt(0)
	s_barrier
.LBB2884_22:
	v_mul_u32_u24_e32 v1, 7, v0
	v_lshlrev_b32_e32 v16, 3, v1
	ds_read2_b64 v[10:13], v16 offset1:1
	ds_read2_b64 v[6:9], v16 offset0:2 offset1:3
	ds_read2_b64 v[2:5], v16 offset0:4 offset1:5
	ds_read_b64 v[14:15], v16 offset:48
	s_add_u32 s0, s2, s8
	s_addc_u32 s1, s3, s9
	s_add_u32 s0, s0, s6
	s_addc_u32 s1, s1, s7
	s_mov_b64 s[2:3], -1
	s_and_b64 vcc, exec, s[4:5]
	s_waitcnt lgkmcnt(0)
	s_barrier
	s_cbranch_vccz .LBB2884_24
; %bb.23:
	v_lshlrev_b32_e32 v20, 3, v0
	v_mov_b32_e32 v21, 0
	v_lshl_add_u64 v[22:23], s[0:1], 0, v[20:21]
	v_add_co_u32_e32 v24, vcc, 0x1000, v22
	global_load_dwordx2 v[20:21], v20, s[0:1]
	s_nop 0
	v_addc_co_u32_e32 v25, vcc, 0, v23, vcc
	v_add_co_u32_e32 v26, vcc, 0x2000, v22
	s_mov_b64 s[2:3], 0
	s_nop 0
	v_addc_co_u32_e32 v27, vcc, 0, v23, vcc
	v_add_co_u32_e32 v28, vcc, 0x3000, v22
	s_waitcnt vmcnt(0)
	v_xor_b32_e32 v17, -1, v20
	v_addc_co_u32_e32 v29, vcc, 0, v23, vcc
	v_add_co_u32_e32 v30, vcc, 0x4000, v22
	v_and_b32_e32 v17, 1, v17
	s_nop 0
	v_addc_co_u32_e32 v31, vcc, 0, v23, vcc
	global_load_dwordx2 v[32:33], v[24:25], off
	global_load_dwordx2 v[34:35], v[26:27], off
	;; [unrolled: 1-line block ×4, first 2 shown]
	v_add_co_u32_e32 v24, vcc, 0x5000, v22
	ds_write_b8 v0, v17
	s_nop 0
	v_addc_co_u32_e32 v25, vcc, 0, v23, vcc
	v_add_co_u32_e32 v22, vcc, 0x6000, v22
	global_load_dwordx2 v[24:25], v[24:25], off
	s_nop 0
	v_addc_co_u32_e32 v23, vcc, 0, v23, vcc
	global_load_dwordx2 v[22:23], v[22:23], off
	s_waitcnt vmcnt(5)
	v_xor_b32_e32 v17, -1, v32
	v_and_b32_e32 v17, 1, v17
	s_waitcnt vmcnt(4)
	v_xor_b32_e32 v20, -1, v34
	s_waitcnt vmcnt(3)
	v_xor_b32_e32 v21, -1, v36
	v_and_b32_e32 v20, 1, v20
	ds_write_b8 v0, v17 offset:512
	v_and_b32_e32 v17, 1, v21
	s_waitcnt vmcnt(2)
	v_xor_b32_e32 v21, -1, v38
	ds_write_b8 v0, v20 offset:1024
	v_and_b32_e32 v20, 1, v21
	ds_write_b8 v0, v17 offset:1536
	s_waitcnt vmcnt(1)
	v_xor_b32_e32 v21, -1, v24
	v_and_b32_e32 v17, 1, v21
	ds_write_b8 v0, v20 offset:2048
	s_waitcnt vmcnt(0)
	v_xor_b32_e32 v21, -1, v22
	v_and_b32_e32 v20, 1, v21
	ds_write_b8 v0, v17 offset:2560
	ds_write_b8 v0, v20 offset:3072
	s_waitcnt lgkmcnt(0)
	s_barrier
.LBB2884_24:
	s_andn2_b64 vcc, exec, s[2:3]
	s_cbranch_vccnz .LBB2884_40
; %bb.25:
	v_cmp_gt_u32_e32 vcc, s14, v0
	v_mov_b32_e32 v17, 0
	v_mov_b32_e32 v20, 0
	s_and_saveexec_b64 s[2:3], vcc
	s_cbranch_execz .LBB2884_27
; %bb.26:
	v_lshlrev_b32_e32 v20, 3, v0
	global_load_dwordx2 v[20:21], v20, s[0:1]
	s_waitcnt vmcnt(0)
	v_xor_b32_e32 v20, -1, v20
	v_and_b32_e32 v20, 1, v20
.LBB2884_27:
	s_or_b64 exec, exec, s[2:3]
	v_or_b32_e32 v21, 0x200, v0
	v_cmp_gt_u32_e32 vcc, s14, v21
	s_and_saveexec_b64 s[2:3], vcc
	s_cbranch_execz .LBB2884_29
; %bb.28:
	v_lshlrev_b32_e32 v17, 3, v21
	global_load_dwordx2 v[22:23], v17, s[0:1]
	s_waitcnt vmcnt(0)
	v_xor_b32_e32 v17, -1, v22
	v_and_b32_e32 v17, 1, v17
.LBB2884_29:
	s_or_b64 exec, exec, s[2:3]
	v_or_b32_e32 v23, 0x400, v0
	v_cmp_gt_u32_e32 vcc, s14, v23
	v_mov_b32_e32 v21, 0
	v_mov_b32_e32 v22, 0
	s_and_saveexec_b64 s[2:3], vcc
	s_cbranch_execz .LBB2884_31
; %bb.30:
	v_lshlrev_b32_e32 v22, 3, v23
	global_load_dwordx2 v[22:23], v22, s[0:1]
	s_waitcnt vmcnt(0)
	v_xor_b32_e32 v22, -1, v22
	v_and_b32_e32 v22, 1, v22
.LBB2884_31:
	s_or_b64 exec, exec, s[2:3]
	v_or_b32_e32 v23, 0x600, v0
	v_cmp_gt_u32_e32 vcc, s14, v23
	s_and_saveexec_b64 s[2:3], vcc
	s_cbranch_execz .LBB2884_33
; %bb.32:
	v_lshlrev_b32_e32 v21, 3, v23
	global_load_dwordx2 v[24:25], v21, s[0:1]
	s_waitcnt vmcnt(0)
	v_xor_b32_e32 v21, -1, v24
	v_and_b32_e32 v21, 1, v21
.LBB2884_33:
	s_or_b64 exec, exec, s[2:3]
	v_or_b32_e32 v25, 0x800, v0
	;; [unrolled: 26-line block ×3, first 2 shown]
	v_cmp_gt_u32_e32 vcc, s14, v26
	v_mov_b32_e32 v25, 0
	s_and_saveexec_b64 s[2:3], vcc
	s_cbranch_execz .LBB2884_39
; %bb.38:
	v_lshlrev_b32_e32 v25, 3, v26
	global_load_dwordx2 v[26:27], v25, s[0:1]
	s_waitcnt vmcnt(0)
	v_xor_b32_e32 v25, -1, v26
	v_and_b32_e32 v25, 1, v25
.LBB2884_39:
	s_or_b64 exec, exec, s[2:3]
	ds_write_b8 v0, v20
	ds_write_b8 v0, v17 offset:512
	ds_write_b8 v0, v22 offset:1024
	;; [unrolled: 1-line block ×6, first 2 shown]
	s_waitcnt lgkmcnt(0)
	s_barrier
.LBB2884_40:
	s_movk_i32 s0, 0xffcf
	v_mad_i32_i24 v36, v0, s0, v16
	ds_read_u8 v16, v36
	ds_read_u8 v17, v36 offset:1
	ds_read_u8 v20, v36 offset:2
	;; [unrolled: 1-line block ×6, first 2 shown]
	s_waitcnt lgkmcnt(6)
	v_and_b32_e32 v34, 1, v16
	s_waitcnt lgkmcnt(5)
	v_and_b32_e32 v33, 1, v17
	s_waitcnt lgkmcnt(4)
	v_and_b32_e32 v32, 1, v20
	s_waitcnt lgkmcnt(3)
	v_and_b32_e32 v31, 1, v21
	s_waitcnt lgkmcnt(2)
	v_and_b32_e32 v30, 1, v22
	v_add3_u32 v16, v33, v34, v32
	s_waitcnt lgkmcnt(1)
	v_and_b32_e32 v29, 1, v23
	s_waitcnt lgkmcnt(0)
	v_and_b32_e32 v28, 1, v24
	v_add3_u32 v16, v16, v31, v30
	v_add3_u32 v38, v16, v29, v28
	v_mbcnt_lo_u32_b32 v16, -1, 0
	v_mbcnt_hi_u32_b32 v35, -1, v16
	v_and_b32_e32 v16, 15, v35
	v_cmp_eq_u32_e64 s[14:15], 0, v16
	v_cmp_lt_u32_e64 s[12:13], 1, v16
	v_cmp_lt_u32_e64 s[10:11], 3, v16
	;; [unrolled: 1-line block ×3, first 2 shown]
	v_and_b32_e32 v16, 16, v35
	v_cmp_eq_u32_e64 s[6:7], 0, v16
	v_or_b32_e32 v16, 63, v0
	s_cmp_lg_u32 s30, 0
	v_cmp_lt_u32_e64 s[2:3], 31, v35
	v_lshrrev_b32_e32 v37, 6, v0
	v_cmp_eq_u32_e64 s[4:5], v16, v0
	s_barrier
	s_cbranch_scc0 .LBB2884_71
; %bb.41:
	v_mov_b32_dpp v16, v38 row_shr:1 row_mask:0xf bank_mask:0xf
	v_cndmask_b32_e64 v16, v16, 0, s[14:15]
	v_add_u32_e32 v16, v16, v38
	s_nop 1
	v_mov_b32_dpp v17, v16 row_shr:2 row_mask:0xf bank_mask:0xf
	v_cndmask_b32_e64 v17, 0, v17, s[12:13]
	v_add_u32_e32 v16, v16, v17
	s_nop 1
	;; [unrolled: 4-line block ×4, first 2 shown]
	v_mov_b32_dpp v17, v16 row_bcast:15 row_mask:0xf bank_mask:0xf
	v_cndmask_b32_e64 v17, v17, 0, s[6:7]
	v_add_u32_e32 v16, v16, v17
	s_nop 1
	v_mov_b32_dpp v17, v16 row_bcast:31 row_mask:0xf bank_mask:0xf
	v_cndmask_b32_e64 v17, 0, v17, s[2:3]
	v_add_u32_e32 v16, v16, v17
	s_and_saveexec_b64 s[0:1], s[4:5]
	s_cbranch_execz .LBB2884_43
; %bb.42:
	v_lshlrev_b32_e32 v17, 2, v37
	ds_write_b32 v17, v16
.LBB2884_43:
	s_or_b64 exec, exec, s[0:1]
	v_cmp_gt_u32_e32 vcc, 8, v0
	s_waitcnt lgkmcnt(0)
	s_barrier
	s_and_saveexec_b64 s[0:1], vcc
	s_cbranch_execz .LBB2884_45
; %bb.44:
	v_lshlrev_b32_e32 v17, 2, v0
	ds_read_b32 v20, v17
	v_and_b32_e32 v21, 7, v35
	v_cmp_ne_u32_e32 vcc, 0, v21
	s_waitcnt lgkmcnt(0)
	v_mov_b32_dpp v22, v20 row_shr:1 row_mask:0xf bank_mask:0xf
	v_cndmask_b32_e32 v22, 0, v22, vcc
	v_add_u32_e32 v20, v22, v20
	v_cmp_lt_u32_e32 vcc, 1, v21
	s_nop 0
	v_mov_b32_dpp v22, v20 row_shr:2 row_mask:0xf bank_mask:0xf
	v_cndmask_b32_e32 v22, 0, v22, vcc
	v_add_u32_e32 v20, v20, v22
	v_cmp_lt_u32_e32 vcc, 3, v21
	s_nop 0
	v_mov_b32_dpp v22, v20 row_shr:4 row_mask:0xf bank_mask:0xf
	v_cndmask_b32_e32 v21, 0, v22, vcc
	v_add_u32_e32 v20, v20, v21
	ds_write_b32 v17, v20
.LBB2884_45:
	s_or_b64 exec, exec, s[0:1]
	v_cmp_gt_u32_e32 vcc, 64, v0
	v_cmp_lt_u32_e64 s[0:1], 63, v0
	s_waitcnt lgkmcnt(0)
	s_barrier
	s_waitcnt lgkmcnt(0)
                                        ; implicit-def: $vgpr39
	s_and_saveexec_b64 s[16:17], s[0:1]
	s_cbranch_execz .LBB2884_47
; %bb.46:
	v_lshl_add_u32 v17, v37, 2, -4
	ds_read_b32 v39, v17
	s_waitcnt lgkmcnt(0)
	v_add_u32_e32 v16, v39, v16
.LBB2884_47:
	s_or_b64 exec, exec, s[16:17]
	v_add_u32_e32 v17, -1, v35
	v_and_b32_e32 v20, 64, v35
	v_cmp_lt_i32_e64 s[0:1], v17, v20
	v_cmp_eq_u32_e64 s[16:17], 0, v35
	s_nop 0
	v_cndmask_b32_e64 v17, v17, v35, s[0:1]
	v_lshlrev_b32_e32 v17, 2, v17
	ds_bpermute_b32 v40, v17, v16
	s_and_saveexec_b64 s[0:1], vcc
	s_cbranch_execz .LBB2884_70
; %bb.48:
	v_mov_b32_e32 v27, 0
	ds_read_b32 v16, v27 offset:28
	s_and_saveexec_b64 s[26:27], s[16:17]
	s_cbranch_execz .LBB2884_50
; %bb.49:
	s_add_i32 s28, s30, 64
	s_mov_b32 s29, 0
	s_lshl_b64 s[28:29], s[28:29], 3
	s_add_u32 s28, s24, s28
	v_mov_b32_e32 v17, 1
	s_addc_u32 s29, s25, s29
	s_waitcnt lgkmcnt(0)
	global_store_dwordx2 v27, v[16:17], s[28:29] sc1
.LBB2884_50:
	s_or_b64 exec, exec, s[26:27]
	v_xad_u32 v20, v35, -1, s30
	v_add_u32_e32 v26, 64, v20
	v_lshl_add_u64 v[22:23], v[26:27], 3, s[24:25]
	global_load_dwordx2 v[24:25], v[22:23], off sc1
	s_waitcnt vmcnt(0)
	v_cmp_eq_u16_sdwa s[28:29], v25, v27 src0_sel:BYTE_0 src1_sel:DWORD
	s_and_saveexec_b64 s[26:27], s[28:29]
	s_cbranch_execz .LBB2884_56
; %bb.51:
	s_mov_b32 s31, 1
	s_mov_b64 s[28:29], 0
	v_mov_b32_e32 v17, 0
.LBB2884_52:                            ; =>This Loop Header: Depth=1
                                        ;     Child Loop BB2884_53 Depth 2
	s_max_u32 s33, s31, 1
.LBB2884_53:                            ;   Parent Loop BB2884_52 Depth=1
                                        ; =>  This Inner Loop Header: Depth=2
	s_add_i32 s33, s33, -1
	s_cmp_eq_u32 s33, 0
	s_sleep 1
	s_cbranch_scc0 .LBB2884_53
; %bb.54:                               ;   in Loop: Header=BB2884_52 Depth=1
	global_load_dwordx2 v[24:25], v[22:23], off sc1
	s_cmp_lt_u32 s31, 32
	s_cselect_b64 s[34:35], -1, 0
	s_cmp_lg_u64 s[34:35], 0
	s_addc_u32 s31, s31, 0
	s_waitcnt vmcnt(0)
	v_cmp_ne_u16_sdwa s[34:35], v25, v17 src0_sel:BYTE_0 src1_sel:DWORD
	s_or_b64 s[28:29], s[34:35], s[28:29]
	s_andn2_b64 exec, exec, s[28:29]
	s_cbranch_execnz .LBB2884_52
; %bb.55:
	s_or_b64 exec, exec, s[28:29]
.LBB2884_56:
	s_or_b64 exec, exec, s[26:27]
	v_and_b32_e32 v42, 63, v35
	v_mov_b32_e32 v41, 2
	v_cmp_ne_u32_e32 vcc, 63, v42
	v_cmp_eq_u16_sdwa s[26:27], v25, v41 src0_sel:BYTE_0 src1_sel:DWORD
	v_lshlrev_b64 v[22:23], v35, -1
	v_addc_co_u32_e32 v26, vcc, 0, v35, vcc
	v_and_b32_e32 v17, s27, v23
	v_lshlrev_b32_e32 v43, 2, v26
	v_or_b32_e32 v17, 0x80000000, v17
	ds_bpermute_b32 v26, v43, v24
	v_and_b32_e32 v21, s26, v22
	v_ffbl_b32_e32 v17, v17
	v_add_u32_e32 v17, 32, v17
	v_ffbl_b32_e32 v21, v21
	v_min_u32_e32 v17, v21, v17
	v_cmp_lt_u32_e32 vcc, v42, v17
	v_add_u32_e32 v45, 2, v42
	v_add_u32_e32 v47, 4, v42
	s_waitcnt lgkmcnt(0)
	v_cndmask_b32_e32 v21, 0, v26, vcc
	v_cmp_gt_u32_e32 vcc, 62, v42
	v_add_u32_e32 v21, v21, v24
	v_add_u32_e32 v49, 8, v42
	v_cndmask_b32_e64 v24, 0, 1, vcc
	v_lshlrev_b32_e32 v24, 1, v24
	v_add_lshl_u32 v44, v24, v35, 2
	ds_bpermute_b32 v24, v44, v21
	v_cmp_le_u32_e32 vcc, v45, v17
	v_add_u32_e32 v51, 16, v42
	v_add_u32_e32 v53, 32, v42
	s_waitcnt lgkmcnt(0)
	v_cndmask_b32_e32 v24, 0, v24, vcc
	v_cmp_gt_u32_e32 vcc, 60, v42
	v_add_u32_e32 v21, v21, v24
	s_nop 0
	v_cndmask_b32_e64 v24, 0, 1, vcc
	v_lshlrev_b32_e32 v24, 2, v24
	v_add_lshl_u32 v46, v24, v35, 2
	ds_bpermute_b32 v24, v46, v21
	v_cmp_le_u32_e32 vcc, v47, v17
	s_waitcnt lgkmcnt(0)
	s_nop 0
	v_cndmask_b32_e32 v24, 0, v24, vcc
	v_cmp_gt_u32_e32 vcc, 56, v42
	v_add_u32_e32 v21, v21, v24
	s_nop 0
	v_cndmask_b32_e64 v24, 0, 1, vcc
	v_lshlrev_b32_e32 v24, 3, v24
	v_add_lshl_u32 v48, v24, v35, 2
	ds_bpermute_b32 v24, v48, v21
	v_cmp_le_u32_e32 vcc, v49, v17
	s_waitcnt lgkmcnt(0)
	s_nop 0
	;; [unrolled: 11-line block ×4, first 2 shown]
	v_cndmask_b32_e32 v17, 0, v24, vcc
	v_add_u32_e32 v24, v21, v17
	v_mov_b32_e32 v21, 0
	s_branch .LBB2884_58
.LBB2884_57:                            ;   in Loop: Header=BB2884_58 Depth=1
	s_or_b64 exec, exec, s[26:27]
	v_cmp_eq_u16_sdwa s[26:27], v25, v41 src0_sel:BYTE_0 src1_sel:DWORD
	ds_bpermute_b32 v54, v43, v24
	v_subrev_u32_e32 v20, 64, v20
	v_and_b32_e32 v26, s27, v23
	v_or_b32_e32 v26, 0x80000000, v26
	v_and_b32_e32 v27, s26, v22
	v_ffbl_b32_e32 v26, v26
	v_add_u32_e32 v26, 32, v26
	v_ffbl_b32_e32 v27, v27
	v_min_u32_e32 v26, v27, v26
	v_cmp_lt_u32_e32 vcc, v42, v26
	s_waitcnt lgkmcnt(0)
	s_nop 0
	v_cndmask_b32_e32 v27, 0, v54, vcc
	v_add_u32_e32 v24, v27, v24
	ds_bpermute_b32 v27, v44, v24
	v_cmp_le_u32_e32 vcc, v45, v26
	s_waitcnt lgkmcnt(0)
	s_nop 0
	v_cndmask_b32_e32 v27, 0, v27, vcc
	v_add_u32_e32 v24, v24, v27
	ds_bpermute_b32 v27, v46, v24
	v_cmp_le_u32_e32 vcc, v47, v26
	;; [unrolled: 6-line block ×5, first 2 shown]
	s_waitcnt lgkmcnt(0)
	s_nop 0
	v_cndmask_b32_e32 v26, 0, v27, vcc
	v_add3_u32 v24, v26, v17, v24
.LBB2884_58:                            ; =>This Loop Header: Depth=1
                                        ;     Child Loop BB2884_61 Depth 2
                                        ;       Child Loop BB2884_62 Depth 3
	v_cmp_ne_u16_sdwa s[26:27], v25, v41 src0_sel:BYTE_0 src1_sel:DWORD
	s_nop 1
	v_cndmask_b32_e64 v17, 0, 1, s[26:27]
	;;#ASMSTART
	;;#ASMEND
	s_nop 0
	v_cmp_ne_u32_e32 vcc, 0, v17
	s_cmp_lg_u64 vcc, exec
	v_mov_b32_e32 v17, v24
	s_cbranch_scc1 .LBB2884_65
; %bb.59:                               ;   in Loop: Header=BB2884_58 Depth=1
	v_lshl_add_u64 v[26:27], v[20:21], 3, s[24:25]
	global_load_dwordx2 v[24:25], v[26:27], off sc1
	s_waitcnt vmcnt(0)
	v_cmp_eq_u16_sdwa s[28:29], v25, v21 src0_sel:BYTE_0 src1_sel:DWORD
	s_and_saveexec_b64 s[26:27], s[28:29]
	s_cbranch_execz .LBB2884_57
; %bb.60:                               ;   in Loop: Header=BB2884_58 Depth=1
	s_mov_b32 s31, 1
	s_mov_b64 s[28:29], 0
.LBB2884_61:                            ;   Parent Loop BB2884_58 Depth=1
                                        ; =>  This Loop Header: Depth=2
                                        ;       Child Loop BB2884_62 Depth 3
	s_max_u32 s33, s31, 1
.LBB2884_62:                            ;   Parent Loop BB2884_58 Depth=1
                                        ;     Parent Loop BB2884_61 Depth=2
                                        ; =>    This Inner Loop Header: Depth=3
	s_add_i32 s33, s33, -1
	s_cmp_eq_u32 s33, 0
	s_sleep 1
	s_cbranch_scc0 .LBB2884_62
; %bb.63:                               ;   in Loop: Header=BB2884_61 Depth=2
	global_load_dwordx2 v[24:25], v[26:27], off sc1
	s_cmp_lt_u32 s31, 32
	s_cselect_b64 s[34:35], -1, 0
	s_cmp_lg_u64 s[34:35], 0
	s_addc_u32 s31, s31, 0
	s_waitcnt vmcnt(0)
	v_cmp_ne_u16_sdwa s[34:35], v25, v21 src0_sel:BYTE_0 src1_sel:DWORD
	s_or_b64 s[28:29], s[34:35], s[28:29]
	s_andn2_b64 exec, exec, s[28:29]
	s_cbranch_execnz .LBB2884_61
; %bb.64:                               ;   in Loop: Header=BB2884_58 Depth=1
	s_or_b64 exec, exec, s[28:29]
	s_branch .LBB2884_57
.LBB2884_65:                            ;   in Loop: Header=BB2884_58 Depth=1
                                        ; implicit-def: $vgpr24
                                        ; implicit-def: $vgpr25
	s_cbranch_execz .LBB2884_58
; %bb.66:
	s_and_saveexec_b64 s[26:27], s[16:17]
	s_cbranch_execz .LBB2884_68
; %bb.67:
	s_add_i32 s28, s30, 64
	s_mov_b32 s29, 0
	s_lshl_b64 s[28:29], s[28:29], 3
	s_add_u32 s28, s24, s28
	v_add_u32_e32 v20, v17, v16
	v_mov_b32_e32 v21, 2
	s_addc_u32 s29, s25, s29
	v_mov_b32_e32 v22, 0
	global_store_dwordx2 v22, v[20:21], s[28:29] sc1
	ds_write_b64 v22, v[16:17] offset:28672
.LBB2884_68:
	s_or_b64 exec, exec, s[26:27]
	s_and_b64 exec, exec, s[18:19]
	s_cbranch_execz .LBB2884_70
; %bb.69:
	v_mov_b32_e32 v16, 0
	ds_write_b32 v16, v17 offset:28
.LBB2884_70:
	s_or_b64 exec, exec, s[0:1]
	v_mov_b32_e32 v16, 0
	s_waitcnt lgkmcnt(0)
	s_barrier
	ds_read_b32 v17, v16 offset:28
	v_cndmask_b32_e64 v20, v40, v39, s[16:17]
	v_cndmask_b32_e64 v20, v20, 0, s[18:19]
	s_waitcnt lgkmcnt(0)
	s_barrier
	v_add_u32_e32 v26, v17, v20
	v_add_u32_e32 v25, v26, v34
	;; [unrolled: 1-line block ×3, first 2 shown]
	ds_read_b64 v[16:17], v16 offset:28672
	v_add_u32_e32 v22, v24, v32
	v_add_u32_e32 v23, v22, v31
	;; [unrolled: 1-line block ×4, first 2 shown]
	s_branch .LBB2884_81
.LBB2884_71:
                                        ; implicit-def: $vgpr17
                                        ; implicit-def: $vgpr20
                                        ; implicit-def: $vgpr21
                                        ; implicit-def: $vgpr23
                                        ; implicit-def: $vgpr22
                                        ; implicit-def: $vgpr24
                                        ; implicit-def: $vgpr25
                                        ; implicit-def: $vgpr26
	s_cbranch_execz .LBB2884_81
; %bb.72:
	s_waitcnt lgkmcnt(0)
	v_mov_b32_dpp v16, v38 row_shr:1 row_mask:0xf bank_mask:0xf
	v_cndmask_b32_e64 v16, v16, 0, s[14:15]
	v_add_u32_e32 v16, v16, v38
	s_nop 1
	v_mov_b32_dpp v17, v16 row_shr:2 row_mask:0xf bank_mask:0xf
	v_cndmask_b32_e64 v17, 0, v17, s[12:13]
	v_add_u32_e32 v16, v16, v17
	s_nop 1
	;; [unrolled: 4-line block ×4, first 2 shown]
	v_mov_b32_dpp v17, v16 row_bcast:15 row_mask:0xf bank_mask:0xf
	v_cndmask_b32_e64 v17, v17, 0, s[6:7]
	v_add_u32_e32 v16, v16, v17
	s_nop 1
	v_mov_b32_dpp v17, v16 row_bcast:31 row_mask:0xf bank_mask:0xf
	v_cndmask_b32_e64 v17, 0, v17, s[2:3]
	v_add_u32_e32 v16, v16, v17
	s_and_saveexec_b64 s[0:1], s[4:5]
	s_cbranch_execz .LBB2884_74
; %bb.73:
	v_lshlrev_b32_e32 v17, 2, v37
	ds_write_b32 v17, v16
.LBB2884_74:
	s_or_b64 exec, exec, s[0:1]
	v_cmp_gt_u32_e32 vcc, 8, v0
	s_waitcnt lgkmcnt(0)
	s_barrier
	s_and_saveexec_b64 s[0:1], vcc
	s_cbranch_execz .LBB2884_76
; %bb.75:
	v_mad_i32_i24 v17, v0, -3, v36
	ds_read_b32 v20, v17
	v_and_b32_e32 v21, 7, v35
	v_cmp_ne_u32_e32 vcc, 0, v21
	s_waitcnt lgkmcnt(0)
	v_mov_b32_dpp v22, v20 row_shr:1 row_mask:0xf bank_mask:0xf
	v_cndmask_b32_e32 v22, 0, v22, vcc
	v_add_u32_e32 v20, v22, v20
	v_cmp_lt_u32_e32 vcc, 1, v21
	s_nop 0
	v_mov_b32_dpp v22, v20 row_shr:2 row_mask:0xf bank_mask:0xf
	v_cndmask_b32_e32 v22, 0, v22, vcc
	v_add_u32_e32 v20, v20, v22
	v_cmp_lt_u32_e32 vcc, 3, v21
	s_nop 0
	v_mov_b32_dpp v22, v20 row_shr:4 row_mask:0xf bank_mask:0xf
	v_cndmask_b32_e32 v21, 0, v22, vcc
	v_add_u32_e32 v20, v20, v21
	ds_write_b32 v17, v20
.LBB2884_76:
	s_or_b64 exec, exec, s[0:1]
	v_cmp_lt_u32_e32 vcc, 63, v0
	v_mov_b32_e32 v17, 0
	v_mov_b32_e32 v0, 0
	s_waitcnt lgkmcnt(0)
	s_barrier
	s_and_saveexec_b64 s[0:1], vcc
	s_cbranch_execz .LBB2884_78
; %bb.77:
	v_lshl_add_u32 v0, v37, 2, -4
	ds_read_b32 v0, v0
.LBB2884_78:
	s_or_b64 exec, exec, s[0:1]
	v_add_u32_e32 v20, -1, v35
	v_and_b32_e32 v21, 64, v35
	v_cmp_lt_i32_e32 vcc, v20, v21
	s_waitcnt lgkmcnt(0)
	v_add_u32_e32 v16, v0, v16
	v_cndmask_b32_e32 v20, v20, v35, vcc
	v_lshlrev_b32_e32 v20, 2, v20
	ds_bpermute_b32 v20, v20, v16
	ds_read_b32 v16, v17 offset:28
	s_and_saveexec_b64 s[0:1], s[18:19]
	s_cbranch_execz .LBB2884_80
; %bb.79:
	v_mov_b32_e32 v21, 0
	v_mov_b32_e32 v17, 2
	s_waitcnt lgkmcnt(0)
	global_store_dwordx2 v21, v[16:17], s[24:25] offset:512 sc1
.LBB2884_80:
	s_or_b64 exec, exec, s[0:1]
	v_cmp_eq_u32_e32 vcc, 0, v35
	v_mov_b32_e32 v17, 0
	s_waitcnt lgkmcnt(0)
	v_cndmask_b32_e32 v0, v20, v0, vcc
	v_cndmask_b32_e64 v26, v0, 0, s[18:19]
	v_add_u32_e32 v25, v26, v34
	v_add_u32_e32 v24, v25, v33
	;; [unrolled: 1-line block ×6, first 2 shown]
	s_barrier
.LBB2884_81:
	s_waitcnt lgkmcnt(0)
	v_add_u32_e32 v0, v16, v1
	v_sub_u32_e32 v1, v26, v17
	v_sub_u32_e32 v26, v0, v1
	v_cmp_eq_u32_e32 vcc, 1, v34
	s_and_b64 s[0:1], s[18:19], s[22:23]
	s_nop 0
	v_cndmask_b32_e32 v1, v26, v1, vcc
	v_lshlrev_b32_e32 v1, 3, v1
	ds_write_b64 v1, v[10:11]
	v_sub_u32_e32 v1, v25, v17
	v_sub_u32_e32 v10, v0, v1
	v_add_u32_e32 v10, 1, v10
	v_cmp_eq_u32_e32 vcc, 1, v33
	s_nop 1
	v_cndmask_b32_e32 v1, v10, v1, vcc
	v_lshlrev_b32_e32 v1, 3, v1
	ds_write_b64 v1, v[12:13]
	v_sub_u32_e32 v1, v24, v17
	v_sub_u32_e32 v10, v0, v1
	v_add_u32_e32 v10, 2, v10
	v_cmp_eq_u32_e32 vcc, 1, v32
	;; [unrolled: 8-line block ×6, first 2 shown]
	s_nop 1
	v_cndmask_b32_e32 v0, v0, v1, vcc
	v_lshlrev_b32_e32 v0, 3, v0
	ds_write_b64 v0, v[14:15]
	s_waitcnt lgkmcnt(0)
	s_barrier
	s_and_saveexec_b64 s[2:3], s[0:1]
	s_cbranch_execz .LBB2884_83
; %bb.82:
	v_mov_b32_e32 v1, 0
	v_mov_b32_e32 v0, v16
	s_waitcnt vmcnt(0)
	v_lshl_add_u64 v[2:3], v[18:19], 0, v[0:1]
	v_mov_b32_e32 v0, v17
	v_lshl_add_u64 v[2:3], v[2:3], 0, v[0:1]
	global_store_dwordx2 v1, v[2:3], s[20:21]
.LBB2884_83:
	s_endpgm
	.section	.rodata,"a",@progbits
	.p2align	6, 0x0
	.amdhsa_kernel _ZN7rocprim17ROCPRIM_400000_NS6detail17trampoline_kernelINS0_14default_configENS1_25partition_config_selectorILNS1_17partition_subalgoE1EyNS0_10empty_typeEbEEZZNS1_14partition_implILS5_1ELb0ES3_jN6thrust23THRUST_200600_302600_NS6detail15normal_iteratorINSA_10device_ptrIyEEEEPS6_NSA_18transform_iteratorI7is_evenIyESF_NSA_11use_defaultESK_EENS0_5tupleIJNSA_16discard_iteratorISK_EESO_EEENSM_IJSG_SG_EEES6_PlJS6_EEE10hipError_tPvRmT3_T4_T5_T6_T7_T9_mT8_P12ihipStream_tbDpT10_ENKUlT_T0_E_clISt17integral_constantIbLb1EES1B_EEDaS16_S17_EUlS16_E_NS1_11comp_targetILNS1_3genE5ELNS1_11target_archE942ELNS1_3gpuE9ELNS1_3repE0EEENS1_30default_config_static_selectorELNS0_4arch9wavefront6targetE1EEEvT1_
		.amdhsa_group_segment_fixed_size 28680
		.amdhsa_private_segment_fixed_size 0
		.amdhsa_kernarg_size 160
		.amdhsa_user_sgpr_count 2
		.amdhsa_user_sgpr_dispatch_ptr 0
		.amdhsa_user_sgpr_queue_ptr 0
		.amdhsa_user_sgpr_kernarg_segment_ptr 1
		.amdhsa_user_sgpr_dispatch_id 0
		.amdhsa_user_sgpr_kernarg_preload_length 0
		.amdhsa_user_sgpr_kernarg_preload_offset 0
		.amdhsa_user_sgpr_private_segment_size 0
		.amdhsa_uses_dynamic_stack 0
		.amdhsa_enable_private_segment 0
		.amdhsa_system_sgpr_workgroup_id_x 1
		.amdhsa_system_sgpr_workgroup_id_y 0
		.amdhsa_system_sgpr_workgroup_id_z 0
		.amdhsa_system_sgpr_workgroup_info 0
		.amdhsa_system_vgpr_workitem_id 0
		.amdhsa_next_free_vgpr 55
		.amdhsa_next_free_sgpr 36
		.amdhsa_accum_offset 56
		.amdhsa_reserve_vcc 1
		.amdhsa_float_round_mode_32 0
		.amdhsa_float_round_mode_16_64 0
		.amdhsa_float_denorm_mode_32 3
		.amdhsa_float_denorm_mode_16_64 3
		.amdhsa_dx10_clamp 1
		.amdhsa_ieee_mode 1
		.amdhsa_fp16_overflow 0
		.amdhsa_tg_split 0
		.amdhsa_exception_fp_ieee_invalid_op 0
		.amdhsa_exception_fp_denorm_src 0
		.amdhsa_exception_fp_ieee_div_zero 0
		.amdhsa_exception_fp_ieee_overflow 0
		.amdhsa_exception_fp_ieee_underflow 0
		.amdhsa_exception_fp_ieee_inexact 0
		.amdhsa_exception_int_div_zero 0
	.end_amdhsa_kernel
	.section	.text._ZN7rocprim17ROCPRIM_400000_NS6detail17trampoline_kernelINS0_14default_configENS1_25partition_config_selectorILNS1_17partition_subalgoE1EyNS0_10empty_typeEbEEZZNS1_14partition_implILS5_1ELb0ES3_jN6thrust23THRUST_200600_302600_NS6detail15normal_iteratorINSA_10device_ptrIyEEEEPS6_NSA_18transform_iteratorI7is_evenIyESF_NSA_11use_defaultESK_EENS0_5tupleIJNSA_16discard_iteratorISK_EESO_EEENSM_IJSG_SG_EEES6_PlJS6_EEE10hipError_tPvRmT3_T4_T5_T6_T7_T9_mT8_P12ihipStream_tbDpT10_ENKUlT_T0_E_clISt17integral_constantIbLb1EES1B_EEDaS16_S17_EUlS16_E_NS1_11comp_targetILNS1_3genE5ELNS1_11target_archE942ELNS1_3gpuE9ELNS1_3repE0EEENS1_30default_config_static_selectorELNS0_4arch9wavefront6targetE1EEEvT1_,"axG",@progbits,_ZN7rocprim17ROCPRIM_400000_NS6detail17trampoline_kernelINS0_14default_configENS1_25partition_config_selectorILNS1_17partition_subalgoE1EyNS0_10empty_typeEbEEZZNS1_14partition_implILS5_1ELb0ES3_jN6thrust23THRUST_200600_302600_NS6detail15normal_iteratorINSA_10device_ptrIyEEEEPS6_NSA_18transform_iteratorI7is_evenIyESF_NSA_11use_defaultESK_EENS0_5tupleIJNSA_16discard_iteratorISK_EESO_EEENSM_IJSG_SG_EEES6_PlJS6_EEE10hipError_tPvRmT3_T4_T5_T6_T7_T9_mT8_P12ihipStream_tbDpT10_ENKUlT_T0_E_clISt17integral_constantIbLb1EES1B_EEDaS16_S17_EUlS16_E_NS1_11comp_targetILNS1_3genE5ELNS1_11target_archE942ELNS1_3gpuE9ELNS1_3repE0EEENS1_30default_config_static_selectorELNS0_4arch9wavefront6targetE1EEEvT1_,comdat
.Lfunc_end2884:
	.size	_ZN7rocprim17ROCPRIM_400000_NS6detail17trampoline_kernelINS0_14default_configENS1_25partition_config_selectorILNS1_17partition_subalgoE1EyNS0_10empty_typeEbEEZZNS1_14partition_implILS5_1ELb0ES3_jN6thrust23THRUST_200600_302600_NS6detail15normal_iteratorINSA_10device_ptrIyEEEEPS6_NSA_18transform_iteratorI7is_evenIyESF_NSA_11use_defaultESK_EENS0_5tupleIJNSA_16discard_iteratorISK_EESO_EEENSM_IJSG_SG_EEES6_PlJS6_EEE10hipError_tPvRmT3_T4_T5_T6_T7_T9_mT8_P12ihipStream_tbDpT10_ENKUlT_T0_E_clISt17integral_constantIbLb1EES1B_EEDaS16_S17_EUlS16_E_NS1_11comp_targetILNS1_3genE5ELNS1_11target_archE942ELNS1_3gpuE9ELNS1_3repE0EEENS1_30default_config_static_selectorELNS0_4arch9wavefront6targetE1EEEvT1_, .Lfunc_end2884-_ZN7rocprim17ROCPRIM_400000_NS6detail17trampoline_kernelINS0_14default_configENS1_25partition_config_selectorILNS1_17partition_subalgoE1EyNS0_10empty_typeEbEEZZNS1_14partition_implILS5_1ELb0ES3_jN6thrust23THRUST_200600_302600_NS6detail15normal_iteratorINSA_10device_ptrIyEEEEPS6_NSA_18transform_iteratorI7is_evenIyESF_NSA_11use_defaultESK_EENS0_5tupleIJNSA_16discard_iteratorISK_EESO_EEENSM_IJSG_SG_EEES6_PlJS6_EEE10hipError_tPvRmT3_T4_T5_T6_T7_T9_mT8_P12ihipStream_tbDpT10_ENKUlT_T0_E_clISt17integral_constantIbLb1EES1B_EEDaS16_S17_EUlS16_E_NS1_11comp_targetILNS1_3genE5ELNS1_11target_archE942ELNS1_3gpuE9ELNS1_3repE0EEENS1_30default_config_static_selectorELNS0_4arch9wavefront6targetE1EEEvT1_
                                        ; -- End function
	.section	.AMDGPU.csdata,"",@progbits
; Kernel info:
; codeLenInByte = 4316
; NumSgprs: 42
; NumVgprs: 55
; NumAgprs: 0
; TotalNumVgprs: 55
; ScratchSize: 0
; MemoryBound: 0
; FloatMode: 240
; IeeeMode: 1
; LDSByteSize: 28680 bytes/workgroup (compile time only)
; SGPRBlocks: 5
; VGPRBlocks: 6
; NumSGPRsForWavesPerEU: 42
; NumVGPRsForWavesPerEU: 55
; AccumOffset: 56
; Occupancy: 4
; WaveLimiterHint : 1
; COMPUTE_PGM_RSRC2:SCRATCH_EN: 0
; COMPUTE_PGM_RSRC2:USER_SGPR: 2
; COMPUTE_PGM_RSRC2:TRAP_HANDLER: 0
; COMPUTE_PGM_RSRC2:TGID_X_EN: 1
; COMPUTE_PGM_RSRC2:TGID_Y_EN: 0
; COMPUTE_PGM_RSRC2:TGID_Z_EN: 0
; COMPUTE_PGM_RSRC2:TIDIG_COMP_CNT: 0
; COMPUTE_PGM_RSRC3_GFX90A:ACCUM_OFFSET: 13
; COMPUTE_PGM_RSRC3_GFX90A:TG_SPLIT: 0
	.section	.text._ZN7rocprim17ROCPRIM_400000_NS6detail17trampoline_kernelINS0_14default_configENS1_25partition_config_selectorILNS1_17partition_subalgoE1EyNS0_10empty_typeEbEEZZNS1_14partition_implILS5_1ELb0ES3_jN6thrust23THRUST_200600_302600_NS6detail15normal_iteratorINSA_10device_ptrIyEEEEPS6_NSA_18transform_iteratorI7is_evenIyESF_NSA_11use_defaultESK_EENS0_5tupleIJNSA_16discard_iteratorISK_EESO_EEENSM_IJSG_SG_EEES6_PlJS6_EEE10hipError_tPvRmT3_T4_T5_T6_T7_T9_mT8_P12ihipStream_tbDpT10_ENKUlT_T0_E_clISt17integral_constantIbLb1EES1B_EEDaS16_S17_EUlS16_E_NS1_11comp_targetILNS1_3genE4ELNS1_11target_archE910ELNS1_3gpuE8ELNS1_3repE0EEENS1_30default_config_static_selectorELNS0_4arch9wavefront6targetE1EEEvT1_,"axG",@progbits,_ZN7rocprim17ROCPRIM_400000_NS6detail17trampoline_kernelINS0_14default_configENS1_25partition_config_selectorILNS1_17partition_subalgoE1EyNS0_10empty_typeEbEEZZNS1_14partition_implILS5_1ELb0ES3_jN6thrust23THRUST_200600_302600_NS6detail15normal_iteratorINSA_10device_ptrIyEEEEPS6_NSA_18transform_iteratorI7is_evenIyESF_NSA_11use_defaultESK_EENS0_5tupleIJNSA_16discard_iteratorISK_EESO_EEENSM_IJSG_SG_EEES6_PlJS6_EEE10hipError_tPvRmT3_T4_T5_T6_T7_T9_mT8_P12ihipStream_tbDpT10_ENKUlT_T0_E_clISt17integral_constantIbLb1EES1B_EEDaS16_S17_EUlS16_E_NS1_11comp_targetILNS1_3genE4ELNS1_11target_archE910ELNS1_3gpuE8ELNS1_3repE0EEENS1_30default_config_static_selectorELNS0_4arch9wavefront6targetE1EEEvT1_,comdat
	.protected	_ZN7rocprim17ROCPRIM_400000_NS6detail17trampoline_kernelINS0_14default_configENS1_25partition_config_selectorILNS1_17partition_subalgoE1EyNS0_10empty_typeEbEEZZNS1_14partition_implILS5_1ELb0ES3_jN6thrust23THRUST_200600_302600_NS6detail15normal_iteratorINSA_10device_ptrIyEEEEPS6_NSA_18transform_iteratorI7is_evenIyESF_NSA_11use_defaultESK_EENS0_5tupleIJNSA_16discard_iteratorISK_EESO_EEENSM_IJSG_SG_EEES6_PlJS6_EEE10hipError_tPvRmT3_T4_T5_T6_T7_T9_mT8_P12ihipStream_tbDpT10_ENKUlT_T0_E_clISt17integral_constantIbLb1EES1B_EEDaS16_S17_EUlS16_E_NS1_11comp_targetILNS1_3genE4ELNS1_11target_archE910ELNS1_3gpuE8ELNS1_3repE0EEENS1_30default_config_static_selectorELNS0_4arch9wavefront6targetE1EEEvT1_ ; -- Begin function _ZN7rocprim17ROCPRIM_400000_NS6detail17trampoline_kernelINS0_14default_configENS1_25partition_config_selectorILNS1_17partition_subalgoE1EyNS0_10empty_typeEbEEZZNS1_14partition_implILS5_1ELb0ES3_jN6thrust23THRUST_200600_302600_NS6detail15normal_iteratorINSA_10device_ptrIyEEEEPS6_NSA_18transform_iteratorI7is_evenIyESF_NSA_11use_defaultESK_EENS0_5tupleIJNSA_16discard_iteratorISK_EESO_EEENSM_IJSG_SG_EEES6_PlJS6_EEE10hipError_tPvRmT3_T4_T5_T6_T7_T9_mT8_P12ihipStream_tbDpT10_ENKUlT_T0_E_clISt17integral_constantIbLb1EES1B_EEDaS16_S17_EUlS16_E_NS1_11comp_targetILNS1_3genE4ELNS1_11target_archE910ELNS1_3gpuE8ELNS1_3repE0EEENS1_30default_config_static_selectorELNS0_4arch9wavefront6targetE1EEEvT1_
	.globl	_ZN7rocprim17ROCPRIM_400000_NS6detail17trampoline_kernelINS0_14default_configENS1_25partition_config_selectorILNS1_17partition_subalgoE1EyNS0_10empty_typeEbEEZZNS1_14partition_implILS5_1ELb0ES3_jN6thrust23THRUST_200600_302600_NS6detail15normal_iteratorINSA_10device_ptrIyEEEEPS6_NSA_18transform_iteratorI7is_evenIyESF_NSA_11use_defaultESK_EENS0_5tupleIJNSA_16discard_iteratorISK_EESO_EEENSM_IJSG_SG_EEES6_PlJS6_EEE10hipError_tPvRmT3_T4_T5_T6_T7_T9_mT8_P12ihipStream_tbDpT10_ENKUlT_T0_E_clISt17integral_constantIbLb1EES1B_EEDaS16_S17_EUlS16_E_NS1_11comp_targetILNS1_3genE4ELNS1_11target_archE910ELNS1_3gpuE8ELNS1_3repE0EEENS1_30default_config_static_selectorELNS0_4arch9wavefront6targetE1EEEvT1_
	.p2align	8
	.type	_ZN7rocprim17ROCPRIM_400000_NS6detail17trampoline_kernelINS0_14default_configENS1_25partition_config_selectorILNS1_17partition_subalgoE1EyNS0_10empty_typeEbEEZZNS1_14partition_implILS5_1ELb0ES3_jN6thrust23THRUST_200600_302600_NS6detail15normal_iteratorINSA_10device_ptrIyEEEEPS6_NSA_18transform_iteratorI7is_evenIyESF_NSA_11use_defaultESK_EENS0_5tupleIJNSA_16discard_iteratorISK_EESO_EEENSM_IJSG_SG_EEES6_PlJS6_EEE10hipError_tPvRmT3_T4_T5_T6_T7_T9_mT8_P12ihipStream_tbDpT10_ENKUlT_T0_E_clISt17integral_constantIbLb1EES1B_EEDaS16_S17_EUlS16_E_NS1_11comp_targetILNS1_3genE4ELNS1_11target_archE910ELNS1_3gpuE8ELNS1_3repE0EEENS1_30default_config_static_selectorELNS0_4arch9wavefront6targetE1EEEvT1_,@function
_ZN7rocprim17ROCPRIM_400000_NS6detail17trampoline_kernelINS0_14default_configENS1_25partition_config_selectorILNS1_17partition_subalgoE1EyNS0_10empty_typeEbEEZZNS1_14partition_implILS5_1ELb0ES3_jN6thrust23THRUST_200600_302600_NS6detail15normal_iteratorINSA_10device_ptrIyEEEEPS6_NSA_18transform_iteratorI7is_evenIyESF_NSA_11use_defaultESK_EENS0_5tupleIJNSA_16discard_iteratorISK_EESO_EEENSM_IJSG_SG_EEES6_PlJS6_EEE10hipError_tPvRmT3_T4_T5_T6_T7_T9_mT8_P12ihipStream_tbDpT10_ENKUlT_T0_E_clISt17integral_constantIbLb1EES1B_EEDaS16_S17_EUlS16_E_NS1_11comp_targetILNS1_3genE4ELNS1_11target_archE910ELNS1_3gpuE8ELNS1_3repE0EEENS1_30default_config_static_selectorELNS0_4arch9wavefront6targetE1EEEvT1_: ; @_ZN7rocprim17ROCPRIM_400000_NS6detail17trampoline_kernelINS0_14default_configENS1_25partition_config_selectorILNS1_17partition_subalgoE1EyNS0_10empty_typeEbEEZZNS1_14partition_implILS5_1ELb0ES3_jN6thrust23THRUST_200600_302600_NS6detail15normal_iteratorINSA_10device_ptrIyEEEEPS6_NSA_18transform_iteratorI7is_evenIyESF_NSA_11use_defaultESK_EENS0_5tupleIJNSA_16discard_iteratorISK_EESO_EEENSM_IJSG_SG_EEES6_PlJS6_EEE10hipError_tPvRmT3_T4_T5_T6_T7_T9_mT8_P12ihipStream_tbDpT10_ENKUlT_T0_E_clISt17integral_constantIbLb1EES1B_EEDaS16_S17_EUlS16_E_NS1_11comp_targetILNS1_3genE4ELNS1_11target_archE910ELNS1_3gpuE8ELNS1_3repE0EEENS1_30default_config_static_selectorELNS0_4arch9wavefront6targetE1EEEvT1_
; %bb.0:
	.section	.rodata,"a",@progbits
	.p2align	6, 0x0
	.amdhsa_kernel _ZN7rocprim17ROCPRIM_400000_NS6detail17trampoline_kernelINS0_14default_configENS1_25partition_config_selectorILNS1_17partition_subalgoE1EyNS0_10empty_typeEbEEZZNS1_14partition_implILS5_1ELb0ES3_jN6thrust23THRUST_200600_302600_NS6detail15normal_iteratorINSA_10device_ptrIyEEEEPS6_NSA_18transform_iteratorI7is_evenIyESF_NSA_11use_defaultESK_EENS0_5tupleIJNSA_16discard_iteratorISK_EESO_EEENSM_IJSG_SG_EEES6_PlJS6_EEE10hipError_tPvRmT3_T4_T5_T6_T7_T9_mT8_P12ihipStream_tbDpT10_ENKUlT_T0_E_clISt17integral_constantIbLb1EES1B_EEDaS16_S17_EUlS16_E_NS1_11comp_targetILNS1_3genE4ELNS1_11target_archE910ELNS1_3gpuE8ELNS1_3repE0EEENS1_30default_config_static_selectorELNS0_4arch9wavefront6targetE1EEEvT1_
		.amdhsa_group_segment_fixed_size 0
		.amdhsa_private_segment_fixed_size 0
		.amdhsa_kernarg_size 160
		.amdhsa_user_sgpr_count 2
		.amdhsa_user_sgpr_dispatch_ptr 0
		.amdhsa_user_sgpr_queue_ptr 0
		.amdhsa_user_sgpr_kernarg_segment_ptr 1
		.amdhsa_user_sgpr_dispatch_id 0
		.amdhsa_user_sgpr_kernarg_preload_length 0
		.amdhsa_user_sgpr_kernarg_preload_offset 0
		.amdhsa_user_sgpr_private_segment_size 0
		.amdhsa_uses_dynamic_stack 0
		.amdhsa_enable_private_segment 0
		.amdhsa_system_sgpr_workgroup_id_x 1
		.amdhsa_system_sgpr_workgroup_id_y 0
		.amdhsa_system_sgpr_workgroup_id_z 0
		.amdhsa_system_sgpr_workgroup_info 0
		.amdhsa_system_vgpr_workitem_id 0
		.amdhsa_next_free_vgpr 1
		.amdhsa_next_free_sgpr 0
		.amdhsa_accum_offset 4
		.amdhsa_reserve_vcc 0
		.amdhsa_float_round_mode_32 0
		.amdhsa_float_round_mode_16_64 0
		.amdhsa_float_denorm_mode_32 3
		.amdhsa_float_denorm_mode_16_64 3
		.amdhsa_dx10_clamp 1
		.amdhsa_ieee_mode 1
		.amdhsa_fp16_overflow 0
		.amdhsa_tg_split 0
		.amdhsa_exception_fp_ieee_invalid_op 0
		.amdhsa_exception_fp_denorm_src 0
		.amdhsa_exception_fp_ieee_div_zero 0
		.amdhsa_exception_fp_ieee_overflow 0
		.amdhsa_exception_fp_ieee_underflow 0
		.amdhsa_exception_fp_ieee_inexact 0
		.amdhsa_exception_int_div_zero 0
	.end_amdhsa_kernel
	.section	.text._ZN7rocprim17ROCPRIM_400000_NS6detail17trampoline_kernelINS0_14default_configENS1_25partition_config_selectorILNS1_17partition_subalgoE1EyNS0_10empty_typeEbEEZZNS1_14partition_implILS5_1ELb0ES3_jN6thrust23THRUST_200600_302600_NS6detail15normal_iteratorINSA_10device_ptrIyEEEEPS6_NSA_18transform_iteratorI7is_evenIyESF_NSA_11use_defaultESK_EENS0_5tupleIJNSA_16discard_iteratorISK_EESO_EEENSM_IJSG_SG_EEES6_PlJS6_EEE10hipError_tPvRmT3_T4_T5_T6_T7_T9_mT8_P12ihipStream_tbDpT10_ENKUlT_T0_E_clISt17integral_constantIbLb1EES1B_EEDaS16_S17_EUlS16_E_NS1_11comp_targetILNS1_3genE4ELNS1_11target_archE910ELNS1_3gpuE8ELNS1_3repE0EEENS1_30default_config_static_selectorELNS0_4arch9wavefront6targetE1EEEvT1_,"axG",@progbits,_ZN7rocprim17ROCPRIM_400000_NS6detail17trampoline_kernelINS0_14default_configENS1_25partition_config_selectorILNS1_17partition_subalgoE1EyNS0_10empty_typeEbEEZZNS1_14partition_implILS5_1ELb0ES3_jN6thrust23THRUST_200600_302600_NS6detail15normal_iteratorINSA_10device_ptrIyEEEEPS6_NSA_18transform_iteratorI7is_evenIyESF_NSA_11use_defaultESK_EENS0_5tupleIJNSA_16discard_iteratorISK_EESO_EEENSM_IJSG_SG_EEES6_PlJS6_EEE10hipError_tPvRmT3_T4_T5_T6_T7_T9_mT8_P12ihipStream_tbDpT10_ENKUlT_T0_E_clISt17integral_constantIbLb1EES1B_EEDaS16_S17_EUlS16_E_NS1_11comp_targetILNS1_3genE4ELNS1_11target_archE910ELNS1_3gpuE8ELNS1_3repE0EEENS1_30default_config_static_selectorELNS0_4arch9wavefront6targetE1EEEvT1_,comdat
.Lfunc_end2885:
	.size	_ZN7rocprim17ROCPRIM_400000_NS6detail17trampoline_kernelINS0_14default_configENS1_25partition_config_selectorILNS1_17partition_subalgoE1EyNS0_10empty_typeEbEEZZNS1_14partition_implILS5_1ELb0ES3_jN6thrust23THRUST_200600_302600_NS6detail15normal_iteratorINSA_10device_ptrIyEEEEPS6_NSA_18transform_iteratorI7is_evenIyESF_NSA_11use_defaultESK_EENS0_5tupleIJNSA_16discard_iteratorISK_EESO_EEENSM_IJSG_SG_EEES6_PlJS6_EEE10hipError_tPvRmT3_T4_T5_T6_T7_T9_mT8_P12ihipStream_tbDpT10_ENKUlT_T0_E_clISt17integral_constantIbLb1EES1B_EEDaS16_S17_EUlS16_E_NS1_11comp_targetILNS1_3genE4ELNS1_11target_archE910ELNS1_3gpuE8ELNS1_3repE0EEENS1_30default_config_static_selectorELNS0_4arch9wavefront6targetE1EEEvT1_, .Lfunc_end2885-_ZN7rocprim17ROCPRIM_400000_NS6detail17trampoline_kernelINS0_14default_configENS1_25partition_config_selectorILNS1_17partition_subalgoE1EyNS0_10empty_typeEbEEZZNS1_14partition_implILS5_1ELb0ES3_jN6thrust23THRUST_200600_302600_NS6detail15normal_iteratorINSA_10device_ptrIyEEEEPS6_NSA_18transform_iteratorI7is_evenIyESF_NSA_11use_defaultESK_EENS0_5tupleIJNSA_16discard_iteratorISK_EESO_EEENSM_IJSG_SG_EEES6_PlJS6_EEE10hipError_tPvRmT3_T4_T5_T6_T7_T9_mT8_P12ihipStream_tbDpT10_ENKUlT_T0_E_clISt17integral_constantIbLb1EES1B_EEDaS16_S17_EUlS16_E_NS1_11comp_targetILNS1_3genE4ELNS1_11target_archE910ELNS1_3gpuE8ELNS1_3repE0EEENS1_30default_config_static_selectorELNS0_4arch9wavefront6targetE1EEEvT1_
                                        ; -- End function
	.section	.AMDGPU.csdata,"",@progbits
; Kernel info:
; codeLenInByte = 0
; NumSgprs: 6
; NumVgprs: 0
; NumAgprs: 0
; TotalNumVgprs: 0
; ScratchSize: 0
; MemoryBound: 0
; FloatMode: 240
; IeeeMode: 1
; LDSByteSize: 0 bytes/workgroup (compile time only)
; SGPRBlocks: 0
; VGPRBlocks: 0
; NumSGPRsForWavesPerEU: 6
; NumVGPRsForWavesPerEU: 1
; AccumOffset: 4
; Occupancy: 8
; WaveLimiterHint : 0
; COMPUTE_PGM_RSRC2:SCRATCH_EN: 0
; COMPUTE_PGM_RSRC2:USER_SGPR: 2
; COMPUTE_PGM_RSRC2:TRAP_HANDLER: 0
; COMPUTE_PGM_RSRC2:TGID_X_EN: 1
; COMPUTE_PGM_RSRC2:TGID_Y_EN: 0
; COMPUTE_PGM_RSRC2:TGID_Z_EN: 0
; COMPUTE_PGM_RSRC2:TIDIG_COMP_CNT: 0
; COMPUTE_PGM_RSRC3_GFX90A:ACCUM_OFFSET: 0
; COMPUTE_PGM_RSRC3_GFX90A:TG_SPLIT: 0
	.section	.text._ZN7rocprim17ROCPRIM_400000_NS6detail17trampoline_kernelINS0_14default_configENS1_25partition_config_selectorILNS1_17partition_subalgoE1EyNS0_10empty_typeEbEEZZNS1_14partition_implILS5_1ELb0ES3_jN6thrust23THRUST_200600_302600_NS6detail15normal_iteratorINSA_10device_ptrIyEEEEPS6_NSA_18transform_iteratorI7is_evenIyESF_NSA_11use_defaultESK_EENS0_5tupleIJNSA_16discard_iteratorISK_EESO_EEENSM_IJSG_SG_EEES6_PlJS6_EEE10hipError_tPvRmT3_T4_T5_T6_T7_T9_mT8_P12ihipStream_tbDpT10_ENKUlT_T0_E_clISt17integral_constantIbLb1EES1B_EEDaS16_S17_EUlS16_E_NS1_11comp_targetILNS1_3genE3ELNS1_11target_archE908ELNS1_3gpuE7ELNS1_3repE0EEENS1_30default_config_static_selectorELNS0_4arch9wavefront6targetE1EEEvT1_,"axG",@progbits,_ZN7rocprim17ROCPRIM_400000_NS6detail17trampoline_kernelINS0_14default_configENS1_25partition_config_selectorILNS1_17partition_subalgoE1EyNS0_10empty_typeEbEEZZNS1_14partition_implILS5_1ELb0ES3_jN6thrust23THRUST_200600_302600_NS6detail15normal_iteratorINSA_10device_ptrIyEEEEPS6_NSA_18transform_iteratorI7is_evenIyESF_NSA_11use_defaultESK_EENS0_5tupleIJNSA_16discard_iteratorISK_EESO_EEENSM_IJSG_SG_EEES6_PlJS6_EEE10hipError_tPvRmT3_T4_T5_T6_T7_T9_mT8_P12ihipStream_tbDpT10_ENKUlT_T0_E_clISt17integral_constantIbLb1EES1B_EEDaS16_S17_EUlS16_E_NS1_11comp_targetILNS1_3genE3ELNS1_11target_archE908ELNS1_3gpuE7ELNS1_3repE0EEENS1_30default_config_static_selectorELNS0_4arch9wavefront6targetE1EEEvT1_,comdat
	.protected	_ZN7rocprim17ROCPRIM_400000_NS6detail17trampoline_kernelINS0_14default_configENS1_25partition_config_selectorILNS1_17partition_subalgoE1EyNS0_10empty_typeEbEEZZNS1_14partition_implILS5_1ELb0ES3_jN6thrust23THRUST_200600_302600_NS6detail15normal_iteratorINSA_10device_ptrIyEEEEPS6_NSA_18transform_iteratorI7is_evenIyESF_NSA_11use_defaultESK_EENS0_5tupleIJNSA_16discard_iteratorISK_EESO_EEENSM_IJSG_SG_EEES6_PlJS6_EEE10hipError_tPvRmT3_T4_T5_T6_T7_T9_mT8_P12ihipStream_tbDpT10_ENKUlT_T0_E_clISt17integral_constantIbLb1EES1B_EEDaS16_S17_EUlS16_E_NS1_11comp_targetILNS1_3genE3ELNS1_11target_archE908ELNS1_3gpuE7ELNS1_3repE0EEENS1_30default_config_static_selectorELNS0_4arch9wavefront6targetE1EEEvT1_ ; -- Begin function _ZN7rocprim17ROCPRIM_400000_NS6detail17trampoline_kernelINS0_14default_configENS1_25partition_config_selectorILNS1_17partition_subalgoE1EyNS0_10empty_typeEbEEZZNS1_14partition_implILS5_1ELb0ES3_jN6thrust23THRUST_200600_302600_NS6detail15normal_iteratorINSA_10device_ptrIyEEEEPS6_NSA_18transform_iteratorI7is_evenIyESF_NSA_11use_defaultESK_EENS0_5tupleIJNSA_16discard_iteratorISK_EESO_EEENSM_IJSG_SG_EEES6_PlJS6_EEE10hipError_tPvRmT3_T4_T5_T6_T7_T9_mT8_P12ihipStream_tbDpT10_ENKUlT_T0_E_clISt17integral_constantIbLb1EES1B_EEDaS16_S17_EUlS16_E_NS1_11comp_targetILNS1_3genE3ELNS1_11target_archE908ELNS1_3gpuE7ELNS1_3repE0EEENS1_30default_config_static_selectorELNS0_4arch9wavefront6targetE1EEEvT1_
	.globl	_ZN7rocprim17ROCPRIM_400000_NS6detail17trampoline_kernelINS0_14default_configENS1_25partition_config_selectorILNS1_17partition_subalgoE1EyNS0_10empty_typeEbEEZZNS1_14partition_implILS5_1ELb0ES3_jN6thrust23THRUST_200600_302600_NS6detail15normal_iteratorINSA_10device_ptrIyEEEEPS6_NSA_18transform_iteratorI7is_evenIyESF_NSA_11use_defaultESK_EENS0_5tupleIJNSA_16discard_iteratorISK_EESO_EEENSM_IJSG_SG_EEES6_PlJS6_EEE10hipError_tPvRmT3_T4_T5_T6_T7_T9_mT8_P12ihipStream_tbDpT10_ENKUlT_T0_E_clISt17integral_constantIbLb1EES1B_EEDaS16_S17_EUlS16_E_NS1_11comp_targetILNS1_3genE3ELNS1_11target_archE908ELNS1_3gpuE7ELNS1_3repE0EEENS1_30default_config_static_selectorELNS0_4arch9wavefront6targetE1EEEvT1_
	.p2align	8
	.type	_ZN7rocprim17ROCPRIM_400000_NS6detail17trampoline_kernelINS0_14default_configENS1_25partition_config_selectorILNS1_17partition_subalgoE1EyNS0_10empty_typeEbEEZZNS1_14partition_implILS5_1ELb0ES3_jN6thrust23THRUST_200600_302600_NS6detail15normal_iteratorINSA_10device_ptrIyEEEEPS6_NSA_18transform_iteratorI7is_evenIyESF_NSA_11use_defaultESK_EENS0_5tupleIJNSA_16discard_iteratorISK_EESO_EEENSM_IJSG_SG_EEES6_PlJS6_EEE10hipError_tPvRmT3_T4_T5_T6_T7_T9_mT8_P12ihipStream_tbDpT10_ENKUlT_T0_E_clISt17integral_constantIbLb1EES1B_EEDaS16_S17_EUlS16_E_NS1_11comp_targetILNS1_3genE3ELNS1_11target_archE908ELNS1_3gpuE7ELNS1_3repE0EEENS1_30default_config_static_selectorELNS0_4arch9wavefront6targetE1EEEvT1_,@function
_ZN7rocprim17ROCPRIM_400000_NS6detail17trampoline_kernelINS0_14default_configENS1_25partition_config_selectorILNS1_17partition_subalgoE1EyNS0_10empty_typeEbEEZZNS1_14partition_implILS5_1ELb0ES3_jN6thrust23THRUST_200600_302600_NS6detail15normal_iteratorINSA_10device_ptrIyEEEEPS6_NSA_18transform_iteratorI7is_evenIyESF_NSA_11use_defaultESK_EENS0_5tupleIJNSA_16discard_iteratorISK_EESO_EEENSM_IJSG_SG_EEES6_PlJS6_EEE10hipError_tPvRmT3_T4_T5_T6_T7_T9_mT8_P12ihipStream_tbDpT10_ENKUlT_T0_E_clISt17integral_constantIbLb1EES1B_EEDaS16_S17_EUlS16_E_NS1_11comp_targetILNS1_3genE3ELNS1_11target_archE908ELNS1_3gpuE7ELNS1_3repE0EEENS1_30default_config_static_selectorELNS0_4arch9wavefront6targetE1EEEvT1_: ; @_ZN7rocprim17ROCPRIM_400000_NS6detail17trampoline_kernelINS0_14default_configENS1_25partition_config_selectorILNS1_17partition_subalgoE1EyNS0_10empty_typeEbEEZZNS1_14partition_implILS5_1ELb0ES3_jN6thrust23THRUST_200600_302600_NS6detail15normal_iteratorINSA_10device_ptrIyEEEEPS6_NSA_18transform_iteratorI7is_evenIyESF_NSA_11use_defaultESK_EENS0_5tupleIJNSA_16discard_iteratorISK_EESO_EEENSM_IJSG_SG_EEES6_PlJS6_EEE10hipError_tPvRmT3_T4_T5_T6_T7_T9_mT8_P12ihipStream_tbDpT10_ENKUlT_T0_E_clISt17integral_constantIbLb1EES1B_EEDaS16_S17_EUlS16_E_NS1_11comp_targetILNS1_3genE3ELNS1_11target_archE908ELNS1_3gpuE7ELNS1_3repE0EEENS1_30default_config_static_selectorELNS0_4arch9wavefront6targetE1EEEvT1_
; %bb.0:
	.section	.rodata,"a",@progbits
	.p2align	6, 0x0
	.amdhsa_kernel _ZN7rocprim17ROCPRIM_400000_NS6detail17trampoline_kernelINS0_14default_configENS1_25partition_config_selectorILNS1_17partition_subalgoE1EyNS0_10empty_typeEbEEZZNS1_14partition_implILS5_1ELb0ES3_jN6thrust23THRUST_200600_302600_NS6detail15normal_iteratorINSA_10device_ptrIyEEEEPS6_NSA_18transform_iteratorI7is_evenIyESF_NSA_11use_defaultESK_EENS0_5tupleIJNSA_16discard_iteratorISK_EESO_EEENSM_IJSG_SG_EEES6_PlJS6_EEE10hipError_tPvRmT3_T4_T5_T6_T7_T9_mT8_P12ihipStream_tbDpT10_ENKUlT_T0_E_clISt17integral_constantIbLb1EES1B_EEDaS16_S17_EUlS16_E_NS1_11comp_targetILNS1_3genE3ELNS1_11target_archE908ELNS1_3gpuE7ELNS1_3repE0EEENS1_30default_config_static_selectorELNS0_4arch9wavefront6targetE1EEEvT1_
		.amdhsa_group_segment_fixed_size 0
		.amdhsa_private_segment_fixed_size 0
		.amdhsa_kernarg_size 160
		.amdhsa_user_sgpr_count 2
		.amdhsa_user_sgpr_dispatch_ptr 0
		.amdhsa_user_sgpr_queue_ptr 0
		.amdhsa_user_sgpr_kernarg_segment_ptr 1
		.amdhsa_user_sgpr_dispatch_id 0
		.amdhsa_user_sgpr_kernarg_preload_length 0
		.amdhsa_user_sgpr_kernarg_preload_offset 0
		.amdhsa_user_sgpr_private_segment_size 0
		.amdhsa_uses_dynamic_stack 0
		.amdhsa_enable_private_segment 0
		.amdhsa_system_sgpr_workgroup_id_x 1
		.amdhsa_system_sgpr_workgroup_id_y 0
		.amdhsa_system_sgpr_workgroup_id_z 0
		.amdhsa_system_sgpr_workgroup_info 0
		.amdhsa_system_vgpr_workitem_id 0
		.amdhsa_next_free_vgpr 1
		.amdhsa_next_free_sgpr 0
		.amdhsa_accum_offset 4
		.amdhsa_reserve_vcc 0
		.amdhsa_float_round_mode_32 0
		.amdhsa_float_round_mode_16_64 0
		.amdhsa_float_denorm_mode_32 3
		.amdhsa_float_denorm_mode_16_64 3
		.amdhsa_dx10_clamp 1
		.amdhsa_ieee_mode 1
		.amdhsa_fp16_overflow 0
		.amdhsa_tg_split 0
		.amdhsa_exception_fp_ieee_invalid_op 0
		.amdhsa_exception_fp_denorm_src 0
		.amdhsa_exception_fp_ieee_div_zero 0
		.amdhsa_exception_fp_ieee_overflow 0
		.amdhsa_exception_fp_ieee_underflow 0
		.amdhsa_exception_fp_ieee_inexact 0
		.amdhsa_exception_int_div_zero 0
	.end_amdhsa_kernel
	.section	.text._ZN7rocprim17ROCPRIM_400000_NS6detail17trampoline_kernelINS0_14default_configENS1_25partition_config_selectorILNS1_17partition_subalgoE1EyNS0_10empty_typeEbEEZZNS1_14partition_implILS5_1ELb0ES3_jN6thrust23THRUST_200600_302600_NS6detail15normal_iteratorINSA_10device_ptrIyEEEEPS6_NSA_18transform_iteratorI7is_evenIyESF_NSA_11use_defaultESK_EENS0_5tupleIJNSA_16discard_iteratorISK_EESO_EEENSM_IJSG_SG_EEES6_PlJS6_EEE10hipError_tPvRmT3_T4_T5_T6_T7_T9_mT8_P12ihipStream_tbDpT10_ENKUlT_T0_E_clISt17integral_constantIbLb1EES1B_EEDaS16_S17_EUlS16_E_NS1_11comp_targetILNS1_3genE3ELNS1_11target_archE908ELNS1_3gpuE7ELNS1_3repE0EEENS1_30default_config_static_selectorELNS0_4arch9wavefront6targetE1EEEvT1_,"axG",@progbits,_ZN7rocprim17ROCPRIM_400000_NS6detail17trampoline_kernelINS0_14default_configENS1_25partition_config_selectorILNS1_17partition_subalgoE1EyNS0_10empty_typeEbEEZZNS1_14partition_implILS5_1ELb0ES3_jN6thrust23THRUST_200600_302600_NS6detail15normal_iteratorINSA_10device_ptrIyEEEEPS6_NSA_18transform_iteratorI7is_evenIyESF_NSA_11use_defaultESK_EENS0_5tupleIJNSA_16discard_iteratorISK_EESO_EEENSM_IJSG_SG_EEES6_PlJS6_EEE10hipError_tPvRmT3_T4_T5_T6_T7_T9_mT8_P12ihipStream_tbDpT10_ENKUlT_T0_E_clISt17integral_constantIbLb1EES1B_EEDaS16_S17_EUlS16_E_NS1_11comp_targetILNS1_3genE3ELNS1_11target_archE908ELNS1_3gpuE7ELNS1_3repE0EEENS1_30default_config_static_selectorELNS0_4arch9wavefront6targetE1EEEvT1_,comdat
.Lfunc_end2886:
	.size	_ZN7rocprim17ROCPRIM_400000_NS6detail17trampoline_kernelINS0_14default_configENS1_25partition_config_selectorILNS1_17partition_subalgoE1EyNS0_10empty_typeEbEEZZNS1_14partition_implILS5_1ELb0ES3_jN6thrust23THRUST_200600_302600_NS6detail15normal_iteratorINSA_10device_ptrIyEEEEPS6_NSA_18transform_iteratorI7is_evenIyESF_NSA_11use_defaultESK_EENS0_5tupleIJNSA_16discard_iteratorISK_EESO_EEENSM_IJSG_SG_EEES6_PlJS6_EEE10hipError_tPvRmT3_T4_T5_T6_T7_T9_mT8_P12ihipStream_tbDpT10_ENKUlT_T0_E_clISt17integral_constantIbLb1EES1B_EEDaS16_S17_EUlS16_E_NS1_11comp_targetILNS1_3genE3ELNS1_11target_archE908ELNS1_3gpuE7ELNS1_3repE0EEENS1_30default_config_static_selectorELNS0_4arch9wavefront6targetE1EEEvT1_, .Lfunc_end2886-_ZN7rocprim17ROCPRIM_400000_NS6detail17trampoline_kernelINS0_14default_configENS1_25partition_config_selectorILNS1_17partition_subalgoE1EyNS0_10empty_typeEbEEZZNS1_14partition_implILS5_1ELb0ES3_jN6thrust23THRUST_200600_302600_NS6detail15normal_iteratorINSA_10device_ptrIyEEEEPS6_NSA_18transform_iteratorI7is_evenIyESF_NSA_11use_defaultESK_EENS0_5tupleIJNSA_16discard_iteratorISK_EESO_EEENSM_IJSG_SG_EEES6_PlJS6_EEE10hipError_tPvRmT3_T4_T5_T6_T7_T9_mT8_P12ihipStream_tbDpT10_ENKUlT_T0_E_clISt17integral_constantIbLb1EES1B_EEDaS16_S17_EUlS16_E_NS1_11comp_targetILNS1_3genE3ELNS1_11target_archE908ELNS1_3gpuE7ELNS1_3repE0EEENS1_30default_config_static_selectorELNS0_4arch9wavefront6targetE1EEEvT1_
                                        ; -- End function
	.section	.AMDGPU.csdata,"",@progbits
; Kernel info:
; codeLenInByte = 0
; NumSgprs: 6
; NumVgprs: 0
; NumAgprs: 0
; TotalNumVgprs: 0
; ScratchSize: 0
; MemoryBound: 0
; FloatMode: 240
; IeeeMode: 1
; LDSByteSize: 0 bytes/workgroup (compile time only)
; SGPRBlocks: 0
; VGPRBlocks: 0
; NumSGPRsForWavesPerEU: 6
; NumVGPRsForWavesPerEU: 1
; AccumOffset: 4
; Occupancy: 8
; WaveLimiterHint : 0
; COMPUTE_PGM_RSRC2:SCRATCH_EN: 0
; COMPUTE_PGM_RSRC2:USER_SGPR: 2
; COMPUTE_PGM_RSRC2:TRAP_HANDLER: 0
; COMPUTE_PGM_RSRC2:TGID_X_EN: 1
; COMPUTE_PGM_RSRC2:TGID_Y_EN: 0
; COMPUTE_PGM_RSRC2:TGID_Z_EN: 0
; COMPUTE_PGM_RSRC2:TIDIG_COMP_CNT: 0
; COMPUTE_PGM_RSRC3_GFX90A:ACCUM_OFFSET: 0
; COMPUTE_PGM_RSRC3_GFX90A:TG_SPLIT: 0
	.section	.text._ZN7rocprim17ROCPRIM_400000_NS6detail17trampoline_kernelINS0_14default_configENS1_25partition_config_selectorILNS1_17partition_subalgoE1EyNS0_10empty_typeEbEEZZNS1_14partition_implILS5_1ELb0ES3_jN6thrust23THRUST_200600_302600_NS6detail15normal_iteratorINSA_10device_ptrIyEEEEPS6_NSA_18transform_iteratorI7is_evenIyESF_NSA_11use_defaultESK_EENS0_5tupleIJNSA_16discard_iteratorISK_EESO_EEENSM_IJSG_SG_EEES6_PlJS6_EEE10hipError_tPvRmT3_T4_T5_T6_T7_T9_mT8_P12ihipStream_tbDpT10_ENKUlT_T0_E_clISt17integral_constantIbLb1EES1B_EEDaS16_S17_EUlS16_E_NS1_11comp_targetILNS1_3genE2ELNS1_11target_archE906ELNS1_3gpuE6ELNS1_3repE0EEENS1_30default_config_static_selectorELNS0_4arch9wavefront6targetE1EEEvT1_,"axG",@progbits,_ZN7rocprim17ROCPRIM_400000_NS6detail17trampoline_kernelINS0_14default_configENS1_25partition_config_selectorILNS1_17partition_subalgoE1EyNS0_10empty_typeEbEEZZNS1_14partition_implILS5_1ELb0ES3_jN6thrust23THRUST_200600_302600_NS6detail15normal_iteratorINSA_10device_ptrIyEEEEPS6_NSA_18transform_iteratorI7is_evenIyESF_NSA_11use_defaultESK_EENS0_5tupleIJNSA_16discard_iteratorISK_EESO_EEENSM_IJSG_SG_EEES6_PlJS6_EEE10hipError_tPvRmT3_T4_T5_T6_T7_T9_mT8_P12ihipStream_tbDpT10_ENKUlT_T0_E_clISt17integral_constantIbLb1EES1B_EEDaS16_S17_EUlS16_E_NS1_11comp_targetILNS1_3genE2ELNS1_11target_archE906ELNS1_3gpuE6ELNS1_3repE0EEENS1_30default_config_static_selectorELNS0_4arch9wavefront6targetE1EEEvT1_,comdat
	.protected	_ZN7rocprim17ROCPRIM_400000_NS6detail17trampoline_kernelINS0_14default_configENS1_25partition_config_selectorILNS1_17partition_subalgoE1EyNS0_10empty_typeEbEEZZNS1_14partition_implILS5_1ELb0ES3_jN6thrust23THRUST_200600_302600_NS6detail15normal_iteratorINSA_10device_ptrIyEEEEPS6_NSA_18transform_iteratorI7is_evenIyESF_NSA_11use_defaultESK_EENS0_5tupleIJNSA_16discard_iteratorISK_EESO_EEENSM_IJSG_SG_EEES6_PlJS6_EEE10hipError_tPvRmT3_T4_T5_T6_T7_T9_mT8_P12ihipStream_tbDpT10_ENKUlT_T0_E_clISt17integral_constantIbLb1EES1B_EEDaS16_S17_EUlS16_E_NS1_11comp_targetILNS1_3genE2ELNS1_11target_archE906ELNS1_3gpuE6ELNS1_3repE0EEENS1_30default_config_static_selectorELNS0_4arch9wavefront6targetE1EEEvT1_ ; -- Begin function _ZN7rocprim17ROCPRIM_400000_NS6detail17trampoline_kernelINS0_14default_configENS1_25partition_config_selectorILNS1_17partition_subalgoE1EyNS0_10empty_typeEbEEZZNS1_14partition_implILS5_1ELb0ES3_jN6thrust23THRUST_200600_302600_NS6detail15normal_iteratorINSA_10device_ptrIyEEEEPS6_NSA_18transform_iteratorI7is_evenIyESF_NSA_11use_defaultESK_EENS0_5tupleIJNSA_16discard_iteratorISK_EESO_EEENSM_IJSG_SG_EEES6_PlJS6_EEE10hipError_tPvRmT3_T4_T5_T6_T7_T9_mT8_P12ihipStream_tbDpT10_ENKUlT_T0_E_clISt17integral_constantIbLb1EES1B_EEDaS16_S17_EUlS16_E_NS1_11comp_targetILNS1_3genE2ELNS1_11target_archE906ELNS1_3gpuE6ELNS1_3repE0EEENS1_30default_config_static_selectorELNS0_4arch9wavefront6targetE1EEEvT1_
	.globl	_ZN7rocprim17ROCPRIM_400000_NS6detail17trampoline_kernelINS0_14default_configENS1_25partition_config_selectorILNS1_17partition_subalgoE1EyNS0_10empty_typeEbEEZZNS1_14partition_implILS5_1ELb0ES3_jN6thrust23THRUST_200600_302600_NS6detail15normal_iteratorINSA_10device_ptrIyEEEEPS6_NSA_18transform_iteratorI7is_evenIyESF_NSA_11use_defaultESK_EENS0_5tupleIJNSA_16discard_iteratorISK_EESO_EEENSM_IJSG_SG_EEES6_PlJS6_EEE10hipError_tPvRmT3_T4_T5_T6_T7_T9_mT8_P12ihipStream_tbDpT10_ENKUlT_T0_E_clISt17integral_constantIbLb1EES1B_EEDaS16_S17_EUlS16_E_NS1_11comp_targetILNS1_3genE2ELNS1_11target_archE906ELNS1_3gpuE6ELNS1_3repE0EEENS1_30default_config_static_selectorELNS0_4arch9wavefront6targetE1EEEvT1_
	.p2align	8
	.type	_ZN7rocprim17ROCPRIM_400000_NS6detail17trampoline_kernelINS0_14default_configENS1_25partition_config_selectorILNS1_17partition_subalgoE1EyNS0_10empty_typeEbEEZZNS1_14partition_implILS5_1ELb0ES3_jN6thrust23THRUST_200600_302600_NS6detail15normal_iteratorINSA_10device_ptrIyEEEEPS6_NSA_18transform_iteratorI7is_evenIyESF_NSA_11use_defaultESK_EENS0_5tupleIJNSA_16discard_iteratorISK_EESO_EEENSM_IJSG_SG_EEES6_PlJS6_EEE10hipError_tPvRmT3_T4_T5_T6_T7_T9_mT8_P12ihipStream_tbDpT10_ENKUlT_T0_E_clISt17integral_constantIbLb1EES1B_EEDaS16_S17_EUlS16_E_NS1_11comp_targetILNS1_3genE2ELNS1_11target_archE906ELNS1_3gpuE6ELNS1_3repE0EEENS1_30default_config_static_selectorELNS0_4arch9wavefront6targetE1EEEvT1_,@function
_ZN7rocprim17ROCPRIM_400000_NS6detail17trampoline_kernelINS0_14default_configENS1_25partition_config_selectorILNS1_17partition_subalgoE1EyNS0_10empty_typeEbEEZZNS1_14partition_implILS5_1ELb0ES3_jN6thrust23THRUST_200600_302600_NS6detail15normal_iteratorINSA_10device_ptrIyEEEEPS6_NSA_18transform_iteratorI7is_evenIyESF_NSA_11use_defaultESK_EENS0_5tupleIJNSA_16discard_iteratorISK_EESO_EEENSM_IJSG_SG_EEES6_PlJS6_EEE10hipError_tPvRmT3_T4_T5_T6_T7_T9_mT8_P12ihipStream_tbDpT10_ENKUlT_T0_E_clISt17integral_constantIbLb1EES1B_EEDaS16_S17_EUlS16_E_NS1_11comp_targetILNS1_3genE2ELNS1_11target_archE906ELNS1_3gpuE6ELNS1_3repE0EEENS1_30default_config_static_selectorELNS0_4arch9wavefront6targetE1EEEvT1_: ; @_ZN7rocprim17ROCPRIM_400000_NS6detail17trampoline_kernelINS0_14default_configENS1_25partition_config_selectorILNS1_17partition_subalgoE1EyNS0_10empty_typeEbEEZZNS1_14partition_implILS5_1ELb0ES3_jN6thrust23THRUST_200600_302600_NS6detail15normal_iteratorINSA_10device_ptrIyEEEEPS6_NSA_18transform_iteratorI7is_evenIyESF_NSA_11use_defaultESK_EENS0_5tupleIJNSA_16discard_iteratorISK_EESO_EEENSM_IJSG_SG_EEES6_PlJS6_EEE10hipError_tPvRmT3_T4_T5_T6_T7_T9_mT8_P12ihipStream_tbDpT10_ENKUlT_T0_E_clISt17integral_constantIbLb1EES1B_EEDaS16_S17_EUlS16_E_NS1_11comp_targetILNS1_3genE2ELNS1_11target_archE906ELNS1_3gpuE6ELNS1_3repE0EEENS1_30default_config_static_selectorELNS0_4arch9wavefront6targetE1EEEvT1_
; %bb.0:
	.section	.rodata,"a",@progbits
	.p2align	6, 0x0
	.amdhsa_kernel _ZN7rocprim17ROCPRIM_400000_NS6detail17trampoline_kernelINS0_14default_configENS1_25partition_config_selectorILNS1_17partition_subalgoE1EyNS0_10empty_typeEbEEZZNS1_14partition_implILS5_1ELb0ES3_jN6thrust23THRUST_200600_302600_NS6detail15normal_iteratorINSA_10device_ptrIyEEEEPS6_NSA_18transform_iteratorI7is_evenIyESF_NSA_11use_defaultESK_EENS0_5tupleIJNSA_16discard_iteratorISK_EESO_EEENSM_IJSG_SG_EEES6_PlJS6_EEE10hipError_tPvRmT3_T4_T5_T6_T7_T9_mT8_P12ihipStream_tbDpT10_ENKUlT_T0_E_clISt17integral_constantIbLb1EES1B_EEDaS16_S17_EUlS16_E_NS1_11comp_targetILNS1_3genE2ELNS1_11target_archE906ELNS1_3gpuE6ELNS1_3repE0EEENS1_30default_config_static_selectorELNS0_4arch9wavefront6targetE1EEEvT1_
		.amdhsa_group_segment_fixed_size 0
		.amdhsa_private_segment_fixed_size 0
		.amdhsa_kernarg_size 160
		.amdhsa_user_sgpr_count 2
		.amdhsa_user_sgpr_dispatch_ptr 0
		.amdhsa_user_sgpr_queue_ptr 0
		.amdhsa_user_sgpr_kernarg_segment_ptr 1
		.amdhsa_user_sgpr_dispatch_id 0
		.amdhsa_user_sgpr_kernarg_preload_length 0
		.amdhsa_user_sgpr_kernarg_preload_offset 0
		.amdhsa_user_sgpr_private_segment_size 0
		.amdhsa_uses_dynamic_stack 0
		.amdhsa_enable_private_segment 0
		.amdhsa_system_sgpr_workgroup_id_x 1
		.amdhsa_system_sgpr_workgroup_id_y 0
		.amdhsa_system_sgpr_workgroup_id_z 0
		.amdhsa_system_sgpr_workgroup_info 0
		.amdhsa_system_vgpr_workitem_id 0
		.amdhsa_next_free_vgpr 1
		.amdhsa_next_free_sgpr 0
		.amdhsa_accum_offset 4
		.amdhsa_reserve_vcc 0
		.amdhsa_float_round_mode_32 0
		.amdhsa_float_round_mode_16_64 0
		.amdhsa_float_denorm_mode_32 3
		.amdhsa_float_denorm_mode_16_64 3
		.amdhsa_dx10_clamp 1
		.amdhsa_ieee_mode 1
		.amdhsa_fp16_overflow 0
		.amdhsa_tg_split 0
		.amdhsa_exception_fp_ieee_invalid_op 0
		.amdhsa_exception_fp_denorm_src 0
		.amdhsa_exception_fp_ieee_div_zero 0
		.amdhsa_exception_fp_ieee_overflow 0
		.amdhsa_exception_fp_ieee_underflow 0
		.amdhsa_exception_fp_ieee_inexact 0
		.amdhsa_exception_int_div_zero 0
	.end_amdhsa_kernel
	.section	.text._ZN7rocprim17ROCPRIM_400000_NS6detail17trampoline_kernelINS0_14default_configENS1_25partition_config_selectorILNS1_17partition_subalgoE1EyNS0_10empty_typeEbEEZZNS1_14partition_implILS5_1ELb0ES3_jN6thrust23THRUST_200600_302600_NS6detail15normal_iteratorINSA_10device_ptrIyEEEEPS6_NSA_18transform_iteratorI7is_evenIyESF_NSA_11use_defaultESK_EENS0_5tupleIJNSA_16discard_iteratorISK_EESO_EEENSM_IJSG_SG_EEES6_PlJS6_EEE10hipError_tPvRmT3_T4_T5_T6_T7_T9_mT8_P12ihipStream_tbDpT10_ENKUlT_T0_E_clISt17integral_constantIbLb1EES1B_EEDaS16_S17_EUlS16_E_NS1_11comp_targetILNS1_3genE2ELNS1_11target_archE906ELNS1_3gpuE6ELNS1_3repE0EEENS1_30default_config_static_selectorELNS0_4arch9wavefront6targetE1EEEvT1_,"axG",@progbits,_ZN7rocprim17ROCPRIM_400000_NS6detail17trampoline_kernelINS0_14default_configENS1_25partition_config_selectorILNS1_17partition_subalgoE1EyNS0_10empty_typeEbEEZZNS1_14partition_implILS5_1ELb0ES3_jN6thrust23THRUST_200600_302600_NS6detail15normal_iteratorINSA_10device_ptrIyEEEEPS6_NSA_18transform_iteratorI7is_evenIyESF_NSA_11use_defaultESK_EENS0_5tupleIJNSA_16discard_iteratorISK_EESO_EEENSM_IJSG_SG_EEES6_PlJS6_EEE10hipError_tPvRmT3_T4_T5_T6_T7_T9_mT8_P12ihipStream_tbDpT10_ENKUlT_T0_E_clISt17integral_constantIbLb1EES1B_EEDaS16_S17_EUlS16_E_NS1_11comp_targetILNS1_3genE2ELNS1_11target_archE906ELNS1_3gpuE6ELNS1_3repE0EEENS1_30default_config_static_selectorELNS0_4arch9wavefront6targetE1EEEvT1_,comdat
.Lfunc_end2887:
	.size	_ZN7rocprim17ROCPRIM_400000_NS6detail17trampoline_kernelINS0_14default_configENS1_25partition_config_selectorILNS1_17partition_subalgoE1EyNS0_10empty_typeEbEEZZNS1_14partition_implILS5_1ELb0ES3_jN6thrust23THRUST_200600_302600_NS6detail15normal_iteratorINSA_10device_ptrIyEEEEPS6_NSA_18transform_iteratorI7is_evenIyESF_NSA_11use_defaultESK_EENS0_5tupleIJNSA_16discard_iteratorISK_EESO_EEENSM_IJSG_SG_EEES6_PlJS6_EEE10hipError_tPvRmT3_T4_T5_T6_T7_T9_mT8_P12ihipStream_tbDpT10_ENKUlT_T0_E_clISt17integral_constantIbLb1EES1B_EEDaS16_S17_EUlS16_E_NS1_11comp_targetILNS1_3genE2ELNS1_11target_archE906ELNS1_3gpuE6ELNS1_3repE0EEENS1_30default_config_static_selectorELNS0_4arch9wavefront6targetE1EEEvT1_, .Lfunc_end2887-_ZN7rocprim17ROCPRIM_400000_NS6detail17trampoline_kernelINS0_14default_configENS1_25partition_config_selectorILNS1_17partition_subalgoE1EyNS0_10empty_typeEbEEZZNS1_14partition_implILS5_1ELb0ES3_jN6thrust23THRUST_200600_302600_NS6detail15normal_iteratorINSA_10device_ptrIyEEEEPS6_NSA_18transform_iteratorI7is_evenIyESF_NSA_11use_defaultESK_EENS0_5tupleIJNSA_16discard_iteratorISK_EESO_EEENSM_IJSG_SG_EEES6_PlJS6_EEE10hipError_tPvRmT3_T4_T5_T6_T7_T9_mT8_P12ihipStream_tbDpT10_ENKUlT_T0_E_clISt17integral_constantIbLb1EES1B_EEDaS16_S17_EUlS16_E_NS1_11comp_targetILNS1_3genE2ELNS1_11target_archE906ELNS1_3gpuE6ELNS1_3repE0EEENS1_30default_config_static_selectorELNS0_4arch9wavefront6targetE1EEEvT1_
                                        ; -- End function
	.section	.AMDGPU.csdata,"",@progbits
; Kernel info:
; codeLenInByte = 0
; NumSgprs: 6
; NumVgprs: 0
; NumAgprs: 0
; TotalNumVgprs: 0
; ScratchSize: 0
; MemoryBound: 0
; FloatMode: 240
; IeeeMode: 1
; LDSByteSize: 0 bytes/workgroup (compile time only)
; SGPRBlocks: 0
; VGPRBlocks: 0
; NumSGPRsForWavesPerEU: 6
; NumVGPRsForWavesPerEU: 1
; AccumOffset: 4
; Occupancy: 8
; WaveLimiterHint : 0
; COMPUTE_PGM_RSRC2:SCRATCH_EN: 0
; COMPUTE_PGM_RSRC2:USER_SGPR: 2
; COMPUTE_PGM_RSRC2:TRAP_HANDLER: 0
; COMPUTE_PGM_RSRC2:TGID_X_EN: 1
; COMPUTE_PGM_RSRC2:TGID_Y_EN: 0
; COMPUTE_PGM_RSRC2:TGID_Z_EN: 0
; COMPUTE_PGM_RSRC2:TIDIG_COMP_CNT: 0
; COMPUTE_PGM_RSRC3_GFX90A:ACCUM_OFFSET: 0
; COMPUTE_PGM_RSRC3_GFX90A:TG_SPLIT: 0
	.section	.text._ZN7rocprim17ROCPRIM_400000_NS6detail17trampoline_kernelINS0_14default_configENS1_25partition_config_selectorILNS1_17partition_subalgoE1EyNS0_10empty_typeEbEEZZNS1_14partition_implILS5_1ELb0ES3_jN6thrust23THRUST_200600_302600_NS6detail15normal_iteratorINSA_10device_ptrIyEEEEPS6_NSA_18transform_iteratorI7is_evenIyESF_NSA_11use_defaultESK_EENS0_5tupleIJNSA_16discard_iteratorISK_EESO_EEENSM_IJSG_SG_EEES6_PlJS6_EEE10hipError_tPvRmT3_T4_T5_T6_T7_T9_mT8_P12ihipStream_tbDpT10_ENKUlT_T0_E_clISt17integral_constantIbLb1EES1B_EEDaS16_S17_EUlS16_E_NS1_11comp_targetILNS1_3genE10ELNS1_11target_archE1200ELNS1_3gpuE4ELNS1_3repE0EEENS1_30default_config_static_selectorELNS0_4arch9wavefront6targetE1EEEvT1_,"axG",@progbits,_ZN7rocprim17ROCPRIM_400000_NS6detail17trampoline_kernelINS0_14default_configENS1_25partition_config_selectorILNS1_17partition_subalgoE1EyNS0_10empty_typeEbEEZZNS1_14partition_implILS5_1ELb0ES3_jN6thrust23THRUST_200600_302600_NS6detail15normal_iteratorINSA_10device_ptrIyEEEEPS6_NSA_18transform_iteratorI7is_evenIyESF_NSA_11use_defaultESK_EENS0_5tupleIJNSA_16discard_iteratorISK_EESO_EEENSM_IJSG_SG_EEES6_PlJS6_EEE10hipError_tPvRmT3_T4_T5_T6_T7_T9_mT8_P12ihipStream_tbDpT10_ENKUlT_T0_E_clISt17integral_constantIbLb1EES1B_EEDaS16_S17_EUlS16_E_NS1_11comp_targetILNS1_3genE10ELNS1_11target_archE1200ELNS1_3gpuE4ELNS1_3repE0EEENS1_30default_config_static_selectorELNS0_4arch9wavefront6targetE1EEEvT1_,comdat
	.protected	_ZN7rocprim17ROCPRIM_400000_NS6detail17trampoline_kernelINS0_14default_configENS1_25partition_config_selectorILNS1_17partition_subalgoE1EyNS0_10empty_typeEbEEZZNS1_14partition_implILS5_1ELb0ES3_jN6thrust23THRUST_200600_302600_NS6detail15normal_iteratorINSA_10device_ptrIyEEEEPS6_NSA_18transform_iteratorI7is_evenIyESF_NSA_11use_defaultESK_EENS0_5tupleIJNSA_16discard_iteratorISK_EESO_EEENSM_IJSG_SG_EEES6_PlJS6_EEE10hipError_tPvRmT3_T4_T5_T6_T7_T9_mT8_P12ihipStream_tbDpT10_ENKUlT_T0_E_clISt17integral_constantIbLb1EES1B_EEDaS16_S17_EUlS16_E_NS1_11comp_targetILNS1_3genE10ELNS1_11target_archE1200ELNS1_3gpuE4ELNS1_3repE0EEENS1_30default_config_static_selectorELNS0_4arch9wavefront6targetE1EEEvT1_ ; -- Begin function _ZN7rocprim17ROCPRIM_400000_NS6detail17trampoline_kernelINS0_14default_configENS1_25partition_config_selectorILNS1_17partition_subalgoE1EyNS0_10empty_typeEbEEZZNS1_14partition_implILS5_1ELb0ES3_jN6thrust23THRUST_200600_302600_NS6detail15normal_iteratorINSA_10device_ptrIyEEEEPS6_NSA_18transform_iteratorI7is_evenIyESF_NSA_11use_defaultESK_EENS0_5tupleIJNSA_16discard_iteratorISK_EESO_EEENSM_IJSG_SG_EEES6_PlJS6_EEE10hipError_tPvRmT3_T4_T5_T6_T7_T9_mT8_P12ihipStream_tbDpT10_ENKUlT_T0_E_clISt17integral_constantIbLb1EES1B_EEDaS16_S17_EUlS16_E_NS1_11comp_targetILNS1_3genE10ELNS1_11target_archE1200ELNS1_3gpuE4ELNS1_3repE0EEENS1_30default_config_static_selectorELNS0_4arch9wavefront6targetE1EEEvT1_
	.globl	_ZN7rocprim17ROCPRIM_400000_NS6detail17trampoline_kernelINS0_14default_configENS1_25partition_config_selectorILNS1_17partition_subalgoE1EyNS0_10empty_typeEbEEZZNS1_14partition_implILS5_1ELb0ES3_jN6thrust23THRUST_200600_302600_NS6detail15normal_iteratorINSA_10device_ptrIyEEEEPS6_NSA_18transform_iteratorI7is_evenIyESF_NSA_11use_defaultESK_EENS0_5tupleIJNSA_16discard_iteratorISK_EESO_EEENSM_IJSG_SG_EEES6_PlJS6_EEE10hipError_tPvRmT3_T4_T5_T6_T7_T9_mT8_P12ihipStream_tbDpT10_ENKUlT_T0_E_clISt17integral_constantIbLb1EES1B_EEDaS16_S17_EUlS16_E_NS1_11comp_targetILNS1_3genE10ELNS1_11target_archE1200ELNS1_3gpuE4ELNS1_3repE0EEENS1_30default_config_static_selectorELNS0_4arch9wavefront6targetE1EEEvT1_
	.p2align	8
	.type	_ZN7rocprim17ROCPRIM_400000_NS6detail17trampoline_kernelINS0_14default_configENS1_25partition_config_selectorILNS1_17partition_subalgoE1EyNS0_10empty_typeEbEEZZNS1_14partition_implILS5_1ELb0ES3_jN6thrust23THRUST_200600_302600_NS6detail15normal_iteratorINSA_10device_ptrIyEEEEPS6_NSA_18transform_iteratorI7is_evenIyESF_NSA_11use_defaultESK_EENS0_5tupleIJNSA_16discard_iteratorISK_EESO_EEENSM_IJSG_SG_EEES6_PlJS6_EEE10hipError_tPvRmT3_T4_T5_T6_T7_T9_mT8_P12ihipStream_tbDpT10_ENKUlT_T0_E_clISt17integral_constantIbLb1EES1B_EEDaS16_S17_EUlS16_E_NS1_11comp_targetILNS1_3genE10ELNS1_11target_archE1200ELNS1_3gpuE4ELNS1_3repE0EEENS1_30default_config_static_selectorELNS0_4arch9wavefront6targetE1EEEvT1_,@function
_ZN7rocprim17ROCPRIM_400000_NS6detail17trampoline_kernelINS0_14default_configENS1_25partition_config_selectorILNS1_17partition_subalgoE1EyNS0_10empty_typeEbEEZZNS1_14partition_implILS5_1ELb0ES3_jN6thrust23THRUST_200600_302600_NS6detail15normal_iteratorINSA_10device_ptrIyEEEEPS6_NSA_18transform_iteratorI7is_evenIyESF_NSA_11use_defaultESK_EENS0_5tupleIJNSA_16discard_iteratorISK_EESO_EEENSM_IJSG_SG_EEES6_PlJS6_EEE10hipError_tPvRmT3_T4_T5_T6_T7_T9_mT8_P12ihipStream_tbDpT10_ENKUlT_T0_E_clISt17integral_constantIbLb1EES1B_EEDaS16_S17_EUlS16_E_NS1_11comp_targetILNS1_3genE10ELNS1_11target_archE1200ELNS1_3gpuE4ELNS1_3repE0EEENS1_30default_config_static_selectorELNS0_4arch9wavefront6targetE1EEEvT1_: ; @_ZN7rocprim17ROCPRIM_400000_NS6detail17trampoline_kernelINS0_14default_configENS1_25partition_config_selectorILNS1_17partition_subalgoE1EyNS0_10empty_typeEbEEZZNS1_14partition_implILS5_1ELb0ES3_jN6thrust23THRUST_200600_302600_NS6detail15normal_iteratorINSA_10device_ptrIyEEEEPS6_NSA_18transform_iteratorI7is_evenIyESF_NSA_11use_defaultESK_EENS0_5tupleIJNSA_16discard_iteratorISK_EESO_EEENSM_IJSG_SG_EEES6_PlJS6_EEE10hipError_tPvRmT3_T4_T5_T6_T7_T9_mT8_P12ihipStream_tbDpT10_ENKUlT_T0_E_clISt17integral_constantIbLb1EES1B_EEDaS16_S17_EUlS16_E_NS1_11comp_targetILNS1_3genE10ELNS1_11target_archE1200ELNS1_3gpuE4ELNS1_3repE0EEENS1_30default_config_static_selectorELNS0_4arch9wavefront6targetE1EEEvT1_
; %bb.0:
	.section	.rodata,"a",@progbits
	.p2align	6, 0x0
	.amdhsa_kernel _ZN7rocprim17ROCPRIM_400000_NS6detail17trampoline_kernelINS0_14default_configENS1_25partition_config_selectorILNS1_17partition_subalgoE1EyNS0_10empty_typeEbEEZZNS1_14partition_implILS5_1ELb0ES3_jN6thrust23THRUST_200600_302600_NS6detail15normal_iteratorINSA_10device_ptrIyEEEEPS6_NSA_18transform_iteratorI7is_evenIyESF_NSA_11use_defaultESK_EENS0_5tupleIJNSA_16discard_iteratorISK_EESO_EEENSM_IJSG_SG_EEES6_PlJS6_EEE10hipError_tPvRmT3_T4_T5_T6_T7_T9_mT8_P12ihipStream_tbDpT10_ENKUlT_T0_E_clISt17integral_constantIbLb1EES1B_EEDaS16_S17_EUlS16_E_NS1_11comp_targetILNS1_3genE10ELNS1_11target_archE1200ELNS1_3gpuE4ELNS1_3repE0EEENS1_30default_config_static_selectorELNS0_4arch9wavefront6targetE1EEEvT1_
		.amdhsa_group_segment_fixed_size 0
		.amdhsa_private_segment_fixed_size 0
		.amdhsa_kernarg_size 160
		.amdhsa_user_sgpr_count 2
		.amdhsa_user_sgpr_dispatch_ptr 0
		.amdhsa_user_sgpr_queue_ptr 0
		.amdhsa_user_sgpr_kernarg_segment_ptr 1
		.amdhsa_user_sgpr_dispatch_id 0
		.amdhsa_user_sgpr_kernarg_preload_length 0
		.amdhsa_user_sgpr_kernarg_preload_offset 0
		.amdhsa_user_sgpr_private_segment_size 0
		.amdhsa_uses_dynamic_stack 0
		.amdhsa_enable_private_segment 0
		.amdhsa_system_sgpr_workgroup_id_x 1
		.amdhsa_system_sgpr_workgroup_id_y 0
		.amdhsa_system_sgpr_workgroup_id_z 0
		.amdhsa_system_sgpr_workgroup_info 0
		.amdhsa_system_vgpr_workitem_id 0
		.amdhsa_next_free_vgpr 1
		.amdhsa_next_free_sgpr 0
		.amdhsa_accum_offset 4
		.amdhsa_reserve_vcc 0
		.amdhsa_float_round_mode_32 0
		.amdhsa_float_round_mode_16_64 0
		.amdhsa_float_denorm_mode_32 3
		.amdhsa_float_denorm_mode_16_64 3
		.amdhsa_dx10_clamp 1
		.amdhsa_ieee_mode 1
		.amdhsa_fp16_overflow 0
		.amdhsa_tg_split 0
		.amdhsa_exception_fp_ieee_invalid_op 0
		.amdhsa_exception_fp_denorm_src 0
		.amdhsa_exception_fp_ieee_div_zero 0
		.amdhsa_exception_fp_ieee_overflow 0
		.amdhsa_exception_fp_ieee_underflow 0
		.amdhsa_exception_fp_ieee_inexact 0
		.amdhsa_exception_int_div_zero 0
	.end_amdhsa_kernel
	.section	.text._ZN7rocprim17ROCPRIM_400000_NS6detail17trampoline_kernelINS0_14default_configENS1_25partition_config_selectorILNS1_17partition_subalgoE1EyNS0_10empty_typeEbEEZZNS1_14partition_implILS5_1ELb0ES3_jN6thrust23THRUST_200600_302600_NS6detail15normal_iteratorINSA_10device_ptrIyEEEEPS6_NSA_18transform_iteratorI7is_evenIyESF_NSA_11use_defaultESK_EENS0_5tupleIJNSA_16discard_iteratorISK_EESO_EEENSM_IJSG_SG_EEES6_PlJS6_EEE10hipError_tPvRmT3_T4_T5_T6_T7_T9_mT8_P12ihipStream_tbDpT10_ENKUlT_T0_E_clISt17integral_constantIbLb1EES1B_EEDaS16_S17_EUlS16_E_NS1_11comp_targetILNS1_3genE10ELNS1_11target_archE1200ELNS1_3gpuE4ELNS1_3repE0EEENS1_30default_config_static_selectorELNS0_4arch9wavefront6targetE1EEEvT1_,"axG",@progbits,_ZN7rocprim17ROCPRIM_400000_NS6detail17trampoline_kernelINS0_14default_configENS1_25partition_config_selectorILNS1_17partition_subalgoE1EyNS0_10empty_typeEbEEZZNS1_14partition_implILS5_1ELb0ES3_jN6thrust23THRUST_200600_302600_NS6detail15normal_iteratorINSA_10device_ptrIyEEEEPS6_NSA_18transform_iteratorI7is_evenIyESF_NSA_11use_defaultESK_EENS0_5tupleIJNSA_16discard_iteratorISK_EESO_EEENSM_IJSG_SG_EEES6_PlJS6_EEE10hipError_tPvRmT3_T4_T5_T6_T7_T9_mT8_P12ihipStream_tbDpT10_ENKUlT_T0_E_clISt17integral_constantIbLb1EES1B_EEDaS16_S17_EUlS16_E_NS1_11comp_targetILNS1_3genE10ELNS1_11target_archE1200ELNS1_3gpuE4ELNS1_3repE0EEENS1_30default_config_static_selectorELNS0_4arch9wavefront6targetE1EEEvT1_,comdat
.Lfunc_end2888:
	.size	_ZN7rocprim17ROCPRIM_400000_NS6detail17trampoline_kernelINS0_14default_configENS1_25partition_config_selectorILNS1_17partition_subalgoE1EyNS0_10empty_typeEbEEZZNS1_14partition_implILS5_1ELb0ES3_jN6thrust23THRUST_200600_302600_NS6detail15normal_iteratorINSA_10device_ptrIyEEEEPS6_NSA_18transform_iteratorI7is_evenIyESF_NSA_11use_defaultESK_EENS0_5tupleIJNSA_16discard_iteratorISK_EESO_EEENSM_IJSG_SG_EEES6_PlJS6_EEE10hipError_tPvRmT3_T4_T5_T6_T7_T9_mT8_P12ihipStream_tbDpT10_ENKUlT_T0_E_clISt17integral_constantIbLb1EES1B_EEDaS16_S17_EUlS16_E_NS1_11comp_targetILNS1_3genE10ELNS1_11target_archE1200ELNS1_3gpuE4ELNS1_3repE0EEENS1_30default_config_static_selectorELNS0_4arch9wavefront6targetE1EEEvT1_, .Lfunc_end2888-_ZN7rocprim17ROCPRIM_400000_NS6detail17trampoline_kernelINS0_14default_configENS1_25partition_config_selectorILNS1_17partition_subalgoE1EyNS0_10empty_typeEbEEZZNS1_14partition_implILS5_1ELb0ES3_jN6thrust23THRUST_200600_302600_NS6detail15normal_iteratorINSA_10device_ptrIyEEEEPS6_NSA_18transform_iteratorI7is_evenIyESF_NSA_11use_defaultESK_EENS0_5tupleIJNSA_16discard_iteratorISK_EESO_EEENSM_IJSG_SG_EEES6_PlJS6_EEE10hipError_tPvRmT3_T4_T5_T6_T7_T9_mT8_P12ihipStream_tbDpT10_ENKUlT_T0_E_clISt17integral_constantIbLb1EES1B_EEDaS16_S17_EUlS16_E_NS1_11comp_targetILNS1_3genE10ELNS1_11target_archE1200ELNS1_3gpuE4ELNS1_3repE0EEENS1_30default_config_static_selectorELNS0_4arch9wavefront6targetE1EEEvT1_
                                        ; -- End function
	.section	.AMDGPU.csdata,"",@progbits
; Kernel info:
; codeLenInByte = 0
; NumSgprs: 6
; NumVgprs: 0
; NumAgprs: 0
; TotalNumVgprs: 0
; ScratchSize: 0
; MemoryBound: 0
; FloatMode: 240
; IeeeMode: 1
; LDSByteSize: 0 bytes/workgroup (compile time only)
; SGPRBlocks: 0
; VGPRBlocks: 0
; NumSGPRsForWavesPerEU: 6
; NumVGPRsForWavesPerEU: 1
; AccumOffset: 4
; Occupancy: 8
; WaveLimiterHint : 0
; COMPUTE_PGM_RSRC2:SCRATCH_EN: 0
; COMPUTE_PGM_RSRC2:USER_SGPR: 2
; COMPUTE_PGM_RSRC2:TRAP_HANDLER: 0
; COMPUTE_PGM_RSRC2:TGID_X_EN: 1
; COMPUTE_PGM_RSRC2:TGID_Y_EN: 0
; COMPUTE_PGM_RSRC2:TGID_Z_EN: 0
; COMPUTE_PGM_RSRC2:TIDIG_COMP_CNT: 0
; COMPUTE_PGM_RSRC3_GFX90A:ACCUM_OFFSET: 0
; COMPUTE_PGM_RSRC3_GFX90A:TG_SPLIT: 0
	.section	.text._ZN7rocprim17ROCPRIM_400000_NS6detail17trampoline_kernelINS0_14default_configENS1_25partition_config_selectorILNS1_17partition_subalgoE1EyNS0_10empty_typeEbEEZZNS1_14partition_implILS5_1ELb0ES3_jN6thrust23THRUST_200600_302600_NS6detail15normal_iteratorINSA_10device_ptrIyEEEEPS6_NSA_18transform_iteratorI7is_evenIyESF_NSA_11use_defaultESK_EENS0_5tupleIJNSA_16discard_iteratorISK_EESO_EEENSM_IJSG_SG_EEES6_PlJS6_EEE10hipError_tPvRmT3_T4_T5_T6_T7_T9_mT8_P12ihipStream_tbDpT10_ENKUlT_T0_E_clISt17integral_constantIbLb1EES1B_EEDaS16_S17_EUlS16_E_NS1_11comp_targetILNS1_3genE9ELNS1_11target_archE1100ELNS1_3gpuE3ELNS1_3repE0EEENS1_30default_config_static_selectorELNS0_4arch9wavefront6targetE1EEEvT1_,"axG",@progbits,_ZN7rocprim17ROCPRIM_400000_NS6detail17trampoline_kernelINS0_14default_configENS1_25partition_config_selectorILNS1_17partition_subalgoE1EyNS0_10empty_typeEbEEZZNS1_14partition_implILS5_1ELb0ES3_jN6thrust23THRUST_200600_302600_NS6detail15normal_iteratorINSA_10device_ptrIyEEEEPS6_NSA_18transform_iteratorI7is_evenIyESF_NSA_11use_defaultESK_EENS0_5tupleIJNSA_16discard_iteratorISK_EESO_EEENSM_IJSG_SG_EEES6_PlJS6_EEE10hipError_tPvRmT3_T4_T5_T6_T7_T9_mT8_P12ihipStream_tbDpT10_ENKUlT_T0_E_clISt17integral_constantIbLb1EES1B_EEDaS16_S17_EUlS16_E_NS1_11comp_targetILNS1_3genE9ELNS1_11target_archE1100ELNS1_3gpuE3ELNS1_3repE0EEENS1_30default_config_static_selectorELNS0_4arch9wavefront6targetE1EEEvT1_,comdat
	.protected	_ZN7rocprim17ROCPRIM_400000_NS6detail17trampoline_kernelINS0_14default_configENS1_25partition_config_selectorILNS1_17partition_subalgoE1EyNS0_10empty_typeEbEEZZNS1_14partition_implILS5_1ELb0ES3_jN6thrust23THRUST_200600_302600_NS6detail15normal_iteratorINSA_10device_ptrIyEEEEPS6_NSA_18transform_iteratorI7is_evenIyESF_NSA_11use_defaultESK_EENS0_5tupleIJNSA_16discard_iteratorISK_EESO_EEENSM_IJSG_SG_EEES6_PlJS6_EEE10hipError_tPvRmT3_T4_T5_T6_T7_T9_mT8_P12ihipStream_tbDpT10_ENKUlT_T0_E_clISt17integral_constantIbLb1EES1B_EEDaS16_S17_EUlS16_E_NS1_11comp_targetILNS1_3genE9ELNS1_11target_archE1100ELNS1_3gpuE3ELNS1_3repE0EEENS1_30default_config_static_selectorELNS0_4arch9wavefront6targetE1EEEvT1_ ; -- Begin function _ZN7rocprim17ROCPRIM_400000_NS6detail17trampoline_kernelINS0_14default_configENS1_25partition_config_selectorILNS1_17partition_subalgoE1EyNS0_10empty_typeEbEEZZNS1_14partition_implILS5_1ELb0ES3_jN6thrust23THRUST_200600_302600_NS6detail15normal_iteratorINSA_10device_ptrIyEEEEPS6_NSA_18transform_iteratorI7is_evenIyESF_NSA_11use_defaultESK_EENS0_5tupleIJNSA_16discard_iteratorISK_EESO_EEENSM_IJSG_SG_EEES6_PlJS6_EEE10hipError_tPvRmT3_T4_T5_T6_T7_T9_mT8_P12ihipStream_tbDpT10_ENKUlT_T0_E_clISt17integral_constantIbLb1EES1B_EEDaS16_S17_EUlS16_E_NS1_11comp_targetILNS1_3genE9ELNS1_11target_archE1100ELNS1_3gpuE3ELNS1_3repE0EEENS1_30default_config_static_selectorELNS0_4arch9wavefront6targetE1EEEvT1_
	.globl	_ZN7rocprim17ROCPRIM_400000_NS6detail17trampoline_kernelINS0_14default_configENS1_25partition_config_selectorILNS1_17partition_subalgoE1EyNS0_10empty_typeEbEEZZNS1_14partition_implILS5_1ELb0ES3_jN6thrust23THRUST_200600_302600_NS6detail15normal_iteratorINSA_10device_ptrIyEEEEPS6_NSA_18transform_iteratorI7is_evenIyESF_NSA_11use_defaultESK_EENS0_5tupleIJNSA_16discard_iteratorISK_EESO_EEENSM_IJSG_SG_EEES6_PlJS6_EEE10hipError_tPvRmT3_T4_T5_T6_T7_T9_mT8_P12ihipStream_tbDpT10_ENKUlT_T0_E_clISt17integral_constantIbLb1EES1B_EEDaS16_S17_EUlS16_E_NS1_11comp_targetILNS1_3genE9ELNS1_11target_archE1100ELNS1_3gpuE3ELNS1_3repE0EEENS1_30default_config_static_selectorELNS0_4arch9wavefront6targetE1EEEvT1_
	.p2align	8
	.type	_ZN7rocprim17ROCPRIM_400000_NS6detail17trampoline_kernelINS0_14default_configENS1_25partition_config_selectorILNS1_17partition_subalgoE1EyNS0_10empty_typeEbEEZZNS1_14partition_implILS5_1ELb0ES3_jN6thrust23THRUST_200600_302600_NS6detail15normal_iteratorINSA_10device_ptrIyEEEEPS6_NSA_18transform_iteratorI7is_evenIyESF_NSA_11use_defaultESK_EENS0_5tupleIJNSA_16discard_iteratorISK_EESO_EEENSM_IJSG_SG_EEES6_PlJS6_EEE10hipError_tPvRmT3_T4_T5_T6_T7_T9_mT8_P12ihipStream_tbDpT10_ENKUlT_T0_E_clISt17integral_constantIbLb1EES1B_EEDaS16_S17_EUlS16_E_NS1_11comp_targetILNS1_3genE9ELNS1_11target_archE1100ELNS1_3gpuE3ELNS1_3repE0EEENS1_30default_config_static_selectorELNS0_4arch9wavefront6targetE1EEEvT1_,@function
_ZN7rocprim17ROCPRIM_400000_NS6detail17trampoline_kernelINS0_14default_configENS1_25partition_config_selectorILNS1_17partition_subalgoE1EyNS0_10empty_typeEbEEZZNS1_14partition_implILS5_1ELb0ES3_jN6thrust23THRUST_200600_302600_NS6detail15normal_iteratorINSA_10device_ptrIyEEEEPS6_NSA_18transform_iteratorI7is_evenIyESF_NSA_11use_defaultESK_EENS0_5tupleIJNSA_16discard_iteratorISK_EESO_EEENSM_IJSG_SG_EEES6_PlJS6_EEE10hipError_tPvRmT3_T4_T5_T6_T7_T9_mT8_P12ihipStream_tbDpT10_ENKUlT_T0_E_clISt17integral_constantIbLb1EES1B_EEDaS16_S17_EUlS16_E_NS1_11comp_targetILNS1_3genE9ELNS1_11target_archE1100ELNS1_3gpuE3ELNS1_3repE0EEENS1_30default_config_static_selectorELNS0_4arch9wavefront6targetE1EEEvT1_: ; @_ZN7rocprim17ROCPRIM_400000_NS6detail17trampoline_kernelINS0_14default_configENS1_25partition_config_selectorILNS1_17partition_subalgoE1EyNS0_10empty_typeEbEEZZNS1_14partition_implILS5_1ELb0ES3_jN6thrust23THRUST_200600_302600_NS6detail15normal_iteratorINSA_10device_ptrIyEEEEPS6_NSA_18transform_iteratorI7is_evenIyESF_NSA_11use_defaultESK_EENS0_5tupleIJNSA_16discard_iteratorISK_EESO_EEENSM_IJSG_SG_EEES6_PlJS6_EEE10hipError_tPvRmT3_T4_T5_T6_T7_T9_mT8_P12ihipStream_tbDpT10_ENKUlT_T0_E_clISt17integral_constantIbLb1EES1B_EEDaS16_S17_EUlS16_E_NS1_11comp_targetILNS1_3genE9ELNS1_11target_archE1100ELNS1_3gpuE3ELNS1_3repE0EEENS1_30default_config_static_selectorELNS0_4arch9wavefront6targetE1EEEvT1_
; %bb.0:
	.section	.rodata,"a",@progbits
	.p2align	6, 0x0
	.amdhsa_kernel _ZN7rocprim17ROCPRIM_400000_NS6detail17trampoline_kernelINS0_14default_configENS1_25partition_config_selectorILNS1_17partition_subalgoE1EyNS0_10empty_typeEbEEZZNS1_14partition_implILS5_1ELb0ES3_jN6thrust23THRUST_200600_302600_NS6detail15normal_iteratorINSA_10device_ptrIyEEEEPS6_NSA_18transform_iteratorI7is_evenIyESF_NSA_11use_defaultESK_EENS0_5tupleIJNSA_16discard_iteratorISK_EESO_EEENSM_IJSG_SG_EEES6_PlJS6_EEE10hipError_tPvRmT3_T4_T5_T6_T7_T9_mT8_P12ihipStream_tbDpT10_ENKUlT_T0_E_clISt17integral_constantIbLb1EES1B_EEDaS16_S17_EUlS16_E_NS1_11comp_targetILNS1_3genE9ELNS1_11target_archE1100ELNS1_3gpuE3ELNS1_3repE0EEENS1_30default_config_static_selectorELNS0_4arch9wavefront6targetE1EEEvT1_
		.amdhsa_group_segment_fixed_size 0
		.amdhsa_private_segment_fixed_size 0
		.amdhsa_kernarg_size 160
		.amdhsa_user_sgpr_count 2
		.amdhsa_user_sgpr_dispatch_ptr 0
		.amdhsa_user_sgpr_queue_ptr 0
		.amdhsa_user_sgpr_kernarg_segment_ptr 1
		.amdhsa_user_sgpr_dispatch_id 0
		.amdhsa_user_sgpr_kernarg_preload_length 0
		.amdhsa_user_sgpr_kernarg_preload_offset 0
		.amdhsa_user_sgpr_private_segment_size 0
		.amdhsa_uses_dynamic_stack 0
		.amdhsa_enable_private_segment 0
		.amdhsa_system_sgpr_workgroup_id_x 1
		.amdhsa_system_sgpr_workgroup_id_y 0
		.amdhsa_system_sgpr_workgroup_id_z 0
		.amdhsa_system_sgpr_workgroup_info 0
		.amdhsa_system_vgpr_workitem_id 0
		.amdhsa_next_free_vgpr 1
		.amdhsa_next_free_sgpr 0
		.amdhsa_accum_offset 4
		.amdhsa_reserve_vcc 0
		.amdhsa_float_round_mode_32 0
		.amdhsa_float_round_mode_16_64 0
		.amdhsa_float_denorm_mode_32 3
		.amdhsa_float_denorm_mode_16_64 3
		.amdhsa_dx10_clamp 1
		.amdhsa_ieee_mode 1
		.amdhsa_fp16_overflow 0
		.amdhsa_tg_split 0
		.amdhsa_exception_fp_ieee_invalid_op 0
		.amdhsa_exception_fp_denorm_src 0
		.amdhsa_exception_fp_ieee_div_zero 0
		.amdhsa_exception_fp_ieee_overflow 0
		.amdhsa_exception_fp_ieee_underflow 0
		.amdhsa_exception_fp_ieee_inexact 0
		.amdhsa_exception_int_div_zero 0
	.end_amdhsa_kernel
	.section	.text._ZN7rocprim17ROCPRIM_400000_NS6detail17trampoline_kernelINS0_14default_configENS1_25partition_config_selectorILNS1_17partition_subalgoE1EyNS0_10empty_typeEbEEZZNS1_14partition_implILS5_1ELb0ES3_jN6thrust23THRUST_200600_302600_NS6detail15normal_iteratorINSA_10device_ptrIyEEEEPS6_NSA_18transform_iteratorI7is_evenIyESF_NSA_11use_defaultESK_EENS0_5tupleIJNSA_16discard_iteratorISK_EESO_EEENSM_IJSG_SG_EEES6_PlJS6_EEE10hipError_tPvRmT3_T4_T5_T6_T7_T9_mT8_P12ihipStream_tbDpT10_ENKUlT_T0_E_clISt17integral_constantIbLb1EES1B_EEDaS16_S17_EUlS16_E_NS1_11comp_targetILNS1_3genE9ELNS1_11target_archE1100ELNS1_3gpuE3ELNS1_3repE0EEENS1_30default_config_static_selectorELNS0_4arch9wavefront6targetE1EEEvT1_,"axG",@progbits,_ZN7rocprim17ROCPRIM_400000_NS6detail17trampoline_kernelINS0_14default_configENS1_25partition_config_selectorILNS1_17partition_subalgoE1EyNS0_10empty_typeEbEEZZNS1_14partition_implILS5_1ELb0ES3_jN6thrust23THRUST_200600_302600_NS6detail15normal_iteratorINSA_10device_ptrIyEEEEPS6_NSA_18transform_iteratorI7is_evenIyESF_NSA_11use_defaultESK_EENS0_5tupleIJNSA_16discard_iteratorISK_EESO_EEENSM_IJSG_SG_EEES6_PlJS6_EEE10hipError_tPvRmT3_T4_T5_T6_T7_T9_mT8_P12ihipStream_tbDpT10_ENKUlT_T0_E_clISt17integral_constantIbLb1EES1B_EEDaS16_S17_EUlS16_E_NS1_11comp_targetILNS1_3genE9ELNS1_11target_archE1100ELNS1_3gpuE3ELNS1_3repE0EEENS1_30default_config_static_selectorELNS0_4arch9wavefront6targetE1EEEvT1_,comdat
.Lfunc_end2889:
	.size	_ZN7rocprim17ROCPRIM_400000_NS6detail17trampoline_kernelINS0_14default_configENS1_25partition_config_selectorILNS1_17partition_subalgoE1EyNS0_10empty_typeEbEEZZNS1_14partition_implILS5_1ELb0ES3_jN6thrust23THRUST_200600_302600_NS6detail15normal_iteratorINSA_10device_ptrIyEEEEPS6_NSA_18transform_iteratorI7is_evenIyESF_NSA_11use_defaultESK_EENS0_5tupleIJNSA_16discard_iteratorISK_EESO_EEENSM_IJSG_SG_EEES6_PlJS6_EEE10hipError_tPvRmT3_T4_T5_T6_T7_T9_mT8_P12ihipStream_tbDpT10_ENKUlT_T0_E_clISt17integral_constantIbLb1EES1B_EEDaS16_S17_EUlS16_E_NS1_11comp_targetILNS1_3genE9ELNS1_11target_archE1100ELNS1_3gpuE3ELNS1_3repE0EEENS1_30default_config_static_selectorELNS0_4arch9wavefront6targetE1EEEvT1_, .Lfunc_end2889-_ZN7rocprim17ROCPRIM_400000_NS6detail17trampoline_kernelINS0_14default_configENS1_25partition_config_selectorILNS1_17partition_subalgoE1EyNS0_10empty_typeEbEEZZNS1_14partition_implILS5_1ELb0ES3_jN6thrust23THRUST_200600_302600_NS6detail15normal_iteratorINSA_10device_ptrIyEEEEPS6_NSA_18transform_iteratorI7is_evenIyESF_NSA_11use_defaultESK_EENS0_5tupleIJNSA_16discard_iteratorISK_EESO_EEENSM_IJSG_SG_EEES6_PlJS6_EEE10hipError_tPvRmT3_T4_T5_T6_T7_T9_mT8_P12ihipStream_tbDpT10_ENKUlT_T0_E_clISt17integral_constantIbLb1EES1B_EEDaS16_S17_EUlS16_E_NS1_11comp_targetILNS1_3genE9ELNS1_11target_archE1100ELNS1_3gpuE3ELNS1_3repE0EEENS1_30default_config_static_selectorELNS0_4arch9wavefront6targetE1EEEvT1_
                                        ; -- End function
	.section	.AMDGPU.csdata,"",@progbits
; Kernel info:
; codeLenInByte = 0
; NumSgprs: 6
; NumVgprs: 0
; NumAgprs: 0
; TotalNumVgprs: 0
; ScratchSize: 0
; MemoryBound: 0
; FloatMode: 240
; IeeeMode: 1
; LDSByteSize: 0 bytes/workgroup (compile time only)
; SGPRBlocks: 0
; VGPRBlocks: 0
; NumSGPRsForWavesPerEU: 6
; NumVGPRsForWavesPerEU: 1
; AccumOffset: 4
; Occupancy: 8
; WaveLimiterHint : 0
; COMPUTE_PGM_RSRC2:SCRATCH_EN: 0
; COMPUTE_PGM_RSRC2:USER_SGPR: 2
; COMPUTE_PGM_RSRC2:TRAP_HANDLER: 0
; COMPUTE_PGM_RSRC2:TGID_X_EN: 1
; COMPUTE_PGM_RSRC2:TGID_Y_EN: 0
; COMPUTE_PGM_RSRC2:TGID_Z_EN: 0
; COMPUTE_PGM_RSRC2:TIDIG_COMP_CNT: 0
; COMPUTE_PGM_RSRC3_GFX90A:ACCUM_OFFSET: 0
; COMPUTE_PGM_RSRC3_GFX90A:TG_SPLIT: 0
	.section	.text._ZN7rocprim17ROCPRIM_400000_NS6detail17trampoline_kernelINS0_14default_configENS1_25partition_config_selectorILNS1_17partition_subalgoE1EyNS0_10empty_typeEbEEZZNS1_14partition_implILS5_1ELb0ES3_jN6thrust23THRUST_200600_302600_NS6detail15normal_iteratorINSA_10device_ptrIyEEEEPS6_NSA_18transform_iteratorI7is_evenIyESF_NSA_11use_defaultESK_EENS0_5tupleIJNSA_16discard_iteratorISK_EESO_EEENSM_IJSG_SG_EEES6_PlJS6_EEE10hipError_tPvRmT3_T4_T5_T6_T7_T9_mT8_P12ihipStream_tbDpT10_ENKUlT_T0_E_clISt17integral_constantIbLb1EES1B_EEDaS16_S17_EUlS16_E_NS1_11comp_targetILNS1_3genE8ELNS1_11target_archE1030ELNS1_3gpuE2ELNS1_3repE0EEENS1_30default_config_static_selectorELNS0_4arch9wavefront6targetE1EEEvT1_,"axG",@progbits,_ZN7rocprim17ROCPRIM_400000_NS6detail17trampoline_kernelINS0_14default_configENS1_25partition_config_selectorILNS1_17partition_subalgoE1EyNS0_10empty_typeEbEEZZNS1_14partition_implILS5_1ELb0ES3_jN6thrust23THRUST_200600_302600_NS6detail15normal_iteratorINSA_10device_ptrIyEEEEPS6_NSA_18transform_iteratorI7is_evenIyESF_NSA_11use_defaultESK_EENS0_5tupleIJNSA_16discard_iteratorISK_EESO_EEENSM_IJSG_SG_EEES6_PlJS6_EEE10hipError_tPvRmT3_T4_T5_T6_T7_T9_mT8_P12ihipStream_tbDpT10_ENKUlT_T0_E_clISt17integral_constantIbLb1EES1B_EEDaS16_S17_EUlS16_E_NS1_11comp_targetILNS1_3genE8ELNS1_11target_archE1030ELNS1_3gpuE2ELNS1_3repE0EEENS1_30default_config_static_selectorELNS0_4arch9wavefront6targetE1EEEvT1_,comdat
	.protected	_ZN7rocprim17ROCPRIM_400000_NS6detail17trampoline_kernelINS0_14default_configENS1_25partition_config_selectorILNS1_17partition_subalgoE1EyNS0_10empty_typeEbEEZZNS1_14partition_implILS5_1ELb0ES3_jN6thrust23THRUST_200600_302600_NS6detail15normal_iteratorINSA_10device_ptrIyEEEEPS6_NSA_18transform_iteratorI7is_evenIyESF_NSA_11use_defaultESK_EENS0_5tupleIJNSA_16discard_iteratorISK_EESO_EEENSM_IJSG_SG_EEES6_PlJS6_EEE10hipError_tPvRmT3_T4_T5_T6_T7_T9_mT8_P12ihipStream_tbDpT10_ENKUlT_T0_E_clISt17integral_constantIbLb1EES1B_EEDaS16_S17_EUlS16_E_NS1_11comp_targetILNS1_3genE8ELNS1_11target_archE1030ELNS1_3gpuE2ELNS1_3repE0EEENS1_30default_config_static_selectorELNS0_4arch9wavefront6targetE1EEEvT1_ ; -- Begin function _ZN7rocprim17ROCPRIM_400000_NS6detail17trampoline_kernelINS0_14default_configENS1_25partition_config_selectorILNS1_17partition_subalgoE1EyNS0_10empty_typeEbEEZZNS1_14partition_implILS5_1ELb0ES3_jN6thrust23THRUST_200600_302600_NS6detail15normal_iteratorINSA_10device_ptrIyEEEEPS6_NSA_18transform_iteratorI7is_evenIyESF_NSA_11use_defaultESK_EENS0_5tupleIJNSA_16discard_iteratorISK_EESO_EEENSM_IJSG_SG_EEES6_PlJS6_EEE10hipError_tPvRmT3_T4_T5_T6_T7_T9_mT8_P12ihipStream_tbDpT10_ENKUlT_T0_E_clISt17integral_constantIbLb1EES1B_EEDaS16_S17_EUlS16_E_NS1_11comp_targetILNS1_3genE8ELNS1_11target_archE1030ELNS1_3gpuE2ELNS1_3repE0EEENS1_30default_config_static_selectorELNS0_4arch9wavefront6targetE1EEEvT1_
	.globl	_ZN7rocprim17ROCPRIM_400000_NS6detail17trampoline_kernelINS0_14default_configENS1_25partition_config_selectorILNS1_17partition_subalgoE1EyNS0_10empty_typeEbEEZZNS1_14partition_implILS5_1ELb0ES3_jN6thrust23THRUST_200600_302600_NS6detail15normal_iteratorINSA_10device_ptrIyEEEEPS6_NSA_18transform_iteratorI7is_evenIyESF_NSA_11use_defaultESK_EENS0_5tupleIJNSA_16discard_iteratorISK_EESO_EEENSM_IJSG_SG_EEES6_PlJS6_EEE10hipError_tPvRmT3_T4_T5_T6_T7_T9_mT8_P12ihipStream_tbDpT10_ENKUlT_T0_E_clISt17integral_constantIbLb1EES1B_EEDaS16_S17_EUlS16_E_NS1_11comp_targetILNS1_3genE8ELNS1_11target_archE1030ELNS1_3gpuE2ELNS1_3repE0EEENS1_30default_config_static_selectorELNS0_4arch9wavefront6targetE1EEEvT1_
	.p2align	8
	.type	_ZN7rocprim17ROCPRIM_400000_NS6detail17trampoline_kernelINS0_14default_configENS1_25partition_config_selectorILNS1_17partition_subalgoE1EyNS0_10empty_typeEbEEZZNS1_14partition_implILS5_1ELb0ES3_jN6thrust23THRUST_200600_302600_NS6detail15normal_iteratorINSA_10device_ptrIyEEEEPS6_NSA_18transform_iteratorI7is_evenIyESF_NSA_11use_defaultESK_EENS0_5tupleIJNSA_16discard_iteratorISK_EESO_EEENSM_IJSG_SG_EEES6_PlJS6_EEE10hipError_tPvRmT3_T4_T5_T6_T7_T9_mT8_P12ihipStream_tbDpT10_ENKUlT_T0_E_clISt17integral_constantIbLb1EES1B_EEDaS16_S17_EUlS16_E_NS1_11comp_targetILNS1_3genE8ELNS1_11target_archE1030ELNS1_3gpuE2ELNS1_3repE0EEENS1_30default_config_static_selectorELNS0_4arch9wavefront6targetE1EEEvT1_,@function
_ZN7rocprim17ROCPRIM_400000_NS6detail17trampoline_kernelINS0_14default_configENS1_25partition_config_selectorILNS1_17partition_subalgoE1EyNS0_10empty_typeEbEEZZNS1_14partition_implILS5_1ELb0ES3_jN6thrust23THRUST_200600_302600_NS6detail15normal_iteratorINSA_10device_ptrIyEEEEPS6_NSA_18transform_iteratorI7is_evenIyESF_NSA_11use_defaultESK_EENS0_5tupleIJNSA_16discard_iteratorISK_EESO_EEENSM_IJSG_SG_EEES6_PlJS6_EEE10hipError_tPvRmT3_T4_T5_T6_T7_T9_mT8_P12ihipStream_tbDpT10_ENKUlT_T0_E_clISt17integral_constantIbLb1EES1B_EEDaS16_S17_EUlS16_E_NS1_11comp_targetILNS1_3genE8ELNS1_11target_archE1030ELNS1_3gpuE2ELNS1_3repE0EEENS1_30default_config_static_selectorELNS0_4arch9wavefront6targetE1EEEvT1_: ; @_ZN7rocprim17ROCPRIM_400000_NS6detail17trampoline_kernelINS0_14default_configENS1_25partition_config_selectorILNS1_17partition_subalgoE1EyNS0_10empty_typeEbEEZZNS1_14partition_implILS5_1ELb0ES3_jN6thrust23THRUST_200600_302600_NS6detail15normal_iteratorINSA_10device_ptrIyEEEEPS6_NSA_18transform_iteratorI7is_evenIyESF_NSA_11use_defaultESK_EENS0_5tupleIJNSA_16discard_iteratorISK_EESO_EEENSM_IJSG_SG_EEES6_PlJS6_EEE10hipError_tPvRmT3_T4_T5_T6_T7_T9_mT8_P12ihipStream_tbDpT10_ENKUlT_T0_E_clISt17integral_constantIbLb1EES1B_EEDaS16_S17_EUlS16_E_NS1_11comp_targetILNS1_3genE8ELNS1_11target_archE1030ELNS1_3gpuE2ELNS1_3repE0EEENS1_30default_config_static_selectorELNS0_4arch9wavefront6targetE1EEEvT1_
; %bb.0:
	.section	.rodata,"a",@progbits
	.p2align	6, 0x0
	.amdhsa_kernel _ZN7rocprim17ROCPRIM_400000_NS6detail17trampoline_kernelINS0_14default_configENS1_25partition_config_selectorILNS1_17partition_subalgoE1EyNS0_10empty_typeEbEEZZNS1_14partition_implILS5_1ELb0ES3_jN6thrust23THRUST_200600_302600_NS6detail15normal_iteratorINSA_10device_ptrIyEEEEPS6_NSA_18transform_iteratorI7is_evenIyESF_NSA_11use_defaultESK_EENS0_5tupleIJNSA_16discard_iteratorISK_EESO_EEENSM_IJSG_SG_EEES6_PlJS6_EEE10hipError_tPvRmT3_T4_T5_T6_T7_T9_mT8_P12ihipStream_tbDpT10_ENKUlT_T0_E_clISt17integral_constantIbLb1EES1B_EEDaS16_S17_EUlS16_E_NS1_11comp_targetILNS1_3genE8ELNS1_11target_archE1030ELNS1_3gpuE2ELNS1_3repE0EEENS1_30default_config_static_selectorELNS0_4arch9wavefront6targetE1EEEvT1_
		.amdhsa_group_segment_fixed_size 0
		.amdhsa_private_segment_fixed_size 0
		.amdhsa_kernarg_size 160
		.amdhsa_user_sgpr_count 2
		.amdhsa_user_sgpr_dispatch_ptr 0
		.amdhsa_user_sgpr_queue_ptr 0
		.amdhsa_user_sgpr_kernarg_segment_ptr 1
		.amdhsa_user_sgpr_dispatch_id 0
		.amdhsa_user_sgpr_kernarg_preload_length 0
		.amdhsa_user_sgpr_kernarg_preload_offset 0
		.amdhsa_user_sgpr_private_segment_size 0
		.amdhsa_uses_dynamic_stack 0
		.amdhsa_enable_private_segment 0
		.amdhsa_system_sgpr_workgroup_id_x 1
		.amdhsa_system_sgpr_workgroup_id_y 0
		.amdhsa_system_sgpr_workgroup_id_z 0
		.amdhsa_system_sgpr_workgroup_info 0
		.amdhsa_system_vgpr_workitem_id 0
		.amdhsa_next_free_vgpr 1
		.amdhsa_next_free_sgpr 0
		.amdhsa_accum_offset 4
		.amdhsa_reserve_vcc 0
		.amdhsa_float_round_mode_32 0
		.amdhsa_float_round_mode_16_64 0
		.amdhsa_float_denorm_mode_32 3
		.amdhsa_float_denorm_mode_16_64 3
		.amdhsa_dx10_clamp 1
		.amdhsa_ieee_mode 1
		.amdhsa_fp16_overflow 0
		.amdhsa_tg_split 0
		.amdhsa_exception_fp_ieee_invalid_op 0
		.amdhsa_exception_fp_denorm_src 0
		.amdhsa_exception_fp_ieee_div_zero 0
		.amdhsa_exception_fp_ieee_overflow 0
		.amdhsa_exception_fp_ieee_underflow 0
		.amdhsa_exception_fp_ieee_inexact 0
		.amdhsa_exception_int_div_zero 0
	.end_amdhsa_kernel
	.section	.text._ZN7rocprim17ROCPRIM_400000_NS6detail17trampoline_kernelINS0_14default_configENS1_25partition_config_selectorILNS1_17partition_subalgoE1EyNS0_10empty_typeEbEEZZNS1_14partition_implILS5_1ELb0ES3_jN6thrust23THRUST_200600_302600_NS6detail15normal_iteratorINSA_10device_ptrIyEEEEPS6_NSA_18transform_iteratorI7is_evenIyESF_NSA_11use_defaultESK_EENS0_5tupleIJNSA_16discard_iteratorISK_EESO_EEENSM_IJSG_SG_EEES6_PlJS6_EEE10hipError_tPvRmT3_T4_T5_T6_T7_T9_mT8_P12ihipStream_tbDpT10_ENKUlT_T0_E_clISt17integral_constantIbLb1EES1B_EEDaS16_S17_EUlS16_E_NS1_11comp_targetILNS1_3genE8ELNS1_11target_archE1030ELNS1_3gpuE2ELNS1_3repE0EEENS1_30default_config_static_selectorELNS0_4arch9wavefront6targetE1EEEvT1_,"axG",@progbits,_ZN7rocprim17ROCPRIM_400000_NS6detail17trampoline_kernelINS0_14default_configENS1_25partition_config_selectorILNS1_17partition_subalgoE1EyNS0_10empty_typeEbEEZZNS1_14partition_implILS5_1ELb0ES3_jN6thrust23THRUST_200600_302600_NS6detail15normal_iteratorINSA_10device_ptrIyEEEEPS6_NSA_18transform_iteratorI7is_evenIyESF_NSA_11use_defaultESK_EENS0_5tupleIJNSA_16discard_iteratorISK_EESO_EEENSM_IJSG_SG_EEES6_PlJS6_EEE10hipError_tPvRmT3_T4_T5_T6_T7_T9_mT8_P12ihipStream_tbDpT10_ENKUlT_T0_E_clISt17integral_constantIbLb1EES1B_EEDaS16_S17_EUlS16_E_NS1_11comp_targetILNS1_3genE8ELNS1_11target_archE1030ELNS1_3gpuE2ELNS1_3repE0EEENS1_30default_config_static_selectorELNS0_4arch9wavefront6targetE1EEEvT1_,comdat
.Lfunc_end2890:
	.size	_ZN7rocprim17ROCPRIM_400000_NS6detail17trampoline_kernelINS0_14default_configENS1_25partition_config_selectorILNS1_17partition_subalgoE1EyNS0_10empty_typeEbEEZZNS1_14partition_implILS5_1ELb0ES3_jN6thrust23THRUST_200600_302600_NS6detail15normal_iteratorINSA_10device_ptrIyEEEEPS6_NSA_18transform_iteratorI7is_evenIyESF_NSA_11use_defaultESK_EENS0_5tupleIJNSA_16discard_iteratorISK_EESO_EEENSM_IJSG_SG_EEES6_PlJS6_EEE10hipError_tPvRmT3_T4_T5_T6_T7_T9_mT8_P12ihipStream_tbDpT10_ENKUlT_T0_E_clISt17integral_constantIbLb1EES1B_EEDaS16_S17_EUlS16_E_NS1_11comp_targetILNS1_3genE8ELNS1_11target_archE1030ELNS1_3gpuE2ELNS1_3repE0EEENS1_30default_config_static_selectorELNS0_4arch9wavefront6targetE1EEEvT1_, .Lfunc_end2890-_ZN7rocprim17ROCPRIM_400000_NS6detail17trampoline_kernelINS0_14default_configENS1_25partition_config_selectorILNS1_17partition_subalgoE1EyNS0_10empty_typeEbEEZZNS1_14partition_implILS5_1ELb0ES3_jN6thrust23THRUST_200600_302600_NS6detail15normal_iteratorINSA_10device_ptrIyEEEEPS6_NSA_18transform_iteratorI7is_evenIyESF_NSA_11use_defaultESK_EENS0_5tupleIJNSA_16discard_iteratorISK_EESO_EEENSM_IJSG_SG_EEES6_PlJS6_EEE10hipError_tPvRmT3_T4_T5_T6_T7_T9_mT8_P12ihipStream_tbDpT10_ENKUlT_T0_E_clISt17integral_constantIbLb1EES1B_EEDaS16_S17_EUlS16_E_NS1_11comp_targetILNS1_3genE8ELNS1_11target_archE1030ELNS1_3gpuE2ELNS1_3repE0EEENS1_30default_config_static_selectorELNS0_4arch9wavefront6targetE1EEEvT1_
                                        ; -- End function
	.section	.AMDGPU.csdata,"",@progbits
; Kernel info:
; codeLenInByte = 0
; NumSgprs: 6
; NumVgprs: 0
; NumAgprs: 0
; TotalNumVgprs: 0
; ScratchSize: 0
; MemoryBound: 0
; FloatMode: 240
; IeeeMode: 1
; LDSByteSize: 0 bytes/workgroup (compile time only)
; SGPRBlocks: 0
; VGPRBlocks: 0
; NumSGPRsForWavesPerEU: 6
; NumVGPRsForWavesPerEU: 1
; AccumOffset: 4
; Occupancy: 8
; WaveLimiterHint : 0
; COMPUTE_PGM_RSRC2:SCRATCH_EN: 0
; COMPUTE_PGM_RSRC2:USER_SGPR: 2
; COMPUTE_PGM_RSRC2:TRAP_HANDLER: 0
; COMPUTE_PGM_RSRC2:TGID_X_EN: 1
; COMPUTE_PGM_RSRC2:TGID_Y_EN: 0
; COMPUTE_PGM_RSRC2:TGID_Z_EN: 0
; COMPUTE_PGM_RSRC2:TIDIG_COMP_CNT: 0
; COMPUTE_PGM_RSRC3_GFX90A:ACCUM_OFFSET: 0
; COMPUTE_PGM_RSRC3_GFX90A:TG_SPLIT: 0
	.section	.text._ZN7rocprim17ROCPRIM_400000_NS6detail17trampoline_kernelINS0_14default_configENS1_25partition_config_selectorILNS1_17partition_subalgoE1EyNS0_10empty_typeEbEEZZNS1_14partition_implILS5_1ELb0ES3_jN6thrust23THRUST_200600_302600_NS6detail15normal_iteratorINSA_10device_ptrIyEEEEPS6_NSA_18transform_iteratorI7is_evenIyESF_NSA_11use_defaultESK_EENS0_5tupleIJNSA_16discard_iteratorISK_EESO_EEENSM_IJSG_SG_EEES6_PlJS6_EEE10hipError_tPvRmT3_T4_T5_T6_T7_T9_mT8_P12ihipStream_tbDpT10_ENKUlT_T0_E_clISt17integral_constantIbLb1EES1A_IbLb0EEEEDaS16_S17_EUlS16_E_NS1_11comp_targetILNS1_3genE0ELNS1_11target_archE4294967295ELNS1_3gpuE0ELNS1_3repE0EEENS1_30default_config_static_selectorELNS0_4arch9wavefront6targetE1EEEvT1_,"axG",@progbits,_ZN7rocprim17ROCPRIM_400000_NS6detail17trampoline_kernelINS0_14default_configENS1_25partition_config_selectorILNS1_17partition_subalgoE1EyNS0_10empty_typeEbEEZZNS1_14partition_implILS5_1ELb0ES3_jN6thrust23THRUST_200600_302600_NS6detail15normal_iteratorINSA_10device_ptrIyEEEEPS6_NSA_18transform_iteratorI7is_evenIyESF_NSA_11use_defaultESK_EENS0_5tupleIJNSA_16discard_iteratorISK_EESO_EEENSM_IJSG_SG_EEES6_PlJS6_EEE10hipError_tPvRmT3_T4_T5_T6_T7_T9_mT8_P12ihipStream_tbDpT10_ENKUlT_T0_E_clISt17integral_constantIbLb1EES1A_IbLb0EEEEDaS16_S17_EUlS16_E_NS1_11comp_targetILNS1_3genE0ELNS1_11target_archE4294967295ELNS1_3gpuE0ELNS1_3repE0EEENS1_30default_config_static_selectorELNS0_4arch9wavefront6targetE1EEEvT1_,comdat
	.protected	_ZN7rocprim17ROCPRIM_400000_NS6detail17trampoline_kernelINS0_14default_configENS1_25partition_config_selectorILNS1_17partition_subalgoE1EyNS0_10empty_typeEbEEZZNS1_14partition_implILS5_1ELb0ES3_jN6thrust23THRUST_200600_302600_NS6detail15normal_iteratorINSA_10device_ptrIyEEEEPS6_NSA_18transform_iteratorI7is_evenIyESF_NSA_11use_defaultESK_EENS0_5tupleIJNSA_16discard_iteratorISK_EESO_EEENSM_IJSG_SG_EEES6_PlJS6_EEE10hipError_tPvRmT3_T4_T5_T6_T7_T9_mT8_P12ihipStream_tbDpT10_ENKUlT_T0_E_clISt17integral_constantIbLb1EES1A_IbLb0EEEEDaS16_S17_EUlS16_E_NS1_11comp_targetILNS1_3genE0ELNS1_11target_archE4294967295ELNS1_3gpuE0ELNS1_3repE0EEENS1_30default_config_static_selectorELNS0_4arch9wavefront6targetE1EEEvT1_ ; -- Begin function _ZN7rocprim17ROCPRIM_400000_NS6detail17trampoline_kernelINS0_14default_configENS1_25partition_config_selectorILNS1_17partition_subalgoE1EyNS0_10empty_typeEbEEZZNS1_14partition_implILS5_1ELb0ES3_jN6thrust23THRUST_200600_302600_NS6detail15normal_iteratorINSA_10device_ptrIyEEEEPS6_NSA_18transform_iteratorI7is_evenIyESF_NSA_11use_defaultESK_EENS0_5tupleIJNSA_16discard_iteratorISK_EESO_EEENSM_IJSG_SG_EEES6_PlJS6_EEE10hipError_tPvRmT3_T4_T5_T6_T7_T9_mT8_P12ihipStream_tbDpT10_ENKUlT_T0_E_clISt17integral_constantIbLb1EES1A_IbLb0EEEEDaS16_S17_EUlS16_E_NS1_11comp_targetILNS1_3genE0ELNS1_11target_archE4294967295ELNS1_3gpuE0ELNS1_3repE0EEENS1_30default_config_static_selectorELNS0_4arch9wavefront6targetE1EEEvT1_
	.globl	_ZN7rocprim17ROCPRIM_400000_NS6detail17trampoline_kernelINS0_14default_configENS1_25partition_config_selectorILNS1_17partition_subalgoE1EyNS0_10empty_typeEbEEZZNS1_14partition_implILS5_1ELb0ES3_jN6thrust23THRUST_200600_302600_NS6detail15normal_iteratorINSA_10device_ptrIyEEEEPS6_NSA_18transform_iteratorI7is_evenIyESF_NSA_11use_defaultESK_EENS0_5tupleIJNSA_16discard_iteratorISK_EESO_EEENSM_IJSG_SG_EEES6_PlJS6_EEE10hipError_tPvRmT3_T4_T5_T6_T7_T9_mT8_P12ihipStream_tbDpT10_ENKUlT_T0_E_clISt17integral_constantIbLb1EES1A_IbLb0EEEEDaS16_S17_EUlS16_E_NS1_11comp_targetILNS1_3genE0ELNS1_11target_archE4294967295ELNS1_3gpuE0ELNS1_3repE0EEENS1_30default_config_static_selectorELNS0_4arch9wavefront6targetE1EEEvT1_
	.p2align	8
	.type	_ZN7rocprim17ROCPRIM_400000_NS6detail17trampoline_kernelINS0_14default_configENS1_25partition_config_selectorILNS1_17partition_subalgoE1EyNS0_10empty_typeEbEEZZNS1_14partition_implILS5_1ELb0ES3_jN6thrust23THRUST_200600_302600_NS6detail15normal_iteratorINSA_10device_ptrIyEEEEPS6_NSA_18transform_iteratorI7is_evenIyESF_NSA_11use_defaultESK_EENS0_5tupleIJNSA_16discard_iteratorISK_EESO_EEENSM_IJSG_SG_EEES6_PlJS6_EEE10hipError_tPvRmT3_T4_T5_T6_T7_T9_mT8_P12ihipStream_tbDpT10_ENKUlT_T0_E_clISt17integral_constantIbLb1EES1A_IbLb0EEEEDaS16_S17_EUlS16_E_NS1_11comp_targetILNS1_3genE0ELNS1_11target_archE4294967295ELNS1_3gpuE0ELNS1_3repE0EEENS1_30default_config_static_selectorELNS0_4arch9wavefront6targetE1EEEvT1_,@function
_ZN7rocprim17ROCPRIM_400000_NS6detail17trampoline_kernelINS0_14default_configENS1_25partition_config_selectorILNS1_17partition_subalgoE1EyNS0_10empty_typeEbEEZZNS1_14partition_implILS5_1ELb0ES3_jN6thrust23THRUST_200600_302600_NS6detail15normal_iteratorINSA_10device_ptrIyEEEEPS6_NSA_18transform_iteratorI7is_evenIyESF_NSA_11use_defaultESK_EENS0_5tupleIJNSA_16discard_iteratorISK_EESO_EEENSM_IJSG_SG_EEES6_PlJS6_EEE10hipError_tPvRmT3_T4_T5_T6_T7_T9_mT8_P12ihipStream_tbDpT10_ENKUlT_T0_E_clISt17integral_constantIbLb1EES1A_IbLb0EEEEDaS16_S17_EUlS16_E_NS1_11comp_targetILNS1_3genE0ELNS1_11target_archE4294967295ELNS1_3gpuE0ELNS1_3repE0EEENS1_30default_config_static_selectorELNS0_4arch9wavefront6targetE1EEEvT1_: ; @_ZN7rocprim17ROCPRIM_400000_NS6detail17trampoline_kernelINS0_14default_configENS1_25partition_config_selectorILNS1_17partition_subalgoE1EyNS0_10empty_typeEbEEZZNS1_14partition_implILS5_1ELb0ES3_jN6thrust23THRUST_200600_302600_NS6detail15normal_iteratorINSA_10device_ptrIyEEEEPS6_NSA_18transform_iteratorI7is_evenIyESF_NSA_11use_defaultESK_EENS0_5tupleIJNSA_16discard_iteratorISK_EESO_EEENSM_IJSG_SG_EEES6_PlJS6_EEE10hipError_tPvRmT3_T4_T5_T6_T7_T9_mT8_P12ihipStream_tbDpT10_ENKUlT_T0_E_clISt17integral_constantIbLb1EES1A_IbLb0EEEEDaS16_S17_EUlS16_E_NS1_11comp_targetILNS1_3genE0ELNS1_11target_archE4294967295ELNS1_3gpuE0ELNS1_3repE0EEENS1_30default_config_static_selectorELNS0_4arch9wavefront6targetE1EEEvT1_
; %bb.0:
	.section	.rodata,"a",@progbits
	.p2align	6, 0x0
	.amdhsa_kernel _ZN7rocprim17ROCPRIM_400000_NS6detail17trampoline_kernelINS0_14default_configENS1_25partition_config_selectorILNS1_17partition_subalgoE1EyNS0_10empty_typeEbEEZZNS1_14partition_implILS5_1ELb0ES3_jN6thrust23THRUST_200600_302600_NS6detail15normal_iteratorINSA_10device_ptrIyEEEEPS6_NSA_18transform_iteratorI7is_evenIyESF_NSA_11use_defaultESK_EENS0_5tupleIJNSA_16discard_iteratorISK_EESO_EEENSM_IJSG_SG_EEES6_PlJS6_EEE10hipError_tPvRmT3_T4_T5_T6_T7_T9_mT8_P12ihipStream_tbDpT10_ENKUlT_T0_E_clISt17integral_constantIbLb1EES1A_IbLb0EEEEDaS16_S17_EUlS16_E_NS1_11comp_targetILNS1_3genE0ELNS1_11target_archE4294967295ELNS1_3gpuE0ELNS1_3repE0EEENS1_30default_config_static_selectorELNS0_4arch9wavefront6targetE1EEEvT1_
		.amdhsa_group_segment_fixed_size 0
		.amdhsa_private_segment_fixed_size 0
		.amdhsa_kernarg_size 144
		.amdhsa_user_sgpr_count 2
		.amdhsa_user_sgpr_dispatch_ptr 0
		.amdhsa_user_sgpr_queue_ptr 0
		.amdhsa_user_sgpr_kernarg_segment_ptr 1
		.amdhsa_user_sgpr_dispatch_id 0
		.amdhsa_user_sgpr_kernarg_preload_length 0
		.amdhsa_user_sgpr_kernarg_preload_offset 0
		.amdhsa_user_sgpr_private_segment_size 0
		.amdhsa_uses_dynamic_stack 0
		.amdhsa_enable_private_segment 0
		.amdhsa_system_sgpr_workgroup_id_x 1
		.amdhsa_system_sgpr_workgroup_id_y 0
		.amdhsa_system_sgpr_workgroup_id_z 0
		.amdhsa_system_sgpr_workgroup_info 0
		.amdhsa_system_vgpr_workitem_id 0
		.amdhsa_next_free_vgpr 1
		.amdhsa_next_free_sgpr 0
		.amdhsa_accum_offset 4
		.amdhsa_reserve_vcc 0
		.amdhsa_float_round_mode_32 0
		.amdhsa_float_round_mode_16_64 0
		.amdhsa_float_denorm_mode_32 3
		.amdhsa_float_denorm_mode_16_64 3
		.amdhsa_dx10_clamp 1
		.amdhsa_ieee_mode 1
		.amdhsa_fp16_overflow 0
		.amdhsa_tg_split 0
		.amdhsa_exception_fp_ieee_invalid_op 0
		.amdhsa_exception_fp_denorm_src 0
		.amdhsa_exception_fp_ieee_div_zero 0
		.amdhsa_exception_fp_ieee_overflow 0
		.amdhsa_exception_fp_ieee_underflow 0
		.amdhsa_exception_fp_ieee_inexact 0
		.amdhsa_exception_int_div_zero 0
	.end_amdhsa_kernel
	.section	.text._ZN7rocprim17ROCPRIM_400000_NS6detail17trampoline_kernelINS0_14default_configENS1_25partition_config_selectorILNS1_17partition_subalgoE1EyNS0_10empty_typeEbEEZZNS1_14partition_implILS5_1ELb0ES3_jN6thrust23THRUST_200600_302600_NS6detail15normal_iteratorINSA_10device_ptrIyEEEEPS6_NSA_18transform_iteratorI7is_evenIyESF_NSA_11use_defaultESK_EENS0_5tupleIJNSA_16discard_iteratorISK_EESO_EEENSM_IJSG_SG_EEES6_PlJS6_EEE10hipError_tPvRmT3_T4_T5_T6_T7_T9_mT8_P12ihipStream_tbDpT10_ENKUlT_T0_E_clISt17integral_constantIbLb1EES1A_IbLb0EEEEDaS16_S17_EUlS16_E_NS1_11comp_targetILNS1_3genE0ELNS1_11target_archE4294967295ELNS1_3gpuE0ELNS1_3repE0EEENS1_30default_config_static_selectorELNS0_4arch9wavefront6targetE1EEEvT1_,"axG",@progbits,_ZN7rocprim17ROCPRIM_400000_NS6detail17trampoline_kernelINS0_14default_configENS1_25partition_config_selectorILNS1_17partition_subalgoE1EyNS0_10empty_typeEbEEZZNS1_14partition_implILS5_1ELb0ES3_jN6thrust23THRUST_200600_302600_NS6detail15normal_iteratorINSA_10device_ptrIyEEEEPS6_NSA_18transform_iteratorI7is_evenIyESF_NSA_11use_defaultESK_EENS0_5tupleIJNSA_16discard_iteratorISK_EESO_EEENSM_IJSG_SG_EEES6_PlJS6_EEE10hipError_tPvRmT3_T4_T5_T6_T7_T9_mT8_P12ihipStream_tbDpT10_ENKUlT_T0_E_clISt17integral_constantIbLb1EES1A_IbLb0EEEEDaS16_S17_EUlS16_E_NS1_11comp_targetILNS1_3genE0ELNS1_11target_archE4294967295ELNS1_3gpuE0ELNS1_3repE0EEENS1_30default_config_static_selectorELNS0_4arch9wavefront6targetE1EEEvT1_,comdat
.Lfunc_end2891:
	.size	_ZN7rocprim17ROCPRIM_400000_NS6detail17trampoline_kernelINS0_14default_configENS1_25partition_config_selectorILNS1_17partition_subalgoE1EyNS0_10empty_typeEbEEZZNS1_14partition_implILS5_1ELb0ES3_jN6thrust23THRUST_200600_302600_NS6detail15normal_iteratorINSA_10device_ptrIyEEEEPS6_NSA_18transform_iteratorI7is_evenIyESF_NSA_11use_defaultESK_EENS0_5tupleIJNSA_16discard_iteratorISK_EESO_EEENSM_IJSG_SG_EEES6_PlJS6_EEE10hipError_tPvRmT3_T4_T5_T6_T7_T9_mT8_P12ihipStream_tbDpT10_ENKUlT_T0_E_clISt17integral_constantIbLb1EES1A_IbLb0EEEEDaS16_S17_EUlS16_E_NS1_11comp_targetILNS1_3genE0ELNS1_11target_archE4294967295ELNS1_3gpuE0ELNS1_3repE0EEENS1_30default_config_static_selectorELNS0_4arch9wavefront6targetE1EEEvT1_, .Lfunc_end2891-_ZN7rocprim17ROCPRIM_400000_NS6detail17trampoline_kernelINS0_14default_configENS1_25partition_config_selectorILNS1_17partition_subalgoE1EyNS0_10empty_typeEbEEZZNS1_14partition_implILS5_1ELb0ES3_jN6thrust23THRUST_200600_302600_NS6detail15normal_iteratorINSA_10device_ptrIyEEEEPS6_NSA_18transform_iteratorI7is_evenIyESF_NSA_11use_defaultESK_EENS0_5tupleIJNSA_16discard_iteratorISK_EESO_EEENSM_IJSG_SG_EEES6_PlJS6_EEE10hipError_tPvRmT3_T4_T5_T6_T7_T9_mT8_P12ihipStream_tbDpT10_ENKUlT_T0_E_clISt17integral_constantIbLb1EES1A_IbLb0EEEEDaS16_S17_EUlS16_E_NS1_11comp_targetILNS1_3genE0ELNS1_11target_archE4294967295ELNS1_3gpuE0ELNS1_3repE0EEENS1_30default_config_static_selectorELNS0_4arch9wavefront6targetE1EEEvT1_
                                        ; -- End function
	.section	.AMDGPU.csdata,"",@progbits
; Kernel info:
; codeLenInByte = 0
; NumSgprs: 6
; NumVgprs: 0
; NumAgprs: 0
; TotalNumVgprs: 0
; ScratchSize: 0
; MemoryBound: 0
; FloatMode: 240
; IeeeMode: 1
; LDSByteSize: 0 bytes/workgroup (compile time only)
; SGPRBlocks: 0
; VGPRBlocks: 0
; NumSGPRsForWavesPerEU: 6
; NumVGPRsForWavesPerEU: 1
; AccumOffset: 4
; Occupancy: 8
; WaveLimiterHint : 0
; COMPUTE_PGM_RSRC2:SCRATCH_EN: 0
; COMPUTE_PGM_RSRC2:USER_SGPR: 2
; COMPUTE_PGM_RSRC2:TRAP_HANDLER: 0
; COMPUTE_PGM_RSRC2:TGID_X_EN: 1
; COMPUTE_PGM_RSRC2:TGID_Y_EN: 0
; COMPUTE_PGM_RSRC2:TGID_Z_EN: 0
; COMPUTE_PGM_RSRC2:TIDIG_COMP_CNT: 0
; COMPUTE_PGM_RSRC3_GFX90A:ACCUM_OFFSET: 0
; COMPUTE_PGM_RSRC3_GFX90A:TG_SPLIT: 0
	.section	.text._ZN7rocprim17ROCPRIM_400000_NS6detail17trampoline_kernelINS0_14default_configENS1_25partition_config_selectorILNS1_17partition_subalgoE1EyNS0_10empty_typeEbEEZZNS1_14partition_implILS5_1ELb0ES3_jN6thrust23THRUST_200600_302600_NS6detail15normal_iteratorINSA_10device_ptrIyEEEEPS6_NSA_18transform_iteratorI7is_evenIyESF_NSA_11use_defaultESK_EENS0_5tupleIJNSA_16discard_iteratorISK_EESO_EEENSM_IJSG_SG_EEES6_PlJS6_EEE10hipError_tPvRmT3_T4_T5_T6_T7_T9_mT8_P12ihipStream_tbDpT10_ENKUlT_T0_E_clISt17integral_constantIbLb1EES1A_IbLb0EEEEDaS16_S17_EUlS16_E_NS1_11comp_targetILNS1_3genE5ELNS1_11target_archE942ELNS1_3gpuE9ELNS1_3repE0EEENS1_30default_config_static_selectorELNS0_4arch9wavefront6targetE1EEEvT1_,"axG",@progbits,_ZN7rocprim17ROCPRIM_400000_NS6detail17trampoline_kernelINS0_14default_configENS1_25partition_config_selectorILNS1_17partition_subalgoE1EyNS0_10empty_typeEbEEZZNS1_14partition_implILS5_1ELb0ES3_jN6thrust23THRUST_200600_302600_NS6detail15normal_iteratorINSA_10device_ptrIyEEEEPS6_NSA_18transform_iteratorI7is_evenIyESF_NSA_11use_defaultESK_EENS0_5tupleIJNSA_16discard_iteratorISK_EESO_EEENSM_IJSG_SG_EEES6_PlJS6_EEE10hipError_tPvRmT3_T4_T5_T6_T7_T9_mT8_P12ihipStream_tbDpT10_ENKUlT_T0_E_clISt17integral_constantIbLb1EES1A_IbLb0EEEEDaS16_S17_EUlS16_E_NS1_11comp_targetILNS1_3genE5ELNS1_11target_archE942ELNS1_3gpuE9ELNS1_3repE0EEENS1_30default_config_static_selectorELNS0_4arch9wavefront6targetE1EEEvT1_,comdat
	.protected	_ZN7rocprim17ROCPRIM_400000_NS6detail17trampoline_kernelINS0_14default_configENS1_25partition_config_selectorILNS1_17partition_subalgoE1EyNS0_10empty_typeEbEEZZNS1_14partition_implILS5_1ELb0ES3_jN6thrust23THRUST_200600_302600_NS6detail15normal_iteratorINSA_10device_ptrIyEEEEPS6_NSA_18transform_iteratorI7is_evenIyESF_NSA_11use_defaultESK_EENS0_5tupleIJNSA_16discard_iteratorISK_EESO_EEENSM_IJSG_SG_EEES6_PlJS6_EEE10hipError_tPvRmT3_T4_T5_T6_T7_T9_mT8_P12ihipStream_tbDpT10_ENKUlT_T0_E_clISt17integral_constantIbLb1EES1A_IbLb0EEEEDaS16_S17_EUlS16_E_NS1_11comp_targetILNS1_3genE5ELNS1_11target_archE942ELNS1_3gpuE9ELNS1_3repE0EEENS1_30default_config_static_selectorELNS0_4arch9wavefront6targetE1EEEvT1_ ; -- Begin function _ZN7rocprim17ROCPRIM_400000_NS6detail17trampoline_kernelINS0_14default_configENS1_25partition_config_selectorILNS1_17partition_subalgoE1EyNS0_10empty_typeEbEEZZNS1_14partition_implILS5_1ELb0ES3_jN6thrust23THRUST_200600_302600_NS6detail15normal_iteratorINSA_10device_ptrIyEEEEPS6_NSA_18transform_iteratorI7is_evenIyESF_NSA_11use_defaultESK_EENS0_5tupleIJNSA_16discard_iteratorISK_EESO_EEENSM_IJSG_SG_EEES6_PlJS6_EEE10hipError_tPvRmT3_T4_T5_T6_T7_T9_mT8_P12ihipStream_tbDpT10_ENKUlT_T0_E_clISt17integral_constantIbLb1EES1A_IbLb0EEEEDaS16_S17_EUlS16_E_NS1_11comp_targetILNS1_3genE5ELNS1_11target_archE942ELNS1_3gpuE9ELNS1_3repE0EEENS1_30default_config_static_selectorELNS0_4arch9wavefront6targetE1EEEvT1_
	.globl	_ZN7rocprim17ROCPRIM_400000_NS6detail17trampoline_kernelINS0_14default_configENS1_25partition_config_selectorILNS1_17partition_subalgoE1EyNS0_10empty_typeEbEEZZNS1_14partition_implILS5_1ELb0ES3_jN6thrust23THRUST_200600_302600_NS6detail15normal_iteratorINSA_10device_ptrIyEEEEPS6_NSA_18transform_iteratorI7is_evenIyESF_NSA_11use_defaultESK_EENS0_5tupleIJNSA_16discard_iteratorISK_EESO_EEENSM_IJSG_SG_EEES6_PlJS6_EEE10hipError_tPvRmT3_T4_T5_T6_T7_T9_mT8_P12ihipStream_tbDpT10_ENKUlT_T0_E_clISt17integral_constantIbLb1EES1A_IbLb0EEEEDaS16_S17_EUlS16_E_NS1_11comp_targetILNS1_3genE5ELNS1_11target_archE942ELNS1_3gpuE9ELNS1_3repE0EEENS1_30default_config_static_selectorELNS0_4arch9wavefront6targetE1EEEvT1_
	.p2align	8
	.type	_ZN7rocprim17ROCPRIM_400000_NS6detail17trampoline_kernelINS0_14default_configENS1_25partition_config_selectorILNS1_17partition_subalgoE1EyNS0_10empty_typeEbEEZZNS1_14partition_implILS5_1ELb0ES3_jN6thrust23THRUST_200600_302600_NS6detail15normal_iteratorINSA_10device_ptrIyEEEEPS6_NSA_18transform_iteratorI7is_evenIyESF_NSA_11use_defaultESK_EENS0_5tupleIJNSA_16discard_iteratorISK_EESO_EEENSM_IJSG_SG_EEES6_PlJS6_EEE10hipError_tPvRmT3_T4_T5_T6_T7_T9_mT8_P12ihipStream_tbDpT10_ENKUlT_T0_E_clISt17integral_constantIbLb1EES1A_IbLb0EEEEDaS16_S17_EUlS16_E_NS1_11comp_targetILNS1_3genE5ELNS1_11target_archE942ELNS1_3gpuE9ELNS1_3repE0EEENS1_30default_config_static_selectorELNS0_4arch9wavefront6targetE1EEEvT1_,@function
_ZN7rocprim17ROCPRIM_400000_NS6detail17trampoline_kernelINS0_14default_configENS1_25partition_config_selectorILNS1_17partition_subalgoE1EyNS0_10empty_typeEbEEZZNS1_14partition_implILS5_1ELb0ES3_jN6thrust23THRUST_200600_302600_NS6detail15normal_iteratorINSA_10device_ptrIyEEEEPS6_NSA_18transform_iteratorI7is_evenIyESF_NSA_11use_defaultESK_EENS0_5tupleIJNSA_16discard_iteratorISK_EESO_EEENSM_IJSG_SG_EEES6_PlJS6_EEE10hipError_tPvRmT3_T4_T5_T6_T7_T9_mT8_P12ihipStream_tbDpT10_ENKUlT_T0_E_clISt17integral_constantIbLb1EES1A_IbLb0EEEEDaS16_S17_EUlS16_E_NS1_11comp_targetILNS1_3genE5ELNS1_11target_archE942ELNS1_3gpuE9ELNS1_3repE0EEENS1_30default_config_static_selectorELNS0_4arch9wavefront6targetE1EEEvT1_: ; @_ZN7rocprim17ROCPRIM_400000_NS6detail17trampoline_kernelINS0_14default_configENS1_25partition_config_selectorILNS1_17partition_subalgoE1EyNS0_10empty_typeEbEEZZNS1_14partition_implILS5_1ELb0ES3_jN6thrust23THRUST_200600_302600_NS6detail15normal_iteratorINSA_10device_ptrIyEEEEPS6_NSA_18transform_iteratorI7is_evenIyESF_NSA_11use_defaultESK_EENS0_5tupleIJNSA_16discard_iteratorISK_EESO_EEENSM_IJSG_SG_EEES6_PlJS6_EEE10hipError_tPvRmT3_T4_T5_T6_T7_T9_mT8_P12ihipStream_tbDpT10_ENKUlT_T0_E_clISt17integral_constantIbLb1EES1A_IbLb0EEEEDaS16_S17_EUlS16_E_NS1_11comp_targetILNS1_3genE5ELNS1_11target_archE942ELNS1_3gpuE9ELNS1_3repE0EEENS1_30default_config_static_selectorELNS0_4arch9wavefront6targetE1EEEvT1_
; %bb.0:
	s_load_dword s3, s[0:1], 0x88
	s_load_dwordx2 s[4:5], s[0:1], 0x70
	s_load_dwordx4 s[12:15], s[0:1], 0x8
	s_load_dwordx2 s[6:7], s[0:1], 0x20
	s_load_dwordx4 s[20:23], s[0:1], 0x60
	s_waitcnt lgkmcnt(0)
	v_mov_b32_e32 v3, s5
	s_lshl_b64 s[8:9], s[14:15], 3
	s_add_u32 s16, s12, s8
	s_mul_i32 s5, s3, 0xe00
	s_addc_u32 s17, s13, s9
	s_add_i32 s10, s3, -1
	s_add_i32 s3, s5, s14
	s_sub_i32 s3, s4, s3
	s_addk_i32 s3, 0xe00
	v_mov_b32_e32 v2, s4
	s_add_u32 s4, s14, s5
	s_addc_u32 s5, s15, 0
	s_cmp_eq_u32 s2, s10
	s_load_dwordx2 s[18:19], s[22:23], 0x0
	s_cselect_b64 s[22:23], -1, 0
	s_cmp_lg_u32 s2, s10
	s_mul_i32 s12, s2, 0xe00
	s_mov_b32 s13, 0
	v_cmp_lt_u64_e32 vcc, s[4:5], v[2:3]
	s_cselect_b64 s[4:5], -1, 0
	s_or_b64 s[10:11], s[4:5], vcc
	s_lshl_b64 s[12:13], s[12:13], 3
	s_add_u32 s14, s16, s12
	s_addc_u32 s15, s17, s13
	s_mov_b64 s[4:5], -1
	s_and_b64 vcc, exec, s[10:11]
	s_cbranch_vccz .LBB2892_2
; %bb.1:
	v_lshlrev_b32_e32 v2, 3, v0
	v_mov_b32_e32 v3, 0
	v_lshl_add_u64 v[4:5], s[14:15], 0, v[2:3]
	v_add_co_u32_e32 v6, vcc, 0x1000, v4
	s_mov_b64 s[4:5], 0
	s_nop 0
	v_addc_co_u32_e32 v7, vcc, 0, v5, vcc
	v_add_co_u32_e32 v8, vcc, 0x2000, v4
	s_nop 1
	v_addc_co_u32_e32 v9, vcc, 0, v5, vcc
	v_add_co_u32_e32 v10, vcc, 0x3000, v4
	s_nop 1
	v_addc_co_u32_e32 v11, vcc, 0, v5, vcc
	flat_load_dwordx2 v[12:13], v[4:5]
	flat_load_dwordx2 v[14:15], v[6:7]
	;; [unrolled: 1-line block ×4, first 2 shown]
	v_add_co_u32_e32 v6, vcc, 0x4000, v4
	s_nop 1
	v_addc_co_u32_e32 v7, vcc, 0, v5, vcc
	v_add_co_u32_e32 v8, vcc, 0x5000, v4
	s_nop 1
	v_addc_co_u32_e32 v9, vcc, 0, v5, vcc
	;; [unrolled: 3-line block ×3, first 2 shown]
	flat_load_dwordx2 v[10:11], v[6:7]
	flat_load_dwordx2 v[20:21], v[8:9]
	;; [unrolled: 1-line block ×3, first 2 shown]
	s_waitcnt vmcnt(0) lgkmcnt(0)
	ds_write2st64_b64 v2, v[12:13], v[14:15] offset1:8
	ds_write2st64_b64 v2, v[16:17], v[18:19] offset0:16 offset1:24
	ds_write2st64_b64 v2, v[10:11], v[20:21] offset0:32 offset1:40
	ds_write_b64 v2, v[22:23] offset:24576
	s_waitcnt lgkmcnt(0)
	s_barrier
.LBB2892_2:
	s_andn2_b64 vcc, exec, s[4:5]
	v_cmp_gt_u32_e64 s[4:5], s3, v0
	s_cbranch_vccnz .LBB2892_18
; %bb.3:
                                        ; implicit-def: $vgpr2_vgpr3_vgpr4_vgpr5_vgpr6_vgpr7_vgpr8_vgpr9_vgpr10_vgpr11_vgpr12_vgpr13_vgpr14_vgpr15_vgpr16_vgpr17
	s_and_saveexec_b64 s[16:17], s[4:5]
	s_cbranch_execz .LBB2892_5
; %bb.4:
	v_lshlrev_b32_e32 v2, 3, v0
	v_mov_b32_e32 v3, 0
	v_lshl_add_u64 v[2:3], s[14:15], 0, v[2:3]
	flat_load_dwordx2 v[2:3], v[2:3]
.LBB2892_5:
	s_or_b64 exec, exec, s[16:17]
	v_or_b32_e32 v1, 0x200, v0
	v_cmp_gt_u32_e32 vcc, s3, v1
	s_and_saveexec_b64 s[4:5], vcc
	s_cbranch_execz .LBB2892_7
; %bb.6:
	v_lshlrev_b32_e32 v4, 3, v1
	v_mov_b32_e32 v5, 0
	v_lshl_add_u64 v[4:5], s[14:15], 0, v[4:5]
	flat_load_dwordx2 v[4:5], v[4:5]
.LBB2892_7:
	s_or_b64 exec, exec, s[4:5]
	v_or_b32_e32 v1, 0x400, v0
	v_cmp_gt_u32_e32 vcc, s3, v1
	s_and_saveexec_b64 s[4:5], vcc
	s_cbranch_execz .LBB2892_9
; %bb.8:
	v_lshlrev_b32_e32 v6, 3, v1
	v_mov_b32_e32 v7, 0
	v_lshl_add_u64 v[6:7], s[14:15], 0, v[6:7]
	flat_load_dwordx2 v[6:7], v[6:7]
.LBB2892_9:
	s_or_b64 exec, exec, s[4:5]
	v_or_b32_e32 v1, 0x600, v0
	v_cmp_gt_u32_e32 vcc, s3, v1
	s_and_saveexec_b64 s[4:5], vcc
	s_cbranch_execz .LBB2892_11
; %bb.10:
	v_lshlrev_b32_e32 v8, 3, v1
	v_mov_b32_e32 v9, 0
	v_lshl_add_u64 v[8:9], s[14:15], 0, v[8:9]
	flat_load_dwordx2 v[8:9], v[8:9]
.LBB2892_11:
	s_or_b64 exec, exec, s[4:5]
	v_or_b32_e32 v1, 0x800, v0
	v_cmp_gt_u32_e32 vcc, s3, v1
	s_and_saveexec_b64 s[4:5], vcc
	s_cbranch_execz .LBB2892_13
; %bb.12:
	v_lshlrev_b32_e32 v10, 3, v1
	v_mov_b32_e32 v11, 0
	v_lshl_add_u64 v[10:11], s[14:15], 0, v[10:11]
	flat_load_dwordx2 v[10:11], v[10:11]
.LBB2892_13:
	s_or_b64 exec, exec, s[4:5]
	v_or_b32_e32 v1, 0xa00, v0
	v_cmp_gt_u32_e32 vcc, s3, v1
	s_and_saveexec_b64 s[4:5], vcc
	s_cbranch_execz .LBB2892_15
; %bb.14:
	v_lshlrev_b32_e32 v12, 3, v1
	v_mov_b32_e32 v13, 0
	v_lshl_add_u64 v[12:13], s[14:15], 0, v[12:13]
	flat_load_dwordx2 v[12:13], v[12:13]
.LBB2892_15:
	s_or_b64 exec, exec, s[4:5]
	v_or_b32_e32 v1, 0xc00, v0
	v_cmp_gt_u32_e32 vcc, s3, v1
	s_and_saveexec_b64 s[4:5], vcc
	s_cbranch_execz .LBB2892_17
; %bb.16:
	v_lshlrev_b32_e32 v14, 3, v1
	v_mov_b32_e32 v15, 0
	v_lshl_add_u64 v[14:15], s[14:15], 0, v[14:15]
	flat_load_dwordx2 v[14:15], v[14:15]
.LBB2892_17:
	s_or_b64 exec, exec, s[4:5]
	v_lshlrev_b32_e32 v1, 3, v0
	s_waitcnt vmcnt(0) lgkmcnt(0)
	ds_write2st64_b64 v1, v[2:3], v[4:5] offset1:8
	ds_write2st64_b64 v1, v[6:7], v[8:9] offset0:16 offset1:24
	ds_write2st64_b64 v1, v[10:11], v[12:13] offset0:32 offset1:40
	ds_write_b64 v1, v[14:15] offset:24576
	s_waitcnt lgkmcnt(0)
	s_barrier
.LBB2892_18:
	v_mul_u32_u24_e32 v1, 7, v0
	v_lshlrev_b32_e32 v16, 3, v1
	s_waitcnt lgkmcnt(0)
	ds_read2_b64 v[10:13], v16 offset1:1
	ds_read2_b64 v[6:9], v16 offset0:2 offset1:3
	ds_read2_b64 v[2:5], v16 offset0:4 offset1:5
	ds_read_b64 v[14:15], v16 offset:48
	s_add_u32 s4, s6, s8
	s_addc_u32 s5, s7, s9
	s_add_u32 s4, s4, s12
	s_addc_u32 s5, s5, s13
	s_mov_b64 s[6:7], -1
	s_and_b64 vcc, exec, s[10:11]
	s_waitcnt lgkmcnt(0)
	s_barrier
	s_cbranch_vccz .LBB2892_20
; %bb.19:
	v_lshlrev_b32_e32 v18, 3, v0
	v_mov_b32_e32 v19, 0
	v_lshl_add_u64 v[20:21], s[4:5], 0, v[18:19]
	v_add_co_u32_e32 v22, vcc, 0x1000, v20
	global_load_dwordx2 v[18:19], v18, s[4:5]
	s_nop 0
	v_addc_co_u32_e32 v23, vcc, 0, v21, vcc
	v_add_co_u32_e32 v24, vcc, 0x2000, v20
	s_mov_b64 s[6:7], 0
	s_nop 0
	v_addc_co_u32_e32 v25, vcc, 0, v21, vcc
	v_add_co_u32_e32 v26, vcc, 0x3000, v20
	s_waitcnt vmcnt(0)
	v_xor_b32_e32 v17, -1, v18
	v_addc_co_u32_e32 v27, vcc, 0, v21, vcc
	v_add_co_u32_e32 v28, vcc, 0x4000, v20
	v_and_b32_e32 v17, 1, v17
	s_nop 0
	v_addc_co_u32_e32 v29, vcc, 0, v21, vcc
	global_load_dwordx2 v[30:31], v[22:23], off
	global_load_dwordx2 v[32:33], v[24:25], off
	;; [unrolled: 1-line block ×4, first 2 shown]
	v_add_co_u32_e32 v22, vcc, 0x5000, v20
	ds_write_b8 v0, v17
	s_nop 0
	v_addc_co_u32_e32 v23, vcc, 0, v21, vcc
	v_add_co_u32_e32 v20, vcc, 0x6000, v20
	global_load_dwordx2 v[22:23], v[22:23], off
	s_nop 0
	v_addc_co_u32_e32 v21, vcc, 0, v21, vcc
	global_load_dwordx2 v[20:21], v[20:21], off
	s_waitcnt vmcnt(5)
	v_xor_b32_e32 v17, -1, v30
	v_and_b32_e32 v17, 1, v17
	s_waitcnt vmcnt(4)
	v_xor_b32_e32 v18, -1, v32
	s_waitcnt vmcnt(3)
	v_xor_b32_e32 v19, -1, v34
	v_and_b32_e32 v18, 1, v18
	ds_write_b8 v0, v17 offset:512
	v_and_b32_e32 v17, 1, v19
	s_waitcnt vmcnt(2)
	v_xor_b32_e32 v19, -1, v36
	ds_write_b8 v0, v18 offset:1024
	v_and_b32_e32 v18, 1, v19
	ds_write_b8 v0, v17 offset:1536
	s_waitcnt vmcnt(1)
	v_xor_b32_e32 v19, -1, v22
	v_and_b32_e32 v17, 1, v19
	ds_write_b8 v0, v18 offset:2048
	s_waitcnt vmcnt(0)
	v_xor_b32_e32 v19, -1, v20
	v_and_b32_e32 v18, 1, v19
	ds_write_b8 v0, v17 offset:2560
	ds_write_b8 v0, v18 offset:3072
	s_waitcnt lgkmcnt(0)
	s_barrier
.LBB2892_20:
	s_load_dwordx2 s[24:25], s[0:1], 0x80
	s_andn2_b64 vcc, exec, s[6:7]
	s_cbranch_vccnz .LBB2892_36
; %bb.21:
	v_cmp_gt_u32_e32 vcc, s3, v0
	v_mov_b32_e32 v17, 0
	v_mov_b32_e32 v18, 0
	s_and_saveexec_b64 s[0:1], vcc
	s_cbranch_execz .LBB2892_23
; %bb.22:
	v_lshlrev_b32_e32 v18, 3, v0
	global_load_dwordx2 v[18:19], v18, s[4:5]
	s_waitcnt vmcnt(0)
	v_xor_b32_e32 v18, -1, v18
	v_and_b32_e32 v18, 1, v18
.LBB2892_23:
	s_or_b64 exec, exec, s[0:1]
	v_or_b32_e32 v19, 0x200, v0
	v_cmp_gt_u32_e32 vcc, s3, v19
	s_and_saveexec_b64 s[0:1], vcc
	s_cbranch_execz .LBB2892_25
; %bb.24:
	v_lshlrev_b32_e32 v17, 3, v19
	global_load_dwordx2 v[20:21], v17, s[4:5]
	s_waitcnt vmcnt(0)
	v_xor_b32_e32 v17, -1, v20
	v_and_b32_e32 v17, 1, v17
.LBB2892_25:
	s_or_b64 exec, exec, s[0:1]
	v_or_b32_e32 v21, 0x400, v0
	v_cmp_gt_u32_e32 vcc, s3, v21
	v_mov_b32_e32 v19, 0
	v_mov_b32_e32 v20, 0
	s_and_saveexec_b64 s[0:1], vcc
	s_cbranch_execz .LBB2892_27
; %bb.26:
	v_lshlrev_b32_e32 v20, 3, v21
	global_load_dwordx2 v[20:21], v20, s[4:5]
	s_waitcnt vmcnt(0)
	v_xor_b32_e32 v20, -1, v20
	v_and_b32_e32 v20, 1, v20
.LBB2892_27:
	s_or_b64 exec, exec, s[0:1]
	v_or_b32_e32 v21, 0x600, v0
	v_cmp_gt_u32_e32 vcc, s3, v21
	s_and_saveexec_b64 s[0:1], vcc
	s_cbranch_execz .LBB2892_29
; %bb.28:
	v_lshlrev_b32_e32 v19, 3, v21
	global_load_dwordx2 v[22:23], v19, s[4:5]
	s_waitcnt vmcnt(0)
	v_xor_b32_e32 v19, -1, v22
	v_and_b32_e32 v19, 1, v19
.LBB2892_29:
	s_or_b64 exec, exec, s[0:1]
	v_or_b32_e32 v23, 0x800, v0
	;; [unrolled: 26-line block ×3, first 2 shown]
	v_cmp_gt_u32_e32 vcc, s3, v24
	v_mov_b32_e32 v23, 0
	s_and_saveexec_b64 s[0:1], vcc
	s_cbranch_execz .LBB2892_35
; %bb.34:
	v_lshlrev_b32_e32 v23, 3, v24
	global_load_dwordx2 v[24:25], v23, s[4:5]
	s_waitcnt vmcnt(0)
	v_xor_b32_e32 v23, -1, v24
	v_and_b32_e32 v23, 1, v23
.LBB2892_35:
	s_or_b64 exec, exec, s[0:1]
	ds_write_b8 v0, v18
	ds_write_b8 v0, v17 offset:512
	ds_write_b8 v0, v20 offset:1024
	;; [unrolled: 1-line block ×6, first 2 shown]
	s_waitcnt lgkmcnt(0)
	s_barrier
.LBB2892_36:
	s_movk_i32 s0, 0xffcf
	v_mad_i32_i24 v34, v0, s0, v16
	s_waitcnt lgkmcnt(0)
	ds_read_u8 v16, v34
	ds_read_u8 v17, v34 offset:1
	ds_read_u8 v18, v34 offset:2
	;; [unrolled: 1-line block ×6, first 2 shown]
	s_waitcnt lgkmcnt(6)
	v_and_b32_e32 v32, 1, v16
	s_waitcnt lgkmcnt(5)
	v_and_b32_e32 v31, 1, v17
	;; [unrolled: 2-line block ×5, first 2 shown]
	v_add3_u32 v16, v31, v32, v30
	s_waitcnt lgkmcnt(1)
	v_and_b32_e32 v27, 1, v21
	s_waitcnt lgkmcnt(0)
	v_and_b32_e32 v26, 1, v22
	v_add3_u32 v16, v16, v29, v28
	v_add3_u32 v36, v16, v27, v26
	v_mbcnt_lo_u32_b32 v16, -1, 0
	v_mbcnt_hi_u32_b32 v33, -1, v16
	v_and_b32_e32 v16, 15, v33
	v_cmp_eq_u32_e64 s[12:13], 0, v16
	v_cmp_lt_u32_e64 s[10:11], 1, v16
	v_cmp_lt_u32_e64 s[8:9], 3, v16
	;; [unrolled: 1-line block ×3, first 2 shown]
	v_and_b32_e32 v16, 16, v33
	v_cmp_eq_u32_e64 s[4:5], 0, v16
	v_or_b32_e32 v16, 63, v0
	s_cmp_lg_u32 s2, 0
	v_cmp_lt_u32_e64 s[0:1], 31, v33
	v_lshrrev_b32_e32 v35, 6, v0
	v_cmp_eq_u32_e64 s[16:17], v16, v0
	s_barrier
	s_cbranch_scc0 .LBB2892_67
; %bb.37:
	v_mov_b32_dpp v16, v36 row_shr:1 row_mask:0xf bank_mask:0xf
	v_cndmask_b32_e64 v16, v16, 0, s[12:13]
	v_add_u32_e32 v16, v16, v36
	s_nop 1
	v_mov_b32_dpp v17, v16 row_shr:2 row_mask:0xf bank_mask:0xf
	v_cndmask_b32_e64 v17, 0, v17, s[10:11]
	v_add_u32_e32 v16, v16, v17
	s_nop 1
	;; [unrolled: 4-line block ×4, first 2 shown]
	v_mov_b32_dpp v17, v16 row_bcast:15 row_mask:0xf bank_mask:0xf
	v_cndmask_b32_e64 v17, v17, 0, s[4:5]
	v_add_u32_e32 v16, v16, v17
	s_nop 1
	v_mov_b32_dpp v17, v16 row_bcast:31 row_mask:0xf bank_mask:0xf
	v_cndmask_b32_e64 v17, 0, v17, s[0:1]
	v_add_u32_e32 v16, v16, v17
	s_and_saveexec_b64 s[14:15], s[16:17]
	s_cbranch_execz .LBB2892_39
; %bb.38:
	v_lshlrev_b32_e32 v17, 2, v35
	ds_write_b32 v17, v16
.LBB2892_39:
	s_or_b64 exec, exec, s[14:15]
	v_cmp_gt_u32_e32 vcc, 8, v0
	s_waitcnt lgkmcnt(0)
	s_barrier
	s_and_saveexec_b64 s[14:15], vcc
	s_cbranch_execz .LBB2892_41
; %bb.40:
	v_lshlrev_b32_e32 v17, 2, v0
	ds_read_b32 v18, v17
	v_and_b32_e32 v19, 7, v33
	v_cmp_ne_u32_e32 vcc, 0, v19
	s_waitcnt lgkmcnt(0)
	v_mov_b32_dpp v20, v18 row_shr:1 row_mask:0xf bank_mask:0xf
	v_cndmask_b32_e32 v20, 0, v20, vcc
	v_add_u32_e32 v18, v20, v18
	v_cmp_lt_u32_e32 vcc, 1, v19
	s_nop 0
	v_mov_b32_dpp v20, v18 row_shr:2 row_mask:0xf bank_mask:0xf
	v_cndmask_b32_e32 v20, 0, v20, vcc
	v_add_u32_e32 v18, v18, v20
	v_cmp_lt_u32_e32 vcc, 3, v19
	s_nop 0
	v_mov_b32_dpp v20, v18 row_shr:4 row_mask:0xf bank_mask:0xf
	v_cndmask_b32_e32 v19, 0, v20, vcc
	v_add_u32_e32 v18, v18, v19
	ds_write_b32 v17, v18
.LBB2892_41:
	s_or_b64 exec, exec, s[14:15]
	v_cmp_gt_u32_e32 vcc, 64, v0
	v_cmp_lt_u32_e64 s[14:15], 63, v0
	s_waitcnt lgkmcnt(0)
	s_barrier
	s_waitcnt lgkmcnt(0)
                                        ; implicit-def: $vgpr37
	s_and_saveexec_b64 s[26:27], s[14:15]
	s_cbranch_execz .LBB2892_43
; %bb.42:
	v_lshl_add_u32 v17, v35, 2, -4
	ds_read_b32 v37, v17
	s_waitcnt lgkmcnt(0)
	v_add_u32_e32 v16, v37, v16
.LBB2892_43:
	s_or_b64 exec, exec, s[26:27]
	v_add_u32_e32 v17, -1, v33
	v_and_b32_e32 v18, 64, v33
	v_cmp_lt_i32_e64 s[14:15], v17, v18
	s_nop 1
	v_cndmask_b32_e64 v17, v17, v33, s[14:15]
	v_lshlrev_b32_e32 v17, 2, v17
	ds_bpermute_b32 v38, v17, v16
	v_cmp_eq_u32_e64 s[14:15], 0, v33
	s_and_saveexec_b64 s[26:27], vcc
	s_cbranch_execz .LBB2892_66
; %bb.44:
	v_mov_b32_e32 v25, 0
	ds_read_b32 v16, v25 offset:28
	s_and_saveexec_b64 s[28:29], s[14:15]
	s_cbranch_execz .LBB2892_46
; %bb.45:
	s_add_i32 s30, s2, 64
	s_mov_b32 s31, 0
	s_lshl_b64 s[30:31], s[30:31], 3
	s_add_u32 s30, s24, s30
	v_mov_b32_e32 v17, 1
	s_addc_u32 s31, s25, s31
	s_waitcnt lgkmcnt(0)
	global_store_dwordx2 v25, v[16:17], s[30:31] sc1
.LBB2892_46:
	s_or_b64 exec, exec, s[28:29]
	v_xad_u32 v18, v33, -1, s2
	v_add_u32_e32 v24, 64, v18
	v_lshl_add_u64 v[20:21], v[24:25], 3, s[24:25]
	global_load_dwordx2 v[22:23], v[20:21], off sc1
	s_waitcnt vmcnt(0)
	v_cmp_eq_u16_sdwa s[30:31], v23, v25 src0_sel:BYTE_0 src1_sel:DWORD
	s_and_saveexec_b64 s[28:29], s[30:31]
	s_cbranch_execz .LBB2892_52
; %bb.47:
	s_mov_b32 s3, 1
	s_mov_b64 s[30:31], 0
	v_mov_b32_e32 v17, 0
.LBB2892_48:                            ; =>This Loop Header: Depth=1
                                        ;     Child Loop BB2892_49 Depth 2
	s_max_u32 s33, s3, 1
.LBB2892_49:                            ;   Parent Loop BB2892_48 Depth=1
                                        ; =>  This Inner Loop Header: Depth=2
	s_add_i32 s33, s33, -1
	s_cmp_eq_u32 s33, 0
	s_sleep 1
	s_cbranch_scc0 .LBB2892_49
; %bb.50:                               ;   in Loop: Header=BB2892_48 Depth=1
	global_load_dwordx2 v[22:23], v[20:21], off sc1
	s_cmp_lt_u32 s3, 32
	s_cselect_b64 s[34:35], -1, 0
	s_cmp_lg_u64 s[34:35], 0
	s_addc_u32 s3, s3, 0
	s_waitcnt vmcnt(0)
	v_cmp_ne_u16_sdwa s[34:35], v23, v17 src0_sel:BYTE_0 src1_sel:DWORD
	s_or_b64 s[30:31], s[34:35], s[30:31]
	s_andn2_b64 exec, exec, s[30:31]
	s_cbranch_execnz .LBB2892_48
; %bb.51:
	s_or_b64 exec, exec, s[30:31]
.LBB2892_52:
	s_or_b64 exec, exec, s[28:29]
	v_and_b32_e32 v40, 63, v33
	v_mov_b32_e32 v39, 2
	v_cmp_ne_u32_e32 vcc, 63, v40
	v_cmp_eq_u16_sdwa s[28:29], v23, v39 src0_sel:BYTE_0 src1_sel:DWORD
	v_lshlrev_b64 v[20:21], v33, -1
	v_addc_co_u32_e32 v24, vcc, 0, v33, vcc
	v_and_b32_e32 v17, s29, v21
	v_lshlrev_b32_e32 v41, 2, v24
	v_or_b32_e32 v17, 0x80000000, v17
	ds_bpermute_b32 v24, v41, v22
	v_and_b32_e32 v19, s28, v20
	v_ffbl_b32_e32 v17, v17
	v_add_u32_e32 v17, 32, v17
	v_ffbl_b32_e32 v19, v19
	v_min_u32_e32 v17, v19, v17
	v_cmp_lt_u32_e32 vcc, v40, v17
	v_add_u32_e32 v43, 2, v40
	v_add_u32_e32 v45, 4, v40
	s_waitcnt lgkmcnt(0)
	v_cndmask_b32_e32 v19, 0, v24, vcc
	v_cmp_gt_u32_e32 vcc, 62, v40
	v_add_u32_e32 v19, v19, v22
	v_add_u32_e32 v47, 8, v40
	v_cndmask_b32_e64 v22, 0, 1, vcc
	v_lshlrev_b32_e32 v22, 1, v22
	v_add_lshl_u32 v42, v22, v33, 2
	ds_bpermute_b32 v22, v42, v19
	v_cmp_le_u32_e32 vcc, v43, v17
	v_add_u32_e32 v49, 16, v40
	v_add_u32_e32 v51, 32, v40
	s_waitcnt lgkmcnt(0)
	v_cndmask_b32_e32 v22, 0, v22, vcc
	v_cmp_gt_u32_e32 vcc, 60, v40
	v_add_u32_e32 v19, v19, v22
	s_nop 0
	v_cndmask_b32_e64 v22, 0, 1, vcc
	v_lshlrev_b32_e32 v22, 2, v22
	v_add_lshl_u32 v44, v22, v33, 2
	ds_bpermute_b32 v22, v44, v19
	v_cmp_le_u32_e32 vcc, v45, v17
	s_waitcnt lgkmcnt(0)
	s_nop 0
	v_cndmask_b32_e32 v22, 0, v22, vcc
	v_cmp_gt_u32_e32 vcc, 56, v40
	v_add_u32_e32 v19, v19, v22
	s_nop 0
	v_cndmask_b32_e64 v22, 0, 1, vcc
	v_lshlrev_b32_e32 v22, 3, v22
	v_add_lshl_u32 v46, v22, v33, 2
	ds_bpermute_b32 v22, v46, v19
	v_cmp_le_u32_e32 vcc, v47, v17
	s_waitcnt lgkmcnt(0)
	s_nop 0
	;; [unrolled: 11-line block ×4, first 2 shown]
	v_cndmask_b32_e32 v17, 0, v22, vcc
	v_add_u32_e32 v22, v19, v17
	v_mov_b32_e32 v19, 0
	s_branch .LBB2892_54
.LBB2892_53:                            ;   in Loop: Header=BB2892_54 Depth=1
	s_or_b64 exec, exec, s[28:29]
	v_cmp_eq_u16_sdwa s[28:29], v23, v39 src0_sel:BYTE_0 src1_sel:DWORD
	ds_bpermute_b32 v52, v41, v22
	v_subrev_u32_e32 v18, 64, v18
	v_and_b32_e32 v24, s29, v21
	v_or_b32_e32 v24, 0x80000000, v24
	v_and_b32_e32 v25, s28, v20
	v_ffbl_b32_e32 v24, v24
	v_add_u32_e32 v24, 32, v24
	v_ffbl_b32_e32 v25, v25
	v_min_u32_e32 v24, v25, v24
	v_cmp_lt_u32_e32 vcc, v40, v24
	s_waitcnt lgkmcnt(0)
	s_nop 0
	v_cndmask_b32_e32 v25, 0, v52, vcc
	v_add_u32_e32 v22, v25, v22
	ds_bpermute_b32 v25, v42, v22
	v_cmp_le_u32_e32 vcc, v43, v24
	s_waitcnt lgkmcnt(0)
	s_nop 0
	v_cndmask_b32_e32 v25, 0, v25, vcc
	v_add_u32_e32 v22, v22, v25
	ds_bpermute_b32 v25, v44, v22
	v_cmp_le_u32_e32 vcc, v45, v24
	;; [unrolled: 6-line block ×5, first 2 shown]
	s_waitcnt lgkmcnt(0)
	s_nop 0
	v_cndmask_b32_e32 v24, 0, v25, vcc
	v_add3_u32 v22, v24, v17, v22
.LBB2892_54:                            ; =>This Loop Header: Depth=1
                                        ;     Child Loop BB2892_57 Depth 2
                                        ;       Child Loop BB2892_58 Depth 3
	v_cmp_ne_u16_sdwa s[28:29], v23, v39 src0_sel:BYTE_0 src1_sel:DWORD
	s_nop 1
	v_cndmask_b32_e64 v17, 0, 1, s[28:29]
	;;#ASMSTART
	;;#ASMEND
	s_nop 0
	v_cmp_ne_u32_e32 vcc, 0, v17
	s_cmp_lg_u64 vcc, exec
	v_mov_b32_e32 v17, v22
	s_cbranch_scc1 .LBB2892_61
; %bb.55:                               ;   in Loop: Header=BB2892_54 Depth=1
	v_lshl_add_u64 v[24:25], v[18:19], 3, s[24:25]
	global_load_dwordx2 v[22:23], v[24:25], off sc1
	s_waitcnt vmcnt(0)
	v_cmp_eq_u16_sdwa s[30:31], v23, v19 src0_sel:BYTE_0 src1_sel:DWORD
	s_and_saveexec_b64 s[28:29], s[30:31]
	s_cbranch_execz .LBB2892_53
; %bb.56:                               ;   in Loop: Header=BB2892_54 Depth=1
	s_mov_b32 s3, 1
	s_mov_b64 s[30:31], 0
.LBB2892_57:                            ;   Parent Loop BB2892_54 Depth=1
                                        ; =>  This Loop Header: Depth=2
                                        ;       Child Loop BB2892_58 Depth 3
	s_max_u32 s33, s3, 1
.LBB2892_58:                            ;   Parent Loop BB2892_54 Depth=1
                                        ;     Parent Loop BB2892_57 Depth=2
                                        ; =>    This Inner Loop Header: Depth=3
	s_add_i32 s33, s33, -1
	s_cmp_eq_u32 s33, 0
	s_sleep 1
	s_cbranch_scc0 .LBB2892_58
; %bb.59:                               ;   in Loop: Header=BB2892_57 Depth=2
	global_load_dwordx2 v[22:23], v[24:25], off sc1
	s_cmp_lt_u32 s3, 32
	s_cselect_b64 s[34:35], -1, 0
	s_cmp_lg_u64 s[34:35], 0
	s_addc_u32 s3, s3, 0
	s_waitcnt vmcnt(0)
	v_cmp_ne_u16_sdwa s[34:35], v23, v19 src0_sel:BYTE_0 src1_sel:DWORD
	s_or_b64 s[30:31], s[34:35], s[30:31]
	s_andn2_b64 exec, exec, s[30:31]
	s_cbranch_execnz .LBB2892_57
; %bb.60:                               ;   in Loop: Header=BB2892_54 Depth=1
	s_or_b64 exec, exec, s[30:31]
	s_branch .LBB2892_53
.LBB2892_61:                            ;   in Loop: Header=BB2892_54 Depth=1
                                        ; implicit-def: $vgpr22
                                        ; implicit-def: $vgpr23
	s_cbranch_execz .LBB2892_54
; %bb.62:
	s_and_saveexec_b64 s[28:29], s[14:15]
	s_cbranch_execz .LBB2892_64
; %bb.63:
	s_add_i32 s2, s2, 64
	s_mov_b32 s3, 0
	s_lshl_b64 s[2:3], s[2:3], 3
	s_add_u32 s2, s24, s2
	v_add_u32_e32 v18, v17, v16
	v_mov_b32_e32 v19, 2
	s_addc_u32 s3, s25, s3
	v_mov_b32_e32 v20, 0
	global_store_dwordx2 v20, v[18:19], s[2:3] sc1
	ds_write_b64 v20, v[16:17] offset:28672
.LBB2892_64:
	s_or_b64 exec, exec, s[28:29]
	v_cmp_eq_u32_e32 vcc, 0, v0
	s_and_b64 exec, exec, vcc
	s_cbranch_execz .LBB2892_66
; %bb.65:
	v_mov_b32_e32 v16, 0
	ds_write_b32 v16, v17 offset:28
.LBB2892_66:
	s_or_b64 exec, exec, s[26:27]
	v_mov_b32_e32 v16, 0
	s_waitcnt lgkmcnt(0)
	s_barrier
	ds_read_b32 v17, v16 offset:28
	v_cndmask_b32_e64 v18, v38, v37, s[14:15]
	v_cmp_ne_u32_e32 vcc, 0, v0
	s_waitcnt lgkmcnt(0)
	s_barrier
	v_cndmask_b32_e32 v18, 0, v18, vcc
	v_add_u32_e32 v24, v17, v18
	v_add_u32_e32 v23, v24, v32
	;; [unrolled: 1-line block ×3, first 2 shown]
	ds_read_b64 v[16:17], v16 offset:28672
	v_add_u32_e32 v20, v22, v30
	v_add_u32_e32 v21, v20, v29
	;; [unrolled: 1-line block ×4, first 2 shown]
	s_branch .LBB2892_77
.LBB2892_67:
                                        ; implicit-def: $vgpr17
                                        ; implicit-def: $vgpr18
                                        ; implicit-def: $vgpr19
                                        ; implicit-def: $vgpr21
                                        ; implicit-def: $vgpr20
                                        ; implicit-def: $vgpr22
                                        ; implicit-def: $vgpr23
                                        ; implicit-def: $vgpr24
	s_cbranch_execz .LBB2892_77
; %bb.68:
	s_waitcnt lgkmcnt(0)
	v_mov_b32_dpp v16, v36 row_shr:1 row_mask:0xf bank_mask:0xf
	v_cndmask_b32_e64 v16, v16, 0, s[12:13]
	v_add_u32_e32 v16, v16, v36
	s_nop 1
	v_mov_b32_dpp v17, v16 row_shr:2 row_mask:0xf bank_mask:0xf
	v_cndmask_b32_e64 v17, 0, v17, s[10:11]
	v_add_u32_e32 v16, v16, v17
	s_nop 1
	;; [unrolled: 4-line block ×4, first 2 shown]
	v_mov_b32_dpp v17, v16 row_bcast:15 row_mask:0xf bank_mask:0xf
	v_cndmask_b32_e64 v17, v17, 0, s[4:5]
	v_add_u32_e32 v16, v16, v17
	s_nop 1
	v_mov_b32_dpp v17, v16 row_bcast:31 row_mask:0xf bank_mask:0xf
	v_cndmask_b32_e64 v17, 0, v17, s[0:1]
	v_add_u32_e32 v16, v16, v17
	s_and_saveexec_b64 s[0:1], s[16:17]
	s_cbranch_execz .LBB2892_70
; %bb.69:
	v_lshlrev_b32_e32 v17, 2, v35
	ds_write_b32 v17, v16
.LBB2892_70:
	s_or_b64 exec, exec, s[0:1]
	v_cmp_gt_u32_e32 vcc, 8, v0
	s_waitcnt lgkmcnt(0)
	s_barrier
	s_and_saveexec_b64 s[0:1], vcc
	s_cbranch_execz .LBB2892_72
; %bb.71:
	v_mad_i32_i24 v17, v0, -3, v34
	ds_read_b32 v18, v17
	v_and_b32_e32 v19, 7, v33
	v_cmp_ne_u32_e32 vcc, 0, v19
	s_waitcnt lgkmcnt(0)
	v_mov_b32_dpp v20, v18 row_shr:1 row_mask:0xf bank_mask:0xf
	v_cndmask_b32_e32 v20, 0, v20, vcc
	v_add_u32_e32 v18, v20, v18
	v_cmp_lt_u32_e32 vcc, 1, v19
	s_nop 0
	v_mov_b32_dpp v20, v18 row_shr:2 row_mask:0xf bank_mask:0xf
	v_cndmask_b32_e32 v20, 0, v20, vcc
	v_add_u32_e32 v18, v18, v20
	v_cmp_lt_u32_e32 vcc, 3, v19
	s_nop 0
	v_mov_b32_dpp v20, v18 row_shr:4 row_mask:0xf bank_mask:0xf
	v_cndmask_b32_e32 v19, 0, v20, vcc
	v_add_u32_e32 v18, v18, v19
	ds_write_b32 v17, v18
.LBB2892_72:
	s_or_b64 exec, exec, s[0:1]
	v_cmp_lt_u32_e32 vcc, 63, v0
	v_mov_b32_e32 v17, 0
	v_mov_b32_e32 v18, 0
	s_waitcnt lgkmcnt(0)
	s_barrier
	s_and_saveexec_b64 s[0:1], vcc
	s_cbranch_execz .LBB2892_74
; %bb.73:
	v_lshl_add_u32 v18, v35, 2, -4
	ds_read_b32 v18, v18
.LBB2892_74:
	s_or_b64 exec, exec, s[0:1]
	v_add_u32_e32 v19, -1, v33
	v_and_b32_e32 v20, 64, v33
	v_cmp_lt_i32_e32 vcc, v19, v20
	s_waitcnt lgkmcnt(0)
	v_add_u32_e32 v16, v18, v16
	v_cndmask_b32_e32 v19, v19, v33, vcc
	v_lshlrev_b32_e32 v19, 2, v19
	ds_bpermute_b32 v19, v19, v16
	ds_read_b32 v16, v17 offset:28
	v_cmp_eq_u32_e32 vcc, 0, v0
	s_and_saveexec_b64 s[0:1], vcc
	s_cbranch_execz .LBB2892_76
; %bb.75:
	v_mov_b32_e32 v20, 0
	v_mov_b32_e32 v17, 2
	s_waitcnt lgkmcnt(0)
	global_store_dwordx2 v20, v[16:17], s[24:25] offset:512 sc1
.LBB2892_76:
	s_or_b64 exec, exec, s[0:1]
	v_cmp_eq_u32_e64 s[0:1], 0, v33
	v_mov_b32_e32 v17, 0
	s_waitcnt lgkmcnt(0)
	v_cndmask_b32_e64 v18, v19, v18, s[0:1]
	v_cndmask_b32_e64 v24, v18, 0, vcc
	v_add_u32_e32 v23, v24, v32
	v_add_u32_e32 v22, v23, v31
	;; [unrolled: 1-line block ×6, first 2 shown]
	s_barrier
.LBB2892_77:
	s_waitcnt lgkmcnt(0)
	v_add_u32_e32 v1, v16, v1
	v_sub_u32_e32 v24, v24, v17
	v_sub_u32_e32 v25, v1, v24
	v_cmp_eq_u32_e32 vcc, 1, v32
	s_nop 1
	v_cndmask_b32_e32 v24, v25, v24, vcc
	v_lshlrev_b32_e32 v24, 3, v24
	ds_write_b64 v24, v[10:11]
	v_sub_u32_e32 v10, v23, v17
	v_sub_u32_e32 v11, v1, v10
	v_add_u32_e32 v11, 1, v11
	v_cmp_eq_u32_e32 vcc, 1, v31
	s_nop 1
	v_cndmask_b32_e32 v10, v11, v10, vcc
	v_lshlrev_b32_e32 v10, 3, v10
	ds_write_b64 v10, v[12:13]
	v_sub_u32_e32 v10, v22, v17
	v_sub_u32_e32 v11, v1, v10
	v_add_u32_e32 v11, 2, v11
	;; [unrolled: 8-line block ×6, first 2 shown]
	v_cmp_eq_u32_e32 vcc, 1, v26
	s_nop 1
	v_cndmask_b32_e32 v1, v1, v2, vcc
	v_cmp_eq_u32_e32 vcc, 0, v0
	v_lshlrev_b32_e32 v1, 3, v1
	s_and_b64 s[0:1], vcc, s[22:23]
	ds_write_b64 v1, v[14:15]
	s_waitcnt lgkmcnt(0)
	s_barrier
	s_and_saveexec_b64 s[2:3], s[0:1]
	s_cbranch_execz .LBB2892_79
; %bb.78:
	v_mov_b32_e32 v1, 0
	v_mov_b32_e32 v0, v16
	v_lshl_add_u64 v[2:3], s[18:19], 0, v[0:1]
	v_mov_b32_e32 v0, v17
	v_lshl_add_u64 v[2:3], v[2:3], 0, v[0:1]
	global_store_dwordx2 v1, v[2:3], s[20:21]
.LBB2892_79:
	s_endpgm
	.section	.rodata,"a",@progbits
	.p2align	6, 0x0
	.amdhsa_kernel _ZN7rocprim17ROCPRIM_400000_NS6detail17trampoline_kernelINS0_14default_configENS1_25partition_config_selectorILNS1_17partition_subalgoE1EyNS0_10empty_typeEbEEZZNS1_14partition_implILS5_1ELb0ES3_jN6thrust23THRUST_200600_302600_NS6detail15normal_iteratorINSA_10device_ptrIyEEEEPS6_NSA_18transform_iteratorI7is_evenIyESF_NSA_11use_defaultESK_EENS0_5tupleIJNSA_16discard_iteratorISK_EESO_EEENSM_IJSG_SG_EEES6_PlJS6_EEE10hipError_tPvRmT3_T4_T5_T6_T7_T9_mT8_P12ihipStream_tbDpT10_ENKUlT_T0_E_clISt17integral_constantIbLb1EES1A_IbLb0EEEEDaS16_S17_EUlS16_E_NS1_11comp_targetILNS1_3genE5ELNS1_11target_archE942ELNS1_3gpuE9ELNS1_3repE0EEENS1_30default_config_static_selectorELNS0_4arch9wavefront6targetE1EEEvT1_
		.amdhsa_group_segment_fixed_size 28680
		.amdhsa_private_segment_fixed_size 0
		.amdhsa_kernarg_size 144
		.amdhsa_user_sgpr_count 2
		.amdhsa_user_sgpr_dispatch_ptr 0
		.amdhsa_user_sgpr_queue_ptr 0
		.amdhsa_user_sgpr_kernarg_segment_ptr 1
		.amdhsa_user_sgpr_dispatch_id 0
		.amdhsa_user_sgpr_kernarg_preload_length 0
		.amdhsa_user_sgpr_kernarg_preload_offset 0
		.amdhsa_user_sgpr_private_segment_size 0
		.amdhsa_uses_dynamic_stack 0
		.amdhsa_enable_private_segment 0
		.amdhsa_system_sgpr_workgroup_id_x 1
		.amdhsa_system_sgpr_workgroup_id_y 0
		.amdhsa_system_sgpr_workgroup_id_z 0
		.amdhsa_system_sgpr_workgroup_info 0
		.amdhsa_system_vgpr_workitem_id 0
		.amdhsa_next_free_vgpr 53
		.amdhsa_next_free_sgpr 36
		.amdhsa_accum_offset 56
		.amdhsa_reserve_vcc 1
		.amdhsa_float_round_mode_32 0
		.amdhsa_float_round_mode_16_64 0
		.amdhsa_float_denorm_mode_32 3
		.amdhsa_float_denorm_mode_16_64 3
		.amdhsa_dx10_clamp 1
		.amdhsa_ieee_mode 1
		.amdhsa_fp16_overflow 0
		.amdhsa_tg_split 0
		.amdhsa_exception_fp_ieee_invalid_op 0
		.amdhsa_exception_fp_denorm_src 0
		.amdhsa_exception_fp_ieee_div_zero 0
		.amdhsa_exception_fp_ieee_overflow 0
		.amdhsa_exception_fp_ieee_underflow 0
		.amdhsa_exception_fp_ieee_inexact 0
		.amdhsa_exception_int_div_zero 0
	.end_amdhsa_kernel
	.section	.text._ZN7rocprim17ROCPRIM_400000_NS6detail17trampoline_kernelINS0_14default_configENS1_25partition_config_selectorILNS1_17partition_subalgoE1EyNS0_10empty_typeEbEEZZNS1_14partition_implILS5_1ELb0ES3_jN6thrust23THRUST_200600_302600_NS6detail15normal_iteratorINSA_10device_ptrIyEEEEPS6_NSA_18transform_iteratorI7is_evenIyESF_NSA_11use_defaultESK_EENS0_5tupleIJNSA_16discard_iteratorISK_EESO_EEENSM_IJSG_SG_EEES6_PlJS6_EEE10hipError_tPvRmT3_T4_T5_T6_T7_T9_mT8_P12ihipStream_tbDpT10_ENKUlT_T0_E_clISt17integral_constantIbLb1EES1A_IbLb0EEEEDaS16_S17_EUlS16_E_NS1_11comp_targetILNS1_3genE5ELNS1_11target_archE942ELNS1_3gpuE9ELNS1_3repE0EEENS1_30default_config_static_selectorELNS0_4arch9wavefront6targetE1EEEvT1_,"axG",@progbits,_ZN7rocprim17ROCPRIM_400000_NS6detail17trampoline_kernelINS0_14default_configENS1_25partition_config_selectorILNS1_17partition_subalgoE1EyNS0_10empty_typeEbEEZZNS1_14partition_implILS5_1ELb0ES3_jN6thrust23THRUST_200600_302600_NS6detail15normal_iteratorINSA_10device_ptrIyEEEEPS6_NSA_18transform_iteratorI7is_evenIyESF_NSA_11use_defaultESK_EENS0_5tupleIJNSA_16discard_iteratorISK_EESO_EEENSM_IJSG_SG_EEES6_PlJS6_EEE10hipError_tPvRmT3_T4_T5_T6_T7_T9_mT8_P12ihipStream_tbDpT10_ENKUlT_T0_E_clISt17integral_constantIbLb1EES1A_IbLb0EEEEDaS16_S17_EUlS16_E_NS1_11comp_targetILNS1_3genE5ELNS1_11target_archE942ELNS1_3gpuE9ELNS1_3repE0EEENS1_30default_config_static_selectorELNS0_4arch9wavefront6targetE1EEEvT1_,comdat
.Lfunc_end2892:
	.size	_ZN7rocprim17ROCPRIM_400000_NS6detail17trampoline_kernelINS0_14default_configENS1_25partition_config_selectorILNS1_17partition_subalgoE1EyNS0_10empty_typeEbEEZZNS1_14partition_implILS5_1ELb0ES3_jN6thrust23THRUST_200600_302600_NS6detail15normal_iteratorINSA_10device_ptrIyEEEEPS6_NSA_18transform_iteratorI7is_evenIyESF_NSA_11use_defaultESK_EENS0_5tupleIJNSA_16discard_iteratorISK_EESO_EEENSM_IJSG_SG_EEES6_PlJS6_EEE10hipError_tPvRmT3_T4_T5_T6_T7_T9_mT8_P12ihipStream_tbDpT10_ENKUlT_T0_E_clISt17integral_constantIbLb1EES1A_IbLb0EEEEDaS16_S17_EUlS16_E_NS1_11comp_targetILNS1_3genE5ELNS1_11target_archE942ELNS1_3gpuE9ELNS1_3repE0EEENS1_30default_config_static_selectorELNS0_4arch9wavefront6targetE1EEEvT1_, .Lfunc_end2892-_ZN7rocprim17ROCPRIM_400000_NS6detail17trampoline_kernelINS0_14default_configENS1_25partition_config_selectorILNS1_17partition_subalgoE1EyNS0_10empty_typeEbEEZZNS1_14partition_implILS5_1ELb0ES3_jN6thrust23THRUST_200600_302600_NS6detail15normal_iteratorINSA_10device_ptrIyEEEEPS6_NSA_18transform_iteratorI7is_evenIyESF_NSA_11use_defaultESK_EENS0_5tupleIJNSA_16discard_iteratorISK_EESO_EEENSM_IJSG_SG_EEES6_PlJS6_EEE10hipError_tPvRmT3_T4_T5_T6_T7_T9_mT8_P12ihipStream_tbDpT10_ENKUlT_T0_E_clISt17integral_constantIbLb1EES1A_IbLb0EEEEDaS16_S17_EUlS16_E_NS1_11comp_targetILNS1_3genE5ELNS1_11target_archE942ELNS1_3gpuE9ELNS1_3repE0EEENS1_30default_config_static_selectorELNS0_4arch9wavefront6targetE1EEEvT1_
                                        ; -- End function
	.section	.AMDGPU.csdata,"",@progbits
; Kernel info:
; codeLenInByte = 4200
; NumSgprs: 42
; NumVgprs: 53
; NumAgprs: 0
; TotalNumVgprs: 53
; ScratchSize: 0
; MemoryBound: 0
; FloatMode: 240
; IeeeMode: 1
; LDSByteSize: 28680 bytes/workgroup (compile time only)
; SGPRBlocks: 5
; VGPRBlocks: 6
; NumSGPRsForWavesPerEU: 42
; NumVGPRsForWavesPerEU: 53
; AccumOffset: 56
; Occupancy: 4
; WaveLimiterHint : 1
; COMPUTE_PGM_RSRC2:SCRATCH_EN: 0
; COMPUTE_PGM_RSRC2:USER_SGPR: 2
; COMPUTE_PGM_RSRC2:TRAP_HANDLER: 0
; COMPUTE_PGM_RSRC2:TGID_X_EN: 1
; COMPUTE_PGM_RSRC2:TGID_Y_EN: 0
; COMPUTE_PGM_RSRC2:TGID_Z_EN: 0
; COMPUTE_PGM_RSRC2:TIDIG_COMP_CNT: 0
; COMPUTE_PGM_RSRC3_GFX90A:ACCUM_OFFSET: 13
; COMPUTE_PGM_RSRC3_GFX90A:TG_SPLIT: 0
	.section	.text._ZN7rocprim17ROCPRIM_400000_NS6detail17trampoline_kernelINS0_14default_configENS1_25partition_config_selectorILNS1_17partition_subalgoE1EyNS0_10empty_typeEbEEZZNS1_14partition_implILS5_1ELb0ES3_jN6thrust23THRUST_200600_302600_NS6detail15normal_iteratorINSA_10device_ptrIyEEEEPS6_NSA_18transform_iteratorI7is_evenIyESF_NSA_11use_defaultESK_EENS0_5tupleIJNSA_16discard_iteratorISK_EESO_EEENSM_IJSG_SG_EEES6_PlJS6_EEE10hipError_tPvRmT3_T4_T5_T6_T7_T9_mT8_P12ihipStream_tbDpT10_ENKUlT_T0_E_clISt17integral_constantIbLb1EES1A_IbLb0EEEEDaS16_S17_EUlS16_E_NS1_11comp_targetILNS1_3genE4ELNS1_11target_archE910ELNS1_3gpuE8ELNS1_3repE0EEENS1_30default_config_static_selectorELNS0_4arch9wavefront6targetE1EEEvT1_,"axG",@progbits,_ZN7rocprim17ROCPRIM_400000_NS6detail17trampoline_kernelINS0_14default_configENS1_25partition_config_selectorILNS1_17partition_subalgoE1EyNS0_10empty_typeEbEEZZNS1_14partition_implILS5_1ELb0ES3_jN6thrust23THRUST_200600_302600_NS6detail15normal_iteratorINSA_10device_ptrIyEEEEPS6_NSA_18transform_iteratorI7is_evenIyESF_NSA_11use_defaultESK_EENS0_5tupleIJNSA_16discard_iteratorISK_EESO_EEENSM_IJSG_SG_EEES6_PlJS6_EEE10hipError_tPvRmT3_T4_T5_T6_T7_T9_mT8_P12ihipStream_tbDpT10_ENKUlT_T0_E_clISt17integral_constantIbLb1EES1A_IbLb0EEEEDaS16_S17_EUlS16_E_NS1_11comp_targetILNS1_3genE4ELNS1_11target_archE910ELNS1_3gpuE8ELNS1_3repE0EEENS1_30default_config_static_selectorELNS0_4arch9wavefront6targetE1EEEvT1_,comdat
	.protected	_ZN7rocprim17ROCPRIM_400000_NS6detail17trampoline_kernelINS0_14default_configENS1_25partition_config_selectorILNS1_17partition_subalgoE1EyNS0_10empty_typeEbEEZZNS1_14partition_implILS5_1ELb0ES3_jN6thrust23THRUST_200600_302600_NS6detail15normal_iteratorINSA_10device_ptrIyEEEEPS6_NSA_18transform_iteratorI7is_evenIyESF_NSA_11use_defaultESK_EENS0_5tupleIJNSA_16discard_iteratorISK_EESO_EEENSM_IJSG_SG_EEES6_PlJS6_EEE10hipError_tPvRmT3_T4_T5_T6_T7_T9_mT8_P12ihipStream_tbDpT10_ENKUlT_T0_E_clISt17integral_constantIbLb1EES1A_IbLb0EEEEDaS16_S17_EUlS16_E_NS1_11comp_targetILNS1_3genE4ELNS1_11target_archE910ELNS1_3gpuE8ELNS1_3repE0EEENS1_30default_config_static_selectorELNS0_4arch9wavefront6targetE1EEEvT1_ ; -- Begin function _ZN7rocprim17ROCPRIM_400000_NS6detail17trampoline_kernelINS0_14default_configENS1_25partition_config_selectorILNS1_17partition_subalgoE1EyNS0_10empty_typeEbEEZZNS1_14partition_implILS5_1ELb0ES3_jN6thrust23THRUST_200600_302600_NS6detail15normal_iteratorINSA_10device_ptrIyEEEEPS6_NSA_18transform_iteratorI7is_evenIyESF_NSA_11use_defaultESK_EENS0_5tupleIJNSA_16discard_iteratorISK_EESO_EEENSM_IJSG_SG_EEES6_PlJS6_EEE10hipError_tPvRmT3_T4_T5_T6_T7_T9_mT8_P12ihipStream_tbDpT10_ENKUlT_T0_E_clISt17integral_constantIbLb1EES1A_IbLb0EEEEDaS16_S17_EUlS16_E_NS1_11comp_targetILNS1_3genE4ELNS1_11target_archE910ELNS1_3gpuE8ELNS1_3repE0EEENS1_30default_config_static_selectorELNS0_4arch9wavefront6targetE1EEEvT1_
	.globl	_ZN7rocprim17ROCPRIM_400000_NS6detail17trampoline_kernelINS0_14default_configENS1_25partition_config_selectorILNS1_17partition_subalgoE1EyNS0_10empty_typeEbEEZZNS1_14partition_implILS5_1ELb0ES3_jN6thrust23THRUST_200600_302600_NS6detail15normal_iteratorINSA_10device_ptrIyEEEEPS6_NSA_18transform_iteratorI7is_evenIyESF_NSA_11use_defaultESK_EENS0_5tupleIJNSA_16discard_iteratorISK_EESO_EEENSM_IJSG_SG_EEES6_PlJS6_EEE10hipError_tPvRmT3_T4_T5_T6_T7_T9_mT8_P12ihipStream_tbDpT10_ENKUlT_T0_E_clISt17integral_constantIbLb1EES1A_IbLb0EEEEDaS16_S17_EUlS16_E_NS1_11comp_targetILNS1_3genE4ELNS1_11target_archE910ELNS1_3gpuE8ELNS1_3repE0EEENS1_30default_config_static_selectorELNS0_4arch9wavefront6targetE1EEEvT1_
	.p2align	8
	.type	_ZN7rocprim17ROCPRIM_400000_NS6detail17trampoline_kernelINS0_14default_configENS1_25partition_config_selectorILNS1_17partition_subalgoE1EyNS0_10empty_typeEbEEZZNS1_14partition_implILS5_1ELb0ES3_jN6thrust23THRUST_200600_302600_NS6detail15normal_iteratorINSA_10device_ptrIyEEEEPS6_NSA_18transform_iteratorI7is_evenIyESF_NSA_11use_defaultESK_EENS0_5tupleIJNSA_16discard_iteratorISK_EESO_EEENSM_IJSG_SG_EEES6_PlJS6_EEE10hipError_tPvRmT3_T4_T5_T6_T7_T9_mT8_P12ihipStream_tbDpT10_ENKUlT_T0_E_clISt17integral_constantIbLb1EES1A_IbLb0EEEEDaS16_S17_EUlS16_E_NS1_11comp_targetILNS1_3genE4ELNS1_11target_archE910ELNS1_3gpuE8ELNS1_3repE0EEENS1_30default_config_static_selectorELNS0_4arch9wavefront6targetE1EEEvT1_,@function
_ZN7rocprim17ROCPRIM_400000_NS6detail17trampoline_kernelINS0_14default_configENS1_25partition_config_selectorILNS1_17partition_subalgoE1EyNS0_10empty_typeEbEEZZNS1_14partition_implILS5_1ELb0ES3_jN6thrust23THRUST_200600_302600_NS6detail15normal_iteratorINSA_10device_ptrIyEEEEPS6_NSA_18transform_iteratorI7is_evenIyESF_NSA_11use_defaultESK_EENS0_5tupleIJNSA_16discard_iteratorISK_EESO_EEENSM_IJSG_SG_EEES6_PlJS6_EEE10hipError_tPvRmT3_T4_T5_T6_T7_T9_mT8_P12ihipStream_tbDpT10_ENKUlT_T0_E_clISt17integral_constantIbLb1EES1A_IbLb0EEEEDaS16_S17_EUlS16_E_NS1_11comp_targetILNS1_3genE4ELNS1_11target_archE910ELNS1_3gpuE8ELNS1_3repE0EEENS1_30default_config_static_selectorELNS0_4arch9wavefront6targetE1EEEvT1_: ; @_ZN7rocprim17ROCPRIM_400000_NS6detail17trampoline_kernelINS0_14default_configENS1_25partition_config_selectorILNS1_17partition_subalgoE1EyNS0_10empty_typeEbEEZZNS1_14partition_implILS5_1ELb0ES3_jN6thrust23THRUST_200600_302600_NS6detail15normal_iteratorINSA_10device_ptrIyEEEEPS6_NSA_18transform_iteratorI7is_evenIyESF_NSA_11use_defaultESK_EENS0_5tupleIJNSA_16discard_iteratorISK_EESO_EEENSM_IJSG_SG_EEES6_PlJS6_EEE10hipError_tPvRmT3_T4_T5_T6_T7_T9_mT8_P12ihipStream_tbDpT10_ENKUlT_T0_E_clISt17integral_constantIbLb1EES1A_IbLb0EEEEDaS16_S17_EUlS16_E_NS1_11comp_targetILNS1_3genE4ELNS1_11target_archE910ELNS1_3gpuE8ELNS1_3repE0EEENS1_30default_config_static_selectorELNS0_4arch9wavefront6targetE1EEEvT1_
; %bb.0:
	.section	.rodata,"a",@progbits
	.p2align	6, 0x0
	.amdhsa_kernel _ZN7rocprim17ROCPRIM_400000_NS6detail17trampoline_kernelINS0_14default_configENS1_25partition_config_selectorILNS1_17partition_subalgoE1EyNS0_10empty_typeEbEEZZNS1_14partition_implILS5_1ELb0ES3_jN6thrust23THRUST_200600_302600_NS6detail15normal_iteratorINSA_10device_ptrIyEEEEPS6_NSA_18transform_iteratorI7is_evenIyESF_NSA_11use_defaultESK_EENS0_5tupleIJNSA_16discard_iteratorISK_EESO_EEENSM_IJSG_SG_EEES6_PlJS6_EEE10hipError_tPvRmT3_T4_T5_T6_T7_T9_mT8_P12ihipStream_tbDpT10_ENKUlT_T0_E_clISt17integral_constantIbLb1EES1A_IbLb0EEEEDaS16_S17_EUlS16_E_NS1_11comp_targetILNS1_3genE4ELNS1_11target_archE910ELNS1_3gpuE8ELNS1_3repE0EEENS1_30default_config_static_selectorELNS0_4arch9wavefront6targetE1EEEvT1_
		.amdhsa_group_segment_fixed_size 0
		.amdhsa_private_segment_fixed_size 0
		.amdhsa_kernarg_size 144
		.amdhsa_user_sgpr_count 2
		.amdhsa_user_sgpr_dispatch_ptr 0
		.amdhsa_user_sgpr_queue_ptr 0
		.amdhsa_user_sgpr_kernarg_segment_ptr 1
		.amdhsa_user_sgpr_dispatch_id 0
		.amdhsa_user_sgpr_kernarg_preload_length 0
		.amdhsa_user_sgpr_kernarg_preload_offset 0
		.amdhsa_user_sgpr_private_segment_size 0
		.amdhsa_uses_dynamic_stack 0
		.amdhsa_enable_private_segment 0
		.amdhsa_system_sgpr_workgroup_id_x 1
		.amdhsa_system_sgpr_workgroup_id_y 0
		.amdhsa_system_sgpr_workgroup_id_z 0
		.amdhsa_system_sgpr_workgroup_info 0
		.amdhsa_system_vgpr_workitem_id 0
		.amdhsa_next_free_vgpr 1
		.amdhsa_next_free_sgpr 0
		.amdhsa_accum_offset 4
		.amdhsa_reserve_vcc 0
		.amdhsa_float_round_mode_32 0
		.amdhsa_float_round_mode_16_64 0
		.amdhsa_float_denorm_mode_32 3
		.amdhsa_float_denorm_mode_16_64 3
		.amdhsa_dx10_clamp 1
		.amdhsa_ieee_mode 1
		.amdhsa_fp16_overflow 0
		.amdhsa_tg_split 0
		.amdhsa_exception_fp_ieee_invalid_op 0
		.amdhsa_exception_fp_denorm_src 0
		.amdhsa_exception_fp_ieee_div_zero 0
		.amdhsa_exception_fp_ieee_overflow 0
		.amdhsa_exception_fp_ieee_underflow 0
		.amdhsa_exception_fp_ieee_inexact 0
		.amdhsa_exception_int_div_zero 0
	.end_amdhsa_kernel
	.section	.text._ZN7rocprim17ROCPRIM_400000_NS6detail17trampoline_kernelINS0_14default_configENS1_25partition_config_selectorILNS1_17partition_subalgoE1EyNS0_10empty_typeEbEEZZNS1_14partition_implILS5_1ELb0ES3_jN6thrust23THRUST_200600_302600_NS6detail15normal_iteratorINSA_10device_ptrIyEEEEPS6_NSA_18transform_iteratorI7is_evenIyESF_NSA_11use_defaultESK_EENS0_5tupleIJNSA_16discard_iteratorISK_EESO_EEENSM_IJSG_SG_EEES6_PlJS6_EEE10hipError_tPvRmT3_T4_T5_T6_T7_T9_mT8_P12ihipStream_tbDpT10_ENKUlT_T0_E_clISt17integral_constantIbLb1EES1A_IbLb0EEEEDaS16_S17_EUlS16_E_NS1_11comp_targetILNS1_3genE4ELNS1_11target_archE910ELNS1_3gpuE8ELNS1_3repE0EEENS1_30default_config_static_selectorELNS0_4arch9wavefront6targetE1EEEvT1_,"axG",@progbits,_ZN7rocprim17ROCPRIM_400000_NS6detail17trampoline_kernelINS0_14default_configENS1_25partition_config_selectorILNS1_17partition_subalgoE1EyNS0_10empty_typeEbEEZZNS1_14partition_implILS5_1ELb0ES3_jN6thrust23THRUST_200600_302600_NS6detail15normal_iteratorINSA_10device_ptrIyEEEEPS6_NSA_18transform_iteratorI7is_evenIyESF_NSA_11use_defaultESK_EENS0_5tupleIJNSA_16discard_iteratorISK_EESO_EEENSM_IJSG_SG_EEES6_PlJS6_EEE10hipError_tPvRmT3_T4_T5_T6_T7_T9_mT8_P12ihipStream_tbDpT10_ENKUlT_T0_E_clISt17integral_constantIbLb1EES1A_IbLb0EEEEDaS16_S17_EUlS16_E_NS1_11comp_targetILNS1_3genE4ELNS1_11target_archE910ELNS1_3gpuE8ELNS1_3repE0EEENS1_30default_config_static_selectorELNS0_4arch9wavefront6targetE1EEEvT1_,comdat
.Lfunc_end2893:
	.size	_ZN7rocprim17ROCPRIM_400000_NS6detail17trampoline_kernelINS0_14default_configENS1_25partition_config_selectorILNS1_17partition_subalgoE1EyNS0_10empty_typeEbEEZZNS1_14partition_implILS5_1ELb0ES3_jN6thrust23THRUST_200600_302600_NS6detail15normal_iteratorINSA_10device_ptrIyEEEEPS6_NSA_18transform_iteratorI7is_evenIyESF_NSA_11use_defaultESK_EENS0_5tupleIJNSA_16discard_iteratorISK_EESO_EEENSM_IJSG_SG_EEES6_PlJS6_EEE10hipError_tPvRmT3_T4_T5_T6_T7_T9_mT8_P12ihipStream_tbDpT10_ENKUlT_T0_E_clISt17integral_constantIbLb1EES1A_IbLb0EEEEDaS16_S17_EUlS16_E_NS1_11comp_targetILNS1_3genE4ELNS1_11target_archE910ELNS1_3gpuE8ELNS1_3repE0EEENS1_30default_config_static_selectorELNS0_4arch9wavefront6targetE1EEEvT1_, .Lfunc_end2893-_ZN7rocprim17ROCPRIM_400000_NS6detail17trampoline_kernelINS0_14default_configENS1_25partition_config_selectorILNS1_17partition_subalgoE1EyNS0_10empty_typeEbEEZZNS1_14partition_implILS5_1ELb0ES3_jN6thrust23THRUST_200600_302600_NS6detail15normal_iteratorINSA_10device_ptrIyEEEEPS6_NSA_18transform_iteratorI7is_evenIyESF_NSA_11use_defaultESK_EENS0_5tupleIJNSA_16discard_iteratorISK_EESO_EEENSM_IJSG_SG_EEES6_PlJS6_EEE10hipError_tPvRmT3_T4_T5_T6_T7_T9_mT8_P12ihipStream_tbDpT10_ENKUlT_T0_E_clISt17integral_constantIbLb1EES1A_IbLb0EEEEDaS16_S17_EUlS16_E_NS1_11comp_targetILNS1_3genE4ELNS1_11target_archE910ELNS1_3gpuE8ELNS1_3repE0EEENS1_30default_config_static_selectorELNS0_4arch9wavefront6targetE1EEEvT1_
                                        ; -- End function
	.section	.AMDGPU.csdata,"",@progbits
; Kernel info:
; codeLenInByte = 0
; NumSgprs: 6
; NumVgprs: 0
; NumAgprs: 0
; TotalNumVgprs: 0
; ScratchSize: 0
; MemoryBound: 0
; FloatMode: 240
; IeeeMode: 1
; LDSByteSize: 0 bytes/workgroup (compile time only)
; SGPRBlocks: 0
; VGPRBlocks: 0
; NumSGPRsForWavesPerEU: 6
; NumVGPRsForWavesPerEU: 1
; AccumOffset: 4
; Occupancy: 8
; WaveLimiterHint : 0
; COMPUTE_PGM_RSRC2:SCRATCH_EN: 0
; COMPUTE_PGM_RSRC2:USER_SGPR: 2
; COMPUTE_PGM_RSRC2:TRAP_HANDLER: 0
; COMPUTE_PGM_RSRC2:TGID_X_EN: 1
; COMPUTE_PGM_RSRC2:TGID_Y_EN: 0
; COMPUTE_PGM_RSRC2:TGID_Z_EN: 0
; COMPUTE_PGM_RSRC2:TIDIG_COMP_CNT: 0
; COMPUTE_PGM_RSRC3_GFX90A:ACCUM_OFFSET: 0
; COMPUTE_PGM_RSRC3_GFX90A:TG_SPLIT: 0
	.section	.text._ZN7rocprim17ROCPRIM_400000_NS6detail17trampoline_kernelINS0_14default_configENS1_25partition_config_selectorILNS1_17partition_subalgoE1EyNS0_10empty_typeEbEEZZNS1_14partition_implILS5_1ELb0ES3_jN6thrust23THRUST_200600_302600_NS6detail15normal_iteratorINSA_10device_ptrIyEEEEPS6_NSA_18transform_iteratorI7is_evenIyESF_NSA_11use_defaultESK_EENS0_5tupleIJNSA_16discard_iteratorISK_EESO_EEENSM_IJSG_SG_EEES6_PlJS6_EEE10hipError_tPvRmT3_T4_T5_T6_T7_T9_mT8_P12ihipStream_tbDpT10_ENKUlT_T0_E_clISt17integral_constantIbLb1EES1A_IbLb0EEEEDaS16_S17_EUlS16_E_NS1_11comp_targetILNS1_3genE3ELNS1_11target_archE908ELNS1_3gpuE7ELNS1_3repE0EEENS1_30default_config_static_selectorELNS0_4arch9wavefront6targetE1EEEvT1_,"axG",@progbits,_ZN7rocprim17ROCPRIM_400000_NS6detail17trampoline_kernelINS0_14default_configENS1_25partition_config_selectorILNS1_17partition_subalgoE1EyNS0_10empty_typeEbEEZZNS1_14partition_implILS5_1ELb0ES3_jN6thrust23THRUST_200600_302600_NS6detail15normal_iteratorINSA_10device_ptrIyEEEEPS6_NSA_18transform_iteratorI7is_evenIyESF_NSA_11use_defaultESK_EENS0_5tupleIJNSA_16discard_iteratorISK_EESO_EEENSM_IJSG_SG_EEES6_PlJS6_EEE10hipError_tPvRmT3_T4_T5_T6_T7_T9_mT8_P12ihipStream_tbDpT10_ENKUlT_T0_E_clISt17integral_constantIbLb1EES1A_IbLb0EEEEDaS16_S17_EUlS16_E_NS1_11comp_targetILNS1_3genE3ELNS1_11target_archE908ELNS1_3gpuE7ELNS1_3repE0EEENS1_30default_config_static_selectorELNS0_4arch9wavefront6targetE1EEEvT1_,comdat
	.protected	_ZN7rocprim17ROCPRIM_400000_NS6detail17trampoline_kernelINS0_14default_configENS1_25partition_config_selectorILNS1_17partition_subalgoE1EyNS0_10empty_typeEbEEZZNS1_14partition_implILS5_1ELb0ES3_jN6thrust23THRUST_200600_302600_NS6detail15normal_iteratorINSA_10device_ptrIyEEEEPS6_NSA_18transform_iteratorI7is_evenIyESF_NSA_11use_defaultESK_EENS0_5tupleIJNSA_16discard_iteratorISK_EESO_EEENSM_IJSG_SG_EEES6_PlJS6_EEE10hipError_tPvRmT3_T4_T5_T6_T7_T9_mT8_P12ihipStream_tbDpT10_ENKUlT_T0_E_clISt17integral_constantIbLb1EES1A_IbLb0EEEEDaS16_S17_EUlS16_E_NS1_11comp_targetILNS1_3genE3ELNS1_11target_archE908ELNS1_3gpuE7ELNS1_3repE0EEENS1_30default_config_static_selectorELNS0_4arch9wavefront6targetE1EEEvT1_ ; -- Begin function _ZN7rocprim17ROCPRIM_400000_NS6detail17trampoline_kernelINS0_14default_configENS1_25partition_config_selectorILNS1_17partition_subalgoE1EyNS0_10empty_typeEbEEZZNS1_14partition_implILS5_1ELb0ES3_jN6thrust23THRUST_200600_302600_NS6detail15normal_iteratorINSA_10device_ptrIyEEEEPS6_NSA_18transform_iteratorI7is_evenIyESF_NSA_11use_defaultESK_EENS0_5tupleIJNSA_16discard_iteratorISK_EESO_EEENSM_IJSG_SG_EEES6_PlJS6_EEE10hipError_tPvRmT3_T4_T5_T6_T7_T9_mT8_P12ihipStream_tbDpT10_ENKUlT_T0_E_clISt17integral_constantIbLb1EES1A_IbLb0EEEEDaS16_S17_EUlS16_E_NS1_11comp_targetILNS1_3genE3ELNS1_11target_archE908ELNS1_3gpuE7ELNS1_3repE0EEENS1_30default_config_static_selectorELNS0_4arch9wavefront6targetE1EEEvT1_
	.globl	_ZN7rocprim17ROCPRIM_400000_NS6detail17trampoline_kernelINS0_14default_configENS1_25partition_config_selectorILNS1_17partition_subalgoE1EyNS0_10empty_typeEbEEZZNS1_14partition_implILS5_1ELb0ES3_jN6thrust23THRUST_200600_302600_NS6detail15normal_iteratorINSA_10device_ptrIyEEEEPS6_NSA_18transform_iteratorI7is_evenIyESF_NSA_11use_defaultESK_EENS0_5tupleIJNSA_16discard_iteratorISK_EESO_EEENSM_IJSG_SG_EEES6_PlJS6_EEE10hipError_tPvRmT3_T4_T5_T6_T7_T9_mT8_P12ihipStream_tbDpT10_ENKUlT_T0_E_clISt17integral_constantIbLb1EES1A_IbLb0EEEEDaS16_S17_EUlS16_E_NS1_11comp_targetILNS1_3genE3ELNS1_11target_archE908ELNS1_3gpuE7ELNS1_3repE0EEENS1_30default_config_static_selectorELNS0_4arch9wavefront6targetE1EEEvT1_
	.p2align	8
	.type	_ZN7rocprim17ROCPRIM_400000_NS6detail17trampoline_kernelINS0_14default_configENS1_25partition_config_selectorILNS1_17partition_subalgoE1EyNS0_10empty_typeEbEEZZNS1_14partition_implILS5_1ELb0ES3_jN6thrust23THRUST_200600_302600_NS6detail15normal_iteratorINSA_10device_ptrIyEEEEPS6_NSA_18transform_iteratorI7is_evenIyESF_NSA_11use_defaultESK_EENS0_5tupleIJNSA_16discard_iteratorISK_EESO_EEENSM_IJSG_SG_EEES6_PlJS6_EEE10hipError_tPvRmT3_T4_T5_T6_T7_T9_mT8_P12ihipStream_tbDpT10_ENKUlT_T0_E_clISt17integral_constantIbLb1EES1A_IbLb0EEEEDaS16_S17_EUlS16_E_NS1_11comp_targetILNS1_3genE3ELNS1_11target_archE908ELNS1_3gpuE7ELNS1_3repE0EEENS1_30default_config_static_selectorELNS0_4arch9wavefront6targetE1EEEvT1_,@function
_ZN7rocprim17ROCPRIM_400000_NS6detail17trampoline_kernelINS0_14default_configENS1_25partition_config_selectorILNS1_17partition_subalgoE1EyNS0_10empty_typeEbEEZZNS1_14partition_implILS5_1ELb0ES3_jN6thrust23THRUST_200600_302600_NS6detail15normal_iteratorINSA_10device_ptrIyEEEEPS6_NSA_18transform_iteratorI7is_evenIyESF_NSA_11use_defaultESK_EENS0_5tupleIJNSA_16discard_iteratorISK_EESO_EEENSM_IJSG_SG_EEES6_PlJS6_EEE10hipError_tPvRmT3_T4_T5_T6_T7_T9_mT8_P12ihipStream_tbDpT10_ENKUlT_T0_E_clISt17integral_constantIbLb1EES1A_IbLb0EEEEDaS16_S17_EUlS16_E_NS1_11comp_targetILNS1_3genE3ELNS1_11target_archE908ELNS1_3gpuE7ELNS1_3repE0EEENS1_30default_config_static_selectorELNS0_4arch9wavefront6targetE1EEEvT1_: ; @_ZN7rocprim17ROCPRIM_400000_NS6detail17trampoline_kernelINS0_14default_configENS1_25partition_config_selectorILNS1_17partition_subalgoE1EyNS0_10empty_typeEbEEZZNS1_14partition_implILS5_1ELb0ES3_jN6thrust23THRUST_200600_302600_NS6detail15normal_iteratorINSA_10device_ptrIyEEEEPS6_NSA_18transform_iteratorI7is_evenIyESF_NSA_11use_defaultESK_EENS0_5tupleIJNSA_16discard_iteratorISK_EESO_EEENSM_IJSG_SG_EEES6_PlJS6_EEE10hipError_tPvRmT3_T4_T5_T6_T7_T9_mT8_P12ihipStream_tbDpT10_ENKUlT_T0_E_clISt17integral_constantIbLb1EES1A_IbLb0EEEEDaS16_S17_EUlS16_E_NS1_11comp_targetILNS1_3genE3ELNS1_11target_archE908ELNS1_3gpuE7ELNS1_3repE0EEENS1_30default_config_static_selectorELNS0_4arch9wavefront6targetE1EEEvT1_
; %bb.0:
	.section	.rodata,"a",@progbits
	.p2align	6, 0x0
	.amdhsa_kernel _ZN7rocprim17ROCPRIM_400000_NS6detail17trampoline_kernelINS0_14default_configENS1_25partition_config_selectorILNS1_17partition_subalgoE1EyNS0_10empty_typeEbEEZZNS1_14partition_implILS5_1ELb0ES3_jN6thrust23THRUST_200600_302600_NS6detail15normal_iteratorINSA_10device_ptrIyEEEEPS6_NSA_18transform_iteratorI7is_evenIyESF_NSA_11use_defaultESK_EENS0_5tupleIJNSA_16discard_iteratorISK_EESO_EEENSM_IJSG_SG_EEES6_PlJS6_EEE10hipError_tPvRmT3_T4_T5_T6_T7_T9_mT8_P12ihipStream_tbDpT10_ENKUlT_T0_E_clISt17integral_constantIbLb1EES1A_IbLb0EEEEDaS16_S17_EUlS16_E_NS1_11comp_targetILNS1_3genE3ELNS1_11target_archE908ELNS1_3gpuE7ELNS1_3repE0EEENS1_30default_config_static_selectorELNS0_4arch9wavefront6targetE1EEEvT1_
		.amdhsa_group_segment_fixed_size 0
		.amdhsa_private_segment_fixed_size 0
		.amdhsa_kernarg_size 144
		.amdhsa_user_sgpr_count 2
		.amdhsa_user_sgpr_dispatch_ptr 0
		.amdhsa_user_sgpr_queue_ptr 0
		.amdhsa_user_sgpr_kernarg_segment_ptr 1
		.amdhsa_user_sgpr_dispatch_id 0
		.amdhsa_user_sgpr_kernarg_preload_length 0
		.amdhsa_user_sgpr_kernarg_preload_offset 0
		.amdhsa_user_sgpr_private_segment_size 0
		.amdhsa_uses_dynamic_stack 0
		.amdhsa_enable_private_segment 0
		.amdhsa_system_sgpr_workgroup_id_x 1
		.amdhsa_system_sgpr_workgroup_id_y 0
		.amdhsa_system_sgpr_workgroup_id_z 0
		.amdhsa_system_sgpr_workgroup_info 0
		.amdhsa_system_vgpr_workitem_id 0
		.amdhsa_next_free_vgpr 1
		.amdhsa_next_free_sgpr 0
		.amdhsa_accum_offset 4
		.amdhsa_reserve_vcc 0
		.amdhsa_float_round_mode_32 0
		.amdhsa_float_round_mode_16_64 0
		.amdhsa_float_denorm_mode_32 3
		.amdhsa_float_denorm_mode_16_64 3
		.amdhsa_dx10_clamp 1
		.amdhsa_ieee_mode 1
		.amdhsa_fp16_overflow 0
		.amdhsa_tg_split 0
		.amdhsa_exception_fp_ieee_invalid_op 0
		.amdhsa_exception_fp_denorm_src 0
		.amdhsa_exception_fp_ieee_div_zero 0
		.amdhsa_exception_fp_ieee_overflow 0
		.amdhsa_exception_fp_ieee_underflow 0
		.amdhsa_exception_fp_ieee_inexact 0
		.amdhsa_exception_int_div_zero 0
	.end_amdhsa_kernel
	.section	.text._ZN7rocprim17ROCPRIM_400000_NS6detail17trampoline_kernelINS0_14default_configENS1_25partition_config_selectorILNS1_17partition_subalgoE1EyNS0_10empty_typeEbEEZZNS1_14partition_implILS5_1ELb0ES3_jN6thrust23THRUST_200600_302600_NS6detail15normal_iteratorINSA_10device_ptrIyEEEEPS6_NSA_18transform_iteratorI7is_evenIyESF_NSA_11use_defaultESK_EENS0_5tupleIJNSA_16discard_iteratorISK_EESO_EEENSM_IJSG_SG_EEES6_PlJS6_EEE10hipError_tPvRmT3_T4_T5_T6_T7_T9_mT8_P12ihipStream_tbDpT10_ENKUlT_T0_E_clISt17integral_constantIbLb1EES1A_IbLb0EEEEDaS16_S17_EUlS16_E_NS1_11comp_targetILNS1_3genE3ELNS1_11target_archE908ELNS1_3gpuE7ELNS1_3repE0EEENS1_30default_config_static_selectorELNS0_4arch9wavefront6targetE1EEEvT1_,"axG",@progbits,_ZN7rocprim17ROCPRIM_400000_NS6detail17trampoline_kernelINS0_14default_configENS1_25partition_config_selectorILNS1_17partition_subalgoE1EyNS0_10empty_typeEbEEZZNS1_14partition_implILS5_1ELb0ES3_jN6thrust23THRUST_200600_302600_NS6detail15normal_iteratorINSA_10device_ptrIyEEEEPS6_NSA_18transform_iteratorI7is_evenIyESF_NSA_11use_defaultESK_EENS0_5tupleIJNSA_16discard_iteratorISK_EESO_EEENSM_IJSG_SG_EEES6_PlJS6_EEE10hipError_tPvRmT3_T4_T5_T6_T7_T9_mT8_P12ihipStream_tbDpT10_ENKUlT_T0_E_clISt17integral_constantIbLb1EES1A_IbLb0EEEEDaS16_S17_EUlS16_E_NS1_11comp_targetILNS1_3genE3ELNS1_11target_archE908ELNS1_3gpuE7ELNS1_3repE0EEENS1_30default_config_static_selectorELNS0_4arch9wavefront6targetE1EEEvT1_,comdat
.Lfunc_end2894:
	.size	_ZN7rocprim17ROCPRIM_400000_NS6detail17trampoline_kernelINS0_14default_configENS1_25partition_config_selectorILNS1_17partition_subalgoE1EyNS0_10empty_typeEbEEZZNS1_14partition_implILS5_1ELb0ES3_jN6thrust23THRUST_200600_302600_NS6detail15normal_iteratorINSA_10device_ptrIyEEEEPS6_NSA_18transform_iteratorI7is_evenIyESF_NSA_11use_defaultESK_EENS0_5tupleIJNSA_16discard_iteratorISK_EESO_EEENSM_IJSG_SG_EEES6_PlJS6_EEE10hipError_tPvRmT3_T4_T5_T6_T7_T9_mT8_P12ihipStream_tbDpT10_ENKUlT_T0_E_clISt17integral_constantIbLb1EES1A_IbLb0EEEEDaS16_S17_EUlS16_E_NS1_11comp_targetILNS1_3genE3ELNS1_11target_archE908ELNS1_3gpuE7ELNS1_3repE0EEENS1_30default_config_static_selectorELNS0_4arch9wavefront6targetE1EEEvT1_, .Lfunc_end2894-_ZN7rocprim17ROCPRIM_400000_NS6detail17trampoline_kernelINS0_14default_configENS1_25partition_config_selectorILNS1_17partition_subalgoE1EyNS0_10empty_typeEbEEZZNS1_14partition_implILS5_1ELb0ES3_jN6thrust23THRUST_200600_302600_NS6detail15normal_iteratorINSA_10device_ptrIyEEEEPS6_NSA_18transform_iteratorI7is_evenIyESF_NSA_11use_defaultESK_EENS0_5tupleIJNSA_16discard_iteratorISK_EESO_EEENSM_IJSG_SG_EEES6_PlJS6_EEE10hipError_tPvRmT3_T4_T5_T6_T7_T9_mT8_P12ihipStream_tbDpT10_ENKUlT_T0_E_clISt17integral_constantIbLb1EES1A_IbLb0EEEEDaS16_S17_EUlS16_E_NS1_11comp_targetILNS1_3genE3ELNS1_11target_archE908ELNS1_3gpuE7ELNS1_3repE0EEENS1_30default_config_static_selectorELNS0_4arch9wavefront6targetE1EEEvT1_
                                        ; -- End function
	.section	.AMDGPU.csdata,"",@progbits
; Kernel info:
; codeLenInByte = 0
; NumSgprs: 6
; NumVgprs: 0
; NumAgprs: 0
; TotalNumVgprs: 0
; ScratchSize: 0
; MemoryBound: 0
; FloatMode: 240
; IeeeMode: 1
; LDSByteSize: 0 bytes/workgroup (compile time only)
; SGPRBlocks: 0
; VGPRBlocks: 0
; NumSGPRsForWavesPerEU: 6
; NumVGPRsForWavesPerEU: 1
; AccumOffset: 4
; Occupancy: 8
; WaveLimiterHint : 0
; COMPUTE_PGM_RSRC2:SCRATCH_EN: 0
; COMPUTE_PGM_RSRC2:USER_SGPR: 2
; COMPUTE_PGM_RSRC2:TRAP_HANDLER: 0
; COMPUTE_PGM_RSRC2:TGID_X_EN: 1
; COMPUTE_PGM_RSRC2:TGID_Y_EN: 0
; COMPUTE_PGM_RSRC2:TGID_Z_EN: 0
; COMPUTE_PGM_RSRC2:TIDIG_COMP_CNT: 0
; COMPUTE_PGM_RSRC3_GFX90A:ACCUM_OFFSET: 0
; COMPUTE_PGM_RSRC3_GFX90A:TG_SPLIT: 0
	.section	.text._ZN7rocprim17ROCPRIM_400000_NS6detail17trampoline_kernelINS0_14default_configENS1_25partition_config_selectorILNS1_17partition_subalgoE1EyNS0_10empty_typeEbEEZZNS1_14partition_implILS5_1ELb0ES3_jN6thrust23THRUST_200600_302600_NS6detail15normal_iteratorINSA_10device_ptrIyEEEEPS6_NSA_18transform_iteratorI7is_evenIyESF_NSA_11use_defaultESK_EENS0_5tupleIJNSA_16discard_iteratorISK_EESO_EEENSM_IJSG_SG_EEES6_PlJS6_EEE10hipError_tPvRmT3_T4_T5_T6_T7_T9_mT8_P12ihipStream_tbDpT10_ENKUlT_T0_E_clISt17integral_constantIbLb1EES1A_IbLb0EEEEDaS16_S17_EUlS16_E_NS1_11comp_targetILNS1_3genE2ELNS1_11target_archE906ELNS1_3gpuE6ELNS1_3repE0EEENS1_30default_config_static_selectorELNS0_4arch9wavefront6targetE1EEEvT1_,"axG",@progbits,_ZN7rocprim17ROCPRIM_400000_NS6detail17trampoline_kernelINS0_14default_configENS1_25partition_config_selectorILNS1_17partition_subalgoE1EyNS0_10empty_typeEbEEZZNS1_14partition_implILS5_1ELb0ES3_jN6thrust23THRUST_200600_302600_NS6detail15normal_iteratorINSA_10device_ptrIyEEEEPS6_NSA_18transform_iteratorI7is_evenIyESF_NSA_11use_defaultESK_EENS0_5tupleIJNSA_16discard_iteratorISK_EESO_EEENSM_IJSG_SG_EEES6_PlJS6_EEE10hipError_tPvRmT3_T4_T5_T6_T7_T9_mT8_P12ihipStream_tbDpT10_ENKUlT_T0_E_clISt17integral_constantIbLb1EES1A_IbLb0EEEEDaS16_S17_EUlS16_E_NS1_11comp_targetILNS1_3genE2ELNS1_11target_archE906ELNS1_3gpuE6ELNS1_3repE0EEENS1_30default_config_static_selectorELNS0_4arch9wavefront6targetE1EEEvT1_,comdat
	.protected	_ZN7rocprim17ROCPRIM_400000_NS6detail17trampoline_kernelINS0_14default_configENS1_25partition_config_selectorILNS1_17partition_subalgoE1EyNS0_10empty_typeEbEEZZNS1_14partition_implILS5_1ELb0ES3_jN6thrust23THRUST_200600_302600_NS6detail15normal_iteratorINSA_10device_ptrIyEEEEPS6_NSA_18transform_iteratorI7is_evenIyESF_NSA_11use_defaultESK_EENS0_5tupleIJNSA_16discard_iteratorISK_EESO_EEENSM_IJSG_SG_EEES6_PlJS6_EEE10hipError_tPvRmT3_T4_T5_T6_T7_T9_mT8_P12ihipStream_tbDpT10_ENKUlT_T0_E_clISt17integral_constantIbLb1EES1A_IbLb0EEEEDaS16_S17_EUlS16_E_NS1_11comp_targetILNS1_3genE2ELNS1_11target_archE906ELNS1_3gpuE6ELNS1_3repE0EEENS1_30default_config_static_selectorELNS0_4arch9wavefront6targetE1EEEvT1_ ; -- Begin function _ZN7rocprim17ROCPRIM_400000_NS6detail17trampoline_kernelINS0_14default_configENS1_25partition_config_selectorILNS1_17partition_subalgoE1EyNS0_10empty_typeEbEEZZNS1_14partition_implILS5_1ELb0ES3_jN6thrust23THRUST_200600_302600_NS6detail15normal_iteratorINSA_10device_ptrIyEEEEPS6_NSA_18transform_iteratorI7is_evenIyESF_NSA_11use_defaultESK_EENS0_5tupleIJNSA_16discard_iteratorISK_EESO_EEENSM_IJSG_SG_EEES6_PlJS6_EEE10hipError_tPvRmT3_T4_T5_T6_T7_T9_mT8_P12ihipStream_tbDpT10_ENKUlT_T0_E_clISt17integral_constantIbLb1EES1A_IbLb0EEEEDaS16_S17_EUlS16_E_NS1_11comp_targetILNS1_3genE2ELNS1_11target_archE906ELNS1_3gpuE6ELNS1_3repE0EEENS1_30default_config_static_selectorELNS0_4arch9wavefront6targetE1EEEvT1_
	.globl	_ZN7rocprim17ROCPRIM_400000_NS6detail17trampoline_kernelINS0_14default_configENS1_25partition_config_selectorILNS1_17partition_subalgoE1EyNS0_10empty_typeEbEEZZNS1_14partition_implILS5_1ELb0ES3_jN6thrust23THRUST_200600_302600_NS6detail15normal_iteratorINSA_10device_ptrIyEEEEPS6_NSA_18transform_iteratorI7is_evenIyESF_NSA_11use_defaultESK_EENS0_5tupleIJNSA_16discard_iteratorISK_EESO_EEENSM_IJSG_SG_EEES6_PlJS6_EEE10hipError_tPvRmT3_T4_T5_T6_T7_T9_mT8_P12ihipStream_tbDpT10_ENKUlT_T0_E_clISt17integral_constantIbLb1EES1A_IbLb0EEEEDaS16_S17_EUlS16_E_NS1_11comp_targetILNS1_3genE2ELNS1_11target_archE906ELNS1_3gpuE6ELNS1_3repE0EEENS1_30default_config_static_selectorELNS0_4arch9wavefront6targetE1EEEvT1_
	.p2align	8
	.type	_ZN7rocprim17ROCPRIM_400000_NS6detail17trampoline_kernelINS0_14default_configENS1_25partition_config_selectorILNS1_17partition_subalgoE1EyNS0_10empty_typeEbEEZZNS1_14partition_implILS5_1ELb0ES3_jN6thrust23THRUST_200600_302600_NS6detail15normal_iteratorINSA_10device_ptrIyEEEEPS6_NSA_18transform_iteratorI7is_evenIyESF_NSA_11use_defaultESK_EENS0_5tupleIJNSA_16discard_iteratorISK_EESO_EEENSM_IJSG_SG_EEES6_PlJS6_EEE10hipError_tPvRmT3_T4_T5_T6_T7_T9_mT8_P12ihipStream_tbDpT10_ENKUlT_T0_E_clISt17integral_constantIbLb1EES1A_IbLb0EEEEDaS16_S17_EUlS16_E_NS1_11comp_targetILNS1_3genE2ELNS1_11target_archE906ELNS1_3gpuE6ELNS1_3repE0EEENS1_30default_config_static_selectorELNS0_4arch9wavefront6targetE1EEEvT1_,@function
_ZN7rocprim17ROCPRIM_400000_NS6detail17trampoline_kernelINS0_14default_configENS1_25partition_config_selectorILNS1_17partition_subalgoE1EyNS0_10empty_typeEbEEZZNS1_14partition_implILS5_1ELb0ES3_jN6thrust23THRUST_200600_302600_NS6detail15normal_iteratorINSA_10device_ptrIyEEEEPS6_NSA_18transform_iteratorI7is_evenIyESF_NSA_11use_defaultESK_EENS0_5tupleIJNSA_16discard_iteratorISK_EESO_EEENSM_IJSG_SG_EEES6_PlJS6_EEE10hipError_tPvRmT3_T4_T5_T6_T7_T9_mT8_P12ihipStream_tbDpT10_ENKUlT_T0_E_clISt17integral_constantIbLb1EES1A_IbLb0EEEEDaS16_S17_EUlS16_E_NS1_11comp_targetILNS1_3genE2ELNS1_11target_archE906ELNS1_3gpuE6ELNS1_3repE0EEENS1_30default_config_static_selectorELNS0_4arch9wavefront6targetE1EEEvT1_: ; @_ZN7rocprim17ROCPRIM_400000_NS6detail17trampoline_kernelINS0_14default_configENS1_25partition_config_selectorILNS1_17partition_subalgoE1EyNS0_10empty_typeEbEEZZNS1_14partition_implILS5_1ELb0ES3_jN6thrust23THRUST_200600_302600_NS6detail15normal_iteratorINSA_10device_ptrIyEEEEPS6_NSA_18transform_iteratorI7is_evenIyESF_NSA_11use_defaultESK_EENS0_5tupleIJNSA_16discard_iteratorISK_EESO_EEENSM_IJSG_SG_EEES6_PlJS6_EEE10hipError_tPvRmT3_T4_T5_T6_T7_T9_mT8_P12ihipStream_tbDpT10_ENKUlT_T0_E_clISt17integral_constantIbLb1EES1A_IbLb0EEEEDaS16_S17_EUlS16_E_NS1_11comp_targetILNS1_3genE2ELNS1_11target_archE906ELNS1_3gpuE6ELNS1_3repE0EEENS1_30default_config_static_selectorELNS0_4arch9wavefront6targetE1EEEvT1_
; %bb.0:
	.section	.rodata,"a",@progbits
	.p2align	6, 0x0
	.amdhsa_kernel _ZN7rocprim17ROCPRIM_400000_NS6detail17trampoline_kernelINS0_14default_configENS1_25partition_config_selectorILNS1_17partition_subalgoE1EyNS0_10empty_typeEbEEZZNS1_14partition_implILS5_1ELb0ES3_jN6thrust23THRUST_200600_302600_NS6detail15normal_iteratorINSA_10device_ptrIyEEEEPS6_NSA_18transform_iteratorI7is_evenIyESF_NSA_11use_defaultESK_EENS0_5tupleIJNSA_16discard_iteratorISK_EESO_EEENSM_IJSG_SG_EEES6_PlJS6_EEE10hipError_tPvRmT3_T4_T5_T6_T7_T9_mT8_P12ihipStream_tbDpT10_ENKUlT_T0_E_clISt17integral_constantIbLb1EES1A_IbLb0EEEEDaS16_S17_EUlS16_E_NS1_11comp_targetILNS1_3genE2ELNS1_11target_archE906ELNS1_3gpuE6ELNS1_3repE0EEENS1_30default_config_static_selectorELNS0_4arch9wavefront6targetE1EEEvT1_
		.amdhsa_group_segment_fixed_size 0
		.amdhsa_private_segment_fixed_size 0
		.amdhsa_kernarg_size 144
		.amdhsa_user_sgpr_count 2
		.amdhsa_user_sgpr_dispatch_ptr 0
		.amdhsa_user_sgpr_queue_ptr 0
		.amdhsa_user_sgpr_kernarg_segment_ptr 1
		.amdhsa_user_sgpr_dispatch_id 0
		.amdhsa_user_sgpr_kernarg_preload_length 0
		.amdhsa_user_sgpr_kernarg_preload_offset 0
		.amdhsa_user_sgpr_private_segment_size 0
		.amdhsa_uses_dynamic_stack 0
		.amdhsa_enable_private_segment 0
		.amdhsa_system_sgpr_workgroup_id_x 1
		.amdhsa_system_sgpr_workgroup_id_y 0
		.amdhsa_system_sgpr_workgroup_id_z 0
		.amdhsa_system_sgpr_workgroup_info 0
		.amdhsa_system_vgpr_workitem_id 0
		.amdhsa_next_free_vgpr 1
		.amdhsa_next_free_sgpr 0
		.amdhsa_accum_offset 4
		.amdhsa_reserve_vcc 0
		.amdhsa_float_round_mode_32 0
		.amdhsa_float_round_mode_16_64 0
		.amdhsa_float_denorm_mode_32 3
		.amdhsa_float_denorm_mode_16_64 3
		.amdhsa_dx10_clamp 1
		.amdhsa_ieee_mode 1
		.amdhsa_fp16_overflow 0
		.amdhsa_tg_split 0
		.amdhsa_exception_fp_ieee_invalid_op 0
		.amdhsa_exception_fp_denorm_src 0
		.amdhsa_exception_fp_ieee_div_zero 0
		.amdhsa_exception_fp_ieee_overflow 0
		.amdhsa_exception_fp_ieee_underflow 0
		.amdhsa_exception_fp_ieee_inexact 0
		.amdhsa_exception_int_div_zero 0
	.end_amdhsa_kernel
	.section	.text._ZN7rocprim17ROCPRIM_400000_NS6detail17trampoline_kernelINS0_14default_configENS1_25partition_config_selectorILNS1_17partition_subalgoE1EyNS0_10empty_typeEbEEZZNS1_14partition_implILS5_1ELb0ES3_jN6thrust23THRUST_200600_302600_NS6detail15normal_iteratorINSA_10device_ptrIyEEEEPS6_NSA_18transform_iteratorI7is_evenIyESF_NSA_11use_defaultESK_EENS0_5tupleIJNSA_16discard_iteratorISK_EESO_EEENSM_IJSG_SG_EEES6_PlJS6_EEE10hipError_tPvRmT3_T4_T5_T6_T7_T9_mT8_P12ihipStream_tbDpT10_ENKUlT_T0_E_clISt17integral_constantIbLb1EES1A_IbLb0EEEEDaS16_S17_EUlS16_E_NS1_11comp_targetILNS1_3genE2ELNS1_11target_archE906ELNS1_3gpuE6ELNS1_3repE0EEENS1_30default_config_static_selectorELNS0_4arch9wavefront6targetE1EEEvT1_,"axG",@progbits,_ZN7rocprim17ROCPRIM_400000_NS6detail17trampoline_kernelINS0_14default_configENS1_25partition_config_selectorILNS1_17partition_subalgoE1EyNS0_10empty_typeEbEEZZNS1_14partition_implILS5_1ELb0ES3_jN6thrust23THRUST_200600_302600_NS6detail15normal_iteratorINSA_10device_ptrIyEEEEPS6_NSA_18transform_iteratorI7is_evenIyESF_NSA_11use_defaultESK_EENS0_5tupleIJNSA_16discard_iteratorISK_EESO_EEENSM_IJSG_SG_EEES6_PlJS6_EEE10hipError_tPvRmT3_T4_T5_T6_T7_T9_mT8_P12ihipStream_tbDpT10_ENKUlT_T0_E_clISt17integral_constantIbLb1EES1A_IbLb0EEEEDaS16_S17_EUlS16_E_NS1_11comp_targetILNS1_3genE2ELNS1_11target_archE906ELNS1_3gpuE6ELNS1_3repE0EEENS1_30default_config_static_selectorELNS0_4arch9wavefront6targetE1EEEvT1_,comdat
.Lfunc_end2895:
	.size	_ZN7rocprim17ROCPRIM_400000_NS6detail17trampoline_kernelINS0_14default_configENS1_25partition_config_selectorILNS1_17partition_subalgoE1EyNS0_10empty_typeEbEEZZNS1_14partition_implILS5_1ELb0ES3_jN6thrust23THRUST_200600_302600_NS6detail15normal_iteratorINSA_10device_ptrIyEEEEPS6_NSA_18transform_iteratorI7is_evenIyESF_NSA_11use_defaultESK_EENS0_5tupleIJNSA_16discard_iteratorISK_EESO_EEENSM_IJSG_SG_EEES6_PlJS6_EEE10hipError_tPvRmT3_T4_T5_T6_T7_T9_mT8_P12ihipStream_tbDpT10_ENKUlT_T0_E_clISt17integral_constantIbLb1EES1A_IbLb0EEEEDaS16_S17_EUlS16_E_NS1_11comp_targetILNS1_3genE2ELNS1_11target_archE906ELNS1_3gpuE6ELNS1_3repE0EEENS1_30default_config_static_selectorELNS0_4arch9wavefront6targetE1EEEvT1_, .Lfunc_end2895-_ZN7rocprim17ROCPRIM_400000_NS6detail17trampoline_kernelINS0_14default_configENS1_25partition_config_selectorILNS1_17partition_subalgoE1EyNS0_10empty_typeEbEEZZNS1_14partition_implILS5_1ELb0ES3_jN6thrust23THRUST_200600_302600_NS6detail15normal_iteratorINSA_10device_ptrIyEEEEPS6_NSA_18transform_iteratorI7is_evenIyESF_NSA_11use_defaultESK_EENS0_5tupleIJNSA_16discard_iteratorISK_EESO_EEENSM_IJSG_SG_EEES6_PlJS6_EEE10hipError_tPvRmT3_T4_T5_T6_T7_T9_mT8_P12ihipStream_tbDpT10_ENKUlT_T0_E_clISt17integral_constantIbLb1EES1A_IbLb0EEEEDaS16_S17_EUlS16_E_NS1_11comp_targetILNS1_3genE2ELNS1_11target_archE906ELNS1_3gpuE6ELNS1_3repE0EEENS1_30default_config_static_selectorELNS0_4arch9wavefront6targetE1EEEvT1_
                                        ; -- End function
	.section	.AMDGPU.csdata,"",@progbits
; Kernel info:
; codeLenInByte = 0
; NumSgprs: 6
; NumVgprs: 0
; NumAgprs: 0
; TotalNumVgprs: 0
; ScratchSize: 0
; MemoryBound: 0
; FloatMode: 240
; IeeeMode: 1
; LDSByteSize: 0 bytes/workgroup (compile time only)
; SGPRBlocks: 0
; VGPRBlocks: 0
; NumSGPRsForWavesPerEU: 6
; NumVGPRsForWavesPerEU: 1
; AccumOffset: 4
; Occupancy: 8
; WaveLimiterHint : 0
; COMPUTE_PGM_RSRC2:SCRATCH_EN: 0
; COMPUTE_PGM_RSRC2:USER_SGPR: 2
; COMPUTE_PGM_RSRC2:TRAP_HANDLER: 0
; COMPUTE_PGM_RSRC2:TGID_X_EN: 1
; COMPUTE_PGM_RSRC2:TGID_Y_EN: 0
; COMPUTE_PGM_RSRC2:TGID_Z_EN: 0
; COMPUTE_PGM_RSRC2:TIDIG_COMP_CNT: 0
; COMPUTE_PGM_RSRC3_GFX90A:ACCUM_OFFSET: 0
; COMPUTE_PGM_RSRC3_GFX90A:TG_SPLIT: 0
	.section	.text._ZN7rocprim17ROCPRIM_400000_NS6detail17trampoline_kernelINS0_14default_configENS1_25partition_config_selectorILNS1_17partition_subalgoE1EyNS0_10empty_typeEbEEZZNS1_14partition_implILS5_1ELb0ES3_jN6thrust23THRUST_200600_302600_NS6detail15normal_iteratorINSA_10device_ptrIyEEEEPS6_NSA_18transform_iteratorI7is_evenIyESF_NSA_11use_defaultESK_EENS0_5tupleIJNSA_16discard_iteratorISK_EESO_EEENSM_IJSG_SG_EEES6_PlJS6_EEE10hipError_tPvRmT3_T4_T5_T6_T7_T9_mT8_P12ihipStream_tbDpT10_ENKUlT_T0_E_clISt17integral_constantIbLb1EES1A_IbLb0EEEEDaS16_S17_EUlS16_E_NS1_11comp_targetILNS1_3genE10ELNS1_11target_archE1200ELNS1_3gpuE4ELNS1_3repE0EEENS1_30default_config_static_selectorELNS0_4arch9wavefront6targetE1EEEvT1_,"axG",@progbits,_ZN7rocprim17ROCPRIM_400000_NS6detail17trampoline_kernelINS0_14default_configENS1_25partition_config_selectorILNS1_17partition_subalgoE1EyNS0_10empty_typeEbEEZZNS1_14partition_implILS5_1ELb0ES3_jN6thrust23THRUST_200600_302600_NS6detail15normal_iteratorINSA_10device_ptrIyEEEEPS6_NSA_18transform_iteratorI7is_evenIyESF_NSA_11use_defaultESK_EENS0_5tupleIJNSA_16discard_iteratorISK_EESO_EEENSM_IJSG_SG_EEES6_PlJS6_EEE10hipError_tPvRmT3_T4_T5_T6_T7_T9_mT8_P12ihipStream_tbDpT10_ENKUlT_T0_E_clISt17integral_constantIbLb1EES1A_IbLb0EEEEDaS16_S17_EUlS16_E_NS1_11comp_targetILNS1_3genE10ELNS1_11target_archE1200ELNS1_3gpuE4ELNS1_3repE0EEENS1_30default_config_static_selectorELNS0_4arch9wavefront6targetE1EEEvT1_,comdat
	.protected	_ZN7rocprim17ROCPRIM_400000_NS6detail17trampoline_kernelINS0_14default_configENS1_25partition_config_selectorILNS1_17partition_subalgoE1EyNS0_10empty_typeEbEEZZNS1_14partition_implILS5_1ELb0ES3_jN6thrust23THRUST_200600_302600_NS6detail15normal_iteratorINSA_10device_ptrIyEEEEPS6_NSA_18transform_iteratorI7is_evenIyESF_NSA_11use_defaultESK_EENS0_5tupleIJNSA_16discard_iteratorISK_EESO_EEENSM_IJSG_SG_EEES6_PlJS6_EEE10hipError_tPvRmT3_T4_T5_T6_T7_T9_mT8_P12ihipStream_tbDpT10_ENKUlT_T0_E_clISt17integral_constantIbLb1EES1A_IbLb0EEEEDaS16_S17_EUlS16_E_NS1_11comp_targetILNS1_3genE10ELNS1_11target_archE1200ELNS1_3gpuE4ELNS1_3repE0EEENS1_30default_config_static_selectorELNS0_4arch9wavefront6targetE1EEEvT1_ ; -- Begin function _ZN7rocprim17ROCPRIM_400000_NS6detail17trampoline_kernelINS0_14default_configENS1_25partition_config_selectorILNS1_17partition_subalgoE1EyNS0_10empty_typeEbEEZZNS1_14partition_implILS5_1ELb0ES3_jN6thrust23THRUST_200600_302600_NS6detail15normal_iteratorINSA_10device_ptrIyEEEEPS6_NSA_18transform_iteratorI7is_evenIyESF_NSA_11use_defaultESK_EENS0_5tupleIJNSA_16discard_iteratorISK_EESO_EEENSM_IJSG_SG_EEES6_PlJS6_EEE10hipError_tPvRmT3_T4_T5_T6_T7_T9_mT8_P12ihipStream_tbDpT10_ENKUlT_T0_E_clISt17integral_constantIbLb1EES1A_IbLb0EEEEDaS16_S17_EUlS16_E_NS1_11comp_targetILNS1_3genE10ELNS1_11target_archE1200ELNS1_3gpuE4ELNS1_3repE0EEENS1_30default_config_static_selectorELNS0_4arch9wavefront6targetE1EEEvT1_
	.globl	_ZN7rocprim17ROCPRIM_400000_NS6detail17trampoline_kernelINS0_14default_configENS1_25partition_config_selectorILNS1_17partition_subalgoE1EyNS0_10empty_typeEbEEZZNS1_14partition_implILS5_1ELb0ES3_jN6thrust23THRUST_200600_302600_NS6detail15normal_iteratorINSA_10device_ptrIyEEEEPS6_NSA_18transform_iteratorI7is_evenIyESF_NSA_11use_defaultESK_EENS0_5tupleIJNSA_16discard_iteratorISK_EESO_EEENSM_IJSG_SG_EEES6_PlJS6_EEE10hipError_tPvRmT3_T4_T5_T6_T7_T9_mT8_P12ihipStream_tbDpT10_ENKUlT_T0_E_clISt17integral_constantIbLb1EES1A_IbLb0EEEEDaS16_S17_EUlS16_E_NS1_11comp_targetILNS1_3genE10ELNS1_11target_archE1200ELNS1_3gpuE4ELNS1_3repE0EEENS1_30default_config_static_selectorELNS0_4arch9wavefront6targetE1EEEvT1_
	.p2align	8
	.type	_ZN7rocprim17ROCPRIM_400000_NS6detail17trampoline_kernelINS0_14default_configENS1_25partition_config_selectorILNS1_17partition_subalgoE1EyNS0_10empty_typeEbEEZZNS1_14partition_implILS5_1ELb0ES3_jN6thrust23THRUST_200600_302600_NS6detail15normal_iteratorINSA_10device_ptrIyEEEEPS6_NSA_18transform_iteratorI7is_evenIyESF_NSA_11use_defaultESK_EENS0_5tupleIJNSA_16discard_iteratorISK_EESO_EEENSM_IJSG_SG_EEES6_PlJS6_EEE10hipError_tPvRmT3_T4_T5_T6_T7_T9_mT8_P12ihipStream_tbDpT10_ENKUlT_T0_E_clISt17integral_constantIbLb1EES1A_IbLb0EEEEDaS16_S17_EUlS16_E_NS1_11comp_targetILNS1_3genE10ELNS1_11target_archE1200ELNS1_3gpuE4ELNS1_3repE0EEENS1_30default_config_static_selectorELNS0_4arch9wavefront6targetE1EEEvT1_,@function
_ZN7rocprim17ROCPRIM_400000_NS6detail17trampoline_kernelINS0_14default_configENS1_25partition_config_selectorILNS1_17partition_subalgoE1EyNS0_10empty_typeEbEEZZNS1_14partition_implILS5_1ELb0ES3_jN6thrust23THRUST_200600_302600_NS6detail15normal_iteratorINSA_10device_ptrIyEEEEPS6_NSA_18transform_iteratorI7is_evenIyESF_NSA_11use_defaultESK_EENS0_5tupleIJNSA_16discard_iteratorISK_EESO_EEENSM_IJSG_SG_EEES6_PlJS6_EEE10hipError_tPvRmT3_T4_T5_T6_T7_T9_mT8_P12ihipStream_tbDpT10_ENKUlT_T0_E_clISt17integral_constantIbLb1EES1A_IbLb0EEEEDaS16_S17_EUlS16_E_NS1_11comp_targetILNS1_3genE10ELNS1_11target_archE1200ELNS1_3gpuE4ELNS1_3repE0EEENS1_30default_config_static_selectorELNS0_4arch9wavefront6targetE1EEEvT1_: ; @_ZN7rocprim17ROCPRIM_400000_NS6detail17trampoline_kernelINS0_14default_configENS1_25partition_config_selectorILNS1_17partition_subalgoE1EyNS0_10empty_typeEbEEZZNS1_14partition_implILS5_1ELb0ES3_jN6thrust23THRUST_200600_302600_NS6detail15normal_iteratorINSA_10device_ptrIyEEEEPS6_NSA_18transform_iteratorI7is_evenIyESF_NSA_11use_defaultESK_EENS0_5tupleIJNSA_16discard_iteratorISK_EESO_EEENSM_IJSG_SG_EEES6_PlJS6_EEE10hipError_tPvRmT3_T4_T5_T6_T7_T9_mT8_P12ihipStream_tbDpT10_ENKUlT_T0_E_clISt17integral_constantIbLb1EES1A_IbLb0EEEEDaS16_S17_EUlS16_E_NS1_11comp_targetILNS1_3genE10ELNS1_11target_archE1200ELNS1_3gpuE4ELNS1_3repE0EEENS1_30default_config_static_selectorELNS0_4arch9wavefront6targetE1EEEvT1_
; %bb.0:
	.section	.rodata,"a",@progbits
	.p2align	6, 0x0
	.amdhsa_kernel _ZN7rocprim17ROCPRIM_400000_NS6detail17trampoline_kernelINS0_14default_configENS1_25partition_config_selectorILNS1_17partition_subalgoE1EyNS0_10empty_typeEbEEZZNS1_14partition_implILS5_1ELb0ES3_jN6thrust23THRUST_200600_302600_NS6detail15normal_iteratorINSA_10device_ptrIyEEEEPS6_NSA_18transform_iteratorI7is_evenIyESF_NSA_11use_defaultESK_EENS0_5tupleIJNSA_16discard_iteratorISK_EESO_EEENSM_IJSG_SG_EEES6_PlJS6_EEE10hipError_tPvRmT3_T4_T5_T6_T7_T9_mT8_P12ihipStream_tbDpT10_ENKUlT_T0_E_clISt17integral_constantIbLb1EES1A_IbLb0EEEEDaS16_S17_EUlS16_E_NS1_11comp_targetILNS1_3genE10ELNS1_11target_archE1200ELNS1_3gpuE4ELNS1_3repE0EEENS1_30default_config_static_selectorELNS0_4arch9wavefront6targetE1EEEvT1_
		.amdhsa_group_segment_fixed_size 0
		.amdhsa_private_segment_fixed_size 0
		.amdhsa_kernarg_size 144
		.amdhsa_user_sgpr_count 2
		.amdhsa_user_sgpr_dispatch_ptr 0
		.amdhsa_user_sgpr_queue_ptr 0
		.amdhsa_user_sgpr_kernarg_segment_ptr 1
		.amdhsa_user_sgpr_dispatch_id 0
		.amdhsa_user_sgpr_kernarg_preload_length 0
		.amdhsa_user_sgpr_kernarg_preload_offset 0
		.amdhsa_user_sgpr_private_segment_size 0
		.amdhsa_uses_dynamic_stack 0
		.amdhsa_enable_private_segment 0
		.amdhsa_system_sgpr_workgroup_id_x 1
		.amdhsa_system_sgpr_workgroup_id_y 0
		.amdhsa_system_sgpr_workgroup_id_z 0
		.amdhsa_system_sgpr_workgroup_info 0
		.amdhsa_system_vgpr_workitem_id 0
		.amdhsa_next_free_vgpr 1
		.amdhsa_next_free_sgpr 0
		.amdhsa_accum_offset 4
		.amdhsa_reserve_vcc 0
		.amdhsa_float_round_mode_32 0
		.amdhsa_float_round_mode_16_64 0
		.amdhsa_float_denorm_mode_32 3
		.amdhsa_float_denorm_mode_16_64 3
		.amdhsa_dx10_clamp 1
		.amdhsa_ieee_mode 1
		.amdhsa_fp16_overflow 0
		.amdhsa_tg_split 0
		.amdhsa_exception_fp_ieee_invalid_op 0
		.amdhsa_exception_fp_denorm_src 0
		.amdhsa_exception_fp_ieee_div_zero 0
		.amdhsa_exception_fp_ieee_overflow 0
		.amdhsa_exception_fp_ieee_underflow 0
		.amdhsa_exception_fp_ieee_inexact 0
		.amdhsa_exception_int_div_zero 0
	.end_amdhsa_kernel
	.section	.text._ZN7rocprim17ROCPRIM_400000_NS6detail17trampoline_kernelINS0_14default_configENS1_25partition_config_selectorILNS1_17partition_subalgoE1EyNS0_10empty_typeEbEEZZNS1_14partition_implILS5_1ELb0ES3_jN6thrust23THRUST_200600_302600_NS6detail15normal_iteratorINSA_10device_ptrIyEEEEPS6_NSA_18transform_iteratorI7is_evenIyESF_NSA_11use_defaultESK_EENS0_5tupleIJNSA_16discard_iteratorISK_EESO_EEENSM_IJSG_SG_EEES6_PlJS6_EEE10hipError_tPvRmT3_T4_T5_T6_T7_T9_mT8_P12ihipStream_tbDpT10_ENKUlT_T0_E_clISt17integral_constantIbLb1EES1A_IbLb0EEEEDaS16_S17_EUlS16_E_NS1_11comp_targetILNS1_3genE10ELNS1_11target_archE1200ELNS1_3gpuE4ELNS1_3repE0EEENS1_30default_config_static_selectorELNS0_4arch9wavefront6targetE1EEEvT1_,"axG",@progbits,_ZN7rocprim17ROCPRIM_400000_NS6detail17trampoline_kernelINS0_14default_configENS1_25partition_config_selectorILNS1_17partition_subalgoE1EyNS0_10empty_typeEbEEZZNS1_14partition_implILS5_1ELb0ES3_jN6thrust23THRUST_200600_302600_NS6detail15normal_iteratorINSA_10device_ptrIyEEEEPS6_NSA_18transform_iteratorI7is_evenIyESF_NSA_11use_defaultESK_EENS0_5tupleIJNSA_16discard_iteratorISK_EESO_EEENSM_IJSG_SG_EEES6_PlJS6_EEE10hipError_tPvRmT3_T4_T5_T6_T7_T9_mT8_P12ihipStream_tbDpT10_ENKUlT_T0_E_clISt17integral_constantIbLb1EES1A_IbLb0EEEEDaS16_S17_EUlS16_E_NS1_11comp_targetILNS1_3genE10ELNS1_11target_archE1200ELNS1_3gpuE4ELNS1_3repE0EEENS1_30default_config_static_selectorELNS0_4arch9wavefront6targetE1EEEvT1_,comdat
.Lfunc_end2896:
	.size	_ZN7rocprim17ROCPRIM_400000_NS6detail17trampoline_kernelINS0_14default_configENS1_25partition_config_selectorILNS1_17partition_subalgoE1EyNS0_10empty_typeEbEEZZNS1_14partition_implILS5_1ELb0ES3_jN6thrust23THRUST_200600_302600_NS6detail15normal_iteratorINSA_10device_ptrIyEEEEPS6_NSA_18transform_iteratorI7is_evenIyESF_NSA_11use_defaultESK_EENS0_5tupleIJNSA_16discard_iteratorISK_EESO_EEENSM_IJSG_SG_EEES6_PlJS6_EEE10hipError_tPvRmT3_T4_T5_T6_T7_T9_mT8_P12ihipStream_tbDpT10_ENKUlT_T0_E_clISt17integral_constantIbLb1EES1A_IbLb0EEEEDaS16_S17_EUlS16_E_NS1_11comp_targetILNS1_3genE10ELNS1_11target_archE1200ELNS1_3gpuE4ELNS1_3repE0EEENS1_30default_config_static_selectorELNS0_4arch9wavefront6targetE1EEEvT1_, .Lfunc_end2896-_ZN7rocprim17ROCPRIM_400000_NS6detail17trampoline_kernelINS0_14default_configENS1_25partition_config_selectorILNS1_17partition_subalgoE1EyNS0_10empty_typeEbEEZZNS1_14partition_implILS5_1ELb0ES3_jN6thrust23THRUST_200600_302600_NS6detail15normal_iteratorINSA_10device_ptrIyEEEEPS6_NSA_18transform_iteratorI7is_evenIyESF_NSA_11use_defaultESK_EENS0_5tupleIJNSA_16discard_iteratorISK_EESO_EEENSM_IJSG_SG_EEES6_PlJS6_EEE10hipError_tPvRmT3_T4_T5_T6_T7_T9_mT8_P12ihipStream_tbDpT10_ENKUlT_T0_E_clISt17integral_constantIbLb1EES1A_IbLb0EEEEDaS16_S17_EUlS16_E_NS1_11comp_targetILNS1_3genE10ELNS1_11target_archE1200ELNS1_3gpuE4ELNS1_3repE0EEENS1_30default_config_static_selectorELNS0_4arch9wavefront6targetE1EEEvT1_
                                        ; -- End function
	.section	.AMDGPU.csdata,"",@progbits
; Kernel info:
; codeLenInByte = 0
; NumSgprs: 6
; NumVgprs: 0
; NumAgprs: 0
; TotalNumVgprs: 0
; ScratchSize: 0
; MemoryBound: 0
; FloatMode: 240
; IeeeMode: 1
; LDSByteSize: 0 bytes/workgroup (compile time only)
; SGPRBlocks: 0
; VGPRBlocks: 0
; NumSGPRsForWavesPerEU: 6
; NumVGPRsForWavesPerEU: 1
; AccumOffset: 4
; Occupancy: 8
; WaveLimiterHint : 0
; COMPUTE_PGM_RSRC2:SCRATCH_EN: 0
; COMPUTE_PGM_RSRC2:USER_SGPR: 2
; COMPUTE_PGM_RSRC2:TRAP_HANDLER: 0
; COMPUTE_PGM_RSRC2:TGID_X_EN: 1
; COMPUTE_PGM_RSRC2:TGID_Y_EN: 0
; COMPUTE_PGM_RSRC2:TGID_Z_EN: 0
; COMPUTE_PGM_RSRC2:TIDIG_COMP_CNT: 0
; COMPUTE_PGM_RSRC3_GFX90A:ACCUM_OFFSET: 0
; COMPUTE_PGM_RSRC3_GFX90A:TG_SPLIT: 0
	.section	.text._ZN7rocprim17ROCPRIM_400000_NS6detail17trampoline_kernelINS0_14default_configENS1_25partition_config_selectorILNS1_17partition_subalgoE1EyNS0_10empty_typeEbEEZZNS1_14partition_implILS5_1ELb0ES3_jN6thrust23THRUST_200600_302600_NS6detail15normal_iteratorINSA_10device_ptrIyEEEEPS6_NSA_18transform_iteratorI7is_evenIyESF_NSA_11use_defaultESK_EENS0_5tupleIJNSA_16discard_iteratorISK_EESO_EEENSM_IJSG_SG_EEES6_PlJS6_EEE10hipError_tPvRmT3_T4_T5_T6_T7_T9_mT8_P12ihipStream_tbDpT10_ENKUlT_T0_E_clISt17integral_constantIbLb1EES1A_IbLb0EEEEDaS16_S17_EUlS16_E_NS1_11comp_targetILNS1_3genE9ELNS1_11target_archE1100ELNS1_3gpuE3ELNS1_3repE0EEENS1_30default_config_static_selectorELNS0_4arch9wavefront6targetE1EEEvT1_,"axG",@progbits,_ZN7rocprim17ROCPRIM_400000_NS6detail17trampoline_kernelINS0_14default_configENS1_25partition_config_selectorILNS1_17partition_subalgoE1EyNS0_10empty_typeEbEEZZNS1_14partition_implILS5_1ELb0ES3_jN6thrust23THRUST_200600_302600_NS6detail15normal_iteratorINSA_10device_ptrIyEEEEPS6_NSA_18transform_iteratorI7is_evenIyESF_NSA_11use_defaultESK_EENS0_5tupleIJNSA_16discard_iteratorISK_EESO_EEENSM_IJSG_SG_EEES6_PlJS6_EEE10hipError_tPvRmT3_T4_T5_T6_T7_T9_mT8_P12ihipStream_tbDpT10_ENKUlT_T0_E_clISt17integral_constantIbLb1EES1A_IbLb0EEEEDaS16_S17_EUlS16_E_NS1_11comp_targetILNS1_3genE9ELNS1_11target_archE1100ELNS1_3gpuE3ELNS1_3repE0EEENS1_30default_config_static_selectorELNS0_4arch9wavefront6targetE1EEEvT1_,comdat
	.protected	_ZN7rocprim17ROCPRIM_400000_NS6detail17trampoline_kernelINS0_14default_configENS1_25partition_config_selectorILNS1_17partition_subalgoE1EyNS0_10empty_typeEbEEZZNS1_14partition_implILS5_1ELb0ES3_jN6thrust23THRUST_200600_302600_NS6detail15normal_iteratorINSA_10device_ptrIyEEEEPS6_NSA_18transform_iteratorI7is_evenIyESF_NSA_11use_defaultESK_EENS0_5tupleIJNSA_16discard_iteratorISK_EESO_EEENSM_IJSG_SG_EEES6_PlJS6_EEE10hipError_tPvRmT3_T4_T5_T6_T7_T9_mT8_P12ihipStream_tbDpT10_ENKUlT_T0_E_clISt17integral_constantIbLb1EES1A_IbLb0EEEEDaS16_S17_EUlS16_E_NS1_11comp_targetILNS1_3genE9ELNS1_11target_archE1100ELNS1_3gpuE3ELNS1_3repE0EEENS1_30default_config_static_selectorELNS0_4arch9wavefront6targetE1EEEvT1_ ; -- Begin function _ZN7rocprim17ROCPRIM_400000_NS6detail17trampoline_kernelINS0_14default_configENS1_25partition_config_selectorILNS1_17partition_subalgoE1EyNS0_10empty_typeEbEEZZNS1_14partition_implILS5_1ELb0ES3_jN6thrust23THRUST_200600_302600_NS6detail15normal_iteratorINSA_10device_ptrIyEEEEPS6_NSA_18transform_iteratorI7is_evenIyESF_NSA_11use_defaultESK_EENS0_5tupleIJNSA_16discard_iteratorISK_EESO_EEENSM_IJSG_SG_EEES6_PlJS6_EEE10hipError_tPvRmT3_T4_T5_T6_T7_T9_mT8_P12ihipStream_tbDpT10_ENKUlT_T0_E_clISt17integral_constantIbLb1EES1A_IbLb0EEEEDaS16_S17_EUlS16_E_NS1_11comp_targetILNS1_3genE9ELNS1_11target_archE1100ELNS1_3gpuE3ELNS1_3repE0EEENS1_30default_config_static_selectorELNS0_4arch9wavefront6targetE1EEEvT1_
	.globl	_ZN7rocprim17ROCPRIM_400000_NS6detail17trampoline_kernelINS0_14default_configENS1_25partition_config_selectorILNS1_17partition_subalgoE1EyNS0_10empty_typeEbEEZZNS1_14partition_implILS5_1ELb0ES3_jN6thrust23THRUST_200600_302600_NS6detail15normal_iteratorINSA_10device_ptrIyEEEEPS6_NSA_18transform_iteratorI7is_evenIyESF_NSA_11use_defaultESK_EENS0_5tupleIJNSA_16discard_iteratorISK_EESO_EEENSM_IJSG_SG_EEES6_PlJS6_EEE10hipError_tPvRmT3_T4_T5_T6_T7_T9_mT8_P12ihipStream_tbDpT10_ENKUlT_T0_E_clISt17integral_constantIbLb1EES1A_IbLb0EEEEDaS16_S17_EUlS16_E_NS1_11comp_targetILNS1_3genE9ELNS1_11target_archE1100ELNS1_3gpuE3ELNS1_3repE0EEENS1_30default_config_static_selectorELNS0_4arch9wavefront6targetE1EEEvT1_
	.p2align	8
	.type	_ZN7rocprim17ROCPRIM_400000_NS6detail17trampoline_kernelINS0_14default_configENS1_25partition_config_selectorILNS1_17partition_subalgoE1EyNS0_10empty_typeEbEEZZNS1_14partition_implILS5_1ELb0ES3_jN6thrust23THRUST_200600_302600_NS6detail15normal_iteratorINSA_10device_ptrIyEEEEPS6_NSA_18transform_iteratorI7is_evenIyESF_NSA_11use_defaultESK_EENS0_5tupleIJNSA_16discard_iteratorISK_EESO_EEENSM_IJSG_SG_EEES6_PlJS6_EEE10hipError_tPvRmT3_T4_T5_T6_T7_T9_mT8_P12ihipStream_tbDpT10_ENKUlT_T0_E_clISt17integral_constantIbLb1EES1A_IbLb0EEEEDaS16_S17_EUlS16_E_NS1_11comp_targetILNS1_3genE9ELNS1_11target_archE1100ELNS1_3gpuE3ELNS1_3repE0EEENS1_30default_config_static_selectorELNS0_4arch9wavefront6targetE1EEEvT1_,@function
_ZN7rocprim17ROCPRIM_400000_NS6detail17trampoline_kernelINS0_14default_configENS1_25partition_config_selectorILNS1_17partition_subalgoE1EyNS0_10empty_typeEbEEZZNS1_14partition_implILS5_1ELb0ES3_jN6thrust23THRUST_200600_302600_NS6detail15normal_iteratorINSA_10device_ptrIyEEEEPS6_NSA_18transform_iteratorI7is_evenIyESF_NSA_11use_defaultESK_EENS0_5tupleIJNSA_16discard_iteratorISK_EESO_EEENSM_IJSG_SG_EEES6_PlJS6_EEE10hipError_tPvRmT3_T4_T5_T6_T7_T9_mT8_P12ihipStream_tbDpT10_ENKUlT_T0_E_clISt17integral_constantIbLb1EES1A_IbLb0EEEEDaS16_S17_EUlS16_E_NS1_11comp_targetILNS1_3genE9ELNS1_11target_archE1100ELNS1_3gpuE3ELNS1_3repE0EEENS1_30default_config_static_selectorELNS0_4arch9wavefront6targetE1EEEvT1_: ; @_ZN7rocprim17ROCPRIM_400000_NS6detail17trampoline_kernelINS0_14default_configENS1_25partition_config_selectorILNS1_17partition_subalgoE1EyNS0_10empty_typeEbEEZZNS1_14partition_implILS5_1ELb0ES3_jN6thrust23THRUST_200600_302600_NS6detail15normal_iteratorINSA_10device_ptrIyEEEEPS6_NSA_18transform_iteratorI7is_evenIyESF_NSA_11use_defaultESK_EENS0_5tupleIJNSA_16discard_iteratorISK_EESO_EEENSM_IJSG_SG_EEES6_PlJS6_EEE10hipError_tPvRmT3_T4_T5_T6_T7_T9_mT8_P12ihipStream_tbDpT10_ENKUlT_T0_E_clISt17integral_constantIbLb1EES1A_IbLb0EEEEDaS16_S17_EUlS16_E_NS1_11comp_targetILNS1_3genE9ELNS1_11target_archE1100ELNS1_3gpuE3ELNS1_3repE0EEENS1_30default_config_static_selectorELNS0_4arch9wavefront6targetE1EEEvT1_
; %bb.0:
	.section	.rodata,"a",@progbits
	.p2align	6, 0x0
	.amdhsa_kernel _ZN7rocprim17ROCPRIM_400000_NS6detail17trampoline_kernelINS0_14default_configENS1_25partition_config_selectorILNS1_17partition_subalgoE1EyNS0_10empty_typeEbEEZZNS1_14partition_implILS5_1ELb0ES3_jN6thrust23THRUST_200600_302600_NS6detail15normal_iteratorINSA_10device_ptrIyEEEEPS6_NSA_18transform_iteratorI7is_evenIyESF_NSA_11use_defaultESK_EENS0_5tupleIJNSA_16discard_iteratorISK_EESO_EEENSM_IJSG_SG_EEES6_PlJS6_EEE10hipError_tPvRmT3_T4_T5_T6_T7_T9_mT8_P12ihipStream_tbDpT10_ENKUlT_T0_E_clISt17integral_constantIbLb1EES1A_IbLb0EEEEDaS16_S17_EUlS16_E_NS1_11comp_targetILNS1_3genE9ELNS1_11target_archE1100ELNS1_3gpuE3ELNS1_3repE0EEENS1_30default_config_static_selectorELNS0_4arch9wavefront6targetE1EEEvT1_
		.amdhsa_group_segment_fixed_size 0
		.amdhsa_private_segment_fixed_size 0
		.amdhsa_kernarg_size 144
		.amdhsa_user_sgpr_count 2
		.amdhsa_user_sgpr_dispatch_ptr 0
		.amdhsa_user_sgpr_queue_ptr 0
		.amdhsa_user_sgpr_kernarg_segment_ptr 1
		.amdhsa_user_sgpr_dispatch_id 0
		.amdhsa_user_sgpr_kernarg_preload_length 0
		.amdhsa_user_sgpr_kernarg_preload_offset 0
		.amdhsa_user_sgpr_private_segment_size 0
		.amdhsa_uses_dynamic_stack 0
		.amdhsa_enable_private_segment 0
		.amdhsa_system_sgpr_workgroup_id_x 1
		.amdhsa_system_sgpr_workgroup_id_y 0
		.amdhsa_system_sgpr_workgroup_id_z 0
		.amdhsa_system_sgpr_workgroup_info 0
		.amdhsa_system_vgpr_workitem_id 0
		.amdhsa_next_free_vgpr 1
		.amdhsa_next_free_sgpr 0
		.amdhsa_accum_offset 4
		.amdhsa_reserve_vcc 0
		.amdhsa_float_round_mode_32 0
		.amdhsa_float_round_mode_16_64 0
		.amdhsa_float_denorm_mode_32 3
		.amdhsa_float_denorm_mode_16_64 3
		.amdhsa_dx10_clamp 1
		.amdhsa_ieee_mode 1
		.amdhsa_fp16_overflow 0
		.amdhsa_tg_split 0
		.amdhsa_exception_fp_ieee_invalid_op 0
		.amdhsa_exception_fp_denorm_src 0
		.amdhsa_exception_fp_ieee_div_zero 0
		.amdhsa_exception_fp_ieee_overflow 0
		.amdhsa_exception_fp_ieee_underflow 0
		.amdhsa_exception_fp_ieee_inexact 0
		.amdhsa_exception_int_div_zero 0
	.end_amdhsa_kernel
	.section	.text._ZN7rocprim17ROCPRIM_400000_NS6detail17trampoline_kernelINS0_14default_configENS1_25partition_config_selectorILNS1_17partition_subalgoE1EyNS0_10empty_typeEbEEZZNS1_14partition_implILS5_1ELb0ES3_jN6thrust23THRUST_200600_302600_NS6detail15normal_iteratorINSA_10device_ptrIyEEEEPS6_NSA_18transform_iteratorI7is_evenIyESF_NSA_11use_defaultESK_EENS0_5tupleIJNSA_16discard_iteratorISK_EESO_EEENSM_IJSG_SG_EEES6_PlJS6_EEE10hipError_tPvRmT3_T4_T5_T6_T7_T9_mT8_P12ihipStream_tbDpT10_ENKUlT_T0_E_clISt17integral_constantIbLb1EES1A_IbLb0EEEEDaS16_S17_EUlS16_E_NS1_11comp_targetILNS1_3genE9ELNS1_11target_archE1100ELNS1_3gpuE3ELNS1_3repE0EEENS1_30default_config_static_selectorELNS0_4arch9wavefront6targetE1EEEvT1_,"axG",@progbits,_ZN7rocprim17ROCPRIM_400000_NS6detail17trampoline_kernelINS0_14default_configENS1_25partition_config_selectorILNS1_17partition_subalgoE1EyNS0_10empty_typeEbEEZZNS1_14partition_implILS5_1ELb0ES3_jN6thrust23THRUST_200600_302600_NS6detail15normal_iteratorINSA_10device_ptrIyEEEEPS6_NSA_18transform_iteratorI7is_evenIyESF_NSA_11use_defaultESK_EENS0_5tupleIJNSA_16discard_iteratorISK_EESO_EEENSM_IJSG_SG_EEES6_PlJS6_EEE10hipError_tPvRmT3_T4_T5_T6_T7_T9_mT8_P12ihipStream_tbDpT10_ENKUlT_T0_E_clISt17integral_constantIbLb1EES1A_IbLb0EEEEDaS16_S17_EUlS16_E_NS1_11comp_targetILNS1_3genE9ELNS1_11target_archE1100ELNS1_3gpuE3ELNS1_3repE0EEENS1_30default_config_static_selectorELNS0_4arch9wavefront6targetE1EEEvT1_,comdat
.Lfunc_end2897:
	.size	_ZN7rocprim17ROCPRIM_400000_NS6detail17trampoline_kernelINS0_14default_configENS1_25partition_config_selectorILNS1_17partition_subalgoE1EyNS0_10empty_typeEbEEZZNS1_14partition_implILS5_1ELb0ES3_jN6thrust23THRUST_200600_302600_NS6detail15normal_iteratorINSA_10device_ptrIyEEEEPS6_NSA_18transform_iteratorI7is_evenIyESF_NSA_11use_defaultESK_EENS0_5tupleIJNSA_16discard_iteratorISK_EESO_EEENSM_IJSG_SG_EEES6_PlJS6_EEE10hipError_tPvRmT3_T4_T5_T6_T7_T9_mT8_P12ihipStream_tbDpT10_ENKUlT_T0_E_clISt17integral_constantIbLb1EES1A_IbLb0EEEEDaS16_S17_EUlS16_E_NS1_11comp_targetILNS1_3genE9ELNS1_11target_archE1100ELNS1_3gpuE3ELNS1_3repE0EEENS1_30default_config_static_selectorELNS0_4arch9wavefront6targetE1EEEvT1_, .Lfunc_end2897-_ZN7rocprim17ROCPRIM_400000_NS6detail17trampoline_kernelINS0_14default_configENS1_25partition_config_selectorILNS1_17partition_subalgoE1EyNS0_10empty_typeEbEEZZNS1_14partition_implILS5_1ELb0ES3_jN6thrust23THRUST_200600_302600_NS6detail15normal_iteratorINSA_10device_ptrIyEEEEPS6_NSA_18transform_iteratorI7is_evenIyESF_NSA_11use_defaultESK_EENS0_5tupleIJNSA_16discard_iteratorISK_EESO_EEENSM_IJSG_SG_EEES6_PlJS6_EEE10hipError_tPvRmT3_T4_T5_T6_T7_T9_mT8_P12ihipStream_tbDpT10_ENKUlT_T0_E_clISt17integral_constantIbLb1EES1A_IbLb0EEEEDaS16_S17_EUlS16_E_NS1_11comp_targetILNS1_3genE9ELNS1_11target_archE1100ELNS1_3gpuE3ELNS1_3repE0EEENS1_30default_config_static_selectorELNS0_4arch9wavefront6targetE1EEEvT1_
                                        ; -- End function
	.section	.AMDGPU.csdata,"",@progbits
; Kernel info:
; codeLenInByte = 0
; NumSgprs: 6
; NumVgprs: 0
; NumAgprs: 0
; TotalNumVgprs: 0
; ScratchSize: 0
; MemoryBound: 0
; FloatMode: 240
; IeeeMode: 1
; LDSByteSize: 0 bytes/workgroup (compile time only)
; SGPRBlocks: 0
; VGPRBlocks: 0
; NumSGPRsForWavesPerEU: 6
; NumVGPRsForWavesPerEU: 1
; AccumOffset: 4
; Occupancy: 8
; WaveLimiterHint : 0
; COMPUTE_PGM_RSRC2:SCRATCH_EN: 0
; COMPUTE_PGM_RSRC2:USER_SGPR: 2
; COMPUTE_PGM_RSRC2:TRAP_HANDLER: 0
; COMPUTE_PGM_RSRC2:TGID_X_EN: 1
; COMPUTE_PGM_RSRC2:TGID_Y_EN: 0
; COMPUTE_PGM_RSRC2:TGID_Z_EN: 0
; COMPUTE_PGM_RSRC2:TIDIG_COMP_CNT: 0
; COMPUTE_PGM_RSRC3_GFX90A:ACCUM_OFFSET: 0
; COMPUTE_PGM_RSRC3_GFX90A:TG_SPLIT: 0
	.section	.text._ZN7rocprim17ROCPRIM_400000_NS6detail17trampoline_kernelINS0_14default_configENS1_25partition_config_selectorILNS1_17partition_subalgoE1EyNS0_10empty_typeEbEEZZNS1_14partition_implILS5_1ELb0ES3_jN6thrust23THRUST_200600_302600_NS6detail15normal_iteratorINSA_10device_ptrIyEEEEPS6_NSA_18transform_iteratorI7is_evenIyESF_NSA_11use_defaultESK_EENS0_5tupleIJNSA_16discard_iteratorISK_EESO_EEENSM_IJSG_SG_EEES6_PlJS6_EEE10hipError_tPvRmT3_T4_T5_T6_T7_T9_mT8_P12ihipStream_tbDpT10_ENKUlT_T0_E_clISt17integral_constantIbLb1EES1A_IbLb0EEEEDaS16_S17_EUlS16_E_NS1_11comp_targetILNS1_3genE8ELNS1_11target_archE1030ELNS1_3gpuE2ELNS1_3repE0EEENS1_30default_config_static_selectorELNS0_4arch9wavefront6targetE1EEEvT1_,"axG",@progbits,_ZN7rocprim17ROCPRIM_400000_NS6detail17trampoline_kernelINS0_14default_configENS1_25partition_config_selectorILNS1_17partition_subalgoE1EyNS0_10empty_typeEbEEZZNS1_14partition_implILS5_1ELb0ES3_jN6thrust23THRUST_200600_302600_NS6detail15normal_iteratorINSA_10device_ptrIyEEEEPS6_NSA_18transform_iteratorI7is_evenIyESF_NSA_11use_defaultESK_EENS0_5tupleIJNSA_16discard_iteratorISK_EESO_EEENSM_IJSG_SG_EEES6_PlJS6_EEE10hipError_tPvRmT3_T4_T5_T6_T7_T9_mT8_P12ihipStream_tbDpT10_ENKUlT_T0_E_clISt17integral_constantIbLb1EES1A_IbLb0EEEEDaS16_S17_EUlS16_E_NS1_11comp_targetILNS1_3genE8ELNS1_11target_archE1030ELNS1_3gpuE2ELNS1_3repE0EEENS1_30default_config_static_selectorELNS0_4arch9wavefront6targetE1EEEvT1_,comdat
	.protected	_ZN7rocprim17ROCPRIM_400000_NS6detail17trampoline_kernelINS0_14default_configENS1_25partition_config_selectorILNS1_17partition_subalgoE1EyNS0_10empty_typeEbEEZZNS1_14partition_implILS5_1ELb0ES3_jN6thrust23THRUST_200600_302600_NS6detail15normal_iteratorINSA_10device_ptrIyEEEEPS6_NSA_18transform_iteratorI7is_evenIyESF_NSA_11use_defaultESK_EENS0_5tupleIJNSA_16discard_iteratorISK_EESO_EEENSM_IJSG_SG_EEES6_PlJS6_EEE10hipError_tPvRmT3_T4_T5_T6_T7_T9_mT8_P12ihipStream_tbDpT10_ENKUlT_T0_E_clISt17integral_constantIbLb1EES1A_IbLb0EEEEDaS16_S17_EUlS16_E_NS1_11comp_targetILNS1_3genE8ELNS1_11target_archE1030ELNS1_3gpuE2ELNS1_3repE0EEENS1_30default_config_static_selectorELNS0_4arch9wavefront6targetE1EEEvT1_ ; -- Begin function _ZN7rocprim17ROCPRIM_400000_NS6detail17trampoline_kernelINS0_14default_configENS1_25partition_config_selectorILNS1_17partition_subalgoE1EyNS0_10empty_typeEbEEZZNS1_14partition_implILS5_1ELb0ES3_jN6thrust23THRUST_200600_302600_NS6detail15normal_iteratorINSA_10device_ptrIyEEEEPS6_NSA_18transform_iteratorI7is_evenIyESF_NSA_11use_defaultESK_EENS0_5tupleIJNSA_16discard_iteratorISK_EESO_EEENSM_IJSG_SG_EEES6_PlJS6_EEE10hipError_tPvRmT3_T4_T5_T6_T7_T9_mT8_P12ihipStream_tbDpT10_ENKUlT_T0_E_clISt17integral_constantIbLb1EES1A_IbLb0EEEEDaS16_S17_EUlS16_E_NS1_11comp_targetILNS1_3genE8ELNS1_11target_archE1030ELNS1_3gpuE2ELNS1_3repE0EEENS1_30default_config_static_selectorELNS0_4arch9wavefront6targetE1EEEvT1_
	.globl	_ZN7rocprim17ROCPRIM_400000_NS6detail17trampoline_kernelINS0_14default_configENS1_25partition_config_selectorILNS1_17partition_subalgoE1EyNS0_10empty_typeEbEEZZNS1_14partition_implILS5_1ELb0ES3_jN6thrust23THRUST_200600_302600_NS6detail15normal_iteratorINSA_10device_ptrIyEEEEPS6_NSA_18transform_iteratorI7is_evenIyESF_NSA_11use_defaultESK_EENS0_5tupleIJNSA_16discard_iteratorISK_EESO_EEENSM_IJSG_SG_EEES6_PlJS6_EEE10hipError_tPvRmT3_T4_T5_T6_T7_T9_mT8_P12ihipStream_tbDpT10_ENKUlT_T0_E_clISt17integral_constantIbLb1EES1A_IbLb0EEEEDaS16_S17_EUlS16_E_NS1_11comp_targetILNS1_3genE8ELNS1_11target_archE1030ELNS1_3gpuE2ELNS1_3repE0EEENS1_30default_config_static_selectorELNS0_4arch9wavefront6targetE1EEEvT1_
	.p2align	8
	.type	_ZN7rocprim17ROCPRIM_400000_NS6detail17trampoline_kernelINS0_14default_configENS1_25partition_config_selectorILNS1_17partition_subalgoE1EyNS0_10empty_typeEbEEZZNS1_14partition_implILS5_1ELb0ES3_jN6thrust23THRUST_200600_302600_NS6detail15normal_iteratorINSA_10device_ptrIyEEEEPS6_NSA_18transform_iteratorI7is_evenIyESF_NSA_11use_defaultESK_EENS0_5tupleIJNSA_16discard_iteratorISK_EESO_EEENSM_IJSG_SG_EEES6_PlJS6_EEE10hipError_tPvRmT3_T4_T5_T6_T7_T9_mT8_P12ihipStream_tbDpT10_ENKUlT_T0_E_clISt17integral_constantIbLb1EES1A_IbLb0EEEEDaS16_S17_EUlS16_E_NS1_11comp_targetILNS1_3genE8ELNS1_11target_archE1030ELNS1_3gpuE2ELNS1_3repE0EEENS1_30default_config_static_selectorELNS0_4arch9wavefront6targetE1EEEvT1_,@function
_ZN7rocprim17ROCPRIM_400000_NS6detail17trampoline_kernelINS0_14default_configENS1_25partition_config_selectorILNS1_17partition_subalgoE1EyNS0_10empty_typeEbEEZZNS1_14partition_implILS5_1ELb0ES3_jN6thrust23THRUST_200600_302600_NS6detail15normal_iteratorINSA_10device_ptrIyEEEEPS6_NSA_18transform_iteratorI7is_evenIyESF_NSA_11use_defaultESK_EENS0_5tupleIJNSA_16discard_iteratorISK_EESO_EEENSM_IJSG_SG_EEES6_PlJS6_EEE10hipError_tPvRmT3_T4_T5_T6_T7_T9_mT8_P12ihipStream_tbDpT10_ENKUlT_T0_E_clISt17integral_constantIbLb1EES1A_IbLb0EEEEDaS16_S17_EUlS16_E_NS1_11comp_targetILNS1_3genE8ELNS1_11target_archE1030ELNS1_3gpuE2ELNS1_3repE0EEENS1_30default_config_static_selectorELNS0_4arch9wavefront6targetE1EEEvT1_: ; @_ZN7rocprim17ROCPRIM_400000_NS6detail17trampoline_kernelINS0_14default_configENS1_25partition_config_selectorILNS1_17partition_subalgoE1EyNS0_10empty_typeEbEEZZNS1_14partition_implILS5_1ELb0ES3_jN6thrust23THRUST_200600_302600_NS6detail15normal_iteratorINSA_10device_ptrIyEEEEPS6_NSA_18transform_iteratorI7is_evenIyESF_NSA_11use_defaultESK_EENS0_5tupleIJNSA_16discard_iteratorISK_EESO_EEENSM_IJSG_SG_EEES6_PlJS6_EEE10hipError_tPvRmT3_T4_T5_T6_T7_T9_mT8_P12ihipStream_tbDpT10_ENKUlT_T0_E_clISt17integral_constantIbLb1EES1A_IbLb0EEEEDaS16_S17_EUlS16_E_NS1_11comp_targetILNS1_3genE8ELNS1_11target_archE1030ELNS1_3gpuE2ELNS1_3repE0EEENS1_30default_config_static_selectorELNS0_4arch9wavefront6targetE1EEEvT1_
; %bb.0:
	.section	.rodata,"a",@progbits
	.p2align	6, 0x0
	.amdhsa_kernel _ZN7rocprim17ROCPRIM_400000_NS6detail17trampoline_kernelINS0_14default_configENS1_25partition_config_selectorILNS1_17partition_subalgoE1EyNS0_10empty_typeEbEEZZNS1_14partition_implILS5_1ELb0ES3_jN6thrust23THRUST_200600_302600_NS6detail15normal_iteratorINSA_10device_ptrIyEEEEPS6_NSA_18transform_iteratorI7is_evenIyESF_NSA_11use_defaultESK_EENS0_5tupleIJNSA_16discard_iteratorISK_EESO_EEENSM_IJSG_SG_EEES6_PlJS6_EEE10hipError_tPvRmT3_T4_T5_T6_T7_T9_mT8_P12ihipStream_tbDpT10_ENKUlT_T0_E_clISt17integral_constantIbLb1EES1A_IbLb0EEEEDaS16_S17_EUlS16_E_NS1_11comp_targetILNS1_3genE8ELNS1_11target_archE1030ELNS1_3gpuE2ELNS1_3repE0EEENS1_30default_config_static_selectorELNS0_4arch9wavefront6targetE1EEEvT1_
		.amdhsa_group_segment_fixed_size 0
		.amdhsa_private_segment_fixed_size 0
		.amdhsa_kernarg_size 144
		.amdhsa_user_sgpr_count 2
		.amdhsa_user_sgpr_dispatch_ptr 0
		.amdhsa_user_sgpr_queue_ptr 0
		.amdhsa_user_sgpr_kernarg_segment_ptr 1
		.amdhsa_user_sgpr_dispatch_id 0
		.amdhsa_user_sgpr_kernarg_preload_length 0
		.amdhsa_user_sgpr_kernarg_preload_offset 0
		.amdhsa_user_sgpr_private_segment_size 0
		.amdhsa_uses_dynamic_stack 0
		.amdhsa_enable_private_segment 0
		.amdhsa_system_sgpr_workgroup_id_x 1
		.amdhsa_system_sgpr_workgroup_id_y 0
		.amdhsa_system_sgpr_workgroup_id_z 0
		.amdhsa_system_sgpr_workgroup_info 0
		.amdhsa_system_vgpr_workitem_id 0
		.amdhsa_next_free_vgpr 1
		.amdhsa_next_free_sgpr 0
		.amdhsa_accum_offset 4
		.amdhsa_reserve_vcc 0
		.amdhsa_float_round_mode_32 0
		.amdhsa_float_round_mode_16_64 0
		.amdhsa_float_denorm_mode_32 3
		.amdhsa_float_denorm_mode_16_64 3
		.amdhsa_dx10_clamp 1
		.amdhsa_ieee_mode 1
		.amdhsa_fp16_overflow 0
		.amdhsa_tg_split 0
		.amdhsa_exception_fp_ieee_invalid_op 0
		.amdhsa_exception_fp_denorm_src 0
		.amdhsa_exception_fp_ieee_div_zero 0
		.amdhsa_exception_fp_ieee_overflow 0
		.amdhsa_exception_fp_ieee_underflow 0
		.amdhsa_exception_fp_ieee_inexact 0
		.amdhsa_exception_int_div_zero 0
	.end_amdhsa_kernel
	.section	.text._ZN7rocprim17ROCPRIM_400000_NS6detail17trampoline_kernelINS0_14default_configENS1_25partition_config_selectorILNS1_17partition_subalgoE1EyNS0_10empty_typeEbEEZZNS1_14partition_implILS5_1ELb0ES3_jN6thrust23THRUST_200600_302600_NS6detail15normal_iteratorINSA_10device_ptrIyEEEEPS6_NSA_18transform_iteratorI7is_evenIyESF_NSA_11use_defaultESK_EENS0_5tupleIJNSA_16discard_iteratorISK_EESO_EEENSM_IJSG_SG_EEES6_PlJS6_EEE10hipError_tPvRmT3_T4_T5_T6_T7_T9_mT8_P12ihipStream_tbDpT10_ENKUlT_T0_E_clISt17integral_constantIbLb1EES1A_IbLb0EEEEDaS16_S17_EUlS16_E_NS1_11comp_targetILNS1_3genE8ELNS1_11target_archE1030ELNS1_3gpuE2ELNS1_3repE0EEENS1_30default_config_static_selectorELNS0_4arch9wavefront6targetE1EEEvT1_,"axG",@progbits,_ZN7rocprim17ROCPRIM_400000_NS6detail17trampoline_kernelINS0_14default_configENS1_25partition_config_selectorILNS1_17partition_subalgoE1EyNS0_10empty_typeEbEEZZNS1_14partition_implILS5_1ELb0ES3_jN6thrust23THRUST_200600_302600_NS6detail15normal_iteratorINSA_10device_ptrIyEEEEPS6_NSA_18transform_iteratorI7is_evenIyESF_NSA_11use_defaultESK_EENS0_5tupleIJNSA_16discard_iteratorISK_EESO_EEENSM_IJSG_SG_EEES6_PlJS6_EEE10hipError_tPvRmT3_T4_T5_T6_T7_T9_mT8_P12ihipStream_tbDpT10_ENKUlT_T0_E_clISt17integral_constantIbLb1EES1A_IbLb0EEEEDaS16_S17_EUlS16_E_NS1_11comp_targetILNS1_3genE8ELNS1_11target_archE1030ELNS1_3gpuE2ELNS1_3repE0EEENS1_30default_config_static_selectorELNS0_4arch9wavefront6targetE1EEEvT1_,comdat
.Lfunc_end2898:
	.size	_ZN7rocprim17ROCPRIM_400000_NS6detail17trampoline_kernelINS0_14default_configENS1_25partition_config_selectorILNS1_17partition_subalgoE1EyNS0_10empty_typeEbEEZZNS1_14partition_implILS5_1ELb0ES3_jN6thrust23THRUST_200600_302600_NS6detail15normal_iteratorINSA_10device_ptrIyEEEEPS6_NSA_18transform_iteratorI7is_evenIyESF_NSA_11use_defaultESK_EENS0_5tupleIJNSA_16discard_iteratorISK_EESO_EEENSM_IJSG_SG_EEES6_PlJS6_EEE10hipError_tPvRmT3_T4_T5_T6_T7_T9_mT8_P12ihipStream_tbDpT10_ENKUlT_T0_E_clISt17integral_constantIbLb1EES1A_IbLb0EEEEDaS16_S17_EUlS16_E_NS1_11comp_targetILNS1_3genE8ELNS1_11target_archE1030ELNS1_3gpuE2ELNS1_3repE0EEENS1_30default_config_static_selectorELNS0_4arch9wavefront6targetE1EEEvT1_, .Lfunc_end2898-_ZN7rocprim17ROCPRIM_400000_NS6detail17trampoline_kernelINS0_14default_configENS1_25partition_config_selectorILNS1_17partition_subalgoE1EyNS0_10empty_typeEbEEZZNS1_14partition_implILS5_1ELb0ES3_jN6thrust23THRUST_200600_302600_NS6detail15normal_iteratorINSA_10device_ptrIyEEEEPS6_NSA_18transform_iteratorI7is_evenIyESF_NSA_11use_defaultESK_EENS0_5tupleIJNSA_16discard_iteratorISK_EESO_EEENSM_IJSG_SG_EEES6_PlJS6_EEE10hipError_tPvRmT3_T4_T5_T6_T7_T9_mT8_P12ihipStream_tbDpT10_ENKUlT_T0_E_clISt17integral_constantIbLb1EES1A_IbLb0EEEEDaS16_S17_EUlS16_E_NS1_11comp_targetILNS1_3genE8ELNS1_11target_archE1030ELNS1_3gpuE2ELNS1_3repE0EEENS1_30default_config_static_selectorELNS0_4arch9wavefront6targetE1EEEvT1_
                                        ; -- End function
	.section	.AMDGPU.csdata,"",@progbits
; Kernel info:
; codeLenInByte = 0
; NumSgprs: 6
; NumVgprs: 0
; NumAgprs: 0
; TotalNumVgprs: 0
; ScratchSize: 0
; MemoryBound: 0
; FloatMode: 240
; IeeeMode: 1
; LDSByteSize: 0 bytes/workgroup (compile time only)
; SGPRBlocks: 0
; VGPRBlocks: 0
; NumSGPRsForWavesPerEU: 6
; NumVGPRsForWavesPerEU: 1
; AccumOffset: 4
; Occupancy: 8
; WaveLimiterHint : 0
; COMPUTE_PGM_RSRC2:SCRATCH_EN: 0
; COMPUTE_PGM_RSRC2:USER_SGPR: 2
; COMPUTE_PGM_RSRC2:TRAP_HANDLER: 0
; COMPUTE_PGM_RSRC2:TGID_X_EN: 1
; COMPUTE_PGM_RSRC2:TGID_Y_EN: 0
; COMPUTE_PGM_RSRC2:TGID_Z_EN: 0
; COMPUTE_PGM_RSRC2:TIDIG_COMP_CNT: 0
; COMPUTE_PGM_RSRC3_GFX90A:ACCUM_OFFSET: 0
; COMPUTE_PGM_RSRC3_GFX90A:TG_SPLIT: 0
	.section	.text._ZN7rocprim17ROCPRIM_400000_NS6detail17trampoline_kernelINS0_14default_configENS1_25partition_config_selectorILNS1_17partition_subalgoE1EyNS0_10empty_typeEbEEZZNS1_14partition_implILS5_1ELb0ES3_jN6thrust23THRUST_200600_302600_NS6detail15normal_iteratorINSA_10device_ptrIyEEEEPS6_NSA_18transform_iteratorI7is_evenIyESF_NSA_11use_defaultESK_EENS0_5tupleIJNSA_16discard_iteratorISK_EESO_EEENSM_IJSG_SG_EEES6_PlJS6_EEE10hipError_tPvRmT3_T4_T5_T6_T7_T9_mT8_P12ihipStream_tbDpT10_ENKUlT_T0_E_clISt17integral_constantIbLb0EES1A_IbLb1EEEEDaS16_S17_EUlS16_E_NS1_11comp_targetILNS1_3genE0ELNS1_11target_archE4294967295ELNS1_3gpuE0ELNS1_3repE0EEENS1_30default_config_static_selectorELNS0_4arch9wavefront6targetE1EEEvT1_,"axG",@progbits,_ZN7rocprim17ROCPRIM_400000_NS6detail17trampoline_kernelINS0_14default_configENS1_25partition_config_selectorILNS1_17partition_subalgoE1EyNS0_10empty_typeEbEEZZNS1_14partition_implILS5_1ELb0ES3_jN6thrust23THRUST_200600_302600_NS6detail15normal_iteratorINSA_10device_ptrIyEEEEPS6_NSA_18transform_iteratorI7is_evenIyESF_NSA_11use_defaultESK_EENS0_5tupleIJNSA_16discard_iteratorISK_EESO_EEENSM_IJSG_SG_EEES6_PlJS6_EEE10hipError_tPvRmT3_T4_T5_T6_T7_T9_mT8_P12ihipStream_tbDpT10_ENKUlT_T0_E_clISt17integral_constantIbLb0EES1A_IbLb1EEEEDaS16_S17_EUlS16_E_NS1_11comp_targetILNS1_3genE0ELNS1_11target_archE4294967295ELNS1_3gpuE0ELNS1_3repE0EEENS1_30default_config_static_selectorELNS0_4arch9wavefront6targetE1EEEvT1_,comdat
	.protected	_ZN7rocprim17ROCPRIM_400000_NS6detail17trampoline_kernelINS0_14default_configENS1_25partition_config_selectorILNS1_17partition_subalgoE1EyNS0_10empty_typeEbEEZZNS1_14partition_implILS5_1ELb0ES3_jN6thrust23THRUST_200600_302600_NS6detail15normal_iteratorINSA_10device_ptrIyEEEEPS6_NSA_18transform_iteratorI7is_evenIyESF_NSA_11use_defaultESK_EENS0_5tupleIJNSA_16discard_iteratorISK_EESO_EEENSM_IJSG_SG_EEES6_PlJS6_EEE10hipError_tPvRmT3_T4_T5_T6_T7_T9_mT8_P12ihipStream_tbDpT10_ENKUlT_T0_E_clISt17integral_constantIbLb0EES1A_IbLb1EEEEDaS16_S17_EUlS16_E_NS1_11comp_targetILNS1_3genE0ELNS1_11target_archE4294967295ELNS1_3gpuE0ELNS1_3repE0EEENS1_30default_config_static_selectorELNS0_4arch9wavefront6targetE1EEEvT1_ ; -- Begin function _ZN7rocprim17ROCPRIM_400000_NS6detail17trampoline_kernelINS0_14default_configENS1_25partition_config_selectorILNS1_17partition_subalgoE1EyNS0_10empty_typeEbEEZZNS1_14partition_implILS5_1ELb0ES3_jN6thrust23THRUST_200600_302600_NS6detail15normal_iteratorINSA_10device_ptrIyEEEEPS6_NSA_18transform_iteratorI7is_evenIyESF_NSA_11use_defaultESK_EENS0_5tupleIJNSA_16discard_iteratorISK_EESO_EEENSM_IJSG_SG_EEES6_PlJS6_EEE10hipError_tPvRmT3_T4_T5_T6_T7_T9_mT8_P12ihipStream_tbDpT10_ENKUlT_T0_E_clISt17integral_constantIbLb0EES1A_IbLb1EEEEDaS16_S17_EUlS16_E_NS1_11comp_targetILNS1_3genE0ELNS1_11target_archE4294967295ELNS1_3gpuE0ELNS1_3repE0EEENS1_30default_config_static_selectorELNS0_4arch9wavefront6targetE1EEEvT1_
	.globl	_ZN7rocprim17ROCPRIM_400000_NS6detail17trampoline_kernelINS0_14default_configENS1_25partition_config_selectorILNS1_17partition_subalgoE1EyNS0_10empty_typeEbEEZZNS1_14partition_implILS5_1ELb0ES3_jN6thrust23THRUST_200600_302600_NS6detail15normal_iteratorINSA_10device_ptrIyEEEEPS6_NSA_18transform_iteratorI7is_evenIyESF_NSA_11use_defaultESK_EENS0_5tupleIJNSA_16discard_iteratorISK_EESO_EEENSM_IJSG_SG_EEES6_PlJS6_EEE10hipError_tPvRmT3_T4_T5_T6_T7_T9_mT8_P12ihipStream_tbDpT10_ENKUlT_T0_E_clISt17integral_constantIbLb0EES1A_IbLb1EEEEDaS16_S17_EUlS16_E_NS1_11comp_targetILNS1_3genE0ELNS1_11target_archE4294967295ELNS1_3gpuE0ELNS1_3repE0EEENS1_30default_config_static_selectorELNS0_4arch9wavefront6targetE1EEEvT1_
	.p2align	8
	.type	_ZN7rocprim17ROCPRIM_400000_NS6detail17trampoline_kernelINS0_14default_configENS1_25partition_config_selectorILNS1_17partition_subalgoE1EyNS0_10empty_typeEbEEZZNS1_14partition_implILS5_1ELb0ES3_jN6thrust23THRUST_200600_302600_NS6detail15normal_iteratorINSA_10device_ptrIyEEEEPS6_NSA_18transform_iteratorI7is_evenIyESF_NSA_11use_defaultESK_EENS0_5tupleIJNSA_16discard_iteratorISK_EESO_EEENSM_IJSG_SG_EEES6_PlJS6_EEE10hipError_tPvRmT3_T4_T5_T6_T7_T9_mT8_P12ihipStream_tbDpT10_ENKUlT_T0_E_clISt17integral_constantIbLb0EES1A_IbLb1EEEEDaS16_S17_EUlS16_E_NS1_11comp_targetILNS1_3genE0ELNS1_11target_archE4294967295ELNS1_3gpuE0ELNS1_3repE0EEENS1_30default_config_static_selectorELNS0_4arch9wavefront6targetE1EEEvT1_,@function
_ZN7rocprim17ROCPRIM_400000_NS6detail17trampoline_kernelINS0_14default_configENS1_25partition_config_selectorILNS1_17partition_subalgoE1EyNS0_10empty_typeEbEEZZNS1_14partition_implILS5_1ELb0ES3_jN6thrust23THRUST_200600_302600_NS6detail15normal_iteratorINSA_10device_ptrIyEEEEPS6_NSA_18transform_iteratorI7is_evenIyESF_NSA_11use_defaultESK_EENS0_5tupleIJNSA_16discard_iteratorISK_EESO_EEENSM_IJSG_SG_EEES6_PlJS6_EEE10hipError_tPvRmT3_T4_T5_T6_T7_T9_mT8_P12ihipStream_tbDpT10_ENKUlT_T0_E_clISt17integral_constantIbLb0EES1A_IbLb1EEEEDaS16_S17_EUlS16_E_NS1_11comp_targetILNS1_3genE0ELNS1_11target_archE4294967295ELNS1_3gpuE0ELNS1_3repE0EEENS1_30default_config_static_selectorELNS0_4arch9wavefront6targetE1EEEvT1_: ; @_ZN7rocprim17ROCPRIM_400000_NS6detail17trampoline_kernelINS0_14default_configENS1_25partition_config_selectorILNS1_17partition_subalgoE1EyNS0_10empty_typeEbEEZZNS1_14partition_implILS5_1ELb0ES3_jN6thrust23THRUST_200600_302600_NS6detail15normal_iteratorINSA_10device_ptrIyEEEEPS6_NSA_18transform_iteratorI7is_evenIyESF_NSA_11use_defaultESK_EENS0_5tupleIJNSA_16discard_iteratorISK_EESO_EEENSM_IJSG_SG_EEES6_PlJS6_EEE10hipError_tPvRmT3_T4_T5_T6_T7_T9_mT8_P12ihipStream_tbDpT10_ENKUlT_T0_E_clISt17integral_constantIbLb0EES1A_IbLb1EEEEDaS16_S17_EUlS16_E_NS1_11comp_targetILNS1_3genE0ELNS1_11target_archE4294967295ELNS1_3gpuE0ELNS1_3repE0EEENS1_30default_config_static_selectorELNS0_4arch9wavefront6targetE1EEEvT1_
; %bb.0:
	.section	.rodata,"a",@progbits
	.p2align	6, 0x0
	.amdhsa_kernel _ZN7rocprim17ROCPRIM_400000_NS6detail17trampoline_kernelINS0_14default_configENS1_25partition_config_selectorILNS1_17partition_subalgoE1EyNS0_10empty_typeEbEEZZNS1_14partition_implILS5_1ELb0ES3_jN6thrust23THRUST_200600_302600_NS6detail15normal_iteratorINSA_10device_ptrIyEEEEPS6_NSA_18transform_iteratorI7is_evenIyESF_NSA_11use_defaultESK_EENS0_5tupleIJNSA_16discard_iteratorISK_EESO_EEENSM_IJSG_SG_EEES6_PlJS6_EEE10hipError_tPvRmT3_T4_T5_T6_T7_T9_mT8_P12ihipStream_tbDpT10_ENKUlT_T0_E_clISt17integral_constantIbLb0EES1A_IbLb1EEEEDaS16_S17_EUlS16_E_NS1_11comp_targetILNS1_3genE0ELNS1_11target_archE4294967295ELNS1_3gpuE0ELNS1_3repE0EEENS1_30default_config_static_selectorELNS0_4arch9wavefront6targetE1EEEvT1_
		.amdhsa_group_segment_fixed_size 0
		.amdhsa_private_segment_fixed_size 0
		.amdhsa_kernarg_size 160
		.amdhsa_user_sgpr_count 2
		.amdhsa_user_sgpr_dispatch_ptr 0
		.amdhsa_user_sgpr_queue_ptr 0
		.amdhsa_user_sgpr_kernarg_segment_ptr 1
		.amdhsa_user_sgpr_dispatch_id 0
		.amdhsa_user_sgpr_kernarg_preload_length 0
		.amdhsa_user_sgpr_kernarg_preload_offset 0
		.amdhsa_user_sgpr_private_segment_size 0
		.amdhsa_uses_dynamic_stack 0
		.amdhsa_enable_private_segment 0
		.amdhsa_system_sgpr_workgroup_id_x 1
		.amdhsa_system_sgpr_workgroup_id_y 0
		.amdhsa_system_sgpr_workgroup_id_z 0
		.amdhsa_system_sgpr_workgroup_info 0
		.amdhsa_system_vgpr_workitem_id 0
		.amdhsa_next_free_vgpr 1
		.amdhsa_next_free_sgpr 0
		.amdhsa_accum_offset 4
		.amdhsa_reserve_vcc 0
		.amdhsa_float_round_mode_32 0
		.amdhsa_float_round_mode_16_64 0
		.amdhsa_float_denorm_mode_32 3
		.amdhsa_float_denorm_mode_16_64 3
		.amdhsa_dx10_clamp 1
		.amdhsa_ieee_mode 1
		.amdhsa_fp16_overflow 0
		.amdhsa_tg_split 0
		.amdhsa_exception_fp_ieee_invalid_op 0
		.amdhsa_exception_fp_denorm_src 0
		.amdhsa_exception_fp_ieee_div_zero 0
		.amdhsa_exception_fp_ieee_overflow 0
		.amdhsa_exception_fp_ieee_underflow 0
		.amdhsa_exception_fp_ieee_inexact 0
		.amdhsa_exception_int_div_zero 0
	.end_amdhsa_kernel
	.section	.text._ZN7rocprim17ROCPRIM_400000_NS6detail17trampoline_kernelINS0_14default_configENS1_25partition_config_selectorILNS1_17partition_subalgoE1EyNS0_10empty_typeEbEEZZNS1_14partition_implILS5_1ELb0ES3_jN6thrust23THRUST_200600_302600_NS6detail15normal_iteratorINSA_10device_ptrIyEEEEPS6_NSA_18transform_iteratorI7is_evenIyESF_NSA_11use_defaultESK_EENS0_5tupleIJNSA_16discard_iteratorISK_EESO_EEENSM_IJSG_SG_EEES6_PlJS6_EEE10hipError_tPvRmT3_T4_T5_T6_T7_T9_mT8_P12ihipStream_tbDpT10_ENKUlT_T0_E_clISt17integral_constantIbLb0EES1A_IbLb1EEEEDaS16_S17_EUlS16_E_NS1_11comp_targetILNS1_3genE0ELNS1_11target_archE4294967295ELNS1_3gpuE0ELNS1_3repE0EEENS1_30default_config_static_selectorELNS0_4arch9wavefront6targetE1EEEvT1_,"axG",@progbits,_ZN7rocprim17ROCPRIM_400000_NS6detail17trampoline_kernelINS0_14default_configENS1_25partition_config_selectorILNS1_17partition_subalgoE1EyNS0_10empty_typeEbEEZZNS1_14partition_implILS5_1ELb0ES3_jN6thrust23THRUST_200600_302600_NS6detail15normal_iteratorINSA_10device_ptrIyEEEEPS6_NSA_18transform_iteratorI7is_evenIyESF_NSA_11use_defaultESK_EENS0_5tupleIJNSA_16discard_iteratorISK_EESO_EEENSM_IJSG_SG_EEES6_PlJS6_EEE10hipError_tPvRmT3_T4_T5_T6_T7_T9_mT8_P12ihipStream_tbDpT10_ENKUlT_T0_E_clISt17integral_constantIbLb0EES1A_IbLb1EEEEDaS16_S17_EUlS16_E_NS1_11comp_targetILNS1_3genE0ELNS1_11target_archE4294967295ELNS1_3gpuE0ELNS1_3repE0EEENS1_30default_config_static_selectorELNS0_4arch9wavefront6targetE1EEEvT1_,comdat
.Lfunc_end2899:
	.size	_ZN7rocprim17ROCPRIM_400000_NS6detail17trampoline_kernelINS0_14default_configENS1_25partition_config_selectorILNS1_17partition_subalgoE1EyNS0_10empty_typeEbEEZZNS1_14partition_implILS5_1ELb0ES3_jN6thrust23THRUST_200600_302600_NS6detail15normal_iteratorINSA_10device_ptrIyEEEEPS6_NSA_18transform_iteratorI7is_evenIyESF_NSA_11use_defaultESK_EENS0_5tupleIJNSA_16discard_iteratorISK_EESO_EEENSM_IJSG_SG_EEES6_PlJS6_EEE10hipError_tPvRmT3_T4_T5_T6_T7_T9_mT8_P12ihipStream_tbDpT10_ENKUlT_T0_E_clISt17integral_constantIbLb0EES1A_IbLb1EEEEDaS16_S17_EUlS16_E_NS1_11comp_targetILNS1_3genE0ELNS1_11target_archE4294967295ELNS1_3gpuE0ELNS1_3repE0EEENS1_30default_config_static_selectorELNS0_4arch9wavefront6targetE1EEEvT1_, .Lfunc_end2899-_ZN7rocprim17ROCPRIM_400000_NS6detail17trampoline_kernelINS0_14default_configENS1_25partition_config_selectorILNS1_17partition_subalgoE1EyNS0_10empty_typeEbEEZZNS1_14partition_implILS5_1ELb0ES3_jN6thrust23THRUST_200600_302600_NS6detail15normal_iteratorINSA_10device_ptrIyEEEEPS6_NSA_18transform_iteratorI7is_evenIyESF_NSA_11use_defaultESK_EENS0_5tupleIJNSA_16discard_iteratorISK_EESO_EEENSM_IJSG_SG_EEES6_PlJS6_EEE10hipError_tPvRmT3_T4_T5_T6_T7_T9_mT8_P12ihipStream_tbDpT10_ENKUlT_T0_E_clISt17integral_constantIbLb0EES1A_IbLb1EEEEDaS16_S17_EUlS16_E_NS1_11comp_targetILNS1_3genE0ELNS1_11target_archE4294967295ELNS1_3gpuE0ELNS1_3repE0EEENS1_30default_config_static_selectorELNS0_4arch9wavefront6targetE1EEEvT1_
                                        ; -- End function
	.section	.AMDGPU.csdata,"",@progbits
; Kernel info:
; codeLenInByte = 0
; NumSgprs: 6
; NumVgprs: 0
; NumAgprs: 0
; TotalNumVgprs: 0
; ScratchSize: 0
; MemoryBound: 0
; FloatMode: 240
; IeeeMode: 1
; LDSByteSize: 0 bytes/workgroup (compile time only)
; SGPRBlocks: 0
; VGPRBlocks: 0
; NumSGPRsForWavesPerEU: 6
; NumVGPRsForWavesPerEU: 1
; AccumOffset: 4
; Occupancy: 8
; WaveLimiterHint : 0
; COMPUTE_PGM_RSRC2:SCRATCH_EN: 0
; COMPUTE_PGM_RSRC2:USER_SGPR: 2
; COMPUTE_PGM_RSRC2:TRAP_HANDLER: 0
; COMPUTE_PGM_RSRC2:TGID_X_EN: 1
; COMPUTE_PGM_RSRC2:TGID_Y_EN: 0
; COMPUTE_PGM_RSRC2:TGID_Z_EN: 0
; COMPUTE_PGM_RSRC2:TIDIG_COMP_CNT: 0
; COMPUTE_PGM_RSRC3_GFX90A:ACCUM_OFFSET: 0
; COMPUTE_PGM_RSRC3_GFX90A:TG_SPLIT: 0
	.section	.text._ZN7rocprim17ROCPRIM_400000_NS6detail17trampoline_kernelINS0_14default_configENS1_25partition_config_selectorILNS1_17partition_subalgoE1EyNS0_10empty_typeEbEEZZNS1_14partition_implILS5_1ELb0ES3_jN6thrust23THRUST_200600_302600_NS6detail15normal_iteratorINSA_10device_ptrIyEEEEPS6_NSA_18transform_iteratorI7is_evenIyESF_NSA_11use_defaultESK_EENS0_5tupleIJNSA_16discard_iteratorISK_EESO_EEENSM_IJSG_SG_EEES6_PlJS6_EEE10hipError_tPvRmT3_T4_T5_T6_T7_T9_mT8_P12ihipStream_tbDpT10_ENKUlT_T0_E_clISt17integral_constantIbLb0EES1A_IbLb1EEEEDaS16_S17_EUlS16_E_NS1_11comp_targetILNS1_3genE5ELNS1_11target_archE942ELNS1_3gpuE9ELNS1_3repE0EEENS1_30default_config_static_selectorELNS0_4arch9wavefront6targetE1EEEvT1_,"axG",@progbits,_ZN7rocprim17ROCPRIM_400000_NS6detail17trampoline_kernelINS0_14default_configENS1_25partition_config_selectorILNS1_17partition_subalgoE1EyNS0_10empty_typeEbEEZZNS1_14partition_implILS5_1ELb0ES3_jN6thrust23THRUST_200600_302600_NS6detail15normal_iteratorINSA_10device_ptrIyEEEEPS6_NSA_18transform_iteratorI7is_evenIyESF_NSA_11use_defaultESK_EENS0_5tupleIJNSA_16discard_iteratorISK_EESO_EEENSM_IJSG_SG_EEES6_PlJS6_EEE10hipError_tPvRmT3_T4_T5_T6_T7_T9_mT8_P12ihipStream_tbDpT10_ENKUlT_T0_E_clISt17integral_constantIbLb0EES1A_IbLb1EEEEDaS16_S17_EUlS16_E_NS1_11comp_targetILNS1_3genE5ELNS1_11target_archE942ELNS1_3gpuE9ELNS1_3repE0EEENS1_30default_config_static_selectorELNS0_4arch9wavefront6targetE1EEEvT1_,comdat
	.protected	_ZN7rocprim17ROCPRIM_400000_NS6detail17trampoline_kernelINS0_14default_configENS1_25partition_config_selectorILNS1_17partition_subalgoE1EyNS0_10empty_typeEbEEZZNS1_14partition_implILS5_1ELb0ES3_jN6thrust23THRUST_200600_302600_NS6detail15normal_iteratorINSA_10device_ptrIyEEEEPS6_NSA_18transform_iteratorI7is_evenIyESF_NSA_11use_defaultESK_EENS0_5tupleIJNSA_16discard_iteratorISK_EESO_EEENSM_IJSG_SG_EEES6_PlJS6_EEE10hipError_tPvRmT3_T4_T5_T6_T7_T9_mT8_P12ihipStream_tbDpT10_ENKUlT_T0_E_clISt17integral_constantIbLb0EES1A_IbLb1EEEEDaS16_S17_EUlS16_E_NS1_11comp_targetILNS1_3genE5ELNS1_11target_archE942ELNS1_3gpuE9ELNS1_3repE0EEENS1_30default_config_static_selectorELNS0_4arch9wavefront6targetE1EEEvT1_ ; -- Begin function _ZN7rocprim17ROCPRIM_400000_NS6detail17trampoline_kernelINS0_14default_configENS1_25partition_config_selectorILNS1_17partition_subalgoE1EyNS0_10empty_typeEbEEZZNS1_14partition_implILS5_1ELb0ES3_jN6thrust23THRUST_200600_302600_NS6detail15normal_iteratorINSA_10device_ptrIyEEEEPS6_NSA_18transform_iteratorI7is_evenIyESF_NSA_11use_defaultESK_EENS0_5tupleIJNSA_16discard_iteratorISK_EESO_EEENSM_IJSG_SG_EEES6_PlJS6_EEE10hipError_tPvRmT3_T4_T5_T6_T7_T9_mT8_P12ihipStream_tbDpT10_ENKUlT_T0_E_clISt17integral_constantIbLb0EES1A_IbLb1EEEEDaS16_S17_EUlS16_E_NS1_11comp_targetILNS1_3genE5ELNS1_11target_archE942ELNS1_3gpuE9ELNS1_3repE0EEENS1_30default_config_static_selectorELNS0_4arch9wavefront6targetE1EEEvT1_
	.globl	_ZN7rocprim17ROCPRIM_400000_NS6detail17trampoline_kernelINS0_14default_configENS1_25partition_config_selectorILNS1_17partition_subalgoE1EyNS0_10empty_typeEbEEZZNS1_14partition_implILS5_1ELb0ES3_jN6thrust23THRUST_200600_302600_NS6detail15normal_iteratorINSA_10device_ptrIyEEEEPS6_NSA_18transform_iteratorI7is_evenIyESF_NSA_11use_defaultESK_EENS0_5tupleIJNSA_16discard_iteratorISK_EESO_EEENSM_IJSG_SG_EEES6_PlJS6_EEE10hipError_tPvRmT3_T4_T5_T6_T7_T9_mT8_P12ihipStream_tbDpT10_ENKUlT_T0_E_clISt17integral_constantIbLb0EES1A_IbLb1EEEEDaS16_S17_EUlS16_E_NS1_11comp_targetILNS1_3genE5ELNS1_11target_archE942ELNS1_3gpuE9ELNS1_3repE0EEENS1_30default_config_static_selectorELNS0_4arch9wavefront6targetE1EEEvT1_
	.p2align	8
	.type	_ZN7rocprim17ROCPRIM_400000_NS6detail17trampoline_kernelINS0_14default_configENS1_25partition_config_selectorILNS1_17partition_subalgoE1EyNS0_10empty_typeEbEEZZNS1_14partition_implILS5_1ELb0ES3_jN6thrust23THRUST_200600_302600_NS6detail15normal_iteratorINSA_10device_ptrIyEEEEPS6_NSA_18transform_iteratorI7is_evenIyESF_NSA_11use_defaultESK_EENS0_5tupleIJNSA_16discard_iteratorISK_EESO_EEENSM_IJSG_SG_EEES6_PlJS6_EEE10hipError_tPvRmT3_T4_T5_T6_T7_T9_mT8_P12ihipStream_tbDpT10_ENKUlT_T0_E_clISt17integral_constantIbLb0EES1A_IbLb1EEEEDaS16_S17_EUlS16_E_NS1_11comp_targetILNS1_3genE5ELNS1_11target_archE942ELNS1_3gpuE9ELNS1_3repE0EEENS1_30default_config_static_selectorELNS0_4arch9wavefront6targetE1EEEvT1_,@function
_ZN7rocprim17ROCPRIM_400000_NS6detail17trampoline_kernelINS0_14default_configENS1_25partition_config_selectorILNS1_17partition_subalgoE1EyNS0_10empty_typeEbEEZZNS1_14partition_implILS5_1ELb0ES3_jN6thrust23THRUST_200600_302600_NS6detail15normal_iteratorINSA_10device_ptrIyEEEEPS6_NSA_18transform_iteratorI7is_evenIyESF_NSA_11use_defaultESK_EENS0_5tupleIJNSA_16discard_iteratorISK_EESO_EEENSM_IJSG_SG_EEES6_PlJS6_EEE10hipError_tPvRmT3_T4_T5_T6_T7_T9_mT8_P12ihipStream_tbDpT10_ENKUlT_T0_E_clISt17integral_constantIbLb0EES1A_IbLb1EEEEDaS16_S17_EUlS16_E_NS1_11comp_targetILNS1_3genE5ELNS1_11target_archE942ELNS1_3gpuE9ELNS1_3repE0EEENS1_30default_config_static_selectorELNS0_4arch9wavefront6targetE1EEEvT1_: ; @_ZN7rocprim17ROCPRIM_400000_NS6detail17trampoline_kernelINS0_14default_configENS1_25partition_config_selectorILNS1_17partition_subalgoE1EyNS0_10empty_typeEbEEZZNS1_14partition_implILS5_1ELb0ES3_jN6thrust23THRUST_200600_302600_NS6detail15normal_iteratorINSA_10device_ptrIyEEEEPS6_NSA_18transform_iteratorI7is_evenIyESF_NSA_11use_defaultESK_EENS0_5tupleIJNSA_16discard_iteratorISK_EESO_EEENSM_IJSG_SG_EEES6_PlJS6_EEE10hipError_tPvRmT3_T4_T5_T6_T7_T9_mT8_P12ihipStream_tbDpT10_ENKUlT_T0_E_clISt17integral_constantIbLb0EES1A_IbLb1EEEEDaS16_S17_EUlS16_E_NS1_11comp_targetILNS1_3genE5ELNS1_11target_archE942ELNS1_3gpuE9ELNS1_3repE0EEENS1_30default_config_static_selectorELNS0_4arch9wavefront6targetE1EEEvT1_
; %bb.0:
	s_load_dwordx2 s[2:3], s[0:1], 0x20
	s_load_dwordx4 s[20:23], s[0:1], 0x60
	s_load_dwordx2 s[10:11], s[0:1], 0x70
	s_load_dwordx2 s[24:25], s[0:1], 0x80
	v_cmp_eq_u32_e64 s[18:19], 0, v0
	s_and_saveexec_b64 s[4:5], s[18:19]
	s_cbranch_execz .LBB2900_4
; %bb.1:
	s_mov_b64 s[8:9], exec
	v_mbcnt_lo_u32_b32 v1, s8, 0
	v_mbcnt_hi_u32_b32 v1, s9, v1
	v_cmp_eq_u32_e32 vcc, 0, v1
                                        ; implicit-def: $vgpr2
	s_and_saveexec_b64 s[6:7], vcc
	s_cbranch_execz .LBB2900_3
; %bb.2:
	s_load_dwordx2 s[12:13], s[0:1], 0x90
	s_bcnt1_i32_b64 s8, s[8:9]
	v_mov_b32_e32 v2, 0
	v_mov_b32_e32 v3, s8
	s_waitcnt lgkmcnt(0)
	global_atomic_add v2, v2, v3, s[12:13] sc0
.LBB2900_3:
	s_or_b64 exec, exec, s[6:7]
	s_waitcnt vmcnt(0)
	v_readfirstlane_b32 s6, v2
	v_mov_b32_e32 v2, 0
	s_nop 0
	v_add_u32_e32 v1, s6, v1
	ds_write_b32 v2, v1
.LBB2900_4:
	s_or_b64 exec, exec, s[4:5]
	v_mov_b32_e32 v3, 0
	s_load_dwordx4 s[4:7], s[0:1], 0x8
	s_load_dword s12, s[0:1], 0x88
	s_waitcnt lgkmcnt(0)
	s_barrier
	ds_read_b32 v1, v3
	s_waitcnt lgkmcnt(0)
	s_barrier
	global_load_dwordx2 v[18:19], v3, s[22:23]
	s_lshl_b64 s[8:9], s[6:7], 3
	v_mov_b32_e32 v5, s11
	s_add_u32 s11, s4, s8
	s_mul_i32 s4, s12, 0xe00
	s_addc_u32 s13, s5, s9
	s_add_i32 s1, s4, s6
	s_sub_i32 s14, s10, s1
	s_add_i32 s15, s12, -1
	s_addk_i32 s14, 0xe00
	s_add_u32 s4, s6, s4
	v_readfirstlane_b32 s30, v1
	s_addc_u32 s5, s7, 0
	s_cmp_eq_u32 s30, s15
	v_mov_b32_e32 v4, s10
	s_cselect_b64 s[22:23], -1, 0
	s_cmp_lg_u32 s30, s15
	s_mul_i32 s0, s30, 0xe00
	s_mov_b32 s1, 0
	v_cmp_lt_u64_e32 vcc, s[4:5], v[4:5]
	s_cselect_b64 s[4:5], -1, 0
	s_or_b64 s[4:5], vcc, s[4:5]
	s_lshl_b64 s[6:7], s[0:1], 3
	s_add_u32 s10, s11, s6
	s_addc_u32 s11, s13, s7
	s_mov_b64 s[0:1], -1
	s_and_b64 vcc, exec, s[4:5]
	s_cbranch_vccz .LBB2900_6
; %bb.5:
	v_lshlrev_b32_e32 v2, 3, v0
	v_lshl_add_u64 v[4:5], s[10:11], 0, v[2:3]
	v_add_co_u32_e32 v6, vcc, 0x1000, v4
	s_mov_b64 s[0:1], 0
	s_nop 0
	v_addc_co_u32_e32 v7, vcc, 0, v5, vcc
	v_add_co_u32_e32 v8, vcc, 0x2000, v4
	s_nop 1
	v_addc_co_u32_e32 v9, vcc, 0, v5, vcc
	v_add_co_u32_e32 v10, vcc, 0x3000, v4
	s_nop 1
	v_addc_co_u32_e32 v11, vcc, 0, v5, vcc
	flat_load_dwordx2 v[12:13], v[4:5]
	flat_load_dwordx2 v[14:15], v[6:7]
	flat_load_dwordx2 v[16:17], v[8:9]
	flat_load_dwordx2 v[20:21], v[10:11]
	v_add_co_u32_e32 v6, vcc, 0x4000, v4
	s_nop 1
	v_addc_co_u32_e32 v7, vcc, 0, v5, vcc
	v_add_co_u32_e32 v8, vcc, 0x5000, v4
	s_nop 1
	v_addc_co_u32_e32 v9, vcc, 0, v5, vcc
	;; [unrolled: 3-line block ×3, first 2 shown]
	flat_load_dwordx2 v[10:11], v[6:7]
	flat_load_dwordx2 v[22:23], v[8:9]
	flat_load_dwordx2 v[24:25], v[4:5]
	s_waitcnt vmcnt(0) lgkmcnt(0)
	ds_write2st64_b64 v2, v[12:13], v[14:15] offset1:8
	ds_write2st64_b64 v2, v[16:17], v[20:21] offset0:16 offset1:24
	ds_write2st64_b64 v2, v[10:11], v[22:23] offset0:32 offset1:40
	ds_write_b64 v2, v[24:25] offset:24576
	s_waitcnt lgkmcnt(0)
	s_barrier
.LBB2900_6:
	s_andn2_b64 vcc, exec, s[0:1]
	v_cmp_gt_u32_e64 s[0:1], s14, v0
	s_cbranch_vccnz .LBB2900_22
; %bb.7:
                                        ; implicit-def: $vgpr2_vgpr3_vgpr4_vgpr5_vgpr6_vgpr7_vgpr8_vgpr9_vgpr10_vgpr11_vgpr12_vgpr13_vgpr14_vgpr15_vgpr16_vgpr17
	s_and_saveexec_b64 s[12:13], s[0:1]
	s_cbranch_execz .LBB2900_9
; %bb.8:
	v_lshlrev_b32_e32 v2, 3, v0
	v_mov_b32_e32 v3, 0
	v_lshl_add_u64 v[2:3], s[10:11], 0, v[2:3]
	flat_load_dwordx2 v[2:3], v[2:3]
.LBB2900_9:
	s_or_b64 exec, exec, s[12:13]
	v_or_b32_e32 v1, 0x200, v0
	v_cmp_gt_u32_e32 vcc, s14, v1
	s_and_saveexec_b64 s[0:1], vcc
	s_cbranch_execz .LBB2900_11
; %bb.10:
	v_lshlrev_b32_e32 v4, 3, v1
	v_mov_b32_e32 v5, 0
	v_lshl_add_u64 v[4:5], s[10:11], 0, v[4:5]
	flat_load_dwordx2 v[4:5], v[4:5]
.LBB2900_11:
	s_or_b64 exec, exec, s[0:1]
	v_or_b32_e32 v1, 0x400, v0
	v_cmp_gt_u32_e32 vcc, s14, v1
	s_and_saveexec_b64 s[0:1], vcc
	;; [unrolled: 11-line block ×6, first 2 shown]
	s_cbranch_execz .LBB2900_21
; %bb.20:
	v_lshlrev_b32_e32 v14, 3, v1
	v_mov_b32_e32 v15, 0
	v_lshl_add_u64 v[14:15], s[10:11], 0, v[14:15]
	flat_load_dwordx2 v[14:15], v[14:15]
.LBB2900_21:
	s_or_b64 exec, exec, s[0:1]
	v_lshlrev_b32_e32 v1, 3, v0
	s_waitcnt vmcnt(0) lgkmcnt(0)
	ds_write2st64_b64 v1, v[2:3], v[4:5] offset1:8
	ds_write2st64_b64 v1, v[6:7], v[8:9] offset0:16 offset1:24
	ds_write2st64_b64 v1, v[10:11], v[12:13] offset0:32 offset1:40
	ds_write_b64 v1, v[14:15] offset:24576
	s_waitcnt lgkmcnt(0)
	s_barrier
.LBB2900_22:
	v_mul_u32_u24_e32 v1, 7, v0
	v_lshlrev_b32_e32 v16, 3, v1
	ds_read2_b64 v[10:13], v16 offset1:1
	ds_read2_b64 v[6:9], v16 offset0:2 offset1:3
	ds_read2_b64 v[2:5], v16 offset0:4 offset1:5
	ds_read_b64 v[14:15], v16 offset:48
	s_add_u32 s0, s2, s8
	s_addc_u32 s1, s3, s9
	s_add_u32 s0, s0, s6
	s_addc_u32 s1, s1, s7
	s_mov_b64 s[2:3], -1
	s_and_b64 vcc, exec, s[4:5]
	s_waitcnt lgkmcnt(0)
	s_barrier
	s_cbranch_vccz .LBB2900_24
; %bb.23:
	v_lshlrev_b32_e32 v20, 3, v0
	v_mov_b32_e32 v21, 0
	v_lshl_add_u64 v[22:23], s[0:1], 0, v[20:21]
	v_add_co_u32_e32 v24, vcc, 0x1000, v22
	global_load_dwordx2 v[20:21], v20, s[0:1]
	s_nop 0
	v_addc_co_u32_e32 v25, vcc, 0, v23, vcc
	v_add_co_u32_e32 v26, vcc, 0x2000, v22
	s_mov_b64 s[2:3], 0
	s_nop 0
	v_addc_co_u32_e32 v27, vcc, 0, v23, vcc
	v_add_co_u32_e32 v28, vcc, 0x3000, v22
	s_waitcnt vmcnt(0)
	v_xor_b32_e32 v17, -1, v20
	v_addc_co_u32_e32 v29, vcc, 0, v23, vcc
	v_add_co_u32_e32 v30, vcc, 0x4000, v22
	v_and_b32_e32 v17, 1, v17
	s_nop 0
	v_addc_co_u32_e32 v31, vcc, 0, v23, vcc
	global_load_dwordx2 v[32:33], v[24:25], off
	global_load_dwordx2 v[34:35], v[26:27], off
	;; [unrolled: 1-line block ×4, first 2 shown]
	v_add_co_u32_e32 v24, vcc, 0x5000, v22
	ds_write_b8 v0, v17
	s_nop 0
	v_addc_co_u32_e32 v25, vcc, 0, v23, vcc
	v_add_co_u32_e32 v22, vcc, 0x6000, v22
	global_load_dwordx2 v[24:25], v[24:25], off
	s_nop 0
	v_addc_co_u32_e32 v23, vcc, 0, v23, vcc
	global_load_dwordx2 v[22:23], v[22:23], off
	s_waitcnt vmcnt(5)
	v_xor_b32_e32 v17, -1, v32
	v_and_b32_e32 v17, 1, v17
	s_waitcnt vmcnt(4)
	v_xor_b32_e32 v20, -1, v34
	s_waitcnt vmcnt(3)
	v_xor_b32_e32 v21, -1, v36
	v_and_b32_e32 v20, 1, v20
	ds_write_b8 v0, v17 offset:512
	v_and_b32_e32 v17, 1, v21
	s_waitcnt vmcnt(2)
	v_xor_b32_e32 v21, -1, v38
	ds_write_b8 v0, v20 offset:1024
	v_and_b32_e32 v20, 1, v21
	ds_write_b8 v0, v17 offset:1536
	s_waitcnt vmcnt(1)
	v_xor_b32_e32 v21, -1, v24
	v_and_b32_e32 v17, 1, v21
	ds_write_b8 v0, v20 offset:2048
	s_waitcnt vmcnt(0)
	v_xor_b32_e32 v21, -1, v22
	v_and_b32_e32 v20, 1, v21
	ds_write_b8 v0, v17 offset:2560
	ds_write_b8 v0, v20 offset:3072
	s_waitcnt lgkmcnt(0)
	s_barrier
.LBB2900_24:
	s_andn2_b64 vcc, exec, s[2:3]
	s_cbranch_vccnz .LBB2900_40
; %bb.25:
	v_cmp_gt_u32_e32 vcc, s14, v0
	v_mov_b32_e32 v17, 0
	v_mov_b32_e32 v20, 0
	s_and_saveexec_b64 s[2:3], vcc
	s_cbranch_execz .LBB2900_27
; %bb.26:
	v_lshlrev_b32_e32 v20, 3, v0
	global_load_dwordx2 v[20:21], v20, s[0:1]
	s_waitcnt vmcnt(0)
	v_xor_b32_e32 v20, -1, v20
	v_and_b32_e32 v20, 1, v20
.LBB2900_27:
	s_or_b64 exec, exec, s[2:3]
	v_or_b32_e32 v21, 0x200, v0
	v_cmp_gt_u32_e32 vcc, s14, v21
	s_and_saveexec_b64 s[2:3], vcc
	s_cbranch_execz .LBB2900_29
; %bb.28:
	v_lshlrev_b32_e32 v17, 3, v21
	global_load_dwordx2 v[22:23], v17, s[0:1]
	s_waitcnt vmcnt(0)
	v_xor_b32_e32 v17, -1, v22
	v_and_b32_e32 v17, 1, v17
.LBB2900_29:
	s_or_b64 exec, exec, s[2:3]
	v_or_b32_e32 v23, 0x400, v0
	v_cmp_gt_u32_e32 vcc, s14, v23
	v_mov_b32_e32 v21, 0
	v_mov_b32_e32 v22, 0
	s_and_saveexec_b64 s[2:3], vcc
	s_cbranch_execz .LBB2900_31
; %bb.30:
	v_lshlrev_b32_e32 v22, 3, v23
	global_load_dwordx2 v[22:23], v22, s[0:1]
	s_waitcnt vmcnt(0)
	v_xor_b32_e32 v22, -1, v22
	v_and_b32_e32 v22, 1, v22
.LBB2900_31:
	s_or_b64 exec, exec, s[2:3]
	v_or_b32_e32 v23, 0x600, v0
	v_cmp_gt_u32_e32 vcc, s14, v23
	s_and_saveexec_b64 s[2:3], vcc
	s_cbranch_execz .LBB2900_33
; %bb.32:
	v_lshlrev_b32_e32 v21, 3, v23
	global_load_dwordx2 v[24:25], v21, s[0:1]
	s_waitcnt vmcnt(0)
	v_xor_b32_e32 v21, -1, v24
	v_and_b32_e32 v21, 1, v21
.LBB2900_33:
	s_or_b64 exec, exec, s[2:3]
	v_or_b32_e32 v25, 0x800, v0
	;; [unrolled: 26-line block ×3, first 2 shown]
	v_cmp_gt_u32_e32 vcc, s14, v26
	v_mov_b32_e32 v25, 0
	s_and_saveexec_b64 s[2:3], vcc
	s_cbranch_execz .LBB2900_39
; %bb.38:
	v_lshlrev_b32_e32 v25, 3, v26
	global_load_dwordx2 v[26:27], v25, s[0:1]
	s_waitcnt vmcnt(0)
	v_xor_b32_e32 v25, -1, v26
	v_and_b32_e32 v25, 1, v25
.LBB2900_39:
	s_or_b64 exec, exec, s[2:3]
	ds_write_b8 v0, v20
	ds_write_b8 v0, v17 offset:512
	ds_write_b8 v0, v22 offset:1024
	;; [unrolled: 1-line block ×6, first 2 shown]
	s_waitcnt lgkmcnt(0)
	s_barrier
.LBB2900_40:
	s_movk_i32 s0, 0xffcf
	v_mad_i32_i24 v36, v0, s0, v16
	ds_read_u8 v16, v36
	ds_read_u8 v17, v36 offset:1
	ds_read_u8 v20, v36 offset:2
	;; [unrolled: 1-line block ×6, first 2 shown]
	s_waitcnt lgkmcnt(6)
	v_and_b32_e32 v34, 1, v16
	s_waitcnt lgkmcnt(5)
	v_and_b32_e32 v33, 1, v17
	;; [unrolled: 2-line block ×5, first 2 shown]
	v_add3_u32 v16, v33, v34, v32
	s_waitcnt lgkmcnt(1)
	v_and_b32_e32 v29, 1, v23
	s_waitcnt lgkmcnt(0)
	v_and_b32_e32 v28, 1, v24
	v_add3_u32 v16, v16, v31, v30
	v_add3_u32 v38, v16, v29, v28
	v_mbcnt_lo_u32_b32 v16, -1, 0
	v_mbcnt_hi_u32_b32 v35, -1, v16
	v_and_b32_e32 v16, 15, v35
	v_cmp_eq_u32_e64 s[14:15], 0, v16
	v_cmp_lt_u32_e64 s[12:13], 1, v16
	v_cmp_lt_u32_e64 s[10:11], 3, v16
	;; [unrolled: 1-line block ×3, first 2 shown]
	v_and_b32_e32 v16, 16, v35
	v_cmp_eq_u32_e64 s[6:7], 0, v16
	v_or_b32_e32 v16, 63, v0
	s_cmp_lg_u32 s30, 0
	v_cmp_lt_u32_e64 s[2:3], 31, v35
	v_lshrrev_b32_e32 v37, 6, v0
	v_cmp_eq_u32_e64 s[4:5], v16, v0
	s_barrier
	s_cbranch_scc0 .LBB2900_67
; %bb.41:
	v_mov_b32_dpp v16, v38 row_shr:1 row_mask:0xf bank_mask:0xf
	v_cndmask_b32_e64 v16, v16, 0, s[14:15]
	v_add_u32_e32 v16, v16, v38
	s_nop 1
	v_mov_b32_dpp v17, v16 row_shr:2 row_mask:0xf bank_mask:0xf
	v_cndmask_b32_e64 v17, 0, v17, s[12:13]
	v_add_u32_e32 v16, v16, v17
	s_nop 1
	;; [unrolled: 4-line block ×4, first 2 shown]
	v_mov_b32_dpp v17, v16 row_bcast:15 row_mask:0xf bank_mask:0xf
	v_cndmask_b32_e64 v17, v17, 0, s[6:7]
	v_add_u32_e32 v16, v16, v17
	s_nop 1
	v_mov_b32_dpp v17, v16 row_bcast:31 row_mask:0xf bank_mask:0xf
	v_cndmask_b32_e64 v17, 0, v17, s[2:3]
	v_add_u32_e32 v16, v16, v17
	s_and_saveexec_b64 s[0:1], s[4:5]
	s_cbranch_execz .LBB2900_43
; %bb.42:
	v_lshlrev_b32_e32 v17, 2, v37
	ds_write_b32 v17, v16
.LBB2900_43:
	s_or_b64 exec, exec, s[0:1]
	v_cmp_gt_u32_e32 vcc, 8, v0
	s_waitcnt lgkmcnt(0)
	s_barrier
	s_and_saveexec_b64 s[0:1], vcc
	s_cbranch_execz .LBB2900_45
; %bb.44:
	v_lshlrev_b32_e32 v17, 2, v0
	ds_read_b32 v20, v17
	v_and_b32_e32 v21, 7, v35
	v_cmp_ne_u32_e32 vcc, 0, v21
	s_waitcnt lgkmcnt(0)
	v_mov_b32_dpp v22, v20 row_shr:1 row_mask:0xf bank_mask:0xf
	v_cndmask_b32_e32 v22, 0, v22, vcc
	v_add_u32_e32 v20, v22, v20
	v_cmp_lt_u32_e32 vcc, 1, v21
	s_nop 0
	v_mov_b32_dpp v22, v20 row_shr:2 row_mask:0xf bank_mask:0xf
	v_cndmask_b32_e32 v22, 0, v22, vcc
	v_add_u32_e32 v20, v20, v22
	v_cmp_lt_u32_e32 vcc, 3, v21
	s_nop 0
	v_mov_b32_dpp v22, v20 row_shr:4 row_mask:0xf bank_mask:0xf
	v_cndmask_b32_e32 v21, 0, v22, vcc
	v_add_u32_e32 v20, v20, v21
	ds_write_b32 v17, v20
.LBB2900_45:
	s_or_b64 exec, exec, s[0:1]
	v_cmp_gt_u32_e32 vcc, 64, v0
	v_cmp_lt_u32_e64 s[0:1], 63, v0
	s_waitcnt lgkmcnt(0)
	s_barrier
	s_waitcnt lgkmcnt(0)
                                        ; implicit-def: $vgpr39
	s_and_saveexec_b64 s[16:17], s[0:1]
	s_cbranch_execz .LBB2900_47
; %bb.46:
	v_lshl_add_u32 v17, v37, 2, -4
	ds_read_b32 v39, v17
	s_waitcnt lgkmcnt(0)
	v_add_u32_e32 v16, v39, v16
.LBB2900_47:
	s_or_b64 exec, exec, s[16:17]
	v_add_u32_e32 v17, -1, v35
	v_and_b32_e32 v20, 64, v35
	v_cmp_lt_i32_e64 s[0:1], v17, v20
	v_cmp_eq_u32_e64 s[16:17], 0, v35
	s_nop 0
	v_cndmask_b32_e64 v17, v17, v35, s[0:1]
	v_lshlrev_b32_e32 v17, 2, v17
	ds_bpermute_b32 v40, v17, v16
	s_and_saveexec_b64 s[0:1], vcc
	s_cbranch_execz .LBB2900_66
; %bb.48:
	v_mov_b32_e32 v25, 0
	ds_read_b32 v16, v25 offset:28
	s_and_saveexec_b64 s[26:27], s[16:17]
	s_cbranch_execz .LBB2900_50
; %bb.49:
	s_add_i32 s28, s30, 64
	s_mov_b32 s29, 0
	s_lshl_b64 s[28:29], s[28:29], 3
	s_add_u32 s28, s24, s28
	v_mov_b32_e32 v17, 1
	s_addc_u32 s29, s25, s29
	s_waitcnt lgkmcnt(0)
	global_store_dwordx2 v25, v[16:17], s[28:29] sc1
.LBB2900_50:
	s_or_b64 exec, exec, s[26:27]
	v_xad_u32 v20, v35, -1, s30
	v_add_u32_e32 v24, 64, v20
	v_lshl_add_u64 v[26:27], v[24:25], 3, s[24:25]
	global_load_dwordx2 v[22:23], v[26:27], off sc1
	s_waitcnt vmcnt(0)
	v_cmp_eq_u16_sdwa s[28:29], v23, v25 src0_sel:BYTE_0 src1_sel:DWORD
	s_and_saveexec_b64 s[26:27], s[28:29]
	s_cbranch_execz .LBB2900_54
; %bb.51:
	s_mov_b64 s[28:29], 0
	v_mov_b32_e32 v17, 0
.LBB2900_52:                            ; =>This Inner Loop Header: Depth=1
	global_load_dwordx2 v[22:23], v[26:27], off sc1
	s_waitcnt vmcnt(0)
	v_cmp_ne_u16_sdwa s[34:35], v23, v17 src0_sel:BYTE_0 src1_sel:DWORD
	s_or_b64 s[28:29], s[34:35], s[28:29]
	s_andn2_b64 exec, exec, s[28:29]
	s_cbranch_execnz .LBB2900_52
; %bb.53:
	s_or_b64 exec, exec, s[28:29]
.LBB2900_54:
	s_or_b64 exec, exec, s[26:27]
	v_and_b32_e32 v42, 63, v35
	v_mov_b32_e32 v41, 2
	v_cmp_ne_u32_e32 vcc, 63, v42
	v_cmp_eq_u16_sdwa s[26:27], v23, v41 src0_sel:BYTE_0 src1_sel:DWORD
	v_lshlrev_b64 v[24:25], v35, -1
	v_addc_co_u32_e32 v26, vcc, 0, v35, vcc
	v_and_b32_e32 v17, s27, v25
	v_lshlrev_b32_e32 v43, 2, v26
	v_or_b32_e32 v17, 0x80000000, v17
	ds_bpermute_b32 v26, v43, v22
	v_and_b32_e32 v21, s26, v24
	v_ffbl_b32_e32 v17, v17
	v_add_u32_e32 v17, 32, v17
	v_ffbl_b32_e32 v21, v21
	v_min_u32_e32 v17, v21, v17
	v_cmp_lt_u32_e32 vcc, v42, v17
	v_add_u32_e32 v45, 2, v42
	v_add_u32_e32 v47, 4, v42
	s_waitcnt lgkmcnt(0)
	v_cndmask_b32_e32 v21, 0, v26, vcc
	v_cmp_gt_u32_e32 vcc, 62, v42
	v_add_u32_e32 v21, v21, v22
	v_add_u32_e32 v49, 8, v42
	v_cndmask_b32_e64 v22, 0, 1, vcc
	v_lshlrev_b32_e32 v22, 1, v22
	v_add_lshl_u32 v44, v22, v35, 2
	ds_bpermute_b32 v22, v44, v21
	v_cmp_le_u32_e32 vcc, v45, v17
	v_add_u32_e32 v51, 16, v42
	v_add_u32_e32 v53, 32, v42
	s_waitcnt lgkmcnt(0)
	v_cndmask_b32_e32 v22, 0, v22, vcc
	v_cmp_gt_u32_e32 vcc, 60, v42
	v_add_u32_e32 v21, v21, v22
	s_nop 0
	v_cndmask_b32_e64 v22, 0, 1, vcc
	v_lshlrev_b32_e32 v22, 2, v22
	v_add_lshl_u32 v46, v22, v35, 2
	ds_bpermute_b32 v22, v46, v21
	v_cmp_le_u32_e32 vcc, v47, v17
	s_waitcnt lgkmcnt(0)
	s_nop 0
	v_cndmask_b32_e32 v22, 0, v22, vcc
	v_cmp_gt_u32_e32 vcc, 56, v42
	v_add_u32_e32 v21, v21, v22
	s_nop 0
	v_cndmask_b32_e64 v22, 0, 1, vcc
	v_lshlrev_b32_e32 v22, 3, v22
	v_add_lshl_u32 v48, v22, v35, 2
	ds_bpermute_b32 v22, v48, v21
	v_cmp_le_u32_e32 vcc, v49, v17
	s_waitcnt lgkmcnt(0)
	s_nop 0
	;; [unrolled: 11-line block ×4, first 2 shown]
	v_cndmask_b32_e32 v17, 0, v22, vcc
	v_add_u32_e32 v22, v21, v17
	v_mov_b32_e32 v21, 0
	s_branch .LBB2900_56
.LBB2900_55:                            ;   in Loop: Header=BB2900_56 Depth=1
	s_or_b64 exec, exec, s[26:27]
	v_cmp_eq_u16_sdwa s[26:27], v23, v41 src0_sel:BYTE_0 src1_sel:DWORD
	ds_bpermute_b32 v54, v43, v22
	v_subrev_u32_e32 v20, 64, v20
	v_and_b32_e32 v26, s27, v25
	v_or_b32_e32 v26, 0x80000000, v26
	v_and_b32_e32 v27, s26, v24
	v_ffbl_b32_e32 v26, v26
	v_add_u32_e32 v26, 32, v26
	v_ffbl_b32_e32 v27, v27
	v_min_u32_e32 v26, v27, v26
	v_cmp_lt_u32_e32 vcc, v42, v26
	s_waitcnt lgkmcnt(0)
	s_nop 0
	v_cndmask_b32_e32 v27, 0, v54, vcc
	v_add_u32_e32 v22, v27, v22
	ds_bpermute_b32 v27, v44, v22
	v_cmp_le_u32_e32 vcc, v45, v26
	s_waitcnt lgkmcnt(0)
	s_nop 0
	v_cndmask_b32_e32 v27, 0, v27, vcc
	v_add_u32_e32 v22, v22, v27
	ds_bpermute_b32 v27, v46, v22
	v_cmp_le_u32_e32 vcc, v47, v26
	;; [unrolled: 6-line block ×5, first 2 shown]
	s_waitcnt lgkmcnt(0)
	s_nop 0
	v_cndmask_b32_e32 v26, 0, v27, vcc
	v_add3_u32 v22, v26, v17, v22
.LBB2900_56:                            ; =>This Loop Header: Depth=1
                                        ;     Child Loop BB2900_59 Depth 2
	v_cmp_ne_u16_sdwa s[26:27], v23, v41 src0_sel:BYTE_0 src1_sel:DWORD
	s_nop 1
	v_cndmask_b32_e64 v17, 0, 1, s[26:27]
	;;#ASMSTART
	;;#ASMEND
	s_nop 0
	v_cmp_ne_u32_e32 vcc, 0, v17
	s_cmp_lg_u64 vcc, exec
	v_mov_b32_e32 v17, v22
	s_cbranch_scc1 .LBB2900_61
; %bb.57:                               ;   in Loop: Header=BB2900_56 Depth=1
	v_lshl_add_u64 v[26:27], v[20:21], 3, s[24:25]
	global_load_dwordx2 v[22:23], v[26:27], off sc1
	s_waitcnt vmcnt(0)
	v_cmp_eq_u16_sdwa s[28:29], v23, v21 src0_sel:BYTE_0 src1_sel:DWORD
	s_and_saveexec_b64 s[26:27], s[28:29]
	s_cbranch_execz .LBB2900_55
; %bb.58:                               ;   in Loop: Header=BB2900_56 Depth=1
	s_mov_b64 s[28:29], 0
.LBB2900_59:                            ;   Parent Loop BB2900_56 Depth=1
                                        ; =>  This Inner Loop Header: Depth=2
	global_load_dwordx2 v[22:23], v[26:27], off sc1
	s_waitcnt vmcnt(0)
	v_cmp_ne_u16_sdwa s[34:35], v23, v21 src0_sel:BYTE_0 src1_sel:DWORD
	s_or_b64 s[28:29], s[34:35], s[28:29]
	s_andn2_b64 exec, exec, s[28:29]
	s_cbranch_execnz .LBB2900_59
; %bb.60:                               ;   in Loop: Header=BB2900_56 Depth=1
	s_or_b64 exec, exec, s[28:29]
	s_branch .LBB2900_55
.LBB2900_61:                            ;   in Loop: Header=BB2900_56 Depth=1
                                        ; implicit-def: $vgpr22
                                        ; implicit-def: $vgpr23
	s_cbranch_execz .LBB2900_56
; %bb.62:
	s_and_saveexec_b64 s[26:27], s[16:17]
	s_cbranch_execz .LBB2900_64
; %bb.63:
	s_add_i32 s28, s30, 64
	s_mov_b32 s29, 0
	s_lshl_b64 s[28:29], s[28:29], 3
	s_add_u32 s28, s24, s28
	v_add_u32_e32 v20, v17, v16
	v_mov_b32_e32 v21, 2
	s_addc_u32 s29, s25, s29
	v_mov_b32_e32 v22, 0
	global_store_dwordx2 v22, v[20:21], s[28:29] sc1
	ds_write_b64 v22, v[16:17] offset:28672
.LBB2900_64:
	s_or_b64 exec, exec, s[26:27]
	s_and_b64 exec, exec, s[18:19]
	s_cbranch_execz .LBB2900_66
; %bb.65:
	v_mov_b32_e32 v16, 0
	ds_write_b32 v16, v17 offset:28
.LBB2900_66:
	s_or_b64 exec, exec, s[0:1]
	v_mov_b32_e32 v16, 0
	s_waitcnt lgkmcnt(0)
	s_barrier
	ds_read_b32 v17, v16 offset:28
	v_cndmask_b32_e64 v20, v40, v39, s[16:17]
	v_cndmask_b32_e64 v20, v20, 0, s[18:19]
	s_waitcnt lgkmcnt(0)
	s_barrier
	v_add_u32_e32 v26, v17, v20
	v_add_u32_e32 v25, v26, v34
	;; [unrolled: 1-line block ×3, first 2 shown]
	ds_read_b64 v[16:17], v16 offset:28672
	v_add_u32_e32 v22, v24, v32
	v_add_u32_e32 v23, v22, v31
	v_add_u32_e32 v21, v23, v30
	v_add_u32_e32 v20, v21, v29
	s_branch .LBB2900_77
.LBB2900_67:
                                        ; implicit-def: $vgpr17
                                        ; implicit-def: $vgpr20
                                        ; implicit-def: $vgpr21
                                        ; implicit-def: $vgpr23
                                        ; implicit-def: $vgpr22
                                        ; implicit-def: $vgpr24
                                        ; implicit-def: $vgpr25
                                        ; implicit-def: $vgpr26
	s_cbranch_execz .LBB2900_77
; %bb.68:
	s_waitcnt lgkmcnt(0)
	v_mov_b32_dpp v16, v38 row_shr:1 row_mask:0xf bank_mask:0xf
	v_cndmask_b32_e64 v16, v16, 0, s[14:15]
	v_add_u32_e32 v16, v16, v38
	s_nop 1
	v_mov_b32_dpp v17, v16 row_shr:2 row_mask:0xf bank_mask:0xf
	v_cndmask_b32_e64 v17, 0, v17, s[12:13]
	v_add_u32_e32 v16, v16, v17
	s_nop 1
	;; [unrolled: 4-line block ×4, first 2 shown]
	v_mov_b32_dpp v17, v16 row_bcast:15 row_mask:0xf bank_mask:0xf
	v_cndmask_b32_e64 v17, v17, 0, s[6:7]
	v_add_u32_e32 v16, v16, v17
	s_nop 1
	v_mov_b32_dpp v17, v16 row_bcast:31 row_mask:0xf bank_mask:0xf
	v_cndmask_b32_e64 v17, 0, v17, s[2:3]
	v_add_u32_e32 v16, v16, v17
	s_and_saveexec_b64 s[0:1], s[4:5]
	s_cbranch_execz .LBB2900_70
; %bb.69:
	v_lshlrev_b32_e32 v17, 2, v37
	ds_write_b32 v17, v16
.LBB2900_70:
	s_or_b64 exec, exec, s[0:1]
	v_cmp_gt_u32_e32 vcc, 8, v0
	s_waitcnt lgkmcnt(0)
	s_barrier
	s_and_saveexec_b64 s[0:1], vcc
	s_cbranch_execz .LBB2900_72
; %bb.71:
	v_mad_i32_i24 v17, v0, -3, v36
	ds_read_b32 v20, v17
	v_and_b32_e32 v21, 7, v35
	v_cmp_ne_u32_e32 vcc, 0, v21
	s_waitcnt lgkmcnt(0)
	v_mov_b32_dpp v22, v20 row_shr:1 row_mask:0xf bank_mask:0xf
	v_cndmask_b32_e32 v22, 0, v22, vcc
	v_add_u32_e32 v20, v22, v20
	v_cmp_lt_u32_e32 vcc, 1, v21
	s_nop 0
	v_mov_b32_dpp v22, v20 row_shr:2 row_mask:0xf bank_mask:0xf
	v_cndmask_b32_e32 v22, 0, v22, vcc
	v_add_u32_e32 v20, v20, v22
	v_cmp_lt_u32_e32 vcc, 3, v21
	s_nop 0
	v_mov_b32_dpp v22, v20 row_shr:4 row_mask:0xf bank_mask:0xf
	v_cndmask_b32_e32 v21, 0, v22, vcc
	v_add_u32_e32 v20, v20, v21
	ds_write_b32 v17, v20
.LBB2900_72:
	s_or_b64 exec, exec, s[0:1]
	v_cmp_lt_u32_e32 vcc, 63, v0
	v_mov_b32_e32 v17, 0
	v_mov_b32_e32 v0, 0
	s_waitcnt lgkmcnt(0)
	s_barrier
	s_and_saveexec_b64 s[0:1], vcc
	s_cbranch_execz .LBB2900_74
; %bb.73:
	v_lshl_add_u32 v0, v37, 2, -4
	ds_read_b32 v0, v0
.LBB2900_74:
	s_or_b64 exec, exec, s[0:1]
	v_add_u32_e32 v20, -1, v35
	v_and_b32_e32 v21, 64, v35
	v_cmp_lt_i32_e32 vcc, v20, v21
	s_waitcnt lgkmcnt(0)
	v_add_u32_e32 v16, v0, v16
	v_cndmask_b32_e32 v20, v20, v35, vcc
	v_lshlrev_b32_e32 v20, 2, v20
	ds_bpermute_b32 v20, v20, v16
	ds_read_b32 v16, v17 offset:28
	s_and_saveexec_b64 s[0:1], s[18:19]
	s_cbranch_execz .LBB2900_76
; %bb.75:
	v_mov_b32_e32 v21, 0
	v_mov_b32_e32 v17, 2
	s_waitcnt lgkmcnt(0)
	global_store_dwordx2 v21, v[16:17], s[24:25] offset:512 sc1
.LBB2900_76:
	s_or_b64 exec, exec, s[0:1]
	v_cmp_eq_u32_e32 vcc, 0, v35
	v_mov_b32_e32 v17, 0
	s_waitcnt lgkmcnt(0)
	v_cndmask_b32_e32 v0, v20, v0, vcc
	v_cndmask_b32_e64 v26, v0, 0, s[18:19]
	v_add_u32_e32 v25, v26, v34
	v_add_u32_e32 v24, v25, v33
	;; [unrolled: 1-line block ×6, first 2 shown]
	s_barrier
.LBB2900_77:
	s_waitcnt lgkmcnt(0)
	v_add_u32_e32 v0, v16, v1
	v_sub_u32_e32 v1, v26, v17
	v_sub_u32_e32 v26, v0, v1
	v_cmp_eq_u32_e32 vcc, 1, v34
	s_and_b64 s[0:1], s[18:19], s[22:23]
	s_nop 0
	v_cndmask_b32_e32 v1, v26, v1, vcc
	v_lshlrev_b32_e32 v1, 3, v1
	ds_write_b64 v1, v[10:11]
	v_sub_u32_e32 v1, v25, v17
	v_sub_u32_e32 v10, v0, v1
	v_add_u32_e32 v10, 1, v10
	v_cmp_eq_u32_e32 vcc, 1, v33
	s_nop 1
	v_cndmask_b32_e32 v1, v10, v1, vcc
	v_lshlrev_b32_e32 v1, 3, v1
	ds_write_b64 v1, v[12:13]
	v_sub_u32_e32 v1, v24, v17
	v_sub_u32_e32 v10, v0, v1
	v_add_u32_e32 v10, 2, v10
	v_cmp_eq_u32_e32 vcc, 1, v32
	;; [unrolled: 8-line block ×6, first 2 shown]
	s_nop 1
	v_cndmask_b32_e32 v0, v0, v1, vcc
	v_lshlrev_b32_e32 v0, 3, v0
	ds_write_b64 v0, v[14:15]
	s_waitcnt lgkmcnt(0)
	s_barrier
	s_and_saveexec_b64 s[2:3], s[0:1]
	s_cbranch_execz .LBB2900_79
; %bb.78:
	v_mov_b32_e32 v1, 0
	v_mov_b32_e32 v0, v16
	s_waitcnt vmcnt(0)
	v_lshl_add_u64 v[2:3], v[18:19], 0, v[0:1]
	v_mov_b32_e32 v0, v17
	v_lshl_add_u64 v[2:3], v[2:3], 0, v[0:1]
	global_store_dwordx2 v1, v[2:3], s[20:21]
.LBB2900_79:
	s_endpgm
	.section	.rodata,"a",@progbits
	.p2align	6, 0x0
	.amdhsa_kernel _ZN7rocprim17ROCPRIM_400000_NS6detail17trampoline_kernelINS0_14default_configENS1_25partition_config_selectorILNS1_17partition_subalgoE1EyNS0_10empty_typeEbEEZZNS1_14partition_implILS5_1ELb0ES3_jN6thrust23THRUST_200600_302600_NS6detail15normal_iteratorINSA_10device_ptrIyEEEEPS6_NSA_18transform_iteratorI7is_evenIyESF_NSA_11use_defaultESK_EENS0_5tupleIJNSA_16discard_iteratorISK_EESO_EEENSM_IJSG_SG_EEES6_PlJS6_EEE10hipError_tPvRmT3_T4_T5_T6_T7_T9_mT8_P12ihipStream_tbDpT10_ENKUlT_T0_E_clISt17integral_constantIbLb0EES1A_IbLb1EEEEDaS16_S17_EUlS16_E_NS1_11comp_targetILNS1_3genE5ELNS1_11target_archE942ELNS1_3gpuE9ELNS1_3repE0EEENS1_30default_config_static_selectorELNS0_4arch9wavefront6targetE1EEEvT1_
		.amdhsa_group_segment_fixed_size 28680
		.amdhsa_private_segment_fixed_size 0
		.amdhsa_kernarg_size 160
		.amdhsa_user_sgpr_count 2
		.amdhsa_user_sgpr_dispatch_ptr 0
		.amdhsa_user_sgpr_queue_ptr 0
		.amdhsa_user_sgpr_kernarg_segment_ptr 1
		.amdhsa_user_sgpr_dispatch_id 0
		.amdhsa_user_sgpr_kernarg_preload_length 0
		.amdhsa_user_sgpr_kernarg_preload_offset 0
		.amdhsa_user_sgpr_private_segment_size 0
		.amdhsa_uses_dynamic_stack 0
		.amdhsa_enable_private_segment 0
		.amdhsa_system_sgpr_workgroup_id_x 1
		.amdhsa_system_sgpr_workgroup_id_y 0
		.amdhsa_system_sgpr_workgroup_id_z 0
		.amdhsa_system_sgpr_workgroup_info 0
		.amdhsa_system_vgpr_workitem_id 0
		.amdhsa_next_free_vgpr 55
		.amdhsa_next_free_sgpr 36
		.amdhsa_accum_offset 56
		.amdhsa_reserve_vcc 1
		.amdhsa_float_round_mode_32 0
		.amdhsa_float_round_mode_16_64 0
		.amdhsa_float_denorm_mode_32 3
		.amdhsa_float_denorm_mode_16_64 3
		.amdhsa_dx10_clamp 1
		.amdhsa_ieee_mode 1
		.amdhsa_fp16_overflow 0
		.amdhsa_tg_split 0
		.amdhsa_exception_fp_ieee_invalid_op 0
		.amdhsa_exception_fp_denorm_src 0
		.amdhsa_exception_fp_ieee_div_zero 0
		.amdhsa_exception_fp_ieee_overflow 0
		.amdhsa_exception_fp_ieee_underflow 0
		.amdhsa_exception_fp_ieee_inexact 0
		.amdhsa_exception_int_div_zero 0
	.end_amdhsa_kernel
	.section	.text._ZN7rocprim17ROCPRIM_400000_NS6detail17trampoline_kernelINS0_14default_configENS1_25partition_config_selectorILNS1_17partition_subalgoE1EyNS0_10empty_typeEbEEZZNS1_14partition_implILS5_1ELb0ES3_jN6thrust23THRUST_200600_302600_NS6detail15normal_iteratorINSA_10device_ptrIyEEEEPS6_NSA_18transform_iteratorI7is_evenIyESF_NSA_11use_defaultESK_EENS0_5tupleIJNSA_16discard_iteratorISK_EESO_EEENSM_IJSG_SG_EEES6_PlJS6_EEE10hipError_tPvRmT3_T4_T5_T6_T7_T9_mT8_P12ihipStream_tbDpT10_ENKUlT_T0_E_clISt17integral_constantIbLb0EES1A_IbLb1EEEEDaS16_S17_EUlS16_E_NS1_11comp_targetILNS1_3genE5ELNS1_11target_archE942ELNS1_3gpuE9ELNS1_3repE0EEENS1_30default_config_static_selectorELNS0_4arch9wavefront6targetE1EEEvT1_,"axG",@progbits,_ZN7rocprim17ROCPRIM_400000_NS6detail17trampoline_kernelINS0_14default_configENS1_25partition_config_selectorILNS1_17partition_subalgoE1EyNS0_10empty_typeEbEEZZNS1_14partition_implILS5_1ELb0ES3_jN6thrust23THRUST_200600_302600_NS6detail15normal_iteratorINSA_10device_ptrIyEEEEPS6_NSA_18transform_iteratorI7is_evenIyESF_NSA_11use_defaultESK_EENS0_5tupleIJNSA_16discard_iteratorISK_EESO_EEENSM_IJSG_SG_EEES6_PlJS6_EEE10hipError_tPvRmT3_T4_T5_T6_T7_T9_mT8_P12ihipStream_tbDpT10_ENKUlT_T0_E_clISt17integral_constantIbLb0EES1A_IbLb1EEEEDaS16_S17_EUlS16_E_NS1_11comp_targetILNS1_3genE5ELNS1_11target_archE942ELNS1_3gpuE9ELNS1_3repE0EEENS1_30default_config_static_selectorELNS0_4arch9wavefront6targetE1EEEvT1_,comdat
.Lfunc_end2900:
	.size	_ZN7rocprim17ROCPRIM_400000_NS6detail17trampoline_kernelINS0_14default_configENS1_25partition_config_selectorILNS1_17partition_subalgoE1EyNS0_10empty_typeEbEEZZNS1_14partition_implILS5_1ELb0ES3_jN6thrust23THRUST_200600_302600_NS6detail15normal_iteratorINSA_10device_ptrIyEEEEPS6_NSA_18transform_iteratorI7is_evenIyESF_NSA_11use_defaultESK_EENS0_5tupleIJNSA_16discard_iteratorISK_EESO_EEENSM_IJSG_SG_EEES6_PlJS6_EEE10hipError_tPvRmT3_T4_T5_T6_T7_T9_mT8_P12ihipStream_tbDpT10_ENKUlT_T0_E_clISt17integral_constantIbLb0EES1A_IbLb1EEEEDaS16_S17_EUlS16_E_NS1_11comp_targetILNS1_3genE5ELNS1_11target_archE942ELNS1_3gpuE9ELNS1_3repE0EEENS1_30default_config_static_selectorELNS0_4arch9wavefront6targetE1EEEvT1_, .Lfunc_end2900-_ZN7rocprim17ROCPRIM_400000_NS6detail17trampoline_kernelINS0_14default_configENS1_25partition_config_selectorILNS1_17partition_subalgoE1EyNS0_10empty_typeEbEEZZNS1_14partition_implILS5_1ELb0ES3_jN6thrust23THRUST_200600_302600_NS6detail15normal_iteratorINSA_10device_ptrIyEEEEPS6_NSA_18transform_iteratorI7is_evenIyESF_NSA_11use_defaultESK_EENS0_5tupleIJNSA_16discard_iteratorISK_EESO_EEENSM_IJSG_SG_EEES6_PlJS6_EEE10hipError_tPvRmT3_T4_T5_T6_T7_T9_mT8_P12ihipStream_tbDpT10_ENKUlT_T0_E_clISt17integral_constantIbLb0EES1A_IbLb1EEEEDaS16_S17_EUlS16_E_NS1_11comp_targetILNS1_3genE5ELNS1_11target_archE942ELNS1_3gpuE9ELNS1_3repE0EEENS1_30default_config_static_selectorELNS0_4arch9wavefront6targetE1EEEvT1_
                                        ; -- End function
	.section	.AMDGPU.csdata,"",@progbits
; Kernel info:
; codeLenInByte = 4236
; NumSgprs: 42
; NumVgprs: 55
; NumAgprs: 0
; TotalNumVgprs: 55
; ScratchSize: 0
; MemoryBound: 0
; FloatMode: 240
; IeeeMode: 1
; LDSByteSize: 28680 bytes/workgroup (compile time only)
; SGPRBlocks: 5
; VGPRBlocks: 6
; NumSGPRsForWavesPerEU: 42
; NumVGPRsForWavesPerEU: 55
; AccumOffset: 56
; Occupancy: 4
; WaveLimiterHint : 1
; COMPUTE_PGM_RSRC2:SCRATCH_EN: 0
; COMPUTE_PGM_RSRC2:USER_SGPR: 2
; COMPUTE_PGM_RSRC2:TRAP_HANDLER: 0
; COMPUTE_PGM_RSRC2:TGID_X_EN: 1
; COMPUTE_PGM_RSRC2:TGID_Y_EN: 0
; COMPUTE_PGM_RSRC2:TGID_Z_EN: 0
; COMPUTE_PGM_RSRC2:TIDIG_COMP_CNT: 0
; COMPUTE_PGM_RSRC3_GFX90A:ACCUM_OFFSET: 13
; COMPUTE_PGM_RSRC3_GFX90A:TG_SPLIT: 0
	.section	.text._ZN7rocprim17ROCPRIM_400000_NS6detail17trampoline_kernelINS0_14default_configENS1_25partition_config_selectorILNS1_17partition_subalgoE1EyNS0_10empty_typeEbEEZZNS1_14partition_implILS5_1ELb0ES3_jN6thrust23THRUST_200600_302600_NS6detail15normal_iteratorINSA_10device_ptrIyEEEEPS6_NSA_18transform_iteratorI7is_evenIyESF_NSA_11use_defaultESK_EENS0_5tupleIJNSA_16discard_iteratorISK_EESO_EEENSM_IJSG_SG_EEES6_PlJS6_EEE10hipError_tPvRmT3_T4_T5_T6_T7_T9_mT8_P12ihipStream_tbDpT10_ENKUlT_T0_E_clISt17integral_constantIbLb0EES1A_IbLb1EEEEDaS16_S17_EUlS16_E_NS1_11comp_targetILNS1_3genE4ELNS1_11target_archE910ELNS1_3gpuE8ELNS1_3repE0EEENS1_30default_config_static_selectorELNS0_4arch9wavefront6targetE1EEEvT1_,"axG",@progbits,_ZN7rocprim17ROCPRIM_400000_NS6detail17trampoline_kernelINS0_14default_configENS1_25partition_config_selectorILNS1_17partition_subalgoE1EyNS0_10empty_typeEbEEZZNS1_14partition_implILS5_1ELb0ES3_jN6thrust23THRUST_200600_302600_NS6detail15normal_iteratorINSA_10device_ptrIyEEEEPS6_NSA_18transform_iteratorI7is_evenIyESF_NSA_11use_defaultESK_EENS0_5tupleIJNSA_16discard_iteratorISK_EESO_EEENSM_IJSG_SG_EEES6_PlJS6_EEE10hipError_tPvRmT3_T4_T5_T6_T7_T9_mT8_P12ihipStream_tbDpT10_ENKUlT_T0_E_clISt17integral_constantIbLb0EES1A_IbLb1EEEEDaS16_S17_EUlS16_E_NS1_11comp_targetILNS1_3genE4ELNS1_11target_archE910ELNS1_3gpuE8ELNS1_3repE0EEENS1_30default_config_static_selectorELNS0_4arch9wavefront6targetE1EEEvT1_,comdat
	.protected	_ZN7rocprim17ROCPRIM_400000_NS6detail17trampoline_kernelINS0_14default_configENS1_25partition_config_selectorILNS1_17partition_subalgoE1EyNS0_10empty_typeEbEEZZNS1_14partition_implILS5_1ELb0ES3_jN6thrust23THRUST_200600_302600_NS6detail15normal_iteratorINSA_10device_ptrIyEEEEPS6_NSA_18transform_iteratorI7is_evenIyESF_NSA_11use_defaultESK_EENS0_5tupleIJNSA_16discard_iteratorISK_EESO_EEENSM_IJSG_SG_EEES6_PlJS6_EEE10hipError_tPvRmT3_T4_T5_T6_T7_T9_mT8_P12ihipStream_tbDpT10_ENKUlT_T0_E_clISt17integral_constantIbLb0EES1A_IbLb1EEEEDaS16_S17_EUlS16_E_NS1_11comp_targetILNS1_3genE4ELNS1_11target_archE910ELNS1_3gpuE8ELNS1_3repE0EEENS1_30default_config_static_selectorELNS0_4arch9wavefront6targetE1EEEvT1_ ; -- Begin function _ZN7rocprim17ROCPRIM_400000_NS6detail17trampoline_kernelINS0_14default_configENS1_25partition_config_selectorILNS1_17partition_subalgoE1EyNS0_10empty_typeEbEEZZNS1_14partition_implILS5_1ELb0ES3_jN6thrust23THRUST_200600_302600_NS6detail15normal_iteratorINSA_10device_ptrIyEEEEPS6_NSA_18transform_iteratorI7is_evenIyESF_NSA_11use_defaultESK_EENS0_5tupleIJNSA_16discard_iteratorISK_EESO_EEENSM_IJSG_SG_EEES6_PlJS6_EEE10hipError_tPvRmT3_T4_T5_T6_T7_T9_mT8_P12ihipStream_tbDpT10_ENKUlT_T0_E_clISt17integral_constantIbLb0EES1A_IbLb1EEEEDaS16_S17_EUlS16_E_NS1_11comp_targetILNS1_3genE4ELNS1_11target_archE910ELNS1_3gpuE8ELNS1_3repE0EEENS1_30default_config_static_selectorELNS0_4arch9wavefront6targetE1EEEvT1_
	.globl	_ZN7rocprim17ROCPRIM_400000_NS6detail17trampoline_kernelINS0_14default_configENS1_25partition_config_selectorILNS1_17partition_subalgoE1EyNS0_10empty_typeEbEEZZNS1_14partition_implILS5_1ELb0ES3_jN6thrust23THRUST_200600_302600_NS6detail15normal_iteratorINSA_10device_ptrIyEEEEPS6_NSA_18transform_iteratorI7is_evenIyESF_NSA_11use_defaultESK_EENS0_5tupleIJNSA_16discard_iteratorISK_EESO_EEENSM_IJSG_SG_EEES6_PlJS6_EEE10hipError_tPvRmT3_T4_T5_T6_T7_T9_mT8_P12ihipStream_tbDpT10_ENKUlT_T0_E_clISt17integral_constantIbLb0EES1A_IbLb1EEEEDaS16_S17_EUlS16_E_NS1_11comp_targetILNS1_3genE4ELNS1_11target_archE910ELNS1_3gpuE8ELNS1_3repE0EEENS1_30default_config_static_selectorELNS0_4arch9wavefront6targetE1EEEvT1_
	.p2align	8
	.type	_ZN7rocprim17ROCPRIM_400000_NS6detail17trampoline_kernelINS0_14default_configENS1_25partition_config_selectorILNS1_17partition_subalgoE1EyNS0_10empty_typeEbEEZZNS1_14partition_implILS5_1ELb0ES3_jN6thrust23THRUST_200600_302600_NS6detail15normal_iteratorINSA_10device_ptrIyEEEEPS6_NSA_18transform_iteratorI7is_evenIyESF_NSA_11use_defaultESK_EENS0_5tupleIJNSA_16discard_iteratorISK_EESO_EEENSM_IJSG_SG_EEES6_PlJS6_EEE10hipError_tPvRmT3_T4_T5_T6_T7_T9_mT8_P12ihipStream_tbDpT10_ENKUlT_T0_E_clISt17integral_constantIbLb0EES1A_IbLb1EEEEDaS16_S17_EUlS16_E_NS1_11comp_targetILNS1_3genE4ELNS1_11target_archE910ELNS1_3gpuE8ELNS1_3repE0EEENS1_30default_config_static_selectorELNS0_4arch9wavefront6targetE1EEEvT1_,@function
_ZN7rocprim17ROCPRIM_400000_NS6detail17trampoline_kernelINS0_14default_configENS1_25partition_config_selectorILNS1_17partition_subalgoE1EyNS0_10empty_typeEbEEZZNS1_14partition_implILS5_1ELb0ES3_jN6thrust23THRUST_200600_302600_NS6detail15normal_iteratorINSA_10device_ptrIyEEEEPS6_NSA_18transform_iteratorI7is_evenIyESF_NSA_11use_defaultESK_EENS0_5tupleIJNSA_16discard_iteratorISK_EESO_EEENSM_IJSG_SG_EEES6_PlJS6_EEE10hipError_tPvRmT3_T4_T5_T6_T7_T9_mT8_P12ihipStream_tbDpT10_ENKUlT_T0_E_clISt17integral_constantIbLb0EES1A_IbLb1EEEEDaS16_S17_EUlS16_E_NS1_11comp_targetILNS1_3genE4ELNS1_11target_archE910ELNS1_3gpuE8ELNS1_3repE0EEENS1_30default_config_static_selectorELNS0_4arch9wavefront6targetE1EEEvT1_: ; @_ZN7rocprim17ROCPRIM_400000_NS6detail17trampoline_kernelINS0_14default_configENS1_25partition_config_selectorILNS1_17partition_subalgoE1EyNS0_10empty_typeEbEEZZNS1_14partition_implILS5_1ELb0ES3_jN6thrust23THRUST_200600_302600_NS6detail15normal_iteratorINSA_10device_ptrIyEEEEPS6_NSA_18transform_iteratorI7is_evenIyESF_NSA_11use_defaultESK_EENS0_5tupleIJNSA_16discard_iteratorISK_EESO_EEENSM_IJSG_SG_EEES6_PlJS6_EEE10hipError_tPvRmT3_T4_T5_T6_T7_T9_mT8_P12ihipStream_tbDpT10_ENKUlT_T0_E_clISt17integral_constantIbLb0EES1A_IbLb1EEEEDaS16_S17_EUlS16_E_NS1_11comp_targetILNS1_3genE4ELNS1_11target_archE910ELNS1_3gpuE8ELNS1_3repE0EEENS1_30default_config_static_selectorELNS0_4arch9wavefront6targetE1EEEvT1_
; %bb.0:
	.section	.rodata,"a",@progbits
	.p2align	6, 0x0
	.amdhsa_kernel _ZN7rocprim17ROCPRIM_400000_NS6detail17trampoline_kernelINS0_14default_configENS1_25partition_config_selectorILNS1_17partition_subalgoE1EyNS0_10empty_typeEbEEZZNS1_14partition_implILS5_1ELb0ES3_jN6thrust23THRUST_200600_302600_NS6detail15normal_iteratorINSA_10device_ptrIyEEEEPS6_NSA_18transform_iteratorI7is_evenIyESF_NSA_11use_defaultESK_EENS0_5tupleIJNSA_16discard_iteratorISK_EESO_EEENSM_IJSG_SG_EEES6_PlJS6_EEE10hipError_tPvRmT3_T4_T5_T6_T7_T9_mT8_P12ihipStream_tbDpT10_ENKUlT_T0_E_clISt17integral_constantIbLb0EES1A_IbLb1EEEEDaS16_S17_EUlS16_E_NS1_11comp_targetILNS1_3genE4ELNS1_11target_archE910ELNS1_3gpuE8ELNS1_3repE0EEENS1_30default_config_static_selectorELNS0_4arch9wavefront6targetE1EEEvT1_
		.amdhsa_group_segment_fixed_size 0
		.amdhsa_private_segment_fixed_size 0
		.amdhsa_kernarg_size 160
		.amdhsa_user_sgpr_count 2
		.amdhsa_user_sgpr_dispatch_ptr 0
		.amdhsa_user_sgpr_queue_ptr 0
		.amdhsa_user_sgpr_kernarg_segment_ptr 1
		.amdhsa_user_sgpr_dispatch_id 0
		.amdhsa_user_sgpr_kernarg_preload_length 0
		.amdhsa_user_sgpr_kernarg_preload_offset 0
		.amdhsa_user_sgpr_private_segment_size 0
		.amdhsa_uses_dynamic_stack 0
		.amdhsa_enable_private_segment 0
		.amdhsa_system_sgpr_workgroup_id_x 1
		.amdhsa_system_sgpr_workgroup_id_y 0
		.amdhsa_system_sgpr_workgroup_id_z 0
		.amdhsa_system_sgpr_workgroup_info 0
		.amdhsa_system_vgpr_workitem_id 0
		.amdhsa_next_free_vgpr 1
		.amdhsa_next_free_sgpr 0
		.amdhsa_accum_offset 4
		.amdhsa_reserve_vcc 0
		.amdhsa_float_round_mode_32 0
		.amdhsa_float_round_mode_16_64 0
		.amdhsa_float_denorm_mode_32 3
		.amdhsa_float_denorm_mode_16_64 3
		.amdhsa_dx10_clamp 1
		.amdhsa_ieee_mode 1
		.amdhsa_fp16_overflow 0
		.amdhsa_tg_split 0
		.amdhsa_exception_fp_ieee_invalid_op 0
		.amdhsa_exception_fp_denorm_src 0
		.amdhsa_exception_fp_ieee_div_zero 0
		.amdhsa_exception_fp_ieee_overflow 0
		.amdhsa_exception_fp_ieee_underflow 0
		.amdhsa_exception_fp_ieee_inexact 0
		.amdhsa_exception_int_div_zero 0
	.end_amdhsa_kernel
	.section	.text._ZN7rocprim17ROCPRIM_400000_NS6detail17trampoline_kernelINS0_14default_configENS1_25partition_config_selectorILNS1_17partition_subalgoE1EyNS0_10empty_typeEbEEZZNS1_14partition_implILS5_1ELb0ES3_jN6thrust23THRUST_200600_302600_NS6detail15normal_iteratorINSA_10device_ptrIyEEEEPS6_NSA_18transform_iteratorI7is_evenIyESF_NSA_11use_defaultESK_EENS0_5tupleIJNSA_16discard_iteratorISK_EESO_EEENSM_IJSG_SG_EEES6_PlJS6_EEE10hipError_tPvRmT3_T4_T5_T6_T7_T9_mT8_P12ihipStream_tbDpT10_ENKUlT_T0_E_clISt17integral_constantIbLb0EES1A_IbLb1EEEEDaS16_S17_EUlS16_E_NS1_11comp_targetILNS1_3genE4ELNS1_11target_archE910ELNS1_3gpuE8ELNS1_3repE0EEENS1_30default_config_static_selectorELNS0_4arch9wavefront6targetE1EEEvT1_,"axG",@progbits,_ZN7rocprim17ROCPRIM_400000_NS6detail17trampoline_kernelINS0_14default_configENS1_25partition_config_selectorILNS1_17partition_subalgoE1EyNS0_10empty_typeEbEEZZNS1_14partition_implILS5_1ELb0ES3_jN6thrust23THRUST_200600_302600_NS6detail15normal_iteratorINSA_10device_ptrIyEEEEPS6_NSA_18transform_iteratorI7is_evenIyESF_NSA_11use_defaultESK_EENS0_5tupleIJNSA_16discard_iteratorISK_EESO_EEENSM_IJSG_SG_EEES6_PlJS6_EEE10hipError_tPvRmT3_T4_T5_T6_T7_T9_mT8_P12ihipStream_tbDpT10_ENKUlT_T0_E_clISt17integral_constantIbLb0EES1A_IbLb1EEEEDaS16_S17_EUlS16_E_NS1_11comp_targetILNS1_3genE4ELNS1_11target_archE910ELNS1_3gpuE8ELNS1_3repE0EEENS1_30default_config_static_selectorELNS0_4arch9wavefront6targetE1EEEvT1_,comdat
.Lfunc_end2901:
	.size	_ZN7rocprim17ROCPRIM_400000_NS6detail17trampoline_kernelINS0_14default_configENS1_25partition_config_selectorILNS1_17partition_subalgoE1EyNS0_10empty_typeEbEEZZNS1_14partition_implILS5_1ELb0ES3_jN6thrust23THRUST_200600_302600_NS6detail15normal_iteratorINSA_10device_ptrIyEEEEPS6_NSA_18transform_iteratorI7is_evenIyESF_NSA_11use_defaultESK_EENS0_5tupleIJNSA_16discard_iteratorISK_EESO_EEENSM_IJSG_SG_EEES6_PlJS6_EEE10hipError_tPvRmT3_T4_T5_T6_T7_T9_mT8_P12ihipStream_tbDpT10_ENKUlT_T0_E_clISt17integral_constantIbLb0EES1A_IbLb1EEEEDaS16_S17_EUlS16_E_NS1_11comp_targetILNS1_3genE4ELNS1_11target_archE910ELNS1_3gpuE8ELNS1_3repE0EEENS1_30default_config_static_selectorELNS0_4arch9wavefront6targetE1EEEvT1_, .Lfunc_end2901-_ZN7rocprim17ROCPRIM_400000_NS6detail17trampoline_kernelINS0_14default_configENS1_25partition_config_selectorILNS1_17partition_subalgoE1EyNS0_10empty_typeEbEEZZNS1_14partition_implILS5_1ELb0ES3_jN6thrust23THRUST_200600_302600_NS6detail15normal_iteratorINSA_10device_ptrIyEEEEPS6_NSA_18transform_iteratorI7is_evenIyESF_NSA_11use_defaultESK_EENS0_5tupleIJNSA_16discard_iteratorISK_EESO_EEENSM_IJSG_SG_EEES6_PlJS6_EEE10hipError_tPvRmT3_T4_T5_T6_T7_T9_mT8_P12ihipStream_tbDpT10_ENKUlT_T0_E_clISt17integral_constantIbLb0EES1A_IbLb1EEEEDaS16_S17_EUlS16_E_NS1_11comp_targetILNS1_3genE4ELNS1_11target_archE910ELNS1_3gpuE8ELNS1_3repE0EEENS1_30default_config_static_selectorELNS0_4arch9wavefront6targetE1EEEvT1_
                                        ; -- End function
	.section	.AMDGPU.csdata,"",@progbits
; Kernel info:
; codeLenInByte = 0
; NumSgprs: 6
; NumVgprs: 0
; NumAgprs: 0
; TotalNumVgprs: 0
; ScratchSize: 0
; MemoryBound: 0
; FloatMode: 240
; IeeeMode: 1
; LDSByteSize: 0 bytes/workgroup (compile time only)
; SGPRBlocks: 0
; VGPRBlocks: 0
; NumSGPRsForWavesPerEU: 6
; NumVGPRsForWavesPerEU: 1
; AccumOffset: 4
; Occupancy: 8
; WaveLimiterHint : 0
; COMPUTE_PGM_RSRC2:SCRATCH_EN: 0
; COMPUTE_PGM_RSRC2:USER_SGPR: 2
; COMPUTE_PGM_RSRC2:TRAP_HANDLER: 0
; COMPUTE_PGM_RSRC2:TGID_X_EN: 1
; COMPUTE_PGM_RSRC2:TGID_Y_EN: 0
; COMPUTE_PGM_RSRC2:TGID_Z_EN: 0
; COMPUTE_PGM_RSRC2:TIDIG_COMP_CNT: 0
; COMPUTE_PGM_RSRC3_GFX90A:ACCUM_OFFSET: 0
; COMPUTE_PGM_RSRC3_GFX90A:TG_SPLIT: 0
	.section	.text._ZN7rocprim17ROCPRIM_400000_NS6detail17trampoline_kernelINS0_14default_configENS1_25partition_config_selectorILNS1_17partition_subalgoE1EyNS0_10empty_typeEbEEZZNS1_14partition_implILS5_1ELb0ES3_jN6thrust23THRUST_200600_302600_NS6detail15normal_iteratorINSA_10device_ptrIyEEEEPS6_NSA_18transform_iteratorI7is_evenIyESF_NSA_11use_defaultESK_EENS0_5tupleIJNSA_16discard_iteratorISK_EESO_EEENSM_IJSG_SG_EEES6_PlJS6_EEE10hipError_tPvRmT3_T4_T5_T6_T7_T9_mT8_P12ihipStream_tbDpT10_ENKUlT_T0_E_clISt17integral_constantIbLb0EES1A_IbLb1EEEEDaS16_S17_EUlS16_E_NS1_11comp_targetILNS1_3genE3ELNS1_11target_archE908ELNS1_3gpuE7ELNS1_3repE0EEENS1_30default_config_static_selectorELNS0_4arch9wavefront6targetE1EEEvT1_,"axG",@progbits,_ZN7rocprim17ROCPRIM_400000_NS6detail17trampoline_kernelINS0_14default_configENS1_25partition_config_selectorILNS1_17partition_subalgoE1EyNS0_10empty_typeEbEEZZNS1_14partition_implILS5_1ELb0ES3_jN6thrust23THRUST_200600_302600_NS6detail15normal_iteratorINSA_10device_ptrIyEEEEPS6_NSA_18transform_iteratorI7is_evenIyESF_NSA_11use_defaultESK_EENS0_5tupleIJNSA_16discard_iteratorISK_EESO_EEENSM_IJSG_SG_EEES6_PlJS6_EEE10hipError_tPvRmT3_T4_T5_T6_T7_T9_mT8_P12ihipStream_tbDpT10_ENKUlT_T0_E_clISt17integral_constantIbLb0EES1A_IbLb1EEEEDaS16_S17_EUlS16_E_NS1_11comp_targetILNS1_3genE3ELNS1_11target_archE908ELNS1_3gpuE7ELNS1_3repE0EEENS1_30default_config_static_selectorELNS0_4arch9wavefront6targetE1EEEvT1_,comdat
	.protected	_ZN7rocprim17ROCPRIM_400000_NS6detail17trampoline_kernelINS0_14default_configENS1_25partition_config_selectorILNS1_17partition_subalgoE1EyNS0_10empty_typeEbEEZZNS1_14partition_implILS5_1ELb0ES3_jN6thrust23THRUST_200600_302600_NS6detail15normal_iteratorINSA_10device_ptrIyEEEEPS6_NSA_18transform_iteratorI7is_evenIyESF_NSA_11use_defaultESK_EENS0_5tupleIJNSA_16discard_iteratorISK_EESO_EEENSM_IJSG_SG_EEES6_PlJS6_EEE10hipError_tPvRmT3_T4_T5_T6_T7_T9_mT8_P12ihipStream_tbDpT10_ENKUlT_T0_E_clISt17integral_constantIbLb0EES1A_IbLb1EEEEDaS16_S17_EUlS16_E_NS1_11comp_targetILNS1_3genE3ELNS1_11target_archE908ELNS1_3gpuE7ELNS1_3repE0EEENS1_30default_config_static_selectorELNS0_4arch9wavefront6targetE1EEEvT1_ ; -- Begin function _ZN7rocprim17ROCPRIM_400000_NS6detail17trampoline_kernelINS0_14default_configENS1_25partition_config_selectorILNS1_17partition_subalgoE1EyNS0_10empty_typeEbEEZZNS1_14partition_implILS5_1ELb0ES3_jN6thrust23THRUST_200600_302600_NS6detail15normal_iteratorINSA_10device_ptrIyEEEEPS6_NSA_18transform_iteratorI7is_evenIyESF_NSA_11use_defaultESK_EENS0_5tupleIJNSA_16discard_iteratorISK_EESO_EEENSM_IJSG_SG_EEES6_PlJS6_EEE10hipError_tPvRmT3_T4_T5_T6_T7_T9_mT8_P12ihipStream_tbDpT10_ENKUlT_T0_E_clISt17integral_constantIbLb0EES1A_IbLb1EEEEDaS16_S17_EUlS16_E_NS1_11comp_targetILNS1_3genE3ELNS1_11target_archE908ELNS1_3gpuE7ELNS1_3repE0EEENS1_30default_config_static_selectorELNS0_4arch9wavefront6targetE1EEEvT1_
	.globl	_ZN7rocprim17ROCPRIM_400000_NS6detail17trampoline_kernelINS0_14default_configENS1_25partition_config_selectorILNS1_17partition_subalgoE1EyNS0_10empty_typeEbEEZZNS1_14partition_implILS5_1ELb0ES3_jN6thrust23THRUST_200600_302600_NS6detail15normal_iteratorINSA_10device_ptrIyEEEEPS6_NSA_18transform_iteratorI7is_evenIyESF_NSA_11use_defaultESK_EENS0_5tupleIJNSA_16discard_iteratorISK_EESO_EEENSM_IJSG_SG_EEES6_PlJS6_EEE10hipError_tPvRmT3_T4_T5_T6_T7_T9_mT8_P12ihipStream_tbDpT10_ENKUlT_T0_E_clISt17integral_constantIbLb0EES1A_IbLb1EEEEDaS16_S17_EUlS16_E_NS1_11comp_targetILNS1_3genE3ELNS1_11target_archE908ELNS1_3gpuE7ELNS1_3repE0EEENS1_30default_config_static_selectorELNS0_4arch9wavefront6targetE1EEEvT1_
	.p2align	8
	.type	_ZN7rocprim17ROCPRIM_400000_NS6detail17trampoline_kernelINS0_14default_configENS1_25partition_config_selectorILNS1_17partition_subalgoE1EyNS0_10empty_typeEbEEZZNS1_14partition_implILS5_1ELb0ES3_jN6thrust23THRUST_200600_302600_NS6detail15normal_iteratorINSA_10device_ptrIyEEEEPS6_NSA_18transform_iteratorI7is_evenIyESF_NSA_11use_defaultESK_EENS0_5tupleIJNSA_16discard_iteratorISK_EESO_EEENSM_IJSG_SG_EEES6_PlJS6_EEE10hipError_tPvRmT3_T4_T5_T6_T7_T9_mT8_P12ihipStream_tbDpT10_ENKUlT_T0_E_clISt17integral_constantIbLb0EES1A_IbLb1EEEEDaS16_S17_EUlS16_E_NS1_11comp_targetILNS1_3genE3ELNS1_11target_archE908ELNS1_3gpuE7ELNS1_3repE0EEENS1_30default_config_static_selectorELNS0_4arch9wavefront6targetE1EEEvT1_,@function
_ZN7rocprim17ROCPRIM_400000_NS6detail17trampoline_kernelINS0_14default_configENS1_25partition_config_selectorILNS1_17partition_subalgoE1EyNS0_10empty_typeEbEEZZNS1_14partition_implILS5_1ELb0ES3_jN6thrust23THRUST_200600_302600_NS6detail15normal_iteratorINSA_10device_ptrIyEEEEPS6_NSA_18transform_iteratorI7is_evenIyESF_NSA_11use_defaultESK_EENS0_5tupleIJNSA_16discard_iteratorISK_EESO_EEENSM_IJSG_SG_EEES6_PlJS6_EEE10hipError_tPvRmT3_T4_T5_T6_T7_T9_mT8_P12ihipStream_tbDpT10_ENKUlT_T0_E_clISt17integral_constantIbLb0EES1A_IbLb1EEEEDaS16_S17_EUlS16_E_NS1_11comp_targetILNS1_3genE3ELNS1_11target_archE908ELNS1_3gpuE7ELNS1_3repE0EEENS1_30default_config_static_selectorELNS0_4arch9wavefront6targetE1EEEvT1_: ; @_ZN7rocprim17ROCPRIM_400000_NS6detail17trampoline_kernelINS0_14default_configENS1_25partition_config_selectorILNS1_17partition_subalgoE1EyNS0_10empty_typeEbEEZZNS1_14partition_implILS5_1ELb0ES3_jN6thrust23THRUST_200600_302600_NS6detail15normal_iteratorINSA_10device_ptrIyEEEEPS6_NSA_18transform_iteratorI7is_evenIyESF_NSA_11use_defaultESK_EENS0_5tupleIJNSA_16discard_iteratorISK_EESO_EEENSM_IJSG_SG_EEES6_PlJS6_EEE10hipError_tPvRmT3_T4_T5_T6_T7_T9_mT8_P12ihipStream_tbDpT10_ENKUlT_T0_E_clISt17integral_constantIbLb0EES1A_IbLb1EEEEDaS16_S17_EUlS16_E_NS1_11comp_targetILNS1_3genE3ELNS1_11target_archE908ELNS1_3gpuE7ELNS1_3repE0EEENS1_30default_config_static_selectorELNS0_4arch9wavefront6targetE1EEEvT1_
; %bb.0:
	.section	.rodata,"a",@progbits
	.p2align	6, 0x0
	.amdhsa_kernel _ZN7rocprim17ROCPRIM_400000_NS6detail17trampoline_kernelINS0_14default_configENS1_25partition_config_selectorILNS1_17partition_subalgoE1EyNS0_10empty_typeEbEEZZNS1_14partition_implILS5_1ELb0ES3_jN6thrust23THRUST_200600_302600_NS6detail15normal_iteratorINSA_10device_ptrIyEEEEPS6_NSA_18transform_iteratorI7is_evenIyESF_NSA_11use_defaultESK_EENS0_5tupleIJNSA_16discard_iteratorISK_EESO_EEENSM_IJSG_SG_EEES6_PlJS6_EEE10hipError_tPvRmT3_T4_T5_T6_T7_T9_mT8_P12ihipStream_tbDpT10_ENKUlT_T0_E_clISt17integral_constantIbLb0EES1A_IbLb1EEEEDaS16_S17_EUlS16_E_NS1_11comp_targetILNS1_3genE3ELNS1_11target_archE908ELNS1_3gpuE7ELNS1_3repE0EEENS1_30default_config_static_selectorELNS0_4arch9wavefront6targetE1EEEvT1_
		.amdhsa_group_segment_fixed_size 0
		.amdhsa_private_segment_fixed_size 0
		.amdhsa_kernarg_size 160
		.amdhsa_user_sgpr_count 2
		.amdhsa_user_sgpr_dispatch_ptr 0
		.amdhsa_user_sgpr_queue_ptr 0
		.amdhsa_user_sgpr_kernarg_segment_ptr 1
		.amdhsa_user_sgpr_dispatch_id 0
		.amdhsa_user_sgpr_kernarg_preload_length 0
		.amdhsa_user_sgpr_kernarg_preload_offset 0
		.amdhsa_user_sgpr_private_segment_size 0
		.amdhsa_uses_dynamic_stack 0
		.amdhsa_enable_private_segment 0
		.amdhsa_system_sgpr_workgroup_id_x 1
		.amdhsa_system_sgpr_workgroup_id_y 0
		.amdhsa_system_sgpr_workgroup_id_z 0
		.amdhsa_system_sgpr_workgroup_info 0
		.amdhsa_system_vgpr_workitem_id 0
		.amdhsa_next_free_vgpr 1
		.amdhsa_next_free_sgpr 0
		.amdhsa_accum_offset 4
		.amdhsa_reserve_vcc 0
		.amdhsa_float_round_mode_32 0
		.amdhsa_float_round_mode_16_64 0
		.amdhsa_float_denorm_mode_32 3
		.amdhsa_float_denorm_mode_16_64 3
		.amdhsa_dx10_clamp 1
		.amdhsa_ieee_mode 1
		.amdhsa_fp16_overflow 0
		.amdhsa_tg_split 0
		.amdhsa_exception_fp_ieee_invalid_op 0
		.amdhsa_exception_fp_denorm_src 0
		.amdhsa_exception_fp_ieee_div_zero 0
		.amdhsa_exception_fp_ieee_overflow 0
		.amdhsa_exception_fp_ieee_underflow 0
		.amdhsa_exception_fp_ieee_inexact 0
		.amdhsa_exception_int_div_zero 0
	.end_amdhsa_kernel
	.section	.text._ZN7rocprim17ROCPRIM_400000_NS6detail17trampoline_kernelINS0_14default_configENS1_25partition_config_selectorILNS1_17partition_subalgoE1EyNS0_10empty_typeEbEEZZNS1_14partition_implILS5_1ELb0ES3_jN6thrust23THRUST_200600_302600_NS6detail15normal_iteratorINSA_10device_ptrIyEEEEPS6_NSA_18transform_iteratorI7is_evenIyESF_NSA_11use_defaultESK_EENS0_5tupleIJNSA_16discard_iteratorISK_EESO_EEENSM_IJSG_SG_EEES6_PlJS6_EEE10hipError_tPvRmT3_T4_T5_T6_T7_T9_mT8_P12ihipStream_tbDpT10_ENKUlT_T0_E_clISt17integral_constantIbLb0EES1A_IbLb1EEEEDaS16_S17_EUlS16_E_NS1_11comp_targetILNS1_3genE3ELNS1_11target_archE908ELNS1_3gpuE7ELNS1_3repE0EEENS1_30default_config_static_selectorELNS0_4arch9wavefront6targetE1EEEvT1_,"axG",@progbits,_ZN7rocprim17ROCPRIM_400000_NS6detail17trampoline_kernelINS0_14default_configENS1_25partition_config_selectorILNS1_17partition_subalgoE1EyNS0_10empty_typeEbEEZZNS1_14partition_implILS5_1ELb0ES3_jN6thrust23THRUST_200600_302600_NS6detail15normal_iteratorINSA_10device_ptrIyEEEEPS6_NSA_18transform_iteratorI7is_evenIyESF_NSA_11use_defaultESK_EENS0_5tupleIJNSA_16discard_iteratorISK_EESO_EEENSM_IJSG_SG_EEES6_PlJS6_EEE10hipError_tPvRmT3_T4_T5_T6_T7_T9_mT8_P12ihipStream_tbDpT10_ENKUlT_T0_E_clISt17integral_constantIbLb0EES1A_IbLb1EEEEDaS16_S17_EUlS16_E_NS1_11comp_targetILNS1_3genE3ELNS1_11target_archE908ELNS1_3gpuE7ELNS1_3repE0EEENS1_30default_config_static_selectorELNS0_4arch9wavefront6targetE1EEEvT1_,comdat
.Lfunc_end2902:
	.size	_ZN7rocprim17ROCPRIM_400000_NS6detail17trampoline_kernelINS0_14default_configENS1_25partition_config_selectorILNS1_17partition_subalgoE1EyNS0_10empty_typeEbEEZZNS1_14partition_implILS5_1ELb0ES3_jN6thrust23THRUST_200600_302600_NS6detail15normal_iteratorINSA_10device_ptrIyEEEEPS6_NSA_18transform_iteratorI7is_evenIyESF_NSA_11use_defaultESK_EENS0_5tupleIJNSA_16discard_iteratorISK_EESO_EEENSM_IJSG_SG_EEES6_PlJS6_EEE10hipError_tPvRmT3_T4_T5_T6_T7_T9_mT8_P12ihipStream_tbDpT10_ENKUlT_T0_E_clISt17integral_constantIbLb0EES1A_IbLb1EEEEDaS16_S17_EUlS16_E_NS1_11comp_targetILNS1_3genE3ELNS1_11target_archE908ELNS1_3gpuE7ELNS1_3repE0EEENS1_30default_config_static_selectorELNS0_4arch9wavefront6targetE1EEEvT1_, .Lfunc_end2902-_ZN7rocprim17ROCPRIM_400000_NS6detail17trampoline_kernelINS0_14default_configENS1_25partition_config_selectorILNS1_17partition_subalgoE1EyNS0_10empty_typeEbEEZZNS1_14partition_implILS5_1ELb0ES3_jN6thrust23THRUST_200600_302600_NS6detail15normal_iteratorINSA_10device_ptrIyEEEEPS6_NSA_18transform_iteratorI7is_evenIyESF_NSA_11use_defaultESK_EENS0_5tupleIJNSA_16discard_iteratorISK_EESO_EEENSM_IJSG_SG_EEES6_PlJS6_EEE10hipError_tPvRmT3_T4_T5_T6_T7_T9_mT8_P12ihipStream_tbDpT10_ENKUlT_T0_E_clISt17integral_constantIbLb0EES1A_IbLb1EEEEDaS16_S17_EUlS16_E_NS1_11comp_targetILNS1_3genE3ELNS1_11target_archE908ELNS1_3gpuE7ELNS1_3repE0EEENS1_30default_config_static_selectorELNS0_4arch9wavefront6targetE1EEEvT1_
                                        ; -- End function
	.section	.AMDGPU.csdata,"",@progbits
; Kernel info:
; codeLenInByte = 0
; NumSgprs: 6
; NumVgprs: 0
; NumAgprs: 0
; TotalNumVgprs: 0
; ScratchSize: 0
; MemoryBound: 0
; FloatMode: 240
; IeeeMode: 1
; LDSByteSize: 0 bytes/workgroup (compile time only)
; SGPRBlocks: 0
; VGPRBlocks: 0
; NumSGPRsForWavesPerEU: 6
; NumVGPRsForWavesPerEU: 1
; AccumOffset: 4
; Occupancy: 8
; WaveLimiterHint : 0
; COMPUTE_PGM_RSRC2:SCRATCH_EN: 0
; COMPUTE_PGM_RSRC2:USER_SGPR: 2
; COMPUTE_PGM_RSRC2:TRAP_HANDLER: 0
; COMPUTE_PGM_RSRC2:TGID_X_EN: 1
; COMPUTE_PGM_RSRC2:TGID_Y_EN: 0
; COMPUTE_PGM_RSRC2:TGID_Z_EN: 0
; COMPUTE_PGM_RSRC2:TIDIG_COMP_CNT: 0
; COMPUTE_PGM_RSRC3_GFX90A:ACCUM_OFFSET: 0
; COMPUTE_PGM_RSRC3_GFX90A:TG_SPLIT: 0
	.section	.text._ZN7rocprim17ROCPRIM_400000_NS6detail17trampoline_kernelINS0_14default_configENS1_25partition_config_selectorILNS1_17partition_subalgoE1EyNS0_10empty_typeEbEEZZNS1_14partition_implILS5_1ELb0ES3_jN6thrust23THRUST_200600_302600_NS6detail15normal_iteratorINSA_10device_ptrIyEEEEPS6_NSA_18transform_iteratorI7is_evenIyESF_NSA_11use_defaultESK_EENS0_5tupleIJNSA_16discard_iteratorISK_EESO_EEENSM_IJSG_SG_EEES6_PlJS6_EEE10hipError_tPvRmT3_T4_T5_T6_T7_T9_mT8_P12ihipStream_tbDpT10_ENKUlT_T0_E_clISt17integral_constantIbLb0EES1A_IbLb1EEEEDaS16_S17_EUlS16_E_NS1_11comp_targetILNS1_3genE2ELNS1_11target_archE906ELNS1_3gpuE6ELNS1_3repE0EEENS1_30default_config_static_selectorELNS0_4arch9wavefront6targetE1EEEvT1_,"axG",@progbits,_ZN7rocprim17ROCPRIM_400000_NS6detail17trampoline_kernelINS0_14default_configENS1_25partition_config_selectorILNS1_17partition_subalgoE1EyNS0_10empty_typeEbEEZZNS1_14partition_implILS5_1ELb0ES3_jN6thrust23THRUST_200600_302600_NS6detail15normal_iteratorINSA_10device_ptrIyEEEEPS6_NSA_18transform_iteratorI7is_evenIyESF_NSA_11use_defaultESK_EENS0_5tupleIJNSA_16discard_iteratorISK_EESO_EEENSM_IJSG_SG_EEES6_PlJS6_EEE10hipError_tPvRmT3_T4_T5_T6_T7_T9_mT8_P12ihipStream_tbDpT10_ENKUlT_T0_E_clISt17integral_constantIbLb0EES1A_IbLb1EEEEDaS16_S17_EUlS16_E_NS1_11comp_targetILNS1_3genE2ELNS1_11target_archE906ELNS1_3gpuE6ELNS1_3repE0EEENS1_30default_config_static_selectorELNS0_4arch9wavefront6targetE1EEEvT1_,comdat
	.protected	_ZN7rocprim17ROCPRIM_400000_NS6detail17trampoline_kernelINS0_14default_configENS1_25partition_config_selectorILNS1_17partition_subalgoE1EyNS0_10empty_typeEbEEZZNS1_14partition_implILS5_1ELb0ES3_jN6thrust23THRUST_200600_302600_NS6detail15normal_iteratorINSA_10device_ptrIyEEEEPS6_NSA_18transform_iteratorI7is_evenIyESF_NSA_11use_defaultESK_EENS0_5tupleIJNSA_16discard_iteratorISK_EESO_EEENSM_IJSG_SG_EEES6_PlJS6_EEE10hipError_tPvRmT3_T4_T5_T6_T7_T9_mT8_P12ihipStream_tbDpT10_ENKUlT_T0_E_clISt17integral_constantIbLb0EES1A_IbLb1EEEEDaS16_S17_EUlS16_E_NS1_11comp_targetILNS1_3genE2ELNS1_11target_archE906ELNS1_3gpuE6ELNS1_3repE0EEENS1_30default_config_static_selectorELNS0_4arch9wavefront6targetE1EEEvT1_ ; -- Begin function _ZN7rocprim17ROCPRIM_400000_NS6detail17trampoline_kernelINS0_14default_configENS1_25partition_config_selectorILNS1_17partition_subalgoE1EyNS0_10empty_typeEbEEZZNS1_14partition_implILS5_1ELb0ES3_jN6thrust23THRUST_200600_302600_NS6detail15normal_iteratorINSA_10device_ptrIyEEEEPS6_NSA_18transform_iteratorI7is_evenIyESF_NSA_11use_defaultESK_EENS0_5tupleIJNSA_16discard_iteratorISK_EESO_EEENSM_IJSG_SG_EEES6_PlJS6_EEE10hipError_tPvRmT3_T4_T5_T6_T7_T9_mT8_P12ihipStream_tbDpT10_ENKUlT_T0_E_clISt17integral_constantIbLb0EES1A_IbLb1EEEEDaS16_S17_EUlS16_E_NS1_11comp_targetILNS1_3genE2ELNS1_11target_archE906ELNS1_3gpuE6ELNS1_3repE0EEENS1_30default_config_static_selectorELNS0_4arch9wavefront6targetE1EEEvT1_
	.globl	_ZN7rocprim17ROCPRIM_400000_NS6detail17trampoline_kernelINS0_14default_configENS1_25partition_config_selectorILNS1_17partition_subalgoE1EyNS0_10empty_typeEbEEZZNS1_14partition_implILS5_1ELb0ES3_jN6thrust23THRUST_200600_302600_NS6detail15normal_iteratorINSA_10device_ptrIyEEEEPS6_NSA_18transform_iteratorI7is_evenIyESF_NSA_11use_defaultESK_EENS0_5tupleIJNSA_16discard_iteratorISK_EESO_EEENSM_IJSG_SG_EEES6_PlJS6_EEE10hipError_tPvRmT3_T4_T5_T6_T7_T9_mT8_P12ihipStream_tbDpT10_ENKUlT_T0_E_clISt17integral_constantIbLb0EES1A_IbLb1EEEEDaS16_S17_EUlS16_E_NS1_11comp_targetILNS1_3genE2ELNS1_11target_archE906ELNS1_3gpuE6ELNS1_3repE0EEENS1_30default_config_static_selectorELNS0_4arch9wavefront6targetE1EEEvT1_
	.p2align	8
	.type	_ZN7rocprim17ROCPRIM_400000_NS6detail17trampoline_kernelINS0_14default_configENS1_25partition_config_selectorILNS1_17partition_subalgoE1EyNS0_10empty_typeEbEEZZNS1_14partition_implILS5_1ELb0ES3_jN6thrust23THRUST_200600_302600_NS6detail15normal_iteratorINSA_10device_ptrIyEEEEPS6_NSA_18transform_iteratorI7is_evenIyESF_NSA_11use_defaultESK_EENS0_5tupleIJNSA_16discard_iteratorISK_EESO_EEENSM_IJSG_SG_EEES6_PlJS6_EEE10hipError_tPvRmT3_T4_T5_T6_T7_T9_mT8_P12ihipStream_tbDpT10_ENKUlT_T0_E_clISt17integral_constantIbLb0EES1A_IbLb1EEEEDaS16_S17_EUlS16_E_NS1_11comp_targetILNS1_3genE2ELNS1_11target_archE906ELNS1_3gpuE6ELNS1_3repE0EEENS1_30default_config_static_selectorELNS0_4arch9wavefront6targetE1EEEvT1_,@function
_ZN7rocprim17ROCPRIM_400000_NS6detail17trampoline_kernelINS0_14default_configENS1_25partition_config_selectorILNS1_17partition_subalgoE1EyNS0_10empty_typeEbEEZZNS1_14partition_implILS5_1ELb0ES3_jN6thrust23THRUST_200600_302600_NS6detail15normal_iteratorINSA_10device_ptrIyEEEEPS6_NSA_18transform_iteratorI7is_evenIyESF_NSA_11use_defaultESK_EENS0_5tupleIJNSA_16discard_iteratorISK_EESO_EEENSM_IJSG_SG_EEES6_PlJS6_EEE10hipError_tPvRmT3_T4_T5_T6_T7_T9_mT8_P12ihipStream_tbDpT10_ENKUlT_T0_E_clISt17integral_constantIbLb0EES1A_IbLb1EEEEDaS16_S17_EUlS16_E_NS1_11comp_targetILNS1_3genE2ELNS1_11target_archE906ELNS1_3gpuE6ELNS1_3repE0EEENS1_30default_config_static_selectorELNS0_4arch9wavefront6targetE1EEEvT1_: ; @_ZN7rocprim17ROCPRIM_400000_NS6detail17trampoline_kernelINS0_14default_configENS1_25partition_config_selectorILNS1_17partition_subalgoE1EyNS0_10empty_typeEbEEZZNS1_14partition_implILS5_1ELb0ES3_jN6thrust23THRUST_200600_302600_NS6detail15normal_iteratorINSA_10device_ptrIyEEEEPS6_NSA_18transform_iteratorI7is_evenIyESF_NSA_11use_defaultESK_EENS0_5tupleIJNSA_16discard_iteratorISK_EESO_EEENSM_IJSG_SG_EEES6_PlJS6_EEE10hipError_tPvRmT3_T4_T5_T6_T7_T9_mT8_P12ihipStream_tbDpT10_ENKUlT_T0_E_clISt17integral_constantIbLb0EES1A_IbLb1EEEEDaS16_S17_EUlS16_E_NS1_11comp_targetILNS1_3genE2ELNS1_11target_archE906ELNS1_3gpuE6ELNS1_3repE0EEENS1_30default_config_static_selectorELNS0_4arch9wavefront6targetE1EEEvT1_
; %bb.0:
	.section	.rodata,"a",@progbits
	.p2align	6, 0x0
	.amdhsa_kernel _ZN7rocprim17ROCPRIM_400000_NS6detail17trampoline_kernelINS0_14default_configENS1_25partition_config_selectorILNS1_17partition_subalgoE1EyNS0_10empty_typeEbEEZZNS1_14partition_implILS5_1ELb0ES3_jN6thrust23THRUST_200600_302600_NS6detail15normal_iteratorINSA_10device_ptrIyEEEEPS6_NSA_18transform_iteratorI7is_evenIyESF_NSA_11use_defaultESK_EENS0_5tupleIJNSA_16discard_iteratorISK_EESO_EEENSM_IJSG_SG_EEES6_PlJS6_EEE10hipError_tPvRmT3_T4_T5_T6_T7_T9_mT8_P12ihipStream_tbDpT10_ENKUlT_T0_E_clISt17integral_constantIbLb0EES1A_IbLb1EEEEDaS16_S17_EUlS16_E_NS1_11comp_targetILNS1_3genE2ELNS1_11target_archE906ELNS1_3gpuE6ELNS1_3repE0EEENS1_30default_config_static_selectorELNS0_4arch9wavefront6targetE1EEEvT1_
		.amdhsa_group_segment_fixed_size 0
		.amdhsa_private_segment_fixed_size 0
		.amdhsa_kernarg_size 160
		.amdhsa_user_sgpr_count 2
		.amdhsa_user_sgpr_dispatch_ptr 0
		.amdhsa_user_sgpr_queue_ptr 0
		.amdhsa_user_sgpr_kernarg_segment_ptr 1
		.amdhsa_user_sgpr_dispatch_id 0
		.amdhsa_user_sgpr_kernarg_preload_length 0
		.amdhsa_user_sgpr_kernarg_preload_offset 0
		.amdhsa_user_sgpr_private_segment_size 0
		.amdhsa_uses_dynamic_stack 0
		.amdhsa_enable_private_segment 0
		.amdhsa_system_sgpr_workgroup_id_x 1
		.amdhsa_system_sgpr_workgroup_id_y 0
		.amdhsa_system_sgpr_workgroup_id_z 0
		.amdhsa_system_sgpr_workgroup_info 0
		.amdhsa_system_vgpr_workitem_id 0
		.amdhsa_next_free_vgpr 1
		.amdhsa_next_free_sgpr 0
		.amdhsa_accum_offset 4
		.amdhsa_reserve_vcc 0
		.amdhsa_float_round_mode_32 0
		.amdhsa_float_round_mode_16_64 0
		.amdhsa_float_denorm_mode_32 3
		.amdhsa_float_denorm_mode_16_64 3
		.amdhsa_dx10_clamp 1
		.amdhsa_ieee_mode 1
		.amdhsa_fp16_overflow 0
		.amdhsa_tg_split 0
		.amdhsa_exception_fp_ieee_invalid_op 0
		.amdhsa_exception_fp_denorm_src 0
		.amdhsa_exception_fp_ieee_div_zero 0
		.amdhsa_exception_fp_ieee_overflow 0
		.amdhsa_exception_fp_ieee_underflow 0
		.amdhsa_exception_fp_ieee_inexact 0
		.amdhsa_exception_int_div_zero 0
	.end_amdhsa_kernel
	.section	.text._ZN7rocprim17ROCPRIM_400000_NS6detail17trampoline_kernelINS0_14default_configENS1_25partition_config_selectorILNS1_17partition_subalgoE1EyNS0_10empty_typeEbEEZZNS1_14partition_implILS5_1ELb0ES3_jN6thrust23THRUST_200600_302600_NS6detail15normal_iteratorINSA_10device_ptrIyEEEEPS6_NSA_18transform_iteratorI7is_evenIyESF_NSA_11use_defaultESK_EENS0_5tupleIJNSA_16discard_iteratorISK_EESO_EEENSM_IJSG_SG_EEES6_PlJS6_EEE10hipError_tPvRmT3_T4_T5_T6_T7_T9_mT8_P12ihipStream_tbDpT10_ENKUlT_T0_E_clISt17integral_constantIbLb0EES1A_IbLb1EEEEDaS16_S17_EUlS16_E_NS1_11comp_targetILNS1_3genE2ELNS1_11target_archE906ELNS1_3gpuE6ELNS1_3repE0EEENS1_30default_config_static_selectorELNS0_4arch9wavefront6targetE1EEEvT1_,"axG",@progbits,_ZN7rocprim17ROCPRIM_400000_NS6detail17trampoline_kernelINS0_14default_configENS1_25partition_config_selectorILNS1_17partition_subalgoE1EyNS0_10empty_typeEbEEZZNS1_14partition_implILS5_1ELb0ES3_jN6thrust23THRUST_200600_302600_NS6detail15normal_iteratorINSA_10device_ptrIyEEEEPS6_NSA_18transform_iteratorI7is_evenIyESF_NSA_11use_defaultESK_EENS0_5tupleIJNSA_16discard_iteratorISK_EESO_EEENSM_IJSG_SG_EEES6_PlJS6_EEE10hipError_tPvRmT3_T4_T5_T6_T7_T9_mT8_P12ihipStream_tbDpT10_ENKUlT_T0_E_clISt17integral_constantIbLb0EES1A_IbLb1EEEEDaS16_S17_EUlS16_E_NS1_11comp_targetILNS1_3genE2ELNS1_11target_archE906ELNS1_3gpuE6ELNS1_3repE0EEENS1_30default_config_static_selectorELNS0_4arch9wavefront6targetE1EEEvT1_,comdat
.Lfunc_end2903:
	.size	_ZN7rocprim17ROCPRIM_400000_NS6detail17trampoline_kernelINS0_14default_configENS1_25partition_config_selectorILNS1_17partition_subalgoE1EyNS0_10empty_typeEbEEZZNS1_14partition_implILS5_1ELb0ES3_jN6thrust23THRUST_200600_302600_NS6detail15normal_iteratorINSA_10device_ptrIyEEEEPS6_NSA_18transform_iteratorI7is_evenIyESF_NSA_11use_defaultESK_EENS0_5tupleIJNSA_16discard_iteratorISK_EESO_EEENSM_IJSG_SG_EEES6_PlJS6_EEE10hipError_tPvRmT3_T4_T5_T6_T7_T9_mT8_P12ihipStream_tbDpT10_ENKUlT_T0_E_clISt17integral_constantIbLb0EES1A_IbLb1EEEEDaS16_S17_EUlS16_E_NS1_11comp_targetILNS1_3genE2ELNS1_11target_archE906ELNS1_3gpuE6ELNS1_3repE0EEENS1_30default_config_static_selectorELNS0_4arch9wavefront6targetE1EEEvT1_, .Lfunc_end2903-_ZN7rocprim17ROCPRIM_400000_NS6detail17trampoline_kernelINS0_14default_configENS1_25partition_config_selectorILNS1_17partition_subalgoE1EyNS0_10empty_typeEbEEZZNS1_14partition_implILS5_1ELb0ES3_jN6thrust23THRUST_200600_302600_NS6detail15normal_iteratorINSA_10device_ptrIyEEEEPS6_NSA_18transform_iteratorI7is_evenIyESF_NSA_11use_defaultESK_EENS0_5tupleIJNSA_16discard_iteratorISK_EESO_EEENSM_IJSG_SG_EEES6_PlJS6_EEE10hipError_tPvRmT3_T4_T5_T6_T7_T9_mT8_P12ihipStream_tbDpT10_ENKUlT_T0_E_clISt17integral_constantIbLb0EES1A_IbLb1EEEEDaS16_S17_EUlS16_E_NS1_11comp_targetILNS1_3genE2ELNS1_11target_archE906ELNS1_3gpuE6ELNS1_3repE0EEENS1_30default_config_static_selectorELNS0_4arch9wavefront6targetE1EEEvT1_
                                        ; -- End function
	.section	.AMDGPU.csdata,"",@progbits
; Kernel info:
; codeLenInByte = 0
; NumSgprs: 6
; NumVgprs: 0
; NumAgprs: 0
; TotalNumVgprs: 0
; ScratchSize: 0
; MemoryBound: 0
; FloatMode: 240
; IeeeMode: 1
; LDSByteSize: 0 bytes/workgroup (compile time only)
; SGPRBlocks: 0
; VGPRBlocks: 0
; NumSGPRsForWavesPerEU: 6
; NumVGPRsForWavesPerEU: 1
; AccumOffset: 4
; Occupancy: 8
; WaveLimiterHint : 0
; COMPUTE_PGM_RSRC2:SCRATCH_EN: 0
; COMPUTE_PGM_RSRC2:USER_SGPR: 2
; COMPUTE_PGM_RSRC2:TRAP_HANDLER: 0
; COMPUTE_PGM_RSRC2:TGID_X_EN: 1
; COMPUTE_PGM_RSRC2:TGID_Y_EN: 0
; COMPUTE_PGM_RSRC2:TGID_Z_EN: 0
; COMPUTE_PGM_RSRC2:TIDIG_COMP_CNT: 0
; COMPUTE_PGM_RSRC3_GFX90A:ACCUM_OFFSET: 0
; COMPUTE_PGM_RSRC3_GFX90A:TG_SPLIT: 0
	.section	.text._ZN7rocprim17ROCPRIM_400000_NS6detail17trampoline_kernelINS0_14default_configENS1_25partition_config_selectorILNS1_17partition_subalgoE1EyNS0_10empty_typeEbEEZZNS1_14partition_implILS5_1ELb0ES3_jN6thrust23THRUST_200600_302600_NS6detail15normal_iteratorINSA_10device_ptrIyEEEEPS6_NSA_18transform_iteratorI7is_evenIyESF_NSA_11use_defaultESK_EENS0_5tupleIJNSA_16discard_iteratorISK_EESO_EEENSM_IJSG_SG_EEES6_PlJS6_EEE10hipError_tPvRmT3_T4_T5_T6_T7_T9_mT8_P12ihipStream_tbDpT10_ENKUlT_T0_E_clISt17integral_constantIbLb0EES1A_IbLb1EEEEDaS16_S17_EUlS16_E_NS1_11comp_targetILNS1_3genE10ELNS1_11target_archE1200ELNS1_3gpuE4ELNS1_3repE0EEENS1_30default_config_static_selectorELNS0_4arch9wavefront6targetE1EEEvT1_,"axG",@progbits,_ZN7rocprim17ROCPRIM_400000_NS6detail17trampoline_kernelINS0_14default_configENS1_25partition_config_selectorILNS1_17partition_subalgoE1EyNS0_10empty_typeEbEEZZNS1_14partition_implILS5_1ELb0ES3_jN6thrust23THRUST_200600_302600_NS6detail15normal_iteratorINSA_10device_ptrIyEEEEPS6_NSA_18transform_iteratorI7is_evenIyESF_NSA_11use_defaultESK_EENS0_5tupleIJNSA_16discard_iteratorISK_EESO_EEENSM_IJSG_SG_EEES6_PlJS6_EEE10hipError_tPvRmT3_T4_T5_T6_T7_T9_mT8_P12ihipStream_tbDpT10_ENKUlT_T0_E_clISt17integral_constantIbLb0EES1A_IbLb1EEEEDaS16_S17_EUlS16_E_NS1_11comp_targetILNS1_3genE10ELNS1_11target_archE1200ELNS1_3gpuE4ELNS1_3repE0EEENS1_30default_config_static_selectorELNS0_4arch9wavefront6targetE1EEEvT1_,comdat
	.protected	_ZN7rocprim17ROCPRIM_400000_NS6detail17trampoline_kernelINS0_14default_configENS1_25partition_config_selectorILNS1_17partition_subalgoE1EyNS0_10empty_typeEbEEZZNS1_14partition_implILS5_1ELb0ES3_jN6thrust23THRUST_200600_302600_NS6detail15normal_iteratorINSA_10device_ptrIyEEEEPS6_NSA_18transform_iteratorI7is_evenIyESF_NSA_11use_defaultESK_EENS0_5tupleIJNSA_16discard_iteratorISK_EESO_EEENSM_IJSG_SG_EEES6_PlJS6_EEE10hipError_tPvRmT3_T4_T5_T6_T7_T9_mT8_P12ihipStream_tbDpT10_ENKUlT_T0_E_clISt17integral_constantIbLb0EES1A_IbLb1EEEEDaS16_S17_EUlS16_E_NS1_11comp_targetILNS1_3genE10ELNS1_11target_archE1200ELNS1_3gpuE4ELNS1_3repE0EEENS1_30default_config_static_selectorELNS0_4arch9wavefront6targetE1EEEvT1_ ; -- Begin function _ZN7rocprim17ROCPRIM_400000_NS6detail17trampoline_kernelINS0_14default_configENS1_25partition_config_selectorILNS1_17partition_subalgoE1EyNS0_10empty_typeEbEEZZNS1_14partition_implILS5_1ELb0ES3_jN6thrust23THRUST_200600_302600_NS6detail15normal_iteratorINSA_10device_ptrIyEEEEPS6_NSA_18transform_iteratorI7is_evenIyESF_NSA_11use_defaultESK_EENS0_5tupleIJNSA_16discard_iteratorISK_EESO_EEENSM_IJSG_SG_EEES6_PlJS6_EEE10hipError_tPvRmT3_T4_T5_T6_T7_T9_mT8_P12ihipStream_tbDpT10_ENKUlT_T0_E_clISt17integral_constantIbLb0EES1A_IbLb1EEEEDaS16_S17_EUlS16_E_NS1_11comp_targetILNS1_3genE10ELNS1_11target_archE1200ELNS1_3gpuE4ELNS1_3repE0EEENS1_30default_config_static_selectorELNS0_4arch9wavefront6targetE1EEEvT1_
	.globl	_ZN7rocprim17ROCPRIM_400000_NS6detail17trampoline_kernelINS0_14default_configENS1_25partition_config_selectorILNS1_17partition_subalgoE1EyNS0_10empty_typeEbEEZZNS1_14partition_implILS5_1ELb0ES3_jN6thrust23THRUST_200600_302600_NS6detail15normal_iteratorINSA_10device_ptrIyEEEEPS6_NSA_18transform_iteratorI7is_evenIyESF_NSA_11use_defaultESK_EENS0_5tupleIJNSA_16discard_iteratorISK_EESO_EEENSM_IJSG_SG_EEES6_PlJS6_EEE10hipError_tPvRmT3_T4_T5_T6_T7_T9_mT8_P12ihipStream_tbDpT10_ENKUlT_T0_E_clISt17integral_constantIbLb0EES1A_IbLb1EEEEDaS16_S17_EUlS16_E_NS1_11comp_targetILNS1_3genE10ELNS1_11target_archE1200ELNS1_3gpuE4ELNS1_3repE0EEENS1_30default_config_static_selectorELNS0_4arch9wavefront6targetE1EEEvT1_
	.p2align	8
	.type	_ZN7rocprim17ROCPRIM_400000_NS6detail17trampoline_kernelINS0_14default_configENS1_25partition_config_selectorILNS1_17partition_subalgoE1EyNS0_10empty_typeEbEEZZNS1_14partition_implILS5_1ELb0ES3_jN6thrust23THRUST_200600_302600_NS6detail15normal_iteratorINSA_10device_ptrIyEEEEPS6_NSA_18transform_iteratorI7is_evenIyESF_NSA_11use_defaultESK_EENS0_5tupleIJNSA_16discard_iteratorISK_EESO_EEENSM_IJSG_SG_EEES6_PlJS6_EEE10hipError_tPvRmT3_T4_T5_T6_T7_T9_mT8_P12ihipStream_tbDpT10_ENKUlT_T0_E_clISt17integral_constantIbLb0EES1A_IbLb1EEEEDaS16_S17_EUlS16_E_NS1_11comp_targetILNS1_3genE10ELNS1_11target_archE1200ELNS1_3gpuE4ELNS1_3repE0EEENS1_30default_config_static_selectorELNS0_4arch9wavefront6targetE1EEEvT1_,@function
_ZN7rocprim17ROCPRIM_400000_NS6detail17trampoline_kernelINS0_14default_configENS1_25partition_config_selectorILNS1_17partition_subalgoE1EyNS0_10empty_typeEbEEZZNS1_14partition_implILS5_1ELb0ES3_jN6thrust23THRUST_200600_302600_NS6detail15normal_iteratorINSA_10device_ptrIyEEEEPS6_NSA_18transform_iteratorI7is_evenIyESF_NSA_11use_defaultESK_EENS0_5tupleIJNSA_16discard_iteratorISK_EESO_EEENSM_IJSG_SG_EEES6_PlJS6_EEE10hipError_tPvRmT3_T4_T5_T6_T7_T9_mT8_P12ihipStream_tbDpT10_ENKUlT_T0_E_clISt17integral_constantIbLb0EES1A_IbLb1EEEEDaS16_S17_EUlS16_E_NS1_11comp_targetILNS1_3genE10ELNS1_11target_archE1200ELNS1_3gpuE4ELNS1_3repE0EEENS1_30default_config_static_selectorELNS0_4arch9wavefront6targetE1EEEvT1_: ; @_ZN7rocprim17ROCPRIM_400000_NS6detail17trampoline_kernelINS0_14default_configENS1_25partition_config_selectorILNS1_17partition_subalgoE1EyNS0_10empty_typeEbEEZZNS1_14partition_implILS5_1ELb0ES3_jN6thrust23THRUST_200600_302600_NS6detail15normal_iteratorINSA_10device_ptrIyEEEEPS6_NSA_18transform_iteratorI7is_evenIyESF_NSA_11use_defaultESK_EENS0_5tupleIJNSA_16discard_iteratorISK_EESO_EEENSM_IJSG_SG_EEES6_PlJS6_EEE10hipError_tPvRmT3_T4_T5_T6_T7_T9_mT8_P12ihipStream_tbDpT10_ENKUlT_T0_E_clISt17integral_constantIbLb0EES1A_IbLb1EEEEDaS16_S17_EUlS16_E_NS1_11comp_targetILNS1_3genE10ELNS1_11target_archE1200ELNS1_3gpuE4ELNS1_3repE0EEENS1_30default_config_static_selectorELNS0_4arch9wavefront6targetE1EEEvT1_
; %bb.0:
	.section	.rodata,"a",@progbits
	.p2align	6, 0x0
	.amdhsa_kernel _ZN7rocprim17ROCPRIM_400000_NS6detail17trampoline_kernelINS0_14default_configENS1_25partition_config_selectorILNS1_17partition_subalgoE1EyNS0_10empty_typeEbEEZZNS1_14partition_implILS5_1ELb0ES3_jN6thrust23THRUST_200600_302600_NS6detail15normal_iteratorINSA_10device_ptrIyEEEEPS6_NSA_18transform_iteratorI7is_evenIyESF_NSA_11use_defaultESK_EENS0_5tupleIJNSA_16discard_iteratorISK_EESO_EEENSM_IJSG_SG_EEES6_PlJS6_EEE10hipError_tPvRmT3_T4_T5_T6_T7_T9_mT8_P12ihipStream_tbDpT10_ENKUlT_T0_E_clISt17integral_constantIbLb0EES1A_IbLb1EEEEDaS16_S17_EUlS16_E_NS1_11comp_targetILNS1_3genE10ELNS1_11target_archE1200ELNS1_3gpuE4ELNS1_3repE0EEENS1_30default_config_static_selectorELNS0_4arch9wavefront6targetE1EEEvT1_
		.amdhsa_group_segment_fixed_size 0
		.amdhsa_private_segment_fixed_size 0
		.amdhsa_kernarg_size 160
		.amdhsa_user_sgpr_count 2
		.amdhsa_user_sgpr_dispatch_ptr 0
		.amdhsa_user_sgpr_queue_ptr 0
		.amdhsa_user_sgpr_kernarg_segment_ptr 1
		.amdhsa_user_sgpr_dispatch_id 0
		.amdhsa_user_sgpr_kernarg_preload_length 0
		.amdhsa_user_sgpr_kernarg_preload_offset 0
		.amdhsa_user_sgpr_private_segment_size 0
		.amdhsa_uses_dynamic_stack 0
		.amdhsa_enable_private_segment 0
		.amdhsa_system_sgpr_workgroup_id_x 1
		.amdhsa_system_sgpr_workgroup_id_y 0
		.amdhsa_system_sgpr_workgroup_id_z 0
		.amdhsa_system_sgpr_workgroup_info 0
		.amdhsa_system_vgpr_workitem_id 0
		.amdhsa_next_free_vgpr 1
		.amdhsa_next_free_sgpr 0
		.amdhsa_accum_offset 4
		.amdhsa_reserve_vcc 0
		.amdhsa_float_round_mode_32 0
		.amdhsa_float_round_mode_16_64 0
		.amdhsa_float_denorm_mode_32 3
		.amdhsa_float_denorm_mode_16_64 3
		.amdhsa_dx10_clamp 1
		.amdhsa_ieee_mode 1
		.amdhsa_fp16_overflow 0
		.amdhsa_tg_split 0
		.amdhsa_exception_fp_ieee_invalid_op 0
		.amdhsa_exception_fp_denorm_src 0
		.amdhsa_exception_fp_ieee_div_zero 0
		.amdhsa_exception_fp_ieee_overflow 0
		.amdhsa_exception_fp_ieee_underflow 0
		.amdhsa_exception_fp_ieee_inexact 0
		.amdhsa_exception_int_div_zero 0
	.end_amdhsa_kernel
	.section	.text._ZN7rocprim17ROCPRIM_400000_NS6detail17trampoline_kernelINS0_14default_configENS1_25partition_config_selectorILNS1_17partition_subalgoE1EyNS0_10empty_typeEbEEZZNS1_14partition_implILS5_1ELb0ES3_jN6thrust23THRUST_200600_302600_NS6detail15normal_iteratorINSA_10device_ptrIyEEEEPS6_NSA_18transform_iteratorI7is_evenIyESF_NSA_11use_defaultESK_EENS0_5tupleIJNSA_16discard_iteratorISK_EESO_EEENSM_IJSG_SG_EEES6_PlJS6_EEE10hipError_tPvRmT3_T4_T5_T6_T7_T9_mT8_P12ihipStream_tbDpT10_ENKUlT_T0_E_clISt17integral_constantIbLb0EES1A_IbLb1EEEEDaS16_S17_EUlS16_E_NS1_11comp_targetILNS1_3genE10ELNS1_11target_archE1200ELNS1_3gpuE4ELNS1_3repE0EEENS1_30default_config_static_selectorELNS0_4arch9wavefront6targetE1EEEvT1_,"axG",@progbits,_ZN7rocprim17ROCPRIM_400000_NS6detail17trampoline_kernelINS0_14default_configENS1_25partition_config_selectorILNS1_17partition_subalgoE1EyNS0_10empty_typeEbEEZZNS1_14partition_implILS5_1ELb0ES3_jN6thrust23THRUST_200600_302600_NS6detail15normal_iteratorINSA_10device_ptrIyEEEEPS6_NSA_18transform_iteratorI7is_evenIyESF_NSA_11use_defaultESK_EENS0_5tupleIJNSA_16discard_iteratorISK_EESO_EEENSM_IJSG_SG_EEES6_PlJS6_EEE10hipError_tPvRmT3_T4_T5_T6_T7_T9_mT8_P12ihipStream_tbDpT10_ENKUlT_T0_E_clISt17integral_constantIbLb0EES1A_IbLb1EEEEDaS16_S17_EUlS16_E_NS1_11comp_targetILNS1_3genE10ELNS1_11target_archE1200ELNS1_3gpuE4ELNS1_3repE0EEENS1_30default_config_static_selectorELNS0_4arch9wavefront6targetE1EEEvT1_,comdat
.Lfunc_end2904:
	.size	_ZN7rocprim17ROCPRIM_400000_NS6detail17trampoline_kernelINS0_14default_configENS1_25partition_config_selectorILNS1_17partition_subalgoE1EyNS0_10empty_typeEbEEZZNS1_14partition_implILS5_1ELb0ES3_jN6thrust23THRUST_200600_302600_NS6detail15normal_iteratorINSA_10device_ptrIyEEEEPS6_NSA_18transform_iteratorI7is_evenIyESF_NSA_11use_defaultESK_EENS0_5tupleIJNSA_16discard_iteratorISK_EESO_EEENSM_IJSG_SG_EEES6_PlJS6_EEE10hipError_tPvRmT3_T4_T5_T6_T7_T9_mT8_P12ihipStream_tbDpT10_ENKUlT_T0_E_clISt17integral_constantIbLb0EES1A_IbLb1EEEEDaS16_S17_EUlS16_E_NS1_11comp_targetILNS1_3genE10ELNS1_11target_archE1200ELNS1_3gpuE4ELNS1_3repE0EEENS1_30default_config_static_selectorELNS0_4arch9wavefront6targetE1EEEvT1_, .Lfunc_end2904-_ZN7rocprim17ROCPRIM_400000_NS6detail17trampoline_kernelINS0_14default_configENS1_25partition_config_selectorILNS1_17partition_subalgoE1EyNS0_10empty_typeEbEEZZNS1_14partition_implILS5_1ELb0ES3_jN6thrust23THRUST_200600_302600_NS6detail15normal_iteratorINSA_10device_ptrIyEEEEPS6_NSA_18transform_iteratorI7is_evenIyESF_NSA_11use_defaultESK_EENS0_5tupleIJNSA_16discard_iteratorISK_EESO_EEENSM_IJSG_SG_EEES6_PlJS6_EEE10hipError_tPvRmT3_T4_T5_T6_T7_T9_mT8_P12ihipStream_tbDpT10_ENKUlT_T0_E_clISt17integral_constantIbLb0EES1A_IbLb1EEEEDaS16_S17_EUlS16_E_NS1_11comp_targetILNS1_3genE10ELNS1_11target_archE1200ELNS1_3gpuE4ELNS1_3repE0EEENS1_30default_config_static_selectorELNS0_4arch9wavefront6targetE1EEEvT1_
                                        ; -- End function
	.section	.AMDGPU.csdata,"",@progbits
; Kernel info:
; codeLenInByte = 0
; NumSgprs: 6
; NumVgprs: 0
; NumAgprs: 0
; TotalNumVgprs: 0
; ScratchSize: 0
; MemoryBound: 0
; FloatMode: 240
; IeeeMode: 1
; LDSByteSize: 0 bytes/workgroup (compile time only)
; SGPRBlocks: 0
; VGPRBlocks: 0
; NumSGPRsForWavesPerEU: 6
; NumVGPRsForWavesPerEU: 1
; AccumOffset: 4
; Occupancy: 8
; WaveLimiterHint : 0
; COMPUTE_PGM_RSRC2:SCRATCH_EN: 0
; COMPUTE_PGM_RSRC2:USER_SGPR: 2
; COMPUTE_PGM_RSRC2:TRAP_HANDLER: 0
; COMPUTE_PGM_RSRC2:TGID_X_EN: 1
; COMPUTE_PGM_RSRC2:TGID_Y_EN: 0
; COMPUTE_PGM_RSRC2:TGID_Z_EN: 0
; COMPUTE_PGM_RSRC2:TIDIG_COMP_CNT: 0
; COMPUTE_PGM_RSRC3_GFX90A:ACCUM_OFFSET: 0
; COMPUTE_PGM_RSRC3_GFX90A:TG_SPLIT: 0
	.section	.text._ZN7rocprim17ROCPRIM_400000_NS6detail17trampoline_kernelINS0_14default_configENS1_25partition_config_selectorILNS1_17partition_subalgoE1EyNS0_10empty_typeEbEEZZNS1_14partition_implILS5_1ELb0ES3_jN6thrust23THRUST_200600_302600_NS6detail15normal_iteratorINSA_10device_ptrIyEEEEPS6_NSA_18transform_iteratorI7is_evenIyESF_NSA_11use_defaultESK_EENS0_5tupleIJNSA_16discard_iteratorISK_EESO_EEENSM_IJSG_SG_EEES6_PlJS6_EEE10hipError_tPvRmT3_T4_T5_T6_T7_T9_mT8_P12ihipStream_tbDpT10_ENKUlT_T0_E_clISt17integral_constantIbLb0EES1A_IbLb1EEEEDaS16_S17_EUlS16_E_NS1_11comp_targetILNS1_3genE9ELNS1_11target_archE1100ELNS1_3gpuE3ELNS1_3repE0EEENS1_30default_config_static_selectorELNS0_4arch9wavefront6targetE1EEEvT1_,"axG",@progbits,_ZN7rocprim17ROCPRIM_400000_NS6detail17trampoline_kernelINS0_14default_configENS1_25partition_config_selectorILNS1_17partition_subalgoE1EyNS0_10empty_typeEbEEZZNS1_14partition_implILS5_1ELb0ES3_jN6thrust23THRUST_200600_302600_NS6detail15normal_iteratorINSA_10device_ptrIyEEEEPS6_NSA_18transform_iteratorI7is_evenIyESF_NSA_11use_defaultESK_EENS0_5tupleIJNSA_16discard_iteratorISK_EESO_EEENSM_IJSG_SG_EEES6_PlJS6_EEE10hipError_tPvRmT3_T4_T5_T6_T7_T9_mT8_P12ihipStream_tbDpT10_ENKUlT_T0_E_clISt17integral_constantIbLb0EES1A_IbLb1EEEEDaS16_S17_EUlS16_E_NS1_11comp_targetILNS1_3genE9ELNS1_11target_archE1100ELNS1_3gpuE3ELNS1_3repE0EEENS1_30default_config_static_selectorELNS0_4arch9wavefront6targetE1EEEvT1_,comdat
	.protected	_ZN7rocprim17ROCPRIM_400000_NS6detail17trampoline_kernelINS0_14default_configENS1_25partition_config_selectorILNS1_17partition_subalgoE1EyNS0_10empty_typeEbEEZZNS1_14partition_implILS5_1ELb0ES3_jN6thrust23THRUST_200600_302600_NS6detail15normal_iteratorINSA_10device_ptrIyEEEEPS6_NSA_18transform_iteratorI7is_evenIyESF_NSA_11use_defaultESK_EENS0_5tupleIJNSA_16discard_iteratorISK_EESO_EEENSM_IJSG_SG_EEES6_PlJS6_EEE10hipError_tPvRmT3_T4_T5_T6_T7_T9_mT8_P12ihipStream_tbDpT10_ENKUlT_T0_E_clISt17integral_constantIbLb0EES1A_IbLb1EEEEDaS16_S17_EUlS16_E_NS1_11comp_targetILNS1_3genE9ELNS1_11target_archE1100ELNS1_3gpuE3ELNS1_3repE0EEENS1_30default_config_static_selectorELNS0_4arch9wavefront6targetE1EEEvT1_ ; -- Begin function _ZN7rocprim17ROCPRIM_400000_NS6detail17trampoline_kernelINS0_14default_configENS1_25partition_config_selectorILNS1_17partition_subalgoE1EyNS0_10empty_typeEbEEZZNS1_14partition_implILS5_1ELb0ES3_jN6thrust23THRUST_200600_302600_NS6detail15normal_iteratorINSA_10device_ptrIyEEEEPS6_NSA_18transform_iteratorI7is_evenIyESF_NSA_11use_defaultESK_EENS0_5tupleIJNSA_16discard_iteratorISK_EESO_EEENSM_IJSG_SG_EEES6_PlJS6_EEE10hipError_tPvRmT3_T4_T5_T6_T7_T9_mT8_P12ihipStream_tbDpT10_ENKUlT_T0_E_clISt17integral_constantIbLb0EES1A_IbLb1EEEEDaS16_S17_EUlS16_E_NS1_11comp_targetILNS1_3genE9ELNS1_11target_archE1100ELNS1_3gpuE3ELNS1_3repE0EEENS1_30default_config_static_selectorELNS0_4arch9wavefront6targetE1EEEvT1_
	.globl	_ZN7rocprim17ROCPRIM_400000_NS6detail17trampoline_kernelINS0_14default_configENS1_25partition_config_selectorILNS1_17partition_subalgoE1EyNS0_10empty_typeEbEEZZNS1_14partition_implILS5_1ELb0ES3_jN6thrust23THRUST_200600_302600_NS6detail15normal_iteratorINSA_10device_ptrIyEEEEPS6_NSA_18transform_iteratorI7is_evenIyESF_NSA_11use_defaultESK_EENS0_5tupleIJNSA_16discard_iteratorISK_EESO_EEENSM_IJSG_SG_EEES6_PlJS6_EEE10hipError_tPvRmT3_T4_T5_T6_T7_T9_mT8_P12ihipStream_tbDpT10_ENKUlT_T0_E_clISt17integral_constantIbLb0EES1A_IbLb1EEEEDaS16_S17_EUlS16_E_NS1_11comp_targetILNS1_3genE9ELNS1_11target_archE1100ELNS1_3gpuE3ELNS1_3repE0EEENS1_30default_config_static_selectorELNS0_4arch9wavefront6targetE1EEEvT1_
	.p2align	8
	.type	_ZN7rocprim17ROCPRIM_400000_NS6detail17trampoline_kernelINS0_14default_configENS1_25partition_config_selectorILNS1_17partition_subalgoE1EyNS0_10empty_typeEbEEZZNS1_14partition_implILS5_1ELb0ES3_jN6thrust23THRUST_200600_302600_NS6detail15normal_iteratorINSA_10device_ptrIyEEEEPS6_NSA_18transform_iteratorI7is_evenIyESF_NSA_11use_defaultESK_EENS0_5tupleIJNSA_16discard_iteratorISK_EESO_EEENSM_IJSG_SG_EEES6_PlJS6_EEE10hipError_tPvRmT3_T4_T5_T6_T7_T9_mT8_P12ihipStream_tbDpT10_ENKUlT_T0_E_clISt17integral_constantIbLb0EES1A_IbLb1EEEEDaS16_S17_EUlS16_E_NS1_11comp_targetILNS1_3genE9ELNS1_11target_archE1100ELNS1_3gpuE3ELNS1_3repE0EEENS1_30default_config_static_selectorELNS0_4arch9wavefront6targetE1EEEvT1_,@function
_ZN7rocprim17ROCPRIM_400000_NS6detail17trampoline_kernelINS0_14default_configENS1_25partition_config_selectorILNS1_17partition_subalgoE1EyNS0_10empty_typeEbEEZZNS1_14partition_implILS5_1ELb0ES3_jN6thrust23THRUST_200600_302600_NS6detail15normal_iteratorINSA_10device_ptrIyEEEEPS6_NSA_18transform_iteratorI7is_evenIyESF_NSA_11use_defaultESK_EENS0_5tupleIJNSA_16discard_iteratorISK_EESO_EEENSM_IJSG_SG_EEES6_PlJS6_EEE10hipError_tPvRmT3_T4_T5_T6_T7_T9_mT8_P12ihipStream_tbDpT10_ENKUlT_T0_E_clISt17integral_constantIbLb0EES1A_IbLb1EEEEDaS16_S17_EUlS16_E_NS1_11comp_targetILNS1_3genE9ELNS1_11target_archE1100ELNS1_3gpuE3ELNS1_3repE0EEENS1_30default_config_static_selectorELNS0_4arch9wavefront6targetE1EEEvT1_: ; @_ZN7rocprim17ROCPRIM_400000_NS6detail17trampoline_kernelINS0_14default_configENS1_25partition_config_selectorILNS1_17partition_subalgoE1EyNS0_10empty_typeEbEEZZNS1_14partition_implILS5_1ELb0ES3_jN6thrust23THRUST_200600_302600_NS6detail15normal_iteratorINSA_10device_ptrIyEEEEPS6_NSA_18transform_iteratorI7is_evenIyESF_NSA_11use_defaultESK_EENS0_5tupleIJNSA_16discard_iteratorISK_EESO_EEENSM_IJSG_SG_EEES6_PlJS6_EEE10hipError_tPvRmT3_T4_T5_T6_T7_T9_mT8_P12ihipStream_tbDpT10_ENKUlT_T0_E_clISt17integral_constantIbLb0EES1A_IbLb1EEEEDaS16_S17_EUlS16_E_NS1_11comp_targetILNS1_3genE9ELNS1_11target_archE1100ELNS1_3gpuE3ELNS1_3repE0EEENS1_30default_config_static_selectorELNS0_4arch9wavefront6targetE1EEEvT1_
; %bb.0:
	.section	.rodata,"a",@progbits
	.p2align	6, 0x0
	.amdhsa_kernel _ZN7rocprim17ROCPRIM_400000_NS6detail17trampoline_kernelINS0_14default_configENS1_25partition_config_selectorILNS1_17partition_subalgoE1EyNS0_10empty_typeEbEEZZNS1_14partition_implILS5_1ELb0ES3_jN6thrust23THRUST_200600_302600_NS6detail15normal_iteratorINSA_10device_ptrIyEEEEPS6_NSA_18transform_iteratorI7is_evenIyESF_NSA_11use_defaultESK_EENS0_5tupleIJNSA_16discard_iteratorISK_EESO_EEENSM_IJSG_SG_EEES6_PlJS6_EEE10hipError_tPvRmT3_T4_T5_T6_T7_T9_mT8_P12ihipStream_tbDpT10_ENKUlT_T0_E_clISt17integral_constantIbLb0EES1A_IbLb1EEEEDaS16_S17_EUlS16_E_NS1_11comp_targetILNS1_3genE9ELNS1_11target_archE1100ELNS1_3gpuE3ELNS1_3repE0EEENS1_30default_config_static_selectorELNS0_4arch9wavefront6targetE1EEEvT1_
		.amdhsa_group_segment_fixed_size 0
		.amdhsa_private_segment_fixed_size 0
		.amdhsa_kernarg_size 160
		.amdhsa_user_sgpr_count 2
		.amdhsa_user_sgpr_dispatch_ptr 0
		.amdhsa_user_sgpr_queue_ptr 0
		.amdhsa_user_sgpr_kernarg_segment_ptr 1
		.amdhsa_user_sgpr_dispatch_id 0
		.amdhsa_user_sgpr_kernarg_preload_length 0
		.amdhsa_user_sgpr_kernarg_preload_offset 0
		.amdhsa_user_sgpr_private_segment_size 0
		.amdhsa_uses_dynamic_stack 0
		.amdhsa_enable_private_segment 0
		.amdhsa_system_sgpr_workgroup_id_x 1
		.amdhsa_system_sgpr_workgroup_id_y 0
		.amdhsa_system_sgpr_workgroup_id_z 0
		.amdhsa_system_sgpr_workgroup_info 0
		.amdhsa_system_vgpr_workitem_id 0
		.amdhsa_next_free_vgpr 1
		.amdhsa_next_free_sgpr 0
		.amdhsa_accum_offset 4
		.amdhsa_reserve_vcc 0
		.amdhsa_float_round_mode_32 0
		.amdhsa_float_round_mode_16_64 0
		.amdhsa_float_denorm_mode_32 3
		.amdhsa_float_denorm_mode_16_64 3
		.amdhsa_dx10_clamp 1
		.amdhsa_ieee_mode 1
		.amdhsa_fp16_overflow 0
		.amdhsa_tg_split 0
		.amdhsa_exception_fp_ieee_invalid_op 0
		.amdhsa_exception_fp_denorm_src 0
		.amdhsa_exception_fp_ieee_div_zero 0
		.amdhsa_exception_fp_ieee_overflow 0
		.amdhsa_exception_fp_ieee_underflow 0
		.amdhsa_exception_fp_ieee_inexact 0
		.amdhsa_exception_int_div_zero 0
	.end_amdhsa_kernel
	.section	.text._ZN7rocprim17ROCPRIM_400000_NS6detail17trampoline_kernelINS0_14default_configENS1_25partition_config_selectorILNS1_17partition_subalgoE1EyNS0_10empty_typeEbEEZZNS1_14partition_implILS5_1ELb0ES3_jN6thrust23THRUST_200600_302600_NS6detail15normal_iteratorINSA_10device_ptrIyEEEEPS6_NSA_18transform_iteratorI7is_evenIyESF_NSA_11use_defaultESK_EENS0_5tupleIJNSA_16discard_iteratorISK_EESO_EEENSM_IJSG_SG_EEES6_PlJS6_EEE10hipError_tPvRmT3_T4_T5_T6_T7_T9_mT8_P12ihipStream_tbDpT10_ENKUlT_T0_E_clISt17integral_constantIbLb0EES1A_IbLb1EEEEDaS16_S17_EUlS16_E_NS1_11comp_targetILNS1_3genE9ELNS1_11target_archE1100ELNS1_3gpuE3ELNS1_3repE0EEENS1_30default_config_static_selectorELNS0_4arch9wavefront6targetE1EEEvT1_,"axG",@progbits,_ZN7rocprim17ROCPRIM_400000_NS6detail17trampoline_kernelINS0_14default_configENS1_25partition_config_selectorILNS1_17partition_subalgoE1EyNS0_10empty_typeEbEEZZNS1_14partition_implILS5_1ELb0ES3_jN6thrust23THRUST_200600_302600_NS6detail15normal_iteratorINSA_10device_ptrIyEEEEPS6_NSA_18transform_iteratorI7is_evenIyESF_NSA_11use_defaultESK_EENS0_5tupleIJNSA_16discard_iteratorISK_EESO_EEENSM_IJSG_SG_EEES6_PlJS6_EEE10hipError_tPvRmT3_T4_T5_T6_T7_T9_mT8_P12ihipStream_tbDpT10_ENKUlT_T0_E_clISt17integral_constantIbLb0EES1A_IbLb1EEEEDaS16_S17_EUlS16_E_NS1_11comp_targetILNS1_3genE9ELNS1_11target_archE1100ELNS1_3gpuE3ELNS1_3repE0EEENS1_30default_config_static_selectorELNS0_4arch9wavefront6targetE1EEEvT1_,comdat
.Lfunc_end2905:
	.size	_ZN7rocprim17ROCPRIM_400000_NS6detail17trampoline_kernelINS0_14default_configENS1_25partition_config_selectorILNS1_17partition_subalgoE1EyNS0_10empty_typeEbEEZZNS1_14partition_implILS5_1ELb0ES3_jN6thrust23THRUST_200600_302600_NS6detail15normal_iteratorINSA_10device_ptrIyEEEEPS6_NSA_18transform_iteratorI7is_evenIyESF_NSA_11use_defaultESK_EENS0_5tupleIJNSA_16discard_iteratorISK_EESO_EEENSM_IJSG_SG_EEES6_PlJS6_EEE10hipError_tPvRmT3_T4_T5_T6_T7_T9_mT8_P12ihipStream_tbDpT10_ENKUlT_T0_E_clISt17integral_constantIbLb0EES1A_IbLb1EEEEDaS16_S17_EUlS16_E_NS1_11comp_targetILNS1_3genE9ELNS1_11target_archE1100ELNS1_3gpuE3ELNS1_3repE0EEENS1_30default_config_static_selectorELNS0_4arch9wavefront6targetE1EEEvT1_, .Lfunc_end2905-_ZN7rocprim17ROCPRIM_400000_NS6detail17trampoline_kernelINS0_14default_configENS1_25partition_config_selectorILNS1_17partition_subalgoE1EyNS0_10empty_typeEbEEZZNS1_14partition_implILS5_1ELb0ES3_jN6thrust23THRUST_200600_302600_NS6detail15normal_iteratorINSA_10device_ptrIyEEEEPS6_NSA_18transform_iteratorI7is_evenIyESF_NSA_11use_defaultESK_EENS0_5tupleIJNSA_16discard_iteratorISK_EESO_EEENSM_IJSG_SG_EEES6_PlJS6_EEE10hipError_tPvRmT3_T4_T5_T6_T7_T9_mT8_P12ihipStream_tbDpT10_ENKUlT_T0_E_clISt17integral_constantIbLb0EES1A_IbLb1EEEEDaS16_S17_EUlS16_E_NS1_11comp_targetILNS1_3genE9ELNS1_11target_archE1100ELNS1_3gpuE3ELNS1_3repE0EEENS1_30default_config_static_selectorELNS0_4arch9wavefront6targetE1EEEvT1_
                                        ; -- End function
	.section	.AMDGPU.csdata,"",@progbits
; Kernel info:
; codeLenInByte = 0
; NumSgprs: 6
; NumVgprs: 0
; NumAgprs: 0
; TotalNumVgprs: 0
; ScratchSize: 0
; MemoryBound: 0
; FloatMode: 240
; IeeeMode: 1
; LDSByteSize: 0 bytes/workgroup (compile time only)
; SGPRBlocks: 0
; VGPRBlocks: 0
; NumSGPRsForWavesPerEU: 6
; NumVGPRsForWavesPerEU: 1
; AccumOffset: 4
; Occupancy: 8
; WaveLimiterHint : 0
; COMPUTE_PGM_RSRC2:SCRATCH_EN: 0
; COMPUTE_PGM_RSRC2:USER_SGPR: 2
; COMPUTE_PGM_RSRC2:TRAP_HANDLER: 0
; COMPUTE_PGM_RSRC2:TGID_X_EN: 1
; COMPUTE_PGM_RSRC2:TGID_Y_EN: 0
; COMPUTE_PGM_RSRC2:TGID_Z_EN: 0
; COMPUTE_PGM_RSRC2:TIDIG_COMP_CNT: 0
; COMPUTE_PGM_RSRC3_GFX90A:ACCUM_OFFSET: 0
; COMPUTE_PGM_RSRC3_GFX90A:TG_SPLIT: 0
	.section	.text._ZN7rocprim17ROCPRIM_400000_NS6detail17trampoline_kernelINS0_14default_configENS1_25partition_config_selectorILNS1_17partition_subalgoE1EyNS0_10empty_typeEbEEZZNS1_14partition_implILS5_1ELb0ES3_jN6thrust23THRUST_200600_302600_NS6detail15normal_iteratorINSA_10device_ptrIyEEEEPS6_NSA_18transform_iteratorI7is_evenIyESF_NSA_11use_defaultESK_EENS0_5tupleIJNSA_16discard_iteratorISK_EESO_EEENSM_IJSG_SG_EEES6_PlJS6_EEE10hipError_tPvRmT3_T4_T5_T6_T7_T9_mT8_P12ihipStream_tbDpT10_ENKUlT_T0_E_clISt17integral_constantIbLb0EES1A_IbLb1EEEEDaS16_S17_EUlS16_E_NS1_11comp_targetILNS1_3genE8ELNS1_11target_archE1030ELNS1_3gpuE2ELNS1_3repE0EEENS1_30default_config_static_selectorELNS0_4arch9wavefront6targetE1EEEvT1_,"axG",@progbits,_ZN7rocprim17ROCPRIM_400000_NS6detail17trampoline_kernelINS0_14default_configENS1_25partition_config_selectorILNS1_17partition_subalgoE1EyNS0_10empty_typeEbEEZZNS1_14partition_implILS5_1ELb0ES3_jN6thrust23THRUST_200600_302600_NS6detail15normal_iteratorINSA_10device_ptrIyEEEEPS6_NSA_18transform_iteratorI7is_evenIyESF_NSA_11use_defaultESK_EENS0_5tupleIJNSA_16discard_iteratorISK_EESO_EEENSM_IJSG_SG_EEES6_PlJS6_EEE10hipError_tPvRmT3_T4_T5_T6_T7_T9_mT8_P12ihipStream_tbDpT10_ENKUlT_T0_E_clISt17integral_constantIbLb0EES1A_IbLb1EEEEDaS16_S17_EUlS16_E_NS1_11comp_targetILNS1_3genE8ELNS1_11target_archE1030ELNS1_3gpuE2ELNS1_3repE0EEENS1_30default_config_static_selectorELNS0_4arch9wavefront6targetE1EEEvT1_,comdat
	.protected	_ZN7rocprim17ROCPRIM_400000_NS6detail17trampoline_kernelINS0_14default_configENS1_25partition_config_selectorILNS1_17partition_subalgoE1EyNS0_10empty_typeEbEEZZNS1_14partition_implILS5_1ELb0ES3_jN6thrust23THRUST_200600_302600_NS6detail15normal_iteratorINSA_10device_ptrIyEEEEPS6_NSA_18transform_iteratorI7is_evenIyESF_NSA_11use_defaultESK_EENS0_5tupleIJNSA_16discard_iteratorISK_EESO_EEENSM_IJSG_SG_EEES6_PlJS6_EEE10hipError_tPvRmT3_T4_T5_T6_T7_T9_mT8_P12ihipStream_tbDpT10_ENKUlT_T0_E_clISt17integral_constantIbLb0EES1A_IbLb1EEEEDaS16_S17_EUlS16_E_NS1_11comp_targetILNS1_3genE8ELNS1_11target_archE1030ELNS1_3gpuE2ELNS1_3repE0EEENS1_30default_config_static_selectorELNS0_4arch9wavefront6targetE1EEEvT1_ ; -- Begin function _ZN7rocprim17ROCPRIM_400000_NS6detail17trampoline_kernelINS0_14default_configENS1_25partition_config_selectorILNS1_17partition_subalgoE1EyNS0_10empty_typeEbEEZZNS1_14partition_implILS5_1ELb0ES3_jN6thrust23THRUST_200600_302600_NS6detail15normal_iteratorINSA_10device_ptrIyEEEEPS6_NSA_18transform_iteratorI7is_evenIyESF_NSA_11use_defaultESK_EENS0_5tupleIJNSA_16discard_iteratorISK_EESO_EEENSM_IJSG_SG_EEES6_PlJS6_EEE10hipError_tPvRmT3_T4_T5_T6_T7_T9_mT8_P12ihipStream_tbDpT10_ENKUlT_T0_E_clISt17integral_constantIbLb0EES1A_IbLb1EEEEDaS16_S17_EUlS16_E_NS1_11comp_targetILNS1_3genE8ELNS1_11target_archE1030ELNS1_3gpuE2ELNS1_3repE0EEENS1_30default_config_static_selectorELNS0_4arch9wavefront6targetE1EEEvT1_
	.globl	_ZN7rocprim17ROCPRIM_400000_NS6detail17trampoline_kernelINS0_14default_configENS1_25partition_config_selectorILNS1_17partition_subalgoE1EyNS0_10empty_typeEbEEZZNS1_14partition_implILS5_1ELb0ES3_jN6thrust23THRUST_200600_302600_NS6detail15normal_iteratorINSA_10device_ptrIyEEEEPS6_NSA_18transform_iteratorI7is_evenIyESF_NSA_11use_defaultESK_EENS0_5tupleIJNSA_16discard_iteratorISK_EESO_EEENSM_IJSG_SG_EEES6_PlJS6_EEE10hipError_tPvRmT3_T4_T5_T6_T7_T9_mT8_P12ihipStream_tbDpT10_ENKUlT_T0_E_clISt17integral_constantIbLb0EES1A_IbLb1EEEEDaS16_S17_EUlS16_E_NS1_11comp_targetILNS1_3genE8ELNS1_11target_archE1030ELNS1_3gpuE2ELNS1_3repE0EEENS1_30default_config_static_selectorELNS0_4arch9wavefront6targetE1EEEvT1_
	.p2align	8
	.type	_ZN7rocprim17ROCPRIM_400000_NS6detail17trampoline_kernelINS0_14default_configENS1_25partition_config_selectorILNS1_17partition_subalgoE1EyNS0_10empty_typeEbEEZZNS1_14partition_implILS5_1ELb0ES3_jN6thrust23THRUST_200600_302600_NS6detail15normal_iteratorINSA_10device_ptrIyEEEEPS6_NSA_18transform_iteratorI7is_evenIyESF_NSA_11use_defaultESK_EENS0_5tupleIJNSA_16discard_iteratorISK_EESO_EEENSM_IJSG_SG_EEES6_PlJS6_EEE10hipError_tPvRmT3_T4_T5_T6_T7_T9_mT8_P12ihipStream_tbDpT10_ENKUlT_T0_E_clISt17integral_constantIbLb0EES1A_IbLb1EEEEDaS16_S17_EUlS16_E_NS1_11comp_targetILNS1_3genE8ELNS1_11target_archE1030ELNS1_3gpuE2ELNS1_3repE0EEENS1_30default_config_static_selectorELNS0_4arch9wavefront6targetE1EEEvT1_,@function
_ZN7rocprim17ROCPRIM_400000_NS6detail17trampoline_kernelINS0_14default_configENS1_25partition_config_selectorILNS1_17partition_subalgoE1EyNS0_10empty_typeEbEEZZNS1_14partition_implILS5_1ELb0ES3_jN6thrust23THRUST_200600_302600_NS6detail15normal_iteratorINSA_10device_ptrIyEEEEPS6_NSA_18transform_iteratorI7is_evenIyESF_NSA_11use_defaultESK_EENS0_5tupleIJNSA_16discard_iteratorISK_EESO_EEENSM_IJSG_SG_EEES6_PlJS6_EEE10hipError_tPvRmT3_T4_T5_T6_T7_T9_mT8_P12ihipStream_tbDpT10_ENKUlT_T0_E_clISt17integral_constantIbLb0EES1A_IbLb1EEEEDaS16_S17_EUlS16_E_NS1_11comp_targetILNS1_3genE8ELNS1_11target_archE1030ELNS1_3gpuE2ELNS1_3repE0EEENS1_30default_config_static_selectorELNS0_4arch9wavefront6targetE1EEEvT1_: ; @_ZN7rocprim17ROCPRIM_400000_NS6detail17trampoline_kernelINS0_14default_configENS1_25partition_config_selectorILNS1_17partition_subalgoE1EyNS0_10empty_typeEbEEZZNS1_14partition_implILS5_1ELb0ES3_jN6thrust23THRUST_200600_302600_NS6detail15normal_iteratorINSA_10device_ptrIyEEEEPS6_NSA_18transform_iteratorI7is_evenIyESF_NSA_11use_defaultESK_EENS0_5tupleIJNSA_16discard_iteratorISK_EESO_EEENSM_IJSG_SG_EEES6_PlJS6_EEE10hipError_tPvRmT3_T4_T5_T6_T7_T9_mT8_P12ihipStream_tbDpT10_ENKUlT_T0_E_clISt17integral_constantIbLb0EES1A_IbLb1EEEEDaS16_S17_EUlS16_E_NS1_11comp_targetILNS1_3genE8ELNS1_11target_archE1030ELNS1_3gpuE2ELNS1_3repE0EEENS1_30default_config_static_selectorELNS0_4arch9wavefront6targetE1EEEvT1_
; %bb.0:
	.section	.rodata,"a",@progbits
	.p2align	6, 0x0
	.amdhsa_kernel _ZN7rocprim17ROCPRIM_400000_NS6detail17trampoline_kernelINS0_14default_configENS1_25partition_config_selectorILNS1_17partition_subalgoE1EyNS0_10empty_typeEbEEZZNS1_14partition_implILS5_1ELb0ES3_jN6thrust23THRUST_200600_302600_NS6detail15normal_iteratorINSA_10device_ptrIyEEEEPS6_NSA_18transform_iteratorI7is_evenIyESF_NSA_11use_defaultESK_EENS0_5tupleIJNSA_16discard_iteratorISK_EESO_EEENSM_IJSG_SG_EEES6_PlJS6_EEE10hipError_tPvRmT3_T4_T5_T6_T7_T9_mT8_P12ihipStream_tbDpT10_ENKUlT_T0_E_clISt17integral_constantIbLb0EES1A_IbLb1EEEEDaS16_S17_EUlS16_E_NS1_11comp_targetILNS1_3genE8ELNS1_11target_archE1030ELNS1_3gpuE2ELNS1_3repE0EEENS1_30default_config_static_selectorELNS0_4arch9wavefront6targetE1EEEvT1_
		.amdhsa_group_segment_fixed_size 0
		.amdhsa_private_segment_fixed_size 0
		.amdhsa_kernarg_size 160
		.amdhsa_user_sgpr_count 2
		.amdhsa_user_sgpr_dispatch_ptr 0
		.amdhsa_user_sgpr_queue_ptr 0
		.amdhsa_user_sgpr_kernarg_segment_ptr 1
		.amdhsa_user_sgpr_dispatch_id 0
		.amdhsa_user_sgpr_kernarg_preload_length 0
		.amdhsa_user_sgpr_kernarg_preload_offset 0
		.amdhsa_user_sgpr_private_segment_size 0
		.amdhsa_uses_dynamic_stack 0
		.amdhsa_enable_private_segment 0
		.amdhsa_system_sgpr_workgroup_id_x 1
		.amdhsa_system_sgpr_workgroup_id_y 0
		.amdhsa_system_sgpr_workgroup_id_z 0
		.amdhsa_system_sgpr_workgroup_info 0
		.amdhsa_system_vgpr_workitem_id 0
		.amdhsa_next_free_vgpr 1
		.amdhsa_next_free_sgpr 0
		.amdhsa_accum_offset 4
		.amdhsa_reserve_vcc 0
		.amdhsa_float_round_mode_32 0
		.amdhsa_float_round_mode_16_64 0
		.amdhsa_float_denorm_mode_32 3
		.amdhsa_float_denorm_mode_16_64 3
		.amdhsa_dx10_clamp 1
		.amdhsa_ieee_mode 1
		.amdhsa_fp16_overflow 0
		.amdhsa_tg_split 0
		.amdhsa_exception_fp_ieee_invalid_op 0
		.amdhsa_exception_fp_denorm_src 0
		.amdhsa_exception_fp_ieee_div_zero 0
		.amdhsa_exception_fp_ieee_overflow 0
		.amdhsa_exception_fp_ieee_underflow 0
		.amdhsa_exception_fp_ieee_inexact 0
		.amdhsa_exception_int_div_zero 0
	.end_amdhsa_kernel
	.section	.text._ZN7rocprim17ROCPRIM_400000_NS6detail17trampoline_kernelINS0_14default_configENS1_25partition_config_selectorILNS1_17partition_subalgoE1EyNS0_10empty_typeEbEEZZNS1_14partition_implILS5_1ELb0ES3_jN6thrust23THRUST_200600_302600_NS6detail15normal_iteratorINSA_10device_ptrIyEEEEPS6_NSA_18transform_iteratorI7is_evenIyESF_NSA_11use_defaultESK_EENS0_5tupleIJNSA_16discard_iteratorISK_EESO_EEENSM_IJSG_SG_EEES6_PlJS6_EEE10hipError_tPvRmT3_T4_T5_T6_T7_T9_mT8_P12ihipStream_tbDpT10_ENKUlT_T0_E_clISt17integral_constantIbLb0EES1A_IbLb1EEEEDaS16_S17_EUlS16_E_NS1_11comp_targetILNS1_3genE8ELNS1_11target_archE1030ELNS1_3gpuE2ELNS1_3repE0EEENS1_30default_config_static_selectorELNS0_4arch9wavefront6targetE1EEEvT1_,"axG",@progbits,_ZN7rocprim17ROCPRIM_400000_NS6detail17trampoline_kernelINS0_14default_configENS1_25partition_config_selectorILNS1_17partition_subalgoE1EyNS0_10empty_typeEbEEZZNS1_14partition_implILS5_1ELb0ES3_jN6thrust23THRUST_200600_302600_NS6detail15normal_iteratorINSA_10device_ptrIyEEEEPS6_NSA_18transform_iteratorI7is_evenIyESF_NSA_11use_defaultESK_EENS0_5tupleIJNSA_16discard_iteratorISK_EESO_EEENSM_IJSG_SG_EEES6_PlJS6_EEE10hipError_tPvRmT3_T4_T5_T6_T7_T9_mT8_P12ihipStream_tbDpT10_ENKUlT_T0_E_clISt17integral_constantIbLb0EES1A_IbLb1EEEEDaS16_S17_EUlS16_E_NS1_11comp_targetILNS1_3genE8ELNS1_11target_archE1030ELNS1_3gpuE2ELNS1_3repE0EEENS1_30default_config_static_selectorELNS0_4arch9wavefront6targetE1EEEvT1_,comdat
.Lfunc_end2906:
	.size	_ZN7rocprim17ROCPRIM_400000_NS6detail17trampoline_kernelINS0_14default_configENS1_25partition_config_selectorILNS1_17partition_subalgoE1EyNS0_10empty_typeEbEEZZNS1_14partition_implILS5_1ELb0ES3_jN6thrust23THRUST_200600_302600_NS6detail15normal_iteratorINSA_10device_ptrIyEEEEPS6_NSA_18transform_iteratorI7is_evenIyESF_NSA_11use_defaultESK_EENS0_5tupleIJNSA_16discard_iteratorISK_EESO_EEENSM_IJSG_SG_EEES6_PlJS6_EEE10hipError_tPvRmT3_T4_T5_T6_T7_T9_mT8_P12ihipStream_tbDpT10_ENKUlT_T0_E_clISt17integral_constantIbLb0EES1A_IbLb1EEEEDaS16_S17_EUlS16_E_NS1_11comp_targetILNS1_3genE8ELNS1_11target_archE1030ELNS1_3gpuE2ELNS1_3repE0EEENS1_30default_config_static_selectorELNS0_4arch9wavefront6targetE1EEEvT1_, .Lfunc_end2906-_ZN7rocprim17ROCPRIM_400000_NS6detail17trampoline_kernelINS0_14default_configENS1_25partition_config_selectorILNS1_17partition_subalgoE1EyNS0_10empty_typeEbEEZZNS1_14partition_implILS5_1ELb0ES3_jN6thrust23THRUST_200600_302600_NS6detail15normal_iteratorINSA_10device_ptrIyEEEEPS6_NSA_18transform_iteratorI7is_evenIyESF_NSA_11use_defaultESK_EENS0_5tupleIJNSA_16discard_iteratorISK_EESO_EEENSM_IJSG_SG_EEES6_PlJS6_EEE10hipError_tPvRmT3_T4_T5_T6_T7_T9_mT8_P12ihipStream_tbDpT10_ENKUlT_T0_E_clISt17integral_constantIbLb0EES1A_IbLb1EEEEDaS16_S17_EUlS16_E_NS1_11comp_targetILNS1_3genE8ELNS1_11target_archE1030ELNS1_3gpuE2ELNS1_3repE0EEENS1_30default_config_static_selectorELNS0_4arch9wavefront6targetE1EEEvT1_
                                        ; -- End function
	.section	.AMDGPU.csdata,"",@progbits
; Kernel info:
; codeLenInByte = 0
; NumSgprs: 6
; NumVgprs: 0
; NumAgprs: 0
; TotalNumVgprs: 0
; ScratchSize: 0
; MemoryBound: 0
; FloatMode: 240
; IeeeMode: 1
; LDSByteSize: 0 bytes/workgroup (compile time only)
; SGPRBlocks: 0
; VGPRBlocks: 0
; NumSGPRsForWavesPerEU: 6
; NumVGPRsForWavesPerEU: 1
; AccumOffset: 4
; Occupancy: 8
; WaveLimiterHint : 0
; COMPUTE_PGM_RSRC2:SCRATCH_EN: 0
; COMPUTE_PGM_RSRC2:USER_SGPR: 2
; COMPUTE_PGM_RSRC2:TRAP_HANDLER: 0
; COMPUTE_PGM_RSRC2:TGID_X_EN: 1
; COMPUTE_PGM_RSRC2:TGID_Y_EN: 0
; COMPUTE_PGM_RSRC2:TGID_Z_EN: 0
; COMPUTE_PGM_RSRC2:TIDIG_COMP_CNT: 0
; COMPUTE_PGM_RSRC3_GFX90A:ACCUM_OFFSET: 0
; COMPUTE_PGM_RSRC3_GFX90A:TG_SPLIT: 0
	.section	.text._ZN7rocprim17ROCPRIM_400000_NS6detail17trampoline_kernelINS0_14default_configENS1_25partition_config_selectorILNS1_17partition_subalgoE1EyNS0_10empty_typeEbEEZZNS1_14partition_implILS5_1ELb0ES3_jN6thrust23THRUST_200600_302600_NS6detail15normal_iteratorINSA_10device_ptrIyEEEEPS6_NSA_18transform_iteratorI7is_evenIyESF_NSA_11use_defaultESK_EENS0_5tupleIJSF_NSA_16discard_iteratorISK_EEEEENSM_IJSG_SG_EEES6_PlJS6_EEE10hipError_tPvRmT3_T4_T5_T6_T7_T9_mT8_P12ihipStream_tbDpT10_ENKUlT_T0_E_clISt17integral_constantIbLb0EES1B_EEDaS16_S17_EUlS16_E_NS1_11comp_targetILNS1_3genE0ELNS1_11target_archE4294967295ELNS1_3gpuE0ELNS1_3repE0EEENS1_30default_config_static_selectorELNS0_4arch9wavefront6targetE1EEEvT1_,"axG",@progbits,_ZN7rocprim17ROCPRIM_400000_NS6detail17trampoline_kernelINS0_14default_configENS1_25partition_config_selectorILNS1_17partition_subalgoE1EyNS0_10empty_typeEbEEZZNS1_14partition_implILS5_1ELb0ES3_jN6thrust23THRUST_200600_302600_NS6detail15normal_iteratorINSA_10device_ptrIyEEEEPS6_NSA_18transform_iteratorI7is_evenIyESF_NSA_11use_defaultESK_EENS0_5tupleIJSF_NSA_16discard_iteratorISK_EEEEENSM_IJSG_SG_EEES6_PlJS6_EEE10hipError_tPvRmT3_T4_T5_T6_T7_T9_mT8_P12ihipStream_tbDpT10_ENKUlT_T0_E_clISt17integral_constantIbLb0EES1B_EEDaS16_S17_EUlS16_E_NS1_11comp_targetILNS1_3genE0ELNS1_11target_archE4294967295ELNS1_3gpuE0ELNS1_3repE0EEENS1_30default_config_static_selectorELNS0_4arch9wavefront6targetE1EEEvT1_,comdat
	.protected	_ZN7rocprim17ROCPRIM_400000_NS6detail17trampoline_kernelINS0_14default_configENS1_25partition_config_selectorILNS1_17partition_subalgoE1EyNS0_10empty_typeEbEEZZNS1_14partition_implILS5_1ELb0ES3_jN6thrust23THRUST_200600_302600_NS6detail15normal_iteratorINSA_10device_ptrIyEEEEPS6_NSA_18transform_iteratorI7is_evenIyESF_NSA_11use_defaultESK_EENS0_5tupleIJSF_NSA_16discard_iteratorISK_EEEEENSM_IJSG_SG_EEES6_PlJS6_EEE10hipError_tPvRmT3_T4_T5_T6_T7_T9_mT8_P12ihipStream_tbDpT10_ENKUlT_T0_E_clISt17integral_constantIbLb0EES1B_EEDaS16_S17_EUlS16_E_NS1_11comp_targetILNS1_3genE0ELNS1_11target_archE4294967295ELNS1_3gpuE0ELNS1_3repE0EEENS1_30default_config_static_selectorELNS0_4arch9wavefront6targetE1EEEvT1_ ; -- Begin function _ZN7rocprim17ROCPRIM_400000_NS6detail17trampoline_kernelINS0_14default_configENS1_25partition_config_selectorILNS1_17partition_subalgoE1EyNS0_10empty_typeEbEEZZNS1_14partition_implILS5_1ELb0ES3_jN6thrust23THRUST_200600_302600_NS6detail15normal_iteratorINSA_10device_ptrIyEEEEPS6_NSA_18transform_iteratorI7is_evenIyESF_NSA_11use_defaultESK_EENS0_5tupleIJSF_NSA_16discard_iteratorISK_EEEEENSM_IJSG_SG_EEES6_PlJS6_EEE10hipError_tPvRmT3_T4_T5_T6_T7_T9_mT8_P12ihipStream_tbDpT10_ENKUlT_T0_E_clISt17integral_constantIbLb0EES1B_EEDaS16_S17_EUlS16_E_NS1_11comp_targetILNS1_3genE0ELNS1_11target_archE4294967295ELNS1_3gpuE0ELNS1_3repE0EEENS1_30default_config_static_selectorELNS0_4arch9wavefront6targetE1EEEvT1_
	.globl	_ZN7rocprim17ROCPRIM_400000_NS6detail17trampoline_kernelINS0_14default_configENS1_25partition_config_selectorILNS1_17partition_subalgoE1EyNS0_10empty_typeEbEEZZNS1_14partition_implILS5_1ELb0ES3_jN6thrust23THRUST_200600_302600_NS6detail15normal_iteratorINSA_10device_ptrIyEEEEPS6_NSA_18transform_iteratorI7is_evenIyESF_NSA_11use_defaultESK_EENS0_5tupleIJSF_NSA_16discard_iteratorISK_EEEEENSM_IJSG_SG_EEES6_PlJS6_EEE10hipError_tPvRmT3_T4_T5_T6_T7_T9_mT8_P12ihipStream_tbDpT10_ENKUlT_T0_E_clISt17integral_constantIbLb0EES1B_EEDaS16_S17_EUlS16_E_NS1_11comp_targetILNS1_3genE0ELNS1_11target_archE4294967295ELNS1_3gpuE0ELNS1_3repE0EEENS1_30default_config_static_selectorELNS0_4arch9wavefront6targetE1EEEvT1_
	.p2align	8
	.type	_ZN7rocprim17ROCPRIM_400000_NS6detail17trampoline_kernelINS0_14default_configENS1_25partition_config_selectorILNS1_17partition_subalgoE1EyNS0_10empty_typeEbEEZZNS1_14partition_implILS5_1ELb0ES3_jN6thrust23THRUST_200600_302600_NS6detail15normal_iteratorINSA_10device_ptrIyEEEEPS6_NSA_18transform_iteratorI7is_evenIyESF_NSA_11use_defaultESK_EENS0_5tupleIJSF_NSA_16discard_iteratorISK_EEEEENSM_IJSG_SG_EEES6_PlJS6_EEE10hipError_tPvRmT3_T4_T5_T6_T7_T9_mT8_P12ihipStream_tbDpT10_ENKUlT_T0_E_clISt17integral_constantIbLb0EES1B_EEDaS16_S17_EUlS16_E_NS1_11comp_targetILNS1_3genE0ELNS1_11target_archE4294967295ELNS1_3gpuE0ELNS1_3repE0EEENS1_30default_config_static_selectorELNS0_4arch9wavefront6targetE1EEEvT1_,@function
_ZN7rocprim17ROCPRIM_400000_NS6detail17trampoline_kernelINS0_14default_configENS1_25partition_config_selectorILNS1_17partition_subalgoE1EyNS0_10empty_typeEbEEZZNS1_14partition_implILS5_1ELb0ES3_jN6thrust23THRUST_200600_302600_NS6detail15normal_iteratorINSA_10device_ptrIyEEEEPS6_NSA_18transform_iteratorI7is_evenIyESF_NSA_11use_defaultESK_EENS0_5tupleIJSF_NSA_16discard_iteratorISK_EEEEENSM_IJSG_SG_EEES6_PlJS6_EEE10hipError_tPvRmT3_T4_T5_T6_T7_T9_mT8_P12ihipStream_tbDpT10_ENKUlT_T0_E_clISt17integral_constantIbLb0EES1B_EEDaS16_S17_EUlS16_E_NS1_11comp_targetILNS1_3genE0ELNS1_11target_archE4294967295ELNS1_3gpuE0ELNS1_3repE0EEENS1_30default_config_static_selectorELNS0_4arch9wavefront6targetE1EEEvT1_: ; @_ZN7rocprim17ROCPRIM_400000_NS6detail17trampoline_kernelINS0_14default_configENS1_25partition_config_selectorILNS1_17partition_subalgoE1EyNS0_10empty_typeEbEEZZNS1_14partition_implILS5_1ELb0ES3_jN6thrust23THRUST_200600_302600_NS6detail15normal_iteratorINSA_10device_ptrIyEEEEPS6_NSA_18transform_iteratorI7is_evenIyESF_NSA_11use_defaultESK_EENS0_5tupleIJSF_NSA_16discard_iteratorISK_EEEEENSM_IJSG_SG_EEES6_PlJS6_EEE10hipError_tPvRmT3_T4_T5_T6_T7_T9_mT8_P12ihipStream_tbDpT10_ENKUlT_T0_E_clISt17integral_constantIbLb0EES1B_EEDaS16_S17_EUlS16_E_NS1_11comp_targetILNS1_3genE0ELNS1_11target_archE4294967295ELNS1_3gpuE0ELNS1_3repE0EEENS1_30default_config_static_selectorELNS0_4arch9wavefront6targetE1EEEvT1_
; %bb.0:
	.section	.rodata,"a",@progbits
	.p2align	6, 0x0
	.amdhsa_kernel _ZN7rocprim17ROCPRIM_400000_NS6detail17trampoline_kernelINS0_14default_configENS1_25partition_config_selectorILNS1_17partition_subalgoE1EyNS0_10empty_typeEbEEZZNS1_14partition_implILS5_1ELb0ES3_jN6thrust23THRUST_200600_302600_NS6detail15normal_iteratorINSA_10device_ptrIyEEEEPS6_NSA_18transform_iteratorI7is_evenIyESF_NSA_11use_defaultESK_EENS0_5tupleIJSF_NSA_16discard_iteratorISK_EEEEENSM_IJSG_SG_EEES6_PlJS6_EEE10hipError_tPvRmT3_T4_T5_T6_T7_T9_mT8_P12ihipStream_tbDpT10_ENKUlT_T0_E_clISt17integral_constantIbLb0EES1B_EEDaS16_S17_EUlS16_E_NS1_11comp_targetILNS1_3genE0ELNS1_11target_archE4294967295ELNS1_3gpuE0ELNS1_3repE0EEENS1_30default_config_static_selectorELNS0_4arch9wavefront6targetE1EEEvT1_
		.amdhsa_group_segment_fixed_size 0
		.amdhsa_private_segment_fixed_size 0
		.amdhsa_kernarg_size 136
		.amdhsa_user_sgpr_count 2
		.amdhsa_user_sgpr_dispatch_ptr 0
		.amdhsa_user_sgpr_queue_ptr 0
		.amdhsa_user_sgpr_kernarg_segment_ptr 1
		.amdhsa_user_sgpr_dispatch_id 0
		.amdhsa_user_sgpr_kernarg_preload_length 0
		.amdhsa_user_sgpr_kernarg_preload_offset 0
		.amdhsa_user_sgpr_private_segment_size 0
		.amdhsa_uses_dynamic_stack 0
		.amdhsa_enable_private_segment 0
		.amdhsa_system_sgpr_workgroup_id_x 1
		.amdhsa_system_sgpr_workgroup_id_y 0
		.amdhsa_system_sgpr_workgroup_id_z 0
		.amdhsa_system_sgpr_workgroup_info 0
		.amdhsa_system_vgpr_workitem_id 0
		.amdhsa_next_free_vgpr 1
		.amdhsa_next_free_sgpr 0
		.amdhsa_accum_offset 4
		.amdhsa_reserve_vcc 0
		.amdhsa_float_round_mode_32 0
		.amdhsa_float_round_mode_16_64 0
		.amdhsa_float_denorm_mode_32 3
		.amdhsa_float_denorm_mode_16_64 3
		.amdhsa_dx10_clamp 1
		.amdhsa_ieee_mode 1
		.amdhsa_fp16_overflow 0
		.amdhsa_tg_split 0
		.amdhsa_exception_fp_ieee_invalid_op 0
		.amdhsa_exception_fp_denorm_src 0
		.amdhsa_exception_fp_ieee_div_zero 0
		.amdhsa_exception_fp_ieee_overflow 0
		.amdhsa_exception_fp_ieee_underflow 0
		.amdhsa_exception_fp_ieee_inexact 0
		.amdhsa_exception_int_div_zero 0
	.end_amdhsa_kernel
	.section	.text._ZN7rocprim17ROCPRIM_400000_NS6detail17trampoline_kernelINS0_14default_configENS1_25partition_config_selectorILNS1_17partition_subalgoE1EyNS0_10empty_typeEbEEZZNS1_14partition_implILS5_1ELb0ES3_jN6thrust23THRUST_200600_302600_NS6detail15normal_iteratorINSA_10device_ptrIyEEEEPS6_NSA_18transform_iteratorI7is_evenIyESF_NSA_11use_defaultESK_EENS0_5tupleIJSF_NSA_16discard_iteratorISK_EEEEENSM_IJSG_SG_EEES6_PlJS6_EEE10hipError_tPvRmT3_T4_T5_T6_T7_T9_mT8_P12ihipStream_tbDpT10_ENKUlT_T0_E_clISt17integral_constantIbLb0EES1B_EEDaS16_S17_EUlS16_E_NS1_11comp_targetILNS1_3genE0ELNS1_11target_archE4294967295ELNS1_3gpuE0ELNS1_3repE0EEENS1_30default_config_static_selectorELNS0_4arch9wavefront6targetE1EEEvT1_,"axG",@progbits,_ZN7rocprim17ROCPRIM_400000_NS6detail17trampoline_kernelINS0_14default_configENS1_25partition_config_selectorILNS1_17partition_subalgoE1EyNS0_10empty_typeEbEEZZNS1_14partition_implILS5_1ELb0ES3_jN6thrust23THRUST_200600_302600_NS6detail15normal_iteratorINSA_10device_ptrIyEEEEPS6_NSA_18transform_iteratorI7is_evenIyESF_NSA_11use_defaultESK_EENS0_5tupleIJSF_NSA_16discard_iteratorISK_EEEEENSM_IJSG_SG_EEES6_PlJS6_EEE10hipError_tPvRmT3_T4_T5_T6_T7_T9_mT8_P12ihipStream_tbDpT10_ENKUlT_T0_E_clISt17integral_constantIbLb0EES1B_EEDaS16_S17_EUlS16_E_NS1_11comp_targetILNS1_3genE0ELNS1_11target_archE4294967295ELNS1_3gpuE0ELNS1_3repE0EEENS1_30default_config_static_selectorELNS0_4arch9wavefront6targetE1EEEvT1_,comdat
.Lfunc_end2907:
	.size	_ZN7rocprim17ROCPRIM_400000_NS6detail17trampoline_kernelINS0_14default_configENS1_25partition_config_selectorILNS1_17partition_subalgoE1EyNS0_10empty_typeEbEEZZNS1_14partition_implILS5_1ELb0ES3_jN6thrust23THRUST_200600_302600_NS6detail15normal_iteratorINSA_10device_ptrIyEEEEPS6_NSA_18transform_iteratorI7is_evenIyESF_NSA_11use_defaultESK_EENS0_5tupleIJSF_NSA_16discard_iteratorISK_EEEEENSM_IJSG_SG_EEES6_PlJS6_EEE10hipError_tPvRmT3_T4_T5_T6_T7_T9_mT8_P12ihipStream_tbDpT10_ENKUlT_T0_E_clISt17integral_constantIbLb0EES1B_EEDaS16_S17_EUlS16_E_NS1_11comp_targetILNS1_3genE0ELNS1_11target_archE4294967295ELNS1_3gpuE0ELNS1_3repE0EEENS1_30default_config_static_selectorELNS0_4arch9wavefront6targetE1EEEvT1_, .Lfunc_end2907-_ZN7rocprim17ROCPRIM_400000_NS6detail17trampoline_kernelINS0_14default_configENS1_25partition_config_selectorILNS1_17partition_subalgoE1EyNS0_10empty_typeEbEEZZNS1_14partition_implILS5_1ELb0ES3_jN6thrust23THRUST_200600_302600_NS6detail15normal_iteratorINSA_10device_ptrIyEEEEPS6_NSA_18transform_iteratorI7is_evenIyESF_NSA_11use_defaultESK_EENS0_5tupleIJSF_NSA_16discard_iteratorISK_EEEEENSM_IJSG_SG_EEES6_PlJS6_EEE10hipError_tPvRmT3_T4_T5_T6_T7_T9_mT8_P12ihipStream_tbDpT10_ENKUlT_T0_E_clISt17integral_constantIbLb0EES1B_EEDaS16_S17_EUlS16_E_NS1_11comp_targetILNS1_3genE0ELNS1_11target_archE4294967295ELNS1_3gpuE0ELNS1_3repE0EEENS1_30default_config_static_selectorELNS0_4arch9wavefront6targetE1EEEvT1_
                                        ; -- End function
	.section	.AMDGPU.csdata,"",@progbits
; Kernel info:
; codeLenInByte = 0
; NumSgprs: 6
; NumVgprs: 0
; NumAgprs: 0
; TotalNumVgprs: 0
; ScratchSize: 0
; MemoryBound: 0
; FloatMode: 240
; IeeeMode: 1
; LDSByteSize: 0 bytes/workgroup (compile time only)
; SGPRBlocks: 0
; VGPRBlocks: 0
; NumSGPRsForWavesPerEU: 6
; NumVGPRsForWavesPerEU: 1
; AccumOffset: 4
; Occupancy: 8
; WaveLimiterHint : 0
; COMPUTE_PGM_RSRC2:SCRATCH_EN: 0
; COMPUTE_PGM_RSRC2:USER_SGPR: 2
; COMPUTE_PGM_RSRC2:TRAP_HANDLER: 0
; COMPUTE_PGM_RSRC2:TGID_X_EN: 1
; COMPUTE_PGM_RSRC2:TGID_Y_EN: 0
; COMPUTE_PGM_RSRC2:TGID_Z_EN: 0
; COMPUTE_PGM_RSRC2:TIDIG_COMP_CNT: 0
; COMPUTE_PGM_RSRC3_GFX90A:ACCUM_OFFSET: 0
; COMPUTE_PGM_RSRC3_GFX90A:TG_SPLIT: 0
	.section	.text._ZN7rocprim17ROCPRIM_400000_NS6detail17trampoline_kernelINS0_14default_configENS1_25partition_config_selectorILNS1_17partition_subalgoE1EyNS0_10empty_typeEbEEZZNS1_14partition_implILS5_1ELb0ES3_jN6thrust23THRUST_200600_302600_NS6detail15normal_iteratorINSA_10device_ptrIyEEEEPS6_NSA_18transform_iteratorI7is_evenIyESF_NSA_11use_defaultESK_EENS0_5tupleIJSF_NSA_16discard_iteratorISK_EEEEENSM_IJSG_SG_EEES6_PlJS6_EEE10hipError_tPvRmT3_T4_T5_T6_T7_T9_mT8_P12ihipStream_tbDpT10_ENKUlT_T0_E_clISt17integral_constantIbLb0EES1B_EEDaS16_S17_EUlS16_E_NS1_11comp_targetILNS1_3genE5ELNS1_11target_archE942ELNS1_3gpuE9ELNS1_3repE0EEENS1_30default_config_static_selectorELNS0_4arch9wavefront6targetE1EEEvT1_,"axG",@progbits,_ZN7rocprim17ROCPRIM_400000_NS6detail17trampoline_kernelINS0_14default_configENS1_25partition_config_selectorILNS1_17partition_subalgoE1EyNS0_10empty_typeEbEEZZNS1_14partition_implILS5_1ELb0ES3_jN6thrust23THRUST_200600_302600_NS6detail15normal_iteratorINSA_10device_ptrIyEEEEPS6_NSA_18transform_iteratorI7is_evenIyESF_NSA_11use_defaultESK_EENS0_5tupleIJSF_NSA_16discard_iteratorISK_EEEEENSM_IJSG_SG_EEES6_PlJS6_EEE10hipError_tPvRmT3_T4_T5_T6_T7_T9_mT8_P12ihipStream_tbDpT10_ENKUlT_T0_E_clISt17integral_constantIbLb0EES1B_EEDaS16_S17_EUlS16_E_NS1_11comp_targetILNS1_3genE5ELNS1_11target_archE942ELNS1_3gpuE9ELNS1_3repE0EEENS1_30default_config_static_selectorELNS0_4arch9wavefront6targetE1EEEvT1_,comdat
	.protected	_ZN7rocprim17ROCPRIM_400000_NS6detail17trampoline_kernelINS0_14default_configENS1_25partition_config_selectorILNS1_17partition_subalgoE1EyNS0_10empty_typeEbEEZZNS1_14partition_implILS5_1ELb0ES3_jN6thrust23THRUST_200600_302600_NS6detail15normal_iteratorINSA_10device_ptrIyEEEEPS6_NSA_18transform_iteratorI7is_evenIyESF_NSA_11use_defaultESK_EENS0_5tupleIJSF_NSA_16discard_iteratorISK_EEEEENSM_IJSG_SG_EEES6_PlJS6_EEE10hipError_tPvRmT3_T4_T5_T6_T7_T9_mT8_P12ihipStream_tbDpT10_ENKUlT_T0_E_clISt17integral_constantIbLb0EES1B_EEDaS16_S17_EUlS16_E_NS1_11comp_targetILNS1_3genE5ELNS1_11target_archE942ELNS1_3gpuE9ELNS1_3repE0EEENS1_30default_config_static_selectorELNS0_4arch9wavefront6targetE1EEEvT1_ ; -- Begin function _ZN7rocprim17ROCPRIM_400000_NS6detail17trampoline_kernelINS0_14default_configENS1_25partition_config_selectorILNS1_17partition_subalgoE1EyNS0_10empty_typeEbEEZZNS1_14partition_implILS5_1ELb0ES3_jN6thrust23THRUST_200600_302600_NS6detail15normal_iteratorINSA_10device_ptrIyEEEEPS6_NSA_18transform_iteratorI7is_evenIyESF_NSA_11use_defaultESK_EENS0_5tupleIJSF_NSA_16discard_iteratorISK_EEEEENSM_IJSG_SG_EEES6_PlJS6_EEE10hipError_tPvRmT3_T4_T5_T6_T7_T9_mT8_P12ihipStream_tbDpT10_ENKUlT_T0_E_clISt17integral_constantIbLb0EES1B_EEDaS16_S17_EUlS16_E_NS1_11comp_targetILNS1_3genE5ELNS1_11target_archE942ELNS1_3gpuE9ELNS1_3repE0EEENS1_30default_config_static_selectorELNS0_4arch9wavefront6targetE1EEEvT1_
	.globl	_ZN7rocprim17ROCPRIM_400000_NS6detail17trampoline_kernelINS0_14default_configENS1_25partition_config_selectorILNS1_17partition_subalgoE1EyNS0_10empty_typeEbEEZZNS1_14partition_implILS5_1ELb0ES3_jN6thrust23THRUST_200600_302600_NS6detail15normal_iteratorINSA_10device_ptrIyEEEEPS6_NSA_18transform_iteratorI7is_evenIyESF_NSA_11use_defaultESK_EENS0_5tupleIJSF_NSA_16discard_iteratorISK_EEEEENSM_IJSG_SG_EEES6_PlJS6_EEE10hipError_tPvRmT3_T4_T5_T6_T7_T9_mT8_P12ihipStream_tbDpT10_ENKUlT_T0_E_clISt17integral_constantIbLb0EES1B_EEDaS16_S17_EUlS16_E_NS1_11comp_targetILNS1_3genE5ELNS1_11target_archE942ELNS1_3gpuE9ELNS1_3repE0EEENS1_30default_config_static_selectorELNS0_4arch9wavefront6targetE1EEEvT1_
	.p2align	8
	.type	_ZN7rocprim17ROCPRIM_400000_NS6detail17trampoline_kernelINS0_14default_configENS1_25partition_config_selectorILNS1_17partition_subalgoE1EyNS0_10empty_typeEbEEZZNS1_14partition_implILS5_1ELb0ES3_jN6thrust23THRUST_200600_302600_NS6detail15normal_iteratorINSA_10device_ptrIyEEEEPS6_NSA_18transform_iteratorI7is_evenIyESF_NSA_11use_defaultESK_EENS0_5tupleIJSF_NSA_16discard_iteratorISK_EEEEENSM_IJSG_SG_EEES6_PlJS6_EEE10hipError_tPvRmT3_T4_T5_T6_T7_T9_mT8_P12ihipStream_tbDpT10_ENKUlT_T0_E_clISt17integral_constantIbLb0EES1B_EEDaS16_S17_EUlS16_E_NS1_11comp_targetILNS1_3genE5ELNS1_11target_archE942ELNS1_3gpuE9ELNS1_3repE0EEENS1_30default_config_static_selectorELNS0_4arch9wavefront6targetE1EEEvT1_,@function
_ZN7rocprim17ROCPRIM_400000_NS6detail17trampoline_kernelINS0_14default_configENS1_25partition_config_selectorILNS1_17partition_subalgoE1EyNS0_10empty_typeEbEEZZNS1_14partition_implILS5_1ELb0ES3_jN6thrust23THRUST_200600_302600_NS6detail15normal_iteratorINSA_10device_ptrIyEEEEPS6_NSA_18transform_iteratorI7is_evenIyESF_NSA_11use_defaultESK_EENS0_5tupleIJSF_NSA_16discard_iteratorISK_EEEEENSM_IJSG_SG_EEES6_PlJS6_EEE10hipError_tPvRmT3_T4_T5_T6_T7_T9_mT8_P12ihipStream_tbDpT10_ENKUlT_T0_E_clISt17integral_constantIbLb0EES1B_EEDaS16_S17_EUlS16_E_NS1_11comp_targetILNS1_3genE5ELNS1_11target_archE942ELNS1_3gpuE9ELNS1_3repE0EEENS1_30default_config_static_selectorELNS0_4arch9wavefront6targetE1EEEvT1_: ; @_ZN7rocprim17ROCPRIM_400000_NS6detail17trampoline_kernelINS0_14default_configENS1_25partition_config_selectorILNS1_17partition_subalgoE1EyNS0_10empty_typeEbEEZZNS1_14partition_implILS5_1ELb0ES3_jN6thrust23THRUST_200600_302600_NS6detail15normal_iteratorINSA_10device_ptrIyEEEEPS6_NSA_18transform_iteratorI7is_evenIyESF_NSA_11use_defaultESK_EENS0_5tupleIJSF_NSA_16discard_iteratorISK_EEEEENSM_IJSG_SG_EEES6_PlJS6_EEE10hipError_tPvRmT3_T4_T5_T6_T7_T9_mT8_P12ihipStream_tbDpT10_ENKUlT_T0_E_clISt17integral_constantIbLb0EES1B_EEDaS16_S17_EUlS16_E_NS1_11comp_targetILNS1_3genE5ELNS1_11target_archE942ELNS1_3gpuE9ELNS1_3repE0EEENS1_30default_config_static_selectorELNS0_4arch9wavefront6targetE1EEEvT1_
; %bb.0:
	s_load_dwordx2 s[4:5], s[0:1], 0x68
	s_load_dwordx4 s[12:15], s[0:1], 0x8
	s_load_dwordx2 s[6:7], s[0:1], 0x20
	s_load_dwordx4 s[20:23], s[0:1], 0x58
	s_load_dword s3, s[0:1], 0x80
	s_waitcnt lgkmcnt(0)
	v_mov_b32_e32 v3, s5
	s_lshl_b64 s[8:9], s[14:15], 3
	s_add_u32 s12, s12, s8
	s_addc_u32 s13, s13, s9
	s_add_i32 s16, s3, -1
	s_mulk_i32 s3, 0xe00
	s_add_i32 s5, s3, s14
	s_sub_i32 s33, s4, s5
	s_addk_i32 s33, 0xe00
	v_mov_b32_e32 v2, s4
	s_add_u32 s4, s14, s3
	s_addc_u32 s5, s15, 0
	s_cmp_eq_u32 s2, s16
	s_load_dwordx2 s[22:23], s[22:23], 0x0
	s_cselect_b64 s[24:25], -1, 0
	s_cmp_lg_u32 s2, s16
	s_mul_i32 s10, s2, 0xe00
	s_mov_b32 s11, 0
	v_cmp_lt_u64_e32 vcc, s[4:5], v[2:3]
	s_cselect_b64 s[4:5], -1, 0
	s_or_b64 s[26:27], s[4:5], vcc
	s_lshl_b64 s[10:11], s[10:11], 3
	s_add_u32 s12, s12, s10
	s_addc_u32 s13, s13, s11
	s_mov_b64 s[4:5], -1
	s_and_b64 vcc, exec, s[26:27]
	v_lshlrev_b32_e32 v18, 3, v0
	s_cbranch_vccz .LBB2908_2
; %bb.1:
	v_mov_b32_e32 v19, 0
	v_lshl_add_u64 v[2:3], s[12:13], 0, v[18:19]
	v_add_co_u32_e32 v4, vcc, 0x1000, v2
	s_mov_b64 s[4:5], 0
	s_nop 0
	v_addc_co_u32_e32 v5, vcc, 0, v3, vcc
	v_add_co_u32_e32 v6, vcc, 0x2000, v2
	s_nop 1
	v_addc_co_u32_e32 v7, vcc, 0, v3, vcc
	v_add_co_u32_e32 v8, vcc, 0x3000, v2
	s_nop 1
	v_addc_co_u32_e32 v9, vcc, 0, v3, vcc
	flat_load_dwordx2 v[10:11], v[2:3]
	flat_load_dwordx2 v[12:13], v[4:5]
	;; [unrolled: 1-line block ×4, first 2 shown]
	v_add_co_u32_e32 v4, vcc, 0x4000, v2
	s_nop 1
	v_addc_co_u32_e32 v5, vcc, 0, v3, vcc
	v_add_co_u32_e32 v6, vcc, 0x5000, v2
	s_nop 1
	v_addc_co_u32_e32 v7, vcc, 0, v3, vcc
	;; [unrolled: 3-line block ×3, first 2 shown]
	flat_load_dwordx2 v[8:9], v[4:5]
	flat_load_dwordx2 v[20:21], v[6:7]
	;; [unrolled: 1-line block ×3, first 2 shown]
	s_waitcnt vmcnt(0) lgkmcnt(0)
	ds_write2st64_b64 v18, v[10:11], v[12:13] offset1:8
	ds_write2st64_b64 v18, v[14:15], v[16:17] offset0:16 offset1:24
	ds_write2st64_b64 v18, v[8:9], v[20:21] offset0:32 offset1:40
	ds_write_b64 v18, v[22:23] offset:24576
	s_waitcnt lgkmcnt(0)
	s_barrier
.LBB2908_2:
	s_andn2_b64 vcc, exec, s[4:5]
	v_cmp_gt_u32_e64 s[4:5], s33, v0
	s_cbranch_vccnz .LBB2908_18
; %bb.3:
                                        ; implicit-def: $vgpr2_vgpr3_vgpr4_vgpr5_vgpr6_vgpr7_vgpr8_vgpr9_vgpr10_vgpr11_vgpr12_vgpr13_vgpr14_vgpr15_vgpr16_vgpr17
	s_and_saveexec_b64 s[14:15], s[4:5]
	s_cbranch_execz .LBB2908_5
; %bb.4:
	v_mov_b32_e32 v19, 0
	v_lshl_add_u64 v[2:3], s[12:13], 0, v[18:19]
	flat_load_dwordx2 v[2:3], v[2:3]
.LBB2908_5:
	s_or_b64 exec, exec, s[14:15]
	v_or_b32_e32 v1, 0x200, v0
	v_cmp_gt_u32_e32 vcc, s33, v1
	s_and_saveexec_b64 s[4:5], vcc
	s_cbranch_execz .LBB2908_7
; %bb.6:
	v_lshlrev_b32_e32 v4, 3, v1
	v_mov_b32_e32 v5, 0
	v_lshl_add_u64 v[4:5], s[12:13], 0, v[4:5]
	flat_load_dwordx2 v[4:5], v[4:5]
.LBB2908_7:
	s_or_b64 exec, exec, s[4:5]
	v_or_b32_e32 v1, 0x400, v0
	v_cmp_gt_u32_e32 vcc, s33, v1
	s_and_saveexec_b64 s[4:5], vcc
	s_cbranch_execz .LBB2908_9
; %bb.8:
	v_lshlrev_b32_e32 v6, 3, v1
	v_mov_b32_e32 v7, 0
	v_lshl_add_u64 v[6:7], s[12:13], 0, v[6:7]
	flat_load_dwordx2 v[6:7], v[6:7]
.LBB2908_9:
	;; [unrolled: 11-line block ×6, first 2 shown]
	s_or_b64 exec, exec, s[4:5]
	s_waitcnt vmcnt(0) lgkmcnt(0)
	ds_write2st64_b64 v18, v[2:3], v[4:5] offset1:8
	ds_write2st64_b64 v18, v[6:7], v[8:9] offset0:16 offset1:24
	ds_write2st64_b64 v18, v[10:11], v[12:13] offset0:32 offset1:40
	ds_write_b64 v18, v[14:15] offset:24576
	s_waitcnt lgkmcnt(0)
	s_barrier
.LBB2908_18:
	v_mul_u32_u24_e32 v1, 7, v0
	v_lshlrev_b32_e32 v16, 3, v1
	s_waitcnt lgkmcnt(0)
	ds_read2_b64 v[10:13], v16 offset1:1
	ds_read2_b64 v[6:9], v16 offset0:2 offset1:3
	ds_read2_b64 v[2:5], v16 offset0:4 offset1:5
	ds_read_b64 v[14:15], v16 offset:48
	s_add_u32 s3, s6, s8
	s_addc_u32 s5, s7, s9
	s_add_u32 s4, s3, s10
	s_addc_u32 s5, s5, s11
	s_mov_b64 s[6:7], -1
	s_and_b64 vcc, exec, s[26:27]
	s_waitcnt lgkmcnt(0)
	s_barrier
	s_cbranch_vccz .LBB2908_20
; %bb.19:
	v_mov_b32_e32 v19, 0
	v_lshl_add_u64 v[20:21], s[4:5], 0, v[18:19]
	v_add_co_u32_e32 v24, vcc, 0x1000, v20
	global_load_dwordx2 v[22:23], v18, s[4:5]
	s_nop 0
	v_addc_co_u32_e32 v25, vcc, 0, v21, vcc
	v_add_co_u32_e32 v26, vcc, 0x2000, v20
	s_mov_b64 s[6:7], 0
	s_nop 0
	v_addc_co_u32_e32 v27, vcc, 0, v21, vcc
	v_add_co_u32_e32 v28, vcc, 0x3000, v20
	s_waitcnt vmcnt(0)
	v_xor_b32_e32 v17, -1, v22
	v_addc_co_u32_e32 v29, vcc, 0, v21, vcc
	v_add_co_u32_e32 v30, vcc, 0x4000, v20
	v_and_b32_e32 v17, 1, v17
	s_nop 0
	v_addc_co_u32_e32 v31, vcc, 0, v21, vcc
	global_load_dwordx2 v[32:33], v[24:25], off
	global_load_dwordx2 v[34:35], v[26:27], off
	;; [unrolled: 1-line block ×4, first 2 shown]
	v_add_co_u32_e32 v24, vcc, 0x5000, v20
	ds_write_b8 v0, v17
	s_nop 0
	v_addc_co_u32_e32 v25, vcc, 0, v21, vcc
	v_add_co_u32_e32 v20, vcc, 0x6000, v20
	global_load_dwordx2 v[24:25], v[24:25], off
	s_nop 0
	v_addc_co_u32_e32 v21, vcc, 0, v21, vcc
	global_load_dwordx2 v[20:21], v[20:21], off
	s_waitcnt vmcnt(5)
	v_xor_b32_e32 v17, -1, v32
	v_and_b32_e32 v17, 1, v17
	s_waitcnt vmcnt(4)
	v_xor_b32_e32 v19, -1, v34
	s_waitcnt vmcnt(0)
	v_xor_b32_e32 v21, -1, v36
	v_and_b32_e32 v19, 1, v19
	ds_write_b8 v0, v17 offset:512
	v_and_b32_e32 v17, 1, v21
	v_xor_b32_e32 v21, -1, v38
	ds_write_b8 v0, v19 offset:1024
	v_and_b32_e32 v19, 1, v21
	ds_write_b8 v0, v17 offset:1536
	v_xor_b32_e32 v21, -1, v24
	v_and_b32_e32 v17, 1, v21
	ds_write_b8 v0, v19 offset:2048
	v_xor_b32_e32 v20, -1, v20
	v_and_b32_e32 v19, 1, v20
	ds_write_b8 v0, v17 offset:2560
	ds_write_b8 v0, v19 offset:3072
	s_waitcnt lgkmcnt(0)
	s_barrier
.LBB2908_20:
	s_load_dwordx2 s[28:29], s[0:1], 0x78
	s_andn2_b64 vcc, exec, s[6:7]
	s_cbranch_vccnz .LBB2908_36
; %bb.21:
	v_cmp_gt_u32_e32 vcc, s33, v0
	v_mov_b32_e32 v17, 0
	v_mov_b32_e32 v19, 0
	s_and_saveexec_b64 s[6:7], vcc
	s_cbranch_execz .LBB2908_23
; %bb.22:
	global_load_dwordx2 v[20:21], v18, s[4:5]
	s_waitcnt vmcnt(0)
	v_xor_b32_e32 v19, -1, v20
	v_and_b32_e32 v19, 1, v19
.LBB2908_23:
	s_or_b64 exec, exec, s[6:7]
	v_or_b32_e32 v20, 0x200, v0
	v_cmp_gt_u32_e32 vcc, s33, v20
	s_and_saveexec_b64 s[6:7], vcc
	s_cbranch_execz .LBB2908_25
; %bb.24:
	v_lshlrev_b32_e32 v17, 3, v20
	global_load_dwordx2 v[20:21], v17, s[4:5]
	s_waitcnt vmcnt(0)
	v_xor_b32_e32 v17, -1, v20
	v_and_b32_e32 v17, 1, v17
.LBB2908_25:
	s_or_b64 exec, exec, s[6:7]
	v_or_b32_e32 v22, 0x400, v0
	v_cmp_gt_u32_e32 vcc, s33, v22
	v_mov_b32_e32 v20, 0
	v_mov_b32_e32 v21, 0
	s_and_saveexec_b64 s[6:7], vcc
	s_cbranch_execz .LBB2908_27
; %bb.26:
	v_lshlrev_b32_e32 v21, 3, v22
	global_load_dwordx2 v[22:23], v21, s[4:5]
	s_waitcnt vmcnt(0)
	v_xor_b32_e32 v21, -1, v22
	v_and_b32_e32 v21, 1, v21
.LBB2908_27:
	s_or_b64 exec, exec, s[6:7]
	v_or_b32_e32 v22, 0x600, v0
	v_cmp_gt_u32_e32 vcc, s33, v22
	s_and_saveexec_b64 s[6:7], vcc
	s_cbranch_execz .LBB2908_29
; %bb.28:
	v_lshlrev_b32_e32 v20, 3, v22
	global_load_dwordx2 v[22:23], v20, s[4:5]
	s_waitcnt vmcnt(0)
	v_xor_b32_e32 v20, -1, v22
	v_and_b32_e32 v20, 1, v20
.LBB2908_29:
	s_or_b64 exec, exec, s[6:7]
	v_or_b32_e32 v24, 0x800, v0
	v_cmp_gt_u32_e32 vcc, s33, v24
	v_mov_b32_e32 v22, 0
	v_mov_b32_e32 v23, 0
	s_and_saveexec_b64 s[6:7], vcc
	s_cbranch_execz .LBB2908_31
; %bb.30:
	v_lshlrev_b32_e32 v23, 3, v24
	global_load_dwordx2 v[24:25], v23, s[4:5]
	s_waitcnt vmcnt(0)
	v_xor_b32_e32 v23, -1, v24
	v_and_b32_e32 v23, 1, v23
.LBB2908_31:
	s_or_b64 exec, exec, s[6:7]
	v_or_b32_e32 v24, 0xa00, v0
	v_cmp_gt_u32_e32 vcc, s33, v24
	s_and_saveexec_b64 s[6:7], vcc
	s_cbranch_execz .LBB2908_33
; %bb.32:
	v_lshlrev_b32_e32 v22, 3, v24
	global_load_dwordx2 v[24:25], v22, s[4:5]
	s_waitcnt vmcnt(0)
	v_xor_b32_e32 v22, -1, v24
	v_and_b32_e32 v22, 1, v22
.LBB2908_33:
	s_or_b64 exec, exec, s[6:7]
	v_or_b32_e32 v25, 0xc00, v0
	v_cmp_gt_u32_e32 vcc, s33, v25
	v_mov_b32_e32 v24, 0
	s_and_saveexec_b64 s[6:7], vcc
	s_cbranch_execz .LBB2908_35
; %bb.34:
	v_lshlrev_b32_e32 v24, 3, v25
	global_load_dwordx2 v[24:25], v24, s[4:5]
	s_waitcnt vmcnt(0)
	v_xor_b32_e32 v24, -1, v24
	v_and_b32_e32 v24, 1, v24
.LBB2908_35:
	s_or_b64 exec, exec, s[6:7]
	ds_write_b8 v0, v19
	ds_write_b8 v0, v17 offset:512
	ds_write_b8 v0, v21 offset:1024
	;; [unrolled: 1-line block ×6, first 2 shown]
	s_waitcnt lgkmcnt(0)
	s_barrier
.LBB2908_36:
	s_movk_i32 s3, 0xffcf
	v_mad_i32_i24 v35, v0, s3, v16
	s_waitcnt lgkmcnt(0)
	ds_read_u8 v16, v35
	ds_read_u8 v17, v35 offset:1
	ds_read_u8 v19, v35 offset:2
	;; [unrolled: 1-line block ×6, first 2 shown]
	s_waitcnt lgkmcnt(6)
	v_and_b32_e32 v33, 1, v16
	s_waitcnt lgkmcnt(5)
	v_and_b32_e32 v32, 1, v17
	;; [unrolled: 2-line block ×5, first 2 shown]
	v_add3_u32 v16, v32, v33, v31
	s_waitcnt lgkmcnt(1)
	v_and_b32_e32 v28, 1, v22
	s_waitcnt lgkmcnt(0)
	v_and_b32_e32 v19, 1, v23
	v_add3_u32 v16, v16, v30, v29
	v_add3_u32 v37, v16, v28, v19
	v_mbcnt_lo_u32_b32 v16, -1, 0
	v_mbcnt_hi_u32_b32 v34, -1, v16
	v_and_b32_e32 v16, 15, v34
	v_cmp_eq_u32_e64 s[14:15], 0, v16
	v_cmp_lt_u32_e64 s[12:13], 1, v16
	v_cmp_lt_u32_e64 s[10:11], 3, v16
	;; [unrolled: 1-line block ×3, first 2 shown]
	v_and_b32_e32 v16, 16, v34
	v_cmp_eq_u32_e64 s[6:7], 0, v16
	v_or_b32_e32 v16, 63, v0
	s_cmp_lg_u32 s2, 0
	v_cmp_lt_u32_e64 s[18:19], 31, v34
	v_lshrrev_b32_e32 v36, 6, v0
	v_cmp_eq_u32_e64 s[4:5], v16, v0
	s_barrier
	s_cbranch_scc0 .LBB2908_63
; %bb.37:
	v_mov_b32_dpp v16, v37 row_shr:1 row_mask:0xf bank_mask:0xf
	v_cndmask_b32_e64 v16, v16, 0, s[14:15]
	v_add_u32_e32 v16, v16, v37
	s_nop 1
	v_mov_b32_dpp v17, v16 row_shr:2 row_mask:0xf bank_mask:0xf
	v_cndmask_b32_e64 v17, 0, v17, s[12:13]
	v_add_u32_e32 v16, v16, v17
	s_nop 1
	;; [unrolled: 4-line block ×4, first 2 shown]
	v_mov_b32_dpp v17, v16 row_bcast:15 row_mask:0xf bank_mask:0xf
	v_cndmask_b32_e64 v17, v17, 0, s[6:7]
	v_add_u32_e32 v16, v16, v17
	s_nop 1
	v_mov_b32_dpp v17, v16 row_bcast:31 row_mask:0xf bank_mask:0xf
	v_cndmask_b32_e64 v17, 0, v17, s[18:19]
	v_add_u32_e32 v16, v16, v17
	s_and_saveexec_b64 s[16:17], s[4:5]
	s_cbranch_execz .LBB2908_39
; %bb.38:
	v_lshlrev_b32_e32 v17, 2, v36
	ds_write_b32 v17, v16
.LBB2908_39:
	s_or_b64 exec, exec, s[16:17]
	v_cmp_gt_u32_e32 vcc, 8, v0
	s_waitcnt lgkmcnt(0)
	s_barrier
	s_and_saveexec_b64 s[16:17], vcc
	s_cbranch_execz .LBB2908_41
; %bb.40:
	v_lshlrev_b32_e32 v17, 2, v0
	ds_read_b32 v20, v17
	v_and_b32_e32 v21, 7, v34
	v_cmp_ne_u32_e32 vcc, 0, v21
	s_waitcnt lgkmcnt(0)
	v_mov_b32_dpp v22, v20 row_shr:1 row_mask:0xf bank_mask:0xf
	v_cndmask_b32_e32 v22, 0, v22, vcc
	v_add_u32_e32 v20, v22, v20
	v_cmp_lt_u32_e32 vcc, 1, v21
	s_nop 0
	v_mov_b32_dpp v22, v20 row_shr:2 row_mask:0xf bank_mask:0xf
	v_cndmask_b32_e32 v22, 0, v22, vcc
	v_add_u32_e32 v20, v20, v22
	v_cmp_lt_u32_e32 vcc, 3, v21
	s_nop 0
	v_mov_b32_dpp v22, v20 row_shr:4 row_mask:0xf bank_mask:0xf
	v_cndmask_b32_e32 v21, 0, v22, vcc
	v_add_u32_e32 v20, v20, v21
	ds_write_b32 v17, v20
.LBB2908_41:
	s_or_b64 exec, exec, s[16:17]
	v_cmp_gt_u32_e32 vcc, 64, v0
	v_cmp_lt_u32_e64 s[16:17], 63, v0
	s_waitcnt lgkmcnt(0)
	s_barrier
	s_waitcnt lgkmcnt(0)
                                        ; implicit-def: $vgpr38
	s_and_saveexec_b64 s[30:31], s[16:17]
	s_cbranch_execz .LBB2908_43
; %bb.42:
	v_lshl_add_u32 v17, v36, 2, -4
	ds_read_b32 v38, v17
	s_waitcnt lgkmcnt(0)
	v_add_u32_e32 v16, v38, v16
.LBB2908_43:
	s_or_b64 exec, exec, s[30:31]
	v_add_u32_e32 v17, -1, v34
	v_and_b32_e32 v20, 64, v34
	v_cmp_lt_i32_e64 s[16:17], v17, v20
	s_nop 1
	v_cndmask_b32_e64 v17, v17, v34, s[16:17]
	v_lshlrev_b32_e32 v17, 2, v17
	ds_bpermute_b32 v39, v17, v16
	v_cmp_eq_u32_e64 s[16:17], 0, v34
	s_and_saveexec_b64 s[30:31], vcc
	s_cbranch_execz .LBB2908_62
; %bb.44:
	v_mov_b32_e32 v25, 0
	ds_read_b32 v16, v25 offset:28
	s_and_saveexec_b64 s[34:35], s[16:17]
	s_cbranch_execz .LBB2908_46
; %bb.45:
	s_add_i32 s36, s2, 64
	s_mov_b32 s37, 0
	s_lshl_b64 s[36:37], s[36:37], 3
	s_add_u32 s36, s28, s36
	v_mov_b32_e32 v17, 1
	s_addc_u32 s37, s29, s37
	s_waitcnt lgkmcnt(0)
	global_store_dwordx2 v25, v[16:17], s[36:37] sc1
.LBB2908_46:
	s_or_b64 exec, exec, s[34:35]
	v_xad_u32 v20, v34, -1, s2
	v_add_u32_e32 v24, 64, v20
	v_lshl_add_u64 v[26:27], v[24:25], 3, s[28:29]
	global_load_dwordx2 v[22:23], v[26:27], off sc1
	s_waitcnt vmcnt(0)
	v_cmp_eq_u16_sdwa s[36:37], v23, v25 src0_sel:BYTE_0 src1_sel:DWORD
	s_and_saveexec_b64 s[34:35], s[36:37]
	s_cbranch_execz .LBB2908_50
; %bb.47:
	s_mov_b64 s[36:37], 0
	v_mov_b32_e32 v17, 0
.LBB2908_48:                            ; =>This Inner Loop Header: Depth=1
	global_load_dwordx2 v[22:23], v[26:27], off sc1
	s_waitcnt vmcnt(0)
	v_cmp_ne_u16_sdwa s[38:39], v23, v17 src0_sel:BYTE_0 src1_sel:DWORD
	s_or_b64 s[36:37], s[38:39], s[36:37]
	s_andn2_b64 exec, exec, s[36:37]
	s_cbranch_execnz .LBB2908_48
; %bb.49:
	s_or_b64 exec, exec, s[36:37]
.LBB2908_50:
	s_or_b64 exec, exec, s[34:35]
	v_and_b32_e32 v41, 63, v34
	v_mov_b32_e32 v40, 2
	v_cmp_ne_u32_e32 vcc, 63, v41
	v_cmp_eq_u16_sdwa s[34:35], v23, v40 src0_sel:BYTE_0 src1_sel:DWORD
	v_lshlrev_b64 v[24:25], v34, -1
	v_addc_co_u32_e32 v26, vcc, 0, v34, vcc
	v_and_b32_e32 v17, s35, v25
	v_lshlrev_b32_e32 v42, 2, v26
	v_or_b32_e32 v17, 0x80000000, v17
	ds_bpermute_b32 v26, v42, v22
	v_and_b32_e32 v21, s34, v24
	v_ffbl_b32_e32 v17, v17
	v_add_u32_e32 v17, 32, v17
	v_ffbl_b32_e32 v21, v21
	v_min_u32_e32 v17, v21, v17
	v_cmp_lt_u32_e32 vcc, v41, v17
	v_add_u32_e32 v44, 2, v41
	v_add_u32_e32 v46, 4, v41
	s_waitcnt lgkmcnt(0)
	v_cndmask_b32_e32 v21, 0, v26, vcc
	v_cmp_gt_u32_e32 vcc, 62, v41
	v_add_u32_e32 v21, v21, v22
	v_add_u32_e32 v48, 8, v41
	v_cndmask_b32_e64 v22, 0, 1, vcc
	v_lshlrev_b32_e32 v22, 1, v22
	v_add_lshl_u32 v43, v22, v34, 2
	ds_bpermute_b32 v22, v43, v21
	v_cmp_le_u32_e32 vcc, v44, v17
	v_add_u32_e32 v50, 16, v41
	v_add_u32_e32 v52, 32, v41
	s_waitcnt lgkmcnt(0)
	v_cndmask_b32_e32 v22, 0, v22, vcc
	v_cmp_gt_u32_e32 vcc, 60, v41
	v_add_u32_e32 v21, v21, v22
	s_nop 0
	v_cndmask_b32_e64 v22, 0, 1, vcc
	v_lshlrev_b32_e32 v22, 2, v22
	v_add_lshl_u32 v45, v22, v34, 2
	ds_bpermute_b32 v22, v45, v21
	v_cmp_le_u32_e32 vcc, v46, v17
	s_waitcnt lgkmcnt(0)
	s_nop 0
	v_cndmask_b32_e32 v22, 0, v22, vcc
	v_cmp_gt_u32_e32 vcc, 56, v41
	v_add_u32_e32 v21, v21, v22
	s_nop 0
	v_cndmask_b32_e64 v22, 0, 1, vcc
	v_lshlrev_b32_e32 v22, 3, v22
	v_add_lshl_u32 v47, v22, v34, 2
	ds_bpermute_b32 v22, v47, v21
	v_cmp_le_u32_e32 vcc, v48, v17
	s_waitcnt lgkmcnt(0)
	s_nop 0
	;; [unrolled: 11-line block ×4, first 2 shown]
	v_cndmask_b32_e32 v17, 0, v22, vcc
	v_add_u32_e32 v22, v21, v17
	v_mov_b32_e32 v21, 0
	s_branch .LBB2908_52
.LBB2908_51:                            ;   in Loop: Header=BB2908_52 Depth=1
	s_or_b64 exec, exec, s[34:35]
	v_cmp_eq_u16_sdwa s[34:35], v23, v40 src0_sel:BYTE_0 src1_sel:DWORD
	ds_bpermute_b32 v53, v42, v22
	v_subrev_u32_e32 v20, 64, v20
	v_and_b32_e32 v26, s35, v25
	v_or_b32_e32 v26, 0x80000000, v26
	v_and_b32_e32 v27, s34, v24
	v_ffbl_b32_e32 v26, v26
	v_add_u32_e32 v26, 32, v26
	v_ffbl_b32_e32 v27, v27
	v_min_u32_e32 v26, v27, v26
	v_cmp_lt_u32_e32 vcc, v41, v26
	s_waitcnt lgkmcnt(0)
	s_nop 0
	v_cndmask_b32_e32 v27, 0, v53, vcc
	v_add_u32_e32 v22, v27, v22
	ds_bpermute_b32 v27, v43, v22
	v_cmp_le_u32_e32 vcc, v44, v26
	s_waitcnt lgkmcnt(0)
	s_nop 0
	v_cndmask_b32_e32 v27, 0, v27, vcc
	v_add_u32_e32 v22, v22, v27
	ds_bpermute_b32 v27, v45, v22
	v_cmp_le_u32_e32 vcc, v46, v26
	;; [unrolled: 6-line block ×5, first 2 shown]
	s_waitcnt lgkmcnt(0)
	s_nop 0
	v_cndmask_b32_e32 v26, 0, v27, vcc
	v_add3_u32 v22, v26, v17, v22
.LBB2908_52:                            ; =>This Loop Header: Depth=1
                                        ;     Child Loop BB2908_55 Depth 2
	v_cmp_ne_u16_sdwa s[34:35], v23, v40 src0_sel:BYTE_0 src1_sel:DWORD
	s_nop 1
	v_cndmask_b32_e64 v17, 0, 1, s[34:35]
	;;#ASMSTART
	;;#ASMEND
	s_nop 0
	v_cmp_ne_u32_e32 vcc, 0, v17
	s_cmp_lg_u64 vcc, exec
	v_mov_b32_e32 v17, v22
	s_cbranch_scc1 .LBB2908_57
; %bb.53:                               ;   in Loop: Header=BB2908_52 Depth=1
	v_lshl_add_u64 v[26:27], v[20:21], 3, s[28:29]
	global_load_dwordx2 v[22:23], v[26:27], off sc1
	s_waitcnt vmcnt(0)
	v_cmp_eq_u16_sdwa s[36:37], v23, v21 src0_sel:BYTE_0 src1_sel:DWORD
	s_and_saveexec_b64 s[34:35], s[36:37]
	s_cbranch_execz .LBB2908_51
; %bb.54:                               ;   in Loop: Header=BB2908_52 Depth=1
	s_mov_b64 s[36:37], 0
.LBB2908_55:                            ;   Parent Loop BB2908_52 Depth=1
                                        ; =>  This Inner Loop Header: Depth=2
	global_load_dwordx2 v[22:23], v[26:27], off sc1
	s_waitcnt vmcnt(0)
	v_cmp_ne_u16_sdwa s[38:39], v23, v21 src0_sel:BYTE_0 src1_sel:DWORD
	s_or_b64 s[36:37], s[38:39], s[36:37]
	s_andn2_b64 exec, exec, s[36:37]
	s_cbranch_execnz .LBB2908_55
; %bb.56:                               ;   in Loop: Header=BB2908_52 Depth=1
	s_or_b64 exec, exec, s[36:37]
	s_branch .LBB2908_51
.LBB2908_57:                            ;   in Loop: Header=BB2908_52 Depth=1
                                        ; implicit-def: $vgpr22
                                        ; implicit-def: $vgpr23
	s_cbranch_execz .LBB2908_52
; %bb.58:
	s_and_saveexec_b64 s[34:35], s[16:17]
	s_cbranch_execz .LBB2908_60
; %bb.59:
	s_add_i32 s2, s2, 64
	s_mov_b32 s3, 0
	s_lshl_b64 s[2:3], s[2:3], 3
	s_add_u32 s2, s28, s2
	v_add_u32_e32 v20, v17, v16
	v_mov_b32_e32 v21, 2
	s_addc_u32 s3, s29, s3
	v_mov_b32_e32 v22, 0
	global_store_dwordx2 v22, v[20:21], s[2:3] sc1
	ds_write_b64 v22, v[16:17] offset:28672
.LBB2908_60:
	s_or_b64 exec, exec, s[34:35]
	v_cmp_eq_u32_e32 vcc, 0, v0
	s_and_b64 exec, exec, vcc
	s_cbranch_execz .LBB2908_62
; %bb.61:
	v_mov_b32_e32 v16, 0
	ds_write_b32 v16, v17 offset:28
.LBB2908_62:
	s_or_b64 exec, exec, s[30:31]
	v_mov_b32_e32 v16, 0
	s_waitcnt lgkmcnt(0)
	s_barrier
	ds_read_b32 v17, v16 offset:28
	v_cndmask_b32_e64 v20, v39, v38, s[16:17]
	v_cmp_ne_u32_e32 vcc, 0, v0
	s_waitcnt lgkmcnt(0)
	s_barrier
	v_cndmask_b32_e32 v20, 0, v20, vcc
	v_add_u32_e32 v27, v17, v20
	v_add_u32_e32 v26, v27, v33
	ds_read_b64 v[16:17], v16 offset:28672
	v_add_u32_e32 v25, v26, v32
	v_add_u32_e32 v23, v25, v31
	;; [unrolled: 1-line block ×5, first 2 shown]
	s_waitcnt lgkmcnt(0)
	v_mov_b32_e32 v20, v17
	s_load_dwordx2 s[2:3], s[0:1], 0x30
	s_branch .LBB2908_73
.LBB2908_63:
                                        ; implicit-def: $vgpr20
                                        ; implicit-def: $vgpr16
                                        ; implicit-def: $vgpr21
                                        ; implicit-def: $vgpr22
                                        ; implicit-def: $vgpr24
                                        ; implicit-def: $vgpr23
                                        ; implicit-def: $vgpr25
                                        ; implicit-def: $vgpr26
                                        ; implicit-def: $vgpr27
	s_load_dwordx2 s[2:3], s[0:1], 0x30
	s_cbranch_execz .LBB2908_73
; %bb.64:
	v_mov_b32_dpp v16, v37 row_shr:1 row_mask:0xf bank_mask:0xf
	v_cndmask_b32_e64 v16, v16, 0, s[14:15]
	v_add_u32_e32 v16, v16, v37
	s_nop 1
	v_mov_b32_dpp v17, v16 row_shr:2 row_mask:0xf bank_mask:0xf
	v_cndmask_b32_e64 v17, 0, v17, s[12:13]
	v_add_u32_e32 v16, v16, v17
	s_nop 1
	;; [unrolled: 4-line block ×4, first 2 shown]
	v_mov_b32_dpp v17, v16 row_bcast:15 row_mask:0xf bank_mask:0xf
	v_cndmask_b32_e64 v17, v17, 0, s[6:7]
	v_add_u32_e32 v16, v16, v17
	s_nop 1
	v_mov_b32_dpp v17, v16 row_bcast:31 row_mask:0xf bank_mask:0xf
	v_cndmask_b32_e64 v17, 0, v17, s[18:19]
	v_add_u32_e32 v16, v16, v17
	s_and_saveexec_b64 s[0:1], s[4:5]
	s_cbranch_execz .LBB2908_66
; %bb.65:
	v_lshlrev_b32_e32 v17, 2, v36
	ds_write_b32 v17, v16
.LBB2908_66:
	s_or_b64 exec, exec, s[0:1]
	v_cmp_gt_u32_e32 vcc, 8, v0
	s_waitcnt lgkmcnt(0)
	s_barrier
	s_and_saveexec_b64 s[0:1], vcc
	s_cbranch_execz .LBB2908_68
; %bb.67:
	v_mad_i32_i24 v17, v0, -3, v35
	ds_read_b32 v20, v17
	v_and_b32_e32 v21, 7, v34
	v_cmp_ne_u32_e32 vcc, 0, v21
	s_waitcnt lgkmcnt(0)
	v_mov_b32_dpp v22, v20 row_shr:1 row_mask:0xf bank_mask:0xf
	v_cndmask_b32_e32 v22, 0, v22, vcc
	v_add_u32_e32 v20, v22, v20
	v_cmp_lt_u32_e32 vcc, 1, v21
	s_nop 0
	v_mov_b32_dpp v22, v20 row_shr:2 row_mask:0xf bank_mask:0xf
	v_cndmask_b32_e32 v22, 0, v22, vcc
	v_add_u32_e32 v20, v20, v22
	v_cmp_lt_u32_e32 vcc, 3, v21
	s_nop 0
	v_mov_b32_dpp v22, v20 row_shr:4 row_mask:0xf bank_mask:0xf
	v_cndmask_b32_e32 v21, 0, v22, vcc
	v_add_u32_e32 v20, v20, v21
	ds_write_b32 v17, v20
.LBB2908_68:
	s_or_b64 exec, exec, s[0:1]
	v_cmp_lt_u32_e32 vcc, 63, v0
	v_mov_b32_e32 v17, 0
	v_mov_b32_e32 v20, 0
	s_waitcnt lgkmcnt(0)
	s_barrier
	s_and_saveexec_b64 s[0:1], vcc
	s_cbranch_execz .LBB2908_70
; %bb.69:
	v_lshl_add_u32 v20, v36, 2, -4
	ds_read_b32 v20, v20
.LBB2908_70:
	s_or_b64 exec, exec, s[0:1]
	v_add_u32_e32 v21, -1, v34
	v_and_b32_e32 v22, 64, v34
	v_cmp_lt_i32_e32 vcc, v21, v22
	s_waitcnt lgkmcnt(0)
	v_add_u32_e32 v16, v20, v16
	v_cndmask_b32_e32 v21, v21, v34, vcc
	v_lshlrev_b32_e32 v21, 2, v21
	ds_bpermute_b32 v21, v21, v16
	ds_read_b32 v16, v17 offset:28
	v_cmp_eq_u32_e32 vcc, 0, v0
	s_and_saveexec_b64 s[0:1], vcc
	s_cbranch_execz .LBB2908_72
; %bb.71:
	v_mov_b32_e32 v22, 0
	v_mov_b32_e32 v17, 2
	s_waitcnt lgkmcnt(0)
	global_store_dwordx2 v22, v[16:17], s[28:29] offset:512 sc1
.LBB2908_72:
	s_or_b64 exec, exec, s[0:1]
	v_cmp_eq_u32_e64 s[0:1], 0, v34
	s_waitcnt lgkmcnt(0)
	s_barrier
	v_cndmask_b32_e64 v17, v21, v20, s[0:1]
	v_cndmask_b32_e64 v27, v17, 0, vcc
	v_add_u32_e32 v26, v27, v33
	v_add_u32_e32 v25, v26, v32
	;; [unrolled: 1-line block ×5, first 2 shown]
	v_mov_b32_e32 v20, 0
	v_add_u32_e32 v21, v22, v28
.LBB2908_73:
	v_add_u32_e32 v1, v16, v1
	v_sub_u32_e32 v17, v27, v20
	v_sub_u32_e32 v27, v1, v17
	v_cmp_eq_u32_e32 vcc, 1, v33
	s_nop 1
	v_cndmask_b32_e32 v17, v27, v17, vcc
	v_lshlrev_b32_e32 v17, 3, v17
	ds_write_b64 v17, v[10:11]
	v_sub_u32_e32 v10, v26, v20
	v_sub_u32_e32 v11, v1, v10
	v_add_u32_e32 v11, 1, v11
	v_cmp_eq_u32_e32 vcc, 1, v32
	v_or_b32_e32 v26, 0x200, v0
	v_or_b32_e32 v17, 0xa00, v0
	v_cndmask_b32_e32 v10, v11, v10, vcc
	v_lshlrev_b32_e32 v10, 3, v10
	ds_write_b64 v10, v[12:13]
	v_sub_u32_e32 v10, v25, v20
	v_sub_u32_e32 v11, v1, v10
	v_add_u32_e32 v11, 2, v11
	v_cmp_eq_u32_e32 vcc, 1, v31
	v_or_b32_e32 v25, 0x400, v0
	s_nop 0
	v_cndmask_b32_e32 v10, v11, v10, vcc
	v_lshlrev_b32_e32 v10, 3, v10
	ds_write_b64 v10, v[6:7]
	v_sub_u32_e32 v6, v23, v20
	v_sub_u32_e32 v7, v1, v6
	v_add_u32_e32 v7, 3, v7
	v_cmp_eq_u32_e32 vcc, 1, v30
	s_nop 1
	v_cndmask_b32_e32 v6, v7, v6, vcc
	v_lshlrev_b32_e32 v6, 3, v6
	ds_write_b64 v6, v[8:9]
	v_sub_u32_e32 v6, v24, v20
	v_sub_u32_e32 v7, v1, v6
	v_add_u32_e32 v7, 4, v7
	v_cmp_eq_u32_e32 vcc, 1, v29
	v_or_b32_e32 v24, 0x600, v0
	s_nop 0
	v_cndmask_b32_e32 v6, v7, v6, vcc
	v_lshlrev_b32_e32 v6, 3, v6
	ds_write_b64 v6, v[2:3]
	v_sub_u32_e32 v2, v22, v20
	v_sub_u32_e32 v3, v1, v2
	v_add_u32_e32 v3, 5, v3
	v_cmp_eq_u32_e32 vcc, 1, v28
	s_nop 1
	v_cndmask_b32_e32 v2, v3, v2, vcc
	v_lshlrev_b32_e32 v2, 3, v2
	ds_write_b64 v2, v[4:5]
	v_sub_u32_e32 v2, v21, v20
	v_sub_u32_e32 v1, v1, v2
	v_add_u32_e32 v1, 6, v1
	v_cmp_eq_u32_e32 vcc, 1, v19
	v_or_b32_e32 v19, 0x800, v0
	s_nop 0
	v_cndmask_b32_e32 v1, v1, v2, vcc
	v_lshlrev_b32_e32 v1, 3, v1
	ds_write_b64 v1, v[14:15]
	s_waitcnt lgkmcnt(0)
	s_barrier
	ds_read2st64_b64 v[10:13], v18 offset1:8
	ds_read2st64_b64 v[6:9], v18 offset0:16 offset1:24
	ds_read2st64_b64 v[2:5], v18 offset0:32 offset1:40
	ds_read_b64 v[14:15], v18 offset:24576
	s_andn2_b64 vcc, exec, s[26:27]
	v_or_b32_e32 v1, 0xc00, v0
	s_cbranch_vccnz .LBB2908_82
; %bb.74:
	s_lshl_b64 s[0:1], s[22:23], 3
	v_mov_b32_e32 v21, 0
	s_add_u32 s0, s2, s0
	s_addc_u32 s1, s3, s1
	v_lshlrev_b64 v[22:23], 3, v[20:21]
	v_lshl_add_u64 v[22:23], s[0:1], 0, v[22:23]
	v_cmp_lt_u32_e32 vcc, v0, v16
	s_and_saveexec_b64 s[0:1], vcc
	s_cbranch_execnz .LBB2908_96
; %bb.75:
	s_or_b64 exec, exec, s[0:1]
	v_cmp_lt_u32_e32 vcc, v26, v16
	s_and_saveexec_b64 s[0:1], vcc
	s_cbranch_execnz .LBB2908_97
.LBB2908_76:
	s_or_b64 exec, exec, s[0:1]
	v_cmp_lt_u32_e32 vcc, v25, v16
	s_and_saveexec_b64 s[0:1], vcc
	s_cbranch_execnz .LBB2908_98
.LBB2908_77:
	s_or_b64 exec, exec, s[0:1]
	v_cmp_lt_u32_e32 vcc, v24, v16
	s_and_saveexec_b64 s[0:1], vcc
	s_cbranch_execnz .LBB2908_99
.LBB2908_78:
	s_or_b64 exec, exec, s[0:1]
	v_cmp_lt_u32_e32 vcc, v19, v16
	s_and_saveexec_b64 s[0:1], vcc
	s_cbranch_execnz .LBB2908_100
.LBB2908_79:
	s_or_b64 exec, exec, s[0:1]
	v_cmp_lt_u32_e32 vcc, v17, v16
	s_and_saveexec_b64 s[0:1], vcc
	s_cbranch_execz .LBB2908_81
.LBB2908_80:
	v_lshlrev_b32_e32 v21, 3, v17
	v_readfirstlane_b32 s4, v22
	v_readfirstlane_b32 s5, v23
	s_waitcnt lgkmcnt(1)
	s_nop 3
	global_store_dwordx2 v21, v[4:5], s[4:5]
.LBB2908_81:
	s_or_b64 exec, exec, s[0:1]
	v_cmp_lt_u32_e64 s[0:1], v1, v16
	s_branch .LBB2908_91
.LBB2908_82:
	s_mov_b64 s[0:1], 0
                                        ; implicit-def: $vgpr22_vgpr23
	s_cbranch_execz .LBB2908_91
; %bb.83:
	s_lshl_b64 s[0:1], s[22:23], 3
	v_mov_b32_e32 v21, 0
	s_add_u32 s0, s2, s0
	v_min_u32_e32 v27, s33, v16
	s_addc_u32 s1, s3, s1
	v_lshlrev_b64 v[22:23], 3, v[20:21]
	v_lshl_add_u64 v[22:23], s[0:1], 0, v[22:23]
	v_cmp_gt_u32_e32 vcc, v27, v0
	s_and_saveexec_b64 s[0:1], vcc
	s_cbranch_execnz .LBB2908_101
; %bb.84:
	s_or_b64 exec, exec, s[0:1]
	v_cmp_lt_u32_e32 vcc, v26, v27
	s_and_saveexec_b64 s[0:1], vcc
	s_cbranch_execnz .LBB2908_102
.LBB2908_85:
	s_or_b64 exec, exec, s[0:1]
	v_cmp_lt_u32_e32 vcc, v25, v27
	s_and_saveexec_b64 s[0:1], vcc
	s_cbranch_execnz .LBB2908_103
.LBB2908_86:
	s_or_b64 exec, exec, s[0:1]
	v_cmp_lt_u32_e32 vcc, v24, v27
	s_and_saveexec_b64 s[0:1], vcc
	s_cbranch_execnz .LBB2908_104
.LBB2908_87:
	s_or_b64 exec, exec, s[0:1]
	v_cmp_lt_u32_e32 vcc, v19, v27
	s_and_saveexec_b64 s[0:1], vcc
	s_cbranch_execnz .LBB2908_105
.LBB2908_88:
	s_or_b64 exec, exec, s[0:1]
	v_cmp_lt_u32_e32 vcc, v17, v27
	s_and_saveexec_b64 s[0:1], vcc
	s_cbranch_execz .LBB2908_90
.LBB2908_89:
	s_waitcnt lgkmcnt(1)
	v_lshlrev_b32_e32 v2, 3, v17
	v_readfirstlane_b32 s2, v22
	v_readfirstlane_b32 s3, v23
	s_nop 4
	global_store_dwordx2 v2, v[4:5], s[2:3]
.LBB2908_90:
	s_or_b64 exec, exec, s[0:1]
	v_cmp_lt_u32_e64 s[0:1], v1, v27
.LBB2908_91:
	s_and_saveexec_b64 s[2:3], s[0:1]
	s_cbranch_execz .LBB2908_93
; %bb.92:
	v_lshlrev_b32_e32 v1, 3, v1
	v_readfirstlane_b32 s0, v22
	v_readfirstlane_b32 s1, v23
	s_waitcnt lgkmcnt(0)
	s_nop 3
	global_store_dwordx2 v1, v[14:15], s[0:1]
.LBB2908_93:
	s_or_b64 exec, exec, s[2:3]
	v_cmp_eq_u32_e32 vcc, 0, v0
	s_and_b64 s[0:1], vcc, s[24:25]
	s_and_saveexec_b64 s[2:3], s[0:1]
	s_cbranch_execz .LBB2908_95
; %bb.94:
	v_mov_b32_e32 v17, 0
	v_lshl_add_u64 v[0:1], s[22:23], 0, v[16:17]
	v_mov_b32_e32 v21, v17
	v_lshl_add_u64 v[0:1], v[0:1], 0, v[20:21]
	global_store_dwordx2 v17, v[0:1], s[20:21]
.LBB2908_95:
	s_endpgm
.LBB2908_96:
	v_readfirstlane_b32 s4, v22
	v_readfirstlane_b32 s5, v23
	s_waitcnt lgkmcnt(3)
	s_nop 3
	global_store_dwordx2 v18, v[10:11], s[4:5]
	s_or_b64 exec, exec, s[0:1]
	v_cmp_lt_u32_e32 vcc, v26, v16
	s_and_saveexec_b64 s[0:1], vcc
	s_cbranch_execz .LBB2908_76
.LBB2908_97:
	v_lshlrev_b32_e32 v21, 3, v26
	v_readfirstlane_b32 s4, v22
	v_readfirstlane_b32 s5, v23
	s_waitcnt lgkmcnt(3)
	s_nop 3
	global_store_dwordx2 v21, v[12:13], s[4:5]
	s_or_b64 exec, exec, s[0:1]
	v_cmp_lt_u32_e32 vcc, v25, v16
	s_and_saveexec_b64 s[0:1], vcc
	s_cbranch_execz .LBB2908_77
.LBB2908_98:
	v_lshlrev_b32_e32 v21, 3, v25
	v_readfirstlane_b32 s4, v22
	v_readfirstlane_b32 s5, v23
	s_waitcnt lgkmcnt(2)
	s_nop 3
	global_store_dwordx2 v21, v[6:7], s[4:5]
	s_or_b64 exec, exec, s[0:1]
	v_cmp_lt_u32_e32 vcc, v24, v16
	s_and_saveexec_b64 s[0:1], vcc
	s_cbranch_execz .LBB2908_78
.LBB2908_99:
	v_lshlrev_b32_e32 v21, 3, v24
	v_readfirstlane_b32 s4, v22
	v_readfirstlane_b32 s5, v23
	s_waitcnt lgkmcnt(2)
	s_nop 3
	global_store_dwordx2 v21, v[8:9], s[4:5]
	s_or_b64 exec, exec, s[0:1]
	v_cmp_lt_u32_e32 vcc, v19, v16
	s_and_saveexec_b64 s[0:1], vcc
	s_cbranch_execz .LBB2908_79
.LBB2908_100:
	v_lshlrev_b32_e32 v21, 3, v19
	v_readfirstlane_b32 s4, v22
	v_readfirstlane_b32 s5, v23
	s_waitcnt lgkmcnt(1)
	s_nop 3
	global_store_dwordx2 v21, v[2:3], s[4:5]
	s_or_b64 exec, exec, s[0:1]
	v_cmp_lt_u32_e32 vcc, v17, v16
	s_and_saveexec_b64 s[0:1], vcc
	s_cbranch_execnz .LBB2908_80
	s_branch .LBB2908_81
.LBB2908_101:
	v_readfirstlane_b32 s2, v22
	v_readfirstlane_b32 s3, v23
	s_waitcnt lgkmcnt(3)
	s_nop 3
	global_store_dwordx2 v18, v[10:11], s[2:3]
	s_or_b64 exec, exec, s[0:1]
	v_cmp_lt_u32_e32 vcc, v26, v27
	s_and_saveexec_b64 s[0:1], vcc
	s_cbranch_execz .LBB2908_85
.LBB2908_102:
	s_waitcnt lgkmcnt(3)
	v_lshlrev_b32_e32 v10, 3, v26
	v_readfirstlane_b32 s2, v22
	v_readfirstlane_b32 s3, v23
	s_nop 4
	global_store_dwordx2 v10, v[12:13], s[2:3]
	s_or_b64 exec, exec, s[0:1]
	v_cmp_lt_u32_e32 vcc, v25, v27
	s_and_saveexec_b64 s[0:1], vcc
	s_cbranch_execz .LBB2908_86
.LBB2908_103:
	s_waitcnt lgkmcnt(3)
	v_lshlrev_b32_e32 v10, 3, v25
	v_readfirstlane_b32 s2, v22
	v_readfirstlane_b32 s3, v23
	s_waitcnt lgkmcnt(2)
	s_nop 3
	global_store_dwordx2 v10, v[6:7], s[2:3]
	s_or_b64 exec, exec, s[0:1]
	v_cmp_lt_u32_e32 vcc, v24, v27
	s_and_saveexec_b64 s[0:1], vcc
	s_cbranch_execz .LBB2908_87
.LBB2908_104:
	s_waitcnt lgkmcnt(2)
	v_lshlrev_b32_e32 v6, 3, v24
	v_readfirstlane_b32 s2, v22
	v_readfirstlane_b32 s3, v23
	s_nop 4
	global_store_dwordx2 v6, v[8:9], s[2:3]
	s_or_b64 exec, exec, s[0:1]
	v_cmp_lt_u32_e32 vcc, v19, v27
	s_and_saveexec_b64 s[0:1], vcc
	s_cbranch_execz .LBB2908_88
.LBB2908_105:
	s_waitcnt lgkmcnt(2)
	v_lshlrev_b32_e32 v6, 3, v19
	v_readfirstlane_b32 s2, v22
	v_readfirstlane_b32 s3, v23
	s_waitcnt lgkmcnt(1)
	s_nop 3
	global_store_dwordx2 v6, v[2:3], s[2:3]
	s_or_b64 exec, exec, s[0:1]
	v_cmp_lt_u32_e32 vcc, v17, v27
	s_and_saveexec_b64 s[0:1], vcc
	s_cbranch_execnz .LBB2908_89
	s_branch .LBB2908_90
	.section	.rodata,"a",@progbits
	.p2align	6, 0x0
	.amdhsa_kernel _ZN7rocprim17ROCPRIM_400000_NS6detail17trampoline_kernelINS0_14default_configENS1_25partition_config_selectorILNS1_17partition_subalgoE1EyNS0_10empty_typeEbEEZZNS1_14partition_implILS5_1ELb0ES3_jN6thrust23THRUST_200600_302600_NS6detail15normal_iteratorINSA_10device_ptrIyEEEEPS6_NSA_18transform_iteratorI7is_evenIyESF_NSA_11use_defaultESK_EENS0_5tupleIJSF_NSA_16discard_iteratorISK_EEEEENSM_IJSG_SG_EEES6_PlJS6_EEE10hipError_tPvRmT3_T4_T5_T6_T7_T9_mT8_P12ihipStream_tbDpT10_ENKUlT_T0_E_clISt17integral_constantIbLb0EES1B_EEDaS16_S17_EUlS16_E_NS1_11comp_targetILNS1_3genE5ELNS1_11target_archE942ELNS1_3gpuE9ELNS1_3repE0EEENS1_30default_config_static_selectorELNS0_4arch9wavefront6targetE1EEEvT1_
		.amdhsa_group_segment_fixed_size 28680
		.amdhsa_private_segment_fixed_size 0
		.amdhsa_kernarg_size 136
		.amdhsa_user_sgpr_count 2
		.amdhsa_user_sgpr_dispatch_ptr 0
		.amdhsa_user_sgpr_queue_ptr 0
		.amdhsa_user_sgpr_kernarg_segment_ptr 1
		.amdhsa_user_sgpr_dispatch_id 0
		.amdhsa_user_sgpr_kernarg_preload_length 0
		.amdhsa_user_sgpr_kernarg_preload_offset 0
		.amdhsa_user_sgpr_private_segment_size 0
		.amdhsa_uses_dynamic_stack 0
		.amdhsa_enable_private_segment 0
		.amdhsa_system_sgpr_workgroup_id_x 1
		.amdhsa_system_sgpr_workgroup_id_y 0
		.amdhsa_system_sgpr_workgroup_id_z 0
		.amdhsa_system_sgpr_workgroup_info 0
		.amdhsa_system_vgpr_workitem_id 0
		.amdhsa_next_free_vgpr 54
		.amdhsa_next_free_sgpr 40
		.amdhsa_accum_offset 56
		.amdhsa_reserve_vcc 1
		.amdhsa_float_round_mode_32 0
		.amdhsa_float_round_mode_16_64 0
		.amdhsa_float_denorm_mode_32 3
		.amdhsa_float_denorm_mode_16_64 3
		.amdhsa_dx10_clamp 1
		.amdhsa_ieee_mode 1
		.amdhsa_fp16_overflow 0
		.amdhsa_tg_split 0
		.amdhsa_exception_fp_ieee_invalid_op 0
		.amdhsa_exception_fp_denorm_src 0
		.amdhsa_exception_fp_ieee_div_zero 0
		.amdhsa_exception_fp_ieee_overflow 0
		.amdhsa_exception_fp_ieee_underflow 0
		.amdhsa_exception_fp_ieee_inexact 0
		.amdhsa_exception_int_div_zero 0
	.end_amdhsa_kernel
	.section	.text._ZN7rocprim17ROCPRIM_400000_NS6detail17trampoline_kernelINS0_14default_configENS1_25partition_config_selectorILNS1_17partition_subalgoE1EyNS0_10empty_typeEbEEZZNS1_14partition_implILS5_1ELb0ES3_jN6thrust23THRUST_200600_302600_NS6detail15normal_iteratorINSA_10device_ptrIyEEEEPS6_NSA_18transform_iteratorI7is_evenIyESF_NSA_11use_defaultESK_EENS0_5tupleIJSF_NSA_16discard_iteratorISK_EEEEENSM_IJSG_SG_EEES6_PlJS6_EEE10hipError_tPvRmT3_T4_T5_T6_T7_T9_mT8_P12ihipStream_tbDpT10_ENKUlT_T0_E_clISt17integral_constantIbLb0EES1B_EEDaS16_S17_EUlS16_E_NS1_11comp_targetILNS1_3genE5ELNS1_11target_archE942ELNS1_3gpuE9ELNS1_3repE0EEENS1_30default_config_static_selectorELNS0_4arch9wavefront6targetE1EEEvT1_,"axG",@progbits,_ZN7rocprim17ROCPRIM_400000_NS6detail17trampoline_kernelINS0_14default_configENS1_25partition_config_selectorILNS1_17partition_subalgoE1EyNS0_10empty_typeEbEEZZNS1_14partition_implILS5_1ELb0ES3_jN6thrust23THRUST_200600_302600_NS6detail15normal_iteratorINSA_10device_ptrIyEEEEPS6_NSA_18transform_iteratorI7is_evenIyESF_NSA_11use_defaultESK_EENS0_5tupleIJSF_NSA_16discard_iteratorISK_EEEEENSM_IJSG_SG_EEES6_PlJS6_EEE10hipError_tPvRmT3_T4_T5_T6_T7_T9_mT8_P12ihipStream_tbDpT10_ENKUlT_T0_E_clISt17integral_constantIbLb0EES1B_EEDaS16_S17_EUlS16_E_NS1_11comp_targetILNS1_3genE5ELNS1_11target_archE942ELNS1_3gpuE9ELNS1_3repE0EEENS1_30default_config_static_selectorELNS0_4arch9wavefront6targetE1EEEvT1_,comdat
.Lfunc_end2908:
	.size	_ZN7rocprim17ROCPRIM_400000_NS6detail17trampoline_kernelINS0_14default_configENS1_25partition_config_selectorILNS1_17partition_subalgoE1EyNS0_10empty_typeEbEEZZNS1_14partition_implILS5_1ELb0ES3_jN6thrust23THRUST_200600_302600_NS6detail15normal_iteratorINSA_10device_ptrIyEEEEPS6_NSA_18transform_iteratorI7is_evenIyESF_NSA_11use_defaultESK_EENS0_5tupleIJSF_NSA_16discard_iteratorISK_EEEEENSM_IJSG_SG_EEES6_PlJS6_EEE10hipError_tPvRmT3_T4_T5_T6_T7_T9_mT8_P12ihipStream_tbDpT10_ENKUlT_T0_E_clISt17integral_constantIbLb0EES1B_EEDaS16_S17_EUlS16_E_NS1_11comp_targetILNS1_3genE5ELNS1_11target_archE942ELNS1_3gpuE9ELNS1_3repE0EEENS1_30default_config_static_selectorELNS0_4arch9wavefront6targetE1EEEvT1_, .Lfunc_end2908-_ZN7rocprim17ROCPRIM_400000_NS6detail17trampoline_kernelINS0_14default_configENS1_25partition_config_selectorILNS1_17partition_subalgoE1EyNS0_10empty_typeEbEEZZNS1_14partition_implILS5_1ELb0ES3_jN6thrust23THRUST_200600_302600_NS6detail15normal_iteratorINSA_10device_ptrIyEEEEPS6_NSA_18transform_iteratorI7is_evenIyESF_NSA_11use_defaultESK_EENS0_5tupleIJSF_NSA_16discard_iteratorISK_EEEEENSM_IJSG_SG_EEES6_PlJS6_EEE10hipError_tPvRmT3_T4_T5_T6_T7_T9_mT8_P12ihipStream_tbDpT10_ENKUlT_T0_E_clISt17integral_constantIbLb0EES1B_EEDaS16_S17_EUlS16_E_NS1_11comp_targetILNS1_3genE5ELNS1_11target_archE942ELNS1_3gpuE9ELNS1_3repE0EEENS1_30default_config_static_selectorELNS0_4arch9wavefront6targetE1EEEvT1_
                                        ; -- End function
	.section	.AMDGPU.csdata,"",@progbits
; Kernel info:
; codeLenInByte = 5016
; NumSgprs: 46
; NumVgprs: 54
; NumAgprs: 0
; TotalNumVgprs: 54
; ScratchSize: 0
; MemoryBound: 0
; FloatMode: 240
; IeeeMode: 1
; LDSByteSize: 28680 bytes/workgroup (compile time only)
; SGPRBlocks: 5
; VGPRBlocks: 6
; NumSGPRsForWavesPerEU: 46
; NumVGPRsForWavesPerEU: 54
; AccumOffset: 56
; Occupancy: 4
; WaveLimiterHint : 1
; COMPUTE_PGM_RSRC2:SCRATCH_EN: 0
; COMPUTE_PGM_RSRC2:USER_SGPR: 2
; COMPUTE_PGM_RSRC2:TRAP_HANDLER: 0
; COMPUTE_PGM_RSRC2:TGID_X_EN: 1
; COMPUTE_PGM_RSRC2:TGID_Y_EN: 0
; COMPUTE_PGM_RSRC2:TGID_Z_EN: 0
; COMPUTE_PGM_RSRC2:TIDIG_COMP_CNT: 0
; COMPUTE_PGM_RSRC3_GFX90A:ACCUM_OFFSET: 13
; COMPUTE_PGM_RSRC3_GFX90A:TG_SPLIT: 0
	.section	.text._ZN7rocprim17ROCPRIM_400000_NS6detail17trampoline_kernelINS0_14default_configENS1_25partition_config_selectorILNS1_17partition_subalgoE1EyNS0_10empty_typeEbEEZZNS1_14partition_implILS5_1ELb0ES3_jN6thrust23THRUST_200600_302600_NS6detail15normal_iteratorINSA_10device_ptrIyEEEEPS6_NSA_18transform_iteratorI7is_evenIyESF_NSA_11use_defaultESK_EENS0_5tupleIJSF_NSA_16discard_iteratorISK_EEEEENSM_IJSG_SG_EEES6_PlJS6_EEE10hipError_tPvRmT3_T4_T5_T6_T7_T9_mT8_P12ihipStream_tbDpT10_ENKUlT_T0_E_clISt17integral_constantIbLb0EES1B_EEDaS16_S17_EUlS16_E_NS1_11comp_targetILNS1_3genE4ELNS1_11target_archE910ELNS1_3gpuE8ELNS1_3repE0EEENS1_30default_config_static_selectorELNS0_4arch9wavefront6targetE1EEEvT1_,"axG",@progbits,_ZN7rocprim17ROCPRIM_400000_NS6detail17trampoline_kernelINS0_14default_configENS1_25partition_config_selectorILNS1_17partition_subalgoE1EyNS0_10empty_typeEbEEZZNS1_14partition_implILS5_1ELb0ES3_jN6thrust23THRUST_200600_302600_NS6detail15normal_iteratorINSA_10device_ptrIyEEEEPS6_NSA_18transform_iteratorI7is_evenIyESF_NSA_11use_defaultESK_EENS0_5tupleIJSF_NSA_16discard_iteratorISK_EEEEENSM_IJSG_SG_EEES6_PlJS6_EEE10hipError_tPvRmT3_T4_T5_T6_T7_T9_mT8_P12ihipStream_tbDpT10_ENKUlT_T0_E_clISt17integral_constantIbLb0EES1B_EEDaS16_S17_EUlS16_E_NS1_11comp_targetILNS1_3genE4ELNS1_11target_archE910ELNS1_3gpuE8ELNS1_3repE0EEENS1_30default_config_static_selectorELNS0_4arch9wavefront6targetE1EEEvT1_,comdat
	.protected	_ZN7rocprim17ROCPRIM_400000_NS6detail17trampoline_kernelINS0_14default_configENS1_25partition_config_selectorILNS1_17partition_subalgoE1EyNS0_10empty_typeEbEEZZNS1_14partition_implILS5_1ELb0ES3_jN6thrust23THRUST_200600_302600_NS6detail15normal_iteratorINSA_10device_ptrIyEEEEPS6_NSA_18transform_iteratorI7is_evenIyESF_NSA_11use_defaultESK_EENS0_5tupleIJSF_NSA_16discard_iteratorISK_EEEEENSM_IJSG_SG_EEES6_PlJS6_EEE10hipError_tPvRmT3_T4_T5_T6_T7_T9_mT8_P12ihipStream_tbDpT10_ENKUlT_T0_E_clISt17integral_constantIbLb0EES1B_EEDaS16_S17_EUlS16_E_NS1_11comp_targetILNS1_3genE4ELNS1_11target_archE910ELNS1_3gpuE8ELNS1_3repE0EEENS1_30default_config_static_selectorELNS0_4arch9wavefront6targetE1EEEvT1_ ; -- Begin function _ZN7rocprim17ROCPRIM_400000_NS6detail17trampoline_kernelINS0_14default_configENS1_25partition_config_selectorILNS1_17partition_subalgoE1EyNS0_10empty_typeEbEEZZNS1_14partition_implILS5_1ELb0ES3_jN6thrust23THRUST_200600_302600_NS6detail15normal_iteratorINSA_10device_ptrIyEEEEPS6_NSA_18transform_iteratorI7is_evenIyESF_NSA_11use_defaultESK_EENS0_5tupleIJSF_NSA_16discard_iteratorISK_EEEEENSM_IJSG_SG_EEES6_PlJS6_EEE10hipError_tPvRmT3_T4_T5_T6_T7_T9_mT8_P12ihipStream_tbDpT10_ENKUlT_T0_E_clISt17integral_constantIbLb0EES1B_EEDaS16_S17_EUlS16_E_NS1_11comp_targetILNS1_3genE4ELNS1_11target_archE910ELNS1_3gpuE8ELNS1_3repE0EEENS1_30default_config_static_selectorELNS0_4arch9wavefront6targetE1EEEvT1_
	.globl	_ZN7rocprim17ROCPRIM_400000_NS6detail17trampoline_kernelINS0_14default_configENS1_25partition_config_selectorILNS1_17partition_subalgoE1EyNS0_10empty_typeEbEEZZNS1_14partition_implILS5_1ELb0ES3_jN6thrust23THRUST_200600_302600_NS6detail15normal_iteratorINSA_10device_ptrIyEEEEPS6_NSA_18transform_iteratorI7is_evenIyESF_NSA_11use_defaultESK_EENS0_5tupleIJSF_NSA_16discard_iteratorISK_EEEEENSM_IJSG_SG_EEES6_PlJS6_EEE10hipError_tPvRmT3_T4_T5_T6_T7_T9_mT8_P12ihipStream_tbDpT10_ENKUlT_T0_E_clISt17integral_constantIbLb0EES1B_EEDaS16_S17_EUlS16_E_NS1_11comp_targetILNS1_3genE4ELNS1_11target_archE910ELNS1_3gpuE8ELNS1_3repE0EEENS1_30default_config_static_selectorELNS0_4arch9wavefront6targetE1EEEvT1_
	.p2align	8
	.type	_ZN7rocprim17ROCPRIM_400000_NS6detail17trampoline_kernelINS0_14default_configENS1_25partition_config_selectorILNS1_17partition_subalgoE1EyNS0_10empty_typeEbEEZZNS1_14partition_implILS5_1ELb0ES3_jN6thrust23THRUST_200600_302600_NS6detail15normal_iteratorINSA_10device_ptrIyEEEEPS6_NSA_18transform_iteratorI7is_evenIyESF_NSA_11use_defaultESK_EENS0_5tupleIJSF_NSA_16discard_iteratorISK_EEEEENSM_IJSG_SG_EEES6_PlJS6_EEE10hipError_tPvRmT3_T4_T5_T6_T7_T9_mT8_P12ihipStream_tbDpT10_ENKUlT_T0_E_clISt17integral_constantIbLb0EES1B_EEDaS16_S17_EUlS16_E_NS1_11comp_targetILNS1_3genE4ELNS1_11target_archE910ELNS1_3gpuE8ELNS1_3repE0EEENS1_30default_config_static_selectorELNS0_4arch9wavefront6targetE1EEEvT1_,@function
_ZN7rocprim17ROCPRIM_400000_NS6detail17trampoline_kernelINS0_14default_configENS1_25partition_config_selectorILNS1_17partition_subalgoE1EyNS0_10empty_typeEbEEZZNS1_14partition_implILS5_1ELb0ES3_jN6thrust23THRUST_200600_302600_NS6detail15normal_iteratorINSA_10device_ptrIyEEEEPS6_NSA_18transform_iteratorI7is_evenIyESF_NSA_11use_defaultESK_EENS0_5tupleIJSF_NSA_16discard_iteratorISK_EEEEENSM_IJSG_SG_EEES6_PlJS6_EEE10hipError_tPvRmT3_T4_T5_T6_T7_T9_mT8_P12ihipStream_tbDpT10_ENKUlT_T0_E_clISt17integral_constantIbLb0EES1B_EEDaS16_S17_EUlS16_E_NS1_11comp_targetILNS1_3genE4ELNS1_11target_archE910ELNS1_3gpuE8ELNS1_3repE0EEENS1_30default_config_static_selectorELNS0_4arch9wavefront6targetE1EEEvT1_: ; @_ZN7rocprim17ROCPRIM_400000_NS6detail17trampoline_kernelINS0_14default_configENS1_25partition_config_selectorILNS1_17partition_subalgoE1EyNS0_10empty_typeEbEEZZNS1_14partition_implILS5_1ELb0ES3_jN6thrust23THRUST_200600_302600_NS6detail15normal_iteratorINSA_10device_ptrIyEEEEPS6_NSA_18transform_iteratorI7is_evenIyESF_NSA_11use_defaultESK_EENS0_5tupleIJSF_NSA_16discard_iteratorISK_EEEEENSM_IJSG_SG_EEES6_PlJS6_EEE10hipError_tPvRmT3_T4_T5_T6_T7_T9_mT8_P12ihipStream_tbDpT10_ENKUlT_T0_E_clISt17integral_constantIbLb0EES1B_EEDaS16_S17_EUlS16_E_NS1_11comp_targetILNS1_3genE4ELNS1_11target_archE910ELNS1_3gpuE8ELNS1_3repE0EEENS1_30default_config_static_selectorELNS0_4arch9wavefront6targetE1EEEvT1_
; %bb.0:
	.section	.rodata,"a",@progbits
	.p2align	6, 0x0
	.amdhsa_kernel _ZN7rocprim17ROCPRIM_400000_NS6detail17trampoline_kernelINS0_14default_configENS1_25partition_config_selectorILNS1_17partition_subalgoE1EyNS0_10empty_typeEbEEZZNS1_14partition_implILS5_1ELb0ES3_jN6thrust23THRUST_200600_302600_NS6detail15normal_iteratorINSA_10device_ptrIyEEEEPS6_NSA_18transform_iteratorI7is_evenIyESF_NSA_11use_defaultESK_EENS0_5tupleIJSF_NSA_16discard_iteratorISK_EEEEENSM_IJSG_SG_EEES6_PlJS6_EEE10hipError_tPvRmT3_T4_T5_T6_T7_T9_mT8_P12ihipStream_tbDpT10_ENKUlT_T0_E_clISt17integral_constantIbLb0EES1B_EEDaS16_S17_EUlS16_E_NS1_11comp_targetILNS1_3genE4ELNS1_11target_archE910ELNS1_3gpuE8ELNS1_3repE0EEENS1_30default_config_static_selectorELNS0_4arch9wavefront6targetE1EEEvT1_
		.amdhsa_group_segment_fixed_size 0
		.amdhsa_private_segment_fixed_size 0
		.amdhsa_kernarg_size 136
		.amdhsa_user_sgpr_count 2
		.amdhsa_user_sgpr_dispatch_ptr 0
		.amdhsa_user_sgpr_queue_ptr 0
		.amdhsa_user_sgpr_kernarg_segment_ptr 1
		.amdhsa_user_sgpr_dispatch_id 0
		.amdhsa_user_sgpr_kernarg_preload_length 0
		.amdhsa_user_sgpr_kernarg_preload_offset 0
		.amdhsa_user_sgpr_private_segment_size 0
		.amdhsa_uses_dynamic_stack 0
		.amdhsa_enable_private_segment 0
		.amdhsa_system_sgpr_workgroup_id_x 1
		.amdhsa_system_sgpr_workgroup_id_y 0
		.amdhsa_system_sgpr_workgroup_id_z 0
		.amdhsa_system_sgpr_workgroup_info 0
		.amdhsa_system_vgpr_workitem_id 0
		.amdhsa_next_free_vgpr 1
		.amdhsa_next_free_sgpr 0
		.amdhsa_accum_offset 4
		.amdhsa_reserve_vcc 0
		.amdhsa_float_round_mode_32 0
		.amdhsa_float_round_mode_16_64 0
		.amdhsa_float_denorm_mode_32 3
		.amdhsa_float_denorm_mode_16_64 3
		.amdhsa_dx10_clamp 1
		.amdhsa_ieee_mode 1
		.amdhsa_fp16_overflow 0
		.amdhsa_tg_split 0
		.amdhsa_exception_fp_ieee_invalid_op 0
		.amdhsa_exception_fp_denorm_src 0
		.amdhsa_exception_fp_ieee_div_zero 0
		.amdhsa_exception_fp_ieee_overflow 0
		.amdhsa_exception_fp_ieee_underflow 0
		.amdhsa_exception_fp_ieee_inexact 0
		.amdhsa_exception_int_div_zero 0
	.end_amdhsa_kernel
	.section	.text._ZN7rocprim17ROCPRIM_400000_NS6detail17trampoline_kernelINS0_14default_configENS1_25partition_config_selectorILNS1_17partition_subalgoE1EyNS0_10empty_typeEbEEZZNS1_14partition_implILS5_1ELb0ES3_jN6thrust23THRUST_200600_302600_NS6detail15normal_iteratorINSA_10device_ptrIyEEEEPS6_NSA_18transform_iteratorI7is_evenIyESF_NSA_11use_defaultESK_EENS0_5tupleIJSF_NSA_16discard_iteratorISK_EEEEENSM_IJSG_SG_EEES6_PlJS6_EEE10hipError_tPvRmT3_T4_T5_T6_T7_T9_mT8_P12ihipStream_tbDpT10_ENKUlT_T0_E_clISt17integral_constantIbLb0EES1B_EEDaS16_S17_EUlS16_E_NS1_11comp_targetILNS1_3genE4ELNS1_11target_archE910ELNS1_3gpuE8ELNS1_3repE0EEENS1_30default_config_static_selectorELNS0_4arch9wavefront6targetE1EEEvT1_,"axG",@progbits,_ZN7rocprim17ROCPRIM_400000_NS6detail17trampoline_kernelINS0_14default_configENS1_25partition_config_selectorILNS1_17partition_subalgoE1EyNS0_10empty_typeEbEEZZNS1_14partition_implILS5_1ELb0ES3_jN6thrust23THRUST_200600_302600_NS6detail15normal_iteratorINSA_10device_ptrIyEEEEPS6_NSA_18transform_iteratorI7is_evenIyESF_NSA_11use_defaultESK_EENS0_5tupleIJSF_NSA_16discard_iteratorISK_EEEEENSM_IJSG_SG_EEES6_PlJS6_EEE10hipError_tPvRmT3_T4_T5_T6_T7_T9_mT8_P12ihipStream_tbDpT10_ENKUlT_T0_E_clISt17integral_constantIbLb0EES1B_EEDaS16_S17_EUlS16_E_NS1_11comp_targetILNS1_3genE4ELNS1_11target_archE910ELNS1_3gpuE8ELNS1_3repE0EEENS1_30default_config_static_selectorELNS0_4arch9wavefront6targetE1EEEvT1_,comdat
.Lfunc_end2909:
	.size	_ZN7rocprim17ROCPRIM_400000_NS6detail17trampoline_kernelINS0_14default_configENS1_25partition_config_selectorILNS1_17partition_subalgoE1EyNS0_10empty_typeEbEEZZNS1_14partition_implILS5_1ELb0ES3_jN6thrust23THRUST_200600_302600_NS6detail15normal_iteratorINSA_10device_ptrIyEEEEPS6_NSA_18transform_iteratorI7is_evenIyESF_NSA_11use_defaultESK_EENS0_5tupleIJSF_NSA_16discard_iteratorISK_EEEEENSM_IJSG_SG_EEES6_PlJS6_EEE10hipError_tPvRmT3_T4_T5_T6_T7_T9_mT8_P12ihipStream_tbDpT10_ENKUlT_T0_E_clISt17integral_constantIbLb0EES1B_EEDaS16_S17_EUlS16_E_NS1_11comp_targetILNS1_3genE4ELNS1_11target_archE910ELNS1_3gpuE8ELNS1_3repE0EEENS1_30default_config_static_selectorELNS0_4arch9wavefront6targetE1EEEvT1_, .Lfunc_end2909-_ZN7rocprim17ROCPRIM_400000_NS6detail17trampoline_kernelINS0_14default_configENS1_25partition_config_selectorILNS1_17partition_subalgoE1EyNS0_10empty_typeEbEEZZNS1_14partition_implILS5_1ELb0ES3_jN6thrust23THRUST_200600_302600_NS6detail15normal_iteratorINSA_10device_ptrIyEEEEPS6_NSA_18transform_iteratorI7is_evenIyESF_NSA_11use_defaultESK_EENS0_5tupleIJSF_NSA_16discard_iteratorISK_EEEEENSM_IJSG_SG_EEES6_PlJS6_EEE10hipError_tPvRmT3_T4_T5_T6_T7_T9_mT8_P12ihipStream_tbDpT10_ENKUlT_T0_E_clISt17integral_constantIbLb0EES1B_EEDaS16_S17_EUlS16_E_NS1_11comp_targetILNS1_3genE4ELNS1_11target_archE910ELNS1_3gpuE8ELNS1_3repE0EEENS1_30default_config_static_selectorELNS0_4arch9wavefront6targetE1EEEvT1_
                                        ; -- End function
	.section	.AMDGPU.csdata,"",@progbits
; Kernel info:
; codeLenInByte = 0
; NumSgprs: 6
; NumVgprs: 0
; NumAgprs: 0
; TotalNumVgprs: 0
; ScratchSize: 0
; MemoryBound: 0
; FloatMode: 240
; IeeeMode: 1
; LDSByteSize: 0 bytes/workgroup (compile time only)
; SGPRBlocks: 0
; VGPRBlocks: 0
; NumSGPRsForWavesPerEU: 6
; NumVGPRsForWavesPerEU: 1
; AccumOffset: 4
; Occupancy: 8
; WaveLimiterHint : 0
; COMPUTE_PGM_RSRC2:SCRATCH_EN: 0
; COMPUTE_PGM_RSRC2:USER_SGPR: 2
; COMPUTE_PGM_RSRC2:TRAP_HANDLER: 0
; COMPUTE_PGM_RSRC2:TGID_X_EN: 1
; COMPUTE_PGM_RSRC2:TGID_Y_EN: 0
; COMPUTE_PGM_RSRC2:TGID_Z_EN: 0
; COMPUTE_PGM_RSRC2:TIDIG_COMP_CNT: 0
; COMPUTE_PGM_RSRC3_GFX90A:ACCUM_OFFSET: 0
; COMPUTE_PGM_RSRC3_GFX90A:TG_SPLIT: 0
	.section	.text._ZN7rocprim17ROCPRIM_400000_NS6detail17trampoline_kernelINS0_14default_configENS1_25partition_config_selectorILNS1_17partition_subalgoE1EyNS0_10empty_typeEbEEZZNS1_14partition_implILS5_1ELb0ES3_jN6thrust23THRUST_200600_302600_NS6detail15normal_iteratorINSA_10device_ptrIyEEEEPS6_NSA_18transform_iteratorI7is_evenIyESF_NSA_11use_defaultESK_EENS0_5tupleIJSF_NSA_16discard_iteratorISK_EEEEENSM_IJSG_SG_EEES6_PlJS6_EEE10hipError_tPvRmT3_T4_T5_T6_T7_T9_mT8_P12ihipStream_tbDpT10_ENKUlT_T0_E_clISt17integral_constantIbLb0EES1B_EEDaS16_S17_EUlS16_E_NS1_11comp_targetILNS1_3genE3ELNS1_11target_archE908ELNS1_3gpuE7ELNS1_3repE0EEENS1_30default_config_static_selectorELNS0_4arch9wavefront6targetE1EEEvT1_,"axG",@progbits,_ZN7rocprim17ROCPRIM_400000_NS6detail17trampoline_kernelINS0_14default_configENS1_25partition_config_selectorILNS1_17partition_subalgoE1EyNS0_10empty_typeEbEEZZNS1_14partition_implILS5_1ELb0ES3_jN6thrust23THRUST_200600_302600_NS6detail15normal_iteratorINSA_10device_ptrIyEEEEPS6_NSA_18transform_iteratorI7is_evenIyESF_NSA_11use_defaultESK_EENS0_5tupleIJSF_NSA_16discard_iteratorISK_EEEEENSM_IJSG_SG_EEES6_PlJS6_EEE10hipError_tPvRmT3_T4_T5_T6_T7_T9_mT8_P12ihipStream_tbDpT10_ENKUlT_T0_E_clISt17integral_constantIbLb0EES1B_EEDaS16_S17_EUlS16_E_NS1_11comp_targetILNS1_3genE3ELNS1_11target_archE908ELNS1_3gpuE7ELNS1_3repE0EEENS1_30default_config_static_selectorELNS0_4arch9wavefront6targetE1EEEvT1_,comdat
	.protected	_ZN7rocprim17ROCPRIM_400000_NS6detail17trampoline_kernelINS0_14default_configENS1_25partition_config_selectorILNS1_17partition_subalgoE1EyNS0_10empty_typeEbEEZZNS1_14partition_implILS5_1ELb0ES3_jN6thrust23THRUST_200600_302600_NS6detail15normal_iteratorINSA_10device_ptrIyEEEEPS6_NSA_18transform_iteratorI7is_evenIyESF_NSA_11use_defaultESK_EENS0_5tupleIJSF_NSA_16discard_iteratorISK_EEEEENSM_IJSG_SG_EEES6_PlJS6_EEE10hipError_tPvRmT3_T4_T5_T6_T7_T9_mT8_P12ihipStream_tbDpT10_ENKUlT_T0_E_clISt17integral_constantIbLb0EES1B_EEDaS16_S17_EUlS16_E_NS1_11comp_targetILNS1_3genE3ELNS1_11target_archE908ELNS1_3gpuE7ELNS1_3repE0EEENS1_30default_config_static_selectorELNS0_4arch9wavefront6targetE1EEEvT1_ ; -- Begin function _ZN7rocprim17ROCPRIM_400000_NS6detail17trampoline_kernelINS0_14default_configENS1_25partition_config_selectorILNS1_17partition_subalgoE1EyNS0_10empty_typeEbEEZZNS1_14partition_implILS5_1ELb0ES3_jN6thrust23THRUST_200600_302600_NS6detail15normal_iteratorINSA_10device_ptrIyEEEEPS6_NSA_18transform_iteratorI7is_evenIyESF_NSA_11use_defaultESK_EENS0_5tupleIJSF_NSA_16discard_iteratorISK_EEEEENSM_IJSG_SG_EEES6_PlJS6_EEE10hipError_tPvRmT3_T4_T5_T6_T7_T9_mT8_P12ihipStream_tbDpT10_ENKUlT_T0_E_clISt17integral_constantIbLb0EES1B_EEDaS16_S17_EUlS16_E_NS1_11comp_targetILNS1_3genE3ELNS1_11target_archE908ELNS1_3gpuE7ELNS1_3repE0EEENS1_30default_config_static_selectorELNS0_4arch9wavefront6targetE1EEEvT1_
	.globl	_ZN7rocprim17ROCPRIM_400000_NS6detail17trampoline_kernelINS0_14default_configENS1_25partition_config_selectorILNS1_17partition_subalgoE1EyNS0_10empty_typeEbEEZZNS1_14partition_implILS5_1ELb0ES3_jN6thrust23THRUST_200600_302600_NS6detail15normal_iteratorINSA_10device_ptrIyEEEEPS6_NSA_18transform_iteratorI7is_evenIyESF_NSA_11use_defaultESK_EENS0_5tupleIJSF_NSA_16discard_iteratorISK_EEEEENSM_IJSG_SG_EEES6_PlJS6_EEE10hipError_tPvRmT3_T4_T5_T6_T7_T9_mT8_P12ihipStream_tbDpT10_ENKUlT_T0_E_clISt17integral_constantIbLb0EES1B_EEDaS16_S17_EUlS16_E_NS1_11comp_targetILNS1_3genE3ELNS1_11target_archE908ELNS1_3gpuE7ELNS1_3repE0EEENS1_30default_config_static_selectorELNS0_4arch9wavefront6targetE1EEEvT1_
	.p2align	8
	.type	_ZN7rocprim17ROCPRIM_400000_NS6detail17trampoline_kernelINS0_14default_configENS1_25partition_config_selectorILNS1_17partition_subalgoE1EyNS0_10empty_typeEbEEZZNS1_14partition_implILS5_1ELb0ES3_jN6thrust23THRUST_200600_302600_NS6detail15normal_iteratorINSA_10device_ptrIyEEEEPS6_NSA_18transform_iteratorI7is_evenIyESF_NSA_11use_defaultESK_EENS0_5tupleIJSF_NSA_16discard_iteratorISK_EEEEENSM_IJSG_SG_EEES6_PlJS6_EEE10hipError_tPvRmT3_T4_T5_T6_T7_T9_mT8_P12ihipStream_tbDpT10_ENKUlT_T0_E_clISt17integral_constantIbLb0EES1B_EEDaS16_S17_EUlS16_E_NS1_11comp_targetILNS1_3genE3ELNS1_11target_archE908ELNS1_3gpuE7ELNS1_3repE0EEENS1_30default_config_static_selectorELNS0_4arch9wavefront6targetE1EEEvT1_,@function
_ZN7rocprim17ROCPRIM_400000_NS6detail17trampoline_kernelINS0_14default_configENS1_25partition_config_selectorILNS1_17partition_subalgoE1EyNS0_10empty_typeEbEEZZNS1_14partition_implILS5_1ELb0ES3_jN6thrust23THRUST_200600_302600_NS6detail15normal_iteratorINSA_10device_ptrIyEEEEPS6_NSA_18transform_iteratorI7is_evenIyESF_NSA_11use_defaultESK_EENS0_5tupleIJSF_NSA_16discard_iteratorISK_EEEEENSM_IJSG_SG_EEES6_PlJS6_EEE10hipError_tPvRmT3_T4_T5_T6_T7_T9_mT8_P12ihipStream_tbDpT10_ENKUlT_T0_E_clISt17integral_constantIbLb0EES1B_EEDaS16_S17_EUlS16_E_NS1_11comp_targetILNS1_3genE3ELNS1_11target_archE908ELNS1_3gpuE7ELNS1_3repE0EEENS1_30default_config_static_selectorELNS0_4arch9wavefront6targetE1EEEvT1_: ; @_ZN7rocprim17ROCPRIM_400000_NS6detail17trampoline_kernelINS0_14default_configENS1_25partition_config_selectorILNS1_17partition_subalgoE1EyNS0_10empty_typeEbEEZZNS1_14partition_implILS5_1ELb0ES3_jN6thrust23THRUST_200600_302600_NS6detail15normal_iteratorINSA_10device_ptrIyEEEEPS6_NSA_18transform_iteratorI7is_evenIyESF_NSA_11use_defaultESK_EENS0_5tupleIJSF_NSA_16discard_iteratorISK_EEEEENSM_IJSG_SG_EEES6_PlJS6_EEE10hipError_tPvRmT3_T4_T5_T6_T7_T9_mT8_P12ihipStream_tbDpT10_ENKUlT_T0_E_clISt17integral_constantIbLb0EES1B_EEDaS16_S17_EUlS16_E_NS1_11comp_targetILNS1_3genE3ELNS1_11target_archE908ELNS1_3gpuE7ELNS1_3repE0EEENS1_30default_config_static_selectorELNS0_4arch9wavefront6targetE1EEEvT1_
; %bb.0:
	.section	.rodata,"a",@progbits
	.p2align	6, 0x0
	.amdhsa_kernel _ZN7rocprim17ROCPRIM_400000_NS6detail17trampoline_kernelINS0_14default_configENS1_25partition_config_selectorILNS1_17partition_subalgoE1EyNS0_10empty_typeEbEEZZNS1_14partition_implILS5_1ELb0ES3_jN6thrust23THRUST_200600_302600_NS6detail15normal_iteratorINSA_10device_ptrIyEEEEPS6_NSA_18transform_iteratorI7is_evenIyESF_NSA_11use_defaultESK_EENS0_5tupleIJSF_NSA_16discard_iteratorISK_EEEEENSM_IJSG_SG_EEES6_PlJS6_EEE10hipError_tPvRmT3_T4_T5_T6_T7_T9_mT8_P12ihipStream_tbDpT10_ENKUlT_T0_E_clISt17integral_constantIbLb0EES1B_EEDaS16_S17_EUlS16_E_NS1_11comp_targetILNS1_3genE3ELNS1_11target_archE908ELNS1_3gpuE7ELNS1_3repE0EEENS1_30default_config_static_selectorELNS0_4arch9wavefront6targetE1EEEvT1_
		.amdhsa_group_segment_fixed_size 0
		.amdhsa_private_segment_fixed_size 0
		.amdhsa_kernarg_size 136
		.amdhsa_user_sgpr_count 2
		.amdhsa_user_sgpr_dispatch_ptr 0
		.amdhsa_user_sgpr_queue_ptr 0
		.amdhsa_user_sgpr_kernarg_segment_ptr 1
		.amdhsa_user_sgpr_dispatch_id 0
		.amdhsa_user_sgpr_kernarg_preload_length 0
		.amdhsa_user_sgpr_kernarg_preload_offset 0
		.amdhsa_user_sgpr_private_segment_size 0
		.amdhsa_uses_dynamic_stack 0
		.amdhsa_enable_private_segment 0
		.amdhsa_system_sgpr_workgroup_id_x 1
		.amdhsa_system_sgpr_workgroup_id_y 0
		.amdhsa_system_sgpr_workgroup_id_z 0
		.amdhsa_system_sgpr_workgroup_info 0
		.amdhsa_system_vgpr_workitem_id 0
		.amdhsa_next_free_vgpr 1
		.amdhsa_next_free_sgpr 0
		.amdhsa_accum_offset 4
		.amdhsa_reserve_vcc 0
		.amdhsa_float_round_mode_32 0
		.amdhsa_float_round_mode_16_64 0
		.amdhsa_float_denorm_mode_32 3
		.amdhsa_float_denorm_mode_16_64 3
		.amdhsa_dx10_clamp 1
		.amdhsa_ieee_mode 1
		.amdhsa_fp16_overflow 0
		.amdhsa_tg_split 0
		.amdhsa_exception_fp_ieee_invalid_op 0
		.amdhsa_exception_fp_denorm_src 0
		.amdhsa_exception_fp_ieee_div_zero 0
		.amdhsa_exception_fp_ieee_overflow 0
		.amdhsa_exception_fp_ieee_underflow 0
		.amdhsa_exception_fp_ieee_inexact 0
		.amdhsa_exception_int_div_zero 0
	.end_amdhsa_kernel
	.section	.text._ZN7rocprim17ROCPRIM_400000_NS6detail17trampoline_kernelINS0_14default_configENS1_25partition_config_selectorILNS1_17partition_subalgoE1EyNS0_10empty_typeEbEEZZNS1_14partition_implILS5_1ELb0ES3_jN6thrust23THRUST_200600_302600_NS6detail15normal_iteratorINSA_10device_ptrIyEEEEPS6_NSA_18transform_iteratorI7is_evenIyESF_NSA_11use_defaultESK_EENS0_5tupleIJSF_NSA_16discard_iteratorISK_EEEEENSM_IJSG_SG_EEES6_PlJS6_EEE10hipError_tPvRmT3_T4_T5_T6_T7_T9_mT8_P12ihipStream_tbDpT10_ENKUlT_T0_E_clISt17integral_constantIbLb0EES1B_EEDaS16_S17_EUlS16_E_NS1_11comp_targetILNS1_3genE3ELNS1_11target_archE908ELNS1_3gpuE7ELNS1_3repE0EEENS1_30default_config_static_selectorELNS0_4arch9wavefront6targetE1EEEvT1_,"axG",@progbits,_ZN7rocprim17ROCPRIM_400000_NS6detail17trampoline_kernelINS0_14default_configENS1_25partition_config_selectorILNS1_17partition_subalgoE1EyNS0_10empty_typeEbEEZZNS1_14partition_implILS5_1ELb0ES3_jN6thrust23THRUST_200600_302600_NS6detail15normal_iteratorINSA_10device_ptrIyEEEEPS6_NSA_18transform_iteratorI7is_evenIyESF_NSA_11use_defaultESK_EENS0_5tupleIJSF_NSA_16discard_iteratorISK_EEEEENSM_IJSG_SG_EEES6_PlJS6_EEE10hipError_tPvRmT3_T4_T5_T6_T7_T9_mT8_P12ihipStream_tbDpT10_ENKUlT_T0_E_clISt17integral_constantIbLb0EES1B_EEDaS16_S17_EUlS16_E_NS1_11comp_targetILNS1_3genE3ELNS1_11target_archE908ELNS1_3gpuE7ELNS1_3repE0EEENS1_30default_config_static_selectorELNS0_4arch9wavefront6targetE1EEEvT1_,comdat
.Lfunc_end2910:
	.size	_ZN7rocprim17ROCPRIM_400000_NS6detail17trampoline_kernelINS0_14default_configENS1_25partition_config_selectorILNS1_17partition_subalgoE1EyNS0_10empty_typeEbEEZZNS1_14partition_implILS5_1ELb0ES3_jN6thrust23THRUST_200600_302600_NS6detail15normal_iteratorINSA_10device_ptrIyEEEEPS6_NSA_18transform_iteratorI7is_evenIyESF_NSA_11use_defaultESK_EENS0_5tupleIJSF_NSA_16discard_iteratorISK_EEEEENSM_IJSG_SG_EEES6_PlJS6_EEE10hipError_tPvRmT3_T4_T5_T6_T7_T9_mT8_P12ihipStream_tbDpT10_ENKUlT_T0_E_clISt17integral_constantIbLb0EES1B_EEDaS16_S17_EUlS16_E_NS1_11comp_targetILNS1_3genE3ELNS1_11target_archE908ELNS1_3gpuE7ELNS1_3repE0EEENS1_30default_config_static_selectorELNS0_4arch9wavefront6targetE1EEEvT1_, .Lfunc_end2910-_ZN7rocprim17ROCPRIM_400000_NS6detail17trampoline_kernelINS0_14default_configENS1_25partition_config_selectorILNS1_17partition_subalgoE1EyNS0_10empty_typeEbEEZZNS1_14partition_implILS5_1ELb0ES3_jN6thrust23THRUST_200600_302600_NS6detail15normal_iteratorINSA_10device_ptrIyEEEEPS6_NSA_18transform_iteratorI7is_evenIyESF_NSA_11use_defaultESK_EENS0_5tupleIJSF_NSA_16discard_iteratorISK_EEEEENSM_IJSG_SG_EEES6_PlJS6_EEE10hipError_tPvRmT3_T4_T5_T6_T7_T9_mT8_P12ihipStream_tbDpT10_ENKUlT_T0_E_clISt17integral_constantIbLb0EES1B_EEDaS16_S17_EUlS16_E_NS1_11comp_targetILNS1_3genE3ELNS1_11target_archE908ELNS1_3gpuE7ELNS1_3repE0EEENS1_30default_config_static_selectorELNS0_4arch9wavefront6targetE1EEEvT1_
                                        ; -- End function
	.section	.AMDGPU.csdata,"",@progbits
; Kernel info:
; codeLenInByte = 0
; NumSgprs: 6
; NumVgprs: 0
; NumAgprs: 0
; TotalNumVgprs: 0
; ScratchSize: 0
; MemoryBound: 0
; FloatMode: 240
; IeeeMode: 1
; LDSByteSize: 0 bytes/workgroup (compile time only)
; SGPRBlocks: 0
; VGPRBlocks: 0
; NumSGPRsForWavesPerEU: 6
; NumVGPRsForWavesPerEU: 1
; AccumOffset: 4
; Occupancy: 8
; WaveLimiterHint : 0
; COMPUTE_PGM_RSRC2:SCRATCH_EN: 0
; COMPUTE_PGM_RSRC2:USER_SGPR: 2
; COMPUTE_PGM_RSRC2:TRAP_HANDLER: 0
; COMPUTE_PGM_RSRC2:TGID_X_EN: 1
; COMPUTE_PGM_RSRC2:TGID_Y_EN: 0
; COMPUTE_PGM_RSRC2:TGID_Z_EN: 0
; COMPUTE_PGM_RSRC2:TIDIG_COMP_CNT: 0
; COMPUTE_PGM_RSRC3_GFX90A:ACCUM_OFFSET: 0
; COMPUTE_PGM_RSRC3_GFX90A:TG_SPLIT: 0
	.section	.text._ZN7rocprim17ROCPRIM_400000_NS6detail17trampoline_kernelINS0_14default_configENS1_25partition_config_selectorILNS1_17partition_subalgoE1EyNS0_10empty_typeEbEEZZNS1_14partition_implILS5_1ELb0ES3_jN6thrust23THRUST_200600_302600_NS6detail15normal_iteratorINSA_10device_ptrIyEEEEPS6_NSA_18transform_iteratorI7is_evenIyESF_NSA_11use_defaultESK_EENS0_5tupleIJSF_NSA_16discard_iteratorISK_EEEEENSM_IJSG_SG_EEES6_PlJS6_EEE10hipError_tPvRmT3_T4_T5_T6_T7_T9_mT8_P12ihipStream_tbDpT10_ENKUlT_T0_E_clISt17integral_constantIbLb0EES1B_EEDaS16_S17_EUlS16_E_NS1_11comp_targetILNS1_3genE2ELNS1_11target_archE906ELNS1_3gpuE6ELNS1_3repE0EEENS1_30default_config_static_selectorELNS0_4arch9wavefront6targetE1EEEvT1_,"axG",@progbits,_ZN7rocprim17ROCPRIM_400000_NS6detail17trampoline_kernelINS0_14default_configENS1_25partition_config_selectorILNS1_17partition_subalgoE1EyNS0_10empty_typeEbEEZZNS1_14partition_implILS5_1ELb0ES3_jN6thrust23THRUST_200600_302600_NS6detail15normal_iteratorINSA_10device_ptrIyEEEEPS6_NSA_18transform_iteratorI7is_evenIyESF_NSA_11use_defaultESK_EENS0_5tupleIJSF_NSA_16discard_iteratorISK_EEEEENSM_IJSG_SG_EEES6_PlJS6_EEE10hipError_tPvRmT3_T4_T5_T6_T7_T9_mT8_P12ihipStream_tbDpT10_ENKUlT_T0_E_clISt17integral_constantIbLb0EES1B_EEDaS16_S17_EUlS16_E_NS1_11comp_targetILNS1_3genE2ELNS1_11target_archE906ELNS1_3gpuE6ELNS1_3repE0EEENS1_30default_config_static_selectorELNS0_4arch9wavefront6targetE1EEEvT1_,comdat
	.protected	_ZN7rocprim17ROCPRIM_400000_NS6detail17trampoline_kernelINS0_14default_configENS1_25partition_config_selectorILNS1_17partition_subalgoE1EyNS0_10empty_typeEbEEZZNS1_14partition_implILS5_1ELb0ES3_jN6thrust23THRUST_200600_302600_NS6detail15normal_iteratorINSA_10device_ptrIyEEEEPS6_NSA_18transform_iteratorI7is_evenIyESF_NSA_11use_defaultESK_EENS0_5tupleIJSF_NSA_16discard_iteratorISK_EEEEENSM_IJSG_SG_EEES6_PlJS6_EEE10hipError_tPvRmT3_T4_T5_T6_T7_T9_mT8_P12ihipStream_tbDpT10_ENKUlT_T0_E_clISt17integral_constantIbLb0EES1B_EEDaS16_S17_EUlS16_E_NS1_11comp_targetILNS1_3genE2ELNS1_11target_archE906ELNS1_3gpuE6ELNS1_3repE0EEENS1_30default_config_static_selectorELNS0_4arch9wavefront6targetE1EEEvT1_ ; -- Begin function _ZN7rocprim17ROCPRIM_400000_NS6detail17trampoline_kernelINS0_14default_configENS1_25partition_config_selectorILNS1_17partition_subalgoE1EyNS0_10empty_typeEbEEZZNS1_14partition_implILS5_1ELb0ES3_jN6thrust23THRUST_200600_302600_NS6detail15normal_iteratorINSA_10device_ptrIyEEEEPS6_NSA_18transform_iteratorI7is_evenIyESF_NSA_11use_defaultESK_EENS0_5tupleIJSF_NSA_16discard_iteratorISK_EEEEENSM_IJSG_SG_EEES6_PlJS6_EEE10hipError_tPvRmT3_T4_T5_T6_T7_T9_mT8_P12ihipStream_tbDpT10_ENKUlT_T0_E_clISt17integral_constantIbLb0EES1B_EEDaS16_S17_EUlS16_E_NS1_11comp_targetILNS1_3genE2ELNS1_11target_archE906ELNS1_3gpuE6ELNS1_3repE0EEENS1_30default_config_static_selectorELNS0_4arch9wavefront6targetE1EEEvT1_
	.globl	_ZN7rocprim17ROCPRIM_400000_NS6detail17trampoline_kernelINS0_14default_configENS1_25partition_config_selectorILNS1_17partition_subalgoE1EyNS0_10empty_typeEbEEZZNS1_14partition_implILS5_1ELb0ES3_jN6thrust23THRUST_200600_302600_NS6detail15normal_iteratorINSA_10device_ptrIyEEEEPS6_NSA_18transform_iteratorI7is_evenIyESF_NSA_11use_defaultESK_EENS0_5tupleIJSF_NSA_16discard_iteratorISK_EEEEENSM_IJSG_SG_EEES6_PlJS6_EEE10hipError_tPvRmT3_T4_T5_T6_T7_T9_mT8_P12ihipStream_tbDpT10_ENKUlT_T0_E_clISt17integral_constantIbLb0EES1B_EEDaS16_S17_EUlS16_E_NS1_11comp_targetILNS1_3genE2ELNS1_11target_archE906ELNS1_3gpuE6ELNS1_3repE0EEENS1_30default_config_static_selectorELNS0_4arch9wavefront6targetE1EEEvT1_
	.p2align	8
	.type	_ZN7rocprim17ROCPRIM_400000_NS6detail17trampoline_kernelINS0_14default_configENS1_25partition_config_selectorILNS1_17partition_subalgoE1EyNS0_10empty_typeEbEEZZNS1_14partition_implILS5_1ELb0ES3_jN6thrust23THRUST_200600_302600_NS6detail15normal_iteratorINSA_10device_ptrIyEEEEPS6_NSA_18transform_iteratorI7is_evenIyESF_NSA_11use_defaultESK_EENS0_5tupleIJSF_NSA_16discard_iteratorISK_EEEEENSM_IJSG_SG_EEES6_PlJS6_EEE10hipError_tPvRmT3_T4_T5_T6_T7_T9_mT8_P12ihipStream_tbDpT10_ENKUlT_T0_E_clISt17integral_constantIbLb0EES1B_EEDaS16_S17_EUlS16_E_NS1_11comp_targetILNS1_3genE2ELNS1_11target_archE906ELNS1_3gpuE6ELNS1_3repE0EEENS1_30default_config_static_selectorELNS0_4arch9wavefront6targetE1EEEvT1_,@function
_ZN7rocprim17ROCPRIM_400000_NS6detail17trampoline_kernelINS0_14default_configENS1_25partition_config_selectorILNS1_17partition_subalgoE1EyNS0_10empty_typeEbEEZZNS1_14partition_implILS5_1ELb0ES3_jN6thrust23THRUST_200600_302600_NS6detail15normal_iteratorINSA_10device_ptrIyEEEEPS6_NSA_18transform_iteratorI7is_evenIyESF_NSA_11use_defaultESK_EENS0_5tupleIJSF_NSA_16discard_iteratorISK_EEEEENSM_IJSG_SG_EEES6_PlJS6_EEE10hipError_tPvRmT3_T4_T5_T6_T7_T9_mT8_P12ihipStream_tbDpT10_ENKUlT_T0_E_clISt17integral_constantIbLb0EES1B_EEDaS16_S17_EUlS16_E_NS1_11comp_targetILNS1_3genE2ELNS1_11target_archE906ELNS1_3gpuE6ELNS1_3repE0EEENS1_30default_config_static_selectorELNS0_4arch9wavefront6targetE1EEEvT1_: ; @_ZN7rocprim17ROCPRIM_400000_NS6detail17trampoline_kernelINS0_14default_configENS1_25partition_config_selectorILNS1_17partition_subalgoE1EyNS0_10empty_typeEbEEZZNS1_14partition_implILS5_1ELb0ES3_jN6thrust23THRUST_200600_302600_NS6detail15normal_iteratorINSA_10device_ptrIyEEEEPS6_NSA_18transform_iteratorI7is_evenIyESF_NSA_11use_defaultESK_EENS0_5tupleIJSF_NSA_16discard_iteratorISK_EEEEENSM_IJSG_SG_EEES6_PlJS6_EEE10hipError_tPvRmT3_T4_T5_T6_T7_T9_mT8_P12ihipStream_tbDpT10_ENKUlT_T0_E_clISt17integral_constantIbLb0EES1B_EEDaS16_S17_EUlS16_E_NS1_11comp_targetILNS1_3genE2ELNS1_11target_archE906ELNS1_3gpuE6ELNS1_3repE0EEENS1_30default_config_static_selectorELNS0_4arch9wavefront6targetE1EEEvT1_
; %bb.0:
	.section	.rodata,"a",@progbits
	.p2align	6, 0x0
	.amdhsa_kernel _ZN7rocprim17ROCPRIM_400000_NS6detail17trampoline_kernelINS0_14default_configENS1_25partition_config_selectorILNS1_17partition_subalgoE1EyNS0_10empty_typeEbEEZZNS1_14partition_implILS5_1ELb0ES3_jN6thrust23THRUST_200600_302600_NS6detail15normal_iteratorINSA_10device_ptrIyEEEEPS6_NSA_18transform_iteratorI7is_evenIyESF_NSA_11use_defaultESK_EENS0_5tupleIJSF_NSA_16discard_iteratorISK_EEEEENSM_IJSG_SG_EEES6_PlJS6_EEE10hipError_tPvRmT3_T4_T5_T6_T7_T9_mT8_P12ihipStream_tbDpT10_ENKUlT_T0_E_clISt17integral_constantIbLb0EES1B_EEDaS16_S17_EUlS16_E_NS1_11comp_targetILNS1_3genE2ELNS1_11target_archE906ELNS1_3gpuE6ELNS1_3repE0EEENS1_30default_config_static_selectorELNS0_4arch9wavefront6targetE1EEEvT1_
		.amdhsa_group_segment_fixed_size 0
		.amdhsa_private_segment_fixed_size 0
		.amdhsa_kernarg_size 136
		.amdhsa_user_sgpr_count 2
		.amdhsa_user_sgpr_dispatch_ptr 0
		.amdhsa_user_sgpr_queue_ptr 0
		.amdhsa_user_sgpr_kernarg_segment_ptr 1
		.amdhsa_user_sgpr_dispatch_id 0
		.amdhsa_user_sgpr_kernarg_preload_length 0
		.amdhsa_user_sgpr_kernarg_preload_offset 0
		.amdhsa_user_sgpr_private_segment_size 0
		.amdhsa_uses_dynamic_stack 0
		.amdhsa_enable_private_segment 0
		.amdhsa_system_sgpr_workgroup_id_x 1
		.amdhsa_system_sgpr_workgroup_id_y 0
		.amdhsa_system_sgpr_workgroup_id_z 0
		.amdhsa_system_sgpr_workgroup_info 0
		.amdhsa_system_vgpr_workitem_id 0
		.amdhsa_next_free_vgpr 1
		.amdhsa_next_free_sgpr 0
		.amdhsa_accum_offset 4
		.amdhsa_reserve_vcc 0
		.amdhsa_float_round_mode_32 0
		.amdhsa_float_round_mode_16_64 0
		.amdhsa_float_denorm_mode_32 3
		.amdhsa_float_denorm_mode_16_64 3
		.amdhsa_dx10_clamp 1
		.amdhsa_ieee_mode 1
		.amdhsa_fp16_overflow 0
		.amdhsa_tg_split 0
		.amdhsa_exception_fp_ieee_invalid_op 0
		.amdhsa_exception_fp_denorm_src 0
		.amdhsa_exception_fp_ieee_div_zero 0
		.amdhsa_exception_fp_ieee_overflow 0
		.amdhsa_exception_fp_ieee_underflow 0
		.amdhsa_exception_fp_ieee_inexact 0
		.amdhsa_exception_int_div_zero 0
	.end_amdhsa_kernel
	.section	.text._ZN7rocprim17ROCPRIM_400000_NS6detail17trampoline_kernelINS0_14default_configENS1_25partition_config_selectorILNS1_17partition_subalgoE1EyNS0_10empty_typeEbEEZZNS1_14partition_implILS5_1ELb0ES3_jN6thrust23THRUST_200600_302600_NS6detail15normal_iteratorINSA_10device_ptrIyEEEEPS6_NSA_18transform_iteratorI7is_evenIyESF_NSA_11use_defaultESK_EENS0_5tupleIJSF_NSA_16discard_iteratorISK_EEEEENSM_IJSG_SG_EEES6_PlJS6_EEE10hipError_tPvRmT3_T4_T5_T6_T7_T9_mT8_P12ihipStream_tbDpT10_ENKUlT_T0_E_clISt17integral_constantIbLb0EES1B_EEDaS16_S17_EUlS16_E_NS1_11comp_targetILNS1_3genE2ELNS1_11target_archE906ELNS1_3gpuE6ELNS1_3repE0EEENS1_30default_config_static_selectorELNS0_4arch9wavefront6targetE1EEEvT1_,"axG",@progbits,_ZN7rocprim17ROCPRIM_400000_NS6detail17trampoline_kernelINS0_14default_configENS1_25partition_config_selectorILNS1_17partition_subalgoE1EyNS0_10empty_typeEbEEZZNS1_14partition_implILS5_1ELb0ES3_jN6thrust23THRUST_200600_302600_NS6detail15normal_iteratorINSA_10device_ptrIyEEEEPS6_NSA_18transform_iteratorI7is_evenIyESF_NSA_11use_defaultESK_EENS0_5tupleIJSF_NSA_16discard_iteratorISK_EEEEENSM_IJSG_SG_EEES6_PlJS6_EEE10hipError_tPvRmT3_T4_T5_T6_T7_T9_mT8_P12ihipStream_tbDpT10_ENKUlT_T0_E_clISt17integral_constantIbLb0EES1B_EEDaS16_S17_EUlS16_E_NS1_11comp_targetILNS1_3genE2ELNS1_11target_archE906ELNS1_3gpuE6ELNS1_3repE0EEENS1_30default_config_static_selectorELNS0_4arch9wavefront6targetE1EEEvT1_,comdat
.Lfunc_end2911:
	.size	_ZN7rocprim17ROCPRIM_400000_NS6detail17trampoline_kernelINS0_14default_configENS1_25partition_config_selectorILNS1_17partition_subalgoE1EyNS0_10empty_typeEbEEZZNS1_14partition_implILS5_1ELb0ES3_jN6thrust23THRUST_200600_302600_NS6detail15normal_iteratorINSA_10device_ptrIyEEEEPS6_NSA_18transform_iteratorI7is_evenIyESF_NSA_11use_defaultESK_EENS0_5tupleIJSF_NSA_16discard_iteratorISK_EEEEENSM_IJSG_SG_EEES6_PlJS6_EEE10hipError_tPvRmT3_T4_T5_T6_T7_T9_mT8_P12ihipStream_tbDpT10_ENKUlT_T0_E_clISt17integral_constantIbLb0EES1B_EEDaS16_S17_EUlS16_E_NS1_11comp_targetILNS1_3genE2ELNS1_11target_archE906ELNS1_3gpuE6ELNS1_3repE0EEENS1_30default_config_static_selectorELNS0_4arch9wavefront6targetE1EEEvT1_, .Lfunc_end2911-_ZN7rocprim17ROCPRIM_400000_NS6detail17trampoline_kernelINS0_14default_configENS1_25partition_config_selectorILNS1_17partition_subalgoE1EyNS0_10empty_typeEbEEZZNS1_14partition_implILS5_1ELb0ES3_jN6thrust23THRUST_200600_302600_NS6detail15normal_iteratorINSA_10device_ptrIyEEEEPS6_NSA_18transform_iteratorI7is_evenIyESF_NSA_11use_defaultESK_EENS0_5tupleIJSF_NSA_16discard_iteratorISK_EEEEENSM_IJSG_SG_EEES6_PlJS6_EEE10hipError_tPvRmT3_T4_T5_T6_T7_T9_mT8_P12ihipStream_tbDpT10_ENKUlT_T0_E_clISt17integral_constantIbLb0EES1B_EEDaS16_S17_EUlS16_E_NS1_11comp_targetILNS1_3genE2ELNS1_11target_archE906ELNS1_3gpuE6ELNS1_3repE0EEENS1_30default_config_static_selectorELNS0_4arch9wavefront6targetE1EEEvT1_
                                        ; -- End function
	.section	.AMDGPU.csdata,"",@progbits
; Kernel info:
; codeLenInByte = 0
; NumSgprs: 6
; NumVgprs: 0
; NumAgprs: 0
; TotalNumVgprs: 0
; ScratchSize: 0
; MemoryBound: 0
; FloatMode: 240
; IeeeMode: 1
; LDSByteSize: 0 bytes/workgroup (compile time only)
; SGPRBlocks: 0
; VGPRBlocks: 0
; NumSGPRsForWavesPerEU: 6
; NumVGPRsForWavesPerEU: 1
; AccumOffset: 4
; Occupancy: 8
; WaveLimiterHint : 0
; COMPUTE_PGM_RSRC2:SCRATCH_EN: 0
; COMPUTE_PGM_RSRC2:USER_SGPR: 2
; COMPUTE_PGM_RSRC2:TRAP_HANDLER: 0
; COMPUTE_PGM_RSRC2:TGID_X_EN: 1
; COMPUTE_PGM_RSRC2:TGID_Y_EN: 0
; COMPUTE_PGM_RSRC2:TGID_Z_EN: 0
; COMPUTE_PGM_RSRC2:TIDIG_COMP_CNT: 0
; COMPUTE_PGM_RSRC3_GFX90A:ACCUM_OFFSET: 0
; COMPUTE_PGM_RSRC3_GFX90A:TG_SPLIT: 0
	.section	.text._ZN7rocprim17ROCPRIM_400000_NS6detail17trampoline_kernelINS0_14default_configENS1_25partition_config_selectorILNS1_17partition_subalgoE1EyNS0_10empty_typeEbEEZZNS1_14partition_implILS5_1ELb0ES3_jN6thrust23THRUST_200600_302600_NS6detail15normal_iteratorINSA_10device_ptrIyEEEEPS6_NSA_18transform_iteratorI7is_evenIyESF_NSA_11use_defaultESK_EENS0_5tupleIJSF_NSA_16discard_iteratorISK_EEEEENSM_IJSG_SG_EEES6_PlJS6_EEE10hipError_tPvRmT3_T4_T5_T6_T7_T9_mT8_P12ihipStream_tbDpT10_ENKUlT_T0_E_clISt17integral_constantIbLb0EES1B_EEDaS16_S17_EUlS16_E_NS1_11comp_targetILNS1_3genE10ELNS1_11target_archE1200ELNS1_3gpuE4ELNS1_3repE0EEENS1_30default_config_static_selectorELNS0_4arch9wavefront6targetE1EEEvT1_,"axG",@progbits,_ZN7rocprim17ROCPRIM_400000_NS6detail17trampoline_kernelINS0_14default_configENS1_25partition_config_selectorILNS1_17partition_subalgoE1EyNS0_10empty_typeEbEEZZNS1_14partition_implILS5_1ELb0ES3_jN6thrust23THRUST_200600_302600_NS6detail15normal_iteratorINSA_10device_ptrIyEEEEPS6_NSA_18transform_iteratorI7is_evenIyESF_NSA_11use_defaultESK_EENS0_5tupleIJSF_NSA_16discard_iteratorISK_EEEEENSM_IJSG_SG_EEES6_PlJS6_EEE10hipError_tPvRmT3_T4_T5_T6_T7_T9_mT8_P12ihipStream_tbDpT10_ENKUlT_T0_E_clISt17integral_constantIbLb0EES1B_EEDaS16_S17_EUlS16_E_NS1_11comp_targetILNS1_3genE10ELNS1_11target_archE1200ELNS1_3gpuE4ELNS1_3repE0EEENS1_30default_config_static_selectorELNS0_4arch9wavefront6targetE1EEEvT1_,comdat
	.protected	_ZN7rocprim17ROCPRIM_400000_NS6detail17trampoline_kernelINS0_14default_configENS1_25partition_config_selectorILNS1_17partition_subalgoE1EyNS0_10empty_typeEbEEZZNS1_14partition_implILS5_1ELb0ES3_jN6thrust23THRUST_200600_302600_NS6detail15normal_iteratorINSA_10device_ptrIyEEEEPS6_NSA_18transform_iteratorI7is_evenIyESF_NSA_11use_defaultESK_EENS0_5tupleIJSF_NSA_16discard_iteratorISK_EEEEENSM_IJSG_SG_EEES6_PlJS6_EEE10hipError_tPvRmT3_T4_T5_T6_T7_T9_mT8_P12ihipStream_tbDpT10_ENKUlT_T0_E_clISt17integral_constantIbLb0EES1B_EEDaS16_S17_EUlS16_E_NS1_11comp_targetILNS1_3genE10ELNS1_11target_archE1200ELNS1_3gpuE4ELNS1_3repE0EEENS1_30default_config_static_selectorELNS0_4arch9wavefront6targetE1EEEvT1_ ; -- Begin function _ZN7rocprim17ROCPRIM_400000_NS6detail17trampoline_kernelINS0_14default_configENS1_25partition_config_selectorILNS1_17partition_subalgoE1EyNS0_10empty_typeEbEEZZNS1_14partition_implILS5_1ELb0ES3_jN6thrust23THRUST_200600_302600_NS6detail15normal_iteratorINSA_10device_ptrIyEEEEPS6_NSA_18transform_iteratorI7is_evenIyESF_NSA_11use_defaultESK_EENS0_5tupleIJSF_NSA_16discard_iteratorISK_EEEEENSM_IJSG_SG_EEES6_PlJS6_EEE10hipError_tPvRmT3_T4_T5_T6_T7_T9_mT8_P12ihipStream_tbDpT10_ENKUlT_T0_E_clISt17integral_constantIbLb0EES1B_EEDaS16_S17_EUlS16_E_NS1_11comp_targetILNS1_3genE10ELNS1_11target_archE1200ELNS1_3gpuE4ELNS1_3repE0EEENS1_30default_config_static_selectorELNS0_4arch9wavefront6targetE1EEEvT1_
	.globl	_ZN7rocprim17ROCPRIM_400000_NS6detail17trampoline_kernelINS0_14default_configENS1_25partition_config_selectorILNS1_17partition_subalgoE1EyNS0_10empty_typeEbEEZZNS1_14partition_implILS5_1ELb0ES3_jN6thrust23THRUST_200600_302600_NS6detail15normal_iteratorINSA_10device_ptrIyEEEEPS6_NSA_18transform_iteratorI7is_evenIyESF_NSA_11use_defaultESK_EENS0_5tupleIJSF_NSA_16discard_iteratorISK_EEEEENSM_IJSG_SG_EEES6_PlJS6_EEE10hipError_tPvRmT3_T4_T5_T6_T7_T9_mT8_P12ihipStream_tbDpT10_ENKUlT_T0_E_clISt17integral_constantIbLb0EES1B_EEDaS16_S17_EUlS16_E_NS1_11comp_targetILNS1_3genE10ELNS1_11target_archE1200ELNS1_3gpuE4ELNS1_3repE0EEENS1_30default_config_static_selectorELNS0_4arch9wavefront6targetE1EEEvT1_
	.p2align	8
	.type	_ZN7rocprim17ROCPRIM_400000_NS6detail17trampoline_kernelINS0_14default_configENS1_25partition_config_selectorILNS1_17partition_subalgoE1EyNS0_10empty_typeEbEEZZNS1_14partition_implILS5_1ELb0ES3_jN6thrust23THRUST_200600_302600_NS6detail15normal_iteratorINSA_10device_ptrIyEEEEPS6_NSA_18transform_iteratorI7is_evenIyESF_NSA_11use_defaultESK_EENS0_5tupleIJSF_NSA_16discard_iteratorISK_EEEEENSM_IJSG_SG_EEES6_PlJS6_EEE10hipError_tPvRmT3_T4_T5_T6_T7_T9_mT8_P12ihipStream_tbDpT10_ENKUlT_T0_E_clISt17integral_constantIbLb0EES1B_EEDaS16_S17_EUlS16_E_NS1_11comp_targetILNS1_3genE10ELNS1_11target_archE1200ELNS1_3gpuE4ELNS1_3repE0EEENS1_30default_config_static_selectorELNS0_4arch9wavefront6targetE1EEEvT1_,@function
_ZN7rocprim17ROCPRIM_400000_NS6detail17trampoline_kernelINS0_14default_configENS1_25partition_config_selectorILNS1_17partition_subalgoE1EyNS0_10empty_typeEbEEZZNS1_14partition_implILS5_1ELb0ES3_jN6thrust23THRUST_200600_302600_NS6detail15normal_iteratorINSA_10device_ptrIyEEEEPS6_NSA_18transform_iteratorI7is_evenIyESF_NSA_11use_defaultESK_EENS0_5tupleIJSF_NSA_16discard_iteratorISK_EEEEENSM_IJSG_SG_EEES6_PlJS6_EEE10hipError_tPvRmT3_T4_T5_T6_T7_T9_mT8_P12ihipStream_tbDpT10_ENKUlT_T0_E_clISt17integral_constantIbLb0EES1B_EEDaS16_S17_EUlS16_E_NS1_11comp_targetILNS1_3genE10ELNS1_11target_archE1200ELNS1_3gpuE4ELNS1_3repE0EEENS1_30default_config_static_selectorELNS0_4arch9wavefront6targetE1EEEvT1_: ; @_ZN7rocprim17ROCPRIM_400000_NS6detail17trampoline_kernelINS0_14default_configENS1_25partition_config_selectorILNS1_17partition_subalgoE1EyNS0_10empty_typeEbEEZZNS1_14partition_implILS5_1ELb0ES3_jN6thrust23THRUST_200600_302600_NS6detail15normal_iteratorINSA_10device_ptrIyEEEEPS6_NSA_18transform_iteratorI7is_evenIyESF_NSA_11use_defaultESK_EENS0_5tupleIJSF_NSA_16discard_iteratorISK_EEEEENSM_IJSG_SG_EEES6_PlJS6_EEE10hipError_tPvRmT3_T4_T5_T6_T7_T9_mT8_P12ihipStream_tbDpT10_ENKUlT_T0_E_clISt17integral_constantIbLb0EES1B_EEDaS16_S17_EUlS16_E_NS1_11comp_targetILNS1_3genE10ELNS1_11target_archE1200ELNS1_3gpuE4ELNS1_3repE0EEENS1_30default_config_static_selectorELNS0_4arch9wavefront6targetE1EEEvT1_
; %bb.0:
	.section	.rodata,"a",@progbits
	.p2align	6, 0x0
	.amdhsa_kernel _ZN7rocprim17ROCPRIM_400000_NS6detail17trampoline_kernelINS0_14default_configENS1_25partition_config_selectorILNS1_17partition_subalgoE1EyNS0_10empty_typeEbEEZZNS1_14partition_implILS5_1ELb0ES3_jN6thrust23THRUST_200600_302600_NS6detail15normal_iteratorINSA_10device_ptrIyEEEEPS6_NSA_18transform_iteratorI7is_evenIyESF_NSA_11use_defaultESK_EENS0_5tupleIJSF_NSA_16discard_iteratorISK_EEEEENSM_IJSG_SG_EEES6_PlJS6_EEE10hipError_tPvRmT3_T4_T5_T6_T7_T9_mT8_P12ihipStream_tbDpT10_ENKUlT_T0_E_clISt17integral_constantIbLb0EES1B_EEDaS16_S17_EUlS16_E_NS1_11comp_targetILNS1_3genE10ELNS1_11target_archE1200ELNS1_3gpuE4ELNS1_3repE0EEENS1_30default_config_static_selectorELNS0_4arch9wavefront6targetE1EEEvT1_
		.amdhsa_group_segment_fixed_size 0
		.amdhsa_private_segment_fixed_size 0
		.amdhsa_kernarg_size 136
		.amdhsa_user_sgpr_count 2
		.amdhsa_user_sgpr_dispatch_ptr 0
		.amdhsa_user_sgpr_queue_ptr 0
		.amdhsa_user_sgpr_kernarg_segment_ptr 1
		.amdhsa_user_sgpr_dispatch_id 0
		.amdhsa_user_sgpr_kernarg_preload_length 0
		.amdhsa_user_sgpr_kernarg_preload_offset 0
		.amdhsa_user_sgpr_private_segment_size 0
		.amdhsa_uses_dynamic_stack 0
		.amdhsa_enable_private_segment 0
		.amdhsa_system_sgpr_workgroup_id_x 1
		.amdhsa_system_sgpr_workgroup_id_y 0
		.amdhsa_system_sgpr_workgroup_id_z 0
		.amdhsa_system_sgpr_workgroup_info 0
		.amdhsa_system_vgpr_workitem_id 0
		.amdhsa_next_free_vgpr 1
		.amdhsa_next_free_sgpr 0
		.amdhsa_accum_offset 4
		.amdhsa_reserve_vcc 0
		.amdhsa_float_round_mode_32 0
		.amdhsa_float_round_mode_16_64 0
		.amdhsa_float_denorm_mode_32 3
		.amdhsa_float_denorm_mode_16_64 3
		.amdhsa_dx10_clamp 1
		.amdhsa_ieee_mode 1
		.amdhsa_fp16_overflow 0
		.amdhsa_tg_split 0
		.amdhsa_exception_fp_ieee_invalid_op 0
		.amdhsa_exception_fp_denorm_src 0
		.amdhsa_exception_fp_ieee_div_zero 0
		.amdhsa_exception_fp_ieee_overflow 0
		.amdhsa_exception_fp_ieee_underflow 0
		.amdhsa_exception_fp_ieee_inexact 0
		.amdhsa_exception_int_div_zero 0
	.end_amdhsa_kernel
	.section	.text._ZN7rocprim17ROCPRIM_400000_NS6detail17trampoline_kernelINS0_14default_configENS1_25partition_config_selectorILNS1_17partition_subalgoE1EyNS0_10empty_typeEbEEZZNS1_14partition_implILS5_1ELb0ES3_jN6thrust23THRUST_200600_302600_NS6detail15normal_iteratorINSA_10device_ptrIyEEEEPS6_NSA_18transform_iteratorI7is_evenIyESF_NSA_11use_defaultESK_EENS0_5tupleIJSF_NSA_16discard_iteratorISK_EEEEENSM_IJSG_SG_EEES6_PlJS6_EEE10hipError_tPvRmT3_T4_T5_T6_T7_T9_mT8_P12ihipStream_tbDpT10_ENKUlT_T0_E_clISt17integral_constantIbLb0EES1B_EEDaS16_S17_EUlS16_E_NS1_11comp_targetILNS1_3genE10ELNS1_11target_archE1200ELNS1_3gpuE4ELNS1_3repE0EEENS1_30default_config_static_selectorELNS0_4arch9wavefront6targetE1EEEvT1_,"axG",@progbits,_ZN7rocprim17ROCPRIM_400000_NS6detail17trampoline_kernelINS0_14default_configENS1_25partition_config_selectorILNS1_17partition_subalgoE1EyNS0_10empty_typeEbEEZZNS1_14partition_implILS5_1ELb0ES3_jN6thrust23THRUST_200600_302600_NS6detail15normal_iteratorINSA_10device_ptrIyEEEEPS6_NSA_18transform_iteratorI7is_evenIyESF_NSA_11use_defaultESK_EENS0_5tupleIJSF_NSA_16discard_iteratorISK_EEEEENSM_IJSG_SG_EEES6_PlJS6_EEE10hipError_tPvRmT3_T4_T5_T6_T7_T9_mT8_P12ihipStream_tbDpT10_ENKUlT_T0_E_clISt17integral_constantIbLb0EES1B_EEDaS16_S17_EUlS16_E_NS1_11comp_targetILNS1_3genE10ELNS1_11target_archE1200ELNS1_3gpuE4ELNS1_3repE0EEENS1_30default_config_static_selectorELNS0_4arch9wavefront6targetE1EEEvT1_,comdat
.Lfunc_end2912:
	.size	_ZN7rocprim17ROCPRIM_400000_NS6detail17trampoline_kernelINS0_14default_configENS1_25partition_config_selectorILNS1_17partition_subalgoE1EyNS0_10empty_typeEbEEZZNS1_14partition_implILS5_1ELb0ES3_jN6thrust23THRUST_200600_302600_NS6detail15normal_iteratorINSA_10device_ptrIyEEEEPS6_NSA_18transform_iteratorI7is_evenIyESF_NSA_11use_defaultESK_EENS0_5tupleIJSF_NSA_16discard_iteratorISK_EEEEENSM_IJSG_SG_EEES6_PlJS6_EEE10hipError_tPvRmT3_T4_T5_T6_T7_T9_mT8_P12ihipStream_tbDpT10_ENKUlT_T0_E_clISt17integral_constantIbLb0EES1B_EEDaS16_S17_EUlS16_E_NS1_11comp_targetILNS1_3genE10ELNS1_11target_archE1200ELNS1_3gpuE4ELNS1_3repE0EEENS1_30default_config_static_selectorELNS0_4arch9wavefront6targetE1EEEvT1_, .Lfunc_end2912-_ZN7rocprim17ROCPRIM_400000_NS6detail17trampoline_kernelINS0_14default_configENS1_25partition_config_selectorILNS1_17partition_subalgoE1EyNS0_10empty_typeEbEEZZNS1_14partition_implILS5_1ELb0ES3_jN6thrust23THRUST_200600_302600_NS6detail15normal_iteratorINSA_10device_ptrIyEEEEPS6_NSA_18transform_iteratorI7is_evenIyESF_NSA_11use_defaultESK_EENS0_5tupleIJSF_NSA_16discard_iteratorISK_EEEEENSM_IJSG_SG_EEES6_PlJS6_EEE10hipError_tPvRmT3_T4_T5_T6_T7_T9_mT8_P12ihipStream_tbDpT10_ENKUlT_T0_E_clISt17integral_constantIbLb0EES1B_EEDaS16_S17_EUlS16_E_NS1_11comp_targetILNS1_3genE10ELNS1_11target_archE1200ELNS1_3gpuE4ELNS1_3repE0EEENS1_30default_config_static_selectorELNS0_4arch9wavefront6targetE1EEEvT1_
                                        ; -- End function
	.section	.AMDGPU.csdata,"",@progbits
; Kernel info:
; codeLenInByte = 0
; NumSgprs: 6
; NumVgprs: 0
; NumAgprs: 0
; TotalNumVgprs: 0
; ScratchSize: 0
; MemoryBound: 0
; FloatMode: 240
; IeeeMode: 1
; LDSByteSize: 0 bytes/workgroup (compile time only)
; SGPRBlocks: 0
; VGPRBlocks: 0
; NumSGPRsForWavesPerEU: 6
; NumVGPRsForWavesPerEU: 1
; AccumOffset: 4
; Occupancy: 8
; WaveLimiterHint : 0
; COMPUTE_PGM_RSRC2:SCRATCH_EN: 0
; COMPUTE_PGM_RSRC2:USER_SGPR: 2
; COMPUTE_PGM_RSRC2:TRAP_HANDLER: 0
; COMPUTE_PGM_RSRC2:TGID_X_EN: 1
; COMPUTE_PGM_RSRC2:TGID_Y_EN: 0
; COMPUTE_PGM_RSRC2:TGID_Z_EN: 0
; COMPUTE_PGM_RSRC2:TIDIG_COMP_CNT: 0
; COMPUTE_PGM_RSRC3_GFX90A:ACCUM_OFFSET: 0
; COMPUTE_PGM_RSRC3_GFX90A:TG_SPLIT: 0
	.section	.text._ZN7rocprim17ROCPRIM_400000_NS6detail17trampoline_kernelINS0_14default_configENS1_25partition_config_selectorILNS1_17partition_subalgoE1EyNS0_10empty_typeEbEEZZNS1_14partition_implILS5_1ELb0ES3_jN6thrust23THRUST_200600_302600_NS6detail15normal_iteratorINSA_10device_ptrIyEEEEPS6_NSA_18transform_iteratorI7is_evenIyESF_NSA_11use_defaultESK_EENS0_5tupleIJSF_NSA_16discard_iteratorISK_EEEEENSM_IJSG_SG_EEES6_PlJS6_EEE10hipError_tPvRmT3_T4_T5_T6_T7_T9_mT8_P12ihipStream_tbDpT10_ENKUlT_T0_E_clISt17integral_constantIbLb0EES1B_EEDaS16_S17_EUlS16_E_NS1_11comp_targetILNS1_3genE9ELNS1_11target_archE1100ELNS1_3gpuE3ELNS1_3repE0EEENS1_30default_config_static_selectorELNS0_4arch9wavefront6targetE1EEEvT1_,"axG",@progbits,_ZN7rocprim17ROCPRIM_400000_NS6detail17trampoline_kernelINS0_14default_configENS1_25partition_config_selectorILNS1_17partition_subalgoE1EyNS0_10empty_typeEbEEZZNS1_14partition_implILS5_1ELb0ES3_jN6thrust23THRUST_200600_302600_NS6detail15normal_iteratorINSA_10device_ptrIyEEEEPS6_NSA_18transform_iteratorI7is_evenIyESF_NSA_11use_defaultESK_EENS0_5tupleIJSF_NSA_16discard_iteratorISK_EEEEENSM_IJSG_SG_EEES6_PlJS6_EEE10hipError_tPvRmT3_T4_T5_T6_T7_T9_mT8_P12ihipStream_tbDpT10_ENKUlT_T0_E_clISt17integral_constantIbLb0EES1B_EEDaS16_S17_EUlS16_E_NS1_11comp_targetILNS1_3genE9ELNS1_11target_archE1100ELNS1_3gpuE3ELNS1_3repE0EEENS1_30default_config_static_selectorELNS0_4arch9wavefront6targetE1EEEvT1_,comdat
	.protected	_ZN7rocprim17ROCPRIM_400000_NS6detail17trampoline_kernelINS0_14default_configENS1_25partition_config_selectorILNS1_17partition_subalgoE1EyNS0_10empty_typeEbEEZZNS1_14partition_implILS5_1ELb0ES3_jN6thrust23THRUST_200600_302600_NS6detail15normal_iteratorINSA_10device_ptrIyEEEEPS6_NSA_18transform_iteratorI7is_evenIyESF_NSA_11use_defaultESK_EENS0_5tupleIJSF_NSA_16discard_iteratorISK_EEEEENSM_IJSG_SG_EEES6_PlJS6_EEE10hipError_tPvRmT3_T4_T5_T6_T7_T9_mT8_P12ihipStream_tbDpT10_ENKUlT_T0_E_clISt17integral_constantIbLb0EES1B_EEDaS16_S17_EUlS16_E_NS1_11comp_targetILNS1_3genE9ELNS1_11target_archE1100ELNS1_3gpuE3ELNS1_3repE0EEENS1_30default_config_static_selectorELNS0_4arch9wavefront6targetE1EEEvT1_ ; -- Begin function _ZN7rocprim17ROCPRIM_400000_NS6detail17trampoline_kernelINS0_14default_configENS1_25partition_config_selectorILNS1_17partition_subalgoE1EyNS0_10empty_typeEbEEZZNS1_14partition_implILS5_1ELb0ES3_jN6thrust23THRUST_200600_302600_NS6detail15normal_iteratorINSA_10device_ptrIyEEEEPS6_NSA_18transform_iteratorI7is_evenIyESF_NSA_11use_defaultESK_EENS0_5tupleIJSF_NSA_16discard_iteratorISK_EEEEENSM_IJSG_SG_EEES6_PlJS6_EEE10hipError_tPvRmT3_T4_T5_T6_T7_T9_mT8_P12ihipStream_tbDpT10_ENKUlT_T0_E_clISt17integral_constantIbLb0EES1B_EEDaS16_S17_EUlS16_E_NS1_11comp_targetILNS1_3genE9ELNS1_11target_archE1100ELNS1_3gpuE3ELNS1_3repE0EEENS1_30default_config_static_selectorELNS0_4arch9wavefront6targetE1EEEvT1_
	.globl	_ZN7rocprim17ROCPRIM_400000_NS6detail17trampoline_kernelINS0_14default_configENS1_25partition_config_selectorILNS1_17partition_subalgoE1EyNS0_10empty_typeEbEEZZNS1_14partition_implILS5_1ELb0ES3_jN6thrust23THRUST_200600_302600_NS6detail15normal_iteratorINSA_10device_ptrIyEEEEPS6_NSA_18transform_iteratorI7is_evenIyESF_NSA_11use_defaultESK_EENS0_5tupleIJSF_NSA_16discard_iteratorISK_EEEEENSM_IJSG_SG_EEES6_PlJS6_EEE10hipError_tPvRmT3_T4_T5_T6_T7_T9_mT8_P12ihipStream_tbDpT10_ENKUlT_T0_E_clISt17integral_constantIbLb0EES1B_EEDaS16_S17_EUlS16_E_NS1_11comp_targetILNS1_3genE9ELNS1_11target_archE1100ELNS1_3gpuE3ELNS1_3repE0EEENS1_30default_config_static_selectorELNS0_4arch9wavefront6targetE1EEEvT1_
	.p2align	8
	.type	_ZN7rocprim17ROCPRIM_400000_NS6detail17trampoline_kernelINS0_14default_configENS1_25partition_config_selectorILNS1_17partition_subalgoE1EyNS0_10empty_typeEbEEZZNS1_14partition_implILS5_1ELb0ES3_jN6thrust23THRUST_200600_302600_NS6detail15normal_iteratorINSA_10device_ptrIyEEEEPS6_NSA_18transform_iteratorI7is_evenIyESF_NSA_11use_defaultESK_EENS0_5tupleIJSF_NSA_16discard_iteratorISK_EEEEENSM_IJSG_SG_EEES6_PlJS6_EEE10hipError_tPvRmT3_T4_T5_T6_T7_T9_mT8_P12ihipStream_tbDpT10_ENKUlT_T0_E_clISt17integral_constantIbLb0EES1B_EEDaS16_S17_EUlS16_E_NS1_11comp_targetILNS1_3genE9ELNS1_11target_archE1100ELNS1_3gpuE3ELNS1_3repE0EEENS1_30default_config_static_selectorELNS0_4arch9wavefront6targetE1EEEvT1_,@function
_ZN7rocprim17ROCPRIM_400000_NS6detail17trampoline_kernelINS0_14default_configENS1_25partition_config_selectorILNS1_17partition_subalgoE1EyNS0_10empty_typeEbEEZZNS1_14partition_implILS5_1ELb0ES3_jN6thrust23THRUST_200600_302600_NS6detail15normal_iteratorINSA_10device_ptrIyEEEEPS6_NSA_18transform_iteratorI7is_evenIyESF_NSA_11use_defaultESK_EENS0_5tupleIJSF_NSA_16discard_iteratorISK_EEEEENSM_IJSG_SG_EEES6_PlJS6_EEE10hipError_tPvRmT3_T4_T5_T6_T7_T9_mT8_P12ihipStream_tbDpT10_ENKUlT_T0_E_clISt17integral_constantIbLb0EES1B_EEDaS16_S17_EUlS16_E_NS1_11comp_targetILNS1_3genE9ELNS1_11target_archE1100ELNS1_3gpuE3ELNS1_3repE0EEENS1_30default_config_static_selectorELNS0_4arch9wavefront6targetE1EEEvT1_: ; @_ZN7rocprim17ROCPRIM_400000_NS6detail17trampoline_kernelINS0_14default_configENS1_25partition_config_selectorILNS1_17partition_subalgoE1EyNS0_10empty_typeEbEEZZNS1_14partition_implILS5_1ELb0ES3_jN6thrust23THRUST_200600_302600_NS6detail15normal_iteratorINSA_10device_ptrIyEEEEPS6_NSA_18transform_iteratorI7is_evenIyESF_NSA_11use_defaultESK_EENS0_5tupleIJSF_NSA_16discard_iteratorISK_EEEEENSM_IJSG_SG_EEES6_PlJS6_EEE10hipError_tPvRmT3_T4_T5_T6_T7_T9_mT8_P12ihipStream_tbDpT10_ENKUlT_T0_E_clISt17integral_constantIbLb0EES1B_EEDaS16_S17_EUlS16_E_NS1_11comp_targetILNS1_3genE9ELNS1_11target_archE1100ELNS1_3gpuE3ELNS1_3repE0EEENS1_30default_config_static_selectorELNS0_4arch9wavefront6targetE1EEEvT1_
; %bb.0:
	.section	.rodata,"a",@progbits
	.p2align	6, 0x0
	.amdhsa_kernel _ZN7rocprim17ROCPRIM_400000_NS6detail17trampoline_kernelINS0_14default_configENS1_25partition_config_selectorILNS1_17partition_subalgoE1EyNS0_10empty_typeEbEEZZNS1_14partition_implILS5_1ELb0ES3_jN6thrust23THRUST_200600_302600_NS6detail15normal_iteratorINSA_10device_ptrIyEEEEPS6_NSA_18transform_iteratorI7is_evenIyESF_NSA_11use_defaultESK_EENS0_5tupleIJSF_NSA_16discard_iteratorISK_EEEEENSM_IJSG_SG_EEES6_PlJS6_EEE10hipError_tPvRmT3_T4_T5_T6_T7_T9_mT8_P12ihipStream_tbDpT10_ENKUlT_T0_E_clISt17integral_constantIbLb0EES1B_EEDaS16_S17_EUlS16_E_NS1_11comp_targetILNS1_3genE9ELNS1_11target_archE1100ELNS1_3gpuE3ELNS1_3repE0EEENS1_30default_config_static_selectorELNS0_4arch9wavefront6targetE1EEEvT1_
		.amdhsa_group_segment_fixed_size 0
		.amdhsa_private_segment_fixed_size 0
		.amdhsa_kernarg_size 136
		.amdhsa_user_sgpr_count 2
		.amdhsa_user_sgpr_dispatch_ptr 0
		.amdhsa_user_sgpr_queue_ptr 0
		.amdhsa_user_sgpr_kernarg_segment_ptr 1
		.amdhsa_user_sgpr_dispatch_id 0
		.amdhsa_user_sgpr_kernarg_preload_length 0
		.amdhsa_user_sgpr_kernarg_preload_offset 0
		.amdhsa_user_sgpr_private_segment_size 0
		.amdhsa_uses_dynamic_stack 0
		.amdhsa_enable_private_segment 0
		.amdhsa_system_sgpr_workgroup_id_x 1
		.amdhsa_system_sgpr_workgroup_id_y 0
		.amdhsa_system_sgpr_workgroup_id_z 0
		.amdhsa_system_sgpr_workgroup_info 0
		.amdhsa_system_vgpr_workitem_id 0
		.amdhsa_next_free_vgpr 1
		.amdhsa_next_free_sgpr 0
		.amdhsa_accum_offset 4
		.amdhsa_reserve_vcc 0
		.amdhsa_float_round_mode_32 0
		.amdhsa_float_round_mode_16_64 0
		.amdhsa_float_denorm_mode_32 3
		.amdhsa_float_denorm_mode_16_64 3
		.amdhsa_dx10_clamp 1
		.amdhsa_ieee_mode 1
		.amdhsa_fp16_overflow 0
		.amdhsa_tg_split 0
		.amdhsa_exception_fp_ieee_invalid_op 0
		.amdhsa_exception_fp_denorm_src 0
		.amdhsa_exception_fp_ieee_div_zero 0
		.amdhsa_exception_fp_ieee_overflow 0
		.amdhsa_exception_fp_ieee_underflow 0
		.amdhsa_exception_fp_ieee_inexact 0
		.amdhsa_exception_int_div_zero 0
	.end_amdhsa_kernel
	.section	.text._ZN7rocprim17ROCPRIM_400000_NS6detail17trampoline_kernelINS0_14default_configENS1_25partition_config_selectorILNS1_17partition_subalgoE1EyNS0_10empty_typeEbEEZZNS1_14partition_implILS5_1ELb0ES3_jN6thrust23THRUST_200600_302600_NS6detail15normal_iteratorINSA_10device_ptrIyEEEEPS6_NSA_18transform_iteratorI7is_evenIyESF_NSA_11use_defaultESK_EENS0_5tupleIJSF_NSA_16discard_iteratorISK_EEEEENSM_IJSG_SG_EEES6_PlJS6_EEE10hipError_tPvRmT3_T4_T5_T6_T7_T9_mT8_P12ihipStream_tbDpT10_ENKUlT_T0_E_clISt17integral_constantIbLb0EES1B_EEDaS16_S17_EUlS16_E_NS1_11comp_targetILNS1_3genE9ELNS1_11target_archE1100ELNS1_3gpuE3ELNS1_3repE0EEENS1_30default_config_static_selectorELNS0_4arch9wavefront6targetE1EEEvT1_,"axG",@progbits,_ZN7rocprim17ROCPRIM_400000_NS6detail17trampoline_kernelINS0_14default_configENS1_25partition_config_selectorILNS1_17partition_subalgoE1EyNS0_10empty_typeEbEEZZNS1_14partition_implILS5_1ELb0ES3_jN6thrust23THRUST_200600_302600_NS6detail15normal_iteratorINSA_10device_ptrIyEEEEPS6_NSA_18transform_iteratorI7is_evenIyESF_NSA_11use_defaultESK_EENS0_5tupleIJSF_NSA_16discard_iteratorISK_EEEEENSM_IJSG_SG_EEES6_PlJS6_EEE10hipError_tPvRmT3_T4_T5_T6_T7_T9_mT8_P12ihipStream_tbDpT10_ENKUlT_T0_E_clISt17integral_constantIbLb0EES1B_EEDaS16_S17_EUlS16_E_NS1_11comp_targetILNS1_3genE9ELNS1_11target_archE1100ELNS1_3gpuE3ELNS1_3repE0EEENS1_30default_config_static_selectorELNS0_4arch9wavefront6targetE1EEEvT1_,comdat
.Lfunc_end2913:
	.size	_ZN7rocprim17ROCPRIM_400000_NS6detail17trampoline_kernelINS0_14default_configENS1_25partition_config_selectorILNS1_17partition_subalgoE1EyNS0_10empty_typeEbEEZZNS1_14partition_implILS5_1ELb0ES3_jN6thrust23THRUST_200600_302600_NS6detail15normal_iteratorINSA_10device_ptrIyEEEEPS6_NSA_18transform_iteratorI7is_evenIyESF_NSA_11use_defaultESK_EENS0_5tupleIJSF_NSA_16discard_iteratorISK_EEEEENSM_IJSG_SG_EEES6_PlJS6_EEE10hipError_tPvRmT3_T4_T5_T6_T7_T9_mT8_P12ihipStream_tbDpT10_ENKUlT_T0_E_clISt17integral_constantIbLb0EES1B_EEDaS16_S17_EUlS16_E_NS1_11comp_targetILNS1_3genE9ELNS1_11target_archE1100ELNS1_3gpuE3ELNS1_3repE0EEENS1_30default_config_static_selectorELNS0_4arch9wavefront6targetE1EEEvT1_, .Lfunc_end2913-_ZN7rocprim17ROCPRIM_400000_NS6detail17trampoline_kernelINS0_14default_configENS1_25partition_config_selectorILNS1_17partition_subalgoE1EyNS0_10empty_typeEbEEZZNS1_14partition_implILS5_1ELb0ES3_jN6thrust23THRUST_200600_302600_NS6detail15normal_iteratorINSA_10device_ptrIyEEEEPS6_NSA_18transform_iteratorI7is_evenIyESF_NSA_11use_defaultESK_EENS0_5tupleIJSF_NSA_16discard_iteratorISK_EEEEENSM_IJSG_SG_EEES6_PlJS6_EEE10hipError_tPvRmT3_T4_T5_T6_T7_T9_mT8_P12ihipStream_tbDpT10_ENKUlT_T0_E_clISt17integral_constantIbLb0EES1B_EEDaS16_S17_EUlS16_E_NS1_11comp_targetILNS1_3genE9ELNS1_11target_archE1100ELNS1_3gpuE3ELNS1_3repE0EEENS1_30default_config_static_selectorELNS0_4arch9wavefront6targetE1EEEvT1_
                                        ; -- End function
	.section	.AMDGPU.csdata,"",@progbits
; Kernel info:
; codeLenInByte = 0
; NumSgprs: 6
; NumVgprs: 0
; NumAgprs: 0
; TotalNumVgprs: 0
; ScratchSize: 0
; MemoryBound: 0
; FloatMode: 240
; IeeeMode: 1
; LDSByteSize: 0 bytes/workgroup (compile time only)
; SGPRBlocks: 0
; VGPRBlocks: 0
; NumSGPRsForWavesPerEU: 6
; NumVGPRsForWavesPerEU: 1
; AccumOffset: 4
; Occupancy: 8
; WaveLimiterHint : 0
; COMPUTE_PGM_RSRC2:SCRATCH_EN: 0
; COMPUTE_PGM_RSRC2:USER_SGPR: 2
; COMPUTE_PGM_RSRC2:TRAP_HANDLER: 0
; COMPUTE_PGM_RSRC2:TGID_X_EN: 1
; COMPUTE_PGM_RSRC2:TGID_Y_EN: 0
; COMPUTE_PGM_RSRC2:TGID_Z_EN: 0
; COMPUTE_PGM_RSRC2:TIDIG_COMP_CNT: 0
; COMPUTE_PGM_RSRC3_GFX90A:ACCUM_OFFSET: 0
; COMPUTE_PGM_RSRC3_GFX90A:TG_SPLIT: 0
	.section	.text._ZN7rocprim17ROCPRIM_400000_NS6detail17trampoline_kernelINS0_14default_configENS1_25partition_config_selectorILNS1_17partition_subalgoE1EyNS0_10empty_typeEbEEZZNS1_14partition_implILS5_1ELb0ES3_jN6thrust23THRUST_200600_302600_NS6detail15normal_iteratorINSA_10device_ptrIyEEEEPS6_NSA_18transform_iteratorI7is_evenIyESF_NSA_11use_defaultESK_EENS0_5tupleIJSF_NSA_16discard_iteratorISK_EEEEENSM_IJSG_SG_EEES6_PlJS6_EEE10hipError_tPvRmT3_T4_T5_T6_T7_T9_mT8_P12ihipStream_tbDpT10_ENKUlT_T0_E_clISt17integral_constantIbLb0EES1B_EEDaS16_S17_EUlS16_E_NS1_11comp_targetILNS1_3genE8ELNS1_11target_archE1030ELNS1_3gpuE2ELNS1_3repE0EEENS1_30default_config_static_selectorELNS0_4arch9wavefront6targetE1EEEvT1_,"axG",@progbits,_ZN7rocprim17ROCPRIM_400000_NS6detail17trampoline_kernelINS0_14default_configENS1_25partition_config_selectorILNS1_17partition_subalgoE1EyNS0_10empty_typeEbEEZZNS1_14partition_implILS5_1ELb0ES3_jN6thrust23THRUST_200600_302600_NS6detail15normal_iteratorINSA_10device_ptrIyEEEEPS6_NSA_18transform_iteratorI7is_evenIyESF_NSA_11use_defaultESK_EENS0_5tupleIJSF_NSA_16discard_iteratorISK_EEEEENSM_IJSG_SG_EEES6_PlJS6_EEE10hipError_tPvRmT3_T4_T5_T6_T7_T9_mT8_P12ihipStream_tbDpT10_ENKUlT_T0_E_clISt17integral_constantIbLb0EES1B_EEDaS16_S17_EUlS16_E_NS1_11comp_targetILNS1_3genE8ELNS1_11target_archE1030ELNS1_3gpuE2ELNS1_3repE0EEENS1_30default_config_static_selectorELNS0_4arch9wavefront6targetE1EEEvT1_,comdat
	.protected	_ZN7rocprim17ROCPRIM_400000_NS6detail17trampoline_kernelINS0_14default_configENS1_25partition_config_selectorILNS1_17partition_subalgoE1EyNS0_10empty_typeEbEEZZNS1_14partition_implILS5_1ELb0ES3_jN6thrust23THRUST_200600_302600_NS6detail15normal_iteratorINSA_10device_ptrIyEEEEPS6_NSA_18transform_iteratorI7is_evenIyESF_NSA_11use_defaultESK_EENS0_5tupleIJSF_NSA_16discard_iteratorISK_EEEEENSM_IJSG_SG_EEES6_PlJS6_EEE10hipError_tPvRmT3_T4_T5_T6_T7_T9_mT8_P12ihipStream_tbDpT10_ENKUlT_T0_E_clISt17integral_constantIbLb0EES1B_EEDaS16_S17_EUlS16_E_NS1_11comp_targetILNS1_3genE8ELNS1_11target_archE1030ELNS1_3gpuE2ELNS1_3repE0EEENS1_30default_config_static_selectorELNS0_4arch9wavefront6targetE1EEEvT1_ ; -- Begin function _ZN7rocprim17ROCPRIM_400000_NS6detail17trampoline_kernelINS0_14default_configENS1_25partition_config_selectorILNS1_17partition_subalgoE1EyNS0_10empty_typeEbEEZZNS1_14partition_implILS5_1ELb0ES3_jN6thrust23THRUST_200600_302600_NS6detail15normal_iteratorINSA_10device_ptrIyEEEEPS6_NSA_18transform_iteratorI7is_evenIyESF_NSA_11use_defaultESK_EENS0_5tupleIJSF_NSA_16discard_iteratorISK_EEEEENSM_IJSG_SG_EEES6_PlJS6_EEE10hipError_tPvRmT3_T4_T5_T6_T7_T9_mT8_P12ihipStream_tbDpT10_ENKUlT_T0_E_clISt17integral_constantIbLb0EES1B_EEDaS16_S17_EUlS16_E_NS1_11comp_targetILNS1_3genE8ELNS1_11target_archE1030ELNS1_3gpuE2ELNS1_3repE0EEENS1_30default_config_static_selectorELNS0_4arch9wavefront6targetE1EEEvT1_
	.globl	_ZN7rocprim17ROCPRIM_400000_NS6detail17trampoline_kernelINS0_14default_configENS1_25partition_config_selectorILNS1_17partition_subalgoE1EyNS0_10empty_typeEbEEZZNS1_14partition_implILS5_1ELb0ES3_jN6thrust23THRUST_200600_302600_NS6detail15normal_iteratorINSA_10device_ptrIyEEEEPS6_NSA_18transform_iteratorI7is_evenIyESF_NSA_11use_defaultESK_EENS0_5tupleIJSF_NSA_16discard_iteratorISK_EEEEENSM_IJSG_SG_EEES6_PlJS6_EEE10hipError_tPvRmT3_T4_T5_T6_T7_T9_mT8_P12ihipStream_tbDpT10_ENKUlT_T0_E_clISt17integral_constantIbLb0EES1B_EEDaS16_S17_EUlS16_E_NS1_11comp_targetILNS1_3genE8ELNS1_11target_archE1030ELNS1_3gpuE2ELNS1_3repE0EEENS1_30default_config_static_selectorELNS0_4arch9wavefront6targetE1EEEvT1_
	.p2align	8
	.type	_ZN7rocprim17ROCPRIM_400000_NS6detail17trampoline_kernelINS0_14default_configENS1_25partition_config_selectorILNS1_17partition_subalgoE1EyNS0_10empty_typeEbEEZZNS1_14partition_implILS5_1ELb0ES3_jN6thrust23THRUST_200600_302600_NS6detail15normal_iteratorINSA_10device_ptrIyEEEEPS6_NSA_18transform_iteratorI7is_evenIyESF_NSA_11use_defaultESK_EENS0_5tupleIJSF_NSA_16discard_iteratorISK_EEEEENSM_IJSG_SG_EEES6_PlJS6_EEE10hipError_tPvRmT3_T4_T5_T6_T7_T9_mT8_P12ihipStream_tbDpT10_ENKUlT_T0_E_clISt17integral_constantIbLb0EES1B_EEDaS16_S17_EUlS16_E_NS1_11comp_targetILNS1_3genE8ELNS1_11target_archE1030ELNS1_3gpuE2ELNS1_3repE0EEENS1_30default_config_static_selectorELNS0_4arch9wavefront6targetE1EEEvT1_,@function
_ZN7rocprim17ROCPRIM_400000_NS6detail17trampoline_kernelINS0_14default_configENS1_25partition_config_selectorILNS1_17partition_subalgoE1EyNS0_10empty_typeEbEEZZNS1_14partition_implILS5_1ELb0ES3_jN6thrust23THRUST_200600_302600_NS6detail15normal_iteratorINSA_10device_ptrIyEEEEPS6_NSA_18transform_iteratorI7is_evenIyESF_NSA_11use_defaultESK_EENS0_5tupleIJSF_NSA_16discard_iteratorISK_EEEEENSM_IJSG_SG_EEES6_PlJS6_EEE10hipError_tPvRmT3_T4_T5_T6_T7_T9_mT8_P12ihipStream_tbDpT10_ENKUlT_T0_E_clISt17integral_constantIbLb0EES1B_EEDaS16_S17_EUlS16_E_NS1_11comp_targetILNS1_3genE8ELNS1_11target_archE1030ELNS1_3gpuE2ELNS1_3repE0EEENS1_30default_config_static_selectorELNS0_4arch9wavefront6targetE1EEEvT1_: ; @_ZN7rocprim17ROCPRIM_400000_NS6detail17trampoline_kernelINS0_14default_configENS1_25partition_config_selectorILNS1_17partition_subalgoE1EyNS0_10empty_typeEbEEZZNS1_14partition_implILS5_1ELb0ES3_jN6thrust23THRUST_200600_302600_NS6detail15normal_iteratorINSA_10device_ptrIyEEEEPS6_NSA_18transform_iteratorI7is_evenIyESF_NSA_11use_defaultESK_EENS0_5tupleIJSF_NSA_16discard_iteratorISK_EEEEENSM_IJSG_SG_EEES6_PlJS6_EEE10hipError_tPvRmT3_T4_T5_T6_T7_T9_mT8_P12ihipStream_tbDpT10_ENKUlT_T0_E_clISt17integral_constantIbLb0EES1B_EEDaS16_S17_EUlS16_E_NS1_11comp_targetILNS1_3genE8ELNS1_11target_archE1030ELNS1_3gpuE2ELNS1_3repE0EEENS1_30default_config_static_selectorELNS0_4arch9wavefront6targetE1EEEvT1_
; %bb.0:
	.section	.rodata,"a",@progbits
	.p2align	6, 0x0
	.amdhsa_kernel _ZN7rocprim17ROCPRIM_400000_NS6detail17trampoline_kernelINS0_14default_configENS1_25partition_config_selectorILNS1_17partition_subalgoE1EyNS0_10empty_typeEbEEZZNS1_14partition_implILS5_1ELb0ES3_jN6thrust23THRUST_200600_302600_NS6detail15normal_iteratorINSA_10device_ptrIyEEEEPS6_NSA_18transform_iteratorI7is_evenIyESF_NSA_11use_defaultESK_EENS0_5tupleIJSF_NSA_16discard_iteratorISK_EEEEENSM_IJSG_SG_EEES6_PlJS6_EEE10hipError_tPvRmT3_T4_T5_T6_T7_T9_mT8_P12ihipStream_tbDpT10_ENKUlT_T0_E_clISt17integral_constantIbLb0EES1B_EEDaS16_S17_EUlS16_E_NS1_11comp_targetILNS1_3genE8ELNS1_11target_archE1030ELNS1_3gpuE2ELNS1_3repE0EEENS1_30default_config_static_selectorELNS0_4arch9wavefront6targetE1EEEvT1_
		.amdhsa_group_segment_fixed_size 0
		.amdhsa_private_segment_fixed_size 0
		.amdhsa_kernarg_size 136
		.amdhsa_user_sgpr_count 2
		.amdhsa_user_sgpr_dispatch_ptr 0
		.amdhsa_user_sgpr_queue_ptr 0
		.amdhsa_user_sgpr_kernarg_segment_ptr 1
		.amdhsa_user_sgpr_dispatch_id 0
		.amdhsa_user_sgpr_kernarg_preload_length 0
		.amdhsa_user_sgpr_kernarg_preload_offset 0
		.amdhsa_user_sgpr_private_segment_size 0
		.amdhsa_uses_dynamic_stack 0
		.amdhsa_enable_private_segment 0
		.amdhsa_system_sgpr_workgroup_id_x 1
		.amdhsa_system_sgpr_workgroup_id_y 0
		.amdhsa_system_sgpr_workgroup_id_z 0
		.amdhsa_system_sgpr_workgroup_info 0
		.amdhsa_system_vgpr_workitem_id 0
		.amdhsa_next_free_vgpr 1
		.amdhsa_next_free_sgpr 0
		.amdhsa_accum_offset 4
		.amdhsa_reserve_vcc 0
		.amdhsa_float_round_mode_32 0
		.amdhsa_float_round_mode_16_64 0
		.amdhsa_float_denorm_mode_32 3
		.amdhsa_float_denorm_mode_16_64 3
		.amdhsa_dx10_clamp 1
		.amdhsa_ieee_mode 1
		.amdhsa_fp16_overflow 0
		.amdhsa_tg_split 0
		.amdhsa_exception_fp_ieee_invalid_op 0
		.amdhsa_exception_fp_denorm_src 0
		.amdhsa_exception_fp_ieee_div_zero 0
		.amdhsa_exception_fp_ieee_overflow 0
		.amdhsa_exception_fp_ieee_underflow 0
		.amdhsa_exception_fp_ieee_inexact 0
		.amdhsa_exception_int_div_zero 0
	.end_amdhsa_kernel
	.section	.text._ZN7rocprim17ROCPRIM_400000_NS6detail17trampoline_kernelINS0_14default_configENS1_25partition_config_selectorILNS1_17partition_subalgoE1EyNS0_10empty_typeEbEEZZNS1_14partition_implILS5_1ELb0ES3_jN6thrust23THRUST_200600_302600_NS6detail15normal_iteratorINSA_10device_ptrIyEEEEPS6_NSA_18transform_iteratorI7is_evenIyESF_NSA_11use_defaultESK_EENS0_5tupleIJSF_NSA_16discard_iteratorISK_EEEEENSM_IJSG_SG_EEES6_PlJS6_EEE10hipError_tPvRmT3_T4_T5_T6_T7_T9_mT8_P12ihipStream_tbDpT10_ENKUlT_T0_E_clISt17integral_constantIbLb0EES1B_EEDaS16_S17_EUlS16_E_NS1_11comp_targetILNS1_3genE8ELNS1_11target_archE1030ELNS1_3gpuE2ELNS1_3repE0EEENS1_30default_config_static_selectorELNS0_4arch9wavefront6targetE1EEEvT1_,"axG",@progbits,_ZN7rocprim17ROCPRIM_400000_NS6detail17trampoline_kernelINS0_14default_configENS1_25partition_config_selectorILNS1_17partition_subalgoE1EyNS0_10empty_typeEbEEZZNS1_14partition_implILS5_1ELb0ES3_jN6thrust23THRUST_200600_302600_NS6detail15normal_iteratorINSA_10device_ptrIyEEEEPS6_NSA_18transform_iteratorI7is_evenIyESF_NSA_11use_defaultESK_EENS0_5tupleIJSF_NSA_16discard_iteratorISK_EEEEENSM_IJSG_SG_EEES6_PlJS6_EEE10hipError_tPvRmT3_T4_T5_T6_T7_T9_mT8_P12ihipStream_tbDpT10_ENKUlT_T0_E_clISt17integral_constantIbLb0EES1B_EEDaS16_S17_EUlS16_E_NS1_11comp_targetILNS1_3genE8ELNS1_11target_archE1030ELNS1_3gpuE2ELNS1_3repE0EEENS1_30default_config_static_selectorELNS0_4arch9wavefront6targetE1EEEvT1_,comdat
.Lfunc_end2914:
	.size	_ZN7rocprim17ROCPRIM_400000_NS6detail17trampoline_kernelINS0_14default_configENS1_25partition_config_selectorILNS1_17partition_subalgoE1EyNS0_10empty_typeEbEEZZNS1_14partition_implILS5_1ELb0ES3_jN6thrust23THRUST_200600_302600_NS6detail15normal_iteratorINSA_10device_ptrIyEEEEPS6_NSA_18transform_iteratorI7is_evenIyESF_NSA_11use_defaultESK_EENS0_5tupleIJSF_NSA_16discard_iteratorISK_EEEEENSM_IJSG_SG_EEES6_PlJS6_EEE10hipError_tPvRmT3_T4_T5_T6_T7_T9_mT8_P12ihipStream_tbDpT10_ENKUlT_T0_E_clISt17integral_constantIbLb0EES1B_EEDaS16_S17_EUlS16_E_NS1_11comp_targetILNS1_3genE8ELNS1_11target_archE1030ELNS1_3gpuE2ELNS1_3repE0EEENS1_30default_config_static_selectorELNS0_4arch9wavefront6targetE1EEEvT1_, .Lfunc_end2914-_ZN7rocprim17ROCPRIM_400000_NS6detail17trampoline_kernelINS0_14default_configENS1_25partition_config_selectorILNS1_17partition_subalgoE1EyNS0_10empty_typeEbEEZZNS1_14partition_implILS5_1ELb0ES3_jN6thrust23THRUST_200600_302600_NS6detail15normal_iteratorINSA_10device_ptrIyEEEEPS6_NSA_18transform_iteratorI7is_evenIyESF_NSA_11use_defaultESK_EENS0_5tupleIJSF_NSA_16discard_iteratorISK_EEEEENSM_IJSG_SG_EEES6_PlJS6_EEE10hipError_tPvRmT3_T4_T5_T6_T7_T9_mT8_P12ihipStream_tbDpT10_ENKUlT_T0_E_clISt17integral_constantIbLb0EES1B_EEDaS16_S17_EUlS16_E_NS1_11comp_targetILNS1_3genE8ELNS1_11target_archE1030ELNS1_3gpuE2ELNS1_3repE0EEENS1_30default_config_static_selectorELNS0_4arch9wavefront6targetE1EEEvT1_
                                        ; -- End function
	.section	.AMDGPU.csdata,"",@progbits
; Kernel info:
; codeLenInByte = 0
; NumSgprs: 6
; NumVgprs: 0
; NumAgprs: 0
; TotalNumVgprs: 0
; ScratchSize: 0
; MemoryBound: 0
; FloatMode: 240
; IeeeMode: 1
; LDSByteSize: 0 bytes/workgroup (compile time only)
; SGPRBlocks: 0
; VGPRBlocks: 0
; NumSGPRsForWavesPerEU: 6
; NumVGPRsForWavesPerEU: 1
; AccumOffset: 4
; Occupancy: 8
; WaveLimiterHint : 0
; COMPUTE_PGM_RSRC2:SCRATCH_EN: 0
; COMPUTE_PGM_RSRC2:USER_SGPR: 2
; COMPUTE_PGM_RSRC2:TRAP_HANDLER: 0
; COMPUTE_PGM_RSRC2:TGID_X_EN: 1
; COMPUTE_PGM_RSRC2:TGID_Y_EN: 0
; COMPUTE_PGM_RSRC2:TGID_Z_EN: 0
; COMPUTE_PGM_RSRC2:TIDIG_COMP_CNT: 0
; COMPUTE_PGM_RSRC3_GFX90A:ACCUM_OFFSET: 0
; COMPUTE_PGM_RSRC3_GFX90A:TG_SPLIT: 0
	.section	.text._ZN7rocprim17ROCPRIM_400000_NS6detail17trampoline_kernelINS0_14default_configENS1_25partition_config_selectorILNS1_17partition_subalgoE1EyNS0_10empty_typeEbEEZZNS1_14partition_implILS5_1ELb0ES3_jN6thrust23THRUST_200600_302600_NS6detail15normal_iteratorINSA_10device_ptrIyEEEEPS6_NSA_18transform_iteratorI7is_evenIyESF_NSA_11use_defaultESK_EENS0_5tupleIJSF_NSA_16discard_iteratorISK_EEEEENSM_IJSG_SG_EEES6_PlJS6_EEE10hipError_tPvRmT3_T4_T5_T6_T7_T9_mT8_P12ihipStream_tbDpT10_ENKUlT_T0_E_clISt17integral_constantIbLb1EES1B_EEDaS16_S17_EUlS16_E_NS1_11comp_targetILNS1_3genE0ELNS1_11target_archE4294967295ELNS1_3gpuE0ELNS1_3repE0EEENS1_30default_config_static_selectorELNS0_4arch9wavefront6targetE1EEEvT1_,"axG",@progbits,_ZN7rocprim17ROCPRIM_400000_NS6detail17trampoline_kernelINS0_14default_configENS1_25partition_config_selectorILNS1_17partition_subalgoE1EyNS0_10empty_typeEbEEZZNS1_14partition_implILS5_1ELb0ES3_jN6thrust23THRUST_200600_302600_NS6detail15normal_iteratorINSA_10device_ptrIyEEEEPS6_NSA_18transform_iteratorI7is_evenIyESF_NSA_11use_defaultESK_EENS0_5tupleIJSF_NSA_16discard_iteratorISK_EEEEENSM_IJSG_SG_EEES6_PlJS6_EEE10hipError_tPvRmT3_T4_T5_T6_T7_T9_mT8_P12ihipStream_tbDpT10_ENKUlT_T0_E_clISt17integral_constantIbLb1EES1B_EEDaS16_S17_EUlS16_E_NS1_11comp_targetILNS1_3genE0ELNS1_11target_archE4294967295ELNS1_3gpuE0ELNS1_3repE0EEENS1_30default_config_static_selectorELNS0_4arch9wavefront6targetE1EEEvT1_,comdat
	.protected	_ZN7rocprim17ROCPRIM_400000_NS6detail17trampoline_kernelINS0_14default_configENS1_25partition_config_selectorILNS1_17partition_subalgoE1EyNS0_10empty_typeEbEEZZNS1_14partition_implILS5_1ELb0ES3_jN6thrust23THRUST_200600_302600_NS6detail15normal_iteratorINSA_10device_ptrIyEEEEPS6_NSA_18transform_iteratorI7is_evenIyESF_NSA_11use_defaultESK_EENS0_5tupleIJSF_NSA_16discard_iteratorISK_EEEEENSM_IJSG_SG_EEES6_PlJS6_EEE10hipError_tPvRmT3_T4_T5_T6_T7_T9_mT8_P12ihipStream_tbDpT10_ENKUlT_T0_E_clISt17integral_constantIbLb1EES1B_EEDaS16_S17_EUlS16_E_NS1_11comp_targetILNS1_3genE0ELNS1_11target_archE4294967295ELNS1_3gpuE0ELNS1_3repE0EEENS1_30default_config_static_selectorELNS0_4arch9wavefront6targetE1EEEvT1_ ; -- Begin function _ZN7rocprim17ROCPRIM_400000_NS6detail17trampoline_kernelINS0_14default_configENS1_25partition_config_selectorILNS1_17partition_subalgoE1EyNS0_10empty_typeEbEEZZNS1_14partition_implILS5_1ELb0ES3_jN6thrust23THRUST_200600_302600_NS6detail15normal_iteratorINSA_10device_ptrIyEEEEPS6_NSA_18transform_iteratorI7is_evenIyESF_NSA_11use_defaultESK_EENS0_5tupleIJSF_NSA_16discard_iteratorISK_EEEEENSM_IJSG_SG_EEES6_PlJS6_EEE10hipError_tPvRmT3_T4_T5_T6_T7_T9_mT8_P12ihipStream_tbDpT10_ENKUlT_T0_E_clISt17integral_constantIbLb1EES1B_EEDaS16_S17_EUlS16_E_NS1_11comp_targetILNS1_3genE0ELNS1_11target_archE4294967295ELNS1_3gpuE0ELNS1_3repE0EEENS1_30default_config_static_selectorELNS0_4arch9wavefront6targetE1EEEvT1_
	.globl	_ZN7rocprim17ROCPRIM_400000_NS6detail17trampoline_kernelINS0_14default_configENS1_25partition_config_selectorILNS1_17partition_subalgoE1EyNS0_10empty_typeEbEEZZNS1_14partition_implILS5_1ELb0ES3_jN6thrust23THRUST_200600_302600_NS6detail15normal_iteratorINSA_10device_ptrIyEEEEPS6_NSA_18transform_iteratorI7is_evenIyESF_NSA_11use_defaultESK_EENS0_5tupleIJSF_NSA_16discard_iteratorISK_EEEEENSM_IJSG_SG_EEES6_PlJS6_EEE10hipError_tPvRmT3_T4_T5_T6_T7_T9_mT8_P12ihipStream_tbDpT10_ENKUlT_T0_E_clISt17integral_constantIbLb1EES1B_EEDaS16_S17_EUlS16_E_NS1_11comp_targetILNS1_3genE0ELNS1_11target_archE4294967295ELNS1_3gpuE0ELNS1_3repE0EEENS1_30default_config_static_selectorELNS0_4arch9wavefront6targetE1EEEvT1_
	.p2align	8
	.type	_ZN7rocprim17ROCPRIM_400000_NS6detail17trampoline_kernelINS0_14default_configENS1_25partition_config_selectorILNS1_17partition_subalgoE1EyNS0_10empty_typeEbEEZZNS1_14partition_implILS5_1ELb0ES3_jN6thrust23THRUST_200600_302600_NS6detail15normal_iteratorINSA_10device_ptrIyEEEEPS6_NSA_18transform_iteratorI7is_evenIyESF_NSA_11use_defaultESK_EENS0_5tupleIJSF_NSA_16discard_iteratorISK_EEEEENSM_IJSG_SG_EEES6_PlJS6_EEE10hipError_tPvRmT3_T4_T5_T6_T7_T9_mT8_P12ihipStream_tbDpT10_ENKUlT_T0_E_clISt17integral_constantIbLb1EES1B_EEDaS16_S17_EUlS16_E_NS1_11comp_targetILNS1_3genE0ELNS1_11target_archE4294967295ELNS1_3gpuE0ELNS1_3repE0EEENS1_30default_config_static_selectorELNS0_4arch9wavefront6targetE1EEEvT1_,@function
_ZN7rocprim17ROCPRIM_400000_NS6detail17trampoline_kernelINS0_14default_configENS1_25partition_config_selectorILNS1_17partition_subalgoE1EyNS0_10empty_typeEbEEZZNS1_14partition_implILS5_1ELb0ES3_jN6thrust23THRUST_200600_302600_NS6detail15normal_iteratorINSA_10device_ptrIyEEEEPS6_NSA_18transform_iteratorI7is_evenIyESF_NSA_11use_defaultESK_EENS0_5tupleIJSF_NSA_16discard_iteratorISK_EEEEENSM_IJSG_SG_EEES6_PlJS6_EEE10hipError_tPvRmT3_T4_T5_T6_T7_T9_mT8_P12ihipStream_tbDpT10_ENKUlT_T0_E_clISt17integral_constantIbLb1EES1B_EEDaS16_S17_EUlS16_E_NS1_11comp_targetILNS1_3genE0ELNS1_11target_archE4294967295ELNS1_3gpuE0ELNS1_3repE0EEENS1_30default_config_static_selectorELNS0_4arch9wavefront6targetE1EEEvT1_: ; @_ZN7rocprim17ROCPRIM_400000_NS6detail17trampoline_kernelINS0_14default_configENS1_25partition_config_selectorILNS1_17partition_subalgoE1EyNS0_10empty_typeEbEEZZNS1_14partition_implILS5_1ELb0ES3_jN6thrust23THRUST_200600_302600_NS6detail15normal_iteratorINSA_10device_ptrIyEEEEPS6_NSA_18transform_iteratorI7is_evenIyESF_NSA_11use_defaultESK_EENS0_5tupleIJSF_NSA_16discard_iteratorISK_EEEEENSM_IJSG_SG_EEES6_PlJS6_EEE10hipError_tPvRmT3_T4_T5_T6_T7_T9_mT8_P12ihipStream_tbDpT10_ENKUlT_T0_E_clISt17integral_constantIbLb1EES1B_EEDaS16_S17_EUlS16_E_NS1_11comp_targetILNS1_3genE0ELNS1_11target_archE4294967295ELNS1_3gpuE0ELNS1_3repE0EEENS1_30default_config_static_selectorELNS0_4arch9wavefront6targetE1EEEvT1_
; %bb.0:
	.section	.rodata,"a",@progbits
	.p2align	6, 0x0
	.amdhsa_kernel _ZN7rocprim17ROCPRIM_400000_NS6detail17trampoline_kernelINS0_14default_configENS1_25partition_config_selectorILNS1_17partition_subalgoE1EyNS0_10empty_typeEbEEZZNS1_14partition_implILS5_1ELb0ES3_jN6thrust23THRUST_200600_302600_NS6detail15normal_iteratorINSA_10device_ptrIyEEEEPS6_NSA_18transform_iteratorI7is_evenIyESF_NSA_11use_defaultESK_EENS0_5tupleIJSF_NSA_16discard_iteratorISK_EEEEENSM_IJSG_SG_EEES6_PlJS6_EEE10hipError_tPvRmT3_T4_T5_T6_T7_T9_mT8_P12ihipStream_tbDpT10_ENKUlT_T0_E_clISt17integral_constantIbLb1EES1B_EEDaS16_S17_EUlS16_E_NS1_11comp_targetILNS1_3genE0ELNS1_11target_archE4294967295ELNS1_3gpuE0ELNS1_3repE0EEENS1_30default_config_static_selectorELNS0_4arch9wavefront6targetE1EEEvT1_
		.amdhsa_group_segment_fixed_size 0
		.amdhsa_private_segment_fixed_size 0
		.amdhsa_kernarg_size 152
		.amdhsa_user_sgpr_count 2
		.amdhsa_user_sgpr_dispatch_ptr 0
		.amdhsa_user_sgpr_queue_ptr 0
		.amdhsa_user_sgpr_kernarg_segment_ptr 1
		.amdhsa_user_sgpr_dispatch_id 0
		.amdhsa_user_sgpr_kernarg_preload_length 0
		.amdhsa_user_sgpr_kernarg_preload_offset 0
		.amdhsa_user_sgpr_private_segment_size 0
		.amdhsa_uses_dynamic_stack 0
		.amdhsa_enable_private_segment 0
		.amdhsa_system_sgpr_workgroup_id_x 1
		.amdhsa_system_sgpr_workgroup_id_y 0
		.amdhsa_system_sgpr_workgroup_id_z 0
		.amdhsa_system_sgpr_workgroup_info 0
		.amdhsa_system_vgpr_workitem_id 0
		.amdhsa_next_free_vgpr 1
		.amdhsa_next_free_sgpr 0
		.amdhsa_accum_offset 4
		.amdhsa_reserve_vcc 0
		.amdhsa_float_round_mode_32 0
		.amdhsa_float_round_mode_16_64 0
		.amdhsa_float_denorm_mode_32 3
		.amdhsa_float_denorm_mode_16_64 3
		.amdhsa_dx10_clamp 1
		.amdhsa_ieee_mode 1
		.amdhsa_fp16_overflow 0
		.amdhsa_tg_split 0
		.amdhsa_exception_fp_ieee_invalid_op 0
		.amdhsa_exception_fp_denorm_src 0
		.amdhsa_exception_fp_ieee_div_zero 0
		.amdhsa_exception_fp_ieee_overflow 0
		.amdhsa_exception_fp_ieee_underflow 0
		.amdhsa_exception_fp_ieee_inexact 0
		.amdhsa_exception_int_div_zero 0
	.end_amdhsa_kernel
	.section	.text._ZN7rocprim17ROCPRIM_400000_NS6detail17trampoline_kernelINS0_14default_configENS1_25partition_config_selectorILNS1_17partition_subalgoE1EyNS0_10empty_typeEbEEZZNS1_14partition_implILS5_1ELb0ES3_jN6thrust23THRUST_200600_302600_NS6detail15normal_iteratorINSA_10device_ptrIyEEEEPS6_NSA_18transform_iteratorI7is_evenIyESF_NSA_11use_defaultESK_EENS0_5tupleIJSF_NSA_16discard_iteratorISK_EEEEENSM_IJSG_SG_EEES6_PlJS6_EEE10hipError_tPvRmT3_T4_T5_T6_T7_T9_mT8_P12ihipStream_tbDpT10_ENKUlT_T0_E_clISt17integral_constantIbLb1EES1B_EEDaS16_S17_EUlS16_E_NS1_11comp_targetILNS1_3genE0ELNS1_11target_archE4294967295ELNS1_3gpuE0ELNS1_3repE0EEENS1_30default_config_static_selectorELNS0_4arch9wavefront6targetE1EEEvT1_,"axG",@progbits,_ZN7rocprim17ROCPRIM_400000_NS6detail17trampoline_kernelINS0_14default_configENS1_25partition_config_selectorILNS1_17partition_subalgoE1EyNS0_10empty_typeEbEEZZNS1_14partition_implILS5_1ELb0ES3_jN6thrust23THRUST_200600_302600_NS6detail15normal_iteratorINSA_10device_ptrIyEEEEPS6_NSA_18transform_iteratorI7is_evenIyESF_NSA_11use_defaultESK_EENS0_5tupleIJSF_NSA_16discard_iteratorISK_EEEEENSM_IJSG_SG_EEES6_PlJS6_EEE10hipError_tPvRmT3_T4_T5_T6_T7_T9_mT8_P12ihipStream_tbDpT10_ENKUlT_T0_E_clISt17integral_constantIbLb1EES1B_EEDaS16_S17_EUlS16_E_NS1_11comp_targetILNS1_3genE0ELNS1_11target_archE4294967295ELNS1_3gpuE0ELNS1_3repE0EEENS1_30default_config_static_selectorELNS0_4arch9wavefront6targetE1EEEvT1_,comdat
.Lfunc_end2915:
	.size	_ZN7rocprim17ROCPRIM_400000_NS6detail17trampoline_kernelINS0_14default_configENS1_25partition_config_selectorILNS1_17partition_subalgoE1EyNS0_10empty_typeEbEEZZNS1_14partition_implILS5_1ELb0ES3_jN6thrust23THRUST_200600_302600_NS6detail15normal_iteratorINSA_10device_ptrIyEEEEPS6_NSA_18transform_iteratorI7is_evenIyESF_NSA_11use_defaultESK_EENS0_5tupleIJSF_NSA_16discard_iteratorISK_EEEEENSM_IJSG_SG_EEES6_PlJS6_EEE10hipError_tPvRmT3_T4_T5_T6_T7_T9_mT8_P12ihipStream_tbDpT10_ENKUlT_T0_E_clISt17integral_constantIbLb1EES1B_EEDaS16_S17_EUlS16_E_NS1_11comp_targetILNS1_3genE0ELNS1_11target_archE4294967295ELNS1_3gpuE0ELNS1_3repE0EEENS1_30default_config_static_selectorELNS0_4arch9wavefront6targetE1EEEvT1_, .Lfunc_end2915-_ZN7rocprim17ROCPRIM_400000_NS6detail17trampoline_kernelINS0_14default_configENS1_25partition_config_selectorILNS1_17partition_subalgoE1EyNS0_10empty_typeEbEEZZNS1_14partition_implILS5_1ELb0ES3_jN6thrust23THRUST_200600_302600_NS6detail15normal_iteratorINSA_10device_ptrIyEEEEPS6_NSA_18transform_iteratorI7is_evenIyESF_NSA_11use_defaultESK_EENS0_5tupleIJSF_NSA_16discard_iteratorISK_EEEEENSM_IJSG_SG_EEES6_PlJS6_EEE10hipError_tPvRmT3_T4_T5_T6_T7_T9_mT8_P12ihipStream_tbDpT10_ENKUlT_T0_E_clISt17integral_constantIbLb1EES1B_EEDaS16_S17_EUlS16_E_NS1_11comp_targetILNS1_3genE0ELNS1_11target_archE4294967295ELNS1_3gpuE0ELNS1_3repE0EEENS1_30default_config_static_selectorELNS0_4arch9wavefront6targetE1EEEvT1_
                                        ; -- End function
	.section	.AMDGPU.csdata,"",@progbits
; Kernel info:
; codeLenInByte = 0
; NumSgprs: 6
; NumVgprs: 0
; NumAgprs: 0
; TotalNumVgprs: 0
; ScratchSize: 0
; MemoryBound: 0
; FloatMode: 240
; IeeeMode: 1
; LDSByteSize: 0 bytes/workgroup (compile time only)
; SGPRBlocks: 0
; VGPRBlocks: 0
; NumSGPRsForWavesPerEU: 6
; NumVGPRsForWavesPerEU: 1
; AccumOffset: 4
; Occupancy: 8
; WaveLimiterHint : 0
; COMPUTE_PGM_RSRC2:SCRATCH_EN: 0
; COMPUTE_PGM_RSRC2:USER_SGPR: 2
; COMPUTE_PGM_RSRC2:TRAP_HANDLER: 0
; COMPUTE_PGM_RSRC2:TGID_X_EN: 1
; COMPUTE_PGM_RSRC2:TGID_Y_EN: 0
; COMPUTE_PGM_RSRC2:TGID_Z_EN: 0
; COMPUTE_PGM_RSRC2:TIDIG_COMP_CNT: 0
; COMPUTE_PGM_RSRC3_GFX90A:ACCUM_OFFSET: 0
; COMPUTE_PGM_RSRC3_GFX90A:TG_SPLIT: 0
	.section	.text._ZN7rocprim17ROCPRIM_400000_NS6detail17trampoline_kernelINS0_14default_configENS1_25partition_config_selectorILNS1_17partition_subalgoE1EyNS0_10empty_typeEbEEZZNS1_14partition_implILS5_1ELb0ES3_jN6thrust23THRUST_200600_302600_NS6detail15normal_iteratorINSA_10device_ptrIyEEEEPS6_NSA_18transform_iteratorI7is_evenIyESF_NSA_11use_defaultESK_EENS0_5tupleIJSF_NSA_16discard_iteratorISK_EEEEENSM_IJSG_SG_EEES6_PlJS6_EEE10hipError_tPvRmT3_T4_T5_T6_T7_T9_mT8_P12ihipStream_tbDpT10_ENKUlT_T0_E_clISt17integral_constantIbLb1EES1B_EEDaS16_S17_EUlS16_E_NS1_11comp_targetILNS1_3genE5ELNS1_11target_archE942ELNS1_3gpuE9ELNS1_3repE0EEENS1_30default_config_static_selectorELNS0_4arch9wavefront6targetE1EEEvT1_,"axG",@progbits,_ZN7rocprim17ROCPRIM_400000_NS6detail17trampoline_kernelINS0_14default_configENS1_25partition_config_selectorILNS1_17partition_subalgoE1EyNS0_10empty_typeEbEEZZNS1_14partition_implILS5_1ELb0ES3_jN6thrust23THRUST_200600_302600_NS6detail15normal_iteratorINSA_10device_ptrIyEEEEPS6_NSA_18transform_iteratorI7is_evenIyESF_NSA_11use_defaultESK_EENS0_5tupleIJSF_NSA_16discard_iteratorISK_EEEEENSM_IJSG_SG_EEES6_PlJS6_EEE10hipError_tPvRmT3_T4_T5_T6_T7_T9_mT8_P12ihipStream_tbDpT10_ENKUlT_T0_E_clISt17integral_constantIbLb1EES1B_EEDaS16_S17_EUlS16_E_NS1_11comp_targetILNS1_3genE5ELNS1_11target_archE942ELNS1_3gpuE9ELNS1_3repE0EEENS1_30default_config_static_selectorELNS0_4arch9wavefront6targetE1EEEvT1_,comdat
	.protected	_ZN7rocprim17ROCPRIM_400000_NS6detail17trampoline_kernelINS0_14default_configENS1_25partition_config_selectorILNS1_17partition_subalgoE1EyNS0_10empty_typeEbEEZZNS1_14partition_implILS5_1ELb0ES3_jN6thrust23THRUST_200600_302600_NS6detail15normal_iteratorINSA_10device_ptrIyEEEEPS6_NSA_18transform_iteratorI7is_evenIyESF_NSA_11use_defaultESK_EENS0_5tupleIJSF_NSA_16discard_iteratorISK_EEEEENSM_IJSG_SG_EEES6_PlJS6_EEE10hipError_tPvRmT3_T4_T5_T6_T7_T9_mT8_P12ihipStream_tbDpT10_ENKUlT_T0_E_clISt17integral_constantIbLb1EES1B_EEDaS16_S17_EUlS16_E_NS1_11comp_targetILNS1_3genE5ELNS1_11target_archE942ELNS1_3gpuE9ELNS1_3repE0EEENS1_30default_config_static_selectorELNS0_4arch9wavefront6targetE1EEEvT1_ ; -- Begin function _ZN7rocprim17ROCPRIM_400000_NS6detail17trampoline_kernelINS0_14default_configENS1_25partition_config_selectorILNS1_17partition_subalgoE1EyNS0_10empty_typeEbEEZZNS1_14partition_implILS5_1ELb0ES3_jN6thrust23THRUST_200600_302600_NS6detail15normal_iteratorINSA_10device_ptrIyEEEEPS6_NSA_18transform_iteratorI7is_evenIyESF_NSA_11use_defaultESK_EENS0_5tupleIJSF_NSA_16discard_iteratorISK_EEEEENSM_IJSG_SG_EEES6_PlJS6_EEE10hipError_tPvRmT3_T4_T5_T6_T7_T9_mT8_P12ihipStream_tbDpT10_ENKUlT_T0_E_clISt17integral_constantIbLb1EES1B_EEDaS16_S17_EUlS16_E_NS1_11comp_targetILNS1_3genE5ELNS1_11target_archE942ELNS1_3gpuE9ELNS1_3repE0EEENS1_30default_config_static_selectorELNS0_4arch9wavefront6targetE1EEEvT1_
	.globl	_ZN7rocprim17ROCPRIM_400000_NS6detail17trampoline_kernelINS0_14default_configENS1_25partition_config_selectorILNS1_17partition_subalgoE1EyNS0_10empty_typeEbEEZZNS1_14partition_implILS5_1ELb0ES3_jN6thrust23THRUST_200600_302600_NS6detail15normal_iteratorINSA_10device_ptrIyEEEEPS6_NSA_18transform_iteratorI7is_evenIyESF_NSA_11use_defaultESK_EENS0_5tupleIJSF_NSA_16discard_iteratorISK_EEEEENSM_IJSG_SG_EEES6_PlJS6_EEE10hipError_tPvRmT3_T4_T5_T6_T7_T9_mT8_P12ihipStream_tbDpT10_ENKUlT_T0_E_clISt17integral_constantIbLb1EES1B_EEDaS16_S17_EUlS16_E_NS1_11comp_targetILNS1_3genE5ELNS1_11target_archE942ELNS1_3gpuE9ELNS1_3repE0EEENS1_30default_config_static_selectorELNS0_4arch9wavefront6targetE1EEEvT1_
	.p2align	8
	.type	_ZN7rocprim17ROCPRIM_400000_NS6detail17trampoline_kernelINS0_14default_configENS1_25partition_config_selectorILNS1_17partition_subalgoE1EyNS0_10empty_typeEbEEZZNS1_14partition_implILS5_1ELb0ES3_jN6thrust23THRUST_200600_302600_NS6detail15normal_iteratorINSA_10device_ptrIyEEEEPS6_NSA_18transform_iteratorI7is_evenIyESF_NSA_11use_defaultESK_EENS0_5tupleIJSF_NSA_16discard_iteratorISK_EEEEENSM_IJSG_SG_EEES6_PlJS6_EEE10hipError_tPvRmT3_T4_T5_T6_T7_T9_mT8_P12ihipStream_tbDpT10_ENKUlT_T0_E_clISt17integral_constantIbLb1EES1B_EEDaS16_S17_EUlS16_E_NS1_11comp_targetILNS1_3genE5ELNS1_11target_archE942ELNS1_3gpuE9ELNS1_3repE0EEENS1_30default_config_static_selectorELNS0_4arch9wavefront6targetE1EEEvT1_,@function
_ZN7rocprim17ROCPRIM_400000_NS6detail17trampoline_kernelINS0_14default_configENS1_25partition_config_selectorILNS1_17partition_subalgoE1EyNS0_10empty_typeEbEEZZNS1_14partition_implILS5_1ELb0ES3_jN6thrust23THRUST_200600_302600_NS6detail15normal_iteratorINSA_10device_ptrIyEEEEPS6_NSA_18transform_iteratorI7is_evenIyESF_NSA_11use_defaultESK_EENS0_5tupleIJSF_NSA_16discard_iteratorISK_EEEEENSM_IJSG_SG_EEES6_PlJS6_EEE10hipError_tPvRmT3_T4_T5_T6_T7_T9_mT8_P12ihipStream_tbDpT10_ENKUlT_T0_E_clISt17integral_constantIbLb1EES1B_EEDaS16_S17_EUlS16_E_NS1_11comp_targetILNS1_3genE5ELNS1_11target_archE942ELNS1_3gpuE9ELNS1_3repE0EEENS1_30default_config_static_selectorELNS0_4arch9wavefront6targetE1EEEvT1_: ; @_ZN7rocprim17ROCPRIM_400000_NS6detail17trampoline_kernelINS0_14default_configENS1_25partition_config_selectorILNS1_17partition_subalgoE1EyNS0_10empty_typeEbEEZZNS1_14partition_implILS5_1ELb0ES3_jN6thrust23THRUST_200600_302600_NS6detail15normal_iteratorINSA_10device_ptrIyEEEEPS6_NSA_18transform_iteratorI7is_evenIyESF_NSA_11use_defaultESK_EENS0_5tupleIJSF_NSA_16discard_iteratorISK_EEEEENSM_IJSG_SG_EEES6_PlJS6_EEE10hipError_tPvRmT3_T4_T5_T6_T7_T9_mT8_P12ihipStream_tbDpT10_ENKUlT_T0_E_clISt17integral_constantIbLb1EES1B_EEDaS16_S17_EUlS16_E_NS1_11comp_targetILNS1_3genE5ELNS1_11target_archE942ELNS1_3gpuE9ELNS1_3repE0EEENS1_30default_config_static_selectorELNS0_4arch9wavefront6targetE1EEEvT1_
; %bb.0:
	s_load_dwordx2 s[2:3], s[0:1], 0x20
	s_load_dwordx4 s[20:23], s[0:1], 0x58
	s_load_dwordx2 s[10:11], s[0:1], 0x68
	s_load_dwordx2 s[28:29], s[0:1], 0x78
	v_cmp_eq_u32_e64 s[18:19], 0, v0
	s_and_saveexec_b64 s[4:5], s[18:19]
	s_cbranch_execz .LBB2916_4
; %bb.1:
	s_mov_b64 s[8:9], exec
	v_mbcnt_lo_u32_b32 v1, s8, 0
	v_mbcnt_hi_u32_b32 v1, s9, v1
	v_cmp_eq_u32_e32 vcc, 0, v1
                                        ; implicit-def: $vgpr2
	s_and_saveexec_b64 s[6:7], vcc
	s_cbranch_execz .LBB2916_3
; %bb.2:
	s_load_dwordx2 s[12:13], s[0:1], 0x88
	s_bcnt1_i32_b64 s8, s[8:9]
	v_mov_b32_e32 v2, 0
	v_mov_b32_e32 v3, s8
	s_waitcnt lgkmcnt(0)
	global_atomic_add v2, v2, v3, s[12:13] sc0
.LBB2916_3:
	s_or_b64 exec, exec, s[6:7]
	s_waitcnt vmcnt(0)
	v_readfirstlane_b32 s6, v2
	v_mov_b32_e32 v2, 0
	s_nop 0
	v_add_u32_e32 v1, s6, v1
	ds_write_b32 v2, v1
.LBB2916_4:
	s_or_b64 exec, exec, s[4:5]
	v_mov_b32_e32 v21, 0
	s_load_dwordx4 s[4:7], s[0:1], 0x8
	s_load_dwordx2 s[24:25], s[0:1], 0x30
	s_load_dword s12, s[0:1], 0x80
	s_waitcnt lgkmcnt(0)
	s_barrier
	ds_read_b32 v1, v21
	s_waitcnt lgkmcnt(0)
	s_barrier
	global_load_dwordx2 v[18:19], v21, s[22:23]
	s_lshl_b64 s[8:9], s[6:7], 3
	v_mov_b32_e32 v3, s11
	s_add_u32 s11, s4, s8
	s_mul_i32 s4, s12, 0xe00
	s_addc_u32 s13, s5, s9
	s_add_i32 s1, s4, s6
	s_sub_i32 s33, s10, s1
	s_add_i32 s14, s12, -1
	s_addk_i32 s33, 0xe00
	s_add_u32 s4, s6, s4
	v_readfirstlane_b32 s36, v1
	s_addc_u32 s5, s7, 0
	s_cmp_eq_u32 s36, s14
	v_mov_b32_e32 v2, s10
	s_cselect_b64 s[22:23], -1, 0
	s_cmp_lg_u32 s36, s14
	s_mul_i32 s0, s36, 0xe00
	s_mov_b32 s1, 0
	v_cmp_lt_u64_e32 vcc, s[4:5], v[2:3]
	s_cselect_b64 s[4:5], -1, 0
	s_or_b64 s[26:27], vcc, s[4:5]
	s_lshl_b64 s[4:5], s[0:1], 3
	s_add_u32 s6, s11, s4
	s_addc_u32 s7, s13, s5
	s_mov_b64 s[0:1], -1
	s_and_b64 vcc, exec, s[26:27]
	v_lshlrev_b32_e32 v20, 3, v0
	s_cbranch_vccz .LBB2916_6
; %bb.5:
	v_lshl_add_u64 v[2:3], s[6:7], 0, v[20:21]
	v_add_co_u32_e32 v4, vcc, 0x1000, v2
	s_mov_b64 s[0:1], 0
	s_nop 0
	v_addc_co_u32_e32 v5, vcc, 0, v3, vcc
	v_add_co_u32_e32 v6, vcc, 0x2000, v2
	s_nop 1
	v_addc_co_u32_e32 v7, vcc, 0, v3, vcc
	v_add_co_u32_e32 v8, vcc, 0x3000, v2
	s_nop 1
	v_addc_co_u32_e32 v9, vcc, 0, v3, vcc
	flat_load_dwordx2 v[10:11], v[2:3]
	flat_load_dwordx2 v[12:13], v[4:5]
	;; [unrolled: 1-line block ×4, first 2 shown]
	v_add_co_u32_e32 v4, vcc, 0x4000, v2
	s_nop 1
	v_addc_co_u32_e32 v5, vcc, 0, v3, vcc
	v_add_co_u32_e32 v6, vcc, 0x5000, v2
	s_nop 1
	v_addc_co_u32_e32 v7, vcc, 0, v3, vcc
	;; [unrolled: 3-line block ×3, first 2 shown]
	flat_load_dwordx2 v[8:9], v[4:5]
	flat_load_dwordx2 v[22:23], v[6:7]
	;; [unrolled: 1-line block ×3, first 2 shown]
	s_waitcnt vmcnt(0) lgkmcnt(0)
	ds_write2st64_b64 v20, v[10:11], v[12:13] offset1:8
	ds_write2st64_b64 v20, v[14:15], v[16:17] offset0:16 offset1:24
	ds_write2st64_b64 v20, v[8:9], v[22:23] offset0:32 offset1:40
	ds_write_b64 v20, v[24:25] offset:24576
	s_waitcnt lgkmcnt(0)
	s_barrier
.LBB2916_6:
	s_andn2_b64 vcc, exec, s[0:1]
	v_cmp_gt_u32_e64 s[0:1], s33, v0
	s_cbranch_vccnz .LBB2916_22
; %bb.7:
                                        ; implicit-def: $vgpr2_vgpr3_vgpr4_vgpr5_vgpr6_vgpr7_vgpr8_vgpr9_vgpr10_vgpr11_vgpr12_vgpr13_vgpr14_vgpr15_vgpr16_vgpr17
	s_and_saveexec_b64 s[10:11], s[0:1]
	s_cbranch_execz .LBB2916_9
; %bb.8:
	v_mov_b32_e32 v21, 0
	v_lshl_add_u64 v[2:3], s[6:7], 0, v[20:21]
	flat_load_dwordx2 v[2:3], v[2:3]
.LBB2916_9:
	s_or_b64 exec, exec, s[10:11]
	v_or_b32_e32 v1, 0x200, v0
	v_cmp_gt_u32_e32 vcc, s33, v1
	s_and_saveexec_b64 s[0:1], vcc
	s_cbranch_execz .LBB2916_11
; %bb.10:
	v_lshlrev_b32_e32 v4, 3, v1
	v_mov_b32_e32 v5, 0
	v_lshl_add_u64 v[4:5], s[6:7], 0, v[4:5]
	flat_load_dwordx2 v[4:5], v[4:5]
.LBB2916_11:
	s_or_b64 exec, exec, s[0:1]
	v_or_b32_e32 v1, 0x400, v0
	v_cmp_gt_u32_e32 vcc, s33, v1
	s_and_saveexec_b64 s[0:1], vcc
	s_cbranch_execz .LBB2916_13
; %bb.12:
	v_lshlrev_b32_e32 v6, 3, v1
	v_mov_b32_e32 v7, 0
	v_lshl_add_u64 v[6:7], s[6:7], 0, v[6:7]
	flat_load_dwordx2 v[6:7], v[6:7]
.LBB2916_13:
	;; [unrolled: 11-line block ×6, first 2 shown]
	s_or_b64 exec, exec, s[0:1]
	s_waitcnt vmcnt(0) lgkmcnt(0)
	ds_write2st64_b64 v20, v[2:3], v[4:5] offset1:8
	ds_write2st64_b64 v20, v[6:7], v[8:9] offset0:16 offset1:24
	ds_write2st64_b64 v20, v[10:11], v[12:13] offset0:32 offset1:40
	ds_write_b64 v20, v[14:15] offset:24576
	s_waitcnt lgkmcnt(0)
	s_barrier
.LBB2916_22:
	v_mul_u32_u24_e32 v1, 7, v0
	v_lshlrev_b32_e32 v16, 3, v1
	ds_read2_b64 v[10:13], v16 offset1:1
	ds_read2_b64 v[6:9], v16 offset0:2 offset1:3
	ds_read2_b64 v[2:5], v16 offset0:4 offset1:5
	ds_read_b64 v[14:15], v16 offset:48
	s_add_u32 s0, s2, s8
	s_addc_u32 s1, s3, s9
	s_add_u32 s0, s0, s4
	s_addc_u32 s1, s1, s5
	s_mov_b64 s[2:3], -1
	s_and_b64 vcc, exec, s[26:27]
	s_waitcnt lgkmcnt(0)
	s_barrier
	s_cbranch_vccz .LBB2916_24
; %bb.23:
	v_mov_b32_e32 v21, 0
	v_lshl_add_u64 v[22:23], s[0:1], 0, v[20:21]
	v_add_co_u32_e32 v26, vcc, 0x1000, v22
	global_load_dwordx2 v[24:25], v20, s[0:1]
	s_nop 0
	v_addc_co_u32_e32 v27, vcc, 0, v23, vcc
	v_add_co_u32_e32 v28, vcc, 0x2000, v22
	s_mov_b64 s[2:3], 0
	s_nop 0
	v_addc_co_u32_e32 v29, vcc, 0, v23, vcc
	v_add_co_u32_e32 v30, vcc, 0x3000, v22
	s_waitcnt vmcnt(0)
	v_xor_b32_e32 v17, -1, v24
	v_addc_co_u32_e32 v31, vcc, 0, v23, vcc
	v_add_co_u32_e32 v32, vcc, 0x4000, v22
	v_and_b32_e32 v17, 1, v17
	s_nop 0
	v_addc_co_u32_e32 v33, vcc, 0, v23, vcc
	global_load_dwordx2 v[34:35], v[26:27], off
	global_load_dwordx2 v[36:37], v[28:29], off
	;; [unrolled: 1-line block ×4, first 2 shown]
	v_add_co_u32_e32 v26, vcc, 0x5000, v22
	ds_write_b8 v0, v17
	s_nop 0
	v_addc_co_u32_e32 v27, vcc, 0, v23, vcc
	v_add_co_u32_e32 v22, vcc, 0x6000, v22
	global_load_dwordx2 v[26:27], v[26:27], off
	s_nop 0
	v_addc_co_u32_e32 v23, vcc, 0, v23, vcc
	global_load_dwordx2 v[22:23], v[22:23], off
	s_waitcnt vmcnt(5)
	v_xor_b32_e32 v17, -1, v34
	v_and_b32_e32 v17, 1, v17
	s_waitcnt vmcnt(4)
	v_xor_b32_e32 v21, -1, v36
	s_waitcnt vmcnt(0)
	v_xor_b32_e32 v23, -1, v38
	v_and_b32_e32 v21, 1, v21
	ds_write_b8 v0, v17 offset:512
	v_and_b32_e32 v17, 1, v23
	v_xor_b32_e32 v23, -1, v40
	ds_write_b8 v0, v21 offset:1024
	v_and_b32_e32 v21, 1, v23
	ds_write_b8 v0, v17 offset:1536
	v_xor_b32_e32 v23, -1, v26
	v_and_b32_e32 v17, 1, v23
	ds_write_b8 v0, v21 offset:2048
	v_xor_b32_e32 v22, -1, v22
	v_and_b32_e32 v21, 1, v22
	ds_write_b8 v0, v17 offset:2560
	ds_write_b8 v0, v21 offset:3072
	s_waitcnt lgkmcnt(0)
	s_barrier
.LBB2916_24:
	s_andn2_b64 vcc, exec, s[2:3]
	s_cbranch_vccnz .LBB2916_40
; %bb.25:
	v_cmp_gt_u32_e32 vcc, s33, v0
	v_mov_b32_e32 v17, 0
	v_mov_b32_e32 v21, 0
	s_and_saveexec_b64 s[2:3], vcc
	s_cbranch_execz .LBB2916_27
; %bb.26:
	global_load_dwordx2 v[22:23], v20, s[0:1]
	s_waitcnt vmcnt(0)
	v_xor_b32_e32 v21, -1, v22
	v_and_b32_e32 v21, 1, v21
.LBB2916_27:
	s_or_b64 exec, exec, s[2:3]
	v_or_b32_e32 v22, 0x200, v0
	v_cmp_gt_u32_e32 vcc, s33, v22
	s_and_saveexec_b64 s[2:3], vcc
	s_cbranch_execz .LBB2916_29
; %bb.28:
	v_lshlrev_b32_e32 v17, 3, v22
	global_load_dwordx2 v[22:23], v17, s[0:1]
	s_waitcnt vmcnt(0)
	v_xor_b32_e32 v17, -1, v22
	v_and_b32_e32 v17, 1, v17
.LBB2916_29:
	s_or_b64 exec, exec, s[2:3]
	v_or_b32_e32 v24, 0x400, v0
	v_cmp_gt_u32_e32 vcc, s33, v24
	v_mov_b32_e32 v22, 0
	v_mov_b32_e32 v23, 0
	s_and_saveexec_b64 s[2:3], vcc
	s_cbranch_execz .LBB2916_31
; %bb.30:
	v_lshlrev_b32_e32 v23, 3, v24
	global_load_dwordx2 v[24:25], v23, s[0:1]
	s_waitcnt vmcnt(0)
	v_xor_b32_e32 v23, -1, v24
	v_and_b32_e32 v23, 1, v23
.LBB2916_31:
	s_or_b64 exec, exec, s[2:3]
	v_or_b32_e32 v24, 0x600, v0
	v_cmp_gt_u32_e32 vcc, s33, v24
	s_and_saveexec_b64 s[2:3], vcc
	s_cbranch_execz .LBB2916_33
; %bb.32:
	v_lshlrev_b32_e32 v22, 3, v24
	global_load_dwordx2 v[24:25], v22, s[0:1]
	s_waitcnt vmcnt(0)
	v_xor_b32_e32 v22, -1, v24
	v_and_b32_e32 v22, 1, v22
.LBB2916_33:
	s_or_b64 exec, exec, s[2:3]
	v_or_b32_e32 v26, 0x800, v0
	v_cmp_gt_u32_e32 vcc, s33, v26
	v_mov_b32_e32 v24, 0
	v_mov_b32_e32 v25, 0
	s_and_saveexec_b64 s[2:3], vcc
	s_cbranch_execz .LBB2916_35
; %bb.34:
	v_lshlrev_b32_e32 v25, 3, v26
	global_load_dwordx2 v[26:27], v25, s[0:1]
	s_waitcnt vmcnt(0)
	v_xor_b32_e32 v25, -1, v26
	v_and_b32_e32 v25, 1, v25
.LBB2916_35:
	s_or_b64 exec, exec, s[2:3]
	v_or_b32_e32 v26, 0xa00, v0
	v_cmp_gt_u32_e32 vcc, s33, v26
	s_and_saveexec_b64 s[2:3], vcc
	s_cbranch_execz .LBB2916_37
; %bb.36:
	v_lshlrev_b32_e32 v24, 3, v26
	global_load_dwordx2 v[26:27], v24, s[0:1]
	s_waitcnt vmcnt(0)
	v_xor_b32_e32 v24, -1, v26
	v_and_b32_e32 v24, 1, v24
.LBB2916_37:
	s_or_b64 exec, exec, s[2:3]
	v_or_b32_e32 v27, 0xc00, v0
	v_cmp_gt_u32_e32 vcc, s33, v27
	v_mov_b32_e32 v26, 0
	s_and_saveexec_b64 s[2:3], vcc
	s_cbranch_execz .LBB2916_39
; %bb.38:
	v_lshlrev_b32_e32 v26, 3, v27
	global_load_dwordx2 v[26:27], v26, s[0:1]
	s_waitcnt vmcnt(0)
	v_xor_b32_e32 v26, -1, v26
	v_and_b32_e32 v26, 1, v26
.LBB2916_39:
	s_or_b64 exec, exec, s[2:3]
	ds_write_b8 v0, v21
	ds_write_b8 v0, v17 offset:512
	ds_write_b8 v0, v23 offset:1024
	;; [unrolled: 1-line block ×6, first 2 shown]
	s_waitcnt lgkmcnt(0)
	s_barrier
.LBB2916_40:
	s_movk_i32 s0, 0xffcf
	v_mad_i32_i24 v37, v0, s0, v16
	ds_read_u8 v16, v37
	ds_read_u8 v17, v37 offset:1
	ds_read_u8 v21, v37 offset:2
	ds_read_u8 v22, v37 offset:3
	ds_read_u8 v23, v37 offset:4
	ds_read_u8 v24, v37 offset:5
	ds_read_u8 v25, v37 offset:6
	s_waitcnt lgkmcnt(6)
	v_and_b32_e32 v35, 1, v16
	s_waitcnt lgkmcnt(5)
	v_and_b32_e32 v34, 1, v17
	;; [unrolled: 2-line block ×5, first 2 shown]
	v_add3_u32 v16, v34, v35, v33
	s_waitcnt lgkmcnt(1)
	v_and_b32_e32 v30, 1, v24
	s_waitcnt lgkmcnt(0)
	v_and_b32_e32 v21, 1, v25
	v_add3_u32 v16, v16, v32, v31
	v_add3_u32 v39, v16, v30, v21
	v_mbcnt_lo_u32_b32 v16, -1, 0
	v_mbcnt_hi_u32_b32 v36, -1, v16
	v_and_b32_e32 v16, 15, v36
	v_cmp_eq_u32_e64 s[14:15], 0, v16
	v_cmp_lt_u32_e64 s[12:13], 1, v16
	v_cmp_lt_u32_e64 s[10:11], 3, v16
	;; [unrolled: 1-line block ×3, first 2 shown]
	v_and_b32_e32 v16, 16, v36
	v_cmp_eq_u32_e64 s[6:7], 0, v16
	v_or_b32_e32 v16, 63, v0
	s_cmp_lg_u32 s36, 0
	v_cmp_lt_u32_e64 s[2:3], 31, v36
	v_lshrrev_b32_e32 v38, 6, v0
	v_cmp_eq_u32_e64 s[4:5], v16, v0
	s_barrier
	s_cbranch_scc0 .LBB2916_71
; %bb.41:
	v_mov_b32_dpp v16, v39 row_shr:1 row_mask:0xf bank_mask:0xf
	v_cndmask_b32_e64 v16, v16, 0, s[14:15]
	v_add_u32_e32 v16, v16, v39
	s_nop 1
	v_mov_b32_dpp v17, v16 row_shr:2 row_mask:0xf bank_mask:0xf
	v_cndmask_b32_e64 v17, 0, v17, s[12:13]
	v_add_u32_e32 v16, v16, v17
	s_nop 1
	;; [unrolled: 4-line block ×4, first 2 shown]
	v_mov_b32_dpp v17, v16 row_bcast:15 row_mask:0xf bank_mask:0xf
	v_cndmask_b32_e64 v17, v17, 0, s[6:7]
	v_add_u32_e32 v16, v16, v17
	s_nop 1
	v_mov_b32_dpp v17, v16 row_bcast:31 row_mask:0xf bank_mask:0xf
	v_cndmask_b32_e64 v17, 0, v17, s[2:3]
	v_add_u32_e32 v16, v16, v17
	s_and_saveexec_b64 s[0:1], s[4:5]
	s_cbranch_execz .LBB2916_43
; %bb.42:
	v_lshlrev_b32_e32 v17, 2, v38
	ds_write_b32 v17, v16
.LBB2916_43:
	s_or_b64 exec, exec, s[0:1]
	v_cmp_gt_u32_e32 vcc, 8, v0
	s_waitcnt lgkmcnt(0)
	s_barrier
	s_and_saveexec_b64 s[0:1], vcc
	s_cbranch_execz .LBB2916_45
; %bb.44:
	v_lshlrev_b32_e32 v17, 2, v0
	ds_read_b32 v22, v17
	v_and_b32_e32 v23, 7, v36
	v_cmp_ne_u32_e32 vcc, 0, v23
	s_waitcnt lgkmcnt(0)
	v_mov_b32_dpp v24, v22 row_shr:1 row_mask:0xf bank_mask:0xf
	v_cndmask_b32_e32 v24, 0, v24, vcc
	v_add_u32_e32 v22, v24, v22
	v_cmp_lt_u32_e32 vcc, 1, v23
	s_nop 0
	v_mov_b32_dpp v24, v22 row_shr:2 row_mask:0xf bank_mask:0xf
	v_cndmask_b32_e32 v24, 0, v24, vcc
	v_add_u32_e32 v22, v22, v24
	v_cmp_lt_u32_e32 vcc, 3, v23
	s_nop 0
	v_mov_b32_dpp v24, v22 row_shr:4 row_mask:0xf bank_mask:0xf
	v_cndmask_b32_e32 v23, 0, v24, vcc
	v_add_u32_e32 v22, v22, v23
	ds_write_b32 v17, v22
.LBB2916_45:
	s_or_b64 exec, exec, s[0:1]
	v_cmp_gt_u32_e32 vcc, 64, v0
	v_cmp_lt_u32_e64 s[0:1], 63, v0
	s_waitcnt lgkmcnt(0)
	s_barrier
	s_waitcnt lgkmcnt(0)
                                        ; implicit-def: $vgpr40
	s_and_saveexec_b64 s[16:17], s[0:1]
	s_cbranch_execz .LBB2916_47
; %bb.46:
	v_lshl_add_u32 v17, v38, 2, -4
	ds_read_b32 v40, v17
	s_waitcnt lgkmcnt(0)
	v_add_u32_e32 v16, v40, v16
.LBB2916_47:
	s_or_b64 exec, exec, s[16:17]
	v_add_u32_e32 v17, -1, v36
	v_and_b32_e32 v22, 64, v36
	v_cmp_lt_i32_e64 s[0:1], v17, v22
	v_cmp_eq_u32_e64 s[16:17], 0, v36
	s_nop 0
	v_cndmask_b32_e64 v17, v17, v36, s[0:1]
	v_lshlrev_b32_e32 v17, 2, v17
	ds_bpermute_b32 v41, v17, v16
	s_and_saveexec_b64 s[0:1], vcc
	s_cbranch_execz .LBB2916_70
; %bb.48:
	v_mov_b32_e32 v29, 0
	ds_read_b32 v16, v29 offset:28
	s_and_saveexec_b64 s[30:31], s[16:17]
	s_cbranch_execz .LBB2916_50
; %bb.49:
	s_add_i32 s34, s36, 64
	s_mov_b32 s35, 0
	s_lshl_b64 s[34:35], s[34:35], 3
	s_add_u32 s34, s28, s34
	v_mov_b32_e32 v17, 1
	s_addc_u32 s35, s29, s35
	s_waitcnt lgkmcnt(0)
	global_store_dwordx2 v29, v[16:17], s[34:35] sc1
.LBB2916_50:
	s_or_b64 exec, exec, s[30:31]
	v_xad_u32 v22, v36, -1, s36
	v_add_u32_e32 v28, 64, v22
	v_lshl_add_u64 v[24:25], v[28:29], 3, s[28:29]
	global_load_dwordx2 v[26:27], v[24:25], off sc1
	s_waitcnt vmcnt(0)
	v_cmp_eq_u16_sdwa s[34:35], v27, v29 src0_sel:BYTE_0 src1_sel:DWORD
	s_and_saveexec_b64 s[30:31], s[34:35]
	s_cbranch_execz .LBB2916_56
; %bb.51:
	s_mov_b32 s37, 1
	s_mov_b64 s[34:35], 0
	v_mov_b32_e32 v17, 0
.LBB2916_52:                            ; =>This Loop Header: Depth=1
                                        ;     Child Loop BB2916_53 Depth 2
	s_max_u32 s38, s37, 1
.LBB2916_53:                            ;   Parent Loop BB2916_52 Depth=1
                                        ; =>  This Inner Loop Header: Depth=2
	s_add_i32 s38, s38, -1
	s_cmp_eq_u32 s38, 0
	s_sleep 1
	s_cbranch_scc0 .LBB2916_53
; %bb.54:                               ;   in Loop: Header=BB2916_52 Depth=1
	global_load_dwordx2 v[26:27], v[24:25], off sc1
	s_cmp_lt_u32 s37, 32
	s_cselect_b64 s[38:39], -1, 0
	s_cmp_lg_u64 s[38:39], 0
	s_addc_u32 s37, s37, 0
	s_waitcnt vmcnt(0)
	v_cmp_ne_u16_sdwa s[38:39], v27, v17 src0_sel:BYTE_0 src1_sel:DWORD
	s_or_b64 s[34:35], s[38:39], s[34:35]
	s_andn2_b64 exec, exec, s[34:35]
	s_cbranch_execnz .LBB2916_52
; %bb.55:
	s_or_b64 exec, exec, s[34:35]
.LBB2916_56:
	s_or_b64 exec, exec, s[30:31]
	v_and_b32_e32 v43, 63, v36
	v_mov_b32_e32 v42, 2
	v_cmp_ne_u32_e32 vcc, 63, v43
	v_cmp_eq_u16_sdwa s[30:31], v27, v42 src0_sel:BYTE_0 src1_sel:DWORD
	v_lshlrev_b64 v[24:25], v36, -1
	v_addc_co_u32_e32 v28, vcc, 0, v36, vcc
	v_and_b32_e32 v17, s31, v25
	v_lshlrev_b32_e32 v44, 2, v28
	v_or_b32_e32 v17, 0x80000000, v17
	ds_bpermute_b32 v28, v44, v26
	v_and_b32_e32 v23, s30, v24
	v_ffbl_b32_e32 v17, v17
	v_add_u32_e32 v17, 32, v17
	v_ffbl_b32_e32 v23, v23
	v_min_u32_e32 v17, v23, v17
	v_cmp_lt_u32_e32 vcc, v43, v17
	v_add_u32_e32 v46, 2, v43
	v_add_u32_e32 v48, 4, v43
	s_waitcnt lgkmcnt(0)
	v_cndmask_b32_e32 v23, 0, v28, vcc
	v_cmp_gt_u32_e32 vcc, 62, v43
	v_add_u32_e32 v23, v23, v26
	v_add_u32_e32 v50, 8, v43
	v_cndmask_b32_e64 v26, 0, 1, vcc
	v_lshlrev_b32_e32 v26, 1, v26
	v_add_lshl_u32 v45, v26, v36, 2
	ds_bpermute_b32 v26, v45, v23
	v_cmp_le_u32_e32 vcc, v46, v17
	v_add_u32_e32 v52, 16, v43
	v_add_u32_e32 v54, 32, v43
	s_waitcnt lgkmcnt(0)
	v_cndmask_b32_e32 v26, 0, v26, vcc
	v_cmp_gt_u32_e32 vcc, 60, v43
	v_add_u32_e32 v23, v23, v26
	s_nop 0
	v_cndmask_b32_e64 v26, 0, 1, vcc
	v_lshlrev_b32_e32 v26, 2, v26
	v_add_lshl_u32 v47, v26, v36, 2
	ds_bpermute_b32 v26, v47, v23
	v_cmp_le_u32_e32 vcc, v48, v17
	s_waitcnt lgkmcnt(0)
	s_nop 0
	v_cndmask_b32_e32 v26, 0, v26, vcc
	v_cmp_gt_u32_e32 vcc, 56, v43
	v_add_u32_e32 v23, v23, v26
	s_nop 0
	v_cndmask_b32_e64 v26, 0, 1, vcc
	v_lshlrev_b32_e32 v26, 3, v26
	v_add_lshl_u32 v49, v26, v36, 2
	ds_bpermute_b32 v26, v49, v23
	v_cmp_le_u32_e32 vcc, v50, v17
	s_waitcnt lgkmcnt(0)
	s_nop 0
	;; [unrolled: 11-line block ×4, first 2 shown]
	v_cndmask_b32_e32 v17, 0, v26, vcc
	v_add_u32_e32 v26, v23, v17
	v_mov_b32_e32 v23, 0
	s_branch .LBB2916_58
.LBB2916_57:                            ;   in Loop: Header=BB2916_58 Depth=1
	s_or_b64 exec, exec, s[30:31]
	v_cmp_eq_u16_sdwa s[30:31], v27, v42 src0_sel:BYTE_0 src1_sel:DWORD
	ds_bpermute_b32 v55, v44, v26
	v_subrev_u32_e32 v22, 64, v22
	v_and_b32_e32 v28, s31, v25
	v_or_b32_e32 v28, 0x80000000, v28
	v_and_b32_e32 v29, s30, v24
	v_ffbl_b32_e32 v28, v28
	v_add_u32_e32 v28, 32, v28
	v_ffbl_b32_e32 v29, v29
	v_min_u32_e32 v28, v29, v28
	v_cmp_lt_u32_e32 vcc, v43, v28
	s_waitcnt lgkmcnt(0)
	s_nop 0
	v_cndmask_b32_e32 v29, 0, v55, vcc
	v_add_u32_e32 v26, v29, v26
	ds_bpermute_b32 v29, v45, v26
	v_cmp_le_u32_e32 vcc, v46, v28
	s_waitcnt lgkmcnt(0)
	s_nop 0
	v_cndmask_b32_e32 v29, 0, v29, vcc
	v_add_u32_e32 v26, v26, v29
	ds_bpermute_b32 v29, v47, v26
	v_cmp_le_u32_e32 vcc, v48, v28
	;; [unrolled: 6-line block ×5, first 2 shown]
	s_waitcnt lgkmcnt(0)
	s_nop 0
	v_cndmask_b32_e32 v28, 0, v29, vcc
	v_add3_u32 v26, v28, v17, v26
.LBB2916_58:                            ; =>This Loop Header: Depth=1
                                        ;     Child Loop BB2916_61 Depth 2
                                        ;       Child Loop BB2916_62 Depth 3
	v_cmp_ne_u16_sdwa s[30:31], v27, v42 src0_sel:BYTE_0 src1_sel:DWORD
	s_nop 1
	v_cndmask_b32_e64 v17, 0, 1, s[30:31]
	;;#ASMSTART
	;;#ASMEND
	s_nop 0
	v_cmp_ne_u32_e32 vcc, 0, v17
	s_cmp_lg_u64 vcc, exec
	v_mov_b32_e32 v17, v26
	s_cbranch_scc1 .LBB2916_65
; %bb.59:                               ;   in Loop: Header=BB2916_58 Depth=1
	v_lshl_add_u64 v[28:29], v[22:23], 3, s[28:29]
	global_load_dwordx2 v[26:27], v[28:29], off sc1
	s_waitcnt vmcnt(0)
	v_cmp_eq_u16_sdwa s[34:35], v27, v23 src0_sel:BYTE_0 src1_sel:DWORD
	s_and_saveexec_b64 s[30:31], s[34:35]
	s_cbranch_execz .LBB2916_57
; %bb.60:                               ;   in Loop: Header=BB2916_58 Depth=1
	s_mov_b32 s37, 1
	s_mov_b64 s[34:35], 0
.LBB2916_61:                            ;   Parent Loop BB2916_58 Depth=1
                                        ; =>  This Loop Header: Depth=2
                                        ;       Child Loop BB2916_62 Depth 3
	s_max_u32 s38, s37, 1
.LBB2916_62:                            ;   Parent Loop BB2916_58 Depth=1
                                        ;     Parent Loop BB2916_61 Depth=2
                                        ; =>    This Inner Loop Header: Depth=3
	s_add_i32 s38, s38, -1
	s_cmp_eq_u32 s38, 0
	s_sleep 1
	s_cbranch_scc0 .LBB2916_62
; %bb.63:                               ;   in Loop: Header=BB2916_61 Depth=2
	global_load_dwordx2 v[26:27], v[28:29], off sc1
	s_cmp_lt_u32 s37, 32
	s_cselect_b64 s[38:39], -1, 0
	s_cmp_lg_u64 s[38:39], 0
	s_addc_u32 s37, s37, 0
	s_waitcnt vmcnt(0)
	v_cmp_ne_u16_sdwa s[38:39], v27, v23 src0_sel:BYTE_0 src1_sel:DWORD
	s_or_b64 s[34:35], s[38:39], s[34:35]
	s_andn2_b64 exec, exec, s[34:35]
	s_cbranch_execnz .LBB2916_61
; %bb.64:                               ;   in Loop: Header=BB2916_58 Depth=1
	s_or_b64 exec, exec, s[34:35]
	s_branch .LBB2916_57
.LBB2916_65:                            ;   in Loop: Header=BB2916_58 Depth=1
                                        ; implicit-def: $vgpr26
                                        ; implicit-def: $vgpr27
	s_cbranch_execz .LBB2916_58
; %bb.66:
	s_and_saveexec_b64 s[30:31], s[16:17]
	s_cbranch_execz .LBB2916_68
; %bb.67:
	s_add_i32 s34, s36, 64
	s_mov_b32 s35, 0
	s_lshl_b64 s[34:35], s[34:35], 3
	s_add_u32 s34, s28, s34
	v_add_u32_e32 v22, v17, v16
	v_mov_b32_e32 v23, 2
	s_addc_u32 s35, s29, s35
	v_mov_b32_e32 v24, 0
	global_store_dwordx2 v24, v[22:23], s[34:35] sc1
	ds_write_b64 v24, v[16:17] offset:28672
.LBB2916_68:
	s_or_b64 exec, exec, s[30:31]
	s_and_b64 exec, exec, s[18:19]
	s_cbranch_execz .LBB2916_70
; %bb.69:
	v_mov_b32_e32 v16, 0
	ds_write_b32 v16, v17 offset:28
.LBB2916_70:
	s_or_b64 exec, exec, s[0:1]
	v_mov_b32_e32 v16, 0
	s_waitcnt lgkmcnt(0)
	s_barrier
	ds_read_b32 v17, v16 offset:28
	v_cndmask_b32_e64 v22, v41, v40, s[16:17]
	v_cndmask_b32_e64 v22, v22, 0, s[18:19]
	s_waitcnt lgkmcnt(0)
	s_barrier
	v_add_u32_e32 v29, v17, v22
	v_add_u32_e32 v28, v29, v35
	ds_read_b64 v[16:17], v16 offset:28672
	v_add_u32_e32 v27, v28, v34
	v_add_u32_e32 v25, v27, v33
	;; [unrolled: 1-line block ×5, first 2 shown]
	s_waitcnt lgkmcnt(0)
	v_mov_b32_e32 v22, v17
	s_branch .LBB2916_81
.LBB2916_71:
                                        ; implicit-def: $vgpr22
                                        ; implicit-def: $vgpr16
                                        ; implicit-def: $vgpr23
                                        ; implicit-def: $vgpr24
                                        ; implicit-def: $vgpr26
                                        ; implicit-def: $vgpr25
                                        ; implicit-def: $vgpr27
                                        ; implicit-def: $vgpr28
                                        ; implicit-def: $vgpr29
	s_cbranch_execz .LBB2916_81
; %bb.72:
	s_nop 0
	v_mov_b32_dpp v16, v39 row_shr:1 row_mask:0xf bank_mask:0xf
	v_cndmask_b32_e64 v16, v16, 0, s[14:15]
	v_add_u32_e32 v16, v16, v39
	s_nop 1
	v_mov_b32_dpp v17, v16 row_shr:2 row_mask:0xf bank_mask:0xf
	v_cndmask_b32_e64 v17, 0, v17, s[12:13]
	v_add_u32_e32 v16, v16, v17
	;; [unrolled: 4-line block ×4, first 2 shown]
	s_nop 1
	v_mov_b32_dpp v17, v16 row_bcast:15 row_mask:0xf bank_mask:0xf
	v_cndmask_b32_e64 v17, v17, 0, s[6:7]
	v_add_u32_e32 v16, v16, v17
	s_nop 1
	v_mov_b32_dpp v17, v16 row_bcast:31 row_mask:0xf bank_mask:0xf
	v_cndmask_b32_e64 v17, 0, v17, s[2:3]
	v_add_u32_e32 v16, v16, v17
	s_and_saveexec_b64 s[0:1], s[4:5]
	s_cbranch_execz .LBB2916_74
; %bb.73:
	v_lshlrev_b32_e32 v17, 2, v38
	ds_write_b32 v17, v16
.LBB2916_74:
	s_or_b64 exec, exec, s[0:1]
	v_cmp_gt_u32_e32 vcc, 8, v0
	s_waitcnt lgkmcnt(0)
	s_barrier
	s_and_saveexec_b64 s[0:1], vcc
	s_cbranch_execz .LBB2916_76
; %bb.75:
	v_mad_i32_i24 v17, v0, -3, v37
	ds_read_b32 v22, v17
	v_and_b32_e32 v23, 7, v36
	v_cmp_ne_u32_e32 vcc, 0, v23
	s_waitcnt lgkmcnt(0)
	v_mov_b32_dpp v24, v22 row_shr:1 row_mask:0xf bank_mask:0xf
	v_cndmask_b32_e32 v24, 0, v24, vcc
	v_add_u32_e32 v22, v24, v22
	v_cmp_lt_u32_e32 vcc, 1, v23
	s_nop 0
	v_mov_b32_dpp v24, v22 row_shr:2 row_mask:0xf bank_mask:0xf
	v_cndmask_b32_e32 v24, 0, v24, vcc
	v_add_u32_e32 v22, v22, v24
	v_cmp_lt_u32_e32 vcc, 3, v23
	s_nop 0
	v_mov_b32_dpp v24, v22 row_shr:4 row_mask:0xf bank_mask:0xf
	v_cndmask_b32_e32 v23, 0, v24, vcc
	v_add_u32_e32 v22, v22, v23
	ds_write_b32 v17, v22
.LBB2916_76:
	s_or_b64 exec, exec, s[0:1]
	v_cmp_lt_u32_e32 vcc, 63, v0
	v_mov_b32_e32 v17, 0
	v_mov_b32_e32 v22, 0
	s_waitcnt lgkmcnt(0)
	s_barrier
	s_and_saveexec_b64 s[0:1], vcc
	s_cbranch_execz .LBB2916_78
; %bb.77:
	v_lshl_add_u32 v22, v38, 2, -4
	ds_read_b32 v22, v22
.LBB2916_78:
	s_or_b64 exec, exec, s[0:1]
	v_add_u32_e32 v23, -1, v36
	v_and_b32_e32 v24, 64, v36
	v_cmp_lt_i32_e32 vcc, v23, v24
	s_waitcnt lgkmcnt(0)
	v_add_u32_e32 v16, v22, v16
	v_cndmask_b32_e32 v23, v23, v36, vcc
	v_lshlrev_b32_e32 v23, 2, v23
	ds_bpermute_b32 v23, v23, v16
	ds_read_b32 v16, v17 offset:28
	s_and_saveexec_b64 s[0:1], s[18:19]
	s_cbranch_execz .LBB2916_80
; %bb.79:
	v_mov_b32_e32 v24, 0
	v_mov_b32_e32 v17, 2
	s_waitcnt lgkmcnt(0)
	global_store_dwordx2 v24, v[16:17], s[28:29] offset:512 sc1
.LBB2916_80:
	s_or_b64 exec, exec, s[0:1]
	v_cmp_eq_u32_e32 vcc, 0, v36
	s_waitcnt lgkmcnt(0)
	s_barrier
	v_cndmask_b32_e32 v17, v23, v22, vcc
	v_cndmask_b32_e64 v29, v17, 0, s[18:19]
	v_add_u32_e32 v28, v29, v35
	v_add_u32_e32 v27, v28, v34
	;; [unrolled: 1-line block ×5, first 2 shown]
	v_mov_b32_e32 v22, 0
	v_add_u32_e32 v23, v24, v30
.LBB2916_81:
	v_add_u32_e32 v1, v16, v1
	v_sub_u32_e32 v17, v29, v22
	v_sub_u32_e32 v29, v1, v17
	v_cmp_eq_u32_e32 vcc, 1, v35
	s_nop 1
	v_cndmask_b32_e32 v17, v29, v17, vcc
	v_lshlrev_b32_e32 v17, 3, v17
	ds_write_b64 v17, v[10:11]
	v_sub_u32_e32 v10, v28, v22
	v_sub_u32_e32 v11, v1, v10
	v_add_u32_e32 v11, 1, v11
	v_cmp_eq_u32_e32 vcc, 1, v34
	v_or_b32_e32 v29, 0x400, v0
	v_or_b32_e32 v28, 0x600, v0
	v_cndmask_b32_e32 v10, v11, v10, vcc
	v_lshlrev_b32_e32 v10, 3, v10
	ds_write_b64 v10, v[12:13]
	v_sub_u32_e32 v10, v27, v22
	v_sub_u32_e32 v11, v1, v10
	v_add_u32_e32 v11, 2, v11
	v_cmp_eq_u32_e32 vcc, 1, v33
	v_or_b32_e32 v17, 0xa00, v0
	s_nop 0
	v_cndmask_b32_e32 v10, v11, v10, vcc
	v_lshlrev_b32_e32 v10, 3, v10
	ds_write_b64 v10, v[6:7]
	v_sub_u32_e32 v6, v25, v22
	v_sub_u32_e32 v7, v1, v6
	v_add_u32_e32 v7, 3, v7
	v_cmp_eq_u32_e32 vcc, 1, v32
	s_nop 1
	v_cndmask_b32_e32 v6, v7, v6, vcc
	v_lshlrev_b32_e32 v6, 3, v6
	ds_write_b64 v6, v[8:9]
	v_sub_u32_e32 v6, v26, v22
	v_sub_u32_e32 v7, v1, v6
	v_add_u32_e32 v7, 4, v7
	v_cmp_eq_u32_e32 vcc, 1, v31
	s_waitcnt vmcnt(0)
	v_lshlrev_b64 v[26:27], 3, v[18:19]
	v_cndmask_b32_e32 v6, v7, v6, vcc
	v_lshlrev_b32_e32 v6, 3, v6
	ds_write_b64 v6, v[2:3]
	v_sub_u32_e32 v2, v24, v22
	v_sub_u32_e32 v3, v1, v2
	v_add_u32_e32 v3, 5, v3
	v_cmp_eq_u32_e32 vcc, 1, v30
	v_or_b32_e32 v30, 0x200, v0
	s_nop 0
	v_cndmask_b32_e32 v2, v3, v2, vcc
	v_lshlrev_b32_e32 v2, 3, v2
	ds_write_b64 v2, v[4:5]
	v_sub_u32_e32 v2, v23, v22
	v_sub_u32_e32 v1, v1, v2
	v_add_u32_e32 v1, 6, v1
	v_cmp_eq_u32_e32 vcc, 1, v21
	v_or_b32_e32 v21, 0x800, v0
	s_nop 0
	v_cndmask_b32_e32 v1, v1, v2, vcc
	v_lshlrev_b32_e32 v1, 3, v1
	ds_write_b64 v1, v[14:15]
	s_waitcnt lgkmcnt(0)
	s_barrier
	ds_read2st64_b64 v[10:13], v20 offset1:8
	ds_read2st64_b64 v[6:9], v20 offset0:16 offset1:24
	ds_read2st64_b64 v[2:5], v20 offset0:32 offset1:40
	ds_read_b64 v[14:15], v20 offset:24576
	v_or_b32_e32 v1, 0xc00, v0
	s_andn2_b64 vcc, exec, s[26:27]
	s_cbranch_vccnz .LBB2916_90
; %bb.82:
	v_mov_b32_e32 v23, 0
	v_lshl_add_u64 v[24:25], s[24:25], 0, v[26:27]
	v_lshlrev_b64 v[32:33], 3, v[22:23]
	v_lshl_add_u64 v[24:25], v[24:25], 0, v[32:33]
	v_cmp_lt_u32_e32 vcc, v0, v16
	s_and_saveexec_b64 s[0:1], vcc
	s_cbranch_execnz .LBB2916_104
; %bb.83:
	s_or_b64 exec, exec, s[0:1]
	v_cmp_lt_u32_e32 vcc, v30, v16
	s_and_saveexec_b64 s[0:1], vcc
	s_cbranch_execnz .LBB2916_105
.LBB2916_84:
	s_or_b64 exec, exec, s[0:1]
	v_cmp_lt_u32_e32 vcc, v29, v16
	s_and_saveexec_b64 s[0:1], vcc
	s_cbranch_execnz .LBB2916_106
.LBB2916_85:
	s_or_b64 exec, exec, s[0:1]
	v_cmp_lt_u32_e32 vcc, v28, v16
	s_and_saveexec_b64 s[0:1], vcc
	s_cbranch_execnz .LBB2916_107
.LBB2916_86:
	s_or_b64 exec, exec, s[0:1]
	v_cmp_lt_u32_e32 vcc, v21, v16
	s_and_saveexec_b64 s[0:1], vcc
	s_cbranch_execnz .LBB2916_108
.LBB2916_87:
	s_or_b64 exec, exec, s[0:1]
	v_cmp_lt_u32_e32 vcc, v17, v16
	s_and_saveexec_b64 s[0:1], vcc
	s_cbranch_execz .LBB2916_89
.LBB2916_88:
	v_lshlrev_b32_e32 v23, 3, v17
	v_readfirstlane_b32 s2, v24
	v_readfirstlane_b32 s3, v25
	s_waitcnt lgkmcnt(1)
	s_nop 3
	global_store_dwordx2 v23, v[4:5], s[2:3]
.LBB2916_89:
	s_or_b64 exec, exec, s[0:1]
	v_cmp_lt_u32_e64 s[0:1], v1, v16
	s_branch .LBB2916_99
.LBB2916_90:
	s_mov_b64 s[0:1], 0
                                        ; implicit-def: $vgpr24_vgpr25
	s_cbranch_execz .LBB2916_99
; %bb.91:
	v_mov_b32_e32 v23, 0
	v_min_u32_e32 v31, s33, v16
	v_lshl_add_u64 v[24:25], s[24:25], 0, v[26:27]
	v_lshlrev_b64 v[26:27], 3, v[22:23]
	v_lshl_add_u64 v[24:25], v[24:25], 0, v[26:27]
	v_cmp_gt_u32_e32 vcc, v31, v0
	s_and_saveexec_b64 s[0:1], vcc
	s_cbranch_execnz .LBB2916_109
; %bb.92:
	s_or_b64 exec, exec, s[0:1]
	v_cmp_lt_u32_e32 vcc, v30, v31
	s_and_saveexec_b64 s[0:1], vcc
	s_cbranch_execnz .LBB2916_110
.LBB2916_93:
	s_or_b64 exec, exec, s[0:1]
	v_cmp_lt_u32_e32 vcc, v29, v31
	s_and_saveexec_b64 s[0:1], vcc
	s_cbranch_execnz .LBB2916_111
.LBB2916_94:
	s_or_b64 exec, exec, s[0:1]
	v_cmp_lt_u32_e32 vcc, v28, v31
	s_and_saveexec_b64 s[0:1], vcc
	s_cbranch_execnz .LBB2916_112
.LBB2916_95:
	s_or_b64 exec, exec, s[0:1]
	v_cmp_lt_u32_e32 vcc, v21, v31
	s_and_saveexec_b64 s[0:1], vcc
	s_cbranch_execnz .LBB2916_113
.LBB2916_96:
	s_or_b64 exec, exec, s[0:1]
	v_cmp_lt_u32_e32 vcc, v17, v31
	s_and_saveexec_b64 s[0:1], vcc
	s_cbranch_execz .LBB2916_98
.LBB2916_97:
	v_lshlrev_b32_e32 v0, 3, v17
	v_readfirstlane_b32 s2, v24
	v_readfirstlane_b32 s3, v25
	s_waitcnt lgkmcnt(1)
	s_nop 3
	global_store_dwordx2 v0, v[4:5], s[2:3]
.LBB2916_98:
	s_or_b64 exec, exec, s[0:1]
	v_cmp_lt_u32_e64 s[0:1], v1, v31
.LBB2916_99:
	s_and_saveexec_b64 s[2:3], s[0:1]
	s_cbranch_execnz .LBB2916_102
; %bb.100:
	s_or_b64 exec, exec, s[2:3]
	s_and_b64 s[0:1], s[18:19], s[22:23]
	s_and_saveexec_b64 s[2:3], s[0:1]
	s_cbranch_execnz .LBB2916_103
.LBB2916_101:
	s_endpgm
.LBB2916_102:
	v_lshlrev_b32_e32 v0, 3, v1
	v_readfirstlane_b32 s0, v24
	v_readfirstlane_b32 s1, v25
	s_waitcnt lgkmcnt(0)
	s_nop 3
	global_store_dwordx2 v0, v[14:15], s[0:1]
	s_or_b64 exec, exec, s[2:3]
	s_and_b64 s[0:1], s[18:19], s[22:23]
	s_and_saveexec_b64 s[2:3], s[0:1]
	s_cbranch_execz .LBB2916_101
.LBB2916_103:
	v_mov_b32_e32 v17, 0
	v_lshl_add_u64 v[0:1], v[18:19], 0, v[16:17]
	v_mov_b32_e32 v23, v17
	v_lshl_add_u64 v[0:1], v[0:1], 0, v[22:23]
	global_store_dwordx2 v17, v[0:1], s[20:21]
	s_endpgm
.LBB2916_104:
	v_readfirstlane_b32 s2, v24
	v_readfirstlane_b32 s3, v25
	s_waitcnt lgkmcnt(3)
	s_nop 3
	global_store_dwordx2 v20, v[10:11], s[2:3]
	s_or_b64 exec, exec, s[0:1]
	v_cmp_lt_u32_e32 vcc, v30, v16
	s_and_saveexec_b64 s[0:1], vcc
	s_cbranch_execz .LBB2916_84
.LBB2916_105:
	v_lshlrev_b32_e32 v23, 3, v30
	v_readfirstlane_b32 s2, v24
	v_readfirstlane_b32 s3, v25
	s_waitcnt lgkmcnt(3)
	s_nop 3
	global_store_dwordx2 v23, v[12:13], s[2:3]
	s_or_b64 exec, exec, s[0:1]
	v_cmp_lt_u32_e32 vcc, v29, v16
	s_and_saveexec_b64 s[0:1], vcc
	s_cbranch_execz .LBB2916_85
.LBB2916_106:
	v_lshlrev_b32_e32 v23, 3, v29
	v_readfirstlane_b32 s2, v24
	v_readfirstlane_b32 s3, v25
	s_waitcnt lgkmcnt(2)
	s_nop 3
	global_store_dwordx2 v23, v[6:7], s[2:3]
	s_or_b64 exec, exec, s[0:1]
	v_cmp_lt_u32_e32 vcc, v28, v16
	s_and_saveexec_b64 s[0:1], vcc
	s_cbranch_execz .LBB2916_86
.LBB2916_107:
	v_lshlrev_b32_e32 v23, 3, v28
	v_readfirstlane_b32 s2, v24
	v_readfirstlane_b32 s3, v25
	s_waitcnt lgkmcnt(2)
	s_nop 3
	global_store_dwordx2 v23, v[8:9], s[2:3]
	s_or_b64 exec, exec, s[0:1]
	v_cmp_lt_u32_e32 vcc, v21, v16
	s_and_saveexec_b64 s[0:1], vcc
	s_cbranch_execz .LBB2916_87
.LBB2916_108:
	v_lshlrev_b32_e32 v23, 3, v21
	v_readfirstlane_b32 s2, v24
	v_readfirstlane_b32 s3, v25
	s_waitcnt lgkmcnt(1)
	s_nop 3
	global_store_dwordx2 v23, v[2:3], s[2:3]
	s_or_b64 exec, exec, s[0:1]
	v_cmp_lt_u32_e32 vcc, v17, v16
	s_and_saveexec_b64 s[0:1], vcc
	s_cbranch_execnz .LBB2916_88
	s_branch .LBB2916_89
.LBB2916_109:
	v_readfirstlane_b32 s2, v24
	v_readfirstlane_b32 s3, v25
	s_waitcnt lgkmcnt(3)
	s_nop 3
	global_store_dwordx2 v20, v[10:11], s[2:3]
	s_or_b64 exec, exec, s[0:1]
	v_cmp_lt_u32_e32 vcc, v30, v31
	s_and_saveexec_b64 s[0:1], vcc
	s_cbranch_execz .LBB2916_93
.LBB2916_110:
	v_lshlrev_b32_e32 v0, 3, v30
	v_readfirstlane_b32 s2, v24
	v_readfirstlane_b32 s3, v25
	s_waitcnt lgkmcnt(3)
	s_nop 3
	global_store_dwordx2 v0, v[12:13], s[2:3]
	s_or_b64 exec, exec, s[0:1]
	v_cmp_lt_u32_e32 vcc, v29, v31
	s_and_saveexec_b64 s[0:1], vcc
	s_cbranch_execz .LBB2916_94
.LBB2916_111:
	v_lshlrev_b32_e32 v0, 3, v29
	v_readfirstlane_b32 s2, v24
	v_readfirstlane_b32 s3, v25
	s_waitcnt lgkmcnt(2)
	s_nop 3
	global_store_dwordx2 v0, v[6:7], s[2:3]
	s_or_b64 exec, exec, s[0:1]
	v_cmp_lt_u32_e32 vcc, v28, v31
	s_and_saveexec_b64 s[0:1], vcc
	s_cbranch_execz .LBB2916_95
.LBB2916_112:
	v_lshlrev_b32_e32 v0, 3, v28
	v_readfirstlane_b32 s2, v24
	v_readfirstlane_b32 s3, v25
	s_waitcnt lgkmcnt(2)
	s_nop 3
	global_store_dwordx2 v0, v[8:9], s[2:3]
	s_or_b64 exec, exec, s[0:1]
	v_cmp_lt_u32_e32 vcc, v21, v31
	s_and_saveexec_b64 s[0:1], vcc
	s_cbranch_execz .LBB2916_96
.LBB2916_113:
	v_lshlrev_b32_e32 v0, 3, v21
	v_readfirstlane_b32 s2, v24
	v_readfirstlane_b32 s3, v25
	s_waitcnt lgkmcnt(1)
	s_nop 3
	global_store_dwordx2 v0, v[2:3], s[2:3]
	s_or_b64 exec, exec, s[0:1]
	v_cmp_lt_u32_e32 vcc, v17, v31
	s_and_saveexec_b64 s[0:1], vcc
	s_cbranch_execnz .LBB2916_97
	s_branch .LBB2916_98
	.section	.rodata,"a",@progbits
	.p2align	6, 0x0
	.amdhsa_kernel _ZN7rocprim17ROCPRIM_400000_NS6detail17trampoline_kernelINS0_14default_configENS1_25partition_config_selectorILNS1_17partition_subalgoE1EyNS0_10empty_typeEbEEZZNS1_14partition_implILS5_1ELb0ES3_jN6thrust23THRUST_200600_302600_NS6detail15normal_iteratorINSA_10device_ptrIyEEEEPS6_NSA_18transform_iteratorI7is_evenIyESF_NSA_11use_defaultESK_EENS0_5tupleIJSF_NSA_16discard_iteratorISK_EEEEENSM_IJSG_SG_EEES6_PlJS6_EEE10hipError_tPvRmT3_T4_T5_T6_T7_T9_mT8_P12ihipStream_tbDpT10_ENKUlT_T0_E_clISt17integral_constantIbLb1EES1B_EEDaS16_S17_EUlS16_E_NS1_11comp_targetILNS1_3genE5ELNS1_11target_archE942ELNS1_3gpuE9ELNS1_3repE0EEENS1_30default_config_static_selectorELNS0_4arch9wavefront6targetE1EEEvT1_
		.amdhsa_group_segment_fixed_size 28680
		.amdhsa_private_segment_fixed_size 0
		.amdhsa_kernarg_size 152
		.amdhsa_user_sgpr_count 2
		.amdhsa_user_sgpr_dispatch_ptr 0
		.amdhsa_user_sgpr_queue_ptr 0
		.amdhsa_user_sgpr_kernarg_segment_ptr 1
		.amdhsa_user_sgpr_dispatch_id 0
		.amdhsa_user_sgpr_kernarg_preload_length 0
		.amdhsa_user_sgpr_kernarg_preload_offset 0
		.amdhsa_user_sgpr_private_segment_size 0
		.amdhsa_uses_dynamic_stack 0
		.amdhsa_enable_private_segment 0
		.amdhsa_system_sgpr_workgroup_id_x 1
		.amdhsa_system_sgpr_workgroup_id_y 0
		.amdhsa_system_sgpr_workgroup_id_z 0
		.amdhsa_system_sgpr_workgroup_info 0
		.amdhsa_system_vgpr_workitem_id 0
		.amdhsa_next_free_vgpr 56
		.amdhsa_next_free_sgpr 40
		.amdhsa_accum_offset 56
		.amdhsa_reserve_vcc 1
		.amdhsa_float_round_mode_32 0
		.amdhsa_float_round_mode_16_64 0
		.amdhsa_float_denorm_mode_32 3
		.amdhsa_float_denorm_mode_16_64 3
		.amdhsa_dx10_clamp 1
		.amdhsa_ieee_mode 1
		.amdhsa_fp16_overflow 0
		.amdhsa_tg_split 0
		.amdhsa_exception_fp_ieee_invalid_op 0
		.amdhsa_exception_fp_denorm_src 0
		.amdhsa_exception_fp_ieee_div_zero 0
		.amdhsa_exception_fp_ieee_overflow 0
		.amdhsa_exception_fp_ieee_underflow 0
		.amdhsa_exception_fp_ieee_inexact 0
		.amdhsa_exception_int_div_zero 0
	.end_amdhsa_kernel
	.section	.text._ZN7rocprim17ROCPRIM_400000_NS6detail17trampoline_kernelINS0_14default_configENS1_25partition_config_selectorILNS1_17partition_subalgoE1EyNS0_10empty_typeEbEEZZNS1_14partition_implILS5_1ELb0ES3_jN6thrust23THRUST_200600_302600_NS6detail15normal_iteratorINSA_10device_ptrIyEEEEPS6_NSA_18transform_iteratorI7is_evenIyESF_NSA_11use_defaultESK_EENS0_5tupleIJSF_NSA_16discard_iteratorISK_EEEEENSM_IJSG_SG_EEES6_PlJS6_EEE10hipError_tPvRmT3_T4_T5_T6_T7_T9_mT8_P12ihipStream_tbDpT10_ENKUlT_T0_E_clISt17integral_constantIbLb1EES1B_EEDaS16_S17_EUlS16_E_NS1_11comp_targetILNS1_3genE5ELNS1_11target_archE942ELNS1_3gpuE9ELNS1_3repE0EEENS1_30default_config_static_selectorELNS0_4arch9wavefront6targetE1EEEvT1_,"axG",@progbits,_ZN7rocprim17ROCPRIM_400000_NS6detail17trampoline_kernelINS0_14default_configENS1_25partition_config_selectorILNS1_17partition_subalgoE1EyNS0_10empty_typeEbEEZZNS1_14partition_implILS5_1ELb0ES3_jN6thrust23THRUST_200600_302600_NS6detail15normal_iteratorINSA_10device_ptrIyEEEEPS6_NSA_18transform_iteratorI7is_evenIyESF_NSA_11use_defaultESK_EENS0_5tupleIJSF_NSA_16discard_iteratorISK_EEEEENSM_IJSG_SG_EEES6_PlJS6_EEE10hipError_tPvRmT3_T4_T5_T6_T7_T9_mT8_P12ihipStream_tbDpT10_ENKUlT_T0_E_clISt17integral_constantIbLb1EES1B_EEDaS16_S17_EUlS16_E_NS1_11comp_targetILNS1_3genE5ELNS1_11target_archE942ELNS1_3gpuE9ELNS1_3repE0EEENS1_30default_config_static_selectorELNS0_4arch9wavefront6targetE1EEEvT1_,comdat
.Lfunc_end2916:
	.size	_ZN7rocprim17ROCPRIM_400000_NS6detail17trampoline_kernelINS0_14default_configENS1_25partition_config_selectorILNS1_17partition_subalgoE1EyNS0_10empty_typeEbEEZZNS1_14partition_implILS5_1ELb0ES3_jN6thrust23THRUST_200600_302600_NS6detail15normal_iteratorINSA_10device_ptrIyEEEEPS6_NSA_18transform_iteratorI7is_evenIyESF_NSA_11use_defaultESK_EENS0_5tupleIJSF_NSA_16discard_iteratorISK_EEEEENSM_IJSG_SG_EEES6_PlJS6_EEE10hipError_tPvRmT3_T4_T5_T6_T7_T9_mT8_P12ihipStream_tbDpT10_ENKUlT_T0_E_clISt17integral_constantIbLb1EES1B_EEDaS16_S17_EUlS16_E_NS1_11comp_targetILNS1_3genE5ELNS1_11target_archE942ELNS1_3gpuE9ELNS1_3repE0EEENS1_30default_config_static_selectorELNS0_4arch9wavefront6targetE1EEEvT1_, .Lfunc_end2916-_ZN7rocprim17ROCPRIM_400000_NS6detail17trampoline_kernelINS0_14default_configENS1_25partition_config_selectorILNS1_17partition_subalgoE1EyNS0_10empty_typeEbEEZZNS1_14partition_implILS5_1ELb0ES3_jN6thrust23THRUST_200600_302600_NS6detail15normal_iteratorINSA_10device_ptrIyEEEEPS6_NSA_18transform_iteratorI7is_evenIyESF_NSA_11use_defaultESK_EENS0_5tupleIJSF_NSA_16discard_iteratorISK_EEEEENSM_IJSG_SG_EEES6_PlJS6_EEE10hipError_tPvRmT3_T4_T5_T6_T7_T9_mT8_P12ihipStream_tbDpT10_ENKUlT_T0_E_clISt17integral_constantIbLb1EES1B_EEDaS16_S17_EUlS16_E_NS1_11comp_targetILNS1_3genE5ELNS1_11target_archE942ELNS1_3gpuE9ELNS1_3repE0EEENS1_30default_config_static_selectorELNS0_4arch9wavefront6targetE1EEEvT1_
                                        ; -- End function
	.section	.AMDGPU.csdata,"",@progbits
; Kernel info:
; codeLenInByte = 5220
; NumSgprs: 46
; NumVgprs: 56
; NumAgprs: 0
; TotalNumVgprs: 56
; ScratchSize: 0
; MemoryBound: 0
; FloatMode: 240
; IeeeMode: 1
; LDSByteSize: 28680 bytes/workgroup (compile time only)
; SGPRBlocks: 5
; VGPRBlocks: 6
; NumSGPRsForWavesPerEU: 46
; NumVGPRsForWavesPerEU: 56
; AccumOffset: 56
; Occupancy: 4
; WaveLimiterHint : 1
; COMPUTE_PGM_RSRC2:SCRATCH_EN: 0
; COMPUTE_PGM_RSRC2:USER_SGPR: 2
; COMPUTE_PGM_RSRC2:TRAP_HANDLER: 0
; COMPUTE_PGM_RSRC2:TGID_X_EN: 1
; COMPUTE_PGM_RSRC2:TGID_Y_EN: 0
; COMPUTE_PGM_RSRC2:TGID_Z_EN: 0
; COMPUTE_PGM_RSRC2:TIDIG_COMP_CNT: 0
; COMPUTE_PGM_RSRC3_GFX90A:ACCUM_OFFSET: 13
; COMPUTE_PGM_RSRC3_GFX90A:TG_SPLIT: 0
	.section	.text._ZN7rocprim17ROCPRIM_400000_NS6detail17trampoline_kernelINS0_14default_configENS1_25partition_config_selectorILNS1_17partition_subalgoE1EyNS0_10empty_typeEbEEZZNS1_14partition_implILS5_1ELb0ES3_jN6thrust23THRUST_200600_302600_NS6detail15normal_iteratorINSA_10device_ptrIyEEEEPS6_NSA_18transform_iteratorI7is_evenIyESF_NSA_11use_defaultESK_EENS0_5tupleIJSF_NSA_16discard_iteratorISK_EEEEENSM_IJSG_SG_EEES6_PlJS6_EEE10hipError_tPvRmT3_T4_T5_T6_T7_T9_mT8_P12ihipStream_tbDpT10_ENKUlT_T0_E_clISt17integral_constantIbLb1EES1B_EEDaS16_S17_EUlS16_E_NS1_11comp_targetILNS1_3genE4ELNS1_11target_archE910ELNS1_3gpuE8ELNS1_3repE0EEENS1_30default_config_static_selectorELNS0_4arch9wavefront6targetE1EEEvT1_,"axG",@progbits,_ZN7rocprim17ROCPRIM_400000_NS6detail17trampoline_kernelINS0_14default_configENS1_25partition_config_selectorILNS1_17partition_subalgoE1EyNS0_10empty_typeEbEEZZNS1_14partition_implILS5_1ELb0ES3_jN6thrust23THRUST_200600_302600_NS6detail15normal_iteratorINSA_10device_ptrIyEEEEPS6_NSA_18transform_iteratorI7is_evenIyESF_NSA_11use_defaultESK_EENS0_5tupleIJSF_NSA_16discard_iteratorISK_EEEEENSM_IJSG_SG_EEES6_PlJS6_EEE10hipError_tPvRmT3_T4_T5_T6_T7_T9_mT8_P12ihipStream_tbDpT10_ENKUlT_T0_E_clISt17integral_constantIbLb1EES1B_EEDaS16_S17_EUlS16_E_NS1_11comp_targetILNS1_3genE4ELNS1_11target_archE910ELNS1_3gpuE8ELNS1_3repE0EEENS1_30default_config_static_selectorELNS0_4arch9wavefront6targetE1EEEvT1_,comdat
	.protected	_ZN7rocprim17ROCPRIM_400000_NS6detail17trampoline_kernelINS0_14default_configENS1_25partition_config_selectorILNS1_17partition_subalgoE1EyNS0_10empty_typeEbEEZZNS1_14partition_implILS5_1ELb0ES3_jN6thrust23THRUST_200600_302600_NS6detail15normal_iteratorINSA_10device_ptrIyEEEEPS6_NSA_18transform_iteratorI7is_evenIyESF_NSA_11use_defaultESK_EENS0_5tupleIJSF_NSA_16discard_iteratorISK_EEEEENSM_IJSG_SG_EEES6_PlJS6_EEE10hipError_tPvRmT3_T4_T5_T6_T7_T9_mT8_P12ihipStream_tbDpT10_ENKUlT_T0_E_clISt17integral_constantIbLb1EES1B_EEDaS16_S17_EUlS16_E_NS1_11comp_targetILNS1_3genE4ELNS1_11target_archE910ELNS1_3gpuE8ELNS1_3repE0EEENS1_30default_config_static_selectorELNS0_4arch9wavefront6targetE1EEEvT1_ ; -- Begin function _ZN7rocprim17ROCPRIM_400000_NS6detail17trampoline_kernelINS0_14default_configENS1_25partition_config_selectorILNS1_17partition_subalgoE1EyNS0_10empty_typeEbEEZZNS1_14partition_implILS5_1ELb0ES3_jN6thrust23THRUST_200600_302600_NS6detail15normal_iteratorINSA_10device_ptrIyEEEEPS6_NSA_18transform_iteratorI7is_evenIyESF_NSA_11use_defaultESK_EENS0_5tupleIJSF_NSA_16discard_iteratorISK_EEEEENSM_IJSG_SG_EEES6_PlJS6_EEE10hipError_tPvRmT3_T4_T5_T6_T7_T9_mT8_P12ihipStream_tbDpT10_ENKUlT_T0_E_clISt17integral_constantIbLb1EES1B_EEDaS16_S17_EUlS16_E_NS1_11comp_targetILNS1_3genE4ELNS1_11target_archE910ELNS1_3gpuE8ELNS1_3repE0EEENS1_30default_config_static_selectorELNS0_4arch9wavefront6targetE1EEEvT1_
	.globl	_ZN7rocprim17ROCPRIM_400000_NS6detail17trampoline_kernelINS0_14default_configENS1_25partition_config_selectorILNS1_17partition_subalgoE1EyNS0_10empty_typeEbEEZZNS1_14partition_implILS5_1ELb0ES3_jN6thrust23THRUST_200600_302600_NS6detail15normal_iteratorINSA_10device_ptrIyEEEEPS6_NSA_18transform_iteratorI7is_evenIyESF_NSA_11use_defaultESK_EENS0_5tupleIJSF_NSA_16discard_iteratorISK_EEEEENSM_IJSG_SG_EEES6_PlJS6_EEE10hipError_tPvRmT3_T4_T5_T6_T7_T9_mT8_P12ihipStream_tbDpT10_ENKUlT_T0_E_clISt17integral_constantIbLb1EES1B_EEDaS16_S17_EUlS16_E_NS1_11comp_targetILNS1_3genE4ELNS1_11target_archE910ELNS1_3gpuE8ELNS1_3repE0EEENS1_30default_config_static_selectorELNS0_4arch9wavefront6targetE1EEEvT1_
	.p2align	8
	.type	_ZN7rocprim17ROCPRIM_400000_NS6detail17trampoline_kernelINS0_14default_configENS1_25partition_config_selectorILNS1_17partition_subalgoE1EyNS0_10empty_typeEbEEZZNS1_14partition_implILS5_1ELb0ES3_jN6thrust23THRUST_200600_302600_NS6detail15normal_iteratorINSA_10device_ptrIyEEEEPS6_NSA_18transform_iteratorI7is_evenIyESF_NSA_11use_defaultESK_EENS0_5tupleIJSF_NSA_16discard_iteratorISK_EEEEENSM_IJSG_SG_EEES6_PlJS6_EEE10hipError_tPvRmT3_T4_T5_T6_T7_T9_mT8_P12ihipStream_tbDpT10_ENKUlT_T0_E_clISt17integral_constantIbLb1EES1B_EEDaS16_S17_EUlS16_E_NS1_11comp_targetILNS1_3genE4ELNS1_11target_archE910ELNS1_3gpuE8ELNS1_3repE0EEENS1_30default_config_static_selectorELNS0_4arch9wavefront6targetE1EEEvT1_,@function
_ZN7rocprim17ROCPRIM_400000_NS6detail17trampoline_kernelINS0_14default_configENS1_25partition_config_selectorILNS1_17partition_subalgoE1EyNS0_10empty_typeEbEEZZNS1_14partition_implILS5_1ELb0ES3_jN6thrust23THRUST_200600_302600_NS6detail15normal_iteratorINSA_10device_ptrIyEEEEPS6_NSA_18transform_iteratorI7is_evenIyESF_NSA_11use_defaultESK_EENS0_5tupleIJSF_NSA_16discard_iteratorISK_EEEEENSM_IJSG_SG_EEES6_PlJS6_EEE10hipError_tPvRmT3_T4_T5_T6_T7_T9_mT8_P12ihipStream_tbDpT10_ENKUlT_T0_E_clISt17integral_constantIbLb1EES1B_EEDaS16_S17_EUlS16_E_NS1_11comp_targetILNS1_3genE4ELNS1_11target_archE910ELNS1_3gpuE8ELNS1_3repE0EEENS1_30default_config_static_selectorELNS0_4arch9wavefront6targetE1EEEvT1_: ; @_ZN7rocprim17ROCPRIM_400000_NS6detail17trampoline_kernelINS0_14default_configENS1_25partition_config_selectorILNS1_17partition_subalgoE1EyNS0_10empty_typeEbEEZZNS1_14partition_implILS5_1ELb0ES3_jN6thrust23THRUST_200600_302600_NS6detail15normal_iteratorINSA_10device_ptrIyEEEEPS6_NSA_18transform_iteratorI7is_evenIyESF_NSA_11use_defaultESK_EENS0_5tupleIJSF_NSA_16discard_iteratorISK_EEEEENSM_IJSG_SG_EEES6_PlJS6_EEE10hipError_tPvRmT3_T4_T5_T6_T7_T9_mT8_P12ihipStream_tbDpT10_ENKUlT_T0_E_clISt17integral_constantIbLb1EES1B_EEDaS16_S17_EUlS16_E_NS1_11comp_targetILNS1_3genE4ELNS1_11target_archE910ELNS1_3gpuE8ELNS1_3repE0EEENS1_30default_config_static_selectorELNS0_4arch9wavefront6targetE1EEEvT1_
; %bb.0:
	.section	.rodata,"a",@progbits
	.p2align	6, 0x0
	.amdhsa_kernel _ZN7rocprim17ROCPRIM_400000_NS6detail17trampoline_kernelINS0_14default_configENS1_25partition_config_selectorILNS1_17partition_subalgoE1EyNS0_10empty_typeEbEEZZNS1_14partition_implILS5_1ELb0ES3_jN6thrust23THRUST_200600_302600_NS6detail15normal_iteratorINSA_10device_ptrIyEEEEPS6_NSA_18transform_iteratorI7is_evenIyESF_NSA_11use_defaultESK_EENS0_5tupleIJSF_NSA_16discard_iteratorISK_EEEEENSM_IJSG_SG_EEES6_PlJS6_EEE10hipError_tPvRmT3_T4_T5_T6_T7_T9_mT8_P12ihipStream_tbDpT10_ENKUlT_T0_E_clISt17integral_constantIbLb1EES1B_EEDaS16_S17_EUlS16_E_NS1_11comp_targetILNS1_3genE4ELNS1_11target_archE910ELNS1_3gpuE8ELNS1_3repE0EEENS1_30default_config_static_selectorELNS0_4arch9wavefront6targetE1EEEvT1_
		.amdhsa_group_segment_fixed_size 0
		.amdhsa_private_segment_fixed_size 0
		.amdhsa_kernarg_size 152
		.amdhsa_user_sgpr_count 2
		.amdhsa_user_sgpr_dispatch_ptr 0
		.amdhsa_user_sgpr_queue_ptr 0
		.amdhsa_user_sgpr_kernarg_segment_ptr 1
		.amdhsa_user_sgpr_dispatch_id 0
		.amdhsa_user_sgpr_kernarg_preload_length 0
		.amdhsa_user_sgpr_kernarg_preload_offset 0
		.amdhsa_user_sgpr_private_segment_size 0
		.amdhsa_uses_dynamic_stack 0
		.amdhsa_enable_private_segment 0
		.amdhsa_system_sgpr_workgroup_id_x 1
		.amdhsa_system_sgpr_workgroup_id_y 0
		.amdhsa_system_sgpr_workgroup_id_z 0
		.amdhsa_system_sgpr_workgroup_info 0
		.amdhsa_system_vgpr_workitem_id 0
		.amdhsa_next_free_vgpr 1
		.amdhsa_next_free_sgpr 0
		.amdhsa_accum_offset 4
		.amdhsa_reserve_vcc 0
		.amdhsa_float_round_mode_32 0
		.amdhsa_float_round_mode_16_64 0
		.amdhsa_float_denorm_mode_32 3
		.amdhsa_float_denorm_mode_16_64 3
		.amdhsa_dx10_clamp 1
		.amdhsa_ieee_mode 1
		.amdhsa_fp16_overflow 0
		.amdhsa_tg_split 0
		.amdhsa_exception_fp_ieee_invalid_op 0
		.amdhsa_exception_fp_denorm_src 0
		.amdhsa_exception_fp_ieee_div_zero 0
		.amdhsa_exception_fp_ieee_overflow 0
		.amdhsa_exception_fp_ieee_underflow 0
		.amdhsa_exception_fp_ieee_inexact 0
		.amdhsa_exception_int_div_zero 0
	.end_amdhsa_kernel
	.section	.text._ZN7rocprim17ROCPRIM_400000_NS6detail17trampoline_kernelINS0_14default_configENS1_25partition_config_selectorILNS1_17partition_subalgoE1EyNS0_10empty_typeEbEEZZNS1_14partition_implILS5_1ELb0ES3_jN6thrust23THRUST_200600_302600_NS6detail15normal_iteratorINSA_10device_ptrIyEEEEPS6_NSA_18transform_iteratorI7is_evenIyESF_NSA_11use_defaultESK_EENS0_5tupleIJSF_NSA_16discard_iteratorISK_EEEEENSM_IJSG_SG_EEES6_PlJS6_EEE10hipError_tPvRmT3_T4_T5_T6_T7_T9_mT8_P12ihipStream_tbDpT10_ENKUlT_T0_E_clISt17integral_constantIbLb1EES1B_EEDaS16_S17_EUlS16_E_NS1_11comp_targetILNS1_3genE4ELNS1_11target_archE910ELNS1_3gpuE8ELNS1_3repE0EEENS1_30default_config_static_selectorELNS0_4arch9wavefront6targetE1EEEvT1_,"axG",@progbits,_ZN7rocprim17ROCPRIM_400000_NS6detail17trampoline_kernelINS0_14default_configENS1_25partition_config_selectorILNS1_17partition_subalgoE1EyNS0_10empty_typeEbEEZZNS1_14partition_implILS5_1ELb0ES3_jN6thrust23THRUST_200600_302600_NS6detail15normal_iteratorINSA_10device_ptrIyEEEEPS6_NSA_18transform_iteratorI7is_evenIyESF_NSA_11use_defaultESK_EENS0_5tupleIJSF_NSA_16discard_iteratorISK_EEEEENSM_IJSG_SG_EEES6_PlJS6_EEE10hipError_tPvRmT3_T4_T5_T6_T7_T9_mT8_P12ihipStream_tbDpT10_ENKUlT_T0_E_clISt17integral_constantIbLb1EES1B_EEDaS16_S17_EUlS16_E_NS1_11comp_targetILNS1_3genE4ELNS1_11target_archE910ELNS1_3gpuE8ELNS1_3repE0EEENS1_30default_config_static_selectorELNS0_4arch9wavefront6targetE1EEEvT1_,comdat
.Lfunc_end2917:
	.size	_ZN7rocprim17ROCPRIM_400000_NS6detail17trampoline_kernelINS0_14default_configENS1_25partition_config_selectorILNS1_17partition_subalgoE1EyNS0_10empty_typeEbEEZZNS1_14partition_implILS5_1ELb0ES3_jN6thrust23THRUST_200600_302600_NS6detail15normal_iteratorINSA_10device_ptrIyEEEEPS6_NSA_18transform_iteratorI7is_evenIyESF_NSA_11use_defaultESK_EENS0_5tupleIJSF_NSA_16discard_iteratorISK_EEEEENSM_IJSG_SG_EEES6_PlJS6_EEE10hipError_tPvRmT3_T4_T5_T6_T7_T9_mT8_P12ihipStream_tbDpT10_ENKUlT_T0_E_clISt17integral_constantIbLb1EES1B_EEDaS16_S17_EUlS16_E_NS1_11comp_targetILNS1_3genE4ELNS1_11target_archE910ELNS1_3gpuE8ELNS1_3repE0EEENS1_30default_config_static_selectorELNS0_4arch9wavefront6targetE1EEEvT1_, .Lfunc_end2917-_ZN7rocprim17ROCPRIM_400000_NS6detail17trampoline_kernelINS0_14default_configENS1_25partition_config_selectorILNS1_17partition_subalgoE1EyNS0_10empty_typeEbEEZZNS1_14partition_implILS5_1ELb0ES3_jN6thrust23THRUST_200600_302600_NS6detail15normal_iteratorINSA_10device_ptrIyEEEEPS6_NSA_18transform_iteratorI7is_evenIyESF_NSA_11use_defaultESK_EENS0_5tupleIJSF_NSA_16discard_iteratorISK_EEEEENSM_IJSG_SG_EEES6_PlJS6_EEE10hipError_tPvRmT3_T4_T5_T6_T7_T9_mT8_P12ihipStream_tbDpT10_ENKUlT_T0_E_clISt17integral_constantIbLb1EES1B_EEDaS16_S17_EUlS16_E_NS1_11comp_targetILNS1_3genE4ELNS1_11target_archE910ELNS1_3gpuE8ELNS1_3repE0EEENS1_30default_config_static_selectorELNS0_4arch9wavefront6targetE1EEEvT1_
                                        ; -- End function
	.section	.AMDGPU.csdata,"",@progbits
; Kernel info:
; codeLenInByte = 0
; NumSgprs: 6
; NumVgprs: 0
; NumAgprs: 0
; TotalNumVgprs: 0
; ScratchSize: 0
; MemoryBound: 0
; FloatMode: 240
; IeeeMode: 1
; LDSByteSize: 0 bytes/workgroup (compile time only)
; SGPRBlocks: 0
; VGPRBlocks: 0
; NumSGPRsForWavesPerEU: 6
; NumVGPRsForWavesPerEU: 1
; AccumOffset: 4
; Occupancy: 8
; WaveLimiterHint : 0
; COMPUTE_PGM_RSRC2:SCRATCH_EN: 0
; COMPUTE_PGM_RSRC2:USER_SGPR: 2
; COMPUTE_PGM_RSRC2:TRAP_HANDLER: 0
; COMPUTE_PGM_RSRC2:TGID_X_EN: 1
; COMPUTE_PGM_RSRC2:TGID_Y_EN: 0
; COMPUTE_PGM_RSRC2:TGID_Z_EN: 0
; COMPUTE_PGM_RSRC2:TIDIG_COMP_CNT: 0
; COMPUTE_PGM_RSRC3_GFX90A:ACCUM_OFFSET: 0
; COMPUTE_PGM_RSRC3_GFX90A:TG_SPLIT: 0
	.section	.text._ZN7rocprim17ROCPRIM_400000_NS6detail17trampoline_kernelINS0_14default_configENS1_25partition_config_selectorILNS1_17partition_subalgoE1EyNS0_10empty_typeEbEEZZNS1_14partition_implILS5_1ELb0ES3_jN6thrust23THRUST_200600_302600_NS6detail15normal_iteratorINSA_10device_ptrIyEEEEPS6_NSA_18transform_iteratorI7is_evenIyESF_NSA_11use_defaultESK_EENS0_5tupleIJSF_NSA_16discard_iteratorISK_EEEEENSM_IJSG_SG_EEES6_PlJS6_EEE10hipError_tPvRmT3_T4_T5_T6_T7_T9_mT8_P12ihipStream_tbDpT10_ENKUlT_T0_E_clISt17integral_constantIbLb1EES1B_EEDaS16_S17_EUlS16_E_NS1_11comp_targetILNS1_3genE3ELNS1_11target_archE908ELNS1_3gpuE7ELNS1_3repE0EEENS1_30default_config_static_selectorELNS0_4arch9wavefront6targetE1EEEvT1_,"axG",@progbits,_ZN7rocprim17ROCPRIM_400000_NS6detail17trampoline_kernelINS0_14default_configENS1_25partition_config_selectorILNS1_17partition_subalgoE1EyNS0_10empty_typeEbEEZZNS1_14partition_implILS5_1ELb0ES3_jN6thrust23THRUST_200600_302600_NS6detail15normal_iteratorINSA_10device_ptrIyEEEEPS6_NSA_18transform_iteratorI7is_evenIyESF_NSA_11use_defaultESK_EENS0_5tupleIJSF_NSA_16discard_iteratorISK_EEEEENSM_IJSG_SG_EEES6_PlJS6_EEE10hipError_tPvRmT3_T4_T5_T6_T7_T9_mT8_P12ihipStream_tbDpT10_ENKUlT_T0_E_clISt17integral_constantIbLb1EES1B_EEDaS16_S17_EUlS16_E_NS1_11comp_targetILNS1_3genE3ELNS1_11target_archE908ELNS1_3gpuE7ELNS1_3repE0EEENS1_30default_config_static_selectorELNS0_4arch9wavefront6targetE1EEEvT1_,comdat
	.protected	_ZN7rocprim17ROCPRIM_400000_NS6detail17trampoline_kernelINS0_14default_configENS1_25partition_config_selectorILNS1_17partition_subalgoE1EyNS0_10empty_typeEbEEZZNS1_14partition_implILS5_1ELb0ES3_jN6thrust23THRUST_200600_302600_NS6detail15normal_iteratorINSA_10device_ptrIyEEEEPS6_NSA_18transform_iteratorI7is_evenIyESF_NSA_11use_defaultESK_EENS0_5tupleIJSF_NSA_16discard_iteratorISK_EEEEENSM_IJSG_SG_EEES6_PlJS6_EEE10hipError_tPvRmT3_T4_T5_T6_T7_T9_mT8_P12ihipStream_tbDpT10_ENKUlT_T0_E_clISt17integral_constantIbLb1EES1B_EEDaS16_S17_EUlS16_E_NS1_11comp_targetILNS1_3genE3ELNS1_11target_archE908ELNS1_3gpuE7ELNS1_3repE0EEENS1_30default_config_static_selectorELNS0_4arch9wavefront6targetE1EEEvT1_ ; -- Begin function _ZN7rocprim17ROCPRIM_400000_NS6detail17trampoline_kernelINS0_14default_configENS1_25partition_config_selectorILNS1_17partition_subalgoE1EyNS0_10empty_typeEbEEZZNS1_14partition_implILS5_1ELb0ES3_jN6thrust23THRUST_200600_302600_NS6detail15normal_iteratorINSA_10device_ptrIyEEEEPS6_NSA_18transform_iteratorI7is_evenIyESF_NSA_11use_defaultESK_EENS0_5tupleIJSF_NSA_16discard_iteratorISK_EEEEENSM_IJSG_SG_EEES6_PlJS6_EEE10hipError_tPvRmT3_T4_T5_T6_T7_T9_mT8_P12ihipStream_tbDpT10_ENKUlT_T0_E_clISt17integral_constantIbLb1EES1B_EEDaS16_S17_EUlS16_E_NS1_11comp_targetILNS1_3genE3ELNS1_11target_archE908ELNS1_3gpuE7ELNS1_3repE0EEENS1_30default_config_static_selectorELNS0_4arch9wavefront6targetE1EEEvT1_
	.globl	_ZN7rocprim17ROCPRIM_400000_NS6detail17trampoline_kernelINS0_14default_configENS1_25partition_config_selectorILNS1_17partition_subalgoE1EyNS0_10empty_typeEbEEZZNS1_14partition_implILS5_1ELb0ES3_jN6thrust23THRUST_200600_302600_NS6detail15normal_iteratorINSA_10device_ptrIyEEEEPS6_NSA_18transform_iteratorI7is_evenIyESF_NSA_11use_defaultESK_EENS0_5tupleIJSF_NSA_16discard_iteratorISK_EEEEENSM_IJSG_SG_EEES6_PlJS6_EEE10hipError_tPvRmT3_T4_T5_T6_T7_T9_mT8_P12ihipStream_tbDpT10_ENKUlT_T0_E_clISt17integral_constantIbLb1EES1B_EEDaS16_S17_EUlS16_E_NS1_11comp_targetILNS1_3genE3ELNS1_11target_archE908ELNS1_3gpuE7ELNS1_3repE0EEENS1_30default_config_static_selectorELNS0_4arch9wavefront6targetE1EEEvT1_
	.p2align	8
	.type	_ZN7rocprim17ROCPRIM_400000_NS6detail17trampoline_kernelINS0_14default_configENS1_25partition_config_selectorILNS1_17partition_subalgoE1EyNS0_10empty_typeEbEEZZNS1_14partition_implILS5_1ELb0ES3_jN6thrust23THRUST_200600_302600_NS6detail15normal_iteratorINSA_10device_ptrIyEEEEPS6_NSA_18transform_iteratorI7is_evenIyESF_NSA_11use_defaultESK_EENS0_5tupleIJSF_NSA_16discard_iteratorISK_EEEEENSM_IJSG_SG_EEES6_PlJS6_EEE10hipError_tPvRmT3_T4_T5_T6_T7_T9_mT8_P12ihipStream_tbDpT10_ENKUlT_T0_E_clISt17integral_constantIbLb1EES1B_EEDaS16_S17_EUlS16_E_NS1_11comp_targetILNS1_3genE3ELNS1_11target_archE908ELNS1_3gpuE7ELNS1_3repE0EEENS1_30default_config_static_selectorELNS0_4arch9wavefront6targetE1EEEvT1_,@function
_ZN7rocprim17ROCPRIM_400000_NS6detail17trampoline_kernelINS0_14default_configENS1_25partition_config_selectorILNS1_17partition_subalgoE1EyNS0_10empty_typeEbEEZZNS1_14partition_implILS5_1ELb0ES3_jN6thrust23THRUST_200600_302600_NS6detail15normal_iteratorINSA_10device_ptrIyEEEEPS6_NSA_18transform_iteratorI7is_evenIyESF_NSA_11use_defaultESK_EENS0_5tupleIJSF_NSA_16discard_iteratorISK_EEEEENSM_IJSG_SG_EEES6_PlJS6_EEE10hipError_tPvRmT3_T4_T5_T6_T7_T9_mT8_P12ihipStream_tbDpT10_ENKUlT_T0_E_clISt17integral_constantIbLb1EES1B_EEDaS16_S17_EUlS16_E_NS1_11comp_targetILNS1_3genE3ELNS1_11target_archE908ELNS1_3gpuE7ELNS1_3repE0EEENS1_30default_config_static_selectorELNS0_4arch9wavefront6targetE1EEEvT1_: ; @_ZN7rocprim17ROCPRIM_400000_NS6detail17trampoline_kernelINS0_14default_configENS1_25partition_config_selectorILNS1_17partition_subalgoE1EyNS0_10empty_typeEbEEZZNS1_14partition_implILS5_1ELb0ES3_jN6thrust23THRUST_200600_302600_NS6detail15normal_iteratorINSA_10device_ptrIyEEEEPS6_NSA_18transform_iteratorI7is_evenIyESF_NSA_11use_defaultESK_EENS0_5tupleIJSF_NSA_16discard_iteratorISK_EEEEENSM_IJSG_SG_EEES6_PlJS6_EEE10hipError_tPvRmT3_T4_T5_T6_T7_T9_mT8_P12ihipStream_tbDpT10_ENKUlT_T0_E_clISt17integral_constantIbLb1EES1B_EEDaS16_S17_EUlS16_E_NS1_11comp_targetILNS1_3genE3ELNS1_11target_archE908ELNS1_3gpuE7ELNS1_3repE0EEENS1_30default_config_static_selectorELNS0_4arch9wavefront6targetE1EEEvT1_
; %bb.0:
	.section	.rodata,"a",@progbits
	.p2align	6, 0x0
	.amdhsa_kernel _ZN7rocprim17ROCPRIM_400000_NS6detail17trampoline_kernelINS0_14default_configENS1_25partition_config_selectorILNS1_17partition_subalgoE1EyNS0_10empty_typeEbEEZZNS1_14partition_implILS5_1ELb0ES3_jN6thrust23THRUST_200600_302600_NS6detail15normal_iteratorINSA_10device_ptrIyEEEEPS6_NSA_18transform_iteratorI7is_evenIyESF_NSA_11use_defaultESK_EENS0_5tupleIJSF_NSA_16discard_iteratorISK_EEEEENSM_IJSG_SG_EEES6_PlJS6_EEE10hipError_tPvRmT3_T4_T5_T6_T7_T9_mT8_P12ihipStream_tbDpT10_ENKUlT_T0_E_clISt17integral_constantIbLb1EES1B_EEDaS16_S17_EUlS16_E_NS1_11comp_targetILNS1_3genE3ELNS1_11target_archE908ELNS1_3gpuE7ELNS1_3repE0EEENS1_30default_config_static_selectorELNS0_4arch9wavefront6targetE1EEEvT1_
		.amdhsa_group_segment_fixed_size 0
		.amdhsa_private_segment_fixed_size 0
		.amdhsa_kernarg_size 152
		.amdhsa_user_sgpr_count 2
		.amdhsa_user_sgpr_dispatch_ptr 0
		.amdhsa_user_sgpr_queue_ptr 0
		.amdhsa_user_sgpr_kernarg_segment_ptr 1
		.amdhsa_user_sgpr_dispatch_id 0
		.amdhsa_user_sgpr_kernarg_preload_length 0
		.amdhsa_user_sgpr_kernarg_preload_offset 0
		.amdhsa_user_sgpr_private_segment_size 0
		.amdhsa_uses_dynamic_stack 0
		.amdhsa_enable_private_segment 0
		.amdhsa_system_sgpr_workgroup_id_x 1
		.amdhsa_system_sgpr_workgroup_id_y 0
		.amdhsa_system_sgpr_workgroup_id_z 0
		.amdhsa_system_sgpr_workgroup_info 0
		.amdhsa_system_vgpr_workitem_id 0
		.amdhsa_next_free_vgpr 1
		.amdhsa_next_free_sgpr 0
		.amdhsa_accum_offset 4
		.amdhsa_reserve_vcc 0
		.amdhsa_float_round_mode_32 0
		.amdhsa_float_round_mode_16_64 0
		.amdhsa_float_denorm_mode_32 3
		.amdhsa_float_denorm_mode_16_64 3
		.amdhsa_dx10_clamp 1
		.amdhsa_ieee_mode 1
		.amdhsa_fp16_overflow 0
		.amdhsa_tg_split 0
		.amdhsa_exception_fp_ieee_invalid_op 0
		.amdhsa_exception_fp_denorm_src 0
		.amdhsa_exception_fp_ieee_div_zero 0
		.amdhsa_exception_fp_ieee_overflow 0
		.amdhsa_exception_fp_ieee_underflow 0
		.amdhsa_exception_fp_ieee_inexact 0
		.amdhsa_exception_int_div_zero 0
	.end_amdhsa_kernel
	.section	.text._ZN7rocprim17ROCPRIM_400000_NS6detail17trampoline_kernelINS0_14default_configENS1_25partition_config_selectorILNS1_17partition_subalgoE1EyNS0_10empty_typeEbEEZZNS1_14partition_implILS5_1ELb0ES3_jN6thrust23THRUST_200600_302600_NS6detail15normal_iteratorINSA_10device_ptrIyEEEEPS6_NSA_18transform_iteratorI7is_evenIyESF_NSA_11use_defaultESK_EENS0_5tupleIJSF_NSA_16discard_iteratorISK_EEEEENSM_IJSG_SG_EEES6_PlJS6_EEE10hipError_tPvRmT3_T4_T5_T6_T7_T9_mT8_P12ihipStream_tbDpT10_ENKUlT_T0_E_clISt17integral_constantIbLb1EES1B_EEDaS16_S17_EUlS16_E_NS1_11comp_targetILNS1_3genE3ELNS1_11target_archE908ELNS1_3gpuE7ELNS1_3repE0EEENS1_30default_config_static_selectorELNS0_4arch9wavefront6targetE1EEEvT1_,"axG",@progbits,_ZN7rocprim17ROCPRIM_400000_NS6detail17trampoline_kernelINS0_14default_configENS1_25partition_config_selectorILNS1_17partition_subalgoE1EyNS0_10empty_typeEbEEZZNS1_14partition_implILS5_1ELb0ES3_jN6thrust23THRUST_200600_302600_NS6detail15normal_iteratorINSA_10device_ptrIyEEEEPS6_NSA_18transform_iteratorI7is_evenIyESF_NSA_11use_defaultESK_EENS0_5tupleIJSF_NSA_16discard_iteratorISK_EEEEENSM_IJSG_SG_EEES6_PlJS6_EEE10hipError_tPvRmT3_T4_T5_T6_T7_T9_mT8_P12ihipStream_tbDpT10_ENKUlT_T0_E_clISt17integral_constantIbLb1EES1B_EEDaS16_S17_EUlS16_E_NS1_11comp_targetILNS1_3genE3ELNS1_11target_archE908ELNS1_3gpuE7ELNS1_3repE0EEENS1_30default_config_static_selectorELNS0_4arch9wavefront6targetE1EEEvT1_,comdat
.Lfunc_end2918:
	.size	_ZN7rocprim17ROCPRIM_400000_NS6detail17trampoline_kernelINS0_14default_configENS1_25partition_config_selectorILNS1_17partition_subalgoE1EyNS0_10empty_typeEbEEZZNS1_14partition_implILS5_1ELb0ES3_jN6thrust23THRUST_200600_302600_NS6detail15normal_iteratorINSA_10device_ptrIyEEEEPS6_NSA_18transform_iteratorI7is_evenIyESF_NSA_11use_defaultESK_EENS0_5tupleIJSF_NSA_16discard_iteratorISK_EEEEENSM_IJSG_SG_EEES6_PlJS6_EEE10hipError_tPvRmT3_T4_T5_T6_T7_T9_mT8_P12ihipStream_tbDpT10_ENKUlT_T0_E_clISt17integral_constantIbLb1EES1B_EEDaS16_S17_EUlS16_E_NS1_11comp_targetILNS1_3genE3ELNS1_11target_archE908ELNS1_3gpuE7ELNS1_3repE0EEENS1_30default_config_static_selectorELNS0_4arch9wavefront6targetE1EEEvT1_, .Lfunc_end2918-_ZN7rocprim17ROCPRIM_400000_NS6detail17trampoline_kernelINS0_14default_configENS1_25partition_config_selectorILNS1_17partition_subalgoE1EyNS0_10empty_typeEbEEZZNS1_14partition_implILS5_1ELb0ES3_jN6thrust23THRUST_200600_302600_NS6detail15normal_iteratorINSA_10device_ptrIyEEEEPS6_NSA_18transform_iteratorI7is_evenIyESF_NSA_11use_defaultESK_EENS0_5tupleIJSF_NSA_16discard_iteratorISK_EEEEENSM_IJSG_SG_EEES6_PlJS6_EEE10hipError_tPvRmT3_T4_T5_T6_T7_T9_mT8_P12ihipStream_tbDpT10_ENKUlT_T0_E_clISt17integral_constantIbLb1EES1B_EEDaS16_S17_EUlS16_E_NS1_11comp_targetILNS1_3genE3ELNS1_11target_archE908ELNS1_3gpuE7ELNS1_3repE0EEENS1_30default_config_static_selectorELNS0_4arch9wavefront6targetE1EEEvT1_
                                        ; -- End function
	.section	.AMDGPU.csdata,"",@progbits
; Kernel info:
; codeLenInByte = 0
; NumSgprs: 6
; NumVgprs: 0
; NumAgprs: 0
; TotalNumVgprs: 0
; ScratchSize: 0
; MemoryBound: 0
; FloatMode: 240
; IeeeMode: 1
; LDSByteSize: 0 bytes/workgroup (compile time only)
; SGPRBlocks: 0
; VGPRBlocks: 0
; NumSGPRsForWavesPerEU: 6
; NumVGPRsForWavesPerEU: 1
; AccumOffset: 4
; Occupancy: 8
; WaveLimiterHint : 0
; COMPUTE_PGM_RSRC2:SCRATCH_EN: 0
; COMPUTE_PGM_RSRC2:USER_SGPR: 2
; COMPUTE_PGM_RSRC2:TRAP_HANDLER: 0
; COMPUTE_PGM_RSRC2:TGID_X_EN: 1
; COMPUTE_PGM_RSRC2:TGID_Y_EN: 0
; COMPUTE_PGM_RSRC2:TGID_Z_EN: 0
; COMPUTE_PGM_RSRC2:TIDIG_COMP_CNT: 0
; COMPUTE_PGM_RSRC3_GFX90A:ACCUM_OFFSET: 0
; COMPUTE_PGM_RSRC3_GFX90A:TG_SPLIT: 0
	.section	.text._ZN7rocprim17ROCPRIM_400000_NS6detail17trampoline_kernelINS0_14default_configENS1_25partition_config_selectorILNS1_17partition_subalgoE1EyNS0_10empty_typeEbEEZZNS1_14partition_implILS5_1ELb0ES3_jN6thrust23THRUST_200600_302600_NS6detail15normal_iteratorINSA_10device_ptrIyEEEEPS6_NSA_18transform_iteratorI7is_evenIyESF_NSA_11use_defaultESK_EENS0_5tupleIJSF_NSA_16discard_iteratorISK_EEEEENSM_IJSG_SG_EEES6_PlJS6_EEE10hipError_tPvRmT3_T4_T5_T6_T7_T9_mT8_P12ihipStream_tbDpT10_ENKUlT_T0_E_clISt17integral_constantIbLb1EES1B_EEDaS16_S17_EUlS16_E_NS1_11comp_targetILNS1_3genE2ELNS1_11target_archE906ELNS1_3gpuE6ELNS1_3repE0EEENS1_30default_config_static_selectorELNS0_4arch9wavefront6targetE1EEEvT1_,"axG",@progbits,_ZN7rocprim17ROCPRIM_400000_NS6detail17trampoline_kernelINS0_14default_configENS1_25partition_config_selectorILNS1_17partition_subalgoE1EyNS0_10empty_typeEbEEZZNS1_14partition_implILS5_1ELb0ES3_jN6thrust23THRUST_200600_302600_NS6detail15normal_iteratorINSA_10device_ptrIyEEEEPS6_NSA_18transform_iteratorI7is_evenIyESF_NSA_11use_defaultESK_EENS0_5tupleIJSF_NSA_16discard_iteratorISK_EEEEENSM_IJSG_SG_EEES6_PlJS6_EEE10hipError_tPvRmT3_T4_T5_T6_T7_T9_mT8_P12ihipStream_tbDpT10_ENKUlT_T0_E_clISt17integral_constantIbLb1EES1B_EEDaS16_S17_EUlS16_E_NS1_11comp_targetILNS1_3genE2ELNS1_11target_archE906ELNS1_3gpuE6ELNS1_3repE0EEENS1_30default_config_static_selectorELNS0_4arch9wavefront6targetE1EEEvT1_,comdat
	.protected	_ZN7rocprim17ROCPRIM_400000_NS6detail17trampoline_kernelINS0_14default_configENS1_25partition_config_selectorILNS1_17partition_subalgoE1EyNS0_10empty_typeEbEEZZNS1_14partition_implILS5_1ELb0ES3_jN6thrust23THRUST_200600_302600_NS6detail15normal_iteratorINSA_10device_ptrIyEEEEPS6_NSA_18transform_iteratorI7is_evenIyESF_NSA_11use_defaultESK_EENS0_5tupleIJSF_NSA_16discard_iteratorISK_EEEEENSM_IJSG_SG_EEES6_PlJS6_EEE10hipError_tPvRmT3_T4_T5_T6_T7_T9_mT8_P12ihipStream_tbDpT10_ENKUlT_T0_E_clISt17integral_constantIbLb1EES1B_EEDaS16_S17_EUlS16_E_NS1_11comp_targetILNS1_3genE2ELNS1_11target_archE906ELNS1_3gpuE6ELNS1_3repE0EEENS1_30default_config_static_selectorELNS0_4arch9wavefront6targetE1EEEvT1_ ; -- Begin function _ZN7rocprim17ROCPRIM_400000_NS6detail17trampoline_kernelINS0_14default_configENS1_25partition_config_selectorILNS1_17partition_subalgoE1EyNS0_10empty_typeEbEEZZNS1_14partition_implILS5_1ELb0ES3_jN6thrust23THRUST_200600_302600_NS6detail15normal_iteratorINSA_10device_ptrIyEEEEPS6_NSA_18transform_iteratorI7is_evenIyESF_NSA_11use_defaultESK_EENS0_5tupleIJSF_NSA_16discard_iteratorISK_EEEEENSM_IJSG_SG_EEES6_PlJS6_EEE10hipError_tPvRmT3_T4_T5_T6_T7_T9_mT8_P12ihipStream_tbDpT10_ENKUlT_T0_E_clISt17integral_constantIbLb1EES1B_EEDaS16_S17_EUlS16_E_NS1_11comp_targetILNS1_3genE2ELNS1_11target_archE906ELNS1_3gpuE6ELNS1_3repE0EEENS1_30default_config_static_selectorELNS0_4arch9wavefront6targetE1EEEvT1_
	.globl	_ZN7rocprim17ROCPRIM_400000_NS6detail17trampoline_kernelINS0_14default_configENS1_25partition_config_selectorILNS1_17partition_subalgoE1EyNS0_10empty_typeEbEEZZNS1_14partition_implILS5_1ELb0ES3_jN6thrust23THRUST_200600_302600_NS6detail15normal_iteratorINSA_10device_ptrIyEEEEPS6_NSA_18transform_iteratorI7is_evenIyESF_NSA_11use_defaultESK_EENS0_5tupleIJSF_NSA_16discard_iteratorISK_EEEEENSM_IJSG_SG_EEES6_PlJS6_EEE10hipError_tPvRmT3_T4_T5_T6_T7_T9_mT8_P12ihipStream_tbDpT10_ENKUlT_T0_E_clISt17integral_constantIbLb1EES1B_EEDaS16_S17_EUlS16_E_NS1_11comp_targetILNS1_3genE2ELNS1_11target_archE906ELNS1_3gpuE6ELNS1_3repE0EEENS1_30default_config_static_selectorELNS0_4arch9wavefront6targetE1EEEvT1_
	.p2align	8
	.type	_ZN7rocprim17ROCPRIM_400000_NS6detail17trampoline_kernelINS0_14default_configENS1_25partition_config_selectorILNS1_17partition_subalgoE1EyNS0_10empty_typeEbEEZZNS1_14partition_implILS5_1ELb0ES3_jN6thrust23THRUST_200600_302600_NS6detail15normal_iteratorINSA_10device_ptrIyEEEEPS6_NSA_18transform_iteratorI7is_evenIyESF_NSA_11use_defaultESK_EENS0_5tupleIJSF_NSA_16discard_iteratorISK_EEEEENSM_IJSG_SG_EEES6_PlJS6_EEE10hipError_tPvRmT3_T4_T5_T6_T7_T9_mT8_P12ihipStream_tbDpT10_ENKUlT_T0_E_clISt17integral_constantIbLb1EES1B_EEDaS16_S17_EUlS16_E_NS1_11comp_targetILNS1_3genE2ELNS1_11target_archE906ELNS1_3gpuE6ELNS1_3repE0EEENS1_30default_config_static_selectorELNS0_4arch9wavefront6targetE1EEEvT1_,@function
_ZN7rocprim17ROCPRIM_400000_NS6detail17trampoline_kernelINS0_14default_configENS1_25partition_config_selectorILNS1_17partition_subalgoE1EyNS0_10empty_typeEbEEZZNS1_14partition_implILS5_1ELb0ES3_jN6thrust23THRUST_200600_302600_NS6detail15normal_iteratorINSA_10device_ptrIyEEEEPS6_NSA_18transform_iteratorI7is_evenIyESF_NSA_11use_defaultESK_EENS0_5tupleIJSF_NSA_16discard_iteratorISK_EEEEENSM_IJSG_SG_EEES6_PlJS6_EEE10hipError_tPvRmT3_T4_T5_T6_T7_T9_mT8_P12ihipStream_tbDpT10_ENKUlT_T0_E_clISt17integral_constantIbLb1EES1B_EEDaS16_S17_EUlS16_E_NS1_11comp_targetILNS1_3genE2ELNS1_11target_archE906ELNS1_3gpuE6ELNS1_3repE0EEENS1_30default_config_static_selectorELNS0_4arch9wavefront6targetE1EEEvT1_: ; @_ZN7rocprim17ROCPRIM_400000_NS6detail17trampoline_kernelINS0_14default_configENS1_25partition_config_selectorILNS1_17partition_subalgoE1EyNS0_10empty_typeEbEEZZNS1_14partition_implILS5_1ELb0ES3_jN6thrust23THRUST_200600_302600_NS6detail15normal_iteratorINSA_10device_ptrIyEEEEPS6_NSA_18transform_iteratorI7is_evenIyESF_NSA_11use_defaultESK_EENS0_5tupleIJSF_NSA_16discard_iteratorISK_EEEEENSM_IJSG_SG_EEES6_PlJS6_EEE10hipError_tPvRmT3_T4_T5_T6_T7_T9_mT8_P12ihipStream_tbDpT10_ENKUlT_T0_E_clISt17integral_constantIbLb1EES1B_EEDaS16_S17_EUlS16_E_NS1_11comp_targetILNS1_3genE2ELNS1_11target_archE906ELNS1_3gpuE6ELNS1_3repE0EEENS1_30default_config_static_selectorELNS0_4arch9wavefront6targetE1EEEvT1_
; %bb.0:
	.section	.rodata,"a",@progbits
	.p2align	6, 0x0
	.amdhsa_kernel _ZN7rocprim17ROCPRIM_400000_NS6detail17trampoline_kernelINS0_14default_configENS1_25partition_config_selectorILNS1_17partition_subalgoE1EyNS0_10empty_typeEbEEZZNS1_14partition_implILS5_1ELb0ES3_jN6thrust23THRUST_200600_302600_NS6detail15normal_iteratorINSA_10device_ptrIyEEEEPS6_NSA_18transform_iteratorI7is_evenIyESF_NSA_11use_defaultESK_EENS0_5tupleIJSF_NSA_16discard_iteratorISK_EEEEENSM_IJSG_SG_EEES6_PlJS6_EEE10hipError_tPvRmT3_T4_T5_T6_T7_T9_mT8_P12ihipStream_tbDpT10_ENKUlT_T0_E_clISt17integral_constantIbLb1EES1B_EEDaS16_S17_EUlS16_E_NS1_11comp_targetILNS1_3genE2ELNS1_11target_archE906ELNS1_3gpuE6ELNS1_3repE0EEENS1_30default_config_static_selectorELNS0_4arch9wavefront6targetE1EEEvT1_
		.amdhsa_group_segment_fixed_size 0
		.amdhsa_private_segment_fixed_size 0
		.amdhsa_kernarg_size 152
		.amdhsa_user_sgpr_count 2
		.amdhsa_user_sgpr_dispatch_ptr 0
		.amdhsa_user_sgpr_queue_ptr 0
		.amdhsa_user_sgpr_kernarg_segment_ptr 1
		.amdhsa_user_sgpr_dispatch_id 0
		.amdhsa_user_sgpr_kernarg_preload_length 0
		.amdhsa_user_sgpr_kernarg_preload_offset 0
		.amdhsa_user_sgpr_private_segment_size 0
		.amdhsa_uses_dynamic_stack 0
		.amdhsa_enable_private_segment 0
		.amdhsa_system_sgpr_workgroup_id_x 1
		.amdhsa_system_sgpr_workgroup_id_y 0
		.amdhsa_system_sgpr_workgroup_id_z 0
		.amdhsa_system_sgpr_workgroup_info 0
		.amdhsa_system_vgpr_workitem_id 0
		.amdhsa_next_free_vgpr 1
		.amdhsa_next_free_sgpr 0
		.amdhsa_accum_offset 4
		.amdhsa_reserve_vcc 0
		.amdhsa_float_round_mode_32 0
		.amdhsa_float_round_mode_16_64 0
		.amdhsa_float_denorm_mode_32 3
		.amdhsa_float_denorm_mode_16_64 3
		.amdhsa_dx10_clamp 1
		.amdhsa_ieee_mode 1
		.amdhsa_fp16_overflow 0
		.amdhsa_tg_split 0
		.amdhsa_exception_fp_ieee_invalid_op 0
		.amdhsa_exception_fp_denorm_src 0
		.amdhsa_exception_fp_ieee_div_zero 0
		.amdhsa_exception_fp_ieee_overflow 0
		.amdhsa_exception_fp_ieee_underflow 0
		.amdhsa_exception_fp_ieee_inexact 0
		.amdhsa_exception_int_div_zero 0
	.end_amdhsa_kernel
	.section	.text._ZN7rocprim17ROCPRIM_400000_NS6detail17trampoline_kernelINS0_14default_configENS1_25partition_config_selectorILNS1_17partition_subalgoE1EyNS0_10empty_typeEbEEZZNS1_14partition_implILS5_1ELb0ES3_jN6thrust23THRUST_200600_302600_NS6detail15normal_iteratorINSA_10device_ptrIyEEEEPS6_NSA_18transform_iteratorI7is_evenIyESF_NSA_11use_defaultESK_EENS0_5tupleIJSF_NSA_16discard_iteratorISK_EEEEENSM_IJSG_SG_EEES6_PlJS6_EEE10hipError_tPvRmT3_T4_T5_T6_T7_T9_mT8_P12ihipStream_tbDpT10_ENKUlT_T0_E_clISt17integral_constantIbLb1EES1B_EEDaS16_S17_EUlS16_E_NS1_11comp_targetILNS1_3genE2ELNS1_11target_archE906ELNS1_3gpuE6ELNS1_3repE0EEENS1_30default_config_static_selectorELNS0_4arch9wavefront6targetE1EEEvT1_,"axG",@progbits,_ZN7rocprim17ROCPRIM_400000_NS6detail17trampoline_kernelINS0_14default_configENS1_25partition_config_selectorILNS1_17partition_subalgoE1EyNS0_10empty_typeEbEEZZNS1_14partition_implILS5_1ELb0ES3_jN6thrust23THRUST_200600_302600_NS6detail15normal_iteratorINSA_10device_ptrIyEEEEPS6_NSA_18transform_iteratorI7is_evenIyESF_NSA_11use_defaultESK_EENS0_5tupleIJSF_NSA_16discard_iteratorISK_EEEEENSM_IJSG_SG_EEES6_PlJS6_EEE10hipError_tPvRmT3_T4_T5_T6_T7_T9_mT8_P12ihipStream_tbDpT10_ENKUlT_T0_E_clISt17integral_constantIbLb1EES1B_EEDaS16_S17_EUlS16_E_NS1_11comp_targetILNS1_3genE2ELNS1_11target_archE906ELNS1_3gpuE6ELNS1_3repE0EEENS1_30default_config_static_selectorELNS0_4arch9wavefront6targetE1EEEvT1_,comdat
.Lfunc_end2919:
	.size	_ZN7rocprim17ROCPRIM_400000_NS6detail17trampoline_kernelINS0_14default_configENS1_25partition_config_selectorILNS1_17partition_subalgoE1EyNS0_10empty_typeEbEEZZNS1_14partition_implILS5_1ELb0ES3_jN6thrust23THRUST_200600_302600_NS6detail15normal_iteratorINSA_10device_ptrIyEEEEPS6_NSA_18transform_iteratorI7is_evenIyESF_NSA_11use_defaultESK_EENS0_5tupleIJSF_NSA_16discard_iteratorISK_EEEEENSM_IJSG_SG_EEES6_PlJS6_EEE10hipError_tPvRmT3_T4_T5_T6_T7_T9_mT8_P12ihipStream_tbDpT10_ENKUlT_T0_E_clISt17integral_constantIbLb1EES1B_EEDaS16_S17_EUlS16_E_NS1_11comp_targetILNS1_3genE2ELNS1_11target_archE906ELNS1_3gpuE6ELNS1_3repE0EEENS1_30default_config_static_selectorELNS0_4arch9wavefront6targetE1EEEvT1_, .Lfunc_end2919-_ZN7rocprim17ROCPRIM_400000_NS6detail17trampoline_kernelINS0_14default_configENS1_25partition_config_selectorILNS1_17partition_subalgoE1EyNS0_10empty_typeEbEEZZNS1_14partition_implILS5_1ELb0ES3_jN6thrust23THRUST_200600_302600_NS6detail15normal_iteratorINSA_10device_ptrIyEEEEPS6_NSA_18transform_iteratorI7is_evenIyESF_NSA_11use_defaultESK_EENS0_5tupleIJSF_NSA_16discard_iteratorISK_EEEEENSM_IJSG_SG_EEES6_PlJS6_EEE10hipError_tPvRmT3_T4_T5_T6_T7_T9_mT8_P12ihipStream_tbDpT10_ENKUlT_T0_E_clISt17integral_constantIbLb1EES1B_EEDaS16_S17_EUlS16_E_NS1_11comp_targetILNS1_3genE2ELNS1_11target_archE906ELNS1_3gpuE6ELNS1_3repE0EEENS1_30default_config_static_selectorELNS0_4arch9wavefront6targetE1EEEvT1_
                                        ; -- End function
	.section	.AMDGPU.csdata,"",@progbits
; Kernel info:
; codeLenInByte = 0
; NumSgprs: 6
; NumVgprs: 0
; NumAgprs: 0
; TotalNumVgprs: 0
; ScratchSize: 0
; MemoryBound: 0
; FloatMode: 240
; IeeeMode: 1
; LDSByteSize: 0 bytes/workgroup (compile time only)
; SGPRBlocks: 0
; VGPRBlocks: 0
; NumSGPRsForWavesPerEU: 6
; NumVGPRsForWavesPerEU: 1
; AccumOffset: 4
; Occupancy: 8
; WaveLimiterHint : 0
; COMPUTE_PGM_RSRC2:SCRATCH_EN: 0
; COMPUTE_PGM_RSRC2:USER_SGPR: 2
; COMPUTE_PGM_RSRC2:TRAP_HANDLER: 0
; COMPUTE_PGM_RSRC2:TGID_X_EN: 1
; COMPUTE_PGM_RSRC2:TGID_Y_EN: 0
; COMPUTE_PGM_RSRC2:TGID_Z_EN: 0
; COMPUTE_PGM_RSRC2:TIDIG_COMP_CNT: 0
; COMPUTE_PGM_RSRC3_GFX90A:ACCUM_OFFSET: 0
; COMPUTE_PGM_RSRC3_GFX90A:TG_SPLIT: 0
	.section	.text._ZN7rocprim17ROCPRIM_400000_NS6detail17trampoline_kernelINS0_14default_configENS1_25partition_config_selectorILNS1_17partition_subalgoE1EyNS0_10empty_typeEbEEZZNS1_14partition_implILS5_1ELb0ES3_jN6thrust23THRUST_200600_302600_NS6detail15normal_iteratorINSA_10device_ptrIyEEEEPS6_NSA_18transform_iteratorI7is_evenIyESF_NSA_11use_defaultESK_EENS0_5tupleIJSF_NSA_16discard_iteratorISK_EEEEENSM_IJSG_SG_EEES6_PlJS6_EEE10hipError_tPvRmT3_T4_T5_T6_T7_T9_mT8_P12ihipStream_tbDpT10_ENKUlT_T0_E_clISt17integral_constantIbLb1EES1B_EEDaS16_S17_EUlS16_E_NS1_11comp_targetILNS1_3genE10ELNS1_11target_archE1200ELNS1_3gpuE4ELNS1_3repE0EEENS1_30default_config_static_selectorELNS0_4arch9wavefront6targetE1EEEvT1_,"axG",@progbits,_ZN7rocprim17ROCPRIM_400000_NS6detail17trampoline_kernelINS0_14default_configENS1_25partition_config_selectorILNS1_17partition_subalgoE1EyNS0_10empty_typeEbEEZZNS1_14partition_implILS5_1ELb0ES3_jN6thrust23THRUST_200600_302600_NS6detail15normal_iteratorINSA_10device_ptrIyEEEEPS6_NSA_18transform_iteratorI7is_evenIyESF_NSA_11use_defaultESK_EENS0_5tupleIJSF_NSA_16discard_iteratorISK_EEEEENSM_IJSG_SG_EEES6_PlJS6_EEE10hipError_tPvRmT3_T4_T5_T6_T7_T9_mT8_P12ihipStream_tbDpT10_ENKUlT_T0_E_clISt17integral_constantIbLb1EES1B_EEDaS16_S17_EUlS16_E_NS1_11comp_targetILNS1_3genE10ELNS1_11target_archE1200ELNS1_3gpuE4ELNS1_3repE0EEENS1_30default_config_static_selectorELNS0_4arch9wavefront6targetE1EEEvT1_,comdat
	.protected	_ZN7rocprim17ROCPRIM_400000_NS6detail17trampoline_kernelINS0_14default_configENS1_25partition_config_selectorILNS1_17partition_subalgoE1EyNS0_10empty_typeEbEEZZNS1_14partition_implILS5_1ELb0ES3_jN6thrust23THRUST_200600_302600_NS6detail15normal_iteratorINSA_10device_ptrIyEEEEPS6_NSA_18transform_iteratorI7is_evenIyESF_NSA_11use_defaultESK_EENS0_5tupleIJSF_NSA_16discard_iteratorISK_EEEEENSM_IJSG_SG_EEES6_PlJS6_EEE10hipError_tPvRmT3_T4_T5_T6_T7_T9_mT8_P12ihipStream_tbDpT10_ENKUlT_T0_E_clISt17integral_constantIbLb1EES1B_EEDaS16_S17_EUlS16_E_NS1_11comp_targetILNS1_3genE10ELNS1_11target_archE1200ELNS1_3gpuE4ELNS1_3repE0EEENS1_30default_config_static_selectorELNS0_4arch9wavefront6targetE1EEEvT1_ ; -- Begin function _ZN7rocprim17ROCPRIM_400000_NS6detail17trampoline_kernelINS0_14default_configENS1_25partition_config_selectorILNS1_17partition_subalgoE1EyNS0_10empty_typeEbEEZZNS1_14partition_implILS5_1ELb0ES3_jN6thrust23THRUST_200600_302600_NS6detail15normal_iteratorINSA_10device_ptrIyEEEEPS6_NSA_18transform_iteratorI7is_evenIyESF_NSA_11use_defaultESK_EENS0_5tupleIJSF_NSA_16discard_iteratorISK_EEEEENSM_IJSG_SG_EEES6_PlJS6_EEE10hipError_tPvRmT3_T4_T5_T6_T7_T9_mT8_P12ihipStream_tbDpT10_ENKUlT_T0_E_clISt17integral_constantIbLb1EES1B_EEDaS16_S17_EUlS16_E_NS1_11comp_targetILNS1_3genE10ELNS1_11target_archE1200ELNS1_3gpuE4ELNS1_3repE0EEENS1_30default_config_static_selectorELNS0_4arch9wavefront6targetE1EEEvT1_
	.globl	_ZN7rocprim17ROCPRIM_400000_NS6detail17trampoline_kernelINS0_14default_configENS1_25partition_config_selectorILNS1_17partition_subalgoE1EyNS0_10empty_typeEbEEZZNS1_14partition_implILS5_1ELb0ES3_jN6thrust23THRUST_200600_302600_NS6detail15normal_iteratorINSA_10device_ptrIyEEEEPS6_NSA_18transform_iteratorI7is_evenIyESF_NSA_11use_defaultESK_EENS0_5tupleIJSF_NSA_16discard_iteratorISK_EEEEENSM_IJSG_SG_EEES6_PlJS6_EEE10hipError_tPvRmT3_T4_T5_T6_T7_T9_mT8_P12ihipStream_tbDpT10_ENKUlT_T0_E_clISt17integral_constantIbLb1EES1B_EEDaS16_S17_EUlS16_E_NS1_11comp_targetILNS1_3genE10ELNS1_11target_archE1200ELNS1_3gpuE4ELNS1_3repE0EEENS1_30default_config_static_selectorELNS0_4arch9wavefront6targetE1EEEvT1_
	.p2align	8
	.type	_ZN7rocprim17ROCPRIM_400000_NS6detail17trampoline_kernelINS0_14default_configENS1_25partition_config_selectorILNS1_17partition_subalgoE1EyNS0_10empty_typeEbEEZZNS1_14partition_implILS5_1ELb0ES3_jN6thrust23THRUST_200600_302600_NS6detail15normal_iteratorINSA_10device_ptrIyEEEEPS6_NSA_18transform_iteratorI7is_evenIyESF_NSA_11use_defaultESK_EENS0_5tupleIJSF_NSA_16discard_iteratorISK_EEEEENSM_IJSG_SG_EEES6_PlJS6_EEE10hipError_tPvRmT3_T4_T5_T6_T7_T9_mT8_P12ihipStream_tbDpT10_ENKUlT_T0_E_clISt17integral_constantIbLb1EES1B_EEDaS16_S17_EUlS16_E_NS1_11comp_targetILNS1_3genE10ELNS1_11target_archE1200ELNS1_3gpuE4ELNS1_3repE0EEENS1_30default_config_static_selectorELNS0_4arch9wavefront6targetE1EEEvT1_,@function
_ZN7rocprim17ROCPRIM_400000_NS6detail17trampoline_kernelINS0_14default_configENS1_25partition_config_selectorILNS1_17partition_subalgoE1EyNS0_10empty_typeEbEEZZNS1_14partition_implILS5_1ELb0ES3_jN6thrust23THRUST_200600_302600_NS6detail15normal_iteratorINSA_10device_ptrIyEEEEPS6_NSA_18transform_iteratorI7is_evenIyESF_NSA_11use_defaultESK_EENS0_5tupleIJSF_NSA_16discard_iteratorISK_EEEEENSM_IJSG_SG_EEES6_PlJS6_EEE10hipError_tPvRmT3_T4_T5_T6_T7_T9_mT8_P12ihipStream_tbDpT10_ENKUlT_T0_E_clISt17integral_constantIbLb1EES1B_EEDaS16_S17_EUlS16_E_NS1_11comp_targetILNS1_3genE10ELNS1_11target_archE1200ELNS1_3gpuE4ELNS1_3repE0EEENS1_30default_config_static_selectorELNS0_4arch9wavefront6targetE1EEEvT1_: ; @_ZN7rocprim17ROCPRIM_400000_NS6detail17trampoline_kernelINS0_14default_configENS1_25partition_config_selectorILNS1_17partition_subalgoE1EyNS0_10empty_typeEbEEZZNS1_14partition_implILS5_1ELb0ES3_jN6thrust23THRUST_200600_302600_NS6detail15normal_iteratorINSA_10device_ptrIyEEEEPS6_NSA_18transform_iteratorI7is_evenIyESF_NSA_11use_defaultESK_EENS0_5tupleIJSF_NSA_16discard_iteratorISK_EEEEENSM_IJSG_SG_EEES6_PlJS6_EEE10hipError_tPvRmT3_T4_T5_T6_T7_T9_mT8_P12ihipStream_tbDpT10_ENKUlT_T0_E_clISt17integral_constantIbLb1EES1B_EEDaS16_S17_EUlS16_E_NS1_11comp_targetILNS1_3genE10ELNS1_11target_archE1200ELNS1_3gpuE4ELNS1_3repE0EEENS1_30default_config_static_selectorELNS0_4arch9wavefront6targetE1EEEvT1_
; %bb.0:
	.section	.rodata,"a",@progbits
	.p2align	6, 0x0
	.amdhsa_kernel _ZN7rocprim17ROCPRIM_400000_NS6detail17trampoline_kernelINS0_14default_configENS1_25partition_config_selectorILNS1_17partition_subalgoE1EyNS0_10empty_typeEbEEZZNS1_14partition_implILS5_1ELb0ES3_jN6thrust23THRUST_200600_302600_NS6detail15normal_iteratorINSA_10device_ptrIyEEEEPS6_NSA_18transform_iteratorI7is_evenIyESF_NSA_11use_defaultESK_EENS0_5tupleIJSF_NSA_16discard_iteratorISK_EEEEENSM_IJSG_SG_EEES6_PlJS6_EEE10hipError_tPvRmT3_T4_T5_T6_T7_T9_mT8_P12ihipStream_tbDpT10_ENKUlT_T0_E_clISt17integral_constantIbLb1EES1B_EEDaS16_S17_EUlS16_E_NS1_11comp_targetILNS1_3genE10ELNS1_11target_archE1200ELNS1_3gpuE4ELNS1_3repE0EEENS1_30default_config_static_selectorELNS0_4arch9wavefront6targetE1EEEvT1_
		.amdhsa_group_segment_fixed_size 0
		.amdhsa_private_segment_fixed_size 0
		.amdhsa_kernarg_size 152
		.amdhsa_user_sgpr_count 2
		.amdhsa_user_sgpr_dispatch_ptr 0
		.amdhsa_user_sgpr_queue_ptr 0
		.amdhsa_user_sgpr_kernarg_segment_ptr 1
		.amdhsa_user_sgpr_dispatch_id 0
		.amdhsa_user_sgpr_kernarg_preload_length 0
		.amdhsa_user_sgpr_kernarg_preload_offset 0
		.amdhsa_user_sgpr_private_segment_size 0
		.amdhsa_uses_dynamic_stack 0
		.amdhsa_enable_private_segment 0
		.amdhsa_system_sgpr_workgroup_id_x 1
		.amdhsa_system_sgpr_workgroup_id_y 0
		.amdhsa_system_sgpr_workgroup_id_z 0
		.amdhsa_system_sgpr_workgroup_info 0
		.amdhsa_system_vgpr_workitem_id 0
		.amdhsa_next_free_vgpr 1
		.amdhsa_next_free_sgpr 0
		.amdhsa_accum_offset 4
		.amdhsa_reserve_vcc 0
		.amdhsa_float_round_mode_32 0
		.amdhsa_float_round_mode_16_64 0
		.amdhsa_float_denorm_mode_32 3
		.amdhsa_float_denorm_mode_16_64 3
		.amdhsa_dx10_clamp 1
		.amdhsa_ieee_mode 1
		.amdhsa_fp16_overflow 0
		.amdhsa_tg_split 0
		.amdhsa_exception_fp_ieee_invalid_op 0
		.amdhsa_exception_fp_denorm_src 0
		.amdhsa_exception_fp_ieee_div_zero 0
		.amdhsa_exception_fp_ieee_overflow 0
		.amdhsa_exception_fp_ieee_underflow 0
		.amdhsa_exception_fp_ieee_inexact 0
		.amdhsa_exception_int_div_zero 0
	.end_amdhsa_kernel
	.section	.text._ZN7rocprim17ROCPRIM_400000_NS6detail17trampoline_kernelINS0_14default_configENS1_25partition_config_selectorILNS1_17partition_subalgoE1EyNS0_10empty_typeEbEEZZNS1_14partition_implILS5_1ELb0ES3_jN6thrust23THRUST_200600_302600_NS6detail15normal_iteratorINSA_10device_ptrIyEEEEPS6_NSA_18transform_iteratorI7is_evenIyESF_NSA_11use_defaultESK_EENS0_5tupleIJSF_NSA_16discard_iteratorISK_EEEEENSM_IJSG_SG_EEES6_PlJS6_EEE10hipError_tPvRmT3_T4_T5_T6_T7_T9_mT8_P12ihipStream_tbDpT10_ENKUlT_T0_E_clISt17integral_constantIbLb1EES1B_EEDaS16_S17_EUlS16_E_NS1_11comp_targetILNS1_3genE10ELNS1_11target_archE1200ELNS1_3gpuE4ELNS1_3repE0EEENS1_30default_config_static_selectorELNS0_4arch9wavefront6targetE1EEEvT1_,"axG",@progbits,_ZN7rocprim17ROCPRIM_400000_NS6detail17trampoline_kernelINS0_14default_configENS1_25partition_config_selectorILNS1_17partition_subalgoE1EyNS0_10empty_typeEbEEZZNS1_14partition_implILS5_1ELb0ES3_jN6thrust23THRUST_200600_302600_NS6detail15normal_iteratorINSA_10device_ptrIyEEEEPS6_NSA_18transform_iteratorI7is_evenIyESF_NSA_11use_defaultESK_EENS0_5tupleIJSF_NSA_16discard_iteratorISK_EEEEENSM_IJSG_SG_EEES6_PlJS6_EEE10hipError_tPvRmT3_T4_T5_T6_T7_T9_mT8_P12ihipStream_tbDpT10_ENKUlT_T0_E_clISt17integral_constantIbLb1EES1B_EEDaS16_S17_EUlS16_E_NS1_11comp_targetILNS1_3genE10ELNS1_11target_archE1200ELNS1_3gpuE4ELNS1_3repE0EEENS1_30default_config_static_selectorELNS0_4arch9wavefront6targetE1EEEvT1_,comdat
.Lfunc_end2920:
	.size	_ZN7rocprim17ROCPRIM_400000_NS6detail17trampoline_kernelINS0_14default_configENS1_25partition_config_selectorILNS1_17partition_subalgoE1EyNS0_10empty_typeEbEEZZNS1_14partition_implILS5_1ELb0ES3_jN6thrust23THRUST_200600_302600_NS6detail15normal_iteratorINSA_10device_ptrIyEEEEPS6_NSA_18transform_iteratorI7is_evenIyESF_NSA_11use_defaultESK_EENS0_5tupleIJSF_NSA_16discard_iteratorISK_EEEEENSM_IJSG_SG_EEES6_PlJS6_EEE10hipError_tPvRmT3_T4_T5_T6_T7_T9_mT8_P12ihipStream_tbDpT10_ENKUlT_T0_E_clISt17integral_constantIbLb1EES1B_EEDaS16_S17_EUlS16_E_NS1_11comp_targetILNS1_3genE10ELNS1_11target_archE1200ELNS1_3gpuE4ELNS1_3repE0EEENS1_30default_config_static_selectorELNS0_4arch9wavefront6targetE1EEEvT1_, .Lfunc_end2920-_ZN7rocprim17ROCPRIM_400000_NS6detail17trampoline_kernelINS0_14default_configENS1_25partition_config_selectorILNS1_17partition_subalgoE1EyNS0_10empty_typeEbEEZZNS1_14partition_implILS5_1ELb0ES3_jN6thrust23THRUST_200600_302600_NS6detail15normal_iteratorINSA_10device_ptrIyEEEEPS6_NSA_18transform_iteratorI7is_evenIyESF_NSA_11use_defaultESK_EENS0_5tupleIJSF_NSA_16discard_iteratorISK_EEEEENSM_IJSG_SG_EEES6_PlJS6_EEE10hipError_tPvRmT3_T4_T5_T6_T7_T9_mT8_P12ihipStream_tbDpT10_ENKUlT_T0_E_clISt17integral_constantIbLb1EES1B_EEDaS16_S17_EUlS16_E_NS1_11comp_targetILNS1_3genE10ELNS1_11target_archE1200ELNS1_3gpuE4ELNS1_3repE0EEENS1_30default_config_static_selectorELNS0_4arch9wavefront6targetE1EEEvT1_
                                        ; -- End function
	.section	.AMDGPU.csdata,"",@progbits
; Kernel info:
; codeLenInByte = 0
; NumSgprs: 6
; NumVgprs: 0
; NumAgprs: 0
; TotalNumVgprs: 0
; ScratchSize: 0
; MemoryBound: 0
; FloatMode: 240
; IeeeMode: 1
; LDSByteSize: 0 bytes/workgroup (compile time only)
; SGPRBlocks: 0
; VGPRBlocks: 0
; NumSGPRsForWavesPerEU: 6
; NumVGPRsForWavesPerEU: 1
; AccumOffset: 4
; Occupancy: 8
; WaveLimiterHint : 0
; COMPUTE_PGM_RSRC2:SCRATCH_EN: 0
; COMPUTE_PGM_RSRC2:USER_SGPR: 2
; COMPUTE_PGM_RSRC2:TRAP_HANDLER: 0
; COMPUTE_PGM_RSRC2:TGID_X_EN: 1
; COMPUTE_PGM_RSRC2:TGID_Y_EN: 0
; COMPUTE_PGM_RSRC2:TGID_Z_EN: 0
; COMPUTE_PGM_RSRC2:TIDIG_COMP_CNT: 0
; COMPUTE_PGM_RSRC3_GFX90A:ACCUM_OFFSET: 0
; COMPUTE_PGM_RSRC3_GFX90A:TG_SPLIT: 0
	.section	.text._ZN7rocprim17ROCPRIM_400000_NS6detail17trampoline_kernelINS0_14default_configENS1_25partition_config_selectorILNS1_17partition_subalgoE1EyNS0_10empty_typeEbEEZZNS1_14partition_implILS5_1ELb0ES3_jN6thrust23THRUST_200600_302600_NS6detail15normal_iteratorINSA_10device_ptrIyEEEEPS6_NSA_18transform_iteratorI7is_evenIyESF_NSA_11use_defaultESK_EENS0_5tupleIJSF_NSA_16discard_iteratorISK_EEEEENSM_IJSG_SG_EEES6_PlJS6_EEE10hipError_tPvRmT3_T4_T5_T6_T7_T9_mT8_P12ihipStream_tbDpT10_ENKUlT_T0_E_clISt17integral_constantIbLb1EES1B_EEDaS16_S17_EUlS16_E_NS1_11comp_targetILNS1_3genE9ELNS1_11target_archE1100ELNS1_3gpuE3ELNS1_3repE0EEENS1_30default_config_static_selectorELNS0_4arch9wavefront6targetE1EEEvT1_,"axG",@progbits,_ZN7rocprim17ROCPRIM_400000_NS6detail17trampoline_kernelINS0_14default_configENS1_25partition_config_selectorILNS1_17partition_subalgoE1EyNS0_10empty_typeEbEEZZNS1_14partition_implILS5_1ELb0ES3_jN6thrust23THRUST_200600_302600_NS6detail15normal_iteratorINSA_10device_ptrIyEEEEPS6_NSA_18transform_iteratorI7is_evenIyESF_NSA_11use_defaultESK_EENS0_5tupleIJSF_NSA_16discard_iteratorISK_EEEEENSM_IJSG_SG_EEES6_PlJS6_EEE10hipError_tPvRmT3_T4_T5_T6_T7_T9_mT8_P12ihipStream_tbDpT10_ENKUlT_T0_E_clISt17integral_constantIbLb1EES1B_EEDaS16_S17_EUlS16_E_NS1_11comp_targetILNS1_3genE9ELNS1_11target_archE1100ELNS1_3gpuE3ELNS1_3repE0EEENS1_30default_config_static_selectorELNS0_4arch9wavefront6targetE1EEEvT1_,comdat
	.protected	_ZN7rocprim17ROCPRIM_400000_NS6detail17trampoline_kernelINS0_14default_configENS1_25partition_config_selectorILNS1_17partition_subalgoE1EyNS0_10empty_typeEbEEZZNS1_14partition_implILS5_1ELb0ES3_jN6thrust23THRUST_200600_302600_NS6detail15normal_iteratorINSA_10device_ptrIyEEEEPS6_NSA_18transform_iteratorI7is_evenIyESF_NSA_11use_defaultESK_EENS0_5tupleIJSF_NSA_16discard_iteratorISK_EEEEENSM_IJSG_SG_EEES6_PlJS6_EEE10hipError_tPvRmT3_T4_T5_T6_T7_T9_mT8_P12ihipStream_tbDpT10_ENKUlT_T0_E_clISt17integral_constantIbLb1EES1B_EEDaS16_S17_EUlS16_E_NS1_11comp_targetILNS1_3genE9ELNS1_11target_archE1100ELNS1_3gpuE3ELNS1_3repE0EEENS1_30default_config_static_selectorELNS0_4arch9wavefront6targetE1EEEvT1_ ; -- Begin function _ZN7rocprim17ROCPRIM_400000_NS6detail17trampoline_kernelINS0_14default_configENS1_25partition_config_selectorILNS1_17partition_subalgoE1EyNS0_10empty_typeEbEEZZNS1_14partition_implILS5_1ELb0ES3_jN6thrust23THRUST_200600_302600_NS6detail15normal_iteratorINSA_10device_ptrIyEEEEPS6_NSA_18transform_iteratorI7is_evenIyESF_NSA_11use_defaultESK_EENS0_5tupleIJSF_NSA_16discard_iteratorISK_EEEEENSM_IJSG_SG_EEES6_PlJS6_EEE10hipError_tPvRmT3_T4_T5_T6_T7_T9_mT8_P12ihipStream_tbDpT10_ENKUlT_T0_E_clISt17integral_constantIbLb1EES1B_EEDaS16_S17_EUlS16_E_NS1_11comp_targetILNS1_3genE9ELNS1_11target_archE1100ELNS1_3gpuE3ELNS1_3repE0EEENS1_30default_config_static_selectorELNS0_4arch9wavefront6targetE1EEEvT1_
	.globl	_ZN7rocprim17ROCPRIM_400000_NS6detail17trampoline_kernelINS0_14default_configENS1_25partition_config_selectorILNS1_17partition_subalgoE1EyNS0_10empty_typeEbEEZZNS1_14partition_implILS5_1ELb0ES3_jN6thrust23THRUST_200600_302600_NS6detail15normal_iteratorINSA_10device_ptrIyEEEEPS6_NSA_18transform_iteratorI7is_evenIyESF_NSA_11use_defaultESK_EENS0_5tupleIJSF_NSA_16discard_iteratorISK_EEEEENSM_IJSG_SG_EEES6_PlJS6_EEE10hipError_tPvRmT3_T4_T5_T6_T7_T9_mT8_P12ihipStream_tbDpT10_ENKUlT_T0_E_clISt17integral_constantIbLb1EES1B_EEDaS16_S17_EUlS16_E_NS1_11comp_targetILNS1_3genE9ELNS1_11target_archE1100ELNS1_3gpuE3ELNS1_3repE0EEENS1_30default_config_static_selectorELNS0_4arch9wavefront6targetE1EEEvT1_
	.p2align	8
	.type	_ZN7rocprim17ROCPRIM_400000_NS6detail17trampoline_kernelINS0_14default_configENS1_25partition_config_selectorILNS1_17partition_subalgoE1EyNS0_10empty_typeEbEEZZNS1_14partition_implILS5_1ELb0ES3_jN6thrust23THRUST_200600_302600_NS6detail15normal_iteratorINSA_10device_ptrIyEEEEPS6_NSA_18transform_iteratorI7is_evenIyESF_NSA_11use_defaultESK_EENS0_5tupleIJSF_NSA_16discard_iteratorISK_EEEEENSM_IJSG_SG_EEES6_PlJS6_EEE10hipError_tPvRmT3_T4_T5_T6_T7_T9_mT8_P12ihipStream_tbDpT10_ENKUlT_T0_E_clISt17integral_constantIbLb1EES1B_EEDaS16_S17_EUlS16_E_NS1_11comp_targetILNS1_3genE9ELNS1_11target_archE1100ELNS1_3gpuE3ELNS1_3repE0EEENS1_30default_config_static_selectorELNS0_4arch9wavefront6targetE1EEEvT1_,@function
_ZN7rocprim17ROCPRIM_400000_NS6detail17trampoline_kernelINS0_14default_configENS1_25partition_config_selectorILNS1_17partition_subalgoE1EyNS0_10empty_typeEbEEZZNS1_14partition_implILS5_1ELb0ES3_jN6thrust23THRUST_200600_302600_NS6detail15normal_iteratorINSA_10device_ptrIyEEEEPS6_NSA_18transform_iteratorI7is_evenIyESF_NSA_11use_defaultESK_EENS0_5tupleIJSF_NSA_16discard_iteratorISK_EEEEENSM_IJSG_SG_EEES6_PlJS6_EEE10hipError_tPvRmT3_T4_T5_T6_T7_T9_mT8_P12ihipStream_tbDpT10_ENKUlT_T0_E_clISt17integral_constantIbLb1EES1B_EEDaS16_S17_EUlS16_E_NS1_11comp_targetILNS1_3genE9ELNS1_11target_archE1100ELNS1_3gpuE3ELNS1_3repE0EEENS1_30default_config_static_selectorELNS0_4arch9wavefront6targetE1EEEvT1_: ; @_ZN7rocprim17ROCPRIM_400000_NS6detail17trampoline_kernelINS0_14default_configENS1_25partition_config_selectorILNS1_17partition_subalgoE1EyNS0_10empty_typeEbEEZZNS1_14partition_implILS5_1ELb0ES3_jN6thrust23THRUST_200600_302600_NS6detail15normal_iteratorINSA_10device_ptrIyEEEEPS6_NSA_18transform_iteratorI7is_evenIyESF_NSA_11use_defaultESK_EENS0_5tupleIJSF_NSA_16discard_iteratorISK_EEEEENSM_IJSG_SG_EEES6_PlJS6_EEE10hipError_tPvRmT3_T4_T5_T6_T7_T9_mT8_P12ihipStream_tbDpT10_ENKUlT_T0_E_clISt17integral_constantIbLb1EES1B_EEDaS16_S17_EUlS16_E_NS1_11comp_targetILNS1_3genE9ELNS1_11target_archE1100ELNS1_3gpuE3ELNS1_3repE0EEENS1_30default_config_static_selectorELNS0_4arch9wavefront6targetE1EEEvT1_
; %bb.0:
	.section	.rodata,"a",@progbits
	.p2align	6, 0x0
	.amdhsa_kernel _ZN7rocprim17ROCPRIM_400000_NS6detail17trampoline_kernelINS0_14default_configENS1_25partition_config_selectorILNS1_17partition_subalgoE1EyNS0_10empty_typeEbEEZZNS1_14partition_implILS5_1ELb0ES3_jN6thrust23THRUST_200600_302600_NS6detail15normal_iteratorINSA_10device_ptrIyEEEEPS6_NSA_18transform_iteratorI7is_evenIyESF_NSA_11use_defaultESK_EENS0_5tupleIJSF_NSA_16discard_iteratorISK_EEEEENSM_IJSG_SG_EEES6_PlJS6_EEE10hipError_tPvRmT3_T4_T5_T6_T7_T9_mT8_P12ihipStream_tbDpT10_ENKUlT_T0_E_clISt17integral_constantIbLb1EES1B_EEDaS16_S17_EUlS16_E_NS1_11comp_targetILNS1_3genE9ELNS1_11target_archE1100ELNS1_3gpuE3ELNS1_3repE0EEENS1_30default_config_static_selectorELNS0_4arch9wavefront6targetE1EEEvT1_
		.amdhsa_group_segment_fixed_size 0
		.amdhsa_private_segment_fixed_size 0
		.amdhsa_kernarg_size 152
		.amdhsa_user_sgpr_count 2
		.amdhsa_user_sgpr_dispatch_ptr 0
		.amdhsa_user_sgpr_queue_ptr 0
		.amdhsa_user_sgpr_kernarg_segment_ptr 1
		.amdhsa_user_sgpr_dispatch_id 0
		.amdhsa_user_sgpr_kernarg_preload_length 0
		.amdhsa_user_sgpr_kernarg_preload_offset 0
		.amdhsa_user_sgpr_private_segment_size 0
		.amdhsa_uses_dynamic_stack 0
		.amdhsa_enable_private_segment 0
		.amdhsa_system_sgpr_workgroup_id_x 1
		.amdhsa_system_sgpr_workgroup_id_y 0
		.amdhsa_system_sgpr_workgroup_id_z 0
		.amdhsa_system_sgpr_workgroup_info 0
		.amdhsa_system_vgpr_workitem_id 0
		.amdhsa_next_free_vgpr 1
		.amdhsa_next_free_sgpr 0
		.amdhsa_accum_offset 4
		.amdhsa_reserve_vcc 0
		.amdhsa_float_round_mode_32 0
		.amdhsa_float_round_mode_16_64 0
		.amdhsa_float_denorm_mode_32 3
		.amdhsa_float_denorm_mode_16_64 3
		.amdhsa_dx10_clamp 1
		.amdhsa_ieee_mode 1
		.amdhsa_fp16_overflow 0
		.amdhsa_tg_split 0
		.amdhsa_exception_fp_ieee_invalid_op 0
		.amdhsa_exception_fp_denorm_src 0
		.amdhsa_exception_fp_ieee_div_zero 0
		.amdhsa_exception_fp_ieee_overflow 0
		.amdhsa_exception_fp_ieee_underflow 0
		.amdhsa_exception_fp_ieee_inexact 0
		.amdhsa_exception_int_div_zero 0
	.end_amdhsa_kernel
	.section	.text._ZN7rocprim17ROCPRIM_400000_NS6detail17trampoline_kernelINS0_14default_configENS1_25partition_config_selectorILNS1_17partition_subalgoE1EyNS0_10empty_typeEbEEZZNS1_14partition_implILS5_1ELb0ES3_jN6thrust23THRUST_200600_302600_NS6detail15normal_iteratorINSA_10device_ptrIyEEEEPS6_NSA_18transform_iteratorI7is_evenIyESF_NSA_11use_defaultESK_EENS0_5tupleIJSF_NSA_16discard_iteratorISK_EEEEENSM_IJSG_SG_EEES6_PlJS6_EEE10hipError_tPvRmT3_T4_T5_T6_T7_T9_mT8_P12ihipStream_tbDpT10_ENKUlT_T0_E_clISt17integral_constantIbLb1EES1B_EEDaS16_S17_EUlS16_E_NS1_11comp_targetILNS1_3genE9ELNS1_11target_archE1100ELNS1_3gpuE3ELNS1_3repE0EEENS1_30default_config_static_selectorELNS0_4arch9wavefront6targetE1EEEvT1_,"axG",@progbits,_ZN7rocprim17ROCPRIM_400000_NS6detail17trampoline_kernelINS0_14default_configENS1_25partition_config_selectorILNS1_17partition_subalgoE1EyNS0_10empty_typeEbEEZZNS1_14partition_implILS5_1ELb0ES3_jN6thrust23THRUST_200600_302600_NS6detail15normal_iteratorINSA_10device_ptrIyEEEEPS6_NSA_18transform_iteratorI7is_evenIyESF_NSA_11use_defaultESK_EENS0_5tupleIJSF_NSA_16discard_iteratorISK_EEEEENSM_IJSG_SG_EEES6_PlJS6_EEE10hipError_tPvRmT3_T4_T5_T6_T7_T9_mT8_P12ihipStream_tbDpT10_ENKUlT_T0_E_clISt17integral_constantIbLb1EES1B_EEDaS16_S17_EUlS16_E_NS1_11comp_targetILNS1_3genE9ELNS1_11target_archE1100ELNS1_3gpuE3ELNS1_3repE0EEENS1_30default_config_static_selectorELNS0_4arch9wavefront6targetE1EEEvT1_,comdat
.Lfunc_end2921:
	.size	_ZN7rocprim17ROCPRIM_400000_NS6detail17trampoline_kernelINS0_14default_configENS1_25partition_config_selectorILNS1_17partition_subalgoE1EyNS0_10empty_typeEbEEZZNS1_14partition_implILS5_1ELb0ES3_jN6thrust23THRUST_200600_302600_NS6detail15normal_iteratorINSA_10device_ptrIyEEEEPS6_NSA_18transform_iteratorI7is_evenIyESF_NSA_11use_defaultESK_EENS0_5tupleIJSF_NSA_16discard_iteratorISK_EEEEENSM_IJSG_SG_EEES6_PlJS6_EEE10hipError_tPvRmT3_T4_T5_T6_T7_T9_mT8_P12ihipStream_tbDpT10_ENKUlT_T0_E_clISt17integral_constantIbLb1EES1B_EEDaS16_S17_EUlS16_E_NS1_11comp_targetILNS1_3genE9ELNS1_11target_archE1100ELNS1_3gpuE3ELNS1_3repE0EEENS1_30default_config_static_selectorELNS0_4arch9wavefront6targetE1EEEvT1_, .Lfunc_end2921-_ZN7rocprim17ROCPRIM_400000_NS6detail17trampoline_kernelINS0_14default_configENS1_25partition_config_selectorILNS1_17partition_subalgoE1EyNS0_10empty_typeEbEEZZNS1_14partition_implILS5_1ELb0ES3_jN6thrust23THRUST_200600_302600_NS6detail15normal_iteratorINSA_10device_ptrIyEEEEPS6_NSA_18transform_iteratorI7is_evenIyESF_NSA_11use_defaultESK_EENS0_5tupleIJSF_NSA_16discard_iteratorISK_EEEEENSM_IJSG_SG_EEES6_PlJS6_EEE10hipError_tPvRmT3_T4_T5_T6_T7_T9_mT8_P12ihipStream_tbDpT10_ENKUlT_T0_E_clISt17integral_constantIbLb1EES1B_EEDaS16_S17_EUlS16_E_NS1_11comp_targetILNS1_3genE9ELNS1_11target_archE1100ELNS1_3gpuE3ELNS1_3repE0EEENS1_30default_config_static_selectorELNS0_4arch9wavefront6targetE1EEEvT1_
                                        ; -- End function
	.section	.AMDGPU.csdata,"",@progbits
; Kernel info:
; codeLenInByte = 0
; NumSgprs: 6
; NumVgprs: 0
; NumAgprs: 0
; TotalNumVgprs: 0
; ScratchSize: 0
; MemoryBound: 0
; FloatMode: 240
; IeeeMode: 1
; LDSByteSize: 0 bytes/workgroup (compile time only)
; SGPRBlocks: 0
; VGPRBlocks: 0
; NumSGPRsForWavesPerEU: 6
; NumVGPRsForWavesPerEU: 1
; AccumOffset: 4
; Occupancy: 8
; WaveLimiterHint : 0
; COMPUTE_PGM_RSRC2:SCRATCH_EN: 0
; COMPUTE_PGM_RSRC2:USER_SGPR: 2
; COMPUTE_PGM_RSRC2:TRAP_HANDLER: 0
; COMPUTE_PGM_RSRC2:TGID_X_EN: 1
; COMPUTE_PGM_RSRC2:TGID_Y_EN: 0
; COMPUTE_PGM_RSRC2:TGID_Z_EN: 0
; COMPUTE_PGM_RSRC2:TIDIG_COMP_CNT: 0
; COMPUTE_PGM_RSRC3_GFX90A:ACCUM_OFFSET: 0
; COMPUTE_PGM_RSRC3_GFX90A:TG_SPLIT: 0
	.section	.text._ZN7rocprim17ROCPRIM_400000_NS6detail17trampoline_kernelINS0_14default_configENS1_25partition_config_selectorILNS1_17partition_subalgoE1EyNS0_10empty_typeEbEEZZNS1_14partition_implILS5_1ELb0ES3_jN6thrust23THRUST_200600_302600_NS6detail15normal_iteratorINSA_10device_ptrIyEEEEPS6_NSA_18transform_iteratorI7is_evenIyESF_NSA_11use_defaultESK_EENS0_5tupleIJSF_NSA_16discard_iteratorISK_EEEEENSM_IJSG_SG_EEES6_PlJS6_EEE10hipError_tPvRmT3_T4_T5_T6_T7_T9_mT8_P12ihipStream_tbDpT10_ENKUlT_T0_E_clISt17integral_constantIbLb1EES1B_EEDaS16_S17_EUlS16_E_NS1_11comp_targetILNS1_3genE8ELNS1_11target_archE1030ELNS1_3gpuE2ELNS1_3repE0EEENS1_30default_config_static_selectorELNS0_4arch9wavefront6targetE1EEEvT1_,"axG",@progbits,_ZN7rocprim17ROCPRIM_400000_NS6detail17trampoline_kernelINS0_14default_configENS1_25partition_config_selectorILNS1_17partition_subalgoE1EyNS0_10empty_typeEbEEZZNS1_14partition_implILS5_1ELb0ES3_jN6thrust23THRUST_200600_302600_NS6detail15normal_iteratorINSA_10device_ptrIyEEEEPS6_NSA_18transform_iteratorI7is_evenIyESF_NSA_11use_defaultESK_EENS0_5tupleIJSF_NSA_16discard_iteratorISK_EEEEENSM_IJSG_SG_EEES6_PlJS6_EEE10hipError_tPvRmT3_T4_T5_T6_T7_T9_mT8_P12ihipStream_tbDpT10_ENKUlT_T0_E_clISt17integral_constantIbLb1EES1B_EEDaS16_S17_EUlS16_E_NS1_11comp_targetILNS1_3genE8ELNS1_11target_archE1030ELNS1_3gpuE2ELNS1_3repE0EEENS1_30default_config_static_selectorELNS0_4arch9wavefront6targetE1EEEvT1_,comdat
	.protected	_ZN7rocprim17ROCPRIM_400000_NS6detail17trampoline_kernelINS0_14default_configENS1_25partition_config_selectorILNS1_17partition_subalgoE1EyNS0_10empty_typeEbEEZZNS1_14partition_implILS5_1ELb0ES3_jN6thrust23THRUST_200600_302600_NS6detail15normal_iteratorINSA_10device_ptrIyEEEEPS6_NSA_18transform_iteratorI7is_evenIyESF_NSA_11use_defaultESK_EENS0_5tupleIJSF_NSA_16discard_iteratorISK_EEEEENSM_IJSG_SG_EEES6_PlJS6_EEE10hipError_tPvRmT3_T4_T5_T6_T7_T9_mT8_P12ihipStream_tbDpT10_ENKUlT_T0_E_clISt17integral_constantIbLb1EES1B_EEDaS16_S17_EUlS16_E_NS1_11comp_targetILNS1_3genE8ELNS1_11target_archE1030ELNS1_3gpuE2ELNS1_3repE0EEENS1_30default_config_static_selectorELNS0_4arch9wavefront6targetE1EEEvT1_ ; -- Begin function _ZN7rocprim17ROCPRIM_400000_NS6detail17trampoline_kernelINS0_14default_configENS1_25partition_config_selectorILNS1_17partition_subalgoE1EyNS0_10empty_typeEbEEZZNS1_14partition_implILS5_1ELb0ES3_jN6thrust23THRUST_200600_302600_NS6detail15normal_iteratorINSA_10device_ptrIyEEEEPS6_NSA_18transform_iteratorI7is_evenIyESF_NSA_11use_defaultESK_EENS0_5tupleIJSF_NSA_16discard_iteratorISK_EEEEENSM_IJSG_SG_EEES6_PlJS6_EEE10hipError_tPvRmT3_T4_T5_T6_T7_T9_mT8_P12ihipStream_tbDpT10_ENKUlT_T0_E_clISt17integral_constantIbLb1EES1B_EEDaS16_S17_EUlS16_E_NS1_11comp_targetILNS1_3genE8ELNS1_11target_archE1030ELNS1_3gpuE2ELNS1_3repE0EEENS1_30default_config_static_selectorELNS0_4arch9wavefront6targetE1EEEvT1_
	.globl	_ZN7rocprim17ROCPRIM_400000_NS6detail17trampoline_kernelINS0_14default_configENS1_25partition_config_selectorILNS1_17partition_subalgoE1EyNS0_10empty_typeEbEEZZNS1_14partition_implILS5_1ELb0ES3_jN6thrust23THRUST_200600_302600_NS6detail15normal_iteratorINSA_10device_ptrIyEEEEPS6_NSA_18transform_iteratorI7is_evenIyESF_NSA_11use_defaultESK_EENS0_5tupleIJSF_NSA_16discard_iteratorISK_EEEEENSM_IJSG_SG_EEES6_PlJS6_EEE10hipError_tPvRmT3_T4_T5_T6_T7_T9_mT8_P12ihipStream_tbDpT10_ENKUlT_T0_E_clISt17integral_constantIbLb1EES1B_EEDaS16_S17_EUlS16_E_NS1_11comp_targetILNS1_3genE8ELNS1_11target_archE1030ELNS1_3gpuE2ELNS1_3repE0EEENS1_30default_config_static_selectorELNS0_4arch9wavefront6targetE1EEEvT1_
	.p2align	8
	.type	_ZN7rocprim17ROCPRIM_400000_NS6detail17trampoline_kernelINS0_14default_configENS1_25partition_config_selectorILNS1_17partition_subalgoE1EyNS0_10empty_typeEbEEZZNS1_14partition_implILS5_1ELb0ES3_jN6thrust23THRUST_200600_302600_NS6detail15normal_iteratorINSA_10device_ptrIyEEEEPS6_NSA_18transform_iteratorI7is_evenIyESF_NSA_11use_defaultESK_EENS0_5tupleIJSF_NSA_16discard_iteratorISK_EEEEENSM_IJSG_SG_EEES6_PlJS6_EEE10hipError_tPvRmT3_T4_T5_T6_T7_T9_mT8_P12ihipStream_tbDpT10_ENKUlT_T0_E_clISt17integral_constantIbLb1EES1B_EEDaS16_S17_EUlS16_E_NS1_11comp_targetILNS1_3genE8ELNS1_11target_archE1030ELNS1_3gpuE2ELNS1_3repE0EEENS1_30default_config_static_selectorELNS0_4arch9wavefront6targetE1EEEvT1_,@function
_ZN7rocprim17ROCPRIM_400000_NS6detail17trampoline_kernelINS0_14default_configENS1_25partition_config_selectorILNS1_17partition_subalgoE1EyNS0_10empty_typeEbEEZZNS1_14partition_implILS5_1ELb0ES3_jN6thrust23THRUST_200600_302600_NS6detail15normal_iteratorINSA_10device_ptrIyEEEEPS6_NSA_18transform_iteratorI7is_evenIyESF_NSA_11use_defaultESK_EENS0_5tupleIJSF_NSA_16discard_iteratorISK_EEEEENSM_IJSG_SG_EEES6_PlJS6_EEE10hipError_tPvRmT3_T4_T5_T6_T7_T9_mT8_P12ihipStream_tbDpT10_ENKUlT_T0_E_clISt17integral_constantIbLb1EES1B_EEDaS16_S17_EUlS16_E_NS1_11comp_targetILNS1_3genE8ELNS1_11target_archE1030ELNS1_3gpuE2ELNS1_3repE0EEENS1_30default_config_static_selectorELNS0_4arch9wavefront6targetE1EEEvT1_: ; @_ZN7rocprim17ROCPRIM_400000_NS6detail17trampoline_kernelINS0_14default_configENS1_25partition_config_selectorILNS1_17partition_subalgoE1EyNS0_10empty_typeEbEEZZNS1_14partition_implILS5_1ELb0ES3_jN6thrust23THRUST_200600_302600_NS6detail15normal_iteratorINSA_10device_ptrIyEEEEPS6_NSA_18transform_iteratorI7is_evenIyESF_NSA_11use_defaultESK_EENS0_5tupleIJSF_NSA_16discard_iteratorISK_EEEEENSM_IJSG_SG_EEES6_PlJS6_EEE10hipError_tPvRmT3_T4_T5_T6_T7_T9_mT8_P12ihipStream_tbDpT10_ENKUlT_T0_E_clISt17integral_constantIbLb1EES1B_EEDaS16_S17_EUlS16_E_NS1_11comp_targetILNS1_3genE8ELNS1_11target_archE1030ELNS1_3gpuE2ELNS1_3repE0EEENS1_30default_config_static_selectorELNS0_4arch9wavefront6targetE1EEEvT1_
; %bb.0:
	.section	.rodata,"a",@progbits
	.p2align	6, 0x0
	.amdhsa_kernel _ZN7rocprim17ROCPRIM_400000_NS6detail17trampoline_kernelINS0_14default_configENS1_25partition_config_selectorILNS1_17partition_subalgoE1EyNS0_10empty_typeEbEEZZNS1_14partition_implILS5_1ELb0ES3_jN6thrust23THRUST_200600_302600_NS6detail15normal_iteratorINSA_10device_ptrIyEEEEPS6_NSA_18transform_iteratorI7is_evenIyESF_NSA_11use_defaultESK_EENS0_5tupleIJSF_NSA_16discard_iteratorISK_EEEEENSM_IJSG_SG_EEES6_PlJS6_EEE10hipError_tPvRmT3_T4_T5_T6_T7_T9_mT8_P12ihipStream_tbDpT10_ENKUlT_T0_E_clISt17integral_constantIbLb1EES1B_EEDaS16_S17_EUlS16_E_NS1_11comp_targetILNS1_3genE8ELNS1_11target_archE1030ELNS1_3gpuE2ELNS1_3repE0EEENS1_30default_config_static_selectorELNS0_4arch9wavefront6targetE1EEEvT1_
		.amdhsa_group_segment_fixed_size 0
		.amdhsa_private_segment_fixed_size 0
		.amdhsa_kernarg_size 152
		.amdhsa_user_sgpr_count 2
		.amdhsa_user_sgpr_dispatch_ptr 0
		.amdhsa_user_sgpr_queue_ptr 0
		.amdhsa_user_sgpr_kernarg_segment_ptr 1
		.amdhsa_user_sgpr_dispatch_id 0
		.amdhsa_user_sgpr_kernarg_preload_length 0
		.amdhsa_user_sgpr_kernarg_preload_offset 0
		.amdhsa_user_sgpr_private_segment_size 0
		.amdhsa_uses_dynamic_stack 0
		.amdhsa_enable_private_segment 0
		.amdhsa_system_sgpr_workgroup_id_x 1
		.amdhsa_system_sgpr_workgroup_id_y 0
		.amdhsa_system_sgpr_workgroup_id_z 0
		.amdhsa_system_sgpr_workgroup_info 0
		.amdhsa_system_vgpr_workitem_id 0
		.amdhsa_next_free_vgpr 1
		.amdhsa_next_free_sgpr 0
		.amdhsa_accum_offset 4
		.amdhsa_reserve_vcc 0
		.amdhsa_float_round_mode_32 0
		.amdhsa_float_round_mode_16_64 0
		.amdhsa_float_denorm_mode_32 3
		.amdhsa_float_denorm_mode_16_64 3
		.amdhsa_dx10_clamp 1
		.amdhsa_ieee_mode 1
		.amdhsa_fp16_overflow 0
		.amdhsa_tg_split 0
		.amdhsa_exception_fp_ieee_invalid_op 0
		.amdhsa_exception_fp_denorm_src 0
		.amdhsa_exception_fp_ieee_div_zero 0
		.amdhsa_exception_fp_ieee_overflow 0
		.amdhsa_exception_fp_ieee_underflow 0
		.amdhsa_exception_fp_ieee_inexact 0
		.amdhsa_exception_int_div_zero 0
	.end_amdhsa_kernel
	.section	.text._ZN7rocprim17ROCPRIM_400000_NS6detail17trampoline_kernelINS0_14default_configENS1_25partition_config_selectorILNS1_17partition_subalgoE1EyNS0_10empty_typeEbEEZZNS1_14partition_implILS5_1ELb0ES3_jN6thrust23THRUST_200600_302600_NS6detail15normal_iteratorINSA_10device_ptrIyEEEEPS6_NSA_18transform_iteratorI7is_evenIyESF_NSA_11use_defaultESK_EENS0_5tupleIJSF_NSA_16discard_iteratorISK_EEEEENSM_IJSG_SG_EEES6_PlJS6_EEE10hipError_tPvRmT3_T4_T5_T6_T7_T9_mT8_P12ihipStream_tbDpT10_ENKUlT_T0_E_clISt17integral_constantIbLb1EES1B_EEDaS16_S17_EUlS16_E_NS1_11comp_targetILNS1_3genE8ELNS1_11target_archE1030ELNS1_3gpuE2ELNS1_3repE0EEENS1_30default_config_static_selectorELNS0_4arch9wavefront6targetE1EEEvT1_,"axG",@progbits,_ZN7rocprim17ROCPRIM_400000_NS6detail17trampoline_kernelINS0_14default_configENS1_25partition_config_selectorILNS1_17partition_subalgoE1EyNS0_10empty_typeEbEEZZNS1_14partition_implILS5_1ELb0ES3_jN6thrust23THRUST_200600_302600_NS6detail15normal_iteratorINSA_10device_ptrIyEEEEPS6_NSA_18transform_iteratorI7is_evenIyESF_NSA_11use_defaultESK_EENS0_5tupleIJSF_NSA_16discard_iteratorISK_EEEEENSM_IJSG_SG_EEES6_PlJS6_EEE10hipError_tPvRmT3_T4_T5_T6_T7_T9_mT8_P12ihipStream_tbDpT10_ENKUlT_T0_E_clISt17integral_constantIbLb1EES1B_EEDaS16_S17_EUlS16_E_NS1_11comp_targetILNS1_3genE8ELNS1_11target_archE1030ELNS1_3gpuE2ELNS1_3repE0EEENS1_30default_config_static_selectorELNS0_4arch9wavefront6targetE1EEEvT1_,comdat
.Lfunc_end2922:
	.size	_ZN7rocprim17ROCPRIM_400000_NS6detail17trampoline_kernelINS0_14default_configENS1_25partition_config_selectorILNS1_17partition_subalgoE1EyNS0_10empty_typeEbEEZZNS1_14partition_implILS5_1ELb0ES3_jN6thrust23THRUST_200600_302600_NS6detail15normal_iteratorINSA_10device_ptrIyEEEEPS6_NSA_18transform_iteratorI7is_evenIyESF_NSA_11use_defaultESK_EENS0_5tupleIJSF_NSA_16discard_iteratorISK_EEEEENSM_IJSG_SG_EEES6_PlJS6_EEE10hipError_tPvRmT3_T4_T5_T6_T7_T9_mT8_P12ihipStream_tbDpT10_ENKUlT_T0_E_clISt17integral_constantIbLb1EES1B_EEDaS16_S17_EUlS16_E_NS1_11comp_targetILNS1_3genE8ELNS1_11target_archE1030ELNS1_3gpuE2ELNS1_3repE0EEENS1_30default_config_static_selectorELNS0_4arch9wavefront6targetE1EEEvT1_, .Lfunc_end2922-_ZN7rocprim17ROCPRIM_400000_NS6detail17trampoline_kernelINS0_14default_configENS1_25partition_config_selectorILNS1_17partition_subalgoE1EyNS0_10empty_typeEbEEZZNS1_14partition_implILS5_1ELb0ES3_jN6thrust23THRUST_200600_302600_NS6detail15normal_iteratorINSA_10device_ptrIyEEEEPS6_NSA_18transform_iteratorI7is_evenIyESF_NSA_11use_defaultESK_EENS0_5tupleIJSF_NSA_16discard_iteratorISK_EEEEENSM_IJSG_SG_EEES6_PlJS6_EEE10hipError_tPvRmT3_T4_T5_T6_T7_T9_mT8_P12ihipStream_tbDpT10_ENKUlT_T0_E_clISt17integral_constantIbLb1EES1B_EEDaS16_S17_EUlS16_E_NS1_11comp_targetILNS1_3genE8ELNS1_11target_archE1030ELNS1_3gpuE2ELNS1_3repE0EEENS1_30default_config_static_selectorELNS0_4arch9wavefront6targetE1EEEvT1_
                                        ; -- End function
	.section	.AMDGPU.csdata,"",@progbits
; Kernel info:
; codeLenInByte = 0
; NumSgprs: 6
; NumVgprs: 0
; NumAgprs: 0
; TotalNumVgprs: 0
; ScratchSize: 0
; MemoryBound: 0
; FloatMode: 240
; IeeeMode: 1
; LDSByteSize: 0 bytes/workgroup (compile time only)
; SGPRBlocks: 0
; VGPRBlocks: 0
; NumSGPRsForWavesPerEU: 6
; NumVGPRsForWavesPerEU: 1
; AccumOffset: 4
; Occupancy: 8
; WaveLimiterHint : 0
; COMPUTE_PGM_RSRC2:SCRATCH_EN: 0
; COMPUTE_PGM_RSRC2:USER_SGPR: 2
; COMPUTE_PGM_RSRC2:TRAP_HANDLER: 0
; COMPUTE_PGM_RSRC2:TGID_X_EN: 1
; COMPUTE_PGM_RSRC2:TGID_Y_EN: 0
; COMPUTE_PGM_RSRC2:TGID_Z_EN: 0
; COMPUTE_PGM_RSRC2:TIDIG_COMP_CNT: 0
; COMPUTE_PGM_RSRC3_GFX90A:ACCUM_OFFSET: 0
; COMPUTE_PGM_RSRC3_GFX90A:TG_SPLIT: 0
	.section	.text._ZN7rocprim17ROCPRIM_400000_NS6detail17trampoline_kernelINS0_14default_configENS1_25partition_config_selectorILNS1_17partition_subalgoE1EyNS0_10empty_typeEbEEZZNS1_14partition_implILS5_1ELb0ES3_jN6thrust23THRUST_200600_302600_NS6detail15normal_iteratorINSA_10device_ptrIyEEEEPS6_NSA_18transform_iteratorI7is_evenIyESF_NSA_11use_defaultESK_EENS0_5tupleIJSF_NSA_16discard_iteratorISK_EEEEENSM_IJSG_SG_EEES6_PlJS6_EEE10hipError_tPvRmT3_T4_T5_T6_T7_T9_mT8_P12ihipStream_tbDpT10_ENKUlT_T0_E_clISt17integral_constantIbLb1EES1A_IbLb0EEEEDaS16_S17_EUlS16_E_NS1_11comp_targetILNS1_3genE0ELNS1_11target_archE4294967295ELNS1_3gpuE0ELNS1_3repE0EEENS1_30default_config_static_selectorELNS0_4arch9wavefront6targetE1EEEvT1_,"axG",@progbits,_ZN7rocprim17ROCPRIM_400000_NS6detail17trampoline_kernelINS0_14default_configENS1_25partition_config_selectorILNS1_17partition_subalgoE1EyNS0_10empty_typeEbEEZZNS1_14partition_implILS5_1ELb0ES3_jN6thrust23THRUST_200600_302600_NS6detail15normal_iteratorINSA_10device_ptrIyEEEEPS6_NSA_18transform_iteratorI7is_evenIyESF_NSA_11use_defaultESK_EENS0_5tupleIJSF_NSA_16discard_iteratorISK_EEEEENSM_IJSG_SG_EEES6_PlJS6_EEE10hipError_tPvRmT3_T4_T5_T6_T7_T9_mT8_P12ihipStream_tbDpT10_ENKUlT_T0_E_clISt17integral_constantIbLb1EES1A_IbLb0EEEEDaS16_S17_EUlS16_E_NS1_11comp_targetILNS1_3genE0ELNS1_11target_archE4294967295ELNS1_3gpuE0ELNS1_3repE0EEENS1_30default_config_static_selectorELNS0_4arch9wavefront6targetE1EEEvT1_,comdat
	.protected	_ZN7rocprim17ROCPRIM_400000_NS6detail17trampoline_kernelINS0_14default_configENS1_25partition_config_selectorILNS1_17partition_subalgoE1EyNS0_10empty_typeEbEEZZNS1_14partition_implILS5_1ELb0ES3_jN6thrust23THRUST_200600_302600_NS6detail15normal_iteratorINSA_10device_ptrIyEEEEPS6_NSA_18transform_iteratorI7is_evenIyESF_NSA_11use_defaultESK_EENS0_5tupleIJSF_NSA_16discard_iteratorISK_EEEEENSM_IJSG_SG_EEES6_PlJS6_EEE10hipError_tPvRmT3_T4_T5_T6_T7_T9_mT8_P12ihipStream_tbDpT10_ENKUlT_T0_E_clISt17integral_constantIbLb1EES1A_IbLb0EEEEDaS16_S17_EUlS16_E_NS1_11comp_targetILNS1_3genE0ELNS1_11target_archE4294967295ELNS1_3gpuE0ELNS1_3repE0EEENS1_30default_config_static_selectorELNS0_4arch9wavefront6targetE1EEEvT1_ ; -- Begin function _ZN7rocprim17ROCPRIM_400000_NS6detail17trampoline_kernelINS0_14default_configENS1_25partition_config_selectorILNS1_17partition_subalgoE1EyNS0_10empty_typeEbEEZZNS1_14partition_implILS5_1ELb0ES3_jN6thrust23THRUST_200600_302600_NS6detail15normal_iteratorINSA_10device_ptrIyEEEEPS6_NSA_18transform_iteratorI7is_evenIyESF_NSA_11use_defaultESK_EENS0_5tupleIJSF_NSA_16discard_iteratorISK_EEEEENSM_IJSG_SG_EEES6_PlJS6_EEE10hipError_tPvRmT3_T4_T5_T6_T7_T9_mT8_P12ihipStream_tbDpT10_ENKUlT_T0_E_clISt17integral_constantIbLb1EES1A_IbLb0EEEEDaS16_S17_EUlS16_E_NS1_11comp_targetILNS1_3genE0ELNS1_11target_archE4294967295ELNS1_3gpuE0ELNS1_3repE0EEENS1_30default_config_static_selectorELNS0_4arch9wavefront6targetE1EEEvT1_
	.globl	_ZN7rocprim17ROCPRIM_400000_NS6detail17trampoline_kernelINS0_14default_configENS1_25partition_config_selectorILNS1_17partition_subalgoE1EyNS0_10empty_typeEbEEZZNS1_14partition_implILS5_1ELb0ES3_jN6thrust23THRUST_200600_302600_NS6detail15normal_iteratorINSA_10device_ptrIyEEEEPS6_NSA_18transform_iteratorI7is_evenIyESF_NSA_11use_defaultESK_EENS0_5tupleIJSF_NSA_16discard_iteratorISK_EEEEENSM_IJSG_SG_EEES6_PlJS6_EEE10hipError_tPvRmT3_T4_T5_T6_T7_T9_mT8_P12ihipStream_tbDpT10_ENKUlT_T0_E_clISt17integral_constantIbLb1EES1A_IbLb0EEEEDaS16_S17_EUlS16_E_NS1_11comp_targetILNS1_3genE0ELNS1_11target_archE4294967295ELNS1_3gpuE0ELNS1_3repE0EEENS1_30default_config_static_selectorELNS0_4arch9wavefront6targetE1EEEvT1_
	.p2align	8
	.type	_ZN7rocprim17ROCPRIM_400000_NS6detail17trampoline_kernelINS0_14default_configENS1_25partition_config_selectorILNS1_17partition_subalgoE1EyNS0_10empty_typeEbEEZZNS1_14partition_implILS5_1ELb0ES3_jN6thrust23THRUST_200600_302600_NS6detail15normal_iteratorINSA_10device_ptrIyEEEEPS6_NSA_18transform_iteratorI7is_evenIyESF_NSA_11use_defaultESK_EENS0_5tupleIJSF_NSA_16discard_iteratorISK_EEEEENSM_IJSG_SG_EEES6_PlJS6_EEE10hipError_tPvRmT3_T4_T5_T6_T7_T9_mT8_P12ihipStream_tbDpT10_ENKUlT_T0_E_clISt17integral_constantIbLb1EES1A_IbLb0EEEEDaS16_S17_EUlS16_E_NS1_11comp_targetILNS1_3genE0ELNS1_11target_archE4294967295ELNS1_3gpuE0ELNS1_3repE0EEENS1_30default_config_static_selectorELNS0_4arch9wavefront6targetE1EEEvT1_,@function
_ZN7rocprim17ROCPRIM_400000_NS6detail17trampoline_kernelINS0_14default_configENS1_25partition_config_selectorILNS1_17partition_subalgoE1EyNS0_10empty_typeEbEEZZNS1_14partition_implILS5_1ELb0ES3_jN6thrust23THRUST_200600_302600_NS6detail15normal_iteratorINSA_10device_ptrIyEEEEPS6_NSA_18transform_iteratorI7is_evenIyESF_NSA_11use_defaultESK_EENS0_5tupleIJSF_NSA_16discard_iteratorISK_EEEEENSM_IJSG_SG_EEES6_PlJS6_EEE10hipError_tPvRmT3_T4_T5_T6_T7_T9_mT8_P12ihipStream_tbDpT10_ENKUlT_T0_E_clISt17integral_constantIbLb1EES1A_IbLb0EEEEDaS16_S17_EUlS16_E_NS1_11comp_targetILNS1_3genE0ELNS1_11target_archE4294967295ELNS1_3gpuE0ELNS1_3repE0EEENS1_30default_config_static_selectorELNS0_4arch9wavefront6targetE1EEEvT1_: ; @_ZN7rocprim17ROCPRIM_400000_NS6detail17trampoline_kernelINS0_14default_configENS1_25partition_config_selectorILNS1_17partition_subalgoE1EyNS0_10empty_typeEbEEZZNS1_14partition_implILS5_1ELb0ES3_jN6thrust23THRUST_200600_302600_NS6detail15normal_iteratorINSA_10device_ptrIyEEEEPS6_NSA_18transform_iteratorI7is_evenIyESF_NSA_11use_defaultESK_EENS0_5tupleIJSF_NSA_16discard_iteratorISK_EEEEENSM_IJSG_SG_EEES6_PlJS6_EEE10hipError_tPvRmT3_T4_T5_T6_T7_T9_mT8_P12ihipStream_tbDpT10_ENKUlT_T0_E_clISt17integral_constantIbLb1EES1A_IbLb0EEEEDaS16_S17_EUlS16_E_NS1_11comp_targetILNS1_3genE0ELNS1_11target_archE4294967295ELNS1_3gpuE0ELNS1_3repE0EEENS1_30default_config_static_selectorELNS0_4arch9wavefront6targetE1EEEvT1_
; %bb.0:
	.section	.rodata,"a",@progbits
	.p2align	6, 0x0
	.amdhsa_kernel _ZN7rocprim17ROCPRIM_400000_NS6detail17trampoline_kernelINS0_14default_configENS1_25partition_config_selectorILNS1_17partition_subalgoE1EyNS0_10empty_typeEbEEZZNS1_14partition_implILS5_1ELb0ES3_jN6thrust23THRUST_200600_302600_NS6detail15normal_iteratorINSA_10device_ptrIyEEEEPS6_NSA_18transform_iteratorI7is_evenIyESF_NSA_11use_defaultESK_EENS0_5tupleIJSF_NSA_16discard_iteratorISK_EEEEENSM_IJSG_SG_EEES6_PlJS6_EEE10hipError_tPvRmT3_T4_T5_T6_T7_T9_mT8_P12ihipStream_tbDpT10_ENKUlT_T0_E_clISt17integral_constantIbLb1EES1A_IbLb0EEEEDaS16_S17_EUlS16_E_NS1_11comp_targetILNS1_3genE0ELNS1_11target_archE4294967295ELNS1_3gpuE0ELNS1_3repE0EEENS1_30default_config_static_selectorELNS0_4arch9wavefront6targetE1EEEvT1_
		.amdhsa_group_segment_fixed_size 0
		.amdhsa_private_segment_fixed_size 0
		.amdhsa_kernarg_size 136
		.amdhsa_user_sgpr_count 2
		.amdhsa_user_sgpr_dispatch_ptr 0
		.amdhsa_user_sgpr_queue_ptr 0
		.amdhsa_user_sgpr_kernarg_segment_ptr 1
		.amdhsa_user_sgpr_dispatch_id 0
		.amdhsa_user_sgpr_kernarg_preload_length 0
		.amdhsa_user_sgpr_kernarg_preload_offset 0
		.amdhsa_user_sgpr_private_segment_size 0
		.amdhsa_uses_dynamic_stack 0
		.amdhsa_enable_private_segment 0
		.amdhsa_system_sgpr_workgroup_id_x 1
		.amdhsa_system_sgpr_workgroup_id_y 0
		.amdhsa_system_sgpr_workgroup_id_z 0
		.amdhsa_system_sgpr_workgroup_info 0
		.amdhsa_system_vgpr_workitem_id 0
		.amdhsa_next_free_vgpr 1
		.amdhsa_next_free_sgpr 0
		.amdhsa_accum_offset 4
		.amdhsa_reserve_vcc 0
		.amdhsa_float_round_mode_32 0
		.amdhsa_float_round_mode_16_64 0
		.amdhsa_float_denorm_mode_32 3
		.amdhsa_float_denorm_mode_16_64 3
		.amdhsa_dx10_clamp 1
		.amdhsa_ieee_mode 1
		.amdhsa_fp16_overflow 0
		.amdhsa_tg_split 0
		.amdhsa_exception_fp_ieee_invalid_op 0
		.amdhsa_exception_fp_denorm_src 0
		.amdhsa_exception_fp_ieee_div_zero 0
		.amdhsa_exception_fp_ieee_overflow 0
		.amdhsa_exception_fp_ieee_underflow 0
		.amdhsa_exception_fp_ieee_inexact 0
		.amdhsa_exception_int_div_zero 0
	.end_amdhsa_kernel
	.section	.text._ZN7rocprim17ROCPRIM_400000_NS6detail17trampoline_kernelINS0_14default_configENS1_25partition_config_selectorILNS1_17partition_subalgoE1EyNS0_10empty_typeEbEEZZNS1_14partition_implILS5_1ELb0ES3_jN6thrust23THRUST_200600_302600_NS6detail15normal_iteratorINSA_10device_ptrIyEEEEPS6_NSA_18transform_iteratorI7is_evenIyESF_NSA_11use_defaultESK_EENS0_5tupleIJSF_NSA_16discard_iteratorISK_EEEEENSM_IJSG_SG_EEES6_PlJS6_EEE10hipError_tPvRmT3_T4_T5_T6_T7_T9_mT8_P12ihipStream_tbDpT10_ENKUlT_T0_E_clISt17integral_constantIbLb1EES1A_IbLb0EEEEDaS16_S17_EUlS16_E_NS1_11comp_targetILNS1_3genE0ELNS1_11target_archE4294967295ELNS1_3gpuE0ELNS1_3repE0EEENS1_30default_config_static_selectorELNS0_4arch9wavefront6targetE1EEEvT1_,"axG",@progbits,_ZN7rocprim17ROCPRIM_400000_NS6detail17trampoline_kernelINS0_14default_configENS1_25partition_config_selectorILNS1_17partition_subalgoE1EyNS0_10empty_typeEbEEZZNS1_14partition_implILS5_1ELb0ES3_jN6thrust23THRUST_200600_302600_NS6detail15normal_iteratorINSA_10device_ptrIyEEEEPS6_NSA_18transform_iteratorI7is_evenIyESF_NSA_11use_defaultESK_EENS0_5tupleIJSF_NSA_16discard_iteratorISK_EEEEENSM_IJSG_SG_EEES6_PlJS6_EEE10hipError_tPvRmT3_T4_T5_T6_T7_T9_mT8_P12ihipStream_tbDpT10_ENKUlT_T0_E_clISt17integral_constantIbLb1EES1A_IbLb0EEEEDaS16_S17_EUlS16_E_NS1_11comp_targetILNS1_3genE0ELNS1_11target_archE4294967295ELNS1_3gpuE0ELNS1_3repE0EEENS1_30default_config_static_selectorELNS0_4arch9wavefront6targetE1EEEvT1_,comdat
.Lfunc_end2923:
	.size	_ZN7rocprim17ROCPRIM_400000_NS6detail17trampoline_kernelINS0_14default_configENS1_25partition_config_selectorILNS1_17partition_subalgoE1EyNS0_10empty_typeEbEEZZNS1_14partition_implILS5_1ELb0ES3_jN6thrust23THRUST_200600_302600_NS6detail15normal_iteratorINSA_10device_ptrIyEEEEPS6_NSA_18transform_iteratorI7is_evenIyESF_NSA_11use_defaultESK_EENS0_5tupleIJSF_NSA_16discard_iteratorISK_EEEEENSM_IJSG_SG_EEES6_PlJS6_EEE10hipError_tPvRmT3_T4_T5_T6_T7_T9_mT8_P12ihipStream_tbDpT10_ENKUlT_T0_E_clISt17integral_constantIbLb1EES1A_IbLb0EEEEDaS16_S17_EUlS16_E_NS1_11comp_targetILNS1_3genE0ELNS1_11target_archE4294967295ELNS1_3gpuE0ELNS1_3repE0EEENS1_30default_config_static_selectorELNS0_4arch9wavefront6targetE1EEEvT1_, .Lfunc_end2923-_ZN7rocprim17ROCPRIM_400000_NS6detail17trampoline_kernelINS0_14default_configENS1_25partition_config_selectorILNS1_17partition_subalgoE1EyNS0_10empty_typeEbEEZZNS1_14partition_implILS5_1ELb0ES3_jN6thrust23THRUST_200600_302600_NS6detail15normal_iteratorINSA_10device_ptrIyEEEEPS6_NSA_18transform_iteratorI7is_evenIyESF_NSA_11use_defaultESK_EENS0_5tupleIJSF_NSA_16discard_iteratorISK_EEEEENSM_IJSG_SG_EEES6_PlJS6_EEE10hipError_tPvRmT3_T4_T5_T6_T7_T9_mT8_P12ihipStream_tbDpT10_ENKUlT_T0_E_clISt17integral_constantIbLb1EES1A_IbLb0EEEEDaS16_S17_EUlS16_E_NS1_11comp_targetILNS1_3genE0ELNS1_11target_archE4294967295ELNS1_3gpuE0ELNS1_3repE0EEENS1_30default_config_static_selectorELNS0_4arch9wavefront6targetE1EEEvT1_
                                        ; -- End function
	.section	.AMDGPU.csdata,"",@progbits
; Kernel info:
; codeLenInByte = 0
; NumSgprs: 6
; NumVgprs: 0
; NumAgprs: 0
; TotalNumVgprs: 0
; ScratchSize: 0
; MemoryBound: 0
; FloatMode: 240
; IeeeMode: 1
; LDSByteSize: 0 bytes/workgroup (compile time only)
; SGPRBlocks: 0
; VGPRBlocks: 0
; NumSGPRsForWavesPerEU: 6
; NumVGPRsForWavesPerEU: 1
; AccumOffset: 4
; Occupancy: 8
; WaveLimiterHint : 0
; COMPUTE_PGM_RSRC2:SCRATCH_EN: 0
; COMPUTE_PGM_RSRC2:USER_SGPR: 2
; COMPUTE_PGM_RSRC2:TRAP_HANDLER: 0
; COMPUTE_PGM_RSRC2:TGID_X_EN: 1
; COMPUTE_PGM_RSRC2:TGID_Y_EN: 0
; COMPUTE_PGM_RSRC2:TGID_Z_EN: 0
; COMPUTE_PGM_RSRC2:TIDIG_COMP_CNT: 0
; COMPUTE_PGM_RSRC3_GFX90A:ACCUM_OFFSET: 0
; COMPUTE_PGM_RSRC3_GFX90A:TG_SPLIT: 0
	.section	.text._ZN7rocprim17ROCPRIM_400000_NS6detail17trampoline_kernelINS0_14default_configENS1_25partition_config_selectorILNS1_17partition_subalgoE1EyNS0_10empty_typeEbEEZZNS1_14partition_implILS5_1ELb0ES3_jN6thrust23THRUST_200600_302600_NS6detail15normal_iteratorINSA_10device_ptrIyEEEEPS6_NSA_18transform_iteratorI7is_evenIyESF_NSA_11use_defaultESK_EENS0_5tupleIJSF_NSA_16discard_iteratorISK_EEEEENSM_IJSG_SG_EEES6_PlJS6_EEE10hipError_tPvRmT3_T4_T5_T6_T7_T9_mT8_P12ihipStream_tbDpT10_ENKUlT_T0_E_clISt17integral_constantIbLb1EES1A_IbLb0EEEEDaS16_S17_EUlS16_E_NS1_11comp_targetILNS1_3genE5ELNS1_11target_archE942ELNS1_3gpuE9ELNS1_3repE0EEENS1_30default_config_static_selectorELNS0_4arch9wavefront6targetE1EEEvT1_,"axG",@progbits,_ZN7rocprim17ROCPRIM_400000_NS6detail17trampoline_kernelINS0_14default_configENS1_25partition_config_selectorILNS1_17partition_subalgoE1EyNS0_10empty_typeEbEEZZNS1_14partition_implILS5_1ELb0ES3_jN6thrust23THRUST_200600_302600_NS6detail15normal_iteratorINSA_10device_ptrIyEEEEPS6_NSA_18transform_iteratorI7is_evenIyESF_NSA_11use_defaultESK_EENS0_5tupleIJSF_NSA_16discard_iteratorISK_EEEEENSM_IJSG_SG_EEES6_PlJS6_EEE10hipError_tPvRmT3_T4_T5_T6_T7_T9_mT8_P12ihipStream_tbDpT10_ENKUlT_T0_E_clISt17integral_constantIbLb1EES1A_IbLb0EEEEDaS16_S17_EUlS16_E_NS1_11comp_targetILNS1_3genE5ELNS1_11target_archE942ELNS1_3gpuE9ELNS1_3repE0EEENS1_30default_config_static_selectorELNS0_4arch9wavefront6targetE1EEEvT1_,comdat
	.protected	_ZN7rocprim17ROCPRIM_400000_NS6detail17trampoline_kernelINS0_14default_configENS1_25partition_config_selectorILNS1_17partition_subalgoE1EyNS0_10empty_typeEbEEZZNS1_14partition_implILS5_1ELb0ES3_jN6thrust23THRUST_200600_302600_NS6detail15normal_iteratorINSA_10device_ptrIyEEEEPS6_NSA_18transform_iteratorI7is_evenIyESF_NSA_11use_defaultESK_EENS0_5tupleIJSF_NSA_16discard_iteratorISK_EEEEENSM_IJSG_SG_EEES6_PlJS6_EEE10hipError_tPvRmT3_T4_T5_T6_T7_T9_mT8_P12ihipStream_tbDpT10_ENKUlT_T0_E_clISt17integral_constantIbLb1EES1A_IbLb0EEEEDaS16_S17_EUlS16_E_NS1_11comp_targetILNS1_3genE5ELNS1_11target_archE942ELNS1_3gpuE9ELNS1_3repE0EEENS1_30default_config_static_selectorELNS0_4arch9wavefront6targetE1EEEvT1_ ; -- Begin function _ZN7rocprim17ROCPRIM_400000_NS6detail17trampoline_kernelINS0_14default_configENS1_25partition_config_selectorILNS1_17partition_subalgoE1EyNS0_10empty_typeEbEEZZNS1_14partition_implILS5_1ELb0ES3_jN6thrust23THRUST_200600_302600_NS6detail15normal_iteratorINSA_10device_ptrIyEEEEPS6_NSA_18transform_iteratorI7is_evenIyESF_NSA_11use_defaultESK_EENS0_5tupleIJSF_NSA_16discard_iteratorISK_EEEEENSM_IJSG_SG_EEES6_PlJS6_EEE10hipError_tPvRmT3_T4_T5_T6_T7_T9_mT8_P12ihipStream_tbDpT10_ENKUlT_T0_E_clISt17integral_constantIbLb1EES1A_IbLb0EEEEDaS16_S17_EUlS16_E_NS1_11comp_targetILNS1_3genE5ELNS1_11target_archE942ELNS1_3gpuE9ELNS1_3repE0EEENS1_30default_config_static_selectorELNS0_4arch9wavefront6targetE1EEEvT1_
	.globl	_ZN7rocprim17ROCPRIM_400000_NS6detail17trampoline_kernelINS0_14default_configENS1_25partition_config_selectorILNS1_17partition_subalgoE1EyNS0_10empty_typeEbEEZZNS1_14partition_implILS5_1ELb0ES3_jN6thrust23THRUST_200600_302600_NS6detail15normal_iteratorINSA_10device_ptrIyEEEEPS6_NSA_18transform_iteratorI7is_evenIyESF_NSA_11use_defaultESK_EENS0_5tupleIJSF_NSA_16discard_iteratorISK_EEEEENSM_IJSG_SG_EEES6_PlJS6_EEE10hipError_tPvRmT3_T4_T5_T6_T7_T9_mT8_P12ihipStream_tbDpT10_ENKUlT_T0_E_clISt17integral_constantIbLb1EES1A_IbLb0EEEEDaS16_S17_EUlS16_E_NS1_11comp_targetILNS1_3genE5ELNS1_11target_archE942ELNS1_3gpuE9ELNS1_3repE0EEENS1_30default_config_static_selectorELNS0_4arch9wavefront6targetE1EEEvT1_
	.p2align	8
	.type	_ZN7rocprim17ROCPRIM_400000_NS6detail17trampoline_kernelINS0_14default_configENS1_25partition_config_selectorILNS1_17partition_subalgoE1EyNS0_10empty_typeEbEEZZNS1_14partition_implILS5_1ELb0ES3_jN6thrust23THRUST_200600_302600_NS6detail15normal_iteratorINSA_10device_ptrIyEEEEPS6_NSA_18transform_iteratorI7is_evenIyESF_NSA_11use_defaultESK_EENS0_5tupleIJSF_NSA_16discard_iteratorISK_EEEEENSM_IJSG_SG_EEES6_PlJS6_EEE10hipError_tPvRmT3_T4_T5_T6_T7_T9_mT8_P12ihipStream_tbDpT10_ENKUlT_T0_E_clISt17integral_constantIbLb1EES1A_IbLb0EEEEDaS16_S17_EUlS16_E_NS1_11comp_targetILNS1_3genE5ELNS1_11target_archE942ELNS1_3gpuE9ELNS1_3repE0EEENS1_30default_config_static_selectorELNS0_4arch9wavefront6targetE1EEEvT1_,@function
_ZN7rocprim17ROCPRIM_400000_NS6detail17trampoline_kernelINS0_14default_configENS1_25partition_config_selectorILNS1_17partition_subalgoE1EyNS0_10empty_typeEbEEZZNS1_14partition_implILS5_1ELb0ES3_jN6thrust23THRUST_200600_302600_NS6detail15normal_iteratorINSA_10device_ptrIyEEEEPS6_NSA_18transform_iteratorI7is_evenIyESF_NSA_11use_defaultESK_EENS0_5tupleIJSF_NSA_16discard_iteratorISK_EEEEENSM_IJSG_SG_EEES6_PlJS6_EEE10hipError_tPvRmT3_T4_T5_T6_T7_T9_mT8_P12ihipStream_tbDpT10_ENKUlT_T0_E_clISt17integral_constantIbLb1EES1A_IbLb0EEEEDaS16_S17_EUlS16_E_NS1_11comp_targetILNS1_3genE5ELNS1_11target_archE942ELNS1_3gpuE9ELNS1_3repE0EEENS1_30default_config_static_selectorELNS0_4arch9wavefront6targetE1EEEvT1_: ; @_ZN7rocprim17ROCPRIM_400000_NS6detail17trampoline_kernelINS0_14default_configENS1_25partition_config_selectorILNS1_17partition_subalgoE1EyNS0_10empty_typeEbEEZZNS1_14partition_implILS5_1ELb0ES3_jN6thrust23THRUST_200600_302600_NS6detail15normal_iteratorINSA_10device_ptrIyEEEEPS6_NSA_18transform_iteratorI7is_evenIyESF_NSA_11use_defaultESK_EENS0_5tupleIJSF_NSA_16discard_iteratorISK_EEEEENSM_IJSG_SG_EEES6_PlJS6_EEE10hipError_tPvRmT3_T4_T5_T6_T7_T9_mT8_P12ihipStream_tbDpT10_ENKUlT_T0_E_clISt17integral_constantIbLb1EES1A_IbLb0EEEEDaS16_S17_EUlS16_E_NS1_11comp_targetILNS1_3genE5ELNS1_11target_archE942ELNS1_3gpuE9ELNS1_3repE0EEENS1_30default_config_static_selectorELNS0_4arch9wavefront6targetE1EEEvT1_
; %bb.0:
	s_load_dwordx2 s[4:5], s[0:1], 0x68
	s_load_dwordx4 s[12:15], s[0:1], 0x8
	s_load_dwordx2 s[6:7], s[0:1], 0x20
	s_load_dwordx4 s[20:23], s[0:1], 0x58
	s_load_dword s3, s[0:1], 0x80
	s_waitcnt lgkmcnt(0)
	v_mov_b32_e32 v3, s5
	s_lshl_b64 s[8:9], s[14:15], 3
	s_add_u32 s12, s12, s8
	s_addc_u32 s13, s13, s9
	s_add_i32 s16, s3, -1
	s_mulk_i32 s3, 0xe00
	s_add_i32 s5, s3, s14
	s_sub_i32 s33, s4, s5
	s_addk_i32 s33, 0xe00
	v_mov_b32_e32 v2, s4
	s_add_u32 s4, s14, s3
	s_addc_u32 s5, s15, 0
	s_cmp_eq_u32 s2, s16
	s_load_dwordx2 s[22:23], s[22:23], 0x0
	s_cselect_b64 s[24:25], -1, 0
	s_cmp_lg_u32 s2, s16
	s_mul_i32 s10, s2, 0xe00
	s_mov_b32 s11, 0
	v_cmp_lt_u64_e32 vcc, s[4:5], v[2:3]
	s_cselect_b64 s[4:5], -1, 0
	s_or_b64 s[26:27], s[4:5], vcc
	s_lshl_b64 s[10:11], s[10:11], 3
	s_add_u32 s12, s12, s10
	s_addc_u32 s13, s13, s11
	s_mov_b64 s[4:5], -1
	s_and_b64 vcc, exec, s[26:27]
	v_lshlrev_b32_e32 v18, 3, v0
	s_cbranch_vccz .LBB2924_2
; %bb.1:
	v_mov_b32_e32 v19, 0
	v_lshl_add_u64 v[2:3], s[12:13], 0, v[18:19]
	v_add_co_u32_e32 v4, vcc, 0x1000, v2
	s_mov_b64 s[4:5], 0
	s_nop 0
	v_addc_co_u32_e32 v5, vcc, 0, v3, vcc
	v_add_co_u32_e32 v6, vcc, 0x2000, v2
	s_nop 1
	v_addc_co_u32_e32 v7, vcc, 0, v3, vcc
	v_add_co_u32_e32 v8, vcc, 0x3000, v2
	s_nop 1
	v_addc_co_u32_e32 v9, vcc, 0, v3, vcc
	flat_load_dwordx2 v[10:11], v[2:3]
	flat_load_dwordx2 v[12:13], v[4:5]
	;; [unrolled: 1-line block ×4, first 2 shown]
	v_add_co_u32_e32 v4, vcc, 0x4000, v2
	s_nop 1
	v_addc_co_u32_e32 v5, vcc, 0, v3, vcc
	v_add_co_u32_e32 v6, vcc, 0x5000, v2
	s_nop 1
	v_addc_co_u32_e32 v7, vcc, 0, v3, vcc
	v_add_co_u32_e32 v2, vcc, 0x6000, v2
	s_nop 1
	v_addc_co_u32_e32 v3, vcc, 0, v3, vcc
	flat_load_dwordx2 v[8:9], v[4:5]
	flat_load_dwordx2 v[20:21], v[6:7]
	;; [unrolled: 1-line block ×3, first 2 shown]
	s_waitcnt vmcnt(0) lgkmcnt(0)
	ds_write2st64_b64 v18, v[10:11], v[12:13] offset1:8
	ds_write2st64_b64 v18, v[14:15], v[16:17] offset0:16 offset1:24
	ds_write2st64_b64 v18, v[8:9], v[20:21] offset0:32 offset1:40
	ds_write_b64 v18, v[22:23] offset:24576
	s_waitcnt lgkmcnt(0)
	s_barrier
.LBB2924_2:
	s_andn2_b64 vcc, exec, s[4:5]
	v_cmp_gt_u32_e64 s[4:5], s33, v0
	s_cbranch_vccnz .LBB2924_18
; %bb.3:
                                        ; implicit-def: $vgpr2_vgpr3_vgpr4_vgpr5_vgpr6_vgpr7_vgpr8_vgpr9_vgpr10_vgpr11_vgpr12_vgpr13_vgpr14_vgpr15_vgpr16_vgpr17
	s_and_saveexec_b64 s[14:15], s[4:5]
	s_cbranch_execz .LBB2924_5
; %bb.4:
	v_mov_b32_e32 v19, 0
	v_lshl_add_u64 v[2:3], s[12:13], 0, v[18:19]
	flat_load_dwordx2 v[2:3], v[2:3]
.LBB2924_5:
	s_or_b64 exec, exec, s[14:15]
	v_or_b32_e32 v1, 0x200, v0
	v_cmp_gt_u32_e32 vcc, s33, v1
	s_and_saveexec_b64 s[4:5], vcc
	s_cbranch_execz .LBB2924_7
; %bb.6:
	v_lshlrev_b32_e32 v4, 3, v1
	v_mov_b32_e32 v5, 0
	v_lshl_add_u64 v[4:5], s[12:13], 0, v[4:5]
	flat_load_dwordx2 v[4:5], v[4:5]
.LBB2924_7:
	s_or_b64 exec, exec, s[4:5]
	v_or_b32_e32 v1, 0x400, v0
	v_cmp_gt_u32_e32 vcc, s33, v1
	s_and_saveexec_b64 s[4:5], vcc
	s_cbranch_execz .LBB2924_9
; %bb.8:
	v_lshlrev_b32_e32 v6, 3, v1
	v_mov_b32_e32 v7, 0
	v_lshl_add_u64 v[6:7], s[12:13], 0, v[6:7]
	flat_load_dwordx2 v[6:7], v[6:7]
.LBB2924_9:
	;; [unrolled: 11-line block ×6, first 2 shown]
	s_or_b64 exec, exec, s[4:5]
	s_waitcnt vmcnt(0) lgkmcnt(0)
	ds_write2st64_b64 v18, v[2:3], v[4:5] offset1:8
	ds_write2st64_b64 v18, v[6:7], v[8:9] offset0:16 offset1:24
	ds_write2st64_b64 v18, v[10:11], v[12:13] offset0:32 offset1:40
	ds_write_b64 v18, v[14:15] offset:24576
	s_waitcnt lgkmcnt(0)
	s_barrier
.LBB2924_18:
	v_mul_u32_u24_e32 v1, 7, v0
	v_lshlrev_b32_e32 v16, 3, v1
	s_waitcnt lgkmcnt(0)
	ds_read2_b64 v[10:13], v16 offset1:1
	ds_read2_b64 v[6:9], v16 offset0:2 offset1:3
	ds_read2_b64 v[2:5], v16 offset0:4 offset1:5
	ds_read_b64 v[14:15], v16 offset:48
	s_add_u32 s3, s6, s8
	s_addc_u32 s5, s7, s9
	s_add_u32 s4, s3, s10
	s_addc_u32 s5, s5, s11
	s_mov_b64 s[6:7], -1
	s_and_b64 vcc, exec, s[26:27]
	s_waitcnt lgkmcnt(0)
	s_barrier
	s_cbranch_vccz .LBB2924_20
; %bb.19:
	v_mov_b32_e32 v19, 0
	v_lshl_add_u64 v[20:21], s[4:5], 0, v[18:19]
	v_add_co_u32_e32 v24, vcc, 0x1000, v20
	global_load_dwordx2 v[22:23], v18, s[4:5]
	s_nop 0
	v_addc_co_u32_e32 v25, vcc, 0, v21, vcc
	v_add_co_u32_e32 v26, vcc, 0x2000, v20
	s_mov_b64 s[6:7], 0
	s_nop 0
	v_addc_co_u32_e32 v27, vcc, 0, v21, vcc
	v_add_co_u32_e32 v28, vcc, 0x3000, v20
	s_waitcnt vmcnt(0)
	v_xor_b32_e32 v17, -1, v22
	v_addc_co_u32_e32 v29, vcc, 0, v21, vcc
	v_add_co_u32_e32 v30, vcc, 0x4000, v20
	v_and_b32_e32 v17, 1, v17
	s_nop 0
	v_addc_co_u32_e32 v31, vcc, 0, v21, vcc
	global_load_dwordx2 v[32:33], v[24:25], off
	global_load_dwordx2 v[34:35], v[26:27], off
	;; [unrolled: 1-line block ×4, first 2 shown]
	v_add_co_u32_e32 v24, vcc, 0x5000, v20
	ds_write_b8 v0, v17
	s_nop 0
	v_addc_co_u32_e32 v25, vcc, 0, v21, vcc
	v_add_co_u32_e32 v20, vcc, 0x6000, v20
	global_load_dwordx2 v[24:25], v[24:25], off
	s_nop 0
	v_addc_co_u32_e32 v21, vcc, 0, v21, vcc
	global_load_dwordx2 v[20:21], v[20:21], off
	s_waitcnt vmcnt(5)
	v_xor_b32_e32 v17, -1, v32
	v_and_b32_e32 v17, 1, v17
	s_waitcnt vmcnt(4)
	v_xor_b32_e32 v19, -1, v34
	s_waitcnt vmcnt(0)
	v_xor_b32_e32 v21, -1, v36
	v_and_b32_e32 v19, 1, v19
	ds_write_b8 v0, v17 offset:512
	v_and_b32_e32 v17, 1, v21
	v_xor_b32_e32 v21, -1, v38
	ds_write_b8 v0, v19 offset:1024
	v_and_b32_e32 v19, 1, v21
	ds_write_b8 v0, v17 offset:1536
	v_xor_b32_e32 v21, -1, v24
	v_and_b32_e32 v17, 1, v21
	ds_write_b8 v0, v19 offset:2048
	v_xor_b32_e32 v20, -1, v20
	v_and_b32_e32 v19, 1, v20
	ds_write_b8 v0, v17 offset:2560
	ds_write_b8 v0, v19 offset:3072
	s_waitcnt lgkmcnt(0)
	s_barrier
.LBB2924_20:
	s_load_dwordx2 s[28:29], s[0:1], 0x78
	s_andn2_b64 vcc, exec, s[6:7]
	s_cbranch_vccnz .LBB2924_36
; %bb.21:
	v_cmp_gt_u32_e32 vcc, s33, v0
	v_mov_b32_e32 v17, 0
	v_mov_b32_e32 v19, 0
	s_and_saveexec_b64 s[6:7], vcc
	s_cbranch_execz .LBB2924_23
; %bb.22:
	global_load_dwordx2 v[20:21], v18, s[4:5]
	s_waitcnt vmcnt(0)
	v_xor_b32_e32 v19, -1, v20
	v_and_b32_e32 v19, 1, v19
.LBB2924_23:
	s_or_b64 exec, exec, s[6:7]
	v_or_b32_e32 v20, 0x200, v0
	v_cmp_gt_u32_e32 vcc, s33, v20
	s_and_saveexec_b64 s[6:7], vcc
	s_cbranch_execz .LBB2924_25
; %bb.24:
	v_lshlrev_b32_e32 v17, 3, v20
	global_load_dwordx2 v[20:21], v17, s[4:5]
	s_waitcnt vmcnt(0)
	v_xor_b32_e32 v17, -1, v20
	v_and_b32_e32 v17, 1, v17
.LBB2924_25:
	s_or_b64 exec, exec, s[6:7]
	v_or_b32_e32 v22, 0x400, v0
	v_cmp_gt_u32_e32 vcc, s33, v22
	v_mov_b32_e32 v20, 0
	v_mov_b32_e32 v21, 0
	s_and_saveexec_b64 s[6:7], vcc
	s_cbranch_execz .LBB2924_27
; %bb.26:
	v_lshlrev_b32_e32 v21, 3, v22
	global_load_dwordx2 v[22:23], v21, s[4:5]
	s_waitcnt vmcnt(0)
	v_xor_b32_e32 v21, -1, v22
	v_and_b32_e32 v21, 1, v21
.LBB2924_27:
	s_or_b64 exec, exec, s[6:7]
	v_or_b32_e32 v22, 0x600, v0
	v_cmp_gt_u32_e32 vcc, s33, v22
	s_and_saveexec_b64 s[6:7], vcc
	s_cbranch_execz .LBB2924_29
; %bb.28:
	v_lshlrev_b32_e32 v20, 3, v22
	global_load_dwordx2 v[22:23], v20, s[4:5]
	s_waitcnt vmcnt(0)
	v_xor_b32_e32 v20, -1, v22
	v_and_b32_e32 v20, 1, v20
.LBB2924_29:
	s_or_b64 exec, exec, s[6:7]
	v_or_b32_e32 v24, 0x800, v0
	v_cmp_gt_u32_e32 vcc, s33, v24
	v_mov_b32_e32 v22, 0
	v_mov_b32_e32 v23, 0
	s_and_saveexec_b64 s[6:7], vcc
	s_cbranch_execz .LBB2924_31
; %bb.30:
	v_lshlrev_b32_e32 v23, 3, v24
	global_load_dwordx2 v[24:25], v23, s[4:5]
	s_waitcnt vmcnt(0)
	v_xor_b32_e32 v23, -1, v24
	v_and_b32_e32 v23, 1, v23
.LBB2924_31:
	s_or_b64 exec, exec, s[6:7]
	v_or_b32_e32 v24, 0xa00, v0
	v_cmp_gt_u32_e32 vcc, s33, v24
	s_and_saveexec_b64 s[6:7], vcc
	s_cbranch_execz .LBB2924_33
; %bb.32:
	v_lshlrev_b32_e32 v22, 3, v24
	global_load_dwordx2 v[24:25], v22, s[4:5]
	s_waitcnt vmcnt(0)
	v_xor_b32_e32 v22, -1, v24
	v_and_b32_e32 v22, 1, v22
.LBB2924_33:
	s_or_b64 exec, exec, s[6:7]
	v_or_b32_e32 v25, 0xc00, v0
	v_cmp_gt_u32_e32 vcc, s33, v25
	v_mov_b32_e32 v24, 0
	s_and_saveexec_b64 s[6:7], vcc
	s_cbranch_execz .LBB2924_35
; %bb.34:
	v_lshlrev_b32_e32 v24, 3, v25
	global_load_dwordx2 v[24:25], v24, s[4:5]
	s_waitcnt vmcnt(0)
	v_xor_b32_e32 v24, -1, v24
	v_and_b32_e32 v24, 1, v24
.LBB2924_35:
	s_or_b64 exec, exec, s[6:7]
	ds_write_b8 v0, v19
	ds_write_b8 v0, v17 offset:512
	ds_write_b8 v0, v21 offset:1024
	;; [unrolled: 1-line block ×6, first 2 shown]
	s_waitcnt lgkmcnt(0)
	s_barrier
.LBB2924_36:
	s_movk_i32 s3, 0xffcf
	v_mad_i32_i24 v35, v0, s3, v16
	s_waitcnt lgkmcnt(0)
	ds_read_u8 v16, v35
	ds_read_u8 v17, v35 offset:1
	ds_read_u8 v19, v35 offset:2
	;; [unrolled: 1-line block ×6, first 2 shown]
	s_waitcnt lgkmcnt(6)
	v_and_b32_e32 v33, 1, v16
	s_waitcnt lgkmcnt(5)
	v_and_b32_e32 v32, 1, v17
	;; [unrolled: 2-line block ×5, first 2 shown]
	v_add3_u32 v16, v32, v33, v31
	s_waitcnt lgkmcnt(1)
	v_and_b32_e32 v28, 1, v22
	s_waitcnt lgkmcnt(0)
	v_and_b32_e32 v19, 1, v23
	v_add3_u32 v16, v16, v30, v29
	v_add3_u32 v37, v16, v28, v19
	v_mbcnt_lo_u32_b32 v16, -1, 0
	v_mbcnt_hi_u32_b32 v34, -1, v16
	v_and_b32_e32 v16, 15, v34
	v_cmp_eq_u32_e64 s[14:15], 0, v16
	v_cmp_lt_u32_e64 s[12:13], 1, v16
	v_cmp_lt_u32_e64 s[10:11], 3, v16
	;; [unrolled: 1-line block ×3, first 2 shown]
	v_and_b32_e32 v16, 16, v34
	v_cmp_eq_u32_e64 s[6:7], 0, v16
	v_or_b32_e32 v16, 63, v0
	s_cmp_lg_u32 s2, 0
	v_cmp_lt_u32_e64 s[18:19], 31, v34
	v_lshrrev_b32_e32 v36, 6, v0
	v_cmp_eq_u32_e64 s[4:5], v16, v0
	s_barrier
	s_cbranch_scc0 .LBB2924_67
; %bb.37:
	v_mov_b32_dpp v16, v37 row_shr:1 row_mask:0xf bank_mask:0xf
	v_cndmask_b32_e64 v16, v16, 0, s[14:15]
	v_add_u32_e32 v16, v16, v37
	s_nop 1
	v_mov_b32_dpp v17, v16 row_shr:2 row_mask:0xf bank_mask:0xf
	v_cndmask_b32_e64 v17, 0, v17, s[12:13]
	v_add_u32_e32 v16, v16, v17
	s_nop 1
	;; [unrolled: 4-line block ×4, first 2 shown]
	v_mov_b32_dpp v17, v16 row_bcast:15 row_mask:0xf bank_mask:0xf
	v_cndmask_b32_e64 v17, v17, 0, s[6:7]
	v_add_u32_e32 v16, v16, v17
	s_nop 1
	v_mov_b32_dpp v17, v16 row_bcast:31 row_mask:0xf bank_mask:0xf
	v_cndmask_b32_e64 v17, 0, v17, s[18:19]
	v_add_u32_e32 v16, v16, v17
	s_and_saveexec_b64 s[16:17], s[4:5]
	s_cbranch_execz .LBB2924_39
; %bb.38:
	v_lshlrev_b32_e32 v17, 2, v36
	ds_write_b32 v17, v16
.LBB2924_39:
	s_or_b64 exec, exec, s[16:17]
	v_cmp_gt_u32_e32 vcc, 8, v0
	s_waitcnt lgkmcnt(0)
	s_barrier
	s_and_saveexec_b64 s[16:17], vcc
	s_cbranch_execz .LBB2924_41
; %bb.40:
	v_lshlrev_b32_e32 v17, 2, v0
	ds_read_b32 v20, v17
	v_and_b32_e32 v21, 7, v34
	v_cmp_ne_u32_e32 vcc, 0, v21
	s_waitcnt lgkmcnt(0)
	v_mov_b32_dpp v22, v20 row_shr:1 row_mask:0xf bank_mask:0xf
	v_cndmask_b32_e32 v22, 0, v22, vcc
	v_add_u32_e32 v20, v22, v20
	v_cmp_lt_u32_e32 vcc, 1, v21
	s_nop 0
	v_mov_b32_dpp v22, v20 row_shr:2 row_mask:0xf bank_mask:0xf
	v_cndmask_b32_e32 v22, 0, v22, vcc
	v_add_u32_e32 v20, v20, v22
	v_cmp_lt_u32_e32 vcc, 3, v21
	s_nop 0
	v_mov_b32_dpp v22, v20 row_shr:4 row_mask:0xf bank_mask:0xf
	v_cndmask_b32_e32 v21, 0, v22, vcc
	v_add_u32_e32 v20, v20, v21
	ds_write_b32 v17, v20
.LBB2924_41:
	s_or_b64 exec, exec, s[16:17]
	v_cmp_gt_u32_e32 vcc, 64, v0
	v_cmp_lt_u32_e64 s[16:17], 63, v0
	s_waitcnt lgkmcnt(0)
	s_barrier
	s_waitcnt lgkmcnt(0)
                                        ; implicit-def: $vgpr38
	s_and_saveexec_b64 s[30:31], s[16:17]
	s_cbranch_execz .LBB2924_43
; %bb.42:
	v_lshl_add_u32 v17, v36, 2, -4
	ds_read_b32 v38, v17
	s_waitcnt lgkmcnt(0)
	v_add_u32_e32 v16, v38, v16
.LBB2924_43:
	s_or_b64 exec, exec, s[30:31]
	v_add_u32_e32 v17, -1, v34
	v_and_b32_e32 v20, 64, v34
	v_cmp_lt_i32_e64 s[16:17], v17, v20
	s_nop 1
	v_cndmask_b32_e64 v17, v17, v34, s[16:17]
	v_lshlrev_b32_e32 v17, 2, v17
	ds_bpermute_b32 v39, v17, v16
	v_cmp_eq_u32_e64 s[16:17], 0, v34
	s_and_saveexec_b64 s[30:31], vcc
	s_cbranch_execz .LBB2924_66
; %bb.44:
	v_mov_b32_e32 v27, 0
	ds_read_b32 v16, v27 offset:28
	s_and_saveexec_b64 s[34:35], s[16:17]
	s_cbranch_execz .LBB2924_46
; %bb.45:
	s_add_i32 s36, s2, 64
	s_mov_b32 s37, 0
	s_lshl_b64 s[36:37], s[36:37], 3
	s_add_u32 s36, s28, s36
	v_mov_b32_e32 v17, 1
	s_addc_u32 s37, s29, s37
	s_waitcnt lgkmcnt(0)
	global_store_dwordx2 v27, v[16:17], s[36:37] sc1
.LBB2924_46:
	s_or_b64 exec, exec, s[34:35]
	v_xad_u32 v20, v34, -1, s2
	v_add_u32_e32 v26, 64, v20
	v_lshl_add_u64 v[22:23], v[26:27], 3, s[28:29]
	global_load_dwordx2 v[24:25], v[22:23], off sc1
	s_waitcnt vmcnt(0)
	v_cmp_eq_u16_sdwa s[36:37], v25, v27 src0_sel:BYTE_0 src1_sel:DWORD
	s_and_saveexec_b64 s[34:35], s[36:37]
	s_cbranch_execz .LBB2924_52
; %bb.47:
	s_mov_b32 s3, 1
	s_mov_b64 s[36:37], 0
	v_mov_b32_e32 v17, 0
.LBB2924_48:                            ; =>This Loop Header: Depth=1
                                        ;     Child Loop BB2924_49 Depth 2
	s_max_u32 s38, s3, 1
.LBB2924_49:                            ;   Parent Loop BB2924_48 Depth=1
                                        ; =>  This Inner Loop Header: Depth=2
	s_add_i32 s38, s38, -1
	s_cmp_eq_u32 s38, 0
	s_sleep 1
	s_cbranch_scc0 .LBB2924_49
; %bb.50:                               ;   in Loop: Header=BB2924_48 Depth=1
	global_load_dwordx2 v[24:25], v[22:23], off sc1
	s_cmp_lt_u32 s3, 32
	s_cselect_b64 s[38:39], -1, 0
	s_cmp_lg_u64 s[38:39], 0
	s_addc_u32 s3, s3, 0
	s_waitcnt vmcnt(0)
	v_cmp_ne_u16_sdwa s[38:39], v25, v17 src0_sel:BYTE_0 src1_sel:DWORD
	s_or_b64 s[36:37], s[38:39], s[36:37]
	s_andn2_b64 exec, exec, s[36:37]
	s_cbranch_execnz .LBB2924_48
; %bb.51:
	s_or_b64 exec, exec, s[36:37]
.LBB2924_52:
	s_or_b64 exec, exec, s[34:35]
	v_and_b32_e32 v41, 63, v34
	v_mov_b32_e32 v40, 2
	v_cmp_ne_u32_e32 vcc, 63, v41
	v_cmp_eq_u16_sdwa s[34:35], v25, v40 src0_sel:BYTE_0 src1_sel:DWORD
	v_lshlrev_b64 v[22:23], v34, -1
	v_addc_co_u32_e32 v26, vcc, 0, v34, vcc
	v_and_b32_e32 v17, s35, v23
	v_lshlrev_b32_e32 v42, 2, v26
	v_or_b32_e32 v17, 0x80000000, v17
	ds_bpermute_b32 v26, v42, v24
	v_and_b32_e32 v21, s34, v22
	v_ffbl_b32_e32 v17, v17
	v_add_u32_e32 v17, 32, v17
	v_ffbl_b32_e32 v21, v21
	v_min_u32_e32 v17, v21, v17
	v_cmp_lt_u32_e32 vcc, v41, v17
	v_add_u32_e32 v44, 2, v41
	v_add_u32_e32 v46, 4, v41
	s_waitcnt lgkmcnt(0)
	v_cndmask_b32_e32 v21, 0, v26, vcc
	v_cmp_gt_u32_e32 vcc, 62, v41
	v_add_u32_e32 v21, v21, v24
	v_add_u32_e32 v48, 8, v41
	v_cndmask_b32_e64 v24, 0, 1, vcc
	v_lshlrev_b32_e32 v24, 1, v24
	v_add_lshl_u32 v43, v24, v34, 2
	ds_bpermute_b32 v24, v43, v21
	v_cmp_le_u32_e32 vcc, v44, v17
	v_add_u32_e32 v50, 16, v41
	v_add_u32_e32 v52, 32, v41
	s_waitcnt lgkmcnt(0)
	v_cndmask_b32_e32 v24, 0, v24, vcc
	v_cmp_gt_u32_e32 vcc, 60, v41
	v_add_u32_e32 v21, v21, v24
	s_nop 0
	v_cndmask_b32_e64 v24, 0, 1, vcc
	v_lshlrev_b32_e32 v24, 2, v24
	v_add_lshl_u32 v45, v24, v34, 2
	ds_bpermute_b32 v24, v45, v21
	v_cmp_le_u32_e32 vcc, v46, v17
	s_waitcnt lgkmcnt(0)
	s_nop 0
	v_cndmask_b32_e32 v24, 0, v24, vcc
	v_cmp_gt_u32_e32 vcc, 56, v41
	v_add_u32_e32 v21, v21, v24
	s_nop 0
	v_cndmask_b32_e64 v24, 0, 1, vcc
	v_lshlrev_b32_e32 v24, 3, v24
	v_add_lshl_u32 v47, v24, v34, 2
	ds_bpermute_b32 v24, v47, v21
	v_cmp_le_u32_e32 vcc, v48, v17
	s_waitcnt lgkmcnt(0)
	s_nop 0
	;; [unrolled: 11-line block ×4, first 2 shown]
	v_cndmask_b32_e32 v17, 0, v24, vcc
	v_add_u32_e32 v24, v21, v17
	v_mov_b32_e32 v21, 0
	s_branch .LBB2924_54
.LBB2924_53:                            ;   in Loop: Header=BB2924_54 Depth=1
	s_or_b64 exec, exec, s[34:35]
	v_cmp_eq_u16_sdwa s[34:35], v25, v40 src0_sel:BYTE_0 src1_sel:DWORD
	ds_bpermute_b32 v53, v42, v24
	v_subrev_u32_e32 v20, 64, v20
	v_and_b32_e32 v26, s35, v23
	v_or_b32_e32 v26, 0x80000000, v26
	v_and_b32_e32 v27, s34, v22
	v_ffbl_b32_e32 v26, v26
	v_add_u32_e32 v26, 32, v26
	v_ffbl_b32_e32 v27, v27
	v_min_u32_e32 v26, v27, v26
	v_cmp_lt_u32_e32 vcc, v41, v26
	s_waitcnt lgkmcnt(0)
	s_nop 0
	v_cndmask_b32_e32 v27, 0, v53, vcc
	v_add_u32_e32 v24, v27, v24
	ds_bpermute_b32 v27, v43, v24
	v_cmp_le_u32_e32 vcc, v44, v26
	s_waitcnt lgkmcnt(0)
	s_nop 0
	v_cndmask_b32_e32 v27, 0, v27, vcc
	v_add_u32_e32 v24, v24, v27
	ds_bpermute_b32 v27, v45, v24
	v_cmp_le_u32_e32 vcc, v46, v26
	;; [unrolled: 6-line block ×5, first 2 shown]
	s_waitcnt lgkmcnt(0)
	s_nop 0
	v_cndmask_b32_e32 v26, 0, v27, vcc
	v_add3_u32 v24, v26, v17, v24
.LBB2924_54:                            ; =>This Loop Header: Depth=1
                                        ;     Child Loop BB2924_57 Depth 2
                                        ;       Child Loop BB2924_58 Depth 3
	v_cmp_ne_u16_sdwa s[34:35], v25, v40 src0_sel:BYTE_0 src1_sel:DWORD
	s_nop 1
	v_cndmask_b32_e64 v17, 0, 1, s[34:35]
	;;#ASMSTART
	;;#ASMEND
	s_nop 0
	v_cmp_ne_u32_e32 vcc, 0, v17
	s_cmp_lg_u64 vcc, exec
	v_mov_b32_e32 v17, v24
	s_cbranch_scc1 .LBB2924_61
; %bb.55:                               ;   in Loop: Header=BB2924_54 Depth=1
	v_lshl_add_u64 v[26:27], v[20:21], 3, s[28:29]
	global_load_dwordx2 v[24:25], v[26:27], off sc1
	s_waitcnt vmcnt(0)
	v_cmp_eq_u16_sdwa s[36:37], v25, v21 src0_sel:BYTE_0 src1_sel:DWORD
	s_and_saveexec_b64 s[34:35], s[36:37]
	s_cbranch_execz .LBB2924_53
; %bb.56:                               ;   in Loop: Header=BB2924_54 Depth=1
	s_mov_b32 s3, 1
	s_mov_b64 s[36:37], 0
.LBB2924_57:                            ;   Parent Loop BB2924_54 Depth=1
                                        ; =>  This Loop Header: Depth=2
                                        ;       Child Loop BB2924_58 Depth 3
	s_max_u32 s38, s3, 1
.LBB2924_58:                            ;   Parent Loop BB2924_54 Depth=1
                                        ;     Parent Loop BB2924_57 Depth=2
                                        ; =>    This Inner Loop Header: Depth=3
	s_add_i32 s38, s38, -1
	s_cmp_eq_u32 s38, 0
	s_sleep 1
	s_cbranch_scc0 .LBB2924_58
; %bb.59:                               ;   in Loop: Header=BB2924_57 Depth=2
	global_load_dwordx2 v[24:25], v[26:27], off sc1
	s_cmp_lt_u32 s3, 32
	s_cselect_b64 s[38:39], -1, 0
	s_cmp_lg_u64 s[38:39], 0
	s_addc_u32 s3, s3, 0
	s_waitcnt vmcnt(0)
	v_cmp_ne_u16_sdwa s[38:39], v25, v21 src0_sel:BYTE_0 src1_sel:DWORD
	s_or_b64 s[36:37], s[38:39], s[36:37]
	s_andn2_b64 exec, exec, s[36:37]
	s_cbranch_execnz .LBB2924_57
; %bb.60:                               ;   in Loop: Header=BB2924_54 Depth=1
	s_or_b64 exec, exec, s[36:37]
	s_branch .LBB2924_53
.LBB2924_61:                            ;   in Loop: Header=BB2924_54 Depth=1
                                        ; implicit-def: $vgpr24
                                        ; implicit-def: $vgpr25
	s_cbranch_execz .LBB2924_54
; %bb.62:
	s_and_saveexec_b64 s[34:35], s[16:17]
	s_cbranch_execz .LBB2924_64
; %bb.63:
	s_add_i32 s2, s2, 64
	s_mov_b32 s3, 0
	s_lshl_b64 s[2:3], s[2:3], 3
	s_add_u32 s2, s28, s2
	v_add_u32_e32 v20, v17, v16
	v_mov_b32_e32 v21, 2
	s_addc_u32 s3, s29, s3
	v_mov_b32_e32 v22, 0
	global_store_dwordx2 v22, v[20:21], s[2:3] sc1
	ds_write_b64 v22, v[16:17] offset:28672
.LBB2924_64:
	s_or_b64 exec, exec, s[34:35]
	v_cmp_eq_u32_e32 vcc, 0, v0
	s_and_b64 exec, exec, vcc
	s_cbranch_execz .LBB2924_66
; %bb.65:
	v_mov_b32_e32 v16, 0
	ds_write_b32 v16, v17 offset:28
.LBB2924_66:
	s_or_b64 exec, exec, s[30:31]
	v_mov_b32_e32 v16, 0
	s_waitcnt lgkmcnt(0)
	s_barrier
	ds_read_b32 v17, v16 offset:28
	v_cndmask_b32_e64 v20, v39, v38, s[16:17]
	v_cmp_ne_u32_e32 vcc, 0, v0
	s_waitcnt lgkmcnt(0)
	s_barrier
	v_cndmask_b32_e32 v20, 0, v20, vcc
	v_add_u32_e32 v27, v17, v20
	v_add_u32_e32 v26, v27, v33
	ds_read_b64 v[16:17], v16 offset:28672
	v_add_u32_e32 v25, v26, v32
	v_add_u32_e32 v23, v25, v31
	;; [unrolled: 1-line block ×5, first 2 shown]
	s_waitcnt lgkmcnt(0)
	v_mov_b32_e32 v20, v17
	s_load_dwordx2 s[2:3], s[0:1], 0x30
	s_branch .LBB2924_77
.LBB2924_67:
                                        ; implicit-def: $vgpr20
                                        ; implicit-def: $vgpr16
                                        ; implicit-def: $vgpr21
                                        ; implicit-def: $vgpr22
                                        ; implicit-def: $vgpr24
                                        ; implicit-def: $vgpr23
                                        ; implicit-def: $vgpr25
                                        ; implicit-def: $vgpr26
                                        ; implicit-def: $vgpr27
	s_load_dwordx2 s[2:3], s[0:1], 0x30
	s_cbranch_execz .LBB2924_77
; %bb.68:
	v_mov_b32_dpp v16, v37 row_shr:1 row_mask:0xf bank_mask:0xf
	v_cndmask_b32_e64 v16, v16, 0, s[14:15]
	v_add_u32_e32 v16, v16, v37
	s_nop 1
	v_mov_b32_dpp v17, v16 row_shr:2 row_mask:0xf bank_mask:0xf
	v_cndmask_b32_e64 v17, 0, v17, s[12:13]
	v_add_u32_e32 v16, v16, v17
	s_nop 1
	v_mov_b32_dpp v17, v16 row_shr:4 row_mask:0xf bank_mask:0xf
	v_cndmask_b32_e64 v17, 0, v17, s[10:11]
	v_add_u32_e32 v16, v16, v17
	s_nop 1
	v_mov_b32_dpp v17, v16 row_shr:8 row_mask:0xf bank_mask:0xf
	v_cndmask_b32_e64 v17, 0, v17, s[8:9]
	v_add_u32_e32 v16, v16, v17
	s_nop 1
	v_mov_b32_dpp v17, v16 row_bcast:15 row_mask:0xf bank_mask:0xf
	v_cndmask_b32_e64 v17, v17, 0, s[6:7]
	v_add_u32_e32 v16, v16, v17
	s_nop 1
	v_mov_b32_dpp v17, v16 row_bcast:31 row_mask:0xf bank_mask:0xf
	v_cndmask_b32_e64 v17, 0, v17, s[18:19]
	v_add_u32_e32 v16, v16, v17
	s_and_saveexec_b64 s[0:1], s[4:5]
	s_cbranch_execz .LBB2924_70
; %bb.69:
	v_lshlrev_b32_e32 v17, 2, v36
	ds_write_b32 v17, v16
.LBB2924_70:
	s_or_b64 exec, exec, s[0:1]
	v_cmp_gt_u32_e32 vcc, 8, v0
	s_waitcnt lgkmcnt(0)
	s_barrier
	s_and_saveexec_b64 s[0:1], vcc
	s_cbranch_execz .LBB2924_72
; %bb.71:
	v_mad_i32_i24 v17, v0, -3, v35
	ds_read_b32 v20, v17
	v_and_b32_e32 v21, 7, v34
	v_cmp_ne_u32_e32 vcc, 0, v21
	s_waitcnt lgkmcnt(0)
	v_mov_b32_dpp v22, v20 row_shr:1 row_mask:0xf bank_mask:0xf
	v_cndmask_b32_e32 v22, 0, v22, vcc
	v_add_u32_e32 v20, v22, v20
	v_cmp_lt_u32_e32 vcc, 1, v21
	s_nop 0
	v_mov_b32_dpp v22, v20 row_shr:2 row_mask:0xf bank_mask:0xf
	v_cndmask_b32_e32 v22, 0, v22, vcc
	v_add_u32_e32 v20, v20, v22
	v_cmp_lt_u32_e32 vcc, 3, v21
	s_nop 0
	v_mov_b32_dpp v22, v20 row_shr:4 row_mask:0xf bank_mask:0xf
	v_cndmask_b32_e32 v21, 0, v22, vcc
	v_add_u32_e32 v20, v20, v21
	ds_write_b32 v17, v20
.LBB2924_72:
	s_or_b64 exec, exec, s[0:1]
	v_cmp_lt_u32_e32 vcc, 63, v0
	v_mov_b32_e32 v17, 0
	v_mov_b32_e32 v20, 0
	s_waitcnt lgkmcnt(0)
	s_barrier
	s_and_saveexec_b64 s[0:1], vcc
	s_cbranch_execz .LBB2924_74
; %bb.73:
	v_lshl_add_u32 v20, v36, 2, -4
	ds_read_b32 v20, v20
.LBB2924_74:
	s_or_b64 exec, exec, s[0:1]
	v_add_u32_e32 v21, -1, v34
	v_and_b32_e32 v22, 64, v34
	v_cmp_lt_i32_e32 vcc, v21, v22
	s_waitcnt lgkmcnt(0)
	v_add_u32_e32 v16, v20, v16
	v_cndmask_b32_e32 v21, v21, v34, vcc
	v_lshlrev_b32_e32 v21, 2, v21
	ds_bpermute_b32 v21, v21, v16
	ds_read_b32 v16, v17 offset:28
	v_cmp_eq_u32_e32 vcc, 0, v0
	s_and_saveexec_b64 s[0:1], vcc
	s_cbranch_execz .LBB2924_76
; %bb.75:
	v_mov_b32_e32 v22, 0
	v_mov_b32_e32 v17, 2
	s_waitcnt lgkmcnt(0)
	global_store_dwordx2 v22, v[16:17], s[28:29] offset:512 sc1
.LBB2924_76:
	s_or_b64 exec, exec, s[0:1]
	v_cmp_eq_u32_e64 s[0:1], 0, v34
	s_waitcnt lgkmcnt(0)
	s_barrier
	v_cndmask_b32_e64 v17, v21, v20, s[0:1]
	v_cndmask_b32_e64 v27, v17, 0, vcc
	v_add_u32_e32 v26, v27, v33
	v_add_u32_e32 v25, v26, v32
	;; [unrolled: 1-line block ×5, first 2 shown]
	v_mov_b32_e32 v20, 0
	v_add_u32_e32 v21, v22, v28
.LBB2924_77:
	v_add_u32_e32 v1, v16, v1
	v_sub_u32_e32 v17, v27, v20
	v_sub_u32_e32 v27, v1, v17
	v_cmp_eq_u32_e32 vcc, 1, v33
	s_nop 1
	v_cndmask_b32_e32 v17, v27, v17, vcc
	v_lshlrev_b32_e32 v17, 3, v17
	ds_write_b64 v17, v[10:11]
	v_sub_u32_e32 v10, v26, v20
	v_sub_u32_e32 v11, v1, v10
	v_add_u32_e32 v11, 1, v11
	v_cmp_eq_u32_e32 vcc, 1, v32
	v_or_b32_e32 v26, 0x200, v0
	v_or_b32_e32 v17, 0xa00, v0
	v_cndmask_b32_e32 v10, v11, v10, vcc
	v_lshlrev_b32_e32 v10, 3, v10
	ds_write_b64 v10, v[12:13]
	v_sub_u32_e32 v10, v25, v20
	v_sub_u32_e32 v11, v1, v10
	v_add_u32_e32 v11, 2, v11
	v_cmp_eq_u32_e32 vcc, 1, v31
	v_or_b32_e32 v25, 0x400, v0
	s_nop 0
	v_cndmask_b32_e32 v10, v11, v10, vcc
	v_lshlrev_b32_e32 v10, 3, v10
	ds_write_b64 v10, v[6:7]
	v_sub_u32_e32 v6, v23, v20
	v_sub_u32_e32 v7, v1, v6
	v_add_u32_e32 v7, 3, v7
	v_cmp_eq_u32_e32 vcc, 1, v30
	s_nop 1
	v_cndmask_b32_e32 v6, v7, v6, vcc
	v_lshlrev_b32_e32 v6, 3, v6
	ds_write_b64 v6, v[8:9]
	v_sub_u32_e32 v6, v24, v20
	v_sub_u32_e32 v7, v1, v6
	v_add_u32_e32 v7, 4, v7
	v_cmp_eq_u32_e32 vcc, 1, v29
	v_or_b32_e32 v24, 0x600, v0
	s_nop 0
	v_cndmask_b32_e32 v6, v7, v6, vcc
	v_lshlrev_b32_e32 v6, 3, v6
	ds_write_b64 v6, v[2:3]
	v_sub_u32_e32 v2, v22, v20
	v_sub_u32_e32 v3, v1, v2
	v_add_u32_e32 v3, 5, v3
	v_cmp_eq_u32_e32 vcc, 1, v28
	s_nop 1
	v_cndmask_b32_e32 v2, v3, v2, vcc
	v_lshlrev_b32_e32 v2, 3, v2
	ds_write_b64 v2, v[4:5]
	v_sub_u32_e32 v2, v21, v20
	v_sub_u32_e32 v1, v1, v2
	v_add_u32_e32 v1, 6, v1
	v_cmp_eq_u32_e32 vcc, 1, v19
	v_or_b32_e32 v19, 0x800, v0
	s_nop 0
	v_cndmask_b32_e32 v1, v1, v2, vcc
	v_lshlrev_b32_e32 v1, 3, v1
	ds_write_b64 v1, v[14:15]
	s_waitcnt lgkmcnt(0)
	s_barrier
	ds_read2st64_b64 v[10:13], v18 offset1:8
	ds_read2st64_b64 v[6:9], v18 offset0:16 offset1:24
	ds_read2st64_b64 v[2:5], v18 offset0:32 offset1:40
	ds_read_b64 v[14:15], v18 offset:24576
	s_andn2_b64 vcc, exec, s[26:27]
	v_or_b32_e32 v1, 0xc00, v0
	s_cbranch_vccnz .LBB2924_86
; %bb.78:
	s_lshl_b64 s[0:1], s[22:23], 3
	v_mov_b32_e32 v21, 0
	s_add_u32 s0, s2, s0
	s_addc_u32 s1, s3, s1
	v_lshlrev_b64 v[22:23], 3, v[20:21]
	v_lshl_add_u64 v[22:23], s[0:1], 0, v[22:23]
	v_cmp_lt_u32_e32 vcc, v0, v16
	s_and_saveexec_b64 s[0:1], vcc
	s_cbranch_execnz .LBB2924_100
; %bb.79:
	s_or_b64 exec, exec, s[0:1]
	v_cmp_lt_u32_e32 vcc, v26, v16
	s_and_saveexec_b64 s[0:1], vcc
	s_cbranch_execnz .LBB2924_101
.LBB2924_80:
	s_or_b64 exec, exec, s[0:1]
	v_cmp_lt_u32_e32 vcc, v25, v16
	s_and_saveexec_b64 s[0:1], vcc
	s_cbranch_execnz .LBB2924_102
.LBB2924_81:
	s_or_b64 exec, exec, s[0:1]
	v_cmp_lt_u32_e32 vcc, v24, v16
	s_and_saveexec_b64 s[0:1], vcc
	s_cbranch_execnz .LBB2924_103
.LBB2924_82:
	s_or_b64 exec, exec, s[0:1]
	v_cmp_lt_u32_e32 vcc, v19, v16
	s_and_saveexec_b64 s[0:1], vcc
	s_cbranch_execnz .LBB2924_104
.LBB2924_83:
	s_or_b64 exec, exec, s[0:1]
	v_cmp_lt_u32_e32 vcc, v17, v16
	s_and_saveexec_b64 s[0:1], vcc
	s_cbranch_execz .LBB2924_85
.LBB2924_84:
	v_lshlrev_b32_e32 v21, 3, v17
	v_readfirstlane_b32 s4, v22
	v_readfirstlane_b32 s5, v23
	s_waitcnt lgkmcnt(1)
	s_nop 3
	global_store_dwordx2 v21, v[4:5], s[4:5]
.LBB2924_85:
	s_or_b64 exec, exec, s[0:1]
	v_cmp_lt_u32_e64 s[0:1], v1, v16
	s_branch .LBB2924_95
.LBB2924_86:
	s_mov_b64 s[0:1], 0
                                        ; implicit-def: $vgpr22_vgpr23
	s_cbranch_execz .LBB2924_95
; %bb.87:
	s_lshl_b64 s[0:1], s[22:23], 3
	v_mov_b32_e32 v21, 0
	s_add_u32 s0, s2, s0
	v_min_u32_e32 v27, s33, v16
	s_addc_u32 s1, s3, s1
	v_lshlrev_b64 v[22:23], 3, v[20:21]
	v_lshl_add_u64 v[22:23], s[0:1], 0, v[22:23]
	v_cmp_gt_u32_e32 vcc, v27, v0
	s_and_saveexec_b64 s[0:1], vcc
	s_cbranch_execnz .LBB2924_105
; %bb.88:
	s_or_b64 exec, exec, s[0:1]
	v_cmp_lt_u32_e32 vcc, v26, v27
	s_and_saveexec_b64 s[0:1], vcc
	s_cbranch_execnz .LBB2924_106
.LBB2924_89:
	s_or_b64 exec, exec, s[0:1]
	v_cmp_lt_u32_e32 vcc, v25, v27
	s_and_saveexec_b64 s[0:1], vcc
	s_cbranch_execnz .LBB2924_107
.LBB2924_90:
	s_or_b64 exec, exec, s[0:1]
	v_cmp_lt_u32_e32 vcc, v24, v27
	s_and_saveexec_b64 s[0:1], vcc
	s_cbranch_execnz .LBB2924_108
.LBB2924_91:
	s_or_b64 exec, exec, s[0:1]
	v_cmp_lt_u32_e32 vcc, v19, v27
	s_and_saveexec_b64 s[0:1], vcc
	s_cbranch_execnz .LBB2924_109
.LBB2924_92:
	s_or_b64 exec, exec, s[0:1]
	v_cmp_lt_u32_e32 vcc, v17, v27
	s_and_saveexec_b64 s[0:1], vcc
	s_cbranch_execz .LBB2924_94
.LBB2924_93:
	s_waitcnt lgkmcnt(1)
	v_lshlrev_b32_e32 v2, 3, v17
	v_readfirstlane_b32 s2, v22
	v_readfirstlane_b32 s3, v23
	s_nop 4
	global_store_dwordx2 v2, v[4:5], s[2:3]
.LBB2924_94:
	s_or_b64 exec, exec, s[0:1]
	v_cmp_lt_u32_e64 s[0:1], v1, v27
.LBB2924_95:
	s_and_saveexec_b64 s[2:3], s[0:1]
	s_cbranch_execz .LBB2924_97
; %bb.96:
	v_lshlrev_b32_e32 v1, 3, v1
	v_readfirstlane_b32 s0, v22
	v_readfirstlane_b32 s1, v23
	s_waitcnt lgkmcnt(0)
	s_nop 3
	global_store_dwordx2 v1, v[14:15], s[0:1]
.LBB2924_97:
	s_or_b64 exec, exec, s[2:3]
	v_cmp_eq_u32_e32 vcc, 0, v0
	s_and_b64 s[0:1], vcc, s[24:25]
	s_and_saveexec_b64 s[2:3], s[0:1]
	s_cbranch_execz .LBB2924_99
; %bb.98:
	v_mov_b32_e32 v17, 0
	v_lshl_add_u64 v[0:1], s[22:23], 0, v[16:17]
	v_mov_b32_e32 v21, v17
	v_lshl_add_u64 v[0:1], v[0:1], 0, v[20:21]
	global_store_dwordx2 v17, v[0:1], s[20:21]
.LBB2924_99:
	s_endpgm
.LBB2924_100:
	v_readfirstlane_b32 s4, v22
	v_readfirstlane_b32 s5, v23
	s_waitcnt lgkmcnt(3)
	s_nop 3
	global_store_dwordx2 v18, v[10:11], s[4:5]
	s_or_b64 exec, exec, s[0:1]
	v_cmp_lt_u32_e32 vcc, v26, v16
	s_and_saveexec_b64 s[0:1], vcc
	s_cbranch_execz .LBB2924_80
.LBB2924_101:
	v_lshlrev_b32_e32 v21, 3, v26
	v_readfirstlane_b32 s4, v22
	v_readfirstlane_b32 s5, v23
	s_waitcnt lgkmcnt(3)
	s_nop 3
	global_store_dwordx2 v21, v[12:13], s[4:5]
	s_or_b64 exec, exec, s[0:1]
	v_cmp_lt_u32_e32 vcc, v25, v16
	s_and_saveexec_b64 s[0:1], vcc
	s_cbranch_execz .LBB2924_81
.LBB2924_102:
	v_lshlrev_b32_e32 v21, 3, v25
	v_readfirstlane_b32 s4, v22
	v_readfirstlane_b32 s5, v23
	s_waitcnt lgkmcnt(2)
	s_nop 3
	global_store_dwordx2 v21, v[6:7], s[4:5]
	s_or_b64 exec, exec, s[0:1]
	v_cmp_lt_u32_e32 vcc, v24, v16
	s_and_saveexec_b64 s[0:1], vcc
	s_cbranch_execz .LBB2924_82
.LBB2924_103:
	v_lshlrev_b32_e32 v21, 3, v24
	v_readfirstlane_b32 s4, v22
	v_readfirstlane_b32 s5, v23
	s_waitcnt lgkmcnt(2)
	s_nop 3
	global_store_dwordx2 v21, v[8:9], s[4:5]
	s_or_b64 exec, exec, s[0:1]
	v_cmp_lt_u32_e32 vcc, v19, v16
	s_and_saveexec_b64 s[0:1], vcc
	s_cbranch_execz .LBB2924_83
.LBB2924_104:
	v_lshlrev_b32_e32 v21, 3, v19
	v_readfirstlane_b32 s4, v22
	v_readfirstlane_b32 s5, v23
	s_waitcnt lgkmcnt(1)
	s_nop 3
	global_store_dwordx2 v21, v[2:3], s[4:5]
	s_or_b64 exec, exec, s[0:1]
	v_cmp_lt_u32_e32 vcc, v17, v16
	s_and_saveexec_b64 s[0:1], vcc
	s_cbranch_execnz .LBB2924_84
	s_branch .LBB2924_85
.LBB2924_105:
	v_readfirstlane_b32 s2, v22
	v_readfirstlane_b32 s3, v23
	s_waitcnt lgkmcnt(3)
	s_nop 3
	global_store_dwordx2 v18, v[10:11], s[2:3]
	s_or_b64 exec, exec, s[0:1]
	v_cmp_lt_u32_e32 vcc, v26, v27
	s_and_saveexec_b64 s[0:1], vcc
	s_cbranch_execz .LBB2924_89
.LBB2924_106:
	s_waitcnt lgkmcnt(3)
	v_lshlrev_b32_e32 v10, 3, v26
	v_readfirstlane_b32 s2, v22
	v_readfirstlane_b32 s3, v23
	s_nop 4
	global_store_dwordx2 v10, v[12:13], s[2:3]
	s_or_b64 exec, exec, s[0:1]
	v_cmp_lt_u32_e32 vcc, v25, v27
	s_and_saveexec_b64 s[0:1], vcc
	s_cbranch_execz .LBB2924_90
.LBB2924_107:
	s_waitcnt lgkmcnt(3)
	v_lshlrev_b32_e32 v10, 3, v25
	v_readfirstlane_b32 s2, v22
	v_readfirstlane_b32 s3, v23
	s_waitcnt lgkmcnt(2)
	s_nop 3
	global_store_dwordx2 v10, v[6:7], s[2:3]
	s_or_b64 exec, exec, s[0:1]
	v_cmp_lt_u32_e32 vcc, v24, v27
	s_and_saveexec_b64 s[0:1], vcc
	s_cbranch_execz .LBB2924_91
.LBB2924_108:
	s_waitcnt lgkmcnt(2)
	v_lshlrev_b32_e32 v6, 3, v24
	v_readfirstlane_b32 s2, v22
	v_readfirstlane_b32 s3, v23
	s_nop 4
	global_store_dwordx2 v6, v[8:9], s[2:3]
	s_or_b64 exec, exec, s[0:1]
	v_cmp_lt_u32_e32 vcc, v19, v27
	s_and_saveexec_b64 s[0:1], vcc
	s_cbranch_execz .LBB2924_92
.LBB2924_109:
	s_waitcnt lgkmcnt(2)
	v_lshlrev_b32_e32 v6, 3, v19
	v_readfirstlane_b32 s2, v22
	v_readfirstlane_b32 s3, v23
	s_waitcnt lgkmcnt(1)
	s_nop 3
	global_store_dwordx2 v6, v[2:3], s[2:3]
	s_or_b64 exec, exec, s[0:1]
	v_cmp_lt_u32_e32 vcc, v17, v27
	s_and_saveexec_b64 s[0:1], vcc
	s_cbranch_execnz .LBB2924_93
	s_branch .LBB2924_94
	.section	.rodata,"a",@progbits
	.p2align	6, 0x0
	.amdhsa_kernel _ZN7rocprim17ROCPRIM_400000_NS6detail17trampoline_kernelINS0_14default_configENS1_25partition_config_selectorILNS1_17partition_subalgoE1EyNS0_10empty_typeEbEEZZNS1_14partition_implILS5_1ELb0ES3_jN6thrust23THRUST_200600_302600_NS6detail15normal_iteratorINSA_10device_ptrIyEEEEPS6_NSA_18transform_iteratorI7is_evenIyESF_NSA_11use_defaultESK_EENS0_5tupleIJSF_NSA_16discard_iteratorISK_EEEEENSM_IJSG_SG_EEES6_PlJS6_EEE10hipError_tPvRmT3_T4_T5_T6_T7_T9_mT8_P12ihipStream_tbDpT10_ENKUlT_T0_E_clISt17integral_constantIbLb1EES1A_IbLb0EEEEDaS16_S17_EUlS16_E_NS1_11comp_targetILNS1_3genE5ELNS1_11target_archE942ELNS1_3gpuE9ELNS1_3repE0EEENS1_30default_config_static_selectorELNS0_4arch9wavefront6targetE1EEEvT1_
		.amdhsa_group_segment_fixed_size 28680
		.amdhsa_private_segment_fixed_size 0
		.amdhsa_kernarg_size 136
		.amdhsa_user_sgpr_count 2
		.amdhsa_user_sgpr_dispatch_ptr 0
		.amdhsa_user_sgpr_queue_ptr 0
		.amdhsa_user_sgpr_kernarg_segment_ptr 1
		.amdhsa_user_sgpr_dispatch_id 0
		.amdhsa_user_sgpr_kernarg_preload_length 0
		.amdhsa_user_sgpr_kernarg_preload_offset 0
		.amdhsa_user_sgpr_private_segment_size 0
		.amdhsa_uses_dynamic_stack 0
		.amdhsa_enable_private_segment 0
		.amdhsa_system_sgpr_workgroup_id_x 1
		.amdhsa_system_sgpr_workgroup_id_y 0
		.amdhsa_system_sgpr_workgroup_id_z 0
		.amdhsa_system_sgpr_workgroup_info 0
		.amdhsa_system_vgpr_workitem_id 0
		.amdhsa_next_free_vgpr 54
		.amdhsa_next_free_sgpr 40
		.amdhsa_accum_offset 56
		.amdhsa_reserve_vcc 1
		.amdhsa_float_round_mode_32 0
		.amdhsa_float_round_mode_16_64 0
		.amdhsa_float_denorm_mode_32 3
		.amdhsa_float_denorm_mode_16_64 3
		.amdhsa_dx10_clamp 1
		.amdhsa_ieee_mode 1
		.amdhsa_fp16_overflow 0
		.amdhsa_tg_split 0
		.amdhsa_exception_fp_ieee_invalid_op 0
		.amdhsa_exception_fp_denorm_src 0
		.amdhsa_exception_fp_ieee_div_zero 0
		.amdhsa_exception_fp_ieee_overflow 0
		.amdhsa_exception_fp_ieee_underflow 0
		.amdhsa_exception_fp_ieee_inexact 0
		.amdhsa_exception_int_div_zero 0
	.end_amdhsa_kernel
	.section	.text._ZN7rocprim17ROCPRIM_400000_NS6detail17trampoline_kernelINS0_14default_configENS1_25partition_config_selectorILNS1_17partition_subalgoE1EyNS0_10empty_typeEbEEZZNS1_14partition_implILS5_1ELb0ES3_jN6thrust23THRUST_200600_302600_NS6detail15normal_iteratorINSA_10device_ptrIyEEEEPS6_NSA_18transform_iteratorI7is_evenIyESF_NSA_11use_defaultESK_EENS0_5tupleIJSF_NSA_16discard_iteratorISK_EEEEENSM_IJSG_SG_EEES6_PlJS6_EEE10hipError_tPvRmT3_T4_T5_T6_T7_T9_mT8_P12ihipStream_tbDpT10_ENKUlT_T0_E_clISt17integral_constantIbLb1EES1A_IbLb0EEEEDaS16_S17_EUlS16_E_NS1_11comp_targetILNS1_3genE5ELNS1_11target_archE942ELNS1_3gpuE9ELNS1_3repE0EEENS1_30default_config_static_selectorELNS0_4arch9wavefront6targetE1EEEvT1_,"axG",@progbits,_ZN7rocprim17ROCPRIM_400000_NS6detail17trampoline_kernelINS0_14default_configENS1_25partition_config_selectorILNS1_17partition_subalgoE1EyNS0_10empty_typeEbEEZZNS1_14partition_implILS5_1ELb0ES3_jN6thrust23THRUST_200600_302600_NS6detail15normal_iteratorINSA_10device_ptrIyEEEEPS6_NSA_18transform_iteratorI7is_evenIyESF_NSA_11use_defaultESK_EENS0_5tupleIJSF_NSA_16discard_iteratorISK_EEEEENSM_IJSG_SG_EEES6_PlJS6_EEE10hipError_tPvRmT3_T4_T5_T6_T7_T9_mT8_P12ihipStream_tbDpT10_ENKUlT_T0_E_clISt17integral_constantIbLb1EES1A_IbLb0EEEEDaS16_S17_EUlS16_E_NS1_11comp_targetILNS1_3genE5ELNS1_11target_archE942ELNS1_3gpuE9ELNS1_3repE0EEENS1_30default_config_static_selectorELNS0_4arch9wavefront6targetE1EEEvT1_,comdat
.Lfunc_end2924:
	.size	_ZN7rocprim17ROCPRIM_400000_NS6detail17trampoline_kernelINS0_14default_configENS1_25partition_config_selectorILNS1_17partition_subalgoE1EyNS0_10empty_typeEbEEZZNS1_14partition_implILS5_1ELb0ES3_jN6thrust23THRUST_200600_302600_NS6detail15normal_iteratorINSA_10device_ptrIyEEEEPS6_NSA_18transform_iteratorI7is_evenIyESF_NSA_11use_defaultESK_EENS0_5tupleIJSF_NSA_16discard_iteratorISK_EEEEENSM_IJSG_SG_EEES6_PlJS6_EEE10hipError_tPvRmT3_T4_T5_T6_T7_T9_mT8_P12ihipStream_tbDpT10_ENKUlT_T0_E_clISt17integral_constantIbLb1EES1A_IbLb0EEEEDaS16_S17_EUlS16_E_NS1_11comp_targetILNS1_3genE5ELNS1_11target_archE942ELNS1_3gpuE9ELNS1_3repE0EEENS1_30default_config_static_selectorELNS0_4arch9wavefront6targetE1EEEvT1_, .Lfunc_end2924-_ZN7rocprim17ROCPRIM_400000_NS6detail17trampoline_kernelINS0_14default_configENS1_25partition_config_selectorILNS1_17partition_subalgoE1EyNS0_10empty_typeEbEEZZNS1_14partition_implILS5_1ELb0ES3_jN6thrust23THRUST_200600_302600_NS6detail15normal_iteratorINSA_10device_ptrIyEEEEPS6_NSA_18transform_iteratorI7is_evenIyESF_NSA_11use_defaultESK_EENS0_5tupleIJSF_NSA_16discard_iteratorISK_EEEEENSM_IJSG_SG_EEES6_PlJS6_EEE10hipError_tPvRmT3_T4_T5_T6_T7_T9_mT8_P12ihipStream_tbDpT10_ENKUlT_T0_E_clISt17integral_constantIbLb1EES1A_IbLb0EEEEDaS16_S17_EUlS16_E_NS1_11comp_targetILNS1_3genE5ELNS1_11target_archE942ELNS1_3gpuE9ELNS1_3repE0EEENS1_30default_config_static_selectorELNS0_4arch9wavefront6targetE1EEEvT1_
                                        ; -- End function
	.section	.AMDGPU.csdata,"",@progbits
; Kernel info:
; codeLenInByte = 5096
; NumSgprs: 46
; NumVgprs: 54
; NumAgprs: 0
; TotalNumVgprs: 54
; ScratchSize: 0
; MemoryBound: 0
; FloatMode: 240
; IeeeMode: 1
; LDSByteSize: 28680 bytes/workgroup (compile time only)
; SGPRBlocks: 5
; VGPRBlocks: 6
; NumSGPRsForWavesPerEU: 46
; NumVGPRsForWavesPerEU: 54
; AccumOffset: 56
; Occupancy: 4
; WaveLimiterHint : 1
; COMPUTE_PGM_RSRC2:SCRATCH_EN: 0
; COMPUTE_PGM_RSRC2:USER_SGPR: 2
; COMPUTE_PGM_RSRC2:TRAP_HANDLER: 0
; COMPUTE_PGM_RSRC2:TGID_X_EN: 1
; COMPUTE_PGM_RSRC2:TGID_Y_EN: 0
; COMPUTE_PGM_RSRC2:TGID_Z_EN: 0
; COMPUTE_PGM_RSRC2:TIDIG_COMP_CNT: 0
; COMPUTE_PGM_RSRC3_GFX90A:ACCUM_OFFSET: 13
; COMPUTE_PGM_RSRC3_GFX90A:TG_SPLIT: 0
	.section	.text._ZN7rocprim17ROCPRIM_400000_NS6detail17trampoline_kernelINS0_14default_configENS1_25partition_config_selectorILNS1_17partition_subalgoE1EyNS0_10empty_typeEbEEZZNS1_14partition_implILS5_1ELb0ES3_jN6thrust23THRUST_200600_302600_NS6detail15normal_iteratorINSA_10device_ptrIyEEEEPS6_NSA_18transform_iteratorI7is_evenIyESF_NSA_11use_defaultESK_EENS0_5tupleIJSF_NSA_16discard_iteratorISK_EEEEENSM_IJSG_SG_EEES6_PlJS6_EEE10hipError_tPvRmT3_T4_T5_T6_T7_T9_mT8_P12ihipStream_tbDpT10_ENKUlT_T0_E_clISt17integral_constantIbLb1EES1A_IbLb0EEEEDaS16_S17_EUlS16_E_NS1_11comp_targetILNS1_3genE4ELNS1_11target_archE910ELNS1_3gpuE8ELNS1_3repE0EEENS1_30default_config_static_selectorELNS0_4arch9wavefront6targetE1EEEvT1_,"axG",@progbits,_ZN7rocprim17ROCPRIM_400000_NS6detail17trampoline_kernelINS0_14default_configENS1_25partition_config_selectorILNS1_17partition_subalgoE1EyNS0_10empty_typeEbEEZZNS1_14partition_implILS5_1ELb0ES3_jN6thrust23THRUST_200600_302600_NS6detail15normal_iteratorINSA_10device_ptrIyEEEEPS6_NSA_18transform_iteratorI7is_evenIyESF_NSA_11use_defaultESK_EENS0_5tupleIJSF_NSA_16discard_iteratorISK_EEEEENSM_IJSG_SG_EEES6_PlJS6_EEE10hipError_tPvRmT3_T4_T5_T6_T7_T9_mT8_P12ihipStream_tbDpT10_ENKUlT_T0_E_clISt17integral_constantIbLb1EES1A_IbLb0EEEEDaS16_S17_EUlS16_E_NS1_11comp_targetILNS1_3genE4ELNS1_11target_archE910ELNS1_3gpuE8ELNS1_3repE0EEENS1_30default_config_static_selectorELNS0_4arch9wavefront6targetE1EEEvT1_,comdat
	.protected	_ZN7rocprim17ROCPRIM_400000_NS6detail17trampoline_kernelINS0_14default_configENS1_25partition_config_selectorILNS1_17partition_subalgoE1EyNS0_10empty_typeEbEEZZNS1_14partition_implILS5_1ELb0ES3_jN6thrust23THRUST_200600_302600_NS6detail15normal_iteratorINSA_10device_ptrIyEEEEPS6_NSA_18transform_iteratorI7is_evenIyESF_NSA_11use_defaultESK_EENS0_5tupleIJSF_NSA_16discard_iteratorISK_EEEEENSM_IJSG_SG_EEES6_PlJS6_EEE10hipError_tPvRmT3_T4_T5_T6_T7_T9_mT8_P12ihipStream_tbDpT10_ENKUlT_T0_E_clISt17integral_constantIbLb1EES1A_IbLb0EEEEDaS16_S17_EUlS16_E_NS1_11comp_targetILNS1_3genE4ELNS1_11target_archE910ELNS1_3gpuE8ELNS1_3repE0EEENS1_30default_config_static_selectorELNS0_4arch9wavefront6targetE1EEEvT1_ ; -- Begin function _ZN7rocprim17ROCPRIM_400000_NS6detail17trampoline_kernelINS0_14default_configENS1_25partition_config_selectorILNS1_17partition_subalgoE1EyNS0_10empty_typeEbEEZZNS1_14partition_implILS5_1ELb0ES3_jN6thrust23THRUST_200600_302600_NS6detail15normal_iteratorINSA_10device_ptrIyEEEEPS6_NSA_18transform_iteratorI7is_evenIyESF_NSA_11use_defaultESK_EENS0_5tupleIJSF_NSA_16discard_iteratorISK_EEEEENSM_IJSG_SG_EEES6_PlJS6_EEE10hipError_tPvRmT3_T4_T5_T6_T7_T9_mT8_P12ihipStream_tbDpT10_ENKUlT_T0_E_clISt17integral_constantIbLb1EES1A_IbLb0EEEEDaS16_S17_EUlS16_E_NS1_11comp_targetILNS1_3genE4ELNS1_11target_archE910ELNS1_3gpuE8ELNS1_3repE0EEENS1_30default_config_static_selectorELNS0_4arch9wavefront6targetE1EEEvT1_
	.globl	_ZN7rocprim17ROCPRIM_400000_NS6detail17trampoline_kernelINS0_14default_configENS1_25partition_config_selectorILNS1_17partition_subalgoE1EyNS0_10empty_typeEbEEZZNS1_14partition_implILS5_1ELb0ES3_jN6thrust23THRUST_200600_302600_NS6detail15normal_iteratorINSA_10device_ptrIyEEEEPS6_NSA_18transform_iteratorI7is_evenIyESF_NSA_11use_defaultESK_EENS0_5tupleIJSF_NSA_16discard_iteratorISK_EEEEENSM_IJSG_SG_EEES6_PlJS6_EEE10hipError_tPvRmT3_T4_T5_T6_T7_T9_mT8_P12ihipStream_tbDpT10_ENKUlT_T0_E_clISt17integral_constantIbLb1EES1A_IbLb0EEEEDaS16_S17_EUlS16_E_NS1_11comp_targetILNS1_3genE4ELNS1_11target_archE910ELNS1_3gpuE8ELNS1_3repE0EEENS1_30default_config_static_selectorELNS0_4arch9wavefront6targetE1EEEvT1_
	.p2align	8
	.type	_ZN7rocprim17ROCPRIM_400000_NS6detail17trampoline_kernelINS0_14default_configENS1_25partition_config_selectorILNS1_17partition_subalgoE1EyNS0_10empty_typeEbEEZZNS1_14partition_implILS5_1ELb0ES3_jN6thrust23THRUST_200600_302600_NS6detail15normal_iteratorINSA_10device_ptrIyEEEEPS6_NSA_18transform_iteratorI7is_evenIyESF_NSA_11use_defaultESK_EENS0_5tupleIJSF_NSA_16discard_iteratorISK_EEEEENSM_IJSG_SG_EEES6_PlJS6_EEE10hipError_tPvRmT3_T4_T5_T6_T7_T9_mT8_P12ihipStream_tbDpT10_ENKUlT_T0_E_clISt17integral_constantIbLb1EES1A_IbLb0EEEEDaS16_S17_EUlS16_E_NS1_11comp_targetILNS1_3genE4ELNS1_11target_archE910ELNS1_3gpuE8ELNS1_3repE0EEENS1_30default_config_static_selectorELNS0_4arch9wavefront6targetE1EEEvT1_,@function
_ZN7rocprim17ROCPRIM_400000_NS6detail17trampoline_kernelINS0_14default_configENS1_25partition_config_selectorILNS1_17partition_subalgoE1EyNS0_10empty_typeEbEEZZNS1_14partition_implILS5_1ELb0ES3_jN6thrust23THRUST_200600_302600_NS6detail15normal_iteratorINSA_10device_ptrIyEEEEPS6_NSA_18transform_iteratorI7is_evenIyESF_NSA_11use_defaultESK_EENS0_5tupleIJSF_NSA_16discard_iteratorISK_EEEEENSM_IJSG_SG_EEES6_PlJS6_EEE10hipError_tPvRmT3_T4_T5_T6_T7_T9_mT8_P12ihipStream_tbDpT10_ENKUlT_T0_E_clISt17integral_constantIbLb1EES1A_IbLb0EEEEDaS16_S17_EUlS16_E_NS1_11comp_targetILNS1_3genE4ELNS1_11target_archE910ELNS1_3gpuE8ELNS1_3repE0EEENS1_30default_config_static_selectorELNS0_4arch9wavefront6targetE1EEEvT1_: ; @_ZN7rocprim17ROCPRIM_400000_NS6detail17trampoline_kernelINS0_14default_configENS1_25partition_config_selectorILNS1_17partition_subalgoE1EyNS0_10empty_typeEbEEZZNS1_14partition_implILS5_1ELb0ES3_jN6thrust23THRUST_200600_302600_NS6detail15normal_iteratorINSA_10device_ptrIyEEEEPS6_NSA_18transform_iteratorI7is_evenIyESF_NSA_11use_defaultESK_EENS0_5tupleIJSF_NSA_16discard_iteratorISK_EEEEENSM_IJSG_SG_EEES6_PlJS6_EEE10hipError_tPvRmT3_T4_T5_T6_T7_T9_mT8_P12ihipStream_tbDpT10_ENKUlT_T0_E_clISt17integral_constantIbLb1EES1A_IbLb0EEEEDaS16_S17_EUlS16_E_NS1_11comp_targetILNS1_3genE4ELNS1_11target_archE910ELNS1_3gpuE8ELNS1_3repE0EEENS1_30default_config_static_selectorELNS0_4arch9wavefront6targetE1EEEvT1_
; %bb.0:
	.section	.rodata,"a",@progbits
	.p2align	6, 0x0
	.amdhsa_kernel _ZN7rocprim17ROCPRIM_400000_NS6detail17trampoline_kernelINS0_14default_configENS1_25partition_config_selectorILNS1_17partition_subalgoE1EyNS0_10empty_typeEbEEZZNS1_14partition_implILS5_1ELb0ES3_jN6thrust23THRUST_200600_302600_NS6detail15normal_iteratorINSA_10device_ptrIyEEEEPS6_NSA_18transform_iteratorI7is_evenIyESF_NSA_11use_defaultESK_EENS0_5tupleIJSF_NSA_16discard_iteratorISK_EEEEENSM_IJSG_SG_EEES6_PlJS6_EEE10hipError_tPvRmT3_T4_T5_T6_T7_T9_mT8_P12ihipStream_tbDpT10_ENKUlT_T0_E_clISt17integral_constantIbLb1EES1A_IbLb0EEEEDaS16_S17_EUlS16_E_NS1_11comp_targetILNS1_3genE4ELNS1_11target_archE910ELNS1_3gpuE8ELNS1_3repE0EEENS1_30default_config_static_selectorELNS0_4arch9wavefront6targetE1EEEvT1_
		.amdhsa_group_segment_fixed_size 0
		.amdhsa_private_segment_fixed_size 0
		.amdhsa_kernarg_size 136
		.amdhsa_user_sgpr_count 2
		.amdhsa_user_sgpr_dispatch_ptr 0
		.amdhsa_user_sgpr_queue_ptr 0
		.amdhsa_user_sgpr_kernarg_segment_ptr 1
		.amdhsa_user_sgpr_dispatch_id 0
		.amdhsa_user_sgpr_kernarg_preload_length 0
		.amdhsa_user_sgpr_kernarg_preload_offset 0
		.amdhsa_user_sgpr_private_segment_size 0
		.amdhsa_uses_dynamic_stack 0
		.amdhsa_enable_private_segment 0
		.amdhsa_system_sgpr_workgroup_id_x 1
		.amdhsa_system_sgpr_workgroup_id_y 0
		.amdhsa_system_sgpr_workgroup_id_z 0
		.amdhsa_system_sgpr_workgroup_info 0
		.amdhsa_system_vgpr_workitem_id 0
		.amdhsa_next_free_vgpr 1
		.amdhsa_next_free_sgpr 0
		.amdhsa_accum_offset 4
		.amdhsa_reserve_vcc 0
		.amdhsa_float_round_mode_32 0
		.amdhsa_float_round_mode_16_64 0
		.amdhsa_float_denorm_mode_32 3
		.amdhsa_float_denorm_mode_16_64 3
		.amdhsa_dx10_clamp 1
		.amdhsa_ieee_mode 1
		.amdhsa_fp16_overflow 0
		.amdhsa_tg_split 0
		.amdhsa_exception_fp_ieee_invalid_op 0
		.amdhsa_exception_fp_denorm_src 0
		.amdhsa_exception_fp_ieee_div_zero 0
		.amdhsa_exception_fp_ieee_overflow 0
		.amdhsa_exception_fp_ieee_underflow 0
		.amdhsa_exception_fp_ieee_inexact 0
		.amdhsa_exception_int_div_zero 0
	.end_amdhsa_kernel
	.section	.text._ZN7rocprim17ROCPRIM_400000_NS6detail17trampoline_kernelINS0_14default_configENS1_25partition_config_selectorILNS1_17partition_subalgoE1EyNS0_10empty_typeEbEEZZNS1_14partition_implILS5_1ELb0ES3_jN6thrust23THRUST_200600_302600_NS6detail15normal_iteratorINSA_10device_ptrIyEEEEPS6_NSA_18transform_iteratorI7is_evenIyESF_NSA_11use_defaultESK_EENS0_5tupleIJSF_NSA_16discard_iteratorISK_EEEEENSM_IJSG_SG_EEES6_PlJS6_EEE10hipError_tPvRmT3_T4_T5_T6_T7_T9_mT8_P12ihipStream_tbDpT10_ENKUlT_T0_E_clISt17integral_constantIbLb1EES1A_IbLb0EEEEDaS16_S17_EUlS16_E_NS1_11comp_targetILNS1_3genE4ELNS1_11target_archE910ELNS1_3gpuE8ELNS1_3repE0EEENS1_30default_config_static_selectorELNS0_4arch9wavefront6targetE1EEEvT1_,"axG",@progbits,_ZN7rocprim17ROCPRIM_400000_NS6detail17trampoline_kernelINS0_14default_configENS1_25partition_config_selectorILNS1_17partition_subalgoE1EyNS0_10empty_typeEbEEZZNS1_14partition_implILS5_1ELb0ES3_jN6thrust23THRUST_200600_302600_NS6detail15normal_iteratorINSA_10device_ptrIyEEEEPS6_NSA_18transform_iteratorI7is_evenIyESF_NSA_11use_defaultESK_EENS0_5tupleIJSF_NSA_16discard_iteratorISK_EEEEENSM_IJSG_SG_EEES6_PlJS6_EEE10hipError_tPvRmT3_T4_T5_T6_T7_T9_mT8_P12ihipStream_tbDpT10_ENKUlT_T0_E_clISt17integral_constantIbLb1EES1A_IbLb0EEEEDaS16_S17_EUlS16_E_NS1_11comp_targetILNS1_3genE4ELNS1_11target_archE910ELNS1_3gpuE8ELNS1_3repE0EEENS1_30default_config_static_selectorELNS0_4arch9wavefront6targetE1EEEvT1_,comdat
.Lfunc_end2925:
	.size	_ZN7rocprim17ROCPRIM_400000_NS6detail17trampoline_kernelINS0_14default_configENS1_25partition_config_selectorILNS1_17partition_subalgoE1EyNS0_10empty_typeEbEEZZNS1_14partition_implILS5_1ELb0ES3_jN6thrust23THRUST_200600_302600_NS6detail15normal_iteratorINSA_10device_ptrIyEEEEPS6_NSA_18transform_iteratorI7is_evenIyESF_NSA_11use_defaultESK_EENS0_5tupleIJSF_NSA_16discard_iteratorISK_EEEEENSM_IJSG_SG_EEES6_PlJS6_EEE10hipError_tPvRmT3_T4_T5_T6_T7_T9_mT8_P12ihipStream_tbDpT10_ENKUlT_T0_E_clISt17integral_constantIbLb1EES1A_IbLb0EEEEDaS16_S17_EUlS16_E_NS1_11comp_targetILNS1_3genE4ELNS1_11target_archE910ELNS1_3gpuE8ELNS1_3repE0EEENS1_30default_config_static_selectorELNS0_4arch9wavefront6targetE1EEEvT1_, .Lfunc_end2925-_ZN7rocprim17ROCPRIM_400000_NS6detail17trampoline_kernelINS0_14default_configENS1_25partition_config_selectorILNS1_17partition_subalgoE1EyNS0_10empty_typeEbEEZZNS1_14partition_implILS5_1ELb0ES3_jN6thrust23THRUST_200600_302600_NS6detail15normal_iteratorINSA_10device_ptrIyEEEEPS6_NSA_18transform_iteratorI7is_evenIyESF_NSA_11use_defaultESK_EENS0_5tupleIJSF_NSA_16discard_iteratorISK_EEEEENSM_IJSG_SG_EEES6_PlJS6_EEE10hipError_tPvRmT3_T4_T5_T6_T7_T9_mT8_P12ihipStream_tbDpT10_ENKUlT_T0_E_clISt17integral_constantIbLb1EES1A_IbLb0EEEEDaS16_S17_EUlS16_E_NS1_11comp_targetILNS1_3genE4ELNS1_11target_archE910ELNS1_3gpuE8ELNS1_3repE0EEENS1_30default_config_static_selectorELNS0_4arch9wavefront6targetE1EEEvT1_
                                        ; -- End function
	.section	.AMDGPU.csdata,"",@progbits
; Kernel info:
; codeLenInByte = 0
; NumSgprs: 6
; NumVgprs: 0
; NumAgprs: 0
; TotalNumVgprs: 0
; ScratchSize: 0
; MemoryBound: 0
; FloatMode: 240
; IeeeMode: 1
; LDSByteSize: 0 bytes/workgroup (compile time only)
; SGPRBlocks: 0
; VGPRBlocks: 0
; NumSGPRsForWavesPerEU: 6
; NumVGPRsForWavesPerEU: 1
; AccumOffset: 4
; Occupancy: 8
; WaveLimiterHint : 0
; COMPUTE_PGM_RSRC2:SCRATCH_EN: 0
; COMPUTE_PGM_RSRC2:USER_SGPR: 2
; COMPUTE_PGM_RSRC2:TRAP_HANDLER: 0
; COMPUTE_PGM_RSRC2:TGID_X_EN: 1
; COMPUTE_PGM_RSRC2:TGID_Y_EN: 0
; COMPUTE_PGM_RSRC2:TGID_Z_EN: 0
; COMPUTE_PGM_RSRC2:TIDIG_COMP_CNT: 0
; COMPUTE_PGM_RSRC3_GFX90A:ACCUM_OFFSET: 0
; COMPUTE_PGM_RSRC3_GFX90A:TG_SPLIT: 0
	.section	.text._ZN7rocprim17ROCPRIM_400000_NS6detail17trampoline_kernelINS0_14default_configENS1_25partition_config_selectorILNS1_17partition_subalgoE1EyNS0_10empty_typeEbEEZZNS1_14partition_implILS5_1ELb0ES3_jN6thrust23THRUST_200600_302600_NS6detail15normal_iteratorINSA_10device_ptrIyEEEEPS6_NSA_18transform_iteratorI7is_evenIyESF_NSA_11use_defaultESK_EENS0_5tupleIJSF_NSA_16discard_iteratorISK_EEEEENSM_IJSG_SG_EEES6_PlJS6_EEE10hipError_tPvRmT3_T4_T5_T6_T7_T9_mT8_P12ihipStream_tbDpT10_ENKUlT_T0_E_clISt17integral_constantIbLb1EES1A_IbLb0EEEEDaS16_S17_EUlS16_E_NS1_11comp_targetILNS1_3genE3ELNS1_11target_archE908ELNS1_3gpuE7ELNS1_3repE0EEENS1_30default_config_static_selectorELNS0_4arch9wavefront6targetE1EEEvT1_,"axG",@progbits,_ZN7rocprim17ROCPRIM_400000_NS6detail17trampoline_kernelINS0_14default_configENS1_25partition_config_selectorILNS1_17partition_subalgoE1EyNS0_10empty_typeEbEEZZNS1_14partition_implILS5_1ELb0ES3_jN6thrust23THRUST_200600_302600_NS6detail15normal_iteratorINSA_10device_ptrIyEEEEPS6_NSA_18transform_iteratorI7is_evenIyESF_NSA_11use_defaultESK_EENS0_5tupleIJSF_NSA_16discard_iteratorISK_EEEEENSM_IJSG_SG_EEES6_PlJS6_EEE10hipError_tPvRmT3_T4_T5_T6_T7_T9_mT8_P12ihipStream_tbDpT10_ENKUlT_T0_E_clISt17integral_constantIbLb1EES1A_IbLb0EEEEDaS16_S17_EUlS16_E_NS1_11comp_targetILNS1_3genE3ELNS1_11target_archE908ELNS1_3gpuE7ELNS1_3repE0EEENS1_30default_config_static_selectorELNS0_4arch9wavefront6targetE1EEEvT1_,comdat
	.protected	_ZN7rocprim17ROCPRIM_400000_NS6detail17trampoline_kernelINS0_14default_configENS1_25partition_config_selectorILNS1_17partition_subalgoE1EyNS0_10empty_typeEbEEZZNS1_14partition_implILS5_1ELb0ES3_jN6thrust23THRUST_200600_302600_NS6detail15normal_iteratorINSA_10device_ptrIyEEEEPS6_NSA_18transform_iteratorI7is_evenIyESF_NSA_11use_defaultESK_EENS0_5tupleIJSF_NSA_16discard_iteratorISK_EEEEENSM_IJSG_SG_EEES6_PlJS6_EEE10hipError_tPvRmT3_T4_T5_T6_T7_T9_mT8_P12ihipStream_tbDpT10_ENKUlT_T0_E_clISt17integral_constantIbLb1EES1A_IbLb0EEEEDaS16_S17_EUlS16_E_NS1_11comp_targetILNS1_3genE3ELNS1_11target_archE908ELNS1_3gpuE7ELNS1_3repE0EEENS1_30default_config_static_selectorELNS0_4arch9wavefront6targetE1EEEvT1_ ; -- Begin function _ZN7rocprim17ROCPRIM_400000_NS6detail17trampoline_kernelINS0_14default_configENS1_25partition_config_selectorILNS1_17partition_subalgoE1EyNS0_10empty_typeEbEEZZNS1_14partition_implILS5_1ELb0ES3_jN6thrust23THRUST_200600_302600_NS6detail15normal_iteratorINSA_10device_ptrIyEEEEPS6_NSA_18transform_iteratorI7is_evenIyESF_NSA_11use_defaultESK_EENS0_5tupleIJSF_NSA_16discard_iteratorISK_EEEEENSM_IJSG_SG_EEES6_PlJS6_EEE10hipError_tPvRmT3_T4_T5_T6_T7_T9_mT8_P12ihipStream_tbDpT10_ENKUlT_T0_E_clISt17integral_constantIbLb1EES1A_IbLb0EEEEDaS16_S17_EUlS16_E_NS1_11comp_targetILNS1_3genE3ELNS1_11target_archE908ELNS1_3gpuE7ELNS1_3repE0EEENS1_30default_config_static_selectorELNS0_4arch9wavefront6targetE1EEEvT1_
	.globl	_ZN7rocprim17ROCPRIM_400000_NS6detail17trampoline_kernelINS0_14default_configENS1_25partition_config_selectorILNS1_17partition_subalgoE1EyNS0_10empty_typeEbEEZZNS1_14partition_implILS5_1ELb0ES3_jN6thrust23THRUST_200600_302600_NS6detail15normal_iteratorINSA_10device_ptrIyEEEEPS6_NSA_18transform_iteratorI7is_evenIyESF_NSA_11use_defaultESK_EENS0_5tupleIJSF_NSA_16discard_iteratorISK_EEEEENSM_IJSG_SG_EEES6_PlJS6_EEE10hipError_tPvRmT3_T4_T5_T6_T7_T9_mT8_P12ihipStream_tbDpT10_ENKUlT_T0_E_clISt17integral_constantIbLb1EES1A_IbLb0EEEEDaS16_S17_EUlS16_E_NS1_11comp_targetILNS1_3genE3ELNS1_11target_archE908ELNS1_3gpuE7ELNS1_3repE0EEENS1_30default_config_static_selectorELNS0_4arch9wavefront6targetE1EEEvT1_
	.p2align	8
	.type	_ZN7rocprim17ROCPRIM_400000_NS6detail17trampoline_kernelINS0_14default_configENS1_25partition_config_selectorILNS1_17partition_subalgoE1EyNS0_10empty_typeEbEEZZNS1_14partition_implILS5_1ELb0ES3_jN6thrust23THRUST_200600_302600_NS6detail15normal_iteratorINSA_10device_ptrIyEEEEPS6_NSA_18transform_iteratorI7is_evenIyESF_NSA_11use_defaultESK_EENS0_5tupleIJSF_NSA_16discard_iteratorISK_EEEEENSM_IJSG_SG_EEES6_PlJS6_EEE10hipError_tPvRmT3_T4_T5_T6_T7_T9_mT8_P12ihipStream_tbDpT10_ENKUlT_T0_E_clISt17integral_constantIbLb1EES1A_IbLb0EEEEDaS16_S17_EUlS16_E_NS1_11comp_targetILNS1_3genE3ELNS1_11target_archE908ELNS1_3gpuE7ELNS1_3repE0EEENS1_30default_config_static_selectorELNS0_4arch9wavefront6targetE1EEEvT1_,@function
_ZN7rocprim17ROCPRIM_400000_NS6detail17trampoline_kernelINS0_14default_configENS1_25partition_config_selectorILNS1_17partition_subalgoE1EyNS0_10empty_typeEbEEZZNS1_14partition_implILS5_1ELb0ES3_jN6thrust23THRUST_200600_302600_NS6detail15normal_iteratorINSA_10device_ptrIyEEEEPS6_NSA_18transform_iteratorI7is_evenIyESF_NSA_11use_defaultESK_EENS0_5tupleIJSF_NSA_16discard_iteratorISK_EEEEENSM_IJSG_SG_EEES6_PlJS6_EEE10hipError_tPvRmT3_T4_T5_T6_T7_T9_mT8_P12ihipStream_tbDpT10_ENKUlT_T0_E_clISt17integral_constantIbLb1EES1A_IbLb0EEEEDaS16_S17_EUlS16_E_NS1_11comp_targetILNS1_3genE3ELNS1_11target_archE908ELNS1_3gpuE7ELNS1_3repE0EEENS1_30default_config_static_selectorELNS0_4arch9wavefront6targetE1EEEvT1_: ; @_ZN7rocprim17ROCPRIM_400000_NS6detail17trampoline_kernelINS0_14default_configENS1_25partition_config_selectorILNS1_17partition_subalgoE1EyNS0_10empty_typeEbEEZZNS1_14partition_implILS5_1ELb0ES3_jN6thrust23THRUST_200600_302600_NS6detail15normal_iteratorINSA_10device_ptrIyEEEEPS6_NSA_18transform_iteratorI7is_evenIyESF_NSA_11use_defaultESK_EENS0_5tupleIJSF_NSA_16discard_iteratorISK_EEEEENSM_IJSG_SG_EEES6_PlJS6_EEE10hipError_tPvRmT3_T4_T5_T6_T7_T9_mT8_P12ihipStream_tbDpT10_ENKUlT_T0_E_clISt17integral_constantIbLb1EES1A_IbLb0EEEEDaS16_S17_EUlS16_E_NS1_11comp_targetILNS1_3genE3ELNS1_11target_archE908ELNS1_3gpuE7ELNS1_3repE0EEENS1_30default_config_static_selectorELNS0_4arch9wavefront6targetE1EEEvT1_
; %bb.0:
	.section	.rodata,"a",@progbits
	.p2align	6, 0x0
	.amdhsa_kernel _ZN7rocprim17ROCPRIM_400000_NS6detail17trampoline_kernelINS0_14default_configENS1_25partition_config_selectorILNS1_17partition_subalgoE1EyNS0_10empty_typeEbEEZZNS1_14partition_implILS5_1ELb0ES3_jN6thrust23THRUST_200600_302600_NS6detail15normal_iteratorINSA_10device_ptrIyEEEEPS6_NSA_18transform_iteratorI7is_evenIyESF_NSA_11use_defaultESK_EENS0_5tupleIJSF_NSA_16discard_iteratorISK_EEEEENSM_IJSG_SG_EEES6_PlJS6_EEE10hipError_tPvRmT3_T4_T5_T6_T7_T9_mT8_P12ihipStream_tbDpT10_ENKUlT_T0_E_clISt17integral_constantIbLb1EES1A_IbLb0EEEEDaS16_S17_EUlS16_E_NS1_11comp_targetILNS1_3genE3ELNS1_11target_archE908ELNS1_3gpuE7ELNS1_3repE0EEENS1_30default_config_static_selectorELNS0_4arch9wavefront6targetE1EEEvT1_
		.amdhsa_group_segment_fixed_size 0
		.amdhsa_private_segment_fixed_size 0
		.amdhsa_kernarg_size 136
		.amdhsa_user_sgpr_count 2
		.amdhsa_user_sgpr_dispatch_ptr 0
		.amdhsa_user_sgpr_queue_ptr 0
		.amdhsa_user_sgpr_kernarg_segment_ptr 1
		.amdhsa_user_sgpr_dispatch_id 0
		.amdhsa_user_sgpr_kernarg_preload_length 0
		.amdhsa_user_sgpr_kernarg_preload_offset 0
		.amdhsa_user_sgpr_private_segment_size 0
		.amdhsa_uses_dynamic_stack 0
		.amdhsa_enable_private_segment 0
		.amdhsa_system_sgpr_workgroup_id_x 1
		.amdhsa_system_sgpr_workgroup_id_y 0
		.amdhsa_system_sgpr_workgroup_id_z 0
		.amdhsa_system_sgpr_workgroup_info 0
		.amdhsa_system_vgpr_workitem_id 0
		.amdhsa_next_free_vgpr 1
		.amdhsa_next_free_sgpr 0
		.amdhsa_accum_offset 4
		.amdhsa_reserve_vcc 0
		.amdhsa_float_round_mode_32 0
		.amdhsa_float_round_mode_16_64 0
		.amdhsa_float_denorm_mode_32 3
		.amdhsa_float_denorm_mode_16_64 3
		.amdhsa_dx10_clamp 1
		.amdhsa_ieee_mode 1
		.amdhsa_fp16_overflow 0
		.amdhsa_tg_split 0
		.amdhsa_exception_fp_ieee_invalid_op 0
		.amdhsa_exception_fp_denorm_src 0
		.amdhsa_exception_fp_ieee_div_zero 0
		.amdhsa_exception_fp_ieee_overflow 0
		.amdhsa_exception_fp_ieee_underflow 0
		.amdhsa_exception_fp_ieee_inexact 0
		.amdhsa_exception_int_div_zero 0
	.end_amdhsa_kernel
	.section	.text._ZN7rocprim17ROCPRIM_400000_NS6detail17trampoline_kernelINS0_14default_configENS1_25partition_config_selectorILNS1_17partition_subalgoE1EyNS0_10empty_typeEbEEZZNS1_14partition_implILS5_1ELb0ES3_jN6thrust23THRUST_200600_302600_NS6detail15normal_iteratorINSA_10device_ptrIyEEEEPS6_NSA_18transform_iteratorI7is_evenIyESF_NSA_11use_defaultESK_EENS0_5tupleIJSF_NSA_16discard_iteratorISK_EEEEENSM_IJSG_SG_EEES6_PlJS6_EEE10hipError_tPvRmT3_T4_T5_T6_T7_T9_mT8_P12ihipStream_tbDpT10_ENKUlT_T0_E_clISt17integral_constantIbLb1EES1A_IbLb0EEEEDaS16_S17_EUlS16_E_NS1_11comp_targetILNS1_3genE3ELNS1_11target_archE908ELNS1_3gpuE7ELNS1_3repE0EEENS1_30default_config_static_selectorELNS0_4arch9wavefront6targetE1EEEvT1_,"axG",@progbits,_ZN7rocprim17ROCPRIM_400000_NS6detail17trampoline_kernelINS0_14default_configENS1_25partition_config_selectorILNS1_17partition_subalgoE1EyNS0_10empty_typeEbEEZZNS1_14partition_implILS5_1ELb0ES3_jN6thrust23THRUST_200600_302600_NS6detail15normal_iteratorINSA_10device_ptrIyEEEEPS6_NSA_18transform_iteratorI7is_evenIyESF_NSA_11use_defaultESK_EENS0_5tupleIJSF_NSA_16discard_iteratorISK_EEEEENSM_IJSG_SG_EEES6_PlJS6_EEE10hipError_tPvRmT3_T4_T5_T6_T7_T9_mT8_P12ihipStream_tbDpT10_ENKUlT_T0_E_clISt17integral_constantIbLb1EES1A_IbLb0EEEEDaS16_S17_EUlS16_E_NS1_11comp_targetILNS1_3genE3ELNS1_11target_archE908ELNS1_3gpuE7ELNS1_3repE0EEENS1_30default_config_static_selectorELNS0_4arch9wavefront6targetE1EEEvT1_,comdat
.Lfunc_end2926:
	.size	_ZN7rocprim17ROCPRIM_400000_NS6detail17trampoline_kernelINS0_14default_configENS1_25partition_config_selectorILNS1_17partition_subalgoE1EyNS0_10empty_typeEbEEZZNS1_14partition_implILS5_1ELb0ES3_jN6thrust23THRUST_200600_302600_NS6detail15normal_iteratorINSA_10device_ptrIyEEEEPS6_NSA_18transform_iteratorI7is_evenIyESF_NSA_11use_defaultESK_EENS0_5tupleIJSF_NSA_16discard_iteratorISK_EEEEENSM_IJSG_SG_EEES6_PlJS6_EEE10hipError_tPvRmT3_T4_T5_T6_T7_T9_mT8_P12ihipStream_tbDpT10_ENKUlT_T0_E_clISt17integral_constantIbLb1EES1A_IbLb0EEEEDaS16_S17_EUlS16_E_NS1_11comp_targetILNS1_3genE3ELNS1_11target_archE908ELNS1_3gpuE7ELNS1_3repE0EEENS1_30default_config_static_selectorELNS0_4arch9wavefront6targetE1EEEvT1_, .Lfunc_end2926-_ZN7rocprim17ROCPRIM_400000_NS6detail17trampoline_kernelINS0_14default_configENS1_25partition_config_selectorILNS1_17partition_subalgoE1EyNS0_10empty_typeEbEEZZNS1_14partition_implILS5_1ELb0ES3_jN6thrust23THRUST_200600_302600_NS6detail15normal_iteratorINSA_10device_ptrIyEEEEPS6_NSA_18transform_iteratorI7is_evenIyESF_NSA_11use_defaultESK_EENS0_5tupleIJSF_NSA_16discard_iteratorISK_EEEEENSM_IJSG_SG_EEES6_PlJS6_EEE10hipError_tPvRmT3_T4_T5_T6_T7_T9_mT8_P12ihipStream_tbDpT10_ENKUlT_T0_E_clISt17integral_constantIbLb1EES1A_IbLb0EEEEDaS16_S17_EUlS16_E_NS1_11comp_targetILNS1_3genE3ELNS1_11target_archE908ELNS1_3gpuE7ELNS1_3repE0EEENS1_30default_config_static_selectorELNS0_4arch9wavefront6targetE1EEEvT1_
                                        ; -- End function
	.section	.AMDGPU.csdata,"",@progbits
; Kernel info:
; codeLenInByte = 0
; NumSgprs: 6
; NumVgprs: 0
; NumAgprs: 0
; TotalNumVgprs: 0
; ScratchSize: 0
; MemoryBound: 0
; FloatMode: 240
; IeeeMode: 1
; LDSByteSize: 0 bytes/workgroup (compile time only)
; SGPRBlocks: 0
; VGPRBlocks: 0
; NumSGPRsForWavesPerEU: 6
; NumVGPRsForWavesPerEU: 1
; AccumOffset: 4
; Occupancy: 8
; WaveLimiterHint : 0
; COMPUTE_PGM_RSRC2:SCRATCH_EN: 0
; COMPUTE_PGM_RSRC2:USER_SGPR: 2
; COMPUTE_PGM_RSRC2:TRAP_HANDLER: 0
; COMPUTE_PGM_RSRC2:TGID_X_EN: 1
; COMPUTE_PGM_RSRC2:TGID_Y_EN: 0
; COMPUTE_PGM_RSRC2:TGID_Z_EN: 0
; COMPUTE_PGM_RSRC2:TIDIG_COMP_CNT: 0
; COMPUTE_PGM_RSRC3_GFX90A:ACCUM_OFFSET: 0
; COMPUTE_PGM_RSRC3_GFX90A:TG_SPLIT: 0
	.section	.text._ZN7rocprim17ROCPRIM_400000_NS6detail17trampoline_kernelINS0_14default_configENS1_25partition_config_selectorILNS1_17partition_subalgoE1EyNS0_10empty_typeEbEEZZNS1_14partition_implILS5_1ELb0ES3_jN6thrust23THRUST_200600_302600_NS6detail15normal_iteratorINSA_10device_ptrIyEEEEPS6_NSA_18transform_iteratorI7is_evenIyESF_NSA_11use_defaultESK_EENS0_5tupleIJSF_NSA_16discard_iteratorISK_EEEEENSM_IJSG_SG_EEES6_PlJS6_EEE10hipError_tPvRmT3_T4_T5_T6_T7_T9_mT8_P12ihipStream_tbDpT10_ENKUlT_T0_E_clISt17integral_constantIbLb1EES1A_IbLb0EEEEDaS16_S17_EUlS16_E_NS1_11comp_targetILNS1_3genE2ELNS1_11target_archE906ELNS1_3gpuE6ELNS1_3repE0EEENS1_30default_config_static_selectorELNS0_4arch9wavefront6targetE1EEEvT1_,"axG",@progbits,_ZN7rocprim17ROCPRIM_400000_NS6detail17trampoline_kernelINS0_14default_configENS1_25partition_config_selectorILNS1_17partition_subalgoE1EyNS0_10empty_typeEbEEZZNS1_14partition_implILS5_1ELb0ES3_jN6thrust23THRUST_200600_302600_NS6detail15normal_iteratorINSA_10device_ptrIyEEEEPS6_NSA_18transform_iteratorI7is_evenIyESF_NSA_11use_defaultESK_EENS0_5tupleIJSF_NSA_16discard_iteratorISK_EEEEENSM_IJSG_SG_EEES6_PlJS6_EEE10hipError_tPvRmT3_T4_T5_T6_T7_T9_mT8_P12ihipStream_tbDpT10_ENKUlT_T0_E_clISt17integral_constantIbLb1EES1A_IbLb0EEEEDaS16_S17_EUlS16_E_NS1_11comp_targetILNS1_3genE2ELNS1_11target_archE906ELNS1_3gpuE6ELNS1_3repE0EEENS1_30default_config_static_selectorELNS0_4arch9wavefront6targetE1EEEvT1_,comdat
	.protected	_ZN7rocprim17ROCPRIM_400000_NS6detail17trampoline_kernelINS0_14default_configENS1_25partition_config_selectorILNS1_17partition_subalgoE1EyNS0_10empty_typeEbEEZZNS1_14partition_implILS5_1ELb0ES3_jN6thrust23THRUST_200600_302600_NS6detail15normal_iteratorINSA_10device_ptrIyEEEEPS6_NSA_18transform_iteratorI7is_evenIyESF_NSA_11use_defaultESK_EENS0_5tupleIJSF_NSA_16discard_iteratorISK_EEEEENSM_IJSG_SG_EEES6_PlJS6_EEE10hipError_tPvRmT3_T4_T5_T6_T7_T9_mT8_P12ihipStream_tbDpT10_ENKUlT_T0_E_clISt17integral_constantIbLb1EES1A_IbLb0EEEEDaS16_S17_EUlS16_E_NS1_11comp_targetILNS1_3genE2ELNS1_11target_archE906ELNS1_3gpuE6ELNS1_3repE0EEENS1_30default_config_static_selectorELNS0_4arch9wavefront6targetE1EEEvT1_ ; -- Begin function _ZN7rocprim17ROCPRIM_400000_NS6detail17trampoline_kernelINS0_14default_configENS1_25partition_config_selectorILNS1_17partition_subalgoE1EyNS0_10empty_typeEbEEZZNS1_14partition_implILS5_1ELb0ES3_jN6thrust23THRUST_200600_302600_NS6detail15normal_iteratorINSA_10device_ptrIyEEEEPS6_NSA_18transform_iteratorI7is_evenIyESF_NSA_11use_defaultESK_EENS0_5tupleIJSF_NSA_16discard_iteratorISK_EEEEENSM_IJSG_SG_EEES6_PlJS6_EEE10hipError_tPvRmT3_T4_T5_T6_T7_T9_mT8_P12ihipStream_tbDpT10_ENKUlT_T0_E_clISt17integral_constantIbLb1EES1A_IbLb0EEEEDaS16_S17_EUlS16_E_NS1_11comp_targetILNS1_3genE2ELNS1_11target_archE906ELNS1_3gpuE6ELNS1_3repE0EEENS1_30default_config_static_selectorELNS0_4arch9wavefront6targetE1EEEvT1_
	.globl	_ZN7rocprim17ROCPRIM_400000_NS6detail17trampoline_kernelINS0_14default_configENS1_25partition_config_selectorILNS1_17partition_subalgoE1EyNS0_10empty_typeEbEEZZNS1_14partition_implILS5_1ELb0ES3_jN6thrust23THRUST_200600_302600_NS6detail15normal_iteratorINSA_10device_ptrIyEEEEPS6_NSA_18transform_iteratorI7is_evenIyESF_NSA_11use_defaultESK_EENS0_5tupleIJSF_NSA_16discard_iteratorISK_EEEEENSM_IJSG_SG_EEES6_PlJS6_EEE10hipError_tPvRmT3_T4_T5_T6_T7_T9_mT8_P12ihipStream_tbDpT10_ENKUlT_T0_E_clISt17integral_constantIbLb1EES1A_IbLb0EEEEDaS16_S17_EUlS16_E_NS1_11comp_targetILNS1_3genE2ELNS1_11target_archE906ELNS1_3gpuE6ELNS1_3repE0EEENS1_30default_config_static_selectorELNS0_4arch9wavefront6targetE1EEEvT1_
	.p2align	8
	.type	_ZN7rocprim17ROCPRIM_400000_NS6detail17trampoline_kernelINS0_14default_configENS1_25partition_config_selectorILNS1_17partition_subalgoE1EyNS0_10empty_typeEbEEZZNS1_14partition_implILS5_1ELb0ES3_jN6thrust23THRUST_200600_302600_NS6detail15normal_iteratorINSA_10device_ptrIyEEEEPS6_NSA_18transform_iteratorI7is_evenIyESF_NSA_11use_defaultESK_EENS0_5tupleIJSF_NSA_16discard_iteratorISK_EEEEENSM_IJSG_SG_EEES6_PlJS6_EEE10hipError_tPvRmT3_T4_T5_T6_T7_T9_mT8_P12ihipStream_tbDpT10_ENKUlT_T0_E_clISt17integral_constantIbLb1EES1A_IbLb0EEEEDaS16_S17_EUlS16_E_NS1_11comp_targetILNS1_3genE2ELNS1_11target_archE906ELNS1_3gpuE6ELNS1_3repE0EEENS1_30default_config_static_selectorELNS0_4arch9wavefront6targetE1EEEvT1_,@function
_ZN7rocprim17ROCPRIM_400000_NS6detail17trampoline_kernelINS0_14default_configENS1_25partition_config_selectorILNS1_17partition_subalgoE1EyNS0_10empty_typeEbEEZZNS1_14partition_implILS5_1ELb0ES3_jN6thrust23THRUST_200600_302600_NS6detail15normal_iteratorINSA_10device_ptrIyEEEEPS6_NSA_18transform_iteratorI7is_evenIyESF_NSA_11use_defaultESK_EENS0_5tupleIJSF_NSA_16discard_iteratorISK_EEEEENSM_IJSG_SG_EEES6_PlJS6_EEE10hipError_tPvRmT3_T4_T5_T6_T7_T9_mT8_P12ihipStream_tbDpT10_ENKUlT_T0_E_clISt17integral_constantIbLb1EES1A_IbLb0EEEEDaS16_S17_EUlS16_E_NS1_11comp_targetILNS1_3genE2ELNS1_11target_archE906ELNS1_3gpuE6ELNS1_3repE0EEENS1_30default_config_static_selectorELNS0_4arch9wavefront6targetE1EEEvT1_: ; @_ZN7rocprim17ROCPRIM_400000_NS6detail17trampoline_kernelINS0_14default_configENS1_25partition_config_selectorILNS1_17partition_subalgoE1EyNS0_10empty_typeEbEEZZNS1_14partition_implILS5_1ELb0ES3_jN6thrust23THRUST_200600_302600_NS6detail15normal_iteratorINSA_10device_ptrIyEEEEPS6_NSA_18transform_iteratorI7is_evenIyESF_NSA_11use_defaultESK_EENS0_5tupleIJSF_NSA_16discard_iteratorISK_EEEEENSM_IJSG_SG_EEES6_PlJS6_EEE10hipError_tPvRmT3_T4_T5_T6_T7_T9_mT8_P12ihipStream_tbDpT10_ENKUlT_T0_E_clISt17integral_constantIbLb1EES1A_IbLb0EEEEDaS16_S17_EUlS16_E_NS1_11comp_targetILNS1_3genE2ELNS1_11target_archE906ELNS1_3gpuE6ELNS1_3repE0EEENS1_30default_config_static_selectorELNS0_4arch9wavefront6targetE1EEEvT1_
; %bb.0:
	.section	.rodata,"a",@progbits
	.p2align	6, 0x0
	.amdhsa_kernel _ZN7rocprim17ROCPRIM_400000_NS6detail17trampoline_kernelINS0_14default_configENS1_25partition_config_selectorILNS1_17partition_subalgoE1EyNS0_10empty_typeEbEEZZNS1_14partition_implILS5_1ELb0ES3_jN6thrust23THRUST_200600_302600_NS6detail15normal_iteratorINSA_10device_ptrIyEEEEPS6_NSA_18transform_iteratorI7is_evenIyESF_NSA_11use_defaultESK_EENS0_5tupleIJSF_NSA_16discard_iteratorISK_EEEEENSM_IJSG_SG_EEES6_PlJS6_EEE10hipError_tPvRmT3_T4_T5_T6_T7_T9_mT8_P12ihipStream_tbDpT10_ENKUlT_T0_E_clISt17integral_constantIbLb1EES1A_IbLb0EEEEDaS16_S17_EUlS16_E_NS1_11comp_targetILNS1_3genE2ELNS1_11target_archE906ELNS1_3gpuE6ELNS1_3repE0EEENS1_30default_config_static_selectorELNS0_4arch9wavefront6targetE1EEEvT1_
		.amdhsa_group_segment_fixed_size 0
		.amdhsa_private_segment_fixed_size 0
		.amdhsa_kernarg_size 136
		.amdhsa_user_sgpr_count 2
		.amdhsa_user_sgpr_dispatch_ptr 0
		.amdhsa_user_sgpr_queue_ptr 0
		.amdhsa_user_sgpr_kernarg_segment_ptr 1
		.amdhsa_user_sgpr_dispatch_id 0
		.amdhsa_user_sgpr_kernarg_preload_length 0
		.amdhsa_user_sgpr_kernarg_preload_offset 0
		.amdhsa_user_sgpr_private_segment_size 0
		.amdhsa_uses_dynamic_stack 0
		.amdhsa_enable_private_segment 0
		.amdhsa_system_sgpr_workgroup_id_x 1
		.amdhsa_system_sgpr_workgroup_id_y 0
		.amdhsa_system_sgpr_workgroup_id_z 0
		.amdhsa_system_sgpr_workgroup_info 0
		.amdhsa_system_vgpr_workitem_id 0
		.amdhsa_next_free_vgpr 1
		.amdhsa_next_free_sgpr 0
		.amdhsa_accum_offset 4
		.amdhsa_reserve_vcc 0
		.amdhsa_float_round_mode_32 0
		.amdhsa_float_round_mode_16_64 0
		.amdhsa_float_denorm_mode_32 3
		.amdhsa_float_denorm_mode_16_64 3
		.amdhsa_dx10_clamp 1
		.amdhsa_ieee_mode 1
		.amdhsa_fp16_overflow 0
		.amdhsa_tg_split 0
		.amdhsa_exception_fp_ieee_invalid_op 0
		.amdhsa_exception_fp_denorm_src 0
		.amdhsa_exception_fp_ieee_div_zero 0
		.amdhsa_exception_fp_ieee_overflow 0
		.amdhsa_exception_fp_ieee_underflow 0
		.amdhsa_exception_fp_ieee_inexact 0
		.amdhsa_exception_int_div_zero 0
	.end_amdhsa_kernel
	.section	.text._ZN7rocprim17ROCPRIM_400000_NS6detail17trampoline_kernelINS0_14default_configENS1_25partition_config_selectorILNS1_17partition_subalgoE1EyNS0_10empty_typeEbEEZZNS1_14partition_implILS5_1ELb0ES3_jN6thrust23THRUST_200600_302600_NS6detail15normal_iteratorINSA_10device_ptrIyEEEEPS6_NSA_18transform_iteratorI7is_evenIyESF_NSA_11use_defaultESK_EENS0_5tupleIJSF_NSA_16discard_iteratorISK_EEEEENSM_IJSG_SG_EEES6_PlJS6_EEE10hipError_tPvRmT3_T4_T5_T6_T7_T9_mT8_P12ihipStream_tbDpT10_ENKUlT_T0_E_clISt17integral_constantIbLb1EES1A_IbLb0EEEEDaS16_S17_EUlS16_E_NS1_11comp_targetILNS1_3genE2ELNS1_11target_archE906ELNS1_3gpuE6ELNS1_3repE0EEENS1_30default_config_static_selectorELNS0_4arch9wavefront6targetE1EEEvT1_,"axG",@progbits,_ZN7rocprim17ROCPRIM_400000_NS6detail17trampoline_kernelINS0_14default_configENS1_25partition_config_selectorILNS1_17partition_subalgoE1EyNS0_10empty_typeEbEEZZNS1_14partition_implILS5_1ELb0ES3_jN6thrust23THRUST_200600_302600_NS6detail15normal_iteratorINSA_10device_ptrIyEEEEPS6_NSA_18transform_iteratorI7is_evenIyESF_NSA_11use_defaultESK_EENS0_5tupleIJSF_NSA_16discard_iteratorISK_EEEEENSM_IJSG_SG_EEES6_PlJS6_EEE10hipError_tPvRmT3_T4_T5_T6_T7_T9_mT8_P12ihipStream_tbDpT10_ENKUlT_T0_E_clISt17integral_constantIbLb1EES1A_IbLb0EEEEDaS16_S17_EUlS16_E_NS1_11comp_targetILNS1_3genE2ELNS1_11target_archE906ELNS1_3gpuE6ELNS1_3repE0EEENS1_30default_config_static_selectorELNS0_4arch9wavefront6targetE1EEEvT1_,comdat
.Lfunc_end2927:
	.size	_ZN7rocprim17ROCPRIM_400000_NS6detail17trampoline_kernelINS0_14default_configENS1_25partition_config_selectorILNS1_17partition_subalgoE1EyNS0_10empty_typeEbEEZZNS1_14partition_implILS5_1ELb0ES3_jN6thrust23THRUST_200600_302600_NS6detail15normal_iteratorINSA_10device_ptrIyEEEEPS6_NSA_18transform_iteratorI7is_evenIyESF_NSA_11use_defaultESK_EENS0_5tupleIJSF_NSA_16discard_iteratorISK_EEEEENSM_IJSG_SG_EEES6_PlJS6_EEE10hipError_tPvRmT3_T4_T5_T6_T7_T9_mT8_P12ihipStream_tbDpT10_ENKUlT_T0_E_clISt17integral_constantIbLb1EES1A_IbLb0EEEEDaS16_S17_EUlS16_E_NS1_11comp_targetILNS1_3genE2ELNS1_11target_archE906ELNS1_3gpuE6ELNS1_3repE0EEENS1_30default_config_static_selectorELNS0_4arch9wavefront6targetE1EEEvT1_, .Lfunc_end2927-_ZN7rocprim17ROCPRIM_400000_NS6detail17trampoline_kernelINS0_14default_configENS1_25partition_config_selectorILNS1_17partition_subalgoE1EyNS0_10empty_typeEbEEZZNS1_14partition_implILS5_1ELb0ES3_jN6thrust23THRUST_200600_302600_NS6detail15normal_iteratorINSA_10device_ptrIyEEEEPS6_NSA_18transform_iteratorI7is_evenIyESF_NSA_11use_defaultESK_EENS0_5tupleIJSF_NSA_16discard_iteratorISK_EEEEENSM_IJSG_SG_EEES6_PlJS6_EEE10hipError_tPvRmT3_T4_T5_T6_T7_T9_mT8_P12ihipStream_tbDpT10_ENKUlT_T0_E_clISt17integral_constantIbLb1EES1A_IbLb0EEEEDaS16_S17_EUlS16_E_NS1_11comp_targetILNS1_3genE2ELNS1_11target_archE906ELNS1_3gpuE6ELNS1_3repE0EEENS1_30default_config_static_selectorELNS0_4arch9wavefront6targetE1EEEvT1_
                                        ; -- End function
	.section	.AMDGPU.csdata,"",@progbits
; Kernel info:
; codeLenInByte = 0
; NumSgprs: 6
; NumVgprs: 0
; NumAgprs: 0
; TotalNumVgprs: 0
; ScratchSize: 0
; MemoryBound: 0
; FloatMode: 240
; IeeeMode: 1
; LDSByteSize: 0 bytes/workgroup (compile time only)
; SGPRBlocks: 0
; VGPRBlocks: 0
; NumSGPRsForWavesPerEU: 6
; NumVGPRsForWavesPerEU: 1
; AccumOffset: 4
; Occupancy: 8
; WaveLimiterHint : 0
; COMPUTE_PGM_RSRC2:SCRATCH_EN: 0
; COMPUTE_PGM_RSRC2:USER_SGPR: 2
; COMPUTE_PGM_RSRC2:TRAP_HANDLER: 0
; COMPUTE_PGM_RSRC2:TGID_X_EN: 1
; COMPUTE_PGM_RSRC2:TGID_Y_EN: 0
; COMPUTE_PGM_RSRC2:TGID_Z_EN: 0
; COMPUTE_PGM_RSRC2:TIDIG_COMP_CNT: 0
; COMPUTE_PGM_RSRC3_GFX90A:ACCUM_OFFSET: 0
; COMPUTE_PGM_RSRC3_GFX90A:TG_SPLIT: 0
	.section	.text._ZN7rocprim17ROCPRIM_400000_NS6detail17trampoline_kernelINS0_14default_configENS1_25partition_config_selectorILNS1_17partition_subalgoE1EyNS0_10empty_typeEbEEZZNS1_14partition_implILS5_1ELb0ES3_jN6thrust23THRUST_200600_302600_NS6detail15normal_iteratorINSA_10device_ptrIyEEEEPS6_NSA_18transform_iteratorI7is_evenIyESF_NSA_11use_defaultESK_EENS0_5tupleIJSF_NSA_16discard_iteratorISK_EEEEENSM_IJSG_SG_EEES6_PlJS6_EEE10hipError_tPvRmT3_T4_T5_T6_T7_T9_mT8_P12ihipStream_tbDpT10_ENKUlT_T0_E_clISt17integral_constantIbLb1EES1A_IbLb0EEEEDaS16_S17_EUlS16_E_NS1_11comp_targetILNS1_3genE10ELNS1_11target_archE1200ELNS1_3gpuE4ELNS1_3repE0EEENS1_30default_config_static_selectorELNS0_4arch9wavefront6targetE1EEEvT1_,"axG",@progbits,_ZN7rocprim17ROCPRIM_400000_NS6detail17trampoline_kernelINS0_14default_configENS1_25partition_config_selectorILNS1_17partition_subalgoE1EyNS0_10empty_typeEbEEZZNS1_14partition_implILS5_1ELb0ES3_jN6thrust23THRUST_200600_302600_NS6detail15normal_iteratorINSA_10device_ptrIyEEEEPS6_NSA_18transform_iteratorI7is_evenIyESF_NSA_11use_defaultESK_EENS0_5tupleIJSF_NSA_16discard_iteratorISK_EEEEENSM_IJSG_SG_EEES6_PlJS6_EEE10hipError_tPvRmT3_T4_T5_T6_T7_T9_mT8_P12ihipStream_tbDpT10_ENKUlT_T0_E_clISt17integral_constantIbLb1EES1A_IbLb0EEEEDaS16_S17_EUlS16_E_NS1_11comp_targetILNS1_3genE10ELNS1_11target_archE1200ELNS1_3gpuE4ELNS1_3repE0EEENS1_30default_config_static_selectorELNS0_4arch9wavefront6targetE1EEEvT1_,comdat
	.protected	_ZN7rocprim17ROCPRIM_400000_NS6detail17trampoline_kernelINS0_14default_configENS1_25partition_config_selectorILNS1_17partition_subalgoE1EyNS0_10empty_typeEbEEZZNS1_14partition_implILS5_1ELb0ES3_jN6thrust23THRUST_200600_302600_NS6detail15normal_iteratorINSA_10device_ptrIyEEEEPS6_NSA_18transform_iteratorI7is_evenIyESF_NSA_11use_defaultESK_EENS0_5tupleIJSF_NSA_16discard_iteratorISK_EEEEENSM_IJSG_SG_EEES6_PlJS6_EEE10hipError_tPvRmT3_T4_T5_T6_T7_T9_mT8_P12ihipStream_tbDpT10_ENKUlT_T0_E_clISt17integral_constantIbLb1EES1A_IbLb0EEEEDaS16_S17_EUlS16_E_NS1_11comp_targetILNS1_3genE10ELNS1_11target_archE1200ELNS1_3gpuE4ELNS1_3repE0EEENS1_30default_config_static_selectorELNS0_4arch9wavefront6targetE1EEEvT1_ ; -- Begin function _ZN7rocprim17ROCPRIM_400000_NS6detail17trampoline_kernelINS0_14default_configENS1_25partition_config_selectorILNS1_17partition_subalgoE1EyNS0_10empty_typeEbEEZZNS1_14partition_implILS5_1ELb0ES3_jN6thrust23THRUST_200600_302600_NS6detail15normal_iteratorINSA_10device_ptrIyEEEEPS6_NSA_18transform_iteratorI7is_evenIyESF_NSA_11use_defaultESK_EENS0_5tupleIJSF_NSA_16discard_iteratorISK_EEEEENSM_IJSG_SG_EEES6_PlJS6_EEE10hipError_tPvRmT3_T4_T5_T6_T7_T9_mT8_P12ihipStream_tbDpT10_ENKUlT_T0_E_clISt17integral_constantIbLb1EES1A_IbLb0EEEEDaS16_S17_EUlS16_E_NS1_11comp_targetILNS1_3genE10ELNS1_11target_archE1200ELNS1_3gpuE4ELNS1_3repE0EEENS1_30default_config_static_selectorELNS0_4arch9wavefront6targetE1EEEvT1_
	.globl	_ZN7rocprim17ROCPRIM_400000_NS6detail17trampoline_kernelINS0_14default_configENS1_25partition_config_selectorILNS1_17partition_subalgoE1EyNS0_10empty_typeEbEEZZNS1_14partition_implILS5_1ELb0ES3_jN6thrust23THRUST_200600_302600_NS6detail15normal_iteratorINSA_10device_ptrIyEEEEPS6_NSA_18transform_iteratorI7is_evenIyESF_NSA_11use_defaultESK_EENS0_5tupleIJSF_NSA_16discard_iteratorISK_EEEEENSM_IJSG_SG_EEES6_PlJS6_EEE10hipError_tPvRmT3_T4_T5_T6_T7_T9_mT8_P12ihipStream_tbDpT10_ENKUlT_T0_E_clISt17integral_constantIbLb1EES1A_IbLb0EEEEDaS16_S17_EUlS16_E_NS1_11comp_targetILNS1_3genE10ELNS1_11target_archE1200ELNS1_3gpuE4ELNS1_3repE0EEENS1_30default_config_static_selectorELNS0_4arch9wavefront6targetE1EEEvT1_
	.p2align	8
	.type	_ZN7rocprim17ROCPRIM_400000_NS6detail17trampoline_kernelINS0_14default_configENS1_25partition_config_selectorILNS1_17partition_subalgoE1EyNS0_10empty_typeEbEEZZNS1_14partition_implILS5_1ELb0ES3_jN6thrust23THRUST_200600_302600_NS6detail15normal_iteratorINSA_10device_ptrIyEEEEPS6_NSA_18transform_iteratorI7is_evenIyESF_NSA_11use_defaultESK_EENS0_5tupleIJSF_NSA_16discard_iteratorISK_EEEEENSM_IJSG_SG_EEES6_PlJS6_EEE10hipError_tPvRmT3_T4_T5_T6_T7_T9_mT8_P12ihipStream_tbDpT10_ENKUlT_T0_E_clISt17integral_constantIbLb1EES1A_IbLb0EEEEDaS16_S17_EUlS16_E_NS1_11comp_targetILNS1_3genE10ELNS1_11target_archE1200ELNS1_3gpuE4ELNS1_3repE0EEENS1_30default_config_static_selectorELNS0_4arch9wavefront6targetE1EEEvT1_,@function
_ZN7rocprim17ROCPRIM_400000_NS6detail17trampoline_kernelINS0_14default_configENS1_25partition_config_selectorILNS1_17partition_subalgoE1EyNS0_10empty_typeEbEEZZNS1_14partition_implILS5_1ELb0ES3_jN6thrust23THRUST_200600_302600_NS6detail15normal_iteratorINSA_10device_ptrIyEEEEPS6_NSA_18transform_iteratorI7is_evenIyESF_NSA_11use_defaultESK_EENS0_5tupleIJSF_NSA_16discard_iteratorISK_EEEEENSM_IJSG_SG_EEES6_PlJS6_EEE10hipError_tPvRmT3_T4_T5_T6_T7_T9_mT8_P12ihipStream_tbDpT10_ENKUlT_T0_E_clISt17integral_constantIbLb1EES1A_IbLb0EEEEDaS16_S17_EUlS16_E_NS1_11comp_targetILNS1_3genE10ELNS1_11target_archE1200ELNS1_3gpuE4ELNS1_3repE0EEENS1_30default_config_static_selectorELNS0_4arch9wavefront6targetE1EEEvT1_: ; @_ZN7rocprim17ROCPRIM_400000_NS6detail17trampoline_kernelINS0_14default_configENS1_25partition_config_selectorILNS1_17partition_subalgoE1EyNS0_10empty_typeEbEEZZNS1_14partition_implILS5_1ELb0ES3_jN6thrust23THRUST_200600_302600_NS6detail15normal_iteratorINSA_10device_ptrIyEEEEPS6_NSA_18transform_iteratorI7is_evenIyESF_NSA_11use_defaultESK_EENS0_5tupleIJSF_NSA_16discard_iteratorISK_EEEEENSM_IJSG_SG_EEES6_PlJS6_EEE10hipError_tPvRmT3_T4_T5_T6_T7_T9_mT8_P12ihipStream_tbDpT10_ENKUlT_T0_E_clISt17integral_constantIbLb1EES1A_IbLb0EEEEDaS16_S17_EUlS16_E_NS1_11comp_targetILNS1_3genE10ELNS1_11target_archE1200ELNS1_3gpuE4ELNS1_3repE0EEENS1_30default_config_static_selectorELNS0_4arch9wavefront6targetE1EEEvT1_
; %bb.0:
	.section	.rodata,"a",@progbits
	.p2align	6, 0x0
	.amdhsa_kernel _ZN7rocprim17ROCPRIM_400000_NS6detail17trampoline_kernelINS0_14default_configENS1_25partition_config_selectorILNS1_17partition_subalgoE1EyNS0_10empty_typeEbEEZZNS1_14partition_implILS5_1ELb0ES3_jN6thrust23THRUST_200600_302600_NS6detail15normal_iteratorINSA_10device_ptrIyEEEEPS6_NSA_18transform_iteratorI7is_evenIyESF_NSA_11use_defaultESK_EENS0_5tupleIJSF_NSA_16discard_iteratorISK_EEEEENSM_IJSG_SG_EEES6_PlJS6_EEE10hipError_tPvRmT3_T4_T5_T6_T7_T9_mT8_P12ihipStream_tbDpT10_ENKUlT_T0_E_clISt17integral_constantIbLb1EES1A_IbLb0EEEEDaS16_S17_EUlS16_E_NS1_11comp_targetILNS1_3genE10ELNS1_11target_archE1200ELNS1_3gpuE4ELNS1_3repE0EEENS1_30default_config_static_selectorELNS0_4arch9wavefront6targetE1EEEvT1_
		.amdhsa_group_segment_fixed_size 0
		.amdhsa_private_segment_fixed_size 0
		.amdhsa_kernarg_size 136
		.amdhsa_user_sgpr_count 2
		.amdhsa_user_sgpr_dispatch_ptr 0
		.amdhsa_user_sgpr_queue_ptr 0
		.amdhsa_user_sgpr_kernarg_segment_ptr 1
		.amdhsa_user_sgpr_dispatch_id 0
		.amdhsa_user_sgpr_kernarg_preload_length 0
		.amdhsa_user_sgpr_kernarg_preload_offset 0
		.amdhsa_user_sgpr_private_segment_size 0
		.amdhsa_uses_dynamic_stack 0
		.amdhsa_enable_private_segment 0
		.amdhsa_system_sgpr_workgroup_id_x 1
		.amdhsa_system_sgpr_workgroup_id_y 0
		.amdhsa_system_sgpr_workgroup_id_z 0
		.amdhsa_system_sgpr_workgroup_info 0
		.amdhsa_system_vgpr_workitem_id 0
		.amdhsa_next_free_vgpr 1
		.amdhsa_next_free_sgpr 0
		.amdhsa_accum_offset 4
		.amdhsa_reserve_vcc 0
		.amdhsa_float_round_mode_32 0
		.amdhsa_float_round_mode_16_64 0
		.amdhsa_float_denorm_mode_32 3
		.amdhsa_float_denorm_mode_16_64 3
		.amdhsa_dx10_clamp 1
		.amdhsa_ieee_mode 1
		.amdhsa_fp16_overflow 0
		.amdhsa_tg_split 0
		.amdhsa_exception_fp_ieee_invalid_op 0
		.amdhsa_exception_fp_denorm_src 0
		.amdhsa_exception_fp_ieee_div_zero 0
		.amdhsa_exception_fp_ieee_overflow 0
		.amdhsa_exception_fp_ieee_underflow 0
		.amdhsa_exception_fp_ieee_inexact 0
		.amdhsa_exception_int_div_zero 0
	.end_amdhsa_kernel
	.section	.text._ZN7rocprim17ROCPRIM_400000_NS6detail17trampoline_kernelINS0_14default_configENS1_25partition_config_selectorILNS1_17partition_subalgoE1EyNS0_10empty_typeEbEEZZNS1_14partition_implILS5_1ELb0ES3_jN6thrust23THRUST_200600_302600_NS6detail15normal_iteratorINSA_10device_ptrIyEEEEPS6_NSA_18transform_iteratorI7is_evenIyESF_NSA_11use_defaultESK_EENS0_5tupleIJSF_NSA_16discard_iteratorISK_EEEEENSM_IJSG_SG_EEES6_PlJS6_EEE10hipError_tPvRmT3_T4_T5_T6_T7_T9_mT8_P12ihipStream_tbDpT10_ENKUlT_T0_E_clISt17integral_constantIbLb1EES1A_IbLb0EEEEDaS16_S17_EUlS16_E_NS1_11comp_targetILNS1_3genE10ELNS1_11target_archE1200ELNS1_3gpuE4ELNS1_3repE0EEENS1_30default_config_static_selectorELNS0_4arch9wavefront6targetE1EEEvT1_,"axG",@progbits,_ZN7rocprim17ROCPRIM_400000_NS6detail17trampoline_kernelINS0_14default_configENS1_25partition_config_selectorILNS1_17partition_subalgoE1EyNS0_10empty_typeEbEEZZNS1_14partition_implILS5_1ELb0ES3_jN6thrust23THRUST_200600_302600_NS6detail15normal_iteratorINSA_10device_ptrIyEEEEPS6_NSA_18transform_iteratorI7is_evenIyESF_NSA_11use_defaultESK_EENS0_5tupleIJSF_NSA_16discard_iteratorISK_EEEEENSM_IJSG_SG_EEES6_PlJS6_EEE10hipError_tPvRmT3_T4_T5_T6_T7_T9_mT8_P12ihipStream_tbDpT10_ENKUlT_T0_E_clISt17integral_constantIbLb1EES1A_IbLb0EEEEDaS16_S17_EUlS16_E_NS1_11comp_targetILNS1_3genE10ELNS1_11target_archE1200ELNS1_3gpuE4ELNS1_3repE0EEENS1_30default_config_static_selectorELNS0_4arch9wavefront6targetE1EEEvT1_,comdat
.Lfunc_end2928:
	.size	_ZN7rocprim17ROCPRIM_400000_NS6detail17trampoline_kernelINS0_14default_configENS1_25partition_config_selectorILNS1_17partition_subalgoE1EyNS0_10empty_typeEbEEZZNS1_14partition_implILS5_1ELb0ES3_jN6thrust23THRUST_200600_302600_NS6detail15normal_iteratorINSA_10device_ptrIyEEEEPS6_NSA_18transform_iteratorI7is_evenIyESF_NSA_11use_defaultESK_EENS0_5tupleIJSF_NSA_16discard_iteratorISK_EEEEENSM_IJSG_SG_EEES6_PlJS6_EEE10hipError_tPvRmT3_T4_T5_T6_T7_T9_mT8_P12ihipStream_tbDpT10_ENKUlT_T0_E_clISt17integral_constantIbLb1EES1A_IbLb0EEEEDaS16_S17_EUlS16_E_NS1_11comp_targetILNS1_3genE10ELNS1_11target_archE1200ELNS1_3gpuE4ELNS1_3repE0EEENS1_30default_config_static_selectorELNS0_4arch9wavefront6targetE1EEEvT1_, .Lfunc_end2928-_ZN7rocprim17ROCPRIM_400000_NS6detail17trampoline_kernelINS0_14default_configENS1_25partition_config_selectorILNS1_17partition_subalgoE1EyNS0_10empty_typeEbEEZZNS1_14partition_implILS5_1ELb0ES3_jN6thrust23THRUST_200600_302600_NS6detail15normal_iteratorINSA_10device_ptrIyEEEEPS6_NSA_18transform_iteratorI7is_evenIyESF_NSA_11use_defaultESK_EENS0_5tupleIJSF_NSA_16discard_iteratorISK_EEEEENSM_IJSG_SG_EEES6_PlJS6_EEE10hipError_tPvRmT3_T4_T5_T6_T7_T9_mT8_P12ihipStream_tbDpT10_ENKUlT_T0_E_clISt17integral_constantIbLb1EES1A_IbLb0EEEEDaS16_S17_EUlS16_E_NS1_11comp_targetILNS1_3genE10ELNS1_11target_archE1200ELNS1_3gpuE4ELNS1_3repE0EEENS1_30default_config_static_selectorELNS0_4arch9wavefront6targetE1EEEvT1_
                                        ; -- End function
	.section	.AMDGPU.csdata,"",@progbits
; Kernel info:
; codeLenInByte = 0
; NumSgprs: 6
; NumVgprs: 0
; NumAgprs: 0
; TotalNumVgprs: 0
; ScratchSize: 0
; MemoryBound: 0
; FloatMode: 240
; IeeeMode: 1
; LDSByteSize: 0 bytes/workgroup (compile time only)
; SGPRBlocks: 0
; VGPRBlocks: 0
; NumSGPRsForWavesPerEU: 6
; NumVGPRsForWavesPerEU: 1
; AccumOffset: 4
; Occupancy: 8
; WaveLimiterHint : 0
; COMPUTE_PGM_RSRC2:SCRATCH_EN: 0
; COMPUTE_PGM_RSRC2:USER_SGPR: 2
; COMPUTE_PGM_RSRC2:TRAP_HANDLER: 0
; COMPUTE_PGM_RSRC2:TGID_X_EN: 1
; COMPUTE_PGM_RSRC2:TGID_Y_EN: 0
; COMPUTE_PGM_RSRC2:TGID_Z_EN: 0
; COMPUTE_PGM_RSRC2:TIDIG_COMP_CNT: 0
; COMPUTE_PGM_RSRC3_GFX90A:ACCUM_OFFSET: 0
; COMPUTE_PGM_RSRC3_GFX90A:TG_SPLIT: 0
	.section	.text._ZN7rocprim17ROCPRIM_400000_NS6detail17trampoline_kernelINS0_14default_configENS1_25partition_config_selectorILNS1_17partition_subalgoE1EyNS0_10empty_typeEbEEZZNS1_14partition_implILS5_1ELb0ES3_jN6thrust23THRUST_200600_302600_NS6detail15normal_iteratorINSA_10device_ptrIyEEEEPS6_NSA_18transform_iteratorI7is_evenIyESF_NSA_11use_defaultESK_EENS0_5tupleIJSF_NSA_16discard_iteratorISK_EEEEENSM_IJSG_SG_EEES6_PlJS6_EEE10hipError_tPvRmT3_T4_T5_T6_T7_T9_mT8_P12ihipStream_tbDpT10_ENKUlT_T0_E_clISt17integral_constantIbLb1EES1A_IbLb0EEEEDaS16_S17_EUlS16_E_NS1_11comp_targetILNS1_3genE9ELNS1_11target_archE1100ELNS1_3gpuE3ELNS1_3repE0EEENS1_30default_config_static_selectorELNS0_4arch9wavefront6targetE1EEEvT1_,"axG",@progbits,_ZN7rocprim17ROCPRIM_400000_NS6detail17trampoline_kernelINS0_14default_configENS1_25partition_config_selectorILNS1_17partition_subalgoE1EyNS0_10empty_typeEbEEZZNS1_14partition_implILS5_1ELb0ES3_jN6thrust23THRUST_200600_302600_NS6detail15normal_iteratorINSA_10device_ptrIyEEEEPS6_NSA_18transform_iteratorI7is_evenIyESF_NSA_11use_defaultESK_EENS0_5tupleIJSF_NSA_16discard_iteratorISK_EEEEENSM_IJSG_SG_EEES6_PlJS6_EEE10hipError_tPvRmT3_T4_T5_T6_T7_T9_mT8_P12ihipStream_tbDpT10_ENKUlT_T0_E_clISt17integral_constantIbLb1EES1A_IbLb0EEEEDaS16_S17_EUlS16_E_NS1_11comp_targetILNS1_3genE9ELNS1_11target_archE1100ELNS1_3gpuE3ELNS1_3repE0EEENS1_30default_config_static_selectorELNS0_4arch9wavefront6targetE1EEEvT1_,comdat
	.protected	_ZN7rocprim17ROCPRIM_400000_NS6detail17trampoline_kernelINS0_14default_configENS1_25partition_config_selectorILNS1_17partition_subalgoE1EyNS0_10empty_typeEbEEZZNS1_14partition_implILS5_1ELb0ES3_jN6thrust23THRUST_200600_302600_NS6detail15normal_iteratorINSA_10device_ptrIyEEEEPS6_NSA_18transform_iteratorI7is_evenIyESF_NSA_11use_defaultESK_EENS0_5tupleIJSF_NSA_16discard_iteratorISK_EEEEENSM_IJSG_SG_EEES6_PlJS6_EEE10hipError_tPvRmT3_T4_T5_T6_T7_T9_mT8_P12ihipStream_tbDpT10_ENKUlT_T0_E_clISt17integral_constantIbLb1EES1A_IbLb0EEEEDaS16_S17_EUlS16_E_NS1_11comp_targetILNS1_3genE9ELNS1_11target_archE1100ELNS1_3gpuE3ELNS1_3repE0EEENS1_30default_config_static_selectorELNS0_4arch9wavefront6targetE1EEEvT1_ ; -- Begin function _ZN7rocprim17ROCPRIM_400000_NS6detail17trampoline_kernelINS0_14default_configENS1_25partition_config_selectorILNS1_17partition_subalgoE1EyNS0_10empty_typeEbEEZZNS1_14partition_implILS5_1ELb0ES3_jN6thrust23THRUST_200600_302600_NS6detail15normal_iteratorINSA_10device_ptrIyEEEEPS6_NSA_18transform_iteratorI7is_evenIyESF_NSA_11use_defaultESK_EENS0_5tupleIJSF_NSA_16discard_iteratorISK_EEEEENSM_IJSG_SG_EEES6_PlJS6_EEE10hipError_tPvRmT3_T4_T5_T6_T7_T9_mT8_P12ihipStream_tbDpT10_ENKUlT_T0_E_clISt17integral_constantIbLb1EES1A_IbLb0EEEEDaS16_S17_EUlS16_E_NS1_11comp_targetILNS1_3genE9ELNS1_11target_archE1100ELNS1_3gpuE3ELNS1_3repE0EEENS1_30default_config_static_selectorELNS0_4arch9wavefront6targetE1EEEvT1_
	.globl	_ZN7rocprim17ROCPRIM_400000_NS6detail17trampoline_kernelINS0_14default_configENS1_25partition_config_selectorILNS1_17partition_subalgoE1EyNS0_10empty_typeEbEEZZNS1_14partition_implILS5_1ELb0ES3_jN6thrust23THRUST_200600_302600_NS6detail15normal_iteratorINSA_10device_ptrIyEEEEPS6_NSA_18transform_iteratorI7is_evenIyESF_NSA_11use_defaultESK_EENS0_5tupleIJSF_NSA_16discard_iteratorISK_EEEEENSM_IJSG_SG_EEES6_PlJS6_EEE10hipError_tPvRmT3_T4_T5_T6_T7_T9_mT8_P12ihipStream_tbDpT10_ENKUlT_T0_E_clISt17integral_constantIbLb1EES1A_IbLb0EEEEDaS16_S17_EUlS16_E_NS1_11comp_targetILNS1_3genE9ELNS1_11target_archE1100ELNS1_3gpuE3ELNS1_3repE0EEENS1_30default_config_static_selectorELNS0_4arch9wavefront6targetE1EEEvT1_
	.p2align	8
	.type	_ZN7rocprim17ROCPRIM_400000_NS6detail17trampoline_kernelINS0_14default_configENS1_25partition_config_selectorILNS1_17partition_subalgoE1EyNS0_10empty_typeEbEEZZNS1_14partition_implILS5_1ELb0ES3_jN6thrust23THRUST_200600_302600_NS6detail15normal_iteratorINSA_10device_ptrIyEEEEPS6_NSA_18transform_iteratorI7is_evenIyESF_NSA_11use_defaultESK_EENS0_5tupleIJSF_NSA_16discard_iteratorISK_EEEEENSM_IJSG_SG_EEES6_PlJS6_EEE10hipError_tPvRmT3_T4_T5_T6_T7_T9_mT8_P12ihipStream_tbDpT10_ENKUlT_T0_E_clISt17integral_constantIbLb1EES1A_IbLb0EEEEDaS16_S17_EUlS16_E_NS1_11comp_targetILNS1_3genE9ELNS1_11target_archE1100ELNS1_3gpuE3ELNS1_3repE0EEENS1_30default_config_static_selectorELNS0_4arch9wavefront6targetE1EEEvT1_,@function
_ZN7rocprim17ROCPRIM_400000_NS6detail17trampoline_kernelINS0_14default_configENS1_25partition_config_selectorILNS1_17partition_subalgoE1EyNS0_10empty_typeEbEEZZNS1_14partition_implILS5_1ELb0ES3_jN6thrust23THRUST_200600_302600_NS6detail15normal_iteratorINSA_10device_ptrIyEEEEPS6_NSA_18transform_iteratorI7is_evenIyESF_NSA_11use_defaultESK_EENS0_5tupleIJSF_NSA_16discard_iteratorISK_EEEEENSM_IJSG_SG_EEES6_PlJS6_EEE10hipError_tPvRmT3_T4_T5_T6_T7_T9_mT8_P12ihipStream_tbDpT10_ENKUlT_T0_E_clISt17integral_constantIbLb1EES1A_IbLb0EEEEDaS16_S17_EUlS16_E_NS1_11comp_targetILNS1_3genE9ELNS1_11target_archE1100ELNS1_3gpuE3ELNS1_3repE0EEENS1_30default_config_static_selectorELNS0_4arch9wavefront6targetE1EEEvT1_: ; @_ZN7rocprim17ROCPRIM_400000_NS6detail17trampoline_kernelINS0_14default_configENS1_25partition_config_selectorILNS1_17partition_subalgoE1EyNS0_10empty_typeEbEEZZNS1_14partition_implILS5_1ELb0ES3_jN6thrust23THRUST_200600_302600_NS6detail15normal_iteratorINSA_10device_ptrIyEEEEPS6_NSA_18transform_iteratorI7is_evenIyESF_NSA_11use_defaultESK_EENS0_5tupleIJSF_NSA_16discard_iteratorISK_EEEEENSM_IJSG_SG_EEES6_PlJS6_EEE10hipError_tPvRmT3_T4_T5_T6_T7_T9_mT8_P12ihipStream_tbDpT10_ENKUlT_T0_E_clISt17integral_constantIbLb1EES1A_IbLb0EEEEDaS16_S17_EUlS16_E_NS1_11comp_targetILNS1_3genE9ELNS1_11target_archE1100ELNS1_3gpuE3ELNS1_3repE0EEENS1_30default_config_static_selectorELNS0_4arch9wavefront6targetE1EEEvT1_
; %bb.0:
	.section	.rodata,"a",@progbits
	.p2align	6, 0x0
	.amdhsa_kernel _ZN7rocprim17ROCPRIM_400000_NS6detail17trampoline_kernelINS0_14default_configENS1_25partition_config_selectorILNS1_17partition_subalgoE1EyNS0_10empty_typeEbEEZZNS1_14partition_implILS5_1ELb0ES3_jN6thrust23THRUST_200600_302600_NS6detail15normal_iteratorINSA_10device_ptrIyEEEEPS6_NSA_18transform_iteratorI7is_evenIyESF_NSA_11use_defaultESK_EENS0_5tupleIJSF_NSA_16discard_iteratorISK_EEEEENSM_IJSG_SG_EEES6_PlJS6_EEE10hipError_tPvRmT3_T4_T5_T6_T7_T9_mT8_P12ihipStream_tbDpT10_ENKUlT_T0_E_clISt17integral_constantIbLb1EES1A_IbLb0EEEEDaS16_S17_EUlS16_E_NS1_11comp_targetILNS1_3genE9ELNS1_11target_archE1100ELNS1_3gpuE3ELNS1_3repE0EEENS1_30default_config_static_selectorELNS0_4arch9wavefront6targetE1EEEvT1_
		.amdhsa_group_segment_fixed_size 0
		.amdhsa_private_segment_fixed_size 0
		.amdhsa_kernarg_size 136
		.amdhsa_user_sgpr_count 2
		.amdhsa_user_sgpr_dispatch_ptr 0
		.amdhsa_user_sgpr_queue_ptr 0
		.amdhsa_user_sgpr_kernarg_segment_ptr 1
		.amdhsa_user_sgpr_dispatch_id 0
		.amdhsa_user_sgpr_kernarg_preload_length 0
		.amdhsa_user_sgpr_kernarg_preload_offset 0
		.amdhsa_user_sgpr_private_segment_size 0
		.amdhsa_uses_dynamic_stack 0
		.amdhsa_enable_private_segment 0
		.amdhsa_system_sgpr_workgroup_id_x 1
		.amdhsa_system_sgpr_workgroup_id_y 0
		.amdhsa_system_sgpr_workgroup_id_z 0
		.amdhsa_system_sgpr_workgroup_info 0
		.amdhsa_system_vgpr_workitem_id 0
		.amdhsa_next_free_vgpr 1
		.amdhsa_next_free_sgpr 0
		.amdhsa_accum_offset 4
		.amdhsa_reserve_vcc 0
		.amdhsa_float_round_mode_32 0
		.amdhsa_float_round_mode_16_64 0
		.amdhsa_float_denorm_mode_32 3
		.amdhsa_float_denorm_mode_16_64 3
		.amdhsa_dx10_clamp 1
		.amdhsa_ieee_mode 1
		.amdhsa_fp16_overflow 0
		.amdhsa_tg_split 0
		.amdhsa_exception_fp_ieee_invalid_op 0
		.amdhsa_exception_fp_denorm_src 0
		.amdhsa_exception_fp_ieee_div_zero 0
		.amdhsa_exception_fp_ieee_overflow 0
		.amdhsa_exception_fp_ieee_underflow 0
		.amdhsa_exception_fp_ieee_inexact 0
		.amdhsa_exception_int_div_zero 0
	.end_amdhsa_kernel
	.section	.text._ZN7rocprim17ROCPRIM_400000_NS6detail17trampoline_kernelINS0_14default_configENS1_25partition_config_selectorILNS1_17partition_subalgoE1EyNS0_10empty_typeEbEEZZNS1_14partition_implILS5_1ELb0ES3_jN6thrust23THRUST_200600_302600_NS6detail15normal_iteratorINSA_10device_ptrIyEEEEPS6_NSA_18transform_iteratorI7is_evenIyESF_NSA_11use_defaultESK_EENS0_5tupleIJSF_NSA_16discard_iteratorISK_EEEEENSM_IJSG_SG_EEES6_PlJS6_EEE10hipError_tPvRmT3_T4_T5_T6_T7_T9_mT8_P12ihipStream_tbDpT10_ENKUlT_T0_E_clISt17integral_constantIbLb1EES1A_IbLb0EEEEDaS16_S17_EUlS16_E_NS1_11comp_targetILNS1_3genE9ELNS1_11target_archE1100ELNS1_3gpuE3ELNS1_3repE0EEENS1_30default_config_static_selectorELNS0_4arch9wavefront6targetE1EEEvT1_,"axG",@progbits,_ZN7rocprim17ROCPRIM_400000_NS6detail17trampoline_kernelINS0_14default_configENS1_25partition_config_selectorILNS1_17partition_subalgoE1EyNS0_10empty_typeEbEEZZNS1_14partition_implILS5_1ELb0ES3_jN6thrust23THRUST_200600_302600_NS6detail15normal_iteratorINSA_10device_ptrIyEEEEPS6_NSA_18transform_iteratorI7is_evenIyESF_NSA_11use_defaultESK_EENS0_5tupleIJSF_NSA_16discard_iteratorISK_EEEEENSM_IJSG_SG_EEES6_PlJS6_EEE10hipError_tPvRmT3_T4_T5_T6_T7_T9_mT8_P12ihipStream_tbDpT10_ENKUlT_T0_E_clISt17integral_constantIbLb1EES1A_IbLb0EEEEDaS16_S17_EUlS16_E_NS1_11comp_targetILNS1_3genE9ELNS1_11target_archE1100ELNS1_3gpuE3ELNS1_3repE0EEENS1_30default_config_static_selectorELNS0_4arch9wavefront6targetE1EEEvT1_,comdat
.Lfunc_end2929:
	.size	_ZN7rocprim17ROCPRIM_400000_NS6detail17trampoline_kernelINS0_14default_configENS1_25partition_config_selectorILNS1_17partition_subalgoE1EyNS0_10empty_typeEbEEZZNS1_14partition_implILS5_1ELb0ES3_jN6thrust23THRUST_200600_302600_NS6detail15normal_iteratorINSA_10device_ptrIyEEEEPS6_NSA_18transform_iteratorI7is_evenIyESF_NSA_11use_defaultESK_EENS0_5tupleIJSF_NSA_16discard_iteratorISK_EEEEENSM_IJSG_SG_EEES6_PlJS6_EEE10hipError_tPvRmT3_T4_T5_T6_T7_T9_mT8_P12ihipStream_tbDpT10_ENKUlT_T0_E_clISt17integral_constantIbLb1EES1A_IbLb0EEEEDaS16_S17_EUlS16_E_NS1_11comp_targetILNS1_3genE9ELNS1_11target_archE1100ELNS1_3gpuE3ELNS1_3repE0EEENS1_30default_config_static_selectorELNS0_4arch9wavefront6targetE1EEEvT1_, .Lfunc_end2929-_ZN7rocprim17ROCPRIM_400000_NS6detail17trampoline_kernelINS0_14default_configENS1_25partition_config_selectorILNS1_17partition_subalgoE1EyNS0_10empty_typeEbEEZZNS1_14partition_implILS5_1ELb0ES3_jN6thrust23THRUST_200600_302600_NS6detail15normal_iteratorINSA_10device_ptrIyEEEEPS6_NSA_18transform_iteratorI7is_evenIyESF_NSA_11use_defaultESK_EENS0_5tupleIJSF_NSA_16discard_iteratorISK_EEEEENSM_IJSG_SG_EEES6_PlJS6_EEE10hipError_tPvRmT3_T4_T5_T6_T7_T9_mT8_P12ihipStream_tbDpT10_ENKUlT_T0_E_clISt17integral_constantIbLb1EES1A_IbLb0EEEEDaS16_S17_EUlS16_E_NS1_11comp_targetILNS1_3genE9ELNS1_11target_archE1100ELNS1_3gpuE3ELNS1_3repE0EEENS1_30default_config_static_selectorELNS0_4arch9wavefront6targetE1EEEvT1_
                                        ; -- End function
	.section	.AMDGPU.csdata,"",@progbits
; Kernel info:
; codeLenInByte = 0
; NumSgprs: 6
; NumVgprs: 0
; NumAgprs: 0
; TotalNumVgprs: 0
; ScratchSize: 0
; MemoryBound: 0
; FloatMode: 240
; IeeeMode: 1
; LDSByteSize: 0 bytes/workgroup (compile time only)
; SGPRBlocks: 0
; VGPRBlocks: 0
; NumSGPRsForWavesPerEU: 6
; NumVGPRsForWavesPerEU: 1
; AccumOffset: 4
; Occupancy: 8
; WaveLimiterHint : 0
; COMPUTE_PGM_RSRC2:SCRATCH_EN: 0
; COMPUTE_PGM_RSRC2:USER_SGPR: 2
; COMPUTE_PGM_RSRC2:TRAP_HANDLER: 0
; COMPUTE_PGM_RSRC2:TGID_X_EN: 1
; COMPUTE_PGM_RSRC2:TGID_Y_EN: 0
; COMPUTE_PGM_RSRC2:TGID_Z_EN: 0
; COMPUTE_PGM_RSRC2:TIDIG_COMP_CNT: 0
; COMPUTE_PGM_RSRC3_GFX90A:ACCUM_OFFSET: 0
; COMPUTE_PGM_RSRC3_GFX90A:TG_SPLIT: 0
	.section	.text._ZN7rocprim17ROCPRIM_400000_NS6detail17trampoline_kernelINS0_14default_configENS1_25partition_config_selectorILNS1_17partition_subalgoE1EyNS0_10empty_typeEbEEZZNS1_14partition_implILS5_1ELb0ES3_jN6thrust23THRUST_200600_302600_NS6detail15normal_iteratorINSA_10device_ptrIyEEEEPS6_NSA_18transform_iteratorI7is_evenIyESF_NSA_11use_defaultESK_EENS0_5tupleIJSF_NSA_16discard_iteratorISK_EEEEENSM_IJSG_SG_EEES6_PlJS6_EEE10hipError_tPvRmT3_T4_T5_T6_T7_T9_mT8_P12ihipStream_tbDpT10_ENKUlT_T0_E_clISt17integral_constantIbLb1EES1A_IbLb0EEEEDaS16_S17_EUlS16_E_NS1_11comp_targetILNS1_3genE8ELNS1_11target_archE1030ELNS1_3gpuE2ELNS1_3repE0EEENS1_30default_config_static_selectorELNS0_4arch9wavefront6targetE1EEEvT1_,"axG",@progbits,_ZN7rocprim17ROCPRIM_400000_NS6detail17trampoline_kernelINS0_14default_configENS1_25partition_config_selectorILNS1_17partition_subalgoE1EyNS0_10empty_typeEbEEZZNS1_14partition_implILS5_1ELb0ES3_jN6thrust23THRUST_200600_302600_NS6detail15normal_iteratorINSA_10device_ptrIyEEEEPS6_NSA_18transform_iteratorI7is_evenIyESF_NSA_11use_defaultESK_EENS0_5tupleIJSF_NSA_16discard_iteratorISK_EEEEENSM_IJSG_SG_EEES6_PlJS6_EEE10hipError_tPvRmT3_T4_T5_T6_T7_T9_mT8_P12ihipStream_tbDpT10_ENKUlT_T0_E_clISt17integral_constantIbLb1EES1A_IbLb0EEEEDaS16_S17_EUlS16_E_NS1_11comp_targetILNS1_3genE8ELNS1_11target_archE1030ELNS1_3gpuE2ELNS1_3repE0EEENS1_30default_config_static_selectorELNS0_4arch9wavefront6targetE1EEEvT1_,comdat
	.protected	_ZN7rocprim17ROCPRIM_400000_NS6detail17trampoline_kernelINS0_14default_configENS1_25partition_config_selectorILNS1_17partition_subalgoE1EyNS0_10empty_typeEbEEZZNS1_14partition_implILS5_1ELb0ES3_jN6thrust23THRUST_200600_302600_NS6detail15normal_iteratorINSA_10device_ptrIyEEEEPS6_NSA_18transform_iteratorI7is_evenIyESF_NSA_11use_defaultESK_EENS0_5tupleIJSF_NSA_16discard_iteratorISK_EEEEENSM_IJSG_SG_EEES6_PlJS6_EEE10hipError_tPvRmT3_T4_T5_T6_T7_T9_mT8_P12ihipStream_tbDpT10_ENKUlT_T0_E_clISt17integral_constantIbLb1EES1A_IbLb0EEEEDaS16_S17_EUlS16_E_NS1_11comp_targetILNS1_3genE8ELNS1_11target_archE1030ELNS1_3gpuE2ELNS1_3repE0EEENS1_30default_config_static_selectorELNS0_4arch9wavefront6targetE1EEEvT1_ ; -- Begin function _ZN7rocprim17ROCPRIM_400000_NS6detail17trampoline_kernelINS0_14default_configENS1_25partition_config_selectorILNS1_17partition_subalgoE1EyNS0_10empty_typeEbEEZZNS1_14partition_implILS5_1ELb0ES3_jN6thrust23THRUST_200600_302600_NS6detail15normal_iteratorINSA_10device_ptrIyEEEEPS6_NSA_18transform_iteratorI7is_evenIyESF_NSA_11use_defaultESK_EENS0_5tupleIJSF_NSA_16discard_iteratorISK_EEEEENSM_IJSG_SG_EEES6_PlJS6_EEE10hipError_tPvRmT3_T4_T5_T6_T7_T9_mT8_P12ihipStream_tbDpT10_ENKUlT_T0_E_clISt17integral_constantIbLb1EES1A_IbLb0EEEEDaS16_S17_EUlS16_E_NS1_11comp_targetILNS1_3genE8ELNS1_11target_archE1030ELNS1_3gpuE2ELNS1_3repE0EEENS1_30default_config_static_selectorELNS0_4arch9wavefront6targetE1EEEvT1_
	.globl	_ZN7rocprim17ROCPRIM_400000_NS6detail17trampoline_kernelINS0_14default_configENS1_25partition_config_selectorILNS1_17partition_subalgoE1EyNS0_10empty_typeEbEEZZNS1_14partition_implILS5_1ELb0ES3_jN6thrust23THRUST_200600_302600_NS6detail15normal_iteratorINSA_10device_ptrIyEEEEPS6_NSA_18transform_iteratorI7is_evenIyESF_NSA_11use_defaultESK_EENS0_5tupleIJSF_NSA_16discard_iteratorISK_EEEEENSM_IJSG_SG_EEES6_PlJS6_EEE10hipError_tPvRmT3_T4_T5_T6_T7_T9_mT8_P12ihipStream_tbDpT10_ENKUlT_T0_E_clISt17integral_constantIbLb1EES1A_IbLb0EEEEDaS16_S17_EUlS16_E_NS1_11comp_targetILNS1_3genE8ELNS1_11target_archE1030ELNS1_3gpuE2ELNS1_3repE0EEENS1_30default_config_static_selectorELNS0_4arch9wavefront6targetE1EEEvT1_
	.p2align	8
	.type	_ZN7rocprim17ROCPRIM_400000_NS6detail17trampoline_kernelINS0_14default_configENS1_25partition_config_selectorILNS1_17partition_subalgoE1EyNS0_10empty_typeEbEEZZNS1_14partition_implILS5_1ELb0ES3_jN6thrust23THRUST_200600_302600_NS6detail15normal_iteratorINSA_10device_ptrIyEEEEPS6_NSA_18transform_iteratorI7is_evenIyESF_NSA_11use_defaultESK_EENS0_5tupleIJSF_NSA_16discard_iteratorISK_EEEEENSM_IJSG_SG_EEES6_PlJS6_EEE10hipError_tPvRmT3_T4_T5_T6_T7_T9_mT8_P12ihipStream_tbDpT10_ENKUlT_T0_E_clISt17integral_constantIbLb1EES1A_IbLb0EEEEDaS16_S17_EUlS16_E_NS1_11comp_targetILNS1_3genE8ELNS1_11target_archE1030ELNS1_3gpuE2ELNS1_3repE0EEENS1_30default_config_static_selectorELNS0_4arch9wavefront6targetE1EEEvT1_,@function
_ZN7rocprim17ROCPRIM_400000_NS6detail17trampoline_kernelINS0_14default_configENS1_25partition_config_selectorILNS1_17partition_subalgoE1EyNS0_10empty_typeEbEEZZNS1_14partition_implILS5_1ELb0ES3_jN6thrust23THRUST_200600_302600_NS6detail15normal_iteratorINSA_10device_ptrIyEEEEPS6_NSA_18transform_iteratorI7is_evenIyESF_NSA_11use_defaultESK_EENS0_5tupleIJSF_NSA_16discard_iteratorISK_EEEEENSM_IJSG_SG_EEES6_PlJS6_EEE10hipError_tPvRmT3_T4_T5_T6_T7_T9_mT8_P12ihipStream_tbDpT10_ENKUlT_T0_E_clISt17integral_constantIbLb1EES1A_IbLb0EEEEDaS16_S17_EUlS16_E_NS1_11comp_targetILNS1_3genE8ELNS1_11target_archE1030ELNS1_3gpuE2ELNS1_3repE0EEENS1_30default_config_static_selectorELNS0_4arch9wavefront6targetE1EEEvT1_: ; @_ZN7rocprim17ROCPRIM_400000_NS6detail17trampoline_kernelINS0_14default_configENS1_25partition_config_selectorILNS1_17partition_subalgoE1EyNS0_10empty_typeEbEEZZNS1_14partition_implILS5_1ELb0ES3_jN6thrust23THRUST_200600_302600_NS6detail15normal_iteratorINSA_10device_ptrIyEEEEPS6_NSA_18transform_iteratorI7is_evenIyESF_NSA_11use_defaultESK_EENS0_5tupleIJSF_NSA_16discard_iteratorISK_EEEEENSM_IJSG_SG_EEES6_PlJS6_EEE10hipError_tPvRmT3_T4_T5_T6_T7_T9_mT8_P12ihipStream_tbDpT10_ENKUlT_T0_E_clISt17integral_constantIbLb1EES1A_IbLb0EEEEDaS16_S17_EUlS16_E_NS1_11comp_targetILNS1_3genE8ELNS1_11target_archE1030ELNS1_3gpuE2ELNS1_3repE0EEENS1_30default_config_static_selectorELNS0_4arch9wavefront6targetE1EEEvT1_
; %bb.0:
	.section	.rodata,"a",@progbits
	.p2align	6, 0x0
	.amdhsa_kernel _ZN7rocprim17ROCPRIM_400000_NS6detail17trampoline_kernelINS0_14default_configENS1_25partition_config_selectorILNS1_17partition_subalgoE1EyNS0_10empty_typeEbEEZZNS1_14partition_implILS5_1ELb0ES3_jN6thrust23THRUST_200600_302600_NS6detail15normal_iteratorINSA_10device_ptrIyEEEEPS6_NSA_18transform_iteratorI7is_evenIyESF_NSA_11use_defaultESK_EENS0_5tupleIJSF_NSA_16discard_iteratorISK_EEEEENSM_IJSG_SG_EEES6_PlJS6_EEE10hipError_tPvRmT3_T4_T5_T6_T7_T9_mT8_P12ihipStream_tbDpT10_ENKUlT_T0_E_clISt17integral_constantIbLb1EES1A_IbLb0EEEEDaS16_S17_EUlS16_E_NS1_11comp_targetILNS1_3genE8ELNS1_11target_archE1030ELNS1_3gpuE2ELNS1_3repE0EEENS1_30default_config_static_selectorELNS0_4arch9wavefront6targetE1EEEvT1_
		.amdhsa_group_segment_fixed_size 0
		.amdhsa_private_segment_fixed_size 0
		.amdhsa_kernarg_size 136
		.amdhsa_user_sgpr_count 2
		.amdhsa_user_sgpr_dispatch_ptr 0
		.amdhsa_user_sgpr_queue_ptr 0
		.amdhsa_user_sgpr_kernarg_segment_ptr 1
		.amdhsa_user_sgpr_dispatch_id 0
		.amdhsa_user_sgpr_kernarg_preload_length 0
		.amdhsa_user_sgpr_kernarg_preload_offset 0
		.amdhsa_user_sgpr_private_segment_size 0
		.amdhsa_uses_dynamic_stack 0
		.amdhsa_enable_private_segment 0
		.amdhsa_system_sgpr_workgroup_id_x 1
		.amdhsa_system_sgpr_workgroup_id_y 0
		.amdhsa_system_sgpr_workgroup_id_z 0
		.amdhsa_system_sgpr_workgroup_info 0
		.amdhsa_system_vgpr_workitem_id 0
		.amdhsa_next_free_vgpr 1
		.amdhsa_next_free_sgpr 0
		.amdhsa_accum_offset 4
		.amdhsa_reserve_vcc 0
		.amdhsa_float_round_mode_32 0
		.amdhsa_float_round_mode_16_64 0
		.amdhsa_float_denorm_mode_32 3
		.amdhsa_float_denorm_mode_16_64 3
		.amdhsa_dx10_clamp 1
		.amdhsa_ieee_mode 1
		.amdhsa_fp16_overflow 0
		.amdhsa_tg_split 0
		.amdhsa_exception_fp_ieee_invalid_op 0
		.amdhsa_exception_fp_denorm_src 0
		.amdhsa_exception_fp_ieee_div_zero 0
		.amdhsa_exception_fp_ieee_overflow 0
		.amdhsa_exception_fp_ieee_underflow 0
		.amdhsa_exception_fp_ieee_inexact 0
		.amdhsa_exception_int_div_zero 0
	.end_amdhsa_kernel
	.section	.text._ZN7rocprim17ROCPRIM_400000_NS6detail17trampoline_kernelINS0_14default_configENS1_25partition_config_selectorILNS1_17partition_subalgoE1EyNS0_10empty_typeEbEEZZNS1_14partition_implILS5_1ELb0ES3_jN6thrust23THRUST_200600_302600_NS6detail15normal_iteratorINSA_10device_ptrIyEEEEPS6_NSA_18transform_iteratorI7is_evenIyESF_NSA_11use_defaultESK_EENS0_5tupleIJSF_NSA_16discard_iteratorISK_EEEEENSM_IJSG_SG_EEES6_PlJS6_EEE10hipError_tPvRmT3_T4_T5_T6_T7_T9_mT8_P12ihipStream_tbDpT10_ENKUlT_T0_E_clISt17integral_constantIbLb1EES1A_IbLb0EEEEDaS16_S17_EUlS16_E_NS1_11comp_targetILNS1_3genE8ELNS1_11target_archE1030ELNS1_3gpuE2ELNS1_3repE0EEENS1_30default_config_static_selectorELNS0_4arch9wavefront6targetE1EEEvT1_,"axG",@progbits,_ZN7rocprim17ROCPRIM_400000_NS6detail17trampoline_kernelINS0_14default_configENS1_25partition_config_selectorILNS1_17partition_subalgoE1EyNS0_10empty_typeEbEEZZNS1_14partition_implILS5_1ELb0ES3_jN6thrust23THRUST_200600_302600_NS6detail15normal_iteratorINSA_10device_ptrIyEEEEPS6_NSA_18transform_iteratorI7is_evenIyESF_NSA_11use_defaultESK_EENS0_5tupleIJSF_NSA_16discard_iteratorISK_EEEEENSM_IJSG_SG_EEES6_PlJS6_EEE10hipError_tPvRmT3_T4_T5_T6_T7_T9_mT8_P12ihipStream_tbDpT10_ENKUlT_T0_E_clISt17integral_constantIbLb1EES1A_IbLb0EEEEDaS16_S17_EUlS16_E_NS1_11comp_targetILNS1_3genE8ELNS1_11target_archE1030ELNS1_3gpuE2ELNS1_3repE0EEENS1_30default_config_static_selectorELNS0_4arch9wavefront6targetE1EEEvT1_,comdat
.Lfunc_end2930:
	.size	_ZN7rocprim17ROCPRIM_400000_NS6detail17trampoline_kernelINS0_14default_configENS1_25partition_config_selectorILNS1_17partition_subalgoE1EyNS0_10empty_typeEbEEZZNS1_14partition_implILS5_1ELb0ES3_jN6thrust23THRUST_200600_302600_NS6detail15normal_iteratorINSA_10device_ptrIyEEEEPS6_NSA_18transform_iteratorI7is_evenIyESF_NSA_11use_defaultESK_EENS0_5tupleIJSF_NSA_16discard_iteratorISK_EEEEENSM_IJSG_SG_EEES6_PlJS6_EEE10hipError_tPvRmT3_T4_T5_T6_T7_T9_mT8_P12ihipStream_tbDpT10_ENKUlT_T0_E_clISt17integral_constantIbLb1EES1A_IbLb0EEEEDaS16_S17_EUlS16_E_NS1_11comp_targetILNS1_3genE8ELNS1_11target_archE1030ELNS1_3gpuE2ELNS1_3repE0EEENS1_30default_config_static_selectorELNS0_4arch9wavefront6targetE1EEEvT1_, .Lfunc_end2930-_ZN7rocprim17ROCPRIM_400000_NS6detail17trampoline_kernelINS0_14default_configENS1_25partition_config_selectorILNS1_17partition_subalgoE1EyNS0_10empty_typeEbEEZZNS1_14partition_implILS5_1ELb0ES3_jN6thrust23THRUST_200600_302600_NS6detail15normal_iteratorINSA_10device_ptrIyEEEEPS6_NSA_18transform_iteratorI7is_evenIyESF_NSA_11use_defaultESK_EENS0_5tupleIJSF_NSA_16discard_iteratorISK_EEEEENSM_IJSG_SG_EEES6_PlJS6_EEE10hipError_tPvRmT3_T4_T5_T6_T7_T9_mT8_P12ihipStream_tbDpT10_ENKUlT_T0_E_clISt17integral_constantIbLb1EES1A_IbLb0EEEEDaS16_S17_EUlS16_E_NS1_11comp_targetILNS1_3genE8ELNS1_11target_archE1030ELNS1_3gpuE2ELNS1_3repE0EEENS1_30default_config_static_selectorELNS0_4arch9wavefront6targetE1EEEvT1_
                                        ; -- End function
	.section	.AMDGPU.csdata,"",@progbits
; Kernel info:
; codeLenInByte = 0
; NumSgprs: 6
; NumVgprs: 0
; NumAgprs: 0
; TotalNumVgprs: 0
; ScratchSize: 0
; MemoryBound: 0
; FloatMode: 240
; IeeeMode: 1
; LDSByteSize: 0 bytes/workgroup (compile time only)
; SGPRBlocks: 0
; VGPRBlocks: 0
; NumSGPRsForWavesPerEU: 6
; NumVGPRsForWavesPerEU: 1
; AccumOffset: 4
; Occupancy: 8
; WaveLimiterHint : 0
; COMPUTE_PGM_RSRC2:SCRATCH_EN: 0
; COMPUTE_PGM_RSRC2:USER_SGPR: 2
; COMPUTE_PGM_RSRC2:TRAP_HANDLER: 0
; COMPUTE_PGM_RSRC2:TGID_X_EN: 1
; COMPUTE_PGM_RSRC2:TGID_Y_EN: 0
; COMPUTE_PGM_RSRC2:TGID_Z_EN: 0
; COMPUTE_PGM_RSRC2:TIDIG_COMP_CNT: 0
; COMPUTE_PGM_RSRC3_GFX90A:ACCUM_OFFSET: 0
; COMPUTE_PGM_RSRC3_GFX90A:TG_SPLIT: 0
	.section	.text._ZN7rocprim17ROCPRIM_400000_NS6detail17trampoline_kernelINS0_14default_configENS1_25partition_config_selectorILNS1_17partition_subalgoE1EyNS0_10empty_typeEbEEZZNS1_14partition_implILS5_1ELb0ES3_jN6thrust23THRUST_200600_302600_NS6detail15normal_iteratorINSA_10device_ptrIyEEEEPS6_NSA_18transform_iteratorI7is_evenIyESF_NSA_11use_defaultESK_EENS0_5tupleIJSF_NSA_16discard_iteratorISK_EEEEENSM_IJSG_SG_EEES6_PlJS6_EEE10hipError_tPvRmT3_T4_T5_T6_T7_T9_mT8_P12ihipStream_tbDpT10_ENKUlT_T0_E_clISt17integral_constantIbLb0EES1A_IbLb1EEEEDaS16_S17_EUlS16_E_NS1_11comp_targetILNS1_3genE0ELNS1_11target_archE4294967295ELNS1_3gpuE0ELNS1_3repE0EEENS1_30default_config_static_selectorELNS0_4arch9wavefront6targetE1EEEvT1_,"axG",@progbits,_ZN7rocprim17ROCPRIM_400000_NS6detail17trampoline_kernelINS0_14default_configENS1_25partition_config_selectorILNS1_17partition_subalgoE1EyNS0_10empty_typeEbEEZZNS1_14partition_implILS5_1ELb0ES3_jN6thrust23THRUST_200600_302600_NS6detail15normal_iteratorINSA_10device_ptrIyEEEEPS6_NSA_18transform_iteratorI7is_evenIyESF_NSA_11use_defaultESK_EENS0_5tupleIJSF_NSA_16discard_iteratorISK_EEEEENSM_IJSG_SG_EEES6_PlJS6_EEE10hipError_tPvRmT3_T4_T5_T6_T7_T9_mT8_P12ihipStream_tbDpT10_ENKUlT_T0_E_clISt17integral_constantIbLb0EES1A_IbLb1EEEEDaS16_S17_EUlS16_E_NS1_11comp_targetILNS1_3genE0ELNS1_11target_archE4294967295ELNS1_3gpuE0ELNS1_3repE0EEENS1_30default_config_static_selectorELNS0_4arch9wavefront6targetE1EEEvT1_,comdat
	.protected	_ZN7rocprim17ROCPRIM_400000_NS6detail17trampoline_kernelINS0_14default_configENS1_25partition_config_selectorILNS1_17partition_subalgoE1EyNS0_10empty_typeEbEEZZNS1_14partition_implILS5_1ELb0ES3_jN6thrust23THRUST_200600_302600_NS6detail15normal_iteratorINSA_10device_ptrIyEEEEPS6_NSA_18transform_iteratorI7is_evenIyESF_NSA_11use_defaultESK_EENS0_5tupleIJSF_NSA_16discard_iteratorISK_EEEEENSM_IJSG_SG_EEES6_PlJS6_EEE10hipError_tPvRmT3_T4_T5_T6_T7_T9_mT8_P12ihipStream_tbDpT10_ENKUlT_T0_E_clISt17integral_constantIbLb0EES1A_IbLb1EEEEDaS16_S17_EUlS16_E_NS1_11comp_targetILNS1_3genE0ELNS1_11target_archE4294967295ELNS1_3gpuE0ELNS1_3repE0EEENS1_30default_config_static_selectorELNS0_4arch9wavefront6targetE1EEEvT1_ ; -- Begin function _ZN7rocprim17ROCPRIM_400000_NS6detail17trampoline_kernelINS0_14default_configENS1_25partition_config_selectorILNS1_17partition_subalgoE1EyNS0_10empty_typeEbEEZZNS1_14partition_implILS5_1ELb0ES3_jN6thrust23THRUST_200600_302600_NS6detail15normal_iteratorINSA_10device_ptrIyEEEEPS6_NSA_18transform_iteratorI7is_evenIyESF_NSA_11use_defaultESK_EENS0_5tupleIJSF_NSA_16discard_iteratorISK_EEEEENSM_IJSG_SG_EEES6_PlJS6_EEE10hipError_tPvRmT3_T4_T5_T6_T7_T9_mT8_P12ihipStream_tbDpT10_ENKUlT_T0_E_clISt17integral_constantIbLb0EES1A_IbLb1EEEEDaS16_S17_EUlS16_E_NS1_11comp_targetILNS1_3genE0ELNS1_11target_archE4294967295ELNS1_3gpuE0ELNS1_3repE0EEENS1_30default_config_static_selectorELNS0_4arch9wavefront6targetE1EEEvT1_
	.globl	_ZN7rocprim17ROCPRIM_400000_NS6detail17trampoline_kernelINS0_14default_configENS1_25partition_config_selectorILNS1_17partition_subalgoE1EyNS0_10empty_typeEbEEZZNS1_14partition_implILS5_1ELb0ES3_jN6thrust23THRUST_200600_302600_NS6detail15normal_iteratorINSA_10device_ptrIyEEEEPS6_NSA_18transform_iteratorI7is_evenIyESF_NSA_11use_defaultESK_EENS0_5tupleIJSF_NSA_16discard_iteratorISK_EEEEENSM_IJSG_SG_EEES6_PlJS6_EEE10hipError_tPvRmT3_T4_T5_T6_T7_T9_mT8_P12ihipStream_tbDpT10_ENKUlT_T0_E_clISt17integral_constantIbLb0EES1A_IbLb1EEEEDaS16_S17_EUlS16_E_NS1_11comp_targetILNS1_3genE0ELNS1_11target_archE4294967295ELNS1_3gpuE0ELNS1_3repE0EEENS1_30default_config_static_selectorELNS0_4arch9wavefront6targetE1EEEvT1_
	.p2align	8
	.type	_ZN7rocprim17ROCPRIM_400000_NS6detail17trampoline_kernelINS0_14default_configENS1_25partition_config_selectorILNS1_17partition_subalgoE1EyNS0_10empty_typeEbEEZZNS1_14partition_implILS5_1ELb0ES3_jN6thrust23THRUST_200600_302600_NS6detail15normal_iteratorINSA_10device_ptrIyEEEEPS6_NSA_18transform_iteratorI7is_evenIyESF_NSA_11use_defaultESK_EENS0_5tupleIJSF_NSA_16discard_iteratorISK_EEEEENSM_IJSG_SG_EEES6_PlJS6_EEE10hipError_tPvRmT3_T4_T5_T6_T7_T9_mT8_P12ihipStream_tbDpT10_ENKUlT_T0_E_clISt17integral_constantIbLb0EES1A_IbLb1EEEEDaS16_S17_EUlS16_E_NS1_11comp_targetILNS1_3genE0ELNS1_11target_archE4294967295ELNS1_3gpuE0ELNS1_3repE0EEENS1_30default_config_static_selectorELNS0_4arch9wavefront6targetE1EEEvT1_,@function
_ZN7rocprim17ROCPRIM_400000_NS6detail17trampoline_kernelINS0_14default_configENS1_25partition_config_selectorILNS1_17partition_subalgoE1EyNS0_10empty_typeEbEEZZNS1_14partition_implILS5_1ELb0ES3_jN6thrust23THRUST_200600_302600_NS6detail15normal_iteratorINSA_10device_ptrIyEEEEPS6_NSA_18transform_iteratorI7is_evenIyESF_NSA_11use_defaultESK_EENS0_5tupleIJSF_NSA_16discard_iteratorISK_EEEEENSM_IJSG_SG_EEES6_PlJS6_EEE10hipError_tPvRmT3_T4_T5_T6_T7_T9_mT8_P12ihipStream_tbDpT10_ENKUlT_T0_E_clISt17integral_constantIbLb0EES1A_IbLb1EEEEDaS16_S17_EUlS16_E_NS1_11comp_targetILNS1_3genE0ELNS1_11target_archE4294967295ELNS1_3gpuE0ELNS1_3repE0EEENS1_30default_config_static_selectorELNS0_4arch9wavefront6targetE1EEEvT1_: ; @_ZN7rocprim17ROCPRIM_400000_NS6detail17trampoline_kernelINS0_14default_configENS1_25partition_config_selectorILNS1_17partition_subalgoE1EyNS0_10empty_typeEbEEZZNS1_14partition_implILS5_1ELb0ES3_jN6thrust23THRUST_200600_302600_NS6detail15normal_iteratorINSA_10device_ptrIyEEEEPS6_NSA_18transform_iteratorI7is_evenIyESF_NSA_11use_defaultESK_EENS0_5tupleIJSF_NSA_16discard_iteratorISK_EEEEENSM_IJSG_SG_EEES6_PlJS6_EEE10hipError_tPvRmT3_T4_T5_T6_T7_T9_mT8_P12ihipStream_tbDpT10_ENKUlT_T0_E_clISt17integral_constantIbLb0EES1A_IbLb1EEEEDaS16_S17_EUlS16_E_NS1_11comp_targetILNS1_3genE0ELNS1_11target_archE4294967295ELNS1_3gpuE0ELNS1_3repE0EEENS1_30default_config_static_selectorELNS0_4arch9wavefront6targetE1EEEvT1_
; %bb.0:
	.section	.rodata,"a",@progbits
	.p2align	6, 0x0
	.amdhsa_kernel _ZN7rocprim17ROCPRIM_400000_NS6detail17trampoline_kernelINS0_14default_configENS1_25partition_config_selectorILNS1_17partition_subalgoE1EyNS0_10empty_typeEbEEZZNS1_14partition_implILS5_1ELb0ES3_jN6thrust23THRUST_200600_302600_NS6detail15normal_iteratorINSA_10device_ptrIyEEEEPS6_NSA_18transform_iteratorI7is_evenIyESF_NSA_11use_defaultESK_EENS0_5tupleIJSF_NSA_16discard_iteratorISK_EEEEENSM_IJSG_SG_EEES6_PlJS6_EEE10hipError_tPvRmT3_T4_T5_T6_T7_T9_mT8_P12ihipStream_tbDpT10_ENKUlT_T0_E_clISt17integral_constantIbLb0EES1A_IbLb1EEEEDaS16_S17_EUlS16_E_NS1_11comp_targetILNS1_3genE0ELNS1_11target_archE4294967295ELNS1_3gpuE0ELNS1_3repE0EEENS1_30default_config_static_selectorELNS0_4arch9wavefront6targetE1EEEvT1_
		.amdhsa_group_segment_fixed_size 0
		.amdhsa_private_segment_fixed_size 0
		.amdhsa_kernarg_size 152
		.amdhsa_user_sgpr_count 2
		.amdhsa_user_sgpr_dispatch_ptr 0
		.amdhsa_user_sgpr_queue_ptr 0
		.amdhsa_user_sgpr_kernarg_segment_ptr 1
		.amdhsa_user_sgpr_dispatch_id 0
		.amdhsa_user_sgpr_kernarg_preload_length 0
		.amdhsa_user_sgpr_kernarg_preload_offset 0
		.amdhsa_user_sgpr_private_segment_size 0
		.amdhsa_uses_dynamic_stack 0
		.amdhsa_enable_private_segment 0
		.amdhsa_system_sgpr_workgroup_id_x 1
		.amdhsa_system_sgpr_workgroup_id_y 0
		.amdhsa_system_sgpr_workgroup_id_z 0
		.amdhsa_system_sgpr_workgroup_info 0
		.amdhsa_system_vgpr_workitem_id 0
		.amdhsa_next_free_vgpr 1
		.amdhsa_next_free_sgpr 0
		.amdhsa_accum_offset 4
		.amdhsa_reserve_vcc 0
		.amdhsa_float_round_mode_32 0
		.amdhsa_float_round_mode_16_64 0
		.amdhsa_float_denorm_mode_32 3
		.amdhsa_float_denorm_mode_16_64 3
		.amdhsa_dx10_clamp 1
		.amdhsa_ieee_mode 1
		.amdhsa_fp16_overflow 0
		.amdhsa_tg_split 0
		.amdhsa_exception_fp_ieee_invalid_op 0
		.amdhsa_exception_fp_denorm_src 0
		.amdhsa_exception_fp_ieee_div_zero 0
		.amdhsa_exception_fp_ieee_overflow 0
		.amdhsa_exception_fp_ieee_underflow 0
		.amdhsa_exception_fp_ieee_inexact 0
		.amdhsa_exception_int_div_zero 0
	.end_amdhsa_kernel
	.section	.text._ZN7rocprim17ROCPRIM_400000_NS6detail17trampoline_kernelINS0_14default_configENS1_25partition_config_selectorILNS1_17partition_subalgoE1EyNS0_10empty_typeEbEEZZNS1_14partition_implILS5_1ELb0ES3_jN6thrust23THRUST_200600_302600_NS6detail15normal_iteratorINSA_10device_ptrIyEEEEPS6_NSA_18transform_iteratorI7is_evenIyESF_NSA_11use_defaultESK_EENS0_5tupleIJSF_NSA_16discard_iteratorISK_EEEEENSM_IJSG_SG_EEES6_PlJS6_EEE10hipError_tPvRmT3_T4_T5_T6_T7_T9_mT8_P12ihipStream_tbDpT10_ENKUlT_T0_E_clISt17integral_constantIbLb0EES1A_IbLb1EEEEDaS16_S17_EUlS16_E_NS1_11comp_targetILNS1_3genE0ELNS1_11target_archE4294967295ELNS1_3gpuE0ELNS1_3repE0EEENS1_30default_config_static_selectorELNS0_4arch9wavefront6targetE1EEEvT1_,"axG",@progbits,_ZN7rocprim17ROCPRIM_400000_NS6detail17trampoline_kernelINS0_14default_configENS1_25partition_config_selectorILNS1_17partition_subalgoE1EyNS0_10empty_typeEbEEZZNS1_14partition_implILS5_1ELb0ES3_jN6thrust23THRUST_200600_302600_NS6detail15normal_iteratorINSA_10device_ptrIyEEEEPS6_NSA_18transform_iteratorI7is_evenIyESF_NSA_11use_defaultESK_EENS0_5tupleIJSF_NSA_16discard_iteratorISK_EEEEENSM_IJSG_SG_EEES6_PlJS6_EEE10hipError_tPvRmT3_T4_T5_T6_T7_T9_mT8_P12ihipStream_tbDpT10_ENKUlT_T0_E_clISt17integral_constantIbLb0EES1A_IbLb1EEEEDaS16_S17_EUlS16_E_NS1_11comp_targetILNS1_3genE0ELNS1_11target_archE4294967295ELNS1_3gpuE0ELNS1_3repE0EEENS1_30default_config_static_selectorELNS0_4arch9wavefront6targetE1EEEvT1_,comdat
.Lfunc_end2931:
	.size	_ZN7rocprim17ROCPRIM_400000_NS6detail17trampoline_kernelINS0_14default_configENS1_25partition_config_selectorILNS1_17partition_subalgoE1EyNS0_10empty_typeEbEEZZNS1_14partition_implILS5_1ELb0ES3_jN6thrust23THRUST_200600_302600_NS6detail15normal_iteratorINSA_10device_ptrIyEEEEPS6_NSA_18transform_iteratorI7is_evenIyESF_NSA_11use_defaultESK_EENS0_5tupleIJSF_NSA_16discard_iteratorISK_EEEEENSM_IJSG_SG_EEES6_PlJS6_EEE10hipError_tPvRmT3_T4_T5_T6_T7_T9_mT8_P12ihipStream_tbDpT10_ENKUlT_T0_E_clISt17integral_constantIbLb0EES1A_IbLb1EEEEDaS16_S17_EUlS16_E_NS1_11comp_targetILNS1_3genE0ELNS1_11target_archE4294967295ELNS1_3gpuE0ELNS1_3repE0EEENS1_30default_config_static_selectorELNS0_4arch9wavefront6targetE1EEEvT1_, .Lfunc_end2931-_ZN7rocprim17ROCPRIM_400000_NS6detail17trampoline_kernelINS0_14default_configENS1_25partition_config_selectorILNS1_17partition_subalgoE1EyNS0_10empty_typeEbEEZZNS1_14partition_implILS5_1ELb0ES3_jN6thrust23THRUST_200600_302600_NS6detail15normal_iteratorINSA_10device_ptrIyEEEEPS6_NSA_18transform_iteratorI7is_evenIyESF_NSA_11use_defaultESK_EENS0_5tupleIJSF_NSA_16discard_iteratorISK_EEEEENSM_IJSG_SG_EEES6_PlJS6_EEE10hipError_tPvRmT3_T4_T5_T6_T7_T9_mT8_P12ihipStream_tbDpT10_ENKUlT_T0_E_clISt17integral_constantIbLb0EES1A_IbLb1EEEEDaS16_S17_EUlS16_E_NS1_11comp_targetILNS1_3genE0ELNS1_11target_archE4294967295ELNS1_3gpuE0ELNS1_3repE0EEENS1_30default_config_static_selectorELNS0_4arch9wavefront6targetE1EEEvT1_
                                        ; -- End function
	.section	.AMDGPU.csdata,"",@progbits
; Kernel info:
; codeLenInByte = 0
; NumSgprs: 6
; NumVgprs: 0
; NumAgprs: 0
; TotalNumVgprs: 0
; ScratchSize: 0
; MemoryBound: 0
; FloatMode: 240
; IeeeMode: 1
; LDSByteSize: 0 bytes/workgroup (compile time only)
; SGPRBlocks: 0
; VGPRBlocks: 0
; NumSGPRsForWavesPerEU: 6
; NumVGPRsForWavesPerEU: 1
; AccumOffset: 4
; Occupancy: 8
; WaveLimiterHint : 0
; COMPUTE_PGM_RSRC2:SCRATCH_EN: 0
; COMPUTE_PGM_RSRC2:USER_SGPR: 2
; COMPUTE_PGM_RSRC2:TRAP_HANDLER: 0
; COMPUTE_PGM_RSRC2:TGID_X_EN: 1
; COMPUTE_PGM_RSRC2:TGID_Y_EN: 0
; COMPUTE_PGM_RSRC2:TGID_Z_EN: 0
; COMPUTE_PGM_RSRC2:TIDIG_COMP_CNT: 0
; COMPUTE_PGM_RSRC3_GFX90A:ACCUM_OFFSET: 0
; COMPUTE_PGM_RSRC3_GFX90A:TG_SPLIT: 0
	.section	.text._ZN7rocprim17ROCPRIM_400000_NS6detail17trampoline_kernelINS0_14default_configENS1_25partition_config_selectorILNS1_17partition_subalgoE1EyNS0_10empty_typeEbEEZZNS1_14partition_implILS5_1ELb0ES3_jN6thrust23THRUST_200600_302600_NS6detail15normal_iteratorINSA_10device_ptrIyEEEEPS6_NSA_18transform_iteratorI7is_evenIyESF_NSA_11use_defaultESK_EENS0_5tupleIJSF_NSA_16discard_iteratorISK_EEEEENSM_IJSG_SG_EEES6_PlJS6_EEE10hipError_tPvRmT3_T4_T5_T6_T7_T9_mT8_P12ihipStream_tbDpT10_ENKUlT_T0_E_clISt17integral_constantIbLb0EES1A_IbLb1EEEEDaS16_S17_EUlS16_E_NS1_11comp_targetILNS1_3genE5ELNS1_11target_archE942ELNS1_3gpuE9ELNS1_3repE0EEENS1_30default_config_static_selectorELNS0_4arch9wavefront6targetE1EEEvT1_,"axG",@progbits,_ZN7rocprim17ROCPRIM_400000_NS6detail17trampoline_kernelINS0_14default_configENS1_25partition_config_selectorILNS1_17partition_subalgoE1EyNS0_10empty_typeEbEEZZNS1_14partition_implILS5_1ELb0ES3_jN6thrust23THRUST_200600_302600_NS6detail15normal_iteratorINSA_10device_ptrIyEEEEPS6_NSA_18transform_iteratorI7is_evenIyESF_NSA_11use_defaultESK_EENS0_5tupleIJSF_NSA_16discard_iteratorISK_EEEEENSM_IJSG_SG_EEES6_PlJS6_EEE10hipError_tPvRmT3_T4_T5_T6_T7_T9_mT8_P12ihipStream_tbDpT10_ENKUlT_T0_E_clISt17integral_constantIbLb0EES1A_IbLb1EEEEDaS16_S17_EUlS16_E_NS1_11comp_targetILNS1_3genE5ELNS1_11target_archE942ELNS1_3gpuE9ELNS1_3repE0EEENS1_30default_config_static_selectorELNS0_4arch9wavefront6targetE1EEEvT1_,comdat
	.protected	_ZN7rocprim17ROCPRIM_400000_NS6detail17trampoline_kernelINS0_14default_configENS1_25partition_config_selectorILNS1_17partition_subalgoE1EyNS0_10empty_typeEbEEZZNS1_14partition_implILS5_1ELb0ES3_jN6thrust23THRUST_200600_302600_NS6detail15normal_iteratorINSA_10device_ptrIyEEEEPS6_NSA_18transform_iteratorI7is_evenIyESF_NSA_11use_defaultESK_EENS0_5tupleIJSF_NSA_16discard_iteratorISK_EEEEENSM_IJSG_SG_EEES6_PlJS6_EEE10hipError_tPvRmT3_T4_T5_T6_T7_T9_mT8_P12ihipStream_tbDpT10_ENKUlT_T0_E_clISt17integral_constantIbLb0EES1A_IbLb1EEEEDaS16_S17_EUlS16_E_NS1_11comp_targetILNS1_3genE5ELNS1_11target_archE942ELNS1_3gpuE9ELNS1_3repE0EEENS1_30default_config_static_selectorELNS0_4arch9wavefront6targetE1EEEvT1_ ; -- Begin function _ZN7rocprim17ROCPRIM_400000_NS6detail17trampoline_kernelINS0_14default_configENS1_25partition_config_selectorILNS1_17partition_subalgoE1EyNS0_10empty_typeEbEEZZNS1_14partition_implILS5_1ELb0ES3_jN6thrust23THRUST_200600_302600_NS6detail15normal_iteratorINSA_10device_ptrIyEEEEPS6_NSA_18transform_iteratorI7is_evenIyESF_NSA_11use_defaultESK_EENS0_5tupleIJSF_NSA_16discard_iteratorISK_EEEEENSM_IJSG_SG_EEES6_PlJS6_EEE10hipError_tPvRmT3_T4_T5_T6_T7_T9_mT8_P12ihipStream_tbDpT10_ENKUlT_T0_E_clISt17integral_constantIbLb0EES1A_IbLb1EEEEDaS16_S17_EUlS16_E_NS1_11comp_targetILNS1_3genE5ELNS1_11target_archE942ELNS1_3gpuE9ELNS1_3repE0EEENS1_30default_config_static_selectorELNS0_4arch9wavefront6targetE1EEEvT1_
	.globl	_ZN7rocprim17ROCPRIM_400000_NS6detail17trampoline_kernelINS0_14default_configENS1_25partition_config_selectorILNS1_17partition_subalgoE1EyNS0_10empty_typeEbEEZZNS1_14partition_implILS5_1ELb0ES3_jN6thrust23THRUST_200600_302600_NS6detail15normal_iteratorINSA_10device_ptrIyEEEEPS6_NSA_18transform_iteratorI7is_evenIyESF_NSA_11use_defaultESK_EENS0_5tupleIJSF_NSA_16discard_iteratorISK_EEEEENSM_IJSG_SG_EEES6_PlJS6_EEE10hipError_tPvRmT3_T4_T5_T6_T7_T9_mT8_P12ihipStream_tbDpT10_ENKUlT_T0_E_clISt17integral_constantIbLb0EES1A_IbLb1EEEEDaS16_S17_EUlS16_E_NS1_11comp_targetILNS1_3genE5ELNS1_11target_archE942ELNS1_3gpuE9ELNS1_3repE0EEENS1_30default_config_static_selectorELNS0_4arch9wavefront6targetE1EEEvT1_
	.p2align	8
	.type	_ZN7rocprim17ROCPRIM_400000_NS6detail17trampoline_kernelINS0_14default_configENS1_25partition_config_selectorILNS1_17partition_subalgoE1EyNS0_10empty_typeEbEEZZNS1_14partition_implILS5_1ELb0ES3_jN6thrust23THRUST_200600_302600_NS6detail15normal_iteratorINSA_10device_ptrIyEEEEPS6_NSA_18transform_iteratorI7is_evenIyESF_NSA_11use_defaultESK_EENS0_5tupleIJSF_NSA_16discard_iteratorISK_EEEEENSM_IJSG_SG_EEES6_PlJS6_EEE10hipError_tPvRmT3_T4_T5_T6_T7_T9_mT8_P12ihipStream_tbDpT10_ENKUlT_T0_E_clISt17integral_constantIbLb0EES1A_IbLb1EEEEDaS16_S17_EUlS16_E_NS1_11comp_targetILNS1_3genE5ELNS1_11target_archE942ELNS1_3gpuE9ELNS1_3repE0EEENS1_30default_config_static_selectorELNS0_4arch9wavefront6targetE1EEEvT1_,@function
_ZN7rocprim17ROCPRIM_400000_NS6detail17trampoline_kernelINS0_14default_configENS1_25partition_config_selectorILNS1_17partition_subalgoE1EyNS0_10empty_typeEbEEZZNS1_14partition_implILS5_1ELb0ES3_jN6thrust23THRUST_200600_302600_NS6detail15normal_iteratorINSA_10device_ptrIyEEEEPS6_NSA_18transform_iteratorI7is_evenIyESF_NSA_11use_defaultESK_EENS0_5tupleIJSF_NSA_16discard_iteratorISK_EEEEENSM_IJSG_SG_EEES6_PlJS6_EEE10hipError_tPvRmT3_T4_T5_T6_T7_T9_mT8_P12ihipStream_tbDpT10_ENKUlT_T0_E_clISt17integral_constantIbLb0EES1A_IbLb1EEEEDaS16_S17_EUlS16_E_NS1_11comp_targetILNS1_3genE5ELNS1_11target_archE942ELNS1_3gpuE9ELNS1_3repE0EEENS1_30default_config_static_selectorELNS0_4arch9wavefront6targetE1EEEvT1_: ; @_ZN7rocprim17ROCPRIM_400000_NS6detail17trampoline_kernelINS0_14default_configENS1_25partition_config_selectorILNS1_17partition_subalgoE1EyNS0_10empty_typeEbEEZZNS1_14partition_implILS5_1ELb0ES3_jN6thrust23THRUST_200600_302600_NS6detail15normal_iteratorINSA_10device_ptrIyEEEEPS6_NSA_18transform_iteratorI7is_evenIyESF_NSA_11use_defaultESK_EENS0_5tupleIJSF_NSA_16discard_iteratorISK_EEEEENSM_IJSG_SG_EEES6_PlJS6_EEE10hipError_tPvRmT3_T4_T5_T6_T7_T9_mT8_P12ihipStream_tbDpT10_ENKUlT_T0_E_clISt17integral_constantIbLb0EES1A_IbLb1EEEEDaS16_S17_EUlS16_E_NS1_11comp_targetILNS1_3genE5ELNS1_11target_archE942ELNS1_3gpuE9ELNS1_3repE0EEENS1_30default_config_static_selectorELNS0_4arch9wavefront6targetE1EEEvT1_
; %bb.0:
	s_load_dwordx2 s[2:3], s[0:1], 0x20
	s_load_dwordx4 s[20:23], s[0:1], 0x58
	s_load_dwordx2 s[10:11], s[0:1], 0x68
	s_load_dwordx2 s[28:29], s[0:1], 0x78
	v_cmp_eq_u32_e64 s[18:19], 0, v0
	s_and_saveexec_b64 s[4:5], s[18:19]
	s_cbranch_execz .LBB2932_4
; %bb.1:
	s_mov_b64 s[8:9], exec
	v_mbcnt_lo_u32_b32 v1, s8, 0
	v_mbcnt_hi_u32_b32 v1, s9, v1
	v_cmp_eq_u32_e32 vcc, 0, v1
                                        ; implicit-def: $vgpr2
	s_and_saveexec_b64 s[6:7], vcc
	s_cbranch_execz .LBB2932_3
; %bb.2:
	s_load_dwordx2 s[12:13], s[0:1], 0x88
	s_bcnt1_i32_b64 s8, s[8:9]
	v_mov_b32_e32 v2, 0
	v_mov_b32_e32 v3, s8
	s_waitcnt lgkmcnt(0)
	global_atomic_add v2, v2, v3, s[12:13] sc0
.LBB2932_3:
	s_or_b64 exec, exec, s[6:7]
	s_waitcnt vmcnt(0)
	v_readfirstlane_b32 s6, v2
	v_mov_b32_e32 v2, 0
	s_nop 0
	v_add_u32_e32 v1, s6, v1
	ds_write_b32 v2, v1
.LBB2932_4:
	s_or_b64 exec, exec, s[4:5]
	v_mov_b32_e32 v21, 0
	s_load_dwordx4 s[4:7], s[0:1], 0x8
	s_load_dwordx2 s[24:25], s[0:1], 0x30
	s_load_dword s12, s[0:1], 0x80
	s_waitcnt lgkmcnt(0)
	s_barrier
	ds_read_b32 v1, v21
	s_waitcnt lgkmcnt(0)
	s_barrier
	global_load_dwordx2 v[18:19], v21, s[22:23]
	s_lshl_b64 s[8:9], s[6:7], 3
	v_mov_b32_e32 v3, s11
	s_add_u32 s11, s4, s8
	s_mul_i32 s4, s12, 0xe00
	s_addc_u32 s13, s5, s9
	s_add_i32 s1, s4, s6
	s_sub_i32 s33, s10, s1
	s_add_i32 s14, s12, -1
	s_addk_i32 s33, 0xe00
	s_add_u32 s4, s6, s4
	v_readfirstlane_b32 s36, v1
	s_addc_u32 s5, s7, 0
	s_cmp_eq_u32 s36, s14
	v_mov_b32_e32 v2, s10
	s_cselect_b64 s[22:23], -1, 0
	s_cmp_lg_u32 s36, s14
	s_mul_i32 s0, s36, 0xe00
	s_mov_b32 s1, 0
	v_cmp_lt_u64_e32 vcc, s[4:5], v[2:3]
	s_cselect_b64 s[4:5], -1, 0
	s_or_b64 s[26:27], vcc, s[4:5]
	s_lshl_b64 s[4:5], s[0:1], 3
	s_add_u32 s6, s11, s4
	s_addc_u32 s7, s13, s5
	s_mov_b64 s[0:1], -1
	s_and_b64 vcc, exec, s[26:27]
	v_lshlrev_b32_e32 v20, 3, v0
	s_cbranch_vccz .LBB2932_6
; %bb.5:
	v_lshl_add_u64 v[2:3], s[6:7], 0, v[20:21]
	v_add_co_u32_e32 v4, vcc, 0x1000, v2
	s_mov_b64 s[0:1], 0
	s_nop 0
	v_addc_co_u32_e32 v5, vcc, 0, v3, vcc
	v_add_co_u32_e32 v6, vcc, 0x2000, v2
	s_nop 1
	v_addc_co_u32_e32 v7, vcc, 0, v3, vcc
	v_add_co_u32_e32 v8, vcc, 0x3000, v2
	s_nop 1
	v_addc_co_u32_e32 v9, vcc, 0, v3, vcc
	flat_load_dwordx2 v[10:11], v[2:3]
	flat_load_dwordx2 v[12:13], v[4:5]
	;; [unrolled: 1-line block ×4, first 2 shown]
	v_add_co_u32_e32 v4, vcc, 0x4000, v2
	s_nop 1
	v_addc_co_u32_e32 v5, vcc, 0, v3, vcc
	v_add_co_u32_e32 v6, vcc, 0x5000, v2
	s_nop 1
	v_addc_co_u32_e32 v7, vcc, 0, v3, vcc
	;; [unrolled: 3-line block ×3, first 2 shown]
	flat_load_dwordx2 v[8:9], v[4:5]
	flat_load_dwordx2 v[22:23], v[6:7]
	;; [unrolled: 1-line block ×3, first 2 shown]
	s_waitcnt vmcnt(0) lgkmcnt(0)
	ds_write2st64_b64 v20, v[10:11], v[12:13] offset1:8
	ds_write2st64_b64 v20, v[14:15], v[16:17] offset0:16 offset1:24
	ds_write2st64_b64 v20, v[8:9], v[22:23] offset0:32 offset1:40
	ds_write_b64 v20, v[24:25] offset:24576
	s_waitcnt lgkmcnt(0)
	s_barrier
.LBB2932_6:
	s_andn2_b64 vcc, exec, s[0:1]
	v_cmp_gt_u32_e64 s[0:1], s33, v0
	s_cbranch_vccnz .LBB2932_22
; %bb.7:
                                        ; implicit-def: $vgpr2_vgpr3_vgpr4_vgpr5_vgpr6_vgpr7_vgpr8_vgpr9_vgpr10_vgpr11_vgpr12_vgpr13_vgpr14_vgpr15_vgpr16_vgpr17
	s_and_saveexec_b64 s[10:11], s[0:1]
	s_cbranch_execz .LBB2932_9
; %bb.8:
	v_mov_b32_e32 v21, 0
	v_lshl_add_u64 v[2:3], s[6:7], 0, v[20:21]
	flat_load_dwordx2 v[2:3], v[2:3]
.LBB2932_9:
	s_or_b64 exec, exec, s[10:11]
	v_or_b32_e32 v1, 0x200, v0
	v_cmp_gt_u32_e32 vcc, s33, v1
	s_and_saveexec_b64 s[0:1], vcc
	s_cbranch_execz .LBB2932_11
; %bb.10:
	v_lshlrev_b32_e32 v4, 3, v1
	v_mov_b32_e32 v5, 0
	v_lshl_add_u64 v[4:5], s[6:7], 0, v[4:5]
	flat_load_dwordx2 v[4:5], v[4:5]
.LBB2932_11:
	s_or_b64 exec, exec, s[0:1]
	v_or_b32_e32 v1, 0x400, v0
	v_cmp_gt_u32_e32 vcc, s33, v1
	s_and_saveexec_b64 s[0:1], vcc
	s_cbranch_execz .LBB2932_13
; %bb.12:
	v_lshlrev_b32_e32 v6, 3, v1
	v_mov_b32_e32 v7, 0
	v_lshl_add_u64 v[6:7], s[6:7], 0, v[6:7]
	flat_load_dwordx2 v[6:7], v[6:7]
.LBB2932_13:
	s_or_b64 exec, exec, s[0:1]
	v_or_b32_e32 v1, 0x600, v0
	v_cmp_gt_u32_e32 vcc, s33, v1
	s_and_saveexec_b64 s[0:1], vcc
	s_cbranch_execz .LBB2932_15
; %bb.14:
	v_lshlrev_b32_e32 v8, 3, v1
	v_mov_b32_e32 v9, 0
	v_lshl_add_u64 v[8:9], s[6:7], 0, v[8:9]
	flat_load_dwordx2 v[8:9], v[8:9]
.LBB2932_15:
	s_or_b64 exec, exec, s[0:1]
	v_or_b32_e32 v1, 0x800, v0
	v_cmp_gt_u32_e32 vcc, s33, v1
	s_and_saveexec_b64 s[0:1], vcc
	s_cbranch_execz .LBB2932_17
; %bb.16:
	v_lshlrev_b32_e32 v10, 3, v1
	v_mov_b32_e32 v11, 0
	v_lshl_add_u64 v[10:11], s[6:7], 0, v[10:11]
	flat_load_dwordx2 v[10:11], v[10:11]
.LBB2932_17:
	s_or_b64 exec, exec, s[0:1]
	v_or_b32_e32 v1, 0xa00, v0
	v_cmp_gt_u32_e32 vcc, s33, v1
	s_and_saveexec_b64 s[0:1], vcc
	s_cbranch_execz .LBB2932_19
; %bb.18:
	v_lshlrev_b32_e32 v12, 3, v1
	v_mov_b32_e32 v13, 0
	v_lshl_add_u64 v[12:13], s[6:7], 0, v[12:13]
	flat_load_dwordx2 v[12:13], v[12:13]
.LBB2932_19:
	s_or_b64 exec, exec, s[0:1]
	v_or_b32_e32 v1, 0xc00, v0
	v_cmp_gt_u32_e32 vcc, s33, v1
	s_and_saveexec_b64 s[0:1], vcc
	s_cbranch_execz .LBB2932_21
; %bb.20:
	v_lshlrev_b32_e32 v14, 3, v1
	v_mov_b32_e32 v15, 0
	v_lshl_add_u64 v[14:15], s[6:7], 0, v[14:15]
	flat_load_dwordx2 v[14:15], v[14:15]
.LBB2932_21:
	s_or_b64 exec, exec, s[0:1]
	s_waitcnt vmcnt(0) lgkmcnt(0)
	ds_write2st64_b64 v20, v[2:3], v[4:5] offset1:8
	ds_write2st64_b64 v20, v[6:7], v[8:9] offset0:16 offset1:24
	ds_write2st64_b64 v20, v[10:11], v[12:13] offset0:32 offset1:40
	ds_write_b64 v20, v[14:15] offset:24576
	s_waitcnt lgkmcnt(0)
	s_barrier
.LBB2932_22:
	v_mul_u32_u24_e32 v1, 7, v0
	v_lshlrev_b32_e32 v16, 3, v1
	ds_read2_b64 v[10:13], v16 offset1:1
	ds_read2_b64 v[6:9], v16 offset0:2 offset1:3
	ds_read2_b64 v[2:5], v16 offset0:4 offset1:5
	ds_read_b64 v[14:15], v16 offset:48
	s_add_u32 s0, s2, s8
	s_addc_u32 s1, s3, s9
	s_add_u32 s0, s0, s4
	s_addc_u32 s1, s1, s5
	s_mov_b64 s[2:3], -1
	s_and_b64 vcc, exec, s[26:27]
	s_waitcnt lgkmcnt(0)
	s_barrier
	s_cbranch_vccz .LBB2932_24
; %bb.23:
	v_mov_b32_e32 v21, 0
	v_lshl_add_u64 v[22:23], s[0:1], 0, v[20:21]
	v_add_co_u32_e32 v26, vcc, 0x1000, v22
	global_load_dwordx2 v[24:25], v20, s[0:1]
	s_nop 0
	v_addc_co_u32_e32 v27, vcc, 0, v23, vcc
	v_add_co_u32_e32 v28, vcc, 0x2000, v22
	s_mov_b64 s[2:3], 0
	s_nop 0
	v_addc_co_u32_e32 v29, vcc, 0, v23, vcc
	v_add_co_u32_e32 v30, vcc, 0x3000, v22
	s_waitcnt vmcnt(0)
	v_xor_b32_e32 v17, -1, v24
	v_addc_co_u32_e32 v31, vcc, 0, v23, vcc
	v_add_co_u32_e32 v32, vcc, 0x4000, v22
	v_and_b32_e32 v17, 1, v17
	s_nop 0
	v_addc_co_u32_e32 v33, vcc, 0, v23, vcc
	global_load_dwordx2 v[34:35], v[26:27], off
	global_load_dwordx2 v[36:37], v[28:29], off
	;; [unrolled: 1-line block ×4, first 2 shown]
	v_add_co_u32_e32 v26, vcc, 0x5000, v22
	ds_write_b8 v0, v17
	s_nop 0
	v_addc_co_u32_e32 v27, vcc, 0, v23, vcc
	v_add_co_u32_e32 v22, vcc, 0x6000, v22
	global_load_dwordx2 v[26:27], v[26:27], off
	s_nop 0
	v_addc_co_u32_e32 v23, vcc, 0, v23, vcc
	global_load_dwordx2 v[22:23], v[22:23], off
	s_waitcnt vmcnt(5)
	v_xor_b32_e32 v17, -1, v34
	v_and_b32_e32 v17, 1, v17
	s_waitcnt vmcnt(4)
	v_xor_b32_e32 v21, -1, v36
	s_waitcnt vmcnt(0)
	v_xor_b32_e32 v23, -1, v38
	v_and_b32_e32 v21, 1, v21
	ds_write_b8 v0, v17 offset:512
	v_and_b32_e32 v17, 1, v23
	v_xor_b32_e32 v23, -1, v40
	ds_write_b8 v0, v21 offset:1024
	v_and_b32_e32 v21, 1, v23
	ds_write_b8 v0, v17 offset:1536
	v_xor_b32_e32 v23, -1, v26
	v_and_b32_e32 v17, 1, v23
	ds_write_b8 v0, v21 offset:2048
	v_xor_b32_e32 v22, -1, v22
	v_and_b32_e32 v21, 1, v22
	ds_write_b8 v0, v17 offset:2560
	ds_write_b8 v0, v21 offset:3072
	s_waitcnt lgkmcnt(0)
	s_barrier
.LBB2932_24:
	s_andn2_b64 vcc, exec, s[2:3]
	s_cbranch_vccnz .LBB2932_40
; %bb.25:
	v_cmp_gt_u32_e32 vcc, s33, v0
	v_mov_b32_e32 v17, 0
	v_mov_b32_e32 v21, 0
	s_and_saveexec_b64 s[2:3], vcc
	s_cbranch_execz .LBB2932_27
; %bb.26:
	global_load_dwordx2 v[22:23], v20, s[0:1]
	s_waitcnt vmcnt(0)
	v_xor_b32_e32 v21, -1, v22
	v_and_b32_e32 v21, 1, v21
.LBB2932_27:
	s_or_b64 exec, exec, s[2:3]
	v_or_b32_e32 v22, 0x200, v0
	v_cmp_gt_u32_e32 vcc, s33, v22
	s_and_saveexec_b64 s[2:3], vcc
	s_cbranch_execz .LBB2932_29
; %bb.28:
	v_lshlrev_b32_e32 v17, 3, v22
	global_load_dwordx2 v[22:23], v17, s[0:1]
	s_waitcnt vmcnt(0)
	v_xor_b32_e32 v17, -1, v22
	v_and_b32_e32 v17, 1, v17
.LBB2932_29:
	s_or_b64 exec, exec, s[2:3]
	v_or_b32_e32 v24, 0x400, v0
	v_cmp_gt_u32_e32 vcc, s33, v24
	v_mov_b32_e32 v22, 0
	v_mov_b32_e32 v23, 0
	s_and_saveexec_b64 s[2:3], vcc
	s_cbranch_execz .LBB2932_31
; %bb.30:
	v_lshlrev_b32_e32 v23, 3, v24
	global_load_dwordx2 v[24:25], v23, s[0:1]
	s_waitcnt vmcnt(0)
	v_xor_b32_e32 v23, -1, v24
	v_and_b32_e32 v23, 1, v23
.LBB2932_31:
	s_or_b64 exec, exec, s[2:3]
	v_or_b32_e32 v24, 0x600, v0
	v_cmp_gt_u32_e32 vcc, s33, v24
	s_and_saveexec_b64 s[2:3], vcc
	s_cbranch_execz .LBB2932_33
; %bb.32:
	v_lshlrev_b32_e32 v22, 3, v24
	global_load_dwordx2 v[24:25], v22, s[0:1]
	s_waitcnt vmcnt(0)
	v_xor_b32_e32 v22, -1, v24
	v_and_b32_e32 v22, 1, v22
.LBB2932_33:
	s_or_b64 exec, exec, s[2:3]
	v_or_b32_e32 v26, 0x800, v0
	v_cmp_gt_u32_e32 vcc, s33, v26
	v_mov_b32_e32 v24, 0
	v_mov_b32_e32 v25, 0
	s_and_saveexec_b64 s[2:3], vcc
	s_cbranch_execz .LBB2932_35
; %bb.34:
	v_lshlrev_b32_e32 v25, 3, v26
	global_load_dwordx2 v[26:27], v25, s[0:1]
	s_waitcnt vmcnt(0)
	v_xor_b32_e32 v25, -1, v26
	v_and_b32_e32 v25, 1, v25
.LBB2932_35:
	s_or_b64 exec, exec, s[2:3]
	v_or_b32_e32 v26, 0xa00, v0
	v_cmp_gt_u32_e32 vcc, s33, v26
	s_and_saveexec_b64 s[2:3], vcc
	s_cbranch_execz .LBB2932_37
; %bb.36:
	v_lshlrev_b32_e32 v24, 3, v26
	global_load_dwordx2 v[26:27], v24, s[0:1]
	s_waitcnt vmcnt(0)
	v_xor_b32_e32 v24, -1, v26
	v_and_b32_e32 v24, 1, v24
.LBB2932_37:
	s_or_b64 exec, exec, s[2:3]
	v_or_b32_e32 v27, 0xc00, v0
	v_cmp_gt_u32_e32 vcc, s33, v27
	v_mov_b32_e32 v26, 0
	s_and_saveexec_b64 s[2:3], vcc
	s_cbranch_execz .LBB2932_39
; %bb.38:
	v_lshlrev_b32_e32 v26, 3, v27
	global_load_dwordx2 v[26:27], v26, s[0:1]
	s_waitcnt vmcnt(0)
	v_xor_b32_e32 v26, -1, v26
	v_and_b32_e32 v26, 1, v26
.LBB2932_39:
	s_or_b64 exec, exec, s[2:3]
	ds_write_b8 v0, v21
	ds_write_b8 v0, v17 offset:512
	ds_write_b8 v0, v23 offset:1024
	;; [unrolled: 1-line block ×6, first 2 shown]
	s_waitcnt lgkmcnt(0)
	s_barrier
.LBB2932_40:
	s_movk_i32 s0, 0xffcf
	v_mad_i32_i24 v37, v0, s0, v16
	ds_read_u8 v16, v37
	ds_read_u8 v17, v37 offset:1
	ds_read_u8 v21, v37 offset:2
	;; [unrolled: 1-line block ×6, first 2 shown]
	s_waitcnt lgkmcnt(6)
	v_and_b32_e32 v35, 1, v16
	s_waitcnt lgkmcnt(5)
	v_and_b32_e32 v34, 1, v17
	;; [unrolled: 2-line block ×5, first 2 shown]
	v_add3_u32 v16, v34, v35, v33
	s_waitcnt lgkmcnt(1)
	v_and_b32_e32 v30, 1, v24
	s_waitcnt lgkmcnt(0)
	v_and_b32_e32 v21, 1, v25
	v_add3_u32 v16, v16, v32, v31
	v_add3_u32 v39, v16, v30, v21
	v_mbcnt_lo_u32_b32 v16, -1, 0
	v_mbcnt_hi_u32_b32 v36, -1, v16
	v_and_b32_e32 v16, 15, v36
	v_cmp_eq_u32_e64 s[14:15], 0, v16
	v_cmp_lt_u32_e64 s[12:13], 1, v16
	v_cmp_lt_u32_e64 s[10:11], 3, v16
	;; [unrolled: 1-line block ×3, first 2 shown]
	v_and_b32_e32 v16, 16, v36
	v_cmp_eq_u32_e64 s[6:7], 0, v16
	v_or_b32_e32 v16, 63, v0
	s_cmp_lg_u32 s36, 0
	v_cmp_lt_u32_e64 s[2:3], 31, v36
	v_lshrrev_b32_e32 v38, 6, v0
	v_cmp_eq_u32_e64 s[4:5], v16, v0
	s_barrier
	s_cbranch_scc0 .LBB2932_67
; %bb.41:
	v_mov_b32_dpp v16, v39 row_shr:1 row_mask:0xf bank_mask:0xf
	v_cndmask_b32_e64 v16, v16, 0, s[14:15]
	v_add_u32_e32 v16, v16, v39
	s_nop 1
	v_mov_b32_dpp v17, v16 row_shr:2 row_mask:0xf bank_mask:0xf
	v_cndmask_b32_e64 v17, 0, v17, s[12:13]
	v_add_u32_e32 v16, v16, v17
	s_nop 1
	;; [unrolled: 4-line block ×4, first 2 shown]
	v_mov_b32_dpp v17, v16 row_bcast:15 row_mask:0xf bank_mask:0xf
	v_cndmask_b32_e64 v17, v17, 0, s[6:7]
	v_add_u32_e32 v16, v16, v17
	s_nop 1
	v_mov_b32_dpp v17, v16 row_bcast:31 row_mask:0xf bank_mask:0xf
	v_cndmask_b32_e64 v17, 0, v17, s[2:3]
	v_add_u32_e32 v16, v16, v17
	s_and_saveexec_b64 s[0:1], s[4:5]
	s_cbranch_execz .LBB2932_43
; %bb.42:
	v_lshlrev_b32_e32 v17, 2, v38
	ds_write_b32 v17, v16
.LBB2932_43:
	s_or_b64 exec, exec, s[0:1]
	v_cmp_gt_u32_e32 vcc, 8, v0
	s_waitcnt lgkmcnt(0)
	s_barrier
	s_and_saveexec_b64 s[0:1], vcc
	s_cbranch_execz .LBB2932_45
; %bb.44:
	v_lshlrev_b32_e32 v17, 2, v0
	ds_read_b32 v22, v17
	v_and_b32_e32 v23, 7, v36
	v_cmp_ne_u32_e32 vcc, 0, v23
	s_waitcnt lgkmcnt(0)
	v_mov_b32_dpp v24, v22 row_shr:1 row_mask:0xf bank_mask:0xf
	v_cndmask_b32_e32 v24, 0, v24, vcc
	v_add_u32_e32 v22, v24, v22
	v_cmp_lt_u32_e32 vcc, 1, v23
	s_nop 0
	v_mov_b32_dpp v24, v22 row_shr:2 row_mask:0xf bank_mask:0xf
	v_cndmask_b32_e32 v24, 0, v24, vcc
	v_add_u32_e32 v22, v22, v24
	v_cmp_lt_u32_e32 vcc, 3, v23
	s_nop 0
	v_mov_b32_dpp v24, v22 row_shr:4 row_mask:0xf bank_mask:0xf
	v_cndmask_b32_e32 v23, 0, v24, vcc
	v_add_u32_e32 v22, v22, v23
	ds_write_b32 v17, v22
.LBB2932_45:
	s_or_b64 exec, exec, s[0:1]
	v_cmp_gt_u32_e32 vcc, 64, v0
	v_cmp_lt_u32_e64 s[0:1], 63, v0
	s_waitcnt lgkmcnt(0)
	s_barrier
	s_waitcnt lgkmcnt(0)
                                        ; implicit-def: $vgpr40
	s_and_saveexec_b64 s[16:17], s[0:1]
	s_cbranch_execz .LBB2932_47
; %bb.46:
	v_lshl_add_u32 v17, v38, 2, -4
	ds_read_b32 v40, v17
	s_waitcnt lgkmcnt(0)
	v_add_u32_e32 v16, v40, v16
.LBB2932_47:
	s_or_b64 exec, exec, s[16:17]
	v_add_u32_e32 v17, -1, v36
	v_and_b32_e32 v22, 64, v36
	v_cmp_lt_i32_e64 s[0:1], v17, v22
	v_cmp_eq_u32_e64 s[16:17], 0, v36
	s_nop 0
	v_cndmask_b32_e64 v17, v17, v36, s[0:1]
	v_lshlrev_b32_e32 v17, 2, v17
	ds_bpermute_b32 v41, v17, v16
	s_and_saveexec_b64 s[0:1], vcc
	s_cbranch_execz .LBB2932_66
; %bb.48:
	v_mov_b32_e32 v27, 0
	ds_read_b32 v16, v27 offset:28
	s_and_saveexec_b64 s[30:31], s[16:17]
	s_cbranch_execz .LBB2932_50
; %bb.49:
	s_add_i32 s34, s36, 64
	s_mov_b32 s35, 0
	s_lshl_b64 s[34:35], s[34:35], 3
	s_add_u32 s34, s28, s34
	v_mov_b32_e32 v17, 1
	s_addc_u32 s35, s29, s35
	s_waitcnt lgkmcnt(0)
	global_store_dwordx2 v27, v[16:17], s[34:35] sc1
.LBB2932_50:
	s_or_b64 exec, exec, s[30:31]
	v_xad_u32 v22, v36, -1, s36
	v_add_u32_e32 v26, 64, v22
	v_lshl_add_u64 v[28:29], v[26:27], 3, s[28:29]
	global_load_dwordx2 v[24:25], v[28:29], off sc1
	s_waitcnt vmcnt(0)
	v_cmp_eq_u16_sdwa s[34:35], v25, v27 src0_sel:BYTE_0 src1_sel:DWORD
	s_and_saveexec_b64 s[30:31], s[34:35]
	s_cbranch_execz .LBB2932_54
; %bb.51:
	s_mov_b64 s[34:35], 0
	v_mov_b32_e32 v17, 0
.LBB2932_52:                            ; =>This Inner Loop Header: Depth=1
	global_load_dwordx2 v[24:25], v[28:29], off sc1
	s_waitcnt vmcnt(0)
	v_cmp_ne_u16_sdwa s[38:39], v25, v17 src0_sel:BYTE_0 src1_sel:DWORD
	s_or_b64 s[34:35], s[38:39], s[34:35]
	s_andn2_b64 exec, exec, s[34:35]
	s_cbranch_execnz .LBB2932_52
; %bb.53:
	s_or_b64 exec, exec, s[34:35]
.LBB2932_54:
	s_or_b64 exec, exec, s[30:31]
	v_and_b32_e32 v43, 63, v36
	v_mov_b32_e32 v42, 2
	v_cmp_ne_u32_e32 vcc, 63, v43
	v_cmp_eq_u16_sdwa s[30:31], v25, v42 src0_sel:BYTE_0 src1_sel:DWORD
	v_lshlrev_b64 v[26:27], v36, -1
	v_addc_co_u32_e32 v28, vcc, 0, v36, vcc
	v_and_b32_e32 v17, s31, v27
	v_lshlrev_b32_e32 v44, 2, v28
	v_or_b32_e32 v17, 0x80000000, v17
	ds_bpermute_b32 v28, v44, v24
	v_and_b32_e32 v23, s30, v26
	v_ffbl_b32_e32 v17, v17
	v_add_u32_e32 v17, 32, v17
	v_ffbl_b32_e32 v23, v23
	v_min_u32_e32 v17, v23, v17
	v_cmp_lt_u32_e32 vcc, v43, v17
	v_add_u32_e32 v46, 2, v43
	v_add_u32_e32 v48, 4, v43
	s_waitcnt lgkmcnt(0)
	v_cndmask_b32_e32 v23, 0, v28, vcc
	v_cmp_gt_u32_e32 vcc, 62, v43
	v_add_u32_e32 v23, v23, v24
	v_add_u32_e32 v50, 8, v43
	v_cndmask_b32_e64 v24, 0, 1, vcc
	v_lshlrev_b32_e32 v24, 1, v24
	v_add_lshl_u32 v45, v24, v36, 2
	ds_bpermute_b32 v24, v45, v23
	v_cmp_le_u32_e32 vcc, v46, v17
	v_add_u32_e32 v52, 16, v43
	v_add_u32_e32 v54, 32, v43
	s_waitcnt lgkmcnt(0)
	v_cndmask_b32_e32 v24, 0, v24, vcc
	v_cmp_gt_u32_e32 vcc, 60, v43
	v_add_u32_e32 v23, v23, v24
	s_nop 0
	v_cndmask_b32_e64 v24, 0, 1, vcc
	v_lshlrev_b32_e32 v24, 2, v24
	v_add_lshl_u32 v47, v24, v36, 2
	ds_bpermute_b32 v24, v47, v23
	v_cmp_le_u32_e32 vcc, v48, v17
	s_waitcnt lgkmcnt(0)
	s_nop 0
	v_cndmask_b32_e32 v24, 0, v24, vcc
	v_cmp_gt_u32_e32 vcc, 56, v43
	v_add_u32_e32 v23, v23, v24
	s_nop 0
	v_cndmask_b32_e64 v24, 0, 1, vcc
	v_lshlrev_b32_e32 v24, 3, v24
	v_add_lshl_u32 v49, v24, v36, 2
	ds_bpermute_b32 v24, v49, v23
	v_cmp_le_u32_e32 vcc, v50, v17
	s_waitcnt lgkmcnt(0)
	s_nop 0
	;; [unrolled: 11-line block ×4, first 2 shown]
	v_cndmask_b32_e32 v17, 0, v24, vcc
	v_add_u32_e32 v24, v23, v17
	v_mov_b32_e32 v23, 0
	s_branch .LBB2932_56
.LBB2932_55:                            ;   in Loop: Header=BB2932_56 Depth=1
	s_or_b64 exec, exec, s[30:31]
	v_cmp_eq_u16_sdwa s[30:31], v25, v42 src0_sel:BYTE_0 src1_sel:DWORD
	ds_bpermute_b32 v55, v44, v24
	v_subrev_u32_e32 v22, 64, v22
	v_and_b32_e32 v28, s31, v27
	v_or_b32_e32 v28, 0x80000000, v28
	v_and_b32_e32 v29, s30, v26
	v_ffbl_b32_e32 v28, v28
	v_add_u32_e32 v28, 32, v28
	v_ffbl_b32_e32 v29, v29
	v_min_u32_e32 v28, v29, v28
	v_cmp_lt_u32_e32 vcc, v43, v28
	s_waitcnt lgkmcnt(0)
	s_nop 0
	v_cndmask_b32_e32 v29, 0, v55, vcc
	v_add_u32_e32 v24, v29, v24
	ds_bpermute_b32 v29, v45, v24
	v_cmp_le_u32_e32 vcc, v46, v28
	s_waitcnt lgkmcnt(0)
	s_nop 0
	v_cndmask_b32_e32 v29, 0, v29, vcc
	v_add_u32_e32 v24, v24, v29
	ds_bpermute_b32 v29, v47, v24
	v_cmp_le_u32_e32 vcc, v48, v28
	s_waitcnt lgkmcnt(0)
	s_nop 0
	v_cndmask_b32_e32 v29, 0, v29, vcc
	v_add_u32_e32 v24, v24, v29
	ds_bpermute_b32 v29, v49, v24
	v_cmp_le_u32_e32 vcc, v50, v28
	s_waitcnt lgkmcnt(0)
	s_nop 0
	v_cndmask_b32_e32 v29, 0, v29, vcc
	v_add_u32_e32 v24, v24, v29
	ds_bpermute_b32 v29, v51, v24
	v_cmp_le_u32_e32 vcc, v52, v28
	s_waitcnt lgkmcnt(0)
	s_nop 0
	v_cndmask_b32_e32 v29, 0, v29, vcc
	v_add_u32_e32 v24, v24, v29
	ds_bpermute_b32 v29, v53, v24
	v_cmp_le_u32_e32 vcc, v54, v28
	s_waitcnt lgkmcnt(0)
	s_nop 0
	v_cndmask_b32_e32 v28, 0, v29, vcc
	v_add3_u32 v24, v28, v17, v24
.LBB2932_56:                            ; =>This Loop Header: Depth=1
                                        ;     Child Loop BB2932_59 Depth 2
	v_cmp_ne_u16_sdwa s[30:31], v25, v42 src0_sel:BYTE_0 src1_sel:DWORD
	s_nop 1
	v_cndmask_b32_e64 v17, 0, 1, s[30:31]
	;;#ASMSTART
	;;#ASMEND
	s_nop 0
	v_cmp_ne_u32_e32 vcc, 0, v17
	s_cmp_lg_u64 vcc, exec
	v_mov_b32_e32 v17, v24
	s_cbranch_scc1 .LBB2932_61
; %bb.57:                               ;   in Loop: Header=BB2932_56 Depth=1
	v_lshl_add_u64 v[28:29], v[22:23], 3, s[28:29]
	global_load_dwordx2 v[24:25], v[28:29], off sc1
	s_waitcnt vmcnt(0)
	v_cmp_eq_u16_sdwa s[34:35], v25, v23 src0_sel:BYTE_0 src1_sel:DWORD
	s_and_saveexec_b64 s[30:31], s[34:35]
	s_cbranch_execz .LBB2932_55
; %bb.58:                               ;   in Loop: Header=BB2932_56 Depth=1
	s_mov_b64 s[34:35], 0
.LBB2932_59:                            ;   Parent Loop BB2932_56 Depth=1
                                        ; =>  This Inner Loop Header: Depth=2
	global_load_dwordx2 v[24:25], v[28:29], off sc1
	s_waitcnt vmcnt(0)
	v_cmp_ne_u16_sdwa s[38:39], v25, v23 src0_sel:BYTE_0 src1_sel:DWORD
	s_or_b64 s[34:35], s[38:39], s[34:35]
	s_andn2_b64 exec, exec, s[34:35]
	s_cbranch_execnz .LBB2932_59
; %bb.60:                               ;   in Loop: Header=BB2932_56 Depth=1
	s_or_b64 exec, exec, s[34:35]
	s_branch .LBB2932_55
.LBB2932_61:                            ;   in Loop: Header=BB2932_56 Depth=1
                                        ; implicit-def: $vgpr24
                                        ; implicit-def: $vgpr25
	s_cbranch_execz .LBB2932_56
; %bb.62:
	s_and_saveexec_b64 s[30:31], s[16:17]
	s_cbranch_execz .LBB2932_64
; %bb.63:
	s_add_i32 s34, s36, 64
	s_mov_b32 s35, 0
	s_lshl_b64 s[34:35], s[34:35], 3
	s_add_u32 s34, s28, s34
	v_add_u32_e32 v22, v17, v16
	v_mov_b32_e32 v23, 2
	s_addc_u32 s35, s29, s35
	v_mov_b32_e32 v24, 0
	global_store_dwordx2 v24, v[22:23], s[34:35] sc1
	ds_write_b64 v24, v[16:17] offset:28672
.LBB2932_64:
	s_or_b64 exec, exec, s[30:31]
	s_and_b64 exec, exec, s[18:19]
	s_cbranch_execz .LBB2932_66
; %bb.65:
	v_mov_b32_e32 v16, 0
	ds_write_b32 v16, v17 offset:28
.LBB2932_66:
	s_or_b64 exec, exec, s[0:1]
	v_mov_b32_e32 v16, 0
	s_waitcnt lgkmcnt(0)
	s_barrier
	ds_read_b32 v17, v16 offset:28
	v_cndmask_b32_e64 v22, v41, v40, s[16:17]
	v_cndmask_b32_e64 v22, v22, 0, s[18:19]
	s_waitcnt lgkmcnt(0)
	s_barrier
	v_add_u32_e32 v29, v17, v22
	v_add_u32_e32 v28, v29, v35
	ds_read_b64 v[16:17], v16 offset:28672
	v_add_u32_e32 v27, v28, v34
	v_add_u32_e32 v25, v27, v33
	;; [unrolled: 1-line block ×5, first 2 shown]
	s_waitcnt lgkmcnt(0)
	v_mov_b32_e32 v22, v17
	s_branch .LBB2932_77
.LBB2932_67:
                                        ; implicit-def: $vgpr22
                                        ; implicit-def: $vgpr16
                                        ; implicit-def: $vgpr23
                                        ; implicit-def: $vgpr24
                                        ; implicit-def: $vgpr26
                                        ; implicit-def: $vgpr25
                                        ; implicit-def: $vgpr27
                                        ; implicit-def: $vgpr28
                                        ; implicit-def: $vgpr29
	s_cbranch_execz .LBB2932_77
; %bb.68:
	s_nop 0
	v_mov_b32_dpp v16, v39 row_shr:1 row_mask:0xf bank_mask:0xf
	v_cndmask_b32_e64 v16, v16, 0, s[14:15]
	v_add_u32_e32 v16, v16, v39
	s_nop 1
	v_mov_b32_dpp v17, v16 row_shr:2 row_mask:0xf bank_mask:0xf
	v_cndmask_b32_e64 v17, 0, v17, s[12:13]
	v_add_u32_e32 v16, v16, v17
	;; [unrolled: 4-line block ×4, first 2 shown]
	s_nop 1
	v_mov_b32_dpp v17, v16 row_bcast:15 row_mask:0xf bank_mask:0xf
	v_cndmask_b32_e64 v17, v17, 0, s[6:7]
	v_add_u32_e32 v16, v16, v17
	s_nop 1
	v_mov_b32_dpp v17, v16 row_bcast:31 row_mask:0xf bank_mask:0xf
	v_cndmask_b32_e64 v17, 0, v17, s[2:3]
	v_add_u32_e32 v16, v16, v17
	s_and_saveexec_b64 s[0:1], s[4:5]
	s_cbranch_execz .LBB2932_70
; %bb.69:
	v_lshlrev_b32_e32 v17, 2, v38
	ds_write_b32 v17, v16
.LBB2932_70:
	s_or_b64 exec, exec, s[0:1]
	v_cmp_gt_u32_e32 vcc, 8, v0
	s_waitcnt lgkmcnt(0)
	s_barrier
	s_and_saveexec_b64 s[0:1], vcc
	s_cbranch_execz .LBB2932_72
; %bb.71:
	v_mad_i32_i24 v17, v0, -3, v37
	ds_read_b32 v22, v17
	v_and_b32_e32 v23, 7, v36
	v_cmp_ne_u32_e32 vcc, 0, v23
	s_waitcnt lgkmcnt(0)
	v_mov_b32_dpp v24, v22 row_shr:1 row_mask:0xf bank_mask:0xf
	v_cndmask_b32_e32 v24, 0, v24, vcc
	v_add_u32_e32 v22, v24, v22
	v_cmp_lt_u32_e32 vcc, 1, v23
	s_nop 0
	v_mov_b32_dpp v24, v22 row_shr:2 row_mask:0xf bank_mask:0xf
	v_cndmask_b32_e32 v24, 0, v24, vcc
	v_add_u32_e32 v22, v22, v24
	v_cmp_lt_u32_e32 vcc, 3, v23
	s_nop 0
	v_mov_b32_dpp v24, v22 row_shr:4 row_mask:0xf bank_mask:0xf
	v_cndmask_b32_e32 v23, 0, v24, vcc
	v_add_u32_e32 v22, v22, v23
	ds_write_b32 v17, v22
.LBB2932_72:
	s_or_b64 exec, exec, s[0:1]
	v_cmp_lt_u32_e32 vcc, 63, v0
	v_mov_b32_e32 v17, 0
	v_mov_b32_e32 v22, 0
	s_waitcnt lgkmcnt(0)
	s_barrier
	s_and_saveexec_b64 s[0:1], vcc
	s_cbranch_execz .LBB2932_74
; %bb.73:
	v_lshl_add_u32 v22, v38, 2, -4
	ds_read_b32 v22, v22
.LBB2932_74:
	s_or_b64 exec, exec, s[0:1]
	v_add_u32_e32 v23, -1, v36
	v_and_b32_e32 v24, 64, v36
	v_cmp_lt_i32_e32 vcc, v23, v24
	s_waitcnt lgkmcnt(0)
	v_add_u32_e32 v16, v22, v16
	v_cndmask_b32_e32 v23, v23, v36, vcc
	v_lshlrev_b32_e32 v23, 2, v23
	ds_bpermute_b32 v23, v23, v16
	ds_read_b32 v16, v17 offset:28
	s_and_saveexec_b64 s[0:1], s[18:19]
	s_cbranch_execz .LBB2932_76
; %bb.75:
	v_mov_b32_e32 v24, 0
	v_mov_b32_e32 v17, 2
	s_waitcnt lgkmcnt(0)
	global_store_dwordx2 v24, v[16:17], s[28:29] offset:512 sc1
.LBB2932_76:
	s_or_b64 exec, exec, s[0:1]
	v_cmp_eq_u32_e32 vcc, 0, v36
	s_waitcnt lgkmcnt(0)
	s_barrier
	v_cndmask_b32_e32 v17, v23, v22, vcc
	v_cndmask_b32_e64 v29, v17, 0, s[18:19]
	v_add_u32_e32 v28, v29, v35
	v_add_u32_e32 v27, v28, v34
	;; [unrolled: 1-line block ×5, first 2 shown]
	v_mov_b32_e32 v22, 0
	v_add_u32_e32 v23, v24, v30
.LBB2932_77:
	v_add_u32_e32 v1, v16, v1
	v_sub_u32_e32 v17, v29, v22
	v_sub_u32_e32 v29, v1, v17
	v_cmp_eq_u32_e32 vcc, 1, v35
	s_nop 1
	v_cndmask_b32_e32 v17, v29, v17, vcc
	v_lshlrev_b32_e32 v17, 3, v17
	ds_write_b64 v17, v[10:11]
	v_sub_u32_e32 v10, v28, v22
	v_sub_u32_e32 v11, v1, v10
	v_add_u32_e32 v11, 1, v11
	v_cmp_eq_u32_e32 vcc, 1, v34
	v_or_b32_e32 v29, 0x400, v0
	v_or_b32_e32 v28, 0x600, v0
	v_cndmask_b32_e32 v10, v11, v10, vcc
	v_lshlrev_b32_e32 v10, 3, v10
	ds_write_b64 v10, v[12:13]
	v_sub_u32_e32 v10, v27, v22
	v_sub_u32_e32 v11, v1, v10
	v_add_u32_e32 v11, 2, v11
	v_cmp_eq_u32_e32 vcc, 1, v33
	v_or_b32_e32 v17, 0xa00, v0
	s_nop 0
	v_cndmask_b32_e32 v10, v11, v10, vcc
	v_lshlrev_b32_e32 v10, 3, v10
	ds_write_b64 v10, v[6:7]
	v_sub_u32_e32 v6, v25, v22
	v_sub_u32_e32 v7, v1, v6
	v_add_u32_e32 v7, 3, v7
	v_cmp_eq_u32_e32 vcc, 1, v32
	s_nop 1
	v_cndmask_b32_e32 v6, v7, v6, vcc
	v_lshlrev_b32_e32 v6, 3, v6
	ds_write_b64 v6, v[8:9]
	v_sub_u32_e32 v6, v26, v22
	v_sub_u32_e32 v7, v1, v6
	v_add_u32_e32 v7, 4, v7
	v_cmp_eq_u32_e32 vcc, 1, v31
	s_waitcnt vmcnt(0)
	v_lshlrev_b64 v[26:27], 3, v[18:19]
	v_cndmask_b32_e32 v6, v7, v6, vcc
	v_lshlrev_b32_e32 v6, 3, v6
	ds_write_b64 v6, v[2:3]
	v_sub_u32_e32 v2, v24, v22
	v_sub_u32_e32 v3, v1, v2
	v_add_u32_e32 v3, 5, v3
	v_cmp_eq_u32_e32 vcc, 1, v30
	v_or_b32_e32 v30, 0x200, v0
	s_nop 0
	v_cndmask_b32_e32 v2, v3, v2, vcc
	v_lshlrev_b32_e32 v2, 3, v2
	ds_write_b64 v2, v[4:5]
	v_sub_u32_e32 v2, v23, v22
	v_sub_u32_e32 v1, v1, v2
	v_add_u32_e32 v1, 6, v1
	v_cmp_eq_u32_e32 vcc, 1, v21
	v_or_b32_e32 v21, 0x800, v0
	s_nop 0
	v_cndmask_b32_e32 v1, v1, v2, vcc
	v_lshlrev_b32_e32 v1, 3, v1
	ds_write_b64 v1, v[14:15]
	s_waitcnt lgkmcnt(0)
	s_barrier
	ds_read2st64_b64 v[10:13], v20 offset1:8
	ds_read2st64_b64 v[6:9], v20 offset0:16 offset1:24
	ds_read2st64_b64 v[2:5], v20 offset0:32 offset1:40
	ds_read_b64 v[14:15], v20 offset:24576
	v_or_b32_e32 v1, 0xc00, v0
	s_andn2_b64 vcc, exec, s[26:27]
	s_cbranch_vccnz .LBB2932_86
; %bb.78:
	v_mov_b32_e32 v23, 0
	v_lshl_add_u64 v[24:25], s[24:25], 0, v[26:27]
	v_lshlrev_b64 v[32:33], 3, v[22:23]
	v_lshl_add_u64 v[24:25], v[24:25], 0, v[32:33]
	v_cmp_lt_u32_e32 vcc, v0, v16
	s_and_saveexec_b64 s[0:1], vcc
	s_cbranch_execnz .LBB2932_100
; %bb.79:
	s_or_b64 exec, exec, s[0:1]
	v_cmp_lt_u32_e32 vcc, v30, v16
	s_and_saveexec_b64 s[0:1], vcc
	s_cbranch_execnz .LBB2932_101
.LBB2932_80:
	s_or_b64 exec, exec, s[0:1]
	v_cmp_lt_u32_e32 vcc, v29, v16
	s_and_saveexec_b64 s[0:1], vcc
	s_cbranch_execnz .LBB2932_102
.LBB2932_81:
	s_or_b64 exec, exec, s[0:1]
	v_cmp_lt_u32_e32 vcc, v28, v16
	s_and_saveexec_b64 s[0:1], vcc
	s_cbranch_execnz .LBB2932_103
.LBB2932_82:
	s_or_b64 exec, exec, s[0:1]
	v_cmp_lt_u32_e32 vcc, v21, v16
	s_and_saveexec_b64 s[0:1], vcc
	s_cbranch_execnz .LBB2932_104
.LBB2932_83:
	s_or_b64 exec, exec, s[0:1]
	v_cmp_lt_u32_e32 vcc, v17, v16
	s_and_saveexec_b64 s[0:1], vcc
	s_cbranch_execz .LBB2932_85
.LBB2932_84:
	v_lshlrev_b32_e32 v23, 3, v17
	v_readfirstlane_b32 s2, v24
	v_readfirstlane_b32 s3, v25
	s_waitcnt lgkmcnt(1)
	s_nop 3
	global_store_dwordx2 v23, v[4:5], s[2:3]
.LBB2932_85:
	s_or_b64 exec, exec, s[0:1]
	v_cmp_lt_u32_e64 s[0:1], v1, v16
	s_branch .LBB2932_95
.LBB2932_86:
	s_mov_b64 s[0:1], 0
                                        ; implicit-def: $vgpr24_vgpr25
	s_cbranch_execz .LBB2932_95
; %bb.87:
	v_mov_b32_e32 v23, 0
	v_min_u32_e32 v31, s33, v16
	v_lshl_add_u64 v[24:25], s[24:25], 0, v[26:27]
	v_lshlrev_b64 v[26:27], 3, v[22:23]
	v_lshl_add_u64 v[24:25], v[24:25], 0, v[26:27]
	v_cmp_gt_u32_e32 vcc, v31, v0
	s_and_saveexec_b64 s[0:1], vcc
	s_cbranch_execnz .LBB2932_105
; %bb.88:
	s_or_b64 exec, exec, s[0:1]
	v_cmp_lt_u32_e32 vcc, v30, v31
	s_and_saveexec_b64 s[0:1], vcc
	s_cbranch_execnz .LBB2932_106
.LBB2932_89:
	s_or_b64 exec, exec, s[0:1]
	v_cmp_lt_u32_e32 vcc, v29, v31
	s_and_saveexec_b64 s[0:1], vcc
	s_cbranch_execnz .LBB2932_107
.LBB2932_90:
	s_or_b64 exec, exec, s[0:1]
	v_cmp_lt_u32_e32 vcc, v28, v31
	s_and_saveexec_b64 s[0:1], vcc
	s_cbranch_execnz .LBB2932_108
.LBB2932_91:
	s_or_b64 exec, exec, s[0:1]
	v_cmp_lt_u32_e32 vcc, v21, v31
	s_and_saveexec_b64 s[0:1], vcc
	s_cbranch_execnz .LBB2932_109
.LBB2932_92:
	s_or_b64 exec, exec, s[0:1]
	v_cmp_lt_u32_e32 vcc, v17, v31
	s_and_saveexec_b64 s[0:1], vcc
	s_cbranch_execz .LBB2932_94
.LBB2932_93:
	v_lshlrev_b32_e32 v0, 3, v17
	v_readfirstlane_b32 s2, v24
	v_readfirstlane_b32 s3, v25
	s_waitcnt lgkmcnt(1)
	s_nop 3
	global_store_dwordx2 v0, v[4:5], s[2:3]
.LBB2932_94:
	s_or_b64 exec, exec, s[0:1]
	v_cmp_lt_u32_e64 s[0:1], v1, v31
.LBB2932_95:
	s_and_saveexec_b64 s[2:3], s[0:1]
	s_cbranch_execnz .LBB2932_98
; %bb.96:
	s_or_b64 exec, exec, s[2:3]
	s_and_b64 s[0:1], s[18:19], s[22:23]
	s_and_saveexec_b64 s[2:3], s[0:1]
	s_cbranch_execnz .LBB2932_99
.LBB2932_97:
	s_endpgm
.LBB2932_98:
	v_lshlrev_b32_e32 v0, 3, v1
	v_readfirstlane_b32 s0, v24
	v_readfirstlane_b32 s1, v25
	s_waitcnt lgkmcnt(0)
	s_nop 3
	global_store_dwordx2 v0, v[14:15], s[0:1]
	s_or_b64 exec, exec, s[2:3]
	s_and_b64 s[0:1], s[18:19], s[22:23]
	s_and_saveexec_b64 s[2:3], s[0:1]
	s_cbranch_execz .LBB2932_97
.LBB2932_99:
	v_mov_b32_e32 v17, 0
	v_lshl_add_u64 v[0:1], v[18:19], 0, v[16:17]
	v_mov_b32_e32 v23, v17
	v_lshl_add_u64 v[0:1], v[0:1], 0, v[22:23]
	global_store_dwordx2 v17, v[0:1], s[20:21]
	s_endpgm
.LBB2932_100:
	v_readfirstlane_b32 s2, v24
	v_readfirstlane_b32 s3, v25
	s_waitcnt lgkmcnt(3)
	s_nop 3
	global_store_dwordx2 v20, v[10:11], s[2:3]
	s_or_b64 exec, exec, s[0:1]
	v_cmp_lt_u32_e32 vcc, v30, v16
	s_and_saveexec_b64 s[0:1], vcc
	s_cbranch_execz .LBB2932_80
.LBB2932_101:
	v_lshlrev_b32_e32 v23, 3, v30
	v_readfirstlane_b32 s2, v24
	v_readfirstlane_b32 s3, v25
	s_waitcnt lgkmcnt(3)
	s_nop 3
	global_store_dwordx2 v23, v[12:13], s[2:3]
	s_or_b64 exec, exec, s[0:1]
	v_cmp_lt_u32_e32 vcc, v29, v16
	s_and_saveexec_b64 s[0:1], vcc
	s_cbranch_execz .LBB2932_81
.LBB2932_102:
	v_lshlrev_b32_e32 v23, 3, v29
	v_readfirstlane_b32 s2, v24
	v_readfirstlane_b32 s3, v25
	s_waitcnt lgkmcnt(2)
	s_nop 3
	global_store_dwordx2 v23, v[6:7], s[2:3]
	s_or_b64 exec, exec, s[0:1]
	v_cmp_lt_u32_e32 vcc, v28, v16
	s_and_saveexec_b64 s[0:1], vcc
	s_cbranch_execz .LBB2932_82
.LBB2932_103:
	v_lshlrev_b32_e32 v23, 3, v28
	v_readfirstlane_b32 s2, v24
	v_readfirstlane_b32 s3, v25
	s_waitcnt lgkmcnt(2)
	s_nop 3
	global_store_dwordx2 v23, v[8:9], s[2:3]
	s_or_b64 exec, exec, s[0:1]
	v_cmp_lt_u32_e32 vcc, v21, v16
	s_and_saveexec_b64 s[0:1], vcc
	s_cbranch_execz .LBB2932_83
.LBB2932_104:
	v_lshlrev_b32_e32 v23, 3, v21
	v_readfirstlane_b32 s2, v24
	v_readfirstlane_b32 s3, v25
	s_waitcnt lgkmcnt(1)
	s_nop 3
	global_store_dwordx2 v23, v[2:3], s[2:3]
	s_or_b64 exec, exec, s[0:1]
	v_cmp_lt_u32_e32 vcc, v17, v16
	s_and_saveexec_b64 s[0:1], vcc
	s_cbranch_execnz .LBB2932_84
	s_branch .LBB2932_85
.LBB2932_105:
	v_readfirstlane_b32 s2, v24
	v_readfirstlane_b32 s3, v25
	s_waitcnt lgkmcnt(3)
	s_nop 3
	global_store_dwordx2 v20, v[10:11], s[2:3]
	s_or_b64 exec, exec, s[0:1]
	v_cmp_lt_u32_e32 vcc, v30, v31
	s_and_saveexec_b64 s[0:1], vcc
	s_cbranch_execz .LBB2932_89
.LBB2932_106:
	v_lshlrev_b32_e32 v0, 3, v30
	v_readfirstlane_b32 s2, v24
	v_readfirstlane_b32 s3, v25
	s_waitcnt lgkmcnt(3)
	s_nop 3
	global_store_dwordx2 v0, v[12:13], s[2:3]
	s_or_b64 exec, exec, s[0:1]
	v_cmp_lt_u32_e32 vcc, v29, v31
	s_and_saveexec_b64 s[0:1], vcc
	s_cbranch_execz .LBB2932_90
.LBB2932_107:
	v_lshlrev_b32_e32 v0, 3, v29
	v_readfirstlane_b32 s2, v24
	v_readfirstlane_b32 s3, v25
	s_waitcnt lgkmcnt(2)
	s_nop 3
	global_store_dwordx2 v0, v[6:7], s[2:3]
	s_or_b64 exec, exec, s[0:1]
	v_cmp_lt_u32_e32 vcc, v28, v31
	s_and_saveexec_b64 s[0:1], vcc
	s_cbranch_execz .LBB2932_91
.LBB2932_108:
	v_lshlrev_b32_e32 v0, 3, v28
	v_readfirstlane_b32 s2, v24
	v_readfirstlane_b32 s3, v25
	s_waitcnt lgkmcnt(2)
	s_nop 3
	global_store_dwordx2 v0, v[8:9], s[2:3]
	s_or_b64 exec, exec, s[0:1]
	v_cmp_lt_u32_e32 vcc, v21, v31
	s_and_saveexec_b64 s[0:1], vcc
	s_cbranch_execz .LBB2932_92
.LBB2932_109:
	v_lshlrev_b32_e32 v0, 3, v21
	v_readfirstlane_b32 s2, v24
	v_readfirstlane_b32 s3, v25
	s_waitcnt lgkmcnt(1)
	s_nop 3
	global_store_dwordx2 v0, v[2:3], s[2:3]
	s_or_b64 exec, exec, s[0:1]
	v_cmp_lt_u32_e32 vcc, v17, v31
	s_and_saveexec_b64 s[0:1], vcc
	s_cbranch_execnz .LBB2932_93
	s_branch .LBB2932_94
	.section	.rodata,"a",@progbits
	.p2align	6, 0x0
	.amdhsa_kernel _ZN7rocprim17ROCPRIM_400000_NS6detail17trampoline_kernelINS0_14default_configENS1_25partition_config_selectorILNS1_17partition_subalgoE1EyNS0_10empty_typeEbEEZZNS1_14partition_implILS5_1ELb0ES3_jN6thrust23THRUST_200600_302600_NS6detail15normal_iteratorINSA_10device_ptrIyEEEEPS6_NSA_18transform_iteratorI7is_evenIyESF_NSA_11use_defaultESK_EENS0_5tupleIJSF_NSA_16discard_iteratorISK_EEEEENSM_IJSG_SG_EEES6_PlJS6_EEE10hipError_tPvRmT3_T4_T5_T6_T7_T9_mT8_P12ihipStream_tbDpT10_ENKUlT_T0_E_clISt17integral_constantIbLb0EES1A_IbLb1EEEEDaS16_S17_EUlS16_E_NS1_11comp_targetILNS1_3genE5ELNS1_11target_archE942ELNS1_3gpuE9ELNS1_3repE0EEENS1_30default_config_static_selectorELNS0_4arch9wavefront6targetE1EEEvT1_
		.amdhsa_group_segment_fixed_size 28680
		.amdhsa_private_segment_fixed_size 0
		.amdhsa_kernarg_size 152
		.amdhsa_user_sgpr_count 2
		.amdhsa_user_sgpr_dispatch_ptr 0
		.amdhsa_user_sgpr_queue_ptr 0
		.amdhsa_user_sgpr_kernarg_segment_ptr 1
		.amdhsa_user_sgpr_dispatch_id 0
		.amdhsa_user_sgpr_kernarg_preload_length 0
		.amdhsa_user_sgpr_kernarg_preload_offset 0
		.amdhsa_user_sgpr_private_segment_size 0
		.amdhsa_uses_dynamic_stack 0
		.amdhsa_enable_private_segment 0
		.amdhsa_system_sgpr_workgroup_id_x 1
		.amdhsa_system_sgpr_workgroup_id_y 0
		.amdhsa_system_sgpr_workgroup_id_z 0
		.amdhsa_system_sgpr_workgroup_info 0
		.amdhsa_system_vgpr_workitem_id 0
		.amdhsa_next_free_vgpr 56
		.amdhsa_next_free_sgpr 40
		.amdhsa_accum_offset 56
		.amdhsa_reserve_vcc 1
		.amdhsa_float_round_mode_32 0
		.amdhsa_float_round_mode_16_64 0
		.amdhsa_float_denorm_mode_32 3
		.amdhsa_float_denorm_mode_16_64 3
		.amdhsa_dx10_clamp 1
		.amdhsa_ieee_mode 1
		.amdhsa_fp16_overflow 0
		.amdhsa_tg_split 0
		.amdhsa_exception_fp_ieee_invalid_op 0
		.amdhsa_exception_fp_denorm_src 0
		.amdhsa_exception_fp_ieee_div_zero 0
		.amdhsa_exception_fp_ieee_overflow 0
		.amdhsa_exception_fp_ieee_underflow 0
		.amdhsa_exception_fp_ieee_inexact 0
		.amdhsa_exception_int_div_zero 0
	.end_amdhsa_kernel
	.section	.text._ZN7rocprim17ROCPRIM_400000_NS6detail17trampoline_kernelINS0_14default_configENS1_25partition_config_selectorILNS1_17partition_subalgoE1EyNS0_10empty_typeEbEEZZNS1_14partition_implILS5_1ELb0ES3_jN6thrust23THRUST_200600_302600_NS6detail15normal_iteratorINSA_10device_ptrIyEEEEPS6_NSA_18transform_iteratorI7is_evenIyESF_NSA_11use_defaultESK_EENS0_5tupleIJSF_NSA_16discard_iteratorISK_EEEEENSM_IJSG_SG_EEES6_PlJS6_EEE10hipError_tPvRmT3_T4_T5_T6_T7_T9_mT8_P12ihipStream_tbDpT10_ENKUlT_T0_E_clISt17integral_constantIbLb0EES1A_IbLb1EEEEDaS16_S17_EUlS16_E_NS1_11comp_targetILNS1_3genE5ELNS1_11target_archE942ELNS1_3gpuE9ELNS1_3repE0EEENS1_30default_config_static_selectorELNS0_4arch9wavefront6targetE1EEEvT1_,"axG",@progbits,_ZN7rocprim17ROCPRIM_400000_NS6detail17trampoline_kernelINS0_14default_configENS1_25partition_config_selectorILNS1_17partition_subalgoE1EyNS0_10empty_typeEbEEZZNS1_14partition_implILS5_1ELb0ES3_jN6thrust23THRUST_200600_302600_NS6detail15normal_iteratorINSA_10device_ptrIyEEEEPS6_NSA_18transform_iteratorI7is_evenIyESF_NSA_11use_defaultESK_EENS0_5tupleIJSF_NSA_16discard_iteratorISK_EEEEENSM_IJSG_SG_EEES6_PlJS6_EEE10hipError_tPvRmT3_T4_T5_T6_T7_T9_mT8_P12ihipStream_tbDpT10_ENKUlT_T0_E_clISt17integral_constantIbLb0EES1A_IbLb1EEEEDaS16_S17_EUlS16_E_NS1_11comp_targetILNS1_3genE5ELNS1_11target_archE942ELNS1_3gpuE9ELNS1_3repE0EEENS1_30default_config_static_selectorELNS0_4arch9wavefront6targetE1EEEvT1_,comdat
.Lfunc_end2932:
	.size	_ZN7rocprim17ROCPRIM_400000_NS6detail17trampoline_kernelINS0_14default_configENS1_25partition_config_selectorILNS1_17partition_subalgoE1EyNS0_10empty_typeEbEEZZNS1_14partition_implILS5_1ELb0ES3_jN6thrust23THRUST_200600_302600_NS6detail15normal_iteratorINSA_10device_ptrIyEEEEPS6_NSA_18transform_iteratorI7is_evenIyESF_NSA_11use_defaultESK_EENS0_5tupleIJSF_NSA_16discard_iteratorISK_EEEEENSM_IJSG_SG_EEES6_PlJS6_EEE10hipError_tPvRmT3_T4_T5_T6_T7_T9_mT8_P12ihipStream_tbDpT10_ENKUlT_T0_E_clISt17integral_constantIbLb0EES1A_IbLb1EEEEDaS16_S17_EUlS16_E_NS1_11comp_targetILNS1_3genE5ELNS1_11target_archE942ELNS1_3gpuE9ELNS1_3repE0EEENS1_30default_config_static_selectorELNS0_4arch9wavefront6targetE1EEEvT1_, .Lfunc_end2932-_ZN7rocprim17ROCPRIM_400000_NS6detail17trampoline_kernelINS0_14default_configENS1_25partition_config_selectorILNS1_17partition_subalgoE1EyNS0_10empty_typeEbEEZZNS1_14partition_implILS5_1ELb0ES3_jN6thrust23THRUST_200600_302600_NS6detail15normal_iteratorINSA_10device_ptrIyEEEEPS6_NSA_18transform_iteratorI7is_evenIyESF_NSA_11use_defaultESK_EENS0_5tupleIJSF_NSA_16discard_iteratorISK_EEEEENSM_IJSG_SG_EEES6_PlJS6_EEE10hipError_tPvRmT3_T4_T5_T6_T7_T9_mT8_P12ihipStream_tbDpT10_ENKUlT_T0_E_clISt17integral_constantIbLb0EES1A_IbLb1EEEEDaS16_S17_EUlS16_E_NS1_11comp_targetILNS1_3genE5ELNS1_11target_archE942ELNS1_3gpuE9ELNS1_3repE0EEENS1_30default_config_static_selectorELNS0_4arch9wavefront6targetE1EEEvT1_
                                        ; -- End function
	.section	.AMDGPU.csdata,"",@progbits
; Kernel info:
; codeLenInByte = 5140
; NumSgprs: 46
; NumVgprs: 56
; NumAgprs: 0
; TotalNumVgprs: 56
; ScratchSize: 0
; MemoryBound: 0
; FloatMode: 240
; IeeeMode: 1
; LDSByteSize: 28680 bytes/workgroup (compile time only)
; SGPRBlocks: 5
; VGPRBlocks: 6
; NumSGPRsForWavesPerEU: 46
; NumVGPRsForWavesPerEU: 56
; AccumOffset: 56
; Occupancy: 4
; WaveLimiterHint : 1
; COMPUTE_PGM_RSRC2:SCRATCH_EN: 0
; COMPUTE_PGM_RSRC2:USER_SGPR: 2
; COMPUTE_PGM_RSRC2:TRAP_HANDLER: 0
; COMPUTE_PGM_RSRC2:TGID_X_EN: 1
; COMPUTE_PGM_RSRC2:TGID_Y_EN: 0
; COMPUTE_PGM_RSRC2:TGID_Z_EN: 0
; COMPUTE_PGM_RSRC2:TIDIG_COMP_CNT: 0
; COMPUTE_PGM_RSRC3_GFX90A:ACCUM_OFFSET: 13
; COMPUTE_PGM_RSRC3_GFX90A:TG_SPLIT: 0
	.section	.text._ZN7rocprim17ROCPRIM_400000_NS6detail17trampoline_kernelINS0_14default_configENS1_25partition_config_selectorILNS1_17partition_subalgoE1EyNS0_10empty_typeEbEEZZNS1_14partition_implILS5_1ELb0ES3_jN6thrust23THRUST_200600_302600_NS6detail15normal_iteratorINSA_10device_ptrIyEEEEPS6_NSA_18transform_iteratorI7is_evenIyESF_NSA_11use_defaultESK_EENS0_5tupleIJSF_NSA_16discard_iteratorISK_EEEEENSM_IJSG_SG_EEES6_PlJS6_EEE10hipError_tPvRmT3_T4_T5_T6_T7_T9_mT8_P12ihipStream_tbDpT10_ENKUlT_T0_E_clISt17integral_constantIbLb0EES1A_IbLb1EEEEDaS16_S17_EUlS16_E_NS1_11comp_targetILNS1_3genE4ELNS1_11target_archE910ELNS1_3gpuE8ELNS1_3repE0EEENS1_30default_config_static_selectorELNS0_4arch9wavefront6targetE1EEEvT1_,"axG",@progbits,_ZN7rocprim17ROCPRIM_400000_NS6detail17trampoline_kernelINS0_14default_configENS1_25partition_config_selectorILNS1_17partition_subalgoE1EyNS0_10empty_typeEbEEZZNS1_14partition_implILS5_1ELb0ES3_jN6thrust23THRUST_200600_302600_NS6detail15normal_iteratorINSA_10device_ptrIyEEEEPS6_NSA_18transform_iteratorI7is_evenIyESF_NSA_11use_defaultESK_EENS0_5tupleIJSF_NSA_16discard_iteratorISK_EEEEENSM_IJSG_SG_EEES6_PlJS6_EEE10hipError_tPvRmT3_T4_T5_T6_T7_T9_mT8_P12ihipStream_tbDpT10_ENKUlT_T0_E_clISt17integral_constantIbLb0EES1A_IbLb1EEEEDaS16_S17_EUlS16_E_NS1_11comp_targetILNS1_3genE4ELNS1_11target_archE910ELNS1_3gpuE8ELNS1_3repE0EEENS1_30default_config_static_selectorELNS0_4arch9wavefront6targetE1EEEvT1_,comdat
	.protected	_ZN7rocprim17ROCPRIM_400000_NS6detail17trampoline_kernelINS0_14default_configENS1_25partition_config_selectorILNS1_17partition_subalgoE1EyNS0_10empty_typeEbEEZZNS1_14partition_implILS5_1ELb0ES3_jN6thrust23THRUST_200600_302600_NS6detail15normal_iteratorINSA_10device_ptrIyEEEEPS6_NSA_18transform_iteratorI7is_evenIyESF_NSA_11use_defaultESK_EENS0_5tupleIJSF_NSA_16discard_iteratorISK_EEEEENSM_IJSG_SG_EEES6_PlJS6_EEE10hipError_tPvRmT3_T4_T5_T6_T7_T9_mT8_P12ihipStream_tbDpT10_ENKUlT_T0_E_clISt17integral_constantIbLb0EES1A_IbLb1EEEEDaS16_S17_EUlS16_E_NS1_11comp_targetILNS1_3genE4ELNS1_11target_archE910ELNS1_3gpuE8ELNS1_3repE0EEENS1_30default_config_static_selectorELNS0_4arch9wavefront6targetE1EEEvT1_ ; -- Begin function _ZN7rocprim17ROCPRIM_400000_NS6detail17trampoline_kernelINS0_14default_configENS1_25partition_config_selectorILNS1_17partition_subalgoE1EyNS0_10empty_typeEbEEZZNS1_14partition_implILS5_1ELb0ES3_jN6thrust23THRUST_200600_302600_NS6detail15normal_iteratorINSA_10device_ptrIyEEEEPS6_NSA_18transform_iteratorI7is_evenIyESF_NSA_11use_defaultESK_EENS0_5tupleIJSF_NSA_16discard_iteratorISK_EEEEENSM_IJSG_SG_EEES6_PlJS6_EEE10hipError_tPvRmT3_T4_T5_T6_T7_T9_mT8_P12ihipStream_tbDpT10_ENKUlT_T0_E_clISt17integral_constantIbLb0EES1A_IbLb1EEEEDaS16_S17_EUlS16_E_NS1_11comp_targetILNS1_3genE4ELNS1_11target_archE910ELNS1_3gpuE8ELNS1_3repE0EEENS1_30default_config_static_selectorELNS0_4arch9wavefront6targetE1EEEvT1_
	.globl	_ZN7rocprim17ROCPRIM_400000_NS6detail17trampoline_kernelINS0_14default_configENS1_25partition_config_selectorILNS1_17partition_subalgoE1EyNS0_10empty_typeEbEEZZNS1_14partition_implILS5_1ELb0ES3_jN6thrust23THRUST_200600_302600_NS6detail15normal_iteratorINSA_10device_ptrIyEEEEPS6_NSA_18transform_iteratorI7is_evenIyESF_NSA_11use_defaultESK_EENS0_5tupleIJSF_NSA_16discard_iteratorISK_EEEEENSM_IJSG_SG_EEES6_PlJS6_EEE10hipError_tPvRmT3_T4_T5_T6_T7_T9_mT8_P12ihipStream_tbDpT10_ENKUlT_T0_E_clISt17integral_constantIbLb0EES1A_IbLb1EEEEDaS16_S17_EUlS16_E_NS1_11comp_targetILNS1_3genE4ELNS1_11target_archE910ELNS1_3gpuE8ELNS1_3repE0EEENS1_30default_config_static_selectorELNS0_4arch9wavefront6targetE1EEEvT1_
	.p2align	8
	.type	_ZN7rocprim17ROCPRIM_400000_NS6detail17trampoline_kernelINS0_14default_configENS1_25partition_config_selectorILNS1_17partition_subalgoE1EyNS0_10empty_typeEbEEZZNS1_14partition_implILS5_1ELb0ES3_jN6thrust23THRUST_200600_302600_NS6detail15normal_iteratorINSA_10device_ptrIyEEEEPS6_NSA_18transform_iteratorI7is_evenIyESF_NSA_11use_defaultESK_EENS0_5tupleIJSF_NSA_16discard_iteratorISK_EEEEENSM_IJSG_SG_EEES6_PlJS6_EEE10hipError_tPvRmT3_T4_T5_T6_T7_T9_mT8_P12ihipStream_tbDpT10_ENKUlT_T0_E_clISt17integral_constantIbLb0EES1A_IbLb1EEEEDaS16_S17_EUlS16_E_NS1_11comp_targetILNS1_3genE4ELNS1_11target_archE910ELNS1_3gpuE8ELNS1_3repE0EEENS1_30default_config_static_selectorELNS0_4arch9wavefront6targetE1EEEvT1_,@function
_ZN7rocprim17ROCPRIM_400000_NS6detail17trampoline_kernelINS0_14default_configENS1_25partition_config_selectorILNS1_17partition_subalgoE1EyNS0_10empty_typeEbEEZZNS1_14partition_implILS5_1ELb0ES3_jN6thrust23THRUST_200600_302600_NS6detail15normal_iteratorINSA_10device_ptrIyEEEEPS6_NSA_18transform_iteratorI7is_evenIyESF_NSA_11use_defaultESK_EENS0_5tupleIJSF_NSA_16discard_iteratorISK_EEEEENSM_IJSG_SG_EEES6_PlJS6_EEE10hipError_tPvRmT3_T4_T5_T6_T7_T9_mT8_P12ihipStream_tbDpT10_ENKUlT_T0_E_clISt17integral_constantIbLb0EES1A_IbLb1EEEEDaS16_S17_EUlS16_E_NS1_11comp_targetILNS1_3genE4ELNS1_11target_archE910ELNS1_3gpuE8ELNS1_3repE0EEENS1_30default_config_static_selectorELNS0_4arch9wavefront6targetE1EEEvT1_: ; @_ZN7rocprim17ROCPRIM_400000_NS6detail17trampoline_kernelINS0_14default_configENS1_25partition_config_selectorILNS1_17partition_subalgoE1EyNS0_10empty_typeEbEEZZNS1_14partition_implILS5_1ELb0ES3_jN6thrust23THRUST_200600_302600_NS6detail15normal_iteratorINSA_10device_ptrIyEEEEPS6_NSA_18transform_iteratorI7is_evenIyESF_NSA_11use_defaultESK_EENS0_5tupleIJSF_NSA_16discard_iteratorISK_EEEEENSM_IJSG_SG_EEES6_PlJS6_EEE10hipError_tPvRmT3_T4_T5_T6_T7_T9_mT8_P12ihipStream_tbDpT10_ENKUlT_T0_E_clISt17integral_constantIbLb0EES1A_IbLb1EEEEDaS16_S17_EUlS16_E_NS1_11comp_targetILNS1_3genE4ELNS1_11target_archE910ELNS1_3gpuE8ELNS1_3repE0EEENS1_30default_config_static_selectorELNS0_4arch9wavefront6targetE1EEEvT1_
; %bb.0:
	.section	.rodata,"a",@progbits
	.p2align	6, 0x0
	.amdhsa_kernel _ZN7rocprim17ROCPRIM_400000_NS6detail17trampoline_kernelINS0_14default_configENS1_25partition_config_selectorILNS1_17partition_subalgoE1EyNS0_10empty_typeEbEEZZNS1_14partition_implILS5_1ELb0ES3_jN6thrust23THRUST_200600_302600_NS6detail15normal_iteratorINSA_10device_ptrIyEEEEPS6_NSA_18transform_iteratorI7is_evenIyESF_NSA_11use_defaultESK_EENS0_5tupleIJSF_NSA_16discard_iteratorISK_EEEEENSM_IJSG_SG_EEES6_PlJS6_EEE10hipError_tPvRmT3_T4_T5_T6_T7_T9_mT8_P12ihipStream_tbDpT10_ENKUlT_T0_E_clISt17integral_constantIbLb0EES1A_IbLb1EEEEDaS16_S17_EUlS16_E_NS1_11comp_targetILNS1_3genE4ELNS1_11target_archE910ELNS1_3gpuE8ELNS1_3repE0EEENS1_30default_config_static_selectorELNS0_4arch9wavefront6targetE1EEEvT1_
		.amdhsa_group_segment_fixed_size 0
		.amdhsa_private_segment_fixed_size 0
		.amdhsa_kernarg_size 152
		.amdhsa_user_sgpr_count 2
		.amdhsa_user_sgpr_dispatch_ptr 0
		.amdhsa_user_sgpr_queue_ptr 0
		.amdhsa_user_sgpr_kernarg_segment_ptr 1
		.amdhsa_user_sgpr_dispatch_id 0
		.amdhsa_user_sgpr_kernarg_preload_length 0
		.amdhsa_user_sgpr_kernarg_preload_offset 0
		.amdhsa_user_sgpr_private_segment_size 0
		.amdhsa_uses_dynamic_stack 0
		.amdhsa_enable_private_segment 0
		.amdhsa_system_sgpr_workgroup_id_x 1
		.amdhsa_system_sgpr_workgroup_id_y 0
		.amdhsa_system_sgpr_workgroup_id_z 0
		.amdhsa_system_sgpr_workgroup_info 0
		.amdhsa_system_vgpr_workitem_id 0
		.amdhsa_next_free_vgpr 1
		.amdhsa_next_free_sgpr 0
		.amdhsa_accum_offset 4
		.amdhsa_reserve_vcc 0
		.amdhsa_float_round_mode_32 0
		.amdhsa_float_round_mode_16_64 0
		.amdhsa_float_denorm_mode_32 3
		.amdhsa_float_denorm_mode_16_64 3
		.amdhsa_dx10_clamp 1
		.amdhsa_ieee_mode 1
		.amdhsa_fp16_overflow 0
		.amdhsa_tg_split 0
		.amdhsa_exception_fp_ieee_invalid_op 0
		.amdhsa_exception_fp_denorm_src 0
		.amdhsa_exception_fp_ieee_div_zero 0
		.amdhsa_exception_fp_ieee_overflow 0
		.amdhsa_exception_fp_ieee_underflow 0
		.amdhsa_exception_fp_ieee_inexact 0
		.amdhsa_exception_int_div_zero 0
	.end_amdhsa_kernel
	.section	.text._ZN7rocprim17ROCPRIM_400000_NS6detail17trampoline_kernelINS0_14default_configENS1_25partition_config_selectorILNS1_17partition_subalgoE1EyNS0_10empty_typeEbEEZZNS1_14partition_implILS5_1ELb0ES3_jN6thrust23THRUST_200600_302600_NS6detail15normal_iteratorINSA_10device_ptrIyEEEEPS6_NSA_18transform_iteratorI7is_evenIyESF_NSA_11use_defaultESK_EENS0_5tupleIJSF_NSA_16discard_iteratorISK_EEEEENSM_IJSG_SG_EEES6_PlJS6_EEE10hipError_tPvRmT3_T4_T5_T6_T7_T9_mT8_P12ihipStream_tbDpT10_ENKUlT_T0_E_clISt17integral_constantIbLb0EES1A_IbLb1EEEEDaS16_S17_EUlS16_E_NS1_11comp_targetILNS1_3genE4ELNS1_11target_archE910ELNS1_3gpuE8ELNS1_3repE0EEENS1_30default_config_static_selectorELNS0_4arch9wavefront6targetE1EEEvT1_,"axG",@progbits,_ZN7rocprim17ROCPRIM_400000_NS6detail17trampoline_kernelINS0_14default_configENS1_25partition_config_selectorILNS1_17partition_subalgoE1EyNS0_10empty_typeEbEEZZNS1_14partition_implILS5_1ELb0ES3_jN6thrust23THRUST_200600_302600_NS6detail15normal_iteratorINSA_10device_ptrIyEEEEPS6_NSA_18transform_iteratorI7is_evenIyESF_NSA_11use_defaultESK_EENS0_5tupleIJSF_NSA_16discard_iteratorISK_EEEEENSM_IJSG_SG_EEES6_PlJS6_EEE10hipError_tPvRmT3_T4_T5_T6_T7_T9_mT8_P12ihipStream_tbDpT10_ENKUlT_T0_E_clISt17integral_constantIbLb0EES1A_IbLb1EEEEDaS16_S17_EUlS16_E_NS1_11comp_targetILNS1_3genE4ELNS1_11target_archE910ELNS1_3gpuE8ELNS1_3repE0EEENS1_30default_config_static_selectorELNS0_4arch9wavefront6targetE1EEEvT1_,comdat
.Lfunc_end2933:
	.size	_ZN7rocprim17ROCPRIM_400000_NS6detail17trampoline_kernelINS0_14default_configENS1_25partition_config_selectorILNS1_17partition_subalgoE1EyNS0_10empty_typeEbEEZZNS1_14partition_implILS5_1ELb0ES3_jN6thrust23THRUST_200600_302600_NS6detail15normal_iteratorINSA_10device_ptrIyEEEEPS6_NSA_18transform_iteratorI7is_evenIyESF_NSA_11use_defaultESK_EENS0_5tupleIJSF_NSA_16discard_iteratorISK_EEEEENSM_IJSG_SG_EEES6_PlJS6_EEE10hipError_tPvRmT3_T4_T5_T6_T7_T9_mT8_P12ihipStream_tbDpT10_ENKUlT_T0_E_clISt17integral_constantIbLb0EES1A_IbLb1EEEEDaS16_S17_EUlS16_E_NS1_11comp_targetILNS1_3genE4ELNS1_11target_archE910ELNS1_3gpuE8ELNS1_3repE0EEENS1_30default_config_static_selectorELNS0_4arch9wavefront6targetE1EEEvT1_, .Lfunc_end2933-_ZN7rocprim17ROCPRIM_400000_NS6detail17trampoline_kernelINS0_14default_configENS1_25partition_config_selectorILNS1_17partition_subalgoE1EyNS0_10empty_typeEbEEZZNS1_14partition_implILS5_1ELb0ES3_jN6thrust23THRUST_200600_302600_NS6detail15normal_iteratorINSA_10device_ptrIyEEEEPS6_NSA_18transform_iteratorI7is_evenIyESF_NSA_11use_defaultESK_EENS0_5tupleIJSF_NSA_16discard_iteratorISK_EEEEENSM_IJSG_SG_EEES6_PlJS6_EEE10hipError_tPvRmT3_T4_T5_T6_T7_T9_mT8_P12ihipStream_tbDpT10_ENKUlT_T0_E_clISt17integral_constantIbLb0EES1A_IbLb1EEEEDaS16_S17_EUlS16_E_NS1_11comp_targetILNS1_3genE4ELNS1_11target_archE910ELNS1_3gpuE8ELNS1_3repE0EEENS1_30default_config_static_selectorELNS0_4arch9wavefront6targetE1EEEvT1_
                                        ; -- End function
	.section	.AMDGPU.csdata,"",@progbits
; Kernel info:
; codeLenInByte = 0
; NumSgprs: 6
; NumVgprs: 0
; NumAgprs: 0
; TotalNumVgprs: 0
; ScratchSize: 0
; MemoryBound: 0
; FloatMode: 240
; IeeeMode: 1
; LDSByteSize: 0 bytes/workgroup (compile time only)
; SGPRBlocks: 0
; VGPRBlocks: 0
; NumSGPRsForWavesPerEU: 6
; NumVGPRsForWavesPerEU: 1
; AccumOffset: 4
; Occupancy: 8
; WaveLimiterHint : 0
; COMPUTE_PGM_RSRC2:SCRATCH_EN: 0
; COMPUTE_PGM_RSRC2:USER_SGPR: 2
; COMPUTE_PGM_RSRC2:TRAP_HANDLER: 0
; COMPUTE_PGM_RSRC2:TGID_X_EN: 1
; COMPUTE_PGM_RSRC2:TGID_Y_EN: 0
; COMPUTE_PGM_RSRC2:TGID_Z_EN: 0
; COMPUTE_PGM_RSRC2:TIDIG_COMP_CNT: 0
; COMPUTE_PGM_RSRC3_GFX90A:ACCUM_OFFSET: 0
; COMPUTE_PGM_RSRC3_GFX90A:TG_SPLIT: 0
	.section	.text._ZN7rocprim17ROCPRIM_400000_NS6detail17trampoline_kernelINS0_14default_configENS1_25partition_config_selectorILNS1_17partition_subalgoE1EyNS0_10empty_typeEbEEZZNS1_14partition_implILS5_1ELb0ES3_jN6thrust23THRUST_200600_302600_NS6detail15normal_iteratorINSA_10device_ptrIyEEEEPS6_NSA_18transform_iteratorI7is_evenIyESF_NSA_11use_defaultESK_EENS0_5tupleIJSF_NSA_16discard_iteratorISK_EEEEENSM_IJSG_SG_EEES6_PlJS6_EEE10hipError_tPvRmT3_T4_T5_T6_T7_T9_mT8_P12ihipStream_tbDpT10_ENKUlT_T0_E_clISt17integral_constantIbLb0EES1A_IbLb1EEEEDaS16_S17_EUlS16_E_NS1_11comp_targetILNS1_3genE3ELNS1_11target_archE908ELNS1_3gpuE7ELNS1_3repE0EEENS1_30default_config_static_selectorELNS0_4arch9wavefront6targetE1EEEvT1_,"axG",@progbits,_ZN7rocprim17ROCPRIM_400000_NS6detail17trampoline_kernelINS0_14default_configENS1_25partition_config_selectorILNS1_17partition_subalgoE1EyNS0_10empty_typeEbEEZZNS1_14partition_implILS5_1ELb0ES3_jN6thrust23THRUST_200600_302600_NS6detail15normal_iteratorINSA_10device_ptrIyEEEEPS6_NSA_18transform_iteratorI7is_evenIyESF_NSA_11use_defaultESK_EENS0_5tupleIJSF_NSA_16discard_iteratorISK_EEEEENSM_IJSG_SG_EEES6_PlJS6_EEE10hipError_tPvRmT3_T4_T5_T6_T7_T9_mT8_P12ihipStream_tbDpT10_ENKUlT_T0_E_clISt17integral_constantIbLb0EES1A_IbLb1EEEEDaS16_S17_EUlS16_E_NS1_11comp_targetILNS1_3genE3ELNS1_11target_archE908ELNS1_3gpuE7ELNS1_3repE0EEENS1_30default_config_static_selectorELNS0_4arch9wavefront6targetE1EEEvT1_,comdat
	.protected	_ZN7rocprim17ROCPRIM_400000_NS6detail17trampoline_kernelINS0_14default_configENS1_25partition_config_selectorILNS1_17partition_subalgoE1EyNS0_10empty_typeEbEEZZNS1_14partition_implILS5_1ELb0ES3_jN6thrust23THRUST_200600_302600_NS6detail15normal_iteratorINSA_10device_ptrIyEEEEPS6_NSA_18transform_iteratorI7is_evenIyESF_NSA_11use_defaultESK_EENS0_5tupleIJSF_NSA_16discard_iteratorISK_EEEEENSM_IJSG_SG_EEES6_PlJS6_EEE10hipError_tPvRmT3_T4_T5_T6_T7_T9_mT8_P12ihipStream_tbDpT10_ENKUlT_T0_E_clISt17integral_constantIbLb0EES1A_IbLb1EEEEDaS16_S17_EUlS16_E_NS1_11comp_targetILNS1_3genE3ELNS1_11target_archE908ELNS1_3gpuE7ELNS1_3repE0EEENS1_30default_config_static_selectorELNS0_4arch9wavefront6targetE1EEEvT1_ ; -- Begin function _ZN7rocprim17ROCPRIM_400000_NS6detail17trampoline_kernelINS0_14default_configENS1_25partition_config_selectorILNS1_17partition_subalgoE1EyNS0_10empty_typeEbEEZZNS1_14partition_implILS5_1ELb0ES3_jN6thrust23THRUST_200600_302600_NS6detail15normal_iteratorINSA_10device_ptrIyEEEEPS6_NSA_18transform_iteratorI7is_evenIyESF_NSA_11use_defaultESK_EENS0_5tupleIJSF_NSA_16discard_iteratorISK_EEEEENSM_IJSG_SG_EEES6_PlJS6_EEE10hipError_tPvRmT3_T4_T5_T6_T7_T9_mT8_P12ihipStream_tbDpT10_ENKUlT_T0_E_clISt17integral_constantIbLb0EES1A_IbLb1EEEEDaS16_S17_EUlS16_E_NS1_11comp_targetILNS1_3genE3ELNS1_11target_archE908ELNS1_3gpuE7ELNS1_3repE0EEENS1_30default_config_static_selectorELNS0_4arch9wavefront6targetE1EEEvT1_
	.globl	_ZN7rocprim17ROCPRIM_400000_NS6detail17trampoline_kernelINS0_14default_configENS1_25partition_config_selectorILNS1_17partition_subalgoE1EyNS0_10empty_typeEbEEZZNS1_14partition_implILS5_1ELb0ES3_jN6thrust23THRUST_200600_302600_NS6detail15normal_iteratorINSA_10device_ptrIyEEEEPS6_NSA_18transform_iteratorI7is_evenIyESF_NSA_11use_defaultESK_EENS0_5tupleIJSF_NSA_16discard_iteratorISK_EEEEENSM_IJSG_SG_EEES6_PlJS6_EEE10hipError_tPvRmT3_T4_T5_T6_T7_T9_mT8_P12ihipStream_tbDpT10_ENKUlT_T0_E_clISt17integral_constantIbLb0EES1A_IbLb1EEEEDaS16_S17_EUlS16_E_NS1_11comp_targetILNS1_3genE3ELNS1_11target_archE908ELNS1_3gpuE7ELNS1_3repE0EEENS1_30default_config_static_selectorELNS0_4arch9wavefront6targetE1EEEvT1_
	.p2align	8
	.type	_ZN7rocprim17ROCPRIM_400000_NS6detail17trampoline_kernelINS0_14default_configENS1_25partition_config_selectorILNS1_17partition_subalgoE1EyNS0_10empty_typeEbEEZZNS1_14partition_implILS5_1ELb0ES3_jN6thrust23THRUST_200600_302600_NS6detail15normal_iteratorINSA_10device_ptrIyEEEEPS6_NSA_18transform_iteratorI7is_evenIyESF_NSA_11use_defaultESK_EENS0_5tupleIJSF_NSA_16discard_iteratorISK_EEEEENSM_IJSG_SG_EEES6_PlJS6_EEE10hipError_tPvRmT3_T4_T5_T6_T7_T9_mT8_P12ihipStream_tbDpT10_ENKUlT_T0_E_clISt17integral_constantIbLb0EES1A_IbLb1EEEEDaS16_S17_EUlS16_E_NS1_11comp_targetILNS1_3genE3ELNS1_11target_archE908ELNS1_3gpuE7ELNS1_3repE0EEENS1_30default_config_static_selectorELNS0_4arch9wavefront6targetE1EEEvT1_,@function
_ZN7rocprim17ROCPRIM_400000_NS6detail17trampoline_kernelINS0_14default_configENS1_25partition_config_selectorILNS1_17partition_subalgoE1EyNS0_10empty_typeEbEEZZNS1_14partition_implILS5_1ELb0ES3_jN6thrust23THRUST_200600_302600_NS6detail15normal_iteratorINSA_10device_ptrIyEEEEPS6_NSA_18transform_iteratorI7is_evenIyESF_NSA_11use_defaultESK_EENS0_5tupleIJSF_NSA_16discard_iteratorISK_EEEEENSM_IJSG_SG_EEES6_PlJS6_EEE10hipError_tPvRmT3_T4_T5_T6_T7_T9_mT8_P12ihipStream_tbDpT10_ENKUlT_T0_E_clISt17integral_constantIbLb0EES1A_IbLb1EEEEDaS16_S17_EUlS16_E_NS1_11comp_targetILNS1_3genE3ELNS1_11target_archE908ELNS1_3gpuE7ELNS1_3repE0EEENS1_30default_config_static_selectorELNS0_4arch9wavefront6targetE1EEEvT1_: ; @_ZN7rocprim17ROCPRIM_400000_NS6detail17trampoline_kernelINS0_14default_configENS1_25partition_config_selectorILNS1_17partition_subalgoE1EyNS0_10empty_typeEbEEZZNS1_14partition_implILS5_1ELb0ES3_jN6thrust23THRUST_200600_302600_NS6detail15normal_iteratorINSA_10device_ptrIyEEEEPS6_NSA_18transform_iteratorI7is_evenIyESF_NSA_11use_defaultESK_EENS0_5tupleIJSF_NSA_16discard_iteratorISK_EEEEENSM_IJSG_SG_EEES6_PlJS6_EEE10hipError_tPvRmT3_T4_T5_T6_T7_T9_mT8_P12ihipStream_tbDpT10_ENKUlT_T0_E_clISt17integral_constantIbLb0EES1A_IbLb1EEEEDaS16_S17_EUlS16_E_NS1_11comp_targetILNS1_3genE3ELNS1_11target_archE908ELNS1_3gpuE7ELNS1_3repE0EEENS1_30default_config_static_selectorELNS0_4arch9wavefront6targetE1EEEvT1_
; %bb.0:
	.section	.rodata,"a",@progbits
	.p2align	6, 0x0
	.amdhsa_kernel _ZN7rocprim17ROCPRIM_400000_NS6detail17trampoline_kernelINS0_14default_configENS1_25partition_config_selectorILNS1_17partition_subalgoE1EyNS0_10empty_typeEbEEZZNS1_14partition_implILS5_1ELb0ES3_jN6thrust23THRUST_200600_302600_NS6detail15normal_iteratorINSA_10device_ptrIyEEEEPS6_NSA_18transform_iteratorI7is_evenIyESF_NSA_11use_defaultESK_EENS0_5tupleIJSF_NSA_16discard_iteratorISK_EEEEENSM_IJSG_SG_EEES6_PlJS6_EEE10hipError_tPvRmT3_T4_T5_T6_T7_T9_mT8_P12ihipStream_tbDpT10_ENKUlT_T0_E_clISt17integral_constantIbLb0EES1A_IbLb1EEEEDaS16_S17_EUlS16_E_NS1_11comp_targetILNS1_3genE3ELNS1_11target_archE908ELNS1_3gpuE7ELNS1_3repE0EEENS1_30default_config_static_selectorELNS0_4arch9wavefront6targetE1EEEvT1_
		.amdhsa_group_segment_fixed_size 0
		.amdhsa_private_segment_fixed_size 0
		.amdhsa_kernarg_size 152
		.amdhsa_user_sgpr_count 2
		.amdhsa_user_sgpr_dispatch_ptr 0
		.amdhsa_user_sgpr_queue_ptr 0
		.amdhsa_user_sgpr_kernarg_segment_ptr 1
		.amdhsa_user_sgpr_dispatch_id 0
		.amdhsa_user_sgpr_kernarg_preload_length 0
		.amdhsa_user_sgpr_kernarg_preload_offset 0
		.amdhsa_user_sgpr_private_segment_size 0
		.amdhsa_uses_dynamic_stack 0
		.amdhsa_enable_private_segment 0
		.amdhsa_system_sgpr_workgroup_id_x 1
		.amdhsa_system_sgpr_workgroup_id_y 0
		.amdhsa_system_sgpr_workgroup_id_z 0
		.amdhsa_system_sgpr_workgroup_info 0
		.amdhsa_system_vgpr_workitem_id 0
		.amdhsa_next_free_vgpr 1
		.amdhsa_next_free_sgpr 0
		.amdhsa_accum_offset 4
		.amdhsa_reserve_vcc 0
		.amdhsa_float_round_mode_32 0
		.amdhsa_float_round_mode_16_64 0
		.amdhsa_float_denorm_mode_32 3
		.amdhsa_float_denorm_mode_16_64 3
		.amdhsa_dx10_clamp 1
		.amdhsa_ieee_mode 1
		.amdhsa_fp16_overflow 0
		.amdhsa_tg_split 0
		.amdhsa_exception_fp_ieee_invalid_op 0
		.amdhsa_exception_fp_denorm_src 0
		.amdhsa_exception_fp_ieee_div_zero 0
		.amdhsa_exception_fp_ieee_overflow 0
		.amdhsa_exception_fp_ieee_underflow 0
		.amdhsa_exception_fp_ieee_inexact 0
		.amdhsa_exception_int_div_zero 0
	.end_amdhsa_kernel
	.section	.text._ZN7rocprim17ROCPRIM_400000_NS6detail17trampoline_kernelINS0_14default_configENS1_25partition_config_selectorILNS1_17partition_subalgoE1EyNS0_10empty_typeEbEEZZNS1_14partition_implILS5_1ELb0ES3_jN6thrust23THRUST_200600_302600_NS6detail15normal_iteratorINSA_10device_ptrIyEEEEPS6_NSA_18transform_iteratorI7is_evenIyESF_NSA_11use_defaultESK_EENS0_5tupleIJSF_NSA_16discard_iteratorISK_EEEEENSM_IJSG_SG_EEES6_PlJS6_EEE10hipError_tPvRmT3_T4_T5_T6_T7_T9_mT8_P12ihipStream_tbDpT10_ENKUlT_T0_E_clISt17integral_constantIbLb0EES1A_IbLb1EEEEDaS16_S17_EUlS16_E_NS1_11comp_targetILNS1_3genE3ELNS1_11target_archE908ELNS1_3gpuE7ELNS1_3repE0EEENS1_30default_config_static_selectorELNS0_4arch9wavefront6targetE1EEEvT1_,"axG",@progbits,_ZN7rocprim17ROCPRIM_400000_NS6detail17trampoline_kernelINS0_14default_configENS1_25partition_config_selectorILNS1_17partition_subalgoE1EyNS0_10empty_typeEbEEZZNS1_14partition_implILS5_1ELb0ES3_jN6thrust23THRUST_200600_302600_NS6detail15normal_iteratorINSA_10device_ptrIyEEEEPS6_NSA_18transform_iteratorI7is_evenIyESF_NSA_11use_defaultESK_EENS0_5tupleIJSF_NSA_16discard_iteratorISK_EEEEENSM_IJSG_SG_EEES6_PlJS6_EEE10hipError_tPvRmT3_T4_T5_T6_T7_T9_mT8_P12ihipStream_tbDpT10_ENKUlT_T0_E_clISt17integral_constantIbLb0EES1A_IbLb1EEEEDaS16_S17_EUlS16_E_NS1_11comp_targetILNS1_3genE3ELNS1_11target_archE908ELNS1_3gpuE7ELNS1_3repE0EEENS1_30default_config_static_selectorELNS0_4arch9wavefront6targetE1EEEvT1_,comdat
.Lfunc_end2934:
	.size	_ZN7rocprim17ROCPRIM_400000_NS6detail17trampoline_kernelINS0_14default_configENS1_25partition_config_selectorILNS1_17partition_subalgoE1EyNS0_10empty_typeEbEEZZNS1_14partition_implILS5_1ELb0ES3_jN6thrust23THRUST_200600_302600_NS6detail15normal_iteratorINSA_10device_ptrIyEEEEPS6_NSA_18transform_iteratorI7is_evenIyESF_NSA_11use_defaultESK_EENS0_5tupleIJSF_NSA_16discard_iteratorISK_EEEEENSM_IJSG_SG_EEES6_PlJS6_EEE10hipError_tPvRmT3_T4_T5_T6_T7_T9_mT8_P12ihipStream_tbDpT10_ENKUlT_T0_E_clISt17integral_constantIbLb0EES1A_IbLb1EEEEDaS16_S17_EUlS16_E_NS1_11comp_targetILNS1_3genE3ELNS1_11target_archE908ELNS1_3gpuE7ELNS1_3repE0EEENS1_30default_config_static_selectorELNS0_4arch9wavefront6targetE1EEEvT1_, .Lfunc_end2934-_ZN7rocprim17ROCPRIM_400000_NS6detail17trampoline_kernelINS0_14default_configENS1_25partition_config_selectorILNS1_17partition_subalgoE1EyNS0_10empty_typeEbEEZZNS1_14partition_implILS5_1ELb0ES3_jN6thrust23THRUST_200600_302600_NS6detail15normal_iteratorINSA_10device_ptrIyEEEEPS6_NSA_18transform_iteratorI7is_evenIyESF_NSA_11use_defaultESK_EENS0_5tupleIJSF_NSA_16discard_iteratorISK_EEEEENSM_IJSG_SG_EEES6_PlJS6_EEE10hipError_tPvRmT3_T4_T5_T6_T7_T9_mT8_P12ihipStream_tbDpT10_ENKUlT_T0_E_clISt17integral_constantIbLb0EES1A_IbLb1EEEEDaS16_S17_EUlS16_E_NS1_11comp_targetILNS1_3genE3ELNS1_11target_archE908ELNS1_3gpuE7ELNS1_3repE0EEENS1_30default_config_static_selectorELNS0_4arch9wavefront6targetE1EEEvT1_
                                        ; -- End function
	.section	.AMDGPU.csdata,"",@progbits
; Kernel info:
; codeLenInByte = 0
; NumSgprs: 6
; NumVgprs: 0
; NumAgprs: 0
; TotalNumVgprs: 0
; ScratchSize: 0
; MemoryBound: 0
; FloatMode: 240
; IeeeMode: 1
; LDSByteSize: 0 bytes/workgroup (compile time only)
; SGPRBlocks: 0
; VGPRBlocks: 0
; NumSGPRsForWavesPerEU: 6
; NumVGPRsForWavesPerEU: 1
; AccumOffset: 4
; Occupancy: 8
; WaveLimiterHint : 0
; COMPUTE_PGM_RSRC2:SCRATCH_EN: 0
; COMPUTE_PGM_RSRC2:USER_SGPR: 2
; COMPUTE_PGM_RSRC2:TRAP_HANDLER: 0
; COMPUTE_PGM_RSRC2:TGID_X_EN: 1
; COMPUTE_PGM_RSRC2:TGID_Y_EN: 0
; COMPUTE_PGM_RSRC2:TGID_Z_EN: 0
; COMPUTE_PGM_RSRC2:TIDIG_COMP_CNT: 0
; COMPUTE_PGM_RSRC3_GFX90A:ACCUM_OFFSET: 0
; COMPUTE_PGM_RSRC3_GFX90A:TG_SPLIT: 0
	.section	.text._ZN7rocprim17ROCPRIM_400000_NS6detail17trampoline_kernelINS0_14default_configENS1_25partition_config_selectorILNS1_17partition_subalgoE1EyNS0_10empty_typeEbEEZZNS1_14partition_implILS5_1ELb0ES3_jN6thrust23THRUST_200600_302600_NS6detail15normal_iteratorINSA_10device_ptrIyEEEEPS6_NSA_18transform_iteratorI7is_evenIyESF_NSA_11use_defaultESK_EENS0_5tupleIJSF_NSA_16discard_iteratorISK_EEEEENSM_IJSG_SG_EEES6_PlJS6_EEE10hipError_tPvRmT3_T4_T5_T6_T7_T9_mT8_P12ihipStream_tbDpT10_ENKUlT_T0_E_clISt17integral_constantIbLb0EES1A_IbLb1EEEEDaS16_S17_EUlS16_E_NS1_11comp_targetILNS1_3genE2ELNS1_11target_archE906ELNS1_3gpuE6ELNS1_3repE0EEENS1_30default_config_static_selectorELNS0_4arch9wavefront6targetE1EEEvT1_,"axG",@progbits,_ZN7rocprim17ROCPRIM_400000_NS6detail17trampoline_kernelINS0_14default_configENS1_25partition_config_selectorILNS1_17partition_subalgoE1EyNS0_10empty_typeEbEEZZNS1_14partition_implILS5_1ELb0ES3_jN6thrust23THRUST_200600_302600_NS6detail15normal_iteratorINSA_10device_ptrIyEEEEPS6_NSA_18transform_iteratorI7is_evenIyESF_NSA_11use_defaultESK_EENS0_5tupleIJSF_NSA_16discard_iteratorISK_EEEEENSM_IJSG_SG_EEES6_PlJS6_EEE10hipError_tPvRmT3_T4_T5_T6_T7_T9_mT8_P12ihipStream_tbDpT10_ENKUlT_T0_E_clISt17integral_constantIbLb0EES1A_IbLb1EEEEDaS16_S17_EUlS16_E_NS1_11comp_targetILNS1_3genE2ELNS1_11target_archE906ELNS1_3gpuE6ELNS1_3repE0EEENS1_30default_config_static_selectorELNS0_4arch9wavefront6targetE1EEEvT1_,comdat
	.protected	_ZN7rocprim17ROCPRIM_400000_NS6detail17trampoline_kernelINS0_14default_configENS1_25partition_config_selectorILNS1_17partition_subalgoE1EyNS0_10empty_typeEbEEZZNS1_14partition_implILS5_1ELb0ES3_jN6thrust23THRUST_200600_302600_NS6detail15normal_iteratorINSA_10device_ptrIyEEEEPS6_NSA_18transform_iteratorI7is_evenIyESF_NSA_11use_defaultESK_EENS0_5tupleIJSF_NSA_16discard_iteratorISK_EEEEENSM_IJSG_SG_EEES6_PlJS6_EEE10hipError_tPvRmT3_T4_T5_T6_T7_T9_mT8_P12ihipStream_tbDpT10_ENKUlT_T0_E_clISt17integral_constantIbLb0EES1A_IbLb1EEEEDaS16_S17_EUlS16_E_NS1_11comp_targetILNS1_3genE2ELNS1_11target_archE906ELNS1_3gpuE6ELNS1_3repE0EEENS1_30default_config_static_selectorELNS0_4arch9wavefront6targetE1EEEvT1_ ; -- Begin function _ZN7rocprim17ROCPRIM_400000_NS6detail17trampoline_kernelINS0_14default_configENS1_25partition_config_selectorILNS1_17partition_subalgoE1EyNS0_10empty_typeEbEEZZNS1_14partition_implILS5_1ELb0ES3_jN6thrust23THRUST_200600_302600_NS6detail15normal_iteratorINSA_10device_ptrIyEEEEPS6_NSA_18transform_iteratorI7is_evenIyESF_NSA_11use_defaultESK_EENS0_5tupleIJSF_NSA_16discard_iteratorISK_EEEEENSM_IJSG_SG_EEES6_PlJS6_EEE10hipError_tPvRmT3_T4_T5_T6_T7_T9_mT8_P12ihipStream_tbDpT10_ENKUlT_T0_E_clISt17integral_constantIbLb0EES1A_IbLb1EEEEDaS16_S17_EUlS16_E_NS1_11comp_targetILNS1_3genE2ELNS1_11target_archE906ELNS1_3gpuE6ELNS1_3repE0EEENS1_30default_config_static_selectorELNS0_4arch9wavefront6targetE1EEEvT1_
	.globl	_ZN7rocprim17ROCPRIM_400000_NS6detail17trampoline_kernelINS0_14default_configENS1_25partition_config_selectorILNS1_17partition_subalgoE1EyNS0_10empty_typeEbEEZZNS1_14partition_implILS5_1ELb0ES3_jN6thrust23THRUST_200600_302600_NS6detail15normal_iteratorINSA_10device_ptrIyEEEEPS6_NSA_18transform_iteratorI7is_evenIyESF_NSA_11use_defaultESK_EENS0_5tupleIJSF_NSA_16discard_iteratorISK_EEEEENSM_IJSG_SG_EEES6_PlJS6_EEE10hipError_tPvRmT3_T4_T5_T6_T7_T9_mT8_P12ihipStream_tbDpT10_ENKUlT_T0_E_clISt17integral_constantIbLb0EES1A_IbLb1EEEEDaS16_S17_EUlS16_E_NS1_11comp_targetILNS1_3genE2ELNS1_11target_archE906ELNS1_3gpuE6ELNS1_3repE0EEENS1_30default_config_static_selectorELNS0_4arch9wavefront6targetE1EEEvT1_
	.p2align	8
	.type	_ZN7rocprim17ROCPRIM_400000_NS6detail17trampoline_kernelINS0_14default_configENS1_25partition_config_selectorILNS1_17partition_subalgoE1EyNS0_10empty_typeEbEEZZNS1_14partition_implILS5_1ELb0ES3_jN6thrust23THRUST_200600_302600_NS6detail15normal_iteratorINSA_10device_ptrIyEEEEPS6_NSA_18transform_iteratorI7is_evenIyESF_NSA_11use_defaultESK_EENS0_5tupleIJSF_NSA_16discard_iteratorISK_EEEEENSM_IJSG_SG_EEES6_PlJS6_EEE10hipError_tPvRmT3_T4_T5_T6_T7_T9_mT8_P12ihipStream_tbDpT10_ENKUlT_T0_E_clISt17integral_constantIbLb0EES1A_IbLb1EEEEDaS16_S17_EUlS16_E_NS1_11comp_targetILNS1_3genE2ELNS1_11target_archE906ELNS1_3gpuE6ELNS1_3repE0EEENS1_30default_config_static_selectorELNS0_4arch9wavefront6targetE1EEEvT1_,@function
_ZN7rocprim17ROCPRIM_400000_NS6detail17trampoline_kernelINS0_14default_configENS1_25partition_config_selectorILNS1_17partition_subalgoE1EyNS0_10empty_typeEbEEZZNS1_14partition_implILS5_1ELb0ES3_jN6thrust23THRUST_200600_302600_NS6detail15normal_iteratorINSA_10device_ptrIyEEEEPS6_NSA_18transform_iteratorI7is_evenIyESF_NSA_11use_defaultESK_EENS0_5tupleIJSF_NSA_16discard_iteratorISK_EEEEENSM_IJSG_SG_EEES6_PlJS6_EEE10hipError_tPvRmT3_T4_T5_T6_T7_T9_mT8_P12ihipStream_tbDpT10_ENKUlT_T0_E_clISt17integral_constantIbLb0EES1A_IbLb1EEEEDaS16_S17_EUlS16_E_NS1_11comp_targetILNS1_3genE2ELNS1_11target_archE906ELNS1_3gpuE6ELNS1_3repE0EEENS1_30default_config_static_selectorELNS0_4arch9wavefront6targetE1EEEvT1_: ; @_ZN7rocprim17ROCPRIM_400000_NS6detail17trampoline_kernelINS0_14default_configENS1_25partition_config_selectorILNS1_17partition_subalgoE1EyNS0_10empty_typeEbEEZZNS1_14partition_implILS5_1ELb0ES3_jN6thrust23THRUST_200600_302600_NS6detail15normal_iteratorINSA_10device_ptrIyEEEEPS6_NSA_18transform_iteratorI7is_evenIyESF_NSA_11use_defaultESK_EENS0_5tupleIJSF_NSA_16discard_iteratorISK_EEEEENSM_IJSG_SG_EEES6_PlJS6_EEE10hipError_tPvRmT3_T4_T5_T6_T7_T9_mT8_P12ihipStream_tbDpT10_ENKUlT_T0_E_clISt17integral_constantIbLb0EES1A_IbLb1EEEEDaS16_S17_EUlS16_E_NS1_11comp_targetILNS1_3genE2ELNS1_11target_archE906ELNS1_3gpuE6ELNS1_3repE0EEENS1_30default_config_static_selectorELNS0_4arch9wavefront6targetE1EEEvT1_
; %bb.0:
	.section	.rodata,"a",@progbits
	.p2align	6, 0x0
	.amdhsa_kernel _ZN7rocprim17ROCPRIM_400000_NS6detail17trampoline_kernelINS0_14default_configENS1_25partition_config_selectorILNS1_17partition_subalgoE1EyNS0_10empty_typeEbEEZZNS1_14partition_implILS5_1ELb0ES3_jN6thrust23THRUST_200600_302600_NS6detail15normal_iteratorINSA_10device_ptrIyEEEEPS6_NSA_18transform_iteratorI7is_evenIyESF_NSA_11use_defaultESK_EENS0_5tupleIJSF_NSA_16discard_iteratorISK_EEEEENSM_IJSG_SG_EEES6_PlJS6_EEE10hipError_tPvRmT3_T4_T5_T6_T7_T9_mT8_P12ihipStream_tbDpT10_ENKUlT_T0_E_clISt17integral_constantIbLb0EES1A_IbLb1EEEEDaS16_S17_EUlS16_E_NS1_11comp_targetILNS1_3genE2ELNS1_11target_archE906ELNS1_3gpuE6ELNS1_3repE0EEENS1_30default_config_static_selectorELNS0_4arch9wavefront6targetE1EEEvT1_
		.amdhsa_group_segment_fixed_size 0
		.amdhsa_private_segment_fixed_size 0
		.amdhsa_kernarg_size 152
		.amdhsa_user_sgpr_count 2
		.amdhsa_user_sgpr_dispatch_ptr 0
		.amdhsa_user_sgpr_queue_ptr 0
		.amdhsa_user_sgpr_kernarg_segment_ptr 1
		.amdhsa_user_sgpr_dispatch_id 0
		.amdhsa_user_sgpr_kernarg_preload_length 0
		.amdhsa_user_sgpr_kernarg_preload_offset 0
		.amdhsa_user_sgpr_private_segment_size 0
		.amdhsa_uses_dynamic_stack 0
		.amdhsa_enable_private_segment 0
		.amdhsa_system_sgpr_workgroup_id_x 1
		.amdhsa_system_sgpr_workgroup_id_y 0
		.amdhsa_system_sgpr_workgroup_id_z 0
		.amdhsa_system_sgpr_workgroup_info 0
		.amdhsa_system_vgpr_workitem_id 0
		.amdhsa_next_free_vgpr 1
		.amdhsa_next_free_sgpr 0
		.amdhsa_accum_offset 4
		.amdhsa_reserve_vcc 0
		.amdhsa_float_round_mode_32 0
		.amdhsa_float_round_mode_16_64 0
		.amdhsa_float_denorm_mode_32 3
		.amdhsa_float_denorm_mode_16_64 3
		.amdhsa_dx10_clamp 1
		.amdhsa_ieee_mode 1
		.amdhsa_fp16_overflow 0
		.amdhsa_tg_split 0
		.amdhsa_exception_fp_ieee_invalid_op 0
		.amdhsa_exception_fp_denorm_src 0
		.amdhsa_exception_fp_ieee_div_zero 0
		.amdhsa_exception_fp_ieee_overflow 0
		.amdhsa_exception_fp_ieee_underflow 0
		.amdhsa_exception_fp_ieee_inexact 0
		.amdhsa_exception_int_div_zero 0
	.end_amdhsa_kernel
	.section	.text._ZN7rocprim17ROCPRIM_400000_NS6detail17trampoline_kernelINS0_14default_configENS1_25partition_config_selectorILNS1_17partition_subalgoE1EyNS0_10empty_typeEbEEZZNS1_14partition_implILS5_1ELb0ES3_jN6thrust23THRUST_200600_302600_NS6detail15normal_iteratorINSA_10device_ptrIyEEEEPS6_NSA_18transform_iteratorI7is_evenIyESF_NSA_11use_defaultESK_EENS0_5tupleIJSF_NSA_16discard_iteratorISK_EEEEENSM_IJSG_SG_EEES6_PlJS6_EEE10hipError_tPvRmT3_T4_T5_T6_T7_T9_mT8_P12ihipStream_tbDpT10_ENKUlT_T0_E_clISt17integral_constantIbLb0EES1A_IbLb1EEEEDaS16_S17_EUlS16_E_NS1_11comp_targetILNS1_3genE2ELNS1_11target_archE906ELNS1_3gpuE6ELNS1_3repE0EEENS1_30default_config_static_selectorELNS0_4arch9wavefront6targetE1EEEvT1_,"axG",@progbits,_ZN7rocprim17ROCPRIM_400000_NS6detail17trampoline_kernelINS0_14default_configENS1_25partition_config_selectorILNS1_17partition_subalgoE1EyNS0_10empty_typeEbEEZZNS1_14partition_implILS5_1ELb0ES3_jN6thrust23THRUST_200600_302600_NS6detail15normal_iteratorINSA_10device_ptrIyEEEEPS6_NSA_18transform_iteratorI7is_evenIyESF_NSA_11use_defaultESK_EENS0_5tupleIJSF_NSA_16discard_iteratorISK_EEEEENSM_IJSG_SG_EEES6_PlJS6_EEE10hipError_tPvRmT3_T4_T5_T6_T7_T9_mT8_P12ihipStream_tbDpT10_ENKUlT_T0_E_clISt17integral_constantIbLb0EES1A_IbLb1EEEEDaS16_S17_EUlS16_E_NS1_11comp_targetILNS1_3genE2ELNS1_11target_archE906ELNS1_3gpuE6ELNS1_3repE0EEENS1_30default_config_static_selectorELNS0_4arch9wavefront6targetE1EEEvT1_,comdat
.Lfunc_end2935:
	.size	_ZN7rocprim17ROCPRIM_400000_NS6detail17trampoline_kernelINS0_14default_configENS1_25partition_config_selectorILNS1_17partition_subalgoE1EyNS0_10empty_typeEbEEZZNS1_14partition_implILS5_1ELb0ES3_jN6thrust23THRUST_200600_302600_NS6detail15normal_iteratorINSA_10device_ptrIyEEEEPS6_NSA_18transform_iteratorI7is_evenIyESF_NSA_11use_defaultESK_EENS0_5tupleIJSF_NSA_16discard_iteratorISK_EEEEENSM_IJSG_SG_EEES6_PlJS6_EEE10hipError_tPvRmT3_T4_T5_T6_T7_T9_mT8_P12ihipStream_tbDpT10_ENKUlT_T0_E_clISt17integral_constantIbLb0EES1A_IbLb1EEEEDaS16_S17_EUlS16_E_NS1_11comp_targetILNS1_3genE2ELNS1_11target_archE906ELNS1_3gpuE6ELNS1_3repE0EEENS1_30default_config_static_selectorELNS0_4arch9wavefront6targetE1EEEvT1_, .Lfunc_end2935-_ZN7rocprim17ROCPRIM_400000_NS6detail17trampoline_kernelINS0_14default_configENS1_25partition_config_selectorILNS1_17partition_subalgoE1EyNS0_10empty_typeEbEEZZNS1_14partition_implILS5_1ELb0ES3_jN6thrust23THRUST_200600_302600_NS6detail15normal_iteratorINSA_10device_ptrIyEEEEPS6_NSA_18transform_iteratorI7is_evenIyESF_NSA_11use_defaultESK_EENS0_5tupleIJSF_NSA_16discard_iteratorISK_EEEEENSM_IJSG_SG_EEES6_PlJS6_EEE10hipError_tPvRmT3_T4_T5_T6_T7_T9_mT8_P12ihipStream_tbDpT10_ENKUlT_T0_E_clISt17integral_constantIbLb0EES1A_IbLb1EEEEDaS16_S17_EUlS16_E_NS1_11comp_targetILNS1_3genE2ELNS1_11target_archE906ELNS1_3gpuE6ELNS1_3repE0EEENS1_30default_config_static_selectorELNS0_4arch9wavefront6targetE1EEEvT1_
                                        ; -- End function
	.section	.AMDGPU.csdata,"",@progbits
; Kernel info:
; codeLenInByte = 0
; NumSgprs: 6
; NumVgprs: 0
; NumAgprs: 0
; TotalNumVgprs: 0
; ScratchSize: 0
; MemoryBound: 0
; FloatMode: 240
; IeeeMode: 1
; LDSByteSize: 0 bytes/workgroup (compile time only)
; SGPRBlocks: 0
; VGPRBlocks: 0
; NumSGPRsForWavesPerEU: 6
; NumVGPRsForWavesPerEU: 1
; AccumOffset: 4
; Occupancy: 8
; WaveLimiterHint : 0
; COMPUTE_PGM_RSRC2:SCRATCH_EN: 0
; COMPUTE_PGM_RSRC2:USER_SGPR: 2
; COMPUTE_PGM_RSRC2:TRAP_HANDLER: 0
; COMPUTE_PGM_RSRC2:TGID_X_EN: 1
; COMPUTE_PGM_RSRC2:TGID_Y_EN: 0
; COMPUTE_PGM_RSRC2:TGID_Z_EN: 0
; COMPUTE_PGM_RSRC2:TIDIG_COMP_CNT: 0
; COMPUTE_PGM_RSRC3_GFX90A:ACCUM_OFFSET: 0
; COMPUTE_PGM_RSRC3_GFX90A:TG_SPLIT: 0
	.section	.text._ZN7rocprim17ROCPRIM_400000_NS6detail17trampoline_kernelINS0_14default_configENS1_25partition_config_selectorILNS1_17partition_subalgoE1EyNS0_10empty_typeEbEEZZNS1_14partition_implILS5_1ELb0ES3_jN6thrust23THRUST_200600_302600_NS6detail15normal_iteratorINSA_10device_ptrIyEEEEPS6_NSA_18transform_iteratorI7is_evenIyESF_NSA_11use_defaultESK_EENS0_5tupleIJSF_NSA_16discard_iteratorISK_EEEEENSM_IJSG_SG_EEES6_PlJS6_EEE10hipError_tPvRmT3_T4_T5_T6_T7_T9_mT8_P12ihipStream_tbDpT10_ENKUlT_T0_E_clISt17integral_constantIbLb0EES1A_IbLb1EEEEDaS16_S17_EUlS16_E_NS1_11comp_targetILNS1_3genE10ELNS1_11target_archE1200ELNS1_3gpuE4ELNS1_3repE0EEENS1_30default_config_static_selectorELNS0_4arch9wavefront6targetE1EEEvT1_,"axG",@progbits,_ZN7rocprim17ROCPRIM_400000_NS6detail17trampoline_kernelINS0_14default_configENS1_25partition_config_selectorILNS1_17partition_subalgoE1EyNS0_10empty_typeEbEEZZNS1_14partition_implILS5_1ELb0ES3_jN6thrust23THRUST_200600_302600_NS6detail15normal_iteratorINSA_10device_ptrIyEEEEPS6_NSA_18transform_iteratorI7is_evenIyESF_NSA_11use_defaultESK_EENS0_5tupleIJSF_NSA_16discard_iteratorISK_EEEEENSM_IJSG_SG_EEES6_PlJS6_EEE10hipError_tPvRmT3_T4_T5_T6_T7_T9_mT8_P12ihipStream_tbDpT10_ENKUlT_T0_E_clISt17integral_constantIbLb0EES1A_IbLb1EEEEDaS16_S17_EUlS16_E_NS1_11comp_targetILNS1_3genE10ELNS1_11target_archE1200ELNS1_3gpuE4ELNS1_3repE0EEENS1_30default_config_static_selectorELNS0_4arch9wavefront6targetE1EEEvT1_,comdat
	.protected	_ZN7rocprim17ROCPRIM_400000_NS6detail17trampoline_kernelINS0_14default_configENS1_25partition_config_selectorILNS1_17partition_subalgoE1EyNS0_10empty_typeEbEEZZNS1_14partition_implILS5_1ELb0ES3_jN6thrust23THRUST_200600_302600_NS6detail15normal_iteratorINSA_10device_ptrIyEEEEPS6_NSA_18transform_iteratorI7is_evenIyESF_NSA_11use_defaultESK_EENS0_5tupleIJSF_NSA_16discard_iteratorISK_EEEEENSM_IJSG_SG_EEES6_PlJS6_EEE10hipError_tPvRmT3_T4_T5_T6_T7_T9_mT8_P12ihipStream_tbDpT10_ENKUlT_T0_E_clISt17integral_constantIbLb0EES1A_IbLb1EEEEDaS16_S17_EUlS16_E_NS1_11comp_targetILNS1_3genE10ELNS1_11target_archE1200ELNS1_3gpuE4ELNS1_3repE0EEENS1_30default_config_static_selectorELNS0_4arch9wavefront6targetE1EEEvT1_ ; -- Begin function _ZN7rocprim17ROCPRIM_400000_NS6detail17trampoline_kernelINS0_14default_configENS1_25partition_config_selectorILNS1_17partition_subalgoE1EyNS0_10empty_typeEbEEZZNS1_14partition_implILS5_1ELb0ES3_jN6thrust23THRUST_200600_302600_NS6detail15normal_iteratorINSA_10device_ptrIyEEEEPS6_NSA_18transform_iteratorI7is_evenIyESF_NSA_11use_defaultESK_EENS0_5tupleIJSF_NSA_16discard_iteratorISK_EEEEENSM_IJSG_SG_EEES6_PlJS6_EEE10hipError_tPvRmT3_T4_T5_T6_T7_T9_mT8_P12ihipStream_tbDpT10_ENKUlT_T0_E_clISt17integral_constantIbLb0EES1A_IbLb1EEEEDaS16_S17_EUlS16_E_NS1_11comp_targetILNS1_3genE10ELNS1_11target_archE1200ELNS1_3gpuE4ELNS1_3repE0EEENS1_30default_config_static_selectorELNS0_4arch9wavefront6targetE1EEEvT1_
	.globl	_ZN7rocprim17ROCPRIM_400000_NS6detail17trampoline_kernelINS0_14default_configENS1_25partition_config_selectorILNS1_17partition_subalgoE1EyNS0_10empty_typeEbEEZZNS1_14partition_implILS5_1ELb0ES3_jN6thrust23THRUST_200600_302600_NS6detail15normal_iteratorINSA_10device_ptrIyEEEEPS6_NSA_18transform_iteratorI7is_evenIyESF_NSA_11use_defaultESK_EENS0_5tupleIJSF_NSA_16discard_iteratorISK_EEEEENSM_IJSG_SG_EEES6_PlJS6_EEE10hipError_tPvRmT3_T4_T5_T6_T7_T9_mT8_P12ihipStream_tbDpT10_ENKUlT_T0_E_clISt17integral_constantIbLb0EES1A_IbLb1EEEEDaS16_S17_EUlS16_E_NS1_11comp_targetILNS1_3genE10ELNS1_11target_archE1200ELNS1_3gpuE4ELNS1_3repE0EEENS1_30default_config_static_selectorELNS0_4arch9wavefront6targetE1EEEvT1_
	.p2align	8
	.type	_ZN7rocprim17ROCPRIM_400000_NS6detail17trampoline_kernelINS0_14default_configENS1_25partition_config_selectorILNS1_17partition_subalgoE1EyNS0_10empty_typeEbEEZZNS1_14partition_implILS5_1ELb0ES3_jN6thrust23THRUST_200600_302600_NS6detail15normal_iteratorINSA_10device_ptrIyEEEEPS6_NSA_18transform_iteratorI7is_evenIyESF_NSA_11use_defaultESK_EENS0_5tupleIJSF_NSA_16discard_iteratorISK_EEEEENSM_IJSG_SG_EEES6_PlJS6_EEE10hipError_tPvRmT3_T4_T5_T6_T7_T9_mT8_P12ihipStream_tbDpT10_ENKUlT_T0_E_clISt17integral_constantIbLb0EES1A_IbLb1EEEEDaS16_S17_EUlS16_E_NS1_11comp_targetILNS1_3genE10ELNS1_11target_archE1200ELNS1_3gpuE4ELNS1_3repE0EEENS1_30default_config_static_selectorELNS0_4arch9wavefront6targetE1EEEvT1_,@function
_ZN7rocprim17ROCPRIM_400000_NS6detail17trampoline_kernelINS0_14default_configENS1_25partition_config_selectorILNS1_17partition_subalgoE1EyNS0_10empty_typeEbEEZZNS1_14partition_implILS5_1ELb0ES3_jN6thrust23THRUST_200600_302600_NS6detail15normal_iteratorINSA_10device_ptrIyEEEEPS6_NSA_18transform_iteratorI7is_evenIyESF_NSA_11use_defaultESK_EENS0_5tupleIJSF_NSA_16discard_iteratorISK_EEEEENSM_IJSG_SG_EEES6_PlJS6_EEE10hipError_tPvRmT3_T4_T5_T6_T7_T9_mT8_P12ihipStream_tbDpT10_ENKUlT_T0_E_clISt17integral_constantIbLb0EES1A_IbLb1EEEEDaS16_S17_EUlS16_E_NS1_11comp_targetILNS1_3genE10ELNS1_11target_archE1200ELNS1_3gpuE4ELNS1_3repE0EEENS1_30default_config_static_selectorELNS0_4arch9wavefront6targetE1EEEvT1_: ; @_ZN7rocprim17ROCPRIM_400000_NS6detail17trampoline_kernelINS0_14default_configENS1_25partition_config_selectorILNS1_17partition_subalgoE1EyNS0_10empty_typeEbEEZZNS1_14partition_implILS5_1ELb0ES3_jN6thrust23THRUST_200600_302600_NS6detail15normal_iteratorINSA_10device_ptrIyEEEEPS6_NSA_18transform_iteratorI7is_evenIyESF_NSA_11use_defaultESK_EENS0_5tupleIJSF_NSA_16discard_iteratorISK_EEEEENSM_IJSG_SG_EEES6_PlJS6_EEE10hipError_tPvRmT3_T4_T5_T6_T7_T9_mT8_P12ihipStream_tbDpT10_ENKUlT_T0_E_clISt17integral_constantIbLb0EES1A_IbLb1EEEEDaS16_S17_EUlS16_E_NS1_11comp_targetILNS1_3genE10ELNS1_11target_archE1200ELNS1_3gpuE4ELNS1_3repE0EEENS1_30default_config_static_selectorELNS0_4arch9wavefront6targetE1EEEvT1_
; %bb.0:
	.section	.rodata,"a",@progbits
	.p2align	6, 0x0
	.amdhsa_kernel _ZN7rocprim17ROCPRIM_400000_NS6detail17trampoline_kernelINS0_14default_configENS1_25partition_config_selectorILNS1_17partition_subalgoE1EyNS0_10empty_typeEbEEZZNS1_14partition_implILS5_1ELb0ES3_jN6thrust23THRUST_200600_302600_NS6detail15normal_iteratorINSA_10device_ptrIyEEEEPS6_NSA_18transform_iteratorI7is_evenIyESF_NSA_11use_defaultESK_EENS0_5tupleIJSF_NSA_16discard_iteratorISK_EEEEENSM_IJSG_SG_EEES6_PlJS6_EEE10hipError_tPvRmT3_T4_T5_T6_T7_T9_mT8_P12ihipStream_tbDpT10_ENKUlT_T0_E_clISt17integral_constantIbLb0EES1A_IbLb1EEEEDaS16_S17_EUlS16_E_NS1_11comp_targetILNS1_3genE10ELNS1_11target_archE1200ELNS1_3gpuE4ELNS1_3repE0EEENS1_30default_config_static_selectorELNS0_4arch9wavefront6targetE1EEEvT1_
		.amdhsa_group_segment_fixed_size 0
		.amdhsa_private_segment_fixed_size 0
		.amdhsa_kernarg_size 152
		.amdhsa_user_sgpr_count 2
		.amdhsa_user_sgpr_dispatch_ptr 0
		.amdhsa_user_sgpr_queue_ptr 0
		.amdhsa_user_sgpr_kernarg_segment_ptr 1
		.amdhsa_user_sgpr_dispatch_id 0
		.amdhsa_user_sgpr_kernarg_preload_length 0
		.amdhsa_user_sgpr_kernarg_preload_offset 0
		.amdhsa_user_sgpr_private_segment_size 0
		.amdhsa_uses_dynamic_stack 0
		.amdhsa_enable_private_segment 0
		.amdhsa_system_sgpr_workgroup_id_x 1
		.amdhsa_system_sgpr_workgroup_id_y 0
		.amdhsa_system_sgpr_workgroup_id_z 0
		.amdhsa_system_sgpr_workgroup_info 0
		.amdhsa_system_vgpr_workitem_id 0
		.amdhsa_next_free_vgpr 1
		.amdhsa_next_free_sgpr 0
		.amdhsa_accum_offset 4
		.amdhsa_reserve_vcc 0
		.amdhsa_float_round_mode_32 0
		.amdhsa_float_round_mode_16_64 0
		.amdhsa_float_denorm_mode_32 3
		.amdhsa_float_denorm_mode_16_64 3
		.amdhsa_dx10_clamp 1
		.amdhsa_ieee_mode 1
		.amdhsa_fp16_overflow 0
		.amdhsa_tg_split 0
		.amdhsa_exception_fp_ieee_invalid_op 0
		.amdhsa_exception_fp_denorm_src 0
		.amdhsa_exception_fp_ieee_div_zero 0
		.amdhsa_exception_fp_ieee_overflow 0
		.amdhsa_exception_fp_ieee_underflow 0
		.amdhsa_exception_fp_ieee_inexact 0
		.amdhsa_exception_int_div_zero 0
	.end_amdhsa_kernel
	.section	.text._ZN7rocprim17ROCPRIM_400000_NS6detail17trampoline_kernelINS0_14default_configENS1_25partition_config_selectorILNS1_17partition_subalgoE1EyNS0_10empty_typeEbEEZZNS1_14partition_implILS5_1ELb0ES3_jN6thrust23THRUST_200600_302600_NS6detail15normal_iteratorINSA_10device_ptrIyEEEEPS6_NSA_18transform_iteratorI7is_evenIyESF_NSA_11use_defaultESK_EENS0_5tupleIJSF_NSA_16discard_iteratorISK_EEEEENSM_IJSG_SG_EEES6_PlJS6_EEE10hipError_tPvRmT3_T4_T5_T6_T7_T9_mT8_P12ihipStream_tbDpT10_ENKUlT_T0_E_clISt17integral_constantIbLb0EES1A_IbLb1EEEEDaS16_S17_EUlS16_E_NS1_11comp_targetILNS1_3genE10ELNS1_11target_archE1200ELNS1_3gpuE4ELNS1_3repE0EEENS1_30default_config_static_selectorELNS0_4arch9wavefront6targetE1EEEvT1_,"axG",@progbits,_ZN7rocprim17ROCPRIM_400000_NS6detail17trampoline_kernelINS0_14default_configENS1_25partition_config_selectorILNS1_17partition_subalgoE1EyNS0_10empty_typeEbEEZZNS1_14partition_implILS5_1ELb0ES3_jN6thrust23THRUST_200600_302600_NS6detail15normal_iteratorINSA_10device_ptrIyEEEEPS6_NSA_18transform_iteratorI7is_evenIyESF_NSA_11use_defaultESK_EENS0_5tupleIJSF_NSA_16discard_iteratorISK_EEEEENSM_IJSG_SG_EEES6_PlJS6_EEE10hipError_tPvRmT3_T4_T5_T6_T7_T9_mT8_P12ihipStream_tbDpT10_ENKUlT_T0_E_clISt17integral_constantIbLb0EES1A_IbLb1EEEEDaS16_S17_EUlS16_E_NS1_11comp_targetILNS1_3genE10ELNS1_11target_archE1200ELNS1_3gpuE4ELNS1_3repE0EEENS1_30default_config_static_selectorELNS0_4arch9wavefront6targetE1EEEvT1_,comdat
.Lfunc_end2936:
	.size	_ZN7rocprim17ROCPRIM_400000_NS6detail17trampoline_kernelINS0_14default_configENS1_25partition_config_selectorILNS1_17partition_subalgoE1EyNS0_10empty_typeEbEEZZNS1_14partition_implILS5_1ELb0ES3_jN6thrust23THRUST_200600_302600_NS6detail15normal_iteratorINSA_10device_ptrIyEEEEPS6_NSA_18transform_iteratorI7is_evenIyESF_NSA_11use_defaultESK_EENS0_5tupleIJSF_NSA_16discard_iteratorISK_EEEEENSM_IJSG_SG_EEES6_PlJS6_EEE10hipError_tPvRmT3_T4_T5_T6_T7_T9_mT8_P12ihipStream_tbDpT10_ENKUlT_T0_E_clISt17integral_constantIbLb0EES1A_IbLb1EEEEDaS16_S17_EUlS16_E_NS1_11comp_targetILNS1_3genE10ELNS1_11target_archE1200ELNS1_3gpuE4ELNS1_3repE0EEENS1_30default_config_static_selectorELNS0_4arch9wavefront6targetE1EEEvT1_, .Lfunc_end2936-_ZN7rocprim17ROCPRIM_400000_NS6detail17trampoline_kernelINS0_14default_configENS1_25partition_config_selectorILNS1_17partition_subalgoE1EyNS0_10empty_typeEbEEZZNS1_14partition_implILS5_1ELb0ES3_jN6thrust23THRUST_200600_302600_NS6detail15normal_iteratorINSA_10device_ptrIyEEEEPS6_NSA_18transform_iteratorI7is_evenIyESF_NSA_11use_defaultESK_EENS0_5tupleIJSF_NSA_16discard_iteratorISK_EEEEENSM_IJSG_SG_EEES6_PlJS6_EEE10hipError_tPvRmT3_T4_T5_T6_T7_T9_mT8_P12ihipStream_tbDpT10_ENKUlT_T0_E_clISt17integral_constantIbLb0EES1A_IbLb1EEEEDaS16_S17_EUlS16_E_NS1_11comp_targetILNS1_3genE10ELNS1_11target_archE1200ELNS1_3gpuE4ELNS1_3repE0EEENS1_30default_config_static_selectorELNS0_4arch9wavefront6targetE1EEEvT1_
                                        ; -- End function
	.section	.AMDGPU.csdata,"",@progbits
; Kernel info:
; codeLenInByte = 0
; NumSgprs: 6
; NumVgprs: 0
; NumAgprs: 0
; TotalNumVgprs: 0
; ScratchSize: 0
; MemoryBound: 0
; FloatMode: 240
; IeeeMode: 1
; LDSByteSize: 0 bytes/workgroup (compile time only)
; SGPRBlocks: 0
; VGPRBlocks: 0
; NumSGPRsForWavesPerEU: 6
; NumVGPRsForWavesPerEU: 1
; AccumOffset: 4
; Occupancy: 8
; WaveLimiterHint : 0
; COMPUTE_PGM_RSRC2:SCRATCH_EN: 0
; COMPUTE_PGM_RSRC2:USER_SGPR: 2
; COMPUTE_PGM_RSRC2:TRAP_HANDLER: 0
; COMPUTE_PGM_RSRC2:TGID_X_EN: 1
; COMPUTE_PGM_RSRC2:TGID_Y_EN: 0
; COMPUTE_PGM_RSRC2:TGID_Z_EN: 0
; COMPUTE_PGM_RSRC2:TIDIG_COMP_CNT: 0
; COMPUTE_PGM_RSRC3_GFX90A:ACCUM_OFFSET: 0
; COMPUTE_PGM_RSRC3_GFX90A:TG_SPLIT: 0
	.section	.text._ZN7rocprim17ROCPRIM_400000_NS6detail17trampoline_kernelINS0_14default_configENS1_25partition_config_selectorILNS1_17partition_subalgoE1EyNS0_10empty_typeEbEEZZNS1_14partition_implILS5_1ELb0ES3_jN6thrust23THRUST_200600_302600_NS6detail15normal_iteratorINSA_10device_ptrIyEEEEPS6_NSA_18transform_iteratorI7is_evenIyESF_NSA_11use_defaultESK_EENS0_5tupleIJSF_NSA_16discard_iteratorISK_EEEEENSM_IJSG_SG_EEES6_PlJS6_EEE10hipError_tPvRmT3_T4_T5_T6_T7_T9_mT8_P12ihipStream_tbDpT10_ENKUlT_T0_E_clISt17integral_constantIbLb0EES1A_IbLb1EEEEDaS16_S17_EUlS16_E_NS1_11comp_targetILNS1_3genE9ELNS1_11target_archE1100ELNS1_3gpuE3ELNS1_3repE0EEENS1_30default_config_static_selectorELNS0_4arch9wavefront6targetE1EEEvT1_,"axG",@progbits,_ZN7rocprim17ROCPRIM_400000_NS6detail17trampoline_kernelINS0_14default_configENS1_25partition_config_selectorILNS1_17partition_subalgoE1EyNS0_10empty_typeEbEEZZNS1_14partition_implILS5_1ELb0ES3_jN6thrust23THRUST_200600_302600_NS6detail15normal_iteratorINSA_10device_ptrIyEEEEPS6_NSA_18transform_iteratorI7is_evenIyESF_NSA_11use_defaultESK_EENS0_5tupleIJSF_NSA_16discard_iteratorISK_EEEEENSM_IJSG_SG_EEES6_PlJS6_EEE10hipError_tPvRmT3_T4_T5_T6_T7_T9_mT8_P12ihipStream_tbDpT10_ENKUlT_T0_E_clISt17integral_constantIbLb0EES1A_IbLb1EEEEDaS16_S17_EUlS16_E_NS1_11comp_targetILNS1_3genE9ELNS1_11target_archE1100ELNS1_3gpuE3ELNS1_3repE0EEENS1_30default_config_static_selectorELNS0_4arch9wavefront6targetE1EEEvT1_,comdat
	.protected	_ZN7rocprim17ROCPRIM_400000_NS6detail17trampoline_kernelINS0_14default_configENS1_25partition_config_selectorILNS1_17partition_subalgoE1EyNS0_10empty_typeEbEEZZNS1_14partition_implILS5_1ELb0ES3_jN6thrust23THRUST_200600_302600_NS6detail15normal_iteratorINSA_10device_ptrIyEEEEPS6_NSA_18transform_iteratorI7is_evenIyESF_NSA_11use_defaultESK_EENS0_5tupleIJSF_NSA_16discard_iteratorISK_EEEEENSM_IJSG_SG_EEES6_PlJS6_EEE10hipError_tPvRmT3_T4_T5_T6_T7_T9_mT8_P12ihipStream_tbDpT10_ENKUlT_T0_E_clISt17integral_constantIbLb0EES1A_IbLb1EEEEDaS16_S17_EUlS16_E_NS1_11comp_targetILNS1_3genE9ELNS1_11target_archE1100ELNS1_3gpuE3ELNS1_3repE0EEENS1_30default_config_static_selectorELNS0_4arch9wavefront6targetE1EEEvT1_ ; -- Begin function _ZN7rocprim17ROCPRIM_400000_NS6detail17trampoline_kernelINS0_14default_configENS1_25partition_config_selectorILNS1_17partition_subalgoE1EyNS0_10empty_typeEbEEZZNS1_14partition_implILS5_1ELb0ES3_jN6thrust23THRUST_200600_302600_NS6detail15normal_iteratorINSA_10device_ptrIyEEEEPS6_NSA_18transform_iteratorI7is_evenIyESF_NSA_11use_defaultESK_EENS0_5tupleIJSF_NSA_16discard_iteratorISK_EEEEENSM_IJSG_SG_EEES6_PlJS6_EEE10hipError_tPvRmT3_T4_T5_T6_T7_T9_mT8_P12ihipStream_tbDpT10_ENKUlT_T0_E_clISt17integral_constantIbLb0EES1A_IbLb1EEEEDaS16_S17_EUlS16_E_NS1_11comp_targetILNS1_3genE9ELNS1_11target_archE1100ELNS1_3gpuE3ELNS1_3repE0EEENS1_30default_config_static_selectorELNS0_4arch9wavefront6targetE1EEEvT1_
	.globl	_ZN7rocprim17ROCPRIM_400000_NS6detail17trampoline_kernelINS0_14default_configENS1_25partition_config_selectorILNS1_17partition_subalgoE1EyNS0_10empty_typeEbEEZZNS1_14partition_implILS5_1ELb0ES3_jN6thrust23THRUST_200600_302600_NS6detail15normal_iteratorINSA_10device_ptrIyEEEEPS6_NSA_18transform_iteratorI7is_evenIyESF_NSA_11use_defaultESK_EENS0_5tupleIJSF_NSA_16discard_iteratorISK_EEEEENSM_IJSG_SG_EEES6_PlJS6_EEE10hipError_tPvRmT3_T4_T5_T6_T7_T9_mT8_P12ihipStream_tbDpT10_ENKUlT_T0_E_clISt17integral_constantIbLb0EES1A_IbLb1EEEEDaS16_S17_EUlS16_E_NS1_11comp_targetILNS1_3genE9ELNS1_11target_archE1100ELNS1_3gpuE3ELNS1_3repE0EEENS1_30default_config_static_selectorELNS0_4arch9wavefront6targetE1EEEvT1_
	.p2align	8
	.type	_ZN7rocprim17ROCPRIM_400000_NS6detail17trampoline_kernelINS0_14default_configENS1_25partition_config_selectorILNS1_17partition_subalgoE1EyNS0_10empty_typeEbEEZZNS1_14partition_implILS5_1ELb0ES3_jN6thrust23THRUST_200600_302600_NS6detail15normal_iteratorINSA_10device_ptrIyEEEEPS6_NSA_18transform_iteratorI7is_evenIyESF_NSA_11use_defaultESK_EENS0_5tupleIJSF_NSA_16discard_iteratorISK_EEEEENSM_IJSG_SG_EEES6_PlJS6_EEE10hipError_tPvRmT3_T4_T5_T6_T7_T9_mT8_P12ihipStream_tbDpT10_ENKUlT_T0_E_clISt17integral_constantIbLb0EES1A_IbLb1EEEEDaS16_S17_EUlS16_E_NS1_11comp_targetILNS1_3genE9ELNS1_11target_archE1100ELNS1_3gpuE3ELNS1_3repE0EEENS1_30default_config_static_selectorELNS0_4arch9wavefront6targetE1EEEvT1_,@function
_ZN7rocprim17ROCPRIM_400000_NS6detail17trampoline_kernelINS0_14default_configENS1_25partition_config_selectorILNS1_17partition_subalgoE1EyNS0_10empty_typeEbEEZZNS1_14partition_implILS5_1ELb0ES3_jN6thrust23THRUST_200600_302600_NS6detail15normal_iteratorINSA_10device_ptrIyEEEEPS6_NSA_18transform_iteratorI7is_evenIyESF_NSA_11use_defaultESK_EENS0_5tupleIJSF_NSA_16discard_iteratorISK_EEEEENSM_IJSG_SG_EEES6_PlJS6_EEE10hipError_tPvRmT3_T4_T5_T6_T7_T9_mT8_P12ihipStream_tbDpT10_ENKUlT_T0_E_clISt17integral_constantIbLb0EES1A_IbLb1EEEEDaS16_S17_EUlS16_E_NS1_11comp_targetILNS1_3genE9ELNS1_11target_archE1100ELNS1_3gpuE3ELNS1_3repE0EEENS1_30default_config_static_selectorELNS0_4arch9wavefront6targetE1EEEvT1_: ; @_ZN7rocprim17ROCPRIM_400000_NS6detail17trampoline_kernelINS0_14default_configENS1_25partition_config_selectorILNS1_17partition_subalgoE1EyNS0_10empty_typeEbEEZZNS1_14partition_implILS5_1ELb0ES3_jN6thrust23THRUST_200600_302600_NS6detail15normal_iteratorINSA_10device_ptrIyEEEEPS6_NSA_18transform_iteratorI7is_evenIyESF_NSA_11use_defaultESK_EENS0_5tupleIJSF_NSA_16discard_iteratorISK_EEEEENSM_IJSG_SG_EEES6_PlJS6_EEE10hipError_tPvRmT3_T4_T5_T6_T7_T9_mT8_P12ihipStream_tbDpT10_ENKUlT_T0_E_clISt17integral_constantIbLb0EES1A_IbLb1EEEEDaS16_S17_EUlS16_E_NS1_11comp_targetILNS1_3genE9ELNS1_11target_archE1100ELNS1_3gpuE3ELNS1_3repE0EEENS1_30default_config_static_selectorELNS0_4arch9wavefront6targetE1EEEvT1_
; %bb.0:
	.section	.rodata,"a",@progbits
	.p2align	6, 0x0
	.amdhsa_kernel _ZN7rocprim17ROCPRIM_400000_NS6detail17trampoline_kernelINS0_14default_configENS1_25partition_config_selectorILNS1_17partition_subalgoE1EyNS0_10empty_typeEbEEZZNS1_14partition_implILS5_1ELb0ES3_jN6thrust23THRUST_200600_302600_NS6detail15normal_iteratorINSA_10device_ptrIyEEEEPS6_NSA_18transform_iteratorI7is_evenIyESF_NSA_11use_defaultESK_EENS0_5tupleIJSF_NSA_16discard_iteratorISK_EEEEENSM_IJSG_SG_EEES6_PlJS6_EEE10hipError_tPvRmT3_T4_T5_T6_T7_T9_mT8_P12ihipStream_tbDpT10_ENKUlT_T0_E_clISt17integral_constantIbLb0EES1A_IbLb1EEEEDaS16_S17_EUlS16_E_NS1_11comp_targetILNS1_3genE9ELNS1_11target_archE1100ELNS1_3gpuE3ELNS1_3repE0EEENS1_30default_config_static_selectorELNS0_4arch9wavefront6targetE1EEEvT1_
		.amdhsa_group_segment_fixed_size 0
		.amdhsa_private_segment_fixed_size 0
		.amdhsa_kernarg_size 152
		.amdhsa_user_sgpr_count 2
		.amdhsa_user_sgpr_dispatch_ptr 0
		.amdhsa_user_sgpr_queue_ptr 0
		.amdhsa_user_sgpr_kernarg_segment_ptr 1
		.amdhsa_user_sgpr_dispatch_id 0
		.amdhsa_user_sgpr_kernarg_preload_length 0
		.amdhsa_user_sgpr_kernarg_preload_offset 0
		.amdhsa_user_sgpr_private_segment_size 0
		.amdhsa_uses_dynamic_stack 0
		.amdhsa_enable_private_segment 0
		.amdhsa_system_sgpr_workgroup_id_x 1
		.amdhsa_system_sgpr_workgroup_id_y 0
		.amdhsa_system_sgpr_workgroup_id_z 0
		.amdhsa_system_sgpr_workgroup_info 0
		.amdhsa_system_vgpr_workitem_id 0
		.amdhsa_next_free_vgpr 1
		.amdhsa_next_free_sgpr 0
		.amdhsa_accum_offset 4
		.amdhsa_reserve_vcc 0
		.amdhsa_float_round_mode_32 0
		.amdhsa_float_round_mode_16_64 0
		.amdhsa_float_denorm_mode_32 3
		.amdhsa_float_denorm_mode_16_64 3
		.amdhsa_dx10_clamp 1
		.amdhsa_ieee_mode 1
		.amdhsa_fp16_overflow 0
		.amdhsa_tg_split 0
		.amdhsa_exception_fp_ieee_invalid_op 0
		.amdhsa_exception_fp_denorm_src 0
		.amdhsa_exception_fp_ieee_div_zero 0
		.amdhsa_exception_fp_ieee_overflow 0
		.amdhsa_exception_fp_ieee_underflow 0
		.amdhsa_exception_fp_ieee_inexact 0
		.amdhsa_exception_int_div_zero 0
	.end_amdhsa_kernel
	.section	.text._ZN7rocprim17ROCPRIM_400000_NS6detail17trampoline_kernelINS0_14default_configENS1_25partition_config_selectorILNS1_17partition_subalgoE1EyNS0_10empty_typeEbEEZZNS1_14partition_implILS5_1ELb0ES3_jN6thrust23THRUST_200600_302600_NS6detail15normal_iteratorINSA_10device_ptrIyEEEEPS6_NSA_18transform_iteratorI7is_evenIyESF_NSA_11use_defaultESK_EENS0_5tupleIJSF_NSA_16discard_iteratorISK_EEEEENSM_IJSG_SG_EEES6_PlJS6_EEE10hipError_tPvRmT3_T4_T5_T6_T7_T9_mT8_P12ihipStream_tbDpT10_ENKUlT_T0_E_clISt17integral_constantIbLb0EES1A_IbLb1EEEEDaS16_S17_EUlS16_E_NS1_11comp_targetILNS1_3genE9ELNS1_11target_archE1100ELNS1_3gpuE3ELNS1_3repE0EEENS1_30default_config_static_selectorELNS0_4arch9wavefront6targetE1EEEvT1_,"axG",@progbits,_ZN7rocprim17ROCPRIM_400000_NS6detail17trampoline_kernelINS0_14default_configENS1_25partition_config_selectorILNS1_17partition_subalgoE1EyNS0_10empty_typeEbEEZZNS1_14partition_implILS5_1ELb0ES3_jN6thrust23THRUST_200600_302600_NS6detail15normal_iteratorINSA_10device_ptrIyEEEEPS6_NSA_18transform_iteratorI7is_evenIyESF_NSA_11use_defaultESK_EENS0_5tupleIJSF_NSA_16discard_iteratorISK_EEEEENSM_IJSG_SG_EEES6_PlJS6_EEE10hipError_tPvRmT3_T4_T5_T6_T7_T9_mT8_P12ihipStream_tbDpT10_ENKUlT_T0_E_clISt17integral_constantIbLb0EES1A_IbLb1EEEEDaS16_S17_EUlS16_E_NS1_11comp_targetILNS1_3genE9ELNS1_11target_archE1100ELNS1_3gpuE3ELNS1_3repE0EEENS1_30default_config_static_selectorELNS0_4arch9wavefront6targetE1EEEvT1_,comdat
.Lfunc_end2937:
	.size	_ZN7rocprim17ROCPRIM_400000_NS6detail17trampoline_kernelINS0_14default_configENS1_25partition_config_selectorILNS1_17partition_subalgoE1EyNS0_10empty_typeEbEEZZNS1_14partition_implILS5_1ELb0ES3_jN6thrust23THRUST_200600_302600_NS6detail15normal_iteratorINSA_10device_ptrIyEEEEPS6_NSA_18transform_iteratorI7is_evenIyESF_NSA_11use_defaultESK_EENS0_5tupleIJSF_NSA_16discard_iteratorISK_EEEEENSM_IJSG_SG_EEES6_PlJS6_EEE10hipError_tPvRmT3_T4_T5_T6_T7_T9_mT8_P12ihipStream_tbDpT10_ENKUlT_T0_E_clISt17integral_constantIbLb0EES1A_IbLb1EEEEDaS16_S17_EUlS16_E_NS1_11comp_targetILNS1_3genE9ELNS1_11target_archE1100ELNS1_3gpuE3ELNS1_3repE0EEENS1_30default_config_static_selectorELNS0_4arch9wavefront6targetE1EEEvT1_, .Lfunc_end2937-_ZN7rocprim17ROCPRIM_400000_NS6detail17trampoline_kernelINS0_14default_configENS1_25partition_config_selectorILNS1_17partition_subalgoE1EyNS0_10empty_typeEbEEZZNS1_14partition_implILS5_1ELb0ES3_jN6thrust23THRUST_200600_302600_NS6detail15normal_iteratorINSA_10device_ptrIyEEEEPS6_NSA_18transform_iteratorI7is_evenIyESF_NSA_11use_defaultESK_EENS0_5tupleIJSF_NSA_16discard_iteratorISK_EEEEENSM_IJSG_SG_EEES6_PlJS6_EEE10hipError_tPvRmT3_T4_T5_T6_T7_T9_mT8_P12ihipStream_tbDpT10_ENKUlT_T0_E_clISt17integral_constantIbLb0EES1A_IbLb1EEEEDaS16_S17_EUlS16_E_NS1_11comp_targetILNS1_3genE9ELNS1_11target_archE1100ELNS1_3gpuE3ELNS1_3repE0EEENS1_30default_config_static_selectorELNS0_4arch9wavefront6targetE1EEEvT1_
                                        ; -- End function
	.section	.AMDGPU.csdata,"",@progbits
; Kernel info:
; codeLenInByte = 0
; NumSgprs: 6
; NumVgprs: 0
; NumAgprs: 0
; TotalNumVgprs: 0
; ScratchSize: 0
; MemoryBound: 0
; FloatMode: 240
; IeeeMode: 1
; LDSByteSize: 0 bytes/workgroup (compile time only)
; SGPRBlocks: 0
; VGPRBlocks: 0
; NumSGPRsForWavesPerEU: 6
; NumVGPRsForWavesPerEU: 1
; AccumOffset: 4
; Occupancy: 8
; WaveLimiterHint : 0
; COMPUTE_PGM_RSRC2:SCRATCH_EN: 0
; COMPUTE_PGM_RSRC2:USER_SGPR: 2
; COMPUTE_PGM_RSRC2:TRAP_HANDLER: 0
; COMPUTE_PGM_RSRC2:TGID_X_EN: 1
; COMPUTE_PGM_RSRC2:TGID_Y_EN: 0
; COMPUTE_PGM_RSRC2:TGID_Z_EN: 0
; COMPUTE_PGM_RSRC2:TIDIG_COMP_CNT: 0
; COMPUTE_PGM_RSRC3_GFX90A:ACCUM_OFFSET: 0
; COMPUTE_PGM_RSRC3_GFX90A:TG_SPLIT: 0
	.section	.text._ZN7rocprim17ROCPRIM_400000_NS6detail17trampoline_kernelINS0_14default_configENS1_25partition_config_selectorILNS1_17partition_subalgoE1EyNS0_10empty_typeEbEEZZNS1_14partition_implILS5_1ELb0ES3_jN6thrust23THRUST_200600_302600_NS6detail15normal_iteratorINSA_10device_ptrIyEEEEPS6_NSA_18transform_iteratorI7is_evenIyESF_NSA_11use_defaultESK_EENS0_5tupleIJSF_NSA_16discard_iteratorISK_EEEEENSM_IJSG_SG_EEES6_PlJS6_EEE10hipError_tPvRmT3_T4_T5_T6_T7_T9_mT8_P12ihipStream_tbDpT10_ENKUlT_T0_E_clISt17integral_constantIbLb0EES1A_IbLb1EEEEDaS16_S17_EUlS16_E_NS1_11comp_targetILNS1_3genE8ELNS1_11target_archE1030ELNS1_3gpuE2ELNS1_3repE0EEENS1_30default_config_static_selectorELNS0_4arch9wavefront6targetE1EEEvT1_,"axG",@progbits,_ZN7rocprim17ROCPRIM_400000_NS6detail17trampoline_kernelINS0_14default_configENS1_25partition_config_selectorILNS1_17partition_subalgoE1EyNS0_10empty_typeEbEEZZNS1_14partition_implILS5_1ELb0ES3_jN6thrust23THRUST_200600_302600_NS6detail15normal_iteratorINSA_10device_ptrIyEEEEPS6_NSA_18transform_iteratorI7is_evenIyESF_NSA_11use_defaultESK_EENS0_5tupleIJSF_NSA_16discard_iteratorISK_EEEEENSM_IJSG_SG_EEES6_PlJS6_EEE10hipError_tPvRmT3_T4_T5_T6_T7_T9_mT8_P12ihipStream_tbDpT10_ENKUlT_T0_E_clISt17integral_constantIbLb0EES1A_IbLb1EEEEDaS16_S17_EUlS16_E_NS1_11comp_targetILNS1_3genE8ELNS1_11target_archE1030ELNS1_3gpuE2ELNS1_3repE0EEENS1_30default_config_static_selectorELNS0_4arch9wavefront6targetE1EEEvT1_,comdat
	.protected	_ZN7rocprim17ROCPRIM_400000_NS6detail17trampoline_kernelINS0_14default_configENS1_25partition_config_selectorILNS1_17partition_subalgoE1EyNS0_10empty_typeEbEEZZNS1_14partition_implILS5_1ELb0ES3_jN6thrust23THRUST_200600_302600_NS6detail15normal_iteratorINSA_10device_ptrIyEEEEPS6_NSA_18transform_iteratorI7is_evenIyESF_NSA_11use_defaultESK_EENS0_5tupleIJSF_NSA_16discard_iteratorISK_EEEEENSM_IJSG_SG_EEES6_PlJS6_EEE10hipError_tPvRmT3_T4_T5_T6_T7_T9_mT8_P12ihipStream_tbDpT10_ENKUlT_T0_E_clISt17integral_constantIbLb0EES1A_IbLb1EEEEDaS16_S17_EUlS16_E_NS1_11comp_targetILNS1_3genE8ELNS1_11target_archE1030ELNS1_3gpuE2ELNS1_3repE0EEENS1_30default_config_static_selectorELNS0_4arch9wavefront6targetE1EEEvT1_ ; -- Begin function _ZN7rocprim17ROCPRIM_400000_NS6detail17trampoline_kernelINS0_14default_configENS1_25partition_config_selectorILNS1_17partition_subalgoE1EyNS0_10empty_typeEbEEZZNS1_14partition_implILS5_1ELb0ES3_jN6thrust23THRUST_200600_302600_NS6detail15normal_iteratorINSA_10device_ptrIyEEEEPS6_NSA_18transform_iteratorI7is_evenIyESF_NSA_11use_defaultESK_EENS0_5tupleIJSF_NSA_16discard_iteratorISK_EEEEENSM_IJSG_SG_EEES6_PlJS6_EEE10hipError_tPvRmT3_T4_T5_T6_T7_T9_mT8_P12ihipStream_tbDpT10_ENKUlT_T0_E_clISt17integral_constantIbLb0EES1A_IbLb1EEEEDaS16_S17_EUlS16_E_NS1_11comp_targetILNS1_3genE8ELNS1_11target_archE1030ELNS1_3gpuE2ELNS1_3repE0EEENS1_30default_config_static_selectorELNS0_4arch9wavefront6targetE1EEEvT1_
	.globl	_ZN7rocprim17ROCPRIM_400000_NS6detail17trampoline_kernelINS0_14default_configENS1_25partition_config_selectorILNS1_17partition_subalgoE1EyNS0_10empty_typeEbEEZZNS1_14partition_implILS5_1ELb0ES3_jN6thrust23THRUST_200600_302600_NS6detail15normal_iteratorINSA_10device_ptrIyEEEEPS6_NSA_18transform_iteratorI7is_evenIyESF_NSA_11use_defaultESK_EENS0_5tupleIJSF_NSA_16discard_iteratorISK_EEEEENSM_IJSG_SG_EEES6_PlJS6_EEE10hipError_tPvRmT3_T4_T5_T6_T7_T9_mT8_P12ihipStream_tbDpT10_ENKUlT_T0_E_clISt17integral_constantIbLb0EES1A_IbLb1EEEEDaS16_S17_EUlS16_E_NS1_11comp_targetILNS1_3genE8ELNS1_11target_archE1030ELNS1_3gpuE2ELNS1_3repE0EEENS1_30default_config_static_selectorELNS0_4arch9wavefront6targetE1EEEvT1_
	.p2align	8
	.type	_ZN7rocprim17ROCPRIM_400000_NS6detail17trampoline_kernelINS0_14default_configENS1_25partition_config_selectorILNS1_17partition_subalgoE1EyNS0_10empty_typeEbEEZZNS1_14partition_implILS5_1ELb0ES3_jN6thrust23THRUST_200600_302600_NS6detail15normal_iteratorINSA_10device_ptrIyEEEEPS6_NSA_18transform_iteratorI7is_evenIyESF_NSA_11use_defaultESK_EENS0_5tupleIJSF_NSA_16discard_iteratorISK_EEEEENSM_IJSG_SG_EEES6_PlJS6_EEE10hipError_tPvRmT3_T4_T5_T6_T7_T9_mT8_P12ihipStream_tbDpT10_ENKUlT_T0_E_clISt17integral_constantIbLb0EES1A_IbLb1EEEEDaS16_S17_EUlS16_E_NS1_11comp_targetILNS1_3genE8ELNS1_11target_archE1030ELNS1_3gpuE2ELNS1_3repE0EEENS1_30default_config_static_selectorELNS0_4arch9wavefront6targetE1EEEvT1_,@function
_ZN7rocprim17ROCPRIM_400000_NS6detail17trampoline_kernelINS0_14default_configENS1_25partition_config_selectorILNS1_17partition_subalgoE1EyNS0_10empty_typeEbEEZZNS1_14partition_implILS5_1ELb0ES3_jN6thrust23THRUST_200600_302600_NS6detail15normal_iteratorINSA_10device_ptrIyEEEEPS6_NSA_18transform_iteratorI7is_evenIyESF_NSA_11use_defaultESK_EENS0_5tupleIJSF_NSA_16discard_iteratorISK_EEEEENSM_IJSG_SG_EEES6_PlJS6_EEE10hipError_tPvRmT3_T4_T5_T6_T7_T9_mT8_P12ihipStream_tbDpT10_ENKUlT_T0_E_clISt17integral_constantIbLb0EES1A_IbLb1EEEEDaS16_S17_EUlS16_E_NS1_11comp_targetILNS1_3genE8ELNS1_11target_archE1030ELNS1_3gpuE2ELNS1_3repE0EEENS1_30default_config_static_selectorELNS0_4arch9wavefront6targetE1EEEvT1_: ; @_ZN7rocprim17ROCPRIM_400000_NS6detail17trampoline_kernelINS0_14default_configENS1_25partition_config_selectorILNS1_17partition_subalgoE1EyNS0_10empty_typeEbEEZZNS1_14partition_implILS5_1ELb0ES3_jN6thrust23THRUST_200600_302600_NS6detail15normal_iteratorINSA_10device_ptrIyEEEEPS6_NSA_18transform_iteratorI7is_evenIyESF_NSA_11use_defaultESK_EENS0_5tupleIJSF_NSA_16discard_iteratorISK_EEEEENSM_IJSG_SG_EEES6_PlJS6_EEE10hipError_tPvRmT3_T4_T5_T6_T7_T9_mT8_P12ihipStream_tbDpT10_ENKUlT_T0_E_clISt17integral_constantIbLb0EES1A_IbLb1EEEEDaS16_S17_EUlS16_E_NS1_11comp_targetILNS1_3genE8ELNS1_11target_archE1030ELNS1_3gpuE2ELNS1_3repE0EEENS1_30default_config_static_selectorELNS0_4arch9wavefront6targetE1EEEvT1_
; %bb.0:
	.section	.rodata,"a",@progbits
	.p2align	6, 0x0
	.amdhsa_kernel _ZN7rocprim17ROCPRIM_400000_NS6detail17trampoline_kernelINS0_14default_configENS1_25partition_config_selectorILNS1_17partition_subalgoE1EyNS0_10empty_typeEbEEZZNS1_14partition_implILS5_1ELb0ES3_jN6thrust23THRUST_200600_302600_NS6detail15normal_iteratorINSA_10device_ptrIyEEEEPS6_NSA_18transform_iteratorI7is_evenIyESF_NSA_11use_defaultESK_EENS0_5tupleIJSF_NSA_16discard_iteratorISK_EEEEENSM_IJSG_SG_EEES6_PlJS6_EEE10hipError_tPvRmT3_T4_T5_T6_T7_T9_mT8_P12ihipStream_tbDpT10_ENKUlT_T0_E_clISt17integral_constantIbLb0EES1A_IbLb1EEEEDaS16_S17_EUlS16_E_NS1_11comp_targetILNS1_3genE8ELNS1_11target_archE1030ELNS1_3gpuE2ELNS1_3repE0EEENS1_30default_config_static_selectorELNS0_4arch9wavefront6targetE1EEEvT1_
		.amdhsa_group_segment_fixed_size 0
		.amdhsa_private_segment_fixed_size 0
		.amdhsa_kernarg_size 152
		.amdhsa_user_sgpr_count 2
		.amdhsa_user_sgpr_dispatch_ptr 0
		.amdhsa_user_sgpr_queue_ptr 0
		.amdhsa_user_sgpr_kernarg_segment_ptr 1
		.amdhsa_user_sgpr_dispatch_id 0
		.amdhsa_user_sgpr_kernarg_preload_length 0
		.amdhsa_user_sgpr_kernarg_preload_offset 0
		.amdhsa_user_sgpr_private_segment_size 0
		.amdhsa_uses_dynamic_stack 0
		.amdhsa_enable_private_segment 0
		.amdhsa_system_sgpr_workgroup_id_x 1
		.amdhsa_system_sgpr_workgroup_id_y 0
		.amdhsa_system_sgpr_workgroup_id_z 0
		.amdhsa_system_sgpr_workgroup_info 0
		.amdhsa_system_vgpr_workitem_id 0
		.amdhsa_next_free_vgpr 1
		.amdhsa_next_free_sgpr 0
		.amdhsa_accum_offset 4
		.amdhsa_reserve_vcc 0
		.amdhsa_float_round_mode_32 0
		.amdhsa_float_round_mode_16_64 0
		.amdhsa_float_denorm_mode_32 3
		.amdhsa_float_denorm_mode_16_64 3
		.amdhsa_dx10_clamp 1
		.amdhsa_ieee_mode 1
		.amdhsa_fp16_overflow 0
		.amdhsa_tg_split 0
		.amdhsa_exception_fp_ieee_invalid_op 0
		.amdhsa_exception_fp_denorm_src 0
		.amdhsa_exception_fp_ieee_div_zero 0
		.amdhsa_exception_fp_ieee_overflow 0
		.amdhsa_exception_fp_ieee_underflow 0
		.amdhsa_exception_fp_ieee_inexact 0
		.amdhsa_exception_int_div_zero 0
	.end_amdhsa_kernel
	.section	.text._ZN7rocprim17ROCPRIM_400000_NS6detail17trampoline_kernelINS0_14default_configENS1_25partition_config_selectorILNS1_17partition_subalgoE1EyNS0_10empty_typeEbEEZZNS1_14partition_implILS5_1ELb0ES3_jN6thrust23THRUST_200600_302600_NS6detail15normal_iteratorINSA_10device_ptrIyEEEEPS6_NSA_18transform_iteratorI7is_evenIyESF_NSA_11use_defaultESK_EENS0_5tupleIJSF_NSA_16discard_iteratorISK_EEEEENSM_IJSG_SG_EEES6_PlJS6_EEE10hipError_tPvRmT3_T4_T5_T6_T7_T9_mT8_P12ihipStream_tbDpT10_ENKUlT_T0_E_clISt17integral_constantIbLb0EES1A_IbLb1EEEEDaS16_S17_EUlS16_E_NS1_11comp_targetILNS1_3genE8ELNS1_11target_archE1030ELNS1_3gpuE2ELNS1_3repE0EEENS1_30default_config_static_selectorELNS0_4arch9wavefront6targetE1EEEvT1_,"axG",@progbits,_ZN7rocprim17ROCPRIM_400000_NS6detail17trampoline_kernelINS0_14default_configENS1_25partition_config_selectorILNS1_17partition_subalgoE1EyNS0_10empty_typeEbEEZZNS1_14partition_implILS5_1ELb0ES3_jN6thrust23THRUST_200600_302600_NS6detail15normal_iteratorINSA_10device_ptrIyEEEEPS6_NSA_18transform_iteratorI7is_evenIyESF_NSA_11use_defaultESK_EENS0_5tupleIJSF_NSA_16discard_iteratorISK_EEEEENSM_IJSG_SG_EEES6_PlJS6_EEE10hipError_tPvRmT3_T4_T5_T6_T7_T9_mT8_P12ihipStream_tbDpT10_ENKUlT_T0_E_clISt17integral_constantIbLb0EES1A_IbLb1EEEEDaS16_S17_EUlS16_E_NS1_11comp_targetILNS1_3genE8ELNS1_11target_archE1030ELNS1_3gpuE2ELNS1_3repE0EEENS1_30default_config_static_selectorELNS0_4arch9wavefront6targetE1EEEvT1_,comdat
.Lfunc_end2938:
	.size	_ZN7rocprim17ROCPRIM_400000_NS6detail17trampoline_kernelINS0_14default_configENS1_25partition_config_selectorILNS1_17partition_subalgoE1EyNS0_10empty_typeEbEEZZNS1_14partition_implILS5_1ELb0ES3_jN6thrust23THRUST_200600_302600_NS6detail15normal_iteratorINSA_10device_ptrIyEEEEPS6_NSA_18transform_iteratorI7is_evenIyESF_NSA_11use_defaultESK_EENS0_5tupleIJSF_NSA_16discard_iteratorISK_EEEEENSM_IJSG_SG_EEES6_PlJS6_EEE10hipError_tPvRmT3_T4_T5_T6_T7_T9_mT8_P12ihipStream_tbDpT10_ENKUlT_T0_E_clISt17integral_constantIbLb0EES1A_IbLb1EEEEDaS16_S17_EUlS16_E_NS1_11comp_targetILNS1_3genE8ELNS1_11target_archE1030ELNS1_3gpuE2ELNS1_3repE0EEENS1_30default_config_static_selectorELNS0_4arch9wavefront6targetE1EEEvT1_, .Lfunc_end2938-_ZN7rocprim17ROCPRIM_400000_NS6detail17trampoline_kernelINS0_14default_configENS1_25partition_config_selectorILNS1_17partition_subalgoE1EyNS0_10empty_typeEbEEZZNS1_14partition_implILS5_1ELb0ES3_jN6thrust23THRUST_200600_302600_NS6detail15normal_iteratorINSA_10device_ptrIyEEEEPS6_NSA_18transform_iteratorI7is_evenIyESF_NSA_11use_defaultESK_EENS0_5tupleIJSF_NSA_16discard_iteratorISK_EEEEENSM_IJSG_SG_EEES6_PlJS6_EEE10hipError_tPvRmT3_T4_T5_T6_T7_T9_mT8_P12ihipStream_tbDpT10_ENKUlT_T0_E_clISt17integral_constantIbLb0EES1A_IbLb1EEEEDaS16_S17_EUlS16_E_NS1_11comp_targetILNS1_3genE8ELNS1_11target_archE1030ELNS1_3gpuE2ELNS1_3repE0EEENS1_30default_config_static_selectorELNS0_4arch9wavefront6targetE1EEEvT1_
                                        ; -- End function
	.section	.AMDGPU.csdata,"",@progbits
; Kernel info:
; codeLenInByte = 0
; NumSgprs: 6
; NumVgprs: 0
; NumAgprs: 0
; TotalNumVgprs: 0
; ScratchSize: 0
; MemoryBound: 0
; FloatMode: 240
; IeeeMode: 1
; LDSByteSize: 0 bytes/workgroup (compile time only)
; SGPRBlocks: 0
; VGPRBlocks: 0
; NumSGPRsForWavesPerEU: 6
; NumVGPRsForWavesPerEU: 1
; AccumOffset: 4
; Occupancy: 8
; WaveLimiterHint : 0
; COMPUTE_PGM_RSRC2:SCRATCH_EN: 0
; COMPUTE_PGM_RSRC2:USER_SGPR: 2
; COMPUTE_PGM_RSRC2:TRAP_HANDLER: 0
; COMPUTE_PGM_RSRC2:TGID_X_EN: 1
; COMPUTE_PGM_RSRC2:TGID_Y_EN: 0
; COMPUTE_PGM_RSRC2:TGID_Z_EN: 0
; COMPUTE_PGM_RSRC2:TIDIG_COMP_CNT: 0
; COMPUTE_PGM_RSRC3_GFX90A:ACCUM_OFFSET: 0
; COMPUTE_PGM_RSRC3_GFX90A:TG_SPLIT: 0
	.section	.text._ZN7rocprim17ROCPRIM_400000_NS6detail17trampoline_kernelINS0_14default_configENS1_25partition_config_selectorILNS1_17partition_subalgoE1EyNS0_10empty_typeEbEEZZNS1_14partition_implILS5_1ELb0ES3_jN6thrust23THRUST_200600_302600_NS6detail15normal_iteratorINSA_10device_ptrIyEEEEPS6_NSA_18transform_iteratorI7is_evenIyESF_NSA_11use_defaultESK_EENS0_5tupleIJNSA_16discard_iteratorISK_EESF_EEENSM_IJSG_SG_EEES6_PlJS6_EEE10hipError_tPvRmT3_T4_T5_T6_T7_T9_mT8_P12ihipStream_tbDpT10_ENKUlT_T0_E_clISt17integral_constantIbLb0EES1B_EEDaS16_S17_EUlS16_E_NS1_11comp_targetILNS1_3genE0ELNS1_11target_archE4294967295ELNS1_3gpuE0ELNS1_3repE0EEENS1_30default_config_static_selectorELNS0_4arch9wavefront6targetE1EEEvT1_,"axG",@progbits,_ZN7rocprim17ROCPRIM_400000_NS6detail17trampoline_kernelINS0_14default_configENS1_25partition_config_selectorILNS1_17partition_subalgoE1EyNS0_10empty_typeEbEEZZNS1_14partition_implILS5_1ELb0ES3_jN6thrust23THRUST_200600_302600_NS6detail15normal_iteratorINSA_10device_ptrIyEEEEPS6_NSA_18transform_iteratorI7is_evenIyESF_NSA_11use_defaultESK_EENS0_5tupleIJNSA_16discard_iteratorISK_EESF_EEENSM_IJSG_SG_EEES6_PlJS6_EEE10hipError_tPvRmT3_T4_T5_T6_T7_T9_mT8_P12ihipStream_tbDpT10_ENKUlT_T0_E_clISt17integral_constantIbLb0EES1B_EEDaS16_S17_EUlS16_E_NS1_11comp_targetILNS1_3genE0ELNS1_11target_archE4294967295ELNS1_3gpuE0ELNS1_3repE0EEENS1_30default_config_static_selectorELNS0_4arch9wavefront6targetE1EEEvT1_,comdat
	.protected	_ZN7rocprim17ROCPRIM_400000_NS6detail17trampoline_kernelINS0_14default_configENS1_25partition_config_selectorILNS1_17partition_subalgoE1EyNS0_10empty_typeEbEEZZNS1_14partition_implILS5_1ELb0ES3_jN6thrust23THRUST_200600_302600_NS6detail15normal_iteratorINSA_10device_ptrIyEEEEPS6_NSA_18transform_iteratorI7is_evenIyESF_NSA_11use_defaultESK_EENS0_5tupleIJNSA_16discard_iteratorISK_EESF_EEENSM_IJSG_SG_EEES6_PlJS6_EEE10hipError_tPvRmT3_T4_T5_T6_T7_T9_mT8_P12ihipStream_tbDpT10_ENKUlT_T0_E_clISt17integral_constantIbLb0EES1B_EEDaS16_S17_EUlS16_E_NS1_11comp_targetILNS1_3genE0ELNS1_11target_archE4294967295ELNS1_3gpuE0ELNS1_3repE0EEENS1_30default_config_static_selectorELNS0_4arch9wavefront6targetE1EEEvT1_ ; -- Begin function _ZN7rocprim17ROCPRIM_400000_NS6detail17trampoline_kernelINS0_14default_configENS1_25partition_config_selectorILNS1_17partition_subalgoE1EyNS0_10empty_typeEbEEZZNS1_14partition_implILS5_1ELb0ES3_jN6thrust23THRUST_200600_302600_NS6detail15normal_iteratorINSA_10device_ptrIyEEEEPS6_NSA_18transform_iteratorI7is_evenIyESF_NSA_11use_defaultESK_EENS0_5tupleIJNSA_16discard_iteratorISK_EESF_EEENSM_IJSG_SG_EEES6_PlJS6_EEE10hipError_tPvRmT3_T4_T5_T6_T7_T9_mT8_P12ihipStream_tbDpT10_ENKUlT_T0_E_clISt17integral_constantIbLb0EES1B_EEDaS16_S17_EUlS16_E_NS1_11comp_targetILNS1_3genE0ELNS1_11target_archE4294967295ELNS1_3gpuE0ELNS1_3repE0EEENS1_30default_config_static_selectorELNS0_4arch9wavefront6targetE1EEEvT1_
	.globl	_ZN7rocprim17ROCPRIM_400000_NS6detail17trampoline_kernelINS0_14default_configENS1_25partition_config_selectorILNS1_17partition_subalgoE1EyNS0_10empty_typeEbEEZZNS1_14partition_implILS5_1ELb0ES3_jN6thrust23THRUST_200600_302600_NS6detail15normal_iteratorINSA_10device_ptrIyEEEEPS6_NSA_18transform_iteratorI7is_evenIyESF_NSA_11use_defaultESK_EENS0_5tupleIJNSA_16discard_iteratorISK_EESF_EEENSM_IJSG_SG_EEES6_PlJS6_EEE10hipError_tPvRmT3_T4_T5_T6_T7_T9_mT8_P12ihipStream_tbDpT10_ENKUlT_T0_E_clISt17integral_constantIbLb0EES1B_EEDaS16_S17_EUlS16_E_NS1_11comp_targetILNS1_3genE0ELNS1_11target_archE4294967295ELNS1_3gpuE0ELNS1_3repE0EEENS1_30default_config_static_selectorELNS0_4arch9wavefront6targetE1EEEvT1_
	.p2align	8
	.type	_ZN7rocprim17ROCPRIM_400000_NS6detail17trampoline_kernelINS0_14default_configENS1_25partition_config_selectorILNS1_17partition_subalgoE1EyNS0_10empty_typeEbEEZZNS1_14partition_implILS5_1ELb0ES3_jN6thrust23THRUST_200600_302600_NS6detail15normal_iteratorINSA_10device_ptrIyEEEEPS6_NSA_18transform_iteratorI7is_evenIyESF_NSA_11use_defaultESK_EENS0_5tupleIJNSA_16discard_iteratorISK_EESF_EEENSM_IJSG_SG_EEES6_PlJS6_EEE10hipError_tPvRmT3_T4_T5_T6_T7_T9_mT8_P12ihipStream_tbDpT10_ENKUlT_T0_E_clISt17integral_constantIbLb0EES1B_EEDaS16_S17_EUlS16_E_NS1_11comp_targetILNS1_3genE0ELNS1_11target_archE4294967295ELNS1_3gpuE0ELNS1_3repE0EEENS1_30default_config_static_selectorELNS0_4arch9wavefront6targetE1EEEvT1_,@function
_ZN7rocprim17ROCPRIM_400000_NS6detail17trampoline_kernelINS0_14default_configENS1_25partition_config_selectorILNS1_17partition_subalgoE1EyNS0_10empty_typeEbEEZZNS1_14partition_implILS5_1ELb0ES3_jN6thrust23THRUST_200600_302600_NS6detail15normal_iteratorINSA_10device_ptrIyEEEEPS6_NSA_18transform_iteratorI7is_evenIyESF_NSA_11use_defaultESK_EENS0_5tupleIJNSA_16discard_iteratorISK_EESF_EEENSM_IJSG_SG_EEES6_PlJS6_EEE10hipError_tPvRmT3_T4_T5_T6_T7_T9_mT8_P12ihipStream_tbDpT10_ENKUlT_T0_E_clISt17integral_constantIbLb0EES1B_EEDaS16_S17_EUlS16_E_NS1_11comp_targetILNS1_3genE0ELNS1_11target_archE4294967295ELNS1_3gpuE0ELNS1_3repE0EEENS1_30default_config_static_selectorELNS0_4arch9wavefront6targetE1EEEvT1_: ; @_ZN7rocprim17ROCPRIM_400000_NS6detail17trampoline_kernelINS0_14default_configENS1_25partition_config_selectorILNS1_17partition_subalgoE1EyNS0_10empty_typeEbEEZZNS1_14partition_implILS5_1ELb0ES3_jN6thrust23THRUST_200600_302600_NS6detail15normal_iteratorINSA_10device_ptrIyEEEEPS6_NSA_18transform_iteratorI7is_evenIyESF_NSA_11use_defaultESK_EENS0_5tupleIJNSA_16discard_iteratorISK_EESF_EEENSM_IJSG_SG_EEES6_PlJS6_EEE10hipError_tPvRmT3_T4_T5_T6_T7_T9_mT8_P12ihipStream_tbDpT10_ENKUlT_T0_E_clISt17integral_constantIbLb0EES1B_EEDaS16_S17_EUlS16_E_NS1_11comp_targetILNS1_3genE0ELNS1_11target_archE4294967295ELNS1_3gpuE0ELNS1_3repE0EEENS1_30default_config_static_selectorELNS0_4arch9wavefront6targetE1EEEvT1_
; %bb.0:
	.section	.rodata,"a",@progbits
	.p2align	6, 0x0
	.amdhsa_kernel _ZN7rocprim17ROCPRIM_400000_NS6detail17trampoline_kernelINS0_14default_configENS1_25partition_config_selectorILNS1_17partition_subalgoE1EyNS0_10empty_typeEbEEZZNS1_14partition_implILS5_1ELb0ES3_jN6thrust23THRUST_200600_302600_NS6detail15normal_iteratorINSA_10device_ptrIyEEEEPS6_NSA_18transform_iteratorI7is_evenIyESF_NSA_11use_defaultESK_EENS0_5tupleIJNSA_16discard_iteratorISK_EESF_EEENSM_IJSG_SG_EEES6_PlJS6_EEE10hipError_tPvRmT3_T4_T5_T6_T7_T9_mT8_P12ihipStream_tbDpT10_ENKUlT_T0_E_clISt17integral_constantIbLb0EES1B_EEDaS16_S17_EUlS16_E_NS1_11comp_targetILNS1_3genE0ELNS1_11target_archE4294967295ELNS1_3gpuE0ELNS1_3repE0EEENS1_30default_config_static_selectorELNS0_4arch9wavefront6targetE1EEEvT1_
		.amdhsa_group_segment_fixed_size 0
		.amdhsa_private_segment_fixed_size 0
		.amdhsa_kernarg_size 136
		.amdhsa_user_sgpr_count 2
		.amdhsa_user_sgpr_dispatch_ptr 0
		.amdhsa_user_sgpr_queue_ptr 0
		.amdhsa_user_sgpr_kernarg_segment_ptr 1
		.amdhsa_user_sgpr_dispatch_id 0
		.amdhsa_user_sgpr_kernarg_preload_length 0
		.amdhsa_user_sgpr_kernarg_preload_offset 0
		.amdhsa_user_sgpr_private_segment_size 0
		.amdhsa_uses_dynamic_stack 0
		.amdhsa_enable_private_segment 0
		.amdhsa_system_sgpr_workgroup_id_x 1
		.amdhsa_system_sgpr_workgroup_id_y 0
		.amdhsa_system_sgpr_workgroup_id_z 0
		.amdhsa_system_sgpr_workgroup_info 0
		.amdhsa_system_vgpr_workitem_id 0
		.amdhsa_next_free_vgpr 1
		.amdhsa_next_free_sgpr 0
		.amdhsa_accum_offset 4
		.amdhsa_reserve_vcc 0
		.amdhsa_float_round_mode_32 0
		.amdhsa_float_round_mode_16_64 0
		.amdhsa_float_denorm_mode_32 3
		.amdhsa_float_denorm_mode_16_64 3
		.amdhsa_dx10_clamp 1
		.amdhsa_ieee_mode 1
		.amdhsa_fp16_overflow 0
		.amdhsa_tg_split 0
		.amdhsa_exception_fp_ieee_invalid_op 0
		.amdhsa_exception_fp_denorm_src 0
		.amdhsa_exception_fp_ieee_div_zero 0
		.amdhsa_exception_fp_ieee_overflow 0
		.amdhsa_exception_fp_ieee_underflow 0
		.amdhsa_exception_fp_ieee_inexact 0
		.amdhsa_exception_int_div_zero 0
	.end_amdhsa_kernel
	.section	.text._ZN7rocprim17ROCPRIM_400000_NS6detail17trampoline_kernelINS0_14default_configENS1_25partition_config_selectorILNS1_17partition_subalgoE1EyNS0_10empty_typeEbEEZZNS1_14partition_implILS5_1ELb0ES3_jN6thrust23THRUST_200600_302600_NS6detail15normal_iteratorINSA_10device_ptrIyEEEEPS6_NSA_18transform_iteratorI7is_evenIyESF_NSA_11use_defaultESK_EENS0_5tupleIJNSA_16discard_iteratorISK_EESF_EEENSM_IJSG_SG_EEES6_PlJS6_EEE10hipError_tPvRmT3_T4_T5_T6_T7_T9_mT8_P12ihipStream_tbDpT10_ENKUlT_T0_E_clISt17integral_constantIbLb0EES1B_EEDaS16_S17_EUlS16_E_NS1_11comp_targetILNS1_3genE0ELNS1_11target_archE4294967295ELNS1_3gpuE0ELNS1_3repE0EEENS1_30default_config_static_selectorELNS0_4arch9wavefront6targetE1EEEvT1_,"axG",@progbits,_ZN7rocprim17ROCPRIM_400000_NS6detail17trampoline_kernelINS0_14default_configENS1_25partition_config_selectorILNS1_17partition_subalgoE1EyNS0_10empty_typeEbEEZZNS1_14partition_implILS5_1ELb0ES3_jN6thrust23THRUST_200600_302600_NS6detail15normal_iteratorINSA_10device_ptrIyEEEEPS6_NSA_18transform_iteratorI7is_evenIyESF_NSA_11use_defaultESK_EENS0_5tupleIJNSA_16discard_iteratorISK_EESF_EEENSM_IJSG_SG_EEES6_PlJS6_EEE10hipError_tPvRmT3_T4_T5_T6_T7_T9_mT8_P12ihipStream_tbDpT10_ENKUlT_T0_E_clISt17integral_constantIbLb0EES1B_EEDaS16_S17_EUlS16_E_NS1_11comp_targetILNS1_3genE0ELNS1_11target_archE4294967295ELNS1_3gpuE0ELNS1_3repE0EEENS1_30default_config_static_selectorELNS0_4arch9wavefront6targetE1EEEvT1_,comdat
.Lfunc_end2939:
	.size	_ZN7rocprim17ROCPRIM_400000_NS6detail17trampoline_kernelINS0_14default_configENS1_25partition_config_selectorILNS1_17partition_subalgoE1EyNS0_10empty_typeEbEEZZNS1_14partition_implILS5_1ELb0ES3_jN6thrust23THRUST_200600_302600_NS6detail15normal_iteratorINSA_10device_ptrIyEEEEPS6_NSA_18transform_iteratorI7is_evenIyESF_NSA_11use_defaultESK_EENS0_5tupleIJNSA_16discard_iteratorISK_EESF_EEENSM_IJSG_SG_EEES6_PlJS6_EEE10hipError_tPvRmT3_T4_T5_T6_T7_T9_mT8_P12ihipStream_tbDpT10_ENKUlT_T0_E_clISt17integral_constantIbLb0EES1B_EEDaS16_S17_EUlS16_E_NS1_11comp_targetILNS1_3genE0ELNS1_11target_archE4294967295ELNS1_3gpuE0ELNS1_3repE0EEENS1_30default_config_static_selectorELNS0_4arch9wavefront6targetE1EEEvT1_, .Lfunc_end2939-_ZN7rocprim17ROCPRIM_400000_NS6detail17trampoline_kernelINS0_14default_configENS1_25partition_config_selectorILNS1_17partition_subalgoE1EyNS0_10empty_typeEbEEZZNS1_14partition_implILS5_1ELb0ES3_jN6thrust23THRUST_200600_302600_NS6detail15normal_iteratorINSA_10device_ptrIyEEEEPS6_NSA_18transform_iteratorI7is_evenIyESF_NSA_11use_defaultESK_EENS0_5tupleIJNSA_16discard_iteratorISK_EESF_EEENSM_IJSG_SG_EEES6_PlJS6_EEE10hipError_tPvRmT3_T4_T5_T6_T7_T9_mT8_P12ihipStream_tbDpT10_ENKUlT_T0_E_clISt17integral_constantIbLb0EES1B_EEDaS16_S17_EUlS16_E_NS1_11comp_targetILNS1_3genE0ELNS1_11target_archE4294967295ELNS1_3gpuE0ELNS1_3repE0EEENS1_30default_config_static_selectorELNS0_4arch9wavefront6targetE1EEEvT1_
                                        ; -- End function
	.section	.AMDGPU.csdata,"",@progbits
; Kernel info:
; codeLenInByte = 0
; NumSgprs: 6
; NumVgprs: 0
; NumAgprs: 0
; TotalNumVgprs: 0
; ScratchSize: 0
; MemoryBound: 0
; FloatMode: 240
; IeeeMode: 1
; LDSByteSize: 0 bytes/workgroup (compile time only)
; SGPRBlocks: 0
; VGPRBlocks: 0
; NumSGPRsForWavesPerEU: 6
; NumVGPRsForWavesPerEU: 1
; AccumOffset: 4
; Occupancy: 8
; WaveLimiterHint : 0
; COMPUTE_PGM_RSRC2:SCRATCH_EN: 0
; COMPUTE_PGM_RSRC2:USER_SGPR: 2
; COMPUTE_PGM_RSRC2:TRAP_HANDLER: 0
; COMPUTE_PGM_RSRC2:TGID_X_EN: 1
; COMPUTE_PGM_RSRC2:TGID_Y_EN: 0
; COMPUTE_PGM_RSRC2:TGID_Z_EN: 0
; COMPUTE_PGM_RSRC2:TIDIG_COMP_CNT: 0
; COMPUTE_PGM_RSRC3_GFX90A:ACCUM_OFFSET: 0
; COMPUTE_PGM_RSRC3_GFX90A:TG_SPLIT: 0
	.section	.text._ZN7rocprim17ROCPRIM_400000_NS6detail17trampoline_kernelINS0_14default_configENS1_25partition_config_selectorILNS1_17partition_subalgoE1EyNS0_10empty_typeEbEEZZNS1_14partition_implILS5_1ELb0ES3_jN6thrust23THRUST_200600_302600_NS6detail15normal_iteratorINSA_10device_ptrIyEEEEPS6_NSA_18transform_iteratorI7is_evenIyESF_NSA_11use_defaultESK_EENS0_5tupleIJNSA_16discard_iteratorISK_EESF_EEENSM_IJSG_SG_EEES6_PlJS6_EEE10hipError_tPvRmT3_T4_T5_T6_T7_T9_mT8_P12ihipStream_tbDpT10_ENKUlT_T0_E_clISt17integral_constantIbLb0EES1B_EEDaS16_S17_EUlS16_E_NS1_11comp_targetILNS1_3genE5ELNS1_11target_archE942ELNS1_3gpuE9ELNS1_3repE0EEENS1_30default_config_static_selectorELNS0_4arch9wavefront6targetE1EEEvT1_,"axG",@progbits,_ZN7rocprim17ROCPRIM_400000_NS6detail17trampoline_kernelINS0_14default_configENS1_25partition_config_selectorILNS1_17partition_subalgoE1EyNS0_10empty_typeEbEEZZNS1_14partition_implILS5_1ELb0ES3_jN6thrust23THRUST_200600_302600_NS6detail15normal_iteratorINSA_10device_ptrIyEEEEPS6_NSA_18transform_iteratorI7is_evenIyESF_NSA_11use_defaultESK_EENS0_5tupleIJNSA_16discard_iteratorISK_EESF_EEENSM_IJSG_SG_EEES6_PlJS6_EEE10hipError_tPvRmT3_T4_T5_T6_T7_T9_mT8_P12ihipStream_tbDpT10_ENKUlT_T0_E_clISt17integral_constantIbLb0EES1B_EEDaS16_S17_EUlS16_E_NS1_11comp_targetILNS1_3genE5ELNS1_11target_archE942ELNS1_3gpuE9ELNS1_3repE0EEENS1_30default_config_static_selectorELNS0_4arch9wavefront6targetE1EEEvT1_,comdat
	.protected	_ZN7rocprim17ROCPRIM_400000_NS6detail17trampoline_kernelINS0_14default_configENS1_25partition_config_selectorILNS1_17partition_subalgoE1EyNS0_10empty_typeEbEEZZNS1_14partition_implILS5_1ELb0ES3_jN6thrust23THRUST_200600_302600_NS6detail15normal_iteratorINSA_10device_ptrIyEEEEPS6_NSA_18transform_iteratorI7is_evenIyESF_NSA_11use_defaultESK_EENS0_5tupleIJNSA_16discard_iteratorISK_EESF_EEENSM_IJSG_SG_EEES6_PlJS6_EEE10hipError_tPvRmT3_T4_T5_T6_T7_T9_mT8_P12ihipStream_tbDpT10_ENKUlT_T0_E_clISt17integral_constantIbLb0EES1B_EEDaS16_S17_EUlS16_E_NS1_11comp_targetILNS1_3genE5ELNS1_11target_archE942ELNS1_3gpuE9ELNS1_3repE0EEENS1_30default_config_static_selectorELNS0_4arch9wavefront6targetE1EEEvT1_ ; -- Begin function _ZN7rocprim17ROCPRIM_400000_NS6detail17trampoline_kernelINS0_14default_configENS1_25partition_config_selectorILNS1_17partition_subalgoE1EyNS0_10empty_typeEbEEZZNS1_14partition_implILS5_1ELb0ES3_jN6thrust23THRUST_200600_302600_NS6detail15normal_iteratorINSA_10device_ptrIyEEEEPS6_NSA_18transform_iteratorI7is_evenIyESF_NSA_11use_defaultESK_EENS0_5tupleIJNSA_16discard_iteratorISK_EESF_EEENSM_IJSG_SG_EEES6_PlJS6_EEE10hipError_tPvRmT3_T4_T5_T6_T7_T9_mT8_P12ihipStream_tbDpT10_ENKUlT_T0_E_clISt17integral_constantIbLb0EES1B_EEDaS16_S17_EUlS16_E_NS1_11comp_targetILNS1_3genE5ELNS1_11target_archE942ELNS1_3gpuE9ELNS1_3repE0EEENS1_30default_config_static_selectorELNS0_4arch9wavefront6targetE1EEEvT1_
	.globl	_ZN7rocprim17ROCPRIM_400000_NS6detail17trampoline_kernelINS0_14default_configENS1_25partition_config_selectorILNS1_17partition_subalgoE1EyNS0_10empty_typeEbEEZZNS1_14partition_implILS5_1ELb0ES3_jN6thrust23THRUST_200600_302600_NS6detail15normal_iteratorINSA_10device_ptrIyEEEEPS6_NSA_18transform_iteratorI7is_evenIyESF_NSA_11use_defaultESK_EENS0_5tupleIJNSA_16discard_iteratorISK_EESF_EEENSM_IJSG_SG_EEES6_PlJS6_EEE10hipError_tPvRmT3_T4_T5_T6_T7_T9_mT8_P12ihipStream_tbDpT10_ENKUlT_T0_E_clISt17integral_constantIbLb0EES1B_EEDaS16_S17_EUlS16_E_NS1_11comp_targetILNS1_3genE5ELNS1_11target_archE942ELNS1_3gpuE9ELNS1_3repE0EEENS1_30default_config_static_selectorELNS0_4arch9wavefront6targetE1EEEvT1_
	.p2align	8
	.type	_ZN7rocprim17ROCPRIM_400000_NS6detail17trampoline_kernelINS0_14default_configENS1_25partition_config_selectorILNS1_17partition_subalgoE1EyNS0_10empty_typeEbEEZZNS1_14partition_implILS5_1ELb0ES3_jN6thrust23THRUST_200600_302600_NS6detail15normal_iteratorINSA_10device_ptrIyEEEEPS6_NSA_18transform_iteratorI7is_evenIyESF_NSA_11use_defaultESK_EENS0_5tupleIJNSA_16discard_iteratorISK_EESF_EEENSM_IJSG_SG_EEES6_PlJS6_EEE10hipError_tPvRmT3_T4_T5_T6_T7_T9_mT8_P12ihipStream_tbDpT10_ENKUlT_T0_E_clISt17integral_constantIbLb0EES1B_EEDaS16_S17_EUlS16_E_NS1_11comp_targetILNS1_3genE5ELNS1_11target_archE942ELNS1_3gpuE9ELNS1_3repE0EEENS1_30default_config_static_selectorELNS0_4arch9wavefront6targetE1EEEvT1_,@function
_ZN7rocprim17ROCPRIM_400000_NS6detail17trampoline_kernelINS0_14default_configENS1_25partition_config_selectorILNS1_17partition_subalgoE1EyNS0_10empty_typeEbEEZZNS1_14partition_implILS5_1ELb0ES3_jN6thrust23THRUST_200600_302600_NS6detail15normal_iteratorINSA_10device_ptrIyEEEEPS6_NSA_18transform_iteratorI7is_evenIyESF_NSA_11use_defaultESK_EENS0_5tupleIJNSA_16discard_iteratorISK_EESF_EEENSM_IJSG_SG_EEES6_PlJS6_EEE10hipError_tPvRmT3_T4_T5_T6_T7_T9_mT8_P12ihipStream_tbDpT10_ENKUlT_T0_E_clISt17integral_constantIbLb0EES1B_EEDaS16_S17_EUlS16_E_NS1_11comp_targetILNS1_3genE5ELNS1_11target_archE942ELNS1_3gpuE9ELNS1_3repE0EEENS1_30default_config_static_selectorELNS0_4arch9wavefront6targetE1EEEvT1_: ; @_ZN7rocprim17ROCPRIM_400000_NS6detail17trampoline_kernelINS0_14default_configENS1_25partition_config_selectorILNS1_17partition_subalgoE1EyNS0_10empty_typeEbEEZZNS1_14partition_implILS5_1ELb0ES3_jN6thrust23THRUST_200600_302600_NS6detail15normal_iteratorINSA_10device_ptrIyEEEEPS6_NSA_18transform_iteratorI7is_evenIyESF_NSA_11use_defaultESK_EENS0_5tupleIJNSA_16discard_iteratorISK_EESF_EEENSM_IJSG_SG_EEES6_PlJS6_EEE10hipError_tPvRmT3_T4_T5_T6_T7_T9_mT8_P12ihipStream_tbDpT10_ENKUlT_T0_E_clISt17integral_constantIbLb0EES1B_EEDaS16_S17_EUlS16_E_NS1_11comp_targetILNS1_3genE5ELNS1_11target_archE942ELNS1_3gpuE9ELNS1_3repE0EEENS1_30default_config_static_selectorELNS0_4arch9wavefront6targetE1EEEvT1_
; %bb.0:
	s_load_dwordx2 s[4:5], s[0:1], 0x68
	s_load_dwordx4 s[24:27], s[0:1], 0x8
	s_load_dwordx2 s[6:7], s[0:1], 0x20
	s_load_dwordx4 s[20:23], s[0:1], 0x58
	s_load_dword s3, s[0:1], 0x80
	s_waitcnt lgkmcnt(0)
	v_mov_b32_e32 v3, s5
	s_lshl_b64 s[8:9], s[26:27], 3
	s_add_u32 s12, s24, s8
	s_addc_u32 s13, s25, s9
	s_add_i32 s14, s3, -1
	s_mulk_i32 s3, 0xe00
	s_add_i32 s5, s3, s26
	s_sub_i32 s33, s4, s5
	s_addk_i32 s33, 0xe00
	v_mov_b32_e32 v2, s4
	s_add_u32 s4, s26, s3
	s_addc_u32 s5, s27, 0
	s_cmp_eq_u32 s2, s14
	s_load_dwordx2 s[24:25], s[22:23], 0x0
	s_cselect_b64 s[22:23], -1, 0
	s_cmp_lg_u32 s2, s14
	s_mul_i32 s10, s2, 0xe00
	s_mov_b32 s11, 0
	v_cmp_lt_u64_e32 vcc, s[4:5], v[2:3]
	s_cselect_b64 s[4:5], -1, 0
	s_or_b64 s[28:29], s[4:5], vcc
	s_lshl_b64 s[30:31], s[10:11], 3
	s_add_u32 s10, s12, s30
	s_addc_u32 s11, s13, s31
	s_mov_b64 s[4:5], -1
	s_and_b64 vcc, exec, s[28:29]
	v_lshlrev_b32_e32 v18, 3, v0
	s_cbranch_vccz .LBB2940_2
; %bb.1:
	v_mov_b32_e32 v19, 0
	v_lshl_add_u64 v[2:3], s[10:11], 0, v[18:19]
	v_add_co_u32_e32 v4, vcc, 0x1000, v2
	s_mov_b64 s[4:5], 0
	s_nop 0
	v_addc_co_u32_e32 v5, vcc, 0, v3, vcc
	v_add_co_u32_e32 v6, vcc, 0x2000, v2
	s_nop 1
	v_addc_co_u32_e32 v7, vcc, 0, v3, vcc
	v_add_co_u32_e32 v8, vcc, 0x3000, v2
	s_nop 1
	v_addc_co_u32_e32 v9, vcc, 0, v3, vcc
	flat_load_dwordx2 v[10:11], v[2:3]
	flat_load_dwordx2 v[12:13], v[4:5]
	;; [unrolled: 1-line block ×4, first 2 shown]
	v_add_co_u32_e32 v4, vcc, 0x4000, v2
	s_nop 1
	v_addc_co_u32_e32 v5, vcc, 0, v3, vcc
	v_add_co_u32_e32 v6, vcc, 0x5000, v2
	s_nop 1
	v_addc_co_u32_e32 v7, vcc, 0, v3, vcc
	;; [unrolled: 3-line block ×3, first 2 shown]
	flat_load_dwordx2 v[8:9], v[4:5]
	flat_load_dwordx2 v[20:21], v[6:7]
	;; [unrolled: 1-line block ×3, first 2 shown]
	s_waitcnt vmcnt(0) lgkmcnt(0)
	ds_write2st64_b64 v18, v[10:11], v[12:13] offset1:8
	ds_write2st64_b64 v18, v[14:15], v[16:17] offset0:16 offset1:24
	ds_write2st64_b64 v18, v[8:9], v[20:21] offset0:32 offset1:40
	ds_write_b64 v18, v[22:23] offset:24576
	s_waitcnt lgkmcnt(0)
	s_barrier
.LBB2940_2:
	s_andn2_b64 vcc, exec, s[4:5]
	v_cmp_gt_u32_e64 s[4:5], s33, v0
	s_cbranch_vccnz .LBB2940_18
; %bb.3:
                                        ; implicit-def: $vgpr2_vgpr3_vgpr4_vgpr5_vgpr6_vgpr7_vgpr8_vgpr9_vgpr10_vgpr11_vgpr12_vgpr13_vgpr14_vgpr15_vgpr16_vgpr17
	s_and_saveexec_b64 s[12:13], s[4:5]
	s_cbranch_execz .LBB2940_5
; %bb.4:
	v_mov_b32_e32 v19, 0
	v_lshl_add_u64 v[2:3], s[10:11], 0, v[18:19]
	flat_load_dwordx2 v[2:3], v[2:3]
.LBB2940_5:
	s_or_b64 exec, exec, s[12:13]
	v_or_b32_e32 v1, 0x200, v0
	v_cmp_gt_u32_e32 vcc, s33, v1
	s_and_saveexec_b64 s[4:5], vcc
	s_cbranch_execz .LBB2940_7
; %bb.6:
	v_lshlrev_b32_e32 v4, 3, v1
	v_mov_b32_e32 v5, 0
	v_lshl_add_u64 v[4:5], s[10:11], 0, v[4:5]
	flat_load_dwordx2 v[4:5], v[4:5]
.LBB2940_7:
	s_or_b64 exec, exec, s[4:5]
	v_or_b32_e32 v1, 0x400, v0
	v_cmp_gt_u32_e32 vcc, s33, v1
	s_and_saveexec_b64 s[4:5], vcc
	s_cbranch_execz .LBB2940_9
; %bb.8:
	v_lshlrev_b32_e32 v6, 3, v1
	v_mov_b32_e32 v7, 0
	v_lshl_add_u64 v[6:7], s[10:11], 0, v[6:7]
	flat_load_dwordx2 v[6:7], v[6:7]
.LBB2940_9:
	s_or_b64 exec, exec, s[4:5]
	v_or_b32_e32 v1, 0x600, v0
	v_cmp_gt_u32_e32 vcc, s33, v1
	s_and_saveexec_b64 s[4:5], vcc
	s_cbranch_execz .LBB2940_11
; %bb.10:
	v_lshlrev_b32_e32 v8, 3, v1
	v_mov_b32_e32 v9, 0
	v_lshl_add_u64 v[8:9], s[10:11], 0, v[8:9]
	flat_load_dwordx2 v[8:9], v[8:9]
.LBB2940_11:
	s_or_b64 exec, exec, s[4:5]
	v_or_b32_e32 v1, 0x800, v0
	v_cmp_gt_u32_e32 vcc, s33, v1
	s_and_saveexec_b64 s[4:5], vcc
	s_cbranch_execz .LBB2940_13
; %bb.12:
	v_lshlrev_b32_e32 v10, 3, v1
	v_mov_b32_e32 v11, 0
	v_lshl_add_u64 v[10:11], s[10:11], 0, v[10:11]
	flat_load_dwordx2 v[10:11], v[10:11]
.LBB2940_13:
	s_or_b64 exec, exec, s[4:5]
	v_or_b32_e32 v1, 0xa00, v0
	v_cmp_gt_u32_e32 vcc, s33, v1
	s_and_saveexec_b64 s[4:5], vcc
	s_cbranch_execz .LBB2940_15
; %bb.14:
	v_lshlrev_b32_e32 v12, 3, v1
	v_mov_b32_e32 v13, 0
	v_lshl_add_u64 v[12:13], s[10:11], 0, v[12:13]
	flat_load_dwordx2 v[12:13], v[12:13]
.LBB2940_15:
	s_or_b64 exec, exec, s[4:5]
	v_or_b32_e32 v1, 0xc00, v0
	v_cmp_gt_u32_e32 vcc, s33, v1
	s_and_saveexec_b64 s[4:5], vcc
	s_cbranch_execz .LBB2940_17
; %bb.16:
	v_lshlrev_b32_e32 v14, 3, v1
	v_mov_b32_e32 v15, 0
	v_lshl_add_u64 v[14:15], s[10:11], 0, v[14:15]
	flat_load_dwordx2 v[14:15], v[14:15]
.LBB2940_17:
	s_or_b64 exec, exec, s[4:5]
	s_waitcnt vmcnt(0) lgkmcnt(0)
	ds_write2st64_b64 v18, v[2:3], v[4:5] offset1:8
	ds_write2st64_b64 v18, v[6:7], v[8:9] offset0:16 offset1:24
	ds_write2st64_b64 v18, v[10:11], v[12:13] offset0:32 offset1:40
	ds_write_b64 v18, v[14:15] offset:24576
	s_waitcnt lgkmcnt(0)
	s_barrier
.LBB2940_18:
	v_mul_u32_u24_e32 v1, 7, v0
	v_lshlrev_b32_e32 v16, 3, v1
	s_waitcnt lgkmcnt(0)
	ds_read2_b64 v[10:13], v16 offset1:1
	ds_read2_b64 v[6:9], v16 offset0:2 offset1:3
	ds_read2_b64 v[2:5], v16 offset0:4 offset1:5
	ds_read_b64 v[14:15], v16 offset:48
	s_add_u32 s3, s6, s8
	s_addc_u32 s5, s7, s9
	s_add_u32 s4, s3, s30
	s_addc_u32 s5, s5, s31
	s_mov_b64 s[6:7], -1
	s_and_b64 vcc, exec, s[28:29]
	s_waitcnt lgkmcnt(0)
	s_barrier
	s_cbranch_vccz .LBB2940_20
; %bb.19:
	v_mov_b32_e32 v19, 0
	v_lshl_add_u64 v[20:21], s[4:5], 0, v[18:19]
	v_add_co_u32_e32 v24, vcc, 0x1000, v20
	global_load_dwordx2 v[22:23], v18, s[4:5]
	s_nop 0
	v_addc_co_u32_e32 v25, vcc, 0, v21, vcc
	v_add_co_u32_e32 v26, vcc, 0x2000, v20
	s_mov_b64 s[6:7], 0
	s_nop 0
	v_addc_co_u32_e32 v27, vcc, 0, v21, vcc
	v_add_co_u32_e32 v28, vcc, 0x3000, v20
	s_waitcnt vmcnt(0)
	v_xor_b32_e32 v17, -1, v22
	v_addc_co_u32_e32 v29, vcc, 0, v21, vcc
	v_add_co_u32_e32 v30, vcc, 0x4000, v20
	v_and_b32_e32 v17, 1, v17
	s_nop 0
	v_addc_co_u32_e32 v31, vcc, 0, v21, vcc
	global_load_dwordx2 v[32:33], v[24:25], off
	global_load_dwordx2 v[34:35], v[26:27], off
	;; [unrolled: 1-line block ×4, first 2 shown]
	v_add_co_u32_e32 v24, vcc, 0x5000, v20
	ds_write_b8 v0, v17
	s_nop 0
	v_addc_co_u32_e32 v25, vcc, 0, v21, vcc
	v_add_co_u32_e32 v20, vcc, 0x6000, v20
	global_load_dwordx2 v[24:25], v[24:25], off
	s_nop 0
	v_addc_co_u32_e32 v21, vcc, 0, v21, vcc
	global_load_dwordx2 v[20:21], v[20:21], off
	s_waitcnt vmcnt(5)
	v_xor_b32_e32 v17, -1, v32
	v_and_b32_e32 v17, 1, v17
	s_waitcnt vmcnt(4)
	v_xor_b32_e32 v19, -1, v34
	s_waitcnt vmcnt(0)
	v_xor_b32_e32 v21, -1, v36
	v_and_b32_e32 v19, 1, v19
	ds_write_b8 v0, v17 offset:512
	v_and_b32_e32 v17, 1, v21
	v_xor_b32_e32 v21, -1, v38
	ds_write_b8 v0, v19 offset:1024
	v_and_b32_e32 v19, 1, v21
	ds_write_b8 v0, v17 offset:1536
	v_xor_b32_e32 v21, -1, v24
	v_and_b32_e32 v17, 1, v21
	ds_write_b8 v0, v19 offset:2048
	v_xor_b32_e32 v20, -1, v20
	v_and_b32_e32 v19, 1, v20
	ds_write_b8 v0, v17 offset:2560
	ds_write_b8 v0, v19 offset:3072
	s_waitcnt lgkmcnt(0)
	s_barrier
.LBB2940_20:
	s_load_dwordx2 s[34:35], s[0:1], 0x78
	s_andn2_b64 vcc, exec, s[6:7]
	s_cbranch_vccnz .LBB2940_36
; %bb.21:
	v_cmp_gt_u32_e32 vcc, s33, v0
	v_mov_b32_e32 v17, 0
	v_mov_b32_e32 v19, 0
	s_and_saveexec_b64 s[6:7], vcc
	s_cbranch_execz .LBB2940_23
; %bb.22:
	global_load_dwordx2 v[20:21], v18, s[4:5]
	s_waitcnt vmcnt(0)
	v_xor_b32_e32 v19, -1, v20
	v_and_b32_e32 v19, 1, v19
.LBB2940_23:
	s_or_b64 exec, exec, s[6:7]
	v_or_b32_e32 v20, 0x200, v0
	v_cmp_gt_u32_e32 vcc, s33, v20
	s_and_saveexec_b64 s[6:7], vcc
	s_cbranch_execz .LBB2940_25
; %bb.24:
	v_lshlrev_b32_e32 v17, 3, v20
	global_load_dwordx2 v[20:21], v17, s[4:5]
	s_waitcnt vmcnt(0)
	v_xor_b32_e32 v17, -1, v20
	v_and_b32_e32 v17, 1, v17
.LBB2940_25:
	s_or_b64 exec, exec, s[6:7]
	v_or_b32_e32 v22, 0x400, v0
	v_cmp_gt_u32_e32 vcc, s33, v22
	v_mov_b32_e32 v20, 0
	v_mov_b32_e32 v21, 0
	s_and_saveexec_b64 s[6:7], vcc
	s_cbranch_execz .LBB2940_27
; %bb.26:
	v_lshlrev_b32_e32 v21, 3, v22
	global_load_dwordx2 v[22:23], v21, s[4:5]
	s_waitcnt vmcnt(0)
	v_xor_b32_e32 v21, -1, v22
	v_and_b32_e32 v21, 1, v21
.LBB2940_27:
	s_or_b64 exec, exec, s[6:7]
	v_or_b32_e32 v22, 0x600, v0
	v_cmp_gt_u32_e32 vcc, s33, v22
	s_and_saveexec_b64 s[6:7], vcc
	s_cbranch_execz .LBB2940_29
; %bb.28:
	v_lshlrev_b32_e32 v20, 3, v22
	global_load_dwordx2 v[22:23], v20, s[4:5]
	s_waitcnt vmcnt(0)
	v_xor_b32_e32 v20, -1, v22
	v_and_b32_e32 v20, 1, v20
.LBB2940_29:
	s_or_b64 exec, exec, s[6:7]
	v_or_b32_e32 v24, 0x800, v0
	v_cmp_gt_u32_e32 vcc, s33, v24
	v_mov_b32_e32 v22, 0
	v_mov_b32_e32 v23, 0
	s_and_saveexec_b64 s[6:7], vcc
	s_cbranch_execz .LBB2940_31
; %bb.30:
	v_lshlrev_b32_e32 v23, 3, v24
	global_load_dwordx2 v[24:25], v23, s[4:5]
	s_waitcnt vmcnt(0)
	v_xor_b32_e32 v23, -1, v24
	v_and_b32_e32 v23, 1, v23
.LBB2940_31:
	s_or_b64 exec, exec, s[6:7]
	v_or_b32_e32 v24, 0xa00, v0
	v_cmp_gt_u32_e32 vcc, s33, v24
	s_and_saveexec_b64 s[6:7], vcc
	s_cbranch_execz .LBB2940_33
; %bb.32:
	v_lshlrev_b32_e32 v22, 3, v24
	global_load_dwordx2 v[24:25], v22, s[4:5]
	s_waitcnt vmcnt(0)
	v_xor_b32_e32 v22, -1, v24
	v_and_b32_e32 v22, 1, v22
.LBB2940_33:
	s_or_b64 exec, exec, s[6:7]
	v_or_b32_e32 v25, 0xc00, v0
	v_cmp_gt_u32_e32 vcc, s33, v25
	v_mov_b32_e32 v24, 0
	s_and_saveexec_b64 s[6:7], vcc
	s_cbranch_execz .LBB2940_35
; %bb.34:
	v_lshlrev_b32_e32 v24, 3, v25
	global_load_dwordx2 v[24:25], v24, s[4:5]
	s_waitcnt vmcnt(0)
	v_xor_b32_e32 v24, -1, v24
	v_and_b32_e32 v24, 1, v24
.LBB2940_35:
	s_or_b64 exec, exec, s[6:7]
	ds_write_b8 v0, v19
	ds_write_b8 v0, v17 offset:512
	ds_write_b8 v0, v21 offset:1024
	;; [unrolled: 1-line block ×6, first 2 shown]
	s_waitcnt lgkmcnt(0)
	s_barrier
.LBB2940_36:
	s_movk_i32 s3, 0xffcf
	v_mad_i32_i24 v35, v0, s3, v16
	s_waitcnt lgkmcnt(0)
	ds_read_u8 v16, v35
	ds_read_u8 v17, v35 offset:1
	ds_read_u8 v19, v35 offset:2
	;; [unrolled: 1-line block ×6, first 2 shown]
	s_waitcnt lgkmcnt(6)
	v_and_b32_e32 v33, 1, v16
	s_waitcnt lgkmcnt(5)
	v_and_b32_e32 v32, 1, v17
	;; [unrolled: 2-line block ×5, first 2 shown]
	v_add3_u32 v16, v32, v33, v31
	s_waitcnt lgkmcnt(1)
	v_and_b32_e32 v28, 1, v22
	s_waitcnt lgkmcnt(0)
	v_and_b32_e32 v19, 1, v23
	v_add3_u32 v16, v16, v30, v29
	v_add3_u32 v37, v16, v28, v19
	v_mbcnt_lo_u32_b32 v16, -1, 0
	v_mbcnt_hi_u32_b32 v34, -1, v16
	v_and_b32_e32 v16, 15, v34
	v_cmp_eq_u32_e64 s[14:15], 0, v16
	v_cmp_lt_u32_e64 s[12:13], 1, v16
	v_cmp_lt_u32_e64 s[10:11], 3, v16
	;; [unrolled: 1-line block ×3, first 2 shown]
	v_and_b32_e32 v16, 16, v34
	v_cmp_eq_u32_e64 s[6:7], 0, v16
	v_or_b32_e32 v16, 63, v0
	s_cmp_lg_u32 s2, 0
	v_cmp_lt_u32_e64 s[18:19], 31, v34
	v_lshrrev_b32_e32 v36, 6, v0
	v_cmp_eq_u32_e64 s[4:5], v16, v0
	s_barrier
	s_cbranch_scc0 .LBB2940_63
; %bb.37:
	v_mov_b32_dpp v16, v37 row_shr:1 row_mask:0xf bank_mask:0xf
	v_cndmask_b32_e64 v16, v16, 0, s[14:15]
	v_add_u32_e32 v16, v16, v37
	s_nop 1
	v_mov_b32_dpp v17, v16 row_shr:2 row_mask:0xf bank_mask:0xf
	v_cndmask_b32_e64 v17, 0, v17, s[12:13]
	v_add_u32_e32 v16, v16, v17
	s_nop 1
	;; [unrolled: 4-line block ×4, first 2 shown]
	v_mov_b32_dpp v17, v16 row_bcast:15 row_mask:0xf bank_mask:0xf
	v_cndmask_b32_e64 v17, v17, 0, s[6:7]
	v_add_u32_e32 v16, v16, v17
	s_nop 1
	v_mov_b32_dpp v17, v16 row_bcast:31 row_mask:0xf bank_mask:0xf
	v_cndmask_b32_e64 v17, 0, v17, s[18:19]
	v_add_u32_e32 v16, v16, v17
	s_and_saveexec_b64 s[16:17], s[4:5]
	s_cbranch_execz .LBB2940_39
; %bb.38:
	v_lshlrev_b32_e32 v17, 2, v36
	ds_write_b32 v17, v16
.LBB2940_39:
	s_or_b64 exec, exec, s[16:17]
	v_cmp_gt_u32_e32 vcc, 8, v0
	s_waitcnt lgkmcnt(0)
	s_barrier
	s_and_saveexec_b64 s[16:17], vcc
	s_cbranch_execz .LBB2940_41
; %bb.40:
	v_lshlrev_b32_e32 v17, 2, v0
	ds_read_b32 v20, v17
	v_and_b32_e32 v21, 7, v34
	v_cmp_ne_u32_e32 vcc, 0, v21
	s_waitcnt lgkmcnt(0)
	v_mov_b32_dpp v22, v20 row_shr:1 row_mask:0xf bank_mask:0xf
	v_cndmask_b32_e32 v22, 0, v22, vcc
	v_add_u32_e32 v20, v22, v20
	v_cmp_lt_u32_e32 vcc, 1, v21
	s_nop 0
	v_mov_b32_dpp v22, v20 row_shr:2 row_mask:0xf bank_mask:0xf
	v_cndmask_b32_e32 v22, 0, v22, vcc
	v_add_u32_e32 v20, v20, v22
	v_cmp_lt_u32_e32 vcc, 3, v21
	s_nop 0
	v_mov_b32_dpp v22, v20 row_shr:4 row_mask:0xf bank_mask:0xf
	v_cndmask_b32_e32 v21, 0, v22, vcc
	v_add_u32_e32 v20, v20, v21
	ds_write_b32 v17, v20
.LBB2940_41:
	s_or_b64 exec, exec, s[16:17]
	v_cmp_gt_u32_e32 vcc, 64, v0
	v_cmp_lt_u32_e64 s[16:17], 63, v0
	s_waitcnt lgkmcnt(0)
	s_barrier
	s_waitcnt lgkmcnt(0)
                                        ; implicit-def: $vgpr38
	s_and_saveexec_b64 s[36:37], s[16:17]
	s_cbranch_execz .LBB2940_43
; %bb.42:
	v_lshl_add_u32 v17, v36, 2, -4
	ds_read_b32 v38, v17
	s_waitcnt lgkmcnt(0)
	v_add_u32_e32 v16, v38, v16
.LBB2940_43:
	s_or_b64 exec, exec, s[36:37]
	v_add_u32_e32 v17, -1, v34
	v_and_b32_e32 v20, 64, v34
	v_cmp_lt_i32_e64 s[16:17], v17, v20
	s_nop 1
	v_cndmask_b32_e64 v17, v17, v34, s[16:17]
	v_lshlrev_b32_e32 v17, 2, v17
	ds_bpermute_b32 v39, v17, v16
	v_cmp_eq_u32_e64 s[16:17], 0, v34
	s_and_saveexec_b64 s[36:37], vcc
	s_cbranch_execz .LBB2940_62
; %bb.44:
	v_mov_b32_e32 v25, 0
	ds_read_b32 v16, v25 offset:28
	s_and_saveexec_b64 s[38:39], s[16:17]
	s_cbranch_execz .LBB2940_46
; %bb.45:
	s_add_i32 s40, s2, 64
	s_mov_b32 s41, 0
	s_lshl_b64 s[40:41], s[40:41], 3
	s_add_u32 s40, s34, s40
	v_mov_b32_e32 v17, 1
	s_addc_u32 s41, s35, s41
	s_waitcnt lgkmcnt(0)
	global_store_dwordx2 v25, v[16:17], s[40:41] sc1
.LBB2940_46:
	s_or_b64 exec, exec, s[38:39]
	v_xad_u32 v20, v34, -1, s2
	v_add_u32_e32 v24, 64, v20
	v_lshl_add_u64 v[26:27], v[24:25], 3, s[34:35]
	global_load_dwordx2 v[22:23], v[26:27], off sc1
	s_waitcnt vmcnt(0)
	v_cmp_eq_u16_sdwa s[40:41], v23, v25 src0_sel:BYTE_0 src1_sel:DWORD
	s_and_saveexec_b64 s[38:39], s[40:41]
	s_cbranch_execz .LBB2940_50
; %bb.47:
	s_mov_b64 s[40:41], 0
	v_mov_b32_e32 v17, 0
.LBB2940_48:                            ; =>This Inner Loop Header: Depth=1
	global_load_dwordx2 v[22:23], v[26:27], off sc1
	s_waitcnt vmcnt(0)
	v_cmp_ne_u16_sdwa s[42:43], v23, v17 src0_sel:BYTE_0 src1_sel:DWORD
	s_or_b64 s[40:41], s[42:43], s[40:41]
	s_andn2_b64 exec, exec, s[40:41]
	s_cbranch_execnz .LBB2940_48
; %bb.49:
	s_or_b64 exec, exec, s[40:41]
.LBB2940_50:
	s_or_b64 exec, exec, s[38:39]
	v_and_b32_e32 v41, 63, v34
	v_mov_b32_e32 v40, 2
	v_cmp_ne_u32_e32 vcc, 63, v41
	v_cmp_eq_u16_sdwa s[38:39], v23, v40 src0_sel:BYTE_0 src1_sel:DWORD
	v_lshlrev_b64 v[24:25], v34, -1
	v_addc_co_u32_e32 v26, vcc, 0, v34, vcc
	v_and_b32_e32 v17, s39, v25
	v_lshlrev_b32_e32 v42, 2, v26
	v_or_b32_e32 v17, 0x80000000, v17
	ds_bpermute_b32 v26, v42, v22
	v_and_b32_e32 v21, s38, v24
	v_ffbl_b32_e32 v17, v17
	v_add_u32_e32 v17, 32, v17
	v_ffbl_b32_e32 v21, v21
	v_min_u32_e32 v17, v21, v17
	v_cmp_lt_u32_e32 vcc, v41, v17
	v_add_u32_e32 v44, 2, v41
	v_add_u32_e32 v46, 4, v41
	s_waitcnt lgkmcnt(0)
	v_cndmask_b32_e32 v21, 0, v26, vcc
	v_cmp_gt_u32_e32 vcc, 62, v41
	v_add_u32_e32 v21, v21, v22
	v_add_u32_e32 v48, 8, v41
	v_cndmask_b32_e64 v22, 0, 1, vcc
	v_lshlrev_b32_e32 v22, 1, v22
	v_add_lshl_u32 v43, v22, v34, 2
	ds_bpermute_b32 v22, v43, v21
	v_cmp_le_u32_e32 vcc, v44, v17
	v_add_u32_e32 v50, 16, v41
	v_add_u32_e32 v52, 32, v41
	s_waitcnt lgkmcnt(0)
	v_cndmask_b32_e32 v22, 0, v22, vcc
	v_cmp_gt_u32_e32 vcc, 60, v41
	v_add_u32_e32 v21, v21, v22
	s_nop 0
	v_cndmask_b32_e64 v22, 0, 1, vcc
	v_lshlrev_b32_e32 v22, 2, v22
	v_add_lshl_u32 v45, v22, v34, 2
	ds_bpermute_b32 v22, v45, v21
	v_cmp_le_u32_e32 vcc, v46, v17
	s_waitcnt lgkmcnt(0)
	s_nop 0
	v_cndmask_b32_e32 v22, 0, v22, vcc
	v_cmp_gt_u32_e32 vcc, 56, v41
	v_add_u32_e32 v21, v21, v22
	s_nop 0
	v_cndmask_b32_e64 v22, 0, 1, vcc
	v_lshlrev_b32_e32 v22, 3, v22
	v_add_lshl_u32 v47, v22, v34, 2
	ds_bpermute_b32 v22, v47, v21
	v_cmp_le_u32_e32 vcc, v48, v17
	s_waitcnt lgkmcnt(0)
	s_nop 0
	;; [unrolled: 11-line block ×4, first 2 shown]
	v_cndmask_b32_e32 v17, 0, v22, vcc
	v_add_u32_e32 v22, v21, v17
	v_mov_b32_e32 v21, 0
	s_branch .LBB2940_52
.LBB2940_51:                            ;   in Loop: Header=BB2940_52 Depth=1
	s_or_b64 exec, exec, s[38:39]
	v_cmp_eq_u16_sdwa s[38:39], v23, v40 src0_sel:BYTE_0 src1_sel:DWORD
	ds_bpermute_b32 v53, v42, v22
	v_subrev_u32_e32 v20, 64, v20
	v_and_b32_e32 v26, s39, v25
	v_or_b32_e32 v26, 0x80000000, v26
	v_and_b32_e32 v27, s38, v24
	v_ffbl_b32_e32 v26, v26
	v_add_u32_e32 v26, 32, v26
	v_ffbl_b32_e32 v27, v27
	v_min_u32_e32 v26, v27, v26
	v_cmp_lt_u32_e32 vcc, v41, v26
	s_waitcnt lgkmcnt(0)
	s_nop 0
	v_cndmask_b32_e32 v27, 0, v53, vcc
	v_add_u32_e32 v22, v27, v22
	ds_bpermute_b32 v27, v43, v22
	v_cmp_le_u32_e32 vcc, v44, v26
	s_waitcnt lgkmcnt(0)
	s_nop 0
	v_cndmask_b32_e32 v27, 0, v27, vcc
	v_add_u32_e32 v22, v22, v27
	ds_bpermute_b32 v27, v45, v22
	v_cmp_le_u32_e32 vcc, v46, v26
	;; [unrolled: 6-line block ×5, first 2 shown]
	s_waitcnt lgkmcnt(0)
	s_nop 0
	v_cndmask_b32_e32 v26, 0, v27, vcc
	v_add3_u32 v22, v26, v17, v22
.LBB2940_52:                            ; =>This Loop Header: Depth=1
                                        ;     Child Loop BB2940_55 Depth 2
	v_cmp_ne_u16_sdwa s[38:39], v23, v40 src0_sel:BYTE_0 src1_sel:DWORD
	s_nop 1
	v_cndmask_b32_e64 v17, 0, 1, s[38:39]
	;;#ASMSTART
	;;#ASMEND
	s_nop 0
	v_cmp_ne_u32_e32 vcc, 0, v17
	s_cmp_lg_u64 vcc, exec
	v_mov_b32_e32 v17, v22
	s_cbranch_scc1 .LBB2940_57
; %bb.53:                               ;   in Loop: Header=BB2940_52 Depth=1
	v_lshl_add_u64 v[26:27], v[20:21], 3, s[34:35]
	global_load_dwordx2 v[22:23], v[26:27], off sc1
	s_waitcnt vmcnt(0)
	v_cmp_eq_u16_sdwa s[40:41], v23, v21 src0_sel:BYTE_0 src1_sel:DWORD
	s_and_saveexec_b64 s[38:39], s[40:41]
	s_cbranch_execz .LBB2940_51
; %bb.54:                               ;   in Loop: Header=BB2940_52 Depth=1
	s_mov_b64 s[40:41], 0
.LBB2940_55:                            ;   Parent Loop BB2940_52 Depth=1
                                        ; =>  This Inner Loop Header: Depth=2
	global_load_dwordx2 v[22:23], v[26:27], off sc1
	s_waitcnt vmcnt(0)
	v_cmp_ne_u16_sdwa s[42:43], v23, v21 src0_sel:BYTE_0 src1_sel:DWORD
	s_or_b64 s[40:41], s[42:43], s[40:41]
	s_andn2_b64 exec, exec, s[40:41]
	s_cbranch_execnz .LBB2940_55
; %bb.56:                               ;   in Loop: Header=BB2940_52 Depth=1
	s_or_b64 exec, exec, s[40:41]
	s_branch .LBB2940_51
.LBB2940_57:                            ;   in Loop: Header=BB2940_52 Depth=1
                                        ; implicit-def: $vgpr22
                                        ; implicit-def: $vgpr23
	s_cbranch_execz .LBB2940_52
; %bb.58:
	s_and_saveexec_b64 s[38:39], s[16:17]
	s_cbranch_execz .LBB2940_60
; %bb.59:
	s_add_i32 s2, s2, 64
	s_mov_b32 s3, 0
	s_lshl_b64 s[2:3], s[2:3], 3
	s_add_u32 s2, s34, s2
	v_add_u32_e32 v20, v17, v16
	v_mov_b32_e32 v21, 2
	s_addc_u32 s3, s35, s3
	v_mov_b32_e32 v22, 0
	global_store_dwordx2 v22, v[20:21], s[2:3] sc1
	ds_write_b64 v22, v[16:17] offset:28672
.LBB2940_60:
	s_or_b64 exec, exec, s[38:39]
	v_cmp_eq_u32_e32 vcc, 0, v0
	s_and_b64 exec, exec, vcc
	s_cbranch_execz .LBB2940_62
; %bb.61:
	v_mov_b32_e32 v16, 0
	ds_write_b32 v16, v17 offset:28
.LBB2940_62:
	s_or_b64 exec, exec, s[36:37]
	v_mov_b32_e32 v16, 0
	s_waitcnt lgkmcnt(0)
	s_barrier
	ds_read_b32 v17, v16 offset:28
	v_cndmask_b32_e64 v20, v39, v38, s[16:17]
	v_cmp_ne_u32_e32 vcc, 0, v0
	s_waitcnt lgkmcnt(0)
	s_barrier
	v_cndmask_b32_e32 v20, 0, v20, vcc
	v_add_u32_e32 v27, v17, v20
	v_add_u32_e32 v26, v27, v33
	ds_read_b64 v[16:17], v16 offset:28672
	v_add_u32_e32 v25, v26, v32
	v_add_u32_e32 v23, v25, v31
	;; [unrolled: 1-line block ×5, first 2 shown]
	s_waitcnt lgkmcnt(0)
	v_mov_b32_e32 v22, v17
	s_branch .LBB2940_73
.LBB2940_63:
                                        ; implicit-def: $vgpr22
                                        ; implicit-def: $vgpr16
                                        ; implicit-def: $vgpr20
                                        ; implicit-def: $vgpr21
                                        ; implicit-def: $vgpr24
                                        ; implicit-def: $vgpr23
                                        ; implicit-def: $vgpr25
                                        ; implicit-def: $vgpr26
                                        ; implicit-def: $vgpr27
	s_cbranch_execz .LBB2940_73
; %bb.64:
	s_nop 0
	v_mov_b32_dpp v16, v37 row_shr:1 row_mask:0xf bank_mask:0xf
	v_cndmask_b32_e64 v16, v16, 0, s[14:15]
	v_add_u32_e32 v16, v16, v37
	s_nop 1
	v_mov_b32_dpp v17, v16 row_shr:2 row_mask:0xf bank_mask:0xf
	v_cndmask_b32_e64 v17, 0, v17, s[12:13]
	v_add_u32_e32 v16, v16, v17
	;; [unrolled: 4-line block ×4, first 2 shown]
	s_nop 1
	v_mov_b32_dpp v17, v16 row_bcast:15 row_mask:0xf bank_mask:0xf
	v_cndmask_b32_e64 v17, v17, 0, s[6:7]
	v_add_u32_e32 v16, v16, v17
	s_nop 1
	v_mov_b32_dpp v17, v16 row_bcast:31 row_mask:0xf bank_mask:0xf
	v_cndmask_b32_e64 v17, 0, v17, s[18:19]
	v_add_u32_e32 v16, v16, v17
	s_and_saveexec_b64 s[2:3], s[4:5]
	s_cbranch_execz .LBB2940_66
; %bb.65:
	v_lshlrev_b32_e32 v17, 2, v36
	ds_write_b32 v17, v16
.LBB2940_66:
	s_or_b64 exec, exec, s[2:3]
	v_cmp_gt_u32_e32 vcc, 8, v0
	s_waitcnt lgkmcnt(0)
	s_barrier
	s_and_saveexec_b64 s[2:3], vcc
	s_cbranch_execz .LBB2940_68
; %bb.67:
	v_mad_i32_i24 v17, v0, -3, v35
	ds_read_b32 v20, v17
	v_and_b32_e32 v21, 7, v34
	v_cmp_ne_u32_e32 vcc, 0, v21
	s_waitcnt lgkmcnt(0)
	v_mov_b32_dpp v22, v20 row_shr:1 row_mask:0xf bank_mask:0xf
	v_cndmask_b32_e32 v22, 0, v22, vcc
	v_add_u32_e32 v20, v22, v20
	v_cmp_lt_u32_e32 vcc, 1, v21
	s_nop 0
	v_mov_b32_dpp v22, v20 row_shr:2 row_mask:0xf bank_mask:0xf
	v_cndmask_b32_e32 v22, 0, v22, vcc
	v_add_u32_e32 v20, v20, v22
	v_cmp_lt_u32_e32 vcc, 3, v21
	s_nop 0
	v_mov_b32_dpp v22, v20 row_shr:4 row_mask:0xf bank_mask:0xf
	v_cndmask_b32_e32 v21, 0, v22, vcc
	v_add_u32_e32 v20, v20, v21
	ds_write_b32 v17, v20
.LBB2940_68:
	s_or_b64 exec, exec, s[2:3]
	v_cmp_lt_u32_e32 vcc, 63, v0
	v_mov_b32_e32 v17, 0
	v_mov_b32_e32 v20, 0
	s_waitcnt lgkmcnt(0)
	s_barrier
	s_and_saveexec_b64 s[2:3], vcc
	s_cbranch_execz .LBB2940_70
; %bb.69:
	v_lshl_add_u32 v20, v36, 2, -4
	ds_read_b32 v20, v20
.LBB2940_70:
	s_or_b64 exec, exec, s[2:3]
	v_add_u32_e32 v21, -1, v34
	v_and_b32_e32 v22, 64, v34
	v_cmp_lt_i32_e32 vcc, v21, v22
	s_waitcnt lgkmcnt(0)
	v_add_u32_e32 v16, v20, v16
	v_cndmask_b32_e32 v21, v21, v34, vcc
	v_lshlrev_b32_e32 v21, 2, v21
	ds_bpermute_b32 v21, v21, v16
	ds_read_b32 v16, v17 offset:28
	v_cmp_eq_u32_e32 vcc, 0, v0
	s_and_saveexec_b64 s[2:3], vcc
	s_cbranch_execz .LBB2940_72
; %bb.71:
	v_mov_b32_e32 v22, 0
	v_mov_b32_e32 v17, 2
	s_waitcnt lgkmcnt(0)
	global_store_dwordx2 v22, v[16:17], s[34:35] offset:512 sc1
.LBB2940_72:
	s_or_b64 exec, exec, s[2:3]
	v_cmp_eq_u32_e64 s[2:3], 0, v34
	v_mov_b32_e32 v22, 0
	s_waitcnt lgkmcnt(0)
	v_cndmask_b32_e64 v17, v21, v20, s[2:3]
	v_cndmask_b32_e64 v27, v17, 0, vcc
	v_add_u32_e32 v26, v27, v33
	v_add_u32_e32 v25, v26, v32
	;; [unrolled: 1-line block ×6, first 2 shown]
	s_barrier
.LBB2940_73:
	v_add_u32_e32 v1, v16, v1
	v_sub_u32_e32 v17, v27, v22
	v_sub_u32_e32 v27, v1, v17
	v_cmp_eq_u32_e32 vcc, 1, v33
	s_load_dwordx2 s[0:1], s[0:1], 0x40
	s_nop 0
	v_cndmask_b32_e32 v17, v27, v17, vcc
	v_lshlrev_b32_e32 v17, 3, v17
	ds_write_b64 v17, v[10:11]
	v_sub_u32_e32 v10, v26, v22
	v_sub_u32_e32 v11, v1, v10
	v_add_u32_e32 v11, 1, v11
	v_cmp_eq_u32_e32 vcc, 1, v32
	v_or_b32_e32 v27, 0x200, v0
	v_or_b32_e32 v26, 0x400, v0
	v_cndmask_b32_e32 v10, v11, v10, vcc
	v_lshlrev_b32_e32 v10, 3, v10
	ds_write_b64 v10, v[12:13]
	v_sub_u32_e32 v10, v25, v22
	v_sub_u32_e32 v11, v1, v10
	v_add_u32_e32 v11, 2, v11
	v_cmp_eq_u32_e32 vcc, 1, v31
	v_or_b32_e32 v25, 0x600, v0
	s_nop 0
	v_cndmask_b32_e32 v10, v11, v10, vcc
	v_lshlrev_b32_e32 v10, 3, v10
	ds_write_b64 v10, v[6:7]
	v_sub_u32_e32 v6, v23, v22
	v_sub_u32_e32 v7, v1, v6
	v_add_u32_e32 v7, 3, v7
	v_cmp_eq_u32_e32 vcc, 1, v30
	v_mov_b32_e32 v23, 0
	v_mov_b32_e32 v17, v23
	v_cndmask_b32_e32 v6, v7, v6, vcc
	v_lshlrev_b32_e32 v6, 3, v6
	ds_write_b64 v6, v[8:9]
	v_sub_u32_e32 v6, v24, v22
	v_sub_u32_e32 v7, v1, v6
	v_add_u32_e32 v7, 4, v7
	v_cmp_eq_u32_e32 vcc, 1, v29
	v_or_b32_e32 v24, 0x800, v0
	s_nop 0
	v_cndmask_b32_e32 v6, v7, v6, vcc
	v_lshlrev_b32_e32 v6, 3, v6
	ds_write_b64 v6, v[2:3]
	v_sub_u32_e32 v2, v21, v22
	v_sub_u32_e32 v3, v1, v2
	v_add_u32_e32 v3, 5, v3
	v_cmp_eq_u32_e32 vcc, 1, v28
	s_nop 1
	v_cndmask_b32_e32 v2, v3, v2, vcc
	v_lshlrev_b32_e32 v2, 3, v2
	ds_write_b64 v2, v[4:5]
	v_sub_u32_e32 v2, v20, v22
	v_sub_u32_e32 v1, v1, v2
	v_add_u32_e32 v1, 6, v1
	v_cmp_eq_u32_e32 vcc, 1, v19
	v_or_b32_e32 v19, 0xa00, v0
	s_nop 0
	v_cndmask_b32_e32 v1, v1, v2, vcc
	v_lshlrev_b32_e32 v1, 3, v1
	ds_write_b64 v1, v[14:15]
	v_lshl_add_u64 v[14:15], s[24:25], 0, v[16:17]
	v_lshl_add_u64 v[14:15], v[14:15], 0, v[22:23]
	s_waitcnt lgkmcnt(0)
	s_barrier
	ds_read2st64_b64 v[10:13], v18 offset1:8
	ds_read2st64_b64 v[6:9], v18 offset0:16 offset1:24
	ds_read2st64_b64 v[2:5], v18 offset0:32 offset1:40
	ds_read_b64 v[20:21], v18 offset:24576
	v_mov_b32_e32 v17, s27
	v_sub_co_u32_e32 v22, vcc, s26, v14
	v_or_b32_e32 v1, 0xc00, v0
	s_nop 0
	v_subb_co_u32_e32 v23, vcc, v17, v15, vcc
	v_lshlrev_b64 v[22:23], 3, v[22:23]
	v_lshl_add_u64 v[22:23], s[0:1], 0, v[22:23]
	v_lshl_add_u64 v[22:23], v[22:23], 0, s[30:31]
	s_andn2_b64 vcc, exec, s[28:29]
	v_cmp_ge_u32_e64 s[0:1], v0, v16
	s_cbranch_vccnz .LBB2940_82
; %bb.74:
	s_and_saveexec_b64 s[2:3], s[0:1]
	s_cbranch_execnz .LBB2940_101
; %bb.75:
	s_or_b64 exec, exec, s[2:3]
	v_cmp_ge_u32_e32 vcc, v27, v16
	s_and_saveexec_b64 s[0:1], vcc
	s_cbranch_execnz .LBB2940_102
.LBB2940_76:
	s_or_b64 exec, exec, s[0:1]
	v_cmp_ge_u32_e32 vcc, v26, v16
	s_and_saveexec_b64 s[0:1], vcc
	s_cbranch_execnz .LBB2940_103
.LBB2940_77:
	s_or_b64 exec, exec, s[0:1]
	v_cmp_ge_u32_e32 vcc, v25, v16
	s_and_saveexec_b64 s[0:1], vcc
	s_cbranch_execnz .LBB2940_104
.LBB2940_78:
	s_or_b64 exec, exec, s[0:1]
	v_cmp_ge_u32_e32 vcc, v24, v16
	s_and_saveexec_b64 s[0:1], vcc
	s_cbranch_execnz .LBB2940_105
.LBB2940_79:
	s_or_b64 exec, exec, s[0:1]
	v_cmp_ge_u32_e32 vcc, v19, v16
	s_and_saveexec_b64 s[0:1], vcc
	s_cbranch_execz .LBB2940_81
.LBB2940_80:
	v_lshlrev_b32_e32 v17, 3, v19
	v_readfirstlane_b32 s2, v22
	v_readfirstlane_b32 s3, v23
	s_waitcnt lgkmcnt(1)
	s_nop 3
	global_store_dwordx2 v17, v[4:5], s[2:3]
.LBB2940_81:
	s_or_b64 exec, exec, s[0:1]
	v_cmp_ge_u32_e64 s[0:1], v1, v16
	s_branch .LBB2940_96
.LBB2940_82:
	s_mov_b64 s[0:1], 0
	s_cbranch_execz .LBB2940_96
; %bb.83:
	v_cmp_gt_u32_e32 vcc, s33, v0
	v_cmp_ge_u32_e64 s[0:1], v0, v16
	s_and_b64 s[2:3], vcc, s[0:1]
	s_and_saveexec_b64 s[0:1], s[2:3]
	s_cbranch_execz .LBB2940_85
; %bb.84:
	v_readfirstlane_b32 s2, v22
	v_readfirstlane_b32 s3, v23
	s_waitcnt lgkmcnt(3)
	s_nop 3
	global_store_dwordx2 v18, v[10:11], s[2:3]
.LBB2940_85:
	s_or_b64 exec, exec, s[0:1]
	v_cmp_gt_u32_e32 vcc, s33, v27
	v_cmp_ge_u32_e64 s[0:1], v27, v16
	s_and_b64 s[2:3], vcc, s[0:1]
	s_and_saveexec_b64 s[0:1], s[2:3]
	s_cbranch_execz .LBB2940_87
; %bb.86:
	s_waitcnt lgkmcnt(3)
	v_lshlrev_b32_e32 v10, 3, v27
	v_readfirstlane_b32 s2, v22
	v_readfirstlane_b32 s3, v23
	s_nop 4
	global_store_dwordx2 v10, v[12:13], s[2:3]
.LBB2940_87:
	s_or_b64 exec, exec, s[0:1]
	v_cmp_gt_u32_e32 vcc, s33, v26
	v_cmp_ge_u32_e64 s[0:1], v26, v16
	s_and_b64 s[2:3], vcc, s[0:1]
	s_and_saveexec_b64 s[0:1], s[2:3]
	s_cbranch_execz .LBB2940_89
; %bb.88:
	s_waitcnt lgkmcnt(3)
	v_lshlrev_b32_e32 v10, 3, v26
	v_readfirstlane_b32 s2, v22
	v_readfirstlane_b32 s3, v23
	s_waitcnt lgkmcnt(2)
	s_nop 3
	global_store_dwordx2 v10, v[6:7], s[2:3]
.LBB2940_89:
	s_or_b64 exec, exec, s[0:1]
	v_cmp_gt_u32_e32 vcc, s33, v25
	v_cmp_ge_u32_e64 s[0:1], v25, v16
	s_and_b64 s[2:3], vcc, s[0:1]
	s_and_saveexec_b64 s[0:1], s[2:3]
	s_cbranch_execz .LBB2940_91
; %bb.90:
	s_waitcnt lgkmcnt(2)
	v_lshlrev_b32_e32 v6, 3, v25
	v_readfirstlane_b32 s2, v22
	v_readfirstlane_b32 s3, v23
	s_nop 4
	global_store_dwordx2 v6, v[8:9], s[2:3]
.LBB2940_91:
	s_or_b64 exec, exec, s[0:1]
	v_cmp_gt_u32_e32 vcc, s33, v24
	v_cmp_ge_u32_e64 s[0:1], v24, v16
	s_and_b64 s[2:3], vcc, s[0:1]
	s_and_saveexec_b64 s[0:1], s[2:3]
	s_cbranch_execz .LBB2940_93
; %bb.92:
	s_waitcnt lgkmcnt(2)
	v_lshlrev_b32_e32 v6, 3, v24
	v_readfirstlane_b32 s2, v22
	v_readfirstlane_b32 s3, v23
	s_waitcnt lgkmcnt(1)
	s_nop 3
	global_store_dwordx2 v6, v[2:3], s[2:3]
.LBB2940_93:
	s_or_b64 exec, exec, s[0:1]
	v_cmp_gt_u32_e32 vcc, s33, v19
	v_cmp_ge_u32_e64 s[0:1], v19, v16
	s_and_b64 s[2:3], vcc, s[0:1]
	s_and_saveexec_b64 s[0:1], s[2:3]
	s_cbranch_execz .LBB2940_95
; %bb.94:
	s_waitcnt lgkmcnt(1)
	v_lshlrev_b32_e32 v2, 3, v19
	v_readfirstlane_b32 s2, v22
	v_readfirstlane_b32 s3, v23
	s_nop 4
	global_store_dwordx2 v2, v[4:5], s[2:3]
.LBB2940_95:
	s_or_b64 exec, exec, s[0:1]
	v_cmp_gt_u32_e32 vcc, s33, v1
	v_cmp_ge_u32_e64 s[0:1], v1, v16
	s_and_b64 s[0:1], vcc, s[0:1]
.LBB2940_96:
	s_and_saveexec_b64 s[2:3], s[0:1]
	s_cbranch_execz .LBB2940_98
; %bb.97:
	v_lshlrev_b32_e32 v1, 3, v1
	v_readfirstlane_b32 s0, v22
	v_readfirstlane_b32 s1, v23
	s_waitcnt lgkmcnt(0)
	s_nop 3
	global_store_dwordx2 v1, v[20:21], s[0:1]
.LBB2940_98:
	s_or_b64 exec, exec, s[2:3]
	v_cmp_eq_u32_e32 vcc, 0, v0
	s_and_b64 s[0:1], vcc, s[22:23]
	s_and_saveexec_b64 s[2:3], s[0:1]
	s_cbranch_execz .LBB2940_100
; %bb.99:
	v_mov_b32_e32 v0, 0
	global_store_dwordx2 v0, v[14:15], s[20:21]
.LBB2940_100:
	s_endpgm
.LBB2940_101:
	v_readfirstlane_b32 s0, v22
	v_readfirstlane_b32 s1, v23
	s_waitcnt lgkmcnt(3)
	s_nop 3
	global_store_dwordx2 v18, v[10:11], s[0:1]
	s_or_b64 exec, exec, s[2:3]
	v_cmp_ge_u32_e32 vcc, v27, v16
	s_and_saveexec_b64 s[0:1], vcc
	s_cbranch_execz .LBB2940_76
.LBB2940_102:
	v_lshlrev_b32_e32 v17, 3, v27
	v_readfirstlane_b32 s2, v22
	v_readfirstlane_b32 s3, v23
	s_waitcnt lgkmcnt(3)
	s_nop 3
	global_store_dwordx2 v17, v[12:13], s[2:3]
	s_or_b64 exec, exec, s[0:1]
	v_cmp_ge_u32_e32 vcc, v26, v16
	s_and_saveexec_b64 s[0:1], vcc
	s_cbranch_execz .LBB2940_77
.LBB2940_103:
	v_lshlrev_b32_e32 v17, 3, v26
	v_readfirstlane_b32 s2, v22
	v_readfirstlane_b32 s3, v23
	s_waitcnt lgkmcnt(2)
	s_nop 3
	global_store_dwordx2 v17, v[6:7], s[2:3]
	s_or_b64 exec, exec, s[0:1]
	v_cmp_ge_u32_e32 vcc, v25, v16
	s_and_saveexec_b64 s[0:1], vcc
	s_cbranch_execz .LBB2940_78
.LBB2940_104:
	v_lshlrev_b32_e32 v17, 3, v25
	v_readfirstlane_b32 s2, v22
	v_readfirstlane_b32 s3, v23
	s_waitcnt lgkmcnt(2)
	s_nop 3
	global_store_dwordx2 v17, v[8:9], s[2:3]
	s_or_b64 exec, exec, s[0:1]
	v_cmp_ge_u32_e32 vcc, v24, v16
	s_and_saveexec_b64 s[0:1], vcc
	s_cbranch_execz .LBB2940_79
.LBB2940_105:
	v_lshlrev_b32_e32 v17, 3, v24
	v_readfirstlane_b32 s2, v22
	v_readfirstlane_b32 s3, v23
	s_waitcnt lgkmcnt(1)
	s_nop 3
	global_store_dwordx2 v17, v[2:3], s[2:3]
	s_or_b64 exec, exec, s[0:1]
	v_cmp_ge_u32_e32 vcc, v19, v16
	s_and_saveexec_b64 s[0:1], vcc
	s_cbranch_execnz .LBB2940_80
	s_branch .LBB2940_81
	.section	.rodata,"a",@progbits
	.p2align	6, 0x0
	.amdhsa_kernel _ZN7rocprim17ROCPRIM_400000_NS6detail17trampoline_kernelINS0_14default_configENS1_25partition_config_selectorILNS1_17partition_subalgoE1EyNS0_10empty_typeEbEEZZNS1_14partition_implILS5_1ELb0ES3_jN6thrust23THRUST_200600_302600_NS6detail15normal_iteratorINSA_10device_ptrIyEEEEPS6_NSA_18transform_iteratorI7is_evenIyESF_NSA_11use_defaultESK_EENS0_5tupleIJNSA_16discard_iteratorISK_EESF_EEENSM_IJSG_SG_EEES6_PlJS6_EEE10hipError_tPvRmT3_T4_T5_T6_T7_T9_mT8_P12ihipStream_tbDpT10_ENKUlT_T0_E_clISt17integral_constantIbLb0EES1B_EEDaS16_S17_EUlS16_E_NS1_11comp_targetILNS1_3genE5ELNS1_11target_archE942ELNS1_3gpuE9ELNS1_3repE0EEENS1_30default_config_static_selectorELNS0_4arch9wavefront6targetE1EEEvT1_
		.amdhsa_group_segment_fixed_size 28680
		.amdhsa_private_segment_fixed_size 0
		.amdhsa_kernarg_size 136
		.amdhsa_user_sgpr_count 2
		.amdhsa_user_sgpr_dispatch_ptr 0
		.amdhsa_user_sgpr_queue_ptr 0
		.amdhsa_user_sgpr_kernarg_segment_ptr 1
		.amdhsa_user_sgpr_dispatch_id 0
		.amdhsa_user_sgpr_kernarg_preload_length 0
		.amdhsa_user_sgpr_kernarg_preload_offset 0
		.amdhsa_user_sgpr_private_segment_size 0
		.amdhsa_uses_dynamic_stack 0
		.amdhsa_enable_private_segment 0
		.amdhsa_system_sgpr_workgroup_id_x 1
		.amdhsa_system_sgpr_workgroup_id_y 0
		.amdhsa_system_sgpr_workgroup_id_z 0
		.amdhsa_system_sgpr_workgroup_info 0
		.amdhsa_system_vgpr_workitem_id 0
		.amdhsa_next_free_vgpr 54
		.amdhsa_next_free_sgpr 44
		.amdhsa_accum_offset 56
		.amdhsa_reserve_vcc 1
		.amdhsa_float_round_mode_32 0
		.amdhsa_float_round_mode_16_64 0
		.amdhsa_float_denorm_mode_32 3
		.amdhsa_float_denorm_mode_16_64 3
		.amdhsa_dx10_clamp 1
		.amdhsa_ieee_mode 1
		.amdhsa_fp16_overflow 0
		.amdhsa_tg_split 0
		.amdhsa_exception_fp_ieee_invalid_op 0
		.amdhsa_exception_fp_denorm_src 0
		.amdhsa_exception_fp_ieee_div_zero 0
		.amdhsa_exception_fp_ieee_overflow 0
		.amdhsa_exception_fp_ieee_underflow 0
		.amdhsa_exception_fp_ieee_inexact 0
		.amdhsa_exception_int_div_zero 0
	.end_amdhsa_kernel
	.section	.text._ZN7rocprim17ROCPRIM_400000_NS6detail17trampoline_kernelINS0_14default_configENS1_25partition_config_selectorILNS1_17partition_subalgoE1EyNS0_10empty_typeEbEEZZNS1_14partition_implILS5_1ELb0ES3_jN6thrust23THRUST_200600_302600_NS6detail15normal_iteratorINSA_10device_ptrIyEEEEPS6_NSA_18transform_iteratorI7is_evenIyESF_NSA_11use_defaultESK_EENS0_5tupleIJNSA_16discard_iteratorISK_EESF_EEENSM_IJSG_SG_EEES6_PlJS6_EEE10hipError_tPvRmT3_T4_T5_T6_T7_T9_mT8_P12ihipStream_tbDpT10_ENKUlT_T0_E_clISt17integral_constantIbLb0EES1B_EEDaS16_S17_EUlS16_E_NS1_11comp_targetILNS1_3genE5ELNS1_11target_archE942ELNS1_3gpuE9ELNS1_3repE0EEENS1_30default_config_static_selectorELNS0_4arch9wavefront6targetE1EEEvT1_,"axG",@progbits,_ZN7rocprim17ROCPRIM_400000_NS6detail17trampoline_kernelINS0_14default_configENS1_25partition_config_selectorILNS1_17partition_subalgoE1EyNS0_10empty_typeEbEEZZNS1_14partition_implILS5_1ELb0ES3_jN6thrust23THRUST_200600_302600_NS6detail15normal_iteratorINSA_10device_ptrIyEEEEPS6_NSA_18transform_iteratorI7is_evenIyESF_NSA_11use_defaultESK_EENS0_5tupleIJNSA_16discard_iteratorISK_EESF_EEENSM_IJSG_SG_EEES6_PlJS6_EEE10hipError_tPvRmT3_T4_T5_T6_T7_T9_mT8_P12ihipStream_tbDpT10_ENKUlT_T0_E_clISt17integral_constantIbLb0EES1B_EEDaS16_S17_EUlS16_E_NS1_11comp_targetILNS1_3genE5ELNS1_11target_archE942ELNS1_3gpuE9ELNS1_3repE0EEENS1_30default_config_static_selectorELNS0_4arch9wavefront6targetE1EEEvT1_,comdat
.Lfunc_end2940:
	.size	_ZN7rocprim17ROCPRIM_400000_NS6detail17trampoline_kernelINS0_14default_configENS1_25partition_config_selectorILNS1_17partition_subalgoE1EyNS0_10empty_typeEbEEZZNS1_14partition_implILS5_1ELb0ES3_jN6thrust23THRUST_200600_302600_NS6detail15normal_iteratorINSA_10device_ptrIyEEEEPS6_NSA_18transform_iteratorI7is_evenIyESF_NSA_11use_defaultESK_EENS0_5tupleIJNSA_16discard_iteratorISK_EESF_EEENSM_IJSG_SG_EEES6_PlJS6_EEE10hipError_tPvRmT3_T4_T5_T6_T7_T9_mT8_P12ihipStream_tbDpT10_ENKUlT_T0_E_clISt17integral_constantIbLb0EES1B_EEDaS16_S17_EUlS16_E_NS1_11comp_targetILNS1_3genE5ELNS1_11target_archE942ELNS1_3gpuE9ELNS1_3repE0EEENS1_30default_config_static_selectorELNS0_4arch9wavefront6targetE1EEEvT1_, .Lfunc_end2940-_ZN7rocprim17ROCPRIM_400000_NS6detail17trampoline_kernelINS0_14default_configENS1_25partition_config_selectorILNS1_17partition_subalgoE1EyNS0_10empty_typeEbEEZZNS1_14partition_implILS5_1ELb0ES3_jN6thrust23THRUST_200600_302600_NS6detail15normal_iteratorINSA_10device_ptrIyEEEEPS6_NSA_18transform_iteratorI7is_evenIyESF_NSA_11use_defaultESK_EENS0_5tupleIJNSA_16discard_iteratorISK_EESF_EEENSM_IJSG_SG_EEES6_PlJS6_EEE10hipError_tPvRmT3_T4_T5_T6_T7_T9_mT8_P12ihipStream_tbDpT10_ENKUlT_T0_E_clISt17integral_constantIbLb0EES1B_EEDaS16_S17_EUlS16_E_NS1_11comp_targetILNS1_3genE5ELNS1_11target_archE942ELNS1_3gpuE9ELNS1_3repE0EEENS1_30default_config_static_selectorELNS0_4arch9wavefront6targetE1EEEvT1_
                                        ; -- End function
	.section	.AMDGPU.csdata,"",@progbits
; Kernel info:
; codeLenInByte = 4984
; NumSgprs: 50
; NumVgprs: 54
; NumAgprs: 0
; TotalNumVgprs: 54
; ScratchSize: 0
; MemoryBound: 0
; FloatMode: 240
; IeeeMode: 1
; LDSByteSize: 28680 bytes/workgroup (compile time only)
; SGPRBlocks: 6
; VGPRBlocks: 6
; NumSGPRsForWavesPerEU: 50
; NumVGPRsForWavesPerEU: 54
; AccumOffset: 56
; Occupancy: 4
; WaveLimiterHint : 1
; COMPUTE_PGM_RSRC2:SCRATCH_EN: 0
; COMPUTE_PGM_RSRC2:USER_SGPR: 2
; COMPUTE_PGM_RSRC2:TRAP_HANDLER: 0
; COMPUTE_PGM_RSRC2:TGID_X_EN: 1
; COMPUTE_PGM_RSRC2:TGID_Y_EN: 0
; COMPUTE_PGM_RSRC2:TGID_Z_EN: 0
; COMPUTE_PGM_RSRC2:TIDIG_COMP_CNT: 0
; COMPUTE_PGM_RSRC3_GFX90A:ACCUM_OFFSET: 13
; COMPUTE_PGM_RSRC3_GFX90A:TG_SPLIT: 0
	.section	.text._ZN7rocprim17ROCPRIM_400000_NS6detail17trampoline_kernelINS0_14default_configENS1_25partition_config_selectorILNS1_17partition_subalgoE1EyNS0_10empty_typeEbEEZZNS1_14partition_implILS5_1ELb0ES3_jN6thrust23THRUST_200600_302600_NS6detail15normal_iteratorINSA_10device_ptrIyEEEEPS6_NSA_18transform_iteratorI7is_evenIyESF_NSA_11use_defaultESK_EENS0_5tupleIJNSA_16discard_iteratorISK_EESF_EEENSM_IJSG_SG_EEES6_PlJS6_EEE10hipError_tPvRmT3_T4_T5_T6_T7_T9_mT8_P12ihipStream_tbDpT10_ENKUlT_T0_E_clISt17integral_constantIbLb0EES1B_EEDaS16_S17_EUlS16_E_NS1_11comp_targetILNS1_3genE4ELNS1_11target_archE910ELNS1_3gpuE8ELNS1_3repE0EEENS1_30default_config_static_selectorELNS0_4arch9wavefront6targetE1EEEvT1_,"axG",@progbits,_ZN7rocprim17ROCPRIM_400000_NS6detail17trampoline_kernelINS0_14default_configENS1_25partition_config_selectorILNS1_17partition_subalgoE1EyNS0_10empty_typeEbEEZZNS1_14partition_implILS5_1ELb0ES3_jN6thrust23THRUST_200600_302600_NS6detail15normal_iteratorINSA_10device_ptrIyEEEEPS6_NSA_18transform_iteratorI7is_evenIyESF_NSA_11use_defaultESK_EENS0_5tupleIJNSA_16discard_iteratorISK_EESF_EEENSM_IJSG_SG_EEES6_PlJS6_EEE10hipError_tPvRmT3_T4_T5_T6_T7_T9_mT8_P12ihipStream_tbDpT10_ENKUlT_T0_E_clISt17integral_constantIbLb0EES1B_EEDaS16_S17_EUlS16_E_NS1_11comp_targetILNS1_3genE4ELNS1_11target_archE910ELNS1_3gpuE8ELNS1_3repE0EEENS1_30default_config_static_selectorELNS0_4arch9wavefront6targetE1EEEvT1_,comdat
	.protected	_ZN7rocprim17ROCPRIM_400000_NS6detail17trampoline_kernelINS0_14default_configENS1_25partition_config_selectorILNS1_17partition_subalgoE1EyNS0_10empty_typeEbEEZZNS1_14partition_implILS5_1ELb0ES3_jN6thrust23THRUST_200600_302600_NS6detail15normal_iteratorINSA_10device_ptrIyEEEEPS6_NSA_18transform_iteratorI7is_evenIyESF_NSA_11use_defaultESK_EENS0_5tupleIJNSA_16discard_iteratorISK_EESF_EEENSM_IJSG_SG_EEES6_PlJS6_EEE10hipError_tPvRmT3_T4_T5_T6_T7_T9_mT8_P12ihipStream_tbDpT10_ENKUlT_T0_E_clISt17integral_constantIbLb0EES1B_EEDaS16_S17_EUlS16_E_NS1_11comp_targetILNS1_3genE4ELNS1_11target_archE910ELNS1_3gpuE8ELNS1_3repE0EEENS1_30default_config_static_selectorELNS0_4arch9wavefront6targetE1EEEvT1_ ; -- Begin function _ZN7rocprim17ROCPRIM_400000_NS6detail17trampoline_kernelINS0_14default_configENS1_25partition_config_selectorILNS1_17partition_subalgoE1EyNS0_10empty_typeEbEEZZNS1_14partition_implILS5_1ELb0ES3_jN6thrust23THRUST_200600_302600_NS6detail15normal_iteratorINSA_10device_ptrIyEEEEPS6_NSA_18transform_iteratorI7is_evenIyESF_NSA_11use_defaultESK_EENS0_5tupleIJNSA_16discard_iteratorISK_EESF_EEENSM_IJSG_SG_EEES6_PlJS6_EEE10hipError_tPvRmT3_T4_T5_T6_T7_T9_mT8_P12ihipStream_tbDpT10_ENKUlT_T0_E_clISt17integral_constantIbLb0EES1B_EEDaS16_S17_EUlS16_E_NS1_11comp_targetILNS1_3genE4ELNS1_11target_archE910ELNS1_3gpuE8ELNS1_3repE0EEENS1_30default_config_static_selectorELNS0_4arch9wavefront6targetE1EEEvT1_
	.globl	_ZN7rocprim17ROCPRIM_400000_NS6detail17trampoline_kernelINS0_14default_configENS1_25partition_config_selectorILNS1_17partition_subalgoE1EyNS0_10empty_typeEbEEZZNS1_14partition_implILS5_1ELb0ES3_jN6thrust23THRUST_200600_302600_NS6detail15normal_iteratorINSA_10device_ptrIyEEEEPS6_NSA_18transform_iteratorI7is_evenIyESF_NSA_11use_defaultESK_EENS0_5tupleIJNSA_16discard_iteratorISK_EESF_EEENSM_IJSG_SG_EEES6_PlJS6_EEE10hipError_tPvRmT3_T4_T5_T6_T7_T9_mT8_P12ihipStream_tbDpT10_ENKUlT_T0_E_clISt17integral_constantIbLb0EES1B_EEDaS16_S17_EUlS16_E_NS1_11comp_targetILNS1_3genE4ELNS1_11target_archE910ELNS1_3gpuE8ELNS1_3repE0EEENS1_30default_config_static_selectorELNS0_4arch9wavefront6targetE1EEEvT1_
	.p2align	8
	.type	_ZN7rocprim17ROCPRIM_400000_NS6detail17trampoline_kernelINS0_14default_configENS1_25partition_config_selectorILNS1_17partition_subalgoE1EyNS0_10empty_typeEbEEZZNS1_14partition_implILS5_1ELb0ES3_jN6thrust23THRUST_200600_302600_NS6detail15normal_iteratorINSA_10device_ptrIyEEEEPS6_NSA_18transform_iteratorI7is_evenIyESF_NSA_11use_defaultESK_EENS0_5tupleIJNSA_16discard_iteratorISK_EESF_EEENSM_IJSG_SG_EEES6_PlJS6_EEE10hipError_tPvRmT3_T4_T5_T6_T7_T9_mT8_P12ihipStream_tbDpT10_ENKUlT_T0_E_clISt17integral_constantIbLb0EES1B_EEDaS16_S17_EUlS16_E_NS1_11comp_targetILNS1_3genE4ELNS1_11target_archE910ELNS1_3gpuE8ELNS1_3repE0EEENS1_30default_config_static_selectorELNS0_4arch9wavefront6targetE1EEEvT1_,@function
_ZN7rocprim17ROCPRIM_400000_NS6detail17trampoline_kernelINS0_14default_configENS1_25partition_config_selectorILNS1_17partition_subalgoE1EyNS0_10empty_typeEbEEZZNS1_14partition_implILS5_1ELb0ES3_jN6thrust23THRUST_200600_302600_NS6detail15normal_iteratorINSA_10device_ptrIyEEEEPS6_NSA_18transform_iteratorI7is_evenIyESF_NSA_11use_defaultESK_EENS0_5tupleIJNSA_16discard_iteratorISK_EESF_EEENSM_IJSG_SG_EEES6_PlJS6_EEE10hipError_tPvRmT3_T4_T5_T6_T7_T9_mT8_P12ihipStream_tbDpT10_ENKUlT_T0_E_clISt17integral_constantIbLb0EES1B_EEDaS16_S17_EUlS16_E_NS1_11comp_targetILNS1_3genE4ELNS1_11target_archE910ELNS1_3gpuE8ELNS1_3repE0EEENS1_30default_config_static_selectorELNS0_4arch9wavefront6targetE1EEEvT1_: ; @_ZN7rocprim17ROCPRIM_400000_NS6detail17trampoline_kernelINS0_14default_configENS1_25partition_config_selectorILNS1_17partition_subalgoE1EyNS0_10empty_typeEbEEZZNS1_14partition_implILS5_1ELb0ES3_jN6thrust23THRUST_200600_302600_NS6detail15normal_iteratorINSA_10device_ptrIyEEEEPS6_NSA_18transform_iteratorI7is_evenIyESF_NSA_11use_defaultESK_EENS0_5tupleIJNSA_16discard_iteratorISK_EESF_EEENSM_IJSG_SG_EEES6_PlJS6_EEE10hipError_tPvRmT3_T4_T5_T6_T7_T9_mT8_P12ihipStream_tbDpT10_ENKUlT_T0_E_clISt17integral_constantIbLb0EES1B_EEDaS16_S17_EUlS16_E_NS1_11comp_targetILNS1_3genE4ELNS1_11target_archE910ELNS1_3gpuE8ELNS1_3repE0EEENS1_30default_config_static_selectorELNS0_4arch9wavefront6targetE1EEEvT1_
; %bb.0:
	.section	.rodata,"a",@progbits
	.p2align	6, 0x0
	.amdhsa_kernel _ZN7rocprim17ROCPRIM_400000_NS6detail17trampoline_kernelINS0_14default_configENS1_25partition_config_selectorILNS1_17partition_subalgoE1EyNS0_10empty_typeEbEEZZNS1_14partition_implILS5_1ELb0ES3_jN6thrust23THRUST_200600_302600_NS6detail15normal_iteratorINSA_10device_ptrIyEEEEPS6_NSA_18transform_iteratorI7is_evenIyESF_NSA_11use_defaultESK_EENS0_5tupleIJNSA_16discard_iteratorISK_EESF_EEENSM_IJSG_SG_EEES6_PlJS6_EEE10hipError_tPvRmT3_T4_T5_T6_T7_T9_mT8_P12ihipStream_tbDpT10_ENKUlT_T0_E_clISt17integral_constantIbLb0EES1B_EEDaS16_S17_EUlS16_E_NS1_11comp_targetILNS1_3genE4ELNS1_11target_archE910ELNS1_3gpuE8ELNS1_3repE0EEENS1_30default_config_static_selectorELNS0_4arch9wavefront6targetE1EEEvT1_
		.amdhsa_group_segment_fixed_size 0
		.amdhsa_private_segment_fixed_size 0
		.amdhsa_kernarg_size 136
		.amdhsa_user_sgpr_count 2
		.amdhsa_user_sgpr_dispatch_ptr 0
		.amdhsa_user_sgpr_queue_ptr 0
		.amdhsa_user_sgpr_kernarg_segment_ptr 1
		.amdhsa_user_sgpr_dispatch_id 0
		.amdhsa_user_sgpr_kernarg_preload_length 0
		.amdhsa_user_sgpr_kernarg_preload_offset 0
		.amdhsa_user_sgpr_private_segment_size 0
		.amdhsa_uses_dynamic_stack 0
		.amdhsa_enable_private_segment 0
		.amdhsa_system_sgpr_workgroup_id_x 1
		.amdhsa_system_sgpr_workgroup_id_y 0
		.amdhsa_system_sgpr_workgroup_id_z 0
		.amdhsa_system_sgpr_workgroup_info 0
		.amdhsa_system_vgpr_workitem_id 0
		.amdhsa_next_free_vgpr 1
		.amdhsa_next_free_sgpr 0
		.amdhsa_accum_offset 4
		.amdhsa_reserve_vcc 0
		.amdhsa_float_round_mode_32 0
		.amdhsa_float_round_mode_16_64 0
		.amdhsa_float_denorm_mode_32 3
		.amdhsa_float_denorm_mode_16_64 3
		.amdhsa_dx10_clamp 1
		.amdhsa_ieee_mode 1
		.amdhsa_fp16_overflow 0
		.amdhsa_tg_split 0
		.amdhsa_exception_fp_ieee_invalid_op 0
		.amdhsa_exception_fp_denorm_src 0
		.amdhsa_exception_fp_ieee_div_zero 0
		.amdhsa_exception_fp_ieee_overflow 0
		.amdhsa_exception_fp_ieee_underflow 0
		.amdhsa_exception_fp_ieee_inexact 0
		.amdhsa_exception_int_div_zero 0
	.end_amdhsa_kernel
	.section	.text._ZN7rocprim17ROCPRIM_400000_NS6detail17trampoline_kernelINS0_14default_configENS1_25partition_config_selectorILNS1_17partition_subalgoE1EyNS0_10empty_typeEbEEZZNS1_14partition_implILS5_1ELb0ES3_jN6thrust23THRUST_200600_302600_NS6detail15normal_iteratorINSA_10device_ptrIyEEEEPS6_NSA_18transform_iteratorI7is_evenIyESF_NSA_11use_defaultESK_EENS0_5tupleIJNSA_16discard_iteratorISK_EESF_EEENSM_IJSG_SG_EEES6_PlJS6_EEE10hipError_tPvRmT3_T4_T5_T6_T7_T9_mT8_P12ihipStream_tbDpT10_ENKUlT_T0_E_clISt17integral_constantIbLb0EES1B_EEDaS16_S17_EUlS16_E_NS1_11comp_targetILNS1_3genE4ELNS1_11target_archE910ELNS1_3gpuE8ELNS1_3repE0EEENS1_30default_config_static_selectorELNS0_4arch9wavefront6targetE1EEEvT1_,"axG",@progbits,_ZN7rocprim17ROCPRIM_400000_NS6detail17trampoline_kernelINS0_14default_configENS1_25partition_config_selectorILNS1_17partition_subalgoE1EyNS0_10empty_typeEbEEZZNS1_14partition_implILS5_1ELb0ES3_jN6thrust23THRUST_200600_302600_NS6detail15normal_iteratorINSA_10device_ptrIyEEEEPS6_NSA_18transform_iteratorI7is_evenIyESF_NSA_11use_defaultESK_EENS0_5tupleIJNSA_16discard_iteratorISK_EESF_EEENSM_IJSG_SG_EEES6_PlJS6_EEE10hipError_tPvRmT3_T4_T5_T6_T7_T9_mT8_P12ihipStream_tbDpT10_ENKUlT_T0_E_clISt17integral_constantIbLb0EES1B_EEDaS16_S17_EUlS16_E_NS1_11comp_targetILNS1_3genE4ELNS1_11target_archE910ELNS1_3gpuE8ELNS1_3repE0EEENS1_30default_config_static_selectorELNS0_4arch9wavefront6targetE1EEEvT1_,comdat
.Lfunc_end2941:
	.size	_ZN7rocprim17ROCPRIM_400000_NS6detail17trampoline_kernelINS0_14default_configENS1_25partition_config_selectorILNS1_17partition_subalgoE1EyNS0_10empty_typeEbEEZZNS1_14partition_implILS5_1ELb0ES3_jN6thrust23THRUST_200600_302600_NS6detail15normal_iteratorINSA_10device_ptrIyEEEEPS6_NSA_18transform_iteratorI7is_evenIyESF_NSA_11use_defaultESK_EENS0_5tupleIJNSA_16discard_iteratorISK_EESF_EEENSM_IJSG_SG_EEES6_PlJS6_EEE10hipError_tPvRmT3_T4_T5_T6_T7_T9_mT8_P12ihipStream_tbDpT10_ENKUlT_T0_E_clISt17integral_constantIbLb0EES1B_EEDaS16_S17_EUlS16_E_NS1_11comp_targetILNS1_3genE4ELNS1_11target_archE910ELNS1_3gpuE8ELNS1_3repE0EEENS1_30default_config_static_selectorELNS0_4arch9wavefront6targetE1EEEvT1_, .Lfunc_end2941-_ZN7rocprim17ROCPRIM_400000_NS6detail17trampoline_kernelINS0_14default_configENS1_25partition_config_selectorILNS1_17partition_subalgoE1EyNS0_10empty_typeEbEEZZNS1_14partition_implILS5_1ELb0ES3_jN6thrust23THRUST_200600_302600_NS6detail15normal_iteratorINSA_10device_ptrIyEEEEPS6_NSA_18transform_iteratorI7is_evenIyESF_NSA_11use_defaultESK_EENS0_5tupleIJNSA_16discard_iteratorISK_EESF_EEENSM_IJSG_SG_EEES6_PlJS6_EEE10hipError_tPvRmT3_T4_T5_T6_T7_T9_mT8_P12ihipStream_tbDpT10_ENKUlT_T0_E_clISt17integral_constantIbLb0EES1B_EEDaS16_S17_EUlS16_E_NS1_11comp_targetILNS1_3genE4ELNS1_11target_archE910ELNS1_3gpuE8ELNS1_3repE0EEENS1_30default_config_static_selectorELNS0_4arch9wavefront6targetE1EEEvT1_
                                        ; -- End function
	.section	.AMDGPU.csdata,"",@progbits
; Kernel info:
; codeLenInByte = 0
; NumSgprs: 6
; NumVgprs: 0
; NumAgprs: 0
; TotalNumVgprs: 0
; ScratchSize: 0
; MemoryBound: 0
; FloatMode: 240
; IeeeMode: 1
; LDSByteSize: 0 bytes/workgroup (compile time only)
; SGPRBlocks: 0
; VGPRBlocks: 0
; NumSGPRsForWavesPerEU: 6
; NumVGPRsForWavesPerEU: 1
; AccumOffset: 4
; Occupancy: 8
; WaveLimiterHint : 0
; COMPUTE_PGM_RSRC2:SCRATCH_EN: 0
; COMPUTE_PGM_RSRC2:USER_SGPR: 2
; COMPUTE_PGM_RSRC2:TRAP_HANDLER: 0
; COMPUTE_PGM_RSRC2:TGID_X_EN: 1
; COMPUTE_PGM_RSRC2:TGID_Y_EN: 0
; COMPUTE_PGM_RSRC2:TGID_Z_EN: 0
; COMPUTE_PGM_RSRC2:TIDIG_COMP_CNT: 0
; COMPUTE_PGM_RSRC3_GFX90A:ACCUM_OFFSET: 0
; COMPUTE_PGM_RSRC3_GFX90A:TG_SPLIT: 0
	.section	.text._ZN7rocprim17ROCPRIM_400000_NS6detail17trampoline_kernelINS0_14default_configENS1_25partition_config_selectorILNS1_17partition_subalgoE1EyNS0_10empty_typeEbEEZZNS1_14partition_implILS5_1ELb0ES3_jN6thrust23THRUST_200600_302600_NS6detail15normal_iteratorINSA_10device_ptrIyEEEEPS6_NSA_18transform_iteratorI7is_evenIyESF_NSA_11use_defaultESK_EENS0_5tupleIJNSA_16discard_iteratorISK_EESF_EEENSM_IJSG_SG_EEES6_PlJS6_EEE10hipError_tPvRmT3_T4_T5_T6_T7_T9_mT8_P12ihipStream_tbDpT10_ENKUlT_T0_E_clISt17integral_constantIbLb0EES1B_EEDaS16_S17_EUlS16_E_NS1_11comp_targetILNS1_3genE3ELNS1_11target_archE908ELNS1_3gpuE7ELNS1_3repE0EEENS1_30default_config_static_selectorELNS0_4arch9wavefront6targetE1EEEvT1_,"axG",@progbits,_ZN7rocprim17ROCPRIM_400000_NS6detail17trampoline_kernelINS0_14default_configENS1_25partition_config_selectorILNS1_17partition_subalgoE1EyNS0_10empty_typeEbEEZZNS1_14partition_implILS5_1ELb0ES3_jN6thrust23THRUST_200600_302600_NS6detail15normal_iteratorINSA_10device_ptrIyEEEEPS6_NSA_18transform_iteratorI7is_evenIyESF_NSA_11use_defaultESK_EENS0_5tupleIJNSA_16discard_iteratorISK_EESF_EEENSM_IJSG_SG_EEES6_PlJS6_EEE10hipError_tPvRmT3_T4_T5_T6_T7_T9_mT8_P12ihipStream_tbDpT10_ENKUlT_T0_E_clISt17integral_constantIbLb0EES1B_EEDaS16_S17_EUlS16_E_NS1_11comp_targetILNS1_3genE3ELNS1_11target_archE908ELNS1_3gpuE7ELNS1_3repE0EEENS1_30default_config_static_selectorELNS0_4arch9wavefront6targetE1EEEvT1_,comdat
	.protected	_ZN7rocprim17ROCPRIM_400000_NS6detail17trampoline_kernelINS0_14default_configENS1_25partition_config_selectorILNS1_17partition_subalgoE1EyNS0_10empty_typeEbEEZZNS1_14partition_implILS5_1ELb0ES3_jN6thrust23THRUST_200600_302600_NS6detail15normal_iteratorINSA_10device_ptrIyEEEEPS6_NSA_18transform_iteratorI7is_evenIyESF_NSA_11use_defaultESK_EENS0_5tupleIJNSA_16discard_iteratorISK_EESF_EEENSM_IJSG_SG_EEES6_PlJS6_EEE10hipError_tPvRmT3_T4_T5_T6_T7_T9_mT8_P12ihipStream_tbDpT10_ENKUlT_T0_E_clISt17integral_constantIbLb0EES1B_EEDaS16_S17_EUlS16_E_NS1_11comp_targetILNS1_3genE3ELNS1_11target_archE908ELNS1_3gpuE7ELNS1_3repE0EEENS1_30default_config_static_selectorELNS0_4arch9wavefront6targetE1EEEvT1_ ; -- Begin function _ZN7rocprim17ROCPRIM_400000_NS6detail17trampoline_kernelINS0_14default_configENS1_25partition_config_selectorILNS1_17partition_subalgoE1EyNS0_10empty_typeEbEEZZNS1_14partition_implILS5_1ELb0ES3_jN6thrust23THRUST_200600_302600_NS6detail15normal_iteratorINSA_10device_ptrIyEEEEPS6_NSA_18transform_iteratorI7is_evenIyESF_NSA_11use_defaultESK_EENS0_5tupleIJNSA_16discard_iteratorISK_EESF_EEENSM_IJSG_SG_EEES6_PlJS6_EEE10hipError_tPvRmT3_T4_T5_T6_T7_T9_mT8_P12ihipStream_tbDpT10_ENKUlT_T0_E_clISt17integral_constantIbLb0EES1B_EEDaS16_S17_EUlS16_E_NS1_11comp_targetILNS1_3genE3ELNS1_11target_archE908ELNS1_3gpuE7ELNS1_3repE0EEENS1_30default_config_static_selectorELNS0_4arch9wavefront6targetE1EEEvT1_
	.globl	_ZN7rocprim17ROCPRIM_400000_NS6detail17trampoline_kernelINS0_14default_configENS1_25partition_config_selectorILNS1_17partition_subalgoE1EyNS0_10empty_typeEbEEZZNS1_14partition_implILS5_1ELb0ES3_jN6thrust23THRUST_200600_302600_NS6detail15normal_iteratorINSA_10device_ptrIyEEEEPS6_NSA_18transform_iteratorI7is_evenIyESF_NSA_11use_defaultESK_EENS0_5tupleIJNSA_16discard_iteratorISK_EESF_EEENSM_IJSG_SG_EEES6_PlJS6_EEE10hipError_tPvRmT3_T4_T5_T6_T7_T9_mT8_P12ihipStream_tbDpT10_ENKUlT_T0_E_clISt17integral_constantIbLb0EES1B_EEDaS16_S17_EUlS16_E_NS1_11comp_targetILNS1_3genE3ELNS1_11target_archE908ELNS1_3gpuE7ELNS1_3repE0EEENS1_30default_config_static_selectorELNS0_4arch9wavefront6targetE1EEEvT1_
	.p2align	8
	.type	_ZN7rocprim17ROCPRIM_400000_NS6detail17trampoline_kernelINS0_14default_configENS1_25partition_config_selectorILNS1_17partition_subalgoE1EyNS0_10empty_typeEbEEZZNS1_14partition_implILS5_1ELb0ES3_jN6thrust23THRUST_200600_302600_NS6detail15normal_iteratorINSA_10device_ptrIyEEEEPS6_NSA_18transform_iteratorI7is_evenIyESF_NSA_11use_defaultESK_EENS0_5tupleIJNSA_16discard_iteratorISK_EESF_EEENSM_IJSG_SG_EEES6_PlJS6_EEE10hipError_tPvRmT3_T4_T5_T6_T7_T9_mT8_P12ihipStream_tbDpT10_ENKUlT_T0_E_clISt17integral_constantIbLb0EES1B_EEDaS16_S17_EUlS16_E_NS1_11comp_targetILNS1_3genE3ELNS1_11target_archE908ELNS1_3gpuE7ELNS1_3repE0EEENS1_30default_config_static_selectorELNS0_4arch9wavefront6targetE1EEEvT1_,@function
_ZN7rocprim17ROCPRIM_400000_NS6detail17trampoline_kernelINS0_14default_configENS1_25partition_config_selectorILNS1_17partition_subalgoE1EyNS0_10empty_typeEbEEZZNS1_14partition_implILS5_1ELb0ES3_jN6thrust23THRUST_200600_302600_NS6detail15normal_iteratorINSA_10device_ptrIyEEEEPS6_NSA_18transform_iteratorI7is_evenIyESF_NSA_11use_defaultESK_EENS0_5tupleIJNSA_16discard_iteratorISK_EESF_EEENSM_IJSG_SG_EEES6_PlJS6_EEE10hipError_tPvRmT3_T4_T5_T6_T7_T9_mT8_P12ihipStream_tbDpT10_ENKUlT_T0_E_clISt17integral_constantIbLb0EES1B_EEDaS16_S17_EUlS16_E_NS1_11comp_targetILNS1_3genE3ELNS1_11target_archE908ELNS1_3gpuE7ELNS1_3repE0EEENS1_30default_config_static_selectorELNS0_4arch9wavefront6targetE1EEEvT1_: ; @_ZN7rocprim17ROCPRIM_400000_NS6detail17trampoline_kernelINS0_14default_configENS1_25partition_config_selectorILNS1_17partition_subalgoE1EyNS0_10empty_typeEbEEZZNS1_14partition_implILS5_1ELb0ES3_jN6thrust23THRUST_200600_302600_NS6detail15normal_iteratorINSA_10device_ptrIyEEEEPS6_NSA_18transform_iteratorI7is_evenIyESF_NSA_11use_defaultESK_EENS0_5tupleIJNSA_16discard_iteratorISK_EESF_EEENSM_IJSG_SG_EEES6_PlJS6_EEE10hipError_tPvRmT3_T4_T5_T6_T7_T9_mT8_P12ihipStream_tbDpT10_ENKUlT_T0_E_clISt17integral_constantIbLb0EES1B_EEDaS16_S17_EUlS16_E_NS1_11comp_targetILNS1_3genE3ELNS1_11target_archE908ELNS1_3gpuE7ELNS1_3repE0EEENS1_30default_config_static_selectorELNS0_4arch9wavefront6targetE1EEEvT1_
; %bb.0:
	.section	.rodata,"a",@progbits
	.p2align	6, 0x0
	.amdhsa_kernel _ZN7rocprim17ROCPRIM_400000_NS6detail17trampoline_kernelINS0_14default_configENS1_25partition_config_selectorILNS1_17partition_subalgoE1EyNS0_10empty_typeEbEEZZNS1_14partition_implILS5_1ELb0ES3_jN6thrust23THRUST_200600_302600_NS6detail15normal_iteratorINSA_10device_ptrIyEEEEPS6_NSA_18transform_iteratorI7is_evenIyESF_NSA_11use_defaultESK_EENS0_5tupleIJNSA_16discard_iteratorISK_EESF_EEENSM_IJSG_SG_EEES6_PlJS6_EEE10hipError_tPvRmT3_T4_T5_T6_T7_T9_mT8_P12ihipStream_tbDpT10_ENKUlT_T0_E_clISt17integral_constantIbLb0EES1B_EEDaS16_S17_EUlS16_E_NS1_11comp_targetILNS1_3genE3ELNS1_11target_archE908ELNS1_3gpuE7ELNS1_3repE0EEENS1_30default_config_static_selectorELNS0_4arch9wavefront6targetE1EEEvT1_
		.amdhsa_group_segment_fixed_size 0
		.amdhsa_private_segment_fixed_size 0
		.amdhsa_kernarg_size 136
		.amdhsa_user_sgpr_count 2
		.amdhsa_user_sgpr_dispatch_ptr 0
		.amdhsa_user_sgpr_queue_ptr 0
		.amdhsa_user_sgpr_kernarg_segment_ptr 1
		.amdhsa_user_sgpr_dispatch_id 0
		.amdhsa_user_sgpr_kernarg_preload_length 0
		.amdhsa_user_sgpr_kernarg_preload_offset 0
		.amdhsa_user_sgpr_private_segment_size 0
		.amdhsa_uses_dynamic_stack 0
		.amdhsa_enable_private_segment 0
		.amdhsa_system_sgpr_workgroup_id_x 1
		.amdhsa_system_sgpr_workgroup_id_y 0
		.amdhsa_system_sgpr_workgroup_id_z 0
		.amdhsa_system_sgpr_workgroup_info 0
		.amdhsa_system_vgpr_workitem_id 0
		.amdhsa_next_free_vgpr 1
		.amdhsa_next_free_sgpr 0
		.amdhsa_accum_offset 4
		.amdhsa_reserve_vcc 0
		.amdhsa_float_round_mode_32 0
		.amdhsa_float_round_mode_16_64 0
		.amdhsa_float_denorm_mode_32 3
		.amdhsa_float_denorm_mode_16_64 3
		.amdhsa_dx10_clamp 1
		.amdhsa_ieee_mode 1
		.amdhsa_fp16_overflow 0
		.amdhsa_tg_split 0
		.amdhsa_exception_fp_ieee_invalid_op 0
		.amdhsa_exception_fp_denorm_src 0
		.amdhsa_exception_fp_ieee_div_zero 0
		.amdhsa_exception_fp_ieee_overflow 0
		.amdhsa_exception_fp_ieee_underflow 0
		.amdhsa_exception_fp_ieee_inexact 0
		.amdhsa_exception_int_div_zero 0
	.end_amdhsa_kernel
	.section	.text._ZN7rocprim17ROCPRIM_400000_NS6detail17trampoline_kernelINS0_14default_configENS1_25partition_config_selectorILNS1_17partition_subalgoE1EyNS0_10empty_typeEbEEZZNS1_14partition_implILS5_1ELb0ES3_jN6thrust23THRUST_200600_302600_NS6detail15normal_iteratorINSA_10device_ptrIyEEEEPS6_NSA_18transform_iteratorI7is_evenIyESF_NSA_11use_defaultESK_EENS0_5tupleIJNSA_16discard_iteratorISK_EESF_EEENSM_IJSG_SG_EEES6_PlJS6_EEE10hipError_tPvRmT3_T4_T5_T6_T7_T9_mT8_P12ihipStream_tbDpT10_ENKUlT_T0_E_clISt17integral_constantIbLb0EES1B_EEDaS16_S17_EUlS16_E_NS1_11comp_targetILNS1_3genE3ELNS1_11target_archE908ELNS1_3gpuE7ELNS1_3repE0EEENS1_30default_config_static_selectorELNS0_4arch9wavefront6targetE1EEEvT1_,"axG",@progbits,_ZN7rocprim17ROCPRIM_400000_NS6detail17trampoline_kernelINS0_14default_configENS1_25partition_config_selectorILNS1_17partition_subalgoE1EyNS0_10empty_typeEbEEZZNS1_14partition_implILS5_1ELb0ES3_jN6thrust23THRUST_200600_302600_NS6detail15normal_iteratorINSA_10device_ptrIyEEEEPS6_NSA_18transform_iteratorI7is_evenIyESF_NSA_11use_defaultESK_EENS0_5tupleIJNSA_16discard_iteratorISK_EESF_EEENSM_IJSG_SG_EEES6_PlJS6_EEE10hipError_tPvRmT3_T4_T5_T6_T7_T9_mT8_P12ihipStream_tbDpT10_ENKUlT_T0_E_clISt17integral_constantIbLb0EES1B_EEDaS16_S17_EUlS16_E_NS1_11comp_targetILNS1_3genE3ELNS1_11target_archE908ELNS1_3gpuE7ELNS1_3repE0EEENS1_30default_config_static_selectorELNS0_4arch9wavefront6targetE1EEEvT1_,comdat
.Lfunc_end2942:
	.size	_ZN7rocprim17ROCPRIM_400000_NS6detail17trampoline_kernelINS0_14default_configENS1_25partition_config_selectorILNS1_17partition_subalgoE1EyNS0_10empty_typeEbEEZZNS1_14partition_implILS5_1ELb0ES3_jN6thrust23THRUST_200600_302600_NS6detail15normal_iteratorINSA_10device_ptrIyEEEEPS6_NSA_18transform_iteratorI7is_evenIyESF_NSA_11use_defaultESK_EENS0_5tupleIJNSA_16discard_iteratorISK_EESF_EEENSM_IJSG_SG_EEES6_PlJS6_EEE10hipError_tPvRmT3_T4_T5_T6_T7_T9_mT8_P12ihipStream_tbDpT10_ENKUlT_T0_E_clISt17integral_constantIbLb0EES1B_EEDaS16_S17_EUlS16_E_NS1_11comp_targetILNS1_3genE3ELNS1_11target_archE908ELNS1_3gpuE7ELNS1_3repE0EEENS1_30default_config_static_selectorELNS0_4arch9wavefront6targetE1EEEvT1_, .Lfunc_end2942-_ZN7rocprim17ROCPRIM_400000_NS6detail17trampoline_kernelINS0_14default_configENS1_25partition_config_selectorILNS1_17partition_subalgoE1EyNS0_10empty_typeEbEEZZNS1_14partition_implILS5_1ELb0ES3_jN6thrust23THRUST_200600_302600_NS6detail15normal_iteratorINSA_10device_ptrIyEEEEPS6_NSA_18transform_iteratorI7is_evenIyESF_NSA_11use_defaultESK_EENS0_5tupleIJNSA_16discard_iteratorISK_EESF_EEENSM_IJSG_SG_EEES6_PlJS6_EEE10hipError_tPvRmT3_T4_T5_T6_T7_T9_mT8_P12ihipStream_tbDpT10_ENKUlT_T0_E_clISt17integral_constantIbLb0EES1B_EEDaS16_S17_EUlS16_E_NS1_11comp_targetILNS1_3genE3ELNS1_11target_archE908ELNS1_3gpuE7ELNS1_3repE0EEENS1_30default_config_static_selectorELNS0_4arch9wavefront6targetE1EEEvT1_
                                        ; -- End function
	.section	.AMDGPU.csdata,"",@progbits
; Kernel info:
; codeLenInByte = 0
; NumSgprs: 6
; NumVgprs: 0
; NumAgprs: 0
; TotalNumVgprs: 0
; ScratchSize: 0
; MemoryBound: 0
; FloatMode: 240
; IeeeMode: 1
; LDSByteSize: 0 bytes/workgroup (compile time only)
; SGPRBlocks: 0
; VGPRBlocks: 0
; NumSGPRsForWavesPerEU: 6
; NumVGPRsForWavesPerEU: 1
; AccumOffset: 4
; Occupancy: 8
; WaveLimiterHint : 0
; COMPUTE_PGM_RSRC2:SCRATCH_EN: 0
; COMPUTE_PGM_RSRC2:USER_SGPR: 2
; COMPUTE_PGM_RSRC2:TRAP_HANDLER: 0
; COMPUTE_PGM_RSRC2:TGID_X_EN: 1
; COMPUTE_PGM_RSRC2:TGID_Y_EN: 0
; COMPUTE_PGM_RSRC2:TGID_Z_EN: 0
; COMPUTE_PGM_RSRC2:TIDIG_COMP_CNT: 0
; COMPUTE_PGM_RSRC3_GFX90A:ACCUM_OFFSET: 0
; COMPUTE_PGM_RSRC3_GFX90A:TG_SPLIT: 0
	.section	.text._ZN7rocprim17ROCPRIM_400000_NS6detail17trampoline_kernelINS0_14default_configENS1_25partition_config_selectorILNS1_17partition_subalgoE1EyNS0_10empty_typeEbEEZZNS1_14partition_implILS5_1ELb0ES3_jN6thrust23THRUST_200600_302600_NS6detail15normal_iteratorINSA_10device_ptrIyEEEEPS6_NSA_18transform_iteratorI7is_evenIyESF_NSA_11use_defaultESK_EENS0_5tupleIJNSA_16discard_iteratorISK_EESF_EEENSM_IJSG_SG_EEES6_PlJS6_EEE10hipError_tPvRmT3_T4_T5_T6_T7_T9_mT8_P12ihipStream_tbDpT10_ENKUlT_T0_E_clISt17integral_constantIbLb0EES1B_EEDaS16_S17_EUlS16_E_NS1_11comp_targetILNS1_3genE2ELNS1_11target_archE906ELNS1_3gpuE6ELNS1_3repE0EEENS1_30default_config_static_selectorELNS0_4arch9wavefront6targetE1EEEvT1_,"axG",@progbits,_ZN7rocprim17ROCPRIM_400000_NS6detail17trampoline_kernelINS0_14default_configENS1_25partition_config_selectorILNS1_17partition_subalgoE1EyNS0_10empty_typeEbEEZZNS1_14partition_implILS5_1ELb0ES3_jN6thrust23THRUST_200600_302600_NS6detail15normal_iteratorINSA_10device_ptrIyEEEEPS6_NSA_18transform_iteratorI7is_evenIyESF_NSA_11use_defaultESK_EENS0_5tupleIJNSA_16discard_iteratorISK_EESF_EEENSM_IJSG_SG_EEES6_PlJS6_EEE10hipError_tPvRmT3_T4_T5_T6_T7_T9_mT8_P12ihipStream_tbDpT10_ENKUlT_T0_E_clISt17integral_constantIbLb0EES1B_EEDaS16_S17_EUlS16_E_NS1_11comp_targetILNS1_3genE2ELNS1_11target_archE906ELNS1_3gpuE6ELNS1_3repE0EEENS1_30default_config_static_selectorELNS0_4arch9wavefront6targetE1EEEvT1_,comdat
	.protected	_ZN7rocprim17ROCPRIM_400000_NS6detail17trampoline_kernelINS0_14default_configENS1_25partition_config_selectorILNS1_17partition_subalgoE1EyNS0_10empty_typeEbEEZZNS1_14partition_implILS5_1ELb0ES3_jN6thrust23THRUST_200600_302600_NS6detail15normal_iteratorINSA_10device_ptrIyEEEEPS6_NSA_18transform_iteratorI7is_evenIyESF_NSA_11use_defaultESK_EENS0_5tupleIJNSA_16discard_iteratorISK_EESF_EEENSM_IJSG_SG_EEES6_PlJS6_EEE10hipError_tPvRmT3_T4_T5_T6_T7_T9_mT8_P12ihipStream_tbDpT10_ENKUlT_T0_E_clISt17integral_constantIbLb0EES1B_EEDaS16_S17_EUlS16_E_NS1_11comp_targetILNS1_3genE2ELNS1_11target_archE906ELNS1_3gpuE6ELNS1_3repE0EEENS1_30default_config_static_selectorELNS0_4arch9wavefront6targetE1EEEvT1_ ; -- Begin function _ZN7rocprim17ROCPRIM_400000_NS6detail17trampoline_kernelINS0_14default_configENS1_25partition_config_selectorILNS1_17partition_subalgoE1EyNS0_10empty_typeEbEEZZNS1_14partition_implILS5_1ELb0ES3_jN6thrust23THRUST_200600_302600_NS6detail15normal_iteratorINSA_10device_ptrIyEEEEPS6_NSA_18transform_iteratorI7is_evenIyESF_NSA_11use_defaultESK_EENS0_5tupleIJNSA_16discard_iteratorISK_EESF_EEENSM_IJSG_SG_EEES6_PlJS6_EEE10hipError_tPvRmT3_T4_T5_T6_T7_T9_mT8_P12ihipStream_tbDpT10_ENKUlT_T0_E_clISt17integral_constantIbLb0EES1B_EEDaS16_S17_EUlS16_E_NS1_11comp_targetILNS1_3genE2ELNS1_11target_archE906ELNS1_3gpuE6ELNS1_3repE0EEENS1_30default_config_static_selectorELNS0_4arch9wavefront6targetE1EEEvT1_
	.globl	_ZN7rocprim17ROCPRIM_400000_NS6detail17trampoline_kernelINS0_14default_configENS1_25partition_config_selectorILNS1_17partition_subalgoE1EyNS0_10empty_typeEbEEZZNS1_14partition_implILS5_1ELb0ES3_jN6thrust23THRUST_200600_302600_NS6detail15normal_iteratorINSA_10device_ptrIyEEEEPS6_NSA_18transform_iteratorI7is_evenIyESF_NSA_11use_defaultESK_EENS0_5tupleIJNSA_16discard_iteratorISK_EESF_EEENSM_IJSG_SG_EEES6_PlJS6_EEE10hipError_tPvRmT3_T4_T5_T6_T7_T9_mT8_P12ihipStream_tbDpT10_ENKUlT_T0_E_clISt17integral_constantIbLb0EES1B_EEDaS16_S17_EUlS16_E_NS1_11comp_targetILNS1_3genE2ELNS1_11target_archE906ELNS1_3gpuE6ELNS1_3repE0EEENS1_30default_config_static_selectorELNS0_4arch9wavefront6targetE1EEEvT1_
	.p2align	8
	.type	_ZN7rocprim17ROCPRIM_400000_NS6detail17trampoline_kernelINS0_14default_configENS1_25partition_config_selectorILNS1_17partition_subalgoE1EyNS0_10empty_typeEbEEZZNS1_14partition_implILS5_1ELb0ES3_jN6thrust23THRUST_200600_302600_NS6detail15normal_iteratorINSA_10device_ptrIyEEEEPS6_NSA_18transform_iteratorI7is_evenIyESF_NSA_11use_defaultESK_EENS0_5tupleIJNSA_16discard_iteratorISK_EESF_EEENSM_IJSG_SG_EEES6_PlJS6_EEE10hipError_tPvRmT3_T4_T5_T6_T7_T9_mT8_P12ihipStream_tbDpT10_ENKUlT_T0_E_clISt17integral_constantIbLb0EES1B_EEDaS16_S17_EUlS16_E_NS1_11comp_targetILNS1_3genE2ELNS1_11target_archE906ELNS1_3gpuE6ELNS1_3repE0EEENS1_30default_config_static_selectorELNS0_4arch9wavefront6targetE1EEEvT1_,@function
_ZN7rocprim17ROCPRIM_400000_NS6detail17trampoline_kernelINS0_14default_configENS1_25partition_config_selectorILNS1_17partition_subalgoE1EyNS0_10empty_typeEbEEZZNS1_14partition_implILS5_1ELb0ES3_jN6thrust23THRUST_200600_302600_NS6detail15normal_iteratorINSA_10device_ptrIyEEEEPS6_NSA_18transform_iteratorI7is_evenIyESF_NSA_11use_defaultESK_EENS0_5tupleIJNSA_16discard_iteratorISK_EESF_EEENSM_IJSG_SG_EEES6_PlJS6_EEE10hipError_tPvRmT3_T4_T5_T6_T7_T9_mT8_P12ihipStream_tbDpT10_ENKUlT_T0_E_clISt17integral_constantIbLb0EES1B_EEDaS16_S17_EUlS16_E_NS1_11comp_targetILNS1_3genE2ELNS1_11target_archE906ELNS1_3gpuE6ELNS1_3repE0EEENS1_30default_config_static_selectorELNS0_4arch9wavefront6targetE1EEEvT1_: ; @_ZN7rocprim17ROCPRIM_400000_NS6detail17trampoline_kernelINS0_14default_configENS1_25partition_config_selectorILNS1_17partition_subalgoE1EyNS0_10empty_typeEbEEZZNS1_14partition_implILS5_1ELb0ES3_jN6thrust23THRUST_200600_302600_NS6detail15normal_iteratorINSA_10device_ptrIyEEEEPS6_NSA_18transform_iteratorI7is_evenIyESF_NSA_11use_defaultESK_EENS0_5tupleIJNSA_16discard_iteratorISK_EESF_EEENSM_IJSG_SG_EEES6_PlJS6_EEE10hipError_tPvRmT3_T4_T5_T6_T7_T9_mT8_P12ihipStream_tbDpT10_ENKUlT_T0_E_clISt17integral_constantIbLb0EES1B_EEDaS16_S17_EUlS16_E_NS1_11comp_targetILNS1_3genE2ELNS1_11target_archE906ELNS1_3gpuE6ELNS1_3repE0EEENS1_30default_config_static_selectorELNS0_4arch9wavefront6targetE1EEEvT1_
; %bb.0:
	.section	.rodata,"a",@progbits
	.p2align	6, 0x0
	.amdhsa_kernel _ZN7rocprim17ROCPRIM_400000_NS6detail17trampoline_kernelINS0_14default_configENS1_25partition_config_selectorILNS1_17partition_subalgoE1EyNS0_10empty_typeEbEEZZNS1_14partition_implILS5_1ELb0ES3_jN6thrust23THRUST_200600_302600_NS6detail15normal_iteratorINSA_10device_ptrIyEEEEPS6_NSA_18transform_iteratorI7is_evenIyESF_NSA_11use_defaultESK_EENS0_5tupleIJNSA_16discard_iteratorISK_EESF_EEENSM_IJSG_SG_EEES6_PlJS6_EEE10hipError_tPvRmT3_T4_T5_T6_T7_T9_mT8_P12ihipStream_tbDpT10_ENKUlT_T0_E_clISt17integral_constantIbLb0EES1B_EEDaS16_S17_EUlS16_E_NS1_11comp_targetILNS1_3genE2ELNS1_11target_archE906ELNS1_3gpuE6ELNS1_3repE0EEENS1_30default_config_static_selectorELNS0_4arch9wavefront6targetE1EEEvT1_
		.amdhsa_group_segment_fixed_size 0
		.amdhsa_private_segment_fixed_size 0
		.amdhsa_kernarg_size 136
		.amdhsa_user_sgpr_count 2
		.amdhsa_user_sgpr_dispatch_ptr 0
		.amdhsa_user_sgpr_queue_ptr 0
		.amdhsa_user_sgpr_kernarg_segment_ptr 1
		.amdhsa_user_sgpr_dispatch_id 0
		.amdhsa_user_sgpr_kernarg_preload_length 0
		.amdhsa_user_sgpr_kernarg_preload_offset 0
		.amdhsa_user_sgpr_private_segment_size 0
		.amdhsa_uses_dynamic_stack 0
		.amdhsa_enable_private_segment 0
		.amdhsa_system_sgpr_workgroup_id_x 1
		.amdhsa_system_sgpr_workgroup_id_y 0
		.amdhsa_system_sgpr_workgroup_id_z 0
		.amdhsa_system_sgpr_workgroup_info 0
		.amdhsa_system_vgpr_workitem_id 0
		.amdhsa_next_free_vgpr 1
		.amdhsa_next_free_sgpr 0
		.amdhsa_accum_offset 4
		.amdhsa_reserve_vcc 0
		.amdhsa_float_round_mode_32 0
		.amdhsa_float_round_mode_16_64 0
		.amdhsa_float_denorm_mode_32 3
		.amdhsa_float_denorm_mode_16_64 3
		.amdhsa_dx10_clamp 1
		.amdhsa_ieee_mode 1
		.amdhsa_fp16_overflow 0
		.amdhsa_tg_split 0
		.amdhsa_exception_fp_ieee_invalid_op 0
		.amdhsa_exception_fp_denorm_src 0
		.amdhsa_exception_fp_ieee_div_zero 0
		.amdhsa_exception_fp_ieee_overflow 0
		.amdhsa_exception_fp_ieee_underflow 0
		.amdhsa_exception_fp_ieee_inexact 0
		.amdhsa_exception_int_div_zero 0
	.end_amdhsa_kernel
	.section	.text._ZN7rocprim17ROCPRIM_400000_NS6detail17trampoline_kernelINS0_14default_configENS1_25partition_config_selectorILNS1_17partition_subalgoE1EyNS0_10empty_typeEbEEZZNS1_14partition_implILS5_1ELb0ES3_jN6thrust23THRUST_200600_302600_NS6detail15normal_iteratorINSA_10device_ptrIyEEEEPS6_NSA_18transform_iteratorI7is_evenIyESF_NSA_11use_defaultESK_EENS0_5tupleIJNSA_16discard_iteratorISK_EESF_EEENSM_IJSG_SG_EEES6_PlJS6_EEE10hipError_tPvRmT3_T4_T5_T6_T7_T9_mT8_P12ihipStream_tbDpT10_ENKUlT_T0_E_clISt17integral_constantIbLb0EES1B_EEDaS16_S17_EUlS16_E_NS1_11comp_targetILNS1_3genE2ELNS1_11target_archE906ELNS1_3gpuE6ELNS1_3repE0EEENS1_30default_config_static_selectorELNS0_4arch9wavefront6targetE1EEEvT1_,"axG",@progbits,_ZN7rocprim17ROCPRIM_400000_NS6detail17trampoline_kernelINS0_14default_configENS1_25partition_config_selectorILNS1_17partition_subalgoE1EyNS0_10empty_typeEbEEZZNS1_14partition_implILS5_1ELb0ES3_jN6thrust23THRUST_200600_302600_NS6detail15normal_iteratorINSA_10device_ptrIyEEEEPS6_NSA_18transform_iteratorI7is_evenIyESF_NSA_11use_defaultESK_EENS0_5tupleIJNSA_16discard_iteratorISK_EESF_EEENSM_IJSG_SG_EEES6_PlJS6_EEE10hipError_tPvRmT3_T4_T5_T6_T7_T9_mT8_P12ihipStream_tbDpT10_ENKUlT_T0_E_clISt17integral_constantIbLb0EES1B_EEDaS16_S17_EUlS16_E_NS1_11comp_targetILNS1_3genE2ELNS1_11target_archE906ELNS1_3gpuE6ELNS1_3repE0EEENS1_30default_config_static_selectorELNS0_4arch9wavefront6targetE1EEEvT1_,comdat
.Lfunc_end2943:
	.size	_ZN7rocprim17ROCPRIM_400000_NS6detail17trampoline_kernelINS0_14default_configENS1_25partition_config_selectorILNS1_17partition_subalgoE1EyNS0_10empty_typeEbEEZZNS1_14partition_implILS5_1ELb0ES3_jN6thrust23THRUST_200600_302600_NS6detail15normal_iteratorINSA_10device_ptrIyEEEEPS6_NSA_18transform_iteratorI7is_evenIyESF_NSA_11use_defaultESK_EENS0_5tupleIJNSA_16discard_iteratorISK_EESF_EEENSM_IJSG_SG_EEES6_PlJS6_EEE10hipError_tPvRmT3_T4_T5_T6_T7_T9_mT8_P12ihipStream_tbDpT10_ENKUlT_T0_E_clISt17integral_constantIbLb0EES1B_EEDaS16_S17_EUlS16_E_NS1_11comp_targetILNS1_3genE2ELNS1_11target_archE906ELNS1_3gpuE6ELNS1_3repE0EEENS1_30default_config_static_selectorELNS0_4arch9wavefront6targetE1EEEvT1_, .Lfunc_end2943-_ZN7rocprim17ROCPRIM_400000_NS6detail17trampoline_kernelINS0_14default_configENS1_25partition_config_selectorILNS1_17partition_subalgoE1EyNS0_10empty_typeEbEEZZNS1_14partition_implILS5_1ELb0ES3_jN6thrust23THRUST_200600_302600_NS6detail15normal_iteratorINSA_10device_ptrIyEEEEPS6_NSA_18transform_iteratorI7is_evenIyESF_NSA_11use_defaultESK_EENS0_5tupleIJNSA_16discard_iteratorISK_EESF_EEENSM_IJSG_SG_EEES6_PlJS6_EEE10hipError_tPvRmT3_T4_T5_T6_T7_T9_mT8_P12ihipStream_tbDpT10_ENKUlT_T0_E_clISt17integral_constantIbLb0EES1B_EEDaS16_S17_EUlS16_E_NS1_11comp_targetILNS1_3genE2ELNS1_11target_archE906ELNS1_3gpuE6ELNS1_3repE0EEENS1_30default_config_static_selectorELNS0_4arch9wavefront6targetE1EEEvT1_
                                        ; -- End function
	.section	.AMDGPU.csdata,"",@progbits
; Kernel info:
; codeLenInByte = 0
; NumSgprs: 6
; NumVgprs: 0
; NumAgprs: 0
; TotalNumVgprs: 0
; ScratchSize: 0
; MemoryBound: 0
; FloatMode: 240
; IeeeMode: 1
; LDSByteSize: 0 bytes/workgroup (compile time only)
; SGPRBlocks: 0
; VGPRBlocks: 0
; NumSGPRsForWavesPerEU: 6
; NumVGPRsForWavesPerEU: 1
; AccumOffset: 4
; Occupancy: 8
; WaveLimiterHint : 0
; COMPUTE_PGM_RSRC2:SCRATCH_EN: 0
; COMPUTE_PGM_RSRC2:USER_SGPR: 2
; COMPUTE_PGM_RSRC2:TRAP_HANDLER: 0
; COMPUTE_PGM_RSRC2:TGID_X_EN: 1
; COMPUTE_PGM_RSRC2:TGID_Y_EN: 0
; COMPUTE_PGM_RSRC2:TGID_Z_EN: 0
; COMPUTE_PGM_RSRC2:TIDIG_COMP_CNT: 0
; COMPUTE_PGM_RSRC3_GFX90A:ACCUM_OFFSET: 0
; COMPUTE_PGM_RSRC3_GFX90A:TG_SPLIT: 0
	.section	.text._ZN7rocprim17ROCPRIM_400000_NS6detail17trampoline_kernelINS0_14default_configENS1_25partition_config_selectorILNS1_17partition_subalgoE1EyNS0_10empty_typeEbEEZZNS1_14partition_implILS5_1ELb0ES3_jN6thrust23THRUST_200600_302600_NS6detail15normal_iteratorINSA_10device_ptrIyEEEEPS6_NSA_18transform_iteratorI7is_evenIyESF_NSA_11use_defaultESK_EENS0_5tupleIJNSA_16discard_iteratorISK_EESF_EEENSM_IJSG_SG_EEES6_PlJS6_EEE10hipError_tPvRmT3_T4_T5_T6_T7_T9_mT8_P12ihipStream_tbDpT10_ENKUlT_T0_E_clISt17integral_constantIbLb0EES1B_EEDaS16_S17_EUlS16_E_NS1_11comp_targetILNS1_3genE10ELNS1_11target_archE1200ELNS1_3gpuE4ELNS1_3repE0EEENS1_30default_config_static_selectorELNS0_4arch9wavefront6targetE1EEEvT1_,"axG",@progbits,_ZN7rocprim17ROCPRIM_400000_NS6detail17trampoline_kernelINS0_14default_configENS1_25partition_config_selectorILNS1_17partition_subalgoE1EyNS0_10empty_typeEbEEZZNS1_14partition_implILS5_1ELb0ES3_jN6thrust23THRUST_200600_302600_NS6detail15normal_iteratorINSA_10device_ptrIyEEEEPS6_NSA_18transform_iteratorI7is_evenIyESF_NSA_11use_defaultESK_EENS0_5tupleIJNSA_16discard_iteratorISK_EESF_EEENSM_IJSG_SG_EEES6_PlJS6_EEE10hipError_tPvRmT3_T4_T5_T6_T7_T9_mT8_P12ihipStream_tbDpT10_ENKUlT_T0_E_clISt17integral_constantIbLb0EES1B_EEDaS16_S17_EUlS16_E_NS1_11comp_targetILNS1_3genE10ELNS1_11target_archE1200ELNS1_3gpuE4ELNS1_3repE0EEENS1_30default_config_static_selectorELNS0_4arch9wavefront6targetE1EEEvT1_,comdat
	.protected	_ZN7rocprim17ROCPRIM_400000_NS6detail17trampoline_kernelINS0_14default_configENS1_25partition_config_selectorILNS1_17partition_subalgoE1EyNS0_10empty_typeEbEEZZNS1_14partition_implILS5_1ELb0ES3_jN6thrust23THRUST_200600_302600_NS6detail15normal_iteratorINSA_10device_ptrIyEEEEPS6_NSA_18transform_iteratorI7is_evenIyESF_NSA_11use_defaultESK_EENS0_5tupleIJNSA_16discard_iteratorISK_EESF_EEENSM_IJSG_SG_EEES6_PlJS6_EEE10hipError_tPvRmT3_T4_T5_T6_T7_T9_mT8_P12ihipStream_tbDpT10_ENKUlT_T0_E_clISt17integral_constantIbLb0EES1B_EEDaS16_S17_EUlS16_E_NS1_11comp_targetILNS1_3genE10ELNS1_11target_archE1200ELNS1_3gpuE4ELNS1_3repE0EEENS1_30default_config_static_selectorELNS0_4arch9wavefront6targetE1EEEvT1_ ; -- Begin function _ZN7rocprim17ROCPRIM_400000_NS6detail17trampoline_kernelINS0_14default_configENS1_25partition_config_selectorILNS1_17partition_subalgoE1EyNS0_10empty_typeEbEEZZNS1_14partition_implILS5_1ELb0ES3_jN6thrust23THRUST_200600_302600_NS6detail15normal_iteratorINSA_10device_ptrIyEEEEPS6_NSA_18transform_iteratorI7is_evenIyESF_NSA_11use_defaultESK_EENS0_5tupleIJNSA_16discard_iteratorISK_EESF_EEENSM_IJSG_SG_EEES6_PlJS6_EEE10hipError_tPvRmT3_T4_T5_T6_T7_T9_mT8_P12ihipStream_tbDpT10_ENKUlT_T0_E_clISt17integral_constantIbLb0EES1B_EEDaS16_S17_EUlS16_E_NS1_11comp_targetILNS1_3genE10ELNS1_11target_archE1200ELNS1_3gpuE4ELNS1_3repE0EEENS1_30default_config_static_selectorELNS0_4arch9wavefront6targetE1EEEvT1_
	.globl	_ZN7rocprim17ROCPRIM_400000_NS6detail17trampoline_kernelINS0_14default_configENS1_25partition_config_selectorILNS1_17partition_subalgoE1EyNS0_10empty_typeEbEEZZNS1_14partition_implILS5_1ELb0ES3_jN6thrust23THRUST_200600_302600_NS6detail15normal_iteratorINSA_10device_ptrIyEEEEPS6_NSA_18transform_iteratorI7is_evenIyESF_NSA_11use_defaultESK_EENS0_5tupleIJNSA_16discard_iteratorISK_EESF_EEENSM_IJSG_SG_EEES6_PlJS6_EEE10hipError_tPvRmT3_T4_T5_T6_T7_T9_mT8_P12ihipStream_tbDpT10_ENKUlT_T0_E_clISt17integral_constantIbLb0EES1B_EEDaS16_S17_EUlS16_E_NS1_11comp_targetILNS1_3genE10ELNS1_11target_archE1200ELNS1_3gpuE4ELNS1_3repE0EEENS1_30default_config_static_selectorELNS0_4arch9wavefront6targetE1EEEvT1_
	.p2align	8
	.type	_ZN7rocprim17ROCPRIM_400000_NS6detail17trampoline_kernelINS0_14default_configENS1_25partition_config_selectorILNS1_17partition_subalgoE1EyNS0_10empty_typeEbEEZZNS1_14partition_implILS5_1ELb0ES3_jN6thrust23THRUST_200600_302600_NS6detail15normal_iteratorINSA_10device_ptrIyEEEEPS6_NSA_18transform_iteratorI7is_evenIyESF_NSA_11use_defaultESK_EENS0_5tupleIJNSA_16discard_iteratorISK_EESF_EEENSM_IJSG_SG_EEES6_PlJS6_EEE10hipError_tPvRmT3_T4_T5_T6_T7_T9_mT8_P12ihipStream_tbDpT10_ENKUlT_T0_E_clISt17integral_constantIbLb0EES1B_EEDaS16_S17_EUlS16_E_NS1_11comp_targetILNS1_3genE10ELNS1_11target_archE1200ELNS1_3gpuE4ELNS1_3repE0EEENS1_30default_config_static_selectorELNS0_4arch9wavefront6targetE1EEEvT1_,@function
_ZN7rocprim17ROCPRIM_400000_NS6detail17trampoline_kernelINS0_14default_configENS1_25partition_config_selectorILNS1_17partition_subalgoE1EyNS0_10empty_typeEbEEZZNS1_14partition_implILS5_1ELb0ES3_jN6thrust23THRUST_200600_302600_NS6detail15normal_iteratorINSA_10device_ptrIyEEEEPS6_NSA_18transform_iteratorI7is_evenIyESF_NSA_11use_defaultESK_EENS0_5tupleIJNSA_16discard_iteratorISK_EESF_EEENSM_IJSG_SG_EEES6_PlJS6_EEE10hipError_tPvRmT3_T4_T5_T6_T7_T9_mT8_P12ihipStream_tbDpT10_ENKUlT_T0_E_clISt17integral_constantIbLb0EES1B_EEDaS16_S17_EUlS16_E_NS1_11comp_targetILNS1_3genE10ELNS1_11target_archE1200ELNS1_3gpuE4ELNS1_3repE0EEENS1_30default_config_static_selectorELNS0_4arch9wavefront6targetE1EEEvT1_: ; @_ZN7rocprim17ROCPRIM_400000_NS6detail17trampoline_kernelINS0_14default_configENS1_25partition_config_selectorILNS1_17partition_subalgoE1EyNS0_10empty_typeEbEEZZNS1_14partition_implILS5_1ELb0ES3_jN6thrust23THRUST_200600_302600_NS6detail15normal_iteratorINSA_10device_ptrIyEEEEPS6_NSA_18transform_iteratorI7is_evenIyESF_NSA_11use_defaultESK_EENS0_5tupleIJNSA_16discard_iteratorISK_EESF_EEENSM_IJSG_SG_EEES6_PlJS6_EEE10hipError_tPvRmT3_T4_T5_T6_T7_T9_mT8_P12ihipStream_tbDpT10_ENKUlT_T0_E_clISt17integral_constantIbLb0EES1B_EEDaS16_S17_EUlS16_E_NS1_11comp_targetILNS1_3genE10ELNS1_11target_archE1200ELNS1_3gpuE4ELNS1_3repE0EEENS1_30default_config_static_selectorELNS0_4arch9wavefront6targetE1EEEvT1_
; %bb.0:
	.section	.rodata,"a",@progbits
	.p2align	6, 0x0
	.amdhsa_kernel _ZN7rocprim17ROCPRIM_400000_NS6detail17trampoline_kernelINS0_14default_configENS1_25partition_config_selectorILNS1_17partition_subalgoE1EyNS0_10empty_typeEbEEZZNS1_14partition_implILS5_1ELb0ES3_jN6thrust23THRUST_200600_302600_NS6detail15normal_iteratorINSA_10device_ptrIyEEEEPS6_NSA_18transform_iteratorI7is_evenIyESF_NSA_11use_defaultESK_EENS0_5tupleIJNSA_16discard_iteratorISK_EESF_EEENSM_IJSG_SG_EEES6_PlJS6_EEE10hipError_tPvRmT3_T4_T5_T6_T7_T9_mT8_P12ihipStream_tbDpT10_ENKUlT_T0_E_clISt17integral_constantIbLb0EES1B_EEDaS16_S17_EUlS16_E_NS1_11comp_targetILNS1_3genE10ELNS1_11target_archE1200ELNS1_3gpuE4ELNS1_3repE0EEENS1_30default_config_static_selectorELNS0_4arch9wavefront6targetE1EEEvT1_
		.amdhsa_group_segment_fixed_size 0
		.amdhsa_private_segment_fixed_size 0
		.amdhsa_kernarg_size 136
		.amdhsa_user_sgpr_count 2
		.amdhsa_user_sgpr_dispatch_ptr 0
		.amdhsa_user_sgpr_queue_ptr 0
		.amdhsa_user_sgpr_kernarg_segment_ptr 1
		.amdhsa_user_sgpr_dispatch_id 0
		.amdhsa_user_sgpr_kernarg_preload_length 0
		.amdhsa_user_sgpr_kernarg_preload_offset 0
		.amdhsa_user_sgpr_private_segment_size 0
		.amdhsa_uses_dynamic_stack 0
		.amdhsa_enable_private_segment 0
		.amdhsa_system_sgpr_workgroup_id_x 1
		.amdhsa_system_sgpr_workgroup_id_y 0
		.amdhsa_system_sgpr_workgroup_id_z 0
		.amdhsa_system_sgpr_workgroup_info 0
		.amdhsa_system_vgpr_workitem_id 0
		.amdhsa_next_free_vgpr 1
		.amdhsa_next_free_sgpr 0
		.amdhsa_accum_offset 4
		.amdhsa_reserve_vcc 0
		.amdhsa_float_round_mode_32 0
		.amdhsa_float_round_mode_16_64 0
		.amdhsa_float_denorm_mode_32 3
		.amdhsa_float_denorm_mode_16_64 3
		.amdhsa_dx10_clamp 1
		.amdhsa_ieee_mode 1
		.amdhsa_fp16_overflow 0
		.amdhsa_tg_split 0
		.amdhsa_exception_fp_ieee_invalid_op 0
		.amdhsa_exception_fp_denorm_src 0
		.amdhsa_exception_fp_ieee_div_zero 0
		.amdhsa_exception_fp_ieee_overflow 0
		.amdhsa_exception_fp_ieee_underflow 0
		.amdhsa_exception_fp_ieee_inexact 0
		.amdhsa_exception_int_div_zero 0
	.end_amdhsa_kernel
	.section	.text._ZN7rocprim17ROCPRIM_400000_NS6detail17trampoline_kernelINS0_14default_configENS1_25partition_config_selectorILNS1_17partition_subalgoE1EyNS0_10empty_typeEbEEZZNS1_14partition_implILS5_1ELb0ES3_jN6thrust23THRUST_200600_302600_NS6detail15normal_iteratorINSA_10device_ptrIyEEEEPS6_NSA_18transform_iteratorI7is_evenIyESF_NSA_11use_defaultESK_EENS0_5tupleIJNSA_16discard_iteratorISK_EESF_EEENSM_IJSG_SG_EEES6_PlJS6_EEE10hipError_tPvRmT3_T4_T5_T6_T7_T9_mT8_P12ihipStream_tbDpT10_ENKUlT_T0_E_clISt17integral_constantIbLb0EES1B_EEDaS16_S17_EUlS16_E_NS1_11comp_targetILNS1_3genE10ELNS1_11target_archE1200ELNS1_3gpuE4ELNS1_3repE0EEENS1_30default_config_static_selectorELNS0_4arch9wavefront6targetE1EEEvT1_,"axG",@progbits,_ZN7rocprim17ROCPRIM_400000_NS6detail17trampoline_kernelINS0_14default_configENS1_25partition_config_selectorILNS1_17partition_subalgoE1EyNS0_10empty_typeEbEEZZNS1_14partition_implILS5_1ELb0ES3_jN6thrust23THRUST_200600_302600_NS6detail15normal_iteratorINSA_10device_ptrIyEEEEPS6_NSA_18transform_iteratorI7is_evenIyESF_NSA_11use_defaultESK_EENS0_5tupleIJNSA_16discard_iteratorISK_EESF_EEENSM_IJSG_SG_EEES6_PlJS6_EEE10hipError_tPvRmT3_T4_T5_T6_T7_T9_mT8_P12ihipStream_tbDpT10_ENKUlT_T0_E_clISt17integral_constantIbLb0EES1B_EEDaS16_S17_EUlS16_E_NS1_11comp_targetILNS1_3genE10ELNS1_11target_archE1200ELNS1_3gpuE4ELNS1_3repE0EEENS1_30default_config_static_selectorELNS0_4arch9wavefront6targetE1EEEvT1_,comdat
.Lfunc_end2944:
	.size	_ZN7rocprim17ROCPRIM_400000_NS6detail17trampoline_kernelINS0_14default_configENS1_25partition_config_selectorILNS1_17partition_subalgoE1EyNS0_10empty_typeEbEEZZNS1_14partition_implILS5_1ELb0ES3_jN6thrust23THRUST_200600_302600_NS6detail15normal_iteratorINSA_10device_ptrIyEEEEPS6_NSA_18transform_iteratorI7is_evenIyESF_NSA_11use_defaultESK_EENS0_5tupleIJNSA_16discard_iteratorISK_EESF_EEENSM_IJSG_SG_EEES6_PlJS6_EEE10hipError_tPvRmT3_T4_T5_T6_T7_T9_mT8_P12ihipStream_tbDpT10_ENKUlT_T0_E_clISt17integral_constantIbLb0EES1B_EEDaS16_S17_EUlS16_E_NS1_11comp_targetILNS1_3genE10ELNS1_11target_archE1200ELNS1_3gpuE4ELNS1_3repE0EEENS1_30default_config_static_selectorELNS0_4arch9wavefront6targetE1EEEvT1_, .Lfunc_end2944-_ZN7rocprim17ROCPRIM_400000_NS6detail17trampoline_kernelINS0_14default_configENS1_25partition_config_selectorILNS1_17partition_subalgoE1EyNS0_10empty_typeEbEEZZNS1_14partition_implILS5_1ELb0ES3_jN6thrust23THRUST_200600_302600_NS6detail15normal_iteratorINSA_10device_ptrIyEEEEPS6_NSA_18transform_iteratorI7is_evenIyESF_NSA_11use_defaultESK_EENS0_5tupleIJNSA_16discard_iteratorISK_EESF_EEENSM_IJSG_SG_EEES6_PlJS6_EEE10hipError_tPvRmT3_T4_T5_T6_T7_T9_mT8_P12ihipStream_tbDpT10_ENKUlT_T0_E_clISt17integral_constantIbLb0EES1B_EEDaS16_S17_EUlS16_E_NS1_11comp_targetILNS1_3genE10ELNS1_11target_archE1200ELNS1_3gpuE4ELNS1_3repE0EEENS1_30default_config_static_selectorELNS0_4arch9wavefront6targetE1EEEvT1_
                                        ; -- End function
	.section	.AMDGPU.csdata,"",@progbits
; Kernel info:
; codeLenInByte = 0
; NumSgprs: 6
; NumVgprs: 0
; NumAgprs: 0
; TotalNumVgprs: 0
; ScratchSize: 0
; MemoryBound: 0
; FloatMode: 240
; IeeeMode: 1
; LDSByteSize: 0 bytes/workgroup (compile time only)
; SGPRBlocks: 0
; VGPRBlocks: 0
; NumSGPRsForWavesPerEU: 6
; NumVGPRsForWavesPerEU: 1
; AccumOffset: 4
; Occupancy: 8
; WaveLimiterHint : 0
; COMPUTE_PGM_RSRC2:SCRATCH_EN: 0
; COMPUTE_PGM_RSRC2:USER_SGPR: 2
; COMPUTE_PGM_RSRC2:TRAP_HANDLER: 0
; COMPUTE_PGM_RSRC2:TGID_X_EN: 1
; COMPUTE_PGM_RSRC2:TGID_Y_EN: 0
; COMPUTE_PGM_RSRC2:TGID_Z_EN: 0
; COMPUTE_PGM_RSRC2:TIDIG_COMP_CNT: 0
; COMPUTE_PGM_RSRC3_GFX90A:ACCUM_OFFSET: 0
; COMPUTE_PGM_RSRC3_GFX90A:TG_SPLIT: 0
	.section	.text._ZN7rocprim17ROCPRIM_400000_NS6detail17trampoline_kernelINS0_14default_configENS1_25partition_config_selectorILNS1_17partition_subalgoE1EyNS0_10empty_typeEbEEZZNS1_14partition_implILS5_1ELb0ES3_jN6thrust23THRUST_200600_302600_NS6detail15normal_iteratorINSA_10device_ptrIyEEEEPS6_NSA_18transform_iteratorI7is_evenIyESF_NSA_11use_defaultESK_EENS0_5tupleIJNSA_16discard_iteratorISK_EESF_EEENSM_IJSG_SG_EEES6_PlJS6_EEE10hipError_tPvRmT3_T4_T5_T6_T7_T9_mT8_P12ihipStream_tbDpT10_ENKUlT_T0_E_clISt17integral_constantIbLb0EES1B_EEDaS16_S17_EUlS16_E_NS1_11comp_targetILNS1_3genE9ELNS1_11target_archE1100ELNS1_3gpuE3ELNS1_3repE0EEENS1_30default_config_static_selectorELNS0_4arch9wavefront6targetE1EEEvT1_,"axG",@progbits,_ZN7rocprim17ROCPRIM_400000_NS6detail17trampoline_kernelINS0_14default_configENS1_25partition_config_selectorILNS1_17partition_subalgoE1EyNS0_10empty_typeEbEEZZNS1_14partition_implILS5_1ELb0ES3_jN6thrust23THRUST_200600_302600_NS6detail15normal_iteratorINSA_10device_ptrIyEEEEPS6_NSA_18transform_iteratorI7is_evenIyESF_NSA_11use_defaultESK_EENS0_5tupleIJNSA_16discard_iteratorISK_EESF_EEENSM_IJSG_SG_EEES6_PlJS6_EEE10hipError_tPvRmT3_T4_T5_T6_T7_T9_mT8_P12ihipStream_tbDpT10_ENKUlT_T0_E_clISt17integral_constantIbLb0EES1B_EEDaS16_S17_EUlS16_E_NS1_11comp_targetILNS1_3genE9ELNS1_11target_archE1100ELNS1_3gpuE3ELNS1_3repE0EEENS1_30default_config_static_selectorELNS0_4arch9wavefront6targetE1EEEvT1_,comdat
	.protected	_ZN7rocprim17ROCPRIM_400000_NS6detail17trampoline_kernelINS0_14default_configENS1_25partition_config_selectorILNS1_17partition_subalgoE1EyNS0_10empty_typeEbEEZZNS1_14partition_implILS5_1ELb0ES3_jN6thrust23THRUST_200600_302600_NS6detail15normal_iteratorINSA_10device_ptrIyEEEEPS6_NSA_18transform_iteratorI7is_evenIyESF_NSA_11use_defaultESK_EENS0_5tupleIJNSA_16discard_iteratorISK_EESF_EEENSM_IJSG_SG_EEES6_PlJS6_EEE10hipError_tPvRmT3_T4_T5_T6_T7_T9_mT8_P12ihipStream_tbDpT10_ENKUlT_T0_E_clISt17integral_constantIbLb0EES1B_EEDaS16_S17_EUlS16_E_NS1_11comp_targetILNS1_3genE9ELNS1_11target_archE1100ELNS1_3gpuE3ELNS1_3repE0EEENS1_30default_config_static_selectorELNS0_4arch9wavefront6targetE1EEEvT1_ ; -- Begin function _ZN7rocprim17ROCPRIM_400000_NS6detail17trampoline_kernelINS0_14default_configENS1_25partition_config_selectorILNS1_17partition_subalgoE1EyNS0_10empty_typeEbEEZZNS1_14partition_implILS5_1ELb0ES3_jN6thrust23THRUST_200600_302600_NS6detail15normal_iteratorINSA_10device_ptrIyEEEEPS6_NSA_18transform_iteratorI7is_evenIyESF_NSA_11use_defaultESK_EENS0_5tupleIJNSA_16discard_iteratorISK_EESF_EEENSM_IJSG_SG_EEES6_PlJS6_EEE10hipError_tPvRmT3_T4_T5_T6_T7_T9_mT8_P12ihipStream_tbDpT10_ENKUlT_T0_E_clISt17integral_constantIbLb0EES1B_EEDaS16_S17_EUlS16_E_NS1_11comp_targetILNS1_3genE9ELNS1_11target_archE1100ELNS1_3gpuE3ELNS1_3repE0EEENS1_30default_config_static_selectorELNS0_4arch9wavefront6targetE1EEEvT1_
	.globl	_ZN7rocprim17ROCPRIM_400000_NS6detail17trampoline_kernelINS0_14default_configENS1_25partition_config_selectorILNS1_17partition_subalgoE1EyNS0_10empty_typeEbEEZZNS1_14partition_implILS5_1ELb0ES3_jN6thrust23THRUST_200600_302600_NS6detail15normal_iteratorINSA_10device_ptrIyEEEEPS6_NSA_18transform_iteratorI7is_evenIyESF_NSA_11use_defaultESK_EENS0_5tupleIJNSA_16discard_iteratorISK_EESF_EEENSM_IJSG_SG_EEES6_PlJS6_EEE10hipError_tPvRmT3_T4_T5_T6_T7_T9_mT8_P12ihipStream_tbDpT10_ENKUlT_T0_E_clISt17integral_constantIbLb0EES1B_EEDaS16_S17_EUlS16_E_NS1_11comp_targetILNS1_3genE9ELNS1_11target_archE1100ELNS1_3gpuE3ELNS1_3repE0EEENS1_30default_config_static_selectorELNS0_4arch9wavefront6targetE1EEEvT1_
	.p2align	8
	.type	_ZN7rocprim17ROCPRIM_400000_NS6detail17trampoline_kernelINS0_14default_configENS1_25partition_config_selectorILNS1_17partition_subalgoE1EyNS0_10empty_typeEbEEZZNS1_14partition_implILS5_1ELb0ES3_jN6thrust23THRUST_200600_302600_NS6detail15normal_iteratorINSA_10device_ptrIyEEEEPS6_NSA_18transform_iteratorI7is_evenIyESF_NSA_11use_defaultESK_EENS0_5tupleIJNSA_16discard_iteratorISK_EESF_EEENSM_IJSG_SG_EEES6_PlJS6_EEE10hipError_tPvRmT3_T4_T5_T6_T7_T9_mT8_P12ihipStream_tbDpT10_ENKUlT_T0_E_clISt17integral_constantIbLb0EES1B_EEDaS16_S17_EUlS16_E_NS1_11comp_targetILNS1_3genE9ELNS1_11target_archE1100ELNS1_3gpuE3ELNS1_3repE0EEENS1_30default_config_static_selectorELNS0_4arch9wavefront6targetE1EEEvT1_,@function
_ZN7rocprim17ROCPRIM_400000_NS6detail17trampoline_kernelINS0_14default_configENS1_25partition_config_selectorILNS1_17partition_subalgoE1EyNS0_10empty_typeEbEEZZNS1_14partition_implILS5_1ELb0ES3_jN6thrust23THRUST_200600_302600_NS6detail15normal_iteratorINSA_10device_ptrIyEEEEPS6_NSA_18transform_iteratorI7is_evenIyESF_NSA_11use_defaultESK_EENS0_5tupleIJNSA_16discard_iteratorISK_EESF_EEENSM_IJSG_SG_EEES6_PlJS6_EEE10hipError_tPvRmT3_T4_T5_T6_T7_T9_mT8_P12ihipStream_tbDpT10_ENKUlT_T0_E_clISt17integral_constantIbLb0EES1B_EEDaS16_S17_EUlS16_E_NS1_11comp_targetILNS1_3genE9ELNS1_11target_archE1100ELNS1_3gpuE3ELNS1_3repE0EEENS1_30default_config_static_selectorELNS0_4arch9wavefront6targetE1EEEvT1_: ; @_ZN7rocprim17ROCPRIM_400000_NS6detail17trampoline_kernelINS0_14default_configENS1_25partition_config_selectorILNS1_17partition_subalgoE1EyNS0_10empty_typeEbEEZZNS1_14partition_implILS5_1ELb0ES3_jN6thrust23THRUST_200600_302600_NS6detail15normal_iteratorINSA_10device_ptrIyEEEEPS6_NSA_18transform_iteratorI7is_evenIyESF_NSA_11use_defaultESK_EENS0_5tupleIJNSA_16discard_iteratorISK_EESF_EEENSM_IJSG_SG_EEES6_PlJS6_EEE10hipError_tPvRmT3_T4_T5_T6_T7_T9_mT8_P12ihipStream_tbDpT10_ENKUlT_T0_E_clISt17integral_constantIbLb0EES1B_EEDaS16_S17_EUlS16_E_NS1_11comp_targetILNS1_3genE9ELNS1_11target_archE1100ELNS1_3gpuE3ELNS1_3repE0EEENS1_30default_config_static_selectorELNS0_4arch9wavefront6targetE1EEEvT1_
; %bb.0:
	.section	.rodata,"a",@progbits
	.p2align	6, 0x0
	.amdhsa_kernel _ZN7rocprim17ROCPRIM_400000_NS6detail17trampoline_kernelINS0_14default_configENS1_25partition_config_selectorILNS1_17partition_subalgoE1EyNS0_10empty_typeEbEEZZNS1_14partition_implILS5_1ELb0ES3_jN6thrust23THRUST_200600_302600_NS6detail15normal_iteratorINSA_10device_ptrIyEEEEPS6_NSA_18transform_iteratorI7is_evenIyESF_NSA_11use_defaultESK_EENS0_5tupleIJNSA_16discard_iteratorISK_EESF_EEENSM_IJSG_SG_EEES6_PlJS6_EEE10hipError_tPvRmT3_T4_T5_T6_T7_T9_mT8_P12ihipStream_tbDpT10_ENKUlT_T0_E_clISt17integral_constantIbLb0EES1B_EEDaS16_S17_EUlS16_E_NS1_11comp_targetILNS1_3genE9ELNS1_11target_archE1100ELNS1_3gpuE3ELNS1_3repE0EEENS1_30default_config_static_selectorELNS0_4arch9wavefront6targetE1EEEvT1_
		.amdhsa_group_segment_fixed_size 0
		.amdhsa_private_segment_fixed_size 0
		.amdhsa_kernarg_size 136
		.amdhsa_user_sgpr_count 2
		.amdhsa_user_sgpr_dispatch_ptr 0
		.amdhsa_user_sgpr_queue_ptr 0
		.amdhsa_user_sgpr_kernarg_segment_ptr 1
		.amdhsa_user_sgpr_dispatch_id 0
		.amdhsa_user_sgpr_kernarg_preload_length 0
		.amdhsa_user_sgpr_kernarg_preload_offset 0
		.amdhsa_user_sgpr_private_segment_size 0
		.amdhsa_uses_dynamic_stack 0
		.amdhsa_enable_private_segment 0
		.amdhsa_system_sgpr_workgroup_id_x 1
		.amdhsa_system_sgpr_workgroup_id_y 0
		.amdhsa_system_sgpr_workgroup_id_z 0
		.amdhsa_system_sgpr_workgroup_info 0
		.amdhsa_system_vgpr_workitem_id 0
		.amdhsa_next_free_vgpr 1
		.amdhsa_next_free_sgpr 0
		.amdhsa_accum_offset 4
		.amdhsa_reserve_vcc 0
		.amdhsa_float_round_mode_32 0
		.amdhsa_float_round_mode_16_64 0
		.amdhsa_float_denorm_mode_32 3
		.amdhsa_float_denorm_mode_16_64 3
		.amdhsa_dx10_clamp 1
		.amdhsa_ieee_mode 1
		.amdhsa_fp16_overflow 0
		.amdhsa_tg_split 0
		.amdhsa_exception_fp_ieee_invalid_op 0
		.amdhsa_exception_fp_denorm_src 0
		.amdhsa_exception_fp_ieee_div_zero 0
		.amdhsa_exception_fp_ieee_overflow 0
		.amdhsa_exception_fp_ieee_underflow 0
		.amdhsa_exception_fp_ieee_inexact 0
		.amdhsa_exception_int_div_zero 0
	.end_amdhsa_kernel
	.section	.text._ZN7rocprim17ROCPRIM_400000_NS6detail17trampoline_kernelINS0_14default_configENS1_25partition_config_selectorILNS1_17partition_subalgoE1EyNS0_10empty_typeEbEEZZNS1_14partition_implILS5_1ELb0ES3_jN6thrust23THRUST_200600_302600_NS6detail15normal_iteratorINSA_10device_ptrIyEEEEPS6_NSA_18transform_iteratorI7is_evenIyESF_NSA_11use_defaultESK_EENS0_5tupleIJNSA_16discard_iteratorISK_EESF_EEENSM_IJSG_SG_EEES6_PlJS6_EEE10hipError_tPvRmT3_T4_T5_T6_T7_T9_mT8_P12ihipStream_tbDpT10_ENKUlT_T0_E_clISt17integral_constantIbLb0EES1B_EEDaS16_S17_EUlS16_E_NS1_11comp_targetILNS1_3genE9ELNS1_11target_archE1100ELNS1_3gpuE3ELNS1_3repE0EEENS1_30default_config_static_selectorELNS0_4arch9wavefront6targetE1EEEvT1_,"axG",@progbits,_ZN7rocprim17ROCPRIM_400000_NS6detail17trampoline_kernelINS0_14default_configENS1_25partition_config_selectorILNS1_17partition_subalgoE1EyNS0_10empty_typeEbEEZZNS1_14partition_implILS5_1ELb0ES3_jN6thrust23THRUST_200600_302600_NS6detail15normal_iteratorINSA_10device_ptrIyEEEEPS6_NSA_18transform_iteratorI7is_evenIyESF_NSA_11use_defaultESK_EENS0_5tupleIJNSA_16discard_iteratorISK_EESF_EEENSM_IJSG_SG_EEES6_PlJS6_EEE10hipError_tPvRmT3_T4_T5_T6_T7_T9_mT8_P12ihipStream_tbDpT10_ENKUlT_T0_E_clISt17integral_constantIbLb0EES1B_EEDaS16_S17_EUlS16_E_NS1_11comp_targetILNS1_3genE9ELNS1_11target_archE1100ELNS1_3gpuE3ELNS1_3repE0EEENS1_30default_config_static_selectorELNS0_4arch9wavefront6targetE1EEEvT1_,comdat
.Lfunc_end2945:
	.size	_ZN7rocprim17ROCPRIM_400000_NS6detail17trampoline_kernelINS0_14default_configENS1_25partition_config_selectorILNS1_17partition_subalgoE1EyNS0_10empty_typeEbEEZZNS1_14partition_implILS5_1ELb0ES3_jN6thrust23THRUST_200600_302600_NS6detail15normal_iteratorINSA_10device_ptrIyEEEEPS6_NSA_18transform_iteratorI7is_evenIyESF_NSA_11use_defaultESK_EENS0_5tupleIJNSA_16discard_iteratorISK_EESF_EEENSM_IJSG_SG_EEES6_PlJS6_EEE10hipError_tPvRmT3_T4_T5_T6_T7_T9_mT8_P12ihipStream_tbDpT10_ENKUlT_T0_E_clISt17integral_constantIbLb0EES1B_EEDaS16_S17_EUlS16_E_NS1_11comp_targetILNS1_3genE9ELNS1_11target_archE1100ELNS1_3gpuE3ELNS1_3repE0EEENS1_30default_config_static_selectorELNS0_4arch9wavefront6targetE1EEEvT1_, .Lfunc_end2945-_ZN7rocprim17ROCPRIM_400000_NS6detail17trampoline_kernelINS0_14default_configENS1_25partition_config_selectorILNS1_17partition_subalgoE1EyNS0_10empty_typeEbEEZZNS1_14partition_implILS5_1ELb0ES3_jN6thrust23THRUST_200600_302600_NS6detail15normal_iteratorINSA_10device_ptrIyEEEEPS6_NSA_18transform_iteratorI7is_evenIyESF_NSA_11use_defaultESK_EENS0_5tupleIJNSA_16discard_iteratorISK_EESF_EEENSM_IJSG_SG_EEES6_PlJS6_EEE10hipError_tPvRmT3_T4_T5_T6_T7_T9_mT8_P12ihipStream_tbDpT10_ENKUlT_T0_E_clISt17integral_constantIbLb0EES1B_EEDaS16_S17_EUlS16_E_NS1_11comp_targetILNS1_3genE9ELNS1_11target_archE1100ELNS1_3gpuE3ELNS1_3repE0EEENS1_30default_config_static_selectorELNS0_4arch9wavefront6targetE1EEEvT1_
                                        ; -- End function
	.section	.AMDGPU.csdata,"",@progbits
; Kernel info:
; codeLenInByte = 0
; NumSgprs: 6
; NumVgprs: 0
; NumAgprs: 0
; TotalNumVgprs: 0
; ScratchSize: 0
; MemoryBound: 0
; FloatMode: 240
; IeeeMode: 1
; LDSByteSize: 0 bytes/workgroup (compile time only)
; SGPRBlocks: 0
; VGPRBlocks: 0
; NumSGPRsForWavesPerEU: 6
; NumVGPRsForWavesPerEU: 1
; AccumOffset: 4
; Occupancy: 8
; WaveLimiterHint : 0
; COMPUTE_PGM_RSRC2:SCRATCH_EN: 0
; COMPUTE_PGM_RSRC2:USER_SGPR: 2
; COMPUTE_PGM_RSRC2:TRAP_HANDLER: 0
; COMPUTE_PGM_RSRC2:TGID_X_EN: 1
; COMPUTE_PGM_RSRC2:TGID_Y_EN: 0
; COMPUTE_PGM_RSRC2:TGID_Z_EN: 0
; COMPUTE_PGM_RSRC2:TIDIG_COMP_CNT: 0
; COMPUTE_PGM_RSRC3_GFX90A:ACCUM_OFFSET: 0
; COMPUTE_PGM_RSRC3_GFX90A:TG_SPLIT: 0
	.section	.text._ZN7rocprim17ROCPRIM_400000_NS6detail17trampoline_kernelINS0_14default_configENS1_25partition_config_selectorILNS1_17partition_subalgoE1EyNS0_10empty_typeEbEEZZNS1_14partition_implILS5_1ELb0ES3_jN6thrust23THRUST_200600_302600_NS6detail15normal_iteratorINSA_10device_ptrIyEEEEPS6_NSA_18transform_iteratorI7is_evenIyESF_NSA_11use_defaultESK_EENS0_5tupleIJNSA_16discard_iteratorISK_EESF_EEENSM_IJSG_SG_EEES6_PlJS6_EEE10hipError_tPvRmT3_T4_T5_T6_T7_T9_mT8_P12ihipStream_tbDpT10_ENKUlT_T0_E_clISt17integral_constantIbLb0EES1B_EEDaS16_S17_EUlS16_E_NS1_11comp_targetILNS1_3genE8ELNS1_11target_archE1030ELNS1_3gpuE2ELNS1_3repE0EEENS1_30default_config_static_selectorELNS0_4arch9wavefront6targetE1EEEvT1_,"axG",@progbits,_ZN7rocprim17ROCPRIM_400000_NS6detail17trampoline_kernelINS0_14default_configENS1_25partition_config_selectorILNS1_17partition_subalgoE1EyNS0_10empty_typeEbEEZZNS1_14partition_implILS5_1ELb0ES3_jN6thrust23THRUST_200600_302600_NS6detail15normal_iteratorINSA_10device_ptrIyEEEEPS6_NSA_18transform_iteratorI7is_evenIyESF_NSA_11use_defaultESK_EENS0_5tupleIJNSA_16discard_iteratorISK_EESF_EEENSM_IJSG_SG_EEES6_PlJS6_EEE10hipError_tPvRmT3_T4_T5_T6_T7_T9_mT8_P12ihipStream_tbDpT10_ENKUlT_T0_E_clISt17integral_constantIbLb0EES1B_EEDaS16_S17_EUlS16_E_NS1_11comp_targetILNS1_3genE8ELNS1_11target_archE1030ELNS1_3gpuE2ELNS1_3repE0EEENS1_30default_config_static_selectorELNS0_4arch9wavefront6targetE1EEEvT1_,comdat
	.protected	_ZN7rocprim17ROCPRIM_400000_NS6detail17trampoline_kernelINS0_14default_configENS1_25partition_config_selectorILNS1_17partition_subalgoE1EyNS0_10empty_typeEbEEZZNS1_14partition_implILS5_1ELb0ES3_jN6thrust23THRUST_200600_302600_NS6detail15normal_iteratorINSA_10device_ptrIyEEEEPS6_NSA_18transform_iteratorI7is_evenIyESF_NSA_11use_defaultESK_EENS0_5tupleIJNSA_16discard_iteratorISK_EESF_EEENSM_IJSG_SG_EEES6_PlJS6_EEE10hipError_tPvRmT3_T4_T5_T6_T7_T9_mT8_P12ihipStream_tbDpT10_ENKUlT_T0_E_clISt17integral_constantIbLb0EES1B_EEDaS16_S17_EUlS16_E_NS1_11comp_targetILNS1_3genE8ELNS1_11target_archE1030ELNS1_3gpuE2ELNS1_3repE0EEENS1_30default_config_static_selectorELNS0_4arch9wavefront6targetE1EEEvT1_ ; -- Begin function _ZN7rocprim17ROCPRIM_400000_NS6detail17trampoline_kernelINS0_14default_configENS1_25partition_config_selectorILNS1_17partition_subalgoE1EyNS0_10empty_typeEbEEZZNS1_14partition_implILS5_1ELb0ES3_jN6thrust23THRUST_200600_302600_NS6detail15normal_iteratorINSA_10device_ptrIyEEEEPS6_NSA_18transform_iteratorI7is_evenIyESF_NSA_11use_defaultESK_EENS0_5tupleIJNSA_16discard_iteratorISK_EESF_EEENSM_IJSG_SG_EEES6_PlJS6_EEE10hipError_tPvRmT3_T4_T5_T6_T7_T9_mT8_P12ihipStream_tbDpT10_ENKUlT_T0_E_clISt17integral_constantIbLb0EES1B_EEDaS16_S17_EUlS16_E_NS1_11comp_targetILNS1_3genE8ELNS1_11target_archE1030ELNS1_3gpuE2ELNS1_3repE0EEENS1_30default_config_static_selectorELNS0_4arch9wavefront6targetE1EEEvT1_
	.globl	_ZN7rocprim17ROCPRIM_400000_NS6detail17trampoline_kernelINS0_14default_configENS1_25partition_config_selectorILNS1_17partition_subalgoE1EyNS0_10empty_typeEbEEZZNS1_14partition_implILS5_1ELb0ES3_jN6thrust23THRUST_200600_302600_NS6detail15normal_iteratorINSA_10device_ptrIyEEEEPS6_NSA_18transform_iteratorI7is_evenIyESF_NSA_11use_defaultESK_EENS0_5tupleIJNSA_16discard_iteratorISK_EESF_EEENSM_IJSG_SG_EEES6_PlJS6_EEE10hipError_tPvRmT3_T4_T5_T6_T7_T9_mT8_P12ihipStream_tbDpT10_ENKUlT_T0_E_clISt17integral_constantIbLb0EES1B_EEDaS16_S17_EUlS16_E_NS1_11comp_targetILNS1_3genE8ELNS1_11target_archE1030ELNS1_3gpuE2ELNS1_3repE0EEENS1_30default_config_static_selectorELNS0_4arch9wavefront6targetE1EEEvT1_
	.p2align	8
	.type	_ZN7rocprim17ROCPRIM_400000_NS6detail17trampoline_kernelINS0_14default_configENS1_25partition_config_selectorILNS1_17partition_subalgoE1EyNS0_10empty_typeEbEEZZNS1_14partition_implILS5_1ELb0ES3_jN6thrust23THRUST_200600_302600_NS6detail15normal_iteratorINSA_10device_ptrIyEEEEPS6_NSA_18transform_iteratorI7is_evenIyESF_NSA_11use_defaultESK_EENS0_5tupleIJNSA_16discard_iteratorISK_EESF_EEENSM_IJSG_SG_EEES6_PlJS6_EEE10hipError_tPvRmT3_T4_T5_T6_T7_T9_mT8_P12ihipStream_tbDpT10_ENKUlT_T0_E_clISt17integral_constantIbLb0EES1B_EEDaS16_S17_EUlS16_E_NS1_11comp_targetILNS1_3genE8ELNS1_11target_archE1030ELNS1_3gpuE2ELNS1_3repE0EEENS1_30default_config_static_selectorELNS0_4arch9wavefront6targetE1EEEvT1_,@function
_ZN7rocprim17ROCPRIM_400000_NS6detail17trampoline_kernelINS0_14default_configENS1_25partition_config_selectorILNS1_17partition_subalgoE1EyNS0_10empty_typeEbEEZZNS1_14partition_implILS5_1ELb0ES3_jN6thrust23THRUST_200600_302600_NS6detail15normal_iteratorINSA_10device_ptrIyEEEEPS6_NSA_18transform_iteratorI7is_evenIyESF_NSA_11use_defaultESK_EENS0_5tupleIJNSA_16discard_iteratorISK_EESF_EEENSM_IJSG_SG_EEES6_PlJS6_EEE10hipError_tPvRmT3_T4_T5_T6_T7_T9_mT8_P12ihipStream_tbDpT10_ENKUlT_T0_E_clISt17integral_constantIbLb0EES1B_EEDaS16_S17_EUlS16_E_NS1_11comp_targetILNS1_3genE8ELNS1_11target_archE1030ELNS1_3gpuE2ELNS1_3repE0EEENS1_30default_config_static_selectorELNS0_4arch9wavefront6targetE1EEEvT1_: ; @_ZN7rocprim17ROCPRIM_400000_NS6detail17trampoline_kernelINS0_14default_configENS1_25partition_config_selectorILNS1_17partition_subalgoE1EyNS0_10empty_typeEbEEZZNS1_14partition_implILS5_1ELb0ES3_jN6thrust23THRUST_200600_302600_NS6detail15normal_iteratorINSA_10device_ptrIyEEEEPS6_NSA_18transform_iteratorI7is_evenIyESF_NSA_11use_defaultESK_EENS0_5tupleIJNSA_16discard_iteratorISK_EESF_EEENSM_IJSG_SG_EEES6_PlJS6_EEE10hipError_tPvRmT3_T4_T5_T6_T7_T9_mT8_P12ihipStream_tbDpT10_ENKUlT_T0_E_clISt17integral_constantIbLb0EES1B_EEDaS16_S17_EUlS16_E_NS1_11comp_targetILNS1_3genE8ELNS1_11target_archE1030ELNS1_3gpuE2ELNS1_3repE0EEENS1_30default_config_static_selectorELNS0_4arch9wavefront6targetE1EEEvT1_
; %bb.0:
	.section	.rodata,"a",@progbits
	.p2align	6, 0x0
	.amdhsa_kernel _ZN7rocprim17ROCPRIM_400000_NS6detail17trampoline_kernelINS0_14default_configENS1_25partition_config_selectorILNS1_17partition_subalgoE1EyNS0_10empty_typeEbEEZZNS1_14partition_implILS5_1ELb0ES3_jN6thrust23THRUST_200600_302600_NS6detail15normal_iteratorINSA_10device_ptrIyEEEEPS6_NSA_18transform_iteratorI7is_evenIyESF_NSA_11use_defaultESK_EENS0_5tupleIJNSA_16discard_iteratorISK_EESF_EEENSM_IJSG_SG_EEES6_PlJS6_EEE10hipError_tPvRmT3_T4_T5_T6_T7_T9_mT8_P12ihipStream_tbDpT10_ENKUlT_T0_E_clISt17integral_constantIbLb0EES1B_EEDaS16_S17_EUlS16_E_NS1_11comp_targetILNS1_3genE8ELNS1_11target_archE1030ELNS1_3gpuE2ELNS1_3repE0EEENS1_30default_config_static_selectorELNS0_4arch9wavefront6targetE1EEEvT1_
		.amdhsa_group_segment_fixed_size 0
		.amdhsa_private_segment_fixed_size 0
		.amdhsa_kernarg_size 136
		.amdhsa_user_sgpr_count 2
		.amdhsa_user_sgpr_dispatch_ptr 0
		.amdhsa_user_sgpr_queue_ptr 0
		.amdhsa_user_sgpr_kernarg_segment_ptr 1
		.amdhsa_user_sgpr_dispatch_id 0
		.amdhsa_user_sgpr_kernarg_preload_length 0
		.amdhsa_user_sgpr_kernarg_preload_offset 0
		.amdhsa_user_sgpr_private_segment_size 0
		.amdhsa_uses_dynamic_stack 0
		.amdhsa_enable_private_segment 0
		.amdhsa_system_sgpr_workgroup_id_x 1
		.amdhsa_system_sgpr_workgroup_id_y 0
		.amdhsa_system_sgpr_workgroup_id_z 0
		.amdhsa_system_sgpr_workgroup_info 0
		.amdhsa_system_vgpr_workitem_id 0
		.amdhsa_next_free_vgpr 1
		.amdhsa_next_free_sgpr 0
		.amdhsa_accum_offset 4
		.amdhsa_reserve_vcc 0
		.amdhsa_float_round_mode_32 0
		.amdhsa_float_round_mode_16_64 0
		.amdhsa_float_denorm_mode_32 3
		.amdhsa_float_denorm_mode_16_64 3
		.amdhsa_dx10_clamp 1
		.amdhsa_ieee_mode 1
		.amdhsa_fp16_overflow 0
		.amdhsa_tg_split 0
		.amdhsa_exception_fp_ieee_invalid_op 0
		.amdhsa_exception_fp_denorm_src 0
		.amdhsa_exception_fp_ieee_div_zero 0
		.amdhsa_exception_fp_ieee_overflow 0
		.amdhsa_exception_fp_ieee_underflow 0
		.amdhsa_exception_fp_ieee_inexact 0
		.amdhsa_exception_int_div_zero 0
	.end_amdhsa_kernel
	.section	.text._ZN7rocprim17ROCPRIM_400000_NS6detail17trampoline_kernelINS0_14default_configENS1_25partition_config_selectorILNS1_17partition_subalgoE1EyNS0_10empty_typeEbEEZZNS1_14partition_implILS5_1ELb0ES3_jN6thrust23THRUST_200600_302600_NS6detail15normal_iteratorINSA_10device_ptrIyEEEEPS6_NSA_18transform_iteratorI7is_evenIyESF_NSA_11use_defaultESK_EENS0_5tupleIJNSA_16discard_iteratorISK_EESF_EEENSM_IJSG_SG_EEES6_PlJS6_EEE10hipError_tPvRmT3_T4_T5_T6_T7_T9_mT8_P12ihipStream_tbDpT10_ENKUlT_T0_E_clISt17integral_constantIbLb0EES1B_EEDaS16_S17_EUlS16_E_NS1_11comp_targetILNS1_3genE8ELNS1_11target_archE1030ELNS1_3gpuE2ELNS1_3repE0EEENS1_30default_config_static_selectorELNS0_4arch9wavefront6targetE1EEEvT1_,"axG",@progbits,_ZN7rocprim17ROCPRIM_400000_NS6detail17trampoline_kernelINS0_14default_configENS1_25partition_config_selectorILNS1_17partition_subalgoE1EyNS0_10empty_typeEbEEZZNS1_14partition_implILS5_1ELb0ES3_jN6thrust23THRUST_200600_302600_NS6detail15normal_iteratorINSA_10device_ptrIyEEEEPS6_NSA_18transform_iteratorI7is_evenIyESF_NSA_11use_defaultESK_EENS0_5tupleIJNSA_16discard_iteratorISK_EESF_EEENSM_IJSG_SG_EEES6_PlJS6_EEE10hipError_tPvRmT3_T4_T5_T6_T7_T9_mT8_P12ihipStream_tbDpT10_ENKUlT_T0_E_clISt17integral_constantIbLb0EES1B_EEDaS16_S17_EUlS16_E_NS1_11comp_targetILNS1_3genE8ELNS1_11target_archE1030ELNS1_3gpuE2ELNS1_3repE0EEENS1_30default_config_static_selectorELNS0_4arch9wavefront6targetE1EEEvT1_,comdat
.Lfunc_end2946:
	.size	_ZN7rocprim17ROCPRIM_400000_NS6detail17trampoline_kernelINS0_14default_configENS1_25partition_config_selectorILNS1_17partition_subalgoE1EyNS0_10empty_typeEbEEZZNS1_14partition_implILS5_1ELb0ES3_jN6thrust23THRUST_200600_302600_NS6detail15normal_iteratorINSA_10device_ptrIyEEEEPS6_NSA_18transform_iteratorI7is_evenIyESF_NSA_11use_defaultESK_EENS0_5tupleIJNSA_16discard_iteratorISK_EESF_EEENSM_IJSG_SG_EEES6_PlJS6_EEE10hipError_tPvRmT3_T4_T5_T6_T7_T9_mT8_P12ihipStream_tbDpT10_ENKUlT_T0_E_clISt17integral_constantIbLb0EES1B_EEDaS16_S17_EUlS16_E_NS1_11comp_targetILNS1_3genE8ELNS1_11target_archE1030ELNS1_3gpuE2ELNS1_3repE0EEENS1_30default_config_static_selectorELNS0_4arch9wavefront6targetE1EEEvT1_, .Lfunc_end2946-_ZN7rocprim17ROCPRIM_400000_NS6detail17trampoline_kernelINS0_14default_configENS1_25partition_config_selectorILNS1_17partition_subalgoE1EyNS0_10empty_typeEbEEZZNS1_14partition_implILS5_1ELb0ES3_jN6thrust23THRUST_200600_302600_NS6detail15normal_iteratorINSA_10device_ptrIyEEEEPS6_NSA_18transform_iteratorI7is_evenIyESF_NSA_11use_defaultESK_EENS0_5tupleIJNSA_16discard_iteratorISK_EESF_EEENSM_IJSG_SG_EEES6_PlJS6_EEE10hipError_tPvRmT3_T4_T5_T6_T7_T9_mT8_P12ihipStream_tbDpT10_ENKUlT_T0_E_clISt17integral_constantIbLb0EES1B_EEDaS16_S17_EUlS16_E_NS1_11comp_targetILNS1_3genE8ELNS1_11target_archE1030ELNS1_3gpuE2ELNS1_3repE0EEENS1_30default_config_static_selectorELNS0_4arch9wavefront6targetE1EEEvT1_
                                        ; -- End function
	.section	.AMDGPU.csdata,"",@progbits
; Kernel info:
; codeLenInByte = 0
; NumSgprs: 6
; NumVgprs: 0
; NumAgprs: 0
; TotalNumVgprs: 0
; ScratchSize: 0
; MemoryBound: 0
; FloatMode: 240
; IeeeMode: 1
; LDSByteSize: 0 bytes/workgroup (compile time only)
; SGPRBlocks: 0
; VGPRBlocks: 0
; NumSGPRsForWavesPerEU: 6
; NumVGPRsForWavesPerEU: 1
; AccumOffset: 4
; Occupancy: 8
; WaveLimiterHint : 0
; COMPUTE_PGM_RSRC2:SCRATCH_EN: 0
; COMPUTE_PGM_RSRC2:USER_SGPR: 2
; COMPUTE_PGM_RSRC2:TRAP_HANDLER: 0
; COMPUTE_PGM_RSRC2:TGID_X_EN: 1
; COMPUTE_PGM_RSRC2:TGID_Y_EN: 0
; COMPUTE_PGM_RSRC2:TGID_Z_EN: 0
; COMPUTE_PGM_RSRC2:TIDIG_COMP_CNT: 0
; COMPUTE_PGM_RSRC3_GFX90A:ACCUM_OFFSET: 0
; COMPUTE_PGM_RSRC3_GFX90A:TG_SPLIT: 0
	.section	.text._ZN7rocprim17ROCPRIM_400000_NS6detail17trampoline_kernelINS0_14default_configENS1_25partition_config_selectorILNS1_17partition_subalgoE1EyNS0_10empty_typeEbEEZZNS1_14partition_implILS5_1ELb0ES3_jN6thrust23THRUST_200600_302600_NS6detail15normal_iteratorINSA_10device_ptrIyEEEEPS6_NSA_18transform_iteratorI7is_evenIyESF_NSA_11use_defaultESK_EENS0_5tupleIJNSA_16discard_iteratorISK_EESF_EEENSM_IJSG_SG_EEES6_PlJS6_EEE10hipError_tPvRmT3_T4_T5_T6_T7_T9_mT8_P12ihipStream_tbDpT10_ENKUlT_T0_E_clISt17integral_constantIbLb1EES1B_EEDaS16_S17_EUlS16_E_NS1_11comp_targetILNS1_3genE0ELNS1_11target_archE4294967295ELNS1_3gpuE0ELNS1_3repE0EEENS1_30default_config_static_selectorELNS0_4arch9wavefront6targetE1EEEvT1_,"axG",@progbits,_ZN7rocprim17ROCPRIM_400000_NS6detail17trampoline_kernelINS0_14default_configENS1_25partition_config_selectorILNS1_17partition_subalgoE1EyNS0_10empty_typeEbEEZZNS1_14partition_implILS5_1ELb0ES3_jN6thrust23THRUST_200600_302600_NS6detail15normal_iteratorINSA_10device_ptrIyEEEEPS6_NSA_18transform_iteratorI7is_evenIyESF_NSA_11use_defaultESK_EENS0_5tupleIJNSA_16discard_iteratorISK_EESF_EEENSM_IJSG_SG_EEES6_PlJS6_EEE10hipError_tPvRmT3_T4_T5_T6_T7_T9_mT8_P12ihipStream_tbDpT10_ENKUlT_T0_E_clISt17integral_constantIbLb1EES1B_EEDaS16_S17_EUlS16_E_NS1_11comp_targetILNS1_3genE0ELNS1_11target_archE4294967295ELNS1_3gpuE0ELNS1_3repE0EEENS1_30default_config_static_selectorELNS0_4arch9wavefront6targetE1EEEvT1_,comdat
	.protected	_ZN7rocprim17ROCPRIM_400000_NS6detail17trampoline_kernelINS0_14default_configENS1_25partition_config_selectorILNS1_17partition_subalgoE1EyNS0_10empty_typeEbEEZZNS1_14partition_implILS5_1ELb0ES3_jN6thrust23THRUST_200600_302600_NS6detail15normal_iteratorINSA_10device_ptrIyEEEEPS6_NSA_18transform_iteratorI7is_evenIyESF_NSA_11use_defaultESK_EENS0_5tupleIJNSA_16discard_iteratorISK_EESF_EEENSM_IJSG_SG_EEES6_PlJS6_EEE10hipError_tPvRmT3_T4_T5_T6_T7_T9_mT8_P12ihipStream_tbDpT10_ENKUlT_T0_E_clISt17integral_constantIbLb1EES1B_EEDaS16_S17_EUlS16_E_NS1_11comp_targetILNS1_3genE0ELNS1_11target_archE4294967295ELNS1_3gpuE0ELNS1_3repE0EEENS1_30default_config_static_selectorELNS0_4arch9wavefront6targetE1EEEvT1_ ; -- Begin function _ZN7rocprim17ROCPRIM_400000_NS6detail17trampoline_kernelINS0_14default_configENS1_25partition_config_selectorILNS1_17partition_subalgoE1EyNS0_10empty_typeEbEEZZNS1_14partition_implILS5_1ELb0ES3_jN6thrust23THRUST_200600_302600_NS6detail15normal_iteratorINSA_10device_ptrIyEEEEPS6_NSA_18transform_iteratorI7is_evenIyESF_NSA_11use_defaultESK_EENS0_5tupleIJNSA_16discard_iteratorISK_EESF_EEENSM_IJSG_SG_EEES6_PlJS6_EEE10hipError_tPvRmT3_T4_T5_T6_T7_T9_mT8_P12ihipStream_tbDpT10_ENKUlT_T0_E_clISt17integral_constantIbLb1EES1B_EEDaS16_S17_EUlS16_E_NS1_11comp_targetILNS1_3genE0ELNS1_11target_archE4294967295ELNS1_3gpuE0ELNS1_3repE0EEENS1_30default_config_static_selectorELNS0_4arch9wavefront6targetE1EEEvT1_
	.globl	_ZN7rocprim17ROCPRIM_400000_NS6detail17trampoline_kernelINS0_14default_configENS1_25partition_config_selectorILNS1_17partition_subalgoE1EyNS0_10empty_typeEbEEZZNS1_14partition_implILS5_1ELb0ES3_jN6thrust23THRUST_200600_302600_NS6detail15normal_iteratorINSA_10device_ptrIyEEEEPS6_NSA_18transform_iteratorI7is_evenIyESF_NSA_11use_defaultESK_EENS0_5tupleIJNSA_16discard_iteratorISK_EESF_EEENSM_IJSG_SG_EEES6_PlJS6_EEE10hipError_tPvRmT3_T4_T5_T6_T7_T9_mT8_P12ihipStream_tbDpT10_ENKUlT_T0_E_clISt17integral_constantIbLb1EES1B_EEDaS16_S17_EUlS16_E_NS1_11comp_targetILNS1_3genE0ELNS1_11target_archE4294967295ELNS1_3gpuE0ELNS1_3repE0EEENS1_30default_config_static_selectorELNS0_4arch9wavefront6targetE1EEEvT1_
	.p2align	8
	.type	_ZN7rocprim17ROCPRIM_400000_NS6detail17trampoline_kernelINS0_14default_configENS1_25partition_config_selectorILNS1_17partition_subalgoE1EyNS0_10empty_typeEbEEZZNS1_14partition_implILS5_1ELb0ES3_jN6thrust23THRUST_200600_302600_NS6detail15normal_iteratorINSA_10device_ptrIyEEEEPS6_NSA_18transform_iteratorI7is_evenIyESF_NSA_11use_defaultESK_EENS0_5tupleIJNSA_16discard_iteratorISK_EESF_EEENSM_IJSG_SG_EEES6_PlJS6_EEE10hipError_tPvRmT3_T4_T5_T6_T7_T9_mT8_P12ihipStream_tbDpT10_ENKUlT_T0_E_clISt17integral_constantIbLb1EES1B_EEDaS16_S17_EUlS16_E_NS1_11comp_targetILNS1_3genE0ELNS1_11target_archE4294967295ELNS1_3gpuE0ELNS1_3repE0EEENS1_30default_config_static_selectorELNS0_4arch9wavefront6targetE1EEEvT1_,@function
_ZN7rocprim17ROCPRIM_400000_NS6detail17trampoline_kernelINS0_14default_configENS1_25partition_config_selectorILNS1_17partition_subalgoE1EyNS0_10empty_typeEbEEZZNS1_14partition_implILS5_1ELb0ES3_jN6thrust23THRUST_200600_302600_NS6detail15normal_iteratorINSA_10device_ptrIyEEEEPS6_NSA_18transform_iteratorI7is_evenIyESF_NSA_11use_defaultESK_EENS0_5tupleIJNSA_16discard_iteratorISK_EESF_EEENSM_IJSG_SG_EEES6_PlJS6_EEE10hipError_tPvRmT3_T4_T5_T6_T7_T9_mT8_P12ihipStream_tbDpT10_ENKUlT_T0_E_clISt17integral_constantIbLb1EES1B_EEDaS16_S17_EUlS16_E_NS1_11comp_targetILNS1_3genE0ELNS1_11target_archE4294967295ELNS1_3gpuE0ELNS1_3repE0EEENS1_30default_config_static_selectorELNS0_4arch9wavefront6targetE1EEEvT1_: ; @_ZN7rocprim17ROCPRIM_400000_NS6detail17trampoline_kernelINS0_14default_configENS1_25partition_config_selectorILNS1_17partition_subalgoE1EyNS0_10empty_typeEbEEZZNS1_14partition_implILS5_1ELb0ES3_jN6thrust23THRUST_200600_302600_NS6detail15normal_iteratorINSA_10device_ptrIyEEEEPS6_NSA_18transform_iteratorI7is_evenIyESF_NSA_11use_defaultESK_EENS0_5tupleIJNSA_16discard_iteratorISK_EESF_EEENSM_IJSG_SG_EEES6_PlJS6_EEE10hipError_tPvRmT3_T4_T5_T6_T7_T9_mT8_P12ihipStream_tbDpT10_ENKUlT_T0_E_clISt17integral_constantIbLb1EES1B_EEDaS16_S17_EUlS16_E_NS1_11comp_targetILNS1_3genE0ELNS1_11target_archE4294967295ELNS1_3gpuE0ELNS1_3repE0EEENS1_30default_config_static_selectorELNS0_4arch9wavefront6targetE1EEEvT1_
; %bb.0:
	.section	.rodata,"a",@progbits
	.p2align	6, 0x0
	.amdhsa_kernel _ZN7rocprim17ROCPRIM_400000_NS6detail17trampoline_kernelINS0_14default_configENS1_25partition_config_selectorILNS1_17partition_subalgoE1EyNS0_10empty_typeEbEEZZNS1_14partition_implILS5_1ELb0ES3_jN6thrust23THRUST_200600_302600_NS6detail15normal_iteratorINSA_10device_ptrIyEEEEPS6_NSA_18transform_iteratorI7is_evenIyESF_NSA_11use_defaultESK_EENS0_5tupleIJNSA_16discard_iteratorISK_EESF_EEENSM_IJSG_SG_EEES6_PlJS6_EEE10hipError_tPvRmT3_T4_T5_T6_T7_T9_mT8_P12ihipStream_tbDpT10_ENKUlT_T0_E_clISt17integral_constantIbLb1EES1B_EEDaS16_S17_EUlS16_E_NS1_11comp_targetILNS1_3genE0ELNS1_11target_archE4294967295ELNS1_3gpuE0ELNS1_3repE0EEENS1_30default_config_static_selectorELNS0_4arch9wavefront6targetE1EEEvT1_
		.amdhsa_group_segment_fixed_size 0
		.amdhsa_private_segment_fixed_size 0
		.amdhsa_kernarg_size 152
		.amdhsa_user_sgpr_count 2
		.amdhsa_user_sgpr_dispatch_ptr 0
		.amdhsa_user_sgpr_queue_ptr 0
		.amdhsa_user_sgpr_kernarg_segment_ptr 1
		.amdhsa_user_sgpr_dispatch_id 0
		.amdhsa_user_sgpr_kernarg_preload_length 0
		.amdhsa_user_sgpr_kernarg_preload_offset 0
		.amdhsa_user_sgpr_private_segment_size 0
		.amdhsa_uses_dynamic_stack 0
		.amdhsa_enable_private_segment 0
		.amdhsa_system_sgpr_workgroup_id_x 1
		.amdhsa_system_sgpr_workgroup_id_y 0
		.amdhsa_system_sgpr_workgroup_id_z 0
		.amdhsa_system_sgpr_workgroup_info 0
		.amdhsa_system_vgpr_workitem_id 0
		.amdhsa_next_free_vgpr 1
		.amdhsa_next_free_sgpr 0
		.amdhsa_accum_offset 4
		.amdhsa_reserve_vcc 0
		.amdhsa_float_round_mode_32 0
		.amdhsa_float_round_mode_16_64 0
		.amdhsa_float_denorm_mode_32 3
		.amdhsa_float_denorm_mode_16_64 3
		.amdhsa_dx10_clamp 1
		.amdhsa_ieee_mode 1
		.amdhsa_fp16_overflow 0
		.amdhsa_tg_split 0
		.amdhsa_exception_fp_ieee_invalid_op 0
		.amdhsa_exception_fp_denorm_src 0
		.amdhsa_exception_fp_ieee_div_zero 0
		.amdhsa_exception_fp_ieee_overflow 0
		.amdhsa_exception_fp_ieee_underflow 0
		.amdhsa_exception_fp_ieee_inexact 0
		.amdhsa_exception_int_div_zero 0
	.end_amdhsa_kernel
	.section	.text._ZN7rocprim17ROCPRIM_400000_NS6detail17trampoline_kernelINS0_14default_configENS1_25partition_config_selectorILNS1_17partition_subalgoE1EyNS0_10empty_typeEbEEZZNS1_14partition_implILS5_1ELb0ES3_jN6thrust23THRUST_200600_302600_NS6detail15normal_iteratorINSA_10device_ptrIyEEEEPS6_NSA_18transform_iteratorI7is_evenIyESF_NSA_11use_defaultESK_EENS0_5tupleIJNSA_16discard_iteratorISK_EESF_EEENSM_IJSG_SG_EEES6_PlJS6_EEE10hipError_tPvRmT3_T4_T5_T6_T7_T9_mT8_P12ihipStream_tbDpT10_ENKUlT_T0_E_clISt17integral_constantIbLb1EES1B_EEDaS16_S17_EUlS16_E_NS1_11comp_targetILNS1_3genE0ELNS1_11target_archE4294967295ELNS1_3gpuE0ELNS1_3repE0EEENS1_30default_config_static_selectorELNS0_4arch9wavefront6targetE1EEEvT1_,"axG",@progbits,_ZN7rocprim17ROCPRIM_400000_NS6detail17trampoline_kernelINS0_14default_configENS1_25partition_config_selectorILNS1_17partition_subalgoE1EyNS0_10empty_typeEbEEZZNS1_14partition_implILS5_1ELb0ES3_jN6thrust23THRUST_200600_302600_NS6detail15normal_iteratorINSA_10device_ptrIyEEEEPS6_NSA_18transform_iteratorI7is_evenIyESF_NSA_11use_defaultESK_EENS0_5tupleIJNSA_16discard_iteratorISK_EESF_EEENSM_IJSG_SG_EEES6_PlJS6_EEE10hipError_tPvRmT3_T4_T5_T6_T7_T9_mT8_P12ihipStream_tbDpT10_ENKUlT_T0_E_clISt17integral_constantIbLb1EES1B_EEDaS16_S17_EUlS16_E_NS1_11comp_targetILNS1_3genE0ELNS1_11target_archE4294967295ELNS1_3gpuE0ELNS1_3repE0EEENS1_30default_config_static_selectorELNS0_4arch9wavefront6targetE1EEEvT1_,comdat
.Lfunc_end2947:
	.size	_ZN7rocprim17ROCPRIM_400000_NS6detail17trampoline_kernelINS0_14default_configENS1_25partition_config_selectorILNS1_17partition_subalgoE1EyNS0_10empty_typeEbEEZZNS1_14partition_implILS5_1ELb0ES3_jN6thrust23THRUST_200600_302600_NS6detail15normal_iteratorINSA_10device_ptrIyEEEEPS6_NSA_18transform_iteratorI7is_evenIyESF_NSA_11use_defaultESK_EENS0_5tupleIJNSA_16discard_iteratorISK_EESF_EEENSM_IJSG_SG_EEES6_PlJS6_EEE10hipError_tPvRmT3_T4_T5_T6_T7_T9_mT8_P12ihipStream_tbDpT10_ENKUlT_T0_E_clISt17integral_constantIbLb1EES1B_EEDaS16_S17_EUlS16_E_NS1_11comp_targetILNS1_3genE0ELNS1_11target_archE4294967295ELNS1_3gpuE0ELNS1_3repE0EEENS1_30default_config_static_selectorELNS0_4arch9wavefront6targetE1EEEvT1_, .Lfunc_end2947-_ZN7rocprim17ROCPRIM_400000_NS6detail17trampoline_kernelINS0_14default_configENS1_25partition_config_selectorILNS1_17partition_subalgoE1EyNS0_10empty_typeEbEEZZNS1_14partition_implILS5_1ELb0ES3_jN6thrust23THRUST_200600_302600_NS6detail15normal_iteratorINSA_10device_ptrIyEEEEPS6_NSA_18transform_iteratorI7is_evenIyESF_NSA_11use_defaultESK_EENS0_5tupleIJNSA_16discard_iteratorISK_EESF_EEENSM_IJSG_SG_EEES6_PlJS6_EEE10hipError_tPvRmT3_T4_T5_T6_T7_T9_mT8_P12ihipStream_tbDpT10_ENKUlT_T0_E_clISt17integral_constantIbLb1EES1B_EEDaS16_S17_EUlS16_E_NS1_11comp_targetILNS1_3genE0ELNS1_11target_archE4294967295ELNS1_3gpuE0ELNS1_3repE0EEENS1_30default_config_static_selectorELNS0_4arch9wavefront6targetE1EEEvT1_
                                        ; -- End function
	.section	.AMDGPU.csdata,"",@progbits
; Kernel info:
; codeLenInByte = 0
; NumSgprs: 6
; NumVgprs: 0
; NumAgprs: 0
; TotalNumVgprs: 0
; ScratchSize: 0
; MemoryBound: 0
; FloatMode: 240
; IeeeMode: 1
; LDSByteSize: 0 bytes/workgroup (compile time only)
; SGPRBlocks: 0
; VGPRBlocks: 0
; NumSGPRsForWavesPerEU: 6
; NumVGPRsForWavesPerEU: 1
; AccumOffset: 4
; Occupancy: 8
; WaveLimiterHint : 0
; COMPUTE_PGM_RSRC2:SCRATCH_EN: 0
; COMPUTE_PGM_RSRC2:USER_SGPR: 2
; COMPUTE_PGM_RSRC2:TRAP_HANDLER: 0
; COMPUTE_PGM_RSRC2:TGID_X_EN: 1
; COMPUTE_PGM_RSRC2:TGID_Y_EN: 0
; COMPUTE_PGM_RSRC2:TGID_Z_EN: 0
; COMPUTE_PGM_RSRC2:TIDIG_COMP_CNT: 0
; COMPUTE_PGM_RSRC3_GFX90A:ACCUM_OFFSET: 0
; COMPUTE_PGM_RSRC3_GFX90A:TG_SPLIT: 0
	.section	.text._ZN7rocprim17ROCPRIM_400000_NS6detail17trampoline_kernelINS0_14default_configENS1_25partition_config_selectorILNS1_17partition_subalgoE1EyNS0_10empty_typeEbEEZZNS1_14partition_implILS5_1ELb0ES3_jN6thrust23THRUST_200600_302600_NS6detail15normal_iteratorINSA_10device_ptrIyEEEEPS6_NSA_18transform_iteratorI7is_evenIyESF_NSA_11use_defaultESK_EENS0_5tupleIJNSA_16discard_iteratorISK_EESF_EEENSM_IJSG_SG_EEES6_PlJS6_EEE10hipError_tPvRmT3_T4_T5_T6_T7_T9_mT8_P12ihipStream_tbDpT10_ENKUlT_T0_E_clISt17integral_constantIbLb1EES1B_EEDaS16_S17_EUlS16_E_NS1_11comp_targetILNS1_3genE5ELNS1_11target_archE942ELNS1_3gpuE9ELNS1_3repE0EEENS1_30default_config_static_selectorELNS0_4arch9wavefront6targetE1EEEvT1_,"axG",@progbits,_ZN7rocprim17ROCPRIM_400000_NS6detail17trampoline_kernelINS0_14default_configENS1_25partition_config_selectorILNS1_17partition_subalgoE1EyNS0_10empty_typeEbEEZZNS1_14partition_implILS5_1ELb0ES3_jN6thrust23THRUST_200600_302600_NS6detail15normal_iteratorINSA_10device_ptrIyEEEEPS6_NSA_18transform_iteratorI7is_evenIyESF_NSA_11use_defaultESK_EENS0_5tupleIJNSA_16discard_iteratorISK_EESF_EEENSM_IJSG_SG_EEES6_PlJS6_EEE10hipError_tPvRmT3_T4_T5_T6_T7_T9_mT8_P12ihipStream_tbDpT10_ENKUlT_T0_E_clISt17integral_constantIbLb1EES1B_EEDaS16_S17_EUlS16_E_NS1_11comp_targetILNS1_3genE5ELNS1_11target_archE942ELNS1_3gpuE9ELNS1_3repE0EEENS1_30default_config_static_selectorELNS0_4arch9wavefront6targetE1EEEvT1_,comdat
	.protected	_ZN7rocprim17ROCPRIM_400000_NS6detail17trampoline_kernelINS0_14default_configENS1_25partition_config_selectorILNS1_17partition_subalgoE1EyNS0_10empty_typeEbEEZZNS1_14partition_implILS5_1ELb0ES3_jN6thrust23THRUST_200600_302600_NS6detail15normal_iteratorINSA_10device_ptrIyEEEEPS6_NSA_18transform_iteratorI7is_evenIyESF_NSA_11use_defaultESK_EENS0_5tupleIJNSA_16discard_iteratorISK_EESF_EEENSM_IJSG_SG_EEES6_PlJS6_EEE10hipError_tPvRmT3_T4_T5_T6_T7_T9_mT8_P12ihipStream_tbDpT10_ENKUlT_T0_E_clISt17integral_constantIbLb1EES1B_EEDaS16_S17_EUlS16_E_NS1_11comp_targetILNS1_3genE5ELNS1_11target_archE942ELNS1_3gpuE9ELNS1_3repE0EEENS1_30default_config_static_selectorELNS0_4arch9wavefront6targetE1EEEvT1_ ; -- Begin function _ZN7rocprim17ROCPRIM_400000_NS6detail17trampoline_kernelINS0_14default_configENS1_25partition_config_selectorILNS1_17partition_subalgoE1EyNS0_10empty_typeEbEEZZNS1_14partition_implILS5_1ELb0ES3_jN6thrust23THRUST_200600_302600_NS6detail15normal_iteratorINSA_10device_ptrIyEEEEPS6_NSA_18transform_iteratorI7is_evenIyESF_NSA_11use_defaultESK_EENS0_5tupleIJNSA_16discard_iteratorISK_EESF_EEENSM_IJSG_SG_EEES6_PlJS6_EEE10hipError_tPvRmT3_T4_T5_T6_T7_T9_mT8_P12ihipStream_tbDpT10_ENKUlT_T0_E_clISt17integral_constantIbLb1EES1B_EEDaS16_S17_EUlS16_E_NS1_11comp_targetILNS1_3genE5ELNS1_11target_archE942ELNS1_3gpuE9ELNS1_3repE0EEENS1_30default_config_static_selectorELNS0_4arch9wavefront6targetE1EEEvT1_
	.globl	_ZN7rocprim17ROCPRIM_400000_NS6detail17trampoline_kernelINS0_14default_configENS1_25partition_config_selectorILNS1_17partition_subalgoE1EyNS0_10empty_typeEbEEZZNS1_14partition_implILS5_1ELb0ES3_jN6thrust23THRUST_200600_302600_NS6detail15normal_iteratorINSA_10device_ptrIyEEEEPS6_NSA_18transform_iteratorI7is_evenIyESF_NSA_11use_defaultESK_EENS0_5tupleIJNSA_16discard_iteratorISK_EESF_EEENSM_IJSG_SG_EEES6_PlJS6_EEE10hipError_tPvRmT3_T4_T5_T6_T7_T9_mT8_P12ihipStream_tbDpT10_ENKUlT_T0_E_clISt17integral_constantIbLb1EES1B_EEDaS16_S17_EUlS16_E_NS1_11comp_targetILNS1_3genE5ELNS1_11target_archE942ELNS1_3gpuE9ELNS1_3repE0EEENS1_30default_config_static_selectorELNS0_4arch9wavefront6targetE1EEEvT1_
	.p2align	8
	.type	_ZN7rocprim17ROCPRIM_400000_NS6detail17trampoline_kernelINS0_14default_configENS1_25partition_config_selectorILNS1_17partition_subalgoE1EyNS0_10empty_typeEbEEZZNS1_14partition_implILS5_1ELb0ES3_jN6thrust23THRUST_200600_302600_NS6detail15normal_iteratorINSA_10device_ptrIyEEEEPS6_NSA_18transform_iteratorI7is_evenIyESF_NSA_11use_defaultESK_EENS0_5tupleIJNSA_16discard_iteratorISK_EESF_EEENSM_IJSG_SG_EEES6_PlJS6_EEE10hipError_tPvRmT3_T4_T5_T6_T7_T9_mT8_P12ihipStream_tbDpT10_ENKUlT_T0_E_clISt17integral_constantIbLb1EES1B_EEDaS16_S17_EUlS16_E_NS1_11comp_targetILNS1_3genE5ELNS1_11target_archE942ELNS1_3gpuE9ELNS1_3repE0EEENS1_30default_config_static_selectorELNS0_4arch9wavefront6targetE1EEEvT1_,@function
_ZN7rocprim17ROCPRIM_400000_NS6detail17trampoline_kernelINS0_14default_configENS1_25partition_config_selectorILNS1_17partition_subalgoE1EyNS0_10empty_typeEbEEZZNS1_14partition_implILS5_1ELb0ES3_jN6thrust23THRUST_200600_302600_NS6detail15normal_iteratorINSA_10device_ptrIyEEEEPS6_NSA_18transform_iteratorI7is_evenIyESF_NSA_11use_defaultESK_EENS0_5tupleIJNSA_16discard_iteratorISK_EESF_EEENSM_IJSG_SG_EEES6_PlJS6_EEE10hipError_tPvRmT3_T4_T5_T6_T7_T9_mT8_P12ihipStream_tbDpT10_ENKUlT_T0_E_clISt17integral_constantIbLb1EES1B_EEDaS16_S17_EUlS16_E_NS1_11comp_targetILNS1_3genE5ELNS1_11target_archE942ELNS1_3gpuE9ELNS1_3repE0EEENS1_30default_config_static_selectorELNS0_4arch9wavefront6targetE1EEEvT1_: ; @_ZN7rocprim17ROCPRIM_400000_NS6detail17trampoline_kernelINS0_14default_configENS1_25partition_config_selectorILNS1_17partition_subalgoE1EyNS0_10empty_typeEbEEZZNS1_14partition_implILS5_1ELb0ES3_jN6thrust23THRUST_200600_302600_NS6detail15normal_iteratorINSA_10device_ptrIyEEEEPS6_NSA_18transform_iteratorI7is_evenIyESF_NSA_11use_defaultESK_EENS0_5tupleIJNSA_16discard_iteratorISK_EESF_EEENSM_IJSG_SG_EEES6_PlJS6_EEE10hipError_tPvRmT3_T4_T5_T6_T7_T9_mT8_P12ihipStream_tbDpT10_ENKUlT_T0_E_clISt17integral_constantIbLb1EES1B_EEDaS16_S17_EUlS16_E_NS1_11comp_targetILNS1_3genE5ELNS1_11target_archE942ELNS1_3gpuE9ELNS1_3repE0EEENS1_30default_config_static_selectorELNS0_4arch9wavefront6targetE1EEEvT1_
; %bb.0:
	s_load_dwordx2 s[2:3], s[0:1], 0x20
	s_load_dwordx4 s[20:23], s[0:1], 0x58
	s_load_dwordx2 s[6:7], s[0:1], 0x68
	s_load_dwordx2 s[30:31], s[0:1], 0x78
	v_cmp_eq_u32_e64 s[18:19], 0, v0
	s_and_saveexec_b64 s[4:5], s[18:19]
	s_cbranch_execz .LBB2948_4
; %bb.1:
	s_mov_b64 s[10:11], exec
	v_mbcnt_lo_u32_b32 v1, s10, 0
	v_mbcnt_hi_u32_b32 v1, s11, v1
	v_cmp_eq_u32_e32 vcc, 0, v1
                                        ; implicit-def: $vgpr2
	s_and_saveexec_b64 s[8:9], vcc
	s_cbranch_execz .LBB2948_3
; %bb.2:
	s_load_dwordx2 s[12:13], s[0:1], 0x88
	s_bcnt1_i32_b64 s10, s[10:11]
	v_mov_b32_e32 v2, 0
	v_mov_b32_e32 v3, s10
	s_waitcnt lgkmcnt(0)
	global_atomic_add v2, v2, v3, s[12:13] sc0
.LBB2948_3:
	s_or_b64 exec, exec, s[8:9]
	s_waitcnt vmcnt(0)
	v_readfirstlane_b32 s8, v2
	v_mov_b32_e32 v2, 0
	s_nop 0
	v_add_u32_e32 v1, s8, v1
	ds_write_b32 v2, v1
.LBB2948_4:
	s_or_b64 exec, exec, s[4:5]
	v_mov_b32_e32 v19, 0
	s_load_dwordx4 s[24:27], s[0:1], 0x8
	s_load_dwordx2 s[28:29], s[0:1], 0x40
	s_load_dword s8, s[0:1], 0x80
	s_waitcnt lgkmcnt(0)
	s_barrier
	ds_read_b32 v1, v19
	s_waitcnt lgkmcnt(0)
	s_barrier
	global_load_dwordx2 v[20:21], v19, s[22:23]
	v_mov_b32_e32 v3, s7
	s_lshl_b64 s[4:5], s[26:27], 3
	s_movk_i32 s7, 0xe00
	s_add_u32 s0, s24, s4
	v_mul_lo_u32 v18, v1, s7
	s_mul_i32 s7, s8, 0xe00
	s_addc_u32 s1, s25, s5
	s_add_i32 s9, s8, -1
	s_add_i32 s8, s7, s26
	s_sub_i32 s33, s6, s8
	s_addk_i32 s33, 0xe00
	v_mov_b32_e32 v2, s6
	s_add_u32 s6, s26, s7
	v_readfirstlane_b32 s38, v1
	s_addc_u32 s7, s27, 0
	s_cmp_eq_u32 s38, s9
	s_cselect_b64 s[22:23], -1, 0
	s_cmp_lg_u32 s38, s9
	v_cmp_lt_u64_e32 vcc, s[6:7], v[2:3]
	s_cselect_b64 s[6:7], -1, 0
	s_or_b64 s[24:25], vcc, s[6:7]
	v_lshlrev_b64 v[22:23], 3, v[18:19]
	v_lshl_add_u64 v[24:25], s[0:1], 0, v[22:23]
	s_mov_b64 s[0:1], -1
	s_and_b64 vcc, exec, s[24:25]
	v_lshlrev_b32_e32 v18, 3, v0
	s_cbranch_vccz .LBB2948_6
; %bb.5:
	v_lshl_add_u64 v[2:3], v[24:25], 0, v[18:19]
	v_add_co_u32_e32 v4, vcc, 0x1000, v2
	s_mov_b64 s[0:1], 0
	s_nop 0
	v_addc_co_u32_e32 v5, vcc, 0, v3, vcc
	v_add_co_u32_e32 v6, vcc, 0x2000, v2
	s_nop 1
	v_addc_co_u32_e32 v7, vcc, 0, v3, vcc
	v_add_co_u32_e32 v8, vcc, 0x3000, v2
	s_nop 1
	v_addc_co_u32_e32 v9, vcc, 0, v3, vcc
	flat_load_dwordx2 v[10:11], v[2:3]
	flat_load_dwordx2 v[12:13], v[4:5]
	;; [unrolled: 1-line block ×4, first 2 shown]
	v_add_co_u32_e32 v4, vcc, 0x4000, v2
	s_nop 1
	v_addc_co_u32_e32 v5, vcc, 0, v3, vcc
	v_add_co_u32_e32 v6, vcc, 0x5000, v2
	s_nop 1
	v_addc_co_u32_e32 v7, vcc, 0, v3, vcc
	;; [unrolled: 3-line block ×3, first 2 shown]
	flat_load_dwordx2 v[8:9], v[4:5]
	flat_load_dwordx2 v[26:27], v[6:7]
	;; [unrolled: 1-line block ×3, first 2 shown]
	s_waitcnt vmcnt(0) lgkmcnt(0)
	ds_write2st64_b64 v18, v[10:11], v[12:13] offset1:8
	ds_write2st64_b64 v18, v[14:15], v[16:17] offset0:16 offset1:24
	ds_write2st64_b64 v18, v[8:9], v[26:27] offset0:32 offset1:40
	ds_write_b64 v18, v[28:29] offset:24576
	s_waitcnt lgkmcnt(0)
	s_barrier
.LBB2948_6:
	s_andn2_b64 vcc, exec, s[0:1]
	v_cmp_gt_u32_e64 s[0:1], s33, v0
	s_cbranch_vccnz .LBB2948_22
; %bb.7:
                                        ; implicit-def: $vgpr2_vgpr3_vgpr4_vgpr5_vgpr6_vgpr7_vgpr8_vgpr9_vgpr10_vgpr11_vgpr12_vgpr13_vgpr14_vgpr15_vgpr16_vgpr17
	s_and_saveexec_b64 s[6:7], s[0:1]
	s_cbranch_execz .LBB2948_9
; %bb.8:
	v_mov_b32_e32 v19, 0
	v_lshl_add_u64 v[2:3], v[24:25], 0, v[18:19]
	flat_load_dwordx2 v[2:3], v[2:3]
.LBB2948_9:
	s_or_b64 exec, exec, s[6:7]
	v_or_b32_e32 v1, 0x200, v0
	v_cmp_gt_u32_e32 vcc, s33, v1
	s_and_saveexec_b64 s[0:1], vcc
	s_cbranch_execz .LBB2948_11
; %bb.10:
	v_lshlrev_b32_e32 v4, 3, v1
	v_mov_b32_e32 v5, 0
	v_lshl_add_u64 v[4:5], v[24:25], 0, v[4:5]
	flat_load_dwordx2 v[4:5], v[4:5]
.LBB2948_11:
	s_or_b64 exec, exec, s[0:1]
	v_or_b32_e32 v1, 0x400, v0
	v_cmp_gt_u32_e32 vcc, s33, v1
	s_and_saveexec_b64 s[0:1], vcc
	s_cbranch_execz .LBB2948_13
; %bb.12:
	v_lshlrev_b32_e32 v6, 3, v1
	v_mov_b32_e32 v7, 0
	v_lshl_add_u64 v[6:7], v[24:25], 0, v[6:7]
	flat_load_dwordx2 v[6:7], v[6:7]
.LBB2948_13:
	;; [unrolled: 11-line block ×6, first 2 shown]
	s_or_b64 exec, exec, s[0:1]
	s_waitcnt vmcnt(0) lgkmcnt(0)
	ds_write2st64_b64 v18, v[2:3], v[4:5] offset1:8
	ds_write2st64_b64 v18, v[6:7], v[8:9] offset0:16 offset1:24
	ds_write2st64_b64 v18, v[10:11], v[12:13] offset0:32 offset1:40
	ds_write_b64 v18, v[14:15] offset:24576
	s_waitcnt lgkmcnt(0)
	s_barrier
.LBB2948_22:
	v_mul_u32_u24_e32 v1, 7, v0
	v_lshlrev_b32_e32 v24, 3, v1
	ds_read2_b64 v[10:13], v24 offset1:1
	ds_read2_b64 v[6:9], v24 offset0:2 offset1:3
	ds_read2_b64 v[2:5], v24 offset0:4 offset1:5
	ds_read_b64 v[14:15], v24 offset:48
	s_add_u32 s0, s2, s4
	s_addc_u32 s1, s3, s5
	v_lshl_add_u64 v[16:17], s[0:1], 0, v[22:23]
	s_mov_b64 s[0:1], -1
	s_and_b64 vcc, exec, s[24:25]
	s_waitcnt lgkmcnt(0)
	s_barrier
	s_cbranch_vccz .LBB2948_24
; %bb.23:
	v_mov_b32_e32 v19, 0
	v_lshl_add_u64 v[26:27], v[16:17], 0, v[18:19]
	v_add_co_u32_e32 v30, vcc, 0x1000, v26
	v_readfirstlane_b32 s0, v16
	s_nop 0
	v_addc_co_u32_e32 v31, vcc, 0, v27, vcc
	v_add_co_u32_e32 v32, vcc, 0x2000, v26
	v_readfirstlane_b32 s1, v17
	s_nop 0
	v_addc_co_u32_e32 v33, vcc, 0, v27, vcc
	v_add_co_u32_e32 v34, vcc, 0x3000, v26
	s_nop 1
	v_addc_co_u32_e32 v35, vcc, 0, v27, vcc
	global_load_dwordx2 v[28:29], v18, s[0:1]
	v_add_co_u32_e32 v36, vcc, 0x4000, v26
	s_mov_b64 s[0:1], 0
	s_nop 0
	v_addc_co_u32_e32 v37, vcc, 0, v27, vcc
	global_load_dwordx2 v[38:39], v[30:31], off
	global_load_dwordx2 v[40:41], v[32:33], off
	;; [unrolled: 1-line block ×4, first 2 shown]
	v_add_co_u32_e32 v30, vcc, 0x5000, v26
	s_waitcnt vmcnt(4)
	v_xor_b32_e32 v19, -1, v28
	v_addc_co_u32_e32 v31, vcc, 0, v27, vcc
	v_add_co_u32_e32 v26, vcc, 0x6000, v26
	global_load_dwordx2 v[30:31], v[30:31], off
	s_nop 0
	v_addc_co_u32_e32 v27, vcc, 0, v27, vcc
	global_load_dwordx2 v[26:27], v[26:27], off
	v_and_b32_e32 v19, 1, v19
	ds_write_b8 v0, v19
	s_waitcnt vmcnt(5)
	v_xor_b32_e32 v19, -1, v38
	v_and_b32_e32 v19, 1, v19
	s_waitcnt vmcnt(4)
	v_xor_b32_e32 v25, -1, v40
	s_waitcnt vmcnt(0)
	v_xor_b32_e32 v27, -1, v42
	v_and_b32_e32 v25, 1, v25
	ds_write_b8 v0, v19 offset:512
	v_and_b32_e32 v19, 1, v27
	v_xor_b32_e32 v27, -1, v44
	ds_write_b8 v0, v25 offset:1024
	v_and_b32_e32 v25, 1, v27
	ds_write_b8 v0, v19 offset:1536
	ds_write_b8 v0, v25 offset:2048
	v_xor_b32_e32 v27, -1, v30
	v_and_b32_e32 v19, 1, v27
	v_xor_b32_e32 v26, -1, v26
	v_and_b32_e32 v25, 1, v26
	ds_write_b8 v0, v19 offset:2560
	ds_write_b8 v0, v25 offset:3072
	s_waitcnt lgkmcnt(0)
	s_barrier
.LBB2948_24:
	s_andn2_b64 vcc, exec, s[0:1]
	s_cbranch_vccnz .LBB2948_40
; %bb.25:
	v_cmp_gt_u32_e32 vcc, s33, v0
	v_mov_b32_e32 v19, 0
	v_mov_b32_e32 v25, 0
	s_and_saveexec_b64 s[0:1], vcc
	s_cbranch_execz .LBB2948_27
; %bb.26:
	v_readfirstlane_b32 s2, v16
	v_readfirstlane_b32 s3, v17
	s_nop 4
	global_load_dwordx2 v[26:27], v18, s[2:3]
	s_waitcnt vmcnt(0)
	v_xor_b32_e32 v25, -1, v26
	v_and_b32_e32 v25, 1, v25
.LBB2948_27:
	s_or_b64 exec, exec, s[0:1]
	v_or_b32_e32 v26, 0x200, v0
	v_cmp_gt_u32_e32 vcc, s33, v26
	s_and_saveexec_b64 s[0:1], vcc
	s_cbranch_execz .LBB2948_29
; %bb.28:
	v_lshlrev_b32_e32 v19, 3, v26
	v_readfirstlane_b32 s2, v16
	v_readfirstlane_b32 s3, v17
	s_nop 4
	global_load_dwordx2 v[26:27], v19, s[2:3]
	s_waitcnt vmcnt(0)
	v_xor_b32_e32 v19, -1, v26
	v_and_b32_e32 v19, 1, v19
.LBB2948_29:
	s_or_b64 exec, exec, s[0:1]
	v_or_b32_e32 v28, 0x400, v0
	v_cmp_gt_u32_e32 vcc, s33, v28
	v_mov_b32_e32 v26, 0
	v_mov_b32_e32 v27, 0
	s_and_saveexec_b64 s[0:1], vcc
	s_cbranch_execz .LBB2948_31
; %bb.30:
	v_lshlrev_b32_e32 v27, 3, v28
	v_readfirstlane_b32 s2, v16
	v_readfirstlane_b32 s3, v17
	s_nop 4
	global_load_dwordx2 v[28:29], v27, s[2:3]
	s_waitcnt vmcnt(0)
	v_xor_b32_e32 v27, -1, v28
	v_and_b32_e32 v27, 1, v27
.LBB2948_31:
	s_or_b64 exec, exec, s[0:1]
	v_or_b32_e32 v28, 0x600, v0
	v_cmp_gt_u32_e32 vcc, s33, v28
	s_and_saveexec_b64 s[0:1], vcc
	s_cbranch_execz .LBB2948_33
; %bb.32:
	v_lshlrev_b32_e32 v26, 3, v28
	v_readfirstlane_b32 s2, v16
	v_readfirstlane_b32 s3, v17
	s_nop 4
	global_load_dwordx2 v[28:29], v26, s[2:3]
	s_waitcnt vmcnt(0)
	v_xor_b32_e32 v26, -1, v28
	v_and_b32_e32 v26, 1, v26
.LBB2948_33:
	s_or_b64 exec, exec, s[0:1]
	v_or_b32_e32 v30, 0x800, v0
	v_cmp_gt_u32_e32 vcc, s33, v30
	v_mov_b32_e32 v28, 0
	v_mov_b32_e32 v29, 0
	s_and_saveexec_b64 s[0:1], vcc
	s_cbranch_execz .LBB2948_35
; %bb.34:
	v_lshlrev_b32_e32 v29, 3, v30
	v_readfirstlane_b32 s2, v16
	v_readfirstlane_b32 s3, v17
	s_nop 4
	global_load_dwordx2 v[30:31], v29, s[2:3]
	s_waitcnt vmcnt(0)
	v_xor_b32_e32 v29, -1, v30
	v_and_b32_e32 v29, 1, v29
.LBB2948_35:
	s_or_b64 exec, exec, s[0:1]
	v_or_b32_e32 v30, 0xa00, v0
	v_cmp_gt_u32_e32 vcc, s33, v30
	s_and_saveexec_b64 s[0:1], vcc
	s_cbranch_execz .LBB2948_37
; %bb.36:
	v_lshlrev_b32_e32 v28, 3, v30
	v_readfirstlane_b32 s2, v16
	v_readfirstlane_b32 s3, v17
	s_nop 4
	global_load_dwordx2 v[30:31], v28, s[2:3]
	s_waitcnt vmcnt(0)
	v_xor_b32_e32 v28, -1, v30
	v_and_b32_e32 v28, 1, v28
.LBB2948_37:
	s_or_b64 exec, exec, s[0:1]
	v_or_b32_e32 v31, 0xc00, v0
	v_cmp_gt_u32_e32 vcc, s33, v31
	v_mov_b32_e32 v30, 0
	s_and_saveexec_b64 s[0:1], vcc
	s_cbranch_execz .LBB2948_39
; %bb.38:
	v_lshlrev_b32_e32 v30, 3, v31
	v_readfirstlane_b32 s2, v16
	v_readfirstlane_b32 s3, v17
	s_nop 4
	global_load_dwordx2 v[16:17], v30, s[2:3]
	s_waitcnt vmcnt(0)
	v_xor_b32_e32 v16, -1, v16
	v_and_b32_e32 v30, 1, v16
.LBB2948_39:
	s_or_b64 exec, exec, s[0:1]
	ds_write_b8 v0, v25
	ds_write_b8 v0, v19 offset:512
	ds_write_b8 v0, v27 offset:1024
	;; [unrolled: 1-line block ×6, first 2 shown]
	s_waitcnt lgkmcnt(0)
	s_barrier
.LBB2948_40:
	s_movk_i32 s0, 0xffcf
	v_mad_i32_i24 v39, v0, s0, v24
	ds_read_u8 v16, v39
	ds_read_u8 v17, v39 offset:1
	ds_read_u8 v19, v39 offset:2
	;; [unrolled: 1-line block ×6, first 2 shown]
	s_waitcnt lgkmcnt(6)
	v_and_b32_e32 v37, 1, v16
	s_waitcnt lgkmcnt(5)
	v_and_b32_e32 v36, 1, v17
	;; [unrolled: 2-line block ×5, first 2 shown]
	v_add3_u32 v16, v36, v37, v35
	s_waitcnt lgkmcnt(1)
	v_and_b32_e32 v32, 1, v26
	s_waitcnt lgkmcnt(0)
	v_and_b32_e32 v19, 1, v27
	v_add3_u32 v16, v16, v34, v33
	v_add3_u32 v41, v16, v32, v19
	v_mbcnt_lo_u32_b32 v16, -1, 0
	v_mbcnt_hi_u32_b32 v38, -1, v16
	v_and_b32_e32 v16, 15, v38
	v_cmp_eq_u32_e64 s[14:15], 0, v16
	v_cmp_lt_u32_e64 s[12:13], 1, v16
	v_cmp_lt_u32_e64 s[10:11], 3, v16
	;; [unrolled: 1-line block ×3, first 2 shown]
	v_and_b32_e32 v16, 16, v38
	v_cmp_eq_u32_e64 s[6:7], 0, v16
	v_or_b32_e32 v16, 63, v0
	s_cmp_lg_u32 s38, 0
	v_cmp_lt_u32_e64 s[2:3], 31, v38
	v_lshrrev_b32_e32 v40, 6, v0
	v_cmp_eq_u32_e64 s[4:5], v16, v0
	s_barrier
	s_cbranch_scc0 .LBB2948_71
; %bb.41:
	v_mov_b32_dpp v16, v41 row_shr:1 row_mask:0xf bank_mask:0xf
	v_cndmask_b32_e64 v16, v16, 0, s[14:15]
	v_add_u32_e32 v16, v16, v41
	s_nop 1
	v_mov_b32_dpp v17, v16 row_shr:2 row_mask:0xf bank_mask:0xf
	v_cndmask_b32_e64 v17, 0, v17, s[12:13]
	v_add_u32_e32 v16, v16, v17
	s_nop 1
	v_mov_b32_dpp v17, v16 row_shr:4 row_mask:0xf bank_mask:0xf
	v_cndmask_b32_e64 v17, 0, v17, s[10:11]
	v_add_u32_e32 v16, v16, v17
	s_nop 1
	v_mov_b32_dpp v17, v16 row_shr:8 row_mask:0xf bank_mask:0xf
	v_cndmask_b32_e64 v17, 0, v17, s[8:9]
	v_add_u32_e32 v16, v16, v17
	s_nop 1
	v_mov_b32_dpp v17, v16 row_bcast:15 row_mask:0xf bank_mask:0xf
	v_cndmask_b32_e64 v17, v17, 0, s[6:7]
	v_add_u32_e32 v16, v16, v17
	s_nop 1
	v_mov_b32_dpp v17, v16 row_bcast:31 row_mask:0xf bank_mask:0xf
	v_cndmask_b32_e64 v17, 0, v17, s[2:3]
	v_add_u32_e32 v16, v16, v17
	s_and_saveexec_b64 s[0:1], s[4:5]
	s_cbranch_execz .LBB2948_43
; %bb.42:
	v_lshlrev_b32_e32 v17, 2, v40
	ds_write_b32 v17, v16
.LBB2948_43:
	s_or_b64 exec, exec, s[0:1]
	v_cmp_gt_u32_e32 vcc, 8, v0
	s_waitcnt lgkmcnt(0)
	s_barrier
	s_and_saveexec_b64 s[0:1], vcc
	s_cbranch_execz .LBB2948_45
; %bb.44:
	v_lshlrev_b32_e32 v17, 2, v0
	ds_read_b32 v24, v17
	v_and_b32_e32 v25, 7, v38
	v_cmp_ne_u32_e32 vcc, 0, v25
	s_waitcnt lgkmcnt(0)
	v_mov_b32_dpp v26, v24 row_shr:1 row_mask:0xf bank_mask:0xf
	v_cndmask_b32_e32 v26, 0, v26, vcc
	v_add_u32_e32 v24, v26, v24
	v_cmp_lt_u32_e32 vcc, 1, v25
	s_nop 0
	v_mov_b32_dpp v26, v24 row_shr:2 row_mask:0xf bank_mask:0xf
	v_cndmask_b32_e32 v26, 0, v26, vcc
	v_add_u32_e32 v24, v24, v26
	v_cmp_lt_u32_e32 vcc, 3, v25
	s_nop 0
	v_mov_b32_dpp v26, v24 row_shr:4 row_mask:0xf bank_mask:0xf
	v_cndmask_b32_e32 v25, 0, v26, vcc
	v_add_u32_e32 v24, v24, v25
	ds_write_b32 v17, v24
.LBB2948_45:
	s_or_b64 exec, exec, s[0:1]
	v_cmp_gt_u32_e32 vcc, 64, v0
	v_cmp_lt_u32_e64 s[0:1], 63, v0
	s_waitcnt lgkmcnt(0)
	s_barrier
	s_waitcnt lgkmcnt(0)
                                        ; implicit-def: $vgpr42
	s_and_saveexec_b64 s[16:17], s[0:1]
	s_cbranch_execz .LBB2948_47
; %bb.46:
	v_lshl_add_u32 v17, v40, 2, -4
	ds_read_b32 v42, v17
	s_waitcnt lgkmcnt(0)
	v_add_u32_e32 v16, v42, v16
.LBB2948_47:
	s_or_b64 exec, exec, s[16:17]
	v_add_u32_e32 v17, -1, v38
	v_and_b32_e32 v24, 64, v38
	v_cmp_lt_i32_e64 s[0:1], v17, v24
	v_cmp_eq_u32_e64 s[16:17], 0, v38
	s_nop 0
	v_cndmask_b32_e64 v17, v17, v38, s[0:1]
	v_lshlrev_b32_e32 v17, 2, v17
	ds_bpermute_b32 v43, v17, v16
	s_and_saveexec_b64 s[0:1], vcc
	s_cbranch_execz .LBB2948_70
; %bb.48:
	v_mov_b32_e32 v31, 0
	ds_read_b32 v16, v31 offset:28
	s_and_saveexec_b64 s[34:35], s[16:17]
	s_cbranch_execz .LBB2948_50
; %bb.49:
	s_add_i32 s36, s38, 64
	s_mov_b32 s37, 0
	s_lshl_b64 s[36:37], s[36:37], 3
	s_add_u32 s36, s30, s36
	v_mov_b32_e32 v17, 1
	s_addc_u32 s37, s31, s37
	s_waitcnt lgkmcnt(0)
	global_store_dwordx2 v31, v[16:17], s[36:37] sc1
.LBB2948_50:
	s_or_b64 exec, exec, s[34:35]
	v_xad_u32 v24, v38, -1, s38
	v_add_u32_e32 v30, 64, v24
	v_lshl_add_u64 v[26:27], v[30:31], 3, s[30:31]
	global_load_dwordx2 v[28:29], v[26:27], off sc1
	s_waitcnt vmcnt(0)
	v_cmp_eq_u16_sdwa s[36:37], v29, v31 src0_sel:BYTE_0 src1_sel:DWORD
	s_and_saveexec_b64 s[34:35], s[36:37]
	s_cbranch_execz .LBB2948_56
; %bb.51:
	s_mov_b32 s39, 1
	s_mov_b64 s[36:37], 0
	v_mov_b32_e32 v17, 0
.LBB2948_52:                            ; =>This Loop Header: Depth=1
                                        ;     Child Loop BB2948_53 Depth 2
	s_max_u32 s40, s39, 1
.LBB2948_53:                            ;   Parent Loop BB2948_52 Depth=1
                                        ; =>  This Inner Loop Header: Depth=2
	s_add_i32 s40, s40, -1
	s_cmp_eq_u32 s40, 0
	s_sleep 1
	s_cbranch_scc0 .LBB2948_53
; %bb.54:                               ;   in Loop: Header=BB2948_52 Depth=1
	global_load_dwordx2 v[28:29], v[26:27], off sc1
	s_cmp_lt_u32 s39, 32
	s_cselect_b64 s[40:41], -1, 0
	s_cmp_lg_u64 s[40:41], 0
	s_addc_u32 s39, s39, 0
	s_waitcnt vmcnt(0)
	v_cmp_ne_u16_sdwa s[40:41], v29, v17 src0_sel:BYTE_0 src1_sel:DWORD
	s_or_b64 s[36:37], s[40:41], s[36:37]
	s_andn2_b64 exec, exec, s[36:37]
	s_cbranch_execnz .LBB2948_52
; %bb.55:
	s_or_b64 exec, exec, s[36:37]
.LBB2948_56:
	s_or_b64 exec, exec, s[34:35]
	v_and_b32_e32 v45, 63, v38
	v_mov_b32_e32 v44, 2
	v_cmp_ne_u32_e32 vcc, 63, v45
	v_cmp_eq_u16_sdwa s[34:35], v29, v44 src0_sel:BYTE_0 src1_sel:DWORD
	v_lshlrev_b64 v[26:27], v38, -1
	v_addc_co_u32_e32 v30, vcc, 0, v38, vcc
	v_and_b32_e32 v17, s35, v27
	v_lshlrev_b32_e32 v46, 2, v30
	v_or_b32_e32 v17, 0x80000000, v17
	ds_bpermute_b32 v30, v46, v28
	v_and_b32_e32 v25, s34, v26
	v_ffbl_b32_e32 v17, v17
	v_add_u32_e32 v17, 32, v17
	v_ffbl_b32_e32 v25, v25
	v_min_u32_e32 v17, v25, v17
	v_cmp_lt_u32_e32 vcc, v45, v17
	v_add_u32_e32 v48, 2, v45
	v_add_u32_e32 v50, 4, v45
	s_waitcnt lgkmcnt(0)
	v_cndmask_b32_e32 v25, 0, v30, vcc
	v_cmp_gt_u32_e32 vcc, 62, v45
	v_add_u32_e32 v25, v25, v28
	v_add_u32_e32 v52, 8, v45
	v_cndmask_b32_e64 v28, 0, 1, vcc
	v_lshlrev_b32_e32 v28, 1, v28
	v_add_lshl_u32 v47, v28, v38, 2
	ds_bpermute_b32 v28, v47, v25
	v_cmp_le_u32_e32 vcc, v48, v17
	v_add_u32_e32 v54, 16, v45
	v_add_u32_e32 v56, 32, v45
	s_waitcnt lgkmcnt(0)
	v_cndmask_b32_e32 v28, 0, v28, vcc
	v_cmp_gt_u32_e32 vcc, 60, v45
	v_add_u32_e32 v25, v25, v28
	s_nop 0
	v_cndmask_b32_e64 v28, 0, 1, vcc
	v_lshlrev_b32_e32 v28, 2, v28
	v_add_lshl_u32 v49, v28, v38, 2
	ds_bpermute_b32 v28, v49, v25
	v_cmp_le_u32_e32 vcc, v50, v17
	s_waitcnt lgkmcnt(0)
	s_nop 0
	v_cndmask_b32_e32 v28, 0, v28, vcc
	v_cmp_gt_u32_e32 vcc, 56, v45
	v_add_u32_e32 v25, v25, v28
	s_nop 0
	v_cndmask_b32_e64 v28, 0, 1, vcc
	v_lshlrev_b32_e32 v28, 3, v28
	v_add_lshl_u32 v51, v28, v38, 2
	ds_bpermute_b32 v28, v51, v25
	v_cmp_le_u32_e32 vcc, v52, v17
	s_waitcnt lgkmcnt(0)
	s_nop 0
	;; [unrolled: 11-line block ×4, first 2 shown]
	v_cndmask_b32_e32 v17, 0, v28, vcc
	v_add_u32_e32 v28, v25, v17
	v_mov_b32_e32 v25, 0
	s_branch .LBB2948_58
.LBB2948_57:                            ;   in Loop: Header=BB2948_58 Depth=1
	s_or_b64 exec, exec, s[34:35]
	v_cmp_eq_u16_sdwa s[34:35], v29, v44 src0_sel:BYTE_0 src1_sel:DWORD
	ds_bpermute_b32 v57, v46, v28
	v_subrev_u32_e32 v24, 64, v24
	v_and_b32_e32 v30, s35, v27
	v_or_b32_e32 v30, 0x80000000, v30
	v_and_b32_e32 v31, s34, v26
	v_ffbl_b32_e32 v30, v30
	v_add_u32_e32 v30, 32, v30
	v_ffbl_b32_e32 v31, v31
	v_min_u32_e32 v30, v31, v30
	v_cmp_lt_u32_e32 vcc, v45, v30
	s_waitcnt lgkmcnt(0)
	s_nop 0
	v_cndmask_b32_e32 v31, 0, v57, vcc
	v_add_u32_e32 v28, v31, v28
	ds_bpermute_b32 v31, v47, v28
	v_cmp_le_u32_e32 vcc, v48, v30
	s_waitcnt lgkmcnt(0)
	s_nop 0
	v_cndmask_b32_e32 v31, 0, v31, vcc
	v_add_u32_e32 v28, v28, v31
	ds_bpermute_b32 v31, v49, v28
	v_cmp_le_u32_e32 vcc, v50, v30
	;; [unrolled: 6-line block ×5, first 2 shown]
	s_waitcnt lgkmcnt(0)
	s_nop 0
	v_cndmask_b32_e32 v30, 0, v31, vcc
	v_add3_u32 v28, v30, v17, v28
.LBB2948_58:                            ; =>This Loop Header: Depth=1
                                        ;     Child Loop BB2948_61 Depth 2
                                        ;       Child Loop BB2948_62 Depth 3
	v_cmp_ne_u16_sdwa s[34:35], v29, v44 src0_sel:BYTE_0 src1_sel:DWORD
	s_nop 1
	v_cndmask_b32_e64 v17, 0, 1, s[34:35]
	;;#ASMSTART
	;;#ASMEND
	s_nop 0
	v_cmp_ne_u32_e32 vcc, 0, v17
	s_cmp_lg_u64 vcc, exec
	v_mov_b32_e32 v17, v28
	s_cbranch_scc1 .LBB2948_65
; %bb.59:                               ;   in Loop: Header=BB2948_58 Depth=1
	v_lshl_add_u64 v[30:31], v[24:25], 3, s[30:31]
	global_load_dwordx2 v[28:29], v[30:31], off sc1
	s_waitcnt vmcnt(0)
	v_cmp_eq_u16_sdwa s[36:37], v29, v25 src0_sel:BYTE_0 src1_sel:DWORD
	s_and_saveexec_b64 s[34:35], s[36:37]
	s_cbranch_execz .LBB2948_57
; %bb.60:                               ;   in Loop: Header=BB2948_58 Depth=1
	s_mov_b32 s39, 1
	s_mov_b64 s[36:37], 0
.LBB2948_61:                            ;   Parent Loop BB2948_58 Depth=1
                                        ; =>  This Loop Header: Depth=2
                                        ;       Child Loop BB2948_62 Depth 3
	s_max_u32 s40, s39, 1
.LBB2948_62:                            ;   Parent Loop BB2948_58 Depth=1
                                        ;     Parent Loop BB2948_61 Depth=2
                                        ; =>    This Inner Loop Header: Depth=3
	s_add_i32 s40, s40, -1
	s_cmp_eq_u32 s40, 0
	s_sleep 1
	s_cbranch_scc0 .LBB2948_62
; %bb.63:                               ;   in Loop: Header=BB2948_61 Depth=2
	global_load_dwordx2 v[28:29], v[30:31], off sc1
	s_cmp_lt_u32 s39, 32
	s_cselect_b64 s[40:41], -1, 0
	s_cmp_lg_u64 s[40:41], 0
	s_addc_u32 s39, s39, 0
	s_waitcnt vmcnt(0)
	v_cmp_ne_u16_sdwa s[40:41], v29, v25 src0_sel:BYTE_0 src1_sel:DWORD
	s_or_b64 s[36:37], s[40:41], s[36:37]
	s_andn2_b64 exec, exec, s[36:37]
	s_cbranch_execnz .LBB2948_61
; %bb.64:                               ;   in Loop: Header=BB2948_58 Depth=1
	s_or_b64 exec, exec, s[36:37]
	s_branch .LBB2948_57
.LBB2948_65:                            ;   in Loop: Header=BB2948_58 Depth=1
                                        ; implicit-def: $vgpr28
                                        ; implicit-def: $vgpr29
	s_cbranch_execz .LBB2948_58
; %bb.66:
	s_and_saveexec_b64 s[34:35], s[16:17]
	s_cbranch_execz .LBB2948_68
; %bb.67:
	s_add_i32 s36, s38, 64
	s_mov_b32 s37, 0
	s_lshl_b64 s[36:37], s[36:37], 3
	s_add_u32 s36, s30, s36
	v_add_u32_e32 v24, v17, v16
	v_mov_b32_e32 v25, 2
	s_addc_u32 s37, s31, s37
	v_mov_b32_e32 v26, 0
	global_store_dwordx2 v26, v[24:25], s[36:37] sc1
	ds_write_b64 v26, v[16:17] offset:28672
.LBB2948_68:
	s_or_b64 exec, exec, s[34:35]
	s_and_b64 exec, exec, s[18:19]
	s_cbranch_execz .LBB2948_70
; %bb.69:
	v_mov_b32_e32 v16, 0
	ds_write_b32 v16, v17 offset:28
.LBB2948_70:
	s_or_b64 exec, exec, s[0:1]
	v_mov_b32_e32 v16, 0
	s_waitcnt lgkmcnt(0)
	s_barrier
	ds_read_b32 v17, v16 offset:28
	v_cndmask_b32_e64 v24, v43, v42, s[16:17]
	v_cndmask_b32_e64 v24, v24, 0, s[18:19]
	s_waitcnt lgkmcnt(0)
	s_barrier
	v_add_u32_e32 v31, v17, v24
	v_add_u32_e32 v30, v31, v37
	ds_read_b64 v[16:17], v16 offset:28672
	v_add_u32_e32 v29, v30, v36
	v_add_u32_e32 v27, v29, v35
	;; [unrolled: 1-line block ×5, first 2 shown]
	s_waitcnt lgkmcnt(0)
	v_mov_b32_e32 v26, v17
	s_branch .LBB2948_81
.LBB2948_71:
                                        ; implicit-def: $vgpr26
                                        ; implicit-def: $vgpr16
                                        ; implicit-def: $vgpr24
                                        ; implicit-def: $vgpr25
                                        ; implicit-def: $vgpr28
                                        ; implicit-def: $vgpr27
                                        ; implicit-def: $vgpr29
                                        ; implicit-def: $vgpr30
                                        ; implicit-def: $vgpr31
	s_cbranch_execz .LBB2948_81
; %bb.72:
	s_nop 0
	v_mov_b32_dpp v16, v41 row_shr:1 row_mask:0xf bank_mask:0xf
	v_cndmask_b32_e64 v16, v16, 0, s[14:15]
	v_add_u32_e32 v16, v16, v41
	s_nop 1
	v_mov_b32_dpp v17, v16 row_shr:2 row_mask:0xf bank_mask:0xf
	v_cndmask_b32_e64 v17, 0, v17, s[12:13]
	v_add_u32_e32 v16, v16, v17
	;; [unrolled: 4-line block ×4, first 2 shown]
	s_nop 1
	v_mov_b32_dpp v17, v16 row_bcast:15 row_mask:0xf bank_mask:0xf
	v_cndmask_b32_e64 v17, v17, 0, s[6:7]
	v_add_u32_e32 v16, v16, v17
	s_nop 1
	v_mov_b32_dpp v17, v16 row_bcast:31 row_mask:0xf bank_mask:0xf
	v_cndmask_b32_e64 v17, 0, v17, s[2:3]
	v_add_u32_e32 v16, v16, v17
	s_and_saveexec_b64 s[0:1], s[4:5]
	s_cbranch_execz .LBB2948_74
; %bb.73:
	v_lshlrev_b32_e32 v17, 2, v40
	ds_write_b32 v17, v16
.LBB2948_74:
	s_or_b64 exec, exec, s[0:1]
	v_cmp_gt_u32_e32 vcc, 8, v0
	s_waitcnt lgkmcnt(0)
	s_barrier
	s_and_saveexec_b64 s[0:1], vcc
	s_cbranch_execz .LBB2948_76
; %bb.75:
	v_mad_i32_i24 v17, v0, -3, v39
	ds_read_b32 v24, v17
	v_and_b32_e32 v25, 7, v38
	v_cmp_ne_u32_e32 vcc, 0, v25
	s_waitcnt lgkmcnt(0)
	v_mov_b32_dpp v26, v24 row_shr:1 row_mask:0xf bank_mask:0xf
	v_cndmask_b32_e32 v26, 0, v26, vcc
	v_add_u32_e32 v24, v26, v24
	v_cmp_lt_u32_e32 vcc, 1, v25
	s_nop 0
	v_mov_b32_dpp v26, v24 row_shr:2 row_mask:0xf bank_mask:0xf
	v_cndmask_b32_e32 v26, 0, v26, vcc
	v_add_u32_e32 v24, v24, v26
	v_cmp_lt_u32_e32 vcc, 3, v25
	s_nop 0
	v_mov_b32_dpp v26, v24 row_shr:4 row_mask:0xf bank_mask:0xf
	v_cndmask_b32_e32 v25, 0, v26, vcc
	v_add_u32_e32 v24, v24, v25
	ds_write_b32 v17, v24
.LBB2948_76:
	s_or_b64 exec, exec, s[0:1]
	v_cmp_lt_u32_e32 vcc, 63, v0
	v_mov_b32_e32 v17, 0
	v_mov_b32_e32 v24, 0
	s_waitcnt lgkmcnt(0)
	s_barrier
	s_and_saveexec_b64 s[0:1], vcc
	s_cbranch_execz .LBB2948_78
; %bb.77:
	v_lshl_add_u32 v24, v40, 2, -4
	ds_read_b32 v24, v24
.LBB2948_78:
	s_or_b64 exec, exec, s[0:1]
	v_add_u32_e32 v25, -1, v38
	v_and_b32_e32 v26, 64, v38
	v_cmp_lt_i32_e32 vcc, v25, v26
	s_waitcnt lgkmcnt(0)
	v_add_u32_e32 v16, v24, v16
	v_cndmask_b32_e32 v25, v25, v38, vcc
	v_lshlrev_b32_e32 v25, 2, v25
	ds_bpermute_b32 v25, v25, v16
	ds_read_b32 v16, v17 offset:28
	s_and_saveexec_b64 s[0:1], s[18:19]
	s_cbranch_execz .LBB2948_80
; %bb.79:
	v_mov_b32_e32 v26, 0
	v_mov_b32_e32 v17, 2
	s_waitcnt lgkmcnt(0)
	global_store_dwordx2 v26, v[16:17], s[30:31] offset:512 sc1
.LBB2948_80:
	s_or_b64 exec, exec, s[0:1]
	v_cmp_eq_u32_e32 vcc, 0, v38
	v_mov_b32_e32 v26, 0
	s_waitcnt lgkmcnt(0)
	v_cndmask_b32_e32 v17, v25, v24, vcc
	v_cndmask_b32_e64 v31, v17, 0, s[18:19]
	v_add_u32_e32 v30, v31, v37
	v_add_u32_e32 v29, v30, v36
	;; [unrolled: 1-line block ×6, first 2 shown]
	s_barrier
.LBB2948_81:
	v_add_u32_e32 v1, v16, v1
	v_sub_u32_e32 v17, v31, v26
	v_sub_u32_e32 v31, v1, v17
	v_cmp_eq_u32_e32 vcc, 1, v37
	v_cmp_ge_u32_e64 s[0:1], v0, v16
	s_nop 0
	v_cndmask_b32_e32 v17, v31, v17, vcc
	v_lshlrev_b32_e32 v17, 3, v17
	ds_write_b64 v17, v[10:11]
	v_sub_u32_e32 v10, v30, v26
	v_sub_u32_e32 v11, v1, v10
	v_add_u32_e32 v11, 1, v11
	v_cmp_eq_u32_e32 vcc, 1, v36
	v_or_b32_e32 v31, 0x200, v0
	v_or_b32_e32 v30, 0x400, v0
	v_cndmask_b32_e32 v10, v11, v10, vcc
	v_lshlrev_b32_e32 v10, 3, v10
	ds_write_b64 v10, v[12:13]
	v_sub_u32_e32 v10, v29, v26
	v_sub_u32_e32 v11, v1, v10
	v_add_u32_e32 v11, 2, v11
	v_cmp_eq_u32_e32 vcc, 1, v35
	v_or_b32_e32 v29, 0x600, v0
	s_nop 0
	v_cndmask_b32_e32 v10, v11, v10, vcc
	v_lshlrev_b32_e32 v10, 3, v10
	ds_write_b64 v10, v[6:7]
	v_sub_u32_e32 v6, v27, v26
	v_sub_u32_e32 v7, v1, v6
	v_add_u32_e32 v7, 3, v7
	v_cmp_eq_u32_e32 vcc, 1, v34
	v_mov_b32_e32 v27, 0
	v_mov_b32_e32 v17, v27
	v_cndmask_b32_e32 v6, v7, v6, vcc
	v_lshlrev_b32_e32 v6, 3, v6
	ds_write_b64 v6, v[8:9]
	v_sub_u32_e32 v6, v28, v26
	v_sub_u32_e32 v7, v1, v6
	v_add_u32_e32 v7, 4, v7
	v_cmp_eq_u32_e32 vcc, 1, v33
	v_or_b32_e32 v28, 0x800, v0
	s_nop 0
	v_cndmask_b32_e32 v6, v7, v6, vcc
	v_lshlrev_b32_e32 v6, 3, v6
	ds_write_b64 v6, v[2:3]
	v_sub_u32_e32 v2, v25, v26
	v_sub_u32_e32 v3, v1, v2
	v_add_u32_e32 v3, 5, v3
	v_cmp_eq_u32_e32 vcc, 1, v32
	s_nop 1
	v_cndmask_b32_e32 v2, v3, v2, vcc
	v_lshlrev_b32_e32 v2, 3, v2
	ds_write_b64 v2, v[4:5]
	v_sub_u32_e32 v2, v24, v26
	v_sub_u32_e32 v1, v1, v2
	v_add_u32_e32 v1, 6, v1
	v_cmp_eq_u32_e32 vcc, 1, v19
	v_or_b32_e32 v19, 0xa00, v0
	s_nop 0
	v_cndmask_b32_e32 v1, v1, v2, vcc
	v_lshlrev_b32_e32 v1, 3, v1
	ds_write_b64 v1, v[14:15]
	s_waitcnt vmcnt(0)
	v_lshl_add_u64 v[14:15], v[20:21], 0, v[16:17]
	v_lshl_add_u64 v[14:15], v[14:15], 0, v[26:27]
	s_waitcnt lgkmcnt(0)
	s_barrier
	ds_read2st64_b64 v[10:13], v18 offset1:8
	ds_read2st64_b64 v[6:9], v18 offset0:16 offset1:24
	ds_read2st64_b64 v[2:5], v18 offset0:32 offset1:40
	ds_read_b64 v[24:25], v18 offset:24576
	v_mov_b32_e32 v17, s27
	v_sub_co_u32_e32 v20, vcc, s26, v14
	v_or_b32_e32 v1, 0xc00, v0
	s_nop 0
	v_subb_co_u32_e32 v21, vcc, v17, v15, vcc
	v_lshlrev_b64 v[20:21], 3, v[20:21]
	v_lshl_add_u64 v[20:21], s[28:29], 0, v[20:21]
	v_lshl_add_u64 v[20:21], v[20:21], 0, v[22:23]
	s_andn2_b64 vcc, exec, s[24:25]
	s_cbranch_vccnz .LBB2948_90
; %bb.82:
	s_and_saveexec_b64 s[2:3], s[0:1]
	s_cbranch_execnz .LBB2948_109
; %bb.83:
	s_or_b64 exec, exec, s[2:3]
	v_cmp_ge_u32_e32 vcc, v31, v16
	s_and_saveexec_b64 s[0:1], vcc
	s_cbranch_execnz .LBB2948_110
.LBB2948_84:
	s_or_b64 exec, exec, s[0:1]
	v_cmp_ge_u32_e32 vcc, v30, v16
	s_and_saveexec_b64 s[0:1], vcc
	s_cbranch_execnz .LBB2948_111
.LBB2948_85:
	s_or_b64 exec, exec, s[0:1]
	v_cmp_ge_u32_e32 vcc, v29, v16
	s_and_saveexec_b64 s[0:1], vcc
	s_cbranch_execnz .LBB2948_112
.LBB2948_86:
	s_or_b64 exec, exec, s[0:1]
	v_cmp_ge_u32_e32 vcc, v28, v16
	s_and_saveexec_b64 s[0:1], vcc
	s_cbranch_execnz .LBB2948_113
.LBB2948_87:
	s_or_b64 exec, exec, s[0:1]
	v_cmp_ge_u32_e32 vcc, v19, v16
	s_and_saveexec_b64 s[0:1], vcc
	s_cbranch_execz .LBB2948_89
.LBB2948_88:
	v_lshlrev_b32_e32 v17, 3, v19
	v_readfirstlane_b32 s2, v20
	v_readfirstlane_b32 s3, v21
	s_waitcnt lgkmcnt(1)
	s_nop 3
	global_store_dwordx2 v17, v[4:5], s[2:3]
.LBB2948_89:
	s_or_b64 exec, exec, s[0:1]
	v_cmp_ge_u32_e64 s[0:1], v1, v16
	s_branch .LBB2948_104
.LBB2948_90:
	s_mov_b64 s[0:1], 0
	s_cbranch_execz .LBB2948_104
; %bb.91:
	v_cmp_gt_u32_e32 vcc, s33, v0
	v_cmp_ge_u32_e64 s[0:1], v0, v16
	s_and_b64 s[2:3], vcc, s[0:1]
	s_and_saveexec_b64 s[0:1], s[2:3]
	s_cbranch_execz .LBB2948_93
; %bb.92:
	v_readfirstlane_b32 s2, v20
	v_readfirstlane_b32 s3, v21
	s_waitcnt lgkmcnt(3)
	s_nop 3
	global_store_dwordx2 v18, v[10:11], s[2:3]
.LBB2948_93:
	s_or_b64 exec, exec, s[0:1]
	v_cmp_gt_u32_e32 vcc, s33, v31
	v_cmp_ge_u32_e64 s[0:1], v31, v16
	s_and_b64 s[2:3], vcc, s[0:1]
	s_and_saveexec_b64 s[0:1], s[2:3]
	s_cbranch_execz .LBB2948_95
; %bb.94:
	v_lshlrev_b32_e32 v0, 3, v31
	v_readfirstlane_b32 s2, v20
	v_readfirstlane_b32 s3, v21
	s_waitcnt lgkmcnt(3)
	s_nop 3
	global_store_dwordx2 v0, v[12:13], s[2:3]
.LBB2948_95:
	s_or_b64 exec, exec, s[0:1]
	v_cmp_gt_u32_e32 vcc, s33, v30
	v_cmp_ge_u32_e64 s[0:1], v30, v16
	s_and_b64 s[2:3], vcc, s[0:1]
	s_and_saveexec_b64 s[0:1], s[2:3]
	s_cbranch_execz .LBB2948_97
; %bb.96:
	v_lshlrev_b32_e32 v0, 3, v30
	v_readfirstlane_b32 s2, v20
	v_readfirstlane_b32 s3, v21
	s_waitcnt lgkmcnt(2)
	s_nop 3
	global_store_dwordx2 v0, v[6:7], s[2:3]
.LBB2948_97:
	;; [unrolled: 14-line block ×5, first 2 shown]
	s_or_b64 exec, exec, s[0:1]
	v_cmp_gt_u32_e32 vcc, s33, v1
	v_cmp_ge_u32_e64 s[0:1], v1, v16
	s_and_b64 s[0:1], vcc, s[0:1]
.LBB2948_104:
	s_and_saveexec_b64 s[2:3], s[0:1]
	s_cbranch_execnz .LBB2948_107
; %bb.105:
	s_or_b64 exec, exec, s[2:3]
	s_and_b64 s[0:1], s[18:19], s[22:23]
	s_and_saveexec_b64 s[2:3], s[0:1]
	s_cbranch_execnz .LBB2948_108
.LBB2948_106:
	s_endpgm
.LBB2948_107:
	v_lshlrev_b32_e32 v0, 3, v1
	v_readfirstlane_b32 s0, v20
	v_readfirstlane_b32 s1, v21
	s_waitcnt lgkmcnt(0)
	s_nop 3
	global_store_dwordx2 v0, v[24:25], s[0:1]
	s_or_b64 exec, exec, s[2:3]
	s_and_b64 s[0:1], s[18:19], s[22:23]
	s_and_saveexec_b64 s[2:3], s[0:1]
	s_cbranch_execz .LBB2948_106
.LBB2948_108:
	v_mov_b32_e32 v0, 0
	global_store_dwordx2 v0, v[14:15], s[20:21]
	s_endpgm
.LBB2948_109:
	v_readfirstlane_b32 s0, v20
	v_readfirstlane_b32 s1, v21
	s_waitcnt lgkmcnt(3)
	s_nop 3
	global_store_dwordx2 v18, v[10:11], s[0:1]
	s_or_b64 exec, exec, s[2:3]
	v_cmp_ge_u32_e32 vcc, v31, v16
	s_and_saveexec_b64 s[0:1], vcc
	s_cbranch_execz .LBB2948_84
.LBB2948_110:
	v_lshlrev_b32_e32 v17, 3, v31
	v_readfirstlane_b32 s2, v20
	v_readfirstlane_b32 s3, v21
	s_waitcnt lgkmcnt(3)
	s_nop 3
	global_store_dwordx2 v17, v[12:13], s[2:3]
	s_or_b64 exec, exec, s[0:1]
	v_cmp_ge_u32_e32 vcc, v30, v16
	s_and_saveexec_b64 s[0:1], vcc
	s_cbranch_execz .LBB2948_85
.LBB2948_111:
	v_lshlrev_b32_e32 v17, 3, v30
	v_readfirstlane_b32 s2, v20
	v_readfirstlane_b32 s3, v21
	s_waitcnt lgkmcnt(2)
	s_nop 3
	global_store_dwordx2 v17, v[6:7], s[2:3]
	s_or_b64 exec, exec, s[0:1]
	v_cmp_ge_u32_e32 vcc, v29, v16
	s_and_saveexec_b64 s[0:1], vcc
	s_cbranch_execz .LBB2948_86
.LBB2948_112:
	v_lshlrev_b32_e32 v17, 3, v29
	v_readfirstlane_b32 s2, v20
	v_readfirstlane_b32 s3, v21
	s_waitcnt lgkmcnt(2)
	s_nop 3
	global_store_dwordx2 v17, v[8:9], s[2:3]
	s_or_b64 exec, exec, s[0:1]
	v_cmp_ge_u32_e32 vcc, v28, v16
	s_and_saveexec_b64 s[0:1], vcc
	s_cbranch_execz .LBB2948_87
.LBB2948_113:
	v_lshlrev_b32_e32 v17, 3, v28
	v_readfirstlane_b32 s2, v20
	v_readfirstlane_b32 s3, v21
	s_waitcnt lgkmcnt(1)
	s_nop 3
	global_store_dwordx2 v17, v[2:3], s[2:3]
	s_or_b64 exec, exec, s[0:1]
	v_cmp_ge_u32_e32 vcc, v19, v16
	s_and_saveexec_b64 s[0:1], vcc
	s_cbranch_execnz .LBB2948_88
	s_branch .LBB2948_89
	.section	.rodata,"a",@progbits
	.p2align	6, 0x0
	.amdhsa_kernel _ZN7rocprim17ROCPRIM_400000_NS6detail17trampoline_kernelINS0_14default_configENS1_25partition_config_selectorILNS1_17partition_subalgoE1EyNS0_10empty_typeEbEEZZNS1_14partition_implILS5_1ELb0ES3_jN6thrust23THRUST_200600_302600_NS6detail15normal_iteratorINSA_10device_ptrIyEEEEPS6_NSA_18transform_iteratorI7is_evenIyESF_NSA_11use_defaultESK_EENS0_5tupleIJNSA_16discard_iteratorISK_EESF_EEENSM_IJSG_SG_EEES6_PlJS6_EEE10hipError_tPvRmT3_T4_T5_T6_T7_T9_mT8_P12ihipStream_tbDpT10_ENKUlT_T0_E_clISt17integral_constantIbLb1EES1B_EEDaS16_S17_EUlS16_E_NS1_11comp_targetILNS1_3genE5ELNS1_11target_archE942ELNS1_3gpuE9ELNS1_3repE0EEENS1_30default_config_static_selectorELNS0_4arch9wavefront6targetE1EEEvT1_
		.amdhsa_group_segment_fixed_size 28680
		.amdhsa_private_segment_fixed_size 0
		.amdhsa_kernarg_size 152
		.amdhsa_user_sgpr_count 2
		.amdhsa_user_sgpr_dispatch_ptr 0
		.amdhsa_user_sgpr_queue_ptr 0
		.amdhsa_user_sgpr_kernarg_segment_ptr 1
		.amdhsa_user_sgpr_dispatch_id 0
		.amdhsa_user_sgpr_kernarg_preload_length 0
		.amdhsa_user_sgpr_kernarg_preload_offset 0
		.amdhsa_user_sgpr_private_segment_size 0
		.amdhsa_uses_dynamic_stack 0
		.amdhsa_enable_private_segment 0
		.amdhsa_system_sgpr_workgroup_id_x 1
		.amdhsa_system_sgpr_workgroup_id_y 0
		.amdhsa_system_sgpr_workgroup_id_z 0
		.amdhsa_system_sgpr_workgroup_info 0
		.amdhsa_system_vgpr_workitem_id 0
		.amdhsa_next_free_vgpr 58
		.amdhsa_next_free_sgpr 42
		.amdhsa_accum_offset 60
		.amdhsa_reserve_vcc 1
		.amdhsa_float_round_mode_32 0
		.amdhsa_float_round_mode_16_64 0
		.amdhsa_float_denorm_mode_32 3
		.amdhsa_float_denorm_mode_16_64 3
		.amdhsa_dx10_clamp 1
		.amdhsa_ieee_mode 1
		.amdhsa_fp16_overflow 0
		.amdhsa_tg_split 0
		.amdhsa_exception_fp_ieee_invalid_op 0
		.amdhsa_exception_fp_denorm_src 0
		.amdhsa_exception_fp_ieee_div_zero 0
		.amdhsa_exception_fp_ieee_overflow 0
		.amdhsa_exception_fp_ieee_underflow 0
		.amdhsa_exception_fp_ieee_inexact 0
		.amdhsa_exception_int_div_zero 0
	.end_amdhsa_kernel
	.section	.text._ZN7rocprim17ROCPRIM_400000_NS6detail17trampoline_kernelINS0_14default_configENS1_25partition_config_selectorILNS1_17partition_subalgoE1EyNS0_10empty_typeEbEEZZNS1_14partition_implILS5_1ELb0ES3_jN6thrust23THRUST_200600_302600_NS6detail15normal_iteratorINSA_10device_ptrIyEEEEPS6_NSA_18transform_iteratorI7is_evenIyESF_NSA_11use_defaultESK_EENS0_5tupleIJNSA_16discard_iteratorISK_EESF_EEENSM_IJSG_SG_EEES6_PlJS6_EEE10hipError_tPvRmT3_T4_T5_T6_T7_T9_mT8_P12ihipStream_tbDpT10_ENKUlT_T0_E_clISt17integral_constantIbLb1EES1B_EEDaS16_S17_EUlS16_E_NS1_11comp_targetILNS1_3genE5ELNS1_11target_archE942ELNS1_3gpuE9ELNS1_3repE0EEENS1_30default_config_static_selectorELNS0_4arch9wavefront6targetE1EEEvT1_,"axG",@progbits,_ZN7rocprim17ROCPRIM_400000_NS6detail17trampoline_kernelINS0_14default_configENS1_25partition_config_selectorILNS1_17partition_subalgoE1EyNS0_10empty_typeEbEEZZNS1_14partition_implILS5_1ELb0ES3_jN6thrust23THRUST_200600_302600_NS6detail15normal_iteratorINSA_10device_ptrIyEEEEPS6_NSA_18transform_iteratorI7is_evenIyESF_NSA_11use_defaultESK_EENS0_5tupleIJNSA_16discard_iteratorISK_EESF_EEENSM_IJSG_SG_EEES6_PlJS6_EEE10hipError_tPvRmT3_T4_T5_T6_T7_T9_mT8_P12ihipStream_tbDpT10_ENKUlT_T0_E_clISt17integral_constantIbLb1EES1B_EEDaS16_S17_EUlS16_E_NS1_11comp_targetILNS1_3genE5ELNS1_11target_archE942ELNS1_3gpuE9ELNS1_3repE0EEENS1_30default_config_static_selectorELNS0_4arch9wavefront6targetE1EEEvT1_,comdat
.Lfunc_end2948:
	.size	_ZN7rocprim17ROCPRIM_400000_NS6detail17trampoline_kernelINS0_14default_configENS1_25partition_config_selectorILNS1_17partition_subalgoE1EyNS0_10empty_typeEbEEZZNS1_14partition_implILS5_1ELb0ES3_jN6thrust23THRUST_200600_302600_NS6detail15normal_iteratorINSA_10device_ptrIyEEEEPS6_NSA_18transform_iteratorI7is_evenIyESF_NSA_11use_defaultESK_EENS0_5tupleIJNSA_16discard_iteratorISK_EESF_EEENSM_IJSG_SG_EEES6_PlJS6_EEE10hipError_tPvRmT3_T4_T5_T6_T7_T9_mT8_P12ihipStream_tbDpT10_ENKUlT_T0_E_clISt17integral_constantIbLb1EES1B_EEDaS16_S17_EUlS16_E_NS1_11comp_targetILNS1_3genE5ELNS1_11target_archE942ELNS1_3gpuE9ELNS1_3repE0EEENS1_30default_config_static_selectorELNS0_4arch9wavefront6targetE1EEEvT1_, .Lfunc_end2948-_ZN7rocprim17ROCPRIM_400000_NS6detail17trampoline_kernelINS0_14default_configENS1_25partition_config_selectorILNS1_17partition_subalgoE1EyNS0_10empty_typeEbEEZZNS1_14partition_implILS5_1ELb0ES3_jN6thrust23THRUST_200600_302600_NS6detail15normal_iteratorINSA_10device_ptrIyEEEEPS6_NSA_18transform_iteratorI7is_evenIyESF_NSA_11use_defaultESK_EENS0_5tupleIJNSA_16discard_iteratorISK_EESF_EEENSM_IJSG_SG_EEES6_PlJS6_EEE10hipError_tPvRmT3_T4_T5_T6_T7_T9_mT8_P12ihipStream_tbDpT10_ENKUlT_T0_E_clISt17integral_constantIbLb1EES1B_EEDaS16_S17_EUlS16_E_NS1_11comp_targetILNS1_3genE5ELNS1_11target_archE942ELNS1_3gpuE9ELNS1_3repE0EEENS1_30default_config_static_selectorELNS0_4arch9wavefront6targetE1EEEvT1_
                                        ; -- End function
	.section	.AMDGPU.csdata,"",@progbits
; Kernel info:
; codeLenInByte = 5292
; NumSgprs: 48
; NumVgprs: 58
; NumAgprs: 0
; TotalNumVgprs: 58
; ScratchSize: 0
; MemoryBound: 0
; FloatMode: 240
; IeeeMode: 1
; LDSByteSize: 28680 bytes/workgroup (compile time only)
; SGPRBlocks: 5
; VGPRBlocks: 7
; NumSGPRsForWavesPerEU: 48
; NumVGPRsForWavesPerEU: 58
; AccumOffset: 60
; Occupancy: 4
; WaveLimiterHint : 1
; COMPUTE_PGM_RSRC2:SCRATCH_EN: 0
; COMPUTE_PGM_RSRC2:USER_SGPR: 2
; COMPUTE_PGM_RSRC2:TRAP_HANDLER: 0
; COMPUTE_PGM_RSRC2:TGID_X_EN: 1
; COMPUTE_PGM_RSRC2:TGID_Y_EN: 0
; COMPUTE_PGM_RSRC2:TGID_Z_EN: 0
; COMPUTE_PGM_RSRC2:TIDIG_COMP_CNT: 0
; COMPUTE_PGM_RSRC3_GFX90A:ACCUM_OFFSET: 14
; COMPUTE_PGM_RSRC3_GFX90A:TG_SPLIT: 0
	.section	.text._ZN7rocprim17ROCPRIM_400000_NS6detail17trampoline_kernelINS0_14default_configENS1_25partition_config_selectorILNS1_17partition_subalgoE1EyNS0_10empty_typeEbEEZZNS1_14partition_implILS5_1ELb0ES3_jN6thrust23THRUST_200600_302600_NS6detail15normal_iteratorINSA_10device_ptrIyEEEEPS6_NSA_18transform_iteratorI7is_evenIyESF_NSA_11use_defaultESK_EENS0_5tupleIJNSA_16discard_iteratorISK_EESF_EEENSM_IJSG_SG_EEES6_PlJS6_EEE10hipError_tPvRmT3_T4_T5_T6_T7_T9_mT8_P12ihipStream_tbDpT10_ENKUlT_T0_E_clISt17integral_constantIbLb1EES1B_EEDaS16_S17_EUlS16_E_NS1_11comp_targetILNS1_3genE4ELNS1_11target_archE910ELNS1_3gpuE8ELNS1_3repE0EEENS1_30default_config_static_selectorELNS0_4arch9wavefront6targetE1EEEvT1_,"axG",@progbits,_ZN7rocprim17ROCPRIM_400000_NS6detail17trampoline_kernelINS0_14default_configENS1_25partition_config_selectorILNS1_17partition_subalgoE1EyNS0_10empty_typeEbEEZZNS1_14partition_implILS5_1ELb0ES3_jN6thrust23THRUST_200600_302600_NS6detail15normal_iteratorINSA_10device_ptrIyEEEEPS6_NSA_18transform_iteratorI7is_evenIyESF_NSA_11use_defaultESK_EENS0_5tupleIJNSA_16discard_iteratorISK_EESF_EEENSM_IJSG_SG_EEES6_PlJS6_EEE10hipError_tPvRmT3_T4_T5_T6_T7_T9_mT8_P12ihipStream_tbDpT10_ENKUlT_T0_E_clISt17integral_constantIbLb1EES1B_EEDaS16_S17_EUlS16_E_NS1_11comp_targetILNS1_3genE4ELNS1_11target_archE910ELNS1_3gpuE8ELNS1_3repE0EEENS1_30default_config_static_selectorELNS0_4arch9wavefront6targetE1EEEvT1_,comdat
	.protected	_ZN7rocprim17ROCPRIM_400000_NS6detail17trampoline_kernelINS0_14default_configENS1_25partition_config_selectorILNS1_17partition_subalgoE1EyNS0_10empty_typeEbEEZZNS1_14partition_implILS5_1ELb0ES3_jN6thrust23THRUST_200600_302600_NS6detail15normal_iteratorINSA_10device_ptrIyEEEEPS6_NSA_18transform_iteratorI7is_evenIyESF_NSA_11use_defaultESK_EENS0_5tupleIJNSA_16discard_iteratorISK_EESF_EEENSM_IJSG_SG_EEES6_PlJS6_EEE10hipError_tPvRmT3_T4_T5_T6_T7_T9_mT8_P12ihipStream_tbDpT10_ENKUlT_T0_E_clISt17integral_constantIbLb1EES1B_EEDaS16_S17_EUlS16_E_NS1_11comp_targetILNS1_3genE4ELNS1_11target_archE910ELNS1_3gpuE8ELNS1_3repE0EEENS1_30default_config_static_selectorELNS0_4arch9wavefront6targetE1EEEvT1_ ; -- Begin function _ZN7rocprim17ROCPRIM_400000_NS6detail17trampoline_kernelINS0_14default_configENS1_25partition_config_selectorILNS1_17partition_subalgoE1EyNS0_10empty_typeEbEEZZNS1_14partition_implILS5_1ELb0ES3_jN6thrust23THRUST_200600_302600_NS6detail15normal_iteratorINSA_10device_ptrIyEEEEPS6_NSA_18transform_iteratorI7is_evenIyESF_NSA_11use_defaultESK_EENS0_5tupleIJNSA_16discard_iteratorISK_EESF_EEENSM_IJSG_SG_EEES6_PlJS6_EEE10hipError_tPvRmT3_T4_T5_T6_T7_T9_mT8_P12ihipStream_tbDpT10_ENKUlT_T0_E_clISt17integral_constantIbLb1EES1B_EEDaS16_S17_EUlS16_E_NS1_11comp_targetILNS1_3genE4ELNS1_11target_archE910ELNS1_3gpuE8ELNS1_3repE0EEENS1_30default_config_static_selectorELNS0_4arch9wavefront6targetE1EEEvT1_
	.globl	_ZN7rocprim17ROCPRIM_400000_NS6detail17trampoline_kernelINS0_14default_configENS1_25partition_config_selectorILNS1_17partition_subalgoE1EyNS0_10empty_typeEbEEZZNS1_14partition_implILS5_1ELb0ES3_jN6thrust23THRUST_200600_302600_NS6detail15normal_iteratorINSA_10device_ptrIyEEEEPS6_NSA_18transform_iteratorI7is_evenIyESF_NSA_11use_defaultESK_EENS0_5tupleIJNSA_16discard_iteratorISK_EESF_EEENSM_IJSG_SG_EEES6_PlJS6_EEE10hipError_tPvRmT3_T4_T5_T6_T7_T9_mT8_P12ihipStream_tbDpT10_ENKUlT_T0_E_clISt17integral_constantIbLb1EES1B_EEDaS16_S17_EUlS16_E_NS1_11comp_targetILNS1_3genE4ELNS1_11target_archE910ELNS1_3gpuE8ELNS1_3repE0EEENS1_30default_config_static_selectorELNS0_4arch9wavefront6targetE1EEEvT1_
	.p2align	8
	.type	_ZN7rocprim17ROCPRIM_400000_NS6detail17trampoline_kernelINS0_14default_configENS1_25partition_config_selectorILNS1_17partition_subalgoE1EyNS0_10empty_typeEbEEZZNS1_14partition_implILS5_1ELb0ES3_jN6thrust23THRUST_200600_302600_NS6detail15normal_iteratorINSA_10device_ptrIyEEEEPS6_NSA_18transform_iteratorI7is_evenIyESF_NSA_11use_defaultESK_EENS0_5tupleIJNSA_16discard_iteratorISK_EESF_EEENSM_IJSG_SG_EEES6_PlJS6_EEE10hipError_tPvRmT3_T4_T5_T6_T7_T9_mT8_P12ihipStream_tbDpT10_ENKUlT_T0_E_clISt17integral_constantIbLb1EES1B_EEDaS16_S17_EUlS16_E_NS1_11comp_targetILNS1_3genE4ELNS1_11target_archE910ELNS1_3gpuE8ELNS1_3repE0EEENS1_30default_config_static_selectorELNS0_4arch9wavefront6targetE1EEEvT1_,@function
_ZN7rocprim17ROCPRIM_400000_NS6detail17trampoline_kernelINS0_14default_configENS1_25partition_config_selectorILNS1_17partition_subalgoE1EyNS0_10empty_typeEbEEZZNS1_14partition_implILS5_1ELb0ES3_jN6thrust23THRUST_200600_302600_NS6detail15normal_iteratorINSA_10device_ptrIyEEEEPS6_NSA_18transform_iteratorI7is_evenIyESF_NSA_11use_defaultESK_EENS0_5tupleIJNSA_16discard_iteratorISK_EESF_EEENSM_IJSG_SG_EEES6_PlJS6_EEE10hipError_tPvRmT3_T4_T5_T6_T7_T9_mT8_P12ihipStream_tbDpT10_ENKUlT_T0_E_clISt17integral_constantIbLb1EES1B_EEDaS16_S17_EUlS16_E_NS1_11comp_targetILNS1_3genE4ELNS1_11target_archE910ELNS1_3gpuE8ELNS1_3repE0EEENS1_30default_config_static_selectorELNS0_4arch9wavefront6targetE1EEEvT1_: ; @_ZN7rocprim17ROCPRIM_400000_NS6detail17trampoline_kernelINS0_14default_configENS1_25partition_config_selectorILNS1_17partition_subalgoE1EyNS0_10empty_typeEbEEZZNS1_14partition_implILS5_1ELb0ES3_jN6thrust23THRUST_200600_302600_NS6detail15normal_iteratorINSA_10device_ptrIyEEEEPS6_NSA_18transform_iteratorI7is_evenIyESF_NSA_11use_defaultESK_EENS0_5tupleIJNSA_16discard_iteratorISK_EESF_EEENSM_IJSG_SG_EEES6_PlJS6_EEE10hipError_tPvRmT3_T4_T5_T6_T7_T9_mT8_P12ihipStream_tbDpT10_ENKUlT_T0_E_clISt17integral_constantIbLb1EES1B_EEDaS16_S17_EUlS16_E_NS1_11comp_targetILNS1_3genE4ELNS1_11target_archE910ELNS1_3gpuE8ELNS1_3repE0EEENS1_30default_config_static_selectorELNS0_4arch9wavefront6targetE1EEEvT1_
; %bb.0:
	.section	.rodata,"a",@progbits
	.p2align	6, 0x0
	.amdhsa_kernel _ZN7rocprim17ROCPRIM_400000_NS6detail17trampoline_kernelINS0_14default_configENS1_25partition_config_selectorILNS1_17partition_subalgoE1EyNS0_10empty_typeEbEEZZNS1_14partition_implILS5_1ELb0ES3_jN6thrust23THRUST_200600_302600_NS6detail15normal_iteratorINSA_10device_ptrIyEEEEPS6_NSA_18transform_iteratorI7is_evenIyESF_NSA_11use_defaultESK_EENS0_5tupleIJNSA_16discard_iteratorISK_EESF_EEENSM_IJSG_SG_EEES6_PlJS6_EEE10hipError_tPvRmT3_T4_T5_T6_T7_T9_mT8_P12ihipStream_tbDpT10_ENKUlT_T0_E_clISt17integral_constantIbLb1EES1B_EEDaS16_S17_EUlS16_E_NS1_11comp_targetILNS1_3genE4ELNS1_11target_archE910ELNS1_3gpuE8ELNS1_3repE0EEENS1_30default_config_static_selectorELNS0_4arch9wavefront6targetE1EEEvT1_
		.amdhsa_group_segment_fixed_size 0
		.amdhsa_private_segment_fixed_size 0
		.amdhsa_kernarg_size 152
		.amdhsa_user_sgpr_count 2
		.amdhsa_user_sgpr_dispatch_ptr 0
		.amdhsa_user_sgpr_queue_ptr 0
		.amdhsa_user_sgpr_kernarg_segment_ptr 1
		.amdhsa_user_sgpr_dispatch_id 0
		.amdhsa_user_sgpr_kernarg_preload_length 0
		.amdhsa_user_sgpr_kernarg_preload_offset 0
		.amdhsa_user_sgpr_private_segment_size 0
		.amdhsa_uses_dynamic_stack 0
		.amdhsa_enable_private_segment 0
		.amdhsa_system_sgpr_workgroup_id_x 1
		.amdhsa_system_sgpr_workgroup_id_y 0
		.amdhsa_system_sgpr_workgroup_id_z 0
		.amdhsa_system_sgpr_workgroup_info 0
		.amdhsa_system_vgpr_workitem_id 0
		.amdhsa_next_free_vgpr 1
		.amdhsa_next_free_sgpr 0
		.amdhsa_accum_offset 4
		.amdhsa_reserve_vcc 0
		.amdhsa_float_round_mode_32 0
		.amdhsa_float_round_mode_16_64 0
		.amdhsa_float_denorm_mode_32 3
		.amdhsa_float_denorm_mode_16_64 3
		.amdhsa_dx10_clamp 1
		.amdhsa_ieee_mode 1
		.amdhsa_fp16_overflow 0
		.amdhsa_tg_split 0
		.amdhsa_exception_fp_ieee_invalid_op 0
		.amdhsa_exception_fp_denorm_src 0
		.amdhsa_exception_fp_ieee_div_zero 0
		.amdhsa_exception_fp_ieee_overflow 0
		.amdhsa_exception_fp_ieee_underflow 0
		.amdhsa_exception_fp_ieee_inexact 0
		.amdhsa_exception_int_div_zero 0
	.end_amdhsa_kernel
	.section	.text._ZN7rocprim17ROCPRIM_400000_NS6detail17trampoline_kernelINS0_14default_configENS1_25partition_config_selectorILNS1_17partition_subalgoE1EyNS0_10empty_typeEbEEZZNS1_14partition_implILS5_1ELb0ES3_jN6thrust23THRUST_200600_302600_NS6detail15normal_iteratorINSA_10device_ptrIyEEEEPS6_NSA_18transform_iteratorI7is_evenIyESF_NSA_11use_defaultESK_EENS0_5tupleIJNSA_16discard_iteratorISK_EESF_EEENSM_IJSG_SG_EEES6_PlJS6_EEE10hipError_tPvRmT3_T4_T5_T6_T7_T9_mT8_P12ihipStream_tbDpT10_ENKUlT_T0_E_clISt17integral_constantIbLb1EES1B_EEDaS16_S17_EUlS16_E_NS1_11comp_targetILNS1_3genE4ELNS1_11target_archE910ELNS1_3gpuE8ELNS1_3repE0EEENS1_30default_config_static_selectorELNS0_4arch9wavefront6targetE1EEEvT1_,"axG",@progbits,_ZN7rocprim17ROCPRIM_400000_NS6detail17trampoline_kernelINS0_14default_configENS1_25partition_config_selectorILNS1_17partition_subalgoE1EyNS0_10empty_typeEbEEZZNS1_14partition_implILS5_1ELb0ES3_jN6thrust23THRUST_200600_302600_NS6detail15normal_iteratorINSA_10device_ptrIyEEEEPS6_NSA_18transform_iteratorI7is_evenIyESF_NSA_11use_defaultESK_EENS0_5tupleIJNSA_16discard_iteratorISK_EESF_EEENSM_IJSG_SG_EEES6_PlJS6_EEE10hipError_tPvRmT3_T4_T5_T6_T7_T9_mT8_P12ihipStream_tbDpT10_ENKUlT_T0_E_clISt17integral_constantIbLb1EES1B_EEDaS16_S17_EUlS16_E_NS1_11comp_targetILNS1_3genE4ELNS1_11target_archE910ELNS1_3gpuE8ELNS1_3repE0EEENS1_30default_config_static_selectorELNS0_4arch9wavefront6targetE1EEEvT1_,comdat
.Lfunc_end2949:
	.size	_ZN7rocprim17ROCPRIM_400000_NS6detail17trampoline_kernelINS0_14default_configENS1_25partition_config_selectorILNS1_17partition_subalgoE1EyNS0_10empty_typeEbEEZZNS1_14partition_implILS5_1ELb0ES3_jN6thrust23THRUST_200600_302600_NS6detail15normal_iteratorINSA_10device_ptrIyEEEEPS6_NSA_18transform_iteratorI7is_evenIyESF_NSA_11use_defaultESK_EENS0_5tupleIJNSA_16discard_iteratorISK_EESF_EEENSM_IJSG_SG_EEES6_PlJS6_EEE10hipError_tPvRmT3_T4_T5_T6_T7_T9_mT8_P12ihipStream_tbDpT10_ENKUlT_T0_E_clISt17integral_constantIbLb1EES1B_EEDaS16_S17_EUlS16_E_NS1_11comp_targetILNS1_3genE4ELNS1_11target_archE910ELNS1_3gpuE8ELNS1_3repE0EEENS1_30default_config_static_selectorELNS0_4arch9wavefront6targetE1EEEvT1_, .Lfunc_end2949-_ZN7rocprim17ROCPRIM_400000_NS6detail17trampoline_kernelINS0_14default_configENS1_25partition_config_selectorILNS1_17partition_subalgoE1EyNS0_10empty_typeEbEEZZNS1_14partition_implILS5_1ELb0ES3_jN6thrust23THRUST_200600_302600_NS6detail15normal_iteratorINSA_10device_ptrIyEEEEPS6_NSA_18transform_iteratorI7is_evenIyESF_NSA_11use_defaultESK_EENS0_5tupleIJNSA_16discard_iteratorISK_EESF_EEENSM_IJSG_SG_EEES6_PlJS6_EEE10hipError_tPvRmT3_T4_T5_T6_T7_T9_mT8_P12ihipStream_tbDpT10_ENKUlT_T0_E_clISt17integral_constantIbLb1EES1B_EEDaS16_S17_EUlS16_E_NS1_11comp_targetILNS1_3genE4ELNS1_11target_archE910ELNS1_3gpuE8ELNS1_3repE0EEENS1_30default_config_static_selectorELNS0_4arch9wavefront6targetE1EEEvT1_
                                        ; -- End function
	.section	.AMDGPU.csdata,"",@progbits
; Kernel info:
; codeLenInByte = 0
; NumSgprs: 6
; NumVgprs: 0
; NumAgprs: 0
; TotalNumVgprs: 0
; ScratchSize: 0
; MemoryBound: 0
; FloatMode: 240
; IeeeMode: 1
; LDSByteSize: 0 bytes/workgroup (compile time only)
; SGPRBlocks: 0
; VGPRBlocks: 0
; NumSGPRsForWavesPerEU: 6
; NumVGPRsForWavesPerEU: 1
; AccumOffset: 4
; Occupancy: 8
; WaveLimiterHint : 0
; COMPUTE_PGM_RSRC2:SCRATCH_EN: 0
; COMPUTE_PGM_RSRC2:USER_SGPR: 2
; COMPUTE_PGM_RSRC2:TRAP_HANDLER: 0
; COMPUTE_PGM_RSRC2:TGID_X_EN: 1
; COMPUTE_PGM_RSRC2:TGID_Y_EN: 0
; COMPUTE_PGM_RSRC2:TGID_Z_EN: 0
; COMPUTE_PGM_RSRC2:TIDIG_COMP_CNT: 0
; COMPUTE_PGM_RSRC3_GFX90A:ACCUM_OFFSET: 0
; COMPUTE_PGM_RSRC3_GFX90A:TG_SPLIT: 0
	.section	.text._ZN7rocprim17ROCPRIM_400000_NS6detail17trampoline_kernelINS0_14default_configENS1_25partition_config_selectorILNS1_17partition_subalgoE1EyNS0_10empty_typeEbEEZZNS1_14partition_implILS5_1ELb0ES3_jN6thrust23THRUST_200600_302600_NS6detail15normal_iteratorINSA_10device_ptrIyEEEEPS6_NSA_18transform_iteratorI7is_evenIyESF_NSA_11use_defaultESK_EENS0_5tupleIJNSA_16discard_iteratorISK_EESF_EEENSM_IJSG_SG_EEES6_PlJS6_EEE10hipError_tPvRmT3_T4_T5_T6_T7_T9_mT8_P12ihipStream_tbDpT10_ENKUlT_T0_E_clISt17integral_constantIbLb1EES1B_EEDaS16_S17_EUlS16_E_NS1_11comp_targetILNS1_3genE3ELNS1_11target_archE908ELNS1_3gpuE7ELNS1_3repE0EEENS1_30default_config_static_selectorELNS0_4arch9wavefront6targetE1EEEvT1_,"axG",@progbits,_ZN7rocprim17ROCPRIM_400000_NS6detail17trampoline_kernelINS0_14default_configENS1_25partition_config_selectorILNS1_17partition_subalgoE1EyNS0_10empty_typeEbEEZZNS1_14partition_implILS5_1ELb0ES3_jN6thrust23THRUST_200600_302600_NS6detail15normal_iteratorINSA_10device_ptrIyEEEEPS6_NSA_18transform_iteratorI7is_evenIyESF_NSA_11use_defaultESK_EENS0_5tupleIJNSA_16discard_iteratorISK_EESF_EEENSM_IJSG_SG_EEES6_PlJS6_EEE10hipError_tPvRmT3_T4_T5_T6_T7_T9_mT8_P12ihipStream_tbDpT10_ENKUlT_T0_E_clISt17integral_constantIbLb1EES1B_EEDaS16_S17_EUlS16_E_NS1_11comp_targetILNS1_3genE3ELNS1_11target_archE908ELNS1_3gpuE7ELNS1_3repE0EEENS1_30default_config_static_selectorELNS0_4arch9wavefront6targetE1EEEvT1_,comdat
	.protected	_ZN7rocprim17ROCPRIM_400000_NS6detail17trampoline_kernelINS0_14default_configENS1_25partition_config_selectorILNS1_17partition_subalgoE1EyNS0_10empty_typeEbEEZZNS1_14partition_implILS5_1ELb0ES3_jN6thrust23THRUST_200600_302600_NS6detail15normal_iteratorINSA_10device_ptrIyEEEEPS6_NSA_18transform_iteratorI7is_evenIyESF_NSA_11use_defaultESK_EENS0_5tupleIJNSA_16discard_iteratorISK_EESF_EEENSM_IJSG_SG_EEES6_PlJS6_EEE10hipError_tPvRmT3_T4_T5_T6_T7_T9_mT8_P12ihipStream_tbDpT10_ENKUlT_T0_E_clISt17integral_constantIbLb1EES1B_EEDaS16_S17_EUlS16_E_NS1_11comp_targetILNS1_3genE3ELNS1_11target_archE908ELNS1_3gpuE7ELNS1_3repE0EEENS1_30default_config_static_selectorELNS0_4arch9wavefront6targetE1EEEvT1_ ; -- Begin function _ZN7rocprim17ROCPRIM_400000_NS6detail17trampoline_kernelINS0_14default_configENS1_25partition_config_selectorILNS1_17partition_subalgoE1EyNS0_10empty_typeEbEEZZNS1_14partition_implILS5_1ELb0ES3_jN6thrust23THRUST_200600_302600_NS6detail15normal_iteratorINSA_10device_ptrIyEEEEPS6_NSA_18transform_iteratorI7is_evenIyESF_NSA_11use_defaultESK_EENS0_5tupleIJNSA_16discard_iteratorISK_EESF_EEENSM_IJSG_SG_EEES6_PlJS6_EEE10hipError_tPvRmT3_T4_T5_T6_T7_T9_mT8_P12ihipStream_tbDpT10_ENKUlT_T0_E_clISt17integral_constantIbLb1EES1B_EEDaS16_S17_EUlS16_E_NS1_11comp_targetILNS1_3genE3ELNS1_11target_archE908ELNS1_3gpuE7ELNS1_3repE0EEENS1_30default_config_static_selectorELNS0_4arch9wavefront6targetE1EEEvT1_
	.globl	_ZN7rocprim17ROCPRIM_400000_NS6detail17trampoline_kernelINS0_14default_configENS1_25partition_config_selectorILNS1_17partition_subalgoE1EyNS0_10empty_typeEbEEZZNS1_14partition_implILS5_1ELb0ES3_jN6thrust23THRUST_200600_302600_NS6detail15normal_iteratorINSA_10device_ptrIyEEEEPS6_NSA_18transform_iteratorI7is_evenIyESF_NSA_11use_defaultESK_EENS0_5tupleIJNSA_16discard_iteratorISK_EESF_EEENSM_IJSG_SG_EEES6_PlJS6_EEE10hipError_tPvRmT3_T4_T5_T6_T7_T9_mT8_P12ihipStream_tbDpT10_ENKUlT_T0_E_clISt17integral_constantIbLb1EES1B_EEDaS16_S17_EUlS16_E_NS1_11comp_targetILNS1_3genE3ELNS1_11target_archE908ELNS1_3gpuE7ELNS1_3repE0EEENS1_30default_config_static_selectorELNS0_4arch9wavefront6targetE1EEEvT1_
	.p2align	8
	.type	_ZN7rocprim17ROCPRIM_400000_NS6detail17trampoline_kernelINS0_14default_configENS1_25partition_config_selectorILNS1_17partition_subalgoE1EyNS0_10empty_typeEbEEZZNS1_14partition_implILS5_1ELb0ES3_jN6thrust23THRUST_200600_302600_NS6detail15normal_iteratorINSA_10device_ptrIyEEEEPS6_NSA_18transform_iteratorI7is_evenIyESF_NSA_11use_defaultESK_EENS0_5tupleIJNSA_16discard_iteratorISK_EESF_EEENSM_IJSG_SG_EEES6_PlJS6_EEE10hipError_tPvRmT3_T4_T5_T6_T7_T9_mT8_P12ihipStream_tbDpT10_ENKUlT_T0_E_clISt17integral_constantIbLb1EES1B_EEDaS16_S17_EUlS16_E_NS1_11comp_targetILNS1_3genE3ELNS1_11target_archE908ELNS1_3gpuE7ELNS1_3repE0EEENS1_30default_config_static_selectorELNS0_4arch9wavefront6targetE1EEEvT1_,@function
_ZN7rocprim17ROCPRIM_400000_NS6detail17trampoline_kernelINS0_14default_configENS1_25partition_config_selectorILNS1_17partition_subalgoE1EyNS0_10empty_typeEbEEZZNS1_14partition_implILS5_1ELb0ES3_jN6thrust23THRUST_200600_302600_NS6detail15normal_iteratorINSA_10device_ptrIyEEEEPS6_NSA_18transform_iteratorI7is_evenIyESF_NSA_11use_defaultESK_EENS0_5tupleIJNSA_16discard_iteratorISK_EESF_EEENSM_IJSG_SG_EEES6_PlJS6_EEE10hipError_tPvRmT3_T4_T5_T6_T7_T9_mT8_P12ihipStream_tbDpT10_ENKUlT_T0_E_clISt17integral_constantIbLb1EES1B_EEDaS16_S17_EUlS16_E_NS1_11comp_targetILNS1_3genE3ELNS1_11target_archE908ELNS1_3gpuE7ELNS1_3repE0EEENS1_30default_config_static_selectorELNS0_4arch9wavefront6targetE1EEEvT1_: ; @_ZN7rocprim17ROCPRIM_400000_NS6detail17trampoline_kernelINS0_14default_configENS1_25partition_config_selectorILNS1_17partition_subalgoE1EyNS0_10empty_typeEbEEZZNS1_14partition_implILS5_1ELb0ES3_jN6thrust23THRUST_200600_302600_NS6detail15normal_iteratorINSA_10device_ptrIyEEEEPS6_NSA_18transform_iteratorI7is_evenIyESF_NSA_11use_defaultESK_EENS0_5tupleIJNSA_16discard_iteratorISK_EESF_EEENSM_IJSG_SG_EEES6_PlJS6_EEE10hipError_tPvRmT3_T4_T5_T6_T7_T9_mT8_P12ihipStream_tbDpT10_ENKUlT_T0_E_clISt17integral_constantIbLb1EES1B_EEDaS16_S17_EUlS16_E_NS1_11comp_targetILNS1_3genE3ELNS1_11target_archE908ELNS1_3gpuE7ELNS1_3repE0EEENS1_30default_config_static_selectorELNS0_4arch9wavefront6targetE1EEEvT1_
; %bb.0:
	.section	.rodata,"a",@progbits
	.p2align	6, 0x0
	.amdhsa_kernel _ZN7rocprim17ROCPRIM_400000_NS6detail17trampoline_kernelINS0_14default_configENS1_25partition_config_selectorILNS1_17partition_subalgoE1EyNS0_10empty_typeEbEEZZNS1_14partition_implILS5_1ELb0ES3_jN6thrust23THRUST_200600_302600_NS6detail15normal_iteratorINSA_10device_ptrIyEEEEPS6_NSA_18transform_iteratorI7is_evenIyESF_NSA_11use_defaultESK_EENS0_5tupleIJNSA_16discard_iteratorISK_EESF_EEENSM_IJSG_SG_EEES6_PlJS6_EEE10hipError_tPvRmT3_T4_T5_T6_T7_T9_mT8_P12ihipStream_tbDpT10_ENKUlT_T0_E_clISt17integral_constantIbLb1EES1B_EEDaS16_S17_EUlS16_E_NS1_11comp_targetILNS1_3genE3ELNS1_11target_archE908ELNS1_3gpuE7ELNS1_3repE0EEENS1_30default_config_static_selectorELNS0_4arch9wavefront6targetE1EEEvT1_
		.amdhsa_group_segment_fixed_size 0
		.amdhsa_private_segment_fixed_size 0
		.amdhsa_kernarg_size 152
		.amdhsa_user_sgpr_count 2
		.amdhsa_user_sgpr_dispatch_ptr 0
		.amdhsa_user_sgpr_queue_ptr 0
		.amdhsa_user_sgpr_kernarg_segment_ptr 1
		.amdhsa_user_sgpr_dispatch_id 0
		.amdhsa_user_sgpr_kernarg_preload_length 0
		.amdhsa_user_sgpr_kernarg_preload_offset 0
		.amdhsa_user_sgpr_private_segment_size 0
		.amdhsa_uses_dynamic_stack 0
		.amdhsa_enable_private_segment 0
		.amdhsa_system_sgpr_workgroup_id_x 1
		.amdhsa_system_sgpr_workgroup_id_y 0
		.amdhsa_system_sgpr_workgroup_id_z 0
		.amdhsa_system_sgpr_workgroup_info 0
		.amdhsa_system_vgpr_workitem_id 0
		.amdhsa_next_free_vgpr 1
		.amdhsa_next_free_sgpr 0
		.amdhsa_accum_offset 4
		.amdhsa_reserve_vcc 0
		.amdhsa_float_round_mode_32 0
		.amdhsa_float_round_mode_16_64 0
		.amdhsa_float_denorm_mode_32 3
		.amdhsa_float_denorm_mode_16_64 3
		.amdhsa_dx10_clamp 1
		.amdhsa_ieee_mode 1
		.amdhsa_fp16_overflow 0
		.amdhsa_tg_split 0
		.amdhsa_exception_fp_ieee_invalid_op 0
		.amdhsa_exception_fp_denorm_src 0
		.amdhsa_exception_fp_ieee_div_zero 0
		.amdhsa_exception_fp_ieee_overflow 0
		.amdhsa_exception_fp_ieee_underflow 0
		.amdhsa_exception_fp_ieee_inexact 0
		.amdhsa_exception_int_div_zero 0
	.end_amdhsa_kernel
	.section	.text._ZN7rocprim17ROCPRIM_400000_NS6detail17trampoline_kernelINS0_14default_configENS1_25partition_config_selectorILNS1_17partition_subalgoE1EyNS0_10empty_typeEbEEZZNS1_14partition_implILS5_1ELb0ES3_jN6thrust23THRUST_200600_302600_NS6detail15normal_iteratorINSA_10device_ptrIyEEEEPS6_NSA_18transform_iteratorI7is_evenIyESF_NSA_11use_defaultESK_EENS0_5tupleIJNSA_16discard_iteratorISK_EESF_EEENSM_IJSG_SG_EEES6_PlJS6_EEE10hipError_tPvRmT3_T4_T5_T6_T7_T9_mT8_P12ihipStream_tbDpT10_ENKUlT_T0_E_clISt17integral_constantIbLb1EES1B_EEDaS16_S17_EUlS16_E_NS1_11comp_targetILNS1_3genE3ELNS1_11target_archE908ELNS1_3gpuE7ELNS1_3repE0EEENS1_30default_config_static_selectorELNS0_4arch9wavefront6targetE1EEEvT1_,"axG",@progbits,_ZN7rocprim17ROCPRIM_400000_NS6detail17trampoline_kernelINS0_14default_configENS1_25partition_config_selectorILNS1_17partition_subalgoE1EyNS0_10empty_typeEbEEZZNS1_14partition_implILS5_1ELb0ES3_jN6thrust23THRUST_200600_302600_NS6detail15normal_iteratorINSA_10device_ptrIyEEEEPS6_NSA_18transform_iteratorI7is_evenIyESF_NSA_11use_defaultESK_EENS0_5tupleIJNSA_16discard_iteratorISK_EESF_EEENSM_IJSG_SG_EEES6_PlJS6_EEE10hipError_tPvRmT3_T4_T5_T6_T7_T9_mT8_P12ihipStream_tbDpT10_ENKUlT_T0_E_clISt17integral_constantIbLb1EES1B_EEDaS16_S17_EUlS16_E_NS1_11comp_targetILNS1_3genE3ELNS1_11target_archE908ELNS1_3gpuE7ELNS1_3repE0EEENS1_30default_config_static_selectorELNS0_4arch9wavefront6targetE1EEEvT1_,comdat
.Lfunc_end2950:
	.size	_ZN7rocprim17ROCPRIM_400000_NS6detail17trampoline_kernelINS0_14default_configENS1_25partition_config_selectorILNS1_17partition_subalgoE1EyNS0_10empty_typeEbEEZZNS1_14partition_implILS5_1ELb0ES3_jN6thrust23THRUST_200600_302600_NS6detail15normal_iteratorINSA_10device_ptrIyEEEEPS6_NSA_18transform_iteratorI7is_evenIyESF_NSA_11use_defaultESK_EENS0_5tupleIJNSA_16discard_iteratorISK_EESF_EEENSM_IJSG_SG_EEES6_PlJS6_EEE10hipError_tPvRmT3_T4_T5_T6_T7_T9_mT8_P12ihipStream_tbDpT10_ENKUlT_T0_E_clISt17integral_constantIbLb1EES1B_EEDaS16_S17_EUlS16_E_NS1_11comp_targetILNS1_3genE3ELNS1_11target_archE908ELNS1_3gpuE7ELNS1_3repE0EEENS1_30default_config_static_selectorELNS0_4arch9wavefront6targetE1EEEvT1_, .Lfunc_end2950-_ZN7rocprim17ROCPRIM_400000_NS6detail17trampoline_kernelINS0_14default_configENS1_25partition_config_selectorILNS1_17partition_subalgoE1EyNS0_10empty_typeEbEEZZNS1_14partition_implILS5_1ELb0ES3_jN6thrust23THRUST_200600_302600_NS6detail15normal_iteratorINSA_10device_ptrIyEEEEPS6_NSA_18transform_iteratorI7is_evenIyESF_NSA_11use_defaultESK_EENS0_5tupleIJNSA_16discard_iteratorISK_EESF_EEENSM_IJSG_SG_EEES6_PlJS6_EEE10hipError_tPvRmT3_T4_T5_T6_T7_T9_mT8_P12ihipStream_tbDpT10_ENKUlT_T0_E_clISt17integral_constantIbLb1EES1B_EEDaS16_S17_EUlS16_E_NS1_11comp_targetILNS1_3genE3ELNS1_11target_archE908ELNS1_3gpuE7ELNS1_3repE0EEENS1_30default_config_static_selectorELNS0_4arch9wavefront6targetE1EEEvT1_
                                        ; -- End function
	.section	.AMDGPU.csdata,"",@progbits
; Kernel info:
; codeLenInByte = 0
; NumSgprs: 6
; NumVgprs: 0
; NumAgprs: 0
; TotalNumVgprs: 0
; ScratchSize: 0
; MemoryBound: 0
; FloatMode: 240
; IeeeMode: 1
; LDSByteSize: 0 bytes/workgroup (compile time only)
; SGPRBlocks: 0
; VGPRBlocks: 0
; NumSGPRsForWavesPerEU: 6
; NumVGPRsForWavesPerEU: 1
; AccumOffset: 4
; Occupancy: 8
; WaveLimiterHint : 0
; COMPUTE_PGM_RSRC2:SCRATCH_EN: 0
; COMPUTE_PGM_RSRC2:USER_SGPR: 2
; COMPUTE_PGM_RSRC2:TRAP_HANDLER: 0
; COMPUTE_PGM_RSRC2:TGID_X_EN: 1
; COMPUTE_PGM_RSRC2:TGID_Y_EN: 0
; COMPUTE_PGM_RSRC2:TGID_Z_EN: 0
; COMPUTE_PGM_RSRC2:TIDIG_COMP_CNT: 0
; COMPUTE_PGM_RSRC3_GFX90A:ACCUM_OFFSET: 0
; COMPUTE_PGM_RSRC3_GFX90A:TG_SPLIT: 0
	.section	.text._ZN7rocprim17ROCPRIM_400000_NS6detail17trampoline_kernelINS0_14default_configENS1_25partition_config_selectorILNS1_17partition_subalgoE1EyNS0_10empty_typeEbEEZZNS1_14partition_implILS5_1ELb0ES3_jN6thrust23THRUST_200600_302600_NS6detail15normal_iteratorINSA_10device_ptrIyEEEEPS6_NSA_18transform_iteratorI7is_evenIyESF_NSA_11use_defaultESK_EENS0_5tupleIJNSA_16discard_iteratorISK_EESF_EEENSM_IJSG_SG_EEES6_PlJS6_EEE10hipError_tPvRmT3_T4_T5_T6_T7_T9_mT8_P12ihipStream_tbDpT10_ENKUlT_T0_E_clISt17integral_constantIbLb1EES1B_EEDaS16_S17_EUlS16_E_NS1_11comp_targetILNS1_3genE2ELNS1_11target_archE906ELNS1_3gpuE6ELNS1_3repE0EEENS1_30default_config_static_selectorELNS0_4arch9wavefront6targetE1EEEvT1_,"axG",@progbits,_ZN7rocprim17ROCPRIM_400000_NS6detail17trampoline_kernelINS0_14default_configENS1_25partition_config_selectorILNS1_17partition_subalgoE1EyNS0_10empty_typeEbEEZZNS1_14partition_implILS5_1ELb0ES3_jN6thrust23THRUST_200600_302600_NS6detail15normal_iteratorINSA_10device_ptrIyEEEEPS6_NSA_18transform_iteratorI7is_evenIyESF_NSA_11use_defaultESK_EENS0_5tupleIJNSA_16discard_iteratorISK_EESF_EEENSM_IJSG_SG_EEES6_PlJS6_EEE10hipError_tPvRmT3_T4_T5_T6_T7_T9_mT8_P12ihipStream_tbDpT10_ENKUlT_T0_E_clISt17integral_constantIbLb1EES1B_EEDaS16_S17_EUlS16_E_NS1_11comp_targetILNS1_3genE2ELNS1_11target_archE906ELNS1_3gpuE6ELNS1_3repE0EEENS1_30default_config_static_selectorELNS0_4arch9wavefront6targetE1EEEvT1_,comdat
	.protected	_ZN7rocprim17ROCPRIM_400000_NS6detail17trampoline_kernelINS0_14default_configENS1_25partition_config_selectorILNS1_17partition_subalgoE1EyNS0_10empty_typeEbEEZZNS1_14partition_implILS5_1ELb0ES3_jN6thrust23THRUST_200600_302600_NS6detail15normal_iteratorINSA_10device_ptrIyEEEEPS6_NSA_18transform_iteratorI7is_evenIyESF_NSA_11use_defaultESK_EENS0_5tupleIJNSA_16discard_iteratorISK_EESF_EEENSM_IJSG_SG_EEES6_PlJS6_EEE10hipError_tPvRmT3_T4_T5_T6_T7_T9_mT8_P12ihipStream_tbDpT10_ENKUlT_T0_E_clISt17integral_constantIbLb1EES1B_EEDaS16_S17_EUlS16_E_NS1_11comp_targetILNS1_3genE2ELNS1_11target_archE906ELNS1_3gpuE6ELNS1_3repE0EEENS1_30default_config_static_selectorELNS0_4arch9wavefront6targetE1EEEvT1_ ; -- Begin function _ZN7rocprim17ROCPRIM_400000_NS6detail17trampoline_kernelINS0_14default_configENS1_25partition_config_selectorILNS1_17partition_subalgoE1EyNS0_10empty_typeEbEEZZNS1_14partition_implILS5_1ELb0ES3_jN6thrust23THRUST_200600_302600_NS6detail15normal_iteratorINSA_10device_ptrIyEEEEPS6_NSA_18transform_iteratorI7is_evenIyESF_NSA_11use_defaultESK_EENS0_5tupleIJNSA_16discard_iteratorISK_EESF_EEENSM_IJSG_SG_EEES6_PlJS6_EEE10hipError_tPvRmT3_T4_T5_T6_T7_T9_mT8_P12ihipStream_tbDpT10_ENKUlT_T0_E_clISt17integral_constantIbLb1EES1B_EEDaS16_S17_EUlS16_E_NS1_11comp_targetILNS1_3genE2ELNS1_11target_archE906ELNS1_3gpuE6ELNS1_3repE0EEENS1_30default_config_static_selectorELNS0_4arch9wavefront6targetE1EEEvT1_
	.globl	_ZN7rocprim17ROCPRIM_400000_NS6detail17trampoline_kernelINS0_14default_configENS1_25partition_config_selectorILNS1_17partition_subalgoE1EyNS0_10empty_typeEbEEZZNS1_14partition_implILS5_1ELb0ES3_jN6thrust23THRUST_200600_302600_NS6detail15normal_iteratorINSA_10device_ptrIyEEEEPS6_NSA_18transform_iteratorI7is_evenIyESF_NSA_11use_defaultESK_EENS0_5tupleIJNSA_16discard_iteratorISK_EESF_EEENSM_IJSG_SG_EEES6_PlJS6_EEE10hipError_tPvRmT3_T4_T5_T6_T7_T9_mT8_P12ihipStream_tbDpT10_ENKUlT_T0_E_clISt17integral_constantIbLb1EES1B_EEDaS16_S17_EUlS16_E_NS1_11comp_targetILNS1_3genE2ELNS1_11target_archE906ELNS1_3gpuE6ELNS1_3repE0EEENS1_30default_config_static_selectorELNS0_4arch9wavefront6targetE1EEEvT1_
	.p2align	8
	.type	_ZN7rocprim17ROCPRIM_400000_NS6detail17trampoline_kernelINS0_14default_configENS1_25partition_config_selectorILNS1_17partition_subalgoE1EyNS0_10empty_typeEbEEZZNS1_14partition_implILS5_1ELb0ES3_jN6thrust23THRUST_200600_302600_NS6detail15normal_iteratorINSA_10device_ptrIyEEEEPS6_NSA_18transform_iteratorI7is_evenIyESF_NSA_11use_defaultESK_EENS0_5tupleIJNSA_16discard_iteratorISK_EESF_EEENSM_IJSG_SG_EEES6_PlJS6_EEE10hipError_tPvRmT3_T4_T5_T6_T7_T9_mT8_P12ihipStream_tbDpT10_ENKUlT_T0_E_clISt17integral_constantIbLb1EES1B_EEDaS16_S17_EUlS16_E_NS1_11comp_targetILNS1_3genE2ELNS1_11target_archE906ELNS1_3gpuE6ELNS1_3repE0EEENS1_30default_config_static_selectorELNS0_4arch9wavefront6targetE1EEEvT1_,@function
_ZN7rocprim17ROCPRIM_400000_NS6detail17trampoline_kernelINS0_14default_configENS1_25partition_config_selectorILNS1_17partition_subalgoE1EyNS0_10empty_typeEbEEZZNS1_14partition_implILS5_1ELb0ES3_jN6thrust23THRUST_200600_302600_NS6detail15normal_iteratorINSA_10device_ptrIyEEEEPS6_NSA_18transform_iteratorI7is_evenIyESF_NSA_11use_defaultESK_EENS0_5tupleIJNSA_16discard_iteratorISK_EESF_EEENSM_IJSG_SG_EEES6_PlJS6_EEE10hipError_tPvRmT3_T4_T5_T6_T7_T9_mT8_P12ihipStream_tbDpT10_ENKUlT_T0_E_clISt17integral_constantIbLb1EES1B_EEDaS16_S17_EUlS16_E_NS1_11comp_targetILNS1_3genE2ELNS1_11target_archE906ELNS1_3gpuE6ELNS1_3repE0EEENS1_30default_config_static_selectorELNS0_4arch9wavefront6targetE1EEEvT1_: ; @_ZN7rocprim17ROCPRIM_400000_NS6detail17trampoline_kernelINS0_14default_configENS1_25partition_config_selectorILNS1_17partition_subalgoE1EyNS0_10empty_typeEbEEZZNS1_14partition_implILS5_1ELb0ES3_jN6thrust23THRUST_200600_302600_NS6detail15normal_iteratorINSA_10device_ptrIyEEEEPS6_NSA_18transform_iteratorI7is_evenIyESF_NSA_11use_defaultESK_EENS0_5tupleIJNSA_16discard_iteratorISK_EESF_EEENSM_IJSG_SG_EEES6_PlJS6_EEE10hipError_tPvRmT3_T4_T5_T6_T7_T9_mT8_P12ihipStream_tbDpT10_ENKUlT_T0_E_clISt17integral_constantIbLb1EES1B_EEDaS16_S17_EUlS16_E_NS1_11comp_targetILNS1_3genE2ELNS1_11target_archE906ELNS1_3gpuE6ELNS1_3repE0EEENS1_30default_config_static_selectorELNS0_4arch9wavefront6targetE1EEEvT1_
; %bb.0:
	.section	.rodata,"a",@progbits
	.p2align	6, 0x0
	.amdhsa_kernel _ZN7rocprim17ROCPRIM_400000_NS6detail17trampoline_kernelINS0_14default_configENS1_25partition_config_selectorILNS1_17partition_subalgoE1EyNS0_10empty_typeEbEEZZNS1_14partition_implILS5_1ELb0ES3_jN6thrust23THRUST_200600_302600_NS6detail15normal_iteratorINSA_10device_ptrIyEEEEPS6_NSA_18transform_iteratorI7is_evenIyESF_NSA_11use_defaultESK_EENS0_5tupleIJNSA_16discard_iteratorISK_EESF_EEENSM_IJSG_SG_EEES6_PlJS6_EEE10hipError_tPvRmT3_T4_T5_T6_T7_T9_mT8_P12ihipStream_tbDpT10_ENKUlT_T0_E_clISt17integral_constantIbLb1EES1B_EEDaS16_S17_EUlS16_E_NS1_11comp_targetILNS1_3genE2ELNS1_11target_archE906ELNS1_3gpuE6ELNS1_3repE0EEENS1_30default_config_static_selectorELNS0_4arch9wavefront6targetE1EEEvT1_
		.amdhsa_group_segment_fixed_size 0
		.amdhsa_private_segment_fixed_size 0
		.amdhsa_kernarg_size 152
		.amdhsa_user_sgpr_count 2
		.amdhsa_user_sgpr_dispatch_ptr 0
		.amdhsa_user_sgpr_queue_ptr 0
		.amdhsa_user_sgpr_kernarg_segment_ptr 1
		.amdhsa_user_sgpr_dispatch_id 0
		.amdhsa_user_sgpr_kernarg_preload_length 0
		.amdhsa_user_sgpr_kernarg_preload_offset 0
		.amdhsa_user_sgpr_private_segment_size 0
		.amdhsa_uses_dynamic_stack 0
		.amdhsa_enable_private_segment 0
		.amdhsa_system_sgpr_workgroup_id_x 1
		.amdhsa_system_sgpr_workgroup_id_y 0
		.amdhsa_system_sgpr_workgroup_id_z 0
		.amdhsa_system_sgpr_workgroup_info 0
		.amdhsa_system_vgpr_workitem_id 0
		.amdhsa_next_free_vgpr 1
		.amdhsa_next_free_sgpr 0
		.amdhsa_accum_offset 4
		.amdhsa_reserve_vcc 0
		.amdhsa_float_round_mode_32 0
		.amdhsa_float_round_mode_16_64 0
		.amdhsa_float_denorm_mode_32 3
		.amdhsa_float_denorm_mode_16_64 3
		.amdhsa_dx10_clamp 1
		.amdhsa_ieee_mode 1
		.amdhsa_fp16_overflow 0
		.amdhsa_tg_split 0
		.amdhsa_exception_fp_ieee_invalid_op 0
		.amdhsa_exception_fp_denorm_src 0
		.amdhsa_exception_fp_ieee_div_zero 0
		.amdhsa_exception_fp_ieee_overflow 0
		.amdhsa_exception_fp_ieee_underflow 0
		.amdhsa_exception_fp_ieee_inexact 0
		.amdhsa_exception_int_div_zero 0
	.end_amdhsa_kernel
	.section	.text._ZN7rocprim17ROCPRIM_400000_NS6detail17trampoline_kernelINS0_14default_configENS1_25partition_config_selectorILNS1_17partition_subalgoE1EyNS0_10empty_typeEbEEZZNS1_14partition_implILS5_1ELb0ES3_jN6thrust23THRUST_200600_302600_NS6detail15normal_iteratorINSA_10device_ptrIyEEEEPS6_NSA_18transform_iteratorI7is_evenIyESF_NSA_11use_defaultESK_EENS0_5tupleIJNSA_16discard_iteratorISK_EESF_EEENSM_IJSG_SG_EEES6_PlJS6_EEE10hipError_tPvRmT3_T4_T5_T6_T7_T9_mT8_P12ihipStream_tbDpT10_ENKUlT_T0_E_clISt17integral_constantIbLb1EES1B_EEDaS16_S17_EUlS16_E_NS1_11comp_targetILNS1_3genE2ELNS1_11target_archE906ELNS1_3gpuE6ELNS1_3repE0EEENS1_30default_config_static_selectorELNS0_4arch9wavefront6targetE1EEEvT1_,"axG",@progbits,_ZN7rocprim17ROCPRIM_400000_NS6detail17trampoline_kernelINS0_14default_configENS1_25partition_config_selectorILNS1_17partition_subalgoE1EyNS0_10empty_typeEbEEZZNS1_14partition_implILS5_1ELb0ES3_jN6thrust23THRUST_200600_302600_NS6detail15normal_iteratorINSA_10device_ptrIyEEEEPS6_NSA_18transform_iteratorI7is_evenIyESF_NSA_11use_defaultESK_EENS0_5tupleIJNSA_16discard_iteratorISK_EESF_EEENSM_IJSG_SG_EEES6_PlJS6_EEE10hipError_tPvRmT3_T4_T5_T6_T7_T9_mT8_P12ihipStream_tbDpT10_ENKUlT_T0_E_clISt17integral_constantIbLb1EES1B_EEDaS16_S17_EUlS16_E_NS1_11comp_targetILNS1_3genE2ELNS1_11target_archE906ELNS1_3gpuE6ELNS1_3repE0EEENS1_30default_config_static_selectorELNS0_4arch9wavefront6targetE1EEEvT1_,comdat
.Lfunc_end2951:
	.size	_ZN7rocprim17ROCPRIM_400000_NS6detail17trampoline_kernelINS0_14default_configENS1_25partition_config_selectorILNS1_17partition_subalgoE1EyNS0_10empty_typeEbEEZZNS1_14partition_implILS5_1ELb0ES3_jN6thrust23THRUST_200600_302600_NS6detail15normal_iteratorINSA_10device_ptrIyEEEEPS6_NSA_18transform_iteratorI7is_evenIyESF_NSA_11use_defaultESK_EENS0_5tupleIJNSA_16discard_iteratorISK_EESF_EEENSM_IJSG_SG_EEES6_PlJS6_EEE10hipError_tPvRmT3_T4_T5_T6_T7_T9_mT8_P12ihipStream_tbDpT10_ENKUlT_T0_E_clISt17integral_constantIbLb1EES1B_EEDaS16_S17_EUlS16_E_NS1_11comp_targetILNS1_3genE2ELNS1_11target_archE906ELNS1_3gpuE6ELNS1_3repE0EEENS1_30default_config_static_selectorELNS0_4arch9wavefront6targetE1EEEvT1_, .Lfunc_end2951-_ZN7rocprim17ROCPRIM_400000_NS6detail17trampoline_kernelINS0_14default_configENS1_25partition_config_selectorILNS1_17partition_subalgoE1EyNS0_10empty_typeEbEEZZNS1_14partition_implILS5_1ELb0ES3_jN6thrust23THRUST_200600_302600_NS6detail15normal_iteratorINSA_10device_ptrIyEEEEPS6_NSA_18transform_iteratorI7is_evenIyESF_NSA_11use_defaultESK_EENS0_5tupleIJNSA_16discard_iteratorISK_EESF_EEENSM_IJSG_SG_EEES6_PlJS6_EEE10hipError_tPvRmT3_T4_T5_T6_T7_T9_mT8_P12ihipStream_tbDpT10_ENKUlT_T0_E_clISt17integral_constantIbLb1EES1B_EEDaS16_S17_EUlS16_E_NS1_11comp_targetILNS1_3genE2ELNS1_11target_archE906ELNS1_3gpuE6ELNS1_3repE0EEENS1_30default_config_static_selectorELNS0_4arch9wavefront6targetE1EEEvT1_
                                        ; -- End function
	.section	.AMDGPU.csdata,"",@progbits
; Kernel info:
; codeLenInByte = 0
; NumSgprs: 6
; NumVgprs: 0
; NumAgprs: 0
; TotalNumVgprs: 0
; ScratchSize: 0
; MemoryBound: 0
; FloatMode: 240
; IeeeMode: 1
; LDSByteSize: 0 bytes/workgroup (compile time only)
; SGPRBlocks: 0
; VGPRBlocks: 0
; NumSGPRsForWavesPerEU: 6
; NumVGPRsForWavesPerEU: 1
; AccumOffset: 4
; Occupancy: 8
; WaveLimiterHint : 0
; COMPUTE_PGM_RSRC2:SCRATCH_EN: 0
; COMPUTE_PGM_RSRC2:USER_SGPR: 2
; COMPUTE_PGM_RSRC2:TRAP_HANDLER: 0
; COMPUTE_PGM_RSRC2:TGID_X_EN: 1
; COMPUTE_PGM_RSRC2:TGID_Y_EN: 0
; COMPUTE_PGM_RSRC2:TGID_Z_EN: 0
; COMPUTE_PGM_RSRC2:TIDIG_COMP_CNT: 0
; COMPUTE_PGM_RSRC3_GFX90A:ACCUM_OFFSET: 0
; COMPUTE_PGM_RSRC3_GFX90A:TG_SPLIT: 0
	.section	.text._ZN7rocprim17ROCPRIM_400000_NS6detail17trampoline_kernelINS0_14default_configENS1_25partition_config_selectorILNS1_17partition_subalgoE1EyNS0_10empty_typeEbEEZZNS1_14partition_implILS5_1ELb0ES3_jN6thrust23THRUST_200600_302600_NS6detail15normal_iteratorINSA_10device_ptrIyEEEEPS6_NSA_18transform_iteratorI7is_evenIyESF_NSA_11use_defaultESK_EENS0_5tupleIJNSA_16discard_iteratorISK_EESF_EEENSM_IJSG_SG_EEES6_PlJS6_EEE10hipError_tPvRmT3_T4_T5_T6_T7_T9_mT8_P12ihipStream_tbDpT10_ENKUlT_T0_E_clISt17integral_constantIbLb1EES1B_EEDaS16_S17_EUlS16_E_NS1_11comp_targetILNS1_3genE10ELNS1_11target_archE1200ELNS1_3gpuE4ELNS1_3repE0EEENS1_30default_config_static_selectorELNS0_4arch9wavefront6targetE1EEEvT1_,"axG",@progbits,_ZN7rocprim17ROCPRIM_400000_NS6detail17trampoline_kernelINS0_14default_configENS1_25partition_config_selectorILNS1_17partition_subalgoE1EyNS0_10empty_typeEbEEZZNS1_14partition_implILS5_1ELb0ES3_jN6thrust23THRUST_200600_302600_NS6detail15normal_iteratorINSA_10device_ptrIyEEEEPS6_NSA_18transform_iteratorI7is_evenIyESF_NSA_11use_defaultESK_EENS0_5tupleIJNSA_16discard_iteratorISK_EESF_EEENSM_IJSG_SG_EEES6_PlJS6_EEE10hipError_tPvRmT3_T4_T5_T6_T7_T9_mT8_P12ihipStream_tbDpT10_ENKUlT_T0_E_clISt17integral_constantIbLb1EES1B_EEDaS16_S17_EUlS16_E_NS1_11comp_targetILNS1_3genE10ELNS1_11target_archE1200ELNS1_3gpuE4ELNS1_3repE0EEENS1_30default_config_static_selectorELNS0_4arch9wavefront6targetE1EEEvT1_,comdat
	.protected	_ZN7rocprim17ROCPRIM_400000_NS6detail17trampoline_kernelINS0_14default_configENS1_25partition_config_selectorILNS1_17partition_subalgoE1EyNS0_10empty_typeEbEEZZNS1_14partition_implILS5_1ELb0ES3_jN6thrust23THRUST_200600_302600_NS6detail15normal_iteratorINSA_10device_ptrIyEEEEPS6_NSA_18transform_iteratorI7is_evenIyESF_NSA_11use_defaultESK_EENS0_5tupleIJNSA_16discard_iteratorISK_EESF_EEENSM_IJSG_SG_EEES6_PlJS6_EEE10hipError_tPvRmT3_T4_T5_T6_T7_T9_mT8_P12ihipStream_tbDpT10_ENKUlT_T0_E_clISt17integral_constantIbLb1EES1B_EEDaS16_S17_EUlS16_E_NS1_11comp_targetILNS1_3genE10ELNS1_11target_archE1200ELNS1_3gpuE4ELNS1_3repE0EEENS1_30default_config_static_selectorELNS0_4arch9wavefront6targetE1EEEvT1_ ; -- Begin function _ZN7rocprim17ROCPRIM_400000_NS6detail17trampoline_kernelINS0_14default_configENS1_25partition_config_selectorILNS1_17partition_subalgoE1EyNS0_10empty_typeEbEEZZNS1_14partition_implILS5_1ELb0ES3_jN6thrust23THRUST_200600_302600_NS6detail15normal_iteratorINSA_10device_ptrIyEEEEPS6_NSA_18transform_iteratorI7is_evenIyESF_NSA_11use_defaultESK_EENS0_5tupleIJNSA_16discard_iteratorISK_EESF_EEENSM_IJSG_SG_EEES6_PlJS6_EEE10hipError_tPvRmT3_T4_T5_T6_T7_T9_mT8_P12ihipStream_tbDpT10_ENKUlT_T0_E_clISt17integral_constantIbLb1EES1B_EEDaS16_S17_EUlS16_E_NS1_11comp_targetILNS1_3genE10ELNS1_11target_archE1200ELNS1_3gpuE4ELNS1_3repE0EEENS1_30default_config_static_selectorELNS0_4arch9wavefront6targetE1EEEvT1_
	.globl	_ZN7rocprim17ROCPRIM_400000_NS6detail17trampoline_kernelINS0_14default_configENS1_25partition_config_selectorILNS1_17partition_subalgoE1EyNS0_10empty_typeEbEEZZNS1_14partition_implILS5_1ELb0ES3_jN6thrust23THRUST_200600_302600_NS6detail15normal_iteratorINSA_10device_ptrIyEEEEPS6_NSA_18transform_iteratorI7is_evenIyESF_NSA_11use_defaultESK_EENS0_5tupleIJNSA_16discard_iteratorISK_EESF_EEENSM_IJSG_SG_EEES6_PlJS6_EEE10hipError_tPvRmT3_T4_T5_T6_T7_T9_mT8_P12ihipStream_tbDpT10_ENKUlT_T0_E_clISt17integral_constantIbLb1EES1B_EEDaS16_S17_EUlS16_E_NS1_11comp_targetILNS1_3genE10ELNS1_11target_archE1200ELNS1_3gpuE4ELNS1_3repE0EEENS1_30default_config_static_selectorELNS0_4arch9wavefront6targetE1EEEvT1_
	.p2align	8
	.type	_ZN7rocprim17ROCPRIM_400000_NS6detail17trampoline_kernelINS0_14default_configENS1_25partition_config_selectorILNS1_17partition_subalgoE1EyNS0_10empty_typeEbEEZZNS1_14partition_implILS5_1ELb0ES3_jN6thrust23THRUST_200600_302600_NS6detail15normal_iteratorINSA_10device_ptrIyEEEEPS6_NSA_18transform_iteratorI7is_evenIyESF_NSA_11use_defaultESK_EENS0_5tupleIJNSA_16discard_iteratorISK_EESF_EEENSM_IJSG_SG_EEES6_PlJS6_EEE10hipError_tPvRmT3_T4_T5_T6_T7_T9_mT8_P12ihipStream_tbDpT10_ENKUlT_T0_E_clISt17integral_constantIbLb1EES1B_EEDaS16_S17_EUlS16_E_NS1_11comp_targetILNS1_3genE10ELNS1_11target_archE1200ELNS1_3gpuE4ELNS1_3repE0EEENS1_30default_config_static_selectorELNS0_4arch9wavefront6targetE1EEEvT1_,@function
_ZN7rocprim17ROCPRIM_400000_NS6detail17trampoline_kernelINS0_14default_configENS1_25partition_config_selectorILNS1_17partition_subalgoE1EyNS0_10empty_typeEbEEZZNS1_14partition_implILS5_1ELb0ES3_jN6thrust23THRUST_200600_302600_NS6detail15normal_iteratorINSA_10device_ptrIyEEEEPS6_NSA_18transform_iteratorI7is_evenIyESF_NSA_11use_defaultESK_EENS0_5tupleIJNSA_16discard_iteratorISK_EESF_EEENSM_IJSG_SG_EEES6_PlJS6_EEE10hipError_tPvRmT3_T4_T5_T6_T7_T9_mT8_P12ihipStream_tbDpT10_ENKUlT_T0_E_clISt17integral_constantIbLb1EES1B_EEDaS16_S17_EUlS16_E_NS1_11comp_targetILNS1_3genE10ELNS1_11target_archE1200ELNS1_3gpuE4ELNS1_3repE0EEENS1_30default_config_static_selectorELNS0_4arch9wavefront6targetE1EEEvT1_: ; @_ZN7rocprim17ROCPRIM_400000_NS6detail17trampoline_kernelINS0_14default_configENS1_25partition_config_selectorILNS1_17partition_subalgoE1EyNS0_10empty_typeEbEEZZNS1_14partition_implILS5_1ELb0ES3_jN6thrust23THRUST_200600_302600_NS6detail15normal_iteratorINSA_10device_ptrIyEEEEPS6_NSA_18transform_iteratorI7is_evenIyESF_NSA_11use_defaultESK_EENS0_5tupleIJNSA_16discard_iteratorISK_EESF_EEENSM_IJSG_SG_EEES6_PlJS6_EEE10hipError_tPvRmT3_T4_T5_T6_T7_T9_mT8_P12ihipStream_tbDpT10_ENKUlT_T0_E_clISt17integral_constantIbLb1EES1B_EEDaS16_S17_EUlS16_E_NS1_11comp_targetILNS1_3genE10ELNS1_11target_archE1200ELNS1_3gpuE4ELNS1_3repE0EEENS1_30default_config_static_selectorELNS0_4arch9wavefront6targetE1EEEvT1_
; %bb.0:
	.section	.rodata,"a",@progbits
	.p2align	6, 0x0
	.amdhsa_kernel _ZN7rocprim17ROCPRIM_400000_NS6detail17trampoline_kernelINS0_14default_configENS1_25partition_config_selectorILNS1_17partition_subalgoE1EyNS0_10empty_typeEbEEZZNS1_14partition_implILS5_1ELb0ES3_jN6thrust23THRUST_200600_302600_NS6detail15normal_iteratorINSA_10device_ptrIyEEEEPS6_NSA_18transform_iteratorI7is_evenIyESF_NSA_11use_defaultESK_EENS0_5tupleIJNSA_16discard_iteratorISK_EESF_EEENSM_IJSG_SG_EEES6_PlJS6_EEE10hipError_tPvRmT3_T4_T5_T6_T7_T9_mT8_P12ihipStream_tbDpT10_ENKUlT_T0_E_clISt17integral_constantIbLb1EES1B_EEDaS16_S17_EUlS16_E_NS1_11comp_targetILNS1_3genE10ELNS1_11target_archE1200ELNS1_3gpuE4ELNS1_3repE0EEENS1_30default_config_static_selectorELNS0_4arch9wavefront6targetE1EEEvT1_
		.amdhsa_group_segment_fixed_size 0
		.amdhsa_private_segment_fixed_size 0
		.amdhsa_kernarg_size 152
		.amdhsa_user_sgpr_count 2
		.amdhsa_user_sgpr_dispatch_ptr 0
		.amdhsa_user_sgpr_queue_ptr 0
		.amdhsa_user_sgpr_kernarg_segment_ptr 1
		.amdhsa_user_sgpr_dispatch_id 0
		.amdhsa_user_sgpr_kernarg_preload_length 0
		.amdhsa_user_sgpr_kernarg_preload_offset 0
		.amdhsa_user_sgpr_private_segment_size 0
		.amdhsa_uses_dynamic_stack 0
		.amdhsa_enable_private_segment 0
		.amdhsa_system_sgpr_workgroup_id_x 1
		.amdhsa_system_sgpr_workgroup_id_y 0
		.amdhsa_system_sgpr_workgroup_id_z 0
		.amdhsa_system_sgpr_workgroup_info 0
		.amdhsa_system_vgpr_workitem_id 0
		.amdhsa_next_free_vgpr 1
		.amdhsa_next_free_sgpr 0
		.amdhsa_accum_offset 4
		.amdhsa_reserve_vcc 0
		.amdhsa_float_round_mode_32 0
		.amdhsa_float_round_mode_16_64 0
		.amdhsa_float_denorm_mode_32 3
		.amdhsa_float_denorm_mode_16_64 3
		.amdhsa_dx10_clamp 1
		.amdhsa_ieee_mode 1
		.amdhsa_fp16_overflow 0
		.amdhsa_tg_split 0
		.amdhsa_exception_fp_ieee_invalid_op 0
		.amdhsa_exception_fp_denorm_src 0
		.amdhsa_exception_fp_ieee_div_zero 0
		.amdhsa_exception_fp_ieee_overflow 0
		.amdhsa_exception_fp_ieee_underflow 0
		.amdhsa_exception_fp_ieee_inexact 0
		.amdhsa_exception_int_div_zero 0
	.end_amdhsa_kernel
	.section	.text._ZN7rocprim17ROCPRIM_400000_NS6detail17trampoline_kernelINS0_14default_configENS1_25partition_config_selectorILNS1_17partition_subalgoE1EyNS0_10empty_typeEbEEZZNS1_14partition_implILS5_1ELb0ES3_jN6thrust23THRUST_200600_302600_NS6detail15normal_iteratorINSA_10device_ptrIyEEEEPS6_NSA_18transform_iteratorI7is_evenIyESF_NSA_11use_defaultESK_EENS0_5tupleIJNSA_16discard_iteratorISK_EESF_EEENSM_IJSG_SG_EEES6_PlJS6_EEE10hipError_tPvRmT3_T4_T5_T6_T7_T9_mT8_P12ihipStream_tbDpT10_ENKUlT_T0_E_clISt17integral_constantIbLb1EES1B_EEDaS16_S17_EUlS16_E_NS1_11comp_targetILNS1_3genE10ELNS1_11target_archE1200ELNS1_3gpuE4ELNS1_3repE0EEENS1_30default_config_static_selectorELNS0_4arch9wavefront6targetE1EEEvT1_,"axG",@progbits,_ZN7rocprim17ROCPRIM_400000_NS6detail17trampoline_kernelINS0_14default_configENS1_25partition_config_selectorILNS1_17partition_subalgoE1EyNS0_10empty_typeEbEEZZNS1_14partition_implILS5_1ELb0ES3_jN6thrust23THRUST_200600_302600_NS6detail15normal_iteratorINSA_10device_ptrIyEEEEPS6_NSA_18transform_iteratorI7is_evenIyESF_NSA_11use_defaultESK_EENS0_5tupleIJNSA_16discard_iteratorISK_EESF_EEENSM_IJSG_SG_EEES6_PlJS6_EEE10hipError_tPvRmT3_T4_T5_T6_T7_T9_mT8_P12ihipStream_tbDpT10_ENKUlT_T0_E_clISt17integral_constantIbLb1EES1B_EEDaS16_S17_EUlS16_E_NS1_11comp_targetILNS1_3genE10ELNS1_11target_archE1200ELNS1_3gpuE4ELNS1_3repE0EEENS1_30default_config_static_selectorELNS0_4arch9wavefront6targetE1EEEvT1_,comdat
.Lfunc_end2952:
	.size	_ZN7rocprim17ROCPRIM_400000_NS6detail17trampoline_kernelINS0_14default_configENS1_25partition_config_selectorILNS1_17partition_subalgoE1EyNS0_10empty_typeEbEEZZNS1_14partition_implILS5_1ELb0ES3_jN6thrust23THRUST_200600_302600_NS6detail15normal_iteratorINSA_10device_ptrIyEEEEPS6_NSA_18transform_iteratorI7is_evenIyESF_NSA_11use_defaultESK_EENS0_5tupleIJNSA_16discard_iteratorISK_EESF_EEENSM_IJSG_SG_EEES6_PlJS6_EEE10hipError_tPvRmT3_T4_T5_T6_T7_T9_mT8_P12ihipStream_tbDpT10_ENKUlT_T0_E_clISt17integral_constantIbLb1EES1B_EEDaS16_S17_EUlS16_E_NS1_11comp_targetILNS1_3genE10ELNS1_11target_archE1200ELNS1_3gpuE4ELNS1_3repE0EEENS1_30default_config_static_selectorELNS0_4arch9wavefront6targetE1EEEvT1_, .Lfunc_end2952-_ZN7rocprim17ROCPRIM_400000_NS6detail17trampoline_kernelINS0_14default_configENS1_25partition_config_selectorILNS1_17partition_subalgoE1EyNS0_10empty_typeEbEEZZNS1_14partition_implILS5_1ELb0ES3_jN6thrust23THRUST_200600_302600_NS6detail15normal_iteratorINSA_10device_ptrIyEEEEPS6_NSA_18transform_iteratorI7is_evenIyESF_NSA_11use_defaultESK_EENS0_5tupleIJNSA_16discard_iteratorISK_EESF_EEENSM_IJSG_SG_EEES6_PlJS6_EEE10hipError_tPvRmT3_T4_T5_T6_T7_T9_mT8_P12ihipStream_tbDpT10_ENKUlT_T0_E_clISt17integral_constantIbLb1EES1B_EEDaS16_S17_EUlS16_E_NS1_11comp_targetILNS1_3genE10ELNS1_11target_archE1200ELNS1_3gpuE4ELNS1_3repE0EEENS1_30default_config_static_selectorELNS0_4arch9wavefront6targetE1EEEvT1_
                                        ; -- End function
	.section	.AMDGPU.csdata,"",@progbits
; Kernel info:
; codeLenInByte = 0
; NumSgprs: 6
; NumVgprs: 0
; NumAgprs: 0
; TotalNumVgprs: 0
; ScratchSize: 0
; MemoryBound: 0
; FloatMode: 240
; IeeeMode: 1
; LDSByteSize: 0 bytes/workgroup (compile time only)
; SGPRBlocks: 0
; VGPRBlocks: 0
; NumSGPRsForWavesPerEU: 6
; NumVGPRsForWavesPerEU: 1
; AccumOffset: 4
; Occupancy: 8
; WaveLimiterHint : 0
; COMPUTE_PGM_RSRC2:SCRATCH_EN: 0
; COMPUTE_PGM_RSRC2:USER_SGPR: 2
; COMPUTE_PGM_RSRC2:TRAP_HANDLER: 0
; COMPUTE_PGM_RSRC2:TGID_X_EN: 1
; COMPUTE_PGM_RSRC2:TGID_Y_EN: 0
; COMPUTE_PGM_RSRC2:TGID_Z_EN: 0
; COMPUTE_PGM_RSRC2:TIDIG_COMP_CNT: 0
; COMPUTE_PGM_RSRC3_GFX90A:ACCUM_OFFSET: 0
; COMPUTE_PGM_RSRC3_GFX90A:TG_SPLIT: 0
	.section	.text._ZN7rocprim17ROCPRIM_400000_NS6detail17trampoline_kernelINS0_14default_configENS1_25partition_config_selectorILNS1_17partition_subalgoE1EyNS0_10empty_typeEbEEZZNS1_14partition_implILS5_1ELb0ES3_jN6thrust23THRUST_200600_302600_NS6detail15normal_iteratorINSA_10device_ptrIyEEEEPS6_NSA_18transform_iteratorI7is_evenIyESF_NSA_11use_defaultESK_EENS0_5tupleIJNSA_16discard_iteratorISK_EESF_EEENSM_IJSG_SG_EEES6_PlJS6_EEE10hipError_tPvRmT3_T4_T5_T6_T7_T9_mT8_P12ihipStream_tbDpT10_ENKUlT_T0_E_clISt17integral_constantIbLb1EES1B_EEDaS16_S17_EUlS16_E_NS1_11comp_targetILNS1_3genE9ELNS1_11target_archE1100ELNS1_3gpuE3ELNS1_3repE0EEENS1_30default_config_static_selectorELNS0_4arch9wavefront6targetE1EEEvT1_,"axG",@progbits,_ZN7rocprim17ROCPRIM_400000_NS6detail17trampoline_kernelINS0_14default_configENS1_25partition_config_selectorILNS1_17partition_subalgoE1EyNS0_10empty_typeEbEEZZNS1_14partition_implILS5_1ELb0ES3_jN6thrust23THRUST_200600_302600_NS6detail15normal_iteratorINSA_10device_ptrIyEEEEPS6_NSA_18transform_iteratorI7is_evenIyESF_NSA_11use_defaultESK_EENS0_5tupleIJNSA_16discard_iteratorISK_EESF_EEENSM_IJSG_SG_EEES6_PlJS6_EEE10hipError_tPvRmT3_T4_T5_T6_T7_T9_mT8_P12ihipStream_tbDpT10_ENKUlT_T0_E_clISt17integral_constantIbLb1EES1B_EEDaS16_S17_EUlS16_E_NS1_11comp_targetILNS1_3genE9ELNS1_11target_archE1100ELNS1_3gpuE3ELNS1_3repE0EEENS1_30default_config_static_selectorELNS0_4arch9wavefront6targetE1EEEvT1_,comdat
	.protected	_ZN7rocprim17ROCPRIM_400000_NS6detail17trampoline_kernelINS0_14default_configENS1_25partition_config_selectorILNS1_17partition_subalgoE1EyNS0_10empty_typeEbEEZZNS1_14partition_implILS5_1ELb0ES3_jN6thrust23THRUST_200600_302600_NS6detail15normal_iteratorINSA_10device_ptrIyEEEEPS6_NSA_18transform_iteratorI7is_evenIyESF_NSA_11use_defaultESK_EENS0_5tupleIJNSA_16discard_iteratorISK_EESF_EEENSM_IJSG_SG_EEES6_PlJS6_EEE10hipError_tPvRmT3_T4_T5_T6_T7_T9_mT8_P12ihipStream_tbDpT10_ENKUlT_T0_E_clISt17integral_constantIbLb1EES1B_EEDaS16_S17_EUlS16_E_NS1_11comp_targetILNS1_3genE9ELNS1_11target_archE1100ELNS1_3gpuE3ELNS1_3repE0EEENS1_30default_config_static_selectorELNS0_4arch9wavefront6targetE1EEEvT1_ ; -- Begin function _ZN7rocprim17ROCPRIM_400000_NS6detail17trampoline_kernelINS0_14default_configENS1_25partition_config_selectorILNS1_17partition_subalgoE1EyNS0_10empty_typeEbEEZZNS1_14partition_implILS5_1ELb0ES3_jN6thrust23THRUST_200600_302600_NS6detail15normal_iteratorINSA_10device_ptrIyEEEEPS6_NSA_18transform_iteratorI7is_evenIyESF_NSA_11use_defaultESK_EENS0_5tupleIJNSA_16discard_iteratorISK_EESF_EEENSM_IJSG_SG_EEES6_PlJS6_EEE10hipError_tPvRmT3_T4_T5_T6_T7_T9_mT8_P12ihipStream_tbDpT10_ENKUlT_T0_E_clISt17integral_constantIbLb1EES1B_EEDaS16_S17_EUlS16_E_NS1_11comp_targetILNS1_3genE9ELNS1_11target_archE1100ELNS1_3gpuE3ELNS1_3repE0EEENS1_30default_config_static_selectorELNS0_4arch9wavefront6targetE1EEEvT1_
	.globl	_ZN7rocprim17ROCPRIM_400000_NS6detail17trampoline_kernelINS0_14default_configENS1_25partition_config_selectorILNS1_17partition_subalgoE1EyNS0_10empty_typeEbEEZZNS1_14partition_implILS5_1ELb0ES3_jN6thrust23THRUST_200600_302600_NS6detail15normal_iteratorINSA_10device_ptrIyEEEEPS6_NSA_18transform_iteratorI7is_evenIyESF_NSA_11use_defaultESK_EENS0_5tupleIJNSA_16discard_iteratorISK_EESF_EEENSM_IJSG_SG_EEES6_PlJS6_EEE10hipError_tPvRmT3_T4_T5_T6_T7_T9_mT8_P12ihipStream_tbDpT10_ENKUlT_T0_E_clISt17integral_constantIbLb1EES1B_EEDaS16_S17_EUlS16_E_NS1_11comp_targetILNS1_3genE9ELNS1_11target_archE1100ELNS1_3gpuE3ELNS1_3repE0EEENS1_30default_config_static_selectorELNS0_4arch9wavefront6targetE1EEEvT1_
	.p2align	8
	.type	_ZN7rocprim17ROCPRIM_400000_NS6detail17trampoline_kernelINS0_14default_configENS1_25partition_config_selectorILNS1_17partition_subalgoE1EyNS0_10empty_typeEbEEZZNS1_14partition_implILS5_1ELb0ES3_jN6thrust23THRUST_200600_302600_NS6detail15normal_iteratorINSA_10device_ptrIyEEEEPS6_NSA_18transform_iteratorI7is_evenIyESF_NSA_11use_defaultESK_EENS0_5tupleIJNSA_16discard_iteratorISK_EESF_EEENSM_IJSG_SG_EEES6_PlJS6_EEE10hipError_tPvRmT3_T4_T5_T6_T7_T9_mT8_P12ihipStream_tbDpT10_ENKUlT_T0_E_clISt17integral_constantIbLb1EES1B_EEDaS16_S17_EUlS16_E_NS1_11comp_targetILNS1_3genE9ELNS1_11target_archE1100ELNS1_3gpuE3ELNS1_3repE0EEENS1_30default_config_static_selectorELNS0_4arch9wavefront6targetE1EEEvT1_,@function
_ZN7rocprim17ROCPRIM_400000_NS6detail17trampoline_kernelINS0_14default_configENS1_25partition_config_selectorILNS1_17partition_subalgoE1EyNS0_10empty_typeEbEEZZNS1_14partition_implILS5_1ELb0ES3_jN6thrust23THRUST_200600_302600_NS6detail15normal_iteratorINSA_10device_ptrIyEEEEPS6_NSA_18transform_iteratorI7is_evenIyESF_NSA_11use_defaultESK_EENS0_5tupleIJNSA_16discard_iteratorISK_EESF_EEENSM_IJSG_SG_EEES6_PlJS6_EEE10hipError_tPvRmT3_T4_T5_T6_T7_T9_mT8_P12ihipStream_tbDpT10_ENKUlT_T0_E_clISt17integral_constantIbLb1EES1B_EEDaS16_S17_EUlS16_E_NS1_11comp_targetILNS1_3genE9ELNS1_11target_archE1100ELNS1_3gpuE3ELNS1_3repE0EEENS1_30default_config_static_selectorELNS0_4arch9wavefront6targetE1EEEvT1_: ; @_ZN7rocprim17ROCPRIM_400000_NS6detail17trampoline_kernelINS0_14default_configENS1_25partition_config_selectorILNS1_17partition_subalgoE1EyNS0_10empty_typeEbEEZZNS1_14partition_implILS5_1ELb0ES3_jN6thrust23THRUST_200600_302600_NS6detail15normal_iteratorINSA_10device_ptrIyEEEEPS6_NSA_18transform_iteratorI7is_evenIyESF_NSA_11use_defaultESK_EENS0_5tupleIJNSA_16discard_iteratorISK_EESF_EEENSM_IJSG_SG_EEES6_PlJS6_EEE10hipError_tPvRmT3_T4_T5_T6_T7_T9_mT8_P12ihipStream_tbDpT10_ENKUlT_T0_E_clISt17integral_constantIbLb1EES1B_EEDaS16_S17_EUlS16_E_NS1_11comp_targetILNS1_3genE9ELNS1_11target_archE1100ELNS1_3gpuE3ELNS1_3repE0EEENS1_30default_config_static_selectorELNS0_4arch9wavefront6targetE1EEEvT1_
; %bb.0:
	.section	.rodata,"a",@progbits
	.p2align	6, 0x0
	.amdhsa_kernel _ZN7rocprim17ROCPRIM_400000_NS6detail17trampoline_kernelINS0_14default_configENS1_25partition_config_selectorILNS1_17partition_subalgoE1EyNS0_10empty_typeEbEEZZNS1_14partition_implILS5_1ELb0ES3_jN6thrust23THRUST_200600_302600_NS6detail15normal_iteratorINSA_10device_ptrIyEEEEPS6_NSA_18transform_iteratorI7is_evenIyESF_NSA_11use_defaultESK_EENS0_5tupleIJNSA_16discard_iteratorISK_EESF_EEENSM_IJSG_SG_EEES6_PlJS6_EEE10hipError_tPvRmT3_T4_T5_T6_T7_T9_mT8_P12ihipStream_tbDpT10_ENKUlT_T0_E_clISt17integral_constantIbLb1EES1B_EEDaS16_S17_EUlS16_E_NS1_11comp_targetILNS1_3genE9ELNS1_11target_archE1100ELNS1_3gpuE3ELNS1_3repE0EEENS1_30default_config_static_selectorELNS0_4arch9wavefront6targetE1EEEvT1_
		.amdhsa_group_segment_fixed_size 0
		.amdhsa_private_segment_fixed_size 0
		.amdhsa_kernarg_size 152
		.amdhsa_user_sgpr_count 2
		.amdhsa_user_sgpr_dispatch_ptr 0
		.amdhsa_user_sgpr_queue_ptr 0
		.amdhsa_user_sgpr_kernarg_segment_ptr 1
		.amdhsa_user_sgpr_dispatch_id 0
		.amdhsa_user_sgpr_kernarg_preload_length 0
		.amdhsa_user_sgpr_kernarg_preload_offset 0
		.amdhsa_user_sgpr_private_segment_size 0
		.amdhsa_uses_dynamic_stack 0
		.amdhsa_enable_private_segment 0
		.amdhsa_system_sgpr_workgroup_id_x 1
		.amdhsa_system_sgpr_workgroup_id_y 0
		.amdhsa_system_sgpr_workgroup_id_z 0
		.amdhsa_system_sgpr_workgroup_info 0
		.amdhsa_system_vgpr_workitem_id 0
		.amdhsa_next_free_vgpr 1
		.amdhsa_next_free_sgpr 0
		.amdhsa_accum_offset 4
		.amdhsa_reserve_vcc 0
		.amdhsa_float_round_mode_32 0
		.amdhsa_float_round_mode_16_64 0
		.amdhsa_float_denorm_mode_32 3
		.amdhsa_float_denorm_mode_16_64 3
		.amdhsa_dx10_clamp 1
		.amdhsa_ieee_mode 1
		.amdhsa_fp16_overflow 0
		.amdhsa_tg_split 0
		.amdhsa_exception_fp_ieee_invalid_op 0
		.amdhsa_exception_fp_denorm_src 0
		.amdhsa_exception_fp_ieee_div_zero 0
		.amdhsa_exception_fp_ieee_overflow 0
		.amdhsa_exception_fp_ieee_underflow 0
		.amdhsa_exception_fp_ieee_inexact 0
		.amdhsa_exception_int_div_zero 0
	.end_amdhsa_kernel
	.section	.text._ZN7rocprim17ROCPRIM_400000_NS6detail17trampoline_kernelINS0_14default_configENS1_25partition_config_selectorILNS1_17partition_subalgoE1EyNS0_10empty_typeEbEEZZNS1_14partition_implILS5_1ELb0ES3_jN6thrust23THRUST_200600_302600_NS6detail15normal_iteratorINSA_10device_ptrIyEEEEPS6_NSA_18transform_iteratorI7is_evenIyESF_NSA_11use_defaultESK_EENS0_5tupleIJNSA_16discard_iteratorISK_EESF_EEENSM_IJSG_SG_EEES6_PlJS6_EEE10hipError_tPvRmT3_T4_T5_T6_T7_T9_mT8_P12ihipStream_tbDpT10_ENKUlT_T0_E_clISt17integral_constantIbLb1EES1B_EEDaS16_S17_EUlS16_E_NS1_11comp_targetILNS1_3genE9ELNS1_11target_archE1100ELNS1_3gpuE3ELNS1_3repE0EEENS1_30default_config_static_selectorELNS0_4arch9wavefront6targetE1EEEvT1_,"axG",@progbits,_ZN7rocprim17ROCPRIM_400000_NS6detail17trampoline_kernelINS0_14default_configENS1_25partition_config_selectorILNS1_17partition_subalgoE1EyNS0_10empty_typeEbEEZZNS1_14partition_implILS5_1ELb0ES3_jN6thrust23THRUST_200600_302600_NS6detail15normal_iteratorINSA_10device_ptrIyEEEEPS6_NSA_18transform_iteratorI7is_evenIyESF_NSA_11use_defaultESK_EENS0_5tupleIJNSA_16discard_iteratorISK_EESF_EEENSM_IJSG_SG_EEES6_PlJS6_EEE10hipError_tPvRmT3_T4_T5_T6_T7_T9_mT8_P12ihipStream_tbDpT10_ENKUlT_T0_E_clISt17integral_constantIbLb1EES1B_EEDaS16_S17_EUlS16_E_NS1_11comp_targetILNS1_3genE9ELNS1_11target_archE1100ELNS1_3gpuE3ELNS1_3repE0EEENS1_30default_config_static_selectorELNS0_4arch9wavefront6targetE1EEEvT1_,comdat
.Lfunc_end2953:
	.size	_ZN7rocprim17ROCPRIM_400000_NS6detail17trampoline_kernelINS0_14default_configENS1_25partition_config_selectorILNS1_17partition_subalgoE1EyNS0_10empty_typeEbEEZZNS1_14partition_implILS5_1ELb0ES3_jN6thrust23THRUST_200600_302600_NS6detail15normal_iteratorINSA_10device_ptrIyEEEEPS6_NSA_18transform_iteratorI7is_evenIyESF_NSA_11use_defaultESK_EENS0_5tupleIJNSA_16discard_iteratorISK_EESF_EEENSM_IJSG_SG_EEES6_PlJS6_EEE10hipError_tPvRmT3_T4_T5_T6_T7_T9_mT8_P12ihipStream_tbDpT10_ENKUlT_T0_E_clISt17integral_constantIbLb1EES1B_EEDaS16_S17_EUlS16_E_NS1_11comp_targetILNS1_3genE9ELNS1_11target_archE1100ELNS1_3gpuE3ELNS1_3repE0EEENS1_30default_config_static_selectorELNS0_4arch9wavefront6targetE1EEEvT1_, .Lfunc_end2953-_ZN7rocprim17ROCPRIM_400000_NS6detail17trampoline_kernelINS0_14default_configENS1_25partition_config_selectorILNS1_17partition_subalgoE1EyNS0_10empty_typeEbEEZZNS1_14partition_implILS5_1ELb0ES3_jN6thrust23THRUST_200600_302600_NS6detail15normal_iteratorINSA_10device_ptrIyEEEEPS6_NSA_18transform_iteratorI7is_evenIyESF_NSA_11use_defaultESK_EENS0_5tupleIJNSA_16discard_iteratorISK_EESF_EEENSM_IJSG_SG_EEES6_PlJS6_EEE10hipError_tPvRmT3_T4_T5_T6_T7_T9_mT8_P12ihipStream_tbDpT10_ENKUlT_T0_E_clISt17integral_constantIbLb1EES1B_EEDaS16_S17_EUlS16_E_NS1_11comp_targetILNS1_3genE9ELNS1_11target_archE1100ELNS1_3gpuE3ELNS1_3repE0EEENS1_30default_config_static_selectorELNS0_4arch9wavefront6targetE1EEEvT1_
                                        ; -- End function
	.section	.AMDGPU.csdata,"",@progbits
; Kernel info:
; codeLenInByte = 0
; NumSgprs: 6
; NumVgprs: 0
; NumAgprs: 0
; TotalNumVgprs: 0
; ScratchSize: 0
; MemoryBound: 0
; FloatMode: 240
; IeeeMode: 1
; LDSByteSize: 0 bytes/workgroup (compile time only)
; SGPRBlocks: 0
; VGPRBlocks: 0
; NumSGPRsForWavesPerEU: 6
; NumVGPRsForWavesPerEU: 1
; AccumOffset: 4
; Occupancy: 8
; WaveLimiterHint : 0
; COMPUTE_PGM_RSRC2:SCRATCH_EN: 0
; COMPUTE_PGM_RSRC2:USER_SGPR: 2
; COMPUTE_PGM_RSRC2:TRAP_HANDLER: 0
; COMPUTE_PGM_RSRC2:TGID_X_EN: 1
; COMPUTE_PGM_RSRC2:TGID_Y_EN: 0
; COMPUTE_PGM_RSRC2:TGID_Z_EN: 0
; COMPUTE_PGM_RSRC2:TIDIG_COMP_CNT: 0
; COMPUTE_PGM_RSRC3_GFX90A:ACCUM_OFFSET: 0
; COMPUTE_PGM_RSRC3_GFX90A:TG_SPLIT: 0
	.section	.text._ZN7rocprim17ROCPRIM_400000_NS6detail17trampoline_kernelINS0_14default_configENS1_25partition_config_selectorILNS1_17partition_subalgoE1EyNS0_10empty_typeEbEEZZNS1_14partition_implILS5_1ELb0ES3_jN6thrust23THRUST_200600_302600_NS6detail15normal_iteratorINSA_10device_ptrIyEEEEPS6_NSA_18transform_iteratorI7is_evenIyESF_NSA_11use_defaultESK_EENS0_5tupleIJNSA_16discard_iteratorISK_EESF_EEENSM_IJSG_SG_EEES6_PlJS6_EEE10hipError_tPvRmT3_T4_T5_T6_T7_T9_mT8_P12ihipStream_tbDpT10_ENKUlT_T0_E_clISt17integral_constantIbLb1EES1B_EEDaS16_S17_EUlS16_E_NS1_11comp_targetILNS1_3genE8ELNS1_11target_archE1030ELNS1_3gpuE2ELNS1_3repE0EEENS1_30default_config_static_selectorELNS0_4arch9wavefront6targetE1EEEvT1_,"axG",@progbits,_ZN7rocprim17ROCPRIM_400000_NS6detail17trampoline_kernelINS0_14default_configENS1_25partition_config_selectorILNS1_17partition_subalgoE1EyNS0_10empty_typeEbEEZZNS1_14partition_implILS5_1ELb0ES3_jN6thrust23THRUST_200600_302600_NS6detail15normal_iteratorINSA_10device_ptrIyEEEEPS6_NSA_18transform_iteratorI7is_evenIyESF_NSA_11use_defaultESK_EENS0_5tupleIJNSA_16discard_iteratorISK_EESF_EEENSM_IJSG_SG_EEES6_PlJS6_EEE10hipError_tPvRmT3_T4_T5_T6_T7_T9_mT8_P12ihipStream_tbDpT10_ENKUlT_T0_E_clISt17integral_constantIbLb1EES1B_EEDaS16_S17_EUlS16_E_NS1_11comp_targetILNS1_3genE8ELNS1_11target_archE1030ELNS1_3gpuE2ELNS1_3repE0EEENS1_30default_config_static_selectorELNS0_4arch9wavefront6targetE1EEEvT1_,comdat
	.protected	_ZN7rocprim17ROCPRIM_400000_NS6detail17trampoline_kernelINS0_14default_configENS1_25partition_config_selectorILNS1_17partition_subalgoE1EyNS0_10empty_typeEbEEZZNS1_14partition_implILS5_1ELb0ES3_jN6thrust23THRUST_200600_302600_NS6detail15normal_iteratorINSA_10device_ptrIyEEEEPS6_NSA_18transform_iteratorI7is_evenIyESF_NSA_11use_defaultESK_EENS0_5tupleIJNSA_16discard_iteratorISK_EESF_EEENSM_IJSG_SG_EEES6_PlJS6_EEE10hipError_tPvRmT3_T4_T5_T6_T7_T9_mT8_P12ihipStream_tbDpT10_ENKUlT_T0_E_clISt17integral_constantIbLb1EES1B_EEDaS16_S17_EUlS16_E_NS1_11comp_targetILNS1_3genE8ELNS1_11target_archE1030ELNS1_3gpuE2ELNS1_3repE0EEENS1_30default_config_static_selectorELNS0_4arch9wavefront6targetE1EEEvT1_ ; -- Begin function _ZN7rocprim17ROCPRIM_400000_NS6detail17trampoline_kernelINS0_14default_configENS1_25partition_config_selectorILNS1_17partition_subalgoE1EyNS0_10empty_typeEbEEZZNS1_14partition_implILS5_1ELb0ES3_jN6thrust23THRUST_200600_302600_NS6detail15normal_iteratorINSA_10device_ptrIyEEEEPS6_NSA_18transform_iteratorI7is_evenIyESF_NSA_11use_defaultESK_EENS0_5tupleIJNSA_16discard_iteratorISK_EESF_EEENSM_IJSG_SG_EEES6_PlJS6_EEE10hipError_tPvRmT3_T4_T5_T6_T7_T9_mT8_P12ihipStream_tbDpT10_ENKUlT_T0_E_clISt17integral_constantIbLb1EES1B_EEDaS16_S17_EUlS16_E_NS1_11comp_targetILNS1_3genE8ELNS1_11target_archE1030ELNS1_3gpuE2ELNS1_3repE0EEENS1_30default_config_static_selectorELNS0_4arch9wavefront6targetE1EEEvT1_
	.globl	_ZN7rocprim17ROCPRIM_400000_NS6detail17trampoline_kernelINS0_14default_configENS1_25partition_config_selectorILNS1_17partition_subalgoE1EyNS0_10empty_typeEbEEZZNS1_14partition_implILS5_1ELb0ES3_jN6thrust23THRUST_200600_302600_NS6detail15normal_iteratorINSA_10device_ptrIyEEEEPS6_NSA_18transform_iteratorI7is_evenIyESF_NSA_11use_defaultESK_EENS0_5tupleIJNSA_16discard_iteratorISK_EESF_EEENSM_IJSG_SG_EEES6_PlJS6_EEE10hipError_tPvRmT3_T4_T5_T6_T7_T9_mT8_P12ihipStream_tbDpT10_ENKUlT_T0_E_clISt17integral_constantIbLb1EES1B_EEDaS16_S17_EUlS16_E_NS1_11comp_targetILNS1_3genE8ELNS1_11target_archE1030ELNS1_3gpuE2ELNS1_3repE0EEENS1_30default_config_static_selectorELNS0_4arch9wavefront6targetE1EEEvT1_
	.p2align	8
	.type	_ZN7rocprim17ROCPRIM_400000_NS6detail17trampoline_kernelINS0_14default_configENS1_25partition_config_selectorILNS1_17partition_subalgoE1EyNS0_10empty_typeEbEEZZNS1_14partition_implILS5_1ELb0ES3_jN6thrust23THRUST_200600_302600_NS6detail15normal_iteratorINSA_10device_ptrIyEEEEPS6_NSA_18transform_iteratorI7is_evenIyESF_NSA_11use_defaultESK_EENS0_5tupleIJNSA_16discard_iteratorISK_EESF_EEENSM_IJSG_SG_EEES6_PlJS6_EEE10hipError_tPvRmT3_T4_T5_T6_T7_T9_mT8_P12ihipStream_tbDpT10_ENKUlT_T0_E_clISt17integral_constantIbLb1EES1B_EEDaS16_S17_EUlS16_E_NS1_11comp_targetILNS1_3genE8ELNS1_11target_archE1030ELNS1_3gpuE2ELNS1_3repE0EEENS1_30default_config_static_selectorELNS0_4arch9wavefront6targetE1EEEvT1_,@function
_ZN7rocprim17ROCPRIM_400000_NS6detail17trampoline_kernelINS0_14default_configENS1_25partition_config_selectorILNS1_17partition_subalgoE1EyNS0_10empty_typeEbEEZZNS1_14partition_implILS5_1ELb0ES3_jN6thrust23THRUST_200600_302600_NS6detail15normal_iteratorINSA_10device_ptrIyEEEEPS6_NSA_18transform_iteratorI7is_evenIyESF_NSA_11use_defaultESK_EENS0_5tupleIJNSA_16discard_iteratorISK_EESF_EEENSM_IJSG_SG_EEES6_PlJS6_EEE10hipError_tPvRmT3_T4_T5_T6_T7_T9_mT8_P12ihipStream_tbDpT10_ENKUlT_T0_E_clISt17integral_constantIbLb1EES1B_EEDaS16_S17_EUlS16_E_NS1_11comp_targetILNS1_3genE8ELNS1_11target_archE1030ELNS1_3gpuE2ELNS1_3repE0EEENS1_30default_config_static_selectorELNS0_4arch9wavefront6targetE1EEEvT1_: ; @_ZN7rocprim17ROCPRIM_400000_NS6detail17trampoline_kernelINS0_14default_configENS1_25partition_config_selectorILNS1_17partition_subalgoE1EyNS0_10empty_typeEbEEZZNS1_14partition_implILS5_1ELb0ES3_jN6thrust23THRUST_200600_302600_NS6detail15normal_iteratorINSA_10device_ptrIyEEEEPS6_NSA_18transform_iteratorI7is_evenIyESF_NSA_11use_defaultESK_EENS0_5tupleIJNSA_16discard_iteratorISK_EESF_EEENSM_IJSG_SG_EEES6_PlJS6_EEE10hipError_tPvRmT3_T4_T5_T6_T7_T9_mT8_P12ihipStream_tbDpT10_ENKUlT_T0_E_clISt17integral_constantIbLb1EES1B_EEDaS16_S17_EUlS16_E_NS1_11comp_targetILNS1_3genE8ELNS1_11target_archE1030ELNS1_3gpuE2ELNS1_3repE0EEENS1_30default_config_static_selectorELNS0_4arch9wavefront6targetE1EEEvT1_
; %bb.0:
	.section	.rodata,"a",@progbits
	.p2align	6, 0x0
	.amdhsa_kernel _ZN7rocprim17ROCPRIM_400000_NS6detail17trampoline_kernelINS0_14default_configENS1_25partition_config_selectorILNS1_17partition_subalgoE1EyNS0_10empty_typeEbEEZZNS1_14partition_implILS5_1ELb0ES3_jN6thrust23THRUST_200600_302600_NS6detail15normal_iteratorINSA_10device_ptrIyEEEEPS6_NSA_18transform_iteratorI7is_evenIyESF_NSA_11use_defaultESK_EENS0_5tupleIJNSA_16discard_iteratorISK_EESF_EEENSM_IJSG_SG_EEES6_PlJS6_EEE10hipError_tPvRmT3_T4_T5_T6_T7_T9_mT8_P12ihipStream_tbDpT10_ENKUlT_T0_E_clISt17integral_constantIbLb1EES1B_EEDaS16_S17_EUlS16_E_NS1_11comp_targetILNS1_3genE8ELNS1_11target_archE1030ELNS1_3gpuE2ELNS1_3repE0EEENS1_30default_config_static_selectorELNS0_4arch9wavefront6targetE1EEEvT1_
		.amdhsa_group_segment_fixed_size 0
		.amdhsa_private_segment_fixed_size 0
		.amdhsa_kernarg_size 152
		.amdhsa_user_sgpr_count 2
		.amdhsa_user_sgpr_dispatch_ptr 0
		.amdhsa_user_sgpr_queue_ptr 0
		.amdhsa_user_sgpr_kernarg_segment_ptr 1
		.amdhsa_user_sgpr_dispatch_id 0
		.amdhsa_user_sgpr_kernarg_preload_length 0
		.amdhsa_user_sgpr_kernarg_preload_offset 0
		.amdhsa_user_sgpr_private_segment_size 0
		.amdhsa_uses_dynamic_stack 0
		.amdhsa_enable_private_segment 0
		.amdhsa_system_sgpr_workgroup_id_x 1
		.amdhsa_system_sgpr_workgroup_id_y 0
		.amdhsa_system_sgpr_workgroup_id_z 0
		.amdhsa_system_sgpr_workgroup_info 0
		.amdhsa_system_vgpr_workitem_id 0
		.amdhsa_next_free_vgpr 1
		.amdhsa_next_free_sgpr 0
		.amdhsa_accum_offset 4
		.amdhsa_reserve_vcc 0
		.amdhsa_float_round_mode_32 0
		.amdhsa_float_round_mode_16_64 0
		.amdhsa_float_denorm_mode_32 3
		.amdhsa_float_denorm_mode_16_64 3
		.amdhsa_dx10_clamp 1
		.amdhsa_ieee_mode 1
		.amdhsa_fp16_overflow 0
		.amdhsa_tg_split 0
		.amdhsa_exception_fp_ieee_invalid_op 0
		.amdhsa_exception_fp_denorm_src 0
		.amdhsa_exception_fp_ieee_div_zero 0
		.amdhsa_exception_fp_ieee_overflow 0
		.amdhsa_exception_fp_ieee_underflow 0
		.amdhsa_exception_fp_ieee_inexact 0
		.amdhsa_exception_int_div_zero 0
	.end_amdhsa_kernel
	.section	.text._ZN7rocprim17ROCPRIM_400000_NS6detail17trampoline_kernelINS0_14default_configENS1_25partition_config_selectorILNS1_17partition_subalgoE1EyNS0_10empty_typeEbEEZZNS1_14partition_implILS5_1ELb0ES3_jN6thrust23THRUST_200600_302600_NS6detail15normal_iteratorINSA_10device_ptrIyEEEEPS6_NSA_18transform_iteratorI7is_evenIyESF_NSA_11use_defaultESK_EENS0_5tupleIJNSA_16discard_iteratorISK_EESF_EEENSM_IJSG_SG_EEES6_PlJS6_EEE10hipError_tPvRmT3_T4_T5_T6_T7_T9_mT8_P12ihipStream_tbDpT10_ENKUlT_T0_E_clISt17integral_constantIbLb1EES1B_EEDaS16_S17_EUlS16_E_NS1_11comp_targetILNS1_3genE8ELNS1_11target_archE1030ELNS1_3gpuE2ELNS1_3repE0EEENS1_30default_config_static_selectorELNS0_4arch9wavefront6targetE1EEEvT1_,"axG",@progbits,_ZN7rocprim17ROCPRIM_400000_NS6detail17trampoline_kernelINS0_14default_configENS1_25partition_config_selectorILNS1_17partition_subalgoE1EyNS0_10empty_typeEbEEZZNS1_14partition_implILS5_1ELb0ES3_jN6thrust23THRUST_200600_302600_NS6detail15normal_iteratorINSA_10device_ptrIyEEEEPS6_NSA_18transform_iteratorI7is_evenIyESF_NSA_11use_defaultESK_EENS0_5tupleIJNSA_16discard_iteratorISK_EESF_EEENSM_IJSG_SG_EEES6_PlJS6_EEE10hipError_tPvRmT3_T4_T5_T6_T7_T9_mT8_P12ihipStream_tbDpT10_ENKUlT_T0_E_clISt17integral_constantIbLb1EES1B_EEDaS16_S17_EUlS16_E_NS1_11comp_targetILNS1_3genE8ELNS1_11target_archE1030ELNS1_3gpuE2ELNS1_3repE0EEENS1_30default_config_static_selectorELNS0_4arch9wavefront6targetE1EEEvT1_,comdat
.Lfunc_end2954:
	.size	_ZN7rocprim17ROCPRIM_400000_NS6detail17trampoline_kernelINS0_14default_configENS1_25partition_config_selectorILNS1_17partition_subalgoE1EyNS0_10empty_typeEbEEZZNS1_14partition_implILS5_1ELb0ES3_jN6thrust23THRUST_200600_302600_NS6detail15normal_iteratorINSA_10device_ptrIyEEEEPS6_NSA_18transform_iteratorI7is_evenIyESF_NSA_11use_defaultESK_EENS0_5tupleIJNSA_16discard_iteratorISK_EESF_EEENSM_IJSG_SG_EEES6_PlJS6_EEE10hipError_tPvRmT3_T4_T5_T6_T7_T9_mT8_P12ihipStream_tbDpT10_ENKUlT_T0_E_clISt17integral_constantIbLb1EES1B_EEDaS16_S17_EUlS16_E_NS1_11comp_targetILNS1_3genE8ELNS1_11target_archE1030ELNS1_3gpuE2ELNS1_3repE0EEENS1_30default_config_static_selectorELNS0_4arch9wavefront6targetE1EEEvT1_, .Lfunc_end2954-_ZN7rocprim17ROCPRIM_400000_NS6detail17trampoline_kernelINS0_14default_configENS1_25partition_config_selectorILNS1_17partition_subalgoE1EyNS0_10empty_typeEbEEZZNS1_14partition_implILS5_1ELb0ES3_jN6thrust23THRUST_200600_302600_NS6detail15normal_iteratorINSA_10device_ptrIyEEEEPS6_NSA_18transform_iteratorI7is_evenIyESF_NSA_11use_defaultESK_EENS0_5tupleIJNSA_16discard_iteratorISK_EESF_EEENSM_IJSG_SG_EEES6_PlJS6_EEE10hipError_tPvRmT3_T4_T5_T6_T7_T9_mT8_P12ihipStream_tbDpT10_ENKUlT_T0_E_clISt17integral_constantIbLb1EES1B_EEDaS16_S17_EUlS16_E_NS1_11comp_targetILNS1_3genE8ELNS1_11target_archE1030ELNS1_3gpuE2ELNS1_3repE0EEENS1_30default_config_static_selectorELNS0_4arch9wavefront6targetE1EEEvT1_
                                        ; -- End function
	.section	.AMDGPU.csdata,"",@progbits
; Kernel info:
; codeLenInByte = 0
; NumSgprs: 6
; NumVgprs: 0
; NumAgprs: 0
; TotalNumVgprs: 0
; ScratchSize: 0
; MemoryBound: 0
; FloatMode: 240
; IeeeMode: 1
; LDSByteSize: 0 bytes/workgroup (compile time only)
; SGPRBlocks: 0
; VGPRBlocks: 0
; NumSGPRsForWavesPerEU: 6
; NumVGPRsForWavesPerEU: 1
; AccumOffset: 4
; Occupancy: 8
; WaveLimiterHint : 0
; COMPUTE_PGM_RSRC2:SCRATCH_EN: 0
; COMPUTE_PGM_RSRC2:USER_SGPR: 2
; COMPUTE_PGM_RSRC2:TRAP_HANDLER: 0
; COMPUTE_PGM_RSRC2:TGID_X_EN: 1
; COMPUTE_PGM_RSRC2:TGID_Y_EN: 0
; COMPUTE_PGM_RSRC2:TGID_Z_EN: 0
; COMPUTE_PGM_RSRC2:TIDIG_COMP_CNT: 0
; COMPUTE_PGM_RSRC3_GFX90A:ACCUM_OFFSET: 0
; COMPUTE_PGM_RSRC3_GFX90A:TG_SPLIT: 0
	.section	.text._ZN7rocprim17ROCPRIM_400000_NS6detail17trampoline_kernelINS0_14default_configENS1_25partition_config_selectorILNS1_17partition_subalgoE1EyNS0_10empty_typeEbEEZZNS1_14partition_implILS5_1ELb0ES3_jN6thrust23THRUST_200600_302600_NS6detail15normal_iteratorINSA_10device_ptrIyEEEEPS6_NSA_18transform_iteratorI7is_evenIyESF_NSA_11use_defaultESK_EENS0_5tupleIJNSA_16discard_iteratorISK_EESF_EEENSM_IJSG_SG_EEES6_PlJS6_EEE10hipError_tPvRmT3_T4_T5_T6_T7_T9_mT8_P12ihipStream_tbDpT10_ENKUlT_T0_E_clISt17integral_constantIbLb1EES1A_IbLb0EEEEDaS16_S17_EUlS16_E_NS1_11comp_targetILNS1_3genE0ELNS1_11target_archE4294967295ELNS1_3gpuE0ELNS1_3repE0EEENS1_30default_config_static_selectorELNS0_4arch9wavefront6targetE1EEEvT1_,"axG",@progbits,_ZN7rocprim17ROCPRIM_400000_NS6detail17trampoline_kernelINS0_14default_configENS1_25partition_config_selectorILNS1_17partition_subalgoE1EyNS0_10empty_typeEbEEZZNS1_14partition_implILS5_1ELb0ES3_jN6thrust23THRUST_200600_302600_NS6detail15normal_iteratorINSA_10device_ptrIyEEEEPS6_NSA_18transform_iteratorI7is_evenIyESF_NSA_11use_defaultESK_EENS0_5tupleIJNSA_16discard_iteratorISK_EESF_EEENSM_IJSG_SG_EEES6_PlJS6_EEE10hipError_tPvRmT3_T4_T5_T6_T7_T9_mT8_P12ihipStream_tbDpT10_ENKUlT_T0_E_clISt17integral_constantIbLb1EES1A_IbLb0EEEEDaS16_S17_EUlS16_E_NS1_11comp_targetILNS1_3genE0ELNS1_11target_archE4294967295ELNS1_3gpuE0ELNS1_3repE0EEENS1_30default_config_static_selectorELNS0_4arch9wavefront6targetE1EEEvT1_,comdat
	.protected	_ZN7rocprim17ROCPRIM_400000_NS6detail17trampoline_kernelINS0_14default_configENS1_25partition_config_selectorILNS1_17partition_subalgoE1EyNS0_10empty_typeEbEEZZNS1_14partition_implILS5_1ELb0ES3_jN6thrust23THRUST_200600_302600_NS6detail15normal_iteratorINSA_10device_ptrIyEEEEPS6_NSA_18transform_iteratorI7is_evenIyESF_NSA_11use_defaultESK_EENS0_5tupleIJNSA_16discard_iteratorISK_EESF_EEENSM_IJSG_SG_EEES6_PlJS6_EEE10hipError_tPvRmT3_T4_T5_T6_T7_T9_mT8_P12ihipStream_tbDpT10_ENKUlT_T0_E_clISt17integral_constantIbLb1EES1A_IbLb0EEEEDaS16_S17_EUlS16_E_NS1_11comp_targetILNS1_3genE0ELNS1_11target_archE4294967295ELNS1_3gpuE0ELNS1_3repE0EEENS1_30default_config_static_selectorELNS0_4arch9wavefront6targetE1EEEvT1_ ; -- Begin function _ZN7rocprim17ROCPRIM_400000_NS6detail17trampoline_kernelINS0_14default_configENS1_25partition_config_selectorILNS1_17partition_subalgoE1EyNS0_10empty_typeEbEEZZNS1_14partition_implILS5_1ELb0ES3_jN6thrust23THRUST_200600_302600_NS6detail15normal_iteratorINSA_10device_ptrIyEEEEPS6_NSA_18transform_iteratorI7is_evenIyESF_NSA_11use_defaultESK_EENS0_5tupleIJNSA_16discard_iteratorISK_EESF_EEENSM_IJSG_SG_EEES6_PlJS6_EEE10hipError_tPvRmT3_T4_T5_T6_T7_T9_mT8_P12ihipStream_tbDpT10_ENKUlT_T0_E_clISt17integral_constantIbLb1EES1A_IbLb0EEEEDaS16_S17_EUlS16_E_NS1_11comp_targetILNS1_3genE0ELNS1_11target_archE4294967295ELNS1_3gpuE0ELNS1_3repE0EEENS1_30default_config_static_selectorELNS0_4arch9wavefront6targetE1EEEvT1_
	.globl	_ZN7rocprim17ROCPRIM_400000_NS6detail17trampoline_kernelINS0_14default_configENS1_25partition_config_selectorILNS1_17partition_subalgoE1EyNS0_10empty_typeEbEEZZNS1_14partition_implILS5_1ELb0ES3_jN6thrust23THRUST_200600_302600_NS6detail15normal_iteratorINSA_10device_ptrIyEEEEPS6_NSA_18transform_iteratorI7is_evenIyESF_NSA_11use_defaultESK_EENS0_5tupleIJNSA_16discard_iteratorISK_EESF_EEENSM_IJSG_SG_EEES6_PlJS6_EEE10hipError_tPvRmT3_T4_T5_T6_T7_T9_mT8_P12ihipStream_tbDpT10_ENKUlT_T0_E_clISt17integral_constantIbLb1EES1A_IbLb0EEEEDaS16_S17_EUlS16_E_NS1_11comp_targetILNS1_3genE0ELNS1_11target_archE4294967295ELNS1_3gpuE0ELNS1_3repE0EEENS1_30default_config_static_selectorELNS0_4arch9wavefront6targetE1EEEvT1_
	.p2align	8
	.type	_ZN7rocprim17ROCPRIM_400000_NS6detail17trampoline_kernelINS0_14default_configENS1_25partition_config_selectorILNS1_17partition_subalgoE1EyNS0_10empty_typeEbEEZZNS1_14partition_implILS5_1ELb0ES3_jN6thrust23THRUST_200600_302600_NS6detail15normal_iteratorINSA_10device_ptrIyEEEEPS6_NSA_18transform_iteratorI7is_evenIyESF_NSA_11use_defaultESK_EENS0_5tupleIJNSA_16discard_iteratorISK_EESF_EEENSM_IJSG_SG_EEES6_PlJS6_EEE10hipError_tPvRmT3_T4_T5_T6_T7_T9_mT8_P12ihipStream_tbDpT10_ENKUlT_T0_E_clISt17integral_constantIbLb1EES1A_IbLb0EEEEDaS16_S17_EUlS16_E_NS1_11comp_targetILNS1_3genE0ELNS1_11target_archE4294967295ELNS1_3gpuE0ELNS1_3repE0EEENS1_30default_config_static_selectorELNS0_4arch9wavefront6targetE1EEEvT1_,@function
_ZN7rocprim17ROCPRIM_400000_NS6detail17trampoline_kernelINS0_14default_configENS1_25partition_config_selectorILNS1_17partition_subalgoE1EyNS0_10empty_typeEbEEZZNS1_14partition_implILS5_1ELb0ES3_jN6thrust23THRUST_200600_302600_NS6detail15normal_iteratorINSA_10device_ptrIyEEEEPS6_NSA_18transform_iteratorI7is_evenIyESF_NSA_11use_defaultESK_EENS0_5tupleIJNSA_16discard_iteratorISK_EESF_EEENSM_IJSG_SG_EEES6_PlJS6_EEE10hipError_tPvRmT3_T4_T5_T6_T7_T9_mT8_P12ihipStream_tbDpT10_ENKUlT_T0_E_clISt17integral_constantIbLb1EES1A_IbLb0EEEEDaS16_S17_EUlS16_E_NS1_11comp_targetILNS1_3genE0ELNS1_11target_archE4294967295ELNS1_3gpuE0ELNS1_3repE0EEENS1_30default_config_static_selectorELNS0_4arch9wavefront6targetE1EEEvT1_: ; @_ZN7rocprim17ROCPRIM_400000_NS6detail17trampoline_kernelINS0_14default_configENS1_25partition_config_selectorILNS1_17partition_subalgoE1EyNS0_10empty_typeEbEEZZNS1_14partition_implILS5_1ELb0ES3_jN6thrust23THRUST_200600_302600_NS6detail15normal_iteratorINSA_10device_ptrIyEEEEPS6_NSA_18transform_iteratorI7is_evenIyESF_NSA_11use_defaultESK_EENS0_5tupleIJNSA_16discard_iteratorISK_EESF_EEENSM_IJSG_SG_EEES6_PlJS6_EEE10hipError_tPvRmT3_T4_T5_T6_T7_T9_mT8_P12ihipStream_tbDpT10_ENKUlT_T0_E_clISt17integral_constantIbLb1EES1A_IbLb0EEEEDaS16_S17_EUlS16_E_NS1_11comp_targetILNS1_3genE0ELNS1_11target_archE4294967295ELNS1_3gpuE0ELNS1_3repE0EEENS1_30default_config_static_selectorELNS0_4arch9wavefront6targetE1EEEvT1_
; %bb.0:
	.section	.rodata,"a",@progbits
	.p2align	6, 0x0
	.amdhsa_kernel _ZN7rocprim17ROCPRIM_400000_NS6detail17trampoline_kernelINS0_14default_configENS1_25partition_config_selectorILNS1_17partition_subalgoE1EyNS0_10empty_typeEbEEZZNS1_14partition_implILS5_1ELb0ES3_jN6thrust23THRUST_200600_302600_NS6detail15normal_iteratorINSA_10device_ptrIyEEEEPS6_NSA_18transform_iteratorI7is_evenIyESF_NSA_11use_defaultESK_EENS0_5tupleIJNSA_16discard_iteratorISK_EESF_EEENSM_IJSG_SG_EEES6_PlJS6_EEE10hipError_tPvRmT3_T4_T5_T6_T7_T9_mT8_P12ihipStream_tbDpT10_ENKUlT_T0_E_clISt17integral_constantIbLb1EES1A_IbLb0EEEEDaS16_S17_EUlS16_E_NS1_11comp_targetILNS1_3genE0ELNS1_11target_archE4294967295ELNS1_3gpuE0ELNS1_3repE0EEENS1_30default_config_static_selectorELNS0_4arch9wavefront6targetE1EEEvT1_
		.amdhsa_group_segment_fixed_size 0
		.amdhsa_private_segment_fixed_size 0
		.amdhsa_kernarg_size 136
		.amdhsa_user_sgpr_count 2
		.amdhsa_user_sgpr_dispatch_ptr 0
		.amdhsa_user_sgpr_queue_ptr 0
		.amdhsa_user_sgpr_kernarg_segment_ptr 1
		.amdhsa_user_sgpr_dispatch_id 0
		.amdhsa_user_sgpr_kernarg_preload_length 0
		.amdhsa_user_sgpr_kernarg_preload_offset 0
		.amdhsa_user_sgpr_private_segment_size 0
		.amdhsa_uses_dynamic_stack 0
		.amdhsa_enable_private_segment 0
		.amdhsa_system_sgpr_workgroup_id_x 1
		.amdhsa_system_sgpr_workgroup_id_y 0
		.amdhsa_system_sgpr_workgroup_id_z 0
		.amdhsa_system_sgpr_workgroup_info 0
		.amdhsa_system_vgpr_workitem_id 0
		.amdhsa_next_free_vgpr 1
		.amdhsa_next_free_sgpr 0
		.amdhsa_accum_offset 4
		.amdhsa_reserve_vcc 0
		.amdhsa_float_round_mode_32 0
		.amdhsa_float_round_mode_16_64 0
		.amdhsa_float_denorm_mode_32 3
		.amdhsa_float_denorm_mode_16_64 3
		.amdhsa_dx10_clamp 1
		.amdhsa_ieee_mode 1
		.amdhsa_fp16_overflow 0
		.amdhsa_tg_split 0
		.amdhsa_exception_fp_ieee_invalid_op 0
		.amdhsa_exception_fp_denorm_src 0
		.amdhsa_exception_fp_ieee_div_zero 0
		.amdhsa_exception_fp_ieee_overflow 0
		.amdhsa_exception_fp_ieee_underflow 0
		.amdhsa_exception_fp_ieee_inexact 0
		.amdhsa_exception_int_div_zero 0
	.end_amdhsa_kernel
	.section	.text._ZN7rocprim17ROCPRIM_400000_NS6detail17trampoline_kernelINS0_14default_configENS1_25partition_config_selectorILNS1_17partition_subalgoE1EyNS0_10empty_typeEbEEZZNS1_14partition_implILS5_1ELb0ES3_jN6thrust23THRUST_200600_302600_NS6detail15normal_iteratorINSA_10device_ptrIyEEEEPS6_NSA_18transform_iteratorI7is_evenIyESF_NSA_11use_defaultESK_EENS0_5tupleIJNSA_16discard_iteratorISK_EESF_EEENSM_IJSG_SG_EEES6_PlJS6_EEE10hipError_tPvRmT3_T4_T5_T6_T7_T9_mT8_P12ihipStream_tbDpT10_ENKUlT_T0_E_clISt17integral_constantIbLb1EES1A_IbLb0EEEEDaS16_S17_EUlS16_E_NS1_11comp_targetILNS1_3genE0ELNS1_11target_archE4294967295ELNS1_3gpuE0ELNS1_3repE0EEENS1_30default_config_static_selectorELNS0_4arch9wavefront6targetE1EEEvT1_,"axG",@progbits,_ZN7rocprim17ROCPRIM_400000_NS6detail17trampoline_kernelINS0_14default_configENS1_25partition_config_selectorILNS1_17partition_subalgoE1EyNS0_10empty_typeEbEEZZNS1_14partition_implILS5_1ELb0ES3_jN6thrust23THRUST_200600_302600_NS6detail15normal_iteratorINSA_10device_ptrIyEEEEPS6_NSA_18transform_iteratorI7is_evenIyESF_NSA_11use_defaultESK_EENS0_5tupleIJNSA_16discard_iteratorISK_EESF_EEENSM_IJSG_SG_EEES6_PlJS6_EEE10hipError_tPvRmT3_T4_T5_T6_T7_T9_mT8_P12ihipStream_tbDpT10_ENKUlT_T0_E_clISt17integral_constantIbLb1EES1A_IbLb0EEEEDaS16_S17_EUlS16_E_NS1_11comp_targetILNS1_3genE0ELNS1_11target_archE4294967295ELNS1_3gpuE0ELNS1_3repE0EEENS1_30default_config_static_selectorELNS0_4arch9wavefront6targetE1EEEvT1_,comdat
.Lfunc_end2955:
	.size	_ZN7rocprim17ROCPRIM_400000_NS6detail17trampoline_kernelINS0_14default_configENS1_25partition_config_selectorILNS1_17partition_subalgoE1EyNS0_10empty_typeEbEEZZNS1_14partition_implILS5_1ELb0ES3_jN6thrust23THRUST_200600_302600_NS6detail15normal_iteratorINSA_10device_ptrIyEEEEPS6_NSA_18transform_iteratorI7is_evenIyESF_NSA_11use_defaultESK_EENS0_5tupleIJNSA_16discard_iteratorISK_EESF_EEENSM_IJSG_SG_EEES6_PlJS6_EEE10hipError_tPvRmT3_T4_T5_T6_T7_T9_mT8_P12ihipStream_tbDpT10_ENKUlT_T0_E_clISt17integral_constantIbLb1EES1A_IbLb0EEEEDaS16_S17_EUlS16_E_NS1_11comp_targetILNS1_3genE0ELNS1_11target_archE4294967295ELNS1_3gpuE0ELNS1_3repE0EEENS1_30default_config_static_selectorELNS0_4arch9wavefront6targetE1EEEvT1_, .Lfunc_end2955-_ZN7rocprim17ROCPRIM_400000_NS6detail17trampoline_kernelINS0_14default_configENS1_25partition_config_selectorILNS1_17partition_subalgoE1EyNS0_10empty_typeEbEEZZNS1_14partition_implILS5_1ELb0ES3_jN6thrust23THRUST_200600_302600_NS6detail15normal_iteratorINSA_10device_ptrIyEEEEPS6_NSA_18transform_iteratorI7is_evenIyESF_NSA_11use_defaultESK_EENS0_5tupleIJNSA_16discard_iteratorISK_EESF_EEENSM_IJSG_SG_EEES6_PlJS6_EEE10hipError_tPvRmT3_T4_T5_T6_T7_T9_mT8_P12ihipStream_tbDpT10_ENKUlT_T0_E_clISt17integral_constantIbLb1EES1A_IbLb0EEEEDaS16_S17_EUlS16_E_NS1_11comp_targetILNS1_3genE0ELNS1_11target_archE4294967295ELNS1_3gpuE0ELNS1_3repE0EEENS1_30default_config_static_selectorELNS0_4arch9wavefront6targetE1EEEvT1_
                                        ; -- End function
	.section	.AMDGPU.csdata,"",@progbits
; Kernel info:
; codeLenInByte = 0
; NumSgprs: 6
; NumVgprs: 0
; NumAgprs: 0
; TotalNumVgprs: 0
; ScratchSize: 0
; MemoryBound: 0
; FloatMode: 240
; IeeeMode: 1
; LDSByteSize: 0 bytes/workgroup (compile time only)
; SGPRBlocks: 0
; VGPRBlocks: 0
; NumSGPRsForWavesPerEU: 6
; NumVGPRsForWavesPerEU: 1
; AccumOffset: 4
; Occupancy: 8
; WaveLimiterHint : 0
; COMPUTE_PGM_RSRC2:SCRATCH_EN: 0
; COMPUTE_PGM_RSRC2:USER_SGPR: 2
; COMPUTE_PGM_RSRC2:TRAP_HANDLER: 0
; COMPUTE_PGM_RSRC2:TGID_X_EN: 1
; COMPUTE_PGM_RSRC2:TGID_Y_EN: 0
; COMPUTE_PGM_RSRC2:TGID_Z_EN: 0
; COMPUTE_PGM_RSRC2:TIDIG_COMP_CNT: 0
; COMPUTE_PGM_RSRC3_GFX90A:ACCUM_OFFSET: 0
; COMPUTE_PGM_RSRC3_GFX90A:TG_SPLIT: 0
	.section	.text._ZN7rocprim17ROCPRIM_400000_NS6detail17trampoline_kernelINS0_14default_configENS1_25partition_config_selectorILNS1_17partition_subalgoE1EyNS0_10empty_typeEbEEZZNS1_14partition_implILS5_1ELb0ES3_jN6thrust23THRUST_200600_302600_NS6detail15normal_iteratorINSA_10device_ptrIyEEEEPS6_NSA_18transform_iteratorI7is_evenIyESF_NSA_11use_defaultESK_EENS0_5tupleIJNSA_16discard_iteratorISK_EESF_EEENSM_IJSG_SG_EEES6_PlJS6_EEE10hipError_tPvRmT3_T4_T5_T6_T7_T9_mT8_P12ihipStream_tbDpT10_ENKUlT_T0_E_clISt17integral_constantIbLb1EES1A_IbLb0EEEEDaS16_S17_EUlS16_E_NS1_11comp_targetILNS1_3genE5ELNS1_11target_archE942ELNS1_3gpuE9ELNS1_3repE0EEENS1_30default_config_static_selectorELNS0_4arch9wavefront6targetE1EEEvT1_,"axG",@progbits,_ZN7rocprim17ROCPRIM_400000_NS6detail17trampoline_kernelINS0_14default_configENS1_25partition_config_selectorILNS1_17partition_subalgoE1EyNS0_10empty_typeEbEEZZNS1_14partition_implILS5_1ELb0ES3_jN6thrust23THRUST_200600_302600_NS6detail15normal_iteratorINSA_10device_ptrIyEEEEPS6_NSA_18transform_iteratorI7is_evenIyESF_NSA_11use_defaultESK_EENS0_5tupleIJNSA_16discard_iteratorISK_EESF_EEENSM_IJSG_SG_EEES6_PlJS6_EEE10hipError_tPvRmT3_T4_T5_T6_T7_T9_mT8_P12ihipStream_tbDpT10_ENKUlT_T0_E_clISt17integral_constantIbLb1EES1A_IbLb0EEEEDaS16_S17_EUlS16_E_NS1_11comp_targetILNS1_3genE5ELNS1_11target_archE942ELNS1_3gpuE9ELNS1_3repE0EEENS1_30default_config_static_selectorELNS0_4arch9wavefront6targetE1EEEvT1_,comdat
	.protected	_ZN7rocprim17ROCPRIM_400000_NS6detail17trampoline_kernelINS0_14default_configENS1_25partition_config_selectorILNS1_17partition_subalgoE1EyNS0_10empty_typeEbEEZZNS1_14partition_implILS5_1ELb0ES3_jN6thrust23THRUST_200600_302600_NS6detail15normal_iteratorINSA_10device_ptrIyEEEEPS6_NSA_18transform_iteratorI7is_evenIyESF_NSA_11use_defaultESK_EENS0_5tupleIJNSA_16discard_iteratorISK_EESF_EEENSM_IJSG_SG_EEES6_PlJS6_EEE10hipError_tPvRmT3_T4_T5_T6_T7_T9_mT8_P12ihipStream_tbDpT10_ENKUlT_T0_E_clISt17integral_constantIbLb1EES1A_IbLb0EEEEDaS16_S17_EUlS16_E_NS1_11comp_targetILNS1_3genE5ELNS1_11target_archE942ELNS1_3gpuE9ELNS1_3repE0EEENS1_30default_config_static_selectorELNS0_4arch9wavefront6targetE1EEEvT1_ ; -- Begin function _ZN7rocprim17ROCPRIM_400000_NS6detail17trampoline_kernelINS0_14default_configENS1_25partition_config_selectorILNS1_17partition_subalgoE1EyNS0_10empty_typeEbEEZZNS1_14partition_implILS5_1ELb0ES3_jN6thrust23THRUST_200600_302600_NS6detail15normal_iteratorINSA_10device_ptrIyEEEEPS6_NSA_18transform_iteratorI7is_evenIyESF_NSA_11use_defaultESK_EENS0_5tupleIJNSA_16discard_iteratorISK_EESF_EEENSM_IJSG_SG_EEES6_PlJS6_EEE10hipError_tPvRmT3_T4_T5_T6_T7_T9_mT8_P12ihipStream_tbDpT10_ENKUlT_T0_E_clISt17integral_constantIbLb1EES1A_IbLb0EEEEDaS16_S17_EUlS16_E_NS1_11comp_targetILNS1_3genE5ELNS1_11target_archE942ELNS1_3gpuE9ELNS1_3repE0EEENS1_30default_config_static_selectorELNS0_4arch9wavefront6targetE1EEEvT1_
	.globl	_ZN7rocprim17ROCPRIM_400000_NS6detail17trampoline_kernelINS0_14default_configENS1_25partition_config_selectorILNS1_17partition_subalgoE1EyNS0_10empty_typeEbEEZZNS1_14partition_implILS5_1ELb0ES3_jN6thrust23THRUST_200600_302600_NS6detail15normal_iteratorINSA_10device_ptrIyEEEEPS6_NSA_18transform_iteratorI7is_evenIyESF_NSA_11use_defaultESK_EENS0_5tupleIJNSA_16discard_iteratorISK_EESF_EEENSM_IJSG_SG_EEES6_PlJS6_EEE10hipError_tPvRmT3_T4_T5_T6_T7_T9_mT8_P12ihipStream_tbDpT10_ENKUlT_T0_E_clISt17integral_constantIbLb1EES1A_IbLb0EEEEDaS16_S17_EUlS16_E_NS1_11comp_targetILNS1_3genE5ELNS1_11target_archE942ELNS1_3gpuE9ELNS1_3repE0EEENS1_30default_config_static_selectorELNS0_4arch9wavefront6targetE1EEEvT1_
	.p2align	8
	.type	_ZN7rocprim17ROCPRIM_400000_NS6detail17trampoline_kernelINS0_14default_configENS1_25partition_config_selectorILNS1_17partition_subalgoE1EyNS0_10empty_typeEbEEZZNS1_14partition_implILS5_1ELb0ES3_jN6thrust23THRUST_200600_302600_NS6detail15normal_iteratorINSA_10device_ptrIyEEEEPS6_NSA_18transform_iteratorI7is_evenIyESF_NSA_11use_defaultESK_EENS0_5tupleIJNSA_16discard_iteratorISK_EESF_EEENSM_IJSG_SG_EEES6_PlJS6_EEE10hipError_tPvRmT3_T4_T5_T6_T7_T9_mT8_P12ihipStream_tbDpT10_ENKUlT_T0_E_clISt17integral_constantIbLb1EES1A_IbLb0EEEEDaS16_S17_EUlS16_E_NS1_11comp_targetILNS1_3genE5ELNS1_11target_archE942ELNS1_3gpuE9ELNS1_3repE0EEENS1_30default_config_static_selectorELNS0_4arch9wavefront6targetE1EEEvT1_,@function
_ZN7rocprim17ROCPRIM_400000_NS6detail17trampoline_kernelINS0_14default_configENS1_25partition_config_selectorILNS1_17partition_subalgoE1EyNS0_10empty_typeEbEEZZNS1_14partition_implILS5_1ELb0ES3_jN6thrust23THRUST_200600_302600_NS6detail15normal_iteratorINSA_10device_ptrIyEEEEPS6_NSA_18transform_iteratorI7is_evenIyESF_NSA_11use_defaultESK_EENS0_5tupleIJNSA_16discard_iteratorISK_EESF_EEENSM_IJSG_SG_EEES6_PlJS6_EEE10hipError_tPvRmT3_T4_T5_T6_T7_T9_mT8_P12ihipStream_tbDpT10_ENKUlT_T0_E_clISt17integral_constantIbLb1EES1A_IbLb0EEEEDaS16_S17_EUlS16_E_NS1_11comp_targetILNS1_3genE5ELNS1_11target_archE942ELNS1_3gpuE9ELNS1_3repE0EEENS1_30default_config_static_selectorELNS0_4arch9wavefront6targetE1EEEvT1_: ; @_ZN7rocprim17ROCPRIM_400000_NS6detail17trampoline_kernelINS0_14default_configENS1_25partition_config_selectorILNS1_17partition_subalgoE1EyNS0_10empty_typeEbEEZZNS1_14partition_implILS5_1ELb0ES3_jN6thrust23THRUST_200600_302600_NS6detail15normal_iteratorINSA_10device_ptrIyEEEEPS6_NSA_18transform_iteratorI7is_evenIyESF_NSA_11use_defaultESK_EENS0_5tupleIJNSA_16discard_iteratorISK_EESF_EEENSM_IJSG_SG_EEES6_PlJS6_EEE10hipError_tPvRmT3_T4_T5_T6_T7_T9_mT8_P12ihipStream_tbDpT10_ENKUlT_T0_E_clISt17integral_constantIbLb1EES1A_IbLb0EEEEDaS16_S17_EUlS16_E_NS1_11comp_targetILNS1_3genE5ELNS1_11target_archE942ELNS1_3gpuE9ELNS1_3repE0EEENS1_30default_config_static_selectorELNS0_4arch9wavefront6targetE1EEEvT1_
; %bb.0:
	s_load_dwordx2 s[4:5], s[0:1], 0x68
	s_load_dwordx4 s[24:27], s[0:1], 0x8
	s_load_dwordx2 s[6:7], s[0:1], 0x20
	s_load_dwordx4 s[20:23], s[0:1], 0x58
	s_load_dword s3, s[0:1], 0x80
	s_waitcnt lgkmcnt(0)
	v_mov_b32_e32 v3, s5
	s_lshl_b64 s[8:9], s[26:27], 3
	s_add_u32 s12, s24, s8
	s_addc_u32 s13, s25, s9
	s_add_i32 s14, s3, -1
	s_mulk_i32 s3, 0xe00
	s_add_i32 s5, s3, s26
	s_sub_i32 s33, s4, s5
	s_addk_i32 s33, 0xe00
	v_mov_b32_e32 v2, s4
	s_add_u32 s4, s26, s3
	s_addc_u32 s5, s27, 0
	s_cmp_eq_u32 s2, s14
	s_load_dwordx2 s[24:25], s[22:23], 0x0
	s_cselect_b64 s[22:23], -1, 0
	s_cmp_lg_u32 s2, s14
	s_mul_i32 s10, s2, 0xe00
	s_mov_b32 s11, 0
	v_cmp_lt_u64_e32 vcc, s[4:5], v[2:3]
	s_cselect_b64 s[4:5], -1, 0
	s_or_b64 s[28:29], s[4:5], vcc
	s_lshl_b64 s[30:31], s[10:11], 3
	s_add_u32 s10, s12, s30
	s_addc_u32 s11, s13, s31
	s_mov_b64 s[4:5], -1
	s_and_b64 vcc, exec, s[28:29]
	v_lshlrev_b32_e32 v18, 3, v0
	s_cbranch_vccz .LBB2956_2
; %bb.1:
	v_mov_b32_e32 v19, 0
	v_lshl_add_u64 v[2:3], s[10:11], 0, v[18:19]
	v_add_co_u32_e32 v4, vcc, 0x1000, v2
	s_mov_b64 s[4:5], 0
	s_nop 0
	v_addc_co_u32_e32 v5, vcc, 0, v3, vcc
	v_add_co_u32_e32 v6, vcc, 0x2000, v2
	s_nop 1
	v_addc_co_u32_e32 v7, vcc, 0, v3, vcc
	v_add_co_u32_e32 v8, vcc, 0x3000, v2
	s_nop 1
	v_addc_co_u32_e32 v9, vcc, 0, v3, vcc
	flat_load_dwordx2 v[10:11], v[2:3]
	flat_load_dwordx2 v[12:13], v[4:5]
	;; [unrolled: 1-line block ×4, first 2 shown]
	v_add_co_u32_e32 v4, vcc, 0x4000, v2
	s_nop 1
	v_addc_co_u32_e32 v5, vcc, 0, v3, vcc
	v_add_co_u32_e32 v6, vcc, 0x5000, v2
	s_nop 1
	v_addc_co_u32_e32 v7, vcc, 0, v3, vcc
	;; [unrolled: 3-line block ×3, first 2 shown]
	flat_load_dwordx2 v[8:9], v[4:5]
	flat_load_dwordx2 v[20:21], v[6:7]
	;; [unrolled: 1-line block ×3, first 2 shown]
	s_waitcnt vmcnt(0) lgkmcnt(0)
	ds_write2st64_b64 v18, v[10:11], v[12:13] offset1:8
	ds_write2st64_b64 v18, v[14:15], v[16:17] offset0:16 offset1:24
	ds_write2st64_b64 v18, v[8:9], v[20:21] offset0:32 offset1:40
	ds_write_b64 v18, v[22:23] offset:24576
	s_waitcnt lgkmcnt(0)
	s_barrier
.LBB2956_2:
	s_andn2_b64 vcc, exec, s[4:5]
	v_cmp_gt_u32_e64 s[4:5], s33, v0
	s_cbranch_vccnz .LBB2956_18
; %bb.3:
                                        ; implicit-def: $vgpr2_vgpr3_vgpr4_vgpr5_vgpr6_vgpr7_vgpr8_vgpr9_vgpr10_vgpr11_vgpr12_vgpr13_vgpr14_vgpr15_vgpr16_vgpr17
	s_and_saveexec_b64 s[12:13], s[4:5]
	s_cbranch_execz .LBB2956_5
; %bb.4:
	v_mov_b32_e32 v19, 0
	v_lshl_add_u64 v[2:3], s[10:11], 0, v[18:19]
	flat_load_dwordx2 v[2:3], v[2:3]
.LBB2956_5:
	s_or_b64 exec, exec, s[12:13]
	v_or_b32_e32 v1, 0x200, v0
	v_cmp_gt_u32_e32 vcc, s33, v1
	s_and_saveexec_b64 s[4:5], vcc
	s_cbranch_execz .LBB2956_7
; %bb.6:
	v_lshlrev_b32_e32 v4, 3, v1
	v_mov_b32_e32 v5, 0
	v_lshl_add_u64 v[4:5], s[10:11], 0, v[4:5]
	flat_load_dwordx2 v[4:5], v[4:5]
.LBB2956_7:
	s_or_b64 exec, exec, s[4:5]
	v_or_b32_e32 v1, 0x400, v0
	v_cmp_gt_u32_e32 vcc, s33, v1
	s_and_saveexec_b64 s[4:5], vcc
	s_cbranch_execz .LBB2956_9
; %bb.8:
	v_lshlrev_b32_e32 v6, 3, v1
	v_mov_b32_e32 v7, 0
	v_lshl_add_u64 v[6:7], s[10:11], 0, v[6:7]
	flat_load_dwordx2 v[6:7], v[6:7]
.LBB2956_9:
	s_or_b64 exec, exec, s[4:5]
	v_or_b32_e32 v1, 0x600, v0
	v_cmp_gt_u32_e32 vcc, s33, v1
	s_and_saveexec_b64 s[4:5], vcc
	s_cbranch_execz .LBB2956_11
; %bb.10:
	v_lshlrev_b32_e32 v8, 3, v1
	v_mov_b32_e32 v9, 0
	v_lshl_add_u64 v[8:9], s[10:11], 0, v[8:9]
	flat_load_dwordx2 v[8:9], v[8:9]
.LBB2956_11:
	s_or_b64 exec, exec, s[4:5]
	v_or_b32_e32 v1, 0x800, v0
	v_cmp_gt_u32_e32 vcc, s33, v1
	s_and_saveexec_b64 s[4:5], vcc
	s_cbranch_execz .LBB2956_13
; %bb.12:
	v_lshlrev_b32_e32 v10, 3, v1
	v_mov_b32_e32 v11, 0
	v_lshl_add_u64 v[10:11], s[10:11], 0, v[10:11]
	flat_load_dwordx2 v[10:11], v[10:11]
.LBB2956_13:
	s_or_b64 exec, exec, s[4:5]
	v_or_b32_e32 v1, 0xa00, v0
	v_cmp_gt_u32_e32 vcc, s33, v1
	s_and_saveexec_b64 s[4:5], vcc
	s_cbranch_execz .LBB2956_15
; %bb.14:
	v_lshlrev_b32_e32 v12, 3, v1
	v_mov_b32_e32 v13, 0
	v_lshl_add_u64 v[12:13], s[10:11], 0, v[12:13]
	flat_load_dwordx2 v[12:13], v[12:13]
.LBB2956_15:
	s_or_b64 exec, exec, s[4:5]
	v_or_b32_e32 v1, 0xc00, v0
	v_cmp_gt_u32_e32 vcc, s33, v1
	s_and_saveexec_b64 s[4:5], vcc
	s_cbranch_execz .LBB2956_17
; %bb.16:
	v_lshlrev_b32_e32 v14, 3, v1
	v_mov_b32_e32 v15, 0
	v_lshl_add_u64 v[14:15], s[10:11], 0, v[14:15]
	flat_load_dwordx2 v[14:15], v[14:15]
.LBB2956_17:
	s_or_b64 exec, exec, s[4:5]
	s_waitcnt vmcnt(0) lgkmcnt(0)
	ds_write2st64_b64 v18, v[2:3], v[4:5] offset1:8
	ds_write2st64_b64 v18, v[6:7], v[8:9] offset0:16 offset1:24
	ds_write2st64_b64 v18, v[10:11], v[12:13] offset0:32 offset1:40
	ds_write_b64 v18, v[14:15] offset:24576
	s_waitcnt lgkmcnt(0)
	s_barrier
.LBB2956_18:
	v_mul_u32_u24_e32 v1, 7, v0
	v_lshlrev_b32_e32 v16, 3, v1
	s_waitcnt lgkmcnt(0)
	ds_read2_b64 v[10:13], v16 offset1:1
	ds_read2_b64 v[6:9], v16 offset0:2 offset1:3
	ds_read2_b64 v[2:5], v16 offset0:4 offset1:5
	ds_read_b64 v[14:15], v16 offset:48
	s_add_u32 s3, s6, s8
	s_addc_u32 s5, s7, s9
	s_add_u32 s4, s3, s30
	s_addc_u32 s5, s5, s31
	s_mov_b64 s[6:7], -1
	s_and_b64 vcc, exec, s[28:29]
	s_waitcnt lgkmcnt(0)
	s_barrier
	s_cbranch_vccz .LBB2956_20
; %bb.19:
	v_mov_b32_e32 v19, 0
	v_lshl_add_u64 v[20:21], s[4:5], 0, v[18:19]
	v_add_co_u32_e32 v24, vcc, 0x1000, v20
	global_load_dwordx2 v[22:23], v18, s[4:5]
	s_nop 0
	v_addc_co_u32_e32 v25, vcc, 0, v21, vcc
	v_add_co_u32_e32 v26, vcc, 0x2000, v20
	s_mov_b64 s[6:7], 0
	s_nop 0
	v_addc_co_u32_e32 v27, vcc, 0, v21, vcc
	v_add_co_u32_e32 v28, vcc, 0x3000, v20
	s_waitcnt vmcnt(0)
	v_xor_b32_e32 v17, -1, v22
	v_addc_co_u32_e32 v29, vcc, 0, v21, vcc
	v_add_co_u32_e32 v30, vcc, 0x4000, v20
	v_and_b32_e32 v17, 1, v17
	s_nop 0
	v_addc_co_u32_e32 v31, vcc, 0, v21, vcc
	global_load_dwordx2 v[32:33], v[24:25], off
	global_load_dwordx2 v[34:35], v[26:27], off
	global_load_dwordx2 v[36:37], v[28:29], off
	global_load_dwordx2 v[38:39], v[30:31], off
	v_add_co_u32_e32 v24, vcc, 0x5000, v20
	ds_write_b8 v0, v17
	s_nop 0
	v_addc_co_u32_e32 v25, vcc, 0, v21, vcc
	v_add_co_u32_e32 v20, vcc, 0x6000, v20
	global_load_dwordx2 v[24:25], v[24:25], off
	s_nop 0
	v_addc_co_u32_e32 v21, vcc, 0, v21, vcc
	global_load_dwordx2 v[20:21], v[20:21], off
	s_waitcnt vmcnt(5)
	v_xor_b32_e32 v17, -1, v32
	v_and_b32_e32 v17, 1, v17
	s_waitcnt vmcnt(4)
	v_xor_b32_e32 v19, -1, v34
	s_waitcnt vmcnt(0)
	v_xor_b32_e32 v21, -1, v36
	v_and_b32_e32 v19, 1, v19
	ds_write_b8 v0, v17 offset:512
	v_and_b32_e32 v17, 1, v21
	v_xor_b32_e32 v21, -1, v38
	ds_write_b8 v0, v19 offset:1024
	v_and_b32_e32 v19, 1, v21
	ds_write_b8 v0, v17 offset:1536
	v_xor_b32_e32 v21, -1, v24
	v_and_b32_e32 v17, 1, v21
	ds_write_b8 v0, v19 offset:2048
	v_xor_b32_e32 v20, -1, v20
	v_and_b32_e32 v19, 1, v20
	ds_write_b8 v0, v17 offset:2560
	ds_write_b8 v0, v19 offset:3072
	s_waitcnt lgkmcnt(0)
	s_barrier
.LBB2956_20:
	s_load_dwordx2 s[34:35], s[0:1], 0x78
	s_andn2_b64 vcc, exec, s[6:7]
	s_cbranch_vccnz .LBB2956_36
; %bb.21:
	v_cmp_gt_u32_e32 vcc, s33, v0
	v_mov_b32_e32 v17, 0
	v_mov_b32_e32 v19, 0
	s_and_saveexec_b64 s[6:7], vcc
	s_cbranch_execz .LBB2956_23
; %bb.22:
	global_load_dwordx2 v[20:21], v18, s[4:5]
	s_waitcnt vmcnt(0)
	v_xor_b32_e32 v19, -1, v20
	v_and_b32_e32 v19, 1, v19
.LBB2956_23:
	s_or_b64 exec, exec, s[6:7]
	v_or_b32_e32 v20, 0x200, v0
	v_cmp_gt_u32_e32 vcc, s33, v20
	s_and_saveexec_b64 s[6:7], vcc
	s_cbranch_execz .LBB2956_25
; %bb.24:
	v_lshlrev_b32_e32 v17, 3, v20
	global_load_dwordx2 v[20:21], v17, s[4:5]
	s_waitcnt vmcnt(0)
	v_xor_b32_e32 v17, -1, v20
	v_and_b32_e32 v17, 1, v17
.LBB2956_25:
	s_or_b64 exec, exec, s[6:7]
	v_or_b32_e32 v22, 0x400, v0
	v_cmp_gt_u32_e32 vcc, s33, v22
	v_mov_b32_e32 v20, 0
	v_mov_b32_e32 v21, 0
	s_and_saveexec_b64 s[6:7], vcc
	s_cbranch_execz .LBB2956_27
; %bb.26:
	v_lshlrev_b32_e32 v21, 3, v22
	global_load_dwordx2 v[22:23], v21, s[4:5]
	s_waitcnt vmcnt(0)
	v_xor_b32_e32 v21, -1, v22
	v_and_b32_e32 v21, 1, v21
.LBB2956_27:
	s_or_b64 exec, exec, s[6:7]
	v_or_b32_e32 v22, 0x600, v0
	v_cmp_gt_u32_e32 vcc, s33, v22
	s_and_saveexec_b64 s[6:7], vcc
	s_cbranch_execz .LBB2956_29
; %bb.28:
	v_lshlrev_b32_e32 v20, 3, v22
	global_load_dwordx2 v[22:23], v20, s[4:5]
	s_waitcnt vmcnt(0)
	v_xor_b32_e32 v20, -1, v22
	v_and_b32_e32 v20, 1, v20
.LBB2956_29:
	s_or_b64 exec, exec, s[6:7]
	v_or_b32_e32 v24, 0x800, v0
	v_cmp_gt_u32_e32 vcc, s33, v24
	v_mov_b32_e32 v22, 0
	v_mov_b32_e32 v23, 0
	s_and_saveexec_b64 s[6:7], vcc
	s_cbranch_execz .LBB2956_31
; %bb.30:
	v_lshlrev_b32_e32 v23, 3, v24
	global_load_dwordx2 v[24:25], v23, s[4:5]
	s_waitcnt vmcnt(0)
	v_xor_b32_e32 v23, -1, v24
	v_and_b32_e32 v23, 1, v23
.LBB2956_31:
	s_or_b64 exec, exec, s[6:7]
	v_or_b32_e32 v24, 0xa00, v0
	v_cmp_gt_u32_e32 vcc, s33, v24
	s_and_saveexec_b64 s[6:7], vcc
	s_cbranch_execz .LBB2956_33
; %bb.32:
	v_lshlrev_b32_e32 v22, 3, v24
	global_load_dwordx2 v[24:25], v22, s[4:5]
	s_waitcnt vmcnt(0)
	v_xor_b32_e32 v22, -1, v24
	v_and_b32_e32 v22, 1, v22
.LBB2956_33:
	s_or_b64 exec, exec, s[6:7]
	v_or_b32_e32 v25, 0xc00, v0
	v_cmp_gt_u32_e32 vcc, s33, v25
	v_mov_b32_e32 v24, 0
	s_and_saveexec_b64 s[6:7], vcc
	s_cbranch_execz .LBB2956_35
; %bb.34:
	v_lshlrev_b32_e32 v24, 3, v25
	global_load_dwordx2 v[24:25], v24, s[4:5]
	s_waitcnt vmcnt(0)
	v_xor_b32_e32 v24, -1, v24
	v_and_b32_e32 v24, 1, v24
.LBB2956_35:
	s_or_b64 exec, exec, s[6:7]
	ds_write_b8 v0, v19
	ds_write_b8 v0, v17 offset:512
	ds_write_b8 v0, v21 offset:1024
	;; [unrolled: 1-line block ×6, first 2 shown]
	s_waitcnt lgkmcnt(0)
	s_barrier
.LBB2956_36:
	s_movk_i32 s3, 0xffcf
	v_mad_i32_i24 v35, v0, s3, v16
	s_waitcnt lgkmcnt(0)
	ds_read_u8 v16, v35
	ds_read_u8 v17, v35 offset:1
	ds_read_u8 v19, v35 offset:2
	;; [unrolled: 1-line block ×6, first 2 shown]
	s_waitcnt lgkmcnt(6)
	v_and_b32_e32 v33, 1, v16
	s_waitcnt lgkmcnt(5)
	v_and_b32_e32 v32, 1, v17
	;; [unrolled: 2-line block ×5, first 2 shown]
	v_add3_u32 v16, v32, v33, v31
	s_waitcnt lgkmcnt(1)
	v_and_b32_e32 v28, 1, v22
	s_waitcnt lgkmcnt(0)
	v_and_b32_e32 v19, 1, v23
	v_add3_u32 v16, v16, v30, v29
	v_add3_u32 v37, v16, v28, v19
	v_mbcnt_lo_u32_b32 v16, -1, 0
	v_mbcnt_hi_u32_b32 v34, -1, v16
	v_and_b32_e32 v16, 15, v34
	v_cmp_eq_u32_e64 s[14:15], 0, v16
	v_cmp_lt_u32_e64 s[12:13], 1, v16
	v_cmp_lt_u32_e64 s[10:11], 3, v16
	;; [unrolled: 1-line block ×3, first 2 shown]
	v_and_b32_e32 v16, 16, v34
	v_cmp_eq_u32_e64 s[6:7], 0, v16
	v_or_b32_e32 v16, 63, v0
	s_cmp_lg_u32 s2, 0
	v_cmp_lt_u32_e64 s[18:19], 31, v34
	v_lshrrev_b32_e32 v36, 6, v0
	v_cmp_eq_u32_e64 s[4:5], v16, v0
	s_barrier
	s_cbranch_scc0 .LBB2956_67
; %bb.37:
	v_mov_b32_dpp v16, v37 row_shr:1 row_mask:0xf bank_mask:0xf
	v_cndmask_b32_e64 v16, v16, 0, s[14:15]
	v_add_u32_e32 v16, v16, v37
	s_nop 1
	v_mov_b32_dpp v17, v16 row_shr:2 row_mask:0xf bank_mask:0xf
	v_cndmask_b32_e64 v17, 0, v17, s[12:13]
	v_add_u32_e32 v16, v16, v17
	s_nop 1
	v_mov_b32_dpp v17, v16 row_shr:4 row_mask:0xf bank_mask:0xf
	v_cndmask_b32_e64 v17, 0, v17, s[10:11]
	v_add_u32_e32 v16, v16, v17
	s_nop 1
	v_mov_b32_dpp v17, v16 row_shr:8 row_mask:0xf bank_mask:0xf
	v_cndmask_b32_e64 v17, 0, v17, s[8:9]
	v_add_u32_e32 v16, v16, v17
	s_nop 1
	v_mov_b32_dpp v17, v16 row_bcast:15 row_mask:0xf bank_mask:0xf
	v_cndmask_b32_e64 v17, v17, 0, s[6:7]
	v_add_u32_e32 v16, v16, v17
	s_nop 1
	v_mov_b32_dpp v17, v16 row_bcast:31 row_mask:0xf bank_mask:0xf
	v_cndmask_b32_e64 v17, 0, v17, s[18:19]
	v_add_u32_e32 v16, v16, v17
	s_and_saveexec_b64 s[16:17], s[4:5]
	s_cbranch_execz .LBB2956_39
; %bb.38:
	v_lshlrev_b32_e32 v17, 2, v36
	ds_write_b32 v17, v16
.LBB2956_39:
	s_or_b64 exec, exec, s[16:17]
	v_cmp_gt_u32_e32 vcc, 8, v0
	s_waitcnt lgkmcnt(0)
	s_barrier
	s_and_saveexec_b64 s[16:17], vcc
	s_cbranch_execz .LBB2956_41
; %bb.40:
	v_lshlrev_b32_e32 v17, 2, v0
	ds_read_b32 v20, v17
	v_and_b32_e32 v21, 7, v34
	v_cmp_ne_u32_e32 vcc, 0, v21
	s_waitcnt lgkmcnt(0)
	v_mov_b32_dpp v22, v20 row_shr:1 row_mask:0xf bank_mask:0xf
	v_cndmask_b32_e32 v22, 0, v22, vcc
	v_add_u32_e32 v20, v22, v20
	v_cmp_lt_u32_e32 vcc, 1, v21
	s_nop 0
	v_mov_b32_dpp v22, v20 row_shr:2 row_mask:0xf bank_mask:0xf
	v_cndmask_b32_e32 v22, 0, v22, vcc
	v_add_u32_e32 v20, v20, v22
	v_cmp_lt_u32_e32 vcc, 3, v21
	s_nop 0
	v_mov_b32_dpp v22, v20 row_shr:4 row_mask:0xf bank_mask:0xf
	v_cndmask_b32_e32 v21, 0, v22, vcc
	v_add_u32_e32 v20, v20, v21
	ds_write_b32 v17, v20
.LBB2956_41:
	s_or_b64 exec, exec, s[16:17]
	v_cmp_gt_u32_e32 vcc, 64, v0
	v_cmp_lt_u32_e64 s[16:17], 63, v0
	s_waitcnt lgkmcnt(0)
	s_barrier
	s_waitcnt lgkmcnt(0)
                                        ; implicit-def: $vgpr38
	s_and_saveexec_b64 s[36:37], s[16:17]
	s_cbranch_execz .LBB2956_43
; %bb.42:
	v_lshl_add_u32 v17, v36, 2, -4
	ds_read_b32 v38, v17
	s_waitcnt lgkmcnt(0)
	v_add_u32_e32 v16, v38, v16
.LBB2956_43:
	s_or_b64 exec, exec, s[36:37]
	v_add_u32_e32 v17, -1, v34
	v_and_b32_e32 v20, 64, v34
	v_cmp_lt_i32_e64 s[16:17], v17, v20
	s_nop 1
	v_cndmask_b32_e64 v17, v17, v34, s[16:17]
	v_lshlrev_b32_e32 v17, 2, v17
	ds_bpermute_b32 v39, v17, v16
	v_cmp_eq_u32_e64 s[16:17], 0, v34
	s_and_saveexec_b64 s[36:37], vcc
	s_cbranch_execz .LBB2956_66
; %bb.44:
	v_mov_b32_e32 v27, 0
	ds_read_b32 v16, v27 offset:28
	s_and_saveexec_b64 s[38:39], s[16:17]
	s_cbranch_execz .LBB2956_46
; %bb.45:
	s_add_i32 s40, s2, 64
	s_mov_b32 s41, 0
	s_lshl_b64 s[40:41], s[40:41], 3
	s_add_u32 s40, s34, s40
	v_mov_b32_e32 v17, 1
	s_addc_u32 s41, s35, s41
	s_waitcnt lgkmcnt(0)
	global_store_dwordx2 v27, v[16:17], s[40:41] sc1
.LBB2956_46:
	s_or_b64 exec, exec, s[38:39]
	v_xad_u32 v20, v34, -1, s2
	v_add_u32_e32 v26, 64, v20
	v_lshl_add_u64 v[22:23], v[26:27], 3, s[34:35]
	global_load_dwordx2 v[24:25], v[22:23], off sc1
	s_waitcnt vmcnt(0)
	v_cmp_eq_u16_sdwa s[40:41], v25, v27 src0_sel:BYTE_0 src1_sel:DWORD
	s_and_saveexec_b64 s[38:39], s[40:41]
	s_cbranch_execz .LBB2956_52
; %bb.47:
	s_mov_b32 s3, 1
	s_mov_b64 s[40:41], 0
	v_mov_b32_e32 v17, 0
.LBB2956_48:                            ; =>This Loop Header: Depth=1
                                        ;     Child Loop BB2956_49 Depth 2
	s_max_u32 s42, s3, 1
.LBB2956_49:                            ;   Parent Loop BB2956_48 Depth=1
                                        ; =>  This Inner Loop Header: Depth=2
	s_add_i32 s42, s42, -1
	s_cmp_eq_u32 s42, 0
	s_sleep 1
	s_cbranch_scc0 .LBB2956_49
; %bb.50:                               ;   in Loop: Header=BB2956_48 Depth=1
	global_load_dwordx2 v[24:25], v[22:23], off sc1
	s_cmp_lt_u32 s3, 32
	s_cselect_b64 s[42:43], -1, 0
	s_cmp_lg_u64 s[42:43], 0
	s_addc_u32 s3, s3, 0
	s_waitcnt vmcnt(0)
	v_cmp_ne_u16_sdwa s[42:43], v25, v17 src0_sel:BYTE_0 src1_sel:DWORD
	s_or_b64 s[40:41], s[42:43], s[40:41]
	s_andn2_b64 exec, exec, s[40:41]
	s_cbranch_execnz .LBB2956_48
; %bb.51:
	s_or_b64 exec, exec, s[40:41]
.LBB2956_52:
	s_or_b64 exec, exec, s[38:39]
	v_and_b32_e32 v41, 63, v34
	v_mov_b32_e32 v40, 2
	v_cmp_ne_u32_e32 vcc, 63, v41
	v_cmp_eq_u16_sdwa s[38:39], v25, v40 src0_sel:BYTE_0 src1_sel:DWORD
	v_lshlrev_b64 v[22:23], v34, -1
	v_addc_co_u32_e32 v26, vcc, 0, v34, vcc
	v_and_b32_e32 v17, s39, v23
	v_lshlrev_b32_e32 v42, 2, v26
	v_or_b32_e32 v17, 0x80000000, v17
	ds_bpermute_b32 v26, v42, v24
	v_and_b32_e32 v21, s38, v22
	v_ffbl_b32_e32 v17, v17
	v_add_u32_e32 v17, 32, v17
	v_ffbl_b32_e32 v21, v21
	v_min_u32_e32 v17, v21, v17
	v_cmp_lt_u32_e32 vcc, v41, v17
	v_add_u32_e32 v44, 2, v41
	v_add_u32_e32 v46, 4, v41
	s_waitcnt lgkmcnt(0)
	v_cndmask_b32_e32 v21, 0, v26, vcc
	v_cmp_gt_u32_e32 vcc, 62, v41
	v_add_u32_e32 v21, v21, v24
	v_add_u32_e32 v48, 8, v41
	v_cndmask_b32_e64 v24, 0, 1, vcc
	v_lshlrev_b32_e32 v24, 1, v24
	v_add_lshl_u32 v43, v24, v34, 2
	ds_bpermute_b32 v24, v43, v21
	v_cmp_le_u32_e32 vcc, v44, v17
	v_add_u32_e32 v50, 16, v41
	v_add_u32_e32 v52, 32, v41
	s_waitcnt lgkmcnt(0)
	v_cndmask_b32_e32 v24, 0, v24, vcc
	v_cmp_gt_u32_e32 vcc, 60, v41
	v_add_u32_e32 v21, v21, v24
	s_nop 0
	v_cndmask_b32_e64 v24, 0, 1, vcc
	v_lshlrev_b32_e32 v24, 2, v24
	v_add_lshl_u32 v45, v24, v34, 2
	ds_bpermute_b32 v24, v45, v21
	v_cmp_le_u32_e32 vcc, v46, v17
	s_waitcnt lgkmcnt(0)
	s_nop 0
	v_cndmask_b32_e32 v24, 0, v24, vcc
	v_cmp_gt_u32_e32 vcc, 56, v41
	v_add_u32_e32 v21, v21, v24
	s_nop 0
	v_cndmask_b32_e64 v24, 0, 1, vcc
	v_lshlrev_b32_e32 v24, 3, v24
	v_add_lshl_u32 v47, v24, v34, 2
	ds_bpermute_b32 v24, v47, v21
	v_cmp_le_u32_e32 vcc, v48, v17
	s_waitcnt lgkmcnt(0)
	s_nop 0
	;; [unrolled: 11-line block ×4, first 2 shown]
	v_cndmask_b32_e32 v17, 0, v24, vcc
	v_add_u32_e32 v24, v21, v17
	v_mov_b32_e32 v21, 0
	s_branch .LBB2956_54
.LBB2956_53:                            ;   in Loop: Header=BB2956_54 Depth=1
	s_or_b64 exec, exec, s[38:39]
	v_cmp_eq_u16_sdwa s[38:39], v25, v40 src0_sel:BYTE_0 src1_sel:DWORD
	ds_bpermute_b32 v53, v42, v24
	v_subrev_u32_e32 v20, 64, v20
	v_and_b32_e32 v26, s39, v23
	v_or_b32_e32 v26, 0x80000000, v26
	v_and_b32_e32 v27, s38, v22
	v_ffbl_b32_e32 v26, v26
	v_add_u32_e32 v26, 32, v26
	v_ffbl_b32_e32 v27, v27
	v_min_u32_e32 v26, v27, v26
	v_cmp_lt_u32_e32 vcc, v41, v26
	s_waitcnt lgkmcnt(0)
	s_nop 0
	v_cndmask_b32_e32 v27, 0, v53, vcc
	v_add_u32_e32 v24, v27, v24
	ds_bpermute_b32 v27, v43, v24
	v_cmp_le_u32_e32 vcc, v44, v26
	s_waitcnt lgkmcnt(0)
	s_nop 0
	v_cndmask_b32_e32 v27, 0, v27, vcc
	v_add_u32_e32 v24, v24, v27
	ds_bpermute_b32 v27, v45, v24
	v_cmp_le_u32_e32 vcc, v46, v26
	;; [unrolled: 6-line block ×5, first 2 shown]
	s_waitcnt lgkmcnt(0)
	s_nop 0
	v_cndmask_b32_e32 v26, 0, v27, vcc
	v_add3_u32 v24, v26, v17, v24
.LBB2956_54:                            ; =>This Loop Header: Depth=1
                                        ;     Child Loop BB2956_57 Depth 2
                                        ;       Child Loop BB2956_58 Depth 3
	v_cmp_ne_u16_sdwa s[38:39], v25, v40 src0_sel:BYTE_0 src1_sel:DWORD
	s_nop 1
	v_cndmask_b32_e64 v17, 0, 1, s[38:39]
	;;#ASMSTART
	;;#ASMEND
	s_nop 0
	v_cmp_ne_u32_e32 vcc, 0, v17
	s_cmp_lg_u64 vcc, exec
	v_mov_b32_e32 v17, v24
	s_cbranch_scc1 .LBB2956_61
; %bb.55:                               ;   in Loop: Header=BB2956_54 Depth=1
	v_lshl_add_u64 v[26:27], v[20:21], 3, s[34:35]
	global_load_dwordx2 v[24:25], v[26:27], off sc1
	s_waitcnt vmcnt(0)
	v_cmp_eq_u16_sdwa s[40:41], v25, v21 src0_sel:BYTE_0 src1_sel:DWORD
	s_and_saveexec_b64 s[38:39], s[40:41]
	s_cbranch_execz .LBB2956_53
; %bb.56:                               ;   in Loop: Header=BB2956_54 Depth=1
	s_mov_b32 s3, 1
	s_mov_b64 s[40:41], 0
.LBB2956_57:                            ;   Parent Loop BB2956_54 Depth=1
                                        ; =>  This Loop Header: Depth=2
                                        ;       Child Loop BB2956_58 Depth 3
	s_max_u32 s42, s3, 1
.LBB2956_58:                            ;   Parent Loop BB2956_54 Depth=1
                                        ;     Parent Loop BB2956_57 Depth=2
                                        ; =>    This Inner Loop Header: Depth=3
	s_add_i32 s42, s42, -1
	s_cmp_eq_u32 s42, 0
	s_sleep 1
	s_cbranch_scc0 .LBB2956_58
; %bb.59:                               ;   in Loop: Header=BB2956_57 Depth=2
	global_load_dwordx2 v[24:25], v[26:27], off sc1
	s_cmp_lt_u32 s3, 32
	s_cselect_b64 s[42:43], -1, 0
	s_cmp_lg_u64 s[42:43], 0
	s_addc_u32 s3, s3, 0
	s_waitcnt vmcnt(0)
	v_cmp_ne_u16_sdwa s[42:43], v25, v21 src0_sel:BYTE_0 src1_sel:DWORD
	s_or_b64 s[40:41], s[42:43], s[40:41]
	s_andn2_b64 exec, exec, s[40:41]
	s_cbranch_execnz .LBB2956_57
; %bb.60:                               ;   in Loop: Header=BB2956_54 Depth=1
	s_or_b64 exec, exec, s[40:41]
	s_branch .LBB2956_53
.LBB2956_61:                            ;   in Loop: Header=BB2956_54 Depth=1
                                        ; implicit-def: $vgpr24
                                        ; implicit-def: $vgpr25
	s_cbranch_execz .LBB2956_54
; %bb.62:
	s_and_saveexec_b64 s[38:39], s[16:17]
	s_cbranch_execz .LBB2956_64
; %bb.63:
	s_add_i32 s2, s2, 64
	s_mov_b32 s3, 0
	s_lshl_b64 s[2:3], s[2:3], 3
	s_add_u32 s2, s34, s2
	v_add_u32_e32 v20, v17, v16
	v_mov_b32_e32 v21, 2
	s_addc_u32 s3, s35, s3
	v_mov_b32_e32 v22, 0
	global_store_dwordx2 v22, v[20:21], s[2:3] sc1
	ds_write_b64 v22, v[16:17] offset:28672
.LBB2956_64:
	s_or_b64 exec, exec, s[38:39]
	v_cmp_eq_u32_e32 vcc, 0, v0
	s_and_b64 exec, exec, vcc
	s_cbranch_execz .LBB2956_66
; %bb.65:
	v_mov_b32_e32 v16, 0
	ds_write_b32 v16, v17 offset:28
.LBB2956_66:
	s_or_b64 exec, exec, s[36:37]
	v_mov_b32_e32 v16, 0
	s_waitcnt lgkmcnt(0)
	s_barrier
	ds_read_b32 v17, v16 offset:28
	v_cndmask_b32_e64 v20, v39, v38, s[16:17]
	v_cmp_ne_u32_e32 vcc, 0, v0
	s_waitcnt lgkmcnt(0)
	s_barrier
	v_cndmask_b32_e32 v20, 0, v20, vcc
	v_add_u32_e32 v27, v17, v20
	v_add_u32_e32 v26, v27, v33
	ds_read_b64 v[16:17], v16 offset:28672
	v_add_u32_e32 v25, v26, v32
	v_add_u32_e32 v23, v25, v31
	;; [unrolled: 1-line block ×5, first 2 shown]
	s_waitcnt lgkmcnt(0)
	v_mov_b32_e32 v22, v17
	s_branch .LBB2956_77
.LBB2956_67:
                                        ; implicit-def: $vgpr22
                                        ; implicit-def: $vgpr16
                                        ; implicit-def: $vgpr20
                                        ; implicit-def: $vgpr21
                                        ; implicit-def: $vgpr24
                                        ; implicit-def: $vgpr23
                                        ; implicit-def: $vgpr25
                                        ; implicit-def: $vgpr26
                                        ; implicit-def: $vgpr27
	s_cbranch_execz .LBB2956_77
; %bb.68:
	s_nop 0
	v_mov_b32_dpp v16, v37 row_shr:1 row_mask:0xf bank_mask:0xf
	v_cndmask_b32_e64 v16, v16, 0, s[14:15]
	v_add_u32_e32 v16, v16, v37
	s_nop 1
	v_mov_b32_dpp v17, v16 row_shr:2 row_mask:0xf bank_mask:0xf
	v_cndmask_b32_e64 v17, 0, v17, s[12:13]
	v_add_u32_e32 v16, v16, v17
	;; [unrolled: 4-line block ×4, first 2 shown]
	s_nop 1
	v_mov_b32_dpp v17, v16 row_bcast:15 row_mask:0xf bank_mask:0xf
	v_cndmask_b32_e64 v17, v17, 0, s[6:7]
	v_add_u32_e32 v16, v16, v17
	s_nop 1
	v_mov_b32_dpp v17, v16 row_bcast:31 row_mask:0xf bank_mask:0xf
	v_cndmask_b32_e64 v17, 0, v17, s[18:19]
	v_add_u32_e32 v16, v16, v17
	s_and_saveexec_b64 s[2:3], s[4:5]
	s_cbranch_execz .LBB2956_70
; %bb.69:
	v_lshlrev_b32_e32 v17, 2, v36
	ds_write_b32 v17, v16
.LBB2956_70:
	s_or_b64 exec, exec, s[2:3]
	v_cmp_gt_u32_e32 vcc, 8, v0
	s_waitcnt lgkmcnt(0)
	s_barrier
	s_and_saveexec_b64 s[2:3], vcc
	s_cbranch_execz .LBB2956_72
; %bb.71:
	v_mad_i32_i24 v17, v0, -3, v35
	ds_read_b32 v20, v17
	v_and_b32_e32 v21, 7, v34
	v_cmp_ne_u32_e32 vcc, 0, v21
	s_waitcnt lgkmcnt(0)
	v_mov_b32_dpp v22, v20 row_shr:1 row_mask:0xf bank_mask:0xf
	v_cndmask_b32_e32 v22, 0, v22, vcc
	v_add_u32_e32 v20, v22, v20
	v_cmp_lt_u32_e32 vcc, 1, v21
	s_nop 0
	v_mov_b32_dpp v22, v20 row_shr:2 row_mask:0xf bank_mask:0xf
	v_cndmask_b32_e32 v22, 0, v22, vcc
	v_add_u32_e32 v20, v20, v22
	v_cmp_lt_u32_e32 vcc, 3, v21
	s_nop 0
	v_mov_b32_dpp v22, v20 row_shr:4 row_mask:0xf bank_mask:0xf
	v_cndmask_b32_e32 v21, 0, v22, vcc
	v_add_u32_e32 v20, v20, v21
	ds_write_b32 v17, v20
.LBB2956_72:
	s_or_b64 exec, exec, s[2:3]
	v_cmp_lt_u32_e32 vcc, 63, v0
	v_mov_b32_e32 v17, 0
	v_mov_b32_e32 v20, 0
	s_waitcnt lgkmcnt(0)
	s_barrier
	s_and_saveexec_b64 s[2:3], vcc
	s_cbranch_execz .LBB2956_74
; %bb.73:
	v_lshl_add_u32 v20, v36, 2, -4
	ds_read_b32 v20, v20
.LBB2956_74:
	s_or_b64 exec, exec, s[2:3]
	v_add_u32_e32 v21, -1, v34
	v_and_b32_e32 v22, 64, v34
	v_cmp_lt_i32_e32 vcc, v21, v22
	s_waitcnt lgkmcnt(0)
	v_add_u32_e32 v16, v20, v16
	v_cndmask_b32_e32 v21, v21, v34, vcc
	v_lshlrev_b32_e32 v21, 2, v21
	ds_bpermute_b32 v21, v21, v16
	ds_read_b32 v16, v17 offset:28
	v_cmp_eq_u32_e32 vcc, 0, v0
	s_and_saveexec_b64 s[2:3], vcc
	s_cbranch_execz .LBB2956_76
; %bb.75:
	v_mov_b32_e32 v22, 0
	v_mov_b32_e32 v17, 2
	s_waitcnt lgkmcnt(0)
	global_store_dwordx2 v22, v[16:17], s[34:35] offset:512 sc1
.LBB2956_76:
	s_or_b64 exec, exec, s[2:3]
	v_cmp_eq_u32_e64 s[2:3], 0, v34
	v_mov_b32_e32 v22, 0
	s_waitcnt lgkmcnt(0)
	v_cndmask_b32_e64 v17, v21, v20, s[2:3]
	v_cndmask_b32_e64 v27, v17, 0, vcc
	v_add_u32_e32 v26, v27, v33
	v_add_u32_e32 v25, v26, v32
	;; [unrolled: 1-line block ×6, first 2 shown]
	s_barrier
.LBB2956_77:
	v_add_u32_e32 v1, v16, v1
	v_sub_u32_e32 v17, v27, v22
	v_sub_u32_e32 v27, v1, v17
	v_cmp_eq_u32_e32 vcc, 1, v33
	s_load_dwordx2 s[0:1], s[0:1], 0x40
	s_nop 0
	v_cndmask_b32_e32 v17, v27, v17, vcc
	v_lshlrev_b32_e32 v17, 3, v17
	ds_write_b64 v17, v[10:11]
	v_sub_u32_e32 v10, v26, v22
	v_sub_u32_e32 v11, v1, v10
	v_add_u32_e32 v11, 1, v11
	v_cmp_eq_u32_e32 vcc, 1, v32
	v_or_b32_e32 v27, 0x200, v0
	v_or_b32_e32 v26, 0x400, v0
	v_cndmask_b32_e32 v10, v11, v10, vcc
	v_lshlrev_b32_e32 v10, 3, v10
	ds_write_b64 v10, v[12:13]
	v_sub_u32_e32 v10, v25, v22
	v_sub_u32_e32 v11, v1, v10
	v_add_u32_e32 v11, 2, v11
	v_cmp_eq_u32_e32 vcc, 1, v31
	v_or_b32_e32 v25, 0x600, v0
	s_nop 0
	v_cndmask_b32_e32 v10, v11, v10, vcc
	v_lshlrev_b32_e32 v10, 3, v10
	ds_write_b64 v10, v[6:7]
	v_sub_u32_e32 v6, v23, v22
	v_sub_u32_e32 v7, v1, v6
	v_add_u32_e32 v7, 3, v7
	v_cmp_eq_u32_e32 vcc, 1, v30
	v_mov_b32_e32 v23, 0
	v_mov_b32_e32 v17, v23
	v_cndmask_b32_e32 v6, v7, v6, vcc
	v_lshlrev_b32_e32 v6, 3, v6
	ds_write_b64 v6, v[8:9]
	v_sub_u32_e32 v6, v24, v22
	v_sub_u32_e32 v7, v1, v6
	v_add_u32_e32 v7, 4, v7
	v_cmp_eq_u32_e32 vcc, 1, v29
	v_or_b32_e32 v24, 0x800, v0
	s_nop 0
	v_cndmask_b32_e32 v6, v7, v6, vcc
	v_lshlrev_b32_e32 v6, 3, v6
	ds_write_b64 v6, v[2:3]
	v_sub_u32_e32 v2, v21, v22
	v_sub_u32_e32 v3, v1, v2
	v_add_u32_e32 v3, 5, v3
	v_cmp_eq_u32_e32 vcc, 1, v28
	s_nop 1
	v_cndmask_b32_e32 v2, v3, v2, vcc
	v_lshlrev_b32_e32 v2, 3, v2
	ds_write_b64 v2, v[4:5]
	v_sub_u32_e32 v2, v20, v22
	v_sub_u32_e32 v1, v1, v2
	v_add_u32_e32 v1, 6, v1
	v_cmp_eq_u32_e32 vcc, 1, v19
	v_or_b32_e32 v19, 0xa00, v0
	s_nop 0
	v_cndmask_b32_e32 v1, v1, v2, vcc
	v_lshlrev_b32_e32 v1, 3, v1
	ds_write_b64 v1, v[14:15]
	v_lshl_add_u64 v[14:15], s[24:25], 0, v[16:17]
	v_lshl_add_u64 v[14:15], v[14:15], 0, v[22:23]
	s_waitcnt lgkmcnt(0)
	s_barrier
	ds_read2st64_b64 v[10:13], v18 offset1:8
	ds_read2st64_b64 v[6:9], v18 offset0:16 offset1:24
	ds_read2st64_b64 v[2:5], v18 offset0:32 offset1:40
	ds_read_b64 v[20:21], v18 offset:24576
	v_mov_b32_e32 v17, s27
	v_sub_co_u32_e32 v22, vcc, s26, v14
	v_or_b32_e32 v1, 0xc00, v0
	s_nop 0
	v_subb_co_u32_e32 v23, vcc, v17, v15, vcc
	v_lshlrev_b64 v[22:23], 3, v[22:23]
	v_lshl_add_u64 v[22:23], s[0:1], 0, v[22:23]
	v_lshl_add_u64 v[22:23], v[22:23], 0, s[30:31]
	s_andn2_b64 vcc, exec, s[28:29]
	v_cmp_ge_u32_e64 s[0:1], v0, v16
	s_cbranch_vccnz .LBB2956_86
; %bb.78:
	s_and_saveexec_b64 s[2:3], s[0:1]
	s_cbranch_execnz .LBB2956_105
; %bb.79:
	s_or_b64 exec, exec, s[2:3]
	v_cmp_ge_u32_e32 vcc, v27, v16
	s_and_saveexec_b64 s[0:1], vcc
	s_cbranch_execnz .LBB2956_106
.LBB2956_80:
	s_or_b64 exec, exec, s[0:1]
	v_cmp_ge_u32_e32 vcc, v26, v16
	s_and_saveexec_b64 s[0:1], vcc
	s_cbranch_execnz .LBB2956_107
.LBB2956_81:
	s_or_b64 exec, exec, s[0:1]
	v_cmp_ge_u32_e32 vcc, v25, v16
	s_and_saveexec_b64 s[0:1], vcc
	s_cbranch_execnz .LBB2956_108
.LBB2956_82:
	s_or_b64 exec, exec, s[0:1]
	v_cmp_ge_u32_e32 vcc, v24, v16
	s_and_saveexec_b64 s[0:1], vcc
	s_cbranch_execnz .LBB2956_109
.LBB2956_83:
	s_or_b64 exec, exec, s[0:1]
	v_cmp_ge_u32_e32 vcc, v19, v16
	s_and_saveexec_b64 s[0:1], vcc
	s_cbranch_execz .LBB2956_85
.LBB2956_84:
	v_lshlrev_b32_e32 v17, 3, v19
	v_readfirstlane_b32 s2, v22
	v_readfirstlane_b32 s3, v23
	s_waitcnt lgkmcnt(1)
	s_nop 3
	global_store_dwordx2 v17, v[4:5], s[2:3]
.LBB2956_85:
	s_or_b64 exec, exec, s[0:1]
	v_cmp_ge_u32_e64 s[0:1], v1, v16
	s_branch .LBB2956_100
.LBB2956_86:
	s_mov_b64 s[0:1], 0
	s_cbranch_execz .LBB2956_100
; %bb.87:
	v_cmp_gt_u32_e32 vcc, s33, v0
	v_cmp_ge_u32_e64 s[0:1], v0, v16
	s_and_b64 s[2:3], vcc, s[0:1]
	s_and_saveexec_b64 s[0:1], s[2:3]
	s_cbranch_execz .LBB2956_89
; %bb.88:
	v_readfirstlane_b32 s2, v22
	v_readfirstlane_b32 s3, v23
	s_waitcnt lgkmcnt(3)
	s_nop 3
	global_store_dwordx2 v18, v[10:11], s[2:3]
.LBB2956_89:
	s_or_b64 exec, exec, s[0:1]
	v_cmp_gt_u32_e32 vcc, s33, v27
	v_cmp_ge_u32_e64 s[0:1], v27, v16
	s_and_b64 s[2:3], vcc, s[0:1]
	s_and_saveexec_b64 s[0:1], s[2:3]
	s_cbranch_execz .LBB2956_91
; %bb.90:
	s_waitcnt lgkmcnt(3)
	v_lshlrev_b32_e32 v10, 3, v27
	v_readfirstlane_b32 s2, v22
	v_readfirstlane_b32 s3, v23
	s_nop 4
	global_store_dwordx2 v10, v[12:13], s[2:3]
.LBB2956_91:
	s_or_b64 exec, exec, s[0:1]
	v_cmp_gt_u32_e32 vcc, s33, v26
	v_cmp_ge_u32_e64 s[0:1], v26, v16
	s_and_b64 s[2:3], vcc, s[0:1]
	s_and_saveexec_b64 s[0:1], s[2:3]
	s_cbranch_execz .LBB2956_93
; %bb.92:
	s_waitcnt lgkmcnt(3)
	v_lshlrev_b32_e32 v10, 3, v26
	v_readfirstlane_b32 s2, v22
	v_readfirstlane_b32 s3, v23
	s_waitcnt lgkmcnt(2)
	s_nop 3
	global_store_dwordx2 v10, v[6:7], s[2:3]
.LBB2956_93:
	s_or_b64 exec, exec, s[0:1]
	v_cmp_gt_u32_e32 vcc, s33, v25
	v_cmp_ge_u32_e64 s[0:1], v25, v16
	s_and_b64 s[2:3], vcc, s[0:1]
	s_and_saveexec_b64 s[0:1], s[2:3]
	s_cbranch_execz .LBB2956_95
; %bb.94:
	s_waitcnt lgkmcnt(2)
	v_lshlrev_b32_e32 v6, 3, v25
	v_readfirstlane_b32 s2, v22
	v_readfirstlane_b32 s3, v23
	s_nop 4
	global_store_dwordx2 v6, v[8:9], s[2:3]
.LBB2956_95:
	s_or_b64 exec, exec, s[0:1]
	v_cmp_gt_u32_e32 vcc, s33, v24
	v_cmp_ge_u32_e64 s[0:1], v24, v16
	s_and_b64 s[2:3], vcc, s[0:1]
	s_and_saveexec_b64 s[0:1], s[2:3]
	s_cbranch_execz .LBB2956_97
; %bb.96:
	s_waitcnt lgkmcnt(2)
	v_lshlrev_b32_e32 v6, 3, v24
	v_readfirstlane_b32 s2, v22
	v_readfirstlane_b32 s3, v23
	s_waitcnt lgkmcnt(1)
	s_nop 3
	global_store_dwordx2 v6, v[2:3], s[2:3]
.LBB2956_97:
	s_or_b64 exec, exec, s[0:1]
	v_cmp_gt_u32_e32 vcc, s33, v19
	v_cmp_ge_u32_e64 s[0:1], v19, v16
	s_and_b64 s[2:3], vcc, s[0:1]
	s_and_saveexec_b64 s[0:1], s[2:3]
	s_cbranch_execz .LBB2956_99
; %bb.98:
	s_waitcnt lgkmcnt(1)
	v_lshlrev_b32_e32 v2, 3, v19
	v_readfirstlane_b32 s2, v22
	v_readfirstlane_b32 s3, v23
	s_nop 4
	global_store_dwordx2 v2, v[4:5], s[2:3]
.LBB2956_99:
	s_or_b64 exec, exec, s[0:1]
	v_cmp_gt_u32_e32 vcc, s33, v1
	v_cmp_ge_u32_e64 s[0:1], v1, v16
	s_and_b64 s[0:1], vcc, s[0:1]
.LBB2956_100:
	s_and_saveexec_b64 s[2:3], s[0:1]
	s_cbranch_execz .LBB2956_102
; %bb.101:
	v_lshlrev_b32_e32 v1, 3, v1
	v_readfirstlane_b32 s0, v22
	v_readfirstlane_b32 s1, v23
	s_waitcnt lgkmcnt(0)
	s_nop 3
	global_store_dwordx2 v1, v[20:21], s[0:1]
.LBB2956_102:
	s_or_b64 exec, exec, s[2:3]
	v_cmp_eq_u32_e32 vcc, 0, v0
	s_and_b64 s[0:1], vcc, s[22:23]
	s_and_saveexec_b64 s[2:3], s[0:1]
	s_cbranch_execz .LBB2956_104
; %bb.103:
	v_mov_b32_e32 v0, 0
	global_store_dwordx2 v0, v[14:15], s[20:21]
.LBB2956_104:
	s_endpgm
.LBB2956_105:
	v_readfirstlane_b32 s0, v22
	v_readfirstlane_b32 s1, v23
	s_waitcnt lgkmcnt(3)
	s_nop 3
	global_store_dwordx2 v18, v[10:11], s[0:1]
	s_or_b64 exec, exec, s[2:3]
	v_cmp_ge_u32_e32 vcc, v27, v16
	s_and_saveexec_b64 s[0:1], vcc
	s_cbranch_execz .LBB2956_80
.LBB2956_106:
	v_lshlrev_b32_e32 v17, 3, v27
	v_readfirstlane_b32 s2, v22
	v_readfirstlane_b32 s3, v23
	s_waitcnt lgkmcnt(3)
	s_nop 3
	global_store_dwordx2 v17, v[12:13], s[2:3]
	s_or_b64 exec, exec, s[0:1]
	v_cmp_ge_u32_e32 vcc, v26, v16
	s_and_saveexec_b64 s[0:1], vcc
	s_cbranch_execz .LBB2956_81
.LBB2956_107:
	v_lshlrev_b32_e32 v17, 3, v26
	v_readfirstlane_b32 s2, v22
	v_readfirstlane_b32 s3, v23
	s_waitcnt lgkmcnt(2)
	s_nop 3
	global_store_dwordx2 v17, v[6:7], s[2:3]
	s_or_b64 exec, exec, s[0:1]
	v_cmp_ge_u32_e32 vcc, v25, v16
	s_and_saveexec_b64 s[0:1], vcc
	s_cbranch_execz .LBB2956_82
.LBB2956_108:
	v_lshlrev_b32_e32 v17, 3, v25
	v_readfirstlane_b32 s2, v22
	v_readfirstlane_b32 s3, v23
	s_waitcnt lgkmcnt(2)
	s_nop 3
	global_store_dwordx2 v17, v[8:9], s[2:3]
	s_or_b64 exec, exec, s[0:1]
	v_cmp_ge_u32_e32 vcc, v24, v16
	s_and_saveexec_b64 s[0:1], vcc
	s_cbranch_execz .LBB2956_83
.LBB2956_109:
	v_lshlrev_b32_e32 v17, 3, v24
	v_readfirstlane_b32 s2, v22
	v_readfirstlane_b32 s3, v23
	s_waitcnt lgkmcnt(1)
	s_nop 3
	global_store_dwordx2 v17, v[2:3], s[2:3]
	s_or_b64 exec, exec, s[0:1]
	v_cmp_ge_u32_e32 vcc, v19, v16
	s_and_saveexec_b64 s[0:1], vcc
	s_cbranch_execnz .LBB2956_84
	s_branch .LBB2956_85
	.section	.rodata,"a",@progbits
	.p2align	6, 0x0
	.amdhsa_kernel _ZN7rocprim17ROCPRIM_400000_NS6detail17trampoline_kernelINS0_14default_configENS1_25partition_config_selectorILNS1_17partition_subalgoE1EyNS0_10empty_typeEbEEZZNS1_14partition_implILS5_1ELb0ES3_jN6thrust23THRUST_200600_302600_NS6detail15normal_iteratorINSA_10device_ptrIyEEEEPS6_NSA_18transform_iteratorI7is_evenIyESF_NSA_11use_defaultESK_EENS0_5tupleIJNSA_16discard_iteratorISK_EESF_EEENSM_IJSG_SG_EEES6_PlJS6_EEE10hipError_tPvRmT3_T4_T5_T6_T7_T9_mT8_P12ihipStream_tbDpT10_ENKUlT_T0_E_clISt17integral_constantIbLb1EES1A_IbLb0EEEEDaS16_S17_EUlS16_E_NS1_11comp_targetILNS1_3genE5ELNS1_11target_archE942ELNS1_3gpuE9ELNS1_3repE0EEENS1_30default_config_static_selectorELNS0_4arch9wavefront6targetE1EEEvT1_
		.amdhsa_group_segment_fixed_size 28680
		.amdhsa_private_segment_fixed_size 0
		.amdhsa_kernarg_size 136
		.amdhsa_user_sgpr_count 2
		.amdhsa_user_sgpr_dispatch_ptr 0
		.amdhsa_user_sgpr_queue_ptr 0
		.amdhsa_user_sgpr_kernarg_segment_ptr 1
		.amdhsa_user_sgpr_dispatch_id 0
		.amdhsa_user_sgpr_kernarg_preload_length 0
		.amdhsa_user_sgpr_kernarg_preload_offset 0
		.amdhsa_user_sgpr_private_segment_size 0
		.amdhsa_uses_dynamic_stack 0
		.amdhsa_enable_private_segment 0
		.amdhsa_system_sgpr_workgroup_id_x 1
		.amdhsa_system_sgpr_workgroup_id_y 0
		.amdhsa_system_sgpr_workgroup_id_z 0
		.amdhsa_system_sgpr_workgroup_info 0
		.amdhsa_system_vgpr_workitem_id 0
		.amdhsa_next_free_vgpr 54
		.amdhsa_next_free_sgpr 44
		.amdhsa_accum_offset 56
		.amdhsa_reserve_vcc 1
		.amdhsa_float_round_mode_32 0
		.amdhsa_float_round_mode_16_64 0
		.amdhsa_float_denorm_mode_32 3
		.amdhsa_float_denorm_mode_16_64 3
		.amdhsa_dx10_clamp 1
		.amdhsa_ieee_mode 1
		.amdhsa_fp16_overflow 0
		.amdhsa_tg_split 0
		.amdhsa_exception_fp_ieee_invalid_op 0
		.amdhsa_exception_fp_denorm_src 0
		.amdhsa_exception_fp_ieee_div_zero 0
		.amdhsa_exception_fp_ieee_overflow 0
		.amdhsa_exception_fp_ieee_underflow 0
		.amdhsa_exception_fp_ieee_inexact 0
		.amdhsa_exception_int_div_zero 0
	.end_amdhsa_kernel
	.section	.text._ZN7rocprim17ROCPRIM_400000_NS6detail17trampoline_kernelINS0_14default_configENS1_25partition_config_selectorILNS1_17partition_subalgoE1EyNS0_10empty_typeEbEEZZNS1_14partition_implILS5_1ELb0ES3_jN6thrust23THRUST_200600_302600_NS6detail15normal_iteratorINSA_10device_ptrIyEEEEPS6_NSA_18transform_iteratorI7is_evenIyESF_NSA_11use_defaultESK_EENS0_5tupleIJNSA_16discard_iteratorISK_EESF_EEENSM_IJSG_SG_EEES6_PlJS6_EEE10hipError_tPvRmT3_T4_T5_T6_T7_T9_mT8_P12ihipStream_tbDpT10_ENKUlT_T0_E_clISt17integral_constantIbLb1EES1A_IbLb0EEEEDaS16_S17_EUlS16_E_NS1_11comp_targetILNS1_3genE5ELNS1_11target_archE942ELNS1_3gpuE9ELNS1_3repE0EEENS1_30default_config_static_selectorELNS0_4arch9wavefront6targetE1EEEvT1_,"axG",@progbits,_ZN7rocprim17ROCPRIM_400000_NS6detail17trampoline_kernelINS0_14default_configENS1_25partition_config_selectorILNS1_17partition_subalgoE1EyNS0_10empty_typeEbEEZZNS1_14partition_implILS5_1ELb0ES3_jN6thrust23THRUST_200600_302600_NS6detail15normal_iteratorINSA_10device_ptrIyEEEEPS6_NSA_18transform_iteratorI7is_evenIyESF_NSA_11use_defaultESK_EENS0_5tupleIJNSA_16discard_iteratorISK_EESF_EEENSM_IJSG_SG_EEES6_PlJS6_EEE10hipError_tPvRmT3_T4_T5_T6_T7_T9_mT8_P12ihipStream_tbDpT10_ENKUlT_T0_E_clISt17integral_constantIbLb1EES1A_IbLb0EEEEDaS16_S17_EUlS16_E_NS1_11comp_targetILNS1_3genE5ELNS1_11target_archE942ELNS1_3gpuE9ELNS1_3repE0EEENS1_30default_config_static_selectorELNS0_4arch9wavefront6targetE1EEEvT1_,comdat
.Lfunc_end2956:
	.size	_ZN7rocprim17ROCPRIM_400000_NS6detail17trampoline_kernelINS0_14default_configENS1_25partition_config_selectorILNS1_17partition_subalgoE1EyNS0_10empty_typeEbEEZZNS1_14partition_implILS5_1ELb0ES3_jN6thrust23THRUST_200600_302600_NS6detail15normal_iteratorINSA_10device_ptrIyEEEEPS6_NSA_18transform_iteratorI7is_evenIyESF_NSA_11use_defaultESK_EENS0_5tupleIJNSA_16discard_iteratorISK_EESF_EEENSM_IJSG_SG_EEES6_PlJS6_EEE10hipError_tPvRmT3_T4_T5_T6_T7_T9_mT8_P12ihipStream_tbDpT10_ENKUlT_T0_E_clISt17integral_constantIbLb1EES1A_IbLb0EEEEDaS16_S17_EUlS16_E_NS1_11comp_targetILNS1_3genE5ELNS1_11target_archE942ELNS1_3gpuE9ELNS1_3repE0EEENS1_30default_config_static_selectorELNS0_4arch9wavefront6targetE1EEEvT1_, .Lfunc_end2956-_ZN7rocprim17ROCPRIM_400000_NS6detail17trampoline_kernelINS0_14default_configENS1_25partition_config_selectorILNS1_17partition_subalgoE1EyNS0_10empty_typeEbEEZZNS1_14partition_implILS5_1ELb0ES3_jN6thrust23THRUST_200600_302600_NS6detail15normal_iteratorINSA_10device_ptrIyEEEEPS6_NSA_18transform_iteratorI7is_evenIyESF_NSA_11use_defaultESK_EENS0_5tupleIJNSA_16discard_iteratorISK_EESF_EEENSM_IJSG_SG_EEES6_PlJS6_EEE10hipError_tPvRmT3_T4_T5_T6_T7_T9_mT8_P12ihipStream_tbDpT10_ENKUlT_T0_E_clISt17integral_constantIbLb1EES1A_IbLb0EEEEDaS16_S17_EUlS16_E_NS1_11comp_targetILNS1_3genE5ELNS1_11target_archE942ELNS1_3gpuE9ELNS1_3repE0EEENS1_30default_config_static_selectorELNS0_4arch9wavefront6targetE1EEEvT1_
                                        ; -- End function
	.section	.AMDGPU.csdata,"",@progbits
; Kernel info:
; codeLenInByte = 5064
; NumSgprs: 50
; NumVgprs: 54
; NumAgprs: 0
; TotalNumVgprs: 54
; ScratchSize: 0
; MemoryBound: 0
; FloatMode: 240
; IeeeMode: 1
; LDSByteSize: 28680 bytes/workgroup (compile time only)
; SGPRBlocks: 6
; VGPRBlocks: 6
; NumSGPRsForWavesPerEU: 50
; NumVGPRsForWavesPerEU: 54
; AccumOffset: 56
; Occupancy: 4
; WaveLimiterHint : 1
; COMPUTE_PGM_RSRC2:SCRATCH_EN: 0
; COMPUTE_PGM_RSRC2:USER_SGPR: 2
; COMPUTE_PGM_RSRC2:TRAP_HANDLER: 0
; COMPUTE_PGM_RSRC2:TGID_X_EN: 1
; COMPUTE_PGM_RSRC2:TGID_Y_EN: 0
; COMPUTE_PGM_RSRC2:TGID_Z_EN: 0
; COMPUTE_PGM_RSRC2:TIDIG_COMP_CNT: 0
; COMPUTE_PGM_RSRC3_GFX90A:ACCUM_OFFSET: 13
; COMPUTE_PGM_RSRC3_GFX90A:TG_SPLIT: 0
	.section	.text._ZN7rocprim17ROCPRIM_400000_NS6detail17trampoline_kernelINS0_14default_configENS1_25partition_config_selectorILNS1_17partition_subalgoE1EyNS0_10empty_typeEbEEZZNS1_14partition_implILS5_1ELb0ES3_jN6thrust23THRUST_200600_302600_NS6detail15normal_iteratorINSA_10device_ptrIyEEEEPS6_NSA_18transform_iteratorI7is_evenIyESF_NSA_11use_defaultESK_EENS0_5tupleIJNSA_16discard_iteratorISK_EESF_EEENSM_IJSG_SG_EEES6_PlJS6_EEE10hipError_tPvRmT3_T4_T5_T6_T7_T9_mT8_P12ihipStream_tbDpT10_ENKUlT_T0_E_clISt17integral_constantIbLb1EES1A_IbLb0EEEEDaS16_S17_EUlS16_E_NS1_11comp_targetILNS1_3genE4ELNS1_11target_archE910ELNS1_3gpuE8ELNS1_3repE0EEENS1_30default_config_static_selectorELNS0_4arch9wavefront6targetE1EEEvT1_,"axG",@progbits,_ZN7rocprim17ROCPRIM_400000_NS6detail17trampoline_kernelINS0_14default_configENS1_25partition_config_selectorILNS1_17partition_subalgoE1EyNS0_10empty_typeEbEEZZNS1_14partition_implILS5_1ELb0ES3_jN6thrust23THRUST_200600_302600_NS6detail15normal_iteratorINSA_10device_ptrIyEEEEPS6_NSA_18transform_iteratorI7is_evenIyESF_NSA_11use_defaultESK_EENS0_5tupleIJNSA_16discard_iteratorISK_EESF_EEENSM_IJSG_SG_EEES6_PlJS6_EEE10hipError_tPvRmT3_T4_T5_T6_T7_T9_mT8_P12ihipStream_tbDpT10_ENKUlT_T0_E_clISt17integral_constantIbLb1EES1A_IbLb0EEEEDaS16_S17_EUlS16_E_NS1_11comp_targetILNS1_3genE4ELNS1_11target_archE910ELNS1_3gpuE8ELNS1_3repE0EEENS1_30default_config_static_selectorELNS0_4arch9wavefront6targetE1EEEvT1_,comdat
	.protected	_ZN7rocprim17ROCPRIM_400000_NS6detail17trampoline_kernelINS0_14default_configENS1_25partition_config_selectorILNS1_17partition_subalgoE1EyNS0_10empty_typeEbEEZZNS1_14partition_implILS5_1ELb0ES3_jN6thrust23THRUST_200600_302600_NS6detail15normal_iteratorINSA_10device_ptrIyEEEEPS6_NSA_18transform_iteratorI7is_evenIyESF_NSA_11use_defaultESK_EENS0_5tupleIJNSA_16discard_iteratorISK_EESF_EEENSM_IJSG_SG_EEES6_PlJS6_EEE10hipError_tPvRmT3_T4_T5_T6_T7_T9_mT8_P12ihipStream_tbDpT10_ENKUlT_T0_E_clISt17integral_constantIbLb1EES1A_IbLb0EEEEDaS16_S17_EUlS16_E_NS1_11comp_targetILNS1_3genE4ELNS1_11target_archE910ELNS1_3gpuE8ELNS1_3repE0EEENS1_30default_config_static_selectorELNS0_4arch9wavefront6targetE1EEEvT1_ ; -- Begin function _ZN7rocprim17ROCPRIM_400000_NS6detail17trampoline_kernelINS0_14default_configENS1_25partition_config_selectorILNS1_17partition_subalgoE1EyNS0_10empty_typeEbEEZZNS1_14partition_implILS5_1ELb0ES3_jN6thrust23THRUST_200600_302600_NS6detail15normal_iteratorINSA_10device_ptrIyEEEEPS6_NSA_18transform_iteratorI7is_evenIyESF_NSA_11use_defaultESK_EENS0_5tupleIJNSA_16discard_iteratorISK_EESF_EEENSM_IJSG_SG_EEES6_PlJS6_EEE10hipError_tPvRmT3_T4_T5_T6_T7_T9_mT8_P12ihipStream_tbDpT10_ENKUlT_T0_E_clISt17integral_constantIbLb1EES1A_IbLb0EEEEDaS16_S17_EUlS16_E_NS1_11comp_targetILNS1_3genE4ELNS1_11target_archE910ELNS1_3gpuE8ELNS1_3repE0EEENS1_30default_config_static_selectorELNS0_4arch9wavefront6targetE1EEEvT1_
	.globl	_ZN7rocprim17ROCPRIM_400000_NS6detail17trampoline_kernelINS0_14default_configENS1_25partition_config_selectorILNS1_17partition_subalgoE1EyNS0_10empty_typeEbEEZZNS1_14partition_implILS5_1ELb0ES3_jN6thrust23THRUST_200600_302600_NS6detail15normal_iteratorINSA_10device_ptrIyEEEEPS6_NSA_18transform_iteratorI7is_evenIyESF_NSA_11use_defaultESK_EENS0_5tupleIJNSA_16discard_iteratorISK_EESF_EEENSM_IJSG_SG_EEES6_PlJS6_EEE10hipError_tPvRmT3_T4_T5_T6_T7_T9_mT8_P12ihipStream_tbDpT10_ENKUlT_T0_E_clISt17integral_constantIbLb1EES1A_IbLb0EEEEDaS16_S17_EUlS16_E_NS1_11comp_targetILNS1_3genE4ELNS1_11target_archE910ELNS1_3gpuE8ELNS1_3repE0EEENS1_30default_config_static_selectorELNS0_4arch9wavefront6targetE1EEEvT1_
	.p2align	8
	.type	_ZN7rocprim17ROCPRIM_400000_NS6detail17trampoline_kernelINS0_14default_configENS1_25partition_config_selectorILNS1_17partition_subalgoE1EyNS0_10empty_typeEbEEZZNS1_14partition_implILS5_1ELb0ES3_jN6thrust23THRUST_200600_302600_NS6detail15normal_iteratorINSA_10device_ptrIyEEEEPS6_NSA_18transform_iteratorI7is_evenIyESF_NSA_11use_defaultESK_EENS0_5tupleIJNSA_16discard_iteratorISK_EESF_EEENSM_IJSG_SG_EEES6_PlJS6_EEE10hipError_tPvRmT3_T4_T5_T6_T7_T9_mT8_P12ihipStream_tbDpT10_ENKUlT_T0_E_clISt17integral_constantIbLb1EES1A_IbLb0EEEEDaS16_S17_EUlS16_E_NS1_11comp_targetILNS1_3genE4ELNS1_11target_archE910ELNS1_3gpuE8ELNS1_3repE0EEENS1_30default_config_static_selectorELNS0_4arch9wavefront6targetE1EEEvT1_,@function
_ZN7rocprim17ROCPRIM_400000_NS6detail17trampoline_kernelINS0_14default_configENS1_25partition_config_selectorILNS1_17partition_subalgoE1EyNS0_10empty_typeEbEEZZNS1_14partition_implILS5_1ELb0ES3_jN6thrust23THRUST_200600_302600_NS6detail15normal_iteratorINSA_10device_ptrIyEEEEPS6_NSA_18transform_iteratorI7is_evenIyESF_NSA_11use_defaultESK_EENS0_5tupleIJNSA_16discard_iteratorISK_EESF_EEENSM_IJSG_SG_EEES6_PlJS6_EEE10hipError_tPvRmT3_T4_T5_T6_T7_T9_mT8_P12ihipStream_tbDpT10_ENKUlT_T0_E_clISt17integral_constantIbLb1EES1A_IbLb0EEEEDaS16_S17_EUlS16_E_NS1_11comp_targetILNS1_3genE4ELNS1_11target_archE910ELNS1_3gpuE8ELNS1_3repE0EEENS1_30default_config_static_selectorELNS0_4arch9wavefront6targetE1EEEvT1_: ; @_ZN7rocprim17ROCPRIM_400000_NS6detail17trampoline_kernelINS0_14default_configENS1_25partition_config_selectorILNS1_17partition_subalgoE1EyNS0_10empty_typeEbEEZZNS1_14partition_implILS5_1ELb0ES3_jN6thrust23THRUST_200600_302600_NS6detail15normal_iteratorINSA_10device_ptrIyEEEEPS6_NSA_18transform_iteratorI7is_evenIyESF_NSA_11use_defaultESK_EENS0_5tupleIJNSA_16discard_iteratorISK_EESF_EEENSM_IJSG_SG_EEES6_PlJS6_EEE10hipError_tPvRmT3_T4_T5_T6_T7_T9_mT8_P12ihipStream_tbDpT10_ENKUlT_T0_E_clISt17integral_constantIbLb1EES1A_IbLb0EEEEDaS16_S17_EUlS16_E_NS1_11comp_targetILNS1_3genE4ELNS1_11target_archE910ELNS1_3gpuE8ELNS1_3repE0EEENS1_30default_config_static_selectorELNS0_4arch9wavefront6targetE1EEEvT1_
; %bb.0:
	.section	.rodata,"a",@progbits
	.p2align	6, 0x0
	.amdhsa_kernel _ZN7rocprim17ROCPRIM_400000_NS6detail17trampoline_kernelINS0_14default_configENS1_25partition_config_selectorILNS1_17partition_subalgoE1EyNS0_10empty_typeEbEEZZNS1_14partition_implILS5_1ELb0ES3_jN6thrust23THRUST_200600_302600_NS6detail15normal_iteratorINSA_10device_ptrIyEEEEPS6_NSA_18transform_iteratorI7is_evenIyESF_NSA_11use_defaultESK_EENS0_5tupleIJNSA_16discard_iteratorISK_EESF_EEENSM_IJSG_SG_EEES6_PlJS6_EEE10hipError_tPvRmT3_T4_T5_T6_T7_T9_mT8_P12ihipStream_tbDpT10_ENKUlT_T0_E_clISt17integral_constantIbLb1EES1A_IbLb0EEEEDaS16_S17_EUlS16_E_NS1_11comp_targetILNS1_3genE4ELNS1_11target_archE910ELNS1_3gpuE8ELNS1_3repE0EEENS1_30default_config_static_selectorELNS0_4arch9wavefront6targetE1EEEvT1_
		.amdhsa_group_segment_fixed_size 0
		.amdhsa_private_segment_fixed_size 0
		.amdhsa_kernarg_size 136
		.amdhsa_user_sgpr_count 2
		.amdhsa_user_sgpr_dispatch_ptr 0
		.amdhsa_user_sgpr_queue_ptr 0
		.amdhsa_user_sgpr_kernarg_segment_ptr 1
		.amdhsa_user_sgpr_dispatch_id 0
		.amdhsa_user_sgpr_kernarg_preload_length 0
		.amdhsa_user_sgpr_kernarg_preload_offset 0
		.amdhsa_user_sgpr_private_segment_size 0
		.amdhsa_uses_dynamic_stack 0
		.amdhsa_enable_private_segment 0
		.amdhsa_system_sgpr_workgroup_id_x 1
		.amdhsa_system_sgpr_workgroup_id_y 0
		.amdhsa_system_sgpr_workgroup_id_z 0
		.amdhsa_system_sgpr_workgroup_info 0
		.amdhsa_system_vgpr_workitem_id 0
		.amdhsa_next_free_vgpr 1
		.amdhsa_next_free_sgpr 0
		.amdhsa_accum_offset 4
		.amdhsa_reserve_vcc 0
		.amdhsa_float_round_mode_32 0
		.amdhsa_float_round_mode_16_64 0
		.amdhsa_float_denorm_mode_32 3
		.amdhsa_float_denorm_mode_16_64 3
		.amdhsa_dx10_clamp 1
		.amdhsa_ieee_mode 1
		.amdhsa_fp16_overflow 0
		.amdhsa_tg_split 0
		.amdhsa_exception_fp_ieee_invalid_op 0
		.amdhsa_exception_fp_denorm_src 0
		.amdhsa_exception_fp_ieee_div_zero 0
		.amdhsa_exception_fp_ieee_overflow 0
		.amdhsa_exception_fp_ieee_underflow 0
		.amdhsa_exception_fp_ieee_inexact 0
		.amdhsa_exception_int_div_zero 0
	.end_amdhsa_kernel
	.section	.text._ZN7rocprim17ROCPRIM_400000_NS6detail17trampoline_kernelINS0_14default_configENS1_25partition_config_selectorILNS1_17partition_subalgoE1EyNS0_10empty_typeEbEEZZNS1_14partition_implILS5_1ELb0ES3_jN6thrust23THRUST_200600_302600_NS6detail15normal_iteratorINSA_10device_ptrIyEEEEPS6_NSA_18transform_iteratorI7is_evenIyESF_NSA_11use_defaultESK_EENS0_5tupleIJNSA_16discard_iteratorISK_EESF_EEENSM_IJSG_SG_EEES6_PlJS6_EEE10hipError_tPvRmT3_T4_T5_T6_T7_T9_mT8_P12ihipStream_tbDpT10_ENKUlT_T0_E_clISt17integral_constantIbLb1EES1A_IbLb0EEEEDaS16_S17_EUlS16_E_NS1_11comp_targetILNS1_3genE4ELNS1_11target_archE910ELNS1_3gpuE8ELNS1_3repE0EEENS1_30default_config_static_selectorELNS0_4arch9wavefront6targetE1EEEvT1_,"axG",@progbits,_ZN7rocprim17ROCPRIM_400000_NS6detail17trampoline_kernelINS0_14default_configENS1_25partition_config_selectorILNS1_17partition_subalgoE1EyNS0_10empty_typeEbEEZZNS1_14partition_implILS5_1ELb0ES3_jN6thrust23THRUST_200600_302600_NS6detail15normal_iteratorINSA_10device_ptrIyEEEEPS6_NSA_18transform_iteratorI7is_evenIyESF_NSA_11use_defaultESK_EENS0_5tupleIJNSA_16discard_iteratorISK_EESF_EEENSM_IJSG_SG_EEES6_PlJS6_EEE10hipError_tPvRmT3_T4_T5_T6_T7_T9_mT8_P12ihipStream_tbDpT10_ENKUlT_T0_E_clISt17integral_constantIbLb1EES1A_IbLb0EEEEDaS16_S17_EUlS16_E_NS1_11comp_targetILNS1_3genE4ELNS1_11target_archE910ELNS1_3gpuE8ELNS1_3repE0EEENS1_30default_config_static_selectorELNS0_4arch9wavefront6targetE1EEEvT1_,comdat
.Lfunc_end2957:
	.size	_ZN7rocprim17ROCPRIM_400000_NS6detail17trampoline_kernelINS0_14default_configENS1_25partition_config_selectorILNS1_17partition_subalgoE1EyNS0_10empty_typeEbEEZZNS1_14partition_implILS5_1ELb0ES3_jN6thrust23THRUST_200600_302600_NS6detail15normal_iteratorINSA_10device_ptrIyEEEEPS6_NSA_18transform_iteratorI7is_evenIyESF_NSA_11use_defaultESK_EENS0_5tupleIJNSA_16discard_iteratorISK_EESF_EEENSM_IJSG_SG_EEES6_PlJS6_EEE10hipError_tPvRmT3_T4_T5_T6_T7_T9_mT8_P12ihipStream_tbDpT10_ENKUlT_T0_E_clISt17integral_constantIbLb1EES1A_IbLb0EEEEDaS16_S17_EUlS16_E_NS1_11comp_targetILNS1_3genE4ELNS1_11target_archE910ELNS1_3gpuE8ELNS1_3repE0EEENS1_30default_config_static_selectorELNS0_4arch9wavefront6targetE1EEEvT1_, .Lfunc_end2957-_ZN7rocprim17ROCPRIM_400000_NS6detail17trampoline_kernelINS0_14default_configENS1_25partition_config_selectorILNS1_17partition_subalgoE1EyNS0_10empty_typeEbEEZZNS1_14partition_implILS5_1ELb0ES3_jN6thrust23THRUST_200600_302600_NS6detail15normal_iteratorINSA_10device_ptrIyEEEEPS6_NSA_18transform_iteratorI7is_evenIyESF_NSA_11use_defaultESK_EENS0_5tupleIJNSA_16discard_iteratorISK_EESF_EEENSM_IJSG_SG_EEES6_PlJS6_EEE10hipError_tPvRmT3_T4_T5_T6_T7_T9_mT8_P12ihipStream_tbDpT10_ENKUlT_T0_E_clISt17integral_constantIbLb1EES1A_IbLb0EEEEDaS16_S17_EUlS16_E_NS1_11comp_targetILNS1_3genE4ELNS1_11target_archE910ELNS1_3gpuE8ELNS1_3repE0EEENS1_30default_config_static_selectorELNS0_4arch9wavefront6targetE1EEEvT1_
                                        ; -- End function
	.section	.AMDGPU.csdata,"",@progbits
; Kernel info:
; codeLenInByte = 0
; NumSgprs: 6
; NumVgprs: 0
; NumAgprs: 0
; TotalNumVgprs: 0
; ScratchSize: 0
; MemoryBound: 0
; FloatMode: 240
; IeeeMode: 1
; LDSByteSize: 0 bytes/workgroup (compile time only)
; SGPRBlocks: 0
; VGPRBlocks: 0
; NumSGPRsForWavesPerEU: 6
; NumVGPRsForWavesPerEU: 1
; AccumOffset: 4
; Occupancy: 8
; WaveLimiterHint : 0
; COMPUTE_PGM_RSRC2:SCRATCH_EN: 0
; COMPUTE_PGM_RSRC2:USER_SGPR: 2
; COMPUTE_PGM_RSRC2:TRAP_HANDLER: 0
; COMPUTE_PGM_RSRC2:TGID_X_EN: 1
; COMPUTE_PGM_RSRC2:TGID_Y_EN: 0
; COMPUTE_PGM_RSRC2:TGID_Z_EN: 0
; COMPUTE_PGM_RSRC2:TIDIG_COMP_CNT: 0
; COMPUTE_PGM_RSRC3_GFX90A:ACCUM_OFFSET: 0
; COMPUTE_PGM_RSRC3_GFX90A:TG_SPLIT: 0
	.section	.text._ZN7rocprim17ROCPRIM_400000_NS6detail17trampoline_kernelINS0_14default_configENS1_25partition_config_selectorILNS1_17partition_subalgoE1EyNS0_10empty_typeEbEEZZNS1_14partition_implILS5_1ELb0ES3_jN6thrust23THRUST_200600_302600_NS6detail15normal_iteratorINSA_10device_ptrIyEEEEPS6_NSA_18transform_iteratorI7is_evenIyESF_NSA_11use_defaultESK_EENS0_5tupleIJNSA_16discard_iteratorISK_EESF_EEENSM_IJSG_SG_EEES6_PlJS6_EEE10hipError_tPvRmT3_T4_T5_T6_T7_T9_mT8_P12ihipStream_tbDpT10_ENKUlT_T0_E_clISt17integral_constantIbLb1EES1A_IbLb0EEEEDaS16_S17_EUlS16_E_NS1_11comp_targetILNS1_3genE3ELNS1_11target_archE908ELNS1_3gpuE7ELNS1_3repE0EEENS1_30default_config_static_selectorELNS0_4arch9wavefront6targetE1EEEvT1_,"axG",@progbits,_ZN7rocprim17ROCPRIM_400000_NS6detail17trampoline_kernelINS0_14default_configENS1_25partition_config_selectorILNS1_17partition_subalgoE1EyNS0_10empty_typeEbEEZZNS1_14partition_implILS5_1ELb0ES3_jN6thrust23THRUST_200600_302600_NS6detail15normal_iteratorINSA_10device_ptrIyEEEEPS6_NSA_18transform_iteratorI7is_evenIyESF_NSA_11use_defaultESK_EENS0_5tupleIJNSA_16discard_iteratorISK_EESF_EEENSM_IJSG_SG_EEES6_PlJS6_EEE10hipError_tPvRmT3_T4_T5_T6_T7_T9_mT8_P12ihipStream_tbDpT10_ENKUlT_T0_E_clISt17integral_constantIbLb1EES1A_IbLb0EEEEDaS16_S17_EUlS16_E_NS1_11comp_targetILNS1_3genE3ELNS1_11target_archE908ELNS1_3gpuE7ELNS1_3repE0EEENS1_30default_config_static_selectorELNS0_4arch9wavefront6targetE1EEEvT1_,comdat
	.protected	_ZN7rocprim17ROCPRIM_400000_NS6detail17trampoline_kernelINS0_14default_configENS1_25partition_config_selectorILNS1_17partition_subalgoE1EyNS0_10empty_typeEbEEZZNS1_14partition_implILS5_1ELb0ES3_jN6thrust23THRUST_200600_302600_NS6detail15normal_iteratorINSA_10device_ptrIyEEEEPS6_NSA_18transform_iteratorI7is_evenIyESF_NSA_11use_defaultESK_EENS0_5tupleIJNSA_16discard_iteratorISK_EESF_EEENSM_IJSG_SG_EEES6_PlJS6_EEE10hipError_tPvRmT3_T4_T5_T6_T7_T9_mT8_P12ihipStream_tbDpT10_ENKUlT_T0_E_clISt17integral_constantIbLb1EES1A_IbLb0EEEEDaS16_S17_EUlS16_E_NS1_11comp_targetILNS1_3genE3ELNS1_11target_archE908ELNS1_3gpuE7ELNS1_3repE0EEENS1_30default_config_static_selectorELNS0_4arch9wavefront6targetE1EEEvT1_ ; -- Begin function _ZN7rocprim17ROCPRIM_400000_NS6detail17trampoline_kernelINS0_14default_configENS1_25partition_config_selectorILNS1_17partition_subalgoE1EyNS0_10empty_typeEbEEZZNS1_14partition_implILS5_1ELb0ES3_jN6thrust23THRUST_200600_302600_NS6detail15normal_iteratorINSA_10device_ptrIyEEEEPS6_NSA_18transform_iteratorI7is_evenIyESF_NSA_11use_defaultESK_EENS0_5tupleIJNSA_16discard_iteratorISK_EESF_EEENSM_IJSG_SG_EEES6_PlJS6_EEE10hipError_tPvRmT3_T4_T5_T6_T7_T9_mT8_P12ihipStream_tbDpT10_ENKUlT_T0_E_clISt17integral_constantIbLb1EES1A_IbLb0EEEEDaS16_S17_EUlS16_E_NS1_11comp_targetILNS1_3genE3ELNS1_11target_archE908ELNS1_3gpuE7ELNS1_3repE0EEENS1_30default_config_static_selectorELNS0_4arch9wavefront6targetE1EEEvT1_
	.globl	_ZN7rocprim17ROCPRIM_400000_NS6detail17trampoline_kernelINS0_14default_configENS1_25partition_config_selectorILNS1_17partition_subalgoE1EyNS0_10empty_typeEbEEZZNS1_14partition_implILS5_1ELb0ES3_jN6thrust23THRUST_200600_302600_NS6detail15normal_iteratorINSA_10device_ptrIyEEEEPS6_NSA_18transform_iteratorI7is_evenIyESF_NSA_11use_defaultESK_EENS0_5tupleIJNSA_16discard_iteratorISK_EESF_EEENSM_IJSG_SG_EEES6_PlJS6_EEE10hipError_tPvRmT3_T4_T5_T6_T7_T9_mT8_P12ihipStream_tbDpT10_ENKUlT_T0_E_clISt17integral_constantIbLb1EES1A_IbLb0EEEEDaS16_S17_EUlS16_E_NS1_11comp_targetILNS1_3genE3ELNS1_11target_archE908ELNS1_3gpuE7ELNS1_3repE0EEENS1_30default_config_static_selectorELNS0_4arch9wavefront6targetE1EEEvT1_
	.p2align	8
	.type	_ZN7rocprim17ROCPRIM_400000_NS6detail17trampoline_kernelINS0_14default_configENS1_25partition_config_selectorILNS1_17partition_subalgoE1EyNS0_10empty_typeEbEEZZNS1_14partition_implILS5_1ELb0ES3_jN6thrust23THRUST_200600_302600_NS6detail15normal_iteratorINSA_10device_ptrIyEEEEPS6_NSA_18transform_iteratorI7is_evenIyESF_NSA_11use_defaultESK_EENS0_5tupleIJNSA_16discard_iteratorISK_EESF_EEENSM_IJSG_SG_EEES6_PlJS6_EEE10hipError_tPvRmT3_T4_T5_T6_T7_T9_mT8_P12ihipStream_tbDpT10_ENKUlT_T0_E_clISt17integral_constantIbLb1EES1A_IbLb0EEEEDaS16_S17_EUlS16_E_NS1_11comp_targetILNS1_3genE3ELNS1_11target_archE908ELNS1_3gpuE7ELNS1_3repE0EEENS1_30default_config_static_selectorELNS0_4arch9wavefront6targetE1EEEvT1_,@function
_ZN7rocprim17ROCPRIM_400000_NS6detail17trampoline_kernelINS0_14default_configENS1_25partition_config_selectorILNS1_17partition_subalgoE1EyNS0_10empty_typeEbEEZZNS1_14partition_implILS5_1ELb0ES3_jN6thrust23THRUST_200600_302600_NS6detail15normal_iteratorINSA_10device_ptrIyEEEEPS6_NSA_18transform_iteratorI7is_evenIyESF_NSA_11use_defaultESK_EENS0_5tupleIJNSA_16discard_iteratorISK_EESF_EEENSM_IJSG_SG_EEES6_PlJS6_EEE10hipError_tPvRmT3_T4_T5_T6_T7_T9_mT8_P12ihipStream_tbDpT10_ENKUlT_T0_E_clISt17integral_constantIbLb1EES1A_IbLb0EEEEDaS16_S17_EUlS16_E_NS1_11comp_targetILNS1_3genE3ELNS1_11target_archE908ELNS1_3gpuE7ELNS1_3repE0EEENS1_30default_config_static_selectorELNS0_4arch9wavefront6targetE1EEEvT1_: ; @_ZN7rocprim17ROCPRIM_400000_NS6detail17trampoline_kernelINS0_14default_configENS1_25partition_config_selectorILNS1_17partition_subalgoE1EyNS0_10empty_typeEbEEZZNS1_14partition_implILS5_1ELb0ES3_jN6thrust23THRUST_200600_302600_NS6detail15normal_iteratorINSA_10device_ptrIyEEEEPS6_NSA_18transform_iteratorI7is_evenIyESF_NSA_11use_defaultESK_EENS0_5tupleIJNSA_16discard_iteratorISK_EESF_EEENSM_IJSG_SG_EEES6_PlJS6_EEE10hipError_tPvRmT3_T4_T5_T6_T7_T9_mT8_P12ihipStream_tbDpT10_ENKUlT_T0_E_clISt17integral_constantIbLb1EES1A_IbLb0EEEEDaS16_S17_EUlS16_E_NS1_11comp_targetILNS1_3genE3ELNS1_11target_archE908ELNS1_3gpuE7ELNS1_3repE0EEENS1_30default_config_static_selectorELNS0_4arch9wavefront6targetE1EEEvT1_
; %bb.0:
	.section	.rodata,"a",@progbits
	.p2align	6, 0x0
	.amdhsa_kernel _ZN7rocprim17ROCPRIM_400000_NS6detail17trampoline_kernelINS0_14default_configENS1_25partition_config_selectorILNS1_17partition_subalgoE1EyNS0_10empty_typeEbEEZZNS1_14partition_implILS5_1ELb0ES3_jN6thrust23THRUST_200600_302600_NS6detail15normal_iteratorINSA_10device_ptrIyEEEEPS6_NSA_18transform_iteratorI7is_evenIyESF_NSA_11use_defaultESK_EENS0_5tupleIJNSA_16discard_iteratorISK_EESF_EEENSM_IJSG_SG_EEES6_PlJS6_EEE10hipError_tPvRmT3_T4_T5_T6_T7_T9_mT8_P12ihipStream_tbDpT10_ENKUlT_T0_E_clISt17integral_constantIbLb1EES1A_IbLb0EEEEDaS16_S17_EUlS16_E_NS1_11comp_targetILNS1_3genE3ELNS1_11target_archE908ELNS1_3gpuE7ELNS1_3repE0EEENS1_30default_config_static_selectorELNS0_4arch9wavefront6targetE1EEEvT1_
		.amdhsa_group_segment_fixed_size 0
		.amdhsa_private_segment_fixed_size 0
		.amdhsa_kernarg_size 136
		.amdhsa_user_sgpr_count 2
		.amdhsa_user_sgpr_dispatch_ptr 0
		.amdhsa_user_sgpr_queue_ptr 0
		.amdhsa_user_sgpr_kernarg_segment_ptr 1
		.amdhsa_user_sgpr_dispatch_id 0
		.amdhsa_user_sgpr_kernarg_preload_length 0
		.amdhsa_user_sgpr_kernarg_preload_offset 0
		.amdhsa_user_sgpr_private_segment_size 0
		.amdhsa_uses_dynamic_stack 0
		.amdhsa_enable_private_segment 0
		.amdhsa_system_sgpr_workgroup_id_x 1
		.amdhsa_system_sgpr_workgroup_id_y 0
		.amdhsa_system_sgpr_workgroup_id_z 0
		.amdhsa_system_sgpr_workgroup_info 0
		.amdhsa_system_vgpr_workitem_id 0
		.amdhsa_next_free_vgpr 1
		.amdhsa_next_free_sgpr 0
		.amdhsa_accum_offset 4
		.amdhsa_reserve_vcc 0
		.amdhsa_float_round_mode_32 0
		.amdhsa_float_round_mode_16_64 0
		.amdhsa_float_denorm_mode_32 3
		.amdhsa_float_denorm_mode_16_64 3
		.amdhsa_dx10_clamp 1
		.amdhsa_ieee_mode 1
		.amdhsa_fp16_overflow 0
		.amdhsa_tg_split 0
		.amdhsa_exception_fp_ieee_invalid_op 0
		.amdhsa_exception_fp_denorm_src 0
		.amdhsa_exception_fp_ieee_div_zero 0
		.amdhsa_exception_fp_ieee_overflow 0
		.amdhsa_exception_fp_ieee_underflow 0
		.amdhsa_exception_fp_ieee_inexact 0
		.amdhsa_exception_int_div_zero 0
	.end_amdhsa_kernel
	.section	.text._ZN7rocprim17ROCPRIM_400000_NS6detail17trampoline_kernelINS0_14default_configENS1_25partition_config_selectorILNS1_17partition_subalgoE1EyNS0_10empty_typeEbEEZZNS1_14partition_implILS5_1ELb0ES3_jN6thrust23THRUST_200600_302600_NS6detail15normal_iteratorINSA_10device_ptrIyEEEEPS6_NSA_18transform_iteratorI7is_evenIyESF_NSA_11use_defaultESK_EENS0_5tupleIJNSA_16discard_iteratorISK_EESF_EEENSM_IJSG_SG_EEES6_PlJS6_EEE10hipError_tPvRmT3_T4_T5_T6_T7_T9_mT8_P12ihipStream_tbDpT10_ENKUlT_T0_E_clISt17integral_constantIbLb1EES1A_IbLb0EEEEDaS16_S17_EUlS16_E_NS1_11comp_targetILNS1_3genE3ELNS1_11target_archE908ELNS1_3gpuE7ELNS1_3repE0EEENS1_30default_config_static_selectorELNS0_4arch9wavefront6targetE1EEEvT1_,"axG",@progbits,_ZN7rocprim17ROCPRIM_400000_NS6detail17trampoline_kernelINS0_14default_configENS1_25partition_config_selectorILNS1_17partition_subalgoE1EyNS0_10empty_typeEbEEZZNS1_14partition_implILS5_1ELb0ES3_jN6thrust23THRUST_200600_302600_NS6detail15normal_iteratorINSA_10device_ptrIyEEEEPS6_NSA_18transform_iteratorI7is_evenIyESF_NSA_11use_defaultESK_EENS0_5tupleIJNSA_16discard_iteratorISK_EESF_EEENSM_IJSG_SG_EEES6_PlJS6_EEE10hipError_tPvRmT3_T4_T5_T6_T7_T9_mT8_P12ihipStream_tbDpT10_ENKUlT_T0_E_clISt17integral_constantIbLb1EES1A_IbLb0EEEEDaS16_S17_EUlS16_E_NS1_11comp_targetILNS1_3genE3ELNS1_11target_archE908ELNS1_3gpuE7ELNS1_3repE0EEENS1_30default_config_static_selectorELNS0_4arch9wavefront6targetE1EEEvT1_,comdat
.Lfunc_end2958:
	.size	_ZN7rocprim17ROCPRIM_400000_NS6detail17trampoline_kernelINS0_14default_configENS1_25partition_config_selectorILNS1_17partition_subalgoE1EyNS0_10empty_typeEbEEZZNS1_14partition_implILS5_1ELb0ES3_jN6thrust23THRUST_200600_302600_NS6detail15normal_iteratorINSA_10device_ptrIyEEEEPS6_NSA_18transform_iteratorI7is_evenIyESF_NSA_11use_defaultESK_EENS0_5tupleIJNSA_16discard_iteratorISK_EESF_EEENSM_IJSG_SG_EEES6_PlJS6_EEE10hipError_tPvRmT3_T4_T5_T6_T7_T9_mT8_P12ihipStream_tbDpT10_ENKUlT_T0_E_clISt17integral_constantIbLb1EES1A_IbLb0EEEEDaS16_S17_EUlS16_E_NS1_11comp_targetILNS1_3genE3ELNS1_11target_archE908ELNS1_3gpuE7ELNS1_3repE0EEENS1_30default_config_static_selectorELNS0_4arch9wavefront6targetE1EEEvT1_, .Lfunc_end2958-_ZN7rocprim17ROCPRIM_400000_NS6detail17trampoline_kernelINS0_14default_configENS1_25partition_config_selectorILNS1_17partition_subalgoE1EyNS0_10empty_typeEbEEZZNS1_14partition_implILS5_1ELb0ES3_jN6thrust23THRUST_200600_302600_NS6detail15normal_iteratorINSA_10device_ptrIyEEEEPS6_NSA_18transform_iteratorI7is_evenIyESF_NSA_11use_defaultESK_EENS0_5tupleIJNSA_16discard_iteratorISK_EESF_EEENSM_IJSG_SG_EEES6_PlJS6_EEE10hipError_tPvRmT3_T4_T5_T6_T7_T9_mT8_P12ihipStream_tbDpT10_ENKUlT_T0_E_clISt17integral_constantIbLb1EES1A_IbLb0EEEEDaS16_S17_EUlS16_E_NS1_11comp_targetILNS1_3genE3ELNS1_11target_archE908ELNS1_3gpuE7ELNS1_3repE0EEENS1_30default_config_static_selectorELNS0_4arch9wavefront6targetE1EEEvT1_
                                        ; -- End function
	.section	.AMDGPU.csdata,"",@progbits
; Kernel info:
; codeLenInByte = 0
; NumSgprs: 6
; NumVgprs: 0
; NumAgprs: 0
; TotalNumVgprs: 0
; ScratchSize: 0
; MemoryBound: 0
; FloatMode: 240
; IeeeMode: 1
; LDSByteSize: 0 bytes/workgroup (compile time only)
; SGPRBlocks: 0
; VGPRBlocks: 0
; NumSGPRsForWavesPerEU: 6
; NumVGPRsForWavesPerEU: 1
; AccumOffset: 4
; Occupancy: 8
; WaveLimiterHint : 0
; COMPUTE_PGM_RSRC2:SCRATCH_EN: 0
; COMPUTE_PGM_RSRC2:USER_SGPR: 2
; COMPUTE_PGM_RSRC2:TRAP_HANDLER: 0
; COMPUTE_PGM_RSRC2:TGID_X_EN: 1
; COMPUTE_PGM_RSRC2:TGID_Y_EN: 0
; COMPUTE_PGM_RSRC2:TGID_Z_EN: 0
; COMPUTE_PGM_RSRC2:TIDIG_COMP_CNT: 0
; COMPUTE_PGM_RSRC3_GFX90A:ACCUM_OFFSET: 0
; COMPUTE_PGM_RSRC3_GFX90A:TG_SPLIT: 0
	.section	.text._ZN7rocprim17ROCPRIM_400000_NS6detail17trampoline_kernelINS0_14default_configENS1_25partition_config_selectorILNS1_17partition_subalgoE1EyNS0_10empty_typeEbEEZZNS1_14partition_implILS5_1ELb0ES3_jN6thrust23THRUST_200600_302600_NS6detail15normal_iteratorINSA_10device_ptrIyEEEEPS6_NSA_18transform_iteratorI7is_evenIyESF_NSA_11use_defaultESK_EENS0_5tupleIJNSA_16discard_iteratorISK_EESF_EEENSM_IJSG_SG_EEES6_PlJS6_EEE10hipError_tPvRmT3_T4_T5_T6_T7_T9_mT8_P12ihipStream_tbDpT10_ENKUlT_T0_E_clISt17integral_constantIbLb1EES1A_IbLb0EEEEDaS16_S17_EUlS16_E_NS1_11comp_targetILNS1_3genE2ELNS1_11target_archE906ELNS1_3gpuE6ELNS1_3repE0EEENS1_30default_config_static_selectorELNS0_4arch9wavefront6targetE1EEEvT1_,"axG",@progbits,_ZN7rocprim17ROCPRIM_400000_NS6detail17trampoline_kernelINS0_14default_configENS1_25partition_config_selectorILNS1_17partition_subalgoE1EyNS0_10empty_typeEbEEZZNS1_14partition_implILS5_1ELb0ES3_jN6thrust23THRUST_200600_302600_NS6detail15normal_iteratorINSA_10device_ptrIyEEEEPS6_NSA_18transform_iteratorI7is_evenIyESF_NSA_11use_defaultESK_EENS0_5tupleIJNSA_16discard_iteratorISK_EESF_EEENSM_IJSG_SG_EEES6_PlJS6_EEE10hipError_tPvRmT3_T4_T5_T6_T7_T9_mT8_P12ihipStream_tbDpT10_ENKUlT_T0_E_clISt17integral_constantIbLb1EES1A_IbLb0EEEEDaS16_S17_EUlS16_E_NS1_11comp_targetILNS1_3genE2ELNS1_11target_archE906ELNS1_3gpuE6ELNS1_3repE0EEENS1_30default_config_static_selectorELNS0_4arch9wavefront6targetE1EEEvT1_,comdat
	.protected	_ZN7rocprim17ROCPRIM_400000_NS6detail17trampoline_kernelINS0_14default_configENS1_25partition_config_selectorILNS1_17partition_subalgoE1EyNS0_10empty_typeEbEEZZNS1_14partition_implILS5_1ELb0ES3_jN6thrust23THRUST_200600_302600_NS6detail15normal_iteratorINSA_10device_ptrIyEEEEPS6_NSA_18transform_iteratorI7is_evenIyESF_NSA_11use_defaultESK_EENS0_5tupleIJNSA_16discard_iteratorISK_EESF_EEENSM_IJSG_SG_EEES6_PlJS6_EEE10hipError_tPvRmT3_T4_T5_T6_T7_T9_mT8_P12ihipStream_tbDpT10_ENKUlT_T0_E_clISt17integral_constantIbLb1EES1A_IbLb0EEEEDaS16_S17_EUlS16_E_NS1_11comp_targetILNS1_3genE2ELNS1_11target_archE906ELNS1_3gpuE6ELNS1_3repE0EEENS1_30default_config_static_selectorELNS0_4arch9wavefront6targetE1EEEvT1_ ; -- Begin function _ZN7rocprim17ROCPRIM_400000_NS6detail17trampoline_kernelINS0_14default_configENS1_25partition_config_selectorILNS1_17partition_subalgoE1EyNS0_10empty_typeEbEEZZNS1_14partition_implILS5_1ELb0ES3_jN6thrust23THRUST_200600_302600_NS6detail15normal_iteratorINSA_10device_ptrIyEEEEPS6_NSA_18transform_iteratorI7is_evenIyESF_NSA_11use_defaultESK_EENS0_5tupleIJNSA_16discard_iteratorISK_EESF_EEENSM_IJSG_SG_EEES6_PlJS6_EEE10hipError_tPvRmT3_T4_T5_T6_T7_T9_mT8_P12ihipStream_tbDpT10_ENKUlT_T0_E_clISt17integral_constantIbLb1EES1A_IbLb0EEEEDaS16_S17_EUlS16_E_NS1_11comp_targetILNS1_3genE2ELNS1_11target_archE906ELNS1_3gpuE6ELNS1_3repE0EEENS1_30default_config_static_selectorELNS0_4arch9wavefront6targetE1EEEvT1_
	.globl	_ZN7rocprim17ROCPRIM_400000_NS6detail17trampoline_kernelINS0_14default_configENS1_25partition_config_selectorILNS1_17partition_subalgoE1EyNS0_10empty_typeEbEEZZNS1_14partition_implILS5_1ELb0ES3_jN6thrust23THRUST_200600_302600_NS6detail15normal_iteratorINSA_10device_ptrIyEEEEPS6_NSA_18transform_iteratorI7is_evenIyESF_NSA_11use_defaultESK_EENS0_5tupleIJNSA_16discard_iteratorISK_EESF_EEENSM_IJSG_SG_EEES6_PlJS6_EEE10hipError_tPvRmT3_T4_T5_T6_T7_T9_mT8_P12ihipStream_tbDpT10_ENKUlT_T0_E_clISt17integral_constantIbLb1EES1A_IbLb0EEEEDaS16_S17_EUlS16_E_NS1_11comp_targetILNS1_3genE2ELNS1_11target_archE906ELNS1_3gpuE6ELNS1_3repE0EEENS1_30default_config_static_selectorELNS0_4arch9wavefront6targetE1EEEvT1_
	.p2align	8
	.type	_ZN7rocprim17ROCPRIM_400000_NS6detail17trampoline_kernelINS0_14default_configENS1_25partition_config_selectorILNS1_17partition_subalgoE1EyNS0_10empty_typeEbEEZZNS1_14partition_implILS5_1ELb0ES3_jN6thrust23THRUST_200600_302600_NS6detail15normal_iteratorINSA_10device_ptrIyEEEEPS6_NSA_18transform_iteratorI7is_evenIyESF_NSA_11use_defaultESK_EENS0_5tupleIJNSA_16discard_iteratorISK_EESF_EEENSM_IJSG_SG_EEES6_PlJS6_EEE10hipError_tPvRmT3_T4_T5_T6_T7_T9_mT8_P12ihipStream_tbDpT10_ENKUlT_T0_E_clISt17integral_constantIbLb1EES1A_IbLb0EEEEDaS16_S17_EUlS16_E_NS1_11comp_targetILNS1_3genE2ELNS1_11target_archE906ELNS1_3gpuE6ELNS1_3repE0EEENS1_30default_config_static_selectorELNS0_4arch9wavefront6targetE1EEEvT1_,@function
_ZN7rocprim17ROCPRIM_400000_NS6detail17trampoline_kernelINS0_14default_configENS1_25partition_config_selectorILNS1_17partition_subalgoE1EyNS0_10empty_typeEbEEZZNS1_14partition_implILS5_1ELb0ES3_jN6thrust23THRUST_200600_302600_NS6detail15normal_iteratorINSA_10device_ptrIyEEEEPS6_NSA_18transform_iteratorI7is_evenIyESF_NSA_11use_defaultESK_EENS0_5tupleIJNSA_16discard_iteratorISK_EESF_EEENSM_IJSG_SG_EEES6_PlJS6_EEE10hipError_tPvRmT3_T4_T5_T6_T7_T9_mT8_P12ihipStream_tbDpT10_ENKUlT_T0_E_clISt17integral_constantIbLb1EES1A_IbLb0EEEEDaS16_S17_EUlS16_E_NS1_11comp_targetILNS1_3genE2ELNS1_11target_archE906ELNS1_3gpuE6ELNS1_3repE0EEENS1_30default_config_static_selectorELNS0_4arch9wavefront6targetE1EEEvT1_: ; @_ZN7rocprim17ROCPRIM_400000_NS6detail17trampoline_kernelINS0_14default_configENS1_25partition_config_selectorILNS1_17partition_subalgoE1EyNS0_10empty_typeEbEEZZNS1_14partition_implILS5_1ELb0ES3_jN6thrust23THRUST_200600_302600_NS6detail15normal_iteratorINSA_10device_ptrIyEEEEPS6_NSA_18transform_iteratorI7is_evenIyESF_NSA_11use_defaultESK_EENS0_5tupleIJNSA_16discard_iteratorISK_EESF_EEENSM_IJSG_SG_EEES6_PlJS6_EEE10hipError_tPvRmT3_T4_T5_T6_T7_T9_mT8_P12ihipStream_tbDpT10_ENKUlT_T0_E_clISt17integral_constantIbLb1EES1A_IbLb0EEEEDaS16_S17_EUlS16_E_NS1_11comp_targetILNS1_3genE2ELNS1_11target_archE906ELNS1_3gpuE6ELNS1_3repE0EEENS1_30default_config_static_selectorELNS0_4arch9wavefront6targetE1EEEvT1_
; %bb.0:
	.section	.rodata,"a",@progbits
	.p2align	6, 0x0
	.amdhsa_kernel _ZN7rocprim17ROCPRIM_400000_NS6detail17trampoline_kernelINS0_14default_configENS1_25partition_config_selectorILNS1_17partition_subalgoE1EyNS0_10empty_typeEbEEZZNS1_14partition_implILS5_1ELb0ES3_jN6thrust23THRUST_200600_302600_NS6detail15normal_iteratorINSA_10device_ptrIyEEEEPS6_NSA_18transform_iteratorI7is_evenIyESF_NSA_11use_defaultESK_EENS0_5tupleIJNSA_16discard_iteratorISK_EESF_EEENSM_IJSG_SG_EEES6_PlJS6_EEE10hipError_tPvRmT3_T4_T5_T6_T7_T9_mT8_P12ihipStream_tbDpT10_ENKUlT_T0_E_clISt17integral_constantIbLb1EES1A_IbLb0EEEEDaS16_S17_EUlS16_E_NS1_11comp_targetILNS1_3genE2ELNS1_11target_archE906ELNS1_3gpuE6ELNS1_3repE0EEENS1_30default_config_static_selectorELNS0_4arch9wavefront6targetE1EEEvT1_
		.amdhsa_group_segment_fixed_size 0
		.amdhsa_private_segment_fixed_size 0
		.amdhsa_kernarg_size 136
		.amdhsa_user_sgpr_count 2
		.amdhsa_user_sgpr_dispatch_ptr 0
		.amdhsa_user_sgpr_queue_ptr 0
		.amdhsa_user_sgpr_kernarg_segment_ptr 1
		.amdhsa_user_sgpr_dispatch_id 0
		.amdhsa_user_sgpr_kernarg_preload_length 0
		.amdhsa_user_sgpr_kernarg_preload_offset 0
		.amdhsa_user_sgpr_private_segment_size 0
		.amdhsa_uses_dynamic_stack 0
		.amdhsa_enable_private_segment 0
		.amdhsa_system_sgpr_workgroup_id_x 1
		.amdhsa_system_sgpr_workgroup_id_y 0
		.amdhsa_system_sgpr_workgroup_id_z 0
		.amdhsa_system_sgpr_workgroup_info 0
		.amdhsa_system_vgpr_workitem_id 0
		.amdhsa_next_free_vgpr 1
		.amdhsa_next_free_sgpr 0
		.amdhsa_accum_offset 4
		.amdhsa_reserve_vcc 0
		.amdhsa_float_round_mode_32 0
		.amdhsa_float_round_mode_16_64 0
		.amdhsa_float_denorm_mode_32 3
		.amdhsa_float_denorm_mode_16_64 3
		.amdhsa_dx10_clamp 1
		.amdhsa_ieee_mode 1
		.amdhsa_fp16_overflow 0
		.amdhsa_tg_split 0
		.amdhsa_exception_fp_ieee_invalid_op 0
		.amdhsa_exception_fp_denorm_src 0
		.amdhsa_exception_fp_ieee_div_zero 0
		.amdhsa_exception_fp_ieee_overflow 0
		.amdhsa_exception_fp_ieee_underflow 0
		.amdhsa_exception_fp_ieee_inexact 0
		.amdhsa_exception_int_div_zero 0
	.end_amdhsa_kernel
	.section	.text._ZN7rocprim17ROCPRIM_400000_NS6detail17trampoline_kernelINS0_14default_configENS1_25partition_config_selectorILNS1_17partition_subalgoE1EyNS0_10empty_typeEbEEZZNS1_14partition_implILS5_1ELb0ES3_jN6thrust23THRUST_200600_302600_NS6detail15normal_iteratorINSA_10device_ptrIyEEEEPS6_NSA_18transform_iteratorI7is_evenIyESF_NSA_11use_defaultESK_EENS0_5tupleIJNSA_16discard_iteratorISK_EESF_EEENSM_IJSG_SG_EEES6_PlJS6_EEE10hipError_tPvRmT3_T4_T5_T6_T7_T9_mT8_P12ihipStream_tbDpT10_ENKUlT_T0_E_clISt17integral_constantIbLb1EES1A_IbLb0EEEEDaS16_S17_EUlS16_E_NS1_11comp_targetILNS1_3genE2ELNS1_11target_archE906ELNS1_3gpuE6ELNS1_3repE0EEENS1_30default_config_static_selectorELNS0_4arch9wavefront6targetE1EEEvT1_,"axG",@progbits,_ZN7rocprim17ROCPRIM_400000_NS6detail17trampoline_kernelINS0_14default_configENS1_25partition_config_selectorILNS1_17partition_subalgoE1EyNS0_10empty_typeEbEEZZNS1_14partition_implILS5_1ELb0ES3_jN6thrust23THRUST_200600_302600_NS6detail15normal_iteratorINSA_10device_ptrIyEEEEPS6_NSA_18transform_iteratorI7is_evenIyESF_NSA_11use_defaultESK_EENS0_5tupleIJNSA_16discard_iteratorISK_EESF_EEENSM_IJSG_SG_EEES6_PlJS6_EEE10hipError_tPvRmT3_T4_T5_T6_T7_T9_mT8_P12ihipStream_tbDpT10_ENKUlT_T0_E_clISt17integral_constantIbLb1EES1A_IbLb0EEEEDaS16_S17_EUlS16_E_NS1_11comp_targetILNS1_3genE2ELNS1_11target_archE906ELNS1_3gpuE6ELNS1_3repE0EEENS1_30default_config_static_selectorELNS0_4arch9wavefront6targetE1EEEvT1_,comdat
.Lfunc_end2959:
	.size	_ZN7rocprim17ROCPRIM_400000_NS6detail17trampoline_kernelINS0_14default_configENS1_25partition_config_selectorILNS1_17partition_subalgoE1EyNS0_10empty_typeEbEEZZNS1_14partition_implILS5_1ELb0ES3_jN6thrust23THRUST_200600_302600_NS6detail15normal_iteratorINSA_10device_ptrIyEEEEPS6_NSA_18transform_iteratorI7is_evenIyESF_NSA_11use_defaultESK_EENS0_5tupleIJNSA_16discard_iteratorISK_EESF_EEENSM_IJSG_SG_EEES6_PlJS6_EEE10hipError_tPvRmT3_T4_T5_T6_T7_T9_mT8_P12ihipStream_tbDpT10_ENKUlT_T0_E_clISt17integral_constantIbLb1EES1A_IbLb0EEEEDaS16_S17_EUlS16_E_NS1_11comp_targetILNS1_3genE2ELNS1_11target_archE906ELNS1_3gpuE6ELNS1_3repE0EEENS1_30default_config_static_selectorELNS0_4arch9wavefront6targetE1EEEvT1_, .Lfunc_end2959-_ZN7rocprim17ROCPRIM_400000_NS6detail17trampoline_kernelINS0_14default_configENS1_25partition_config_selectorILNS1_17partition_subalgoE1EyNS0_10empty_typeEbEEZZNS1_14partition_implILS5_1ELb0ES3_jN6thrust23THRUST_200600_302600_NS6detail15normal_iteratorINSA_10device_ptrIyEEEEPS6_NSA_18transform_iteratorI7is_evenIyESF_NSA_11use_defaultESK_EENS0_5tupleIJNSA_16discard_iteratorISK_EESF_EEENSM_IJSG_SG_EEES6_PlJS6_EEE10hipError_tPvRmT3_T4_T5_T6_T7_T9_mT8_P12ihipStream_tbDpT10_ENKUlT_T0_E_clISt17integral_constantIbLb1EES1A_IbLb0EEEEDaS16_S17_EUlS16_E_NS1_11comp_targetILNS1_3genE2ELNS1_11target_archE906ELNS1_3gpuE6ELNS1_3repE0EEENS1_30default_config_static_selectorELNS0_4arch9wavefront6targetE1EEEvT1_
                                        ; -- End function
	.section	.AMDGPU.csdata,"",@progbits
; Kernel info:
; codeLenInByte = 0
; NumSgprs: 6
; NumVgprs: 0
; NumAgprs: 0
; TotalNumVgprs: 0
; ScratchSize: 0
; MemoryBound: 0
; FloatMode: 240
; IeeeMode: 1
; LDSByteSize: 0 bytes/workgroup (compile time only)
; SGPRBlocks: 0
; VGPRBlocks: 0
; NumSGPRsForWavesPerEU: 6
; NumVGPRsForWavesPerEU: 1
; AccumOffset: 4
; Occupancy: 8
; WaveLimiterHint : 0
; COMPUTE_PGM_RSRC2:SCRATCH_EN: 0
; COMPUTE_PGM_RSRC2:USER_SGPR: 2
; COMPUTE_PGM_RSRC2:TRAP_HANDLER: 0
; COMPUTE_PGM_RSRC2:TGID_X_EN: 1
; COMPUTE_PGM_RSRC2:TGID_Y_EN: 0
; COMPUTE_PGM_RSRC2:TGID_Z_EN: 0
; COMPUTE_PGM_RSRC2:TIDIG_COMP_CNT: 0
; COMPUTE_PGM_RSRC3_GFX90A:ACCUM_OFFSET: 0
; COMPUTE_PGM_RSRC3_GFX90A:TG_SPLIT: 0
	.section	.text._ZN7rocprim17ROCPRIM_400000_NS6detail17trampoline_kernelINS0_14default_configENS1_25partition_config_selectorILNS1_17partition_subalgoE1EyNS0_10empty_typeEbEEZZNS1_14partition_implILS5_1ELb0ES3_jN6thrust23THRUST_200600_302600_NS6detail15normal_iteratorINSA_10device_ptrIyEEEEPS6_NSA_18transform_iteratorI7is_evenIyESF_NSA_11use_defaultESK_EENS0_5tupleIJNSA_16discard_iteratorISK_EESF_EEENSM_IJSG_SG_EEES6_PlJS6_EEE10hipError_tPvRmT3_T4_T5_T6_T7_T9_mT8_P12ihipStream_tbDpT10_ENKUlT_T0_E_clISt17integral_constantIbLb1EES1A_IbLb0EEEEDaS16_S17_EUlS16_E_NS1_11comp_targetILNS1_3genE10ELNS1_11target_archE1200ELNS1_3gpuE4ELNS1_3repE0EEENS1_30default_config_static_selectorELNS0_4arch9wavefront6targetE1EEEvT1_,"axG",@progbits,_ZN7rocprim17ROCPRIM_400000_NS6detail17trampoline_kernelINS0_14default_configENS1_25partition_config_selectorILNS1_17partition_subalgoE1EyNS0_10empty_typeEbEEZZNS1_14partition_implILS5_1ELb0ES3_jN6thrust23THRUST_200600_302600_NS6detail15normal_iteratorINSA_10device_ptrIyEEEEPS6_NSA_18transform_iteratorI7is_evenIyESF_NSA_11use_defaultESK_EENS0_5tupleIJNSA_16discard_iteratorISK_EESF_EEENSM_IJSG_SG_EEES6_PlJS6_EEE10hipError_tPvRmT3_T4_T5_T6_T7_T9_mT8_P12ihipStream_tbDpT10_ENKUlT_T0_E_clISt17integral_constantIbLb1EES1A_IbLb0EEEEDaS16_S17_EUlS16_E_NS1_11comp_targetILNS1_3genE10ELNS1_11target_archE1200ELNS1_3gpuE4ELNS1_3repE0EEENS1_30default_config_static_selectorELNS0_4arch9wavefront6targetE1EEEvT1_,comdat
	.protected	_ZN7rocprim17ROCPRIM_400000_NS6detail17trampoline_kernelINS0_14default_configENS1_25partition_config_selectorILNS1_17partition_subalgoE1EyNS0_10empty_typeEbEEZZNS1_14partition_implILS5_1ELb0ES3_jN6thrust23THRUST_200600_302600_NS6detail15normal_iteratorINSA_10device_ptrIyEEEEPS6_NSA_18transform_iteratorI7is_evenIyESF_NSA_11use_defaultESK_EENS0_5tupleIJNSA_16discard_iteratorISK_EESF_EEENSM_IJSG_SG_EEES6_PlJS6_EEE10hipError_tPvRmT3_T4_T5_T6_T7_T9_mT8_P12ihipStream_tbDpT10_ENKUlT_T0_E_clISt17integral_constantIbLb1EES1A_IbLb0EEEEDaS16_S17_EUlS16_E_NS1_11comp_targetILNS1_3genE10ELNS1_11target_archE1200ELNS1_3gpuE4ELNS1_3repE0EEENS1_30default_config_static_selectorELNS0_4arch9wavefront6targetE1EEEvT1_ ; -- Begin function _ZN7rocprim17ROCPRIM_400000_NS6detail17trampoline_kernelINS0_14default_configENS1_25partition_config_selectorILNS1_17partition_subalgoE1EyNS0_10empty_typeEbEEZZNS1_14partition_implILS5_1ELb0ES3_jN6thrust23THRUST_200600_302600_NS6detail15normal_iteratorINSA_10device_ptrIyEEEEPS6_NSA_18transform_iteratorI7is_evenIyESF_NSA_11use_defaultESK_EENS0_5tupleIJNSA_16discard_iteratorISK_EESF_EEENSM_IJSG_SG_EEES6_PlJS6_EEE10hipError_tPvRmT3_T4_T5_T6_T7_T9_mT8_P12ihipStream_tbDpT10_ENKUlT_T0_E_clISt17integral_constantIbLb1EES1A_IbLb0EEEEDaS16_S17_EUlS16_E_NS1_11comp_targetILNS1_3genE10ELNS1_11target_archE1200ELNS1_3gpuE4ELNS1_3repE0EEENS1_30default_config_static_selectorELNS0_4arch9wavefront6targetE1EEEvT1_
	.globl	_ZN7rocprim17ROCPRIM_400000_NS6detail17trampoline_kernelINS0_14default_configENS1_25partition_config_selectorILNS1_17partition_subalgoE1EyNS0_10empty_typeEbEEZZNS1_14partition_implILS5_1ELb0ES3_jN6thrust23THRUST_200600_302600_NS6detail15normal_iteratorINSA_10device_ptrIyEEEEPS6_NSA_18transform_iteratorI7is_evenIyESF_NSA_11use_defaultESK_EENS0_5tupleIJNSA_16discard_iteratorISK_EESF_EEENSM_IJSG_SG_EEES6_PlJS6_EEE10hipError_tPvRmT3_T4_T5_T6_T7_T9_mT8_P12ihipStream_tbDpT10_ENKUlT_T0_E_clISt17integral_constantIbLb1EES1A_IbLb0EEEEDaS16_S17_EUlS16_E_NS1_11comp_targetILNS1_3genE10ELNS1_11target_archE1200ELNS1_3gpuE4ELNS1_3repE0EEENS1_30default_config_static_selectorELNS0_4arch9wavefront6targetE1EEEvT1_
	.p2align	8
	.type	_ZN7rocprim17ROCPRIM_400000_NS6detail17trampoline_kernelINS0_14default_configENS1_25partition_config_selectorILNS1_17partition_subalgoE1EyNS0_10empty_typeEbEEZZNS1_14partition_implILS5_1ELb0ES3_jN6thrust23THRUST_200600_302600_NS6detail15normal_iteratorINSA_10device_ptrIyEEEEPS6_NSA_18transform_iteratorI7is_evenIyESF_NSA_11use_defaultESK_EENS0_5tupleIJNSA_16discard_iteratorISK_EESF_EEENSM_IJSG_SG_EEES6_PlJS6_EEE10hipError_tPvRmT3_T4_T5_T6_T7_T9_mT8_P12ihipStream_tbDpT10_ENKUlT_T0_E_clISt17integral_constantIbLb1EES1A_IbLb0EEEEDaS16_S17_EUlS16_E_NS1_11comp_targetILNS1_3genE10ELNS1_11target_archE1200ELNS1_3gpuE4ELNS1_3repE0EEENS1_30default_config_static_selectorELNS0_4arch9wavefront6targetE1EEEvT1_,@function
_ZN7rocprim17ROCPRIM_400000_NS6detail17trampoline_kernelINS0_14default_configENS1_25partition_config_selectorILNS1_17partition_subalgoE1EyNS0_10empty_typeEbEEZZNS1_14partition_implILS5_1ELb0ES3_jN6thrust23THRUST_200600_302600_NS6detail15normal_iteratorINSA_10device_ptrIyEEEEPS6_NSA_18transform_iteratorI7is_evenIyESF_NSA_11use_defaultESK_EENS0_5tupleIJNSA_16discard_iteratorISK_EESF_EEENSM_IJSG_SG_EEES6_PlJS6_EEE10hipError_tPvRmT3_T4_T5_T6_T7_T9_mT8_P12ihipStream_tbDpT10_ENKUlT_T0_E_clISt17integral_constantIbLb1EES1A_IbLb0EEEEDaS16_S17_EUlS16_E_NS1_11comp_targetILNS1_3genE10ELNS1_11target_archE1200ELNS1_3gpuE4ELNS1_3repE0EEENS1_30default_config_static_selectorELNS0_4arch9wavefront6targetE1EEEvT1_: ; @_ZN7rocprim17ROCPRIM_400000_NS6detail17trampoline_kernelINS0_14default_configENS1_25partition_config_selectorILNS1_17partition_subalgoE1EyNS0_10empty_typeEbEEZZNS1_14partition_implILS5_1ELb0ES3_jN6thrust23THRUST_200600_302600_NS6detail15normal_iteratorINSA_10device_ptrIyEEEEPS6_NSA_18transform_iteratorI7is_evenIyESF_NSA_11use_defaultESK_EENS0_5tupleIJNSA_16discard_iteratorISK_EESF_EEENSM_IJSG_SG_EEES6_PlJS6_EEE10hipError_tPvRmT3_T4_T5_T6_T7_T9_mT8_P12ihipStream_tbDpT10_ENKUlT_T0_E_clISt17integral_constantIbLb1EES1A_IbLb0EEEEDaS16_S17_EUlS16_E_NS1_11comp_targetILNS1_3genE10ELNS1_11target_archE1200ELNS1_3gpuE4ELNS1_3repE0EEENS1_30default_config_static_selectorELNS0_4arch9wavefront6targetE1EEEvT1_
; %bb.0:
	.section	.rodata,"a",@progbits
	.p2align	6, 0x0
	.amdhsa_kernel _ZN7rocprim17ROCPRIM_400000_NS6detail17trampoline_kernelINS0_14default_configENS1_25partition_config_selectorILNS1_17partition_subalgoE1EyNS0_10empty_typeEbEEZZNS1_14partition_implILS5_1ELb0ES3_jN6thrust23THRUST_200600_302600_NS6detail15normal_iteratorINSA_10device_ptrIyEEEEPS6_NSA_18transform_iteratorI7is_evenIyESF_NSA_11use_defaultESK_EENS0_5tupleIJNSA_16discard_iteratorISK_EESF_EEENSM_IJSG_SG_EEES6_PlJS6_EEE10hipError_tPvRmT3_T4_T5_T6_T7_T9_mT8_P12ihipStream_tbDpT10_ENKUlT_T0_E_clISt17integral_constantIbLb1EES1A_IbLb0EEEEDaS16_S17_EUlS16_E_NS1_11comp_targetILNS1_3genE10ELNS1_11target_archE1200ELNS1_3gpuE4ELNS1_3repE0EEENS1_30default_config_static_selectorELNS0_4arch9wavefront6targetE1EEEvT1_
		.amdhsa_group_segment_fixed_size 0
		.amdhsa_private_segment_fixed_size 0
		.amdhsa_kernarg_size 136
		.amdhsa_user_sgpr_count 2
		.amdhsa_user_sgpr_dispatch_ptr 0
		.amdhsa_user_sgpr_queue_ptr 0
		.amdhsa_user_sgpr_kernarg_segment_ptr 1
		.amdhsa_user_sgpr_dispatch_id 0
		.amdhsa_user_sgpr_kernarg_preload_length 0
		.amdhsa_user_sgpr_kernarg_preload_offset 0
		.amdhsa_user_sgpr_private_segment_size 0
		.amdhsa_uses_dynamic_stack 0
		.amdhsa_enable_private_segment 0
		.amdhsa_system_sgpr_workgroup_id_x 1
		.amdhsa_system_sgpr_workgroup_id_y 0
		.amdhsa_system_sgpr_workgroup_id_z 0
		.amdhsa_system_sgpr_workgroup_info 0
		.amdhsa_system_vgpr_workitem_id 0
		.amdhsa_next_free_vgpr 1
		.amdhsa_next_free_sgpr 0
		.amdhsa_accum_offset 4
		.amdhsa_reserve_vcc 0
		.amdhsa_float_round_mode_32 0
		.amdhsa_float_round_mode_16_64 0
		.amdhsa_float_denorm_mode_32 3
		.amdhsa_float_denorm_mode_16_64 3
		.amdhsa_dx10_clamp 1
		.amdhsa_ieee_mode 1
		.amdhsa_fp16_overflow 0
		.amdhsa_tg_split 0
		.amdhsa_exception_fp_ieee_invalid_op 0
		.amdhsa_exception_fp_denorm_src 0
		.amdhsa_exception_fp_ieee_div_zero 0
		.amdhsa_exception_fp_ieee_overflow 0
		.amdhsa_exception_fp_ieee_underflow 0
		.amdhsa_exception_fp_ieee_inexact 0
		.amdhsa_exception_int_div_zero 0
	.end_amdhsa_kernel
	.section	.text._ZN7rocprim17ROCPRIM_400000_NS6detail17trampoline_kernelINS0_14default_configENS1_25partition_config_selectorILNS1_17partition_subalgoE1EyNS0_10empty_typeEbEEZZNS1_14partition_implILS5_1ELb0ES3_jN6thrust23THRUST_200600_302600_NS6detail15normal_iteratorINSA_10device_ptrIyEEEEPS6_NSA_18transform_iteratorI7is_evenIyESF_NSA_11use_defaultESK_EENS0_5tupleIJNSA_16discard_iteratorISK_EESF_EEENSM_IJSG_SG_EEES6_PlJS6_EEE10hipError_tPvRmT3_T4_T5_T6_T7_T9_mT8_P12ihipStream_tbDpT10_ENKUlT_T0_E_clISt17integral_constantIbLb1EES1A_IbLb0EEEEDaS16_S17_EUlS16_E_NS1_11comp_targetILNS1_3genE10ELNS1_11target_archE1200ELNS1_3gpuE4ELNS1_3repE0EEENS1_30default_config_static_selectorELNS0_4arch9wavefront6targetE1EEEvT1_,"axG",@progbits,_ZN7rocprim17ROCPRIM_400000_NS6detail17trampoline_kernelINS0_14default_configENS1_25partition_config_selectorILNS1_17partition_subalgoE1EyNS0_10empty_typeEbEEZZNS1_14partition_implILS5_1ELb0ES3_jN6thrust23THRUST_200600_302600_NS6detail15normal_iteratorINSA_10device_ptrIyEEEEPS6_NSA_18transform_iteratorI7is_evenIyESF_NSA_11use_defaultESK_EENS0_5tupleIJNSA_16discard_iteratorISK_EESF_EEENSM_IJSG_SG_EEES6_PlJS6_EEE10hipError_tPvRmT3_T4_T5_T6_T7_T9_mT8_P12ihipStream_tbDpT10_ENKUlT_T0_E_clISt17integral_constantIbLb1EES1A_IbLb0EEEEDaS16_S17_EUlS16_E_NS1_11comp_targetILNS1_3genE10ELNS1_11target_archE1200ELNS1_3gpuE4ELNS1_3repE0EEENS1_30default_config_static_selectorELNS0_4arch9wavefront6targetE1EEEvT1_,comdat
.Lfunc_end2960:
	.size	_ZN7rocprim17ROCPRIM_400000_NS6detail17trampoline_kernelINS0_14default_configENS1_25partition_config_selectorILNS1_17partition_subalgoE1EyNS0_10empty_typeEbEEZZNS1_14partition_implILS5_1ELb0ES3_jN6thrust23THRUST_200600_302600_NS6detail15normal_iteratorINSA_10device_ptrIyEEEEPS6_NSA_18transform_iteratorI7is_evenIyESF_NSA_11use_defaultESK_EENS0_5tupleIJNSA_16discard_iteratorISK_EESF_EEENSM_IJSG_SG_EEES6_PlJS6_EEE10hipError_tPvRmT3_T4_T5_T6_T7_T9_mT8_P12ihipStream_tbDpT10_ENKUlT_T0_E_clISt17integral_constantIbLb1EES1A_IbLb0EEEEDaS16_S17_EUlS16_E_NS1_11comp_targetILNS1_3genE10ELNS1_11target_archE1200ELNS1_3gpuE4ELNS1_3repE0EEENS1_30default_config_static_selectorELNS0_4arch9wavefront6targetE1EEEvT1_, .Lfunc_end2960-_ZN7rocprim17ROCPRIM_400000_NS6detail17trampoline_kernelINS0_14default_configENS1_25partition_config_selectorILNS1_17partition_subalgoE1EyNS0_10empty_typeEbEEZZNS1_14partition_implILS5_1ELb0ES3_jN6thrust23THRUST_200600_302600_NS6detail15normal_iteratorINSA_10device_ptrIyEEEEPS6_NSA_18transform_iteratorI7is_evenIyESF_NSA_11use_defaultESK_EENS0_5tupleIJNSA_16discard_iteratorISK_EESF_EEENSM_IJSG_SG_EEES6_PlJS6_EEE10hipError_tPvRmT3_T4_T5_T6_T7_T9_mT8_P12ihipStream_tbDpT10_ENKUlT_T0_E_clISt17integral_constantIbLb1EES1A_IbLb0EEEEDaS16_S17_EUlS16_E_NS1_11comp_targetILNS1_3genE10ELNS1_11target_archE1200ELNS1_3gpuE4ELNS1_3repE0EEENS1_30default_config_static_selectorELNS0_4arch9wavefront6targetE1EEEvT1_
                                        ; -- End function
	.section	.AMDGPU.csdata,"",@progbits
; Kernel info:
; codeLenInByte = 0
; NumSgprs: 6
; NumVgprs: 0
; NumAgprs: 0
; TotalNumVgprs: 0
; ScratchSize: 0
; MemoryBound: 0
; FloatMode: 240
; IeeeMode: 1
; LDSByteSize: 0 bytes/workgroup (compile time only)
; SGPRBlocks: 0
; VGPRBlocks: 0
; NumSGPRsForWavesPerEU: 6
; NumVGPRsForWavesPerEU: 1
; AccumOffset: 4
; Occupancy: 8
; WaveLimiterHint : 0
; COMPUTE_PGM_RSRC2:SCRATCH_EN: 0
; COMPUTE_PGM_RSRC2:USER_SGPR: 2
; COMPUTE_PGM_RSRC2:TRAP_HANDLER: 0
; COMPUTE_PGM_RSRC2:TGID_X_EN: 1
; COMPUTE_PGM_RSRC2:TGID_Y_EN: 0
; COMPUTE_PGM_RSRC2:TGID_Z_EN: 0
; COMPUTE_PGM_RSRC2:TIDIG_COMP_CNT: 0
; COMPUTE_PGM_RSRC3_GFX90A:ACCUM_OFFSET: 0
; COMPUTE_PGM_RSRC3_GFX90A:TG_SPLIT: 0
	.section	.text._ZN7rocprim17ROCPRIM_400000_NS6detail17trampoline_kernelINS0_14default_configENS1_25partition_config_selectorILNS1_17partition_subalgoE1EyNS0_10empty_typeEbEEZZNS1_14partition_implILS5_1ELb0ES3_jN6thrust23THRUST_200600_302600_NS6detail15normal_iteratorINSA_10device_ptrIyEEEEPS6_NSA_18transform_iteratorI7is_evenIyESF_NSA_11use_defaultESK_EENS0_5tupleIJNSA_16discard_iteratorISK_EESF_EEENSM_IJSG_SG_EEES6_PlJS6_EEE10hipError_tPvRmT3_T4_T5_T6_T7_T9_mT8_P12ihipStream_tbDpT10_ENKUlT_T0_E_clISt17integral_constantIbLb1EES1A_IbLb0EEEEDaS16_S17_EUlS16_E_NS1_11comp_targetILNS1_3genE9ELNS1_11target_archE1100ELNS1_3gpuE3ELNS1_3repE0EEENS1_30default_config_static_selectorELNS0_4arch9wavefront6targetE1EEEvT1_,"axG",@progbits,_ZN7rocprim17ROCPRIM_400000_NS6detail17trampoline_kernelINS0_14default_configENS1_25partition_config_selectorILNS1_17partition_subalgoE1EyNS0_10empty_typeEbEEZZNS1_14partition_implILS5_1ELb0ES3_jN6thrust23THRUST_200600_302600_NS6detail15normal_iteratorINSA_10device_ptrIyEEEEPS6_NSA_18transform_iteratorI7is_evenIyESF_NSA_11use_defaultESK_EENS0_5tupleIJNSA_16discard_iteratorISK_EESF_EEENSM_IJSG_SG_EEES6_PlJS6_EEE10hipError_tPvRmT3_T4_T5_T6_T7_T9_mT8_P12ihipStream_tbDpT10_ENKUlT_T0_E_clISt17integral_constantIbLb1EES1A_IbLb0EEEEDaS16_S17_EUlS16_E_NS1_11comp_targetILNS1_3genE9ELNS1_11target_archE1100ELNS1_3gpuE3ELNS1_3repE0EEENS1_30default_config_static_selectorELNS0_4arch9wavefront6targetE1EEEvT1_,comdat
	.protected	_ZN7rocprim17ROCPRIM_400000_NS6detail17trampoline_kernelINS0_14default_configENS1_25partition_config_selectorILNS1_17partition_subalgoE1EyNS0_10empty_typeEbEEZZNS1_14partition_implILS5_1ELb0ES3_jN6thrust23THRUST_200600_302600_NS6detail15normal_iteratorINSA_10device_ptrIyEEEEPS6_NSA_18transform_iteratorI7is_evenIyESF_NSA_11use_defaultESK_EENS0_5tupleIJNSA_16discard_iteratorISK_EESF_EEENSM_IJSG_SG_EEES6_PlJS6_EEE10hipError_tPvRmT3_T4_T5_T6_T7_T9_mT8_P12ihipStream_tbDpT10_ENKUlT_T0_E_clISt17integral_constantIbLb1EES1A_IbLb0EEEEDaS16_S17_EUlS16_E_NS1_11comp_targetILNS1_3genE9ELNS1_11target_archE1100ELNS1_3gpuE3ELNS1_3repE0EEENS1_30default_config_static_selectorELNS0_4arch9wavefront6targetE1EEEvT1_ ; -- Begin function _ZN7rocprim17ROCPRIM_400000_NS6detail17trampoline_kernelINS0_14default_configENS1_25partition_config_selectorILNS1_17partition_subalgoE1EyNS0_10empty_typeEbEEZZNS1_14partition_implILS5_1ELb0ES3_jN6thrust23THRUST_200600_302600_NS6detail15normal_iteratorINSA_10device_ptrIyEEEEPS6_NSA_18transform_iteratorI7is_evenIyESF_NSA_11use_defaultESK_EENS0_5tupleIJNSA_16discard_iteratorISK_EESF_EEENSM_IJSG_SG_EEES6_PlJS6_EEE10hipError_tPvRmT3_T4_T5_T6_T7_T9_mT8_P12ihipStream_tbDpT10_ENKUlT_T0_E_clISt17integral_constantIbLb1EES1A_IbLb0EEEEDaS16_S17_EUlS16_E_NS1_11comp_targetILNS1_3genE9ELNS1_11target_archE1100ELNS1_3gpuE3ELNS1_3repE0EEENS1_30default_config_static_selectorELNS0_4arch9wavefront6targetE1EEEvT1_
	.globl	_ZN7rocprim17ROCPRIM_400000_NS6detail17trampoline_kernelINS0_14default_configENS1_25partition_config_selectorILNS1_17partition_subalgoE1EyNS0_10empty_typeEbEEZZNS1_14partition_implILS5_1ELb0ES3_jN6thrust23THRUST_200600_302600_NS6detail15normal_iteratorINSA_10device_ptrIyEEEEPS6_NSA_18transform_iteratorI7is_evenIyESF_NSA_11use_defaultESK_EENS0_5tupleIJNSA_16discard_iteratorISK_EESF_EEENSM_IJSG_SG_EEES6_PlJS6_EEE10hipError_tPvRmT3_T4_T5_T6_T7_T9_mT8_P12ihipStream_tbDpT10_ENKUlT_T0_E_clISt17integral_constantIbLb1EES1A_IbLb0EEEEDaS16_S17_EUlS16_E_NS1_11comp_targetILNS1_3genE9ELNS1_11target_archE1100ELNS1_3gpuE3ELNS1_3repE0EEENS1_30default_config_static_selectorELNS0_4arch9wavefront6targetE1EEEvT1_
	.p2align	8
	.type	_ZN7rocprim17ROCPRIM_400000_NS6detail17trampoline_kernelINS0_14default_configENS1_25partition_config_selectorILNS1_17partition_subalgoE1EyNS0_10empty_typeEbEEZZNS1_14partition_implILS5_1ELb0ES3_jN6thrust23THRUST_200600_302600_NS6detail15normal_iteratorINSA_10device_ptrIyEEEEPS6_NSA_18transform_iteratorI7is_evenIyESF_NSA_11use_defaultESK_EENS0_5tupleIJNSA_16discard_iteratorISK_EESF_EEENSM_IJSG_SG_EEES6_PlJS6_EEE10hipError_tPvRmT3_T4_T5_T6_T7_T9_mT8_P12ihipStream_tbDpT10_ENKUlT_T0_E_clISt17integral_constantIbLb1EES1A_IbLb0EEEEDaS16_S17_EUlS16_E_NS1_11comp_targetILNS1_3genE9ELNS1_11target_archE1100ELNS1_3gpuE3ELNS1_3repE0EEENS1_30default_config_static_selectorELNS0_4arch9wavefront6targetE1EEEvT1_,@function
_ZN7rocprim17ROCPRIM_400000_NS6detail17trampoline_kernelINS0_14default_configENS1_25partition_config_selectorILNS1_17partition_subalgoE1EyNS0_10empty_typeEbEEZZNS1_14partition_implILS5_1ELb0ES3_jN6thrust23THRUST_200600_302600_NS6detail15normal_iteratorINSA_10device_ptrIyEEEEPS6_NSA_18transform_iteratorI7is_evenIyESF_NSA_11use_defaultESK_EENS0_5tupleIJNSA_16discard_iteratorISK_EESF_EEENSM_IJSG_SG_EEES6_PlJS6_EEE10hipError_tPvRmT3_T4_T5_T6_T7_T9_mT8_P12ihipStream_tbDpT10_ENKUlT_T0_E_clISt17integral_constantIbLb1EES1A_IbLb0EEEEDaS16_S17_EUlS16_E_NS1_11comp_targetILNS1_3genE9ELNS1_11target_archE1100ELNS1_3gpuE3ELNS1_3repE0EEENS1_30default_config_static_selectorELNS0_4arch9wavefront6targetE1EEEvT1_: ; @_ZN7rocprim17ROCPRIM_400000_NS6detail17trampoline_kernelINS0_14default_configENS1_25partition_config_selectorILNS1_17partition_subalgoE1EyNS0_10empty_typeEbEEZZNS1_14partition_implILS5_1ELb0ES3_jN6thrust23THRUST_200600_302600_NS6detail15normal_iteratorINSA_10device_ptrIyEEEEPS6_NSA_18transform_iteratorI7is_evenIyESF_NSA_11use_defaultESK_EENS0_5tupleIJNSA_16discard_iteratorISK_EESF_EEENSM_IJSG_SG_EEES6_PlJS6_EEE10hipError_tPvRmT3_T4_T5_T6_T7_T9_mT8_P12ihipStream_tbDpT10_ENKUlT_T0_E_clISt17integral_constantIbLb1EES1A_IbLb0EEEEDaS16_S17_EUlS16_E_NS1_11comp_targetILNS1_3genE9ELNS1_11target_archE1100ELNS1_3gpuE3ELNS1_3repE0EEENS1_30default_config_static_selectorELNS0_4arch9wavefront6targetE1EEEvT1_
; %bb.0:
	.section	.rodata,"a",@progbits
	.p2align	6, 0x0
	.amdhsa_kernel _ZN7rocprim17ROCPRIM_400000_NS6detail17trampoline_kernelINS0_14default_configENS1_25partition_config_selectorILNS1_17partition_subalgoE1EyNS0_10empty_typeEbEEZZNS1_14partition_implILS5_1ELb0ES3_jN6thrust23THRUST_200600_302600_NS6detail15normal_iteratorINSA_10device_ptrIyEEEEPS6_NSA_18transform_iteratorI7is_evenIyESF_NSA_11use_defaultESK_EENS0_5tupleIJNSA_16discard_iteratorISK_EESF_EEENSM_IJSG_SG_EEES6_PlJS6_EEE10hipError_tPvRmT3_T4_T5_T6_T7_T9_mT8_P12ihipStream_tbDpT10_ENKUlT_T0_E_clISt17integral_constantIbLb1EES1A_IbLb0EEEEDaS16_S17_EUlS16_E_NS1_11comp_targetILNS1_3genE9ELNS1_11target_archE1100ELNS1_3gpuE3ELNS1_3repE0EEENS1_30default_config_static_selectorELNS0_4arch9wavefront6targetE1EEEvT1_
		.amdhsa_group_segment_fixed_size 0
		.amdhsa_private_segment_fixed_size 0
		.amdhsa_kernarg_size 136
		.amdhsa_user_sgpr_count 2
		.amdhsa_user_sgpr_dispatch_ptr 0
		.amdhsa_user_sgpr_queue_ptr 0
		.amdhsa_user_sgpr_kernarg_segment_ptr 1
		.amdhsa_user_sgpr_dispatch_id 0
		.amdhsa_user_sgpr_kernarg_preload_length 0
		.amdhsa_user_sgpr_kernarg_preload_offset 0
		.amdhsa_user_sgpr_private_segment_size 0
		.amdhsa_uses_dynamic_stack 0
		.amdhsa_enable_private_segment 0
		.amdhsa_system_sgpr_workgroup_id_x 1
		.amdhsa_system_sgpr_workgroup_id_y 0
		.amdhsa_system_sgpr_workgroup_id_z 0
		.amdhsa_system_sgpr_workgroup_info 0
		.amdhsa_system_vgpr_workitem_id 0
		.amdhsa_next_free_vgpr 1
		.amdhsa_next_free_sgpr 0
		.amdhsa_accum_offset 4
		.amdhsa_reserve_vcc 0
		.amdhsa_float_round_mode_32 0
		.amdhsa_float_round_mode_16_64 0
		.amdhsa_float_denorm_mode_32 3
		.amdhsa_float_denorm_mode_16_64 3
		.amdhsa_dx10_clamp 1
		.amdhsa_ieee_mode 1
		.amdhsa_fp16_overflow 0
		.amdhsa_tg_split 0
		.amdhsa_exception_fp_ieee_invalid_op 0
		.amdhsa_exception_fp_denorm_src 0
		.amdhsa_exception_fp_ieee_div_zero 0
		.amdhsa_exception_fp_ieee_overflow 0
		.amdhsa_exception_fp_ieee_underflow 0
		.amdhsa_exception_fp_ieee_inexact 0
		.amdhsa_exception_int_div_zero 0
	.end_amdhsa_kernel
	.section	.text._ZN7rocprim17ROCPRIM_400000_NS6detail17trampoline_kernelINS0_14default_configENS1_25partition_config_selectorILNS1_17partition_subalgoE1EyNS0_10empty_typeEbEEZZNS1_14partition_implILS5_1ELb0ES3_jN6thrust23THRUST_200600_302600_NS6detail15normal_iteratorINSA_10device_ptrIyEEEEPS6_NSA_18transform_iteratorI7is_evenIyESF_NSA_11use_defaultESK_EENS0_5tupleIJNSA_16discard_iteratorISK_EESF_EEENSM_IJSG_SG_EEES6_PlJS6_EEE10hipError_tPvRmT3_T4_T5_T6_T7_T9_mT8_P12ihipStream_tbDpT10_ENKUlT_T0_E_clISt17integral_constantIbLb1EES1A_IbLb0EEEEDaS16_S17_EUlS16_E_NS1_11comp_targetILNS1_3genE9ELNS1_11target_archE1100ELNS1_3gpuE3ELNS1_3repE0EEENS1_30default_config_static_selectorELNS0_4arch9wavefront6targetE1EEEvT1_,"axG",@progbits,_ZN7rocprim17ROCPRIM_400000_NS6detail17trampoline_kernelINS0_14default_configENS1_25partition_config_selectorILNS1_17partition_subalgoE1EyNS0_10empty_typeEbEEZZNS1_14partition_implILS5_1ELb0ES3_jN6thrust23THRUST_200600_302600_NS6detail15normal_iteratorINSA_10device_ptrIyEEEEPS6_NSA_18transform_iteratorI7is_evenIyESF_NSA_11use_defaultESK_EENS0_5tupleIJNSA_16discard_iteratorISK_EESF_EEENSM_IJSG_SG_EEES6_PlJS6_EEE10hipError_tPvRmT3_T4_T5_T6_T7_T9_mT8_P12ihipStream_tbDpT10_ENKUlT_T0_E_clISt17integral_constantIbLb1EES1A_IbLb0EEEEDaS16_S17_EUlS16_E_NS1_11comp_targetILNS1_3genE9ELNS1_11target_archE1100ELNS1_3gpuE3ELNS1_3repE0EEENS1_30default_config_static_selectorELNS0_4arch9wavefront6targetE1EEEvT1_,comdat
.Lfunc_end2961:
	.size	_ZN7rocprim17ROCPRIM_400000_NS6detail17trampoline_kernelINS0_14default_configENS1_25partition_config_selectorILNS1_17partition_subalgoE1EyNS0_10empty_typeEbEEZZNS1_14partition_implILS5_1ELb0ES3_jN6thrust23THRUST_200600_302600_NS6detail15normal_iteratorINSA_10device_ptrIyEEEEPS6_NSA_18transform_iteratorI7is_evenIyESF_NSA_11use_defaultESK_EENS0_5tupleIJNSA_16discard_iteratorISK_EESF_EEENSM_IJSG_SG_EEES6_PlJS6_EEE10hipError_tPvRmT3_T4_T5_T6_T7_T9_mT8_P12ihipStream_tbDpT10_ENKUlT_T0_E_clISt17integral_constantIbLb1EES1A_IbLb0EEEEDaS16_S17_EUlS16_E_NS1_11comp_targetILNS1_3genE9ELNS1_11target_archE1100ELNS1_3gpuE3ELNS1_3repE0EEENS1_30default_config_static_selectorELNS0_4arch9wavefront6targetE1EEEvT1_, .Lfunc_end2961-_ZN7rocprim17ROCPRIM_400000_NS6detail17trampoline_kernelINS0_14default_configENS1_25partition_config_selectorILNS1_17partition_subalgoE1EyNS0_10empty_typeEbEEZZNS1_14partition_implILS5_1ELb0ES3_jN6thrust23THRUST_200600_302600_NS6detail15normal_iteratorINSA_10device_ptrIyEEEEPS6_NSA_18transform_iteratorI7is_evenIyESF_NSA_11use_defaultESK_EENS0_5tupleIJNSA_16discard_iteratorISK_EESF_EEENSM_IJSG_SG_EEES6_PlJS6_EEE10hipError_tPvRmT3_T4_T5_T6_T7_T9_mT8_P12ihipStream_tbDpT10_ENKUlT_T0_E_clISt17integral_constantIbLb1EES1A_IbLb0EEEEDaS16_S17_EUlS16_E_NS1_11comp_targetILNS1_3genE9ELNS1_11target_archE1100ELNS1_3gpuE3ELNS1_3repE0EEENS1_30default_config_static_selectorELNS0_4arch9wavefront6targetE1EEEvT1_
                                        ; -- End function
	.section	.AMDGPU.csdata,"",@progbits
; Kernel info:
; codeLenInByte = 0
; NumSgprs: 6
; NumVgprs: 0
; NumAgprs: 0
; TotalNumVgprs: 0
; ScratchSize: 0
; MemoryBound: 0
; FloatMode: 240
; IeeeMode: 1
; LDSByteSize: 0 bytes/workgroup (compile time only)
; SGPRBlocks: 0
; VGPRBlocks: 0
; NumSGPRsForWavesPerEU: 6
; NumVGPRsForWavesPerEU: 1
; AccumOffset: 4
; Occupancy: 8
; WaveLimiterHint : 0
; COMPUTE_PGM_RSRC2:SCRATCH_EN: 0
; COMPUTE_PGM_RSRC2:USER_SGPR: 2
; COMPUTE_PGM_RSRC2:TRAP_HANDLER: 0
; COMPUTE_PGM_RSRC2:TGID_X_EN: 1
; COMPUTE_PGM_RSRC2:TGID_Y_EN: 0
; COMPUTE_PGM_RSRC2:TGID_Z_EN: 0
; COMPUTE_PGM_RSRC2:TIDIG_COMP_CNT: 0
; COMPUTE_PGM_RSRC3_GFX90A:ACCUM_OFFSET: 0
; COMPUTE_PGM_RSRC3_GFX90A:TG_SPLIT: 0
	.section	.text._ZN7rocprim17ROCPRIM_400000_NS6detail17trampoline_kernelINS0_14default_configENS1_25partition_config_selectorILNS1_17partition_subalgoE1EyNS0_10empty_typeEbEEZZNS1_14partition_implILS5_1ELb0ES3_jN6thrust23THRUST_200600_302600_NS6detail15normal_iteratorINSA_10device_ptrIyEEEEPS6_NSA_18transform_iteratorI7is_evenIyESF_NSA_11use_defaultESK_EENS0_5tupleIJNSA_16discard_iteratorISK_EESF_EEENSM_IJSG_SG_EEES6_PlJS6_EEE10hipError_tPvRmT3_T4_T5_T6_T7_T9_mT8_P12ihipStream_tbDpT10_ENKUlT_T0_E_clISt17integral_constantIbLb1EES1A_IbLb0EEEEDaS16_S17_EUlS16_E_NS1_11comp_targetILNS1_3genE8ELNS1_11target_archE1030ELNS1_3gpuE2ELNS1_3repE0EEENS1_30default_config_static_selectorELNS0_4arch9wavefront6targetE1EEEvT1_,"axG",@progbits,_ZN7rocprim17ROCPRIM_400000_NS6detail17trampoline_kernelINS0_14default_configENS1_25partition_config_selectorILNS1_17partition_subalgoE1EyNS0_10empty_typeEbEEZZNS1_14partition_implILS5_1ELb0ES3_jN6thrust23THRUST_200600_302600_NS6detail15normal_iteratorINSA_10device_ptrIyEEEEPS6_NSA_18transform_iteratorI7is_evenIyESF_NSA_11use_defaultESK_EENS0_5tupleIJNSA_16discard_iteratorISK_EESF_EEENSM_IJSG_SG_EEES6_PlJS6_EEE10hipError_tPvRmT3_T4_T5_T6_T7_T9_mT8_P12ihipStream_tbDpT10_ENKUlT_T0_E_clISt17integral_constantIbLb1EES1A_IbLb0EEEEDaS16_S17_EUlS16_E_NS1_11comp_targetILNS1_3genE8ELNS1_11target_archE1030ELNS1_3gpuE2ELNS1_3repE0EEENS1_30default_config_static_selectorELNS0_4arch9wavefront6targetE1EEEvT1_,comdat
	.protected	_ZN7rocprim17ROCPRIM_400000_NS6detail17trampoline_kernelINS0_14default_configENS1_25partition_config_selectorILNS1_17partition_subalgoE1EyNS0_10empty_typeEbEEZZNS1_14partition_implILS5_1ELb0ES3_jN6thrust23THRUST_200600_302600_NS6detail15normal_iteratorINSA_10device_ptrIyEEEEPS6_NSA_18transform_iteratorI7is_evenIyESF_NSA_11use_defaultESK_EENS0_5tupleIJNSA_16discard_iteratorISK_EESF_EEENSM_IJSG_SG_EEES6_PlJS6_EEE10hipError_tPvRmT3_T4_T5_T6_T7_T9_mT8_P12ihipStream_tbDpT10_ENKUlT_T0_E_clISt17integral_constantIbLb1EES1A_IbLb0EEEEDaS16_S17_EUlS16_E_NS1_11comp_targetILNS1_3genE8ELNS1_11target_archE1030ELNS1_3gpuE2ELNS1_3repE0EEENS1_30default_config_static_selectorELNS0_4arch9wavefront6targetE1EEEvT1_ ; -- Begin function _ZN7rocprim17ROCPRIM_400000_NS6detail17trampoline_kernelINS0_14default_configENS1_25partition_config_selectorILNS1_17partition_subalgoE1EyNS0_10empty_typeEbEEZZNS1_14partition_implILS5_1ELb0ES3_jN6thrust23THRUST_200600_302600_NS6detail15normal_iteratorINSA_10device_ptrIyEEEEPS6_NSA_18transform_iteratorI7is_evenIyESF_NSA_11use_defaultESK_EENS0_5tupleIJNSA_16discard_iteratorISK_EESF_EEENSM_IJSG_SG_EEES6_PlJS6_EEE10hipError_tPvRmT3_T4_T5_T6_T7_T9_mT8_P12ihipStream_tbDpT10_ENKUlT_T0_E_clISt17integral_constantIbLb1EES1A_IbLb0EEEEDaS16_S17_EUlS16_E_NS1_11comp_targetILNS1_3genE8ELNS1_11target_archE1030ELNS1_3gpuE2ELNS1_3repE0EEENS1_30default_config_static_selectorELNS0_4arch9wavefront6targetE1EEEvT1_
	.globl	_ZN7rocprim17ROCPRIM_400000_NS6detail17trampoline_kernelINS0_14default_configENS1_25partition_config_selectorILNS1_17partition_subalgoE1EyNS0_10empty_typeEbEEZZNS1_14partition_implILS5_1ELb0ES3_jN6thrust23THRUST_200600_302600_NS6detail15normal_iteratorINSA_10device_ptrIyEEEEPS6_NSA_18transform_iteratorI7is_evenIyESF_NSA_11use_defaultESK_EENS0_5tupleIJNSA_16discard_iteratorISK_EESF_EEENSM_IJSG_SG_EEES6_PlJS6_EEE10hipError_tPvRmT3_T4_T5_T6_T7_T9_mT8_P12ihipStream_tbDpT10_ENKUlT_T0_E_clISt17integral_constantIbLb1EES1A_IbLb0EEEEDaS16_S17_EUlS16_E_NS1_11comp_targetILNS1_3genE8ELNS1_11target_archE1030ELNS1_3gpuE2ELNS1_3repE0EEENS1_30default_config_static_selectorELNS0_4arch9wavefront6targetE1EEEvT1_
	.p2align	8
	.type	_ZN7rocprim17ROCPRIM_400000_NS6detail17trampoline_kernelINS0_14default_configENS1_25partition_config_selectorILNS1_17partition_subalgoE1EyNS0_10empty_typeEbEEZZNS1_14partition_implILS5_1ELb0ES3_jN6thrust23THRUST_200600_302600_NS6detail15normal_iteratorINSA_10device_ptrIyEEEEPS6_NSA_18transform_iteratorI7is_evenIyESF_NSA_11use_defaultESK_EENS0_5tupleIJNSA_16discard_iteratorISK_EESF_EEENSM_IJSG_SG_EEES6_PlJS6_EEE10hipError_tPvRmT3_T4_T5_T6_T7_T9_mT8_P12ihipStream_tbDpT10_ENKUlT_T0_E_clISt17integral_constantIbLb1EES1A_IbLb0EEEEDaS16_S17_EUlS16_E_NS1_11comp_targetILNS1_3genE8ELNS1_11target_archE1030ELNS1_3gpuE2ELNS1_3repE0EEENS1_30default_config_static_selectorELNS0_4arch9wavefront6targetE1EEEvT1_,@function
_ZN7rocprim17ROCPRIM_400000_NS6detail17trampoline_kernelINS0_14default_configENS1_25partition_config_selectorILNS1_17partition_subalgoE1EyNS0_10empty_typeEbEEZZNS1_14partition_implILS5_1ELb0ES3_jN6thrust23THRUST_200600_302600_NS6detail15normal_iteratorINSA_10device_ptrIyEEEEPS6_NSA_18transform_iteratorI7is_evenIyESF_NSA_11use_defaultESK_EENS0_5tupleIJNSA_16discard_iteratorISK_EESF_EEENSM_IJSG_SG_EEES6_PlJS6_EEE10hipError_tPvRmT3_T4_T5_T6_T7_T9_mT8_P12ihipStream_tbDpT10_ENKUlT_T0_E_clISt17integral_constantIbLb1EES1A_IbLb0EEEEDaS16_S17_EUlS16_E_NS1_11comp_targetILNS1_3genE8ELNS1_11target_archE1030ELNS1_3gpuE2ELNS1_3repE0EEENS1_30default_config_static_selectorELNS0_4arch9wavefront6targetE1EEEvT1_: ; @_ZN7rocprim17ROCPRIM_400000_NS6detail17trampoline_kernelINS0_14default_configENS1_25partition_config_selectorILNS1_17partition_subalgoE1EyNS0_10empty_typeEbEEZZNS1_14partition_implILS5_1ELb0ES3_jN6thrust23THRUST_200600_302600_NS6detail15normal_iteratorINSA_10device_ptrIyEEEEPS6_NSA_18transform_iteratorI7is_evenIyESF_NSA_11use_defaultESK_EENS0_5tupleIJNSA_16discard_iteratorISK_EESF_EEENSM_IJSG_SG_EEES6_PlJS6_EEE10hipError_tPvRmT3_T4_T5_T6_T7_T9_mT8_P12ihipStream_tbDpT10_ENKUlT_T0_E_clISt17integral_constantIbLb1EES1A_IbLb0EEEEDaS16_S17_EUlS16_E_NS1_11comp_targetILNS1_3genE8ELNS1_11target_archE1030ELNS1_3gpuE2ELNS1_3repE0EEENS1_30default_config_static_selectorELNS0_4arch9wavefront6targetE1EEEvT1_
; %bb.0:
	.section	.rodata,"a",@progbits
	.p2align	6, 0x0
	.amdhsa_kernel _ZN7rocprim17ROCPRIM_400000_NS6detail17trampoline_kernelINS0_14default_configENS1_25partition_config_selectorILNS1_17partition_subalgoE1EyNS0_10empty_typeEbEEZZNS1_14partition_implILS5_1ELb0ES3_jN6thrust23THRUST_200600_302600_NS6detail15normal_iteratorINSA_10device_ptrIyEEEEPS6_NSA_18transform_iteratorI7is_evenIyESF_NSA_11use_defaultESK_EENS0_5tupleIJNSA_16discard_iteratorISK_EESF_EEENSM_IJSG_SG_EEES6_PlJS6_EEE10hipError_tPvRmT3_T4_T5_T6_T7_T9_mT8_P12ihipStream_tbDpT10_ENKUlT_T0_E_clISt17integral_constantIbLb1EES1A_IbLb0EEEEDaS16_S17_EUlS16_E_NS1_11comp_targetILNS1_3genE8ELNS1_11target_archE1030ELNS1_3gpuE2ELNS1_3repE0EEENS1_30default_config_static_selectorELNS0_4arch9wavefront6targetE1EEEvT1_
		.amdhsa_group_segment_fixed_size 0
		.amdhsa_private_segment_fixed_size 0
		.amdhsa_kernarg_size 136
		.amdhsa_user_sgpr_count 2
		.amdhsa_user_sgpr_dispatch_ptr 0
		.amdhsa_user_sgpr_queue_ptr 0
		.amdhsa_user_sgpr_kernarg_segment_ptr 1
		.amdhsa_user_sgpr_dispatch_id 0
		.amdhsa_user_sgpr_kernarg_preload_length 0
		.amdhsa_user_sgpr_kernarg_preload_offset 0
		.amdhsa_user_sgpr_private_segment_size 0
		.amdhsa_uses_dynamic_stack 0
		.amdhsa_enable_private_segment 0
		.amdhsa_system_sgpr_workgroup_id_x 1
		.amdhsa_system_sgpr_workgroup_id_y 0
		.amdhsa_system_sgpr_workgroup_id_z 0
		.amdhsa_system_sgpr_workgroup_info 0
		.amdhsa_system_vgpr_workitem_id 0
		.amdhsa_next_free_vgpr 1
		.amdhsa_next_free_sgpr 0
		.amdhsa_accum_offset 4
		.amdhsa_reserve_vcc 0
		.amdhsa_float_round_mode_32 0
		.amdhsa_float_round_mode_16_64 0
		.amdhsa_float_denorm_mode_32 3
		.amdhsa_float_denorm_mode_16_64 3
		.amdhsa_dx10_clamp 1
		.amdhsa_ieee_mode 1
		.amdhsa_fp16_overflow 0
		.amdhsa_tg_split 0
		.amdhsa_exception_fp_ieee_invalid_op 0
		.amdhsa_exception_fp_denorm_src 0
		.amdhsa_exception_fp_ieee_div_zero 0
		.amdhsa_exception_fp_ieee_overflow 0
		.amdhsa_exception_fp_ieee_underflow 0
		.amdhsa_exception_fp_ieee_inexact 0
		.amdhsa_exception_int_div_zero 0
	.end_amdhsa_kernel
	.section	.text._ZN7rocprim17ROCPRIM_400000_NS6detail17trampoline_kernelINS0_14default_configENS1_25partition_config_selectorILNS1_17partition_subalgoE1EyNS0_10empty_typeEbEEZZNS1_14partition_implILS5_1ELb0ES3_jN6thrust23THRUST_200600_302600_NS6detail15normal_iteratorINSA_10device_ptrIyEEEEPS6_NSA_18transform_iteratorI7is_evenIyESF_NSA_11use_defaultESK_EENS0_5tupleIJNSA_16discard_iteratorISK_EESF_EEENSM_IJSG_SG_EEES6_PlJS6_EEE10hipError_tPvRmT3_T4_T5_T6_T7_T9_mT8_P12ihipStream_tbDpT10_ENKUlT_T0_E_clISt17integral_constantIbLb1EES1A_IbLb0EEEEDaS16_S17_EUlS16_E_NS1_11comp_targetILNS1_3genE8ELNS1_11target_archE1030ELNS1_3gpuE2ELNS1_3repE0EEENS1_30default_config_static_selectorELNS0_4arch9wavefront6targetE1EEEvT1_,"axG",@progbits,_ZN7rocprim17ROCPRIM_400000_NS6detail17trampoline_kernelINS0_14default_configENS1_25partition_config_selectorILNS1_17partition_subalgoE1EyNS0_10empty_typeEbEEZZNS1_14partition_implILS5_1ELb0ES3_jN6thrust23THRUST_200600_302600_NS6detail15normal_iteratorINSA_10device_ptrIyEEEEPS6_NSA_18transform_iteratorI7is_evenIyESF_NSA_11use_defaultESK_EENS0_5tupleIJNSA_16discard_iteratorISK_EESF_EEENSM_IJSG_SG_EEES6_PlJS6_EEE10hipError_tPvRmT3_T4_T5_T6_T7_T9_mT8_P12ihipStream_tbDpT10_ENKUlT_T0_E_clISt17integral_constantIbLb1EES1A_IbLb0EEEEDaS16_S17_EUlS16_E_NS1_11comp_targetILNS1_3genE8ELNS1_11target_archE1030ELNS1_3gpuE2ELNS1_3repE0EEENS1_30default_config_static_selectorELNS0_4arch9wavefront6targetE1EEEvT1_,comdat
.Lfunc_end2962:
	.size	_ZN7rocprim17ROCPRIM_400000_NS6detail17trampoline_kernelINS0_14default_configENS1_25partition_config_selectorILNS1_17partition_subalgoE1EyNS0_10empty_typeEbEEZZNS1_14partition_implILS5_1ELb0ES3_jN6thrust23THRUST_200600_302600_NS6detail15normal_iteratorINSA_10device_ptrIyEEEEPS6_NSA_18transform_iteratorI7is_evenIyESF_NSA_11use_defaultESK_EENS0_5tupleIJNSA_16discard_iteratorISK_EESF_EEENSM_IJSG_SG_EEES6_PlJS6_EEE10hipError_tPvRmT3_T4_T5_T6_T7_T9_mT8_P12ihipStream_tbDpT10_ENKUlT_T0_E_clISt17integral_constantIbLb1EES1A_IbLb0EEEEDaS16_S17_EUlS16_E_NS1_11comp_targetILNS1_3genE8ELNS1_11target_archE1030ELNS1_3gpuE2ELNS1_3repE0EEENS1_30default_config_static_selectorELNS0_4arch9wavefront6targetE1EEEvT1_, .Lfunc_end2962-_ZN7rocprim17ROCPRIM_400000_NS6detail17trampoline_kernelINS0_14default_configENS1_25partition_config_selectorILNS1_17partition_subalgoE1EyNS0_10empty_typeEbEEZZNS1_14partition_implILS5_1ELb0ES3_jN6thrust23THRUST_200600_302600_NS6detail15normal_iteratorINSA_10device_ptrIyEEEEPS6_NSA_18transform_iteratorI7is_evenIyESF_NSA_11use_defaultESK_EENS0_5tupleIJNSA_16discard_iteratorISK_EESF_EEENSM_IJSG_SG_EEES6_PlJS6_EEE10hipError_tPvRmT3_T4_T5_T6_T7_T9_mT8_P12ihipStream_tbDpT10_ENKUlT_T0_E_clISt17integral_constantIbLb1EES1A_IbLb0EEEEDaS16_S17_EUlS16_E_NS1_11comp_targetILNS1_3genE8ELNS1_11target_archE1030ELNS1_3gpuE2ELNS1_3repE0EEENS1_30default_config_static_selectorELNS0_4arch9wavefront6targetE1EEEvT1_
                                        ; -- End function
	.section	.AMDGPU.csdata,"",@progbits
; Kernel info:
; codeLenInByte = 0
; NumSgprs: 6
; NumVgprs: 0
; NumAgprs: 0
; TotalNumVgprs: 0
; ScratchSize: 0
; MemoryBound: 0
; FloatMode: 240
; IeeeMode: 1
; LDSByteSize: 0 bytes/workgroup (compile time only)
; SGPRBlocks: 0
; VGPRBlocks: 0
; NumSGPRsForWavesPerEU: 6
; NumVGPRsForWavesPerEU: 1
; AccumOffset: 4
; Occupancy: 8
; WaveLimiterHint : 0
; COMPUTE_PGM_RSRC2:SCRATCH_EN: 0
; COMPUTE_PGM_RSRC2:USER_SGPR: 2
; COMPUTE_PGM_RSRC2:TRAP_HANDLER: 0
; COMPUTE_PGM_RSRC2:TGID_X_EN: 1
; COMPUTE_PGM_RSRC2:TGID_Y_EN: 0
; COMPUTE_PGM_RSRC2:TGID_Z_EN: 0
; COMPUTE_PGM_RSRC2:TIDIG_COMP_CNT: 0
; COMPUTE_PGM_RSRC3_GFX90A:ACCUM_OFFSET: 0
; COMPUTE_PGM_RSRC3_GFX90A:TG_SPLIT: 0
	.section	.text._ZN7rocprim17ROCPRIM_400000_NS6detail17trampoline_kernelINS0_14default_configENS1_25partition_config_selectorILNS1_17partition_subalgoE1EyNS0_10empty_typeEbEEZZNS1_14partition_implILS5_1ELb0ES3_jN6thrust23THRUST_200600_302600_NS6detail15normal_iteratorINSA_10device_ptrIyEEEEPS6_NSA_18transform_iteratorI7is_evenIyESF_NSA_11use_defaultESK_EENS0_5tupleIJNSA_16discard_iteratorISK_EESF_EEENSM_IJSG_SG_EEES6_PlJS6_EEE10hipError_tPvRmT3_T4_T5_T6_T7_T9_mT8_P12ihipStream_tbDpT10_ENKUlT_T0_E_clISt17integral_constantIbLb0EES1A_IbLb1EEEEDaS16_S17_EUlS16_E_NS1_11comp_targetILNS1_3genE0ELNS1_11target_archE4294967295ELNS1_3gpuE0ELNS1_3repE0EEENS1_30default_config_static_selectorELNS0_4arch9wavefront6targetE1EEEvT1_,"axG",@progbits,_ZN7rocprim17ROCPRIM_400000_NS6detail17trampoline_kernelINS0_14default_configENS1_25partition_config_selectorILNS1_17partition_subalgoE1EyNS0_10empty_typeEbEEZZNS1_14partition_implILS5_1ELb0ES3_jN6thrust23THRUST_200600_302600_NS6detail15normal_iteratorINSA_10device_ptrIyEEEEPS6_NSA_18transform_iteratorI7is_evenIyESF_NSA_11use_defaultESK_EENS0_5tupleIJNSA_16discard_iteratorISK_EESF_EEENSM_IJSG_SG_EEES6_PlJS6_EEE10hipError_tPvRmT3_T4_T5_T6_T7_T9_mT8_P12ihipStream_tbDpT10_ENKUlT_T0_E_clISt17integral_constantIbLb0EES1A_IbLb1EEEEDaS16_S17_EUlS16_E_NS1_11comp_targetILNS1_3genE0ELNS1_11target_archE4294967295ELNS1_3gpuE0ELNS1_3repE0EEENS1_30default_config_static_selectorELNS0_4arch9wavefront6targetE1EEEvT1_,comdat
	.protected	_ZN7rocprim17ROCPRIM_400000_NS6detail17trampoline_kernelINS0_14default_configENS1_25partition_config_selectorILNS1_17partition_subalgoE1EyNS0_10empty_typeEbEEZZNS1_14partition_implILS5_1ELb0ES3_jN6thrust23THRUST_200600_302600_NS6detail15normal_iteratorINSA_10device_ptrIyEEEEPS6_NSA_18transform_iteratorI7is_evenIyESF_NSA_11use_defaultESK_EENS0_5tupleIJNSA_16discard_iteratorISK_EESF_EEENSM_IJSG_SG_EEES6_PlJS6_EEE10hipError_tPvRmT3_T4_T5_T6_T7_T9_mT8_P12ihipStream_tbDpT10_ENKUlT_T0_E_clISt17integral_constantIbLb0EES1A_IbLb1EEEEDaS16_S17_EUlS16_E_NS1_11comp_targetILNS1_3genE0ELNS1_11target_archE4294967295ELNS1_3gpuE0ELNS1_3repE0EEENS1_30default_config_static_selectorELNS0_4arch9wavefront6targetE1EEEvT1_ ; -- Begin function _ZN7rocprim17ROCPRIM_400000_NS6detail17trampoline_kernelINS0_14default_configENS1_25partition_config_selectorILNS1_17partition_subalgoE1EyNS0_10empty_typeEbEEZZNS1_14partition_implILS5_1ELb0ES3_jN6thrust23THRUST_200600_302600_NS6detail15normal_iteratorINSA_10device_ptrIyEEEEPS6_NSA_18transform_iteratorI7is_evenIyESF_NSA_11use_defaultESK_EENS0_5tupleIJNSA_16discard_iteratorISK_EESF_EEENSM_IJSG_SG_EEES6_PlJS6_EEE10hipError_tPvRmT3_T4_T5_T6_T7_T9_mT8_P12ihipStream_tbDpT10_ENKUlT_T0_E_clISt17integral_constantIbLb0EES1A_IbLb1EEEEDaS16_S17_EUlS16_E_NS1_11comp_targetILNS1_3genE0ELNS1_11target_archE4294967295ELNS1_3gpuE0ELNS1_3repE0EEENS1_30default_config_static_selectorELNS0_4arch9wavefront6targetE1EEEvT1_
	.globl	_ZN7rocprim17ROCPRIM_400000_NS6detail17trampoline_kernelINS0_14default_configENS1_25partition_config_selectorILNS1_17partition_subalgoE1EyNS0_10empty_typeEbEEZZNS1_14partition_implILS5_1ELb0ES3_jN6thrust23THRUST_200600_302600_NS6detail15normal_iteratorINSA_10device_ptrIyEEEEPS6_NSA_18transform_iteratorI7is_evenIyESF_NSA_11use_defaultESK_EENS0_5tupleIJNSA_16discard_iteratorISK_EESF_EEENSM_IJSG_SG_EEES6_PlJS6_EEE10hipError_tPvRmT3_T4_T5_T6_T7_T9_mT8_P12ihipStream_tbDpT10_ENKUlT_T0_E_clISt17integral_constantIbLb0EES1A_IbLb1EEEEDaS16_S17_EUlS16_E_NS1_11comp_targetILNS1_3genE0ELNS1_11target_archE4294967295ELNS1_3gpuE0ELNS1_3repE0EEENS1_30default_config_static_selectorELNS0_4arch9wavefront6targetE1EEEvT1_
	.p2align	8
	.type	_ZN7rocprim17ROCPRIM_400000_NS6detail17trampoline_kernelINS0_14default_configENS1_25partition_config_selectorILNS1_17partition_subalgoE1EyNS0_10empty_typeEbEEZZNS1_14partition_implILS5_1ELb0ES3_jN6thrust23THRUST_200600_302600_NS6detail15normal_iteratorINSA_10device_ptrIyEEEEPS6_NSA_18transform_iteratorI7is_evenIyESF_NSA_11use_defaultESK_EENS0_5tupleIJNSA_16discard_iteratorISK_EESF_EEENSM_IJSG_SG_EEES6_PlJS6_EEE10hipError_tPvRmT3_T4_T5_T6_T7_T9_mT8_P12ihipStream_tbDpT10_ENKUlT_T0_E_clISt17integral_constantIbLb0EES1A_IbLb1EEEEDaS16_S17_EUlS16_E_NS1_11comp_targetILNS1_3genE0ELNS1_11target_archE4294967295ELNS1_3gpuE0ELNS1_3repE0EEENS1_30default_config_static_selectorELNS0_4arch9wavefront6targetE1EEEvT1_,@function
_ZN7rocprim17ROCPRIM_400000_NS6detail17trampoline_kernelINS0_14default_configENS1_25partition_config_selectorILNS1_17partition_subalgoE1EyNS0_10empty_typeEbEEZZNS1_14partition_implILS5_1ELb0ES3_jN6thrust23THRUST_200600_302600_NS6detail15normal_iteratorINSA_10device_ptrIyEEEEPS6_NSA_18transform_iteratorI7is_evenIyESF_NSA_11use_defaultESK_EENS0_5tupleIJNSA_16discard_iteratorISK_EESF_EEENSM_IJSG_SG_EEES6_PlJS6_EEE10hipError_tPvRmT3_T4_T5_T6_T7_T9_mT8_P12ihipStream_tbDpT10_ENKUlT_T0_E_clISt17integral_constantIbLb0EES1A_IbLb1EEEEDaS16_S17_EUlS16_E_NS1_11comp_targetILNS1_3genE0ELNS1_11target_archE4294967295ELNS1_3gpuE0ELNS1_3repE0EEENS1_30default_config_static_selectorELNS0_4arch9wavefront6targetE1EEEvT1_: ; @_ZN7rocprim17ROCPRIM_400000_NS6detail17trampoline_kernelINS0_14default_configENS1_25partition_config_selectorILNS1_17partition_subalgoE1EyNS0_10empty_typeEbEEZZNS1_14partition_implILS5_1ELb0ES3_jN6thrust23THRUST_200600_302600_NS6detail15normal_iteratorINSA_10device_ptrIyEEEEPS6_NSA_18transform_iteratorI7is_evenIyESF_NSA_11use_defaultESK_EENS0_5tupleIJNSA_16discard_iteratorISK_EESF_EEENSM_IJSG_SG_EEES6_PlJS6_EEE10hipError_tPvRmT3_T4_T5_T6_T7_T9_mT8_P12ihipStream_tbDpT10_ENKUlT_T0_E_clISt17integral_constantIbLb0EES1A_IbLb1EEEEDaS16_S17_EUlS16_E_NS1_11comp_targetILNS1_3genE0ELNS1_11target_archE4294967295ELNS1_3gpuE0ELNS1_3repE0EEENS1_30default_config_static_selectorELNS0_4arch9wavefront6targetE1EEEvT1_
; %bb.0:
	.section	.rodata,"a",@progbits
	.p2align	6, 0x0
	.amdhsa_kernel _ZN7rocprim17ROCPRIM_400000_NS6detail17trampoline_kernelINS0_14default_configENS1_25partition_config_selectorILNS1_17partition_subalgoE1EyNS0_10empty_typeEbEEZZNS1_14partition_implILS5_1ELb0ES3_jN6thrust23THRUST_200600_302600_NS6detail15normal_iteratorINSA_10device_ptrIyEEEEPS6_NSA_18transform_iteratorI7is_evenIyESF_NSA_11use_defaultESK_EENS0_5tupleIJNSA_16discard_iteratorISK_EESF_EEENSM_IJSG_SG_EEES6_PlJS6_EEE10hipError_tPvRmT3_T4_T5_T6_T7_T9_mT8_P12ihipStream_tbDpT10_ENKUlT_T0_E_clISt17integral_constantIbLb0EES1A_IbLb1EEEEDaS16_S17_EUlS16_E_NS1_11comp_targetILNS1_3genE0ELNS1_11target_archE4294967295ELNS1_3gpuE0ELNS1_3repE0EEENS1_30default_config_static_selectorELNS0_4arch9wavefront6targetE1EEEvT1_
		.amdhsa_group_segment_fixed_size 0
		.amdhsa_private_segment_fixed_size 0
		.amdhsa_kernarg_size 152
		.amdhsa_user_sgpr_count 2
		.amdhsa_user_sgpr_dispatch_ptr 0
		.amdhsa_user_sgpr_queue_ptr 0
		.amdhsa_user_sgpr_kernarg_segment_ptr 1
		.amdhsa_user_sgpr_dispatch_id 0
		.amdhsa_user_sgpr_kernarg_preload_length 0
		.amdhsa_user_sgpr_kernarg_preload_offset 0
		.amdhsa_user_sgpr_private_segment_size 0
		.amdhsa_uses_dynamic_stack 0
		.amdhsa_enable_private_segment 0
		.amdhsa_system_sgpr_workgroup_id_x 1
		.amdhsa_system_sgpr_workgroup_id_y 0
		.amdhsa_system_sgpr_workgroup_id_z 0
		.amdhsa_system_sgpr_workgroup_info 0
		.amdhsa_system_vgpr_workitem_id 0
		.amdhsa_next_free_vgpr 1
		.amdhsa_next_free_sgpr 0
		.amdhsa_accum_offset 4
		.amdhsa_reserve_vcc 0
		.amdhsa_float_round_mode_32 0
		.amdhsa_float_round_mode_16_64 0
		.amdhsa_float_denorm_mode_32 3
		.amdhsa_float_denorm_mode_16_64 3
		.amdhsa_dx10_clamp 1
		.amdhsa_ieee_mode 1
		.amdhsa_fp16_overflow 0
		.amdhsa_tg_split 0
		.amdhsa_exception_fp_ieee_invalid_op 0
		.amdhsa_exception_fp_denorm_src 0
		.amdhsa_exception_fp_ieee_div_zero 0
		.amdhsa_exception_fp_ieee_overflow 0
		.amdhsa_exception_fp_ieee_underflow 0
		.amdhsa_exception_fp_ieee_inexact 0
		.amdhsa_exception_int_div_zero 0
	.end_amdhsa_kernel
	.section	.text._ZN7rocprim17ROCPRIM_400000_NS6detail17trampoline_kernelINS0_14default_configENS1_25partition_config_selectorILNS1_17partition_subalgoE1EyNS0_10empty_typeEbEEZZNS1_14partition_implILS5_1ELb0ES3_jN6thrust23THRUST_200600_302600_NS6detail15normal_iteratorINSA_10device_ptrIyEEEEPS6_NSA_18transform_iteratorI7is_evenIyESF_NSA_11use_defaultESK_EENS0_5tupleIJNSA_16discard_iteratorISK_EESF_EEENSM_IJSG_SG_EEES6_PlJS6_EEE10hipError_tPvRmT3_T4_T5_T6_T7_T9_mT8_P12ihipStream_tbDpT10_ENKUlT_T0_E_clISt17integral_constantIbLb0EES1A_IbLb1EEEEDaS16_S17_EUlS16_E_NS1_11comp_targetILNS1_3genE0ELNS1_11target_archE4294967295ELNS1_3gpuE0ELNS1_3repE0EEENS1_30default_config_static_selectorELNS0_4arch9wavefront6targetE1EEEvT1_,"axG",@progbits,_ZN7rocprim17ROCPRIM_400000_NS6detail17trampoline_kernelINS0_14default_configENS1_25partition_config_selectorILNS1_17partition_subalgoE1EyNS0_10empty_typeEbEEZZNS1_14partition_implILS5_1ELb0ES3_jN6thrust23THRUST_200600_302600_NS6detail15normal_iteratorINSA_10device_ptrIyEEEEPS6_NSA_18transform_iteratorI7is_evenIyESF_NSA_11use_defaultESK_EENS0_5tupleIJNSA_16discard_iteratorISK_EESF_EEENSM_IJSG_SG_EEES6_PlJS6_EEE10hipError_tPvRmT3_T4_T5_T6_T7_T9_mT8_P12ihipStream_tbDpT10_ENKUlT_T0_E_clISt17integral_constantIbLb0EES1A_IbLb1EEEEDaS16_S17_EUlS16_E_NS1_11comp_targetILNS1_3genE0ELNS1_11target_archE4294967295ELNS1_3gpuE0ELNS1_3repE0EEENS1_30default_config_static_selectorELNS0_4arch9wavefront6targetE1EEEvT1_,comdat
.Lfunc_end2963:
	.size	_ZN7rocprim17ROCPRIM_400000_NS6detail17trampoline_kernelINS0_14default_configENS1_25partition_config_selectorILNS1_17partition_subalgoE1EyNS0_10empty_typeEbEEZZNS1_14partition_implILS5_1ELb0ES3_jN6thrust23THRUST_200600_302600_NS6detail15normal_iteratorINSA_10device_ptrIyEEEEPS6_NSA_18transform_iteratorI7is_evenIyESF_NSA_11use_defaultESK_EENS0_5tupleIJNSA_16discard_iteratorISK_EESF_EEENSM_IJSG_SG_EEES6_PlJS6_EEE10hipError_tPvRmT3_T4_T5_T6_T7_T9_mT8_P12ihipStream_tbDpT10_ENKUlT_T0_E_clISt17integral_constantIbLb0EES1A_IbLb1EEEEDaS16_S17_EUlS16_E_NS1_11comp_targetILNS1_3genE0ELNS1_11target_archE4294967295ELNS1_3gpuE0ELNS1_3repE0EEENS1_30default_config_static_selectorELNS0_4arch9wavefront6targetE1EEEvT1_, .Lfunc_end2963-_ZN7rocprim17ROCPRIM_400000_NS6detail17trampoline_kernelINS0_14default_configENS1_25partition_config_selectorILNS1_17partition_subalgoE1EyNS0_10empty_typeEbEEZZNS1_14partition_implILS5_1ELb0ES3_jN6thrust23THRUST_200600_302600_NS6detail15normal_iteratorINSA_10device_ptrIyEEEEPS6_NSA_18transform_iteratorI7is_evenIyESF_NSA_11use_defaultESK_EENS0_5tupleIJNSA_16discard_iteratorISK_EESF_EEENSM_IJSG_SG_EEES6_PlJS6_EEE10hipError_tPvRmT3_T4_T5_T6_T7_T9_mT8_P12ihipStream_tbDpT10_ENKUlT_T0_E_clISt17integral_constantIbLb0EES1A_IbLb1EEEEDaS16_S17_EUlS16_E_NS1_11comp_targetILNS1_3genE0ELNS1_11target_archE4294967295ELNS1_3gpuE0ELNS1_3repE0EEENS1_30default_config_static_selectorELNS0_4arch9wavefront6targetE1EEEvT1_
                                        ; -- End function
	.section	.AMDGPU.csdata,"",@progbits
; Kernel info:
; codeLenInByte = 0
; NumSgprs: 6
; NumVgprs: 0
; NumAgprs: 0
; TotalNumVgprs: 0
; ScratchSize: 0
; MemoryBound: 0
; FloatMode: 240
; IeeeMode: 1
; LDSByteSize: 0 bytes/workgroup (compile time only)
; SGPRBlocks: 0
; VGPRBlocks: 0
; NumSGPRsForWavesPerEU: 6
; NumVGPRsForWavesPerEU: 1
; AccumOffset: 4
; Occupancy: 8
; WaveLimiterHint : 0
; COMPUTE_PGM_RSRC2:SCRATCH_EN: 0
; COMPUTE_PGM_RSRC2:USER_SGPR: 2
; COMPUTE_PGM_RSRC2:TRAP_HANDLER: 0
; COMPUTE_PGM_RSRC2:TGID_X_EN: 1
; COMPUTE_PGM_RSRC2:TGID_Y_EN: 0
; COMPUTE_PGM_RSRC2:TGID_Z_EN: 0
; COMPUTE_PGM_RSRC2:TIDIG_COMP_CNT: 0
; COMPUTE_PGM_RSRC3_GFX90A:ACCUM_OFFSET: 0
; COMPUTE_PGM_RSRC3_GFX90A:TG_SPLIT: 0
	.section	.text._ZN7rocprim17ROCPRIM_400000_NS6detail17trampoline_kernelINS0_14default_configENS1_25partition_config_selectorILNS1_17partition_subalgoE1EyNS0_10empty_typeEbEEZZNS1_14partition_implILS5_1ELb0ES3_jN6thrust23THRUST_200600_302600_NS6detail15normal_iteratorINSA_10device_ptrIyEEEEPS6_NSA_18transform_iteratorI7is_evenIyESF_NSA_11use_defaultESK_EENS0_5tupleIJNSA_16discard_iteratorISK_EESF_EEENSM_IJSG_SG_EEES6_PlJS6_EEE10hipError_tPvRmT3_T4_T5_T6_T7_T9_mT8_P12ihipStream_tbDpT10_ENKUlT_T0_E_clISt17integral_constantIbLb0EES1A_IbLb1EEEEDaS16_S17_EUlS16_E_NS1_11comp_targetILNS1_3genE5ELNS1_11target_archE942ELNS1_3gpuE9ELNS1_3repE0EEENS1_30default_config_static_selectorELNS0_4arch9wavefront6targetE1EEEvT1_,"axG",@progbits,_ZN7rocprim17ROCPRIM_400000_NS6detail17trampoline_kernelINS0_14default_configENS1_25partition_config_selectorILNS1_17partition_subalgoE1EyNS0_10empty_typeEbEEZZNS1_14partition_implILS5_1ELb0ES3_jN6thrust23THRUST_200600_302600_NS6detail15normal_iteratorINSA_10device_ptrIyEEEEPS6_NSA_18transform_iteratorI7is_evenIyESF_NSA_11use_defaultESK_EENS0_5tupleIJNSA_16discard_iteratorISK_EESF_EEENSM_IJSG_SG_EEES6_PlJS6_EEE10hipError_tPvRmT3_T4_T5_T6_T7_T9_mT8_P12ihipStream_tbDpT10_ENKUlT_T0_E_clISt17integral_constantIbLb0EES1A_IbLb1EEEEDaS16_S17_EUlS16_E_NS1_11comp_targetILNS1_3genE5ELNS1_11target_archE942ELNS1_3gpuE9ELNS1_3repE0EEENS1_30default_config_static_selectorELNS0_4arch9wavefront6targetE1EEEvT1_,comdat
	.protected	_ZN7rocprim17ROCPRIM_400000_NS6detail17trampoline_kernelINS0_14default_configENS1_25partition_config_selectorILNS1_17partition_subalgoE1EyNS0_10empty_typeEbEEZZNS1_14partition_implILS5_1ELb0ES3_jN6thrust23THRUST_200600_302600_NS6detail15normal_iteratorINSA_10device_ptrIyEEEEPS6_NSA_18transform_iteratorI7is_evenIyESF_NSA_11use_defaultESK_EENS0_5tupleIJNSA_16discard_iteratorISK_EESF_EEENSM_IJSG_SG_EEES6_PlJS6_EEE10hipError_tPvRmT3_T4_T5_T6_T7_T9_mT8_P12ihipStream_tbDpT10_ENKUlT_T0_E_clISt17integral_constantIbLb0EES1A_IbLb1EEEEDaS16_S17_EUlS16_E_NS1_11comp_targetILNS1_3genE5ELNS1_11target_archE942ELNS1_3gpuE9ELNS1_3repE0EEENS1_30default_config_static_selectorELNS0_4arch9wavefront6targetE1EEEvT1_ ; -- Begin function _ZN7rocprim17ROCPRIM_400000_NS6detail17trampoline_kernelINS0_14default_configENS1_25partition_config_selectorILNS1_17partition_subalgoE1EyNS0_10empty_typeEbEEZZNS1_14partition_implILS5_1ELb0ES3_jN6thrust23THRUST_200600_302600_NS6detail15normal_iteratorINSA_10device_ptrIyEEEEPS6_NSA_18transform_iteratorI7is_evenIyESF_NSA_11use_defaultESK_EENS0_5tupleIJNSA_16discard_iteratorISK_EESF_EEENSM_IJSG_SG_EEES6_PlJS6_EEE10hipError_tPvRmT3_T4_T5_T6_T7_T9_mT8_P12ihipStream_tbDpT10_ENKUlT_T0_E_clISt17integral_constantIbLb0EES1A_IbLb1EEEEDaS16_S17_EUlS16_E_NS1_11comp_targetILNS1_3genE5ELNS1_11target_archE942ELNS1_3gpuE9ELNS1_3repE0EEENS1_30default_config_static_selectorELNS0_4arch9wavefront6targetE1EEEvT1_
	.globl	_ZN7rocprim17ROCPRIM_400000_NS6detail17trampoline_kernelINS0_14default_configENS1_25partition_config_selectorILNS1_17partition_subalgoE1EyNS0_10empty_typeEbEEZZNS1_14partition_implILS5_1ELb0ES3_jN6thrust23THRUST_200600_302600_NS6detail15normal_iteratorINSA_10device_ptrIyEEEEPS6_NSA_18transform_iteratorI7is_evenIyESF_NSA_11use_defaultESK_EENS0_5tupleIJNSA_16discard_iteratorISK_EESF_EEENSM_IJSG_SG_EEES6_PlJS6_EEE10hipError_tPvRmT3_T4_T5_T6_T7_T9_mT8_P12ihipStream_tbDpT10_ENKUlT_T0_E_clISt17integral_constantIbLb0EES1A_IbLb1EEEEDaS16_S17_EUlS16_E_NS1_11comp_targetILNS1_3genE5ELNS1_11target_archE942ELNS1_3gpuE9ELNS1_3repE0EEENS1_30default_config_static_selectorELNS0_4arch9wavefront6targetE1EEEvT1_
	.p2align	8
	.type	_ZN7rocprim17ROCPRIM_400000_NS6detail17trampoline_kernelINS0_14default_configENS1_25partition_config_selectorILNS1_17partition_subalgoE1EyNS0_10empty_typeEbEEZZNS1_14partition_implILS5_1ELb0ES3_jN6thrust23THRUST_200600_302600_NS6detail15normal_iteratorINSA_10device_ptrIyEEEEPS6_NSA_18transform_iteratorI7is_evenIyESF_NSA_11use_defaultESK_EENS0_5tupleIJNSA_16discard_iteratorISK_EESF_EEENSM_IJSG_SG_EEES6_PlJS6_EEE10hipError_tPvRmT3_T4_T5_T6_T7_T9_mT8_P12ihipStream_tbDpT10_ENKUlT_T0_E_clISt17integral_constantIbLb0EES1A_IbLb1EEEEDaS16_S17_EUlS16_E_NS1_11comp_targetILNS1_3genE5ELNS1_11target_archE942ELNS1_3gpuE9ELNS1_3repE0EEENS1_30default_config_static_selectorELNS0_4arch9wavefront6targetE1EEEvT1_,@function
_ZN7rocprim17ROCPRIM_400000_NS6detail17trampoline_kernelINS0_14default_configENS1_25partition_config_selectorILNS1_17partition_subalgoE1EyNS0_10empty_typeEbEEZZNS1_14partition_implILS5_1ELb0ES3_jN6thrust23THRUST_200600_302600_NS6detail15normal_iteratorINSA_10device_ptrIyEEEEPS6_NSA_18transform_iteratorI7is_evenIyESF_NSA_11use_defaultESK_EENS0_5tupleIJNSA_16discard_iteratorISK_EESF_EEENSM_IJSG_SG_EEES6_PlJS6_EEE10hipError_tPvRmT3_T4_T5_T6_T7_T9_mT8_P12ihipStream_tbDpT10_ENKUlT_T0_E_clISt17integral_constantIbLb0EES1A_IbLb1EEEEDaS16_S17_EUlS16_E_NS1_11comp_targetILNS1_3genE5ELNS1_11target_archE942ELNS1_3gpuE9ELNS1_3repE0EEENS1_30default_config_static_selectorELNS0_4arch9wavefront6targetE1EEEvT1_: ; @_ZN7rocprim17ROCPRIM_400000_NS6detail17trampoline_kernelINS0_14default_configENS1_25partition_config_selectorILNS1_17partition_subalgoE1EyNS0_10empty_typeEbEEZZNS1_14partition_implILS5_1ELb0ES3_jN6thrust23THRUST_200600_302600_NS6detail15normal_iteratorINSA_10device_ptrIyEEEEPS6_NSA_18transform_iteratorI7is_evenIyESF_NSA_11use_defaultESK_EENS0_5tupleIJNSA_16discard_iteratorISK_EESF_EEENSM_IJSG_SG_EEES6_PlJS6_EEE10hipError_tPvRmT3_T4_T5_T6_T7_T9_mT8_P12ihipStream_tbDpT10_ENKUlT_T0_E_clISt17integral_constantIbLb0EES1A_IbLb1EEEEDaS16_S17_EUlS16_E_NS1_11comp_targetILNS1_3genE5ELNS1_11target_archE942ELNS1_3gpuE9ELNS1_3repE0EEENS1_30default_config_static_selectorELNS0_4arch9wavefront6targetE1EEEvT1_
; %bb.0:
	s_load_dwordx2 s[2:3], s[0:1], 0x20
	s_load_dwordx4 s[20:23], s[0:1], 0x58
	s_load_dwordx2 s[6:7], s[0:1], 0x68
	s_load_dwordx2 s[30:31], s[0:1], 0x78
	v_cmp_eq_u32_e64 s[18:19], 0, v0
	s_and_saveexec_b64 s[4:5], s[18:19]
	s_cbranch_execz .LBB2964_4
; %bb.1:
	s_mov_b64 s[10:11], exec
	v_mbcnt_lo_u32_b32 v1, s10, 0
	v_mbcnt_hi_u32_b32 v1, s11, v1
	v_cmp_eq_u32_e32 vcc, 0, v1
                                        ; implicit-def: $vgpr2
	s_and_saveexec_b64 s[8:9], vcc
	s_cbranch_execz .LBB2964_3
; %bb.2:
	s_load_dwordx2 s[12:13], s[0:1], 0x88
	s_bcnt1_i32_b64 s10, s[10:11]
	v_mov_b32_e32 v2, 0
	v_mov_b32_e32 v3, s10
	s_waitcnt lgkmcnt(0)
	global_atomic_add v2, v2, v3, s[12:13] sc0
.LBB2964_3:
	s_or_b64 exec, exec, s[8:9]
	s_waitcnt vmcnt(0)
	v_readfirstlane_b32 s8, v2
	v_mov_b32_e32 v2, 0
	s_nop 0
	v_add_u32_e32 v1, s8, v1
	ds_write_b32 v2, v1
.LBB2964_4:
	s_or_b64 exec, exec, s[4:5]
	v_mov_b32_e32 v19, 0
	s_load_dwordx4 s[24:27], s[0:1], 0x8
	s_load_dwordx2 s[28:29], s[0:1], 0x40
	s_load_dword s8, s[0:1], 0x80
	s_waitcnt lgkmcnt(0)
	s_barrier
	ds_read_b32 v1, v19
	s_waitcnt lgkmcnt(0)
	s_barrier
	global_load_dwordx2 v[20:21], v19, s[22:23]
	v_mov_b32_e32 v3, s7
	s_lshl_b64 s[4:5], s[26:27], 3
	s_movk_i32 s7, 0xe00
	s_add_u32 s0, s24, s4
	v_mul_lo_u32 v18, v1, s7
	s_mul_i32 s7, s8, 0xe00
	s_addc_u32 s1, s25, s5
	s_add_i32 s9, s8, -1
	s_add_i32 s8, s7, s26
	s_sub_i32 s33, s6, s8
	s_addk_i32 s33, 0xe00
	v_mov_b32_e32 v2, s6
	s_add_u32 s6, s26, s7
	v_readfirstlane_b32 s38, v1
	s_addc_u32 s7, s27, 0
	s_cmp_eq_u32 s38, s9
	s_cselect_b64 s[22:23], -1, 0
	s_cmp_lg_u32 s38, s9
	v_cmp_lt_u64_e32 vcc, s[6:7], v[2:3]
	s_cselect_b64 s[6:7], -1, 0
	s_or_b64 s[24:25], vcc, s[6:7]
	v_lshlrev_b64 v[22:23], 3, v[18:19]
	v_lshl_add_u64 v[24:25], s[0:1], 0, v[22:23]
	s_mov_b64 s[0:1], -1
	s_and_b64 vcc, exec, s[24:25]
	v_lshlrev_b32_e32 v18, 3, v0
	s_cbranch_vccz .LBB2964_6
; %bb.5:
	v_lshl_add_u64 v[2:3], v[24:25], 0, v[18:19]
	v_add_co_u32_e32 v4, vcc, 0x1000, v2
	s_mov_b64 s[0:1], 0
	s_nop 0
	v_addc_co_u32_e32 v5, vcc, 0, v3, vcc
	v_add_co_u32_e32 v6, vcc, 0x2000, v2
	s_nop 1
	v_addc_co_u32_e32 v7, vcc, 0, v3, vcc
	v_add_co_u32_e32 v8, vcc, 0x3000, v2
	s_nop 1
	v_addc_co_u32_e32 v9, vcc, 0, v3, vcc
	flat_load_dwordx2 v[10:11], v[2:3]
	flat_load_dwordx2 v[12:13], v[4:5]
	;; [unrolled: 1-line block ×4, first 2 shown]
	v_add_co_u32_e32 v4, vcc, 0x4000, v2
	s_nop 1
	v_addc_co_u32_e32 v5, vcc, 0, v3, vcc
	v_add_co_u32_e32 v6, vcc, 0x5000, v2
	s_nop 1
	v_addc_co_u32_e32 v7, vcc, 0, v3, vcc
	;; [unrolled: 3-line block ×3, first 2 shown]
	flat_load_dwordx2 v[8:9], v[4:5]
	flat_load_dwordx2 v[26:27], v[6:7]
	;; [unrolled: 1-line block ×3, first 2 shown]
	s_waitcnt vmcnt(0) lgkmcnt(0)
	ds_write2st64_b64 v18, v[10:11], v[12:13] offset1:8
	ds_write2st64_b64 v18, v[14:15], v[16:17] offset0:16 offset1:24
	ds_write2st64_b64 v18, v[8:9], v[26:27] offset0:32 offset1:40
	ds_write_b64 v18, v[28:29] offset:24576
	s_waitcnt lgkmcnt(0)
	s_barrier
.LBB2964_6:
	s_andn2_b64 vcc, exec, s[0:1]
	v_cmp_gt_u32_e64 s[0:1], s33, v0
	s_cbranch_vccnz .LBB2964_22
; %bb.7:
                                        ; implicit-def: $vgpr2_vgpr3_vgpr4_vgpr5_vgpr6_vgpr7_vgpr8_vgpr9_vgpr10_vgpr11_vgpr12_vgpr13_vgpr14_vgpr15_vgpr16_vgpr17
	s_and_saveexec_b64 s[6:7], s[0:1]
	s_cbranch_execz .LBB2964_9
; %bb.8:
	v_mov_b32_e32 v19, 0
	v_lshl_add_u64 v[2:3], v[24:25], 0, v[18:19]
	flat_load_dwordx2 v[2:3], v[2:3]
.LBB2964_9:
	s_or_b64 exec, exec, s[6:7]
	v_or_b32_e32 v1, 0x200, v0
	v_cmp_gt_u32_e32 vcc, s33, v1
	s_and_saveexec_b64 s[0:1], vcc
	s_cbranch_execz .LBB2964_11
; %bb.10:
	v_lshlrev_b32_e32 v4, 3, v1
	v_mov_b32_e32 v5, 0
	v_lshl_add_u64 v[4:5], v[24:25], 0, v[4:5]
	flat_load_dwordx2 v[4:5], v[4:5]
.LBB2964_11:
	s_or_b64 exec, exec, s[0:1]
	v_or_b32_e32 v1, 0x400, v0
	v_cmp_gt_u32_e32 vcc, s33, v1
	s_and_saveexec_b64 s[0:1], vcc
	s_cbranch_execz .LBB2964_13
; %bb.12:
	v_lshlrev_b32_e32 v6, 3, v1
	v_mov_b32_e32 v7, 0
	v_lshl_add_u64 v[6:7], v[24:25], 0, v[6:7]
	flat_load_dwordx2 v[6:7], v[6:7]
.LBB2964_13:
	;; [unrolled: 11-line block ×6, first 2 shown]
	s_or_b64 exec, exec, s[0:1]
	s_waitcnt vmcnt(0) lgkmcnt(0)
	ds_write2st64_b64 v18, v[2:3], v[4:5] offset1:8
	ds_write2st64_b64 v18, v[6:7], v[8:9] offset0:16 offset1:24
	ds_write2st64_b64 v18, v[10:11], v[12:13] offset0:32 offset1:40
	ds_write_b64 v18, v[14:15] offset:24576
	s_waitcnt lgkmcnt(0)
	s_barrier
.LBB2964_22:
	v_mul_u32_u24_e32 v1, 7, v0
	v_lshlrev_b32_e32 v24, 3, v1
	ds_read2_b64 v[10:13], v24 offset1:1
	ds_read2_b64 v[6:9], v24 offset0:2 offset1:3
	ds_read2_b64 v[2:5], v24 offset0:4 offset1:5
	ds_read_b64 v[14:15], v24 offset:48
	s_add_u32 s0, s2, s4
	s_addc_u32 s1, s3, s5
	v_lshl_add_u64 v[16:17], s[0:1], 0, v[22:23]
	s_mov_b64 s[0:1], -1
	s_and_b64 vcc, exec, s[24:25]
	s_waitcnt lgkmcnt(0)
	s_barrier
	s_cbranch_vccz .LBB2964_24
; %bb.23:
	v_mov_b32_e32 v19, 0
	v_lshl_add_u64 v[26:27], v[16:17], 0, v[18:19]
	v_add_co_u32_e32 v30, vcc, 0x1000, v26
	v_readfirstlane_b32 s0, v16
	s_nop 0
	v_addc_co_u32_e32 v31, vcc, 0, v27, vcc
	v_add_co_u32_e32 v32, vcc, 0x2000, v26
	v_readfirstlane_b32 s1, v17
	s_nop 0
	v_addc_co_u32_e32 v33, vcc, 0, v27, vcc
	v_add_co_u32_e32 v34, vcc, 0x3000, v26
	s_nop 1
	v_addc_co_u32_e32 v35, vcc, 0, v27, vcc
	global_load_dwordx2 v[28:29], v18, s[0:1]
	v_add_co_u32_e32 v36, vcc, 0x4000, v26
	s_mov_b64 s[0:1], 0
	s_nop 0
	v_addc_co_u32_e32 v37, vcc, 0, v27, vcc
	global_load_dwordx2 v[38:39], v[30:31], off
	global_load_dwordx2 v[40:41], v[32:33], off
	;; [unrolled: 1-line block ×4, first 2 shown]
	v_add_co_u32_e32 v30, vcc, 0x5000, v26
	s_waitcnt vmcnt(4)
	v_xor_b32_e32 v19, -1, v28
	v_addc_co_u32_e32 v31, vcc, 0, v27, vcc
	v_add_co_u32_e32 v26, vcc, 0x6000, v26
	global_load_dwordx2 v[30:31], v[30:31], off
	s_nop 0
	v_addc_co_u32_e32 v27, vcc, 0, v27, vcc
	global_load_dwordx2 v[26:27], v[26:27], off
	v_and_b32_e32 v19, 1, v19
	ds_write_b8 v0, v19
	s_waitcnt vmcnt(5)
	v_xor_b32_e32 v19, -1, v38
	v_and_b32_e32 v19, 1, v19
	s_waitcnt vmcnt(4)
	v_xor_b32_e32 v25, -1, v40
	s_waitcnt vmcnt(0)
	v_xor_b32_e32 v27, -1, v42
	v_and_b32_e32 v25, 1, v25
	ds_write_b8 v0, v19 offset:512
	v_and_b32_e32 v19, 1, v27
	v_xor_b32_e32 v27, -1, v44
	ds_write_b8 v0, v25 offset:1024
	v_and_b32_e32 v25, 1, v27
	ds_write_b8 v0, v19 offset:1536
	ds_write_b8 v0, v25 offset:2048
	v_xor_b32_e32 v27, -1, v30
	v_and_b32_e32 v19, 1, v27
	v_xor_b32_e32 v26, -1, v26
	v_and_b32_e32 v25, 1, v26
	ds_write_b8 v0, v19 offset:2560
	ds_write_b8 v0, v25 offset:3072
	s_waitcnt lgkmcnt(0)
	s_barrier
.LBB2964_24:
	s_andn2_b64 vcc, exec, s[0:1]
	s_cbranch_vccnz .LBB2964_40
; %bb.25:
	v_cmp_gt_u32_e32 vcc, s33, v0
	v_mov_b32_e32 v19, 0
	v_mov_b32_e32 v25, 0
	s_and_saveexec_b64 s[0:1], vcc
	s_cbranch_execz .LBB2964_27
; %bb.26:
	v_readfirstlane_b32 s2, v16
	v_readfirstlane_b32 s3, v17
	s_nop 4
	global_load_dwordx2 v[26:27], v18, s[2:3]
	s_waitcnt vmcnt(0)
	v_xor_b32_e32 v25, -1, v26
	v_and_b32_e32 v25, 1, v25
.LBB2964_27:
	s_or_b64 exec, exec, s[0:1]
	v_or_b32_e32 v26, 0x200, v0
	v_cmp_gt_u32_e32 vcc, s33, v26
	s_and_saveexec_b64 s[0:1], vcc
	s_cbranch_execz .LBB2964_29
; %bb.28:
	v_lshlrev_b32_e32 v19, 3, v26
	v_readfirstlane_b32 s2, v16
	v_readfirstlane_b32 s3, v17
	s_nop 4
	global_load_dwordx2 v[26:27], v19, s[2:3]
	s_waitcnt vmcnt(0)
	v_xor_b32_e32 v19, -1, v26
	v_and_b32_e32 v19, 1, v19
.LBB2964_29:
	s_or_b64 exec, exec, s[0:1]
	v_or_b32_e32 v28, 0x400, v0
	v_cmp_gt_u32_e32 vcc, s33, v28
	v_mov_b32_e32 v26, 0
	v_mov_b32_e32 v27, 0
	s_and_saveexec_b64 s[0:1], vcc
	s_cbranch_execz .LBB2964_31
; %bb.30:
	v_lshlrev_b32_e32 v27, 3, v28
	v_readfirstlane_b32 s2, v16
	v_readfirstlane_b32 s3, v17
	s_nop 4
	global_load_dwordx2 v[28:29], v27, s[2:3]
	s_waitcnt vmcnt(0)
	v_xor_b32_e32 v27, -1, v28
	v_and_b32_e32 v27, 1, v27
.LBB2964_31:
	s_or_b64 exec, exec, s[0:1]
	v_or_b32_e32 v28, 0x600, v0
	v_cmp_gt_u32_e32 vcc, s33, v28
	s_and_saveexec_b64 s[0:1], vcc
	s_cbranch_execz .LBB2964_33
; %bb.32:
	v_lshlrev_b32_e32 v26, 3, v28
	v_readfirstlane_b32 s2, v16
	v_readfirstlane_b32 s3, v17
	s_nop 4
	global_load_dwordx2 v[28:29], v26, s[2:3]
	s_waitcnt vmcnt(0)
	v_xor_b32_e32 v26, -1, v28
	v_and_b32_e32 v26, 1, v26
.LBB2964_33:
	s_or_b64 exec, exec, s[0:1]
	v_or_b32_e32 v30, 0x800, v0
	v_cmp_gt_u32_e32 vcc, s33, v30
	v_mov_b32_e32 v28, 0
	v_mov_b32_e32 v29, 0
	s_and_saveexec_b64 s[0:1], vcc
	s_cbranch_execz .LBB2964_35
; %bb.34:
	v_lshlrev_b32_e32 v29, 3, v30
	v_readfirstlane_b32 s2, v16
	v_readfirstlane_b32 s3, v17
	s_nop 4
	global_load_dwordx2 v[30:31], v29, s[2:3]
	s_waitcnt vmcnt(0)
	v_xor_b32_e32 v29, -1, v30
	v_and_b32_e32 v29, 1, v29
.LBB2964_35:
	s_or_b64 exec, exec, s[0:1]
	v_or_b32_e32 v30, 0xa00, v0
	v_cmp_gt_u32_e32 vcc, s33, v30
	s_and_saveexec_b64 s[0:1], vcc
	s_cbranch_execz .LBB2964_37
; %bb.36:
	v_lshlrev_b32_e32 v28, 3, v30
	v_readfirstlane_b32 s2, v16
	v_readfirstlane_b32 s3, v17
	s_nop 4
	global_load_dwordx2 v[30:31], v28, s[2:3]
	s_waitcnt vmcnt(0)
	v_xor_b32_e32 v28, -1, v30
	v_and_b32_e32 v28, 1, v28
.LBB2964_37:
	s_or_b64 exec, exec, s[0:1]
	v_or_b32_e32 v31, 0xc00, v0
	v_cmp_gt_u32_e32 vcc, s33, v31
	v_mov_b32_e32 v30, 0
	s_and_saveexec_b64 s[0:1], vcc
	s_cbranch_execz .LBB2964_39
; %bb.38:
	v_lshlrev_b32_e32 v30, 3, v31
	v_readfirstlane_b32 s2, v16
	v_readfirstlane_b32 s3, v17
	s_nop 4
	global_load_dwordx2 v[16:17], v30, s[2:3]
	s_waitcnt vmcnt(0)
	v_xor_b32_e32 v16, -1, v16
	v_and_b32_e32 v30, 1, v16
.LBB2964_39:
	s_or_b64 exec, exec, s[0:1]
	ds_write_b8 v0, v25
	ds_write_b8 v0, v19 offset:512
	ds_write_b8 v0, v27 offset:1024
	;; [unrolled: 1-line block ×6, first 2 shown]
	s_waitcnt lgkmcnt(0)
	s_barrier
.LBB2964_40:
	s_movk_i32 s0, 0xffcf
	v_mad_i32_i24 v39, v0, s0, v24
	ds_read_u8 v16, v39
	ds_read_u8 v17, v39 offset:1
	ds_read_u8 v19, v39 offset:2
	;; [unrolled: 1-line block ×6, first 2 shown]
	s_waitcnt lgkmcnt(6)
	v_and_b32_e32 v37, 1, v16
	s_waitcnt lgkmcnt(5)
	v_and_b32_e32 v36, 1, v17
	;; [unrolled: 2-line block ×5, first 2 shown]
	v_add3_u32 v16, v36, v37, v35
	s_waitcnt lgkmcnt(1)
	v_and_b32_e32 v32, 1, v26
	s_waitcnt lgkmcnt(0)
	v_and_b32_e32 v19, 1, v27
	v_add3_u32 v16, v16, v34, v33
	v_add3_u32 v41, v16, v32, v19
	v_mbcnt_lo_u32_b32 v16, -1, 0
	v_mbcnt_hi_u32_b32 v38, -1, v16
	v_and_b32_e32 v16, 15, v38
	v_cmp_eq_u32_e64 s[14:15], 0, v16
	v_cmp_lt_u32_e64 s[12:13], 1, v16
	v_cmp_lt_u32_e64 s[10:11], 3, v16
	v_cmp_lt_u32_e64 s[8:9], 7, v16
	v_and_b32_e32 v16, 16, v38
	v_cmp_eq_u32_e64 s[6:7], 0, v16
	v_or_b32_e32 v16, 63, v0
	s_cmp_lg_u32 s38, 0
	v_cmp_lt_u32_e64 s[2:3], 31, v38
	v_lshrrev_b32_e32 v40, 6, v0
	v_cmp_eq_u32_e64 s[4:5], v16, v0
	s_barrier
	s_cbranch_scc0 .LBB2964_67
; %bb.41:
	v_mov_b32_dpp v16, v41 row_shr:1 row_mask:0xf bank_mask:0xf
	v_cndmask_b32_e64 v16, v16, 0, s[14:15]
	v_add_u32_e32 v16, v16, v41
	s_nop 1
	v_mov_b32_dpp v17, v16 row_shr:2 row_mask:0xf bank_mask:0xf
	v_cndmask_b32_e64 v17, 0, v17, s[12:13]
	v_add_u32_e32 v16, v16, v17
	s_nop 1
	;; [unrolled: 4-line block ×4, first 2 shown]
	v_mov_b32_dpp v17, v16 row_bcast:15 row_mask:0xf bank_mask:0xf
	v_cndmask_b32_e64 v17, v17, 0, s[6:7]
	v_add_u32_e32 v16, v16, v17
	s_nop 1
	v_mov_b32_dpp v17, v16 row_bcast:31 row_mask:0xf bank_mask:0xf
	v_cndmask_b32_e64 v17, 0, v17, s[2:3]
	v_add_u32_e32 v16, v16, v17
	s_and_saveexec_b64 s[0:1], s[4:5]
	s_cbranch_execz .LBB2964_43
; %bb.42:
	v_lshlrev_b32_e32 v17, 2, v40
	ds_write_b32 v17, v16
.LBB2964_43:
	s_or_b64 exec, exec, s[0:1]
	v_cmp_gt_u32_e32 vcc, 8, v0
	s_waitcnt lgkmcnt(0)
	s_barrier
	s_and_saveexec_b64 s[0:1], vcc
	s_cbranch_execz .LBB2964_45
; %bb.44:
	v_lshlrev_b32_e32 v17, 2, v0
	ds_read_b32 v24, v17
	v_and_b32_e32 v25, 7, v38
	v_cmp_ne_u32_e32 vcc, 0, v25
	s_waitcnt lgkmcnt(0)
	v_mov_b32_dpp v26, v24 row_shr:1 row_mask:0xf bank_mask:0xf
	v_cndmask_b32_e32 v26, 0, v26, vcc
	v_add_u32_e32 v24, v26, v24
	v_cmp_lt_u32_e32 vcc, 1, v25
	s_nop 0
	v_mov_b32_dpp v26, v24 row_shr:2 row_mask:0xf bank_mask:0xf
	v_cndmask_b32_e32 v26, 0, v26, vcc
	v_add_u32_e32 v24, v24, v26
	v_cmp_lt_u32_e32 vcc, 3, v25
	s_nop 0
	v_mov_b32_dpp v26, v24 row_shr:4 row_mask:0xf bank_mask:0xf
	v_cndmask_b32_e32 v25, 0, v26, vcc
	v_add_u32_e32 v24, v24, v25
	ds_write_b32 v17, v24
.LBB2964_45:
	s_or_b64 exec, exec, s[0:1]
	v_cmp_gt_u32_e32 vcc, 64, v0
	v_cmp_lt_u32_e64 s[0:1], 63, v0
	s_waitcnt lgkmcnt(0)
	s_barrier
	s_waitcnt lgkmcnt(0)
                                        ; implicit-def: $vgpr42
	s_and_saveexec_b64 s[16:17], s[0:1]
	s_cbranch_execz .LBB2964_47
; %bb.46:
	v_lshl_add_u32 v17, v40, 2, -4
	ds_read_b32 v42, v17
	s_waitcnt lgkmcnt(0)
	v_add_u32_e32 v16, v42, v16
.LBB2964_47:
	s_or_b64 exec, exec, s[16:17]
	v_add_u32_e32 v17, -1, v38
	v_and_b32_e32 v24, 64, v38
	v_cmp_lt_i32_e64 s[0:1], v17, v24
	v_cmp_eq_u32_e64 s[16:17], 0, v38
	s_nop 0
	v_cndmask_b32_e64 v17, v17, v38, s[0:1]
	v_lshlrev_b32_e32 v17, 2, v17
	ds_bpermute_b32 v43, v17, v16
	s_and_saveexec_b64 s[0:1], vcc
	s_cbranch_execz .LBB2964_66
; %bb.48:
	v_mov_b32_e32 v29, 0
	ds_read_b32 v16, v29 offset:28
	s_and_saveexec_b64 s[34:35], s[16:17]
	s_cbranch_execz .LBB2964_50
; %bb.49:
	s_add_i32 s36, s38, 64
	s_mov_b32 s37, 0
	s_lshl_b64 s[36:37], s[36:37], 3
	s_add_u32 s36, s30, s36
	v_mov_b32_e32 v17, 1
	s_addc_u32 s37, s31, s37
	s_waitcnt lgkmcnt(0)
	global_store_dwordx2 v29, v[16:17], s[36:37] sc1
.LBB2964_50:
	s_or_b64 exec, exec, s[34:35]
	v_xad_u32 v24, v38, -1, s38
	v_add_u32_e32 v28, 64, v24
	v_lshl_add_u64 v[30:31], v[28:29], 3, s[30:31]
	global_load_dwordx2 v[26:27], v[30:31], off sc1
	s_waitcnt vmcnt(0)
	v_cmp_eq_u16_sdwa s[36:37], v27, v29 src0_sel:BYTE_0 src1_sel:DWORD
	s_and_saveexec_b64 s[34:35], s[36:37]
	s_cbranch_execz .LBB2964_54
; %bb.51:
	s_mov_b64 s[36:37], 0
	v_mov_b32_e32 v17, 0
.LBB2964_52:                            ; =>This Inner Loop Header: Depth=1
	global_load_dwordx2 v[26:27], v[30:31], off sc1
	s_waitcnt vmcnt(0)
	v_cmp_ne_u16_sdwa s[40:41], v27, v17 src0_sel:BYTE_0 src1_sel:DWORD
	s_or_b64 s[36:37], s[40:41], s[36:37]
	s_andn2_b64 exec, exec, s[36:37]
	s_cbranch_execnz .LBB2964_52
; %bb.53:
	s_or_b64 exec, exec, s[36:37]
.LBB2964_54:
	s_or_b64 exec, exec, s[34:35]
	v_and_b32_e32 v45, 63, v38
	v_mov_b32_e32 v44, 2
	v_cmp_ne_u32_e32 vcc, 63, v45
	v_cmp_eq_u16_sdwa s[34:35], v27, v44 src0_sel:BYTE_0 src1_sel:DWORD
	v_lshlrev_b64 v[28:29], v38, -1
	v_addc_co_u32_e32 v30, vcc, 0, v38, vcc
	v_and_b32_e32 v17, s35, v29
	v_lshlrev_b32_e32 v46, 2, v30
	v_or_b32_e32 v17, 0x80000000, v17
	ds_bpermute_b32 v30, v46, v26
	v_and_b32_e32 v25, s34, v28
	v_ffbl_b32_e32 v17, v17
	v_add_u32_e32 v17, 32, v17
	v_ffbl_b32_e32 v25, v25
	v_min_u32_e32 v17, v25, v17
	v_cmp_lt_u32_e32 vcc, v45, v17
	v_add_u32_e32 v48, 2, v45
	v_add_u32_e32 v50, 4, v45
	s_waitcnt lgkmcnt(0)
	v_cndmask_b32_e32 v25, 0, v30, vcc
	v_cmp_gt_u32_e32 vcc, 62, v45
	v_add_u32_e32 v25, v25, v26
	v_add_u32_e32 v52, 8, v45
	v_cndmask_b32_e64 v26, 0, 1, vcc
	v_lshlrev_b32_e32 v26, 1, v26
	v_add_lshl_u32 v47, v26, v38, 2
	ds_bpermute_b32 v26, v47, v25
	v_cmp_le_u32_e32 vcc, v48, v17
	v_add_u32_e32 v54, 16, v45
	v_add_u32_e32 v56, 32, v45
	s_waitcnt lgkmcnt(0)
	v_cndmask_b32_e32 v26, 0, v26, vcc
	v_cmp_gt_u32_e32 vcc, 60, v45
	v_add_u32_e32 v25, v25, v26
	s_nop 0
	v_cndmask_b32_e64 v26, 0, 1, vcc
	v_lshlrev_b32_e32 v26, 2, v26
	v_add_lshl_u32 v49, v26, v38, 2
	ds_bpermute_b32 v26, v49, v25
	v_cmp_le_u32_e32 vcc, v50, v17
	s_waitcnt lgkmcnt(0)
	s_nop 0
	v_cndmask_b32_e32 v26, 0, v26, vcc
	v_cmp_gt_u32_e32 vcc, 56, v45
	v_add_u32_e32 v25, v25, v26
	s_nop 0
	v_cndmask_b32_e64 v26, 0, 1, vcc
	v_lshlrev_b32_e32 v26, 3, v26
	v_add_lshl_u32 v51, v26, v38, 2
	ds_bpermute_b32 v26, v51, v25
	v_cmp_le_u32_e32 vcc, v52, v17
	s_waitcnt lgkmcnt(0)
	s_nop 0
	;; [unrolled: 11-line block ×4, first 2 shown]
	v_cndmask_b32_e32 v17, 0, v26, vcc
	v_add_u32_e32 v26, v25, v17
	v_mov_b32_e32 v25, 0
	s_branch .LBB2964_56
.LBB2964_55:                            ;   in Loop: Header=BB2964_56 Depth=1
	s_or_b64 exec, exec, s[34:35]
	v_cmp_eq_u16_sdwa s[34:35], v27, v44 src0_sel:BYTE_0 src1_sel:DWORD
	ds_bpermute_b32 v57, v46, v26
	v_subrev_u32_e32 v24, 64, v24
	v_and_b32_e32 v30, s35, v29
	v_or_b32_e32 v30, 0x80000000, v30
	v_and_b32_e32 v31, s34, v28
	v_ffbl_b32_e32 v30, v30
	v_add_u32_e32 v30, 32, v30
	v_ffbl_b32_e32 v31, v31
	v_min_u32_e32 v30, v31, v30
	v_cmp_lt_u32_e32 vcc, v45, v30
	s_waitcnt lgkmcnt(0)
	s_nop 0
	v_cndmask_b32_e32 v31, 0, v57, vcc
	v_add_u32_e32 v26, v31, v26
	ds_bpermute_b32 v31, v47, v26
	v_cmp_le_u32_e32 vcc, v48, v30
	s_waitcnt lgkmcnt(0)
	s_nop 0
	v_cndmask_b32_e32 v31, 0, v31, vcc
	v_add_u32_e32 v26, v26, v31
	ds_bpermute_b32 v31, v49, v26
	v_cmp_le_u32_e32 vcc, v50, v30
	;; [unrolled: 6-line block ×5, first 2 shown]
	s_waitcnt lgkmcnt(0)
	s_nop 0
	v_cndmask_b32_e32 v30, 0, v31, vcc
	v_add3_u32 v26, v30, v17, v26
.LBB2964_56:                            ; =>This Loop Header: Depth=1
                                        ;     Child Loop BB2964_59 Depth 2
	v_cmp_ne_u16_sdwa s[34:35], v27, v44 src0_sel:BYTE_0 src1_sel:DWORD
	s_nop 1
	v_cndmask_b32_e64 v17, 0, 1, s[34:35]
	;;#ASMSTART
	;;#ASMEND
	s_nop 0
	v_cmp_ne_u32_e32 vcc, 0, v17
	s_cmp_lg_u64 vcc, exec
	v_mov_b32_e32 v17, v26
	s_cbranch_scc1 .LBB2964_61
; %bb.57:                               ;   in Loop: Header=BB2964_56 Depth=1
	v_lshl_add_u64 v[30:31], v[24:25], 3, s[30:31]
	global_load_dwordx2 v[26:27], v[30:31], off sc1
	s_waitcnt vmcnt(0)
	v_cmp_eq_u16_sdwa s[36:37], v27, v25 src0_sel:BYTE_0 src1_sel:DWORD
	s_and_saveexec_b64 s[34:35], s[36:37]
	s_cbranch_execz .LBB2964_55
; %bb.58:                               ;   in Loop: Header=BB2964_56 Depth=1
	s_mov_b64 s[36:37], 0
.LBB2964_59:                            ;   Parent Loop BB2964_56 Depth=1
                                        ; =>  This Inner Loop Header: Depth=2
	global_load_dwordx2 v[26:27], v[30:31], off sc1
	s_waitcnt vmcnt(0)
	v_cmp_ne_u16_sdwa s[40:41], v27, v25 src0_sel:BYTE_0 src1_sel:DWORD
	s_or_b64 s[36:37], s[40:41], s[36:37]
	s_andn2_b64 exec, exec, s[36:37]
	s_cbranch_execnz .LBB2964_59
; %bb.60:                               ;   in Loop: Header=BB2964_56 Depth=1
	s_or_b64 exec, exec, s[36:37]
	s_branch .LBB2964_55
.LBB2964_61:                            ;   in Loop: Header=BB2964_56 Depth=1
                                        ; implicit-def: $vgpr26
                                        ; implicit-def: $vgpr27
	s_cbranch_execz .LBB2964_56
; %bb.62:
	s_and_saveexec_b64 s[34:35], s[16:17]
	s_cbranch_execz .LBB2964_64
; %bb.63:
	s_add_i32 s36, s38, 64
	s_mov_b32 s37, 0
	s_lshl_b64 s[36:37], s[36:37], 3
	s_add_u32 s36, s30, s36
	v_add_u32_e32 v24, v17, v16
	v_mov_b32_e32 v25, 2
	s_addc_u32 s37, s31, s37
	v_mov_b32_e32 v26, 0
	global_store_dwordx2 v26, v[24:25], s[36:37] sc1
	ds_write_b64 v26, v[16:17] offset:28672
.LBB2964_64:
	s_or_b64 exec, exec, s[34:35]
	s_and_b64 exec, exec, s[18:19]
	s_cbranch_execz .LBB2964_66
; %bb.65:
	v_mov_b32_e32 v16, 0
	ds_write_b32 v16, v17 offset:28
.LBB2964_66:
	s_or_b64 exec, exec, s[0:1]
	v_mov_b32_e32 v16, 0
	s_waitcnt lgkmcnt(0)
	s_barrier
	ds_read_b32 v17, v16 offset:28
	v_cndmask_b32_e64 v24, v43, v42, s[16:17]
	v_cndmask_b32_e64 v24, v24, 0, s[18:19]
	s_waitcnt lgkmcnt(0)
	s_barrier
	v_add_u32_e32 v31, v17, v24
	v_add_u32_e32 v30, v31, v37
	ds_read_b64 v[16:17], v16 offset:28672
	v_add_u32_e32 v29, v30, v36
	v_add_u32_e32 v27, v29, v35
	;; [unrolled: 1-line block ×5, first 2 shown]
	s_waitcnt lgkmcnt(0)
	v_mov_b32_e32 v26, v17
	s_branch .LBB2964_77
.LBB2964_67:
                                        ; implicit-def: $vgpr26
                                        ; implicit-def: $vgpr16
                                        ; implicit-def: $vgpr24
                                        ; implicit-def: $vgpr25
                                        ; implicit-def: $vgpr28
                                        ; implicit-def: $vgpr27
                                        ; implicit-def: $vgpr29
                                        ; implicit-def: $vgpr30
                                        ; implicit-def: $vgpr31
	s_cbranch_execz .LBB2964_77
; %bb.68:
	s_nop 0
	v_mov_b32_dpp v16, v41 row_shr:1 row_mask:0xf bank_mask:0xf
	v_cndmask_b32_e64 v16, v16, 0, s[14:15]
	v_add_u32_e32 v16, v16, v41
	s_nop 1
	v_mov_b32_dpp v17, v16 row_shr:2 row_mask:0xf bank_mask:0xf
	v_cndmask_b32_e64 v17, 0, v17, s[12:13]
	v_add_u32_e32 v16, v16, v17
	;; [unrolled: 4-line block ×4, first 2 shown]
	s_nop 1
	v_mov_b32_dpp v17, v16 row_bcast:15 row_mask:0xf bank_mask:0xf
	v_cndmask_b32_e64 v17, v17, 0, s[6:7]
	v_add_u32_e32 v16, v16, v17
	s_nop 1
	v_mov_b32_dpp v17, v16 row_bcast:31 row_mask:0xf bank_mask:0xf
	v_cndmask_b32_e64 v17, 0, v17, s[2:3]
	v_add_u32_e32 v16, v16, v17
	s_and_saveexec_b64 s[0:1], s[4:5]
	s_cbranch_execz .LBB2964_70
; %bb.69:
	v_lshlrev_b32_e32 v17, 2, v40
	ds_write_b32 v17, v16
.LBB2964_70:
	s_or_b64 exec, exec, s[0:1]
	v_cmp_gt_u32_e32 vcc, 8, v0
	s_waitcnt lgkmcnt(0)
	s_barrier
	s_and_saveexec_b64 s[0:1], vcc
	s_cbranch_execz .LBB2964_72
; %bb.71:
	v_mad_i32_i24 v17, v0, -3, v39
	ds_read_b32 v24, v17
	v_and_b32_e32 v25, 7, v38
	v_cmp_ne_u32_e32 vcc, 0, v25
	s_waitcnt lgkmcnt(0)
	v_mov_b32_dpp v26, v24 row_shr:1 row_mask:0xf bank_mask:0xf
	v_cndmask_b32_e32 v26, 0, v26, vcc
	v_add_u32_e32 v24, v26, v24
	v_cmp_lt_u32_e32 vcc, 1, v25
	s_nop 0
	v_mov_b32_dpp v26, v24 row_shr:2 row_mask:0xf bank_mask:0xf
	v_cndmask_b32_e32 v26, 0, v26, vcc
	v_add_u32_e32 v24, v24, v26
	v_cmp_lt_u32_e32 vcc, 3, v25
	s_nop 0
	v_mov_b32_dpp v26, v24 row_shr:4 row_mask:0xf bank_mask:0xf
	v_cndmask_b32_e32 v25, 0, v26, vcc
	v_add_u32_e32 v24, v24, v25
	ds_write_b32 v17, v24
.LBB2964_72:
	s_or_b64 exec, exec, s[0:1]
	v_cmp_lt_u32_e32 vcc, 63, v0
	v_mov_b32_e32 v17, 0
	v_mov_b32_e32 v24, 0
	s_waitcnt lgkmcnt(0)
	s_barrier
	s_and_saveexec_b64 s[0:1], vcc
	s_cbranch_execz .LBB2964_74
; %bb.73:
	v_lshl_add_u32 v24, v40, 2, -4
	ds_read_b32 v24, v24
.LBB2964_74:
	s_or_b64 exec, exec, s[0:1]
	v_add_u32_e32 v25, -1, v38
	v_and_b32_e32 v26, 64, v38
	v_cmp_lt_i32_e32 vcc, v25, v26
	s_waitcnt lgkmcnt(0)
	v_add_u32_e32 v16, v24, v16
	v_cndmask_b32_e32 v25, v25, v38, vcc
	v_lshlrev_b32_e32 v25, 2, v25
	ds_bpermute_b32 v25, v25, v16
	ds_read_b32 v16, v17 offset:28
	s_and_saveexec_b64 s[0:1], s[18:19]
	s_cbranch_execz .LBB2964_76
; %bb.75:
	v_mov_b32_e32 v26, 0
	v_mov_b32_e32 v17, 2
	s_waitcnt lgkmcnt(0)
	global_store_dwordx2 v26, v[16:17], s[30:31] offset:512 sc1
.LBB2964_76:
	s_or_b64 exec, exec, s[0:1]
	v_cmp_eq_u32_e32 vcc, 0, v38
	v_mov_b32_e32 v26, 0
	s_waitcnt lgkmcnt(0)
	v_cndmask_b32_e32 v17, v25, v24, vcc
	v_cndmask_b32_e64 v31, v17, 0, s[18:19]
	v_add_u32_e32 v30, v31, v37
	v_add_u32_e32 v29, v30, v36
	;; [unrolled: 1-line block ×6, first 2 shown]
	s_barrier
.LBB2964_77:
	v_add_u32_e32 v1, v16, v1
	v_sub_u32_e32 v17, v31, v26
	v_sub_u32_e32 v31, v1, v17
	v_cmp_eq_u32_e32 vcc, 1, v37
	v_cmp_ge_u32_e64 s[0:1], v0, v16
	s_nop 0
	v_cndmask_b32_e32 v17, v31, v17, vcc
	v_lshlrev_b32_e32 v17, 3, v17
	ds_write_b64 v17, v[10:11]
	v_sub_u32_e32 v10, v30, v26
	v_sub_u32_e32 v11, v1, v10
	v_add_u32_e32 v11, 1, v11
	v_cmp_eq_u32_e32 vcc, 1, v36
	v_or_b32_e32 v31, 0x200, v0
	v_or_b32_e32 v30, 0x400, v0
	v_cndmask_b32_e32 v10, v11, v10, vcc
	v_lshlrev_b32_e32 v10, 3, v10
	ds_write_b64 v10, v[12:13]
	v_sub_u32_e32 v10, v29, v26
	v_sub_u32_e32 v11, v1, v10
	v_add_u32_e32 v11, 2, v11
	v_cmp_eq_u32_e32 vcc, 1, v35
	v_or_b32_e32 v29, 0x600, v0
	s_nop 0
	v_cndmask_b32_e32 v10, v11, v10, vcc
	v_lshlrev_b32_e32 v10, 3, v10
	ds_write_b64 v10, v[6:7]
	v_sub_u32_e32 v6, v27, v26
	v_sub_u32_e32 v7, v1, v6
	v_add_u32_e32 v7, 3, v7
	v_cmp_eq_u32_e32 vcc, 1, v34
	v_mov_b32_e32 v27, 0
	v_mov_b32_e32 v17, v27
	v_cndmask_b32_e32 v6, v7, v6, vcc
	v_lshlrev_b32_e32 v6, 3, v6
	ds_write_b64 v6, v[8:9]
	v_sub_u32_e32 v6, v28, v26
	v_sub_u32_e32 v7, v1, v6
	v_add_u32_e32 v7, 4, v7
	v_cmp_eq_u32_e32 vcc, 1, v33
	v_or_b32_e32 v28, 0x800, v0
	s_nop 0
	v_cndmask_b32_e32 v6, v7, v6, vcc
	v_lshlrev_b32_e32 v6, 3, v6
	ds_write_b64 v6, v[2:3]
	v_sub_u32_e32 v2, v25, v26
	v_sub_u32_e32 v3, v1, v2
	v_add_u32_e32 v3, 5, v3
	v_cmp_eq_u32_e32 vcc, 1, v32
	s_nop 1
	v_cndmask_b32_e32 v2, v3, v2, vcc
	v_lshlrev_b32_e32 v2, 3, v2
	ds_write_b64 v2, v[4:5]
	v_sub_u32_e32 v2, v24, v26
	v_sub_u32_e32 v1, v1, v2
	v_add_u32_e32 v1, 6, v1
	v_cmp_eq_u32_e32 vcc, 1, v19
	v_or_b32_e32 v19, 0xa00, v0
	s_nop 0
	v_cndmask_b32_e32 v1, v1, v2, vcc
	v_lshlrev_b32_e32 v1, 3, v1
	ds_write_b64 v1, v[14:15]
	s_waitcnt vmcnt(0)
	v_lshl_add_u64 v[14:15], v[20:21], 0, v[16:17]
	v_lshl_add_u64 v[14:15], v[14:15], 0, v[26:27]
	s_waitcnt lgkmcnt(0)
	s_barrier
	ds_read2st64_b64 v[10:13], v18 offset1:8
	ds_read2st64_b64 v[6:9], v18 offset0:16 offset1:24
	ds_read2st64_b64 v[2:5], v18 offset0:32 offset1:40
	ds_read_b64 v[24:25], v18 offset:24576
	v_mov_b32_e32 v17, s27
	v_sub_co_u32_e32 v20, vcc, s26, v14
	v_or_b32_e32 v1, 0xc00, v0
	s_nop 0
	v_subb_co_u32_e32 v21, vcc, v17, v15, vcc
	v_lshlrev_b64 v[20:21], 3, v[20:21]
	v_lshl_add_u64 v[20:21], s[28:29], 0, v[20:21]
	v_lshl_add_u64 v[20:21], v[20:21], 0, v[22:23]
	s_andn2_b64 vcc, exec, s[24:25]
	s_cbranch_vccnz .LBB2964_86
; %bb.78:
	s_and_saveexec_b64 s[2:3], s[0:1]
	s_cbranch_execnz .LBB2964_105
; %bb.79:
	s_or_b64 exec, exec, s[2:3]
	v_cmp_ge_u32_e32 vcc, v31, v16
	s_and_saveexec_b64 s[0:1], vcc
	s_cbranch_execnz .LBB2964_106
.LBB2964_80:
	s_or_b64 exec, exec, s[0:1]
	v_cmp_ge_u32_e32 vcc, v30, v16
	s_and_saveexec_b64 s[0:1], vcc
	s_cbranch_execnz .LBB2964_107
.LBB2964_81:
	s_or_b64 exec, exec, s[0:1]
	v_cmp_ge_u32_e32 vcc, v29, v16
	s_and_saveexec_b64 s[0:1], vcc
	s_cbranch_execnz .LBB2964_108
.LBB2964_82:
	s_or_b64 exec, exec, s[0:1]
	v_cmp_ge_u32_e32 vcc, v28, v16
	s_and_saveexec_b64 s[0:1], vcc
	s_cbranch_execnz .LBB2964_109
.LBB2964_83:
	s_or_b64 exec, exec, s[0:1]
	v_cmp_ge_u32_e32 vcc, v19, v16
	s_and_saveexec_b64 s[0:1], vcc
	s_cbranch_execz .LBB2964_85
.LBB2964_84:
	v_lshlrev_b32_e32 v17, 3, v19
	v_readfirstlane_b32 s2, v20
	v_readfirstlane_b32 s3, v21
	s_waitcnt lgkmcnt(1)
	s_nop 3
	global_store_dwordx2 v17, v[4:5], s[2:3]
.LBB2964_85:
	s_or_b64 exec, exec, s[0:1]
	v_cmp_ge_u32_e64 s[0:1], v1, v16
	s_branch .LBB2964_100
.LBB2964_86:
	s_mov_b64 s[0:1], 0
	s_cbranch_execz .LBB2964_100
; %bb.87:
	v_cmp_gt_u32_e32 vcc, s33, v0
	v_cmp_ge_u32_e64 s[0:1], v0, v16
	s_and_b64 s[2:3], vcc, s[0:1]
	s_and_saveexec_b64 s[0:1], s[2:3]
	s_cbranch_execz .LBB2964_89
; %bb.88:
	v_readfirstlane_b32 s2, v20
	v_readfirstlane_b32 s3, v21
	s_waitcnt lgkmcnt(3)
	s_nop 3
	global_store_dwordx2 v18, v[10:11], s[2:3]
.LBB2964_89:
	s_or_b64 exec, exec, s[0:1]
	v_cmp_gt_u32_e32 vcc, s33, v31
	v_cmp_ge_u32_e64 s[0:1], v31, v16
	s_and_b64 s[2:3], vcc, s[0:1]
	s_and_saveexec_b64 s[0:1], s[2:3]
	s_cbranch_execz .LBB2964_91
; %bb.90:
	v_lshlrev_b32_e32 v0, 3, v31
	v_readfirstlane_b32 s2, v20
	v_readfirstlane_b32 s3, v21
	s_waitcnt lgkmcnt(3)
	s_nop 3
	global_store_dwordx2 v0, v[12:13], s[2:3]
.LBB2964_91:
	s_or_b64 exec, exec, s[0:1]
	v_cmp_gt_u32_e32 vcc, s33, v30
	v_cmp_ge_u32_e64 s[0:1], v30, v16
	s_and_b64 s[2:3], vcc, s[0:1]
	s_and_saveexec_b64 s[0:1], s[2:3]
	s_cbranch_execz .LBB2964_93
; %bb.92:
	v_lshlrev_b32_e32 v0, 3, v30
	v_readfirstlane_b32 s2, v20
	v_readfirstlane_b32 s3, v21
	s_waitcnt lgkmcnt(2)
	s_nop 3
	global_store_dwordx2 v0, v[6:7], s[2:3]
.LBB2964_93:
	s_or_b64 exec, exec, s[0:1]
	v_cmp_gt_u32_e32 vcc, s33, v29
	v_cmp_ge_u32_e64 s[0:1], v29, v16
	s_and_b64 s[2:3], vcc, s[0:1]
	s_and_saveexec_b64 s[0:1], s[2:3]
	s_cbranch_execz .LBB2964_95
; %bb.94:
	v_lshlrev_b32_e32 v0, 3, v29
	v_readfirstlane_b32 s2, v20
	v_readfirstlane_b32 s3, v21
	s_waitcnt lgkmcnt(2)
	s_nop 3
	global_store_dwordx2 v0, v[8:9], s[2:3]
.LBB2964_95:
	s_or_b64 exec, exec, s[0:1]
	v_cmp_gt_u32_e32 vcc, s33, v28
	v_cmp_ge_u32_e64 s[0:1], v28, v16
	s_and_b64 s[2:3], vcc, s[0:1]
	s_and_saveexec_b64 s[0:1], s[2:3]
	s_cbranch_execz .LBB2964_97
; %bb.96:
	v_lshlrev_b32_e32 v0, 3, v28
	v_readfirstlane_b32 s2, v20
	v_readfirstlane_b32 s3, v21
	s_waitcnt lgkmcnt(1)
	s_nop 3
	global_store_dwordx2 v0, v[2:3], s[2:3]
.LBB2964_97:
	s_or_b64 exec, exec, s[0:1]
	v_cmp_gt_u32_e32 vcc, s33, v19
	v_cmp_ge_u32_e64 s[0:1], v19, v16
	s_and_b64 s[2:3], vcc, s[0:1]
	s_and_saveexec_b64 s[0:1], s[2:3]
	s_cbranch_execz .LBB2964_99
; %bb.98:
	v_lshlrev_b32_e32 v0, 3, v19
	v_readfirstlane_b32 s2, v20
	v_readfirstlane_b32 s3, v21
	s_waitcnt lgkmcnt(1)
	s_nop 3
	global_store_dwordx2 v0, v[4:5], s[2:3]
.LBB2964_99:
	s_or_b64 exec, exec, s[0:1]
	v_cmp_gt_u32_e32 vcc, s33, v1
	v_cmp_ge_u32_e64 s[0:1], v1, v16
	s_and_b64 s[0:1], vcc, s[0:1]
.LBB2964_100:
	s_and_saveexec_b64 s[2:3], s[0:1]
	s_cbranch_execnz .LBB2964_103
; %bb.101:
	s_or_b64 exec, exec, s[2:3]
	s_and_b64 s[0:1], s[18:19], s[22:23]
	s_and_saveexec_b64 s[2:3], s[0:1]
	s_cbranch_execnz .LBB2964_104
.LBB2964_102:
	s_endpgm
.LBB2964_103:
	v_lshlrev_b32_e32 v0, 3, v1
	v_readfirstlane_b32 s0, v20
	v_readfirstlane_b32 s1, v21
	s_waitcnt lgkmcnt(0)
	s_nop 3
	global_store_dwordx2 v0, v[24:25], s[0:1]
	s_or_b64 exec, exec, s[2:3]
	s_and_b64 s[0:1], s[18:19], s[22:23]
	s_and_saveexec_b64 s[2:3], s[0:1]
	s_cbranch_execz .LBB2964_102
.LBB2964_104:
	v_mov_b32_e32 v0, 0
	global_store_dwordx2 v0, v[14:15], s[20:21]
	s_endpgm
.LBB2964_105:
	v_readfirstlane_b32 s0, v20
	v_readfirstlane_b32 s1, v21
	s_waitcnt lgkmcnt(3)
	s_nop 3
	global_store_dwordx2 v18, v[10:11], s[0:1]
	s_or_b64 exec, exec, s[2:3]
	v_cmp_ge_u32_e32 vcc, v31, v16
	s_and_saveexec_b64 s[0:1], vcc
	s_cbranch_execz .LBB2964_80
.LBB2964_106:
	v_lshlrev_b32_e32 v17, 3, v31
	v_readfirstlane_b32 s2, v20
	v_readfirstlane_b32 s3, v21
	s_waitcnt lgkmcnt(3)
	s_nop 3
	global_store_dwordx2 v17, v[12:13], s[2:3]
	s_or_b64 exec, exec, s[0:1]
	v_cmp_ge_u32_e32 vcc, v30, v16
	s_and_saveexec_b64 s[0:1], vcc
	s_cbranch_execz .LBB2964_81
.LBB2964_107:
	v_lshlrev_b32_e32 v17, 3, v30
	v_readfirstlane_b32 s2, v20
	v_readfirstlane_b32 s3, v21
	s_waitcnt lgkmcnt(2)
	s_nop 3
	global_store_dwordx2 v17, v[6:7], s[2:3]
	s_or_b64 exec, exec, s[0:1]
	v_cmp_ge_u32_e32 vcc, v29, v16
	s_and_saveexec_b64 s[0:1], vcc
	s_cbranch_execz .LBB2964_82
.LBB2964_108:
	v_lshlrev_b32_e32 v17, 3, v29
	v_readfirstlane_b32 s2, v20
	v_readfirstlane_b32 s3, v21
	s_waitcnt lgkmcnt(2)
	s_nop 3
	global_store_dwordx2 v17, v[8:9], s[2:3]
	s_or_b64 exec, exec, s[0:1]
	v_cmp_ge_u32_e32 vcc, v28, v16
	s_and_saveexec_b64 s[0:1], vcc
	s_cbranch_execz .LBB2964_83
.LBB2964_109:
	v_lshlrev_b32_e32 v17, 3, v28
	v_readfirstlane_b32 s2, v20
	v_readfirstlane_b32 s3, v21
	s_waitcnt lgkmcnt(1)
	s_nop 3
	global_store_dwordx2 v17, v[2:3], s[2:3]
	s_or_b64 exec, exec, s[0:1]
	v_cmp_ge_u32_e32 vcc, v19, v16
	s_and_saveexec_b64 s[0:1], vcc
	s_cbranch_execnz .LBB2964_84
	s_branch .LBB2964_85
	.section	.rodata,"a",@progbits
	.p2align	6, 0x0
	.amdhsa_kernel _ZN7rocprim17ROCPRIM_400000_NS6detail17trampoline_kernelINS0_14default_configENS1_25partition_config_selectorILNS1_17partition_subalgoE1EyNS0_10empty_typeEbEEZZNS1_14partition_implILS5_1ELb0ES3_jN6thrust23THRUST_200600_302600_NS6detail15normal_iteratorINSA_10device_ptrIyEEEEPS6_NSA_18transform_iteratorI7is_evenIyESF_NSA_11use_defaultESK_EENS0_5tupleIJNSA_16discard_iteratorISK_EESF_EEENSM_IJSG_SG_EEES6_PlJS6_EEE10hipError_tPvRmT3_T4_T5_T6_T7_T9_mT8_P12ihipStream_tbDpT10_ENKUlT_T0_E_clISt17integral_constantIbLb0EES1A_IbLb1EEEEDaS16_S17_EUlS16_E_NS1_11comp_targetILNS1_3genE5ELNS1_11target_archE942ELNS1_3gpuE9ELNS1_3repE0EEENS1_30default_config_static_selectorELNS0_4arch9wavefront6targetE1EEEvT1_
		.amdhsa_group_segment_fixed_size 28680
		.amdhsa_private_segment_fixed_size 0
		.amdhsa_kernarg_size 152
		.amdhsa_user_sgpr_count 2
		.amdhsa_user_sgpr_dispatch_ptr 0
		.amdhsa_user_sgpr_queue_ptr 0
		.amdhsa_user_sgpr_kernarg_segment_ptr 1
		.amdhsa_user_sgpr_dispatch_id 0
		.amdhsa_user_sgpr_kernarg_preload_length 0
		.amdhsa_user_sgpr_kernarg_preload_offset 0
		.amdhsa_user_sgpr_private_segment_size 0
		.amdhsa_uses_dynamic_stack 0
		.amdhsa_enable_private_segment 0
		.amdhsa_system_sgpr_workgroup_id_x 1
		.amdhsa_system_sgpr_workgroup_id_y 0
		.amdhsa_system_sgpr_workgroup_id_z 0
		.amdhsa_system_sgpr_workgroup_info 0
		.amdhsa_system_vgpr_workitem_id 0
		.amdhsa_next_free_vgpr 58
		.amdhsa_next_free_sgpr 42
		.amdhsa_accum_offset 60
		.amdhsa_reserve_vcc 1
		.amdhsa_float_round_mode_32 0
		.amdhsa_float_round_mode_16_64 0
		.amdhsa_float_denorm_mode_32 3
		.amdhsa_float_denorm_mode_16_64 3
		.amdhsa_dx10_clamp 1
		.amdhsa_ieee_mode 1
		.amdhsa_fp16_overflow 0
		.amdhsa_tg_split 0
		.amdhsa_exception_fp_ieee_invalid_op 0
		.amdhsa_exception_fp_denorm_src 0
		.amdhsa_exception_fp_ieee_div_zero 0
		.amdhsa_exception_fp_ieee_overflow 0
		.amdhsa_exception_fp_ieee_underflow 0
		.amdhsa_exception_fp_ieee_inexact 0
		.amdhsa_exception_int_div_zero 0
	.end_amdhsa_kernel
	.section	.text._ZN7rocprim17ROCPRIM_400000_NS6detail17trampoline_kernelINS0_14default_configENS1_25partition_config_selectorILNS1_17partition_subalgoE1EyNS0_10empty_typeEbEEZZNS1_14partition_implILS5_1ELb0ES3_jN6thrust23THRUST_200600_302600_NS6detail15normal_iteratorINSA_10device_ptrIyEEEEPS6_NSA_18transform_iteratorI7is_evenIyESF_NSA_11use_defaultESK_EENS0_5tupleIJNSA_16discard_iteratorISK_EESF_EEENSM_IJSG_SG_EEES6_PlJS6_EEE10hipError_tPvRmT3_T4_T5_T6_T7_T9_mT8_P12ihipStream_tbDpT10_ENKUlT_T0_E_clISt17integral_constantIbLb0EES1A_IbLb1EEEEDaS16_S17_EUlS16_E_NS1_11comp_targetILNS1_3genE5ELNS1_11target_archE942ELNS1_3gpuE9ELNS1_3repE0EEENS1_30default_config_static_selectorELNS0_4arch9wavefront6targetE1EEEvT1_,"axG",@progbits,_ZN7rocprim17ROCPRIM_400000_NS6detail17trampoline_kernelINS0_14default_configENS1_25partition_config_selectorILNS1_17partition_subalgoE1EyNS0_10empty_typeEbEEZZNS1_14partition_implILS5_1ELb0ES3_jN6thrust23THRUST_200600_302600_NS6detail15normal_iteratorINSA_10device_ptrIyEEEEPS6_NSA_18transform_iteratorI7is_evenIyESF_NSA_11use_defaultESK_EENS0_5tupleIJNSA_16discard_iteratorISK_EESF_EEENSM_IJSG_SG_EEES6_PlJS6_EEE10hipError_tPvRmT3_T4_T5_T6_T7_T9_mT8_P12ihipStream_tbDpT10_ENKUlT_T0_E_clISt17integral_constantIbLb0EES1A_IbLb1EEEEDaS16_S17_EUlS16_E_NS1_11comp_targetILNS1_3genE5ELNS1_11target_archE942ELNS1_3gpuE9ELNS1_3repE0EEENS1_30default_config_static_selectorELNS0_4arch9wavefront6targetE1EEEvT1_,comdat
.Lfunc_end2964:
	.size	_ZN7rocprim17ROCPRIM_400000_NS6detail17trampoline_kernelINS0_14default_configENS1_25partition_config_selectorILNS1_17partition_subalgoE1EyNS0_10empty_typeEbEEZZNS1_14partition_implILS5_1ELb0ES3_jN6thrust23THRUST_200600_302600_NS6detail15normal_iteratorINSA_10device_ptrIyEEEEPS6_NSA_18transform_iteratorI7is_evenIyESF_NSA_11use_defaultESK_EENS0_5tupleIJNSA_16discard_iteratorISK_EESF_EEENSM_IJSG_SG_EEES6_PlJS6_EEE10hipError_tPvRmT3_T4_T5_T6_T7_T9_mT8_P12ihipStream_tbDpT10_ENKUlT_T0_E_clISt17integral_constantIbLb0EES1A_IbLb1EEEEDaS16_S17_EUlS16_E_NS1_11comp_targetILNS1_3genE5ELNS1_11target_archE942ELNS1_3gpuE9ELNS1_3repE0EEENS1_30default_config_static_selectorELNS0_4arch9wavefront6targetE1EEEvT1_, .Lfunc_end2964-_ZN7rocprim17ROCPRIM_400000_NS6detail17trampoline_kernelINS0_14default_configENS1_25partition_config_selectorILNS1_17partition_subalgoE1EyNS0_10empty_typeEbEEZZNS1_14partition_implILS5_1ELb0ES3_jN6thrust23THRUST_200600_302600_NS6detail15normal_iteratorINSA_10device_ptrIyEEEEPS6_NSA_18transform_iteratorI7is_evenIyESF_NSA_11use_defaultESK_EENS0_5tupleIJNSA_16discard_iteratorISK_EESF_EEENSM_IJSG_SG_EEES6_PlJS6_EEE10hipError_tPvRmT3_T4_T5_T6_T7_T9_mT8_P12ihipStream_tbDpT10_ENKUlT_T0_E_clISt17integral_constantIbLb0EES1A_IbLb1EEEEDaS16_S17_EUlS16_E_NS1_11comp_targetILNS1_3genE5ELNS1_11target_archE942ELNS1_3gpuE9ELNS1_3repE0EEENS1_30default_config_static_selectorELNS0_4arch9wavefront6targetE1EEEvT1_
                                        ; -- End function
	.section	.AMDGPU.csdata,"",@progbits
; Kernel info:
; codeLenInByte = 5212
; NumSgprs: 48
; NumVgprs: 58
; NumAgprs: 0
; TotalNumVgprs: 58
; ScratchSize: 0
; MemoryBound: 0
; FloatMode: 240
; IeeeMode: 1
; LDSByteSize: 28680 bytes/workgroup (compile time only)
; SGPRBlocks: 5
; VGPRBlocks: 7
; NumSGPRsForWavesPerEU: 48
; NumVGPRsForWavesPerEU: 58
; AccumOffset: 60
; Occupancy: 4
; WaveLimiterHint : 1
; COMPUTE_PGM_RSRC2:SCRATCH_EN: 0
; COMPUTE_PGM_RSRC2:USER_SGPR: 2
; COMPUTE_PGM_RSRC2:TRAP_HANDLER: 0
; COMPUTE_PGM_RSRC2:TGID_X_EN: 1
; COMPUTE_PGM_RSRC2:TGID_Y_EN: 0
; COMPUTE_PGM_RSRC2:TGID_Z_EN: 0
; COMPUTE_PGM_RSRC2:TIDIG_COMP_CNT: 0
; COMPUTE_PGM_RSRC3_GFX90A:ACCUM_OFFSET: 14
; COMPUTE_PGM_RSRC3_GFX90A:TG_SPLIT: 0
	.section	.text._ZN7rocprim17ROCPRIM_400000_NS6detail17trampoline_kernelINS0_14default_configENS1_25partition_config_selectorILNS1_17partition_subalgoE1EyNS0_10empty_typeEbEEZZNS1_14partition_implILS5_1ELb0ES3_jN6thrust23THRUST_200600_302600_NS6detail15normal_iteratorINSA_10device_ptrIyEEEEPS6_NSA_18transform_iteratorI7is_evenIyESF_NSA_11use_defaultESK_EENS0_5tupleIJNSA_16discard_iteratorISK_EESF_EEENSM_IJSG_SG_EEES6_PlJS6_EEE10hipError_tPvRmT3_T4_T5_T6_T7_T9_mT8_P12ihipStream_tbDpT10_ENKUlT_T0_E_clISt17integral_constantIbLb0EES1A_IbLb1EEEEDaS16_S17_EUlS16_E_NS1_11comp_targetILNS1_3genE4ELNS1_11target_archE910ELNS1_3gpuE8ELNS1_3repE0EEENS1_30default_config_static_selectorELNS0_4arch9wavefront6targetE1EEEvT1_,"axG",@progbits,_ZN7rocprim17ROCPRIM_400000_NS6detail17trampoline_kernelINS0_14default_configENS1_25partition_config_selectorILNS1_17partition_subalgoE1EyNS0_10empty_typeEbEEZZNS1_14partition_implILS5_1ELb0ES3_jN6thrust23THRUST_200600_302600_NS6detail15normal_iteratorINSA_10device_ptrIyEEEEPS6_NSA_18transform_iteratorI7is_evenIyESF_NSA_11use_defaultESK_EENS0_5tupleIJNSA_16discard_iteratorISK_EESF_EEENSM_IJSG_SG_EEES6_PlJS6_EEE10hipError_tPvRmT3_T4_T5_T6_T7_T9_mT8_P12ihipStream_tbDpT10_ENKUlT_T0_E_clISt17integral_constantIbLb0EES1A_IbLb1EEEEDaS16_S17_EUlS16_E_NS1_11comp_targetILNS1_3genE4ELNS1_11target_archE910ELNS1_3gpuE8ELNS1_3repE0EEENS1_30default_config_static_selectorELNS0_4arch9wavefront6targetE1EEEvT1_,comdat
	.protected	_ZN7rocprim17ROCPRIM_400000_NS6detail17trampoline_kernelINS0_14default_configENS1_25partition_config_selectorILNS1_17partition_subalgoE1EyNS0_10empty_typeEbEEZZNS1_14partition_implILS5_1ELb0ES3_jN6thrust23THRUST_200600_302600_NS6detail15normal_iteratorINSA_10device_ptrIyEEEEPS6_NSA_18transform_iteratorI7is_evenIyESF_NSA_11use_defaultESK_EENS0_5tupleIJNSA_16discard_iteratorISK_EESF_EEENSM_IJSG_SG_EEES6_PlJS6_EEE10hipError_tPvRmT3_T4_T5_T6_T7_T9_mT8_P12ihipStream_tbDpT10_ENKUlT_T0_E_clISt17integral_constantIbLb0EES1A_IbLb1EEEEDaS16_S17_EUlS16_E_NS1_11comp_targetILNS1_3genE4ELNS1_11target_archE910ELNS1_3gpuE8ELNS1_3repE0EEENS1_30default_config_static_selectorELNS0_4arch9wavefront6targetE1EEEvT1_ ; -- Begin function _ZN7rocprim17ROCPRIM_400000_NS6detail17trampoline_kernelINS0_14default_configENS1_25partition_config_selectorILNS1_17partition_subalgoE1EyNS0_10empty_typeEbEEZZNS1_14partition_implILS5_1ELb0ES3_jN6thrust23THRUST_200600_302600_NS6detail15normal_iteratorINSA_10device_ptrIyEEEEPS6_NSA_18transform_iteratorI7is_evenIyESF_NSA_11use_defaultESK_EENS0_5tupleIJNSA_16discard_iteratorISK_EESF_EEENSM_IJSG_SG_EEES6_PlJS6_EEE10hipError_tPvRmT3_T4_T5_T6_T7_T9_mT8_P12ihipStream_tbDpT10_ENKUlT_T0_E_clISt17integral_constantIbLb0EES1A_IbLb1EEEEDaS16_S17_EUlS16_E_NS1_11comp_targetILNS1_3genE4ELNS1_11target_archE910ELNS1_3gpuE8ELNS1_3repE0EEENS1_30default_config_static_selectorELNS0_4arch9wavefront6targetE1EEEvT1_
	.globl	_ZN7rocprim17ROCPRIM_400000_NS6detail17trampoline_kernelINS0_14default_configENS1_25partition_config_selectorILNS1_17partition_subalgoE1EyNS0_10empty_typeEbEEZZNS1_14partition_implILS5_1ELb0ES3_jN6thrust23THRUST_200600_302600_NS6detail15normal_iteratorINSA_10device_ptrIyEEEEPS6_NSA_18transform_iteratorI7is_evenIyESF_NSA_11use_defaultESK_EENS0_5tupleIJNSA_16discard_iteratorISK_EESF_EEENSM_IJSG_SG_EEES6_PlJS6_EEE10hipError_tPvRmT3_T4_T5_T6_T7_T9_mT8_P12ihipStream_tbDpT10_ENKUlT_T0_E_clISt17integral_constantIbLb0EES1A_IbLb1EEEEDaS16_S17_EUlS16_E_NS1_11comp_targetILNS1_3genE4ELNS1_11target_archE910ELNS1_3gpuE8ELNS1_3repE0EEENS1_30default_config_static_selectorELNS0_4arch9wavefront6targetE1EEEvT1_
	.p2align	8
	.type	_ZN7rocprim17ROCPRIM_400000_NS6detail17trampoline_kernelINS0_14default_configENS1_25partition_config_selectorILNS1_17partition_subalgoE1EyNS0_10empty_typeEbEEZZNS1_14partition_implILS5_1ELb0ES3_jN6thrust23THRUST_200600_302600_NS6detail15normal_iteratorINSA_10device_ptrIyEEEEPS6_NSA_18transform_iteratorI7is_evenIyESF_NSA_11use_defaultESK_EENS0_5tupleIJNSA_16discard_iteratorISK_EESF_EEENSM_IJSG_SG_EEES6_PlJS6_EEE10hipError_tPvRmT3_T4_T5_T6_T7_T9_mT8_P12ihipStream_tbDpT10_ENKUlT_T0_E_clISt17integral_constantIbLb0EES1A_IbLb1EEEEDaS16_S17_EUlS16_E_NS1_11comp_targetILNS1_3genE4ELNS1_11target_archE910ELNS1_3gpuE8ELNS1_3repE0EEENS1_30default_config_static_selectorELNS0_4arch9wavefront6targetE1EEEvT1_,@function
_ZN7rocprim17ROCPRIM_400000_NS6detail17trampoline_kernelINS0_14default_configENS1_25partition_config_selectorILNS1_17partition_subalgoE1EyNS0_10empty_typeEbEEZZNS1_14partition_implILS5_1ELb0ES3_jN6thrust23THRUST_200600_302600_NS6detail15normal_iteratorINSA_10device_ptrIyEEEEPS6_NSA_18transform_iteratorI7is_evenIyESF_NSA_11use_defaultESK_EENS0_5tupleIJNSA_16discard_iteratorISK_EESF_EEENSM_IJSG_SG_EEES6_PlJS6_EEE10hipError_tPvRmT3_T4_T5_T6_T7_T9_mT8_P12ihipStream_tbDpT10_ENKUlT_T0_E_clISt17integral_constantIbLb0EES1A_IbLb1EEEEDaS16_S17_EUlS16_E_NS1_11comp_targetILNS1_3genE4ELNS1_11target_archE910ELNS1_3gpuE8ELNS1_3repE0EEENS1_30default_config_static_selectorELNS0_4arch9wavefront6targetE1EEEvT1_: ; @_ZN7rocprim17ROCPRIM_400000_NS6detail17trampoline_kernelINS0_14default_configENS1_25partition_config_selectorILNS1_17partition_subalgoE1EyNS0_10empty_typeEbEEZZNS1_14partition_implILS5_1ELb0ES3_jN6thrust23THRUST_200600_302600_NS6detail15normal_iteratorINSA_10device_ptrIyEEEEPS6_NSA_18transform_iteratorI7is_evenIyESF_NSA_11use_defaultESK_EENS0_5tupleIJNSA_16discard_iteratorISK_EESF_EEENSM_IJSG_SG_EEES6_PlJS6_EEE10hipError_tPvRmT3_T4_T5_T6_T7_T9_mT8_P12ihipStream_tbDpT10_ENKUlT_T0_E_clISt17integral_constantIbLb0EES1A_IbLb1EEEEDaS16_S17_EUlS16_E_NS1_11comp_targetILNS1_3genE4ELNS1_11target_archE910ELNS1_3gpuE8ELNS1_3repE0EEENS1_30default_config_static_selectorELNS0_4arch9wavefront6targetE1EEEvT1_
; %bb.0:
	.section	.rodata,"a",@progbits
	.p2align	6, 0x0
	.amdhsa_kernel _ZN7rocprim17ROCPRIM_400000_NS6detail17trampoline_kernelINS0_14default_configENS1_25partition_config_selectorILNS1_17partition_subalgoE1EyNS0_10empty_typeEbEEZZNS1_14partition_implILS5_1ELb0ES3_jN6thrust23THRUST_200600_302600_NS6detail15normal_iteratorINSA_10device_ptrIyEEEEPS6_NSA_18transform_iteratorI7is_evenIyESF_NSA_11use_defaultESK_EENS0_5tupleIJNSA_16discard_iteratorISK_EESF_EEENSM_IJSG_SG_EEES6_PlJS6_EEE10hipError_tPvRmT3_T4_T5_T6_T7_T9_mT8_P12ihipStream_tbDpT10_ENKUlT_T0_E_clISt17integral_constantIbLb0EES1A_IbLb1EEEEDaS16_S17_EUlS16_E_NS1_11comp_targetILNS1_3genE4ELNS1_11target_archE910ELNS1_3gpuE8ELNS1_3repE0EEENS1_30default_config_static_selectorELNS0_4arch9wavefront6targetE1EEEvT1_
		.amdhsa_group_segment_fixed_size 0
		.amdhsa_private_segment_fixed_size 0
		.amdhsa_kernarg_size 152
		.amdhsa_user_sgpr_count 2
		.amdhsa_user_sgpr_dispatch_ptr 0
		.amdhsa_user_sgpr_queue_ptr 0
		.amdhsa_user_sgpr_kernarg_segment_ptr 1
		.amdhsa_user_sgpr_dispatch_id 0
		.amdhsa_user_sgpr_kernarg_preload_length 0
		.amdhsa_user_sgpr_kernarg_preload_offset 0
		.amdhsa_user_sgpr_private_segment_size 0
		.amdhsa_uses_dynamic_stack 0
		.amdhsa_enable_private_segment 0
		.amdhsa_system_sgpr_workgroup_id_x 1
		.amdhsa_system_sgpr_workgroup_id_y 0
		.amdhsa_system_sgpr_workgroup_id_z 0
		.amdhsa_system_sgpr_workgroup_info 0
		.amdhsa_system_vgpr_workitem_id 0
		.amdhsa_next_free_vgpr 1
		.amdhsa_next_free_sgpr 0
		.amdhsa_accum_offset 4
		.amdhsa_reserve_vcc 0
		.amdhsa_float_round_mode_32 0
		.amdhsa_float_round_mode_16_64 0
		.amdhsa_float_denorm_mode_32 3
		.amdhsa_float_denorm_mode_16_64 3
		.amdhsa_dx10_clamp 1
		.amdhsa_ieee_mode 1
		.amdhsa_fp16_overflow 0
		.amdhsa_tg_split 0
		.amdhsa_exception_fp_ieee_invalid_op 0
		.amdhsa_exception_fp_denorm_src 0
		.amdhsa_exception_fp_ieee_div_zero 0
		.amdhsa_exception_fp_ieee_overflow 0
		.amdhsa_exception_fp_ieee_underflow 0
		.amdhsa_exception_fp_ieee_inexact 0
		.amdhsa_exception_int_div_zero 0
	.end_amdhsa_kernel
	.section	.text._ZN7rocprim17ROCPRIM_400000_NS6detail17trampoline_kernelINS0_14default_configENS1_25partition_config_selectorILNS1_17partition_subalgoE1EyNS0_10empty_typeEbEEZZNS1_14partition_implILS5_1ELb0ES3_jN6thrust23THRUST_200600_302600_NS6detail15normal_iteratorINSA_10device_ptrIyEEEEPS6_NSA_18transform_iteratorI7is_evenIyESF_NSA_11use_defaultESK_EENS0_5tupleIJNSA_16discard_iteratorISK_EESF_EEENSM_IJSG_SG_EEES6_PlJS6_EEE10hipError_tPvRmT3_T4_T5_T6_T7_T9_mT8_P12ihipStream_tbDpT10_ENKUlT_T0_E_clISt17integral_constantIbLb0EES1A_IbLb1EEEEDaS16_S17_EUlS16_E_NS1_11comp_targetILNS1_3genE4ELNS1_11target_archE910ELNS1_3gpuE8ELNS1_3repE0EEENS1_30default_config_static_selectorELNS0_4arch9wavefront6targetE1EEEvT1_,"axG",@progbits,_ZN7rocprim17ROCPRIM_400000_NS6detail17trampoline_kernelINS0_14default_configENS1_25partition_config_selectorILNS1_17partition_subalgoE1EyNS0_10empty_typeEbEEZZNS1_14partition_implILS5_1ELb0ES3_jN6thrust23THRUST_200600_302600_NS6detail15normal_iteratorINSA_10device_ptrIyEEEEPS6_NSA_18transform_iteratorI7is_evenIyESF_NSA_11use_defaultESK_EENS0_5tupleIJNSA_16discard_iteratorISK_EESF_EEENSM_IJSG_SG_EEES6_PlJS6_EEE10hipError_tPvRmT3_T4_T5_T6_T7_T9_mT8_P12ihipStream_tbDpT10_ENKUlT_T0_E_clISt17integral_constantIbLb0EES1A_IbLb1EEEEDaS16_S17_EUlS16_E_NS1_11comp_targetILNS1_3genE4ELNS1_11target_archE910ELNS1_3gpuE8ELNS1_3repE0EEENS1_30default_config_static_selectorELNS0_4arch9wavefront6targetE1EEEvT1_,comdat
.Lfunc_end2965:
	.size	_ZN7rocprim17ROCPRIM_400000_NS6detail17trampoline_kernelINS0_14default_configENS1_25partition_config_selectorILNS1_17partition_subalgoE1EyNS0_10empty_typeEbEEZZNS1_14partition_implILS5_1ELb0ES3_jN6thrust23THRUST_200600_302600_NS6detail15normal_iteratorINSA_10device_ptrIyEEEEPS6_NSA_18transform_iteratorI7is_evenIyESF_NSA_11use_defaultESK_EENS0_5tupleIJNSA_16discard_iteratorISK_EESF_EEENSM_IJSG_SG_EEES6_PlJS6_EEE10hipError_tPvRmT3_T4_T5_T6_T7_T9_mT8_P12ihipStream_tbDpT10_ENKUlT_T0_E_clISt17integral_constantIbLb0EES1A_IbLb1EEEEDaS16_S17_EUlS16_E_NS1_11comp_targetILNS1_3genE4ELNS1_11target_archE910ELNS1_3gpuE8ELNS1_3repE0EEENS1_30default_config_static_selectorELNS0_4arch9wavefront6targetE1EEEvT1_, .Lfunc_end2965-_ZN7rocprim17ROCPRIM_400000_NS6detail17trampoline_kernelINS0_14default_configENS1_25partition_config_selectorILNS1_17partition_subalgoE1EyNS0_10empty_typeEbEEZZNS1_14partition_implILS5_1ELb0ES3_jN6thrust23THRUST_200600_302600_NS6detail15normal_iteratorINSA_10device_ptrIyEEEEPS6_NSA_18transform_iteratorI7is_evenIyESF_NSA_11use_defaultESK_EENS0_5tupleIJNSA_16discard_iteratorISK_EESF_EEENSM_IJSG_SG_EEES6_PlJS6_EEE10hipError_tPvRmT3_T4_T5_T6_T7_T9_mT8_P12ihipStream_tbDpT10_ENKUlT_T0_E_clISt17integral_constantIbLb0EES1A_IbLb1EEEEDaS16_S17_EUlS16_E_NS1_11comp_targetILNS1_3genE4ELNS1_11target_archE910ELNS1_3gpuE8ELNS1_3repE0EEENS1_30default_config_static_selectorELNS0_4arch9wavefront6targetE1EEEvT1_
                                        ; -- End function
	.section	.AMDGPU.csdata,"",@progbits
; Kernel info:
; codeLenInByte = 0
; NumSgprs: 6
; NumVgprs: 0
; NumAgprs: 0
; TotalNumVgprs: 0
; ScratchSize: 0
; MemoryBound: 0
; FloatMode: 240
; IeeeMode: 1
; LDSByteSize: 0 bytes/workgroup (compile time only)
; SGPRBlocks: 0
; VGPRBlocks: 0
; NumSGPRsForWavesPerEU: 6
; NumVGPRsForWavesPerEU: 1
; AccumOffset: 4
; Occupancy: 8
; WaveLimiterHint : 0
; COMPUTE_PGM_RSRC2:SCRATCH_EN: 0
; COMPUTE_PGM_RSRC2:USER_SGPR: 2
; COMPUTE_PGM_RSRC2:TRAP_HANDLER: 0
; COMPUTE_PGM_RSRC2:TGID_X_EN: 1
; COMPUTE_PGM_RSRC2:TGID_Y_EN: 0
; COMPUTE_PGM_RSRC2:TGID_Z_EN: 0
; COMPUTE_PGM_RSRC2:TIDIG_COMP_CNT: 0
; COMPUTE_PGM_RSRC3_GFX90A:ACCUM_OFFSET: 0
; COMPUTE_PGM_RSRC3_GFX90A:TG_SPLIT: 0
	.section	.text._ZN7rocprim17ROCPRIM_400000_NS6detail17trampoline_kernelINS0_14default_configENS1_25partition_config_selectorILNS1_17partition_subalgoE1EyNS0_10empty_typeEbEEZZNS1_14partition_implILS5_1ELb0ES3_jN6thrust23THRUST_200600_302600_NS6detail15normal_iteratorINSA_10device_ptrIyEEEEPS6_NSA_18transform_iteratorI7is_evenIyESF_NSA_11use_defaultESK_EENS0_5tupleIJNSA_16discard_iteratorISK_EESF_EEENSM_IJSG_SG_EEES6_PlJS6_EEE10hipError_tPvRmT3_T4_T5_T6_T7_T9_mT8_P12ihipStream_tbDpT10_ENKUlT_T0_E_clISt17integral_constantIbLb0EES1A_IbLb1EEEEDaS16_S17_EUlS16_E_NS1_11comp_targetILNS1_3genE3ELNS1_11target_archE908ELNS1_3gpuE7ELNS1_3repE0EEENS1_30default_config_static_selectorELNS0_4arch9wavefront6targetE1EEEvT1_,"axG",@progbits,_ZN7rocprim17ROCPRIM_400000_NS6detail17trampoline_kernelINS0_14default_configENS1_25partition_config_selectorILNS1_17partition_subalgoE1EyNS0_10empty_typeEbEEZZNS1_14partition_implILS5_1ELb0ES3_jN6thrust23THRUST_200600_302600_NS6detail15normal_iteratorINSA_10device_ptrIyEEEEPS6_NSA_18transform_iteratorI7is_evenIyESF_NSA_11use_defaultESK_EENS0_5tupleIJNSA_16discard_iteratorISK_EESF_EEENSM_IJSG_SG_EEES6_PlJS6_EEE10hipError_tPvRmT3_T4_T5_T6_T7_T9_mT8_P12ihipStream_tbDpT10_ENKUlT_T0_E_clISt17integral_constantIbLb0EES1A_IbLb1EEEEDaS16_S17_EUlS16_E_NS1_11comp_targetILNS1_3genE3ELNS1_11target_archE908ELNS1_3gpuE7ELNS1_3repE0EEENS1_30default_config_static_selectorELNS0_4arch9wavefront6targetE1EEEvT1_,comdat
	.protected	_ZN7rocprim17ROCPRIM_400000_NS6detail17trampoline_kernelINS0_14default_configENS1_25partition_config_selectorILNS1_17partition_subalgoE1EyNS0_10empty_typeEbEEZZNS1_14partition_implILS5_1ELb0ES3_jN6thrust23THRUST_200600_302600_NS6detail15normal_iteratorINSA_10device_ptrIyEEEEPS6_NSA_18transform_iteratorI7is_evenIyESF_NSA_11use_defaultESK_EENS0_5tupleIJNSA_16discard_iteratorISK_EESF_EEENSM_IJSG_SG_EEES6_PlJS6_EEE10hipError_tPvRmT3_T4_T5_T6_T7_T9_mT8_P12ihipStream_tbDpT10_ENKUlT_T0_E_clISt17integral_constantIbLb0EES1A_IbLb1EEEEDaS16_S17_EUlS16_E_NS1_11comp_targetILNS1_3genE3ELNS1_11target_archE908ELNS1_3gpuE7ELNS1_3repE0EEENS1_30default_config_static_selectorELNS0_4arch9wavefront6targetE1EEEvT1_ ; -- Begin function _ZN7rocprim17ROCPRIM_400000_NS6detail17trampoline_kernelINS0_14default_configENS1_25partition_config_selectorILNS1_17partition_subalgoE1EyNS0_10empty_typeEbEEZZNS1_14partition_implILS5_1ELb0ES3_jN6thrust23THRUST_200600_302600_NS6detail15normal_iteratorINSA_10device_ptrIyEEEEPS6_NSA_18transform_iteratorI7is_evenIyESF_NSA_11use_defaultESK_EENS0_5tupleIJNSA_16discard_iteratorISK_EESF_EEENSM_IJSG_SG_EEES6_PlJS6_EEE10hipError_tPvRmT3_T4_T5_T6_T7_T9_mT8_P12ihipStream_tbDpT10_ENKUlT_T0_E_clISt17integral_constantIbLb0EES1A_IbLb1EEEEDaS16_S17_EUlS16_E_NS1_11comp_targetILNS1_3genE3ELNS1_11target_archE908ELNS1_3gpuE7ELNS1_3repE0EEENS1_30default_config_static_selectorELNS0_4arch9wavefront6targetE1EEEvT1_
	.globl	_ZN7rocprim17ROCPRIM_400000_NS6detail17trampoline_kernelINS0_14default_configENS1_25partition_config_selectorILNS1_17partition_subalgoE1EyNS0_10empty_typeEbEEZZNS1_14partition_implILS5_1ELb0ES3_jN6thrust23THRUST_200600_302600_NS6detail15normal_iteratorINSA_10device_ptrIyEEEEPS6_NSA_18transform_iteratorI7is_evenIyESF_NSA_11use_defaultESK_EENS0_5tupleIJNSA_16discard_iteratorISK_EESF_EEENSM_IJSG_SG_EEES6_PlJS6_EEE10hipError_tPvRmT3_T4_T5_T6_T7_T9_mT8_P12ihipStream_tbDpT10_ENKUlT_T0_E_clISt17integral_constantIbLb0EES1A_IbLb1EEEEDaS16_S17_EUlS16_E_NS1_11comp_targetILNS1_3genE3ELNS1_11target_archE908ELNS1_3gpuE7ELNS1_3repE0EEENS1_30default_config_static_selectorELNS0_4arch9wavefront6targetE1EEEvT1_
	.p2align	8
	.type	_ZN7rocprim17ROCPRIM_400000_NS6detail17trampoline_kernelINS0_14default_configENS1_25partition_config_selectorILNS1_17partition_subalgoE1EyNS0_10empty_typeEbEEZZNS1_14partition_implILS5_1ELb0ES3_jN6thrust23THRUST_200600_302600_NS6detail15normal_iteratorINSA_10device_ptrIyEEEEPS6_NSA_18transform_iteratorI7is_evenIyESF_NSA_11use_defaultESK_EENS0_5tupleIJNSA_16discard_iteratorISK_EESF_EEENSM_IJSG_SG_EEES6_PlJS6_EEE10hipError_tPvRmT3_T4_T5_T6_T7_T9_mT8_P12ihipStream_tbDpT10_ENKUlT_T0_E_clISt17integral_constantIbLb0EES1A_IbLb1EEEEDaS16_S17_EUlS16_E_NS1_11comp_targetILNS1_3genE3ELNS1_11target_archE908ELNS1_3gpuE7ELNS1_3repE0EEENS1_30default_config_static_selectorELNS0_4arch9wavefront6targetE1EEEvT1_,@function
_ZN7rocprim17ROCPRIM_400000_NS6detail17trampoline_kernelINS0_14default_configENS1_25partition_config_selectorILNS1_17partition_subalgoE1EyNS0_10empty_typeEbEEZZNS1_14partition_implILS5_1ELb0ES3_jN6thrust23THRUST_200600_302600_NS6detail15normal_iteratorINSA_10device_ptrIyEEEEPS6_NSA_18transform_iteratorI7is_evenIyESF_NSA_11use_defaultESK_EENS0_5tupleIJNSA_16discard_iteratorISK_EESF_EEENSM_IJSG_SG_EEES6_PlJS6_EEE10hipError_tPvRmT3_T4_T5_T6_T7_T9_mT8_P12ihipStream_tbDpT10_ENKUlT_T0_E_clISt17integral_constantIbLb0EES1A_IbLb1EEEEDaS16_S17_EUlS16_E_NS1_11comp_targetILNS1_3genE3ELNS1_11target_archE908ELNS1_3gpuE7ELNS1_3repE0EEENS1_30default_config_static_selectorELNS0_4arch9wavefront6targetE1EEEvT1_: ; @_ZN7rocprim17ROCPRIM_400000_NS6detail17trampoline_kernelINS0_14default_configENS1_25partition_config_selectorILNS1_17partition_subalgoE1EyNS0_10empty_typeEbEEZZNS1_14partition_implILS5_1ELb0ES3_jN6thrust23THRUST_200600_302600_NS6detail15normal_iteratorINSA_10device_ptrIyEEEEPS6_NSA_18transform_iteratorI7is_evenIyESF_NSA_11use_defaultESK_EENS0_5tupleIJNSA_16discard_iteratorISK_EESF_EEENSM_IJSG_SG_EEES6_PlJS6_EEE10hipError_tPvRmT3_T4_T5_T6_T7_T9_mT8_P12ihipStream_tbDpT10_ENKUlT_T0_E_clISt17integral_constantIbLb0EES1A_IbLb1EEEEDaS16_S17_EUlS16_E_NS1_11comp_targetILNS1_3genE3ELNS1_11target_archE908ELNS1_3gpuE7ELNS1_3repE0EEENS1_30default_config_static_selectorELNS0_4arch9wavefront6targetE1EEEvT1_
; %bb.0:
	.section	.rodata,"a",@progbits
	.p2align	6, 0x0
	.amdhsa_kernel _ZN7rocprim17ROCPRIM_400000_NS6detail17trampoline_kernelINS0_14default_configENS1_25partition_config_selectorILNS1_17partition_subalgoE1EyNS0_10empty_typeEbEEZZNS1_14partition_implILS5_1ELb0ES3_jN6thrust23THRUST_200600_302600_NS6detail15normal_iteratorINSA_10device_ptrIyEEEEPS6_NSA_18transform_iteratorI7is_evenIyESF_NSA_11use_defaultESK_EENS0_5tupleIJNSA_16discard_iteratorISK_EESF_EEENSM_IJSG_SG_EEES6_PlJS6_EEE10hipError_tPvRmT3_T4_T5_T6_T7_T9_mT8_P12ihipStream_tbDpT10_ENKUlT_T0_E_clISt17integral_constantIbLb0EES1A_IbLb1EEEEDaS16_S17_EUlS16_E_NS1_11comp_targetILNS1_3genE3ELNS1_11target_archE908ELNS1_3gpuE7ELNS1_3repE0EEENS1_30default_config_static_selectorELNS0_4arch9wavefront6targetE1EEEvT1_
		.amdhsa_group_segment_fixed_size 0
		.amdhsa_private_segment_fixed_size 0
		.amdhsa_kernarg_size 152
		.amdhsa_user_sgpr_count 2
		.amdhsa_user_sgpr_dispatch_ptr 0
		.amdhsa_user_sgpr_queue_ptr 0
		.amdhsa_user_sgpr_kernarg_segment_ptr 1
		.amdhsa_user_sgpr_dispatch_id 0
		.amdhsa_user_sgpr_kernarg_preload_length 0
		.amdhsa_user_sgpr_kernarg_preload_offset 0
		.amdhsa_user_sgpr_private_segment_size 0
		.amdhsa_uses_dynamic_stack 0
		.amdhsa_enable_private_segment 0
		.amdhsa_system_sgpr_workgroup_id_x 1
		.amdhsa_system_sgpr_workgroup_id_y 0
		.amdhsa_system_sgpr_workgroup_id_z 0
		.amdhsa_system_sgpr_workgroup_info 0
		.amdhsa_system_vgpr_workitem_id 0
		.amdhsa_next_free_vgpr 1
		.amdhsa_next_free_sgpr 0
		.amdhsa_accum_offset 4
		.amdhsa_reserve_vcc 0
		.amdhsa_float_round_mode_32 0
		.amdhsa_float_round_mode_16_64 0
		.amdhsa_float_denorm_mode_32 3
		.amdhsa_float_denorm_mode_16_64 3
		.amdhsa_dx10_clamp 1
		.amdhsa_ieee_mode 1
		.amdhsa_fp16_overflow 0
		.amdhsa_tg_split 0
		.amdhsa_exception_fp_ieee_invalid_op 0
		.amdhsa_exception_fp_denorm_src 0
		.amdhsa_exception_fp_ieee_div_zero 0
		.amdhsa_exception_fp_ieee_overflow 0
		.amdhsa_exception_fp_ieee_underflow 0
		.amdhsa_exception_fp_ieee_inexact 0
		.amdhsa_exception_int_div_zero 0
	.end_amdhsa_kernel
	.section	.text._ZN7rocprim17ROCPRIM_400000_NS6detail17trampoline_kernelINS0_14default_configENS1_25partition_config_selectorILNS1_17partition_subalgoE1EyNS0_10empty_typeEbEEZZNS1_14partition_implILS5_1ELb0ES3_jN6thrust23THRUST_200600_302600_NS6detail15normal_iteratorINSA_10device_ptrIyEEEEPS6_NSA_18transform_iteratorI7is_evenIyESF_NSA_11use_defaultESK_EENS0_5tupleIJNSA_16discard_iteratorISK_EESF_EEENSM_IJSG_SG_EEES6_PlJS6_EEE10hipError_tPvRmT3_T4_T5_T6_T7_T9_mT8_P12ihipStream_tbDpT10_ENKUlT_T0_E_clISt17integral_constantIbLb0EES1A_IbLb1EEEEDaS16_S17_EUlS16_E_NS1_11comp_targetILNS1_3genE3ELNS1_11target_archE908ELNS1_3gpuE7ELNS1_3repE0EEENS1_30default_config_static_selectorELNS0_4arch9wavefront6targetE1EEEvT1_,"axG",@progbits,_ZN7rocprim17ROCPRIM_400000_NS6detail17trampoline_kernelINS0_14default_configENS1_25partition_config_selectorILNS1_17partition_subalgoE1EyNS0_10empty_typeEbEEZZNS1_14partition_implILS5_1ELb0ES3_jN6thrust23THRUST_200600_302600_NS6detail15normal_iteratorINSA_10device_ptrIyEEEEPS6_NSA_18transform_iteratorI7is_evenIyESF_NSA_11use_defaultESK_EENS0_5tupleIJNSA_16discard_iteratorISK_EESF_EEENSM_IJSG_SG_EEES6_PlJS6_EEE10hipError_tPvRmT3_T4_T5_T6_T7_T9_mT8_P12ihipStream_tbDpT10_ENKUlT_T0_E_clISt17integral_constantIbLb0EES1A_IbLb1EEEEDaS16_S17_EUlS16_E_NS1_11comp_targetILNS1_3genE3ELNS1_11target_archE908ELNS1_3gpuE7ELNS1_3repE0EEENS1_30default_config_static_selectorELNS0_4arch9wavefront6targetE1EEEvT1_,comdat
.Lfunc_end2966:
	.size	_ZN7rocprim17ROCPRIM_400000_NS6detail17trampoline_kernelINS0_14default_configENS1_25partition_config_selectorILNS1_17partition_subalgoE1EyNS0_10empty_typeEbEEZZNS1_14partition_implILS5_1ELb0ES3_jN6thrust23THRUST_200600_302600_NS6detail15normal_iteratorINSA_10device_ptrIyEEEEPS6_NSA_18transform_iteratorI7is_evenIyESF_NSA_11use_defaultESK_EENS0_5tupleIJNSA_16discard_iteratorISK_EESF_EEENSM_IJSG_SG_EEES6_PlJS6_EEE10hipError_tPvRmT3_T4_T5_T6_T7_T9_mT8_P12ihipStream_tbDpT10_ENKUlT_T0_E_clISt17integral_constantIbLb0EES1A_IbLb1EEEEDaS16_S17_EUlS16_E_NS1_11comp_targetILNS1_3genE3ELNS1_11target_archE908ELNS1_3gpuE7ELNS1_3repE0EEENS1_30default_config_static_selectorELNS0_4arch9wavefront6targetE1EEEvT1_, .Lfunc_end2966-_ZN7rocprim17ROCPRIM_400000_NS6detail17trampoline_kernelINS0_14default_configENS1_25partition_config_selectorILNS1_17partition_subalgoE1EyNS0_10empty_typeEbEEZZNS1_14partition_implILS5_1ELb0ES3_jN6thrust23THRUST_200600_302600_NS6detail15normal_iteratorINSA_10device_ptrIyEEEEPS6_NSA_18transform_iteratorI7is_evenIyESF_NSA_11use_defaultESK_EENS0_5tupleIJNSA_16discard_iteratorISK_EESF_EEENSM_IJSG_SG_EEES6_PlJS6_EEE10hipError_tPvRmT3_T4_T5_T6_T7_T9_mT8_P12ihipStream_tbDpT10_ENKUlT_T0_E_clISt17integral_constantIbLb0EES1A_IbLb1EEEEDaS16_S17_EUlS16_E_NS1_11comp_targetILNS1_3genE3ELNS1_11target_archE908ELNS1_3gpuE7ELNS1_3repE0EEENS1_30default_config_static_selectorELNS0_4arch9wavefront6targetE1EEEvT1_
                                        ; -- End function
	.section	.AMDGPU.csdata,"",@progbits
; Kernel info:
; codeLenInByte = 0
; NumSgprs: 6
; NumVgprs: 0
; NumAgprs: 0
; TotalNumVgprs: 0
; ScratchSize: 0
; MemoryBound: 0
; FloatMode: 240
; IeeeMode: 1
; LDSByteSize: 0 bytes/workgroup (compile time only)
; SGPRBlocks: 0
; VGPRBlocks: 0
; NumSGPRsForWavesPerEU: 6
; NumVGPRsForWavesPerEU: 1
; AccumOffset: 4
; Occupancy: 8
; WaveLimiterHint : 0
; COMPUTE_PGM_RSRC2:SCRATCH_EN: 0
; COMPUTE_PGM_RSRC2:USER_SGPR: 2
; COMPUTE_PGM_RSRC2:TRAP_HANDLER: 0
; COMPUTE_PGM_RSRC2:TGID_X_EN: 1
; COMPUTE_PGM_RSRC2:TGID_Y_EN: 0
; COMPUTE_PGM_RSRC2:TGID_Z_EN: 0
; COMPUTE_PGM_RSRC2:TIDIG_COMP_CNT: 0
; COMPUTE_PGM_RSRC3_GFX90A:ACCUM_OFFSET: 0
; COMPUTE_PGM_RSRC3_GFX90A:TG_SPLIT: 0
	.section	.text._ZN7rocprim17ROCPRIM_400000_NS6detail17trampoline_kernelINS0_14default_configENS1_25partition_config_selectorILNS1_17partition_subalgoE1EyNS0_10empty_typeEbEEZZNS1_14partition_implILS5_1ELb0ES3_jN6thrust23THRUST_200600_302600_NS6detail15normal_iteratorINSA_10device_ptrIyEEEEPS6_NSA_18transform_iteratorI7is_evenIyESF_NSA_11use_defaultESK_EENS0_5tupleIJNSA_16discard_iteratorISK_EESF_EEENSM_IJSG_SG_EEES6_PlJS6_EEE10hipError_tPvRmT3_T4_T5_T6_T7_T9_mT8_P12ihipStream_tbDpT10_ENKUlT_T0_E_clISt17integral_constantIbLb0EES1A_IbLb1EEEEDaS16_S17_EUlS16_E_NS1_11comp_targetILNS1_3genE2ELNS1_11target_archE906ELNS1_3gpuE6ELNS1_3repE0EEENS1_30default_config_static_selectorELNS0_4arch9wavefront6targetE1EEEvT1_,"axG",@progbits,_ZN7rocprim17ROCPRIM_400000_NS6detail17trampoline_kernelINS0_14default_configENS1_25partition_config_selectorILNS1_17partition_subalgoE1EyNS0_10empty_typeEbEEZZNS1_14partition_implILS5_1ELb0ES3_jN6thrust23THRUST_200600_302600_NS6detail15normal_iteratorINSA_10device_ptrIyEEEEPS6_NSA_18transform_iteratorI7is_evenIyESF_NSA_11use_defaultESK_EENS0_5tupleIJNSA_16discard_iteratorISK_EESF_EEENSM_IJSG_SG_EEES6_PlJS6_EEE10hipError_tPvRmT3_T4_T5_T6_T7_T9_mT8_P12ihipStream_tbDpT10_ENKUlT_T0_E_clISt17integral_constantIbLb0EES1A_IbLb1EEEEDaS16_S17_EUlS16_E_NS1_11comp_targetILNS1_3genE2ELNS1_11target_archE906ELNS1_3gpuE6ELNS1_3repE0EEENS1_30default_config_static_selectorELNS0_4arch9wavefront6targetE1EEEvT1_,comdat
	.protected	_ZN7rocprim17ROCPRIM_400000_NS6detail17trampoline_kernelINS0_14default_configENS1_25partition_config_selectorILNS1_17partition_subalgoE1EyNS0_10empty_typeEbEEZZNS1_14partition_implILS5_1ELb0ES3_jN6thrust23THRUST_200600_302600_NS6detail15normal_iteratorINSA_10device_ptrIyEEEEPS6_NSA_18transform_iteratorI7is_evenIyESF_NSA_11use_defaultESK_EENS0_5tupleIJNSA_16discard_iteratorISK_EESF_EEENSM_IJSG_SG_EEES6_PlJS6_EEE10hipError_tPvRmT3_T4_T5_T6_T7_T9_mT8_P12ihipStream_tbDpT10_ENKUlT_T0_E_clISt17integral_constantIbLb0EES1A_IbLb1EEEEDaS16_S17_EUlS16_E_NS1_11comp_targetILNS1_3genE2ELNS1_11target_archE906ELNS1_3gpuE6ELNS1_3repE0EEENS1_30default_config_static_selectorELNS0_4arch9wavefront6targetE1EEEvT1_ ; -- Begin function _ZN7rocprim17ROCPRIM_400000_NS6detail17trampoline_kernelINS0_14default_configENS1_25partition_config_selectorILNS1_17partition_subalgoE1EyNS0_10empty_typeEbEEZZNS1_14partition_implILS5_1ELb0ES3_jN6thrust23THRUST_200600_302600_NS6detail15normal_iteratorINSA_10device_ptrIyEEEEPS6_NSA_18transform_iteratorI7is_evenIyESF_NSA_11use_defaultESK_EENS0_5tupleIJNSA_16discard_iteratorISK_EESF_EEENSM_IJSG_SG_EEES6_PlJS6_EEE10hipError_tPvRmT3_T4_T5_T6_T7_T9_mT8_P12ihipStream_tbDpT10_ENKUlT_T0_E_clISt17integral_constantIbLb0EES1A_IbLb1EEEEDaS16_S17_EUlS16_E_NS1_11comp_targetILNS1_3genE2ELNS1_11target_archE906ELNS1_3gpuE6ELNS1_3repE0EEENS1_30default_config_static_selectorELNS0_4arch9wavefront6targetE1EEEvT1_
	.globl	_ZN7rocprim17ROCPRIM_400000_NS6detail17trampoline_kernelINS0_14default_configENS1_25partition_config_selectorILNS1_17partition_subalgoE1EyNS0_10empty_typeEbEEZZNS1_14partition_implILS5_1ELb0ES3_jN6thrust23THRUST_200600_302600_NS6detail15normal_iteratorINSA_10device_ptrIyEEEEPS6_NSA_18transform_iteratorI7is_evenIyESF_NSA_11use_defaultESK_EENS0_5tupleIJNSA_16discard_iteratorISK_EESF_EEENSM_IJSG_SG_EEES6_PlJS6_EEE10hipError_tPvRmT3_T4_T5_T6_T7_T9_mT8_P12ihipStream_tbDpT10_ENKUlT_T0_E_clISt17integral_constantIbLb0EES1A_IbLb1EEEEDaS16_S17_EUlS16_E_NS1_11comp_targetILNS1_3genE2ELNS1_11target_archE906ELNS1_3gpuE6ELNS1_3repE0EEENS1_30default_config_static_selectorELNS0_4arch9wavefront6targetE1EEEvT1_
	.p2align	8
	.type	_ZN7rocprim17ROCPRIM_400000_NS6detail17trampoline_kernelINS0_14default_configENS1_25partition_config_selectorILNS1_17partition_subalgoE1EyNS0_10empty_typeEbEEZZNS1_14partition_implILS5_1ELb0ES3_jN6thrust23THRUST_200600_302600_NS6detail15normal_iteratorINSA_10device_ptrIyEEEEPS6_NSA_18transform_iteratorI7is_evenIyESF_NSA_11use_defaultESK_EENS0_5tupleIJNSA_16discard_iteratorISK_EESF_EEENSM_IJSG_SG_EEES6_PlJS6_EEE10hipError_tPvRmT3_T4_T5_T6_T7_T9_mT8_P12ihipStream_tbDpT10_ENKUlT_T0_E_clISt17integral_constantIbLb0EES1A_IbLb1EEEEDaS16_S17_EUlS16_E_NS1_11comp_targetILNS1_3genE2ELNS1_11target_archE906ELNS1_3gpuE6ELNS1_3repE0EEENS1_30default_config_static_selectorELNS0_4arch9wavefront6targetE1EEEvT1_,@function
_ZN7rocprim17ROCPRIM_400000_NS6detail17trampoline_kernelINS0_14default_configENS1_25partition_config_selectorILNS1_17partition_subalgoE1EyNS0_10empty_typeEbEEZZNS1_14partition_implILS5_1ELb0ES3_jN6thrust23THRUST_200600_302600_NS6detail15normal_iteratorINSA_10device_ptrIyEEEEPS6_NSA_18transform_iteratorI7is_evenIyESF_NSA_11use_defaultESK_EENS0_5tupleIJNSA_16discard_iteratorISK_EESF_EEENSM_IJSG_SG_EEES6_PlJS6_EEE10hipError_tPvRmT3_T4_T5_T6_T7_T9_mT8_P12ihipStream_tbDpT10_ENKUlT_T0_E_clISt17integral_constantIbLb0EES1A_IbLb1EEEEDaS16_S17_EUlS16_E_NS1_11comp_targetILNS1_3genE2ELNS1_11target_archE906ELNS1_3gpuE6ELNS1_3repE0EEENS1_30default_config_static_selectorELNS0_4arch9wavefront6targetE1EEEvT1_: ; @_ZN7rocprim17ROCPRIM_400000_NS6detail17trampoline_kernelINS0_14default_configENS1_25partition_config_selectorILNS1_17partition_subalgoE1EyNS0_10empty_typeEbEEZZNS1_14partition_implILS5_1ELb0ES3_jN6thrust23THRUST_200600_302600_NS6detail15normal_iteratorINSA_10device_ptrIyEEEEPS6_NSA_18transform_iteratorI7is_evenIyESF_NSA_11use_defaultESK_EENS0_5tupleIJNSA_16discard_iteratorISK_EESF_EEENSM_IJSG_SG_EEES6_PlJS6_EEE10hipError_tPvRmT3_T4_T5_T6_T7_T9_mT8_P12ihipStream_tbDpT10_ENKUlT_T0_E_clISt17integral_constantIbLb0EES1A_IbLb1EEEEDaS16_S17_EUlS16_E_NS1_11comp_targetILNS1_3genE2ELNS1_11target_archE906ELNS1_3gpuE6ELNS1_3repE0EEENS1_30default_config_static_selectorELNS0_4arch9wavefront6targetE1EEEvT1_
; %bb.0:
	.section	.rodata,"a",@progbits
	.p2align	6, 0x0
	.amdhsa_kernel _ZN7rocprim17ROCPRIM_400000_NS6detail17trampoline_kernelINS0_14default_configENS1_25partition_config_selectorILNS1_17partition_subalgoE1EyNS0_10empty_typeEbEEZZNS1_14partition_implILS5_1ELb0ES3_jN6thrust23THRUST_200600_302600_NS6detail15normal_iteratorINSA_10device_ptrIyEEEEPS6_NSA_18transform_iteratorI7is_evenIyESF_NSA_11use_defaultESK_EENS0_5tupleIJNSA_16discard_iteratorISK_EESF_EEENSM_IJSG_SG_EEES6_PlJS6_EEE10hipError_tPvRmT3_T4_T5_T6_T7_T9_mT8_P12ihipStream_tbDpT10_ENKUlT_T0_E_clISt17integral_constantIbLb0EES1A_IbLb1EEEEDaS16_S17_EUlS16_E_NS1_11comp_targetILNS1_3genE2ELNS1_11target_archE906ELNS1_3gpuE6ELNS1_3repE0EEENS1_30default_config_static_selectorELNS0_4arch9wavefront6targetE1EEEvT1_
		.amdhsa_group_segment_fixed_size 0
		.amdhsa_private_segment_fixed_size 0
		.amdhsa_kernarg_size 152
		.amdhsa_user_sgpr_count 2
		.amdhsa_user_sgpr_dispatch_ptr 0
		.amdhsa_user_sgpr_queue_ptr 0
		.amdhsa_user_sgpr_kernarg_segment_ptr 1
		.amdhsa_user_sgpr_dispatch_id 0
		.amdhsa_user_sgpr_kernarg_preload_length 0
		.amdhsa_user_sgpr_kernarg_preload_offset 0
		.amdhsa_user_sgpr_private_segment_size 0
		.amdhsa_uses_dynamic_stack 0
		.amdhsa_enable_private_segment 0
		.amdhsa_system_sgpr_workgroup_id_x 1
		.amdhsa_system_sgpr_workgroup_id_y 0
		.amdhsa_system_sgpr_workgroup_id_z 0
		.amdhsa_system_sgpr_workgroup_info 0
		.amdhsa_system_vgpr_workitem_id 0
		.amdhsa_next_free_vgpr 1
		.amdhsa_next_free_sgpr 0
		.amdhsa_accum_offset 4
		.amdhsa_reserve_vcc 0
		.amdhsa_float_round_mode_32 0
		.amdhsa_float_round_mode_16_64 0
		.amdhsa_float_denorm_mode_32 3
		.amdhsa_float_denorm_mode_16_64 3
		.amdhsa_dx10_clamp 1
		.amdhsa_ieee_mode 1
		.amdhsa_fp16_overflow 0
		.amdhsa_tg_split 0
		.amdhsa_exception_fp_ieee_invalid_op 0
		.amdhsa_exception_fp_denorm_src 0
		.amdhsa_exception_fp_ieee_div_zero 0
		.amdhsa_exception_fp_ieee_overflow 0
		.amdhsa_exception_fp_ieee_underflow 0
		.amdhsa_exception_fp_ieee_inexact 0
		.amdhsa_exception_int_div_zero 0
	.end_amdhsa_kernel
	.section	.text._ZN7rocprim17ROCPRIM_400000_NS6detail17trampoline_kernelINS0_14default_configENS1_25partition_config_selectorILNS1_17partition_subalgoE1EyNS0_10empty_typeEbEEZZNS1_14partition_implILS5_1ELb0ES3_jN6thrust23THRUST_200600_302600_NS6detail15normal_iteratorINSA_10device_ptrIyEEEEPS6_NSA_18transform_iteratorI7is_evenIyESF_NSA_11use_defaultESK_EENS0_5tupleIJNSA_16discard_iteratorISK_EESF_EEENSM_IJSG_SG_EEES6_PlJS6_EEE10hipError_tPvRmT3_T4_T5_T6_T7_T9_mT8_P12ihipStream_tbDpT10_ENKUlT_T0_E_clISt17integral_constantIbLb0EES1A_IbLb1EEEEDaS16_S17_EUlS16_E_NS1_11comp_targetILNS1_3genE2ELNS1_11target_archE906ELNS1_3gpuE6ELNS1_3repE0EEENS1_30default_config_static_selectorELNS0_4arch9wavefront6targetE1EEEvT1_,"axG",@progbits,_ZN7rocprim17ROCPRIM_400000_NS6detail17trampoline_kernelINS0_14default_configENS1_25partition_config_selectorILNS1_17partition_subalgoE1EyNS0_10empty_typeEbEEZZNS1_14partition_implILS5_1ELb0ES3_jN6thrust23THRUST_200600_302600_NS6detail15normal_iteratorINSA_10device_ptrIyEEEEPS6_NSA_18transform_iteratorI7is_evenIyESF_NSA_11use_defaultESK_EENS0_5tupleIJNSA_16discard_iteratorISK_EESF_EEENSM_IJSG_SG_EEES6_PlJS6_EEE10hipError_tPvRmT3_T4_T5_T6_T7_T9_mT8_P12ihipStream_tbDpT10_ENKUlT_T0_E_clISt17integral_constantIbLb0EES1A_IbLb1EEEEDaS16_S17_EUlS16_E_NS1_11comp_targetILNS1_3genE2ELNS1_11target_archE906ELNS1_3gpuE6ELNS1_3repE0EEENS1_30default_config_static_selectorELNS0_4arch9wavefront6targetE1EEEvT1_,comdat
.Lfunc_end2967:
	.size	_ZN7rocprim17ROCPRIM_400000_NS6detail17trampoline_kernelINS0_14default_configENS1_25partition_config_selectorILNS1_17partition_subalgoE1EyNS0_10empty_typeEbEEZZNS1_14partition_implILS5_1ELb0ES3_jN6thrust23THRUST_200600_302600_NS6detail15normal_iteratorINSA_10device_ptrIyEEEEPS6_NSA_18transform_iteratorI7is_evenIyESF_NSA_11use_defaultESK_EENS0_5tupleIJNSA_16discard_iteratorISK_EESF_EEENSM_IJSG_SG_EEES6_PlJS6_EEE10hipError_tPvRmT3_T4_T5_T6_T7_T9_mT8_P12ihipStream_tbDpT10_ENKUlT_T0_E_clISt17integral_constantIbLb0EES1A_IbLb1EEEEDaS16_S17_EUlS16_E_NS1_11comp_targetILNS1_3genE2ELNS1_11target_archE906ELNS1_3gpuE6ELNS1_3repE0EEENS1_30default_config_static_selectorELNS0_4arch9wavefront6targetE1EEEvT1_, .Lfunc_end2967-_ZN7rocprim17ROCPRIM_400000_NS6detail17trampoline_kernelINS0_14default_configENS1_25partition_config_selectorILNS1_17partition_subalgoE1EyNS0_10empty_typeEbEEZZNS1_14partition_implILS5_1ELb0ES3_jN6thrust23THRUST_200600_302600_NS6detail15normal_iteratorINSA_10device_ptrIyEEEEPS6_NSA_18transform_iteratorI7is_evenIyESF_NSA_11use_defaultESK_EENS0_5tupleIJNSA_16discard_iteratorISK_EESF_EEENSM_IJSG_SG_EEES6_PlJS6_EEE10hipError_tPvRmT3_T4_T5_T6_T7_T9_mT8_P12ihipStream_tbDpT10_ENKUlT_T0_E_clISt17integral_constantIbLb0EES1A_IbLb1EEEEDaS16_S17_EUlS16_E_NS1_11comp_targetILNS1_3genE2ELNS1_11target_archE906ELNS1_3gpuE6ELNS1_3repE0EEENS1_30default_config_static_selectorELNS0_4arch9wavefront6targetE1EEEvT1_
                                        ; -- End function
	.section	.AMDGPU.csdata,"",@progbits
; Kernel info:
; codeLenInByte = 0
; NumSgprs: 6
; NumVgprs: 0
; NumAgprs: 0
; TotalNumVgprs: 0
; ScratchSize: 0
; MemoryBound: 0
; FloatMode: 240
; IeeeMode: 1
; LDSByteSize: 0 bytes/workgroup (compile time only)
; SGPRBlocks: 0
; VGPRBlocks: 0
; NumSGPRsForWavesPerEU: 6
; NumVGPRsForWavesPerEU: 1
; AccumOffset: 4
; Occupancy: 8
; WaveLimiterHint : 0
; COMPUTE_PGM_RSRC2:SCRATCH_EN: 0
; COMPUTE_PGM_RSRC2:USER_SGPR: 2
; COMPUTE_PGM_RSRC2:TRAP_HANDLER: 0
; COMPUTE_PGM_RSRC2:TGID_X_EN: 1
; COMPUTE_PGM_RSRC2:TGID_Y_EN: 0
; COMPUTE_PGM_RSRC2:TGID_Z_EN: 0
; COMPUTE_PGM_RSRC2:TIDIG_COMP_CNT: 0
; COMPUTE_PGM_RSRC3_GFX90A:ACCUM_OFFSET: 0
; COMPUTE_PGM_RSRC3_GFX90A:TG_SPLIT: 0
	.section	.text._ZN7rocprim17ROCPRIM_400000_NS6detail17trampoline_kernelINS0_14default_configENS1_25partition_config_selectorILNS1_17partition_subalgoE1EyNS0_10empty_typeEbEEZZNS1_14partition_implILS5_1ELb0ES3_jN6thrust23THRUST_200600_302600_NS6detail15normal_iteratorINSA_10device_ptrIyEEEEPS6_NSA_18transform_iteratorI7is_evenIyESF_NSA_11use_defaultESK_EENS0_5tupleIJNSA_16discard_iteratorISK_EESF_EEENSM_IJSG_SG_EEES6_PlJS6_EEE10hipError_tPvRmT3_T4_T5_T6_T7_T9_mT8_P12ihipStream_tbDpT10_ENKUlT_T0_E_clISt17integral_constantIbLb0EES1A_IbLb1EEEEDaS16_S17_EUlS16_E_NS1_11comp_targetILNS1_3genE10ELNS1_11target_archE1200ELNS1_3gpuE4ELNS1_3repE0EEENS1_30default_config_static_selectorELNS0_4arch9wavefront6targetE1EEEvT1_,"axG",@progbits,_ZN7rocprim17ROCPRIM_400000_NS6detail17trampoline_kernelINS0_14default_configENS1_25partition_config_selectorILNS1_17partition_subalgoE1EyNS0_10empty_typeEbEEZZNS1_14partition_implILS5_1ELb0ES3_jN6thrust23THRUST_200600_302600_NS6detail15normal_iteratorINSA_10device_ptrIyEEEEPS6_NSA_18transform_iteratorI7is_evenIyESF_NSA_11use_defaultESK_EENS0_5tupleIJNSA_16discard_iteratorISK_EESF_EEENSM_IJSG_SG_EEES6_PlJS6_EEE10hipError_tPvRmT3_T4_T5_T6_T7_T9_mT8_P12ihipStream_tbDpT10_ENKUlT_T0_E_clISt17integral_constantIbLb0EES1A_IbLb1EEEEDaS16_S17_EUlS16_E_NS1_11comp_targetILNS1_3genE10ELNS1_11target_archE1200ELNS1_3gpuE4ELNS1_3repE0EEENS1_30default_config_static_selectorELNS0_4arch9wavefront6targetE1EEEvT1_,comdat
	.protected	_ZN7rocprim17ROCPRIM_400000_NS6detail17trampoline_kernelINS0_14default_configENS1_25partition_config_selectorILNS1_17partition_subalgoE1EyNS0_10empty_typeEbEEZZNS1_14partition_implILS5_1ELb0ES3_jN6thrust23THRUST_200600_302600_NS6detail15normal_iteratorINSA_10device_ptrIyEEEEPS6_NSA_18transform_iteratorI7is_evenIyESF_NSA_11use_defaultESK_EENS0_5tupleIJNSA_16discard_iteratorISK_EESF_EEENSM_IJSG_SG_EEES6_PlJS6_EEE10hipError_tPvRmT3_T4_T5_T6_T7_T9_mT8_P12ihipStream_tbDpT10_ENKUlT_T0_E_clISt17integral_constantIbLb0EES1A_IbLb1EEEEDaS16_S17_EUlS16_E_NS1_11comp_targetILNS1_3genE10ELNS1_11target_archE1200ELNS1_3gpuE4ELNS1_3repE0EEENS1_30default_config_static_selectorELNS0_4arch9wavefront6targetE1EEEvT1_ ; -- Begin function _ZN7rocprim17ROCPRIM_400000_NS6detail17trampoline_kernelINS0_14default_configENS1_25partition_config_selectorILNS1_17partition_subalgoE1EyNS0_10empty_typeEbEEZZNS1_14partition_implILS5_1ELb0ES3_jN6thrust23THRUST_200600_302600_NS6detail15normal_iteratorINSA_10device_ptrIyEEEEPS6_NSA_18transform_iteratorI7is_evenIyESF_NSA_11use_defaultESK_EENS0_5tupleIJNSA_16discard_iteratorISK_EESF_EEENSM_IJSG_SG_EEES6_PlJS6_EEE10hipError_tPvRmT3_T4_T5_T6_T7_T9_mT8_P12ihipStream_tbDpT10_ENKUlT_T0_E_clISt17integral_constantIbLb0EES1A_IbLb1EEEEDaS16_S17_EUlS16_E_NS1_11comp_targetILNS1_3genE10ELNS1_11target_archE1200ELNS1_3gpuE4ELNS1_3repE0EEENS1_30default_config_static_selectorELNS0_4arch9wavefront6targetE1EEEvT1_
	.globl	_ZN7rocprim17ROCPRIM_400000_NS6detail17trampoline_kernelINS0_14default_configENS1_25partition_config_selectorILNS1_17partition_subalgoE1EyNS0_10empty_typeEbEEZZNS1_14partition_implILS5_1ELb0ES3_jN6thrust23THRUST_200600_302600_NS6detail15normal_iteratorINSA_10device_ptrIyEEEEPS6_NSA_18transform_iteratorI7is_evenIyESF_NSA_11use_defaultESK_EENS0_5tupleIJNSA_16discard_iteratorISK_EESF_EEENSM_IJSG_SG_EEES6_PlJS6_EEE10hipError_tPvRmT3_T4_T5_T6_T7_T9_mT8_P12ihipStream_tbDpT10_ENKUlT_T0_E_clISt17integral_constantIbLb0EES1A_IbLb1EEEEDaS16_S17_EUlS16_E_NS1_11comp_targetILNS1_3genE10ELNS1_11target_archE1200ELNS1_3gpuE4ELNS1_3repE0EEENS1_30default_config_static_selectorELNS0_4arch9wavefront6targetE1EEEvT1_
	.p2align	8
	.type	_ZN7rocprim17ROCPRIM_400000_NS6detail17trampoline_kernelINS0_14default_configENS1_25partition_config_selectorILNS1_17partition_subalgoE1EyNS0_10empty_typeEbEEZZNS1_14partition_implILS5_1ELb0ES3_jN6thrust23THRUST_200600_302600_NS6detail15normal_iteratorINSA_10device_ptrIyEEEEPS6_NSA_18transform_iteratorI7is_evenIyESF_NSA_11use_defaultESK_EENS0_5tupleIJNSA_16discard_iteratorISK_EESF_EEENSM_IJSG_SG_EEES6_PlJS6_EEE10hipError_tPvRmT3_T4_T5_T6_T7_T9_mT8_P12ihipStream_tbDpT10_ENKUlT_T0_E_clISt17integral_constantIbLb0EES1A_IbLb1EEEEDaS16_S17_EUlS16_E_NS1_11comp_targetILNS1_3genE10ELNS1_11target_archE1200ELNS1_3gpuE4ELNS1_3repE0EEENS1_30default_config_static_selectorELNS0_4arch9wavefront6targetE1EEEvT1_,@function
_ZN7rocprim17ROCPRIM_400000_NS6detail17trampoline_kernelINS0_14default_configENS1_25partition_config_selectorILNS1_17partition_subalgoE1EyNS0_10empty_typeEbEEZZNS1_14partition_implILS5_1ELb0ES3_jN6thrust23THRUST_200600_302600_NS6detail15normal_iteratorINSA_10device_ptrIyEEEEPS6_NSA_18transform_iteratorI7is_evenIyESF_NSA_11use_defaultESK_EENS0_5tupleIJNSA_16discard_iteratorISK_EESF_EEENSM_IJSG_SG_EEES6_PlJS6_EEE10hipError_tPvRmT3_T4_T5_T6_T7_T9_mT8_P12ihipStream_tbDpT10_ENKUlT_T0_E_clISt17integral_constantIbLb0EES1A_IbLb1EEEEDaS16_S17_EUlS16_E_NS1_11comp_targetILNS1_3genE10ELNS1_11target_archE1200ELNS1_3gpuE4ELNS1_3repE0EEENS1_30default_config_static_selectorELNS0_4arch9wavefront6targetE1EEEvT1_: ; @_ZN7rocprim17ROCPRIM_400000_NS6detail17trampoline_kernelINS0_14default_configENS1_25partition_config_selectorILNS1_17partition_subalgoE1EyNS0_10empty_typeEbEEZZNS1_14partition_implILS5_1ELb0ES3_jN6thrust23THRUST_200600_302600_NS6detail15normal_iteratorINSA_10device_ptrIyEEEEPS6_NSA_18transform_iteratorI7is_evenIyESF_NSA_11use_defaultESK_EENS0_5tupleIJNSA_16discard_iteratorISK_EESF_EEENSM_IJSG_SG_EEES6_PlJS6_EEE10hipError_tPvRmT3_T4_T5_T6_T7_T9_mT8_P12ihipStream_tbDpT10_ENKUlT_T0_E_clISt17integral_constantIbLb0EES1A_IbLb1EEEEDaS16_S17_EUlS16_E_NS1_11comp_targetILNS1_3genE10ELNS1_11target_archE1200ELNS1_3gpuE4ELNS1_3repE0EEENS1_30default_config_static_selectorELNS0_4arch9wavefront6targetE1EEEvT1_
; %bb.0:
	.section	.rodata,"a",@progbits
	.p2align	6, 0x0
	.amdhsa_kernel _ZN7rocprim17ROCPRIM_400000_NS6detail17trampoline_kernelINS0_14default_configENS1_25partition_config_selectorILNS1_17partition_subalgoE1EyNS0_10empty_typeEbEEZZNS1_14partition_implILS5_1ELb0ES3_jN6thrust23THRUST_200600_302600_NS6detail15normal_iteratorINSA_10device_ptrIyEEEEPS6_NSA_18transform_iteratorI7is_evenIyESF_NSA_11use_defaultESK_EENS0_5tupleIJNSA_16discard_iteratorISK_EESF_EEENSM_IJSG_SG_EEES6_PlJS6_EEE10hipError_tPvRmT3_T4_T5_T6_T7_T9_mT8_P12ihipStream_tbDpT10_ENKUlT_T0_E_clISt17integral_constantIbLb0EES1A_IbLb1EEEEDaS16_S17_EUlS16_E_NS1_11comp_targetILNS1_3genE10ELNS1_11target_archE1200ELNS1_3gpuE4ELNS1_3repE0EEENS1_30default_config_static_selectorELNS0_4arch9wavefront6targetE1EEEvT1_
		.amdhsa_group_segment_fixed_size 0
		.amdhsa_private_segment_fixed_size 0
		.amdhsa_kernarg_size 152
		.amdhsa_user_sgpr_count 2
		.amdhsa_user_sgpr_dispatch_ptr 0
		.amdhsa_user_sgpr_queue_ptr 0
		.amdhsa_user_sgpr_kernarg_segment_ptr 1
		.amdhsa_user_sgpr_dispatch_id 0
		.amdhsa_user_sgpr_kernarg_preload_length 0
		.amdhsa_user_sgpr_kernarg_preload_offset 0
		.amdhsa_user_sgpr_private_segment_size 0
		.amdhsa_uses_dynamic_stack 0
		.amdhsa_enable_private_segment 0
		.amdhsa_system_sgpr_workgroup_id_x 1
		.amdhsa_system_sgpr_workgroup_id_y 0
		.amdhsa_system_sgpr_workgroup_id_z 0
		.amdhsa_system_sgpr_workgroup_info 0
		.amdhsa_system_vgpr_workitem_id 0
		.amdhsa_next_free_vgpr 1
		.amdhsa_next_free_sgpr 0
		.amdhsa_accum_offset 4
		.amdhsa_reserve_vcc 0
		.amdhsa_float_round_mode_32 0
		.amdhsa_float_round_mode_16_64 0
		.amdhsa_float_denorm_mode_32 3
		.amdhsa_float_denorm_mode_16_64 3
		.amdhsa_dx10_clamp 1
		.amdhsa_ieee_mode 1
		.amdhsa_fp16_overflow 0
		.amdhsa_tg_split 0
		.amdhsa_exception_fp_ieee_invalid_op 0
		.amdhsa_exception_fp_denorm_src 0
		.amdhsa_exception_fp_ieee_div_zero 0
		.amdhsa_exception_fp_ieee_overflow 0
		.amdhsa_exception_fp_ieee_underflow 0
		.amdhsa_exception_fp_ieee_inexact 0
		.amdhsa_exception_int_div_zero 0
	.end_amdhsa_kernel
	.section	.text._ZN7rocprim17ROCPRIM_400000_NS6detail17trampoline_kernelINS0_14default_configENS1_25partition_config_selectorILNS1_17partition_subalgoE1EyNS0_10empty_typeEbEEZZNS1_14partition_implILS5_1ELb0ES3_jN6thrust23THRUST_200600_302600_NS6detail15normal_iteratorINSA_10device_ptrIyEEEEPS6_NSA_18transform_iteratorI7is_evenIyESF_NSA_11use_defaultESK_EENS0_5tupleIJNSA_16discard_iteratorISK_EESF_EEENSM_IJSG_SG_EEES6_PlJS6_EEE10hipError_tPvRmT3_T4_T5_T6_T7_T9_mT8_P12ihipStream_tbDpT10_ENKUlT_T0_E_clISt17integral_constantIbLb0EES1A_IbLb1EEEEDaS16_S17_EUlS16_E_NS1_11comp_targetILNS1_3genE10ELNS1_11target_archE1200ELNS1_3gpuE4ELNS1_3repE0EEENS1_30default_config_static_selectorELNS0_4arch9wavefront6targetE1EEEvT1_,"axG",@progbits,_ZN7rocprim17ROCPRIM_400000_NS6detail17trampoline_kernelINS0_14default_configENS1_25partition_config_selectorILNS1_17partition_subalgoE1EyNS0_10empty_typeEbEEZZNS1_14partition_implILS5_1ELb0ES3_jN6thrust23THRUST_200600_302600_NS6detail15normal_iteratorINSA_10device_ptrIyEEEEPS6_NSA_18transform_iteratorI7is_evenIyESF_NSA_11use_defaultESK_EENS0_5tupleIJNSA_16discard_iteratorISK_EESF_EEENSM_IJSG_SG_EEES6_PlJS6_EEE10hipError_tPvRmT3_T4_T5_T6_T7_T9_mT8_P12ihipStream_tbDpT10_ENKUlT_T0_E_clISt17integral_constantIbLb0EES1A_IbLb1EEEEDaS16_S17_EUlS16_E_NS1_11comp_targetILNS1_3genE10ELNS1_11target_archE1200ELNS1_3gpuE4ELNS1_3repE0EEENS1_30default_config_static_selectorELNS0_4arch9wavefront6targetE1EEEvT1_,comdat
.Lfunc_end2968:
	.size	_ZN7rocprim17ROCPRIM_400000_NS6detail17trampoline_kernelINS0_14default_configENS1_25partition_config_selectorILNS1_17partition_subalgoE1EyNS0_10empty_typeEbEEZZNS1_14partition_implILS5_1ELb0ES3_jN6thrust23THRUST_200600_302600_NS6detail15normal_iteratorINSA_10device_ptrIyEEEEPS6_NSA_18transform_iteratorI7is_evenIyESF_NSA_11use_defaultESK_EENS0_5tupleIJNSA_16discard_iteratorISK_EESF_EEENSM_IJSG_SG_EEES6_PlJS6_EEE10hipError_tPvRmT3_T4_T5_T6_T7_T9_mT8_P12ihipStream_tbDpT10_ENKUlT_T0_E_clISt17integral_constantIbLb0EES1A_IbLb1EEEEDaS16_S17_EUlS16_E_NS1_11comp_targetILNS1_3genE10ELNS1_11target_archE1200ELNS1_3gpuE4ELNS1_3repE0EEENS1_30default_config_static_selectorELNS0_4arch9wavefront6targetE1EEEvT1_, .Lfunc_end2968-_ZN7rocprim17ROCPRIM_400000_NS6detail17trampoline_kernelINS0_14default_configENS1_25partition_config_selectorILNS1_17partition_subalgoE1EyNS0_10empty_typeEbEEZZNS1_14partition_implILS5_1ELb0ES3_jN6thrust23THRUST_200600_302600_NS6detail15normal_iteratorINSA_10device_ptrIyEEEEPS6_NSA_18transform_iteratorI7is_evenIyESF_NSA_11use_defaultESK_EENS0_5tupleIJNSA_16discard_iteratorISK_EESF_EEENSM_IJSG_SG_EEES6_PlJS6_EEE10hipError_tPvRmT3_T4_T5_T6_T7_T9_mT8_P12ihipStream_tbDpT10_ENKUlT_T0_E_clISt17integral_constantIbLb0EES1A_IbLb1EEEEDaS16_S17_EUlS16_E_NS1_11comp_targetILNS1_3genE10ELNS1_11target_archE1200ELNS1_3gpuE4ELNS1_3repE0EEENS1_30default_config_static_selectorELNS0_4arch9wavefront6targetE1EEEvT1_
                                        ; -- End function
	.section	.AMDGPU.csdata,"",@progbits
; Kernel info:
; codeLenInByte = 0
; NumSgprs: 6
; NumVgprs: 0
; NumAgprs: 0
; TotalNumVgprs: 0
; ScratchSize: 0
; MemoryBound: 0
; FloatMode: 240
; IeeeMode: 1
; LDSByteSize: 0 bytes/workgroup (compile time only)
; SGPRBlocks: 0
; VGPRBlocks: 0
; NumSGPRsForWavesPerEU: 6
; NumVGPRsForWavesPerEU: 1
; AccumOffset: 4
; Occupancy: 8
; WaveLimiterHint : 0
; COMPUTE_PGM_RSRC2:SCRATCH_EN: 0
; COMPUTE_PGM_RSRC2:USER_SGPR: 2
; COMPUTE_PGM_RSRC2:TRAP_HANDLER: 0
; COMPUTE_PGM_RSRC2:TGID_X_EN: 1
; COMPUTE_PGM_RSRC2:TGID_Y_EN: 0
; COMPUTE_PGM_RSRC2:TGID_Z_EN: 0
; COMPUTE_PGM_RSRC2:TIDIG_COMP_CNT: 0
; COMPUTE_PGM_RSRC3_GFX90A:ACCUM_OFFSET: 0
; COMPUTE_PGM_RSRC3_GFX90A:TG_SPLIT: 0
	.section	.text._ZN7rocprim17ROCPRIM_400000_NS6detail17trampoline_kernelINS0_14default_configENS1_25partition_config_selectorILNS1_17partition_subalgoE1EyNS0_10empty_typeEbEEZZNS1_14partition_implILS5_1ELb0ES3_jN6thrust23THRUST_200600_302600_NS6detail15normal_iteratorINSA_10device_ptrIyEEEEPS6_NSA_18transform_iteratorI7is_evenIyESF_NSA_11use_defaultESK_EENS0_5tupleIJNSA_16discard_iteratorISK_EESF_EEENSM_IJSG_SG_EEES6_PlJS6_EEE10hipError_tPvRmT3_T4_T5_T6_T7_T9_mT8_P12ihipStream_tbDpT10_ENKUlT_T0_E_clISt17integral_constantIbLb0EES1A_IbLb1EEEEDaS16_S17_EUlS16_E_NS1_11comp_targetILNS1_3genE9ELNS1_11target_archE1100ELNS1_3gpuE3ELNS1_3repE0EEENS1_30default_config_static_selectorELNS0_4arch9wavefront6targetE1EEEvT1_,"axG",@progbits,_ZN7rocprim17ROCPRIM_400000_NS6detail17trampoline_kernelINS0_14default_configENS1_25partition_config_selectorILNS1_17partition_subalgoE1EyNS0_10empty_typeEbEEZZNS1_14partition_implILS5_1ELb0ES3_jN6thrust23THRUST_200600_302600_NS6detail15normal_iteratorINSA_10device_ptrIyEEEEPS6_NSA_18transform_iteratorI7is_evenIyESF_NSA_11use_defaultESK_EENS0_5tupleIJNSA_16discard_iteratorISK_EESF_EEENSM_IJSG_SG_EEES6_PlJS6_EEE10hipError_tPvRmT3_T4_T5_T6_T7_T9_mT8_P12ihipStream_tbDpT10_ENKUlT_T0_E_clISt17integral_constantIbLb0EES1A_IbLb1EEEEDaS16_S17_EUlS16_E_NS1_11comp_targetILNS1_3genE9ELNS1_11target_archE1100ELNS1_3gpuE3ELNS1_3repE0EEENS1_30default_config_static_selectorELNS0_4arch9wavefront6targetE1EEEvT1_,comdat
	.protected	_ZN7rocprim17ROCPRIM_400000_NS6detail17trampoline_kernelINS0_14default_configENS1_25partition_config_selectorILNS1_17partition_subalgoE1EyNS0_10empty_typeEbEEZZNS1_14partition_implILS5_1ELb0ES3_jN6thrust23THRUST_200600_302600_NS6detail15normal_iteratorINSA_10device_ptrIyEEEEPS6_NSA_18transform_iteratorI7is_evenIyESF_NSA_11use_defaultESK_EENS0_5tupleIJNSA_16discard_iteratorISK_EESF_EEENSM_IJSG_SG_EEES6_PlJS6_EEE10hipError_tPvRmT3_T4_T5_T6_T7_T9_mT8_P12ihipStream_tbDpT10_ENKUlT_T0_E_clISt17integral_constantIbLb0EES1A_IbLb1EEEEDaS16_S17_EUlS16_E_NS1_11comp_targetILNS1_3genE9ELNS1_11target_archE1100ELNS1_3gpuE3ELNS1_3repE0EEENS1_30default_config_static_selectorELNS0_4arch9wavefront6targetE1EEEvT1_ ; -- Begin function _ZN7rocprim17ROCPRIM_400000_NS6detail17trampoline_kernelINS0_14default_configENS1_25partition_config_selectorILNS1_17partition_subalgoE1EyNS0_10empty_typeEbEEZZNS1_14partition_implILS5_1ELb0ES3_jN6thrust23THRUST_200600_302600_NS6detail15normal_iteratorINSA_10device_ptrIyEEEEPS6_NSA_18transform_iteratorI7is_evenIyESF_NSA_11use_defaultESK_EENS0_5tupleIJNSA_16discard_iteratorISK_EESF_EEENSM_IJSG_SG_EEES6_PlJS6_EEE10hipError_tPvRmT3_T4_T5_T6_T7_T9_mT8_P12ihipStream_tbDpT10_ENKUlT_T0_E_clISt17integral_constantIbLb0EES1A_IbLb1EEEEDaS16_S17_EUlS16_E_NS1_11comp_targetILNS1_3genE9ELNS1_11target_archE1100ELNS1_3gpuE3ELNS1_3repE0EEENS1_30default_config_static_selectorELNS0_4arch9wavefront6targetE1EEEvT1_
	.globl	_ZN7rocprim17ROCPRIM_400000_NS6detail17trampoline_kernelINS0_14default_configENS1_25partition_config_selectorILNS1_17partition_subalgoE1EyNS0_10empty_typeEbEEZZNS1_14partition_implILS5_1ELb0ES3_jN6thrust23THRUST_200600_302600_NS6detail15normal_iteratorINSA_10device_ptrIyEEEEPS6_NSA_18transform_iteratorI7is_evenIyESF_NSA_11use_defaultESK_EENS0_5tupleIJNSA_16discard_iteratorISK_EESF_EEENSM_IJSG_SG_EEES6_PlJS6_EEE10hipError_tPvRmT3_T4_T5_T6_T7_T9_mT8_P12ihipStream_tbDpT10_ENKUlT_T0_E_clISt17integral_constantIbLb0EES1A_IbLb1EEEEDaS16_S17_EUlS16_E_NS1_11comp_targetILNS1_3genE9ELNS1_11target_archE1100ELNS1_3gpuE3ELNS1_3repE0EEENS1_30default_config_static_selectorELNS0_4arch9wavefront6targetE1EEEvT1_
	.p2align	8
	.type	_ZN7rocprim17ROCPRIM_400000_NS6detail17trampoline_kernelINS0_14default_configENS1_25partition_config_selectorILNS1_17partition_subalgoE1EyNS0_10empty_typeEbEEZZNS1_14partition_implILS5_1ELb0ES3_jN6thrust23THRUST_200600_302600_NS6detail15normal_iteratorINSA_10device_ptrIyEEEEPS6_NSA_18transform_iteratorI7is_evenIyESF_NSA_11use_defaultESK_EENS0_5tupleIJNSA_16discard_iteratorISK_EESF_EEENSM_IJSG_SG_EEES6_PlJS6_EEE10hipError_tPvRmT3_T4_T5_T6_T7_T9_mT8_P12ihipStream_tbDpT10_ENKUlT_T0_E_clISt17integral_constantIbLb0EES1A_IbLb1EEEEDaS16_S17_EUlS16_E_NS1_11comp_targetILNS1_3genE9ELNS1_11target_archE1100ELNS1_3gpuE3ELNS1_3repE0EEENS1_30default_config_static_selectorELNS0_4arch9wavefront6targetE1EEEvT1_,@function
_ZN7rocprim17ROCPRIM_400000_NS6detail17trampoline_kernelINS0_14default_configENS1_25partition_config_selectorILNS1_17partition_subalgoE1EyNS0_10empty_typeEbEEZZNS1_14partition_implILS5_1ELb0ES3_jN6thrust23THRUST_200600_302600_NS6detail15normal_iteratorINSA_10device_ptrIyEEEEPS6_NSA_18transform_iteratorI7is_evenIyESF_NSA_11use_defaultESK_EENS0_5tupleIJNSA_16discard_iteratorISK_EESF_EEENSM_IJSG_SG_EEES6_PlJS6_EEE10hipError_tPvRmT3_T4_T5_T6_T7_T9_mT8_P12ihipStream_tbDpT10_ENKUlT_T0_E_clISt17integral_constantIbLb0EES1A_IbLb1EEEEDaS16_S17_EUlS16_E_NS1_11comp_targetILNS1_3genE9ELNS1_11target_archE1100ELNS1_3gpuE3ELNS1_3repE0EEENS1_30default_config_static_selectorELNS0_4arch9wavefront6targetE1EEEvT1_: ; @_ZN7rocprim17ROCPRIM_400000_NS6detail17trampoline_kernelINS0_14default_configENS1_25partition_config_selectorILNS1_17partition_subalgoE1EyNS0_10empty_typeEbEEZZNS1_14partition_implILS5_1ELb0ES3_jN6thrust23THRUST_200600_302600_NS6detail15normal_iteratorINSA_10device_ptrIyEEEEPS6_NSA_18transform_iteratorI7is_evenIyESF_NSA_11use_defaultESK_EENS0_5tupleIJNSA_16discard_iteratorISK_EESF_EEENSM_IJSG_SG_EEES6_PlJS6_EEE10hipError_tPvRmT3_T4_T5_T6_T7_T9_mT8_P12ihipStream_tbDpT10_ENKUlT_T0_E_clISt17integral_constantIbLb0EES1A_IbLb1EEEEDaS16_S17_EUlS16_E_NS1_11comp_targetILNS1_3genE9ELNS1_11target_archE1100ELNS1_3gpuE3ELNS1_3repE0EEENS1_30default_config_static_selectorELNS0_4arch9wavefront6targetE1EEEvT1_
; %bb.0:
	.section	.rodata,"a",@progbits
	.p2align	6, 0x0
	.amdhsa_kernel _ZN7rocprim17ROCPRIM_400000_NS6detail17trampoline_kernelINS0_14default_configENS1_25partition_config_selectorILNS1_17partition_subalgoE1EyNS0_10empty_typeEbEEZZNS1_14partition_implILS5_1ELb0ES3_jN6thrust23THRUST_200600_302600_NS6detail15normal_iteratorINSA_10device_ptrIyEEEEPS6_NSA_18transform_iteratorI7is_evenIyESF_NSA_11use_defaultESK_EENS0_5tupleIJNSA_16discard_iteratorISK_EESF_EEENSM_IJSG_SG_EEES6_PlJS6_EEE10hipError_tPvRmT3_T4_T5_T6_T7_T9_mT8_P12ihipStream_tbDpT10_ENKUlT_T0_E_clISt17integral_constantIbLb0EES1A_IbLb1EEEEDaS16_S17_EUlS16_E_NS1_11comp_targetILNS1_3genE9ELNS1_11target_archE1100ELNS1_3gpuE3ELNS1_3repE0EEENS1_30default_config_static_selectorELNS0_4arch9wavefront6targetE1EEEvT1_
		.amdhsa_group_segment_fixed_size 0
		.amdhsa_private_segment_fixed_size 0
		.amdhsa_kernarg_size 152
		.amdhsa_user_sgpr_count 2
		.amdhsa_user_sgpr_dispatch_ptr 0
		.amdhsa_user_sgpr_queue_ptr 0
		.amdhsa_user_sgpr_kernarg_segment_ptr 1
		.amdhsa_user_sgpr_dispatch_id 0
		.amdhsa_user_sgpr_kernarg_preload_length 0
		.amdhsa_user_sgpr_kernarg_preload_offset 0
		.amdhsa_user_sgpr_private_segment_size 0
		.amdhsa_uses_dynamic_stack 0
		.amdhsa_enable_private_segment 0
		.amdhsa_system_sgpr_workgroup_id_x 1
		.amdhsa_system_sgpr_workgroup_id_y 0
		.amdhsa_system_sgpr_workgroup_id_z 0
		.amdhsa_system_sgpr_workgroup_info 0
		.amdhsa_system_vgpr_workitem_id 0
		.amdhsa_next_free_vgpr 1
		.amdhsa_next_free_sgpr 0
		.amdhsa_accum_offset 4
		.amdhsa_reserve_vcc 0
		.amdhsa_float_round_mode_32 0
		.amdhsa_float_round_mode_16_64 0
		.amdhsa_float_denorm_mode_32 3
		.amdhsa_float_denorm_mode_16_64 3
		.amdhsa_dx10_clamp 1
		.amdhsa_ieee_mode 1
		.amdhsa_fp16_overflow 0
		.amdhsa_tg_split 0
		.amdhsa_exception_fp_ieee_invalid_op 0
		.amdhsa_exception_fp_denorm_src 0
		.amdhsa_exception_fp_ieee_div_zero 0
		.amdhsa_exception_fp_ieee_overflow 0
		.amdhsa_exception_fp_ieee_underflow 0
		.amdhsa_exception_fp_ieee_inexact 0
		.amdhsa_exception_int_div_zero 0
	.end_amdhsa_kernel
	.section	.text._ZN7rocprim17ROCPRIM_400000_NS6detail17trampoline_kernelINS0_14default_configENS1_25partition_config_selectorILNS1_17partition_subalgoE1EyNS0_10empty_typeEbEEZZNS1_14partition_implILS5_1ELb0ES3_jN6thrust23THRUST_200600_302600_NS6detail15normal_iteratorINSA_10device_ptrIyEEEEPS6_NSA_18transform_iteratorI7is_evenIyESF_NSA_11use_defaultESK_EENS0_5tupleIJNSA_16discard_iteratorISK_EESF_EEENSM_IJSG_SG_EEES6_PlJS6_EEE10hipError_tPvRmT3_T4_T5_T6_T7_T9_mT8_P12ihipStream_tbDpT10_ENKUlT_T0_E_clISt17integral_constantIbLb0EES1A_IbLb1EEEEDaS16_S17_EUlS16_E_NS1_11comp_targetILNS1_3genE9ELNS1_11target_archE1100ELNS1_3gpuE3ELNS1_3repE0EEENS1_30default_config_static_selectorELNS0_4arch9wavefront6targetE1EEEvT1_,"axG",@progbits,_ZN7rocprim17ROCPRIM_400000_NS6detail17trampoline_kernelINS0_14default_configENS1_25partition_config_selectorILNS1_17partition_subalgoE1EyNS0_10empty_typeEbEEZZNS1_14partition_implILS5_1ELb0ES3_jN6thrust23THRUST_200600_302600_NS6detail15normal_iteratorINSA_10device_ptrIyEEEEPS6_NSA_18transform_iteratorI7is_evenIyESF_NSA_11use_defaultESK_EENS0_5tupleIJNSA_16discard_iteratorISK_EESF_EEENSM_IJSG_SG_EEES6_PlJS6_EEE10hipError_tPvRmT3_T4_T5_T6_T7_T9_mT8_P12ihipStream_tbDpT10_ENKUlT_T0_E_clISt17integral_constantIbLb0EES1A_IbLb1EEEEDaS16_S17_EUlS16_E_NS1_11comp_targetILNS1_3genE9ELNS1_11target_archE1100ELNS1_3gpuE3ELNS1_3repE0EEENS1_30default_config_static_selectorELNS0_4arch9wavefront6targetE1EEEvT1_,comdat
.Lfunc_end2969:
	.size	_ZN7rocprim17ROCPRIM_400000_NS6detail17trampoline_kernelINS0_14default_configENS1_25partition_config_selectorILNS1_17partition_subalgoE1EyNS0_10empty_typeEbEEZZNS1_14partition_implILS5_1ELb0ES3_jN6thrust23THRUST_200600_302600_NS6detail15normal_iteratorINSA_10device_ptrIyEEEEPS6_NSA_18transform_iteratorI7is_evenIyESF_NSA_11use_defaultESK_EENS0_5tupleIJNSA_16discard_iteratorISK_EESF_EEENSM_IJSG_SG_EEES6_PlJS6_EEE10hipError_tPvRmT3_T4_T5_T6_T7_T9_mT8_P12ihipStream_tbDpT10_ENKUlT_T0_E_clISt17integral_constantIbLb0EES1A_IbLb1EEEEDaS16_S17_EUlS16_E_NS1_11comp_targetILNS1_3genE9ELNS1_11target_archE1100ELNS1_3gpuE3ELNS1_3repE0EEENS1_30default_config_static_selectorELNS0_4arch9wavefront6targetE1EEEvT1_, .Lfunc_end2969-_ZN7rocprim17ROCPRIM_400000_NS6detail17trampoline_kernelINS0_14default_configENS1_25partition_config_selectorILNS1_17partition_subalgoE1EyNS0_10empty_typeEbEEZZNS1_14partition_implILS5_1ELb0ES3_jN6thrust23THRUST_200600_302600_NS6detail15normal_iteratorINSA_10device_ptrIyEEEEPS6_NSA_18transform_iteratorI7is_evenIyESF_NSA_11use_defaultESK_EENS0_5tupleIJNSA_16discard_iteratorISK_EESF_EEENSM_IJSG_SG_EEES6_PlJS6_EEE10hipError_tPvRmT3_T4_T5_T6_T7_T9_mT8_P12ihipStream_tbDpT10_ENKUlT_T0_E_clISt17integral_constantIbLb0EES1A_IbLb1EEEEDaS16_S17_EUlS16_E_NS1_11comp_targetILNS1_3genE9ELNS1_11target_archE1100ELNS1_3gpuE3ELNS1_3repE0EEENS1_30default_config_static_selectorELNS0_4arch9wavefront6targetE1EEEvT1_
                                        ; -- End function
	.section	.AMDGPU.csdata,"",@progbits
; Kernel info:
; codeLenInByte = 0
; NumSgprs: 6
; NumVgprs: 0
; NumAgprs: 0
; TotalNumVgprs: 0
; ScratchSize: 0
; MemoryBound: 0
; FloatMode: 240
; IeeeMode: 1
; LDSByteSize: 0 bytes/workgroup (compile time only)
; SGPRBlocks: 0
; VGPRBlocks: 0
; NumSGPRsForWavesPerEU: 6
; NumVGPRsForWavesPerEU: 1
; AccumOffset: 4
; Occupancy: 8
; WaveLimiterHint : 0
; COMPUTE_PGM_RSRC2:SCRATCH_EN: 0
; COMPUTE_PGM_RSRC2:USER_SGPR: 2
; COMPUTE_PGM_RSRC2:TRAP_HANDLER: 0
; COMPUTE_PGM_RSRC2:TGID_X_EN: 1
; COMPUTE_PGM_RSRC2:TGID_Y_EN: 0
; COMPUTE_PGM_RSRC2:TGID_Z_EN: 0
; COMPUTE_PGM_RSRC2:TIDIG_COMP_CNT: 0
; COMPUTE_PGM_RSRC3_GFX90A:ACCUM_OFFSET: 0
; COMPUTE_PGM_RSRC3_GFX90A:TG_SPLIT: 0
	.section	.text._ZN7rocprim17ROCPRIM_400000_NS6detail17trampoline_kernelINS0_14default_configENS1_25partition_config_selectorILNS1_17partition_subalgoE1EyNS0_10empty_typeEbEEZZNS1_14partition_implILS5_1ELb0ES3_jN6thrust23THRUST_200600_302600_NS6detail15normal_iteratorINSA_10device_ptrIyEEEEPS6_NSA_18transform_iteratorI7is_evenIyESF_NSA_11use_defaultESK_EENS0_5tupleIJNSA_16discard_iteratorISK_EESF_EEENSM_IJSG_SG_EEES6_PlJS6_EEE10hipError_tPvRmT3_T4_T5_T6_T7_T9_mT8_P12ihipStream_tbDpT10_ENKUlT_T0_E_clISt17integral_constantIbLb0EES1A_IbLb1EEEEDaS16_S17_EUlS16_E_NS1_11comp_targetILNS1_3genE8ELNS1_11target_archE1030ELNS1_3gpuE2ELNS1_3repE0EEENS1_30default_config_static_selectorELNS0_4arch9wavefront6targetE1EEEvT1_,"axG",@progbits,_ZN7rocprim17ROCPRIM_400000_NS6detail17trampoline_kernelINS0_14default_configENS1_25partition_config_selectorILNS1_17partition_subalgoE1EyNS0_10empty_typeEbEEZZNS1_14partition_implILS5_1ELb0ES3_jN6thrust23THRUST_200600_302600_NS6detail15normal_iteratorINSA_10device_ptrIyEEEEPS6_NSA_18transform_iteratorI7is_evenIyESF_NSA_11use_defaultESK_EENS0_5tupleIJNSA_16discard_iteratorISK_EESF_EEENSM_IJSG_SG_EEES6_PlJS6_EEE10hipError_tPvRmT3_T4_T5_T6_T7_T9_mT8_P12ihipStream_tbDpT10_ENKUlT_T0_E_clISt17integral_constantIbLb0EES1A_IbLb1EEEEDaS16_S17_EUlS16_E_NS1_11comp_targetILNS1_3genE8ELNS1_11target_archE1030ELNS1_3gpuE2ELNS1_3repE0EEENS1_30default_config_static_selectorELNS0_4arch9wavefront6targetE1EEEvT1_,comdat
	.protected	_ZN7rocprim17ROCPRIM_400000_NS6detail17trampoline_kernelINS0_14default_configENS1_25partition_config_selectorILNS1_17partition_subalgoE1EyNS0_10empty_typeEbEEZZNS1_14partition_implILS5_1ELb0ES3_jN6thrust23THRUST_200600_302600_NS6detail15normal_iteratorINSA_10device_ptrIyEEEEPS6_NSA_18transform_iteratorI7is_evenIyESF_NSA_11use_defaultESK_EENS0_5tupleIJNSA_16discard_iteratorISK_EESF_EEENSM_IJSG_SG_EEES6_PlJS6_EEE10hipError_tPvRmT3_T4_T5_T6_T7_T9_mT8_P12ihipStream_tbDpT10_ENKUlT_T0_E_clISt17integral_constantIbLb0EES1A_IbLb1EEEEDaS16_S17_EUlS16_E_NS1_11comp_targetILNS1_3genE8ELNS1_11target_archE1030ELNS1_3gpuE2ELNS1_3repE0EEENS1_30default_config_static_selectorELNS0_4arch9wavefront6targetE1EEEvT1_ ; -- Begin function _ZN7rocprim17ROCPRIM_400000_NS6detail17trampoline_kernelINS0_14default_configENS1_25partition_config_selectorILNS1_17partition_subalgoE1EyNS0_10empty_typeEbEEZZNS1_14partition_implILS5_1ELb0ES3_jN6thrust23THRUST_200600_302600_NS6detail15normal_iteratorINSA_10device_ptrIyEEEEPS6_NSA_18transform_iteratorI7is_evenIyESF_NSA_11use_defaultESK_EENS0_5tupleIJNSA_16discard_iteratorISK_EESF_EEENSM_IJSG_SG_EEES6_PlJS6_EEE10hipError_tPvRmT3_T4_T5_T6_T7_T9_mT8_P12ihipStream_tbDpT10_ENKUlT_T0_E_clISt17integral_constantIbLb0EES1A_IbLb1EEEEDaS16_S17_EUlS16_E_NS1_11comp_targetILNS1_3genE8ELNS1_11target_archE1030ELNS1_3gpuE2ELNS1_3repE0EEENS1_30default_config_static_selectorELNS0_4arch9wavefront6targetE1EEEvT1_
	.globl	_ZN7rocprim17ROCPRIM_400000_NS6detail17trampoline_kernelINS0_14default_configENS1_25partition_config_selectorILNS1_17partition_subalgoE1EyNS0_10empty_typeEbEEZZNS1_14partition_implILS5_1ELb0ES3_jN6thrust23THRUST_200600_302600_NS6detail15normal_iteratorINSA_10device_ptrIyEEEEPS6_NSA_18transform_iteratorI7is_evenIyESF_NSA_11use_defaultESK_EENS0_5tupleIJNSA_16discard_iteratorISK_EESF_EEENSM_IJSG_SG_EEES6_PlJS6_EEE10hipError_tPvRmT3_T4_T5_T6_T7_T9_mT8_P12ihipStream_tbDpT10_ENKUlT_T0_E_clISt17integral_constantIbLb0EES1A_IbLb1EEEEDaS16_S17_EUlS16_E_NS1_11comp_targetILNS1_3genE8ELNS1_11target_archE1030ELNS1_3gpuE2ELNS1_3repE0EEENS1_30default_config_static_selectorELNS0_4arch9wavefront6targetE1EEEvT1_
	.p2align	8
	.type	_ZN7rocprim17ROCPRIM_400000_NS6detail17trampoline_kernelINS0_14default_configENS1_25partition_config_selectorILNS1_17partition_subalgoE1EyNS0_10empty_typeEbEEZZNS1_14partition_implILS5_1ELb0ES3_jN6thrust23THRUST_200600_302600_NS6detail15normal_iteratorINSA_10device_ptrIyEEEEPS6_NSA_18transform_iteratorI7is_evenIyESF_NSA_11use_defaultESK_EENS0_5tupleIJNSA_16discard_iteratorISK_EESF_EEENSM_IJSG_SG_EEES6_PlJS6_EEE10hipError_tPvRmT3_T4_T5_T6_T7_T9_mT8_P12ihipStream_tbDpT10_ENKUlT_T0_E_clISt17integral_constantIbLb0EES1A_IbLb1EEEEDaS16_S17_EUlS16_E_NS1_11comp_targetILNS1_3genE8ELNS1_11target_archE1030ELNS1_3gpuE2ELNS1_3repE0EEENS1_30default_config_static_selectorELNS0_4arch9wavefront6targetE1EEEvT1_,@function
_ZN7rocprim17ROCPRIM_400000_NS6detail17trampoline_kernelINS0_14default_configENS1_25partition_config_selectorILNS1_17partition_subalgoE1EyNS0_10empty_typeEbEEZZNS1_14partition_implILS5_1ELb0ES3_jN6thrust23THRUST_200600_302600_NS6detail15normal_iteratorINSA_10device_ptrIyEEEEPS6_NSA_18transform_iteratorI7is_evenIyESF_NSA_11use_defaultESK_EENS0_5tupleIJNSA_16discard_iteratorISK_EESF_EEENSM_IJSG_SG_EEES6_PlJS6_EEE10hipError_tPvRmT3_T4_T5_T6_T7_T9_mT8_P12ihipStream_tbDpT10_ENKUlT_T0_E_clISt17integral_constantIbLb0EES1A_IbLb1EEEEDaS16_S17_EUlS16_E_NS1_11comp_targetILNS1_3genE8ELNS1_11target_archE1030ELNS1_3gpuE2ELNS1_3repE0EEENS1_30default_config_static_selectorELNS0_4arch9wavefront6targetE1EEEvT1_: ; @_ZN7rocprim17ROCPRIM_400000_NS6detail17trampoline_kernelINS0_14default_configENS1_25partition_config_selectorILNS1_17partition_subalgoE1EyNS0_10empty_typeEbEEZZNS1_14partition_implILS5_1ELb0ES3_jN6thrust23THRUST_200600_302600_NS6detail15normal_iteratorINSA_10device_ptrIyEEEEPS6_NSA_18transform_iteratorI7is_evenIyESF_NSA_11use_defaultESK_EENS0_5tupleIJNSA_16discard_iteratorISK_EESF_EEENSM_IJSG_SG_EEES6_PlJS6_EEE10hipError_tPvRmT3_T4_T5_T6_T7_T9_mT8_P12ihipStream_tbDpT10_ENKUlT_T0_E_clISt17integral_constantIbLb0EES1A_IbLb1EEEEDaS16_S17_EUlS16_E_NS1_11comp_targetILNS1_3genE8ELNS1_11target_archE1030ELNS1_3gpuE2ELNS1_3repE0EEENS1_30default_config_static_selectorELNS0_4arch9wavefront6targetE1EEEvT1_
; %bb.0:
	.section	.rodata,"a",@progbits
	.p2align	6, 0x0
	.amdhsa_kernel _ZN7rocprim17ROCPRIM_400000_NS6detail17trampoline_kernelINS0_14default_configENS1_25partition_config_selectorILNS1_17partition_subalgoE1EyNS0_10empty_typeEbEEZZNS1_14partition_implILS5_1ELb0ES3_jN6thrust23THRUST_200600_302600_NS6detail15normal_iteratorINSA_10device_ptrIyEEEEPS6_NSA_18transform_iteratorI7is_evenIyESF_NSA_11use_defaultESK_EENS0_5tupleIJNSA_16discard_iteratorISK_EESF_EEENSM_IJSG_SG_EEES6_PlJS6_EEE10hipError_tPvRmT3_T4_T5_T6_T7_T9_mT8_P12ihipStream_tbDpT10_ENKUlT_T0_E_clISt17integral_constantIbLb0EES1A_IbLb1EEEEDaS16_S17_EUlS16_E_NS1_11comp_targetILNS1_3genE8ELNS1_11target_archE1030ELNS1_3gpuE2ELNS1_3repE0EEENS1_30default_config_static_selectorELNS0_4arch9wavefront6targetE1EEEvT1_
		.amdhsa_group_segment_fixed_size 0
		.amdhsa_private_segment_fixed_size 0
		.amdhsa_kernarg_size 152
		.amdhsa_user_sgpr_count 2
		.amdhsa_user_sgpr_dispatch_ptr 0
		.amdhsa_user_sgpr_queue_ptr 0
		.amdhsa_user_sgpr_kernarg_segment_ptr 1
		.amdhsa_user_sgpr_dispatch_id 0
		.amdhsa_user_sgpr_kernarg_preload_length 0
		.amdhsa_user_sgpr_kernarg_preload_offset 0
		.amdhsa_user_sgpr_private_segment_size 0
		.amdhsa_uses_dynamic_stack 0
		.amdhsa_enable_private_segment 0
		.amdhsa_system_sgpr_workgroup_id_x 1
		.amdhsa_system_sgpr_workgroup_id_y 0
		.amdhsa_system_sgpr_workgroup_id_z 0
		.amdhsa_system_sgpr_workgroup_info 0
		.amdhsa_system_vgpr_workitem_id 0
		.amdhsa_next_free_vgpr 1
		.amdhsa_next_free_sgpr 0
		.amdhsa_accum_offset 4
		.amdhsa_reserve_vcc 0
		.amdhsa_float_round_mode_32 0
		.amdhsa_float_round_mode_16_64 0
		.amdhsa_float_denorm_mode_32 3
		.amdhsa_float_denorm_mode_16_64 3
		.amdhsa_dx10_clamp 1
		.amdhsa_ieee_mode 1
		.amdhsa_fp16_overflow 0
		.amdhsa_tg_split 0
		.amdhsa_exception_fp_ieee_invalid_op 0
		.amdhsa_exception_fp_denorm_src 0
		.amdhsa_exception_fp_ieee_div_zero 0
		.amdhsa_exception_fp_ieee_overflow 0
		.amdhsa_exception_fp_ieee_underflow 0
		.amdhsa_exception_fp_ieee_inexact 0
		.amdhsa_exception_int_div_zero 0
	.end_amdhsa_kernel
	.section	.text._ZN7rocprim17ROCPRIM_400000_NS6detail17trampoline_kernelINS0_14default_configENS1_25partition_config_selectorILNS1_17partition_subalgoE1EyNS0_10empty_typeEbEEZZNS1_14partition_implILS5_1ELb0ES3_jN6thrust23THRUST_200600_302600_NS6detail15normal_iteratorINSA_10device_ptrIyEEEEPS6_NSA_18transform_iteratorI7is_evenIyESF_NSA_11use_defaultESK_EENS0_5tupleIJNSA_16discard_iteratorISK_EESF_EEENSM_IJSG_SG_EEES6_PlJS6_EEE10hipError_tPvRmT3_T4_T5_T6_T7_T9_mT8_P12ihipStream_tbDpT10_ENKUlT_T0_E_clISt17integral_constantIbLb0EES1A_IbLb1EEEEDaS16_S17_EUlS16_E_NS1_11comp_targetILNS1_3genE8ELNS1_11target_archE1030ELNS1_3gpuE2ELNS1_3repE0EEENS1_30default_config_static_selectorELNS0_4arch9wavefront6targetE1EEEvT1_,"axG",@progbits,_ZN7rocprim17ROCPRIM_400000_NS6detail17trampoline_kernelINS0_14default_configENS1_25partition_config_selectorILNS1_17partition_subalgoE1EyNS0_10empty_typeEbEEZZNS1_14partition_implILS5_1ELb0ES3_jN6thrust23THRUST_200600_302600_NS6detail15normal_iteratorINSA_10device_ptrIyEEEEPS6_NSA_18transform_iteratorI7is_evenIyESF_NSA_11use_defaultESK_EENS0_5tupleIJNSA_16discard_iteratorISK_EESF_EEENSM_IJSG_SG_EEES6_PlJS6_EEE10hipError_tPvRmT3_T4_T5_T6_T7_T9_mT8_P12ihipStream_tbDpT10_ENKUlT_T0_E_clISt17integral_constantIbLb0EES1A_IbLb1EEEEDaS16_S17_EUlS16_E_NS1_11comp_targetILNS1_3genE8ELNS1_11target_archE1030ELNS1_3gpuE2ELNS1_3repE0EEENS1_30default_config_static_selectorELNS0_4arch9wavefront6targetE1EEEvT1_,comdat
.Lfunc_end2970:
	.size	_ZN7rocprim17ROCPRIM_400000_NS6detail17trampoline_kernelINS0_14default_configENS1_25partition_config_selectorILNS1_17partition_subalgoE1EyNS0_10empty_typeEbEEZZNS1_14partition_implILS5_1ELb0ES3_jN6thrust23THRUST_200600_302600_NS6detail15normal_iteratorINSA_10device_ptrIyEEEEPS6_NSA_18transform_iteratorI7is_evenIyESF_NSA_11use_defaultESK_EENS0_5tupleIJNSA_16discard_iteratorISK_EESF_EEENSM_IJSG_SG_EEES6_PlJS6_EEE10hipError_tPvRmT3_T4_T5_T6_T7_T9_mT8_P12ihipStream_tbDpT10_ENKUlT_T0_E_clISt17integral_constantIbLb0EES1A_IbLb1EEEEDaS16_S17_EUlS16_E_NS1_11comp_targetILNS1_3genE8ELNS1_11target_archE1030ELNS1_3gpuE2ELNS1_3repE0EEENS1_30default_config_static_selectorELNS0_4arch9wavefront6targetE1EEEvT1_, .Lfunc_end2970-_ZN7rocprim17ROCPRIM_400000_NS6detail17trampoline_kernelINS0_14default_configENS1_25partition_config_selectorILNS1_17partition_subalgoE1EyNS0_10empty_typeEbEEZZNS1_14partition_implILS5_1ELb0ES3_jN6thrust23THRUST_200600_302600_NS6detail15normal_iteratorINSA_10device_ptrIyEEEEPS6_NSA_18transform_iteratorI7is_evenIyESF_NSA_11use_defaultESK_EENS0_5tupleIJNSA_16discard_iteratorISK_EESF_EEENSM_IJSG_SG_EEES6_PlJS6_EEE10hipError_tPvRmT3_T4_T5_T6_T7_T9_mT8_P12ihipStream_tbDpT10_ENKUlT_T0_E_clISt17integral_constantIbLb0EES1A_IbLb1EEEEDaS16_S17_EUlS16_E_NS1_11comp_targetILNS1_3genE8ELNS1_11target_archE1030ELNS1_3gpuE2ELNS1_3repE0EEENS1_30default_config_static_selectorELNS0_4arch9wavefront6targetE1EEEvT1_
                                        ; -- End function
	.section	.AMDGPU.csdata,"",@progbits
; Kernel info:
; codeLenInByte = 0
; NumSgprs: 6
; NumVgprs: 0
; NumAgprs: 0
; TotalNumVgprs: 0
; ScratchSize: 0
; MemoryBound: 0
; FloatMode: 240
; IeeeMode: 1
; LDSByteSize: 0 bytes/workgroup (compile time only)
; SGPRBlocks: 0
; VGPRBlocks: 0
; NumSGPRsForWavesPerEU: 6
; NumVGPRsForWavesPerEU: 1
; AccumOffset: 4
; Occupancy: 8
; WaveLimiterHint : 0
; COMPUTE_PGM_RSRC2:SCRATCH_EN: 0
; COMPUTE_PGM_RSRC2:USER_SGPR: 2
; COMPUTE_PGM_RSRC2:TRAP_HANDLER: 0
; COMPUTE_PGM_RSRC2:TGID_X_EN: 1
; COMPUTE_PGM_RSRC2:TGID_Y_EN: 0
; COMPUTE_PGM_RSRC2:TGID_Z_EN: 0
; COMPUTE_PGM_RSRC2:TIDIG_COMP_CNT: 0
; COMPUTE_PGM_RSRC3_GFX90A:ACCUM_OFFSET: 0
; COMPUTE_PGM_RSRC3_GFX90A:TG_SPLIT: 0
	.section	.text._ZN7rocprim17ROCPRIM_400000_NS6detail17trampoline_kernelINS0_14default_configENS1_25partition_config_selectorILNS1_17partition_subalgoE1EjNS0_10empty_typeEbEEZZNS1_14partition_implILS5_1ELb0ES3_jN6thrust23THRUST_200600_302600_NS6detail15normal_iteratorINSA_10device_ptrIjEEEEPS6_NSA_18transform_iteratorI7is_evenIjESF_NSA_11use_defaultESK_EENS0_5tupleIJNSA_16discard_iteratorISK_EESO_EEENSM_IJSG_SG_EEES6_PlJS6_EEE10hipError_tPvRmT3_T4_T5_T6_T7_T9_mT8_P12ihipStream_tbDpT10_ENKUlT_T0_E_clISt17integral_constantIbLb0EES1B_EEDaS16_S17_EUlS16_E_NS1_11comp_targetILNS1_3genE0ELNS1_11target_archE4294967295ELNS1_3gpuE0ELNS1_3repE0EEENS1_30default_config_static_selectorELNS0_4arch9wavefront6targetE1EEEvT1_,"axG",@progbits,_ZN7rocprim17ROCPRIM_400000_NS6detail17trampoline_kernelINS0_14default_configENS1_25partition_config_selectorILNS1_17partition_subalgoE1EjNS0_10empty_typeEbEEZZNS1_14partition_implILS5_1ELb0ES3_jN6thrust23THRUST_200600_302600_NS6detail15normal_iteratorINSA_10device_ptrIjEEEEPS6_NSA_18transform_iteratorI7is_evenIjESF_NSA_11use_defaultESK_EENS0_5tupleIJNSA_16discard_iteratorISK_EESO_EEENSM_IJSG_SG_EEES6_PlJS6_EEE10hipError_tPvRmT3_T4_T5_T6_T7_T9_mT8_P12ihipStream_tbDpT10_ENKUlT_T0_E_clISt17integral_constantIbLb0EES1B_EEDaS16_S17_EUlS16_E_NS1_11comp_targetILNS1_3genE0ELNS1_11target_archE4294967295ELNS1_3gpuE0ELNS1_3repE0EEENS1_30default_config_static_selectorELNS0_4arch9wavefront6targetE1EEEvT1_,comdat
	.protected	_ZN7rocprim17ROCPRIM_400000_NS6detail17trampoline_kernelINS0_14default_configENS1_25partition_config_selectorILNS1_17partition_subalgoE1EjNS0_10empty_typeEbEEZZNS1_14partition_implILS5_1ELb0ES3_jN6thrust23THRUST_200600_302600_NS6detail15normal_iteratorINSA_10device_ptrIjEEEEPS6_NSA_18transform_iteratorI7is_evenIjESF_NSA_11use_defaultESK_EENS0_5tupleIJNSA_16discard_iteratorISK_EESO_EEENSM_IJSG_SG_EEES6_PlJS6_EEE10hipError_tPvRmT3_T4_T5_T6_T7_T9_mT8_P12ihipStream_tbDpT10_ENKUlT_T0_E_clISt17integral_constantIbLb0EES1B_EEDaS16_S17_EUlS16_E_NS1_11comp_targetILNS1_3genE0ELNS1_11target_archE4294967295ELNS1_3gpuE0ELNS1_3repE0EEENS1_30default_config_static_selectorELNS0_4arch9wavefront6targetE1EEEvT1_ ; -- Begin function _ZN7rocprim17ROCPRIM_400000_NS6detail17trampoline_kernelINS0_14default_configENS1_25partition_config_selectorILNS1_17partition_subalgoE1EjNS0_10empty_typeEbEEZZNS1_14partition_implILS5_1ELb0ES3_jN6thrust23THRUST_200600_302600_NS6detail15normal_iteratorINSA_10device_ptrIjEEEEPS6_NSA_18transform_iteratorI7is_evenIjESF_NSA_11use_defaultESK_EENS0_5tupleIJNSA_16discard_iteratorISK_EESO_EEENSM_IJSG_SG_EEES6_PlJS6_EEE10hipError_tPvRmT3_T4_T5_T6_T7_T9_mT8_P12ihipStream_tbDpT10_ENKUlT_T0_E_clISt17integral_constantIbLb0EES1B_EEDaS16_S17_EUlS16_E_NS1_11comp_targetILNS1_3genE0ELNS1_11target_archE4294967295ELNS1_3gpuE0ELNS1_3repE0EEENS1_30default_config_static_selectorELNS0_4arch9wavefront6targetE1EEEvT1_
	.globl	_ZN7rocprim17ROCPRIM_400000_NS6detail17trampoline_kernelINS0_14default_configENS1_25partition_config_selectorILNS1_17partition_subalgoE1EjNS0_10empty_typeEbEEZZNS1_14partition_implILS5_1ELb0ES3_jN6thrust23THRUST_200600_302600_NS6detail15normal_iteratorINSA_10device_ptrIjEEEEPS6_NSA_18transform_iteratorI7is_evenIjESF_NSA_11use_defaultESK_EENS0_5tupleIJNSA_16discard_iteratorISK_EESO_EEENSM_IJSG_SG_EEES6_PlJS6_EEE10hipError_tPvRmT3_T4_T5_T6_T7_T9_mT8_P12ihipStream_tbDpT10_ENKUlT_T0_E_clISt17integral_constantIbLb0EES1B_EEDaS16_S17_EUlS16_E_NS1_11comp_targetILNS1_3genE0ELNS1_11target_archE4294967295ELNS1_3gpuE0ELNS1_3repE0EEENS1_30default_config_static_selectorELNS0_4arch9wavefront6targetE1EEEvT1_
	.p2align	8
	.type	_ZN7rocprim17ROCPRIM_400000_NS6detail17trampoline_kernelINS0_14default_configENS1_25partition_config_selectorILNS1_17partition_subalgoE1EjNS0_10empty_typeEbEEZZNS1_14partition_implILS5_1ELb0ES3_jN6thrust23THRUST_200600_302600_NS6detail15normal_iteratorINSA_10device_ptrIjEEEEPS6_NSA_18transform_iteratorI7is_evenIjESF_NSA_11use_defaultESK_EENS0_5tupleIJNSA_16discard_iteratorISK_EESO_EEENSM_IJSG_SG_EEES6_PlJS6_EEE10hipError_tPvRmT3_T4_T5_T6_T7_T9_mT8_P12ihipStream_tbDpT10_ENKUlT_T0_E_clISt17integral_constantIbLb0EES1B_EEDaS16_S17_EUlS16_E_NS1_11comp_targetILNS1_3genE0ELNS1_11target_archE4294967295ELNS1_3gpuE0ELNS1_3repE0EEENS1_30default_config_static_selectorELNS0_4arch9wavefront6targetE1EEEvT1_,@function
_ZN7rocprim17ROCPRIM_400000_NS6detail17trampoline_kernelINS0_14default_configENS1_25partition_config_selectorILNS1_17partition_subalgoE1EjNS0_10empty_typeEbEEZZNS1_14partition_implILS5_1ELb0ES3_jN6thrust23THRUST_200600_302600_NS6detail15normal_iteratorINSA_10device_ptrIjEEEEPS6_NSA_18transform_iteratorI7is_evenIjESF_NSA_11use_defaultESK_EENS0_5tupleIJNSA_16discard_iteratorISK_EESO_EEENSM_IJSG_SG_EEES6_PlJS6_EEE10hipError_tPvRmT3_T4_T5_T6_T7_T9_mT8_P12ihipStream_tbDpT10_ENKUlT_T0_E_clISt17integral_constantIbLb0EES1B_EEDaS16_S17_EUlS16_E_NS1_11comp_targetILNS1_3genE0ELNS1_11target_archE4294967295ELNS1_3gpuE0ELNS1_3repE0EEENS1_30default_config_static_selectorELNS0_4arch9wavefront6targetE1EEEvT1_: ; @_ZN7rocprim17ROCPRIM_400000_NS6detail17trampoline_kernelINS0_14default_configENS1_25partition_config_selectorILNS1_17partition_subalgoE1EjNS0_10empty_typeEbEEZZNS1_14partition_implILS5_1ELb0ES3_jN6thrust23THRUST_200600_302600_NS6detail15normal_iteratorINSA_10device_ptrIjEEEEPS6_NSA_18transform_iteratorI7is_evenIjESF_NSA_11use_defaultESK_EENS0_5tupleIJNSA_16discard_iteratorISK_EESO_EEENSM_IJSG_SG_EEES6_PlJS6_EEE10hipError_tPvRmT3_T4_T5_T6_T7_T9_mT8_P12ihipStream_tbDpT10_ENKUlT_T0_E_clISt17integral_constantIbLb0EES1B_EEDaS16_S17_EUlS16_E_NS1_11comp_targetILNS1_3genE0ELNS1_11target_archE4294967295ELNS1_3gpuE0ELNS1_3repE0EEENS1_30default_config_static_selectorELNS0_4arch9wavefront6targetE1EEEvT1_
; %bb.0:
	.section	.rodata,"a",@progbits
	.p2align	6, 0x0
	.amdhsa_kernel _ZN7rocprim17ROCPRIM_400000_NS6detail17trampoline_kernelINS0_14default_configENS1_25partition_config_selectorILNS1_17partition_subalgoE1EjNS0_10empty_typeEbEEZZNS1_14partition_implILS5_1ELb0ES3_jN6thrust23THRUST_200600_302600_NS6detail15normal_iteratorINSA_10device_ptrIjEEEEPS6_NSA_18transform_iteratorI7is_evenIjESF_NSA_11use_defaultESK_EENS0_5tupleIJNSA_16discard_iteratorISK_EESO_EEENSM_IJSG_SG_EEES6_PlJS6_EEE10hipError_tPvRmT3_T4_T5_T6_T7_T9_mT8_P12ihipStream_tbDpT10_ENKUlT_T0_E_clISt17integral_constantIbLb0EES1B_EEDaS16_S17_EUlS16_E_NS1_11comp_targetILNS1_3genE0ELNS1_11target_archE4294967295ELNS1_3gpuE0ELNS1_3repE0EEENS1_30default_config_static_selectorELNS0_4arch9wavefront6targetE1EEEvT1_
		.amdhsa_group_segment_fixed_size 0
		.amdhsa_private_segment_fixed_size 0
		.amdhsa_kernarg_size 144
		.amdhsa_user_sgpr_count 2
		.amdhsa_user_sgpr_dispatch_ptr 0
		.amdhsa_user_sgpr_queue_ptr 0
		.amdhsa_user_sgpr_kernarg_segment_ptr 1
		.amdhsa_user_sgpr_dispatch_id 0
		.amdhsa_user_sgpr_kernarg_preload_length 0
		.amdhsa_user_sgpr_kernarg_preload_offset 0
		.amdhsa_user_sgpr_private_segment_size 0
		.amdhsa_uses_dynamic_stack 0
		.amdhsa_enable_private_segment 0
		.amdhsa_system_sgpr_workgroup_id_x 1
		.amdhsa_system_sgpr_workgroup_id_y 0
		.amdhsa_system_sgpr_workgroup_id_z 0
		.amdhsa_system_sgpr_workgroup_info 0
		.amdhsa_system_vgpr_workitem_id 0
		.amdhsa_next_free_vgpr 1
		.amdhsa_next_free_sgpr 0
		.amdhsa_accum_offset 4
		.amdhsa_reserve_vcc 0
		.amdhsa_float_round_mode_32 0
		.amdhsa_float_round_mode_16_64 0
		.amdhsa_float_denorm_mode_32 3
		.amdhsa_float_denorm_mode_16_64 3
		.amdhsa_dx10_clamp 1
		.amdhsa_ieee_mode 1
		.amdhsa_fp16_overflow 0
		.amdhsa_tg_split 0
		.amdhsa_exception_fp_ieee_invalid_op 0
		.amdhsa_exception_fp_denorm_src 0
		.amdhsa_exception_fp_ieee_div_zero 0
		.amdhsa_exception_fp_ieee_overflow 0
		.amdhsa_exception_fp_ieee_underflow 0
		.amdhsa_exception_fp_ieee_inexact 0
		.amdhsa_exception_int_div_zero 0
	.end_amdhsa_kernel
	.section	.text._ZN7rocprim17ROCPRIM_400000_NS6detail17trampoline_kernelINS0_14default_configENS1_25partition_config_selectorILNS1_17partition_subalgoE1EjNS0_10empty_typeEbEEZZNS1_14partition_implILS5_1ELb0ES3_jN6thrust23THRUST_200600_302600_NS6detail15normal_iteratorINSA_10device_ptrIjEEEEPS6_NSA_18transform_iteratorI7is_evenIjESF_NSA_11use_defaultESK_EENS0_5tupleIJNSA_16discard_iteratorISK_EESO_EEENSM_IJSG_SG_EEES6_PlJS6_EEE10hipError_tPvRmT3_T4_T5_T6_T7_T9_mT8_P12ihipStream_tbDpT10_ENKUlT_T0_E_clISt17integral_constantIbLb0EES1B_EEDaS16_S17_EUlS16_E_NS1_11comp_targetILNS1_3genE0ELNS1_11target_archE4294967295ELNS1_3gpuE0ELNS1_3repE0EEENS1_30default_config_static_selectorELNS0_4arch9wavefront6targetE1EEEvT1_,"axG",@progbits,_ZN7rocprim17ROCPRIM_400000_NS6detail17trampoline_kernelINS0_14default_configENS1_25partition_config_selectorILNS1_17partition_subalgoE1EjNS0_10empty_typeEbEEZZNS1_14partition_implILS5_1ELb0ES3_jN6thrust23THRUST_200600_302600_NS6detail15normal_iteratorINSA_10device_ptrIjEEEEPS6_NSA_18transform_iteratorI7is_evenIjESF_NSA_11use_defaultESK_EENS0_5tupleIJNSA_16discard_iteratorISK_EESO_EEENSM_IJSG_SG_EEES6_PlJS6_EEE10hipError_tPvRmT3_T4_T5_T6_T7_T9_mT8_P12ihipStream_tbDpT10_ENKUlT_T0_E_clISt17integral_constantIbLb0EES1B_EEDaS16_S17_EUlS16_E_NS1_11comp_targetILNS1_3genE0ELNS1_11target_archE4294967295ELNS1_3gpuE0ELNS1_3repE0EEENS1_30default_config_static_selectorELNS0_4arch9wavefront6targetE1EEEvT1_,comdat
.Lfunc_end2971:
	.size	_ZN7rocprim17ROCPRIM_400000_NS6detail17trampoline_kernelINS0_14default_configENS1_25partition_config_selectorILNS1_17partition_subalgoE1EjNS0_10empty_typeEbEEZZNS1_14partition_implILS5_1ELb0ES3_jN6thrust23THRUST_200600_302600_NS6detail15normal_iteratorINSA_10device_ptrIjEEEEPS6_NSA_18transform_iteratorI7is_evenIjESF_NSA_11use_defaultESK_EENS0_5tupleIJNSA_16discard_iteratorISK_EESO_EEENSM_IJSG_SG_EEES6_PlJS6_EEE10hipError_tPvRmT3_T4_T5_T6_T7_T9_mT8_P12ihipStream_tbDpT10_ENKUlT_T0_E_clISt17integral_constantIbLb0EES1B_EEDaS16_S17_EUlS16_E_NS1_11comp_targetILNS1_3genE0ELNS1_11target_archE4294967295ELNS1_3gpuE0ELNS1_3repE0EEENS1_30default_config_static_selectorELNS0_4arch9wavefront6targetE1EEEvT1_, .Lfunc_end2971-_ZN7rocprim17ROCPRIM_400000_NS6detail17trampoline_kernelINS0_14default_configENS1_25partition_config_selectorILNS1_17partition_subalgoE1EjNS0_10empty_typeEbEEZZNS1_14partition_implILS5_1ELb0ES3_jN6thrust23THRUST_200600_302600_NS6detail15normal_iteratorINSA_10device_ptrIjEEEEPS6_NSA_18transform_iteratorI7is_evenIjESF_NSA_11use_defaultESK_EENS0_5tupleIJNSA_16discard_iteratorISK_EESO_EEENSM_IJSG_SG_EEES6_PlJS6_EEE10hipError_tPvRmT3_T4_T5_T6_T7_T9_mT8_P12ihipStream_tbDpT10_ENKUlT_T0_E_clISt17integral_constantIbLb0EES1B_EEDaS16_S17_EUlS16_E_NS1_11comp_targetILNS1_3genE0ELNS1_11target_archE4294967295ELNS1_3gpuE0ELNS1_3repE0EEENS1_30default_config_static_selectorELNS0_4arch9wavefront6targetE1EEEvT1_
                                        ; -- End function
	.section	.AMDGPU.csdata,"",@progbits
; Kernel info:
; codeLenInByte = 0
; NumSgprs: 6
; NumVgprs: 0
; NumAgprs: 0
; TotalNumVgprs: 0
; ScratchSize: 0
; MemoryBound: 0
; FloatMode: 240
; IeeeMode: 1
; LDSByteSize: 0 bytes/workgroup (compile time only)
; SGPRBlocks: 0
; VGPRBlocks: 0
; NumSGPRsForWavesPerEU: 6
; NumVGPRsForWavesPerEU: 1
; AccumOffset: 4
; Occupancy: 8
; WaveLimiterHint : 0
; COMPUTE_PGM_RSRC2:SCRATCH_EN: 0
; COMPUTE_PGM_RSRC2:USER_SGPR: 2
; COMPUTE_PGM_RSRC2:TRAP_HANDLER: 0
; COMPUTE_PGM_RSRC2:TGID_X_EN: 1
; COMPUTE_PGM_RSRC2:TGID_Y_EN: 0
; COMPUTE_PGM_RSRC2:TGID_Z_EN: 0
; COMPUTE_PGM_RSRC2:TIDIG_COMP_CNT: 0
; COMPUTE_PGM_RSRC3_GFX90A:ACCUM_OFFSET: 0
; COMPUTE_PGM_RSRC3_GFX90A:TG_SPLIT: 0
	.section	.text._ZN7rocprim17ROCPRIM_400000_NS6detail17trampoline_kernelINS0_14default_configENS1_25partition_config_selectorILNS1_17partition_subalgoE1EjNS0_10empty_typeEbEEZZNS1_14partition_implILS5_1ELb0ES3_jN6thrust23THRUST_200600_302600_NS6detail15normal_iteratorINSA_10device_ptrIjEEEEPS6_NSA_18transform_iteratorI7is_evenIjESF_NSA_11use_defaultESK_EENS0_5tupleIJNSA_16discard_iteratorISK_EESO_EEENSM_IJSG_SG_EEES6_PlJS6_EEE10hipError_tPvRmT3_T4_T5_T6_T7_T9_mT8_P12ihipStream_tbDpT10_ENKUlT_T0_E_clISt17integral_constantIbLb0EES1B_EEDaS16_S17_EUlS16_E_NS1_11comp_targetILNS1_3genE5ELNS1_11target_archE942ELNS1_3gpuE9ELNS1_3repE0EEENS1_30default_config_static_selectorELNS0_4arch9wavefront6targetE1EEEvT1_,"axG",@progbits,_ZN7rocprim17ROCPRIM_400000_NS6detail17trampoline_kernelINS0_14default_configENS1_25partition_config_selectorILNS1_17partition_subalgoE1EjNS0_10empty_typeEbEEZZNS1_14partition_implILS5_1ELb0ES3_jN6thrust23THRUST_200600_302600_NS6detail15normal_iteratorINSA_10device_ptrIjEEEEPS6_NSA_18transform_iteratorI7is_evenIjESF_NSA_11use_defaultESK_EENS0_5tupleIJNSA_16discard_iteratorISK_EESO_EEENSM_IJSG_SG_EEES6_PlJS6_EEE10hipError_tPvRmT3_T4_T5_T6_T7_T9_mT8_P12ihipStream_tbDpT10_ENKUlT_T0_E_clISt17integral_constantIbLb0EES1B_EEDaS16_S17_EUlS16_E_NS1_11comp_targetILNS1_3genE5ELNS1_11target_archE942ELNS1_3gpuE9ELNS1_3repE0EEENS1_30default_config_static_selectorELNS0_4arch9wavefront6targetE1EEEvT1_,comdat
	.protected	_ZN7rocprim17ROCPRIM_400000_NS6detail17trampoline_kernelINS0_14default_configENS1_25partition_config_selectorILNS1_17partition_subalgoE1EjNS0_10empty_typeEbEEZZNS1_14partition_implILS5_1ELb0ES3_jN6thrust23THRUST_200600_302600_NS6detail15normal_iteratorINSA_10device_ptrIjEEEEPS6_NSA_18transform_iteratorI7is_evenIjESF_NSA_11use_defaultESK_EENS0_5tupleIJNSA_16discard_iteratorISK_EESO_EEENSM_IJSG_SG_EEES6_PlJS6_EEE10hipError_tPvRmT3_T4_T5_T6_T7_T9_mT8_P12ihipStream_tbDpT10_ENKUlT_T0_E_clISt17integral_constantIbLb0EES1B_EEDaS16_S17_EUlS16_E_NS1_11comp_targetILNS1_3genE5ELNS1_11target_archE942ELNS1_3gpuE9ELNS1_3repE0EEENS1_30default_config_static_selectorELNS0_4arch9wavefront6targetE1EEEvT1_ ; -- Begin function _ZN7rocprim17ROCPRIM_400000_NS6detail17trampoline_kernelINS0_14default_configENS1_25partition_config_selectorILNS1_17partition_subalgoE1EjNS0_10empty_typeEbEEZZNS1_14partition_implILS5_1ELb0ES3_jN6thrust23THRUST_200600_302600_NS6detail15normal_iteratorINSA_10device_ptrIjEEEEPS6_NSA_18transform_iteratorI7is_evenIjESF_NSA_11use_defaultESK_EENS0_5tupleIJNSA_16discard_iteratorISK_EESO_EEENSM_IJSG_SG_EEES6_PlJS6_EEE10hipError_tPvRmT3_T4_T5_T6_T7_T9_mT8_P12ihipStream_tbDpT10_ENKUlT_T0_E_clISt17integral_constantIbLb0EES1B_EEDaS16_S17_EUlS16_E_NS1_11comp_targetILNS1_3genE5ELNS1_11target_archE942ELNS1_3gpuE9ELNS1_3repE0EEENS1_30default_config_static_selectorELNS0_4arch9wavefront6targetE1EEEvT1_
	.globl	_ZN7rocprim17ROCPRIM_400000_NS6detail17trampoline_kernelINS0_14default_configENS1_25partition_config_selectorILNS1_17partition_subalgoE1EjNS0_10empty_typeEbEEZZNS1_14partition_implILS5_1ELb0ES3_jN6thrust23THRUST_200600_302600_NS6detail15normal_iteratorINSA_10device_ptrIjEEEEPS6_NSA_18transform_iteratorI7is_evenIjESF_NSA_11use_defaultESK_EENS0_5tupleIJNSA_16discard_iteratorISK_EESO_EEENSM_IJSG_SG_EEES6_PlJS6_EEE10hipError_tPvRmT3_T4_T5_T6_T7_T9_mT8_P12ihipStream_tbDpT10_ENKUlT_T0_E_clISt17integral_constantIbLb0EES1B_EEDaS16_S17_EUlS16_E_NS1_11comp_targetILNS1_3genE5ELNS1_11target_archE942ELNS1_3gpuE9ELNS1_3repE0EEENS1_30default_config_static_selectorELNS0_4arch9wavefront6targetE1EEEvT1_
	.p2align	8
	.type	_ZN7rocprim17ROCPRIM_400000_NS6detail17trampoline_kernelINS0_14default_configENS1_25partition_config_selectorILNS1_17partition_subalgoE1EjNS0_10empty_typeEbEEZZNS1_14partition_implILS5_1ELb0ES3_jN6thrust23THRUST_200600_302600_NS6detail15normal_iteratorINSA_10device_ptrIjEEEEPS6_NSA_18transform_iteratorI7is_evenIjESF_NSA_11use_defaultESK_EENS0_5tupleIJNSA_16discard_iteratorISK_EESO_EEENSM_IJSG_SG_EEES6_PlJS6_EEE10hipError_tPvRmT3_T4_T5_T6_T7_T9_mT8_P12ihipStream_tbDpT10_ENKUlT_T0_E_clISt17integral_constantIbLb0EES1B_EEDaS16_S17_EUlS16_E_NS1_11comp_targetILNS1_3genE5ELNS1_11target_archE942ELNS1_3gpuE9ELNS1_3repE0EEENS1_30default_config_static_selectorELNS0_4arch9wavefront6targetE1EEEvT1_,@function
_ZN7rocprim17ROCPRIM_400000_NS6detail17trampoline_kernelINS0_14default_configENS1_25partition_config_selectorILNS1_17partition_subalgoE1EjNS0_10empty_typeEbEEZZNS1_14partition_implILS5_1ELb0ES3_jN6thrust23THRUST_200600_302600_NS6detail15normal_iteratorINSA_10device_ptrIjEEEEPS6_NSA_18transform_iteratorI7is_evenIjESF_NSA_11use_defaultESK_EENS0_5tupleIJNSA_16discard_iteratorISK_EESO_EEENSM_IJSG_SG_EEES6_PlJS6_EEE10hipError_tPvRmT3_T4_T5_T6_T7_T9_mT8_P12ihipStream_tbDpT10_ENKUlT_T0_E_clISt17integral_constantIbLb0EES1B_EEDaS16_S17_EUlS16_E_NS1_11comp_targetILNS1_3genE5ELNS1_11target_archE942ELNS1_3gpuE9ELNS1_3repE0EEENS1_30default_config_static_selectorELNS0_4arch9wavefront6targetE1EEEvT1_: ; @_ZN7rocprim17ROCPRIM_400000_NS6detail17trampoline_kernelINS0_14default_configENS1_25partition_config_selectorILNS1_17partition_subalgoE1EjNS0_10empty_typeEbEEZZNS1_14partition_implILS5_1ELb0ES3_jN6thrust23THRUST_200600_302600_NS6detail15normal_iteratorINSA_10device_ptrIjEEEEPS6_NSA_18transform_iteratorI7is_evenIjESF_NSA_11use_defaultESK_EENS0_5tupleIJNSA_16discard_iteratorISK_EESO_EEENSM_IJSG_SG_EEES6_PlJS6_EEE10hipError_tPvRmT3_T4_T5_T6_T7_T9_mT8_P12ihipStream_tbDpT10_ENKUlT_T0_E_clISt17integral_constantIbLb0EES1B_EEDaS16_S17_EUlS16_E_NS1_11comp_targetILNS1_3genE5ELNS1_11target_archE942ELNS1_3gpuE9ELNS1_3repE0EEENS1_30default_config_static_selectorELNS0_4arch9wavefront6targetE1EEEvT1_
; %bb.0:
	s_load_dword s3, s[0:1], 0x88
	s_load_dwordx2 s[4:5], s[0:1], 0x70
	s_load_dwordx4 s[12:15], s[0:1], 0x8
	s_load_dwordx2 s[6:7], s[0:1], 0x20
	s_load_dwordx4 s[20:23], s[0:1], 0x60
	s_waitcnt lgkmcnt(0)
	v_mov_b32_e32 v3, s5
	s_lshl_b64 s[10:11], s[14:15], 2
	s_add_u32 s16, s12, s10
	s_mul_i32 s5, s3, 0x1e00
	s_addc_u32 s17, s13, s11
	s_add_i32 s8, s3, -1
	s_add_i32 s3, s5, s14
	s_sub_i32 s3, s4, s3
	s_addk_i32 s3, 0x1e00
	v_mov_b32_e32 v2, s4
	s_add_u32 s4, s14, s5
	s_addc_u32 s5, s15, 0
	s_cmp_eq_u32 s2, s8
	s_load_dwordx2 s[18:19], s[22:23], 0x0
	s_cselect_b64 s[22:23], -1, 0
	s_cmp_lg_u32 s2, s8
	s_mul_i32 s12, s2, 0x1e00
	s_mov_b32 s13, 0
	v_cmp_lt_u64_e32 vcc, s[4:5], v[2:3]
	s_cselect_b64 s[4:5], -1, 0
	s_or_b64 s[8:9], s[4:5], vcc
	s_lshl_b64 s[12:13], s[12:13], 2
	s_add_u32 s14, s16, s12
	s_addc_u32 s15, s17, s13
	s_mov_b64 s[4:5], -1
	s_and_b64 vcc, exec, s[8:9]
	s_cbranch_vccz .LBB2972_2
; %bb.1:
	v_lshlrev_b32_e32 v2, 2, v0
	v_mov_b32_e32 v3, 0
	v_lshl_add_u64 v[4:5], s[14:15], 0, v[2:3]
	v_add_co_u32_e32 v6, vcc, 0x1000, v4
	s_mov_b64 s[4:5], 0
	s_nop 0
	v_addc_co_u32_e32 v7, vcc, 0, v5, vcc
	v_add_co_u32_e32 v8, vcc, 0x2000, v4
	s_nop 1
	v_addc_co_u32_e32 v9, vcc, 0, v5, vcc
	v_add_co_u32_e32 v10, vcc, 0x3000, v4
	s_nop 1
	v_addc_co_u32_e32 v11, vcc, 0, v5, vcc
	flat_load_dword v1, v[4:5]
	flat_load_dword v3, v[4:5] offset:2048
	flat_load_dword v12, v[6:7]
	flat_load_dword v13, v[6:7] offset:2048
	;; [unrolled: 2-line block ×4, first 2 shown]
	v_add_co_u32_e32 v6, vcc, 0x4000, v4
	s_nop 1
	v_addc_co_u32_e32 v7, vcc, 0, v5, vcc
	v_add_co_u32_e32 v8, vcc, 0x5000, v4
	s_nop 1
	v_addc_co_u32_e32 v9, vcc, 0, v5, vcc
	v_add_co_u32_e32 v10, vcc, 0x6000, v4
	s_nop 1
	v_addc_co_u32_e32 v11, vcc, 0, v5, vcc
	v_add_co_u32_e32 v4, vcc, 0x7000, v4
	s_nop 1
	v_addc_co_u32_e32 v5, vcc, 0, v5, vcc
	flat_load_dword v18, v[6:7]
	flat_load_dword v19, v[6:7] offset:2048
	flat_load_dword v20, v[8:9]
	flat_load_dword v21, v[8:9] offset:2048
	;; [unrolled: 2-line block ×3, first 2 shown]
	flat_load_dword v24, v[4:5]
	s_waitcnt vmcnt(0) lgkmcnt(0)
	ds_write2st64_b32 v2, v1, v3 offset1:8
	ds_write2st64_b32 v2, v12, v13 offset0:16 offset1:24
	ds_write2st64_b32 v2, v14, v15 offset0:32 offset1:40
	;; [unrolled: 1-line block ×6, first 2 shown]
	ds_write_b32 v2, v24 offset:28672
	s_waitcnt lgkmcnt(0)
	s_barrier
.LBB2972_2:
	s_andn2_b64 vcc, exec, s[4:5]
	v_cmp_gt_u32_e64 s[4:5], s3, v0
	s_cbranch_vccnz .LBB2972_34
; %bb.3:
                                        ; implicit-def: $vgpr2_vgpr3_vgpr4_vgpr5_vgpr6_vgpr7_vgpr8_vgpr9_vgpr10_vgpr11_vgpr12_vgpr13_vgpr14_vgpr15_vgpr16_vgpr17
	s_and_saveexec_b64 s[16:17], s[4:5]
	s_cbranch_execz .LBB2972_5
; %bb.4:
	v_lshlrev_b32_e32 v2, 2, v0
	v_mov_b32_e32 v3, 0
	v_lshl_add_u64 v[2:3], s[14:15], 0, v[2:3]
	flat_load_dword v2, v[2:3]
.LBB2972_5:
	s_or_b64 exec, exec, s[16:17]
	v_or_b32_e32 v1, 0x200, v0
	v_cmp_gt_u32_e32 vcc, s3, v1
	s_and_saveexec_b64 s[4:5], vcc
	s_cbranch_execz .LBB2972_7
; %bb.6:
	v_lshlrev_b32_e32 v18, 2, v0
	v_mov_b32_e32 v19, 0
	v_lshl_add_u64 v[18:19], s[14:15], 0, v[18:19]
	flat_load_dword v3, v[18:19] offset:2048
.LBB2972_7:
	s_or_b64 exec, exec, s[4:5]
	v_or_b32_e32 v1, 0x400, v0
	v_cmp_gt_u32_e32 vcc, s3, v1
	s_and_saveexec_b64 s[4:5], vcc
	s_cbranch_execz .LBB2972_9
; %bb.8:
	v_lshlrev_b32_e32 v18, 2, v1
	v_mov_b32_e32 v19, 0
	v_lshl_add_u64 v[18:19], s[14:15], 0, v[18:19]
	flat_load_dword v4, v[18:19]
.LBB2972_9:
	s_or_b64 exec, exec, s[4:5]
	v_or_b32_e32 v1, 0x600, v0
	v_cmp_gt_u32_e32 vcc, s3, v1
	s_and_saveexec_b64 s[4:5], vcc
	s_cbranch_execz .LBB2972_11
; %bb.10:
	v_lshlrev_b32_e32 v18, 2, v1
	v_mov_b32_e32 v19, 0
	v_lshl_add_u64 v[18:19], s[14:15], 0, v[18:19]
	flat_load_dword v5, v[18:19]
.LBB2972_11:
	;; [unrolled: 11-line block ×13, first 2 shown]
	s_or_b64 exec, exec, s[4:5]
	v_lshlrev_b32_e32 v1, 2, v0
	s_waitcnt vmcnt(0) lgkmcnt(0)
	ds_write2st64_b32 v1, v2, v3 offset1:8
	ds_write2st64_b32 v1, v4, v5 offset0:16 offset1:24
	ds_write2st64_b32 v1, v6, v7 offset0:32 offset1:40
	ds_write2st64_b32 v1, v8, v9 offset0:48 offset1:56
	ds_write2st64_b32 v1, v10, v11 offset0:64 offset1:72
	ds_write2st64_b32 v1, v12, v13 offset0:80 offset1:88
	ds_write2st64_b32 v1, v14, v15 offset0:96 offset1:104
	ds_write_b32 v1, v16 offset:28672
	s_waitcnt lgkmcnt(0)
	s_barrier
.LBB2972_34:
	v_mul_u32_u24_e32 v21, 15, v0
	v_lshlrev_b32_e32 v1, 2, v21
	s_waitcnt lgkmcnt(0)
	ds_read2_b32 v[34:35], v1 offset1:1
	ds_read2_b32 v[32:33], v1 offset0:2 offset1:3
	ds_read2_b32 v[30:31], v1 offset0:4 offset1:5
	;; [unrolled: 1-line block ×6, first 2 shown]
	ds_read_b32 v1, v1 offset:56
	s_add_u32 s4, s6, s10
	s_addc_u32 s5, s7, s11
	s_add_u32 s4, s4, s12
	s_addc_u32 s5, s5, s13
	s_mov_b64 s[6:7], -1
	s_and_b64 vcc, exec, s[8:9]
	s_waitcnt lgkmcnt(0)
	s_barrier
	s_cbranch_vccz .LBB2972_36
; %bb.35:
	v_lshlrev_b32_e32 v2, 2, v0
	v_mov_b32_e32 v3, 0
	v_lshl_add_u64 v[4:5], s[4:5], 0, v[2:3]
	global_load_dword v8, v2, s[4:5]
	global_load_dword v9, v2, s[4:5] offset:2048
	v_add_co_u32_e32 v2, vcc, 0x1000, v4
	s_mov_b64 s[6:7], 0
	s_nop 0
	v_addc_co_u32_e32 v3, vcc, 0, v5, vcc
	v_add_co_u32_e32 v6, vcc, 0x2000, v4
	s_nop 1
	v_addc_co_u32_e32 v7, vcc, 0, v5, vcc
	global_load_dword v10, v[2:3], off
	global_load_dword v11, v[2:3], off offset:2048
	global_load_dword v12, v[6:7], off
	global_load_dword v13, v[6:7], off offset:2048
	v_add_co_u32_e32 v2, vcc, 0x3000, v4
	s_nop 1
	v_addc_co_u32_e32 v3, vcc, 0, v5, vcc
	v_add_co_u32_e32 v6, vcc, 0x4000, v4
	s_nop 1
	v_addc_co_u32_e32 v7, vcc, 0, v5, vcc
	global_load_dword v14, v[2:3], off
	global_load_dword v15, v[2:3], off offset:2048
	global_load_dword v16, v[6:7], off
	global_load_dword v17, v[6:7], off offset:2048
	v_add_co_u32_e32 v2, vcc, 0x5000, v4
	s_nop 1
	v_addc_co_u32_e32 v3, vcc, 0, v5, vcc
	global_load_dword v6, v[2:3], off
	global_load_dword v7, v[2:3], off offset:2048
	v_add_co_u32_e32 v2, vcc, 0x6000, v4
	s_waitcnt vmcnt(1)
	v_xor_b32_e32 v6, -1, v6
	v_addc_co_u32_e32 v3, vcc, 0, v5, vcc
	global_load_dword v18, v[2:3], off
	global_load_dword v19, v[2:3], off offset:2048
	v_add_co_u32_e32 v2, vcc, 0x7000, v4
	v_xor_b32_e32 v4, -1, v9
	s_nop 0
	v_addc_co_u32_e32 v3, vcc, 0, v5, vcc
	global_load_dword v2, v[2:3], off
	v_xor_b32_e32 v3, -1, v8
	v_and_b32_e32 v3, 1, v3
	v_and_b32_e32 v4, 1, v4
	ds_write_b8 v0, v3
	ds_write_b8 v0, v4 offset:512
	v_xor_b32_e32 v3, -1, v10
	v_xor_b32_e32 v4, -1, v11
	v_and_b32_e32 v3, 1, v3
	v_and_b32_e32 v4, 1, v4
	v_xor_b32_e32 v5, -1, v12
	v_xor_b32_e32 v8, -1, v13
	;; [unrolled: 1-line block ×4, first 2 shown]
	v_and_b32_e32 v5, 1, v5
	v_and_b32_e32 v8, 1, v8
	ds_write_b8 v0, v3 offset:1024
	ds_write_b8 v0, v4 offset:1536
	v_and_b32_e32 v3, 1, v9
	v_and_b32_e32 v4, 1, v10
	v_xor_b32_e32 v9, -1, v16
	v_xor_b32_e32 v10, -1, v17
	s_waitcnt vmcnt(3)
	v_xor_b32_e32 v7, -1, v7
	ds_write_b8 v0, v5 offset:2048
	ds_write_b8 v0, v8 offset:2560
	v_and_b32_e32 v5, 1, v9
	v_and_b32_e32 v8, 1, v10
	ds_write_b8 v0, v3 offset:3072
	ds_write_b8 v0, v4 offset:3584
	v_and_b32_e32 v3, 1, v6
	v_and_b32_e32 v4, 1, v7
	ds_write_b8 v0, v5 offset:4096
	s_waitcnt vmcnt(2)
	v_xor_b32_e32 v6, -1, v18
	s_waitcnt vmcnt(1)
	v_xor_b32_e32 v7, -1, v19
	v_and_b32_e32 v5, 1, v6
	v_and_b32_e32 v6, 1, v7
	s_waitcnt vmcnt(0)
	v_xor_b32_e32 v2, -1, v2
	v_and_b32_e32 v2, 1, v2
	ds_write_b8 v0, v8 offset:4608
	ds_write_b8 v0, v3 offset:5120
	;; [unrolled: 1-line block ×6, first 2 shown]
	s_waitcnt lgkmcnt(0)
	s_barrier
.LBB2972_36:
	s_load_dwordx2 s[24:25], s[0:1], 0x80
	s_andn2_b64 vcc, exec, s[6:7]
	s_cbranch_vccnz .LBB2972_68
; %bb.37:
	v_cmp_gt_u32_e32 vcc, s3, v0
	v_mov_b32_e32 v2, 0
	v_mov_b32_e32 v3, 0
	s_and_saveexec_b64 s[0:1], vcc
	s_cbranch_execz .LBB2972_39
; %bb.38:
	v_lshlrev_b32_e32 v3, 2, v0
	global_load_dword v3, v3, s[4:5]
	s_waitcnt vmcnt(0)
	v_xor_b32_e32 v3, -1, v3
	v_and_b32_e32 v3, 1, v3
.LBB2972_39:
	s_or_b64 exec, exec, s[0:1]
	v_or_b32_e32 v4, 0x200, v0
	v_cmp_gt_u32_e32 vcc, s3, v4
	s_and_saveexec_b64 s[0:1], vcc
	s_cbranch_execz .LBB2972_41
; %bb.40:
	v_lshlrev_b32_e32 v2, 2, v0
	global_load_dword v2, v2, s[4:5] offset:2048
	s_waitcnt vmcnt(0)
	v_xor_b32_e32 v2, -1, v2
	v_and_b32_e32 v2, 1, v2
.LBB2972_41:
	s_or_b64 exec, exec, s[0:1]
	v_or_b32_e32 v6, 0x400, v0
	v_cmp_gt_u32_e32 vcc, s3, v6
	v_mov_b32_e32 v4, 0
	v_mov_b32_e32 v5, 0
	s_and_saveexec_b64 s[0:1], vcc
	s_cbranch_execz .LBB2972_43
; %bb.42:
	v_lshlrev_b32_e32 v5, 2, v6
	global_load_dword v5, v5, s[4:5]
	s_waitcnt vmcnt(0)
	v_xor_b32_e32 v5, -1, v5
	v_and_b32_e32 v5, 1, v5
.LBB2972_43:
	s_or_b64 exec, exec, s[0:1]
	v_or_b32_e32 v6, 0x600, v0
	v_cmp_gt_u32_e32 vcc, s3, v6
	s_and_saveexec_b64 s[0:1], vcc
	s_cbranch_execz .LBB2972_45
; %bb.44:
	v_lshlrev_b32_e32 v4, 2, v6
	global_load_dword v4, v4, s[4:5]
	s_waitcnt vmcnt(0)
	v_xor_b32_e32 v4, -1, v4
	v_and_b32_e32 v4, 1, v4
.LBB2972_45:
	s_or_b64 exec, exec, s[0:1]
	v_or_b32_e32 v8, 0x800, v0
	v_cmp_gt_u32_e32 vcc, s3, v8
	v_mov_b32_e32 v6, 0
	v_mov_b32_e32 v7, 0
	s_and_saveexec_b64 s[0:1], vcc
	s_cbranch_execz .LBB2972_47
; %bb.46:
	v_lshlrev_b32_e32 v7, 2, v8
	global_load_dword v7, v7, s[4:5]
	s_waitcnt vmcnt(0)
	v_xor_b32_e32 v7, -1, v7
	v_and_b32_e32 v7, 1, v7
.LBB2972_47:
	s_or_b64 exec, exec, s[0:1]
	v_or_b32_e32 v8, 0xa00, v0
	v_cmp_gt_u32_e32 vcc, s3, v8
	s_and_saveexec_b64 s[0:1], vcc
	s_cbranch_execz .LBB2972_49
; %bb.48:
	v_lshlrev_b32_e32 v6, 2, v8
	global_load_dword v6, v6, s[4:5]
	s_waitcnt vmcnt(0)
	v_xor_b32_e32 v6, -1, v6
	v_and_b32_e32 v6, 1, v6
.LBB2972_49:
	;; [unrolled: 26-line block ×6, first 2 shown]
	s_or_b64 exec, exec, s[0:1]
	v_or_b32_e32 v17, 0x1c00, v0
	v_cmp_gt_u32_e32 vcc, s3, v17
	v_mov_b32_e32 v16, 0
	s_and_saveexec_b64 s[0:1], vcc
	s_cbranch_execz .LBB2972_67
; %bb.66:
	v_lshlrev_b32_e32 v16, 2, v17
	global_load_dword v16, v16, s[4:5]
	s_waitcnt vmcnt(0)
	v_xor_b32_e32 v16, -1, v16
	v_and_b32_e32 v16, 1, v16
.LBB2972_67:
	s_or_b64 exec, exec, s[0:1]
	ds_write_b8 v0, v3
	ds_write_b8 v0, v2 offset:512
	ds_write_b8 v0, v5 offset:1024
	;; [unrolled: 1-line block ×14, first 2 shown]
	s_waitcnt lgkmcnt(0)
	s_barrier
.LBB2972_68:
	s_waitcnt lgkmcnt(0)
	ds_read_b96 v[18:20], v21
	ds_read_u8 v2, v21 offset:12
	ds_read_u8 v3, v21 offset:13
	;; [unrolled: 1-line block ×3, first 2 shown]
	s_cmp_lg_u32 s2, 0
	v_lshrrev_b32_e32 v54, 6, v0
	s_waitcnt lgkmcnt(2)
	v_and_b32_e32 v41, 1, v2
	v_and_b32_e32 v50, 0xff, v18
	v_bfe_u32 v51, v18, 8, 8
	v_bfe_u32 v52, v18, 16, 8
	v_lshrrev_b32_e32 v43, 24, v18
	v_and_b32_e32 v47, 0xff, v19
	v_add3_u32 v2, v51, v50, v52
	v_bfe_u32 v48, v19, 8, 8
	v_bfe_u32 v49, v19, 16, 8
	v_add3_u32 v2, v2, v43, v47
	v_lshrrev_b32_e32 v42, 24, v19
	v_and_b32_e32 v44, 0xff, v20
	v_add3_u32 v2, v2, v48, v49
	v_bfe_u32 v45, v20, 8, 8
	v_bfe_u32 v46, v20, 16, 8
	v_add3_u32 v2, v2, v42, v44
	v_lshrrev_b32_e32 v40, 24, v20
	v_add3_u32 v2, v2, v45, v46
	s_waitcnt lgkmcnt(1)
	v_and_b32_e32 v39, 1, v3
	s_waitcnt lgkmcnt(0)
	v_and_b32_e32 v38, 1, v4
	v_add3_u32 v2, v2, v40, v41
	v_add3_u32 v55, v2, v39, v38
	v_mbcnt_lo_u32_b32 v2, -1, 0
	v_mbcnt_hi_u32_b32 v53, -1, v2
	v_and_b32_e32 v2, 15, v53
	v_cmp_eq_u32_e64 s[12:13], 0, v2
	v_cmp_lt_u32_e64 s[10:11], 1, v2
	v_cmp_lt_u32_e64 s[8:9], 3, v2
	;; [unrolled: 1-line block ×3, first 2 shown]
	v_and_b32_e32 v2, 16, v53
	v_cmp_eq_u32_e64 s[4:5], 0, v2
	v_or_b32_e32 v2, 63, v0
	v_cmp_lt_u32_e64 s[0:1], 31, v53
	v_cmp_eq_u32_e64 s[16:17], v2, v0
	s_barrier
	s_cbranch_scc0 .LBB2972_95
; %bb.69:
	v_mov_b32_dpp v2, v55 row_shr:1 row_mask:0xf bank_mask:0xf
	v_cndmask_b32_e64 v2, v2, 0, s[12:13]
	v_add_u32_e32 v2, v2, v55
	s_nop 1
	v_mov_b32_dpp v3, v2 row_shr:2 row_mask:0xf bank_mask:0xf
	v_cndmask_b32_e64 v3, 0, v3, s[10:11]
	v_add_u32_e32 v2, v2, v3
	s_nop 1
	;; [unrolled: 4-line block ×4, first 2 shown]
	v_mov_b32_dpp v3, v2 row_bcast:15 row_mask:0xf bank_mask:0xf
	v_cndmask_b32_e64 v3, v3, 0, s[4:5]
	v_add_u32_e32 v2, v2, v3
	s_nop 1
	v_mov_b32_dpp v3, v2 row_bcast:31 row_mask:0xf bank_mask:0xf
	v_cndmask_b32_e64 v3, 0, v3, s[0:1]
	v_add_u32_e32 v2, v2, v3
	s_and_saveexec_b64 s[14:15], s[16:17]
	s_cbranch_execz .LBB2972_71
; %bb.70:
	v_lshlrev_b32_e32 v3, 2, v54
	ds_write_b32 v3, v2
.LBB2972_71:
	s_or_b64 exec, exec, s[14:15]
	v_cmp_gt_u32_e32 vcc, 8, v0
	s_waitcnt lgkmcnt(0)
	s_barrier
	s_and_saveexec_b64 s[14:15], vcc
	s_cbranch_execz .LBB2972_73
; %bb.72:
	v_lshlrev_b32_e32 v3, 2, v0
	ds_read_b32 v4, v3
	v_and_b32_e32 v5, 7, v53
	v_cmp_ne_u32_e32 vcc, 0, v5
	s_waitcnt lgkmcnt(0)
	v_mov_b32_dpp v6, v4 row_shr:1 row_mask:0xf bank_mask:0xf
	v_cndmask_b32_e32 v6, 0, v6, vcc
	v_add_u32_e32 v4, v6, v4
	v_cmp_lt_u32_e32 vcc, 1, v5
	s_nop 0
	v_mov_b32_dpp v6, v4 row_shr:2 row_mask:0xf bank_mask:0xf
	v_cndmask_b32_e32 v6, 0, v6, vcc
	v_add_u32_e32 v4, v4, v6
	v_cmp_lt_u32_e32 vcc, 3, v5
	s_nop 0
	v_mov_b32_dpp v6, v4 row_shr:4 row_mask:0xf bank_mask:0xf
	v_cndmask_b32_e32 v5, 0, v6, vcc
	v_add_u32_e32 v4, v4, v5
	ds_write_b32 v3, v4
.LBB2972_73:
	s_or_b64 exec, exec, s[14:15]
	v_cmp_gt_u32_e32 vcc, 64, v0
	v_cmp_lt_u32_e64 s[14:15], 63, v0
	s_waitcnt lgkmcnt(0)
	s_barrier
	s_waitcnt lgkmcnt(0)
                                        ; implicit-def: $vgpr12
	s_and_saveexec_b64 s[26:27], s[14:15]
	s_cbranch_execz .LBB2972_75
; %bb.74:
	v_lshl_add_u32 v3, v54, 2, -4
	ds_read_b32 v12, v3
	s_waitcnt lgkmcnt(0)
	v_add_u32_e32 v2, v12, v2
.LBB2972_75:
	s_or_b64 exec, exec, s[26:27]
	v_add_u32_e32 v3, -1, v53
	v_and_b32_e32 v4, 64, v53
	v_cmp_lt_i32_e64 s[14:15], v3, v4
	s_nop 1
	v_cndmask_b32_e64 v3, v3, v53, s[14:15]
	v_lshlrev_b32_e32 v3, 2, v3
	ds_bpermute_b32 v13, v3, v2
	v_cmp_eq_u32_e64 s[14:15], 0, v53
	s_and_saveexec_b64 s[26:27], vcc
	s_cbranch_execz .LBB2972_94
; %bb.76:
	v_mov_b32_e32 v9, 0
	ds_read_b32 v2, v9 offset:28
	s_and_saveexec_b64 s[28:29], s[14:15]
	s_cbranch_execz .LBB2972_78
; %bb.77:
	s_add_i32 s30, s2, 64
	s_mov_b32 s31, 0
	s_lshl_b64 s[30:31], s[30:31], 3
	s_add_u32 s30, s24, s30
	v_mov_b32_e32 v3, 1
	s_addc_u32 s31, s25, s31
	s_waitcnt lgkmcnt(0)
	global_store_dwordx2 v9, v[2:3], s[30:31] sc1
.LBB2972_78:
	s_or_b64 exec, exec, s[28:29]
	v_xad_u32 v4, v53, -1, s2
	v_add_u32_e32 v8, 64, v4
	v_lshl_add_u64 v[10:11], v[8:9], 3, s[24:25]
	global_load_dwordx2 v[6:7], v[10:11], off sc1
	s_waitcnt vmcnt(0)
	v_cmp_eq_u16_sdwa s[30:31], v7, v9 src0_sel:BYTE_0 src1_sel:DWORD
	s_and_saveexec_b64 s[28:29], s[30:31]
	s_cbranch_execz .LBB2972_82
; %bb.79:
	s_mov_b64 s[30:31], 0
	v_mov_b32_e32 v3, 0
.LBB2972_80:                            ; =>This Inner Loop Header: Depth=1
	global_load_dwordx2 v[6:7], v[10:11], off sc1
	s_waitcnt vmcnt(0)
	v_cmp_ne_u16_sdwa s[34:35], v7, v3 src0_sel:BYTE_0 src1_sel:DWORD
	s_or_b64 s[30:31], s[34:35], s[30:31]
	s_andn2_b64 exec, exec, s[30:31]
	s_cbranch_execnz .LBB2972_80
; %bb.81:
	s_or_b64 exec, exec, s[30:31]
.LBB2972_82:
	s_or_b64 exec, exec, s[28:29]
	v_and_b32_e32 v15, 63, v53
	v_mov_b32_e32 v14, 2
	v_cmp_ne_u32_e32 vcc, 63, v15
	v_cmp_eq_u16_sdwa s[28:29], v7, v14 src0_sel:BYTE_0 src1_sel:DWORD
	v_lshlrev_b64 v[8:9], v53, -1
	v_addc_co_u32_e32 v10, vcc, 0, v53, vcc
	v_and_b32_e32 v3, s29, v9
	v_lshlrev_b32_e32 v16, 2, v10
	v_or_b32_e32 v3, 0x80000000, v3
	ds_bpermute_b32 v10, v16, v6
	v_and_b32_e32 v5, s28, v8
	v_ffbl_b32_e32 v3, v3
	v_add_u32_e32 v3, 32, v3
	v_ffbl_b32_e32 v5, v5
	v_min_u32_e32 v3, v5, v3
	v_cmp_lt_u32_e32 vcc, v15, v3
	v_add_u32_e32 v36, 2, v15
	v_add_u32_e32 v56, 4, v15
	s_waitcnt lgkmcnt(0)
	v_cndmask_b32_e32 v5, 0, v10, vcc
	v_cmp_gt_u32_e32 vcc, 62, v15
	v_add_u32_e32 v5, v5, v6
	v_add_u32_e32 v58, 8, v15
	v_cndmask_b32_e64 v6, 0, 1, vcc
	v_lshlrev_b32_e32 v6, 1, v6
	v_add_lshl_u32 v17, v6, v53, 2
	ds_bpermute_b32 v6, v17, v5
	v_cmp_le_u32_e32 vcc, v36, v3
	v_add_u32_e32 v60, 16, v15
	v_add_u32_e32 v62, 32, v15
	s_waitcnt lgkmcnt(0)
	v_cndmask_b32_e32 v6, 0, v6, vcc
	v_cmp_gt_u32_e32 vcc, 60, v15
	v_add_u32_e32 v5, v5, v6
	s_nop 0
	v_cndmask_b32_e64 v6, 0, 1, vcc
	v_lshlrev_b32_e32 v6, 2, v6
	v_add_lshl_u32 v37, v6, v53, 2
	ds_bpermute_b32 v6, v37, v5
	v_cmp_le_u32_e32 vcc, v56, v3
	s_waitcnt lgkmcnt(0)
	s_nop 0
	v_cndmask_b32_e32 v6, 0, v6, vcc
	v_cmp_gt_u32_e32 vcc, 56, v15
	v_add_u32_e32 v5, v5, v6
	s_nop 0
	v_cndmask_b32_e64 v6, 0, 1, vcc
	v_lshlrev_b32_e32 v6, 3, v6
	v_add_lshl_u32 v57, v6, v53, 2
	ds_bpermute_b32 v6, v57, v5
	v_cmp_le_u32_e32 vcc, v58, v3
	s_waitcnt lgkmcnt(0)
	s_nop 0
	;; [unrolled: 11-line block ×4, first 2 shown]
	v_cndmask_b32_e32 v3, 0, v6, vcc
	v_add_u32_e32 v6, v5, v3
	v_mov_b32_e32 v5, 0
	s_branch .LBB2972_84
.LBB2972_83:                            ;   in Loop: Header=BB2972_84 Depth=1
	s_or_b64 exec, exec, s[28:29]
	v_cmp_eq_u16_sdwa s[28:29], v7, v14 src0_sel:BYTE_0 src1_sel:DWORD
	ds_bpermute_b32 v63, v16, v6
	v_subrev_u32_e32 v4, 64, v4
	v_and_b32_e32 v10, s29, v9
	v_or_b32_e32 v10, 0x80000000, v10
	v_and_b32_e32 v11, s28, v8
	v_ffbl_b32_e32 v10, v10
	v_add_u32_e32 v10, 32, v10
	v_ffbl_b32_e32 v11, v11
	v_min_u32_e32 v10, v11, v10
	v_cmp_lt_u32_e32 vcc, v15, v10
	s_waitcnt lgkmcnt(0)
	s_nop 0
	v_cndmask_b32_e32 v11, 0, v63, vcc
	v_add_u32_e32 v6, v11, v6
	ds_bpermute_b32 v11, v17, v6
	v_cmp_le_u32_e32 vcc, v36, v10
	s_waitcnt lgkmcnt(0)
	s_nop 0
	v_cndmask_b32_e32 v11, 0, v11, vcc
	v_add_u32_e32 v6, v6, v11
	ds_bpermute_b32 v11, v37, v6
	v_cmp_le_u32_e32 vcc, v56, v10
	;; [unrolled: 6-line block ×5, first 2 shown]
	s_waitcnt lgkmcnt(0)
	s_nop 0
	v_cndmask_b32_e32 v10, 0, v11, vcc
	v_add3_u32 v6, v10, v3, v6
.LBB2972_84:                            ; =>This Loop Header: Depth=1
                                        ;     Child Loop BB2972_87 Depth 2
	v_cmp_ne_u16_sdwa s[28:29], v7, v14 src0_sel:BYTE_0 src1_sel:DWORD
	s_nop 1
	v_cndmask_b32_e64 v3, 0, 1, s[28:29]
	;;#ASMSTART
	;;#ASMEND
	s_nop 0
	v_cmp_ne_u32_e32 vcc, 0, v3
	s_cmp_lg_u64 vcc, exec
	v_mov_b32_e32 v3, v6
	s_cbranch_scc1 .LBB2972_89
; %bb.85:                               ;   in Loop: Header=BB2972_84 Depth=1
	v_lshl_add_u64 v[10:11], v[4:5], 3, s[24:25]
	global_load_dwordx2 v[6:7], v[10:11], off sc1
	s_waitcnt vmcnt(0)
	v_cmp_eq_u16_sdwa s[30:31], v7, v5 src0_sel:BYTE_0 src1_sel:DWORD
	s_and_saveexec_b64 s[28:29], s[30:31]
	s_cbranch_execz .LBB2972_83
; %bb.86:                               ;   in Loop: Header=BB2972_84 Depth=1
	s_mov_b64 s[30:31], 0
.LBB2972_87:                            ;   Parent Loop BB2972_84 Depth=1
                                        ; =>  This Inner Loop Header: Depth=2
	global_load_dwordx2 v[6:7], v[10:11], off sc1
	s_waitcnt vmcnt(0)
	v_cmp_ne_u16_sdwa s[34:35], v7, v5 src0_sel:BYTE_0 src1_sel:DWORD
	s_or_b64 s[30:31], s[34:35], s[30:31]
	s_andn2_b64 exec, exec, s[30:31]
	s_cbranch_execnz .LBB2972_87
; %bb.88:                               ;   in Loop: Header=BB2972_84 Depth=1
	s_or_b64 exec, exec, s[30:31]
	s_branch .LBB2972_83
.LBB2972_89:                            ;   in Loop: Header=BB2972_84 Depth=1
                                        ; implicit-def: $vgpr6
                                        ; implicit-def: $vgpr7
	s_cbranch_execz .LBB2972_84
; %bb.90:
	s_and_saveexec_b64 s[28:29], s[14:15]
	s_cbranch_execz .LBB2972_92
; %bb.91:
	s_add_i32 s2, s2, 64
	s_mov_b32 s3, 0
	s_lshl_b64 s[2:3], s[2:3], 3
	s_add_u32 s2, s24, s2
	v_add_u32_e32 v4, v3, v2
	v_mov_b32_e32 v5, 2
	s_addc_u32 s3, s25, s3
	v_mov_b32_e32 v6, 0
	global_store_dwordx2 v6, v[4:5], s[2:3] sc1
	ds_write_b64 v6, v[2:3] offset:30720
.LBB2972_92:
	s_or_b64 exec, exec, s[28:29]
	v_cmp_eq_u32_e32 vcc, 0, v0
	s_and_b64 exec, exec, vcc
	s_cbranch_execz .LBB2972_94
; %bb.93:
	v_mov_b32_e32 v2, 0
	ds_write_b32 v2, v3 offset:28
.LBB2972_94:
	s_or_b64 exec, exec, s[26:27]
	v_mov_b32_e32 v14, 0
	s_waitcnt lgkmcnt(0)
	s_barrier
	ds_read_b32 v2, v14 offset:28
	v_cndmask_b32_e64 v3, v13, v12, s[14:15]
	v_cmp_ne_u32_e32 vcc, 0, v0
	s_waitcnt lgkmcnt(0)
	s_barrier
	v_cndmask_b32_e32 v3, 0, v3, vcc
	v_add_u32_e32 v2, v2, v3
	v_add_u32_e32 v3, v2, v50
	;; [unrolled: 1-line block ×11, first 2 shown]
	ds_read_b64 v[36:37], v14 offset:30720
	v_add_u32_e32 v13, v12, v46
	v_add_u32_e32 v14, v13, v40
	;; [unrolled: 1-line block ×4, first 2 shown]
	s_branch .LBB2972_105
.LBB2972_95:
                                        ; implicit-def: $vgpr37
                                        ; implicit-def: $vgpr2_vgpr3_vgpr4_vgpr5_vgpr6_vgpr7_vgpr8_vgpr9_vgpr10_vgpr11_vgpr12_vgpr13_vgpr14_vgpr15_vgpr16_vgpr17
	s_cbranch_execz .LBB2972_105
; %bb.96:
	s_nop 0
	v_mov_b32_dpp v2, v55 row_shr:1 row_mask:0xf bank_mask:0xf
	v_cndmask_b32_e64 v2, v2, 0, s[12:13]
	v_add_u32_e32 v2, v2, v55
	s_nop 1
	v_mov_b32_dpp v3, v2 row_shr:2 row_mask:0xf bank_mask:0xf
	v_cndmask_b32_e64 v3, 0, v3, s[10:11]
	v_add_u32_e32 v2, v2, v3
	;; [unrolled: 4-line block ×4, first 2 shown]
	s_nop 1
	v_mov_b32_dpp v3, v2 row_bcast:15 row_mask:0xf bank_mask:0xf
	v_cndmask_b32_e64 v3, v3, 0, s[4:5]
	v_add_u32_e32 v2, v2, v3
	s_nop 1
	v_mov_b32_dpp v3, v2 row_bcast:31 row_mask:0xf bank_mask:0xf
	v_cndmask_b32_e64 v3, 0, v3, s[0:1]
	v_add_u32_e32 v2, v2, v3
	s_and_saveexec_b64 s[0:1], s[16:17]
	s_cbranch_execz .LBB2972_98
; %bb.97:
	v_lshlrev_b32_e32 v3, 2, v54
	ds_write_b32 v3, v2
.LBB2972_98:
	s_or_b64 exec, exec, s[0:1]
	v_cmp_gt_u32_e32 vcc, 8, v0
	s_waitcnt lgkmcnt(0)
	s_barrier
	s_and_saveexec_b64 s[0:1], vcc
	s_cbranch_execz .LBB2972_100
; %bb.99:
	v_mad_i32_i24 v3, v0, -11, v21
	ds_read_b32 v4, v3
	v_and_b32_e32 v5, 7, v53
	v_cmp_ne_u32_e32 vcc, 0, v5
	s_waitcnt lgkmcnt(0)
	v_mov_b32_dpp v6, v4 row_shr:1 row_mask:0xf bank_mask:0xf
	v_cndmask_b32_e32 v6, 0, v6, vcc
	v_add_u32_e32 v4, v6, v4
	v_cmp_lt_u32_e32 vcc, 1, v5
	s_nop 0
	v_mov_b32_dpp v6, v4 row_shr:2 row_mask:0xf bank_mask:0xf
	v_cndmask_b32_e32 v6, 0, v6, vcc
	v_add_u32_e32 v4, v4, v6
	v_cmp_lt_u32_e32 vcc, 3, v5
	s_nop 0
	v_mov_b32_dpp v6, v4 row_shr:4 row_mask:0xf bank_mask:0xf
	v_cndmask_b32_e32 v5, 0, v6, vcc
	v_add_u32_e32 v4, v4, v5
	ds_write_b32 v3, v4
.LBB2972_100:
	s_or_b64 exec, exec, s[0:1]
	v_cmp_lt_u32_e32 vcc, 63, v0
	v_mov_b32_e32 v4, 0
	v_mov_b32_e32 v3, 0
	s_waitcnt lgkmcnt(0)
	s_barrier
	s_and_saveexec_b64 s[0:1], vcc
	s_cbranch_execz .LBB2972_102
; %bb.101:
	v_lshl_add_u32 v3, v54, 2, -4
	ds_read_b32 v3, v3
.LBB2972_102:
	s_or_b64 exec, exec, s[0:1]
	v_add_u32_e32 v5, -1, v53
	v_and_b32_e32 v6, 64, v53
	v_cmp_lt_i32_e32 vcc, v5, v6
	s_waitcnt lgkmcnt(0)
	v_add_u32_e32 v2, v3, v2
	ds_read_b32 v36, v4 offset:28
	v_cndmask_b32_e32 v5, v5, v53, vcc
	v_lshlrev_b32_e32 v5, 2, v5
	ds_bpermute_b32 v2, v5, v2
	v_cmp_eq_u32_e32 vcc, 0, v0
	s_and_saveexec_b64 s[0:1], vcc
	s_cbranch_execz .LBB2972_104
; %bb.103:
	v_mov_b32_e32 v4, 0
	v_mov_b32_e32 v37, 2
	s_waitcnt lgkmcnt(1)
	global_store_dwordx2 v4, v[36:37], s[24:25] offset:512 sc1
.LBB2972_104:
	s_or_b64 exec, exec, s[0:1]
	v_cmp_eq_u32_e64 s[0:1], 0, v53
	v_mov_b32_e32 v37, 0
	s_waitcnt lgkmcnt(0)
	v_cndmask_b32_e64 v2, v2, v3, s[0:1]
	v_cndmask_b32_e64 v2, v2, 0, vcc
	v_add_u32_e32 v3, v2, v50
	v_add_u32_e32 v4, v3, v51
	;; [unrolled: 1-line block ×14, first 2 shown]
	s_barrier
.LBB2972_105:
	s_waitcnt lgkmcnt(0)
	v_add_u32_e32 v21, v36, v21
	v_sub_u32_e32 v2, v2, v37
	v_and_b32_e32 v47, 1, v18
	v_sub_u32_e32 v46, v21, v2
	v_cmp_eq_u32_e32 vcc, 1, v47
	v_lshrrev_b32_e32 v45, 8, v18
	v_lshrrev_b32_e32 v44, 8, v19
	v_cndmask_b32_e32 v2, v46, v2, vcc
	v_lshlrev_b32_e32 v2, 2, v2
	ds_write_b32 v2, v34
	v_sub_u32_e32 v2, v3, v37
	v_sub_u32_e32 v3, v21, v2
	v_and_b32_e32 v34, 1, v45
	v_add_u32_e32 v3, 1, v3
	v_cmp_eq_u32_e32 vcc, 1, v34
	v_lshrrev_b32_e32 v17, 8, v20
	s_nop 0
	v_cndmask_b32_e32 v2, v3, v2, vcc
	v_lshlrev_b32_e32 v2, 2, v2
	ds_write_b32 v2, v35
	v_sub_u32_e32 v2, v4, v37
	v_mov_b32_e32 v4, 1
	v_sub_u32_e32 v3, v21, v2
	v_and_b32_sdwa v18, v4, v18 dst_sel:DWORD dst_unused:UNUSED_PAD src0_sel:DWORD src1_sel:WORD_1
	v_add_u32_e32 v3, 2, v3
	v_cmp_eq_u32_e32 vcc, 1, v18
	s_nop 1
	v_cndmask_b32_e32 v2, v3, v2, vcc
	v_lshlrev_b32_e32 v2, 2, v2
	ds_write_b32 v2, v32
	v_sub_u32_e32 v2, v5, v37
	v_sub_u32_e32 v3, v21, v2
	v_and_b32_e32 v5, 1, v43
	v_add_u32_e32 v3, 3, v3
	v_cmp_eq_u32_e32 vcc, 1, v5
	v_and_b32_e32 v5, 1, v19
	s_nop 0
	v_cndmask_b32_e32 v2, v3, v2, vcc
	v_lshlrev_b32_e32 v2, 2, v2
	ds_write_b32 v2, v33
	v_sub_u32_e32 v2, v6, v37
	v_sub_u32_e32 v3, v21, v2
	v_add_u32_e32 v3, 4, v3
	v_cmp_eq_u32_e32 vcc, 1, v5
	v_and_b32_e32 v5, 1, v44
	s_nop 0
	v_cndmask_b32_e32 v2, v3, v2, vcc
	v_lshlrev_b32_e32 v2, 2, v2
	ds_write_b32 v2, v30
	v_sub_u32_e32 v2, v7, v37
	v_sub_u32_e32 v3, v21, v2
	v_add_u32_e32 v3, 5, v3
	v_cmp_eq_u32_e32 vcc, 1, v5
	v_and_b32_sdwa v5, v4, v19 dst_sel:DWORD dst_unused:UNUSED_PAD src0_sel:DWORD src1_sel:WORD_1
	v_and_b32_sdwa v4, v4, v20 dst_sel:DWORD dst_unused:UNUSED_PAD src0_sel:DWORD src1_sel:WORD_1
	v_cndmask_b32_e32 v2, v3, v2, vcc
	v_lshlrev_b32_e32 v2, 2, v2
	ds_write_b32 v2, v31
	v_sub_u32_e32 v2, v8, v37
	v_sub_u32_e32 v3, v21, v2
	v_add_u32_e32 v3, 6, v3
	v_cmp_eq_u32_e32 vcc, 1, v5
	v_and_b32_e32 v5, 1, v42
	s_nop 0
	v_cndmask_b32_e32 v2, v3, v2, vcc
	v_lshlrev_b32_e32 v2, 2, v2
	ds_write_b32 v2, v28
	v_sub_u32_e32 v2, v9, v37
	v_sub_u32_e32 v3, v21, v2
	v_add_u32_e32 v3, 7, v3
	v_cmp_eq_u32_e32 vcc, 1, v5
	v_and_b32_e32 v5, 1, v20
	s_nop 0
	;; [unrolled: 9-line block ×3, first 2 shown]
	v_cndmask_b32_e32 v2, v3, v2, vcc
	v_lshlrev_b32_e32 v2, 2, v2
	ds_write_b32 v2, v26
	v_sub_u32_e32 v2, v11, v37
	v_sub_u32_e32 v3, v21, v2
	v_add_u32_e32 v3, 9, v3
	v_cmp_eq_u32_e32 vcc, 1, v5
	s_nop 1
	v_cndmask_b32_e32 v2, v3, v2, vcc
	v_lshlrev_b32_e32 v2, 2, v2
	ds_write_b32 v2, v27
	v_sub_u32_e32 v2, v12, v37
	v_sub_u32_e32 v3, v21, v2
	v_add_u32_e32 v3, 10, v3
	v_cmp_eq_u32_e32 vcc, 1, v4
	v_and_b32_e32 v4, 1, v40
	s_nop 0
	v_cndmask_b32_e32 v2, v3, v2, vcc
	v_lshlrev_b32_e32 v2, 2, v2
	ds_write_b32 v2, v24
	v_sub_u32_e32 v2, v13, v37
	v_sub_u32_e32 v3, v21, v2
	v_add_u32_e32 v3, 11, v3
	v_cmp_eq_u32_e32 vcc, 1, v4
	s_nop 1
	v_cndmask_b32_e32 v2, v3, v2, vcc
	v_lshlrev_b32_e32 v2, 2, v2
	ds_write_b32 v2, v25
	v_sub_u32_e32 v2, v14, v37
	v_sub_u32_e32 v3, v21, v2
	v_add_u32_e32 v3, 12, v3
	v_cmp_eq_u32_e32 vcc, 1, v41
	;; [unrolled: 8-line block ×4, first 2 shown]
	s_nop 1
	v_cndmask_b32_e32 v2, v3, v2, vcc
	v_cmp_eq_u32_e32 vcc, 0, v0
	v_lshlrev_b32_e32 v2, 2, v2
	s_and_b64 s[0:1], vcc, s[22:23]
	ds_write_b32 v2, v1
	s_waitcnt lgkmcnt(0)
	s_barrier
	s_and_saveexec_b64 s[2:3], s[0:1]
	s_cbranch_execz .LBB2972_107
; %bb.106:
	v_mov_b32_e32 v1, 0
	v_mov_b32_e32 v0, v36
	v_lshl_add_u64 v[2:3], s[18:19], 0, v[0:1]
	v_mov_b32_e32 v0, v37
	v_lshl_add_u64 v[2:3], v[2:3], 0, v[0:1]
	global_store_dwordx2 v1, v[2:3], s[20:21]
.LBB2972_107:
	s_endpgm
	.section	.rodata,"a",@progbits
	.p2align	6, 0x0
	.amdhsa_kernel _ZN7rocprim17ROCPRIM_400000_NS6detail17trampoline_kernelINS0_14default_configENS1_25partition_config_selectorILNS1_17partition_subalgoE1EjNS0_10empty_typeEbEEZZNS1_14partition_implILS5_1ELb0ES3_jN6thrust23THRUST_200600_302600_NS6detail15normal_iteratorINSA_10device_ptrIjEEEEPS6_NSA_18transform_iteratorI7is_evenIjESF_NSA_11use_defaultESK_EENS0_5tupleIJNSA_16discard_iteratorISK_EESO_EEENSM_IJSG_SG_EEES6_PlJS6_EEE10hipError_tPvRmT3_T4_T5_T6_T7_T9_mT8_P12ihipStream_tbDpT10_ENKUlT_T0_E_clISt17integral_constantIbLb0EES1B_EEDaS16_S17_EUlS16_E_NS1_11comp_targetILNS1_3genE5ELNS1_11target_archE942ELNS1_3gpuE9ELNS1_3repE0EEENS1_30default_config_static_selectorELNS0_4arch9wavefront6targetE1EEEvT1_
		.amdhsa_group_segment_fixed_size 30728
		.amdhsa_private_segment_fixed_size 0
		.amdhsa_kernarg_size 144
		.amdhsa_user_sgpr_count 2
		.amdhsa_user_sgpr_dispatch_ptr 0
		.amdhsa_user_sgpr_queue_ptr 0
		.amdhsa_user_sgpr_kernarg_segment_ptr 1
		.amdhsa_user_sgpr_dispatch_id 0
		.amdhsa_user_sgpr_kernarg_preload_length 0
		.amdhsa_user_sgpr_kernarg_preload_offset 0
		.amdhsa_user_sgpr_private_segment_size 0
		.amdhsa_uses_dynamic_stack 0
		.amdhsa_enable_private_segment 0
		.amdhsa_system_sgpr_workgroup_id_x 1
		.amdhsa_system_sgpr_workgroup_id_y 0
		.amdhsa_system_sgpr_workgroup_id_z 0
		.amdhsa_system_sgpr_workgroup_info 0
		.amdhsa_system_vgpr_workitem_id 0
		.amdhsa_next_free_vgpr 64
		.amdhsa_next_free_sgpr 36
		.amdhsa_accum_offset 64
		.amdhsa_reserve_vcc 1
		.amdhsa_float_round_mode_32 0
		.amdhsa_float_round_mode_16_64 0
		.amdhsa_float_denorm_mode_32 3
		.amdhsa_float_denorm_mode_16_64 3
		.amdhsa_dx10_clamp 1
		.amdhsa_ieee_mode 1
		.amdhsa_fp16_overflow 0
		.amdhsa_tg_split 0
		.amdhsa_exception_fp_ieee_invalid_op 0
		.amdhsa_exception_fp_denorm_src 0
		.amdhsa_exception_fp_ieee_div_zero 0
		.amdhsa_exception_fp_ieee_overflow 0
		.amdhsa_exception_fp_ieee_underflow 0
		.amdhsa_exception_fp_ieee_inexact 0
		.amdhsa_exception_int_div_zero 0
	.end_amdhsa_kernel
	.section	.text._ZN7rocprim17ROCPRIM_400000_NS6detail17trampoline_kernelINS0_14default_configENS1_25partition_config_selectorILNS1_17partition_subalgoE1EjNS0_10empty_typeEbEEZZNS1_14partition_implILS5_1ELb0ES3_jN6thrust23THRUST_200600_302600_NS6detail15normal_iteratorINSA_10device_ptrIjEEEEPS6_NSA_18transform_iteratorI7is_evenIjESF_NSA_11use_defaultESK_EENS0_5tupleIJNSA_16discard_iteratorISK_EESO_EEENSM_IJSG_SG_EEES6_PlJS6_EEE10hipError_tPvRmT3_T4_T5_T6_T7_T9_mT8_P12ihipStream_tbDpT10_ENKUlT_T0_E_clISt17integral_constantIbLb0EES1B_EEDaS16_S17_EUlS16_E_NS1_11comp_targetILNS1_3genE5ELNS1_11target_archE942ELNS1_3gpuE9ELNS1_3repE0EEENS1_30default_config_static_selectorELNS0_4arch9wavefront6targetE1EEEvT1_,"axG",@progbits,_ZN7rocprim17ROCPRIM_400000_NS6detail17trampoline_kernelINS0_14default_configENS1_25partition_config_selectorILNS1_17partition_subalgoE1EjNS0_10empty_typeEbEEZZNS1_14partition_implILS5_1ELb0ES3_jN6thrust23THRUST_200600_302600_NS6detail15normal_iteratorINSA_10device_ptrIjEEEEPS6_NSA_18transform_iteratorI7is_evenIjESF_NSA_11use_defaultESK_EENS0_5tupleIJNSA_16discard_iteratorISK_EESO_EEENSM_IJSG_SG_EEES6_PlJS6_EEE10hipError_tPvRmT3_T4_T5_T6_T7_T9_mT8_P12ihipStream_tbDpT10_ENKUlT_T0_E_clISt17integral_constantIbLb0EES1B_EEDaS16_S17_EUlS16_E_NS1_11comp_targetILNS1_3genE5ELNS1_11target_archE942ELNS1_3gpuE9ELNS1_3repE0EEENS1_30default_config_static_selectorELNS0_4arch9wavefront6targetE1EEEvT1_,comdat
.Lfunc_end2972:
	.size	_ZN7rocprim17ROCPRIM_400000_NS6detail17trampoline_kernelINS0_14default_configENS1_25partition_config_selectorILNS1_17partition_subalgoE1EjNS0_10empty_typeEbEEZZNS1_14partition_implILS5_1ELb0ES3_jN6thrust23THRUST_200600_302600_NS6detail15normal_iteratorINSA_10device_ptrIjEEEEPS6_NSA_18transform_iteratorI7is_evenIjESF_NSA_11use_defaultESK_EENS0_5tupleIJNSA_16discard_iteratorISK_EESO_EEENSM_IJSG_SG_EEES6_PlJS6_EEE10hipError_tPvRmT3_T4_T5_T6_T7_T9_mT8_P12ihipStream_tbDpT10_ENKUlT_T0_E_clISt17integral_constantIbLb0EES1B_EEDaS16_S17_EUlS16_E_NS1_11comp_targetILNS1_3genE5ELNS1_11target_archE942ELNS1_3gpuE9ELNS1_3repE0EEENS1_30default_config_static_selectorELNS0_4arch9wavefront6targetE1EEEvT1_, .Lfunc_end2972-_ZN7rocprim17ROCPRIM_400000_NS6detail17trampoline_kernelINS0_14default_configENS1_25partition_config_selectorILNS1_17partition_subalgoE1EjNS0_10empty_typeEbEEZZNS1_14partition_implILS5_1ELb0ES3_jN6thrust23THRUST_200600_302600_NS6detail15normal_iteratorINSA_10device_ptrIjEEEEPS6_NSA_18transform_iteratorI7is_evenIjESF_NSA_11use_defaultESK_EENS0_5tupleIJNSA_16discard_iteratorISK_EESO_EEENSM_IJSG_SG_EEES6_PlJS6_EEE10hipError_tPvRmT3_T4_T5_T6_T7_T9_mT8_P12ihipStream_tbDpT10_ENKUlT_T0_E_clISt17integral_constantIbLb0EES1B_EEDaS16_S17_EUlS16_E_NS1_11comp_targetILNS1_3genE5ELNS1_11target_archE942ELNS1_3gpuE9ELNS1_3repE0EEENS1_30default_config_static_selectorELNS0_4arch9wavefront6targetE1EEEvT1_
                                        ; -- End function
	.section	.AMDGPU.csdata,"",@progbits
; Kernel info:
; codeLenInByte = 5828
; NumSgprs: 42
; NumVgprs: 64
; NumAgprs: 0
; TotalNumVgprs: 64
; ScratchSize: 0
; MemoryBound: 0
; FloatMode: 240
; IeeeMode: 1
; LDSByteSize: 30728 bytes/workgroup (compile time only)
; SGPRBlocks: 5
; VGPRBlocks: 7
; NumSGPRsForWavesPerEU: 42
; NumVGPRsForWavesPerEU: 64
; AccumOffset: 64
; Occupancy: 4
; WaveLimiterHint : 1
; COMPUTE_PGM_RSRC2:SCRATCH_EN: 0
; COMPUTE_PGM_RSRC2:USER_SGPR: 2
; COMPUTE_PGM_RSRC2:TRAP_HANDLER: 0
; COMPUTE_PGM_RSRC2:TGID_X_EN: 1
; COMPUTE_PGM_RSRC2:TGID_Y_EN: 0
; COMPUTE_PGM_RSRC2:TGID_Z_EN: 0
; COMPUTE_PGM_RSRC2:TIDIG_COMP_CNT: 0
; COMPUTE_PGM_RSRC3_GFX90A:ACCUM_OFFSET: 15
; COMPUTE_PGM_RSRC3_GFX90A:TG_SPLIT: 0
	.section	.text._ZN7rocprim17ROCPRIM_400000_NS6detail17trampoline_kernelINS0_14default_configENS1_25partition_config_selectorILNS1_17partition_subalgoE1EjNS0_10empty_typeEbEEZZNS1_14partition_implILS5_1ELb0ES3_jN6thrust23THRUST_200600_302600_NS6detail15normal_iteratorINSA_10device_ptrIjEEEEPS6_NSA_18transform_iteratorI7is_evenIjESF_NSA_11use_defaultESK_EENS0_5tupleIJNSA_16discard_iteratorISK_EESO_EEENSM_IJSG_SG_EEES6_PlJS6_EEE10hipError_tPvRmT3_T4_T5_T6_T7_T9_mT8_P12ihipStream_tbDpT10_ENKUlT_T0_E_clISt17integral_constantIbLb0EES1B_EEDaS16_S17_EUlS16_E_NS1_11comp_targetILNS1_3genE4ELNS1_11target_archE910ELNS1_3gpuE8ELNS1_3repE0EEENS1_30default_config_static_selectorELNS0_4arch9wavefront6targetE1EEEvT1_,"axG",@progbits,_ZN7rocprim17ROCPRIM_400000_NS6detail17trampoline_kernelINS0_14default_configENS1_25partition_config_selectorILNS1_17partition_subalgoE1EjNS0_10empty_typeEbEEZZNS1_14partition_implILS5_1ELb0ES3_jN6thrust23THRUST_200600_302600_NS6detail15normal_iteratorINSA_10device_ptrIjEEEEPS6_NSA_18transform_iteratorI7is_evenIjESF_NSA_11use_defaultESK_EENS0_5tupleIJNSA_16discard_iteratorISK_EESO_EEENSM_IJSG_SG_EEES6_PlJS6_EEE10hipError_tPvRmT3_T4_T5_T6_T7_T9_mT8_P12ihipStream_tbDpT10_ENKUlT_T0_E_clISt17integral_constantIbLb0EES1B_EEDaS16_S17_EUlS16_E_NS1_11comp_targetILNS1_3genE4ELNS1_11target_archE910ELNS1_3gpuE8ELNS1_3repE0EEENS1_30default_config_static_selectorELNS0_4arch9wavefront6targetE1EEEvT1_,comdat
	.protected	_ZN7rocprim17ROCPRIM_400000_NS6detail17trampoline_kernelINS0_14default_configENS1_25partition_config_selectorILNS1_17partition_subalgoE1EjNS0_10empty_typeEbEEZZNS1_14partition_implILS5_1ELb0ES3_jN6thrust23THRUST_200600_302600_NS6detail15normal_iteratorINSA_10device_ptrIjEEEEPS6_NSA_18transform_iteratorI7is_evenIjESF_NSA_11use_defaultESK_EENS0_5tupleIJNSA_16discard_iteratorISK_EESO_EEENSM_IJSG_SG_EEES6_PlJS6_EEE10hipError_tPvRmT3_T4_T5_T6_T7_T9_mT8_P12ihipStream_tbDpT10_ENKUlT_T0_E_clISt17integral_constantIbLb0EES1B_EEDaS16_S17_EUlS16_E_NS1_11comp_targetILNS1_3genE4ELNS1_11target_archE910ELNS1_3gpuE8ELNS1_3repE0EEENS1_30default_config_static_selectorELNS0_4arch9wavefront6targetE1EEEvT1_ ; -- Begin function _ZN7rocprim17ROCPRIM_400000_NS6detail17trampoline_kernelINS0_14default_configENS1_25partition_config_selectorILNS1_17partition_subalgoE1EjNS0_10empty_typeEbEEZZNS1_14partition_implILS5_1ELb0ES3_jN6thrust23THRUST_200600_302600_NS6detail15normal_iteratorINSA_10device_ptrIjEEEEPS6_NSA_18transform_iteratorI7is_evenIjESF_NSA_11use_defaultESK_EENS0_5tupleIJNSA_16discard_iteratorISK_EESO_EEENSM_IJSG_SG_EEES6_PlJS6_EEE10hipError_tPvRmT3_T4_T5_T6_T7_T9_mT8_P12ihipStream_tbDpT10_ENKUlT_T0_E_clISt17integral_constantIbLb0EES1B_EEDaS16_S17_EUlS16_E_NS1_11comp_targetILNS1_3genE4ELNS1_11target_archE910ELNS1_3gpuE8ELNS1_3repE0EEENS1_30default_config_static_selectorELNS0_4arch9wavefront6targetE1EEEvT1_
	.globl	_ZN7rocprim17ROCPRIM_400000_NS6detail17trampoline_kernelINS0_14default_configENS1_25partition_config_selectorILNS1_17partition_subalgoE1EjNS0_10empty_typeEbEEZZNS1_14partition_implILS5_1ELb0ES3_jN6thrust23THRUST_200600_302600_NS6detail15normal_iteratorINSA_10device_ptrIjEEEEPS6_NSA_18transform_iteratorI7is_evenIjESF_NSA_11use_defaultESK_EENS0_5tupleIJNSA_16discard_iteratorISK_EESO_EEENSM_IJSG_SG_EEES6_PlJS6_EEE10hipError_tPvRmT3_T4_T5_T6_T7_T9_mT8_P12ihipStream_tbDpT10_ENKUlT_T0_E_clISt17integral_constantIbLb0EES1B_EEDaS16_S17_EUlS16_E_NS1_11comp_targetILNS1_3genE4ELNS1_11target_archE910ELNS1_3gpuE8ELNS1_3repE0EEENS1_30default_config_static_selectorELNS0_4arch9wavefront6targetE1EEEvT1_
	.p2align	8
	.type	_ZN7rocprim17ROCPRIM_400000_NS6detail17trampoline_kernelINS0_14default_configENS1_25partition_config_selectorILNS1_17partition_subalgoE1EjNS0_10empty_typeEbEEZZNS1_14partition_implILS5_1ELb0ES3_jN6thrust23THRUST_200600_302600_NS6detail15normal_iteratorINSA_10device_ptrIjEEEEPS6_NSA_18transform_iteratorI7is_evenIjESF_NSA_11use_defaultESK_EENS0_5tupleIJNSA_16discard_iteratorISK_EESO_EEENSM_IJSG_SG_EEES6_PlJS6_EEE10hipError_tPvRmT3_T4_T5_T6_T7_T9_mT8_P12ihipStream_tbDpT10_ENKUlT_T0_E_clISt17integral_constantIbLb0EES1B_EEDaS16_S17_EUlS16_E_NS1_11comp_targetILNS1_3genE4ELNS1_11target_archE910ELNS1_3gpuE8ELNS1_3repE0EEENS1_30default_config_static_selectorELNS0_4arch9wavefront6targetE1EEEvT1_,@function
_ZN7rocprim17ROCPRIM_400000_NS6detail17trampoline_kernelINS0_14default_configENS1_25partition_config_selectorILNS1_17partition_subalgoE1EjNS0_10empty_typeEbEEZZNS1_14partition_implILS5_1ELb0ES3_jN6thrust23THRUST_200600_302600_NS6detail15normal_iteratorINSA_10device_ptrIjEEEEPS6_NSA_18transform_iteratorI7is_evenIjESF_NSA_11use_defaultESK_EENS0_5tupleIJNSA_16discard_iteratorISK_EESO_EEENSM_IJSG_SG_EEES6_PlJS6_EEE10hipError_tPvRmT3_T4_T5_T6_T7_T9_mT8_P12ihipStream_tbDpT10_ENKUlT_T0_E_clISt17integral_constantIbLb0EES1B_EEDaS16_S17_EUlS16_E_NS1_11comp_targetILNS1_3genE4ELNS1_11target_archE910ELNS1_3gpuE8ELNS1_3repE0EEENS1_30default_config_static_selectorELNS0_4arch9wavefront6targetE1EEEvT1_: ; @_ZN7rocprim17ROCPRIM_400000_NS6detail17trampoline_kernelINS0_14default_configENS1_25partition_config_selectorILNS1_17partition_subalgoE1EjNS0_10empty_typeEbEEZZNS1_14partition_implILS5_1ELb0ES3_jN6thrust23THRUST_200600_302600_NS6detail15normal_iteratorINSA_10device_ptrIjEEEEPS6_NSA_18transform_iteratorI7is_evenIjESF_NSA_11use_defaultESK_EENS0_5tupleIJNSA_16discard_iteratorISK_EESO_EEENSM_IJSG_SG_EEES6_PlJS6_EEE10hipError_tPvRmT3_T4_T5_T6_T7_T9_mT8_P12ihipStream_tbDpT10_ENKUlT_T0_E_clISt17integral_constantIbLb0EES1B_EEDaS16_S17_EUlS16_E_NS1_11comp_targetILNS1_3genE4ELNS1_11target_archE910ELNS1_3gpuE8ELNS1_3repE0EEENS1_30default_config_static_selectorELNS0_4arch9wavefront6targetE1EEEvT1_
; %bb.0:
	.section	.rodata,"a",@progbits
	.p2align	6, 0x0
	.amdhsa_kernel _ZN7rocprim17ROCPRIM_400000_NS6detail17trampoline_kernelINS0_14default_configENS1_25partition_config_selectorILNS1_17partition_subalgoE1EjNS0_10empty_typeEbEEZZNS1_14partition_implILS5_1ELb0ES3_jN6thrust23THRUST_200600_302600_NS6detail15normal_iteratorINSA_10device_ptrIjEEEEPS6_NSA_18transform_iteratorI7is_evenIjESF_NSA_11use_defaultESK_EENS0_5tupleIJNSA_16discard_iteratorISK_EESO_EEENSM_IJSG_SG_EEES6_PlJS6_EEE10hipError_tPvRmT3_T4_T5_T6_T7_T9_mT8_P12ihipStream_tbDpT10_ENKUlT_T0_E_clISt17integral_constantIbLb0EES1B_EEDaS16_S17_EUlS16_E_NS1_11comp_targetILNS1_3genE4ELNS1_11target_archE910ELNS1_3gpuE8ELNS1_3repE0EEENS1_30default_config_static_selectorELNS0_4arch9wavefront6targetE1EEEvT1_
		.amdhsa_group_segment_fixed_size 0
		.amdhsa_private_segment_fixed_size 0
		.amdhsa_kernarg_size 144
		.amdhsa_user_sgpr_count 2
		.amdhsa_user_sgpr_dispatch_ptr 0
		.amdhsa_user_sgpr_queue_ptr 0
		.amdhsa_user_sgpr_kernarg_segment_ptr 1
		.amdhsa_user_sgpr_dispatch_id 0
		.amdhsa_user_sgpr_kernarg_preload_length 0
		.amdhsa_user_sgpr_kernarg_preload_offset 0
		.amdhsa_user_sgpr_private_segment_size 0
		.amdhsa_uses_dynamic_stack 0
		.amdhsa_enable_private_segment 0
		.amdhsa_system_sgpr_workgroup_id_x 1
		.amdhsa_system_sgpr_workgroup_id_y 0
		.amdhsa_system_sgpr_workgroup_id_z 0
		.amdhsa_system_sgpr_workgroup_info 0
		.amdhsa_system_vgpr_workitem_id 0
		.amdhsa_next_free_vgpr 1
		.amdhsa_next_free_sgpr 0
		.amdhsa_accum_offset 4
		.amdhsa_reserve_vcc 0
		.amdhsa_float_round_mode_32 0
		.amdhsa_float_round_mode_16_64 0
		.amdhsa_float_denorm_mode_32 3
		.amdhsa_float_denorm_mode_16_64 3
		.amdhsa_dx10_clamp 1
		.amdhsa_ieee_mode 1
		.amdhsa_fp16_overflow 0
		.amdhsa_tg_split 0
		.amdhsa_exception_fp_ieee_invalid_op 0
		.amdhsa_exception_fp_denorm_src 0
		.amdhsa_exception_fp_ieee_div_zero 0
		.amdhsa_exception_fp_ieee_overflow 0
		.amdhsa_exception_fp_ieee_underflow 0
		.amdhsa_exception_fp_ieee_inexact 0
		.amdhsa_exception_int_div_zero 0
	.end_amdhsa_kernel
	.section	.text._ZN7rocprim17ROCPRIM_400000_NS6detail17trampoline_kernelINS0_14default_configENS1_25partition_config_selectorILNS1_17partition_subalgoE1EjNS0_10empty_typeEbEEZZNS1_14partition_implILS5_1ELb0ES3_jN6thrust23THRUST_200600_302600_NS6detail15normal_iteratorINSA_10device_ptrIjEEEEPS6_NSA_18transform_iteratorI7is_evenIjESF_NSA_11use_defaultESK_EENS0_5tupleIJNSA_16discard_iteratorISK_EESO_EEENSM_IJSG_SG_EEES6_PlJS6_EEE10hipError_tPvRmT3_T4_T5_T6_T7_T9_mT8_P12ihipStream_tbDpT10_ENKUlT_T0_E_clISt17integral_constantIbLb0EES1B_EEDaS16_S17_EUlS16_E_NS1_11comp_targetILNS1_3genE4ELNS1_11target_archE910ELNS1_3gpuE8ELNS1_3repE0EEENS1_30default_config_static_selectorELNS0_4arch9wavefront6targetE1EEEvT1_,"axG",@progbits,_ZN7rocprim17ROCPRIM_400000_NS6detail17trampoline_kernelINS0_14default_configENS1_25partition_config_selectorILNS1_17partition_subalgoE1EjNS0_10empty_typeEbEEZZNS1_14partition_implILS5_1ELb0ES3_jN6thrust23THRUST_200600_302600_NS6detail15normal_iteratorINSA_10device_ptrIjEEEEPS6_NSA_18transform_iteratorI7is_evenIjESF_NSA_11use_defaultESK_EENS0_5tupleIJNSA_16discard_iteratorISK_EESO_EEENSM_IJSG_SG_EEES6_PlJS6_EEE10hipError_tPvRmT3_T4_T5_T6_T7_T9_mT8_P12ihipStream_tbDpT10_ENKUlT_T0_E_clISt17integral_constantIbLb0EES1B_EEDaS16_S17_EUlS16_E_NS1_11comp_targetILNS1_3genE4ELNS1_11target_archE910ELNS1_3gpuE8ELNS1_3repE0EEENS1_30default_config_static_selectorELNS0_4arch9wavefront6targetE1EEEvT1_,comdat
.Lfunc_end2973:
	.size	_ZN7rocprim17ROCPRIM_400000_NS6detail17trampoline_kernelINS0_14default_configENS1_25partition_config_selectorILNS1_17partition_subalgoE1EjNS0_10empty_typeEbEEZZNS1_14partition_implILS5_1ELb0ES3_jN6thrust23THRUST_200600_302600_NS6detail15normal_iteratorINSA_10device_ptrIjEEEEPS6_NSA_18transform_iteratorI7is_evenIjESF_NSA_11use_defaultESK_EENS0_5tupleIJNSA_16discard_iteratorISK_EESO_EEENSM_IJSG_SG_EEES6_PlJS6_EEE10hipError_tPvRmT3_T4_T5_T6_T7_T9_mT8_P12ihipStream_tbDpT10_ENKUlT_T0_E_clISt17integral_constantIbLb0EES1B_EEDaS16_S17_EUlS16_E_NS1_11comp_targetILNS1_3genE4ELNS1_11target_archE910ELNS1_3gpuE8ELNS1_3repE0EEENS1_30default_config_static_selectorELNS0_4arch9wavefront6targetE1EEEvT1_, .Lfunc_end2973-_ZN7rocprim17ROCPRIM_400000_NS6detail17trampoline_kernelINS0_14default_configENS1_25partition_config_selectorILNS1_17partition_subalgoE1EjNS0_10empty_typeEbEEZZNS1_14partition_implILS5_1ELb0ES3_jN6thrust23THRUST_200600_302600_NS6detail15normal_iteratorINSA_10device_ptrIjEEEEPS6_NSA_18transform_iteratorI7is_evenIjESF_NSA_11use_defaultESK_EENS0_5tupleIJNSA_16discard_iteratorISK_EESO_EEENSM_IJSG_SG_EEES6_PlJS6_EEE10hipError_tPvRmT3_T4_T5_T6_T7_T9_mT8_P12ihipStream_tbDpT10_ENKUlT_T0_E_clISt17integral_constantIbLb0EES1B_EEDaS16_S17_EUlS16_E_NS1_11comp_targetILNS1_3genE4ELNS1_11target_archE910ELNS1_3gpuE8ELNS1_3repE0EEENS1_30default_config_static_selectorELNS0_4arch9wavefront6targetE1EEEvT1_
                                        ; -- End function
	.section	.AMDGPU.csdata,"",@progbits
; Kernel info:
; codeLenInByte = 0
; NumSgprs: 6
; NumVgprs: 0
; NumAgprs: 0
; TotalNumVgprs: 0
; ScratchSize: 0
; MemoryBound: 0
; FloatMode: 240
; IeeeMode: 1
; LDSByteSize: 0 bytes/workgroup (compile time only)
; SGPRBlocks: 0
; VGPRBlocks: 0
; NumSGPRsForWavesPerEU: 6
; NumVGPRsForWavesPerEU: 1
; AccumOffset: 4
; Occupancy: 8
; WaveLimiterHint : 0
; COMPUTE_PGM_RSRC2:SCRATCH_EN: 0
; COMPUTE_PGM_RSRC2:USER_SGPR: 2
; COMPUTE_PGM_RSRC2:TRAP_HANDLER: 0
; COMPUTE_PGM_RSRC2:TGID_X_EN: 1
; COMPUTE_PGM_RSRC2:TGID_Y_EN: 0
; COMPUTE_PGM_RSRC2:TGID_Z_EN: 0
; COMPUTE_PGM_RSRC2:TIDIG_COMP_CNT: 0
; COMPUTE_PGM_RSRC3_GFX90A:ACCUM_OFFSET: 0
; COMPUTE_PGM_RSRC3_GFX90A:TG_SPLIT: 0
	.section	.text._ZN7rocprim17ROCPRIM_400000_NS6detail17trampoline_kernelINS0_14default_configENS1_25partition_config_selectorILNS1_17partition_subalgoE1EjNS0_10empty_typeEbEEZZNS1_14partition_implILS5_1ELb0ES3_jN6thrust23THRUST_200600_302600_NS6detail15normal_iteratorINSA_10device_ptrIjEEEEPS6_NSA_18transform_iteratorI7is_evenIjESF_NSA_11use_defaultESK_EENS0_5tupleIJNSA_16discard_iteratorISK_EESO_EEENSM_IJSG_SG_EEES6_PlJS6_EEE10hipError_tPvRmT3_T4_T5_T6_T7_T9_mT8_P12ihipStream_tbDpT10_ENKUlT_T0_E_clISt17integral_constantIbLb0EES1B_EEDaS16_S17_EUlS16_E_NS1_11comp_targetILNS1_3genE3ELNS1_11target_archE908ELNS1_3gpuE7ELNS1_3repE0EEENS1_30default_config_static_selectorELNS0_4arch9wavefront6targetE1EEEvT1_,"axG",@progbits,_ZN7rocprim17ROCPRIM_400000_NS6detail17trampoline_kernelINS0_14default_configENS1_25partition_config_selectorILNS1_17partition_subalgoE1EjNS0_10empty_typeEbEEZZNS1_14partition_implILS5_1ELb0ES3_jN6thrust23THRUST_200600_302600_NS6detail15normal_iteratorINSA_10device_ptrIjEEEEPS6_NSA_18transform_iteratorI7is_evenIjESF_NSA_11use_defaultESK_EENS0_5tupleIJNSA_16discard_iteratorISK_EESO_EEENSM_IJSG_SG_EEES6_PlJS6_EEE10hipError_tPvRmT3_T4_T5_T6_T7_T9_mT8_P12ihipStream_tbDpT10_ENKUlT_T0_E_clISt17integral_constantIbLb0EES1B_EEDaS16_S17_EUlS16_E_NS1_11comp_targetILNS1_3genE3ELNS1_11target_archE908ELNS1_3gpuE7ELNS1_3repE0EEENS1_30default_config_static_selectorELNS0_4arch9wavefront6targetE1EEEvT1_,comdat
	.protected	_ZN7rocprim17ROCPRIM_400000_NS6detail17trampoline_kernelINS0_14default_configENS1_25partition_config_selectorILNS1_17partition_subalgoE1EjNS0_10empty_typeEbEEZZNS1_14partition_implILS5_1ELb0ES3_jN6thrust23THRUST_200600_302600_NS6detail15normal_iteratorINSA_10device_ptrIjEEEEPS6_NSA_18transform_iteratorI7is_evenIjESF_NSA_11use_defaultESK_EENS0_5tupleIJNSA_16discard_iteratorISK_EESO_EEENSM_IJSG_SG_EEES6_PlJS6_EEE10hipError_tPvRmT3_T4_T5_T6_T7_T9_mT8_P12ihipStream_tbDpT10_ENKUlT_T0_E_clISt17integral_constantIbLb0EES1B_EEDaS16_S17_EUlS16_E_NS1_11comp_targetILNS1_3genE3ELNS1_11target_archE908ELNS1_3gpuE7ELNS1_3repE0EEENS1_30default_config_static_selectorELNS0_4arch9wavefront6targetE1EEEvT1_ ; -- Begin function _ZN7rocprim17ROCPRIM_400000_NS6detail17trampoline_kernelINS0_14default_configENS1_25partition_config_selectorILNS1_17partition_subalgoE1EjNS0_10empty_typeEbEEZZNS1_14partition_implILS5_1ELb0ES3_jN6thrust23THRUST_200600_302600_NS6detail15normal_iteratorINSA_10device_ptrIjEEEEPS6_NSA_18transform_iteratorI7is_evenIjESF_NSA_11use_defaultESK_EENS0_5tupleIJNSA_16discard_iteratorISK_EESO_EEENSM_IJSG_SG_EEES6_PlJS6_EEE10hipError_tPvRmT3_T4_T5_T6_T7_T9_mT8_P12ihipStream_tbDpT10_ENKUlT_T0_E_clISt17integral_constantIbLb0EES1B_EEDaS16_S17_EUlS16_E_NS1_11comp_targetILNS1_3genE3ELNS1_11target_archE908ELNS1_3gpuE7ELNS1_3repE0EEENS1_30default_config_static_selectorELNS0_4arch9wavefront6targetE1EEEvT1_
	.globl	_ZN7rocprim17ROCPRIM_400000_NS6detail17trampoline_kernelINS0_14default_configENS1_25partition_config_selectorILNS1_17partition_subalgoE1EjNS0_10empty_typeEbEEZZNS1_14partition_implILS5_1ELb0ES3_jN6thrust23THRUST_200600_302600_NS6detail15normal_iteratorINSA_10device_ptrIjEEEEPS6_NSA_18transform_iteratorI7is_evenIjESF_NSA_11use_defaultESK_EENS0_5tupleIJNSA_16discard_iteratorISK_EESO_EEENSM_IJSG_SG_EEES6_PlJS6_EEE10hipError_tPvRmT3_T4_T5_T6_T7_T9_mT8_P12ihipStream_tbDpT10_ENKUlT_T0_E_clISt17integral_constantIbLb0EES1B_EEDaS16_S17_EUlS16_E_NS1_11comp_targetILNS1_3genE3ELNS1_11target_archE908ELNS1_3gpuE7ELNS1_3repE0EEENS1_30default_config_static_selectorELNS0_4arch9wavefront6targetE1EEEvT1_
	.p2align	8
	.type	_ZN7rocprim17ROCPRIM_400000_NS6detail17trampoline_kernelINS0_14default_configENS1_25partition_config_selectorILNS1_17partition_subalgoE1EjNS0_10empty_typeEbEEZZNS1_14partition_implILS5_1ELb0ES3_jN6thrust23THRUST_200600_302600_NS6detail15normal_iteratorINSA_10device_ptrIjEEEEPS6_NSA_18transform_iteratorI7is_evenIjESF_NSA_11use_defaultESK_EENS0_5tupleIJNSA_16discard_iteratorISK_EESO_EEENSM_IJSG_SG_EEES6_PlJS6_EEE10hipError_tPvRmT3_T4_T5_T6_T7_T9_mT8_P12ihipStream_tbDpT10_ENKUlT_T0_E_clISt17integral_constantIbLb0EES1B_EEDaS16_S17_EUlS16_E_NS1_11comp_targetILNS1_3genE3ELNS1_11target_archE908ELNS1_3gpuE7ELNS1_3repE0EEENS1_30default_config_static_selectorELNS0_4arch9wavefront6targetE1EEEvT1_,@function
_ZN7rocprim17ROCPRIM_400000_NS6detail17trampoline_kernelINS0_14default_configENS1_25partition_config_selectorILNS1_17partition_subalgoE1EjNS0_10empty_typeEbEEZZNS1_14partition_implILS5_1ELb0ES3_jN6thrust23THRUST_200600_302600_NS6detail15normal_iteratorINSA_10device_ptrIjEEEEPS6_NSA_18transform_iteratorI7is_evenIjESF_NSA_11use_defaultESK_EENS0_5tupleIJNSA_16discard_iteratorISK_EESO_EEENSM_IJSG_SG_EEES6_PlJS6_EEE10hipError_tPvRmT3_T4_T5_T6_T7_T9_mT8_P12ihipStream_tbDpT10_ENKUlT_T0_E_clISt17integral_constantIbLb0EES1B_EEDaS16_S17_EUlS16_E_NS1_11comp_targetILNS1_3genE3ELNS1_11target_archE908ELNS1_3gpuE7ELNS1_3repE0EEENS1_30default_config_static_selectorELNS0_4arch9wavefront6targetE1EEEvT1_: ; @_ZN7rocprim17ROCPRIM_400000_NS6detail17trampoline_kernelINS0_14default_configENS1_25partition_config_selectorILNS1_17partition_subalgoE1EjNS0_10empty_typeEbEEZZNS1_14partition_implILS5_1ELb0ES3_jN6thrust23THRUST_200600_302600_NS6detail15normal_iteratorINSA_10device_ptrIjEEEEPS6_NSA_18transform_iteratorI7is_evenIjESF_NSA_11use_defaultESK_EENS0_5tupleIJNSA_16discard_iteratorISK_EESO_EEENSM_IJSG_SG_EEES6_PlJS6_EEE10hipError_tPvRmT3_T4_T5_T6_T7_T9_mT8_P12ihipStream_tbDpT10_ENKUlT_T0_E_clISt17integral_constantIbLb0EES1B_EEDaS16_S17_EUlS16_E_NS1_11comp_targetILNS1_3genE3ELNS1_11target_archE908ELNS1_3gpuE7ELNS1_3repE0EEENS1_30default_config_static_selectorELNS0_4arch9wavefront6targetE1EEEvT1_
; %bb.0:
	.section	.rodata,"a",@progbits
	.p2align	6, 0x0
	.amdhsa_kernel _ZN7rocprim17ROCPRIM_400000_NS6detail17trampoline_kernelINS0_14default_configENS1_25partition_config_selectorILNS1_17partition_subalgoE1EjNS0_10empty_typeEbEEZZNS1_14partition_implILS5_1ELb0ES3_jN6thrust23THRUST_200600_302600_NS6detail15normal_iteratorINSA_10device_ptrIjEEEEPS6_NSA_18transform_iteratorI7is_evenIjESF_NSA_11use_defaultESK_EENS0_5tupleIJNSA_16discard_iteratorISK_EESO_EEENSM_IJSG_SG_EEES6_PlJS6_EEE10hipError_tPvRmT3_T4_T5_T6_T7_T9_mT8_P12ihipStream_tbDpT10_ENKUlT_T0_E_clISt17integral_constantIbLb0EES1B_EEDaS16_S17_EUlS16_E_NS1_11comp_targetILNS1_3genE3ELNS1_11target_archE908ELNS1_3gpuE7ELNS1_3repE0EEENS1_30default_config_static_selectorELNS0_4arch9wavefront6targetE1EEEvT1_
		.amdhsa_group_segment_fixed_size 0
		.amdhsa_private_segment_fixed_size 0
		.amdhsa_kernarg_size 144
		.amdhsa_user_sgpr_count 2
		.amdhsa_user_sgpr_dispatch_ptr 0
		.amdhsa_user_sgpr_queue_ptr 0
		.amdhsa_user_sgpr_kernarg_segment_ptr 1
		.amdhsa_user_sgpr_dispatch_id 0
		.amdhsa_user_sgpr_kernarg_preload_length 0
		.amdhsa_user_sgpr_kernarg_preload_offset 0
		.amdhsa_user_sgpr_private_segment_size 0
		.amdhsa_uses_dynamic_stack 0
		.amdhsa_enable_private_segment 0
		.amdhsa_system_sgpr_workgroup_id_x 1
		.amdhsa_system_sgpr_workgroup_id_y 0
		.amdhsa_system_sgpr_workgroup_id_z 0
		.amdhsa_system_sgpr_workgroup_info 0
		.amdhsa_system_vgpr_workitem_id 0
		.amdhsa_next_free_vgpr 1
		.amdhsa_next_free_sgpr 0
		.amdhsa_accum_offset 4
		.amdhsa_reserve_vcc 0
		.amdhsa_float_round_mode_32 0
		.amdhsa_float_round_mode_16_64 0
		.amdhsa_float_denorm_mode_32 3
		.amdhsa_float_denorm_mode_16_64 3
		.amdhsa_dx10_clamp 1
		.amdhsa_ieee_mode 1
		.amdhsa_fp16_overflow 0
		.amdhsa_tg_split 0
		.amdhsa_exception_fp_ieee_invalid_op 0
		.amdhsa_exception_fp_denorm_src 0
		.amdhsa_exception_fp_ieee_div_zero 0
		.amdhsa_exception_fp_ieee_overflow 0
		.amdhsa_exception_fp_ieee_underflow 0
		.amdhsa_exception_fp_ieee_inexact 0
		.amdhsa_exception_int_div_zero 0
	.end_amdhsa_kernel
	.section	.text._ZN7rocprim17ROCPRIM_400000_NS6detail17trampoline_kernelINS0_14default_configENS1_25partition_config_selectorILNS1_17partition_subalgoE1EjNS0_10empty_typeEbEEZZNS1_14partition_implILS5_1ELb0ES3_jN6thrust23THRUST_200600_302600_NS6detail15normal_iteratorINSA_10device_ptrIjEEEEPS6_NSA_18transform_iteratorI7is_evenIjESF_NSA_11use_defaultESK_EENS0_5tupleIJNSA_16discard_iteratorISK_EESO_EEENSM_IJSG_SG_EEES6_PlJS6_EEE10hipError_tPvRmT3_T4_T5_T6_T7_T9_mT8_P12ihipStream_tbDpT10_ENKUlT_T0_E_clISt17integral_constantIbLb0EES1B_EEDaS16_S17_EUlS16_E_NS1_11comp_targetILNS1_3genE3ELNS1_11target_archE908ELNS1_3gpuE7ELNS1_3repE0EEENS1_30default_config_static_selectorELNS0_4arch9wavefront6targetE1EEEvT1_,"axG",@progbits,_ZN7rocprim17ROCPRIM_400000_NS6detail17trampoline_kernelINS0_14default_configENS1_25partition_config_selectorILNS1_17partition_subalgoE1EjNS0_10empty_typeEbEEZZNS1_14partition_implILS5_1ELb0ES3_jN6thrust23THRUST_200600_302600_NS6detail15normal_iteratorINSA_10device_ptrIjEEEEPS6_NSA_18transform_iteratorI7is_evenIjESF_NSA_11use_defaultESK_EENS0_5tupleIJNSA_16discard_iteratorISK_EESO_EEENSM_IJSG_SG_EEES6_PlJS6_EEE10hipError_tPvRmT3_T4_T5_T6_T7_T9_mT8_P12ihipStream_tbDpT10_ENKUlT_T0_E_clISt17integral_constantIbLb0EES1B_EEDaS16_S17_EUlS16_E_NS1_11comp_targetILNS1_3genE3ELNS1_11target_archE908ELNS1_3gpuE7ELNS1_3repE0EEENS1_30default_config_static_selectorELNS0_4arch9wavefront6targetE1EEEvT1_,comdat
.Lfunc_end2974:
	.size	_ZN7rocprim17ROCPRIM_400000_NS6detail17trampoline_kernelINS0_14default_configENS1_25partition_config_selectorILNS1_17partition_subalgoE1EjNS0_10empty_typeEbEEZZNS1_14partition_implILS5_1ELb0ES3_jN6thrust23THRUST_200600_302600_NS6detail15normal_iteratorINSA_10device_ptrIjEEEEPS6_NSA_18transform_iteratorI7is_evenIjESF_NSA_11use_defaultESK_EENS0_5tupleIJNSA_16discard_iteratorISK_EESO_EEENSM_IJSG_SG_EEES6_PlJS6_EEE10hipError_tPvRmT3_T4_T5_T6_T7_T9_mT8_P12ihipStream_tbDpT10_ENKUlT_T0_E_clISt17integral_constantIbLb0EES1B_EEDaS16_S17_EUlS16_E_NS1_11comp_targetILNS1_3genE3ELNS1_11target_archE908ELNS1_3gpuE7ELNS1_3repE0EEENS1_30default_config_static_selectorELNS0_4arch9wavefront6targetE1EEEvT1_, .Lfunc_end2974-_ZN7rocprim17ROCPRIM_400000_NS6detail17trampoline_kernelINS0_14default_configENS1_25partition_config_selectorILNS1_17partition_subalgoE1EjNS0_10empty_typeEbEEZZNS1_14partition_implILS5_1ELb0ES3_jN6thrust23THRUST_200600_302600_NS6detail15normal_iteratorINSA_10device_ptrIjEEEEPS6_NSA_18transform_iteratorI7is_evenIjESF_NSA_11use_defaultESK_EENS0_5tupleIJNSA_16discard_iteratorISK_EESO_EEENSM_IJSG_SG_EEES6_PlJS6_EEE10hipError_tPvRmT3_T4_T5_T6_T7_T9_mT8_P12ihipStream_tbDpT10_ENKUlT_T0_E_clISt17integral_constantIbLb0EES1B_EEDaS16_S17_EUlS16_E_NS1_11comp_targetILNS1_3genE3ELNS1_11target_archE908ELNS1_3gpuE7ELNS1_3repE0EEENS1_30default_config_static_selectorELNS0_4arch9wavefront6targetE1EEEvT1_
                                        ; -- End function
	.section	.AMDGPU.csdata,"",@progbits
; Kernel info:
; codeLenInByte = 0
; NumSgprs: 6
; NumVgprs: 0
; NumAgprs: 0
; TotalNumVgprs: 0
; ScratchSize: 0
; MemoryBound: 0
; FloatMode: 240
; IeeeMode: 1
; LDSByteSize: 0 bytes/workgroup (compile time only)
; SGPRBlocks: 0
; VGPRBlocks: 0
; NumSGPRsForWavesPerEU: 6
; NumVGPRsForWavesPerEU: 1
; AccumOffset: 4
; Occupancy: 8
; WaveLimiterHint : 0
; COMPUTE_PGM_RSRC2:SCRATCH_EN: 0
; COMPUTE_PGM_RSRC2:USER_SGPR: 2
; COMPUTE_PGM_RSRC2:TRAP_HANDLER: 0
; COMPUTE_PGM_RSRC2:TGID_X_EN: 1
; COMPUTE_PGM_RSRC2:TGID_Y_EN: 0
; COMPUTE_PGM_RSRC2:TGID_Z_EN: 0
; COMPUTE_PGM_RSRC2:TIDIG_COMP_CNT: 0
; COMPUTE_PGM_RSRC3_GFX90A:ACCUM_OFFSET: 0
; COMPUTE_PGM_RSRC3_GFX90A:TG_SPLIT: 0
	.section	.text._ZN7rocprim17ROCPRIM_400000_NS6detail17trampoline_kernelINS0_14default_configENS1_25partition_config_selectorILNS1_17partition_subalgoE1EjNS0_10empty_typeEbEEZZNS1_14partition_implILS5_1ELb0ES3_jN6thrust23THRUST_200600_302600_NS6detail15normal_iteratorINSA_10device_ptrIjEEEEPS6_NSA_18transform_iteratorI7is_evenIjESF_NSA_11use_defaultESK_EENS0_5tupleIJNSA_16discard_iteratorISK_EESO_EEENSM_IJSG_SG_EEES6_PlJS6_EEE10hipError_tPvRmT3_T4_T5_T6_T7_T9_mT8_P12ihipStream_tbDpT10_ENKUlT_T0_E_clISt17integral_constantIbLb0EES1B_EEDaS16_S17_EUlS16_E_NS1_11comp_targetILNS1_3genE2ELNS1_11target_archE906ELNS1_3gpuE6ELNS1_3repE0EEENS1_30default_config_static_selectorELNS0_4arch9wavefront6targetE1EEEvT1_,"axG",@progbits,_ZN7rocprim17ROCPRIM_400000_NS6detail17trampoline_kernelINS0_14default_configENS1_25partition_config_selectorILNS1_17partition_subalgoE1EjNS0_10empty_typeEbEEZZNS1_14partition_implILS5_1ELb0ES3_jN6thrust23THRUST_200600_302600_NS6detail15normal_iteratorINSA_10device_ptrIjEEEEPS6_NSA_18transform_iteratorI7is_evenIjESF_NSA_11use_defaultESK_EENS0_5tupleIJNSA_16discard_iteratorISK_EESO_EEENSM_IJSG_SG_EEES6_PlJS6_EEE10hipError_tPvRmT3_T4_T5_T6_T7_T9_mT8_P12ihipStream_tbDpT10_ENKUlT_T0_E_clISt17integral_constantIbLb0EES1B_EEDaS16_S17_EUlS16_E_NS1_11comp_targetILNS1_3genE2ELNS1_11target_archE906ELNS1_3gpuE6ELNS1_3repE0EEENS1_30default_config_static_selectorELNS0_4arch9wavefront6targetE1EEEvT1_,comdat
	.protected	_ZN7rocprim17ROCPRIM_400000_NS6detail17trampoline_kernelINS0_14default_configENS1_25partition_config_selectorILNS1_17partition_subalgoE1EjNS0_10empty_typeEbEEZZNS1_14partition_implILS5_1ELb0ES3_jN6thrust23THRUST_200600_302600_NS6detail15normal_iteratorINSA_10device_ptrIjEEEEPS6_NSA_18transform_iteratorI7is_evenIjESF_NSA_11use_defaultESK_EENS0_5tupleIJNSA_16discard_iteratorISK_EESO_EEENSM_IJSG_SG_EEES6_PlJS6_EEE10hipError_tPvRmT3_T4_T5_T6_T7_T9_mT8_P12ihipStream_tbDpT10_ENKUlT_T0_E_clISt17integral_constantIbLb0EES1B_EEDaS16_S17_EUlS16_E_NS1_11comp_targetILNS1_3genE2ELNS1_11target_archE906ELNS1_3gpuE6ELNS1_3repE0EEENS1_30default_config_static_selectorELNS0_4arch9wavefront6targetE1EEEvT1_ ; -- Begin function _ZN7rocprim17ROCPRIM_400000_NS6detail17trampoline_kernelINS0_14default_configENS1_25partition_config_selectorILNS1_17partition_subalgoE1EjNS0_10empty_typeEbEEZZNS1_14partition_implILS5_1ELb0ES3_jN6thrust23THRUST_200600_302600_NS6detail15normal_iteratorINSA_10device_ptrIjEEEEPS6_NSA_18transform_iteratorI7is_evenIjESF_NSA_11use_defaultESK_EENS0_5tupleIJNSA_16discard_iteratorISK_EESO_EEENSM_IJSG_SG_EEES6_PlJS6_EEE10hipError_tPvRmT3_T4_T5_T6_T7_T9_mT8_P12ihipStream_tbDpT10_ENKUlT_T0_E_clISt17integral_constantIbLb0EES1B_EEDaS16_S17_EUlS16_E_NS1_11comp_targetILNS1_3genE2ELNS1_11target_archE906ELNS1_3gpuE6ELNS1_3repE0EEENS1_30default_config_static_selectorELNS0_4arch9wavefront6targetE1EEEvT1_
	.globl	_ZN7rocprim17ROCPRIM_400000_NS6detail17trampoline_kernelINS0_14default_configENS1_25partition_config_selectorILNS1_17partition_subalgoE1EjNS0_10empty_typeEbEEZZNS1_14partition_implILS5_1ELb0ES3_jN6thrust23THRUST_200600_302600_NS6detail15normal_iteratorINSA_10device_ptrIjEEEEPS6_NSA_18transform_iteratorI7is_evenIjESF_NSA_11use_defaultESK_EENS0_5tupleIJNSA_16discard_iteratorISK_EESO_EEENSM_IJSG_SG_EEES6_PlJS6_EEE10hipError_tPvRmT3_T4_T5_T6_T7_T9_mT8_P12ihipStream_tbDpT10_ENKUlT_T0_E_clISt17integral_constantIbLb0EES1B_EEDaS16_S17_EUlS16_E_NS1_11comp_targetILNS1_3genE2ELNS1_11target_archE906ELNS1_3gpuE6ELNS1_3repE0EEENS1_30default_config_static_selectorELNS0_4arch9wavefront6targetE1EEEvT1_
	.p2align	8
	.type	_ZN7rocprim17ROCPRIM_400000_NS6detail17trampoline_kernelINS0_14default_configENS1_25partition_config_selectorILNS1_17partition_subalgoE1EjNS0_10empty_typeEbEEZZNS1_14partition_implILS5_1ELb0ES3_jN6thrust23THRUST_200600_302600_NS6detail15normal_iteratorINSA_10device_ptrIjEEEEPS6_NSA_18transform_iteratorI7is_evenIjESF_NSA_11use_defaultESK_EENS0_5tupleIJNSA_16discard_iteratorISK_EESO_EEENSM_IJSG_SG_EEES6_PlJS6_EEE10hipError_tPvRmT3_T4_T5_T6_T7_T9_mT8_P12ihipStream_tbDpT10_ENKUlT_T0_E_clISt17integral_constantIbLb0EES1B_EEDaS16_S17_EUlS16_E_NS1_11comp_targetILNS1_3genE2ELNS1_11target_archE906ELNS1_3gpuE6ELNS1_3repE0EEENS1_30default_config_static_selectorELNS0_4arch9wavefront6targetE1EEEvT1_,@function
_ZN7rocprim17ROCPRIM_400000_NS6detail17trampoline_kernelINS0_14default_configENS1_25partition_config_selectorILNS1_17partition_subalgoE1EjNS0_10empty_typeEbEEZZNS1_14partition_implILS5_1ELb0ES3_jN6thrust23THRUST_200600_302600_NS6detail15normal_iteratorINSA_10device_ptrIjEEEEPS6_NSA_18transform_iteratorI7is_evenIjESF_NSA_11use_defaultESK_EENS0_5tupleIJNSA_16discard_iteratorISK_EESO_EEENSM_IJSG_SG_EEES6_PlJS6_EEE10hipError_tPvRmT3_T4_T5_T6_T7_T9_mT8_P12ihipStream_tbDpT10_ENKUlT_T0_E_clISt17integral_constantIbLb0EES1B_EEDaS16_S17_EUlS16_E_NS1_11comp_targetILNS1_3genE2ELNS1_11target_archE906ELNS1_3gpuE6ELNS1_3repE0EEENS1_30default_config_static_selectorELNS0_4arch9wavefront6targetE1EEEvT1_: ; @_ZN7rocprim17ROCPRIM_400000_NS6detail17trampoline_kernelINS0_14default_configENS1_25partition_config_selectorILNS1_17partition_subalgoE1EjNS0_10empty_typeEbEEZZNS1_14partition_implILS5_1ELb0ES3_jN6thrust23THRUST_200600_302600_NS6detail15normal_iteratorINSA_10device_ptrIjEEEEPS6_NSA_18transform_iteratorI7is_evenIjESF_NSA_11use_defaultESK_EENS0_5tupleIJNSA_16discard_iteratorISK_EESO_EEENSM_IJSG_SG_EEES6_PlJS6_EEE10hipError_tPvRmT3_T4_T5_T6_T7_T9_mT8_P12ihipStream_tbDpT10_ENKUlT_T0_E_clISt17integral_constantIbLb0EES1B_EEDaS16_S17_EUlS16_E_NS1_11comp_targetILNS1_3genE2ELNS1_11target_archE906ELNS1_3gpuE6ELNS1_3repE0EEENS1_30default_config_static_selectorELNS0_4arch9wavefront6targetE1EEEvT1_
; %bb.0:
	.section	.rodata,"a",@progbits
	.p2align	6, 0x0
	.amdhsa_kernel _ZN7rocprim17ROCPRIM_400000_NS6detail17trampoline_kernelINS0_14default_configENS1_25partition_config_selectorILNS1_17partition_subalgoE1EjNS0_10empty_typeEbEEZZNS1_14partition_implILS5_1ELb0ES3_jN6thrust23THRUST_200600_302600_NS6detail15normal_iteratorINSA_10device_ptrIjEEEEPS6_NSA_18transform_iteratorI7is_evenIjESF_NSA_11use_defaultESK_EENS0_5tupleIJNSA_16discard_iteratorISK_EESO_EEENSM_IJSG_SG_EEES6_PlJS6_EEE10hipError_tPvRmT3_T4_T5_T6_T7_T9_mT8_P12ihipStream_tbDpT10_ENKUlT_T0_E_clISt17integral_constantIbLb0EES1B_EEDaS16_S17_EUlS16_E_NS1_11comp_targetILNS1_3genE2ELNS1_11target_archE906ELNS1_3gpuE6ELNS1_3repE0EEENS1_30default_config_static_selectorELNS0_4arch9wavefront6targetE1EEEvT1_
		.amdhsa_group_segment_fixed_size 0
		.amdhsa_private_segment_fixed_size 0
		.amdhsa_kernarg_size 144
		.amdhsa_user_sgpr_count 2
		.amdhsa_user_sgpr_dispatch_ptr 0
		.amdhsa_user_sgpr_queue_ptr 0
		.amdhsa_user_sgpr_kernarg_segment_ptr 1
		.amdhsa_user_sgpr_dispatch_id 0
		.amdhsa_user_sgpr_kernarg_preload_length 0
		.amdhsa_user_sgpr_kernarg_preload_offset 0
		.amdhsa_user_sgpr_private_segment_size 0
		.amdhsa_uses_dynamic_stack 0
		.amdhsa_enable_private_segment 0
		.amdhsa_system_sgpr_workgroup_id_x 1
		.amdhsa_system_sgpr_workgroup_id_y 0
		.amdhsa_system_sgpr_workgroup_id_z 0
		.amdhsa_system_sgpr_workgroup_info 0
		.amdhsa_system_vgpr_workitem_id 0
		.amdhsa_next_free_vgpr 1
		.amdhsa_next_free_sgpr 0
		.amdhsa_accum_offset 4
		.amdhsa_reserve_vcc 0
		.amdhsa_float_round_mode_32 0
		.amdhsa_float_round_mode_16_64 0
		.amdhsa_float_denorm_mode_32 3
		.amdhsa_float_denorm_mode_16_64 3
		.amdhsa_dx10_clamp 1
		.amdhsa_ieee_mode 1
		.amdhsa_fp16_overflow 0
		.amdhsa_tg_split 0
		.amdhsa_exception_fp_ieee_invalid_op 0
		.amdhsa_exception_fp_denorm_src 0
		.amdhsa_exception_fp_ieee_div_zero 0
		.amdhsa_exception_fp_ieee_overflow 0
		.amdhsa_exception_fp_ieee_underflow 0
		.amdhsa_exception_fp_ieee_inexact 0
		.amdhsa_exception_int_div_zero 0
	.end_amdhsa_kernel
	.section	.text._ZN7rocprim17ROCPRIM_400000_NS6detail17trampoline_kernelINS0_14default_configENS1_25partition_config_selectorILNS1_17partition_subalgoE1EjNS0_10empty_typeEbEEZZNS1_14partition_implILS5_1ELb0ES3_jN6thrust23THRUST_200600_302600_NS6detail15normal_iteratorINSA_10device_ptrIjEEEEPS6_NSA_18transform_iteratorI7is_evenIjESF_NSA_11use_defaultESK_EENS0_5tupleIJNSA_16discard_iteratorISK_EESO_EEENSM_IJSG_SG_EEES6_PlJS6_EEE10hipError_tPvRmT3_T4_T5_T6_T7_T9_mT8_P12ihipStream_tbDpT10_ENKUlT_T0_E_clISt17integral_constantIbLb0EES1B_EEDaS16_S17_EUlS16_E_NS1_11comp_targetILNS1_3genE2ELNS1_11target_archE906ELNS1_3gpuE6ELNS1_3repE0EEENS1_30default_config_static_selectorELNS0_4arch9wavefront6targetE1EEEvT1_,"axG",@progbits,_ZN7rocprim17ROCPRIM_400000_NS6detail17trampoline_kernelINS0_14default_configENS1_25partition_config_selectorILNS1_17partition_subalgoE1EjNS0_10empty_typeEbEEZZNS1_14partition_implILS5_1ELb0ES3_jN6thrust23THRUST_200600_302600_NS6detail15normal_iteratorINSA_10device_ptrIjEEEEPS6_NSA_18transform_iteratorI7is_evenIjESF_NSA_11use_defaultESK_EENS0_5tupleIJNSA_16discard_iteratorISK_EESO_EEENSM_IJSG_SG_EEES6_PlJS6_EEE10hipError_tPvRmT3_T4_T5_T6_T7_T9_mT8_P12ihipStream_tbDpT10_ENKUlT_T0_E_clISt17integral_constantIbLb0EES1B_EEDaS16_S17_EUlS16_E_NS1_11comp_targetILNS1_3genE2ELNS1_11target_archE906ELNS1_3gpuE6ELNS1_3repE0EEENS1_30default_config_static_selectorELNS0_4arch9wavefront6targetE1EEEvT1_,comdat
.Lfunc_end2975:
	.size	_ZN7rocprim17ROCPRIM_400000_NS6detail17trampoline_kernelINS0_14default_configENS1_25partition_config_selectorILNS1_17partition_subalgoE1EjNS0_10empty_typeEbEEZZNS1_14partition_implILS5_1ELb0ES3_jN6thrust23THRUST_200600_302600_NS6detail15normal_iteratorINSA_10device_ptrIjEEEEPS6_NSA_18transform_iteratorI7is_evenIjESF_NSA_11use_defaultESK_EENS0_5tupleIJNSA_16discard_iteratorISK_EESO_EEENSM_IJSG_SG_EEES6_PlJS6_EEE10hipError_tPvRmT3_T4_T5_T6_T7_T9_mT8_P12ihipStream_tbDpT10_ENKUlT_T0_E_clISt17integral_constantIbLb0EES1B_EEDaS16_S17_EUlS16_E_NS1_11comp_targetILNS1_3genE2ELNS1_11target_archE906ELNS1_3gpuE6ELNS1_3repE0EEENS1_30default_config_static_selectorELNS0_4arch9wavefront6targetE1EEEvT1_, .Lfunc_end2975-_ZN7rocprim17ROCPRIM_400000_NS6detail17trampoline_kernelINS0_14default_configENS1_25partition_config_selectorILNS1_17partition_subalgoE1EjNS0_10empty_typeEbEEZZNS1_14partition_implILS5_1ELb0ES3_jN6thrust23THRUST_200600_302600_NS6detail15normal_iteratorINSA_10device_ptrIjEEEEPS6_NSA_18transform_iteratorI7is_evenIjESF_NSA_11use_defaultESK_EENS0_5tupleIJNSA_16discard_iteratorISK_EESO_EEENSM_IJSG_SG_EEES6_PlJS6_EEE10hipError_tPvRmT3_T4_T5_T6_T7_T9_mT8_P12ihipStream_tbDpT10_ENKUlT_T0_E_clISt17integral_constantIbLb0EES1B_EEDaS16_S17_EUlS16_E_NS1_11comp_targetILNS1_3genE2ELNS1_11target_archE906ELNS1_3gpuE6ELNS1_3repE0EEENS1_30default_config_static_selectorELNS0_4arch9wavefront6targetE1EEEvT1_
                                        ; -- End function
	.section	.AMDGPU.csdata,"",@progbits
; Kernel info:
; codeLenInByte = 0
; NumSgprs: 6
; NumVgprs: 0
; NumAgprs: 0
; TotalNumVgprs: 0
; ScratchSize: 0
; MemoryBound: 0
; FloatMode: 240
; IeeeMode: 1
; LDSByteSize: 0 bytes/workgroup (compile time only)
; SGPRBlocks: 0
; VGPRBlocks: 0
; NumSGPRsForWavesPerEU: 6
; NumVGPRsForWavesPerEU: 1
; AccumOffset: 4
; Occupancy: 8
; WaveLimiterHint : 0
; COMPUTE_PGM_RSRC2:SCRATCH_EN: 0
; COMPUTE_PGM_RSRC2:USER_SGPR: 2
; COMPUTE_PGM_RSRC2:TRAP_HANDLER: 0
; COMPUTE_PGM_RSRC2:TGID_X_EN: 1
; COMPUTE_PGM_RSRC2:TGID_Y_EN: 0
; COMPUTE_PGM_RSRC2:TGID_Z_EN: 0
; COMPUTE_PGM_RSRC2:TIDIG_COMP_CNT: 0
; COMPUTE_PGM_RSRC3_GFX90A:ACCUM_OFFSET: 0
; COMPUTE_PGM_RSRC3_GFX90A:TG_SPLIT: 0
	.section	.text._ZN7rocprim17ROCPRIM_400000_NS6detail17trampoline_kernelINS0_14default_configENS1_25partition_config_selectorILNS1_17partition_subalgoE1EjNS0_10empty_typeEbEEZZNS1_14partition_implILS5_1ELb0ES3_jN6thrust23THRUST_200600_302600_NS6detail15normal_iteratorINSA_10device_ptrIjEEEEPS6_NSA_18transform_iteratorI7is_evenIjESF_NSA_11use_defaultESK_EENS0_5tupleIJNSA_16discard_iteratorISK_EESO_EEENSM_IJSG_SG_EEES6_PlJS6_EEE10hipError_tPvRmT3_T4_T5_T6_T7_T9_mT8_P12ihipStream_tbDpT10_ENKUlT_T0_E_clISt17integral_constantIbLb0EES1B_EEDaS16_S17_EUlS16_E_NS1_11comp_targetILNS1_3genE10ELNS1_11target_archE1200ELNS1_3gpuE4ELNS1_3repE0EEENS1_30default_config_static_selectorELNS0_4arch9wavefront6targetE1EEEvT1_,"axG",@progbits,_ZN7rocprim17ROCPRIM_400000_NS6detail17trampoline_kernelINS0_14default_configENS1_25partition_config_selectorILNS1_17partition_subalgoE1EjNS0_10empty_typeEbEEZZNS1_14partition_implILS5_1ELb0ES3_jN6thrust23THRUST_200600_302600_NS6detail15normal_iteratorINSA_10device_ptrIjEEEEPS6_NSA_18transform_iteratorI7is_evenIjESF_NSA_11use_defaultESK_EENS0_5tupleIJNSA_16discard_iteratorISK_EESO_EEENSM_IJSG_SG_EEES6_PlJS6_EEE10hipError_tPvRmT3_T4_T5_T6_T7_T9_mT8_P12ihipStream_tbDpT10_ENKUlT_T0_E_clISt17integral_constantIbLb0EES1B_EEDaS16_S17_EUlS16_E_NS1_11comp_targetILNS1_3genE10ELNS1_11target_archE1200ELNS1_3gpuE4ELNS1_3repE0EEENS1_30default_config_static_selectorELNS0_4arch9wavefront6targetE1EEEvT1_,comdat
	.protected	_ZN7rocprim17ROCPRIM_400000_NS6detail17trampoline_kernelINS0_14default_configENS1_25partition_config_selectorILNS1_17partition_subalgoE1EjNS0_10empty_typeEbEEZZNS1_14partition_implILS5_1ELb0ES3_jN6thrust23THRUST_200600_302600_NS6detail15normal_iteratorINSA_10device_ptrIjEEEEPS6_NSA_18transform_iteratorI7is_evenIjESF_NSA_11use_defaultESK_EENS0_5tupleIJNSA_16discard_iteratorISK_EESO_EEENSM_IJSG_SG_EEES6_PlJS6_EEE10hipError_tPvRmT3_T4_T5_T6_T7_T9_mT8_P12ihipStream_tbDpT10_ENKUlT_T0_E_clISt17integral_constantIbLb0EES1B_EEDaS16_S17_EUlS16_E_NS1_11comp_targetILNS1_3genE10ELNS1_11target_archE1200ELNS1_3gpuE4ELNS1_3repE0EEENS1_30default_config_static_selectorELNS0_4arch9wavefront6targetE1EEEvT1_ ; -- Begin function _ZN7rocprim17ROCPRIM_400000_NS6detail17trampoline_kernelINS0_14default_configENS1_25partition_config_selectorILNS1_17partition_subalgoE1EjNS0_10empty_typeEbEEZZNS1_14partition_implILS5_1ELb0ES3_jN6thrust23THRUST_200600_302600_NS6detail15normal_iteratorINSA_10device_ptrIjEEEEPS6_NSA_18transform_iteratorI7is_evenIjESF_NSA_11use_defaultESK_EENS0_5tupleIJNSA_16discard_iteratorISK_EESO_EEENSM_IJSG_SG_EEES6_PlJS6_EEE10hipError_tPvRmT3_T4_T5_T6_T7_T9_mT8_P12ihipStream_tbDpT10_ENKUlT_T0_E_clISt17integral_constantIbLb0EES1B_EEDaS16_S17_EUlS16_E_NS1_11comp_targetILNS1_3genE10ELNS1_11target_archE1200ELNS1_3gpuE4ELNS1_3repE0EEENS1_30default_config_static_selectorELNS0_4arch9wavefront6targetE1EEEvT1_
	.globl	_ZN7rocprim17ROCPRIM_400000_NS6detail17trampoline_kernelINS0_14default_configENS1_25partition_config_selectorILNS1_17partition_subalgoE1EjNS0_10empty_typeEbEEZZNS1_14partition_implILS5_1ELb0ES3_jN6thrust23THRUST_200600_302600_NS6detail15normal_iteratorINSA_10device_ptrIjEEEEPS6_NSA_18transform_iteratorI7is_evenIjESF_NSA_11use_defaultESK_EENS0_5tupleIJNSA_16discard_iteratorISK_EESO_EEENSM_IJSG_SG_EEES6_PlJS6_EEE10hipError_tPvRmT3_T4_T5_T6_T7_T9_mT8_P12ihipStream_tbDpT10_ENKUlT_T0_E_clISt17integral_constantIbLb0EES1B_EEDaS16_S17_EUlS16_E_NS1_11comp_targetILNS1_3genE10ELNS1_11target_archE1200ELNS1_3gpuE4ELNS1_3repE0EEENS1_30default_config_static_selectorELNS0_4arch9wavefront6targetE1EEEvT1_
	.p2align	8
	.type	_ZN7rocprim17ROCPRIM_400000_NS6detail17trampoline_kernelINS0_14default_configENS1_25partition_config_selectorILNS1_17partition_subalgoE1EjNS0_10empty_typeEbEEZZNS1_14partition_implILS5_1ELb0ES3_jN6thrust23THRUST_200600_302600_NS6detail15normal_iteratorINSA_10device_ptrIjEEEEPS6_NSA_18transform_iteratorI7is_evenIjESF_NSA_11use_defaultESK_EENS0_5tupleIJNSA_16discard_iteratorISK_EESO_EEENSM_IJSG_SG_EEES6_PlJS6_EEE10hipError_tPvRmT3_T4_T5_T6_T7_T9_mT8_P12ihipStream_tbDpT10_ENKUlT_T0_E_clISt17integral_constantIbLb0EES1B_EEDaS16_S17_EUlS16_E_NS1_11comp_targetILNS1_3genE10ELNS1_11target_archE1200ELNS1_3gpuE4ELNS1_3repE0EEENS1_30default_config_static_selectorELNS0_4arch9wavefront6targetE1EEEvT1_,@function
_ZN7rocprim17ROCPRIM_400000_NS6detail17trampoline_kernelINS0_14default_configENS1_25partition_config_selectorILNS1_17partition_subalgoE1EjNS0_10empty_typeEbEEZZNS1_14partition_implILS5_1ELb0ES3_jN6thrust23THRUST_200600_302600_NS6detail15normal_iteratorINSA_10device_ptrIjEEEEPS6_NSA_18transform_iteratorI7is_evenIjESF_NSA_11use_defaultESK_EENS0_5tupleIJNSA_16discard_iteratorISK_EESO_EEENSM_IJSG_SG_EEES6_PlJS6_EEE10hipError_tPvRmT3_T4_T5_T6_T7_T9_mT8_P12ihipStream_tbDpT10_ENKUlT_T0_E_clISt17integral_constantIbLb0EES1B_EEDaS16_S17_EUlS16_E_NS1_11comp_targetILNS1_3genE10ELNS1_11target_archE1200ELNS1_3gpuE4ELNS1_3repE0EEENS1_30default_config_static_selectorELNS0_4arch9wavefront6targetE1EEEvT1_: ; @_ZN7rocprim17ROCPRIM_400000_NS6detail17trampoline_kernelINS0_14default_configENS1_25partition_config_selectorILNS1_17partition_subalgoE1EjNS0_10empty_typeEbEEZZNS1_14partition_implILS5_1ELb0ES3_jN6thrust23THRUST_200600_302600_NS6detail15normal_iteratorINSA_10device_ptrIjEEEEPS6_NSA_18transform_iteratorI7is_evenIjESF_NSA_11use_defaultESK_EENS0_5tupleIJNSA_16discard_iteratorISK_EESO_EEENSM_IJSG_SG_EEES6_PlJS6_EEE10hipError_tPvRmT3_T4_T5_T6_T7_T9_mT8_P12ihipStream_tbDpT10_ENKUlT_T0_E_clISt17integral_constantIbLb0EES1B_EEDaS16_S17_EUlS16_E_NS1_11comp_targetILNS1_3genE10ELNS1_11target_archE1200ELNS1_3gpuE4ELNS1_3repE0EEENS1_30default_config_static_selectorELNS0_4arch9wavefront6targetE1EEEvT1_
; %bb.0:
	.section	.rodata,"a",@progbits
	.p2align	6, 0x0
	.amdhsa_kernel _ZN7rocprim17ROCPRIM_400000_NS6detail17trampoline_kernelINS0_14default_configENS1_25partition_config_selectorILNS1_17partition_subalgoE1EjNS0_10empty_typeEbEEZZNS1_14partition_implILS5_1ELb0ES3_jN6thrust23THRUST_200600_302600_NS6detail15normal_iteratorINSA_10device_ptrIjEEEEPS6_NSA_18transform_iteratorI7is_evenIjESF_NSA_11use_defaultESK_EENS0_5tupleIJNSA_16discard_iteratorISK_EESO_EEENSM_IJSG_SG_EEES6_PlJS6_EEE10hipError_tPvRmT3_T4_T5_T6_T7_T9_mT8_P12ihipStream_tbDpT10_ENKUlT_T0_E_clISt17integral_constantIbLb0EES1B_EEDaS16_S17_EUlS16_E_NS1_11comp_targetILNS1_3genE10ELNS1_11target_archE1200ELNS1_3gpuE4ELNS1_3repE0EEENS1_30default_config_static_selectorELNS0_4arch9wavefront6targetE1EEEvT1_
		.amdhsa_group_segment_fixed_size 0
		.amdhsa_private_segment_fixed_size 0
		.amdhsa_kernarg_size 144
		.amdhsa_user_sgpr_count 2
		.amdhsa_user_sgpr_dispatch_ptr 0
		.amdhsa_user_sgpr_queue_ptr 0
		.amdhsa_user_sgpr_kernarg_segment_ptr 1
		.amdhsa_user_sgpr_dispatch_id 0
		.amdhsa_user_sgpr_kernarg_preload_length 0
		.amdhsa_user_sgpr_kernarg_preload_offset 0
		.amdhsa_user_sgpr_private_segment_size 0
		.amdhsa_uses_dynamic_stack 0
		.amdhsa_enable_private_segment 0
		.amdhsa_system_sgpr_workgroup_id_x 1
		.amdhsa_system_sgpr_workgroup_id_y 0
		.amdhsa_system_sgpr_workgroup_id_z 0
		.amdhsa_system_sgpr_workgroup_info 0
		.amdhsa_system_vgpr_workitem_id 0
		.amdhsa_next_free_vgpr 1
		.amdhsa_next_free_sgpr 0
		.amdhsa_accum_offset 4
		.amdhsa_reserve_vcc 0
		.amdhsa_float_round_mode_32 0
		.amdhsa_float_round_mode_16_64 0
		.amdhsa_float_denorm_mode_32 3
		.amdhsa_float_denorm_mode_16_64 3
		.amdhsa_dx10_clamp 1
		.amdhsa_ieee_mode 1
		.amdhsa_fp16_overflow 0
		.amdhsa_tg_split 0
		.amdhsa_exception_fp_ieee_invalid_op 0
		.amdhsa_exception_fp_denorm_src 0
		.amdhsa_exception_fp_ieee_div_zero 0
		.amdhsa_exception_fp_ieee_overflow 0
		.amdhsa_exception_fp_ieee_underflow 0
		.amdhsa_exception_fp_ieee_inexact 0
		.amdhsa_exception_int_div_zero 0
	.end_amdhsa_kernel
	.section	.text._ZN7rocprim17ROCPRIM_400000_NS6detail17trampoline_kernelINS0_14default_configENS1_25partition_config_selectorILNS1_17partition_subalgoE1EjNS0_10empty_typeEbEEZZNS1_14partition_implILS5_1ELb0ES3_jN6thrust23THRUST_200600_302600_NS6detail15normal_iteratorINSA_10device_ptrIjEEEEPS6_NSA_18transform_iteratorI7is_evenIjESF_NSA_11use_defaultESK_EENS0_5tupleIJNSA_16discard_iteratorISK_EESO_EEENSM_IJSG_SG_EEES6_PlJS6_EEE10hipError_tPvRmT3_T4_T5_T6_T7_T9_mT8_P12ihipStream_tbDpT10_ENKUlT_T0_E_clISt17integral_constantIbLb0EES1B_EEDaS16_S17_EUlS16_E_NS1_11comp_targetILNS1_3genE10ELNS1_11target_archE1200ELNS1_3gpuE4ELNS1_3repE0EEENS1_30default_config_static_selectorELNS0_4arch9wavefront6targetE1EEEvT1_,"axG",@progbits,_ZN7rocprim17ROCPRIM_400000_NS6detail17trampoline_kernelINS0_14default_configENS1_25partition_config_selectorILNS1_17partition_subalgoE1EjNS0_10empty_typeEbEEZZNS1_14partition_implILS5_1ELb0ES3_jN6thrust23THRUST_200600_302600_NS6detail15normal_iteratorINSA_10device_ptrIjEEEEPS6_NSA_18transform_iteratorI7is_evenIjESF_NSA_11use_defaultESK_EENS0_5tupleIJNSA_16discard_iteratorISK_EESO_EEENSM_IJSG_SG_EEES6_PlJS6_EEE10hipError_tPvRmT3_T4_T5_T6_T7_T9_mT8_P12ihipStream_tbDpT10_ENKUlT_T0_E_clISt17integral_constantIbLb0EES1B_EEDaS16_S17_EUlS16_E_NS1_11comp_targetILNS1_3genE10ELNS1_11target_archE1200ELNS1_3gpuE4ELNS1_3repE0EEENS1_30default_config_static_selectorELNS0_4arch9wavefront6targetE1EEEvT1_,comdat
.Lfunc_end2976:
	.size	_ZN7rocprim17ROCPRIM_400000_NS6detail17trampoline_kernelINS0_14default_configENS1_25partition_config_selectorILNS1_17partition_subalgoE1EjNS0_10empty_typeEbEEZZNS1_14partition_implILS5_1ELb0ES3_jN6thrust23THRUST_200600_302600_NS6detail15normal_iteratorINSA_10device_ptrIjEEEEPS6_NSA_18transform_iteratorI7is_evenIjESF_NSA_11use_defaultESK_EENS0_5tupleIJNSA_16discard_iteratorISK_EESO_EEENSM_IJSG_SG_EEES6_PlJS6_EEE10hipError_tPvRmT3_T4_T5_T6_T7_T9_mT8_P12ihipStream_tbDpT10_ENKUlT_T0_E_clISt17integral_constantIbLb0EES1B_EEDaS16_S17_EUlS16_E_NS1_11comp_targetILNS1_3genE10ELNS1_11target_archE1200ELNS1_3gpuE4ELNS1_3repE0EEENS1_30default_config_static_selectorELNS0_4arch9wavefront6targetE1EEEvT1_, .Lfunc_end2976-_ZN7rocprim17ROCPRIM_400000_NS6detail17trampoline_kernelINS0_14default_configENS1_25partition_config_selectorILNS1_17partition_subalgoE1EjNS0_10empty_typeEbEEZZNS1_14partition_implILS5_1ELb0ES3_jN6thrust23THRUST_200600_302600_NS6detail15normal_iteratorINSA_10device_ptrIjEEEEPS6_NSA_18transform_iteratorI7is_evenIjESF_NSA_11use_defaultESK_EENS0_5tupleIJNSA_16discard_iteratorISK_EESO_EEENSM_IJSG_SG_EEES6_PlJS6_EEE10hipError_tPvRmT3_T4_T5_T6_T7_T9_mT8_P12ihipStream_tbDpT10_ENKUlT_T0_E_clISt17integral_constantIbLb0EES1B_EEDaS16_S17_EUlS16_E_NS1_11comp_targetILNS1_3genE10ELNS1_11target_archE1200ELNS1_3gpuE4ELNS1_3repE0EEENS1_30default_config_static_selectorELNS0_4arch9wavefront6targetE1EEEvT1_
                                        ; -- End function
	.section	.AMDGPU.csdata,"",@progbits
; Kernel info:
; codeLenInByte = 0
; NumSgprs: 6
; NumVgprs: 0
; NumAgprs: 0
; TotalNumVgprs: 0
; ScratchSize: 0
; MemoryBound: 0
; FloatMode: 240
; IeeeMode: 1
; LDSByteSize: 0 bytes/workgroup (compile time only)
; SGPRBlocks: 0
; VGPRBlocks: 0
; NumSGPRsForWavesPerEU: 6
; NumVGPRsForWavesPerEU: 1
; AccumOffset: 4
; Occupancy: 8
; WaveLimiterHint : 0
; COMPUTE_PGM_RSRC2:SCRATCH_EN: 0
; COMPUTE_PGM_RSRC2:USER_SGPR: 2
; COMPUTE_PGM_RSRC2:TRAP_HANDLER: 0
; COMPUTE_PGM_RSRC2:TGID_X_EN: 1
; COMPUTE_PGM_RSRC2:TGID_Y_EN: 0
; COMPUTE_PGM_RSRC2:TGID_Z_EN: 0
; COMPUTE_PGM_RSRC2:TIDIG_COMP_CNT: 0
; COMPUTE_PGM_RSRC3_GFX90A:ACCUM_OFFSET: 0
; COMPUTE_PGM_RSRC3_GFX90A:TG_SPLIT: 0
	.section	.text._ZN7rocprim17ROCPRIM_400000_NS6detail17trampoline_kernelINS0_14default_configENS1_25partition_config_selectorILNS1_17partition_subalgoE1EjNS0_10empty_typeEbEEZZNS1_14partition_implILS5_1ELb0ES3_jN6thrust23THRUST_200600_302600_NS6detail15normal_iteratorINSA_10device_ptrIjEEEEPS6_NSA_18transform_iteratorI7is_evenIjESF_NSA_11use_defaultESK_EENS0_5tupleIJNSA_16discard_iteratorISK_EESO_EEENSM_IJSG_SG_EEES6_PlJS6_EEE10hipError_tPvRmT3_T4_T5_T6_T7_T9_mT8_P12ihipStream_tbDpT10_ENKUlT_T0_E_clISt17integral_constantIbLb0EES1B_EEDaS16_S17_EUlS16_E_NS1_11comp_targetILNS1_3genE9ELNS1_11target_archE1100ELNS1_3gpuE3ELNS1_3repE0EEENS1_30default_config_static_selectorELNS0_4arch9wavefront6targetE1EEEvT1_,"axG",@progbits,_ZN7rocprim17ROCPRIM_400000_NS6detail17trampoline_kernelINS0_14default_configENS1_25partition_config_selectorILNS1_17partition_subalgoE1EjNS0_10empty_typeEbEEZZNS1_14partition_implILS5_1ELb0ES3_jN6thrust23THRUST_200600_302600_NS6detail15normal_iteratorINSA_10device_ptrIjEEEEPS6_NSA_18transform_iteratorI7is_evenIjESF_NSA_11use_defaultESK_EENS0_5tupleIJNSA_16discard_iteratorISK_EESO_EEENSM_IJSG_SG_EEES6_PlJS6_EEE10hipError_tPvRmT3_T4_T5_T6_T7_T9_mT8_P12ihipStream_tbDpT10_ENKUlT_T0_E_clISt17integral_constantIbLb0EES1B_EEDaS16_S17_EUlS16_E_NS1_11comp_targetILNS1_3genE9ELNS1_11target_archE1100ELNS1_3gpuE3ELNS1_3repE0EEENS1_30default_config_static_selectorELNS0_4arch9wavefront6targetE1EEEvT1_,comdat
	.protected	_ZN7rocprim17ROCPRIM_400000_NS6detail17trampoline_kernelINS0_14default_configENS1_25partition_config_selectorILNS1_17partition_subalgoE1EjNS0_10empty_typeEbEEZZNS1_14partition_implILS5_1ELb0ES3_jN6thrust23THRUST_200600_302600_NS6detail15normal_iteratorINSA_10device_ptrIjEEEEPS6_NSA_18transform_iteratorI7is_evenIjESF_NSA_11use_defaultESK_EENS0_5tupleIJNSA_16discard_iteratorISK_EESO_EEENSM_IJSG_SG_EEES6_PlJS6_EEE10hipError_tPvRmT3_T4_T5_T6_T7_T9_mT8_P12ihipStream_tbDpT10_ENKUlT_T0_E_clISt17integral_constantIbLb0EES1B_EEDaS16_S17_EUlS16_E_NS1_11comp_targetILNS1_3genE9ELNS1_11target_archE1100ELNS1_3gpuE3ELNS1_3repE0EEENS1_30default_config_static_selectorELNS0_4arch9wavefront6targetE1EEEvT1_ ; -- Begin function _ZN7rocprim17ROCPRIM_400000_NS6detail17trampoline_kernelINS0_14default_configENS1_25partition_config_selectorILNS1_17partition_subalgoE1EjNS0_10empty_typeEbEEZZNS1_14partition_implILS5_1ELb0ES3_jN6thrust23THRUST_200600_302600_NS6detail15normal_iteratorINSA_10device_ptrIjEEEEPS6_NSA_18transform_iteratorI7is_evenIjESF_NSA_11use_defaultESK_EENS0_5tupleIJNSA_16discard_iteratorISK_EESO_EEENSM_IJSG_SG_EEES6_PlJS6_EEE10hipError_tPvRmT3_T4_T5_T6_T7_T9_mT8_P12ihipStream_tbDpT10_ENKUlT_T0_E_clISt17integral_constantIbLb0EES1B_EEDaS16_S17_EUlS16_E_NS1_11comp_targetILNS1_3genE9ELNS1_11target_archE1100ELNS1_3gpuE3ELNS1_3repE0EEENS1_30default_config_static_selectorELNS0_4arch9wavefront6targetE1EEEvT1_
	.globl	_ZN7rocprim17ROCPRIM_400000_NS6detail17trampoline_kernelINS0_14default_configENS1_25partition_config_selectorILNS1_17partition_subalgoE1EjNS0_10empty_typeEbEEZZNS1_14partition_implILS5_1ELb0ES3_jN6thrust23THRUST_200600_302600_NS6detail15normal_iteratorINSA_10device_ptrIjEEEEPS6_NSA_18transform_iteratorI7is_evenIjESF_NSA_11use_defaultESK_EENS0_5tupleIJNSA_16discard_iteratorISK_EESO_EEENSM_IJSG_SG_EEES6_PlJS6_EEE10hipError_tPvRmT3_T4_T5_T6_T7_T9_mT8_P12ihipStream_tbDpT10_ENKUlT_T0_E_clISt17integral_constantIbLb0EES1B_EEDaS16_S17_EUlS16_E_NS1_11comp_targetILNS1_3genE9ELNS1_11target_archE1100ELNS1_3gpuE3ELNS1_3repE0EEENS1_30default_config_static_selectorELNS0_4arch9wavefront6targetE1EEEvT1_
	.p2align	8
	.type	_ZN7rocprim17ROCPRIM_400000_NS6detail17trampoline_kernelINS0_14default_configENS1_25partition_config_selectorILNS1_17partition_subalgoE1EjNS0_10empty_typeEbEEZZNS1_14partition_implILS5_1ELb0ES3_jN6thrust23THRUST_200600_302600_NS6detail15normal_iteratorINSA_10device_ptrIjEEEEPS6_NSA_18transform_iteratorI7is_evenIjESF_NSA_11use_defaultESK_EENS0_5tupleIJNSA_16discard_iteratorISK_EESO_EEENSM_IJSG_SG_EEES6_PlJS6_EEE10hipError_tPvRmT3_T4_T5_T6_T7_T9_mT8_P12ihipStream_tbDpT10_ENKUlT_T0_E_clISt17integral_constantIbLb0EES1B_EEDaS16_S17_EUlS16_E_NS1_11comp_targetILNS1_3genE9ELNS1_11target_archE1100ELNS1_3gpuE3ELNS1_3repE0EEENS1_30default_config_static_selectorELNS0_4arch9wavefront6targetE1EEEvT1_,@function
_ZN7rocprim17ROCPRIM_400000_NS6detail17trampoline_kernelINS0_14default_configENS1_25partition_config_selectorILNS1_17partition_subalgoE1EjNS0_10empty_typeEbEEZZNS1_14partition_implILS5_1ELb0ES3_jN6thrust23THRUST_200600_302600_NS6detail15normal_iteratorINSA_10device_ptrIjEEEEPS6_NSA_18transform_iteratorI7is_evenIjESF_NSA_11use_defaultESK_EENS0_5tupleIJNSA_16discard_iteratorISK_EESO_EEENSM_IJSG_SG_EEES6_PlJS6_EEE10hipError_tPvRmT3_T4_T5_T6_T7_T9_mT8_P12ihipStream_tbDpT10_ENKUlT_T0_E_clISt17integral_constantIbLb0EES1B_EEDaS16_S17_EUlS16_E_NS1_11comp_targetILNS1_3genE9ELNS1_11target_archE1100ELNS1_3gpuE3ELNS1_3repE0EEENS1_30default_config_static_selectorELNS0_4arch9wavefront6targetE1EEEvT1_: ; @_ZN7rocprim17ROCPRIM_400000_NS6detail17trampoline_kernelINS0_14default_configENS1_25partition_config_selectorILNS1_17partition_subalgoE1EjNS0_10empty_typeEbEEZZNS1_14partition_implILS5_1ELb0ES3_jN6thrust23THRUST_200600_302600_NS6detail15normal_iteratorINSA_10device_ptrIjEEEEPS6_NSA_18transform_iteratorI7is_evenIjESF_NSA_11use_defaultESK_EENS0_5tupleIJNSA_16discard_iteratorISK_EESO_EEENSM_IJSG_SG_EEES6_PlJS6_EEE10hipError_tPvRmT3_T4_T5_T6_T7_T9_mT8_P12ihipStream_tbDpT10_ENKUlT_T0_E_clISt17integral_constantIbLb0EES1B_EEDaS16_S17_EUlS16_E_NS1_11comp_targetILNS1_3genE9ELNS1_11target_archE1100ELNS1_3gpuE3ELNS1_3repE0EEENS1_30default_config_static_selectorELNS0_4arch9wavefront6targetE1EEEvT1_
; %bb.0:
	.section	.rodata,"a",@progbits
	.p2align	6, 0x0
	.amdhsa_kernel _ZN7rocprim17ROCPRIM_400000_NS6detail17trampoline_kernelINS0_14default_configENS1_25partition_config_selectorILNS1_17partition_subalgoE1EjNS0_10empty_typeEbEEZZNS1_14partition_implILS5_1ELb0ES3_jN6thrust23THRUST_200600_302600_NS6detail15normal_iteratorINSA_10device_ptrIjEEEEPS6_NSA_18transform_iteratorI7is_evenIjESF_NSA_11use_defaultESK_EENS0_5tupleIJNSA_16discard_iteratorISK_EESO_EEENSM_IJSG_SG_EEES6_PlJS6_EEE10hipError_tPvRmT3_T4_T5_T6_T7_T9_mT8_P12ihipStream_tbDpT10_ENKUlT_T0_E_clISt17integral_constantIbLb0EES1B_EEDaS16_S17_EUlS16_E_NS1_11comp_targetILNS1_3genE9ELNS1_11target_archE1100ELNS1_3gpuE3ELNS1_3repE0EEENS1_30default_config_static_selectorELNS0_4arch9wavefront6targetE1EEEvT1_
		.amdhsa_group_segment_fixed_size 0
		.amdhsa_private_segment_fixed_size 0
		.amdhsa_kernarg_size 144
		.amdhsa_user_sgpr_count 2
		.amdhsa_user_sgpr_dispatch_ptr 0
		.amdhsa_user_sgpr_queue_ptr 0
		.amdhsa_user_sgpr_kernarg_segment_ptr 1
		.amdhsa_user_sgpr_dispatch_id 0
		.amdhsa_user_sgpr_kernarg_preload_length 0
		.amdhsa_user_sgpr_kernarg_preload_offset 0
		.amdhsa_user_sgpr_private_segment_size 0
		.amdhsa_uses_dynamic_stack 0
		.amdhsa_enable_private_segment 0
		.amdhsa_system_sgpr_workgroup_id_x 1
		.amdhsa_system_sgpr_workgroup_id_y 0
		.amdhsa_system_sgpr_workgroup_id_z 0
		.amdhsa_system_sgpr_workgroup_info 0
		.amdhsa_system_vgpr_workitem_id 0
		.amdhsa_next_free_vgpr 1
		.amdhsa_next_free_sgpr 0
		.amdhsa_accum_offset 4
		.amdhsa_reserve_vcc 0
		.amdhsa_float_round_mode_32 0
		.amdhsa_float_round_mode_16_64 0
		.amdhsa_float_denorm_mode_32 3
		.amdhsa_float_denorm_mode_16_64 3
		.amdhsa_dx10_clamp 1
		.amdhsa_ieee_mode 1
		.amdhsa_fp16_overflow 0
		.amdhsa_tg_split 0
		.amdhsa_exception_fp_ieee_invalid_op 0
		.amdhsa_exception_fp_denorm_src 0
		.amdhsa_exception_fp_ieee_div_zero 0
		.amdhsa_exception_fp_ieee_overflow 0
		.amdhsa_exception_fp_ieee_underflow 0
		.amdhsa_exception_fp_ieee_inexact 0
		.amdhsa_exception_int_div_zero 0
	.end_amdhsa_kernel
	.section	.text._ZN7rocprim17ROCPRIM_400000_NS6detail17trampoline_kernelINS0_14default_configENS1_25partition_config_selectorILNS1_17partition_subalgoE1EjNS0_10empty_typeEbEEZZNS1_14partition_implILS5_1ELb0ES3_jN6thrust23THRUST_200600_302600_NS6detail15normal_iteratorINSA_10device_ptrIjEEEEPS6_NSA_18transform_iteratorI7is_evenIjESF_NSA_11use_defaultESK_EENS0_5tupleIJNSA_16discard_iteratorISK_EESO_EEENSM_IJSG_SG_EEES6_PlJS6_EEE10hipError_tPvRmT3_T4_T5_T6_T7_T9_mT8_P12ihipStream_tbDpT10_ENKUlT_T0_E_clISt17integral_constantIbLb0EES1B_EEDaS16_S17_EUlS16_E_NS1_11comp_targetILNS1_3genE9ELNS1_11target_archE1100ELNS1_3gpuE3ELNS1_3repE0EEENS1_30default_config_static_selectorELNS0_4arch9wavefront6targetE1EEEvT1_,"axG",@progbits,_ZN7rocprim17ROCPRIM_400000_NS6detail17trampoline_kernelINS0_14default_configENS1_25partition_config_selectorILNS1_17partition_subalgoE1EjNS0_10empty_typeEbEEZZNS1_14partition_implILS5_1ELb0ES3_jN6thrust23THRUST_200600_302600_NS6detail15normal_iteratorINSA_10device_ptrIjEEEEPS6_NSA_18transform_iteratorI7is_evenIjESF_NSA_11use_defaultESK_EENS0_5tupleIJNSA_16discard_iteratorISK_EESO_EEENSM_IJSG_SG_EEES6_PlJS6_EEE10hipError_tPvRmT3_T4_T5_T6_T7_T9_mT8_P12ihipStream_tbDpT10_ENKUlT_T0_E_clISt17integral_constantIbLb0EES1B_EEDaS16_S17_EUlS16_E_NS1_11comp_targetILNS1_3genE9ELNS1_11target_archE1100ELNS1_3gpuE3ELNS1_3repE0EEENS1_30default_config_static_selectorELNS0_4arch9wavefront6targetE1EEEvT1_,comdat
.Lfunc_end2977:
	.size	_ZN7rocprim17ROCPRIM_400000_NS6detail17trampoline_kernelINS0_14default_configENS1_25partition_config_selectorILNS1_17partition_subalgoE1EjNS0_10empty_typeEbEEZZNS1_14partition_implILS5_1ELb0ES3_jN6thrust23THRUST_200600_302600_NS6detail15normal_iteratorINSA_10device_ptrIjEEEEPS6_NSA_18transform_iteratorI7is_evenIjESF_NSA_11use_defaultESK_EENS0_5tupleIJNSA_16discard_iteratorISK_EESO_EEENSM_IJSG_SG_EEES6_PlJS6_EEE10hipError_tPvRmT3_T4_T5_T6_T7_T9_mT8_P12ihipStream_tbDpT10_ENKUlT_T0_E_clISt17integral_constantIbLb0EES1B_EEDaS16_S17_EUlS16_E_NS1_11comp_targetILNS1_3genE9ELNS1_11target_archE1100ELNS1_3gpuE3ELNS1_3repE0EEENS1_30default_config_static_selectorELNS0_4arch9wavefront6targetE1EEEvT1_, .Lfunc_end2977-_ZN7rocprim17ROCPRIM_400000_NS6detail17trampoline_kernelINS0_14default_configENS1_25partition_config_selectorILNS1_17partition_subalgoE1EjNS0_10empty_typeEbEEZZNS1_14partition_implILS5_1ELb0ES3_jN6thrust23THRUST_200600_302600_NS6detail15normal_iteratorINSA_10device_ptrIjEEEEPS6_NSA_18transform_iteratorI7is_evenIjESF_NSA_11use_defaultESK_EENS0_5tupleIJNSA_16discard_iteratorISK_EESO_EEENSM_IJSG_SG_EEES6_PlJS6_EEE10hipError_tPvRmT3_T4_T5_T6_T7_T9_mT8_P12ihipStream_tbDpT10_ENKUlT_T0_E_clISt17integral_constantIbLb0EES1B_EEDaS16_S17_EUlS16_E_NS1_11comp_targetILNS1_3genE9ELNS1_11target_archE1100ELNS1_3gpuE3ELNS1_3repE0EEENS1_30default_config_static_selectorELNS0_4arch9wavefront6targetE1EEEvT1_
                                        ; -- End function
	.section	.AMDGPU.csdata,"",@progbits
; Kernel info:
; codeLenInByte = 0
; NumSgprs: 6
; NumVgprs: 0
; NumAgprs: 0
; TotalNumVgprs: 0
; ScratchSize: 0
; MemoryBound: 0
; FloatMode: 240
; IeeeMode: 1
; LDSByteSize: 0 bytes/workgroup (compile time only)
; SGPRBlocks: 0
; VGPRBlocks: 0
; NumSGPRsForWavesPerEU: 6
; NumVGPRsForWavesPerEU: 1
; AccumOffset: 4
; Occupancy: 8
; WaveLimiterHint : 0
; COMPUTE_PGM_RSRC2:SCRATCH_EN: 0
; COMPUTE_PGM_RSRC2:USER_SGPR: 2
; COMPUTE_PGM_RSRC2:TRAP_HANDLER: 0
; COMPUTE_PGM_RSRC2:TGID_X_EN: 1
; COMPUTE_PGM_RSRC2:TGID_Y_EN: 0
; COMPUTE_PGM_RSRC2:TGID_Z_EN: 0
; COMPUTE_PGM_RSRC2:TIDIG_COMP_CNT: 0
; COMPUTE_PGM_RSRC3_GFX90A:ACCUM_OFFSET: 0
; COMPUTE_PGM_RSRC3_GFX90A:TG_SPLIT: 0
	.section	.text._ZN7rocprim17ROCPRIM_400000_NS6detail17trampoline_kernelINS0_14default_configENS1_25partition_config_selectorILNS1_17partition_subalgoE1EjNS0_10empty_typeEbEEZZNS1_14partition_implILS5_1ELb0ES3_jN6thrust23THRUST_200600_302600_NS6detail15normal_iteratorINSA_10device_ptrIjEEEEPS6_NSA_18transform_iteratorI7is_evenIjESF_NSA_11use_defaultESK_EENS0_5tupleIJNSA_16discard_iteratorISK_EESO_EEENSM_IJSG_SG_EEES6_PlJS6_EEE10hipError_tPvRmT3_T4_T5_T6_T7_T9_mT8_P12ihipStream_tbDpT10_ENKUlT_T0_E_clISt17integral_constantIbLb0EES1B_EEDaS16_S17_EUlS16_E_NS1_11comp_targetILNS1_3genE8ELNS1_11target_archE1030ELNS1_3gpuE2ELNS1_3repE0EEENS1_30default_config_static_selectorELNS0_4arch9wavefront6targetE1EEEvT1_,"axG",@progbits,_ZN7rocprim17ROCPRIM_400000_NS6detail17trampoline_kernelINS0_14default_configENS1_25partition_config_selectorILNS1_17partition_subalgoE1EjNS0_10empty_typeEbEEZZNS1_14partition_implILS5_1ELb0ES3_jN6thrust23THRUST_200600_302600_NS6detail15normal_iteratorINSA_10device_ptrIjEEEEPS6_NSA_18transform_iteratorI7is_evenIjESF_NSA_11use_defaultESK_EENS0_5tupleIJNSA_16discard_iteratorISK_EESO_EEENSM_IJSG_SG_EEES6_PlJS6_EEE10hipError_tPvRmT3_T4_T5_T6_T7_T9_mT8_P12ihipStream_tbDpT10_ENKUlT_T0_E_clISt17integral_constantIbLb0EES1B_EEDaS16_S17_EUlS16_E_NS1_11comp_targetILNS1_3genE8ELNS1_11target_archE1030ELNS1_3gpuE2ELNS1_3repE0EEENS1_30default_config_static_selectorELNS0_4arch9wavefront6targetE1EEEvT1_,comdat
	.protected	_ZN7rocprim17ROCPRIM_400000_NS6detail17trampoline_kernelINS0_14default_configENS1_25partition_config_selectorILNS1_17partition_subalgoE1EjNS0_10empty_typeEbEEZZNS1_14partition_implILS5_1ELb0ES3_jN6thrust23THRUST_200600_302600_NS6detail15normal_iteratorINSA_10device_ptrIjEEEEPS6_NSA_18transform_iteratorI7is_evenIjESF_NSA_11use_defaultESK_EENS0_5tupleIJNSA_16discard_iteratorISK_EESO_EEENSM_IJSG_SG_EEES6_PlJS6_EEE10hipError_tPvRmT3_T4_T5_T6_T7_T9_mT8_P12ihipStream_tbDpT10_ENKUlT_T0_E_clISt17integral_constantIbLb0EES1B_EEDaS16_S17_EUlS16_E_NS1_11comp_targetILNS1_3genE8ELNS1_11target_archE1030ELNS1_3gpuE2ELNS1_3repE0EEENS1_30default_config_static_selectorELNS0_4arch9wavefront6targetE1EEEvT1_ ; -- Begin function _ZN7rocprim17ROCPRIM_400000_NS6detail17trampoline_kernelINS0_14default_configENS1_25partition_config_selectorILNS1_17partition_subalgoE1EjNS0_10empty_typeEbEEZZNS1_14partition_implILS5_1ELb0ES3_jN6thrust23THRUST_200600_302600_NS6detail15normal_iteratorINSA_10device_ptrIjEEEEPS6_NSA_18transform_iteratorI7is_evenIjESF_NSA_11use_defaultESK_EENS0_5tupleIJNSA_16discard_iteratorISK_EESO_EEENSM_IJSG_SG_EEES6_PlJS6_EEE10hipError_tPvRmT3_T4_T5_T6_T7_T9_mT8_P12ihipStream_tbDpT10_ENKUlT_T0_E_clISt17integral_constantIbLb0EES1B_EEDaS16_S17_EUlS16_E_NS1_11comp_targetILNS1_3genE8ELNS1_11target_archE1030ELNS1_3gpuE2ELNS1_3repE0EEENS1_30default_config_static_selectorELNS0_4arch9wavefront6targetE1EEEvT1_
	.globl	_ZN7rocprim17ROCPRIM_400000_NS6detail17trampoline_kernelINS0_14default_configENS1_25partition_config_selectorILNS1_17partition_subalgoE1EjNS0_10empty_typeEbEEZZNS1_14partition_implILS5_1ELb0ES3_jN6thrust23THRUST_200600_302600_NS6detail15normal_iteratorINSA_10device_ptrIjEEEEPS6_NSA_18transform_iteratorI7is_evenIjESF_NSA_11use_defaultESK_EENS0_5tupleIJNSA_16discard_iteratorISK_EESO_EEENSM_IJSG_SG_EEES6_PlJS6_EEE10hipError_tPvRmT3_T4_T5_T6_T7_T9_mT8_P12ihipStream_tbDpT10_ENKUlT_T0_E_clISt17integral_constantIbLb0EES1B_EEDaS16_S17_EUlS16_E_NS1_11comp_targetILNS1_3genE8ELNS1_11target_archE1030ELNS1_3gpuE2ELNS1_3repE0EEENS1_30default_config_static_selectorELNS0_4arch9wavefront6targetE1EEEvT1_
	.p2align	8
	.type	_ZN7rocprim17ROCPRIM_400000_NS6detail17trampoline_kernelINS0_14default_configENS1_25partition_config_selectorILNS1_17partition_subalgoE1EjNS0_10empty_typeEbEEZZNS1_14partition_implILS5_1ELb0ES3_jN6thrust23THRUST_200600_302600_NS6detail15normal_iteratorINSA_10device_ptrIjEEEEPS6_NSA_18transform_iteratorI7is_evenIjESF_NSA_11use_defaultESK_EENS0_5tupleIJNSA_16discard_iteratorISK_EESO_EEENSM_IJSG_SG_EEES6_PlJS6_EEE10hipError_tPvRmT3_T4_T5_T6_T7_T9_mT8_P12ihipStream_tbDpT10_ENKUlT_T0_E_clISt17integral_constantIbLb0EES1B_EEDaS16_S17_EUlS16_E_NS1_11comp_targetILNS1_3genE8ELNS1_11target_archE1030ELNS1_3gpuE2ELNS1_3repE0EEENS1_30default_config_static_selectorELNS0_4arch9wavefront6targetE1EEEvT1_,@function
_ZN7rocprim17ROCPRIM_400000_NS6detail17trampoline_kernelINS0_14default_configENS1_25partition_config_selectorILNS1_17partition_subalgoE1EjNS0_10empty_typeEbEEZZNS1_14partition_implILS5_1ELb0ES3_jN6thrust23THRUST_200600_302600_NS6detail15normal_iteratorINSA_10device_ptrIjEEEEPS6_NSA_18transform_iteratorI7is_evenIjESF_NSA_11use_defaultESK_EENS0_5tupleIJNSA_16discard_iteratorISK_EESO_EEENSM_IJSG_SG_EEES6_PlJS6_EEE10hipError_tPvRmT3_T4_T5_T6_T7_T9_mT8_P12ihipStream_tbDpT10_ENKUlT_T0_E_clISt17integral_constantIbLb0EES1B_EEDaS16_S17_EUlS16_E_NS1_11comp_targetILNS1_3genE8ELNS1_11target_archE1030ELNS1_3gpuE2ELNS1_3repE0EEENS1_30default_config_static_selectorELNS0_4arch9wavefront6targetE1EEEvT1_: ; @_ZN7rocprim17ROCPRIM_400000_NS6detail17trampoline_kernelINS0_14default_configENS1_25partition_config_selectorILNS1_17partition_subalgoE1EjNS0_10empty_typeEbEEZZNS1_14partition_implILS5_1ELb0ES3_jN6thrust23THRUST_200600_302600_NS6detail15normal_iteratorINSA_10device_ptrIjEEEEPS6_NSA_18transform_iteratorI7is_evenIjESF_NSA_11use_defaultESK_EENS0_5tupleIJNSA_16discard_iteratorISK_EESO_EEENSM_IJSG_SG_EEES6_PlJS6_EEE10hipError_tPvRmT3_T4_T5_T6_T7_T9_mT8_P12ihipStream_tbDpT10_ENKUlT_T0_E_clISt17integral_constantIbLb0EES1B_EEDaS16_S17_EUlS16_E_NS1_11comp_targetILNS1_3genE8ELNS1_11target_archE1030ELNS1_3gpuE2ELNS1_3repE0EEENS1_30default_config_static_selectorELNS0_4arch9wavefront6targetE1EEEvT1_
; %bb.0:
	.section	.rodata,"a",@progbits
	.p2align	6, 0x0
	.amdhsa_kernel _ZN7rocprim17ROCPRIM_400000_NS6detail17trampoline_kernelINS0_14default_configENS1_25partition_config_selectorILNS1_17partition_subalgoE1EjNS0_10empty_typeEbEEZZNS1_14partition_implILS5_1ELb0ES3_jN6thrust23THRUST_200600_302600_NS6detail15normal_iteratorINSA_10device_ptrIjEEEEPS6_NSA_18transform_iteratorI7is_evenIjESF_NSA_11use_defaultESK_EENS0_5tupleIJNSA_16discard_iteratorISK_EESO_EEENSM_IJSG_SG_EEES6_PlJS6_EEE10hipError_tPvRmT3_T4_T5_T6_T7_T9_mT8_P12ihipStream_tbDpT10_ENKUlT_T0_E_clISt17integral_constantIbLb0EES1B_EEDaS16_S17_EUlS16_E_NS1_11comp_targetILNS1_3genE8ELNS1_11target_archE1030ELNS1_3gpuE2ELNS1_3repE0EEENS1_30default_config_static_selectorELNS0_4arch9wavefront6targetE1EEEvT1_
		.amdhsa_group_segment_fixed_size 0
		.amdhsa_private_segment_fixed_size 0
		.amdhsa_kernarg_size 144
		.amdhsa_user_sgpr_count 2
		.amdhsa_user_sgpr_dispatch_ptr 0
		.amdhsa_user_sgpr_queue_ptr 0
		.amdhsa_user_sgpr_kernarg_segment_ptr 1
		.amdhsa_user_sgpr_dispatch_id 0
		.amdhsa_user_sgpr_kernarg_preload_length 0
		.amdhsa_user_sgpr_kernarg_preload_offset 0
		.amdhsa_user_sgpr_private_segment_size 0
		.amdhsa_uses_dynamic_stack 0
		.amdhsa_enable_private_segment 0
		.amdhsa_system_sgpr_workgroup_id_x 1
		.amdhsa_system_sgpr_workgroup_id_y 0
		.amdhsa_system_sgpr_workgroup_id_z 0
		.amdhsa_system_sgpr_workgroup_info 0
		.amdhsa_system_vgpr_workitem_id 0
		.amdhsa_next_free_vgpr 1
		.amdhsa_next_free_sgpr 0
		.amdhsa_accum_offset 4
		.amdhsa_reserve_vcc 0
		.amdhsa_float_round_mode_32 0
		.amdhsa_float_round_mode_16_64 0
		.amdhsa_float_denorm_mode_32 3
		.amdhsa_float_denorm_mode_16_64 3
		.amdhsa_dx10_clamp 1
		.amdhsa_ieee_mode 1
		.amdhsa_fp16_overflow 0
		.amdhsa_tg_split 0
		.amdhsa_exception_fp_ieee_invalid_op 0
		.amdhsa_exception_fp_denorm_src 0
		.amdhsa_exception_fp_ieee_div_zero 0
		.amdhsa_exception_fp_ieee_overflow 0
		.amdhsa_exception_fp_ieee_underflow 0
		.amdhsa_exception_fp_ieee_inexact 0
		.amdhsa_exception_int_div_zero 0
	.end_amdhsa_kernel
	.section	.text._ZN7rocprim17ROCPRIM_400000_NS6detail17trampoline_kernelINS0_14default_configENS1_25partition_config_selectorILNS1_17partition_subalgoE1EjNS0_10empty_typeEbEEZZNS1_14partition_implILS5_1ELb0ES3_jN6thrust23THRUST_200600_302600_NS6detail15normal_iteratorINSA_10device_ptrIjEEEEPS6_NSA_18transform_iteratorI7is_evenIjESF_NSA_11use_defaultESK_EENS0_5tupleIJNSA_16discard_iteratorISK_EESO_EEENSM_IJSG_SG_EEES6_PlJS6_EEE10hipError_tPvRmT3_T4_T5_T6_T7_T9_mT8_P12ihipStream_tbDpT10_ENKUlT_T0_E_clISt17integral_constantIbLb0EES1B_EEDaS16_S17_EUlS16_E_NS1_11comp_targetILNS1_3genE8ELNS1_11target_archE1030ELNS1_3gpuE2ELNS1_3repE0EEENS1_30default_config_static_selectorELNS0_4arch9wavefront6targetE1EEEvT1_,"axG",@progbits,_ZN7rocprim17ROCPRIM_400000_NS6detail17trampoline_kernelINS0_14default_configENS1_25partition_config_selectorILNS1_17partition_subalgoE1EjNS0_10empty_typeEbEEZZNS1_14partition_implILS5_1ELb0ES3_jN6thrust23THRUST_200600_302600_NS6detail15normal_iteratorINSA_10device_ptrIjEEEEPS6_NSA_18transform_iteratorI7is_evenIjESF_NSA_11use_defaultESK_EENS0_5tupleIJNSA_16discard_iteratorISK_EESO_EEENSM_IJSG_SG_EEES6_PlJS6_EEE10hipError_tPvRmT3_T4_T5_T6_T7_T9_mT8_P12ihipStream_tbDpT10_ENKUlT_T0_E_clISt17integral_constantIbLb0EES1B_EEDaS16_S17_EUlS16_E_NS1_11comp_targetILNS1_3genE8ELNS1_11target_archE1030ELNS1_3gpuE2ELNS1_3repE0EEENS1_30default_config_static_selectorELNS0_4arch9wavefront6targetE1EEEvT1_,comdat
.Lfunc_end2978:
	.size	_ZN7rocprim17ROCPRIM_400000_NS6detail17trampoline_kernelINS0_14default_configENS1_25partition_config_selectorILNS1_17partition_subalgoE1EjNS0_10empty_typeEbEEZZNS1_14partition_implILS5_1ELb0ES3_jN6thrust23THRUST_200600_302600_NS6detail15normal_iteratorINSA_10device_ptrIjEEEEPS6_NSA_18transform_iteratorI7is_evenIjESF_NSA_11use_defaultESK_EENS0_5tupleIJNSA_16discard_iteratorISK_EESO_EEENSM_IJSG_SG_EEES6_PlJS6_EEE10hipError_tPvRmT3_T4_T5_T6_T7_T9_mT8_P12ihipStream_tbDpT10_ENKUlT_T0_E_clISt17integral_constantIbLb0EES1B_EEDaS16_S17_EUlS16_E_NS1_11comp_targetILNS1_3genE8ELNS1_11target_archE1030ELNS1_3gpuE2ELNS1_3repE0EEENS1_30default_config_static_selectorELNS0_4arch9wavefront6targetE1EEEvT1_, .Lfunc_end2978-_ZN7rocprim17ROCPRIM_400000_NS6detail17trampoline_kernelINS0_14default_configENS1_25partition_config_selectorILNS1_17partition_subalgoE1EjNS0_10empty_typeEbEEZZNS1_14partition_implILS5_1ELb0ES3_jN6thrust23THRUST_200600_302600_NS6detail15normal_iteratorINSA_10device_ptrIjEEEEPS6_NSA_18transform_iteratorI7is_evenIjESF_NSA_11use_defaultESK_EENS0_5tupleIJNSA_16discard_iteratorISK_EESO_EEENSM_IJSG_SG_EEES6_PlJS6_EEE10hipError_tPvRmT3_T4_T5_T6_T7_T9_mT8_P12ihipStream_tbDpT10_ENKUlT_T0_E_clISt17integral_constantIbLb0EES1B_EEDaS16_S17_EUlS16_E_NS1_11comp_targetILNS1_3genE8ELNS1_11target_archE1030ELNS1_3gpuE2ELNS1_3repE0EEENS1_30default_config_static_selectorELNS0_4arch9wavefront6targetE1EEEvT1_
                                        ; -- End function
	.section	.AMDGPU.csdata,"",@progbits
; Kernel info:
; codeLenInByte = 0
; NumSgprs: 6
; NumVgprs: 0
; NumAgprs: 0
; TotalNumVgprs: 0
; ScratchSize: 0
; MemoryBound: 0
; FloatMode: 240
; IeeeMode: 1
; LDSByteSize: 0 bytes/workgroup (compile time only)
; SGPRBlocks: 0
; VGPRBlocks: 0
; NumSGPRsForWavesPerEU: 6
; NumVGPRsForWavesPerEU: 1
; AccumOffset: 4
; Occupancy: 8
; WaveLimiterHint : 0
; COMPUTE_PGM_RSRC2:SCRATCH_EN: 0
; COMPUTE_PGM_RSRC2:USER_SGPR: 2
; COMPUTE_PGM_RSRC2:TRAP_HANDLER: 0
; COMPUTE_PGM_RSRC2:TGID_X_EN: 1
; COMPUTE_PGM_RSRC2:TGID_Y_EN: 0
; COMPUTE_PGM_RSRC2:TGID_Z_EN: 0
; COMPUTE_PGM_RSRC2:TIDIG_COMP_CNT: 0
; COMPUTE_PGM_RSRC3_GFX90A:ACCUM_OFFSET: 0
; COMPUTE_PGM_RSRC3_GFX90A:TG_SPLIT: 0
	.section	.text._ZN7rocprim17ROCPRIM_400000_NS6detail17trampoline_kernelINS0_14default_configENS1_25partition_config_selectorILNS1_17partition_subalgoE1EjNS0_10empty_typeEbEEZZNS1_14partition_implILS5_1ELb0ES3_jN6thrust23THRUST_200600_302600_NS6detail15normal_iteratorINSA_10device_ptrIjEEEEPS6_NSA_18transform_iteratorI7is_evenIjESF_NSA_11use_defaultESK_EENS0_5tupleIJNSA_16discard_iteratorISK_EESO_EEENSM_IJSG_SG_EEES6_PlJS6_EEE10hipError_tPvRmT3_T4_T5_T6_T7_T9_mT8_P12ihipStream_tbDpT10_ENKUlT_T0_E_clISt17integral_constantIbLb1EES1B_EEDaS16_S17_EUlS16_E_NS1_11comp_targetILNS1_3genE0ELNS1_11target_archE4294967295ELNS1_3gpuE0ELNS1_3repE0EEENS1_30default_config_static_selectorELNS0_4arch9wavefront6targetE1EEEvT1_,"axG",@progbits,_ZN7rocprim17ROCPRIM_400000_NS6detail17trampoline_kernelINS0_14default_configENS1_25partition_config_selectorILNS1_17partition_subalgoE1EjNS0_10empty_typeEbEEZZNS1_14partition_implILS5_1ELb0ES3_jN6thrust23THRUST_200600_302600_NS6detail15normal_iteratorINSA_10device_ptrIjEEEEPS6_NSA_18transform_iteratorI7is_evenIjESF_NSA_11use_defaultESK_EENS0_5tupleIJNSA_16discard_iteratorISK_EESO_EEENSM_IJSG_SG_EEES6_PlJS6_EEE10hipError_tPvRmT3_T4_T5_T6_T7_T9_mT8_P12ihipStream_tbDpT10_ENKUlT_T0_E_clISt17integral_constantIbLb1EES1B_EEDaS16_S17_EUlS16_E_NS1_11comp_targetILNS1_3genE0ELNS1_11target_archE4294967295ELNS1_3gpuE0ELNS1_3repE0EEENS1_30default_config_static_selectorELNS0_4arch9wavefront6targetE1EEEvT1_,comdat
	.protected	_ZN7rocprim17ROCPRIM_400000_NS6detail17trampoline_kernelINS0_14default_configENS1_25partition_config_selectorILNS1_17partition_subalgoE1EjNS0_10empty_typeEbEEZZNS1_14partition_implILS5_1ELb0ES3_jN6thrust23THRUST_200600_302600_NS6detail15normal_iteratorINSA_10device_ptrIjEEEEPS6_NSA_18transform_iteratorI7is_evenIjESF_NSA_11use_defaultESK_EENS0_5tupleIJNSA_16discard_iteratorISK_EESO_EEENSM_IJSG_SG_EEES6_PlJS6_EEE10hipError_tPvRmT3_T4_T5_T6_T7_T9_mT8_P12ihipStream_tbDpT10_ENKUlT_T0_E_clISt17integral_constantIbLb1EES1B_EEDaS16_S17_EUlS16_E_NS1_11comp_targetILNS1_3genE0ELNS1_11target_archE4294967295ELNS1_3gpuE0ELNS1_3repE0EEENS1_30default_config_static_selectorELNS0_4arch9wavefront6targetE1EEEvT1_ ; -- Begin function _ZN7rocprim17ROCPRIM_400000_NS6detail17trampoline_kernelINS0_14default_configENS1_25partition_config_selectorILNS1_17partition_subalgoE1EjNS0_10empty_typeEbEEZZNS1_14partition_implILS5_1ELb0ES3_jN6thrust23THRUST_200600_302600_NS6detail15normal_iteratorINSA_10device_ptrIjEEEEPS6_NSA_18transform_iteratorI7is_evenIjESF_NSA_11use_defaultESK_EENS0_5tupleIJNSA_16discard_iteratorISK_EESO_EEENSM_IJSG_SG_EEES6_PlJS6_EEE10hipError_tPvRmT3_T4_T5_T6_T7_T9_mT8_P12ihipStream_tbDpT10_ENKUlT_T0_E_clISt17integral_constantIbLb1EES1B_EEDaS16_S17_EUlS16_E_NS1_11comp_targetILNS1_3genE0ELNS1_11target_archE4294967295ELNS1_3gpuE0ELNS1_3repE0EEENS1_30default_config_static_selectorELNS0_4arch9wavefront6targetE1EEEvT1_
	.globl	_ZN7rocprim17ROCPRIM_400000_NS6detail17trampoline_kernelINS0_14default_configENS1_25partition_config_selectorILNS1_17partition_subalgoE1EjNS0_10empty_typeEbEEZZNS1_14partition_implILS5_1ELb0ES3_jN6thrust23THRUST_200600_302600_NS6detail15normal_iteratorINSA_10device_ptrIjEEEEPS6_NSA_18transform_iteratorI7is_evenIjESF_NSA_11use_defaultESK_EENS0_5tupleIJNSA_16discard_iteratorISK_EESO_EEENSM_IJSG_SG_EEES6_PlJS6_EEE10hipError_tPvRmT3_T4_T5_T6_T7_T9_mT8_P12ihipStream_tbDpT10_ENKUlT_T0_E_clISt17integral_constantIbLb1EES1B_EEDaS16_S17_EUlS16_E_NS1_11comp_targetILNS1_3genE0ELNS1_11target_archE4294967295ELNS1_3gpuE0ELNS1_3repE0EEENS1_30default_config_static_selectorELNS0_4arch9wavefront6targetE1EEEvT1_
	.p2align	8
	.type	_ZN7rocprim17ROCPRIM_400000_NS6detail17trampoline_kernelINS0_14default_configENS1_25partition_config_selectorILNS1_17partition_subalgoE1EjNS0_10empty_typeEbEEZZNS1_14partition_implILS5_1ELb0ES3_jN6thrust23THRUST_200600_302600_NS6detail15normal_iteratorINSA_10device_ptrIjEEEEPS6_NSA_18transform_iteratorI7is_evenIjESF_NSA_11use_defaultESK_EENS0_5tupleIJNSA_16discard_iteratorISK_EESO_EEENSM_IJSG_SG_EEES6_PlJS6_EEE10hipError_tPvRmT3_T4_T5_T6_T7_T9_mT8_P12ihipStream_tbDpT10_ENKUlT_T0_E_clISt17integral_constantIbLb1EES1B_EEDaS16_S17_EUlS16_E_NS1_11comp_targetILNS1_3genE0ELNS1_11target_archE4294967295ELNS1_3gpuE0ELNS1_3repE0EEENS1_30default_config_static_selectorELNS0_4arch9wavefront6targetE1EEEvT1_,@function
_ZN7rocprim17ROCPRIM_400000_NS6detail17trampoline_kernelINS0_14default_configENS1_25partition_config_selectorILNS1_17partition_subalgoE1EjNS0_10empty_typeEbEEZZNS1_14partition_implILS5_1ELb0ES3_jN6thrust23THRUST_200600_302600_NS6detail15normal_iteratorINSA_10device_ptrIjEEEEPS6_NSA_18transform_iteratorI7is_evenIjESF_NSA_11use_defaultESK_EENS0_5tupleIJNSA_16discard_iteratorISK_EESO_EEENSM_IJSG_SG_EEES6_PlJS6_EEE10hipError_tPvRmT3_T4_T5_T6_T7_T9_mT8_P12ihipStream_tbDpT10_ENKUlT_T0_E_clISt17integral_constantIbLb1EES1B_EEDaS16_S17_EUlS16_E_NS1_11comp_targetILNS1_3genE0ELNS1_11target_archE4294967295ELNS1_3gpuE0ELNS1_3repE0EEENS1_30default_config_static_selectorELNS0_4arch9wavefront6targetE1EEEvT1_: ; @_ZN7rocprim17ROCPRIM_400000_NS6detail17trampoline_kernelINS0_14default_configENS1_25partition_config_selectorILNS1_17partition_subalgoE1EjNS0_10empty_typeEbEEZZNS1_14partition_implILS5_1ELb0ES3_jN6thrust23THRUST_200600_302600_NS6detail15normal_iteratorINSA_10device_ptrIjEEEEPS6_NSA_18transform_iteratorI7is_evenIjESF_NSA_11use_defaultESK_EENS0_5tupleIJNSA_16discard_iteratorISK_EESO_EEENSM_IJSG_SG_EEES6_PlJS6_EEE10hipError_tPvRmT3_T4_T5_T6_T7_T9_mT8_P12ihipStream_tbDpT10_ENKUlT_T0_E_clISt17integral_constantIbLb1EES1B_EEDaS16_S17_EUlS16_E_NS1_11comp_targetILNS1_3genE0ELNS1_11target_archE4294967295ELNS1_3gpuE0ELNS1_3repE0EEENS1_30default_config_static_selectorELNS0_4arch9wavefront6targetE1EEEvT1_
; %bb.0:
	.section	.rodata,"a",@progbits
	.p2align	6, 0x0
	.amdhsa_kernel _ZN7rocprim17ROCPRIM_400000_NS6detail17trampoline_kernelINS0_14default_configENS1_25partition_config_selectorILNS1_17partition_subalgoE1EjNS0_10empty_typeEbEEZZNS1_14partition_implILS5_1ELb0ES3_jN6thrust23THRUST_200600_302600_NS6detail15normal_iteratorINSA_10device_ptrIjEEEEPS6_NSA_18transform_iteratorI7is_evenIjESF_NSA_11use_defaultESK_EENS0_5tupleIJNSA_16discard_iteratorISK_EESO_EEENSM_IJSG_SG_EEES6_PlJS6_EEE10hipError_tPvRmT3_T4_T5_T6_T7_T9_mT8_P12ihipStream_tbDpT10_ENKUlT_T0_E_clISt17integral_constantIbLb1EES1B_EEDaS16_S17_EUlS16_E_NS1_11comp_targetILNS1_3genE0ELNS1_11target_archE4294967295ELNS1_3gpuE0ELNS1_3repE0EEENS1_30default_config_static_selectorELNS0_4arch9wavefront6targetE1EEEvT1_
		.amdhsa_group_segment_fixed_size 0
		.amdhsa_private_segment_fixed_size 0
		.amdhsa_kernarg_size 160
		.amdhsa_user_sgpr_count 2
		.amdhsa_user_sgpr_dispatch_ptr 0
		.amdhsa_user_sgpr_queue_ptr 0
		.amdhsa_user_sgpr_kernarg_segment_ptr 1
		.amdhsa_user_sgpr_dispatch_id 0
		.amdhsa_user_sgpr_kernarg_preload_length 0
		.amdhsa_user_sgpr_kernarg_preload_offset 0
		.amdhsa_user_sgpr_private_segment_size 0
		.amdhsa_uses_dynamic_stack 0
		.amdhsa_enable_private_segment 0
		.amdhsa_system_sgpr_workgroup_id_x 1
		.amdhsa_system_sgpr_workgroup_id_y 0
		.amdhsa_system_sgpr_workgroup_id_z 0
		.amdhsa_system_sgpr_workgroup_info 0
		.amdhsa_system_vgpr_workitem_id 0
		.amdhsa_next_free_vgpr 1
		.amdhsa_next_free_sgpr 0
		.amdhsa_accum_offset 4
		.amdhsa_reserve_vcc 0
		.amdhsa_float_round_mode_32 0
		.amdhsa_float_round_mode_16_64 0
		.amdhsa_float_denorm_mode_32 3
		.amdhsa_float_denorm_mode_16_64 3
		.amdhsa_dx10_clamp 1
		.amdhsa_ieee_mode 1
		.amdhsa_fp16_overflow 0
		.amdhsa_tg_split 0
		.amdhsa_exception_fp_ieee_invalid_op 0
		.amdhsa_exception_fp_denorm_src 0
		.amdhsa_exception_fp_ieee_div_zero 0
		.amdhsa_exception_fp_ieee_overflow 0
		.amdhsa_exception_fp_ieee_underflow 0
		.amdhsa_exception_fp_ieee_inexact 0
		.amdhsa_exception_int_div_zero 0
	.end_amdhsa_kernel
	.section	.text._ZN7rocprim17ROCPRIM_400000_NS6detail17trampoline_kernelINS0_14default_configENS1_25partition_config_selectorILNS1_17partition_subalgoE1EjNS0_10empty_typeEbEEZZNS1_14partition_implILS5_1ELb0ES3_jN6thrust23THRUST_200600_302600_NS6detail15normal_iteratorINSA_10device_ptrIjEEEEPS6_NSA_18transform_iteratorI7is_evenIjESF_NSA_11use_defaultESK_EENS0_5tupleIJNSA_16discard_iteratorISK_EESO_EEENSM_IJSG_SG_EEES6_PlJS6_EEE10hipError_tPvRmT3_T4_T5_T6_T7_T9_mT8_P12ihipStream_tbDpT10_ENKUlT_T0_E_clISt17integral_constantIbLb1EES1B_EEDaS16_S17_EUlS16_E_NS1_11comp_targetILNS1_3genE0ELNS1_11target_archE4294967295ELNS1_3gpuE0ELNS1_3repE0EEENS1_30default_config_static_selectorELNS0_4arch9wavefront6targetE1EEEvT1_,"axG",@progbits,_ZN7rocprim17ROCPRIM_400000_NS6detail17trampoline_kernelINS0_14default_configENS1_25partition_config_selectorILNS1_17partition_subalgoE1EjNS0_10empty_typeEbEEZZNS1_14partition_implILS5_1ELb0ES3_jN6thrust23THRUST_200600_302600_NS6detail15normal_iteratorINSA_10device_ptrIjEEEEPS6_NSA_18transform_iteratorI7is_evenIjESF_NSA_11use_defaultESK_EENS0_5tupleIJNSA_16discard_iteratorISK_EESO_EEENSM_IJSG_SG_EEES6_PlJS6_EEE10hipError_tPvRmT3_T4_T5_T6_T7_T9_mT8_P12ihipStream_tbDpT10_ENKUlT_T0_E_clISt17integral_constantIbLb1EES1B_EEDaS16_S17_EUlS16_E_NS1_11comp_targetILNS1_3genE0ELNS1_11target_archE4294967295ELNS1_3gpuE0ELNS1_3repE0EEENS1_30default_config_static_selectorELNS0_4arch9wavefront6targetE1EEEvT1_,comdat
.Lfunc_end2979:
	.size	_ZN7rocprim17ROCPRIM_400000_NS6detail17trampoline_kernelINS0_14default_configENS1_25partition_config_selectorILNS1_17partition_subalgoE1EjNS0_10empty_typeEbEEZZNS1_14partition_implILS5_1ELb0ES3_jN6thrust23THRUST_200600_302600_NS6detail15normal_iteratorINSA_10device_ptrIjEEEEPS6_NSA_18transform_iteratorI7is_evenIjESF_NSA_11use_defaultESK_EENS0_5tupleIJNSA_16discard_iteratorISK_EESO_EEENSM_IJSG_SG_EEES6_PlJS6_EEE10hipError_tPvRmT3_T4_T5_T6_T7_T9_mT8_P12ihipStream_tbDpT10_ENKUlT_T0_E_clISt17integral_constantIbLb1EES1B_EEDaS16_S17_EUlS16_E_NS1_11comp_targetILNS1_3genE0ELNS1_11target_archE4294967295ELNS1_3gpuE0ELNS1_3repE0EEENS1_30default_config_static_selectorELNS0_4arch9wavefront6targetE1EEEvT1_, .Lfunc_end2979-_ZN7rocprim17ROCPRIM_400000_NS6detail17trampoline_kernelINS0_14default_configENS1_25partition_config_selectorILNS1_17partition_subalgoE1EjNS0_10empty_typeEbEEZZNS1_14partition_implILS5_1ELb0ES3_jN6thrust23THRUST_200600_302600_NS6detail15normal_iteratorINSA_10device_ptrIjEEEEPS6_NSA_18transform_iteratorI7is_evenIjESF_NSA_11use_defaultESK_EENS0_5tupleIJNSA_16discard_iteratorISK_EESO_EEENSM_IJSG_SG_EEES6_PlJS6_EEE10hipError_tPvRmT3_T4_T5_T6_T7_T9_mT8_P12ihipStream_tbDpT10_ENKUlT_T0_E_clISt17integral_constantIbLb1EES1B_EEDaS16_S17_EUlS16_E_NS1_11comp_targetILNS1_3genE0ELNS1_11target_archE4294967295ELNS1_3gpuE0ELNS1_3repE0EEENS1_30default_config_static_selectorELNS0_4arch9wavefront6targetE1EEEvT1_
                                        ; -- End function
	.section	.AMDGPU.csdata,"",@progbits
; Kernel info:
; codeLenInByte = 0
; NumSgprs: 6
; NumVgprs: 0
; NumAgprs: 0
; TotalNumVgprs: 0
; ScratchSize: 0
; MemoryBound: 0
; FloatMode: 240
; IeeeMode: 1
; LDSByteSize: 0 bytes/workgroup (compile time only)
; SGPRBlocks: 0
; VGPRBlocks: 0
; NumSGPRsForWavesPerEU: 6
; NumVGPRsForWavesPerEU: 1
; AccumOffset: 4
; Occupancy: 8
; WaveLimiterHint : 0
; COMPUTE_PGM_RSRC2:SCRATCH_EN: 0
; COMPUTE_PGM_RSRC2:USER_SGPR: 2
; COMPUTE_PGM_RSRC2:TRAP_HANDLER: 0
; COMPUTE_PGM_RSRC2:TGID_X_EN: 1
; COMPUTE_PGM_RSRC2:TGID_Y_EN: 0
; COMPUTE_PGM_RSRC2:TGID_Z_EN: 0
; COMPUTE_PGM_RSRC2:TIDIG_COMP_CNT: 0
; COMPUTE_PGM_RSRC3_GFX90A:ACCUM_OFFSET: 0
; COMPUTE_PGM_RSRC3_GFX90A:TG_SPLIT: 0
	.section	.text._ZN7rocprim17ROCPRIM_400000_NS6detail17trampoline_kernelINS0_14default_configENS1_25partition_config_selectorILNS1_17partition_subalgoE1EjNS0_10empty_typeEbEEZZNS1_14partition_implILS5_1ELb0ES3_jN6thrust23THRUST_200600_302600_NS6detail15normal_iteratorINSA_10device_ptrIjEEEEPS6_NSA_18transform_iteratorI7is_evenIjESF_NSA_11use_defaultESK_EENS0_5tupleIJNSA_16discard_iteratorISK_EESO_EEENSM_IJSG_SG_EEES6_PlJS6_EEE10hipError_tPvRmT3_T4_T5_T6_T7_T9_mT8_P12ihipStream_tbDpT10_ENKUlT_T0_E_clISt17integral_constantIbLb1EES1B_EEDaS16_S17_EUlS16_E_NS1_11comp_targetILNS1_3genE5ELNS1_11target_archE942ELNS1_3gpuE9ELNS1_3repE0EEENS1_30default_config_static_selectorELNS0_4arch9wavefront6targetE1EEEvT1_,"axG",@progbits,_ZN7rocprim17ROCPRIM_400000_NS6detail17trampoline_kernelINS0_14default_configENS1_25partition_config_selectorILNS1_17partition_subalgoE1EjNS0_10empty_typeEbEEZZNS1_14partition_implILS5_1ELb0ES3_jN6thrust23THRUST_200600_302600_NS6detail15normal_iteratorINSA_10device_ptrIjEEEEPS6_NSA_18transform_iteratorI7is_evenIjESF_NSA_11use_defaultESK_EENS0_5tupleIJNSA_16discard_iteratorISK_EESO_EEENSM_IJSG_SG_EEES6_PlJS6_EEE10hipError_tPvRmT3_T4_T5_T6_T7_T9_mT8_P12ihipStream_tbDpT10_ENKUlT_T0_E_clISt17integral_constantIbLb1EES1B_EEDaS16_S17_EUlS16_E_NS1_11comp_targetILNS1_3genE5ELNS1_11target_archE942ELNS1_3gpuE9ELNS1_3repE0EEENS1_30default_config_static_selectorELNS0_4arch9wavefront6targetE1EEEvT1_,comdat
	.protected	_ZN7rocprim17ROCPRIM_400000_NS6detail17trampoline_kernelINS0_14default_configENS1_25partition_config_selectorILNS1_17partition_subalgoE1EjNS0_10empty_typeEbEEZZNS1_14partition_implILS5_1ELb0ES3_jN6thrust23THRUST_200600_302600_NS6detail15normal_iteratorINSA_10device_ptrIjEEEEPS6_NSA_18transform_iteratorI7is_evenIjESF_NSA_11use_defaultESK_EENS0_5tupleIJNSA_16discard_iteratorISK_EESO_EEENSM_IJSG_SG_EEES6_PlJS6_EEE10hipError_tPvRmT3_T4_T5_T6_T7_T9_mT8_P12ihipStream_tbDpT10_ENKUlT_T0_E_clISt17integral_constantIbLb1EES1B_EEDaS16_S17_EUlS16_E_NS1_11comp_targetILNS1_3genE5ELNS1_11target_archE942ELNS1_3gpuE9ELNS1_3repE0EEENS1_30default_config_static_selectorELNS0_4arch9wavefront6targetE1EEEvT1_ ; -- Begin function _ZN7rocprim17ROCPRIM_400000_NS6detail17trampoline_kernelINS0_14default_configENS1_25partition_config_selectorILNS1_17partition_subalgoE1EjNS0_10empty_typeEbEEZZNS1_14partition_implILS5_1ELb0ES3_jN6thrust23THRUST_200600_302600_NS6detail15normal_iteratorINSA_10device_ptrIjEEEEPS6_NSA_18transform_iteratorI7is_evenIjESF_NSA_11use_defaultESK_EENS0_5tupleIJNSA_16discard_iteratorISK_EESO_EEENSM_IJSG_SG_EEES6_PlJS6_EEE10hipError_tPvRmT3_T4_T5_T6_T7_T9_mT8_P12ihipStream_tbDpT10_ENKUlT_T0_E_clISt17integral_constantIbLb1EES1B_EEDaS16_S17_EUlS16_E_NS1_11comp_targetILNS1_3genE5ELNS1_11target_archE942ELNS1_3gpuE9ELNS1_3repE0EEENS1_30default_config_static_selectorELNS0_4arch9wavefront6targetE1EEEvT1_
	.globl	_ZN7rocprim17ROCPRIM_400000_NS6detail17trampoline_kernelINS0_14default_configENS1_25partition_config_selectorILNS1_17partition_subalgoE1EjNS0_10empty_typeEbEEZZNS1_14partition_implILS5_1ELb0ES3_jN6thrust23THRUST_200600_302600_NS6detail15normal_iteratorINSA_10device_ptrIjEEEEPS6_NSA_18transform_iteratorI7is_evenIjESF_NSA_11use_defaultESK_EENS0_5tupleIJNSA_16discard_iteratorISK_EESO_EEENSM_IJSG_SG_EEES6_PlJS6_EEE10hipError_tPvRmT3_T4_T5_T6_T7_T9_mT8_P12ihipStream_tbDpT10_ENKUlT_T0_E_clISt17integral_constantIbLb1EES1B_EEDaS16_S17_EUlS16_E_NS1_11comp_targetILNS1_3genE5ELNS1_11target_archE942ELNS1_3gpuE9ELNS1_3repE0EEENS1_30default_config_static_selectorELNS0_4arch9wavefront6targetE1EEEvT1_
	.p2align	8
	.type	_ZN7rocprim17ROCPRIM_400000_NS6detail17trampoline_kernelINS0_14default_configENS1_25partition_config_selectorILNS1_17partition_subalgoE1EjNS0_10empty_typeEbEEZZNS1_14partition_implILS5_1ELb0ES3_jN6thrust23THRUST_200600_302600_NS6detail15normal_iteratorINSA_10device_ptrIjEEEEPS6_NSA_18transform_iteratorI7is_evenIjESF_NSA_11use_defaultESK_EENS0_5tupleIJNSA_16discard_iteratorISK_EESO_EEENSM_IJSG_SG_EEES6_PlJS6_EEE10hipError_tPvRmT3_T4_T5_T6_T7_T9_mT8_P12ihipStream_tbDpT10_ENKUlT_T0_E_clISt17integral_constantIbLb1EES1B_EEDaS16_S17_EUlS16_E_NS1_11comp_targetILNS1_3genE5ELNS1_11target_archE942ELNS1_3gpuE9ELNS1_3repE0EEENS1_30default_config_static_selectorELNS0_4arch9wavefront6targetE1EEEvT1_,@function
_ZN7rocprim17ROCPRIM_400000_NS6detail17trampoline_kernelINS0_14default_configENS1_25partition_config_selectorILNS1_17partition_subalgoE1EjNS0_10empty_typeEbEEZZNS1_14partition_implILS5_1ELb0ES3_jN6thrust23THRUST_200600_302600_NS6detail15normal_iteratorINSA_10device_ptrIjEEEEPS6_NSA_18transform_iteratorI7is_evenIjESF_NSA_11use_defaultESK_EENS0_5tupleIJNSA_16discard_iteratorISK_EESO_EEENSM_IJSG_SG_EEES6_PlJS6_EEE10hipError_tPvRmT3_T4_T5_T6_T7_T9_mT8_P12ihipStream_tbDpT10_ENKUlT_T0_E_clISt17integral_constantIbLb1EES1B_EEDaS16_S17_EUlS16_E_NS1_11comp_targetILNS1_3genE5ELNS1_11target_archE942ELNS1_3gpuE9ELNS1_3repE0EEENS1_30default_config_static_selectorELNS0_4arch9wavefront6targetE1EEEvT1_: ; @_ZN7rocprim17ROCPRIM_400000_NS6detail17trampoline_kernelINS0_14default_configENS1_25partition_config_selectorILNS1_17partition_subalgoE1EjNS0_10empty_typeEbEEZZNS1_14partition_implILS5_1ELb0ES3_jN6thrust23THRUST_200600_302600_NS6detail15normal_iteratorINSA_10device_ptrIjEEEEPS6_NSA_18transform_iteratorI7is_evenIjESF_NSA_11use_defaultESK_EENS0_5tupleIJNSA_16discard_iteratorISK_EESO_EEENSM_IJSG_SG_EEES6_PlJS6_EEE10hipError_tPvRmT3_T4_T5_T6_T7_T9_mT8_P12ihipStream_tbDpT10_ENKUlT_T0_E_clISt17integral_constantIbLb1EES1B_EEDaS16_S17_EUlS16_E_NS1_11comp_targetILNS1_3genE5ELNS1_11target_archE942ELNS1_3gpuE9ELNS1_3repE0EEENS1_30default_config_static_selectorELNS0_4arch9wavefront6targetE1EEEvT1_
; %bb.0:
	s_load_dwordx2 s[2:3], s[0:1], 0x20
	s_load_dwordx4 s[20:23], s[0:1], 0x60
	s_load_dwordx2 s[10:11], s[0:1], 0x70
	s_load_dwordx2 s[24:25], s[0:1], 0x80
	v_cmp_eq_u32_e64 s[18:19], 0, v0
	s_and_saveexec_b64 s[4:5], s[18:19]
	s_cbranch_execz .LBB2980_4
; %bb.1:
	s_mov_b64 s[8:9], exec
	v_mbcnt_lo_u32_b32 v1, s8, 0
	v_mbcnt_hi_u32_b32 v1, s9, v1
	v_cmp_eq_u32_e32 vcc, 0, v1
                                        ; implicit-def: $vgpr2
	s_and_saveexec_b64 s[6:7], vcc
	s_cbranch_execz .LBB2980_3
; %bb.2:
	s_load_dwordx2 s[12:13], s[0:1], 0x90
	s_bcnt1_i32_b64 s8, s[8:9]
	v_mov_b32_e32 v2, 0
	v_mov_b32_e32 v3, s8
	s_waitcnt lgkmcnt(0)
	global_atomic_add v2, v2, v3, s[12:13] sc0
.LBB2980_3:
	s_or_b64 exec, exec, s[6:7]
	s_waitcnt vmcnt(0)
	v_readfirstlane_b32 s6, v2
	v_mov_b32_e32 v2, 0
	s_nop 0
	v_add_u32_e32 v1, s6, v1
	ds_write_b32 v2, v1
.LBB2980_4:
	s_or_b64 exec, exec, s[4:5]
	v_mov_b32_e32 v3, 0
	s_load_dwordx4 s[4:7], s[0:1], 0x8
	s_load_dword s12, s[0:1], 0x88
	s_waitcnt lgkmcnt(0)
	s_barrier
	ds_read_b32 v1, v3
	s_waitcnt lgkmcnt(0)
	s_barrier
	global_load_dwordx2 v[22:23], v3, s[22:23]
	s_lshl_b64 s[8:9], s[6:7], 2
	v_mov_b32_e32 v5, s11
	s_add_u32 s11, s4, s8
	s_mul_i32 s4, s12, 0x1e00
	s_addc_u32 s13, s5, s9
	s_add_i32 s1, s4, s6
	s_sub_i32 s14, s10, s1
	s_add_i32 s15, s12, -1
	s_addk_i32 s14, 0x1e00
	s_add_u32 s4, s6, s4
	v_readfirstlane_b32 s30, v1
	s_addc_u32 s5, s7, 0
	s_cmp_eq_u32 s30, s15
	v_mov_b32_e32 v4, s10
	s_cselect_b64 s[22:23], -1, 0
	s_cmp_lg_u32 s30, s15
	s_mul_i32 s0, s30, 0x1e00
	s_mov_b32 s1, 0
	v_cmp_lt_u64_e32 vcc, s[4:5], v[4:5]
	s_cselect_b64 s[4:5], -1, 0
	s_or_b64 s[4:5], vcc, s[4:5]
	s_lshl_b64 s[6:7], s[0:1], 2
	s_add_u32 s10, s11, s6
	s_addc_u32 s11, s13, s7
	s_mov_b64 s[0:1], -1
	s_and_b64 vcc, exec, s[4:5]
	s_cbranch_vccz .LBB2980_6
; %bb.5:
	v_lshlrev_b32_e32 v2, 2, v0
	v_lshl_add_u64 v[4:5], s[10:11], 0, v[2:3]
	v_add_co_u32_e32 v6, vcc, 0x1000, v4
	s_mov_b64 s[0:1], 0
	s_nop 0
	v_addc_co_u32_e32 v7, vcc, 0, v5, vcc
	v_add_co_u32_e32 v8, vcc, 0x2000, v4
	s_nop 1
	v_addc_co_u32_e32 v9, vcc, 0, v5, vcc
	v_add_co_u32_e32 v10, vcc, 0x3000, v4
	s_nop 1
	v_addc_co_u32_e32 v11, vcc, 0, v5, vcc
	flat_load_dword v1, v[4:5]
	flat_load_dword v3, v[4:5] offset:2048
	flat_load_dword v12, v[6:7]
	flat_load_dword v13, v[6:7] offset:2048
	;; [unrolled: 2-line block ×4, first 2 shown]
	v_add_co_u32_e32 v6, vcc, 0x4000, v4
	s_nop 1
	v_addc_co_u32_e32 v7, vcc, 0, v5, vcc
	v_add_co_u32_e32 v8, vcc, 0x5000, v4
	s_nop 1
	v_addc_co_u32_e32 v9, vcc, 0, v5, vcc
	;; [unrolled: 3-line block ×4, first 2 shown]
	flat_load_dword v18, v[6:7]
	flat_load_dword v19, v[6:7] offset:2048
	flat_load_dword v20, v[8:9]
	flat_load_dword v21, v[8:9] offset:2048
	;; [unrolled: 2-line block ×3, first 2 shown]
	flat_load_dword v26, v[4:5]
	s_waitcnt vmcnt(0) lgkmcnt(0)
	ds_write2st64_b32 v2, v1, v3 offset1:8
	ds_write2st64_b32 v2, v12, v13 offset0:16 offset1:24
	ds_write2st64_b32 v2, v14, v15 offset0:32 offset1:40
	;; [unrolled: 1-line block ×6, first 2 shown]
	ds_write_b32 v2, v26 offset:28672
	s_waitcnt lgkmcnt(0)
	s_barrier
.LBB2980_6:
	s_andn2_b64 vcc, exec, s[0:1]
	v_cmp_gt_u32_e64 s[0:1], s14, v0
	s_cbranch_vccnz .LBB2980_38
; %bb.7:
                                        ; implicit-def: $vgpr2_vgpr3_vgpr4_vgpr5_vgpr6_vgpr7_vgpr8_vgpr9_vgpr10_vgpr11_vgpr12_vgpr13_vgpr14_vgpr15_vgpr16_vgpr17
	s_and_saveexec_b64 s[12:13], s[0:1]
	s_cbranch_execz .LBB2980_9
; %bb.8:
	v_lshlrev_b32_e32 v2, 2, v0
	v_mov_b32_e32 v3, 0
	v_lshl_add_u64 v[2:3], s[10:11], 0, v[2:3]
	flat_load_dword v2, v[2:3]
.LBB2980_9:
	s_or_b64 exec, exec, s[12:13]
	v_or_b32_e32 v1, 0x200, v0
	v_cmp_gt_u32_e32 vcc, s14, v1
	s_and_saveexec_b64 s[0:1], vcc
	s_cbranch_execz .LBB2980_11
; %bb.10:
	v_lshlrev_b32_e32 v18, 2, v0
	v_mov_b32_e32 v19, 0
	v_lshl_add_u64 v[18:19], s[10:11], 0, v[18:19]
	flat_load_dword v3, v[18:19] offset:2048
.LBB2980_11:
	s_or_b64 exec, exec, s[0:1]
	v_or_b32_e32 v1, 0x400, v0
	v_cmp_gt_u32_e32 vcc, s14, v1
	s_and_saveexec_b64 s[0:1], vcc
	s_cbranch_execz .LBB2980_13
; %bb.12:
	v_lshlrev_b32_e32 v18, 2, v1
	v_mov_b32_e32 v19, 0
	v_lshl_add_u64 v[18:19], s[10:11], 0, v[18:19]
	flat_load_dword v4, v[18:19]
.LBB2980_13:
	s_or_b64 exec, exec, s[0:1]
	v_or_b32_e32 v1, 0x600, v0
	v_cmp_gt_u32_e32 vcc, s14, v1
	s_and_saveexec_b64 s[0:1], vcc
	s_cbranch_execz .LBB2980_15
; %bb.14:
	v_lshlrev_b32_e32 v18, 2, v1
	v_mov_b32_e32 v19, 0
	v_lshl_add_u64 v[18:19], s[10:11], 0, v[18:19]
	flat_load_dword v5, v[18:19]
.LBB2980_15:
	;; [unrolled: 11-line block ×13, first 2 shown]
	s_or_b64 exec, exec, s[0:1]
	v_lshlrev_b32_e32 v1, 2, v0
	s_waitcnt vmcnt(0) lgkmcnt(0)
	ds_write2st64_b32 v1, v2, v3 offset1:8
	ds_write2st64_b32 v1, v4, v5 offset0:16 offset1:24
	ds_write2st64_b32 v1, v6, v7 offset0:32 offset1:40
	;; [unrolled: 1-line block ×6, first 2 shown]
	ds_write_b32 v1, v16 offset:28672
	s_waitcnt lgkmcnt(0)
	s_barrier
.LBB2980_38:
	v_mul_u32_u24_e32 v21, 15, v0
	v_lshlrev_b32_e32 v1, 2, v21
	ds_read2_b32 v[36:37], v1 offset1:1
	ds_read2_b32 v[34:35], v1 offset0:2 offset1:3
	ds_read2_b32 v[32:33], v1 offset0:4 offset1:5
	;; [unrolled: 1-line block ×6, first 2 shown]
	ds_read_b32 v1, v1 offset:56
	s_add_u32 s0, s2, s8
	s_addc_u32 s1, s3, s9
	s_add_u32 s0, s0, s6
	s_addc_u32 s1, s1, s7
	s_mov_b64 s[2:3], -1
	s_and_b64 vcc, exec, s[4:5]
	s_waitcnt lgkmcnt(0)
	s_barrier
	s_cbranch_vccz .LBB2980_40
; %bb.39:
	v_lshlrev_b32_e32 v2, 2, v0
	v_mov_b32_e32 v3, 0
	v_lshl_add_u64 v[4:5], s[0:1], 0, v[2:3]
	global_load_dword v8, v2, s[0:1]
	global_load_dword v9, v2, s[0:1] offset:2048
	v_add_co_u32_e32 v2, vcc, 0x1000, v4
	s_mov_b64 s[2:3], 0
	s_nop 0
	v_addc_co_u32_e32 v3, vcc, 0, v5, vcc
	v_add_co_u32_e32 v6, vcc, 0x2000, v4
	s_nop 1
	v_addc_co_u32_e32 v7, vcc, 0, v5, vcc
	global_load_dword v10, v[2:3], off
	global_load_dword v11, v[2:3], off offset:2048
	global_load_dword v12, v[6:7], off
	global_load_dword v13, v[6:7], off offset:2048
	v_add_co_u32_e32 v2, vcc, 0x3000, v4
	s_nop 1
	v_addc_co_u32_e32 v3, vcc, 0, v5, vcc
	v_add_co_u32_e32 v6, vcc, 0x4000, v4
	s_nop 1
	v_addc_co_u32_e32 v7, vcc, 0, v5, vcc
	global_load_dword v14, v[2:3], off
	global_load_dword v15, v[2:3], off offset:2048
	global_load_dword v16, v[6:7], off
	global_load_dword v17, v[6:7], off offset:2048
	v_add_co_u32_e32 v2, vcc, 0x5000, v4
	s_nop 1
	v_addc_co_u32_e32 v3, vcc, 0, v5, vcc
	global_load_dword v6, v[2:3], off
	global_load_dword v7, v[2:3], off offset:2048
	v_add_co_u32_e32 v2, vcc, 0x6000, v4
	s_waitcnt vmcnt(1)
	v_xor_b32_e32 v6, -1, v6
	v_addc_co_u32_e32 v3, vcc, 0, v5, vcc
	global_load_dword v18, v[2:3], off
	global_load_dword v19, v[2:3], off offset:2048
	v_add_co_u32_e32 v2, vcc, 0x7000, v4
	v_xor_b32_e32 v4, -1, v9
	s_nop 0
	v_addc_co_u32_e32 v3, vcc, 0, v5, vcc
	global_load_dword v2, v[2:3], off
	v_xor_b32_e32 v3, -1, v8
	v_and_b32_e32 v3, 1, v3
	v_and_b32_e32 v4, 1, v4
	ds_write_b8 v0, v3
	ds_write_b8 v0, v4 offset:512
	v_xor_b32_e32 v3, -1, v10
	v_xor_b32_e32 v4, -1, v11
	v_and_b32_e32 v3, 1, v3
	v_and_b32_e32 v4, 1, v4
	v_xor_b32_e32 v5, -1, v12
	v_xor_b32_e32 v8, -1, v13
	;; [unrolled: 1-line block ×4, first 2 shown]
	v_and_b32_e32 v5, 1, v5
	v_and_b32_e32 v8, 1, v8
	ds_write_b8 v0, v3 offset:1024
	ds_write_b8 v0, v4 offset:1536
	v_and_b32_e32 v3, 1, v9
	v_and_b32_e32 v4, 1, v10
	v_xor_b32_e32 v9, -1, v16
	v_xor_b32_e32 v10, -1, v17
	s_waitcnt vmcnt(3)
	v_xor_b32_e32 v7, -1, v7
	ds_write_b8 v0, v5 offset:2048
	ds_write_b8 v0, v8 offset:2560
	v_and_b32_e32 v5, 1, v9
	v_and_b32_e32 v8, 1, v10
	ds_write_b8 v0, v3 offset:3072
	ds_write_b8 v0, v4 offset:3584
	v_and_b32_e32 v3, 1, v6
	v_and_b32_e32 v4, 1, v7
	ds_write_b8 v0, v5 offset:4096
	s_waitcnt vmcnt(2)
	v_xor_b32_e32 v6, -1, v18
	s_waitcnt vmcnt(1)
	v_xor_b32_e32 v7, -1, v19
	v_and_b32_e32 v5, 1, v6
	v_and_b32_e32 v6, 1, v7
	s_waitcnt vmcnt(0)
	v_xor_b32_e32 v2, -1, v2
	v_and_b32_e32 v2, 1, v2
	ds_write_b8 v0, v8 offset:4608
	ds_write_b8 v0, v3 offset:5120
	;; [unrolled: 1-line block ×6, first 2 shown]
	s_waitcnt lgkmcnt(0)
	s_barrier
.LBB2980_40:
	s_andn2_b64 vcc, exec, s[2:3]
	s_cbranch_vccnz .LBB2980_72
; %bb.41:
	v_cmp_gt_u32_e32 vcc, s14, v0
	v_mov_b32_e32 v2, 0
	v_mov_b32_e32 v3, 0
	s_and_saveexec_b64 s[2:3], vcc
	s_cbranch_execz .LBB2980_43
; %bb.42:
	v_lshlrev_b32_e32 v3, 2, v0
	global_load_dword v3, v3, s[0:1]
	s_waitcnt vmcnt(0)
	v_xor_b32_e32 v3, -1, v3
	v_and_b32_e32 v3, 1, v3
.LBB2980_43:
	s_or_b64 exec, exec, s[2:3]
	v_or_b32_e32 v4, 0x200, v0
	v_cmp_gt_u32_e32 vcc, s14, v4
	s_and_saveexec_b64 s[2:3], vcc
	s_cbranch_execz .LBB2980_45
; %bb.44:
	v_lshlrev_b32_e32 v2, 2, v0
	global_load_dword v2, v2, s[0:1] offset:2048
	s_waitcnt vmcnt(0)
	v_xor_b32_e32 v2, -1, v2
	v_and_b32_e32 v2, 1, v2
.LBB2980_45:
	s_or_b64 exec, exec, s[2:3]
	v_or_b32_e32 v6, 0x400, v0
	v_cmp_gt_u32_e32 vcc, s14, v6
	v_mov_b32_e32 v4, 0
	v_mov_b32_e32 v5, 0
	s_and_saveexec_b64 s[2:3], vcc
	s_cbranch_execz .LBB2980_47
; %bb.46:
	v_lshlrev_b32_e32 v5, 2, v6
	global_load_dword v5, v5, s[0:1]
	s_waitcnt vmcnt(0)
	v_xor_b32_e32 v5, -1, v5
	v_and_b32_e32 v5, 1, v5
.LBB2980_47:
	s_or_b64 exec, exec, s[2:3]
	v_or_b32_e32 v6, 0x600, v0
	v_cmp_gt_u32_e32 vcc, s14, v6
	s_and_saveexec_b64 s[2:3], vcc
	s_cbranch_execz .LBB2980_49
; %bb.48:
	v_lshlrev_b32_e32 v4, 2, v6
	global_load_dword v4, v4, s[0:1]
	s_waitcnt vmcnt(0)
	v_xor_b32_e32 v4, -1, v4
	v_and_b32_e32 v4, 1, v4
.LBB2980_49:
	s_or_b64 exec, exec, s[2:3]
	v_or_b32_e32 v8, 0x800, v0
	v_cmp_gt_u32_e32 vcc, s14, v8
	v_mov_b32_e32 v6, 0
	v_mov_b32_e32 v7, 0
	s_and_saveexec_b64 s[2:3], vcc
	s_cbranch_execz .LBB2980_51
; %bb.50:
	v_lshlrev_b32_e32 v7, 2, v8
	global_load_dword v7, v7, s[0:1]
	s_waitcnt vmcnt(0)
	v_xor_b32_e32 v7, -1, v7
	v_and_b32_e32 v7, 1, v7
.LBB2980_51:
	s_or_b64 exec, exec, s[2:3]
	v_or_b32_e32 v8, 0xa00, v0
	v_cmp_gt_u32_e32 vcc, s14, v8
	s_and_saveexec_b64 s[2:3], vcc
	s_cbranch_execz .LBB2980_53
; %bb.52:
	v_lshlrev_b32_e32 v6, 2, v8
	global_load_dword v6, v6, s[0:1]
	s_waitcnt vmcnt(0)
	v_xor_b32_e32 v6, -1, v6
	v_and_b32_e32 v6, 1, v6
.LBB2980_53:
	s_or_b64 exec, exec, s[2:3]
	v_or_b32_e32 v10, 0xc00, v0
	v_cmp_gt_u32_e32 vcc, s14, v10
	v_mov_b32_e32 v8, 0
	v_mov_b32_e32 v9, 0
	s_and_saveexec_b64 s[2:3], vcc
	s_cbranch_execz .LBB2980_55
; %bb.54:
	v_lshlrev_b32_e32 v9, 2, v10
	global_load_dword v9, v9, s[0:1]
	s_waitcnt vmcnt(0)
	v_xor_b32_e32 v9, -1, v9
	v_and_b32_e32 v9, 1, v9
.LBB2980_55:
	s_or_b64 exec, exec, s[2:3]
	v_or_b32_e32 v10, 0xe00, v0
	v_cmp_gt_u32_e32 vcc, s14, v10
	s_and_saveexec_b64 s[2:3], vcc
	s_cbranch_execz .LBB2980_57
; %bb.56:
	v_lshlrev_b32_e32 v8, 2, v10
	global_load_dword v8, v8, s[0:1]
	s_waitcnt vmcnt(0)
	v_xor_b32_e32 v8, -1, v8
	v_and_b32_e32 v8, 1, v8
.LBB2980_57:
	s_or_b64 exec, exec, s[2:3]
	v_or_b32_e32 v12, 0x1000, v0
	v_cmp_gt_u32_e32 vcc, s14, v12
	v_mov_b32_e32 v10, 0
	v_mov_b32_e32 v11, 0
	s_and_saveexec_b64 s[2:3], vcc
	s_cbranch_execz .LBB2980_59
; %bb.58:
	v_lshlrev_b32_e32 v11, 2, v12
	global_load_dword v11, v11, s[0:1]
	s_waitcnt vmcnt(0)
	v_xor_b32_e32 v11, -1, v11
	v_and_b32_e32 v11, 1, v11
.LBB2980_59:
	s_or_b64 exec, exec, s[2:3]
	v_or_b32_e32 v12, 0x1200, v0
	v_cmp_gt_u32_e32 vcc, s14, v12
	s_and_saveexec_b64 s[2:3], vcc
	s_cbranch_execz .LBB2980_61
; %bb.60:
	v_lshlrev_b32_e32 v10, 2, v12
	global_load_dword v10, v10, s[0:1]
	s_waitcnt vmcnt(0)
	v_xor_b32_e32 v10, -1, v10
	v_and_b32_e32 v10, 1, v10
.LBB2980_61:
	s_or_b64 exec, exec, s[2:3]
	v_or_b32_e32 v14, 0x1400, v0
	v_cmp_gt_u32_e32 vcc, s14, v14
	v_mov_b32_e32 v12, 0
	v_mov_b32_e32 v13, 0
	s_and_saveexec_b64 s[2:3], vcc
	s_cbranch_execz .LBB2980_63
; %bb.62:
	v_lshlrev_b32_e32 v13, 2, v14
	global_load_dword v13, v13, s[0:1]
	s_waitcnt vmcnt(0)
	v_xor_b32_e32 v13, -1, v13
	v_and_b32_e32 v13, 1, v13
.LBB2980_63:
	s_or_b64 exec, exec, s[2:3]
	v_or_b32_e32 v14, 0x1600, v0
	v_cmp_gt_u32_e32 vcc, s14, v14
	s_and_saveexec_b64 s[2:3], vcc
	s_cbranch_execz .LBB2980_65
; %bb.64:
	v_lshlrev_b32_e32 v12, 2, v14
	global_load_dword v12, v12, s[0:1]
	s_waitcnt vmcnt(0)
	v_xor_b32_e32 v12, -1, v12
	v_and_b32_e32 v12, 1, v12
.LBB2980_65:
	s_or_b64 exec, exec, s[2:3]
	v_or_b32_e32 v16, 0x1800, v0
	v_cmp_gt_u32_e32 vcc, s14, v16
	v_mov_b32_e32 v14, 0
	v_mov_b32_e32 v15, 0
	s_and_saveexec_b64 s[2:3], vcc
	s_cbranch_execz .LBB2980_67
; %bb.66:
	v_lshlrev_b32_e32 v15, 2, v16
	global_load_dword v15, v15, s[0:1]
	s_waitcnt vmcnt(0)
	v_xor_b32_e32 v15, -1, v15
	v_and_b32_e32 v15, 1, v15
.LBB2980_67:
	s_or_b64 exec, exec, s[2:3]
	v_or_b32_e32 v16, 0x1a00, v0
	v_cmp_gt_u32_e32 vcc, s14, v16
	s_and_saveexec_b64 s[2:3], vcc
	s_cbranch_execz .LBB2980_69
; %bb.68:
	v_lshlrev_b32_e32 v14, 2, v16
	global_load_dword v14, v14, s[0:1]
	s_waitcnt vmcnt(0)
	v_xor_b32_e32 v14, -1, v14
	v_and_b32_e32 v14, 1, v14
.LBB2980_69:
	s_or_b64 exec, exec, s[2:3]
	v_or_b32_e32 v17, 0x1c00, v0
	v_cmp_gt_u32_e32 vcc, s14, v17
	v_mov_b32_e32 v16, 0
	s_and_saveexec_b64 s[2:3], vcc
	s_cbranch_execz .LBB2980_71
; %bb.70:
	v_lshlrev_b32_e32 v16, 2, v17
	global_load_dword v16, v16, s[0:1]
	s_waitcnt vmcnt(0)
	v_xor_b32_e32 v16, -1, v16
	v_and_b32_e32 v16, 1, v16
.LBB2980_71:
	s_or_b64 exec, exec, s[2:3]
	ds_write_b8 v0, v3
	ds_write_b8 v0, v2 offset:512
	ds_write_b8 v0, v5 offset:1024
	;; [unrolled: 1-line block ×14, first 2 shown]
	s_waitcnt lgkmcnt(0)
	s_barrier
.LBB2980_72:
	ds_read_b96 v[18:20], v21
	ds_read_u8 v2, v21 offset:12
	ds_read_u8 v3, v21 offset:13
	;; [unrolled: 1-line block ×3, first 2 shown]
	s_cmp_lg_u32 s30, 0
	v_lshrrev_b32_e32 v56, 6, v0
	s_waitcnt lgkmcnt(2)
	v_and_b32_e32 v43, 1, v2
	v_and_b32_e32 v52, 0xff, v18
	v_bfe_u32 v53, v18, 8, 8
	v_bfe_u32 v54, v18, 16, 8
	v_lshrrev_b32_e32 v45, 24, v18
	v_and_b32_e32 v49, 0xff, v19
	v_add3_u32 v2, v53, v52, v54
	v_bfe_u32 v50, v19, 8, 8
	v_bfe_u32 v51, v19, 16, 8
	v_add3_u32 v2, v2, v45, v49
	v_lshrrev_b32_e32 v44, 24, v19
	v_and_b32_e32 v46, 0xff, v20
	v_add3_u32 v2, v2, v50, v51
	v_bfe_u32 v47, v20, 8, 8
	v_bfe_u32 v48, v20, 16, 8
	v_add3_u32 v2, v2, v44, v46
	v_lshrrev_b32_e32 v42, 24, v20
	v_add3_u32 v2, v2, v47, v48
	s_waitcnt lgkmcnt(1)
	v_and_b32_e32 v41, 1, v3
	s_waitcnt lgkmcnt(0)
	v_and_b32_e32 v40, 1, v4
	v_add3_u32 v2, v2, v42, v43
	v_add3_u32 v57, v2, v41, v40
	v_mbcnt_lo_u32_b32 v2, -1, 0
	v_mbcnt_hi_u32_b32 v55, -1, v2
	v_and_b32_e32 v2, 15, v55
	v_cmp_eq_u32_e64 s[14:15], 0, v2
	v_cmp_lt_u32_e64 s[12:13], 1, v2
	v_cmp_lt_u32_e64 s[10:11], 3, v2
	;; [unrolled: 1-line block ×3, first 2 shown]
	v_and_b32_e32 v2, 16, v55
	v_cmp_eq_u32_e64 s[6:7], 0, v2
	v_or_b32_e32 v2, 63, v0
	v_cmp_lt_u32_e64 s[2:3], 31, v55
	v_cmp_eq_u32_e64 s[4:5], v2, v0
	s_barrier
	s_cbranch_scc0 .LBB2980_103
; %bb.73:
	v_mov_b32_dpp v2, v57 row_shr:1 row_mask:0xf bank_mask:0xf
	v_cndmask_b32_e64 v2, v2, 0, s[14:15]
	v_add_u32_e32 v2, v2, v57
	s_nop 1
	v_mov_b32_dpp v3, v2 row_shr:2 row_mask:0xf bank_mask:0xf
	v_cndmask_b32_e64 v3, 0, v3, s[12:13]
	v_add_u32_e32 v2, v2, v3
	s_nop 1
	;; [unrolled: 4-line block ×4, first 2 shown]
	v_mov_b32_dpp v3, v2 row_bcast:15 row_mask:0xf bank_mask:0xf
	v_cndmask_b32_e64 v3, v3, 0, s[6:7]
	v_add_u32_e32 v2, v2, v3
	s_nop 1
	v_mov_b32_dpp v3, v2 row_bcast:31 row_mask:0xf bank_mask:0xf
	v_cndmask_b32_e64 v3, 0, v3, s[2:3]
	v_add_u32_e32 v2, v2, v3
	s_and_saveexec_b64 s[0:1], s[4:5]
	s_cbranch_execz .LBB2980_75
; %bb.74:
	v_lshlrev_b32_e32 v3, 2, v56
	ds_write_b32 v3, v2
.LBB2980_75:
	s_or_b64 exec, exec, s[0:1]
	v_cmp_gt_u32_e32 vcc, 8, v0
	s_waitcnt lgkmcnt(0)
	s_barrier
	s_and_saveexec_b64 s[0:1], vcc
	s_cbranch_execz .LBB2980_77
; %bb.76:
	v_lshlrev_b32_e32 v3, 2, v0
	ds_read_b32 v4, v3
	v_and_b32_e32 v5, 7, v55
	v_cmp_ne_u32_e32 vcc, 0, v5
	s_waitcnt lgkmcnt(0)
	v_mov_b32_dpp v6, v4 row_shr:1 row_mask:0xf bank_mask:0xf
	v_cndmask_b32_e32 v6, 0, v6, vcc
	v_add_u32_e32 v4, v6, v4
	v_cmp_lt_u32_e32 vcc, 1, v5
	s_nop 0
	v_mov_b32_dpp v6, v4 row_shr:2 row_mask:0xf bank_mask:0xf
	v_cndmask_b32_e32 v6, 0, v6, vcc
	v_add_u32_e32 v4, v4, v6
	v_cmp_lt_u32_e32 vcc, 3, v5
	s_nop 0
	v_mov_b32_dpp v6, v4 row_shr:4 row_mask:0xf bank_mask:0xf
	v_cndmask_b32_e32 v5, 0, v6, vcc
	v_add_u32_e32 v4, v4, v5
	ds_write_b32 v3, v4
.LBB2980_77:
	s_or_b64 exec, exec, s[0:1]
	v_cmp_gt_u32_e32 vcc, 64, v0
	v_cmp_lt_u32_e64 s[0:1], 63, v0
	s_waitcnt lgkmcnt(0)
	s_barrier
	s_waitcnt lgkmcnt(0)
                                        ; implicit-def: $vgpr12
	s_and_saveexec_b64 s[16:17], s[0:1]
	s_cbranch_execz .LBB2980_79
; %bb.78:
	v_lshl_add_u32 v3, v56, 2, -4
	ds_read_b32 v12, v3
	s_waitcnt lgkmcnt(0)
	v_add_u32_e32 v2, v12, v2
.LBB2980_79:
	s_or_b64 exec, exec, s[16:17]
	v_add_u32_e32 v3, -1, v55
	v_and_b32_e32 v4, 64, v55
	v_cmp_lt_i32_e64 s[0:1], v3, v4
	v_cmp_eq_u32_e64 s[16:17], 0, v55
	s_nop 0
	v_cndmask_b32_e64 v3, v3, v55, s[0:1]
	v_lshlrev_b32_e32 v3, 2, v3
	ds_bpermute_b32 v13, v3, v2
	s_and_saveexec_b64 s[0:1], vcc
	s_cbranch_execz .LBB2980_102
; %bb.80:
	v_mov_b32_e32 v11, 0
	ds_read_b32 v2, v11 offset:28
	s_and_saveexec_b64 s[26:27], s[16:17]
	s_cbranch_execz .LBB2980_82
; %bb.81:
	s_add_i32 s28, s30, 64
	s_mov_b32 s29, 0
	s_lshl_b64 s[28:29], s[28:29], 3
	s_add_u32 s28, s24, s28
	v_mov_b32_e32 v3, 1
	s_addc_u32 s29, s25, s29
	s_waitcnt lgkmcnt(0)
	global_store_dwordx2 v11, v[2:3], s[28:29] sc1
.LBB2980_82:
	s_or_b64 exec, exec, s[26:27]
	v_xad_u32 v4, v55, -1, s30
	v_add_u32_e32 v10, 64, v4
	v_lshl_add_u64 v[6:7], v[10:11], 3, s[24:25]
	global_load_dwordx2 v[8:9], v[6:7], off sc1
	s_waitcnt vmcnt(0)
	v_cmp_eq_u16_sdwa s[28:29], v9, v11 src0_sel:BYTE_0 src1_sel:DWORD
	s_and_saveexec_b64 s[26:27], s[28:29]
	s_cbranch_execz .LBB2980_88
; %bb.83:
	s_mov_b32 s31, 1
	s_mov_b64 s[28:29], 0
	v_mov_b32_e32 v3, 0
.LBB2980_84:                            ; =>This Loop Header: Depth=1
                                        ;     Child Loop BB2980_85 Depth 2
	s_max_u32 s33, s31, 1
.LBB2980_85:                            ;   Parent Loop BB2980_84 Depth=1
                                        ; =>  This Inner Loop Header: Depth=2
	s_add_i32 s33, s33, -1
	s_cmp_eq_u32 s33, 0
	s_sleep 1
	s_cbranch_scc0 .LBB2980_85
; %bb.86:                               ;   in Loop: Header=BB2980_84 Depth=1
	global_load_dwordx2 v[8:9], v[6:7], off sc1
	s_cmp_lt_u32 s31, 32
	s_cselect_b64 s[34:35], -1, 0
	s_cmp_lg_u64 s[34:35], 0
	s_addc_u32 s31, s31, 0
	s_waitcnt vmcnt(0)
	v_cmp_ne_u16_sdwa s[34:35], v9, v3 src0_sel:BYTE_0 src1_sel:DWORD
	s_or_b64 s[28:29], s[34:35], s[28:29]
	s_andn2_b64 exec, exec, s[28:29]
	s_cbranch_execnz .LBB2980_84
; %bb.87:
	s_or_b64 exec, exec, s[28:29]
.LBB2980_88:
	s_or_b64 exec, exec, s[26:27]
	v_and_b32_e32 v15, 63, v55
	v_mov_b32_e32 v14, 2
	v_cmp_ne_u32_e32 vcc, 63, v15
	v_cmp_eq_u16_sdwa s[26:27], v9, v14 src0_sel:BYTE_0 src1_sel:DWORD
	v_lshlrev_b64 v[6:7], v55, -1
	v_addc_co_u32_e32 v10, vcc, 0, v55, vcc
	v_and_b32_e32 v3, s27, v7
	v_lshlrev_b32_e32 v16, 2, v10
	v_or_b32_e32 v3, 0x80000000, v3
	ds_bpermute_b32 v10, v16, v8
	v_and_b32_e32 v5, s26, v6
	v_ffbl_b32_e32 v3, v3
	v_add_u32_e32 v3, 32, v3
	v_ffbl_b32_e32 v5, v5
	v_min_u32_e32 v3, v5, v3
	v_cmp_lt_u32_e32 vcc, v15, v3
	v_add_u32_e32 v38, 2, v15
	v_add_u32_e32 v58, 4, v15
	s_waitcnt lgkmcnt(0)
	v_cndmask_b32_e32 v5, 0, v10, vcc
	v_cmp_gt_u32_e32 vcc, 62, v15
	v_add_u32_e32 v5, v5, v8
	v_add_u32_e32 v60, 8, v15
	v_cndmask_b32_e64 v8, 0, 1, vcc
	v_lshlrev_b32_e32 v8, 1, v8
	v_add_lshl_u32 v17, v8, v55, 2
	ds_bpermute_b32 v8, v17, v5
	v_cmp_le_u32_e32 vcc, v38, v3
	v_add_u32_e32 v62, 16, v15
	v_add_u32_e32 v64, 32, v15
	s_waitcnt lgkmcnt(0)
	v_cndmask_b32_e32 v8, 0, v8, vcc
	v_cmp_gt_u32_e32 vcc, 60, v15
	v_add_u32_e32 v5, v5, v8
	s_nop 0
	v_cndmask_b32_e64 v8, 0, 1, vcc
	v_lshlrev_b32_e32 v8, 2, v8
	v_add_lshl_u32 v39, v8, v55, 2
	ds_bpermute_b32 v8, v39, v5
	v_cmp_le_u32_e32 vcc, v58, v3
	s_waitcnt lgkmcnt(0)
	s_nop 0
	v_cndmask_b32_e32 v8, 0, v8, vcc
	v_cmp_gt_u32_e32 vcc, 56, v15
	v_add_u32_e32 v5, v5, v8
	s_nop 0
	v_cndmask_b32_e64 v8, 0, 1, vcc
	v_lshlrev_b32_e32 v8, 3, v8
	v_add_lshl_u32 v59, v8, v55, 2
	ds_bpermute_b32 v8, v59, v5
	v_cmp_le_u32_e32 vcc, v60, v3
	s_waitcnt lgkmcnt(0)
	s_nop 0
	;; [unrolled: 11-line block ×4, first 2 shown]
	v_cndmask_b32_e32 v3, 0, v8, vcc
	v_add_u32_e32 v8, v5, v3
	v_mov_b32_e32 v5, 0
	s_branch .LBB2980_90
.LBB2980_89:                            ;   in Loop: Header=BB2980_90 Depth=1
	s_or_b64 exec, exec, s[26:27]
	v_cmp_eq_u16_sdwa s[26:27], v9, v14 src0_sel:BYTE_0 src1_sel:DWORD
	ds_bpermute_b32 v65, v16, v8
	v_subrev_u32_e32 v4, 64, v4
	v_and_b32_e32 v10, s27, v7
	v_or_b32_e32 v10, 0x80000000, v10
	v_and_b32_e32 v11, s26, v6
	v_ffbl_b32_e32 v10, v10
	v_add_u32_e32 v10, 32, v10
	v_ffbl_b32_e32 v11, v11
	v_min_u32_e32 v10, v11, v10
	v_cmp_lt_u32_e32 vcc, v15, v10
	s_waitcnt lgkmcnt(0)
	s_nop 0
	v_cndmask_b32_e32 v11, 0, v65, vcc
	v_add_u32_e32 v8, v11, v8
	ds_bpermute_b32 v11, v17, v8
	v_cmp_le_u32_e32 vcc, v38, v10
	s_waitcnt lgkmcnt(0)
	s_nop 0
	v_cndmask_b32_e32 v11, 0, v11, vcc
	v_add_u32_e32 v8, v8, v11
	ds_bpermute_b32 v11, v39, v8
	v_cmp_le_u32_e32 vcc, v58, v10
	;; [unrolled: 6-line block ×5, first 2 shown]
	s_waitcnt lgkmcnt(0)
	s_nop 0
	v_cndmask_b32_e32 v10, 0, v11, vcc
	v_add3_u32 v8, v10, v3, v8
.LBB2980_90:                            ; =>This Loop Header: Depth=1
                                        ;     Child Loop BB2980_93 Depth 2
                                        ;       Child Loop BB2980_94 Depth 3
	v_cmp_ne_u16_sdwa s[26:27], v9, v14 src0_sel:BYTE_0 src1_sel:DWORD
	s_nop 1
	v_cndmask_b32_e64 v3, 0, 1, s[26:27]
	;;#ASMSTART
	;;#ASMEND
	s_nop 0
	v_cmp_ne_u32_e32 vcc, 0, v3
	s_cmp_lg_u64 vcc, exec
	v_mov_b32_e32 v3, v8
	s_cbranch_scc1 .LBB2980_97
; %bb.91:                               ;   in Loop: Header=BB2980_90 Depth=1
	v_lshl_add_u64 v[10:11], v[4:5], 3, s[24:25]
	global_load_dwordx2 v[8:9], v[10:11], off sc1
	s_waitcnt vmcnt(0)
	v_cmp_eq_u16_sdwa s[28:29], v9, v5 src0_sel:BYTE_0 src1_sel:DWORD
	s_and_saveexec_b64 s[26:27], s[28:29]
	s_cbranch_execz .LBB2980_89
; %bb.92:                               ;   in Loop: Header=BB2980_90 Depth=1
	s_mov_b32 s31, 1
	s_mov_b64 s[28:29], 0
.LBB2980_93:                            ;   Parent Loop BB2980_90 Depth=1
                                        ; =>  This Loop Header: Depth=2
                                        ;       Child Loop BB2980_94 Depth 3
	s_max_u32 s33, s31, 1
.LBB2980_94:                            ;   Parent Loop BB2980_90 Depth=1
                                        ;     Parent Loop BB2980_93 Depth=2
                                        ; =>    This Inner Loop Header: Depth=3
	s_add_i32 s33, s33, -1
	s_cmp_eq_u32 s33, 0
	s_sleep 1
	s_cbranch_scc0 .LBB2980_94
; %bb.95:                               ;   in Loop: Header=BB2980_93 Depth=2
	global_load_dwordx2 v[8:9], v[10:11], off sc1
	s_cmp_lt_u32 s31, 32
	s_cselect_b64 s[34:35], -1, 0
	s_cmp_lg_u64 s[34:35], 0
	s_addc_u32 s31, s31, 0
	s_waitcnt vmcnt(0)
	v_cmp_ne_u16_sdwa s[34:35], v9, v5 src0_sel:BYTE_0 src1_sel:DWORD
	s_or_b64 s[28:29], s[34:35], s[28:29]
	s_andn2_b64 exec, exec, s[28:29]
	s_cbranch_execnz .LBB2980_93
; %bb.96:                               ;   in Loop: Header=BB2980_90 Depth=1
	s_or_b64 exec, exec, s[28:29]
	s_branch .LBB2980_89
.LBB2980_97:                            ;   in Loop: Header=BB2980_90 Depth=1
                                        ; implicit-def: $vgpr8
                                        ; implicit-def: $vgpr9
	s_cbranch_execz .LBB2980_90
; %bb.98:
	s_and_saveexec_b64 s[26:27], s[16:17]
	s_cbranch_execz .LBB2980_100
; %bb.99:
	s_add_i32 s28, s30, 64
	s_mov_b32 s29, 0
	s_lshl_b64 s[28:29], s[28:29], 3
	s_add_u32 s28, s24, s28
	v_add_u32_e32 v4, v3, v2
	v_mov_b32_e32 v5, 2
	s_addc_u32 s29, s25, s29
	v_mov_b32_e32 v6, 0
	global_store_dwordx2 v6, v[4:5], s[28:29] sc1
	ds_write_b64 v6, v[2:3] offset:30720
.LBB2980_100:
	s_or_b64 exec, exec, s[26:27]
	s_and_b64 exec, exec, s[18:19]
	s_cbranch_execz .LBB2980_102
; %bb.101:
	v_mov_b32_e32 v2, 0
	ds_write_b32 v2, v3 offset:28
.LBB2980_102:
	s_or_b64 exec, exec, s[0:1]
	v_mov_b32_e32 v14, 0
	s_waitcnt lgkmcnt(0)
	s_barrier
	ds_read_b32 v2, v14 offset:28
	v_cndmask_b32_e64 v3, v13, v12, s[16:17]
	v_cndmask_b32_e64 v3, v3, 0, s[18:19]
	s_waitcnt lgkmcnt(0)
	s_barrier
	v_add_u32_e32 v2, v2, v3
	v_add_u32_e32 v3, v2, v52
	;; [unrolled: 1-line block ×11, first 2 shown]
	ds_read_b64 v[38:39], v14 offset:30720
	v_add_u32_e32 v13, v12, v48
	v_add_u32_e32 v14, v13, v42
	;; [unrolled: 1-line block ×4, first 2 shown]
	s_branch .LBB2980_113
.LBB2980_103:
                                        ; implicit-def: $vgpr39
                                        ; implicit-def: $vgpr2_vgpr3_vgpr4_vgpr5_vgpr6_vgpr7_vgpr8_vgpr9_vgpr10_vgpr11_vgpr12_vgpr13_vgpr14_vgpr15_vgpr16_vgpr17
	s_cbranch_execz .LBB2980_113
; %bb.104:
	s_nop 0
	v_mov_b32_dpp v2, v57 row_shr:1 row_mask:0xf bank_mask:0xf
	v_cndmask_b32_e64 v2, v2, 0, s[14:15]
	v_add_u32_e32 v2, v2, v57
	s_nop 1
	v_mov_b32_dpp v3, v2 row_shr:2 row_mask:0xf bank_mask:0xf
	v_cndmask_b32_e64 v3, 0, v3, s[12:13]
	v_add_u32_e32 v2, v2, v3
	;; [unrolled: 4-line block ×4, first 2 shown]
	s_nop 1
	v_mov_b32_dpp v3, v2 row_bcast:15 row_mask:0xf bank_mask:0xf
	v_cndmask_b32_e64 v3, v3, 0, s[6:7]
	v_add_u32_e32 v2, v2, v3
	s_nop 1
	v_mov_b32_dpp v3, v2 row_bcast:31 row_mask:0xf bank_mask:0xf
	v_cndmask_b32_e64 v3, 0, v3, s[2:3]
	v_add_u32_e32 v2, v2, v3
	s_and_saveexec_b64 s[0:1], s[4:5]
	s_cbranch_execz .LBB2980_106
; %bb.105:
	v_lshlrev_b32_e32 v3, 2, v56
	ds_write_b32 v3, v2
.LBB2980_106:
	s_or_b64 exec, exec, s[0:1]
	v_cmp_gt_u32_e32 vcc, 8, v0
	s_waitcnt lgkmcnt(0)
	s_barrier
	s_and_saveexec_b64 s[0:1], vcc
	s_cbranch_execz .LBB2980_108
; %bb.107:
	v_mad_i32_i24 v3, v0, -11, v21
	ds_read_b32 v4, v3
	v_and_b32_e32 v5, 7, v55
	v_cmp_ne_u32_e32 vcc, 0, v5
	s_waitcnt lgkmcnt(0)
	v_mov_b32_dpp v6, v4 row_shr:1 row_mask:0xf bank_mask:0xf
	v_cndmask_b32_e32 v6, 0, v6, vcc
	v_add_u32_e32 v4, v6, v4
	v_cmp_lt_u32_e32 vcc, 1, v5
	s_nop 0
	v_mov_b32_dpp v6, v4 row_shr:2 row_mask:0xf bank_mask:0xf
	v_cndmask_b32_e32 v6, 0, v6, vcc
	v_add_u32_e32 v4, v4, v6
	v_cmp_lt_u32_e32 vcc, 3, v5
	s_nop 0
	v_mov_b32_dpp v6, v4 row_shr:4 row_mask:0xf bank_mask:0xf
	v_cndmask_b32_e32 v5, 0, v6, vcc
	v_add_u32_e32 v4, v4, v5
	ds_write_b32 v3, v4
.LBB2980_108:
	s_or_b64 exec, exec, s[0:1]
	v_cmp_lt_u32_e32 vcc, 63, v0
	v_mov_b32_e32 v3, 0
	v_mov_b32_e32 v0, 0
	s_waitcnt lgkmcnt(0)
	s_barrier
	s_and_saveexec_b64 s[0:1], vcc
	s_cbranch_execz .LBB2980_110
; %bb.109:
	v_lshl_add_u32 v0, v56, 2, -4
	ds_read_b32 v0, v0
.LBB2980_110:
	s_or_b64 exec, exec, s[0:1]
	v_add_u32_e32 v4, -1, v55
	v_and_b32_e32 v5, 64, v55
	v_cmp_lt_i32_e32 vcc, v4, v5
	s_waitcnt lgkmcnt(0)
	v_add_u32_e32 v2, v0, v2
	ds_read_b32 v38, v3 offset:28
	v_cndmask_b32_e32 v4, v4, v55, vcc
	v_lshlrev_b32_e32 v4, 2, v4
	ds_bpermute_b32 v2, v4, v2
	s_and_saveexec_b64 s[0:1], s[18:19]
	s_cbranch_execz .LBB2980_112
; %bb.111:
	v_mov_b32_e32 v3, 0
	v_mov_b32_e32 v39, 2
	s_waitcnt lgkmcnt(1)
	global_store_dwordx2 v3, v[38:39], s[24:25] offset:512 sc1
.LBB2980_112:
	s_or_b64 exec, exec, s[0:1]
	v_cmp_eq_u32_e32 vcc, 0, v55
	v_mov_b32_e32 v39, 0
	s_waitcnt lgkmcnt(0)
	v_cndmask_b32_e32 v0, v2, v0, vcc
	v_cndmask_b32_e64 v2, v0, 0, s[18:19]
	v_add_u32_e32 v3, v2, v52
	v_add_u32_e32 v4, v3, v53
	;; [unrolled: 1-line block ×14, first 2 shown]
	s_barrier
.LBB2980_113:
	s_waitcnt lgkmcnt(0)
	v_add_u32_e32 v21, v38, v21
	v_sub_u32_e32 v2, v2, v39
	v_and_b32_e32 v48, 1, v18
	v_sub_u32_e32 v47, v21, v2
	v_cmp_eq_u32_e32 vcc, 1, v48
	v_lshrrev_b32_e32 v46, 8, v18
	v_lshrrev_b32_e32 v17, 8, v19
	v_cndmask_b32_e32 v2, v47, v2, vcc
	v_lshlrev_b32_e32 v2, 2, v2
	ds_write_b32 v2, v36
	v_sub_u32_e32 v2, v3, v39
	v_sub_u32_e32 v3, v21, v2
	v_and_b32_e32 v36, 1, v46
	v_add_u32_e32 v3, 1, v3
	v_cmp_eq_u32_e32 vcc, 1, v36
	v_lshrrev_b32_e32 v0, 8, v20
	v_and_b32_e32 v0, 1, v0
	v_cndmask_b32_e32 v2, v3, v2, vcc
	v_lshlrev_b32_e32 v2, 2, v2
	ds_write_b32 v2, v37
	v_sub_u32_e32 v2, v4, v39
	v_mov_b32_e32 v4, 1
	v_sub_u32_e32 v3, v21, v2
	v_and_b32_sdwa v18, v4, v18 dst_sel:DWORD dst_unused:UNUSED_PAD src0_sel:DWORD src1_sel:WORD_1
	v_add_u32_e32 v3, 2, v3
	v_cmp_eq_u32_e32 vcc, 1, v18
	s_and_b64 s[0:1], s[18:19], s[22:23]
	s_nop 0
	v_cndmask_b32_e32 v2, v3, v2, vcc
	v_lshlrev_b32_e32 v2, 2, v2
	ds_write_b32 v2, v34
	v_sub_u32_e32 v2, v5, v39
	v_sub_u32_e32 v3, v21, v2
	v_and_b32_e32 v5, 1, v45
	v_add_u32_e32 v3, 3, v3
	v_cmp_eq_u32_e32 vcc, 1, v5
	v_and_b32_e32 v5, 1, v19
	s_nop 0
	v_cndmask_b32_e32 v2, v3, v2, vcc
	v_lshlrev_b32_e32 v2, 2, v2
	ds_write_b32 v2, v35
	v_sub_u32_e32 v2, v6, v39
	v_sub_u32_e32 v3, v21, v2
	v_add_u32_e32 v3, 4, v3
	v_cmp_eq_u32_e32 vcc, 1, v5
	v_and_b32_e32 v5, 1, v17
	s_nop 0
	v_cndmask_b32_e32 v2, v3, v2, vcc
	v_lshlrev_b32_e32 v2, 2, v2
	ds_write_b32 v2, v32
	v_sub_u32_e32 v2, v7, v39
	v_sub_u32_e32 v3, v21, v2
	v_add_u32_e32 v3, 5, v3
	v_cmp_eq_u32_e32 vcc, 1, v5
	v_and_b32_sdwa v5, v4, v19 dst_sel:DWORD dst_unused:UNUSED_PAD src0_sel:DWORD src1_sel:WORD_1
	s_nop 0
	v_cndmask_b32_e32 v2, v3, v2, vcc
	v_lshlrev_b32_e32 v2, 2, v2
	ds_write_b32 v2, v33
	v_sub_u32_e32 v2, v8, v39
	v_sub_u32_e32 v3, v21, v2
	v_add_u32_e32 v3, 6, v3
	v_cmp_eq_u32_e32 vcc, 1, v5
	v_and_b32_e32 v5, 1, v44
	s_nop 0
	v_cndmask_b32_e32 v2, v3, v2, vcc
	v_lshlrev_b32_e32 v2, 2, v2
	ds_write_b32 v2, v30
	v_sub_u32_e32 v2, v9, v39
	v_sub_u32_e32 v3, v21, v2
	v_add_u32_e32 v3, 7, v3
	v_cmp_eq_u32_e32 vcc, 1, v5
	v_and_b32_e32 v5, 1, v20
	s_nop 0
	v_cndmask_b32_e32 v2, v3, v2, vcc
	v_lshlrev_b32_e32 v2, 2, v2
	ds_write_b32 v2, v31
	v_sub_u32_e32 v2, v10, v39
	v_sub_u32_e32 v3, v21, v2
	v_add_u32_e32 v3, 8, v3
	v_cmp_eq_u32_e32 vcc, 1, v5
	s_nop 1
	v_cndmask_b32_e32 v2, v3, v2, vcc
	v_lshlrev_b32_e32 v2, 2, v2
	ds_write_b32 v2, v28
	v_sub_u32_e32 v2, v11, v39
	v_sub_u32_e32 v3, v21, v2
	v_add_u32_e32 v3, 9, v3
	v_cmp_eq_u32_e32 vcc, 1, v0
	s_nop 1
	v_cndmask_b32_e32 v0, v3, v2, vcc
	v_lshlrev_b32_e32 v0, 2, v0
	ds_write_b32 v0, v29
	v_sub_u32_e32 v0, v12, v39
	v_sub_u32_e32 v2, v21, v0
	v_and_b32_sdwa v3, v4, v20 dst_sel:DWORD dst_unused:UNUSED_PAD src0_sel:DWORD src1_sel:WORD_1
	v_add_u32_e32 v2, 10, v2
	v_cmp_eq_u32_e32 vcc, 1, v3
	v_and_b32_e32 v3, 1, v42
	s_nop 0
	v_cndmask_b32_e32 v0, v2, v0, vcc
	v_lshlrev_b32_e32 v0, 2, v0
	ds_write_b32 v0, v26
	v_sub_u32_e32 v0, v13, v39
	v_sub_u32_e32 v2, v21, v0
	v_add_u32_e32 v2, 11, v2
	v_cmp_eq_u32_e32 vcc, 1, v3
	s_nop 1
	v_cndmask_b32_e32 v0, v2, v0, vcc
	v_lshlrev_b32_e32 v0, 2, v0
	ds_write_b32 v0, v27
	v_sub_u32_e32 v0, v14, v39
	v_sub_u32_e32 v2, v21, v0
	v_add_u32_e32 v2, 12, v2
	v_cmp_eq_u32_e32 vcc, 1, v43
	;; [unrolled: 8-line block ×4, first 2 shown]
	s_nop 1
	v_cndmask_b32_e32 v0, v2, v0, vcc
	v_lshlrev_b32_e32 v0, 2, v0
	ds_write_b32 v0, v1
	s_waitcnt lgkmcnt(0)
	s_barrier
	s_and_saveexec_b64 s[2:3], s[0:1]
	s_cbranch_execz .LBB2980_115
; %bb.114:
	v_mov_b32_e32 v1, 0
	v_mov_b32_e32 v0, v38
	s_waitcnt vmcnt(0)
	v_lshl_add_u64 v[2:3], v[22:23], 0, v[0:1]
	v_mov_b32_e32 v0, v39
	v_lshl_add_u64 v[2:3], v[2:3], 0, v[0:1]
	global_store_dwordx2 v1, v[2:3], s[20:21]
.LBB2980_115:
	s_endpgm
	.section	.rodata,"a",@progbits
	.p2align	6, 0x0
	.amdhsa_kernel _ZN7rocprim17ROCPRIM_400000_NS6detail17trampoline_kernelINS0_14default_configENS1_25partition_config_selectorILNS1_17partition_subalgoE1EjNS0_10empty_typeEbEEZZNS1_14partition_implILS5_1ELb0ES3_jN6thrust23THRUST_200600_302600_NS6detail15normal_iteratorINSA_10device_ptrIjEEEEPS6_NSA_18transform_iteratorI7is_evenIjESF_NSA_11use_defaultESK_EENS0_5tupleIJNSA_16discard_iteratorISK_EESO_EEENSM_IJSG_SG_EEES6_PlJS6_EEE10hipError_tPvRmT3_T4_T5_T6_T7_T9_mT8_P12ihipStream_tbDpT10_ENKUlT_T0_E_clISt17integral_constantIbLb1EES1B_EEDaS16_S17_EUlS16_E_NS1_11comp_targetILNS1_3genE5ELNS1_11target_archE942ELNS1_3gpuE9ELNS1_3repE0EEENS1_30default_config_static_selectorELNS0_4arch9wavefront6targetE1EEEvT1_
		.amdhsa_group_segment_fixed_size 30728
		.amdhsa_private_segment_fixed_size 0
		.amdhsa_kernarg_size 160
		.amdhsa_user_sgpr_count 2
		.amdhsa_user_sgpr_dispatch_ptr 0
		.amdhsa_user_sgpr_queue_ptr 0
		.amdhsa_user_sgpr_kernarg_segment_ptr 1
		.amdhsa_user_sgpr_dispatch_id 0
		.amdhsa_user_sgpr_kernarg_preload_length 0
		.amdhsa_user_sgpr_kernarg_preload_offset 0
		.amdhsa_user_sgpr_private_segment_size 0
		.amdhsa_uses_dynamic_stack 0
		.amdhsa_enable_private_segment 0
		.amdhsa_system_sgpr_workgroup_id_x 1
		.amdhsa_system_sgpr_workgroup_id_y 0
		.amdhsa_system_sgpr_workgroup_id_z 0
		.amdhsa_system_sgpr_workgroup_info 0
		.amdhsa_system_vgpr_workitem_id 0
		.amdhsa_next_free_vgpr 66
		.amdhsa_next_free_sgpr 36
		.amdhsa_accum_offset 68
		.amdhsa_reserve_vcc 1
		.amdhsa_float_round_mode_32 0
		.amdhsa_float_round_mode_16_64 0
		.amdhsa_float_denorm_mode_32 3
		.amdhsa_float_denorm_mode_16_64 3
		.amdhsa_dx10_clamp 1
		.amdhsa_ieee_mode 1
		.amdhsa_fp16_overflow 0
		.amdhsa_tg_split 0
		.amdhsa_exception_fp_ieee_invalid_op 0
		.amdhsa_exception_fp_denorm_src 0
		.amdhsa_exception_fp_ieee_div_zero 0
		.amdhsa_exception_fp_ieee_overflow 0
		.amdhsa_exception_fp_ieee_underflow 0
		.amdhsa_exception_fp_ieee_inexact 0
		.amdhsa_exception_int_div_zero 0
	.end_amdhsa_kernel
	.section	.text._ZN7rocprim17ROCPRIM_400000_NS6detail17trampoline_kernelINS0_14default_configENS1_25partition_config_selectorILNS1_17partition_subalgoE1EjNS0_10empty_typeEbEEZZNS1_14partition_implILS5_1ELb0ES3_jN6thrust23THRUST_200600_302600_NS6detail15normal_iteratorINSA_10device_ptrIjEEEEPS6_NSA_18transform_iteratorI7is_evenIjESF_NSA_11use_defaultESK_EENS0_5tupleIJNSA_16discard_iteratorISK_EESO_EEENSM_IJSG_SG_EEES6_PlJS6_EEE10hipError_tPvRmT3_T4_T5_T6_T7_T9_mT8_P12ihipStream_tbDpT10_ENKUlT_T0_E_clISt17integral_constantIbLb1EES1B_EEDaS16_S17_EUlS16_E_NS1_11comp_targetILNS1_3genE5ELNS1_11target_archE942ELNS1_3gpuE9ELNS1_3repE0EEENS1_30default_config_static_selectorELNS0_4arch9wavefront6targetE1EEEvT1_,"axG",@progbits,_ZN7rocprim17ROCPRIM_400000_NS6detail17trampoline_kernelINS0_14default_configENS1_25partition_config_selectorILNS1_17partition_subalgoE1EjNS0_10empty_typeEbEEZZNS1_14partition_implILS5_1ELb0ES3_jN6thrust23THRUST_200600_302600_NS6detail15normal_iteratorINSA_10device_ptrIjEEEEPS6_NSA_18transform_iteratorI7is_evenIjESF_NSA_11use_defaultESK_EENS0_5tupleIJNSA_16discard_iteratorISK_EESO_EEENSM_IJSG_SG_EEES6_PlJS6_EEE10hipError_tPvRmT3_T4_T5_T6_T7_T9_mT8_P12ihipStream_tbDpT10_ENKUlT_T0_E_clISt17integral_constantIbLb1EES1B_EEDaS16_S17_EUlS16_E_NS1_11comp_targetILNS1_3genE5ELNS1_11target_archE942ELNS1_3gpuE9ELNS1_3repE0EEENS1_30default_config_static_selectorELNS0_4arch9wavefront6targetE1EEEvT1_,comdat
.Lfunc_end2980:
	.size	_ZN7rocprim17ROCPRIM_400000_NS6detail17trampoline_kernelINS0_14default_configENS1_25partition_config_selectorILNS1_17partition_subalgoE1EjNS0_10empty_typeEbEEZZNS1_14partition_implILS5_1ELb0ES3_jN6thrust23THRUST_200600_302600_NS6detail15normal_iteratorINSA_10device_ptrIjEEEEPS6_NSA_18transform_iteratorI7is_evenIjESF_NSA_11use_defaultESK_EENS0_5tupleIJNSA_16discard_iteratorISK_EESO_EEENSM_IJSG_SG_EEES6_PlJS6_EEE10hipError_tPvRmT3_T4_T5_T6_T7_T9_mT8_P12ihipStream_tbDpT10_ENKUlT_T0_E_clISt17integral_constantIbLb1EES1B_EEDaS16_S17_EUlS16_E_NS1_11comp_targetILNS1_3genE5ELNS1_11target_archE942ELNS1_3gpuE9ELNS1_3repE0EEENS1_30default_config_static_selectorELNS0_4arch9wavefront6targetE1EEEvT1_, .Lfunc_end2980-_ZN7rocprim17ROCPRIM_400000_NS6detail17trampoline_kernelINS0_14default_configENS1_25partition_config_selectorILNS1_17partition_subalgoE1EjNS0_10empty_typeEbEEZZNS1_14partition_implILS5_1ELb0ES3_jN6thrust23THRUST_200600_302600_NS6detail15normal_iteratorINSA_10device_ptrIjEEEEPS6_NSA_18transform_iteratorI7is_evenIjESF_NSA_11use_defaultESK_EENS0_5tupleIJNSA_16discard_iteratorISK_EESO_EEENSM_IJSG_SG_EEES6_PlJS6_EEE10hipError_tPvRmT3_T4_T5_T6_T7_T9_mT8_P12ihipStream_tbDpT10_ENKUlT_T0_E_clISt17integral_constantIbLb1EES1B_EEDaS16_S17_EUlS16_E_NS1_11comp_targetILNS1_3genE5ELNS1_11target_archE942ELNS1_3gpuE9ELNS1_3repE0EEENS1_30default_config_static_selectorELNS0_4arch9wavefront6targetE1EEEvT1_
                                        ; -- End function
	.section	.AMDGPU.csdata,"",@progbits
; Kernel info:
; codeLenInByte = 6024
; NumSgprs: 42
; NumVgprs: 66
; NumAgprs: 0
; TotalNumVgprs: 66
; ScratchSize: 0
; MemoryBound: 0
; FloatMode: 240
; IeeeMode: 1
; LDSByteSize: 30728 bytes/workgroup (compile time only)
; SGPRBlocks: 5
; VGPRBlocks: 8
; NumSGPRsForWavesPerEU: 42
; NumVGPRsForWavesPerEU: 66
; AccumOffset: 68
; Occupancy: 4
; WaveLimiterHint : 1
; COMPUTE_PGM_RSRC2:SCRATCH_EN: 0
; COMPUTE_PGM_RSRC2:USER_SGPR: 2
; COMPUTE_PGM_RSRC2:TRAP_HANDLER: 0
; COMPUTE_PGM_RSRC2:TGID_X_EN: 1
; COMPUTE_PGM_RSRC2:TGID_Y_EN: 0
; COMPUTE_PGM_RSRC2:TGID_Z_EN: 0
; COMPUTE_PGM_RSRC2:TIDIG_COMP_CNT: 0
; COMPUTE_PGM_RSRC3_GFX90A:ACCUM_OFFSET: 16
; COMPUTE_PGM_RSRC3_GFX90A:TG_SPLIT: 0
	.section	.text._ZN7rocprim17ROCPRIM_400000_NS6detail17trampoline_kernelINS0_14default_configENS1_25partition_config_selectorILNS1_17partition_subalgoE1EjNS0_10empty_typeEbEEZZNS1_14partition_implILS5_1ELb0ES3_jN6thrust23THRUST_200600_302600_NS6detail15normal_iteratorINSA_10device_ptrIjEEEEPS6_NSA_18transform_iteratorI7is_evenIjESF_NSA_11use_defaultESK_EENS0_5tupleIJNSA_16discard_iteratorISK_EESO_EEENSM_IJSG_SG_EEES6_PlJS6_EEE10hipError_tPvRmT3_T4_T5_T6_T7_T9_mT8_P12ihipStream_tbDpT10_ENKUlT_T0_E_clISt17integral_constantIbLb1EES1B_EEDaS16_S17_EUlS16_E_NS1_11comp_targetILNS1_3genE4ELNS1_11target_archE910ELNS1_3gpuE8ELNS1_3repE0EEENS1_30default_config_static_selectorELNS0_4arch9wavefront6targetE1EEEvT1_,"axG",@progbits,_ZN7rocprim17ROCPRIM_400000_NS6detail17trampoline_kernelINS0_14default_configENS1_25partition_config_selectorILNS1_17partition_subalgoE1EjNS0_10empty_typeEbEEZZNS1_14partition_implILS5_1ELb0ES3_jN6thrust23THRUST_200600_302600_NS6detail15normal_iteratorINSA_10device_ptrIjEEEEPS6_NSA_18transform_iteratorI7is_evenIjESF_NSA_11use_defaultESK_EENS0_5tupleIJNSA_16discard_iteratorISK_EESO_EEENSM_IJSG_SG_EEES6_PlJS6_EEE10hipError_tPvRmT3_T4_T5_T6_T7_T9_mT8_P12ihipStream_tbDpT10_ENKUlT_T0_E_clISt17integral_constantIbLb1EES1B_EEDaS16_S17_EUlS16_E_NS1_11comp_targetILNS1_3genE4ELNS1_11target_archE910ELNS1_3gpuE8ELNS1_3repE0EEENS1_30default_config_static_selectorELNS0_4arch9wavefront6targetE1EEEvT1_,comdat
	.protected	_ZN7rocprim17ROCPRIM_400000_NS6detail17trampoline_kernelINS0_14default_configENS1_25partition_config_selectorILNS1_17partition_subalgoE1EjNS0_10empty_typeEbEEZZNS1_14partition_implILS5_1ELb0ES3_jN6thrust23THRUST_200600_302600_NS6detail15normal_iteratorINSA_10device_ptrIjEEEEPS6_NSA_18transform_iteratorI7is_evenIjESF_NSA_11use_defaultESK_EENS0_5tupleIJNSA_16discard_iteratorISK_EESO_EEENSM_IJSG_SG_EEES6_PlJS6_EEE10hipError_tPvRmT3_T4_T5_T6_T7_T9_mT8_P12ihipStream_tbDpT10_ENKUlT_T0_E_clISt17integral_constantIbLb1EES1B_EEDaS16_S17_EUlS16_E_NS1_11comp_targetILNS1_3genE4ELNS1_11target_archE910ELNS1_3gpuE8ELNS1_3repE0EEENS1_30default_config_static_selectorELNS0_4arch9wavefront6targetE1EEEvT1_ ; -- Begin function _ZN7rocprim17ROCPRIM_400000_NS6detail17trampoline_kernelINS0_14default_configENS1_25partition_config_selectorILNS1_17partition_subalgoE1EjNS0_10empty_typeEbEEZZNS1_14partition_implILS5_1ELb0ES3_jN6thrust23THRUST_200600_302600_NS6detail15normal_iteratorINSA_10device_ptrIjEEEEPS6_NSA_18transform_iteratorI7is_evenIjESF_NSA_11use_defaultESK_EENS0_5tupleIJNSA_16discard_iteratorISK_EESO_EEENSM_IJSG_SG_EEES6_PlJS6_EEE10hipError_tPvRmT3_T4_T5_T6_T7_T9_mT8_P12ihipStream_tbDpT10_ENKUlT_T0_E_clISt17integral_constantIbLb1EES1B_EEDaS16_S17_EUlS16_E_NS1_11comp_targetILNS1_3genE4ELNS1_11target_archE910ELNS1_3gpuE8ELNS1_3repE0EEENS1_30default_config_static_selectorELNS0_4arch9wavefront6targetE1EEEvT1_
	.globl	_ZN7rocprim17ROCPRIM_400000_NS6detail17trampoline_kernelINS0_14default_configENS1_25partition_config_selectorILNS1_17partition_subalgoE1EjNS0_10empty_typeEbEEZZNS1_14partition_implILS5_1ELb0ES3_jN6thrust23THRUST_200600_302600_NS6detail15normal_iteratorINSA_10device_ptrIjEEEEPS6_NSA_18transform_iteratorI7is_evenIjESF_NSA_11use_defaultESK_EENS0_5tupleIJNSA_16discard_iteratorISK_EESO_EEENSM_IJSG_SG_EEES6_PlJS6_EEE10hipError_tPvRmT3_T4_T5_T6_T7_T9_mT8_P12ihipStream_tbDpT10_ENKUlT_T0_E_clISt17integral_constantIbLb1EES1B_EEDaS16_S17_EUlS16_E_NS1_11comp_targetILNS1_3genE4ELNS1_11target_archE910ELNS1_3gpuE8ELNS1_3repE0EEENS1_30default_config_static_selectorELNS0_4arch9wavefront6targetE1EEEvT1_
	.p2align	8
	.type	_ZN7rocprim17ROCPRIM_400000_NS6detail17trampoline_kernelINS0_14default_configENS1_25partition_config_selectorILNS1_17partition_subalgoE1EjNS0_10empty_typeEbEEZZNS1_14partition_implILS5_1ELb0ES3_jN6thrust23THRUST_200600_302600_NS6detail15normal_iteratorINSA_10device_ptrIjEEEEPS6_NSA_18transform_iteratorI7is_evenIjESF_NSA_11use_defaultESK_EENS0_5tupleIJNSA_16discard_iteratorISK_EESO_EEENSM_IJSG_SG_EEES6_PlJS6_EEE10hipError_tPvRmT3_T4_T5_T6_T7_T9_mT8_P12ihipStream_tbDpT10_ENKUlT_T0_E_clISt17integral_constantIbLb1EES1B_EEDaS16_S17_EUlS16_E_NS1_11comp_targetILNS1_3genE4ELNS1_11target_archE910ELNS1_3gpuE8ELNS1_3repE0EEENS1_30default_config_static_selectorELNS0_4arch9wavefront6targetE1EEEvT1_,@function
_ZN7rocprim17ROCPRIM_400000_NS6detail17trampoline_kernelINS0_14default_configENS1_25partition_config_selectorILNS1_17partition_subalgoE1EjNS0_10empty_typeEbEEZZNS1_14partition_implILS5_1ELb0ES3_jN6thrust23THRUST_200600_302600_NS6detail15normal_iteratorINSA_10device_ptrIjEEEEPS6_NSA_18transform_iteratorI7is_evenIjESF_NSA_11use_defaultESK_EENS0_5tupleIJNSA_16discard_iteratorISK_EESO_EEENSM_IJSG_SG_EEES6_PlJS6_EEE10hipError_tPvRmT3_T4_T5_T6_T7_T9_mT8_P12ihipStream_tbDpT10_ENKUlT_T0_E_clISt17integral_constantIbLb1EES1B_EEDaS16_S17_EUlS16_E_NS1_11comp_targetILNS1_3genE4ELNS1_11target_archE910ELNS1_3gpuE8ELNS1_3repE0EEENS1_30default_config_static_selectorELNS0_4arch9wavefront6targetE1EEEvT1_: ; @_ZN7rocprim17ROCPRIM_400000_NS6detail17trampoline_kernelINS0_14default_configENS1_25partition_config_selectorILNS1_17partition_subalgoE1EjNS0_10empty_typeEbEEZZNS1_14partition_implILS5_1ELb0ES3_jN6thrust23THRUST_200600_302600_NS6detail15normal_iteratorINSA_10device_ptrIjEEEEPS6_NSA_18transform_iteratorI7is_evenIjESF_NSA_11use_defaultESK_EENS0_5tupleIJNSA_16discard_iteratorISK_EESO_EEENSM_IJSG_SG_EEES6_PlJS6_EEE10hipError_tPvRmT3_T4_T5_T6_T7_T9_mT8_P12ihipStream_tbDpT10_ENKUlT_T0_E_clISt17integral_constantIbLb1EES1B_EEDaS16_S17_EUlS16_E_NS1_11comp_targetILNS1_3genE4ELNS1_11target_archE910ELNS1_3gpuE8ELNS1_3repE0EEENS1_30default_config_static_selectorELNS0_4arch9wavefront6targetE1EEEvT1_
; %bb.0:
	.section	.rodata,"a",@progbits
	.p2align	6, 0x0
	.amdhsa_kernel _ZN7rocprim17ROCPRIM_400000_NS6detail17trampoline_kernelINS0_14default_configENS1_25partition_config_selectorILNS1_17partition_subalgoE1EjNS0_10empty_typeEbEEZZNS1_14partition_implILS5_1ELb0ES3_jN6thrust23THRUST_200600_302600_NS6detail15normal_iteratorINSA_10device_ptrIjEEEEPS6_NSA_18transform_iteratorI7is_evenIjESF_NSA_11use_defaultESK_EENS0_5tupleIJNSA_16discard_iteratorISK_EESO_EEENSM_IJSG_SG_EEES6_PlJS6_EEE10hipError_tPvRmT3_T4_T5_T6_T7_T9_mT8_P12ihipStream_tbDpT10_ENKUlT_T0_E_clISt17integral_constantIbLb1EES1B_EEDaS16_S17_EUlS16_E_NS1_11comp_targetILNS1_3genE4ELNS1_11target_archE910ELNS1_3gpuE8ELNS1_3repE0EEENS1_30default_config_static_selectorELNS0_4arch9wavefront6targetE1EEEvT1_
		.amdhsa_group_segment_fixed_size 0
		.amdhsa_private_segment_fixed_size 0
		.amdhsa_kernarg_size 160
		.amdhsa_user_sgpr_count 2
		.amdhsa_user_sgpr_dispatch_ptr 0
		.amdhsa_user_sgpr_queue_ptr 0
		.amdhsa_user_sgpr_kernarg_segment_ptr 1
		.amdhsa_user_sgpr_dispatch_id 0
		.amdhsa_user_sgpr_kernarg_preload_length 0
		.amdhsa_user_sgpr_kernarg_preload_offset 0
		.amdhsa_user_sgpr_private_segment_size 0
		.amdhsa_uses_dynamic_stack 0
		.amdhsa_enable_private_segment 0
		.amdhsa_system_sgpr_workgroup_id_x 1
		.amdhsa_system_sgpr_workgroup_id_y 0
		.amdhsa_system_sgpr_workgroup_id_z 0
		.amdhsa_system_sgpr_workgroup_info 0
		.amdhsa_system_vgpr_workitem_id 0
		.amdhsa_next_free_vgpr 1
		.amdhsa_next_free_sgpr 0
		.amdhsa_accum_offset 4
		.amdhsa_reserve_vcc 0
		.amdhsa_float_round_mode_32 0
		.amdhsa_float_round_mode_16_64 0
		.amdhsa_float_denorm_mode_32 3
		.amdhsa_float_denorm_mode_16_64 3
		.amdhsa_dx10_clamp 1
		.amdhsa_ieee_mode 1
		.amdhsa_fp16_overflow 0
		.amdhsa_tg_split 0
		.amdhsa_exception_fp_ieee_invalid_op 0
		.amdhsa_exception_fp_denorm_src 0
		.amdhsa_exception_fp_ieee_div_zero 0
		.amdhsa_exception_fp_ieee_overflow 0
		.amdhsa_exception_fp_ieee_underflow 0
		.amdhsa_exception_fp_ieee_inexact 0
		.amdhsa_exception_int_div_zero 0
	.end_amdhsa_kernel
	.section	.text._ZN7rocprim17ROCPRIM_400000_NS6detail17trampoline_kernelINS0_14default_configENS1_25partition_config_selectorILNS1_17partition_subalgoE1EjNS0_10empty_typeEbEEZZNS1_14partition_implILS5_1ELb0ES3_jN6thrust23THRUST_200600_302600_NS6detail15normal_iteratorINSA_10device_ptrIjEEEEPS6_NSA_18transform_iteratorI7is_evenIjESF_NSA_11use_defaultESK_EENS0_5tupleIJNSA_16discard_iteratorISK_EESO_EEENSM_IJSG_SG_EEES6_PlJS6_EEE10hipError_tPvRmT3_T4_T5_T6_T7_T9_mT8_P12ihipStream_tbDpT10_ENKUlT_T0_E_clISt17integral_constantIbLb1EES1B_EEDaS16_S17_EUlS16_E_NS1_11comp_targetILNS1_3genE4ELNS1_11target_archE910ELNS1_3gpuE8ELNS1_3repE0EEENS1_30default_config_static_selectorELNS0_4arch9wavefront6targetE1EEEvT1_,"axG",@progbits,_ZN7rocprim17ROCPRIM_400000_NS6detail17trampoline_kernelINS0_14default_configENS1_25partition_config_selectorILNS1_17partition_subalgoE1EjNS0_10empty_typeEbEEZZNS1_14partition_implILS5_1ELb0ES3_jN6thrust23THRUST_200600_302600_NS6detail15normal_iteratorINSA_10device_ptrIjEEEEPS6_NSA_18transform_iteratorI7is_evenIjESF_NSA_11use_defaultESK_EENS0_5tupleIJNSA_16discard_iteratorISK_EESO_EEENSM_IJSG_SG_EEES6_PlJS6_EEE10hipError_tPvRmT3_T4_T5_T6_T7_T9_mT8_P12ihipStream_tbDpT10_ENKUlT_T0_E_clISt17integral_constantIbLb1EES1B_EEDaS16_S17_EUlS16_E_NS1_11comp_targetILNS1_3genE4ELNS1_11target_archE910ELNS1_3gpuE8ELNS1_3repE0EEENS1_30default_config_static_selectorELNS0_4arch9wavefront6targetE1EEEvT1_,comdat
.Lfunc_end2981:
	.size	_ZN7rocprim17ROCPRIM_400000_NS6detail17trampoline_kernelINS0_14default_configENS1_25partition_config_selectorILNS1_17partition_subalgoE1EjNS0_10empty_typeEbEEZZNS1_14partition_implILS5_1ELb0ES3_jN6thrust23THRUST_200600_302600_NS6detail15normal_iteratorINSA_10device_ptrIjEEEEPS6_NSA_18transform_iteratorI7is_evenIjESF_NSA_11use_defaultESK_EENS0_5tupleIJNSA_16discard_iteratorISK_EESO_EEENSM_IJSG_SG_EEES6_PlJS6_EEE10hipError_tPvRmT3_T4_T5_T6_T7_T9_mT8_P12ihipStream_tbDpT10_ENKUlT_T0_E_clISt17integral_constantIbLb1EES1B_EEDaS16_S17_EUlS16_E_NS1_11comp_targetILNS1_3genE4ELNS1_11target_archE910ELNS1_3gpuE8ELNS1_3repE0EEENS1_30default_config_static_selectorELNS0_4arch9wavefront6targetE1EEEvT1_, .Lfunc_end2981-_ZN7rocprim17ROCPRIM_400000_NS6detail17trampoline_kernelINS0_14default_configENS1_25partition_config_selectorILNS1_17partition_subalgoE1EjNS0_10empty_typeEbEEZZNS1_14partition_implILS5_1ELb0ES3_jN6thrust23THRUST_200600_302600_NS6detail15normal_iteratorINSA_10device_ptrIjEEEEPS6_NSA_18transform_iteratorI7is_evenIjESF_NSA_11use_defaultESK_EENS0_5tupleIJNSA_16discard_iteratorISK_EESO_EEENSM_IJSG_SG_EEES6_PlJS6_EEE10hipError_tPvRmT3_T4_T5_T6_T7_T9_mT8_P12ihipStream_tbDpT10_ENKUlT_T0_E_clISt17integral_constantIbLb1EES1B_EEDaS16_S17_EUlS16_E_NS1_11comp_targetILNS1_3genE4ELNS1_11target_archE910ELNS1_3gpuE8ELNS1_3repE0EEENS1_30default_config_static_selectorELNS0_4arch9wavefront6targetE1EEEvT1_
                                        ; -- End function
	.section	.AMDGPU.csdata,"",@progbits
; Kernel info:
; codeLenInByte = 0
; NumSgprs: 6
; NumVgprs: 0
; NumAgprs: 0
; TotalNumVgprs: 0
; ScratchSize: 0
; MemoryBound: 0
; FloatMode: 240
; IeeeMode: 1
; LDSByteSize: 0 bytes/workgroup (compile time only)
; SGPRBlocks: 0
; VGPRBlocks: 0
; NumSGPRsForWavesPerEU: 6
; NumVGPRsForWavesPerEU: 1
; AccumOffset: 4
; Occupancy: 8
; WaveLimiterHint : 0
; COMPUTE_PGM_RSRC2:SCRATCH_EN: 0
; COMPUTE_PGM_RSRC2:USER_SGPR: 2
; COMPUTE_PGM_RSRC2:TRAP_HANDLER: 0
; COMPUTE_PGM_RSRC2:TGID_X_EN: 1
; COMPUTE_PGM_RSRC2:TGID_Y_EN: 0
; COMPUTE_PGM_RSRC2:TGID_Z_EN: 0
; COMPUTE_PGM_RSRC2:TIDIG_COMP_CNT: 0
; COMPUTE_PGM_RSRC3_GFX90A:ACCUM_OFFSET: 0
; COMPUTE_PGM_RSRC3_GFX90A:TG_SPLIT: 0
	.section	.text._ZN7rocprim17ROCPRIM_400000_NS6detail17trampoline_kernelINS0_14default_configENS1_25partition_config_selectorILNS1_17partition_subalgoE1EjNS0_10empty_typeEbEEZZNS1_14partition_implILS5_1ELb0ES3_jN6thrust23THRUST_200600_302600_NS6detail15normal_iteratorINSA_10device_ptrIjEEEEPS6_NSA_18transform_iteratorI7is_evenIjESF_NSA_11use_defaultESK_EENS0_5tupleIJNSA_16discard_iteratorISK_EESO_EEENSM_IJSG_SG_EEES6_PlJS6_EEE10hipError_tPvRmT3_T4_T5_T6_T7_T9_mT8_P12ihipStream_tbDpT10_ENKUlT_T0_E_clISt17integral_constantIbLb1EES1B_EEDaS16_S17_EUlS16_E_NS1_11comp_targetILNS1_3genE3ELNS1_11target_archE908ELNS1_3gpuE7ELNS1_3repE0EEENS1_30default_config_static_selectorELNS0_4arch9wavefront6targetE1EEEvT1_,"axG",@progbits,_ZN7rocprim17ROCPRIM_400000_NS6detail17trampoline_kernelINS0_14default_configENS1_25partition_config_selectorILNS1_17partition_subalgoE1EjNS0_10empty_typeEbEEZZNS1_14partition_implILS5_1ELb0ES3_jN6thrust23THRUST_200600_302600_NS6detail15normal_iteratorINSA_10device_ptrIjEEEEPS6_NSA_18transform_iteratorI7is_evenIjESF_NSA_11use_defaultESK_EENS0_5tupleIJNSA_16discard_iteratorISK_EESO_EEENSM_IJSG_SG_EEES6_PlJS6_EEE10hipError_tPvRmT3_T4_T5_T6_T7_T9_mT8_P12ihipStream_tbDpT10_ENKUlT_T0_E_clISt17integral_constantIbLb1EES1B_EEDaS16_S17_EUlS16_E_NS1_11comp_targetILNS1_3genE3ELNS1_11target_archE908ELNS1_3gpuE7ELNS1_3repE0EEENS1_30default_config_static_selectorELNS0_4arch9wavefront6targetE1EEEvT1_,comdat
	.protected	_ZN7rocprim17ROCPRIM_400000_NS6detail17trampoline_kernelINS0_14default_configENS1_25partition_config_selectorILNS1_17partition_subalgoE1EjNS0_10empty_typeEbEEZZNS1_14partition_implILS5_1ELb0ES3_jN6thrust23THRUST_200600_302600_NS6detail15normal_iteratorINSA_10device_ptrIjEEEEPS6_NSA_18transform_iteratorI7is_evenIjESF_NSA_11use_defaultESK_EENS0_5tupleIJNSA_16discard_iteratorISK_EESO_EEENSM_IJSG_SG_EEES6_PlJS6_EEE10hipError_tPvRmT3_T4_T5_T6_T7_T9_mT8_P12ihipStream_tbDpT10_ENKUlT_T0_E_clISt17integral_constantIbLb1EES1B_EEDaS16_S17_EUlS16_E_NS1_11comp_targetILNS1_3genE3ELNS1_11target_archE908ELNS1_3gpuE7ELNS1_3repE0EEENS1_30default_config_static_selectorELNS0_4arch9wavefront6targetE1EEEvT1_ ; -- Begin function _ZN7rocprim17ROCPRIM_400000_NS6detail17trampoline_kernelINS0_14default_configENS1_25partition_config_selectorILNS1_17partition_subalgoE1EjNS0_10empty_typeEbEEZZNS1_14partition_implILS5_1ELb0ES3_jN6thrust23THRUST_200600_302600_NS6detail15normal_iteratorINSA_10device_ptrIjEEEEPS6_NSA_18transform_iteratorI7is_evenIjESF_NSA_11use_defaultESK_EENS0_5tupleIJNSA_16discard_iteratorISK_EESO_EEENSM_IJSG_SG_EEES6_PlJS6_EEE10hipError_tPvRmT3_T4_T5_T6_T7_T9_mT8_P12ihipStream_tbDpT10_ENKUlT_T0_E_clISt17integral_constantIbLb1EES1B_EEDaS16_S17_EUlS16_E_NS1_11comp_targetILNS1_3genE3ELNS1_11target_archE908ELNS1_3gpuE7ELNS1_3repE0EEENS1_30default_config_static_selectorELNS0_4arch9wavefront6targetE1EEEvT1_
	.globl	_ZN7rocprim17ROCPRIM_400000_NS6detail17trampoline_kernelINS0_14default_configENS1_25partition_config_selectorILNS1_17partition_subalgoE1EjNS0_10empty_typeEbEEZZNS1_14partition_implILS5_1ELb0ES3_jN6thrust23THRUST_200600_302600_NS6detail15normal_iteratorINSA_10device_ptrIjEEEEPS6_NSA_18transform_iteratorI7is_evenIjESF_NSA_11use_defaultESK_EENS0_5tupleIJNSA_16discard_iteratorISK_EESO_EEENSM_IJSG_SG_EEES6_PlJS6_EEE10hipError_tPvRmT3_T4_T5_T6_T7_T9_mT8_P12ihipStream_tbDpT10_ENKUlT_T0_E_clISt17integral_constantIbLb1EES1B_EEDaS16_S17_EUlS16_E_NS1_11comp_targetILNS1_3genE3ELNS1_11target_archE908ELNS1_3gpuE7ELNS1_3repE0EEENS1_30default_config_static_selectorELNS0_4arch9wavefront6targetE1EEEvT1_
	.p2align	8
	.type	_ZN7rocprim17ROCPRIM_400000_NS6detail17trampoline_kernelINS0_14default_configENS1_25partition_config_selectorILNS1_17partition_subalgoE1EjNS0_10empty_typeEbEEZZNS1_14partition_implILS5_1ELb0ES3_jN6thrust23THRUST_200600_302600_NS6detail15normal_iteratorINSA_10device_ptrIjEEEEPS6_NSA_18transform_iteratorI7is_evenIjESF_NSA_11use_defaultESK_EENS0_5tupleIJNSA_16discard_iteratorISK_EESO_EEENSM_IJSG_SG_EEES6_PlJS6_EEE10hipError_tPvRmT3_T4_T5_T6_T7_T9_mT8_P12ihipStream_tbDpT10_ENKUlT_T0_E_clISt17integral_constantIbLb1EES1B_EEDaS16_S17_EUlS16_E_NS1_11comp_targetILNS1_3genE3ELNS1_11target_archE908ELNS1_3gpuE7ELNS1_3repE0EEENS1_30default_config_static_selectorELNS0_4arch9wavefront6targetE1EEEvT1_,@function
_ZN7rocprim17ROCPRIM_400000_NS6detail17trampoline_kernelINS0_14default_configENS1_25partition_config_selectorILNS1_17partition_subalgoE1EjNS0_10empty_typeEbEEZZNS1_14partition_implILS5_1ELb0ES3_jN6thrust23THRUST_200600_302600_NS6detail15normal_iteratorINSA_10device_ptrIjEEEEPS6_NSA_18transform_iteratorI7is_evenIjESF_NSA_11use_defaultESK_EENS0_5tupleIJNSA_16discard_iteratorISK_EESO_EEENSM_IJSG_SG_EEES6_PlJS6_EEE10hipError_tPvRmT3_T4_T5_T6_T7_T9_mT8_P12ihipStream_tbDpT10_ENKUlT_T0_E_clISt17integral_constantIbLb1EES1B_EEDaS16_S17_EUlS16_E_NS1_11comp_targetILNS1_3genE3ELNS1_11target_archE908ELNS1_3gpuE7ELNS1_3repE0EEENS1_30default_config_static_selectorELNS0_4arch9wavefront6targetE1EEEvT1_: ; @_ZN7rocprim17ROCPRIM_400000_NS6detail17trampoline_kernelINS0_14default_configENS1_25partition_config_selectorILNS1_17partition_subalgoE1EjNS0_10empty_typeEbEEZZNS1_14partition_implILS5_1ELb0ES3_jN6thrust23THRUST_200600_302600_NS6detail15normal_iteratorINSA_10device_ptrIjEEEEPS6_NSA_18transform_iteratorI7is_evenIjESF_NSA_11use_defaultESK_EENS0_5tupleIJNSA_16discard_iteratorISK_EESO_EEENSM_IJSG_SG_EEES6_PlJS6_EEE10hipError_tPvRmT3_T4_T5_T6_T7_T9_mT8_P12ihipStream_tbDpT10_ENKUlT_T0_E_clISt17integral_constantIbLb1EES1B_EEDaS16_S17_EUlS16_E_NS1_11comp_targetILNS1_3genE3ELNS1_11target_archE908ELNS1_3gpuE7ELNS1_3repE0EEENS1_30default_config_static_selectorELNS0_4arch9wavefront6targetE1EEEvT1_
; %bb.0:
	.section	.rodata,"a",@progbits
	.p2align	6, 0x0
	.amdhsa_kernel _ZN7rocprim17ROCPRIM_400000_NS6detail17trampoline_kernelINS0_14default_configENS1_25partition_config_selectorILNS1_17partition_subalgoE1EjNS0_10empty_typeEbEEZZNS1_14partition_implILS5_1ELb0ES3_jN6thrust23THRUST_200600_302600_NS6detail15normal_iteratorINSA_10device_ptrIjEEEEPS6_NSA_18transform_iteratorI7is_evenIjESF_NSA_11use_defaultESK_EENS0_5tupleIJNSA_16discard_iteratorISK_EESO_EEENSM_IJSG_SG_EEES6_PlJS6_EEE10hipError_tPvRmT3_T4_T5_T6_T7_T9_mT8_P12ihipStream_tbDpT10_ENKUlT_T0_E_clISt17integral_constantIbLb1EES1B_EEDaS16_S17_EUlS16_E_NS1_11comp_targetILNS1_3genE3ELNS1_11target_archE908ELNS1_3gpuE7ELNS1_3repE0EEENS1_30default_config_static_selectorELNS0_4arch9wavefront6targetE1EEEvT1_
		.amdhsa_group_segment_fixed_size 0
		.amdhsa_private_segment_fixed_size 0
		.amdhsa_kernarg_size 160
		.amdhsa_user_sgpr_count 2
		.amdhsa_user_sgpr_dispatch_ptr 0
		.amdhsa_user_sgpr_queue_ptr 0
		.amdhsa_user_sgpr_kernarg_segment_ptr 1
		.amdhsa_user_sgpr_dispatch_id 0
		.amdhsa_user_sgpr_kernarg_preload_length 0
		.amdhsa_user_sgpr_kernarg_preload_offset 0
		.amdhsa_user_sgpr_private_segment_size 0
		.amdhsa_uses_dynamic_stack 0
		.amdhsa_enable_private_segment 0
		.amdhsa_system_sgpr_workgroup_id_x 1
		.amdhsa_system_sgpr_workgroup_id_y 0
		.amdhsa_system_sgpr_workgroup_id_z 0
		.amdhsa_system_sgpr_workgroup_info 0
		.amdhsa_system_vgpr_workitem_id 0
		.amdhsa_next_free_vgpr 1
		.amdhsa_next_free_sgpr 0
		.amdhsa_accum_offset 4
		.amdhsa_reserve_vcc 0
		.amdhsa_float_round_mode_32 0
		.amdhsa_float_round_mode_16_64 0
		.amdhsa_float_denorm_mode_32 3
		.amdhsa_float_denorm_mode_16_64 3
		.amdhsa_dx10_clamp 1
		.amdhsa_ieee_mode 1
		.amdhsa_fp16_overflow 0
		.amdhsa_tg_split 0
		.amdhsa_exception_fp_ieee_invalid_op 0
		.amdhsa_exception_fp_denorm_src 0
		.amdhsa_exception_fp_ieee_div_zero 0
		.amdhsa_exception_fp_ieee_overflow 0
		.amdhsa_exception_fp_ieee_underflow 0
		.amdhsa_exception_fp_ieee_inexact 0
		.amdhsa_exception_int_div_zero 0
	.end_amdhsa_kernel
	.section	.text._ZN7rocprim17ROCPRIM_400000_NS6detail17trampoline_kernelINS0_14default_configENS1_25partition_config_selectorILNS1_17partition_subalgoE1EjNS0_10empty_typeEbEEZZNS1_14partition_implILS5_1ELb0ES3_jN6thrust23THRUST_200600_302600_NS6detail15normal_iteratorINSA_10device_ptrIjEEEEPS6_NSA_18transform_iteratorI7is_evenIjESF_NSA_11use_defaultESK_EENS0_5tupleIJNSA_16discard_iteratorISK_EESO_EEENSM_IJSG_SG_EEES6_PlJS6_EEE10hipError_tPvRmT3_T4_T5_T6_T7_T9_mT8_P12ihipStream_tbDpT10_ENKUlT_T0_E_clISt17integral_constantIbLb1EES1B_EEDaS16_S17_EUlS16_E_NS1_11comp_targetILNS1_3genE3ELNS1_11target_archE908ELNS1_3gpuE7ELNS1_3repE0EEENS1_30default_config_static_selectorELNS0_4arch9wavefront6targetE1EEEvT1_,"axG",@progbits,_ZN7rocprim17ROCPRIM_400000_NS6detail17trampoline_kernelINS0_14default_configENS1_25partition_config_selectorILNS1_17partition_subalgoE1EjNS0_10empty_typeEbEEZZNS1_14partition_implILS5_1ELb0ES3_jN6thrust23THRUST_200600_302600_NS6detail15normal_iteratorINSA_10device_ptrIjEEEEPS6_NSA_18transform_iteratorI7is_evenIjESF_NSA_11use_defaultESK_EENS0_5tupleIJNSA_16discard_iteratorISK_EESO_EEENSM_IJSG_SG_EEES6_PlJS6_EEE10hipError_tPvRmT3_T4_T5_T6_T7_T9_mT8_P12ihipStream_tbDpT10_ENKUlT_T0_E_clISt17integral_constantIbLb1EES1B_EEDaS16_S17_EUlS16_E_NS1_11comp_targetILNS1_3genE3ELNS1_11target_archE908ELNS1_3gpuE7ELNS1_3repE0EEENS1_30default_config_static_selectorELNS0_4arch9wavefront6targetE1EEEvT1_,comdat
.Lfunc_end2982:
	.size	_ZN7rocprim17ROCPRIM_400000_NS6detail17trampoline_kernelINS0_14default_configENS1_25partition_config_selectorILNS1_17partition_subalgoE1EjNS0_10empty_typeEbEEZZNS1_14partition_implILS5_1ELb0ES3_jN6thrust23THRUST_200600_302600_NS6detail15normal_iteratorINSA_10device_ptrIjEEEEPS6_NSA_18transform_iteratorI7is_evenIjESF_NSA_11use_defaultESK_EENS0_5tupleIJNSA_16discard_iteratorISK_EESO_EEENSM_IJSG_SG_EEES6_PlJS6_EEE10hipError_tPvRmT3_T4_T5_T6_T7_T9_mT8_P12ihipStream_tbDpT10_ENKUlT_T0_E_clISt17integral_constantIbLb1EES1B_EEDaS16_S17_EUlS16_E_NS1_11comp_targetILNS1_3genE3ELNS1_11target_archE908ELNS1_3gpuE7ELNS1_3repE0EEENS1_30default_config_static_selectorELNS0_4arch9wavefront6targetE1EEEvT1_, .Lfunc_end2982-_ZN7rocprim17ROCPRIM_400000_NS6detail17trampoline_kernelINS0_14default_configENS1_25partition_config_selectorILNS1_17partition_subalgoE1EjNS0_10empty_typeEbEEZZNS1_14partition_implILS5_1ELb0ES3_jN6thrust23THRUST_200600_302600_NS6detail15normal_iteratorINSA_10device_ptrIjEEEEPS6_NSA_18transform_iteratorI7is_evenIjESF_NSA_11use_defaultESK_EENS0_5tupleIJNSA_16discard_iteratorISK_EESO_EEENSM_IJSG_SG_EEES6_PlJS6_EEE10hipError_tPvRmT3_T4_T5_T6_T7_T9_mT8_P12ihipStream_tbDpT10_ENKUlT_T0_E_clISt17integral_constantIbLb1EES1B_EEDaS16_S17_EUlS16_E_NS1_11comp_targetILNS1_3genE3ELNS1_11target_archE908ELNS1_3gpuE7ELNS1_3repE0EEENS1_30default_config_static_selectorELNS0_4arch9wavefront6targetE1EEEvT1_
                                        ; -- End function
	.section	.AMDGPU.csdata,"",@progbits
; Kernel info:
; codeLenInByte = 0
; NumSgprs: 6
; NumVgprs: 0
; NumAgprs: 0
; TotalNumVgprs: 0
; ScratchSize: 0
; MemoryBound: 0
; FloatMode: 240
; IeeeMode: 1
; LDSByteSize: 0 bytes/workgroup (compile time only)
; SGPRBlocks: 0
; VGPRBlocks: 0
; NumSGPRsForWavesPerEU: 6
; NumVGPRsForWavesPerEU: 1
; AccumOffset: 4
; Occupancy: 8
; WaveLimiterHint : 0
; COMPUTE_PGM_RSRC2:SCRATCH_EN: 0
; COMPUTE_PGM_RSRC2:USER_SGPR: 2
; COMPUTE_PGM_RSRC2:TRAP_HANDLER: 0
; COMPUTE_PGM_RSRC2:TGID_X_EN: 1
; COMPUTE_PGM_RSRC2:TGID_Y_EN: 0
; COMPUTE_PGM_RSRC2:TGID_Z_EN: 0
; COMPUTE_PGM_RSRC2:TIDIG_COMP_CNT: 0
; COMPUTE_PGM_RSRC3_GFX90A:ACCUM_OFFSET: 0
; COMPUTE_PGM_RSRC3_GFX90A:TG_SPLIT: 0
	.section	.text._ZN7rocprim17ROCPRIM_400000_NS6detail17trampoline_kernelINS0_14default_configENS1_25partition_config_selectorILNS1_17partition_subalgoE1EjNS0_10empty_typeEbEEZZNS1_14partition_implILS5_1ELb0ES3_jN6thrust23THRUST_200600_302600_NS6detail15normal_iteratorINSA_10device_ptrIjEEEEPS6_NSA_18transform_iteratorI7is_evenIjESF_NSA_11use_defaultESK_EENS0_5tupleIJNSA_16discard_iteratorISK_EESO_EEENSM_IJSG_SG_EEES6_PlJS6_EEE10hipError_tPvRmT3_T4_T5_T6_T7_T9_mT8_P12ihipStream_tbDpT10_ENKUlT_T0_E_clISt17integral_constantIbLb1EES1B_EEDaS16_S17_EUlS16_E_NS1_11comp_targetILNS1_3genE2ELNS1_11target_archE906ELNS1_3gpuE6ELNS1_3repE0EEENS1_30default_config_static_selectorELNS0_4arch9wavefront6targetE1EEEvT1_,"axG",@progbits,_ZN7rocprim17ROCPRIM_400000_NS6detail17trampoline_kernelINS0_14default_configENS1_25partition_config_selectorILNS1_17partition_subalgoE1EjNS0_10empty_typeEbEEZZNS1_14partition_implILS5_1ELb0ES3_jN6thrust23THRUST_200600_302600_NS6detail15normal_iteratorINSA_10device_ptrIjEEEEPS6_NSA_18transform_iteratorI7is_evenIjESF_NSA_11use_defaultESK_EENS0_5tupleIJNSA_16discard_iteratorISK_EESO_EEENSM_IJSG_SG_EEES6_PlJS6_EEE10hipError_tPvRmT3_T4_T5_T6_T7_T9_mT8_P12ihipStream_tbDpT10_ENKUlT_T0_E_clISt17integral_constantIbLb1EES1B_EEDaS16_S17_EUlS16_E_NS1_11comp_targetILNS1_3genE2ELNS1_11target_archE906ELNS1_3gpuE6ELNS1_3repE0EEENS1_30default_config_static_selectorELNS0_4arch9wavefront6targetE1EEEvT1_,comdat
	.protected	_ZN7rocprim17ROCPRIM_400000_NS6detail17trampoline_kernelINS0_14default_configENS1_25partition_config_selectorILNS1_17partition_subalgoE1EjNS0_10empty_typeEbEEZZNS1_14partition_implILS5_1ELb0ES3_jN6thrust23THRUST_200600_302600_NS6detail15normal_iteratorINSA_10device_ptrIjEEEEPS6_NSA_18transform_iteratorI7is_evenIjESF_NSA_11use_defaultESK_EENS0_5tupleIJNSA_16discard_iteratorISK_EESO_EEENSM_IJSG_SG_EEES6_PlJS6_EEE10hipError_tPvRmT3_T4_T5_T6_T7_T9_mT8_P12ihipStream_tbDpT10_ENKUlT_T0_E_clISt17integral_constantIbLb1EES1B_EEDaS16_S17_EUlS16_E_NS1_11comp_targetILNS1_3genE2ELNS1_11target_archE906ELNS1_3gpuE6ELNS1_3repE0EEENS1_30default_config_static_selectorELNS0_4arch9wavefront6targetE1EEEvT1_ ; -- Begin function _ZN7rocprim17ROCPRIM_400000_NS6detail17trampoline_kernelINS0_14default_configENS1_25partition_config_selectorILNS1_17partition_subalgoE1EjNS0_10empty_typeEbEEZZNS1_14partition_implILS5_1ELb0ES3_jN6thrust23THRUST_200600_302600_NS6detail15normal_iteratorINSA_10device_ptrIjEEEEPS6_NSA_18transform_iteratorI7is_evenIjESF_NSA_11use_defaultESK_EENS0_5tupleIJNSA_16discard_iteratorISK_EESO_EEENSM_IJSG_SG_EEES6_PlJS6_EEE10hipError_tPvRmT3_T4_T5_T6_T7_T9_mT8_P12ihipStream_tbDpT10_ENKUlT_T0_E_clISt17integral_constantIbLb1EES1B_EEDaS16_S17_EUlS16_E_NS1_11comp_targetILNS1_3genE2ELNS1_11target_archE906ELNS1_3gpuE6ELNS1_3repE0EEENS1_30default_config_static_selectorELNS0_4arch9wavefront6targetE1EEEvT1_
	.globl	_ZN7rocprim17ROCPRIM_400000_NS6detail17trampoline_kernelINS0_14default_configENS1_25partition_config_selectorILNS1_17partition_subalgoE1EjNS0_10empty_typeEbEEZZNS1_14partition_implILS5_1ELb0ES3_jN6thrust23THRUST_200600_302600_NS6detail15normal_iteratorINSA_10device_ptrIjEEEEPS6_NSA_18transform_iteratorI7is_evenIjESF_NSA_11use_defaultESK_EENS0_5tupleIJNSA_16discard_iteratorISK_EESO_EEENSM_IJSG_SG_EEES6_PlJS6_EEE10hipError_tPvRmT3_T4_T5_T6_T7_T9_mT8_P12ihipStream_tbDpT10_ENKUlT_T0_E_clISt17integral_constantIbLb1EES1B_EEDaS16_S17_EUlS16_E_NS1_11comp_targetILNS1_3genE2ELNS1_11target_archE906ELNS1_3gpuE6ELNS1_3repE0EEENS1_30default_config_static_selectorELNS0_4arch9wavefront6targetE1EEEvT1_
	.p2align	8
	.type	_ZN7rocprim17ROCPRIM_400000_NS6detail17trampoline_kernelINS0_14default_configENS1_25partition_config_selectorILNS1_17partition_subalgoE1EjNS0_10empty_typeEbEEZZNS1_14partition_implILS5_1ELb0ES3_jN6thrust23THRUST_200600_302600_NS6detail15normal_iteratorINSA_10device_ptrIjEEEEPS6_NSA_18transform_iteratorI7is_evenIjESF_NSA_11use_defaultESK_EENS0_5tupleIJNSA_16discard_iteratorISK_EESO_EEENSM_IJSG_SG_EEES6_PlJS6_EEE10hipError_tPvRmT3_T4_T5_T6_T7_T9_mT8_P12ihipStream_tbDpT10_ENKUlT_T0_E_clISt17integral_constantIbLb1EES1B_EEDaS16_S17_EUlS16_E_NS1_11comp_targetILNS1_3genE2ELNS1_11target_archE906ELNS1_3gpuE6ELNS1_3repE0EEENS1_30default_config_static_selectorELNS0_4arch9wavefront6targetE1EEEvT1_,@function
_ZN7rocprim17ROCPRIM_400000_NS6detail17trampoline_kernelINS0_14default_configENS1_25partition_config_selectorILNS1_17partition_subalgoE1EjNS0_10empty_typeEbEEZZNS1_14partition_implILS5_1ELb0ES3_jN6thrust23THRUST_200600_302600_NS6detail15normal_iteratorINSA_10device_ptrIjEEEEPS6_NSA_18transform_iteratorI7is_evenIjESF_NSA_11use_defaultESK_EENS0_5tupleIJNSA_16discard_iteratorISK_EESO_EEENSM_IJSG_SG_EEES6_PlJS6_EEE10hipError_tPvRmT3_T4_T5_T6_T7_T9_mT8_P12ihipStream_tbDpT10_ENKUlT_T0_E_clISt17integral_constantIbLb1EES1B_EEDaS16_S17_EUlS16_E_NS1_11comp_targetILNS1_3genE2ELNS1_11target_archE906ELNS1_3gpuE6ELNS1_3repE0EEENS1_30default_config_static_selectorELNS0_4arch9wavefront6targetE1EEEvT1_: ; @_ZN7rocprim17ROCPRIM_400000_NS6detail17trampoline_kernelINS0_14default_configENS1_25partition_config_selectorILNS1_17partition_subalgoE1EjNS0_10empty_typeEbEEZZNS1_14partition_implILS5_1ELb0ES3_jN6thrust23THRUST_200600_302600_NS6detail15normal_iteratorINSA_10device_ptrIjEEEEPS6_NSA_18transform_iteratorI7is_evenIjESF_NSA_11use_defaultESK_EENS0_5tupleIJNSA_16discard_iteratorISK_EESO_EEENSM_IJSG_SG_EEES6_PlJS6_EEE10hipError_tPvRmT3_T4_T5_T6_T7_T9_mT8_P12ihipStream_tbDpT10_ENKUlT_T0_E_clISt17integral_constantIbLb1EES1B_EEDaS16_S17_EUlS16_E_NS1_11comp_targetILNS1_3genE2ELNS1_11target_archE906ELNS1_3gpuE6ELNS1_3repE0EEENS1_30default_config_static_selectorELNS0_4arch9wavefront6targetE1EEEvT1_
; %bb.0:
	.section	.rodata,"a",@progbits
	.p2align	6, 0x0
	.amdhsa_kernel _ZN7rocprim17ROCPRIM_400000_NS6detail17trampoline_kernelINS0_14default_configENS1_25partition_config_selectorILNS1_17partition_subalgoE1EjNS0_10empty_typeEbEEZZNS1_14partition_implILS5_1ELb0ES3_jN6thrust23THRUST_200600_302600_NS6detail15normal_iteratorINSA_10device_ptrIjEEEEPS6_NSA_18transform_iteratorI7is_evenIjESF_NSA_11use_defaultESK_EENS0_5tupleIJNSA_16discard_iteratorISK_EESO_EEENSM_IJSG_SG_EEES6_PlJS6_EEE10hipError_tPvRmT3_T4_T5_T6_T7_T9_mT8_P12ihipStream_tbDpT10_ENKUlT_T0_E_clISt17integral_constantIbLb1EES1B_EEDaS16_S17_EUlS16_E_NS1_11comp_targetILNS1_3genE2ELNS1_11target_archE906ELNS1_3gpuE6ELNS1_3repE0EEENS1_30default_config_static_selectorELNS0_4arch9wavefront6targetE1EEEvT1_
		.amdhsa_group_segment_fixed_size 0
		.amdhsa_private_segment_fixed_size 0
		.amdhsa_kernarg_size 160
		.amdhsa_user_sgpr_count 2
		.amdhsa_user_sgpr_dispatch_ptr 0
		.amdhsa_user_sgpr_queue_ptr 0
		.amdhsa_user_sgpr_kernarg_segment_ptr 1
		.amdhsa_user_sgpr_dispatch_id 0
		.amdhsa_user_sgpr_kernarg_preload_length 0
		.amdhsa_user_sgpr_kernarg_preload_offset 0
		.amdhsa_user_sgpr_private_segment_size 0
		.amdhsa_uses_dynamic_stack 0
		.amdhsa_enable_private_segment 0
		.amdhsa_system_sgpr_workgroup_id_x 1
		.amdhsa_system_sgpr_workgroup_id_y 0
		.amdhsa_system_sgpr_workgroup_id_z 0
		.amdhsa_system_sgpr_workgroup_info 0
		.amdhsa_system_vgpr_workitem_id 0
		.amdhsa_next_free_vgpr 1
		.amdhsa_next_free_sgpr 0
		.amdhsa_accum_offset 4
		.amdhsa_reserve_vcc 0
		.amdhsa_float_round_mode_32 0
		.amdhsa_float_round_mode_16_64 0
		.amdhsa_float_denorm_mode_32 3
		.amdhsa_float_denorm_mode_16_64 3
		.amdhsa_dx10_clamp 1
		.amdhsa_ieee_mode 1
		.amdhsa_fp16_overflow 0
		.amdhsa_tg_split 0
		.amdhsa_exception_fp_ieee_invalid_op 0
		.amdhsa_exception_fp_denorm_src 0
		.amdhsa_exception_fp_ieee_div_zero 0
		.amdhsa_exception_fp_ieee_overflow 0
		.amdhsa_exception_fp_ieee_underflow 0
		.amdhsa_exception_fp_ieee_inexact 0
		.amdhsa_exception_int_div_zero 0
	.end_amdhsa_kernel
	.section	.text._ZN7rocprim17ROCPRIM_400000_NS6detail17trampoline_kernelINS0_14default_configENS1_25partition_config_selectorILNS1_17partition_subalgoE1EjNS0_10empty_typeEbEEZZNS1_14partition_implILS5_1ELb0ES3_jN6thrust23THRUST_200600_302600_NS6detail15normal_iteratorINSA_10device_ptrIjEEEEPS6_NSA_18transform_iteratorI7is_evenIjESF_NSA_11use_defaultESK_EENS0_5tupleIJNSA_16discard_iteratorISK_EESO_EEENSM_IJSG_SG_EEES6_PlJS6_EEE10hipError_tPvRmT3_T4_T5_T6_T7_T9_mT8_P12ihipStream_tbDpT10_ENKUlT_T0_E_clISt17integral_constantIbLb1EES1B_EEDaS16_S17_EUlS16_E_NS1_11comp_targetILNS1_3genE2ELNS1_11target_archE906ELNS1_3gpuE6ELNS1_3repE0EEENS1_30default_config_static_selectorELNS0_4arch9wavefront6targetE1EEEvT1_,"axG",@progbits,_ZN7rocprim17ROCPRIM_400000_NS6detail17trampoline_kernelINS0_14default_configENS1_25partition_config_selectorILNS1_17partition_subalgoE1EjNS0_10empty_typeEbEEZZNS1_14partition_implILS5_1ELb0ES3_jN6thrust23THRUST_200600_302600_NS6detail15normal_iteratorINSA_10device_ptrIjEEEEPS6_NSA_18transform_iteratorI7is_evenIjESF_NSA_11use_defaultESK_EENS0_5tupleIJNSA_16discard_iteratorISK_EESO_EEENSM_IJSG_SG_EEES6_PlJS6_EEE10hipError_tPvRmT3_T4_T5_T6_T7_T9_mT8_P12ihipStream_tbDpT10_ENKUlT_T0_E_clISt17integral_constantIbLb1EES1B_EEDaS16_S17_EUlS16_E_NS1_11comp_targetILNS1_3genE2ELNS1_11target_archE906ELNS1_3gpuE6ELNS1_3repE0EEENS1_30default_config_static_selectorELNS0_4arch9wavefront6targetE1EEEvT1_,comdat
.Lfunc_end2983:
	.size	_ZN7rocprim17ROCPRIM_400000_NS6detail17trampoline_kernelINS0_14default_configENS1_25partition_config_selectorILNS1_17partition_subalgoE1EjNS0_10empty_typeEbEEZZNS1_14partition_implILS5_1ELb0ES3_jN6thrust23THRUST_200600_302600_NS6detail15normal_iteratorINSA_10device_ptrIjEEEEPS6_NSA_18transform_iteratorI7is_evenIjESF_NSA_11use_defaultESK_EENS0_5tupleIJNSA_16discard_iteratorISK_EESO_EEENSM_IJSG_SG_EEES6_PlJS6_EEE10hipError_tPvRmT3_T4_T5_T6_T7_T9_mT8_P12ihipStream_tbDpT10_ENKUlT_T0_E_clISt17integral_constantIbLb1EES1B_EEDaS16_S17_EUlS16_E_NS1_11comp_targetILNS1_3genE2ELNS1_11target_archE906ELNS1_3gpuE6ELNS1_3repE0EEENS1_30default_config_static_selectorELNS0_4arch9wavefront6targetE1EEEvT1_, .Lfunc_end2983-_ZN7rocprim17ROCPRIM_400000_NS6detail17trampoline_kernelINS0_14default_configENS1_25partition_config_selectorILNS1_17partition_subalgoE1EjNS0_10empty_typeEbEEZZNS1_14partition_implILS5_1ELb0ES3_jN6thrust23THRUST_200600_302600_NS6detail15normal_iteratorINSA_10device_ptrIjEEEEPS6_NSA_18transform_iteratorI7is_evenIjESF_NSA_11use_defaultESK_EENS0_5tupleIJNSA_16discard_iteratorISK_EESO_EEENSM_IJSG_SG_EEES6_PlJS6_EEE10hipError_tPvRmT3_T4_T5_T6_T7_T9_mT8_P12ihipStream_tbDpT10_ENKUlT_T0_E_clISt17integral_constantIbLb1EES1B_EEDaS16_S17_EUlS16_E_NS1_11comp_targetILNS1_3genE2ELNS1_11target_archE906ELNS1_3gpuE6ELNS1_3repE0EEENS1_30default_config_static_selectorELNS0_4arch9wavefront6targetE1EEEvT1_
                                        ; -- End function
	.section	.AMDGPU.csdata,"",@progbits
; Kernel info:
; codeLenInByte = 0
; NumSgprs: 6
; NumVgprs: 0
; NumAgprs: 0
; TotalNumVgprs: 0
; ScratchSize: 0
; MemoryBound: 0
; FloatMode: 240
; IeeeMode: 1
; LDSByteSize: 0 bytes/workgroup (compile time only)
; SGPRBlocks: 0
; VGPRBlocks: 0
; NumSGPRsForWavesPerEU: 6
; NumVGPRsForWavesPerEU: 1
; AccumOffset: 4
; Occupancy: 8
; WaveLimiterHint : 0
; COMPUTE_PGM_RSRC2:SCRATCH_EN: 0
; COMPUTE_PGM_RSRC2:USER_SGPR: 2
; COMPUTE_PGM_RSRC2:TRAP_HANDLER: 0
; COMPUTE_PGM_RSRC2:TGID_X_EN: 1
; COMPUTE_PGM_RSRC2:TGID_Y_EN: 0
; COMPUTE_PGM_RSRC2:TGID_Z_EN: 0
; COMPUTE_PGM_RSRC2:TIDIG_COMP_CNT: 0
; COMPUTE_PGM_RSRC3_GFX90A:ACCUM_OFFSET: 0
; COMPUTE_PGM_RSRC3_GFX90A:TG_SPLIT: 0
	.section	.text._ZN7rocprim17ROCPRIM_400000_NS6detail17trampoline_kernelINS0_14default_configENS1_25partition_config_selectorILNS1_17partition_subalgoE1EjNS0_10empty_typeEbEEZZNS1_14partition_implILS5_1ELb0ES3_jN6thrust23THRUST_200600_302600_NS6detail15normal_iteratorINSA_10device_ptrIjEEEEPS6_NSA_18transform_iteratorI7is_evenIjESF_NSA_11use_defaultESK_EENS0_5tupleIJNSA_16discard_iteratorISK_EESO_EEENSM_IJSG_SG_EEES6_PlJS6_EEE10hipError_tPvRmT3_T4_T5_T6_T7_T9_mT8_P12ihipStream_tbDpT10_ENKUlT_T0_E_clISt17integral_constantIbLb1EES1B_EEDaS16_S17_EUlS16_E_NS1_11comp_targetILNS1_3genE10ELNS1_11target_archE1200ELNS1_3gpuE4ELNS1_3repE0EEENS1_30default_config_static_selectorELNS0_4arch9wavefront6targetE1EEEvT1_,"axG",@progbits,_ZN7rocprim17ROCPRIM_400000_NS6detail17trampoline_kernelINS0_14default_configENS1_25partition_config_selectorILNS1_17partition_subalgoE1EjNS0_10empty_typeEbEEZZNS1_14partition_implILS5_1ELb0ES3_jN6thrust23THRUST_200600_302600_NS6detail15normal_iteratorINSA_10device_ptrIjEEEEPS6_NSA_18transform_iteratorI7is_evenIjESF_NSA_11use_defaultESK_EENS0_5tupleIJNSA_16discard_iteratorISK_EESO_EEENSM_IJSG_SG_EEES6_PlJS6_EEE10hipError_tPvRmT3_T4_T5_T6_T7_T9_mT8_P12ihipStream_tbDpT10_ENKUlT_T0_E_clISt17integral_constantIbLb1EES1B_EEDaS16_S17_EUlS16_E_NS1_11comp_targetILNS1_3genE10ELNS1_11target_archE1200ELNS1_3gpuE4ELNS1_3repE0EEENS1_30default_config_static_selectorELNS0_4arch9wavefront6targetE1EEEvT1_,comdat
	.protected	_ZN7rocprim17ROCPRIM_400000_NS6detail17trampoline_kernelINS0_14default_configENS1_25partition_config_selectorILNS1_17partition_subalgoE1EjNS0_10empty_typeEbEEZZNS1_14partition_implILS5_1ELb0ES3_jN6thrust23THRUST_200600_302600_NS6detail15normal_iteratorINSA_10device_ptrIjEEEEPS6_NSA_18transform_iteratorI7is_evenIjESF_NSA_11use_defaultESK_EENS0_5tupleIJNSA_16discard_iteratorISK_EESO_EEENSM_IJSG_SG_EEES6_PlJS6_EEE10hipError_tPvRmT3_T4_T5_T6_T7_T9_mT8_P12ihipStream_tbDpT10_ENKUlT_T0_E_clISt17integral_constantIbLb1EES1B_EEDaS16_S17_EUlS16_E_NS1_11comp_targetILNS1_3genE10ELNS1_11target_archE1200ELNS1_3gpuE4ELNS1_3repE0EEENS1_30default_config_static_selectorELNS0_4arch9wavefront6targetE1EEEvT1_ ; -- Begin function _ZN7rocprim17ROCPRIM_400000_NS6detail17trampoline_kernelINS0_14default_configENS1_25partition_config_selectorILNS1_17partition_subalgoE1EjNS0_10empty_typeEbEEZZNS1_14partition_implILS5_1ELb0ES3_jN6thrust23THRUST_200600_302600_NS6detail15normal_iteratorINSA_10device_ptrIjEEEEPS6_NSA_18transform_iteratorI7is_evenIjESF_NSA_11use_defaultESK_EENS0_5tupleIJNSA_16discard_iteratorISK_EESO_EEENSM_IJSG_SG_EEES6_PlJS6_EEE10hipError_tPvRmT3_T4_T5_T6_T7_T9_mT8_P12ihipStream_tbDpT10_ENKUlT_T0_E_clISt17integral_constantIbLb1EES1B_EEDaS16_S17_EUlS16_E_NS1_11comp_targetILNS1_3genE10ELNS1_11target_archE1200ELNS1_3gpuE4ELNS1_3repE0EEENS1_30default_config_static_selectorELNS0_4arch9wavefront6targetE1EEEvT1_
	.globl	_ZN7rocprim17ROCPRIM_400000_NS6detail17trampoline_kernelINS0_14default_configENS1_25partition_config_selectorILNS1_17partition_subalgoE1EjNS0_10empty_typeEbEEZZNS1_14partition_implILS5_1ELb0ES3_jN6thrust23THRUST_200600_302600_NS6detail15normal_iteratorINSA_10device_ptrIjEEEEPS6_NSA_18transform_iteratorI7is_evenIjESF_NSA_11use_defaultESK_EENS0_5tupleIJNSA_16discard_iteratorISK_EESO_EEENSM_IJSG_SG_EEES6_PlJS6_EEE10hipError_tPvRmT3_T4_T5_T6_T7_T9_mT8_P12ihipStream_tbDpT10_ENKUlT_T0_E_clISt17integral_constantIbLb1EES1B_EEDaS16_S17_EUlS16_E_NS1_11comp_targetILNS1_3genE10ELNS1_11target_archE1200ELNS1_3gpuE4ELNS1_3repE0EEENS1_30default_config_static_selectorELNS0_4arch9wavefront6targetE1EEEvT1_
	.p2align	8
	.type	_ZN7rocprim17ROCPRIM_400000_NS6detail17trampoline_kernelINS0_14default_configENS1_25partition_config_selectorILNS1_17partition_subalgoE1EjNS0_10empty_typeEbEEZZNS1_14partition_implILS5_1ELb0ES3_jN6thrust23THRUST_200600_302600_NS6detail15normal_iteratorINSA_10device_ptrIjEEEEPS6_NSA_18transform_iteratorI7is_evenIjESF_NSA_11use_defaultESK_EENS0_5tupleIJNSA_16discard_iteratorISK_EESO_EEENSM_IJSG_SG_EEES6_PlJS6_EEE10hipError_tPvRmT3_T4_T5_T6_T7_T9_mT8_P12ihipStream_tbDpT10_ENKUlT_T0_E_clISt17integral_constantIbLb1EES1B_EEDaS16_S17_EUlS16_E_NS1_11comp_targetILNS1_3genE10ELNS1_11target_archE1200ELNS1_3gpuE4ELNS1_3repE0EEENS1_30default_config_static_selectorELNS0_4arch9wavefront6targetE1EEEvT1_,@function
_ZN7rocprim17ROCPRIM_400000_NS6detail17trampoline_kernelINS0_14default_configENS1_25partition_config_selectorILNS1_17partition_subalgoE1EjNS0_10empty_typeEbEEZZNS1_14partition_implILS5_1ELb0ES3_jN6thrust23THRUST_200600_302600_NS6detail15normal_iteratorINSA_10device_ptrIjEEEEPS6_NSA_18transform_iteratorI7is_evenIjESF_NSA_11use_defaultESK_EENS0_5tupleIJNSA_16discard_iteratorISK_EESO_EEENSM_IJSG_SG_EEES6_PlJS6_EEE10hipError_tPvRmT3_T4_T5_T6_T7_T9_mT8_P12ihipStream_tbDpT10_ENKUlT_T0_E_clISt17integral_constantIbLb1EES1B_EEDaS16_S17_EUlS16_E_NS1_11comp_targetILNS1_3genE10ELNS1_11target_archE1200ELNS1_3gpuE4ELNS1_3repE0EEENS1_30default_config_static_selectorELNS0_4arch9wavefront6targetE1EEEvT1_: ; @_ZN7rocprim17ROCPRIM_400000_NS6detail17trampoline_kernelINS0_14default_configENS1_25partition_config_selectorILNS1_17partition_subalgoE1EjNS0_10empty_typeEbEEZZNS1_14partition_implILS5_1ELb0ES3_jN6thrust23THRUST_200600_302600_NS6detail15normal_iteratorINSA_10device_ptrIjEEEEPS6_NSA_18transform_iteratorI7is_evenIjESF_NSA_11use_defaultESK_EENS0_5tupleIJNSA_16discard_iteratorISK_EESO_EEENSM_IJSG_SG_EEES6_PlJS6_EEE10hipError_tPvRmT3_T4_T5_T6_T7_T9_mT8_P12ihipStream_tbDpT10_ENKUlT_T0_E_clISt17integral_constantIbLb1EES1B_EEDaS16_S17_EUlS16_E_NS1_11comp_targetILNS1_3genE10ELNS1_11target_archE1200ELNS1_3gpuE4ELNS1_3repE0EEENS1_30default_config_static_selectorELNS0_4arch9wavefront6targetE1EEEvT1_
; %bb.0:
	.section	.rodata,"a",@progbits
	.p2align	6, 0x0
	.amdhsa_kernel _ZN7rocprim17ROCPRIM_400000_NS6detail17trampoline_kernelINS0_14default_configENS1_25partition_config_selectorILNS1_17partition_subalgoE1EjNS0_10empty_typeEbEEZZNS1_14partition_implILS5_1ELb0ES3_jN6thrust23THRUST_200600_302600_NS6detail15normal_iteratorINSA_10device_ptrIjEEEEPS6_NSA_18transform_iteratorI7is_evenIjESF_NSA_11use_defaultESK_EENS0_5tupleIJNSA_16discard_iteratorISK_EESO_EEENSM_IJSG_SG_EEES6_PlJS6_EEE10hipError_tPvRmT3_T4_T5_T6_T7_T9_mT8_P12ihipStream_tbDpT10_ENKUlT_T0_E_clISt17integral_constantIbLb1EES1B_EEDaS16_S17_EUlS16_E_NS1_11comp_targetILNS1_3genE10ELNS1_11target_archE1200ELNS1_3gpuE4ELNS1_3repE0EEENS1_30default_config_static_selectorELNS0_4arch9wavefront6targetE1EEEvT1_
		.amdhsa_group_segment_fixed_size 0
		.amdhsa_private_segment_fixed_size 0
		.amdhsa_kernarg_size 160
		.amdhsa_user_sgpr_count 2
		.amdhsa_user_sgpr_dispatch_ptr 0
		.amdhsa_user_sgpr_queue_ptr 0
		.amdhsa_user_sgpr_kernarg_segment_ptr 1
		.amdhsa_user_sgpr_dispatch_id 0
		.amdhsa_user_sgpr_kernarg_preload_length 0
		.amdhsa_user_sgpr_kernarg_preload_offset 0
		.amdhsa_user_sgpr_private_segment_size 0
		.amdhsa_uses_dynamic_stack 0
		.amdhsa_enable_private_segment 0
		.amdhsa_system_sgpr_workgroup_id_x 1
		.amdhsa_system_sgpr_workgroup_id_y 0
		.amdhsa_system_sgpr_workgroup_id_z 0
		.amdhsa_system_sgpr_workgroup_info 0
		.amdhsa_system_vgpr_workitem_id 0
		.amdhsa_next_free_vgpr 1
		.amdhsa_next_free_sgpr 0
		.amdhsa_accum_offset 4
		.amdhsa_reserve_vcc 0
		.amdhsa_float_round_mode_32 0
		.amdhsa_float_round_mode_16_64 0
		.amdhsa_float_denorm_mode_32 3
		.amdhsa_float_denorm_mode_16_64 3
		.amdhsa_dx10_clamp 1
		.amdhsa_ieee_mode 1
		.amdhsa_fp16_overflow 0
		.amdhsa_tg_split 0
		.amdhsa_exception_fp_ieee_invalid_op 0
		.amdhsa_exception_fp_denorm_src 0
		.amdhsa_exception_fp_ieee_div_zero 0
		.amdhsa_exception_fp_ieee_overflow 0
		.amdhsa_exception_fp_ieee_underflow 0
		.amdhsa_exception_fp_ieee_inexact 0
		.amdhsa_exception_int_div_zero 0
	.end_amdhsa_kernel
	.section	.text._ZN7rocprim17ROCPRIM_400000_NS6detail17trampoline_kernelINS0_14default_configENS1_25partition_config_selectorILNS1_17partition_subalgoE1EjNS0_10empty_typeEbEEZZNS1_14partition_implILS5_1ELb0ES3_jN6thrust23THRUST_200600_302600_NS6detail15normal_iteratorINSA_10device_ptrIjEEEEPS6_NSA_18transform_iteratorI7is_evenIjESF_NSA_11use_defaultESK_EENS0_5tupleIJNSA_16discard_iteratorISK_EESO_EEENSM_IJSG_SG_EEES6_PlJS6_EEE10hipError_tPvRmT3_T4_T5_T6_T7_T9_mT8_P12ihipStream_tbDpT10_ENKUlT_T0_E_clISt17integral_constantIbLb1EES1B_EEDaS16_S17_EUlS16_E_NS1_11comp_targetILNS1_3genE10ELNS1_11target_archE1200ELNS1_3gpuE4ELNS1_3repE0EEENS1_30default_config_static_selectorELNS0_4arch9wavefront6targetE1EEEvT1_,"axG",@progbits,_ZN7rocprim17ROCPRIM_400000_NS6detail17trampoline_kernelINS0_14default_configENS1_25partition_config_selectorILNS1_17partition_subalgoE1EjNS0_10empty_typeEbEEZZNS1_14partition_implILS5_1ELb0ES3_jN6thrust23THRUST_200600_302600_NS6detail15normal_iteratorINSA_10device_ptrIjEEEEPS6_NSA_18transform_iteratorI7is_evenIjESF_NSA_11use_defaultESK_EENS0_5tupleIJNSA_16discard_iteratorISK_EESO_EEENSM_IJSG_SG_EEES6_PlJS6_EEE10hipError_tPvRmT3_T4_T5_T6_T7_T9_mT8_P12ihipStream_tbDpT10_ENKUlT_T0_E_clISt17integral_constantIbLb1EES1B_EEDaS16_S17_EUlS16_E_NS1_11comp_targetILNS1_3genE10ELNS1_11target_archE1200ELNS1_3gpuE4ELNS1_3repE0EEENS1_30default_config_static_selectorELNS0_4arch9wavefront6targetE1EEEvT1_,comdat
.Lfunc_end2984:
	.size	_ZN7rocprim17ROCPRIM_400000_NS6detail17trampoline_kernelINS0_14default_configENS1_25partition_config_selectorILNS1_17partition_subalgoE1EjNS0_10empty_typeEbEEZZNS1_14partition_implILS5_1ELb0ES3_jN6thrust23THRUST_200600_302600_NS6detail15normal_iteratorINSA_10device_ptrIjEEEEPS6_NSA_18transform_iteratorI7is_evenIjESF_NSA_11use_defaultESK_EENS0_5tupleIJNSA_16discard_iteratorISK_EESO_EEENSM_IJSG_SG_EEES6_PlJS6_EEE10hipError_tPvRmT3_T4_T5_T6_T7_T9_mT8_P12ihipStream_tbDpT10_ENKUlT_T0_E_clISt17integral_constantIbLb1EES1B_EEDaS16_S17_EUlS16_E_NS1_11comp_targetILNS1_3genE10ELNS1_11target_archE1200ELNS1_3gpuE4ELNS1_3repE0EEENS1_30default_config_static_selectorELNS0_4arch9wavefront6targetE1EEEvT1_, .Lfunc_end2984-_ZN7rocprim17ROCPRIM_400000_NS6detail17trampoline_kernelINS0_14default_configENS1_25partition_config_selectorILNS1_17partition_subalgoE1EjNS0_10empty_typeEbEEZZNS1_14partition_implILS5_1ELb0ES3_jN6thrust23THRUST_200600_302600_NS6detail15normal_iteratorINSA_10device_ptrIjEEEEPS6_NSA_18transform_iteratorI7is_evenIjESF_NSA_11use_defaultESK_EENS0_5tupleIJNSA_16discard_iteratorISK_EESO_EEENSM_IJSG_SG_EEES6_PlJS6_EEE10hipError_tPvRmT3_T4_T5_T6_T7_T9_mT8_P12ihipStream_tbDpT10_ENKUlT_T0_E_clISt17integral_constantIbLb1EES1B_EEDaS16_S17_EUlS16_E_NS1_11comp_targetILNS1_3genE10ELNS1_11target_archE1200ELNS1_3gpuE4ELNS1_3repE0EEENS1_30default_config_static_selectorELNS0_4arch9wavefront6targetE1EEEvT1_
                                        ; -- End function
	.section	.AMDGPU.csdata,"",@progbits
; Kernel info:
; codeLenInByte = 0
; NumSgprs: 6
; NumVgprs: 0
; NumAgprs: 0
; TotalNumVgprs: 0
; ScratchSize: 0
; MemoryBound: 0
; FloatMode: 240
; IeeeMode: 1
; LDSByteSize: 0 bytes/workgroup (compile time only)
; SGPRBlocks: 0
; VGPRBlocks: 0
; NumSGPRsForWavesPerEU: 6
; NumVGPRsForWavesPerEU: 1
; AccumOffset: 4
; Occupancy: 8
; WaveLimiterHint : 0
; COMPUTE_PGM_RSRC2:SCRATCH_EN: 0
; COMPUTE_PGM_RSRC2:USER_SGPR: 2
; COMPUTE_PGM_RSRC2:TRAP_HANDLER: 0
; COMPUTE_PGM_RSRC2:TGID_X_EN: 1
; COMPUTE_PGM_RSRC2:TGID_Y_EN: 0
; COMPUTE_PGM_RSRC2:TGID_Z_EN: 0
; COMPUTE_PGM_RSRC2:TIDIG_COMP_CNT: 0
; COMPUTE_PGM_RSRC3_GFX90A:ACCUM_OFFSET: 0
; COMPUTE_PGM_RSRC3_GFX90A:TG_SPLIT: 0
	.section	.text._ZN7rocprim17ROCPRIM_400000_NS6detail17trampoline_kernelINS0_14default_configENS1_25partition_config_selectorILNS1_17partition_subalgoE1EjNS0_10empty_typeEbEEZZNS1_14partition_implILS5_1ELb0ES3_jN6thrust23THRUST_200600_302600_NS6detail15normal_iteratorINSA_10device_ptrIjEEEEPS6_NSA_18transform_iteratorI7is_evenIjESF_NSA_11use_defaultESK_EENS0_5tupleIJNSA_16discard_iteratorISK_EESO_EEENSM_IJSG_SG_EEES6_PlJS6_EEE10hipError_tPvRmT3_T4_T5_T6_T7_T9_mT8_P12ihipStream_tbDpT10_ENKUlT_T0_E_clISt17integral_constantIbLb1EES1B_EEDaS16_S17_EUlS16_E_NS1_11comp_targetILNS1_3genE9ELNS1_11target_archE1100ELNS1_3gpuE3ELNS1_3repE0EEENS1_30default_config_static_selectorELNS0_4arch9wavefront6targetE1EEEvT1_,"axG",@progbits,_ZN7rocprim17ROCPRIM_400000_NS6detail17trampoline_kernelINS0_14default_configENS1_25partition_config_selectorILNS1_17partition_subalgoE1EjNS0_10empty_typeEbEEZZNS1_14partition_implILS5_1ELb0ES3_jN6thrust23THRUST_200600_302600_NS6detail15normal_iteratorINSA_10device_ptrIjEEEEPS6_NSA_18transform_iteratorI7is_evenIjESF_NSA_11use_defaultESK_EENS0_5tupleIJNSA_16discard_iteratorISK_EESO_EEENSM_IJSG_SG_EEES6_PlJS6_EEE10hipError_tPvRmT3_T4_T5_T6_T7_T9_mT8_P12ihipStream_tbDpT10_ENKUlT_T0_E_clISt17integral_constantIbLb1EES1B_EEDaS16_S17_EUlS16_E_NS1_11comp_targetILNS1_3genE9ELNS1_11target_archE1100ELNS1_3gpuE3ELNS1_3repE0EEENS1_30default_config_static_selectorELNS0_4arch9wavefront6targetE1EEEvT1_,comdat
	.protected	_ZN7rocprim17ROCPRIM_400000_NS6detail17trampoline_kernelINS0_14default_configENS1_25partition_config_selectorILNS1_17partition_subalgoE1EjNS0_10empty_typeEbEEZZNS1_14partition_implILS5_1ELb0ES3_jN6thrust23THRUST_200600_302600_NS6detail15normal_iteratorINSA_10device_ptrIjEEEEPS6_NSA_18transform_iteratorI7is_evenIjESF_NSA_11use_defaultESK_EENS0_5tupleIJNSA_16discard_iteratorISK_EESO_EEENSM_IJSG_SG_EEES6_PlJS6_EEE10hipError_tPvRmT3_T4_T5_T6_T7_T9_mT8_P12ihipStream_tbDpT10_ENKUlT_T0_E_clISt17integral_constantIbLb1EES1B_EEDaS16_S17_EUlS16_E_NS1_11comp_targetILNS1_3genE9ELNS1_11target_archE1100ELNS1_3gpuE3ELNS1_3repE0EEENS1_30default_config_static_selectorELNS0_4arch9wavefront6targetE1EEEvT1_ ; -- Begin function _ZN7rocprim17ROCPRIM_400000_NS6detail17trampoline_kernelINS0_14default_configENS1_25partition_config_selectorILNS1_17partition_subalgoE1EjNS0_10empty_typeEbEEZZNS1_14partition_implILS5_1ELb0ES3_jN6thrust23THRUST_200600_302600_NS6detail15normal_iteratorINSA_10device_ptrIjEEEEPS6_NSA_18transform_iteratorI7is_evenIjESF_NSA_11use_defaultESK_EENS0_5tupleIJNSA_16discard_iteratorISK_EESO_EEENSM_IJSG_SG_EEES6_PlJS6_EEE10hipError_tPvRmT3_T4_T5_T6_T7_T9_mT8_P12ihipStream_tbDpT10_ENKUlT_T0_E_clISt17integral_constantIbLb1EES1B_EEDaS16_S17_EUlS16_E_NS1_11comp_targetILNS1_3genE9ELNS1_11target_archE1100ELNS1_3gpuE3ELNS1_3repE0EEENS1_30default_config_static_selectorELNS0_4arch9wavefront6targetE1EEEvT1_
	.globl	_ZN7rocprim17ROCPRIM_400000_NS6detail17trampoline_kernelINS0_14default_configENS1_25partition_config_selectorILNS1_17partition_subalgoE1EjNS0_10empty_typeEbEEZZNS1_14partition_implILS5_1ELb0ES3_jN6thrust23THRUST_200600_302600_NS6detail15normal_iteratorINSA_10device_ptrIjEEEEPS6_NSA_18transform_iteratorI7is_evenIjESF_NSA_11use_defaultESK_EENS0_5tupleIJNSA_16discard_iteratorISK_EESO_EEENSM_IJSG_SG_EEES6_PlJS6_EEE10hipError_tPvRmT3_T4_T5_T6_T7_T9_mT8_P12ihipStream_tbDpT10_ENKUlT_T0_E_clISt17integral_constantIbLb1EES1B_EEDaS16_S17_EUlS16_E_NS1_11comp_targetILNS1_3genE9ELNS1_11target_archE1100ELNS1_3gpuE3ELNS1_3repE0EEENS1_30default_config_static_selectorELNS0_4arch9wavefront6targetE1EEEvT1_
	.p2align	8
	.type	_ZN7rocprim17ROCPRIM_400000_NS6detail17trampoline_kernelINS0_14default_configENS1_25partition_config_selectorILNS1_17partition_subalgoE1EjNS0_10empty_typeEbEEZZNS1_14partition_implILS5_1ELb0ES3_jN6thrust23THRUST_200600_302600_NS6detail15normal_iteratorINSA_10device_ptrIjEEEEPS6_NSA_18transform_iteratorI7is_evenIjESF_NSA_11use_defaultESK_EENS0_5tupleIJNSA_16discard_iteratorISK_EESO_EEENSM_IJSG_SG_EEES6_PlJS6_EEE10hipError_tPvRmT3_T4_T5_T6_T7_T9_mT8_P12ihipStream_tbDpT10_ENKUlT_T0_E_clISt17integral_constantIbLb1EES1B_EEDaS16_S17_EUlS16_E_NS1_11comp_targetILNS1_3genE9ELNS1_11target_archE1100ELNS1_3gpuE3ELNS1_3repE0EEENS1_30default_config_static_selectorELNS0_4arch9wavefront6targetE1EEEvT1_,@function
_ZN7rocprim17ROCPRIM_400000_NS6detail17trampoline_kernelINS0_14default_configENS1_25partition_config_selectorILNS1_17partition_subalgoE1EjNS0_10empty_typeEbEEZZNS1_14partition_implILS5_1ELb0ES3_jN6thrust23THRUST_200600_302600_NS6detail15normal_iteratorINSA_10device_ptrIjEEEEPS6_NSA_18transform_iteratorI7is_evenIjESF_NSA_11use_defaultESK_EENS0_5tupleIJNSA_16discard_iteratorISK_EESO_EEENSM_IJSG_SG_EEES6_PlJS6_EEE10hipError_tPvRmT3_T4_T5_T6_T7_T9_mT8_P12ihipStream_tbDpT10_ENKUlT_T0_E_clISt17integral_constantIbLb1EES1B_EEDaS16_S17_EUlS16_E_NS1_11comp_targetILNS1_3genE9ELNS1_11target_archE1100ELNS1_3gpuE3ELNS1_3repE0EEENS1_30default_config_static_selectorELNS0_4arch9wavefront6targetE1EEEvT1_: ; @_ZN7rocprim17ROCPRIM_400000_NS6detail17trampoline_kernelINS0_14default_configENS1_25partition_config_selectorILNS1_17partition_subalgoE1EjNS0_10empty_typeEbEEZZNS1_14partition_implILS5_1ELb0ES3_jN6thrust23THRUST_200600_302600_NS6detail15normal_iteratorINSA_10device_ptrIjEEEEPS6_NSA_18transform_iteratorI7is_evenIjESF_NSA_11use_defaultESK_EENS0_5tupleIJNSA_16discard_iteratorISK_EESO_EEENSM_IJSG_SG_EEES6_PlJS6_EEE10hipError_tPvRmT3_T4_T5_T6_T7_T9_mT8_P12ihipStream_tbDpT10_ENKUlT_T0_E_clISt17integral_constantIbLb1EES1B_EEDaS16_S17_EUlS16_E_NS1_11comp_targetILNS1_3genE9ELNS1_11target_archE1100ELNS1_3gpuE3ELNS1_3repE0EEENS1_30default_config_static_selectorELNS0_4arch9wavefront6targetE1EEEvT1_
; %bb.0:
	.section	.rodata,"a",@progbits
	.p2align	6, 0x0
	.amdhsa_kernel _ZN7rocprim17ROCPRIM_400000_NS6detail17trampoline_kernelINS0_14default_configENS1_25partition_config_selectorILNS1_17partition_subalgoE1EjNS0_10empty_typeEbEEZZNS1_14partition_implILS5_1ELb0ES3_jN6thrust23THRUST_200600_302600_NS6detail15normal_iteratorINSA_10device_ptrIjEEEEPS6_NSA_18transform_iteratorI7is_evenIjESF_NSA_11use_defaultESK_EENS0_5tupleIJNSA_16discard_iteratorISK_EESO_EEENSM_IJSG_SG_EEES6_PlJS6_EEE10hipError_tPvRmT3_T4_T5_T6_T7_T9_mT8_P12ihipStream_tbDpT10_ENKUlT_T0_E_clISt17integral_constantIbLb1EES1B_EEDaS16_S17_EUlS16_E_NS1_11comp_targetILNS1_3genE9ELNS1_11target_archE1100ELNS1_3gpuE3ELNS1_3repE0EEENS1_30default_config_static_selectorELNS0_4arch9wavefront6targetE1EEEvT1_
		.amdhsa_group_segment_fixed_size 0
		.amdhsa_private_segment_fixed_size 0
		.amdhsa_kernarg_size 160
		.amdhsa_user_sgpr_count 2
		.amdhsa_user_sgpr_dispatch_ptr 0
		.amdhsa_user_sgpr_queue_ptr 0
		.amdhsa_user_sgpr_kernarg_segment_ptr 1
		.amdhsa_user_sgpr_dispatch_id 0
		.amdhsa_user_sgpr_kernarg_preload_length 0
		.amdhsa_user_sgpr_kernarg_preload_offset 0
		.amdhsa_user_sgpr_private_segment_size 0
		.amdhsa_uses_dynamic_stack 0
		.amdhsa_enable_private_segment 0
		.amdhsa_system_sgpr_workgroup_id_x 1
		.amdhsa_system_sgpr_workgroup_id_y 0
		.amdhsa_system_sgpr_workgroup_id_z 0
		.amdhsa_system_sgpr_workgroup_info 0
		.amdhsa_system_vgpr_workitem_id 0
		.amdhsa_next_free_vgpr 1
		.amdhsa_next_free_sgpr 0
		.amdhsa_accum_offset 4
		.amdhsa_reserve_vcc 0
		.amdhsa_float_round_mode_32 0
		.amdhsa_float_round_mode_16_64 0
		.amdhsa_float_denorm_mode_32 3
		.amdhsa_float_denorm_mode_16_64 3
		.amdhsa_dx10_clamp 1
		.amdhsa_ieee_mode 1
		.amdhsa_fp16_overflow 0
		.amdhsa_tg_split 0
		.amdhsa_exception_fp_ieee_invalid_op 0
		.amdhsa_exception_fp_denorm_src 0
		.amdhsa_exception_fp_ieee_div_zero 0
		.amdhsa_exception_fp_ieee_overflow 0
		.amdhsa_exception_fp_ieee_underflow 0
		.amdhsa_exception_fp_ieee_inexact 0
		.amdhsa_exception_int_div_zero 0
	.end_amdhsa_kernel
	.section	.text._ZN7rocprim17ROCPRIM_400000_NS6detail17trampoline_kernelINS0_14default_configENS1_25partition_config_selectorILNS1_17partition_subalgoE1EjNS0_10empty_typeEbEEZZNS1_14partition_implILS5_1ELb0ES3_jN6thrust23THRUST_200600_302600_NS6detail15normal_iteratorINSA_10device_ptrIjEEEEPS6_NSA_18transform_iteratorI7is_evenIjESF_NSA_11use_defaultESK_EENS0_5tupleIJNSA_16discard_iteratorISK_EESO_EEENSM_IJSG_SG_EEES6_PlJS6_EEE10hipError_tPvRmT3_T4_T5_T6_T7_T9_mT8_P12ihipStream_tbDpT10_ENKUlT_T0_E_clISt17integral_constantIbLb1EES1B_EEDaS16_S17_EUlS16_E_NS1_11comp_targetILNS1_3genE9ELNS1_11target_archE1100ELNS1_3gpuE3ELNS1_3repE0EEENS1_30default_config_static_selectorELNS0_4arch9wavefront6targetE1EEEvT1_,"axG",@progbits,_ZN7rocprim17ROCPRIM_400000_NS6detail17trampoline_kernelINS0_14default_configENS1_25partition_config_selectorILNS1_17partition_subalgoE1EjNS0_10empty_typeEbEEZZNS1_14partition_implILS5_1ELb0ES3_jN6thrust23THRUST_200600_302600_NS6detail15normal_iteratorINSA_10device_ptrIjEEEEPS6_NSA_18transform_iteratorI7is_evenIjESF_NSA_11use_defaultESK_EENS0_5tupleIJNSA_16discard_iteratorISK_EESO_EEENSM_IJSG_SG_EEES6_PlJS6_EEE10hipError_tPvRmT3_T4_T5_T6_T7_T9_mT8_P12ihipStream_tbDpT10_ENKUlT_T0_E_clISt17integral_constantIbLb1EES1B_EEDaS16_S17_EUlS16_E_NS1_11comp_targetILNS1_3genE9ELNS1_11target_archE1100ELNS1_3gpuE3ELNS1_3repE0EEENS1_30default_config_static_selectorELNS0_4arch9wavefront6targetE1EEEvT1_,comdat
.Lfunc_end2985:
	.size	_ZN7rocprim17ROCPRIM_400000_NS6detail17trampoline_kernelINS0_14default_configENS1_25partition_config_selectorILNS1_17partition_subalgoE1EjNS0_10empty_typeEbEEZZNS1_14partition_implILS5_1ELb0ES3_jN6thrust23THRUST_200600_302600_NS6detail15normal_iteratorINSA_10device_ptrIjEEEEPS6_NSA_18transform_iteratorI7is_evenIjESF_NSA_11use_defaultESK_EENS0_5tupleIJNSA_16discard_iteratorISK_EESO_EEENSM_IJSG_SG_EEES6_PlJS6_EEE10hipError_tPvRmT3_T4_T5_T6_T7_T9_mT8_P12ihipStream_tbDpT10_ENKUlT_T0_E_clISt17integral_constantIbLb1EES1B_EEDaS16_S17_EUlS16_E_NS1_11comp_targetILNS1_3genE9ELNS1_11target_archE1100ELNS1_3gpuE3ELNS1_3repE0EEENS1_30default_config_static_selectorELNS0_4arch9wavefront6targetE1EEEvT1_, .Lfunc_end2985-_ZN7rocprim17ROCPRIM_400000_NS6detail17trampoline_kernelINS0_14default_configENS1_25partition_config_selectorILNS1_17partition_subalgoE1EjNS0_10empty_typeEbEEZZNS1_14partition_implILS5_1ELb0ES3_jN6thrust23THRUST_200600_302600_NS6detail15normal_iteratorINSA_10device_ptrIjEEEEPS6_NSA_18transform_iteratorI7is_evenIjESF_NSA_11use_defaultESK_EENS0_5tupleIJNSA_16discard_iteratorISK_EESO_EEENSM_IJSG_SG_EEES6_PlJS6_EEE10hipError_tPvRmT3_T4_T5_T6_T7_T9_mT8_P12ihipStream_tbDpT10_ENKUlT_T0_E_clISt17integral_constantIbLb1EES1B_EEDaS16_S17_EUlS16_E_NS1_11comp_targetILNS1_3genE9ELNS1_11target_archE1100ELNS1_3gpuE3ELNS1_3repE0EEENS1_30default_config_static_selectorELNS0_4arch9wavefront6targetE1EEEvT1_
                                        ; -- End function
	.section	.AMDGPU.csdata,"",@progbits
; Kernel info:
; codeLenInByte = 0
; NumSgprs: 6
; NumVgprs: 0
; NumAgprs: 0
; TotalNumVgprs: 0
; ScratchSize: 0
; MemoryBound: 0
; FloatMode: 240
; IeeeMode: 1
; LDSByteSize: 0 bytes/workgroup (compile time only)
; SGPRBlocks: 0
; VGPRBlocks: 0
; NumSGPRsForWavesPerEU: 6
; NumVGPRsForWavesPerEU: 1
; AccumOffset: 4
; Occupancy: 8
; WaveLimiterHint : 0
; COMPUTE_PGM_RSRC2:SCRATCH_EN: 0
; COMPUTE_PGM_RSRC2:USER_SGPR: 2
; COMPUTE_PGM_RSRC2:TRAP_HANDLER: 0
; COMPUTE_PGM_RSRC2:TGID_X_EN: 1
; COMPUTE_PGM_RSRC2:TGID_Y_EN: 0
; COMPUTE_PGM_RSRC2:TGID_Z_EN: 0
; COMPUTE_PGM_RSRC2:TIDIG_COMP_CNT: 0
; COMPUTE_PGM_RSRC3_GFX90A:ACCUM_OFFSET: 0
; COMPUTE_PGM_RSRC3_GFX90A:TG_SPLIT: 0
	.section	.text._ZN7rocprim17ROCPRIM_400000_NS6detail17trampoline_kernelINS0_14default_configENS1_25partition_config_selectorILNS1_17partition_subalgoE1EjNS0_10empty_typeEbEEZZNS1_14partition_implILS5_1ELb0ES3_jN6thrust23THRUST_200600_302600_NS6detail15normal_iteratorINSA_10device_ptrIjEEEEPS6_NSA_18transform_iteratorI7is_evenIjESF_NSA_11use_defaultESK_EENS0_5tupleIJNSA_16discard_iteratorISK_EESO_EEENSM_IJSG_SG_EEES6_PlJS6_EEE10hipError_tPvRmT3_T4_T5_T6_T7_T9_mT8_P12ihipStream_tbDpT10_ENKUlT_T0_E_clISt17integral_constantIbLb1EES1B_EEDaS16_S17_EUlS16_E_NS1_11comp_targetILNS1_3genE8ELNS1_11target_archE1030ELNS1_3gpuE2ELNS1_3repE0EEENS1_30default_config_static_selectorELNS0_4arch9wavefront6targetE1EEEvT1_,"axG",@progbits,_ZN7rocprim17ROCPRIM_400000_NS6detail17trampoline_kernelINS0_14default_configENS1_25partition_config_selectorILNS1_17partition_subalgoE1EjNS0_10empty_typeEbEEZZNS1_14partition_implILS5_1ELb0ES3_jN6thrust23THRUST_200600_302600_NS6detail15normal_iteratorINSA_10device_ptrIjEEEEPS6_NSA_18transform_iteratorI7is_evenIjESF_NSA_11use_defaultESK_EENS0_5tupleIJNSA_16discard_iteratorISK_EESO_EEENSM_IJSG_SG_EEES6_PlJS6_EEE10hipError_tPvRmT3_T4_T5_T6_T7_T9_mT8_P12ihipStream_tbDpT10_ENKUlT_T0_E_clISt17integral_constantIbLb1EES1B_EEDaS16_S17_EUlS16_E_NS1_11comp_targetILNS1_3genE8ELNS1_11target_archE1030ELNS1_3gpuE2ELNS1_3repE0EEENS1_30default_config_static_selectorELNS0_4arch9wavefront6targetE1EEEvT1_,comdat
	.protected	_ZN7rocprim17ROCPRIM_400000_NS6detail17trampoline_kernelINS0_14default_configENS1_25partition_config_selectorILNS1_17partition_subalgoE1EjNS0_10empty_typeEbEEZZNS1_14partition_implILS5_1ELb0ES3_jN6thrust23THRUST_200600_302600_NS6detail15normal_iteratorINSA_10device_ptrIjEEEEPS6_NSA_18transform_iteratorI7is_evenIjESF_NSA_11use_defaultESK_EENS0_5tupleIJNSA_16discard_iteratorISK_EESO_EEENSM_IJSG_SG_EEES6_PlJS6_EEE10hipError_tPvRmT3_T4_T5_T6_T7_T9_mT8_P12ihipStream_tbDpT10_ENKUlT_T0_E_clISt17integral_constantIbLb1EES1B_EEDaS16_S17_EUlS16_E_NS1_11comp_targetILNS1_3genE8ELNS1_11target_archE1030ELNS1_3gpuE2ELNS1_3repE0EEENS1_30default_config_static_selectorELNS0_4arch9wavefront6targetE1EEEvT1_ ; -- Begin function _ZN7rocprim17ROCPRIM_400000_NS6detail17trampoline_kernelINS0_14default_configENS1_25partition_config_selectorILNS1_17partition_subalgoE1EjNS0_10empty_typeEbEEZZNS1_14partition_implILS5_1ELb0ES3_jN6thrust23THRUST_200600_302600_NS6detail15normal_iteratorINSA_10device_ptrIjEEEEPS6_NSA_18transform_iteratorI7is_evenIjESF_NSA_11use_defaultESK_EENS0_5tupleIJNSA_16discard_iteratorISK_EESO_EEENSM_IJSG_SG_EEES6_PlJS6_EEE10hipError_tPvRmT3_T4_T5_T6_T7_T9_mT8_P12ihipStream_tbDpT10_ENKUlT_T0_E_clISt17integral_constantIbLb1EES1B_EEDaS16_S17_EUlS16_E_NS1_11comp_targetILNS1_3genE8ELNS1_11target_archE1030ELNS1_3gpuE2ELNS1_3repE0EEENS1_30default_config_static_selectorELNS0_4arch9wavefront6targetE1EEEvT1_
	.globl	_ZN7rocprim17ROCPRIM_400000_NS6detail17trampoline_kernelINS0_14default_configENS1_25partition_config_selectorILNS1_17partition_subalgoE1EjNS0_10empty_typeEbEEZZNS1_14partition_implILS5_1ELb0ES3_jN6thrust23THRUST_200600_302600_NS6detail15normal_iteratorINSA_10device_ptrIjEEEEPS6_NSA_18transform_iteratorI7is_evenIjESF_NSA_11use_defaultESK_EENS0_5tupleIJNSA_16discard_iteratorISK_EESO_EEENSM_IJSG_SG_EEES6_PlJS6_EEE10hipError_tPvRmT3_T4_T5_T6_T7_T9_mT8_P12ihipStream_tbDpT10_ENKUlT_T0_E_clISt17integral_constantIbLb1EES1B_EEDaS16_S17_EUlS16_E_NS1_11comp_targetILNS1_3genE8ELNS1_11target_archE1030ELNS1_3gpuE2ELNS1_3repE0EEENS1_30default_config_static_selectorELNS0_4arch9wavefront6targetE1EEEvT1_
	.p2align	8
	.type	_ZN7rocprim17ROCPRIM_400000_NS6detail17trampoline_kernelINS0_14default_configENS1_25partition_config_selectorILNS1_17partition_subalgoE1EjNS0_10empty_typeEbEEZZNS1_14partition_implILS5_1ELb0ES3_jN6thrust23THRUST_200600_302600_NS6detail15normal_iteratorINSA_10device_ptrIjEEEEPS6_NSA_18transform_iteratorI7is_evenIjESF_NSA_11use_defaultESK_EENS0_5tupleIJNSA_16discard_iteratorISK_EESO_EEENSM_IJSG_SG_EEES6_PlJS6_EEE10hipError_tPvRmT3_T4_T5_T6_T7_T9_mT8_P12ihipStream_tbDpT10_ENKUlT_T0_E_clISt17integral_constantIbLb1EES1B_EEDaS16_S17_EUlS16_E_NS1_11comp_targetILNS1_3genE8ELNS1_11target_archE1030ELNS1_3gpuE2ELNS1_3repE0EEENS1_30default_config_static_selectorELNS0_4arch9wavefront6targetE1EEEvT1_,@function
_ZN7rocprim17ROCPRIM_400000_NS6detail17trampoline_kernelINS0_14default_configENS1_25partition_config_selectorILNS1_17partition_subalgoE1EjNS0_10empty_typeEbEEZZNS1_14partition_implILS5_1ELb0ES3_jN6thrust23THRUST_200600_302600_NS6detail15normal_iteratorINSA_10device_ptrIjEEEEPS6_NSA_18transform_iteratorI7is_evenIjESF_NSA_11use_defaultESK_EENS0_5tupleIJNSA_16discard_iteratorISK_EESO_EEENSM_IJSG_SG_EEES6_PlJS6_EEE10hipError_tPvRmT3_T4_T5_T6_T7_T9_mT8_P12ihipStream_tbDpT10_ENKUlT_T0_E_clISt17integral_constantIbLb1EES1B_EEDaS16_S17_EUlS16_E_NS1_11comp_targetILNS1_3genE8ELNS1_11target_archE1030ELNS1_3gpuE2ELNS1_3repE0EEENS1_30default_config_static_selectorELNS0_4arch9wavefront6targetE1EEEvT1_: ; @_ZN7rocprim17ROCPRIM_400000_NS6detail17trampoline_kernelINS0_14default_configENS1_25partition_config_selectorILNS1_17partition_subalgoE1EjNS0_10empty_typeEbEEZZNS1_14partition_implILS5_1ELb0ES3_jN6thrust23THRUST_200600_302600_NS6detail15normal_iteratorINSA_10device_ptrIjEEEEPS6_NSA_18transform_iteratorI7is_evenIjESF_NSA_11use_defaultESK_EENS0_5tupleIJNSA_16discard_iteratorISK_EESO_EEENSM_IJSG_SG_EEES6_PlJS6_EEE10hipError_tPvRmT3_T4_T5_T6_T7_T9_mT8_P12ihipStream_tbDpT10_ENKUlT_T0_E_clISt17integral_constantIbLb1EES1B_EEDaS16_S17_EUlS16_E_NS1_11comp_targetILNS1_3genE8ELNS1_11target_archE1030ELNS1_3gpuE2ELNS1_3repE0EEENS1_30default_config_static_selectorELNS0_4arch9wavefront6targetE1EEEvT1_
; %bb.0:
	.section	.rodata,"a",@progbits
	.p2align	6, 0x0
	.amdhsa_kernel _ZN7rocprim17ROCPRIM_400000_NS6detail17trampoline_kernelINS0_14default_configENS1_25partition_config_selectorILNS1_17partition_subalgoE1EjNS0_10empty_typeEbEEZZNS1_14partition_implILS5_1ELb0ES3_jN6thrust23THRUST_200600_302600_NS6detail15normal_iteratorINSA_10device_ptrIjEEEEPS6_NSA_18transform_iteratorI7is_evenIjESF_NSA_11use_defaultESK_EENS0_5tupleIJNSA_16discard_iteratorISK_EESO_EEENSM_IJSG_SG_EEES6_PlJS6_EEE10hipError_tPvRmT3_T4_T5_T6_T7_T9_mT8_P12ihipStream_tbDpT10_ENKUlT_T0_E_clISt17integral_constantIbLb1EES1B_EEDaS16_S17_EUlS16_E_NS1_11comp_targetILNS1_3genE8ELNS1_11target_archE1030ELNS1_3gpuE2ELNS1_3repE0EEENS1_30default_config_static_selectorELNS0_4arch9wavefront6targetE1EEEvT1_
		.amdhsa_group_segment_fixed_size 0
		.amdhsa_private_segment_fixed_size 0
		.amdhsa_kernarg_size 160
		.amdhsa_user_sgpr_count 2
		.amdhsa_user_sgpr_dispatch_ptr 0
		.amdhsa_user_sgpr_queue_ptr 0
		.amdhsa_user_sgpr_kernarg_segment_ptr 1
		.amdhsa_user_sgpr_dispatch_id 0
		.amdhsa_user_sgpr_kernarg_preload_length 0
		.amdhsa_user_sgpr_kernarg_preload_offset 0
		.amdhsa_user_sgpr_private_segment_size 0
		.amdhsa_uses_dynamic_stack 0
		.amdhsa_enable_private_segment 0
		.amdhsa_system_sgpr_workgroup_id_x 1
		.amdhsa_system_sgpr_workgroup_id_y 0
		.amdhsa_system_sgpr_workgroup_id_z 0
		.amdhsa_system_sgpr_workgroup_info 0
		.amdhsa_system_vgpr_workitem_id 0
		.amdhsa_next_free_vgpr 1
		.amdhsa_next_free_sgpr 0
		.amdhsa_accum_offset 4
		.amdhsa_reserve_vcc 0
		.amdhsa_float_round_mode_32 0
		.amdhsa_float_round_mode_16_64 0
		.amdhsa_float_denorm_mode_32 3
		.amdhsa_float_denorm_mode_16_64 3
		.amdhsa_dx10_clamp 1
		.amdhsa_ieee_mode 1
		.amdhsa_fp16_overflow 0
		.amdhsa_tg_split 0
		.amdhsa_exception_fp_ieee_invalid_op 0
		.amdhsa_exception_fp_denorm_src 0
		.amdhsa_exception_fp_ieee_div_zero 0
		.amdhsa_exception_fp_ieee_overflow 0
		.amdhsa_exception_fp_ieee_underflow 0
		.amdhsa_exception_fp_ieee_inexact 0
		.amdhsa_exception_int_div_zero 0
	.end_amdhsa_kernel
	.section	.text._ZN7rocprim17ROCPRIM_400000_NS6detail17trampoline_kernelINS0_14default_configENS1_25partition_config_selectorILNS1_17partition_subalgoE1EjNS0_10empty_typeEbEEZZNS1_14partition_implILS5_1ELb0ES3_jN6thrust23THRUST_200600_302600_NS6detail15normal_iteratorINSA_10device_ptrIjEEEEPS6_NSA_18transform_iteratorI7is_evenIjESF_NSA_11use_defaultESK_EENS0_5tupleIJNSA_16discard_iteratorISK_EESO_EEENSM_IJSG_SG_EEES6_PlJS6_EEE10hipError_tPvRmT3_T4_T5_T6_T7_T9_mT8_P12ihipStream_tbDpT10_ENKUlT_T0_E_clISt17integral_constantIbLb1EES1B_EEDaS16_S17_EUlS16_E_NS1_11comp_targetILNS1_3genE8ELNS1_11target_archE1030ELNS1_3gpuE2ELNS1_3repE0EEENS1_30default_config_static_selectorELNS0_4arch9wavefront6targetE1EEEvT1_,"axG",@progbits,_ZN7rocprim17ROCPRIM_400000_NS6detail17trampoline_kernelINS0_14default_configENS1_25partition_config_selectorILNS1_17partition_subalgoE1EjNS0_10empty_typeEbEEZZNS1_14partition_implILS5_1ELb0ES3_jN6thrust23THRUST_200600_302600_NS6detail15normal_iteratorINSA_10device_ptrIjEEEEPS6_NSA_18transform_iteratorI7is_evenIjESF_NSA_11use_defaultESK_EENS0_5tupleIJNSA_16discard_iteratorISK_EESO_EEENSM_IJSG_SG_EEES6_PlJS6_EEE10hipError_tPvRmT3_T4_T5_T6_T7_T9_mT8_P12ihipStream_tbDpT10_ENKUlT_T0_E_clISt17integral_constantIbLb1EES1B_EEDaS16_S17_EUlS16_E_NS1_11comp_targetILNS1_3genE8ELNS1_11target_archE1030ELNS1_3gpuE2ELNS1_3repE0EEENS1_30default_config_static_selectorELNS0_4arch9wavefront6targetE1EEEvT1_,comdat
.Lfunc_end2986:
	.size	_ZN7rocprim17ROCPRIM_400000_NS6detail17trampoline_kernelINS0_14default_configENS1_25partition_config_selectorILNS1_17partition_subalgoE1EjNS0_10empty_typeEbEEZZNS1_14partition_implILS5_1ELb0ES3_jN6thrust23THRUST_200600_302600_NS6detail15normal_iteratorINSA_10device_ptrIjEEEEPS6_NSA_18transform_iteratorI7is_evenIjESF_NSA_11use_defaultESK_EENS0_5tupleIJNSA_16discard_iteratorISK_EESO_EEENSM_IJSG_SG_EEES6_PlJS6_EEE10hipError_tPvRmT3_T4_T5_T6_T7_T9_mT8_P12ihipStream_tbDpT10_ENKUlT_T0_E_clISt17integral_constantIbLb1EES1B_EEDaS16_S17_EUlS16_E_NS1_11comp_targetILNS1_3genE8ELNS1_11target_archE1030ELNS1_3gpuE2ELNS1_3repE0EEENS1_30default_config_static_selectorELNS0_4arch9wavefront6targetE1EEEvT1_, .Lfunc_end2986-_ZN7rocprim17ROCPRIM_400000_NS6detail17trampoline_kernelINS0_14default_configENS1_25partition_config_selectorILNS1_17partition_subalgoE1EjNS0_10empty_typeEbEEZZNS1_14partition_implILS5_1ELb0ES3_jN6thrust23THRUST_200600_302600_NS6detail15normal_iteratorINSA_10device_ptrIjEEEEPS6_NSA_18transform_iteratorI7is_evenIjESF_NSA_11use_defaultESK_EENS0_5tupleIJNSA_16discard_iteratorISK_EESO_EEENSM_IJSG_SG_EEES6_PlJS6_EEE10hipError_tPvRmT3_T4_T5_T6_T7_T9_mT8_P12ihipStream_tbDpT10_ENKUlT_T0_E_clISt17integral_constantIbLb1EES1B_EEDaS16_S17_EUlS16_E_NS1_11comp_targetILNS1_3genE8ELNS1_11target_archE1030ELNS1_3gpuE2ELNS1_3repE0EEENS1_30default_config_static_selectorELNS0_4arch9wavefront6targetE1EEEvT1_
                                        ; -- End function
	.section	.AMDGPU.csdata,"",@progbits
; Kernel info:
; codeLenInByte = 0
; NumSgprs: 6
; NumVgprs: 0
; NumAgprs: 0
; TotalNumVgprs: 0
; ScratchSize: 0
; MemoryBound: 0
; FloatMode: 240
; IeeeMode: 1
; LDSByteSize: 0 bytes/workgroup (compile time only)
; SGPRBlocks: 0
; VGPRBlocks: 0
; NumSGPRsForWavesPerEU: 6
; NumVGPRsForWavesPerEU: 1
; AccumOffset: 4
; Occupancy: 8
; WaveLimiterHint : 0
; COMPUTE_PGM_RSRC2:SCRATCH_EN: 0
; COMPUTE_PGM_RSRC2:USER_SGPR: 2
; COMPUTE_PGM_RSRC2:TRAP_HANDLER: 0
; COMPUTE_PGM_RSRC2:TGID_X_EN: 1
; COMPUTE_PGM_RSRC2:TGID_Y_EN: 0
; COMPUTE_PGM_RSRC2:TGID_Z_EN: 0
; COMPUTE_PGM_RSRC2:TIDIG_COMP_CNT: 0
; COMPUTE_PGM_RSRC3_GFX90A:ACCUM_OFFSET: 0
; COMPUTE_PGM_RSRC3_GFX90A:TG_SPLIT: 0
	.section	.text._ZN7rocprim17ROCPRIM_400000_NS6detail17trampoline_kernelINS0_14default_configENS1_25partition_config_selectorILNS1_17partition_subalgoE1EjNS0_10empty_typeEbEEZZNS1_14partition_implILS5_1ELb0ES3_jN6thrust23THRUST_200600_302600_NS6detail15normal_iteratorINSA_10device_ptrIjEEEEPS6_NSA_18transform_iteratorI7is_evenIjESF_NSA_11use_defaultESK_EENS0_5tupleIJNSA_16discard_iteratorISK_EESO_EEENSM_IJSG_SG_EEES6_PlJS6_EEE10hipError_tPvRmT3_T4_T5_T6_T7_T9_mT8_P12ihipStream_tbDpT10_ENKUlT_T0_E_clISt17integral_constantIbLb1EES1A_IbLb0EEEEDaS16_S17_EUlS16_E_NS1_11comp_targetILNS1_3genE0ELNS1_11target_archE4294967295ELNS1_3gpuE0ELNS1_3repE0EEENS1_30default_config_static_selectorELNS0_4arch9wavefront6targetE1EEEvT1_,"axG",@progbits,_ZN7rocprim17ROCPRIM_400000_NS6detail17trampoline_kernelINS0_14default_configENS1_25partition_config_selectorILNS1_17partition_subalgoE1EjNS0_10empty_typeEbEEZZNS1_14partition_implILS5_1ELb0ES3_jN6thrust23THRUST_200600_302600_NS6detail15normal_iteratorINSA_10device_ptrIjEEEEPS6_NSA_18transform_iteratorI7is_evenIjESF_NSA_11use_defaultESK_EENS0_5tupleIJNSA_16discard_iteratorISK_EESO_EEENSM_IJSG_SG_EEES6_PlJS6_EEE10hipError_tPvRmT3_T4_T5_T6_T7_T9_mT8_P12ihipStream_tbDpT10_ENKUlT_T0_E_clISt17integral_constantIbLb1EES1A_IbLb0EEEEDaS16_S17_EUlS16_E_NS1_11comp_targetILNS1_3genE0ELNS1_11target_archE4294967295ELNS1_3gpuE0ELNS1_3repE0EEENS1_30default_config_static_selectorELNS0_4arch9wavefront6targetE1EEEvT1_,comdat
	.protected	_ZN7rocprim17ROCPRIM_400000_NS6detail17trampoline_kernelINS0_14default_configENS1_25partition_config_selectorILNS1_17partition_subalgoE1EjNS0_10empty_typeEbEEZZNS1_14partition_implILS5_1ELb0ES3_jN6thrust23THRUST_200600_302600_NS6detail15normal_iteratorINSA_10device_ptrIjEEEEPS6_NSA_18transform_iteratorI7is_evenIjESF_NSA_11use_defaultESK_EENS0_5tupleIJNSA_16discard_iteratorISK_EESO_EEENSM_IJSG_SG_EEES6_PlJS6_EEE10hipError_tPvRmT3_T4_T5_T6_T7_T9_mT8_P12ihipStream_tbDpT10_ENKUlT_T0_E_clISt17integral_constantIbLb1EES1A_IbLb0EEEEDaS16_S17_EUlS16_E_NS1_11comp_targetILNS1_3genE0ELNS1_11target_archE4294967295ELNS1_3gpuE0ELNS1_3repE0EEENS1_30default_config_static_selectorELNS0_4arch9wavefront6targetE1EEEvT1_ ; -- Begin function _ZN7rocprim17ROCPRIM_400000_NS6detail17trampoline_kernelINS0_14default_configENS1_25partition_config_selectorILNS1_17partition_subalgoE1EjNS0_10empty_typeEbEEZZNS1_14partition_implILS5_1ELb0ES3_jN6thrust23THRUST_200600_302600_NS6detail15normal_iteratorINSA_10device_ptrIjEEEEPS6_NSA_18transform_iteratorI7is_evenIjESF_NSA_11use_defaultESK_EENS0_5tupleIJNSA_16discard_iteratorISK_EESO_EEENSM_IJSG_SG_EEES6_PlJS6_EEE10hipError_tPvRmT3_T4_T5_T6_T7_T9_mT8_P12ihipStream_tbDpT10_ENKUlT_T0_E_clISt17integral_constantIbLb1EES1A_IbLb0EEEEDaS16_S17_EUlS16_E_NS1_11comp_targetILNS1_3genE0ELNS1_11target_archE4294967295ELNS1_3gpuE0ELNS1_3repE0EEENS1_30default_config_static_selectorELNS0_4arch9wavefront6targetE1EEEvT1_
	.globl	_ZN7rocprim17ROCPRIM_400000_NS6detail17trampoline_kernelINS0_14default_configENS1_25partition_config_selectorILNS1_17partition_subalgoE1EjNS0_10empty_typeEbEEZZNS1_14partition_implILS5_1ELb0ES3_jN6thrust23THRUST_200600_302600_NS6detail15normal_iteratorINSA_10device_ptrIjEEEEPS6_NSA_18transform_iteratorI7is_evenIjESF_NSA_11use_defaultESK_EENS0_5tupleIJNSA_16discard_iteratorISK_EESO_EEENSM_IJSG_SG_EEES6_PlJS6_EEE10hipError_tPvRmT3_T4_T5_T6_T7_T9_mT8_P12ihipStream_tbDpT10_ENKUlT_T0_E_clISt17integral_constantIbLb1EES1A_IbLb0EEEEDaS16_S17_EUlS16_E_NS1_11comp_targetILNS1_3genE0ELNS1_11target_archE4294967295ELNS1_3gpuE0ELNS1_3repE0EEENS1_30default_config_static_selectorELNS0_4arch9wavefront6targetE1EEEvT1_
	.p2align	8
	.type	_ZN7rocprim17ROCPRIM_400000_NS6detail17trampoline_kernelINS0_14default_configENS1_25partition_config_selectorILNS1_17partition_subalgoE1EjNS0_10empty_typeEbEEZZNS1_14partition_implILS5_1ELb0ES3_jN6thrust23THRUST_200600_302600_NS6detail15normal_iteratorINSA_10device_ptrIjEEEEPS6_NSA_18transform_iteratorI7is_evenIjESF_NSA_11use_defaultESK_EENS0_5tupleIJNSA_16discard_iteratorISK_EESO_EEENSM_IJSG_SG_EEES6_PlJS6_EEE10hipError_tPvRmT3_T4_T5_T6_T7_T9_mT8_P12ihipStream_tbDpT10_ENKUlT_T0_E_clISt17integral_constantIbLb1EES1A_IbLb0EEEEDaS16_S17_EUlS16_E_NS1_11comp_targetILNS1_3genE0ELNS1_11target_archE4294967295ELNS1_3gpuE0ELNS1_3repE0EEENS1_30default_config_static_selectorELNS0_4arch9wavefront6targetE1EEEvT1_,@function
_ZN7rocprim17ROCPRIM_400000_NS6detail17trampoline_kernelINS0_14default_configENS1_25partition_config_selectorILNS1_17partition_subalgoE1EjNS0_10empty_typeEbEEZZNS1_14partition_implILS5_1ELb0ES3_jN6thrust23THRUST_200600_302600_NS6detail15normal_iteratorINSA_10device_ptrIjEEEEPS6_NSA_18transform_iteratorI7is_evenIjESF_NSA_11use_defaultESK_EENS0_5tupleIJNSA_16discard_iteratorISK_EESO_EEENSM_IJSG_SG_EEES6_PlJS6_EEE10hipError_tPvRmT3_T4_T5_T6_T7_T9_mT8_P12ihipStream_tbDpT10_ENKUlT_T0_E_clISt17integral_constantIbLb1EES1A_IbLb0EEEEDaS16_S17_EUlS16_E_NS1_11comp_targetILNS1_3genE0ELNS1_11target_archE4294967295ELNS1_3gpuE0ELNS1_3repE0EEENS1_30default_config_static_selectorELNS0_4arch9wavefront6targetE1EEEvT1_: ; @_ZN7rocprim17ROCPRIM_400000_NS6detail17trampoline_kernelINS0_14default_configENS1_25partition_config_selectorILNS1_17partition_subalgoE1EjNS0_10empty_typeEbEEZZNS1_14partition_implILS5_1ELb0ES3_jN6thrust23THRUST_200600_302600_NS6detail15normal_iteratorINSA_10device_ptrIjEEEEPS6_NSA_18transform_iteratorI7is_evenIjESF_NSA_11use_defaultESK_EENS0_5tupleIJNSA_16discard_iteratorISK_EESO_EEENSM_IJSG_SG_EEES6_PlJS6_EEE10hipError_tPvRmT3_T4_T5_T6_T7_T9_mT8_P12ihipStream_tbDpT10_ENKUlT_T0_E_clISt17integral_constantIbLb1EES1A_IbLb0EEEEDaS16_S17_EUlS16_E_NS1_11comp_targetILNS1_3genE0ELNS1_11target_archE4294967295ELNS1_3gpuE0ELNS1_3repE0EEENS1_30default_config_static_selectorELNS0_4arch9wavefront6targetE1EEEvT1_
; %bb.0:
	.section	.rodata,"a",@progbits
	.p2align	6, 0x0
	.amdhsa_kernel _ZN7rocprim17ROCPRIM_400000_NS6detail17trampoline_kernelINS0_14default_configENS1_25partition_config_selectorILNS1_17partition_subalgoE1EjNS0_10empty_typeEbEEZZNS1_14partition_implILS5_1ELb0ES3_jN6thrust23THRUST_200600_302600_NS6detail15normal_iteratorINSA_10device_ptrIjEEEEPS6_NSA_18transform_iteratorI7is_evenIjESF_NSA_11use_defaultESK_EENS0_5tupleIJNSA_16discard_iteratorISK_EESO_EEENSM_IJSG_SG_EEES6_PlJS6_EEE10hipError_tPvRmT3_T4_T5_T6_T7_T9_mT8_P12ihipStream_tbDpT10_ENKUlT_T0_E_clISt17integral_constantIbLb1EES1A_IbLb0EEEEDaS16_S17_EUlS16_E_NS1_11comp_targetILNS1_3genE0ELNS1_11target_archE4294967295ELNS1_3gpuE0ELNS1_3repE0EEENS1_30default_config_static_selectorELNS0_4arch9wavefront6targetE1EEEvT1_
		.amdhsa_group_segment_fixed_size 0
		.amdhsa_private_segment_fixed_size 0
		.amdhsa_kernarg_size 144
		.amdhsa_user_sgpr_count 2
		.amdhsa_user_sgpr_dispatch_ptr 0
		.amdhsa_user_sgpr_queue_ptr 0
		.amdhsa_user_sgpr_kernarg_segment_ptr 1
		.amdhsa_user_sgpr_dispatch_id 0
		.amdhsa_user_sgpr_kernarg_preload_length 0
		.amdhsa_user_sgpr_kernarg_preload_offset 0
		.amdhsa_user_sgpr_private_segment_size 0
		.amdhsa_uses_dynamic_stack 0
		.amdhsa_enable_private_segment 0
		.amdhsa_system_sgpr_workgroup_id_x 1
		.amdhsa_system_sgpr_workgroup_id_y 0
		.amdhsa_system_sgpr_workgroup_id_z 0
		.amdhsa_system_sgpr_workgroup_info 0
		.amdhsa_system_vgpr_workitem_id 0
		.amdhsa_next_free_vgpr 1
		.amdhsa_next_free_sgpr 0
		.amdhsa_accum_offset 4
		.amdhsa_reserve_vcc 0
		.amdhsa_float_round_mode_32 0
		.amdhsa_float_round_mode_16_64 0
		.amdhsa_float_denorm_mode_32 3
		.amdhsa_float_denorm_mode_16_64 3
		.amdhsa_dx10_clamp 1
		.amdhsa_ieee_mode 1
		.amdhsa_fp16_overflow 0
		.amdhsa_tg_split 0
		.amdhsa_exception_fp_ieee_invalid_op 0
		.amdhsa_exception_fp_denorm_src 0
		.amdhsa_exception_fp_ieee_div_zero 0
		.amdhsa_exception_fp_ieee_overflow 0
		.amdhsa_exception_fp_ieee_underflow 0
		.amdhsa_exception_fp_ieee_inexact 0
		.amdhsa_exception_int_div_zero 0
	.end_amdhsa_kernel
	.section	.text._ZN7rocprim17ROCPRIM_400000_NS6detail17trampoline_kernelINS0_14default_configENS1_25partition_config_selectorILNS1_17partition_subalgoE1EjNS0_10empty_typeEbEEZZNS1_14partition_implILS5_1ELb0ES3_jN6thrust23THRUST_200600_302600_NS6detail15normal_iteratorINSA_10device_ptrIjEEEEPS6_NSA_18transform_iteratorI7is_evenIjESF_NSA_11use_defaultESK_EENS0_5tupleIJNSA_16discard_iteratorISK_EESO_EEENSM_IJSG_SG_EEES6_PlJS6_EEE10hipError_tPvRmT3_T4_T5_T6_T7_T9_mT8_P12ihipStream_tbDpT10_ENKUlT_T0_E_clISt17integral_constantIbLb1EES1A_IbLb0EEEEDaS16_S17_EUlS16_E_NS1_11comp_targetILNS1_3genE0ELNS1_11target_archE4294967295ELNS1_3gpuE0ELNS1_3repE0EEENS1_30default_config_static_selectorELNS0_4arch9wavefront6targetE1EEEvT1_,"axG",@progbits,_ZN7rocprim17ROCPRIM_400000_NS6detail17trampoline_kernelINS0_14default_configENS1_25partition_config_selectorILNS1_17partition_subalgoE1EjNS0_10empty_typeEbEEZZNS1_14partition_implILS5_1ELb0ES3_jN6thrust23THRUST_200600_302600_NS6detail15normal_iteratorINSA_10device_ptrIjEEEEPS6_NSA_18transform_iteratorI7is_evenIjESF_NSA_11use_defaultESK_EENS0_5tupleIJNSA_16discard_iteratorISK_EESO_EEENSM_IJSG_SG_EEES6_PlJS6_EEE10hipError_tPvRmT3_T4_T5_T6_T7_T9_mT8_P12ihipStream_tbDpT10_ENKUlT_T0_E_clISt17integral_constantIbLb1EES1A_IbLb0EEEEDaS16_S17_EUlS16_E_NS1_11comp_targetILNS1_3genE0ELNS1_11target_archE4294967295ELNS1_3gpuE0ELNS1_3repE0EEENS1_30default_config_static_selectorELNS0_4arch9wavefront6targetE1EEEvT1_,comdat
.Lfunc_end2987:
	.size	_ZN7rocprim17ROCPRIM_400000_NS6detail17trampoline_kernelINS0_14default_configENS1_25partition_config_selectorILNS1_17partition_subalgoE1EjNS0_10empty_typeEbEEZZNS1_14partition_implILS5_1ELb0ES3_jN6thrust23THRUST_200600_302600_NS6detail15normal_iteratorINSA_10device_ptrIjEEEEPS6_NSA_18transform_iteratorI7is_evenIjESF_NSA_11use_defaultESK_EENS0_5tupleIJNSA_16discard_iteratorISK_EESO_EEENSM_IJSG_SG_EEES6_PlJS6_EEE10hipError_tPvRmT3_T4_T5_T6_T7_T9_mT8_P12ihipStream_tbDpT10_ENKUlT_T0_E_clISt17integral_constantIbLb1EES1A_IbLb0EEEEDaS16_S17_EUlS16_E_NS1_11comp_targetILNS1_3genE0ELNS1_11target_archE4294967295ELNS1_3gpuE0ELNS1_3repE0EEENS1_30default_config_static_selectorELNS0_4arch9wavefront6targetE1EEEvT1_, .Lfunc_end2987-_ZN7rocprim17ROCPRIM_400000_NS6detail17trampoline_kernelINS0_14default_configENS1_25partition_config_selectorILNS1_17partition_subalgoE1EjNS0_10empty_typeEbEEZZNS1_14partition_implILS5_1ELb0ES3_jN6thrust23THRUST_200600_302600_NS6detail15normal_iteratorINSA_10device_ptrIjEEEEPS6_NSA_18transform_iteratorI7is_evenIjESF_NSA_11use_defaultESK_EENS0_5tupleIJNSA_16discard_iteratorISK_EESO_EEENSM_IJSG_SG_EEES6_PlJS6_EEE10hipError_tPvRmT3_T4_T5_T6_T7_T9_mT8_P12ihipStream_tbDpT10_ENKUlT_T0_E_clISt17integral_constantIbLb1EES1A_IbLb0EEEEDaS16_S17_EUlS16_E_NS1_11comp_targetILNS1_3genE0ELNS1_11target_archE4294967295ELNS1_3gpuE0ELNS1_3repE0EEENS1_30default_config_static_selectorELNS0_4arch9wavefront6targetE1EEEvT1_
                                        ; -- End function
	.section	.AMDGPU.csdata,"",@progbits
; Kernel info:
; codeLenInByte = 0
; NumSgprs: 6
; NumVgprs: 0
; NumAgprs: 0
; TotalNumVgprs: 0
; ScratchSize: 0
; MemoryBound: 0
; FloatMode: 240
; IeeeMode: 1
; LDSByteSize: 0 bytes/workgroup (compile time only)
; SGPRBlocks: 0
; VGPRBlocks: 0
; NumSGPRsForWavesPerEU: 6
; NumVGPRsForWavesPerEU: 1
; AccumOffset: 4
; Occupancy: 8
; WaveLimiterHint : 0
; COMPUTE_PGM_RSRC2:SCRATCH_EN: 0
; COMPUTE_PGM_RSRC2:USER_SGPR: 2
; COMPUTE_PGM_RSRC2:TRAP_HANDLER: 0
; COMPUTE_PGM_RSRC2:TGID_X_EN: 1
; COMPUTE_PGM_RSRC2:TGID_Y_EN: 0
; COMPUTE_PGM_RSRC2:TGID_Z_EN: 0
; COMPUTE_PGM_RSRC2:TIDIG_COMP_CNT: 0
; COMPUTE_PGM_RSRC3_GFX90A:ACCUM_OFFSET: 0
; COMPUTE_PGM_RSRC3_GFX90A:TG_SPLIT: 0
	.section	.text._ZN7rocprim17ROCPRIM_400000_NS6detail17trampoline_kernelINS0_14default_configENS1_25partition_config_selectorILNS1_17partition_subalgoE1EjNS0_10empty_typeEbEEZZNS1_14partition_implILS5_1ELb0ES3_jN6thrust23THRUST_200600_302600_NS6detail15normal_iteratorINSA_10device_ptrIjEEEEPS6_NSA_18transform_iteratorI7is_evenIjESF_NSA_11use_defaultESK_EENS0_5tupleIJNSA_16discard_iteratorISK_EESO_EEENSM_IJSG_SG_EEES6_PlJS6_EEE10hipError_tPvRmT3_T4_T5_T6_T7_T9_mT8_P12ihipStream_tbDpT10_ENKUlT_T0_E_clISt17integral_constantIbLb1EES1A_IbLb0EEEEDaS16_S17_EUlS16_E_NS1_11comp_targetILNS1_3genE5ELNS1_11target_archE942ELNS1_3gpuE9ELNS1_3repE0EEENS1_30default_config_static_selectorELNS0_4arch9wavefront6targetE1EEEvT1_,"axG",@progbits,_ZN7rocprim17ROCPRIM_400000_NS6detail17trampoline_kernelINS0_14default_configENS1_25partition_config_selectorILNS1_17partition_subalgoE1EjNS0_10empty_typeEbEEZZNS1_14partition_implILS5_1ELb0ES3_jN6thrust23THRUST_200600_302600_NS6detail15normal_iteratorINSA_10device_ptrIjEEEEPS6_NSA_18transform_iteratorI7is_evenIjESF_NSA_11use_defaultESK_EENS0_5tupleIJNSA_16discard_iteratorISK_EESO_EEENSM_IJSG_SG_EEES6_PlJS6_EEE10hipError_tPvRmT3_T4_T5_T6_T7_T9_mT8_P12ihipStream_tbDpT10_ENKUlT_T0_E_clISt17integral_constantIbLb1EES1A_IbLb0EEEEDaS16_S17_EUlS16_E_NS1_11comp_targetILNS1_3genE5ELNS1_11target_archE942ELNS1_3gpuE9ELNS1_3repE0EEENS1_30default_config_static_selectorELNS0_4arch9wavefront6targetE1EEEvT1_,comdat
	.protected	_ZN7rocprim17ROCPRIM_400000_NS6detail17trampoline_kernelINS0_14default_configENS1_25partition_config_selectorILNS1_17partition_subalgoE1EjNS0_10empty_typeEbEEZZNS1_14partition_implILS5_1ELb0ES3_jN6thrust23THRUST_200600_302600_NS6detail15normal_iteratorINSA_10device_ptrIjEEEEPS6_NSA_18transform_iteratorI7is_evenIjESF_NSA_11use_defaultESK_EENS0_5tupleIJNSA_16discard_iteratorISK_EESO_EEENSM_IJSG_SG_EEES6_PlJS6_EEE10hipError_tPvRmT3_T4_T5_T6_T7_T9_mT8_P12ihipStream_tbDpT10_ENKUlT_T0_E_clISt17integral_constantIbLb1EES1A_IbLb0EEEEDaS16_S17_EUlS16_E_NS1_11comp_targetILNS1_3genE5ELNS1_11target_archE942ELNS1_3gpuE9ELNS1_3repE0EEENS1_30default_config_static_selectorELNS0_4arch9wavefront6targetE1EEEvT1_ ; -- Begin function _ZN7rocprim17ROCPRIM_400000_NS6detail17trampoline_kernelINS0_14default_configENS1_25partition_config_selectorILNS1_17partition_subalgoE1EjNS0_10empty_typeEbEEZZNS1_14partition_implILS5_1ELb0ES3_jN6thrust23THRUST_200600_302600_NS6detail15normal_iteratorINSA_10device_ptrIjEEEEPS6_NSA_18transform_iteratorI7is_evenIjESF_NSA_11use_defaultESK_EENS0_5tupleIJNSA_16discard_iteratorISK_EESO_EEENSM_IJSG_SG_EEES6_PlJS6_EEE10hipError_tPvRmT3_T4_T5_T6_T7_T9_mT8_P12ihipStream_tbDpT10_ENKUlT_T0_E_clISt17integral_constantIbLb1EES1A_IbLb0EEEEDaS16_S17_EUlS16_E_NS1_11comp_targetILNS1_3genE5ELNS1_11target_archE942ELNS1_3gpuE9ELNS1_3repE0EEENS1_30default_config_static_selectorELNS0_4arch9wavefront6targetE1EEEvT1_
	.globl	_ZN7rocprim17ROCPRIM_400000_NS6detail17trampoline_kernelINS0_14default_configENS1_25partition_config_selectorILNS1_17partition_subalgoE1EjNS0_10empty_typeEbEEZZNS1_14partition_implILS5_1ELb0ES3_jN6thrust23THRUST_200600_302600_NS6detail15normal_iteratorINSA_10device_ptrIjEEEEPS6_NSA_18transform_iteratorI7is_evenIjESF_NSA_11use_defaultESK_EENS0_5tupleIJNSA_16discard_iteratorISK_EESO_EEENSM_IJSG_SG_EEES6_PlJS6_EEE10hipError_tPvRmT3_T4_T5_T6_T7_T9_mT8_P12ihipStream_tbDpT10_ENKUlT_T0_E_clISt17integral_constantIbLb1EES1A_IbLb0EEEEDaS16_S17_EUlS16_E_NS1_11comp_targetILNS1_3genE5ELNS1_11target_archE942ELNS1_3gpuE9ELNS1_3repE0EEENS1_30default_config_static_selectorELNS0_4arch9wavefront6targetE1EEEvT1_
	.p2align	8
	.type	_ZN7rocprim17ROCPRIM_400000_NS6detail17trampoline_kernelINS0_14default_configENS1_25partition_config_selectorILNS1_17partition_subalgoE1EjNS0_10empty_typeEbEEZZNS1_14partition_implILS5_1ELb0ES3_jN6thrust23THRUST_200600_302600_NS6detail15normal_iteratorINSA_10device_ptrIjEEEEPS6_NSA_18transform_iteratorI7is_evenIjESF_NSA_11use_defaultESK_EENS0_5tupleIJNSA_16discard_iteratorISK_EESO_EEENSM_IJSG_SG_EEES6_PlJS6_EEE10hipError_tPvRmT3_T4_T5_T6_T7_T9_mT8_P12ihipStream_tbDpT10_ENKUlT_T0_E_clISt17integral_constantIbLb1EES1A_IbLb0EEEEDaS16_S17_EUlS16_E_NS1_11comp_targetILNS1_3genE5ELNS1_11target_archE942ELNS1_3gpuE9ELNS1_3repE0EEENS1_30default_config_static_selectorELNS0_4arch9wavefront6targetE1EEEvT1_,@function
_ZN7rocprim17ROCPRIM_400000_NS6detail17trampoline_kernelINS0_14default_configENS1_25partition_config_selectorILNS1_17partition_subalgoE1EjNS0_10empty_typeEbEEZZNS1_14partition_implILS5_1ELb0ES3_jN6thrust23THRUST_200600_302600_NS6detail15normal_iteratorINSA_10device_ptrIjEEEEPS6_NSA_18transform_iteratorI7is_evenIjESF_NSA_11use_defaultESK_EENS0_5tupleIJNSA_16discard_iteratorISK_EESO_EEENSM_IJSG_SG_EEES6_PlJS6_EEE10hipError_tPvRmT3_T4_T5_T6_T7_T9_mT8_P12ihipStream_tbDpT10_ENKUlT_T0_E_clISt17integral_constantIbLb1EES1A_IbLb0EEEEDaS16_S17_EUlS16_E_NS1_11comp_targetILNS1_3genE5ELNS1_11target_archE942ELNS1_3gpuE9ELNS1_3repE0EEENS1_30default_config_static_selectorELNS0_4arch9wavefront6targetE1EEEvT1_: ; @_ZN7rocprim17ROCPRIM_400000_NS6detail17trampoline_kernelINS0_14default_configENS1_25partition_config_selectorILNS1_17partition_subalgoE1EjNS0_10empty_typeEbEEZZNS1_14partition_implILS5_1ELb0ES3_jN6thrust23THRUST_200600_302600_NS6detail15normal_iteratorINSA_10device_ptrIjEEEEPS6_NSA_18transform_iteratorI7is_evenIjESF_NSA_11use_defaultESK_EENS0_5tupleIJNSA_16discard_iteratorISK_EESO_EEENSM_IJSG_SG_EEES6_PlJS6_EEE10hipError_tPvRmT3_T4_T5_T6_T7_T9_mT8_P12ihipStream_tbDpT10_ENKUlT_T0_E_clISt17integral_constantIbLb1EES1A_IbLb0EEEEDaS16_S17_EUlS16_E_NS1_11comp_targetILNS1_3genE5ELNS1_11target_archE942ELNS1_3gpuE9ELNS1_3repE0EEENS1_30default_config_static_selectorELNS0_4arch9wavefront6targetE1EEEvT1_
; %bb.0:
	s_load_dword s3, s[0:1], 0x88
	s_load_dwordx2 s[4:5], s[0:1], 0x70
	s_load_dwordx4 s[12:15], s[0:1], 0x8
	s_load_dwordx2 s[6:7], s[0:1], 0x20
	s_load_dwordx4 s[20:23], s[0:1], 0x60
	s_waitcnt lgkmcnt(0)
	v_mov_b32_e32 v3, s5
	s_lshl_b64 s[10:11], s[14:15], 2
	s_add_u32 s16, s12, s10
	s_mul_i32 s5, s3, 0x1e00
	s_addc_u32 s17, s13, s11
	s_add_i32 s8, s3, -1
	s_add_i32 s3, s5, s14
	s_sub_i32 s3, s4, s3
	s_addk_i32 s3, 0x1e00
	v_mov_b32_e32 v2, s4
	s_add_u32 s4, s14, s5
	s_addc_u32 s5, s15, 0
	s_cmp_eq_u32 s2, s8
	s_load_dwordx2 s[18:19], s[22:23], 0x0
	s_cselect_b64 s[22:23], -1, 0
	s_cmp_lg_u32 s2, s8
	s_mul_i32 s12, s2, 0x1e00
	s_mov_b32 s13, 0
	v_cmp_lt_u64_e32 vcc, s[4:5], v[2:3]
	s_cselect_b64 s[4:5], -1, 0
	s_or_b64 s[8:9], s[4:5], vcc
	s_lshl_b64 s[12:13], s[12:13], 2
	s_add_u32 s14, s16, s12
	s_addc_u32 s15, s17, s13
	s_mov_b64 s[4:5], -1
	s_and_b64 vcc, exec, s[8:9]
	s_cbranch_vccz .LBB2988_2
; %bb.1:
	v_lshlrev_b32_e32 v2, 2, v0
	v_mov_b32_e32 v3, 0
	v_lshl_add_u64 v[4:5], s[14:15], 0, v[2:3]
	v_add_co_u32_e32 v6, vcc, 0x1000, v4
	s_mov_b64 s[4:5], 0
	s_nop 0
	v_addc_co_u32_e32 v7, vcc, 0, v5, vcc
	v_add_co_u32_e32 v8, vcc, 0x2000, v4
	s_nop 1
	v_addc_co_u32_e32 v9, vcc, 0, v5, vcc
	v_add_co_u32_e32 v10, vcc, 0x3000, v4
	s_nop 1
	v_addc_co_u32_e32 v11, vcc, 0, v5, vcc
	flat_load_dword v1, v[4:5]
	flat_load_dword v3, v[4:5] offset:2048
	flat_load_dword v12, v[6:7]
	flat_load_dword v13, v[6:7] offset:2048
	flat_load_dword v14, v[8:9]
	flat_load_dword v15, v[8:9] offset:2048
	flat_load_dword v16, v[10:11]
	flat_load_dword v17, v[10:11] offset:2048
	v_add_co_u32_e32 v6, vcc, 0x4000, v4
	s_nop 1
	v_addc_co_u32_e32 v7, vcc, 0, v5, vcc
	v_add_co_u32_e32 v8, vcc, 0x5000, v4
	s_nop 1
	v_addc_co_u32_e32 v9, vcc, 0, v5, vcc
	;; [unrolled: 3-line block ×4, first 2 shown]
	flat_load_dword v18, v[6:7]
	flat_load_dword v19, v[6:7] offset:2048
	flat_load_dword v20, v[8:9]
	flat_load_dword v21, v[8:9] offset:2048
	flat_load_dword v22, v[10:11]
	flat_load_dword v23, v[10:11] offset:2048
	flat_load_dword v24, v[4:5]
	s_waitcnt vmcnt(0) lgkmcnt(0)
	ds_write2st64_b32 v2, v1, v3 offset1:8
	ds_write2st64_b32 v2, v12, v13 offset0:16 offset1:24
	ds_write2st64_b32 v2, v14, v15 offset0:32 offset1:40
	;; [unrolled: 1-line block ×6, first 2 shown]
	ds_write_b32 v2, v24 offset:28672
	s_waitcnt lgkmcnt(0)
	s_barrier
.LBB2988_2:
	s_andn2_b64 vcc, exec, s[4:5]
	v_cmp_gt_u32_e64 s[4:5], s3, v0
	s_cbranch_vccnz .LBB2988_34
; %bb.3:
                                        ; implicit-def: $vgpr2_vgpr3_vgpr4_vgpr5_vgpr6_vgpr7_vgpr8_vgpr9_vgpr10_vgpr11_vgpr12_vgpr13_vgpr14_vgpr15_vgpr16_vgpr17
	s_and_saveexec_b64 s[16:17], s[4:5]
	s_cbranch_execz .LBB2988_5
; %bb.4:
	v_lshlrev_b32_e32 v2, 2, v0
	v_mov_b32_e32 v3, 0
	v_lshl_add_u64 v[2:3], s[14:15], 0, v[2:3]
	flat_load_dword v2, v[2:3]
.LBB2988_5:
	s_or_b64 exec, exec, s[16:17]
	v_or_b32_e32 v1, 0x200, v0
	v_cmp_gt_u32_e32 vcc, s3, v1
	s_and_saveexec_b64 s[4:5], vcc
	s_cbranch_execz .LBB2988_7
; %bb.6:
	v_lshlrev_b32_e32 v18, 2, v0
	v_mov_b32_e32 v19, 0
	v_lshl_add_u64 v[18:19], s[14:15], 0, v[18:19]
	flat_load_dword v3, v[18:19] offset:2048
.LBB2988_7:
	s_or_b64 exec, exec, s[4:5]
	v_or_b32_e32 v1, 0x400, v0
	v_cmp_gt_u32_e32 vcc, s3, v1
	s_and_saveexec_b64 s[4:5], vcc
	s_cbranch_execz .LBB2988_9
; %bb.8:
	v_lshlrev_b32_e32 v18, 2, v1
	v_mov_b32_e32 v19, 0
	v_lshl_add_u64 v[18:19], s[14:15], 0, v[18:19]
	flat_load_dword v4, v[18:19]
.LBB2988_9:
	s_or_b64 exec, exec, s[4:5]
	v_or_b32_e32 v1, 0x600, v0
	v_cmp_gt_u32_e32 vcc, s3, v1
	s_and_saveexec_b64 s[4:5], vcc
	s_cbranch_execz .LBB2988_11
; %bb.10:
	v_lshlrev_b32_e32 v18, 2, v1
	v_mov_b32_e32 v19, 0
	v_lshl_add_u64 v[18:19], s[14:15], 0, v[18:19]
	flat_load_dword v5, v[18:19]
.LBB2988_11:
	;; [unrolled: 11-line block ×13, first 2 shown]
	s_or_b64 exec, exec, s[4:5]
	v_lshlrev_b32_e32 v1, 2, v0
	s_waitcnt vmcnt(0) lgkmcnt(0)
	ds_write2st64_b32 v1, v2, v3 offset1:8
	ds_write2st64_b32 v1, v4, v5 offset0:16 offset1:24
	ds_write2st64_b32 v1, v6, v7 offset0:32 offset1:40
	;; [unrolled: 1-line block ×6, first 2 shown]
	ds_write_b32 v1, v16 offset:28672
	s_waitcnt lgkmcnt(0)
	s_barrier
.LBB2988_34:
	v_mul_u32_u24_e32 v21, 15, v0
	v_lshlrev_b32_e32 v1, 2, v21
	s_waitcnt lgkmcnt(0)
	ds_read2_b32 v[34:35], v1 offset1:1
	ds_read2_b32 v[32:33], v1 offset0:2 offset1:3
	ds_read2_b32 v[30:31], v1 offset0:4 offset1:5
	;; [unrolled: 1-line block ×6, first 2 shown]
	ds_read_b32 v1, v1 offset:56
	s_add_u32 s4, s6, s10
	s_addc_u32 s5, s7, s11
	s_add_u32 s4, s4, s12
	s_addc_u32 s5, s5, s13
	s_mov_b64 s[6:7], -1
	s_and_b64 vcc, exec, s[8:9]
	s_waitcnt lgkmcnt(0)
	s_barrier
	s_cbranch_vccz .LBB2988_36
; %bb.35:
	v_lshlrev_b32_e32 v2, 2, v0
	v_mov_b32_e32 v3, 0
	v_lshl_add_u64 v[4:5], s[4:5], 0, v[2:3]
	global_load_dword v8, v2, s[4:5]
	global_load_dword v9, v2, s[4:5] offset:2048
	v_add_co_u32_e32 v2, vcc, 0x1000, v4
	s_mov_b64 s[6:7], 0
	s_nop 0
	v_addc_co_u32_e32 v3, vcc, 0, v5, vcc
	v_add_co_u32_e32 v6, vcc, 0x2000, v4
	s_nop 1
	v_addc_co_u32_e32 v7, vcc, 0, v5, vcc
	global_load_dword v10, v[2:3], off
	global_load_dword v11, v[2:3], off offset:2048
	global_load_dword v12, v[6:7], off
	global_load_dword v13, v[6:7], off offset:2048
	v_add_co_u32_e32 v2, vcc, 0x3000, v4
	s_nop 1
	v_addc_co_u32_e32 v3, vcc, 0, v5, vcc
	v_add_co_u32_e32 v6, vcc, 0x4000, v4
	s_nop 1
	v_addc_co_u32_e32 v7, vcc, 0, v5, vcc
	global_load_dword v14, v[2:3], off
	global_load_dword v15, v[2:3], off offset:2048
	global_load_dword v16, v[6:7], off
	global_load_dword v17, v[6:7], off offset:2048
	v_add_co_u32_e32 v2, vcc, 0x5000, v4
	s_nop 1
	v_addc_co_u32_e32 v3, vcc, 0, v5, vcc
	global_load_dword v6, v[2:3], off
	global_load_dword v7, v[2:3], off offset:2048
	v_add_co_u32_e32 v2, vcc, 0x6000, v4
	s_waitcnt vmcnt(1)
	v_xor_b32_e32 v6, -1, v6
	v_addc_co_u32_e32 v3, vcc, 0, v5, vcc
	global_load_dword v18, v[2:3], off
	global_load_dword v19, v[2:3], off offset:2048
	v_add_co_u32_e32 v2, vcc, 0x7000, v4
	v_xor_b32_e32 v4, -1, v9
	s_nop 0
	v_addc_co_u32_e32 v3, vcc, 0, v5, vcc
	global_load_dword v2, v[2:3], off
	v_xor_b32_e32 v3, -1, v8
	v_and_b32_e32 v3, 1, v3
	v_and_b32_e32 v4, 1, v4
	ds_write_b8 v0, v3
	ds_write_b8 v0, v4 offset:512
	v_xor_b32_e32 v3, -1, v10
	v_xor_b32_e32 v4, -1, v11
	v_and_b32_e32 v3, 1, v3
	v_and_b32_e32 v4, 1, v4
	v_xor_b32_e32 v5, -1, v12
	v_xor_b32_e32 v8, -1, v13
	v_xor_b32_e32 v9, -1, v14
	v_xor_b32_e32 v10, -1, v15
	v_and_b32_e32 v5, 1, v5
	v_and_b32_e32 v8, 1, v8
	ds_write_b8 v0, v3 offset:1024
	ds_write_b8 v0, v4 offset:1536
	v_and_b32_e32 v3, 1, v9
	v_and_b32_e32 v4, 1, v10
	v_xor_b32_e32 v9, -1, v16
	v_xor_b32_e32 v10, -1, v17
	s_waitcnt vmcnt(3)
	v_xor_b32_e32 v7, -1, v7
	ds_write_b8 v0, v5 offset:2048
	ds_write_b8 v0, v8 offset:2560
	v_and_b32_e32 v5, 1, v9
	v_and_b32_e32 v8, 1, v10
	ds_write_b8 v0, v3 offset:3072
	ds_write_b8 v0, v4 offset:3584
	v_and_b32_e32 v3, 1, v6
	v_and_b32_e32 v4, 1, v7
	ds_write_b8 v0, v5 offset:4096
	s_waitcnt vmcnt(2)
	v_xor_b32_e32 v6, -1, v18
	s_waitcnt vmcnt(1)
	v_xor_b32_e32 v7, -1, v19
	v_and_b32_e32 v5, 1, v6
	v_and_b32_e32 v6, 1, v7
	s_waitcnt vmcnt(0)
	v_xor_b32_e32 v2, -1, v2
	v_and_b32_e32 v2, 1, v2
	ds_write_b8 v0, v8 offset:4608
	ds_write_b8 v0, v3 offset:5120
	;; [unrolled: 1-line block ×6, first 2 shown]
	s_waitcnt lgkmcnt(0)
	s_barrier
.LBB2988_36:
	s_load_dwordx2 s[24:25], s[0:1], 0x80
	s_andn2_b64 vcc, exec, s[6:7]
	s_cbranch_vccnz .LBB2988_68
; %bb.37:
	v_cmp_gt_u32_e32 vcc, s3, v0
	v_mov_b32_e32 v2, 0
	v_mov_b32_e32 v3, 0
	s_and_saveexec_b64 s[0:1], vcc
	s_cbranch_execz .LBB2988_39
; %bb.38:
	v_lshlrev_b32_e32 v3, 2, v0
	global_load_dword v3, v3, s[4:5]
	s_waitcnt vmcnt(0)
	v_xor_b32_e32 v3, -1, v3
	v_and_b32_e32 v3, 1, v3
.LBB2988_39:
	s_or_b64 exec, exec, s[0:1]
	v_or_b32_e32 v4, 0x200, v0
	v_cmp_gt_u32_e32 vcc, s3, v4
	s_and_saveexec_b64 s[0:1], vcc
	s_cbranch_execz .LBB2988_41
; %bb.40:
	v_lshlrev_b32_e32 v2, 2, v0
	global_load_dword v2, v2, s[4:5] offset:2048
	s_waitcnt vmcnt(0)
	v_xor_b32_e32 v2, -1, v2
	v_and_b32_e32 v2, 1, v2
.LBB2988_41:
	s_or_b64 exec, exec, s[0:1]
	v_or_b32_e32 v6, 0x400, v0
	v_cmp_gt_u32_e32 vcc, s3, v6
	v_mov_b32_e32 v4, 0
	v_mov_b32_e32 v5, 0
	s_and_saveexec_b64 s[0:1], vcc
	s_cbranch_execz .LBB2988_43
; %bb.42:
	v_lshlrev_b32_e32 v5, 2, v6
	global_load_dword v5, v5, s[4:5]
	s_waitcnt vmcnt(0)
	v_xor_b32_e32 v5, -1, v5
	v_and_b32_e32 v5, 1, v5
.LBB2988_43:
	s_or_b64 exec, exec, s[0:1]
	v_or_b32_e32 v6, 0x600, v0
	v_cmp_gt_u32_e32 vcc, s3, v6
	s_and_saveexec_b64 s[0:1], vcc
	s_cbranch_execz .LBB2988_45
; %bb.44:
	v_lshlrev_b32_e32 v4, 2, v6
	global_load_dword v4, v4, s[4:5]
	s_waitcnt vmcnt(0)
	v_xor_b32_e32 v4, -1, v4
	v_and_b32_e32 v4, 1, v4
.LBB2988_45:
	s_or_b64 exec, exec, s[0:1]
	v_or_b32_e32 v8, 0x800, v0
	v_cmp_gt_u32_e32 vcc, s3, v8
	v_mov_b32_e32 v6, 0
	v_mov_b32_e32 v7, 0
	s_and_saveexec_b64 s[0:1], vcc
	s_cbranch_execz .LBB2988_47
; %bb.46:
	v_lshlrev_b32_e32 v7, 2, v8
	global_load_dword v7, v7, s[4:5]
	s_waitcnt vmcnt(0)
	v_xor_b32_e32 v7, -1, v7
	v_and_b32_e32 v7, 1, v7
.LBB2988_47:
	s_or_b64 exec, exec, s[0:1]
	v_or_b32_e32 v8, 0xa00, v0
	v_cmp_gt_u32_e32 vcc, s3, v8
	s_and_saveexec_b64 s[0:1], vcc
	s_cbranch_execz .LBB2988_49
; %bb.48:
	v_lshlrev_b32_e32 v6, 2, v8
	global_load_dword v6, v6, s[4:5]
	s_waitcnt vmcnt(0)
	v_xor_b32_e32 v6, -1, v6
	v_and_b32_e32 v6, 1, v6
.LBB2988_49:
	;; [unrolled: 26-line block ×6, first 2 shown]
	s_or_b64 exec, exec, s[0:1]
	v_or_b32_e32 v17, 0x1c00, v0
	v_cmp_gt_u32_e32 vcc, s3, v17
	v_mov_b32_e32 v16, 0
	s_and_saveexec_b64 s[0:1], vcc
	s_cbranch_execz .LBB2988_67
; %bb.66:
	v_lshlrev_b32_e32 v16, 2, v17
	global_load_dword v16, v16, s[4:5]
	s_waitcnt vmcnt(0)
	v_xor_b32_e32 v16, -1, v16
	v_and_b32_e32 v16, 1, v16
.LBB2988_67:
	s_or_b64 exec, exec, s[0:1]
	ds_write_b8 v0, v3
	ds_write_b8 v0, v2 offset:512
	ds_write_b8 v0, v5 offset:1024
	;; [unrolled: 1-line block ×14, first 2 shown]
	s_waitcnt lgkmcnt(0)
	s_barrier
.LBB2988_68:
	s_waitcnt lgkmcnt(0)
	ds_read_b96 v[18:20], v21
	ds_read_u8 v2, v21 offset:12
	ds_read_u8 v3, v21 offset:13
	ds_read_u8 v4, v21 offset:14
	s_cmp_lg_u32 s2, 0
	v_lshrrev_b32_e32 v54, 6, v0
	s_waitcnt lgkmcnt(2)
	v_and_b32_e32 v41, 1, v2
	v_and_b32_e32 v50, 0xff, v18
	v_bfe_u32 v51, v18, 8, 8
	v_bfe_u32 v52, v18, 16, 8
	v_lshrrev_b32_e32 v43, 24, v18
	v_and_b32_e32 v47, 0xff, v19
	v_add3_u32 v2, v51, v50, v52
	v_bfe_u32 v48, v19, 8, 8
	v_bfe_u32 v49, v19, 16, 8
	v_add3_u32 v2, v2, v43, v47
	v_lshrrev_b32_e32 v42, 24, v19
	v_and_b32_e32 v44, 0xff, v20
	v_add3_u32 v2, v2, v48, v49
	v_bfe_u32 v45, v20, 8, 8
	v_bfe_u32 v46, v20, 16, 8
	v_add3_u32 v2, v2, v42, v44
	v_lshrrev_b32_e32 v40, 24, v20
	v_add3_u32 v2, v2, v45, v46
	s_waitcnt lgkmcnt(1)
	v_and_b32_e32 v39, 1, v3
	s_waitcnt lgkmcnt(0)
	v_and_b32_e32 v38, 1, v4
	v_add3_u32 v2, v2, v40, v41
	v_add3_u32 v55, v2, v39, v38
	v_mbcnt_lo_u32_b32 v2, -1, 0
	v_mbcnt_hi_u32_b32 v53, -1, v2
	v_and_b32_e32 v2, 15, v53
	v_cmp_eq_u32_e64 s[12:13], 0, v2
	v_cmp_lt_u32_e64 s[10:11], 1, v2
	v_cmp_lt_u32_e64 s[8:9], 3, v2
	v_cmp_lt_u32_e64 s[6:7], 7, v2
	v_and_b32_e32 v2, 16, v53
	v_cmp_eq_u32_e64 s[4:5], 0, v2
	v_or_b32_e32 v2, 63, v0
	v_cmp_lt_u32_e64 s[0:1], 31, v53
	v_cmp_eq_u32_e64 s[16:17], v2, v0
	s_barrier
	s_cbranch_scc0 .LBB2988_99
; %bb.69:
	v_mov_b32_dpp v2, v55 row_shr:1 row_mask:0xf bank_mask:0xf
	v_cndmask_b32_e64 v2, v2, 0, s[12:13]
	v_add_u32_e32 v2, v2, v55
	s_nop 1
	v_mov_b32_dpp v3, v2 row_shr:2 row_mask:0xf bank_mask:0xf
	v_cndmask_b32_e64 v3, 0, v3, s[10:11]
	v_add_u32_e32 v2, v2, v3
	s_nop 1
	;; [unrolled: 4-line block ×4, first 2 shown]
	v_mov_b32_dpp v3, v2 row_bcast:15 row_mask:0xf bank_mask:0xf
	v_cndmask_b32_e64 v3, v3, 0, s[4:5]
	v_add_u32_e32 v2, v2, v3
	s_nop 1
	v_mov_b32_dpp v3, v2 row_bcast:31 row_mask:0xf bank_mask:0xf
	v_cndmask_b32_e64 v3, 0, v3, s[0:1]
	v_add_u32_e32 v2, v2, v3
	s_and_saveexec_b64 s[14:15], s[16:17]
	s_cbranch_execz .LBB2988_71
; %bb.70:
	v_lshlrev_b32_e32 v3, 2, v54
	ds_write_b32 v3, v2
.LBB2988_71:
	s_or_b64 exec, exec, s[14:15]
	v_cmp_gt_u32_e32 vcc, 8, v0
	s_waitcnt lgkmcnt(0)
	s_barrier
	s_and_saveexec_b64 s[14:15], vcc
	s_cbranch_execz .LBB2988_73
; %bb.72:
	v_lshlrev_b32_e32 v3, 2, v0
	ds_read_b32 v4, v3
	v_and_b32_e32 v5, 7, v53
	v_cmp_ne_u32_e32 vcc, 0, v5
	s_waitcnt lgkmcnt(0)
	v_mov_b32_dpp v6, v4 row_shr:1 row_mask:0xf bank_mask:0xf
	v_cndmask_b32_e32 v6, 0, v6, vcc
	v_add_u32_e32 v4, v6, v4
	v_cmp_lt_u32_e32 vcc, 1, v5
	s_nop 0
	v_mov_b32_dpp v6, v4 row_shr:2 row_mask:0xf bank_mask:0xf
	v_cndmask_b32_e32 v6, 0, v6, vcc
	v_add_u32_e32 v4, v4, v6
	v_cmp_lt_u32_e32 vcc, 3, v5
	s_nop 0
	v_mov_b32_dpp v6, v4 row_shr:4 row_mask:0xf bank_mask:0xf
	v_cndmask_b32_e32 v5, 0, v6, vcc
	v_add_u32_e32 v4, v4, v5
	ds_write_b32 v3, v4
.LBB2988_73:
	s_or_b64 exec, exec, s[14:15]
	v_cmp_gt_u32_e32 vcc, 64, v0
	v_cmp_lt_u32_e64 s[14:15], 63, v0
	s_waitcnt lgkmcnt(0)
	s_barrier
	s_waitcnt lgkmcnt(0)
                                        ; implicit-def: $vgpr12
	s_and_saveexec_b64 s[26:27], s[14:15]
	s_cbranch_execz .LBB2988_75
; %bb.74:
	v_lshl_add_u32 v3, v54, 2, -4
	ds_read_b32 v12, v3
	s_waitcnt lgkmcnt(0)
	v_add_u32_e32 v2, v12, v2
.LBB2988_75:
	s_or_b64 exec, exec, s[26:27]
	v_add_u32_e32 v3, -1, v53
	v_and_b32_e32 v4, 64, v53
	v_cmp_lt_i32_e64 s[14:15], v3, v4
	s_nop 1
	v_cndmask_b32_e64 v3, v3, v53, s[14:15]
	v_lshlrev_b32_e32 v3, 2, v3
	ds_bpermute_b32 v13, v3, v2
	v_cmp_eq_u32_e64 s[14:15], 0, v53
	s_and_saveexec_b64 s[26:27], vcc
	s_cbranch_execz .LBB2988_98
; %bb.76:
	v_mov_b32_e32 v11, 0
	ds_read_b32 v2, v11 offset:28
	s_and_saveexec_b64 s[28:29], s[14:15]
	s_cbranch_execz .LBB2988_78
; %bb.77:
	s_add_i32 s30, s2, 64
	s_mov_b32 s31, 0
	s_lshl_b64 s[30:31], s[30:31], 3
	s_add_u32 s30, s24, s30
	v_mov_b32_e32 v3, 1
	s_addc_u32 s31, s25, s31
	s_waitcnt lgkmcnt(0)
	global_store_dwordx2 v11, v[2:3], s[30:31] sc1
.LBB2988_78:
	s_or_b64 exec, exec, s[28:29]
	v_xad_u32 v4, v53, -1, s2
	v_add_u32_e32 v10, 64, v4
	v_lshl_add_u64 v[6:7], v[10:11], 3, s[24:25]
	global_load_dwordx2 v[8:9], v[6:7], off sc1
	s_waitcnt vmcnt(0)
	v_cmp_eq_u16_sdwa s[30:31], v9, v11 src0_sel:BYTE_0 src1_sel:DWORD
	s_and_saveexec_b64 s[28:29], s[30:31]
	s_cbranch_execz .LBB2988_84
; %bb.79:
	s_mov_b32 s3, 1
	s_mov_b64 s[30:31], 0
	v_mov_b32_e32 v3, 0
.LBB2988_80:                            ; =>This Loop Header: Depth=1
                                        ;     Child Loop BB2988_81 Depth 2
	s_max_u32 s33, s3, 1
.LBB2988_81:                            ;   Parent Loop BB2988_80 Depth=1
                                        ; =>  This Inner Loop Header: Depth=2
	s_add_i32 s33, s33, -1
	s_cmp_eq_u32 s33, 0
	s_sleep 1
	s_cbranch_scc0 .LBB2988_81
; %bb.82:                               ;   in Loop: Header=BB2988_80 Depth=1
	global_load_dwordx2 v[8:9], v[6:7], off sc1
	s_cmp_lt_u32 s3, 32
	s_cselect_b64 s[34:35], -1, 0
	s_cmp_lg_u64 s[34:35], 0
	s_addc_u32 s3, s3, 0
	s_waitcnt vmcnt(0)
	v_cmp_ne_u16_sdwa s[34:35], v9, v3 src0_sel:BYTE_0 src1_sel:DWORD
	s_or_b64 s[30:31], s[34:35], s[30:31]
	s_andn2_b64 exec, exec, s[30:31]
	s_cbranch_execnz .LBB2988_80
; %bb.83:
	s_or_b64 exec, exec, s[30:31]
.LBB2988_84:
	s_or_b64 exec, exec, s[28:29]
	v_and_b32_e32 v15, 63, v53
	v_mov_b32_e32 v14, 2
	v_cmp_ne_u32_e32 vcc, 63, v15
	v_cmp_eq_u16_sdwa s[28:29], v9, v14 src0_sel:BYTE_0 src1_sel:DWORD
	v_lshlrev_b64 v[6:7], v53, -1
	v_addc_co_u32_e32 v10, vcc, 0, v53, vcc
	v_and_b32_e32 v3, s29, v7
	v_lshlrev_b32_e32 v16, 2, v10
	v_or_b32_e32 v3, 0x80000000, v3
	ds_bpermute_b32 v10, v16, v8
	v_and_b32_e32 v5, s28, v6
	v_ffbl_b32_e32 v3, v3
	v_add_u32_e32 v3, 32, v3
	v_ffbl_b32_e32 v5, v5
	v_min_u32_e32 v3, v5, v3
	v_cmp_lt_u32_e32 vcc, v15, v3
	v_add_u32_e32 v36, 2, v15
	v_add_u32_e32 v56, 4, v15
	s_waitcnt lgkmcnt(0)
	v_cndmask_b32_e32 v5, 0, v10, vcc
	v_cmp_gt_u32_e32 vcc, 62, v15
	v_add_u32_e32 v5, v5, v8
	v_add_u32_e32 v58, 8, v15
	v_cndmask_b32_e64 v8, 0, 1, vcc
	v_lshlrev_b32_e32 v8, 1, v8
	v_add_lshl_u32 v17, v8, v53, 2
	ds_bpermute_b32 v8, v17, v5
	v_cmp_le_u32_e32 vcc, v36, v3
	v_add_u32_e32 v60, 16, v15
	v_add_u32_e32 v62, 32, v15
	s_waitcnt lgkmcnt(0)
	v_cndmask_b32_e32 v8, 0, v8, vcc
	v_cmp_gt_u32_e32 vcc, 60, v15
	v_add_u32_e32 v5, v5, v8
	s_nop 0
	v_cndmask_b32_e64 v8, 0, 1, vcc
	v_lshlrev_b32_e32 v8, 2, v8
	v_add_lshl_u32 v37, v8, v53, 2
	ds_bpermute_b32 v8, v37, v5
	v_cmp_le_u32_e32 vcc, v56, v3
	s_waitcnt lgkmcnt(0)
	s_nop 0
	v_cndmask_b32_e32 v8, 0, v8, vcc
	v_cmp_gt_u32_e32 vcc, 56, v15
	v_add_u32_e32 v5, v5, v8
	s_nop 0
	v_cndmask_b32_e64 v8, 0, 1, vcc
	v_lshlrev_b32_e32 v8, 3, v8
	v_add_lshl_u32 v57, v8, v53, 2
	ds_bpermute_b32 v8, v57, v5
	v_cmp_le_u32_e32 vcc, v58, v3
	s_waitcnt lgkmcnt(0)
	s_nop 0
	;; [unrolled: 11-line block ×4, first 2 shown]
	v_cndmask_b32_e32 v3, 0, v8, vcc
	v_add_u32_e32 v8, v5, v3
	v_mov_b32_e32 v5, 0
	s_branch .LBB2988_86
.LBB2988_85:                            ;   in Loop: Header=BB2988_86 Depth=1
	s_or_b64 exec, exec, s[28:29]
	v_cmp_eq_u16_sdwa s[28:29], v9, v14 src0_sel:BYTE_0 src1_sel:DWORD
	ds_bpermute_b32 v63, v16, v8
	v_subrev_u32_e32 v4, 64, v4
	v_and_b32_e32 v10, s29, v7
	v_or_b32_e32 v10, 0x80000000, v10
	v_and_b32_e32 v11, s28, v6
	v_ffbl_b32_e32 v10, v10
	v_add_u32_e32 v10, 32, v10
	v_ffbl_b32_e32 v11, v11
	v_min_u32_e32 v10, v11, v10
	v_cmp_lt_u32_e32 vcc, v15, v10
	s_waitcnt lgkmcnt(0)
	s_nop 0
	v_cndmask_b32_e32 v11, 0, v63, vcc
	v_add_u32_e32 v8, v11, v8
	ds_bpermute_b32 v11, v17, v8
	v_cmp_le_u32_e32 vcc, v36, v10
	s_waitcnt lgkmcnt(0)
	s_nop 0
	v_cndmask_b32_e32 v11, 0, v11, vcc
	v_add_u32_e32 v8, v8, v11
	ds_bpermute_b32 v11, v37, v8
	v_cmp_le_u32_e32 vcc, v56, v10
	;; [unrolled: 6-line block ×5, first 2 shown]
	s_waitcnt lgkmcnt(0)
	s_nop 0
	v_cndmask_b32_e32 v10, 0, v11, vcc
	v_add3_u32 v8, v10, v3, v8
.LBB2988_86:                            ; =>This Loop Header: Depth=1
                                        ;     Child Loop BB2988_89 Depth 2
                                        ;       Child Loop BB2988_90 Depth 3
	v_cmp_ne_u16_sdwa s[28:29], v9, v14 src0_sel:BYTE_0 src1_sel:DWORD
	s_nop 1
	v_cndmask_b32_e64 v3, 0, 1, s[28:29]
	;;#ASMSTART
	;;#ASMEND
	s_nop 0
	v_cmp_ne_u32_e32 vcc, 0, v3
	s_cmp_lg_u64 vcc, exec
	v_mov_b32_e32 v3, v8
	s_cbranch_scc1 .LBB2988_93
; %bb.87:                               ;   in Loop: Header=BB2988_86 Depth=1
	v_lshl_add_u64 v[10:11], v[4:5], 3, s[24:25]
	global_load_dwordx2 v[8:9], v[10:11], off sc1
	s_waitcnt vmcnt(0)
	v_cmp_eq_u16_sdwa s[30:31], v9, v5 src0_sel:BYTE_0 src1_sel:DWORD
	s_and_saveexec_b64 s[28:29], s[30:31]
	s_cbranch_execz .LBB2988_85
; %bb.88:                               ;   in Loop: Header=BB2988_86 Depth=1
	s_mov_b32 s3, 1
	s_mov_b64 s[30:31], 0
.LBB2988_89:                            ;   Parent Loop BB2988_86 Depth=1
                                        ; =>  This Loop Header: Depth=2
                                        ;       Child Loop BB2988_90 Depth 3
	s_max_u32 s33, s3, 1
.LBB2988_90:                            ;   Parent Loop BB2988_86 Depth=1
                                        ;     Parent Loop BB2988_89 Depth=2
                                        ; =>    This Inner Loop Header: Depth=3
	s_add_i32 s33, s33, -1
	s_cmp_eq_u32 s33, 0
	s_sleep 1
	s_cbranch_scc0 .LBB2988_90
; %bb.91:                               ;   in Loop: Header=BB2988_89 Depth=2
	global_load_dwordx2 v[8:9], v[10:11], off sc1
	s_cmp_lt_u32 s3, 32
	s_cselect_b64 s[34:35], -1, 0
	s_cmp_lg_u64 s[34:35], 0
	s_addc_u32 s3, s3, 0
	s_waitcnt vmcnt(0)
	v_cmp_ne_u16_sdwa s[34:35], v9, v5 src0_sel:BYTE_0 src1_sel:DWORD
	s_or_b64 s[30:31], s[34:35], s[30:31]
	s_andn2_b64 exec, exec, s[30:31]
	s_cbranch_execnz .LBB2988_89
; %bb.92:                               ;   in Loop: Header=BB2988_86 Depth=1
	s_or_b64 exec, exec, s[30:31]
	s_branch .LBB2988_85
.LBB2988_93:                            ;   in Loop: Header=BB2988_86 Depth=1
                                        ; implicit-def: $vgpr8
                                        ; implicit-def: $vgpr9
	s_cbranch_execz .LBB2988_86
; %bb.94:
	s_and_saveexec_b64 s[28:29], s[14:15]
	s_cbranch_execz .LBB2988_96
; %bb.95:
	s_add_i32 s2, s2, 64
	s_mov_b32 s3, 0
	s_lshl_b64 s[2:3], s[2:3], 3
	s_add_u32 s2, s24, s2
	v_add_u32_e32 v4, v3, v2
	v_mov_b32_e32 v5, 2
	s_addc_u32 s3, s25, s3
	v_mov_b32_e32 v6, 0
	global_store_dwordx2 v6, v[4:5], s[2:3] sc1
	ds_write_b64 v6, v[2:3] offset:30720
.LBB2988_96:
	s_or_b64 exec, exec, s[28:29]
	v_cmp_eq_u32_e32 vcc, 0, v0
	s_and_b64 exec, exec, vcc
	s_cbranch_execz .LBB2988_98
; %bb.97:
	v_mov_b32_e32 v2, 0
	ds_write_b32 v2, v3 offset:28
.LBB2988_98:
	s_or_b64 exec, exec, s[26:27]
	v_mov_b32_e32 v14, 0
	s_waitcnt lgkmcnt(0)
	s_barrier
	ds_read_b32 v2, v14 offset:28
	v_cndmask_b32_e64 v3, v13, v12, s[14:15]
	v_cmp_ne_u32_e32 vcc, 0, v0
	s_waitcnt lgkmcnt(0)
	s_barrier
	v_cndmask_b32_e32 v3, 0, v3, vcc
	v_add_u32_e32 v2, v2, v3
	v_add_u32_e32 v3, v2, v50
	;; [unrolled: 1-line block ×11, first 2 shown]
	ds_read_b64 v[36:37], v14 offset:30720
	v_add_u32_e32 v13, v12, v46
	v_add_u32_e32 v14, v13, v40
	;; [unrolled: 1-line block ×4, first 2 shown]
	s_branch .LBB2988_109
.LBB2988_99:
                                        ; implicit-def: $vgpr37
                                        ; implicit-def: $vgpr2_vgpr3_vgpr4_vgpr5_vgpr6_vgpr7_vgpr8_vgpr9_vgpr10_vgpr11_vgpr12_vgpr13_vgpr14_vgpr15_vgpr16_vgpr17
	s_cbranch_execz .LBB2988_109
; %bb.100:
	s_nop 0
	v_mov_b32_dpp v2, v55 row_shr:1 row_mask:0xf bank_mask:0xf
	v_cndmask_b32_e64 v2, v2, 0, s[12:13]
	v_add_u32_e32 v2, v2, v55
	s_nop 1
	v_mov_b32_dpp v3, v2 row_shr:2 row_mask:0xf bank_mask:0xf
	v_cndmask_b32_e64 v3, 0, v3, s[10:11]
	v_add_u32_e32 v2, v2, v3
	;; [unrolled: 4-line block ×4, first 2 shown]
	s_nop 1
	v_mov_b32_dpp v3, v2 row_bcast:15 row_mask:0xf bank_mask:0xf
	v_cndmask_b32_e64 v3, v3, 0, s[4:5]
	v_add_u32_e32 v2, v2, v3
	s_nop 1
	v_mov_b32_dpp v3, v2 row_bcast:31 row_mask:0xf bank_mask:0xf
	v_cndmask_b32_e64 v3, 0, v3, s[0:1]
	v_add_u32_e32 v2, v2, v3
	s_and_saveexec_b64 s[0:1], s[16:17]
	s_cbranch_execz .LBB2988_102
; %bb.101:
	v_lshlrev_b32_e32 v3, 2, v54
	ds_write_b32 v3, v2
.LBB2988_102:
	s_or_b64 exec, exec, s[0:1]
	v_cmp_gt_u32_e32 vcc, 8, v0
	s_waitcnt lgkmcnt(0)
	s_barrier
	s_and_saveexec_b64 s[0:1], vcc
	s_cbranch_execz .LBB2988_104
; %bb.103:
	v_mad_i32_i24 v3, v0, -11, v21
	ds_read_b32 v4, v3
	v_and_b32_e32 v5, 7, v53
	v_cmp_ne_u32_e32 vcc, 0, v5
	s_waitcnt lgkmcnt(0)
	v_mov_b32_dpp v6, v4 row_shr:1 row_mask:0xf bank_mask:0xf
	v_cndmask_b32_e32 v6, 0, v6, vcc
	v_add_u32_e32 v4, v6, v4
	v_cmp_lt_u32_e32 vcc, 1, v5
	s_nop 0
	v_mov_b32_dpp v6, v4 row_shr:2 row_mask:0xf bank_mask:0xf
	v_cndmask_b32_e32 v6, 0, v6, vcc
	v_add_u32_e32 v4, v4, v6
	v_cmp_lt_u32_e32 vcc, 3, v5
	s_nop 0
	v_mov_b32_dpp v6, v4 row_shr:4 row_mask:0xf bank_mask:0xf
	v_cndmask_b32_e32 v5, 0, v6, vcc
	v_add_u32_e32 v4, v4, v5
	ds_write_b32 v3, v4
.LBB2988_104:
	s_or_b64 exec, exec, s[0:1]
	v_cmp_lt_u32_e32 vcc, 63, v0
	v_mov_b32_e32 v4, 0
	v_mov_b32_e32 v3, 0
	s_waitcnt lgkmcnt(0)
	s_barrier
	s_and_saveexec_b64 s[0:1], vcc
	s_cbranch_execz .LBB2988_106
; %bb.105:
	v_lshl_add_u32 v3, v54, 2, -4
	ds_read_b32 v3, v3
.LBB2988_106:
	s_or_b64 exec, exec, s[0:1]
	v_add_u32_e32 v5, -1, v53
	v_and_b32_e32 v6, 64, v53
	v_cmp_lt_i32_e32 vcc, v5, v6
	s_waitcnt lgkmcnt(0)
	v_add_u32_e32 v2, v3, v2
	ds_read_b32 v36, v4 offset:28
	v_cndmask_b32_e32 v5, v5, v53, vcc
	v_lshlrev_b32_e32 v5, 2, v5
	ds_bpermute_b32 v2, v5, v2
	v_cmp_eq_u32_e32 vcc, 0, v0
	s_and_saveexec_b64 s[0:1], vcc
	s_cbranch_execz .LBB2988_108
; %bb.107:
	v_mov_b32_e32 v4, 0
	v_mov_b32_e32 v37, 2
	s_waitcnt lgkmcnt(1)
	global_store_dwordx2 v4, v[36:37], s[24:25] offset:512 sc1
.LBB2988_108:
	s_or_b64 exec, exec, s[0:1]
	v_cmp_eq_u32_e64 s[0:1], 0, v53
	v_mov_b32_e32 v37, 0
	s_waitcnt lgkmcnt(0)
	v_cndmask_b32_e64 v2, v2, v3, s[0:1]
	v_cndmask_b32_e64 v2, v2, 0, vcc
	v_add_u32_e32 v3, v2, v50
	v_add_u32_e32 v4, v3, v51
	;; [unrolled: 1-line block ×14, first 2 shown]
	s_barrier
.LBB2988_109:
	s_waitcnt lgkmcnt(0)
	v_add_u32_e32 v21, v36, v21
	v_sub_u32_e32 v2, v2, v37
	v_and_b32_e32 v47, 1, v18
	v_sub_u32_e32 v46, v21, v2
	v_cmp_eq_u32_e32 vcc, 1, v47
	v_lshrrev_b32_e32 v45, 8, v18
	v_lshrrev_b32_e32 v44, 8, v19
	v_cndmask_b32_e32 v2, v46, v2, vcc
	v_lshlrev_b32_e32 v2, 2, v2
	ds_write_b32 v2, v34
	v_sub_u32_e32 v2, v3, v37
	v_sub_u32_e32 v3, v21, v2
	v_and_b32_e32 v34, 1, v45
	v_add_u32_e32 v3, 1, v3
	v_cmp_eq_u32_e32 vcc, 1, v34
	v_lshrrev_b32_e32 v17, 8, v20
	s_nop 0
	v_cndmask_b32_e32 v2, v3, v2, vcc
	v_lshlrev_b32_e32 v2, 2, v2
	ds_write_b32 v2, v35
	v_sub_u32_e32 v2, v4, v37
	v_mov_b32_e32 v4, 1
	v_sub_u32_e32 v3, v21, v2
	v_and_b32_sdwa v18, v4, v18 dst_sel:DWORD dst_unused:UNUSED_PAD src0_sel:DWORD src1_sel:WORD_1
	v_add_u32_e32 v3, 2, v3
	v_cmp_eq_u32_e32 vcc, 1, v18
	s_nop 1
	v_cndmask_b32_e32 v2, v3, v2, vcc
	v_lshlrev_b32_e32 v2, 2, v2
	ds_write_b32 v2, v32
	v_sub_u32_e32 v2, v5, v37
	v_sub_u32_e32 v3, v21, v2
	v_and_b32_e32 v5, 1, v43
	v_add_u32_e32 v3, 3, v3
	v_cmp_eq_u32_e32 vcc, 1, v5
	v_and_b32_e32 v5, 1, v19
	s_nop 0
	v_cndmask_b32_e32 v2, v3, v2, vcc
	v_lshlrev_b32_e32 v2, 2, v2
	ds_write_b32 v2, v33
	v_sub_u32_e32 v2, v6, v37
	v_sub_u32_e32 v3, v21, v2
	v_add_u32_e32 v3, 4, v3
	v_cmp_eq_u32_e32 vcc, 1, v5
	v_and_b32_e32 v5, 1, v44
	s_nop 0
	v_cndmask_b32_e32 v2, v3, v2, vcc
	v_lshlrev_b32_e32 v2, 2, v2
	ds_write_b32 v2, v30
	v_sub_u32_e32 v2, v7, v37
	v_sub_u32_e32 v3, v21, v2
	v_add_u32_e32 v3, 5, v3
	v_cmp_eq_u32_e32 vcc, 1, v5
	v_and_b32_sdwa v5, v4, v19 dst_sel:DWORD dst_unused:UNUSED_PAD src0_sel:DWORD src1_sel:WORD_1
	v_and_b32_sdwa v4, v4, v20 dst_sel:DWORD dst_unused:UNUSED_PAD src0_sel:DWORD src1_sel:WORD_1
	v_cndmask_b32_e32 v2, v3, v2, vcc
	v_lshlrev_b32_e32 v2, 2, v2
	ds_write_b32 v2, v31
	v_sub_u32_e32 v2, v8, v37
	v_sub_u32_e32 v3, v21, v2
	v_add_u32_e32 v3, 6, v3
	v_cmp_eq_u32_e32 vcc, 1, v5
	v_and_b32_e32 v5, 1, v42
	s_nop 0
	v_cndmask_b32_e32 v2, v3, v2, vcc
	v_lshlrev_b32_e32 v2, 2, v2
	ds_write_b32 v2, v28
	v_sub_u32_e32 v2, v9, v37
	v_sub_u32_e32 v3, v21, v2
	v_add_u32_e32 v3, 7, v3
	v_cmp_eq_u32_e32 vcc, 1, v5
	v_and_b32_e32 v5, 1, v20
	s_nop 0
	v_cndmask_b32_e32 v2, v3, v2, vcc
	v_lshlrev_b32_e32 v2, 2, v2
	ds_write_b32 v2, v29
	v_sub_u32_e32 v2, v10, v37
	v_sub_u32_e32 v3, v21, v2
	v_add_u32_e32 v3, 8, v3
	v_cmp_eq_u32_e32 vcc, 1, v5
	v_and_b32_e32 v5, 1, v17
	s_nop 0
	v_cndmask_b32_e32 v2, v3, v2, vcc
	v_lshlrev_b32_e32 v2, 2, v2
	ds_write_b32 v2, v26
	v_sub_u32_e32 v2, v11, v37
	v_sub_u32_e32 v3, v21, v2
	v_add_u32_e32 v3, 9, v3
	v_cmp_eq_u32_e32 vcc, 1, v5
	s_nop 1
	v_cndmask_b32_e32 v2, v3, v2, vcc
	v_lshlrev_b32_e32 v2, 2, v2
	ds_write_b32 v2, v27
	v_sub_u32_e32 v2, v12, v37
	v_sub_u32_e32 v3, v21, v2
	v_add_u32_e32 v3, 10, v3
	v_cmp_eq_u32_e32 vcc, 1, v4
	v_and_b32_e32 v4, 1, v40
	s_nop 0
	v_cndmask_b32_e32 v2, v3, v2, vcc
	v_lshlrev_b32_e32 v2, 2, v2
	ds_write_b32 v2, v24
	v_sub_u32_e32 v2, v13, v37
	v_sub_u32_e32 v3, v21, v2
	v_add_u32_e32 v3, 11, v3
	v_cmp_eq_u32_e32 vcc, 1, v4
	s_nop 1
	v_cndmask_b32_e32 v2, v3, v2, vcc
	v_lshlrev_b32_e32 v2, 2, v2
	ds_write_b32 v2, v25
	v_sub_u32_e32 v2, v14, v37
	v_sub_u32_e32 v3, v21, v2
	v_add_u32_e32 v3, 12, v3
	v_cmp_eq_u32_e32 vcc, 1, v41
	;; [unrolled: 8-line block ×4, first 2 shown]
	s_nop 1
	v_cndmask_b32_e32 v2, v3, v2, vcc
	v_cmp_eq_u32_e32 vcc, 0, v0
	v_lshlrev_b32_e32 v2, 2, v2
	s_and_b64 s[0:1], vcc, s[22:23]
	ds_write_b32 v2, v1
	s_waitcnt lgkmcnt(0)
	s_barrier
	s_and_saveexec_b64 s[2:3], s[0:1]
	s_cbranch_execz .LBB2988_111
; %bb.110:
	v_mov_b32_e32 v1, 0
	v_mov_b32_e32 v0, v36
	v_lshl_add_u64 v[2:3], s[18:19], 0, v[0:1]
	v_mov_b32_e32 v0, v37
	v_lshl_add_u64 v[2:3], v[2:3], 0, v[0:1]
	global_store_dwordx2 v1, v[2:3], s[20:21]
.LBB2988_111:
	s_endpgm
	.section	.rodata,"a",@progbits
	.p2align	6, 0x0
	.amdhsa_kernel _ZN7rocprim17ROCPRIM_400000_NS6detail17trampoline_kernelINS0_14default_configENS1_25partition_config_selectorILNS1_17partition_subalgoE1EjNS0_10empty_typeEbEEZZNS1_14partition_implILS5_1ELb0ES3_jN6thrust23THRUST_200600_302600_NS6detail15normal_iteratorINSA_10device_ptrIjEEEEPS6_NSA_18transform_iteratorI7is_evenIjESF_NSA_11use_defaultESK_EENS0_5tupleIJNSA_16discard_iteratorISK_EESO_EEENSM_IJSG_SG_EEES6_PlJS6_EEE10hipError_tPvRmT3_T4_T5_T6_T7_T9_mT8_P12ihipStream_tbDpT10_ENKUlT_T0_E_clISt17integral_constantIbLb1EES1A_IbLb0EEEEDaS16_S17_EUlS16_E_NS1_11comp_targetILNS1_3genE5ELNS1_11target_archE942ELNS1_3gpuE9ELNS1_3repE0EEENS1_30default_config_static_selectorELNS0_4arch9wavefront6targetE1EEEvT1_
		.amdhsa_group_segment_fixed_size 30728
		.amdhsa_private_segment_fixed_size 0
		.amdhsa_kernarg_size 144
		.amdhsa_user_sgpr_count 2
		.amdhsa_user_sgpr_dispatch_ptr 0
		.amdhsa_user_sgpr_queue_ptr 0
		.amdhsa_user_sgpr_kernarg_segment_ptr 1
		.amdhsa_user_sgpr_dispatch_id 0
		.amdhsa_user_sgpr_kernarg_preload_length 0
		.amdhsa_user_sgpr_kernarg_preload_offset 0
		.amdhsa_user_sgpr_private_segment_size 0
		.amdhsa_uses_dynamic_stack 0
		.amdhsa_enable_private_segment 0
		.amdhsa_system_sgpr_workgroup_id_x 1
		.amdhsa_system_sgpr_workgroup_id_y 0
		.amdhsa_system_sgpr_workgroup_id_z 0
		.amdhsa_system_sgpr_workgroup_info 0
		.amdhsa_system_vgpr_workitem_id 0
		.amdhsa_next_free_vgpr 64
		.amdhsa_next_free_sgpr 36
		.amdhsa_accum_offset 64
		.amdhsa_reserve_vcc 1
		.amdhsa_float_round_mode_32 0
		.amdhsa_float_round_mode_16_64 0
		.amdhsa_float_denorm_mode_32 3
		.amdhsa_float_denorm_mode_16_64 3
		.amdhsa_dx10_clamp 1
		.amdhsa_ieee_mode 1
		.amdhsa_fp16_overflow 0
		.amdhsa_tg_split 0
		.amdhsa_exception_fp_ieee_invalid_op 0
		.amdhsa_exception_fp_denorm_src 0
		.amdhsa_exception_fp_ieee_div_zero 0
		.amdhsa_exception_fp_ieee_overflow 0
		.amdhsa_exception_fp_ieee_underflow 0
		.amdhsa_exception_fp_ieee_inexact 0
		.amdhsa_exception_int_div_zero 0
	.end_amdhsa_kernel
	.section	.text._ZN7rocprim17ROCPRIM_400000_NS6detail17trampoline_kernelINS0_14default_configENS1_25partition_config_selectorILNS1_17partition_subalgoE1EjNS0_10empty_typeEbEEZZNS1_14partition_implILS5_1ELb0ES3_jN6thrust23THRUST_200600_302600_NS6detail15normal_iteratorINSA_10device_ptrIjEEEEPS6_NSA_18transform_iteratorI7is_evenIjESF_NSA_11use_defaultESK_EENS0_5tupleIJNSA_16discard_iteratorISK_EESO_EEENSM_IJSG_SG_EEES6_PlJS6_EEE10hipError_tPvRmT3_T4_T5_T6_T7_T9_mT8_P12ihipStream_tbDpT10_ENKUlT_T0_E_clISt17integral_constantIbLb1EES1A_IbLb0EEEEDaS16_S17_EUlS16_E_NS1_11comp_targetILNS1_3genE5ELNS1_11target_archE942ELNS1_3gpuE9ELNS1_3repE0EEENS1_30default_config_static_selectorELNS0_4arch9wavefront6targetE1EEEvT1_,"axG",@progbits,_ZN7rocprim17ROCPRIM_400000_NS6detail17trampoline_kernelINS0_14default_configENS1_25partition_config_selectorILNS1_17partition_subalgoE1EjNS0_10empty_typeEbEEZZNS1_14partition_implILS5_1ELb0ES3_jN6thrust23THRUST_200600_302600_NS6detail15normal_iteratorINSA_10device_ptrIjEEEEPS6_NSA_18transform_iteratorI7is_evenIjESF_NSA_11use_defaultESK_EENS0_5tupleIJNSA_16discard_iteratorISK_EESO_EEENSM_IJSG_SG_EEES6_PlJS6_EEE10hipError_tPvRmT3_T4_T5_T6_T7_T9_mT8_P12ihipStream_tbDpT10_ENKUlT_T0_E_clISt17integral_constantIbLb1EES1A_IbLb0EEEEDaS16_S17_EUlS16_E_NS1_11comp_targetILNS1_3genE5ELNS1_11target_archE942ELNS1_3gpuE9ELNS1_3repE0EEENS1_30default_config_static_selectorELNS0_4arch9wavefront6targetE1EEEvT1_,comdat
.Lfunc_end2988:
	.size	_ZN7rocprim17ROCPRIM_400000_NS6detail17trampoline_kernelINS0_14default_configENS1_25partition_config_selectorILNS1_17partition_subalgoE1EjNS0_10empty_typeEbEEZZNS1_14partition_implILS5_1ELb0ES3_jN6thrust23THRUST_200600_302600_NS6detail15normal_iteratorINSA_10device_ptrIjEEEEPS6_NSA_18transform_iteratorI7is_evenIjESF_NSA_11use_defaultESK_EENS0_5tupleIJNSA_16discard_iteratorISK_EESO_EEENSM_IJSG_SG_EEES6_PlJS6_EEE10hipError_tPvRmT3_T4_T5_T6_T7_T9_mT8_P12ihipStream_tbDpT10_ENKUlT_T0_E_clISt17integral_constantIbLb1EES1A_IbLb0EEEEDaS16_S17_EUlS16_E_NS1_11comp_targetILNS1_3genE5ELNS1_11target_archE942ELNS1_3gpuE9ELNS1_3repE0EEENS1_30default_config_static_selectorELNS0_4arch9wavefront6targetE1EEEvT1_, .Lfunc_end2988-_ZN7rocprim17ROCPRIM_400000_NS6detail17trampoline_kernelINS0_14default_configENS1_25partition_config_selectorILNS1_17partition_subalgoE1EjNS0_10empty_typeEbEEZZNS1_14partition_implILS5_1ELb0ES3_jN6thrust23THRUST_200600_302600_NS6detail15normal_iteratorINSA_10device_ptrIjEEEEPS6_NSA_18transform_iteratorI7is_evenIjESF_NSA_11use_defaultESK_EENS0_5tupleIJNSA_16discard_iteratorISK_EESO_EEENSM_IJSG_SG_EEES6_PlJS6_EEE10hipError_tPvRmT3_T4_T5_T6_T7_T9_mT8_P12ihipStream_tbDpT10_ENKUlT_T0_E_clISt17integral_constantIbLb1EES1A_IbLb0EEEEDaS16_S17_EUlS16_E_NS1_11comp_targetILNS1_3genE5ELNS1_11target_archE942ELNS1_3gpuE9ELNS1_3repE0EEENS1_30default_config_static_selectorELNS0_4arch9wavefront6targetE1EEEvT1_
                                        ; -- End function
	.section	.AMDGPU.csdata,"",@progbits
; Kernel info:
; codeLenInByte = 5908
; NumSgprs: 42
; NumVgprs: 64
; NumAgprs: 0
; TotalNumVgprs: 64
; ScratchSize: 0
; MemoryBound: 0
; FloatMode: 240
; IeeeMode: 1
; LDSByteSize: 30728 bytes/workgroup (compile time only)
; SGPRBlocks: 5
; VGPRBlocks: 7
; NumSGPRsForWavesPerEU: 42
; NumVGPRsForWavesPerEU: 64
; AccumOffset: 64
; Occupancy: 4
; WaveLimiterHint : 1
; COMPUTE_PGM_RSRC2:SCRATCH_EN: 0
; COMPUTE_PGM_RSRC2:USER_SGPR: 2
; COMPUTE_PGM_RSRC2:TRAP_HANDLER: 0
; COMPUTE_PGM_RSRC2:TGID_X_EN: 1
; COMPUTE_PGM_RSRC2:TGID_Y_EN: 0
; COMPUTE_PGM_RSRC2:TGID_Z_EN: 0
; COMPUTE_PGM_RSRC2:TIDIG_COMP_CNT: 0
; COMPUTE_PGM_RSRC3_GFX90A:ACCUM_OFFSET: 15
; COMPUTE_PGM_RSRC3_GFX90A:TG_SPLIT: 0
	.section	.text._ZN7rocprim17ROCPRIM_400000_NS6detail17trampoline_kernelINS0_14default_configENS1_25partition_config_selectorILNS1_17partition_subalgoE1EjNS0_10empty_typeEbEEZZNS1_14partition_implILS5_1ELb0ES3_jN6thrust23THRUST_200600_302600_NS6detail15normal_iteratorINSA_10device_ptrIjEEEEPS6_NSA_18transform_iteratorI7is_evenIjESF_NSA_11use_defaultESK_EENS0_5tupleIJNSA_16discard_iteratorISK_EESO_EEENSM_IJSG_SG_EEES6_PlJS6_EEE10hipError_tPvRmT3_T4_T5_T6_T7_T9_mT8_P12ihipStream_tbDpT10_ENKUlT_T0_E_clISt17integral_constantIbLb1EES1A_IbLb0EEEEDaS16_S17_EUlS16_E_NS1_11comp_targetILNS1_3genE4ELNS1_11target_archE910ELNS1_3gpuE8ELNS1_3repE0EEENS1_30default_config_static_selectorELNS0_4arch9wavefront6targetE1EEEvT1_,"axG",@progbits,_ZN7rocprim17ROCPRIM_400000_NS6detail17trampoline_kernelINS0_14default_configENS1_25partition_config_selectorILNS1_17partition_subalgoE1EjNS0_10empty_typeEbEEZZNS1_14partition_implILS5_1ELb0ES3_jN6thrust23THRUST_200600_302600_NS6detail15normal_iteratorINSA_10device_ptrIjEEEEPS6_NSA_18transform_iteratorI7is_evenIjESF_NSA_11use_defaultESK_EENS0_5tupleIJNSA_16discard_iteratorISK_EESO_EEENSM_IJSG_SG_EEES6_PlJS6_EEE10hipError_tPvRmT3_T4_T5_T6_T7_T9_mT8_P12ihipStream_tbDpT10_ENKUlT_T0_E_clISt17integral_constantIbLb1EES1A_IbLb0EEEEDaS16_S17_EUlS16_E_NS1_11comp_targetILNS1_3genE4ELNS1_11target_archE910ELNS1_3gpuE8ELNS1_3repE0EEENS1_30default_config_static_selectorELNS0_4arch9wavefront6targetE1EEEvT1_,comdat
	.protected	_ZN7rocprim17ROCPRIM_400000_NS6detail17trampoline_kernelINS0_14default_configENS1_25partition_config_selectorILNS1_17partition_subalgoE1EjNS0_10empty_typeEbEEZZNS1_14partition_implILS5_1ELb0ES3_jN6thrust23THRUST_200600_302600_NS6detail15normal_iteratorINSA_10device_ptrIjEEEEPS6_NSA_18transform_iteratorI7is_evenIjESF_NSA_11use_defaultESK_EENS0_5tupleIJNSA_16discard_iteratorISK_EESO_EEENSM_IJSG_SG_EEES6_PlJS6_EEE10hipError_tPvRmT3_T4_T5_T6_T7_T9_mT8_P12ihipStream_tbDpT10_ENKUlT_T0_E_clISt17integral_constantIbLb1EES1A_IbLb0EEEEDaS16_S17_EUlS16_E_NS1_11comp_targetILNS1_3genE4ELNS1_11target_archE910ELNS1_3gpuE8ELNS1_3repE0EEENS1_30default_config_static_selectorELNS0_4arch9wavefront6targetE1EEEvT1_ ; -- Begin function _ZN7rocprim17ROCPRIM_400000_NS6detail17trampoline_kernelINS0_14default_configENS1_25partition_config_selectorILNS1_17partition_subalgoE1EjNS0_10empty_typeEbEEZZNS1_14partition_implILS5_1ELb0ES3_jN6thrust23THRUST_200600_302600_NS6detail15normal_iteratorINSA_10device_ptrIjEEEEPS6_NSA_18transform_iteratorI7is_evenIjESF_NSA_11use_defaultESK_EENS0_5tupleIJNSA_16discard_iteratorISK_EESO_EEENSM_IJSG_SG_EEES6_PlJS6_EEE10hipError_tPvRmT3_T4_T5_T6_T7_T9_mT8_P12ihipStream_tbDpT10_ENKUlT_T0_E_clISt17integral_constantIbLb1EES1A_IbLb0EEEEDaS16_S17_EUlS16_E_NS1_11comp_targetILNS1_3genE4ELNS1_11target_archE910ELNS1_3gpuE8ELNS1_3repE0EEENS1_30default_config_static_selectorELNS0_4arch9wavefront6targetE1EEEvT1_
	.globl	_ZN7rocprim17ROCPRIM_400000_NS6detail17trampoline_kernelINS0_14default_configENS1_25partition_config_selectorILNS1_17partition_subalgoE1EjNS0_10empty_typeEbEEZZNS1_14partition_implILS5_1ELb0ES3_jN6thrust23THRUST_200600_302600_NS6detail15normal_iteratorINSA_10device_ptrIjEEEEPS6_NSA_18transform_iteratorI7is_evenIjESF_NSA_11use_defaultESK_EENS0_5tupleIJNSA_16discard_iteratorISK_EESO_EEENSM_IJSG_SG_EEES6_PlJS6_EEE10hipError_tPvRmT3_T4_T5_T6_T7_T9_mT8_P12ihipStream_tbDpT10_ENKUlT_T0_E_clISt17integral_constantIbLb1EES1A_IbLb0EEEEDaS16_S17_EUlS16_E_NS1_11comp_targetILNS1_3genE4ELNS1_11target_archE910ELNS1_3gpuE8ELNS1_3repE0EEENS1_30default_config_static_selectorELNS0_4arch9wavefront6targetE1EEEvT1_
	.p2align	8
	.type	_ZN7rocprim17ROCPRIM_400000_NS6detail17trampoline_kernelINS0_14default_configENS1_25partition_config_selectorILNS1_17partition_subalgoE1EjNS0_10empty_typeEbEEZZNS1_14partition_implILS5_1ELb0ES3_jN6thrust23THRUST_200600_302600_NS6detail15normal_iteratorINSA_10device_ptrIjEEEEPS6_NSA_18transform_iteratorI7is_evenIjESF_NSA_11use_defaultESK_EENS0_5tupleIJNSA_16discard_iteratorISK_EESO_EEENSM_IJSG_SG_EEES6_PlJS6_EEE10hipError_tPvRmT3_T4_T5_T6_T7_T9_mT8_P12ihipStream_tbDpT10_ENKUlT_T0_E_clISt17integral_constantIbLb1EES1A_IbLb0EEEEDaS16_S17_EUlS16_E_NS1_11comp_targetILNS1_3genE4ELNS1_11target_archE910ELNS1_3gpuE8ELNS1_3repE0EEENS1_30default_config_static_selectorELNS0_4arch9wavefront6targetE1EEEvT1_,@function
_ZN7rocprim17ROCPRIM_400000_NS6detail17trampoline_kernelINS0_14default_configENS1_25partition_config_selectorILNS1_17partition_subalgoE1EjNS0_10empty_typeEbEEZZNS1_14partition_implILS5_1ELb0ES3_jN6thrust23THRUST_200600_302600_NS6detail15normal_iteratorINSA_10device_ptrIjEEEEPS6_NSA_18transform_iteratorI7is_evenIjESF_NSA_11use_defaultESK_EENS0_5tupleIJNSA_16discard_iteratorISK_EESO_EEENSM_IJSG_SG_EEES6_PlJS6_EEE10hipError_tPvRmT3_T4_T5_T6_T7_T9_mT8_P12ihipStream_tbDpT10_ENKUlT_T0_E_clISt17integral_constantIbLb1EES1A_IbLb0EEEEDaS16_S17_EUlS16_E_NS1_11comp_targetILNS1_3genE4ELNS1_11target_archE910ELNS1_3gpuE8ELNS1_3repE0EEENS1_30default_config_static_selectorELNS0_4arch9wavefront6targetE1EEEvT1_: ; @_ZN7rocprim17ROCPRIM_400000_NS6detail17trampoline_kernelINS0_14default_configENS1_25partition_config_selectorILNS1_17partition_subalgoE1EjNS0_10empty_typeEbEEZZNS1_14partition_implILS5_1ELb0ES3_jN6thrust23THRUST_200600_302600_NS6detail15normal_iteratorINSA_10device_ptrIjEEEEPS6_NSA_18transform_iteratorI7is_evenIjESF_NSA_11use_defaultESK_EENS0_5tupleIJNSA_16discard_iteratorISK_EESO_EEENSM_IJSG_SG_EEES6_PlJS6_EEE10hipError_tPvRmT3_T4_T5_T6_T7_T9_mT8_P12ihipStream_tbDpT10_ENKUlT_T0_E_clISt17integral_constantIbLb1EES1A_IbLb0EEEEDaS16_S17_EUlS16_E_NS1_11comp_targetILNS1_3genE4ELNS1_11target_archE910ELNS1_3gpuE8ELNS1_3repE0EEENS1_30default_config_static_selectorELNS0_4arch9wavefront6targetE1EEEvT1_
; %bb.0:
	.section	.rodata,"a",@progbits
	.p2align	6, 0x0
	.amdhsa_kernel _ZN7rocprim17ROCPRIM_400000_NS6detail17trampoline_kernelINS0_14default_configENS1_25partition_config_selectorILNS1_17partition_subalgoE1EjNS0_10empty_typeEbEEZZNS1_14partition_implILS5_1ELb0ES3_jN6thrust23THRUST_200600_302600_NS6detail15normal_iteratorINSA_10device_ptrIjEEEEPS6_NSA_18transform_iteratorI7is_evenIjESF_NSA_11use_defaultESK_EENS0_5tupleIJNSA_16discard_iteratorISK_EESO_EEENSM_IJSG_SG_EEES6_PlJS6_EEE10hipError_tPvRmT3_T4_T5_T6_T7_T9_mT8_P12ihipStream_tbDpT10_ENKUlT_T0_E_clISt17integral_constantIbLb1EES1A_IbLb0EEEEDaS16_S17_EUlS16_E_NS1_11comp_targetILNS1_3genE4ELNS1_11target_archE910ELNS1_3gpuE8ELNS1_3repE0EEENS1_30default_config_static_selectorELNS0_4arch9wavefront6targetE1EEEvT1_
		.amdhsa_group_segment_fixed_size 0
		.amdhsa_private_segment_fixed_size 0
		.amdhsa_kernarg_size 144
		.amdhsa_user_sgpr_count 2
		.amdhsa_user_sgpr_dispatch_ptr 0
		.amdhsa_user_sgpr_queue_ptr 0
		.amdhsa_user_sgpr_kernarg_segment_ptr 1
		.amdhsa_user_sgpr_dispatch_id 0
		.amdhsa_user_sgpr_kernarg_preload_length 0
		.amdhsa_user_sgpr_kernarg_preload_offset 0
		.amdhsa_user_sgpr_private_segment_size 0
		.amdhsa_uses_dynamic_stack 0
		.amdhsa_enable_private_segment 0
		.amdhsa_system_sgpr_workgroup_id_x 1
		.amdhsa_system_sgpr_workgroup_id_y 0
		.amdhsa_system_sgpr_workgroup_id_z 0
		.amdhsa_system_sgpr_workgroup_info 0
		.amdhsa_system_vgpr_workitem_id 0
		.amdhsa_next_free_vgpr 1
		.amdhsa_next_free_sgpr 0
		.amdhsa_accum_offset 4
		.amdhsa_reserve_vcc 0
		.amdhsa_float_round_mode_32 0
		.amdhsa_float_round_mode_16_64 0
		.amdhsa_float_denorm_mode_32 3
		.amdhsa_float_denorm_mode_16_64 3
		.amdhsa_dx10_clamp 1
		.amdhsa_ieee_mode 1
		.amdhsa_fp16_overflow 0
		.amdhsa_tg_split 0
		.amdhsa_exception_fp_ieee_invalid_op 0
		.amdhsa_exception_fp_denorm_src 0
		.amdhsa_exception_fp_ieee_div_zero 0
		.amdhsa_exception_fp_ieee_overflow 0
		.amdhsa_exception_fp_ieee_underflow 0
		.amdhsa_exception_fp_ieee_inexact 0
		.amdhsa_exception_int_div_zero 0
	.end_amdhsa_kernel
	.section	.text._ZN7rocprim17ROCPRIM_400000_NS6detail17trampoline_kernelINS0_14default_configENS1_25partition_config_selectorILNS1_17partition_subalgoE1EjNS0_10empty_typeEbEEZZNS1_14partition_implILS5_1ELb0ES3_jN6thrust23THRUST_200600_302600_NS6detail15normal_iteratorINSA_10device_ptrIjEEEEPS6_NSA_18transform_iteratorI7is_evenIjESF_NSA_11use_defaultESK_EENS0_5tupleIJNSA_16discard_iteratorISK_EESO_EEENSM_IJSG_SG_EEES6_PlJS6_EEE10hipError_tPvRmT3_T4_T5_T6_T7_T9_mT8_P12ihipStream_tbDpT10_ENKUlT_T0_E_clISt17integral_constantIbLb1EES1A_IbLb0EEEEDaS16_S17_EUlS16_E_NS1_11comp_targetILNS1_3genE4ELNS1_11target_archE910ELNS1_3gpuE8ELNS1_3repE0EEENS1_30default_config_static_selectorELNS0_4arch9wavefront6targetE1EEEvT1_,"axG",@progbits,_ZN7rocprim17ROCPRIM_400000_NS6detail17trampoline_kernelINS0_14default_configENS1_25partition_config_selectorILNS1_17partition_subalgoE1EjNS0_10empty_typeEbEEZZNS1_14partition_implILS5_1ELb0ES3_jN6thrust23THRUST_200600_302600_NS6detail15normal_iteratorINSA_10device_ptrIjEEEEPS6_NSA_18transform_iteratorI7is_evenIjESF_NSA_11use_defaultESK_EENS0_5tupleIJNSA_16discard_iteratorISK_EESO_EEENSM_IJSG_SG_EEES6_PlJS6_EEE10hipError_tPvRmT3_T4_T5_T6_T7_T9_mT8_P12ihipStream_tbDpT10_ENKUlT_T0_E_clISt17integral_constantIbLb1EES1A_IbLb0EEEEDaS16_S17_EUlS16_E_NS1_11comp_targetILNS1_3genE4ELNS1_11target_archE910ELNS1_3gpuE8ELNS1_3repE0EEENS1_30default_config_static_selectorELNS0_4arch9wavefront6targetE1EEEvT1_,comdat
.Lfunc_end2989:
	.size	_ZN7rocprim17ROCPRIM_400000_NS6detail17trampoline_kernelINS0_14default_configENS1_25partition_config_selectorILNS1_17partition_subalgoE1EjNS0_10empty_typeEbEEZZNS1_14partition_implILS5_1ELb0ES3_jN6thrust23THRUST_200600_302600_NS6detail15normal_iteratorINSA_10device_ptrIjEEEEPS6_NSA_18transform_iteratorI7is_evenIjESF_NSA_11use_defaultESK_EENS0_5tupleIJNSA_16discard_iteratorISK_EESO_EEENSM_IJSG_SG_EEES6_PlJS6_EEE10hipError_tPvRmT3_T4_T5_T6_T7_T9_mT8_P12ihipStream_tbDpT10_ENKUlT_T0_E_clISt17integral_constantIbLb1EES1A_IbLb0EEEEDaS16_S17_EUlS16_E_NS1_11comp_targetILNS1_3genE4ELNS1_11target_archE910ELNS1_3gpuE8ELNS1_3repE0EEENS1_30default_config_static_selectorELNS0_4arch9wavefront6targetE1EEEvT1_, .Lfunc_end2989-_ZN7rocprim17ROCPRIM_400000_NS6detail17trampoline_kernelINS0_14default_configENS1_25partition_config_selectorILNS1_17partition_subalgoE1EjNS0_10empty_typeEbEEZZNS1_14partition_implILS5_1ELb0ES3_jN6thrust23THRUST_200600_302600_NS6detail15normal_iteratorINSA_10device_ptrIjEEEEPS6_NSA_18transform_iteratorI7is_evenIjESF_NSA_11use_defaultESK_EENS0_5tupleIJNSA_16discard_iteratorISK_EESO_EEENSM_IJSG_SG_EEES6_PlJS6_EEE10hipError_tPvRmT3_T4_T5_T6_T7_T9_mT8_P12ihipStream_tbDpT10_ENKUlT_T0_E_clISt17integral_constantIbLb1EES1A_IbLb0EEEEDaS16_S17_EUlS16_E_NS1_11comp_targetILNS1_3genE4ELNS1_11target_archE910ELNS1_3gpuE8ELNS1_3repE0EEENS1_30default_config_static_selectorELNS0_4arch9wavefront6targetE1EEEvT1_
                                        ; -- End function
	.section	.AMDGPU.csdata,"",@progbits
; Kernel info:
; codeLenInByte = 0
; NumSgprs: 6
; NumVgprs: 0
; NumAgprs: 0
; TotalNumVgprs: 0
; ScratchSize: 0
; MemoryBound: 0
; FloatMode: 240
; IeeeMode: 1
; LDSByteSize: 0 bytes/workgroup (compile time only)
; SGPRBlocks: 0
; VGPRBlocks: 0
; NumSGPRsForWavesPerEU: 6
; NumVGPRsForWavesPerEU: 1
; AccumOffset: 4
; Occupancy: 8
; WaveLimiterHint : 0
; COMPUTE_PGM_RSRC2:SCRATCH_EN: 0
; COMPUTE_PGM_RSRC2:USER_SGPR: 2
; COMPUTE_PGM_RSRC2:TRAP_HANDLER: 0
; COMPUTE_PGM_RSRC2:TGID_X_EN: 1
; COMPUTE_PGM_RSRC2:TGID_Y_EN: 0
; COMPUTE_PGM_RSRC2:TGID_Z_EN: 0
; COMPUTE_PGM_RSRC2:TIDIG_COMP_CNT: 0
; COMPUTE_PGM_RSRC3_GFX90A:ACCUM_OFFSET: 0
; COMPUTE_PGM_RSRC3_GFX90A:TG_SPLIT: 0
	.section	.text._ZN7rocprim17ROCPRIM_400000_NS6detail17trampoline_kernelINS0_14default_configENS1_25partition_config_selectorILNS1_17partition_subalgoE1EjNS0_10empty_typeEbEEZZNS1_14partition_implILS5_1ELb0ES3_jN6thrust23THRUST_200600_302600_NS6detail15normal_iteratorINSA_10device_ptrIjEEEEPS6_NSA_18transform_iteratorI7is_evenIjESF_NSA_11use_defaultESK_EENS0_5tupleIJNSA_16discard_iteratorISK_EESO_EEENSM_IJSG_SG_EEES6_PlJS6_EEE10hipError_tPvRmT3_T4_T5_T6_T7_T9_mT8_P12ihipStream_tbDpT10_ENKUlT_T0_E_clISt17integral_constantIbLb1EES1A_IbLb0EEEEDaS16_S17_EUlS16_E_NS1_11comp_targetILNS1_3genE3ELNS1_11target_archE908ELNS1_3gpuE7ELNS1_3repE0EEENS1_30default_config_static_selectorELNS0_4arch9wavefront6targetE1EEEvT1_,"axG",@progbits,_ZN7rocprim17ROCPRIM_400000_NS6detail17trampoline_kernelINS0_14default_configENS1_25partition_config_selectorILNS1_17partition_subalgoE1EjNS0_10empty_typeEbEEZZNS1_14partition_implILS5_1ELb0ES3_jN6thrust23THRUST_200600_302600_NS6detail15normal_iteratorINSA_10device_ptrIjEEEEPS6_NSA_18transform_iteratorI7is_evenIjESF_NSA_11use_defaultESK_EENS0_5tupleIJNSA_16discard_iteratorISK_EESO_EEENSM_IJSG_SG_EEES6_PlJS6_EEE10hipError_tPvRmT3_T4_T5_T6_T7_T9_mT8_P12ihipStream_tbDpT10_ENKUlT_T0_E_clISt17integral_constantIbLb1EES1A_IbLb0EEEEDaS16_S17_EUlS16_E_NS1_11comp_targetILNS1_3genE3ELNS1_11target_archE908ELNS1_3gpuE7ELNS1_3repE0EEENS1_30default_config_static_selectorELNS0_4arch9wavefront6targetE1EEEvT1_,comdat
	.protected	_ZN7rocprim17ROCPRIM_400000_NS6detail17trampoline_kernelINS0_14default_configENS1_25partition_config_selectorILNS1_17partition_subalgoE1EjNS0_10empty_typeEbEEZZNS1_14partition_implILS5_1ELb0ES3_jN6thrust23THRUST_200600_302600_NS6detail15normal_iteratorINSA_10device_ptrIjEEEEPS6_NSA_18transform_iteratorI7is_evenIjESF_NSA_11use_defaultESK_EENS0_5tupleIJNSA_16discard_iteratorISK_EESO_EEENSM_IJSG_SG_EEES6_PlJS6_EEE10hipError_tPvRmT3_T4_T5_T6_T7_T9_mT8_P12ihipStream_tbDpT10_ENKUlT_T0_E_clISt17integral_constantIbLb1EES1A_IbLb0EEEEDaS16_S17_EUlS16_E_NS1_11comp_targetILNS1_3genE3ELNS1_11target_archE908ELNS1_3gpuE7ELNS1_3repE0EEENS1_30default_config_static_selectorELNS0_4arch9wavefront6targetE1EEEvT1_ ; -- Begin function _ZN7rocprim17ROCPRIM_400000_NS6detail17trampoline_kernelINS0_14default_configENS1_25partition_config_selectorILNS1_17partition_subalgoE1EjNS0_10empty_typeEbEEZZNS1_14partition_implILS5_1ELb0ES3_jN6thrust23THRUST_200600_302600_NS6detail15normal_iteratorINSA_10device_ptrIjEEEEPS6_NSA_18transform_iteratorI7is_evenIjESF_NSA_11use_defaultESK_EENS0_5tupleIJNSA_16discard_iteratorISK_EESO_EEENSM_IJSG_SG_EEES6_PlJS6_EEE10hipError_tPvRmT3_T4_T5_T6_T7_T9_mT8_P12ihipStream_tbDpT10_ENKUlT_T0_E_clISt17integral_constantIbLb1EES1A_IbLb0EEEEDaS16_S17_EUlS16_E_NS1_11comp_targetILNS1_3genE3ELNS1_11target_archE908ELNS1_3gpuE7ELNS1_3repE0EEENS1_30default_config_static_selectorELNS0_4arch9wavefront6targetE1EEEvT1_
	.globl	_ZN7rocprim17ROCPRIM_400000_NS6detail17trampoline_kernelINS0_14default_configENS1_25partition_config_selectorILNS1_17partition_subalgoE1EjNS0_10empty_typeEbEEZZNS1_14partition_implILS5_1ELb0ES3_jN6thrust23THRUST_200600_302600_NS6detail15normal_iteratorINSA_10device_ptrIjEEEEPS6_NSA_18transform_iteratorI7is_evenIjESF_NSA_11use_defaultESK_EENS0_5tupleIJNSA_16discard_iteratorISK_EESO_EEENSM_IJSG_SG_EEES6_PlJS6_EEE10hipError_tPvRmT3_T4_T5_T6_T7_T9_mT8_P12ihipStream_tbDpT10_ENKUlT_T0_E_clISt17integral_constantIbLb1EES1A_IbLb0EEEEDaS16_S17_EUlS16_E_NS1_11comp_targetILNS1_3genE3ELNS1_11target_archE908ELNS1_3gpuE7ELNS1_3repE0EEENS1_30default_config_static_selectorELNS0_4arch9wavefront6targetE1EEEvT1_
	.p2align	8
	.type	_ZN7rocprim17ROCPRIM_400000_NS6detail17trampoline_kernelINS0_14default_configENS1_25partition_config_selectorILNS1_17partition_subalgoE1EjNS0_10empty_typeEbEEZZNS1_14partition_implILS5_1ELb0ES3_jN6thrust23THRUST_200600_302600_NS6detail15normal_iteratorINSA_10device_ptrIjEEEEPS6_NSA_18transform_iteratorI7is_evenIjESF_NSA_11use_defaultESK_EENS0_5tupleIJNSA_16discard_iteratorISK_EESO_EEENSM_IJSG_SG_EEES6_PlJS6_EEE10hipError_tPvRmT3_T4_T5_T6_T7_T9_mT8_P12ihipStream_tbDpT10_ENKUlT_T0_E_clISt17integral_constantIbLb1EES1A_IbLb0EEEEDaS16_S17_EUlS16_E_NS1_11comp_targetILNS1_3genE3ELNS1_11target_archE908ELNS1_3gpuE7ELNS1_3repE0EEENS1_30default_config_static_selectorELNS0_4arch9wavefront6targetE1EEEvT1_,@function
_ZN7rocprim17ROCPRIM_400000_NS6detail17trampoline_kernelINS0_14default_configENS1_25partition_config_selectorILNS1_17partition_subalgoE1EjNS0_10empty_typeEbEEZZNS1_14partition_implILS5_1ELb0ES3_jN6thrust23THRUST_200600_302600_NS6detail15normal_iteratorINSA_10device_ptrIjEEEEPS6_NSA_18transform_iteratorI7is_evenIjESF_NSA_11use_defaultESK_EENS0_5tupleIJNSA_16discard_iteratorISK_EESO_EEENSM_IJSG_SG_EEES6_PlJS6_EEE10hipError_tPvRmT3_T4_T5_T6_T7_T9_mT8_P12ihipStream_tbDpT10_ENKUlT_T0_E_clISt17integral_constantIbLb1EES1A_IbLb0EEEEDaS16_S17_EUlS16_E_NS1_11comp_targetILNS1_3genE3ELNS1_11target_archE908ELNS1_3gpuE7ELNS1_3repE0EEENS1_30default_config_static_selectorELNS0_4arch9wavefront6targetE1EEEvT1_: ; @_ZN7rocprim17ROCPRIM_400000_NS6detail17trampoline_kernelINS0_14default_configENS1_25partition_config_selectorILNS1_17partition_subalgoE1EjNS0_10empty_typeEbEEZZNS1_14partition_implILS5_1ELb0ES3_jN6thrust23THRUST_200600_302600_NS6detail15normal_iteratorINSA_10device_ptrIjEEEEPS6_NSA_18transform_iteratorI7is_evenIjESF_NSA_11use_defaultESK_EENS0_5tupleIJNSA_16discard_iteratorISK_EESO_EEENSM_IJSG_SG_EEES6_PlJS6_EEE10hipError_tPvRmT3_T4_T5_T6_T7_T9_mT8_P12ihipStream_tbDpT10_ENKUlT_T0_E_clISt17integral_constantIbLb1EES1A_IbLb0EEEEDaS16_S17_EUlS16_E_NS1_11comp_targetILNS1_3genE3ELNS1_11target_archE908ELNS1_3gpuE7ELNS1_3repE0EEENS1_30default_config_static_selectorELNS0_4arch9wavefront6targetE1EEEvT1_
; %bb.0:
	.section	.rodata,"a",@progbits
	.p2align	6, 0x0
	.amdhsa_kernel _ZN7rocprim17ROCPRIM_400000_NS6detail17trampoline_kernelINS0_14default_configENS1_25partition_config_selectorILNS1_17partition_subalgoE1EjNS0_10empty_typeEbEEZZNS1_14partition_implILS5_1ELb0ES3_jN6thrust23THRUST_200600_302600_NS6detail15normal_iteratorINSA_10device_ptrIjEEEEPS6_NSA_18transform_iteratorI7is_evenIjESF_NSA_11use_defaultESK_EENS0_5tupleIJNSA_16discard_iteratorISK_EESO_EEENSM_IJSG_SG_EEES6_PlJS6_EEE10hipError_tPvRmT3_T4_T5_T6_T7_T9_mT8_P12ihipStream_tbDpT10_ENKUlT_T0_E_clISt17integral_constantIbLb1EES1A_IbLb0EEEEDaS16_S17_EUlS16_E_NS1_11comp_targetILNS1_3genE3ELNS1_11target_archE908ELNS1_3gpuE7ELNS1_3repE0EEENS1_30default_config_static_selectorELNS0_4arch9wavefront6targetE1EEEvT1_
		.amdhsa_group_segment_fixed_size 0
		.amdhsa_private_segment_fixed_size 0
		.amdhsa_kernarg_size 144
		.amdhsa_user_sgpr_count 2
		.amdhsa_user_sgpr_dispatch_ptr 0
		.amdhsa_user_sgpr_queue_ptr 0
		.amdhsa_user_sgpr_kernarg_segment_ptr 1
		.amdhsa_user_sgpr_dispatch_id 0
		.amdhsa_user_sgpr_kernarg_preload_length 0
		.amdhsa_user_sgpr_kernarg_preload_offset 0
		.amdhsa_user_sgpr_private_segment_size 0
		.amdhsa_uses_dynamic_stack 0
		.amdhsa_enable_private_segment 0
		.amdhsa_system_sgpr_workgroup_id_x 1
		.amdhsa_system_sgpr_workgroup_id_y 0
		.amdhsa_system_sgpr_workgroup_id_z 0
		.amdhsa_system_sgpr_workgroup_info 0
		.amdhsa_system_vgpr_workitem_id 0
		.amdhsa_next_free_vgpr 1
		.amdhsa_next_free_sgpr 0
		.amdhsa_accum_offset 4
		.amdhsa_reserve_vcc 0
		.amdhsa_float_round_mode_32 0
		.amdhsa_float_round_mode_16_64 0
		.amdhsa_float_denorm_mode_32 3
		.amdhsa_float_denorm_mode_16_64 3
		.amdhsa_dx10_clamp 1
		.amdhsa_ieee_mode 1
		.amdhsa_fp16_overflow 0
		.amdhsa_tg_split 0
		.amdhsa_exception_fp_ieee_invalid_op 0
		.amdhsa_exception_fp_denorm_src 0
		.amdhsa_exception_fp_ieee_div_zero 0
		.amdhsa_exception_fp_ieee_overflow 0
		.amdhsa_exception_fp_ieee_underflow 0
		.amdhsa_exception_fp_ieee_inexact 0
		.amdhsa_exception_int_div_zero 0
	.end_amdhsa_kernel
	.section	.text._ZN7rocprim17ROCPRIM_400000_NS6detail17trampoline_kernelINS0_14default_configENS1_25partition_config_selectorILNS1_17partition_subalgoE1EjNS0_10empty_typeEbEEZZNS1_14partition_implILS5_1ELb0ES3_jN6thrust23THRUST_200600_302600_NS6detail15normal_iteratorINSA_10device_ptrIjEEEEPS6_NSA_18transform_iteratorI7is_evenIjESF_NSA_11use_defaultESK_EENS0_5tupleIJNSA_16discard_iteratorISK_EESO_EEENSM_IJSG_SG_EEES6_PlJS6_EEE10hipError_tPvRmT3_T4_T5_T6_T7_T9_mT8_P12ihipStream_tbDpT10_ENKUlT_T0_E_clISt17integral_constantIbLb1EES1A_IbLb0EEEEDaS16_S17_EUlS16_E_NS1_11comp_targetILNS1_3genE3ELNS1_11target_archE908ELNS1_3gpuE7ELNS1_3repE0EEENS1_30default_config_static_selectorELNS0_4arch9wavefront6targetE1EEEvT1_,"axG",@progbits,_ZN7rocprim17ROCPRIM_400000_NS6detail17trampoline_kernelINS0_14default_configENS1_25partition_config_selectorILNS1_17partition_subalgoE1EjNS0_10empty_typeEbEEZZNS1_14partition_implILS5_1ELb0ES3_jN6thrust23THRUST_200600_302600_NS6detail15normal_iteratorINSA_10device_ptrIjEEEEPS6_NSA_18transform_iteratorI7is_evenIjESF_NSA_11use_defaultESK_EENS0_5tupleIJNSA_16discard_iteratorISK_EESO_EEENSM_IJSG_SG_EEES6_PlJS6_EEE10hipError_tPvRmT3_T4_T5_T6_T7_T9_mT8_P12ihipStream_tbDpT10_ENKUlT_T0_E_clISt17integral_constantIbLb1EES1A_IbLb0EEEEDaS16_S17_EUlS16_E_NS1_11comp_targetILNS1_3genE3ELNS1_11target_archE908ELNS1_3gpuE7ELNS1_3repE0EEENS1_30default_config_static_selectorELNS0_4arch9wavefront6targetE1EEEvT1_,comdat
.Lfunc_end2990:
	.size	_ZN7rocprim17ROCPRIM_400000_NS6detail17trampoline_kernelINS0_14default_configENS1_25partition_config_selectorILNS1_17partition_subalgoE1EjNS0_10empty_typeEbEEZZNS1_14partition_implILS5_1ELb0ES3_jN6thrust23THRUST_200600_302600_NS6detail15normal_iteratorINSA_10device_ptrIjEEEEPS6_NSA_18transform_iteratorI7is_evenIjESF_NSA_11use_defaultESK_EENS0_5tupleIJNSA_16discard_iteratorISK_EESO_EEENSM_IJSG_SG_EEES6_PlJS6_EEE10hipError_tPvRmT3_T4_T5_T6_T7_T9_mT8_P12ihipStream_tbDpT10_ENKUlT_T0_E_clISt17integral_constantIbLb1EES1A_IbLb0EEEEDaS16_S17_EUlS16_E_NS1_11comp_targetILNS1_3genE3ELNS1_11target_archE908ELNS1_3gpuE7ELNS1_3repE0EEENS1_30default_config_static_selectorELNS0_4arch9wavefront6targetE1EEEvT1_, .Lfunc_end2990-_ZN7rocprim17ROCPRIM_400000_NS6detail17trampoline_kernelINS0_14default_configENS1_25partition_config_selectorILNS1_17partition_subalgoE1EjNS0_10empty_typeEbEEZZNS1_14partition_implILS5_1ELb0ES3_jN6thrust23THRUST_200600_302600_NS6detail15normal_iteratorINSA_10device_ptrIjEEEEPS6_NSA_18transform_iteratorI7is_evenIjESF_NSA_11use_defaultESK_EENS0_5tupleIJNSA_16discard_iteratorISK_EESO_EEENSM_IJSG_SG_EEES6_PlJS6_EEE10hipError_tPvRmT3_T4_T5_T6_T7_T9_mT8_P12ihipStream_tbDpT10_ENKUlT_T0_E_clISt17integral_constantIbLb1EES1A_IbLb0EEEEDaS16_S17_EUlS16_E_NS1_11comp_targetILNS1_3genE3ELNS1_11target_archE908ELNS1_3gpuE7ELNS1_3repE0EEENS1_30default_config_static_selectorELNS0_4arch9wavefront6targetE1EEEvT1_
                                        ; -- End function
	.section	.AMDGPU.csdata,"",@progbits
; Kernel info:
; codeLenInByte = 0
; NumSgprs: 6
; NumVgprs: 0
; NumAgprs: 0
; TotalNumVgprs: 0
; ScratchSize: 0
; MemoryBound: 0
; FloatMode: 240
; IeeeMode: 1
; LDSByteSize: 0 bytes/workgroup (compile time only)
; SGPRBlocks: 0
; VGPRBlocks: 0
; NumSGPRsForWavesPerEU: 6
; NumVGPRsForWavesPerEU: 1
; AccumOffset: 4
; Occupancy: 8
; WaveLimiterHint : 0
; COMPUTE_PGM_RSRC2:SCRATCH_EN: 0
; COMPUTE_PGM_RSRC2:USER_SGPR: 2
; COMPUTE_PGM_RSRC2:TRAP_HANDLER: 0
; COMPUTE_PGM_RSRC2:TGID_X_EN: 1
; COMPUTE_PGM_RSRC2:TGID_Y_EN: 0
; COMPUTE_PGM_RSRC2:TGID_Z_EN: 0
; COMPUTE_PGM_RSRC2:TIDIG_COMP_CNT: 0
; COMPUTE_PGM_RSRC3_GFX90A:ACCUM_OFFSET: 0
; COMPUTE_PGM_RSRC3_GFX90A:TG_SPLIT: 0
	.section	.text._ZN7rocprim17ROCPRIM_400000_NS6detail17trampoline_kernelINS0_14default_configENS1_25partition_config_selectorILNS1_17partition_subalgoE1EjNS0_10empty_typeEbEEZZNS1_14partition_implILS5_1ELb0ES3_jN6thrust23THRUST_200600_302600_NS6detail15normal_iteratorINSA_10device_ptrIjEEEEPS6_NSA_18transform_iteratorI7is_evenIjESF_NSA_11use_defaultESK_EENS0_5tupleIJNSA_16discard_iteratorISK_EESO_EEENSM_IJSG_SG_EEES6_PlJS6_EEE10hipError_tPvRmT3_T4_T5_T6_T7_T9_mT8_P12ihipStream_tbDpT10_ENKUlT_T0_E_clISt17integral_constantIbLb1EES1A_IbLb0EEEEDaS16_S17_EUlS16_E_NS1_11comp_targetILNS1_3genE2ELNS1_11target_archE906ELNS1_3gpuE6ELNS1_3repE0EEENS1_30default_config_static_selectorELNS0_4arch9wavefront6targetE1EEEvT1_,"axG",@progbits,_ZN7rocprim17ROCPRIM_400000_NS6detail17trampoline_kernelINS0_14default_configENS1_25partition_config_selectorILNS1_17partition_subalgoE1EjNS0_10empty_typeEbEEZZNS1_14partition_implILS5_1ELb0ES3_jN6thrust23THRUST_200600_302600_NS6detail15normal_iteratorINSA_10device_ptrIjEEEEPS6_NSA_18transform_iteratorI7is_evenIjESF_NSA_11use_defaultESK_EENS0_5tupleIJNSA_16discard_iteratorISK_EESO_EEENSM_IJSG_SG_EEES6_PlJS6_EEE10hipError_tPvRmT3_T4_T5_T6_T7_T9_mT8_P12ihipStream_tbDpT10_ENKUlT_T0_E_clISt17integral_constantIbLb1EES1A_IbLb0EEEEDaS16_S17_EUlS16_E_NS1_11comp_targetILNS1_3genE2ELNS1_11target_archE906ELNS1_3gpuE6ELNS1_3repE0EEENS1_30default_config_static_selectorELNS0_4arch9wavefront6targetE1EEEvT1_,comdat
	.protected	_ZN7rocprim17ROCPRIM_400000_NS6detail17trampoline_kernelINS0_14default_configENS1_25partition_config_selectorILNS1_17partition_subalgoE1EjNS0_10empty_typeEbEEZZNS1_14partition_implILS5_1ELb0ES3_jN6thrust23THRUST_200600_302600_NS6detail15normal_iteratorINSA_10device_ptrIjEEEEPS6_NSA_18transform_iteratorI7is_evenIjESF_NSA_11use_defaultESK_EENS0_5tupleIJNSA_16discard_iteratorISK_EESO_EEENSM_IJSG_SG_EEES6_PlJS6_EEE10hipError_tPvRmT3_T4_T5_T6_T7_T9_mT8_P12ihipStream_tbDpT10_ENKUlT_T0_E_clISt17integral_constantIbLb1EES1A_IbLb0EEEEDaS16_S17_EUlS16_E_NS1_11comp_targetILNS1_3genE2ELNS1_11target_archE906ELNS1_3gpuE6ELNS1_3repE0EEENS1_30default_config_static_selectorELNS0_4arch9wavefront6targetE1EEEvT1_ ; -- Begin function _ZN7rocprim17ROCPRIM_400000_NS6detail17trampoline_kernelINS0_14default_configENS1_25partition_config_selectorILNS1_17partition_subalgoE1EjNS0_10empty_typeEbEEZZNS1_14partition_implILS5_1ELb0ES3_jN6thrust23THRUST_200600_302600_NS6detail15normal_iteratorINSA_10device_ptrIjEEEEPS6_NSA_18transform_iteratorI7is_evenIjESF_NSA_11use_defaultESK_EENS0_5tupleIJNSA_16discard_iteratorISK_EESO_EEENSM_IJSG_SG_EEES6_PlJS6_EEE10hipError_tPvRmT3_T4_T5_T6_T7_T9_mT8_P12ihipStream_tbDpT10_ENKUlT_T0_E_clISt17integral_constantIbLb1EES1A_IbLb0EEEEDaS16_S17_EUlS16_E_NS1_11comp_targetILNS1_3genE2ELNS1_11target_archE906ELNS1_3gpuE6ELNS1_3repE0EEENS1_30default_config_static_selectorELNS0_4arch9wavefront6targetE1EEEvT1_
	.globl	_ZN7rocprim17ROCPRIM_400000_NS6detail17trampoline_kernelINS0_14default_configENS1_25partition_config_selectorILNS1_17partition_subalgoE1EjNS0_10empty_typeEbEEZZNS1_14partition_implILS5_1ELb0ES3_jN6thrust23THRUST_200600_302600_NS6detail15normal_iteratorINSA_10device_ptrIjEEEEPS6_NSA_18transform_iteratorI7is_evenIjESF_NSA_11use_defaultESK_EENS0_5tupleIJNSA_16discard_iteratorISK_EESO_EEENSM_IJSG_SG_EEES6_PlJS6_EEE10hipError_tPvRmT3_T4_T5_T6_T7_T9_mT8_P12ihipStream_tbDpT10_ENKUlT_T0_E_clISt17integral_constantIbLb1EES1A_IbLb0EEEEDaS16_S17_EUlS16_E_NS1_11comp_targetILNS1_3genE2ELNS1_11target_archE906ELNS1_3gpuE6ELNS1_3repE0EEENS1_30default_config_static_selectorELNS0_4arch9wavefront6targetE1EEEvT1_
	.p2align	8
	.type	_ZN7rocprim17ROCPRIM_400000_NS6detail17trampoline_kernelINS0_14default_configENS1_25partition_config_selectorILNS1_17partition_subalgoE1EjNS0_10empty_typeEbEEZZNS1_14partition_implILS5_1ELb0ES3_jN6thrust23THRUST_200600_302600_NS6detail15normal_iteratorINSA_10device_ptrIjEEEEPS6_NSA_18transform_iteratorI7is_evenIjESF_NSA_11use_defaultESK_EENS0_5tupleIJNSA_16discard_iteratorISK_EESO_EEENSM_IJSG_SG_EEES6_PlJS6_EEE10hipError_tPvRmT3_T4_T5_T6_T7_T9_mT8_P12ihipStream_tbDpT10_ENKUlT_T0_E_clISt17integral_constantIbLb1EES1A_IbLb0EEEEDaS16_S17_EUlS16_E_NS1_11comp_targetILNS1_3genE2ELNS1_11target_archE906ELNS1_3gpuE6ELNS1_3repE0EEENS1_30default_config_static_selectorELNS0_4arch9wavefront6targetE1EEEvT1_,@function
_ZN7rocprim17ROCPRIM_400000_NS6detail17trampoline_kernelINS0_14default_configENS1_25partition_config_selectorILNS1_17partition_subalgoE1EjNS0_10empty_typeEbEEZZNS1_14partition_implILS5_1ELb0ES3_jN6thrust23THRUST_200600_302600_NS6detail15normal_iteratorINSA_10device_ptrIjEEEEPS6_NSA_18transform_iteratorI7is_evenIjESF_NSA_11use_defaultESK_EENS0_5tupleIJNSA_16discard_iteratorISK_EESO_EEENSM_IJSG_SG_EEES6_PlJS6_EEE10hipError_tPvRmT3_T4_T5_T6_T7_T9_mT8_P12ihipStream_tbDpT10_ENKUlT_T0_E_clISt17integral_constantIbLb1EES1A_IbLb0EEEEDaS16_S17_EUlS16_E_NS1_11comp_targetILNS1_3genE2ELNS1_11target_archE906ELNS1_3gpuE6ELNS1_3repE0EEENS1_30default_config_static_selectorELNS0_4arch9wavefront6targetE1EEEvT1_: ; @_ZN7rocprim17ROCPRIM_400000_NS6detail17trampoline_kernelINS0_14default_configENS1_25partition_config_selectorILNS1_17partition_subalgoE1EjNS0_10empty_typeEbEEZZNS1_14partition_implILS5_1ELb0ES3_jN6thrust23THRUST_200600_302600_NS6detail15normal_iteratorINSA_10device_ptrIjEEEEPS6_NSA_18transform_iteratorI7is_evenIjESF_NSA_11use_defaultESK_EENS0_5tupleIJNSA_16discard_iteratorISK_EESO_EEENSM_IJSG_SG_EEES6_PlJS6_EEE10hipError_tPvRmT3_T4_T5_T6_T7_T9_mT8_P12ihipStream_tbDpT10_ENKUlT_T0_E_clISt17integral_constantIbLb1EES1A_IbLb0EEEEDaS16_S17_EUlS16_E_NS1_11comp_targetILNS1_3genE2ELNS1_11target_archE906ELNS1_3gpuE6ELNS1_3repE0EEENS1_30default_config_static_selectorELNS0_4arch9wavefront6targetE1EEEvT1_
; %bb.0:
	.section	.rodata,"a",@progbits
	.p2align	6, 0x0
	.amdhsa_kernel _ZN7rocprim17ROCPRIM_400000_NS6detail17trampoline_kernelINS0_14default_configENS1_25partition_config_selectorILNS1_17partition_subalgoE1EjNS0_10empty_typeEbEEZZNS1_14partition_implILS5_1ELb0ES3_jN6thrust23THRUST_200600_302600_NS6detail15normal_iteratorINSA_10device_ptrIjEEEEPS6_NSA_18transform_iteratorI7is_evenIjESF_NSA_11use_defaultESK_EENS0_5tupleIJNSA_16discard_iteratorISK_EESO_EEENSM_IJSG_SG_EEES6_PlJS6_EEE10hipError_tPvRmT3_T4_T5_T6_T7_T9_mT8_P12ihipStream_tbDpT10_ENKUlT_T0_E_clISt17integral_constantIbLb1EES1A_IbLb0EEEEDaS16_S17_EUlS16_E_NS1_11comp_targetILNS1_3genE2ELNS1_11target_archE906ELNS1_3gpuE6ELNS1_3repE0EEENS1_30default_config_static_selectorELNS0_4arch9wavefront6targetE1EEEvT1_
		.amdhsa_group_segment_fixed_size 0
		.amdhsa_private_segment_fixed_size 0
		.amdhsa_kernarg_size 144
		.amdhsa_user_sgpr_count 2
		.amdhsa_user_sgpr_dispatch_ptr 0
		.amdhsa_user_sgpr_queue_ptr 0
		.amdhsa_user_sgpr_kernarg_segment_ptr 1
		.amdhsa_user_sgpr_dispatch_id 0
		.amdhsa_user_sgpr_kernarg_preload_length 0
		.amdhsa_user_sgpr_kernarg_preload_offset 0
		.amdhsa_user_sgpr_private_segment_size 0
		.amdhsa_uses_dynamic_stack 0
		.amdhsa_enable_private_segment 0
		.amdhsa_system_sgpr_workgroup_id_x 1
		.amdhsa_system_sgpr_workgroup_id_y 0
		.amdhsa_system_sgpr_workgroup_id_z 0
		.amdhsa_system_sgpr_workgroup_info 0
		.amdhsa_system_vgpr_workitem_id 0
		.amdhsa_next_free_vgpr 1
		.amdhsa_next_free_sgpr 0
		.amdhsa_accum_offset 4
		.amdhsa_reserve_vcc 0
		.amdhsa_float_round_mode_32 0
		.amdhsa_float_round_mode_16_64 0
		.amdhsa_float_denorm_mode_32 3
		.amdhsa_float_denorm_mode_16_64 3
		.amdhsa_dx10_clamp 1
		.amdhsa_ieee_mode 1
		.amdhsa_fp16_overflow 0
		.amdhsa_tg_split 0
		.amdhsa_exception_fp_ieee_invalid_op 0
		.amdhsa_exception_fp_denorm_src 0
		.amdhsa_exception_fp_ieee_div_zero 0
		.amdhsa_exception_fp_ieee_overflow 0
		.amdhsa_exception_fp_ieee_underflow 0
		.amdhsa_exception_fp_ieee_inexact 0
		.amdhsa_exception_int_div_zero 0
	.end_amdhsa_kernel
	.section	.text._ZN7rocprim17ROCPRIM_400000_NS6detail17trampoline_kernelINS0_14default_configENS1_25partition_config_selectorILNS1_17partition_subalgoE1EjNS0_10empty_typeEbEEZZNS1_14partition_implILS5_1ELb0ES3_jN6thrust23THRUST_200600_302600_NS6detail15normal_iteratorINSA_10device_ptrIjEEEEPS6_NSA_18transform_iteratorI7is_evenIjESF_NSA_11use_defaultESK_EENS0_5tupleIJNSA_16discard_iteratorISK_EESO_EEENSM_IJSG_SG_EEES6_PlJS6_EEE10hipError_tPvRmT3_T4_T5_T6_T7_T9_mT8_P12ihipStream_tbDpT10_ENKUlT_T0_E_clISt17integral_constantIbLb1EES1A_IbLb0EEEEDaS16_S17_EUlS16_E_NS1_11comp_targetILNS1_3genE2ELNS1_11target_archE906ELNS1_3gpuE6ELNS1_3repE0EEENS1_30default_config_static_selectorELNS0_4arch9wavefront6targetE1EEEvT1_,"axG",@progbits,_ZN7rocprim17ROCPRIM_400000_NS6detail17trampoline_kernelINS0_14default_configENS1_25partition_config_selectorILNS1_17partition_subalgoE1EjNS0_10empty_typeEbEEZZNS1_14partition_implILS5_1ELb0ES3_jN6thrust23THRUST_200600_302600_NS6detail15normal_iteratorINSA_10device_ptrIjEEEEPS6_NSA_18transform_iteratorI7is_evenIjESF_NSA_11use_defaultESK_EENS0_5tupleIJNSA_16discard_iteratorISK_EESO_EEENSM_IJSG_SG_EEES6_PlJS6_EEE10hipError_tPvRmT3_T4_T5_T6_T7_T9_mT8_P12ihipStream_tbDpT10_ENKUlT_T0_E_clISt17integral_constantIbLb1EES1A_IbLb0EEEEDaS16_S17_EUlS16_E_NS1_11comp_targetILNS1_3genE2ELNS1_11target_archE906ELNS1_3gpuE6ELNS1_3repE0EEENS1_30default_config_static_selectorELNS0_4arch9wavefront6targetE1EEEvT1_,comdat
.Lfunc_end2991:
	.size	_ZN7rocprim17ROCPRIM_400000_NS6detail17trampoline_kernelINS0_14default_configENS1_25partition_config_selectorILNS1_17partition_subalgoE1EjNS0_10empty_typeEbEEZZNS1_14partition_implILS5_1ELb0ES3_jN6thrust23THRUST_200600_302600_NS6detail15normal_iteratorINSA_10device_ptrIjEEEEPS6_NSA_18transform_iteratorI7is_evenIjESF_NSA_11use_defaultESK_EENS0_5tupleIJNSA_16discard_iteratorISK_EESO_EEENSM_IJSG_SG_EEES6_PlJS6_EEE10hipError_tPvRmT3_T4_T5_T6_T7_T9_mT8_P12ihipStream_tbDpT10_ENKUlT_T0_E_clISt17integral_constantIbLb1EES1A_IbLb0EEEEDaS16_S17_EUlS16_E_NS1_11comp_targetILNS1_3genE2ELNS1_11target_archE906ELNS1_3gpuE6ELNS1_3repE0EEENS1_30default_config_static_selectorELNS0_4arch9wavefront6targetE1EEEvT1_, .Lfunc_end2991-_ZN7rocprim17ROCPRIM_400000_NS6detail17trampoline_kernelINS0_14default_configENS1_25partition_config_selectorILNS1_17partition_subalgoE1EjNS0_10empty_typeEbEEZZNS1_14partition_implILS5_1ELb0ES3_jN6thrust23THRUST_200600_302600_NS6detail15normal_iteratorINSA_10device_ptrIjEEEEPS6_NSA_18transform_iteratorI7is_evenIjESF_NSA_11use_defaultESK_EENS0_5tupleIJNSA_16discard_iteratorISK_EESO_EEENSM_IJSG_SG_EEES6_PlJS6_EEE10hipError_tPvRmT3_T4_T5_T6_T7_T9_mT8_P12ihipStream_tbDpT10_ENKUlT_T0_E_clISt17integral_constantIbLb1EES1A_IbLb0EEEEDaS16_S17_EUlS16_E_NS1_11comp_targetILNS1_3genE2ELNS1_11target_archE906ELNS1_3gpuE6ELNS1_3repE0EEENS1_30default_config_static_selectorELNS0_4arch9wavefront6targetE1EEEvT1_
                                        ; -- End function
	.section	.AMDGPU.csdata,"",@progbits
; Kernel info:
; codeLenInByte = 0
; NumSgprs: 6
; NumVgprs: 0
; NumAgprs: 0
; TotalNumVgprs: 0
; ScratchSize: 0
; MemoryBound: 0
; FloatMode: 240
; IeeeMode: 1
; LDSByteSize: 0 bytes/workgroup (compile time only)
; SGPRBlocks: 0
; VGPRBlocks: 0
; NumSGPRsForWavesPerEU: 6
; NumVGPRsForWavesPerEU: 1
; AccumOffset: 4
; Occupancy: 8
; WaveLimiterHint : 0
; COMPUTE_PGM_RSRC2:SCRATCH_EN: 0
; COMPUTE_PGM_RSRC2:USER_SGPR: 2
; COMPUTE_PGM_RSRC2:TRAP_HANDLER: 0
; COMPUTE_PGM_RSRC2:TGID_X_EN: 1
; COMPUTE_PGM_RSRC2:TGID_Y_EN: 0
; COMPUTE_PGM_RSRC2:TGID_Z_EN: 0
; COMPUTE_PGM_RSRC2:TIDIG_COMP_CNT: 0
; COMPUTE_PGM_RSRC3_GFX90A:ACCUM_OFFSET: 0
; COMPUTE_PGM_RSRC3_GFX90A:TG_SPLIT: 0
	.section	.text._ZN7rocprim17ROCPRIM_400000_NS6detail17trampoline_kernelINS0_14default_configENS1_25partition_config_selectorILNS1_17partition_subalgoE1EjNS0_10empty_typeEbEEZZNS1_14partition_implILS5_1ELb0ES3_jN6thrust23THRUST_200600_302600_NS6detail15normal_iteratorINSA_10device_ptrIjEEEEPS6_NSA_18transform_iteratorI7is_evenIjESF_NSA_11use_defaultESK_EENS0_5tupleIJNSA_16discard_iteratorISK_EESO_EEENSM_IJSG_SG_EEES6_PlJS6_EEE10hipError_tPvRmT3_T4_T5_T6_T7_T9_mT8_P12ihipStream_tbDpT10_ENKUlT_T0_E_clISt17integral_constantIbLb1EES1A_IbLb0EEEEDaS16_S17_EUlS16_E_NS1_11comp_targetILNS1_3genE10ELNS1_11target_archE1200ELNS1_3gpuE4ELNS1_3repE0EEENS1_30default_config_static_selectorELNS0_4arch9wavefront6targetE1EEEvT1_,"axG",@progbits,_ZN7rocprim17ROCPRIM_400000_NS6detail17trampoline_kernelINS0_14default_configENS1_25partition_config_selectorILNS1_17partition_subalgoE1EjNS0_10empty_typeEbEEZZNS1_14partition_implILS5_1ELb0ES3_jN6thrust23THRUST_200600_302600_NS6detail15normal_iteratorINSA_10device_ptrIjEEEEPS6_NSA_18transform_iteratorI7is_evenIjESF_NSA_11use_defaultESK_EENS0_5tupleIJNSA_16discard_iteratorISK_EESO_EEENSM_IJSG_SG_EEES6_PlJS6_EEE10hipError_tPvRmT3_T4_T5_T6_T7_T9_mT8_P12ihipStream_tbDpT10_ENKUlT_T0_E_clISt17integral_constantIbLb1EES1A_IbLb0EEEEDaS16_S17_EUlS16_E_NS1_11comp_targetILNS1_3genE10ELNS1_11target_archE1200ELNS1_3gpuE4ELNS1_3repE0EEENS1_30default_config_static_selectorELNS0_4arch9wavefront6targetE1EEEvT1_,comdat
	.protected	_ZN7rocprim17ROCPRIM_400000_NS6detail17trampoline_kernelINS0_14default_configENS1_25partition_config_selectorILNS1_17partition_subalgoE1EjNS0_10empty_typeEbEEZZNS1_14partition_implILS5_1ELb0ES3_jN6thrust23THRUST_200600_302600_NS6detail15normal_iteratorINSA_10device_ptrIjEEEEPS6_NSA_18transform_iteratorI7is_evenIjESF_NSA_11use_defaultESK_EENS0_5tupleIJNSA_16discard_iteratorISK_EESO_EEENSM_IJSG_SG_EEES6_PlJS6_EEE10hipError_tPvRmT3_T4_T5_T6_T7_T9_mT8_P12ihipStream_tbDpT10_ENKUlT_T0_E_clISt17integral_constantIbLb1EES1A_IbLb0EEEEDaS16_S17_EUlS16_E_NS1_11comp_targetILNS1_3genE10ELNS1_11target_archE1200ELNS1_3gpuE4ELNS1_3repE0EEENS1_30default_config_static_selectorELNS0_4arch9wavefront6targetE1EEEvT1_ ; -- Begin function _ZN7rocprim17ROCPRIM_400000_NS6detail17trampoline_kernelINS0_14default_configENS1_25partition_config_selectorILNS1_17partition_subalgoE1EjNS0_10empty_typeEbEEZZNS1_14partition_implILS5_1ELb0ES3_jN6thrust23THRUST_200600_302600_NS6detail15normal_iteratorINSA_10device_ptrIjEEEEPS6_NSA_18transform_iteratorI7is_evenIjESF_NSA_11use_defaultESK_EENS0_5tupleIJNSA_16discard_iteratorISK_EESO_EEENSM_IJSG_SG_EEES6_PlJS6_EEE10hipError_tPvRmT3_T4_T5_T6_T7_T9_mT8_P12ihipStream_tbDpT10_ENKUlT_T0_E_clISt17integral_constantIbLb1EES1A_IbLb0EEEEDaS16_S17_EUlS16_E_NS1_11comp_targetILNS1_3genE10ELNS1_11target_archE1200ELNS1_3gpuE4ELNS1_3repE0EEENS1_30default_config_static_selectorELNS0_4arch9wavefront6targetE1EEEvT1_
	.globl	_ZN7rocprim17ROCPRIM_400000_NS6detail17trampoline_kernelINS0_14default_configENS1_25partition_config_selectorILNS1_17partition_subalgoE1EjNS0_10empty_typeEbEEZZNS1_14partition_implILS5_1ELb0ES3_jN6thrust23THRUST_200600_302600_NS6detail15normal_iteratorINSA_10device_ptrIjEEEEPS6_NSA_18transform_iteratorI7is_evenIjESF_NSA_11use_defaultESK_EENS0_5tupleIJNSA_16discard_iteratorISK_EESO_EEENSM_IJSG_SG_EEES6_PlJS6_EEE10hipError_tPvRmT3_T4_T5_T6_T7_T9_mT8_P12ihipStream_tbDpT10_ENKUlT_T0_E_clISt17integral_constantIbLb1EES1A_IbLb0EEEEDaS16_S17_EUlS16_E_NS1_11comp_targetILNS1_3genE10ELNS1_11target_archE1200ELNS1_3gpuE4ELNS1_3repE0EEENS1_30default_config_static_selectorELNS0_4arch9wavefront6targetE1EEEvT1_
	.p2align	8
	.type	_ZN7rocprim17ROCPRIM_400000_NS6detail17trampoline_kernelINS0_14default_configENS1_25partition_config_selectorILNS1_17partition_subalgoE1EjNS0_10empty_typeEbEEZZNS1_14partition_implILS5_1ELb0ES3_jN6thrust23THRUST_200600_302600_NS6detail15normal_iteratorINSA_10device_ptrIjEEEEPS6_NSA_18transform_iteratorI7is_evenIjESF_NSA_11use_defaultESK_EENS0_5tupleIJNSA_16discard_iteratorISK_EESO_EEENSM_IJSG_SG_EEES6_PlJS6_EEE10hipError_tPvRmT3_T4_T5_T6_T7_T9_mT8_P12ihipStream_tbDpT10_ENKUlT_T0_E_clISt17integral_constantIbLb1EES1A_IbLb0EEEEDaS16_S17_EUlS16_E_NS1_11comp_targetILNS1_3genE10ELNS1_11target_archE1200ELNS1_3gpuE4ELNS1_3repE0EEENS1_30default_config_static_selectorELNS0_4arch9wavefront6targetE1EEEvT1_,@function
_ZN7rocprim17ROCPRIM_400000_NS6detail17trampoline_kernelINS0_14default_configENS1_25partition_config_selectorILNS1_17partition_subalgoE1EjNS0_10empty_typeEbEEZZNS1_14partition_implILS5_1ELb0ES3_jN6thrust23THRUST_200600_302600_NS6detail15normal_iteratorINSA_10device_ptrIjEEEEPS6_NSA_18transform_iteratorI7is_evenIjESF_NSA_11use_defaultESK_EENS0_5tupleIJNSA_16discard_iteratorISK_EESO_EEENSM_IJSG_SG_EEES6_PlJS6_EEE10hipError_tPvRmT3_T4_T5_T6_T7_T9_mT8_P12ihipStream_tbDpT10_ENKUlT_T0_E_clISt17integral_constantIbLb1EES1A_IbLb0EEEEDaS16_S17_EUlS16_E_NS1_11comp_targetILNS1_3genE10ELNS1_11target_archE1200ELNS1_3gpuE4ELNS1_3repE0EEENS1_30default_config_static_selectorELNS0_4arch9wavefront6targetE1EEEvT1_: ; @_ZN7rocprim17ROCPRIM_400000_NS6detail17trampoline_kernelINS0_14default_configENS1_25partition_config_selectorILNS1_17partition_subalgoE1EjNS0_10empty_typeEbEEZZNS1_14partition_implILS5_1ELb0ES3_jN6thrust23THRUST_200600_302600_NS6detail15normal_iteratorINSA_10device_ptrIjEEEEPS6_NSA_18transform_iteratorI7is_evenIjESF_NSA_11use_defaultESK_EENS0_5tupleIJNSA_16discard_iteratorISK_EESO_EEENSM_IJSG_SG_EEES6_PlJS6_EEE10hipError_tPvRmT3_T4_T5_T6_T7_T9_mT8_P12ihipStream_tbDpT10_ENKUlT_T0_E_clISt17integral_constantIbLb1EES1A_IbLb0EEEEDaS16_S17_EUlS16_E_NS1_11comp_targetILNS1_3genE10ELNS1_11target_archE1200ELNS1_3gpuE4ELNS1_3repE0EEENS1_30default_config_static_selectorELNS0_4arch9wavefront6targetE1EEEvT1_
; %bb.0:
	.section	.rodata,"a",@progbits
	.p2align	6, 0x0
	.amdhsa_kernel _ZN7rocprim17ROCPRIM_400000_NS6detail17trampoline_kernelINS0_14default_configENS1_25partition_config_selectorILNS1_17partition_subalgoE1EjNS0_10empty_typeEbEEZZNS1_14partition_implILS5_1ELb0ES3_jN6thrust23THRUST_200600_302600_NS6detail15normal_iteratorINSA_10device_ptrIjEEEEPS6_NSA_18transform_iteratorI7is_evenIjESF_NSA_11use_defaultESK_EENS0_5tupleIJNSA_16discard_iteratorISK_EESO_EEENSM_IJSG_SG_EEES6_PlJS6_EEE10hipError_tPvRmT3_T4_T5_T6_T7_T9_mT8_P12ihipStream_tbDpT10_ENKUlT_T0_E_clISt17integral_constantIbLb1EES1A_IbLb0EEEEDaS16_S17_EUlS16_E_NS1_11comp_targetILNS1_3genE10ELNS1_11target_archE1200ELNS1_3gpuE4ELNS1_3repE0EEENS1_30default_config_static_selectorELNS0_4arch9wavefront6targetE1EEEvT1_
		.amdhsa_group_segment_fixed_size 0
		.amdhsa_private_segment_fixed_size 0
		.amdhsa_kernarg_size 144
		.amdhsa_user_sgpr_count 2
		.amdhsa_user_sgpr_dispatch_ptr 0
		.amdhsa_user_sgpr_queue_ptr 0
		.amdhsa_user_sgpr_kernarg_segment_ptr 1
		.amdhsa_user_sgpr_dispatch_id 0
		.amdhsa_user_sgpr_kernarg_preload_length 0
		.amdhsa_user_sgpr_kernarg_preload_offset 0
		.amdhsa_user_sgpr_private_segment_size 0
		.amdhsa_uses_dynamic_stack 0
		.amdhsa_enable_private_segment 0
		.amdhsa_system_sgpr_workgroup_id_x 1
		.amdhsa_system_sgpr_workgroup_id_y 0
		.amdhsa_system_sgpr_workgroup_id_z 0
		.amdhsa_system_sgpr_workgroup_info 0
		.amdhsa_system_vgpr_workitem_id 0
		.amdhsa_next_free_vgpr 1
		.amdhsa_next_free_sgpr 0
		.amdhsa_accum_offset 4
		.amdhsa_reserve_vcc 0
		.amdhsa_float_round_mode_32 0
		.amdhsa_float_round_mode_16_64 0
		.amdhsa_float_denorm_mode_32 3
		.amdhsa_float_denorm_mode_16_64 3
		.amdhsa_dx10_clamp 1
		.amdhsa_ieee_mode 1
		.amdhsa_fp16_overflow 0
		.amdhsa_tg_split 0
		.amdhsa_exception_fp_ieee_invalid_op 0
		.amdhsa_exception_fp_denorm_src 0
		.amdhsa_exception_fp_ieee_div_zero 0
		.amdhsa_exception_fp_ieee_overflow 0
		.amdhsa_exception_fp_ieee_underflow 0
		.amdhsa_exception_fp_ieee_inexact 0
		.amdhsa_exception_int_div_zero 0
	.end_amdhsa_kernel
	.section	.text._ZN7rocprim17ROCPRIM_400000_NS6detail17trampoline_kernelINS0_14default_configENS1_25partition_config_selectorILNS1_17partition_subalgoE1EjNS0_10empty_typeEbEEZZNS1_14partition_implILS5_1ELb0ES3_jN6thrust23THRUST_200600_302600_NS6detail15normal_iteratorINSA_10device_ptrIjEEEEPS6_NSA_18transform_iteratorI7is_evenIjESF_NSA_11use_defaultESK_EENS0_5tupleIJNSA_16discard_iteratorISK_EESO_EEENSM_IJSG_SG_EEES6_PlJS6_EEE10hipError_tPvRmT3_T4_T5_T6_T7_T9_mT8_P12ihipStream_tbDpT10_ENKUlT_T0_E_clISt17integral_constantIbLb1EES1A_IbLb0EEEEDaS16_S17_EUlS16_E_NS1_11comp_targetILNS1_3genE10ELNS1_11target_archE1200ELNS1_3gpuE4ELNS1_3repE0EEENS1_30default_config_static_selectorELNS0_4arch9wavefront6targetE1EEEvT1_,"axG",@progbits,_ZN7rocprim17ROCPRIM_400000_NS6detail17trampoline_kernelINS0_14default_configENS1_25partition_config_selectorILNS1_17partition_subalgoE1EjNS0_10empty_typeEbEEZZNS1_14partition_implILS5_1ELb0ES3_jN6thrust23THRUST_200600_302600_NS6detail15normal_iteratorINSA_10device_ptrIjEEEEPS6_NSA_18transform_iteratorI7is_evenIjESF_NSA_11use_defaultESK_EENS0_5tupleIJNSA_16discard_iteratorISK_EESO_EEENSM_IJSG_SG_EEES6_PlJS6_EEE10hipError_tPvRmT3_T4_T5_T6_T7_T9_mT8_P12ihipStream_tbDpT10_ENKUlT_T0_E_clISt17integral_constantIbLb1EES1A_IbLb0EEEEDaS16_S17_EUlS16_E_NS1_11comp_targetILNS1_3genE10ELNS1_11target_archE1200ELNS1_3gpuE4ELNS1_3repE0EEENS1_30default_config_static_selectorELNS0_4arch9wavefront6targetE1EEEvT1_,comdat
.Lfunc_end2992:
	.size	_ZN7rocprim17ROCPRIM_400000_NS6detail17trampoline_kernelINS0_14default_configENS1_25partition_config_selectorILNS1_17partition_subalgoE1EjNS0_10empty_typeEbEEZZNS1_14partition_implILS5_1ELb0ES3_jN6thrust23THRUST_200600_302600_NS6detail15normal_iteratorINSA_10device_ptrIjEEEEPS6_NSA_18transform_iteratorI7is_evenIjESF_NSA_11use_defaultESK_EENS0_5tupleIJNSA_16discard_iteratorISK_EESO_EEENSM_IJSG_SG_EEES6_PlJS6_EEE10hipError_tPvRmT3_T4_T5_T6_T7_T9_mT8_P12ihipStream_tbDpT10_ENKUlT_T0_E_clISt17integral_constantIbLb1EES1A_IbLb0EEEEDaS16_S17_EUlS16_E_NS1_11comp_targetILNS1_3genE10ELNS1_11target_archE1200ELNS1_3gpuE4ELNS1_3repE0EEENS1_30default_config_static_selectorELNS0_4arch9wavefront6targetE1EEEvT1_, .Lfunc_end2992-_ZN7rocprim17ROCPRIM_400000_NS6detail17trampoline_kernelINS0_14default_configENS1_25partition_config_selectorILNS1_17partition_subalgoE1EjNS0_10empty_typeEbEEZZNS1_14partition_implILS5_1ELb0ES3_jN6thrust23THRUST_200600_302600_NS6detail15normal_iteratorINSA_10device_ptrIjEEEEPS6_NSA_18transform_iteratorI7is_evenIjESF_NSA_11use_defaultESK_EENS0_5tupleIJNSA_16discard_iteratorISK_EESO_EEENSM_IJSG_SG_EEES6_PlJS6_EEE10hipError_tPvRmT3_T4_T5_T6_T7_T9_mT8_P12ihipStream_tbDpT10_ENKUlT_T0_E_clISt17integral_constantIbLb1EES1A_IbLb0EEEEDaS16_S17_EUlS16_E_NS1_11comp_targetILNS1_3genE10ELNS1_11target_archE1200ELNS1_3gpuE4ELNS1_3repE0EEENS1_30default_config_static_selectorELNS0_4arch9wavefront6targetE1EEEvT1_
                                        ; -- End function
	.section	.AMDGPU.csdata,"",@progbits
; Kernel info:
; codeLenInByte = 0
; NumSgprs: 6
; NumVgprs: 0
; NumAgprs: 0
; TotalNumVgprs: 0
; ScratchSize: 0
; MemoryBound: 0
; FloatMode: 240
; IeeeMode: 1
; LDSByteSize: 0 bytes/workgroup (compile time only)
; SGPRBlocks: 0
; VGPRBlocks: 0
; NumSGPRsForWavesPerEU: 6
; NumVGPRsForWavesPerEU: 1
; AccumOffset: 4
; Occupancy: 8
; WaveLimiterHint : 0
; COMPUTE_PGM_RSRC2:SCRATCH_EN: 0
; COMPUTE_PGM_RSRC2:USER_SGPR: 2
; COMPUTE_PGM_RSRC2:TRAP_HANDLER: 0
; COMPUTE_PGM_RSRC2:TGID_X_EN: 1
; COMPUTE_PGM_RSRC2:TGID_Y_EN: 0
; COMPUTE_PGM_RSRC2:TGID_Z_EN: 0
; COMPUTE_PGM_RSRC2:TIDIG_COMP_CNT: 0
; COMPUTE_PGM_RSRC3_GFX90A:ACCUM_OFFSET: 0
; COMPUTE_PGM_RSRC3_GFX90A:TG_SPLIT: 0
	.section	.text._ZN7rocprim17ROCPRIM_400000_NS6detail17trampoline_kernelINS0_14default_configENS1_25partition_config_selectorILNS1_17partition_subalgoE1EjNS0_10empty_typeEbEEZZNS1_14partition_implILS5_1ELb0ES3_jN6thrust23THRUST_200600_302600_NS6detail15normal_iteratorINSA_10device_ptrIjEEEEPS6_NSA_18transform_iteratorI7is_evenIjESF_NSA_11use_defaultESK_EENS0_5tupleIJNSA_16discard_iteratorISK_EESO_EEENSM_IJSG_SG_EEES6_PlJS6_EEE10hipError_tPvRmT3_T4_T5_T6_T7_T9_mT8_P12ihipStream_tbDpT10_ENKUlT_T0_E_clISt17integral_constantIbLb1EES1A_IbLb0EEEEDaS16_S17_EUlS16_E_NS1_11comp_targetILNS1_3genE9ELNS1_11target_archE1100ELNS1_3gpuE3ELNS1_3repE0EEENS1_30default_config_static_selectorELNS0_4arch9wavefront6targetE1EEEvT1_,"axG",@progbits,_ZN7rocprim17ROCPRIM_400000_NS6detail17trampoline_kernelINS0_14default_configENS1_25partition_config_selectorILNS1_17partition_subalgoE1EjNS0_10empty_typeEbEEZZNS1_14partition_implILS5_1ELb0ES3_jN6thrust23THRUST_200600_302600_NS6detail15normal_iteratorINSA_10device_ptrIjEEEEPS6_NSA_18transform_iteratorI7is_evenIjESF_NSA_11use_defaultESK_EENS0_5tupleIJNSA_16discard_iteratorISK_EESO_EEENSM_IJSG_SG_EEES6_PlJS6_EEE10hipError_tPvRmT3_T4_T5_T6_T7_T9_mT8_P12ihipStream_tbDpT10_ENKUlT_T0_E_clISt17integral_constantIbLb1EES1A_IbLb0EEEEDaS16_S17_EUlS16_E_NS1_11comp_targetILNS1_3genE9ELNS1_11target_archE1100ELNS1_3gpuE3ELNS1_3repE0EEENS1_30default_config_static_selectorELNS0_4arch9wavefront6targetE1EEEvT1_,comdat
	.protected	_ZN7rocprim17ROCPRIM_400000_NS6detail17trampoline_kernelINS0_14default_configENS1_25partition_config_selectorILNS1_17partition_subalgoE1EjNS0_10empty_typeEbEEZZNS1_14partition_implILS5_1ELb0ES3_jN6thrust23THRUST_200600_302600_NS6detail15normal_iteratorINSA_10device_ptrIjEEEEPS6_NSA_18transform_iteratorI7is_evenIjESF_NSA_11use_defaultESK_EENS0_5tupleIJNSA_16discard_iteratorISK_EESO_EEENSM_IJSG_SG_EEES6_PlJS6_EEE10hipError_tPvRmT3_T4_T5_T6_T7_T9_mT8_P12ihipStream_tbDpT10_ENKUlT_T0_E_clISt17integral_constantIbLb1EES1A_IbLb0EEEEDaS16_S17_EUlS16_E_NS1_11comp_targetILNS1_3genE9ELNS1_11target_archE1100ELNS1_3gpuE3ELNS1_3repE0EEENS1_30default_config_static_selectorELNS0_4arch9wavefront6targetE1EEEvT1_ ; -- Begin function _ZN7rocprim17ROCPRIM_400000_NS6detail17trampoline_kernelINS0_14default_configENS1_25partition_config_selectorILNS1_17partition_subalgoE1EjNS0_10empty_typeEbEEZZNS1_14partition_implILS5_1ELb0ES3_jN6thrust23THRUST_200600_302600_NS6detail15normal_iteratorINSA_10device_ptrIjEEEEPS6_NSA_18transform_iteratorI7is_evenIjESF_NSA_11use_defaultESK_EENS0_5tupleIJNSA_16discard_iteratorISK_EESO_EEENSM_IJSG_SG_EEES6_PlJS6_EEE10hipError_tPvRmT3_T4_T5_T6_T7_T9_mT8_P12ihipStream_tbDpT10_ENKUlT_T0_E_clISt17integral_constantIbLb1EES1A_IbLb0EEEEDaS16_S17_EUlS16_E_NS1_11comp_targetILNS1_3genE9ELNS1_11target_archE1100ELNS1_3gpuE3ELNS1_3repE0EEENS1_30default_config_static_selectorELNS0_4arch9wavefront6targetE1EEEvT1_
	.globl	_ZN7rocprim17ROCPRIM_400000_NS6detail17trampoline_kernelINS0_14default_configENS1_25partition_config_selectorILNS1_17partition_subalgoE1EjNS0_10empty_typeEbEEZZNS1_14partition_implILS5_1ELb0ES3_jN6thrust23THRUST_200600_302600_NS6detail15normal_iteratorINSA_10device_ptrIjEEEEPS6_NSA_18transform_iteratorI7is_evenIjESF_NSA_11use_defaultESK_EENS0_5tupleIJNSA_16discard_iteratorISK_EESO_EEENSM_IJSG_SG_EEES6_PlJS6_EEE10hipError_tPvRmT3_T4_T5_T6_T7_T9_mT8_P12ihipStream_tbDpT10_ENKUlT_T0_E_clISt17integral_constantIbLb1EES1A_IbLb0EEEEDaS16_S17_EUlS16_E_NS1_11comp_targetILNS1_3genE9ELNS1_11target_archE1100ELNS1_3gpuE3ELNS1_3repE0EEENS1_30default_config_static_selectorELNS0_4arch9wavefront6targetE1EEEvT1_
	.p2align	8
	.type	_ZN7rocprim17ROCPRIM_400000_NS6detail17trampoline_kernelINS0_14default_configENS1_25partition_config_selectorILNS1_17partition_subalgoE1EjNS0_10empty_typeEbEEZZNS1_14partition_implILS5_1ELb0ES3_jN6thrust23THRUST_200600_302600_NS6detail15normal_iteratorINSA_10device_ptrIjEEEEPS6_NSA_18transform_iteratorI7is_evenIjESF_NSA_11use_defaultESK_EENS0_5tupleIJNSA_16discard_iteratorISK_EESO_EEENSM_IJSG_SG_EEES6_PlJS6_EEE10hipError_tPvRmT3_T4_T5_T6_T7_T9_mT8_P12ihipStream_tbDpT10_ENKUlT_T0_E_clISt17integral_constantIbLb1EES1A_IbLb0EEEEDaS16_S17_EUlS16_E_NS1_11comp_targetILNS1_3genE9ELNS1_11target_archE1100ELNS1_3gpuE3ELNS1_3repE0EEENS1_30default_config_static_selectorELNS0_4arch9wavefront6targetE1EEEvT1_,@function
_ZN7rocprim17ROCPRIM_400000_NS6detail17trampoline_kernelINS0_14default_configENS1_25partition_config_selectorILNS1_17partition_subalgoE1EjNS0_10empty_typeEbEEZZNS1_14partition_implILS5_1ELb0ES3_jN6thrust23THRUST_200600_302600_NS6detail15normal_iteratorINSA_10device_ptrIjEEEEPS6_NSA_18transform_iteratorI7is_evenIjESF_NSA_11use_defaultESK_EENS0_5tupleIJNSA_16discard_iteratorISK_EESO_EEENSM_IJSG_SG_EEES6_PlJS6_EEE10hipError_tPvRmT3_T4_T5_T6_T7_T9_mT8_P12ihipStream_tbDpT10_ENKUlT_T0_E_clISt17integral_constantIbLb1EES1A_IbLb0EEEEDaS16_S17_EUlS16_E_NS1_11comp_targetILNS1_3genE9ELNS1_11target_archE1100ELNS1_3gpuE3ELNS1_3repE0EEENS1_30default_config_static_selectorELNS0_4arch9wavefront6targetE1EEEvT1_: ; @_ZN7rocprim17ROCPRIM_400000_NS6detail17trampoline_kernelINS0_14default_configENS1_25partition_config_selectorILNS1_17partition_subalgoE1EjNS0_10empty_typeEbEEZZNS1_14partition_implILS5_1ELb0ES3_jN6thrust23THRUST_200600_302600_NS6detail15normal_iteratorINSA_10device_ptrIjEEEEPS6_NSA_18transform_iteratorI7is_evenIjESF_NSA_11use_defaultESK_EENS0_5tupleIJNSA_16discard_iteratorISK_EESO_EEENSM_IJSG_SG_EEES6_PlJS6_EEE10hipError_tPvRmT3_T4_T5_T6_T7_T9_mT8_P12ihipStream_tbDpT10_ENKUlT_T0_E_clISt17integral_constantIbLb1EES1A_IbLb0EEEEDaS16_S17_EUlS16_E_NS1_11comp_targetILNS1_3genE9ELNS1_11target_archE1100ELNS1_3gpuE3ELNS1_3repE0EEENS1_30default_config_static_selectorELNS0_4arch9wavefront6targetE1EEEvT1_
; %bb.0:
	.section	.rodata,"a",@progbits
	.p2align	6, 0x0
	.amdhsa_kernel _ZN7rocprim17ROCPRIM_400000_NS6detail17trampoline_kernelINS0_14default_configENS1_25partition_config_selectorILNS1_17partition_subalgoE1EjNS0_10empty_typeEbEEZZNS1_14partition_implILS5_1ELb0ES3_jN6thrust23THRUST_200600_302600_NS6detail15normal_iteratorINSA_10device_ptrIjEEEEPS6_NSA_18transform_iteratorI7is_evenIjESF_NSA_11use_defaultESK_EENS0_5tupleIJNSA_16discard_iteratorISK_EESO_EEENSM_IJSG_SG_EEES6_PlJS6_EEE10hipError_tPvRmT3_T4_T5_T6_T7_T9_mT8_P12ihipStream_tbDpT10_ENKUlT_T0_E_clISt17integral_constantIbLb1EES1A_IbLb0EEEEDaS16_S17_EUlS16_E_NS1_11comp_targetILNS1_3genE9ELNS1_11target_archE1100ELNS1_3gpuE3ELNS1_3repE0EEENS1_30default_config_static_selectorELNS0_4arch9wavefront6targetE1EEEvT1_
		.amdhsa_group_segment_fixed_size 0
		.amdhsa_private_segment_fixed_size 0
		.amdhsa_kernarg_size 144
		.amdhsa_user_sgpr_count 2
		.amdhsa_user_sgpr_dispatch_ptr 0
		.amdhsa_user_sgpr_queue_ptr 0
		.amdhsa_user_sgpr_kernarg_segment_ptr 1
		.amdhsa_user_sgpr_dispatch_id 0
		.amdhsa_user_sgpr_kernarg_preload_length 0
		.amdhsa_user_sgpr_kernarg_preload_offset 0
		.amdhsa_user_sgpr_private_segment_size 0
		.amdhsa_uses_dynamic_stack 0
		.amdhsa_enable_private_segment 0
		.amdhsa_system_sgpr_workgroup_id_x 1
		.amdhsa_system_sgpr_workgroup_id_y 0
		.amdhsa_system_sgpr_workgroup_id_z 0
		.amdhsa_system_sgpr_workgroup_info 0
		.amdhsa_system_vgpr_workitem_id 0
		.amdhsa_next_free_vgpr 1
		.amdhsa_next_free_sgpr 0
		.amdhsa_accum_offset 4
		.amdhsa_reserve_vcc 0
		.amdhsa_float_round_mode_32 0
		.amdhsa_float_round_mode_16_64 0
		.amdhsa_float_denorm_mode_32 3
		.amdhsa_float_denorm_mode_16_64 3
		.amdhsa_dx10_clamp 1
		.amdhsa_ieee_mode 1
		.amdhsa_fp16_overflow 0
		.amdhsa_tg_split 0
		.amdhsa_exception_fp_ieee_invalid_op 0
		.amdhsa_exception_fp_denorm_src 0
		.amdhsa_exception_fp_ieee_div_zero 0
		.amdhsa_exception_fp_ieee_overflow 0
		.amdhsa_exception_fp_ieee_underflow 0
		.amdhsa_exception_fp_ieee_inexact 0
		.amdhsa_exception_int_div_zero 0
	.end_amdhsa_kernel
	.section	.text._ZN7rocprim17ROCPRIM_400000_NS6detail17trampoline_kernelINS0_14default_configENS1_25partition_config_selectorILNS1_17partition_subalgoE1EjNS0_10empty_typeEbEEZZNS1_14partition_implILS5_1ELb0ES3_jN6thrust23THRUST_200600_302600_NS6detail15normal_iteratorINSA_10device_ptrIjEEEEPS6_NSA_18transform_iteratorI7is_evenIjESF_NSA_11use_defaultESK_EENS0_5tupleIJNSA_16discard_iteratorISK_EESO_EEENSM_IJSG_SG_EEES6_PlJS6_EEE10hipError_tPvRmT3_T4_T5_T6_T7_T9_mT8_P12ihipStream_tbDpT10_ENKUlT_T0_E_clISt17integral_constantIbLb1EES1A_IbLb0EEEEDaS16_S17_EUlS16_E_NS1_11comp_targetILNS1_3genE9ELNS1_11target_archE1100ELNS1_3gpuE3ELNS1_3repE0EEENS1_30default_config_static_selectorELNS0_4arch9wavefront6targetE1EEEvT1_,"axG",@progbits,_ZN7rocprim17ROCPRIM_400000_NS6detail17trampoline_kernelINS0_14default_configENS1_25partition_config_selectorILNS1_17partition_subalgoE1EjNS0_10empty_typeEbEEZZNS1_14partition_implILS5_1ELb0ES3_jN6thrust23THRUST_200600_302600_NS6detail15normal_iteratorINSA_10device_ptrIjEEEEPS6_NSA_18transform_iteratorI7is_evenIjESF_NSA_11use_defaultESK_EENS0_5tupleIJNSA_16discard_iteratorISK_EESO_EEENSM_IJSG_SG_EEES6_PlJS6_EEE10hipError_tPvRmT3_T4_T5_T6_T7_T9_mT8_P12ihipStream_tbDpT10_ENKUlT_T0_E_clISt17integral_constantIbLb1EES1A_IbLb0EEEEDaS16_S17_EUlS16_E_NS1_11comp_targetILNS1_3genE9ELNS1_11target_archE1100ELNS1_3gpuE3ELNS1_3repE0EEENS1_30default_config_static_selectorELNS0_4arch9wavefront6targetE1EEEvT1_,comdat
.Lfunc_end2993:
	.size	_ZN7rocprim17ROCPRIM_400000_NS6detail17trampoline_kernelINS0_14default_configENS1_25partition_config_selectorILNS1_17partition_subalgoE1EjNS0_10empty_typeEbEEZZNS1_14partition_implILS5_1ELb0ES3_jN6thrust23THRUST_200600_302600_NS6detail15normal_iteratorINSA_10device_ptrIjEEEEPS6_NSA_18transform_iteratorI7is_evenIjESF_NSA_11use_defaultESK_EENS0_5tupleIJNSA_16discard_iteratorISK_EESO_EEENSM_IJSG_SG_EEES6_PlJS6_EEE10hipError_tPvRmT3_T4_T5_T6_T7_T9_mT8_P12ihipStream_tbDpT10_ENKUlT_T0_E_clISt17integral_constantIbLb1EES1A_IbLb0EEEEDaS16_S17_EUlS16_E_NS1_11comp_targetILNS1_3genE9ELNS1_11target_archE1100ELNS1_3gpuE3ELNS1_3repE0EEENS1_30default_config_static_selectorELNS0_4arch9wavefront6targetE1EEEvT1_, .Lfunc_end2993-_ZN7rocprim17ROCPRIM_400000_NS6detail17trampoline_kernelINS0_14default_configENS1_25partition_config_selectorILNS1_17partition_subalgoE1EjNS0_10empty_typeEbEEZZNS1_14partition_implILS5_1ELb0ES3_jN6thrust23THRUST_200600_302600_NS6detail15normal_iteratorINSA_10device_ptrIjEEEEPS6_NSA_18transform_iteratorI7is_evenIjESF_NSA_11use_defaultESK_EENS0_5tupleIJNSA_16discard_iteratorISK_EESO_EEENSM_IJSG_SG_EEES6_PlJS6_EEE10hipError_tPvRmT3_T4_T5_T6_T7_T9_mT8_P12ihipStream_tbDpT10_ENKUlT_T0_E_clISt17integral_constantIbLb1EES1A_IbLb0EEEEDaS16_S17_EUlS16_E_NS1_11comp_targetILNS1_3genE9ELNS1_11target_archE1100ELNS1_3gpuE3ELNS1_3repE0EEENS1_30default_config_static_selectorELNS0_4arch9wavefront6targetE1EEEvT1_
                                        ; -- End function
	.section	.AMDGPU.csdata,"",@progbits
; Kernel info:
; codeLenInByte = 0
; NumSgprs: 6
; NumVgprs: 0
; NumAgprs: 0
; TotalNumVgprs: 0
; ScratchSize: 0
; MemoryBound: 0
; FloatMode: 240
; IeeeMode: 1
; LDSByteSize: 0 bytes/workgroup (compile time only)
; SGPRBlocks: 0
; VGPRBlocks: 0
; NumSGPRsForWavesPerEU: 6
; NumVGPRsForWavesPerEU: 1
; AccumOffset: 4
; Occupancy: 8
; WaveLimiterHint : 0
; COMPUTE_PGM_RSRC2:SCRATCH_EN: 0
; COMPUTE_PGM_RSRC2:USER_SGPR: 2
; COMPUTE_PGM_RSRC2:TRAP_HANDLER: 0
; COMPUTE_PGM_RSRC2:TGID_X_EN: 1
; COMPUTE_PGM_RSRC2:TGID_Y_EN: 0
; COMPUTE_PGM_RSRC2:TGID_Z_EN: 0
; COMPUTE_PGM_RSRC2:TIDIG_COMP_CNT: 0
; COMPUTE_PGM_RSRC3_GFX90A:ACCUM_OFFSET: 0
; COMPUTE_PGM_RSRC3_GFX90A:TG_SPLIT: 0
	.section	.text._ZN7rocprim17ROCPRIM_400000_NS6detail17trampoline_kernelINS0_14default_configENS1_25partition_config_selectorILNS1_17partition_subalgoE1EjNS0_10empty_typeEbEEZZNS1_14partition_implILS5_1ELb0ES3_jN6thrust23THRUST_200600_302600_NS6detail15normal_iteratorINSA_10device_ptrIjEEEEPS6_NSA_18transform_iteratorI7is_evenIjESF_NSA_11use_defaultESK_EENS0_5tupleIJNSA_16discard_iteratorISK_EESO_EEENSM_IJSG_SG_EEES6_PlJS6_EEE10hipError_tPvRmT3_T4_T5_T6_T7_T9_mT8_P12ihipStream_tbDpT10_ENKUlT_T0_E_clISt17integral_constantIbLb1EES1A_IbLb0EEEEDaS16_S17_EUlS16_E_NS1_11comp_targetILNS1_3genE8ELNS1_11target_archE1030ELNS1_3gpuE2ELNS1_3repE0EEENS1_30default_config_static_selectorELNS0_4arch9wavefront6targetE1EEEvT1_,"axG",@progbits,_ZN7rocprim17ROCPRIM_400000_NS6detail17trampoline_kernelINS0_14default_configENS1_25partition_config_selectorILNS1_17partition_subalgoE1EjNS0_10empty_typeEbEEZZNS1_14partition_implILS5_1ELb0ES3_jN6thrust23THRUST_200600_302600_NS6detail15normal_iteratorINSA_10device_ptrIjEEEEPS6_NSA_18transform_iteratorI7is_evenIjESF_NSA_11use_defaultESK_EENS0_5tupleIJNSA_16discard_iteratorISK_EESO_EEENSM_IJSG_SG_EEES6_PlJS6_EEE10hipError_tPvRmT3_T4_T5_T6_T7_T9_mT8_P12ihipStream_tbDpT10_ENKUlT_T0_E_clISt17integral_constantIbLb1EES1A_IbLb0EEEEDaS16_S17_EUlS16_E_NS1_11comp_targetILNS1_3genE8ELNS1_11target_archE1030ELNS1_3gpuE2ELNS1_3repE0EEENS1_30default_config_static_selectorELNS0_4arch9wavefront6targetE1EEEvT1_,comdat
	.protected	_ZN7rocprim17ROCPRIM_400000_NS6detail17trampoline_kernelINS0_14default_configENS1_25partition_config_selectorILNS1_17partition_subalgoE1EjNS0_10empty_typeEbEEZZNS1_14partition_implILS5_1ELb0ES3_jN6thrust23THRUST_200600_302600_NS6detail15normal_iteratorINSA_10device_ptrIjEEEEPS6_NSA_18transform_iteratorI7is_evenIjESF_NSA_11use_defaultESK_EENS0_5tupleIJNSA_16discard_iteratorISK_EESO_EEENSM_IJSG_SG_EEES6_PlJS6_EEE10hipError_tPvRmT3_T4_T5_T6_T7_T9_mT8_P12ihipStream_tbDpT10_ENKUlT_T0_E_clISt17integral_constantIbLb1EES1A_IbLb0EEEEDaS16_S17_EUlS16_E_NS1_11comp_targetILNS1_3genE8ELNS1_11target_archE1030ELNS1_3gpuE2ELNS1_3repE0EEENS1_30default_config_static_selectorELNS0_4arch9wavefront6targetE1EEEvT1_ ; -- Begin function _ZN7rocprim17ROCPRIM_400000_NS6detail17trampoline_kernelINS0_14default_configENS1_25partition_config_selectorILNS1_17partition_subalgoE1EjNS0_10empty_typeEbEEZZNS1_14partition_implILS5_1ELb0ES3_jN6thrust23THRUST_200600_302600_NS6detail15normal_iteratorINSA_10device_ptrIjEEEEPS6_NSA_18transform_iteratorI7is_evenIjESF_NSA_11use_defaultESK_EENS0_5tupleIJNSA_16discard_iteratorISK_EESO_EEENSM_IJSG_SG_EEES6_PlJS6_EEE10hipError_tPvRmT3_T4_T5_T6_T7_T9_mT8_P12ihipStream_tbDpT10_ENKUlT_T0_E_clISt17integral_constantIbLb1EES1A_IbLb0EEEEDaS16_S17_EUlS16_E_NS1_11comp_targetILNS1_3genE8ELNS1_11target_archE1030ELNS1_3gpuE2ELNS1_3repE0EEENS1_30default_config_static_selectorELNS0_4arch9wavefront6targetE1EEEvT1_
	.globl	_ZN7rocprim17ROCPRIM_400000_NS6detail17trampoline_kernelINS0_14default_configENS1_25partition_config_selectorILNS1_17partition_subalgoE1EjNS0_10empty_typeEbEEZZNS1_14partition_implILS5_1ELb0ES3_jN6thrust23THRUST_200600_302600_NS6detail15normal_iteratorINSA_10device_ptrIjEEEEPS6_NSA_18transform_iteratorI7is_evenIjESF_NSA_11use_defaultESK_EENS0_5tupleIJNSA_16discard_iteratorISK_EESO_EEENSM_IJSG_SG_EEES6_PlJS6_EEE10hipError_tPvRmT3_T4_T5_T6_T7_T9_mT8_P12ihipStream_tbDpT10_ENKUlT_T0_E_clISt17integral_constantIbLb1EES1A_IbLb0EEEEDaS16_S17_EUlS16_E_NS1_11comp_targetILNS1_3genE8ELNS1_11target_archE1030ELNS1_3gpuE2ELNS1_3repE0EEENS1_30default_config_static_selectorELNS0_4arch9wavefront6targetE1EEEvT1_
	.p2align	8
	.type	_ZN7rocprim17ROCPRIM_400000_NS6detail17trampoline_kernelINS0_14default_configENS1_25partition_config_selectorILNS1_17partition_subalgoE1EjNS0_10empty_typeEbEEZZNS1_14partition_implILS5_1ELb0ES3_jN6thrust23THRUST_200600_302600_NS6detail15normal_iteratorINSA_10device_ptrIjEEEEPS6_NSA_18transform_iteratorI7is_evenIjESF_NSA_11use_defaultESK_EENS0_5tupleIJNSA_16discard_iteratorISK_EESO_EEENSM_IJSG_SG_EEES6_PlJS6_EEE10hipError_tPvRmT3_T4_T5_T6_T7_T9_mT8_P12ihipStream_tbDpT10_ENKUlT_T0_E_clISt17integral_constantIbLb1EES1A_IbLb0EEEEDaS16_S17_EUlS16_E_NS1_11comp_targetILNS1_3genE8ELNS1_11target_archE1030ELNS1_3gpuE2ELNS1_3repE0EEENS1_30default_config_static_selectorELNS0_4arch9wavefront6targetE1EEEvT1_,@function
_ZN7rocprim17ROCPRIM_400000_NS6detail17trampoline_kernelINS0_14default_configENS1_25partition_config_selectorILNS1_17partition_subalgoE1EjNS0_10empty_typeEbEEZZNS1_14partition_implILS5_1ELb0ES3_jN6thrust23THRUST_200600_302600_NS6detail15normal_iteratorINSA_10device_ptrIjEEEEPS6_NSA_18transform_iteratorI7is_evenIjESF_NSA_11use_defaultESK_EENS0_5tupleIJNSA_16discard_iteratorISK_EESO_EEENSM_IJSG_SG_EEES6_PlJS6_EEE10hipError_tPvRmT3_T4_T5_T6_T7_T9_mT8_P12ihipStream_tbDpT10_ENKUlT_T0_E_clISt17integral_constantIbLb1EES1A_IbLb0EEEEDaS16_S17_EUlS16_E_NS1_11comp_targetILNS1_3genE8ELNS1_11target_archE1030ELNS1_3gpuE2ELNS1_3repE0EEENS1_30default_config_static_selectorELNS0_4arch9wavefront6targetE1EEEvT1_: ; @_ZN7rocprim17ROCPRIM_400000_NS6detail17trampoline_kernelINS0_14default_configENS1_25partition_config_selectorILNS1_17partition_subalgoE1EjNS0_10empty_typeEbEEZZNS1_14partition_implILS5_1ELb0ES3_jN6thrust23THRUST_200600_302600_NS6detail15normal_iteratorINSA_10device_ptrIjEEEEPS6_NSA_18transform_iteratorI7is_evenIjESF_NSA_11use_defaultESK_EENS0_5tupleIJNSA_16discard_iteratorISK_EESO_EEENSM_IJSG_SG_EEES6_PlJS6_EEE10hipError_tPvRmT3_T4_T5_T6_T7_T9_mT8_P12ihipStream_tbDpT10_ENKUlT_T0_E_clISt17integral_constantIbLb1EES1A_IbLb0EEEEDaS16_S17_EUlS16_E_NS1_11comp_targetILNS1_3genE8ELNS1_11target_archE1030ELNS1_3gpuE2ELNS1_3repE0EEENS1_30default_config_static_selectorELNS0_4arch9wavefront6targetE1EEEvT1_
; %bb.0:
	.section	.rodata,"a",@progbits
	.p2align	6, 0x0
	.amdhsa_kernel _ZN7rocprim17ROCPRIM_400000_NS6detail17trampoline_kernelINS0_14default_configENS1_25partition_config_selectorILNS1_17partition_subalgoE1EjNS0_10empty_typeEbEEZZNS1_14partition_implILS5_1ELb0ES3_jN6thrust23THRUST_200600_302600_NS6detail15normal_iteratorINSA_10device_ptrIjEEEEPS6_NSA_18transform_iteratorI7is_evenIjESF_NSA_11use_defaultESK_EENS0_5tupleIJNSA_16discard_iteratorISK_EESO_EEENSM_IJSG_SG_EEES6_PlJS6_EEE10hipError_tPvRmT3_T4_T5_T6_T7_T9_mT8_P12ihipStream_tbDpT10_ENKUlT_T0_E_clISt17integral_constantIbLb1EES1A_IbLb0EEEEDaS16_S17_EUlS16_E_NS1_11comp_targetILNS1_3genE8ELNS1_11target_archE1030ELNS1_3gpuE2ELNS1_3repE0EEENS1_30default_config_static_selectorELNS0_4arch9wavefront6targetE1EEEvT1_
		.amdhsa_group_segment_fixed_size 0
		.amdhsa_private_segment_fixed_size 0
		.amdhsa_kernarg_size 144
		.amdhsa_user_sgpr_count 2
		.amdhsa_user_sgpr_dispatch_ptr 0
		.amdhsa_user_sgpr_queue_ptr 0
		.amdhsa_user_sgpr_kernarg_segment_ptr 1
		.amdhsa_user_sgpr_dispatch_id 0
		.amdhsa_user_sgpr_kernarg_preload_length 0
		.amdhsa_user_sgpr_kernarg_preload_offset 0
		.amdhsa_user_sgpr_private_segment_size 0
		.amdhsa_uses_dynamic_stack 0
		.amdhsa_enable_private_segment 0
		.amdhsa_system_sgpr_workgroup_id_x 1
		.amdhsa_system_sgpr_workgroup_id_y 0
		.amdhsa_system_sgpr_workgroup_id_z 0
		.amdhsa_system_sgpr_workgroup_info 0
		.amdhsa_system_vgpr_workitem_id 0
		.amdhsa_next_free_vgpr 1
		.amdhsa_next_free_sgpr 0
		.amdhsa_accum_offset 4
		.amdhsa_reserve_vcc 0
		.amdhsa_float_round_mode_32 0
		.amdhsa_float_round_mode_16_64 0
		.amdhsa_float_denorm_mode_32 3
		.amdhsa_float_denorm_mode_16_64 3
		.amdhsa_dx10_clamp 1
		.amdhsa_ieee_mode 1
		.amdhsa_fp16_overflow 0
		.amdhsa_tg_split 0
		.amdhsa_exception_fp_ieee_invalid_op 0
		.amdhsa_exception_fp_denorm_src 0
		.amdhsa_exception_fp_ieee_div_zero 0
		.amdhsa_exception_fp_ieee_overflow 0
		.amdhsa_exception_fp_ieee_underflow 0
		.amdhsa_exception_fp_ieee_inexact 0
		.amdhsa_exception_int_div_zero 0
	.end_amdhsa_kernel
	.section	.text._ZN7rocprim17ROCPRIM_400000_NS6detail17trampoline_kernelINS0_14default_configENS1_25partition_config_selectorILNS1_17partition_subalgoE1EjNS0_10empty_typeEbEEZZNS1_14partition_implILS5_1ELb0ES3_jN6thrust23THRUST_200600_302600_NS6detail15normal_iteratorINSA_10device_ptrIjEEEEPS6_NSA_18transform_iteratorI7is_evenIjESF_NSA_11use_defaultESK_EENS0_5tupleIJNSA_16discard_iteratorISK_EESO_EEENSM_IJSG_SG_EEES6_PlJS6_EEE10hipError_tPvRmT3_T4_T5_T6_T7_T9_mT8_P12ihipStream_tbDpT10_ENKUlT_T0_E_clISt17integral_constantIbLb1EES1A_IbLb0EEEEDaS16_S17_EUlS16_E_NS1_11comp_targetILNS1_3genE8ELNS1_11target_archE1030ELNS1_3gpuE2ELNS1_3repE0EEENS1_30default_config_static_selectorELNS0_4arch9wavefront6targetE1EEEvT1_,"axG",@progbits,_ZN7rocprim17ROCPRIM_400000_NS6detail17trampoline_kernelINS0_14default_configENS1_25partition_config_selectorILNS1_17partition_subalgoE1EjNS0_10empty_typeEbEEZZNS1_14partition_implILS5_1ELb0ES3_jN6thrust23THRUST_200600_302600_NS6detail15normal_iteratorINSA_10device_ptrIjEEEEPS6_NSA_18transform_iteratorI7is_evenIjESF_NSA_11use_defaultESK_EENS0_5tupleIJNSA_16discard_iteratorISK_EESO_EEENSM_IJSG_SG_EEES6_PlJS6_EEE10hipError_tPvRmT3_T4_T5_T6_T7_T9_mT8_P12ihipStream_tbDpT10_ENKUlT_T0_E_clISt17integral_constantIbLb1EES1A_IbLb0EEEEDaS16_S17_EUlS16_E_NS1_11comp_targetILNS1_3genE8ELNS1_11target_archE1030ELNS1_3gpuE2ELNS1_3repE0EEENS1_30default_config_static_selectorELNS0_4arch9wavefront6targetE1EEEvT1_,comdat
.Lfunc_end2994:
	.size	_ZN7rocprim17ROCPRIM_400000_NS6detail17trampoline_kernelINS0_14default_configENS1_25partition_config_selectorILNS1_17partition_subalgoE1EjNS0_10empty_typeEbEEZZNS1_14partition_implILS5_1ELb0ES3_jN6thrust23THRUST_200600_302600_NS6detail15normal_iteratorINSA_10device_ptrIjEEEEPS6_NSA_18transform_iteratorI7is_evenIjESF_NSA_11use_defaultESK_EENS0_5tupleIJNSA_16discard_iteratorISK_EESO_EEENSM_IJSG_SG_EEES6_PlJS6_EEE10hipError_tPvRmT3_T4_T5_T6_T7_T9_mT8_P12ihipStream_tbDpT10_ENKUlT_T0_E_clISt17integral_constantIbLb1EES1A_IbLb0EEEEDaS16_S17_EUlS16_E_NS1_11comp_targetILNS1_3genE8ELNS1_11target_archE1030ELNS1_3gpuE2ELNS1_3repE0EEENS1_30default_config_static_selectorELNS0_4arch9wavefront6targetE1EEEvT1_, .Lfunc_end2994-_ZN7rocprim17ROCPRIM_400000_NS6detail17trampoline_kernelINS0_14default_configENS1_25partition_config_selectorILNS1_17partition_subalgoE1EjNS0_10empty_typeEbEEZZNS1_14partition_implILS5_1ELb0ES3_jN6thrust23THRUST_200600_302600_NS6detail15normal_iteratorINSA_10device_ptrIjEEEEPS6_NSA_18transform_iteratorI7is_evenIjESF_NSA_11use_defaultESK_EENS0_5tupleIJNSA_16discard_iteratorISK_EESO_EEENSM_IJSG_SG_EEES6_PlJS6_EEE10hipError_tPvRmT3_T4_T5_T6_T7_T9_mT8_P12ihipStream_tbDpT10_ENKUlT_T0_E_clISt17integral_constantIbLb1EES1A_IbLb0EEEEDaS16_S17_EUlS16_E_NS1_11comp_targetILNS1_3genE8ELNS1_11target_archE1030ELNS1_3gpuE2ELNS1_3repE0EEENS1_30default_config_static_selectorELNS0_4arch9wavefront6targetE1EEEvT1_
                                        ; -- End function
	.section	.AMDGPU.csdata,"",@progbits
; Kernel info:
; codeLenInByte = 0
; NumSgprs: 6
; NumVgprs: 0
; NumAgprs: 0
; TotalNumVgprs: 0
; ScratchSize: 0
; MemoryBound: 0
; FloatMode: 240
; IeeeMode: 1
; LDSByteSize: 0 bytes/workgroup (compile time only)
; SGPRBlocks: 0
; VGPRBlocks: 0
; NumSGPRsForWavesPerEU: 6
; NumVGPRsForWavesPerEU: 1
; AccumOffset: 4
; Occupancy: 8
; WaveLimiterHint : 0
; COMPUTE_PGM_RSRC2:SCRATCH_EN: 0
; COMPUTE_PGM_RSRC2:USER_SGPR: 2
; COMPUTE_PGM_RSRC2:TRAP_HANDLER: 0
; COMPUTE_PGM_RSRC2:TGID_X_EN: 1
; COMPUTE_PGM_RSRC2:TGID_Y_EN: 0
; COMPUTE_PGM_RSRC2:TGID_Z_EN: 0
; COMPUTE_PGM_RSRC2:TIDIG_COMP_CNT: 0
; COMPUTE_PGM_RSRC3_GFX90A:ACCUM_OFFSET: 0
; COMPUTE_PGM_RSRC3_GFX90A:TG_SPLIT: 0
	.section	.text._ZN7rocprim17ROCPRIM_400000_NS6detail17trampoline_kernelINS0_14default_configENS1_25partition_config_selectorILNS1_17partition_subalgoE1EjNS0_10empty_typeEbEEZZNS1_14partition_implILS5_1ELb0ES3_jN6thrust23THRUST_200600_302600_NS6detail15normal_iteratorINSA_10device_ptrIjEEEEPS6_NSA_18transform_iteratorI7is_evenIjESF_NSA_11use_defaultESK_EENS0_5tupleIJNSA_16discard_iteratorISK_EESO_EEENSM_IJSG_SG_EEES6_PlJS6_EEE10hipError_tPvRmT3_T4_T5_T6_T7_T9_mT8_P12ihipStream_tbDpT10_ENKUlT_T0_E_clISt17integral_constantIbLb0EES1A_IbLb1EEEEDaS16_S17_EUlS16_E_NS1_11comp_targetILNS1_3genE0ELNS1_11target_archE4294967295ELNS1_3gpuE0ELNS1_3repE0EEENS1_30default_config_static_selectorELNS0_4arch9wavefront6targetE1EEEvT1_,"axG",@progbits,_ZN7rocprim17ROCPRIM_400000_NS6detail17trampoline_kernelINS0_14default_configENS1_25partition_config_selectorILNS1_17partition_subalgoE1EjNS0_10empty_typeEbEEZZNS1_14partition_implILS5_1ELb0ES3_jN6thrust23THRUST_200600_302600_NS6detail15normal_iteratorINSA_10device_ptrIjEEEEPS6_NSA_18transform_iteratorI7is_evenIjESF_NSA_11use_defaultESK_EENS0_5tupleIJNSA_16discard_iteratorISK_EESO_EEENSM_IJSG_SG_EEES6_PlJS6_EEE10hipError_tPvRmT3_T4_T5_T6_T7_T9_mT8_P12ihipStream_tbDpT10_ENKUlT_T0_E_clISt17integral_constantIbLb0EES1A_IbLb1EEEEDaS16_S17_EUlS16_E_NS1_11comp_targetILNS1_3genE0ELNS1_11target_archE4294967295ELNS1_3gpuE0ELNS1_3repE0EEENS1_30default_config_static_selectorELNS0_4arch9wavefront6targetE1EEEvT1_,comdat
	.protected	_ZN7rocprim17ROCPRIM_400000_NS6detail17trampoline_kernelINS0_14default_configENS1_25partition_config_selectorILNS1_17partition_subalgoE1EjNS0_10empty_typeEbEEZZNS1_14partition_implILS5_1ELb0ES3_jN6thrust23THRUST_200600_302600_NS6detail15normal_iteratorINSA_10device_ptrIjEEEEPS6_NSA_18transform_iteratorI7is_evenIjESF_NSA_11use_defaultESK_EENS0_5tupleIJNSA_16discard_iteratorISK_EESO_EEENSM_IJSG_SG_EEES6_PlJS6_EEE10hipError_tPvRmT3_T4_T5_T6_T7_T9_mT8_P12ihipStream_tbDpT10_ENKUlT_T0_E_clISt17integral_constantIbLb0EES1A_IbLb1EEEEDaS16_S17_EUlS16_E_NS1_11comp_targetILNS1_3genE0ELNS1_11target_archE4294967295ELNS1_3gpuE0ELNS1_3repE0EEENS1_30default_config_static_selectorELNS0_4arch9wavefront6targetE1EEEvT1_ ; -- Begin function _ZN7rocprim17ROCPRIM_400000_NS6detail17trampoline_kernelINS0_14default_configENS1_25partition_config_selectorILNS1_17partition_subalgoE1EjNS0_10empty_typeEbEEZZNS1_14partition_implILS5_1ELb0ES3_jN6thrust23THRUST_200600_302600_NS6detail15normal_iteratorINSA_10device_ptrIjEEEEPS6_NSA_18transform_iteratorI7is_evenIjESF_NSA_11use_defaultESK_EENS0_5tupleIJNSA_16discard_iteratorISK_EESO_EEENSM_IJSG_SG_EEES6_PlJS6_EEE10hipError_tPvRmT3_T4_T5_T6_T7_T9_mT8_P12ihipStream_tbDpT10_ENKUlT_T0_E_clISt17integral_constantIbLb0EES1A_IbLb1EEEEDaS16_S17_EUlS16_E_NS1_11comp_targetILNS1_3genE0ELNS1_11target_archE4294967295ELNS1_3gpuE0ELNS1_3repE0EEENS1_30default_config_static_selectorELNS0_4arch9wavefront6targetE1EEEvT1_
	.globl	_ZN7rocprim17ROCPRIM_400000_NS6detail17trampoline_kernelINS0_14default_configENS1_25partition_config_selectorILNS1_17partition_subalgoE1EjNS0_10empty_typeEbEEZZNS1_14partition_implILS5_1ELb0ES3_jN6thrust23THRUST_200600_302600_NS6detail15normal_iteratorINSA_10device_ptrIjEEEEPS6_NSA_18transform_iteratorI7is_evenIjESF_NSA_11use_defaultESK_EENS0_5tupleIJNSA_16discard_iteratorISK_EESO_EEENSM_IJSG_SG_EEES6_PlJS6_EEE10hipError_tPvRmT3_T4_T5_T6_T7_T9_mT8_P12ihipStream_tbDpT10_ENKUlT_T0_E_clISt17integral_constantIbLb0EES1A_IbLb1EEEEDaS16_S17_EUlS16_E_NS1_11comp_targetILNS1_3genE0ELNS1_11target_archE4294967295ELNS1_3gpuE0ELNS1_3repE0EEENS1_30default_config_static_selectorELNS0_4arch9wavefront6targetE1EEEvT1_
	.p2align	8
	.type	_ZN7rocprim17ROCPRIM_400000_NS6detail17trampoline_kernelINS0_14default_configENS1_25partition_config_selectorILNS1_17partition_subalgoE1EjNS0_10empty_typeEbEEZZNS1_14partition_implILS5_1ELb0ES3_jN6thrust23THRUST_200600_302600_NS6detail15normal_iteratorINSA_10device_ptrIjEEEEPS6_NSA_18transform_iteratorI7is_evenIjESF_NSA_11use_defaultESK_EENS0_5tupleIJNSA_16discard_iteratorISK_EESO_EEENSM_IJSG_SG_EEES6_PlJS6_EEE10hipError_tPvRmT3_T4_T5_T6_T7_T9_mT8_P12ihipStream_tbDpT10_ENKUlT_T0_E_clISt17integral_constantIbLb0EES1A_IbLb1EEEEDaS16_S17_EUlS16_E_NS1_11comp_targetILNS1_3genE0ELNS1_11target_archE4294967295ELNS1_3gpuE0ELNS1_3repE0EEENS1_30default_config_static_selectorELNS0_4arch9wavefront6targetE1EEEvT1_,@function
_ZN7rocprim17ROCPRIM_400000_NS6detail17trampoline_kernelINS0_14default_configENS1_25partition_config_selectorILNS1_17partition_subalgoE1EjNS0_10empty_typeEbEEZZNS1_14partition_implILS5_1ELb0ES3_jN6thrust23THRUST_200600_302600_NS6detail15normal_iteratorINSA_10device_ptrIjEEEEPS6_NSA_18transform_iteratorI7is_evenIjESF_NSA_11use_defaultESK_EENS0_5tupleIJNSA_16discard_iteratorISK_EESO_EEENSM_IJSG_SG_EEES6_PlJS6_EEE10hipError_tPvRmT3_T4_T5_T6_T7_T9_mT8_P12ihipStream_tbDpT10_ENKUlT_T0_E_clISt17integral_constantIbLb0EES1A_IbLb1EEEEDaS16_S17_EUlS16_E_NS1_11comp_targetILNS1_3genE0ELNS1_11target_archE4294967295ELNS1_3gpuE0ELNS1_3repE0EEENS1_30default_config_static_selectorELNS0_4arch9wavefront6targetE1EEEvT1_: ; @_ZN7rocprim17ROCPRIM_400000_NS6detail17trampoline_kernelINS0_14default_configENS1_25partition_config_selectorILNS1_17partition_subalgoE1EjNS0_10empty_typeEbEEZZNS1_14partition_implILS5_1ELb0ES3_jN6thrust23THRUST_200600_302600_NS6detail15normal_iteratorINSA_10device_ptrIjEEEEPS6_NSA_18transform_iteratorI7is_evenIjESF_NSA_11use_defaultESK_EENS0_5tupleIJNSA_16discard_iteratorISK_EESO_EEENSM_IJSG_SG_EEES6_PlJS6_EEE10hipError_tPvRmT3_T4_T5_T6_T7_T9_mT8_P12ihipStream_tbDpT10_ENKUlT_T0_E_clISt17integral_constantIbLb0EES1A_IbLb1EEEEDaS16_S17_EUlS16_E_NS1_11comp_targetILNS1_3genE0ELNS1_11target_archE4294967295ELNS1_3gpuE0ELNS1_3repE0EEENS1_30default_config_static_selectorELNS0_4arch9wavefront6targetE1EEEvT1_
; %bb.0:
	.section	.rodata,"a",@progbits
	.p2align	6, 0x0
	.amdhsa_kernel _ZN7rocprim17ROCPRIM_400000_NS6detail17trampoline_kernelINS0_14default_configENS1_25partition_config_selectorILNS1_17partition_subalgoE1EjNS0_10empty_typeEbEEZZNS1_14partition_implILS5_1ELb0ES3_jN6thrust23THRUST_200600_302600_NS6detail15normal_iteratorINSA_10device_ptrIjEEEEPS6_NSA_18transform_iteratorI7is_evenIjESF_NSA_11use_defaultESK_EENS0_5tupleIJNSA_16discard_iteratorISK_EESO_EEENSM_IJSG_SG_EEES6_PlJS6_EEE10hipError_tPvRmT3_T4_T5_T6_T7_T9_mT8_P12ihipStream_tbDpT10_ENKUlT_T0_E_clISt17integral_constantIbLb0EES1A_IbLb1EEEEDaS16_S17_EUlS16_E_NS1_11comp_targetILNS1_3genE0ELNS1_11target_archE4294967295ELNS1_3gpuE0ELNS1_3repE0EEENS1_30default_config_static_selectorELNS0_4arch9wavefront6targetE1EEEvT1_
		.amdhsa_group_segment_fixed_size 0
		.amdhsa_private_segment_fixed_size 0
		.amdhsa_kernarg_size 160
		.amdhsa_user_sgpr_count 2
		.amdhsa_user_sgpr_dispatch_ptr 0
		.amdhsa_user_sgpr_queue_ptr 0
		.amdhsa_user_sgpr_kernarg_segment_ptr 1
		.amdhsa_user_sgpr_dispatch_id 0
		.amdhsa_user_sgpr_kernarg_preload_length 0
		.amdhsa_user_sgpr_kernarg_preload_offset 0
		.amdhsa_user_sgpr_private_segment_size 0
		.amdhsa_uses_dynamic_stack 0
		.amdhsa_enable_private_segment 0
		.amdhsa_system_sgpr_workgroup_id_x 1
		.amdhsa_system_sgpr_workgroup_id_y 0
		.amdhsa_system_sgpr_workgroup_id_z 0
		.amdhsa_system_sgpr_workgroup_info 0
		.amdhsa_system_vgpr_workitem_id 0
		.amdhsa_next_free_vgpr 1
		.amdhsa_next_free_sgpr 0
		.amdhsa_accum_offset 4
		.amdhsa_reserve_vcc 0
		.amdhsa_float_round_mode_32 0
		.amdhsa_float_round_mode_16_64 0
		.amdhsa_float_denorm_mode_32 3
		.amdhsa_float_denorm_mode_16_64 3
		.amdhsa_dx10_clamp 1
		.amdhsa_ieee_mode 1
		.amdhsa_fp16_overflow 0
		.amdhsa_tg_split 0
		.amdhsa_exception_fp_ieee_invalid_op 0
		.amdhsa_exception_fp_denorm_src 0
		.amdhsa_exception_fp_ieee_div_zero 0
		.amdhsa_exception_fp_ieee_overflow 0
		.amdhsa_exception_fp_ieee_underflow 0
		.amdhsa_exception_fp_ieee_inexact 0
		.amdhsa_exception_int_div_zero 0
	.end_amdhsa_kernel
	.section	.text._ZN7rocprim17ROCPRIM_400000_NS6detail17trampoline_kernelINS0_14default_configENS1_25partition_config_selectorILNS1_17partition_subalgoE1EjNS0_10empty_typeEbEEZZNS1_14partition_implILS5_1ELb0ES3_jN6thrust23THRUST_200600_302600_NS6detail15normal_iteratorINSA_10device_ptrIjEEEEPS6_NSA_18transform_iteratorI7is_evenIjESF_NSA_11use_defaultESK_EENS0_5tupleIJNSA_16discard_iteratorISK_EESO_EEENSM_IJSG_SG_EEES6_PlJS6_EEE10hipError_tPvRmT3_T4_T5_T6_T7_T9_mT8_P12ihipStream_tbDpT10_ENKUlT_T0_E_clISt17integral_constantIbLb0EES1A_IbLb1EEEEDaS16_S17_EUlS16_E_NS1_11comp_targetILNS1_3genE0ELNS1_11target_archE4294967295ELNS1_3gpuE0ELNS1_3repE0EEENS1_30default_config_static_selectorELNS0_4arch9wavefront6targetE1EEEvT1_,"axG",@progbits,_ZN7rocprim17ROCPRIM_400000_NS6detail17trampoline_kernelINS0_14default_configENS1_25partition_config_selectorILNS1_17partition_subalgoE1EjNS0_10empty_typeEbEEZZNS1_14partition_implILS5_1ELb0ES3_jN6thrust23THRUST_200600_302600_NS6detail15normal_iteratorINSA_10device_ptrIjEEEEPS6_NSA_18transform_iteratorI7is_evenIjESF_NSA_11use_defaultESK_EENS0_5tupleIJNSA_16discard_iteratorISK_EESO_EEENSM_IJSG_SG_EEES6_PlJS6_EEE10hipError_tPvRmT3_T4_T5_T6_T7_T9_mT8_P12ihipStream_tbDpT10_ENKUlT_T0_E_clISt17integral_constantIbLb0EES1A_IbLb1EEEEDaS16_S17_EUlS16_E_NS1_11comp_targetILNS1_3genE0ELNS1_11target_archE4294967295ELNS1_3gpuE0ELNS1_3repE0EEENS1_30default_config_static_selectorELNS0_4arch9wavefront6targetE1EEEvT1_,comdat
.Lfunc_end2995:
	.size	_ZN7rocprim17ROCPRIM_400000_NS6detail17trampoline_kernelINS0_14default_configENS1_25partition_config_selectorILNS1_17partition_subalgoE1EjNS0_10empty_typeEbEEZZNS1_14partition_implILS5_1ELb0ES3_jN6thrust23THRUST_200600_302600_NS6detail15normal_iteratorINSA_10device_ptrIjEEEEPS6_NSA_18transform_iteratorI7is_evenIjESF_NSA_11use_defaultESK_EENS0_5tupleIJNSA_16discard_iteratorISK_EESO_EEENSM_IJSG_SG_EEES6_PlJS6_EEE10hipError_tPvRmT3_T4_T5_T6_T7_T9_mT8_P12ihipStream_tbDpT10_ENKUlT_T0_E_clISt17integral_constantIbLb0EES1A_IbLb1EEEEDaS16_S17_EUlS16_E_NS1_11comp_targetILNS1_3genE0ELNS1_11target_archE4294967295ELNS1_3gpuE0ELNS1_3repE0EEENS1_30default_config_static_selectorELNS0_4arch9wavefront6targetE1EEEvT1_, .Lfunc_end2995-_ZN7rocprim17ROCPRIM_400000_NS6detail17trampoline_kernelINS0_14default_configENS1_25partition_config_selectorILNS1_17partition_subalgoE1EjNS0_10empty_typeEbEEZZNS1_14partition_implILS5_1ELb0ES3_jN6thrust23THRUST_200600_302600_NS6detail15normal_iteratorINSA_10device_ptrIjEEEEPS6_NSA_18transform_iteratorI7is_evenIjESF_NSA_11use_defaultESK_EENS0_5tupleIJNSA_16discard_iteratorISK_EESO_EEENSM_IJSG_SG_EEES6_PlJS6_EEE10hipError_tPvRmT3_T4_T5_T6_T7_T9_mT8_P12ihipStream_tbDpT10_ENKUlT_T0_E_clISt17integral_constantIbLb0EES1A_IbLb1EEEEDaS16_S17_EUlS16_E_NS1_11comp_targetILNS1_3genE0ELNS1_11target_archE4294967295ELNS1_3gpuE0ELNS1_3repE0EEENS1_30default_config_static_selectorELNS0_4arch9wavefront6targetE1EEEvT1_
                                        ; -- End function
	.section	.AMDGPU.csdata,"",@progbits
; Kernel info:
; codeLenInByte = 0
; NumSgprs: 6
; NumVgprs: 0
; NumAgprs: 0
; TotalNumVgprs: 0
; ScratchSize: 0
; MemoryBound: 0
; FloatMode: 240
; IeeeMode: 1
; LDSByteSize: 0 bytes/workgroup (compile time only)
; SGPRBlocks: 0
; VGPRBlocks: 0
; NumSGPRsForWavesPerEU: 6
; NumVGPRsForWavesPerEU: 1
; AccumOffset: 4
; Occupancy: 8
; WaveLimiterHint : 0
; COMPUTE_PGM_RSRC2:SCRATCH_EN: 0
; COMPUTE_PGM_RSRC2:USER_SGPR: 2
; COMPUTE_PGM_RSRC2:TRAP_HANDLER: 0
; COMPUTE_PGM_RSRC2:TGID_X_EN: 1
; COMPUTE_PGM_RSRC2:TGID_Y_EN: 0
; COMPUTE_PGM_RSRC2:TGID_Z_EN: 0
; COMPUTE_PGM_RSRC2:TIDIG_COMP_CNT: 0
; COMPUTE_PGM_RSRC3_GFX90A:ACCUM_OFFSET: 0
; COMPUTE_PGM_RSRC3_GFX90A:TG_SPLIT: 0
	.section	.text._ZN7rocprim17ROCPRIM_400000_NS6detail17trampoline_kernelINS0_14default_configENS1_25partition_config_selectorILNS1_17partition_subalgoE1EjNS0_10empty_typeEbEEZZNS1_14partition_implILS5_1ELb0ES3_jN6thrust23THRUST_200600_302600_NS6detail15normal_iteratorINSA_10device_ptrIjEEEEPS6_NSA_18transform_iteratorI7is_evenIjESF_NSA_11use_defaultESK_EENS0_5tupleIJNSA_16discard_iteratorISK_EESO_EEENSM_IJSG_SG_EEES6_PlJS6_EEE10hipError_tPvRmT3_T4_T5_T6_T7_T9_mT8_P12ihipStream_tbDpT10_ENKUlT_T0_E_clISt17integral_constantIbLb0EES1A_IbLb1EEEEDaS16_S17_EUlS16_E_NS1_11comp_targetILNS1_3genE5ELNS1_11target_archE942ELNS1_3gpuE9ELNS1_3repE0EEENS1_30default_config_static_selectorELNS0_4arch9wavefront6targetE1EEEvT1_,"axG",@progbits,_ZN7rocprim17ROCPRIM_400000_NS6detail17trampoline_kernelINS0_14default_configENS1_25partition_config_selectorILNS1_17partition_subalgoE1EjNS0_10empty_typeEbEEZZNS1_14partition_implILS5_1ELb0ES3_jN6thrust23THRUST_200600_302600_NS6detail15normal_iteratorINSA_10device_ptrIjEEEEPS6_NSA_18transform_iteratorI7is_evenIjESF_NSA_11use_defaultESK_EENS0_5tupleIJNSA_16discard_iteratorISK_EESO_EEENSM_IJSG_SG_EEES6_PlJS6_EEE10hipError_tPvRmT3_T4_T5_T6_T7_T9_mT8_P12ihipStream_tbDpT10_ENKUlT_T0_E_clISt17integral_constantIbLb0EES1A_IbLb1EEEEDaS16_S17_EUlS16_E_NS1_11comp_targetILNS1_3genE5ELNS1_11target_archE942ELNS1_3gpuE9ELNS1_3repE0EEENS1_30default_config_static_selectorELNS0_4arch9wavefront6targetE1EEEvT1_,comdat
	.protected	_ZN7rocprim17ROCPRIM_400000_NS6detail17trampoline_kernelINS0_14default_configENS1_25partition_config_selectorILNS1_17partition_subalgoE1EjNS0_10empty_typeEbEEZZNS1_14partition_implILS5_1ELb0ES3_jN6thrust23THRUST_200600_302600_NS6detail15normal_iteratorINSA_10device_ptrIjEEEEPS6_NSA_18transform_iteratorI7is_evenIjESF_NSA_11use_defaultESK_EENS0_5tupleIJNSA_16discard_iteratorISK_EESO_EEENSM_IJSG_SG_EEES6_PlJS6_EEE10hipError_tPvRmT3_T4_T5_T6_T7_T9_mT8_P12ihipStream_tbDpT10_ENKUlT_T0_E_clISt17integral_constantIbLb0EES1A_IbLb1EEEEDaS16_S17_EUlS16_E_NS1_11comp_targetILNS1_3genE5ELNS1_11target_archE942ELNS1_3gpuE9ELNS1_3repE0EEENS1_30default_config_static_selectorELNS0_4arch9wavefront6targetE1EEEvT1_ ; -- Begin function _ZN7rocprim17ROCPRIM_400000_NS6detail17trampoline_kernelINS0_14default_configENS1_25partition_config_selectorILNS1_17partition_subalgoE1EjNS0_10empty_typeEbEEZZNS1_14partition_implILS5_1ELb0ES3_jN6thrust23THRUST_200600_302600_NS6detail15normal_iteratorINSA_10device_ptrIjEEEEPS6_NSA_18transform_iteratorI7is_evenIjESF_NSA_11use_defaultESK_EENS0_5tupleIJNSA_16discard_iteratorISK_EESO_EEENSM_IJSG_SG_EEES6_PlJS6_EEE10hipError_tPvRmT3_T4_T5_T6_T7_T9_mT8_P12ihipStream_tbDpT10_ENKUlT_T0_E_clISt17integral_constantIbLb0EES1A_IbLb1EEEEDaS16_S17_EUlS16_E_NS1_11comp_targetILNS1_3genE5ELNS1_11target_archE942ELNS1_3gpuE9ELNS1_3repE0EEENS1_30default_config_static_selectorELNS0_4arch9wavefront6targetE1EEEvT1_
	.globl	_ZN7rocprim17ROCPRIM_400000_NS6detail17trampoline_kernelINS0_14default_configENS1_25partition_config_selectorILNS1_17partition_subalgoE1EjNS0_10empty_typeEbEEZZNS1_14partition_implILS5_1ELb0ES3_jN6thrust23THRUST_200600_302600_NS6detail15normal_iteratorINSA_10device_ptrIjEEEEPS6_NSA_18transform_iteratorI7is_evenIjESF_NSA_11use_defaultESK_EENS0_5tupleIJNSA_16discard_iteratorISK_EESO_EEENSM_IJSG_SG_EEES6_PlJS6_EEE10hipError_tPvRmT3_T4_T5_T6_T7_T9_mT8_P12ihipStream_tbDpT10_ENKUlT_T0_E_clISt17integral_constantIbLb0EES1A_IbLb1EEEEDaS16_S17_EUlS16_E_NS1_11comp_targetILNS1_3genE5ELNS1_11target_archE942ELNS1_3gpuE9ELNS1_3repE0EEENS1_30default_config_static_selectorELNS0_4arch9wavefront6targetE1EEEvT1_
	.p2align	8
	.type	_ZN7rocprim17ROCPRIM_400000_NS6detail17trampoline_kernelINS0_14default_configENS1_25partition_config_selectorILNS1_17partition_subalgoE1EjNS0_10empty_typeEbEEZZNS1_14partition_implILS5_1ELb0ES3_jN6thrust23THRUST_200600_302600_NS6detail15normal_iteratorINSA_10device_ptrIjEEEEPS6_NSA_18transform_iteratorI7is_evenIjESF_NSA_11use_defaultESK_EENS0_5tupleIJNSA_16discard_iteratorISK_EESO_EEENSM_IJSG_SG_EEES6_PlJS6_EEE10hipError_tPvRmT3_T4_T5_T6_T7_T9_mT8_P12ihipStream_tbDpT10_ENKUlT_T0_E_clISt17integral_constantIbLb0EES1A_IbLb1EEEEDaS16_S17_EUlS16_E_NS1_11comp_targetILNS1_3genE5ELNS1_11target_archE942ELNS1_3gpuE9ELNS1_3repE0EEENS1_30default_config_static_selectorELNS0_4arch9wavefront6targetE1EEEvT1_,@function
_ZN7rocprim17ROCPRIM_400000_NS6detail17trampoline_kernelINS0_14default_configENS1_25partition_config_selectorILNS1_17partition_subalgoE1EjNS0_10empty_typeEbEEZZNS1_14partition_implILS5_1ELb0ES3_jN6thrust23THRUST_200600_302600_NS6detail15normal_iteratorINSA_10device_ptrIjEEEEPS6_NSA_18transform_iteratorI7is_evenIjESF_NSA_11use_defaultESK_EENS0_5tupleIJNSA_16discard_iteratorISK_EESO_EEENSM_IJSG_SG_EEES6_PlJS6_EEE10hipError_tPvRmT3_T4_T5_T6_T7_T9_mT8_P12ihipStream_tbDpT10_ENKUlT_T0_E_clISt17integral_constantIbLb0EES1A_IbLb1EEEEDaS16_S17_EUlS16_E_NS1_11comp_targetILNS1_3genE5ELNS1_11target_archE942ELNS1_3gpuE9ELNS1_3repE0EEENS1_30default_config_static_selectorELNS0_4arch9wavefront6targetE1EEEvT1_: ; @_ZN7rocprim17ROCPRIM_400000_NS6detail17trampoline_kernelINS0_14default_configENS1_25partition_config_selectorILNS1_17partition_subalgoE1EjNS0_10empty_typeEbEEZZNS1_14partition_implILS5_1ELb0ES3_jN6thrust23THRUST_200600_302600_NS6detail15normal_iteratorINSA_10device_ptrIjEEEEPS6_NSA_18transform_iteratorI7is_evenIjESF_NSA_11use_defaultESK_EENS0_5tupleIJNSA_16discard_iteratorISK_EESO_EEENSM_IJSG_SG_EEES6_PlJS6_EEE10hipError_tPvRmT3_T4_T5_T6_T7_T9_mT8_P12ihipStream_tbDpT10_ENKUlT_T0_E_clISt17integral_constantIbLb0EES1A_IbLb1EEEEDaS16_S17_EUlS16_E_NS1_11comp_targetILNS1_3genE5ELNS1_11target_archE942ELNS1_3gpuE9ELNS1_3repE0EEENS1_30default_config_static_selectorELNS0_4arch9wavefront6targetE1EEEvT1_
; %bb.0:
	s_load_dwordx2 s[2:3], s[0:1], 0x20
	s_load_dwordx4 s[20:23], s[0:1], 0x60
	s_load_dwordx2 s[10:11], s[0:1], 0x70
	s_load_dwordx2 s[24:25], s[0:1], 0x80
	v_cmp_eq_u32_e64 s[18:19], 0, v0
	s_and_saveexec_b64 s[4:5], s[18:19]
	s_cbranch_execz .LBB2996_4
; %bb.1:
	s_mov_b64 s[8:9], exec
	v_mbcnt_lo_u32_b32 v1, s8, 0
	v_mbcnt_hi_u32_b32 v1, s9, v1
	v_cmp_eq_u32_e32 vcc, 0, v1
                                        ; implicit-def: $vgpr2
	s_and_saveexec_b64 s[6:7], vcc
	s_cbranch_execz .LBB2996_3
; %bb.2:
	s_load_dwordx2 s[12:13], s[0:1], 0x90
	s_bcnt1_i32_b64 s8, s[8:9]
	v_mov_b32_e32 v2, 0
	v_mov_b32_e32 v3, s8
	s_waitcnt lgkmcnt(0)
	global_atomic_add v2, v2, v3, s[12:13] sc0
.LBB2996_3:
	s_or_b64 exec, exec, s[6:7]
	s_waitcnt vmcnt(0)
	v_readfirstlane_b32 s6, v2
	v_mov_b32_e32 v2, 0
	s_nop 0
	v_add_u32_e32 v1, s6, v1
	ds_write_b32 v2, v1
.LBB2996_4:
	s_or_b64 exec, exec, s[4:5]
	v_mov_b32_e32 v3, 0
	s_load_dwordx4 s[4:7], s[0:1], 0x8
	s_load_dword s12, s[0:1], 0x88
	s_waitcnt lgkmcnt(0)
	s_barrier
	ds_read_b32 v1, v3
	s_waitcnt lgkmcnt(0)
	s_barrier
	global_load_dwordx2 v[22:23], v3, s[22:23]
	s_lshl_b64 s[8:9], s[6:7], 2
	v_mov_b32_e32 v5, s11
	s_add_u32 s11, s4, s8
	s_mul_i32 s4, s12, 0x1e00
	s_addc_u32 s13, s5, s9
	s_add_i32 s1, s4, s6
	s_sub_i32 s14, s10, s1
	s_add_i32 s15, s12, -1
	s_addk_i32 s14, 0x1e00
	s_add_u32 s4, s6, s4
	v_readfirstlane_b32 s30, v1
	s_addc_u32 s5, s7, 0
	s_cmp_eq_u32 s30, s15
	v_mov_b32_e32 v4, s10
	s_cselect_b64 s[22:23], -1, 0
	s_cmp_lg_u32 s30, s15
	s_mul_i32 s0, s30, 0x1e00
	s_mov_b32 s1, 0
	v_cmp_lt_u64_e32 vcc, s[4:5], v[4:5]
	s_cselect_b64 s[4:5], -1, 0
	s_or_b64 s[4:5], vcc, s[4:5]
	s_lshl_b64 s[6:7], s[0:1], 2
	s_add_u32 s10, s11, s6
	s_addc_u32 s11, s13, s7
	s_mov_b64 s[0:1], -1
	s_and_b64 vcc, exec, s[4:5]
	s_cbranch_vccz .LBB2996_6
; %bb.5:
	v_lshlrev_b32_e32 v2, 2, v0
	v_lshl_add_u64 v[4:5], s[10:11], 0, v[2:3]
	v_add_co_u32_e32 v6, vcc, 0x1000, v4
	s_mov_b64 s[0:1], 0
	s_nop 0
	v_addc_co_u32_e32 v7, vcc, 0, v5, vcc
	v_add_co_u32_e32 v8, vcc, 0x2000, v4
	s_nop 1
	v_addc_co_u32_e32 v9, vcc, 0, v5, vcc
	v_add_co_u32_e32 v10, vcc, 0x3000, v4
	s_nop 1
	v_addc_co_u32_e32 v11, vcc, 0, v5, vcc
	flat_load_dword v1, v[4:5]
	flat_load_dword v3, v[4:5] offset:2048
	flat_load_dword v12, v[6:7]
	flat_load_dword v13, v[6:7] offset:2048
	flat_load_dword v14, v[8:9]
	flat_load_dword v15, v[8:9] offset:2048
	flat_load_dword v16, v[10:11]
	flat_load_dword v17, v[10:11] offset:2048
	v_add_co_u32_e32 v6, vcc, 0x4000, v4
	s_nop 1
	v_addc_co_u32_e32 v7, vcc, 0, v5, vcc
	v_add_co_u32_e32 v8, vcc, 0x5000, v4
	s_nop 1
	v_addc_co_u32_e32 v9, vcc, 0, v5, vcc
	;; [unrolled: 3-line block ×4, first 2 shown]
	flat_load_dword v18, v[6:7]
	flat_load_dword v19, v[6:7] offset:2048
	flat_load_dword v20, v[8:9]
	flat_load_dword v21, v[8:9] offset:2048
	flat_load_dword v24, v[10:11]
	flat_load_dword v25, v[10:11] offset:2048
	flat_load_dword v26, v[4:5]
	s_waitcnt vmcnt(0) lgkmcnt(0)
	ds_write2st64_b32 v2, v1, v3 offset1:8
	ds_write2st64_b32 v2, v12, v13 offset0:16 offset1:24
	ds_write2st64_b32 v2, v14, v15 offset0:32 offset1:40
	;; [unrolled: 1-line block ×6, first 2 shown]
	ds_write_b32 v2, v26 offset:28672
	s_waitcnt lgkmcnt(0)
	s_barrier
.LBB2996_6:
	s_andn2_b64 vcc, exec, s[0:1]
	v_cmp_gt_u32_e64 s[0:1], s14, v0
	s_cbranch_vccnz .LBB2996_38
; %bb.7:
                                        ; implicit-def: $vgpr2_vgpr3_vgpr4_vgpr5_vgpr6_vgpr7_vgpr8_vgpr9_vgpr10_vgpr11_vgpr12_vgpr13_vgpr14_vgpr15_vgpr16_vgpr17
	s_and_saveexec_b64 s[12:13], s[0:1]
	s_cbranch_execz .LBB2996_9
; %bb.8:
	v_lshlrev_b32_e32 v2, 2, v0
	v_mov_b32_e32 v3, 0
	v_lshl_add_u64 v[2:3], s[10:11], 0, v[2:3]
	flat_load_dword v2, v[2:3]
.LBB2996_9:
	s_or_b64 exec, exec, s[12:13]
	v_or_b32_e32 v1, 0x200, v0
	v_cmp_gt_u32_e32 vcc, s14, v1
	s_and_saveexec_b64 s[0:1], vcc
	s_cbranch_execz .LBB2996_11
; %bb.10:
	v_lshlrev_b32_e32 v18, 2, v0
	v_mov_b32_e32 v19, 0
	v_lshl_add_u64 v[18:19], s[10:11], 0, v[18:19]
	flat_load_dword v3, v[18:19] offset:2048
.LBB2996_11:
	s_or_b64 exec, exec, s[0:1]
	v_or_b32_e32 v1, 0x400, v0
	v_cmp_gt_u32_e32 vcc, s14, v1
	s_and_saveexec_b64 s[0:1], vcc
	s_cbranch_execz .LBB2996_13
; %bb.12:
	v_lshlrev_b32_e32 v18, 2, v1
	v_mov_b32_e32 v19, 0
	v_lshl_add_u64 v[18:19], s[10:11], 0, v[18:19]
	flat_load_dword v4, v[18:19]
.LBB2996_13:
	s_or_b64 exec, exec, s[0:1]
	v_or_b32_e32 v1, 0x600, v0
	v_cmp_gt_u32_e32 vcc, s14, v1
	s_and_saveexec_b64 s[0:1], vcc
	s_cbranch_execz .LBB2996_15
; %bb.14:
	v_lshlrev_b32_e32 v18, 2, v1
	v_mov_b32_e32 v19, 0
	v_lshl_add_u64 v[18:19], s[10:11], 0, v[18:19]
	flat_load_dword v5, v[18:19]
.LBB2996_15:
	;; [unrolled: 11-line block ×13, first 2 shown]
	s_or_b64 exec, exec, s[0:1]
	v_lshlrev_b32_e32 v1, 2, v0
	s_waitcnt vmcnt(0) lgkmcnt(0)
	ds_write2st64_b32 v1, v2, v3 offset1:8
	ds_write2st64_b32 v1, v4, v5 offset0:16 offset1:24
	ds_write2st64_b32 v1, v6, v7 offset0:32 offset1:40
	;; [unrolled: 1-line block ×6, first 2 shown]
	ds_write_b32 v1, v16 offset:28672
	s_waitcnt lgkmcnt(0)
	s_barrier
.LBB2996_38:
	v_mul_u32_u24_e32 v21, 15, v0
	v_lshlrev_b32_e32 v1, 2, v21
	ds_read2_b32 v[36:37], v1 offset1:1
	ds_read2_b32 v[34:35], v1 offset0:2 offset1:3
	ds_read2_b32 v[32:33], v1 offset0:4 offset1:5
	;; [unrolled: 1-line block ×6, first 2 shown]
	ds_read_b32 v1, v1 offset:56
	s_add_u32 s0, s2, s8
	s_addc_u32 s1, s3, s9
	s_add_u32 s0, s0, s6
	s_addc_u32 s1, s1, s7
	s_mov_b64 s[2:3], -1
	s_and_b64 vcc, exec, s[4:5]
	s_waitcnt lgkmcnt(0)
	s_barrier
	s_cbranch_vccz .LBB2996_40
; %bb.39:
	v_lshlrev_b32_e32 v2, 2, v0
	v_mov_b32_e32 v3, 0
	v_lshl_add_u64 v[4:5], s[0:1], 0, v[2:3]
	global_load_dword v8, v2, s[0:1]
	global_load_dword v9, v2, s[0:1] offset:2048
	v_add_co_u32_e32 v2, vcc, 0x1000, v4
	s_mov_b64 s[2:3], 0
	s_nop 0
	v_addc_co_u32_e32 v3, vcc, 0, v5, vcc
	v_add_co_u32_e32 v6, vcc, 0x2000, v4
	s_nop 1
	v_addc_co_u32_e32 v7, vcc, 0, v5, vcc
	global_load_dword v10, v[2:3], off
	global_load_dword v11, v[2:3], off offset:2048
	global_load_dword v12, v[6:7], off
	global_load_dword v13, v[6:7], off offset:2048
	v_add_co_u32_e32 v2, vcc, 0x3000, v4
	s_nop 1
	v_addc_co_u32_e32 v3, vcc, 0, v5, vcc
	v_add_co_u32_e32 v6, vcc, 0x4000, v4
	s_nop 1
	v_addc_co_u32_e32 v7, vcc, 0, v5, vcc
	global_load_dword v14, v[2:3], off
	global_load_dword v15, v[2:3], off offset:2048
	global_load_dword v16, v[6:7], off
	global_load_dword v17, v[6:7], off offset:2048
	v_add_co_u32_e32 v2, vcc, 0x5000, v4
	s_nop 1
	v_addc_co_u32_e32 v3, vcc, 0, v5, vcc
	global_load_dword v6, v[2:3], off
	global_load_dword v7, v[2:3], off offset:2048
	v_add_co_u32_e32 v2, vcc, 0x6000, v4
	s_waitcnt vmcnt(1)
	v_xor_b32_e32 v6, -1, v6
	v_addc_co_u32_e32 v3, vcc, 0, v5, vcc
	global_load_dword v18, v[2:3], off
	global_load_dword v19, v[2:3], off offset:2048
	v_add_co_u32_e32 v2, vcc, 0x7000, v4
	v_xor_b32_e32 v4, -1, v9
	s_nop 0
	v_addc_co_u32_e32 v3, vcc, 0, v5, vcc
	global_load_dword v2, v[2:3], off
	v_xor_b32_e32 v3, -1, v8
	v_and_b32_e32 v3, 1, v3
	v_and_b32_e32 v4, 1, v4
	ds_write_b8 v0, v3
	ds_write_b8 v0, v4 offset:512
	v_xor_b32_e32 v3, -1, v10
	v_xor_b32_e32 v4, -1, v11
	v_and_b32_e32 v3, 1, v3
	v_and_b32_e32 v4, 1, v4
	v_xor_b32_e32 v5, -1, v12
	v_xor_b32_e32 v8, -1, v13
	;; [unrolled: 1-line block ×4, first 2 shown]
	v_and_b32_e32 v5, 1, v5
	v_and_b32_e32 v8, 1, v8
	ds_write_b8 v0, v3 offset:1024
	ds_write_b8 v0, v4 offset:1536
	v_and_b32_e32 v3, 1, v9
	v_and_b32_e32 v4, 1, v10
	v_xor_b32_e32 v9, -1, v16
	v_xor_b32_e32 v10, -1, v17
	s_waitcnt vmcnt(3)
	v_xor_b32_e32 v7, -1, v7
	ds_write_b8 v0, v5 offset:2048
	ds_write_b8 v0, v8 offset:2560
	v_and_b32_e32 v5, 1, v9
	v_and_b32_e32 v8, 1, v10
	ds_write_b8 v0, v3 offset:3072
	ds_write_b8 v0, v4 offset:3584
	v_and_b32_e32 v3, 1, v6
	v_and_b32_e32 v4, 1, v7
	ds_write_b8 v0, v5 offset:4096
	s_waitcnt vmcnt(2)
	v_xor_b32_e32 v6, -1, v18
	s_waitcnt vmcnt(1)
	v_xor_b32_e32 v7, -1, v19
	v_and_b32_e32 v5, 1, v6
	v_and_b32_e32 v6, 1, v7
	s_waitcnt vmcnt(0)
	v_xor_b32_e32 v2, -1, v2
	v_and_b32_e32 v2, 1, v2
	ds_write_b8 v0, v8 offset:4608
	ds_write_b8 v0, v3 offset:5120
	ds_write_b8 v0, v4 offset:5632
	ds_write_b8 v0, v5 offset:6144
	ds_write_b8 v0, v6 offset:6656
	ds_write_b8 v0, v2 offset:7168
	s_waitcnt lgkmcnt(0)
	s_barrier
.LBB2996_40:
	s_andn2_b64 vcc, exec, s[2:3]
	s_cbranch_vccnz .LBB2996_72
; %bb.41:
	v_cmp_gt_u32_e32 vcc, s14, v0
	v_mov_b32_e32 v2, 0
	v_mov_b32_e32 v3, 0
	s_and_saveexec_b64 s[2:3], vcc
	s_cbranch_execz .LBB2996_43
; %bb.42:
	v_lshlrev_b32_e32 v3, 2, v0
	global_load_dword v3, v3, s[0:1]
	s_waitcnt vmcnt(0)
	v_xor_b32_e32 v3, -1, v3
	v_and_b32_e32 v3, 1, v3
.LBB2996_43:
	s_or_b64 exec, exec, s[2:3]
	v_or_b32_e32 v4, 0x200, v0
	v_cmp_gt_u32_e32 vcc, s14, v4
	s_and_saveexec_b64 s[2:3], vcc
	s_cbranch_execz .LBB2996_45
; %bb.44:
	v_lshlrev_b32_e32 v2, 2, v0
	global_load_dword v2, v2, s[0:1] offset:2048
	s_waitcnt vmcnt(0)
	v_xor_b32_e32 v2, -1, v2
	v_and_b32_e32 v2, 1, v2
.LBB2996_45:
	s_or_b64 exec, exec, s[2:3]
	v_or_b32_e32 v6, 0x400, v0
	v_cmp_gt_u32_e32 vcc, s14, v6
	v_mov_b32_e32 v4, 0
	v_mov_b32_e32 v5, 0
	s_and_saveexec_b64 s[2:3], vcc
	s_cbranch_execz .LBB2996_47
; %bb.46:
	v_lshlrev_b32_e32 v5, 2, v6
	global_load_dword v5, v5, s[0:1]
	s_waitcnt vmcnt(0)
	v_xor_b32_e32 v5, -1, v5
	v_and_b32_e32 v5, 1, v5
.LBB2996_47:
	s_or_b64 exec, exec, s[2:3]
	v_or_b32_e32 v6, 0x600, v0
	v_cmp_gt_u32_e32 vcc, s14, v6
	s_and_saveexec_b64 s[2:3], vcc
	s_cbranch_execz .LBB2996_49
; %bb.48:
	v_lshlrev_b32_e32 v4, 2, v6
	global_load_dword v4, v4, s[0:1]
	s_waitcnt vmcnt(0)
	v_xor_b32_e32 v4, -1, v4
	v_and_b32_e32 v4, 1, v4
.LBB2996_49:
	s_or_b64 exec, exec, s[2:3]
	v_or_b32_e32 v8, 0x800, v0
	v_cmp_gt_u32_e32 vcc, s14, v8
	v_mov_b32_e32 v6, 0
	v_mov_b32_e32 v7, 0
	s_and_saveexec_b64 s[2:3], vcc
	s_cbranch_execz .LBB2996_51
; %bb.50:
	v_lshlrev_b32_e32 v7, 2, v8
	global_load_dword v7, v7, s[0:1]
	s_waitcnt vmcnt(0)
	v_xor_b32_e32 v7, -1, v7
	v_and_b32_e32 v7, 1, v7
.LBB2996_51:
	s_or_b64 exec, exec, s[2:3]
	v_or_b32_e32 v8, 0xa00, v0
	v_cmp_gt_u32_e32 vcc, s14, v8
	s_and_saveexec_b64 s[2:3], vcc
	s_cbranch_execz .LBB2996_53
; %bb.52:
	v_lshlrev_b32_e32 v6, 2, v8
	global_load_dword v6, v6, s[0:1]
	s_waitcnt vmcnt(0)
	v_xor_b32_e32 v6, -1, v6
	v_and_b32_e32 v6, 1, v6
.LBB2996_53:
	;; [unrolled: 26-line block ×6, first 2 shown]
	s_or_b64 exec, exec, s[2:3]
	v_or_b32_e32 v17, 0x1c00, v0
	v_cmp_gt_u32_e32 vcc, s14, v17
	v_mov_b32_e32 v16, 0
	s_and_saveexec_b64 s[2:3], vcc
	s_cbranch_execz .LBB2996_71
; %bb.70:
	v_lshlrev_b32_e32 v16, 2, v17
	global_load_dword v16, v16, s[0:1]
	s_waitcnt vmcnt(0)
	v_xor_b32_e32 v16, -1, v16
	v_and_b32_e32 v16, 1, v16
.LBB2996_71:
	s_or_b64 exec, exec, s[2:3]
	ds_write_b8 v0, v3
	ds_write_b8 v0, v2 offset:512
	ds_write_b8 v0, v5 offset:1024
	;; [unrolled: 1-line block ×14, first 2 shown]
	s_waitcnt lgkmcnt(0)
	s_barrier
.LBB2996_72:
	ds_read_b96 v[18:20], v21
	ds_read_u8 v2, v21 offset:12
	ds_read_u8 v3, v21 offset:13
	;; [unrolled: 1-line block ×3, first 2 shown]
	s_cmp_lg_u32 s30, 0
	v_lshrrev_b32_e32 v56, 6, v0
	s_waitcnt lgkmcnt(2)
	v_and_b32_e32 v43, 1, v2
	v_and_b32_e32 v52, 0xff, v18
	v_bfe_u32 v53, v18, 8, 8
	v_bfe_u32 v54, v18, 16, 8
	v_lshrrev_b32_e32 v45, 24, v18
	v_and_b32_e32 v49, 0xff, v19
	v_add3_u32 v2, v53, v52, v54
	v_bfe_u32 v50, v19, 8, 8
	v_bfe_u32 v51, v19, 16, 8
	v_add3_u32 v2, v2, v45, v49
	v_lshrrev_b32_e32 v44, 24, v19
	v_and_b32_e32 v46, 0xff, v20
	v_add3_u32 v2, v2, v50, v51
	v_bfe_u32 v47, v20, 8, 8
	v_bfe_u32 v48, v20, 16, 8
	v_add3_u32 v2, v2, v44, v46
	v_lshrrev_b32_e32 v42, 24, v20
	v_add3_u32 v2, v2, v47, v48
	s_waitcnt lgkmcnt(1)
	v_and_b32_e32 v41, 1, v3
	s_waitcnt lgkmcnt(0)
	v_and_b32_e32 v40, 1, v4
	v_add3_u32 v2, v2, v42, v43
	v_add3_u32 v57, v2, v41, v40
	v_mbcnt_lo_u32_b32 v2, -1, 0
	v_mbcnt_hi_u32_b32 v55, -1, v2
	v_and_b32_e32 v2, 15, v55
	v_cmp_eq_u32_e64 s[14:15], 0, v2
	v_cmp_lt_u32_e64 s[12:13], 1, v2
	v_cmp_lt_u32_e64 s[10:11], 3, v2
	;; [unrolled: 1-line block ×3, first 2 shown]
	v_and_b32_e32 v2, 16, v55
	v_cmp_eq_u32_e64 s[6:7], 0, v2
	v_or_b32_e32 v2, 63, v0
	v_cmp_lt_u32_e64 s[2:3], 31, v55
	v_cmp_eq_u32_e64 s[4:5], v2, v0
	s_barrier
	s_cbranch_scc0 .LBB2996_99
; %bb.73:
	v_mov_b32_dpp v2, v57 row_shr:1 row_mask:0xf bank_mask:0xf
	v_cndmask_b32_e64 v2, v2, 0, s[14:15]
	v_add_u32_e32 v2, v2, v57
	s_nop 1
	v_mov_b32_dpp v3, v2 row_shr:2 row_mask:0xf bank_mask:0xf
	v_cndmask_b32_e64 v3, 0, v3, s[12:13]
	v_add_u32_e32 v2, v2, v3
	s_nop 1
	;; [unrolled: 4-line block ×4, first 2 shown]
	v_mov_b32_dpp v3, v2 row_bcast:15 row_mask:0xf bank_mask:0xf
	v_cndmask_b32_e64 v3, v3, 0, s[6:7]
	v_add_u32_e32 v2, v2, v3
	s_nop 1
	v_mov_b32_dpp v3, v2 row_bcast:31 row_mask:0xf bank_mask:0xf
	v_cndmask_b32_e64 v3, 0, v3, s[2:3]
	v_add_u32_e32 v2, v2, v3
	s_and_saveexec_b64 s[0:1], s[4:5]
	s_cbranch_execz .LBB2996_75
; %bb.74:
	v_lshlrev_b32_e32 v3, 2, v56
	ds_write_b32 v3, v2
.LBB2996_75:
	s_or_b64 exec, exec, s[0:1]
	v_cmp_gt_u32_e32 vcc, 8, v0
	s_waitcnt lgkmcnt(0)
	s_barrier
	s_and_saveexec_b64 s[0:1], vcc
	s_cbranch_execz .LBB2996_77
; %bb.76:
	v_lshlrev_b32_e32 v3, 2, v0
	ds_read_b32 v4, v3
	v_and_b32_e32 v5, 7, v55
	v_cmp_ne_u32_e32 vcc, 0, v5
	s_waitcnt lgkmcnt(0)
	v_mov_b32_dpp v6, v4 row_shr:1 row_mask:0xf bank_mask:0xf
	v_cndmask_b32_e32 v6, 0, v6, vcc
	v_add_u32_e32 v4, v6, v4
	v_cmp_lt_u32_e32 vcc, 1, v5
	s_nop 0
	v_mov_b32_dpp v6, v4 row_shr:2 row_mask:0xf bank_mask:0xf
	v_cndmask_b32_e32 v6, 0, v6, vcc
	v_add_u32_e32 v4, v4, v6
	v_cmp_lt_u32_e32 vcc, 3, v5
	s_nop 0
	v_mov_b32_dpp v6, v4 row_shr:4 row_mask:0xf bank_mask:0xf
	v_cndmask_b32_e32 v5, 0, v6, vcc
	v_add_u32_e32 v4, v4, v5
	ds_write_b32 v3, v4
.LBB2996_77:
	s_or_b64 exec, exec, s[0:1]
	v_cmp_gt_u32_e32 vcc, 64, v0
	v_cmp_lt_u32_e64 s[0:1], 63, v0
	s_waitcnt lgkmcnt(0)
	s_barrier
	s_waitcnt lgkmcnt(0)
                                        ; implicit-def: $vgpr12
	s_and_saveexec_b64 s[16:17], s[0:1]
	s_cbranch_execz .LBB2996_79
; %bb.78:
	v_lshl_add_u32 v3, v56, 2, -4
	ds_read_b32 v12, v3
	s_waitcnt lgkmcnt(0)
	v_add_u32_e32 v2, v12, v2
.LBB2996_79:
	s_or_b64 exec, exec, s[16:17]
	v_add_u32_e32 v3, -1, v55
	v_and_b32_e32 v4, 64, v55
	v_cmp_lt_i32_e64 s[0:1], v3, v4
	v_cmp_eq_u32_e64 s[16:17], 0, v55
	s_nop 0
	v_cndmask_b32_e64 v3, v3, v55, s[0:1]
	v_lshlrev_b32_e32 v3, 2, v3
	ds_bpermute_b32 v13, v3, v2
	s_and_saveexec_b64 s[0:1], vcc
	s_cbranch_execz .LBB2996_98
; %bb.80:
	v_mov_b32_e32 v9, 0
	ds_read_b32 v2, v9 offset:28
	s_and_saveexec_b64 s[26:27], s[16:17]
	s_cbranch_execz .LBB2996_82
; %bb.81:
	s_add_i32 s28, s30, 64
	s_mov_b32 s29, 0
	s_lshl_b64 s[28:29], s[28:29], 3
	s_add_u32 s28, s24, s28
	v_mov_b32_e32 v3, 1
	s_addc_u32 s29, s25, s29
	s_waitcnt lgkmcnt(0)
	global_store_dwordx2 v9, v[2:3], s[28:29] sc1
.LBB2996_82:
	s_or_b64 exec, exec, s[26:27]
	v_xad_u32 v4, v55, -1, s30
	v_add_u32_e32 v8, 64, v4
	v_lshl_add_u64 v[10:11], v[8:9], 3, s[24:25]
	global_load_dwordx2 v[6:7], v[10:11], off sc1
	s_waitcnt vmcnt(0)
	v_cmp_eq_u16_sdwa s[28:29], v7, v9 src0_sel:BYTE_0 src1_sel:DWORD
	s_and_saveexec_b64 s[26:27], s[28:29]
	s_cbranch_execz .LBB2996_86
; %bb.83:
	s_mov_b64 s[28:29], 0
	v_mov_b32_e32 v3, 0
.LBB2996_84:                            ; =>This Inner Loop Header: Depth=1
	global_load_dwordx2 v[6:7], v[10:11], off sc1
	s_waitcnt vmcnt(0)
	v_cmp_ne_u16_sdwa s[34:35], v7, v3 src0_sel:BYTE_0 src1_sel:DWORD
	s_or_b64 s[28:29], s[34:35], s[28:29]
	s_andn2_b64 exec, exec, s[28:29]
	s_cbranch_execnz .LBB2996_84
; %bb.85:
	s_or_b64 exec, exec, s[28:29]
.LBB2996_86:
	s_or_b64 exec, exec, s[26:27]
	v_and_b32_e32 v15, 63, v55
	v_mov_b32_e32 v14, 2
	v_cmp_ne_u32_e32 vcc, 63, v15
	v_cmp_eq_u16_sdwa s[26:27], v7, v14 src0_sel:BYTE_0 src1_sel:DWORD
	v_lshlrev_b64 v[8:9], v55, -1
	v_addc_co_u32_e32 v10, vcc, 0, v55, vcc
	v_and_b32_e32 v3, s27, v9
	v_lshlrev_b32_e32 v16, 2, v10
	v_or_b32_e32 v3, 0x80000000, v3
	ds_bpermute_b32 v10, v16, v6
	v_and_b32_e32 v5, s26, v8
	v_ffbl_b32_e32 v3, v3
	v_add_u32_e32 v3, 32, v3
	v_ffbl_b32_e32 v5, v5
	v_min_u32_e32 v3, v5, v3
	v_cmp_lt_u32_e32 vcc, v15, v3
	v_add_u32_e32 v38, 2, v15
	v_add_u32_e32 v58, 4, v15
	s_waitcnt lgkmcnt(0)
	v_cndmask_b32_e32 v5, 0, v10, vcc
	v_cmp_gt_u32_e32 vcc, 62, v15
	v_add_u32_e32 v5, v5, v6
	v_add_u32_e32 v60, 8, v15
	v_cndmask_b32_e64 v6, 0, 1, vcc
	v_lshlrev_b32_e32 v6, 1, v6
	v_add_lshl_u32 v17, v6, v55, 2
	ds_bpermute_b32 v6, v17, v5
	v_cmp_le_u32_e32 vcc, v38, v3
	v_add_u32_e32 v62, 16, v15
	v_add_u32_e32 v64, 32, v15
	s_waitcnt lgkmcnt(0)
	v_cndmask_b32_e32 v6, 0, v6, vcc
	v_cmp_gt_u32_e32 vcc, 60, v15
	v_add_u32_e32 v5, v5, v6
	s_nop 0
	v_cndmask_b32_e64 v6, 0, 1, vcc
	v_lshlrev_b32_e32 v6, 2, v6
	v_add_lshl_u32 v39, v6, v55, 2
	ds_bpermute_b32 v6, v39, v5
	v_cmp_le_u32_e32 vcc, v58, v3
	s_waitcnt lgkmcnt(0)
	s_nop 0
	v_cndmask_b32_e32 v6, 0, v6, vcc
	v_cmp_gt_u32_e32 vcc, 56, v15
	v_add_u32_e32 v5, v5, v6
	s_nop 0
	v_cndmask_b32_e64 v6, 0, 1, vcc
	v_lshlrev_b32_e32 v6, 3, v6
	v_add_lshl_u32 v59, v6, v55, 2
	ds_bpermute_b32 v6, v59, v5
	v_cmp_le_u32_e32 vcc, v60, v3
	s_waitcnt lgkmcnt(0)
	s_nop 0
	;; [unrolled: 11-line block ×4, first 2 shown]
	v_cndmask_b32_e32 v3, 0, v6, vcc
	v_add_u32_e32 v6, v5, v3
	v_mov_b32_e32 v5, 0
	s_branch .LBB2996_88
.LBB2996_87:                            ;   in Loop: Header=BB2996_88 Depth=1
	s_or_b64 exec, exec, s[26:27]
	v_cmp_eq_u16_sdwa s[26:27], v7, v14 src0_sel:BYTE_0 src1_sel:DWORD
	ds_bpermute_b32 v65, v16, v6
	v_subrev_u32_e32 v4, 64, v4
	v_and_b32_e32 v10, s27, v9
	v_or_b32_e32 v10, 0x80000000, v10
	v_and_b32_e32 v11, s26, v8
	v_ffbl_b32_e32 v10, v10
	v_add_u32_e32 v10, 32, v10
	v_ffbl_b32_e32 v11, v11
	v_min_u32_e32 v10, v11, v10
	v_cmp_lt_u32_e32 vcc, v15, v10
	s_waitcnt lgkmcnt(0)
	s_nop 0
	v_cndmask_b32_e32 v11, 0, v65, vcc
	v_add_u32_e32 v6, v11, v6
	ds_bpermute_b32 v11, v17, v6
	v_cmp_le_u32_e32 vcc, v38, v10
	s_waitcnt lgkmcnt(0)
	s_nop 0
	v_cndmask_b32_e32 v11, 0, v11, vcc
	v_add_u32_e32 v6, v6, v11
	ds_bpermute_b32 v11, v39, v6
	v_cmp_le_u32_e32 vcc, v58, v10
	;; [unrolled: 6-line block ×5, first 2 shown]
	s_waitcnt lgkmcnt(0)
	s_nop 0
	v_cndmask_b32_e32 v10, 0, v11, vcc
	v_add3_u32 v6, v10, v3, v6
.LBB2996_88:                            ; =>This Loop Header: Depth=1
                                        ;     Child Loop BB2996_91 Depth 2
	v_cmp_ne_u16_sdwa s[26:27], v7, v14 src0_sel:BYTE_0 src1_sel:DWORD
	s_nop 1
	v_cndmask_b32_e64 v3, 0, 1, s[26:27]
	;;#ASMSTART
	;;#ASMEND
	s_nop 0
	v_cmp_ne_u32_e32 vcc, 0, v3
	s_cmp_lg_u64 vcc, exec
	v_mov_b32_e32 v3, v6
	s_cbranch_scc1 .LBB2996_93
; %bb.89:                               ;   in Loop: Header=BB2996_88 Depth=1
	v_lshl_add_u64 v[10:11], v[4:5], 3, s[24:25]
	global_load_dwordx2 v[6:7], v[10:11], off sc1
	s_waitcnt vmcnt(0)
	v_cmp_eq_u16_sdwa s[28:29], v7, v5 src0_sel:BYTE_0 src1_sel:DWORD
	s_and_saveexec_b64 s[26:27], s[28:29]
	s_cbranch_execz .LBB2996_87
; %bb.90:                               ;   in Loop: Header=BB2996_88 Depth=1
	s_mov_b64 s[28:29], 0
.LBB2996_91:                            ;   Parent Loop BB2996_88 Depth=1
                                        ; =>  This Inner Loop Header: Depth=2
	global_load_dwordx2 v[6:7], v[10:11], off sc1
	s_waitcnt vmcnt(0)
	v_cmp_ne_u16_sdwa s[34:35], v7, v5 src0_sel:BYTE_0 src1_sel:DWORD
	s_or_b64 s[28:29], s[34:35], s[28:29]
	s_andn2_b64 exec, exec, s[28:29]
	s_cbranch_execnz .LBB2996_91
; %bb.92:                               ;   in Loop: Header=BB2996_88 Depth=1
	s_or_b64 exec, exec, s[28:29]
	s_branch .LBB2996_87
.LBB2996_93:                            ;   in Loop: Header=BB2996_88 Depth=1
                                        ; implicit-def: $vgpr6
                                        ; implicit-def: $vgpr7
	s_cbranch_execz .LBB2996_88
; %bb.94:
	s_and_saveexec_b64 s[26:27], s[16:17]
	s_cbranch_execz .LBB2996_96
; %bb.95:
	s_add_i32 s28, s30, 64
	s_mov_b32 s29, 0
	s_lshl_b64 s[28:29], s[28:29], 3
	s_add_u32 s28, s24, s28
	v_add_u32_e32 v4, v3, v2
	v_mov_b32_e32 v5, 2
	s_addc_u32 s29, s25, s29
	v_mov_b32_e32 v6, 0
	global_store_dwordx2 v6, v[4:5], s[28:29] sc1
	ds_write_b64 v6, v[2:3] offset:30720
.LBB2996_96:
	s_or_b64 exec, exec, s[26:27]
	s_and_b64 exec, exec, s[18:19]
	s_cbranch_execz .LBB2996_98
; %bb.97:
	v_mov_b32_e32 v2, 0
	ds_write_b32 v2, v3 offset:28
.LBB2996_98:
	s_or_b64 exec, exec, s[0:1]
	v_mov_b32_e32 v14, 0
	s_waitcnt lgkmcnt(0)
	s_barrier
	ds_read_b32 v2, v14 offset:28
	v_cndmask_b32_e64 v3, v13, v12, s[16:17]
	v_cndmask_b32_e64 v3, v3, 0, s[18:19]
	s_waitcnt lgkmcnt(0)
	s_barrier
	v_add_u32_e32 v2, v2, v3
	v_add_u32_e32 v3, v2, v52
	;; [unrolled: 1-line block ×11, first 2 shown]
	ds_read_b64 v[38:39], v14 offset:30720
	v_add_u32_e32 v13, v12, v48
	v_add_u32_e32 v14, v13, v42
	;; [unrolled: 1-line block ×4, first 2 shown]
	s_branch .LBB2996_109
.LBB2996_99:
                                        ; implicit-def: $vgpr39
                                        ; implicit-def: $vgpr2_vgpr3_vgpr4_vgpr5_vgpr6_vgpr7_vgpr8_vgpr9_vgpr10_vgpr11_vgpr12_vgpr13_vgpr14_vgpr15_vgpr16_vgpr17
	s_cbranch_execz .LBB2996_109
; %bb.100:
	s_nop 0
	v_mov_b32_dpp v2, v57 row_shr:1 row_mask:0xf bank_mask:0xf
	v_cndmask_b32_e64 v2, v2, 0, s[14:15]
	v_add_u32_e32 v2, v2, v57
	s_nop 1
	v_mov_b32_dpp v3, v2 row_shr:2 row_mask:0xf bank_mask:0xf
	v_cndmask_b32_e64 v3, 0, v3, s[12:13]
	v_add_u32_e32 v2, v2, v3
	s_nop 1
	v_mov_b32_dpp v3, v2 row_shr:4 row_mask:0xf bank_mask:0xf
	v_cndmask_b32_e64 v3, 0, v3, s[10:11]
	v_add_u32_e32 v2, v2, v3
	s_nop 1
	v_mov_b32_dpp v3, v2 row_shr:8 row_mask:0xf bank_mask:0xf
	v_cndmask_b32_e64 v3, 0, v3, s[8:9]
	v_add_u32_e32 v2, v2, v3
	s_nop 1
	v_mov_b32_dpp v3, v2 row_bcast:15 row_mask:0xf bank_mask:0xf
	v_cndmask_b32_e64 v3, v3, 0, s[6:7]
	v_add_u32_e32 v2, v2, v3
	s_nop 1
	v_mov_b32_dpp v3, v2 row_bcast:31 row_mask:0xf bank_mask:0xf
	v_cndmask_b32_e64 v3, 0, v3, s[2:3]
	v_add_u32_e32 v2, v2, v3
	s_and_saveexec_b64 s[0:1], s[4:5]
	s_cbranch_execz .LBB2996_102
; %bb.101:
	v_lshlrev_b32_e32 v3, 2, v56
	ds_write_b32 v3, v2
.LBB2996_102:
	s_or_b64 exec, exec, s[0:1]
	v_cmp_gt_u32_e32 vcc, 8, v0
	s_waitcnt lgkmcnt(0)
	s_barrier
	s_and_saveexec_b64 s[0:1], vcc
	s_cbranch_execz .LBB2996_104
; %bb.103:
	v_mad_i32_i24 v3, v0, -11, v21
	ds_read_b32 v4, v3
	v_and_b32_e32 v5, 7, v55
	v_cmp_ne_u32_e32 vcc, 0, v5
	s_waitcnt lgkmcnt(0)
	v_mov_b32_dpp v6, v4 row_shr:1 row_mask:0xf bank_mask:0xf
	v_cndmask_b32_e32 v6, 0, v6, vcc
	v_add_u32_e32 v4, v6, v4
	v_cmp_lt_u32_e32 vcc, 1, v5
	s_nop 0
	v_mov_b32_dpp v6, v4 row_shr:2 row_mask:0xf bank_mask:0xf
	v_cndmask_b32_e32 v6, 0, v6, vcc
	v_add_u32_e32 v4, v4, v6
	v_cmp_lt_u32_e32 vcc, 3, v5
	s_nop 0
	v_mov_b32_dpp v6, v4 row_shr:4 row_mask:0xf bank_mask:0xf
	v_cndmask_b32_e32 v5, 0, v6, vcc
	v_add_u32_e32 v4, v4, v5
	ds_write_b32 v3, v4
.LBB2996_104:
	s_or_b64 exec, exec, s[0:1]
	v_cmp_lt_u32_e32 vcc, 63, v0
	v_mov_b32_e32 v3, 0
	v_mov_b32_e32 v0, 0
	s_waitcnt lgkmcnt(0)
	s_barrier
	s_and_saveexec_b64 s[0:1], vcc
	s_cbranch_execz .LBB2996_106
; %bb.105:
	v_lshl_add_u32 v0, v56, 2, -4
	ds_read_b32 v0, v0
.LBB2996_106:
	s_or_b64 exec, exec, s[0:1]
	v_add_u32_e32 v4, -1, v55
	v_and_b32_e32 v5, 64, v55
	v_cmp_lt_i32_e32 vcc, v4, v5
	s_waitcnt lgkmcnt(0)
	v_add_u32_e32 v2, v0, v2
	ds_read_b32 v38, v3 offset:28
	v_cndmask_b32_e32 v4, v4, v55, vcc
	v_lshlrev_b32_e32 v4, 2, v4
	ds_bpermute_b32 v2, v4, v2
	s_and_saveexec_b64 s[0:1], s[18:19]
	s_cbranch_execz .LBB2996_108
; %bb.107:
	v_mov_b32_e32 v3, 0
	v_mov_b32_e32 v39, 2
	s_waitcnt lgkmcnt(1)
	global_store_dwordx2 v3, v[38:39], s[24:25] offset:512 sc1
.LBB2996_108:
	s_or_b64 exec, exec, s[0:1]
	v_cmp_eq_u32_e32 vcc, 0, v55
	v_mov_b32_e32 v39, 0
	s_waitcnt lgkmcnt(0)
	v_cndmask_b32_e32 v0, v2, v0, vcc
	v_cndmask_b32_e64 v2, v0, 0, s[18:19]
	v_add_u32_e32 v3, v2, v52
	v_add_u32_e32 v4, v3, v53
	;; [unrolled: 1-line block ×14, first 2 shown]
	s_barrier
.LBB2996_109:
	s_waitcnt lgkmcnt(0)
	v_add_u32_e32 v21, v38, v21
	v_sub_u32_e32 v2, v2, v39
	v_and_b32_e32 v48, 1, v18
	v_sub_u32_e32 v47, v21, v2
	v_cmp_eq_u32_e32 vcc, 1, v48
	v_lshrrev_b32_e32 v46, 8, v18
	v_lshrrev_b32_e32 v17, 8, v19
	v_cndmask_b32_e32 v2, v47, v2, vcc
	v_lshlrev_b32_e32 v2, 2, v2
	ds_write_b32 v2, v36
	v_sub_u32_e32 v2, v3, v39
	v_sub_u32_e32 v3, v21, v2
	v_and_b32_e32 v36, 1, v46
	v_add_u32_e32 v3, 1, v3
	v_cmp_eq_u32_e32 vcc, 1, v36
	v_lshrrev_b32_e32 v0, 8, v20
	v_and_b32_e32 v0, 1, v0
	v_cndmask_b32_e32 v2, v3, v2, vcc
	v_lshlrev_b32_e32 v2, 2, v2
	ds_write_b32 v2, v37
	v_sub_u32_e32 v2, v4, v39
	v_mov_b32_e32 v4, 1
	v_sub_u32_e32 v3, v21, v2
	v_and_b32_sdwa v18, v4, v18 dst_sel:DWORD dst_unused:UNUSED_PAD src0_sel:DWORD src1_sel:WORD_1
	v_add_u32_e32 v3, 2, v3
	v_cmp_eq_u32_e32 vcc, 1, v18
	s_and_b64 s[0:1], s[18:19], s[22:23]
	s_nop 0
	v_cndmask_b32_e32 v2, v3, v2, vcc
	v_lshlrev_b32_e32 v2, 2, v2
	ds_write_b32 v2, v34
	v_sub_u32_e32 v2, v5, v39
	v_sub_u32_e32 v3, v21, v2
	v_and_b32_e32 v5, 1, v45
	v_add_u32_e32 v3, 3, v3
	v_cmp_eq_u32_e32 vcc, 1, v5
	v_and_b32_e32 v5, 1, v19
	s_nop 0
	v_cndmask_b32_e32 v2, v3, v2, vcc
	v_lshlrev_b32_e32 v2, 2, v2
	ds_write_b32 v2, v35
	v_sub_u32_e32 v2, v6, v39
	v_sub_u32_e32 v3, v21, v2
	v_add_u32_e32 v3, 4, v3
	v_cmp_eq_u32_e32 vcc, 1, v5
	v_and_b32_e32 v5, 1, v17
	s_nop 0
	v_cndmask_b32_e32 v2, v3, v2, vcc
	v_lshlrev_b32_e32 v2, 2, v2
	ds_write_b32 v2, v32
	v_sub_u32_e32 v2, v7, v39
	v_sub_u32_e32 v3, v21, v2
	v_add_u32_e32 v3, 5, v3
	v_cmp_eq_u32_e32 vcc, 1, v5
	v_and_b32_sdwa v5, v4, v19 dst_sel:DWORD dst_unused:UNUSED_PAD src0_sel:DWORD src1_sel:WORD_1
	s_nop 0
	v_cndmask_b32_e32 v2, v3, v2, vcc
	v_lshlrev_b32_e32 v2, 2, v2
	ds_write_b32 v2, v33
	v_sub_u32_e32 v2, v8, v39
	v_sub_u32_e32 v3, v21, v2
	v_add_u32_e32 v3, 6, v3
	v_cmp_eq_u32_e32 vcc, 1, v5
	v_and_b32_e32 v5, 1, v44
	s_nop 0
	v_cndmask_b32_e32 v2, v3, v2, vcc
	v_lshlrev_b32_e32 v2, 2, v2
	ds_write_b32 v2, v30
	v_sub_u32_e32 v2, v9, v39
	v_sub_u32_e32 v3, v21, v2
	v_add_u32_e32 v3, 7, v3
	v_cmp_eq_u32_e32 vcc, 1, v5
	v_and_b32_e32 v5, 1, v20
	s_nop 0
	v_cndmask_b32_e32 v2, v3, v2, vcc
	v_lshlrev_b32_e32 v2, 2, v2
	ds_write_b32 v2, v31
	v_sub_u32_e32 v2, v10, v39
	v_sub_u32_e32 v3, v21, v2
	v_add_u32_e32 v3, 8, v3
	v_cmp_eq_u32_e32 vcc, 1, v5
	s_nop 1
	v_cndmask_b32_e32 v2, v3, v2, vcc
	v_lshlrev_b32_e32 v2, 2, v2
	ds_write_b32 v2, v28
	v_sub_u32_e32 v2, v11, v39
	v_sub_u32_e32 v3, v21, v2
	v_add_u32_e32 v3, 9, v3
	v_cmp_eq_u32_e32 vcc, 1, v0
	s_nop 1
	v_cndmask_b32_e32 v0, v3, v2, vcc
	v_lshlrev_b32_e32 v0, 2, v0
	ds_write_b32 v0, v29
	v_sub_u32_e32 v0, v12, v39
	v_sub_u32_e32 v2, v21, v0
	v_and_b32_sdwa v3, v4, v20 dst_sel:DWORD dst_unused:UNUSED_PAD src0_sel:DWORD src1_sel:WORD_1
	v_add_u32_e32 v2, 10, v2
	v_cmp_eq_u32_e32 vcc, 1, v3
	v_and_b32_e32 v3, 1, v42
	s_nop 0
	v_cndmask_b32_e32 v0, v2, v0, vcc
	v_lshlrev_b32_e32 v0, 2, v0
	ds_write_b32 v0, v26
	v_sub_u32_e32 v0, v13, v39
	v_sub_u32_e32 v2, v21, v0
	v_add_u32_e32 v2, 11, v2
	v_cmp_eq_u32_e32 vcc, 1, v3
	s_nop 1
	v_cndmask_b32_e32 v0, v2, v0, vcc
	v_lshlrev_b32_e32 v0, 2, v0
	ds_write_b32 v0, v27
	v_sub_u32_e32 v0, v14, v39
	v_sub_u32_e32 v2, v21, v0
	v_add_u32_e32 v2, 12, v2
	v_cmp_eq_u32_e32 vcc, 1, v43
	;; [unrolled: 8-line block ×4, first 2 shown]
	s_nop 1
	v_cndmask_b32_e32 v0, v2, v0, vcc
	v_lshlrev_b32_e32 v0, 2, v0
	ds_write_b32 v0, v1
	s_waitcnt lgkmcnt(0)
	s_barrier
	s_and_saveexec_b64 s[2:3], s[0:1]
	s_cbranch_execz .LBB2996_111
; %bb.110:
	v_mov_b32_e32 v1, 0
	v_mov_b32_e32 v0, v38
	s_waitcnt vmcnt(0)
	v_lshl_add_u64 v[2:3], v[22:23], 0, v[0:1]
	v_mov_b32_e32 v0, v39
	v_lshl_add_u64 v[2:3], v[2:3], 0, v[0:1]
	global_store_dwordx2 v1, v[2:3], s[20:21]
.LBB2996_111:
	s_endpgm
	.section	.rodata,"a",@progbits
	.p2align	6, 0x0
	.amdhsa_kernel _ZN7rocprim17ROCPRIM_400000_NS6detail17trampoline_kernelINS0_14default_configENS1_25partition_config_selectorILNS1_17partition_subalgoE1EjNS0_10empty_typeEbEEZZNS1_14partition_implILS5_1ELb0ES3_jN6thrust23THRUST_200600_302600_NS6detail15normal_iteratorINSA_10device_ptrIjEEEEPS6_NSA_18transform_iteratorI7is_evenIjESF_NSA_11use_defaultESK_EENS0_5tupleIJNSA_16discard_iteratorISK_EESO_EEENSM_IJSG_SG_EEES6_PlJS6_EEE10hipError_tPvRmT3_T4_T5_T6_T7_T9_mT8_P12ihipStream_tbDpT10_ENKUlT_T0_E_clISt17integral_constantIbLb0EES1A_IbLb1EEEEDaS16_S17_EUlS16_E_NS1_11comp_targetILNS1_3genE5ELNS1_11target_archE942ELNS1_3gpuE9ELNS1_3repE0EEENS1_30default_config_static_selectorELNS0_4arch9wavefront6targetE1EEEvT1_
		.amdhsa_group_segment_fixed_size 30728
		.amdhsa_private_segment_fixed_size 0
		.amdhsa_kernarg_size 160
		.amdhsa_user_sgpr_count 2
		.amdhsa_user_sgpr_dispatch_ptr 0
		.amdhsa_user_sgpr_queue_ptr 0
		.amdhsa_user_sgpr_kernarg_segment_ptr 1
		.amdhsa_user_sgpr_dispatch_id 0
		.amdhsa_user_sgpr_kernarg_preload_length 0
		.amdhsa_user_sgpr_kernarg_preload_offset 0
		.amdhsa_user_sgpr_private_segment_size 0
		.amdhsa_uses_dynamic_stack 0
		.amdhsa_enable_private_segment 0
		.amdhsa_system_sgpr_workgroup_id_x 1
		.amdhsa_system_sgpr_workgroup_id_y 0
		.amdhsa_system_sgpr_workgroup_id_z 0
		.amdhsa_system_sgpr_workgroup_info 0
		.amdhsa_system_vgpr_workitem_id 0
		.amdhsa_next_free_vgpr 66
		.amdhsa_next_free_sgpr 36
		.amdhsa_accum_offset 68
		.amdhsa_reserve_vcc 1
		.amdhsa_float_round_mode_32 0
		.amdhsa_float_round_mode_16_64 0
		.amdhsa_float_denorm_mode_32 3
		.amdhsa_float_denorm_mode_16_64 3
		.amdhsa_dx10_clamp 1
		.amdhsa_ieee_mode 1
		.amdhsa_fp16_overflow 0
		.amdhsa_tg_split 0
		.amdhsa_exception_fp_ieee_invalid_op 0
		.amdhsa_exception_fp_denorm_src 0
		.amdhsa_exception_fp_ieee_div_zero 0
		.amdhsa_exception_fp_ieee_overflow 0
		.amdhsa_exception_fp_ieee_underflow 0
		.amdhsa_exception_fp_ieee_inexact 0
		.amdhsa_exception_int_div_zero 0
	.end_amdhsa_kernel
	.section	.text._ZN7rocprim17ROCPRIM_400000_NS6detail17trampoline_kernelINS0_14default_configENS1_25partition_config_selectorILNS1_17partition_subalgoE1EjNS0_10empty_typeEbEEZZNS1_14partition_implILS5_1ELb0ES3_jN6thrust23THRUST_200600_302600_NS6detail15normal_iteratorINSA_10device_ptrIjEEEEPS6_NSA_18transform_iteratorI7is_evenIjESF_NSA_11use_defaultESK_EENS0_5tupleIJNSA_16discard_iteratorISK_EESO_EEENSM_IJSG_SG_EEES6_PlJS6_EEE10hipError_tPvRmT3_T4_T5_T6_T7_T9_mT8_P12ihipStream_tbDpT10_ENKUlT_T0_E_clISt17integral_constantIbLb0EES1A_IbLb1EEEEDaS16_S17_EUlS16_E_NS1_11comp_targetILNS1_3genE5ELNS1_11target_archE942ELNS1_3gpuE9ELNS1_3repE0EEENS1_30default_config_static_selectorELNS0_4arch9wavefront6targetE1EEEvT1_,"axG",@progbits,_ZN7rocprim17ROCPRIM_400000_NS6detail17trampoline_kernelINS0_14default_configENS1_25partition_config_selectorILNS1_17partition_subalgoE1EjNS0_10empty_typeEbEEZZNS1_14partition_implILS5_1ELb0ES3_jN6thrust23THRUST_200600_302600_NS6detail15normal_iteratorINSA_10device_ptrIjEEEEPS6_NSA_18transform_iteratorI7is_evenIjESF_NSA_11use_defaultESK_EENS0_5tupleIJNSA_16discard_iteratorISK_EESO_EEENSM_IJSG_SG_EEES6_PlJS6_EEE10hipError_tPvRmT3_T4_T5_T6_T7_T9_mT8_P12ihipStream_tbDpT10_ENKUlT_T0_E_clISt17integral_constantIbLb0EES1A_IbLb1EEEEDaS16_S17_EUlS16_E_NS1_11comp_targetILNS1_3genE5ELNS1_11target_archE942ELNS1_3gpuE9ELNS1_3repE0EEENS1_30default_config_static_selectorELNS0_4arch9wavefront6targetE1EEEvT1_,comdat
.Lfunc_end2996:
	.size	_ZN7rocprim17ROCPRIM_400000_NS6detail17trampoline_kernelINS0_14default_configENS1_25partition_config_selectorILNS1_17partition_subalgoE1EjNS0_10empty_typeEbEEZZNS1_14partition_implILS5_1ELb0ES3_jN6thrust23THRUST_200600_302600_NS6detail15normal_iteratorINSA_10device_ptrIjEEEEPS6_NSA_18transform_iteratorI7is_evenIjESF_NSA_11use_defaultESK_EENS0_5tupleIJNSA_16discard_iteratorISK_EESO_EEENSM_IJSG_SG_EEES6_PlJS6_EEE10hipError_tPvRmT3_T4_T5_T6_T7_T9_mT8_P12ihipStream_tbDpT10_ENKUlT_T0_E_clISt17integral_constantIbLb0EES1A_IbLb1EEEEDaS16_S17_EUlS16_E_NS1_11comp_targetILNS1_3genE5ELNS1_11target_archE942ELNS1_3gpuE9ELNS1_3repE0EEENS1_30default_config_static_selectorELNS0_4arch9wavefront6targetE1EEEvT1_, .Lfunc_end2996-_ZN7rocprim17ROCPRIM_400000_NS6detail17trampoline_kernelINS0_14default_configENS1_25partition_config_selectorILNS1_17partition_subalgoE1EjNS0_10empty_typeEbEEZZNS1_14partition_implILS5_1ELb0ES3_jN6thrust23THRUST_200600_302600_NS6detail15normal_iteratorINSA_10device_ptrIjEEEEPS6_NSA_18transform_iteratorI7is_evenIjESF_NSA_11use_defaultESK_EENS0_5tupleIJNSA_16discard_iteratorISK_EESO_EEENSM_IJSG_SG_EEES6_PlJS6_EEE10hipError_tPvRmT3_T4_T5_T6_T7_T9_mT8_P12ihipStream_tbDpT10_ENKUlT_T0_E_clISt17integral_constantIbLb0EES1A_IbLb1EEEEDaS16_S17_EUlS16_E_NS1_11comp_targetILNS1_3genE5ELNS1_11target_archE942ELNS1_3gpuE9ELNS1_3repE0EEENS1_30default_config_static_selectorELNS0_4arch9wavefront6targetE1EEEvT1_
                                        ; -- End function
	.section	.AMDGPU.csdata,"",@progbits
; Kernel info:
; codeLenInByte = 5944
; NumSgprs: 42
; NumVgprs: 66
; NumAgprs: 0
; TotalNumVgprs: 66
; ScratchSize: 0
; MemoryBound: 0
; FloatMode: 240
; IeeeMode: 1
; LDSByteSize: 30728 bytes/workgroup (compile time only)
; SGPRBlocks: 5
; VGPRBlocks: 8
; NumSGPRsForWavesPerEU: 42
; NumVGPRsForWavesPerEU: 66
; AccumOffset: 68
; Occupancy: 4
; WaveLimiterHint : 1
; COMPUTE_PGM_RSRC2:SCRATCH_EN: 0
; COMPUTE_PGM_RSRC2:USER_SGPR: 2
; COMPUTE_PGM_RSRC2:TRAP_HANDLER: 0
; COMPUTE_PGM_RSRC2:TGID_X_EN: 1
; COMPUTE_PGM_RSRC2:TGID_Y_EN: 0
; COMPUTE_PGM_RSRC2:TGID_Z_EN: 0
; COMPUTE_PGM_RSRC2:TIDIG_COMP_CNT: 0
; COMPUTE_PGM_RSRC3_GFX90A:ACCUM_OFFSET: 16
; COMPUTE_PGM_RSRC3_GFX90A:TG_SPLIT: 0
	.section	.text._ZN7rocprim17ROCPRIM_400000_NS6detail17trampoline_kernelINS0_14default_configENS1_25partition_config_selectorILNS1_17partition_subalgoE1EjNS0_10empty_typeEbEEZZNS1_14partition_implILS5_1ELb0ES3_jN6thrust23THRUST_200600_302600_NS6detail15normal_iteratorINSA_10device_ptrIjEEEEPS6_NSA_18transform_iteratorI7is_evenIjESF_NSA_11use_defaultESK_EENS0_5tupleIJNSA_16discard_iteratorISK_EESO_EEENSM_IJSG_SG_EEES6_PlJS6_EEE10hipError_tPvRmT3_T4_T5_T6_T7_T9_mT8_P12ihipStream_tbDpT10_ENKUlT_T0_E_clISt17integral_constantIbLb0EES1A_IbLb1EEEEDaS16_S17_EUlS16_E_NS1_11comp_targetILNS1_3genE4ELNS1_11target_archE910ELNS1_3gpuE8ELNS1_3repE0EEENS1_30default_config_static_selectorELNS0_4arch9wavefront6targetE1EEEvT1_,"axG",@progbits,_ZN7rocprim17ROCPRIM_400000_NS6detail17trampoline_kernelINS0_14default_configENS1_25partition_config_selectorILNS1_17partition_subalgoE1EjNS0_10empty_typeEbEEZZNS1_14partition_implILS5_1ELb0ES3_jN6thrust23THRUST_200600_302600_NS6detail15normal_iteratorINSA_10device_ptrIjEEEEPS6_NSA_18transform_iteratorI7is_evenIjESF_NSA_11use_defaultESK_EENS0_5tupleIJNSA_16discard_iteratorISK_EESO_EEENSM_IJSG_SG_EEES6_PlJS6_EEE10hipError_tPvRmT3_T4_T5_T6_T7_T9_mT8_P12ihipStream_tbDpT10_ENKUlT_T0_E_clISt17integral_constantIbLb0EES1A_IbLb1EEEEDaS16_S17_EUlS16_E_NS1_11comp_targetILNS1_3genE4ELNS1_11target_archE910ELNS1_3gpuE8ELNS1_3repE0EEENS1_30default_config_static_selectorELNS0_4arch9wavefront6targetE1EEEvT1_,comdat
	.protected	_ZN7rocprim17ROCPRIM_400000_NS6detail17trampoline_kernelINS0_14default_configENS1_25partition_config_selectorILNS1_17partition_subalgoE1EjNS0_10empty_typeEbEEZZNS1_14partition_implILS5_1ELb0ES3_jN6thrust23THRUST_200600_302600_NS6detail15normal_iteratorINSA_10device_ptrIjEEEEPS6_NSA_18transform_iteratorI7is_evenIjESF_NSA_11use_defaultESK_EENS0_5tupleIJNSA_16discard_iteratorISK_EESO_EEENSM_IJSG_SG_EEES6_PlJS6_EEE10hipError_tPvRmT3_T4_T5_T6_T7_T9_mT8_P12ihipStream_tbDpT10_ENKUlT_T0_E_clISt17integral_constantIbLb0EES1A_IbLb1EEEEDaS16_S17_EUlS16_E_NS1_11comp_targetILNS1_3genE4ELNS1_11target_archE910ELNS1_3gpuE8ELNS1_3repE0EEENS1_30default_config_static_selectorELNS0_4arch9wavefront6targetE1EEEvT1_ ; -- Begin function _ZN7rocprim17ROCPRIM_400000_NS6detail17trampoline_kernelINS0_14default_configENS1_25partition_config_selectorILNS1_17partition_subalgoE1EjNS0_10empty_typeEbEEZZNS1_14partition_implILS5_1ELb0ES3_jN6thrust23THRUST_200600_302600_NS6detail15normal_iteratorINSA_10device_ptrIjEEEEPS6_NSA_18transform_iteratorI7is_evenIjESF_NSA_11use_defaultESK_EENS0_5tupleIJNSA_16discard_iteratorISK_EESO_EEENSM_IJSG_SG_EEES6_PlJS6_EEE10hipError_tPvRmT3_T4_T5_T6_T7_T9_mT8_P12ihipStream_tbDpT10_ENKUlT_T0_E_clISt17integral_constantIbLb0EES1A_IbLb1EEEEDaS16_S17_EUlS16_E_NS1_11comp_targetILNS1_3genE4ELNS1_11target_archE910ELNS1_3gpuE8ELNS1_3repE0EEENS1_30default_config_static_selectorELNS0_4arch9wavefront6targetE1EEEvT1_
	.globl	_ZN7rocprim17ROCPRIM_400000_NS6detail17trampoline_kernelINS0_14default_configENS1_25partition_config_selectorILNS1_17partition_subalgoE1EjNS0_10empty_typeEbEEZZNS1_14partition_implILS5_1ELb0ES3_jN6thrust23THRUST_200600_302600_NS6detail15normal_iteratorINSA_10device_ptrIjEEEEPS6_NSA_18transform_iteratorI7is_evenIjESF_NSA_11use_defaultESK_EENS0_5tupleIJNSA_16discard_iteratorISK_EESO_EEENSM_IJSG_SG_EEES6_PlJS6_EEE10hipError_tPvRmT3_T4_T5_T6_T7_T9_mT8_P12ihipStream_tbDpT10_ENKUlT_T0_E_clISt17integral_constantIbLb0EES1A_IbLb1EEEEDaS16_S17_EUlS16_E_NS1_11comp_targetILNS1_3genE4ELNS1_11target_archE910ELNS1_3gpuE8ELNS1_3repE0EEENS1_30default_config_static_selectorELNS0_4arch9wavefront6targetE1EEEvT1_
	.p2align	8
	.type	_ZN7rocprim17ROCPRIM_400000_NS6detail17trampoline_kernelINS0_14default_configENS1_25partition_config_selectorILNS1_17partition_subalgoE1EjNS0_10empty_typeEbEEZZNS1_14partition_implILS5_1ELb0ES3_jN6thrust23THRUST_200600_302600_NS6detail15normal_iteratorINSA_10device_ptrIjEEEEPS6_NSA_18transform_iteratorI7is_evenIjESF_NSA_11use_defaultESK_EENS0_5tupleIJNSA_16discard_iteratorISK_EESO_EEENSM_IJSG_SG_EEES6_PlJS6_EEE10hipError_tPvRmT3_T4_T5_T6_T7_T9_mT8_P12ihipStream_tbDpT10_ENKUlT_T0_E_clISt17integral_constantIbLb0EES1A_IbLb1EEEEDaS16_S17_EUlS16_E_NS1_11comp_targetILNS1_3genE4ELNS1_11target_archE910ELNS1_3gpuE8ELNS1_3repE0EEENS1_30default_config_static_selectorELNS0_4arch9wavefront6targetE1EEEvT1_,@function
_ZN7rocprim17ROCPRIM_400000_NS6detail17trampoline_kernelINS0_14default_configENS1_25partition_config_selectorILNS1_17partition_subalgoE1EjNS0_10empty_typeEbEEZZNS1_14partition_implILS5_1ELb0ES3_jN6thrust23THRUST_200600_302600_NS6detail15normal_iteratorINSA_10device_ptrIjEEEEPS6_NSA_18transform_iteratorI7is_evenIjESF_NSA_11use_defaultESK_EENS0_5tupleIJNSA_16discard_iteratorISK_EESO_EEENSM_IJSG_SG_EEES6_PlJS6_EEE10hipError_tPvRmT3_T4_T5_T6_T7_T9_mT8_P12ihipStream_tbDpT10_ENKUlT_T0_E_clISt17integral_constantIbLb0EES1A_IbLb1EEEEDaS16_S17_EUlS16_E_NS1_11comp_targetILNS1_3genE4ELNS1_11target_archE910ELNS1_3gpuE8ELNS1_3repE0EEENS1_30default_config_static_selectorELNS0_4arch9wavefront6targetE1EEEvT1_: ; @_ZN7rocprim17ROCPRIM_400000_NS6detail17trampoline_kernelINS0_14default_configENS1_25partition_config_selectorILNS1_17partition_subalgoE1EjNS0_10empty_typeEbEEZZNS1_14partition_implILS5_1ELb0ES3_jN6thrust23THRUST_200600_302600_NS6detail15normal_iteratorINSA_10device_ptrIjEEEEPS6_NSA_18transform_iteratorI7is_evenIjESF_NSA_11use_defaultESK_EENS0_5tupleIJNSA_16discard_iteratorISK_EESO_EEENSM_IJSG_SG_EEES6_PlJS6_EEE10hipError_tPvRmT3_T4_T5_T6_T7_T9_mT8_P12ihipStream_tbDpT10_ENKUlT_T0_E_clISt17integral_constantIbLb0EES1A_IbLb1EEEEDaS16_S17_EUlS16_E_NS1_11comp_targetILNS1_3genE4ELNS1_11target_archE910ELNS1_3gpuE8ELNS1_3repE0EEENS1_30default_config_static_selectorELNS0_4arch9wavefront6targetE1EEEvT1_
; %bb.0:
	.section	.rodata,"a",@progbits
	.p2align	6, 0x0
	.amdhsa_kernel _ZN7rocprim17ROCPRIM_400000_NS6detail17trampoline_kernelINS0_14default_configENS1_25partition_config_selectorILNS1_17partition_subalgoE1EjNS0_10empty_typeEbEEZZNS1_14partition_implILS5_1ELb0ES3_jN6thrust23THRUST_200600_302600_NS6detail15normal_iteratorINSA_10device_ptrIjEEEEPS6_NSA_18transform_iteratorI7is_evenIjESF_NSA_11use_defaultESK_EENS0_5tupleIJNSA_16discard_iteratorISK_EESO_EEENSM_IJSG_SG_EEES6_PlJS6_EEE10hipError_tPvRmT3_T4_T5_T6_T7_T9_mT8_P12ihipStream_tbDpT10_ENKUlT_T0_E_clISt17integral_constantIbLb0EES1A_IbLb1EEEEDaS16_S17_EUlS16_E_NS1_11comp_targetILNS1_3genE4ELNS1_11target_archE910ELNS1_3gpuE8ELNS1_3repE0EEENS1_30default_config_static_selectorELNS0_4arch9wavefront6targetE1EEEvT1_
		.amdhsa_group_segment_fixed_size 0
		.amdhsa_private_segment_fixed_size 0
		.amdhsa_kernarg_size 160
		.amdhsa_user_sgpr_count 2
		.amdhsa_user_sgpr_dispatch_ptr 0
		.amdhsa_user_sgpr_queue_ptr 0
		.amdhsa_user_sgpr_kernarg_segment_ptr 1
		.amdhsa_user_sgpr_dispatch_id 0
		.amdhsa_user_sgpr_kernarg_preload_length 0
		.amdhsa_user_sgpr_kernarg_preload_offset 0
		.amdhsa_user_sgpr_private_segment_size 0
		.amdhsa_uses_dynamic_stack 0
		.amdhsa_enable_private_segment 0
		.amdhsa_system_sgpr_workgroup_id_x 1
		.amdhsa_system_sgpr_workgroup_id_y 0
		.amdhsa_system_sgpr_workgroup_id_z 0
		.amdhsa_system_sgpr_workgroup_info 0
		.amdhsa_system_vgpr_workitem_id 0
		.amdhsa_next_free_vgpr 1
		.amdhsa_next_free_sgpr 0
		.amdhsa_accum_offset 4
		.amdhsa_reserve_vcc 0
		.amdhsa_float_round_mode_32 0
		.amdhsa_float_round_mode_16_64 0
		.amdhsa_float_denorm_mode_32 3
		.amdhsa_float_denorm_mode_16_64 3
		.amdhsa_dx10_clamp 1
		.amdhsa_ieee_mode 1
		.amdhsa_fp16_overflow 0
		.amdhsa_tg_split 0
		.amdhsa_exception_fp_ieee_invalid_op 0
		.amdhsa_exception_fp_denorm_src 0
		.amdhsa_exception_fp_ieee_div_zero 0
		.amdhsa_exception_fp_ieee_overflow 0
		.amdhsa_exception_fp_ieee_underflow 0
		.amdhsa_exception_fp_ieee_inexact 0
		.amdhsa_exception_int_div_zero 0
	.end_amdhsa_kernel
	.section	.text._ZN7rocprim17ROCPRIM_400000_NS6detail17trampoline_kernelINS0_14default_configENS1_25partition_config_selectorILNS1_17partition_subalgoE1EjNS0_10empty_typeEbEEZZNS1_14partition_implILS5_1ELb0ES3_jN6thrust23THRUST_200600_302600_NS6detail15normal_iteratorINSA_10device_ptrIjEEEEPS6_NSA_18transform_iteratorI7is_evenIjESF_NSA_11use_defaultESK_EENS0_5tupleIJNSA_16discard_iteratorISK_EESO_EEENSM_IJSG_SG_EEES6_PlJS6_EEE10hipError_tPvRmT3_T4_T5_T6_T7_T9_mT8_P12ihipStream_tbDpT10_ENKUlT_T0_E_clISt17integral_constantIbLb0EES1A_IbLb1EEEEDaS16_S17_EUlS16_E_NS1_11comp_targetILNS1_3genE4ELNS1_11target_archE910ELNS1_3gpuE8ELNS1_3repE0EEENS1_30default_config_static_selectorELNS0_4arch9wavefront6targetE1EEEvT1_,"axG",@progbits,_ZN7rocprim17ROCPRIM_400000_NS6detail17trampoline_kernelINS0_14default_configENS1_25partition_config_selectorILNS1_17partition_subalgoE1EjNS0_10empty_typeEbEEZZNS1_14partition_implILS5_1ELb0ES3_jN6thrust23THRUST_200600_302600_NS6detail15normal_iteratorINSA_10device_ptrIjEEEEPS6_NSA_18transform_iteratorI7is_evenIjESF_NSA_11use_defaultESK_EENS0_5tupleIJNSA_16discard_iteratorISK_EESO_EEENSM_IJSG_SG_EEES6_PlJS6_EEE10hipError_tPvRmT3_T4_T5_T6_T7_T9_mT8_P12ihipStream_tbDpT10_ENKUlT_T0_E_clISt17integral_constantIbLb0EES1A_IbLb1EEEEDaS16_S17_EUlS16_E_NS1_11comp_targetILNS1_3genE4ELNS1_11target_archE910ELNS1_3gpuE8ELNS1_3repE0EEENS1_30default_config_static_selectorELNS0_4arch9wavefront6targetE1EEEvT1_,comdat
.Lfunc_end2997:
	.size	_ZN7rocprim17ROCPRIM_400000_NS6detail17trampoline_kernelINS0_14default_configENS1_25partition_config_selectorILNS1_17partition_subalgoE1EjNS0_10empty_typeEbEEZZNS1_14partition_implILS5_1ELb0ES3_jN6thrust23THRUST_200600_302600_NS6detail15normal_iteratorINSA_10device_ptrIjEEEEPS6_NSA_18transform_iteratorI7is_evenIjESF_NSA_11use_defaultESK_EENS0_5tupleIJNSA_16discard_iteratorISK_EESO_EEENSM_IJSG_SG_EEES6_PlJS6_EEE10hipError_tPvRmT3_T4_T5_T6_T7_T9_mT8_P12ihipStream_tbDpT10_ENKUlT_T0_E_clISt17integral_constantIbLb0EES1A_IbLb1EEEEDaS16_S17_EUlS16_E_NS1_11comp_targetILNS1_3genE4ELNS1_11target_archE910ELNS1_3gpuE8ELNS1_3repE0EEENS1_30default_config_static_selectorELNS0_4arch9wavefront6targetE1EEEvT1_, .Lfunc_end2997-_ZN7rocprim17ROCPRIM_400000_NS6detail17trampoline_kernelINS0_14default_configENS1_25partition_config_selectorILNS1_17partition_subalgoE1EjNS0_10empty_typeEbEEZZNS1_14partition_implILS5_1ELb0ES3_jN6thrust23THRUST_200600_302600_NS6detail15normal_iteratorINSA_10device_ptrIjEEEEPS6_NSA_18transform_iteratorI7is_evenIjESF_NSA_11use_defaultESK_EENS0_5tupleIJNSA_16discard_iteratorISK_EESO_EEENSM_IJSG_SG_EEES6_PlJS6_EEE10hipError_tPvRmT3_T4_T5_T6_T7_T9_mT8_P12ihipStream_tbDpT10_ENKUlT_T0_E_clISt17integral_constantIbLb0EES1A_IbLb1EEEEDaS16_S17_EUlS16_E_NS1_11comp_targetILNS1_3genE4ELNS1_11target_archE910ELNS1_3gpuE8ELNS1_3repE0EEENS1_30default_config_static_selectorELNS0_4arch9wavefront6targetE1EEEvT1_
                                        ; -- End function
	.section	.AMDGPU.csdata,"",@progbits
; Kernel info:
; codeLenInByte = 0
; NumSgprs: 6
; NumVgprs: 0
; NumAgprs: 0
; TotalNumVgprs: 0
; ScratchSize: 0
; MemoryBound: 0
; FloatMode: 240
; IeeeMode: 1
; LDSByteSize: 0 bytes/workgroup (compile time only)
; SGPRBlocks: 0
; VGPRBlocks: 0
; NumSGPRsForWavesPerEU: 6
; NumVGPRsForWavesPerEU: 1
; AccumOffset: 4
; Occupancy: 8
; WaveLimiterHint : 0
; COMPUTE_PGM_RSRC2:SCRATCH_EN: 0
; COMPUTE_PGM_RSRC2:USER_SGPR: 2
; COMPUTE_PGM_RSRC2:TRAP_HANDLER: 0
; COMPUTE_PGM_RSRC2:TGID_X_EN: 1
; COMPUTE_PGM_RSRC2:TGID_Y_EN: 0
; COMPUTE_PGM_RSRC2:TGID_Z_EN: 0
; COMPUTE_PGM_RSRC2:TIDIG_COMP_CNT: 0
; COMPUTE_PGM_RSRC3_GFX90A:ACCUM_OFFSET: 0
; COMPUTE_PGM_RSRC3_GFX90A:TG_SPLIT: 0
	.section	.text._ZN7rocprim17ROCPRIM_400000_NS6detail17trampoline_kernelINS0_14default_configENS1_25partition_config_selectorILNS1_17partition_subalgoE1EjNS0_10empty_typeEbEEZZNS1_14partition_implILS5_1ELb0ES3_jN6thrust23THRUST_200600_302600_NS6detail15normal_iteratorINSA_10device_ptrIjEEEEPS6_NSA_18transform_iteratorI7is_evenIjESF_NSA_11use_defaultESK_EENS0_5tupleIJNSA_16discard_iteratorISK_EESO_EEENSM_IJSG_SG_EEES6_PlJS6_EEE10hipError_tPvRmT3_T4_T5_T6_T7_T9_mT8_P12ihipStream_tbDpT10_ENKUlT_T0_E_clISt17integral_constantIbLb0EES1A_IbLb1EEEEDaS16_S17_EUlS16_E_NS1_11comp_targetILNS1_3genE3ELNS1_11target_archE908ELNS1_3gpuE7ELNS1_3repE0EEENS1_30default_config_static_selectorELNS0_4arch9wavefront6targetE1EEEvT1_,"axG",@progbits,_ZN7rocprim17ROCPRIM_400000_NS6detail17trampoline_kernelINS0_14default_configENS1_25partition_config_selectorILNS1_17partition_subalgoE1EjNS0_10empty_typeEbEEZZNS1_14partition_implILS5_1ELb0ES3_jN6thrust23THRUST_200600_302600_NS6detail15normal_iteratorINSA_10device_ptrIjEEEEPS6_NSA_18transform_iteratorI7is_evenIjESF_NSA_11use_defaultESK_EENS0_5tupleIJNSA_16discard_iteratorISK_EESO_EEENSM_IJSG_SG_EEES6_PlJS6_EEE10hipError_tPvRmT3_T4_T5_T6_T7_T9_mT8_P12ihipStream_tbDpT10_ENKUlT_T0_E_clISt17integral_constantIbLb0EES1A_IbLb1EEEEDaS16_S17_EUlS16_E_NS1_11comp_targetILNS1_3genE3ELNS1_11target_archE908ELNS1_3gpuE7ELNS1_3repE0EEENS1_30default_config_static_selectorELNS0_4arch9wavefront6targetE1EEEvT1_,comdat
	.protected	_ZN7rocprim17ROCPRIM_400000_NS6detail17trampoline_kernelINS0_14default_configENS1_25partition_config_selectorILNS1_17partition_subalgoE1EjNS0_10empty_typeEbEEZZNS1_14partition_implILS5_1ELb0ES3_jN6thrust23THRUST_200600_302600_NS6detail15normal_iteratorINSA_10device_ptrIjEEEEPS6_NSA_18transform_iteratorI7is_evenIjESF_NSA_11use_defaultESK_EENS0_5tupleIJNSA_16discard_iteratorISK_EESO_EEENSM_IJSG_SG_EEES6_PlJS6_EEE10hipError_tPvRmT3_T4_T5_T6_T7_T9_mT8_P12ihipStream_tbDpT10_ENKUlT_T0_E_clISt17integral_constantIbLb0EES1A_IbLb1EEEEDaS16_S17_EUlS16_E_NS1_11comp_targetILNS1_3genE3ELNS1_11target_archE908ELNS1_3gpuE7ELNS1_3repE0EEENS1_30default_config_static_selectorELNS0_4arch9wavefront6targetE1EEEvT1_ ; -- Begin function _ZN7rocprim17ROCPRIM_400000_NS6detail17trampoline_kernelINS0_14default_configENS1_25partition_config_selectorILNS1_17partition_subalgoE1EjNS0_10empty_typeEbEEZZNS1_14partition_implILS5_1ELb0ES3_jN6thrust23THRUST_200600_302600_NS6detail15normal_iteratorINSA_10device_ptrIjEEEEPS6_NSA_18transform_iteratorI7is_evenIjESF_NSA_11use_defaultESK_EENS0_5tupleIJNSA_16discard_iteratorISK_EESO_EEENSM_IJSG_SG_EEES6_PlJS6_EEE10hipError_tPvRmT3_T4_T5_T6_T7_T9_mT8_P12ihipStream_tbDpT10_ENKUlT_T0_E_clISt17integral_constantIbLb0EES1A_IbLb1EEEEDaS16_S17_EUlS16_E_NS1_11comp_targetILNS1_3genE3ELNS1_11target_archE908ELNS1_3gpuE7ELNS1_3repE0EEENS1_30default_config_static_selectorELNS0_4arch9wavefront6targetE1EEEvT1_
	.globl	_ZN7rocprim17ROCPRIM_400000_NS6detail17trampoline_kernelINS0_14default_configENS1_25partition_config_selectorILNS1_17partition_subalgoE1EjNS0_10empty_typeEbEEZZNS1_14partition_implILS5_1ELb0ES3_jN6thrust23THRUST_200600_302600_NS6detail15normal_iteratorINSA_10device_ptrIjEEEEPS6_NSA_18transform_iteratorI7is_evenIjESF_NSA_11use_defaultESK_EENS0_5tupleIJNSA_16discard_iteratorISK_EESO_EEENSM_IJSG_SG_EEES6_PlJS6_EEE10hipError_tPvRmT3_T4_T5_T6_T7_T9_mT8_P12ihipStream_tbDpT10_ENKUlT_T0_E_clISt17integral_constantIbLb0EES1A_IbLb1EEEEDaS16_S17_EUlS16_E_NS1_11comp_targetILNS1_3genE3ELNS1_11target_archE908ELNS1_3gpuE7ELNS1_3repE0EEENS1_30default_config_static_selectorELNS0_4arch9wavefront6targetE1EEEvT1_
	.p2align	8
	.type	_ZN7rocprim17ROCPRIM_400000_NS6detail17trampoline_kernelINS0_14default_configENS1_25partition_config_selectorILNS1_17partition_subalgoE1EjNS0_10empty_typeEbEEZZNS1_14partition_implILS5_1ELb0ES3_jN6thrust23THRUST_200600_302600_NS6detail15normal_iteratorINSA_10device_ptrIjEEEEPS6_NSA_18transform_iteratorI7is_evenIjESF_NSA_11use_defaultESK_EENS0_5tupleIJNSA_16discard_iteratorISK_EESO_EEENSM_IJSG_SG_EEES6_PlJS6_EEE10hipError_tPvRmT3_T4_T5_T6_T7_T9_mT8_P12ihipStream_tbDpT10_ENKUlT_T0_E_clISt17integral_constantIbLb0EES1A_IbLb1EEEEDaS16_S17_EUlS16_E_NS1_11comp_targetILNS1_3genE3ELNS1_11target_archE908ELNS1_3gpuE7ELNS1_3repE0EEENS1_30default_config_static_selectorELNS0_4arch9wavefront6targetE1EEEvT1_,@function
_ZN7rocprim17ROCPRIM_400000_NS6detail17trampoline_kernelINS0_14default_configENS1_25partition_config_selectorILNS1_17partition_subalgoE1EjNS0_10empty_typeEbEEZZNS1_14partition_implILS5_1ELb0ES3_jN6thrust23THRUST_200600_302600_NS6detail15normal_iteratorINSA_10device_ptrIjEEEEPS6_NSA_18transform_iteratorI7is_evenIjESF_NSA_11use_defaultESK_EENS0_5tupleIJNSA_16discard_iteratorISK_EESO_EEENSM_IJSG_SG_EEES6_PlJS6_EEE10hipError_tPvRmT3_T4_T5_T6_T7_T9_mT8_P12ihipStream_tbDpT10_ENKUlT_T0_E_clISt17integral_constantIbLb0EES1A_IbLb1EEEEDaS16_S17_EUlS16_E_NS1_11comp_targetILNS1_3genE3ELNS1_11target_archE908ELNS1_3gpuE7ELNS1_3repE0EEENS1_30default_config_static_selectorELNS0_4arch9wavefront6targetE1EEEvT1_: ; @_ZN7rocprim17ROCPRIM_400000_NS6detail17trampoline_kernelINS0_14default_configENS1_25partition_config_selectorILNS1_17partition_subalgoE1EjNS0_10empty_typeEbEEZZNS1_14partition_implILS5_1ELb0ES3_jN6thrust23THRUST_200600_302600_NS6detail15normal_iteratorINSA_10device_ptrIjEEEEPS6_NSA_18transform_iteratorI7is_evenIjESF_NSA_11use_defaultESK_EENS0_5tupleIJNSA_16discard_iteratorISK_EESO_EEENSM_IJSG_SG_EEES6_PlJS6_EEE10hipError_tPvRmT3_T4_T5_T6_T7_T9_mT8_P12ihipStream_tbDpT10_ENKUlT_T0_E_clISt17integral_constantIbLb0EES1A_IbLb1EEEEDaS16_S17_EUlS16_E_NS1_11comp_targetILNS1_3genE3ELNS1_11target_archE908ELNS1_3gpuE7ELNS1_3repE0EEENS1_30default_config_static_selectorELNS0_4arch9wavefront6targetE1EEEvT1_
; %bb.0:
	.section	.rodata,"a",@progbits
	.p2align	6, 0x0
	.amdhsa_kernel _ZN7rocprim17ROCPRIM_400000_NS6detail17trampoline_kernelINS0_14default_configENS1_25partition_config_selectorILNS1_17partition_subalgoE1EjNS0_10empty_typeEbEEZZNS1_14partition_implILS5_1ELb0ES3_jN6thrust23THRUST_200600_302600_NS6detail15normal_iteratorINSA_10device_ptrIjEEEEPS6_NSA_18transform_iteratorI7is_evenIjESF_NSA_11use_defaultESK_EENS0_5tupleIJNSA_16discard_iteratorISK_EESO_EEENSM_IJSG_SG_EEES6_PlJS6_EEE10hipError_tPvRmT3_T4_T5_T6_T7_T9_mT8_P12ihipStream_tbDpT10_ENKUlT_T0_E_clISt17integral_constantIbLb0EES1A_IbLb1EEEEDaS16_S17_EUlS16_E_NS1_11comp_targetILNS1_3genE3ELNS1_11target_archE908ELNS1_3gpuE7ELNS1_3repE0EEENS1_30default_config_static_selectorELNS0_4arch9wavefront6targetE1EEEvT1_
		.amdhsa_group_segment_fixed_size 0
		.amdhsa_private_segment_fixed_size 0
		.amdhsa_kernarg_size 160
		.amdhsa_user_sgpr_count 2
		.amdhsa_user_sgpr_dispatch_ptr 0
		.amdhsa_user_sgpr_queue_ptr 0
		.amdhsa_user_sgpr_kernarg_segment_ptr 1
		.amdhsa_user_sgpr_dispatch_id 0
		.amdhsa_user_sgpr_kernarg_preload_length 0
		.amdhsa_user_sgpr_kernarg_preload_offset 0
		.amdhsa_user_sgpr_private_segment_size 0
		.amdhsa_uses_dynamic_stack 0
		.amdhsa_enable_private_segment 0
		.amdhsa_system_sgpr_workgroup_id_x 1
		.amdhsa_system_sgpr_workgroup_id_y 0
		.amdhsa_system_sgpr_workgroup_id_z 0
		.amdhsa_system_sgpr_workgroup_info 0
		.amdhsa_system_vgpr_workitem_id 0
		.amdhsa_next_free_vgpr 1
		.amdhsa_next_free_sgpr 0
		.amdhsa_accum_offset 4
		.amdhsa_reserve_vcc 0
		.amdhsa_float_round_mode_32 0
		.amdhsa_float_round_mode_16_64 0
		.amdhsa_float_denorm_mode_32 3
		.amdhsa_float_denorm_mode_16_64 3
		.amdhsa_dx10_clamp 1
		.amdhsa_ieee_mode 1
		.amdhsa_fp16_overflow 0
		.amdhsa_tg_split 0
		.amdhsa_exception_fp_ieee_invalid_op 0
		.amdhsa_exception_fp_denorm_src 0
		.amdhsa_exception_fp_ieee_div_zero 0
		.amdhsa_exception_fp_ieee_overflow 0
		.amdhsa_exception_fp_ieee_underflow 0
		.amdhsa_exception_fp_ieee_inexact 0
		.amdhsa_exception_int_div_zero 0
	.end_amdhsa_kernel
	.section	.text._ZN7rocprim17ROCPRIM_400000_NS6detail17trampoline_kernelINS0_14default_configENS1_25partition_config_selectorILNS1_17partition_subalgoE1EjNS0_10empty_typeEbEEZZNS1_14partition_implILS5_1ELb0ES3_jN6thrust23THRUST_200600_302600_NS6detail15normal_iteratorINSA_10device_ptrIjEEEEPS6_NSA_18transform_iteratorI7is_evenIjESF_NSA_11use_defaultESK_EENS0_5tupleIJNSA_16discard_iteratorISK_EESO_EEENSM_IJSG_SG_EEES6_PlJS6_EEE10hipError_tPvRmT3_T4_T5_T6_T7_T9_mT8_P12ihipStream_tbDpT10_ENKUlT_T0_E_clISt17integral_constantIbLb0EES1A_IbLb1EEEEDaS16_S17_EUlS16_E_NS1_11comp_targetILNS1_3genE3ELNS1_11target_archE908ELNS1_3gpuE7ELNS1_3repE0EEENS1_30default_config_static_selectorELNS0_4arch9wavefront6targetE1EEEvT1_,"axG",@progbits,_ZN7rocprim17ROCPRIM_400000_NS6detail17trampoline_kernelINS0_14default_configENS1_25partition_config_selectorILNS1_17partition_subalgoE1EjNS0_10empty_typeEbEEZZNS1_14partition_implILS5_1ELb0ES3_jN6thrust23THRUST_200600_302600_NS6detail15normal_iteratorINSA_10device_ptrIjEEEEPS6_NSA_18transform_iteratorI7is_evenIjESF_NSA_11use_defaultESK_EENS0_5tupleIJNSA_16discard_iteratorISK_EESO_EEENSM_IJSG_SG_EEES6_PlJS6_EEE10hipError_tPvRmT3_T4_T5_T6_T7_T9_mT8_P12ihipStream_tbDpT10_ENKUlT_T0_E_clISt17integral_constantIbLb0EES1A_IbLb1EEEEDaS16_S17_EUlS16_E_NS1_11comp_targetILNS1_3genE3ELNS1_11target_archE908ELNS1_3gpuE7ELNS1_3repE0EEENS1_30default_config_static_selectorELNS0_4arch9wavefront6targetE1EEEvT1_,comdat
.Lfunc_end2998:
	.size	_ZN7rocprim17ROCPRIM_400000_NS6detail17trampoline_kernelINS0_14default_configENS1_25partition_config_selectorILNS1_17partition_subalgoE1EjNS0_10empty_typeEbEEZZNS1_14partition_implILS5_1ELb0ES3_jN6thrust23THRUST_200600_302600_NS6detail15normal_iteratorINSA_10device_ptrIjEEEEPS6_NSA_18transform_iteratorI7is_evenIjESF_NSA_11use_defaultESK_EENS0_5tupleIJNSA_16discard_iteratorISK_EESO_EEENSM_IJSG_SG_EEES6_PlJS6_EEE10hipError_tPvRmT3_T4_T5_T6_T7_T9_mT8_P12ihipStream_tbDpT10_ENKUlT_T0_E_clISt17integral_constantIbLb0EES1A_IbLb1EEEEDaS16_S17_EUlS16_E_NS1_11comp_targetILNS1_3genE3ELNS1_11target_archE908ELNS1_3gpuE7ELNS1_3repE0EEENS1_30default_config_static_selectorELNS0_4arch9wavefront6targetE1EEEvT1_, .Lfunc_end2998-_ZN7rocprim17ROCPRIM_400000_NS6detail17trampoline_kernelINS0_14default_configENS1_25partition_config_selectorILNS1_17partition_subalgoE1EjNS0_10empty_typeEbEEZZNS1_14partition_implILS5_1ELb0ES3_jN6thrust23THRUST_200600_302600_NS6detail15normal_iteratorINSA_10device_ptrIjEEEEPS6_NSA_18transform_iteratorI7is_evenIjESF_NSA_11use_defaultESK_EENS0_5tupleIJNSA_16discard_iteratorISK_EESO_EEENSM_IJSG_SG_EEES6_PlJS6_EEE10hipError_tPvRmT3_T4_T5_T6_T7_T9_mT8_P12ihipStream_tbDpT10_ENKUlT_T0_E_clISt17integral_constantIbLb0EES1A_IbLb1EEEEDaS16_S17_EUlS16_E_NS1_11comp_targetILNS1_3genE3ELNS1_11target_archE908ELNS1_3gpuE7ELNS1_3repE0EEENS1_30default_config_static_selectorELNS0_4arch9wavefront6targetE1EEEvT1_
                                        ; -- End function
	.section	.AMDGPU.csdata,"",@progbits
; Kernel info:
; codeLenInByte = 0
; NumSgprs: 6
; NumVgprs: 0
; NumAgprs: 0
; TotalNumVgprs: 0
; ScratchSize: 0
; MemoryBound: 0
; FloatMode: 240
; IeeeMode: 1
; LDSByteSize: 0 bytes/workgroup (compile time only)
; SGPRBlocks: 0
; VGPRBlocks: 0
; NumSGPRsForWavesPerEU: 6
; NumVGPRsForWavesPerEU: 1
; AccumOffset: 4
; Occupancy: 8
; WaveLimiterHint : 0
; COMPUTE_PGM_RSRC2:SCRATCH_EN: 0
; COMPUTE_PGM_RSRC2:USER_SGPR: 2
; COMPUTE_PGM_RSRC2:TRAP_HANDLER: 0
; COMPUTE_PGM_RSRC2:TGID_X_EN: 1
; COMPUTE_PGM_RSRC2:TGID_Y_EN: 0
; COMPUTE_PGM_RSRC2:TGID_Z_EN: 0
; COMPUTE_PGM_RSRC2:TIDIG_COMP_CNT: 0
; COMPUTE_PGM_RSRC3_GFX90A:ACCUM_OFFSET: 0
; COMPUTE_PGM_RSRC3_GFX90A:TG_SPLIT: 0
	.section	.text._ZN7rocprim17ROCPRIM_400000_NS6detail17trampoline_kernelINS0_14default_configENS1_25partition_config_selectorILNS1_17partition_subalgoE1EjNS0_10empty_typeEbEEZZNS1_14partition_implILS5_1ELb0ES3_jN6thrust23THRUST_200600_302600_NS6detail15normal_iteratorINSA_10device_ptrIjEEEEPS6_NSA_18transform_iteratorI7is_evenIjESF_NSA_11use_defaultESK_EENS0_5tupleIJNSA_16discard_iteratorISK_EESO_EEENSM_IJSG_SG_EEES6_PlJS6_EEE10hipError_tPvRmT3_T4_T5_T6_T7_T9_mT8_P12ihipStream_tbDpT10_ENKUlT_T0_E_clISt17integral_constantIbLb0EES1A_IbLb1EEEEDaS16_S17_EUlS16_E_NS1_11comp_targetILNS1_3genE2ELNS1_11target_archE906ELNS1_3gpuE6ELNS1_3repE0EEENS1_30default_config_static_selectorELNS0_4arch9wavefront6targetE1EEEvT1_,"axG",@progbits,_ZN7rocprim17ROCPRIM_400000_NS6detail17trampoline_kernelINS0_14default_configENS1_25partition_config_selectorILNS1_17partition_subalgoE1EjNS0_10empty_typeEbEEZZNS1_14partition_implILS5_1ELb0ES3_jN6thrust23THRUST_200600_302600_NS6detail15normal_iteratorINSA_10device_ptrIjEEEEPS6_NSA_18transform_iteratorI7is_evenIjESF_NSA_11use_defaultESK_EENS0_5tupleIJNSA_16discard_iteratorISK_EESO_EEENSM_IJSG_SG_EEES6_PlJS6_EEE10hipError_tPvRmT3_T4_T5_T6_T7_T9_mT8_P12ihipStream_tbDpT10_ENKUlT_T0_E_clISt17integral_constantIbLb0EES1A_IbLb1EEEEDaS16_S17_EUlS16_E_NS1_11comp_targetILNS1_3genE2ELNS1_11target_archE906ELNS1_3gpuE6ELNS1_3repE0EEENS1_30default_config_static_selectorELNS0_4arch9wavefront6targetE1EEEvT1_,comdat
	.protected	_ZN7rocprim17ROCPRIM_400000_NS6detail17trampoline_kernelINS0_14default_configENS1_25partition_config_selectorILNS1_17partition_subalgoE1EjNS0_10empty_typeEbEEZZNS1_14partition_implILS5_1ELb0ES3_jN6thrust23THRUST_200600_302600_NS6detail15normal_iteratorINSA_10device_ptrIjEEEEPS6_NSA_18transform_iteratorI7is_evenIjESF_NSA_11use_defaultESK_EENS0_5tupleIJNSA_16discard_iteratorISK_EESO_EEENSM_IJSG_SG_EEES6_PlJS6_EEE10hipError_tPvRmT3_T4_T5_T6_T7_T9_mT8_P12ihipStream_tbDpT10_ENKUlT_T0_E_clISt17integral_constantIbLb0EES1A_IbLb1EEEEDaS16_S17_EUlS16_E_NS1_11comp_targetILNS1_3genE2ELNS1_11target_archE906ELNS1_3gpuE6ELNS1_3repE0EEENS1_30default_config_static_selectorELNS0_4arch9wavefront6targetE1EEEvT1_ ; -- Begin function _ZN7rocprim17ROCPRIM_400000_NS6detail17trampoline_kernelINS0_14default_configENS1_25partition_config_selectorILNS1_17partition_subalgoE1EjNS0_10empty_typeEbEEZZNS1_14partition_implILS5_1ELb0ES3_jN6thrust23THRUST_200600_302600_NS6detail15normal_iteratorINSA_10device_ptrIjEEEEPS6_NSA_18transform_iteratorI7is_evenIjESF_NSA_11use_defaultESK_EENS0_5tupleIJNSA_16discard_iteratorISK_EESO_EEENSM_IJSG_SG_EEES6_PlJS6_EEE10hipError_tPvRmT3_T4_T5_T6_T7_T9_mT8_P12ihipStream_tbDpT10_ENKUlT_T0_E_clISt17integral_constantIbLb0EES1A_IbLb1EEEEDaS16_S17_EUlS16_E_NS1_11comp_targetILNS1_3genE2ELNS1_11target_archE906ELNS1_3gpuE6ELNS1_3repE0EEENS1_30default_config_static_selectorELNS0_4arch9wavefront6targetE1EEEvT1_
	.globl	_ZN7rocprim17ROCPRIM_400000_NS6detail17trampoline_kernelINS0_14default_configENS1_25partition_config_selectorILNS1_17partition_subalgoE1EjNS0_10empty_typeEbEEZZNS1_14partition_implILS5_1ELb0ES3_jN6thrust23THRUST_200600_302600_NS6detail15normal_iteratorINSA_10device_ptrIjEEEEPS6_NSA_18transform_iteratorI7is_evenIjESF_NSA_11use_defaultESK_EENS0_5tupleIJNSA_16discard_iteratorISK_EESO_EEENSM_IJSG_SG_EEES6_PlJS6_EEE10hipError_tPvRmT3_T4_T5_T6_T7_T9_mT8_P12ihipStream_tbDpT10_ENKUlT_T0_E_clISt17integral_constantIbLb0EES1A_IbLb1EEEEDaS16_S17_EUlS16_E_NS1_11comp_targetILNS1_3genE2ELNS1_11target_archE906ELNS1_3gpuE6ELNS1_3repE0EEENS1_30default_config_static_selectorELNS0_4arch9wavefront6targetE1EEEvT1_
	.p2align	8
	.type	_ZN7rocprim17ROCPRIM_400000_NS6detail17trampoline_kernelINS0_14default_configENS1_25partition_config_selectorILNS1_17partition_subalgoE1EjNS0_10empty_typeEbEEZZNS1_14partition_implILS5_1ELb0ES3_jN6thrust23THRUST_200600_302600_NS6detail15normal_iteratorINSA_10device_ptrIjEEEEPS6_NSA_18transform_iteratorI7is_evenIjESF_NSA_11use_defaultESK_EENS0_5tupleIJNSA_16discard_iteratorISK_EESO_EEENSM_IJSG_SG_EEES6_PlJS6_EEE10hipError_tPvRmT3_T4_T5_T6_T7_T9_mT8_P12ihipStream_tbDpT10_ENKUlT_T0_E_clISt17integral_constantIbLb0EES1A_IbLb1EEEEDaS16_S17_EUlS16_E_NS1_11comp_targetILNS1_3genE2ELNS1_11target_archE906ELNS1_3gpuE6ELNS1_3repE0EEENS1_30default_config_static_selectorELNS0_4arch9wavefront6targetE1EEEvT1_,@function
_ZN7rocprim17ROCPRIM_400000_NS6detail17trampoline_kernelINS0_14default_configENS1_25partition_config_selectorILNS1_17partition_subalgoE1EjNS0_10empty_typeEbEEZZNS1_14partition_implILS5_1ELb0ES3_jN6thrust23THRUST_200600_302600_NS6detail15normal_iteratorINSA_10device_ptrIjEEEEPS6_NSA_18transform_iteratorI7is_evenIjESF_NSA_11use_defaultESK_EENS0_5tupleIJNSA_16discard_iteratorISK_EESO_EEENSM_IJSG_SG_EEES6_PlJS6_EEE10hipError_tPvRmT3_T4_T5_T6_T7_T9_mT8_P12ihipStream_tbDpT10_ENKUlT_T0_E_clISt17integral_constantIbLb0EES1A_IbLb1EEEEDaS16_S17_EUlS16_E_NS1_11comp_targetILNS1_3genE2ELNS1_11target_archE906ELNS1_3gpuE6ELNS1_3repE0EEENS1_30default_config_static_selectorELNS0_4arch9wavefront6targetE1EEEvT1_: ; @_ZN7rocprim17ROCPRIM_400000_NS6detail17trampoline_kernelINS0_14default_configENS1_25partition_config_selectorILNS1_17partition_subalgoE1EjNS0_10empty_typeEbEEZZNS1_14partition_implILS5_1ELb0ES3_jN6thrust23THRUST_200600_302600_NS6detail15normal_iteratorINSA_10device_ptrIjEEEEPS6_NSA_18transform_iteratorI7is_evenIjESF_NSA_11use_defaultESK_EENS0_5tupleIJNSA_16discard_iteratorISK_EESO_EEENSM_IJSG_SG_EEES6_PlJS6_EEE10hipError_tPvRmT3_T4_T5_T6_T7_T9_mT8_P12ihipStream_tbDpT10_ENKUlT_T0_E_clISt17integral_constantIbLb0EES1A_IbLb1EEEEDaS16_S17_EUlS16_E_NS1_11comp_targetILNS1_3genE2ELNS1_11target_archE906ELNS1_3gpuE6ELNS1_3repE0EEENS1_30default_config_static_selectorELNS0_4arch9wavefront6targetE1EEEvT1_
; %bb.0:
	.section	.rodata,"a",@progbits
	.p2align	6, 0x0
	.amdhsa_kernel _ZN7rocprim17ROCPRIM_400000_NS6detail17trampoline_kernelINS0_14default_configENS1_25partition_config_selectorILNS1_17partition_subalgoE1EjNS0_10empty_typeEbEEZZNS1_14partition_implILS5_1ELb0ES3_jN6thrust23THRUST_200600_302600_NS6detail15normal_iteratorINSA_10device_ptrIjEEEEPS6_NSA_18transform_iteratorI7is_evenIjESF_NSA_11use_defaultESK_EENS0_5tupleIJNSA_16discard_iteratorISK_EESO_EEENSM_IJSG_SG_EEES6_PlJS6_EEE10hipError_tPvRmT3_T4_T5_T6_T7_T9_mT8_P12ihipStream_tbDpT10_ENKUlT_T0_E_clISt17integral_constantIbLb0EES1A_IbLb1EEEEDaS16_S17_EUlS16_E_NS1_11comp_targetILNS1_3genE2ELNS1_11target_archE906ELNS1_3gpuE6ELNS1_3repE0EEENS1_30default_config_static_selectorELNS0_4arch9wavefront6targetE1EEEvT1_
		.amdhsa_group_segment_fixed_size 0
		.amdhsa_private_segment_fixed_size 0
		.amdhsa_kernarg_size 160
		.amdhsa_user_sgpr_count 2
		.amdhsa_user_sgpr_dispatch_ptr 0
		.amdhsa_user_sgpr_queue_ptr 0
		.amdhsa_user_sgpr_kernarg_segment_ptr 1
		.amdhsa_user_sgpr_dispatch_id 0
		.amdhsa_user_sgpr_kernarg_preload_length 0
		.amdhsa_user_sgpr_kernarg_preload_offset 0
		.amdhsa_user_sgpr_private_segment_size 0
		.amdhsa_uses_dynamic_stack 0
		.amdhsa_enable_private_segment 0
		.amdhsa_system_sgpr_workgroup_id_x 1
		.amdhsa_system_sgpr_workgroup_id_y 0
		.amdhsa_system_sgpr_workgroup_id_z 0
		.amdhsa_system_sgpr_workgroup_info 0
		.amdhsa_system_vgpr_workitem_id 0
		.amdhsa_next_free_vgpr 1
		.amdhsa_next_free_sgpr 0
		.amdhsa_accum_offset 4
		.amdhsa_reserve_vcc 0
		.amdhsa_float_round_mode_32 0
		.amdhsa_float_round_mode_16_64 0
		.amdhsa_float_denorm_mode_32 3
		.amdhsa_float_denorm_mode_16_64 3
		.amdhsa_dx10_clamp 1
		.amdhsa_ieee_mode 1
		.amdhsa_fp16_overflow 0
		.amdhsa_tg_split 0
		.amdhsa_exception_fp_ieee_invalid_op 0
		.amdhsa_exception_fp_denorm_src 0
		.amdhsa_exception_fp_ieee_div_zero 0
		.amdhsa_exception_fp_ieee_overflow 0
		.amdhsa_exception_fp_ieee_underflow 0
		.amdhsa_exception_fp_ieee_inexact 0
		.amdhsa_exception_int_div_zero 0
	.end_amdhsa_kernel
	.section	.text._ZN7rocprim17ROCPRIM_400000_NS6detail17trampoline_kernelINS0_14default_configENS1_25partition_config_selectorILNS1_17partition_subalgoE1EjNS0_10empty_typeEbEEZZNS1_14partition_implILS5_1ELb0ES3_jN6thrust23THRUST_200600_302600_NS6detail15normal_iteratorINSA_10device_ptrIjEEEEPS6_NSA_18transform_iteratorI7is_evenIjESF_NSA_11use_defaultESK_EENS0_5tupleIJNSA_16discard_iteratorISK_EESO_EEENSM_IJSG_SG_EEES6_PlJS6_EEE10hipError_tPvRmT3_T4_T5_T6_T7_T9_mT8_P12ihipStream_tbDpT10_ENKUlT_T0_E_clISt17integral_constantIbLb0EES1A_IbLb1EEEEDaS16_S17_EUlS16_E_NS1_11comp_targetILNS1_3genE2ELNS1_11target_archE906ELNS1_3gpuE6ELNS1_3repE0EEENS1_30default_config_static_selectorELNS0_4arch9wavefront6targetE1EEEvT1_,"axG",@progbits,_ZN7rocprim17ROCPRIM_400000_NS6detail17trampoline_kernelINS0_14default_configENS1_25partition_config_selectorILNS1_17partition_subalgoE1EjNS0_10empty_typeEbEEZZNS1_14partition_implILS5_1ELb0ES3_jN6thrust23THRUST_200600_302600_NS6detail15normal_iteratorINSA_10device_ptrIjEEEEPS6_NSA_18transform_iteratorI7is_evenIjESF_NSA_11use_defaultESK_EENS0_5tupleIJNSA_16discard_iteratorISK_EESO_EEENSM_IJSG_SG_EEES6_PlJS6_EEE10hipError_tPvRmT3_T4_T5_T6_T7_T9_mT8_P12ihipStream_tbDpT10_ENKUlT_T0_E_clISt17integral_constantIbLb0EES1A_IbLb1EEEEDaS16_S17_EUlS16_E_NS1_11comp_targetILNS1_3genE2ELNS1_11target_archE906ELNS1_3gpuE6ELNS1_3repE0EEENS1_30default_config_static_selectorELNS0_4arch9wavefront6targetE1EEEvT1_,comdat
.Lfunc_end2999:
	.size	_ZN7rocprim17ROCPRIM_400000_NS6detail17trampoline_kernelINS0_14default_configENS1_25partition_config_selectorILNS1_17partition_subalgoE1EjNS0_10empty_typeEbEEZZNS1_14partition_implILS5_1ELb0ES3_jN6thrust23THRUST_200600_302600_NS6detail15normal_iteratorINSA_10device_ptrIjEEEEPS6_NSA_18transform_iteratorI7is_evenIjESF_NSA_11use_defaultESK_EENS0_5tupleIJNSA_16discard_iteratorISK_EESO_EEENSM_IJSG_SG_EEES6_PlJS6_EEE10hipError_tPvRmT3_T4_T5_T6_T7_T9_mT8_P12ihipStream_tbDpT10_ENKUlT_T0_E_clISt17integral_constantIbLb0EES1A_IbLb1EEEEDaS16_S17_EUlS16_E_NS1_11comp_targetILNS1_3genE2ELNS1_11target_archE906ELNS1_3gpuE6ELNS1_3repE0EEENS1_30default_config_static_selectorELNS0_4arch9wavefront6targetE1EEEvT1_, .Lfunc_end2999-_ZN7rocprim17ROCPRIM_400000_NS6detail17trampoline_kernelINS0_14default_configENS1_25partition_config_selectorILNS1_17partition_subalgoE1EjNS0_10empty_typeEbEEZZNS1_14partition_implILS5_1ELb0ES3_jN6thrust23THRUST_200600_302600_NS6detail15normal_iteratorINSA_10device_ptrIjEEEEPS6_NSA_18transform_iteratorI7is_evenIjESF_NSA_11use_defaultESK_EENS0_5tupleIJNSA_16discard_iteratorISK_EESO_EEENSM_IJSG_SG_EEES6_PlJS6_EEE10hipError_tPvRmT3_T4_T5_T6_T7_T9_mT8_P12ihipStream_tbDpT10_ENKUlT_T0_E_clISt17integral_constantIbLb0EES1A_IbLb1EEEEDaS16_S17_EUlS16_E_NS1_11comp_targetILNS1_3genE2ELNS1_11target_archE906ELNS1_3gpuE6ELNS1_3repE0EEENS1_30default_config_static_selectorELNS0_4arch9wavefront6targetE1EEEvT1_
                                        ; -- End function
	.section	.AMDGPU.csdata,"",@progbits
; Kernel info:
; codeLenInByte = 0
; NumSgprs: 6
; NumVgprs: 0
; NumAgprs: 0
; TotalNumVgprs: 0
; ScratchSize: 0
; MemoryBound: 0
; FloatMode: 240
; IeeeMode: 1
; LDSByteSize: 0 bytes/workgroup (compile time only)
; SGPRBlocks: 0
; VGPRBlocks: 0
; NumSGPRsForWavesPerEU: 6
; NumVGPRsForWavesPerEU: 1
; AccumOffset: 4
; Occupancy: 8
; WaveLimiterHint : 0
; COMPUTE_PGM_RSRC2:SCRATCH_EN: 0
; COMPUTE_PGM_RSRC2:USER_SGPR: 2
; COMPUTE_PGM_RSRC2:TRAP_HANDLER: 0
; COMPUTE_PGM_RSRC2:TGID_X_EN: 1
; COMPUTE_PGM_RSRC2:TGID_Y_EN: 0
; COMPUTE_PGM_RSRC2:TGID_Z_EN: 0
; COMPUTE_PGM_RSRC2:TIDIG_COMP_CNT: 0
; COMPUTE_PGM_RSRC3_GFX90A:ACCUM_OFFSET: 0
; COMPUTE_PGM_RSRC3_GFX90A:TG_SPLIT: 0
	.section	.text._ZN7rocprim17ROCPRIM_400000_NS6detail17trampoline_kernelINS0_14default_configENS1_25partition_config_selectorILNS1_17partition_subalgoE1EjNS0_10empty_typeEbEEZZNS1_14partition_implILS5_1ELb0ES3_jN6thrust23THRUST_200600_302600_NS6detail15normal_iteratorINSA_10device_ptrIjEEEEPS6_NSA_18transform_iteratorI7is_evenIjESF_NSA_11use_defaultESK_EENS0_5tupleIJNSA_16discard_iteratorISK_EESO_EEENSM_IJSG_SG_EEES6_PlJS6_EEE10hipError_tPvRmT3_T4_T5_T6_T7_T9_mT8_P12ihipStream_tbDpT10_ENKUlT_T0_E_clISt17integral_constantIbLb0EES1A_IbLb1EEEEDaS16_S17_EUlS16_E_NS1_11comp_targetILNS1_3genE10ELNS1_11target_archE1200ELNS1_3gpuE4ELNS1_3repE0EEENS1_30default_config_static_selectorELNS0_4arch9wavefront6targetE1EEEvT1_,"axG",@progbits,_ZN7rocprim17ROCPRIM_400000_NS6detail17trampoline_kernelINS0_14default_configENS1_25partition_config_selectorILNS1_17partition_subalgoE1EjNS0_10empty_typeEbEEZZNS1_14partition_implILS5_1ELb0ES3_jN6thrust23THRUST_200600_302600_NS6detail15normal_iteratorINSA_10device_ptrIjEEEEPS6_NSA_18transform_iteratorI7is_evenIjESF_NSA_11use_defaultESK_EENS0_5tupleIJNSA_16discard_iteratorISK_EESO_EEENSM_IJSG_SG_EEES6_PlJS6_EEE10hipError_tPvRmT3_T4_T5_T6_T7_T9_mT8_P12ihipStream_tbDpT10_ENKUlT_T0_E_clISt17integral_constantIbLb0EES1A_IbLb1EEEEDaS16_S17_EUlS16_E_NS1_11comp_targetILNS1_3genE10ELNS1_11target_archE1200ELNS1_3gpuE4ELNS1_3repE0EEENS1_30default_config_static_selectorELNS0_4arch9wavefront6targetE1EEEvT1_,comdat
	.protected	_ZN7rocprim17ROCPRIM_400000_NS6detail17trampoline_kernelINS0_14default_configENS1_25partition_config_selectorILNS1_17partition_subalgoE1EjNS0_10empty_typeEbEEZZNS1_14partition_implILS5_1ELb0ES3_jN6thrust23THRUST_200600_302600_NS6detail15normal_iteratorINSA_10device_ptrIjEEEEPS6_NSA_18transform_iteratorI7is_evenIjESF_NSA_11use_defaultESK_EENS0_5tupleIJNSA_16discard_iteratorISK_EESO_EEENSM_IJSG_SG_EEES6_PlJS6_EEE10hipError_tPvRmT3_T4_T5_T6_T7_T9_mT8_P12ihipStream_tbDpT10_ENKUlT_T0_E_clISt17integral_constantIbLb0EES1A_IbLb1EEEEDaS16_S17_EUlS16_E_NS1_11comp_targetILNS1_3genE10ELNS1_11target_archE1200ELNS1_3gpuE4ELNS1_3repE0EEENS1_30default_config_static_selectorELNS0_4arch9wavefront6targetE1EEEvT1_ ; -- Begin function _ZN7rocprim17ROCPRIM_400000_NS6detail17trampoline_kernelINS0_14default_configENS1_25partition_config_selectorILNS1_17partition_subalgoE1EjNS0_10empty_typeEbEEZZNS1_14partition_implILS5_1ELb0ES3_jN6thrust23THRUST_200600_302600_NS6detail15normal_iteratorINSA_10device_ptrIjEEEEPS6_NSA_18transform_iteratorI7is_evenIjESF_NSA_11use_defaultESK_EENS0_5tupleIJNSA_16discard_iteratorISK_EESO_EEENSM_IJSG_SG_EEES6_PlJS6_EEE10hipError_tPvRmT3_T4_T5_T6_T7_T9_mT8_P12ihipStream_tbDpT10_ENKUlT_T0_E_clISt17integral_constantIbLb0EES1A_IbLb1EEEEDaS16_S17_EUlS16_E_NS1_11comp_targetILNS1_3genE10ELNS1_11target_archE1200ELNS1_3gpuE4ELNS1_3repE0EEENS1_30default_config_static_selectorELNS0_4arch9wavefront6targetE1EEEvT1_
	.globl	_ZN7rocprim17ROCPRIM_400000_NS6detail17trampoline_kernelINS0_14default_configENS1_25partition_config_selectorILNS1_17partition_subalgoE1EjNS0_10empty_typeEbEEZZNS1_14partition_implILS5_1ELb0ES3_jN6thrust23THRUST_200600_302600_NS6detail15normal_iteratorINSA_10device_ptrIjEEEEPS6_NSA_18transform_iteratorI7is_evenIjESF_NSA_11use_defaultESK_EENS0_5tupleIJNSA_16discard_iteratorISK_EESO_EEENSM_IJSG_SG_EEES6_PlJS6_EEE10hipError_tPvRmT3_T4_T5_T6_T7_T9_mT8_P12ihipStream_tbDpT10_ENKUlT_T0_E_clISt17integral_constantIbLb0EES1A_IbLb1EEEEDaS16_S17_EUlS16_E_NS1_11comp_targetILNS1_3genE10ELNS1_11target_archE1200ELNS1_3gpuE4ELNS1_3repE0EEENS1_30default_config_static_selectorELNS0_4arch9wavefront6targetE1EEEvT1_
	.p2align	8
	.type	_ZN7rocprim17ROCPRIM_400000_NS6detail17trampoline_kernelINS0_14default_configENS1_25partition_config_selectorILNS1_17partition_subalgoE1EjNS0_10empty_typeEbEEZZNS1_14partition_implILS5_1ELb0ES3_jN6thrust23THRUST_200600_302600_NS6detail15normal_iteratorINSA_10device_ptrIjEEEEPS6_NSA_18transform_iteratorI7is_evenIjESF_NSA_11use_defaultESK_EENS0_5tupleIJNSA_16discard_iteratorISK_EESO_EEENSM_IJSG_SG_EEES6_PlJS6_EEE10hipError_tPvRmT3_T4_T5_T6_T7_T9_mT8_P12ihipStream_tbDpT10_ENKUlT_T0_E_clISt17integral_constantIbLb0EES1A_IbLb1EEEEDaS16_S17_EUlS16_E_NS1_11comp_targetILNS1_3genE10ELNS1_11target_archE1200ELNS1_3gpuE4ELNS1_3repE0EEENS1_30default_config_static_selectorELNS0_4arch9wavefront6targetE1EEEvT1_,@function
_ZN7rocprim17ROCPRIM_400000_NS6detail17trampoline_kernelINS0_14default_configENS1_25partition_config_selectorILNS1_17partition_subalgoE1EjNS0_10empty_typeEbEEZZNS1_14partition_implILS5_1ELb0ES3_jN6thrust23THRUST_200600_302600_NS6detail15normal_iteratorINSA_10device_ptrIjEEEEPS6_NSA_18transform_iteratorI7is_evenIjESF_NSA_11use_defaultESK_EENS0_5tupleIJNSA_16discard_iteratorISK_EESO_EEENSM_IJSG_SG_EEES6_PlJS6_EEE10hipError_tPvRmT3_T4_T5_T6_T7_T9_mT8_P12ihipStream_tbDpT10_ENKUlT_T0_E_clISt17integral_constantIbLb0EES1A_IbLb1EEEEDaS16_S17_EUlS16_E_NS1_11comp_targetILNS1_3genE10ELNS1_11target_archE1200ELNS1_3gpuE4ELNS1_3repE0EEENS1_30default_config_static_selectorELNS0_4arch9wavefront6targetE1EEEvT1_: ; @_ZN7rocprim17ROCPRIM_400000_NS6detail17trampoline_kernelINS0_14default_configENS1_25partition_config_selectorILNS1_17partition_subalgoE1EjNS0_10empty_typeEbEEZZNS1_14partition_implILS5_1ELb0ES3_jN6thrust23THRUST_200600_302600_NS6detail15normal_iteratorINSA_10device_ptrIjEEEEPS6_NSA_18transform_iteratorI7is_evenIjESF_NSA_11use_defaultESK_EENS0_5tupleIJNSA_16discard_iteratorISK_EESO_EEENSM_IJSG_SG_EEES6_PlJS6_EEE10hipError_tPvRmT3_T4_T5_T6_T7_T9_mT8_P12ihipStream_tbDpT10_ENKUlT_T0_E_clISt17integral_constantIbLb0EES1A_IbLb1EEEEDaS16_S17_EUlS16_E_NS1_11comp_targetILNS1_3genE10ELNS1_11target_archE1200ELNS1_3gpuE4ELNS1_3repE0EEENS1_30default_config_static_selectorELNS0_4arch9wavefront6targetE1EEEvT1_
; %bb.0:
	.section	.rodata,"a",@progbits
	.p2align	6, 0x0
	.amdhsa_kernel _ZN7rocprim17ROCPRIM_400000_NS6detail17trampoline_kernelINS0_14default_configENS1_25partition_config_selectorILNS1_17partition_subalgoE1EjNS0_10empty_typeEbEEZZNS1_14partition_implILS5_1ELb0ES3_jN6thrust23THRUST_200600_302600_NS6detail15normal_iteratorINSA_10device_ptrIjEEEEPS6_NSA_18transform_iteratorI7is_evenIjESF_NSA_11use_defaultESK_EENS0_5tupleIJNSA_16discard_iteratorISK_EESO_EEENSM_IJSG_SG_EEES6_PlJS6_EEE10hipError_tPvRmT3_T4_T5_T6_T7_T9_mT8_P12ihipStream_tbDpT10_ENKUlT_T0_E_clISt17integral_constantIbLb0EES1A_IbLb1EEEEDaS16_S17_EUlS16_E_NS1_11comp_targetILNS1_3genE10ELNS1_11target_archE1200ELNS1_3gpuE4ELNS1_3repE0EEENS1_30default_config_static_selectorELNS0_4arch9wavefront6targetE1EEEvT1_
		.amdhsa_group_segment_fixed_size 0
		.amdhsa_private_segment_fixed_size 0
		.amdhsa_kernarg_size 160
		.amdhsa_user_sgpr_count 2
		.amdhsa_user_sgpr_dispatch_ptr 0
		.amdhsa_user_sgpr_queue_ptr 0
		.amdhsa_user_sgpr_kernarg_segment_ptr 1
		.amdhsa_user_sgpr_dispatch_id 0
		.amdhsa_user_sgpr_kernarg_preload_length 0
		.amdhsa_user_sgpr_kernarg_preload_offset 0
		.amdhsa_user_sgpr_private_segment_size 0
		.amdhsa_uses_dynamic_stack 0
		.amdhsa_enable_private_segment 0
		.amdhsa_system_sgpr_workgroup_id_x 1
		.amdhsa_system_sgpr_workgroup_id_y 0
		.amdhsa_system_sgpr_workgroup_id_z 0
		.amdhsa_system_sgpr_workgroup_info 0
		.amdhsa_system_vgpr_workitem_id 0
		.amdhsa_next_free_vgpr 1
		.amdhsa_next_free_sgpr 0
		.amdhsa_accum_offset 4
		.amdhsa_reserve_vcc 0
		.amdhsa_float_round_mode_32 0
		.amdhsa_float_round_mode_16_64 0
		.amdhsa_float_denorm_mode_32 3
		.amdhsa_float_denorm_mode_16_64 3
		.amdhsa_dx10_clamp 1
		.amdhsa_ieee_mode 1
		.amdhsa_fp16_overflow 0
		.amdhsa_tg_split 0
		.amdhsa_exception_fp_ieee_invalid_op 0
		.amdhsa_exception_fp_denorm_src 0
		.amdhsa_exception_fp_ieee_div_zero 0
		.amdhsa_exception_fp_ieee_overflow 0
		.amdhsa_exception_fp_ieee_underflow 0
		.amdhsa_exception_fp_ieee_inexact 0
		.amdhsa_exception_int_div_zero 0
	.end_amdhsa_kernel
	.section	.text._ZN7rocprim17ROCPRIM_400000_NS6detail17trampoline_kernelINS0_14default_configENS1_25partition_config_selectorILNS1_17partition_subalgoE1EjNS0_10empty_typeEbEEZZNS1_14partition_implILS5_1ELb0ES3_jN6thrust23THRUST_200600_302600_NS6detail15normal_iteratorINSA_10device_ptrIjEEEEPS6_NSA_18transform_iteratorI7is_evenIjESF_NSA_11use_defaultESK_EENS0_5tupleIJNSA_16discard_iteratorISK_EESO_EEENSM_IJSG_SG_EEES6_PlJS6_EEE10hipError_tPvRmT3_T4_T5_T6_T7_T9_mT8_P12ihipStream_tbDpT10_ENKUlT_T0_E_clISt17integral_constantIbLb0EES1A_IbLb1EEEEDaS16_S17_EUlS16_E_NS1_11comp_targetILNS1_3genE10ELNS1_11target_archE1200ELNS1_3gpuE4ELNS1_3repE0EEENS1_30default_config_static_selectorELNS0_4arch9wavefront6targetE1EEEvT1_,"axG",@progbits,_ZN7rocprim17ROCPRIM_400000_NS6detail17trampoline_kernelINS0_14default_configENS1_25partition_config_selectorILNS1_17partition_subalgoE1EjNS0_10empty_typeEbEEZZNS1_14partition_implILS5_1ELb0ES3_jN6thrust23THRUST_200600_302600_NS6detail15normal_iteratorINSA_10device_ptrIjEEEEPS6_NSA_18transform_iteratorI7is_evenIjESF_NSA_11use_defaultESK_EENS0_5tupleIJNSA_16discard_iteratorISK_EESO_EEENSM_IJSG_SG_EEES6_PlJS6_EEE10hipError_tPvRmT3_T4_T5_T6_T7_T9_mT8_P12ihipStream_tbDpT10_ENKUlT_T0_E_clISt17integral_constantIbLb0EES1A_IbLb1EEEEDaS16_S17_EUlS16_E_NS1_11comp_targetILNS1_3genE10ELNS1_11target_archE1200ELNS1_3gpuE4ELNS1_3repE0EEENS1_30default_config_static_selectorELNS0_4arch9wavefront6targetE1EEEvT1_,comdat
.Lfunc_end3000:
	.size	_ZN7rocprim17ROCPRIM_400000_NS6detail17trampoline_kernelINS0_14default_configENS1_25partition_config_selectorILNS1_17partition_subalgoE1EjNS0_10empty_typeEbEEZZNS1_14partition_implILS5_1ELb0ES3_jN6thrust23THRUST_200600_302600_NS6detail15normal_iteratorINSA_10device_ptrIjEEEEPS6_NSA_18transform_iteratorI7is_evenIjESF_NSA_11use_defaultESK_EENS0_5tupleIJNSA_16discard_iteratorISK_EESO_EEENSM_IJSG_SG_EEES6_PlJS6_EEE10hipError_tPvRmT3_T4_T5_T6_T7_T9_mT8_P12ihipStream_tbDpT10_ENKUlT_T0_E_clISt17integral_constantIbLb0EES1A_IbLb1EEEEDaS16_S17_EUlS16_E_NS1_11comp_targetILNS1_3genE10ELNS1_11target_archE1200ELNS1_3gpuE4ELNS1_3repE0EEENS1_30default_config_static_selectorELNS0_4arch9wavefront6targetE1EEEvT1_, .Lfunc_end3000-_ZN7rocprim17ROCPRIM_400000_NS6detail17trampoline_kernelINS0_14default_configENS1_25partition_config_selectorILNS1_17partition_subalgoE1EjNS0_10empty_typeEbEEZZNS1_14partition_implILS5_1ELb0ES3_jN6thrust23THRUST_200600_302600_NS6detail15normal_iteratorINSA_10device_ptrIjEEEEPS6_NSA_18transform_iteratorI7is_evenIjESF_NSA_11use_defaultESK_EENS0_5tupleIJNSA_16discard_iteratorISK_EESO_EEENSM_IJSG_SG_EEES6_PlJS6_EEE10hipError_tPvRmT3_T4_T5_T6_T7_T9_mT8_P12ihipStream_tbDpT10_ENKUlT_T0_E_clISt17integral_constantIbLb0EES1A_IbLb1EEEEDaS16_S17_EUlS16_E_NS1_11comp_targetILNS1_3genE10ELNS1_11target_archE1200ELNS1_3gpuE4ELNS1_3repE0EEENS1_30default_config_static_selectorELNS0_4arch9wavefront6targetE1EEEvT1_
                                        ; -- End function
	.section	.AMDGPU.csdata,"",@progbits
; Kernel info:
; codeLenInByte = 0
; NumSgprs: 6
; NumVgprs: 0
; NumAgprs: 0
; TotalNumVgprs: 0
; ScratchSize: 0
; MemoryBound: 0
; FloatMode: 240
; IeeeMode: 1
; LDSByteSize: 0 bytes/workgroup (compile time only)
; SGPRBlocks: 0
; VGPRBlocks: 0
; NumSGPRsForWavesPerEU: 6
; NumVGPRsForWavesPerEU: 1
; AccumOffset: 4
; Occupancy: 8
; WaveLimiterHint : 0
; COMPUTE_PGM_RSRC2:SCRATCH_EN: 0
; COMPUTE_PGM_RSRC2:USER_SGPR: 2
; COMPUTE_PGM_RSRC2:TRAP_HANDLER: 0
; COMPUTE_PGM_RSRC2:TGID_X_EN: 1
; COMPUTE_PGM_RSRC2:TGID_Y_EN: 0
; COMPUTE_PGM_RSRC2:TGID_Z_EN: 0
; COMPUTE_PGM_RSRC2:TIDIG_COMP_CNT: 0
; COMPUTE_PGM_RSRC3_GFX90A:ACCUM_OFFSET: 0
; COMPUTE_PGM_RSRC3_GFX90A:TG_SPLIT: 0
	.section	.text._ZN7rocprim17ROCPRIM_400000_NS6detail17trampoline_kernelINS0_14default_configENS1_25partition_config_selectorILNS1_17partition_subalgoE1EjNS0_10empty_typeEbEEZZNS1_14partition_implILS5_1ELb0ES3_jN6thrust23THRUST_200600_302600_NS6detail15normal_iteratorINSA_10device_ptrIjEEEEPS6_NSA_18transform_iteratorI7is_evenIjESF_NSA_11use_defaultESK_EENS0_5tupleIJNSA_16discard_iteratorISK_EESO_EEENSM_IJSG_SG_EEES6_PlJS6_EEE10hipError_tPvRmT3_T4_T5_T6_T7_T9_mT8_P12ihipStream_tbDpT10_ENKUlT_T0_E_clISt17integral_constantIbLb0EES1A_IbLb1EEEEDaS16_S17_EUlS16_E_NS1_11comp_targetILNS1_3genE9ELNS1_11target_archE1100ELNS1_3gpuE3ELNS1_3repE0EEENS1_30default_config_static_selectorELNS0_4arch9wavefront6targetE1EEEvT1_,"axG",@progbits,_ZN7rocprim17ROCPRIM_400000_NS6detail17trampoline_kernelINS0_14default_configENS1_25partition_config_selectorILNS1_17partition_subalgoE1EjNS0_10empty_typeEbEEZZNS1_14partition_implILS5_1ELb0ES3_jN6thrust23THRUST_200600_302600_NS6detail15normal_iteratorINSA_10device_ptrIjEEEEPS6_NSA_18transform_iteratorI7is_evenIjESF_NSA_11use_defaultESK_EENS0_5tupleIJNSA_16discard_iteratorISK_EESO_EEENSM_IJSG_SG_EEES6_PlJS6_EEE10hipError_tPvRmT3_T4_T5_T6_T7_T9_mT8_P12ihipStream_tbDpT10_ENKUlT_T0_E_clISt17integral_constantIbLb0EES1A_IbLb1EEEEDaS16_S17_EUlS16_E_NS1_11comp_targetILNS1_3genE9ELNS1_11target_archE1100ELNS1_3gpuE3ELNS1_3repE0EEENS1_30default_config_static_selectorELNS0_4arch9wavefront6targetE1EEEvT1_,comdat
	.protected	_ZN7rocprim17ROCPRIM_400000_NS6detail17trampoline_kernelINS0_14default_configENS1_25partition_config_selectorILNS1_17partition_subalgoE1EjNS0_10empty_typeEbEEZZNS1_14partition_implILS5_1ELb0ES3_jN6thrust23THRUST_200600_302600_NS6detail15normal_iteratorINSA_10device_ptrIjEEEEPS6_NSA_18transform_iteratorI7is_evenIjESF_NSA_11use_defaultESK_EENS0_5tupleIJNSA_16discard_iteratorISK_EESO_EEENSM_IJSG_SG_EEES6_PlJS6_EEE10hipError_tPvRmT3_T4_T5_T6_T7_T9_mT8_P12ihipStream_tbDpT10_ENKUlT_T0_E_clISt17integral_constantIbLb0EES1A_IbLb1EEEEDaS16_S17_EUlS16_E_NS1_11comp_targetILNS1_3genE9ELNS1_11target_archE1100ELNS1_3gpuE3ELNS1_3repE0EEENS1_30default_config_static_selectorELNS0_4arch9wavefront6targetE1EEEvT1_ ; -- Begin function _ZN7rocprim17ROCPRIM_400000_NS6detail17trampoline_kernelINS0_14default_configENS1_25partition_config_selectorILNS1_17partition_subalgoE1EjNS0_10empty_typeEbEEZZNS1_14partition_implILS5_1ELb0ES3_jN6thrust23THRUST_200600_302600_NS6detail15normal_iteratorINSA_10device_ptrIjEEEEPS6_NSA_18transform_iteratorI7is_evenIjESF_NSA_11use_defaultESK_EENS0_5tupleIJNSA_16discard_iteratorISK_EESO_EEENSM_IJSG_SG_EEES6_PlJS6_EEE10hipError_tPvRmT3_T4_T5_T6_T7_T9_mT8_P12ihipStream_tbDpT10_ENKUlT_T0_E_clISt17integral_constantIbLb0EES1A_IbLb1EEEEDaS16_S17_EUlS16_E_NS1_11comp_targetILNS1_3genE9ELNS1_11target_archE1100ELNS1_3gpuE3ELNS1_3repE0EEENS1_30default_config_static_selectorELNS0_4arch9wavefront6targetE1EEEvT1_
	.globl	_ZN7rocprim17ROCPRIM_400000_NS6detail17trampoline_kernelINS0_14default_configENS1_25partition_config_selectorILNS1_17partition_subalgoE1EjNS0_10empty_typeEbEEZZNS1_14partition_implILS5_1ELb0ES3_jN6thrust23THRUST_200600_302600_NS6detail15normal_iteratorINSA_10device_ptrIjEEEEPS6_NSA_18transform_iteratorI7is_evenIjESF_NSA_11use_defaultESK_EENS0_5tupleIJNSA_16discard_iteratorISK_EESO_EEENSM_IJSG_SG_EEES6_PlJS6_EEE10hipError_tPvRmT3_T4_T5_T6_T7_T9_mT8_P12ihipStream_tbDpT10_ENKUlT_T0_E_clISt17integral_constantIbLb0EES1A_IbLb1EEEEDaS16_S17_EUlS16_E_NS1_11comp_targetILNS1_3genE9ELNS1_11target_archE1100ELNS1_3gpuE3ELNS1_3repE0EEENS1_30default_config_static_selectorELNS0_4arch9wavefront6targetE1EEEvT1_
	.p2align	8
	.type	_ZN7rocprim17ROCPRIM_400000_NS6detail17trampoline_kernelINS0_14default_configENS1_25partition_config_selectorILNS1_17partition_subalgoE1EjNS0_10empty_typeEbEEZZNS1_14partition_implILS5_1ELb0ES3_jN6thrust23THRUST_200600_302600_NS6detail15normal_iteratorINSA_10device_ptrIjEEEEPS6_NSA_18transform_iteratorI7is_evenIjESF_NSA_11use_defaultESK_EENS0_5tupleIJNSA_16discard_iteratorISK_EESO_EEENSM_IJSG_SG_EEES6_PlJS6_EEE10hipError_tPvRmT3_T4_T5_T6_T7_T9_mT8_P12ihipStream_tbDpT10_ENKUlT_T0_E_clISt17integral_constantIbLb0EES1A_IbLb1EEEEDaS16_S17_EUlS16_E_NS1_11comp_targetILNS1_3genE9ELNS1_11target_archE1100ELNS1_3gpuE3ELNS1_3repE0EEENS1_30default_config_static_selectorELNS0_4arch9wavefront6targetE1EEEvT1_,@function
_ZN7rocprim17ROCPRIM_400000_NS6detail17trampoline_kernelINS0_14default_configENS1_25partition_config_selectorILNS1_17partition_subalgoE1EjNS0_10empty_typeEbEEZZNS1_14partition_implILS5_1ELb0ES3_jN6thrust23THRUST_200600_302600_NS6detail15normal_iteratorINSA_10device_ptrIjEEEEPS6_NSA_18transform_iteratorI7is_evenIjESF_NSA_11use_defaultESK_EENS0_5tupleIJNSA_16discard_iteratorISK_EESO_EEENSM_IJSG_SG_EEES6_PlJS6_EEE10hipError_tPvRmT3_T4_T5_T6_T7_T9_mT8_P12ihipStream_tbDpT10_ENKUlT_T0_E_clISt17integral_constantIbLb0EES1A_IbLb1EEEEDaS16_S17_EUlS16_E_NS1_11comp_targetILNS1_3genE9ELNS1_11target_archE1100ELNS1_3gpuE3ELNS1_3repE0EEENS1_30default_config_static_selectorELNS0_4arch9wavefront6targetE1EEEvT1_: ; @_ZN7rocprim17ROCPRIM_400000_NS6detail17trampoline_kernelINS0_14default_configENS1_25partition_config_selectorILNS1_17partition_subalgoE1EjNS0_10empty_typeEbEEZZNS1_14partition_implILS5_1ELb0ES3_jN6thrust23THRUST_200600_302600_NS6detail15normal_iteratorINSA_10device_ptrIjEEEEPS6_NSA_18transform_iteratorI7is_evenIjESF_NSA_11use_defaultESK_EENS0_5tupleIJNSA_16discard_iteratorISK_EESO_EEENSM_IJSG_SG_EEES6_PlJS6_EEE10hipError_tPvRmT3_T4_T5_T6_T7_T9_mT8_P12ihipStream_tbDpT10_ENKUlT_T0_E_clISt17integral_constantIbLb0EES1A_IbLb1EEEEDaS16_S17_EUlS16_E_NS1_11comp_targetILNS1_3genE9ELNS1_11target_archE1100ELNS1_3gpuE3ELNS1_3repE0EEENS1_30default_config_static_selectorELNS0_4arch9wavefront6targetE1EEEvT1_
; %bb.0:
	.section	.rodata,"a",@progbits
	.p2align	6, 0x0
	.amdhsa_kernel _ZN7rocprim17ROCPRIM_400000_NS6detail17trampoline_kernelINS0_14default_configENS1_25partition_config_selectorILNS1_17partition_subalgoE1EjNS0_10empty_typeEbEEZZNS1_14partition_implILS5_1ELb0ES3_jN6thrust23THRUST_200600_302600_NS6detail15normal_iteratorINSA_10device_ptrIjEEEEPS6_NSA_18transform_iteratorI7is_evenIjESF_NSA_11use_defaultESK_EENS0_5tupleIJNSA_16discard_iteratorISK_EESO_EEENSM_IJSG_SG_EEES6_PlJS6_EEE10hipError_tPvRmT3_T4_T5_T6_T7_T9_mT8_P12ihipStream_tbDpT10_ENKUlT_T0_E_clISt17integral_constantIbLb0EES1A_IbLb1EEEEDaS16_S17_EUlS16_E_NS1_11comp_targetILNS1_3genE9ELNS1_11target_archE1100ELNS1_3gpuE3ELNS1_3repE0EEENS1_30default_config_static_selectorELNS0_4arch9wavefront6targetE1EEEvT1_
		.amdhsa_group_segment_fixed_size 0
		.amdhsa_private_segment_fixed_size 0
		.amdhsa_kernarg_size 160
		.amdhsa_user_sgpr_count 2
		.amdhsa_user_sgpr_dispatch_ptr 0
		.amdhsa_user_sgpr_queue_ptr 0
		.amdhsa_user_sgpr_kernarg_segment_ptr 1
		.amdhsa_user_sgpr_dispatch_id 0
		.amdhsa_user_sgpr_kernarg_preload_length 0
		.amdhsa_user_sgpr_kernarg_preload_offset 0
		.amdhsa_user_sgpr_private_segment_size 0
		.amdhsa_uses_dynamic_stack 0
		.amdhsa_enable_private_segment 0
		.amdhsa_system_sgpr_workgroup_id_x 1
		.amdhsa_system_sgpr_workgroup_id_y 0
		.amdhsa_system_sgpr_workgroup_id_z 0
		.amdhsa_system_sgpr_workgroup_info 0
		.amdhsa_system_vgpr_workitem_id 0
		.amdhsa_next_free_vgpr 1
		.amdhsa_next_free_sgpr 0
		.amdhsa_accum_offset 4
		.amdhsa_reserve_vcc 0
		.amdhsa_float_round_mode_32 0
		.amdhsa_float_round_mode_16_64 0
		.amdhsa_float_denorm_mode_32 3
		.amdhsa_float_denorm_mode_16_64 3
		.amdhsa_dx10_clamp 1
		.amdhsa_ieee_mode 1
		.amdhsa_fp16_overflow 0
		.amdhsa_tg_split 0
		.amdhsa_exception_fp_ieee_invalid_op 0
		.amdhsa_exception_fp_denorm_src 0
		.amdhsa_exception_fp_ieee_div_zero 0
		.amdhsa_exception_fp_ieee_overflow 0
		.amdhsa_exception_fp_ieee_underflow 0
		.amdhsa_exception_fp_ieee_inexact 0
		.amdhsa_exception_int_div_zero 0
	.end_amdhsa_kernel
	.section	.text._ZN7rocprim17ROCPRIM_400000_NS6detail17trampoline_kernelINS0_14default_configENS1_25partition_config_selectorILNS1_17partition_subalgoE1EjNS0_10empty_typeEbEEZZNS1_14partition_implILS5_1ELb0ES3_jN6thrust23THRUST_200600_302600_NS6detail15normal_iteratorINSA_10device_ptrIjEEEEPS6_NSA_18transform_iteratorI7is_evenIjESF_NSA_11use_defaultESK_EENS0_5tupleIJNSA_16discard_iteratorISK_EESO_EEENSM_IJSG_SG_EEES6_PlJS6_EEE10hipError_tPvRmT3_T4_T5_T6_T7_T9_mT8_P12ihipStream_tbDpT10_ENKUlT_T0_E_clISt17integral_constantIbLb0EES1A_IbLb1EEEEDaS16_S17_EUlS16_E_NS1_11comp_targetILNS1_3genE9ELNS1_11target_archE1100ELNS1_3gpuE3ELNS1_3repE0EEENS1_30default_config_static_selectorELNS0_4arch9wavefront6targetE1EEEvT1_,"axG",@progbits,_ZN7rocprim17ROCPRIM_400000_NS6detail17trampoline_kernelINS0_14default_configENS1_25partition_config_selectorILNS1_17partition_subalgoE1EjNS0_10empty_typeEbEEZZNS1_14partition_implILS5_1ELb0ES3_jN6thrust23THRUST_200600_302600_NS6detail15normal_iteratorINSA_10device_ptrIjEEEEPS6_NSA_18transform_iteratorI7is_evenIjESF_NSA_11use_defaultESK_EENS0_5tupleIJNSA_16discard_iteratorISK_EESO_EEENSM_IJSG_SG_EEES6_PlJS6_EEE10hipError_tPvRmT3_T4_T5_T6_T7_T9_mT8_P12ihipStream_tbDpT10_ENKUlT_T0_E_clISt17integral_constantIbLb0EES1A_IbLb1EEEEDaS16_S17_EUlS16_E_NS1_11comp_targetILNS1_3genE9ELNS1_11target_archE1100ELNS1_3gpuE3ELNS1_3repE0EEENS1_30default_config_static_selectorELNS0_4arch9wavefront6targetE1EEEvT1_,comdat
.Lfunc_end3001:
	.size	_ZN7rocprim17ROCPRIM_400000_NS6detail17trampoline_kernelINS0_14default_configENS1_25partition_config_selectorILNS1_17partition_subalgoE1EjNS0_10empty_typeEbEEZZNS1_14partition_implILS5_1ELb0ES3_jN6thrust23THRUST_200600_302600_NS6detail15normal_iteratorINSA_10device_ptrIjEEEEPS6_NSA_18transform_iteratorI7is_evenIjESF_NSA_11use_defaultESK_EENS0_5tupleIJNSA_16discard_iteratorISK_EESO_EEENSM_IJSG_SG_EEES6_PlJS6_EEE10hipError_tPvRmT3_T4_T5_T6_T7_T9_mT8_P12ihipStream_tbDpT10_ENKUlT_T0_E_clISt17integral_constantIbLb0EES1A_IbLb1EEEEDaS16_S17_EUlS16_E_NS1_11comp_targetILNS1_3genE9ELNS1_11target_archE1100ELNS1_3gpuE3ELNS1_3repE0EEENS1_30default_config_static_selectorELNS0_4arch9wavefront6targetE1EEEvT1_, .Lfunc_end3001-_ZN7rocprim17ROCPRIM_400000_NS6detail17trampoline_kernelINS0_14default_configENS1_25partition_config_selectorILNS1_17partition_subalgoE1EjNS0_10empty_typeEbEEZZNS1_14partition_implILS5_1ELb0ES3_jN6thrust23THRUST_200600_302600_NS6detail15normal_iteratorINSA_10device_ptrIjEEEEPS6_NSA_18transform_iteratorI7is_evenIjESF_NSA_11use_defaultESK_EENS0_5tupleIJNSA_16discard_iteratorISK_EESO_EEENSM_IJSG_SG_EEES6_PlJS6_EEE10hipError_tPvRmT3_T4_T5_T6_T7_T9_mT8_P12ihipStream_tbDpT10_ENKUlT_T0_E_clISt17integral_constantIbLb0EES1A_IbLb1EEEEDaS16_S17_EUlS16_E_NS1_11comp_targetILNS1_3genE9ELNS1_11target_archE1100ELNS1_3gpuE3ELNS1_3repE0EEENS1_30default_config_static_selectorELNS0_4arch9wavefront6targetE1EEEvT1_
                                        ; -- End function
	.section	.AMDGPU.csdata,"",@progbits
; Kernel info:
; codeLenInByte = 0
; NumSgprs: 6
; NumVgprs: 0
; NumAgprs: 0
; TotalNumVgprs: 0
; ScratchSize: 0
; MemoryBound: 0
; FloatMode: 240
; IeeeMode: 1
; LDSByteSize: 0 bytes/workgroup (compile time only)
; SGPRBlocks: 0
; VGPRBlocks: 0
; NumSGPRsForWavesPerEU: 6
; NumVGPRsForWavesPerEU: 1
; AccumOffset: 4
; Occupancy: 8
; WaveLimiterHint : 0
; COMPUTE_PGM_RSRC2:SCRATCH_EN: 0
; COMPUTE_PGM_RSRC2:USER_SGPR: 2
; COMPUTE_PGM_RSRC2:TRAP_HANDLER: 0
; COMPUTE_PGM_RSRC2:TGID_X_EN: 1
; COMPUTE_PGM_RSRC2:TGID_Y_EN: 0
; COMPUTE_PGM_RSRC2:TGID_Z_EN: 0
; COMPUTE_PGM_RSRC2:TIDIG_COMP_CNT: 0
; COMPUTE_PGM_RSRC3_GFX90A:ACCUM_OFFSET: 0
; COMPUTE_PGM_RSRC3_GFX90A:TG_SPLIT: 0
	.section	.text._ZN7rocprim17ROCPRIM_400000_NS6detail17trampoline_kernelINS0_14default_configENS1_25partition_config_selectorILNS1_17partition_subalgoE1EjNS0_10empty_typeEbEEZZNS1_14partition_implILS5_1ELb0ES3_jN6thrust23THRUST_200600_302600_NS6detail15normal_iteratorINSA_10device_ptrIjEEEEPS6_NSA_18transform_iteratorI7is_evenIjESF_NSA_11use_defaultESK_EENS0_5tupleIJNSA_16discard_iteratorISK_EESO_EEENSM_IJSG_SG_EEES6_PlJS6_EEE10hipError_tPvRmT3_T4_T5_T6_T7_T9_mT8_P12ihipStream_tbDpT10_ENKUlT_T0_E_clISt17integral_constantIbLb0EES1A_IbLb1EEEEDaS16_S17_EUlS16_E_NS1_11comp_targetILNS1_3genE8ELNS1_11target_archE1030ELNS1_3gpuE2ELNS1_3repE0EEENS1_30default_config_static_selectorELNS0_4arch9wavefront6targetE1EEEvT1_,"axG",@progbits,_ZN7rocprim17ROCPRIM_400000_NS6detail17trampoline_kernelINS0_14default_configENS1_25partition_config_selectorILNS1_17partition_subalgoE1EjNS0_10empty_typeEbEEZZNS1_14partition_implILS5_1ELb0ES3_jN6thrust23THRUST_200600_302600_NS6detail15normal_iteratorINSA_10device_ptrIjEEEEPS6_NSA_18transform_iteratorI7is_evenIjESF_NSA_11use_defaultESK_EENS0_5tupleIJNSA_16discard_iteratorISK_EESO_EEENSM_IJSG_SG_EEES6_PlJS6_EEE10hipError_tPvRmT3_T4_T5_T6_T7_T9_mT8_P12ihipStream_tbDpT10_ENKUlT_T0_E_clISt17integral_constantIbLb0EES1A_IbLb1EEEEDaS16_S17_EUlS16_E_NS1_11comp_targetILNS1_3genE8ELNS1_11target_archE1030ELNS1_3gpuE2ELNS1_3repE0EEENS1_30default_config_static_selectorELNS0_4arch9wavefront6targetE1EEEvT1_,comdat
	.protected	_ZN7rocprim17ROCPRIM_400000_NS6detail17trampoline_kernelINS0_14default_configENS1_25partition_config_selectorILNS1_17partition_subalgoE1EjNS0_10empty_typeEbEEZZNS1_14partition_implILS5_1ELb0ES3_jN6thrust23THRUST_200600_302600_NS6detail15normal_iteratorINSA_10device_ptrIjEEEEPS6_NSA_18transform_iteratorI7is_evenIjESF_NSA_11use_defaultESK_EENS0_5tupleIJNSA_16discard_iteratorISK_EESO_EEENSM_IJSG_SG_EEES6_PlJS6_EEE10hipError_tPvRmT3_T4_T5_T6_T7_T9_mT8_P12ihipStream_tbDpT10_ENKUlT_T0_E_clISt17integral_constantIbLb0EES1A_IbLb1EEEEDaS16_S17_EUlS16_E_NS1_11comp_targetILNS1_3genE8ELNS1_11target_archE1030ELNS1_3gpuE2ELNS1_3repE0EEENS1_30default_config_static_selectorELNS0_4arch9wavefront6targetE1EEEvT1_ ; -- Begin function _ZN7rocprim17ROCPRIM_400000_NS6detail17trampoline_kernelINS0_14default_configENS1_25partition_config_selectorILNS1_17partition_subalgoE1EjNS0_10empty_typeEbEEZZNS1_14partition_implILS5_1ELb0ES3_jN6thrust23THRUST_200600_302600_NS6detail15normal_iteratorINSA_10device_ptrIjEEEEPS6_NSA_18transform_iteratorI7is_evenIjESF_NSA_11use_defaultESK_EENS0_5tupleIJNSA_16discard_iteratorISK_EESO_EEENSM_IJSG_SG_EEES6_PlJS6_EEE10hipError_tPvRmT3_T4_T5_T6_T7_T9_mT8_P12ihipStream_tbDpT10_ENKUlT_T0_E_clISt17integral_constantIbLb0EES1A_IbLb1EEEEDaS16_S17_EUlS16_E_NS1_11comp_targetILNS1_3genE8ELNS1_11target_archE1030ELNS1_3gpuE2ELNS1_3repE0EEENS1_30default_config_static_selectorELNS0_4arch9wavefront6targetE1EEEvT1_
	.globl	_ZN7rocprim17ROCPRIM_400000_NS6detail17trampoline_kernelINS0_14default_configENS1_25partition_config_selectorILNS1_17partition_subalgoE1EjNS0_10empty_typeEbEEZZNS1_14partition_implILS5_1ELb0ES3_jN6thrust23THRUST_200600_302600_NS6detail15normal_iteratorINSA_10device_ptrIjEEEEPS6_NSA_18transform_iteratorI7is_evenIjESF_NSA_11use_defaultESK_EENS0_5tupleIJNSA_16discard_iteratorISK_EESO_EEENSM_IJSG_SG_EEES6_PlJS6_EEE10hipError_tPvRmT3_T4_T5_T6_T7_T9_mT8_P12ihipStream_tbDpT10_ENKUlT_T0_E_clISt17integral_constantIbLb0EES1A_IbLb1EEEEDaS16_S17_EUlS16_E_NS1_11comp_targetILNS1_3genE8ELNS1_11target_archE1030ELNS1_3gpuE2ELNS1_3repE0EEENS1_30default_config_static_selectorELNS0_4arch9wavefront6targetE1EEEvT1_
	.p2align	8
	.type	_ZN7rocprim17ROCPRIM_400000_NS6detail17trampoline_kernelINS0_14default_configENS1_25partition_config_selectorILNS1_17partition_subalgoE1EjNS0_10empty_typeEbEEZZNS1_14partition_implILS5_1ELb0ES3_jN6thrust23THRUST_200600_302600_NS6detail15normal_iteratorINSA_10device_ptrIjEEEEPS6_NSA_18transform_iteratorI7is_evenIjESF_NSA_11use_defaultESK_EENS0_5tupleIJNSA_16discard_iteratorISK_EESO_EEENSM_IJSG_SG_EEES6_PlJS6_EEE10hipError_tPvRmT3_T4_T5_T6_T7_T9_mT8_P12ihipStream_tbDpT10_ENKUlT_T0_E_clISt17integral_constantIbLb0EES1A_IbLb1EEEEDaS16_S17_EUlS16_E_NS1_11comp_targetILNS1_3genE8ELNS1_11target_archE1030ELNS1_3gpuE2ELNS1_3repE0EEENS1_30default_config_static_selectorELNS0_4arch9wavefront6targetE1EEEvT1_,@function
_ZN7rocprim17ROCPRIM_400000_NS6detail17trampoline_kernelINS0_14default_configENS1_25partition_config_selectorILNS1_17partition_subalgoE1EjNS0_10empty_typeEbEEZZNS1_14partition_implILS5_1ELb0ES3_jN6thrust23THRUST_200600_302600_NS6detail15normal_iteratorINSA_10device_ptrIjEEEEPS6_NSA_18transform_iteratorI7is_evenIjESF_NSA_11use_defaultESK_EENS0_5tupleIJNSA_16discard_iteratorISK_EESO_EEENSM_IJSG_SG_EEES6_PlJS6_EEE10hipError_tPvRmT3_T4_T5_T6_T7_T9_mT8_P12ihipStream_tbDpT10_ENKUlT_T0_E_clISt17integral_constantIbLb0EES1A_IbLb1EEEEDaS16_S17_EUlS16_E_NS1_11comp_targetILNS1_3genE8ELNS1_11target_archE1030ELNS1_3gpuE2ELNS1_3repE0EEENS1_30default_config_static_selectorELNS0_4arch9wavefront6targetE1EEEvT1_: ; @_ZN7rocprim17ROCPRIM_400000_NS6detail17trampoline_kernelINS0_14default_configENS1_25partition_config_selectorILNS1_17partition_subalgoE1EjNS0_10empty_typeEbEEZZNS1_14partition_implILS5_1ELb0ES3_jN6thrust23THRUST_200600_302600_NS6detail15normal_iteratorINSA_10device_ptrIjEEEEPS6_NSA_18transform_iteratorI7is_evenIjESF_NSA_11use_defaultESK_EENS0_5tupleIJNSA_16discard_iteratorISK_EESO_EEENSM_IJSG_SG_EEES6_PlJS6_EEE10hipError_tPvRmT3_T4_T5_T6_T7_T9_mT8_P12ihipStream_tbDpT10_ENKUlT_T0_E_clISt17integral_constantIbLb0EES1A_IbLb1EEEEDaS16_S17_EUlS16_E_NS1_11comp_targetILNS1_3genE8ELNS1_11target_archE1030ELNS1_3gpuE2ELNS1_3repE0EEENS1_30default_config_static_selectorELNS0_4arch9wavefront6targetE1EEEvT1_
; %bb.0:
	.section	.rodata,"a",@progbits
	.p2align	6, 0x0
	.amdhsa_kernel _ZN7rocprim17ROCPRIM_400000_NS6detail17trampoline_kernelINS0_14default_configENS1_25partition_config_selectorILNS1_17partition_subalgoE1EjNS0_10empty_typeEbEEZZNS1_14partition_implILS5_1ELb0ES3_jN6thrust23THRUST_200600_302600_NS6detail15normal_iteratorINSA_10device_ptrIjEEEEPS6_NSA_18transform_iteratorI7is_evenIjESF_NSA_11use_defaultESK_EENS0_5tupleIJNSA_16discard_iteratorISK_EESO_EEENSM_IJSG_SG_EEES6_PlJS6_EEE10hipError_tPvRmT3_T4_T5_T6_T7_T9_mT8_P12ihipStream_tbDpT10_ENKUlT_T0_E_clISt17integral_constantIbLb0EES1A_IbLb1EEEEDaS16_S17_EUlS16_E_NS1_11comp_targetILNS1_3genE8ELNS1_11target_archE1030ELNS1_3gpuE2ELNS1_3repE0EEENS1_30default_config_static_selectorELNS0_4arch9wavefront6targetE1EEEvT1_
		.amdhsa_group_segment_fixed_size 0
		.amdhsa_private_segment_fixed_size 0
		.amdhsa_kernarg_size 160
		.amdhsa_user_sgpr_count 2
		.amdhsa_user_sgpr_dispatch_ptr 0
		.amdhsa_user_sgpr_queue_ptr 0
		.amdhsa_user_sgpr_kernarg_segment_ptr 1
		.amdhsa_user_sgpr_dispatch_id 0
		.amdhsa_user_sgpr_kernarg_preload_length 0
		.amdhsa_user_sgpr_kernarg_preload_offset 0
		.amdhsa_user_sgpr_private_segment_size 0
		.amdhsa_uses_dynamic_stack 0
		.amdhsa_enable_private_segment 0
		.amdhsa_system_sgpr_workgroup_id_x 1
		.amdhsa_system_sgpr_workgroup_id_y 0
		.amdhsa_system_sgpr_workgroup_id_z 0
		.amdhsa_system_sgpr_workgroup_info 0
		.amdhsa_system_vgpr_workitem_id 0
		.amdhsa_next_free_vgpr 1
		.amdhsa_next_free_sgpr 0
		.amdhsa_accum_offset 4
		.amdhsa_reserve_vcc 0
		.amdhsa_float_round_mode_32 0
		.amdhsa_float_round_mode_16_64 0
		.amdhsa_float_denorm_mode_32 3
		.amdhsa_float_denorm_mode_16_64 3
		.amdhsa_dx10_clamp 1
		.amdhsa_ieee_mode 1
		.amdhsa_fp16_overflow 0
		.amdhsa_tg_split 0
		.amdhsa_exception_fp_ieee_invalid_op 0
		.amdhsa_exception_fp_denorm_src 0
		.amdhsa_exception_fp_ieee_div_zero 0
		.amdhsa_exception_fp_ieee_overflow 0
		.amdhsa_exception_fp_ieee_underflow 0
		.amdhsa_exception_fp_ieee_inexact 0
		.amdhsa_exception_int_div_zero 0
	.end_amdhsa_kernel
	.section	.text._ZN7rocprim17ROCPRIM_400000_NS6detail17trampoline_kernelINS0_14default_configENS1_25partition_config_selectorILNS1_17partition_subalgoE1EjNS0_10empty_typeEbEEZZNS1_14partition_implILS5_1ELb0ES3_jN6thrust23THRUST_200600_302600_NS6detail15normal_iteratorINSA_10device_ptrIjEEEEPS6_NSA_18transform_iteratorI7is_evenIjESF_NSA_11use_defaultESK_EENS0_5tupleIJNSA_16discard_iteratorISK_EESO_EEENSM_IJSG_SG_EEES6_PlJS6_EEE10hipError_tPvRmT3_T4_T5_T6_T7_T9_mT8_P12ihipStream_tbDpT10_ENKUlT_T0_E_clISt17integral_constantIbLb0EES1A_IbLb1EEEEDaS16_S17_EUlS16_E_NS1_11comp_targetILNS1_3genE8ELNS1_11target_archE1030ELNS1_3gpuE2ELNS1_3repE0EEENS1_30default_config_static_selectorELNS0_4arch9wavefront6targetE1EEEvT1_,"axG",@progbits,_ZN7rocprim17ROCPRIM_400000_NS6detail17trampoline_kernelINS0_14default_configENS1_25partition_config_selectorILNS1_17partition_subalgoE1EjNS0_10empty_typeEbEEZZNS1_14partition_implILS5_1ELb0ES3_jN6thrust23THRUST_200600_302600_NS6detail15normal_iteratorINSA_10device_ptrIjEEEEPS6_NSA_18transform_iteratorI7is_evenIjESF_NSA_11use_defaultESK_EENS0_5tupleIJNSA_16discard_iteratorISK_EESO_EEENSM_IJSG_SG_EEES6_PlJS6_EEE10hipError_tPvRmT3_T4_T5_T6_T7_T9_mT8_P12ihipStream_tbDpT10_ENKUlT_T0_E_clISt17integral_constantIbLb0EES1A_IbLb1EEEEDaS16_S17_EUlS16_E_NS1_11comp_targetILNS1_3genE8ELNS1_11target_archE1030ELNS1_3gpuE2ELNS1_3repE0EEENS1_30default_config_static_selectorELNS0_4arch9wavefront6targetE1EEEvT1_,comdat
.Lfunc_end3002:
	.size	_ZN7rocprim17ROCPRIM_400000_NS6detail17trampoline_kernelINS0_14default_configENS1_25partition_config_selectorILNS1_17partition_subalgoE1EjNS0_10empty_typeEbEEZZNS1_14partition_implILS5_1ELb0ES3_jN6thrust23THRUST_200600_302600_NS6detail15normal_iteratorINSA_10device_ptrIjEEEEPS6_NSA_18transform_iteratorI7is_evenIjESF_NSA_11use_defaultESK_EENS0_5tupleIJNSA_16discard_iteratorISK_EESO_EEENSM_IJSG_SG_EEES6_PlJS6_EEE10hipError_tPvRmT3_T4_T5_T6_T7_T9_mT8_P12ihipStream_tbDpT10_ENKUlT_T0_E_clISt17integral_constantIbLb0EES1A_IbLb1EEEEDaS16_S17_EUlS16_E_NS1_11comp_targetILNS1_3genE8ELNS1_11target_archE1030ELNS1_3gpuE2ELNS1_3repE0EEENS1_30default_config_static_selectorELNS0_4arch9wavefront6targetE1EEEvT1_, .Lfunc_end3002-_ZN7rocprim17ROCPRIM_400000_NS6detail17trampoline_kernelINS0_14default_configENS1_25partition_config_selectorILNS1_17partition_subalgoE1EjNS0_10empty_typeEbEEZZNS1_14partition_implILS5_1ELb0ES3_jN6thrust23THRUST_200600_302600_NS6detail15normal_iteratorINSA_10device_ptrIjEEEEPS6_NSA_18transform_iteratorI7is_evenIjESF_NSA_11use_defaultESK_EENS0_5tupleIJNSA_16discard_iteratorISK_EESO_EEENSM_IJSG_SG_EEES6_PlJS6_EEE10hipError_tPvRmT3_T4_T5_T6_T7_T9_mT8_P12ihipStream_tbDpT10_ENKUlT_T0_E_clISt17integral_constantIbLb0EES1A_IbLb1EEEEDaS16_S17_EUlS16_E_NS1_11comp_targetILNS1_3genE8ELNS1_11target_archE1030ELNS1_3gpuE2ELNS1_3repE0EEENS1_30default_config_static_selectorELNS0_4arch9wavefront6targetE1EEEvT1_
                                        ; -- End function
	.section	.AMDGPU.csdata,"",@progbits
; Kernel info:
; codeLenInByte = 0
; NumSgprs: 6
; NumVgprs: 0
; NumAgprs: 0
; TotalNumVgprs: 0
; ScratchSize: 0
; MemoryBound: 0
; FloatMode: 240
; IeeeMode: 1
; LDSByteSize: 0 bytes/workgroup (compile time only)
; SGPRBlocks: 0
; VGPRBlocks: 0
; NumSGPRsForWavesPerEU: 6
; NumVGPRsForWavesPerEU: 1
; AccumOffset: 4
; Occupancy: 8
; WaveLimiterHint : 0
; COMPUTE_PGM_RSRC2:SCRATCH_EN: 0
; COMPUTE_PGM_RSRC2:USER_SGPR: 2
; COMPUTE_PGM_RSRC2:TRAP_HANDLER: 0
; COMPUTE_PGM_RSRC2:TGID_X_EN: 1
; COMPUTE_PGM_RSRC2:TGID_Y_EN: 0
; COMPUTE_PGM_RSRC2:TGID_Z_EN: 0
; COMPUTE_PGM_RSRC2:TIDIG_COMP_CNT: 0
; COMPUTE_PGM_RSRC3_GFX90A:ACCUM_OFFSET: 0
; COMPUTE_PGM_RSRC3_GFX90A:TG_SPLIT: 0
	.section	.text._ZN7rocprim17ROCPRIM_400000_NS6detail17trampoline_kernelINS0_14default_configENS1_25partition_config_selectorILNS1_17partition_subalgoE1EjNS0_10empty_typeEbEEZZNS1_14partition_implILS5_1ELb0ES3_jN6thrust23THRUST_200600_302600_NS6detail15normal_iteratorINSA_10device_ptrIjEEEEPS6_NSA_18transform_iteratorI7is_evenIjESF_NSA_11use_defaultESK_EENS0_5tupleIJSF_NSA_16discard_iteratorISK_EEEEENSM_IJSG_SG_EEES6_PlJS6_EEE10hipError_tPvRmT3_T4_T5_T6_T7_T9_mT8_P12ihipStream_tbDpT10_ENKUlT_T0_E_clISt17integral_constantIbLb0EES1B_EEDaS16_S17_EUlS16_E_NS1_11comp_targetILNS1_3genE0ELNS1_11target_archE4294967295ELNS1_3gpuE0ELNS1_3repE0EEENS1_30default_config_static_selectorELNS0_4arch9wavefront6targetE1EEEvT1_,"axG",@progbits,_ZN7rocprim17ROCPRIM_400000_NS6detail17trampoline_kernelINS0_14default_configENS1_25partition_config_selectorILNS1_17partition_subalgoE1EjNS0_10empty_typeEbEEZZNS1_14partition_implILS5_1ELb0ES3_jN6thrust23THRUST_200600_302600_NS6detail15normal_iteratorINSA_10device_ptrIjEEEEPS6_NSA_18transform_iteratorI7is_evenIjESF_NSA_11use_defaultESK_EENS0_5tupleIJSF_NSA_16discard_iteratorISK_EEEEENSM_IJSG_SG_EEES6_PlJS6_EEE10hipError_tPvRmT3_T4_T5_T6_T7_T9_mT8_P12ihipStream_tbDpT10_ENKUlT_T0_E_clISt17integral_constantIbLb0EES1B_EEDaS16_S17_EUlS16_E_NS1_11comp_targetILNS1_3genE0ELNS1_11target_archE4294967295ELNS1_3gpuE0ELNS1_3repE0EEENS1_30default_config_static_selectorELNS0_4arch9wavefront6targetE1EEEvT1_,comdat
	.protected	_ZN7rocprim17ROCPRIM_400000_NS6detail17trampoline_kernelINS0_14default_configENS1_25partition_config_selectorILNS1_17partition_subalgoE1EjNS0_10empty_typeEbEEZZNS1_14partition_implILS5_1ELb0ES3_jN6thrust23THRUST_200600_302600_NS6detail15normal_iteratorINSA_10device_ptrIjEEEEPS6_NSA_18transform_iteratorI7is_evenIjESF_NSA_11use_defaultESK_EENS0_5tupleIJSF_NSA_16discard_iteratorISK_EEEEENSM_IJSG_SG_EEES6_PlJS6_EEE10hipError_tPvRmT3_T4_T5_T6_T7_T9_mT8_P12ihipStream_tbDpT10_ENKUlT_T0_E_clISt17integral_constantIbLb0EES1B_EEDaS16_S17_EUlS16_E_NS1_11comp_targetILNS1_3genE0ELNS1_11target_archE4294967295ELNS1_3gpuE0ELNS1_3repE0EEENS1_30default_config_static_selectorELNS0_4arch9wavefront6targetE1EEEvT1_ ; -- Begin function _ZN7rocprim17ROCPRIM_400000_NS6detail17trampoline_kernelINS0_14default_configENS1_25partition_config_selectorILNS1_17partition_subalgoE1EjNS0_10empty_typeEbEEZZNS1_14partition_implILS5_1ELb0ES3_jN6thrust23THRUST_200600_302600_NS6detail15normal_iteratorINSA_10device_ptrIjEEEEPS6_NSA_18transform_iteratorI7is_evenIjESF_NSA_11use_defaultESK_EENS0_5tupleIJSF_NSA_16discard_iteratorISK_EEEEENSM_IJSG_SG_EEES6_PlJS6_EEE10hipError_tPvRmT3_T4_T5_T6_T7_T9_mT8_P12ihipStream_tbDpT10_ENKUlT_T0_E_clISt17integral_constantIbLb0EES1B_EEDaS16_S17_EUlS16_E_NS1_11comp_targetILNS1_3genE0ELNS1_11target_archE4294967295ELNS1_3gpuE0ELNS1_3repE0EEENS1_30default_config_static_selectorELNS0_4arch9wavefront6targetE1EEEvT1_
	.globl	_ZN7rocprim17ROCPRIM_400000_NS6detail17trampoline_kernelINS0_14default_configENS1_25partition_config_selectorILNS1_17partition_subalgoE1EjNS0_10empty_typeEbEEZZNS1_14partition_implILS5_1ELb0ES3_jN6thrust23THRUST_200600_302600_NS6detail15normal_iteratorINSA_10device_ptrIjEEEEPS6_NSA_18transform_iteratorI7is_evenIjESF_NSA_11use_defaultESK_EENS0_5tupleIJSF_NSA_16discard_iteratorISK_EEEEENSM_IJSG_SG_EEES6_PlJS6_EEE10hipError_tPvRmT3_T4_T5_T6_T7_T9_mT8_P12ihipStream_tbDpT10_ENKUlT_T0_E_clISt17integral_constantIbLb0EES1B_EEDaS16_S17_EUlS16_E_NS1_11comp_targetILNS1_3genE0ELNS1_11target_archE4294967295ELNS1_3gpuE0ELNS1_3repE0EEENS1_30default_config_static_selectorELNS0_4arch9wavefront6targetE1EEEvT1_
	.p2align	8
	.type	_ZN7rocprim17ROCPRIM_400000_NS6detail17trampoline_kernelINS0_14default_configENS1_25partition_config_selectorILNS1_17partition_subalgoE1EjNS0_10empty_typeEbEEZZNS1_14partition_implILS5_1ELb0ES3_jN6thrust23THRUST_200600_302600_NS6detail15normal_iteratorINSA_10device_ptrIjEEEEPS6_NSA_18transform_iteratorI7is_evenIjESF_NSA_11use_defaultESK_EENS0_5tupleIJSF_NSA_16discard_iteratorISK_EEEEENSM_IJSG_SG_EEES6_PlJS6_EEE10hipError_tPvRmT3_T4_T5_T6_T7_T9_mT8_P12ihipStream_tbDpT10_ENKUlT_T0_E_clISt17integral_constantIbLb0EES1B_EEDaS16_S17_EUlS16_E_NS1_11comp_targetILNS1_3genE0ELNS1_11target_archE4294967295ELNS1_3gpuE0ELNS1_3repE0EEENS1_30default_config_static_selectorELNS0_4arch9wavefront6targetE1EEEvT1_,@function
_ZN7rocprim17ROCPRIM_400000_NS6detail17trampoline_kernelINS0_14default_configENS1_25partition_config_selectorILNS1_17partition_subalgoE1EjNS0_10empty_typeEbEEZZNS1_14partition_implILS5_1ELb0ES3_jN6thrust23THRUST_200600_302600_NS6detail15normal_iteratorINSA_10device_ptrIjEEEEPS6_NSA_18transform_iteratorI7is_evenIjESF_NSA_11use_defaultESK_EENS0_5tupleIJSF_NSA_16discard_iteratorISK_EEEEENSM_IJSG_SG_EEES6_PlJS6_EEE10hipError_tPvRmT3_T4_T5_T6_T7_T9_mT8_P12ihipStream_tbDpT10_ENKUlT_T0_E_clISt17integral_constantIbLb0EES1B_EEDaS16_S17_EUlS16_E_NS1_11comp_targetILNS1_3genE0ELNS1_11target_archE4294967295ELNS1_3gpuE0ELNS1_3repE0EEENS1_30default_config_static_selectorELNS0_4arch9wavefront6targetE1EEEvT1_: ; @_ZN7rocprim17ROCPRIM_400000_NS6detail17trampoline_kernelINS0_14default_configENS1_25partition_config_selectorILNS1_17partition_subalgoE1EjNS0_10empty_typeEbEEZZNS1_14partition_implILS5_1ELb0ES3_jN6thrust23THRUST_200600_302600_NS6detail15normal_iteratorINSA_10device_ptrIjEEEEPS6_NSA_18transform_iteratorI7is_evenIjESF_NSA_11use_defaultESK_EENS0_5tupleIJSF_NSA_16discard_iteratorISK_EEEEENSM_IJSG_SG_EEES6_PlJS6_EEE10hipError_tPvRmT3_T4_T5_T6_T7_T9_mT8_P12ihipStream_tbDpT10_ENKUlT_T0_E_clISt17integral_constantIbLb0EES1B_EEDaS16_S17_EUlS16_E_NS1_11comp_targetILNS1_3genE0ELNS1_11target_archE4294967295ELNS1_3gpuE0ELNS1_3repE0EEENS1_30default_config_static_selectorELNS0_4arch9wavefront6targetE1EEEvT1_
; %bb.0:
	.section	.rodata,"a",@progbits
	.p2align	6, 0x0
	.amdhsa_kernel _ZN7rocprim17ROCPRIM_400000_NS6detail17trampoline_kernelINS0_14default_configENS1_25partition_config_selectorILNS1_17partition_subalgoE1EjNS0_10empty_typeEbEEZZNS1_14partition_implILS5_1ELb0ES3_jN6thrust23THRUST_200600_302600_NS6detail15normal_iteratorINSA_10device_ptrIjEEEEPS6_NSA_18transform_iteratorI7is_evenIjESF_NSA_11use_defaultESK_EENS0_5tupleIJSF_NSA_16discard_iteratorISK_EEEEENSM_IJSG_SG_EEES6_PlJS6_EEE10hipError_tPvRmT3_T4_T5_T6_T7_T9_mT8_P12ihipStream_tbDpT10_ENKUlT_T0_E_clISt17integral_constantIbLb0EES1B_EEDaS16_S17_EUlS16_E_NS1_11comp_targetILNS1_3genE0ELNS1_11target_archE4294967295ELNS1_3gpuE0ELNS1_3repE0EEENS1_30default_config_static_selectorELNS0_4arch9wavefront6targetE1EEEvT1_
		.amdhsa_group_segment_fixed_size 0
		.amdhsa_private_segment_fixed_size 0
		.amdhsa_kernarg_size 136
		.amdhsa_user_sgpr_count 2
		.amdhsa_user_sgpr_dispatch_ptr 0
		.amdhsa_user_sgpr_queue_ptr 0
		.amdhsa_user_sgpr_kernarg_segment_ptr 1
		.amdhsa_user_sgpr_dispatch_id 0
		.amdhsa_user_sgpr_kernarg_preload_length 0
		.amdhsa_user_sgpr_kernarg_preload_offset 0
		.amdhsa_user_sgpr_private_segment_size 0
		.amdhsa_uses_dynamic_stack 0
		.amdhsa_enable_private_segment 0
		.amdhsa_system_sgpr_workgroup_id_x 1
		.amdhsa_system_sgpr_workgroup_id_y 0
		.amdhsa_system_sgpr_workgroup_id_z 0
		.amdhsa_system_sgpr_workgroup_info 0
		.amdhsa_system_vgpr_workitem_id 0
		.amdhsa_next_free_vgpr 1
		.amdhsa_next_free_sgpr 0
		.amdhsa_accum_offset 4
		.amdhsa_reserve_vcc 0
		.amdhsa_float_round_mode_32 0
		.amdhsa_float_round_mode_16_64 0
		.amdhsa_float_denorm_mode_32 3
		.amdhsa_float_denorm_mode_16_64 3
		.amdhsa_dx10_clamp 1
		.amdhsa_ieee_mode 1
		.amdhsa_fp16_overflow 0
		.amdhsa_tg_split 0
		.amdhsa_exception_fp_ieee_invalid_op 0
		.amdhsa_exception_fp_denorm_src 0
		.amdhsa_exception_fp_ieee_div_zero 0
		.amdhsa_exception_fp_ieee_overflow 0
		.amdhsa_exception_fp_ieee_underflow 0
		.amdhsa_exception_fp_ieee_inexact 0
		.amdhsa_exception_int_div_zero 0
	.end_amdhsa_kernel
	.section	.text._ZN7rocprim17ROCPRIM_400000_NS6detail17trampoline_kernelINS0_14default_configENS1_25partition_config_selectorILNS1_17partition_subalgoE1EjNS0_10empty_typeEbEEZZNS1_14partition_implILS5_1ELb0ES3_jN6thrust23THRUST_200600_302600_NS6detail15normal_iteratorINSA_10device_ptrIjEEEEPS6_NSA_18transform_iteratorI7is_evenIjESF_NSA_11use_defaultESK_EENS0_5tupleIJSF_NSA_16discard_iteratorISK_EEEEENSM_IJSG_SG_EEES6_PlJS6_EEE10hipError_tPvRmT3_T4_T5_T6_T7_T9_mT8_P12ihipStream_tbDpT10_ENKUlT_T0_E_clISt17integral_constantIbLb0EES1B_EEDaS16_S17_EUlS16_E_NS1_11comp_targetILNS1_3genE0ELNS1_11target_archE4294967295ELNS1_3gpuE0ELNS1_3repE0EEENS1_30default_config_static_selectorELNS0_4arch9wavefront6targetE1EEEvT1_,"axG",@progbits,_ZN7rocprim17ROCPRIM_400000_NS6detail17trampoline_kernelINS0_14default_configENS1_25partition_config_selectorILNS1_17partition_subalgoE1EjNS0_10empty_typeEbEEZZNS1_14partition_implILS5_1ELb0ES3_jN6thrust23THRUST_200600_302600_NS6detail15normal_iteratorINSA_10device_ptrIjEEEEPS6_NSA_18transform_iteratorI7is_evenIjESF_NSA_11use_defaultESK_EENS0_5tupleIJSF_NSA_16discard_iteratorISK_EEEEENSM_IJSG_SG_EEES6_PlJS6_EEE10hipError_tPvRmT3_T4_T5_T6_T7_T9_mT8_P12ihipStream_tbDpT10_ENKUlT_T0_E_clISt17integral_constantIbLb0EES1B_EEDaS16_S17_EUlS16_E_NS1_11comp_targetILNS1_3genE0ELNS1_11target_archE4294967295ELNS1_3gpuE0ELNS1_3repE0EEENS1_30default_config_static_selectorELNS0_4arch9wavefront6targetE1EEEvT1_,comdat
.Lfunc_end3003:
	.size	_ZN7rocprim17ROCPRIM_400000_NS6detail17trampoline_kernelINS0_14default_configENS1_25partition_config_selectorILNS1_17partition_subalgoE1EjNS0_10empty_typeEbEEZZNS1_14partition_implILS5_1ELb0ES3_jN6thrust23THRUST_200600_302600_NS6detail15normal_iteratorINSA_10device_ptrIjEEEEPS6_NSA_18transform_iteratorI7is_evenIjESF_NSA_11use_defaultESK_EENS0_5tupleIJSF_NSA_16discard_iteratorISK_EEEEENSM_IJSG_SG_EEES6_PlJS6_EEE10hipError_tPvRmT3_T4_T5_T6_T7_T9_mT8_P12ihipStream_tbDpT10_ENKUlT_T0_E_clISt17integral_constantIbLb0EES1B_EEDaS16_S17_EUlS16_E_NS1_11comp_targetILNS1_3genE0ELNS1_11target_archE4294967295ELNS1_3gpuE0ELNS1_3repE0EEENS1_30default_config_static_selectorELNS0_4arch9wavefront6targetE1EEEvT1_, .Lfunc_end3003-_ZN7rocprim17ROCPRIM_400000_NS6detail17trampoline_kernelINS0_14default_configENS1_25partition_config_selectorILNS1_17partition_subalgoE1EjNS0_10empty_typeEbEEZZNS1_14partition_implILS5_1ELb0ES3_jN6thrust23THRUST_200600_302600_NS6detail15normal_iteratorINSA_10device_ptrIjEEEEPS6_NSA_18transform_iteratorI7is_evenIjESF_NSA_11use_defaultESK_EENS0_5tupleIJSF_NSA_16discard_iteratorISK_EEEEENSM_IJSG_SG_EEES6_PlJS6_EEE10hipError_tPvRmT3_T4_T5_T6_T7_T9_mT8_P12ihipStream_tbDpT10_ENKUlT_T0_E_clISt17integral_constantIbLb0EES1B_EEDaS16_S17_EUlS16_E_NS1_11comp_targetILNS1_3genE0ELNS1_11target_archE4294967295ELNS1_3gpuE0ELNS1_3repE0EEENS1_30default_config_static_selectorELNS0_4arch9wavefront6targetE1EEEvT1_
                                        ; -- End function
	.section	.AMDGPU.csdata,"",@progbits
; Kernel info:
; codeLenInByte = 0
; NumSgprs: 6
; NumVgprs: 0
; NumAgprs: 0
; TotalNumVgprs: 0
; ScratchSize: 0
; MemoryBound: 0
; FloatMode: 240
; IeeeMode: 1
; LDSByteSize: 0 bytes/workgroup (compile time only)
; SGPRBlocks: 0
; VGPRBlocks: 0
; NumSGPRsForWavesPerEU: 6
; NumVGPRsForWavesPerEU: 1
; AccumOffset: 4
; Occupancy: 8
; WaveLimiterHint : 0
; COMPUTE_PGM_RSRC2:SCRATCH_EN: 0
; COMPUTE_PGM_RSRC2:USER_SGPR: 2
; COMPUTE_PGM_RSRC2:TRAP_HANDLER: 0
; COMPUTE_PGM_RSRC2:TGID_X_EN: 1
; COMPUTE_PGM_RSRC2:TGID_Y_EN: 0
; COMPUTE_PGM_RSRC2:TGID_Z_EN: 0
; COMPUTE_PGM_RSRC2:TIDIG_COMP_CNT: 0
; COMPUTE_PGM_RSRC3_GFX90A:ACCUM_OFFSET: 0
; COMPUTE_PGM_RSRC3_GFX90A:TG_SPLIT: 0
	.section	.text._ZN7rocprim17ROCPRIM_400000_NS6detail17trampoline_kernelINS0_14default_configENS1_25partition_config_selectorILNS1_17partition_subalgoE1EjNS0_10empty_typeEbEEZZNS1_14partition_implILS5_1ELb0ES3_jN6thrust23THRUST_200600_302600_NS6detail15normal_iteratorINSA_10device_ptrIjEEEEPS6_NSA_18transform_iteratorI7is_evenIjESF_NSA_11use_defaultESK_EENS0_5tupleIJSF_NSA_16discard_iteratorISK_EEEEENSM_IJSG_SG_EEES6_PlJS6_EEE10hipError_tPvRmT3_T4_T5_T6_T7_T9_mT8_P12ihipStream_tbDpT10_ENKUlT_T0_E_clISt17integral_constantIbLb0EES1B_EEDaS16_S17_EUlS16_E_NS1_11comp_targetILNS1_3genE5ELNS1_11target_archE942ELNS1_3gpuE9ELNS1_3repE0EEENS1_30default_config_static_selectorELNS0_4arch9wavefront6targetE1EEEvT1_,"axG",@progbits,_ZN7rocprim17ROCPRIM_400000_NS6detail17trampoline_kernelINS0_14default_configENS1_25partition_config_selectorILNS1_17partition_subalgoE1EjNS0_10empty_typeEbEEZZNS1_14partition_implILS5_1ELb0ES3_jN6thrust23THRUST_200600_302600_NS6detail15normal_iteratorINSA_10device_ptrIjEEEEPS6_NSA_18transform_iteratorI7is_evenIjESF_NSA_11use_defaultESK_EENS0_5tupleIJSF_NSA_16discard_iteratorISK_EEEEENSM_IJSG_SG_EEES6_PlJS6_EEE10hipError_tPvRmT3_T4_T5_T6_T7_T9_mT8_P12ihipStream_tbDpT10_ENKUlT_T0_E_clISt17integral_constantIbLb0EES1B_EEDaS16_S17_EUlS16_E_NS1_11comp_targetILNS1_3genE5ELNS1_11target_archE942ELNS1_3gpuE9ELNS1_3repE0EEENS1_30default_config_static_selectorELNS0_4arch9wavefront6targetE1EEEvT1_,comdat
	.protected	_ZN7rocprim17ROCPRIM_400000_NS6detail17trampoline_kernelINS0_14default_configENS1_25partition_config_selectorILNS1_17partition_subalgoE1EjNS0_10empty_typeEbEEZZNS1_14partition_implILS5_1ELb0ES3_jN6thrust23THRUST_200600_302600_NS6detail15normal_iteratorINSA_10device_ptrIjEEEEPS6_NSA_18transform_iteratorI7is_evenIjESF_NSA_11use_defaultESK_EENS0_5tupleIJSF_NSA_16discard_iteratorISK_EEEEENSM_IJSG_SG_EEES6_PlJS6_EEE10hipError_tPvRmT3_T4_T5_T6_T7_T9_mT8_P12ihipStream_tbDpT10_ENKUlT_T0_E_clISt17integral_constantIbLb0EES1B_EEDaS16_S17_EUlS16_E_NS1_11comp_targetILNS1_3genE5ELNS1_11target_archE942ELNS1_3gpuE9ELNS1_3repE0EEENS1_30default_config_static_selectorELNS0_4arch9wavefront6targetE1EEEvT1_ ; -- Begin function _ZN7rocprim17ROCPRIM_400000_NS6detail17trampoline_kernelINS0_14default_configENS1_25partition_config_selectorILNS1_17partition_subalgoE1EjNS0_10empty_typeEbEEZZNS1_14partition_implILS5_1ELb0ES3_jN6thrust23THRUST_200600_302600_NS6detail15normal_iteratorINSA_10device_ptrIjEEEEPS6_NSA_18transform_iteratorI7is_evenIjESF_NSA_11use_defaultESK_EENS0_5tupleIJSF_NSA_16discard_iteratorISK_EEEEENSM_IJSG_SG_EEES6_PlJS6_EEE10hipError_tPvRmT3_T4_T5_T6_T7_T9_mT8_P12ihipStream_tbDpT10_ENKUlT_T0_E_clISt17integral_constantIbLb0EES1B_EEDaS16_S17_EUlS16_E_NS1_11comp_targetILNS1_3genE5ELNS1_11target_archE942ELNS1_3gpuE9ELNS1_3repE0EEENS1_30default_config_static_selectorELNS0_4arch9wavefront6targetE1EEEvT1_
	.globl	_ZN7rocprim17ROCPRIM_400000_NS6detail17trampoline_kernelINS0_14default_configENS1_25partition_config_selectorILNS1_17partition_subalgoE1EjNS0_10empty_typeEbEEZZNS1_14partition_implILS5_1ELb0ES3_jN6thrust23THRUST_200600_302600_NS6detail15normal_iteratorINSA_10device_ptrIjEEEEPS6_NSA_18transform_iteratorI7is_evenIjESF_NSA_11use_defaultESK_EENS0_5tupleIJSF_NSA_16discard_iteratorISK_EEEEENSM_IJSG_SG_EEES6_PlJS6_EEE10hipError_tPvRmT3_T4_T5_T6_T7_T9_mT8_P12ihipStream_tbDpT10_ENKUlT_T0_E_clISt17integral_constantIbLb0EES1B_EEDaS16_S17_EUlS16_E_NS1_11comp_targetILNS1_3genE5ELNS1_11target_archE942ELNS1_3gpuE9ELNS1_3repE0EEENS1_30default_config_static_selectorELNS0_4arch9wavefront6targetE1EEEvT1_
	.p2align	8
	.type	_ZN7rocprim17ROCPRIM_400000_NS6detail17trampoline_kernelINS0_14default_configENS1_25partition_config_selectorILNS1_17partition_subalgoE1EjNS0_10empty_typeEbEEZZNS1_14partition_implILS5_1ELb0ES3_jN6thrust23THRUST_200600_302600_NS6detail15normal_iteratorINSA_10device_ptrIjEEEEPS6_NSA_18transform_iteratorI7is_evenIjESF_NSA_11use_defaultESK_EENS0_5tupleIJSF_NSA_16discard_iteratorISK_EEEEENSM_IJSG_SG_EEES6_PlJS6_EEE10hipError_tPvRmT3_T4_T5_T6_T7_T9_mT8_P12ihipStream_tbDpT10_ENKUlT_T0_E_clISt17integral_constantIbLb0EES1B_EEDaS16_S17_EUlS16_E_NS1_11comp_targetILNS1_3genE5ELNS1_11target_archE942ELNS1_3gpuE9ELNS1_3repE0EEENS1_30default_config_static_selectorELNS0_4arch9wavefront6targetE1EEEvT1_,@function
_ZN7rocprim17ROCPRIM_400000_NS6detail17trampoline_kernelINS0_14default_configENS1_25partition_config_selectorILNS1_17partition_subalgoE1EjNS0_10empty_typeEbEEZZNS1_14partition_implILS5_1ELb0ES3_jN6thrust23THRUST_200600_302600_NS6detail15normal_iteratorINSA_10device_ptrIjEEEEPS6_NSA_18transform_iteratorI7is_evenIjESF_NSA_11use_defaultESK_EENS0_5tupleIJSF_NSA_16discard_iteratorISK_EEEEENSM_IJSG_SG_EEES6_PlJS6_EEE10hipError_tPvRmT3_T4_T5_T6_T7_T9_mT8_P12ihipStream_tbDpT10_ENKUlT_T0_E_clISt17integral_constantIbLb0EES1B_EEDaS16_S17_EUlS16_E_NS1_11comp_targetILNS1_3genE5ELNS1_11target_archE942ELNS1_3gpuE9ELNS1_3repE0EEENS1_30default_config_static_selectorELNS0_4arch9wavefront6targetE1EEEvT1_: ; @_ZN7rocprim17ROCPRIM_400000_NS6detail17trampoline_kernelINS0_14default_configENS1_25partition_config_selectorILNS1_17partition_subalgoE1EjNS0_10empty_typeEbEEZZNS1_14partition_implILS5_1ELb0ES3_jN6thrust23THRUST_200600_302600_NS6detail15normal_iteratorINSA_10device_ptrIjEEEEPS6_NSA_18transform_iteratorI7is_evenIjESF_NSA_11use_defaultESK_EENS0_5tupleIJSF_NSA_16discard_iteratorISK_EEEEENSM_IJSG_SG_EEES6_PlJS6_EEE10hipError_tPvRmT3_T4_T5_T6_T7_T9_mT8_P12ihipStream_tbDpT10_ENKUlT_T0_E_clISt17integral_constantIbLb0EES1B_EEDaS16_S17_EUlS16_E_NS1_11comp_targetILNS1_3genE5ELNS1_11target_archE942ELNS1_3gpuE9ELNS1_3repE0EEENS1_30default_config_static_selectorELNS0_4arch9wavefront6targetE1EEEvT1_
; %bb.0:
	s_load_dwordx2 s[4:5], s[0:1], 0x68
	s_load_dwordx4 s[12:15], s[0:1], 0x8
	s_load_dwordx2 s[6:7], s[0:1], 0x20
	s_load_dwordx4 s[20:23], s[0:1], 0x58
	s_load_dword s3, s[0:1], 0x80
	s_waitcnt lgkmcnt(0)
	v_mov_b32_e32 v3, s5
	s_lshl_b64 s[8:9], s[14:15], 2
	s_add_u32 s12, s12, s8
	s_addc_u32 s13, s13, s9
	s_add_i32 s16, s3, -1
	s_mulk_i32 s3, 0x1e00
	s_add_i32 s5, s3, s14
	s_sub_i32 s33, s4, s5
	s_addk_i32 s33, 0x1e00
	v_mov_b32_e32 v2, s4
	s_add_u32 s4, s14, s3
	s_addc_u32 s5, s15, 0
	s_cmp_eq_u32 s2, s16
	s_load_dwordx2 s[22:23], s[22:23], 0x0
	s_cselect_b64 s[24:25], -1, 0
	s_cmp_lg_u32 s2, s16
	s_mul_i32 s10, s2, 0x1e00
	s_mov_b32 s11, 0
	v_cmp_lt_u64_e32 vcc, s[4:5], v[2:3]
	s_cselect_b64 s[4:5], -1, 0
	s_or_b64 s[26:27], s[4:5], vcc
	s_lshl_b64 s[10:11], s[10:11], 2
	s_add_u32 s12, s12, s10
	s_addc_u32 s13, s13, s11
	s_mov_b64 s[4:5], -1
	s_and_b64 vcc, exec, s[26:27]
	v_lshlrev_b32_e32 v22, 2, v0
	s_cbranch_vccz .LBB3004_2
; %bb.1:
	v_mov_b32_e32 v23, 0
	v_lshl_add_u64 v[2:3], s[12:13], 0, v[22:23]
	v_add_co_u32_e32 v4, vcc, 0x1000, v2
	s_mov_b64 s[4:5], 0
	s_nop 0
	v_addc_co_u32_e32 v5, vcc, 0, v3, vcc
	v_add_co_u32_e32 v6, vcc, 0x2000, v2
	s_nop 1
	v_addc_co_u32_e32 v7, vcc, 0, v3, vcc
	v_add_co_u32_e32 v8, vcc, 0x3000, v2
	s_nop 1
	v_addc_co_u32_e32 v9, vcc, 0, v3, vcc
	flat_load_dword v1, v[2:3]
	flat_load_dword v10, v[2:3] offset:2048
	flat_load_dword v11, v[4:5]
	flat_load_dword v12, v[4:5] offset:2048
	;; [unrolled: 2-line block ×4, first 2 shown]
	v_add_co_u32_e32 v4, vcc, 0x4000, v2
	s_nop 1
	v_addc_co_u32_e32 v5, vcc, 0, v3, vcc
	v_add_co_u32_e32 v6, vcc, 0x5000, v2
	s_nop 1
	v_addc_co_u32_e32 v7, vcc, 0, v3, vcc
	;; [unrolled: 3-line block ×4, first 2 shown]
	flat_load_dword v17, v[4:5]
	flat_load_dword v18, v[4:5] offset:2048
	flat_load_dword v19, v[6:7]
	flat_load_dword v20, v[6:7] offset:2048
	;; [unrolled: 2-line block ×3, first 2 shown]
	flat_load_dword v24, v[2:3]
	s_waitcnt vmcnt(0) lgkmcnt(0)
	ds_write2st64_b32 v22, v1, v10 offset1:8
	ds_write2st64_b32 v22, v11, v12 offset0:16 offset1:24
	ds_write2st64_b32 v22, v13, v14 offset0:32 offset1:40
	;; [unrolled: 1-line block ×6, first 2 shown]
	ds_write_b32 v22, v24 offset:28672
	s_waitcnt lgkmcnt(0)
	s_barrier
.LBB3004_2:
	s_andn2_b64 vcc, exec, s[4:5]
	v_cmp_gt_u32_e64 s[4:5], s33, v0
	s_cbranch_vccnz .LBB3004_34
; %bb.3:
                                        ; implicit-def: $vgpr2_vgpr3_vgpr4_vgpr5_vgpr6_vgpr7_vgpr8_vgpr9_vgpr10_vgpr11_vgpr12_vgpr13_vgpr14_vgpr15_vgpr16_vgpr17
	s_and_saveexec_b64 s[14:15], s[4:5]
	s_cbranch_execz .LBB3004_5
; %bb.4:
	v_mov_b32_e32 v23, 0
	v_lshl_add_u64 v[2:3], s[12:13], 0, v[22:23]
	flat_load_dword v2, v[2:3]
.LBB3004_5:
	s_or_b64 exec, exec, s[14:15]
	v_or_b32_e32 v1, 0x200, v0
	v_cmp_gt_u32_e32 vcc, s33, v1
	s_and_saveexec_b64 s[4:5], vcc
	s_cbranch_execz .LBB3004_7
; %bb.6:
	v_mov_b32_e32 v23, 0
	v_lshl_add_u64 v[18:19], s[12:13], 0, v[22:23]
	flat_load_dword v3, v[18:19] offset:2048
.LBB3004_7:
	s_or_b64 exec, exec, s[4:5]
	v_or_b32_e32 v1, 0x400, v0
	v_cmp_gt_u32_e32 vcc, s33, v1
	s_and_saveexec_b64 s[4:5], vcc
	s_cbranch_execz .LBB3004_9
; %bb.8:
	v_lshlrev_b32_e32 v18, 2, v1
	v_mov_b32_e32 v19, 0
	v_lshl_add_u64 v[18:19], s[12:13], 0, v[18:19]
	flat_load_dword v4, v[18:19]
.LBB3004_9:
	s_or_b64 exec, exec, s[4:5]
	v_or_b32_e32 v1, 0x600, v0
	v_cmp_gt_u32_e32 vcc, s33, v1
	s_and_saveexec_b64 s[4:5], vcc
	s_cbranch_execz .LBB3004_11
; %bb.10:
	v_lshlrev_b32_e32 v18, 2, v1
	v_mov_b32_e32 v19, 0
	v_lshl_add_u64 v[18:19], s[12:13], 0, v[18:19]
	flat_load_dword v5, v[18:19]
.LBB3004_11:
	;; [unrolled: 11-line block ×13, first 2 shown]
	s_or_b64 exec, exec, s[4:5]
	s_waitcnt vmcnt(0) lgkmcnt(0)
	ds_write2st64_b32 v22, v2, v3 offset1:8
	ds_write2st64_b32 v22, v4, v5 offset0:16 offset1:24
	ds_write2st64_b32 v22, v6, v7 offset0:32 offset1:40
	;; [unrolled: 1-line block ×6, first 2 shown]
	ds_write_b32 v22, v16 offset:28672
	s_waitcnt lgkmcnt(0)
	s_barrier
.LBB3004_34:
	v_mul_u32_u24_e32 v21, 15, v0
	v_lshlrev_b32_e32 v1, 2, v21
	s_waitcnt lgkmcnt(0)
	ds_read2_b32 v[36:37], v1 offset1:1
	ds_read2_b32 v[34:35], v1 offset0:2 offset1:3
	ds_read2_b32 v[32:33], v1 offset0:4 offset1:5
	;; [unrolled: 1-line block ×6, first 2 shown]
	ds_read_b32 v1, v1 offset:56
	s_add_u32 s3, s6, s8
	s_addc_u32 s5, s7, s9
	s_add_u32 s4, s3, s10
	s_addc_u32 s5, s5, s11
	s_mov_b64 s[6:7], -1
	s_and_b64 vcc, exec, s[26:27]
	s_waitcnt lgkmcnt(0)
	s_barrier
	s_cbranch_vccz .LBB3004_36
; %bb.35:
	v_mov_b32_e32 v23, 0
	v_lshl_add_u64 v[2:3], s[4:5], 0, v[22:23]
	v_add_co_u32_e32 v4, vcc, 0x1000, v2
	global_load_dword v10, v22, s[4:5]
	global_load_dword v11, v22, s[4:5] offset:2048
	v_addc_co_u32_e32 v5, vcc, 0, v3, vcc
	v_add_co_u32_e32 v6, vcc, 0x2000, v2
	s_mov_b64 s[6:7], 0
	s_nop 0
	v_addc_co_u32_e32 v7, vcc, 0, v3, vcc
	v_add_co_u32_e32 v8, vcc, 0x3000, v2
	s_nop 1
	v_addc_co_u32_e32 v9, vcc, 0, v3, vcc
	global_load_dword v12, v[4:5], off
	global_load_dword v13, v[4:5], off offset:2048
	global_load_dword v14, v[6:7], off
	global_load_dword v15, v[6:7], off offset:2048
	;; [unrolled: 2-line block ×3, first 2 shown]
	v_add_co_u32_e32 v4, vcc, 0x4000, v2
	s_nop 1
	v_addc_co_u32_e32 v5, vcc, 0, v3, vcc
	global_load_dword v6, v[4:5], off
	global_load_dword v7, v[4:5], off offset:2048
	v_add_co_u32_e32 v4, vcc, 0x5000, v2
	s_waitcnt vmcnt(1)
	v_xor_b32_e32 v6, -1, v6
	v_addc_co_u32_e32 v5, vcc, 0, v3, vcc
	global_load_dword v8, v[4:5], off
	global_load_dword v9, v[4:5], off offset:2048
	v_add_co_u32_e32 v4, vcc, 0x6000, v2
	s_waitcnt vmcnt(2)
	v_xor_b32_e32 v7, -1, v7
	v_addc_co_u32_e32 v5, vcc, 0, v3, vcc
	v_add_co_u32_e32 v2, vcc, 0x7000, v2
	global_load_dword v18, v[4:5], off
	global_load_dword v19, v[4:5], off offset:2048
	v_addc_co_u32_e32 v3, vcc, 0, v3, vcc
	global_load_dword v2, v[2:3], off
	v_xor_b32_e32 v3, -1, v10
	v_xor_b32_e32 v4, -1, v11
	v_and_b32_e32 v3, 1, v3
	v_and_b32_e32 v4, 1, v4
	ds_write_b8 v0, v3
	ds_write_b8 v0, v4 offset:512
	v_xor_b32_e32 v3, -1, v12
	v_xor_b32_e32 v4, -1, v13
	;; [unrolled: 1-line block ×3, first 2 shown]
	v_and_b32_e32 v3, 1, v3
	v_and_b32_e32 v4, 1, v4
	v_xor_b32_e32 v10, -1, v15
	v_and_b32_e32 v5, 1, v5
	v_xor_b32_e32 v11, -1, v16
	v_xor_b32_e32 v12, -1, v17
	v_and_b32_e32 v10, 1, v10
	ds_write_b8 v0, v3 offset:1024
	ds_write_b8 v0, v4 offset:1536
	v_and_b32_e32 v3, 1, v11
	v_and_b32_e32 v4, 1, v12
	ds_write_b8 v0, v5 offset:2048
	ds_write_b8 v0, v10 offset:2560
	v_and_b32_e32 v5, 1, v6
	v_and_b32_e32 v6, 1, v7
	ds_write_b8 v0, v3 offset:3072
	ds_write_b8 v0, v4 offset:3584
	;; [unrolled: 1-line block ×4, first 2 shown]
	s_waitcnt vmcnt(4)
	v_xor_b32_e32 v7, -1, v8
	s_waitcnt vmcnt(3)
	v_xor_b32_e32 v8, -1, v9
	v_and_b32_e32 v3, 1, v7
	v_and_b32_e32 v4, 1, v8
	s_waitcnt vmcnt(2)
	v_xor_b32_e32 v7, -1, v18
	s_waitcnt vmcnt(1)
	v_xor_b32_e32 v8, -1, v19
	v_and_b32_e32 v5, 1, v7
	v_and_b32_e32 v6, 1, v8
	s_waitcnt vmcnt(0)
	v_xor_b32_e32 v2, -1, v2
	v_and_b32_e32 v2, 1, v2
	ds_write_b8 v0, v3 offset:5120
	ds_write_b8 v0, v4 offset:5632
	ds_write_b8 v0, v5 offset:6144
	ds_write_b8 v0, v6 offset:6656
	ds_write_b8 v0, v2 offset:7168
	s_waitcnt lgkmcnt(0)
	s_barrier
.LBB3004_36:
	s_load_dwordx2 s[28:29], s[0:1], 0x78
	s_andn2_b64 vcc, exec, s[6:7]
	s_cbranch_vccnz .LBB3004_68
; %bb.37:
	v_cmp_gt_u32_e32 vcc, s33, v0
	v_mov_b32_e32 v2, 0
	v_mov_b32_e32 v3, 0
	s_and_saveexec_b64 s[6:7], vcc
	s_cbranch_execz .LBB3004_39
; %bb.38:
	global_load_dword v3, v22, s[4:5]
	s_waitcnt vmcnt(0)
	v_xor_b32_e32 v3, -1, v3
	v_and_b32_e32 v3, 1, v3
.LBB3004_39:
	s_or_b64 exec, exec, s[6:7]
	v_or_b32_e32 v4, 0x200, v0
	v_cmp_gt_u32_e32 vcc, s33, v4
	s_and_saveexec_b64 s[6:7], vcc
	s_cbranch_execz .LBB3004_41
; %bb.40:
	global_load_dword v2, v22, s[4:5] offset:2048
	s_waitcnt vmcnt(0)
	v_xor_b32_e32 v2, -1, v2
	v_and_b32_e32 v2, 1, v2
.LBB3004_41:
	s_or_b64 exec, exec, s[6:7]
	v_or_b32_e32 v6, 0x400, v0
	v_cmp_gt_u32_e32 vcc, s33, v6
	v_mov_b32_e32 v4, 0
	v_mov_b32_e32 v5, 0
	s_and_saveexec_b64 s[6:7], vcc
	s_cbranch_execz .LBB3004_43
; %bb.42:
	v_lshlrev_b32_e32 v5, 2, v6
	global_load_dword v5, v5, s[4:5]
	s_waitcnt vmcnt(0)
	v_xor_b32_e32 v5, -1, v5
	v_and_b32_e32 v5, 1, v5
.LBB3004_43:
	s_or_b64 exec, exec, s[6:7]
	v_or_b32_e32 v6, 0x600, v0
	v_cmp_gt_u32_e32 vcc, s33, v6
	s_and_saveexec_b64 s[6:7], vcc
	s_cbranch_execz .LBB3004_45
; %bb.44:
	v_lshlrev_b32_e32 v4, 2, v6
	global_load_dword v4, v4, s[4:5]
	s_waitcnt vmcnt(0)
	v_xor_b32_e32 v4, -1, v4
	v_and_b32_e32 v4, 1, v4
.LBB3004_45:
	s_or_b64 exec, exec, s[6:7]
	v_or_b32_e32 v8, 0x800, v0
	v_cmp_gt_u32_e32 vcc, s33, v8
	v_mov_b32_e32 v6, 0
	v_mov_b32_e32 v7, 0
	s_and_saveexec_b64 s[6:7], vcc
	s_cbranch_execz .LBB3004_47
; %bb.46:
	v_lshlrev_b32_e32 v7, 2, v8
	global_load_dword v7, v7, s[4:5]
	s_waitcnt vmcnt(0)
	v_xor_b32_e32 v7, -1, v7
	v_and_b32_e32 v7, 1, v7
.LBB3004_47:
	s_or_b64 exec, exec, s[6:7]
	v_or_b32_e32 v8, 0xa00, v0
	v_cmp_gt_u32_e32 vcc, s33, v8
	s_and_saveexec_b64 s[6:7], vcc
	s_cbranch_execz .LBB3004_49
; %bb.48:
	v_lshlrev_b32_e32 v6, 2, v8
	global_load_dword v6, v6, s[4:5]
	s_waitcnt vmcnt(0)
	v_xor_b32_e32 v6, -1, v6
	v_and_b32_e32 v6, 1, v6
.LBB3004_49:
	;; [unrolled: 26-line block ×6, first 2 shown]
	s_or_b64 exec, exec, s[6:7]
	v_or_b32_e32 v17, 0x1c00, v0
	v_cmp_gt_u32_e32 vcc, s33, v17
	v_mov_b32_e32 v16, 0
	s_and_saveexec_b64 s[6:7], vcc
	s_cbranch_execz .LBB3004_67
; %bb.66:
	v_lshlrev_b32_e32 v16, 2, v17
	global_load_dword v16, v16, s[4:5]
	s_waitcnt vmcnt(0)
	v_xor_b32_e32 v16, -1, v16
	v_and_b32_e32 v16, 1, v16
.LBB3004_67:
	s_or_b64 exec, exec, s[6:7]
	ds_write_b8 v0, v3
	ds_write_b8 v0, v2 offset:512
	ds_write_b8 v0, v5 offset:1024
	ds_write_b8 v0, v4 offset:1536
	ds_write_b8 v0, v7 offset:2048
	ds_write_b8 v0, v6 offset:2560
	ds_write_b8 v0, v9 offset:3072
	ds_write_b8 v0, v8 offset:3584
	ds_write_b8 v0, v11 offset:4096
	ds_write_b8 v0, v10 offset:4608
	ds_write_b8 v0, v13 offset:5120
	ds_write_b8 v0, v12 offset:5632
	ds_write_b8 v0, v15 offset:6144
	ds_write_b8 v0, v14 offset:6656
	ds_write_b8 v0, v16 offset:7168
	s_waitcnt lgkmcnt(0)
	s_barrier
.LBB3004_68:
	s_waitcnt lgkmcnt(0)
	ds_read_b96 v[18:20], v21
	ds_read_u8 v2, v21 offset:12
	ds_read_u8 v3, v21 offset:13
	;; [unrolled: 1-line block ×3, first 2 shown]
	s_cmp_lg_u32 s2, 0
	v_lshrrev_b32_e32 v56, 6, v0
	s_waitcnt lgkmcnt(2)
	v_and_b32_e32 v43, 1, v2
	v_and_b32_e32 v52, 0xff, v18
	v_bfe_u32 v53, v18, 8, 8
	v_bfe_u32 v54, v18, 16, 8
	v_lshrrev_b32_e32 v45, 24, v18
	v_and_b32_e32 v49, 0xff, v19
	v_add3_u32 v2, v53, v52, v54
	v_bfe_u32 v50, v19, 8, 8
	v_bfe_u32 v51, v19, 16, 8
	v_add3_u32 v2, v2, v45, v49
	v_lshrrev_b32_e32 v44, 24, v19
	v_and_b32_e32 v46, 0xff, v20
	v_add3_u32 v2, v2, v50, v51
	v_bfe_u32 v47, v20, 8, 8
	v_bfe_u32 v48, v20, 16, 8
	v_add3_u32 v2, v2, v44, v46
	v_lshrrev_b32_e32 v42, 24, v20
	v_add3_u32 v2, v2, v47, v48
	s_waitcnt lgkmcnt(1)
	v_and_b32_e32 v41, 1, v3
	s_waitcnt lgkmcnt(0)
	v_and_b32_e32 v23, 1, v4
	v_add3_u32 v2, v2, v42, v43
	v_add3_u32 v57, v2, v41, v23
	v_mbcnt_lo_u32_b32 v2, -1, 0
	v_mbcnt_hi_u32_b32 v55, -1, v2
	v_and_b32_e32 v2, 15, v55
	v_cmp_eq_u32_e64 s[14:15], 0, v2
	v_cmp_lt_u32_e64 s[12:13], 1, v2
	v_cmp_lt_u32_e64 s[10:11], 3, v2
	;; [unrolled: 1-line block ×3, first 2 shown]
	v_and_b32_e32 v2, 16, v55
	v_cmp_eq_u32_e64 s[6:7], 0, v2
	v_or_b32_e32 v2, 63, v0
	v_cmp_lt_u32_e64 s[18:19], 31, v55
	v_cmp_eq_u32_e64 s[4:5], v2, v0
	s_barrier
	s_cbranch_scc0 .LBB3004_95
; %bb.69:
	v_mov_b32_dpp v2, v57 row_shr:1 row_mask:0xf bank_mask:0xf
	v_cndmask_b32_e64 v2, v2, 0, s[14:15]
	v_add_u32_e32 v2, v2, v57
	s_nop 1
	v_mov_b32_dpp v3, v2 row_shr:2 row_mask:0xf bank_mask:0xf
	v_cndmask_b32_e64 v3, 0, v3, s[12:13]
	v_add_u32_e32 v2, v2, v3
	s_nop 1
	;; [unrolled: 4-line block ×4, first 2 shown]
	v_mov_b32_dpp v3, v2 row_bcast:15 row_mask:0xf bank_mask:0xf
	v_cndmask_b32_e64 v3, v3, 0, s[6:7]
	v_add_u32_e32 v2, v2, v3
	s_nop 1
	v_mov_b32_dpp v3, v2 row_bcast:31 row_mask:0xf bank_mask:0xf
	v_cndmask_b32_e64 v3, 0, v3, s[18:19]
	v_add_u32_e32 v2, v2, v3
	s_and_saveexec_b64 s[16:17], s[4:5]
	s_cbranch_execz .LBB3004_71
; %bb.70:
	v_lshlrev_b32_e32 v3, 2, v56
	ds_write_b32 v3, v2
.LBB3004_71:
	s_or_b64 exec, exec, s[16:17]
	v_cmp_gt_u32_e32 vcc, 8, v0
	s_waitcnt lgkmcnt(0)
	s_barrier
	s_and_saveexec_b64 s[16:17], vcc
	s_cbranch_execz .LBB3004_73
; %bb.72:
	ds_read_b32 v3, v22
	v_and_b32_e32 v4, 7, v55
	v_cmp_ne_u32_e32 vcc, 0, v4
	s_waitcnt lgkmcnt(0)
	v_mov_b32_dpp v5, v3 row_shr:1 row_mask:0xf bank_mask:0xf
	v_cndmask_b32_e32 v5, 0, v5, vcc
	v_add_u32_e32 v3, v5, v3
	v_cmp_lt_u32_e32 vcc, 1, v4
	s_nop 0
	v_mov_b32_dpp v5, v3 row_shr:2 row_mask:0xf bank_mask:0xf
	v_cndmask_b32_e32 v5, 0, v5, vcc
	v_add_u32_e32 v3, v3, v5
	v_cmp_lt_u32_e32 vcc, 3, v4
	s_nop 0
	v_mov_b32_dpp v5, v3 row_shr:4 row_mask:0xf bank_mask:0xf
	v_cndmask_b32_e32 v4, 0, v5, vcc
	v_add_u32_e32 v3, v3, v4
	ds_write_b32 v22, v3
.LBB3004_73:
	s_or_b64 exec, exec, s[16:17]
	v_cmp_gt_u32_e32 vcc, 64, v0
	v_cmp_lt_u32_e64 s[16:17], 63, v0
	s_waitcnt lgkmcnt(0)
	s_barrier
	s_waitcnt lgkmcnt(0)
                                        ; implicit-def: $vgpr12
	s_and_saveexec_b64 s[30:31], s[16:17]
	s_cbranch_execz .LBB3004_75
; %bb.74:
	v_lshl_add_u32 v3, v56, 2, -4
	ds_read_b32 v12, v3
	s_waitcnt lgkmcnt(0)
	v_add_u32_e32 v2, v12, v2
.LBB3004_75:
	s_or_b64 exec, exec, s[30:31]
	v_add_u32_e32 v3, -1, v55
	v_and_b32_e32 v4, 64, v55
	v_cmp_lt_i32_e64 s[16:17], v3, v4
	s_nop 1
	v_cndmask_b32_e64 v3, v3, v55, s[16:17]
	v_lshlrev_b32_e32 v3, 2, v3
	ds_bpermute_b32 v13, v3, v2
	v_cmp_eq_u32_e64 s[16:17], 0, v55
	s_and_saveexec_b64 s[30:31], vcc
	s_cbranch_execz .LBB3004_94
; %bb.76:
	v_mov_b32_e32 v9, 0
	ds_read_b32 v2, v9 offset:28
	s_and_saveexec_b64 s[34:35], s[16:17]
	s_cbranch_execz .LBB3004_78
; %bb.77:
	s_add_i32 s36, s2, 64
	s_mov_b32 s37, 0
	s_lshl_b64 s[36:37], s[36:37], 3
	s_add_u32 s36, s28, s36
	v_mov_b32_e32 v3, 1
	s_addc_u32 s37, s29, s37
	s_waitcnt lgkmcnt(0)
	global_store_dwordx2 v9, v[2:3], s[36:37] sc1
.LBB3004_78:
	s_or_b64 exec, exec, s[34:35]
	v_xad_u32 v4, v55, -1, s2
	v_add_u32_e32 v8, 64, v4
	v_lshl_add_u64 v[10:11], v[8:9], 3, s[28:29]
	global_load_dwordx2 v[6:7], v[10:11], off sc1
	s_waitcnt vmcnt(0)
	v_cmp_eq_u16_sdwa s[36:37], v7, v9 src0_sel:BYTE_0 src1_sel:DWORD
	s_and_saveexec_b64 s[34:35], s[36:37]
	s_cbranch_execz .LBB3004_82
; %bb.79:
	s_mov_b64 s[36:37], 0
	v_mov_b32_e32 v3, 0
.LBB3004_80:                            ; =>This Inner Loop Header: Depth=1
	global_load_dwordx2 v[6:7], v[10:11], off sc1
	s_waitcnt vmcnt(0)
	v_cmp_ne_u16_sdwa s[38:39], v7, v3 src0_sel:BYTE_0 src1_sel:DWORD
	s_or_b64 s[36:37], s[38:39], s[36:37]
	s_andn2_b64 exec, exec, s[36:37]
	s_cbranch_execnz .LBB3004_80
; %bb.81:
	s_or_b64 exec, exec, s[36:37]
.LBB3004_82:
	s_or_b64 exec, exec, s[34:35]
	v_and_b32_e32 v15, 63, v55
	v_mov_b32_e32 v14, 2
	v_cmp_ne_u32_e32 vcc, 63, v15
	v_cmp_eq_u16_sdwa s[34:35], v7, v14 src0_sel:BYTE_0 src1_sel:DWORD
	v_lshlrev_b64 v[8:9], v55, -1
	v_addc_co_u32_e32 v10, vcc, 0, v55, vcc
	v_and_b32_e32 v3, s35, v9
	v_lshlrev_b32_e32 v16, 2, v10
	v_or_b32_e32 v3, 0x80000000, v3
	ds_bpermute_b32 v10, v16, v6
	v_and_b32_e32 v5, s34, v8
	v_ffbl_b32_e32 v3, v3
	v_add_u32_e32 v3, 32, v3
	v_ffbl_b32_e32 v5, v5
	v_min_u32_e32 v3, v5, v3
	v_cmp_lt_u32_e32 vcc, v15, v3
	v_add_u32_e32 v38, 2, v15
	v_add_u32_e32 v40, 4, v15
	s_waitcnt lgkmcnt(0)
	v_cndmask_b32_e32 v5, 0, v10, vcc
	v_cmp_gt_u32_e32 vcc, 62, v15
	v_add_u32_e32 v5, v5, v6
	v_add_u32_e32 v59, 8, v15
	v_cndmask_b32_e64 v6, 0, 1, vcc
	v_lshlrev_b32_e32 v6, 1, v6
	v_add_lshl_u32 v17, v6, v55, 2
	ds_bpermute_b32 v6, v17, v5
	v_cmp_le_u32_e32 vcc, v38, v3
	v_add_u32_e32 v61, 16, v15
	v_add_u32_e32 v63, 32, v15
	s_waitcnt lgkmcnt(0)
	v_cndmask_b32_e32 v6, 0, v6, vcc
	v_cmp_gt_u32_e32 vcc, 60, v15
	v_add_u32_e32 v5, v5, v6
	s_nop 0
	v_cndmask_b32_e64 v6, 0, 1, vcc
	v_lshlrev_b32_e32 v6, 2, v6
	v_add_lshl_u32 v39, v6, v55, 2
	ds_bpermute_b32 v6, v39, v5
	v_cmp_le_u32_e32 vcc, v40, v3
	s_waitcnt lgkmcnt(0)
	s_nop 0
	v_cndmask_b32_e32 v6, 0, v6, vcc
	v_cmp_gt_u32_e32 vcc, 56, v15
	v_add_u32_e32 v5, v5, v6
	s_nop 0
	v_cndmask_b32_e64 v6, 0, 1, vcc
	v_lshlrev_b32_e32 v6, 3, v6
	v_add_lshl_u32 v58, v6, v55, 2
	ds_bpermute_b32 v6, v58, v5
	v_cmp_le_u32_e32 vcc, v59, v3
	s_waitcnt lgkmcnt(0)
	s_nop 0
	;; [unrolled: 11-line block ×4, first 2 shown]
	v_cndmask_b32_e32 v3, 0, v6, vcc
	v_add_u32_e32 v6, v5, v3
	v_mov_b32_e32 v5, 0
	s_branch .LBB3004_84
.LBB3004_83:                            ;   in Loop: Header=BB3004_84 Depth=1
	s_or_b64 exec, exec, s[34:35]
	v_cmp_eq_u16_sdwa s[34:35], v7, v14 src0_sel:BYTE_0 src1_sel:DWORD
	ds_bpermute_b32 v64, v16, v6
	v_subrev_u32_e32 v4, 64, v4
	v_and_b32_e32 v10, s35, v9
	v_or_b32_e32 v10, 0x80000000, v10
	v_and_b32_e32 v11, s34, v8
	v_ffbl_b32_e32 v10, v10
	v_add_u32_e32 v10, 32, v10
	v_ffbl_b32_e32 v11, v11
	v_min_u32_e32 v10, v11, v10
	v_cmp_lt_u32_e32 vcc, v15, v10
	s_waitcnt lgkmcnt(0)
	s_nop 0
	v_cndmask_b32_e32 v11, 0, v64, vcc
	v_add_u32_e32 v6, v11, v6
	ds_bpermute_b32 v11, v17, v6
	v_cmp_le_u32_e32 vcc, v38, v10
	s_waitcnt lgkmcnt(0)
	s_nop 0
	v_cndmask_b32_e32 v11, 0, v11, vcc
	v_add_u32_e32 v6, v6, v11
	ds_bpermute_b32 v11, v39, v6
	v_cmp_le_u32_e32 vcc, v40, v10
	;; [unrolled: 6-line block ×5, first 2 shown]
	s_waitcnt lgkmcnt(0)
	s_nop 0
	v_cndmask_b32_e32 v10, 0, v11, vcc
	v_add3_u32 v6, v10, v3, v6
.LBB3004_84:                            ; =>This Loop Header: Depth=1
                                        ;     Child Loop BB3004_87 Depth 2
	v_cmp_ne_u16_sdwa s[34:35], v7, v14 src0_sel:BYTE_0 src1_sel:DWORD
	s_nop 1
	v_cndmask_b32_e64 v3, 0, 1, s[34:35]
	;;#ASMSTART
	;;#ASMEND
	s_nop 0
	v_cmp_ne_u32_e32 vcc, 0, v3
	s_cmp_lg_u64 vcc, exec
	v_mov_b32_e32 v3, v6
	s_cbranch_scc1 .LBB3004_89
; %bb.85:                               ;   in Loop: Header=BB3004_84 Depth=1
	v_lshl_add_u64 v[10:11], v[4:5], 3, s[28:29]
	global_load_dwordx2 v[6:7], v[10:11], off sc1
	s_waitcnt vmcnt(0)
	v_cmp_eq_u16_sdwa s[36:37], v7, v5 src0_sel:BYTE_0 src1_sel:DWORD
	s_and_saveexec_b64 s[34:35], s[36:37]
	s_cbranch_execz .LBB3004_83
; %bb.86:                               ;   in Loop: Header=BB3004_84 Depth=1
	s_mov_b64 s[36:37], 0
.LBB3004_87:                            ;   Parent Loop BB3004_84 Depth=1
                                        ; =>  This Inner Loop Header: Depth=2
	global_load_dwordx2 v[6:7], v[10:11], off sc1
	s_waitcnt vmcnt(0)
	v_cmp_ne_u16_sdwa s[38:39], v7, v5 src0_sel:BYTE_0 src1_sel:DWORD
	s_or_b64 s[36:37], s[38:39], s[36:37]
	s_andn2_b64 exec, exec, s[36:37]
	s_cbranch_execnz .LBB3004_87
; %bb.88:                               ;   in Loop: Header=BB3004_84 Depth=1
	s_or_b64 exec, exec, s[36:37]
	s_branch .LBB3004_83
.LBB3004_89:                            ;   in Loop: Header=BB3004_84 Depth=1
                                        ; implicit-def: $vgpr6
                                        ; implicit-def: $vgpr7
	s_cbranch_execz .LBB3004_84
; %bb.90:
	s_and_saveexec_b64 s[34:35], s[16:17]
	s_cbranch_execz .LBB3004_92
; %bb.91:
	s_add_i32 s2, s2, 64
	s_mov_b32 s3, 0
	s_lshl_b64 s[2:3], s[2:3], 3
	s_add_u32 s2, s28, s2
	v_add_u32_e32 v4, v3, v2
	v_mov_b32_e32 v5, 2
	s_addc_u32 s3, s29, s3
	v_mov_b32_e32 v6, 0
	global_store_dwordx2 v6, v[4:5], s[2:3] sc1
	ds_write_b64 v6, v[2:3] offset:30720
.LBB3004_92:
	s_or_b64 exec, exec, s[34:35]
	v_cmp_eq_u32_e32 vcc, 0, v0
	s_and_b64 exec, exec, vcc
	s_cbranch_execz .LBB3004_94
; %bb.93:
	v_mov_b32_e32 v2, 0
	ds_write_b32 v2, v3 offset:28
.LBB3004_94:
	s_or_b64 exec, exec, s[30:31]
	v_mov_b32_e32 v14, 0
	s_waitcnt lgkmcnt(0)
	s_barrier
	ds_read_b32 v2, v14 offset:28
	v_cndmask_b32_e64 v3, v13, v12, s[16:17]
	v_cmp_ne_u32_e32 vcc, 0, v0
	s_waitcnt lgkmcnt(0)
	s_barrier
	v_cndmask_b32_e32 v3, 0, v3, vcc
	v_add_u32_e32 v2, v2, v3
	v_add_u32_e32 v3, v2, v52
	;; [unrolled: 1-line block ×10, first 2 shown]
	ds_read_b64 v[38:39], v14 offset:30720
	v_add_u32_e32 v12, v11, v47
	v_add_u32_e32 v13, v12, v48
	;; [unrolled: 1-line block ×5, first 2 shown]
	s_waitcnt lgkmcnt(0)
	v_mov_b32_e32 v40, v39
	s_load_dwordx2 s[2:3], s[0:1], 0x30
	s_branch .LBB3004_105
.LBB3004_95:
                                        ; implicit-def: $vgpr40
                                        ; implicit-def: $vgpr38
                                        ; implicit-def: $vgpr2_vgpr3_vgpr4_vgpr5_vgpr6_vgpr7_vgpr8_vgpr9_vgpr10_vgpr11_vgpr12_vgpr13_vgpr14_vgpr15_vgpr16_vgpr17
	s_load_dwordx2 s[2:3], s[0:1], 0x30
	s_cbranch_execz .LBB3004_105
; %bb.96:
	v_mov_b32_dpp v2, v57 row_shr:1 row_mask:0xf bank_mask:0xf
	v_cndmask_b32_e64 v2, v2, 0, s[14:15]
	v_add_u32_e32 v2, v2, v57
	s_nop 1
	v_mov_b32_dpp v3, v2 row_shr:2 row_mask:0xf bank_mask:0xf
	v_cndmask_b32_e64 v3, 0, v3, s[12:13]
	v_add_u32_e32 v2, v2, v3
	s_nop 1
	;; [unrolled: 4-line block ×4, first 2 shown]
	v_mov_b32_dpp v3, v2 row_bcast:15 row_mask:0xf bank_mask:0xf
	v_cndmask_b32_e64 v3, v3, 0, s[6:7]
	v_add_u32_e32 v2, v2, v3
	s_nop 1
	v_mov_b32_dpp v3, v2 row_bcast:31 row_mask:0xf bank_mask:0xf
	v_cndmask_b32_e64 v3, 0, v3, s[18:19]
	v_add_u32_e32 v2, v2, v3
	s_and_saveexec_b64 s[0:1], s[4:5]
	s_cbranch_execz .LBB3004_98
; %bb.97:
	v_lshlrev_b32_e32 v3, 2, v56
	ds_write_b32 v3, v2
.LBB3004_98:
	s_or_b64 exec, exec, s[0:1]
	v_cmp_gt_u32_e32 vcc, 8, v0
	s_waitcnt lgkmcnt(0)
	s_barrier
	s_and_saveexec_b64 s[0:1], vcc
	s_cbranch_execz .LBB3004_100
; %bb.99:
	v_mad_i32_i24 v3, v0, -11, v21
	ds_read_b32 v4, v3
	v_and_b32_e32 v5, 7, v55
	v_cmp_ne_u32_e32 vcc, 0, v5
	s_waitcnt lgkmcnt(0)
	v_mov_b32_dpp v6, v4 row_shr:1 row_mask:0xf bank_mask:0xf
	v_cndmask_b32_e32 v6, 0, v6, vcc
	v_add_u32_e32 v4, v6, v4
	v_cmp_lt_u32_e32 vcc, 1, v5
	s_nop 0
	v_mov_b32_dpp v6, v4 row_shr:2 row_mask:0xf bank_mask:0xf
	v_cndmask_b32_e32 v6, 0, v6, vcc
	v_add_u32_e32 v4, v4, v6
	v_cmp_lt_u32_e32 vcc, 3, v5
	s_nop 0
	v_mov_b32_dpp v6, v4 row_shr:4 row_mask:0xf bank_mask:0xf
	v_cndmask_b32_e32 v5, 0, v6, vcc
	v_add_u32_e32 v4, v4, v5
	ds_write_b32 v3, v4
.LBB3004_100:
	s_or_b64 exec, exec, s[0:1]
	v_cmp_lt_u32_e32 vcc, 63, v0
	v_mov_b32_e32 v4, 0
	v_mov_b32_e32 v3, 0
	s_waitcnt lgkmcnt(0)
	s_barrier
	s_and_saveexec_b64 s[0:1], vcc
	s_cbranch_execz .LBB3004_102
; %bb.101:
	v_lshl_add_u32 v3, v56, 2, -4
	ds_read_b32 v3, v3
.LBB3004_102:
	s_or_b64 exec, exec, s[0:1]
	v_add_u32_e32 v5, -1, v55
	v_and_b32_e32 v6, 64, v55
	v_cmp_lt_i32_e32 vcc, v5, v6
	s_waitcnt lgkmcnt(0)
	v_add_u32_e32 v2, v3, v2
	ds_read_b32 v38, v4 offset:28
	v_cndmask_b32_e32 v5, v5, v55, vcc
	v_lshlrev_b32_e32 v5, 2, v5
	ds_bpermute_b32 v2, v5, v2
	v_cmp_eq_u32_e32 vcc, 0, v0
	s_and_saveexec_b64 s[0:1], vcc
	s_cbranch_execz .LBB3004_104
; %bb.103:
	v_mov_b32_e32 v4, 0
	v_mov_b32_e32 v39, 2
	s_waitcnt lgkmcnt(1)
	global_store_dwordx2 v4, v[38:39], s[28:29] offset:512 sc1
.LBB3004_104:
	s_or_b64 exec, exec, s[0:1]
	v_cmp_eq_u32_e64 s[0:1], 0, v55
	v_mov_b32_e32 v40, 0
	s_waitcnt lgkmcnt(0)
	v_cndmask_b32_e64 v2, v2, v3, s[0:1]
	v_cndmask_b32_e64 v2, v2, 0, vcc
	v_add_u32_e32 v3, v2, v52
	v_add_u32_e32 v4, v3, v53
	;; [unrolled: 1-line block ×14, first 2 shown]
	s_barrier
.LBB3004_105:
	v_add_u32_e32 v21, v38, v21
	v_sub_u32_e32 v2, v2, v40
	v_and_b32_e32 v48, 1, v18
	v_sub_u32_e32 v47, v21, v2
	v_cmp_eq_u32_e32 vcc, 1, v48
	v_lshrrev_b32_e32 v46, 8, v18
	v_lshrrev_b32_e32 v39, 8, v19
	v_cndmask_b32_e32 v2, v47, v2, vcc
	v_lshlrev_b32_e32 v2, 2, v2
	ds_write_b32 v2, v36
	v_sub_u32_e32 v2, v3, v40
	v_sub_u32_e32 v3, v21, v2
	v_and_b32_e32 v36, 1, v46
	v_add_u32_e32 v3, 1, v3
	v_cmp_eq_u32_e32 vcc, 1, v36
	v_lshrrev_b32_e32 v17, 8, v20
	s_nop 0
	v_cndmask_b32_e32 v2, v3, v2, vcc
	v_lshlrev_b32_e32 v2, 2, v2
	ds_write_b32 v2, v37
	v_sub_u32_e32 v2, v4, v40
	v_mov_b32_e32 v4, 1
	v_sub_u32_e32 v3, v21, v2
	v_and_b32_sdwa v18, v4, v18 dst_sel:DWORD dst_unused:UNUSED_PAD src0_sel:DWORD src1_sel:WORD_1
	v_add_u32_e32 v3, 2, v3
	v_cmp_eq_u32_e32 vcc, 1, v18
	v_or_b32_e32 v18, 0x1c00, v0
	s_nop 0
	v_cndmask_b32_e32 v2, v3, v2, vcc
	v_lshlrev_b32_e32 v2, 2, v2
	ds_write_b32 v2, v34
	v_sub_u32_e32 v2, v5, v40
	v_sub_u32_e32 v3, v21, v2
	v_and_b32_e32 v5, 1, v45
	v_add_u32_e32 v3, 3, v3
	v_cmp_eq_u32_e32 vcc, 1, v5
	v_and_b32_e32 v5, 1, v19
	s_nop 0
	v_cndmask_b32_e32 v2, v3, v2, vcc
	v_lshlrev_b32_e32 v2, 2, v2
	ds_write_b32 v2, v35
	v_sub_u32_e32 v2, v6, v40
	v_sub_u32_e32 v3, v21, v2
	v_add_u32_e32 v3, 4, v3
	v_cmp_eq_u32_e32 vcc, 1, v5
	v_and_b32_e32 v5, 1, v39
	s_nop 0
	v_cndmask_b32_e32 v2, v3, v2, vcc
	v_lshlrev_b32_e32 v2, 2, v2
	ds_write_b32 v2, v32
	v_sub_u32_e32 v2, v7, v40
	v_sub_u32_e32 v3, v21, v2
	v_add_u32_e32 v3, 5, v3
	v_cmp_eq_u32_e32 vcc, 1, v5
	v_and_b32_sdwa v5, v4, v19 dst_sel:DWORD dst_unused:UNUSED_PAD src0_sel:DWORD src1_sel:WORD_1
	v_and_b32_sdwa v4, v4, v20 dst_sel:DWORD dst_unused:UNUSED_PAD src0_sel:DWORD src1_sel:WORD_1
	v_cndmask_b32_e32 v2, v3, v2, vcc
	v_lshlrev_b32_e32 v2, 2, v2
	ds_write_b32 v2, v33
	v_sub_u32_e32 v2, v8, v40
	v_sub_u32_e32 v3, v21, v2
	v_add_u32_e32 v3, 6, v3
	v_cmp_eq_u32_e32 vcc, 1, v5
	v_and_b32_e32 v5, 1, v44
	v_or_b32_e32 v32, 0x200, v0
	v_cndmask_b32_e32 v2, v3, v2, vcc
	v_lshlrev_b32_e32 v2, 2, v2
	ds_write_b32 v2, v30
	v_sub_u32_e32 v2, v9, v40
	v_sub_u32_e32 v3, v21, v2
	v_add_u32_e32 v3, 7, v3
	v_cmp_eq_u32_e32 vcc, 1, v5
	v_and_b32_e32 v5, 1, v20
	v_or_b32_e32 v30, 0x600, v0
	;; [unrolled: 9-line block ×3, first 2 shown]
	v_cndmask_b32_e32 v2, v3, v2, vcc
	v_lshlrev_b32_e32 v2, 2, v2
	ds_write_b32 v2, v28
	v_sub_u32_e32 v2, v11, v40
	v_sub_u32_e32 v3, v21, v2
	v_add_u32_e32 v3, 9, v3
	v_cmp_eq_u32_e32 vcc, 1, v5
	v_or_b32_e32 v28, 0xa00, v0
	v_or_b32_e32 v20, 0x1800, v0
	v_cndmask_b32_e32 v2, v3, v2, vcc
	v_lshlrev_b32_e32 v2, 2, v2
	ds_write_b32 v2, v29
	v_sub_u32_e32 v2, v12, v40
	v_sub_u32_e32 v3, v21, v2
	v_add_u32_e32 v3, 10, v3
	v_cmp_eq_u32_e32 vcc, 1, v4
	v_and_b32_e32 v4, 1, v42
	v_or_b32_e32 v29, 0x800, v0
	v_cndmask_b32_e32 v2, v3, v2, vcc
	v_lshlrev_b32_e32 v2, 2, v2
	ds_write_b32 v2, v26
	v_sub_u32_e32 v2, v13, v40
	v_sub_u32_e32 v3, v21, v2
	v_add_u32_e32 v3, 11, v3
	v_cmp_eq_u32_e32 vcc, 1, v4
	v_or_b32_e32 v26, 0xe00, v0
	v_or_b32_e32 v19, 0x1a00, v0
	v_cndmask_b32_e32 v2, v3, v2, vcc
	v_lshlrev_b32_e32 v2, 2, v2
	ds_write_b32 v2, v27
	v_sub_u32_e32 v2, v14, v40
	v_sub_u32_e32 v3, v21, v2
	v_add_u32_e32 v3, 12, v3
	v_cmp_eq_u32_e32 vcc, 1, v43
	v_or_b32_e32 v27, 0xc00, v0
	s_nop 0
	v_cndmask_b32_e32 v2, v3, v2, vcc
	v_lshlrev_b32_e32 v2, 2, v2
	ds_write_b32 v2, v24
	v_sub_u32_e32 v2, v15, v40
	v_sub_u32_e32 v3, v21, v2
	v_add_u32_e32 v3, 13, v3
	v_cmp_eq_u32_e32 vcc, 1, v41
	v_or_b32_e32 v24, 0x1200, v0
	s_nop 0
	v_cndmask_b32_e32 v2, v3, v2, vcc
	v_lshlrev_b32_e32 v2, 2, v2
	ds_write_b32 v2, v25
	v_sub_u32_e32 v2, v16, v40
	v_sub_u32_e32 v3, v21, v2
	v_add_u32_e32 v3, 14, v3
	v_cmp_eq_u32_e32 vcc, 1, v23
	v_or_b32_e32 v25, 0x1000, v0
	v_or_b32_e32 v23, 0x1400, v0
	v_cndmask_b32_e32 v2, v3, v2, vcc
	v_lshlrev_b32_e32 v2, 2, v2
	ds_write_b32 v2, v1
	s_waitcnt lgkmcnt(0)
	s_barrier
	ds_read2st64_b32 v[16:17], v22 offset1:8
	ds_read2st64_b32 v[14:15], v22 offset0:16 offset1:24
	ds_read2st64_b32 v[12:13], v22 offset0:32 offset1:40
	;; [unrolled: 1-line block ×6, first 2 shown]
	ds_read_b32 v1, v22 offset:28672
	v_or_b32_e32 v21, 0x1600, v0
	s_andn2_b64 vcc, exec, s[26:27]
	s_cbranch_vccnz .LBB3004_122
; %bb.106:
	s_lshl_b64 s[0:1], s[22:23], 2
	v_mov_b32_e32 v41, 0
	s_add_u32 s0, s2, s0
	s_addc_u32 s1, s3, s1
	v_lshlrev_b64 v[4:5], 2, v[40:41]
	v_lshl_add_u64 v[4:5], s[0:1], 0, v[4:5]
	v_cmp_gt_u32_e32 vcc, v38, v0
	s_and_saveexec_b64 s[0:1], vcc
	s_cbranch_execnz .LBB3004_144
; %bb.107:
	s_or_b64 exec, exec, s[0:1]
	v_cmp_lt_u32_e32 vcc, v32, v38
	s_and_saveexec_b64 s[0:1], vcc
	s_cbranch_execnz .LBB3004_145
.LBB3004_108:
	s_or_b64 exec, exec, s[0:1]
	v_cmp_lt_u32_e32 vcc, v31, v38
	s_and_saveexec_b64 s[0:1], vcc
	s_cbranch_execnz .LBB3004_146
.LBB3004_109:
	s_or_b64 exec, exec, s[0:1]
	v_cmp_lt_u32_e32 vcc, v30, v38
	s_and_saveexec_b64 s[0:1], vcc
	s_cbranch_execnz .LBB3004_147
.LBB3004_110:
	s_or_b64 exec, exec, s[0:1]
	v_cmp_lt_u32_e32 vcc, v29, v38
	s_and_saveexec_b64 s[0:1], vcc
	s_cbranch_execnz .LBB3004_148
.LBB3004_111:
	s_or_b64 exec, exec, s[0:1]
	v_cmp_lt_u32_e32 vcc, v28, v38
	s_and_saveexec_b64 s[0:1], vcc
	s_cbranch_execnz .LBB3004_149
.LBB3004_112:
	s_or_b64 exec, exec, s[0:1]
	v_cmp_lt_u32_e32 vcc, v27, v38
	s_and_saveexec_b64 s[0:1], vcc
	s_cbranch_execnz .LBB3004_150
.LBB3004_113:
	s_or_b64 exec, exec, s[0:1]
	v_cmp_lt_u32_e32 vcc, v26, v38
	s_and_saveexec_b64 s[0:1], vcc
	s_cbranch_execnz .LBB3004_151
.LBB3004_114:
	s_or_b64 exec, exec, s[0:1]
	v_cmp_lt_u32_e32 vcc, v25, v38
	s_and_saveexec_b64 s[0:1], vcc
	s_cbranch_execnz .LBB3004_152
.LBB3004_115:
	s_or_b64 exec, exec, s[0:1]
	v_cmp_lt_u32_e32 vcc, v24, v38
	s_and_saveexec_b64 s[0:1], vcc
	s_cbranch_execnz .LBB3004_153
.LBB3004_116:
	s_or_b64 exec, exec, s[0:1]
	v_cmp_lt_u32_e32 vcc, v23, v38
	s_and_saveexec_b64 s[0:1], vcc
	s_cbranch_execnz .LBB3004_154
.LBB3004_117:
	s_or_b64 exec, exec, s[0:1]
	v_cmp_lt_u32_e32 vcc, v21, v38
	s_and_saveexec_b64 s[0:1], vcc
	s_cbranch_execnz .LBB3004_155
.LBB3004_118:
	s_or_b64 exec, exec, s[0:1]
	v_cmp_lt_u32_e32 vcc, v20, v38
	s_and_saveexec_b64 s[0:1], vcc
	s_cbranch_execnz .LBB3004_156
.LBB3004_119:
	s_or_b64 exec, exec, s[0:1]
	v_cmp_lt_u32_e32 vcc, v19, v38
	s_and_saveexec_b64 s[0:1], vcc
	s_cbranch_execz .LBB3004_121
.LBB3004_120:
	v_lshlrev_b32_e32 v33, 2, v19
	v_readfirstlane_b32 s4, v4
	v_readfirstlane_b32 s5, v5
	s_waitcnt lgkmcnt(1)
	s_nop 3
	global_store_dword v33, v3, s[4:5]
.LBB3004_121:
	s_or_b64 exec, exec, s[0:1]
	v_cmp_lt_u32_e64 s[0:1], v18, v38
	s_branch .LBB3004_139
.LBB3004_122:
	s_mov_b64 s[0:1], 0
                                        ; implicit-def: $vgpr4_vgpr5
	s_cbranch_execz .LBB3004_139
; %bb.123:
	s_lshl_b64 s[0:1], s[22:23], 2
	v_mov_b32_e32 v41, 0
	s_add_u32 s0, s2, s0
	v_min_u32_e32 v33, s33, v38
	s_addc_u32 s1, s3, s1
	v_lshlrev_b64 v[4:5], 2, v[40:41]
	v_lshl_add_u64 v[4:5], s[0:1], 0, v[4:5]
	v_cmp_gt_u32_e32 vcc, v33, v0
	s_and_saveexec_b64 s[0:1], vcc
	s_cbranch_execnz .LBB3004_157
; %bb.124:
	s_or_b64 exec, exec, s[0:1]
	v_cmp_lt_u32_e32 vcc, v32, v33
	s_and_saveexec_b64 s[0:1], vcc
	s_cbranch_execnz .LBB3004_158
.LBB3004_125:
	s_or_b64 exec, exec, s[0:1]
	v_cmp_lt_u32_e32 vcc, v31, v33
	s_and_saveexec_b64 s[0:1], vcc
	s_cbranch_execnz .LBB3004_159
.LBB3004_126:
	s_or_b64 exec, exec, s[0:1]
	v_cmp_lt_u32_e32 vcc, v30, v33
	s_and_saveexec_b64 s[0:1], vcc
	s_cbranch_execnz .LBB3004_160
.LBB3004_127:
	s_or_b64 exec, exec, s[0:1]
	v_cmp_lt_u32_e32 vcc, v29, v33
	s_and_saveexec_b64 s[0:1], vcc
	s_cbranch_execnz .LBB3004_161
.LBB3004_128:
	s_or_b64 exec, exec, s[0:1]
	v_cmp_lt_u32_e32 vcc, v28, v33
	s_and_saveexec_b64 s[0:1], vcc
	s_cbranch_execnz .LBB3004_162
.LBB3004_129:
	s_or_b64 exec, exec, s[0:1]
	v_cmp_lt_u32_e32 vcc, v27, v33
	s_and_saveexec_b64 s[0:1], vcc
	s_cbranch_execnz .LBB3004_163
.LBB3004_130:
	s_or_b64 exec, exec, s[0:1]
	v_cmp_lt_u32_e32 vcc, v26, v33
	s_and_saveexec_b64 s[0:1], vcc
	s_cbranch_execnz .LBB3004_164
.LBB3004_131:
	s_or_b64 exec, exec, s[0:1]
	v_cmp_lt_u32_e32 vcc, v25, v33
	s_and_saveexec_b64 s[0:1], vcc
	s_cbranch_execnz .LBB3004_165
.LBB3004_132:
	s_or_b64 exec, exec, s[0:1]
	v_cmp_lt_u32_e32 vcc, v24, v33
	s_and_saveexec_b64 s[0:1], vcc
	s_cbranch_execnz .LBB3004_166
.LBB3004_133:
	s_or_b64 exec, exec, s[0:1]
	v_cmp_lt_u32_e32 vcc, v23, v33
	s_and_saveexec_b64 s[0:1], vcc
	s_cbranch_execnz .LBB3004_167
.LBB3004_134:
	s_or_b64 exec, exec, s[0:1]
	v_cmp_lt_u32_e32 vcc, v21, v33
	s_and_saveexec_b64 s[0:1], vcc
	s_cbranch_execnz .LBB3004_168
.LBB3004_135:
	s_or_b64 exec, exec, s[0:1]
	v_cmp_lt_u32_e32 vcc, v20, v33
	s_and_saveexec_b64 s[0:1], vcc
	s_cbranch_execnz .LBB3004_169
.LBB3004_136:
	s_or_b64 exec, exec, s[0:1]
	v_cmp_lt_u32_e32 vcc, v19, v33
	s_and_saveexec_b64 s[0:1], vcc
	s_cbranch_execz .LBB3004_138
.LBB3004_137:
	s_waitcnt lgkmcnt(1)
	v_lshlrev_b32_e32 v2, 2, v19
	v_readfirstlane_b32 s2, v4
	v_readfirstlane_b32 s3, v5
	s_nop 4
	global_store_dword v2, v3, s[2:3]
.LBB3004_138:
	s_or_b64 exec, exec, s[0:1]
	v_cmp_lt_u32_e64 s[0:1], v18, v33
.LBB3004_139:
	s_and_saveexec_b64 s[2:3], s[0:1]
	s_cbranch_execz .LBB3004_141
; %bb.140:
	s_waitcnt lgkmcnt(1)
	v_lshlrev_b32_e32 v2, 2, v18
	v_readfirstlane_b32 s0, v4
	v_readfirstlane_b32 s1, v5
	s_waitcnt lgkmcnt(0)
	s_nop 3
	global_store_dword v2, v1, s[0:1]
.LBB3004_141:
	s_or_b64 exec, exec, s[2:3]
	v_cmp_eq_u32_e32 vcc, 0, v0
	s_and_b64 s[0:1], vcc, s[24:25]
	s_and_saveexec_b64 s[2:3], s[0:1]
	s_cbranch_execz .LBB3004_143
; %bb.142:
	v_mov_b32_e32 v39, 0
	s_waitcnt lgkmcnt(0)
	v_lshl_add_u64 v[0:1], s[22:23], 0, v[38:39]
	v_mov_b32_e32 v41, v39
	v_lshl_add_u64 v[0:1], v[0:1], 0, v[40:41]
	global_store_dwordx2 v39, v[0:1], s[20:21]
.LBB3004_143:
	s_endpgm
.LBB3004_144:
	v_readfirstlane_b32 s4, v4
	v_readfirstlane_b32 s5, v5
	s_waitcnt lgkmcnt(7)
	s_nop 3
	global_store_dword v22, v16, s[4:5]
	s_or_b64 exec, exec, s[0:1]
	v_cmp_lt_u32_e32 vcc, v32, v38
	s_and_saveexec_b64 s[0:1], vcc
	s_cbranch_execz .LBB3004_108
.LBB3004_145:
	v_readfirstlane_b32 s4, v4
	v_readfirstlane_b32 s5, v5
	s_waitcnt lgkmcnt(7)
	s_nop 3
	global_store_dword v22, v17, s[4:5] offset:2048
	s_or_b64 exec, exec, s[0:1]
	v_cmp_lt_u32_e32 vcc, v31, v38
	s_and_saveexec_b64 s[0:1], vcc
	s_cbranch_execz .LBB3004_109
.LBB3004_146:
	v_lshlrev_b32_e32 v33, 2, v31
	v_readfirstlane_b32 s4, v4
	v_readfirstlane_b32 s5, v5
	s_waitcnt lgkmcnt(6)
	s_nop 3
	global_store_dword v33, v14, s[4:5]
	s_or_b64 exec, exec, s[0:1]
	v_cmp_lt_u32_e32 vcc, v30, v38
	s_and_saveexec_b64 s[0:1], vcc
	s_cbranch_execz .LBB3004_110
.LBB3004_147:
	v_lshlrev_b32_e32 v33, 2, v30
	v_readfirstlane_b32 s4, v4
	v_readfirstlane_b32 s5, v5
	s_waitcnt lgkmcnt(6)
	s_nop 3
	global_store_dword v33, v15, s[4:5]
	s_or_b64 exec, exec, s[0:1]
	v_cmp_lt_u32_e32 vcc, v29, v38
	s_and_saveexec_b64 s[0:1], vcc
	s_cbranch_execz .LBB3004_111
.LBB3004_148:
	v_lshlrev_b32_e32 v33, 2, v29
	v_readfirstlane_b32 s4, v4
	v_readfirstlane_b32 s5, v5
	s_waitcnt lgkmcnt(5)
	s_nop 3
	global_store_dword v33, v12, s[4:5]
	s_or_b64 exec, exec, s[0:1]
	v_cmp_lt_u32_e32 vcc, v28, v38
	s_and_saveexec_b64 s[0:1], vcc
	s_cbranch_execz .LBB3004_112
.LBB3004_149:
	v_lshlrev_b32_e32 v33, 2, v28
	v_readfirstlane_b32 s4, v4
	v_readfirstlane_b32 s5, v5
	s_waitcnt lgkmcnt(5)
	s_nop 3
	global_store_dword v33, v13, s[4:5]
	s_or_b64 exec, exec, s[0:1]
	v_cmp_lt_u32_e32 vcc, v27, v38
	s_and_saveexec_b64 s[0:1], vcc
	s_cbranch_execz .LBB3004_113
.LBB3004_150:
	v_lshlrev_b32_e32 v33, 2, v27
	v_readfirstlane_b32 s4, v4
	v_readfirstlane_b32 s5, v5
	s_waitcnt lgkmcnt(4)
	s_nop 3
	global_store_dword v33, v10, s[4:5]
	s_or_b64 exec, exec, s[0:1]
	v_cmp_lt_u32_e32 vcc, v26, v38
	s_and_saveexec_b64 s[0:1], vcc
	s_cbranch_execz .LBB3004_114
.LBB3004_151:
	v_lshlrev_b32_e32 v33, 2, v26
	v_readfirstlane_b32 s4, v4
	v_readfirstlane_b32 s5, v5
	s_waitcnt lgkmcnt(4)
	s_nop 3
	global_store_dword v33, v11, s[4:5]
	s_or_b64 exec, exec, s[0:1]
	v_cmp_lt_u32_e32 vcc, v25, v38
	s_and_saveexec_b64 s[0:1], vcc
	s_cbranch_execz .LBB3004_115
.LBB3004_152:
	v_lshlrev_b32_e32 v33, 2, v25
	v_readfirstlane_b32 s4, v4
	v_readfirstlane_b32 s5, v5
	s_waitcnt lgkmcnt(3)
	s_nop 3
	global_store_dword v33, v8, s[4:5]
	s_or_b64 exec, exec, s[0:1]
	v_cmp_lt_u32_e32 vcc, v24, v38
	s_and_saveexec_b64 s[0:1], vcc
	s_cbranch_execz .LBB3004_116
.LBB3004_153:
	v_lshlrev_b32_e32 v33, 2, v24
	v_readfirstlane_b32 s4, v4
	v_readfirstlane_b32 s5, v5
	s_waitcnt lgkmcnt(3)
	s_nop 3
	global_store_dword v33, v9, s[4:5]
	s_or_b64 exec, exec, s[0:1]
	v_cmp_lt_u32_e32 vcc, v23, v38
	s_and_saveexec_b64 s[0:1], vcc
	s_cbranch_execz .LBB3004_117
.LBB3004_154:
	v_lshlrev_b32_e32 v33, 2, v23
	v_readfirstlane_b32 s4, v4
	v_readfirstlane_b32 s5, v5
	s_waitcnt lgkmcnt(2)
	s_nop 3
	global_store_dword v33, v6, s[4:5]
	s_or_b64 exec, exec, s[0:1]
	v_cmp_lt_u32_e32 vcc, v21, v38
	s_and_saveexec_b64 s[0:1], vcc
	s_cbranch_execz .LBB3004_118
.LBB3004_155:
	v_lshlrev_b32_e32 v33, 2, v21
	v_readfirstlane_b32 s4, v4
	v_readfirstlane_b32 s5, v5
	s_waitcnt lgkmcnt(2)
	s_nop 3
	global_store_dword v33, v7, s[4:5]
	s_or_b64 exec, exec, s[0:1]
	v_cmp_lt_u32_e32 vcc, v20, v38
	s_and_saveexec_b64 s[0:1], vcc
	s_cbranch_execz .LBB3004_119
.LBB3004_156:
	v_lshlrev_b32_e32 v33, 2, v20
	v_readfirstlane_b32 s4, v4
	v_readfirstlane_b32 s5, v5
	s_waitcnt lgkmcnt(1)
	s_nop 3
	global_store_dword v33, v2, s[4:5]
	s_or_b64 exec, exec, s[0:1]
	v_cmp_lt_u32_e32 vcc, v19, v38
	s_and_saveexec_b64 s[0:1], vcc
	s_cbranch_execnz .LBB3004_120
	s_branch .LBB3004_121
.LBB3004_157:
	v_readfirstlane_b32 s2, v4
	v_readfirstlane_b32 s3, v5
	s_waitcnt lgkmcnt(7)
	s_nop 3
	global_store_dword v22, v16, s[2:3]
	s_or_b64 exec, exec, s[0:1]
	v_cmp_lt_u32_e32 vcc, v32, v33
	s_and_saveexec_b64 s[0:1], vcc
	s_cbranch_execz .LBB3004_125
.LBB3004_158:
	v_readfirstlane_b32 s2, v4
	v_readfirstlane_b32 s3, v5
	s_waitcnt lgkmcnt(7)
	s_nop 3
	global_store_dword v22, v17, s[2:3] offset:2048
	s_or_b64 exec, exec, s[0:1]
	v_cmp_lt_u32_e32 vcc, v31, v33
	s_and_saveexec_b64 s[0:1], vcc
	s_cbranch_execz .LBB3004_126
.LBB3004_159:
	s_waitcnt lgkmcnt(7)
	v_lshlrev_b32_e32 v16, 2, v31
	v_readfirstlane_b32 s2, v4
	v_readfirstlane_b32 s3, v5
	s_waitcnt lgkmcnt(6)
	s_nop 3
	global_store_dword v16, v14, s[2:3]
	s_or_b64 exec, exec, s[0:1]
	v_cmp_lt_u32_e32 vcc, v30, v33
	s_and_saveexec_b64 s[0:1], vcc
	s_cbranch_execz .LBB3004_127
.LBB3004_160:
	s_waitcnt lgkmcnt(6)
	v_lshlrev_b32_e32 v14, 2, v30
	v_readfirstlane_b32 s2, v4
	v_readfirstlane_b32 s3, v5
	s_nop 4
	global_store_dword v14, v15, s[2:3]
	s_or_b64 exec, exec, s[0:1]
	v_cmp_lt_u32_e32 vcc, v29, v33
	s_and_saveexec_b64 s[0:1], vcc
	s_cbranch_execz .LBB3004_128
.LBB3004_161:
	s_waitcnt lgkmcnt(6)
	v_lshlrev_b32_e32 v14, 2, v29
	v_readfirstlane_b32 s2, v4
	v_readfirstlane_b32 s3, v5
	s_waitcnt lgkmcnt(5)
	s_nop 3
	global_store_dword v14, v12, s[2:3]
	s_or_b64 exec, exec, s[0:1]
	v_cmp_lt_u32_e32 vcc, v28, v33
	s_and_saveexec_b64 s[0:1], vcc
	s_cbranch_execz .LBB3004_129
.LBB3004_162:
	s_waitcnt lgkmcnt(5)
	v_lshlrev_b32_e32 v12, 2, v28
	v_readfirstlane_b32 s2, v4
	v_readfirstlane_b32 s3, v5
	s_nop 4
	global_store_dword v12, v13, s[2:3]
	s_or_b64 exec, exec, s[0:1]
	v_cmp_lt_u32_e32 vcc, v27, v33
	s_and_saveexec_b64 s[0:1], vcc
	s_cbranch_execz .LBB3004_130
.LBB3004_163:
	s_waitcnt lgkmcnt(5)
	v_lshlrev_b32_e32 v12, 2, v27
	v_readfirstlane_b32 s2, v4
	v_readfirstlane_b32 s3, v5
	s_waitcnt lgkmcnt(4)
	s_nop 3
	global_store_dword v12, v10, s[2:3]
	s_or_b64 exec, exec, s[0:1]
	v_cmp_lt_u32_e32 vcc, v26, v33
	s_and_saveexec_b64 s[0:1], vcc
	s_cbranch_execz .LBB3004_131
.LBB3004_164:
	s_waitcnt lgkmcnt(4)
	v_lshlrev_b32_e32 v10, 2, v26
	v_readfirstlane_b32 s2, v4
	v_readfirstlane_b32 s3, v5
	s_nop 4
	global_store_dword v10, v11, s[2:3]
	s_or_b64 exec, exec, s[0:1]
	v_cmp_lt_u32_e32 vcc, v25, v33
	s_and_saveexec_b64 s[0:1], vcc
	s_cbranch_execz .LBB3004_132
.LBB3004_165:
	s_waitcnt lgkmcnt(4)
	v_lshlrev_b32_e32 v10, 2, v25
	v_readfirstlane_b32 s2, v4
	v_readfirstlane_b32 s3, v5
	s_waitcnt lgkmcnt(3)
	s_nop 3
	global_store_dword v10, v8, s[2:3]
	s_or_b64 exec, exec, s[0:1]
	v_cmp_lt_u32_e32 vcc, v24, v33
	s_and_saveexec_b64 s[0:1], vcc
	s_cbranch_execz .LBB3004_133
.LBB3004_166:
	s_waitcnt lgkmcnt(3)
	v_lshlrev_b32_e32 v8, 2, v24
	v_readfirstlane_b32 s2, v4
	v_readfirstlane_b32 s3, v5
	s_nop 4
	global_store_dword v8, v9, s[2:3]
	s_or_b64 exec, exec, s[0:1]
	v_cmp_lt_u32_e32 vcc, v23, v33
	s_and_saveexec_b64 s[0:1], vcc
	s_cbranch_execz .LBB3004_134
.LBB3004_167:
	s_waitcnt lgkmcnt(3)
	v_lshlrev_b32_e32 v8, 2, v23
	v_readfirstlane_b32 s2, v4
	v_readfirstlane_b32 s3, v5
	s_waitcnt lgkmcnt(2)
	s_nop 3
	global_store_dword v8, v6, s[2:3]
	s_or_b64 exec, exec, s[0:1]
	v_cmp_lt_u32_e32 vcc, v21, v33
	s_and_saveexec_b64 s[0:1], vcc
	s_cbranch_execz .LBB3004_135
.LBB3004_168:
	s_waitcnt lgkmcnt(2)
	v_lshlrev_b32_e32 v6, 2, v21
	v_readfirstlane_b32 s2, v4
	v_readfirstlane_b32 s3, v5
	s_nop 4
	global_store_dword v6, v7, s[2:3]
	s_or_b64 exec, exec, s[0:1]
	v_cmp_lt_u32_e32 vcc, v20, v33
	s_and_saveexec_b64 s[0:1], vcc
	s_cbranch_execz .LBB3004_136
.LBB3004_169:
	s_waitcnt lgkmcnt(2)
	v_lshlrev_b32_e32 v6, 2, v20
	v_readfirstlane_b32 s2, v4
	v_readfirstlane_b32 s3, v5
	s_waitcnt lgkmcnt(1)
	s_nop 3
	global_store_dword v6, v2, s[2:3]
	s_or_b64 exec, exec, s[0:1]
	v_cmp_lt_u32_e32 vcc, v19, v33
	s_and_saveexec_b64 s[0:1], vcc
	s_cbranch_execnz .LBB3004_137
	s_branch .LBB3004_138
	.section	.rodata,"a",@progbits
	.p2align	6, 0x0
	.amdhsa_kernel _ZN7rocprim17ROCPRIM_400000_NS6detail17trampoline_kernelINS0_14default_configENS1_25partition_config_selectorILNS1_17partition_subalgoE1EjNS0_10empty_typeEbEEZZNS1_14partition_implILS5_1ELb0ES3_jN6thrust23THRUST_200600_302600_NS6detail15normal_iteratorINSA_10device_ptrIjEEEEPS6_NSA_18transform_iteratorI7is_evenIjESF_NSA_11use_defaultESK_EENS0_5tupleIJSF_NSA_16discard_iteratorISK_EEEEENSM_IJSG_SG_EEES6_PlJS6_EEE10hipError_tPvRmT3_T4_T5_T6_T7_T9_mT8_P12ihipStream_tbDpT10_ENKUlT_T0_E_clISt17integral_constantIbLb0EES1B_EEDaS16_S17_EUlS16_E_NS1_11comp_targetILNS1_3genE5ELNS1_11target_archE942ELNS1_3gpuE9ELNS1_3repE0EEENS1_30default_config_static_selectorELNS0_4arch9wavefront6targetE1EEEvT1_
		.amdhsa_group_segment_fixed_size 30728
		.amdhsa_private_segment_fixed_size 0
		.amdhsa_kernarg_size 136
		.amdhsa_user_sgpr_count 2
		.amdhsa_user_sgpr_dispatch_ptr 0
		.amdhsa_user_sgpr_queue_ptr 0
		.amdhsa_user_sgpr_kernarg_segment_ptr 1
		.amdhsa_user_sgpr_dispatch_id 0
		.amdhsa_user_sgpr_kernarg_preload_length 0
		.amdhsa_user_sgpr_kernarg_preload_offset 0
		.amdhsa_user_sgpr_private_segment_size 0
		.amdhsa_uses_dynamic_stack 0
		.amdhsa_enable_private_segment 0
		.amdhsa_system_sgpr_workgroup_id_x 1
		.amdhsa_system_sgpr_workgroup_id_y 0
		.amdhsa_system_sgpr_workgroup_id_z 0
		.amdhsa_system_sgpr_workgroup_info 0
		.amdhsa_system_vgpr_workitem_id 0
		.amdhsa_next_free_vgpr 65
		.amdhsa_next_free_sgpr 40
		.amdhsa_accum_offset 68
		.amdhsa_reserve_vcc 1
		.amdhsa_float_round_mode_32 0
		.amdhsa_float_round_mode_16_64 0
		.amdhsa_float_denorm_mode_32 3
		.amdhsa_float_denorm_mode_16_64 3
		.amdhsa_dx10_clamp 1
		.amdhsa_ieee_mode 1
		.amdhsa_fp16_overflow 0
		.amdhsa_tg_split 0
		.amdhsa_exception_fp_ieee_invalid_op 0
		.amdhsa_exception_fp_denorm_src 0
		.amdhsa_exception_fp_ieee_div_zero 0
		.amdhsa_exception_fp_ieee_overflow 0
		.amdhsa_exception_fp_ieee_underflow 0
		.amdhsa_exception_fp_ieee_inexact 0
		.amdhsa_exception_int_div_zero 0
	.end_amdhsa_kernel
	.section	.text._ZN7rocprim17ROCPRIM_400000_NS6detail17trampoline_kernelINS0_14default_configENS1_25partition_config_selectorILNS1_17partition_subalgoE1EjNS0_10empty_typeEbEEZZNS1_14partition_implILS5_1ELb0ES3_jN6thrust23THRUST_200600_302600_NS6detail15normal_iteratorINSA_10device_ptrIjEEEEPS6_NSA_18transform_iteratorI7is_evenIjESF_NSA_11use_defaultESK_EENS0_5tupleIJSF_NSA_16discard_iteratorISK_EEEEENSM_IJSG_SG_EEES6_PlJS6_EEE10hipError_tPvRmT3_T4_T5_T6_T7_T9_mT8_P12ihipStream_tbDpT10_ENKUlT_T0_E_clISt17integral_constantIbLb0EES1B_EEDaS16_S17_EUlS16_E_NS1_11comp_targetILNS1_3genE5ELNS1_11target_archE942ELNS1_3gpuE9ELNS1_3repE0EEENS1_30default_config_static_selectorELNS0_4arch9wavefront6targetE1EEEvT1_,"axG",@progbits,_ZN7rocprim17ROCPRIM_400000_NS6detail17trampoline_kernelINS0_14default_configENS1_25partition_config_selectorILNS1_17partition_subalgoE1EjNS0_10empty_typeEbEEZZNS1_14partition_implILS5_1ELb0ES3_jN6thrust23THRUST_200600_302600_NS6detail15normal_iteratorINSA_10device_ptrIjEEEEPS6_NSA_18transform_iteratorI7is_evenIjESF_NSA_11use_defaultESK_EENS0_5tupleIJSF_NSA_16discard_iteratorISK_EEEEENSM_IJSG_SG_EEES6_PlJS6_EEE10hipError_tPvRmT3_T4_T5_T6_T7_T9_mT8_P12ihipStream_tbDpT10_ENKUlT_T0_E_clISt17integral_constantIbLb0EES1B_EEDaS16_S17_EUlS16_E_NS1_11comp_targetILNS1_3genE5ELNS1_11target_archE942ELNS1_3gpuE9ELNS1_3repE0EEENS1_30default_config_static_selectorELNS0_4arch9wavefront6targetE1EEEvT1_,comdat
.Lfunc_end3004:
	.size	_ZN7rocprim17ROCPRIM_400000_NS6detail17trampoline_kernelINS0_14default_configENS1_25partition_config_selectorILNS1_17partition_subalgoE1EjNS0_10empty_typeEbEEZZNS1_14partition_implILS5_1ELb0ES3_jN6thrust23THRUST_200600_302600_NS6detail15normal_iteratorINSA_10device_ptrIjEEEEPS6_NSA_18transform_iteratorI7is_evenIjESF_NSA_11use_defaultESK_EENS0_5tupleIJSF_NSA_16discard_iteratorISK_EEEEENSM_IJSG_SG_EEES6_PlJS6_EEE10hipError_tPvRmT3_T4_T5_T6_T7_T9_mT8_P12ihipStream_tbDpT10_ENKUlT_T0_E_clISt17integral_constantIbLb0EES1B_EEDaS16_S17_EUlS16_E_NS1_11comp_targetILNS1_3genE5ELNS1_11target_archE942ELNS1_3gpuE9ELNS1_3repE0EEENS1_30default_config_static_selectorELNS0_4arch9wavefront6targetE1EEEvT1_, .Lfunc_end3004-_ZN7rocprim17ROCPRIM_400000_NS6detail17trampoline_kernelINS0_14default_configENS1_25partition_config_selectorILNS1_17partition_subalgoE1EjNS0_10empty_typeEbEEZZNS1_14partition_implILS5_1ELb0ES3_jN6thrust23THRUST_200600_302600_NS6detail15normal_iteratorINSA_10device_ptrIjEEEEPS6_NSA_18transform_iteratorI7is_evenIjESF_NSA_11use_defaultESK_EENS0_5tupleIJSF_NSA_16discard_iteratorISK_EEEEENSM_IJSG_SG_EEES6_PlJS6_EEE10hipError_tPvRmT3_T4_T5_T6_T7_T9_mT8_P12ihipStream_tbDpT10_ENKUlT_T0_E_clISt17integral_constantIbLb0EES1B_EEDaS16_S17_EUlS16_E_NS1_11comp_targetILNS1_3genE5ELNS1_11target_archE942ELNS1_3gpuE9ELNS1_3repE0EEENS1_30default_config_static_selectorELNS0_4arch9wavefront6targetE1EEEvT1_
                                        ; -- End function
	.section	.AMDGPU.csdata,"",@progbits
; Kernel info:
; codeLenInByte = 7768
; NumSgprs: 46
; NumVgprs: 65
; NumAgprs: 0
; TotalNumVgprs: 65
; ScratchSize: 0
; MemoryBound: 0
; FloatMode: 240
; IeeeMode: 1
; LDSByteSize: 30728 bytes/workgroup (compile time only)
; SGPRBlocks: 5
; VGPRBlocks: 8
; NumSGPRsForWavesPerEU: 46
; NumVGPRsForWavesPerEU: 65
; AccumOffset: 68
; Occupancy: 4
; WaveLimiterHint : 1
; COMPUTE_PGM_RSRC2:SCRATCH_EN: 0
; COMPUTE_PGM_RSRC2:USER_SGPR: 2
; COMPUTE_PGM_RSRC2:TRAP_HANDLER: 0
; COMPUTE_PGM_RSRC2:TGID_X_EN: 1
; COMPUTE_PGM_RSRC2:TGID_Y_EN: 0
; COMPUTE_PGM_RSRC2:TGID_Z_EN: 0
; COMPUTE_PGM_RSRC2:TIDIG_COMP_CNT: 0
; COMPUTE_PGM_RSRC3_GFX90A:ACCUM_OFFSET: 16
; COMPUTE_PGM_RSRC3_GFX90A:TG_SPLIT: 0
	.section	.text._ZN7rocprim17ROCPRIM_400000_NS6detail17trampoline_kernelINS0_14default_configENS1_25partition_config_selectorILNS1_17partition_subalgoE1EjNS0_10empty_typeEbEEZZNS1_14partition_implILS5_1ELb0ES3_jN6thrust23THRUST_200600_302600_NS6detail15normal_iteratorINSA_10device_ptrIjEEEEPS6_NSA_18transform_iteratorI7is_evenIjESF_NSA_11use_defaultESK_EENS0_5tupleIJSF_NSA_16discard_iteratorISK_EEEEENSM_IJSG_SG_EEES6_PlJS6_EEE10hipError_tPvRmT3_T4_T5_T6_T7_T9_mT8_P12ihipStream_tbDpT10_ENKUlT_T0_E_clISt17integral_constantIbLb0EES1B_EEDaS16_S17_EUlS16_E_NS1_11comp_targetILNS1_3genE4ELNS1_11target_archE910ELNS1_3gpuE8ELNS1_3repE0EEENS1_30default_config_static_selectorELNS0_4arch9wavefront6targetE1EEEvT1_,"axG",@progbits,_ZN7rocprim17ROCPRIM_400000_NS6detail17trampoline_kernelINS0_14default_configENS1_25partition_config_selectorILNS1_17partition_subalgoE1EjNS0_10empty_typeEbEEZZNS1_14partition_implILS5_1ELb0ES3_jN6thrust23THRUST_200600_302600_NS6detail15normal_iteratorINSA_10device_ptrIjEEEEPS6_NSA_18transform_iteratorI7is_evenIjESF_NSA_11use_defaultESK_EENS0_5tupleIJSF_NSA_16discard_iteratorISK_EEEEENSM_IJSG_SG_EEES6_PlJS6_EEE10hipError_tPvRmT3_T4_T5_T6_T7_T9_mT8_P12ihipStream_tbDpT10_ENKUlT_T0_E_clISt17integral_constantIbLb0EES1B_EEDaS16_S17_EUlS16_E_NS1_11comp_targetILNS1_3genE4ELNS1_11target_archE910ELNS1_3gpuE8ELNS1_3repE0EEENS1_30default_config_static_selectorELNS0_4arch9wavefront6targetE1EEEvT1_,comdat
	.protected	_ZN7rocprim17ROCPRIM_400000_NS6detail17trampoline_kernelINS0_14default_configENS1_25partition_config_selectorILNS1_17partition_subalgoE1EjNS0_10empty_typeEbEEZZNS1_14partition_implILS5_1ELb0ES3_jN6thrust23THRUST_200600_302600_NS6detail15normal_iteratorINSA_10device_ptrIjEEEEPS6_NSA_18transform_iteratorI7is_evenIjESF_NSA_11use_defaultESK_EENS0_5tupleIJSF_NSA_16discard_iteratorISK_EEEEENSM_IJSG_SG_EEES6_PlJS6_EEE10hipError_tPvRmT3_T4_T5_T6_T7_T9_mT8_P12ihipStream_tbDpT10_ENKUlT_T0_E_clISt17integral_constantIbLb0EES1B_EEDaS16_S17_EUlS16_E_NS1_11comp_targetILNS1_3genE4ELNS1_11target_archE910ELNS1_3gpuE8ELNS1_3repE0EEENS1_30default_config_static_selectorELNS0_4arch9wavefront6targetE1EEEvT1_ ; -- Begin function _ZN7rocprim17ROCPRIM_400000_NS6detail17trampoline_kernelINS0_14default_configENS1_25partition_config_selectorILNS1_17partition_subalgoE1EjNS0_10empty_typeEbEEZZNS1_14partition_implILS5_1ELb0ES3_jN6thrust23THRUST_200600_302600_NS6detail15normal_iteratorINSA_10device_ptrIjEEEEPS6_NSA_18transform_iteratorI7is_evenIjESF_NSA_11use_defaultESK_EENS0_5tupleIJSF_NSA_16discard_iteratorISK_EEEEENSM_IJSG_SG_EEES6_PlJS6_EEE10hipError_tPvRmT3_T4_T5_T6_T7_T9_mT8_P12ihipStream_tbDpT10_ENKUlT_T0_E_clISt17integral_constantIbLb0EES1B_EEDaS16_S17_EUlS16_E_NS1_11comp_targetILNS1_3genE4ELNS1_11target_archE910ELNS1_3gpuE8ELNS1_3repE0EEENS1_30default_config_static_selectorELNS0_4arch9wavefront6targetE1EEEvT1_
	.globl	_ZN7rocprim17ROCPRIM_400000_NS6detail17trampoline_kernelINS0_14default_configENS1_25partition_config_selectorILNS1_17partition_subalgoE1EjNS0_10empty_typeEbEEZZNS1_14partition_implILS5_1ELb0ES3_jN6thrust23THRUST_200600_302600_NS6detail15normal_iteratorINSA_10device_ptrIjEEEEPS6_NSA_18transform_iteratorI7is_evenIjESF_NSA_11use_defaultESK_EENS0_5tupleIJSF_NSA_16discard_iteratorISK_EEEEENSM_IJSG_SG_EEES6_PlJS6_EEE10hipError_tPvRmT3_T4_T5_T6_T7_T9_mT8_P12ihipStream_tbDpT10_ENKUlT_T0_E_clISt17integral_constantIbLb0EES1B_EEDaS16_S17_EUlS16_E_NS1_11comp_targetILNS1_3genE4ELNS1_11target_archE910ELNS1_3gpuE8ELNS1_3repE0EEENS1_30default_config_static_selectorELNS0_4arch9wavefront6targetE1EEEvT1_
	.p2align	8
	.type	_ZN7rocprim17ROCPRIM_400000_NS6detail17trampoline_kernelINS0_14default_configENS1_25partition_config_selectorILNS1_17partition_subalgoE1EjNS0_10empty_typeEbEEZZNS1_14partition_implILS5_1ELb0ES3_jN6thrust23THRUST_200600_302600_NS6detail15normal_iteratorINSA_10device_ptrIjEEEEPS6_NSA_18transform_iteratorI7is_evenIjESF_NSA_11use_defaultESK_EENS0_5tupleIJSF_NSA_16discard_iteratorISK_EEEEENSM_IJSG_SG_EEES6_PlJS6_EEE10hipError_tPvRmT3_T4_T5_T6_T7_T9_mT8_P12ihipStream_tbDpT10_ENKUlT_T0_E_clISt17integral_constantIbLb0EES1B_EEDaS16_S17_EUlS16_E_NS1_11comp_targetILNS1_3genE4ELNS1_11target_archE910ELNS1_3gpuE8ELNS1_3repE0EEENS1_30default_config_static_selectorELNS0_4arch9wavefront6targetE1EEEvT1_,@function
_ZN7rocprim17ROCPRIM_400000_NS6detail17trampoline_kernelINS0_14default_configENS1_25partition_config_selectorILNS1_17partition_subalgoE1EjNS0_10empty_typeEbEEZZNS1_14partition_implILS5_1ELb0ES3_jN6thrust23THRUST_200600_302600_NS6detail15normal_iteratorINSA_10device_ptrIjEEEEPS6_NSA_18transform_iteratorI7is_evenIjESF_NSA_11use_defaultESK_EENS0_5tupleIJSF_NSA_16discard_iteratorISK_EEEEENSM_IJSG_SG_EEES6_PlJS6_EEE10hipError_tPvRmT3_T4_T5_T6_T7_T9_mT8_P12ihipStream_tbDpT10_ENKUlT_T0_E_clISt17integral_constantIbLb0EES1B_EEDaS16_S17_EUlS16_E_NS1_11comp_targetILNS1_3genE4ELNS1_11target_archE910ELNS1_3gpuE8ELNS1_3repE0EEENS1_30default_config_static_selectorELNS0_4arch9wavefront6targetE1EEEvT1_: ; @_ZN7rocprim17ROCPRIM_400000_NS6detail17trampoline_kernelINS0_14default_configENS1_25partition_config_selectorILNS1_17partition_subalgoE1EjNS0_10empty_typeEbEEZZNS1_14partition_implILS5_1ELb0ES3_jN6thrust23THRUST_200600_302600_NS6detail15normal_iteratorINSA_10device_ptrIjEEEEPS6_NSA_18transform_iteratorI7is_evenIjESF_NSA_11use_defaultESK_EENS0_5tupleIJSF_NSA_16discard_iteratorISK_EEEEENSM_IJSG_SG_EEES6_PlJS6_EEE10hipError_tPvRmT3_T4_T5_T6_T7_T9_mT8_P12ihipStream_tbDpT10_ENKUlT_T0_E_clISt17integral_constantIbLb0EES1B_EEDaS16_S17_EUlS16_E_NS1_11comp_targetILNS1_3genE4ELNS1_11target_archE910ELNS1_3gpuE8ELNS1_3repE0EEENS1_30default_config_static_selectorELNS0_4arch9wavefront6targetE1EEEvT1_
; %bb.0:
	.section	.rodata,"a",@progbits
	.p2align	6, 0x0
	.amdhsa_kernel _ZN7rocprim17ROCPRIM_400000_NS6detail17trampoline_kernelINS0_14default_configENS1_25partition_config_selectorILNS1_17partition_subalgoE1EjNS0_10empty_typeEbEEZZNS1_14partition_implILS5_1ELb0ES3_jN6thrust23THRUST_200600_302600_NS6detail15normal_iteratorINSA_10device_ptrIjEEEEPS6_NSA_18transform_iteratorI7is_evenIjESF_NSA_11use_defaultESK_EENS0_5tupleIJSF_NSA_16discard_iteratorISK_EEEEENSM_IJSG_SG_EEES6_PlJS6_EEE10hipError_tPvRmT3_T4_T5_T6_T7_T9_mT8_P12ihipStream_tbDpT10_ENKUlT_T0_E_clISt17integral_constantIbLb0EES1B_EEDaS16_S17_EUlS16_E_NS1_11comp_targetILNS1_3genE4ELNS1_11target_archE910ELNS1_3gpuE8ELNS1_3repE0EEENS1_30default_config_static_selectorELNS0_4arch9wavefront6targetE1EEEvT1_
		.amdhsa_group_segment_fixed_size 0
		.amdhsa_private_segment_fixed_size 0
		.amdhsa_kernarg_size 136
		.amdhsa_user_sgpr_count 2
		.amdhsa_user_sgpr_dispatch_ptr 0
		.amdhsa_user_sgpr_queue_ptr 0
		.amdhsa_user_sgpr_kernarg_segment_ptr 1
		.amdhsa_user_sgpr_dispatch_id 0
		.amdhsa_user_sgpr_kernarg_preload_length 0
		.amdhsa_user_sgpr_kernarg_preload_offset 0
		.amdhsa_user_sgpr_private_segment_size 0
		.amdhsa_uses_dynamic_stack 0
		.amdhsa_enable_private_segment 0
		.amdhsa_system_sgpr_workgroup_id_x 1
		.amdhsa_system_sgpr_workgroup_id_y 0
		.amdhsa_system_sgpr_workgroup_id_z 0
		.amdhsa_system_sgpr_workgroup_info 0
		.amdhsa_system_vgpr_workitem_id 0
		.amdhsa_next_free_vgpr 1
		.amdhsa_next_free_sgpr 0
		.amdhsa_accum_offset 4
		.amdhsa_reserve_vcc 0
		.amdhsa_float_round_mode_32 0
		.amdhsa_float_round_mode_16_64 0
		.amdhsa_float_denorm_mode_32 3
		.amdhsa_float_denorm_mode_16_64 3
		.amdhsa_dx10_clamp 1
		.amdhsa_ieee_mode 1
		.amdhsa_fp16_overflow 0
		.amdhsa_tg_split 0
		.amdhsa_exception_fp_ieee_invalid_op 0
		.amdhsa_exception_fp_denorm_src 0
		.amdhsa_exception_fp_ieee_div_zero 0
		.amdhsa_exception_fp_ieee_overflow 0
		.amdhsa_exception_fp_ieee_underflow 0
		.amdhsa_exception_fp_ieee_inexact 0
		.amdhsa_exception_int_div_zero 0
	.end_amdhsa_kernel
	.section	.text._ZN7rocprim17ROCPRIM_400000_NS6detail17trampoline_kernelINS0_14default_configENS1_25partition_config_selectorILNS1_17partition_subalgoE1EjNS0_10empty_typeEbEEZZNS1_14partition_implILS5_1ELb0ES3_jN6thrust23THRUST_200600_302600_NS6detail15normal_iteratorINSA_10device_ptrIjEEEEPS6_NSA_18transform_iteratorI7is_evenIjESF_NSA_11use_defaultESK_EENS0_5tupleIJSF_NSA_16discard_iteratorISK_EEEEENSM_IJSG_SG_EEES6_PlJS6_EEE10hipError_tPvRmT3_T4_T5_T6_T7_T9_mT8_P12ihipStream_tbDpT10_ENKUlT_T0_E_clISt17integral_constantIbLb0EES1B_EEDaS16_S17_EUlS16_E_NS1_11comp_targetILNS1_3genE4ELNS1_11target_archE910ELNS1_3gpuE8ELNS1_3repE0EEENS1_30default_config_static_selectorELNS0_4arch9wavefront6targetE1EEEvT1_,"axG",@progbits,_ZN7rocprim17ROCPRIM_400000_NS6detail17trampoline_kernelINS0_14default_configENS1_25partition_config_selectorILNS1_17partition_subalgoE1EjNS0_10empty_typeEbEEZZNS1_14partition_implILS5_1ELb0ES3_jN6thrust23THRUST_200600_302600_NS6detail15normal_iteratorINSA_10device_ptrIjEEEEPS6_NSA_18transform_iteratorI7is_evenIjESF_NSA_11use_defaultESK_EENS0_5tupleIJSF_NSA_16discard_iteratorISK_EEEEENSM_IJSG_SG_EEES6_PlJS6_EEE10hipError_tPvRmT3_T4_T5_T6_T7_T9_mT8_P12ihipStream_tbDpT10_ENKUlT_T0_E_clISt17integral_constantIbLb0EES1B_EEDaS16_S17_EUlS16_E_NS1_11comp_targetILNS1_3genE4ELNS1_11target_archE910ELNS1_3gpuE8ELNS1_3repE0EEENS1_30default_config_static_selectorELNS0_4arch9wavefront6targetE1EEEvT1_,comdat
.Lfunc_end3005:
	.size	_ZN7rocprim17ROCPRIM_400000_NS6detail17trampoline_kernelINS0_14default_configENS1_25partition_config_selectorILNS1_17partition_subalgoE1EjNS0_10empty_typeEbEEZZNS1_14partition_implILS5_1ELb0ES3_jN6thrust23THRUST_200600_302600_NS6detail15normal_iteratorINSA_10device_ptrIjEEEEPS6_NSA_18transform_iteratorI7is_evenIjESF_NSA_11use_defaultESK_EENS0_5tupleIJSF_NSA_16discard_iteratorISK_EEEEENSM_IJSG_SG_EEES6_PlJS6_EEE10hipError_tPvRmT3_T4_T5_T6_T7_T9_mT8_P12ihipStream_tbDpT10_ENKUlT_T0_E_clISt17integral_constantIbLb0EES1B_EEDaS16_S17_EUlS16_E_NS1_11comp_targetILNS1_3genE4ELNS1_11target_archE910ELNS1_3gpuE8ELNS1_3repE0EEENS1_30default_config_static_selectorELNS0_4arch9wavefront6targetE1EEEvT1_, .Lfunc_end3005-_ZN7rocprim17ROCPRIM_400000_NS6detail17trampoline_kernelINS0_14default_configENS1_25partition_config_selectorILNS1_17partition_subalgoE1EjNS0_10empty_typeEbEEZZNS1_14partition_implILS5_1ELb0ES3_jN6thrust23THRUST_200600_302600_NS6detail15normal_iteratorINSA_10device_ptrIjEEEEPS6_NSA_18transform_iteratorI7is_evenIjESF_NSA_11use_defaultESK_EENS0_5tupleIJSF_NSA_16discard_iteratorISK_EEEEENSM_IJSG_SG_EEES6_PlJS6_EEE10hipError_tPvRmT3_T4_T5_T6_T7_T9_mT8_P12ihipStream_tbDpT10_ENKUlT_T0_E_clISt17integral_constantIbLb0EES1B_EEDaS16_S17_EUlS16_E_NS1_11comp_targetILNS1_3genE4ELNS1_11target_archE910ELNS1_3gpuE8ELNS1_3repE0EEENS1_30default_config_static_selectorELNS0_4arch9wavefront6targetE1EEEvT1_
                                        ; -- End function
	.section	.AMDGPU.csdata,"",@progbits
; Kernel info:
; codeLenInByte = 0
; NumSgprs: 6
; NumVgprs: 0
; NumAgprs: 0
; TotalNumVgprs: 0
; ScratchSize: 0
; MemoryBound: 0
; FloatMode: 240
; IeeeMode: 1
; LDSByteSize: 0 bytes/workgroup (compile time only)
; SGPRBlocks: 0
; VGPRBlocks: 0
; NumSGPRsForWavesPerEU: 6
; NumVGPRsForWavesPerEU: 1
; AccumOffset: 4
; Occupancy: 8
; WaveLimiterHint : 0
; COMPUTE_PGM_RSRC2:SCRATCH_EN: 0
; COMPUTE_PGM_RSRC2:USER_SGPR: 2
; COMPUTE_PGM_RSRC2:TRAP_HANDLER: 0
; COMPUTE_PGM_RSRC2:TGID_X_EN: 1
; COMPUTE_PGM_RSRC2:TGID_Y_EN: 0
; COMPUTE_PGM_RSRC2:TGID_Z_EN: 0
; COMPUTE_PGM_RSRC2:TIDIG_COMP_CNT: 0
; COMPUTE_PGM_RSRC3_GFX90A:ACCUM_OFFSET: 0
; COMPUTE_PGM_RSRC3_GFX90A:TG_SPLIT: 0
	.section	.text._ZN7rocprim17ROCPRIM_400000_NS6detail17trampoline_kernelINS0_14default_configENS1_25partition_config_selectorILNS1_17partition_subalgoE1EjNS0_10empty_typeEbEEZZNS1_14partition_implILS5_1ELb0ES3_jN6thrust23THRUST_200600_302600_NS6detail15normal_iteratorINSA_10device_ptrIjEEEEPS6_NSA_18transform_iteratorI7is_evenIjESF_NSA_11use_defaultESK_EENS0_5tupleIJSF_NSA_16discard_iteratorISK_EEEEENSM_IJSG_SG_EEES6_PlJS6_EEE10hipError_tPvRmT3_T4_T5_T6_T7_T9_mT8_P12ihipStream_tbDpT10_ENKUlT_T0_E_clISt17integral_constantIbLb0EES1B_EEDaS16_S17_EUlS16_E_NS1_11comp_targetILNS1_3genE3ELNS1_11target_archE908ELNS1_3gpuE7ELNS1_3repE0EEENS1_30default_config_static_selectorELNS0_4arch9wavefront6targetE1EEEvT1_,"axG",@progbits,_ZN7rocprim17ROCPRIM_400000_NS6detail17trampoline_kernelINS0_14default_configENS1_25partition_config_selectorILNS1_17partition_subalgoE1EjNS0_10empty_typeEbEEZZNS1_14partition_implILS5_1ELb0ES3_jN6thrust23THRUST_200600_302600_NS6detail15normal_iteratorINSA_10device_ptrIjEEEEPS6_NSA_18transform_iteratorI7is_evenIjESF_NSA_11use_defaultESK_EENS0_5tupleIJSF_NSA_16discard_iteratorISK_EEEEENSM_IJSG_SG_EEES6_PlJS6_EEE10hipError_tPvRmT3_T4_T5_T6_T7_T9_mT8_P12ihipStream_tbDpT10_ENKUlT_T0_E_clISt17integral_constantIbLb0EES1B_EEDaS16_S17_EUlS16_E_NS1_11comp_targetILNS1_3genE3ELNS1_11target_archE908ELNS1_3gpuE7ELNS1_3repE0EEENS1_30default_config_static_selectorELNS0_4arch9wavefront6targetE1EEEvT1_,comdat
	.protected	_ZN7rocprim17ROCPRIM_400000_NS6detail17trampoline_kernelINS0_14default_configENS1_25partition_config_selectorILNS1_17partition_subalgoE1EjNS0_10empty_typeEbEEZZNS1_14partition_implILS5_1ELb0ES3_jN6thrust23THRUST_200600_302600_NS6detail15normal_iteratorINSA_10device_ptrIjEEEEPS6_NSA_18transform_iteratorI7is_evenIjESF_NSA_11use_defaultESK_EENS0_5tupleIJSF_NSA_16discard_iteratorISK_EEEEENSM_IJSG_SG_EEES6_PlJS6_EEE10hipError_tPvRmT3_T4_T5_T6_T7_T9_mT8_P12ihipStream_tbDpT10_ENKUlT_T0_E_clISt17integral_constantIbLb0EES1B_EEDaS16_S17_EUlS16_E_NS1_11comp_targetILNS1_3genE3ELNS1_11target_archE908ELNS1_3gpuE7ELNS1_3repE0EEENS1_30default_config_static_selectorELNS0_4arch9wavefront6targetE1EEEvT1_ ; -- Begin function _ZN7rocprim17ROCPRIM_400000_NS6detail17trampoline_kernelINS0_14default_configENS1_25partition_config_selectorILNS1_17partition_subalgoE1EjNS0_10empty_typeEbEEZZNS1_14partition_implILS5_1ELb0ES3_jN6thrust23THRUST_200600_302600_NS6detail15normal_iteratorINSA_10device_ptrIjEEEEPS6_NSA_18transform_iteratorI7is_evenIjESF_NSA_11use_defaultESK_EENS0_5tupleIJSF_NSA_16discard_iteratorISK_EEEEENSM_IJSG_SG_EEES6_PlJS6_EEE10hipError_tPvRmT3_T4_T5_T6_T7_T9_mT8_P12ihipStream_tbDpT10_ENKUlT_T0_E_clISt17integral_constantIbLb0EES1B_EEDaS16_S17_EUlS16_E_NS1_11comp_targetILNS1_3genE3ELNS1_11target_archE908ELNS1_3gpuE7ELNS1_3repE0EEENS1_30default_config_static_selectorELNS0_4arch9wavefront6targetE1EEEvT1_
	.globl	_ZN7rocprim17ROCPRIM_400000_NS6detail17trampoline_kernelINS0_14default_configENS1_25partition_config_selectorILNS1_17partition_subalgoE1EjNS0_10empty_typeEbEEZZNS1_14partition_implILS5_1ELb0ES3_jN6thrust23THRUST_200600_302600_NS6detail15normal_iteratorINSA_10device_ptrIjEEEEPS6_NSA_18transform_iteratorI7is_evenIjESF_NSA_11use_defaultESK_EENS0_5tupleIJSF_NSA_16discard_iteratorISK_EEEEENSM_IJSG_SG_EEES6_PlJS6_EEE10hipError_tPvRmT3_T4_T5_T6_T7_T9_mT8_P12ihipStream_tbDpT10_ENKUlT_T0_E_clISt17integral_constantIbLb0EES1B_EEDaS16_S17_EUlS16_E_NS1_11comp_targetILNS1_3genE3ELNS1_11target_archE908ELNS1_3gpuE7ELNS1_3repE0EEENS1_30default_config_static_selectorELNS0_4arch9wavefront6targetE1EEEvT1_
	.p2align	8
	.type	_ZN7rocprim17ROCPRIM_400000_NS6detail17trampoline_kernelINS0_14default_configENS1_25partition_config_selectorILNS1_17partition_subalgoE1EjNS0_10empty_typeEbEEZZNS1_14partition_implILS5_1ELb0ES3_jN6thrust23THRUST_200600_302600_NS6detail15normal_iteratorINSA_10device_ptrIjEEEEPS6_NSA_18transform_iteratorI7is_evenIjESF_NSA_11use_defaultESK_EENS0_5tupleIJSF_NSA_16discard_iteratorISK_EEEEENSM_IJSG_SG_EEES6_PlJS6_EEE10hipError_tPvRmT3_T4_T5_T6_T7_T9_mT8_P12ihipStream_tbDpT10_ENKUlT_T0_E_clISt17integral_constantIbLb0EES1B_EEDaS16_S17_EUlS16_E_NS1_11comp_targetILNS1_3genE3ELNS1_11target_archE908ELNS1_3gpuE7ELNS1_3repE0EEENS1_30default_config_static_selectorELNS0_4arch9wavefront6targetE1EEEvT1_,@function
_ZN7rocprim17ROCPRIM_400000_NS6detail17trampoline_kernelINS0_14default_configENS1_25partition_config_selectorILNS1_17partition_subalgoE1EjNS0_10empty_typeEbEEZZNS1_14partition_implILS5_1ELb0ES3_jN6thrust23THRUST_200600_302600_NS6detail15normal_iteratorINSA_10device_ptrIjEEEEPS6_NSA_18transform_iteratorI7is_evenIjESF_NSA_11use_defaultESK_EENS0_5tupleIJSF_NSA_16discard_iteratorISK_EEEEENSM_IJSG_SG_EEES6_PlJS6_EEE10hipError_tPvRmT3_T4_T5_T6_T7_T9_mT8_P12ihipStream_tbDpT10_ENKUlT_T0_E_clISt17integral_constantIbLb0EES1B_EEDaS16_S17_EUlS16_E_NS1_11comp_targetILNS1_3genE3ELNS1_11target_archE908ELNS1_3gpuE7ELNS1_3repE0EEENS1_30default_config_static_selectorELNS0_4arch9wavefront6targetE1EEEvT1_: ; @_ZN7rocprim17ROCPRIM_400000_NS6detail17trampoline_kernelINS0_14default_configENS1_25partition_config_selectorILNS1_17partition_subalgoE1EjNS0_10empty_typeEbEEZZNS1_14partition_implILS5_1ELb0ES3_jN6thrust23THRUST_200600_302600_NS6detail15normal_iteratorINSA_10device_ptrIjEEEEPS6_NSA_18transform_iteratorI7is_evenIjESF_NSA_11use_defaultESK_EENS0_5tupleIJSF_NSA_16discard_iteratorISK_EEEEENSM_IJSG_SG_EEES6_PlJS6_EEE10hipError_tPvRmT3_T4_T5_T6_T7_T9_mT8_P12ihipStream_tbDpT10_ENKUlT_T0_E_clISt17integral_constantIbLb0EES1B_EEDaS16_S17_EUlS16_E_NS1_11comp_targetILNS1_3genE3ELNS1_11target_archE908ELNS1_3gpuE7ELNS1_3repE0EEENS1_30default_config_static_selectorELNS0_4arch9wavefront6targetE1EEEvT1_
; %bb.0:
	.section	.rodata,"a",@progbits
	.p2align	6, 0x0
	.amdhsa_kernel _ZN7rocprim17ROCPRIM_400000_NS6detail17trampoline_kernelINS0_14default_configENS1_25partition_config_selectorILNS1_17partition_subalgoE1EjNS0_10empty_typeEbEEZZNS1_14partition_implILS5_1ELb0ES3_jN6thrust23THRUST_200600_302600_NS6detail15normal_iteratorINSA_10device_ptrIjEEEEPS6_NSA_18transform_iteratorI7is_evenIjESF_NSA_11use_defaultESK_EENS0_5tupleIJSF_NSA_16discard_iteratorISK_EEEEENSM_IJSG_SG_EEES6_PlJS6_EEE10hipError_tPvRmT3_T4_T5_T6_T7_T9_mT8_P12ihipStream_tbDpT10_ENKUlT_T0_E_clISt17integral_constantIbLb0EES1B_EEDaS16_S17_EUlS16_E_NS1_11comp_targetILNS1_3genE3ELNS1_11target_archE908ELNS1_3gpuE7ELNS1_3repE0EEENS1_30default_config_static_selectorELNS0_4arch9wavefront6targetE1EEEvT1_
		.amdhsa_group_segment_fixed_size 0
		.amdhsa_private_segment_fixed_size 0
		.amdhsa_kernarg_size 136
		.amdhsa_user_sgpr_count 2
		.amdhsa_user_sgpr_dispatch_ptr 0
		.amdhsa_user_sgpr_queue_ptr 0
		.amdhsa_user_sgpr_kernarg_segment_ptr 1
		.amdhsa_user_sgpr_dispatch_id 0
		.amdhsa_user_sgpr_kernarg_preload_length 0
		.amdhsa_user_sgpr_kernarg_preload_offset 0
		.amdhsa_user_sgpr_private_segment_size 0
		.amdhsa_uses_dynamic_stack 0
		.amdhsa_enable_private_segment 0
		.amdhsa_system_sgpr_workgroup_id_x 1
		.amdhsa_system_sgpr_workgroup_id_y 0
		.amdhsa_system_sgpr_workgroup_id_z 0
		.amdhsa_system_sgpr_workgroup_info 0
		.amdhsa_system_vgpr_workitem_id 0
		.amdhsa_next_free_vgpr 1
		.amdhsa_next_free_sgpr 0
		.amdhsa_accum_offset 4
		.amdhsa_reserve_vcc 0
		.amdhsa_float_round_mode_32 0
		.amdhsa_float_round_mode_16_64 0
		.amdhsa_float_denorm_mode_32 3
		.amdhsa_float_denorm_mode_16_64 3
		.amdhsa_dx10_clamp 1
		.amdhsa_ieee_mode 1
		.amdhsa_fp16_overflow 0
		.amdhsa_tg_split 0
		.amdhsa_exception_fp_ieee_invalid_op 0
		.amdhsa_exception_fp_denorm_src 0
		.amdhsa_exception_fp_ieee_div_zero 0
		.amdhsa_exception_fp_ieee_overflow 0
		.amdhsa_exception_fp_ieee_underflow 0
		.amdhsa_exception_fp_ieee_inexact 0
		.amdhsa_exception_int_div_zero 0
	.end_amdhsa_kernel
	.section	.text._ZN7rocprim17ROCPRIM_400000_NS6detail17trampoline_kernelINS0_14default_configENS1_25partition_config_selectorILNS1_17partition_subalgoE1EjNS0_10empty_typeEbEEZZNS1_14partition_implILS5_1ELb0ES3_jN6thrust23THRUST_200600_302600_NS6detail15normal_iteratorINSA_10device_ptrIjEEEEPS6_NSA_18transform_iteratorI7is_evenIjESF_NSA_11use_defaultESK_EENS0_5tupleIJSF_NSA_16discard_iteratorISK_EEEEENSM_IJSG_SG_EEES6_PlJS6_EEE10hipError_tPvRmT3_T4_T5_T6_T7_T9_mT8_P12ihipStream_tbDpT10_ENKUlT_T0_E_clISt17integral_constantIbLb0EES1B_EEDaS16_S17_EUlS16_E_NS1_11comp_targetILNS1_3genE3ELNS1_11target_archE908ELNS1_3gpuE7ELNS1_3repE0EEENS1_30default_config_static_selectorELNS0_4arch9wavefront6targetE1EEEvT1_,"axG",@progbits,_ZN7rocprim17ROCPRIM_400000_NS6detail17trampoline_kernelINS0_14default_configENS1_25partition_config_selectorILNS1_17partition_subalgoE1EjNS0_10empty_typeEbEEZZNS1_14partition_implILS5_1ELb0ES3_jN6thrust23THRUST_200600_302600_NS6detail15normal_iteratorINSA_10device_ptrIjEEEEPS6_NSA_18transform_iteratorI7is_evenIjESF_NSA_11use_defaultESK_EENS0_5tupleIJSF_NSA_16discard_iteratorISK_EEEEENSM_IJSG_SG_EEES6_PlJS6_EEE10hipError_tPvRmT3_T4_T5_T6_T7_T9_mT8_P12ihipStream_tbDpT10_ENKUlT_T0_E_clISt17integral_constantIbLb0EES1B_EEDaS16_S17_EUlS16_E_NS1_11comp_targetILNS1_3genE3ELNS1_11target_archE908ELNS1_3gpuE7ELNS1_3repE0EEENS1_30default_config_static_selectorELNS0_4arch9wavefront6targetE1EEEvT1_,comdat
.Lfunc_end3006:
	.size	_ZN7rocprim17ROCPRIM_400000_NS6detail17trampoline_kernelINS0_14default_configENS1_25partition_config_selectorILNS1_17partition_subalgoE1EjNS0_10empty_typeEbEEZZNS1_14partition_implILS5_1ELb0ES3_jN6thrust23THRUST_200600_302600_NS6detail15normal_iteratorINSA_10device_ptrIjEEEEPS6_NSA_18transform_iteratorI7is_evenIjESF_NSA_11use_defaultESK_EENS0_5tupleIJSF_NSA_16discard_iteratorISK_EEEEENSM_IJSG_SG_EEES6_PlJS6_EEE10hipError_tPvRmT3_T4_T5_T6_T7_T9_mT8_P12ihipStream_tbDpT10_ENKUlT_T0_E_clISt17integral_constantIbLb0EES1B_EEDaS16_S17_EUlS16_E_NS1_11comp_targetILNS1_3genE3ELNS1_11target_archE908ELNS1_3gpuE7ELNS1_3repE0EEENS1_30default_config_static_selectorELNS0_4arch9wavefront6targetE1EEEvT1_, .Lfunc_end3006-_ZN7rocprim17ROCPRIM_400000_NS6detail17trampoline_kernelINS0_14default_configENS1_25partition_config_selectorILNS1_17partition_subalgoE1EjNS0_10empty_typeEbEEZZNS1_14partition_implILS5_1ELb0ES3_jN6thrust23THRUST_200600_302600_NS6detail15normal_iteratorINSA_10device_ptrIjEEEEPS6_NSA_18transform_iteratorI7is_evenIjESF_NSA_11use_defaultESK_EENS0_5tupleIJSF_NSA_16discard_iteratorISK_EEEEENSM_IJSG_SG_EEES6_PlJS6_EEE10hipError_tPvRmT3_T4_T5_T6_T7_T9_mT8_P12ihipStream_tbDpT10_ENKUlT_T0_E_clISt17integral_constantIbLb0EES1B_EEDaS16_S17_EUlS16_E_NS1_11comp_targetILNS1_3genE3ELNS1_11target_archE908ELNS1_3gpuE7ELNS1_3repE0EEENS1_30default_config_static_selectorELNS0_4arch9wavefront6targetE1EEEvT1_
                                        ; -- End function
	.section	.AMDGPU.csdata,"",@progbits
; Kernel info:
; codeLenInByte = 0
; NumSgprs: 6
; NumVgprs: 0
; NumAgprs: 0
; TotalNumVgprs: 0
; ScratchSize: 0
; MemoryBound: 0
; FloatMode: 240
; IeeeMode: 1
; LDSByteSize: 0 bytes/workgroup (compile time only)
; SGPRBlocks: 0
; VGPRBlocks: 0
; NumSGPRsForWavesPerEU: 6
; NumVGPRsForWavesPerEU: 1
; AccumOffset: 4
; Occupancy: 8
; WaveLimiterHint : 0
; COMPUTE_PGM_RSRC2:SCRATCH_EN: 0
; COMPUTE_PGM_RSRC2:USER_SGPR: 2
; COMPUTE_PGM_RSRC2:TRAP_HANDLER: 0
; COMPUTE_PGM_RSRC2:TGID_X_EN: 1
; COMPUTE_PGM_RSRC2:TGID_Y_EN: 0
; COMPUTE_PGM_RSRC2:TGID_Z_EN: 0
; COMPUTE_PGM_RSRC2:TIDIG_COMP_CNT: 0
; COMPUTE_PGM_RSRC3_GFX90A:ACCUM_OFFSET: 0
; COMPUTE_PGM_RSRC3_GFX90A:TG_SPLIT: 0
	.section	.text._ZN7rocprim17ROCPRIM_400000_NS6detail17trampoline_kernelINS0_14default_configENS1_25partition_config_selectorILNS1_17partition_subalgoE1EjNS0_10empty_typeEbEEZZNS1_14partition_implILS5_1ELb0ES3_jN6thrust23THRUST_200600_302600_NS6detail15normal_iteratorINSA_10device_ptrIjEEEEPS6_NSA_18transform_iteratorI7is_evenIjESF_NSA_11use_defaultESK_EENS0_5tupleIJSF_NSA_16discard_iteratorISK_EEEEENSM_IJSG_SG_EEES6_PlJS6_EEE10hipError_tPvRmT3_T4_T5_T6_T7_T9_mT8_P12ihipStream_tbDpT10_ENKUlT_T0_E_clISt17integral_constantIbLb0EES1B_EEDaS16_S17_EUlS16_E_NS1_11comp_targetILNS1_3genE2ELNS1_11target_archE906ELNS1_3gpuE6ELNS1_3repE0EEENS1_30default_config_static_selectorELNS0_4arch9wavefront6targetE1EEEvT1_,"axG",@progbits,_ZN7rocprim17ROCPRIM_400000_NS6detail17trampoline_kernelINS0_14default_configENS1_25partition_config_selectorILNS1_17partition_subalgoE1EjNS0_10empty_typeEbEEZZNS1_14partition_implILS5_1ELb0ES3_jN6thrust23THRUST_200600_302600_NS6detail15normal_iteratorINSA_10device_ptrIjEEEEPS6_NSA_18transform_iteratorI7is_evenIjESF_NSA_11use_defaultESK_EENS0_5tupleIJSF_NSA_16discard_iteratorISK_EEEEENSM_IJSG_SG_EEES6_PlJS6_EEE10hipError_tPvRmT3_T4_T5_T6_T7_T9_mT8_P12ihipStream_tbDpT10_ENKUlT_T0_E_clISt17integral_constantIbLb0EES1B_EEDaS16_S17_EUlS16_E_NS1_11comp_targetILNS1_3genE2ELNS1_11target_archE906ELNS1_3gpuE6ELNS1_3repE0EEENS1_30default_config_static_selectorELNS0_4arch9wavefront6targetE1EEEvT1_,comdat
	.protected	_ZN7rocprim17ROCPRIM_400000_NS6detail17trampoline_kernelINS0_14default_configENS1_25partition_config_selectorILNS1_17partition_subalgoE1EjNS0_10empty_typeEbEEZZNS1_14partition_implILS5_1ELb0ES3_jN6thrust23THRUST_200600_302600_NS6detail15normal_iteratorINSA_10device_ptrIjEEEEPS6_NSA_18transform_iteratorI7is_evenIjESF_NSA_11use_defaultESK_EENS0_5tupleIJSF_NSA_16discard_iteratorISK_EEEEENSM_IJSG_SG_EEES6_PlJS6_EEE10hipError_tPvRmT3_T4_T5_T6_T7_T9_mT8_P12ihipStream_tbDpT10_ENKUlT_T0_E_clISt17integral_constantIbLb0EES1B_EEDaS16_S17_EUlS16_E_NS1_11comp_targetILNS1_3genE2ELNS1_11target_archE906ELNS1_3gpuE6ELNS1_3repE0EEENS1_30default_config_static_selectorELNS0_4arch9wavefront6targetE1EEEvT1_ ; -- Begin function _ZN7rocprim17ROCPRIM_400000_NS6detail17trampoline_kernelINS0_14default_configENS1_25partition_config_selectorILNS1_17partition_subalgoE1EjNS0_10empty_typeEbEEZZNS1_14partition_implILS5_1ELb0ES3_jN6thrust23THRUST_200600_302600_NS6detail15normal_iteratorINSA_10device_ptrIjEEEEPS6_NSA_18transform_iteratorI7is_evenIjESF_NSA_11use_defaultESK_EENS0_5tupleIJSF_NSA_16discard_iteratorISK_EEEEENSM_IJSG_SG_EEES6_PlJS6_EEE10hipError_tPvRmT3_T4_T5_T6_T7_T9_mT8_P12ihipStream_tbDpT10_ENKUlT_T0_E_clISt17integral_constantIbLb0EES1B_EEDaS16_S17_EUlS16_E_NS1_11comp_targetILNS1_3genE2ELNS1_11target_archE906ELNS1_3gpuE6ELNS1_3repE0EEENS1_30default_config_static_selectorELNS0_4arch9wavefront6targetE1EEEvT1_
	.globl	_ZN7rocprim17ROCPRIM_400000_NS6detail17trampoline_kernelINS0_14default_configENS1_25partition_config_selectorILNS1_17partition_subalgoE1EjNS0_10empty_typeEbEEZZNS1_14partition_implILS5_1ELb0ES3_jN6thrust23THRUST_200600_302600_NS6detail15normal_iteratorINSA_10device_ptrIjEEEEPS6_NSA_18transform_iteratorI7is_evenIjESF_NSA_11use_defaultESK_EENS0_5tupleIJSF_NSA_16discard_iteratorISK_EEEEENSM_IJSG_SG_EEES6_PlJS6_EEE10hipError_tPvRmT3_T4_T5_T6_T7_T9_mT8_P12ihipStream_tbDpT10_ENKUlT_T0_E_clISt17integral_constantIbLb0EES1B_EEDaS16_S17_EUlS16_E_NS1_11comp_targetILNS1_3genE2ELNS1_11target_archE906ELNS1_3gpuE6ELNS1_3repE0EEENS1_30default_config_static_selectorELNS0_4arch9wavefront6targetE1EEEvT1_
	.p2align	8
	.type	_ZN7rocprim17ROCPRIM_400000_NS6detail17trampoline_kernelINS0_14default_configENS1_25partition_config_selectorILNS1_17partition_subalgoE1EjNS0_10empty_typeEbEEZZNS1_14partition_implILS5_1ELb0ES3_jN6thrust23THRUST_200600_302600_NS6detail15normal_iteratorINSA_10device_ptrIjEEEEPS6_NSA_18transform_iteratorI7is_evenIjESF_NSA_11use_defaultESK_EENS0_5tupleIJSF_NSA_16discard_iteratorISK_EEEEENSM_IJSG_SG_EEES6_PlJS6_EEE10hipError_tPvRmT3_T4_T5_T6_T7_T9_mT8_P12ihipStream_tbDpT10_ENKUlT_T0_E_clISt17integral_constantIbLb0EES1B_EEDaS16_S17_EUlS16_E_NS1_11comp_targetILNS1_3genE2ELNS1_11target_archE906ELNS1_3gpuE6ELNS1_3repE0EEENS1_30default_config_static_selectorELNS0_4arch9wavefront6targetE1EEEvT1_,@function
_ZN7rocprim17ROCPRIM_400000_NS6detail17trampoline_kernelINS0_14default_configENS1_25partition_config_selectorILNS1_17partition_subalgoE1EjNS0_10empty_typeEbEEZZNS1_14partition_implILS5_1ELb0ES3_jN6thrust23THRUST_200600_302600_NS6detail15normal_iteratorINSA_10device_ptrIjEEEEPS6_NSA_18transform_iteratorI7is_evenIjESF_NSA_11use_defaultESK_EENS0_5tupleIJSF_NSA_16discard_iteratorISK_EEEEENSM_IJSG_SG_EEES6_PlJS6_EEE10hipError_tPvRmT3_T4_T5_T6_T7_T9_mT8_P12ihipStream_tbDpT10_ENKUlT_T0_E_clISt17integral_constantIbLb0EES1B_EEDaS16_S17_EUlS16_E_NS1_11comp_targetILNS1_3genE2ELNS1_11target_archE906ELNS1_3gpuE6ELNS1_3repE0EEENS1_30default_config_static_selectorELNS0_4arch9wavefront6targetE1EEEvT1_: ; @_ZN7rocprim17ROCPRIM_400000_NS6detail17trampoline_kernelINS0_14default_configENS1_25partition_config_selectorILNS1_17partition_subalgoE1EjNS0_10empty_typeEbEEZZNS1_14partition_implILS5_1ELb0ES3_jN6thrust23THRUST_200600_302600_NS6detail15normal_iteratorINSA_10device_ptrIjEEEEPS6_NSA_18transform_iteratorI7is_evenIjESF_NSA_11use_defaultESK_EENS0_5tupleIJSF_NSA_16discard_iteratorISK_EEEEENSM_IJSG_SG_EEES6_PlJS6_EEE10hipError_tPvRmT3_T4_T5_T6_T7_T9_mT8_P12ihipStream_tbDpT10_ENKUlT_T0_E_clISt17integral_constantIbLb0EES1B_EEDaS16_S17_EUlS16_E_NS1_11comp_targetILNS1_3genE2ELNS1_11target_archE906ELNS1_3gpuE6ELNS1_3repE0EEENS1_30default_config_static_selectorELNS0_4arch9wavefront6targetE1EEEvT1_
; %bb.0:
	.section	.rodata,"a",@progbits
	.p2align	6, 0x0
	.amdhsa_kernel _ZN7rocprim17ROCPRIM_400000_NS6detail17trampoline_kernelINS0_14default_configENS1_25partition_config_selectorILNS1_17partition_subalgoE1EjNS0_10empty_typeEbEEZZNS1_14partition_implILS5_1ELb0ES3_jN6thrust23THRUST_200600_302600_NS6detail15normal_iteratorINSA_10device_ptrIjEEEEPS6_NSA_18transform_iteratorI7is_evenIjESF_NSA_11use_defaultESK_EENS0_5tupleIJSF_NSA_16discard_iteratorISK_EEEEENSM_IJSG_SG_EEES6_PlJS6_EEE10hipError_tPvRmT3_T4_T5_T6_T7_T9_mT8_P12ihipStream_tbDpT10_ENKUlT_T0_E_clISt17integral_constantIbLb0EES1B_EEDaS16_S17_EUlS16_E_NS1_11comp_targetILNS1_3genE2ELNS1_11target_archE906ELNS1_3gpuE6ELNS1_3repE0EEENS1_30default_config_static_selectorELNS0_4arch9wavefront6targetE1EEEvT1_
		.amdhsa_group_segment_fixed_size 0
		.amdhsa_private_segment_fixed_size 0
		.amdhsa_kernarg_size 136
		.amdhsa_user_sgpr_count 2
		.amdhsa_user_sgpr_dispatch_ptr 0
		.amdhsa_user_sgpr_queue_ptr 0
		.amdhsa_user_sgpr_kernarg_segment_ptr 1
		.amdhsa_user_sgpr_dispatch_id 0
		.amdhsa_user_sgpr_kernarg_preload_length 0
		.amdhsa_user_sgpr_kernarg_preload_offset 0
		.amdhsa_user_sgpr_private_segment_size 0
		.amdhsa_uses_dynamic_stack 0
		.amdhsa_enable_private_segment 0
		.amdhsa_system_sgpr_workgroup_id_x 1
		.amdhsa_system_sgpr_workgroup_id_y 0
		.amdhsa_system_sgpr_workgroup_id_z 0
		.amdhsa_system_sgpr_workgroup_info 0
		.amdhsa_system_vgpr_workitem_id 0
		.amdhsa_next_free_vgpr 1
		.amdhsa_next_free_sgpr 0
		.amdhsa_accum_offset 4
		.amdhsa_reserve_vcc 0
		.amdhsa_float_round_mode_32 0
		.amdhsa_float_round_mode_16_64 0
		.amdhsa_float_denorm_mode_32 3
		.amdhsa_float_denorm_mode_16_64 3
		.amdhsa_dx10_clamp 1
		.amdhsa_ieee_mode 1
		.amdhsa_fp16_overflow 0
		.amdhsa_tg_split 0
		.amdhsa_exception_fp_ieee_invalid_op 0
		.amdhsa_exception_fp_denorm_src 0
		.amdhsa_exception_fp_ieee_div_zero 0
		.amdhsa_exception_fp_ieee_overflow 0
		.amdhsa_exception_fp_ieee_underflow 0
		.amdhsa_exception_fp_ieee_inexact 0
		.amdhsa_exception_int_div_zero 0
	.end_amdhsa_kernel
	.section	.text._ZN7rocprim17ROCPRIM_400000_NS6detail17trampoline_kernelINS0_14default_configENS1_25partition_config_selectorILNS1_17partition_subalgoE1EjNS0_10empty_typeEbEEZZNS1_14partition_implILS5_1ELb0ES3_jN6thrust23THRUST_200600_302600_NS6detail15normal_iteratorINSA_10device_ptrIjEEEEPS6_NSA_18transform_iteratorI7is_evenIjESF_NSA_11use_defaultESK_EENS0_5tupleIJSF_NSA_16discard_iteratorISK_EEEEENSM_IJSG_SG_EEES6_PlJS6_EEE10hipError_tPvRmT3_T4_T5_T6_T7_T9_mT8_P12ihipStream_tbDpT10_ENKUlT_T0_E_clISt17integral_constantIbLb0EES1B_EEDaS16_S17_EUlS16_E_NS1_11comp_targetILNS1_3genE2ELNS1_11target_archE906ELNS1_3gpuE6ELNS1_3repE0EEENS1_30default_config_static_selectorELNS0_4arch9wavefront6targetE1EEEvT1_,"axG",@progbits,_ZN7rocprim17ROCPRIM_400000_NS6detail17trampoline_kernelINS0_14default_configENS1_25partition_config_selectorILNS1_17partition_subalgoE1EjNS0_10empty_typeEbEEZZNS1_14partition_implILS5_1ELb0ES3_jN6thrust23THRUST_200600_302600_NS6detail15normal_iteratorINSA_10device_ptrIjEEEEPS6_NSA_18transform_iteratorI7is_evenIjESF_NSA_11use_defaultESK_EENS0_5tupleIJSF_NSA_16discard_iteratorISK_EEEEENSM_IJSG_SG_EEES6_PlJS6_EEE10hipError_tPvRmT3_T4_T5_T6_T7_T9_mT8_P12ihipStream_tbDpT10_ENKUlT_T0_E_clISt17integral_constantIbLb0EES1B_EEDaS16_S17_EUlS16_E_NS1_11comp_targetILNS1_3genE2ELNS1_11target_archE906ELNS1_3gpuE6ELNS1_3repE0EEENS1_30default_config_static_selectorELNS0_4arch9wavefront6targetE1EEEvT1_,comdat
.Lfunc_end3007:
	.size	_ZN7rocprim17ROCPRIM_400000_NS6detail17trampoline_kernelINS0_14default_configENS1_25partition_config_selectorILNS1_17partition_subalgoE1EjNS0_10empty_typeEbEEZZNS1_14partition_implILS5_1ELb0ES3_jN6thrust23THRUST_200600_302600_NS6detail15normal_iteratorINSA_10device_ptrIjEEEEPS6_NSA_18transform_iteratorI7is_evenIjESF_NSA_11use_defaultESK_EENS0_5tupleIJSF_NSA_16discard_iteratorISK_EEEEENSM_IJSG_SG_EEES6_PlJS6_EEE10hipError_tPvRmT3_T4_T5_T6_T7_T9_mT8_P12ihipStream_tbDpT10_ENKUlT_T0_E_clISt17integral_constantIbLb0EES1B_EEDaS16_S17_EUlS16_E_NS1_11comp_targetILNS1_3genE2ELNS1_11target_archE906ELNS1_3gpuE6ELNS1_3repE0EEENS1_30default_config_static_selectorELNS0_4arch9wavefront6targetE1EEEvT1_, .Lfunc_end3007-_ZN7rocprim17ROCPRIM_400000_NS6detail17trampoline_kernelINS0_14default_configENS1_25partition_config_selectorILNS1_17partition_subalgoE1EjNS0_10empty_typeEbEEZZNS1_14partition_implILS5_1ELb0ES3_jN6thrust23THRUST_200600_302600_NS6detail15normal_iteratorINSA_10device_ptrIjEEEEPS6_NSA_18transform_iteratorI7is_evenIjESF_NSA_11use_defaultESK_EENS0_5tupleIJSF_NSA_16discard_iteratorISK_EEEEENSM_IJSG_SG_EEES6_PlJS6_EEE10hipError_tPvRmT3_T4_T5_T6_T7_T9_mT8_P12ihipStream_tbDpT10_ENKUlT_T0_E_clISt17integral_constantIbLb0EES1B_EEDaS16_S17_EUlS16_E_NS1_11comp_targetILNS1_3genE2ELNS1_11target_archE906ELNS1_3gpuE6ELNS1_3repE0EEENS1_30default_config_static_selectorELNS0_4arch9wavefront6targetE1EEEvT1_
                                        ; -- End function
	.section	.AMDGPU.csdata,"",@progbits
; Kernel info:
; codeLenInByte = 0
; NumSgprs: 6
; NumVgprs: 0
; NumAgprs: 0
; TotalNumVgprs: 0
; ScratchSize: 0
; MemoryBound: 0
; FloatMode: 240
; IeeeMode: 1
; LDSByteSize: 0 bytes/workgroup (compile time only)
; SGPRBlocks: 0
; VGPRBlocks: 0
; NumSGPRsForWavesPerEU: 6
; NumVGPRsForWavesPerEU: 1
; AccumOffset: 4
; Occupancy: 8
; WaveLimiterHint : 0
; COMPUTE_PGM_RSRC2:SCRATCH_EN: 0
; COMPUTE_PGM_RSRC2:USER_SGPR: 2
; COMPUTE_PGM_RSRC2:TRAP_HANDLER: 0
; COMPUTE_PGM_RSRC2:TGID_X_EN: 1
; COMPUTE_PGM_RSRC2:TGID_Y_EN: 0
; COMPUTE_PGM_RSRC2:TGID_Z_EN: 0
; COMPUTE_PGM_RSRC2:TIDIG_COMP_CNT: 0
; COMPUTE_PGM_RSRC3_GFX90A:ACCUM_OFFSET: 0
; COMPUTE_PGM_RSRC3_GFX90A:TG_SPLIT: 0
	.section	.text._ZN7rocprim17ROCPRIM_400000_NS6detail17trampoline_kernelINS0_14default_configENS1_25partition_config_selectorILNS1_17partition_subalgoE1EjNS0_10empty_typeEbEEZZNS1_14partition_implILS5_1ELb0ES3_jN6thrust23THRUST_200600_302600_NS6detail15normal_iteratorINSA_10device_ptrIjEEEEPS6_NSA_18transform_iteratorI7is_evenIjESF_NSA_11use_defaultESK_EENS0_5tupleIJSF_NSA_16discard_iteratorISK_EEEEENSM_IJSG_SG_EEES6_PlJS6_EEE10hipError_tPvRmT3_T4_T5_T6_T7_T9_mT8_P12ihipStream_tbDpT10_ENKUlT_T0_E_clISt17integral_constantIbLb0EES1B_EEDaS16_S17_EUlS16_E_NS1_11comp_targetILNS1_3genE10ELNS1_11target_archE1200ELNS1_3gpuE4ELNS1_3repE0EEENS1_30default_config_static_selectorELNS0_4arch9wavefront6targetE1EEEvT1_,"axG",@progbits,_ZN7rocprim17ROCPRIM_400000_NS6detail17trampoline_kernelINS0_14default_configENS1_25partition_config_selectorILNS1_17partition_subalgoE1EjNS0_10empty_typeEbEEZZNS1_14partition_implILS5_1ELb0ES3_jN6thrust23THRUST_200600_302600_NS6detail15normal_iteratorINSA_10device_ptrIjEEEEPS6_NSA_18transform_iteratorI7is_evenIjESF_NSA_11use_defaultESK_EENS0_5tupleIJSF_NSA_16discard_iteratorISK_EEEEENSM_IJSG_SG_EEES6_PlJS6_EEE10hipError_tPvRmT3_T4_T5_T6_T7_T9_mT8_P12ihipStream_tbDpT10_ENKUlT_T0_E_clISt17integral_constantIbLb0EES1B_EEDaS16_S17_EUlS16_E_NS1_11comp_targetILNS1_3genE10ELNS1_11target_archE1200ELNS1_3gpuE4ELNS1_3repE0EEENS1_30default_config_static_selectorELNS0_4arch9wavefront6targetE1EEEvT1_,comdat
	.protected	_ZN7rocprim17ROCPRIM_400000_NS6detail17trampoline_kernelINS0_14default_configENS1_25partition_config_selectorILNS1_17partition_subalgoE1EjNS0_10empty_typeEbEEZZNS1_14partition_implILS5_1ELb0ES3_jN6thrust23THRUST_200600_302600_NS6detail15normal_iteratorINSA_10device_ptrIjEEEEPS6_NSA_18transform_iteratorI7is_evenIjESF_NSA_11use_defaultESK_EENS0_5tupleIJSF_NSA_16discard_iteratorISK_EEEEENSM_IJSG_SG_EEES6_PlJS6_EEE10hipError_tPvRmT3_T4_T5_T6_T7_T9_mT8_P12ihipStream_tbDpT10_ENKUlT_T0_E_clISt17integral_constantIbLb0EES1B_EEDaS16_S17_EUlS16_E_NS1_11comp_targetILNS1_3genE10ELNS1_11target_archE1200ELNS1_3gpuE4ELNS1_3repE0EEENS1_30default_config_static_selectorELNS0_4arch9wavefront6targetE1EEEvT1_ ; -- Begin function _ZN7rocprim17ROCPRIM_400000_NS6detail17trampoline_kernelINS0_14default_configENS1_25partition_config_selectorILNS1_17partition_subalgoE1EjNS0_10empty_typeEbEEZZNS1_14partition_implILS5_1ELb0ES3_jN6thrust23THRUST_200600_302600_NS6detail15normal_iteratorINSA_10device_ptrIjEEEEPS6_NSA_18transform_iteratorI7is_evenIjESF_NSA_11use_defaultESK_EENS0_5tupleIJSF_NSA_16discard_iteratorISK_EEEEENSM_IJSG_SG_EEES6_PlJS6_EEE10hipError_tPvRmT3_T4_T5_T6_T7_T9_mT8_P12ihipStream_tbDpT10_ENKUlT_T0_E_clISt17integral_constantIbLb0EES1B_EEDaS16_S17_EUlS16_E_NS1_11comp_targetILNS1_3genE10ELNS1_11target_archE1200ELNS1_3gpuE4ELNS1_3repE0EEENS1_30default_config_static_selectorELNS0_4arch9wavefront6targetE1EEEvT1_
	.globl	_ZN7rocprim17ROCPRIM_400000_NS6detail17trampoline_kernelINS0_14default_configENS1_25partition_config_selectorILNS1_17partition_subalgoE1EjNS0_10empty_typeEbEEZZNS1_14partition_implILS5_1ELb0ES3_jN6thrust23THRUST_200600_302600_NS6detail15normal_iteratorINSA_10device_ptrIjEEEEPS6_NSA_18transform_iteratorI7is_evenIjESF_NSA_11use_defaultESK_EENS0_5tupleIJSF_NSA_16discard_iteratorISK_EEEEENSM_IJSG_SG_EEES6_PlJS6_EEE10hipError_tPvRmT3_T4_T5_T6_T7_T9_mT8_P12ihipStream_tbDpT10_ENKUlT_T0_E_clISt17integral_constantIbLb0EES1B_EEDaS16_S17_EUlS16_E_NS1_11comp_targetILNS1_3genE10ELNS1_11target_archE1200ELNS1_3gpuE4ELNS1_3repE0EEENS1_30default_config_static_selectorELNS0_4arch9wavefront6targetE1EEEvT1_
	.p2align	8
	.type	_ZN7rocprim17ROCPRIM_400000_NS6detail17trampoline_kernelINS0_14default_configENS1_25partition_config_selectorILNS1_17partition_subalgoE1EjNS0_10empty_typeEbEEZZNS1_14partition_implILS5_1ELb0ES3_jN6thrust23THRUST_200600_302600_NS6detail15normal_iteratorINSA_10device_ptrIjEEEEPS6_NSA_18transform_iteratorI7is_evenIjESF_NSA_11use_defaultESK_EENS0_5tupleIJSF_NSA_16discard_iteratorISK_EEEEENSM_IJSG_SG_EEES6_PlJS6_EEE10hipError_tPvRmT3_T4_T5_T6_T7_T9_mT8_P12ihipStream_tbDpT10_ENKUlT_T0_E_clISt17integral_constantIbLb0EES1B_EEDaS16_S17_EUlS16_E_NS1_11comp_targetILNS1_3genE10ELNS1_11target_archE1200ELNS1_3gpuE4ELNS1_3repE0EEENS1_30default_config_static_selectorELNS0_4arch9wavefront6targetE1EEEvT1_,@function
_ZN7rocprim17ROCPRIM_400000_NS6detail17trampoline_kernelINS0_14default_configENS1_25partition_config_selectorILNS1_17partition_subalgoE1EjNS0_10empty_typeEbEEZZNS1_14partition_implILS5_1ELb0ES3_jN6thrust23THRUST_200600_302600_NS6detail15normal_iteratorINSA_10device_ptrIjEEEEPS6_NSA_18transform_iteratorI7is_evenIjESF_NSA_11use_defaultESK_EENS0_5tupleIJSF_NSA_16discard_iteratorISK_EEEEENSM_IJSG_SG_EEES6_PlJS6_EEE10hipError_tPvRmT3_T4_T5_T6_T7_T9_mT8_P12ihipStream_tbDpT10_ENKUlT_T0_E_clISt17integral_constantIbLb0EES1B_EEDaS16_S17_EUlS16_E_NS1_11comp_targetILNS1_3genE10ELNS1_11target_archE1200ELNS1_3gpuE4ELNS1_3repE0EEENS1_30default_config_static_selectorELNS0_4arch9wavefront6targetE1EEEvT1_: ; @_ZN7rocprim17ROCPRIM_400000_NS6detail17trampoline_kernelINS0_14default_configENS1_25partition_config_selectorILNS1_17partition_subalgoE1EjNS0_10empty_typeEbEEZZNS1_14partition_implILS5_1ELb0ES3_jN6thrust23THRUST_200600_302600_NS6detail15normal_iteratorINSA_10device_ptrIjEEEEPS6_NSA_18transform_iteratorI7is_evenIjESF_NSA_11use_defaultESK_EENS0_5tupleIJSF_NSA_16discard_iteratorISK_EEEEENSM_IJSG_SG_EEES6_PlJS6_EEE10hipError_tPvRmT3_T4_T5_T6_T7_T9_mT8_P12ihipStream_tbDpT10_ENKUlT_T0_E_clISt17integral_constantIbLb0EES1B_EEDaS16_S17_EUlS16_E_NS1_11comp_targetILNS1_3genE10ELNS1_11target_archE1200ELNS1_3gpuE4ELNS1_3repE0EEENS1_30default_config_static_selectorELNS0_4arch9wavefront6targetE1EEEvT1_
; %bb.0:
	.section	.rodata,"a",@progbits
	.p2align	6, 0x0
	.amdhsa_kernel _ZN7rocprim17ROCPRIM_400000_NS6detail17trampoline_kernelINS0_14default_configENS1_25partition_config_selectorILNS1_17partition_subalgoE1EjNS0_10empty_typeEbEEZZNS1_14partition_implILS5_1ELb0ES3_jN6thrust23THRUST_200600_302600_NS6detail15normal_iteratorINSA_10device_ptrIjEEEEPS6_NSA_18transform_iteratorI7is_evenIjESF_NSA_11use_defaultESK_EENS0_5tupleIJSF_NSA_16discard_iteratorISK_EEEEENSM_IJSG_SG_EEES6_PlJS6_EEE10hipError_tPvRmT3_T4_T5_T6_T7_T9_mT8_P12ihipStream_tbDpT10_ENKUlT_T0_E_clISt17integral_constantIbLb0EES1B_EEDaS16_S17_EUlS16_E_NS1_11comp_targetILNS1_3genE10ELNS1_11target_archE1200ELNS1_3gpuE4ELNS1_3repE0EEENS1_30default_config_static_selectorELNS0_4arch9wavefront6targetE1EEEvT1_
		.amdhsa_group_segment_fixed_size 0
		.amdhsa_private_segment_fixed_size 0
		.amdhsa_kernarg_size 136
		.amdhsa_user_sgpr_count 2
		.amdhsa_user_sgpr_dispatch_ptr 0
		.amdhsa_user_sgpr_queue_ptr 0
		.amdhsa_user_sgpr_kernarg_segment_ptr 1
		.amdhsa_user_sgpr_dispatch_id 0
		.amdhsa_user_sgpr_kernarg_preload_length 0
		.amdhsa_user_sgpr_kernarg_preload_offset 0
		.amdhsa_user_sgpr_private_segment_size 0
		.amdhsa_uses_dynamic_stack 0
		.amdhsa_enable_private_segment 0
		.amdhsa_system_sgpr_workgroup_id_x 1
		.amdhsa_system_sgpr_workgroup_id_y 0
		.amdhsa_system_sgpr_workgroup_id_z 0
		.amdhsa_system_sgpr_workgroup_info 0
		.amdhsa_system_vgpr_workitem_id 0
		.amdhsa_next_free_vgpr 1
		.amdhsa_next_free_sgpr 0
		.amdhsa_accum_offset 4
		.amdhsa_reserve_vcc 0
		.amdhsa_float_round_mode_32 0
		.amdhsa_float_round_mode_16_64 0
		.amdhsa_float_denorm_mode_32 3
		.amdhsa_float_denorm_mode_16_64 3
		.amdhsa_dx10_clamp 1
		.amdhsa_ieee_mode 1
		.amdhsa_fp16_overflow 0
		.amdhsa_tg_split 0
		.amdhsa_exception_fp_ieee_invalid_op 0
		.amdhsa_exception_fp_denorm_src 0
		.amdhsa_exception_fp_ieee_div_zero 0
		.amdhsa_exception_fp_ieee_overflow 0
		.amdhsa_exception_fp_ieee_underflow 0
		.amdhsa_exception_fp_ieee_inexact 0
		.amdhsa_exception_int_div_zero 0
	.end_amdhsa_kernel
	.section	.text._ZN7rocprim17ROCPRIM_400000_NS6detail17trampoline_kernelINS0_14default_configENS1_25partition_config_selectorILNS1_17partition_subalgoE1EjNS0_10empty_typeEbEEZZNS1_14partition_implILS5_1ELb0ES3_jN6thrust23THRUST_200600_302600_NS6detail15normal_iteratorINSA_10device_ptrIjEEEEPS6_NSA_18transform_iteratorI7is_evenIjESF_NSA_11use_defaultESK_EENS0_5tupleIJSF_NSA_16discard_iteratorISK_EEEEENSM_IJSG_SG_EEES6_PlJS6_EEE10hipError_tPvRmT3_T4_T5_T6_T7_T9_mT8_P12ihipStream_tbDpT10_ENKUlT_T0_E_clISt17integral_constantIbLb0EES1B_EEDaS16_S17_EUlS16_E_NS1_11comp_targetILNS1_3genE10ELNS1_11target_archE1200ELNS1_3gpuE4ELNS1_3repE0EEENS1_30default_config_static_selectorELNS0_4arch9wavefront6targetE1EEEvT1_,"axG",@progbits,_ZN7rocprim17ROCPRIM_400000_NS6detail17trampoline_kernelINS0_14default_configENS1_25partition_config_selectorILNS1_17partition_subalgoE1EjNS0_10empty_typeEbEEZZNS1_14partition_implILS5_1ELb0ES3_jN6thrust23THRUST_200600_302600_NS6detail15normal_iteratorINSA_10device_ptrIjEEEEPS6_NSA_18transform_iteratorI7is_evenIjESF_NSA_11use_defaultESK_EENS0_5tupleIJSF_NSA_16discard_iteratorISK_EEEEENSM_IJSG_SG_EEES6_PlJS6_EEE10hipError_tPvRmT3_T4_T5_T6_T7_T9_mT8_P12ihipStream_tbDpT10_ENKUlT_T0_E_clISt17integral_constantIbLb0EES1B_EEDaS16_S17_EUlS16_E_NS1_11comp_targetILNS1_3genE10ELNS1_11target_archE1200ELNS1_3gpuE4ELNS1_3repE0EEENS1_30default_config_static_selectorELNS0_4arch9wavefront6targetE1EEEvT1_,comdat
.Lfunc_end3008:
	.size	_ZN7rocprim17ROCPRIM_400000_NS6detail17trampoline_kernelINS0_14default_configENS1_25partition_config_selectorILNS1_17partition_subalgoE1EjNS0_10empty_typeEbEEZZNS1_14partition_implILS5_1ELb0ES3_jN6thrust23THRUST_200600_302600_NS6detail15normal_iteratorINSA_10device_ptrIjEEEEPS6_NSA_18transform_iteratorI7is_evenIjESF_NSA_11use_defaultESK_EENS0_5tupleIJSF_NSA_16discard_iteratorISK_EEEEENSM_IJSG_SG_EEES6_PlJS6_EEE10hipError_tPvRmT3_T4_T5_T6_T7_T9_mT8_P12ihipStream_tbDpT10_ENKUlT_T0_E_clISt17integral_constantIbLb0EES1B_EEDaS16_S17_EUlS16_E_NS1_11comp_targetILNS1_3genE10ELNS1_11target_archE1200ELNS1_3gpuE4ELNS1_3repE0EEENS1_30default_config_static_selectorELNS0_4arch9wavefront6targetE1EEEvT1_, .Lfunc_end3008-_ZN7rocprim17ROCPRIM_400000_NS6detail17trampoline_kernelINS0_14default_configENS1_25partition_config_selectorILNS1_17partition_subalgoE1EjNS0_10empty_typeEbEEZZNS1_14partition_implILS5_1ELb0ES3_jN6thrust23THRUST_200600_302600_NS6detail15normal_iteratorINSA_10device_ptrIjEEEEPS6_NSA_18transform_iteratorI7is_evenIjESF_NSA_11use_defaultESK_EENS0_5tupleIJSF_NSA_16discard_iteratorISK_EEEEENSM_IJSG_SG_EEES6_PlJS6_EEE10hipError_tPvRmT3_T4_T5_T6_T7_T9_mT8_P12ihipStream_tbDpT10_ENKUlT_T0_E_clISt17integral_constantIbLb0EES1B_EEDaS16_S17_EUlS16_E_NS1_11comp_targetILNS1_3genE10ELNS1_11target_archE1200ELNS1_3gpuE4ELNS1_3repE0EEENS1_30default_config_static_selectorELNS0_4arch9wavefront6targetE1EEEvT1_
                                        ; -- End function
	.section	.AMDGPU.csdata,"",@progbits
; Kernel info:
; codeLenInByte = 0
; NumSgprs: 6
; NumVgprs: 0
; NumAgprs: 0
; TotalNumVgprs: 0
; ScratchSize: 0
; MemoryBound: 0
; FloatMode: 240
; IeeeMode: 1
; LDSByteSize: 0 bytes/workgroup (compile time only)
; SGPRBlocks: 0
; VGPRBlocks: 0
; NumSGPRsForWavesPerEU: 6
; NumVGPRsForWavesPerEU: 1
; AccumOffset: 4
; Occupancy: 8
; WaveLimiterHint : 0
; COMPUTE_PGM_RSRC2:SCRATCH_EN: 0
; COMPUTE_PGM_RSRC2:USER_SGPR: 2
; COMPUTE_PGM_RSRC2:TRAP_HANDLER: 0
; COMPUTE_PGM_RSRC2:TGID_X_EN: 1
; COMPUTE_PGM_RSRC2:TGID_Y_EN: 0
; COMPUTE_PGM_RSRC2:TGID_Z_EN: 0
; COMPUTE_PGM_RSRC2:TIDIG_COMP_CNT: 0
; COMPUTE_PGM_RSRC3_GFX90A:ACCUM_OFFSET: 0
; COMPUTE_PGM_RSRC3_GFX90A:TG_SPLIT: 0
	.section	.text._ZN7rocprim17ROCPRIM_400000_NS6detail17trampoline_kernelINS0_14default_configENS1_25partition_config_selectorILNS1_17partition_subalgoE1EjNS0_10empty_typeEbEEZZNS1_14partition_implILS5_1ELb0ES3_jN6thrust23THRUST_200600_302600_NS6detail15normal_iteratorINSA_10device_ptrIjEEEEPS6_NSA_18transform_iteratorI7is_evenIjESF_NSA_11use_defaultESK_EENS0_5tupleIJSF_NSA_16discard_iteratorISK_EEEEENSM_IJSG_SG_EEES6_PlJS6_EEE10hipError_tPvRmT3_T4_T5_T6_T7_T9_mT8_P12ihipStream_tbDpT10_ENKUlT_T0_E_clISt17integral_constantIbLb0EES1B_EEDaS16_S17_EUlS16_E_NS1_11comp_targetILNS1_3genE9ELNS1_11target_archE1100ELNS1_3gpuE3ELNS1_3repE0EEENS1_30default_config_static_selectorELNS0_4arch9wavefront6targetE1EEEvT1_,"axG",@progbits,_ZN7rocprim17ROCPRIM_400000_NS6detail17trampoline_kernelINS0_14default_configENS1_25partition_config_selectorILNS1_17partition_subalgoE1EjNS0_10empty_typeEbEEZZNS1_14partition_implILS5_1ELb0ES3_jN6thrust23THRUST_200600_302600_NS6detail15normal_iteratorINSA_10device_ptrIjEEEEPS6_NSA_18transform_iteratorI7is_evenIjESF_NSA_11use_defaultESK_EENS0_5tupleIJSF_NSA_16discard_iteratorISK_EEEEENSM_IJSG_SG_EEES6_PlJS6_EEE10hipError_tPvRmT3_T4_T5_T6_T7_T9_mT8_P12ihipStream_tbDpT10_ENKUlT_T0_E_clISt17integral_constantIbLb0EES1B_EEDaS16_S17_EUlS16_E_NS1_11comp_targetILNS1_3genE9ELNS1_11target_archE1100ELNS1_3gpuE3ELNS1_3repE0EEENS1_30default_config_static_selectorELNS0_4arch9wavefront6targetE1EEEvT1_,comdat
	.protected	_ZN7rocprim17ROCPRIM_400000_NS6detail17trampoline_kernelINS0_14default_configENS1_25partition_config_selectorILNS1_17partition_subalgoE1EjNS0_10empty_typeEbEEZZNS1_14partition_implILS5_1ELb0ES3_jN6thrust23THRUST_200600_302600_NS6detail15normal_iteratorINSA_10device_ptrIjEEEEPS6_NSA_18transform_iteratorI7is_evenIjESF_NSA_11use_defaultESK_EENS0_5tupleIJSF_NSA_16discard_iteratorISK_EEEEENSM_IJSG_SG_EEES6_PlJS6_EEE10hipError_tPvRmT3_T4_T5_T6_T7_T9_mT8_P12ihipStream_tbDpT10_ENKUlT_T0_E_clISt17integral_constantIbLb0EES1B_EEDaS16_S17_EUlS16_E_NS1_11comp_targetILNS1_3genE9ELNS1_11target_archE1100ELNS1_3gpuE3ELNS1_3repE0EEENS1_30default_config_static_selectorELNS0_4arch9wavefront6targetE1EEEvT1_ ; -- Begin function _ZN7rocprim17ROCPRIM_400000_NS6detail17trampoline_kernelINS0_14default_configENS1_25partition_config_selectorILNS1_17partition_subalgoE1EjNS0_10empty_typeEbEEZZNS1_14partition_implILS5_1ELb0ES3_jN6thrust23THRUST_200600_302600_NS6detail15normal_iteratorINSA_10device_ptrIjEEEEPS6_NSA_18transform_iteratorI7is_evenIjESF_NSA_11use_defaultESK_EENS0_5tupleIJSF_NSA_16discard_iteratorISK_EEEEENSM_IJSG_SG_EEES6_PlJS6_EEE10hipError_tPvRmT3_T4_T5_T6_T7_T9_mT8_P12ihipStream_tbDpT10_ENKUlT_T0_E_clISt17integral_constantIbLb0EES1B_EEDaS16_S17_EUlS16_E_NS1_11comp_targetILNS1_3genE9ELNS1_11target_archE1100ELNS1_3gpuE3ELNS1_3repE0EEENS1_30default_config_static_selectorELNS0_4arch9wavefront6targetE1EEEvT1_
	.globl	_ZN7rocprim17ROCPRIM_400000_NS6detail17trampoline_kernelINS0_14default_configENS1_25partition_config_selectorILNS1_17partition_subalgoE1EjNS0_10empty_typeEbEEZZNS1_14partition_implILS5_1ELb0ES3_jN6thrust23THRUST_200600_302600_NS6detail15normal_iteratorINSA_10device_ptrIjEEEEPS6_NSA_18transform_iteratorI7is_evenIjESF_NSA_11use_defaultESK_EENS0_5tupleIJSF_NSA_16discard_iteratorISK_EEEEENSM_IJSG_SG_EEES6_PlJS6_EEE10hipError_tPvRmT3_T4_T5_T6_T7_T9_mT8_P12ihipStream_tbDpT10_ENKUlT_T0_E_clISt17integral_constantIbLb0EES1B_EEDaS16_S17_EUlS16_E_NS1_11comp_targetILNS1_3genE9ELNS1_11target_archE1100ELNS1_3gpuE3ELNS1_3repE0EEENS1_30default_config_static_selectorELNS0_4arch9wavefront6targetE1EEEvT1_
	.p2align	8
	.type	_ZN7rocprim17ROCPRIM_400000_NS6detail17trampoline_kernelINS0_14default_configENS1_25partition_config_selectorILNS1_17partition_subalgoE1EjNS0_10empty_typeEbEEZZNS1_14partition_implILS5_1ELb0ES3_jN6thrust23THRUST_200600_302600_NS6detail15normal_iteratorINSA_10device_ptrIjEEEEPS6_NSA_18transform_iteratorI7is_evenIjESF_NSA_11use_defaultESK_EENS0_5tupleIJSF_NSA_16discard_iteratorISK_EEEEENSM_IJSG_SG_EEES6_PlJS6_EEE10hipError_tPvRmT3_T4_T5_T6_T7_T9_mT8_P12ihipStream_tbDpT10_ENKUlT_T0_E_clISt17integral_constantIbLb0EES1B_EEDaS16_S17_EUlS16_E_NS1_11comp_targetILNS1_3genE9ELNS1_11target_archE1100ELNS1_3gpuE3ELNS1_3repE0EEENS1_30default_config_static_selectorELNS0_4arch9wavefront6targetE1EEEvT1_,@function
_ZN7rocprim17ROCPRIM_400000_NS6detail17trampoline_kernelINS0_14default_configENS1_25partition_config_selectorILNS1_17partition_subalgoE1EjNS0_10empty_typeEbEEZZNS1_14partition_implILS5_1ELb0ES3_jN6thrust23THRUST_200600_302600_NS6detail15normal_iteratorINSA_10device_ptrIjEEEEPS6_NSA_18transform_iteratorI7is_evenIjESF_NSA_11use_defaultESK_EENS0_5tupleIJSF_NSA_16discard_iteratorISK_EEEEENSM_IJSG_SG_EEES6_PlJS6_EEE10hipError_tPvRmT3_T4_T5_T6_T7_T9_mT8_P12ihipStream_tbDpT10_ENKUlT_T0_E_clISt17integral_constantIbLb0EES1B_EEDaS16_S17_EUlS16_E_NS1_11comp_targetILNS1_3genE9ELNS1_11target_archE1100ELNS1_3gpuE3ELNS1_3repE0EEENS1_30default_config_static_selectorELNS0_4arch9wavefront6targetE1EEEvT1_: ; @_ZN7rocprim17ROCPRIM_400000_NS6detail17trampoline_kernelINS0_14default_configENS1_25partition_config_selectorILNS1_17partition_subalgoE1EjNS0_10empty_typeEbEEZZNS1_14partition_implILS5_1ELb0ES3_jN6thrust23THRUST_200600_302600_NS6detail15normal_iteratorINSA_10device_ptrIjEEEEPS6_NSA_18transform_iteratorI7is_evenIjESF_NSA_11use_defaultESK_EENS0_5tupleIJSF_NSA_16discard_iteratorISK_EEEEENSM_IJSG_SG_EEES6_PlJS6_EEE10hipError_tPvRmT3_T4_T5_T6_T7_T9_mT8_P12ihipStream_tbDpT10_ENKUlT_T0_E_clISt17integral_constantIbLb0EES1B_EEDaS16_S17_EUlS16_E_NS1_11comp_targetILNS1_3genE9ELNS1_11target_archE1100ELNS1_3gpuE3ELNS1_3repE0EEENS1_30default_config_static_selectorELNS0_4arch9wavefront6targetE1EEEvT1_
; %bb.0:
	.section	.rodata,"a",@progbits
	.p2align	6, 0x0
	.amdhsa_kernel _ZN7rocprim17ROCPRIM_400000_NS6detail17trampoline_kernelINS0_14default_configENS1_25partition_config_selectorILNS1_17partition_subalgoE1EjNS0_10empty_typeEbEEZZNS1_14partition_implILS5_1ELb0ES3_jN6thrust23THRUST_200600_302600_NS6detail15normal_iteratorINSA_10device_ptrIjEEEEPS6_NSA_18transform_iteratorI7is_evenIjESF_NSA_11use_defaultESK_EENS0_5tupleIJSF_NSA_16discard_iteratorISK_EEEEENSM_IJSG_SG_EEES6_PlJS6_EEE10hipError_tPvRmT3_T4_T5_T6_T7_T9_mT8_P12ihipStream_tbDpT10_ENKUlT_T0_E_clISt17integral_constantIbLb0EES1B_EEDaS16_S17_EUlS16_E_NS1_11comp_targetILNS1_3genE9ELNS1_11target_archE1100ELNS1_3gpuE3ELNS1_3repE0EEENS1_30default_config_static_selectorELNS0_4arch9wavefront6targetE1EEEvT1_
		.amdhsa_group_segment_fixed_size 0
		.amdhsa_private_segment_fixed_size 0
		.amdhsa_kernarg_size 136
		.amdhsa_user_sgpr_count 2
		.amdhsa_user_sgpr_dispatch_ptr 0
		.amdhsa_user_sgpr_queue_ptr 0
		.amdhsa_user_sgpr_kernarg_segment_ptr 1
		.amdhsa_user_sgpr_dispatch_id 0
		.amdhsa_user_sgpr_kernarg_preload_length 0
		.amdhsa_user_sgpr_kernarg_preload_offset 0
		.amdhsa_user_sgpr_private_segment_size 0
		.amdhsa_uses_dynamic_stack 0
		.amdhsa_enable_private_segment 0
		.amdhsa_system_sgpr_workgroup_id_x 1
		.amdhsa_system_sgpr_workgroup_id_y 0
		.amdhsa_system_sgpr_workgroup_id_z 0
		.amdhsa_system_sgpr_workgroup_info 0
		.amdhsa_system_vgpr_workitem_id 0
		.amdhsa_next_free_vgpr 1
		.amdhsa_next_free_sgpr 0
		.amdhsa_accum_offset 4
		.amdhsa_reserve_vcc 0
		.amdhsa_float_round_mode_32 0
		.amdhsa_float_round_mode_16_64 0
		.amdhsa_float_denorm_mode_32 3
		.amdhsa_float_denorm_mode_16_64 3
		.amdhsa_dx10_clamp 1
		.amdhsa_ieee_mode 1
		.amdhsa_fp16_overflow 0
		.amdhsa_tg_split 0
		.amdhsa_exception_fp_ieee_invalid_op 0
		.amdhsa_exception_fp_denorm_src 0
		.amdhsa_exception_fp_ieee_div_zero 0
		.amdhsa_exception_fp_ieee_overflow 0
		.amdhsa_exception_fp_ieee_underflow 0
		.amdhsa_exception_fp_ieee_inexact 0
		.amdhsa_exception_int_div_zero 0
	.end_amdhsa_kernel
	.section	.text._ZN7rocprim17ROCPRIM_400000_NS6detail17trampoline_kernelINS0_14default_configENS1_25partition_config_selectorILNS1_17partition_subalgoE1EjNS0_10empty_typeEbEEZZNS1_14partition_implILS5_1ELb0ES3_jN6thrust23THRUST_200600_302600_NS6detail15normal_iteratorINSA_10device_ptrIjEEEEPS6_NSA_18transform_iteratorI7is_evenIjESF_NSA_11use_defaultESK_EENS0_5tupleIJSF_NSA_16discard_iteratorISK_EEEEENSM_IJSG_SG_EEES6_PlJS6_EEE10hipError_tPvRmT3_T4_T5_T6_T7_T9_mT8_P12ihipStream_tbDpT10_ENKUlT_T0_E_clISt17integral_constantIbLb0EES1B_EEDaS16_S17_EUlS16_E_NS1_11comp_targetILNS1_3genE9ELNS1_11target_archE1100ELNS1_3gpuE3ELNS1_3repE0EEENS1_30default_config_static_selectorELNS0_4arch9wavefront6targetE1EEEvT1_,"axG",@progbits,_ZN7rocprim17ROCPRIM_400000_NS6detail17trampoline_kernelINS0_14default_configENS1_25partition_config_selectorILNS1_17partition_subalgoE1EjNS0_10empty_typeEbEEZZNS1_14partition_implILS5_1ELb0ES3_jN6thrust23THRUST_200600_302600_NS6detail15normal_iteratorINSA_10device_ptrIjEEEEPS6_NSA_18transform_iteratorI7is_evenIjESF_NSA_11use_defaultESK_EENS0_5tupleIJSF_NSA_16discard_iteratorISK_EEEEENSM_IJSG_SG_EEES6_PlJS6_EEE10hipError_tPvRmT3_T4_T5_T6_T7_T9_mT8_P12ihipStream_tbDpT10_ENKUlT_T0_E_clISt17integral_constantIbLb0EES1B_EEDaS16_S17_EUlS16_E_NS1_11comp_targetILNS1_3genE9ELNS1_11target_archE1100ELNS1_3gpuE3ELNS1_3repE0EEENS1_30default_config_static_selectorELNS0_4arch9wavefront6targetE1EEEvT1_,comdat
.Lfunc_end3009:
	.size	_ZN7rocprim17ROCPRIM_400000_NS6detail17trampoline_kernelINS0_14default_configENS1_25partition_config_selectorILNS1_17partition_subalgoE1EjNS0_10empty_typeEbEEZZNS1_14partition_implILS5_1ELb0ES3_jN6thrust23THRUST_200600_302600_NS6detail15normal_iteratorINSA_10device_ptrIjEEEEPS6_NSA_18transform_iteratorI7is_evenIjESF_NSA_11use_defaultESK_EENS0_5tupleIJSF_NSA_16discard_iteratorISK_EEEEENSM_IJSG_SG_EEES6_PlJS6_EEE10hipError_tPvRmT3_T4_T5_T6_T7_T9_mT8_P12ihipStream_tbDpT10_ENKUlT_T0_E_clISt17integral_constantIbLb0EES1B_EEDaS16_S17_EUlS16_E_NS1_11comp_targetILNS1_3genE9ELNS1_11target_archE1100ELNS1_3gpuE3ELNS1_3repE0EEENS1_30default_config_static_selectorELNS0_4arch9wavefront6targetE1EEEvT1_, .Lfunc_end3009-_ZN7rocprim17ROCPRIM_400000_NS6detail17trampoline_kernelINS0_14default_configENS1_25partition_config_selectorILNS1_17partition_subalgoE1EjNS0_10empty_typeEbEEZZNS1_14partition_implILS5_1ELb0ES3_jN6thrust23THRUST_200600_302600_NS6detail15normal_iteratorINSA_10device_ptrIjEEEEPS6_NSA_18transform_iteratorI7is_evenIjESF_NSA_11use_defaultESK_EENS0_5tupleIJSF_NSA_16discard_iteratorISK_EEEEENSM_IJSG_SG_EEES6_PlJS6_EEE10hipError_tPvRmT3_T4_T5_T6_T7_T9_mT8_P12ihipStream_tbDpT10_ENKUlT_T0_E_clISt17integral_constantIbLb0EES1B_EEDaS16_S17_EUlS16_E_NS1_11comp_targetILNS1_3genE9ELNS1_11target_archE1100ELNS1_3gpuE3ELNS1_3repE0EEENS1_30default_config_static_selectorELNS0_4arch9wavefront6targetE1EEEvT1_
                                        ; -- End function
	.section	.AMDGPU.csdata,"",@progbits
; Kernel info:
; codeLenInByte = 0
; NumSgprs: 6
; NumVgprs: 0
; NumAgprs: 0
; TotalNumVgprs: 0
; ScratchSize: 0
; MemoryBound: 0
; FloatMode: 240
; IeeeMode: 1
; LDSByteSize: 0 bytes/workgroup (compile time only)
; SGPRBlocks: 0
; VGPRBlocks: 0
; NumSGPRsForWavesPerEU: 6
; NumVGPRsForWavesPerEU: 1
; AccumOffset: 4
; Occupancy: 8
; WaveLimiterHint : 0
; COMPUTE_PGM_RSRC2:SCRATCH_EN: 0
; COMPUTE_PGM_RSRC2:USER_SGPR: 2
; COMPUTE_PGM_RSRC2:TRAP_HANDLER: 0
; COMPUTE_PGM_RSRC2:TGID_X_EN: 1
; COMPUTE_PGM_RSRC2:TGID_Y_EN: 0
; COMPUTE_PGM_RSRC2:TGID_Z_EN: 0
; COMPUTE_PGM_RSRC2:TIDIG_COMP_CNT: 0
; COMPUTE_PGM_RSRC3_GFX90A:ACCUM_OFFSET: 0
; COMPUTE_PGM_RSRC3_GFX90A:TG_SPLIT: 0
	.section	.text._ZN7rocprim17ROCPRIM_400000_NS6detail17trampoline_kernelINS0_14default_configENS1_25partition_config_selectorILNS1_17partition_subalgoE1EjNS0_10empty_typeEbEEZZNS1_14partition_implILS5_1ELb0ES3_jN6thrust23THRUST_200600_302600_NS6detail15normal_iteratorINSA_10device_ptrIjEEEEPS6_NSA_18transform_iteratorI7is_evenIjESF_NSA_11use_defaultESK_EENS0_5tupleIJSF_NSA_16discard_iteratorISK_EEEEENSM_IJSG_SG_EEES6_PlJS6_EEE10hipError_tPvRmT3_T4_T5_T6_T7_T9_mT8_P12ihipStream_tbDpT10_ENKUlT_T0_E_clISt17integral_constantIbLb0EES1B_EEDaS16_S17_EUlS16_E_NS1_11comp_targetILNS1_3genE8ELNS1_11target_archE1030ELNS1_3gpuE2ELNS1_3repE0EEENS1_30default_config_static_selectorELNS0_4arch9wavefront6targetE1EEEvT1_,"axG",@progbits,_ZN7rocprim17ROCPRIM_400000_NS6detail17trampoline_kernelINS0_14default_configENS1_25partition_config_selectorILNS1_17partition_subalgoE1EjNS0_10empty_typeEbEEZZNS1_14partition_implILS5_1ELb0ES3_jN6thrust23THRUST_200600_302600_NS6detail15normal_iteratorINSA_10device_ptrIjEEEEPS6_NSA_18transform_iteratorI7is_evenIjESF_NSA_11use_defaultESK_EENS0_5tupleIJSF_NSA_16discard_iteratorISK_EEEEENSM_IJSG_SG_EEES6_PlJS6_EEE10hipError_tPvRmT3_T4_T5_T6_T7_T9_mT8_P12ihipStream_tbDpT10_ENKUlT_T0_E_clISt17integral_constantIbLb0EES1B_EEDaS16_S17_EUlS16_E_NS1_11comp_targetILNS1_3genE8ELNS1_11target_archE1030ELNS1_3gpuE2ELNS1_3repE0EEENS1_30default_config_static_selectorELNS0_4arch9wavefront6targetE1EEEvT1_,comdat
	.protected	_ZN7rocprim17ROCPRIM_400000_NS6detail17trampoline_kernelINS0_14default_configENS1_25partition_config_selectorILNS1_17partition_subalgoE1EjNS0_10empty_typeEbEEZZNS1_14partition_implILS5_1ELb0ES3_jN6thrust23THRUST_200600_302600_NS6detail15normal_iteratorINSA_10device_ptrIjEEEEPS6_NSA_18transform_iteratorI7is_evenIjESF_NSA_11use_defaultESK_EENS0_5tupleIJSF_NSA_16discard_iteratorISK_EEEEENSM_IJSG_SG_EEES6_PlJS6_EEE10hipError_tPvRmT3_T4_T5_T6_T7_T9_mT8_P12ihipStream_tbDpT10_ENKUlT_T0_E_clISt17integral_constantIbLb0EES1B_EEDaS16_S17_EUlS16_E_NS1_11comp_targetILNS1_3genE8ELNS1_11target_archE1030ELNS1_3gpuE2ELNS1_3repE0EEENS1_30default_config_static_selectorELNS0_4arch9wavefront6targetE1EEEvT1_ ; -- Begin function _ZN7rocprim17ROCPRIM_400000_NS6detail17trampoline_kernelINS0_14default_configENS1_25partition_config_selectorILNS1_17partition_subalgoE1EjNS0_10empty_typeEbEEZZNS1_14partition_implILS5_1ELb0ES3_jN6thrust23THRUST_200600_302600_NS6detail15normal_iteratorINSA_10device_ptrIjEEEEPS6_NSA_18transform_iteratorI7is_evenIjESF_NSA_11use_defaultESK_EENS0_5tupleIJSF_NSA_16discard_iteratorISK_EEEEENSM_IJSG_SG_EEES6_PlJS6_EEE10hipError_tPvRmT3_T4_T5_T6_T7_T9_mT8_P12ihipStream_tbDpT10_ENKUlT_T0_E_clISt17integral_constantIbLb0EES1B_EEDaS16_S17_EUlS16_E_NS1_11comp_targetILNS1_3genE8ELNS1_11target_archE1030ELNS1_3gpuE2ELNS1_3repE0EEENS1_30default_config_static_selectorELNS0_4arch9wavefront6targetE1EEEvT1_
	.globl	_ZN7rocprim17ROCPRIM_400000_NS6detail17trampoline_kernelINS0_14default_configENS1_25partition_config_selectorILNS1_17partition_subalgoE1EjNS0_10empty_typeEbEEZZNS1_14partition_implILS5_1ELb0ES3_jN6thrust23THRUST_200600_302600_NS6detail15normal_iteratorINSA_10device_ptrIjEEEEPS6_NSA_18transform_iteratorI7is_evenIjESF_NSA_11use_defaultESK_EENS0_5tupleIJSF_NSA_16discard_iteratorISK_EEEEENSM_IJSG_SG_EEES6_PlJS6_EEE10hipError_tPvRmT3_T4_T5_T6_T7_T9_mT8_P12ihipStream_tbDpT10_ENKUlT_T0_E_clISt17integral_constantIbLb0EES1B_EEDaS16_S17_EUlS16_E_NS1_11comp_targetILNS1_3genE8ELNS1_11target_archE1030ELNS1_3gpuE2ELNS1_3repE0EEENS1_30default_config_static_selectorELNS0_4arch9wavefront6targetE1EEEvT1_
	.p2align	8
	.type	_ZN7rocprim17ROCPRIM_400000_NS6detail17trampoline_kernelINS0_14default_configENS1_25partition_config_selectorILNS1_17partition_subalgoE1EjNS0_10empty_typeEbEEZZNS1_14partition_implILS5_1ELb0ES3_jN6thrust23THRUST_200600_302600_NS6detail15normal_iteratorINSA_10device_ptrIjEEEEPS6_NSA_18transform_iteratorI7is_evenIjESF_NSA_11use_defaultESK_EENS0_5tupleIJSF_NSA_16discard_iteratorISK_EEEEENSM_IJSG_SG_EEES6_PlJS6_EEE10hipError_tPvRmT3_T4_T5_T6_T7_T9_mT8_P12ihipStream_tbDpT10_ENKUlT_T0_E_clISt17integral_constantIbLb0EES1B_EEDaS16_S17_EUlS16_E_NS1_11comp_targetILNS1_3genE8ELNS1_11target_archE1030ELNS1_3gpuE2ELNS1_3repE0EEENS1_30default_config_static_selectorELNS0_4arch9wavefront6targetE1EEEvT1_,@function
_ZN7rocprim17ROCPRIM_400000_NS6detail17trampoline_kernelINS0_14default_configENS1_25partition_config_selectorILNS1_17partition_subalgoE1EjNS0_10empty_typeEbEEZZNS1_14partition_implILS5_1ELb0ES3_jN6thrust23THRUST_200600_302600_NS6detail15normal_iteratorINSA_10device_ptrIjEEEEPS6_NSA_18transform_iteratorI7is_evenIjESF_NSA_11use_defaultESK_EENS0_5tupleIJSF_NSA_16discard_iteratorISK_EEEEENSM_IJSG_SG_EEES6_PlJS6_EEE10hipError_tPvRmT3_T4_T5_T6_T7_T9_mT8_P12ihipStream_tbDpT10_ENKUlT_T0_E_clISt17integral_constantIbLb0EES1B_EEDaS16_S17_EUlS16_E_NS1_11comp_targetILNS1_3genE8ELNS1_11target_archE1030ELNS1_3gpuE2ELNS1_3repE0EEENS1_30default_config_static_selectorELNS0_4arch9wavefront6targetE1EEEvT1_: ; @_ZN7rocprim17ROCPRIM_400000_NS6detail17trampoline_kernelINS0_14default_configENS1_25partition_config_selectorILNS1_17partition_subalgoE1EjNS0_10empty_typeEbEEZZNS1_14partition_implILS5_1ELb0ES3_jN6thrust23THRUST_200600_302600_NS6detail15normal_iteratorINSA_10device_ptrIjEEEEPS6_NSA_18transform_iteratorI7is_evenIjESF_NSA_11use_defaultESK_EENS0_5tupleIJSF_NSA_16discard_iteratorISK_EEEEENSM_IJSG_SG_EEES6_PlJS6_EEE10hipError_tPvRmT3_T4_T5_T6_T7_T9_mT8_P12ihipStream_tbDpT10_ENKUlT_T0_E_clISt17integral_constantIbLb0EES1B_EEDaS16_S17_EUlS16_E_NS1_11comp_targetILNS1_3genE8ELNS1_11target_archE1030ELNS1_3gpuE2ELNS1_3repE0EEENS1_30default_config_static_selectorELNS0_4arch9wavefront6targetE1EEEvT1_
; %bb.0:
	.section	.rodata,"a",@progbits
	.p2align	6, 0x0
	.amdhsa_kernel _ZN7rocprim17ROCPRIM_400000_NS6detail17trampoline_kernelINS0_14default_configENS1_25partition_config_selectorILNS1_17partition_subalgoE1EjNS0_10empty_typeEbEEZZNS1_14partition_implILS5_1ELb0ES3_jN6thrust23THRUST_200600_302600_NS6detail15normal_iteratorINSA_10device_ptrIjEEEEPS6_NSA_18transform_iteratorI7is_evenIjESF_NSA_11use_defaultESK_EENS0_5tupleIJSF_NSA_16discard_iteratorISK_EEEEENSM_IJSG_SG_EEES6_PlJS6_EEE10hipError_tPvRmT3_T4_T5_T6_T7_T9_mT8_P12ihipStream_tbDpT10_ENKUlT_T0_E_clISt17integral_constantIbLb0EES1B_EEDaS16_S17_EUlS16_E_NS1_11comp_targetILNS1_3genE8ELNS1_11target_archE1030ELNS1_3gpuE2ELNS1_3repE0EEENS1_30default_config_static_selectorELNS0_4arch9wavefront6targetE1EEEvT1_
		.amdhsa_group_segment_fixed_size 0
		.amdhsa_private_segment_fixed_size 0
		.amdhsa_kernarg_size 136
		.amdhsa_user_sgpr_count 2
		.amdhsa_user_sgpr_dispatch_ptr 0
		.amdhsa_user_sgpr_queue_ptr 0
		.amdhsa_user_sgpr_kernarg_segment_ptr 1
		.amdhsa_user_sgpr_dispatch_id 0
		.amdhsa_user_sgpr_kernarg_preload_length 0
		.amdhsa_user_sgpr_kernarg_preload_offset 0
		.amdhsa_user_sgpr_private_segment_size 0
		.amdhsa_uses_dynamic_stack 0
		.amdhsa_enable_private_segment 0
		.amdhsa_system_sgpr_workgroup_id_x 1
		.amdhsa_system_sgpr_workgroup_id_y 0
		.amdhsa_system_sgpr_workgroup_id_z 0
		.amdhsa_system_sgpr_workgroup_info 0
		.amdhsa_system_vgpr_workitem_id 0
		.amdhsa_next_free_vgpr 1
		.amdhsa_next_free_sgpr 0
		.amdhsa_accum_offset 4
		.amdhsa_reserve_vcc 0
		.amdhsa_float_round_mode_32 0
		.amdhsa_float_round_mode_16_64 0
		.amdhsa_float_denorm_mode_32 3
		.amdhsa_float_denorm_mode_16_64 3
		.amdhsa_dx10_clamp 1
		.amdhsa_ieee_mode 1
		.amdhsa_fp16_overflow 0
		.amdhsa_tg_split 0
		.amdhsa_exception_fp_ieee_invalid_op 0
		.amdhsa_exception_fp_denorm_src 0
		.amdhsa_exception_fp_ieee_div_zero 0
		.amdhsa_exception_fp_ieee_overflow 0
		.amdhsa_exception_fp_ieee_underflow 0
		.amdhsa_exception_fp_ieee_inexact 0
		.amdhsa_exception_int_div_zero 0
	.end_amdhsa_kernel
	.section	.text._ZN7rocprim17ROCPRIM_400000_NS6detail17trampoline_kernelINS0_14default_configENS1_25partition_config_selectorILNS1_17partition_subalgoE1EjNS0_10empty_typeEbEEZZNS1_14partition_implILS5_1ELb0ES3_jN6thrust23THRUST_200600_302600_NS6detail15normal_iteratorINSA_10device_ptrIjEEEEPS6_NSA_18transform_iteratorI7is_evenIjESF_NSA_11use_defaultESK_EENS0_5tupleIJSF_NSA_16discard_iteratorISK_EEEEENSM_IJSG_SG_EEES6_PlJS6_EEE10hipError_tPvRmT3_T4_T5_T6_T7_T9_mT8_P12ihipStream_tbDpT10_ENKUlT_T0_E_clISt17integral_constantIbLb0EES1B_EEDaS16_S17_EUlS16_E_NS1_11comp_targetILNS1_3genE8ELNS1_11target_archE1030ELNS1_3gpuE2ELNS1_3repE0EEENS1_30default_config_static_selectorELNS0_4arch9wavefront6targetE1EEEvT1_,"axG",@progbits,_ZN7rocprim17ROCPRIM_400000_NS6detail17trampoline_kernelINS0_14default_configENS1_25partition_config_selectorILNS1_17partition_subalgoE1EjNS0_10empty_typeEbEEZZNS1_14partition_implILS5_1ELb0ES3_jN6thrust23THRUST_200600_302600_NS6detail15normal_iteratorINSA_10device_ptrIjEEEEPS6_NSA_18transform_iteratorI7is_evenIjESF_NSA_11use_defaultESK_EENS0_5tupleIJSF_NSA_16discard_iteratorISK_EEEEENSM_IJSG_SG_EEES6_PlJS6_EEE10hipError_tPvRmT3_T4_T5_T6_T7_T9_mT8_P12ihipStream_tbDpT10_ENKUlT_T0_E_clISt17integral_constantIbLb0EES1B_EEDaS16_S17_EUlS16_E_NS1_11comp_targetILNS1_3genE8ELNS1_11target_archE1030ELNS1_3gpuE2ELNS1_3repE0EEENS1_30default_config_static_selectorELNS0_4arch9wavefront6targetE1EEEvT1_,comdat
.Lfunc_end3010:
	.size	_ZN7rocprim17ROCPRIM_400000_NS6detail17trampoline_kernelINS0_14default_configENS1_25partition_config_selectorILNS1_17partition_subalgoE1EjNS0_10empty_typeEbEEZZNS1_14partition_implILS5_1ELb0ES3_jN6thrust23THRUST_200600_302600_NS6detail15normal_iteratorINSA_10device_ptrIjEEEEPS6_NSA_18transform_iteratorI7is_evenIjESF_NSA_11use_defaultESK_EENS0_5tupleIJSF_NSA_16discard_iteratorISK_EEEEENSM_IJSG_SG_EEES6_PlJS6_EEE10hipError_tPvRmT3_T4_T5_T6_T7_T9_mT8_P12ihipStream_tbDpT10_ENKUlT_T0_E_clISt17integral_constantIbLb0EES1B_EEDaS16_S17_EUlS16_E_NS1_11comp_targetILNS1_3genE8ELNS1_11target_archE1030ELNS1_3gpuE2ELNS1_3repE0EEENS1_30default_config_static_selectorELNS0_4arch9wavefront6targetE1EEEvT1_, .Lfunc_end3010-_ZN7rocprim17ROCPRIM_400000_NS6detail17trampoline_kernelINS0_14default_configENS1_25partition_config_selectorILNS1_17partition_subalgoE1EjNS0_10empty_typeEbEEZZNS1_14partition_implILS5_1ELb0ES3_jN6thrust23THRUST_200600_302600_NS6detail15normal_iteratorINSA_10device_ptrIjEEEEPS6_NSA_18transform_iteratorI7is_evenIjESF_NSA_11use_defaultESK_EENS0_5tupleIJSF_NSA_16discard_iteratorISK_EEEEENSM_IJSG_SG_EEES6_PlJS6_EEE10hipError_tPvRmT3_T4_T5_T6_T7_T9_mT8_P12ihipStream_tbDpT10_ENKUlT_T0_E_clISt17integral_constantIbLb0EES1B_EEDaS16_S17_EUlS16_E_NS1_11comp_targetILNS1_3genE8ELNS1_11target_archE1030ELNS1_3gpuE2ELNS1_3repE0EEENS1_30default_config_static_selectorELNS0_4arch9wavefront6targetE1EEEvT1_
                                        ; -- End function
	.section	.AMDGPU.csdata,"",@progbits
; Kernel info:
; codeLenInByte = 0
; NumSgprs: 6
; NumVgprs: 0
; NumAgprs: 0
; TotalNumVgprs: 0
; ScratchSize: 0
; MemoryBound: 0
; FloatMode: 240
; IeeeMode: 1
; LDSByteSize: 0 bytes/workgroup (compile time only)
; SGPRBlocks: 0
; VGPRBlocks: 0
; NumSGPRsForWavesPerEU: 6
; NumVGPRsForWavesPerEU: 1
; AccumOffset: 4
; Occupancy: 8
; WaveLimiterHint : 0
; COMPUTE_PGM_RSRC2:SCRATCH_EN: 0
; COMPUTE_PGM_RSRC2:USER_SGPR: 2
; COMPUTE_PGM_RSRC2:TRAP_HANDLER: 0
; COMPUTE_PGM_RSRC2:TGID_X_EN: 1
; COMPUTE_PGM_RSRC2:TGID_Y_EN: 0
; COMPUTE_PGM_RSRC2:TGID_Z_EN: 0
; COMPUTE_PGM_RSRC2:TIDIG_COMP_CNT: 0
; COMPUTE_PGM_RSRC3_GFX90A:ACCUM_OFFSET: 0
; COMPUTE_PGM_RSRC3_GFX90A:TG_SPLIT: 0
	.section	.text._ZN7rocprim17ROCPRIM_400000_NS6detail17trampoline_kernelINS0_14default_configENS1_25partition_config_selectorILNS1_17partition_subalgoE1EjNS0_10empty_typeEbEEZZNS1_14partition_implILS5_1ELb0ES3_jN6thrust23THRUST_200600_302600_NS6detail15normal_iteratorINSA_10device_ptrIjEEEEPS6_NSA_18transform_iteratorI7is_evenIjESF_NSA_11use_defaultESK_EENS0_5tupleIJSF_NSA_16discard_iteratorISK_EEEEENSM_IJSG_SG_EEES6_PlJS6_EEE10hipError_tPvRmT3_T4_T5_T6_T7_T9_mT8_P12ihipStream_tbDpT10_ENKUlT_T0_E_clISt17integral_constantIbLb1EES1B_EEDaS16_S17_EUlS16_E_NS1_11comp_targetILNS1_3genE0ELNS1_11target_archE4294967295ELNS1_3gpuE0ELNS1_3repE0EEENS1_30default_config_static_selectorELNS0_4arch9wavefront6targetE1EEEvT1_,"axG",@progbits,_ZN7rocprim17ROCPRIM_400000_NS6detail17trampoline_kernelINS0_14default_configENS1_25partition_config_selectorILNS1_17partition_subalgoE1EjNS0_10empty_typeEbEEZZNS1_14partition_implILS5_1ELb0ES3_jN6thrust23THRUST_200600_302600_NS6detail15normal_iteratorINSA_10device_ptrIjEEEEPS6_NSA_18transform_iteratorI7is_evenIjESF_NSA_11use_defaultESK_EENS0_5tupleIJSF_NSA_16discard_iteratorISK_EEEEENSM_IJSG_SG_EEES6_PlJS6_EEE10hipError_tPvRmT3_T4_T5_T6_T7_T9_mT8_P12ihipStream_tbDpT10_ENKUlT_T0_E_clISt17integral_constantIbLb1EES1B_EEDaS16_S17_EUlS16_E_NS1_11comp_targetILNS1_3genE0ELNS1_11target_archE4294967295ELNS1_3gpuE0ELNS1_3repE0EEENS1_30default_config_static_selectorELNS0_4arch9wavefront6targetE1EEEvT1_,comdat
	.protected	_ZN7rocprim17ROCPRIM_400000_NS6detail17trampoline_kernelINS0_14default_configENS1_25partition_config_selectorILNS1_17partition_subalgoE1EjNS0_10empty_typeEbEEZZNS1_14partition_implILS5_1ELb0ES3_jN6thrust23THRUST_200600_302600_NS6detail15normal_iteratorINSA_10device_ptrIjEEEEPS6_NSA_18transform_iteratorI7is_evenIjESF_NSA_11use_defaultESK_EENS0_5tupleIJSF_NSA_16discard_iteratorISK_EEEEENSM_IJSG_SG_EEES6_PlJS6_EEE10hipError_tPvRmT3_T4_T5_T6_T7_T9_mT8_P12ihipStream_tbDpT10_ENKUlT_T0_E_clISt17integral_constantIbLb1EES1B_EEDaS16_S17_EUlS16_E_NS1_11comp_targetILNS1_3genE0ELNS1_11target_archE4294967295ELNS1_3gpuE0ELNS1_3repE0EEENS1_30default_config_static_selectorELNS0_4arch9wavefront6targetE1EEEvT1_ ; -- Begin function _ZN7rocprim17ROCPRIM_400000_NS6detail17trampoline_kernelINS0_14default_configENS1_25partition_config_selectorILNS1_17partition_subalgoE1EjNS0_10empty_typeEbEEZZNS1_14partition_implILS5_1ELb0ES3_jN6thrust23THRUST_200600_302600_NS6detail15normal_iteratorINSA_10device_ptrIjEEEEPS6_NSA_18transform_iteratorI7is_evenIjESF_NSA_11use_defaultESK_EENS0_5tupleIJSF_NSA_16discard_iteratorISK_EEEEENSM_IJSG_SG_EEES6_PlJS6_EEE10hipError_tPvRmT3_T4_T5_T6_T7_T9_mT8_P12ihipStream_tbDpT10_ENKUlT_T0_E_clISt17integral_constantIbLb1EES1B_EEDaS16_S17_EUlS16_E_NS1_11comp_targetILNS1_3genE0ELNS1_11target_archE4294967295ELNS1_3gpuE0ELNS1_3repE0EEENS1_30default_config_static_selectorELNS0_4arch9wavefront6targetE1EEEvT1_
	.globl	_ZN7rocprim17ROCPRIM_400000_NS6detail17trampoline_kernelINS0_14default_configENS1_25partition_config_selectorILNS1_17partition_subalgoE1EjNS0_10empty_typeEbEEZZNS1_14partition_implILS5_1ELb0ES3_jN6thrust23THRUST_200600_302600_NS6detail15normal_iteratorINSA_10device_ptrIjEEEEPS6_NSA_18transform_iteratorI7is_evenIjESF_NSA_11use_defaultESK_EENS0_5tupleIJSF_NSA_16discard_iteratorISK_EEEEENSM_IJSG_SG_EEES6_PlJS6_EEE10hipError_tPvRmT3_T4_T5_T6_T7_T9_mT8_P12ihipStream_tbDpT10_ENKUlT_T0_E_clISt17integral_constantIbLb1EES1B_EEDaS16_S17_EUlS16_E_NS1_11comp_targetILNS1_3genE0ELNS1_11target_archE4294967295ELNS1_3gpuE0ELNS1_3repE0EEENS1_30default_config_static_selectorELNS0_4arch9wavefront6targetE1EEEvT1_
	.p2align	8
	.type	_ZN7rocprim17ROCPRIM_400000_NS6detail17trampoline_kernelINS0_14default_configENS1_25partition_config_selectorILNS1_17partition_subalgoE1EjNS0_10empty_typeEbEEZZNS1_14partition_implILS5_1ELb0ES3_jN6thrust23THRUST_200600_302600_NS6detail15normal_iteratorINSA_10device_ptrIjEEEEPS6_NSA_18transform_iteratorI7is_evenIjESF_NSA_11use_defaultESK_EENS0_5tupleIJSF_NSA_16discard_iteratorISK_EEEEENSM_IJSG_SG_EEES6_PlJS6_EEE10hipError_tPvRmT3_T4_T5_T6_T7_T9_mT8_P12ihipStream_tbDpT10_ENKUlT_T0_E_clISt17integral_constantIbLb1EES1B_EEDaS16_S17_EUlS16_E_NS1_11comp_targetILNS1_3genE0ELNS1_11target_archE4294967295ELNS1_3gpuE0ELNS1_3repE0EEENS1_30default_config_static_selectorELNS0_4arch9wavefront6targetE1EEEvT1_,@function
_ZN7rocprim17ROCPRIM_400000_NS6detail17trampoline_kernelINS0_14default_configENS1_25partition_config_selectorILNS1_17partition_subalgoE1EjNS0_10empty_typeEbEEZZNS1_14partition_implILS5_1ELb0ES3_jN6thrust23THRUST_200600_302600_NS6detail15normal_iteratorINSA_10device_ptrIjEEEEPS6_NSA_18transform_iteratorI7is_evenIjESF_NSA_11use_defaultESK_EENS0_5tupleIJSF_NSA_16discard_iteratorISK_EEEEENSM_IJSG_SG_EEES6_PlJS6_EEE10hipError_tPvRmT3_T4_T5_T6_T7_T9_mT8_P12ihipStream_tbDpT10_ENKUlT_T0_E_clISt17integral_constantIbLb1EES1B_EEDaS16_S17_EUlS16_E_NS1_11comp_targetILNS1_3genE0ELNS1_11target_archE4294967295ELNS1_3gpuE0ELNS1_3repE0EEENS1_30default_config_static_selectorELNS0_4arch9wavefront6targetE1EEEvT1_: ; @_ZN7rocprim17ROCPRIM_400000_NS6detail17trampoline_kernelINS0_14default_configENS1_25partition_config_selectorILNS1_17partition_subalgoE1EjNS0_10empty_typeEbEEZZNS1_14partition_implILS5_1ELb0ES3_jN6thrust23THRUST_200600_302600_NS6detail15normal_iteratorINSA_10device_ptrIjEEEEPS6_NSA_18transform_iteratorI7is_evenIjESF_NSA_11use_defaultESK_EENS0_5tupleIJSF_NSA_16discard_iteratorISK_EEEEENSM_IJSG_SG_EEES6_PlJS6_EEE10hipError_tPvRmT3_T4_T5_T6_T7_T9_mT8_P12ihipStream_tbDpT10_ENKUlT_T0_E_clISt17integral_constantIbLb1EES1B_EEDaS16_S17_EUlS16_E_NS1_11comp_targetILNS1_3genE0ELNS1_11target_archE4294967295ELNS1_3gpuE0ELNS1_3repE0EEENS1_30default_config_static_selectorELNS0_4arch9wavefront6targetE1EEEvT1_
; %bb.0:
	.section	.rodata,"a",@progbits
	.p2align	6, 0x0
	.amdhsa_kernel _ZN7rocprim17ROCPRIM_400000_NS6detail17trampoline_kernelINS0_14default_configENS1_25partition_config_selectorILNS1_17partition_subalgoE1EjNS0_10empty_typeEbEEZZNS1_14partition_implILS5_1ELb0ES3_jN6thrust23THRUST_200600_302600_NS6detail15normal_iteratorINSA_10device_ptrIjEEEEPS6_NSA_18transform_iteratorI7is_evenIjESF_NSA_11use_defaultESK_EENS0_5tupleIJSF_NSA_16discard_iteratorISK_EEEEENSM_IJSG_SG_EEES6_PlJS6_EEE10hipError_tPvRmT3_T4_T5_T6_T7_T9_mT8_P12ihipStream_tbDpT10_ENKUlT_T0_E_clISt17integral_constantIbLb1EES1B_EEDaS16_S17_EUlS16_E_NS1_11comp_targetILNS1_3genE0ELNS1_11target_archE4294967295ELNS1_3gpuE0ELNS1_3repE0EEENS1_30default_config_static_selectorELNS0_4arch9wavefront6targetE1EEEvT1_
		.amdhsa_group_segment_fixed_size 0
		.amdhsa_private_segment_fixed_size 0
		.amdhsa_kernarg_size 152
		.amdhsa_user_sgpr_count 2
		.amdhsa_user_sgpr_dispatch_ptr 0
		.amdhsa_user_sgpr_queue_ptr 0
		.amdhsa_user_sgpr_kernarg_segment_ptr 1
		.amdhsa_user_sgpr_dispatch_id 0
		.amdhsa_user_sgpr_kernarg_preload_length 0
		.amdhsa_user_sgpr_kernarg_preload_offset 0
		.amdhsa_user_sgpr_private_segment_size 0
		.amdhsa_uses_dynamic_stack 0
		.amdhsa_enable_private_segment 0
		.amdhsa_system_sgpr_workgroup_id_x 1
		.amdhsa_system_sgpr_workgroup_id_y 0
		.amdhsa_system_sgpr_workgroup_id_z 0
		.amdhsa_system_sgpr_workgroup_info 0
		.amdhsa_system_vgpr_workitem_id 0
		.amdhsa_next_free_vgpr 1
		.amdhsa_next_free_sgpr 0
		.amdhsa_accum_offset 4
		.amdhsa_reserve_vcc 0
		.amdhsa_float_round_mode_32 0
		.amdhsa_float_round_mode_16_64 0
		.amdhsa_float_denorm_mode_32 3
		.amdhsa_float_denorm_mode_16_64 3
		.amdhsa_dx10_clamp 1
		.amdhsa_ieee_mode 1
		.amdhsa_fp16_overflow 0
		.amdhsa_tg_split 0
		.amdhsa_exception_fp_ieee_invalid_op 0
		.amdhsa_exception_fp_denorm_src 0
		.amdhsa_exception_fp_ieee_div_zero 0
		.amdhsa_exception_fp_ieee_overflow 0
		.amdhsa_exception_fp_ieee_underflow 0
		.amdhsa_exception_fp_ieee_inexact 0
		.amdhsa_exception_int_div_zero 0
	.end_amdhsa_kernel
	.section	.text._ZN7rocprim17ROCPRIM_400000_NS6detail17trampoline_kernelINS0_14default_configENS1_25partition_config_selectorILNS1_17partition_subalgoE1EjNS0_10empty_typeEbEEZZNS1_14partition_implILS5_1ELb0ES3_jN6thrust23THRUST_200600_302600_NS6detail15normal_iteratorINSA_10device_ptrIjEEEEPS6_NSA_18transform_iteratorI7is_evenIjESF_NSA_11use_defaultESK_EENS0_5tupleIJSF_NSA_16discard_iteratorISK_EEEEENSM_IJSG_SG_EEES6_PlJS6_EEE10hipError_tPvRmT3_T4_T5_T6_T7_T9_mT8_P12ihipStream_tbDpT10_ENKUlT_T0_E_clISt17integral_constantIbLb1EES1B_EEDaS16_S17_EUlS16_E_NS1_11comp_targetILNS1_3genE0ELNS1_11target_archE4294967295ELNS1_3gpuE0ELNS1_3repE0EEENS1_30default_config_static_selectorELNS0_4arch9wavefront6targetE1EEEvT1_,"axG",@progbits,_ZN7rocprim17ROCPRIM_400000_NS6detail17trampoline_kernelINS0_14default_configENS1_25partition_config_selectorILNS1_17partition_subalgoE1EjNS0_10empty_typeEbEEZZNS1_14partition_implILS5_1ELb0ES3_jN6thrust23THRUST_200600_302600_NS6detail15normal_iteratorINSA_10device_ptrIjEEEEPS6_NSA_18transform_iteratorI7is_evenIjESF_NSA_11use_defaultESK_EENS0_5tupleIJSF_NSA_16discard_iteratorISK_EEEEENSM_IJSG_SG_EEES6_PlJS6_EEE10hipError_tPvRmT3_T4_T5_T6_T7_T9_mT8_P12ihipStream_tbDpT10_ENKUlT_T0_E_clISt17integral_constantIbLb1EES1B_EEDaS16_S17_EUlS16_E_NS1_11comp_targetILNS1_3genE0ELNS1_11target_archE4294967295ELNS1_3gpuE0ELNS1_3repE0EEENS1_30default_config_static_selectorELNS0_4arch9wavefront6targetE1EEEvT1_,comdat
.Lfunc_end3011:
	.size	_ZN7rocprim17ROCPRIM_400000_NS6detail17trampoline_kernelINS0_14default_configENS1_25partition_config_selectorILNS1_17partition_subalgoE1EjNS0_10empty_typeEbEEZZNS1_14partition_implILS5_1ELb0ES3_jN6thrust23THRUST_200600_302600_NS6detail15normal_iteratorINSA_10device_ptrIjEEEEPS6_NSA_18transform_iteratorI7is_evenIjESF_NSA_11use_defaultESK_EENS0_5tupleIJSF_NSA_16discard_iteratorISK_EEEEENSM_IJSG_SG_EEES6_PlJS6_EEE10hipError_tPvRmT3_T4_T5_T6_T7_T9_mT8_P12ihipStream_tbDpT10_ENKUlT_T0_E_clISt17integral_constantIbLb1EES1B_EEDaS16_S17_EUlS16_E_NS1_11comp_targetILNS1_3genE0ELNS1_11target_archE4294967295ELNS1_3gpuE0ELNS1_3repE0EEENS1_30default_config_static_selectorELNS0_4arch9wavefront6targetE1EEEvT1_, .Lfunc_end3011-_ZN7rocprim17ROCPRIM_400000_NS6detail17trampoline_kernelINS0_14default_configENS1_25partition_config_selectorILNS1_17partition_subalgoE1EjNS0_10empty_typeEbEEZZNS1_14partition_implILS5_1ELb0ES3_jN6thrust23THRUST_200600_302600_NS6detail15normal_iteratorINSA_10device_ptrIjEEEEPS6_NSA_18transform_iteratorI7is_evenIjESF_NSA_11use_defaultESK_EENS0_5tupleIJSF_NSA_16discard_iteratorISK_EEEEENSM_IJSG_SG_EEES6_PlJS6_EEE10hipError_tPvRmT3_T4_T5_T6_T7_T9_mT8_P12ihipStream_tbDpT10_ENKUlT_T0_E_clISt17integral_constantIbLb1EES1B_EEDaS16_S17_EUlS16_E_NS1_11comp_targetILNS1_3genE0ELNS1_11target_archE4294967295ELNS1_3gpuE0ELNS1_3repE0EEENS1_30default_config_static_selectorELNS0_4arch9wavefront6targetE1EEEvT1_
                                        ; -- End function
	.section	.AMDGPU.csdata,"",@progbits
; Kernel info:
; codeLenInByte = 0
; NumSgprs: 6
; NumVgprs: 0
; NumAgprs: 0
; TotalNumVgprs: 0
; ScratchSize: 0
; MemoryBound: 0
; FloatMode: 240
; IeeeMode: 1
; LDSByteSize: 0 bytes/workgroup (compile time only)
; SGPRBlocks: 0
; VGPRBlocks: 0
; NumSGPRsForWavesPerEU: 6
; NumVGPRsForWavesPerEU: 1
; AccumOffset: 4
; Occupancy: 8
; WaveLimiterHint : 0
; COMPUTE_PGM_RSRC2:SCRATCH_EN: 0
; COMPUTE_PGM_RSRC2:USER_SGPR: 2
; COMPUTE_PGM_RSRC2:TRAP_HANDLER: 0
; COMPUTE_PGM_RSRC2:TGID_X_EN: 1
; COMPUTE_PGM_RSRC2:TGID_Y_EN: 0
; COMPUTE_PGM_RSRC2:TGID_Z_EN: 0
; COMPUTE_PGM_RSRC2:TIDIG_COMP_CNT: 0
; COMPUTE_PGM_RSRC3_GFX90A:ACCUM_OFFSET: 0
; COMPUTE_PGM_RSRC3_GFX90A:TG_SPLIT: 0
	.section	.text._ZN7rocprim17ROCPRIM_400000_NS6detail17trampoline_kernelINS0_14default_configENS1_25partition_config_selectorILNS1_17partition_subalgoE1EjNS0_10empty_typeEbEEZZNS1_14partition_implILS5_1ELb0ES3_jN6thrust23THRUST_200600_302600_NS6detail15normal_iteratorINSA_10device_ptrIjEEEEPS6_NSA_18transform_iteratorI7is_evenIjESF_NSA_11use_defaultESK_EENS0_5tupleIJSF_NSA_16discard_iteratorISK_EEEEENSM_IJSG_SG_EEES6_PlJS6_EEE10hipError_tPvRmT3_T4_T5_T6_T7_T9_mT8_P12ihipStream_tbDpT10_ENKUlT_T0_E_clISt17integral_constantIbLb1EES1B_EEDaS16_S17_EUlS16_E_NS1_11comp_targetILNS1_3genE5ELNS1_11target_archE942ELNS1_3gpuE9ELNS1_3repE0EEENS1_30default_config_static_selectorELNS0_4arch9wavefront6targetE1EEEvT1_,"axG",@progbits,_ZN7rocprim17ROCPRIM_400000_NS6detail17trampoline_kernelINS0_14default_configENS1_25partition_config_selectorILNS1_17partition_subalgoE1EjNS0_10empty_typeEbEEZZNS1_14partition_implILS5_1ELb0ES3_jN6thrust23THRUST_200600_302600_NS6detail15normal_iteratorINSA_10device_ptrIjEEEEPS6_NSA_18transform_iteratorI7is_evenIjESF_NSA_11use_defaultESK_EENS0_5tupleIJSF_NSA_16discard_iteratorISK_EEEEENSM_IJSG_SG_EEES6_PlJS6_EEE10hipError_tPvRmT3_T4_T5_T6_T7_T9_mT8_P12ihipStream_tbDpT10_ENKUlT_T0_E_clISt17integral_constantIbLb1EES1B_EEDaS16_S17_EUlS16_E_NS1_11comp_targetILNS1_3genE5ELNS1_11target_archE942ELNS1_3gpuE9ELNS1_3repE0EEENS1_30default_config_static_selectorELNS0_4arch9wavefront6targetE1EEEvT1_,comdat
	.protected	_ZN7rocprim17ROCPRIM_400000_NS6detail17trampoline_kernelINS0_14default_configENS1_25partition_config_selectorILNS1_17partition_subalgoE1EjNS0_10empty_typeEbEEZZNS1_14partition_implILS5_1ELb0ES3_jN6thrust23THRUST_200600_302600_NS6detail15normal_iteratorINSA_10device_ptrIjEEEEPS6_NSA_18transform_iteratorI7is_evenIjESF_NSA_11use_defaultESK_EENS0_5tupleIJSF_NSA_16discard_iteratorISK_EEEEENSM_IJSG_SG_EEES6_PlJS6_EEE10hipError_tPvRmT3_T4_T5_T6_T7_T9_mT8_P12ihipStream_tbDpT10_ENKUlT_T0_E_clISt17integral_constantIbLb1EES1B_EEDaS16_S17_EUlS16_E_NS1_11comp_targetILNS1_3genE5ELNS1_11target_archE942ELNS1_3gpuE9ELNS1_3repE0EEENS1_30default_config_static_selectorELNS0_4arch9wavefront6targetE1EEEvT1_ ; -- Begin function _ZN7rocprim17ROCPRIM_400000_NS6detail17trampoline_kernelINS0_14default_configENS1_25partition_config_selectorILNS1_17partition_subalgoE1EjNS0_10empty_typeEbEEZZNS1_14partition_implILS5_1ELb0ES3_jN6thrust23THRUST_200600_302600_NS6detail15normal_iteratorINSA_10device_ptrIjEEEEPS6_NSA_18transform_iteratorI7is_evenIjESF_NSA_11use_defaultESK_EENS0_5tupleIJSF_NSA_16discard_iteratorISK_EEEEENSM_IJSG_SG_EEES6_PlJS6_EEE10hipError_tPvRmT3_T4_T5_T6_T7_T9_mT8_P12ihipStream_tbDpT10_ENKUlT_T0_E_clISt17integral_constantIbLb1EES1B_EEDaS16_S17_EUlS16_E_NS1_11comp_targetILNS1_3genE5ELNS1_11target_archE942ELNS1_3gpuE9ELNS1_3repE0EEENS1_30default_config_static_selectorELNS0_4arch9wavefront6targetE1EEEvT1_
	.globl	_ZN7rocprim17ROCPRIM_400000_NS6detail17trampoline_kernelINS0_14default_configENS1_25partition_config_selectorILNS1_17partition_subalgoE1EjNS0_10empty_typeEbEEZZNS1_14partition_implILS5_1ELb0ES3_jN6thrust23THRUST_200600_302600_NS6detail15normal_iteratorINSA_10device_ptrIjEEEEPS6_NSA_18transform_iteratorI7is_evenIjESF_NSA_11use_defaultESK_EENS0_5tupleIJSF_NSA_16discard_iteratorISK_EEEEENSM_IJSG_SG_EEES6_PlJS6_EEE10hipError_tPvRmT3_T4_T5_T6_T7_T9_mT8_P12ihipStream_tbDpT10_ENKUlT_T0_E_clISt17integral_constantIbLb1EES1B_EEDaS16_S17_EUlS16_E_NS1_11comp_targetILNS1_3genE5ELNS1_11target_archE942ELNS1_3gpuE9ELNS1_3repE0EEENS1_30default_config_static_selectorELNS0_4arch9wavefront6targetE1EEEvT1_
	.p2align	8
	.type	_ZN7rocprim17ROCPRIM_400000_NS6detail17trampoline_kernelINS0_14default_configENS1_25partition_config_selectorILNS1_17partition_subalgoE1EjNS0_10empty_typeEbEEZZNS1_14partition_implILS5_1ELb0ES3_jN6thrust23THRUST_200600_302600_NS6detail15normal_iteratorINSA_10device_ptrIjEEEEPS6_NSA_18transform_iteratorI7is_evenIjESF_NSA_11use_defaultESK_EENS0_5tupleIJSF_NSA_16discard_iteratorISK_EEEEENSM_IJSG_SG_EEES6_PlJS6_EEE10hipError_tPvRmT3_T4_T5_T6_T7_T9_mT8_P12ihipStream_tbDpT10_ENKUlT_T0_E_clISt17integral_constantIbLb1EES1B_EEDaS16_S17_EUlS16_E_NS1_11comp_targetILNS1_3genE5ELNS1_11target_archE942ELNS1_3gpuE9ELNS1_3repE0EEENS1_30default_config_static_selectorELNS0_4arch9wavefront6targetE1EEEvT1_,@function
_ZN7rocprim17ROCPRIM_400000_NS6detail17trampoline_kernelINS0_14default_configENS1_25partition_config_selectorILNS1_17partition_subalgoE1EjNS0_10empty_typeEbEEZZNS1_14partition_implILS5_1ELb0ES3_jN6thrust23THRUST_200600_302600_NS6detail15normal_iteratorINSA_10device_ptrIjEEEEPS6_NSA_18transform_iteratorI7is_evenIjESF_NSA_11use_defaultESK_EENS0_5tupleIJSF_NSA_16discard_iteratorISK_EEEEENSM_IJSG_SG_EEES6_PlJS6_EEE10hipError_tPvRmT3_T4_T5_T6_T7_T9_mT8_P12ihipStream_tbDpT10_ENKUlT_T0_E_clISt17integral_constantIbLb1EES1B_EEDaS16_S17_EUlS16_E_NS1_11comp_targetILNS1_3genE5ELNS1_11target_archE942ELNS1_3gpuE9ELNS1_3repE0EEENS1_30default_config_static_selectorELNS0_4arch9wavefront6targetE1EEEvT1_: ; @_ZN7rocprim17ROCPRIM_400000_NS6detail17trampoline_kernelINS0_14default_configENS1_25partition_config_selectorILNS1_17partition_subalgoE1EjNS0_10empty_typeEbEEZZNS1_14partition_implILS5_1ELb0ES3_jN6thrust23THRUST_200600_302600_NS6detail15normal_iteratorINSA_10device_ptrIjEEEEPS6_NSA_18transform_iteratorI7is_evenIjESF_NSA_11use_defaultESK_EENS0_5tupleIJSF_NSA_16discard_iteratorISK_EEEEENSM_IJSG_SG_EEES6_PlJS6_EEE10hipError_tPvRmT3_T4_T5_T6_T7_T9_mT8_P12ihipStream_tbDpT10_ENKUlT_T0_E_clISt17integral_constantIbLb1EES1B_EEDaS16_S17_EUlS16_E_NS1_11comp_targetILNS1_3genE5ELNS1_11target_archE942ELNS1_3gpuE9ELNS1_3repE0EEENS1_30default_config_static_selectorELNS0_4arch9wavefront6targetE1EEEvT1_
; %bb.0:
	s_load_dwordx2 s[2:3], s[0:1], 0x20
	s_load_dwordx4 s[20:23], s[0:1], 0x58
	s_load_dwordx2 s[10:11], s[0:1], 0x68
	s_load_dwordx2 s[28:29], s[0:1], 0x78
	v_cmp_eq_u32_e64 s[18:19], 0, v0
	s_and_saveexec_b64 s[4:5], s[18:19]
	s_cbranch_execz .LBB3012_4
; %bb.1:
	s_mov_b64 s[8:9], exec
	v_mbcnt_lo_u32_b32 v1, s8, 0
	v_mbcnt_hi_u32_b32 v1, s9, v1
	v_cmp_eq_u32_e32 vcc, 0, v1
                                        ; implicit-def: $vgpr2
	s_and_saveexec_b64 s[6:7], vcc
	s_cbranch_execz .LBB3012_3
; %bb.2:
	s_load_dwordx2 s[12:13], s[0:1], 0x88
	s_bcnt1_i32_b64 s8, s[8:9]
	v_mov_b32_e32 v2, 0
	v_mov_b32_e32 v3, s8
	s_waitcnt lgkmcnt(0)
	global_atomic_add v2, v2, v3, s[12:13] sc0
.LBB3012_3:
	s_or_b64 exec, exec, s[6:7]
	s_waitcnt vmcnt(0)
	v_readfirstlane_b32 s6, v2
	v_mov_b32_e32 v2, 0
	s_nop 0
	v_add_u32_e32 v1, s6, v1
	ds_write_b32 v2, v1
.LBB3012_4:
	s_or_b64 exec, exec, s[4:5]
	v_mov_b32_e32 v25, 0
	s_load_dwordx4 s[4:7], s[0:1], 0x8
	s_load_dwordx2 s[24:25], s[0:1], 0x30
	s_load_dword s12, s[0:1], 0x80
	s_waitcnt lgkmcnt(0)
	s_barrier
	ds_read_b32 v1, v25
	s_waitcnt lgkmcnt(0)
	s_barrier
	global_load_dwordx2 v[22:23], v25, s[22:23]
	s_lshl_b64 s[8:9], s[6:7], 2
	v_mov_b32_e32 v3, s11
	s_add_u32 s11, s4, s8
	s_mul_i32 s4, s12, 0x1e00
	s_addc_u32 s13, s5, s9
	s_add_i32 s1, s4, s6
	s_sub_i32 s33, s10, s1
	s_add_i32 s14, s12, -1
	s_addk_i32 s33, 0x1e00
	s_add_u32 s4, s6, s4
	v_readfirstlane_b32 s36, v1
	s_addc_u32 s5, s7, 0
	s_cmp_eq_u32 s36, s14
	v_mov_b32_e32 v2, s10
	s_cselect_b64 s[22:23], -1, 0
	s_cmp_lg_u32 s36, s14
	s_mul_i32 s0, s36, 0x1e00
	s_mov_b32 s1, 0
	v_cmp_lt_u64_e32 vcc, s[4:5], v[2:3]
	s_cselect_b64 s[4:5], -1, 0
	s_or_b64 s[26:27], vcc, s[4:5]
	s_lshl_b64 s[4:5], s[0:1], 2
	s_add_u32 s6, s11, s4
	s_addc_u32 s7, s13, s5
	s_mov_b64 s[0:1], -1
	s_and_b64 vcc, exec, s[26:27]
	v_lshlrev_b32_e32 v24, 2, v0
	s_cbranch_vccz .LBB3012_6
; %bb.5:
	v_lshl_add_u64 v[2:3], s[6:7], 0, v[24:25]
	v_add_co_u32_e32 v4, vcc, 0x1000, v2
	s_mov_b64 s[0:1], 0
	s_nop 0
	v_addc_co_u32_e32 v5, vcc, 0, v3, vcc
	v_add_co_u32_e32 v6, vcc, 0x2000, v2
	s_nop 1
	v_addc_co_u32_e32 v7, vcc, 0, v3, vcc
	v_add_co_u32_e32 v8, vcc, 0x3000, v2
	s_nop 1
	v_addc_co_u32_e32 v9, vcc, 0, v3, vcc
	flat_load_dword v1, v[2:3]
	flat_load_dword v10, v[2:3] offset:2048
	flat_load_dword v11, v[4:5]
	flat_load_dword v12, v[4:5] offset:2048
	;; [unrolled: 2-line block ×4, first 2 shown]
	v_add_co_u32_e32 v4, vcc, 0x4000, v2
	s_nop 1
	v_addc_co_u32_e32 v5, vcc, 0, v3, vcc
	v_add_co_u32_e32 v6, vcc, 0x5000, v2
	s_nop 1
	v_addc_co_u32_e32 v7, vcc, 0, v3, vcc
	;; [unrolled: 3-line block ×4, first 2 shown]
	flat_load_dword v17, v[4:5]
	flat_load_dword v18, v[4:5] offset:2048
	flat_load_dword v19, v[6:7]
	flat_load_dword v20, v[6:7] offset:2048
	flat_load_dword v21, v[8:9]
	flat_load_dword v25, v[8:9] offset:2048
	flat_load_dword v26, v[2:3]
	s_waitcnt vmcnt(0) lgkmcnt(0)
	ds_write2st64_b32 v24, v1, v10 offset1:8
	ds_write2st64_b32 v24, v11, v12 offset0:16 offset1:24
	ds_write2st64_b32 v24, v13, v14 offset0:32 offset1:40
	;; [unrolled: 1-line block ×6, first 2 shown]
	ds_write_b32 v24, v26 offset:28672
	s_waitcnt lgkmcnt(0)
	s_barrier
.LBB3012_6:
	s_andn2_b64 vcc, exec, s[0:1]
	v_cmp_gt_u32_e64 s[0:1], s33, v0
	s_cbranch_vccnz .LBB3012_38
; %bb.7:
                                        ; implicit-def: $vgpr2_vgpr3_vgpr4_vgpr5_vgpr6_vgpr7_vgpr8_vgpr9_vgpr10_vgpr11_vgpr12_vgpr13_vgpr14_vgpr15_vgpr16_vgpr17
	s_and_saveexec_b64 s[10:11], s[0:1]
	s_cbranch_execz .LBB3012_9
; %bb.8:
	v_mov_b32_e32 v25, 0
	v_lshl_add_u64 v[2:3], s[6:7], 0, v[24:25]
	flat_load_dword v2, v[2:3]
.LBB3012_9:
	s_or_b64 exec, exec, s[10:11]
	v_or_b32_e32 v1, 0x200, v0
	v_cmp_gt_u32_e32 vcc, s33, v1
	s_and_saveexec_b64 s[0:1], vcc
	s_cbranch_execz .LBB3012_11
; %bb.10:
	v_mov_b32_e32 v25, 0
	v_lshl_add_u64 v[18:19], s[6:7], 0, v[24:25]
	flat_load_dword v3, v[18:19] offset:2048
.LBB3012_11:
	s_or_b64 exec, exec, s[0:1]
	v_or_b32_e32 v1, 0x400, v0
	v_cmp_gt_u32_e32 vcc, s33, v1
	s_and_saveexec_b64 s[0:1], vcc
	s_cbranch_execz .LBB3012_13
; %bb.12:
	v_lshlrev_b32_e32 v18, 2, v1
	v_mov_b32_e32 v19, 0
	v_lshl_add_u64 v[18:19], s[6:7], 0, v[18:19]
	flat_load_dword v4, v[18:19]
.LBB3012_13:
	s_or_b64 exec, exec, s[0:1]
	v_or_b32_e32 v1, 0x600, v0
	v_cmp_gt_u32_e32 vcc, s33, v1
	s_and_saveexec_b64 s[0:1], vcc
	s_cbranch_execz .LBB3012_15
; %bb.14:
	v_lshlrev_b32_e32 v18, 2, v1
	v_mov_b32_e32 v19, 0
	v_lshl_add_u64 v[18:19], s[6:7], 0, v[18:19]
	flat_load_dword v5, v[18:19]
.LBB3012_15:
	;; [unrolled: 11-line block ×13, first 2 shown]
	s_or_b64 exec, exec, s[0:1]
	s_waitcnt vmcnt(0) lgkmcnt(0)
	ds_write2st64_b32 v24, v2, v3 offset1:8
	ds_write2st64_b32 v24, v4, v5 offset0:16 offset1:24
	ds_write2st64_b32 v24, v6, v7 offset0:32 offset1:40
	;; [unrolled: 1-line block ×6, first 2 shown]
	ds_write_b32 v24, v16 offset:28672
	s_waitcnt lgkmcnt(0)
	s_barrier
.LBB3012_38:
	v_mul_u32_u24_e32 v21, 15, v0
	v_lshlrev_b32_e32 v1, 2, v21
	ds_read2_b32 v[38:39], v1 offset1:1
	ds_read2_b32 v[36:37], v1 offset0:2 offset1:3
	ds_read2_b32 v[34:35], v1 offset0:4 offset1:5
	;; [unrolled: 1-line block ×6, first 2 shown]
	ds_read_b32 v1, v1 offset:56
	s_add_u32 s0, s2, s8
	s_addc_u32 s1, s3, s9
	s_add_u32 s0, s0, s4
	s_addc_u32 s1, s1, s5
	s_mov_b64 s[2:3], -1
	s_and_b64 vcc, exec, s[26:27]
	s_waitcnt lgkmcnt(0)
	s_barrier
	s_cbranch_vccz .LBB3012_40
; %bb.39:
	v_mov_b32_e32 v25, 0
	v_lshl_add_u64 v[2:3], s[0:1], 0, v[24:25]
	v_add_co_u32_e32 v4, vcc, 0x1000, v2
	global_load_dword v10, v24, s[0:1]
	global_load_dword v11, v24, s[0:1] offset:2048
	v_addc_co_u32_e32 v5, vcc, 0, v3, vcc
	v_add_co_u32_e32 v6, vcc, 0x2000, v2
	s_mov_b64 s[2:3], 0
	s_nop 0
	v_addc_co_u32_e32 v7, vcc, 0, v3, vcc
	v_add_co_u32_e32 v8, vcc, 0x3000, v2
	s_nop 1
	v_addc_co_u32_e32 v9, vcc, 0, v3, vcc
	global_load_dword v12, v[4:5], off
	global_load_dword v13, v[4:5], off offset:2048
	global_load_dword v14, v[6:7], off
	global_load_dword v15, v[6:7], off offset:2048
	;; [unrolled: 2-line block ×3, first 2 shown]
	v_add_co_u32_e32 v4, vcc, 0x4000, v2
	s_nop 1
	v_addc_co_u32_e32 v5, vcc, 0, v3, vcc
	global_load_dword v6, v[4:5], off
	global_load_dword v7, v[4:5], off offset:2048
	v_add_co_u32_e32 v4, vcc, 0x5000, v2
	s_waitcnt vmcnt(1)
	v_xor_b32_e32 v6, -1, v6
	v_addc_co_u32_e32 v5, vcc, 0, v3, vcc
	global_load_dword v8, v[4:5], off
	global_load_dword v9, v[4:5], off offset:2048
	v_add_co_u32_e32 v4, vcc, 0x6000, v2
	s_waitcnt vmcnt(2)
	v_xor_b32_e32 v7, -1, v7
	v_addc_co_u32_e32 v5, vcc, 0, v3, vcc
	v_add_co_u32_e32 v2, vcc, 0x7000, v2
	global_load_dword v18, v[4:5], off
	global_load_dword v19, v[4:5], off offset:2048
	v_addc_co_u32_e32 v3, vcc, 0, v3, vcc
	global_load_dword v2, v[2:3], off
	v_xor_b32_e32 v3, -1, v10
	v_xor_b32_e32 v4, -1, v11
	v_and_b32_e32 v3, 1, v3
	v_and_b32_e32 v4, 1, v4
	ds_write_b8 v0, v3
	ds_write_b8 v0, v4 offset:512
	v_xor_b32_e32 v3, -1, v12
	v_xor_b32_e32 v4, -1, v13
	;; [unrolled: 1-line block ×3, first 2 shown]
	v_and_b32_e32 v3, 1, v3
	v_and_b32_e32 v4, 1, v4
	v_xor_b32_e32 v10, -1, v15
	v_and_b32_e32 v5, 1, v5
	v_xor_b32_e32 v11, -1, v16
	v_xor_b32_e32 v12, -1, v17
	v_and_b32_e32 v10, 1, v10
	ds_write_b8 v0, v3 offset:1024
	ds_write_b8 v0, v4 offset:1536
	v_and_b32_e32 v3, 1, v11
	v_and_b32_e32 v4, 1, v12
	ds_write_b8 v0, v5 offset:2048
	ds_write_b8 v0, v10 offset:2560
	v_and_b32_e32 v5, 1, v6
	v_and_b32_e32 v6, 1, v7
	ds_write_b8 v0, v3 offset:3072
	ds_write_b8 v0, v4 offset:3584
	;; [unrolled: 1-line block ×4, first 2 shown]
	s_waitcnt vmcnt(4)
	v_xor_b32_e32 v7, -1, v8
	s_waitcnt vmcnt(3)
	v_xor_b32_e32 v8, -1, v9
	v_and_b32_e32 v3, 1, v7
	v_and_b32_e32 v4, 1, v8
	s_waitcnt vmcnt(2)
	v_xor_b32_e32 v7, -1, v18
	s_waitcnt vmcnt(1)
	v_xor_b32_e32 v8, -1, v19
	v_and_b32_e32 v5, 1, v7
	v_and_b32_e32 v6, 1, v8
	s_waitcnt vmcnt(0)
	v_xor_b32_e32 v2, -1, v2
	v_and_b32_e32 v2, 1, v2
	ds_write_b8 v0, v3 offset:5120
	ds_write_b8 v0, v4 offset:5632
	;; [unrolled: 1-line block ×5, first 2 shown]
	s_waitcnt lgkmcnt(0)
	s_barrier
.LBB3012_40:
	s_andn2_b64 vcc, exec, s[2:3]
	s_cbranch_vccnz .LBB3012_72
; %bb.41:
	v_cmp_gt_u32_e32 vcc, s33, v0
	v_mov_b32_e32 v2, 0
	v_mov_b32_e32 v3, 0
	s_and_saveexec_b64 s[2:3], vcc
	s_cbranch_execz .LBB3012_43
; %bb.42:
	global_load_dword v3, v24, s[0:1]
	s_waitcnt vmcnt(0)
	v_xor_b32_e32 v3, -1, v3
	v_and_b32_e32 v3, 1, v3
.LBB3012_43:
	s_or_b64 exec, exec, s[2:3]
	v_or_b32_e32 v4, 0x200, v0
	v_cmp_gt_u32_e32 vcc, s33, v4
	s_and_saveexec_b64 s[2:3], vcc
	s_cbranch_execz .LBB3012_45
; %bb.44:
	global_load_dword v2, v24, s[0:1] offset:2048
	s_waitcnt vmcnt(0)
	v_xor_b32_e32 v2, -1, v2
	v_and_b32_e32 v2, 1, v2
.LBB3012_45:
	s_or_b64 exec, exec, s[2:3]
	v_or_b32_e32 v6, 0x400, v0
	v_cmp_gt_u32_e32 vcc, s33, v6
	v_mov_b32_e32 v4, 0
	v_mov_b32_e32 v5, 0
	s_and_saveexec_b64 s[2:3], vcc
	s_cbranch_execz .LBB3012_47
; %bb.46:
	v_lshlrev_b32_e32 v5, 2, v6
	global_load_dword v5, v5, s[0:1]
	s_waitcnt vmcnt(0)
	v_xor_b32_e32 v5, -1, v5
	v_and_b32_e32 v5, 1, v5
.LBB3012_47:
	s_or_b64 exec, exec, s[2:3]
	v_or_b32_e32 v6, 0x600, v0
	v_cmp_gt_u32_e32 vcc, s33, v6
	s_and_saveexec_b64 s[2:3], vcc
	s_cbranch_execz .LBB3012_49
; %bb.48:
	v_lshlrev_b32_e32 v4, 2, v6
	global_load_dword v4, v4, s[0:1]
	s_waitcnt vmcnt(0)
	v_xor_b32_e32 v4, -1, v4
	v_and_b32_e32 v4, 1, v4
.LBB3012_49:
	s_or_b64 exec, exec, s[2:3]
	v_or_b32_e32 v8, 0x800, v0
	v_cmp_gt_u32_e32 vcc, s33, v8
	v_mov_b32_e32 v6, 0
	v_mov_b32_e32 v7, 0
	s_and_saveexec_b64 s[2:3], vcc
	s_cbranch_execz .LBB3012_51
; %bb.50:
	v_lshlrev_b32_e32 v7, 2, v8
	global_load_dword v7, v7, s[0:1]
	s_waitcnt vmcnt(0)
	v_xor_b32_e32 v7, -1, v7
	v_and_b32_e32 v7, 1, v7
.LBB3012_51:
	s_or_b64 exec, exec, s[2:3]
	v_or_b32_e32 v8, 0xa00, v0
	v_cmp_gt_u32_e32 vcc, s33, v8
	s_and_saveexec_b64 s[2:3], vcc
	s_cbranch_execz .LBB3012_53
; %bb.52:
	v_lshlrev_b32_e32 v6, 2, v8
	global_load_dword v6, v6, s[0:1]
	s_waitcnt vmcnt(0)
	v_xor_b32_e32 v6, -1, v6
	v_and_b32_e32 v6, 1, v6
.LBB3012_53:
	;; [unrolled: 26-line block ×6, first 2 shown]
	s_or_b64 exec, exec, s[2:3]
	v_or_b32_e32 v17, 0x1c00, v0
	v_cmp_gt_u32_e32 vcc, s33, v17
	v_mov_b32_e32 v16, 0
	s_and_saveexec_b64 s[2:3], vcc
	s_cbranch_execz .LBB3012_71
; %bb.70:
	v_lshlrev_b32_e32 v16, 2, v17
	global_load_dword v16, v16, s[0:1]
	s_waitcnt vmcnt(0)
	v_xor_b32_e32 v16, -1, v16
	v_and_b32_e32 v16, 1, v16
.LBB3012_71:
	s_or_b64 exec, exec, s[2:3]
	ds_write_b8 v0, v3
	ds_write_b8 v0, v2 offset:512
	ds_write_b8 v0, v5 offset:1024
	;; [unrolled: 1-line block ×14, first 2 shown]
	s_waitcnt lgkmcnt(0)
	s_barrier
.LBB3012_72:
	ds_read_b96 v[18:20], v21
	ds_read_u8 v2, v21 offset:12
	ds_read_u8 v3, v21 offset:13
	;; [unrolled: 1-line block ×3, first 2 shown]
	s_cmp_lg_u32 s36, 0
	v_lshrrev_b32_e32 v58, 6, v0
	s_waitcnt lgkmcnt(2)
	v_and_b32_e32 v45, 1, v2
	v_and_b32_e32 v54, 0xff, v18
	v_bfe_u32 v55, v18, 8, 8
	v_bfe_u32 v56, v18, 16, 8
	v_lshrrev_b32_e32 v47, 24, v18
	v_and_b32_e32 v51, 0xff, v19
	v_add3_u32 v2, v55, v54, v56
	v_bfe_u32 v52, v19, 8, 8
	v_bfe_u32 v53, v19, 16, 8
	v_add3_u32 v2, v2, v47, v51
	v_lshrrev_b32_e32 v46, 24, v19
	v_and_b32_e32 v48, 0xff, v20
	v_add3_u32 v2, v2, v52, v53
	v_bfe_u32 v49, v20, 8, 8
	v_bfe_u32 v50, v20, 16, 8
	v_add3_u32 v2, v2, v46, v48
	v_lshrrev_b32_e32 v44, 24, v20
	v_add3_u32 v2, v2, v49, v50
	s_waitcnt lgkmcnt(1)
	v_and_b32_e32 v43, 1, v3
	s_waitcnt lgkmcnt(0)
	v_and_b32_e32 v25, 1, v4
	v_add3_u32 v2, v2, v44, v45
	v_add3_u32 v59, v2, v43, v25
	v_mbcnt_lo_u32_b32 v2, -1, 0
	v_mbcnt_hi_u32_b32 v57, -1, v2
	v_and_b32_e32 v2, 15, v57
	v_cmp_eq_u32_e64 s[14:15], 0, v2
	v_cmp_lt_u32_e64 s[12:13], 1, v2
	v_cmp_lt_u32_e64 s[10:11], 3, v2
	;; [unrolled: 1-line block ×3, first 2 shown]
	v_and_b32_e32 v2, 16, v57
	v_cmp_eq_u32_e64 s[6:7], 0, v2
	v_or_b32_e32 v2, 63, v0
	v_cmp_lt_u32_e64 s[2:3], 31, v57
	v_cmp_eq_u32_e64 s[4:5], v2, v0
	s_barrier
	s_cbranch_scc0 .LBB3012_103
; %bb.73:
	v_mov_b32_dpp v2, v59 row_shr:1 row_mask:0xf bank_mask:0xf
	v_cndmask_b32_e64 v2, v2, 0, s[14:15]
	v_add_u32_e32 v2, v2, v59
	s_nop 1
	v_mov_b32_dpp v3, v2 row_shr:2 row_mask:0xf bank_mask:0xf
	v_cndmask_b32_e64 v3, 0, v3, s[12:13]
	v_add_u32_e32 v2, v2, v3
	s_nop 1
	;; [unrolled: 4-line block ×4, first 2 shown]
	v_mov_b32_dpp v3, v2 row_bcast:15 row_mask:0xf bank_mask:0xf
	v_cndmask_b32_e64 v3, v3, 0, s[6:7]
	v_add_u32_e32 v2, v2, v3
	s_nop 1
	v_mov_b32_dpp v3, v2 row_bcast:31 row_mask:0xf bank_mask:0xf
	v_cndmask_b32_e64 v3, 0, v3, s[2:3]
	v_add_u32_e32 v2, v2, v3
	s_and_saveexec_b64 s[0:1], s[4:5]
	s_cbranch_execz .LBB3012_75
; %bb.74:
	v_lshlrev_b32_e32 v3, 2, v58
	ds_write_b32 v3, v2
.LBB3012_75:
	s_or_b64 exec, exec, s[0:1]
	v_cmp_gt_u32_e32 vcc, 8, v0
	s_waitcnt lgkmcnt(0)
	s_barrier
	s_and_saveexec_b64 s[0:1], vcc
	s_cbranch_execz .LBB3012_77
; %bb.76:
	ds_read_b32 v3, v24
	v_and_b32_e32 v4, 7, v57
	v_cmp_ne_u32_e32 vcc, 0, v4
	s_waitcnt lgkmcnt(0)
	v_mov_b32_dpp v5, v3 row_shr:1 row_mask:0xf bank_mask:0xf
	v_cndmask_b32_e32 v5, 0, v5, vcc
	v_add_u32_e32 v3, v5, v3
	v_cmp_lt_u32_e32 vcc, 1, v4
	s_nop 0
	v_mov_b32_dpp v5, v3 row_shr:2 row_mask:0xf bank_mask:0xf
	v_cndmask_b32_e32 v5, 0, v5, vcc
	v_add_u32_e32 v3, v3, v5
	v_cmp_lt_u32_e32 vcc, 3, v4
	s_nop 0
	v_mov_b32_dpp v5, v3 row_shr:4 row_mask:0xf bank_mask:0xf
	v_cndmask_b32_e32 v4, 0, v5, vcc
	v_add_u32_e32 v3, v3, v4
	ds_write_b32 v24, v3
.LBB3012_77:
	s_or_b64 exec, exec, s[0:1]
	v_cmp_gt_u32_e32 vcc, 64, v0
	v_cmp_lt_u32_e64 s[0:1], 63, v0
	s_waitcnt lgkmcnt(0)
	s_barrier
	s_waitcnt lgkmcnt(0)
                                        ; implicit-def: $vgpr12
	s_and_saveexec_b64 s[16:17], s[0:1]
	s_cbranch_execz .LBB3012_79
; %bb.78:
	v_lshl_add_u32 v3, v58, 2, -4
	ds_read_b32 v12, v3
	s_waitcnt lgkmcnt(0)
	v_add_u32_e32 v2, v12, v2
.LBB3012_79:
	s_or_b64 exec, exec, s[16:17]
	v_add_u32_e32 v3, -1, v57
	v_and_b32_e32 v4, 64, v57
	v_cmp_lt_i32_e64 s[0:1], v3, v4
	v_cmp_eq_u32_e64 s[16:17], 0, v57
	s_nop 0
	v_cndmask_b32_e64 v3, v3, v57, s[0:1]
	v_lshlrev_b32_e32 v3, 2, v3
	ds_bpermute_b32 v13, v3, v2
	s_and_saveexec_b64 s[0:1], vcc
	s_cbranch_execz .LBB3012_102
; %bb.80:
	v_mov_b32_e32 v11, 0
	ds_read_b32 v2, v11 offset:28
	s_and_saveexec_b64 s[30:31], s[16:17]
	s_cbranch_execz .LBB3012_82
; %bb.81:
	s_add_i32 s34, s36, 64
	s_mov_b32 s35, 0
	s_lshl_b64 s[34:35], s[34:35], 3
	s_add_u32 s34, s28, s34
	v_mov_b32_e32 v3, 1
	s_addc_u32 s35, s29, s35
	s_waitcnt lgkmcnt(0)
	global_store_dwordx2 v11, v[2:3], s[34:35] sc1
.LBB3012_82:
	s_or_b64 exec, exec, s[30:31]
	v_xad_u32 v4, v57, -1, s36
	v_add_u32_e32 v10, 64, v4
	v_lshl_add_u64 v[6:7], v[10:11], 3, s[28:29]
	global_load_dwordx2 v[8:9], v[6:7], off sc1
	s_waitcnt vmcnt(0)
	v_cmp_eq_u16_sdwa s[34:35], v9, v11 src0_sel:BYTE_0 src1_sel:DWORD
	s_and_saveexec_b64 s[30:31], s[34:35]
	s_cbranch_execz .LBB3012_88
; %bb.83:
	s_mov_b32 s37, 1
	s_mov_b64 s[34:35], 0
	v_mov_b32_e32 v3, 0
.LBB3012_84:                            ; =>This Loop Header: Depth=1
                                        ;     Child Loop BB3012_85 Depth 2
	s_max_u32 s38, s37, 1
.LBB3012_85:                            ;   Parent Loop BB3012_84 Depth=1
                                        ; =>  This Inner Loop Header: Depth=2
	s_add_i32 s38, s38, -1
	s_cmp_eq_u32 s38, 0
	s_sleep 1
	s_cbranch_scc0 .LBB3012_85
; %bb.86:                               ;   in Loop: Header=BB3012_84 Depth=1
	global_load_dwordx2 v[8:9], v[6:7], off sc1
	s_cmp_lt_u32 s37, 32
	s_cselect_b64 s[38:39], -1, 0
	s_cmp_lg_u64 s[38:39], 0
	s_addc_u32 s37, s37, 0
	s_waitcnt vmcnt(0)
	v_cmp_ne_u16_sdwa s[38:39], v9, v3 src0_sel:BYTE_0 src1_sel:DWORD
	s_or_b64 s[34:35], s[38:39], s[34:35]
	s_andn2_b64 exec, exec, s[34:35]
	s_cbranch_execnz .LBB3012_84
; %bb.87:
	s_or_b64 exec, exec, s[34:35]
.LBB3012_88:
	s_or_b64 exec, exec, s[30:31]
	v_and_b32_e32 v15, 63, v57
	v_mov_b32_e32 v14, 2
	v_cmp_ne_u32_e32 vcc, 63, v15
	v_cmp_eq_u16_sdwa s[30:31], v9, v14 src0_sel:BYTE_0 src1_sel:DWORD
	v_lshlrev_b64 v[6:7], v57, -1
	v_addc_co_u32_e32 v10, vcc, 0, v57, vcc
	v_and_b32_e32 v3, s31, v7
	v_lshlrev_b32_e32 v16, 2, v10
	v_or_b32_e32 v3, 0x80000000, v3
	ds_bpermute_b32 v10, v16, v8
	v_and_b32_e32 v5, s30, v6
	v_ffbl_b32_e32 v3, v3
	v_add_u32_e32 v3, 32, v3
	v_ffbl_b32_e32 v5, v5
	v_min_u32_e32 v3, v5, v3
	v_cmp_lt_u32_e32 vcc, v15, v3
	v_add_u32_e32 v40, 2, v15
	v_add_u32_e32 v42, 4, v15
	s_waitcnt lgkmcnt(0)
	v_cndmask_b32_e32 v5, 0, v10, vcc
	v_cmp_gt_u32_e32 vcc, 62, v15
	v_add_u32_e32 v5, v5, v8
	v_add_u32_e32 v61, 8, v15
	v_cndmask_b32_e64 v8, 0, 1, vcc
	v_lshlrev_b32_e32 v8, 1, v8
	v_add_lshl_u32 v17, v8, v57, 2
	ds_bpermute_b32 v8, v17, v5
	v_cmp_le_u32_e32 vcc, v40, v3
	v_add_u32_e32 v63, 16, v15
	v_add_u32_e32 v65, 32, v15
	s_waitcnt lgkmcnt(0)
	v_cndmask_b32_e32 v8, 0, v8, vcc
	v_cmp_gt_u32_e32 vcc, 60, v15
	v_add_u32_e32 v5, v5, v8
	s_nop 0
	v_cndmask_b32_e64 v8, 0, 1, vcc
	v_lshlrev_b32_e32 v8, 2, v8
	v_add_lshl_u32 v41, v8, v57, 2
	ds_bpermute_b32 v8, v41, v5
	v_cmp_le_u32_e32 vcc, v42, v3
	s_waitcnt lgkmcnt(0)
	s_nop 0
	v_cndmask_b32_e32 v8, 0, v8, vcc
	v_cmp_gt_u32_e32 vcc, 56, v15
	v_add_u32_e32 v5, v5, v8
	s_nop 0
	v_cndmask_b32_e64 v8, 0, 1, vcc
	v_lshlrev_b32_e32 v8, 3, v8
	v_add_lshl_u32 v60, v8, v57, 2
	ds_bpermute_b32 v8, v60, v5
	v_cmp_le_u32_e32 vcc, v61, v3
	s_waitcnt lgkmcnt(0)
	s_nop 0
	;; [unrolled: 11-line block ×4, first 2 shown]
	v_cndmask_b32_e32 v3, 0, v8, vcc
	v_add_u32_e32 v8, v5, v3
	v_mov_b32_e32 v5, 0
	s_branch .LBB3012_90
.LBB3012_89:                            ;   in Loop: Header=BB3012_90 Depth=1
	s_or_b64 exec, exec, s[30:31]
	v_cmp_eq_u16_sdwa s[30:31], v9, v14 src0_sel:BYTE_0 src1_sel:DWORD
	ds_bpermute_b32 v66, v16, v8
	v_subrev_u32_e32 v4, 64, v4
	v_and_b32_e32 v10, s31, v7
	v_or_b32_e32 v10, 0x80000000, v10
	v_and_b32_e32 v11, s30, v6
	v_ffbl_b32_e32 v10, v10
	v_add_u32_e32 v10, 32, v10
	v_ffbl_b32_e32 v11, v11
	v_min_u32_e32 v10, v11, v10
	v_cmp_lt_u32_e32 vcc, v15, v10
	s_waitcnt lgkmcnt(0)
	s_nop 0
	v_cndmask_b32_e32 v11, 0, v66, vcc
	v_add_u32_e32 v8, v11, v8
	ds_bpermute_b32 v11, v17, v8
	v_cmp_le_u32_e32 vcc, v40, v10
	s_waitcnt lgkmcnt(0)
	s_nop 0
	v_cndmask_b32_e32 v11, 0, v11, vcc
	v_add_u32_e32 v8, v8, v11
	ds_bpermute_b32 v11, v41, v8
	v_cmp_le_u32_e32 vcc, v42, v10
	;; [unrolled: 6-line block ×5, first 2 shown]
	s_waitcnt lgkmcnt(0)
	s_nop 0
	v_cndmask_b32_e32 v10, 0, v11, vcc
	v_add3_u32 v8, v10, v3, v8
.LBB3012_90:                            ; =>This Loop Header: Depth=1
                                        ;     Child Loop BB3012_93 Depth 2
                                        ;       Child Loop BB3012_94 Depth 3
	v_cmp_ne_u16_sdwa s[30:31], v9, v14 src0_sel:BYTE_0 src1_sel:DWORD
	s_nop 1
	v_cndmask_b32_e64 v3, 0, 1, s[30:31]
	;;#ASMSTART
	;;#ASMEND
	s_nop 0
	v_cmp_ne_u32_e32 vcc, 0, v3
	s_cmp_lg_u64 vcc, exec
	v_mov_b32_e32 v3, v8
	s_cbranch_scc1 .LBB3012_97
; %bb.91:                               ;   in Loop: Header=BB3012_90 Depth=1
	v_lshl_add_u64 v[10:11], v[4:5], 3, s[28:29]
	global_load_dwordx2 v[8:9], v[10:11], off sc1
	s_waitcnt vmcnt(0)
	v_cmp_eq_u16_sdwa s[34:35], v9, v5 src0_sel:BYTE_0 src1_sel:DWORD
	s_and_saveexec_b64 s[30:31], s[34:35]
	s_cbranch_execz .LBB3012_89
; %bb.92:                               ;   in Loop: Header=BB3012_90 Depth=1
	s_mov_b32 s37, 1
	s_mov_b64 s[34:35], 0
.LBB3012_93:                            ;   Parent Loop BB3012_90 Depth=1
                                        ; =>  This Loop Header: Depth=2
                                        ;       Child Loop BB3012_94 Depth 3
	s_max_u32 s38, s37, 1
.LBB3012_94:                            ;   Parent Loop BB3012_90 Depth=1
                                        ;     Parent Loop BB3012_93 Depth=2
                                        ; =>    This Inner Loop Header: Depth=3
	s_add_i32 s38, s38, -1
	s_cmp_eq_u32 s38, 0
	s_sleep 1
	s_cbranch_scc0 .LBB3012_94
; %bb.95:                               ;   in Loop: Header=BB3012_93 Depth=2
	global_load_dwordx2 v[8:9], v[10:11], off sc1
	s_cmp_lt_u32 s37, 32
	s_cselect_b64 s[38:39], -1, 0
	s_cmp_lg_u64 s[38:39], 0
	s_addc_u32 s37, s37, 0
	s_waitcnt vmcnt(0)
	v_cmp_ne_u16_sdwa s[38:39], v9, v5 src0_sel:BYTE_0 src1_sel:DWORD
	s_or_b64 s[34:35], s[38:39], s[34:35]
	s_andn2_b64 exec, exec, s[34:35]
	s_cbranch_execnz .LBB3012_93
; %bb.96:                               ;   in Loop: Header=BB3012_90 Depth=1
	s_or_b64 exec, exec, s[34:35]
	s_branch .LBB3012_89
.LBB3012_97:                            ;   in Loop: Header=BB3012_90 Depth=1
                                        ; implicit-def: $vgpr8
                                        ; implicit-def: $vgpr9
	s_cbranch_execz .LBB3012_90
; %bb.98:
	s_and_saveexec_b64 s[30:31], s[16:17]
	s_cbranch_execz .LBB3012_100
; %bb.99:
	s_add_i32 s34, s36, 64
	s_mov_b32 s35, 0
	s_lshl_b64 s[34:35], s[34:35], 3
	s_add_u32 s34, s28, s34
	v_add_u32_e32 v4, v3, v2
	v_mov_b32_e32 v5, 2
	s_addc_u32 s35, s29, s35
	v_mov_b32_e32 v6, 0
	global_store_dwordx2 v6, v[4:5], s[34:35] sc1
	ds_write_b64 v6, v[2:3] offset:30720
.LBB3012_100:
	s_or_b64 exec, exec, s[30:31]
	s_and_b64 exec, exec, s[18:19]
	s_cbranch_execz .LBB3012_102
; %bb.101:
	v_mov_b32_e32 v2, 0
	ds_write_b32 v2, v3 offset:28
.LBB3012_102:
	s_or_b64 exec, exec, s[0:1]
	v_mov_b32_e32 v14, 0
	s_waitcnt lgkmcnt(0)
	s_barrier
	ds_read_b32 v2, v14 offset:28
	v_cndmask_b32_e64 v3, v13, v12, s[16:17]
	v_cndmask_b32_e64 v3, v3, 0, s[18:19]
	s_waitcnt lgkmcnt(0)
	s_barrier
	v_add_u32_e32 v2, v2, v3
	v_add_u32_e32 v3, v2, v54
	;; [unrolled: 1-line block ×10, first 2 shown]
	ds_read_b64 v[40:41], v14 offset:30720
	v_add_u32_e32 v12, v11, v49
	v_add_u32_e32 v13, v12, v50
	;; [unrolled: 1-line block ×5, first 2 shown]
	s_waitcnt lgkmcnt(0)
	v_mov_b32_e32 v42, v41
	s_branch .LBB3012_113
.LBB3012_103:
                                        ; implicit-def: $vgpr42
                                        ; implicit-def: $vgpr40
                                        ; implicit-def: $vgpr2_vgpr3_vgpr4_vgpr5_vgpr6_vgpr7_vgpr8_vgpr9_vgpr10_vgpr11_vgpr12_vgpr13_vgpr14_vgpr15_vgpr16_vgpr17
	s_cbranch_execz .LBB3012_113
; %bb.104:
	s_nop 0
	v_mov_b32_dpp v2, v59 row_shr:1 row_mask:0xf bank_mask:0xf
	v_cndmask_b32_e64 v2, v2, 0, s[14:15]
	v_add_u32_e32 v2, v2, v59
	s_nop 1
	v_mov_b32_dpp v3, v2 row_shr:2 row_mask:0xf bank_mask:0xf
	v_cndmask_b32_e64 v3, 0, v3, s[12:13]
	v_add_u32_e32 v2, v2, v3
	;; [unrolled: 4-line block ×4, first 2 shown]
	s_nop 1
	v_mov_b32_dpp v3, v2 row_bcast:15 row_mask:0xf bank_mask:0xf
	v_cndmask_b32_e64 v3, v3, 0, s[6:7]
	v_add_u32_e32 v2, v2, v3
	s_nop 1
	v_mov_b32_dpp v3, v2 row_bcast:31 row_mask:0xf bank_mask:0xf
	v_cndmask_b32_e64 v3, 0, v3, s[2:3]
	v_add_u32_e32 v2, v2, v3
	s_and_saveexec_b64 s[0:1], s[4:5]
	s_cbranch_execz .LBB3012_106
; %bb.105:
	v_lshlrev_b32_e32 v3, 2, v58
	ds_write_b32 v3, v2
.LBB3012_106:
	s_or_b64 exec, exec, s[0:1]
	v_cmp_gt_u32_e32 vcc, 8, v0
	s_waitcnt lgkmcnt(0)
	s_barrier
	s_and_saveexec_b64 s[0:1], vcc
	s_cbranch_execz .LBB3012_108
; %bb.107:
	v_mad_i32_i24 v3, v0, -11, v21
	ds_read_b32 v4, v3
	v_and_b32_e32 v5, 7, v57
	v_cmp_ne_u32_e32 vcc, 0, v5
	s_waitcnt lgkmcnt(0)
	v_mov_b32_dpp v6, v4 row_shr:1 row_mask:0xf bank_mask:0xf
	v_cndmask_b32_e32 v6, 0, v6, vcc
	v_add_u32_e32 v4, v6, v4
	v_cmp_lt_u32_e32 vcc, 1, v5
	s_nop 0
	v_mov_b32_dpp v6, v4 row_shr:2 row_mask:0xf bank_mask:0xf
	v_cndmask_b32_e32 v6, 0, v6, vcc
	v_add_u32_e32 v4, v4, v6
	v_cmp_lt_u32_e32 vcc, 3, v5
	s_nop 0
	v_mov_b32_dpp v6, v4 row_shr:4 row_mask:0xf bank_mask:0xf
	v_cndmask_b32_e32 v5, 0, v6, vcc
	v_add_u32_e32 v4, v4, v5
	ds_write_b32 v3, v4
.LBB3012_108:
	s_or_b64 exec, exec, s[0:1]
	v_cmp_lt_u32_e32 vcc, 63, v0
	v_mov_b32_e32 v4, 0
	v_mov_b32_e32 v3, 0
	s_waitcnt lgkmcnt(0)
	s_barrier
	s_and_saveexec_b64 s[0:1], vcc
	s_cbranch_execz .LBB3012_110
; %bb.109:
	v_lshl_add_u32 v3, v58, 2, -4
	ds_read_b32 v3, v3
.LBB3012_110:
	s_or_b64 exec, exec, s[0:1]
	v_add_u32_e32 v5, -1, v57
	v_and_b32_e32 v6, 64, v57
	v_cmp_lt_i32_e32 vcc, v5, v6
	s_waitcnt lgkmcnt(0)
	v_add_u32_e32 v2, v3, v2
	ds_read_b32 v40, v4 offset:28
	v_cndmask_b32_e32 v5, v5, v57, vcc
	v_lshlrev_b32_e32 v5, 2, v5
	ds_bpermute_b32 v2, v5, v2
	s_and_saveexec_b64 s[0:1], s[18:19]
	s_cbranch_execz .LBB3012_112
; %bb.111:
	v_mov_b32_e32 v4, 0
	v_mov_b32_e32 v41, 2
	s_waitcnt lgkmcnt(1)
	global_store_dwordx2 v4, v[40:41], s[28:29] offset:512 sc1
.LBB3012_112:
	s_or_b64 exec, exec, s[0:1]
	v_cmp_eq_u32_e32 vcc, 0, v57
	v_mov_b32_e32 v42, 0
	s_waitcnt lgkmcnt(0)
	v_cndmask_b32_e32 v2, v2, v3, vcc
	v_cndmask_b32_e64 v2, v2, 0, s[18:19]
	v_add_u32_e32 v3, v2, v54
	v_add_u32_e32 v4, v3, v55
	;; [unrolled: 1-line block ×14, first 2 shown]
	s_barrier
.LBB3012_113:
	v_add_u32_e32 v21, v40, v21
	v_sub_u32_e32 v2, v2, v42
	v_and_b32_e32 v50, 1, v18
	v_sub_u32_e32 v49, v21, v2
	v_cmp_eq_u32_e32 vcc, 1, v50
	v_lshrrev_b32_e32 v48, 8, v18
	v_lshrrev_b32_e32 v41, 8, v19
	v_cndmask_b32_e32 v2, v49, v2, vcc
	v_lshlrev_b32_e32 v2, 2, v2
	ds_write_b32 v2, v38
	v_sub_u32_e32 v2, v3, v42
	v_sub_u32_e32 v3, v21, v2
	v_and_b32_e32 v38, 1, v48
	v_add_u32_e32 v3, 1, v3
	v_cmp_eq_u32_e32 vcc, 1, v38
	v_lshrrev_b32_e32 v17, 8, v20
	s_nop 0
	v_cndmask_b32_e32 v2, v3, v2, vcc
	v_lshlrev_b32_e32 v2, 2, v2
	ds_write_b32 v2, v39
	v_sub_u32_e32 v2, v4, v42
	v_mov_b32_e32 v4, 1
	v_sub_u32_e32 v3, v21, v2
	v_and_b32_sdwa v18, v4, v18 dst_sel:DWORD dst_unused:UNUSED_PAD src0_sel:DWORD src1_sel:WORD_1
	v_add_u32_e32 v3, 2, v3
	v_cmp_eq_u32_e32 vcc, 1, v18
	s_nop 1
	v_cndmask_b32_e32 v2, v3, v2, vcc
	v_lshlrev_b32_e32 v2, 2, v2
	ds_write_b32 v2, v36
	v_sub_u32_e32 v2, v5, v42
	v_sub_u32_e32 v3, v21, v2
	v_and_b32_e32 v5, 1, v47
	v_add_u32_e32 v3, 3, v3
	v_cmp_eq_u32_e32 vcc, 1, v5
	v_and_b32_e32 v5, 1, v19
	v_or_b32_e32 v36, 0x200, v0
	v_cndmask_b32_e32 v2, v3, v2, vcc
	v_lshlrev_b32_e32 v2, 2, v2
	ds_write_b32 v2, v37
	v_sub_u32_e32 v2, v6, v42
	v_sub_u32_e32 v3, v21, v2
	v_add_u32_e32 v3, 4, v3
	v_cmp_eq_u32_e32 vcc, 1, v5
	v_and_b32_e32 v5, 1, v41
	s_nop 0
	v_cndmask_b32_e32 v2, v3, v2, vcc
	v_lshlrev_b32_e32 v2, 2, v2
	ds_write_b32 v2, v34
	v_sub_u32_e32 v2, v7, v42
	v_sub_u32_e32 v3, v21, v2
	v_add_u32_e32 v3, 5, v3
	v_cmp_eq_u32_e32 vcc, 1, v5
	v_and_b32_sdwa v5, v4, v19 dst_sel:DWORD dst_unused:UNUSED_PAD src0_sel:DWORD src1_sel:WORD_1
	v_and_b32_sdwa v4, v4, v20 dst_sel:DWORD dst_unused:UNUSED_PAD src0_sel:DWORD src1_sel:WORD_1
	v_cndmask_b32_e32 v2, v3, v2, vcc
	v_lshlrev_b32_e32 v2, 2, v2
	ds_write_b32 v2, v35
	v_sub_u32_e32 v2, v8, v42
	v_sub_u32_e32 v3, v21, v2
	v_add_u32_e32 v3, 6, v3
	v_cmp_eq_u32_e32 vcc, 1, v5
	v_and_b32_e32 v5, 1, v46
	v_or_b32_e32 v35, 0x400, v0
	v_cndmask_b32_e32 v2, v3, v2, vcc
	v_lshlrev_b32_e32 v2, 2, v2
	ds_write_b32 v2, v32
	v_sub_u32_e32 v2, v9, v42
	v_sub_u32_e32 v3, v21, v2
	v_add_u32_e32 v3, 7, v3
	v_cmp_eq_u32_e32 vcc, 1, v5
	v_and_b32_e32 v5, 1, v20
	v_or_b32_e32 v34, 0x600, v0
	;; [unrolled: 9-line block ×3, first 2 shown]
	v_cndmask_b32_e32 v2, v3, v2, vcc
	v_lshlrev_b32_e32 v2, 2, v2
	ds_write_b32 v2, v30
	v_sub_u32_e32 v2, v11, v42
	v_sub_u32_e32 v3, v21, v2
	v_add_u32_e32 v3, 9, v3
	v_cmp_eq_u32_e32 vcc, 1, v5
	v_or_b32_e32 v32, 0xa00, v0
	v_or_b32_e32 v30, 0xe00, v0
	v_cndmask_b32_e32 v2, v3, v2, vcc
	v_lshlrev_b32_e32 v2, 2, v2
	ds_write_b32 v2, v31
	v_sub_u32_e32 v2, v12, v42
	v_sub_u32_e32 v3, v21, v2
	v_add_u32_e32 v3, 10, v3
	v_cmp_eq_u32_e32 vcc, 1, v4
	v_and_b32_e32 v4, 1, v44
	v_or_b32_e32 v31, 0xc00, v0
	v_cndmask_b32_e32 v2, v3, v2, vcc
	v_lshlrev_b32_e32 v2, 2, v2
	ds_write_b32 v2, v28
	v_sub_u32_e32 v2, v13, v42
	v_sub_u32_e32 v3, v21, v2
	v_add_u32_e32 v3, 11, v3
	v_cmp_eq_u32_e32 vcc, 1, v4
	v_or_b32_e32 v28, 0x1200, v0
	v_or_b32_e32 v20, 0x1c00, v0
	v_cndmask_b32_e32 v2, v3, v2, vcc
	v_lshlrev_b32_e32 v2, 2, v2
	ds_write_b32 v2, v29
	v_sub_u32_e32 v2, v14, v42
	v_sub_u32_e32 v3, v21, v2
	v_add_u32_e32 v3, 12, v3
	v_cmp_eq_u32_e32 vcc, 1, v45
	v_or_b32_e32 v29, 0x1000, v0
	s_waitcnt vmcnt(0)
	v_lshlrev_b64 v[18:19], 2, v[22:23]
	v_cndmask_b32_e32 v2, v3, v2, vcc
	v_lshlrev_b32_e32 v2, 2, v2
	ds_write_b32 v2, v26
	v_sub_u32_e32 v2, v15, v42
	v_sub_u32_e32 v3, v21, v2
	v_add_u32_e32 v3, 13, v3
	v_cmp_eq_u32_e32 vcc, 1, v43
	v_or_b32_e32 v26, 0x1600, v0
	s_nop 0
	v_cndmask_b32_e32 v2, v3, v2, vcc
	v_lshlrev_b32_e32 v2, 2, v2
	ds_write_b32 v2, v27
	v_sub_u32_e32 v2, v16, v42
	v_sub_u32_e32 v3, v21, v2
	v_add_u32_e32 v3, 14, v3
	v_cmp_eq_u32_e32 vcc, 1, v25
	v_or_b32_e32 v27, 0x1400, v0
	v_or_b32_e32 v25, 0x1800, v0
	v_cndmask_b32_e32 v2, v3, v2, vcc
	v_lshlrev_b32_e32 v2, 2, v2
	ds_write_b32 v2, v1
	s_waitcnt lgkmcnt(0)
	s_barrier
	ds_read2st64_b32 v[16:17], v24 offset1:8
	ds_read2st64_b32 v[14:15], v24 offset0:16 offset1:24
	ds_read2st64_b32 v[12:13], v24 offset0:32 offset1:40
	;; [unrolled: 1-line block ×6, first 2 shown]
	ds_read_b32 v1, v24 offset:28672
	v_or_b32_e32 v21, 0x1a00, v0
	s_andn2_b64 vcc, exec, s[26:27]
	s_cbranch_vccnz .LBB3012_130
; %bb.114:
	v_mov_b32_e32 v43, 0
	v_lshl_add_u64 v[4:5], s[24:25], 0, v[18:19]
	v_lshlrev_b64 v[38:39], 2, v[42:43]
	v_lshl_add_u64 v[4:5], v[4:5], 0, v[38:39]
	v_cmp_gt_u32_e32 vcc, v40, v0
	s_and_saveexec_b64 s[0:1], vcc
	s_cbranch_execnz .LBB3012_152
; %bb.115:
	s_or_b64 exec, exec, s[0:1]
	v_cmp_lt_u32_e32 vcc, v36, v40
	s_and_saveexec_b64 s[0:1], vcc
	s_cbranch_execnz .LBB3012_153
.LBB3012_116:
	s_or_b64 exec, exec, s[0:1]
	v_cmp_lt_u32_e32 vcc, v35, v40
	s_and_saveexec_b64 s[0:1], vcc
	s_cbranch_execnz .LBB3012_154
.LBB3012_117:
	s_or_b64 exec, exec, s[0:1]
	v_cmp_lt_u32_e32 vcc, v34, v40
	s_and_saveexec_b64 s[0:1], vcc
	s_cbranch_execnz .LBB3012_155
.LBB3012_118:
	s_or_b64 exec, exec, s[0:1]
	v_cmp_lt_u32_e32 vcc, v33, v40
	s_and_saveexec_b64 s[0:1], vcc
	s_cbranch_execnz .LBB3012_156
.LBB3012_119:
	s_or_b64 exec, exec, s[0:1]
	v_cmp_lt_u32_e32 vcc, v32, v40
	s_and_saveexec_b64 s[0:1], vcc
	s_cbranch_execnz .LBB3012_157
.LBB3012_120:
	s_or_b64 exec, exec, s[0:1]
	v_cmp_lt_u32_e32 vcc, v31, v40
	s_and_saveexec_b64 s[0:1], vcc
	s_cbranch_execnz .LBB3012_158
.LBB3012_121:
	s_or_b64 exec, exec, s[0:1]
	v_cmp_lt_u32_e32 vcc, v30, v40
	s_and_saveexec_b64 s[0:1], vcc
	s_cbranch_execnz .LBB3012_159
.LBB3012_122:
	s_or_b64 exec, exec, s[0:1]
	v_cmp_lt_u32_e32 vcc, v29, v40
	s_and_saveexec_b64 s[0:1], vcc
	s_cbranch_execnz .LBB3012_160
.LBB3012_123:
	s_or_b64 exec, exec, s[0:1]
	v_cmp_lt_u32_e32 vcc, v28, v40
	s_and_saveexec_b64 s[0:1], vcc
	s_cbranch_execnz .LBB3012_161
.LBB3012_124:
	s_or_b64 exec, exec, s[0:1]
	v_cmp_lt_u32_e32 vcc, v27, v40
	s_and_saveexec_b64 s[0:1], vcc
	s_cbranch_execnz .LBB3012_162
.LBB3012_125:
	s_or_b64 exec, exec, s[0:1]
	v_cmp_lt_u32_e32 vcc, v26, v40
	s_and_saveexec_b64 s[0:1], vcc
	s_cbranch_execnz .LBB3012_163
.LBB3012_126:
	s_or_b64 exec, exec, s[0:1]
	v_cmp_lt_u32_e32 vcc, v25, v40
	s_and_saveexec_b64 s[0:1], vcc
	s_cbranch_execnz .LBB3012_164
.LBB3012_127:
	s_or_b64 exec, exec, s[0:1]
	v_cmp_lt_u32_e32 vcc, v21, v40
	s_and_saveexec_b64 s[0:1], vcc
	s_cbranch_execz .LBB3012_129
.LBB3012_128:
	v_lshlrev_b32_e32 v37, 2, v21
	v_readfirstlane_b32 s2, v4
	v_readfirstlane_b32 s3, v5
	s_waitcnt lgkmcnt(1)
	s_nop 3
	global_store_dword v37, v3, s[2:3]
.LBB3012_129:
	s_or_b64 exec, exec, s[0:1]
	v_cmp_lt_u32_e64 s[0:1], v20, v40
	s_branch .LBB3012_147
.LBB3012_130:
	s_mov_b64 s[0:1], 0
                                        ; implicit-def: $vgpr4_vgpr5
	s_cbranch_execz .LBB3012_147
; %bb.131:
	v_mov_b32_e32 v43, 0
	v_min_u32_e32 v37, s33, v40
	v_lshl_add_u64 v[4:5], s[24:25], 0, v[18:19]
	v_lshlrev_b64 v[18:19], 2, v[42:43]
	v_lshl_add_u64 v[4:5], v[4:5], 0, v[18:19]
	v_cmp_gt_u32_e32 vcc, v37, v0
	s_and_saveexec_b64 s[0:1], vcc
	s_cbranch_execnz .LBB3012_165
; %bb.132:
	s_or_b64 exec, exec, s[0:1]
	v_cmp_lt_u32_e32 vcc, v36, v37
	s_and_saveexec_b64 s[0:1], vcc
	s_cbranch_execnz .LBB3012_166
.LBB3012_133:
	s_or_b64 exec, exec, s[0:1]
	v_cmp_lt_u32_e32 vcc, v35, v37
	s_and_saveexec_b64 s[0:1], vcc
	s_cbranch_execnz .LBB3012_167
.LBB3012_134:
	s_or_b64 exec, exec, s[0:1]
	v_cmp_lt_u32_e32 vcc, v34, v37
	s_and_saveexec_b64 s[0:1], vcc
	s_cbranch_execnz .LBB3012_168
.LBB3012_135:
	s_or_b64 exec, exec, s[0:1]
	v_cmp_lt_u32_e32 vcc, v33, v37
	s_and_saveexec_b64 s[0:1], vcc
	s_cbranch_execnz .LBB3012_169
.LBB3012_136:
	s_or_b64 exec, exec, s[0:1]
	v_cmp_lt_u32_e32 vcc, v32, v37
	s_and_saveexec_b64 s[0:1], vcc
	s_cbranch_execnz .LBB3012_170
.LBB3012_137:
	s_or_b64 exec, exec, s[0:1]
	v_cmp_lt_u32_e32 vcc, v31, v37
	s_and_saveexec_b64 s[0:1], vcc
	s_cbranch_execnz .LBB3012_171
.LBB3012_138:
	s_or_b64 exec, exec, s[0:1]
	v_cmp_lt_u32_e32 vcc, v30, v37
	s_and_saveexec_b64 s[0:1], vcc
	s_cbranch_execnz .LBB3012_172
.LBB3012_139:
	s_or_b64 exec, exec, s[0:1]
	v_cmp_lt_u32_e32 vcc, v29, v37
	s_and_saveexec_b64 s[0:1], vcc
	s_cbranch_execnz .LBB3012_173
.LBB3012_140:
	s_or_b64 exec, exec, s[0:1]
	v_cmp_lt_u32_e32 vcc, v28, v37
	s_and_saveexec_b64 s[0:1], vcc
	s_cbranch_execnz .LBB3012_174
.LBB3012_141:
	s_or_b64 exec, exec, s[0:1]
	v_cmp_lt_u32_e32 vcc, v27, v37
	s_and_saveexec_b64 s[0:1], vcc
	s_cbranch_execnz .LBB3012_175
.LBB3012_142:
	s_or_b64 exec, exec, s[0:1]
	v_cmp_lt_u32_e32 vcc, v26, v37
	s_and_saveexec_b64 s[0:1], vcc
	s_cbranch_execnz .LBB3012_176
.LBB3012_143:
	s_or_b64 exec, exec, s[0:1]
	v_cmp_lt_u32_e32 vcc, v25, v37
	s_and_saveexec_b64 s[0:1], vcc
	s_cbranch_execnz .LBB3012_177
.LBB3012_144:
	s_or_b64 exec, exec, s[0:1]
	v_cmp_lt_u32_e32 vcc, v21, v37
	s_and_saveexec_b64 s[0:1], vcc
	s_cbranch_execz .LBB3012_146
.LBB3012_145:
	v_lshlrev_b32_e32 v0, 2, v21
	v_readfirstlane_b32 s2, v4
	v_readfirstlane_b32 s3, v5
	s_waitcnt lgkmcnt(1)
	s_nop 3
	global_store_dword v0, v3, s[2:3]
.LBB3012_146:
	s_or_b64 exec, exec, s[0:1]
	v_cmp_lt_u32_e64 s[0:1], v20, v37
.LBB3012_147:
	s_and_saveexec_b64 s[2:3], s[0:1]
	s_cbranch_execnz .LBB3012_150
; %bb.148:
	s_or_b64 exec, exec, s[2:3]
	s_and_b64 s[0:1], s[18:19], s[22:23]
	s_and_saveexec_b64 s[2:3], s[0:1]
	s_cbranch_execnz .LBB3012_151
.LBB3012_149:
	s_endpgm
.LBB3012_150:
	v_lshlrev_b32_e32 v0, 2, v20
	v_readfirstlane_b32 s0, v4
	v_readfirstlane_b32 s1, v5
	s_waitcnt lgkmcnt(0)
	s_nop 3
	global_store_dword v0, v1, s[0:1]
	s_or_b64 exec, exec, s[2:3]
	s_and_b64 s[0:1], s[18:19], s[22:23]
	s_and_saveexec_b64 s[2:3], s[0:1]
	s_cbranch_execz .LBB3012_149
.LBB3012_151:
	v_mov_b32_e32 v41, 0
	s_waitcnt lgkmcnt(0)
	v_lshl_add_u64 v[0:1], v[22:23], 0, v[40:41]
	v_mov_b32_e32 v43, v41
	v_lshl_add_u64 v[0:1], v[0:1], 0, v[42:43]
	global_store_dwordx2 v41, v[0:1], s[20:21]
	s_endpgm
.LBB3012_152:
	v_readfirstlane_b32 s2, v4
	v_readfirstlane_b32 s3, v5
	s_waitcnt lgkmcnt(7)
	s_nop 3
	global_store_dword v24, v16, s[2:3]
	s_or_b64 exec, exec, s[0:1]
	v_cmp_lt_u32_e32 vcc, v36, v40
	s_and_saveexec_b64 s[0:1], vcc
	s_cbranch_execz .LBB3012_116
.LBB3012_153:
	v_readfirstlane_b32 s2, v4
	v_readfirstlane_b32 s3, v5
	s_waitcnt lgkmcnt(7)
	s_nop 3
	global_store_dword v24, v17, s[2:3] offset:2048
	s_or_b64 exec, exec, s[0:1]
	v_cmp_lt_u32_e32 vcc, v35, v40
	s_and_saveexec_b64 s[0:1], vcc
	s_cbranch_execz .LBB3012_117
.LBB3012_154:
	v_lshlrev_b32_e32 v37, 2, v35
	v_readfirstlane_b32 s2, v4
	v_readfirstlane_b32 s3, v5
	s_waitcnt lgkmcnt(6)
	s_nop 3
	global_store_dword v37, v14, s[2:3]
	s_or_b64 exec, exec, s[0:1]
	v_cmp_lt_u32_e32 vcc, v34, v40
	s_and_saveexec_b64 s[0:1], vcc
	s_cbranch_execz .LBB3012_118
.LBB3012_155:
	v_lshlrev_b32_e32 v37, 2, v34
	v_readfirstlane_b32 s2, v4
	v_readfirstlane_b32 s3, v5
	s_waitcnt lgkmcnt(6)
	s_nop 3
	global_store_dword v37, v15, s[2:3]
	s_or_b64 exec, exec, s[0:1]
	v_cmp_lt_u32_e32 vcc, v33, v40
	s_and_saveexec_b64 s[0:1], vcc
	s_cbranch_execz .LBB3012_119
.LBB3012_156:
	v_lshlrev_b32_e32 v37, 2, v33
	v_readfirstlane_b32 s2, v4
	v_readfirstlane_b32 s3, v5
	s_waitcnt lgkmcnt(5)
	s_nop 3
	global_store_dword v37, v12, s[2:3]
	s_or_b64 exec, exec, s[0:1]
	v_cmp_lt_u32_e32 vcc, v32, v40
	s_and_saveexec_b64 s[0:1], vcc
	s_cbranch_execz .LBB3012_120
.LBB3012_157:
	v_lshlrev_b32_e32 v37, 2, v32
	v_readfirstlane_b32 s2, v4
	v_readfirstlane_b32 s3, v5
	s_waitcnt lgkmcnt(5)
	s_nop 3
	global_store_dword v37, v13, s[2:3]
	s_or_b64 exec, exec, s[0:1]
	v_cmp_lt_u32_e32 vcc, v31, v40
	s_and_saveexec_b64 s[0:1], vcc
	s_cbranch_execz .LBB3012_121
.LBB3012_158:
	v_lshlrev_b32_e32 v37, 2, v31
	v_readfirstlane_b32 s2, v4
	v_readfirstlane_b32 s3, v5
	s_waitcnt lgkmcnt(4)
	s_nop 3
	global_store_dword v37, v10, s[2:3]
	s_or_b64 exec, exec, s[0:1]
	v_cmp_lt_u32_e32 vcc, v30, v40
	s_and_saveexec_b64 s[0:1], vcc
	s_cbranch_execz .LBB3012_122
.LBB3012_159:
	v_lshlrev_b32_e32 v37, 2, v30
	v_readfirstlane_b32 s2, v4
	v_readfirstlane_b32 s3, v5
	s_waitcnt lgkmcnt(4)
	s_nop 3
	global_store_dword v37, v11, s[2:3]
	s_or_b64 exec, exec, s[0:1]
	v_cmp_lt_u32_e32 vcc, v29, v40
	s_and_saveexec_b64 s[0:1], vcc
	s_cbranch_execz .LBB3012_123
.LBB3012_160:
	v_lshlrev_b32_e32 v37, 2, v29
	v_readfirstlane_b32 s2, v4
	v_readfirstlane_b32 s3, v5
	s_waitcnt lgkmcnt(3)
	s_nop 3
	global_store_dword v37, v8, s[2:3]
	s_or_b64 exec, exec, s[0:1]
	v_cmp_lt_u32_e32 vcc, v28, v40
	s_and_saveexec_b64 s[0:1], vcc
	s_cbranch_execz .LBB3012_124
.LBB3012_161:
	v_lshlrev_b32_e32 v37, 2, v28
	v_readfirstlane_b32 s2, v4
	v_readfirstlane_b32 s3, v5
	s_waitcnt lgkmcnt(3)
	s_nop 3
	global_store_dword v37, v9, s[2:3]
	s_or_b64 exec, exec, s[0:1]
	v_cmp_lt_u32_e32 vcc, v27, v40
	s_and_saveexec_b64 s[0:1], vcc
	s_cbranch_execz .LBB3012_125
.LBB3012_162:
	v_lshlrev_b32_e32 v37, 2, v27
	v_readfirstlane_b32 s2, v4
	v_readfirstlane_b32 s3, v5
	s_waitcnt lgkmcnt(2)
	s_nop 3
	global_store_dword v37, v6, s[2:3]
	s_or_b64 exec, exec, s[0:1]
	v_cmp_lt_u32_e32 vcc, v26, v40
	s_and_saveexec_b64 s[0:1], vcc
	s_cbranch_execz .LBB3012_126
.LBB3012_163:
	v_lshlrev_b32_e32 v37, 2, v26
	v_readfirstlane_b32 s2, v4
	v_readfirstlane_b32 s3, v5
	s_waitcnt lgkmcnt(2)
	s_nop 3
	global_store_dword v37, v7, s[2:3]
	s_or_b64 exec, exec, s[0:1]
	v_cmp_lt_u32_e32 vcc, v25, v40
	s_and_saveexec_b64 s[0:1], vcc
	s_cbranch_execz .LBB3012_127
.LBB3012_164:
	v_lshlrev_b32_e32 v37, 2, v25
	v_readfirstlane_b32 s2, v4
	v_readfirstlane_b32 s3, v5
	s_waitcnt lgkmcnt(1)
	s_nop 3
	global_store_dword v37, v2, s[2:3]
	s_or_b64 exec, exec, s[0:1]
	v_cmp_lt_u32_e32 vcc, v21, v40
	s_and_saveexec_b64 s[0:1], vcc
	s_cbranch_execnz .LBB3012_128
	s_branch .LBB3012_129
.LBB3012_165:
	v_readfirstlane_b32 s2, v4
	v_readfirstlane_b32 s3, v5
	s_waitcnt lgkmcnt(7)
	s_nop 3
	global_store_dword v24, v16, s[2:3]
	s_or_b64 exec, exec, s[0:1]
	v_cmp_lt_u32_e32 vcc, v36, v37
	s_and_saveexec_b64 s[0:1], vcc
	s_cbranch_execz .LBB3012_133
.LBB3012_166:
	v_readfirstlane_b32 s2, v4
	v_readfirstlane_b32 s3, v5
	s_waitcnt lgkmcnt(7)
	s_nop 3
	global_store_dword v24, v17, s[2:3] offset:2048
	s_or_b64 exec, exec, s[0:1]
	v_cmp_lt_u32_e32 vcc, v35, v37
	s_and_saveexec_b64 s[0:1], vcc
	s_cbranch_execz .LBB3012_134
.LBB3012_167:
	v_lshlrev_b32_e32 v0, 2, v35
	v_readfirstlane_b32 s2, v4
	v_readfirstlane_b32 s3, v5
	s_waitcnt lgkmcnt(6)
	s_nop 3
	global_store_dword v0, v14, s[2:3]
	s_or_b64 exec, exec, s[0:1]
	v_cmp_lt_u32_e32 vcc, v34, v37
	s_and_saveexec_b64 s[0:1], vcc
	s_cbranch_execz .LBB3012_135
.LBB3012_168:
	v_lshlrev_b32_e32 v0, 2, v34
	v_readfirstlane_b32 s2, v4
	v_readfirstlane_b32 s3, v5
	s_waitcnt lgkmcnt(6)
	s_nop 3
	global_store_dword v0, v15, s[2:3]
	s_or_b64 exec, exec, s[0:1]
	v_cmp_lt_u32_e32 vcc, v33, v37
	s_and_saveexec_b64 s[0:1], vcc
	s_cbranch_execz .LBB3012_136
.LBB3012_169:
	v_lshlrev_b32_e32 v0, 2, v33
	v_readfirstlane_b32 s2, v4
	v_readfirstlane_b32 s3, v5
	s_waitcnt lgkmcnt(5)
	s_nop 3
	global_store_dword v0, v12, s[2:3]
	s_or_b64 exec, exec, s[0:1]
	v_cmp_lt_u32_e32 vcc, v32, v37
	s_and_saveexec_b64 s[0:1], vcc
	s_cbranch_execz .LBB3012_137
.LBB3012_170:
	v_lshlrev_b32_e32 v0, 2, v32
	v_readfirstlane_b32 s2, v4
	v_readfirstlane_b32 s3, v5
	s_waitcnt lgkmcnt(5)
	s_nop 3
	global_store_dword v0, v13, s[2:3]
	s_or_b64 exec, exec, s[0:1]
	v_cmp_lt_u32_e32 vcc, v31, v37
	s_and_saveexec_b64 s[0:1], vcc
	s_cbranch_execz .LBB3012_138
.LBB3012_171:
	v_lshlrev_b32_e32 v0, 2, v31
	v_readfirstlane_b32 s2, v4
	v_readfirstlane_b32 s3, v5
	s_waitcnt lgkmcnt(4)
	s_nop 3
	global_store_dword v0, v10, s[2:3]
	s_or_b64 exec, exec, s[0:1]
	v_cmp_lt_u32_e32 vcc, v30, v37
	s_and_saveexec_b64 s[0:1], vcc
	s_cbranch_execz .LBB3012_139
.LBB3012_172:
	v_lshlrev_b32_e32 v0, 2, v30
	v_readfirstlane_b32 s2, v4
	v_readfirstlane_b32 s3, v5
	s_waitcnt lgkmcnt(4)
	s_nop 3
	global_store_dword v0, v11, s[2:3]
	s_or_b64 exec, exec, s[0:1]
	v_cmp_lt_u32_e32 vcc, v29, v37
	s_and_saveexec_b64 s[0:1], vcc
	s_cbranch_execz .LBB3012_140
.LBB3012_173:
	v_lshlrev_b32_e32 v0, 2, v29
	v_readfirstlane_b32 s2, v4
	v_readfirstlane_b32 s3, v5
	s_waitcnt lgkmcnt(3)
	s_nop 3
	global_store_dword v0, v8, s[2:3]
	s_or_b64 exec, exec, s[0:1]
	v_cmp_lt_u32_e32 vcc, v28, v37
	s_and_saveexec_b64 s[0:1], vcc
	s_cbranch_execz .LBB3012_141
.LBB3012_174:
	v_lshlrev_b32_e32 v0, 2, v28
	v_readfirstlane_b32 s2, v4
	v_readfirstlane_b32 s3, v5
	s_waitcnt lgkmcnt(3)
	s_nop 3
	global_store_dword v0, v9, s[2:3]
	s_or_b64 exec, exec, s[0:1]
	v_cmp_lt_u32_e32 vcc, v27, v37
	s_and_saveexec_b64 s[0:1], vcc
	s_cbranch_execz .LBB3012_142
.LBB3012_175:
	v_lshlrev_b32_e32 v0, 2, v27
	v_readfirstlane_b32 s2, v4
	v_readfirstlane_b32 s3, v5
	s_waitcnt lgkmcnt(2)
	s_nop 3
	global_store_dword v0, v6, s[2:3]
	s_or_b64 exec, exec, s[0:1]
	v_cmp_lt_u32_e32 vcc, v26, v37
	s_and_saveexec_b64 s[0:1], vcc
	s_cbranch_execz .LBB3012_143
.LBB3012_176:
	v_lshlrev_b32_e32 v0, 2, v26
	v_readfirstlane_b32 s2, v4
	v_readfirstlane_b32 s3, v5
	s_waitcnt lgkmcnt(2)
	s_nop 3
	global_store_dword v0, v7, s[2:3]
	s_or_b64 exec, exec, s[0:1]
	v_cmp_lt_u32_e32 vcc, v25, v37
	s_and_saveexec_b64 s[0:1], vcc
	s_cbranch_execz .LBB3012_144
.LBB3012_177:
	v_lshlrev_b32_e32 v0, 2, v25
	v_readfirstlane_b32 s2, v4
	v_readfirstlane_b32 s3, v5
	s_waitcnt lgkmcnt(1)
	s_nop 3
	global_store_dword v0, v2, s[2:3]
	s_or_b64 exec, exec, s[0:1]
	v_cmp_lt_u32_e32 vcc, v21, v37
	s_and_saveexec_b64 s[0:1], vcc
	s_cbranch_execnz .LBB3012_145
	s_branch .LBB3012_146
	.section	.rodata,"a",@progbits
	.p2align	6, 0x0
	.amdhsa_kernel _ZN7rocprim17ROCPRIM_400000_NS6detail17trampoline_kernelINS0_14default_configENS1_25partition_config_selectorILNS1_17partition_subalgoE1EjNS0_10empty_typeEbEEZZNS1_14partition_implILS5_1ELb0ES3_jN6thrust23THRUST_200600_302600_NS6detail15normal_iteratorINSA_10device_ptrIjEEEEPS6_NSA_18transform_iteratorI7is_evenIjESF_NSA_11use_defaultESK_EENS0_5tupleIJSF_NSA_16discard_iteratorISK_EEEEENSM_IJSG_SG_EEES6_PlJS6_EEE10hipError_tPvRmT3_T4_T5_T6_T7_T9_mT8_P12ihipStream_tbDpT10_ENKUlT_T0_E_clISt17integral_constantIbLb1EES1B_EEDaS16_S17_EUlS16_E_NS1_11comp_targetILNS1_3genE5ELNS1_11target_archE942ELNS1_3gpuE9ELNS1_3repE0EEENS1_30default_config_static_selectorELNS0_4arch9wavefront6targetE1EEEvT1_
		.amdhsa_group_segment_fixed_size 30728
		.amdhsa_private_segment_fixed_size 0
		.amdhsa_kernarg_size 152
		.amdhsa_user_sgpr_count 2
		.amdhsa_user_sgpr_dispatch_ptr 0
		.amdhsa_user_sgpr_queue_ptr 0
		.amdhsa_user_sgpr_kernarg_segment_ptr 1
		.amdhsa_user_sgpr_dispatch_id 0
		.amdhsa_user_sgpr_kernarg_preload_length 0
		.amdhsa_user_sgpr_kernarg_preload_offset 0
		.amdhsa_user_sgpr_private_segment_size 0
		.amdhsa_uses_dynamic_stack 0
		.amdhsa_enable_private_segment 0
		.amdhsa_system_sgpr_workgroup_id_x 1
		.amdhsa_system_sgpr_workgroup_id_y 0
		.amdhsa_system_sgpr_workgroup_id_z 0
		.amdhsa_system_sgpr_workgroup_info 0
		.amdhsa_system_vgpr_workitem_id 0
		.amdhsa_next_free_vgpr 67
		.amdhsa_next_free_sgpr 40
		.amdhsa_accum_offset 68
		.amdhsa_reserve_vcc 1
		.amdhsa_float_round_mode_32 0
		.amdhsa_float_round_mode_16_64 0
		.amdhsa_float_denorm_mode_32 3
		.amdhsa_float_denorm_mode_16_64 3
		.amdhsa_dx10_clamp 1
		.amdhsa_ieee_mode 1
		.amdhsa_fp16_overflow 0
		.amdhsa_tg_split 0
		.amdhsa_exception_fp_ieee_invalid_op 0
		.amdhsa_exception_fp_denorm_src 0
		.amdhsa_exception_fp_ieee_div_zero 0
		.amdhsa_exception_fp_ieee_overflow 0
		.amdhsa_exception_fp_ieee_underflow 0
		.amdhsa_exception_fp_ieee_inexact 0
		.amdhsa_exception_int_div_zero 0
	.end_amdhsa_kernel
	.section	.text._ZN7rocprim17ROCPRIM_400000_NS6detail17trampoline_kernelINS0_14default_configENS1_25partition_config_selectorILNS1_17partition_subalgoE1EjNS0_10empty_typeEbEEZZNS1_14partition_implILS5_1ELb0ES3_jN6thrust23THRUST_200600_302600_NS6detail15normal_iteratorINSA_10device_ptrIjEEEEPS6_NSA_18transform_iteratorI7is_evenIjESF_NSA_11use_defaultESK_EENS0_5tupleIJSF_NSA_16discard_iteratorISK_EEEEENSM_IJSG_SG_EEES6_PlJS6_EEE10hipError_tPvRmT3_T4_T5_T6_T7_T9_mT8_P12ihipStream_tbDpT10_ENKUlT_T0_E_clISt17integral_constantIbLb1EES1B_EEDaS16_S17_EUlS16_E_NS1_11comp_targetILNS1_3genE5ELNS1_11target_archE942ELNS1_3gpuE9ELNS1_3repE0EEENS1_30default_config_static_selectorELNS0_4arch9wavefront6targetE1EEEvT1_,"axG",@progbits,_ZN7rocprim17ROCPRIM_400000_NS6detail17trampoline_kernelINS0_14default_configENS1_25partition_config_selectorILNS1_17partition_subalgoE1EjNS0_10empty_typeEbEEZZNS1_14partition_implILS5_1ELb0ES3_jN6thrust23THRUST_200600_302600_NS6detail15normal_iteratorINSA_10device_ptrIjEEEEPS6_NSA_18transform_iteratorI7is_evenIjESF_NSA_11use_defaultESK_EENS0_5tupleIJSF_NSA_16discard_iteratorISK_EEEEENSM_IJSG_SG_EEES6_PlJS6_EEE10hipError_tPvRmT3_T4_T5_T6_T7_T9_mT8_P12ihipStream_tbDpT10_ENKUlT_T0_E_clISt17integral_constantIbLb1EES1B_EEDaS16_S17_EUlS16_E_NS1_11comp_targetILNS1_3genE5ELNS1_11target_archE942ELNS1_3gpuE9ELNS1_3repE0EEENS1_30default_config_static_selectorELNS0_4arch9wavefront6targetE1EEEvT1_,comdat
.Lfunc_end3012:
	.size	_ZN7rocprim17ROCPRIM_400000_NS6detail17trampoline_kernelINS0_14default_configENS1_25partition_config_selectorILNS1_17partition_subalgoE1EjNS0_10empty_typeEbEEZZNS1_14partition_implILS5_1ELb0ES3_jN6thrust23THRUST_200600_302600_NS6detail15normal_iteratorINSA_10device_ptrIjEEEEPS6_NSA_18transform_iteratorI7is_evenIjESF_NSA_11use_defaultESK_EENS0_5tupleIJSF_NSA_16discard_iteratorISK_EEEEENSM_IJSG_SG_EEES6_PlJS6_EEE10hipError_tPvRmT3_T4_T5_T6_T7_T9_mT8_P12ihipStream_tbDpT10_ENKUlT_T0_E_clISt17integral_constantIbLb1EES1B_EEDaS16_S17_EUlS16_E_NS1_11comp_targetILNS1_3genE5ELNS1_11target_archE942ELNS1_3gpuE9ELNS1_3repE0EEENS1_30default_config_static_selectorELNS0_4arch9wavefront6targetE1EEEvT1_, .Lfunc_end3012-_ZN7rocprim17ROCPRIM_400000_NS6detail17trampoline_kernelINS0_14default_configENS1_25partition_config_selectorILNS1_17partition_subalgoE1EjNS0_10empty_typeEbEEZZNS1_14partition_implILS5_1ELb0ES3_jN6thrust23THRUST_200600_302600_NS6detail15normal_iteratorINSA_10device_ptrIjEEEEPS6_NSA_18transform_iteratorI7is_evenIjESF_NSA_11use_defaultESK_EENS0_5tupleIJSF_NSA_16discard_iteratorISK_EEEEENSM_IJSG_SG_EEES6_PlJS6_EEE10hipError_tPvRmT3_T4_T5_T6_T7_T9_mT8_P12ihipStream_tbDpT10_ENKUlT_T0_E_clISt17integral_constantIbLb1EES1B_EEDaS16_S17_EUlS16_E_NS1_11comp_targetILNS1_3genE5ELNS1_11target_archE942ELNS1_3gpuE9ELNS1_3repE0EEENS1_30default_config_static_selectorELNS0_4arch9wavefront6targetE1EEEvT1_
                                        ; -- End function
	.section	.AMDGPU.csdata,"",@progbits
; Kernel info:
; codeLenInByte = 7948
; NumSgprs: 46
; NumVgprs: 67
; NumAgprs: 0
; TotalNumVgprs: 67
; ScratchSize: 0
; MemoryBound: 0
; FloatMode: 240
; IeeeMode: 1
; LDSByteSize: 30728 bytes/workgroup (compile time only)
; SGPRBlocks: 5
; VGPRBlocks: 8
; NumSGPRsForWavesPerEU: 46
; NumVGPRsForWavesPerEU: 67
; AccumOffset: 68
; Occupancy: 4
; WaveLimiterHint : 1
; COMPUTE_PGM_RSRC2:SCRATCH_EN: 0
; COMPUTE_PGM_RSRC2:USER_SGPR: 2
; COMPUTE_PGM_RSRC2:TRAP_HANDLER: 0
; COMPUTE_PGM_RSRC2:TGID_X_EN: 1
; COMPUTE_PGM_RSRC2:TGID_Y_EN: 0
; COMPUTE_PGM_RSRC2:TGID_Z_EN: 0
; COMPUTE_PGM_RSRC2:TIDIG_COMP_CNT: 0
; COMPUTE_PGM_RSRC3_GFX90A:ACCUM_OFFSET: 16
; COMPUTE_PGM_RSRC3_GFX90A:TG_SPLIT: 0
	.section	.text._ZN7rocprim17ROCPRIM_400000_NS6detail17trampoline_kernelINS0_14default_configENS1_25partition_config_selectorILNS1_17partition_subalgoE1EjNS0_10empty_typeEbEEZZNS1_14partition_implILS5_1ELb0ES3_jN6thrust23THRUST_200600_302600_NS6detail15normal_iteratorINSA_10device_ptrIjEEEEPS6_NSA_18transform_iteratorI7is_evenIjESF_NSA_11use_defaultESK_EENS0_5tupleIJSF_NSA_16discard_iteratorISK_EEEEENSM_IJSG_SG_EEES6_PlJS6_EEE10hipError_tPvRmT3_T4_T5_T6_T7_T9_mT8_P12ihipStream_tbDpT10_ENKUlT_T0_E_clISt17integral_constantIbLb1EES1B_EEDaS16_S17_EUlS16_E_NS1_11comp_targetILNS1_3genE4ELNS1_11target_archE910ELNS1_3gpuE8ELNS1_3repE0EEENS1_30default_config_static_selectorELNS0_4arch9wavefront6targetE1EEEvT1_,"axG",@progbits,_ZN7rocprim17ROCPRIM_400000_NS6detail17trampoline_kernelINS0_14default_configENS1_25partition_config_selectorILNS1_17partition_subalgoE1EjNS0_10empty_typeEbEEZZNS1_14partition_implILS5_1ELb0ES3_jN6thrust23THRUST_200600_302600_NS6detail15normal_iteratorINSA_10device_ptrIjEEEEPS6_NSA_18transform_iteratorI7is_evenIjESF_NSA_11use_defaultESK_EENS0_5tupleIJSF_NSA_16discard_iteratorISK_EEEEENSM_IJSG_SG_EEES6_PlJS6_EEE10hipError_tPvRmT3_T4_T5_T6_T7_T9_mT8_P12ihipStream_tbDpT10_ENKUlT_T0_E_clISt17integral_constantIbLb1EES1B_EEDaS16_S17_EUlS16_E_NS1_11comp_targetILNS1_3genE4ELNS1_11target_archE910ELNS1_3gpuE8ELNS1_3repE0EEENS1_30default_config_static_selectorELNS0_4arch9wavefront6targetE1EEEvT1_,comdat
	.protected	_ZN7rocprim17ROCPRIM_400000_NS6detail17trampoline_kernelINS0_14default_configENS1_25partition_config_selectorILNS1_17partition_subalgoE1EjNS0_10empty_typeEbEEZZNS1_14partition_implILS5_1ELb0ES3_jN6thrust23THRUST_200600_302600_NS6detail15normal_iteratorINSA_10device_ptrIjEEEEPS6_NSA_18transform_iteratorI7is_evenIjESF_NSA_11use_defaultESK_EENS0_5tupleIJSF_NSA_16discard_iteratorISK_EEEEENSM_IJSG_SG_EEES6_PlJS6_EEE10hipError_tPvRmT3_T4_T5_T6_T7_T9_mT8_P12ihipStream_tbDpT10_ENKUlT_T0_E_clISt17integral_constantIbLb1EES1B_EEDaS16_S17_EUlS16_E_NS1_11comp_targetILNS1_3genE4ELNS1_11target_archE910ELNS1_3gpuE8ELNS1_3repE0EEENS1_30default_config_static_selectorELNS0_4arch9wavefront6targetE1EEEvT1_ ; -- Begin function _ZN7rocprim17ROCPRIM_400000_NS6detail17trampoline_kernelINS0_14default_configENS1_25partition_config_selectorILNS1_17partition_subalgoE1EjNS0_10empty_typeEbEEZZNS1_14partition_implILS5_1ELb0ES3_jN6thrust23THRUST_200600_302600_NS6detail15normal_iteratorINSA_10device_ptrIjEEEEPS6_NSA_18transform_iteratorI7is_evenIjESF_NSA_11use_defaultESK_EENS0_5tupleIJSF_NSA_16discard_iteratorISK_EEEEENSM_IJSG_SG_EEES6_PlJS6_EEE10hipError_tPvRmT3_T4_T5_T6_T7_T9_mT8_P12ihipStream_tbDpT10_ENKUlT_T0_E_clISt17integral_constantIbLb1EES1B_EEDaS16_S17_EUlS16_E_NS1_11comp_targetILNS1_3genE4ELNS1_11target_archE910ELNS1_3gpuE8ELNS1_3repE0EEENS1_30default_config_static_selectorELNS0_4arch9wavefront6targetE1EEEvT1_
	.globl	_ZN7rocprim17ROCPRIM_400000_NS6detail17trampoline_kernelINS0_14default_configENS1_25partition_config_selectorILNS1_17partition_subalgoE1EjNS0_10empty_typeEbEEZZNS1_14partition_implILS5_1ELb0ES3_jN6thrust23THRUST_200600_302600_NS6detail15normal_iteratorINSA_10device_ptrIjEEEEPS6_NSA_18transform_iteratorI7is_evenIjESF_NSA_11use_defaultESK_EENS0_5tupleIJSF_NSA_16discard_iteratorISK_EEEEENSM_IJSG_SG_EEES6_PlJS6_EEE10hipError_tPvRmT3_T4_T5_T6_T7_T9_mT8_P12ihipStream_tbDpT10_ENKUlT_T0_E_clISt17integral_constantIbLb1EES1B_EEDaS16_S17_EUlS16_E_NS1_11comp_targetILNS1_3genE4ELNS1_11target_archE910ELNS1_3gpuE8ELNS1_3repE0EEENS1_30default_config_static_selectorELNS0_4arch9wavefront6targetE1EEEvT1_
	.p2align	8
	.type	_ZN7rocprim17ROCPRIM_400000_NS6detail17trampoline_kernelINS0_14default_configENS1_25partition_config_selectorILNS1_17partition_subalgoE1EjNS0_10empty_typeEbEEZZNS1_14partition_implILS5_1ELb0ES3_jN6thrust23THRUST_200600_302600_NS6detail15normal_iteratorINSA_10device_ptrIjEEEEPS6_NSA_18transform_iteratorI7is_evenIjESF_NSA_11use_defaultESK_EENS0_5tupleIJSF_NSA_16discard_iteratorISK_EEEEENSM_IJSG_SG_EEES6_PlJS6_EEE10hipError_tPvRmT3_T4_T5_T6_T7_T9_mT8_P12ihipStream_tbDpT10_ENKUlT_T0_E_clISt17integral_constantIbLb1EES1B_EEDaS16_S17_EUlS16_E_NS1_11comp_targetILNS1_3genE4ELNS1_11target_archE910ELNS1_3gpuE8ELNS1_3repE0EEENS1_30default_config_static_selectorELNS0_4arch9wavefront6targetE1EEEvT1_,@function
_ZN7rocprim17ROCPRIM_400000_NS6detail17trampoline_kernelINS0_14default_configENS1_25partition_config_selectorILNS1_17partition_subalgoE1EjNS0_10empty_typeEbEEZZNS1_14partition_implILS5_1ELb0ES3_jN6thrust23THRUST_200600_302600_NS6detail15normal_iteratorINSA_10device_ptrIjEEEEPS6_NSA_18transform_iteratorI7is_evenIjESF_NSA_11use_defaultESK_EENS0_5tupleIJSF_NSA_16discard_iteratorISK_EEEEENSM_IJSG_SG_EEES6_PlJS6_EEE10hipError_tPvRmT3_T4_T5_T6_T7_T9_mT8_P12ihipStream_tbDpT10_ENKUlT_T0_E_clISt17integral_constantIbLb1EES1B_EEDaS16_S17_EUlS16_E_NS1_11comp_targetILNS1_3genE4ELNS1_11target_archE910ELNS1_3gpuE8ELNS1_3repE0EEENS1_30default_config_static_selectorELNS0_4arch9wavefront6targetE1EEEvT1_: ; @_ZN7rocprim17ROCPRIM_400000_NS6detail17trampoline_kernelINS0_14default_configENS1_25partition_config_selectorILNS1_17partition_subalgoE1EjNS0_10empty_typeEbEEZZNS1_14partition_implILS5_1ELb0ES3_jN6thrust23THRUST_200600_302600_NS6detail15normal_iteratorINSA_10device_ptrIjEEEEPS6_NSA_18transform_iteratorI7is_evenIjESF_NSA_11use_defaultESK_EENS0_5tupleIJSF_NSA_16discard_iteratorISK_EEEEENSM_IJSG_SG_EEES6_PlJS6_EEE10hipError_tPvRmT3_T4_T5_T6_T7_T9_mT8_P12ihipStream_tbDpT10_ENKUlT_T0_E_clISt17integral_constantIbLb1EES1B_EEDaS16_S17_EUlS16_E_NS1_11comp_targetILNS1_3genE4ELNS1_11target_archE910ELNS1_3gpuE8ELNS1_3repE0EEENS1_30default_config_static_selectorELNS0_4arch9wavefront6targetE1EEEvT1_
; %bb.0:
	.section	.rodata,"a",@progbits
	.p2align	6, 0x0
	.amdhsa_kernel _ZN7rocprim17ROCPRIM_400000_NS6detail17trampoline_kernelINS0_14default_configENS1_25partition_config_selectorILNS1_17partition_subalgoE1EjNS0_10empty_typeEbEEZZNS1_14partition_implILS5_1ELb0ES3_jN6thrust23THRUST_200600_302600_NS6detail15normal_iteratorINSA_10device_ptrIjEEEEPS6_NSA_18transform_iteratorI7is_evenIjESF_NSA_11use_defaultESK_EENS0_5tupleIJSF_NSA_16discard_iteratorISK_EEEEENSM_IJSG_SG_EEES6_PlJS6_EEE10hipError_tPvRmT3_T4_T5_T6_T7_T9_mT8_P12ihipStream_tbDpT10_ENKUlT_T0_E_clISt17integral_constantIbLb1EES1B_EEDaS16_S17_EUlS16_E_NS1_11comp_targetILNS1_3genE4ELNS1_11target_archE910ELNS1_3gpuE8ELNS1_3repE0EEENS1_30default_config_static_selectorELNS0_4arch9wavefront6targetE1EEEvT1_
		.amdhsa_group_segment_fixed_size 0
		.amdhsa_private_segment_fixed_size 0
		.amdhsa_kernarg_size 152
		.amdhsa_user_sgpr_count 2
		.amdhsa_user_sgpr_dispatch_ptr 0
		.amdhsa_user_sgpr_queue_ptr 0
		.amdhsa_user_sgpr_kernarg_segment_ptr 1
		.amdhsa_user_sgpr_dispatch_id 0
		.amdhsa_user_sgpr_kernarg_preload_length 0
		.amdhsa_user_sgpr_kernarg_preload_offset 0
		.amdhsa_user_sgpr_private_segment_size 0
		.amdhsa_uses_dynamic_stack 0
		.amdhsa_enable_private_segment 0
		.amdhsa_system_sgpr_workgroup_id_x 1
		.amdhsa_system_sgpr_workgroup_id_y 0
		.amdhsa_system_sgpr_workgroup_id_z 0
		.amdhsa_system_sgpr_workgroup_info 0
		.amdhsa_system_vgpr_workitem_id 0
		.amdhsa_next_free_vgpr 1
		.amdhsa_next_free_sgpr 0
		.amdhsa_accum_offset 4
		.amdhsa_reserve_vcc 0
		.amdhsa_float_round_mode_32 0
		.amdhsa_float_round_mode_16_64 0
		.amdhsa_float_denorm_mode_32 3
		.amdhsa_float_denorm_mode_16_64 3
		.amdhsa_dx10_clamp 1
		.amdhsa_ieee_mode 1
		.amdhsa_fp16_overflow 0
		.amdhsa_tg_split 0
		.amdhsa_exception_fp_ieee_invalid_op 0
		.amdhsa_exception_fp_denorm_src 0
		.amdhsa_exception_fp_ieee_div_zero 0
		.amdhsa_exception_fp_ieee_overflow 0
		.amdhsa_exception_fp_ieee_underflow 0
		.amdhsa_exception_fp_ieee_inexact 0
		.amdhsa_exception_int_div_zero 0
	.end_amdhsa_kernel
	.section	.text._ZN7rocprim17ROCPRIM_400000_NS6detail17trampoline_kernelINS0_14default_configENS1_25partition_config_selectorILNS1_17partition_subalgoE1EjNS0_10empty_typeEbEEZZNS1_14partition_implILS5_1ELb0ES3_jN6thrust23THRUST_200600_302600_NS6detail15normal_iteratorINSA_10device_ptrIjEEEEPS6_NSA_18transform_iteratorI7is_evenIjESF_NSA_11use_defaultESK_EENS0_5tupleIJSF_NSA_16discard_iteratorISK_EEEEENSM_IJSG_SG_EEES6_PlJS6_EEE10hipError_tPvRmT3_T4_T5_T6_T7_T9_mT8_P12ihipStream_tbDpT10_ENKUlT_T0_E_clISt17integral_constantIbLb1EES1B_EEDaS16_S17_EUlS16_E_NS1_11comp_targetILNS1_3genE4ELNS1_11target_archE910ELNS1_3gpuE8ELNS1_3repE0EEENS1_30default_config_static_selectorELNS0_4arch9wavefront6targetE1EEEvT1_,"axG",@progbits,_ZN7rocprim17ROCPRIM_400000_NS6detail17trampoline_kernelINS0_14default_configENS1_25partition_config_selectorILNS1_17partition_subalgoE1EjNS0_10empty_typeEbEEZZNS1_14partition_implILS5_1ELb0ES3_jN6thrust23THRUST_200600_302600_NS6detail15normal_iteratorINSA_10device_ptrIjEEEEPS6_NSA_18transform_iteratorI7is_evenIjESF_NSA_11use_defaultESK_EENS0_5tupleIJSF_NSA_16discard_iteratorISK_EEEEENSM_IJSG_SG_EEES6_PlJS6_EEE10hipError_tPvRmT3_T4_T5_T6_T7_T9_mT8_P12ihipStream_tbDpT10_ENKUlT_T0_E_clISt17integral_constantIbLb1EES1B_EEDaS16_S17_EUlS16_E_NS1_11comp_targetILNS1_3genE4ELNS1_11target_archE910ELNS1_3gpuE8ELNS1_3repE0EEENS1_30default_config_static_selectorELNS0_4arch9wavefront6targetE1EEEvT1_,comdat
.Lfunc_end3013:
	.size	_ZN7rocprim17ROCPRIM_400000_NS6detail17trampoline_kernelINS0_14default_configENS1_25partition_config_selectorILNS1_17partition_subalgoE1EjNS0_10empty_typeEbEEZZNS1_14partition_implILS5_1ELb0ES3_jN6thrust23THRUST_200600_302600_NS6detail15normal_iteratorINSA_10device_ptrIjEEEEPS6_NSA_18transform_iteratorI7is_evenIjESF_NSA_11use_defaultESK_EENS0_5tupleIJSF_NSA_16discard_iteratorISK_EEEEENSM_IJSG_SG_EEES6_PlJS6_EEE10hipError_tPvRmT3_T4_T5_T6_T7_T9_mT8_P12ihipStream_tbDpT10_ENKUlT_T0_E_clISt17integral_constantIbLb1EES1B_EEDaS16_S17_EUlS16_E_NS1_11comp_targetILNS1_3genE4ELNS1_11target_archE910ELNS1_3gpuE8ELNS1_3repE0EEENS1_30default_config_static_selectorELNS0_4arch9wavefront6targetE1EEEvT1_, .Lfunc_end3013-_ZN7rocprim17ROCPRIM_400000_NS6detail17trampoline_kernelINS0_14default_configENS1_25partition_config_selectorILNS1_17partition_subalgoE1EjNS0_10empty_typeEbEEZZNS1_14partition_implILS5_1ELb0ES3_jN6thrust23THRUST_200600_302600_NS6detail15normal_iteratorINSA_10device_ptrIjEEEEPS6_NSA_18transform_iteratorI7is_evenIjESF_NSA_11use_defaultESK_EENS0_5tupleIJSF_NSA_16discard_iteratorISK_EEEEENSM_IJSG_SG_EEES6_PlJS6_EEE10hipError_tPvRmT3_T4_T5_T6_T7_T9_mT8_P12ihipStream_tbDpT10_ENKUlT_T0_E_clISt17integral_constantIbLb1EES1B_EEDaS16_S17_EUlS16_E_NS1_11comp_targetILNS1_3genE4ELNS1_11target_archE910ELNS1_3gpuE8ELNS1_3repE0EEENS1_30default_config_static_selectorELNS0_4arch9wavefront6targetE1EEEvT1_
                                        ; -- End function
	.section	.AMDGPU.csdata,"",@progbits
; Kernel info:
; codeLenInByte = 0
; NumSgprs: 6
; NumVgprs: 0
; NumAgprs: 0
; TotalNumVgprs: 0
; ScratchSize: 0
; MemoryBound: 0
; FloatMode: 240
; IeeeMode: 1
; LDSByteSize: 0 bytes/workgroup (compile time only)
; SGPRBlocks: 0
; VGPRBlocks: 0
; NumSGPRsForWavesPerEU: 6
; NumVGPRsForWavesPerEU: 1
; AccumOffset: 4
; Occupancy: 8
; WaveLimiterHint : 0
; COMPUTE_PGM_RSRC2:SCRATCH_EN: 0
; COMPUTE_PGM_RSRC2:USER_SGPR: 2
; COMPUTE_PGM_RSRC2:TRAP_HANDLER: 0
; COMPUTE_PGM_RSRC2:TGID_X_EN: 1
; COMPUTE_PGM_RSRC2:TGID_Y_EN: 0
; COMPUTE_PGM_RSRC2:TGID_Z_EN: 0
; COMPUTE_PGM_RSRC2:TIDIG_COMP_CNT: 0
; COMPUTE_PGM_RSRC3_GFX90A:ACCUM_OFFSET: 0
; COMPUTE_PGM_RSRC3_GFX90A:TG_SPLIT: 0
	.section	.text._ZN7rocprim17ROCPRIM_400000_NS6detail17trampoline_kernelINS0_14default_configENS1_25partition_config_selectorILNS1_17partition_subalgoE1EjNS0_10empty_typeEbEEZZNS1_14partition_implILS5_1ELb0ES3_jN6thrust23THRUST_200600_302600_NS6detail15normal_iteratorINSA_10device_ptrIjEEEEPS6_NSA_18transform_iteratorI7is_evenIjESF_NSA_11use_defaultESK_EENS0_5tupleIJSF_NSA_16discard_iteratorISK_EEEEENSM_IJSG_SG_EEES6_PlJS6_EEE10hipError_tPvRmT3_T4_T5_T6_T7_T9_mT8_P12ihipStream_tbDpT10_ENKUlT_T0_E_clISt17integral_constantIbLb1EES1B_EEDaS16_S17_EUlS16_E_NS1_11comp_targetILNS1_3genE3ELNS1_11target_archE908ELNS1_3gpuE7ELNS1_3repE0EEENS1_30default_config_static_selectorELNS0_4arch9wavefront6targetE1EEEvT1_,"axG",@progbits,_ZN7rocprim17ROCPRIM_400000_NS6detail17trampoline_kernelINS0_14default_configENS1_25partition_config_selectorILNS1_17partition_subalgoE1EjNS0_10empty_typeEbEEZZNS1_14partition_implILS5_1ELb0ES3_jN6thrust23THRUST_200600_302600_NS6detail15normal_iteratorINSA_10device_ptrIjEEEEPS6_NSA_18transform_iteratorI7is_evenIjESF_NSA_11use_defaultESK_EENS0_5tupleIJSF_NSA_16discard_iteratorISK_EEEEENSM_IJSG_SG_EEES6_PlJS6_EEE10hipError_tPvRmT3_T4_T5_T6_T7_T9_mT8_P12ihipStream_tbDpT10_ENKUlT_T0_E_clISt17integral_constantIbLb1EES1B_EEDaS16_S17_EUlS16_E_NS1_11comp_targetILNS1_3genE3ELNS1_11target_archE908ELNS1_3gpuE7ELNS1_3repE0EEENS1_30default_config_static_selectorELNS0_4arch9wavefront6targetE1EEEvT1_,comdat
	.protected	_ZN7rocprim17ROCPRIM_400000_NS6detail17trampoline_kernelINS0_14default_configENS1_25partition_config_selectorILNS1_17partition_subalgoE1EjNS0_10empty_typeEbEEZZNS1_14partition_implILS5_1ELb0ES3_jN6thrust23THRUST_200600_302600_NS6detail15normal_iteratorINSA_10device_ptrIjEEEEPS6_NSA_18transform_iteratorI7is_evenIjESF_NSA_11use_defaultESK_EENS0_5tupleIJSF_NSA_16discard_iteratorISK_EEEEENSM_IJSG_SG_EEES6_PlJS6_EEE10hipError_tPvRmT3_T4_T5_T6_T7_T9_mT8_P12ihipStream_tbDpT10_ENKUlT_T0_E_clISt17integral_constantIbLb1EES1B_EEDaS16_S17_EUlS16_E_NS1_11comp_targetILNS1_3genE3ELNS1_11target_archE908ELNS1_3gpuE7ELNS1_3repE0EEENS1_30default_config_static_selectorELNS0_4arch9wavefront6targetE1EEEvT1_ ; -- Begin function _ZN7rocprim17ROCPRIM_400000_NS6detail17trampoline_kernelINS0_14default_configENS1_25partition_config_selectorILNS1_17partition_subalgoE1EjNS0_10empty_typeEbEEZZNS1_14partition_implILS5_1ELb0ES3_jN6thrust23THRUST_200600_302600_NS6detail15normal_iteratorINSA_10device_ptrIjEEEEPS6_NSA_18transform_iteratorI7is_evenIjESF_NSA_11use_defaultESK_EENS0_5tupleIJSF_NSA_16discard_iteratorISK_EEEEENSM_IJSG_SG_EEES6_PlJS6_EEE10hipError_tPvRmT3_T4_T5_T6_T7_T9_mT8_P12ihipStream_tbDpT10_ENKUlT_T0_E_clISt17integral_constantIbLb1EES1B_EEDaS16_S17_EUlS16_E_NS1_11comp_targetILNS1_3genE3ELNS1_11target_archE908ELNS1_3gpuE7ELNS1_3repE0EEENS1_30default_config_static_selectorELNS0_4arch9wavefront6targetE1EEEvT1_
	.globl	_ZN7rocprim17ROCPRIM_400000_NS6detail17trampoline_kernelINS0_14default_configENS1_25partition_config_selectorILNS1_17partition_subalgoE1EjNS0_10empty_typeEbEEZZNS1_14partition_implILS5_1ELb0ES3_jN6thrust23THRUST_200600_302600_NS6detail15normal_iteratorINSA_10device_ptrIjEEEEPS6_NSA_18transform_iteratorI7is_evenIjESF_NSA_11use_defaultESK_EENS0_5tupleIJSF_NSA_16discard_iteratorISK_EEEEENSM_IJSG_SG_EEES6_PlJS6_EEE10hipError_tPvRmT3_T4_T5_T6_T7_T9_mT8_P12ihipStream_tbDpT10_ENKUlT_T0_E_clISt17integral_constantIbLb1EES1B_EEDaS16_S17_EUlS16_E_NS1_11comp_targetILNS1_3genE3ELNS1_11target_archE908ELNS1_3gpuE7ELNS1_3repE0EEENS1_30default_config_static_selectorELNS0_4arch9wavefront6targetE1EEEvT1_
	.p2align	8
	.type	_ZN7rocprim17ROCPRIM_400000_NS6detail17trampoline_kernelINS0_14default_configENS1_25partition_config_selectorILNS1_17partition_subalgoE1EjNS0_10empty_typeEbEEZZNS1_14partition_implILS5_1ELb0ES3_jN6thrust23THRUST_200600_302600_NS6detail15normal_iteratorINSA_10device_ptrIjEEEEPS6_NSA_18transform_iteratorI7is_evenIjESF_NSA_11use_defaultESK_EENS0_5tupleIJSF_NSA_16discard_iteratorISK_EEEEENSM_IJSG_SG_EEES6_PlJS6_EEE10hipError_tPvRmT3_T4_T5_T6_T7_T9_mT8_P12ihipStream_tbDpT10_ENKUlT_T0_E_clISt17integral_constantIbLb1EES1B_EEDaS16_S17_EUlS16_E_NS1_11comp_targetILNS1_3genE3ELNS1_11target_archE908ELNS1_3gpuE7ELNS1_3repE0EEENS1_30default_config_static_selectorELNS0_4arch9wavefront6targetE1EEEvT1_,@function
_ZN7rocprim17ROCPRIM_400000_NS6detail17trampoline_kernelINS0_14default_configENS1_25partition_config_selectorILNS1_17partition_subalgoE1EjNS0_10empty_typeEbEEZZNS1_14partition_implILS5_1ELb0ES3_jN6thrust23THRUST_200600_302600_NS6detail15normal_iteratorINSA_10device_ptrIjEEEEPS6_NSA_18transform_iteratorI7is_evenIjESF_NSA_11use_defaultESK_EENS0_5tupleIJSF_NSA_16discard_iteratorISK_EEEEENSM_IJSG_SG_EEES6_PlJS6_EEE10hipError_tPvRmT3_T4_T5_T6_T7_T9_mT8_P12ihipStream_tbDpT10_ENKUlT_T0_E_clISt17integral_constantIbLb1EES1B_EEDaS16_S17_EUlS16_E_NS1_11comp_targetILNS1_3genE3ELNS1_11target_archE908ELNS1_3gpuE7ELNS1_3repE0EEENS1_30default_config_static_selectorELNS0_4arch9wavefront6targetE1EEEvT1_: ; @_ZN7rocprim17ROCPRIM_400000_NS6detail17trampoline_kernelINS0_14default_configENS1_25partition_config_selectorILNS1_17partition_subalgoE1EjNS0_10empty_typeEbEEZZNS1_14partition_implILS5_1ELb0ES3_jN6thrust23THRUST_200600_302600_NS6detail15normal_iteratorINSA_10device_ptrIjEEEEPS6_NSA_18transform_iteratorI7is_evenIjESF_NSA_11use_defaultESK_EENS0_5tupleIJSF_NSA_16discard_iteratorISK_EEEEENSM_IJSG_SG_EEES6_PlJS6_EEE10hipError_tPvRmT3_T4_T5_T6_T7_T9_mT8_P12ihipStream_tbDpT10_ENKUlT_T0_E_clISt17integral_constantIbLb1EES1B_EEDaS16_S17_EUlS16_E_NS1_11comp_targetILNS1_3genE3ELNS1_11target_archE908ELNS1_3gpuE7ELNS1_3repE0EEENS1_30default_config_static_selectorELNS0_4arch9wavefront6targetE1EEEvT1_
; %bb.0:
	.section	.rodata,"a",@progbits
	.p2align	6, 0x0
	.amdhsa_kernel _ZN7rocprim17ROCPRIM_400000_NS6detail17trampoline_kernelINS0_14default_configENS1_25partition_config_selectorILNS1_17partition_subalgoE1EjNS0_10empty_typeEbEEZZNS1_14partition_implILS5_1ELb0ES3_jN6thrust23THRUST_200600_302600_NS6detail15normal_iteratorINSA_10device_ptrIjEEEEPS6_NSA_18transform_iteratorI7is_evenIjESF_NSA_11use_defaultESK_EENS0_5tupleIJSF_NSA_16discard_iteratorISK_EEEEENSM_IJSG_SG_EEES6_PlJS6_EEE10hipError_tPvRmT3_T4_T5_T6_T7_T9_mT8_P12ihipStream_tbDpT10_ENKUlT_T0_E_clISt17integral_constantIbLb1EES1B_EEDaS16_S17_EUlS16_E_NS1_11comp_targetILNS1_3genE3ELNS1_11target_archE908ELNS1_3gpuE7ELNS1_3repE0EEENS1_30default_config_static_selectorELNS0_4arch9wavefront6targetE1EEEvT1_
		.amdhsa_group_segment_fixed_size 0
		.amdhsa_private_segment_fixed_size 0
		.amdhsa_kernarg_size 152
		.amdhsa_user_sgpr_count 2
		.amdhsa_user_sgpr_dispatch_ptr 0
		.amdhsa_user_sgpr_queue_ptr 0
		.amdhsa_user_sgpr_kernarg_segment_ptr 1
		.amdhsa_user_sgpr_dispatch_id 0
		.amdhsa_user_sgpr_kernarg_preload_length 0
		.amdhsa_user_sgpr_kernarg_preload_offset 0
		.amdhsa_user_sgpr_private_segment_size 0
		.amdhsa_uses_dynamic_stack 0
		.amdhsa_enable_private_segment 0
		.amdhsa_system_sgpr_workgroup_id_x 1
		.amdhsa_system_sgpr_workgroup_id_y 0
		.amdhsa_system_sgpr_workgroup_id_z 0
		.amdhsa_system_sgpr_workgroup_info 0
		.amdhsa_system_vgpr_workitem_id 0
		.amdhsa_next_free_vgpr 1
		.amdhsa_next_free_sgpr 0
		.amdhsa_accum_offset 4
		.amdhsa_reserve_vcc 0
		.amdhsa_float_round_mode_32 0
		.amdhsa_float_round_mode_16_64 0
		.amdhsa_float_denorm_mode_32 3
		.amdhsa_float_denorm_mode_16_64 3
		.amdhsa_dx10_clamp 1
		.amdhsa_ieee_mode 1
		.amdhsa_fp16_overflow 0
		.amdhsa_tg_split 0
		.amdhsa_exception_fp_ieee_invalid_op 0
		.amdhsa_exception_fp_denorm_src 0
		.amdhsa_exception_fp_ieee_div_zero 0
		.amdhsa_exception_fp_ieee_overflow 0
		.amdhsa_exception_fp_ieee_underflow 0
		.amdhsa_exception_fp_ieee_inexact 0
		.amdhsa_exception_int_div_zero 0
	.end_amdhsa_kernel
	.section	.text._ZN7rocprim17ROCPRIM_400000_NS6detail17trampoline_kernelINS0_14default_configENS1_25partition_config_selectorILNS1_17partition_subalgoE1EjNS0_10empty_typeEbEEZZNS1_14partition_implILS5_1ELb0ES3_jN6thrust23THRUST_200600_302600_NS6detail15normal_iteratorINSA_10device_ptrIjEEEEPS6_NSA_18transform_iteratorI7is_evenIjESF_NSA_11use_defaultESK_EENS0_5tupleIJSF_NSA_16discard_iteratorISK_EEEEENSM_IJSG_SG_EEES6_PlJS6_EEE10hipError_tPvRmT3_T4_T5_T6_T7_T9_mT8_P12ihipStream_tbDpT10_ENKUlT_T0_E_clISt17integral_constantIbLb1EES1B_EEDaS16_S17_EUlS16_E_NS1_11comp_targetILNS1_3genE3ELNS1_11target_archE908ELNS1_3gpuE7ELNS1_3repE0EEENS1_30default_config_static_selectorELNS0_4arch9wavefront6targetE1EEEvT1_,"axG",@progbits,_ZN7rocprim17ROCPRIM_400000_NS6detail17trampoline_kernelINS0_14default_configENS1_25partition_config_selectorILNS1_17partition_subalgoE1EjNS0_10empty_typeEbEEZZNS1_14partition_implILS5_1ELb0ES3_jN6thrust23THRUST_200600_302600_NS6detail15normal_iteratorINSA_10device_ptrIjEEEEPS6_NSA_18transform_iteratorI7is_evenIjESF_NSA_11use_defaultESK_EENS0_5tupleIJSF_NSA_16discard_iteratorISK_EEEEENSM_IJSG_SG_EEES6_PlJS6_EEE10hipError_tPvRmT3_T4_T5_T6_T7_T9_mT8_P12ihipStream_tbDpT10_ENKUlT_T0_E_clISt17integral_constantIbLb1EES1B_EEDaS16_S17_EUlS16_E_NS1_11comp_targetILNS1_3genE3ELNS1_11target_archE908ELNS1_3gpuE7ELNS1_3repE0EEENS1_30default_config_static_selectorELNS0_4arch9wavefront6targetE1EEEvT1_,comdat
.Lfunc_end3014:
	.size	_ZN7rocprim17ROCPRIM_400000_NS6detail17trampoline_kernelINS0_14default_configENS1_25partition_config_selectorILNS1_17partition_subalgoE1EjNS0_10empty_typeEbEEZZNS1_14partition_implILS5_1ELb0ES3_jN6thrust23THRUST_200600_302600_NS6detail15normal_iteratorINSA_10device_ptrIjEEEEPS6_NSA_18transform_iteratorI7is_evenIjESF_NSA_11use_defaultESK_EENS0_5tupleIJSF_NSA_16discard_iteratorISK_EEEEENSM_IJSG_SG_EEES6_PlJS6_EEE10hipError_tPvRmT3_T4_T5_T6_T7_T9_mT8_P12ihipStream_tbDpT10_ENKUlT_T0_E_clISt17integral_constantIbLb1EES1B_EEDaS16_S17_EUlS16_E_NS1_11comp_targetILNS1_3genE3ELNS1_11target_archE908ELNS1_3gpuE7ELNS1_3repE0EEENS1_30default_config_static_selectorELNS0_4arch9wavefront6targetE1EEEvT1_, .Lfunc_end3014-_ZN7rocprim17ROCPRIM_400000_NS6detail17trampoline_kernelINS0_14default_configENS1_25partition_config_selectorILNS1_17partition_subalgoE1EjNS0_10empty_typeEbEEZZNS1_14partition_implILS5_1ELb0ES3_jN6thrust23THRUST_200600_302600_NS6detail15normal_iteratorINSA_10device_ptrIjEEEEPS6_NSA_18transform_iteratorI7is_evenIjESF_NSA_11use_defaultESK_EENS0_5tupleIJSF_NSA_16discard_iteratorISK_EEEEENSM_IJSG_SG_EEES6_PlJS6_EEE10hipError_tPvRmT3_T4_T5_T6_T7_T9_mT8_P12ihipStream_tbDpT10_ENKUlT_T0_E_clISt17integral_constantIbLb1EES1B_EEDaS16_S17_EUlS16_E_NS1_11comp_targetILNS1_3genE3ELNS1_11target_archE908ELNS1_3gpuE7ELNS1_3repE0EEENS1_30default_config_static_selectorELNS0_4arch9wavefront6targetE1EEEvT1_
                                        ; -- End function
	.section	.AMDGPU.csdata,"",@progbits
; Kernel info:
; codeLenInByte = 0
; NumSgprs: 6
; NumVgprs: 0
; NumAgprs: 0
; TotalNumVgprs: 0
; ScratchSize: 0
; MemoryBound: 0
; FloatMode: 240
; IeeeMode: 1
; LDSByteSize: 0 bytes/workgroup (compile time only)
; SGPRBlocks: 0
; VGPRBlocks: 0
; NumSGPRsForWavesPerEU: 6
; NumVGPRsForWavesPerEU: 1
; AccumOffset: 4
; Occupancy: 8
; WaveLimiterHint : 0
; COMPUTE_PGM_RSRC2:SCRATCH_EN: 0
; COMPUTE_PGM_RSRC2:USER_SGPR: 2
; COMPUTE_PGM_RSRC2:TRAP_HANDLER: 0
; COMPUTE_PGM_RSRC2:TGID_X_EN: 1
; COMPUTE_PGM_RSRC2:TGID_Y_EN: 0
; COMPUTE_PGM_RSRC2:TGID_Z_EN: 0
; COMPUTE_PGM_RSRC2:TIDIG_COMP_CNT: 0
; COMPUTE_PGM_RSRC3_GFX90A:ACCUM_OFFSET: 0
; COMPUTE_PGM_RSRC3_GFX90A:TG_SPLIT: 0
	.section	.text._ZN7rocprim17ROCPRIM_400000_NS6detail17trampoline_kernelINS0_14default_configENS1_25partition_config_selectorILNS1_17partition_subalgoE1EjNS0_10empty_typeEbEEZZNS1_14partition_implILS5_1ELb0ES3_jN6thrust23THRUST_200600_302600_NS6detail15normal_iteratorINSA_10device_ptrIjEEEEPS6_NSA_18transform_iteratorI7is_evenIjESF_NSA_11use_defaultESK_EENS0_5tupleIJSF_NSA_16discard_iteratorISK_EEEEENSM_IJSG_SG_EEES6_PlJS6_EEE10hipError_tPvRmT3_T4_T5_T6_T7_T9_mT8_P12ihipStream_tbDpT10_ENKUlT_T0_E_clISt17integral_constantIbLb1EES1B_EEDaS16_S17_EUlS16_E_NS1_11comp_targetILNS1_3genE2ELNS1_11target_archE906ELNS1_3gpuE6ELNS1_3repE0EEENS1_30default_config_static_selectorELNS0_4arch9wavefront6targetE1EEEvT1_,"axG",@progbits,_ZN7rocprim17ROCPRIM_400000_NS6detail17trampoline_kernelINS0_14default_configENS1_25partition_config_selectorILNS1_17partition_subalgoE1EjNS0_10empty_typeEbEEZZNS1_14partition_implILS5_1ELb0ES3_jN6thrust23THRUST_200600_302600_NS6detail15normal_iteratorINSA_10device_ptrIjEEEEPS6_NSA_18transform_iteratorI7is_evenIjESF_NSA_11use_defaultESK_EENS0_5tupleIJSF_NSA_16discard_iteratorISK_EEEEENSM_IJSG_SG_EEES6_PlJS6_EEE10hipError_tPvRmT3_T4_T5_T6_T7_T9_mT8_P12ihipStream_tbDpT10_ENKUlT_T0_E_clISt17integral_constantIbLb1EES1B_EEDaS16_S17_EUlS16_E_NS1_11comp_targetILNS1_3genE2ELNS1_11target_archE906ELNS1_3gpuE6ELNS1_3repE0EEENS1_30default_config_static_selectorELNS0_4arch9wavefront6targetE1EEEvT1_,comdat
	.protected	_ZN7rocprim17ROCPRIM_400000_NS6detail17trampoline_kernelINS0_14default_configENS1_25partition_config_selectorILNS1_17partition_subalgoE1EjNS0_10empty_typeEbEEZZNS1_14partition_implILS5_1ELb0ES3_jN6thrust23THRUST_200600_302600_NS6detail15normal_iteratorINSA_10device_ptrIjEEEEPS6_NSA_18transform_iteratorI7is_evenIjESF_NSA_11use_defaultESK_EENS0_5tupleIJSF_NSA_16discard_iteratorISK_EEEEENSM_IJSG_SG_EEES6_PlJS6_EEE10hipError_tPvRmT3_T4_T5_T6_T7_T9_mT8_P12ihipStream_tbDpT10_ENKUlT_T0_E_clISt17integral_constantIbLb1EES1B_EEDaS16_S17_EUlS16_E_NS1_11comp_targetILNS1_3genE2ELNS1_11target_archE906ELNS1_3gpuE6ELNS1_3repE0EEENS1_30default_config_static_selectorELNS0_4arch9wavefront6targetE1EEEvT1_ ; -- Begin function _ZN7rocprim17ROCPRIM_400000_NS6detail17trampoline_kernelINS0_14default_configENS1_25partition_config_selectorILNS1_17partition_subalgoE1EjNS0_10empty_typeEbEEZZNS1_14partition_implILS5_1ELb0ES3_jN6thrust23THRUST_200600_302600_NS6detail15normal_iteratorINSA_10device_ptrIjEEEEPS6_NSA_18transform_iteratorI7is_evenIjESF_NSA_11use_defaultESK_EENS0_5tupleIJSF_NSA_16discard_iteratorISK_EEEEENSM_IJSG_SG_EEES6_PlJS6_EEE10hipError_tPvRmT3_T4_T5_T6_T7_T9_mT8_P12ihipStream_tbDpT10_ENKUlT_T0_E_clISt17integral_constantIbLb1EES1B_EEDaS16_S17_EUlS16_E_NS1_11comp_targetILNS1_3genE2ELNS1_11target_archE906ELNS1_3gpuE6ELNS1_3repE0EEENS1_30default_config_static_selectorELNS0_4arch9wavefront6targetE1EEEvT1_
	.globl	_ZN7rocprim17ROCPRIM_400000_NS6detail17trampoline_kernelINS0_14default_configENS1_25partition_config_selectorILNS1_17partition_subalgoE1EjNS0_10empty_typeEbEEZZNS1_14partition_implILS5_1ELb0ES3_jN6thrust23THRUST_200600_302600_NS6detail15normal_iteratorINSA_10device_ptrIjEEEEPS6_NSA_18transform_iteratorI7is_evenIjESF_NSA_11use_defaultESK_EENS0_5tupleIJSF_NSA_16discard_iteratorISK_EEEEENSM_IJSG_SG_EEES6_PlJS6_EEE10hipError_tPvRmT3_T4_T5_T6_T7_T9_mT8_P12ihipStream_tbDpT10_ENKUlT_T0_E_clISt17integral_constantIbLb1EES1B_EEDaS16_S17_EUlS16_E_NS1_11comp_targetILNS1_3genE2ELNS1_11target_archE906ELNS1_3gpuE6ELNS1_3repE0EEENS1_30default_config_static_selectorELNS0_4arch9wavefront6targetE1EEEvT1_
	.p2align	8
	.type	_ZN7rocprim17ROCPRIM_400000_NS6detail17trampoline_kernelINS0_14default_configENS1_25partition_config_selectorILNS1_17partition_subalgoE1EjNS0_10empty_typeEbEEZZNS1_14partition_implILS5_1ELb0ES3_jN6thrust23THRUST_200600_302600_NS6detail15normal_iteratorINSA_10device_ptrIjEEEEPS6_NSA_18transform_iteratorI7is_evenIjESF_NSA_11use_defaultESK_EENS0_5tupleIJSF_NSA_16discard_iteratorISK_EEEEENSM_IJSG_SG_EEES6_PlJS6_EEE10hipError_tPvRmT3_T4_T5_T6_T7_T9_mT8_P12ihipStream_tbDpT10_ENKUlT_T0_E_clISt17integral_constantIbLb1EES1B_EEDaS16_S17_EUlS16_E_NS1_11comp_targetILNS1_3genE2ELNS1_11target_archE906ELNS1_3gpuE6ELNS1_3repE0EEENS1_30default_config_static_selectorELNS0_4arch9wavefront6targetE1EEEvT1_,@function
_ZN7rocprim17ROCPRIM_400000_NS6detail17trampoline_kernelINS0_14default_configENS1_25partition_config_selectorILNS1_17partition_subalgoE1EjNS0_10empty_typeEbEEZZNS1_14partition_implILS5_1ELb0ES3_jN6thrust23THRUST_200600_302600_NS6detail15normal_iteratorINSA_10device_ptrIjEEEEPS6_NSA_18transform_iteratorI7is_evenIjESF_NSA_11use_defaultESK_EENS0_5tupleIJSF_NSA_16discard_iteratorISK_EEEEENSM_IJSG_SG_EEES6_PlJS6_EEE10hipError_tPvRmT3_T4_T5_T6_T7_T9_mT8_P12ihipStream_tbDpT10_ENKUlT_T0_E_clISt17integral_constantIbLb1EES1B_EEDaS16_S17_EUlS16_E_NS1_11comp_targetILNS1_3genE2ELNS1_11target_archE906ELNS1_3gpuE6ELNS1_3repE0EEENS1_30default_config_static_selectorELNS0_4arch9wavefront6targetE1EEEvT1_: ; @_ZN7rocprim17ROCPRIM_400000_NS6detail17trampoline_kernelINS0_14default_configENS1_25partition_config_selectorILNS1_17partition_subalgoE1EjNS0_10empty_typeEbEEZZNS1_14partition_implILS5_1ELb0ES3_jN6thrust23THRUST_200600_302600_NS6detail15normal_iteratorINSA_10device_ptrIjEEEEPS6_NSA_18transform_iteratorI7is_evenIjESF_NSA_11use_defaultESK_EENS0_5tupleIJSF_NSA_16discard_iteratorISK_EEEEENSM_IJSG_SG_EEES6_PlJS6_EEE10hipError_tPvRmT3_T4_T5_T6_T7_T9_mT8_P12ihipStream_tbDpT10_ENKUlT_T0_E_clISt17integral_constantIbLb1EES1B_EEDaS16_S17_EUlS16_E_NS1_11comp_targetILNS1_3genE2ELNS1_11target_archE906ELNS1_3gpuE6ELNS1_3repE0EEENS1_30default_config_static_selectorELNS0_4arch9wavefront6targetE1EEEvT1_
; %bb.0:
	.section	.rodata,"a",@progbits
	.p2align	6, 0x0
	.amdhsa_kernel _ZN7rocprim17ROCPRIM_400000_NS6detail17trampoline_kernelINS0_14default_configENS1_25partition_config_selectorILNS1_17partition_subalgoE1EjNS0_10empty_typeEbEEZZNS1_14partition_implILS5_1ELb0ES3_jN6thrust23THRUST_200600_302600_NS6detail15normal_iteratorINSA_10device_ptrIjEEEEPS6_NSA_18transform_iteratorI7is_evenIjESF_NSA_11use_defaultESK_EENS0_5tupleIJSF_NSA_16discard_iteratorISK_EEEEENSM_IJSG_SG_EEES6_PlJS6_EEE10hipError_tPvRmT3_T4_T5_T6_T7_T9_mT8_P12ihipStream_tbDpT10_ENKUlT_T0_E_clISt17integral_constantIbLb1EES1B_EEDaS16_S17_EUlS16_E_NS1_11comp_targetILNS1_3genE2ELNS1_11target_archE906ELNS1_3gpuE6ELNS1_3repE0EEENS1_30default_config_static_selectorELNS0_4arch9wavefront6targetE1EEEvT1_
		.amdhsa_group_segment_fixed_size 0
		.amdhsa_private_segment_fixed_size 0
		.amdhsa_kernarg_size 152
		.amdhsa_user_sgpr_count 2
		.amdhsa_user_sgpr_dispatch_ptr 0
		.amdhsa_user_sgpr_queue_ptr 0
		.amdhsa_user_sgpr_kernarg_segment_ptr 1
		.amdhsa_user_sgpr_dispatch_id 0
		.amdhsa_user_sgpr_kernarg_preload_length 0
		.amdhsa_user_sgpr_kernarg_preload_offset 0
		.amdhsa_user_sgpr_private_segment_size 0
		.amdhsa_uses_dynamic_stack 0
		.amdhsa_enable_private_segment 0
		.amdhsa_system_sgpr_workgroup_id_x 1
		.amdhsa_system_sgpr_workgroup_id_y 0
		.amdhsa_system_sgpr_workgroup_id_z 0
		.amdhsa_system_sgpr_workgroup_info 0
		.amdhsa_system_vgpr_workitem_id 0
		.amdhsa_next_free_vgpr 1
		.amdhsa_next_free_sgpr 0
		.amdhsa_accum_offset 4
		.amdhsa_reserve_vcc 0
		.amdhsa_float_round_mode_32 0
		.amdhsa_float_round_mode_16_64 0
		.amdhsa_float_denorm_mode_32 3
		.amdhsa_float_denorm_mode_16_64 3
		.amdhsa_dx10_clamp 1
		.amdhsa_ieee_mode 1
		.amdhsa_fp16_overflow 0
		.amdhsa_tg_split 0
		.amdhsa_exception_fp_ieee_invalid_op 0
		.amdhsa_exception_fp_denorm_src 0
		.amdhsa_exception_fp_ieee_div_zero 0
		.amdhsa_exception_fp_ieee_overflow 0
		.amdhsa_exception_fp_ieee_underflow 0
		.amdhsa_exception_fp_ieee_inexact 0
		.amdhsa_exception_int_div_zero 0
	.end_amdhsa_kernel
	.section	.text._ZN7rocprim17ROCPRIM_400000_NS6detail17trampoline_kernelINS0_14default_configENS1_25partition_config_selectorILNS1_17partition_subalgoE1EjNS0_10empty_typeEbEEZZNS1_14partition_implILS5_1ELb0ES3_jN6thrust23THRUST_200600_302600_NS6detail15normal_iteratorINSA_10device_ptrIjEEEEPS6_NSA_18transform_iteratorI7is_evenIjESF_NSA_11use_defaultESK_EENS0_5tupleIJSF_NSA_16discard_iteratorISK_EEEEENSM_IJSG_SG_EEES6_PlJS6_EEE10hipError_tPvRmT3_T4_T5_T6_T7_T9_mT8_P12ihipStream_tbDpT10_ENKUlT_T0_E_clISt17integral_constantIbLb1EES1B_EEDaS16_S17_EUlS16_E_NS1_11comp_targetILNS1_3genE2ELNS1_11target_archE906ELNS1_3gpuE6ELNS1_3repE0EEENS1_30default_config_static_selectorELNS0_4arch9wavefront6targetE1EEEvT1_,"axG",@progbits,_ZN7rocprim17ROCPRIM_400000_NS6detail17trampoline_kernelINS0_14default_configENS1_25partition_config_selectorILNS1_17partition_subalgoE1EjNS0_10empty_typeEbEEZZNS1_14partition_implILS5_1ELb0ES3_jN6thrust23THRUST_200600_302600_NS6detail15normal_iteratorINSA_10device_ptrIjEEEEPS6_NSA_18transform_iteratorI7is_evenIjESF_NSA_11use_defaultESK_EENS0_5tupleIJSF_NSA_16discard_iteratorISK_EEEEENSM_IJSG_SG_EEES6_PlJS6_EEE10hipError_tPvRmT3_T4_T5_T6_T7_T9_mT8_P12ihipStream_tbDpT10_ENKUlT_T0_E_clISt17integral_constantIbLb1EES1B_EEDaS16_S17_EUlS16_E_NS1_11comp_targetILNS1_3genE2ELNS1_11target_archE906ELNS1_3gpuE6ELNS1_3repE0EEENS1_30default_config_static_selectorELNS0_4arch9wavefront6targetE1EEEvT1_,comdat
.Lfunc_end3015:
	.size	_ZN7rocprim17ROCPRIM_400000_NS6detail17trampoline_kernelINS0_14default_configENS1_25partition_config_selectorILNS1_17partition_subalgoE1EjNS0_10empty_typeEbEEZZNS1_14partition_implILS5_1ELb0ES3_jN6thrust23THRUST_200600_302600_NS6detail15normal_iteratorINSA_10device_ptrIjEEEEPS6_NSA_18transform_iteratorI7is_evenIjESF_NSA_11use_defaultESK_EENS0_5tupleIJSF_NSA_16discard_iteratorISK_EEEEENSM_IJSG_SG_EEES6_PlJS6_EEE10hipError_tPvRmT3_T4_T5_T6_T7_T9_mT8_P12ihipStream_tbDpT10_ENKUlT_T0_E_clISt17integral_constantIbLb1EES1B_EEDaS16_S17_EUlS16_E_NS1_11comp_targetILNS1_3genE2ELNS1_11target_archE906ELNS1_3gpuE6ELNS1_3repE0EEENS1_30default_config_static_selectorELNS0_4arch9wavefront6targetE1EEEvT1_, .Lfunc_end3015-_ZN7rocprim17ROCPRIM_400000_NS6detail17trampoline_kernelINS0_14default_configENS1_25partition_config_selectorILNS1_17partition_subalgoE1EjNS0_10empty_typeEbEEZZNS1_14partition_implILS5_1ELb0ES3_jN6thrust23THRUST_200600_302600_NS6detail15normal_iteratorINSA_10device_ptrIjEEEEPS6_NSA_18transform_iteratorI7is_evenIjESF_NSA_11use_defaultESK_EENS0_5tupleIJSF_NSA_16discard_iteratorISK_EEEEENSM_IJSG_SG_EEES6_PlJS6_EEE10hipError_tPvRmT3_T4_T5_T6_T7_T9_mT8_P12ihipStream_tbDpT10_ENKUlT_T0_E_clISt17integral_constantIbLb1EES1B_EEDaS16_S17_EUlS16_E_NS1_11comp_targetILNS1_3genE2ELNS1_11target_archE906ELNS1_3gpuE6ELNS1_3repE0EEENS1_30default_config_static_selectorELNS0_4arch9wavefront6targetE1EEEvT1_
                                        ; -- End function
	.section	.AMDGPU.csdata,"",@progbits
; Kernel info:
; codeLenInByte = 0
; NumSgprs: 6
; NumVgprs: 0
; NumAgprs: 0
; TotalNumVgprs: 0
; ScratchSize: 0
; MemoryBound: 0
; FloatMode: 240
; IeeeMode: 1
; LDSByteSize: 0 bytes/workgroup (compile time only)
; SGPRBlocks: 0
; VGPRBlocks: 0
; NumSGPRsForWavesPerEU: 6
; NumVGPRsForWavesPerEU: 1
; AccumOffset: 4
; Occupancy: 8
; WaveLimiterHint : 0
; COMPUTE_PGM_RSRC2:SCRATCH_EN: 0
; COMPUTE_PGM_RSRC2:USER_SGPR: 2
; COMPUTE_PGM_RSRC2:TRAP_HANDLER: 0
; COMPUTE_PGM_RSRC2:TGID_X_EN: 1
; COMPUTE_PGM_RSRC2:TGID_Y_EN: 0
; COMPUTE_PGM_RSRC2:TGID_Z_EN: 0
; COMPUTE_PGM_RSRC2:TIDIG_COMP_CNT: 0
; COMPUTE_PGM_RSRC3_GFX90A:ACCUM_OFFSET: 0
; COMPUTE_PGM_RSRC3_GFX90A:TG_SPLIT: 0
	.section	.text._ZN7rocprim17ROCPRIM_400000_NS6detail17trampoline_kernelINS0_14default_configENS1_25partition_config_selectorILNS1_17partition_subalgoE1EjNS0_10empty_typeEbEEZZNS1_14partition_implILS5_1ELb0ES3_jN6thrust23THRUST_200600_302600_NS6detail15normal_iteratorINSA_10device_ptrIjEEEEPS6_NSA_18transform_iteratorI7is_evenIjESF_NSA_11use_defaultESK_EENS0_5tupleIJSF_NSA_16discard_iteratorISK_EEEEENSM_IJSG_SG_EEES6_PlJS6_EEE10hipError_tPvRmT3_T4_T5_T6_T7_T9_mT8_P12ihipStream_tbDpT10_ENKUlT_T0_E_clISt17integral_constantIbLb1EES1B_EEDaS16_S17_EUlS16_E_NS1_11comp_targetILNS1_3genE10ELNS1_11target_archE1200ELNS1_3gpuE4ELNS1_3repE0EEENS1_30default_config_static_selectorELNS0_4arch9wavefront6targetE1EEEvT1_,"axG",@progbits,_ZN7rocprim17ROCPRIM_400000_NS6detail17trampoline_kernelINS0_14default_configENS1_25partition_config_selectorILNS1_17partition_subalgoE1EjNS0_10empty_typeEbEEZZNS1_14partition_implILS5_1ELb0ES3_jN6thrust23THRUST_200600_302600_NS6detail15normal_iteratorINSA_10device_ptrIjEEEEPS6_NSA_18transform_iteratorI7is_evenIjESF_NSA_11use_defaultESK_EENS0_5tupleIJSF_NSA_16discard_iteratorISK_EEEEENSM_IJSG_SG_EEES6_PlJS6_EEE10hipError_tPvRmT3_T4_T5_T6_T7_T9_mT8_P12ihipStream_tbDpT10_ENKUlT_T0_E_clISt17integral_constantIbLb1EES1B_EEDaS16_S17_EUlS16_E_NS1_11comp_targetILNS1_3genE10ELNS1_11target_archE1200ELNS1_3gpuE4ELNS1_3repE0EEENS1_30default_config_static_selectorELNS0_4arch9wavefront6targetE1EEEvT1_,comdat
	.protected	_ZN7rocprim17ROCPRIM_400000_NS6detail17trampoline_kernelINS0_14default_configENS1_25partition_config_selectorILNS1_17partition_subalgoE1EjNS0_10empty_typeEbEEZZNS1_14partition_implILS5_1ELb0ES3_jN6thrust23THRUST_200600_302600_NS6detail15normal_iteratorINSA_10device_ptrIjEEEEPS6_NSA_18transform_iteratorI7is_evenIjESF_NSA_11use_defaultESK_EENS0_5tupleIJSF_NSA_16discard_iteratorISK_EEEEENSM_IJSG_SG_EEES6_PlJS6_EEE10hipError_tPvRmT3_T4_T5_T6_T7_T9_mT8_P12ihipStream_tbDpT10_ENKUlT_T0_E_clISt17integral_constantIbLb1EES1B_EEDaS16_S17_EUlS16_E_NS1_11comp_targetILNS1_3genE10ELNS1_11target_archE1200ELNS1_3gpuE4ELNS1_3repE0EEENS1_30default_config_static_selectorELNS0_4arch9wavefront6targetE1EEEvT1_ ; -- Begin function _ZN7rocprim17ROCPRIM_400000_NS6detail17trampoline_kernelINS0_14default_configENS1_25partition_config_selectorILNS1_17partition_subalgoE1EjNS0_10empty_typeEbEEZZNS1_14partition_implILS5_1ELb0ES3_jN6thrust23THRUST_200600_302600_NS6detail15normal_iteratorINSA_10device_ptrIjEEEEPS6_NSA_18transform_iteratorI7is_evenIjESF_NSA_11use_defaultESK_EENS0_5tupleIJSF_NSA_16discard_iteratorISK_EEEEENSM_IJSG_SG_EEES6_PlJS6_EEE10hipError_tPvRmT3_T4_T5_T6_T7_T9_mT8_P12ihipStream_tbDpT10_ENKUlT_T0_E_clISt17integral_constantIbLb1EES1B_EEDaS16_S17_EUlS16_E_NS1_11comp_targetILNS1_3genE10ELNS1_11target_archE1200ELNS1_3gpuE4ELNS1_3repE0EEENS1_30default_config_static_selectorELNS0_4arch9wavefront6targetE1EEEvT1_
	.globl	_ZN7rocprim17ROCPRIM_400000_NS6detail17trampoline_kernelINS0_14default_configENS1_25partition_config_selectorILNS1_17partition_subalgoE1EjNS0_10empty_typeEbEEZZNS1_14partition_implILS5_1ELb0ES3_jN6thrust23THRUST_200600_302600_NS6detail15normal_iteratorINSA_10device_ptrIjEEEEPS6_NSA_18transform_iteratorI7is_evenIjESF_NSA_11use_defaultESK_EENS0_5tupleIJSF_NSA_16discard_iteratorISK_EEEEENSM_IJSG_SG_EEES6_PlJS6_EEE10hipError_tPvRmT3_T4_T5_T6_T7_T9_mT8_P12ihipStream_tbDpT10_ENKUlT_T0_E_clISt17integral_constantIbLb1EES1B_EEDaS16_S17_EUlS16_E_NS1_11comp_targetILNS1_3genE10ELNS1_11target_archE1200ELNS1_3gpuE4ELNS1_3repE0EEENS1_30default_config_static_selectorELNS0_4arch9wavefront6targetE1EEEvT1_
	.p2align	8
	.type	_ZN7rocprim17ROCPRIM_400000_NS6detail17trampoline_kernelINS0_14default_configENS1_25partition_config_selectorILNS1_17partition_subalgoE1EjNS0_10empty_typeEbEEZZNS1_14partition_implILS5_1ELb0ES3_jN6thrust23THRUST_200600_302600_NS6detail15normal_iteratorINSA_10device_ptrIjEEEEPS6_NSA_18transform_iteratorI7is_evenIjESF_NSA_11use_defaultESK_EENS0_5tupleIJSF_NSA_16discard_iteratorISK_EEEEENSM_IJSG_SG_EEES6_PlJS6_EEE10hipError_tPvRmT3_T4_T5_T6_T7_T9_mT8_P12ihipStream_tbDpT10_ENKUlT_T0_E_clISt17integral_constantIbLb1EES1B_EEDaS16_S17_EUlS16_E_NS1_11comp_targetILNS1_3genE10ELNS1_11target_archE1200ELNS1_3gpuE4ELNS1_3repE0EEENS1_30default_config_static_selectorELNS0_4arch9wavefront6targetE1EEEvT1_,@function
_ZN7rocprim17ROCPRIM_400000_NS6detail17trampoline_kernelINS0_14default_configENS1_25partition_config_selectorILNS1_17partition_subalgoE1EjNS0_10empty_typeEbEEZZNS1_14partition_implILS5_1ELb0ES3_jN6thrust23THRUST_200600_302600_NS6detail15normal_iteratorINSA_10device_ptrIjEEEEPS6_NSA_18transform_iteratorI7is_evenIjESF_NSA_11use_defaultESK_EENS0_5tupleIJSF_NSA_16discard_iteratorISK_EEEEENSM_IJSG_SG_EEES6_PlJS6_EEE10hipError_tPvRmT3_T4_T5_T6_T7_T9_mT8_P12ihipStream_tbDpT10_ENKUlT_T0_E_clISt17integral_constantIbLb1EES1B_EEDaS16_S17_EUlS16_E_NS1_11comp_targetILNS1_3genE10ELNS1_11target_archE1200ELNS1_3gpuE4ELNS1_3repE0EEENS1_30default_config_static_selectorELNS0_4arch9wavefront6targetE1EEEvT1_: ; @_ZN7rocprim17ROCPRIM_400000_NS6detail17trampoline_kernelINS0_14default_configENS1_25partition_config_selectorILNS1_17partition_subalgoE1EjNS0_10empty_typeEbEEZZNS1_14partition_implILS5_1ELb0ES3_jN6thrust23THRUST_200600_302600_NS6detail15normal_iteratorINSA_10device_ptrIjEEEEPS6_NSA_18transform_iteratorI7is_evenIjESF_NSA_11use_defaultESK_EENS0_5tupleIJSF_NSA_16discard_iteratorISK_EEEEENSM_IJSG_SG_EEES6_PlJS6_EEE10hipError_tPvRmT3_T4_T5_T6_T7_T9_mT8_P12ihipStream_tbDpT10_ENKUlT_T0_E_clISt17integral_constantIbLb1EES1B_EEDaS16_S17_EUlS16_E_NS1_11comp_targetILNS1_3genE10ELNS1_11target_archE1200ELNS1_3gpuE4ELNS1_3repE0EEENS1_30default_config_static_selectorELNS0_4arch9wavefront6targetE1EEEvT1_
; %bb.0:
	.section	.rodata,"a",@progbits
	.p2align	6, 0x0
	.amdhsa_kernel _ZN7rocprim17ROCPRIM_400000_NS6detail17trampoline_kernelINS0_14default_configENS1_25partition_config_selectorILNS1_17partition_subalgoE1EjNS0_10empty_typeEbEEZZNS1_14partition_implILS5_1ELb0ES3_jN6thrust23THRUST_200600_302600_NS6detail15normal_iteratorINSA_10device_ptrIjEEEEPS6_NSA_18transform_iteratorI7is_evenIjESF_NSA_11use_defaultESK_EENS0_5tupleIJSF_NSA_16discard_iteratorISK_EEEEENSM_IJSG_SG_EEES6_PlJS6_EEE10hipError_tPvRmT3_T4_T5_T6_T7_T9_mT8_P12ihipStream_tbDpT10_ENKUlT_T0_E_clISt17integral_constantIbLb1EES1B_EEDaS16_S17_EUlS16_E_NS1_11comp_targetILNS1_3genE10ELNS1_11target_archE1200ELNS1_3gpuE4ELNS1_3repE0EEENS1_30default_config_static_selectorELNS0_4arch9wavefront6targetE1EEEvT1_
		.amdhsa_group_segment_fixed_size 0
		.amdhsa_private_segment_fixed_size 0
		.amdhsa_kernarg_size 152
		.amdhsa_user_sgpr_count 2
		.amdhsa_user_sgpr_dispatch_ptr 0
		.amdhsa_user_sgpr_queue_ptr 0
		.amdhsa_user_sgpr_kernarg_segment_ptr 1
		.amdhsa_user_sgpr_dispatch_id 0
		.amdhsa_user_sgpr_kernarg_preload_length 0
		.amdhsa_user_sgpr_kernarg_preload_offset 0
		.amdhsa_user_sgpr_private_segment_size 0
		.amdhsa_uses_dynamic_stack 0
		.amdhsa_enable_private_segment 0
		.amdhsa_system_sgpr_workgroup_id_x 1
		.amdhsa_system_sgpr_workgroup_id_y 0
		.amdhsa_system_sgpr_workgroup_id_z 0
		.amdhsa_system_sgpr_workgroup_info 0
		.amdhsa_system_vgpr_workitem_id 0
		.amdhsa_next_free_vgpr 1
		.amdhsa_next_free_sgpr 0
		.amdhsa_accum_offset 4
		.amdhsa_reserve_vcc 0
		.amdhsa_float_round_mode_32 0
		.amdhsa_float_round_mode_16_64 0
		.amdhsa_float_denorm_mode_32 3
		.amdhsa_float_denorm_mode_16_64 3
		.amdhsa_dx10_clamp 1
		.amdhsa_ieee_mode 1
		.amdhsa_fp16_overflow 0
		.amdhsa_tg_split 0
		.amdhsa_exception_fp_ieee_invalid_op 0
		.amdhsa_exception_fp_denorm_src 0
		.amdhsa_exception_fp_ieee_div_zero 0
		.amdhsa_exception_fp_ieee_overflow 0
		.amdhsa_exception_fp_ieee_underflow 0
		.amdhsa_exception_fp_ieee_inexact 0
		.amdhsa_exception_int_div_zero 0
	.end_amdhsa_kernel
	.section	.text._ZN7rocprim17ROCPRIM_400000_NS6detail17trampoline_kernelINS0_14default_configENS1_25partition_config_selectorILNS1_17partition_subalgoE1EjNS0_10empty_typeEbEEZZNS1_14partition_implILS5_1ELb0ES3_jN6thrust23THRUST_200600_302600_NS6detail15normal_iteratorINSA_10device_ptrIjEEEEPS6_NSA_18transform_iteratorI7is_evenIjESF_NSA_11use_defaultESK_EENS0_5tupleIJSF_NSA_16discard_iteratorISK_EEEEENSM_IJSG_SG_EEES6_PlJS6_EEE10hipError_tPvRmT3_T4_T5_T6_T7_T9_mT8_P12ihipStream_tbDpT10_ENKUlT_T0_E_clISt17integral_constantIbLb1EES1B_EEDaS16_S17_EUlS16_E_NS1_11comp_targetILNS1_3genE10ELNS1_11target_archE1200ELNS1_3gpuE4ELNS1_3repE0EEENS1_30default_config_static_selectorELNS0_4arch9wavefront6targetE1EEEvT1_,"axG",@progbits,_ZN7rocprim17ROCPRIM_400000_NS6detail17trampoline_kernelINS0_14default_configENS1_25partition_config_selectorILNS1_17partition_subalgoE1EjNS0_10empty_typeEbEEZZNS1_14partition_implILS5_1ELb0ES3_jN6thrust23THRUST_200600_302600_NS6detail15normal_iteratorINSA_10device_ptrIjEEEEPS6_NSA_18transform_iteratorI7is_evenIjESF_NSA_11use_defaultESK_EENS0_5tupleIJSF_NSA_16discard_iteratorISK_EEEEENSM_IJSG_SG_EEES6_PlJS6_EEE10hipError_tPvRmT3_T4_T5_T6_T7_T9_mT8_P12ihipStream_tbDpT10_ENKUlT_T0_E_clISt17integral_constantIbLb1EES1B_EEDaS16_S17_EUlS16_E_NS1_11comp_targetILNS1_3genE10ELNS1_11target_archE1200ELNS1_3gpuE4ELNS1_3repE0EEENS1_30default_config_static_selectorELNS0_4arch9wavefront6targetE1EEEvT1_,comdat
.Lfunc_end3016:
	.size	_ZN7rocprim17ROCPRIM_400000_NS6detail17trampoline_kernelINS0_14default_configENS1_25partition_config_selectorILNS1_17partition_subalgoE1EjNS0_10empty_typeEbEEZZNS1_14partition_implILS5_1ELb0ES3_jN6thrust23THRUST_200600_302600_NS6detail15normal_iteratorINSA_10device_ptrIjEEEEPS6_NSA_18transform_iteratorI7is_evenIjESF_NSA_11use_defaultESK_EENS0_5tupleIJSF_NSA_16discard_iteratorISK_EEEEENSM_IJSG_SG_EEES6_PlJS6_EEE10hipError_tPvRmT3_T4_T5_T6_T7_T9_mT8_P12ihipStream_tbDpT10_ENKUlT_T0_E_clISt17integral_constantIbLb1EES1B_EEDaS16_S17_EUlS16_E_NS1_11comp_targetILNS1_3genE10ELNS1_11target_archE1200ELNS1_3gpuE4ELNS1_3repE0EEENS1_30default_config_static_selectorELNS0_4arch9wavefront6targetE1EEEvT1_, .Lfunc_end3016-_ZN7rocprim17ROCPRIM_400000_NS6detail17trampoline_kernelINS0_14default_configENS1_25partition_config_selectorILNS1_17partition_subalgoE1EjNS0_10empty_typeEbEEZZNS1_14partition_implILS5_1ELb0ES3_jN6thrust23THRUST_200600_302600_NS6detail15normal_iteratorINSA_10device_ptrIjEEEEPS6_NSA_18transform_iteratorI7is_evenIjESF_NSA_11use_defaultESK_EENS0_5tupleIJSF_NSA_16discard_iteratorISK_EEEEENSM_IJSG_SG_EEES6_PlJS6_EEE10hipError_tPvRmT3_T4_T5_T6_T7_T9_mT8_P12ihipStream_tbDpT10_ENKUlT_T0_E_clISt17integral_constantIbLb1EES1B_EEDaS16_S17_EUlS16_E_NS1_11comp_targetILNS1_3genE10ELNS1_11target_archE1200ELNS1_3gpuE4ELNS1_3repE0EEENS1_30default_config_static_selectorELNS0_4arch9wavefront6targetE1EEEvT1_
                                        ; -- End function
	.section	.AMDGPU.csdata,"",@progbits
; Kernel info:
; codeLenInByte = 0
; NumSgprs: 6
; NumVgprs: 0
; NumAgprs: 0
; TotalNumVgprs: 0
; ScratchSize: 0
; MemoryBound: 0
; FloatMode: 240
; IeeeMode: 1
; LDSByteSize: 0 bytes/workgroup (compile time only)
; SGPRBlocks: 0
; VGPRBlocks: 0
; NumSGPRsForWavesPerEU: 6
; NumVGPRsForWavesPerEU: 1
; AccumOffset: 4
; Occupancy: 8
; WaveLimiterHint : 0
; COMPUTE_PGM_RSRC2:SCRATCH_EN: 0
; COMPUTE_PGM_RSRC2:USER_SGPR: 2
; COMPUTE_PGM_RSRC2:TRAP_HANDLER: 0
; COMPUTE_PGM_RSRC2:TGID_X_EN: 1
; COMPUTE_PGM_RSRC2:TGID_Y_EN: 0
; COMPUTE_PGM_RSRC2:TGID_Z_EN: 0
; COMPUTE_PGM_RSRC2:TIDIG_COMP_CNT: 0
; COMPUTE_PGM_RSRC3_GFX90A:ACCUM_OFFSET: 0
; COMPUTE_PGM_RSRC3_GFX90A:TG_SPLIT: 0
	.section	.text._ZN7rocprim17ROCPRIM_400000_NS6detail17trampoline_kernelINS0_14default_configENS1_25partition_config_selectorILNS1_17partition_subalgoE1EjNS0_10empty_typeEbEEZZNS1_14partition_implILS5_1ELb0ES3_jN6thrust23THRUST_200600_302600_NS6detail15normal_iteratorINSA_10device_ptrIjEEEEPS6_NSA_18transform_iteratorI7is_evenIjESF_NSA_11use_defaultESK_EENS0_5tupleIJSF_NSA_16discard_iteratorISK_EEEEENSM_IJSG_SG_EEES6_PlJS6_EEE10hipError_tPvRmT3_T4_T5_T6_T7_T9_mT8_P12ihipStream_tbDpT10_ENKUlT_T0_E_clISt17integral_constantIbLb1EES1B_EEDaS16_S17_EUlS16_E_NS1_11comp_targetILNS1_3genE9ELNS1_11target_archE1100ELNS1_3gpuE3ELNS1_3repE0EEENS1_30default_config_static_selectorELNS0_4arch9wavefront6targetE1EEEvT1_,"axG",@progbits,_ZN7rocprim17ROCPRIM_400000_NS6detail17trampoline_kernelINS0_14default_configENS1_25partition_config_selectorILNS1_17partition_subalgoE1EjNS0_10empty_typeEbEEZZNS1_14partition_implILS5_1ELb0ES3_jN6thrust23THRUST_200600_302600_NS6detail15normal_iteratorINSA_10device_ptrIjEEEEPS6_NSA_18transform_iteratorI7is_evenIjESF_NSA_11use_defaultESK_EENS0_5tupleIJSF_NSA_16discard_iteratorISK_EEEEENSM_IJSG_SG_EEES6_PlJS6_EEE10hipError_tPvRmT3_T4_T5_T6_T7_T9_mT8_P12ihipStream_tbDpT10_ENKUlT_T0_E_clISt17integral_constantIbLb1EES1B_EEDaS16_S17_EUlS16_E_NS1_11comp_targetILNS1_3genE9ELNS1_11target_archE1100ELNS1_3gpuE3ELNS1_3repE0EEENS1_30default_config_static_selectorELNS0_4arch9wavefront6targetE1EEEvT1_,comdat
	.protected	_ZN7rocprim17ROCPRIM_400000_NS6detail17trampoline_kernelINS0_14default_configENS1_25partition_config_selectorILNS1_17partition_subalgoE1EjNS0_10empty_typeEbEEZZNS1_14partition_implILS5_1ELb0ES3_jN6thrust23THRUST_200600_302600_NS6detail15normal_iteratorINSA_10device_ptrIjEEEEPS6_NSA_18transform_iteratorI7is_evenIjESF_NSA_11use_defaultESK_EENS0_5tupleIJSF_NSA_16discard_iteratorISK_EEEEENSM_IJSG_SG_EEES6_PlJS6_EEE10hipError_tPvRmT3_T4_T5_T6_T7_T9_mT8_P12ihipStream_tbDpT10_ENKUlT_T0_E_clISt17integral_constantIbLb1EES1B_EEDaS16_S17_EUlS16_E_NS1_11comp_targetILNS1_3genE9ELNS1_11target_archE1100ELNS1_3gpuE3ELNS1_3repE0EEENS1_30default_config_static_selectorELNS0_4arch9wavefront6targetE1EEEvT1_ ; -- Begin function _ZN7rocprim17ROCPRIM_400000_NS6detail17trampoline_kernelINS0_14default_configENS1_25partition_config_selectorILNS1_17partition_subalgoE1EjNS0_10empty_typeEbEEZZNS1_14partition_implILS5_1ELb0ES3_jN6thrust23THRUST_200600_302600_NS6detail15normal_iteratorINSA_10device_ptrIjEEEEPS6_NSA_18transform_iteratorI7is_evenIjESF_NSA_11use_defaultESK_EENS0_5tupleIJSF_NSA_16discard_iteratorISK_EEEEENSM_IJSG_SG_EEES6_PlJS6_EEE10hipError_tPvRmT3_T4_T5_T6_T7_T9_mT8_P12ihipStream_tbDpT10_ENKUlT_T0_E_clISt17integral_constantIbLb1EES1B_EEDaS16_S17_EUlS16_E_NS1_11comp_targetILNS1_3genE9ELNS1_11target_archE1100ELNS1_3gpuE3ELNS1_3repE0EEENS1_30default_config_static_selectorELNS0_4arch9wavefront6targetE1EEEvT1_
	.globl	_ZN7rocprim17ROCPRIM_400000_NS6detail17trampoline_kernelINS0_14default_configENS1_25partition_config_selectorILNS1_17partition_subalgoE1EjNS0_10empty_typeEbEEZZNS1_14partition_implILS5_1ELb0ES3_jN6thrust23THRUST_200600_302600_NS6detail15normal_iteratorINSA_10device_ptrIjEEEEPS6_NSA_18transform_iteratorI7is_evenIjESF_NSA_11use_defaultESK_EENS0_5tupleIJSF_NSA_16discard_iteratorISK_EEEEENSM_IJSG_SG_EEES6_PlJS6_EEE10hipError_tPvRmT3_T4_T5_T6_T7_T9_mT8_P12ihipStream_tbDpT10_ENKUlT_T0_E_clISt17integral_constantIbLb1EES1B_EEDaS16_S17_EUlS16_E_NS1_11comp_targetILNS1_3genE9ELNS1_11target_archE1100ELNS1_3gpuE3ELNS1_3repE0EEENS1_30default_config_static_selectorELNS0_4arch9wavefront6targetE1EEEvT1_
	.p2align	8
	.type	_ZN7rocprim17ROCPRIM_400000_NS6detail17trampoline_kernelINS0_14default_configENS1_25partition_config_selectorILNS1_17partition_subalgoE1EjNS0_10empty_typeEbEEZZNS1_14partition_implILS5_1ELb0ES3_jN6thrust23THRUST_200600_302600_NS6detail15normal_iteratorINSA_10device_ptrIjEEEEPS6_NSA_18transform_iteratorI7is_evenIjESF_NSA_11use_defaultESK_EENS0_5tupleIJSF_NSA_16discard_iteratorISK_EEEEENSM_IJSG_SG_EEES6_PlJS6_EEE10hipError_tPvRmT3_T4_T5_T6_T7_T9_mT8_P12ihipStream_tbDpT10_ENKUlT_T0_E_clISt17integral_constantIbLb1EES1B_EEDaS16_S17_EUlS16_E_NS1_11comp_targetILNS1_3genE9ELNS1_11target_archE1100ELNS1_3gpuE3ELNS1_3repE0EEENS1_30default_config_static_selectorELNS0_4arch9wavefront6targetE1EEEvT1_,@function
_ZN7rocprim17ROCPRIM_400000_NS6detail17trampoline_kernelINS0_14default_configENS1_25partition_config_selectorILNS1_17partition_subalgoE1EjNS0_10empty_typeEbEEZZNS1_14partition_implILS5_1ELb0ES3_jN6thrust23THRUST_200600_302600_NS6detail15normal_iteratorINSA_10device_ptrIjEEEEPS6_NSA_18transform_iteratorI7is_evenIjESF_NSA_11use_defaultESK_EENS0_5tupleIJSF_NSA_16discard_iteratorISK_EEEEENSM_IJSG_SG_EEES6_PlJS6_EEE10hipError_tPvRmT3_T4_T5_T6_T7_T9_mT8_P12ihipStream_tbDpT10_ENKUlT_T0_E_clISt17integral_constantIbLb1EES1B_EEDaS16_S17_EUlS16_E_NS1_11comp_targetILNS1_3genE9ELNS1_11target_archE1100ELNS1_3gpuE3ELNS1_3repE0EEENS1_30default_config_static_selectorELNS0_4arch9wavefront6targetE1EEEvT1_: ; @_ZN7rocprim17ROCPRIM_400000_NS6detail17trampoline_kernelINS0_14default_configENS1_25partition_config_selectorILNS1_17partition_subalgoE1EjNS0_10empty_typeEbEEZZNS1_14partition_implILS5_1ELb0ES3_jN6thrust23THRUST_200600_302600_NS6detail15normal_iteratorINSA_10device_ptrIjEEEEPS6_NSA_18transform_iteratorI7is_evenIjESF_NSA_11use_defaultESK_EENS0_5tupleIJSF_NSA_16discard_iteratorISK_EEEEENSM_IJSG_SG_EEES6_PlJS6_EEE10hipError_tPvRmT3_T4_T5_T6_T7_T9_mT8_P12ihipStream_tbDpT10_ENKUlT_T0_E_clISt17integral_constantIbLb1EES1B_EEDaS16_S17_EUlS16_E_NS1_11comp_targetILNS1_3genE9ELNS1_11target_archE1100ELNS1_3gpuE3ELNS1_3repE0EEENS1_30default_config_static_selectorELNS0_4arch9wavefront6targetE1EEEvT1_
; %bb.0:
	.section	.rodata,"a",@progbits
	.p2align	6, 0x0
	.amdhsa_kernel _ZN7rocprim17ROCPRIM_400000_NS6detail17trampoline_kernelINS0_14default_configENS1_25partition_config_selectorILNS1_17partition_subalgoE1EjNS0_10empty_typeEbEEZZNS1_14partition_implILS5_1ELb0ES3_jN6thrust23THRUST_200600_302600_NS6detail15normal_iteratorINSA_10device_ptrIjEEEEPS6_NSA_18transform_iteratorI7is_evenIjESF_NSA_11use_defaultESK_EENS0_5tupleIJSF_NSA_16discard_iteratorISK_EEEEENSM_IJSG_SG_EEES6_PlJS6_EEE10hipError_tPvRmT3_T4_T5_T6_T7_T9_mT8_P12ihipStream_tbDpT10_ENKUlT_T0_E_clISt17integral_constantIbLb1EES1B_EEDaS16_S17_EUlS16_E_NS1_11comp_targetILNS1_3genE9ELNS1_11target_archE1100ELNS1_3gpuE3ELNS1_3repE0EEENS1_30default_config_static_selectorELNS0_4arch9wavefront6targetE1EEEvT1_
		.amdhsa_group_segment_fixed_size 0
		.amdhsa_private_segment_fixed_size 0
		.amdhsa_kernarg_size 152
		.amdhsa_user_sgpr_count 2
		.amdhsa_user_sgpr_dispatch_ptr 0
		.amdhsa_user_sgpr_queue_ptr 0
		.amdhsa_user_sgpr_kernarg_segment_ptr 1
		.amdhsa_user_sgpr_dispatch_id 0
		.amdhsa_user_sgpr_kernarg_preload_length 0
		.amdhsa_user_sgpr_kernarg_preload_offset 0
		.amdhsa_user_sgpr_private_segment_size 0
		.amdhsa_uses_dynamic_stack 0
		.amdhsa_enable_private_segment 0
		.amdhsa_system_sgpr_workgroup_id_x 1
		.amdhsa_system_sgpr_workgroup_id_y 0
		.amdhsa_system_sgpr_workgroup_id_z 0
		.amdhsa_system_sgpr_workgroup_info 0
		.amdhsa_system_vgpr_workitem_id 0
		.amdhsa_next_free_vgpr 1
		.amdhsa_next_free_sgpr 0
		.amdhsa_accum_offset 4
		.amdhsa_reserve_vcc 0
		.amdhsa_float_round_mode_32 0
		.amdhsa_float_round_mode_16_64 0
		.amdhsa_float_denorm_mode_32 3
		.amdhsa_float_denorm_mode_16_64 3
		.amdhsa_dx10_clamp 1
		.amdhsa_ieee_mode 1
		.amdhsa_fp16_overflow 0
		.amdhsa_tg_split 0
		.amdhsa_exception_fp_ieee_invalid_op 0
		.amdhsa_exception_fp_denorm_src 0
		.amdhsa_exception_fp_ieee_div_zero 0
		.amdhsa_exception_fp_ieee_overflow 0
		.amdhsa_exception_fp_ieee_underflow 0
		.amdhsa_exception_fp_ieee_inexact 0
		.amdhsa_exception_int_div_zero 0
	.end_amdhsa_kernel
	.section	.text._ZN7rocprim17ROCPRIM_400000_NS6detail17trampoline_kernelINS0_14default_configENS1_25partition_config_selectorILNS1_17partition_subalgoE1EjNS0_10empty_typeEbEEZZNS1_14partition_implILS5_1ELb0ES3_jN6thrust23THRUST_200600_302600_NS6detail15normal_iteratorINSA_10device_ptrIjEEEEPS6_NSA_18transform_iteratorI7is_evenIjESF_NSA_11use_defaultESK_EENS0_5tupleIJSF_NSA_16discard_iteratorISK_EEEEENSM_IJSG_SG_EEES6_PlJS6_EEE10hipError_tPvRmT3_T4_T5_T6_T7_T9_mT8_P12ihipStream_tbDpT10_ENKUlT_T0_E_clISt17integral_constantIbLb1EES1B_EEDaS16_S17_EUlS16_E_NS1_11comp_targetILNS1_3genE9ELNS1_11target_archE1100ELNS1_3gpuE3ELNS1_3repE0EEENS1_30default_config_static_selectorELNS0_4arch9wavefront6targetE1EEEvT1_,"axG",@progbits,_ZN7rocprim17ROCPRIM_400000_NS6detail17trampoline_kernelINS0_14default_configENS1_25partition_config_selectorILNS1_17partition_subalgoE1EjNS0_10empty_typeEbEEZZNS1_14partition_implILS5_1ELb0ES3_jN6thrust23THRUST_200600_302600_NS6detail15normal_iteratorINSA_10device_ptrIjEEEEPS6_NSA_18transform_iteratorI7is_evenIjESF_NSA_11use_defaultESK_EENS0_5tupleIJSF_NSA_16discard_iteratorISK_EEEEENSM_IJSG_SG_EEES6_PlJS6_EEE10hipError_tPvRmT3_T4_T5_T6_T7_T9_mT8_P12ihipStream_tbDpT10_ENKUlT_T0_E_clISt17integral_constantIbLb1EES1B_EEDaS16_S17_EUlS16_E_NS1_11comp_targetILNS1_3genE9ELNS1_11target_archE1100ELNS1_3gpuE3ELNS1_3repE0EEENS1_30default_config_static_selectorELNS0_4arch9wavefront6targetE1EEEvT1_,comdat
.Lfunc_end3017:
	.size	_ZN7rocprim17ROCPRIM_400000_NS6detail17trampoline_kernelINS0_14default_configENS1_25partition_config_selectorILNS1_17partition_subalgoE1EjNS0_10empty_typeEbEEZZNS1_14partition_implILS5_1ELb0ES3_jN6thrust23THRUST_200600_302600_NS6detail15normal_iteratorINSA_10device_ptrIjEEEEPS6_NSA_18transform_iteratorI7is_evenIjESF_NSA_11use_defaultESK_EENS0_5tupleIJSF_NSA_16discard_iteratorISK_EEEEENSM_IJSG_SG_EEES6_PlJS6_EEE10hipError_tPvRmT3_T4_T5_T6_T7_T9_mT8_P12ihipStream_tbDpT10_ENKUlT_T0_E_clISt17integral_constantIbLb1EES1B_EEDaS16_S17_EUlS16_E_NS1_11comp_targetILNS1_3genE9ELNS1_11target_archE1100ELNS1_3gpuE3ELNS1_3repE0EEENS1_30default_config_static_selectorELNS0_4arch9wavefront6targetE1EEEvT1_, .Lfunc_end3017-_ZN7rocprim17ROCPRIM_400000_NS6detail17trampoline_kernelINS0_14default_configENS1_25partition_config_selectorILNS1_17partition_subalgoE1EjNS0_10empty_typeEbEEZZNS1_14partition_implILS5_1ELb0ES3_jN6thrust23THRUST_200600_302600_NS6detail15normal_iteratorINSA_10device_ptrIjEEEEPS6_NSA_18transform_iteratorI7is_evenIjESF_NSA_11use_defaultESK_EENS0_5tupleIJSF_NSA_16discard_iteratorISK_EEEEENSM_IJSG_SG_EEES6_PlJS6_EEE10hipError_tPvRmT3_T4_T5_T6_T7_T9_mT8_P12ihipStream_tbDpT10_ENKUlT_T0_E_clISt17integral_constantIbLb1EES1B_EEDaS16_S17_EUlS16_E_NS1_11comp_targetILNS1_3genE9ELNS1_11target_archE1100ELNS1_3gpuE3ELNS1_3repE0EEENS1_30default_config_static_selectorELNS0_4arch9wavefront6targetE1EEEvT1_
                                        ; -- End function
	.section	.AMDGPU.csdata,"",@progbits
; Kernel info:
; codeLenInByte = 0
; NumSgprs: 6
; NumVgprs: 0
; NumAgprs: 0
; TotalNumVgprs: 0
; ScratchSize: 0
; MemoryBound: 0
; FloatMode: 240
; IeeeMode: 1
; LDSByteSize: 0 bytes/workgroup (compile time only)
; SGPRBlocks: 0
; VGPRBlocks: 0
; NumSGPRsForWavesPerEU: 6
; NumVGPRsForWavesPerEU: 1
; AccumOffset: 4
; Occupancy: 8
; WaveLimiterHint : 0
; COMPUTE_PGM_RSRC2:SCRATCH_EN: 0
; COMPUTE_PGM_RSRC2:USER_SGPR: 2
; COMPUTE_PGM_RSRC2:TRAP_HANDLER: 0
; COMPUTE_PGM_RSRC2:TGID_X_EN: 1
; COMPUTE_PGM_RSRC2:TGID_Y_EN: 0
; COMPUTE_PGM_RSRC2:TGID_Z_EN: 0
; COMPUTE_PGM_RSRC2:TIDIG_COMP_CNT: 0
; COMPUTE_PGM_RSRC3_GFX90A:ACCUM_OFFSET: 0
; COMPUTE_PGM_RSRC3_GFX90A:TG_SPLIT: 0
	.section	.text._ZN7rocprim17ROCPRIM_400000_NS6detail17trampoline_kernelINS0_14default_configENS1_25partition_config_selectorILNS1_17partition_subalgoE1EjNS0_10empty_typeEbEEZZNS1_14partition_implILS5_1ELb0ES3_jN6thrust23THRUST_200600_302600_NS6detail15normal_iteratorINSA_10device_ptrIjEEEEPS6_NSA_18transform_iteratorI7is_evenIjESF_NSA_11use_defaultESK_EENS0_5tupleIJSF_NSA_16discard_iteratorISK_EEEEENSM_IJSG_SG_EEES6_PlJS6_EEE10hipError_tPvRmT3_T4_T5_T6_T7_T9_mT8_P12ihipStream_tbDpT10_ENKUlT_T0_E_clISt17integral_constantIbLb1EES1B_EEDaS16_S17_EUlS16_E_NS1_11comp_targetILNS1_3genE8ELNS1_11target_archE1030ELNS1_3gpuE2ELNS1_3repE0EEENS1_30default_config_static_selectorELNS0_4arch9wavefront6targetE1EEEvT1_,"axG",@progbits,_ZN7rocprim17ROCPRIM_400000_NS6detail17trampoline_kernelINS0_14default_configENS1_25partition_config_selectorILNS1_17partition_subalgoE1EjNS0_10empty_typeEbEEZZNS1_14partition_implILS5_1ELb0ES3_jN6thrust23THRUST_200600_302600_NS6detail15normal_iteratorINSA_10device_ptrIjEEEEPS6_NSA_18transform_iteratorI7is_evenIjESF_NSA_11use_defaultESK_EENS0_5tupleIJSF_NSA_16discard_iteratorISK_EEEEENSM_IJSG_SG_EEES6_PlJS6_EEE10hipError_tPvRmT3_T4_T5_T6_T7_T9_mT8_P12ihipStream_tbDpT10_ENKUlT_T0_E_clISt17integral_constantIbLb1EES1B_EEDaS16_S17_EUlS16_E_NS1_11comp_targetILNS1_3genE8ELNS1_11target_archE1030ELNS1_3gpuE2ELNS1_3repE0EEENS1_30default_config_static_selectorELNS0_4arch9wavefront6targetE1EEEvT1_,comdat
	.protected	_ZN7rocprim17ROCPRIM_400000_NS6detail17trampoline_kernelINS0_14default_configENS1_25partition_config_selectorILNS1_17partition_subalgoE1EjNS0_10empty_typeEbEEZZNS1_14partition_implILS5_1ELb0ES3_jN6thrust23THRUST_200600_302600_NS6detail15normal_iteratorINSA_10device_ptrIjEEEEPS6_NSA_18transform_iteratorI7is_evenIjESF_NSA_11use_defaultESK_EENS0_5tupleIJSF_NSA_16discard_iteratorISK_EEEEENSM_IJSG_SG_EEES6_PlJS6_EEE10hipError_tPvRmT3_T4_T5_T6_T7_T9_mT8_P12ihipStream_tbDpT10_ENKUlT_T0_E_clISt17integral_constantIbLb1EES1B_EEDaS16_S17_EUlS16_E_NS1_11comp_targetILNS1_3genE8ELNS1_11target_archE1030ELNS1_3gpuE2ELNS1_3repE0EEENS1_30default_config_static_selectorELNS0_4arch9wavefront6targetE1EEEvT1_ ; -- Begin function _ZN7rocprim17ROCPRIM_400000_NS6detail17trampoline_kernelINS0_14default_configENS1_25partition_config_selectorILNS1_17partition_subalgoE1EjNS0_10empty_typeEbEEZZNS1_14partition_implILS5_1ELb0ES3_jN6thrust23THRUST_200600_302600_NS6detail15normal_iteratorINSA_10device_ptrIjEEEEPS6_NSA_18transform_iteratorI7is_evenIjESF_NSA_11use_defaultESK_EENS0_5tupleIJSF_NSA_16discard_iteratorISK_EEEEENSM_IJSG_SG_EEES6_PlJS6_EEE10hipError_tPvRmT3_T4_T5_T6_T7_T9_mT8_P12ihipStream_tbDpT10_ENKUlT_T0_E_clISt17integral_constantIbLb1EES1B_EEDaS16_S17_EUlS16_E_NS1_11comp_targetILNS1_3genE8ELNS1_11target_archE1030ELNS1_3gpuE2ELNS1_3repE0EEENS1_30default_config_static_selectorELNS0_4arch9wavefront6targetE1EEEvT1_
	.globl	_ZN7rocprim17ROCPRIM_400000_NS6detail17trampoline_kernelINS0_14default_configENS1_25partition_config_selectorILNS1_17partition_subalgoE1EjNS0_10empty_typeEbEEZZNS1_14partition_implILS5_1ELb0ES3_jN6thrust23THRUST_200600_302600_NS6detail15normal_iteratorINSA_10device_ptrIjEEEEPS6_NSA_18transform_iteratorI7is_evenIjESF_NSA_11use_defaultESK_EENS0_5tupleIJSF_NSA_16discard_iteratorISK_EEEEENSM_IJSG_SG_EEES6_PlJS6_EEE10hipError_tPvRmT3_T4_T5_T6_T7_T9_mT8_P12ihipStream_tbDpT10_ENKUlT_T0_E_clISt17integral_constantIbLb1EES1B_EEDaS16_S17_EUlS16_E_NS1_11comp_targetILNS1_3genE8ELNS1_11target_archE1030ELNS1_3gpuE2ELNS1_3repE0EEENS1_30default_config_static_selectorELNS0_4arch9wavefront6targetE1EEEvT1_
	.p2align	8
	.type	_ZN7rocprim17ROCPRIM_400000_NS6detail17trampoline_kernelINS0_14default_configENS1_25partition_config_selectorILNS1_17partition_subalgoE1EjNS0_10empty_typeEbEEZZNS1_14partition_implILS5_1ELb0ES3_jN6thrust23THRUST_200600_302600_NS6detail15normal_iteratorINSA_10device_ptrIjEEEEPS6_NSA_18transform_iteratorI7is_evenIjESF_NSA_11use_defaultESK_EENS0_5tupleIJSF_NSA_16discard_iteratorISK_EEEEENSM_IJSG_SG_EEES6_PlJS6_EEE10hipError_tPvRmT3_T4_T5_T6_T7_T9_mT8_P12ihipStream_tbDpT10_ENKUlT_T0_E_clISt17integral_constantIbLb1EES1B_EEDaS16_S17_EUlS16_E_NS1_11comp_targetILNS1_3genE8ELNS1_11target_archE1030ELNS1_3gpuE2ELNS1_3repE0EEENS1_30default_config_static_selectorELNS0_4arch9wavefront6targetE1EEEvT1_,@function
_ZN7rocprim17ROCPRIM_400000_NS6detail17trampoline_kernelINS0_14default_configENS1_25partition_config_selectorILNS1_17partition_subalgoE1EjNS0_10empty_typeEbEEZZNS1_14partition_implILS5_1ELb0ES3_jN6thrust23THRUST_200600_302600_NS6detail15normal_iteratorINSA_10device_ptrIjEEEEPS6_NSA_18transform_iteratorI7is_evenIjESF_NSA_11use_defaultESK_EENS0_5tupleIJSF_NSA_16discard_iteratorISK_EEEEENSM_IJSG_SG_EEES6_PlJS6_EEE10hipError_tPvRmT3_T4_T5_T6_T7_T9_mT8_P12ihipStream_tbDpT10_ENKUlT_T0_E_clISt17integral_constantIbLb1EES1B_EEDaS16_S17_EUlS16_E_NS1_11comp_targetILNS1_3genE8ELNS1_11target_archE1030ELNS1_3gpuE2ELNS1_3repE0EEENS1_30default_config_static_selectorELNS0_4arch9wavefront6targetE1EEEvT1_: ; @_ZN7rocprim17ROCPRIM_400000_NS6detail17trampoline_kernelINS0_14default_configENS1_25partition_config_selectorILNS1_17partition_subalgoE1EjNS0_10empty_typeEbEEZZNS1_14partition_implILS5_1ELb0ES3_jN6thrust23THRUST_200600_302600_NS6detail15normal_iteratorINSA_10device_ptrIjEEEEPS6_NSA_18transform_iteratorI7is_evenIjESF_NSA_11use_defaultESK_EENS0_5tupleIJSF_NSA_16discard_iteratorISK_EEEEENSM_IJSG_SG_EEES6_PlJS6_EEE10hipError_tPvRmT3_T4_T5_T6_T7_T9_mT8_P12ihipStream_tbDpT10_ENKUlT_T0_E_clISt17integral_constantIbLb1EES1B_EEDaS16_S17_EUlS16_E_NS1_11comp_targetILNS1_3genE8ELNS1_11target_archE1030ELNS1_3gpuE2ELNS1_3repE0EEENS1_30default_config_static_selectorELNS0_4arch9wavefront6targetE1EEEvT1_
; %bb.0:
	.section	.rodata,"a",@progbits
	.p2align	6, 0x0
	.amdhsa_kernel _ZN7rocprim17ROCPRIM_400000_NS6detail17trampoline_kernelINS0_14default_configENS1_25partition_config_selectorILNS1_17partition_subalgoE1EjNS0_10empty_typeEbEEZZNS1_14partition_implILS5_1ELb0ES3_jN6thrust23THRUST_200600_302600_NS6detail15normal_iteratorINSA_10device_ptrIjEEEEPS6_NSA_18transform_iteratorI7is_evenIjESF_NSA_11use_defaultESK_EENS0_5tupleIJSF_NSA_16discard_iteratorISK_EEEEENSM_IJSG_SG_EEES6_PlJS6_EEE10hipError_tPvRmT3_T4_T5_T6_T7_T9_mT8_P12ihipStream_tbDpT10_ENKUlT_T0_E_clISt17integral_constantIbLb1EES1B_EEDaS16_S17_EUlS16_E_NS1_11comp_targetILNS1_3genE8ELNS1_11target_archE1030ELNS1_3gpuE2ELNS1_3repE0EEENS1_30default_config_static_selectorELNS0_4arch9wavefront6targetE1EEEvT1_
		.amdhsa_group_segment_fixed_size 0
		.amdhsa_private_segment_fixed_size 0
		.amdhsa_kernarg_size 152
		.amdhsa_user_sgpr_count 2
		.amdhsa_user_sgpr_dispatch_ptr 0
		.amdhsa_user_sgpr_queue_ptr 0
		.amdhsa_user_sgpr_kernarg_segment_ptr 1
		.amdhsa_user_sgpr_dispatch_id 0
		.amdhsa_user_sgpr_kernarg_preload_length 0
		.amdhsa_user_sgpr_kernarg_preload_offset 0
		.amdhsa_user_sgpr_private_segment_size 0
		.amdhsa_uses_dynamic_stack 0
		.amdhsa_enable_private_segment 0
		.amdhsa_system_sgpr_workgroup_id_x 1
		.amdhsa_system_sgpr_workgroup_id_y 0
		.amdhsa_system_sgpr_workgroup_id_z 0
		.amdhsa_system_sgpr_workgroup_info 0
		.amdhsa_system_vgpr_workitem_id 0
		.amdhsa_next_free_vgpr 1
		.amdhsa_next_free_sgpr 0
		.amdhsa_accum_offset 4
		.amdhsa_reserve_vcc 0
		.amdhsa_float_round_mode_32 0
		.amdhsa_float_round_mode_16_64 0
		.amdhsa_float_denorm_mode_32 3
		.amdhsa_float_denorm_mode_16_64 3
		.amdhsa_dx10_clamp 1
		.amdhsa_ieee_mode 1
		.amdhsa_fp16_overflow 0
		.amdhsa_tg_split 0
		.amdhsa_exception_fp_ieee_invalid_op 0
		.amdhsa_exception_fp_denorm_src 0
		.amdhsa_exception_fp_ieee_div_zero 0
		.amdhsa_exception_fp_ieee_overflow 0
		.amdhsa_exception_fp_ieee_underflow 0
		.amdhsa_exception_fp_ieee_inexact 0
		.amdhsa_exception_int_div_zero 0
	.end_amdhsa_kernel
	.section	.text._ZN7rocprim17ROCPRIM_400000_NS6detail17trampoline_kernelINS0_14default_configENS1_25partition_config_selectorILNS1_17partition_subalgoE1EjNS0_10empty_typeEbEEZZNS1_14partition_implILS5_1ELb0ES3_jN6thrust23THRUST_200600_302600_NS6detail15normal_iteratorINSA_10device_ptrIjEEEEPS6_NSA_18transform_iteratorI7is_evenIjESF_NSA_11use_defaultESK_EENS0_5tupleIJSF_NSA_16discard_iteratorISK_EEEEENSM_IJSG_SG_EEES6_PlJS6_EEE10hipError_tPvRmT3_T4_T5_T6_T7_T9_mT8_P12ihipStream_tbDpT10_ENKUlT_T0_E_clISt17integral_constantIbLb1EES1B_EEDaS16_S17_EUlS16_E_NS1_11comp_targetILNS1_3genE8ELNS1_11target_archE1030ELNS1_3gpuE2ELNS1_3repE0EEENS1_30default_config_static_selectorELNS0_4arch9wavefront6targetE1EEEvT1_,"axG",@progbits,_ZN7rocprim17ROCPRIM_400000_NS6detail17trampoline_kernelINS0_14default_configENS1_25partition_config_selectorILNS1_17partition_subalgoE1EjNS0_10empty_typeEbEEZZNS1_14partition_implILS5_1ELb0ES3_jN6thrust23THRUST_200600_302600_NS6detail15normal_iteratorINSA_10device_ptrIjEEEEPS6_NSA_18transform_iteratorI7is_evenIjESF_NSA_11use_defaultESK_EENS0_5tupleIJSF_NSA_16discard_iteratorISK_EEEEENSM_IJSG_SG_EEES6_PlJS6_EEE10hipError_tPvRmT3_T4_T5_T6_T7_T9_mT8_P12ihipStream_tbDpT10_ENKUlT_T0_E_clISt17integral_constantIbLb1EES1B_EEDaS16_S17_EUlS16_E_NS1_11comp_targetILNS1_3genE8ELNS1_11target_archE1030ELNS1_3gpuE2ELNS1_3repE0EEENS1_30default_config_static_selectorELNS0_4arch9wavefront6targetE1EEEvT1_,comdat
.Lfunc_end3018:
	.size	_ZN7rocprim17ROCPRIM_400000_NS6detail17trampoline_kernelINS0_14default_configENS1_25partition_config_selectorILNS1_17partition_subalgoE1EjNS0_10empty_typeEbEEZZNS1_14partition_implILS5_1ELb0ES3_jN6thrust23THRUST_200600_302600_NS6detail15normal_iteratorINSA_10device_ptrIjEEEEPS6_NSA_18transform_iteratorI7is_evenIjESF_NSA_11use_defaultESK_EENS0_5tupleIJSF_NSA_16discard_iteratorISK_EEEEENSM_IJSG_SG_EEES6_PlJS6_EEE10hipError_tPvRmT3_T4_T5_T6_T7_T9_mT8_P12ihipStream_tbDpT10_ENKUlT_T0_E_clISt17integral_constantIbLb1EES1B_EEDaS16_S17_EUlS16_E_NS1_11comp_targetILNS1_3genE8ELNS1_11target_archE1030ELNS1_3gpuE2ELNS1_3repE0EEENS1_30default_config_static_selectorELNS0_4arch9wavefront6targetE1EEEvT1_, .Lfunc_end3018-_ZN7rocprim17ROCPRIM_400000_NS6detail17trampoline_kernelINS0_14default_configENS1_25partition_config_selectorILNS1_17partition_subalgoE1EjNS0_10empty_typeEbEEZZNS1_14partition_implILS5_1ELb0ES3_jN6thrust23THRUST_200600_302600_NS6detail15normal_iteratorINSA_10device_ptrIjEEEEPS6_NSA_18transform_iteratorI7is_evenIjESF_NSA_11use_defaultESK_EENS0_5tupleIJSF_NSA_16discard_iteratorISK_EEEEENSM_IJSG_SG_EEES6_PlJS6_EEE10hipError_tPvRmT3_T4_T5_T6_T7_T9_mT8_P12ihipStream_tbDpT10_ENKUlT_T0_E_clISt17integral_constantIbLb1EES1B_EEDaS16_S17_EUlS16_E_NS1_11comp_targetILNS1_3genE8ELNS1_11target_archE1030ELNS1_3gpuE2ELNS1_3repE0EEENS1_30default_config_static_selectorELNS0_4arch9wavefront6targetE1EEEvT1_
                                        ; -- End function
	.section	.AMDGPU.csdata,"",@progbits
; Kernel info:
; codeLenInByte = 0
; NumSgprs: 6
; NumVgprs: 0
; NumAgprs: 0
; TotalNumVgprs: 0
; ScratchSize: 0
; MemoryBound: 0
; FloatMode: 240
; IeeeMode: 1
; LDSByteSize: 0 bytes/workgroup (compile time only)
; SGPRBlocks: 0
; VGPRBlocks: 0
; NumSGPRsForWavesPerEU: 6
; NumVGPRsForWavesPerEU: 1
; AccumOffset: 4
; Occupancy: 8
; WaveLimiterHint : 0
; COMPUTE_PGM_RSRC2:SCRATCH_EN: 0
; COMPUTE_PGM_RSRC2:USER_SGPR: 2
; COMPUTE_PGM_RSRC2:TRAP_HANDLER: 0
; COMPUTE_PGM_RSRC2:TGID_X_EN: 1
; COMPUTE_PGM_RSRC2:TGID_Y_EN: 0
; COMPUTE_PGM_RSRC2:TGID_Z_EN: 0
; COMPUTE_PGM_RSRC2:TIDIG_COMP_CNT: 0
; COMPUTE_PGM_RSRC3_GFX90A:ACCUM_OFFSET: 0
; COMPUTE_PGM_RSRC3_GFX90A:TG_SPLIT: 0
	.section	.text._ZN7rocprim17ROCPRIM_400000_NS6detail17trampoline_kernelINS0_14default_configENS1_25partition_config_selectorILNS1_17partition_subalgoE1EjNS0_10empty_typeEbEEZZNS1_14partition_implILS5_1ELb0ES3_jN6thrust23THRUST_200600_302600_NS6detail15normal_iteratorINSA_10device_ptrIjEEEEPS6_NSA_18transform_iteratorI7is_evenIjESF_NSA_11use_defaultESK_EENS0_5tupleIJSF_NSA_16discard_iteratorISK_EEEEENSM_IJSG_SG_EEES6_PlJS6_EEE10hipError_tPvRmT3_T4_T5_T6_T7_T9_mT8_P12ihipStream_tbDpT10_ENKUlT_T0_E_clISt17integral_constantIbLb1EES1A_IbLb0EEEEDaS16_S17_EUlS16_E_NS1_11comp_targetILNS1_3genE0ELNS1_11target_archE4294967295ELNS1_3gpuE0ELNS1_3repE0EEENS1_30default_config_static_selectorELNS0_4arch9wavefront6targetE1EEEvT1_,"axG",@progbits,_ZN7rocprim17ROCPRIM_400000_NS6detail17trampoline_kernelINS0_14default_configENS1_25partition_config_selectorILNS1_17partition_subalgoE1EjNS0_10empty_typeEbEEZZNS1_14partition_implILS5_1ELb0ES3_jN6thrust23THRUST_200600_302600_NS6detail15normal_iteratorINSA_10device_ptrIjEEEEPS6_NSA_18transform_iteratorI7is_evenIjESF_NSA_11use_defaultESK_EENS0_5tupleIJSF_NSA_16discard_iteratorISK_EEEEENSM_IJSG_SG_EEES6_PlJS6_EEE10hipError_tPvRmT3_T4_T5_T6_T7_T9_mT8_P12ihipStream_tbDpT10_ENKUlT_T0_E_clISt17integral_constantIbLb1EES1A_IbLb0EEEEDaS16_S17_EUlS16_E_NS1_11comp_targetILNS1_3genE0ELNS1_11target_archE4294967295ELNS1_3gpuE0ELNS1_3repE0EEENS1_30default_config_static_selectorELNS0_4arch9wavefront6targetE1EEEvT1_,comdat
	.protected	_ZN7rocprim17ROCPRIM_400000_NS6detail17trampoline_kernelINS0_14default_configENS1_25partition_config_selectorILNS1_17partition_subalgoE1EjNS0_10empty_typeEbEEZZNS1_14partition_implILS5_1ELb0ES3_jN6thrust23THRUST_200600_302600_NS6detail15normal_iteratorINSA_10device_ptrIjEEEEPS6_NSA_18transform_iteratorI7is_evenIjESF_NSA_11use_defaultESK_EENS0_5tupleIJSF_NSA_16discard_iteratorISK_EEEEENSM_IJSG_SG_EEES6_PlJS6_EEE10hipError_tPvRmT3_T4_T5_T6_T7_T9_mT8_P12ihipStream_tbDpT10_ENKUlT_T0_E_clISt17integral_constantIbLb1EES1A_IbLb0EEEEDaS16_S17_EUlS16_E_NS1_11comp_targetILNS1_3genE0ELNS1_11target_archE4294967295ELNS1_3gpuE0ELNS1_3repE0EEENS1_30default_config_static_selectorELNS0_4arch9wavefront6targetE1EEEvT1_ ; -- Begin function _ZN7rocprim17ROCPRIM_400000_NS6detail17trampoline_kernelINS0_14default_configENS1_25partition_config_selectorILNS1_17partition_subalgoE1EjNS0_10empty_typeEbEEZZNS1_14partition_implILS5_1ELb0ES3_jN6thrust23THRUST_200600_302600_NS6detail15normal_iteratorINSA_10device_ptrIjEEEEPS6_NSA_18transform_iteratorI7is_evenIjESF_NSA_11use_defaultESK_EENS0_5tupleIJSF_NSA_16discard_iteratorISK_EEEEENSM_IJSG_SG_EEES6_PlJS6_EEE10hipError_tPvRmT3_T4_T5_T6_T7_T9_mT8_P12ihipStream_tbDpT10_ENKUlT_T0_E_clISt17integral_constantIbLb1EES1A_IbLb0EEEEDaS16_S17_EUlS16_E_NS1_11comp_targetILNS1_3genE0ELNS1_11target_archE4294967295ELNS1_3gpuE0ELNS1_3repE0EEENS1_30default_config_static_selectorELNS0_4arch9wavefront6targetE1EEEvT1_
	.globl	_ZN7rocprim17ROCPRIM_400000_NS6detail17trampoline_kernelINS0_14default_configENS1_25partition_config_selectorILNS1_17partition_subalgoE1EjNS0_10empty_typeEbEEZZNS1_14partition_implILS5_1ELb0ES3_jN6thrust23THRUST_200600_302600_NS6detail15normal_iteratorINSA_10device_ptrIjEEEEPS6_NSA_18transform_iteratorI7is_evenIjESF_NSA_11use_defaultESK_EENS0_5tupleIJSF_NSA_16discard_iteratorISK_EEEEENSM_IJSG_SG_EEES6_PlJS6_EEE10hipError_tPvRmT3_T4_T5_T6_T7_T9_mT8_P12ihipStream_tbDpT10_ENKUlT_T0_E_clISt17integral_constantIbLb1EES1A_IbLb0EEEEDaS16_S17_EUlS16_E_NS1_11comp_targetILNS1_3genE0ELNS1_11target_archE4294967295ELNS1_3gpuE0ELNS1_3repE0EEENS1_30default_config_static_selectorELNS0_4arch9wavefront6targetE1EEEvT1_
	.p2align	8
	.type	_ZN7rocprim17ROCPRIM_400000_NS6detail17trampoline_kernelINS0_14default_configENS1_25partition_config_selectorILNS1_17partition_subalgoE1EjNS0_10empty_typeEbEEZZNS1_14partition_implILS5_1ELb0ES3_jN6thrust23THRUST_200600_302600_NS6detail15normal_iteratorINSA_10device_ptrIjEEEEPS6_NSA_18transform_iteratorI7is_evenIjESF_NSA_11use_defaultESK_EENS0_5tupleIJSF_NSA_16discard_iteratorISK_EEEEENSM_IJSG_SG_EEES6_PlJS6_EEE10hipError_tPvRmT3_T4_T5_T6_T7_T9_mT8_P12ihipStream_tbDpT10_ENKUlT_T0_E_clISt17integral_constantIbLb1EES1A_IbLb0EEEEDaS16_S17_EUlS16_E_NS1_11comp_targetILNS1_3genE0ELNS1_11target_archE4294967295ELNS1_3gpuE0ELNS1_3repE0EEENS1_30default_config_static_selectorELNS0_4arch9wavefront6targetE1EEEvT1_,@function
_ZN7rocprim17ROCPRIM_400000_NS6detail17trampoline_kernelINS0_14default_configENS1_25partition_config_selectorILNS1_17partition_subalgoE1EjNS0_10empty_typeEbEEZZNS1_14partition_implILS5_1ELb0ES3_jN6thrust23THRUST_200600_302600_NS6detail15normal_iteratorINSA_10device_ptrIjEEEEPS6_NSA_18transform_iteratorI7is_evenIjESF_NSA_11use_defaultESK_EENS0_5tupleIJSF_NSA_16discard_iteratorISK_EEEEENSM_IJSG_SG_EEES6_PlJS6_EEE10hipError_tPvRmT3_T4_T5_T6_T7_T9_mT8_P12ihipStream_tbDpT10_ENKUlT_T0_E_clISt17integral_constantIbLb1EES1A_IbLb0EEEEDaS16_S17_EUlS16_E_NS1_11comp_targetILNS1_3genE0ELNS1_11target_archE4294967295ELNS1_3gpuE0ELNS1_3repE0EEENS1_30default_config_static_selectorELNS0_4arch9wavefront6targetE1EEEvT1_: ; @_ZN7rocprim17ROCPRIM_400000_NS6detail17trampoline_kernelINS0_14default_configENS1_25partition_config_selectorILNS1_17partition_subalgoE1EjNS0_10empty_typeEbEEZZNS1_14partition_implILS5_1ELb0ES3_jN6thrust23THRUST_200600_302600_NS6detail15normal_iteratorINSA_10device_ptrIjEEEEPS6_NSA_18transform_iteratorI7is_evenIjESF_NSA_11use_defaultESK_EENS0_5tupleIJSF_NSA_16discard_iteratorISK_EEEEENSM_IJSG_SG_EEES6_PlJS6_EEE10hipError_tPvRmT3_T4_T5_T6_T7_T9_mT8_P12ihipStream_tbDpT10_ENKUlT_T0_E_clISt17integral_constantIbLb1EES1A_IbLb0EEEEDaS16_S17_EUlS16_E_NS1_11comp_targetILNS1_3genE0ELNS1_11target_archE4294967295ELNS1_3gpuE0ELNS1_3repE0EEENS1_30default_config_static_selectorELNS0_4arch9wavefront6targetE1EEEvT1_
; %bb.0:
	.section	.rodata,"a",@progbits
	.p2align	6, 0x0
	.amdhsa_kernel _ZN7rocprim17ROCPRIM_400000_NS6detail17trampoline_kernelINS0_14default_configENS1_25partition_config_selectorILNS1_17partition_subalgoE1EjNS0_10empty_typeEbEEZZNS1_14partition_implILS5_1ELb0ES3_jN6thrust23THRUST_200600_302600_NS6detail15normal_iteratorINSA_10device_ptrIjEEEEPS6_NSA_18transform_iteratorI7is_evenIjESF_NSA_11use_defaultESK_EENS0_5tupleIJSF_NSA_16discard_iteratorISK_EEEEENSM_IJSG_SG_EEES6_PlJS6_EEE10hipError_tPvRmT3_T4_T5_T6_T7_T9_mT8_P12ihipStream_tbDpT10_ENKUlT_T0_E_clISt17integral_constantIbLb1EES1A_IbLb0EEEEDaS16_S17_EUlS16_E_NS1_11comp_targetILNS1_3genE0ELNS1_11target_archE4294967295ELNS1_3gpuE0ELNS1_3repE0EEENS1_30default_config_static_selectorELNS0_4arch9wavefront6targetE1EEEvT1_
		.amdhsa_group_segment_fixed_size 0
		.amdhsa_private_segment_fixed_size 0
		.amdhsa_kernarg_size 136
		.amdhsa_user_sgpr_count 2
		.amdhsa_user_sgpr_dispatch_ptr 0
		.amdhsa_user_sgpr_queue_ptr 0
		.amdhsa_user_sgpr_kernarg_segment_ptr 1
		.amdhsa_user_sgpr_dispatch_id 0
		.amdhsa_user_sgpr_kernarg_preload_length 0
		.amdhsa_user_sgpr_kernarg_preload_offset 0
		.amdhsa_user_sgpr_private_segment_size 0
		.amdhsa_uses_dynamic_stack 0
		.amdhsa_enable_private_segment 0
		.amdhsa_system_sgpr_workgroup_id_x 1
		.amdhsa_system_sgpr_workgroup_id_y 0
		.amdhsa_system_sgpr_workgroup_id_z 0
		.amdhsa_system_sgpr_workgroup_info 0
		.amdhsa_system_vgpr_workitem_id 0
		.amdhsa_next_free_vgpr 1
		.amdhsa_next_free_sgpr 0
		.amdhsa_accum_offset 4
		.amdhsa_reserve_vcc 0
		.amdhsa_float_round_mode_32 0
		.amdhsa_float_round_mode_16_64 0
		.amdhsa_float_denorm_mode_32 3
		.amdhsa_float_denorm_mode_16_64 3
		.amdhsa_dx10_clamp 1
		.amdhsa_ieee_mode 1
		.amdhsa_fp16_overflow 0
		.amdhsa_tg_split 0
		.amdhsa_exception_fp_ieee_invalid_op 0
		.amdhsa_exception_fp_denorm_src 0
		.amdhsa_exception_fp_ieee_div_zero 0
		.amdhsa_exception_fp_ieee_overflow 0
		.amdhsa_exception_fp_ieee_underflow 0
		.amdhsa_exception_fp_ieee_inexact 0
		.amdhsa_exception_int_div_zero 0
	.end_amdhsa_kernel
	.section	.text._ZN7rocprim17ROCPRIM_400000_NS6detail17trampoline_kernelINS0_14default_configENS1_25partition_config_selectorILNS1_17partition_subalgoE1EjNS0_10empty_typeEbEEZZNS1_14partition_implILS5_1ELb0ES3_jN6thrust23THRUST_200600_302600_NS6detail15normal_iteratorINSA_10device_ptrIjEEEEPS6_NSA_18transform_iteratorI7is_evenIjESF_NSA_11use_defaultESK_EENS0_5tupleIJSF_NSA_16discard_iteratorISK_EEEEENSM_IJSG_SG_EEES6_PlJS6_EEE10hipError_tPvRmT3_T4_T5_T6_T7_T9_mT8_P12ihipStream_tbDpT10_ENKUlT_T0_E_clISt17integral_constantIbLb1EES1A_IbLb0EEEEDaS16_S17_EUlS16_E_NS1_11comp_targetILNS1_3genE0ELNS1_11target_archE4294967295ELNS1_3gpuE0ELNS1_3repE0EEENS1_30default_config_static_selectorELNS0_4arch9wavefront6targetE1EEEvT1_,"axG",@progbits,_ZN7rocprim17ROCPRIM_400000_NS6detail17trampoline_kernelINS0_14default_configENS1_25partition_config_selectorILNS1_17partition_subalgoE1EjNS0_10empty_typeEbEEZZNS1_14partition_implILS5_1ELb0ES3_jN6thrust23THRUST_200600_302600_NS6detail15normal_iteratorINSA_10device_ptrIjEEEEPS6_NSA_18transform_iteratorI7is_evenIjESF_NSA_11use_defaultESK_EENS0_5tupleIJSF_NSA_16discard_iteratorISK_EEEEENSM_IJSG_SG_EEES6_PlJS6_EEE10hipError_tPvRmT3_T4_T5_T6_T7_T9_mT8_P12ihipStream_tbDpT10_ENKUlT_T0_E_clISt17integral_constantIbLb1EES1A_IbLb0EEEEDaS16_S17_EUlS16_E_NS1_11comp_targetILNS1_3genE0ELNS1_11target_archE4294967295ELNS1_3gpuE0ELNS1_3repE0EEENS1_30default_config_static_selectorELNS0_4arch9wavefront6targetE1EEEvT1_,comdat
.Lfunc_end3019:
	.size	_ZN7rocprim17ROCPRIM_400000_NS6detail17trampoline_kernelINS0_14default_configENS1_25partition_config_selectorILNS1_17partition_subalgoE1EjNS0_10empty_typeEbEEZZNS1_14partition_implILS5_1ELb0ES3_jN6thrust23THRUST_200600_302600_NS6detail15normal_iteratorINSA_10device_ptrIjEEEEPS6_NSA_18transform_iteratorI7is_evenIjESF_NSA_11use_defaultESK_EENS0_5tupleIJSF_NSA_16discard_iteratorISK_EEEEENSM_IJSG_SG_EEES6_PlJS6_EEE10hipError_tPvRmT3_T4_T5_T6_T7_T9_mT8_P12ihipStream_tbDpT10_ENKUlT_T0_E_clISt17integral_constantIbLb1EES1A_IbLb0EEEEDaS16_S17_EUlS16_E_NS1_11comp_targetILNS1_3genE0ELNS1_11target_archE4294967295ELNS1_3gpuE0ELNS1_3repE0EEENS1_30default_config_static_selectorELNS0_4arch9wavefront6targetE1EEEvT1_, .Lfunc_end3019-_ZN7rocprim17ROCPRIM_400000_NS6detail17trampoline_kernelINS0_14default_configENS1_25partition_config_selectorILNS1_17partition_subalgoE1EjNS0_10empty_typeEbEEZZNS1_14partition_implILS5_1ELb0ES3_jN6thrust23THRUST_200600_302600_NS6detail15normal_iteratorINSA_10device_ptrIjEEEEPS6_NSA_18transform_iteratorI7is_evenIjESF_NSA_11use_defaultESK_EENS0_5tupleIJSF_NSA_16discard_iteratorISK_EEEEENSM_IJSG_SG_EEES6_PlJS6_EEE10hipError_tPvRmT3_T4_T5_T6_T7_T9_mT8_P12ihipStream_tbDpT10_ENKUlT_T0_E_clISt17integral_constantIbLb1EES1A_IbLb0EEEEDaS16_S17_EUlS16_E_NS1_11comp_targetILNS1_3genE0ELNS1_11target_archE4294967295ELNS1_3gpuE0ELNS1_3repE0EEENS1_30default_config_static_selectorELNS0_4arch9wavefront6targetE1EEEvT1_
                                        ; -- End function
	.section	.AMDGPU.csdata,"",@progbits
; Kernel info:
; codeLenInByte = 0
; NumSgprs: 6
; NumVgprs: 0
; NumAgprs: 0
; TotalNumVgprs: 0
; ScratchSize: 0
; MemoryBound: 0
; FloatMode: 240
; IeeeMode: 1
; LDSByteSize: 0 bytes/workgroup (compile time only)
; SGPRBlocks: 0
; VGPRBlocks: 0
; NumSGPRsForWavesPerEU: 6
; NumVGPRsForWavesPerEU: 1
; AccumOffset: 4
; Occupancy: 8
; WaveLimiterHint : 0
; COMPUTE_PGM_RSRC2:SCRATCH_EN: 0
; COMPUTE_PGM_RSRC2:USER_SGPR: 2
; COMPUTE_PGM_RSRC2:TRAP_HANDLER: 0
; COMPUTE_PGM_RSRC2:TGID_X_EN: 1
; COMPUTE_PGM_RSRC2:TGID_Y_EN: 0
; COMPUTE_PGM_RSRC2:TGID_Z_EN: 0
; COMPUTE_PGM_RSRC2:TIDIG_COMP_CNT: 0
; COMPUTE_PGM_RSRC3_GFX90A:ACCUM_OFFSET: 0
; COMPUTE_PGM_RSRC3_GFX90A:TG_SPLIT: 0
	.section	.text._ZN7rocprim17ROCPRIM_400000_NS6detail17trampoline_kernelINS0_14default_configENS1_25partition_config_selectorILNS1_17partition_subalgoE1EjNS0_10empty_typeEbEEZZNS1_14partition_implILS5_1ELb0ES3_jN6thrust23THRUST_200600_302600_NS6detail15normal_iteratorINSA_10device_ptrIjEEEEPS6_NSA_18transform_iteratorI7is_evenIjESF_NSA_11use_defaultESK_EENS0_5tupleIJSF_NSA_16discard_iteratorISK_EEEEENSM_IJSG_SG_EEES6_PlJS6_EEE10hipError_tPvRmT3_T4_T5_T6_T7_T9_mT8_P12ihipStream_tbDpT10_ENKUlT_T0_E_clISt17integral_constantIbLb1EES1A_IbLb0EEEEDaS16_S17_EUlS16_E_NS1_11comp_targetILNS1_3genE5ELNS1_11target_archE942ELNS1_3gpuE9ELNS1_3repE0EEENS1_30default_config_static_selectorELNS0_4arch9wavefront6targetE1EEEvT1_,"axG",@progbits,_ZN7rocprim17ROCPRIM_400000_NS6detail17trampoline_kernelINS0_14default_configENS1_25partition_config_selectorILNS1_17partition_subalgoE1EjNS0_10empty_typeEbEEZZNS1_14partition_implILS5_1ELb0ES3_jN6thrust23THRUST_200600_302600_NS6detail15normal_iteratorINSA_10device_ptrIjEEEEPS6_NSA_18transform_iteratorI7is_evenIjESF_NSA_11use_defaultESK_EENS0_5tupleIJSF_NSA_16discard_iteratorISK_EEEEENSM_IJSG_SG_EEES6_PlJS6_EEE10hipError_tPvRmT3_T4_T5_T6_T7_T9_mT8_P12ihipStream_tbDpT10_ENKUlT_T0_E_clISt17integral_constantIbLb1EES1A_IbLb0EEEEDaS16_S17_EUlS16_E_NS1_11comp_targetILNS1_3genE5ELNS1_11target_archE942ELNS1_3gpuE9ELNS1_3repE0EEENS1_30default_config_static_selectorELNS0_4arch9wavefront6targetE1EEEvT1_,comdat
	.protected	_ZN7rocprim17ROCPRIM_400000_NS6detail17trampoline_kernelINS0_14default_configENS1_25partition_config_selectorILNS1_17partition_subalgoE1EjNS0_10empty_typeEbEEZZNS1_14partition_implILS5_1ELb0ES3_jN6thrust23THRUST_200600_302600_NS6detail15normal_iteratorINSA_10device_ptrIjEEEEPS6_NSA_18transform_iteratorI7is_evenIjESF_NSA_11use_defaultESK_EENS0_5tupleIJSF_NSA_16discard_iteratorISK_EEEEENSM_IJSG_SG_EEES6_PlJS6_EEE10hipError_tPvRmT3_T4_T5_T6_T7_T9_mT8_P12ihipStream_tbDpT10_ENKUlT_T0_E_clISt17integral_constantIbLb1EES1A_IbLb0EEEEDaS16_S17_EUlS16_E_NS1_11comp_targetILNS1_3genE5ELNS1_11target_archE942ELNS1_3gpuE9ELNS1_3repE0EEENS1_30default_config_static_selectorELNS0_4arch9wavefront6targetE1EEEvT1_ ; -- Begin function _ZN7rocprim17ROCPRIM_400000_NS6detail17trampoline_kernelINS0_14default_configENS1_25partition_config_selectorILNS1_17partition_subalgoE1EjNS0_10empty_typeEbEEZZNS1_14partition_implILS5_1ELb0ES3_jN6thrust23THRUST_200600_302600_NS6detail15normal_iteratorINSA_10device_ptrIjEEEEPS6_NSA_18transform_iteratorI7is_evenIjESF_NSA_11use_defaultESK_EENS0_5tupleIJSF_NSA_16discard_iteratorISK_EEEEENSM_IJSG_SG_EEES6_PlJS6_EEE10hipError_tPvRmT3_T4_T5_T6_T7_T9_mT8_P12ihipStream_tbDpT10_ENKUlT_T0_E_clISt17integral_constantIbLb1EES1A_IbLb0EEEEDaS16_S17_EUlS16_E_NS1_11comp_targetILNS1_3genE5ELNS1_11target_archE942ELNS1_3gpuE9ELNS1_3repE0EEENS1_30default_config_static_selectorELNS0_4arch9wavefront6targetE1EEEvT1_
	.globl	_ZN7rocprim17ROCPRIM_400000_NS6detail17trampoline_kernelINS0_14default_configENS1_25partition_config_selectorILNS1_17partition_subalgoE1EjNS0_10empty_typeEbEEZZNS1_14partition_implILS5_1ELb0ES3_jN6thrust23THRUST_200600_302600_NS6detail15normal_iteratorINSA_10device_ptrIjEEEEPS6_NSA_18transform_iteratorI7is_evenIjESF_NSA_11use_defaultESK_EENS0_5tupleIJSF_NSA_16discard_iteratorISK_EEEEENSM_IJSG_SG_EEES6_PlJS6_EEE10hipError_tPvRmT3_T4_T5_T6_T7_T9_mT8_P12ihipStream_tbDpT10_ENKUlT_T0_E_clISt17integral_constantIbLb1EES1A_IbLb0EEEEDaS16_S17_EUlS16_E_NS1_11comp_targetILNS1_3genE5ELNS1_11target_archE942ELNS1_3gpuE9ELNS1_3repE0EEENS1_30default_config_static_selectorELNS0_4arch9wavefront6targetE1EEEvT1_
	.p2align	8
	.type	_ZN7rocprim17ROCPRIM_400000_NS6detail17trampoline_kernelINS0_14default_configENS1_25partition_config_selectorILNS1_17partition_subalgoE1EjNS0_10empty_typeEbEEZZNS1_14partition_implILS5_1ELb0ES3_jN6thrust23THRUST_200600_302600_NS6detail15normal_iteratorINSA_10device_ptrIjEEEEPS6_NSA_18transform_iteratorI7is_evenIjESF_NSA_11use_defaultESK_EENS0_5tupleIJSF_NSA_16discard_iteratorISK_EEEEENSM_IJSG_SG_EEES6_PlJS6_EEE10hipError_tPvRmT3_T4_T5_T6_T7_T9_mT8_P12ihipStream_tbDpT10_ENKUlT_T0_E_clISt17integral_constantIbLb1EES1A_IbLb0EEEEDaS16_S17_EUlS16_E_NS1_11comp_targetILNS1_3genE5ELNS1_11target_archE942ELNS1_3gpuE9ELNS1_3repE0EEENS1_30default_config_static_selectorELNS0_4arch9wavefront6targetE1EEEvT1_,@function
_ZN7rocprim17ROCPRIM_400000_NS6detail17trampoline_kernelINS0_14default_configENS1_25partition_config_selectorILNS1_17partition_subalgoE1EjNS0_10empty_typeEbEEZZNS1_14partition_implILS5_1ELb0ES3_jN6thrust23THRUST_200600_302600_NS6detail15normal_iteratorINSA_10device_ptrIjEEEEPS6_NSA_18transform_iteratorI7is_evenIjESF_NSA_11use_defaultESK_EENS0_5tupleIJSF_NSA_16discard_iteratorISK_EEEEENSM_IJSG_SG_EEES6_PlJS6_EEE10hipError_tPvRmT3_T4_T5_T6_T7_T9_mT8_P12ihipStream_tbDpT10_ENKUlT_T0_E_clISt17integral_constantIbLb1EES1A_IbLb0EEEEDaS16_S17_EUlS16_E_NS1_11comp_targetILNS1_3genE5ELNS1_11target_archE942ELNS1_3gpuE9ELNS1_3repE0EEENS1_30default_config_static_selectorELNS0_4arch9wavefront6targetE1EEEvT1_: ; @_ZN7rocprim17ROCPRIM_400000_NS6detail17trampoline_kernelINS0_14default_configENS1_25partition_config_selectorILNS1_17partition_subalgoE1EjNS0_10empty_typeEbEEZZNS1_14partition_implILS5_1ELb0ES3_jN6thrust23THRUST_200600_302600_NS6detail15normal_iteratorINSA_10device_ptrIjEEEEPS6_NSA_18transform_iteratorI7is_evenIjESF_NSA_11use_defaultESK_EENS0_5tupleIJSF_NSA_16discard_iteratorISK_EEEEENSM_IJSG_SG_EEES6_PlJS6_EEE10hipError_tPvRmT3_T4_T5_T6_T7_T9_mT8_P12ihipStream_tbDpT10_ENKUlT_T0_E_clISt17integral_constantIbLb1EES1A_IbLb0EEEEDaS16_S17_EUlS16_E_NS1_11comp_targetILNS1_3genE5ELNS1_11target_archE942ELNS1_3gpuE9ELNS1_3repE0EEENS1_30default_config_static_selectorELNS0_4arch9wavefront6targetE1EEEvT1_
; %bb.0:
	s_load_dwordx2 s[4:5], s[0:1], 0x68
	s_load_dwordx4 s[12:15], s[0:1], 0x8
	s_load_dwordx2 s[6:7], s[0:1], 0x20
	s_load_dwordx4 s[20:23], s[0:1], 0x58
	s_load_dword s3, s[0:1], 0x80
	s_waitcnt lgkmcnt(0)
	v_mov_b32_e32 v3, s5
	s_lshl_b64 s[8:9], s[14:15], 2
	s_add_u32 s12, s12, s8
	s_addc_u32 s13, s13, s9
	s_add_i32 s16, s3, -1
	s_mulk_i32 s3, 0x1e00
	s_add_i32 s5, s3, s14
	s_sub_i32 s33, s4, s5
	s_addk_i32 s33, 0x1e00
	v_mov_b32_e32 v2, s4
	s_add_u32 s4, s14, s3
	s_addc_u32 s5, s15, 0
	s_cmp_eq_u32 s2, s16
	s_load_dwordx2 s[22:23], s[22:23], 0x0
	s_cselect_b64 s[24:25], -1, 0
	s_cmp_lg_u32 s2, s16
	s_mul_i32 s10, s2, 0x1e00
	s_mov_b32 s11, 0
	v_cmp_lt_u64_e32 vcc, s[4:5], v[2:3]
	s_cselect_b64 s[4:5], -1, 0
	s_or_b64 s[26:27], s[4:5], vcc
	s_lshl_b64 s[10:11], s[10:11], 2
	s_add_u32 s12, s12, s10
	s_addc_u32 s13, s13, s11
	s_mov_b64 s[4:5], -1
	s_and_b64 vcc, exec, s[26:27]
	v_lshlrev_b32_e32 v22, 2, v0
	s_cbranch_vccz .LBB3020_2
; %bb.1:
	v_mov_b32_e32 v23, 0
	v_lshl_add_u64 v[2:3], s[12:13], 0, v[22:23]
	v_add_co_u32_e32 v4, vcc, 0x1000, v2
	s_mov_b64 s[4:5], 0
	s_nop 0
	v_addc_co_u32_e32 v5, vcc, 0, v3, vcc
	v_add_co_u32_e32 v6, vcc, 0x2000, v2
	s_nop 1
	v_addc_co_u32_e32 v7, vcc, 0, v3, vcc
	v_add_co_u32_e32 v8, vcc, 0x3000, v2
	s_nop 1
	v_addc_co_u32_e32 v9, vcc, 0, v3, vcc
	flat_load_dword v1, v[2:3]
	flat_load_dword v10, v[2:3] offset:2048
	flat_load_dword v11, v[4:5]
	flat_load_dword v12, v[4:5] offset:2048
	;; [unrolled: 2-line block ×4, first 2 shown]
	v_add_co_u32_e32 v4, vcc, 0x4000, v2
	s_nop 1
	v_addc_co_u32_e32 v5, vcc, 0, v3, vcc
	v_add_co_u32_e32 v6, vcc, 0x5000, v2
	s_nop 1
	v_addc_co_u32_e32 v7, vcc, 0, v3, vcc
	;; [unrolled: 3-line block ×4, first 2 shown]
	flat_load_dword v17, v[4:5]
	flat_load_dword v18, v[4:5] offset:2048
	flat_load_dword v19, v[6:7]
	flat_load_dword v20, v[6:7] offset:2048
	;; [unrolled: 2-line block ×3, first 2 shown]
	flat_load_dword v24, v[2:3]
	s_waitcnt vmcnt(0) lgkmcnt(0)
	ds_write2st64_b32 v22, v1, v10 offset1:8
	ds_write2st64_b32 v22, v11, v12 offset0:16 offset1:24
	ds_write2st64_b32 v22, v13, v14 offset0:32 offset1:40
	;; [unrolled: 1-line block ×6, first 2 shown]
	ds_write_b32 v22, v24 offset:28672
	s_waitcnt lgkmcnt(0)
	s_barrier
.LBB3020_2:
	s_andn2_b64 vcc, exec, s[4:5]
	v_cmp_gt_u32_e64 s[4:5], s33, v0
	s_cbranch_vccnz .LBB3020_34
; %bb.3:
                                        ; implicit-def: $vgpr2_vgpr3_vgpr4_vgpr5_vgpr6_vgpr7_vgpr8_vgpr9_vgpr10_vgpr11_vgpr12_vgpr13_vgpr14_vgpr15_vgpr16_vgpr17
	s_and_saveexec_b64 s[14:15], s[4:5]
	s_cbranch_execz .LBB3020_5
; %bb.4:
	v_mov_b32_e32 v23, 0
	v_lshl_add_u64 v[2:3], s[12:13], 0, v[22:23]
	flat_load_dword v2, v[2:3]
.LBB3020_5:
	s_or_b64 exec, exec, s[14:15]
	v_or_b32_e32 v1, 0x200, v0
	v_cmp_gt_u32_e32 vcc, s33, v1
	s_and_saveexec_b64 s[4:5], vcc
	s_cbranch_execz .LBB3020_7
; %bb.6:
	v_mov_b32_e32 v23, 0
	v_lshl_add_u64 v[18:19], s[12:13], 0, v[22:23]
	flat_load_dword v3, v[18:19] offset:2048
.LBB3020_7:
	s_or_b64 exec, exec, s[4:5]
	v_or_b32_e32 v1, 0x400, v0
	v_cmp_gt_u32_e32 vcc, s33, v1
	s_and_saveexec_b64 s[4:5], vcc
	s_cbranch_execz .LBB3020_9
; %bb.8:
	v_lshlrev_b32_e32 v18, 2, v1
	v_mov_b32_e32 v19, 0
	v_lshl_add_u64 v[18:19], s[12:13], 0, v[18:19]
	flat_load_dword v4, v[18:19]
.LBB3020_9:
	s_or_b64 exec, exec, s[4:5]
	v_or_b32_e32 v1, 0x600, v0
	v_cmp_gt_u32_e32 vcc, s33, v1
	s_and_saveexec_b64 s[4:5], vcc
	s_cbranch_execz .LBB3020_11
; %bb.10:
	v_lshlrev_b32_e32 v18, 2, v1
	v_mov_b32_e32 v19, 0
	v_lshl_add_u64 v[18:19], s[12:13], 0, v[18:19]
	flat_load_dword v5, v[18:19]
.LBB3020_11:
	;; [unrolled: 11-line block ×13, first 2 shown]
	s_or_b64 exec, exec, s[4:5]
	s_waitcnt vmcnt(0) lgkmcnt(0)
	ds_write2st64_b32 v22, v2, v3 offset1:8
	ds_write2st64_b32 v22, v4, v5 offset0:16 offset1:24
	ds_write2st64_b32 v22, v6, v7 offset0:32 offset1:40
	;; [unrolled: 1-line block ×6, first 2 shown]
	ds_write_b32 v22, v16 offset:28672
	s_waitcnt lgkmcnt(0)
	s_barrier
.LBB3020_34:
	v_mul_u32_u24_e32 v21, 15, v0
	v_lshlrev_b32_e32 v1, 2, v21
	s_waitcnt lgkmcnt(0)
	ds_read2_b32 v[36:37], v1 offset1:1
	ds_read2_b32 v[34:35], v1 offset0:2 offset1:3
	ds_read2_b32 v[32:33], v1 offset0:4 offset1:5
	;; [unrolled: 1-line block ×6, first 2 shown]
	ds_read_b32 v1, v1 offset:56
	s_add_u32 s3, s6, s8
	s_addc_u32 s5, s7, s9
	s_add_u32 s4, s3, s10
	s_addc_u32 s5, s5, s11
	s_mov_b64 s[6:7], -1
	s_and_b64 vcc, exec, s[26:27]
	s_waitcnt lgkmcnt(0)
	s_barrier
	s_cbranch_vccz .LBB3020_36
; %bb.35:
	v_mov_b32_e32 v23, 0
	v_lshl_add_u64 v[2:3], s[4:5], 0, v[22:23]
	v_add_co_u32_e32 v4, vcc, 0x1000, v2
	global_load_dword v10, v22, s[4:5]
	global_load_dword v11, v22, s[4:5] offset:2048
	v_addc_co_u32_e32 v5, vcc, 0, v3, vcc
	v_add_co_u32_e32 v6, vcc, 0x2000, v2
	s_mov_b64 s[6:7], 0
	s_nop 0
	v_addc_co_u32_e32 v7, vcc, 0, v3, vcc
	v_add_co_u32_e32 v8, vcc, 0x3000, v2
	s_nop 1
	v_addc_co_u32_e32 v9, vcc, 0, v3, vcc
	global_load_dword v12, v[4:5], off
	global_load_dword v13, v[4:5], off offset:2048
	global_load_dword v14, v[6:7], off
	global_load_dword v15, v[6:7], off offset:2048
	;; [unrolled: 2-line block ×3, first 2 shown]
	v_add_co_u32_e32 v4, vcc, 0x4000, v2
	s_nop 1
	v_addc_co_u32_e32 v5, vcc, 0, v3, vcc
	global_load_dword v6, v[4:5], off
	global_load_dword v7, v[4:5], off offset:2048
	v_add_co_u32_e32 v4, vcc, 0x5000, v2
	s_waitcnt vmcnt(1)
	v_xor_b32_e32 v6, -1, v6
	v_addc_co_u32_e32 v5, vcc, 0, v3, vcc
	global_load_dword v8, v[4:5], off
	global_load_dword v9, v[4:5], off offset:2048
	v_add_co_u32_e32 v4, vcc, 0x6000, v2
	s_waitcnt vmcnt(2)
	v_xor_b32_e32 v7, -1, v7
	v_addc_co_u32_e32 v5, vcc, 0, v3, vcc
	v_add_co_u32_e32 v2, vcc, 0x7000, v2
	global_load_dword v18, v[4:5], off
	global_load_dword v19, v[4:5], off offset:2048
	v_addc_co_u32_e32 v3, vcc, 0, v3, vcc
	global_load_dword v2, v[2:3], off
	v_xor_b32_e32 v3, -1, v10
	v_xor_b32_e32 v4, -1, v11
	v_and_b32_e32 v3, 1, v3
	v_and_b32_e32 v4, 1, v4
	ds_write_b8 v0, v3
	ds_write_b8 v0, v4 offset:512
	v_xor_b32_e32 v3, -1, v12
	v_xor_b32_e32 v4, -1, v13
	v_xor_b32_e32 v5, -1, v14
	v_and_b32_e32 v3, 1, v3
	v_and_b32_e32 v4, 1, v4
	v_xor_b32_e32 v10, -1, v15
	v_and_b32_e32 v5, 1, v5
	v_xor_b32_e32 v11, -1, v16
	v_xor_b32_e32 v12, -1, v17
	v_and_b32_e32 v10, 1, v10
	ds_write_b8 v0, v3 offset:1024
	ds_write_b8 v0, v4 offset:1536
	v_and_b32_e32 v3, 1, v11
	v_and_b32_e32 v4, 1, v12
	ds_write_b8 v0, v5 offset:2048
	ds_write_b8 v0, v10 offset:2560
	v_and_b32_e32 v5, 1, v6
	v_and_b32_e32 v6, 1, v7
	ds_write_b8 v0, v3 offset:3072
	ds_write_b8 v0, v4 offset:3584
	;; [unrolled: 1-line block ×4, first 2 shown]
	s_waitcnt vmcnt(4)
	v_xor_b32_e32 v7, -1, v8
	s_waitcnt vmcnt(3)
	v_xor_b32_e32 v8, -1, v9
	v_and_b32_e32 v3, 1, v7
	v_and_b32_e32 v4, 1, v8
	s_waitcnt vmcnt(2)
	v_xor_b32_e32 v7, -1, v18
	s_waitcnt vmcnt(1)
	v_xor_b32_e32 v8, -1, v19
	v_and_b32_e32 v5, 1, v7
	v_and_b32_e32 v6, 1, v8
	s_waitcnt vmcnt(0)
	v_xor_b32_e32 v2, -1, v2
	v_and_b32_e32 v2, 1, v2
	ds_write_b8 v0, v3 offset:5120
	ds_write_b8 v0, v4 offset:5632
	;; [unrolled: 1-line block ×5, first 2 shown]
	s_waitcnt lgkmcnt(0)
	s_barrier
.LBB3020_36:
	s_load_dwordx2 s[28:29], s[0:1], 0x78
	s_andn2_b64 vcc, exec, s[6:7]
	s_cbranch_vccnz .LBB3020_68
; %bb.37:
	v_cmp_gt_u32_e32 vcc, s33, v0
	v_mov_b32_e32 v2, 0
	v_mov_b32_e32 v3, 0
	s_and_saveexec_b64 s[6:7], vcc
	s_cbranch_execz .LBB3020_39
; %bb.38:
	global_load_dword v3, v22, s[4:5]
	s_waitcnt vmcnt(0)
	v_xor_b32_e32 v3, -1, v3
	v_and_b32_e32 v3, 1, v3
.LBB3020_39:
	s_or_b64 exec, exec, s[6:7]
	v_or_b32_e32 v4, 0x200, v0
	v_cmp_gt_u32_e32 vcc, s33, v4
	s_and_saveexec_b64 s[6:7], vcc
	s_cbranch_execz .LBB3020_41
; %bb.40:
	global_load_dword v2, v22, s[4:5] offset:2048
	s_waitcnt vmcnt(0)
	v_xor_b32_e32 v2, -1, v2
	v_and_b32_e32 v2, 1, v2
.LBB3020_41:
	s_or_b64 exec, exec, s[6:7]
	v_or_b32_e32 v6, 0x400, v0
	v_cmp_gt_u32_e32 vcc, s33, v6
	v_mov_b32_e32 v4, 0
	v_mov_b32_e32 v5, 0
	s_and_saveexec_b64 s[6:7], vcc
	s_cbranch_execz .LBB3020_43
; %bb.42:
	v_lshlrev_b32_e32 v5, 2, v6
	global_load_dword v5, v5, s[4:5]
	s_waitcnt vmcnt(0)
	v_xor_b32_e32 v5, -1, v5
	v_and_b32_e32 v5, 1, v5
.LBB3020_43:
	s_or_b64 exec, exec, s[6:7]
	v_or_b32_e32 v6, 0x600, v0
	v_cmp_gt_u32_e32 vcc, s33, v6
	s_and_saveexec_b64 s[6:7], vcc
	s_cbranch_execz .LBB3020_45
; %bb.44:
	v_lshlrev_b32_e32 v4, 2, v6
	global_load_dword v4, v4, s[4:5]
	s_waitcnt vmcnt(0)
	v_xor_b32_e32 v4, -1, v4
	v_and_b32_e32 v4, 1, v4
.LBB3020_45:
	s_or_b64 exec, exec, s[6:7]
	v_or_b32_e32 v8, 0x800, v0
	v_cmp_gt_u32_e32 vcc, s33, v8
	v_mov_b32_e32 v6, 0
	v_mov_b32_e32 v7, 0
	s_and_saveexec_b64 s[6:7], vcc
	s_cbranch_execz .LBB3020_47
; %bb.46:
	v_lshlrev_b32_e32 v7, 2, v8
	global_load_dword v7, v7, s[4:5]
	s_waitcnt vmcnt(0)
	v_xor_b32_e32 v7, -1, v7
	v_and_b32_e32 v7, 1, v7
.LBB3020_47:
	s_or_b64 exec, exec, s[6:7]
	v_or_b32_e32 v8, 0xa00, v0
	v_cmp_gt_u32_e32 vcc, s33, v8
	s_and_saveexec_b64 s[6:7], vcc
	s_cbranch_execz .LBB3020_49
; %bb.48:
	v_lshlrev_b32_e32 v6, 2, v8
	global_load_dword v6, v6, s[4:5]
	s_waitcnt vmcnt(0)
	v_xor_b32_e32 v6, -1, v6
	v_and_b32_e32 v6, 1, v6
.LBB3020_49:
	;; [unrolled: 26-line block ×6, first 2 shown]
	s_or_b64 exec, exec, s[6:7]
	v_or_b32_e32 v17, 0x1c00, v0
	v_cmp_gt_u32_e32 vcc, s33, v17
	v_mov_b32_e32 v16, 0
	s_and_saveexec_b64 s[6:7], vcc
	s_cbranch_execz .LBB3020_67
; %bb.66:
	v_lshlrev_b32_e32 v16, 2, v17
	global_load_dword v16, v16, s[4:5]
	s_waitcnt vmcnt(0)
	v_xor_b32_e32 v16, -1, v16
	v_and_b32_e32 v16, 1, v16
.LBB3020_67:
	s_or_b64 exec, exec, s[6:7]
	ds_write_b8 v0, v3
	ds_write_b8 v0, v2 offset:512
	ds_write_b8 v0, v5 offset:1024
	;; [unrolled: 1-line block ×14, first 2 shown]
	s_waitcnt lgkmcnt(0)
	s_barrier
.LBB3020_68:
	s_waitcnt lgkmcnt(0)
	ds_read_b96 v[18:20], v21
	ds_read_u8 v2, v21 offset:12
	ds_read_u8 v3, v21 offset:13
	;; [unrolled: 1-line block ×3, first 2 shown]
	s_cmp_lg_u32 s2, 0
	v_lshrrev_b32_e32 v56, 6, v0
	s_waitcnt lgkmcnt(2)
	v_and_b32_e32 v43, 1, v2
	v_and_b32_e32 v52, 0xff, v18
	v_bfe_u32 v53, v18, 8, 8
	v_bfe_u32 v54, v18, 16, 8
	v_lshrrev_b32_e32 v45, 24, v18
	v_and_b32_e32 v49, 0xff, v19
	v_add3_u32 v2, v53, v52, v54
	v_bfe_u32 v50, v19, 8, 8
	v_bfe_u32 v51, v19, 16, 8
	v_add3_u32 v2, v2, v45, v49
	v_lshrrev_b32_e32 v44, 24, v19
	v_and_b32_e32 v46, 0xff, v20
	v_add3_u32 v2, v2, v50, v51
	v_bfe_u32 v47, v20, 8, 8
	v_bfe_u32 v48, v20, 16, 8
	v_add3_u32 v2, v2, v44, v46
	v_lshrrev_b32_e32 v42, 24, v20
	v_add3_u32 v2, v2, v47, v48
	s_waitcnt lgkmcnt(1)
	v_and_b32_e32 v41, 1, v3
	s_waitcnt lgkmcnt(0)
	v_and_b32_e32 v23, 1, v4
	v_add3_u32 v2, v2, v42, v43
	v_add3_u32 v57, v2, v41, v23
	v_mbcnt_lo_u32_b32 v2, -1, 0
	v_mbcnt_hi_u32_b32 v55, -1, v2
	v_and_b32_e32 v2, 15, v55
	v_cmp_eq_u32_e64 s[14:15], 0, v2
	v_cmp_lt_u32_e64 s[12:13], 1, v2
	v_cmp_lt_u32_e64 s[10:11], 3, v2
	v_cmp_lt_u32_e64 s[8:9], 7, v2
	v_and_b32_e32 v2, 16, v55
	v_cmp_eq_u32_e64 s[6:7], 0, v2
	v_or_b32_e32 v2, 63, v0
	v_cmp_lt_u32_e64 s[18:19], 31, v55
	v_cmp_eq_u32_e64 s[4:5], v2, v0
	s_barrier
	s_cbranch_scc0 .LBB3020_99
; %bb.69:
	v_mov_b32_dpp v2, v57 row_shr:1 row_mask:0xf bank_mask:0xf
	v_cndmask_b32_e64 v2, v2, 0, s[14:15]
	v_add_u32_e32 v2, v2, v57
	s_nop 1
	v_mov_b32_dpp v3, v2 row_shr:2 row_mask:0xf bank_mask:0xf
	v_cndmask_b32_e64 v3, 0, v3, s[12:13]
	v_add_u32_e32 v2, v2, v3
	s_nop 1
	;; [unrolled: 4-line block ×4, first 2 shown]
	v_mov_b32_dpp v3, v2 row_bcast:15 row_mask:0xf bank_mask:0xf
	v_cndmask_b32_e64 v3, v3, 0, s[6:7]
	v_add_u32_e32 v2, v2, v3
	s_nop 1
	v_mov_b32_dpp v3, v2 row_bcast:31 row_mask:0xf bank_mask:0xf
	v_cndmask_b32_e64 v3, 0, v3, s[18:19]
	v_add_u32_e32 v2, v2, v3
	s_and_saveexec_b64 s[16:17], s[4:5]
	s_cbranch_execz .LBB3020_71
; %bb.70:
	v_lshlrev_b32_e32 v3, 2, v56
	ds_write_b32 v3, v2
.LBB3020_71:
	s_or_b64 exec, exec, s[16:17]
	v_cmp_gt_u32_e32 vcc, 8, v0
	s_waitcnt lgkmcnt(0)
	s_barrier
	s_and_saveexec_b64 s[16:17], vcc
	s_cbranch_execz .LBB3020_73
; %bb.72:
	ds_read_b32 v3, v22
	v_and_b32_e32 v4, 7, v55
	v_cmp_ne_u32_e32 vcc, 0, v4
	s_waitcnt lgkmcnt(0)
	v_mov_b32_dpp v5, v3 row_shr:1 row_mask:0xf bank_mask:0xf
	v_cndmask_b32_e32 v5, 0, v5, vcc
	v_add_u32_e32 v3, v5, v3
	v_cmp_lt_u32_e32 vcc, 1, v4
	s_nop 0
	v_mov_b32_dpp v5, v3 row_shr:2 row_mask:0xf bank_mask:0xf
	v_cndmask_b32_e32 v5, 0, v5, vcc
	v_add_u32_e32 v3, v3, v5
	v_cmp_lt_u32_e32 vcc, 3, v4
	s_nop 0
	v_mov_b32_dpp v5, v3 row_shr:4 row_mask:0xf bank_mask:0xf
	v_cndmask_b32_e32 v4, 0, v5, vcc
	v_add_u32_e32 v3, v3, v4
	ds_write_b32 v22, v3
.LBB3020_73:
	s_or_b64 exec, exec, s[16:17]
	v_cmp_gt_u32_e32 vcc, 64, v0
	v_cmp_lt_u32_e64 s[16:17], 63, v0
	s_waitcnt lgkmcnt(0)
	s_barrier
	s_waitcnt lgkmcnt(0)
                                        ; implicit-def: $vgpr12
	s_and_saveexec_b64 s[30:31], s[16:17]
	s_cbranch_execz .LBB3020_75
; %bb.74:
	v_lshl_add_u32 v3, v56, 2, -4
	ds_read_b32 v12, v3
	s_waitcnt lgkmcnt(0)
	v_add_u32_e32 v2, v12, v2
.LBB3020_75:
	s_or_b64 exec, exec, s[30:31]
	v_add_u32_e32 v3, -1, v55
	v_and_b32_e32 v4, 64, v55
	v_cmp_lt_i32_e64 s[16:17], v3, v4
	s_nop 1
	v_cndmask_b32_e64 v3, v3, v55, s[16:17]
	v_lshlrev_b32_e32 v3, 2, v3
	ds_bpermute_b32 v13, v3, v2
	v_cmp_eq_u32_e64 s[16:17], 0, v55
	s_and_saveexec_b64 s[30:31], vcc
	s_cbranch_execz .LBB3020_98
; %bb.76:
	v_mov_b32_e32 v11, 0
	ds_read_b32 v2, v11 offset:28
	s_and_saveexec_b64 s[34:35], s[16:17]
	s_cbranch_execz .LBB3020_78
; %bb.77:
	s_add_i32 s36, s2, 64
	s_mov_b32 s37, 0
	s_lshl_b64 s[36:37], s[36:37], 3
	s_add_u32 s36, s28, s36
	v_mov_b32_e32 v3, 1
	s_addc_u32 s37, s29, s37
	s_waitcnt lgkmcnt(0)
	global_store_dwordx2 v11, v[2:3], s[36:37] sc1
.LBB3020_78:
	s_or_b64 exec, exec, s[34:35]
	v_xad_u32 v4, v55, -1, s2
	v_add_u32_e32 v10, 64, v4
	v_lshl_add_u64 v[6:7], v[10:11], 3, s[28:29]
	global_load_dwordx2 v[8:9], v[6:7], off sc1
	s_waitcnt vmcnt(0)
	v_cmp_eq_u16_sdwa s[36:37], v9, v11 src0_sel:BYTE_0 src1_sel:DWORD
	s_and_saveexec_b64 s[34:35], s[36:37]
	s_cbranch_execz .LBB3020_84
; %bb.79:
	s_mov_b32 s3, 1
	s_mov_b64 s[36:37], 0
	v_mov_b32_e32 v3, 0
.LBB3020_80:                            ; =>This Loop Header: Depth=1
                                        ;     Child Loop BB3020_81 Depth 2
	s_max_u32 s38, s3, 1
.LBB3020_81:                            ;   Parent Loop BB3020_80 Depth=1
                                        ; =>  This Inner Loop Header: Depth=2
	s_add_i32 s38, s38, -1
	s_cmp_eq_u32 s38, 0
	s_sleep 1
	s_cbranch_scc0 .LBB3020_81
; %bb.82:                               ;   in Loop: Header=BB3020_80 Depth=1
	global_load_dwordx2 v[8:9], v[6:7], off sc1
	s_cmp_lt_u32 s3, 32
	s_cselect_b64 s[38:39], -1, 0
	s_cmp_lg_u64 s[38:39], 0
	s_addc_u32 s3, s3, 0
	s_waitcnt vmcnt(0)
	v_cmp_ne_u16_sdwa s[38:39], v9, v3 src0_sel:BYTE_0 src1_sel:DWORD
	s_or_b64 s[36:37], s[38:39], s[36:37]
	s_andn2_b64 exec, exec, s[36:37]
	s_cbranch_execnz .LBB3020_80
; %bb.83:
	s_or_b64 exec, exec, s[36:37]
.LBB3020_84:
	s_or_b64 exec, exec, s[34:35]
	v_and_b32_e32 v15, 63, v55
	v_mov_b32_e32 v14, 2
	v_cmp_ne_u32_e32 vcc, 63, v15
	v_cmp_eq_u16_sdwa s[34:35], v9, v14 src0_sel:BYTE_0 src1_sel:DWORD
	v_lshlrev_b64 v[6:7], v55, -1
	v_addc_co_u32_e32 v10, vcc, 0, v55, vcc
	v_and_b32_e32 v3, s35, v7
	v_lshlrev_b32_e32 v16, 2, v10
	v_or_b32_e32 v3, 0x80000000, v3
	ds_bpermute_b32 v10, v16, v8
	v_and_b32_e32 v5, s34, v6
	v_ffbl_b32_e32 v3, v3
	v_add_u32_e32 v3, 32, v3
	v_ffbl_b32_e32 v5, v5
	v_min_u32_e32 v3, v5, v3
	v_cmp_lt_u32_e32 vcc, v15, v3
	v_add_u32_e32 v38, 2, v15
	v_add_u32_e32 v40, 4, v15
	s_waitcnt lgkmcnt(0)
	v_cndmask_b32_e32 v5, 0, v10, vcc
	v_cmp_gt_u32_e32 vcc, 62, v15
	v_add_u32_e32 v5, v5, v8
	v_add_u32_e32 v59, 8, v15
	v_cndmask_b32_e64 v8, 0, 1, vcc
	v_lshlrev_b32_e32 v8, 1, v8
	v_add_lshl_u32 v17, v8, v55, 2
	ds_bpermute_b32 v8, v17, v5
	v_cmp_le_u32_e32 vcc, v38, v3
	v_add_u32_e32 v61, 16, v15
	v_add_u32_e32 v63, 32, v15
	s_waitcnt lgkmcnt(0)
	v_cndmask_b32_e32 v8, 0, v8, vcc
	v_cmp_gt_u32_e32 vcc, 60, v15
	v_add_u32_e32 v5, v5, v8
	s_nop 0
	v_cndmask_b32_e64 v8, 0, 1, vcc
	v_lshlrev_b32_e32 v8, 2, v8
	v_add_lshl_u32 v39, v8, v55, 2
	ds_bpermute_b32 v8, v39, v5
	v_cmp_le_u32_e32 vcc, v40, v3
	s_waitcnt lgkmcnt(0)
	s_nop 0
	v_cndmask_b32_e32 v8, 0, v8, vcc
	v_cmp_gt_u32_e32 vcc, 56, v15
	v_add_u32_e32 v5, v5, v8
	s_nop 0
	v_cndmask_b32_e64 v8, 0, 1, vcc
	v_lshlrev_b32_e32 v8, 3, v8
	v_add_lshl_u32 v58, v8, v55, 2
	ds_bpermute_b32 v8, v58, v5
	v_cmp_le_u32_e32 vcc, v59, v3
	s_waitcnt lgkmcnt(0)
	s_nop 0
	;; [unrolled: 11-line block ×4, first 2 shown]
	v_cndmask_b32_e32 v3, 0, v8, vcc
	v_add_u32_e32 v8, v5, v3
	v_mov_b32_e32 v5, 0
	s_branch .LBB3020_86
.LBB3020_85:                            ;   in Loop: Header=BB3020_86 Depth=1
	s_or_b64 exec, exec, s[34:35]
	v_cmp_eq_u16_sdwa s[34:35], v9, v14 src0_sel:BYTE_0 src1_sel:DWORD
	ds_bpermute_b32 v64, v16, v8
	v_subrev_u32_e32 v4, 64, v4
	v_and_b32_e32 v10, s35, v7
	v_or_b32_e32 v10, 0x80000000, v10
	v_and_b32_e32 v11, s34, v6
	v_ffbl_b32_e32 v10, v10
	v_add_u32_e32 v10, 32, v10
	v_ffbl_b32_e32 v11, v11
	v_min_u32_e32 v10, v11, v10
	v_cmp_lt_u32_e32 vcc, v15, v10
	s_waitcnt lgkmcnt(0)
	s_nop 0
	v_cndmask_b32_e32 v11, 0, v64, vcc
	v_add_u32_e32 v8, v11, v8
	ds_bpermute_b32 v11, v17, v8
	v_cmp_le_u32_e32 vcc, v38, v10
	s_waitcnt lgkmcnt(0)
	s_nop 0
	v_cndmask_b32_e32 v11, 0, v11, vcc
	v_add_u32_e32 v8, v8, v11
	ds_bpermute_b32 v11, v39, v8
	v_cmp_le_u32_e32 vcc, v40, v10
	;; [unrolled: 6-line block ×5, first 2 shown]
	s_waitcnt lgkmcnt(0)
	s_nop 0
	v_cndmask_b32_e32 v10, 0, v11, vcc
	v_add3_u32 v8, v10, v3, v8
.LBB3020_86:                            ; =>This Loop Header: Depth=1
                                        ;     Child Loop BB3020_89 Depth 2
                                        ;       Child Loop BB3020_90 Depth 3
	v_cmp_ne_u16_sdwa s[34:35], v9, v14 src0_sel:BYTE_0 src1_sel:DWORD
	s_nop 1
	v_cndmask_b32_e64 v3, 0, 1, s[34:35]
	;;#ASMSTART
	;;#ASMEND
	s_nop 0
	v_cmp_ne_u32_e32 vcc, 0, v3
	s_cmp_lg_u64 vcc, exec
	v_mov_b32_e32 v3, v8
	s_cbranch_scc1 .LBB3020_93
; %bb.87:                               ;   in Loop: Header=BB3020_86 Depth=1
	v_lshl_add_u64 v[10:11], v[4:5], 3, s[28:29]
	global_load_dwordx2 v[8:9], v[10:11], off sc1
	s_waitcnt vmcnt(0)
	v_cmp_eq_u16_sdwa s[36:37], v9, v5 src0_sel:BYTE_0 src1_sel:DWORD
	s_and_saveexec_b64 s[34:35], s[36:37]
	s_cbranch_execz .LBB3020_85
; %bb.88:                               ;   in Loop: Header=BB3020_86 Depth=1
	s_mov_b32 s3, 1
	s_mov_b64 s[36:37], 0
.LBB3020_89:                            ;   Parent Loop BB3020_86 Depth=1
                                        ; =>  This Loop Header: Depth=2
                                        ;       Child Loop BB3020_90 Depth 3
	s_max_u32 s38, s3, 1
.LBB3020_90:                            ;   Parent Loop BB3020_86 Depth=1
                                        ;     Parent Loop BB3020_89 Depth=2
                                        ; =>    This Inner Loop Header: Depth=3
	s_add_i32 s38, s38, -1
	s_cmp_eq_u32 s38, 0
	s_sleep 1
	s_cbranch_scc0 .LBB3020_90
; %bb.91:                               ;   in Loop: Header=BB3020_89 Depth=2
	global_load_dwordx2 v[8:9], v[10:11], off sc1
	s_cmp_lt_u32 s3, 32
	s_cselect_b64 s[38:39], -1, 0
	s_cmp_lg_u64 s[38:39], 0
	s_addc_u32 s3, s3, 0
	s_waitcnt vmcnt(0)
	v_cmp_ne_u16_sdwa s[38:39], v9, v5 src0_sel:BYTE_0 src1_sel:DWORD
	s_or_b64 s[36:37], s[38:39], s[36:37]
	s_andn2_b64 exec, exec, s[36:37]
	s_cbranch_execnz .LBB3020_89
; %bb.92:                               ;   in Loop: Header=BB3020_86 Depth=1
	s_or_b64 exec, exec, s[36:37]
	s_branch .LBB3020_85
.LBB3020_93:                            ;   in Loop: Header=BB3020_86 Depth=1
                                        ; implicit-def: $vgpr8
                                        ; implicit-def: $vgpr9
	s_cbranch_execz .LBB3020_86
; %bb.94:
	s_and_saveexec_b64 s[34:35], s[16:17]
	s_cbranch_execz .LBB3020_96
; %bb.95:
	s_add_i32 s2, s2, 64
	s_mov_b32 s3, 0
	s_lshl_b64 s[2:3], s[2:3], 3
	s_add_u32 s2, s28, s2
	v_add_u32_e32 v4, v3, v2
	v_mov_b32_e32 v5, 2
	s_addc_u32 s3, s29, s3
	v_mov_b32_e32 v6, 0
	global_store_dwordx2 v6, v[4:5], s[2:3] sc1
	ds_write_b64 v6, v[2:3] offset:30720
.LBB3020_96:
	s_or_b64 exec, exec, s[34:35]
	v_cmp_eq_u32_e32 vcc, 0, v0
	s_and_b64 exec, exec, vcc
	s_cbranch_execz .LBB3020_98
; %bb.97:
	v_mov_b32_e32 v2, 0
	ds_write_b32 v2, v3 offset:28
.LBB3020_98:
	s_or_b64 exec, exec, s[30:31]
	v_mov_b32_e32 v14, 0
	s_waitcnt lgkmcnt(0)
	s_barrier
	ds_read_b32 v2, v14 offset:28
	v_cndmask_b32_e64 v3, v13, v12, s[16:17]
	v_cmp_ne_u32_e32 vcc, 0, v0
	s_waitcnt lgkmcnt(0)
	s_barrier
	v_cndmask_b32_e32 v3, 0, v3, vcc
	v_add_u32_e32 v2, v2, v3
	v_add_u32_e32 v3, v2, v52
	;; [unrolled: 1-line block ×10, first 2 shown]
	ds_read_b64 v[38:39], v14 offset:30720
	v_add_u32_e32 v12, v11, v47
	v_add_u32_e32 v13, v12, v48
	;; [unrolled: 1-line block ×5, first 2 shown]
	s_waitcnt lgkmcnt(0)
	v_mov_b32_e32 v40, v39
	s_load_dwordx2 s[2:3], s[0:1], 0x30
	s_branch .LBB3020_109
.LBB3020_99:
                                        ; implicit-def: $vgpr40
                                        ; implicit-def: $vgpr38
                                        ; implicit-def: $vgpr2_vgpr3_vgpr4_vgpr5_vgpr6_vgpr7_vgpr8_vgpr9_vgpr10_vgpr11_vgpr12_vgpr13_vgpr14_vgpr15_vgpr16_vgpr17
	s_load_dwordx2 s[2:3], s[0:1], 0x30
	s_cbranch_execz .LBB3020_109
; %bb.100:
	v_mov_b32_dpp v2, v57 row_shr:1 row_mask:0xf bank_mask:0xf
	v_cndmask_b32_e64 v2, v2, 0, s[14:15]
	v_add_u32_e32 v2, v2, v57
	s_nop 1
	v_mov_b32_dpp v3, v2 row_shr:2 row_mask:0xf bank_mask:0xf
	v_cndmask_b32_e64 v3, 0, v3, s[12:13]
	v_add_u32_e32 v2, v2, v3
	s_nop 1
	;; [unrolled: 4-line block ×4, first 2 shown]
	v_mov_b32_dpp v3, v2 row_bcast:15 row_mask:0xf bank_mask:0xf
	v_cndmask_b32_e64 v3, v3, 0, s[6:7]
	v_add_u32_e32 v2, v2, v3
	s_nop 1
	v_mov_b32_dpp v3, v2 row_bcast:31 row_mask:0xf bank_mask:0xf
	v_cndmask_b32_e64 v3, 0, v3, s[18:19]
	v_add_u32_e32 v2, v2, v3
	s_and_saveexec_b64 s[0:1], s[4:5]
	s_cbranch_execz .LBB3020_102
; %bb.101:
	v_lshlrev_b32_e32 v3, 2, v56
	ds_write_b32 v3, v2
.LBB3020_102:
	s_or_b64 exec, exec, s[0:1]
	v_cmp_gt_u32_e32 vcc, 8, v0
	s_waitcnt lgkmcnt(0)
	s_barrier
	s_and_saveexec_b64 s[0:1], vcc
	s_cbranch_execz .LBB3020_104
; %bb.103:
	v_mad_i32_i24 v3, v0, -11, v21
	ds_read_b32 v4, v3
	v_and_b32_e32 v5, 7, v55
	v_cmp_ne_u32_e32 vcc, 0, v5
	s_waitcnt lgkmcnt(0)
	v_mov_b32_dpp v6, v4 row_shr:1 row_mask:0xf bank_mask:0xf
	v_cndmask_b32_e32 v6, 0, v6, vcc
	v_add_u32_e32 v4, v6, v4
	v_cmp_lt_u32_e32 vcc, 1, v5
	s_nop 0
	v_mov_b32_dpp v6, v4 row_shr:2 row_mask:0xf bank_mask:0xf
	v_cndmask_b32_e32 v6, 0, v6, vcc
	v_add_u32_e32 v4, v4, v6
	v_cmp_lt_u32_e32 vcc, 3, v5
	s_nop 0
	v_mov_b32_dpp v6, v4 row_shr:4 row_mask:0xf bank_mask:0xf
	v_cndmask_b32_e32 v5, 0, v6, vcc
	v_add_u32_e32 v4, v4, v5
	ds_write_b32 v3, v4
.LBB3020_104:
	s_or_b64 exec, exec, s[0:1]
	v_cmp_lt_u32_e32 vcc, 63, v0
	v_mov_b32_e32 v4, 0
	v_mov_b32_e32 v3, 0
	s_waitcnt lgkmcnt(0)
	s_barrier
	s_and_saveexec_b64 s[0:1], vcc
	s_cbranch_execz .LBB3020_106
; %bb.105:
	v_lshl_add_u32 v3, v56, 2, -4
	ds_read_b32 v3, v3
.LBB3020_106:
	s_or_b64 exec, exec, s[0:1]
	v_add_u32_e32 v5, -1, v55
	v_and_b32_e32 v6, 64, v55
	v_cmp_lt_i32_e32 vcc, v5, v6
	s_waitcnt lgkmcnt(0)
	v_add_u32_e32 v2, v3, v2
	ds_read_b32 v38, v4 offset:28
	v_cndmask_b32_e32 v5, v5, v55, vcc
	v_lshlrev_b32_e32 v5, 2, v5
	ds_bpermute_b32 v2, v5, v2
	v_cmp_eq_u32_e32 vcc, 0, v0
	s_and_saveexec_b64 s[0:1], vcc
	s_cbranch_execz .LBB3020_108
; %bb.107:
	v_mov_b32_e32 v4, 0
	v_mov_b32_e32 v39, 2
	s_waitcnt lgkmcnt(1)
	global_store_dwordx2 v4, v[38:39], s[28:29] offset:512 sc1
.LBB3020_108:
	s_or_b64 exec, exec, s[0:1]
	v_cmp_eq_u32_e64 s[0:1], 0, v55
	v_mov_b32_e32 v40, 0
	s_waitcnt lgkmcnt(0)
	v_cndmask_b32_e64 v2, v2, v3, s[0:1]
	v_cndmask_b32_e64 v2, v2, 0, vcc
	v_add_u32_e32 v3, v2, v52
	v_add_u32_e32 v4, v3, v53
	;; [unrolled: 1-line block ×14, first 2 shown]
	s_barrier
.LBB3020_109:
	v_add_u32_e32 v21, v38, v21
	v_sub_u32_e32 v2, v2, v40
	v_and_b32_e32 v48, 1, v18
	v_sub_u32_e32 v47, v21, v2
	v_cmp_eq_u32_e32 vcc, 1, v48
	v_lshrrev_b32_e32 v46, 8, v18
	v_lshrrev_b32_e32 v39, 8, v19
	v_cndmask_b32_e32 v2, v47, v2, vcc
	v_lshlrev_b32_e32 v2, 2, v2
	ds_write_b32 v2, v36
	v_sub_u32_e32 v2, v3, v40
	v_sub_u32_e32 v3, v21, v2
	v_and_b32_e32 v36, 1, v46
	v_add_u32_e32 v3, 1, v3
	v_cmp_eq_u32_e32 vcc, 1, v36
	v_lshrrev_b32_e32 v17, 8, v20
	s_nop 0
	v_cndmask_b32_e32 v2, v3, v2, vcc
	v_lshlrev_b32_e32 v2, 2, v2
	ds_write_b32 v2, v37
	v_sub_u32_e32 v2, v4, v40
	v_mov_b32_e32 v4, 1
	v_sub_u32_e32 v3, v21, v2
	v_and_b32_sdwa v18, v4, v18 dst_sel:DWORD dst_unused:UNUSED_PAD src0_sel:DWORD src1_sel:WORD_1
	v_add_u32_e32 v3, 2, v3
	v_cmp_eq_u32_e32 vcc, 1, v18
	v_or_b32_e32 v18, 0x1c00, v0
	s_nop 0
	v_cndmask_b32_e32 v2, v3, v2, vcc
	v_lshlrev_b32_e32 v2, 2, v2
	ds_write_b32 v2, v34
	v_sub_u32_e32 v2, v5, v40
	v_sub_u32_e32 v3, v21, v2
	v_and_b32_e32 v5, 1, v45
	v_add_u32_e32 v3, 3, v3
	v_cmp_eq_u32_e32 vcc, 1, v5
	v_and_b32_e32 v5, 1, v19
	s_nop 0
	v_cndmask_b32_e32 v2, v3, v2, vcc
	v_lshlrev_b32_e32 v2, 2, v2
	ds_write_b32 v2, v35
	v_sub_u32_e32 v2, v6, v40
	v_sub_u32_e32 v3, v21, v2
	v_add_u32_e32 v3, 4, v3
	v_cmp_eq_u32_e32 vcc, 1, v5
	v_and_b32_e32 v5, 1, v39
	s_nop 0
	v_cndmask_b32_e32 v2, v3, v2, vcc
	v_lshlrev_b32_e32 v2, 2, v2
	ds_write_b32 v2, v32
	v_sub_u32_e32 v2, v7, v40
	v_sub_u32_e32 v3, v21, v2
	v_add_u32_e32 v3, 5, v3
	v_cmp_eq_u32_e32 vcc, 1, v5
	v_and_b32_sdwa v5, v4, v19 dst_sel:DWORD dst_unused:UNUSED_PAD src0_sel:DWORD src1_sel:WORD_1
	v_and_b32_sdwa v4, v4, v20 dst_sel:DWORD dst_unused:UNUSED_PAD src0_sel:DWORD src1_sel:WORD_1
	v_cndmask_b32_e32 v2, v3, v2, vcc
	v_lshlrev_b32_e32 v2, 2, v2
	ds_write_b32 v2, v33
	v_sub_u32_e32 v2, v8, v40
	v_sub_u32_e32 v3, v21, v2
	v_add_u32_e32 v3, 6, v3
	v_cmp_eq_u32_e32 vcc, 1, v5
	v_and_b32_e32 v5, 1, v44
	v_or_b32_e32 v32, 0x200, v0
	v_cndmask_b32_e32 v2, v3, v2, vcc
	v_lshlrev_b32_e32 v2, 2, v2
	ds_write_b32 v2, v30
	v_sub_u32_e32 v2, v9, v40
	v_sub_u32_e32 v3, v21, v2
	v_add_u32_e32 v3, 7, v3
	v_cmp_eq_u32_e32 vcc, 1, v5
	v_and_b32_e32 v5, 1, v20
	v_or_b32_e32 v30, 0x600, v0
	;; [unrolled: 9-line block ×3, first 2 shown]
	v_cndmask_b32_e32 v2, v3, v2, vcc
	v_lshlrev_b32_e32 v2, 2, v2
	ds_write_b32 v2, v28
	v_sub_u32_e32 v2, v11, v40
	v_sub_u32_e32 v3, v21, v2
	v_add_u32_e32 v3, 9, v3
	v_cmp_eq_u32_e32 vcc, 1, v5
	v_or_b32_e32 v28, 0xa00, v0
	v_or_b32_e32 v20, 0x1800, v0
	v_cndmask_b32_e32 v2, v3, v2, vcc
	v_lshlrev_b32_e32 v2, 2, v2
	ds_write_b32 v2, v29
	v_sub_u32_e32 v2, v12, v40
	v_sub_u32_e32 v3, v21, v2
	v_add_u32_e32 v3, 10, v3
	v_cmp_eq_u32_e32 vcc, 1, v4
	v_and_b32_e32 v4, 1, v42
	v_or_b32_e32 v29, 0x800, v0
	v_cndmask_b32_e32 v2, v3, v2, vcc
	v_lshlrev_b32_e32 v2, 2, v2
	ds_write_b32 v2, v26
	v_sub_u32_e32 v2, v13, v40
	v_sub_u32_e32 v3, v21, v2
	v_add_u32_e32 v3, 11, v3
	v_cmp_eq_u32_e32 vcc, 1, v4
	v_or_b32_e32 v26, 0xe00, v0
	v_or_b32_e32 v19, 0x1a00, v0
	v_cndmask_b32_e32 v2, v3, v2, vcc
	v_lshlrev_b32_e32 v2, 2, v2
	ds_write_b32 v2, v27
	v_sub_u32_e32 v2, v14, v40
	v_sub_u32_e32 v3, v21, v2
	v_add_u32_e32 v3, 12, v3
	v_cmp_eq_u32_e32 vcc, 1, v43
	v_or_b32_e32 v27, 0xc00, v0
	s_nop 0
	v_cndmask_b32_e32 v2, v3, v2, vcc
	v_lshlrev_b32_e32 v2, 2, v2
	ds_write_b32 v2, v24
	v_sub_u32_e32 v2, v15, v40
	v_sub_u32_e32 v3, v21, v2
	v_add_u32_e32 v3, 13, v3
	v_cmp_eq_u32_e32 vcc, 1, v41
	v_or_b32_e32 v24, 0x1200, v0
	s_nop 0
	v_cndmask_b32_e32 v2, v3, v2, vcc
	v_lshlrev_b32_e32 v2, 2, v2
	ds_write_b32 v2, v25
	v_sub_u32_e32 v2, v16, v40
	v_sub_u32_e32 v3, v21, v2
	v_add_u32_e32 v3, 14, v3
	v_cmp_eq_u32_e32 vcc, 1, v23
	v_or_b32_e32 v25, 0x1000, v0
	v_or_b32_e32 v23, 0x1400, v0
	v_cndmask_b32_e32 v2, v3, v2, vcc
	v_lshlrev_b32_e32 v2, 2, v2
	ds_write_b32 v2, v1
	s_waitcnt lgkmcnt(0)
	s_barrier
	ds_read2st64_b32 v[16:17], v22 offset1:8
	ds_read2st64_b32 v[14:15], v22 offset0:16 offset1:24
	ds_read2st64_b32 v[12:13], v22 offset0:32 offset1:40
	;; [unrolled: 1-line block ×6, first 2 shown]
	ds_read_b32 v1, v22 offset:28672
	v_or_b32_e32 v21, 0x1600, v0
	s_andn2_b64 vcc, exec, s[26:27]
	s_cbranch_vccnz .LBB3020_126
; %bb.110:
	s_lshl_b64 s[0:1], s[22:23], 2
	v_mov_b32_e32 v41, 0
	s_add_u32 s0, s2, s0
	s_addc_u32 s1, s3, s1
	v_lshlrev_b64 v[4:5], 2, v[40:41]
	v_lshl_add_u64 v[4:5], s[0:1], 0, v[4:5]
	v_cmp_gt_u32_e32 vcc, v38, v0
	s_and_saveexec_b64 s[0:1], vcc
	s_cbranch_execnz .LBB3020_148
; %bb.111:
	s_or_b64 exec, exec, s[0:1]
	v_cmp_lt_u32_e32 vcc, v32, v38
	s_and_saveexec_b64 s[0:1], vcc
	s_cbranch_execnz .LBB3020_149
.LBB3020_112:
	s_or_b64 exec, exec, s[0:1]
	v_cmp_lt_u32_e32 vcc, v31, v38
	s_and_saveexec_b64 s[0:1], vcc
	s_cbranch_execnz .LBB3020_150
.LBB3020_113:
	s_or_b64 exec, exec, s[0:1]
	v_cmp_lt_u32_e32 vcc, v30, v38
	s_and_saveexec_b64 s[0:1], vcc
	s_cbranch_execnz .LBB3020_151
.LBB3020_114:
	s_or_b64 exec, exec, s[0:1]
	v_cmp_lt_u32_e32 vcc, v29, v38
	s_and_saveexec_b64 s[0:1], vcc
	s_cbranch_execnz .LBB3020_152
.LBB3020_115:
	s_or_b64 exec, exec, s[0:1]
	v_cmp_lt_u32_e32 vcc, v28, v38
	s_and_saveexec_b64 s[0:1], vcc
	s_cbranch_execnz .LBB3020_153
.LBB3020_116:
	s_or_b64 exec, exec, s[0:1]
	v_cmp_lt_u32_e32 vcc, v27, v38
	s_and_saveexec_b64 s[0:1], vcc
	s_cbranch_execnz .LBB3020_154
.LBB3020_117:
	s_or_b64 exec, exec, s[0:1]
	v_cmp_lt_u32_e32 vcc, v26, v38
	s_and_saveexec_b64 s[0:1], vcc
	s_cbranch_execnz .LBB3020_155
.LBB3020_118:
	s_or_b64 exec, exec, s[0:1]
	v_cmp_lt_u32_e32 vcc, v25, v38
	s_and_saveexec_b64 s[0:1], vcc
	s_cbranch_execnz .LBB3020_156
.LBB3020_119:
	s_or_b64 exec, exec, s[0:1]
	v_cmp_lt_u32_e32 vcc, v24, v38
	s_and_saveexec_b64 s[0:1], vcc
	s_cbranch_execnz .LBB3020_157
.LBB3020_120:
	s_or_b64 exec, exec, s[0:1]
	v_cmp_lt_u32_e32 vcc, v23, v38
	s_and_saveexec_b64 s[0:1], vcc
	s_cbranch_execnz .LBB3020_158
.LBB3020_121:
	s_or_b64 exec, exec, s[0:1]
	v_cmp_lt_u32_e32 vcc, v21, v38
	s_and_saveexec_b64 s[0:1], vcc
	s_cbranch_execnz .LBB3020_159
.LBB3020_122:
	s_or_b64 exec, exec, s[0:1]
	v_cmp_lt_u32_e32 vcc, v20, v38
	s_and_saveexec_b64 s[0:1], vcc
	s_cbranch_execnz .LBB3020_160
.LBB3020_123:
	s_or_b64 exec, exec, s[0:1]
	v_cmp_lt_u32_e32 vcc, v19, v38
	s_and_saveexec_b64 s[0:1], vcc
	s_cbranch_execz .LBB3020_125
.LBB3020_124:
	v_lshlrev_b32_e32 v33, 2, v19
	v_readfirstlane_b32 s4, v4
	v_readfirstlane_b32 s5, v5
	s_waitcnt lgkmcnt(1)
	s_nop 3
	global_store_dword v33, v3, s[4:5]
.LBB3020_125:
	s_or_b64 exec, exec, s[0:1]
	v_cmp_lt_u32_e64 s[0:1], v18, v38
	s_branch .LBB3020_143
.LBB3020_126:
	s_mov_b64 s[0:1], 0
                                        ; implicit-def: $vgpr4_vgpr5
	s_cbranch_execz .LBB3020_143
; %bb.127:
	s_lshl_b64 s[0:1], s[22:23], 2
	v_mov_b32_e32 v41, 0
	s_add_u32 s0, s2, s0
	v_min_u32_e32 v33, s33, v38
	s_addc_u32 s1, s3, s1
	v_lshlrev_b64 v[4:5], 2, v[40:41]
	v_lshl_add_u64 v[4:5], s[0:1], 0, v[4:5]
	v_cmp_gt_u32_e32 vcc, v33, v0
	s_and_saveexec_b64 s[0:1], vcc
	s_cbranch_execnz .LBB3020_161
; %bb.128:
	s_or_b64 exec, exec, s[0:1]
	v_cmp_lt_u32_e32 vcc, v32, v33
	s_and_saveexec_b64 s[0:1], vcc
	s_cbranch_execnz .LBB3020_162
.LBB3020_129:
	s_or_b64 exec, exec, s[0:1]
	v_cmp_lt_u32_e32 vcc, v31, v33
	s_and_saveexec_b64 s[0:1], vcc
	s_cbranch_execnz .LBB3020_163
.LBB3020_130:
	s_or_b64 exec, exec, s[0:1]
	v_cmp_lt_u32_e32 vcc, v30, v33
	s_and_saveexec_b64 s[0:1], vcc
	s_cbranch_execnz .LBB3020_164
.LBB3020_131:
	s_or_b64 exec, exec, s[0:1]
	v_cmp_lt_u32_e32 vcc, v29, v33
	s_and_saveexec_b64 s[0:1], vcc
	s_cbranch_execnz .LBB3020_165
.LBB3020_132:
	s_or_b64 exec, exec, s[0:1]
	v_cmp_lt_u32_e32 vcc, v28, v33
	s_and_saveexec_b64 s[0:1], vcc
	s_cbranch_execnz .LBB3020_166
.LBB3020_133:
	s_or_b64 exec, exec, s[0:1]
	v_cmp_lt_u32_e32 vcc, v27, v33
	s_and_saveexec_b64 s[0:1], vcc
	s_cbranch_execnz .LBB3020_167
.LBB3020_134:
	s_or_b64 exec, exec, s[0:1]
	v_cmp_lt_u32_e32 vcc, v26, v33
	s_and_saveexec_b64 s[0:1], vcc
	s_cbranch_execnz .LBB3020_168
.LBB3020_135:
	s_or_b64 exec, exec, s[0:1]
	v_cmp_lt_u32_e32 vcc, v25, v33
	s_and_saveexec_b64 s[0:1], vcc
	s_cbranch_execnz .LBB3020_169
.LBB3020_136:
	s_or_b64 exec, exec, s[0:1]
	v_cmp_lt_u32_e32 vcc, v24, v33
	s_and_saveexec_b64 s[0:1], vcc
	s_cbranch_execnz .LBB3020_170
.LBB3020_137:
	s_or_b64 exec, exec, s[0:1]
	v_cmp_lt_u32_e32 vcc, v23, v33
	s_and_saveexec_b64 s[0:1], vcc
	s_cbranch_execnz .LBB3020_171
.LBB3020_138:
	s_or_b64 exec, exec, s[0:1]
	v_cmp_lt_u32_e32 vcc, v21, v33
	s_and_saveexec_b64 s[0:1], vcc
	s_cbranch_execnz .LBB3020_172
.LBB3020_139:
	s_or_b64 exec, exec, s[0:1]
	v_cmp_lt_u32_e32 vcc, v20, v33
	s_and_saveexec_b64 s[0:1], vcc
	s_cbranch_execnz .LBB3020_173
.LBB3020_140:
	s_or_b64 exec, exec, s[0:1]
	v_cmp_lt_u32_e32 vcc, v19, v33
	s_and_saveexec_b64 s[0:1], vcc
	s_cbranch_execz .LBB3020_142
.LBB3020_141:
	s_waitcnt lgkmcnt(1)
	v_lshlrev_b32_e32 v2, 2, v19
	v_readfirstlane_b32 s2, v4
	v_readfirstlane_b32 s3, v5
	s_nop 4
	global_store_dword v2, v3, s[2:3]
.LBB3020_142:
	s_or_b64 exec, exec, s[0:1]
	v_cmp_lt_u32_e64 s[0:1], v18, v33
.LBB3020_143:
	s_and_saveexec_b64 s[2:3], s[0:1]
	s_cbranch_execz .LBB3020_145
; %bb.144:
	s_waitcnt lgkmcnt(1)
	v_lshlrev_b32_e32 v2, 2, v18
	v_readfirstlane_b32 s0, v4
	v_readfirstlane_b32 s1, v5
	s_waitcnt lgkmcnt(0)
	s_nop 3
	global_store_dword v2, v1, s[0:1]
.LBB3020_145:
	s_or_b64 exec, exec, s[2:3]
	v_cmp_eq_u32_e32 vcc, 0, v0
	s_and_b64 s[0:1], vcc, s[24:25]
	s_and_saveexec_b64 s[2:3], s[0:1]
	s_cbranch_execz .LBB3020_147
; %bb.146:
	v_mov_b32_e32 v39, 0
	s_waitcnt lgkmcnt(0)
	v_lshl_add_u64 v[0:1], s[22:23], 0, v[38:39]
	v_mov_b32_e32 v41, v39
	v_lshl_add_u64 v[0:1], v[0:1], 0, v[40:41]
	global_store_dwordx2 v39, v[0:1], s[20:21]
.LBB3020_147:
	s_endpgm
.LBB3020_148:
	v_readfirstlane_b32 s4, v4
	v_readfirstlane_b32 s5, v5
	s_waitcnt lgkmcnt(7)
	s_nop 3
	global_store_dword v22, v16, s[4:5]
	s_or_b64 exec, exec, s[0:1]
	v_cmp_lt_u32_e32 vcc, v32, v38
	s_and_saveexec_b64 s[0:1], vcc
	s_cbranch_execz .LBB3020_112
.LBB3020_149:
	v_readfirstlane_b32 s4, v4
	v_readfirstlane_b32 s5, v5
	s_waitcnt lgkmcnt(7)
	s_nop 3
	global_store_dword v22, v17, s[4:5] offset:2048
	s_or_b64 exec, exec, s[0:1]
	v_cmp_lt_u32_e32 vcc, v31, v38
	s_and_saveexec_b64 s[0:1], vcc
	s_cbranch_execz .LBB3020_113
.LBB3020_150:
	v_lshlrev_b32_e32 v33, 2, v31
	v_readfirstlane_b32 s4, v4
	v_readfirstlane_b32 s5, v5
	s_waitcnt lgkmcnt(6)
	s_nop 3
	global_store_dword v33, v14, s[4:5]
	s_or_b64 exec, exec, s[0:1]
	v_cmp_lt_u32_e32 vcc, v30, v38
	s_and_saveexec_b64 s[0:1], vcc
	s_cbranch_execz .LBB3020_114
.LBB3020_151:
	v_lshlrev_b32_e32 v33, 2, v30
	v_readfirstlane_b32 s4, v4
	v_readfirstlane_b32 s5, v5
	s_waitcnt lgkmcnt(6)
	s_nop 3
	global_store_dword v33, v15, s[4:5]
	s_or_b64 exec, exec, s[0:1]
	v_cmp_lt_u32_e32 vcc, v29, v38
	s_and_saveexec_b64 s[0:1], vcc
	s_cbranch_execz .LBB3020_115
.LBB3020_152:
	v_lshlrev_b32_e32 v33, 2, v29
	v_readfirstlane_b32 s4, v4
	v_readfirstlane_b32 s5, v5
	s_waitcnt lgkmcnt(5)
	s_nop 3
	global_store_dword v33, v12, s[4:5]
	s_or_b64 exec, exec, s[0:1]
	v_cmp_lt_u32_e32 vcc, v28, v38
	s_and_saveexec_b64 s[0:1], vcc
	s_cbranch_execz .LBB3020_116
.LBB3020_153:
	v_lshlrev_b32_e32 v33, 2, v28
	v_readfirstlane_b32 s4, v4
	v_readfirstlane_b32 s5, v5
	s_waitcnt lgkmcnt(5)
	s_nop 3
	global_store_dword v33, v13, s[4:5]
	s_or_b64 exec, exec, s[0:1]
	v_cmp_lt_u32_e32 vcc, v27, v38
	s_and_saveexec_b64 s[0:1], vcc
	s_cbranch_execz .LBB3020_117
.LBB3020_154:
	v_lshlrev_b32_e32 v33, 2, v27
	v_readfirstlane_b32 s4, v4
	v_readfirstlane_b32 s5, v5
	s_waitcnt lgkmcnt(4)
	s_nop 3
	global_store_dword v33, v10, s[4:5]
	s_or_b64 exec, exec, s[0:1]
	v_cmp_lt_u32_e32 vcc, v26, v38
	s_and_saveexec_b64 s[0:1], vcc
	s_cbranch_execz .LBB3020_118
.LBB3020_155:
	v_lshlrev_b32_e32 v33, 2, v26
	v_readfirstlane_b32 s4, v4
	v_readfirstlane_b32 s5, v5
	s_waitcnt lgkmcnt(4)
	s_nop 3
	global_store_dword v33, v11, s[4:5]
	s_or_b64 exec, exec, s[0:1]
	v_cmp_lt_u32_e32 vcc, v25, v38
	s_and_saveexec_b64 s[0:1], vcc
	s_cbranch_execz .LBB3020_119
.LBB3020_156:
	v_lshlrev_b32_e32 v33, 2, v25
	v_readfirstlane_b32 s4, v4
	v_readfirstlane_b32 s5, v5
	s_waitcnt lgkmcnt(3)
	s_nop 3
	global_store_dword v33, v8, s[4:5]
	s_or_b64 exec, exec, s[0:1]
	v_cmp_lt_u32_e32 vcc, v24, v38
	s_and_saveexec_b64 s[0:1], vcc
	s_cbranch_execz .LBB3020_120
.LBB3020_157:
	v_lshlrev_b32_e32 v33, 2, v24
	v_readfirstlane_b32 s4, v4
	v_readfirstlane_b32 s5, v5
	s_waitcnt lgkmcnt(3)
	s_nop 3
	global_store_dword v33, v9, s[4:5]
	s_or_b64 exec, exec, s[0:1]
	v_cmp_lt_u32_e32 vcc, v23, v38
	s_and_saveexec_b64 s[0:1], vcc
	s_cbranch_execz .LBB3020_121
.LBB3020_158:
	v_lshlrev_b32_e32 v33, 2, v23
	v_readfirstlane_b32 s4, v4
	v_readfirstlane_b32 s5, v5
	s_waitcnt lgkmcnt(2)
	s_nop 3
	global_store_dword v33, v6, s[4:5]
	s_or_b64 exec, exec, s[0:1]
	v_cmp_lt_u32_e32 vcc, v21, v38
	s_and_saveexec_b64 s[0:1], vcc
	s_cbranch_execz .LBB3020_122
.LBB3020_159:
	v_lshlrev_b32_e32 v33, 2, v21
	v_readfirstlane_b32 s4, v4
	v_readfirstlane_b32 s5, v5
	s_waitcnt lgkmcnt(2)
	s_nop 3
	global_store_dword v33, v7, s[4:5]
	s_or_b64 exec, exec, s[0:1]
	v_cmp_lt_u32_e32 vcc, v20, v38
	s_and_saveexec_b64 s[0:1], vcc
	s_cbranch_execz .LBB3020_123
.LBB3020_160:
	v_lshlrev_b32_e32 v33, 2, v20
	v_readfirstlane_b32 s4, v4
	v_readfirstlane_b32 s5, v5
	s_waitcnt lgkmcnt(1)
	s_nop 3
	global_store_dword v33, v2, s[4:5]
	s_or_b64 exec, exec, s[0:1]
	v_cmp_lt_u32_e32 vcc, v19, v38
	s_and_saveexec_b64 s[0:1], vcc
	s_cbranch_execnz .LBB3020_124
	s_branch .LBB3020_125
.LBB3020_161:
	v_readfirstlane_b32 s2, v4
	v_readfirstlane_b32 s3, v5
	s_waitcnt lgkmcnt(7)
	s_nop 3
	global_store_dword v22, v16, s[2:3]
	s_or_b64 exec, exec, s[0:1]
	v_cmp_lt_u32_e32 vcc, v32, v33
	s_and_saveexec_b64 s[0:1], vcc
	s_cbranch_execz .LBB3020_129
.LBB3020_162:
	v_readfirstlane_b32 s2, v4
	v_readfirstlane_b32 s3, v5
	s_waitcnt lgkmcnt(7)
	s_nop 3
	global_store_dword v22, v17, s[2:3] offset:2048
	s_or_b64 exec, exec, s[0:1]
	v_cmp_lt_u32_e32 vcc, v31, v33
	s_and_saveexec_b64 s[0:1], vcc
	s_cbranch_execz .LBB3020_130
.LBB3020_163:
	s_waitcnt lgkmcnt(7)
	v_lshlrev_b32_e32 v16, 2, v31
	v_readfirstlane_b32 s2, v4
	v_readfirstlane_b32 s3, v5
	s_waitcnt lgkmcnt(6)
	s_nop 3
	global_store_dword v16, v14, s[2:3]
	s_or_b64 exec, exec, s[0:1]
	v_cmp_lt_u32_e32 vcc, v30, v33
	s_and_saveexec_b64 s[0:1], vcc
	s_cbranch_execz .LBB3020_131
.LBB3020_164:
	s_waitcnt lgkmcnt(6)
	v_lshlrev_b32_e32 v14, 2, v30
	v_readfirstlane_b32 s2, v4
	v_readfirstlane_b32 s3, v5
	s_nop 4
	global_store_dword v14, v15, s[2:3]
	s_or_b64 exec, exec, s[0:1]
	v_cmp_lt_u32_e32 vcc, v29, v33
	s_and_saveexec_b64 s[0:1], vcc
	s_cbranch_execz .LBB3020_132
.LBB3020_165:
	s_waitcnt lgkmcnt(6)
	v_lshlrev_b32_e32 v14, 2, v29
	v_readfirstlane_b32 s2, v4
	v_readfirstlane_b32 s3, v5
	s_waitcnt lgkmcnt(5)
	s_nop 3
	global_store_dword v14, v12, s[2:3]
	s_or_b64 exec, exec, s[0:1]
	v_cmp_lt_u32_e32 vcc, v28, v33
	s_and_saveexec_b64 s[0:1], vcc
	s_cbranch_execz .LBB3020_133
.LBB3020_166:
	s_waitcnt lgkmcnt(5)
	v_lshlrev_b32_e32 v12, 2, v28
	v_readfirstlane_b32 s2, v4
	v_readfirstlane_b32 s3, v5
	s_nop 4
	global_store_dword v12, v13, s[2:3]
	s_or_b64 exec, exec, s[0:1]
	v_cmp_lt_u32_e32 vcc, v27, v33
	s_and_saveexec_b64 s[0:1], vcc
	s_cbranch_execz .LBB3020_134
.LBB3020_167:
	s_waitcnt lgkmcnt(5)
	v_lshlrev_b32_e32 v12, 2, v27
	v_readfirstlane_b32 s2, v4
	v_readfirstlane_b32 s3, v5
	s_waitcnt lgkmcnt(4)
	s_nop 3
	global_store_dword v12, v10, s[2:3]
	s_or_b64 exec, exec, s[0:1]
	v_cmp_lt_u32_e32 vcc, v26, v33
	s_and_saveexec_b64 s[0:1], vcc
	s_cbranch_execz .LBB3020_135
.LBB3020_168:
	s_waitcnt lgkmcnt(4)
	v_lshlrev_b32_e32 v10, 2, v26
	v_readfirstlane_b32 s2, v4
	v_readfirstlane_b32 s3, v5
	s_nop 4
	global_store_dword v10, v11, s[2:3]
	s_or_b64 exec, exec, s[0:1]
	v_cmp_lt_u32_e32 vcc, v25, v33
	s_and_saveexec_b64 s[0:1], vcc
	s_cbranch_execz .LBB3020_136
.LBB3020_169:
	s_waitcnt lgkmcnt(4)
	v_lshlrev_b32_e32 v10, 2, v25
	v_readfirstlane_b32 s2, v4
	v_readfirstlane_b32 s3, v5
	s_waitcnt lgkmcnt(3)
	s_nop 3
	global_store_dword v10, v8, s[2:3]
	s_or_b64 exec, exec, s[0:1]
	v_cmp_lt_u32_e32 vcc, v24, v33
	s_and_saveexec_b64 s[0:1], vcc
	s_cbranch_execz .LBB3020_137
.LBB3020_170:
	s_waitcnt lgkmcnt(3)
	v_lshlrev_b32_e32 v8, 2, v24
	v_readfirstlane_b32 s2, v4
	v_readfirstlane_b32 s3, v5
	s_nop 4
	global_store_dword v8, v9, s[2:3]
	s_or_b64 exec, exec, s[0:1]
	v_cmp_lt_u32_e32 vcc, v23, v33
	s_and_saveexec_b64 s[0:1], vcc
	s_cbranch_execz .LBB3020_138
.LBB3020_171:
	s_waitcnt lgkmcnt(3)
	v_lshlrev_b32_e32 v8, 2, v23
	v_readfirstlane_b32 s2, v4
	v_readfirstlane_b32 s3, v5
	s_waitcnt lgkmcnt(2)
	s_nop 3
	global_store_dword v8, v6, s[2:3]
	s_or_b64 exec, exec, s[0:1]
	v_cmp_lt_u32_e32 vcc, v21, v33
	s_and_saveexec_b64 s[0:1], vcc
	s_cbranch_execz .LBB3020_139
.LBB3020_172:
	s_waitcnt lgkmcnt(2)
	v_lshlrev_b32_e32 v6, 2, v21
	v_readfirstlane_b32 s2, v4
	v_readfirstlane_b32 s3, v5
	s_nop 4
	global_store_dword v6, v7, s[2:3]
	s_or_b64 exec, exec, s[0:1]
	v_cmp_lt_u32_e32 vcc, v20, v33
	s_and_saveexec_b64 s[0:1], vcc
	s_cbranch_execz .LBB3020_140
.LBB3020_173:
	s_waitcnt lgkmcnt(2)
	v_lshlrev_b32_e32 v6, 2, v20
	v_readfirstlane_b32 s2, v4
	v_readfirstlane_b32 s3, v5
	s_waitcnt lgkmcnt(1)
	s_nop 3
	global_store_dword v6, v2, s[2:3]
	s_or_b64 exec, exec, s[0:1]
	v_cmp_lt_u32_e32 vcc, v19, v33
	s_and_saveexec_b64 s[0:1], vcc
	s_cbranch_execnz .LBB3020_141
	s_branch .LBB3020_142
	.section	.rodata,"a",@progbits
	.p2align	6, 0x0
	.amdhsa_kernel _ZN7rocprim17ROCPRIM_400000_NS6detail17trampoline_kernelINS0_14default_configENS1_25partition_config_selectorILNS1_17partition_subalgoE1EjNS0_10empty_typeEbEEZZNS1_14partition_implILS5_1ELb0ES3_jN6thrust23THRUST_200600_302600_NS6detail15normal_iteratorINSA_10device_ptrIjEEEEPS6_NSA_18transform_iteratorI7is_evenIjESF_NSA_11use_defaultESK_EENS0_5tupleIJSF_NSA_16discard_iteratorISK_EEEEENSM_IJSG_SG_EEES6_PlJS6_EEE10hipError_tPvRmT3_T4_T5_T6_T7_T9_mT8_P12ihipStream_tbDpT10_ENKUlT_T0_E_clISt17integral_constantIbLb1EES1A_IbLb0EEEEDaS16_S17_EUlS16_E_NS1_11comp_targetILNS1_3genE5ELNS1_11target_archE942ELNS1_3gpuE9ELNS1_3repE0EEENS1_30default_config_static_selectorELNS0_4arch9wavefront6targetE1EEEvT1_
		.amdhsa_group_segment_fixed_size 30728
		.amdhsa_private_segment_fixed_size 0
		.amdhsa_kernarg_size 136
		.amdhsa_user_sgpr_count 2
		.amdhsa_user_sgpr_dispatch_ptr 0
		.amdhsa_user_sgpr_queue_ptr 0
		.amdhsa_user_sgpr_kernarg_segment_ptr 1
		.amdhsa_user_sgpr_dispatch_id 0
		.amdhsa_user_sgpr_kernarg_preload_length 0
		.amdhsa_user_sgpr_kernarg_preload_offset 0
		.amdhsa_user_sgpr_private_segment_size 0
		.amdhsa_uses_dynamic_stack 0
		.amdhsa_enable_private_segment 0
		.amdhsa_system_sgpr_workgroup_id_x 1
		.amdhsa_system_sgpr_workgroup_id_y 0
		.amdhsa_system_sgpr_workgroup_id_z 0
		.amdhsa_system_sgpr_workgroup_info 0
		.amdhsa_system_vgpr_workitem_id 0
		.amdhsa_next_free_vgpr 65
		.amdhsa_next_free_sgpr 40
		.amdhsa_accum_offset 68
		.amdhsa_reserve_vcc 1
		.amdhsa_float_round_mode_32 0
		.amdhsa_float_round_mode_16_64 0
		.amdhsa_float_denorm_mode_32 3
		.amdhsa_float_denorm_mode_16_64 3
		.amdhsa_dx10_clamp 1
		.amdhsa_ieee_mode 1
		.amdhsa_fp16_overflow 0
		.amdhsa_tg_split 0
		.amdhsa_exception_fp_ieee_invalid_op 0
		.amdhsa_exception_fp_denorm_src 0
		.amdhsa_exception_fp_ieee_div_zero 0
		.amdhsa_exception_fp_ieee_overflow 0
		.amdhsa_exception_fp_ieee_underflow 0
		.amdhsa_exception_fp_ieee_inexact 0
		.amdhsa_exception_int_div_zero 0
	.end_amdhsa_kernel
	.section	.text._ZN7rocprim17ROCPRIM_400000_NS6detail17trampoline_kernelINS0_14default_configENS1_25partition_config_selectorILNS1_17partition_subalgoE1EjNS0_10empty_typeEbEEZZNS1_14partition_implILS5_1ELb0ES3_jN6thrust23THRUST_200600_302600_NS6detail15normal_iteratorINSA_10device_ptrIjEEEEPS6_NSA_18transform_iteratorI7is_evenIjESF_NSA_11use_defaultESK_EENS0_5tupleIJSF_NSA_16discard_iteratorISK_EEEEENSM_IJSG_SG_EEES6_PlJS6_EEE10hipError_tPvRmT3_T4_T5_T6_T7_T9_mT8_P12ihipStream_tbDpT10_ENKUlT_T0_E_clISt17integral_constantIbLb1EES1A_IbLb0EEEEDaS16_S17_EUlS16_E_NS1_11comp_targetILNS1_3genE5ELNS1_11target_archE942ELNS1_3gpuE9ELNS1_3repE0EEENS1_30default_config_static_selectorELNS0_4arch9wavefront6targetE1EEEvT1_,"axG",@progbits,_ZN7rocprim17ROCPRIM_400000_NS6detail17trampoline_kernelINS0_14default_configENS1_25partition_config_selectorILNS1_17partition_subalgoE1EjNS0_10empty_typeEbEEZZNS1_14partition_implILS5_1ELb0ES3_jN6thrust23THRUST_200600_302600_NS6detail15normal_iteratorINSA_10device_ptrIjEEEEPS6_NSA_18transform_iteratorI7is_evenIjESF_NSA_11use_defaultESK_EENS0_5tupleIJSF_NSA_16discard_iteratorISK_EEEEENSM_IJSG_SG_EEES6_PlJS6_EEE10hipError_tPvRmT3_T4_T5_T6_T7_T9_mT8_P12ihipStream_tbDpT10_ENKUlT_T0_E_clISt17integral_constantIbLb1EES1A_IbLb0EEEEDaS16_S17_EUlS16_E_NS1_11comp_targetILNS1_3genE5ELNS1_11target_archE942ELNS1_3gpuE9ELNS1_3repE0EEENS1_30default_config_static_selectorELNS0_4arch9wavefront6targetE1EEEvT1_,comdat
.Lfunc_end3020:
	.size	_ZN7rocprim17ROCPRIM_400000_NS6detail17trampoline_kernelINS0_14default_configENS1_25partition_config_selectorILNS1_17partition_subalgoE1EjNS0_10empty_typeEbEEZZNS1_14partition_implILS5_1ELb0ES3_jN6thrust23THRUST_200600_302600_NS6detail15normal_iteratorINSA_10device_ptrIjEEEEPS6_NSA_18transform_iteratorI7is_evenIjESF_NSA_11use_defaultESK_EENS0_5tupleIJSF_NSA_16discard_iteratorISK_EEEEENSM_IJSG_SG_EEES6_PlJS6_EEE10hipError_tPvRmT3_T4_T5_T6_T7_T9_mT8_P12ihipStream_tbDpT10_ENKUlT_T0_E_clISt17integral_constantIbLb1EES1A_IbLb0EEEEDaS16_S17_EUlS16_E_NS1_11comp_targetILNS1_3genE5ELNS1_11target_archE942ELNS1_3gpuE9ELNS1_3repE0EEENS1_30default_config_static_selectorELNS0_4arch9wavefront6targetE1EEEvT1_, .Lfunc_end3020-_ZN7rocprim17ROCPRIM_400000_NS6detail17trampoline_kernelINS0_14default_configENS1_25partition_config_selectorILNS1_17partition_subalgoE1EjNS0_10empty_typeEbEEZZNS1_14partition_implILS5_1ELb0ES3_jN6thrust23THRUST_200600_302600_NS6detail15normal_iteratorINSA_10device_ptrIjEEEEPS6_NSA_18transform_iteratorI7is_evenIjESF_NSA_11use_defaultESK_EENS0_5tupleIJSF_NSA_16discard_iteratorISK_EEEEENSM_IJSG_SG_EEES6_PlJS6_EEE10hipError_tPvRmT3_T4_T5_T6_T7_T9_mT8_P12ihipStream_tbDpT10_ENKUlT_T0_E_clISt17integral_constantIbLb1EES1A_IbLb0EEEEDaS16_S17_EUlS16_E_NS1_11comp_targetILNS1_3genE5ELNS1_11target_archE942ELNS1_3gpuE9ELNS1_3repE0EEENS1_30default_config_static_selectorELNS0_4arch9wavefront6targetE1EEEvT1_
                                        ; -- End function
	.section	.AMDGPU.csdata,"",@progbits
; Kernel info:
; codeLenInByte = 7848
; NumSgprs: 46
; NumVgprs: 65
; NumAgprs: 0
; TotalNumVgprs: 65
; ScratchSize: 0
; MemoryBound: 0
; FloatMode: 240
; IeeeMode: 1
; LDSByteSize: 30728 bytes/workgroup (compile time only)
; SGPRBlocks: 5
; VGPRBlocks: 8
; NumSGPRsForWavesPerEU: 46
; NumVGPRsForWavesPerEU: 65
; AccumOffset: 68
; Occupancy: 4
; WaveLimiterHint : 1
; COMPUTE_PGM_RSRC2:SCRATCH_EN: 0
; COMPUTE_PGM_RSRC2:USER_SGPR: 2
; COMPUTE_PGM_RSRC2:TRAP_HANDLER: 0
; COMPUTE_PGM_RSRC2:TGID_X_EN: 1
; COMPUTE_PGM_RSRC2:TGID_Y_EN: 0
; COMPUTE_PGM_RSRC2:TGID_Z_EN: 0
; COMPUTE_PGM_RSRC2:TIDIG_COMP_CNT: 0
; COMPUTE_PGM_RSRC3_GFX90A:ACCUM_OFFSET: 16
; COMPUTE_PGM_RSRC3_GFX90A:TG_SPLIT: 0
	.section	.text._ZN7rocprim17ROCPRIM_400000_NS6detail17trampoline_kernelINS0_14default_configENS1_25partition_config_selectorILNS1_17partition_subalgoE1EjNS0_10empty_typeEbEEZZNS1_14partition_implILS5_1ELb0ES3_jN6thrust23THRUST_200600_302600_NS6detail15normal_iteratorINSA_10device_ptrIjEEEEPS6_NSA_18transform_iteratorI7is_evenIjESF_NSA_11use_defaultESK_EENS0_5tupleIJSF_NSA_16discard_iteratorISK_EEEEENSM_IJSG_SG_EEES6_PlJS6_EEE10hipError_tPvRmT3_T4_T5_T6_T7_T9_mT8_P12ihipStream_tbDpT10_ENKUlT_T0_E_clISt17integral_constantIbLb1EES1A_IbLb0EEEEDaS16_S17_EUlS16_E_NS1_11comp_targetILNS1_3genE4ELNS1_11target_archE910ELNS1_3gpuE8ELNS1_3repE0EEENS1_30default_config_static_selectorELNS0_4arch9wavefront6targetE1EEEvT1_,"axG",@progbits,_ZN7rocprim17ROCPRIM_400000_NS6detail17trampoline_kernelINS0_14default_configENS1_25partition_config_selectorILNS1_17partition_subalgoE1EjNS0_10empty_typeEbEEZZNS1_14partition_implILS5_1ELb0ES3_jN6thrust23THRUST_200600_302600_NS6detail15normal_iteratorINSA_10device_ptrIjEEEEPS6_NSA_18transform_iteratorI7is_evenIjESF_NSA_11use_defaultESK_EENS0_5tupleIJSF_NSA_16discard_iteratorISK_EEEEENSM_IJSG_SG_EEES6_PlJS6_EEE10hipError_tPvRmT3_T4_T5_T6_T7_T9_mT8_P12ihipStream_tbDpT10_ENKUlT_T0_E_clISt17integral_constantIbLb1EES1A_IbLb0EEEEDaS16_S17_EUlS16_E_NS1_11comp_targetILNS1_3genE4ELNS1_11target_archE910ELNS1_3gpuE8ELNS1_3repE0EEENS1_30default_config_static_selectorELNS0_4arch9wavefront6targetE1EEEvT1_,comdat
	.protected	_ZN7rocprim17ROCPRIM_400000_NS6detail17trampoline_kernelINS0_14default_configENS1_25partition_config_selectorILNS1_17partition_subalgoE1EjNS0_10empty_typeEbEEZZNS1_14partition_implILS5_1ELb0ES3_jN6thrust23THRUST_200600_302600_NS6detail15normal_iteratorINSA_10device_ptrIjEEEEPS6_NSA_18transform_iteratorI7is_evenIjESF_NSA_11use_defaultESK_EENS0_5tupleIJSF_NSA_16discard_iteratorISK_EEEEENSM_IJSG_SG_EEES6_PlJS6_EEE10hipError_tPvRmT3_T4_T5_T6_T7_T9_mT8_P12ihipStream_tbDpT10_ENKUlT_T0_E_clISt17integral_constantIbLb1EES1A_IbLb0EEEEDaS16_S17_EUlS16_E_NS1_11comp_targetILNS1_3genE4ELNS1_11target_archE910ELNS1_3gpuE8ELNS1_3repE0EEENS1_30default_config_static_selectorELNS0_4arch9wavefront6targetE1EEEvT1_ ; -- Begin function _ZN7rocprim17ROCPRIM_400000_NS6detail17trampoline_kernelINS0_14default_configENS1_25partition_config_selectorILNS1_17partition_subalgoE1EjNS0_10empty_typeEbEEZZNS1_14partition_implILS5_1ELb0ES3_jN6thrust23THRUST_200600_302600_NS6detail15normal_iteratorINSA_10device_ptrIjEEEEPS6_NSA_18transform_iteratorI7is_evenIjESF_NSA_11use_defaultESK_EENS0_5tupleIJSF_NSA_16discard_iteratorISK_EEEEENSM_IJSG_SG_EEES6_PlJS6_EEE10hipError_tPvRmT3_T4_T5_T6_T7_T9_mT8_P12ihipStream_tbDpT10_ENKUlT_T0_E_clISt17integral_constantIbLb1EES1A_IbLb0EEEEDaS16_S17_EUlS16_E_NS1_11comp_targetILNS1_3genE4ELNS1_11target_archE910ELNS1_3gpuE8ELNS1_3repE0EEENS1_30default_config_static_selectorELNS0_4arch9wavefront6targetE1EEEvT1_
	.globl	_ZN7rocprim17ROCPRIM_400000_NS6detail17trampoline_kernelINS0_14default_configENS1_25partition_config_selectorILNS1_17partition_subalgoE1EjNS0_10empty_typeEbEEZZNS1_14partition_implILS5_1ELb0ES3_jN6thrust23THRUST_200600_302600_NS6detail15normal_iteratorINSA_10device_ptrIjEEEEPS6_NSA_18transform_iteratorI7is_evenIjESF_NSA_11use_defaultESK_EENS0_5tupleIJSF_NSA_16discard_iteratorISK_EEEEENSM_IJSG_SG_EEES6_PlJS6_EEE10hipError_tPvRmT3_T4_T5_T6_T7_T9_mT8_P12ihipStream_tbDpT10_ENKUlT_T0_E_clISt17integral_constantIbLb1EES1A_IbLb0EEEEDaS16_S17_EUlS16_E_NS1_11comp_targetILNS1_3genE4ELNS1_11target_archE910ELNS1_3gpuE8ELNS1_3repE0EEENS1_30default_config_static_selectorELNS0_4arch9wavefront6targetE1EEEvT1_
	.p2align	8
	.type	_ZN7rocprim17ROCPRIM_400000_NS6detail17trampoline_kernelINS0_14default_configENS1_25partition_config_selectorILNS1_17partition_subalgoE1EjNS0_10empty_typeEbEEZZNS1_14partition_implILS5_1ELb0ES3_jN6thrust23THRUST_200600_302600_NS6detail15normal_iteratorINSA_10device_ptrIjEEEEPS6_NSA_18transform_iteratorI7is_evenIjESF_NSA_11use_defaultESK_EENS0_5tupleIJSF_NSA_16discard_iteratorISK_EEEEENSM_IJSG_SG_EEES6_PlJS6_EEE10hipError_tPvRmT3_T4_T5_T6_T7_T9_mT8_P12ihipStream_tbDpT10_ENKUlT_T0_E_clISt17integral_constantIbLb1EES1A_IbLb0EEEEDaS16_S17_EUlS16_E_NS1_11comp_targetILNS1_3genE4ELNS1_11target_archE910ELNS1_3gpuE8ELNS1_3repE0EEENS1_30default_config_static_selectorELNS0_4arch9wavefront6targetE1EEEvT1_,@function
_ZN7rocprim17ROCPRIM_400000_NS6detail17trampoline_kernelINS0_14default_configENS1_25partition_config_selectorILNS1_17partition_subalgoE1EjNS0_10empty_typeEbEEZZNS1_14partition_implILS5_1ELb0ES3_jN6thrust23THRUST_200600_302600_NS6detail15normal_iteratorINSA_10device_ptrIjEEEEPS6_NSA_18transform_iteratorI7is_evenIjESF_NSA_11use_defaultESK_EENS0_5tupleIJSF_NSA_16discard_iteratorISK_EEEEENSM_IJSG_SG_EEES6_PlJS6_EEE10hipError_tPvRmT3_T4_T5_T6_T7_T9_mT8_P12ihipStream_tbDpT10_ENKUlT_T0_E_clISt17integral_constantIbLb1EES1A_IbLb0EEEEDaS16_S17_EUlS16_E_NS1_11comp_targetILNS1_3genE4ELNS1_11target_archE910ELNS1_3gpuE8ELNS1_3repE0EEENS1_30default_config_static_selectorELNS0_4arch9wavefront6targetE1EEEvT1_: ; @_ZN7rocprim17ROCPRIM_400000_NS6detail17trampoline_kernelINS0_14default_configENS1_25partition_config_selectorILNS1_17partition_subalgoE1EjNS0_10empty_typeEbEEZZNS1_14partition_implILS5_1ELb0ES3_jN6thrust23THRUST_200600_302600_NS6detail15normal_iteratorINSA_10device_ptrIjEEEEPS6_NSA_18transform_iteratorI7is_evenIjESF_NSA_11use_defaultESK_EENS0_5tupleIJSF_NSA_16discard_iteratorISK_EEEEENSM_IJSG_SG_EEES6_PlJS6_EEE10hipError_tPvRmT3_T4_T5_T6_T7_T9_mT8_P12ihipStream_tbDpT10_ENKUlT_T0_E_clISt17integral_constantIbLb1EES1A_IbLb0EEEEDaS16_S17_EUlS16_E_NS1_11comp_targetILNS1_3genE4ELNS1_11target_archE910ELNS1_3gpuE8ELNS1_3repE0EEENS1_30default_config_static_selectorELNS0_4arch9wavefront6targetE1EEEvT1_
; %bb.0:
	.section	.rodata,"a",@progbits
	.p2align	6, 0x0
	.amdhsa_kernel _ZN7rocprim17ROCPRIM_400000_NS6detail17trampoline_kernelINS0_14default_configENS1_25partition_config_selectorILNS1_17partition_subalgoE1EjNS0_10empty_typeEbEEZZNS1_14partition_implILS5_1ELb0ES3_jN6thrust23THRUST_200600_302600_NS6detail15normal_iteratorINSA_10device_ptrIjEEEEPS6_NSA_18transform_iteratorI7is_evenIjESF_NSA_11use_defaultESK_EENS0_5tupleIJSF_NSA_16discard_iteratorISK_EEEEENSM_IJSG_SG_EEES6_PlJS6_EEE10hipError_tPvRmT3_T4_T5_T6_T7_T9_mT8_P12ihipStream_tbDpT10_ENKUlT_T0_E_clISt17integral_constantIbLb1EES1A_IbLb0EEEEDaS16_S17_EUlS16_E_NS1_11comp_targetILNS1_3genE4ELNS1_11target_archE910ELNS1_3gpuE8ELNS1_3repE0EEENS1_30default_config_static_selectorELNS0_4arch9wavefront6targetE1EEEvT1_
		.amdhsa_group_segment_fixed_size 0
		.amdhsa_private_segment_fixed_size 0
		.amdhsa_kernarg_size 136
		.amdhsa_user_sgpr_count 2
		.amdhsa_user_sgpr_dispatch_ptr 0
		.amdhsa_user_sgpr_queue_ptr 0
		.amdhsa_user_sgpr_kernarg_segment_ptr 1
		.amdhsa_user_sgpr_dispatch_id 0
		.amdhsa_user_sgpr_kernarg_preload_length 0
		.amdhsa_user_sgpr_kernarg_preload_offset 0
		.amdhsa_user_sgpr_private_segment_size 0
		.amdhsa_uses_dynamic_stack 0
		.amdhsa_enable_private_segment 0
		.amdhsa_system_sgpr_workgroup_id_x 1
		.amdhsa_system_sgpr_workgroup_id_y 0
		.amdhsa_system_sgpr_workgroup_id_z 0
		.amdhsa_system_sgpr_workgroup_info 0
		.amdhsa_system_vgpr_workitem_id 0
		.amdhsa_next_free_vgpr 1
		.amdhsa_next_free_sgpr 0
		.amdhsa_accum_offset 4
		.amdhsa_reserve_vcc 0
		.amdhsa_float_round_mode_32 0
		.amdhsa_float_round_mode_16_64 0
		.amdhsa_float_denorm_mode_32 3
		.amdhsa_float_denorm_mode_16_64 3
		.amdhsa_dx10_clamp 1
		.amdhsa_ieee_mode 1
		.amdhsa_fp16_overflow 0
		.amdhsa_tg_split 0
		.amdhsa_exception_fp_ieee_invalid_op 0
		.amdhsa_exception_fp_denorm_src 0
		.amdhsa_exception_fp_ieee_div_zero 0
		.amdhsa_exception_fp_ieee_overflow 0
		.amdhsa_exception_fp_ieee_underflow 0
		.amdhsa_exception_fp_ieee_inexact 0
		.amdhsa_exception_int_div_zero 0
	.end_amdhsa_kernel
	.section	.text._ZN7rocprim17ROCPRIM_400000_NS6detail17trampoline_kernelINS0_14default_configENS1_25partition_config_selectorILNS1_17partition_subalgoE1EjNS0_10empty_typeEbEEZZNS1_14partition_implILS5_1ELb0ES3_jN6thrust23THRUST_200600_302600_NS6detail15normal_iteratorINSA_10device_ptrIjEEEEPS6_NSA_18transform_iteratorI7is_evenIjESF_NSA_11use_defaultESK_EENS0_5tupleIJSF_NSA_16discard_iteratorISK_EEEEENSM_IJSG_SG_EEES6_PlJS6_EEE10hipError_tPvRmT3_T4_T5_T6_T7_T9_mT8_P12ihipStream_tbDpT10_ENKUlT_T0_E_clISt17integral_constantIbLb1EES1A_IbLb0EEEEDaS16_S17_EUlS16_E_NS1_11comp_targetILNS1_3genE4ELNS1_11target_archE910ELNS1_3gpuE8ELNS1_3repE0EEENS1_30default_config_static_selectorELNS0_4arch9wavefront6targetE1EEEvT1_,"axG",@progbits,_ZN7rocprim17ROCPRIM_400000_NS6detail17trampoline_kernelINS0_14default_configENS1_25partition_config_selectorILNS1_17partition_subalgoE1EjNS0_10empty_typeEbEEZZNS1_14partition_implILS5_1ELb0ES3_jN6thrust23THRUST_200600_302600_NS6detail15normal_iteratorINSA_10device_ptrIjEEEEPS6_NSA_18transform_iteratorI7is_evenIjESF_NSA_11use_defaultESK_EENS0_5tupleIJSF_NSA_16discard_iteratorISK_EEEEENSM_IJSG_SG_EEES6_PlJS6_EEE10hipError_tPvRmT3_T4_T5_T6_T7_T9_mT8_P12ihipStream_tbDpT10_ENKUlT_T0_E_clISt17integral_constantIbLb1EES1A_IbLb0EEEEDaS16_S17_EUlS16_E_NS1_11comp_targetILNS1_3genE4ELNS1_11target_archE910ELNS1_3gpuE8ELNS1_3repE0EEENS1_30default_config_static_selectorELNS0_4arch9wavefront6targetE1EEEvT1_,comdat
.Lfunc_end3021:
	.size	_ZN7rocprim17ROCPRIM_400000_NS6detail17trampoline_kernelINS0_14default_configENS1_25partition_config_selectorILNS1_17partition_subalgoE1EjNS0_10empty_typeEbEEZZNS1_14partition_implILS5_1ELb0ES3_jN6thrust23THRUST_200600_302600_NS6detail15normal_iteratorINSA_10device_ptrIjEEEEPS6_NSA_18transform_iteratorI7is_evenIjESF_NSA_11use_defaultESK_EENS0_5tupleIJSF_NSA_16discard_iteratorISK_EEEEENSM_IJSG_SG_EEES6_PlJS6_EEE10hipError_tPvRmT3_T4_T5_T6_T7_T9_mT8_P12ihipStream_tbDpT10_ENKUlT_T0_E_clISt17integral_constantIbLb1EES1A_IbLb0EEEEDaS16_S17_EUlS16_E_NS1_11comp_targetILNS1_3genE4ELNS1_11target_archE910ELNS1_3gpuE8ELNS1_3repE0EEENS1_30default_config_static_selectorELNS0_4arch9wavefront6targetE1EEEvT1_, .Lfunc_end3021-_ZN7rocprim17ROCPRIM_400000_NS6detail17trampoline_kernelINS0_14default_configENS1_25partition_config_selectorILNS1_17partition_subalgoE1EjNS0_10empty_typeEbEEZZNS1_14partition_implILS5_1ELb0ES3_jN6thrust23THRUST_200600_302600_NS6detail15normal_iteratorINSA_10device_ptrIjEEEEPS6_NSA_18transform_iteratorI7is_evenIjESF_NSA_11use_defaultESK_EENS0_5tupleIJSF_NSA_16discard_iteratorISK_EEEEENSM_IJSG_SG_EEES6_PlJS6_EEE10hipError_tPvRmT3_T4_T5_T6_T7_T9_mT8_P12ihipStream_tbDpT10_ENKUlT_T0_E_clISt17integral_constantIbLb1EES1A_IbLb0EEEEDaS16_S17_EUlS16_E_NS1_11comp_targetILNS1_3genE4ELNS1_11target_archE910ELNS1_3gpuE8ELNS1_3repE0EEENS1_30default_config_static_selectorELNS0_4arch9wavefront6targetE1EEEvT1_
                                        ; -- End function
	.section	.AMDGPU.csdata,"",@progbits
; Kernel info:
; codeLenInByte = 0
; NumSgprs: 6
; NumVgprs: 0
; NumAgprs: 0
; TotalNumVgprs: 0
; ScratchSize: 0
; MemoryBound: 0
; FloatMode: 240
; IeeeMode: 1
; LDSByteSize: 0 bytes/workgroup (compile time only)
; SGPRBlocks: 0
; VGPRBlocks: 0
; NumSGPRsForWavesPerEU: 6
; NumVGPRsForWavesPerEU: 1
; AccumOffset: 4
; Occupancy: 8
; WaveLimiterHint : 0
; COMPUTE_PGM_RSRC2:SCRATCH_EN: 0
; COMPUTE_PGM_RSRC2:USER_SGPR: 2
; COMPUTE_PGM_RSRC2:TRAP_HANDLER: 0
; COMPUTE_PGM_RSRC2:TGID_X_EN: 1
; COMPUTE_PGM_RSRC2:TGID_Y_EN: 0
; COMPUTE_PGM_RSRC2:TGID_Z_EN: 0
; COMPUTE_PGM_RSRC2:TIDIG_COMP_CNT: 0
; COMPUTE_PGM_RSRC3_GFX90A:ACCUM_OFFSET: 0
; COMPUTE_PGM_RSRC3_GFX90A:TG_SPLIT: 0
	.section	.text._ZN7rocprim17ROCPRIM_400000_NS6detail17trampoline_kernelINS0_14default_configENS1_25partition_config_selectorILNS1_17partition_subalgoE1EjNS0_10empty_typeEbEEZZNS1_14partition_implILS5_1ELb0ES3_jN6thrust23THRUST_200600_302600_NS6detail15normal_iteratorINSA_10device_ptrIjEEEEPS6_NSA_18transform_iteratorI7is_evenIjESF_NSA_11use_defaultESK_EENS0_5tupleIJSF_NSA_16discard_iteratorISK_EEEEENSM_IJSG_SG_EEES6_PlJS6_EEE10hipError_tPvRmT3_T4_T5_T6_T7_T9_mT8_P12ihipStream_tbDpT10_ENKUlT_T0_E_clISt17integral_constantIbLb1EES1A_IbLb0EEEEDaS16_S17_EUlS16_E_NS1_11comp_targetILNS1_3genE3ELNS1_11target_archE908ELNS1_3gpuE7ELNS1_3repE0EEENS1_30default_config_static_selectorELNS0_4arch9wavefront6targetE1EEEvT1_,"axG",@progbits,_ZN7rocprim17ROCPRIM_400000_NS6detail17trampoline_kernelINS0_14default_configENS1_25partition_config_selectorILNS1_17partition_subalgoE1EjNS0_10empty_typeEbEEZZNS1_14partition_implILS5_1ELb0ES3_jN6thrust23THRUST_200600_302600_NS6detail15normal_iteratorINSA_10device_ptrIjEEEEPS6_NSA_18transform_iteratorI7is_evenIjESF_NSA_11use_defaultESK_EENS0_5tupleIJSF_NSA_16discard_iteratorISK_EEEEENSM_IJSG_SG_EEES6_PlJS6_EEE10hipError_tPvRmT3_T4_T5_T6_T7_T9_mT8_P12ihipStream_tbDpT10_ENKUlT_T0_E_clISt17integral_constantIbLb1EES1A_IbLb0EEEEDaS16_S17_EUlS16_E_NS1_11comp_targetILNS1_3genE3ELNS1_11target_archE908ELNS1_3gpuE7ELNS1_3repE0EEENS1_30default_config_static_selectorELNS0_4arch9wavefront6targetE1EEEvT1_,comdat
	.protected	_ZN7rocprim17ROCPRIM_400000_NS6detail17trampoline_kernelINS0_14default_configENS1_25partition_config_selectorILNS1_17partition_subalgoE1EjNS0_10empty_typeEbEEZZNS1_14partition_implILS5_1ELb0ES3_jN6thrust23THRUST_200600_302600_NS6detail15normal_iteratorINSA_10device_ptrIjEEEEPS6_NSA_18transform_iteratorI7is_evenIjESF_NSA_11use_defaultESK_EENS0_5tupleIJSF_NSA_16discard_iteratorISK_EEEEENSM_IJSG_SG_EEES6_PlJS6_EEE10hipError_tPvRmT3_T4_T5_T6_T7_T9_mT8_P12ihipStream_tbDpT10_ENKUlT_T0_E_clISt17integral_constantIbLb1EES1A_IbLb0EEEEDaS16_S17_EUlS16_E_NS1_11comp_targetILNS1_3genE3ELNS1_11target_archE908ELNS1_3gpuE7ELNS1_3repE0EEENS1_30default_config_static_selectorELNS0_4arch9wavefront6targetE1EEEvT1_ ; -- Begin function _ZN7rocprim17ROCPRIM_400000_NS6detail17trampoline_kernelINS0_14default_configENS1_25partition_config_selectorILNS1_17partition_subalgoE1EjNS0_10empty_typeEbEEZZNS1_14partition_implILS5_1ELb0ES3_jN6thrust23THRUST_200600_302600_NS6detail15normal_iteratorINSA_10device_ptrIjEEEEPS6_NSA_18transform_iteratorI7is_evenIjESF_NSA_11use_defaultESK_EENS0_5tupleIJSF_NSA_16discard_iteratorISK_EEEEENSM_IJSG_SG_EEES6_PlJS6_EEE10hipError_tPvRmT3_T4_T5_T6_T7_T9_mT8_P12ihipStream_tbDpT10_ENKUlT_T0_E_clISt17integral_constantIbLb1EES1A_IbLb0EEEEDaS16_S17_EUlS16_E_NS1_11comp_targetILNS1_3genE3ELNS1_11target_archE908ELNS1_3gpuE7ELNS1_3repE0EEENS1_30default_config_static_selectorELNS0_4arch9wavefront6targetE1EEEvT1_
	.globl	_ZN7rocprim17ROCPRIM_400000_NS6detail17trampoline_kernelINS0_14default_configENS1_25partition_config_selectorILNS1_17partition_subalgoE1EjNS0_10empty_typeEbEEZZNS1_14partition_implILS5_1ELb0ES3_jN6thrust23THRUST_200600_302600_NS6detail15normal_iteratorINSA_10device_ptrIjEEEEPS6_NSA_18transform_iteratorI7is_evenIjESF_NSA_11use_defaultESK_EENS0_5tupleIJSF_NSA_16discard_iteratorISK_EEEEENSM_IJSG_SG_EEES6_PlJS6_EEE10hipError_tPvRmT3_T4_T5_T6_T7_T9_mT8_P12ihipStream_tbDpT10_ENKUlT_T0_E_clISt17integral_constantIbLb1EES1A_IbLb0EEEEDaS16_S17_EUlS16_E_NS1_11comp_targetILNS1_3genE3ELNS1_11target_archE908ELNS1_3gpuE7ELNS1_3repE0EEENS1_30default_config_static_selectorELNS0_4arch9wavefront6targetE1EEEvT1_
	.p2align	8
	.type	_ZN7rocprim17ROCPRIM_400000_NS6detail17trampoline_kernelINS0_14default_configENS1_25partition_config_selectorILNS1_17partition_subalgoE1EjNS0_10empty_typeEbEEZZNS1_14partition_implILS5_1ELb0ES3_jN6thrust23THRUST_200600_302600_NS6detail15normal_iteratorINSA_10device_ptrIjEEEEPS6_NSA_18transform_iteratorI7is_evenIjESF_NSA_11use_defaultESK_EENS0_5tupleIJSF_NSA_16discard_iteratorISK_EEEEENSM_IJSG_SG_EEES6_PlJS6_EEE10hipError_tPvRmT3_T4_T5_T6_T7_T9_mT8_P12ihipStream_tbDpT10_ENKUlT_T0_E_clISt17integral_constantIbLb1EES1A_IbLb0EEEEDaS16_S17_EUlS16_E_NS1_11comp_targetILNS1_3genE3ELNS1_11target_archE908ELNS1_3gpuE7ELNS1_3repE0EEENS1_30default_config_static_selectorELNS0_4arch9wavefront6targetE1EEEvT1_,@function
_ZN7rocprim17ROCPRIM_400000_NS6detail17trampoline_kernelINS0_14default_configENS1_25partition_config_selectorILNS1_17partition_subalgoE1EjNS0_10empty_typeEbEEZZNS1_14partition_implILS5_1ELb0ES3_jN6thrust23THRUST_200600_302600_NS6detail15normal_iteratorINSA_10device_ptrIjEEEEPS6_NSA_18transform_iteratorI7is_evenIjESF_NSA_11use_defaultESK_EENS0_5tupleIJSF_NSA_16discard_iteratorISK_EEEEENSM_IJSG_SG_EEES6_PlJS6_EEE10hipError_tPvRmT3_T4_T5_T6_T7_T9_mT8_P12ihipStream_tbDpT10_ENKUlT_T0_E_clISt17integral_constantIbLb1EES1A_IbLb0EEEEDaS16_S17_EUlS16_E_NS1_11comp_targetILNS1_3genE3ELNS1_11target_archE908ELNS1_3gpuE7ELNS1_3repE0EEENS1_30default_config_static_selectorELNS0_4arch9wavefront6targetE1EEEvT1_: ; @_ZN7rocprim17ROCPRIM_400000_NS6detail17trampoline_kernelINS0_14default_configENS1_25partition_config_selectorILNS1_17partition_subalgoE1EjNS0_10empty_typeEbEEZZNS1_14partition_implILS5_1ELb0ES3_jN6thrust23THRUST_200600_302600_NS6detail15normal_iteratorINSA_10device_ptrIjEEEEPS6_NSA_18transform_iteratorI7is_evenIjESF_NSA_11use_defaultESK_EENS0_5tupleIJSF_NSA_16discard_iteratorISK_EEEEENSM_IJSG_SG_EEES6_PlJS6_EEE10hipError_tPvRmT3_T4_T5_T6_T7_T9_mT8_P12ihipStream_tbDpT10_ENKUlT_T0_E_clISt17integral_constantIbLb1EES1A_IbLb0EEEEDaS16_S17_EUlS16_E_NS1_11comp_targetILNS1_3genE3ELNS1_11target_archE908ELNS1_3gpuE7ELNS1_3repE0EEENS1_30default_config_static_selectorELNS0_4arch9wavefront6targetE1EEEvT1_
; %bb.0:
	.section	.rodata,"a",@progbits
	.p2align	6, 0x0
	.amdhsa_kernel _ZN7rocprim17ROCPRIM_400000_NS6detail17trampoline_kernelINS0_14default_configENS1_25partition_config_selectorILNS1_17partition_subalgoE1EjNS0_10empty_typeEbEEZZNS1_14partition_implILS5_1ELb0ES3_jN6thrust23THRUST_200600_302600_NS6detail15normal_iteratorINSA_10device_ptrIjEEEEPS6_NSA_18transform_iteratorI7is_evenIjESF_NSA_11use_defaultESK_EENS0_5tupleIJSF_NSA_16discard_iteratorISK_EEEEENSM_IJSG_SG_EEES6_PlJS6_EEE10hipError_tPvRmT3_T4_T5_T6_T7_T9_mT8_P12ihipStream_tbDpT10_ENKUlT_T0_E_clISt17integral_constantIbLb1EES1A_IbLb0EEEEDaS16_S17_EUlS16_E_NS1_11comp_targetILNS1_3genE3ELNS1_11target_archE908ELNS1_3gpuE7ELNS1_3repE0EEENS1_30default_config_static_selectorELNS0_4arch9wavefront6targetE1EEEvT1_
		.amdhsa_group_segment_fixed_size 0
		.amdhsa_private_segment_fixed_size 0
		.amdhsa_kernarg_size 136
		.amdhsa_user_sgpr_count 2
		.amdhsa_user_sgpr_dispatch_ptr 0
		.amdhsa_user_sgpr_queue_ptr 0
		.amdhsa_user_sgpr_kernarg_segment_ptr 1
		.amdhsa_user_sgpr_dispatch_id 0
		.amdhsa_user_sgpr_kernarg_preload_length 0
		.amdhsa_user_sgpr_kernarg_preload_offset 0
		.amdhsa_user_sgpr_private_segment_size 0
		.amdhsa_uses_dynamic_stack 0
		.amdhsa_enable_private_segment 0
		.amdhsa_system_sgpr_workgroup_id_x 1
		.amdhsa_system_sgpr_workgroup_id_y 0
		.amdhsa_system_sgpr_workgroup_id_z 0
		.amdhsa_system_sgpr_workgroup_info 0
		.amdhsa_system_vgpr_workitem_id 0
		.amdhsa_next_free_vgpr 1
		.amdhsa_next_free_sgpr 0
		.amdhsa_accum_offset 4
		.amdhsa_reserve_vcc 0
		.amdhsa_float_round_mode_32 0
		.amdhsa_float_round_mode_16_64 0
		.amdhsa_float_denorm_mode_32 3
		.amdhsa_float_denorm_mode_16_64 3
		.amdhsa_dx10_clamp 1
		.amdhsa_ieee_mode 1
		.amdhsa_fp16_overflow 0
		.amdhsa_tg_split 0
		.amdhsa_exception_fp_ieee_invalid_op 0
		.amdhsa_exception_fp_denorm_src 0
		.amdhsa_exception_fp_ieee_div_zero 0
		.amdhsa_exception_fp_ieee_overflow 0
		.amdhsa_exception_fp_ieee_underflow 0
		.amdhsa_exception_fp_ieee_inexact 0
		.amdhsa_exception_int_div_zero 0
	.end_amdhsa_kernel
	.section	.text._ZN7rocprim17ROCPRIM_400000_NS6detail17trampoline_kernelINS0_14default_configENS1_25partition_config_selectorILNS1_17partition_subalgoE1EjNS0_10empty_typeEbEEZZNS1_14partition_implILS5_1ELb0ES3_jN6thrust23THRUST_200600_302600_NS6detail15normal_iteratorINSA_10device_ptrIjEEEEPS6_NSA_18transform_iteratorI7is_evenIjESF_NSA_11use_defaultESK_EENS0_5tupleIJSF_NSA_16discard_iteratorISK_EEEEENSM_IJSG_SG_EEES6_PlJS6_EEE10hipError_tPvRmT3_T4_T5_T6_T7_T9_mT8_P12ihipStream_tbDpT10_ENKUlT_T0_E_clISt17integral_constantIbLb1EES1A_IbLb0EEEEDaS16_S17_EUlS16_E_NS1_11comp_targetILNS1_3genE3ELNS1_11target_archE908ELNS1_3gpuE7ELNS1_3repE0EEENS1_30default_config_static_selectorELNS0_4arch9wavefront6targetE1EEEvT1_,"axG",@progbits,_ZN7rocprim17ROCPRIM_400000_NS6detail17trampoline_kernelINS0_14default_configENS1_25partition_config_selectorILNS1_17partition_subalgoE1EjNS0_10empty_typeEbEEZZNS1_14partition_implILS5_1ELb0ES3_jN6thrust23THRUST_200600_302600_NS6detail15normal_iteratorINSA_10device_ptrIjEEEEPS6_NSA_18transform_iteratorI7is_evenIjESF_NSA_11use_defaultESK_EENS0_5tupleIJSF_NSA_16discard_iteratorISK_EEEEENSM_IJSG_SG_EEES6_PlJS6_EEE10hipError_tPvRmT3_T4_T5_T6_T7_T9_mT8_P12ihipStream_tbDpT10_ENKUlT_T0_E_clISt17integral_constantIbLb1EES1A_IbLb0EEEEDaS16_S17_EUlS16_E_NS1_11comp_targetILNS1_3genE3ELNS1_11target_archE908ELNS1_3gpuE7ELNS1_3repE0EEENS1_30default_config_static_selectorELNS0_4arch9wavefront6targetE1EEEvT1_,comdat
.Lfunc_end3022:
	.size	_ZN7rocprim17ROCPRIM_400000_NS6detail17trampoline_kernelINS0_14default_configENS1_25partition_config_selectorILNS1_17partition_subalgoE1EjNS0_10empty_typeEbEEZZNS1_14partition_implILS5_1ELb0ES3_jN6thrust23THRUST_200600_302600_NS6detail15normal_iteratorINSA_10device_ptrIjEEEEPS6_NSA_18transform_iteratorI7is_evenIjESF_NSA_11use_defaultESK_EENS0_5tupleIJSF_NSA_16discard_iteratorISK_EEEEENSM_IJSG_SG_EEES6_PlJS6_EEE10hipError_tPvRmT3_T4_T5_T6_T7_T9_mT8_P12ihipStream_tbDpT10_ENKUlT_T0_E_clISt17integral_constantIbLb1EES1A_IbLb0EEEEDaS16_S17_EUlS16_E_NS1_11comp_targetILNS1_3genE3ELNS1_11target_archE908ELNS1_3gpuE7ELNS1_3repE0EEENS1_30default_config_static_selectorELNS0_4arch9wavefront6targetE1EEEvT1_, .Lfunc_end3022-_ZN7rocprim17ROCPRIM_400000_NS6detail17trampoline_kernelINS0_14default_configENS1_25partition_config_selectorILNS1_17partition_subalgoE1EjNS0_10empty_typeEbEEZZNS1_14partition_implILS5_1ELb0ES3_jN6thrust23THRUST_200600_302600_NS6detail15normal_iteratorINSA_10device_ptrIjEEEEPS6_NSA_18transform_iteratorI7is_evenIjESF_NSA_11use_defaultESK_EENS0_5tupleIJSF_NSA_16discard_iteratorISK_EEEEENSM_IJSG_SG_EEES6_PlJS6_EEE10hipError_tPvRmT3_T4_T5_T6_T7_T9_mT8_P12ihipStream_tbDpT10_ENKUlT_T0_E_clISt17integral_constantIbLb1EES1A_IbLb0EEEEDaS16_S17_EUlS16_E_NS1_11comp_targetILNS1_3genE3ELNS1_11target_archE908ELNS1_3gpuE7ELNS1_3repE0EEENS1_30default_config_static_selectorELNS0_4arch9wavefront6targetE1EEEvT1_
                                        ; -- End function
	.section	.AMDGPU.csdata,"",@progbits
; Kernel info:
; codeLenInByte = 0
; NumSgprs: 6
; NumVgprs: 0
; NumAgprs: 0
; TotalNumVgprs: 0
; ScratchSize: 0
; MemoryBound: 0
; FloatMode: 240
; IeeeMode: 1
; LDSByteSize: 0 bytes/workgroup (compile time only)
; SGPRBlocks: 0
; VGPRBlocks: 0
; NumSGPRsForWavesPerEU: 6
; NumVGPRsForWavesPerEU: 1
; AccumOffset: 4
; Occupancy: 8
; WaveLimiterHint : 0
; COMPUTE_PGM_RSRC2:SCRATCH_EN: 0
; COMPUTE_PGM_RSRC2:USER_SGPR: 2
; COMPUTE_PGM_RSRC2:TRAP_HANDLER: 0
; COMPUTE_PGM_RSRC2:TGID_X_EN: 1
; COMPUTE_PGM_RSRC2:TGID_Y_EN: 0
; COMPUTE_PGM_RSRC2:TGID_Z_EN: 0
; COMPUTE_PGM_RSRC2:TIDIG_COMP_CNT: 0
; COMPUTE_PGM_RSRC3_GFX90A:ACCUM_OFFSET: 0
; COMPUTE_PGM_RSRC3_GFX90A:TG_SPLIT: 0
	.section	.text._ZN7rocprim17ROCPRIM_400000_NS6detail17trampoline_kernelINS0_14default_configENS1_25partition_config_selectorILNS1_17partition_subalgoE1EjNS0_10empty_typeEbEEZZNS1_14partition_implILS5_1ELb0ES3_jN6thrust23THRUST_200600_302600_NS6detail15normal_iteratorINSA_10device_ptrIjEEEEPS6_NSA_18transform_iteratorI7is_evenIjESF_NSA_11use_defaultESK_EENS0_5tupleIJSF_NSA_16discard_iteratorISK_EEEEENSM_IJSG_SG_EEES6_PlJS6_EEE10hipError_tPvRmT3_T4_T5_T6_T7_T9_mT8_P12ihipStream_tbDpT10_ENKUlT_T0_E_clISt17integral_constantIbLb1EES1A_IbLb0EEEEDaS16_S17_EUlS16_E_NS1_11comp_targetILNS1_3genE2ELNS1_11target_archE906ELNS1_3gpuE6ELNS1_3repE0EEENS1_30default_config_static_selectorELNS0_4arch9wavefront6targetE1EEEvT1_,"axG",@progbits,_ZN7rocprim17ROCPRIM_400000_NS6detail17trampoline_kernelINS0_14default_configENS1_25partition_config_selectorILNS1_17partition_subalgoE1EjNS0_10empty_typeEbEEZZNS1_14partition_implILS5_1ELb0ES3_jN6thrust23THRUST_200600_302600_NS6detail15normal_iteratorINSA_10device_ptrIjEEEEPS6_NSA_18transform_iteratorI7is_evenIjESF_NSA_11use_defaultESK_EENS0_5tupleIJSF_NSA_16discard_iteratorISK_EEEEENSM_IJSG_SG_EEES6_PlJS6_EEE10hipError_tPvRmT3_T4_T5_T6_T7_T9_mT8_P12ihipStream_tbDpT10_ENKUlT_T0_E_clISt17integral_constantIbLb1EES1A_IbLb0EEEEDaS16_S17_EUlS16_E_NS1_11comp_targetILNS1_3genE2ELNS1_11target_archE906ELNS1_3gpuE6ELNS1_3repE0EEENS1_30default_config_static_selectorELNS0_4arch9wavefront6targetE1EEEvT1_,comdat
	.protected	_ZN7rocprim17ROCPRIM_400000_NS6detail17trampoline_kernelINS0_14default_configENS1_25partition_config_selectorILNS1_17partition_subalgoE1EjNS0_10empty_typeEbEEZZNS1_14partition_implILS5_1ELb0ES3_jN6thrust23THRUST_200600_302600_NS6detail15normal_iteratorINSA_10device_ptrIjEEEEPS6_NSA_18transform_iteratorI7is_evenIjESF_NSA_11use_defaultESK_EENS0_5tupleIJSF_NSA_16discard_iteratorISK_EEEEENSM_IJSG_SG_EEES6_PlJS6_EEE10hipError_tPvRmT3_T4_T5_T6_T7_T9_mT8_P12ihipStream_tbDpT10_ENKUlT_T0_E_clISt17integral_constantIbLb1EES1A_IbLb0EEEEDaS16_S17_EUlS16_E_NS1_11comp_targetILNS1_3genE2ELNS1_11target_archE906ELNS1_3gpuE6ELNS1_3repE0EEENS1_30default_config_static_selectorELNS0_4arch9wavefront6targetE1EEEvT1_ ; -- Begin function _ZN7rocprim17ROCPRIM_400000_NS6detail17trampoline_kernelINS0_14default_configENS1_25partition_config_selectorILNS1_17partition_subalgoE1EjNS0_10empty_typeEbEEZZNS1_14partition_implILS5_1ELb0ES3_jN6thrust23THRUST_200600_302600_NS6detail15normal_iteratorINSA_10device_ptrIjEEEEPS6_NSA_18transform_iteratorI7is_evenIjESF_NSA_11use_defaultESK_EENS0_5tupleIJSF_NSA_16discard_iteratorISK_EEEEENSM_IJSG_SG_EEES6_PlJS6_EEE10hipError_tPvRmT3_T4_T5_T6_T7_T9_mT8_P12ihipStream_tbDpT10_ENKUlT_T0_E_clISt17integral_constantIbLb1EES1A_IbLb0EEEEDaS16_S17_EUlS16_E_NS1_11comp_targetILNS1_3genE2ELNS1_11target_archE906ELNS1_3gpuE6ELNS1_3repE0EEENS1_30default_config_static_selectorELNS0_4arch9wavefront6targetE1EEEvT1_
	.globl	_ZN7rocprim17ROCPRIM_400000_NS6detail17trampoline_kernelINS0_14default_configENS1_25partition_config_selectorILNS1_17partition_subalgoE1EjNS0_10empty_typeEbEEZZNS1_14partition_implILS5_1ELb0ES3_jN6thrust23THRUST_200600_302600_NS6detail15normal_iteratorINSA_10device_ptrIjEEEEPS6_NSA_18transform_iteratorI7is_evenIjESF_NSA_11use_defaultESK_EENS0_5tupleIJSF_NSA_16discard_iteratorISK_EEEEENSM_IJSG_SG_EEES6_PlJS6_EEE10hipError_tPvRmT3_T4_T5_T6_T7_T9_mT8_P12ihipStream_tbDpT10_ENKUlT_T0_E_clISt17integral_constantIbLb1EES1A_IbLb0EEEEDaS16_S17_EUlS16_E_NS1_11comp_targetILNS1_3genE2ELNS1_11target_archE906ELNS1_3gpuE6ELNS1_3repE0EEENS1_30default_config_static_selectorELNS0_4arch9wavefront6targetE1EEEvT1_
	.p2align	8
	.type	_ZN7rocprim17ROCPRIM_400000_NS6detail17trampoline_kernelINS0_14default_configENS1_25partition_config_selectorILNS1_17partition_subalgoE1EjNS0_10empty_typeEbEEZZNS1_14partition_implILS5_1ELb0ES3_jN6thrust23THRUST_200600_302600_NS6detail15normal_iteratorINSA_10device_ptrIjEEEEPS6_NSA_18transform_iteratorI7is_evenIjESF_NSA_11use_defaultESK_EENS0_5tupleIJSF_NSA_16discard_iteratorISK_EEEEENSM_IJSG_SG_EEES6_PlJS6_EEE10hipError_tPvRmT3_T4_T5_T6_T7_T9_mT8_P12ihipStream_tbDpT10_ENKUlT_T0_E_clISt17integral_constantIbLb1EES1A_IbLb0EEEEDaS16_S17_EUlS16_E_NS1_11comp_targetILNS1_3genE2ELNS1_11target_archE906ELNS1_3gpuE6ELNS1_3repE0EEENS1_30default_config_static_selectorELNS0_4arch9wavefront6targetE1EEEvT1_,@function
_ZN7rocprim17ROCPRIM_400000_NS6detail17trampoline_kernelINS0_14default_configENS1_25partition_config_selectorILNS1_17partition_subalgoE1EjNS0_10empty_typeEbEEZZNS1_14partition_implILS5_1ELb0ES3_jN6thrust23THRUST_200600_302600_NS6detail15normal_iteratorINSA_10device_ptrIjEEEEPS6_NSA_18transform_iteratorI7is_evenIjESF_NSA_11use_defaultESK_EENS0_5tupleIJSF_NSA_16discard_iteratorISK_EEEEENSM_IJSG_SG_EEES6_PlJS6_EEE10hipError_tPvRmT3_T4_T5_T6_T7_T9_mT8_P12ihipStream_tbDpT10_ENKUlT_T0_E_clISt17integral_constantIbLb1EES1A_IbLb0EEEEDaS16_S17_EUlS16_E_NS1_11comp_targetILNS1_3genE2ELNS1_11target_archE906ELNS1_3gpuE6ELNS1_3repE0EEENS1_30default_config_static_selectorELNS0_4arch9wavefront6targetE1EEEvT1_: ; @_ZN7rocprim17ROCPRIM_400000_NS6detail17trampoline_kernelINS0_14default_configENS1_25partition_config_selectorILNS1_17partition_subalgoE1EjNS0_10empty_typeEbEEZZNS1_14partition_implILS5_1ELb0ES3_jN6thrust23THRUST_200600_302600_NS6detail15normal_iteratorINSA_10device_ptrIjEEEEPS6_NSA_18transform_iteratorI7is_evenIjESF_NSA_11use_defaultESK_EENS0_5tupleIJSF_NSA_16discard_iteratorISK_EEEEENSM_IJSG_SG_EEES6_PlJS6_EEE10hipError_tPvRmT3_T4_T5_T6_T7_T9_mT8_P12ihipStream_tbDpT10_ENKUlT_T0_E_clISt17integral_constantIbLb1EES1A_IbLb0EEEEDaS16_S17_EUlS16_E_NS1_11comp_targetILNS1_3genE2ELNS1_11target_archE906ELNS1_3gpuE6ELNS1_3repE0EEENS1_30default_config_static_selectorELNS0_4arch9wavefront6targetE1EEEvT1_
; %bb.0:
	.section	.rodata,"a",@progbits
	.p2align	6, 0x0
	.amdhsa_kernel _ZN7rocprim17ROCPRIM_400000_NS6detail17trampoline_kernelINS0_14default_configENS1_25partition_config_selectorILNS1_17partition_subalgoE1EjNS0_10empty_typeEbEEZZNS1_14partition_implILS5_1ELb0ES3_jN6thrust23THRUST_200600_302600_NS6detail15normal_iteratorINSA_10device_ptrIjEEEEPS6_NSA_18transform_iteratorI7is_evenIjESF_NSA_11use_defaultESK_EENS0_5tupleIJSF_NSA_16discard_iteratorISK_EEEEENSM_IJSG_SG_EEES6_PlJS6_EEE10hipError_tPvRmT3_T4_T5_T6_T7_T9_mT8_P12ihipStream_tbDpT10_ENKUlT_T0_E_clISt17integral_constantIbLb1EES1A_IbLb0EEEEDaS16_S17_EUlS16_E_NS1_11comp_targetILNS1_3genE2ELNS1_11target_archE906ELNS1_3gpuE6ELNS1_3repE0EEENS1_30default_config_static_selectorELNS0_4arch9wavefront6targetE1EEEvT1_
		.amdhsa_group_segment_fixed_size 0
		.amdhsa_private_segment_fixed_size 0
		.amdhsa_kernarg_size 136
		.amdhsa_user_sgpr_count 2
		.amdhsa_user_sgpr_dispatch_ptr 0
		.amdhsa_user_sgpr_queue_ptr 0
		.amdhsa_user_sgpr_kernarg_segment_ptr 1
		.amdhsa_user_sgpr_dispatch_id 0
		.amdhsa_user_sgpr_kernarg_preload_length 0
		.amdhsa_user_sgpr_kernarg_preload_offset 0
		.amdhsa_user_sgpr_private_segment_size 0
		.amdhsa_uses_dynamic_stack 0
		.amdhsa_enable_private_segment 0
		.amdhsa_system_sgpr_workgroup_id_x 1
		.amdhsa_system_sgpr_workgroup_id_y 0
		.amdhsa_system_sgpr_workgroup_id_z 0
		.amdhsa_system_sgpr_workgroup_info 0
		.amdhsa_system_vgpr_workitem_id 0
		.amdhsa_next_free_vgpr 1
		.amdhsa_next_free_sgpr 0
		.amdhsa_accum_offset 4
		.amdhsa_reserve_vcc 0
		.amdhsa_float_round_mode_32 0
		.amdhsa_float_round_mode_16_64 0
		.amdhsa_float_denorm_mode_32 3
		.amdhsa_float_denorm_mode_16_64 3
		.amdhsa_dx10_clamp 1
		.amdhsa_ieee_mode 1
		.amdhsa_fp16_overflow 0
		.amdhsa_tg_split 0
		.amdhsa_exception_fp_ieee_invalid_op 0
		.amdhsa_exception_fp_denorm_src 0
		.amdhsa_exception_fp_ieee_div_zero 0
		.amdhsa_exception_fp_ieee_overflow 0
		.amdhsa_exception_fp_ieee_underflow 0
		.amdhsa_exception_fp_ieee_inexact 0
		.amdhsa_exception_int_div_zero 0
	.end_amdhsa_kernel
	.section	.text._ZN7rocprim17ROCPRIM_400000_NS6detail17trampoline_kernelINS0_14default_configENS1_25partition_config_selectorILNS1_17partition_subalgoE1EjNS0_10empty_typeEbEEZZNS1_14partition_implILS5_1ELb0ES3_jN6thrust23THRUST_200600_302600_NS6detail15normal_iteratorINSA_10device_ptrIjEEEEPS6_NSA_18transform_iteratorI7is_evenIjESF_NSA_11use_defaultESK_EENS0_5tupleIJSF_NSA_16discard_iteratorISK_EEEEENSM_IJSG_SG_EEES6_PlJS6_EEE10hipError_tPvRmT3_T4_T5_T6_T7_T9_mT8_P12ihipStream_tbDpT10_ENKUlT_T0_E_clISt17integral_constantIbLb1EES1A_IbLb0EEEEDaS16_S17_EUlS16_E_NS1_11comp_targetILNS1_3genE2ELNS1_11target_archE906ELNS1_3gpuE6ELNS1_3repE0EEENS1_30default_config_static_selectorELNS0_4arch9wavefront6targetE1EEEvT1_,"axG",@progbits,_ZN7rocprim17ROCPRIM_400000_NS6detail17trampoline_kernelINS0_14default_configENS1_25partition_config_selectorILNS1_17partition_subalgoE1EjNS0_10empty_typeEbEEZZNS1_14partition_implILS5_1ELb0ES3_jN6thrust23THRUST_200600_302600_NS6detail15normal_iteratorINSA_10device_ptrIjEEEEPS6_NSA_18transform_iteratorI7is_evenIjESF_NSA_11use_defaultESK_EENS0_5tupleIJSF_NSA_16discard_iteratorISK_EEEEENSM_IJSG_SG_EEES6_PlJS6_EEE10hipError_tPvRmT3_T4_T5_T6_T7_T9_mT8_P12ihipStream_tbDpT10_ENKUlT_T0_E_clISt17integral_constantIbLb1EES1A_IbLb0EEEEDaS16_S17_EUlS16_E_NS1_11comp_targetILNS1_3genE2ELNS1_11target_archE906ELNS1_3gpuE6ELNS1_3repE0EEENS1_30default_config_static_selectorELNS0_4arch9wavefront6targetE1EEEvT1_,comdat
.Lfunc_end3023:
	.size	_ZN7rocprim17ROCPRIM_400000_NS6detail17trampoline_kernelINS0_14default_configENS1_25partition_config_selectorILNS1_17partition_subalgoE1EjNS0_10empty_typeEbEEZZNS1_14partition_implILS5_1ELb0ES3_jN6thrust23THRUST_200600_302600_NS6detail15normal_iteratorINSA_10device_ptrIjEEEEPS6_NSA_18transform_iteratorI7is_evenIjESF_NSA_11use_defaultESK_EENS0_5tupleIJSF_NSA_16discard_iteratorISK_EEEEENSM_IJSG_SG_EEES6_PlJS6_EEE10hipError_tPvRmT3_T4_T5_T6_T7_T9_mT8_P12ihipStream_tbDpT10_ENKUlT_T0_E_clISt17integral_constantIbLb1EES1A_IbLb0EEEEDaS16_S17_EUlS16_E_NS1_11comp_targetILNS1_3genE2ELNS1_11target_archE906ELNS1_3gpuE6ELNS1_3repE0EEENS1_30default_config_static_selectorELNS0_4arch9wavefront6targetE1EEEvT1_, .Lfunc_end3023-_ZN7rocprim17ROCPRIM_400000_NS6detail17trampoline_kernelINS0_14default_configENS1_25partition_config_selectorILNS1_17partition_subalgoE1EjNS0_10empty_typeEbEEZZNS1_14partition_implILS5_1ELb0ES3_jN6thrust23THRUST_200600_302600_NS6detail15normal_iteratorINSA_10device_ptrIjEEEEPS6_NSA_18transform_iteratorI7is_evenIjESF_NSA_11use_defaultESK_EENS0_5tupleIJSF_NSA_16discard_iteratorISK_EEEEENSM_IJSG_SG_EEES6_PlJS6_EEE10hipError_tPvRmT3_T4_T5_T6_T7_T9_mT8_P12ihipStream_tbDpT10_ENKUlT_T0_E_clISt17integral_constantIbLb1EES1A_IbLb0EEEEDaS16_S17_EUlS16_E_NS1_11comp_targetILNS1_3genE2ELNS1_11target_archE906ELNS1_3gpuE6ELNS1_3repE0EEENS1_30default_config_static_selectorELNS0_4arch9wavefront6targetE1EEEvT1_
                                        ; -- End function
	.section	.AMDGPU.csdata,"",@progbits
; Kernel info:
; codeLenInByte = 0
; NumSgprs: 6
; NumVgprs: 0
; NumAgprs: 0
; TotalNumVgprs: 0
; ScratchSize: 0
; MemoryBound: 0
; FloatMode: 240
; IeeeMode: 1
; LDSByteSize: 0 bytes/workgroup (compile time only)
; SGPRBlocks: 0
; VGPRBlocks: 0
; NumSGPRsForWavesPerEU: 6
; NumVGPRsForWavesPerEU: 1
; AccumOffset: 4
; Occupancy: 8
; WaveLimiterHint : 0
; COMPUTE_PGM_RSRC2:SCRATCH_EN: 0
; COMPUTE_PGM_RSRC2:USER_SGPR: 2
; COMPUTE_PGM_RSRC2:TRAP_HANDLER: 0
; COMPUTE_PGM_RSRC2:TGID_X_EN: 1
; COMPUTE_PGM_RSRC2:TGID_Y_EN: 0
; COMPUTE_PGM_RSRC2:TGID_Z_EN: 0
; COMPUTE_PGM_RSRC2:TIDIG_COMP_CNT: 0
; COMPUTE_PGM_RSRC3_GFX90A:ACCUM_OFFSET: 0
; COMPUTE_PGM_RSRC3_GFX90A:TG_SPLIT: 0
	.section	.text._ZN7rocprim17ROCPRIM_400000_NS6detail17trampoline_kernelINS0_14default_configENS1_25partition_config_selectorILNS1_17partition_subalgoE1EjNS0_10empty_typeEbEEZZNS1_14partition_implILS5_1ELb0ES3_jN6thrust23THRUST_200600_302600_NS6detail15normal_iteratorINSA_10device_ptrIjEEEEPS6_NSA_18transform_iteratorI7is_evenIjESF_NSA_11use_defaultESK_EENS0_5tupleIJSF_NSA_16discard_iteratorISK_EEEEENSM_IJSG_SG_EEES6_PlJS6_EEE10hipError_tPvRmT3_T4_T5_T6_T7_T9_mT8_P12ihipStream_tbDpT10_ENKUlT_T0_E_clISt17integral_constantIbLb1EES1A_IbLb0EEEEDaS16_S17_EUlS16_E_NS1_11comp_targetILNS1_3genE10ELNS1_11target_archE1200ELNS1_3gpuE4ELNS1_3repE0EEENS1_30default_config_static_selectorELNS0_4arch9wavefront6targetE1EEEvT1_,"axG",@progbits,_ZN7rocprim17ROCPRIM_400000_NS6detail17trampoline_kernelINS0_14default_configENS1_25partition_config_selectorILNS1_17partition_subalgoE1EjNS0_10empty_typeEbEEZZNS1_14partition_implILS5_1ELb0ES3_jN6thrust23THRUST_200600_302600_NS6detail15normal_iteratorINSA_10device_ptrIjEEEEPS6_NSA_18transform_iteratorI7is_evenIjESF_NSA_11use_defaultESK_EENS0_5tupleIJSF_NSA_16discard_iteratorISK_EEEEENSM_IJSG_SG_EEES6_PlJS6_EEE10hipError_tPvRmT3_T4_T5_T6_T7_T9_mT8_P12ihipStream_tbDpT10_ENKUlT_T0_E_clISt17integral_constantIbLb1EES1A_IbLb0EEEEDaS16_S17_EUlS16_E_NS1_11comp_targetILNS1_3genE10ELNS1_11target_archE1200ELNS1_3gpuE4ELNS1_3repE0EEENS1_30default_config_static_selectorELNS0_4arch9wavefront6targetE1EEEvT1_,comdat
	.protected	_ZN7rocprim17ROCPRIM_400000_NS6detail17trampoline_kernelINS0_14default_configENS1_25partition_config_selectorILNS1_17partition_subalgoE1EjNS0_10empty_typeEbEEZZNS1_14partition_implILS5_1ELb0ES3_jN6thrust23THRUST_200600_302600_NS6detail15normal_iteratorINSA_10device_ptrIjEEEEPS6_NSA_18transform_iteratorI7is_evenIjESF_NSA_11use_defaultESK_EENS0_5tupleIJSF_NSA_16discard_iteratorISK_EEEEENSM_IJSG_SG_EEES6_PlJS6_EEE10hipError_tPvRmT3_T4_T5_T6_T7_T9_mT8_P12ihipStream_tbDpT10_ENKUlT_T0_E_clISt17integral_constantIbLb1EES1A_IbLb0EEEEDaS16_S17_EUlS16_E_NS1_11comp_targetILNS1_3genE10ELNS1_11target_archE1200ELNS1_3gpuE4ELNS1_3repE0EEENS1_30default_config_static_selectorELNS0_4arch9wavefront6targetE1EEEvT1_ ; -- Begin function _ZN7rocprim17ROCPRIM_400000_NS6detail17trampoline_kernelINS0_14default_configENS1_25partition_config_selectorILNS1_17partition_subalgoE1EjNS0_10empty_typeEbEEZZNS1_14partition_implILS5_1ELb0ES3_jN6thrust23THRUST_200600_302600_NS6detail15normal_iteratorINSA_10device_ptrIjEEEEPS6_NSA_18transform_iteratorI7is_evenIjESF_NSA_11use_defaultESK_EENS0_5tupleIJSF_NSA_16discard_iteratorISK_EEEEENSM_IJSG_SG_EEES6_PlJS6_EEE10hipError_tPvRmT3_T4_T5_T6_T7_T9_mT8_P12ihipStream_tbDpT10_ENKUlT_T0_E_clISt17integral_constantIbLb1EES1A_IbLb0EEEEDaS16_S17_EUlS16_E_NS1_11comp_targetILNS1_3genE10ELNS1_11target_archE1200ELNS1_3gpuE4ELNS1_3repE0EEENS1_30default_config_static_selectorELNS0_4arch9wavefront6targetE1EEEvT1_
	.globl	_ZN7rocprim17ROCPRIM_400000_NS6detail17trampoline_kernelINS0_14default_configENS1_25partition_config_selectorILNS1_17partition_subalgoE1EjNS0_10empty_typeEbEEZZNS1_14partition_implILS5_1ELb0ES3_jN6thrust23THRUST_200600_302600_NS6detail15normal_iteratorINSA_10device_ptrIjEEEEPS6_NSA_18transform_iteratorI7is_evenIjESF_NSA_11use_defaultESK_EENS0_5tupleIJSF_NSA_16discard_iteratorISK_EEEEENSM_IJSG_SG_EEES6_PlJS6_EEE10hipError_tPvRmT3_T4_T5_T6_T7_T9_mT8_P12ihipStream_tbDpT10_ENKUlT_T0_E_clISt17integral_constantIbLb1EES1A_IbLb0EEEEDaS16_S17_EUlS16_E_NS1_11comp_targetILNS1_3genE10ELNS1_11target_archE1200ELNS1_3gpuE4ELNS1_3repE0EEENS1_30default_config_static_selectorELNS0_4arch9wavefront6targetE1EEEvT1_
	.p2align	8
	.type	_ZN7rocprim17ROCPRIM_400000_NS6detail17trampoline_kernelINS0_14default_configENS1_25partition_config_selectorILNS1_17partition_subalgoE1EjNS0_10empty_typeEbEEZZNS1_14partition_implILS5_1ELb0ES3_jN6thrust23THRUST_200600_302600_NS6detail15normal_iteratorINSA_10device_ptrIjEEEEPS6_NSA_18transform_iteratorI7is_evenIjESF_NSA_11use_defaultESK_EENS0_5tupleIJSF_NSA_16discard_iteratorISK_EEEEENSM_IJSG_SG_EEES6_PlJS6_EEE10hipError_tPvRmT3_T4_T5_T6_T7_T9_mT8_P12ihipStream_tbDpT10_ENKUlT_T0_E_clISt17integral_constantIbLb1EES1A_IbLb0EEEEDaS16_S17_EUlS16_E_NS1_11comp_targetILNS1_3genE10ELNS1_11target_archE1200ELNS1_3gpuE4ELNS1_3repE0EEENS1_30default_config_static_selectorELNS0_4arch9wavefront6targetE1EEEvT1_,@function
_ZN7rocprim17ROCPRIM_400000_NS6detail17trampoline_kernelINS0_14default_configENS1_25partition_config_selectorILNS1_17partition_subalgoE1EjNS0_10empty_typeEbEEZZNS1_14partition_implILS5_1ELb0ES3_jN6thrust23THRUST_200600_302600_NS6detail15normal_iteratorINSA_10device_ptrIjEEEEPS6_NSA_18transform_iteratorI7is_evenIjESF_NSA_11use_defaultESK_EENS0_5tupleIJSF_NSA_16discard_iteratorISK_EEEEENSM_IJSG_SG_EEES6_PlJS6_EEE10hipError_tPvRmT3_T4_T5_T6_T7_T9_mT8_P12ihipStream_tbDpT10_ENKUlT_T0_E_clISt17integral_constantIbLb1EES1A_IbLb0EEEEDaS16_S17_EUlS16_E_NS1_11comp_targetILNS1_3genE10ELNS1_11target_archE1200ELNS1_3gpuE4ELNS1_3repE0EEENS1_30default_config_static_selectorELNS0_4arch9wavefront6targetE1EEEvT1_: ; @_ZN7rocprim17ROCPRIM_400000_NS6detail17trampoline_kernelINS0_14default_configENS1_25partition_config_selectorILNS1_17partition_subalgoE1EjNS0_10empty_typeEbEEZZNS1_14partition_implILS5_1ELb0ES3_jN6thrust23THRUST_200600_302600_NS6detail15normal_iteratorINSA_10device_ptrIjEEEEPS6_NSA_18transform_iteratorI7is_evenIjESF_NSA_11use_defaultESK_EENS0_5tupleIJSF_NSA_16discard_iteratorISK_EEEEENSM_IJSG_SG_EEES6_PlJS6_EEE10hipError_tPvRmT3_T4_T5_T6_T7_T9_mT8_P12ihipStream_tbDpT10_ENKUlT_T0_E_clISt17integral_constantIbLb1EES1A_IbLb0EEEEDaS16_S17_EUlS16_E_NS1_11comp_targetILNS1_3genE10ELNS1_11target_archE1200ELNS1_3gpuE4ELNS1_3repE0EEENS1_30default_config_static_selectorELNS0_4arch9wavefront6targetE1EEEvT1_
; %bb.0:
	.section	.rodata,"a",@progbits
	.p2align	6, 0x0
	.amdhsa_kernel _ZN7rocprim17ROCPRIM_400000_NS6detail17trampoline_kernelINS0_14default_configENS1_25partition_config_selectorILNS1_17partition_subalgoE1EjNS0_10empty_typeEbEEZZNS1_14partition_implILS5_1ELb0ES3_jN6thrust23THRUST_200600_302600_NS6detail15normal_iteratorINSA_10device_ptrIjEEEEPS6_NSA_18transform_iteratorI7is_evenIjESF_NSA_11use_defaultESK_EENS0_5tupleIJSF_NSA_16discard_iteratorISK_EEEEENSM_IJSG_SG_EEES6_PlJS6_EEE10hipError_tPvRmT3_T4_T5_T6_T7_T9_mT8_P12ihipStream_tbDpT10_ENKUlT_T0_E_clISt17integral_constantIbLb1EES1A_IbLb0EEEEDaS16_S17_EUlS16_E_NS1_11comp_targetILNS1_3genE10ELNS1_11target_archE1200ELNS1_3gpuE4ELNS1_3repE0EEENS1_30default_config_static_selectorELNS0_4arch9wavefront6targetE1EEEvT1_
		.amdhsa_group_segment_fixed_size 0
		.amdhsa_private_segment_fixed_size 0
		.amdhsa_kernarg_size 136
		.amdhsa_user_sgpr_count 2
		.amdhsa_user_sgpr_dispatch_ptr 0
		.amdhsa_user_sgpr_queue_ptr 0
		.amdhsa_user_sgpr_kernarg_segment_ptr 1
		.amdhsa_user_sgpr_dispatch_id 0
		.amdhsa_user_sgpr_kernarg_preload_length 0
		.amdhsa_user_sgpr_kernarg_preload_offset 0
		.amdhsa_user_sgpr_private_segment_size 0
		.amdhsa_uses_dynamic_stack 0
		.amdhsa_enable_private_segment 0
		.amdhsa_system_sgpr_workgroup_id_x 1
		.amdhsa_system_sgpr_workgroup_id_y 0
		.amdhsa_system_sgpr_workgroup_id_z 0
		.amdhsa_system_sgpr_workgroup_info 0
		.amdhsa_system_vgpr_workitem_id 0
		.amdhsa_next_free_vgpr 1
		.amdhsa_next_free_sgpr 0
		.amdhsa_accum_offset 4
		.amdhsa_reserve_vcc 0
		.amdhsa_float_round_mode_32 0
		.amdhsa_float_round_mode_16_64 0
		.amdhsa_float_denorm_mode_32 3
		.amdhsa_float_denorm_mode_16_64 3
		.amdhsa_dx10_clamp 1
		.amdhsa_ieee_mode 1
		.amdhsa_fp16_overflow 0
		.amdhsa_tg_split 0
		.amdhsa_exception_fp_ieee_invalid_op 0
		.amdhsa_exception_fp_denorm_src 0
		.amdhsa_exception_fp_ieee_div_zero 0
		.amdhsa_exception_fp_ieee_overflow 0
		.amdhsa_exception_fp_ieee_underflow 0
		.amdhsa_exception_fp_ieee_inexact 0
		.amdhsa_exception_int_div_zero 0
	.end_amdhsa_kernel
	.section	.text._ZN7rocprim17ROCPRIM_400000_NS6detail17trampoline_kernelINS0_14default_configENS1_25partition_config_selectorILNS1_17partition_subalgoE1EjNS0_10empty_typeEbEEZZNS1_14partition_implILS5_1ELb0ES3_jN6thrust23THRUST_200600_302600_NS6detail15normal_iteratorINSA_10device_ptrIjEEEEPS6_NSA_18transform_iteratorI7is_evenIjESF_NSA_11use_defaultESK_EENS0_5tupleIJSF_NSA_16discard_iteratorISK_EEEEENSM_IJSG_SG_EEES6_PlJS6_EEE10hipError_tPvRmT3_T4_T5_T6_T7_T9_mT8_P12ihipStream_tbDpT10_ENKUlT_T0_E_clISt17integral_constantIbLb1EES1A_IbLb0EEEEDaS16_S17_EUlS16_E_NS1_11comp_targetILNS1_3genE10ELNS1_11target_archE1200ELNS1_3gpuE4ELNS1_3repE0EEENS1_30default_config_static_selectorELNS0_4arch9wavefront6targetE1EEEvT1_,"axG",@progbits,_ZN7rocprim17ROCPRIM_400000_NS6detail17trampoline_kernelINS0_14default_configENS1_25partition_config_selectorILNS1_17partition_subalgoE1EjNS0_10empty_typeEbEEZZNS1_14partition_implILS5_1ELb0ES3_jN6thrust23THRUST_200600_302600_NS6detail15normal_iteratorINSA_10device_ptrIjEEEEPS6_NSA_18transform_iteratorI7is_evenIjESF_NSA_11use_defaultESK_EENS0_5tupleIJSF_NSA_16discard_iteratorISK_EEEEENSM_IJSG_SG_EEES6_PlJS6_EEE10hipError_tPvRmT3_T4_T5_T6_T7_T9_mT8_P12ihipStream_tbDpT10_ENKUlT_T0_E_clISt17integral_constantIbLb1EES1A_IbLb0EEEEDaS16_S17_EUlS16_E_NS1_11comp_targetILNS1_3genE10ELNS1_11target_archE1200ELNS1_3gpuE4ELNS1_3repE0EEENS1_30default_config_static_selectorELNS0_4arch9wavefront6targetE1EEEvT1_,comdat
.Lfunc_end3024:
	.size	_ZN7rocprim17ROCPRIM_400000_NS6detail17trampoline_kernelINS0_14default_configENS1_25partition_config_selectorILNS1_17partition_subalgoE1EjNS0_10empty_typeEbEEZZNS1_14partition_implILS5_1ELb0ES3_jN6thrust23THRUST_200600_302600_NS6detail15normal_iteratorINSA_10device_ptrIjEEEEPS6_NSA_18transform_iteratorI7is_evenIjESF_NSA_11use_defaultESK_EENS0_5tupleIJSF_NSA_16discard_iteratorISK_EEEEENSM_IJSG_SG_EEES6_PlJS6_EEE10hipError_tPvRmT3_T4_T5_T6_T7_T9_mT8_P12ihipStream_tbDpT10_ENKUlT_T0_E_clISt17integral_constantIbLb1EES1A_IbLb0EEEEDaS16_S17_EUlS16_E_NS1_11comp_targetILNS1_3genE10ELNS1_11target_archE1200ELNS1_3gpuE4ELNS1_3repE0EEENS1_30default_config_static_selectorELNS0_4arch9wavefront6targetE1EEEvT1_, .Lfunc_end3024-_ZN7rocprim17ROCPRIM_400000_NS6detail17trampoline_kernelINS0_14default_configENS1_25partition_config_selectorILNS1_17partition_subalgoE1EjNS0_10empty_typeEbEEZZNS1_14partition_implILS5_1ELb0ES3_jN6thrust23THRUST_200600_302600_NS6detail15normal_iteratorINSA_10device_ptrIjEEEEPS6_NSA_18transform_iteratorI7is_evenIjESF_NSA_11use_defaultESK_EENS0_5tupleIJSF_NSA_16discard_iteratorISK_EEEEENSM_IJSG_SG_EEES6_PlJS6_EEE10hipError_tPvRmT3_T4_T5_T6_T7_T9_mT8_P12ihipStream_tbDpT10_ENKUlT_T0_E_clISt17integral_constantIbLb1EES1A_IbLb0EEEEDaS16_S17_EUlS16_E_NS1_11comp_targetILNS1_3genE10ELNS1_11target_archE1200ELNS1_3gpuE4ELNS1_3repE0EEENS1_30default_config_static_selectorELNS0_4arch9wavefront6targetE1EEEvT1_
                                        ; -- End function
	.section	.AMDGPU.csdata,"",@progbits
; Kernel info:
; codeLenInByte = 0
; NumSgprs: 6
; NumVgprs: 0
; NumAgprs: 0
; TotalNumVgprs: 0
; ScratchSize: 0
; MemoryBound: 0
; FloatMode: 240
; IeeeMode: 1
; LDSByteSize: 0 bytes/workgroup (compile time only)
; SGPRBlocks: 0
; VGPRBlocks: 0
; NumSGPRsForWavesPerEU: 6
; NumVGPRsForWavesPerEU: 1
; AccumOffset: 4
; Occupancy: 8
; WaveLimiterHint : 0
; COMPUTE_PGM_RSRC2:SCRATCH_EN: 0
; COMPUTE_PGM_RSRC2:USER_SGPR: 2
; COMPUTE_PGM_RSRC2:TRAP_HANDLER: 0
; COMPUTE_PGM_RSRC2:TGID_X_EN: 1
; COMPUTE_PGM_RSRC2:TGID_Y_EN: 0
; COMPUTE_PGM_RSRC2:TGID_Z_EN: 0
; COMPUTE_PGM_RSRC2:TIDIG_COMP_CNT: 0
; COMPUTE_PGM_RSRC3_GFX90A:ACCUM_OFFSET: 0
; COMPUTE_PGM_RSRC3_GFX90A:TG_SPLIT: 0
	.section	.text._ZN7rocprim17ROCPRIM_400000_NS6detail17trampoline_kernelINS0_14default_configENS1_25partition_config_selectorILNS1_17partition_subalgoE1EjNS0_10empty_typeEbEEZZNS1_14partition_implILS5_1ELb0ES3_jN6thrust23THRUST_200600_302600_NS6detail15normal_iteratorINSA_10device_ptrIjEEEEPS6_NSA_18transform_iteratorI7is_evenIjESF_NSA_11use_defaultESK_EENS0_5tupleIJSF_NSA_16discard_iteratorISK_EEEEENSM_IJSG_SG_EEES6_PlJS6_EEE10hipError_tPvRmT3_T4_T5_T6_T7_T9_mT8_P12ihipStream_tbDpT10_ENKUlT_T0_E_clISt17integral_constantIbLb1EES1A_IbLb0EEEEDaS16_S17_EUlS16_E_NS1_11comp_targetILNS1_3genE9ELNS1_11target_archE1100ELNS1_3gpuE3ELNS1_3repE0EEENS1_30default_config_static_selectorELNS0_4arch9wavefront6targetE1EEEvT1_,"axG",@progbits,_ZN7rocprim17ROCPRIM_400000_NS6detail17trampoline_kernelINS0_14default_configENS1_25partition_config_selectorILNS1_17partition_subalgoE1EjNS0_10empty_typeEbEEZZNS1_14partition_implILS5_1ELb0ES3_jN6thrust23THRUST_200600_302600_NS6detail15normal_iteratorINSA_10device_ptrIjEEEEPS6_NSA_18transform_iteratorI7is_evenIjESF_NSA_11use_defaultESK_EENS0_5tupleIJSF_NSA_16discard_iteratorISK_EEEEENSM_IJSG_SG_EEES6_PlJS6_EEE10hipError_tPvRmT3_T4_T5_T6_T7_T9_mT8_P12ihipStream_tbDpT10_ENKUlT_T0_E_clISt17integral_constantIbLb1EES1A_IbLb0EEEEDaS16_S17_EUlS16_E_NS1_11comp_targetILNS1_3genE9ELNS1_11target_archE1100ELNS1_3gpuE3ELNS1_3repE0EEENS1_30default_config_static_selectorELNS0_4arch9wavefront6targetE1EEEvT1_,comdat
	.protected	_ZN7rocprim17ROCPRIM_400000_NS6detail17trampoline_kernelINS0_14default_configENS1_25partition_config_selectorILNS1_17partition_subalgoE1EjNS0_10empty_typeEbEEZZNS1_14partition_implILS5_1ELb0ES3_jN6thrust23THRUST_200600_302600_NS6detail15normal_iteratorINSA_10device_ptrIjEEEEPS6_NSA_18transform_iteratorI7is_evenIjESF_NSA_11use_defaultESK_EENS0_5tupleIJSF_NSA_16discard_iteratorISK_EEEEENSM_IJSG_SG_EEES6_PlJS6_EEE10hipError_tPvRmT3_T4_T5_T6_T7_T9_mT8_P12ihipStream_tbDpT10_ENKUlT_T0_E_clISt17integral_constantIbLb1EES1A_IbLb0EEEEDaS16_S17_EUlS16_E_NS1_11comp_targetILNS1_3genE9ELNS1_11target_archE1100ELNS1_3gpuE3ELNS1_3repE0EEENS1_30default_config_static_selectorELNS0_4arch9wavefront6targetE1EEEvT1_ ; -- Begin function _ZN7rocprim17ROCPRIM_400000_NS6detail17trampoline_kernelINS0_14default_configENS1_25partition_config_selectorILNS1_17partition_subalgoE1EjNS0_10empty_typeEbEEZZNS1_14partition_implILS5_1ELb0ES3_jN6thrust23THRUST_200600_302600_NS6detail15normal_iteratorINSA_10device_ptrIjEEEEPS6_NSA_18transform_iteratorI7is_evenIjESF_NSA_11use_defaultESK_EENS0_5tupleIJSF_NSA_16discard_iteratorISK_EEEEENSM_IJSG_SG_EEES6_PlJS6_EEE10hipError_tPvRmT3_T4_T5_T6_T7_T9_mT8_P12ihipStream_tbDpT10_ENKUlT_T0_E_clISt17integral_constantIbLb1EES1A_IbLb0EEEEDaS16_S17_EUlS16_E_NS1_11comp_targetILNS1_3genE9ELNS1_11target_archE1100ELNS1_3gpuE3ELNS1_3repE0EEENS1_30default_config_static_selectorELNS0_4arch9wavefront6targetE1EEEvT1_
	.globl	_ZN7rocprim17ROCPRIM_400000_NS6detail17trampoline_kernelINS0_14default_configENS1_25partition_config_selectorILNS1_17partition_subalgoE1EjNS0_10empty_typeEbEEZZNS1_14partition_implILS5_1ELb0ES3_jN6thrust23THRUST_200600_302600_NS6detail15normal_iteratorINSA_10device_ptrIjEEEEPS6_NSA_18transform_iteratorI7is_evenIjESF_NSA_11use_defaultESK_EENS0_5tupleIJSF_NSA_16discard_iteratorISK_EEEEENSM_IJSG_SG_EEES6_PlJS6_EEE10hipError_tPvRmT3_T4_T5_T6_T7_T9_mT8_P12ihipStream_tbDpT10_ENKUlT_T0_E_clISt17integral_constantIbLb1EES1A_IbLb0EEEEDaS16_S17_EUlS16_E_NS1_11comp_targetILNS1_3genE9ELNS1_11target_archE1100ELNS1_3gpuE3ELNS1_3repE0EEENS1_30default_config_static_selectorELNS0_4arch9wavefront6targetE1EEEvT1_
	.p2align	8
	.type	_ZN7rocprim17ROCPRIM_400000_NS6detail17trampoline_kernelINS0_14default_configENS1_25partition_config_selectorILNS1_17partition_subalgoE1EjNS0_10empty_typeEbEEZZNS1_14partition_implILS5_1ELb0ES3_jN6thrust23THRUST_200600_302600_NS6detail15normal_iteratorINSA_10device_ptrIjEEEEPS6_NSA_18transform_iteratorI7is_evenIjESF_NSA_11use_defaultESK_EENS0_5tupleIJSF_NSA_16discard_iteratorISK_EEEEENSM_IJSG_SG_EEES6_PlJS6_EEE10hipError_tPvRmT3_T4_T5_T6_T7_T9_mT8_P12ihipStream_tbDpT10_ENKUlT_T0_E_clISt17integral_constantIbLb1EES1A_IbLb0EEEEDaS16_S17_EUlS16_E_NS1_11comp_targetILNS1_3genE9ELNS1_11target_archE1100ELNS1_3gpuE3ELNS1_3repE0EEENS1_30default_config_static_selectorELNS0_4arch9wavefront6targetE1EEEvT1_,@function
_ZN7rocprim17ROCPRIM_400000_NS6detail17trampoline_kernelINS0_14default_configENS1_25partition_config_selectorILNS1_17partition_subalgoE1EjNS0_10empty_typeEbEEZZNS1_14partition_implILS5_1ELb0ES3_jN6thrust23THRUST_200600_302600_NS6detail15normal_iteratorINSA_10device_ptrIjEEEEPS6_NSA_18transform_iteratorI7is_evenIjESF_NSA_11use_defaultESK_EENS0_5tupleIJSF_NSA_16discard_iteratorISK_EEEEENSM_IJSG_SG_EEES6_PlJS6_EEE10hipError_tPvRmT3_T4_T5_T6_T7_T9_mT8_P12ihipStream_tbDpT10_ENKUlT_T0_E_clISt17integral_constantIbLb1EES1A_IbLb0EEEEDaS16_S17_EUlS16_E_NS1_11comp_targetILNS1_3genE9ELNS1_11target_archE1100ELNS1_3gpuE3ELNS1_3repE0EEENS1_30default_config_static_selectorELNS0_4arch9wavefront6targetE1EEEvT1_: ; @_ZN7rocprim17ROCPRIM_400000_NS6detail17trampoline_kernelINS0_14default_configENS1_25partition_config_selectorILNS1_17partition_subalgoE1EjNS0_10empty_typeEbEEZZNS1_14partition_implILS5_1ELb0ES3_jN6thrust23THRUST_200600_302600_NS6detail15normal_iteratorINSA_10device_ptrIjEEEEPS6_NSA_18transform_iteratorI7is_evenIjESF_NSA_11use_defaultESK_EENS0_5tupleIJSF_NSA_16discard_iteratorISK_EEEEENSM_IJSG_SG_EEES6_PlJS6_EEE10hipError_tPvRmT3_T4_T5_T6_T7_T9_mT8_P12ihipStream_tbDpT10_ENKUlT_T0_E_clISt17integral_constantIbLb1EES1A_IbLb0EEEEDaS16_S17_EUlS16_E_NS1_11comp_targetILNS1_3genE9ELNS1_11target_archE1100ELNS1_3gpuE3ELNS1_3repE0EEENS1_30default_config_static_selectorELNS0_4arch9wavefront6targetE1EEEvT1_
; %bb.0:
	.section	.rodata,"a",@progbits
	.p2align	6, 0x0
	.amdhsa_kernel _ZN7rocprim17ROCPRIM_400000_NS6detail17trampoline_kernelINS0_14default_configENS1_25partition_config_selectorILNS1_17partition_subalgoE1EjNS0_10empty_typeEbEEZZNS1_14partition_implILS5_1ELb0ES3_jN6thrust23THRUST_200600_302600_NS6detail15normal_iteratorINSA_10device_ptrIjEEEEPS6_NSA_18transform_iteratorI7is_evenIjESF_NSA_11use_defaultESK_EENS0_5tupleIJSF_NSA_16discard_iteratorISK_EEEEENSM_IJSG_SG_EEES6_PlJS6_EEE10hipError_tPvRmT3_T4_T5_T6_T7_T9_mT8_P12ihipStream_tbDpT10_ENKUlT_T0_E_clISt17integral_constantIbLb1EES1A_IbLb0EEEEDaS16_S17_EUlS16_E_NS1_11comp_targetILNS1_3genE9ELNS1_11target_archE1100ELNS1_3gpuE3ELNS1_3repE0EEENS1_30default_config_static_selectorELNS0_4arch9wavefront6targetE1EEEvT1_
		.amdhsa_group_segment_fixed_size 0
		.amdhsa_private_segment_fixed_size 0
		.amdhsa_kernarg_size 136
		.amdhsa_user_sgpr_count 2
		.amdhsa_user_sgpr_dispatch_ptr 0
		.amdhsa_user_sgpr_queue_ptr 0
		.amdhsa_user_sgpr_kernarg_segment_ptr 1
		.amdhsa_user_sgpr_dispatch_id 0
		.amdhsa_user_sgpr_kernarg_preload_length 0
		.amdhsa_user_sgpr_kernarg_preload_offset 0
		.amdhsa_user_sgpr_private_segment_size 0
		.amdhsa_uses_dynamic_stack 0
		.amdhsa_enable_private_segment 0
		.amdhsa_system_sgpr_workgroup_id_x 1
		.amdhsa_system_sgpr_workgroup_id_y 0
		.amdhsa_system_sgpr_workgroup_id_z 0
		.amdhsa_system_sgpr_workgroup_info 0
		.amdhsa_system_vgpr_workitem_id 0
		.amdhsa_next_free_vgpr 1
		.amdhsa_next_free_sgpr 0
		.amdhsa_accum_offset 4
		.amdhsa_reserve_vcc 0
		.amdhsa_float_round_mode_32 0
		.amdhsa_float_round_mode_16_64 0
		.amdhsa_float_denorm_mode_32 3
		.amdhsa_float_denorm_mode_16_64 3
		.amdhsa_dx10_clamp 1
		.amdhsa_ieee_mode 1
		.amdhsa_fp16_overflow 0
		.amdhsa_tg_split 0
		.amdhsa_exception_fp_ieee_invalid_op 0
		.amdhsa_exception_fp_denorm_src 0
		.amdhsa_exception_fp_ieee_div_zero 0
		.amdhsa_exception_fp_ieee_overflow 0
		.amdhsa_exception_fp_ieee_underflow 0
		.amdhsa_exception_fp_ieee_inexact 0
		.amdhsa_exception_int_div_zero 0
	.end_amdhsa_kernel
	.section	.text._ZN7rocprim17ROCPRIM_400000_NS6detail17trampoline_kernelINS0_14default_configENS1_25partition_config_selectorILNS1_17partition_subalgoE1EjNS0_10empty_typeEbEEZZNS1_14partition_implILS5_1ELb0ES3_jN6thrust23THRUST_200600_302600_NS6detail15normal_iteratorINSA_10device_ptrIjEEEEPS6_NSA_18transform_iteratorI7is_evenIjESF_NSA_11use_defaultESK_EENS0_5tupleIJSF_NSA_16discard_iteratorISK_EEEEENSM_IJSG_SG_EEES6_PlJS6_EEE10hipError_tPvRmT3_T4_T5_T6_T7_T9_mT8_P12ihipStream_tbDpT10_ENKUlT_T0_E_clISt17integral_constantIbLb1EES1A_IbLb0EEEEDaS16_S17_EUlS16_E_NS1_11comp_targetILNS1_3genE9ELNS1_11target_archE1100ELNS1_3gpuE3ELNS1_3repE0EEENS1_30default_config_static_selectorELNS0_4arch9wavefront6targetE1EEEvT1_,"axG",@progbits,_ZN7rocprim17ROCPRIM_400000_NS6detail17trampoline_kernelINS0_14default_configENS1_25partition_config_selectorILNS1_17partition_subalgoE1EjNS0_10empty_typeEbEEZZNS1_14partition_implILS5_1ELb0ES3_jN6thrust23THRUST_200600_302600_NS6detail15normal_iteratorINSA_10device_ptrIjEEEEPS6_NSA_18transform_iteratorI7is_evenIjESF_NSA_11use_defaultESK_EENS0_5tupleIJSF_NSA_16discard_iteratorISK_EEEEENSM_IJSG_SG_EEES6_PlJS6_EEE10hipError_tPvRmT3_T4_T5_T6_T7_T9_mT8_P12ihipStream_tbDpT10_ENKUlT_T0_E_clISt17integral_constantIbLb1EES1A_IbLb0EEEEDaS16_S17_EUlS16_E_NS1_11comp_targetILNS1_3genE9ELNS1_11target_archE1100ELNS1_3gpuE3ELNS1_3repE0EEENS1_30default_config_static_selectorELNS0_4arch9wavefront6targetE1EEEvT1_,comdat
.Lfunc_end3025:
	.size	_ZN7rocprim17ROCPRIM_400000_NS6detail17trampoline_kernelINS0_14default_configENS1_25partition_config_selectorILNS1_17partition_subalgoE1EjNS0_10empty_typeEbEEZZNS1_14partition_implILS5_1ELb0ES3_jN6thrust23THRUST_200600_302600_NS6detail15normal_iteratorINSA_10device_ptrIjEEEEPS6_NSA_18transform_iteratorI7is_evenIjESF_NSA_11use_defaultESK_EENS0_5tupleIJSF_NSA_16discard_iteratorISK_EEEEENSM_IJSG_SG_EEES6_PlJS6_EEE10hipError_tPvRmT3_T4_T5_T6_T7_T9_mT8_P12ihipStream_tbDpT10_ENKUlT_T0_E_clISt17integral_constantIbLb1EES1A_IbLb0EEEEDaS16_S17_EUlS16_E_NS1_11comp_targetILNS1_3genE9ELNS1_11target_archE1100ELNS1_3gpuE3ELNS1_3repE0EEENS1_30default_config_static_selectorELNS0_4arch9wavefront6targetE1EEEvT1_, .Lfunc_end3025-_ZN7rocprim17ROCPRIM_400000_NS6detail17trampoline_kernelINS0_14default_configENS1_25partition_config_selectorILNS1_17partition_subalgoE1EjNS0_10empty_typeEbEEZZNS1_14partition_implILS5_1ELb0ES3_jN6thrust23THRUST_200600_302600_NS6detail15normal_iteratorINSA_10device_ptrIjEEEEPS6_NSA_18transform_iteratorI7is_evenIjESF_NSA_11use_defaultESK_EENS0_5tupleIJSF_NSA_16discard_iteratorISK_EEEEENSM_IJSG_SG_EEES6_PlJS6_EEE10hipError_tPvRmT3_T4_T5_T6_T7_T9_mT8_P12ihipStream_tbDpT10_ENKUlT_T0_E_clISt17integral_constantIbLb1EES1A_IbLb0EEEEDaS16_S17_EUlS16_E_NS1_11comp_targetILNS1_3genE9ELNS1_11target_archE1100ELNS1_3gpuE3ELNS1_3repE0EEENS1_30default_config_static_selectorELNS0_4arch9wavefront6targetE1EEEvT1_
                                        ; -- End function
	.section	.AMDGPU.csdata,"",@progbits
; Kernel info:
; codeLenInByte = 0
; NumSgprs: 6
; NumVgprs: 0
; NumAgprs: 0
; TotalNumVgprs: 0
; ScratchSize: 0
; MemoryBound: 0
; FloatMode: 240
; IeeeMode: 1
; LDSByteSize: 0 bytes/workgroup (compile time only)
; SGPRBlocks: 0
; VGPRBlocks: 0
; NumSGPRsForWavesPerEU: 6
; NumVGPRsForWavesPerEU: 1
; AccumOffset: 4
; Occupancy: 8
; WaveLimiterHint : 0
; COMPUTE_PGM_RSRC2:SCRATCH_EN: 0
; COMPUTE_PGM_RSRC2:USER_SGPR: 2
; COMPUTE_PGM_RSRC2:TRAP_HANDLER: 0
; COMPUTE_PGM_RSRC2:TGID_X_EN: 1
; COMPUTE_PGM_RSRC2:TGID_Y_EN: 0
; COMPUTE_PGM_RSRC2:TGID_Z_EN: 0
; COMPUTE_PGM_RSRC2:TIDIG_COMP_CNT: 0
; COMPUTE_PGM_RSRC3_GFX90A:ACCUM_OFFSET: 0
; COMPUTE_PGM_RSRC3_GFX90A:TG_SPLIT: 0
	.section	.text._ZN7rocprim17ROCPRIM_400000_NS6detail17trampoline_kernelINS0_14default_configENS1_25partition_config_selectorILNS1_17partition_subalgoE1EjNS0_10empty_typeEbEEZZNS1_14partition_implILS5_1ELb0ES3_jN6thrust23THRUST_200600_302600_NS6detail15normal_iteratorINSA_10device_ptrIjEEEEPS6_NSA_18transform_iteratorI7is_evenIjESF_NSA_11use_defaultESK_EENS0_5tupleIJSF_NSA_16discard_iteratorISK_EEEEENSM_IJSG_SG_EEES6_PlJS6_EEE10hipError_tPvRmT3_T4_T5_T6_T7_T9_mT8_P12ihipStream_tbDpT10_ENKUlT_T0_E_clISt17integral_constantIbLb1EES1A_IbLb0EEEEDaS16_S17_EUlS16_E_NS1_11comp_targetILNS1_3genE8ELNS1_11target_archE1030ELNS1_3gpuE2ELNS1_3repE0EEENS1_30default_config_static_selectorELNS0_4arch9wavefront6targetE1EEEvT1_,"axG",@progbits,_ZN7rocprim17ROCPRIM_400000_NS6detail17trampoline_kernelINS0_14default_configENS1_25partition_config_selectorILNS1_17partition_subalgoE1EjNS0_10empty_typeEbEEZZNS1_14partition_implILS5_1ELb0ES3_jN6thrust23THRUST_200600_302600_NS6detail15normal_iteratorINSA_10device_ptrIjEEEEPS6_NSA_18transform_iteratorI7is_evenIjESF_NSA_11use_defaultESK_EENS0_5tupleIJSF_NSA_16discard_iteratorISK_EEEEENSM_IJSG_SG_EEES6_PlJS6_EEE10hipError_tPvRmT3_T4_T5_T6_T7_T9_mT8_P12ihipStream_tbDpT10_ENKUlT_T0_E_clISt17integral_constantIbLb1EES1A_IbLb0EEEEDaS16_S17_EUlS16_E_NS1_11comp_targetILNS1_3genE8ELNS1_11target_archE1030ELNS1_3gpuE2ELNS1_3repE0EEENS1_30default_config_static_selectorELNS0_4arch9wavefront6targetE1EEEvT1_,comdat
	.protected	_ZN7rocprim17ROCPRIM_400000_NS6detail17trampoline_kernelINS0_14default_configENS1_25partition_config_selectorILNS1_17partition_subalgoE1EjNS0_10empty_typeEbEEZZNS1_14partition_implILS5_1ELb0ES3_jN6thrust23THRUST_200600_302600_NS6detail15normal_iteratorINSA_10device_ptrIjEEEEPS6_NSA_18transform_iteratorI7is_evenIjESF_NSA_11use_defaultESK_EENS0_5tupleIJSF_NSA_16discard_iteratorISK_EEEEENSM_IJSG_SG_EEES6_PlJS6_EEE10hipError_tPvRmT3_T4_T5_T6_T7_T9_mT8_P12ihipStream_tbDpT10_ENKUlT_T0_E_clISt17integral_constantIbLb1EES1A_IbLb0EEEEDaS16_S17_EUlS16_E_NS1_11comp_targetILNS1_3genE8ELNS1_11target_archE1030ELNS1_3gpuE2ELNS1_3repE0EEENS1_30default_config_static_selectorELNS0_4arch9wavefront6targetE1EEEvT1_ ; -- Begin function _ZN7rocprim17ROCPRIM_400000_NS6detail17trampoline_kernelINS0_14default_configENS1_25partition_config_selectorILNS1_17partition_subalgoE1EjNS0_10empty_typeEbEEZZNS1_14partition_implILS5_1ELb0ES3_jN6thrust23THRUST_200600_302600_NS6detail15normal_iteratorINSA_10device_ptrIjEEEEPS6_NSA_18transform_iteratorI7is_evenIjESF_NSA_11use_defaultESK_EENS0_5tupleIJSF_NSA_16discard_iteratorISK_EEEEENSM_IJSG_SG_EEES6_PlJS6_EEE10hipError_tPvRmT3_T4_T5_T6_T7_T9_mT8_P12ihipStream_tbDpT10_ENKUlT_T0_E_clISt17integral_constantIbLb1EES1A_IbLb0EEEEDaS16_S17_EUlS16_E_NS1_11comp_targetILNS1_3genE8ELNS1_11target_archE1030ELNS1_3gpuE2ELNS1_3repE0EEENS1_30default_config_static_selectorELNS0_4arch9wavefront6targetE1EEEvT1_
	.globl	_ZN7rocprim17ROCPRIM_400000_NS6detail17trampoline_kernelINS0_14default_configENS1_25partition_config_selectorILNS1_17partition_subalgoE1EjNS0_10empty_typeEbEEZZNS1_14partition_implILS5_1ELb0ES3_jN6thrust23THRUST_200600_302600_NS6detail15normal_iteratorINSA_10device_ptrIjEEEEPS6_NSA_18transform_iteratorI7is_evenIjESF_NSA_11use_defaultESK_EENS0_5tupleIJSF_NSA_16discard_iteratorISK_EEEEENSM_IJSG_SG_EEES6_PlJS6_EEE10hipError_tPvRmT3_T4_T5_T6_T7_T9_mT8_P12ihipStream_tbDpT10_ENKUlT_T0_E_clISt17integral_constantIbLb1EES1A_IbLb0EEEEDaS16_S17_EUlS16_E_NS1_11comp_targetILNS1_3genE8ELNS1_11target_archE1030ELNS1_3gpuE2ELNS1_3repE0EEENS1_30default_config_static_selectorELNS0_4arch9wavefront6targetE1EEEvT1_
	.p2align	8
	.type	_ZN7rocprim17ROCPRIM_400000_NS6detail17trampoline_kernelINS0_14default_configENS1_25partition_config_selectorILNS1_17partition_subalgoE1EjNS0_10empty_typeEbEEZZNS1_14partition_implILS5_1ELb0ES3_jN6thrust23THRUST_200600_302600_NS6detail15normal_iteratorINSA_10device_ptrIjEEEEPS6_NSA_18transform_iteratorI7is_evenIjESF_NSA_11use_defaultESK_EENS0_5tupleIJSF_NSA_16discard_iteratorISK_EEEEENSM_IJSG_SG_EEES6_PlJS6_EEE10hipError_tPvRmT3_T4_T5_T6_T7_T9_mT8_P12ihipStream_tbDpT10_ENKUlT_T0_E_clISt17integral_constantIbLb1EES1A_IbLb0EEEEDaS16_S17_EUlS16_E_NS1_11comp_targetILNS1_3genE8ELNS1_11target_archE1030ELNS1_3gpuE2ELNS1_3repE0EEENS1_30default_config_static_selectorELNS0_4arch9wavefront6targetE1EEEvT1_,@function
_ZN7rocprim17ROCPRIM_400000_NS6detail17trampoline_kernelINS0_14default_configENS1_25partition_config_selectorILNS1_17partition_subalgoE1EjNS0_10empty_typeEbEEZZNS1_14partition_implILS5_1ELb0ES3_jN6thrust23THRUST_200600_302600_NS6detail15normal_iteratorINSA_10device_ptrIjEEEEPS6_NSA_18transform_iteratorI7is_evenIjESF_NSA_11use_defaultESK_EENS0_5tupleIJSF_NSA_16discard_iteratorISK_EEEEENSM_IJSG_SG_EEES6_PlJS6_EEE10hipError_tPvRmT3_T4_T5_T6_T7_T9_mT8_P12ihipStream_tbDpT10_ENKUlT_T0_E_clISt17integral_constantIbLb1EES1A_IbLb0EEEEDaS16_S17_EUlS16_E_NS1_11comp_targetILNS1_3genE8ELNS1_11target_archE1030ELNS1_3gpuE2ELNS1_3repE0EEENS1_30default_config_static_selectorELNS0_4arch9wavefront6targetE1EEEvT1_: ; @_ZN7rocprim17ROCPRIM_400000_NS6detail17trampoline_kernelINS0_14default_configENS1_25partition_config_selectorILNS1_17partition_subalgoE1EjNS0_10empty_typeEbEEZZNS1_14partition_implILS5_1ELb0ES3_jN6thrust23THRUST_200600_302600_NS6detail15normal_iteratorINSA_10device_ptrIjEEEEPS6_NSA_18transform_iteratorI7is_evenIjESF_NSA_11use_defaultESK_EENS0_5tupleIJSF_NSA_16discard_iteratorISK_EEEEENSM_IJSG_SG_EEES6_PlJS6_EEE10hipError_tPvRmT3_T4_T5_T6_T7_T9_mT8_P12ihipStream_tbDpT10_ENKUlT_T0_E_clISt17integral_constantIbLb1EES1A_IbLb0EEEEDaS16_S17_EUlS16_E_NS1_11comp_targetILNS1_3genE8ELNS1_11target_archE1030ELNS1_3gpuE2ELNS1_3repE0EEENS1_30default_config_static_selectorELNS0_4arch9wavefront6targetE1EEEvT1_
; %bb.0:
	.section	.rodata,"a",@progbits
	.p2align	6, 0x0
	.amdhsa_kernel _ZN7rocprim17ROCPRIM_400000_NS6detail17trampoline_kernelINS0_14default_configENS1_25partition_config_selectorILNS1_17partition_subalgoE1EjNS0_10empty_typeEbEEZZNS1_14partition_implILS5_1ELb0ES3_jN6thrust23THRUST_200600_302600_NS6detail15normal_iteratorINSA_10device_ptrIjEEEEPS6_NSA_18transform_iteratorI7is_evenIjESF_NSA_11use_defaultESK_EENS0_5tupleIJSF_NSA_16discard_iteratorISK_EEEEENSM_IJSG_SG_EEES6_PlJS6_EEE10hipError_tPvRmT3_T4_T5_T6_T7_T9_mT8_P12ihipStream_tbDpT10_ENKUlT_T0_E_clISt17integral_constantIbLb1EES1A_IbLb0EEEEDaS16_S17_EUlS16_E_NS1_11comp_targetILNS1_3genE8ELNS1_11target_archE1030ELNS1_3gpuE2ELNS1_3repE0EEENS1_30default_config_static_selectorELNS0_4arch9wavefront6targetE1EEEvT1_
		.amdhsa_group_segment_fixed_size 0
		.amdhsa_private_segment_fixed_size 0
		.amdhsa_kernarg_size 136
		.amdhsa_user_sgpr_count 2
		.amdhsa_user_sgpr_dispatch_ptr 0
		.amdhsa_user_sgpr_queue_ptr 0
		.amdhsa_user_sgpr_kernarg_segment_ptr 1
		.amdhsa_user_sgpr_dispatch_id 0
		.amdhsa_user_sgpr_kernarg_preload_length 0
		.amdhsa_user_sgpr_kernarg_preload_offset 0
		.amdhsa_user_sgpr_private_segment_size 0
		.amdhsa_uses_dynamic_stack 0
		.amdhsa_enable_private_segment 0
		.amdhsa_system_sgpr_workgroup_id_x 1
		.amdhsa_system_sgpr_workgroup_id_y 0
		.amdhsa_system_sgpr_workgroup_id_z 0
		.amdhsa_system_sgpr_workgroup_info 0
		.amdhsa_system_vgpr_workitem_id 0
		.amdhsa_next_free_vgpr 1
		.amdhsa_next_free_sgpr 0
		.amdhsa_accum_offset 4
		.amdhsa_reserve_vcc 0
		.amdhsa_float_round_mode_32 0
		.amdhsa_float_round_mode_16_64 0
		.amdhsa_float_denorm_mode_32 3
		.amdhsa_float_denorm_mode_16_64 3
		.amdhsa_dx10_clamp 1
		.amdhsa_ieee_mode 1
		.amdhsa_fp16_overflow 0
		.amdhsa_tg_split 0
		.amdhsa_exception_fp_ieee_invalid_op 0
		.amdhsa_exception_fp_denorm_src 0
		.amdhsa_exception_fp_ieee_div_zero 0
		.amdhsa_exception_fp_ieee_overflow 0
		.amdhsa_exception_fp_ieee_underflow 0
		.amdhsa_exception_fp_ieee_inexact 0
		.amdhsa_exception_int_div_zero 0
	.end_amdhsa_kernel
	.section	.text._ZN7rocprim17ROCPRIM_400000_NS6detail17trampoline_kernelINS0_14default_configENS1_25partition_config_selectorILNS1_17partition_subalgoE1EjNS0_10empty_typeEbEEZZNS1_14partition_implILS5_1ELb0ES3_jN6thrust23THRUST_200600_302600_NS6detail15normal_iteratorINSA_10device_ptrIjEEEEPS6_NSA_18transform_iteratorI7is_evenIjESF_NSA_11use_defaultESK_EENS0_5tupleIJSF_NSA_16discard_iteratorISK_EEEEENSM_IJSG_SG_EEES6_PlJS6_EEE10hipError_tPvRmT3_T4_T5_T6_T7_T9_mT8_P12ihipStream_tbDpT10_ENKUlT_T0_E_clISt17integral_constantIbLb1EES1A_IbLb0EEEEDaS16_S17_EUlS16_E_NS1_11comp_targetILNS1_3genE8ELNS1_11target_archE1030ELNS1_3gpuE2ELNS1_3repE0EEENS1_30default_config_static_selectorELNS0_4arch9wavefront6targetE1EEEvT1_,"axG",@progbits,_ZN7rocprim17ROCPRIM_400000_NS6detail17trampoline_kernelINS0_14default_configENS1_25partition_config_selectorILNS1_17partition_subalgoE1EjNS0_10empty_typeEbEEZZNS1_14partition_implILS5_1ELb0ES3_jN6thrust23THRUST_200600_302600_NS6detail15normal_iteratorINSA_10device_ptrIjEEEEPS6_NSA_18transform_iteratorI7is_evenIjESF_NSA_11use_defaultESK_EENS0_5tupleIJSF_NSA_16discard_iteratorISK_EEEEENSM_IJSG_SG_EEES6_PlJS6_EEE10hipError_tPvRmT3_T4_T5_T6_T7_T9_mT8_P12ihipStream_tbDpT10_ENKUlT_T0_E_clISt17integral_constantIbLb1EES1A_IbLb0EEEEDaS16_S17_EUlS16_E_NS1_11comp_targetILNS1_3genE8ELNS1_11target_archE1030ELNS1_3gpuE2ELNS1_3repE0EEENS1_30default_config_static_selectorELNS0_4arch9wavefront6targetE1EEEvT1_,comdat
.Lfunc_end3026:
	.size	_ZN7rocprim17ROCPRIM_400000_NS6detail17trampoline_kernelINS0_14default_configENS1_25partition_config_selectorILNS1_17partition_subalgoE1EjNS0_10empty_typeEbEEZZNS1_14partition_implILS5_1ELb0ES3_jN6thrust23THRUST_200600_302600_NS6detail15normal_iteratorINSA_10device_ptrIjEEEEPS6_NSA_18transform_iteratorI7is_evenIjESF_NSA_11use_defaultESK_EENS0_5tupleIJSF_NSA_16discard_iteratorISK_EEEEENSM_IJSG_SG_EEES6_PlJS6_EEE10hipError_tPvRmT3_T4_T5_T6_T7_T9_mT8_P12ihipStream_tbDpT10_ENKUlT_T0_E_clISt17integral_constantIbLb1EES1A_IbLb0EEEEDaS16_S17_EUlS16_E_NS1_11comp_targetILNS1_3genE8ELNS1_11target_archE1030ELNS1_3gpuE2ELNS1_3repE0EEENS1_30default_config_static_selectorELNS0_4arch9wavefront6targetE1EEEvT1_, .Lfunc_end3026-_ZN7rocprim17ROCPRIM_400000_NS6detail17trampoline_kernelINS0_14default_configENS1_25partition_config_selectorILNS1_17partition_subalgoE1EjNS0_10empty_typeEbEEZZNS1_14partition_implILS5_1ELb0ES3_jN6thrust23THRUST_200600_302600_NS6detail15normal_iteratorINSA_10device_ptrIjEEEEPS6_NSA_18transform_iteratorI7is_evenIjESF_NSA_11use_defaultESK_EENS0_5tupleIJSF_NSA_16discard_iteratorISK_EEEEENSM_IJSG_SG_EEES6_PlJS6_EEE10hipError_tPvRmT3_T4_T5_T6_T7_T9_mT8_P12ihipStream_tbDpT10_ENKUlT_T0_E_clISt17integral_constantIbLb1EES1A_IbLb0EEEEDaS16_S17_EUlS16_E_NS1_11comp_targetILNS1_3genE8ELNS1_11target_archE1030ELNS1_3gpuE2ELNS1_3repE0EEENS1_30default_config_static_selectorELNS0_4arch9wavefront6targetE1EEEvT1_
                                        ; -- End function
	.section	.AMDGPU.csdata,"",@progbits
; Kernel info:
; codeLenInByte = 0
; NumSgprs: 6
; NumVgprs: 0
; NumAgprs: 0
; TotalNumVgprs: 0
; ScratchSize: 0
; MemoryBound: 0
; FloatMode: 240
; IeeeMode: 1
; LDSByteSize: 0 bytes/workgroup (compile time only)
; SGPRBlocks: 0
; VGPRBlocks: 0
; NumSGPRsForWavesPerEU: 6
; NumVGPRsForWavesPerEU: 1
; AccumOffset: 4
; Occupancy: 8
; WaveLimiterHint : 0
; COMPUTE_PGM_RSRC2:SCRATCH_EN: 0
; COMPUTE_PGM_RSRC2:USER_SGPR: 2
; COMPUTE_PGM_RSRC2:TRAP_HANDLER: 0
; COMPUTE_PGM_RSRC2:TGID_X_EN: 1
; COMPUTE_PGM_RSRC2:TGID_Y_EN: 0
; COMPUTE_PGM_RSRC2:TGID_Z_EN: 0
; COMPUTE_PGM_RSRC2:TIDIG_COMP_CNT: 0
; COMPUTE_PGM_RSRC3_GFX90A:ACCUM_OFFSET: 0
; COMPUTE_PGM_RSRC3_GFX90A:TG_SPLIT: 0
	.section	.text._ZN7rocprim17ROCPRIM_400000_NS6detail17trampoline_kernelINS0_14default_configENS1_25partition_config_selectorILNS1_17partition_subalgoE1EjNS0_10empty_typeEbEEZZNS1_14partition_implILS5_1ELb0ES3_jN6thrust23THRUST_200600_302600_NS6detail15normal_iteratorINSA_10device_ptrIjEEEEPS6_NSA_18transform_iteratorI7is_evenIjESF_NSA_11use_defaultESK_EENS0_5tupleIJSF_NSA_16discard_iteratorISK_EEEEENSM_IJSG_SG_EEES6_PlJS6_EEE10hipError_tPvRmT3_T4_T5_T6_T7_T9_mT8_P12ihipStream_tbDpT10_ENKUlT_T0_E_clISt17integral_constantIbLb0EES1A_IbLb1EEEEDaS16_S17_EUlS16_E_NS1_11comp_targetILNS1_3genE0ELNS1_11target_archE4294967295ELNS1_3gpuE0ELNS1_3repE0EEENS1_30default_config_static_selectorELNS0_4arch9wavefront6targetE1EEEvT1_,"axG",@progbits,_ZN7rocprim17ROCPRIM_400000_NS6detail17trampoline_kernelINS0_14default_configENS1_25partition_config_selectorILNS1_17partition_subalgoE1EjNS0_10empty_typeEbEEZZNS1_14partition_implILS5_1ELb0ES3_jN6thrust23THRUST_200600_302600_NS6detail15normal_iteratorINSA_10device_ptrIjEEEEPS6_NSA_18transform_iteratorI7is_evenIjESF_NSA_11use_defaultESK_EENS0_5tupleIJSF_NSA_16discard_iteratorISK_EEEEENSM_IJSG_SG_EEES6_PlJS6_EEE10hipError_tPvRmT3_T4_T5_T6_T7_T9_mT8_P12ihipStream_tbDpT10_ENKUlT_T0_E_clISt17integral_constantIbLb0EES1A_IbLb1EEEEDaS16_S17_EUlS16_E_NS1_11comp_targetILNS1_3genE0ELNS1_11target_archE4294967295ELNS1_3gpuE0ELNS1_3repE0EEENS1_30default_config_static_selectorELNS0_4arch9wavefront6targetE1EEEvT1_,comdat
	.protected	_ZN7rocprim17ROCPRIM_400000_NS6detail17trampoline_kernelINS0_14default_configENS1_25partition_config_selectorILNS1_17partition_subalgoE1EjNS0_10empty_typeEbEEZZNS1_14partition_implILS5_1ELb0ES3_jN6thrust23THRUST_200600_302600_NS6detail15normal_iteratorINSA_10device_ptrIjEEEEPS6_NSA_18transform_iteratorI7is_evenIjESF_NSA_11use_defaultESK_EENS0_5tupleIJSF_NSA_16discard_iteratorISK_EEEEENSM_IJSG_SG_EEES6_PlJS6_EEE10hipError_tPvRmT3_T4_T5_T6_T7_T9_mT8_P12ihipStream_tbDpT10_ENKUlT_T0_E_clISt17integral_constantIbLb0EES1A_IbLb1EEEEDaS16_S17_EUlS16_E_NS1_11comp_targetILNS1_3genE0ELNS1_11target_archE4294967295ELNS1_3gpuE0ELNS1_3repE0EEENS1_30default_config_static_selectorELNS0_4arch9wavefront6targetE1EEEvT1_ ; -- Begin function _ZN7rocprim17ROCPRIM_400000_NS6detail17trampoline_kernelINS0_14default_configENS1_25partition_config_selectorILNS1_17partition_subalgoE1EjNS0_10empty_typeEbEEZZNS1_14partition_implILS5_1ELb0ES3_jN6thrust23THRUST_200600_302600_NS6detail15normal_iteratorINSA_10device_ptrIjEEEEPS6_NSA_18transform_iteratorI7is_evenIjESF_NSA_11use_defaultESK_EENS0_5tupleIJSF_NSA_16discard_iteratorISK_EEEEENSM_IJSG_SG_EEES6_PlJS6_EEE10hipError_tPvRmT3_T4_T5_T6_T7_T9_mT8_P12ihipStream_tbDpT10_ENKUlT_T0_E_clISt17integral_constantIbLb0EES1A_IbLb1EEEEDaS16_S17_EUlS16_E_NS1_11comp_targetILNS1_3genE0ELNS1_11target_archE4294967295ELNS1_3gpuE0ELNS1_3repE0EEENS1_30default_config_static_selectorELNS0_4arch9wavefront6targetE1EEEvT1_
	.globl	_ZN7rocprim17ROCPRIM_400000_NS6detail17trampoline_kernelINS0_14default_configENS1_25partition_config_selectorILNS1_17partition_subalgoE1EjNS0_10empty_typeEbEEZZNS1_14partition_implILS5_1ELb0ES3_jN6thrust23THRUST_200600_302600_NS6detail15normal_iteratorINSA_10device_ptrIjEEEEPS6_NSA_18transform_iteratorI7is_evenIjESF_NSA_11use_defaultESK_EENS0_5tupleIJSF_NSA_16discard_iteratorISK_EEEEENSM_IJSG_SG_EEES6_PlJS6_EEE10hipError_tPvRmT3_T4_T5_T6_T7_T9_mT8_P12ihipStream_tbDpT10_ENKUlT_T0_E_clISt17integral_constantIbLb0EES1A_IbLb1EEEEDaS16_S17_EUlS16_E_NS1_11comp_targetILNS1_3genE0ELNS1_11target_archE4294967295ELNS1_3gpuE0ELNS1_3repE0EEENS1_30default_config_static_selectorELNS0_4arch9wavefront6targetE1EEEvT1_
	.p2align	8
	.type	_ZN7rocprim17ROCPRIM_400000_NS6detail17trampoline_kernelINS0_14default_configENS1_25partition_config_selectorILNS1_17partition_subalgoE1EjNS0_10empty_typeEbEEZZNS1_14partition_implILS5_1ELb0ES3_jN6thrust23THRUST_200600_302600_NS6detail15normal_iteratorINSA_10device_ptrIjEEEEPS6_NSA_18transform_iteratorI7is_evenIjESF_NSA_11use_defaultESK_EENS0_5tupleIJSF_NSA_16discard_iteratorISK_EEEEENSM_IJSG_SG_EEES6_PlJS6_EEE10hipError_tPvRmT3_T4_T5_T6_T7_T9_mT8_P12ihipStream_tbDpT10_ENKUlT_T0_E_clISt17integral_constantIbLb0EES1A_IbLb1EEEEDaS16_S17_EUlS16_E_NS1_11comp_targetILNS1_3genE0ELNS1_11target_archE4294967295ELNS1_3gpuE0ELNS1_3repE0EEENS1_30default_config_static_selectorELNS0_4arch9wavefront6targetE1EEEvT1_,@function
_ZN7rocprim17ROCPRIM_400000_NS6detail17trampoline_kernelINS0_14default_configENS1_25partition_config_selectorILNS1_17partition_subalgoE1EjNS0_10empty_typeEbEEZZNS1_14partition_implILS5_1ELb0ES3_jN6thrust23THRUST_200600_302600_NS6detail15normal_iteratorINSA_10device_ptrIjEEEEPS6_NSA_18transform_iteratorI7is_evenIjESF_NSA_11use_defaultESK_EENS0_5tupleIJSF_NSA_16discard_iteratorISK_EEEEENSM_IJSG_SG_EEES6_PlJS6_EEE10hipError_tPvRmT3_T4_T5_T6_T7_T9_mT8_P12ihipStream_tbDpT10_ENKUlT_T0_E_clISt17integral_constantIbLb0EES1A_IbLb1EEEEDaS16_S17_EUlS16_E_NS1_11comp_targetILNS1_3genE0ELNS1_11target_archE4294967295ELNS1_3gpuE0ELNS1_3repE0EEENS1_30default_config_static_selectorELNS0_4arch9wavefront6targetE1EEEvT1_: ; @_ZN7rocprim17ROCPRIM_400000_NS6detail17trampoline_kernelINS0_14default_configENS1_25partition_config_selectorILNS1_17partition_subalgoE1EjNS0_10empty_typeEbEEZZNS1_14partition_implILS5_1ELb0ES3_jN6thrust23THRUST_200600_302600_NS6detail15normal_iteratorINSA_10device_ptrIjEEEEPS6_NSA_18transform_iteratorI7is_evenIjESF_NSA_11use_defaultESK_EENS0_5tupleIJSF_NSA_16discard_iteratorISK_EEEEENSM_IJSG_SG_EEES6_PlJS6_EEE10hipError_tPvRmT3_T4_T5_T6_T7_T9_mT8_P12ihipStream_tbDpT10_ENKUlT_T0_E_clISt17integral_constantIbLb0EES1A_IbLb1EEEEDaS16_S17_EUlS16_E_NS1_11comp_targetILNS1_3genE0ELNS1_11target_archE4294967295ELNS1_3gpuE0ELNS1_3repE0EEENS1_30default_config_static_selectorELNS0_4arch9wavefront6targetE1EEEvT1_
; %bb.0:
	.section	.rodata,"a",@progbits
	.p2align	6, 0x0
	.amdhsa_kernel _ZN7rocprim17ROCPRIM_400000_NS6detail17trampoline_kernelINS0_14default_configENS1_25partition_config_selectorILNS1_17partition_subalgoE1EjNS0_10empty_typeEbEEZZNS1_14partition_implILS5_1ELb0ES3_jN6thrust23THRUST_200600_302600_NS6detail15normal_iteratorINSA_10device_ptrIjEEEEPS6_NSA_18transform_iteratorI7is_evenIjESF_NSA_11use_defaultESK_EENS0_5tupleIJSF_NSA_16discard_iteratorISK_EEEEENSM_IJSG_SG_EEES6_PlJS6_EEE10hipError_tPvRmT3_T4_T5_T6_T7_T9_mT8_P12ihipStream_tbDpT10_ENKUlT_T0_E_clISt17integral_constantIbLb0EES1A_IbLb1EEEEDaS16_S17_EUlS16_E_NS1_11comp_targetILNS1_3genE0ELNS1_11target_archE4294967295ELNS1_3gpuE0ELNS1_3repE0EEENS1_30default_config_static_selectorELNS0_4arch9wavefront6targetE1EEEvT1_
		.amdhsa_group_segment_fixed_size 0
		.amdhsa_private_segment_fixed_size 0
		.amdhsa_kernarg_size 152
		.amdhsa_user_sgpr_count 2
		.amdhsa_user_sgpr_dispatch_ptr 0
		.amdhsa_user_sgpr_queue_ptr 0
		.amdhsa_user_sgpr_kernarg_segment_ptr 1
		.amdhsa_user_sgpr_dispatch_id 0
		.amdhsa_user_sgpr_kernarg_preload_length 0
		.amdhsa_user_sgpr_kernarg_preload_offset 0
		.amdhsa_user_sgpr_private_segment_size 0
		.amdhsa_uses_dynamic_stack 0
		.amdhsa_enable_private_segment 0
		.amdhsa_system_sgpr_workgroup_id_x 1
		.amdhsa_system_sgpr_workgroup_id_y 0
		.amdhsa_system_sgpr_workgroup_id_z 0
		.amdhsa_system_sgpr_workgroup_info 0
		.amdhsa_system_vgpr_workitem_id 0
		.amdhsa_next_free_vgpr 1
		.amdhsa_next_free_sgpr 0
		.amdhsa_accum_offset 4
		.amdhsa_reserve_vcc 0
		.amdhsa_float_round_mode_32 0
		.amdhsa_float_round_mode_16_64 0
		.amdhsa_float_denorm_mode_32 3
		.amdhsa_float_denorm_mode_16_64 3
		.amdhsa_dx10_clamp 1
		.amdhsa_ieee_mode 1
		.amdhsa_fp16_overflow 0
		.amdhsa_tg_split 0
		.amdhsa_exception_fp_ieee_invalid_op 0
		.amdhsa_exception_fp_denorm_src 0
		.amdhsa_exception_fp_ieee_div_zero 0
		.amdhsa_exception_fp_ieee_overflow 0
		.amdhsa_exception_fp_ieee_underflow 0
		.amdhsa_exception_fp_ieee_inexact 0
		.amdhsa_exception_int_div_zero 0
	.end_amdhsa_kernel
	.section	.text._ZN7rocprim17ROCPRIM_400000_NS6detail17trampoline_kernelINS0_14default_configENS1_25partition_config_selectorILNS1_17partition_subalgoE1EjNS0_10empty_typeEbEEZZNS1_14partition_implILS5_1ELb0ES3_jN6thrust23THRUST_200600_302600_NS6detail15normal_iteratorINSA_10device_ptrIjEEEEPS6_NSA_18transform_iteratorI7is_evenIjESF_NSA_11use_defaultESK_EENS0_5tupleIJSF_NSA_16discard_iteratorISK_EEEEENSM_IJSG_SG_EEES6_PlJS6_EEE10hipError_tPvRmT3_T4_T5_T6_T7_T9_mT8_P12ihipStream_tbDpT10_ENKUlT_T0_E_clISt17integral_constantIbLb0EES1A_IbLb1EEEEDaS16_S17_EUlS16_E_NS1_11comp_targetILNS1_3genE0ELNS1_11target_archE4294967295ELNS1_3gpuE0ELNS1_3repE0EEENS1_30default_config_static_selectorELNS0_4arch9wavefront6targetE1EEEvT1_,"axG",@progbits,_ZN7rocprim17ROCPRIM_400000_NS6detail17trampoline_kernelINS0_14default_configENS1_25partition_config_selectorILNS1_17partition_subalgoE1EjNS0_10empty_typeEbEEZZNS1_14partition_implILS5_1ELb0ES3_jN6thrust23THRUST_200600_302600_NS6detail15normal_iteratorINSA_10device_ptrIjEEEEPS6_NSA_18transform_iteratorI7is_evenIjESF_NSA_11use_defaultESK_EENS0_5tupleIJSF_NSA_16discard_iteratorISK_EEEEENSM_IJSG_SG_EEES6_PlJS6_EEE10hipError_tPvRmT3_T4_T5_T6_T7_T9_mT8_P12ihipStream_tbDpT10_ENKUlT_T0_E_clISt17integral_constantIbLb0EES1A_IbLb1EEEEDaS16_S17_EUlS16_E_NS1_11comp_targetILNS1_3genE0ELNS1_11target_archE4294967295ELNS1_3gpuE0ELNS1_3repE0EEENS1_30default_config_static_selectorELNS0_4arch9wavefront6targetE1EEEvT1_,comdat
.Lfunc_end3027:
	.size	_ZN7rocprim17ROCPRIM_400000_NS6detail17trampoline_kernelINS0_14default_configENS1_25partition_config_selectorILNS1_17partition_subalgoE1EjNS0_10empty_typeEbEEZZNS1_14partition_implILS5_1ELb0ES3_jN6thrust23THRUST_200600_302600_NS6detail15normal_iteratorINSA_10device_ptrIjEEEEPS6_NSA_18transform_iteratorI7is_evenIjESF_NSA_11use_defaultESK_EENS0_5tupleIJSF_NSA_16discard_iteratorISK_EEEEENSM_IJSG_SG_EEES6_PlJS6_EEE10hipError_tPvRmT3_T4_T5_T6_T7_T9_mT8_P12ihipStream_tbDpT10_ENKUlT_T0_E_clISt17integral_constantIbLb0EES1A_IbLb1EEEEDaS16_S17_EUlS16_E_NS1_11comp_targetILNS1_3genE0ELNS1_11target_archE4294967295ELNS1_3gpuE0ELNS1_3repE0EEENS1_30default_config_static_selectorELNS0_4arch9wavefront6targetE1EEEvT1_, .Lfunc_end3027-_ZN7rocprim17ROCPRIM_400000_NS6detail17trampoline_kernelINS0_14default_configENS1_25partition_config_selectorILNS1_17partition_subalgoE1EjNS0_10empty_typeEbEEZZNS1_14partition_implILS5_1ELb0ES3_jN6thrust23THRUST_200600_302600_NS6detail15normal_iteratorINSA_10device_ptrIjEEEEPS6_NSA_18transform_iteratorI7is_evenIjESF_NSA_11use_defaultESK_EENS0_5tupleIJSF_NSA_16discard_iteratorISK_EEEEENSM_IJSG_SG_EEES6_PlJS6_EEE10hipError_tPvRmT3_T4_T5_T6_T7_T9_mT8_P12ihipStream_tbDpT10_ENKUlT_T0_E_clISt17integral_constantIbLb0EES1A_IbLb1EEEEDaS16_S17_EUlS16_E_NS1_11comp_targetILNS1_3genE0ELNS1_11target_archE4294967295ELNS1_3gpuE0ELNS1_3repE0EEENS1_30default_config_static_selectorELNS0_4arch9wavefront6targetE1EEEvT1_
                                        ; -- End function
	.section	.AMDGPU.csdata,"",@progbits
; Kernel info:
; codeLenInByte = 0
; NumSgprs: 6
; NumVgprs: 0
; NumAgprs: 0
; TotalNumVgprs: 0
; ScratchSize: 0
; MemoryBound: 0
; FloatMode: 240
; IeeeMode: 1
; LDSByteSize: 0 bytes/workgroup (compile time only)
; SGPRBlocks: 0
; VGPRBlocks: 0
; NumSGPRsForWavesPerEU: 6
; NumVGPRsForWavesPerEU: 1
; AccumOffset: 4
; Occupancy: 8
; WaveLimiterHint : 0
; COMPUTE_PGM_RSRC2:SCRATCH_EN: 0
; COMPUTE_PGM_RSRC2:USER_SGPR: 2
; COMPUTE_PGM_RSRC2:TRAP_HANDLER: 0
; COMPUTE_PGM_RSRC2:TGID_X_EN: 1
; COMPUTE_PGM_RSRC2:TGID_Y_EN: 0
; COMPUTE_PGM_RSRC2:TGID_Z_EN: 0
; COMPUTE_PGM_RSRC2:TIDIG_COMP_CNT: 0
; COMPUTE_PGM_RSRC3_GFX90A:ACCUM_OFFSET: 0
; COMPUTE_PGM_RSRC3_GFX90A:TG_SPLIT: 0
	.section	.text._ZN7rocprim17ROCPRIM_400000_NS6detail17trampoline_kernelINS0_14default_configENS1_25partition_config_selectorILNS1_17partition_subalgoE1EjNS0_10empty_typeEbEEZZNS1_14partition_implILS5_1ELb0ES3_jN6thrust23THRUST_200600_302600_NS6detail15normal_iteratorINSA_10device_ptrIjEEEEPS6_NSA_18transform_iteratorI7is_evenIjESF_NSA_11use_defaultESK_EENS0_5tupleIJSF_NSA_16discard_iteratorISK_EEEEENSM_IJSG_SG_EEES6_PlJS6_EEE10hipError_tPvRmT3_T4_T5_T6_T7_T9_mT8_P12ihipStream_tbDpT10_ENKUlT_T0_E_clISt17integral_constantIbLb0EES1A_IbLb1EEEEDaS16_S17_EUlS16_E_NS1_11comp_targetILNS1_3genE5ELNS1_11target_archE942ELNS1_3gpuE9ELNS1_3repE0EEENS1_30default_config_static_selectorELNS0_4arch9wavefront6targetE1EEEvT1_,"axG",@progbits,_ZN7rocprim17ROCPRIM_400000_NS6detail17trampoline_kernelINS0_14default_configENS1_25partition_config_selectorILNS1_17partition_subalgoE1EjNS0_10empty_typeEbEEZZNS1_14partition_implILS5_1ELb0ES3_jN6thrust23THRUST_200600_302600_NS6detail15normal_iteratorINSA_10device_ptrIjEEEEPS6_NSA_18transform_iteratorI7is_evenIjESF_NSA_11use_defaultESK_EENS0_5tupleIJSF_NSA_16discard_iteratorISK_EEEEENSM_IJSG_SG_EEES6_PlJS6_EEE10hipError_tPvRmT3_T4_T5_T6_T7_T9_mT8_P12ihipStream_tbDpT10_ENKUlT_T0_E_clISt17integral_constantIbLb0EES1A_IbLb1EEEEDaS16_S17_EUlS16_E_NS1_11comp_targetILNS1_3genE5ELNS1_11target_archE942ELNS1_3gpuE9ELNS1_3repE0EEENS1_30default_config_static_selectorELNS0_4arch9wavefront6targetE1EEEvT1_,comdat
	.protected	_ZN7rocprim17ROCPRIM_400000_NS6detail17trampoline_kernelINS0_14default_configENS1_25partition_config_selectorILNS1_17partition_subalgoE1EjNS0_10empty_typeEbEEZZNS1_14partition_implILS5_1ELb0ES3_jN6thrust23THRUST_200600_302600_NS6detail15normal_iteratorINSA_10device_ptrIjEEEEPS6_NSA_18transform_iteratorI7is_evenIjESF_NSA_11use_defaultESK_EENS0_5tupleIJSF_NSA_16discard_iteratorISK_EEEEENSM_IJSG_SG_EEES6_PlJS6_EEE10hipError_tPvRmT3_T4_T5_T6_T7_T9_mT8_P12ihipStream_tbDpT10_ENKUlT_T0_E_clISt17integral_constantIbLb0EES1A_IbLb1EEEEDaS16_S17_EUlS16_E_NS1_11comp_targetILNS1_3genE5ELNS1_11target_archE942ELNS1_3gpuE9ELNS1_3repE0EEENS1_30default_config_static_selectorELNS0_4arch9wavefront6targetE1EEEvT1_ ; -- Begin function _ZN7rocprim17ROCPRIM_400000_NS6detail17trampoline_kernelINS0_14default_configENS1_25partition_config_selectorILNS1_17partition_subalgoE1EjNS0_10empty_typeEbEEZZNS1_14partition_implILS5_1ELb0ES3_jN6thrust23THRUST_200600_302600_NS6detail15normal_iteratorINSA_10device_ptrIjEEEEPS6_NSA_18transform_iteratorI7is_evenIjESF_NSA_11use_defaultESK_EENS0_5tupleIJSF_NSA_16discard_iteratorISK_EEEEENSM_IJSG_SG_EEES6_PlJS6_EEE10hipError_tPvRmT3_T4_T5_T6_T7_T9_mT8_P12ihipStream_tbDpT10_ENKUlT_T0_E_clISt17integral_constantIbLb0EES1A_IbLb1EEEEDaS16_S17_EUlS16_E_NS1_11comp_targetILNS1_3genE5ELNS1_11target_archE942ELNS1_3gpuE9ELNS1_3repE0EEENS1_30default_config_static_selectorELNS0_4arch9wavefront6targetE1EEEvT1_
	.globl	_ZN7rocprim17ROCPRIM_400000_NS6detail17trampoline_kernelINS0_14default_configENS1_25partition_config_selectorILNS1_17partition_subalgoE1EjNS0_10empty_typeEbEEZZNS1_14partition_implILS5_1ELb0ES3_jN6thrust23THRUST_200600_302600_NS6detail15normal_iteratorINSA_10device_ptrIjEEEEPS6_NSA_18transform_iteratorI7is_evenIjESF_NSA_11use_defaultESK_EENS0_5tupleIJSF_NSA_16discard_iteratorISK_EEEEENSM_IJSG_SG_EEES6_PlJS6_EEE10hipError_tPvRmT3_T4_T5_T6_T7_T9_mT8_P12ihipStream_tbDpT10_ENKUlT_T0_E_clISt17integral_constantIbLb0EES1A_IbLb1EEEEDaS16_S17_EUlS16_E_NS1_11comp_targetILNS1_3genE5ELNS1_11target_archE942ELNS1_3gpuE9ELNS1_3repE0EEENS1_30default_config_static_selectorELNS0_4arch9wavefront6targetE1EEEvT1_
	.p2align	8
	.type	_ZN7rocprim17ROCPRIM_400000_NS6detail17trampoline_kernelINS0_14default_configENS1_25partition_config_selectorILNS1_17partition_subalgoE1EjNS0_10empty_typeEbEEZZNS1_14partition_implILS5_1ELb0ES3_jN6thrust23THRUST_200600_302600_NS6detail15normal_iteratorINSA_10device_ptrIjEEEEPS6_NSA_18transform_iteratorI7is_evenIjESF_NSA_11use_defaultESK_EENS0_5tupleIJSF_NSA_16discard_iteratorISK_EEEEENSM_IJSG_SG_EEES6_PlJS6_EEE10hipError_tPvRmT3_T4_T5_T6_T7_T9_mT8_P12ihipStream_tbDpT10_ENKUlT_T0_E_clISt17integral_constantIbLb0EES1A_IbLb1EEEEDaS16_S17_EUlS16_E_NS1_11comp_targetILNS1_3genE5ELNS1_11target_archE942ELNS1_3gpuE9ELNS1_3repE0EEENS1_30default_config_static_selectorELNS0_4arch9wavefront6targetE1EEEvT1_,@function
_ZN7rocprim17ROCPRIM_400000_NS6detail17trampoline_kernelINS0_14default_configENS1_25partition_config_selectorILNS1_17partition_subalgoE1EjNS0_10empty_typeEbEEZZNS1_14partition_implILS5_1ELb0ES3_jN6thrust23THRUST_200600_302600_NS6detail15normal_iteratorINSA_10device_ptrIjEEEEPS6_NSA_18transform_iteratorI7is_evenIjESF_NSA_11use_defaultESK_EENS0_5tupleIJSF_NSA_16discard_iteratorISK_EEEEENSM_IJSG_SG_EEES6_PlJS6_EEE10hipError_tPvRmT3_T4_T5_T6_T7_T9_mT8_P12ihipStream_tbDpT10_ENKUlT_T0_E_clISt17integral_constantIbLb0EES1A_IbLb1EEEEDaS16_S17_EUlS16_E_NS1_11comp_targetILNS1_3genE5ELNS1_11target_archE942ELNS1_3gpuE9ELNS1_3repE0EEENS1_30default_config_static_selectorELNS0_4arch9wavefront6targetE1EEEvT1_: ; @_ZN7rocprim17ROCPRIM_400000_NS6detail17trampoline_kernelINS0_14default_configENS1_25partition_config_selectorILNS1_17partition_subalgoE1EjNS0_10empty_typeEbEEZZNS1_14partition_implILS5_1ELb0ES3_jN6thrust23THRUST_200600_302600_NS6detail15normal_iteratorINSA_10device_ptrIjEEEEPS6_NSA_18transform_iteratorI7is_evenIjESF_NSA_11use_defaultESK_EENS0_5tupleIJSF_NSA_16discard_iteratorISK_EEEEENSM_IJSG_SG_EEES6_PlJS6_EEE10hipError_tPvRmT3_T4_T5_T6_T7_T9_mT8_P12ihipStream_tbDpT10_ENKUlT_T0_E_clISt17integral_constantIbLb0EES1A_IbLb1EEEEDaS16_S17_EUlS16_E_NS1_11comp_targetILNS1_3genE5ELNS1_11target_archE942ELNS1_3gpuE9ELNS1_3repE0EEENS1_30default_config_static_selectorELNS0_4arch9wavefront6targetE1EEEvT1_
; %bb.0:
	s_load_dwordx2 s[2:3], s[0:1], 0x20
	s_load_dwordx4 s[20:23], s[0:1], 0x58
	s_load_dwordx2 s[10:11], s[0:1], 0x68
	s_load_dwordx2 s[28:29], s[0:1], 0x78
	v_cmp_eq_u32_e64 s[18:19], 0, v0
	s_and_saveexec_b64 s[4:5], s[18:19]
	s_cbranch_execz .LBB3028_4
; %bb.1:
	s_mov_b64 s[8:9], exec
	v_mbcnt_lo_u32_b32 v1, s8, 0
	v_mbcnt_hi_u32_b32 v1, s9, v1
	v_cmp_eq_u32_e32 vcc, 0, v1
                                        ; implicit-def: $vgpr2
	s_and_saveexec_b64 s[6:7], vcc
	s_cbranch_execz .LBB3028_3
; %bb.2:
	s_load_dwordx2 s[12:13], s[0:1], 0x88
	s_bcnt1_i32_b64 s8, s[8:9]
	v_mov_b32_e32 v2, 0
	v_mov_b32_e32 v3, s8
	s_waitcnt lgkmcnt(0)
	global_atomic_add v2, v2, v3, s[12:13] sc0
.LBB3028_3:
	s_or_b64 exec, exec, s[6:7]
	s_waitcnt vmcnt(0)
	v_readfirstlane_b32 s6, v2
	v_mov_b32_e32 v2, 0
	s_nop 0
	v_add_u32_e32 v1, s6, v1
	ds_write_b32 v2, v1
.LBB3028_4:
	s_or_b64 exec, exec, s[4:5]
	v_mov_b32_e32 v25, 0
	s_load_dwordx4 s[4:7], s[0:1], 0x8
	s_load_dwordx2 s[24:25], s[0:1], 0x30
	s_load_dword s12, s[0:1], 0x80
	s_waitcnt lgkmcnt(0)
	s_barrier
	ds_read_b32 v1, v25
	s_waitcnt lgkmcnt(0)
	s_barrier
	global_load_dwordx2 v[22:23], v25, s[22:23]
	s_lshl_b64 s[8:9], s[6:7], 2
	v_mov_b32_e32 v3, s11
	s_add_u32 s11, s4, s8
	s_mul_i32 s4, s12, 0x1e00
	s_addc_u32 s13, s5, s9
	s_add_i32 s1, s4, s6
	s_sub_i32 s33, s10, s1
	s_add_i32 s14, s12, -1
	s_addk_i32 s33, 0x1e00
	s_add_u32 s4, s6, s4
	v_readfirstlane_b32 s36, v1
	s_addc_u32 s5, s7, 0
	s_cmp_eq_u32 s36, s14
	v_mov_b32_e32 v2, s10
	s_cselect_b64 s[22:23], -1, 0
	s_cmp_lg_u32 s36, s14
	s_mul_i32 s0, s36, 0x1e00
	s_mov_b32 s1, 0
	v_cmp_lt_u64_e32 vcc, s[4:5], v[2:3]
	s_cselect_b64 s[4:5], -1, 0
	s_or_b64 s[26:27], vcc, s[4:5]
	s_lshl_b64 s[4:5], s[0:1], 2
	s_add_u32 s6, s11, s4
	s_addc_u32 s7, s13, s5
	s_mov_b64 s[0:1], -1
	s_and_b64 vcc, exec, s[26:27]
	v_lshlrev_b32_e32 v24, 2, v0
	s_cbranch_vccz .LBB3028_6
; %bb.5:
	v_lshl_add_u64 v[2:3], s[6:7], 0, v[24:25]
	v_add_co_u32_e32 v4, vcc, 0x1000, v2
	s_mov_b64 s[0:1], 0
	s_nop 0
	v_addc_co_u32_e32 v5, vcc, 0, v3, vcc
	v_add_co_u32_e32 v6, vcc, 0x2000, v2
	s_nop 1
	v_addc_co_u32_e32 v7, vcc, 0, v3, vcc
	v_add_co_u32_e32 v8, vcc, 0x3000, v2
	s_nop 1
	v_addc_co_u32_e32 v9, vcc, 0, v3, vcc
	flat_load_dword v1, v[2:3]
	flat_load_dword v10, v[2:3] offset:2048
	flat_load_dword v11, v[4:5]
	flat_load_dword v12, v[4:5] offset:2048
	flat_load_dword v13, v[6:7]
	flat_load_dword v14, v[6:7] offset:2048
	flat_load_dword v15, v[8:9]
	flat_load_dword v16, v[8:9] offset:2048
	v_add_co_u32_e32 v4, vcc, 0x4000, v2
	s_nop 1
	v_addc_co_u32_e32 v5, vcc, 0, v3, vcc
	v_add_co_u32_e32 v6, vcc, 0x5000, v2
	s_nop 1
	v_addc_co_u32_e32 v7, vcc, 0, v3, vcc
	;; [unrolled: 3-line block ×4, first 2 shown]
	flat_load_dword v17, v[4:5]
	flat_load_dword v18, v[4:5] offset:2048
	flat_load_dword v19, v[6:7]
	flat_load_dword v20, v[6:7] offset:2048
	;; [unrolled: 2-line block ×3, first 2 shown]
	flat_load_dword v26, v[2:3]
	s_waitcnt vmcnt(0) lgkmcnt(0)
	ds_write2st64_b32 v24, v1, v10 offset1:8
	ds_write2st64_b32 v24, v11, v12 offset0:16 offset1:24
	ds_write2st64_b32 v24, v13, v14 offset0:32 offset1:40
	;; [unrolled: 1-line block ×6, first 2 shown]
	ds_write_b32 v24, v26 offset:28672
	s_waitcnt lgkmcnt(0)
	s_barrier
.LBB3028_6:
	s_andn2_b64 vcc, exec, s[0:1]
	v_cmp_gt_u32_e64 s[0:1], s33, v0
	s_cbranch_vccnz .LBB3028_38
; %bb.7:
                                        ; implicit-def: $vgpr2_vgpr3_vgpr4_vgpr5_vgpr6_vgpr7_vgpr8_vgpr9_vgpr10_vgpr11_vgpr12_vgpr13_vgpr14_vgpr15_vgpr16_vgpr17
	s_and_saveexec_b64 s[10:11], s[0:1]
	s_cbranch_execz .LBB3028_9
; %bb.8:
	v_mov_b32_e32 v25, 0
	v_lshl_add_u64 v[2:3], s[6:7], 0, v[24:25]
	flat_load_dword v2, v[2:3]
.LBB3028_9:
	s_or_b64 exec, exec, s[10:11]
	v_or_b32_e32 v1, 0x200, v0
	v_cmp_gt_u32_e32 vcc, s33, v1
	s_and_saveexec_b64 s[0:1], vcc
	s_cbranch_execz .LBB3028_11
; %bb.10:
	v_mov_b32_e32 v25, 0
	v_lshl_add_u64 v[18:19], s[6:7], 0, v[24:25]
	flat_load_dword v3, v[18:19] offset:2048
.LBB3028_11:
	s_or_b64 exec, exec, s[0:1]
	v_or_b32_e32 v1, 0x400, v0
	v_cmp_gt_u32_e32 vcc, s33, v1
	s_and_saveexec_b64 s[0:1], vcc
	s_cbranch_execz .LBB3028_13
; %bb.12:
	v_lshlrev_b32_e32 v18, 2, v1
	v_mov_b32_e32 v19, 0
	v_lshl_add_u64 v[18:19], s[6:7], 0, v[18:19]
	flat_load_dword v4, v[18:19]
.LBB3028_13:
	s_or_b64 exec, exec, s[0:1]
	v_or_b32_e32 v1, 0x600, v0
	v_cmp_gt_u32_e32 vcc, s33, v1
	s_and_saveexec_b64 s[0:1], vcc
	s_cbranch_execz .LBB3028_15
; %bb.14:
	v_lshlrev_b32_e32 v18, 2, v1
	v_mov_b32_e32 v19, 0
	v_lshl_add_u64 v[18:19], s[6:7], 0, v[18:19]
	flat_load_dword v5, v[18:19]
.LBB3028_15:
	;; [unrolled: 11-line block ×13, first 2 shown]
	s_or_b64 exec, exec, s[0:1]
	s_waitcnt vmcnt(0) lgkmcnt(0)
	ds_write2st64_b32 v24, v2, v3 offset1:8
	ds_write2st64_b32 v24, v4, v5 offset0:16 offset1:24
	ds_write2st64_b32 v24, v6, v7 offset0:32 offset1:40
	ds_write2st64_b32 v24, v8, v9 offset0:48 offset1:56
	ds_write2st64_b32 v24, v10, v11 offset0:64 offset1:72
	ds_write2st64_b32 v24, v12, v13 offset0:80 offset1:88
	ds_write2st64_b32 v24, v14, v15 offset0:96 offset1:104
	ds_write_b32 v24, v16 offset:28672
	s_waitcnt lgkmcnt(0)
	s_barrier
.LBB3028_38:
	v_mul_u32_u24_e32 v21, 15, v0
	v_lshlrev_b32_e32 v1, 2, v21
	ds_read2_b32 v[38:39], v1 offset1:1
	ds_read2_b32 v[36:37], v1 offset0:2 offset1:3
	ds_read2_b32 v[34:35], v1 offset0:4 offset1:5
	;; [unrolled: 1-line block ×6, first 2 shown]
	ds_read_b32 v1, v1 offset:56
	s_add_u32 s0, s2, s8
	s_addc_u32 s1, s3, s9
	s_add_u32 s0, s0, s4
	s_addc_u32 s1, s1, s5
	s_mov_b64 s[2:3], -1
	s_and_b64 vcc, exec, s[26:27]
	s_waitcnt lgkmcnt(0)
	s_barrier
	s_cbranch_vccz .LBB3028_40
; %bb.39:
	v_mov_b32_e32 v25, 0
	v_lshl_add_u64 v[2:3], s[0:1], 0, v[24:25]
	v_add_co_u32_e32 v4, vcc, 0x1000, v2
	global_load_dword v10, v24, s[0:1]
	global_load_dword v11, v24, s[0:1] offset:2048
	v_addc_co_u32_e32 v5, vcc, 0, v3, vcc
	v_add_co_u32_e32 v6, vcc, 0x2000, v2
	s_mov_b64 s[2:3], 0
	s_nop 0
	v_addc_co_u32_e32 v7, vcc, 0, v3, vcc
	v_add_co_u32_e32 v8, vcc, 0x3000, v2
	s_nop 1
	v_addc_co_u32_e32 v9, vcc, 0, v3, vcc
	global_load_dword v12, v[4:5], off
	global_load_dword v13, v[4:5], off offset:2048
	global_load_dword v14, v[6:7], off
	global_load_dword v15, v[6:7], off offset:2048
	;; [unrolled: 2-line block ×3, first 2 shown]
	v_add_co_u32_e32 v4, vcc, 0x4000, v2
	s_nop 1
	v_addc_co_u32_e32 v5, vcc, 0, v3, vcc
	global_load_dword v6, v[4:5], off
	global_load_dword v7, v[4:5], off offset:2048
	v_add_co_u32_e32 v4, vcc, 0x5000, v2
	s_waitcnt vmcnt(1)
	v_xor_b32_e32 v6, -1, v6
	v_addc_co_u32_e32 v5, vcc, 0, v3, vcc
	global_load_dword v8, v[4:5], off
	global_load_dword v9, v[4:5], off offset:2048
	v_add_co_u32_e32 v4, vcc, 0x6000, v2
	s_waitcnt vmcnt(2)
	v_xor_b32_e32 v7, -1, v7
	v_addc_co_u32_e32 v5, vcc, 0, v3, vcc
	v_add_co_u32_e32 v2, vcc, 0x7000, v2
	global_load_dword v18, v[4:5], off
	global_load_dword v19, v[4:5], off offset:2048
	v_addc_co_u32_e32 v3, vcc, 0, v3, vcc
	global_load_dword v2, v[2:3], off
	v_xor_b32_e32 v3, -1, v10
	v_xor_b32_e32 v4, -1, v11
	v_and_b32_e32 v3, 1, v3
	v_and_b32_e32 v4, 1, v4
	ds_write_b8 v0, v3
	ds_write_b8 v0, v4 offset:512
	v_xor_b32_e32 v3, -1, v12
	v_xor_b32_e32 v4, -1, v13
	;; [unrolled: 1-line block ×3, first 2 shown]
	v_and_b32_e32 v3, 1, v3
	v_and_b32_e32 v4, 1, v4
	v_xor_b32_e32 v10, -1, v15
	v_and_b32_e32 v5, 1, v5
	v_xor_b32_e32 v11, -1, v16
	v_xor_b32_e32 v12, -1, v17
	v_and_b32_e32 v10, 1, v10
	ds_write_b8 v0, v3 offset:1024
	ds_write_b8 v0, v4 offset:1536
	v_and_b32_e32 v3, 1, v11
	v_and_b32_e32 v4, 1, v12
	ds_write_b8 v0, v5 offset:2048
	ds_write_b8 v0, v10 offset:2560
	v_and_b32_e32 v5, 1, v6
	v_and_b32_e32 v6, 1, v7
	ds_write_b8 v0, v3 offset:3072
	ds_write_b8 v0, v4 offset:3584
	;; [unrolled: 1-line block ×4, first 2 shown]
	s_waitcnt vmcnt(4)
	v_xor_b32_e32 v7, -1, v8
	s_waitcnt vmcnt(3)
	v_xor_b32_e32 v8, -1, v9
	v_and_b32_e32 v3, 1, v7
	v_and_b32_e32 v4, 1, v8
	s_waitcnt vmcnt(2)
	v_xor_b32_e32 v7, -1, v18
	s_waitcnt vmcnt(1)
	v_xor_b32_e32 v8, -1, v19
	v_and_b32_e32 v5, 1, v7
	v_and_b32_e32 v6, 1, v8
	s_waitcnt vmcnt(0)
	v_xor_b32_e32 v2, -1, v2
	v_and_b32_e32 v2, 1, v2
	ds_write_b8 v0, v3 offset:5120
	ds_write_b8 v0, v4 offset:5632
	ds_write_b8 v0, v5 offset:6144
	ds_write_b8 v0, v6 offset:6656
	ds_write_b8 v0, v2 offset:7168
	s_waitcnt lgkmcnt(0)
	s_barrier
.LBB3028_40:
	s_andn2_b64 vcc, exec, s[2:3]
	s_cbranch_vccnz .LBB3028_72
; %bb.41:
	v_cmp_gt_u32_e32 vcc, s33, v0
	v_mov_b32_e32 v2, 0
	v_mov_b32_e32 v3, 0
	s_and_saveexec_b64 s[2:3], vcc
	s_cbranch_execz .LBB3028_43
; %bb.42:
	global_load_dword v3, v24, s[0:1]
	s_waitcnt vmcnt(0)
	v_xor_b32_e32 v3, -1, v3
	v_and_b32_e32 v3, 1, v3
.LBB3028_43:
	s_or_b64 exec, exec, s[2:3]
	v_or_b32_e32 v4, 0x200, v0
	v_cmp_gt_u32_e32 vcc, s33, v4
	s_and_saveexec_b64 s[2:3], vcc
	s_cbranch_execz .LBB3028_45
; %bb.44:
	global_load_dword v2, v24, s[0:1] offset:2048
	s_waitcnt vmcnt(0)
	v_xor_b32_e32 v2, -1, v2
	v_and_b32_e32 v2, 1, v2
.LBB3028_45:
	s_or_b64 exec, exec, s[2:3]
	v_or_b32_e32 v6, 0x400, v0
	v_cmp_gt_u32_e32 vcc, s33, v6
	v_mov_b32_e32 v4, 0
	v_mov_b32_e32 v5, 0
	s_and_saveexec_b64 s[2:3], vcc
	s_cbranch_execz .LBB3028_47
; %bb.46:
	v_lshlrev_b32_e32 v5, 2, v6
	global_load_dword v5, v5, s[0:1]
	s_waitcnt vmcnt(0)
	v_xor_b32_e32 v5, -1, v5
	v_and_b32_e32 v5, 1, v5
.LBB3028_47:
	s_or_b64 exec, exec, s[2:3]
	v_or_b32_e32 v6, 0x600, v0
	v_cmp_gt_u32_e32 vcc, s33, v6
	s_and_saveexec_b64 s[2:3], vcc
	s_cbranch_execz .LBB3028_49
; %bb.48:
	v_lshlrev_b32_e32 v4, 2, v6
	global_load_dword v4, v4, s[0:1]
	s_waitcnt vmcnt(0)
	v_xor_b32_e32 v4, -1, v4
	v_and_b32_e32 v4, 1, v4
.LBB3028_49:
	s_or_b64 exec, exec, s[2:3]
	v_or_b32_e32 v8, 0x800, v0
	v_cmp_gt_u32_e32 vcc, s33, v8
	v_mov_b32_e32 v6, 0
	v_mov_b32_e32 v7, 0
	s_and_saveexec_b64 s[2:3], vcc
	s_cbranch_execz .LBB3028_51
; %bb.50:
	v_lshlrev_b32_e32 v7, 2, v8
	global_load_dword v7, v7, s[0:1]
	s_waitcnt vmcnt(0)
	v_xor_b32_e32 v7, -1, v7
	v_and_b32_e32 v7, 1, v7
.LBB3028_51:
	s_or_b64 exec, exec, s[2:3]
	v_or_b32_e32 v8, 0xa00, v0
	v_cmp_gt_u32_e32 vcc, s33, v8
	s_and_saveexec_b64 s[2:3], vcc
	s_cbranch_execz .LBB3028_53
; %bb.52:
	v_lshlrev_b32_e32 v6, 2, v8
	global_load_dword v6, v6, s[0:1]
	s_waitcnt vmcnt(0)
	v_xor_b32_e32 v6, -1, v6
	v_and_b32_e32 v6, 1, v6
.LBB3028_53:
	;; [unrolled: 26-line block ×6, first 2 shown]
	s_or_b64 exec, exec, s[2:3]
	v_or_b32_e32 v17, 0x1c00, v0
	v_cmp_gt_u32_e32 vcc, s33, v17
	v_mov_b32_e32 v16, 0
	s_and_saveexec_b64 s[2:3], vcc
	s_cbranch_execz .LBB3028_71
; %bb.70:
	v_lshlrev_b32_e32 v16, 2, v17
	global_load_dword v16, v16, s[0:1]
	s_waitcnt vmcnt(0)
	v_xor_b32_e32 v16, -1, v16
	v_and_b32_e32 v16, 1, v16
.LBB3028_71:
	s_or_b64 exec, exec, s[2:3]
	ds_write_b8 v0, v3
	ds_write_b8 v0, v2 offset:512
	ds_write_b8 v0, v5 offset:1024
	;; [unrolled: 1-line block ×14, first 2 shown]
	s_waitcnt lgkmcnt(0)
	s_barrier
.LBB3028_72:
	ds_read_b96 v[18:20], v21
	ds_read_u8 v2, v21 offset:12
	ds_read_u8 v3, v21 offset:13
	ds_read_u8 v4, v21 offset:14
	s_cmp_lg_u32 s36, 0
	v_lshrrev_b32_e32 v58, 6, v0
	s_waitcnt lgkmcnt(2)
	v_and_b32_e32 v45, 1, v2
	v_and_b32_e32 v54, 0xff, v18
	v_bfe_u32 v55, v18, 8, 8
	v_bfe_u32 v56, v18, 16, 8
	v_lshrrev_b32_e32 v47, 24, v18
	v_and_b32_e32 v51, 0xff, v19
	v_add3_u32 v2, v55, v54, v56
	v_bfe_u32 v52, v19, 8, 8
	v_bfe_u32 v53, v19, 16, 8
	v_add3_u32 v2, v2, v47, v51
	v_lshrrev_b32_e32 v46, 24, v19
	v_and_b32_e32 v48, 0xff, v20
	v_add3_u32 v2, v2, v52, v53
	v_bfe_u32 v49, v20, 8, 8
	v_bfe_u32 v50, v20, 16, 8
	v_add3_u32 v2, v2, v46, v48
	v_lshrrev_b32_e32 v44, 24, v20
	v_add3_u32 v2, v2, v49, v50
	s_waitcnt lgkmcnt(1)
	v_and_b32_e32 v43, 1, v3
	s_waitcnt lgkmcnt(0)
	v_and_b32_e32 v25, 1, v4
	v_add3_u32 v2, v2, v44, v45
	v_add3_u32 v59, v2, v43, v25
	v_mbcnt_lo_u32_b32 v2, -1, 0
	v_mbcnt_hi_u32_b32 v57, -1, v2
	v_and_b32_e32 v2, 15, v57
	v_cmp_eq_u32_e64 s[14:15], 0, v2
	v_cmp_lt_u32_e64 s[12:13], 1, v2
	v_cmp_lt_u32_e64 s[10:11], 3, v2
	;; [unrolled: 1-line block ×3, first 2 shown]
	v_and_b32_e32 v2, 16, v57
	v_cmp_eq_u32_e64 s[6:7], 0, v2
	v_or_b32_e32 v2, 63, v0
	v_cmp_lt_u32_e64 s[2:3], 31, v57
	v_cmp_eq_u32_e64 s[4:5], v2, v0
	s_barrier
	s_cbranch_scc0 .LBB3028_99
; %bb.73:
	v_mov_b32_dpp v2, v59 row_shr:1 row_mask:0xf bank_mask:0xf
	v_cndmask_b32_e64 v2, v2, 0, s[14:15]
	v_add_u32_e32 v2, v2, v59
	s_nop 1
	v_mov_b32_dpp v3, v2 row_shr:2 row_mask:0xf bank_mask:0xf
	v_cndmask_b32_e64 v3, 0, v3, s[12:13]
	v_add_u32_e32 v2, v2, v3
	s_nop 1
	;; [unrolled: 4-line block ×4, first 2 shown]
	v_mov_b32_dpp v3, v2 row_bcast:15 row_mask:0xf bank_mask:0xf
	v_cndmask_b32_e64 v3, v3, 0, s[6:7]
	v_add_u32_e32 v2, v2, v3
	s_nop 1
	v_mov_b32_dpp v3, v2 row_bcast:31 row_mask:0xf bank_mask:0xf
	v_cndmask_b32_e64 v3, 0, v3, s[2:3]
	v_add_u32_e32 v2, v2, v3
	s_and_saveexec_b64 s[0:1], s[4:5]
	s_cbranch_execz .LBB3028_75
; %bb.74:
	v_lshlrev_b32_e32 v3, 2, v58
	ds_write_b32 v3, v2
.LBB3028_75:
	s_or_b64 exec, exec, s[0:1]
	v_cmp_gt_u32_e32 vcc, 8, v0
	s_waitcnt lgkmcnt(0)
	s_barrier
	s_and_saveexec_b64 s[0:1], vcc
	s_cbranch_execz .LBB3028_77
; %bb.76:
	ds_read_b32 v3, v24
	v_and_b32_e32 v4, 7, v57
	v_cmp_ne_u32_e32 vcc, 0, v4
	s_waitcnt lgkmcnt(0)
	v_mov_b32_dpp v5, v3 row_shr:1 row_mask:0xf bank_mask:0xf
	v_cndmask_b32_e32 v5, 0, v5, vcc
	v_add_u32_e32 v3, v5, v3
	v_cmp_lt_u32_e32 vcc, 1, v4
	s_nop 0
	v_mov_b32_dpp v5, v3 row_shr:2 row_mask:0xf bank_mask:0xf
	v_cndmask_b32_e32 v5, 0, v5, vcc
	v_add_u32_e32 v3, v3, v5
	v_cmp_lt_u32_e32 vcc, 3, v4
	s_nop 0
	v_mov_b32_dpp v5, v3 row_shr:4 row_mask:0xf bank_mask:0xf
	v_cndmask_b32_e32 v4, 0, v5, vcc
	v_add_u32_e32 v3, v3, v4
	ds_write_b32 v24, v3
.LBB3028_77:
	s_or_b64 exec, exec, s[0:1]
	v_cmp_gt_u32_e32 vcc, 64, v0
	v_cmp_lt_u32_e64 s[0:1], 63, v0
	s_waitcnt lgkmcnt(0)
	s_barrier
	s_waitcnt lgkmcnt(0)
                                        ; implicit-def: $vgpr12
	s_and_saveexec_b64 s[16:17], s[0:1]
	s_cbranch_execz .LBB3028_79
; %bb.78:
	v_lshl_add_u32 v3, v58, 2, -4
	ds_read_b32 v12, v3
	s_waitcnt lgkmcnt(0)
	v_add_u32_e32 v2, v12, v2
.LBB3028_79:
	s_or_b64 exec, exec, s[16:17]
	v_add_u32_e32 v3, -1, v57
	v_and_b32_e32 v4, 64, v57
	v_cmp_lt_i32_e64 s[0:1], v3, v4
	v_cmp_eq_u32_e64 s[16:17], 0, v57
	s_nop 0
	v_cndmask_b32_e64 v3, v3, v57, s[0:1]
	v_lshlrev_b32_e32 v3, 2, v3
	ds_bpermute_b32 v13, v3, v2
	s_and_saveexec_b64 s[0:1], vcc
	s_cbranch_execz .LBB3028_98
; %bb.80:
	v_mov_b32_e32 v9, 0
	ds_read_b32 v2, v9 offset:28
	s_and_saveexec_b64 s[30:31], s[16:17]
	s_cbranch_execz .LBB3028_82
; %bb.81:
	s_add_i32 s34, s36, 64
	s_mov_b32 s35, 0
	s_lshl_b64 s[34:35], s[34:35], 3
	s_add_u32 s34, s28, s34
	v_mov_b32_e32 v3, 1
	s_addc_u32 s35, s29, s35
	s_waitcnt lgkmcnt(0)
	global_store_dwordx2 v9, v[2:3], s[34:35] sc1
.LBB3028_82:
	s_or_b64 exec, exec, s[30:31]
	v_xad_u32 v4, v57, -1, s36
	v_add_u32_e32 v8, 64, v4
	v_lshl_add_u64 v[10:11], v[8:9], 3, s[28:29]
	global_load_dwordx2 v[6:7], v[10:11], off sc1
	s_waitcnt vmcnt(0)
	v_cmp_eq_u16_sdwa s[34:35], v7, v9 src0_sel:BYTE_0 src1_sel:DWORD
	s_and_saveexec_b64 s[30:31], s[34:35]
	s_cbranch_execz .LBB3028_86
; %bb.83:
	s_mov_b64 s[34:35], 0
	v_mov_b32_e32 v3, 0
.LBB3028_84:                            ; =>This Inner Loop Header: Depth=1
	global_load_dwordx2 v[6:7], v[10:11], off sc1
	s_waitcnt vmcnt(0)
	v_cmp_ne_u16_sdwa s[38:39], v7, v3 src0_sel:BYTE_0 src1_sel:DWORD
	s_or_b64 s[34:35], s[38:39], s[34:35]
	s_andn2_b64 exec, exec, s[34:35]
	s_cbranch_execnz .LBB3028_84
; %bb.85:
	s_or_b64 exec, exec, s[34:35]
.LBB3028_86:
	s_or_b64 exec, exec, s[30:31]
	v_and_b32_e32 v15, 63, v57
	v_mov_b32_e32 v14, 2
	v_cmp_ne_u32_e32 vcc, 63, v15
	v_cmp_eq_u16_sdwa s[30:31], v7, v14 src0_sel:BYTE_0 src1_sel:DWORD
	v_lshlrev_b64 v[8:9], v57, -1
	v_addc_co_u32_e32 v10, vcc, 0, v57, vcc
	v_and_b32_e32 v3, s31, v9
	v_lshlrev_b32_e32 v16, 2, v10
	v_or_b32_e32 v3, 0x80000000, v3
	ds_bpermute_b32 v10, v16, v6
	v_and_b32_e32 v5, s30, v8
	v_ffbl_b32_e32 v3, v3
	v_add_u32_e32 v3, 32, v3
	v_ffbl_b32_e32 v5, v5
	v_min_u32_e32 v3, v5, v3
	v_cmp_lt_u32_e32 vcc, v15, v3
	v_add_u32_e32 v40, 2, v15
	v_add_u32_e32 v42, 4, v15
	s_waitcnt lgkmcnt(0)
	v_cndmask_b32_e32 v5, 0, v10, vcc
	v_cmp_gt_u32_e32 vcc, 62, v15
	v_add_u32_e32 v5, v5, v6
	v_add_u32_e32 v61, 8, v15
	v_cndmask_b32_e64 v6, 0, 1, vcc
	v_lshlrev_b32_e32 v6, 1, v6
	v_add_lshl_u32 v17, v6, v57, 2
	ds_bpermute_b32 v6, v17, v5
	v_cmp_le_u32_e32 vcc, v40, v3
	v_add_u32_e32 v63, 16, v15
	v_add_u32_e32 v65, 32, v15
	s_waitcnt lgkmcnt(0)
	v_cndmask_b32_e32 v6, 0, v6, vcc
	v_cmp_gt_u32_e32 vcc, 60, v15
	v_add_u32_e32 v5, v5, v6
	s_nop 0
	v_cndmask_b32_e64 v6, 0, 1, vcc
	v_lshlrev_b32_e32 v6, 2, v6
	v_add_lshl_u32 v41, v6, v57, 2
	ds_bpermute_b32 v6, v41, v5
	v_cmp_le_u32_e32 vcc, v42, v3
	s_waitcnt lgkmcnt(0)
	s_nop 0
	v_cndmask_b32_e32 v6, 0, v6, vcc
	v_cmp_gt_u32_e32 vcc, 56, v15
	v_add_u32_e32 v5, v5, v6
	s_nop 0
	v_cndmask_b32_e64 v6, 0, 1, vcc
	v_lshlrev_b32_e32 v6, 3, v6
	v_add_lshl_u32 v60, v6, v57, 2
	ds_bpermute_b32 v6, v60, v5
	v_cmp_le_u32_e32 vcc, v61, v3
	s_waitcnt lgkmcnt(0)
	s_nop 0
	;; [unrolled: 11-line block ×4, first 2 shown]
	v_cndmask_b32_e32 v3, 0, v6, vcc
	v_add_u32_e32 v6, v5, v3
	v_mov_b32_e32 v5, 0
	s_branch .LBB3028_88
.LBB3028_87:                            ;   in Loop: Header=BB3028_88 Depth=1
	s_or_b64 exec, exec, s[30:31]
	v_cmp_eq_u16_sdwa s[30:31], v7, v14 src0_sel:BYTE_0 src1_sel:DWORD
	ds_bpermute_b32 v66, v16, v6
	v_subrev_u32_e32 v4, 64, v4
	v_and_b32_e32 v10, s31, v9
	v_or_b32_e32 v10, 0x80000000, v10
	v_and_b32_e32 v11, s30, v8
	v_ffbl_b32_e32 v10, v10
	v_add_u32_e32 v10, 32, v10
	v_ffbl_b32_e32 v11, v11
	v_min_u32_e32 v10, v11, v10
	v_cmp_lt_u32_e32 vcc, v15, v10
	s_waitcnt lgkmcnt(0)
	s_nop 0
	v_cndmask_b32_e32 v11, 0, v66, vcc
	v_add_u32_e32 v6, v11, v6
	ds_bpermute_b32 v11, v17, v6
	v_cmp_le_u32_e32 vcc, v40, v10
	s_waitcnt lgkmcnt(0)
	s_nop 0
	v_cndmask_b32_e32 v11, 0, v11, vcc
	v_add_u32_e32 v6, v6, v11
	ds_bpermute_b32 v11, v41, v6
	v_cmp_le_u32_e32 vcc, v42, v10
	;; [unrolled: 6-line block ×5, first 2 shown]
	s_waitcnt lgkmcnt(0)
	s_nop 0
	v_cndmask_b32_e32 v10, 0, v11, vcc
	v_add3_u32 v6, v10, v3, v6
.LBB3028_88:                            ; =>This Loop Header: Depth=1
                                        ;     Child Loop BB3028_91 Depth 2
	v_cmp_ne_u16_sdwa s[30:31], v7, v14 src0_sel:BYTE_0 src1_sel:DWORD
	s_nop 1
	v_cndmask_b32_e64 v3, 0, 1, s[30:31]
	;;#ASMSTART
	;;#ASMEND
	s_nop 0
	v_cmp_ne_u32_e32 vcc, 0, v3
	s_cmp_lg_u64 vcc, exec
	v_mov_b32_e32 v3, v6
	s_cbranch_scc1 .LBB3028_93
; %bb.89:                               ;   in Loop: Header=BB3028_88 Depth=1
	v_lshl_add_u64 v[10:11], v[4:5], 3, s[28:29]
	global_load_dwordx2 v[6:7], v[10:11], off sc1
	s_waitcnt vmcnt(0)
	v_cmp_eq_u16_sdwa s[34:35], v7, v5 src0_sel:BYTE_0 src1_sel:DWORD
	s_and_saveexec_b64 s[30:31], s[34:35]
	s_cbranch_execz .LBB3028_87
; %bb.90:                               ;   in Loop: Header=BB3028_88 Depth=1
	s_mov_b64 s[34:35], 0
.LBB3028_91:                            ;   Parent Loop BB3028_88 Depth=1
                                        ; =>  This Inner Loop Header: Depth=2
	global_load_dwordx2 v[6:7], v[10:11], off sc1
	s_waitcnt vmcnt(0)
	v_cmp_ne_u16_sdwa s[38:39], v7, v5 src0_sel:BYTE_0 src1_sel:DWORD
	s_or_b64 s[34:35], s[38:39], s[34:35]
	s_andn2_b64 exec, exec, s[34:35]
	s_cbranch_execnz .LBB3028_91
; %bb.92:                               ;   in Loop: Header=BB3028_88 Depth=1
	s_or_b64 exec, exec, s[34:35]
	s_branch .LBB3028_87
.LBB3028_93:                            ;   in Loop: Header=BB3028_88 Depth=1
                                        ; implicit-def: $vgpr6
                                        ; implicit-def: $vgpr7
	s_cbranch_execz .LBB3028_88
; %bb.94:
	s_and_saveexec_b64 s[30:31], s[16:17]
	s_cbranch_execz .LBB3028_96
; %bb.95:
	s_add_i32 s34, s36, 64
	s_mov_b32 s35, 0
	s_lshl_b64 s[34:35], s[34:35], 3
	s_add_u32 s34, s28, s34
	v_add_u32_e32 v4, v3, v2
	v_mov_b32_e32 v5, 2
	s_addc_u32 s35, s29, s35
	v_mov_b32_e32 v6, 0
	global_store_dwordx2 v6, v[4:5], s[34:35] sc1
	ds_write_b64 v6, v[2:3] offset:30720
.LBB3028_96:
	s_or_b64 exec, exec, s[30:31]
	s_and_b64 exec, exec, s[18:19]
	s_cbranch_execz .LBB3028_98
; %bb.97:
	v_mov_b32_e32 v2, 0
	ds_write_b32 v2, v3 offset:28
.LBB3028_98:
	s_or_b64 exec, exec, s[0:1]
	v_mov_b32_e32 v14, 0
	s_waitcnt lgkmcnt(0)
	s_barrier
	ds_read_b32 v2, v14 offset:28
	v_cndmask_b32_e64 v3, v13, v12, s[16:17]
	v_cndmask_b32_e64 v3, v3, 0, s[18:19]
	s_waitcnt lgkmcnt(0)
	s_barrier
	v_add_u32_e32 v2, v2, v3
	v_add_u32_e32 v3, v2, v54
	v_add_u32_e32 v4, v3, v55
	v_add_u32_e32 v5, v4, v56
	v_add_u32_e32 v6, v5, v47
	v_add_u32_e32 v7, v6, v51
	v_add_u32_e32 v8, v7, v52
	v_add_u32_e32 v9, v8, v53
	v_add_u32_e32 v10, v9, v46
	v_add_u32_e32 v11, v10, v48
	ds_read_b64 v[40:41], v14 offset:30720
	v_add_u32_e32 v12, v11, v49
	v_add_u32_e32 v13, v12, v50
	;; [unrolled: 1-line block ×5, first 2 shown]
	s_waitcnt lgkmcnt(0)
	v_mov_b32_e32 v42, v41
	s_branch .LBB3028_109
.LBB3028_99:
                                        ; implicit-def: $vgpr42
                                        ; implicit-def: $vgpr40
                                        ; implicit-def: $vgpr2_vgpr3_vgpr4_vgpr5_vgpr6_vgpr7_vgpr8_vgpr9_vgpr10_vgpr11_vgpr12_vgpr13_vgpr14_vgpr15_vgpr16_vgpr17
	s_cbranch_execz .LBB3028_109
; %bb.100:
	s_nop 0
	v_mov_b32_dpp v2, v59 row_shr:1 row_mask:0xf bank_mask:0xf
	v_cndmask_b32_e64 v2, v2, 0, s[14:15]
	v_add_u32_e32 v2, v2, v59
	s_nop 1
	v_mov_b32_dpp v3, v2 row_shr:2 row_mask:0xf bank_mask:0xf
	v_cndmask_b32_e64 v3, 0, v3, s[12:13]
	v_add_u32_e32 v2, v2, v3
	;; [unrolled: 4-line block ×4, first 2 shown]
	s_nop 1
	v_mov_b32_dpp v3, v2 row_bcast:15 row_mask:0xf bank_mask:0xf
	v_cndmask_b32_e64 v3, v3, 0, s[6:7]
	v_add_u32_e32 v2, v2, v3
	s_nop 1
	v_mov_b32_dpp v3, v2 row_bcast:31 row_mask:0xf bank_mask:0xf
	v_cndmask_b32_e64 v3, 0, v3, s[2:3]
	v_add_u32_e32 v2, v2, v3
	s_and_saveexec_b64 s[0:1], s[4:5]
	s_cbranch_execz .LBB3028_102
; %bb.101:
	v_lshlrev_b32_e32 v3, 2, v58
	ds_write_b32 v3, v2
.LBB3028_102:
	s_or_b64 exec, exec, s[0:1]
	v_cmp_gt_u32_e32 vcc, 8, v0
	s_waitcnt lgkmcnt(0)
	s_barrier
	s_and_saveexec_b64 s[0:1], vcc
	s_cbranch_execz .LBB3028_104
; %bb.103:
	v_mad_i32_i24 v3, v0, -11, v21
	ds_read_b32 v4, v3
	v_and_b32_e32 v5, 7, v57
	v_cmp_ne_u32_e32 vcc, 0, v5
	s_waitcnt lgkmcnt(0)
	v_mov_b32_dpp v6, v4 row_shr:1 row_mask:0xf bank_mask:0xf
	v_cndmask_b32_e32 v6, 0, v6, vcc
	v_add_u32_e32 v4, v6, v4
	v_cmp_lt_u32_e32 vcc, 1, v5
	s_nop 0
	v_mov_b32_dpp v6, v4 row_shr:2 row_mask:0xf bank_mask:0xf
	v_cndmask_b32_e32 v6, 0, v6, vcc
	v_add_u32_e32 v4, v4, v6
	v_cmp_lt_u32_e32 vcc, 3, v5
	s_nop 0
	v_mov_b32_dpp v6, v4 row_shr:4 row_mask:0xf bank_mask:0xf
	v_cndmask_b32_e32 v5, 0, v6, vcc
	v_add_u32_e32 v4, v4, v5
	ds_write_b32 v3, v4
.LBB3028_104:
	s_or_b64 exec, exec, s[0:1]
	v_cmp_lt_u32_e32 vcc, 63, v0
	v_mov_b32_e32 v4, 0
	v_mov_b32_e32 v3, 0
	s_waitcnt lgkmcnt(0)
	s_barrier
	s_and_saveexec_b64 s[0:1], vcc
	s_cbranch_execz .LBB3028_106
; %bb.105:
	v_lshl_add_u32 v3, v58, 2, -4
	ds_read_b32 v3, v3
.LBB3028_106:
	s_or_b64 exec, exec, s[0:1]
	v_add_u32_e32 v5, -1, v57
	v_and_b32_e32 v6, 64, v57
	v_cmp_lt_i32_e32 vcc, v5, v6
	s_waitcnt lgkmcnt(0)
	v_add_u32_e32 v2, v3, v2
	ds_read_b32 v40, v4 offset:28
	v_cndmask_b32_e32 v5, v5, v57, vcc
	v_lshlrev_b32_e32 v5, 2, v5
	ds_bpermute_b32 v2, v5, v2
	s_and_saveexec_b64 s[0:1], s[18:19]
	s_cbranch_execz .LBB3028_108
; %bb.107:
	v_mov_b32_e32 v4, 0
	v_mov_b32_e32 v41, 2
	s_waitcnt lgkmcnt(1)
	global_store_dwordx2 v4, v[40:41], s[28:29] offset:512 sc1
.LBB3028_108:
	s_or_b64 exec, exec, s[0:1]
	v_cmp_eq_u32_e32 vcc, 0, v57
	v_mov_b32_e32 v42, 0
	s_waitcnt lgkmcnt(0)
	v_cndmask_b32_e32 v2, v2, v3, vcc
	v_cndmask_b32_e64 v2, v2, 0, s[18:19]
	v_add_u32_e32 v3, v2, v54
	v_add_u32_e32 v4, v3, v55
	;; [unrolled: 1-line block ×14, first 2 shown]
	s_barrier
.LBB3028_109:
	v_add_u32_e32 v21, v40, v21
	v_sub_u32_e32 v2, v2, v42
	v_and_b32_e32 v50, 1, v18
	v_sub_u32_e32 v49, v21, v2
	v_cmp_eq_u32_e32 vcc, 1, v50
	v_lshrrev_b32_e32 v48, 8, v18
	v_lshrrev_b32_e32 v41, 8, v19
	v_cndmask_b32_e32 v2, v49, v2, vcc
	v_lshlrev_b32_e32 v2, 2, v2
	ds_write_b32 v2, v38
	v_sub_u32_e32 v2, v3, v42
	v_sub_u32_e32 v3, v21, v2
	v_and_b32_e32 v38, 1, v48
	v_add_u32_e32 v3, 1, v3
	v_cmp_eq_u32_e32 vcc, 1, v38
	v_lshrrev_b32_e32 v17, 8, v20
	s_nop 0
	v_cndmask_b32_e32 v2, v3, v2, vcc
	v_lshlrev_b32_e32 v2, 2, v2
	ds_write_b32 v2, v39
	v_sub_u32_e32 v2, v4, v42
	v_mov_b32_e32 v4, 1
	v_sub_u32_e32 v3, v21, v2
	v_and_b32_sdwa v18, v4, v18 dst_sel:DWORD dst_unused:UNUSED_PAD src0_sel:DWORD src1_sel:WORD_1
	v_add_u32_e32 v3, 2, v3
	v_cmp_eq_u32_e32 vcc, 1, v18
	s_nop 1
	v_cndmask_b32_e32 v2, v3, v2, vcc
	v_lshlrev_b32_e32 v2, 2, v2
	ds_write_b32 v2, v36
	v_sub_u32_e32 v2, v5, v42
	v_sub_u32_e32 v3, v21, v2
	v_and_b32_e32 v5, 1, v47
	v_add_u32_e32 v3, 3, v3
	v_cmp_eq_u32_e32 vcc, 1, v5
	v_and_b32_e32 v5, 1, v19
	v_or_b32_e32 v36, 0x200, v0
	v_cndmask_b32_e32 v2, v3, v2, vcc
	v_lshlrev_b32_e32 v2, 2, v2
	ds_write_b32 v2, v37
	v_sub_u32_e32 v2, v6, v42
	v_sub_u32_e32 v3, v21, v2
	v_add_u32_e32 v3, 4, v3
	v_cmp_eq_u32_e32 vcc, 1, v5
	v_and_b32_e32 v5, 1, v41
	s_nop 0
	v_cndmask_b32_e32 v2, v3, v2, vcc
	v_lshlrev_b32_e32 v2, 2, v2
	ds_write_b32 v2, v34
	v_sub_u32_e32 v2, v7, v42
	v_sub_u32_e32 v3, v21, v2
	v_add_u32_e32 v3, 5, v3
	v_cmp_eq_u32_e32 vcc, 1, v5
	v_and_b32_sdwa v5, v4, v19 dst_sel:DWORD dst_unused:UNUSED_PAD src0_sel:DWORD src1_sel:WORD_1
	v_and_b32_sdwa v4, v4, v20 dst_sel:DWORD dst_unused:UNUSED_PAD src0_sel:DWORD src1_sel:WORD_1
	v_cndmask_b32_e32 v2, v3, v2, vcc
	v_lshlrev_b32_e32 v2, 2, v2
	ds_write_b32 v2, v35
	v_sub_u32_e32 v2, v8, v42
	v_sub_u32_e32 v3, v21, v2
	v_add_u32_e32 v3, 6, v3
	v_cmp_eq_u32_e32 vcc, 1, v5
	v_and_b32_e32 v5, 1, v46
	v_or_b32_e32 v35, 0x400, v0
	v_cndmask_b32_e32 v2, v3, v2, vcc
	v_lshlrev_b32_e32 v2, 2, v2
	ds_write_b32 v2, v32
	v_sub_u32_e32 v2, v9, v42
	v_sub_u32_e32 v3, v21, v2
	v_add_u32_e32 v3, 7, v3
	v_cmp_eq_u32_e32 vcc, 1, v5
	v_and_b32_e32 v5, 1, v20
	v_or_b32_e32 v34, 0x600, v0
	;; [unrolled: 9-line block ×3, first 2 shown]
	v_cndmask_b32_e32 v2, v3, v2, vcc
	v_lshlrev_b32_e32 v2, 2, v2
	ds_write_b32 v2, v30
	v_sub_u32_e32 v2, v11, v42
	v_sub_u32_e32 v3, v21, v2
	v_add_u32_e32 v3, 9, v3
	v_cmp_eq_u32_e32 vcc, 1, v5
	v_or_b32_e32 v32, 0xa00, v0
	v_or_b32_e32 v30, 0xe00, v0
	v_cndmask_b32_e32 v2, v3, v2, vcc
	v_lshlrev_b32_e32 v2, 2, v2
	ds_write_b32 v2, v31
	v_sub_u32_e32 v2, v12, v42
	v_sub_u32_e32 v3, v21, v2
	v_add_u32_e32 v3, 10, v3
	v_cmp_eq_u32_e32 vcc, 1, v4
	v_and_b32_e32 v4, 1, v44
	v_or_b32_e32 v31, 0xc00, v0
	v_cndmask_b32_e32 v2, v3, v2, vcc
	v_lshlrev_b32_e32 v2, 2, v2
	ds_write_b32 v2, v28
	v_sub_u32_e32 v2, v13, v42
	v_sub_u32_e32 v3, v21, v2
	v_add_u32_e32 v3, 11, v3
	v_cmp_eq_u32_e32 vcc, 1, v4
	v_or_b32_e32 v28, 0x1200, v0
	v_or_b32_e32 v20, 0x1c00, v0
	v_cndmask_b32_e32 v2, v3, v2, vcc
	v_lshlrev_b32_e32 v2, 2, v2
	ds_write_b32 v2, v29
	v_sub_u32_e32 v2, v14, v42
	v_sub_u32_e32 v3, v21, v2
	v_add_u32_e32 v3, 12, v3
	v_cmp_eq_u32_e32 vcc, 1, v45
	v_or_b32_e32 v29, 0x1000, v0
	s_waitcnt vmcnt(0)
	v_lshlrev_b64 v[18:19], 2, v[22:23]
	v_cndmask_b32_e32 v2, v3, v2, vcc
	v_lshlrev_b32_e32 v2, 2, v2
	ds_write_b32 v2, v26
	v_sub_u32_e32 v2, v15, v42
	v_sub_u32_e32 v3, v21, v2
	v_add_u32_e32 v3, 13, v3
	v_cmp_eq_u32_e32 vcc, 1, v43
	v_or_b32_e32 v26, 0x1600, v0
	s_nop 0
	v_cndmask_b32_e32 v2, v3, v2, vcc
	v_lshlrev_b32_e32 v2, 2, v2
	ds_write_b32 v2, v27
	v_sub_u32_e32 v2, v16, v42
	v_sub_u32_e32 v3, v21, v2
	v_add_u32_e32 v3, 14, v3
	v_cmp_eq_u32_e32 vcc, 1, v25
	v_or_b32_e32 v27, 0x1400, v0
	v_or_b32_e32 v25, 0x1800, v0
	v_cndmask_b32_e32 v2, v3, v2, vcc
	v_lshlrev_b32_e32 v2, 2, v2
	ds_write_b32 v2, v1
	s_waitcnt lgkmcnt(0)
	s_barrier
	ds_read2st64_b32 v[16:17], v24 offset1:8
	ds_read2st64_b32 v[14:15], v24 offset0:16 offset1:24
	ds_read2st64_b32 v[12:13], v24 offset0:32 offset1:40
	;; [unrolled: 1-line block ×6, first 2 shown]
	ds_read_b32 v1, v24 offset:28672
	v_or_b32_e32 v21, 0x1a00, v0
	s_andn2_b64 vcc, exec, s[26:27]
	s_cbranch_vccnz .LBB3028_126
; %bb.110:
	v_mov_b32_e32 v43, 0
	v_lshl_add_u64 v[4:5], s[24:25], 0, v[18:19]
	v_lshlrev_b64 v[38:39], 2, v[42:43]
	v_lshl_add_u64 v[4:5], v[4:5], 0, v[38:39]
	v_cmp_gt_u32_e32 vcc, v40, v0
	s_and_saveexec_b64 s[0:1], vcc
	s_cbranch_execnz .LBB3028_148
; %bb.111:
	s_or_b64 exec, exec, s[0:1]
	v_cmp_lt_u32_e32 vcc, v36, v40
	s_and_saveexec_b64 s[0:1], vcc
	s_cbranch_execnz .LBB3028_149
.LBB3028_112:
	s_or_b64 exec, exec, s[0:1]
	v_cmp_lt_u32_e32 vcc, v35, v40
	s_and_saveexec_b64 s[0:1], vcc
	s_cbranch_execnz .LBB3028_150
.LBB3028_113:
	s_or_b64 exec, exec, s[0:1]
	v_cmp_lt_u32_e32 vcc, v34, v40
	s_and_saveexec_b64 s[0:1], vcc
	s_cbranch_execnz .LBB3028_151
.LBB3028_114:
	s_or_b64 exec, exec, s[0:1]
	v_cmp_lt_u32_e32 vcc, v33, v40
	s_and_saveexec_b64 s[0:1], vcc
	s_cbranch_execnz .LBB3028_152
.LBB3028_115:
	s_or_b64 exec, exec, s[0:1]
	v_cmp_lt_u32_e32 vcc, v32, v40
	s_and_saveexec_b64 s[0:1], vcc
	s_cbranch_execnz .LBB3028_153
.LBB3028_116:
	s_or_b64 exec, exec, s[0:1]
	v_cmp_lt_u32_e32 vcc, v31, v40
	s_and_saveexec_b64 s[0:1], vcc
	s_cbranch_execnz .LBB3028_154
.LBB3028_117:
	s_or_b64 exec, exec, s[0:1]
	v_cmp_lt_u32_e32 vcc, v30, v40
	s_and_saveexec_b64 s[0:1], vcc
	s_cbranch_execnz .LBB3028_155
.LBB3028_118:
	s_or_b64 exec, exec, s[0:1]
	v_cmp_lt_u32_e32 vcc, v29, v40
	s_and_saveexec_b64 s[0:1], vcc
	s_cbranch_execnz .LBB3028_156
.LBB3028_119:
	s_or_b64 exec, exec, s[0:1]
	v_cmp_lt_u32_e32 vcc, v28, v40
	s_and_saveexec_b64 s[0:1], vcc
	s_cbranch_execnz .LBB3028_157
.LBB3028_120:
	s_or_b64 exec, exec, s[0:1]
	v_cmp_lt_u32_e32 vcc, v27, v40
	s_and_saveexec_b64 s[0:1], vcc
	s_cbranch_execnz .LBB3028_158
.LBB3028_121:
	s_or_b64 exec, exec, s[0:1]
	v_cmp_lt_u32_e32 vcc, v26, v40
	s_and_saveexec_b64 s[0:1], vcc
	s_cbranch_execnz .LBB3028_159
.LBB3028_122:
	s_or_b64 exec, exec, s[0:1]
	v_cmp_lt_u32_e32 vcc, v25, v40
	s_and_saveexec_b64 s[0:1], vcc
	s_cbranch_execnz .LBB3028_160
.LBB3028_123:
	s_or_b64 exec, exec, s[0:1]
	v_cmp_lt_u32_e32 vcc, v21, v40
	s_and_saveexec_b64 s[0:1], vcc
	s_cbranch_execz .LBB3028_125
.LBB3028_124:
	v_lshlrev_b32_e32 v37, 2, v21
	v_readfirstlane_b32 s2, v4
	v_readfirstlane_b32 s3, v5
	s_waitcnt lgkmcnt(1)
	s_nop 3
	global_store_dword v37, v3, s[2:3]
.LBB3028_125:
	s_or_b64 exec, exec, s[0:1]
	v_cmp_lt_u32_e64 s[0:1], v20, v40
	s_branch .LBB3028_143
.LBB3028_126:
	s_mov_b64 s[0:1], 0
                                        ; implicit-def: $vgpr4_vgpr5
	s_cbranch_execz .LBB3028_143
; %bb.127:
	v_mov_b32_e32 v43, 0
	v_min_u32_e32 v37, s33, v40
	v_lshl_add_u64 v[4:5], s[24:25], 0, v[18:19]
	v_lshlrev_b64 v[18:19], 2, v[42:43]
	v_lshl_add_u64 v[4:5], v[4:5], 0, v[18:19]
	v_cmp_gt_u32_e32 vcc, v37, v0
	s_and_saveexec_b64 s[0:1], vcc
	s_cbranch_execnz .LBB3028_161
; %bb.128:
	s_or_b64 exec, exec, s[0:1]
	v_cmp_lt_u32_e32 vcc, v36, v37
	s_and_saveexec_b64 s[0:1], vcc
	s_cbranch_execnz .LBB3028_162
.LBB3028_129:
	s_or_b64 exec, exec, s[0:1]
	v_cmp_lt_u32_e32 vcc, v35, v37
	s_and_saveexec_b64 s[0:1], vcc
	s_cbranch_execnz .LBB3028_163
.LBB3028_130:
	s_or_b64 exec, exec, s[0:1]
	v_cmp_lt_u32_e32 vcc, v34, v37
	s_and_saveexec_b64 s[0:1], vcc
	s_cbranch_execnz .LBB3028_164
.LBB3028_131:
	s_or_b64 exec, exec, s[0:1]
	v_cmp_lt_u32_e32 vcc, v33, v37
	s_and_saveexec_b64 s[0:1], vcc
	s_cbranch_execnz .LBB3028_165
.LBB3028_132:
	s_or_b64 exec, exec, s[0:1]
	v_cmp_lt_u32_e32 vcc, v32, v37
	s_and_saveexec_b64 s[0:1], vcc
	s_cbranch_execnz .LBB3028_166
.LBB3028_133:
	s_or_b64 exec, exec, s[0:1]
	v_cmp_lt_u32_e32 vcc, v31, v37
	s_and_saveexec_b64 s[0:1], vcc
	s_cbranch_execnz .LBB3028_167
.LBB3028_134:
	s_or_b64 exec, exec, s[0:1]
	v_cmp_lt_u32_e32 vcc, v30, v37
	s_and_saveexec_b64 s[0:1], vcc
	s_cbranch_execnz .LBB3028_168
.LBB3028_135:
	s_or_b64 exec, exec, s[0:1]
	v_cmp_lt_u32_e32 vcc, v29, v37
	s_and_saveexec_b64 s[0:1], vcc
	s_cbranch_execnz .LBB3028_169
.LBB3028_136:
	s_or_b64 exec, exec, s[0:1]
	v_cmp_lt_u32_e32 vcc, v28, v37
	s_and_saveexec_b64 s[0:1], vcc
	s_cbranch_execnz .LBB3028_170
.LBB3028_137:
	s_or_b64 exec, exec, s[0:1]
	v_cmp_lt_u32_e32 vcc, v27, v37
	s_and_saveexec_b64 s[0:1], vcc
	s_cbranch_execnz .LBB3028_171
.LBB3028_138:
	s_or_b64 exec, exec, s[0:1]
	v_cmp_lt_u32_e32 vcc, v26, v37
	s_and_saveexec_b64 s[0:1], vcc
	s_cbranch_execnz .LBB3028_172
.LBB3028_139:
	s_or_b64 exec, exec, s[0:1]
	v_cmp_lt_u32_e32 vcc, v25, v37
	s_and_saveexec_b64 s[0:1], vcc
	s_cbranch_execnz .LBB3028_173
.LBB3028_140:
	s_or_b64 exec, exec, s[0:1]
	v_cmp_lt_u32_e32 vcc, v21, v37
	s_and_saveexec_b64 s[0:1], vcc
	s_cbranch_execz .LBB3028_142
.LBB3028_141:
	v_lshlrev_b32_e32 v0, 2, v21
	v_readfirstlane_b32 s2, v4
	v_readfirstlane_b32 s3, v5
	s_waitcnt lgkmcnt(1)
	s_nop 3
	global_store_dword v0, v3, s[2:3]
.LBB3028_142:
	s_or_b64 exec, exec, s[0:1]
	v_cmp_lt_u32_e64 s[0:1], v20, v37
.LBB3028_143:
	s_and_saveexec_b64 s[2:3], s[0:1]
	s_cbranch_execnz .LBB3028_146
; %bb.144:
	s_or_b64 exec, exec, s[2:3]
	s_and_b64 s[0:1], s[18:19], s[22:23]
	s_and_saveexec_b64 s[2:3], s[0:1]
	s_cbranch_execnz .LBB3028_147
.LBB3028_145:
	s_endpgm
.LBB3028_146:
	v_lshlrev_b32_e32 v0, 2, v20
	v_readfirstlane_b32 s0, v4
	v_readfirstlane_b32 s1, v5
	s_waitcnt lgkmcnt(0)
	s_nop 3
	global_store_dword v0, v1, s[0:1]
	s_or_b64 exec, exec, s[2:3]
	s_and_b64 s[0:1], s[18:19], s[22:23]
	s_and_saveexec_b64 s[2:3], s[0:1]
	s_cbranch_execz .LBB3028_145
.LBB3028_147:
	v_mov_b32_e32 v41, 0
	s_waitcnt lgkmcnt(0)
	v_lshl_add_u64 v[0:1], v[22:23], 0, v[40:41]
	v_mov_b32_e32 v43, v41
	v_lshl_add_u64 v[0:1], v[0:1], 0, v[42:43]
	global_store_dwordx2 v41, v[0:1], s[20:21]
	s_endpgm
.LBB3028_148:
	v_readfirstlane_b32 s2, v4
	v_readfirstlane_b32 s3, v5
	s_waitcnt lgkmcnt(7)
	s_nop 3
	global_store_dword v24, v16, s[2:3]
	s_or_b64 exec, exec, s[0:1]
	v_cmp_lt_u32_e32 vcc, v36, v40
	s_and_saveexec_b64 s[0:1], vcc
	s_cbranch_execz .LBB3028_112
.LBB3028_149:
	v_readfirstlane_b32 s2, v4
	v_readfirstlane_b32 s3, v5
	s_waitcnt lgkmcnt(7)
	s_nop 3
	global_store_dword v24, v17, s[2:3] offset:2048
	s_or_b64 exec, exec, s[0:1]
	v_cmp_lt_u32_e32 vcc, v35, v40
	s_and_saveexec_b64 s[0:1], vcc
	s_cbranch_execz .LBB3028_113
.LBB3028_150:
	v_lshlrev_b32_e32 v37, 2, v35
	v_readfirstlane_b32 s2, v4
	v_readfirstlane_b32 s3, v5
	s_waitcnt lgkmcnt(6)
	s_nop 3
	global_store_dword v37, v14, s[2:3]
	s_or_b64 exec, exec, s[0:1]
	v_cmp_lt_u32_e32 vcc, v34, v40
	s_and_saveexec_b64 s[0:1], vcc
	s_cbranch_execz .LBB3028_114
.LBB3028_151:
	v_lshlrev_b32_e32 v37, 2, v34
	v_readfirstlane_b32 s2, v4
	v_readfirstlane_b32 s3, v5
	s_waitcnt lgkmcnt(6)
	s_nop 3
	global_store_dword v37, v15, s[2:3]
	s_or_b64 exec, exec, s[0:1]
	v_cmp_lt_u32_e32 vcc, v33, v40
	s_and_saveexec_b64 s[0:1], vcc
	s_cbranch_execz .LBB3028_115
.LBB3028_152:
	v_lshlrev_b32_e32 v37, 2, v33
	v_readfirstlane_b32 s2, v4
	v_readfirstlane_b32 s3, v5
	s_waitcnt lgkmcnt(5)
	s_nop 3
	global_store_dword v37, v12, s[2:3]
	s_or_b64 exec, exec, s[0:1]
	v_cmp_lt_u32_e32 vcc, v32, v40
	s_and_saveexec_b64 s[0:1], vcc
	s_cbranch_execz .LBB3028_116
.LBB3028_153:
	v_lshlrev_b32_e32 v37, 2, v32
	v_readfirstlane_b32 s2, v4
	v_readfirstlane_b32 s3, v5
	s_waitcnt lgkmcnt(5)
	s_nop 3
	global_store_dword v37, v13, s[2:3]
	s_or_b64 exec, exec, s[0:1]
	v_cmp_lt_u32_e32 vcc, v31, v40
	s_and_saveexec_b64 s[0:1], vcc
	s_cbranch_execz .LBB3028_117
.LBB3028_154:
	v_lshlrev_b32_e32 v37, 2, v31
	v_readfirstlane_b32 s2, v4
	v_readfirstlane_b32 s3, v5
	s_waitcnt lgkmcnt(4)
	s_nop 3
	global_store_dword v37, v10, s[2:3]
	s_or_b64 exec, exec, s[0:1]
	v_cmp_lt_u32_e32 vcc, v30, v40
	s_and_saveexec_b64 s[0:1], vcc
	s_cbranch_execz .LBB3028_118
.LBB3028_155:
	v_lshlrev_b32_e32 v37, 2, v30
	v_readfirstlane_b32 s2, v4
	v_readfirstlane_b32 s3, v5
	s_waitcnt lgkmcnt(4)
	s_nop 3
	global_store_dword v37, v11, s[2:3]
	s_or_b64 exec, exec, s[0:1]
	v_cmp_lt_u32_e32 vcc, v29, v40
	s_and_saveexec_b64 s[0:1], vcc
	s_cbranch_execz .LBB3028_119
.LBB3028_156:
	v_lshlrev_b32_e32 v37, 2, v29
	v_readfirstlane_b32 s2, v4
	v_readfirstlane_b32 s3, v5
	s_waitcnt lgkmcnt(3)
	s_nop 3
	global_store_dword v37, v8, s[2:3]
	s_or_b64 exec, exec, s[0:1]
	v_cmp_lt_u32_e32 vcc, v28, v40
	s_and_saveexec_b64 s[0:1], vcc
	s_cbranch_execz .LBB3028_120
.LBB3028_157:
	v_lshlrev_b32_e32 v37, 2, v28
	v_readfirstlane_b32 s2, v4
	v_readfirstlane_b32 s3, v5
	s_waitcnt lgkmcnt(3)
	s_nop 3
	global_store_dword v37, v9, s[2:3]
	s_or_b64 exec, exec, s[0:1]
	v_cmp_lt_u32_e32 vcc, v27, v40
	s_and_saveexec_b64 s[0:1], vcc
	s_cbranch_execz .LBB3028_121
.LBB3028_158:
	v_lshlrev_b32_e32 v37, 2, v27
	v_readfirstlane_b32 s2, v4
	v_readfirstlane_b32 s3, v5
	s_waitcnt lgkmcnt(2)
	s_nop 3
	global_store_dword v37, v6, s[2:3]
	s_or_b64 exec, exec, s[0:1]
	v_cmp_lt_u32_e32 vcc, v26, v40
	s_and_saveexec_b64 s[0:1], vcc
	s_cbranch_execz .LBB3028_122
.LBB3028_159:
	v_lshlrev_b32_e32 v37, 2, v26
	v_readfirstlane_b32 s2, v4
	v_readfirstlane_b32 s3, v5
	s_waitcnt lgkmcnt(2)
	s_nop 3
	global_store_dword v37, v7, s[2:3]
	s_or_b64 exec, exec, s[0:1]
	v_cmp_lt_u32_e32 vcc, v25, v40
	s_and_saveexec_b64 s[0:1], vcc
	s_cbranch_execz .LBB3028_123
.LBB3028_160:
	v_lshlrev_b32_e32 v37, 2, v25
	v_readfirstlane_b32 s2, v4
	v_readfirstlane_b32 s3, v5
	s_waitcnt lgkmcnt(1)
	s_nop 3
	global_store_dword v37, v2, s[2:3]
	s_or_b64 exec, exec, s[0:1]
	v_cmp_lt_u32_e32 vcc, v21, v40
	s_and_saveexec_b64 s[0:1], vcc
	s_cbranch_execnz .LBB3028_124
	s_branch .LBB3028_125
.LBB3028_161:
	v_readfirstlane_b32 s2, v4
	v_readfirstlane_b32 s3, v5
	s_waitcnt lgkmcnt(7)
	s_nop 3
	global_store_dword v24, v16, s[2:3]
	s_or_b64 exec, exec, s[0:1]
	v_cmp_lt_u32_e32 vcc, v36, v37
	s_and_saveexec_b64 s[0:1], vcc
	s_cbranch_execz .LBB3028_129
.LBB3028_162:
	v_readfirstlane_b32 s2, v4
	v_readfirstlane_b32 s3, v5
	s_waitcnt lgkmcnt(7)
	s_nop 3
	global_store_dword v24, v17, s[2:3] offset:2048
	s_or_b64 exec, exec, s[0:1]
	v_cmp_lt_u32_e32 vcc, v35, v37
	s_and_saveexec_b64 s[0:1], vcc
	s_cbranch_execz .LBB3028_130
.LBB3028_163:
	v_lshlrev_b32_e32 v0, 2, v35
	v_readfirstlane_b32 s2, v4
	v_readfirstlane_b32 s3, v5
	s_waitcnt lgkmcnt(6)
	s_nop 3
	global_store_dword v0, v14, s[2:3]
	s_or_b64 exec, exec, s[0:1]
	v_cmp_lt_u32_e32 vcc, v34, v37
	s_and_saveexec_b64 s[0:1], vcc
	s_cbranch_execz .LBB3028_131
.LBB3028_164:
	v_lshlrev_b32_e32 v0, 2, v34
	v_readfirstlane_b32 s2, v4
	v_readfirstlane_b32 s3, v5
	s_waitcnt lgkmcnt(6)
	s_nop 3
	global_store_dword v0, v15, s[2:3]
	s_or_b64 exec, exec, s[0:1]
	v_cmp_lt_u32_e32 vcc, v33, v37
	s_and_saveexec_b64 s[0:1], vcc
	s_cbranch_execz .LBB3028_132
.LBB3028_165:
	v_lshlrev_b32_e32 v0, 2, v33
	v_readfirstlane_b32 s2, v4
	v_readfirstlane_b32 s3, v5
	s_waitcnt lgkmcnt(5)
	s_nop 3
	global_store_dword v0, v12, s[2:3]
	s_or_b64 exec, exec, s[0:1]
	v_cmp_lt_u32_e32 vcc, v32, v37
	s_and_saveexec_b64 s[0:1], vcc
	s_cbranch_execz .LBB3028_133
.LBB3028_166:
	v_lshlrev_b32_e32 v0, 2, v32
	v_readfirstlane_b32 s2, v4
	v_readfirstlane_b32 s3, v5
	s_waitcnt lgkmcnt(5)
	s_nop 3
	global_store_dword v0, v13, s[2:3]
	s_or_b64 exec, exec, s[0:1]
	v_cmp_lt_u32_e32 vcc, v31, v37
	s_and_saveexec_b64 s[0:1], vcc
	s_cbranch_execz .LBB3028_134
.LBB3028_167:
	v_lshlrev_b32_e32 v0, 2, v31
	v_readfirstlane_b32 s2, v4
	v_readfirstlane_b32 s3, v5
	s_waitcnt lgkmcnt(4)
	s_nop 3
	global_store_dword v0, v10, s[2:3]
	s_or_b64 exec, exec, s[0:1]
	v_cmp_lt_u32_e32 vcc, v30, v37
	s_and_saveexec_b64 s[0:1], vcc
	s_cbranch_execz .LBB3028_135
.LBB3028_168:
	v_lshlrev_b32_e32 v0, 2, v30
	v_readfirstlane_b32 s2, v4
	v_readfirstlane_b32 s3, v5
	s_waitcnt lgkmcnt(4)
	s_nop 3
	global_store_dword v0, v11, s[2:3]
	s_or_b64 exec, exec, s[0:1]
	v_cmp_lt_u32_e32 vcc, v29, v37
	s_and_saveexec_b64 s[0:1], vcc
	s_cbranch_execz .LBB3028_136
.LBB3028_169:
	v_lshlrev_b32_e32 v0, 2, v29
	v_readfirstlane_b32 s2, v4
	v_readfirstlane_b32 s3, v5
	s_waitcnt lgkmcnt(3)
	s_nop 3
	global_store_dword v0, v8, s[2:3]
	s_or_b64 exec, exec, s[0:1]
	v_cmp_lt_u32_e32 vcc, v28, v37
	s_and_saveexec_b64 s[0:1], vcc
	s_cbranch_execz .LBB3028_137
.LBB3028_170:
	v_lshlrev_b32_e32 v0, 2, v28
	v_readfirstlane_b32 s2, v4
	v_readfirstlane_b32 s3, v5
	s_waitcnt lgkmcnt(3)
	s_nop 3
	global_store_dword v0, v9, s[2:3]
	s_or_b64 exec, exec, s[0:1]
	v_cmp_lt_u32_e32 vcc, v27, v37
	s_and_saveexec_b64 s[0:1], vcc
	s_cbranch_execz .LBB3028_138
.LBB3028_171:
	v_lshlrev_b32_e32 v0, 2, v27
	v_readfirstlane_b32 s2, v4
	v_readfirstlane_b32 s3, v5
	s_waitcnt lgkmcnt(2)
	s_nop 3
	global_store_dword v0, v6, s[2:3]
	s_or_b64 exec, exec, s[0:1]
	v_cmp_lt_u32_e32 vcc, v26, v37
	s_and_saveexec_b64 s[0:1], vcc
	s_cbranch_execz .LBB3028_139
.LBB3028_172:
	v_lshlrev_b32_e32 v0, 2, v26
	v_readfirstlane_b32 s2, v4
	v_readfirstlane_b32 s3, v5
	s_waitcnt lgkmcnt(2)
	s_nop 3
	global_store_dword v0, v7, s[2:3]
	s_or_b64 exec, exec, s[0:1]
	v_cmp_lt_u32_e32 vcc, v25, v37
	s_and_saveexec_b64 s[0:1], vcc
	s_cbranch_execz .LBB3028_140
.LBB3028_173:
	v_lshlrev_b32_e32 v0, 2, v25
	v_readfirstlane_b32 s2, v4
	v_readfirstlane_b32 s3, v5
	s_waitcnt lgkmcnt(1)
	s_nop 3
	global_store_dword v0, v2, s[2:3]
	s_or_b64 exec, exec, s[0:1]
	v_cmp_lt_u32_e32 vcc, v21, v37
	s_and_saveexec_b64 s[0:1], vcc
	s_cbranch_execnz .LBB3028_141
	s_branch .LBB3028_142
	.section	.rodata,"a",@progbits
	.p2align	6, 0x0
	.amdhsa_kernel _ZN7rocprim17ROCPRIM_400000_NS6detail17trampoline_kernelINS0_14default_configENS1_25partition_config_selectorILNS1_17partition_subalgoE1EjNS0_10empty_typeEbEEZZNS1_14partition_implILS5_1ELb0ES3_jN6thrust23THRUST_200600_302600_NS6detail15normal_iteratorINSA_10device_ptrIjEEEEPS6_NSA_18transform_iteratorI7is_evenIjESF_NSA_11use_defaultESK_EENS0_5tupleIJSF_NSA_16discard_iteratorISK_EEEEENSM_IJSG_SG_EEES6_PlJS6_EEE10hipError_tPvRmT3_T4_T5_T6_T7_T9_mT8_P12ihipStream_tbDpT10_ENKUlT_T0_E_clISt17integral_constantIbLb0EES1A_IbLb1EEEEDaS16_S17_EUlS16_E_NS1_11comp_targetILNS1_3genE5ELNS1_11target_archE942ELNS1_3gpuE9ELNS1_3repE0EEENS1_30default_config_static_selectorELNS0_4arch9wavefront6targetE1EEEvT1_
		.amdhsa_group_segment_fixed_size 30728
		.amdhsa_private_segment_fixed_size 0
		.amdhsa_kernarg_size 152
		.amdhsa_user_sgpr_count 2
		.amdhsa_user_sgpr_dispatch_ptr 0
		.amdhsa_user_sgpr_queue_ptr 0
		.amdhsa_user_sgpr_kernarg_segment_ptr 1
		.amdhsa_user_sgpr_dispatch_id 0
		.amdhsa_user_sgpr_kernarg_preload_length 0
		.amdhsa_user_sgpr_kernarg_preload_offset 0
		.amdhsa_user_sgpr_private_segment_size 0
		.amdhsa_uses_dynamic_stack 0
		.amdhsa_enable_private_segment 0
		.amdhsa_system_sgpr_workgroup_id_x 1
		.amdhsa_system_sgpr_workgroup_id_y 0
		.amdhsa_system_sgpr_workgroup_id_z 0
		.amdhsa_system_sgpr_workgroup_info 0
		.amdhsa_system_vgpr_workitem_id 0
		.amdhsa_next_free_vgpr 67
		.amdhsa_next_free_sgpr 40
		.amdhsa_accum_offset 68
		.amdhsa_reserve_vcc 1
		.amdhsa_float_round_mode_32 0
		.amdhsa_float_round_mode_16_64 0
		.amdhsa_float_denorm_mode_32 3
		.amdhsa_float_denorm_mode_16_64 3
		.amdhsa_dx10_clamp 1
		.amdhsa_ieee_mode 1
		.amdhsa_fp16_overflow 0
		.amdhsa_tg_split 0
		.amdhsa_exception_fp_ieee_invalid_op 0
		.amdhsa_exception_fp_denorm_src 0
		.amdhsa_exception_fp_ieee_div_zero 0
		.amdhsa_exception_fp_ieee_overflow 0
		.amdhsa_exception_fp_ieee_underflow 0
		.amdhsa_exception_fp_ieee_inexact 0
		.amdhsa_exception_int_div_zero 0
	.end_amdhsa_kernel
	.section	.text._ZN7rocprim17ROCPRIM_400000_NS6detail17trampoline_kernelINS0_14default_configENS1_25partition_config_selectorILNS1_17partition_subalgoE1EjNS0_10empty_typeEbEEZZNS1_14partition_implILS5_1ELb0ES3_jN6thrust23THRUST_200600_302600_NS6detail15normal_iteratorINSA_10device_ptrIjEEEEPS6_NSA_18transform_iteratorI7is_evenIjESF_NSA_11use_defaultESK_EENS0_5tupleIJSF_NSA_16discard_iteratorISK_EEEEENSM_IJSG_SG_EEES6_PlJS6_EEE10hipError_tPvRmT3_T4_T5_T6_T7_T9_mT8_P12ihipStream_tbDpT10_ENKUlT_T0_E_clISt17integral_constantIbLb0EES1A_IbLb1EEEEDaS16_S17_EUlS16_E_NS1_11comp_targetILNS1_3genE5ELNS1_11target_archE942ELNS1_3gpuE9ELNS1_3repE0EEENS1_30default_config_static_selectorELNS0_4arch9wavefront6targetE1EEEvT1_,"axG",@progbits,_ZN7rocprim17ROCPRIM_400000_NS6detail17trampoline_kernelINS0_14default_configENS1_25partition_config_selectorILNS1_17partition_subalgoE1EjNS0_10empty_typeEbEEZZNS1_14partition_implILS5_1ELb0ES3_jN6thrust23THRUST_200600_302600_NS6detail15normal_iteratorINSA_10device_ptrIjEEEEPS6_NSA_18transform_iteratorI7is_evenIjESF_NSA_11use_defaultESK_EENS0_5tupleIJSF_NSA_16discard_iteratorISK_EEEEENSM_IJSG_SG_EEES6_PlJS6_EEE10hipError_tPvRmT3_T4_T5_T6_T7_T9_mT8_P12ihipStream_tbDpT10_ENKUlT_T0_E_clISt17integral_constantIbLb0EES1A_IbLb1EEEEDaS16_S17_EUlS16_E_NS1_11comp_targetILNS1_3genE5ELNS1_11target_archE942ELNS1_3gpuE9ELNS1_3repE0EEENS1_30default_config_static_selectorELNS0_4arch9wavefront6targetE1EEEvT1_,comdat
.Lfunc_end3028:
	.size	_ZN7rocprim17ROCPRIM_400000_NS6detail17trampoline_kernelINS0_14default_configENS1_25partition_config_selectorILNS1_17partition_subalgoE1EjNS0_10empty_typeEbEEZZNS1_14partition_implILS5_1ELb0ES3_jN6thrust23THRUST_200600_302600_NS6detail15normal_iteratorINSA_10device_ptrIjEEEEPS6_NSA_18transform_iteratorI7is_evenIjESF_NSA_11use_defaultESK_EENS0_5tupleIJSF_NSA_16discard_iteratorISK_EEEEENSM_IJSG_SG_EEES6_PlJS6_EEE10hipError_tPvRmT3_T4_T5_T6_T7_T9_mT8_P12ihipStream_tbDpT10_ENKUlT_T0_E_clISt17integral_constantIbLb0EES1A_IbLb1EEEEDaS16_S17_EUlS16_E_NS1_11comp_targetILNS1_3genE5ELNS1_11target_archE942ELNS1_3gpuE9ELNS1_3repE0EEENS1_30default_config_static_selectorELNS0_4arch9wavefront6targetE1EEEvT1_, .Lfunc_end3028-_ZN7rocprim17ROCPRIM_400000_NS6detail17trampoline_kernelINS0_14default_configENS1_25partition_config_selectorILNS1_17partition_subalgoE1EjNS0_10empty_typeEbEEZZNS1_14partition_implILS5_1ELb0ES3_jN6thrust23THRUST_200600_302600_NS6detail15normal_iteratorINSA_10device_ptrIjEEEEPS6_NSA_18transform_iteratorI7is_evenIjESF_NSA_11use_defaultESK_EENS0_5tupleIJSF_NSA_16discard_iteratorISK_EEEEENSM_IJSG_SG_EEES6_PlJS6_EEE10hipError_tPvRmT3_T4_T5_T6_T7_T9_mT8_P12ihipStream_tbDpT10_ENKUlT_T0_E_clISt17integral_constantIbLb0EES1A_IbLb1EEEEDaS16_S17_EUlS16_E_NS1_11comp_targetILNS1_3genE5ELNS1_11target_archE942ELNS1_3gpuE9ELNS1_3repE0EEENS1_30default_config_static_selectorELNS0_4arch9wavefront6targetE1EEEvT1_
                                        ; -- End function
	.section	.AMDGPU.csdata,"",@progbits
; Kernel info:
; codeLenInByte = 7868
; NumSgprs: 46
; NumVgprs: 67
; NumAgprs: 0
; TotalNumVgprs: 67
; ScratchSize: 0
; MemoryBound: 0
; FloatMode: 240
; IeeeMode: 1
; LDSByteSize: 30728 bytes/workgroup (compile time only)
; SGPRBlocks: 5
; VGPRBlocks: 8
; NumSGPRsForWavesPerEU: 46
; NumVGPRsForWavesPerEU: 67
; AccumOffset: 68
; Occupancy: 4
; WaveLimiterHint : 1
; COMPUTE_PGM_RSRC2:SCRATCH_EN: 0
; COMPUTE_PGM_RSRC2:USER_SGPR: 2
; COMPUTE_PGM_RSRC2:TRAP_HANDLER: 0
; COMPUTE_PGM_RSRC2:TGID_X_EN: 1
; COMPUTE_PGM_RSRC2:TGID_Y_EN: 0
; COMPUTE_PGM_RSRC2:TGID_Z_EN: 0
; COMPUTE_PGM_RSRC2:TIDIG_COMP_CNT: 0
; COMPUTE_PGM_RSRC3_GFX90A:ACCUM_OFFSET: 16
; COMPUTE_PGM_RSRC3_GFX90A:TG_SPLIT: 0
	.section	.text._ZN7rocprim17ROCPRIM_400000_NS6detail17trampoline_kernelINS0_14default_configENS1_25partition_config_selectorILNS1_17partition_subalgoE1EjNS0_10empty_typeEbEEZZNS1_14partition_implILS5_1ELb0ES3_jN6thrust23THRUST_200600_302600_NS6detail15normal_iteratorINSA_10device_ptrIjEEEEPS6_NSA_18transform_iteratorI7is_evenIjESF_NSA_11use_defaultESK_EENS0_5tupleIJSF_NSA_16discard_iteratorISK_EEEEENSM_IJSG_SG_EEES6_PlJS6_EEE10hipError_tPvRmT3_T4_T5_T6_T7_T9_mT8_P12ihipStream_tbDpT10_ENKUlT_T0_E_clISt17integral_constantIbLb0EES1A_IbLb1EEEEDaS16_S17_EUlS16_E_NS1_11comp_targetILNS1_3genE4ELNS1_11target_archE910ELNS1_3gpuE8ELNS1_3repE0EEENS1_30default_config_static_selectorELNS0_4arch9wavefront6targetE1EEEvT1_,"axG",@progbits,_ZN7rocprim17ROCPRIM_400000_NS6detail17trampoline_kernelINS0_14default_configENS1_25partition_config_selectorILNS1_17partition_subalgoE1EjNS0_10empty_typeEbEEZZNS1_14partition_implILS5_1ELb0ES3_jN6thrust23THRUST_200600_302600_NS6detail15normal_iteratorINSA_10device_ptrIjEEEEPS6_NSA_18transform_iteratorI7is_evenIjESF_NSA_11use_defaultESK_EENS0_5tupleIJSF_NSA_16discard_iteratorISK_EEEEENSM_IJSG_SG_EEES6_PlJS6_EEE10hipError_tPvRmT3_T4_T5_T6_T7_T9_mT8_P12ihipStream_tbDpT10_ENKUlT_T0_E_clISt17integral_constantIbLb0EES1A_IbLb1EEEEDaS16_S17_EUlS16_E_NS1_11comp_targetILNS1_3genE4ELNS1_11target_archE910ELNS1_3gpuE8ELNS1_3repE0EEENS1_30default_config_static_selectorELNS0_4arch9wavefront6targetE1EEEvT1_,comdat
	.protected	_ZN7rocprim17ROCPRIM_400000_NS6detail17trampoline_kernelINS0_14default_configENS1_25partition_config_selectorILNS1_17partition_subalgoE1EjNS0_10empty_typeEbEEZZNS1_14partition_implILS5_1ELb0ES3_jN6thrust23THRUST_200600_302600_NS6detail15normal_iteratorINSA_10device_ptrIjEEEEPS6_NSA_18transform_iteratorI7is_evenIjESF_NSA_11use_defaultESK_EENS0_5tupleIJSF_NSA_16discard_iteratorISK_EEEEENSM_IJSG_SG_EEES6_PlJS6_EEE10hipError_tPvRmT3_T4_T5_T6_T7_T9_mT8_P12ihipStream_tbDpT10_ENKUlT_T0_E_clISt17integral_constantIbLb0EES1A_IbLb1EEEEDaS16_S17_EUlS16_E_NS1_11comp_targetILNS1_3genE4ELNS1_11target_archE910ELNS1_3gpuE8ELNS1_3repE0EEENS1_30default_config_static_selectorELNS0_4arch9wavefront6targetE1EEEvT1_ ; -- Begin function _ZN7rocprim17ROCPRIM_400000_NS6detail17trampoline_kernelINS0_14default_configENS1_25partition_config_selectorILNS1_17partition_subalgoE1EjNS0_10empty_typeEbEEZZNS1_14partition_implILS5_1ELb0ES3_jN6thrust23THRUST_200600_302600_NS6detail15normal_iteratorINSA_10device_ptrIjEEEEPS6_NSA_18transform_iteratorI7is_evenIjESF_NSA_11use_defaultESK_EENS0_5tupleIJSF_NSA_16discard_iteratorISK_EEEEENSM_IJSG_SG_EEES6_PlJS6_EEE10hipError_tPvRmT3_T4_T5_T6_T7_T9_mT8_P12ihipStream_tbDpT10_ENKUlT_T0_E_clISt17integral_constantIbLb0EES1A_IbLb1EEEEDaS16_S17_EUlS16_E_NS1_11comp_targetILNS1_3genE4ELNS1_11target_archE910ELNS1_3gpuE8ELNS1_3repE0EEENS1_30default_config_static_selectorELNS0_4arch9wavefront6targetE1EEEvT1_
	.globl	_ZN7rocprim17ROCPRIM_400000_NS6detail17trampoline_kernelINS0_14default_configENS1_25partition_config_selectorILNS1_17partition_subalgoE1EjNS0_10empty_typeEbEEZZNS1_14partition_implILS5_1ELb0ES3_jN6thrust23THRUST_200600_302600_NS6detail15normal_iteratorINSA_10device_ptrIjEEEEPS6_NSA_18transform_iteratorI7is_evenIjESF_NSA_11use_defaultESK_EENS0_5tupleIJSF_NSA_16discard_iteratorISK_EEEEENSM_IJSG_SG_EEES6_PlJS6_EEE10hipError_tPvRmT3_T4_T5_T6_T7_T9_mT8_P12ihipStream_tbDpT10_ENKUlT_T0_E_clISt17integral_constantIbLb0EES1A_IbLb1EEEEDaS16_S17_EUlS16_E_NS1_11comp_targetILNS1_3genE4ELNS1_11target_archE910ELNS1_3gpuE8ELNS1_3repE0EEENS1_30default_config_static_selectorELNS0_4arch9wavefront6targetE1EEEvT1_
	.p2align	8
	.type	_ZN7rocprim17ROCPRIM_400000_NS6detail17trampoline_kernelINS0_14default_configENS1_25partition_config_selectorILNS1_17partition_subalgoE1EjNS0_10empty_typeEbEEZZNS1_14partition_implILS5_1ELb0ES3_jN6thrust23THRUST_200600_302600_NS6detail15normal_iteratorINSA_10device_ptrIjEEEEPS6_NSA_18transform_iteratorI7is_evenIjESF_NSA_11use_defaultESK_EENS0_5tupleIJSF_NSA_16discard_iteratorISK_EEEEENSM_IJSG_SG_EEES6_PlJS6_EEE10hipError_tPvRmT3_T4_T5_T6_T7_T9_mT8_P12ihipStream_tbDpT10_ENKUlT_T0_E_clISt17integral_constantIbLb0EES1A_IbLb1EEEEDaS16_S17_EUlS16_E_NS1_11comp_targetILNS1_3genE4ELNS1_11target_archE910ELNS1_3gpuE8ELNS1_3repE0EEENS1_30default_config_static_selectorELNS0_4arch9wavefront6targetE1EEEvT1_,@function
_ZN7rocprim17ROCPRIM_400000_NS6detail17trampoline_kernelINS0_14default_configENS1_25partition_config_selectorILNS1_17partition_subalgoE1EjNS0_10empty_typeEbEEZZNS1_14partition_implILS5_1ELb0ES3_jN6thrust23THRUST_200600_302600_NS6detail15normal_iteratorINSA_10device_ptrIjEEEEPS6_NSA_18transform_iteratorI7is_evenIjESF_NSA_11use_defaultESK_EENS0_5tupleIJSF_NSA_16discard_iteratorISK_EEEEENSM_IJSG_SG_EEES6_PlJS6_EEE10hipError_tPvRmT3_T4_T5_T6_T7_T9_mT8_P12ihipStream_tbDpT10_ENKUlT_T0_E_clISt17integral_constantIbLb0EES1A_IbLb1EEEEDaS16_S17_EUlS16_E_NS1_11comp_targetILNS1_3genE4ELNS1_11target_archE910ELNS1_3gpuE8ELNS1_3repE0EEENS1_30default_config_static_selectorELNS0_4arch9wavefront6targetE1EEEvT1_: ; @_ZN7rocprim17ROCPRIM_400000_NS6detail17trampoline_kernelINS0_14default_configENS1_25partition_config_selectorILNS1_17partition_subalgoE1EjNS0_10empty_typeEbEEZZNS1_14partition_implILS5_1ELb0ES3_jN6thrust23THRUST_200600_302600_NS6detail15normal_iteratorINSA_10device_ptrIjEEEEPS6_NSA_18transform_iteratorI7is_evenIjESF_NSA_11use_defaultESK_EENS0_5tupleIJSF_NSA_16discard_iteratorISK_EEEEENSM_IJSG_SG_EEES6_PlJS6_EEE10hipError_tPvRmT3_T4_T5_T6_T7_T9_mT8_P12ihipStream_tbDpT10_ENKUlT_T0_E_clISt17integral_constantIbLb0EES1A_IbLb1EEEEDaS16_S17_EUlS16_E_NS1_11comp_targetILNS1_3genE4ELNS1_11target_archE910ELNS1_3gpuE8ELNS1_3repE0EEENS1_30default_config_static_selectorELNS0_4arch9wavefront6targetE1EEEvT1_
; %bb.0:
	.section	.rodata,"a",@progbits
	.p2align	6, 0x0
	.amdhsa_kernel _ZN7rocprim17ROCPRIM_400000_NS6detail17trampoline_kernelINS0_14default_configENS1_25partition_config_selectorILNS1_17partition_subalgoE1EjNS0_10empty_typeEbEEZZNS1_14partition_implILS5_1ELb0ES3_jN6thrust23THRUST_200600_302600_NS6detail15normal_iteratorINSA_10device_ptrIjEEEEPS6_NSA_18transform_iteratorI7is_evenIjESF_NSA_11use_defaultESK_EENS0_5tupleIJSF_NSA_16discard_iteratorISK_EEEEENSM_IJSG_SG_EEES6_PlJS6_EEE10hipError_tPvRmT3_T4_T5_T6_T7_T9_mT8_P12ihipStream_tbDpT10_ENKUlT_T0_E_clISt17integral_constantIbLb0EES1A_IbLb1EEEEDaS16_S17_EUlS16_E_NS1_11comp_targetILNS1_3genE4ELNS1_11target_archE910ELNS1_3gpuE8ELNS1_3repE0EEENS1_30default_config_static_selectorELNS0_4arch9wavefront6targetE1EEEvT1_
		.amdhsa_group_segment_fixed_size 0
		.amdhsa_private_segment_fixed_size 0
		.amdhsa_kernarg_size 152
		.amdhsa_user_sgpr_count 2
		.amdhsa_user_sgpr_dispatch_ptr 0
		.amdhsa_user_sgpr_queue_ptr 0
		.amdhsa_user_sgpr_kernarg_segment_ptr 1
		.amdhsa_user_sgpr_dispatch_id 0
		.amdhsa_user_sgpr_kernarg_preload_length 0
		.amdhsa_user_sgpr_kernarg_preload_offset 0
		.amdhsa_user_sgpr_private_segment_size 0
		.amdhsa_uses_dynamic_stack 0
		.amdhsa_enable_private_segment 0
		.amdhsa_system_sgpr_workgroup_id_x 1
		.amdhsa_system_sgpr_workgroup_id_y 0
		.amdhsa_system_sgpr_workgroup_id_z 0
		.amdhsa_system_sgpr_workgroup_info 0
		.amdhsa_system_vgpr_workitem_id 0
		.amdhsa_next_free_vgpr 1
		.amdhsa_next_free_sgpr 0
		.amdhsa_accum_offset 4
		.amdhsa_reserve_vcc 0
		.amdhsa_float_round_mode_32 0
		.amdhsa_float_round_mode_16_64 0
		.amdhsa_float_denorm_mode_32 3
		.amdhsa_float_denorm_mode_16_64 3
		.amdhsa_dx10_clamp 1
		.amdhsa_ieee_mode 1
		.amdhsa_fp16_overflow 0
		.amdhsa_tg_split 0
		.amdhsa_exception_fp_ieee_invalid_op 0
		.amdhsa_exception_fp_denorm_src 0
		.amdhsa_exception_fp_ieee_div_zero 0
		.amdhsa_exception_fp_ieee_overflow 0
		.amdhsa_exception_fp_ieee_underflow 0
		.amdhsa_exception_fp_ieee_inexact 0
		.amdhsa_exception_int_div_zero 0
	.end_amdhsa_kernel
	.section	.text._ZN7rocprim17ROCPRIM_400000_NS6detail17trampoline_kernelINS0_14default_configENS1_25partition_config_selectorILNS1_17partition_subalgoE1EjNS0_10empty_typeEbEEZZNS1_14partition_implILS5_1ELb0ES3_jN6thrust23THRUST_200600_302600_NS6detail15normal_iteratorINSA_10device_ptrIjEEEEPS6_NSA_18transform_iteratorI7is_evenIjESF_NSA_11use_defaultESK_EENS0_5tupleIJSF_NSA_16discard_iteratorISK_EEEEENSM_IJSG_SG_EEES6_PlJS6_EEE10hipError_tPvRmT3_T4_T5_T6_T7_T9_mT8_P12ihipStream_tbDpT10_ENKUlT_T0_E_clISt17integral_constantIbLb0EES1A_IbLb1EEEEDaS16_S17_EUlS16_E_NS1_11comp_targetILNS1_3genE4ELNS1_11target_archE910ELNS1_3gpuE8ELNS1_3repE0EEENS1_30default_config_static_selectorELNS0_4arch9wavefront6targetE1EEEvT1_,"axG",@progbits,_ZN7rocprim17ROCPRIM_400000_NS6detail17trampoline_kernelINS0_14default_configENS1_25partition_config_selectorILNS1_17partition_subalgoE1EjNS0_10empty_typeEbEEZZNS1_14partition_implILS5_1ELb0ES3_jN6thrust23THRUST_200600_302600_NS6detail15normal_iteratorINSA_10device_ptrIjEEEEPS6_NSA_18transform_iteratorI7is_evenIjESF_NSA_11use_defaultESK_EENS0_5tupleIJSF_NSA_16discard_iteratorISK_EEEEENSM_IJSG_SG_EEES6_PlJS6_EEE10hipError_tPvRmT3_T4_T5_T6_T7_T9_mT8_P12ihipStream_tbDpT10_ENKUlT_T0_E_clISt17integral_constantIbLb0EES1A_IbLb1EEEEDaS16_S17_EUlS16_E_NS1_11comp_targetILNS1_3genE4ELNS1_11target_archE910ELNS1_3gpuE8ELNS1_3repE0EEENS1_30default_config_static_selectorELNS0_4arch9wavefront6targetE1EEEvT1_,comdat
.Lfunc_end3029:
	.size	_ZN7rocprim17ROCPRIM_400000_NS6detail17trampoline_kernelINS0_14default_configENS1_25partition_config_selectorILNS1_17partition_subalgoE1EjNS0_10empty_typeEbEEZZNS1_14partition_implILS5_1ELb0ES3_jN6thrust23THRUST_200600_302600_NS6detail15normal_iteratorINSA_10device_ptrIjEEEEPS6_NSA_18transform_iteratorI7is_evenIjESF_NSA_11use_defaultESK_EENS0_5tupleIJSF_NSA_16discard_iteratorISK_EEEEENSM_IJSG_SG_EEES6_PlJS6_EEE10hipError_tPvRmT3_T4_T5_T6_T7_T9_mT8_P12ihipStream_tbDpT10_ENKUlT_T0_E_clISt17integral_constantIbLb0EES1A_IbLb1EEEEDaS16_S17_EUlS16_E_NS1_11comp_targetILNS1_3genE4ELNS1_11target_archE910ELNS1_3gpuE8ELNS1_3repE0EEENS1_30default_config_static_selectorELNS0_4arch9wavefront6targetE1EEEvT1_, .Lfunc_end3029-_ZN7rocprim17ROCPRIM_400000_NS6detail17trampoline_kernelINS0_14default_configENS1_25partition_config_selectorILNS1_17partition_subalgoE1EjNS0_10empty_typeEbEEZZNS1_14partition_implILS5_1ELb0ES3_jN6thrust23THRUST_200600_302600_NS6detail15normal_iteratorINSA_10device_ptrIjEEEEPS6_NSA_18transform_iteratorI7is_evenIjESF_NSA_11use_defaultESK_EENS0_5tupleIJSF_NSA_16discard_iteratorISK_EEEEENSM_IJSG_SG_EEES6_PlJS6_EEE10hipError_tPvRmT3_T4_T5_T6_T7_T9_mT8_P12ihipStream_tbDpT10_ENKUlT_T0_E_clISt17integral_constantIbLb0EES1A_IbLb1EEEEDaS16_S17_EUlS16_E_NS1_11comp_targetILNS1_3genE4ELNS1_11target_archE910ELNS1_3gpuE8ELNS1_3repE0EEENS1_30default_config_static_selectorELNS0_4arch9wavefront6targetE1EEEvT1_
                                        ; -- End function
	.section	.AMDGPU.csdata,"",@progbits
; Kernel info:
; codeLenInByte = 0
; NumSgprs: 6
; NumVgprs: 0
; NumAgprs: 0
; TotalNumVgprs: 0
; ScratchSize: 0
; MemoryBound: 0
; FloatMode: 240
; IeeeMode: 1
; LDSByteSize: 0 bytes/workgroup (compile time only)
; SGPRBlocks: 0
; VGPRBlocks: 0
; NumSGPRsForWavesPerEU: 6
; NumVGPRsForWavesPerEU: 1
; AccumOffset: 4
; Occupancy: 8
; WaveLimiterHint : 0
; COMPUTE_PGM_RSRC2:SCRATCH_EN: 0
; COMPUTE_PGM_RSRC2:USER_SGPR: 2
; COMPUTE_PGM_RSRC2:TRAP_HANDLER: 0
; COMPUTE_PGM_RSRC2:TGID_X_EN: 1
; COMPUTE_PGM_RSRC2:TGID_Y_EN: 0
; COMPUTE_PGM_RSRC2:TGID_Z_EN: 0
; COMPUTE_PGM_RSRC2:TIDIG_COMP_CNT: 0
; COMPUTE_PGM_RSRC3_GFX90A:ACCUM_OFFSET: 0
; COMPUTE_PGM_RSRC3_GFX90A:TG_SPLIT: 0
	.section	.text._ZN7rocprim17ROCPRIM_400000_NS6detail17trampoline_kernelINS0_14default_configENS1_25partition_config_selectorILNS1_17partition_subalgoE1EjNS0_10empty_typeEbEEZZNS1_14partition_implILS5_1ELb0ES3_jN6thrust23THRUST_200600_302600_NS6detail15normal_iteratorINSA_10device_ptrIjEEEEPS6_NSA_18transform_iteratorI7is_evenIjESF_NSA_11use_defaultESK_EENS0_5tupleIJSF_NSA_16discard_iteratorISK_EEEEENSM_IJSG_SG_EEES6_PlJS6_EEE10hipError_tPvRmT3_T4_T5_T6_T7_T9_mT8_P12ihipStream_tbDpT10_ENKUlT_T0_E_clISt17integral_constantIbLb0EES1A_IbLb1EEEEDaS16_S17_EUlS16_E_NS1_11comp_targetILNS1_3genE3ELNS1_11target_archE908ELNS1_3gpuE7ELNS1_3repE0EEENS1_30default_config_static_selectorELNS0_4arch9wavefront6targetE1EEEvT1_,"axG",@progbits,_ZN7rocprim17ROCPRIM_400000_NS6detail17trampoline_kernelINS0_14default_configENS1_25partition_config_selectorILNS1_17partition_subalgoE1EjNS0_10empty_typeEbEEZZNS1_14partition_implILS5_1ELb0ES3_jN6thrust23THRUST_200600_302600_NS6detail15normal_iteratorINSA_10device_ptrIjEEEEPS6_NSA_18transform_iteratorI7is_evenIjESF_NSA_11use_defaultESK_EENS0_5tupleIJSF_NSA_16discard_iteratorISK_EEEEENSM_IJSG_SG_EEES6_PlJS6_EEE10hipError_tPvRmT3_T4_T5_T6_T7_T9_mT8_P12ihipStream_tbDpT10_ENKUlT_T0_E_clISt17integral_constantIbLb0EES1A_IbLb1EEEEDaS16_S17_EUlS16_E_NS1_11comp_targetILNS1_3genE3ELNS1_11target_archE908ELNS1_3gpuE7ELNS1_3repE0EEENS1_30default_config_static_selectorELNS0_4arch9wavefront6targetE1EEEvT1_,comdat
	.protected	_ZN7rocprim17ROCPRIM_400000_NS6detail17trampoline_kernelINS0_14default_configENS1_25partition_config_selectorILNS1_17partition_subalgoE1EjNS0_10empty_typeEbEEZZNS1_14partition_implILS5_1ELb0ES3_jN6thrust23THRUST_200600_302600_NS6detail15normal_iteratorINSA_10device_ptrIjEEEEPS6_NSA_18transform_iteratorI7is_evenIjESF_NSA_11use_defaultESK_EENS0_5tupleIJSF_NSA_16discard_iteratorISK_EEEEENSM_IJSG_SG_EEES6_PlJS6_EEE10hipError_tPvRmT3_T4_T5_T6_T7_T9_mT8_P12ihipStream_tbDpT10_ENKUlT_T0_E_clISt17integral_constantIbLb0EES1A_IbLb1EEEEDaS16_S17_EUlS16_E_NS1_11comp_targetILNS1_3genE3ELNS1_11target_archE908ELNS1_3gpuE7ELNS1_3repE0EEENS1_30default_config_static_selectorELNS0_4arch9wavefront6targetE1EEEvT1_ ; -- Begin function _ZN7rocprim17ROCPRIM_400000_NS6detail17trampoline_kernelINS0_14default_configENS1_25partition_config_selectorILNS1_17partition_subalgoE1EjNS0_10empty_typeEbEEZZNS1_14partition_implILS5_1ELb0ES3_jN6thrust23THRUST_200600_302600_NS6detail15normal_iteratorINSA_10device_ptrIjEEEEPS6_NSA_18transform_iteratorI7is_evenIjESF_NSA_11use_defaultESK_EENS0_5tupleIJSF_NSA_16discard_iteratorISK_EEEEENSM_IJSG_SG_EEES6_PlJS6_EEE10hipError_tPvRmT3_T4_T5_T6_T7_T9_mT8_P12ihipStream_tbDpT10_ENKUlT_T0_E_clISt17integral_constantIbLb0EES1A_IbLb1EEEEDaS16_S17_EUlS16_E_NS1_11comp_targetILNS1_3genE3ELNS1_11target_archE908ELNS1_3gpuE7ELNS1_3repE0EEENS1_30default_config_static_selectorELNS0_4arch9wavefront6targetE1EEEvT1_
	.globl	_ZN7rocprim17ROCPRIM_400000_NS6detail17trampoline_kernelINS0_14default_configENS1_25partition_config_selectorILNS1_17partition_subalgoE1EjNS0_10empty_typeEbEEZZNS1_14partition_implILS5_1ELb0ES3_jN6thrust23THRUST_200600_302600_NS6detail15normal_iteratorINSA_10device_ptrIjEEEEPS6_NSA_18transform_iteratorI7is_evenIjESF_NSA_11use_defaultESK_EENS0_5tupleIJSF_NSA_16discard_iteratorISK_EEEEENSM_IJSG_SG_EEES6_PlJS6_EEE10hipError_tPvRmT3_T4_T5_T6_T7_T9_mT8_P12ihipStream_tbDpT10_ENKUlT_T0_E_clISt17integral_constantIbLb0EES1A_IbLb1EEEEDaS16_S17_EUlS16_E_NS1_11comp_targetILNS1_3genE3ELNS1_11target_archE908ELNS1_3gpuE7ELNS1_3repE0EEENS1_30default_config_static_selectorELNS0_4arch9wavefront6targetE1EEEvT1_
	.p2align	8
	.type	_ZN7rocprim17ROCPRIM_400000_NS6detail17trampoline_kernelINS0_14default_configENS1_25partition_config_selectorILNS1_17partition_subalgoE1EjNS0_10empty_typeEbEEZZNS1_14partition_implILS5_1ELb0ES3_jN6thrust23THRUST_200600_302600_NS6detail15normal_iteratorINSA_10device_ptrIjEEEEPS6_NSA_18transform_iteratorI7is_evenIjESF_NSA_11use_defaultESK_EENS0_5tupleIJSF_NSA_16discard_iteratorISK_EEEEENSM_IJSG_SG_EEES6_PlJS6_EEE10hipError_tPvRmT3_T4_T5_T6_T7_T9_mT8_P12ihipStream_tbDpT10_ENKUlT_T0_E_clISt17integral_constantIbLb0EES1A_IbLb1EEEEDaS16_S17_EUlS16_E_NS1_11comp_targetILNS1_3genE3ELNS1_11target_archE908ELNS1_3gpuE7ELNS1_3repE0EEENS1_30default_config_static_selectorELNS0_4arch9wavefront6targetE1EEEvT1_,@function
_ZN7rocprim17ROCPRIM_400000_NS6detail17trampoline_kernelINS0_14default_configENS1_25partition_config_selectorILNS1_17partition_subalgoE1EjNS0_10empty_typeEbEEZZNS1_14partition_implILS5_1ELb0ES3_jN6thrust23THRUST_200600_302600_NS6detail15normal_iteratorINSA_10device_ptrIjEEEEPS6_NSA_18transform_iteratorI7is_evenIjESF_NSA_11use_defaultESK_EENS0_5tupleIJSF_NSA_16discard_iteratorISK_EEEEENSM_IJSG_SG_EEES6_PlJS6_EEE10hipError_tPvRmT3_T4_T5_T6_T7_T9_mT8_P12ihipStream_tbDpT10_ENKUlT_T0_E_clISt17integral_constantIbLb0EES1A_IbLb1EEEEDaS16_S17_EUlS16_E_NS1_11comp_targetILNS1_3genE3ELNS1_11target_archE908ELNS1_3gpuE7ELNS1_3repE0EEENS1_30default_config_static_selectorELNS0_4arch9wavefront6targetE1EEEvT1_: ; @_ZN7rocprim17ROCPRIM_400000_NS6detail17trampoline_kernelINS0_14default_configENS1_25partition_config_selectorILNS1_17partition_subalgoE1EjNS0_10empty_typeEbEEZZNS1_14partition_implILS5_1ELb0ES3_jN6thrust23THRUST_200600_302600_NS6detail15normal_iteratorINSA_10device_ptrIjEEEEPS6_NSA_18transform_iteratorI7is_evenIjESF_NSA_11use_defaultESK_EENS0_5tupleIJSF_NSA_16discard_iteratorISK_EEEEENSM_IJSG_SG_EEES6_PlJS6_EEE10hipError_tPvRmT3_T4_T5_T6_T7_T9_mT8_P12ihipStream_tbDpT10_ENKUlT_T0_E_clISt17integral_constantIbLb0EES1A_IbLb1EEEEDaS16_S17_EUlS16_E_NS1_11comp_targetILNS1_3genE3ELNS1_11target_archE908ELNS1_3gpuE7ELNS1_3repE0EEENS1_30default_config_static_selectorELNS0_4arch9wavefront6targetE1EEEvT1_
; %bb.0:
	.section	.rodata,"a",@progbits
	.p2align	6, 0x0
	.amdhsa_kernel _ZN7rocprim17ROCPRIM_400000_NS6detail17trampoline_kernelINS0_14default_configENS1_25partition_config_selectorILNS1_17partition_subalgoE1EjNS0_10empty_typeEbEEZZNS1_14partition_implILS5_1ELb0ES3_jN6thrust23THRUST_200600_302600_NS6detail15normal_iteratorINSA_10device_ptrIjEEEEPS6_NSA_18transform_iteratorI7is_evenIjESF_NSA_11use_defaultESK_EENS0_5tupleIJSF_NSA_16discard_iteratorISK_EEEEENSM_IJSG_SG_EEES6_PlJS6_EEE10hipError_tPvRmT3_T4_T5_T6_T7_T9_mT8_P12ihipStream_tbDpT10_ENKUlT_T0_E_clISt17integral_constantIbLb0EES1A_IbLb1EEEEDaS16_S17_EUlS16_E_NS1_11comp_targetILNS1_3genE3ELNS1_11target_archE908ELNS1_3gpuE7ELNS1_3repE0EEENS1_30default_config_static_selectorELNS0_4arch9wavefront6targetE1EEEvT1_
		.amdhsa_group_segment_fixed_size 0
		.amdhsa_private_segment_fixed_size 0
		.amdhsa_kernarg_size 152
		.amdhsa_user_sgpr_count 2
		.amdhsa_user_sgpr_dispatch_ptr 0
		.amdhsa_user_sgpr_queue_ptr 0
		.amdhsa_user_sgpr_kernarg_segment_ptr 1
		.amdhsa_user_sgpr_dispatch_id 0
		.amdhsa_user_sgpr_kernarg_preload_length 0
		.amdhsa_user_sgpr_kernarg_preload_offset 0
		.amdhsa_user_sgpr_private_segment_size 0
		.amdhsa_uses_dynamic_stack 0
		.amdhsa_enable_private_segment 0
		.amdhsa_system_sgpr_workgroup_id_x 1
		.amdhsa_system_sgpr_workgroup_id_y 0
		.amdhsa_system_sgpr_workgroup_id_z 0
		.amdhsa_system_sgpr_workgroup_info 0
		.amdhsa_system_vgpr_workitem_id 0
		.amdhsa_next_free_vgpr 1
		.amdhsa_next_free_sgpr 0
		.amdhsa_accum_offset 4
		.amdhsa_reserve_vcc 0
		.amdhsa_float_round_mode_32 0
		.amdhsa_float_round_mode_16_64 0
		.amdhsa_float_denorm_mode_32 3
		.amdhsa_float_denorm_mode_16_64 3
		.amdhsa_dx10_clamp 1
		.amdhsa_ieee_mode 1
		.amdhsa_fp16_overflow 0
		.amdhsa_tg_split 0
		.amdhsa_exception_fp_ieee_invalid_op 0
		.amdhsa_exception_fp_denorm_src 0
		.amdhsa_exception_fp_ieee_div_zero 0
		.amdhsa_exception_fp_ieee_overflow 0
		.amdhsa_exception_fp_ieee_underflow 0
		.amdhsa_exception_fp_ieee_inexact 0
		.amdhsa_exception_int_div_zero 0
	.end_amdhsa_kernel
	.section	.text._ZN7rocprim17ROCPRIM_400000_NS6detail17trampoline_kernelINS0_14default_configENS1_25partition_config_selectorILNS1_17partition_subalgoE1EjNS0_10empty_typeEbEEZZNS1_14partition_implILS5_1ELb0ES3_jN6thrust23THRUST_200600_302600_NS6detail15normal_iteratorINSA_10device_ptrIjEEEEPS6_NSA_18transform_iteratorI7is_evenIjESF_NSA_11use_defaultESK_EENS0_5tupleIJSF_NSA_16discard_iteratorISK_EEEEENSM_IJSG_SG_EEES6_PlJS6_EEE10hipError_tPvRmT3_T4_T5_T6_T7_T9_mT8_P12ihipStream_tbDpT10_ENKUlT_T0_E_clISt17integral_constantIbLb0EES1A_IbLb1EEEEDaS16_S17_EUlS16_E_NS1_11comp_targetILNS1_3genE3ELNS1_11target_archE908ELNS1_3gpuE7ELNS1_3repE0EEENS1_30default_config_static_selectorELNS0_4arch9wavefront6targetE1EEEvT1_,"axG",@progbits,_ZN7rocprim17ROCPRIM_400000_NS6detail17trampoline_kernelINS0_14default_configENS1_25partition_config_selectorILNS1_17partition_subalgoE1EjNS0_10empty_typeEbEEZZNS1_14partition_implILS5_1ELb0ES3_jN6thrust23THRUST_200600_302600_NS6detail15normal_iteratorINSA_10device_ptrIjEEEEPS6_NSA_18transform_iteratorI7is_evenIjESF_NSA_11use_defaultESK_EENS0_5tupleIJSF_NSA_16discard_iteratorISK_EEEEENSM_IJSG_SG_EEES6_PlJS6_EEE10hipError_tPvRmT3_T4_T5_T6_T7_T9_mT8_P12ihipStream_tbDpT10_ENKUlT_T0_E_clISt17integral_constantIbLb0EES1A_IbLb1EEEEDaS16_S17_EUlS16_E_NS1_11comp_targetILNS1_3genE3ELNS1_11target_archE908ELNS1_3gpuE7ELNS1_3repE0EEENS1_30default_config_static_selectorELNS0_4arch9wavefront6targetE1EEEvT1_,comdat
.Lfunc_end3030:
	.size	_ZN7rocprim17ROCPRIM_400000_NS6detail17trampoline_kernelINS0_14default_configENS1_25partition_config_selectorILNS1_17partition_subalgoE1EjNS0_10empty_typeEbEEZZNS1_14partition_implILS5_1ELb0ES3_jN6thrust23THRUST_200600_302600_NS6detail15normal_iteratorINSA_10device_ptrIjEEEEPS6_NSA_18transform_iteratorI7is_evenIjESF_NSA_11use_defaultESK_EENS0_5tupleIJSF_NSA_16discard_iteratorISK_EEEEENSM_IJSG_SG_EEES6_PlJS6_EEE10hipError_tPvRmT3_T4_T5_T6_T7_T9_mT8_P12ihipStream_tbDpT10_ENKUlT_T0_E_clISt17integral_constantIbLb0EES1A_IbLb1EEEEDaS16_S17_EUlS16_E_NS1_11comp_targetILNS1_3genE3ELNS1_11target_archE908ELNS1_3gpuE7ELNS1_3repE0EEENS1_30default_config_static_selectorELNS0_4arch9wavefront6targetE1EEEvT1_, .Lfunc_end3030-_ZN7rocprim17ROCPRIM_400000_NS6detail17trampoline_kernelINS0_14default_configENS1_25partition_config_selectorILNS1_17partition_subalgoE1EjNS0_10empty_typeEbEEZZNS1_14partition_implILS5_1ELb0ES3_jN6thrust23THRUST_200600_302600_NS6detail15normal_iteratorINSA_10device_ptrIjEEEEPS6_NSA_18transform_iteratorI7is_evenIjESF_NSA_11use_defaultESK_EENS0_5tupleIJSF_NSA_16discard_iteratorISK_EEEEENSM_IJSG_SG_EEES6_PlJS6_EEE10hipError_tPvRmT3_T4_T5_T6_T7_T9_mT8_P12ihipStream_tbDpT10_ENKUlT_T0_E_clISt17integral_constantIbLb0EES1A_IbLb1EEEEDaS16_S17_EUlS16_E_NS1_11comp_targetILNS1_3genE3ELNS1_11target_archE908ELNS1_3gpuE7ELNS1_3repE0EEENS1_30default_config_static_selectorELNS0_4arch9wavefront6targetE1EEEvT1_
                                        ; -- End function
	.section	.AMDGPU.csdata,"",@progbits
; Kernel info:
; codeLenInByte = 0
; NumSgprs: 6
; NumVgprs: 0
; NumAgprs: 0
; TotalNumVgprs: 0
; ScratchSize: 0
; MemoryBound: 0
; FloatMode: 240
; IeeeMode: 1
; LDSByteSize: 0 bytes/workgroup (compile time only)
; SGPRBlocks: 0
; VGPRBlocks: 0
; NumSGPRsForWavesPerEU: 6
; NumVGPRsForWavesPerEU: 1
; AccumOffset: 4
; Occupancy: 8
; WaveLimiterHint : 0
; COMPUTE_PGM_RSRC2:SCRATCH_EN: 0
; COMPUTE_PGM_RSRC2:USER_SGPR: 2
; COMPUTE_PGM_RSRC2:TRAP_HANDLER: 0
; COMPUTE_PGM_RSRC2:TGID_X_EN: 1
; COMPUTE_PGM_RSRC2:TGID_Y_EN: 0
; COMPUTE_PGM_RSRC2:TGID_Z_EN: 0
; COMPUTE_PGM_RSRC2:TIDIG_COMP_CNT: 0
; COMPUTE_PGM_RSRC3_GFX90A:ACCUM_OFFSET: 0
; COMPUTE_PGM_RSRC3_GFX90A:TG_SPLIT: 0
	.section	.text._ZN7rocprim17ROCPRIM_400000_NS6detail17trampoline_kernelINS0_14default_configENS1_25partition_config_selectorILNS1_17partition_subalgoE1EjNS0_10empty_typeEbEEZZNS1_14partition_implILS5_1ELb0ES3_jN6thrust23THRUST_200600_302600_NS6detail15normal_iteratorINSA_10device_ptrIjEEEEPS6_NSA_18transform_iteratorI7is_evenIjESF_NSA_11use_defaultESK_EENS0_5tupleIJSF_NSA_16discard_iteratorISK_EEEEENSM_IJSG_SG_EEES6_PlJS6_EEE10hipError_tPvRmT3_T4_T5_T6_T7_T9_mT8_P12ihipStream_tbDpT10_ENKUlT_T0_E_clISt17integral_constantIbLb0EES1A_IbLb1EEEEDaS16_S17_EUlS16_E_NS1_11comp_targetILNS1_3genE2ELNS1_11target_archE906ELNS1_3gpuE6ELNS1_3repE0EEENS1_30default_config_static_selectorELNS0_4arch9wavefront6targetE1EEEvT1_,"axG",@progbits,_ZN7rocprim17ROCPRIM_400000_NS6detail17trampoline_kernelINS0_14default_configENS1_25partition_config_selectorILNS1_17partition_subalgoE1EjNS0_10empty_typeEbEEZZNS1_14partition_implILS5_1ELb0ES3_jN6thrust23THRUST_200600_302600_NS6detail15normal_iteratorINSA_10device_ptrIjEEEEPS6_NSA_18transform_iteratorI7is_evenIjESF_NSA_11use_defaultESK_EENS0_5tupleIJSF_NSA_16discard_iteratorISK_EEEEENSM_IJSG_SG_EEES6_PlJS6_EEE10hipError_tPvRmT3_T4_T5_T6_T7_T9_mT8_P12ihipStream_tbDpT10_ENKUlT_T0_E_clISt17integral_constantIbLb0EES1A_IbLb1EEEEDaS16_S17_EUlS16_E_NS1_11comp_targetILNS1_3genE2ELNS1_11target_archE906ELNS1_3gpuE6ELNS1_3repE0EEENS1_30default_config_static_selectorELNS0_4arch9wavefront6targetE1EEEvT1_,comdat
	.protected	_ZN7rocprim17ROCPRIM_400000_NS6detail17trampoline_kernelINS0_14default_configENS1_25partition_config_selectorILNS1_17partition_subalgoE1EjNS0_10empty_typeEbEEZZNS1_14partition_implILS5_1ELb0ES3_jN6thrust23THRUST_200600_302600_NS6detail15normal_iteratorINSA_10device_ptrIjEEEEPS6_NSA_18transform_iteratorI7is_evenIjESF_NSA_11use_defaultESK_EENS0_5tupleIJSF_NSA_16discard_iteratorISK_EEEEENSM_IJSG_SG_EEES6_PlJS6_EEE10hipError_tPvRmT3_T4_T5_T6_T7_T9_mT8_P12ihipStream_tbDpT10_ENKUlT_T0_E_clISt17integral_constantIbLb0EES1A_IbLb1EEEEDaS16_S17_EUlS16_E_NS1_11comp_targetILNS1_3genE2ELNS1_11target_archE906ELNS1_3gpuE6ELNS1_3repE0EEENS1_30default_config_static_selectorELNS0_4arch9wavefront6targetE1EEEvT1_ ; -- Begin function _ZN7rocprim17ROCPRIM_400000_NS6detail17trampoline_kernelINS0_14default_configENS1_25partition_config_selectorILNS1_17partition_subalgoE1EjNS0_10empty_typeEbEEZZNS1_14partition_implILS5_1ELb0ES3_jN6thrust23THRUST_200600_302600_NS6detail15normal_iteratorINSA_10device_ptrIjEEEEPS6_NSA_18transform_iteratorI7is_evenIjESF_NSA_11use_defaultESK_EENS0_5tupleIJSF_NSA_16discard_iteratorISK_EEEEENSM_IJSG_SG_EEES6_PlJS6_EEE10hipError_tPvRmT3_T4_T5_T6_T7_T9_mT8_P12ihipStream_tbDpT10_ENKUlT_T0_E_clISt17integral_constantIbLb0EES1A_IbLb1EEEEDaS16_S17_EUlS16_E_NS1_11comp_targetILNS1_3genE2ELNS1_11target_archE906ELNS1_3gpuE6ELNS1_3repE0EEENS1_30default_config_static_selectorELNS0_4arch9wavefront6targetE1EEEvT1_
	.globl	_ZN7rocprim17ROCPRIM_400000_NS6detail17trampoline_kernelINS0_14default_configENS1_25partition_config_selectorILNS1_17partition_subalgoE1EjNS0_10empty_typeEbEEZZNS1_14partition_implILS5_1ELb0ES3_jN6thrust23THRUST_200600_302600_NS6detail15normal_iteratorINSA_10device_ptrIjEEEEPS6_NSA_18transform_iteratorI7is_evenIjESF_NSA_11use_defaultESK_EENS0_5tupleIJSF_NSA_16discard_iteratorISK_EEEEENSM_IJSG_SG_EEES6_PlJS6_EEE10hipError_tPvRmT3_T4_T5_T6_T7_T9_mT8_P12ihipStream_tbDpT10_ENKUlT_T0_E_clISt17integral_constantIbLb0EES1A_IbLb1EEEEDaS16_S17_EUlS16_E_NS1_11comp_targetILNS1_3genE2ELNS1_11target_archE906ELNS1_3gpuE6ELNS1_3repE0EEENS1_30default_config_static_selectorELNS0_4arch9wavefront6targetE1EEEvT1_
	.p2align	8
	.type	_ZN7rocprim17ROCPRIM_400000_NS6detail17trampoline_kernelINS0_14default_configENS1_25partition_config_selectorILNS1_17partition_subalgoE1EjNS0_10empty_typeEbEEZZNS1_14partition_implILS5_1ELb0ES3_jN6thrust23THRUST_200600_302600_NS6detail15normal_iteratorINSA_10device_ptrIjEEEEPS6_NSA_18transform_iteratorI7is_evenIjESF_NSA_11use_defaultESK_EENS0_5tupleIJSF_NSA_16discard_iteratorISK_EEEEENSM_IJSG_SG_EEES6_PlJS6_EEE10hipError_tPvRmT3_T4_T5_T6_T7_T9_mT8_P12ihipStream_tbDpT10_ENKUlT_T0_E_clISt17integral_constantIbLb0EES1A_IbLb1EEEEDaS16_S17_EUlS16_E_NS1_11comp_targetILNS1_3genE2ELNS1_11target_archE906ELNS1_3gpuE6ELNS1_3repE0EEENS1_30default_config_static_selectorELNS0_4arch9wavefront6targetE1EEEvT1_,@function
_ZN7rocprim17ROCPRIM_400000_NS6detail17trampoline_kernelINS0_14default_configENS1_25partition_config_selectorILNS1_17partition_subalgoE1EjNS0_10empty_typeEbEEZZNS1_14partition_implILS5_1ELb0ES3_jN6thrust23THRUST_200600_302600_NS6detail15normal_iteratorINSA_10device_ptrIjEEEEPS6_NSA_18transform_iteratorI7is_evenIjESF_NSA_11use_defaultESK_EENS0_5tupleIJSF_NSA_16discard_iteratorISK_EEEEENSM_IJSG_SG_EEES6_PlJS6_EEE10hipError_tPvRmT3_T4_T5_T6_T7_T9_mT8_P12ihipStream_tbDpT10_ENKUlT_T0_E_clISt17integral_constantIbLb0EES1A_IbLb1EEEEDaS16_S17_EUlS16_E_NS1_11comp_targetILNS1_3genE2ELNS1_11target_archE906ELNS1_3gpuE6ELNS1_3repE0EEENS1_30default_config_static_selectorELNS0_4arch9wavefront6targetE1EEEvT1_: ; @_ZN7rocprim17ROCPRIM_400000_NS6detail17trampoline_kernelINS0_14default_configENS1_25partition_config_selectorILNS1_17partition_subalgoE1EjNS0_10empty_typeEbEEZZNS1_14partition_implILS5_1ELb0ES3_jN6thrust23THRUST_200600_302600_NS6detail15normal_iteratorINSA_10device_ptrIjEEEEPS6_NSA_18transform_iteratorI7is_evenIjESF_NSA_11use_defaultESK_EENS0_5tupleIJSF_NSA_16discard_iteratorISK_EEEEENSM_IJSG_SG_EEES6_PlJS6_EEE10hipError_tPvRmT3_T4_T5_T6_T7_T9_mT8_P12ihipStream_tbDpT10_ENKUlT_T0_E_clISt17integral_constantIbLb0EES1A_IbLb1EEEEDaS16_S17_EUlS16_E_NS1_11comp_targetILNS1_3genE2ELNS1_11target_archE906ELNS1_3gpuE6ELNS1_3repE0EEENS1_30default_config_static_selectorELNS0_4arch9wavefront6targetE1EEEvT1_
; %bb.0:
	.section	.rodata,"a",@progbits
	.p2align	6, 0x0
	.amdhsa_kernel _ZN7rocprim17ROCPRIM_400000_NS6detail17trampoline_kernelINS0_14default_configENS1_25partition_config_selectorILNS1_17partition_subalgoE1EjNS0_10empty_typeEbEEZZNS1_14partition_implILS5_1ELb0ES3_jN6thrust23THRUST_200600_302600_NS6detail15normal_iteratorINSA_10device_ptrIjEEEEPS6_NSA_18transform_iteratorI7is_evenIjESF_NSA_11use_defaultESK_EENS0_5tupleIJSF_NSA_16discard_iteratorISK_EEEEENSM_IJSG_SG_EEES6_PlJS6_EEE10hipError_tPvRmT3_T4_T5_T6_T7_T9_mT8_P12ihipStream_tbDpT10_ENKUlT_T0_E_clISt17integral_constantIbLb0EES1A_IbLb1EEEEDaS16_S17_EUlS16_E_NS1_11comp_targetILNS1_3genE2ELNS1_11target_archE906ELNS1_3gpuE6ELNS1_3repE0EEENS1_30default_config_static_selectorELNS0_4arch9wavefront6targetE1EEEvT1_
		.amdhsa_group_segment_fixed_size 0
		.amdhsa_private_segment_fixed_size 0
		.amdhsa_kernarg_size 152
		.amdhsa_user_sgpr_count 2
		.amdhsa_user_sgpr_dispatch_ptr 0
		.amdhsa_user_sgpr_queue_ptr 0
		.amdhsa_user_sgpr_kernarg_segment_ptr 1
		.amdhsa_user_sgpr_dispatch_id 0
		.amdhsa_user_sgpr_kernarg_preload_length 0
		.amdhsa_user_sgpr_kernarg_preload_offset 0
		.amdhsa_user_sgpr_private_segment_size 0
		.amdhsa_uses_dynamic_stack 0
		.amdhsa_enable_private_segment 0
		.amdhsa_system_sgpr_workgroup_id_x 1
		.amdhsa_system_sgpr_workgroup_id_y 0
		.amdhsa_system_sgpr_workgroup_id_z 0
		.amdhsa_system_sgpr_workgroup_info 0
		.amdhsa_system_vgpr_workitem_id 0
		.amdhsa_next_free_vgpr 1
		.amdhsa_next_free_sgpr 0
		.amdhsa_accum_offset 4
		.amdhsa_reserve_vcc 0
		.amdhsa_float_round_mode_32 0
		.amdhsa_float_round_mode_16_64 0
		.amdhsa_float_denorm_mode_32 3
		.amdhsa_float_denorm_mode_16_64 3
		.amdhsa_dx10_clamp 1
		.amdhsa_ieee_mode 1
		.amdhsa_fp16_overflow 0
		.amdhsa_tg_split 0
		.amdhsa_exception_fp_ieee_invalid_op 0
		.amdhsa_exception_fp_denorm_src 0
		.amdhsa_exception_fp_ieee_div_zero 0
		.amdhsa_exception_fp_ieee_overflow 0
		.amdhsa_exception_fp_ieee_underflow 0
		.amdhsa_exception_fp_ieee_inexact 0
		.amdhsa_exception_int_div_zero 0
	.end_amdhsa_kernel
	.section	.text._ZN7rocprim17ROCPRIM_400000_NS6detail17trampoline_kernelINS0_14default_configENS1_25partition_config_selectorILNS1_17partition_subalgoE1EjNS0_10empty_typeEbEEZZNS1_14partition_implILS5_1ELb0ES3_jN6thrust23THRUST_200600_302600_NS6detail15normal_iteratorINSA_10device_ptrIjEEEEPS6_NSA_18transform_iteratorI7is_evenIjESF_NSA_11use_defaultESK_EENS0_5tupleIJSF_NSA_16discard_iteratorISK_EEEEENSM_IJSG_SG_EEES6_PlJS6_EEE10hipError_tPvRmT3_T4_T5_T6_T7_T9_mT8_P12ihipStream_tbDpT10_ENKUlT_T0_E_clISt17integral_constantIbLb0EES1A_IbLb1EEEEDaS16_S17_EUlS16_E_NS1_11comp_targetILNS1_3genE2ELNS1_11target_archE906ELNS1_3gpuE6ELNS1_3repE0EEENS1_30default_config_static_selectorELNS0_4arch9wavefront6targetE1EEEvT1_,"axG",@progbits,_ZN7rocprim17ROCPRIM_400000_NS6detail17trampoline_kernelINS0_14default_configENS1_25partition_config_selectorILNS1_17partition_subalgoE1EjNS0_10empty_typeEbEEZZNS1_14partition_implILS5_1ELb0ES3_jN6thrust23THRUST_200600_302600_NS6detail15normal_iteratorINSA_10device_ptrIjEEEEPS6_NSA_18transform_iteratorI7is_evenIjESF_NSA_11use_defaultESK_EENS0_5tupleIJSF_NSA_16discard_iteratorISK_EEEEENSM_IJSG_SG_EEES6_PlJS6_EEE10hipError_tPvRmT3_T4_T5_T6_T7_T9_mT8_P12ihipStream_tbDpT10_ENKUlT_T0_E_clISt17integral_constantIbLb0EES1A_IbLb1EEEEDaS16_S17_EUlS16_E_NS1_11comp_targetILNS1_3genE2ELNS1_11target_archE906ELNS1_3gpuE6ELNS1_3repE0EEENS1_30default_config_static_selectorELNS0_4arch9wavefront6targetE1EEEvT1_,comdat
.Lfunc_end3031:
	.size	_ZN7rocprim17ROCPRIM_400000_NS6detail17trampoline_kernelINS0_14default_configENS1_25partition_config_selectorILNS1_17partition_subalgoE1EjNS0_10empty_typeEbEEZZNS1_14partition_implILS5_1ELb0ES3_jN6thrust23THRUST_200600_302600_NS6detail15normal_iteratorINSA_10device_ptrIjEEEEPS6_NSA_18transform_iteratorI7is_evenIjESF_NSA_11use_defaultESK_EENS0_5tupleIJSF_NSA_16discard_iteratorISK_EEEEENSM_IJSG_SG_EEES6_PlJS6_EEE10hipError_tPvRmT3_T4_T5_T6_T7_T9_mT8_P12ihipStream_tbDpT10_ENKUlT_T0_E_clISt17integral_constantIbLb0EES1A_IbLb1EEEEDaS16_S17_EUlS16_E_NS1_11comp_targetILNS1_3genE2ELNS1_11target_archE906ELNS1_3gpuE6ELNS1_3repE0EEENS1_30default_config_static_selectorELNS0_4arch9wavefront6targetE1EEEvT1_, .Lfunc_end3031-_ZN7rocprim17ROCPRIM_400000_NS6detail17trampoline_kernelINS0_14default_configENS1_25partition_config_selectorILNS1_17partition_subalgoE1EjNS0_10empty_typeEbEEZZNS1_14partition_implILS5_1ELb0ES3_jN6thrust23THRUST_200600_302600_NS6detail15normal_iteratorINSA_10device_ptrIjEEEEPS6_NSA_18transform_iteratorI7is_evenIjESF_NSA_11use_defaultESK_EENS0_5tupleIJSF_NSA_16discard_iteratorISK_EEEEENSM_IJSG_SG_EEES6_PlJS6_EEE10hipError_tPvRmT3_T4_T5_T6_T7_T9_mT8_P12ihipStream_tbDpT10_ENKUlT_T0_E_clISt17integral_constantIbLb0EES1A_IbLb1EEEEDaS16_S17_EUlS16_E_NS1_11comp_targetILNS1_3genE2ELNS1_11target_archE906ELNS1_3gpuE6ELNS1_3repE0EEENS1_30default_config_static_selectorELNS0_4arch9wavefront6targetE1EEEvT1_
                                        ; -- End function
	.section	.AMDGPU.csdata,"",@progbits
; Kernel info:
; codeLenInByte = 0
; NumSgprs: 6
; NumVgprs: 0
; NumAgprs: 0
; TotalNumVgprs: 0
; ScratchSize: 0
; MemoryBound: 0
; FloatMode: 240
; IeeeMode: 1
; LDSByteSize: 0 bytes/workgroup (compile time only)
; SGPRBlocks: 0
; VGPRBlocks: 0
; NumSGPRsForWavesPerEU: 6
; NumVGPRsForWavesPerEU: 1
; AccumOffset: 4
; Occupancy: 8
; WaveLimiterHint : 0
; COMPUTE_PGM_RSRC2:SCRATCH_EN: 0
; COMPUTE_PGM_RSRC2:USER_SGPR: 2
; COMPUTE_PGM_RSRC2:TRAP_HANDLER: 0
; COMPUTE_PGM_RSRC2:TGID_X_EN: 1
; COMPUTE_PGM_RSRC2:TGID_Y_EN: 0
; COMPUTE_PGM_RSRC2:TGID_Z_EN: 0
; COMPUTE_PGM_RSRC2:TIDIG_COMP_CNT: 0
; COMPUTE_PGM_RSRC3_GFX90A:ACCUM_OFFSET: 0
; COMPUTE_PGM_RSRC3_GFX90A:TG_SPLIT: 0
	.section	.text._ZN7rocprim17ROCPRIM_400000_NS6detail17trampoline_kernelINS0_14default_configENS1_25partition_config_selectorILNS1_17partition_subalgoE1EjNS0_10empty_typeEbEEZZNS1_14partition_implILS5_1ELb0ES3_jN6thrust23THRUST_200600_302600_NS6detail15normal_iteratorINSA_10device_ptrIjEEEEPS6_NSA_18transform_iteratorI7is_evenIjESF_NSA_11use_defaultESK_EENS0_5tupleIJSF_NSA_16discard_iteratorISK_EEEEENSM_IJSG_SG_EEES6_PlJS6_EEE10hipError_tPvRmT3_T4_T5_T6_T7_T9_mT8_P12ihipStream_tbDpT10_ENKUlT_T0_E_clISt17integral_constantIbLb0EES1A_IbLb1EEEEDaS16_S17_EUlS16_E_NS1_11comp_targetILNS1_3genE10ELNS1_11target_archE1200ELNS1_3gpuE4ELNS1_3repE0EEENS1_30default_config_static_selectorELNS0_4arch9wavefront6targetE1EEEvT1_,"axG",@progbits,_ZN7rocprim17ROCPRIM_400000_NS6detail17trampoline_kernelINS0_14default_configENS1_25partition_config_selectorILNS1_17partition_subalgoE1EjNS0_10empty_typeEbEEZZNS1_14partition_implILS5_1ELb0ES3_jN6thrust23THRUST_200600_302600_NS6detail15normal_iteratorINSA_10device_ptrIjEEEEPS6_NSA_18transform_iteratorI7is_evenIjESF_NSA_11use_defaultESK_EENS0_5tupleIJSF_NSA_16discard_iteratorISK_EEEEENSM_IJSG_SG_EEES6_PlJS6_EEE10hipError_tPvRmT3_T4_T5_T6_T7_T9_mT8_P12ihipStream_tbDpT10_ENKUlT_T0_E_clISt17integral_constantIbLb0EES1A_IbLb1EEEEDaS16_S17_EUlS16_E_NS1_11comp_targetILNS1_3genE10ELNS1_11target_archE1200ELNS1_3gpuE4ELNS1_3repE0EEENS1_30default_config_static_selectorELNS0_4arch9wavefront6targetE1EEEvT1_,comdat
	.protected	_ZN7rocprim17ROCPRIM_400000_NS6detail17trampoline_kernelINS0_14default_configENS1_25partition_config_selectorILNS1_17partition_subalgoE1EjNS0_10empty_typeEbEEZZNS1_14partition_implILS5_1ELb0ES3_jN6thrust23THRUST_200600_302600_NS6detail15normal_iteratorINSA_10device_ptrIjEEEEPS6_NSA_18transform_iteratorI7is_evenIjESF_NSA_11use_defaultESK_EENS0_5tupleIJSF_NSA_16discard_iteratorISK_EEEEENSM_IJSG_SG_EEES6_PlJS6_EEE10hipError_tPvRmT3_T4_T5_T6_T7_T9_mT8_P12ihipStream_tbDpT10_ENKUlT_T0_E_clISt17integral_constantIbLb0EES1A_IbLb1EEEEDaS16_S17_EUlS16_E_NS1_11comp_targetILNS1_3genE10ELNS1_11target_archE1200ELNS1_3gpuE4ELNS1_3repE0EEENS1_30default_config_static_selectorELNS0_4arch9wavefront6targetE1EEEvT1_ ; -- Begin function _ZN7rocprim17ROCPRIM_400000_NS6detail17trampoline_kernelINS0_14default_configENS1_25partition_config_selectorILNS1_17partition_subalgoE1EjNS0_10empty_typeEbEEZZNS1_14partition_implILS5_1ELb0ES3_jN6thrust23THRUST_200600_302600_NS6detail15normal_iteratorINSA_10device_ptrIjEEEEPS6_NSA_18transform_iteratorI7is_evenIjESF_NSA_11use_defaultESK_EENS0_5tupleIJSF_NSA_16discard_iteratorISK_EEEEENSM_IJSG_SG_EEES6_PlJS6_EEE10hipError_tPvRmT3_T4_T5_T6_T7_T9_mT8_P12ihipStream_tbDpT10_ENKUlT_T0_E_clISt17integral_constantIbLb0EES1A_IbLb1EEEEDaS16_S17_EUlS16_E_NS1_11comp_targetILNS1_3genE10ELNS1_11target_archE1200ELNS1_3gpuE4ELNS1_3repE0EEENS1_30default_config_static_selectorELNS0_4arch9wavefront6targetE1EEEvT1_
	.globl	_ZN7rocprim17ROCPRIM_400000_NS6detail17trampoline_kernelINS0_14default_configENS1_25partition_config_selectorILNS1_17partition_subalgoE1EjNS0_10empty_typeEbEEZZNS1_14partition_implILS5_1ELb0ES3_jN6thrust23THRUST_200600_302600_NS6detail15normal_iteratorINSA_10device_ptrIjEEEEPS6_NSA_18transform_iteratorI7is_evenIjESF_NSA_11use_defaultESK_EENS0_5tupleIJSF_NSA_16discard_iteratorISK_EEEEENSM_IJSG_SG_EEES6_PlJS6_EEE10hipError_tPvRmT3_T4_T5_T6_T7_T9_mT8_P12ihipStream_tbDpT10_ENKUlT_T0_E_clISt17integral_constantIbLb0EES1A_IbLb1EEEEDaS16_S17_EUlS16_E_NS1_11comp_targetILNS1_3genE10ELNS1_11target_archE1200ELNS1_3gpuE4ELNS1_3repE0EEENS1_30default_config_static_selectorELNS0_4arch9wavefront6targetE1EEEvT1_
	.p2align	8
	.type	_ZN7rocprim17ROCPRIM_400000_NS6detail17trampoline_kernelINS0_14default_configENS1_25partition_config_selectorILNS1_17partition_subalgoE1EjNS0_10empty_typeEbEEZZNS1_14partition_implILS5_1ELb0ES3_jN6thrust23THRUST_200600_302600_NS6detail15normal_iteratorINSA_10device_ptrIjEEEEPS6_NSA_18transform_iteratorI7is_evenIjESF_NSA_11use_defaultESK_EENS0_5tupleIJSF_NSA_16discard_iteratorISK_EEEEENSM_IJSG_SG_EEES6_PlJS6_EEE10hipError_tPvRmT3_T4_T5_T6_T7_T9_mT8_P12ihipStream_tbDpT10_ENKUlT_T0_E_clISt17integral_constantIbLb0EES1A_IbLb1EEEEDaS16_S17_EUlS16_E_NS1_11comp_targetILNS1_3genE10ELNS1_11target_archE1200ELNS1_3gpuE4ELNS1_3repE0EEENS1_30default_config_static_selectorELNS0_4arch9wavefront6targetE1EEEvT1_,@function
_ZN7rocprim17ROCPRIM_400000_NS6detail17trampoline_kernelINS0_14default_configENS1_25partition_config_selectorILNS1_17partition_subalgoE1EjNS0_10empty_typeEbEEZZNS1_14partition_implILS5_1ELb0ES3_jN6thrust23THRUST_200600_302600_NS6detail15normal_iteratorINSA_10device_ptrIjEEEEPS6_NSA_18transform_iteratorI7is_evenIjESF_NSA_11use_defaultESK_EENS0_5tupleIJSF_NSA_16discard_iteratorISK_EEEEENSM_IJSG_SG_EEES6_PlJS6_EEE10hipError_tPvRmT3_T4_T5_T6_T7_T9_mT8_P12ihipStream_tbDpT10_ENKUlT_T0_E_clISt17integral_constantIbLb0EES1A_IbLb1EEEEDaS16_S17_EUlS16_E_NS1_11comp_targetILNS1_3genE10ELNS1_11target_archE1200ELNS1_3gpuE4ELNS1_3repE0EEENS1_30default_config_static_selectorELNS0_4arch9wavefront6targetE1EEEvT1_: ; @_ZN7rocprim17ROCPRIM_400000_NS6detail17trampoline_kernelINS0_14default_configENS1_25partition_config_selectorILNS1_17partition_subalgoE1EjNS0_10empty_typeEbEEZZNS1_14partition_implILS5_1ELb0ES3_jN6thrust23THRUST_200600_302600_NS6detail15normal_iteratorINSA_10device_ptrIjEEEEPS6_NSA_18transform_iteratorI7is_evenIjESF_NSA_11use_defaultESK_EENS0_5tupleIJSF_NSA_16discard_iteratorISK_EEEEENSM_IJSG_SG_EEES6_PlJS6_EEE10hipError_tPvRmT3_T4_T5_T6_T7_T9_mT8_P12ihipStream_tbDpT10_ENKUlT_T0_E_clISt17integral_constantIbLb0EES1A_IbLb1EEEEDaS16_S17_EUlS16_E_NS1_11comp_targetILNS1_3genE10ELNS1_11target_archE1200ELNS1_3gpuE4ELNS1_3repE0EEENS1_30default_config_static_selectorELNS0_4arch9wavefront6targetE1EEEvT1_
; %bb.0:
	.section	.rodata,"a",@progbits
	.p2align	6, 0x0
	.amdhsa_kernel _ZN7rocprim17ROCPRIM_400000_NS6detail17trampoline_kernelINS0_14default_configENS1_25partition_config_selectorILNS1_17partition_subalgoE1EjNS0_10empty_typeEbEEZZNS1_14partition_implILS5_1ELb0ES3_jN6thrust23THRUST_200600_302600_NS6detail15normal_iteratorINSA_10device_ptrIjEEEEPS6_NSA_18transform_iteratorI7is_evenIjESF_NSA_11use_defaultESK_EENS0_5tupleIJSF_NSA_16discard_iteratorISK_EEEEENSM_IJSG_SG_EEES6_PlJS6_EEE10hipError_tPvRmT3_T4_T5_T6_T7_T9_mT8_P12ihipStream_tbDpT10_ENKUlT_T0_E_clISt17integral_constantIbLb0EES1A_IbLb1EEEEDaS16_S17_EUlS16_E_NS1_11comp_targetILNS1_3genE10ELNS1_11target_archE1200ELNS1_3gpuE4ELNS1_3repE0EEENS1_30default_config_static_selectorELNS0_4arch9wavefront6targetE1EEEvT1_
		.amdhsa_group_segment_fixed_size 0
		.amdhsa_private_segment_fixed_size 0
		.amdhsa_kernarg_size 152
		.amdhsa_user_sgpr_count 2
		.amdhsa_user_sgpr_dispatch_ptr 0
		.amdhsa_user_sgpr_queue_ptr 0
		.amdhsa_user_sgpr_kernarg_segment_ptr 1
		.amdhsa_user_sgpr_dispatch_id 0
		.amdhsa_user_sgpr_kernarg_preload_length 0
		.amdhsa_user_sgpr_kernarg_preload_offset 0
		.amdhsa_user_sgpr_private_segment_size 0
		.amdhsa_uses_dynamic_stack 0
		.amdhsa_enable_private_segment 0
		.amdhsa_system_sgpr_workgroup_id_x 1
		.amdhsa_system_sgpr_workgroup_id_y 0
		.amdhsa_system_sgpr_workgroup_id_z 0
		.amdhsa_system_sgpr_workgroup_info 0
		.amdhsa_system_vgpr_workitem_id 0
		.amdhsa_next_free_vgpr 1
		.amdhsa_next_free_sgpr 0
		.amdhsa_accum_offset 4
		.amdhsa_reserve_vcc 0
		.amdhsa_float_round_mode_32 0
		.amdhsa_float_round_mode_16_64 0
		.amdhsa_float_denorm_mode_32 3
		.amdhsa_float_denorm_mode_16_64 3
		.amdhsa_dx10_clamp 1
		.amdhsa_ieee_mode 1
		.amdhsa_fp16_overflow 0
		.amdhsa_tg_split 0
		.amdhsa_exception_fp_ieee_invalid_op 0
		.amdhsa_exception_fp_denorm_src 0
		.amdhsa_exception_fp_ieee_div_zero 0
		.amdhsa_exception_fp_ieee_overflow 0
		.amdhsa_exception_fp_ieee_underflow 0
		.amdhsa_exception_fp_ieee_inexact 0
		.amdhsa_exception_int_div_zero 0
	.end_amdhsa_kernel
	.section	.text._ZN7rocprim17ROCPRIM_400000_NS6detail17trampoline_kernelINS0_14default_configENS1_25partition_config_selectorILNS1_17partition_subalgoE1EjNS0_10empty_typeEbEEZZNS1_14partition_implILS5_1ELb0ES3_jN6thrust23THRUST_200600_302600_NS6detail15normal_iteratorINSA_10device_ptrIjEEEEPS6_NSA_18transform_iteratorI7is_evenIjESF_NSA_11use_defaultESK_EENS0_5tupleIJSF_NSA_16discard_iteratorISK_EEEEENSM_IJSG_SG_EEES6_PlJS6_EEE10hipError_tPvRmT3_T4_T5_T6_T7_T9_mT8_P12ihipStream_tbDpT10_ENKUlT_T0_E_clISt17integral_constantIbLb0EES1A_IbLb1EEEEDaS16_S17_EUlS16_E_NS1_11comp_targetILNS1_3genE10ELNS1_11target_archE1200ELNS1_3gpuE4ELNS1_3repE0EEENS1_30default_config_static_selectorELNS0_4arch9wavefront6targetE1EEEvT1_,"axG",@progbits,_ZN7rocprim17ROCPRIM_400000_NS6detail17trampoline_kernelINS0_14default_configENS1_25partition_config_selectorILNS1_17partition_subalgoE1EjNS0_10empty_typeEbEEZZNS1_14partition_implILS5_1ELb0ES3_jN6thrust23THRUST_200600_302600_NS6detail15normal_iteratorINSA_10device_ptrIjEEEEPS6_NSA_18transform_iteratorI7is_evenIjESF_NSA_11use_defaultESK_EENS0_5tupleIJSF_NSA_16discard_iteratorISK_EEEEENSM_IJSG_SG_EEES6_PlJS6_EEE10hipError_tPvRmT3_T4_T5_T6_T7_T9_mT8_P12ihipStream_tbDpT10_ENKUlT_T0_E_clISt17integral_constantIbLb0EES1A_IbLb1EEEEDaS16_S17_EUlS16_E_NS1_11comp_targetILNS1_3genE10ELNS1_11target_archE1200ELNS1_3gpuE4ELNS1_3repE0EEENS1_30default_config_static_selectorELNS0_4arch9wavefront6targetE1EEEvT1_,comdat
.Lfunc_end3032:
	.size	_ZN7rocprim17ROCPRIM_400000_NS6detail17trampoline_kernelINS0_14default_configENS1_25partition_config_selectorILNS1_17partition_subalgoE1EjNS0_10empty_typeEbEEZZNS1_14partition_implILS5_1ELb0ES3_jN6thrust23THRUST_200600_302600_NS6detail15normal_iteratorINSA_10device_ptrIjEEEEPS6_NSA_18transform_iteratorI7is_evenIjESF_NSA_11use_defaultESK_EENS0_5tupleIJSF_NSA_16discard_iteratorISK_EEEEENSM_IJSG_SG_EEES6_PlJS6_EEE10hipError_tPvRmT3_T4_T5_T6_T7_T9_mT8_P12ihipStream_tbDpT10_ENKUlT_T0_E_clISt17integral_constantIbLb0EES1A_IbLb1EEEEDaS16_S17_EUlS16_E_NS1_11comp_targetILNS1_3genE10ELNS1_11target_archE1200ELNS1_3gpuE4ELNS1_3repE0EEENS1_30default_config_static_selectorELNS0_4arch9wavefront6targetE1EEEvT1_, .Lfunc_end3032-_ZN7rocprim17ROCPRIM_400000_NS6detail17trampoline_kernelINS0_14default_configENS1_25partition_config_selectorILNS1_17partition_subalgoE1EjNS0_10empty_typeEbEEZZNS1_14partition_implILS5_1ELb0ES3_jN6thrust23THRUST_200600_302600_NS6detail15normal_iteratorINSA_10device_ptrIjEEEEPS6_NSA_18transform_iteratorI7is_evenIjESF_NSA_11use_defaultESK_EENS0_5tupleIJSF_NSA_16discard_iteratorISK_EEEEENSM_IJSG_SG_EEES6_PlJS6_EEE10hipError_tPvRmT3_T4_T5_T6_T7_T9_mT8_P12ihipStream_tbDpT10_ENKUlT_T0_E_clISt17integral_constantIbLb0EES1A_IbLb1EEEEDaS16_S17_EUlS16_E_NS1_11comp_targetILNS1_3genE10ELNS1_11target_archE1200ELNS1_3gpuE4ELNS1_3repE0EEENS1_30default_config_static_selectorELNS0_4arch9wavefront6targetE1EEEvT1_
                                        ; -- End function
	.section	.AMDGPU.csdata,"",@progbits
; Kernel info:
; codeLenInByte = 0
; NumSgprs: 6
; NumVgprs: 0
; NumAgprs: 0
; TotalNumVgprs: 0
; ScratchSize: 0
; MemoryBound: 0
; FloatMode: 240
; IeeeMode: 1
; LDSByteSize: 0 bytes/workgroup (compile time only)
; SGPRBlocks: 0
; VGPRBlocks: 0
; NumSGPRsForWavesPerEU: 6
; NumVGPRsForWavesPerEU: 1
; AccumOffset: 4
; Occupancy: 8
; WaveLimiterHint : 0
; COMPUTE_PGM_RSRC2:SCRATCH_EN: 0
; COMPUTE_PGM_RSRC2:USER_SGPR: 2
; COMPUTE_PGM_RSRC2:TRAP_HANDLER: 0
; COMPUTE_PGM_RSRC2:TGID_X_EN: 1
; COMPUTE_PGM_RSRC2:TGID_Y_EN: 0
; COMPUTE_PGM_RSRC2:TGID_Z_EN: 0
; COMPUTE_PGM_RSRC2:TIDIG_COMP_CNT: 0
; COMPUTE_PGM_RSRC3_GFX90A:ACCUM_OFFSET: 0
; COMPUTE_PGM_RSRC3_GFX90A:TG_SPLIT: 0
	.section	.text._ZN7rocprim17ROCPRIM_400000_NS6detail17trampoline_kernelINS0_14default_configENS1_25partition_config_selectorILNS1_17partition_subalgoE1EjNS0_10empty_typeEbEEZZNS1_14partition_implILS5_1ELb0ES3_jN6thrust23THRUST_200600_302600_NS6detail15normal_iteratorINSA_10device_ptrIjEEEEPS6_NSA_18transform_iteratorI7is_evenIjESF_NSA_11use_defaultESK_EENS0_5tupleIJSF_NSA_16discard_iteratorISK_EEEEENSM_IJSG_SG_EEES6_PlJS6_EEE10hipError_tPvRmT3_T4_T5_T6_T7_T9_mT8_P12ihipStream_tbDpT10_ENKUlT_T0_E_clISt17integral_constantIbLb0EES1A_IbLb1EEEEDaS16_S17_EUlS16_E_NS1_11comp_targetILNS1_3genE9ELNS1_11target_archE1100ELNS1_3gpuE3ELNS1_3repE0EEENS1_30default_config_static_selectorELNS0_4arch9wavefront6targetE1EEEvT1_,"axG",@progbits,_ZN7rocprim17ROCPRIM_400000_NS6detail17trampoline_kernelINS0_14default_configENS1_25partition_config_selectorILNS1_17partition_subalgoE1EjNS0_10empty_typeEbEEZZNS1_14partition_implILS5_1ELb0ES3_jN6thrust23THRUST_200600_302600_NS6detail15normal_iteratorINSA_10device_ptrIjEEEEPS6_NSA_18transform_iteratorI7is_evenIjESF_NSA_11use_defaultESK_EENS0_5tupleIJSF_NSA_16discard_iteratorISK_EEEEENSM_IJSG_SG_EEES6_PlJS6_EEE10hipError_tPvRmT3_T4_T5_T6_T7_T9_mT8_P12ihipStream_tbDpT10_ENKUlT_T0_E_clISt17integral_constantIbLb0EES1A_IbLb1EEEEDaS16_S17_EUlS16_E_NS1_11comp_targetILNS1_3genE9ELNS1_11target_archE1100ELNS1_3gpuE3ELNS1_3repE0EEENS1_30default_config_static_selectorELNS0_4arch9wavefront6targetE1EEEvT1_,comdat
	.protected	_ZN7rocprim17ROCPRIM_400000_NS6detail17trampoline_kernelINS0_14default_configENS1_25partition_config_selectorILNS1_17partition_subalgoE1EjNS0_10empty_typeEbEEZZNS1_14partition_implILS5_1ELb0ES3_jN6thrust23THRUST_200600_302600_NS6detail15normal_iteratorINSA_10device_ptrIjEEEEPS6_NSA_18transform_iteratorI7is_evenIjESF_NSA_11use_defaultESK_EENS0_5tupleIJSF_NSA_16discard_iteratorISK_EEEEENSM_IJSG_SG_EEES6_PlJS6_EEE10hipError_tPvRmT3_T4_T5_T6_T7_T9_mT8_P12ihipStream_tbDpT10_ENKUlT_T0_E_clISt17integral_constantIbLb0EES1A_IbLb1EEEEDaS16_S17_EUlS16_E_NS1_11comp_targetILNS1_3genE9ELNS1_11target_archE1100ELNS1_3gpuE3ELNS1_3repE0EEENS1_30default_config_static_selectorELNS0_4arch9wavefront6targetE1EEEvT1_ ; -- Begin function _ZN7rocprim17ROCPRIM_400000_NS6detail17trampoline_kernelINS0_14default_configENS1_25partition_config_selectorILNS1_17partition_subalgoE1EjNS0_10empty_typeEbEEZZNS1_14partition_implILS5_1ELb0ES3_jN6thrust23THRUST_200600_302600_NS6detail15normal_iteratorINSA_10device_ptrIjEEEEPS6_NSA_18transform_iteratorI7is_evenIjESF_NSA_11use_defaultESK_EENS0_5tupleIJSF_NSA_16discard_iteratorISK_EEEEENSM_IJSG_SG_EEES6_PlJS6_EEE10hipError_tPvRmT3_T4_T5_T6_T7_T9_mT8_P12ihipStream_tbDpT10_ENKUlT_T0_E_clISt17integral_constantIbLb0EES1A_IbLb1EEEEDaS16_S17_EUlS16_E_NS1_11comp_targetILNS1_3genE9ELNS1_11target_archE1100ELNS1_3gpuE3ELNS1_3repE0EEENS1_30default_config_static_selectorELNS0_4arch9wavefront6targetE1EEEvT1_
	.globl	_ZN7rocprim17ROCPRIM_400000_NS6detail17trampoline_kernelINS0_14default_configENS1_25partition_config_selectorILNS1_17partition_subalgoE1EjNS0_10empty_typeEbEEZZNS1_14partition_implILS5_1ELb0ES3_jN6thrust23THRUST_200600_302600_NS6detail15normal_iteratorINSA_10device_ptrIjEEEEPS6_NSA_18transform_iteratorI7is_evenIjESF_NSA_11use_defaultESK_EENS0_5tupleIJSF_NSA_16discard_iteratorISK_EEEEENSM_IJSG_SG_EEES6_PlJS6_EEE10hipError_tPvRmT3_T4_T5_T6_T7_T9_mT8_P12ihipStream_tbDpT10_ENKUlT_T0_E_clISt17integral_constantIbLb0EES1A_IbLb1EEEEDaS16_S17_EUlS16_E_NS1_11comp_targetILNS1_3genE9ELNS1_11target_archE1100ELNS1_3gpuE3ELNS1_3repE0EEENS1_30default_config_static_selectorELNS0_4arch9wavefront6targetE1EEEvT1_
	.p2align	8
	.type	_ZN7rocprim17ROCPRIM_400000_NS6detail17trampoline_kernelINS0_14default_configENS1_25partition_config_selectorILNS1_17partition_subalgoE1EjNS0_10empty_typeEbEEZZNS1_14partition_implILS5_1ELb0ES3_jN6thrust23THRUST_200600_302600_NS6detail15normal_iteratorINSA_10device_ptrIjEEEEPS6_NSA_18transform_iteratorI7is_evenIjESF_NSA_11use_defaultESK_EENS0_5tupleIJSF_NSA_16discard_iteratorISK_EEEEENSM_IJSG_SG_EEES6_PlJS6_EEE10hipError_tPvRmT3_T4_T5_T6_T7_T9_mT8_P12ihipStream_tbDpT10_ENKUlT_T0_E_clISt17integral_constantIbLb0EES1A_IbLb1EEEEDaS16_S17_EUlS16_E_NS1_11comp_targetILNS1_3genE9ELNS1_11target_archE1100ELNS1_3gpuE3ELNS1_3repE0EEENS1_30default_config_static_selectorELNS0_4arch9wavefront6targetE1EEEvT1_,@function
_ZN7rocprim17ROCPRIM_400000_NS6detail17trampoline_kernelINS0_14default_configENS1_25partition_config_selectorILNS1_17partition_subalgoE1EjNS0_10empty_typeEbEEZZNS1_14partition_implILS5_1ELb0ES3_jN6thrust23THRUST_200600_302600_NS6detail15normal_iteratorINSA_10device_ptrIjEEEEPS6_NSA_18transform_iteratorI7is_evenIjESF_NSA_11use_defaultESK_EENS0_5tupleIJSF_NSA_16discard_iteratorISK_EEEEENSM_IJSG_SG_EEES6_PlJS6_EEE10hipError_tPvRmT3_T4_T5_T6_T7_T9_mT8_P12ihipStream_tbDpT10_ENKUlT_T0_E_clISt17integral_constantIbLb0EES1A_IbLb1EEEEDaS16_S17_EUlS16_E_NS1_11comp_targetILNS1_3genE9ELNS1_11target_archE1100ELNS1_3gpuE3ELNS1_3repE0EEENS1_30default_config_static_selectorELNS0_4arch9wavefront6targetE1EEEvT1_: ; @_ZN7rocprim17ROCPRIM_400000_NS6detail17trampoline_kernelINS0_14default_configENS1_25partition_config_selectorILNS1_17partition_subalgoE1EjNS0_10empty_typeEbEEZZNS1_14partition_implILS5_1ELb0ES3_jN6thrust23THRUST_200600_302600_NS6detail15normal_iteratorINSA_10device_ptrIjEEEEPS6_NSA_18transform_iteratorI7is_evenIjESF_NSA_11use_defaultESK_EENS0_5tupleIJSF_NSA_16discard_iteratorISK_EEEEENSM_IJSG_SG_EEES6_PlJS6_EEE10hipError_tPvRmT3_T4_T5_T6_T7_T9_mT8_P12ihipStream_tbDpT10_ENKUlT_T0_E_clISt17integral_constantIbLb0EES1A_IbLb1EEEEDaS16_S17_EUlS16_E_NS1_11comp_targetILNS1_3genE9ELNS1_11target_archE1100ELNS1_3gpuE3ELNS1_3repE0EEENS1_30default_config_static_selectorELNS0_4arch9wavefront6targetE1EEEvT1_
; %bb.0:
	.section	.rodata,"a",@progbits
	.p2align	6, 0x0
	.amdhsa_kernel _ZN7rocprim17ROCPRIM_400000_NS6detail17trampoline_kernelINS0_14default_configENS1_25partition_config_selectorILNS1_17partition_subalgoE1EjNS0_10empty_typeEbEEZZNS1_14partition_implILS5_1ELb0ES3_jN6thrust23THRUST_200600_302600_NS6detail15normal_iteratorINSA_10device_ptrIjEEEEPS6_NSA_18transform_iteratorI7is_evenIjESF_NSA_11use_defaultESK_EENS0_5tupleIJSF_NSA_16discard_iteratorISK_EEEEENSM_IJSG_SG_EEES6_PlJS6_EEE10hipError_tPvRmT3_T4_T5_T6_T7_T9_mT8_P12ihipStream_tbDpT10_ENKUlT_T0_E_clISt17integral_constantIbLb0EES1A_IbLb1EEEEDaS16_S17_EUlS16_E_NS1_11comp_targetILNS1_3genE9ELNS1_11target_archE1100ELNS1_3gpuE3ELNS1_3repE0EEENS1_30default_config_static_selectorELNS0_4arch9wavefront6targetE1EEEvT1_
		.amdhsa_group_segment_fixed_size 0
		.amdhsa_private_segment_fixed_size 0
		.amdhsa_kernarg_size 152
		.amdhsa_user_sgpr_count 2
		.amdhsa_user_sgpr_dispatch_ptr 0
		.amdhsa_user_sgpr_queue_ptr 0
		.amdhsa_user_sgpr_kernarg_segment_ptr 1
		.amdhsa_user_sgpr_dispatch_id 0
		.amdhsa_user_sgpr_kernarg_preload_length 0
		.amdhsa_user_sgpr_kernarg_preload_offset 0
		.amdhsa_user_sgpr_private_segment_size 0
		.amdhsa_uses_dynamic_stack 0
		.amdhsa_enable_private_segment 0
		.amdhsa_system_sgpr_workgroup_id_x 1
		.amdhsa_system_sgpr_workgroup_id_y 0
		.amdhsa_system_sgpr_workgroup_id_z 0
		.amdhsa_system_sgpr_workgroup_info 0
		.amdhsa_system_vgpr_workitem_id 0
		.amdhsa_next_free_vgpr 1
		.amdhsa_next_free_sgpr 0
		.amdhsa_accum_offset 4
		.amdhsa_reserve_vcc 0
		.amdhsa_float_round_mode_32 0
		.amdhsa_float_round_mode_16_64 0
		.amdhsa_float_denorm_mode_32 3
		.amdhsa_float_denorm_mode_16_64 3
		.amdhsa_dx10_clamp 1
		.amdhsa_ieee_mode 1
		.amdhsa_fp16_overflow 0
		.amdhsa_tg_split 0
		.amdhsa_exception_fp_ieee_invalid_op 0
		.amdhsa_exception_fp_denorm_src 0
		.amdhsa_exception_fp_ieee_div_zero 0
		.amdhsa_exception_fp_ieee_overflow 0
		.amdhsa_exception_fp_ieee_underflow 0
		.amdhsa_exception_fp_ieee_inexact 0
		.amdhsa_exception_int_div_zero 0
	.end_amdhsa_kernel
	.section	.text._ZN7rocprim17ROCPRIM_400000_NS6detail17trampoline_kernelINS0_14default_configENS1_25partition_config_selectorILNS1_17partition_subalgoE1EjNS0_10empty_typeEbEEZZNS1_14partition_implILS5_1ELb0ES3_jN6thrust23THRUST_200600_302600_NS6detail15normal_iteratorINSA_10device_ptrIjEEEEPS6_NSA_18transform_iteratorI7is_evenIjESF_NSA_11use_defaultESK_EENS0_5tupleIJSF_NSA_16discard_iteratorISK_EEEEENSM_IJSG_SG_EEES6_PlJS6_EEE10hipError_tPvRmT3_T4_T5_T6_T7_T9_mT8_P12ihipStream_tbDpT10_ENKUlT_T0_E_clISt17integral_constantIbLb0EES1A_IbLb1EEEEDaS16_S17_EUlS16_E_NS1_11comp_targetILNS1_3genE9ELNS1_11target_archE1100ELNS1_3gpuE3ELNS1_3repE0EEENS1_30default_config_static_selectorELNS0_4arch9wavefront6targetE1EEEvT1_,"axG",@progbits,_ZN7rocprim17ROCPRIM_400000_NS6detail17trampoline_kernelINS0_14default_configENS1_25partition_config_selectorILNS1_17partition_subalgoE1EjNS0_10empty_typeEbEEZZNS1_14partition_implILS5_1ELb0ES3_jN6thrust23THRUST_200600_302600_NS6detail15normal_iteratorINSA_10device_ptrIjEEEEPS6_NSA_18transform_iteratorI7is_evenIjESF_NSA_11use_defaultESK_EENS0_5tupleIJSF_NSA_16discard_iteratorISK_EEEEENSM_IJSG_SG_EEES6_PlJS6_EEE10hipError_tPvRmT3_T4_T5_T6_T7_T9_mT8_P12ihipStream_tbDpT10_ENKUlT_T0_E_clISt17integral_constantIbLb0EES1A_IbLb1EEEEDaS16_S17_EUlS16_E_NS1_11comp_targetILNS1_3genE9ELNS1_11target_archE1100ELNS1_3gpuE3ELNS1_3repE0EEENS1_30default_config_static_selectorELNS0_4arch9wavefront6targetE1EEEvT1_,comdat
.Lfunc_end3033:
	.size	_ZN7rocprim17ROCPRIM_400000_NS6detail17trampoline_kernelINS0_14default_configENS1_25partition_config_selectorILNS1_17partition_subalgoE1EjNS0_10empty_typeEbEEZZNS1_14partition_implILS5_1ELb0ES3_jN6thrust23THRUST_200600_302600_NS6detail15normal_iteratorINSA_10device_ptrIjEEEEPS6_NSA_18transform_iteratorI7is_evenIjESF_NSA_11use_defaultESK_EENS0_5tupleIJSF_NSA_16discard_iteratorISK_EEEEENSM_IJSG_SG_EEES6_PlJS6_EEE10hipError_tPvRmT3_T4_T5_T6_T7_T9_mT8_P12ihipStream_tbDpT10_ENKUlT_T0_E_clISt17integral_constantIbLb0EES1A_IbLb1EEEEDaS16_S17_EUlS16_E_NS1_11comp_targetILNS1_3genE9ELNS1_11target_archE1100ELNS1_3gpuE3ELNS1_3repE0EEENS1_30default_config_static_selectorELNS0_4arch9wavefront6targetE1EEEvT1_, .Lfunc_end3033-_ZN7rocprim17ROCPRIM_400000_NS6detail17trampoline_kernelINS0_14default_configENS1_25partition_config_selectorILNS1_17partition_subalgoE1EjNS0_10empty_typeEbEEZZNS1_14partition_implILS5_1ELb0ES3_jN6thrust23THRUST_200600_302600_NS6detail15normal_iteratorINSA_10device_ptrIjEEEEPS6_NSA_18transform_iteratorI7is_evenIjESF_NSA_11use_defaultESK_EENS0_5tupleIJSF_NSA_16discard_iteratorISK_EEEEENSM_IJSG_SG_EEES6_PlJS6_EEE10hipError_tPvRmT3_T4_T5_T6_T7_T9_mT8_P12ihipStream_tbDpT10_ENKUlT_T0_E_clISt17integral_constantIbLb0EES1A_IbLb1EEEEDaS16_S17_EUlS16_E_NS1_11comp_targetILNS1_3genE9ELNS1_11target_archE1100ELNS1_3gpuE3ELNS1_3repE0EEENS1_30default_config_static_selectorELNS0_4arch9wavefront6targetE1EEEvT1_
                                        ; -- End function
	.section	.AMDGPU.csdata,"",@progbits
; Kernel info:
; codeLenInByte = 0
; NumSgprs: 6
; NumVgprs: 0
; NumAgprs: 0
; TotalNumVgprs: 0
; ScratchSize: 0
; MemoryBound: 0
; FloatMode: 240
; IeeeMode: 1
; LDSByteSize: 0 bytes/workgroup (compile time only)
; SGPRBlocks: 0
; VGPRBlocks: 0
; NumSGPRsForWavesPerEU: 6
; NumVGPRsForWavesPerEU: 1
; AccumOffset: 4
; Occupancy: 8
; WaveLimiterHint : 0
; COMPUTE_PGM_RSRC2:SCRATCH_EN: 0
; COMPUTE_PGM_RSRC2:USER_SGPR: 2
; COMPUTE_PGM_RSRC2:TRAP_HANDLER: 0
; COMPUTE_PGM_RSRC2:TGID_X_EN: 1
; COMPUTE_PGM_RSRC2:TGID_Y_EN: 0
; COMPUTE_PGM_RSRC2:TGID_Z_EN: 0
; COMPUTE_PGM_RSRC2:TIDIG_COMP_CNT: 0
; COMPUTE_PGM_RSRC3_GFX90A:ACCUM_OFFSET: 0
; COMPUTE_PGM_RSRC3_GFX90A:TG_SPLIT: 0
	.section	.text._ZN7rocprim17ROCPRIM_400000_NS6detail17trampoline_kernelINS0_14default_configENS1_25partition_config_selectorILNS1_17partition_subalgoE1EjNS0_10empty_typeEbEEZZNS1_14partition_implILS5_1ELb0ES3_jN6thrust23THRUST_200600_302600_NS6detail15normal_iteratorINSA_10device_ptrIjEEEEPS6_NSA_18transform_iteratorI7is_evenIjESF_NSA_11use_defaultESK_EENS0_5tupleIJSF_NSA_16discard_iteratorISK_EEEEENSM_IJSG_SG_EEES6_PlJS6_EEE10hipError_tPvRmT3_T4_T5_T6_T7_T9_mT8_P12ihipStream_tbDpT10_ENKUlT_T0_E_clISt17integral_constantIbLb0EES1A_IbLb1EEEEDaS16_S17_EUlS16_E_NS1_11comp_targetILNS1_3genE8ELNS1_11target_archE1030ELNS1_3gpuE2ELNS1_3repE0EEENS1_30default_config_static_selectorELNS0_4arch9wavefront6targetE1EEEvT1_,"axG",@progbits,_ZN7rocprim17ROCPRIM_400000_NS6detail17trampoline_kernelINS0_14default_configENS1_25partition_config_selectorILNS1_17partition_subalgoE1EjNS0_10empty_typeEbEEZZNS1_14partition_implILS5_1ELb0ES3_jN6thrust23THRUST_200600_302600_NS6detail15normal_iteratorINSA_10device_ptrIjEEEEPS6_NSA_18transform_iteratorI7is_evenIjESF_NSA_11use_defaultESK_EENS0_5tupleIJSF_NSA_16discard_iteratorISK_EEEEENSM_IJSG_SG_EEES6_PlJS6_EEE10hipError_tPvRmT3_T4_T5_T6_T7_T9_mT8_P12ihipStream_tbDpT10_ENKUlT_T0_E_clISt17integral_constantIbLb0EES1A_IbLb1EEEEDaS16_S17_EUlS16_E_NS1_11comp_targetILNS1_3genE8ELNS1_11target_archE1030ELNS1_3gpuE2ELNS1_3repE0EEENS1_30default_config_static_selectorELNS0_4arch9wavefront6targetE1EEEvT1_,comdat
	.protected	_ZN7rocprim17ROCPRIM_400000_NS6detail17trampoline_kernelINS0_14default_configENS1_25partition_config_selectorILNS1_17partition_subalgoE1EjNS0_10empty_typeEbEEZZNS1_14partition_implILS5_1ELb0ES3_jN6thrust23THRUST_200600_302600_NS6detail15normal_iteratorINSA_10device_ptrIjEEEEPS6_NSA_18transform_iteratorI7is_evenIjESF_NSA_11use_defaultESK_EENS0_5tupleIJSF_NSA_16discard_iteratorISK_EEEEENSM_IJSG_SG_EEES6_PlJS6_EEE10hipError_tPvRmT3_T4_T5_T6_T7_T9_mT8_P12ihipStream_tbDpT10_ENKUlT_T0_E_clISt17integral_constantIbLb0EES1A_IbLb1EEEEDaS16_S17_EUlS16_E_NS1_11comp_targetILNS1_3genE8ELNS1_11target_archE1030ELNS1_3gpuE2ELNS1_3repE0EEENS1_30default_config_static_selectorELNS0_4arch9wavefront6targetE1EEEvT1_ ; -- Begin function _ZN7rocprim17ROCPRIM_400000_NS6detail17trampoline_kernelINS0_14default_configENS1_25partition_config_selectorILNS1_17partition_subalgoE1EjNS0_10empty_typeEbEEZZNS1_14partition_implILS5_1ELb0ES3_jN6thrust23THRUST_200600_302600_NS6detail15normal_iteratorINSA_10device_ptrIjEEEEPS6_NSA_18transform_iteratorI7is_evenIjESF_NSA_11use_defaultESK_EENS0_5tupleIJSF_NSA_16discard_iteratorISK_EEEEENSM_IJSG_SG_EEES6_PlJS6_EEE10hipError_tPvRmT3_T4_T5_T6_T7_T9_mT8_P12ihipStream_tbDpT10_ENKUlT_T0_E_clISt17integral_constantIbLb0EES1A_IbLb1EEEEDaS16_S17_EUlS16_E_NS1_11comp_targetILNS1_3genE8ELNS1_11target_archE1030ELNS1_3gpuE2ELNS1_3repE0EEENS1_30default_config_static_selectorELNS0_4arch9wavefront6targetE1EEEvT1_
	.globl	_ZN7rocprim17ROCPRIM_400000_NS6detail17trampoline_kernelINS0_14default_configENS1_25partition_config_selectorILNS1_17partition_subalgoE1EjNS0_10empty_typeEbEEZZNS1_14partition_implILS5_1ELb0ES3_jN6thrust23THRUST_200600_302600_NS6detail15normal_iteratorINSA_10device_ptrIjEEEEPS6_NSA_18transform_iteratorI7is_evenIjESF_NSA_11use_defaultESK_EENS0_5tupleIJSF_NSA_16discard_iteratorISK_EEEEENSM_IJSG_SG_EEES6_PlJS6_EEE10hipError_tPvRmT3_T4_T5_T6_T7_T9_mT8_P12ihipStream_tbDpT10_ENKUlT_T0_E_clISt17integral_constantIbLb0EES1A_IbLb1EEEEDaS16_S17_EUlS16_E_NS1_11comp_targetILNS1_3genE8ELNS1_11target_archE1030ELNS1_3gpuE2ELNS1_3repE0EEENS1_30default_config_static_selectorELNS0_4arch9wavefront6targetE1EEEvT1_
	.p2align	8
	.type	_ZN7rocprim17ROCPRIM_400000_NS6detail17trampoline_kernelINS0_14default_configENS1_25partition_config_selectorILNS1_17partition_subalgoE1EjNS0_10empty_typeEbEEZZNS1_14partition_implILS5_1ELb0ES3_jN6thrust23THRUST_200600_302600_NS6detail15normal_iteratorINSA_10device_ptrIjEEEEPS6_NSA_18transform_iteratorI7is_evenIjESF_NSA_11use_defaultESK_EENS0_5tupleIJSF_NSA_16discard_iteratorISK_EEEEENSM_IJSG_SG_EEES6_PlJS6_EEE10hipError_tPvRmT3_T4_T5_T6_T7_T9_mT8_P12ihipStream_tbDpT10_ENKUlT_T0_E_clISt17integral_constantIbLb0EES1A_IbLb1EEEEDaS16_S17_EUlS16_E_NS1_11comp_targetILNS1_3genE8ELNS1_11target_archE1030ELNS1_3gpuE2ELNS1_3repE0EEENS1_30default_config_static_selectorELNS0_4arch9wavefront6targetE1EEEvT1_,@function
_ZN7rocprim17ROCPRIM_400000_NS6detail17trampoline_kernelINS0_14default_configENS1_25partition_config_selectorILNS1_17partition_subalgoE1EjNS0_10empty_typeEbEEZZNS1_14partition_implILS5_1ELb0ES3_jN6thrust23THRUST_200600_302600_NS6detail15normal_iteratorINSA_10device_ptrIjEEEEPS6_NSA_18transform_iteratorI7is_evenIjESF_NSA_11use_defaultESK_EENS0_5tupleIJSF_NSA_16discard_iteratorISK_EEEEENSM_IJSG_SG_EEES6_PlJS6_EEE10hipError_tPvRmT3_T4_T5_T6_T7_T9_mT8_P12ihipStream_tbDpT10_ENKUlT_T0_E_clISt17integral_constantIbLb0EES1A_IbLb1EEEEDaS16_S17_EUlS16_E_NS1_11comp_targetILNS1_3genE8ELNS1_11target_archE1030ELNS1_3gpuE2ELNS1_3repE0EEENS1_30default_config_static_selectorELNS0_4arch9wavefront6targetE1EEEvT1_: ; @_ZN7rocprim17ROCPRIM_400000_NS6detail17trampoline_kernelINS0_14default_configENS1_25partition_config_selectorILNS1_17partition_subalgoE1EjNS0_10empty_typeEbEEZZNS1_14partition_implILS5_1ELb0ES3_jN6thrust23THRUST_200600_302600_NS6detail15normal_iteratorINSA_10device_ptrIjEEEEPS6_NSA_18transform_iteratorI7is_evenIjESF_NSA_11use_defaultESK_EENS0_5tupleIJSF_NSA_16discard_iteratorISK_EEEEENSM_IJSG_SG_EEES6_PlJS6_EEE10hipError_tPvRmT3_T4_T5_T6_T7_T9_mT8_P12ihipStream_tbDpT10_ENKUlT_T0_E_clISt17integral_constantIbLb0EES1A_IbLb1EEEEDaS16_S17_EUlS16_E_NS1_11comp_targetILNS1_3genE8ELNS1_11target_archE1030ELNS1_3gpuE2ELNS1_3repE0EEENS1_30default_config_static_selectorELNS0_4arch9wavefront6targetE1EEEvT1_
; %bb.0:
	.section	.rodata,"a",@progbits
	.p2align	6, 0x0
	.amdhsa_kernel _ZN7rocprim17ROCPRIM_400000_NS6detail17trampoline_kernelINS0_14default_configENS1_25partition_config_selectorILNS1_17partition_subalgoE1EjNS0_10empty_typeEbEEZZNS1_14partition_implILS5_1ELb0ES3_jN6thrust23THRUST_200600_302600_NS6detail15normal_iteratorINSA_10device_ptrIjEEEEPS6_NSA_18transform_iteratorI7is_evenIjESF_NSA_11use_defaultESK_EENS0_5tupleIJSF_NSA_16discard_iteratorISK_EEEEENSM_IJSG_SG_EEES6_PlJS6_EEE10hipError_tPvRmT3_T4_T5_T6_T7_T9_mT8_P12ihipStream_tbDpT10_ENKUlT_T0_E_clISt17integral_constantIbLb0EES1A_IbLb1EEEEDaS16_S17_EUlS16_E_NS1_11comp_targetILNS1_3genE8ELNS1_11target_archE1030ELNS1_3gpuE2ELNS1_3repE0EEENS1_30default_config_static_selectorELNS0_4arch9wavefront6targetE1EEEvT1_
		.amdhsa_group_segment_fixed_size 0
		.amdhsa_private_segment_fixed_size 0
		.amdhsa_kernarg_size 152
		.amdhsa_user_sgpr_count 2
		.amdhsa_user_sgpr_dispatch_ptr 0
		.amdhsa_user_sgpr_queue_ptr 0
		.amdhsa_user_sgpr_kernarg_segment_ptr 1
		.amdhsa_user_sgpr_dispatch_id 0
		.amdhsa_user_sgpr_kernarg_preload_length 0
		.amdhsa_user_sgpr_kernarg_preload_offset 0
		.amdhsa_user_sgpr_private_segment_size 0
		.amdhsa_uses_dynamic_stack 0
		.amdhsa_enable_private_segment 0
		.amdhsa_system_sgpr_workgroup_id_x 1
		.amdhsa_system_sgpr_workgroup_id_y 0
		.amdhsa_system_sgpr_workgroup_id_z 0
		.amdhsa_system_sgpr_workgroup_info 0
		.amdhsa_system_vgpr_workitem_id 0
		.amdhsa_next_free_vgpr 1
		.amdhsa_next_free_sgpr 0
		.amdhsa_accum_offset 4
		.amdhsa_reserve_vcc 0
		.amdhsa_float_round_mode_32 0
		.amdhsa_float_round_mode_16_64 0
		.amdhsa_float_denorm_mode_32 3
		.amdhsa_float_denorm_mode_16_64 3
		.amdhsa_dx10_clamp 1
		.amdhsa_ieee_mode 1
		.amdhsa_fp16_overflow 0
		.amdhsa_tg_split 0
		.amdhsa_exception_fp_ieee_invalid_op 0
		.amdhsa_exception_fp_denorm_src 0
		.amdhsa_exception_fp_ieee_div_zero 0
		.amdhsa_exception_fp_ieee_overflow 0
		.amdhsa_exception_fp_ieee_underflow 0
		.amdhsa_exception_fp_ieee_inexact 0
		.amdhsa_exception_int_div_zero 0
	.end_amdhsa_kernel
	.section	.text._ZN7rocprim17ROCPRIM_400000_NS6detail17trampoline_kernelINS0_14default_configENS1_25partition_config_selectorILNS1_17partition_subalgoE1EjNS0_10empty_typeEbEEZZNS1_14partition_implILS5_1ELb0ES3_jN6thrust23THRUST_200600_302600_NS6detail15normal_iteratorINSA_10device_ptrIjEEEEPS6_NSA_18transform_iteratorI7is_evenIjESF_NSA_11use_defaultESK_EENS0_5tupleIJSF_NSA_16discard_iteratorISK_EEEEENSM_IJSG_SG_EEES6_PlJS6_EEE10hipError_tPvRmT3_T4_T5_T6_T7_T9_mT8_P12ihipStream_tbDpT10_ENKUlT_T0_E_clISt17integral_constantIbLb0EES1A_IbLb1EEEEDaS16_S17_EUlS16_E_NS1_11comp_targetILNS1_3genE8ELNS1_11target_archE1030ELNS1_3gpuE2ELNS1_3repE0EEENS1_30default_config_static_selectorELNS0_4arch9wavefront6targetE1EEEvT1_,"axG",@progbits,_ZN7rocprim17ROCPRIM_400000_NS6detail17trampoline_kernelINS0_14default_configENS1_25partition_config_selectorILNS1_17partition_subalgoE1EjNS0_10empty_typeEbEEZZNS1_14partition_implILS5_1ELb0ES3_jN6thrust23THRUST_200600_302600_NS6detail15normal_iteratorINSA_10device_ptrIjEEEEPS6_NSA_18transform_iteratorI7is_evenIjESF_NSA_11use_defaultESK_EENS0_5tupleIJSF_NSA_16discard_iteratorISK_EEEEENSM_IJSG_SG_EEES6_PlJS6_EEE10hipError_tPvRmT3_T4_T5_T6_T7_T9_mT8_P12ihipStream_tbDpT10_ENKUlT_T0_E_clISt17integral_constantIbLb0EES1A_IbLb1EEEEDaS16_S17_EUlS16_E_NS1_11comp_targetILNS1_3genE8ELNS1_11target_archE1030ELNS1_3gpuE2ELNS1_3repE0EEENS1_30default_config_static_selectorELNS0_4arch9wavefront6targetE1EEEvT1_,comdat
.Lfunc_end3034:
	.size	_ZN7rocprim17ROCPRIM_400000_NS6detail17trampoline_kernelINS0_14default_configENS1_25partition_config_selectorILNS1_17partition_subalgoE1EjNS0_10empty_typeEbEEZZNS1_14partition_implILS5_1ELb0ES3_jN6thrust23THRUST_200600_302600_NS6detail15normal_iteratorINSA_10device_ptrIjEEEEPS6_NSA_18transform_iteratorI7is_evenIjESF_NSA_11use_defaultESK_EENS0_5tupleIJSF_NSA_16discard_iteratorISK_EEEEENSM_IJSG_SG_EEES6_PlJS6_EEE10hipError_tPvRmT3_T4_T5_T6_T7_T9_mT8_P12ihipStream_tbDpT10_ENKUlT_T0_E_clISt17integral_constantIbLb0EES1A_IbLb1EEEEDaS16_S17_EUlS16_E_NS1_11comp_targetILNS1_3genE8ELNS1_11target_archE1030ELNS1_3gpuE2ELNS1_3repE0EEENS1_30default_config_static_selectorELNS0_4arch9wavefront6targetE1EEEvT1_, .Lfunc_end3034-_ZN7rocprim17ROCPRIM_400000_NS6detail17trampoline_kernelINS0_14default_configENS1_25partition_config_selectorILNS1_17partition_subalgoE1EjNS0_10empty_typeEbEEZZNS1_14partition_implILS5_1ELb0ES3_jN6thrust23THRUST_200600_302600_NS6detail15normal_iteratorINSA_10device_ptrIjEEEEPS6_NSA_18transform_iteratorI7is_evenIjESF_NSA_11use_defaultESK_EENS0_5tupleIJSF_NSA_16discard_iteratorISK_EEEEENSM_IJSG_SG_EEES6_PlJS6_EEE10hipError_tPvRmT3_T4_T5_T6_T7_T9_mT8_P12ihipStream_tbDpT10_ENKUlT_T0_E_clISt17integral_constantIbLb0EES1A_IbLb1EEEEDaS16_S17_EUlS16_E_NS1_11comp_targetILNS1_3genE8ELNS1_11target_archE1030ELNS1_3gpuE2ELNS1_3repE0EEENS1_30default_config_static_selectorELNS0_4arch9wavefront6targetE1EEEvT1_
                                        ; -- End function
	.section	.AMDGPU.csdata,"",@progbits
; Kernel info:
; codeLenInByte = 0
; NumSgprs: 6
; NumVgprs: 0
; NumAgprs: 0
; TotalNumVgprs: 0
; ScratchSize: 0
; MemoryBound: 0
; FloatMode: 240
; IeeeMode: 1
; LDSByteSize: 0 bytes/workgroup (compile time only)
; SGPRBlocks: 0
; VGPRBlocks: 0
; NumSGPRsForWavesPerEU: 6
; NumVGPRsForWavesPerEU: 1
; AccumOffset: 4
; Occupancy: 8
; WaveLimiterHint : 0
; COMPUTE_PGM_RSRC2:SCRATCH_EN: 0
; COMPUTE_PGM_RSRC2:USER_SGPR: 2
; COMPUTE_PGM_RSRC2:TRAP_HANDLER: 0
; COMPUTE_PGM_RSRC2:TGID_X_EN: 1
; COMPUTE_PGM_RSRC2:TGID_Y_EN: 0
; COMPUTE_PGM_RSRC2:TGID_Z_EN: 0
; COMPUTE_PGM_RSRC2:TIDIG_COMP_CNT: 0
; COMPUTE_PGM_RSRC3_GFX90A:ACCUM_OFFSET: 0
; COMPUTE_PGM_RSRC3_GFX90A:TG_SPLIT: 0
	.section	.text._ZN7rocprim17ROCPRIM_400000_NS6detail17trampoline_kernelINS0_14default_configENS1_25partition_config_selectorILNS1_17partition_subalgoE1EjNS0_10empty_typeEbEEZZNS1_14partition_implILS5_1ELb0ES3_jN6thrust23THRUST_200600_302600_NS6detail15normal_iteratorINSA_10device_ptrIjEEEEPS6_NSA_18transform_iteratorI7is_evenIjESF_NSA_11use_defaultESK_EENS0_5tupleIJNSA_16discard_iteratorISK_EESF_EEENSM_IJSG_SG_EEES6_PlJS6_EEE10hipError_tPvRmT3_T4_T5_T6_T7_T9_mT8_P12ihipStream_tbDpT10_ENKUlT_T0_E_clISt17integral_constantIbLb0EES1B_EEDaS16_S17_EUlS16_E_NS1_11comp_targetILNS1_3genE0ELNS1_11target_archE4294967295ELNS1_3gpuE0ELNS1_3repE0EEENS1_30default_config_static_selectorELNS0_4arch9wavefront6targetE1EEEvT1_,"axG",@progbits,_ZN7rocprim17ROCPRIM_400000_NS6detail17trampoline_kernelINS0_14default_configENS1_25partition_config_selectorILNS1_17partition_subalgoE1EjNS0_10empty_typeEbEEZZNS1_14partition_implILS5_1ELb0ES3_jN6thrust23THRUST_200600_302600_NS6detail15normal_iteratorINSA_10device_ptrIjEEEEPS6_NSA_18transform_iteratorI7is_evenIjESF_NSA_11use_defaultESK_EENS0_5tupleIJNSA_16discard_iteratorISK_EESF_EEENSM_IJSG_SG_EEES6_PlJS6_EEE10hipError_tPvRmT3_T4_T5_T6_T7_T9_mT8_P12ihipStream_tbDpT10_ENKUlT_T0_E_clISt17integral_constantIbLb0EES1B_EEDaS16_S17_EUlS16_E_NS1_11comp_targetILNS1_3genE0ELNS1_11target_archE4294967295ELNS1_3gpuE0ELNS1_3repE0EEENS1_30default_config_static_selectorELNS0_4arch9wavefront6targetE1EEEvT1_,comdat
	.protected	_ZN7rocprim17ROCPRIM_400000_NS6detail17trampoline_kernelINS0_14default_configENS1_25partition_config_selectorILNS1_17partition_subalgoE1EjNS0_10empty_typeEbEEZZNS1_14partition_implILS5_1ELb0ES3_jN6thrust23THRUST_200600_302600_NS6detail15normal_iteratorINSA_10device_ptrIjEEEEPS6_NSA_18transform_iteratorI7is_evenIjESF_NSA_11use_defaultESK_EENS0_5tupleIJNSA_16discard_iteratorISK_EESF_EEENSM_IJSG_SG_EEES6_PlJS6_EEE10hipError_tPvRmT3_T4_T5_T6_T7_T9_mT8_P12ihipStream_tbDpT10_ENKUlT_T0_E_clISt17integral_constantIbLb0EES1B_EEDaS16_S17_EUlS16_E_NS1_11comp_targetILNS1_3genE0ELNS1_11target_archE4294967295ELNS1_3gpuE0ELNS1_3repE0EEENS1_30default_config_static_selectorELNS0_4arch9wavefront6targetE1EEEvT1_ ; -- Begin function _ZN7rocprim17ROCPRIM_400000_NS6detail17trampoline_kernelINS0_14default_configENS1_25partition_config_selectorILNS1_17partition_subalgoE1EjNS0_10empty_typeEbEEZZNS1_14partition_implILS5_1ELb0ES3_jN6thrust23THRUST_200600_302600_NS6detail15normal_iteratorINSA_10device_ptrIjEEEEPS6_NSA_18transform_iteratorI7is_evenIjESF_NSA_11use_defaultESK_EENS0_5tupleIJNSA_16discard_iteratorISK_EESF_EEENSM_IJSG_SG_EEES6_PlJS6_EEE10hipError_tPvRmT3_T4_T5_T6_T7_T9_mT8_P12ihipStream_tbDpT10_ENKUlT_T0_E_clISt17integral_constantIbLb0EES1B_EEDaS16_S17_EUlS16_E_NS1_11comp_targetILNS1_3genE0ELNS1_11target_archE4294967295ELNS1_3gpuE0ELNS1_3repE0EEENS1_30default_config_static_selectorELNS0_4arch9wavefront6targetE1EEEvT1_
	.globl	_ZN7rocprim17ROCPRIM_400000_NS6detail17trampoline_kernelINS0_14default_configENS1_25partition_config_selectorILNS1_17partition_subalgoE1EjNS0_10empty_typeEbEEZZNS1_14partition_implILS5_1ELb0ES3_jN6thrust23THRUST_200600_302600_NS6detail15normal_iteratorINSA_10device_ptrIjEEEEPS6_NSA_18transform_iteratorI7is_evenIjESF_NSA_11use_defaultESK_EENS0_5tupleIJNSA_16discard_iteratorISK_EESF_EEENSM_IJSG_SG_EEES6_PlJS6_EEE10hipError_tPvRmT3_T4_T5_T6_T7_T9_mT8_P12ihipStream_tbDpT10_ENKUlT_T0_E_clISt17integral_constantIbLb0EES1B_EEDaS16_S17_EUlS16_E_NS1_11comp_targetILNS1_3genE0ELNS1_11target_archE4294967295ELNS1_3gpuE0ELNS1_3repE0EEENS1_30default_config_static_selectorELNS0_4arch9wavefront6targetE1EEEvT1_
	.p2align	8
	.type	_ZN7rocprim17ROCPRIM_400000_NS6detail17trampoline_kernelINS0_14default_configENS1_25partition_config_selectorILNS1_17partition_subalgoE1EjNS0_10empty_typeEbEEZZNS1_14partition_implILS5_1ELb0ES3_jN6thrust23THRUST_200600_302600_NS6detail15normal_iteratorINSA_10device_ptrIjEEEEPS6_NSA_18transform_iteratorI7is_evenIjESF_NSA_11use_defaultESK_EENS0_5tupleIJNSA_16discard_iteratorISK_EESF_EEENSM_IJSG_SG_EEES6_PlJS6_EEE10hipError_tPvRmT3_T4_T5_T6_T7_T9_mT8_P12ihipStream_tbDpT10_ENKUlT_T0_E_clISt17integral_constantIbLb0EES1B_EEDaS16_S17_EUlS16_E_NS1_11comp_targetILNS1_3genE0ELNS1_11target_archE4294967295ELNS1_3gpuE0ELNS1_3repE0EEENS1_30default_config_static_selectorELNS0_4arch9wavefront6targetE1EEEvT1_,@function
_ZN7rocprim17ROCPRIM_400000_NS6detail17trampoline_kernelINS0_14default_configENS1_25partition_config_selectorILNS1_17partition_subalgoE1EjNS0_10empty_typeEbEEZZNS1_14partition_implILS5_1ELb0ES3_jN6thrust23THRUST_200600_302600_NS6detail15normal_iteratorINSA_10device_ptrIjEEEEPS6_NSA_18transform_iteratorI7is_evenIjESF_NSA_11use_defaultESK_EENS0_5tupleIJNSA_16discard_iteratorISK_EESF_EEENSM_IJSG_SG_EEES6_PlJS6_EEE10hipError_tPvRmT3_T4_T5_T6_T7_T9_mT8_P12ihipStream_tbDpT10_ENKUlT_T0_E_clISt17integral_constantIbLb0EES1B_EEDaS16_S17_EUlS16_E_NS1_11comp_targetILNS1_3genE0ELNS1_11target_archE4294967295ELNS1_3gpuE0ELNS1_3repE0EEENS1_30default_config_static_selectorELNS0_4arch9wavefront6targetE1EEEvT1_: ; @_ZN7rocprim17ROCPRIM_400000_NS6detail17trampoline_kernelINS0_14default_configENS1_25partition_config_selectorILNS1_17partition_subalgoE1EjNS0_10empty_typeEbEEZZNS1_14partition_implILS5_1ELb0ES3_jN6thrust23THRUST_200600_302600_NS6detail15normal_iteratorINSA_10device_ptrIjEEEEPS6_NSA_18transform_iteratorI7is_evenIjESF_NSA_11use_defaultESK_EENS0_5tupleIJNSA_16discard_iteratorISK_EESF_EEENSM_IJSG_SG_EEES6_PlJS6_EEE10hipError_tPvRmT3_T4_T5_T6_T7_T9_mT8_P12ihipStream_tbDpT10_ENKUlT_T0_E_clISt17integral_constantIbLb0EES1B_EEDaS16_S17_EUlS16_E_NS1_11comp_targetILNS1_3genE0ELNS1_11target_archE4294967295ELNS1_3gpuE0ELNS1_3repE0EEENS1_30default_config_static_selectorELNS0_4arch9wavefront6targetE1EEEvT1_
; %bb.0:
	.section	.rodata,"a",@progbits
	.p2align	6, 0x0
	.amdhsa_kernel _ZN7rocprim17ROCPRIM_400000_NS6detail17trampoline_kernelINS0_14default_configENS1_25partition_config_selectorILNS1_17partition_subalgoE1EjNS0_10empty_typeEbEEZZNS1_14partition_implILS5_1ELb0ES3_jN6thrust23THRUST_200600_302600_NS6detail15normal_iteratorINSA_10device_ptrIjEEEEPS6_NSA_18transform_iteratorI7is_evenIjESF_NSA_11use_defaultESK_EENS0_5tupleIJNSA_16discard_iteratorISK_EESF_EEENSM_IJSG_SG_EEES6_PlJS6_EEE10hipError_tPvRmT3_T4_T5_T6_T7_T9_mT8_P12ihipStream_tbDpT10_ENKUlT_T0_E_clISt17integral_constantIbLb0EES1B_EEDaS16_S17_EUlS16_E_NS1_11comp_targetILNS1_3genE0ELNS1_11target_archE4294967295ELNS1_3gpuE0ELNS1_3repE0EEENS1_30default_config_static_selectorELNS0_4arch9wavefront6targetE1EEEvT1_
		.amdhsa_group_segment_fixed_size 0
		.amdhsa_private_segment_fixed_size 0
		.amdhsa_kernarg_size 136
		.amdhsa_user_sgpr_count 2
		.amdhsa_user_sgpr_dispatch_ptr 0
		.amdhsa_user_sgpr_queue_ptr 0
		.amdhsa_user_sgpr_kernarg_segment_ptr 1
		.amdhsa_user_sgpr_dispatch_id 0
		.amdhsa_user_sgpr_kernarg_preload_length 0
		.amdhsa_user_sgpr_kernarg_preload_offset 0
		.amdhsa_user_sgpr_private_segment_size 0
		.amdhsa_uses_dynamic_stack 0
		.amdhsa_enable_private_segment 0
		.amdhsa_system_sgpr_workgroup_id_x 1
		.amdhsa_system_sgpr_workgroup_id_y 0
		.amdhsa_system_sgpr_workgroup_id_z 0
		.amdhsa_system_sgpr_workgroup_info 0
		.amdhsa_system_vgpr_workitem_id 0
		.amdhsa_next_free_vgpr 1
		.amdhsa_next_free_sgpr 0
		.amdhsa_accum_offset 4
		.amdhsa_reserve_vcc 0
		.amdhsa_float_round_mode_32 0
		.amdhsa_float_round_mode_16_64 0
		.amdhsa_float_denorm_mode_32 3
		.amdhsa_float_denorm_mode_16_64 3
		.amdhsa_dx10_clamp 1
		.amdhsa_ieee_mode 1
		.amdhsa_fp16_overflow 0
		.amdhsa_tg_split 0
		.amdhsa_exception_fp_ieee_invalid_op 0
		.amdhsa_exception_fp_denorm_src 0
		.amdhsa_exception_fp_ieee_div_zero 0
		.amdhsa_exception_fp_ieee_overflow 0
		.amdhsa_exception_fp_ieee_underflow 0
		.amdhsa_exception_fp_ieee_inexact 0
		.amdhsa_exception_int_div_zero 0
	.end_amdhsa_kernel
	.section	.text._ZN7rocprim17ROCPRIM_400000_NS6detail17trampoline_kernelINS0_14default_configENS1_25partition_config_selectorILNS1_17partition_subalgoE1EjNS0_10empty_typeEbEEZZNS1_14partition_implILS5_1ELb0ES3_jN6thrust23THRUST_200600_302600_NS6detail15normal_iteratorINSA_10device_ptrIjEEEEPS6_NSA_18transform_iteratorI7is_evenIjESF_NSA_11use_defaultESK_EENS0_5tupleIJNSA_16discard_iteratorISK_EESF_EEENSM_IJSG_SG_EEES6_PlJS6_EEE10hipError_tPvRmT3_T4_T5_T6_T7_T9_mT8_P12ihipStream_tbDpT10_ENKUlT_T0_E_clISt17integral_constantIbLb0EES1B_EEDaS16_S17_EUlS16_E_NS1_11comp_targetILNS1_3genE0ELNS1_11target_archE4294967295ELNS1_3gpuE0ELNS1_3repE0EEENS1_30default_config_static_selectorELNS0_4arch9wavefront6targetE1EEEvT1_,"axG",@progbits,_ZN7rocprim17ROCPRIM_400000_NS6detail17trampoline_kernelINS0_14default_configENS1_25partition_config_selectorILNS1_17partition_subalgoE1EjNS0_10empty_typeEbEEZZNS1_14partition_implILS5_1ELb0ES3_jN6thrust23THRUST_200600_302600_NS6detail15normal_iteratorINSA_10device_ptrIjEEEEPS6_NSA_18transform_iteratorI7is_evenIjESF_NSA_11use_defaultESK_EENS0_5tupleIJNSA_16discard_iteratorISK_EESF_EEENSM_IJSG_SG_EEES6_PlJS6_EEE10hipError_tPvRmT3_T4_T5_T6_T7_T9_mT8_P12ihipStream_tbDpT10_ENKUlT_T0_E_clISt17integral_constantIbLb0EES1B_EEDaS16_S17_EUlS16_E_NS1_11comp_targetILNS1_3genE0ELNS1_11target_archE4294967295ELNS1_3gpuE0ELNS1_3repE0EEENS1_30default_config_static_selectorELNS0_4arch9wavefront6targetE1EEEvT1_,comdat
.Lfunc_end3035:
	.size	_ZN7rocprim17ROCPRIM_400000_NS6detail17trampoline_kernelINS0_14default_configENS1_25partition_config_selectorILNS1_17partition_subalgoE1EjNS0_10empty_typeEbEEZZNS1_14partition_implILS5_1ELb0ES3_jN6thrust23THRUST_200600_302600_NS6detail15normal_iteratorINSA_10device_ptrIjEEEEPS6_NSA_18transform_iteratorI7is_evenIjESF_NSA_11use_defaultESK_EENS0_5tupleIJNSA_16discard_iteratorISK_EESF_EEENSM_IJSG_SG_EEES6_PlJS6_EEE10hipError_tPvRmT3_T4_T5_T6_T7_T9_mT8_P12ihipStream_tbDpT10_ENKUlT_T0_E_clISt17integral_constantIbLb0EES1B_EEDaS16_S17_EUlS16_E_NS1_11comp_targetILNS1_3genE0ELNS1_11target_archE4294967295ELNS1_3gpuE0ELNS1_3repE0EEENS1_30default_config_static_selectorELNS0_4arch9wavefront6targetE1EEEvT1_, .Lfunc_end3035-_ZN7rocprim17ROCPRIM_400000_NS6detail17trampoline_kernelINS0_14default_configENS1_25partition_config_selectorILNS1_17partition_subalgoE1EjNS0_10empty_typeEbEEZZNS1_14partition_implILS5_1ELb0ES3_jN6thrust23THRUST_200600_302600_NS6detail15normal_iteratorINSA_10device_ptrIjEEEEPS6_NSA_18transform_iteratorI7is_evenIjESF_NSA_11use_defaultESK_EENS0_5tupleIJNSA_16discard_iteratorISK_EESF_EEENSM_IJSG_SG_EEES6_PlJS6_EEE10hipError_tPvRmT3_T4_T5_T6_T7_T9_mT8_P12ihipStream_tbDpT10_ENKUlT_T0_E_clISt17integral_constantIbLb0EES1B_EEDaS16_S17_EUlS16_E_NS1_11comp_targetILNS1_3genE0ELNS1_11target_archE4294967295ELNS1_3gpuE0ELNS1_3repE0EEENS1_30default_config_static_selectorELNS0_4arch9wavefront6targetE1EEEvT1_
                                        ; -- End function
	.section	.AMDGPU.csdata,"",@progbits
; Kernel info:
; codeLenInByte = 0
; NumSgprs: 6
; NumVgprs: 0
; NumAgprs: 0
; TotalNumVgprs: 0
; ScratchSize: 0
; MemoryBound: 0
; FloatMode: 240
; IeeeMode: 1
; LDSByteSize: 0 bytes/workgroup (compile time only)
; SGPRBlocks: 0
; VGPRBlocks: 0
; NumSGPRsForWavesPerEU: 6
; NumVGPRsForWavesPerEU: 1
; AccumOffset: 4
; Occupancy: 8
; WaveLimiterHint : 0
; COMPUTE_PGM_RSRC2:SCRATCH_EN: 0
; COMPUTE_PGM_RSRC2:USER_SGPR: 2
; COMPUTE_PGM_RSRC2:TRAP_HANDLER: 0
; COMPUTE_PGM_RSRC2:TGID_X_EN: 1
; COMPUTE_PGM_RSRC2:TGID_Y_EN: 0
; COMPUTE_PGM_RSRC2:TGID_Z_EN: 0
; COMPUTE_PGM_RSRC2:TIDIG_COMP_CNT: 0
; COMPUTE_PGM_RSRC3_GFX90A:ACCUM_OFFSET: 0
; COMPUTE_PGM_RSRC3_GFX90A:TG_SPLIT: 0
	.section	.text._ZN7rocprim17ROCPRIM_400000_NS6detail17trampoline_kernelINS0_14default_configENS1_25partition_config_selectorILNS1_17partition_subalgoE1EjNS0_10empty_typeEbEEZZNS1_14partition_implILS5_1ELb0ES3_jN6thrust23THRUST_200600_302600_NS6detail15normal_iteratorINSA_10device_ptrIjEEEEPS6_NSA_18transform_iteratorI7is_evenIjESF_NSA_11use_defaultESK_EENS0_5tupleIJNSA_16discard_iteratorISK_EESF_EEENSM_IJSG_SG_EEES6_PlJS6_EEE10hipError_tPvRmT3_T4_T5_T6_T7_T9_mT8_P12ihipStream_tbDpT10_ENKUlT_T0_E_clISt17integral_constantIbLb0EES1B_EEDaS16_S17_EUlS16_E_NS1_11comp_targetILNS1_3genE5ELNS1_11target_archE942ELNS1_3gpuE9ELNS1_3repE0EEENS1_30default_config_static_selectorELNS0_4arch9wavefront6targetE1EEEvT1_,"axG",@progbits,_ZN7rocprim17ROCPRIM_400000_NS6detail17trampoline_kernelINS0_14default_configENS1_25partition_config_selectorILNS1_17partition_subalgoE1EjNS0_10empty_typeEbEEZZNS1_14partition_implILS5_1ELb0ES3_jN6thrust23THRUST_200600_302600_NS6detail15normal_iteratorINSA_10device_ptrIjEEEEPS6_NSA_18transform_iteratorI7is_evenIjESF_NSA_11use_defaultESK_EENS0_5tupleIJNSA_16discard_iteratorISK_EESF_EEENSM_IJSG_SG_EEES6_PlJS6_EEE10hipError_tPvRmT3_T4_T5_T6_T7_T9_mT8_P12ihipStream_tbDpT10_ENKUlT_T0_E_clISt17integral_constantIbLb0EES1B_EEDaS16_S17_EUlS16_E_NS1_11comp_targetILNS1_3genE5ELNS1_11target_archE942ELNS1_3gpuE9ELNS1_3repE0EEENS1_30default_config_static_selectorELNS0_4arch9wavefront6targetE1EEEvT1_,comdat
	.protected	_ZN7rocprim17ROCPRIM_400000_NS6detail17trampoline_kernelINS0_14default_configENS1_25partition_config_selectorILNS1_17partition_subalgoE1EjNS0_10empty_typeEbEEZZNS1_14partition_implILS5_1ELb0ES3_jN6thrust23THRUST_200600_302600_NS6detail15normal_iteratorINSA_10device_ptrIjEEEEPS6_NSA_18transform_iteratorI7is_evenIjESF_NSA_11use_defaultESK_EENS0_5tupleIJNSA_16discard_iteratorISK_EESF_EEENSM_IJSG_SG_EEES6_PlJS6_EEE10hipError_tPvRmT3_T4_T5_T6_T7_T9_mT8_P12ihipStream_tbDpT10_ENKUlT_T0_E_clISt17integral_constantIbLb0EES1B_EEDaS16_S17_EUlS16_E_NS1_11comp_targetILNS1_3genE5ELNS1_11target_archE942ELNS1_3gpuE9ELNS1_3repE0EEENS1_30default_config_static_selectorELNS0_4arch9wavefront6targetE1EEEvT1_ ; -- Begin function _ZN7rocprim17ROCPRIM_400000_NS6detail17trampoline_kernelINS0_14default_configENS1_25partition_config_selectorILNS1_17partition_subalgoE1EjNS0_10empty_typeEbEEZZNS1_14partition_implILS5_1ELb0ES3_jN6thrust23THRUST_200600_302600_NS6detail15normal_iteratorINSA_10device_ptrIjEEEEPS6_NSA_18transform_iteratorI7is_evenIjESF_NSA_11use_defaultESK_EENS0_5tupleIJNSA_16discard_iteratorISK_EESF_EEENSM_IJSG_SG_EEES6_PlJS6_EEE10hipError_tPvRmT3_T4_T5_T6_T7_T9_mT8_P12ihipStream_tbDpT10_ENKUlT_T0_E_clISt17integral_constantIbLb0EES1B_EEDaS16_S17_EUlS16_E_NS1_11comp_targetILNS1_3genE5ELNS1_11target_archE942ELNS1_3gpuE9ELNS1_3repE0EEENS1_30default_config_static_selectorELNS0_4arch9wavefront6targetE1EEEvT1_
	.globl	_ZN7rocprim17ROCPRIM_400000_NS6detail17trampoline_kernelINS0_14default_configENS1_25partition_config_selectorILNS1_17partition_subalgoE1EjNS0_10empty_typeEbEEZZNS1_14partition_implILS5_1ELb0ES3_jN6thrust23THRUST_200600_302600_NS6detail15normal_iteratorINSA_10device_ptrIjEEEEPS6_NSA_18transform_iteratorI7is_evenIjESF_NSA_11use_defaultESK_EENS0_5tupleIJNSA_16discard_iteratorISK_EESF_EEENSM_IJSG_SG_EEES6_PlJS6_EEE10hipError_tPvRmT3_T4_T5_T6_T7_T9_mT8_P12ihipStream_tbDpT10_ENKUlT_T0_E_clISt17integral_constantIbLb0EES1B_EEDaS16_S17_EUlS16_E_NS1_11comp_targetILNS1_3genE5ELNS1_11target_archE942ELNS1_3gpuE9ELNS1_3repE0EEENS1_30default_config_static_selectorELNS0_4arch9wavefront6targetE1EEEvT1_
	.p2align	8
	.type	_ZN7rocprim17ROCPRIM_400000_NS6detail17trampoline_kernelINS0_14default_configENS1_25partition_config_selectorILNS1_17partition_subalgoE1EjNS0_10empty_typeEbEEZZNS1_14partition_implILS5_1ELb0ES3_jN6thrust23THRUST_200600_302600_NS6detail15normal_iteratorINSA_10device_ptrIjEEEEPS6_NSA_18transform_iteratorI7is_evenIjESF_NSA_11use_defaultESK_EENS0_5tupleIJNSA_16discard_iteratorISK_EESF_EEENSM_IJSG_SG_EEES6_PlJS6_EEE10hipError_tPvRmT3_T4_T5_T6_T7_T9_mT8_P12ihipStream_tbDpT10_ENKUlT_T0_E_clISt17integral_constantIbLb0EES1B_EEDaS16_S17_EUlS16_E_NS1_11comp_targetILNS1_3genE5ELNS1_11target_archE942ELNS1_3gpuE9ELNS1_3repE0EEENS1_30default_config_static_selectorELNS0_4arch9wavefront6targetE1EEEvT1_,@function
_ZN7rocprim17ROCPRIM_400000_NS6detail17trampoline_kernelINS0_14default_configENS1_25partition_config_selectorILNS1_17partition_subalgoE1EjNS0_10empty_typeEbEEZZNS1_14partition_implILS5_1ELb0ES3_jN6thrust23THRUST_200600_302600_NS6detail15normal_iteratorINSA_10device_ptrIjEEEEPS6_NSA_18transform_iteratorI7is_evenIjESF_NSA_11use_defaultESK_EENS0_5tupleIJNSA_16discard_iteratorISK_EESF_EEENSM_IJSG_SG_EEES6_PlJS6_EEE10hipError_tPvRmT3_T4_T5_T6_T7_T9_mT8_P12ihipStream_tbDpT10_ENKUlT_T0_E_clISt17integral_constantIbLb0EES1B_EEDaS16_S17_EUlS16_E_NS1_11comp_targetILNS1_3genE5ELNS1_11target_archE942ELNS1_3gpuE9ELNS1_3repE0EEENS1_30default_config_static_selectorELNS0_4arch9wavefront6targetE1EEEvT1_: ; @_ZN7rocprim17ROCPRIM_400000_NS6detail17trampoline_kernelINS0_14default_configENS1_25partition_config_selectorILNS1_17partition_subalgoE1EjNS0_10empty_typeEbEEZZNS1_14partition_implILS5_1ELb0ES3_jN6thrust23THRUST_200600_302600_NS6detail15normal_iteratorINSA_10device_ptrIjEEEEPS6_NSA_18transform_iteratorI7is_evenIjESF_NSA_11use_defaultESK_EENS0_5tupleIJNSA_16discard_iteratorISK_EESF_EEENSM_IJSG_SG_EEES6_PlJS6_EEE10hipError_tPvRmT3_T4_T5_T6_T7_T9_mT8_P12ihipStream_tbDpT10_ENKUlT_T0_E_clISt17integral_constantIbLb0EES1B_EEDaS16_S17_EUlS16_E_NS1_11comp_targetILNS1_3genE5ELNS1_11target_archE942ELNS1_3gpuE9ELNS1_3repE0EEENS1_30default_config_static_selectorELNS0_4arch9wavefront6targetE1EEEvT1_
; %bb.0:
	s_load_dwordx2 s[4:5], s[0:1], 0x68
	s_load_dwordx4 s[24:27], s[0:1], 0x8
	s_load_dwordx2 s[6:7], s[0:1], 0x20
	s_load_dwordx4 s[20:23], s[0:1], 0x58
	s_load_dword s3, s[0:1], 0x80
	s_waitcnt lgkmcnt(0)
	v_mov_b32_e32 v3, s5
	s_lshl_b64 s[8:9], s[26:27], 2
	s_add_u32 s12, s24, s8
	s_addc_u32 s13, s25, s9
	s_add_i32 s14, s3, -1
	s_mulk_i32 s3, 0x1e00
	s_add_i32 s5, s3, s26
	s_sub_i32 s33, s4, s5
	s_addk_i32 s33, 0x1e00
	v_mov_b32_e32 v2, s4
	s_add_u32 s4, s26, s3
	s_addc_u32 s5, s27, 0
	s_cmp_eq_u32 s2, s14
	s_load_dwordx2 s[24:25], s[22:23], 0x0
	s_cselect_b64 s[22:23], -1, 0
	s_cmp_lg_u32 s2, s14
	s_mul_i32 s10, s2, 0x1e00
	s_mov_b32 s11, 0
	v_cmp_lt_u64_e32 vcc, s[4:5], v[2:3]
	s_cselect_b64 s[4:5], -1, 0
	s_or_b64 s[28:29], s[4:5], vcc
	s_lshl_b64 s[30:31], s[10:11], 2
	s_add_u32 s10, s12, s30
	s_addc_u32 s11, s13, s31
	s_mov_b64 s[4:5], -1
	s_and_b64 vcc, exec, s[28:29]
	v_lshlrev_b32_e32 v22, 2, v0
	s_cbranch_vccz .LBB3036_2
; %bb.1:
	v_mov_b32_e32 v23, 0
	v_lshl_add_u64 v[2:3], s[10:11], 0, v[22:23]
	v_add_co_u32_e32 v4, vcc, 0x1000, v2
	s_mov_b64 s[4:5], 0
	s_nop 0
	v_addc_co_u32_e32 v5, vcc, 0, v3, vcc
	v_add_co_u32_e32 v6, vcc, 0x2000, v2
	s_nop 1
	v_addc_co_u32_e32 v7, vcc, 0, v3, vcc
	v_add_co_u32_e32 v8, vcc, 0x3000, v2
	s_nop 1
	v_addc_co_u32_e32 v9, vcc, 0, v3, vcc
	flat_load_dword v1, v[2:3]
	flat_load_dword v10, v[2:3] offset:2048
	flat_load_dword v11, v[4:5]
	flat_load_dword v12, v[4:5] offset:2048
	flat_load_dword v13, v[6:7]
	flat_load_dword v14, v[6:7] offset:2048
	flat_load_dword v15, v[8:9]
	flat_load_dword v16, v[8:9] offset:2048
	v_add_co_u32_e32 v4, vcc, 0x4000, v2
	s_nop 1
	v_addc_co_u32_e32 v5, vcc, 0, v3, vcc
	v_add_co_u32_e32 v6, vcc, 0x5000, v2
	s_nop 1
	v_addc_co_u32_e32 v7, vcc, 0, v3, vcc
	v_add_co_u32_e32 v8, vcc, 0x6000, v2
	s_nop 1
	v_addc_co_u32_e32 v9, vcc, 0, v3, vcc
	v_add_co_u32_e32 v2, vcc, 0x7000, v2
	s_nop 1
	v_addc_co_u32_e32 v3, vcc, 0, v3, vcc
	flat_load_dword v17, v[4:5]
	flat_load_dword v18, v[4:5] offset:2048
	flat_load_dword v19, v[6:7]
	flat_load_dword v20, v[6:7] offset:2048
	;; [unrolled: 2-line block ×3, first 2 shown]
	flat_load_dword v24, v[2:3]
	s_waitcnt vmcnt(0) lgkmcnt(0)
	ds_write2st64_b32 v22, v1, v10 offset1:8
	ds_write2st64_b32 v22, v11, v12 offset0:16 offset1:24
	ds_write2st64_b32 v22, v13, v14 offset0:32 offset1:40
	;; [unrolled: 1-line block ×6, first 2 shown]
	ds_write_b32 v22, v24 offset:28672
	s_waitcnt lgkmcnt(0)
	s_barrier
.LBB3036_2:
	s_andn2_b64 vcc, exec, s[4:5]
	v_cmp_gt_u32_e64 s[4:5], s33, v0
	s_cbranch_vccnz .LBB3036_34
; %bb.3:
                                        ; implicit-def: $vgpr2_vgpr3_vgpr4_vgpr5_vgpr6_vgpr7_vgpr8_vgpr9_vgpr10_vgpr11_vgpr12_vgpr13_vgpr14_vgpr15_vgpr16_vgpr17
	s_and_saveexec_b64 s[12:13], s[4:5]
	s_cbranch_execz .LBB3036_5
; %bb.4:
	v_mov_b32_e32 v23, 0
	v_lshl_add_u64 v[2:3], s[10:11], 0, v[22:23]
	flat_load_dword v2, v[2:3]
.LBB3036_5:
	s_or_b64 exec, exec, s[12:13]
	v_or_b32_e32 v1, 0x200, v0
	v_cmp_gt_u32_e32 vcc, s33, v1
	s_and_saveexec_b64 s[4:5], vcc
	s_cbranch_execz .LBB3036_7
; %bb.6:
	v_mov_b32_e32 v23, 0
	v_lshl_add_u64 v[18:19], s[10:11], 0, v[22:23]
	flat_load_dword v3, v[18:19] offset:2048
.LBB3036_7:
	s_or_b64 exec, exec, s[4:5]
	v_or_b32_e32 v1, 0x400, v0
	v_cmp_gt_u32_e32 vcc, s33, v1
	s_and_saveexec_b64 s[4:5], vcc
	s_cbranch_execz .LBB3036_9
; %bb.8:
	v_lshlrev_b32_e32 v18, 2, v1
	v_mov_b32_e32 v19, 0
	v_lshl_add_u64 v[18:19], s[10:11], 0, v[18:19]
	flat_load_dword v4, v[18:19]
.LBB3036_9:
	s_or_b64 exec, exec, s[4:5]
	v_or_b32_e32 v1, 0x600, v0
	v_cmp_gt_u32_e32 vcc, s33, v1
	s_and_saveexec_b64 s[4:5], vcc
	s_cbranch_execz .LBB3036_11
; %bb.10:
	v_lshlrev_b32_e32 v18, 2, v1
	v_mov_b32_e32 v19, 0
	v_lshl_add_u64 v[18:19], s[10:11], 0, v[18:19]
	flat_load_dword v5, v[18:19]
.LBB3036_11:
	s_or_b64 exec, exec, s[4:5]
	v_or_b32_e32 v1, 0x800, v0
	v_cmp_gt_u32_e32 vcc, s33, v1
	s_and_saveexec_b64 s[4:5], vcc
	s_cbranch_execz .LBB3036_13
; %bb.12:
	v_lshlrev_b32_e32 v18, 2, v1
	v_mov_b32_e32 v19, 0
	v_lshl_add_u64 v[18:19], s[10:11], 0, v[18:19]
	flat_load_dword v6, v[18:19]
.LBB3036_13:
	s_or_b64 exec, exec, s[4:5]
	v_or_b32_e32 v1, 0xa00, v0
	v_cmp_gt_u32_e32 vcc, s33, v1
	s_and_saveexec_b64 s[4:5], vcc
	s_cbranch_execz .LBB3036_15
; %bb.14:
	v_lshlrev_b32_e32 v18, 2, v1
	v_mov_b32_e32 v19, 0
	v_lshl_add_u64 v[18:19], s[10:11], 0, v[18:19]
	flat_load_dword v7, v[18:19]
.LBB3036_15:
	s_or_b64 exec, exec, s[4:5]
	v_or_b32_e32 v1, 0xc00, v0
	v_cmp_gt_u32_e32 vcc, s33, v1
	s_and_saveexec_b64 s[4:5], vcc
	s_cbranch_execz .LBB3036_17
; %bb.16:
	v_lshlrev_b32_e32 v18, 2, v1
	v_mov_b32_e32 v19, 0
	v_lshl_add_u64 v[18:19], s[10:11], 0, v[18:19]
	flat_load_dword v8, v[18:19]
.LBB3036_17:
	s_or_b64 exec, exec, s[4:5]
	v_or_b32_e32 v1, 0xe00, v0
	v_cmp_gt_u32_e32 vcc, s33, v1
	s_and_saveexec_b64 s[4:5], vcc
	s_cbranch_execz .LBB3036_19
; %bb.18:
	v_lshlrev_b32_e32 v18, 2, v1
	v_mov_b32_e32 v19, 0
	v_lshl_add_u64 v[18:19], s[10:11], 0, v[18:19]
	flat_load_dword v9, v[18:19]
.LBB3036_19:
	s_or_b64 exec, exec, s[4:5]
	v_or_b32_e32 v1, 0x1000, v0
	v_cmp_gt_u32_e32 vcc, s33, v1
	s_and_saveexec_b64 s[4:5], vcc
	s_cbranch_execz .LBB3036_21
; %bb.20:
	v_lshlrev_b32_e32 v18, 2, v1
	v_mov_b32_e32 v19, 0
	v_lshl_add_u64 v[18:19], s[10:11], 0, v[18:19]
	flat_load_dword v10, v[18:19]
.LBB3036_21:
	s_or_b64 exec, exec, s[4:5]
	v_or_b32_e32 v1, 0x1200, v0
	v_cmp_gt_u32_e32 vcc, s33, v1
	s_and_saveexec_b64 s[4:5], vcc
	s_cbranch_execz .LBB3036_23
; %bb.22:
	v_lshlrev_b32_e32 v18, 2, v1
	v_mov_b32_e32 v19, 0
	v_lshl_add_u64 v[18:19], s[10:11], 0, v[18:19]
	flat_load_dword v11, v[18:19]
.LBB3036_23:
	s_or_b64 exec, exec, s[4:5]
	v_or_b32_e32 v1, 0x1400, v0
	v_cmp_gt_u32_e32 vcc, s33, v1
	s_and_saveexec_b64 s[4:5], vcc
	s_cbranch_execz .LBB3036_25
; %bb.24:
	v_lshlrev_b32_e32 v18, 2, v1
	v_mov_b32_e32 v19, 0
	v_lshl_add_u64 v[18:19], s[10:11], 0, v[18:19]
	flat_load_dword v12, v[18:19]
.LBB3036_25:
	s_or_b64 exec, exec, s[4:5]
	v_or_b32_e32 v1, 0x1600, v0
	v_cmp_gt_u32_e32 vcc, s33, v1
	s_and_saveexec_b64 s[4:5], vcc
	s_cbranch_execz .LBB3036_27
; %bb.26:
	v_lshlrev_b32_e32 v18, 2, v1
	v_mov_b32_e32 v19, 0
	v_lshl_add_u64 v[18:19], s[10:11], 0, v[18:19]
	flat_load_dword v13, v[18:19]
.LBB3036_27:
	s_or_b64 exec, exec, s[4:5]
	v_or_b32_e32 v1, 0x1800, v0
	v_cmp_gt_u32_e32 vcc, s33, v1
	s_and_saveexec_b64 s[4:5], vcc
	s_cbranch_execz .LBB3036_29
; %bb.28:
	v_lshlrev_b32_e32 v18, 2, v1
	v_mov_b32_e32 v19, 0
	v_lshl_add_u64 v[18:19], s[10:11], 0, v[18:19]
	flat_load_dword v14, v[18:19]
.LBB3036_29:
	s_or_b64 exec, exec, s[4:5]
	v_or_b32_e32 v1, 0x1a00, v0
	v_cmp_gt_u32_e32 vcc, s33, v1
	s_and_saveexec_b64 s[4:5], vcc
	s_cbranch_execz .LBB3036_31
; %bb.30:
	v_lshlrev_b32_e32 v18, 2, v1
	v_mov_b32_e32 v19, 0
	v_lshl_add_u64 v[18:19], s[10:11], 0, v[18:19]
	flat_load_dword v15, v[18:19]
.LBB3036_31:
	s_or_b64 exec, exec, s[4:5]
	v_or_b32_e32 v1, 0x1c00, v0
	v_cmp_gt_u32_e32 vcc, s33, v1
	s_and_saveexec_b64 s[4:5], vcc
	s_cbranch_execz .LBB3036_33
; %bb.32:
	v_lshlrev_b32_e32 v16, 2, v1
	v_mov_b32_e32 v17, 0
	v_lshl_add_u64 v[16:17], s[10:11], 0, v[16:17]
	flat_load_dword v16, v[16:17]
.LBB3036_33:
	s_or_b64 exec, exec, s[4:5]
	s_waitcnt vmcnt(0) lgkmcnt(0)
	ds_write2st64_b32 v22, v2, v3 offset1:8
	ds_write2st64_b32 v22, v4, v5 offset0:16 offset1:24
	ds_write2st64_b32 v22, v6, v7 offset0:32 offset1:40
	;; [unrolled: 1-line block ×6, first 2 shown]
	ds_write_b32 v22, v16 offset:28672
	s_waitcnt lgkmcnt(0)
	s_barrier
.LBB3036_34:
	v_mul_u32_u24_e32 v21, 15, v0
	v_lshlrev_b32_e32 v1, 2, v21
	s_waitcnt lgkmcnt(0)
	ds_read2_b32 v[36:37], v1 offset1:1
	ds_read2_b32 v[34:35], v1 offset0:2 offset1:3
	ds_read2_b32 v[32:33], v1 offset0:4 offset1:5
	;; [unrolled: 1-line block ×6, first 2 shown]
	ds_read_b32 v1, v1 offset:56
	s_add_u32 s3, s6, s8
	s_addc_u32 s5, s7, s9
	s_add_u32 s4, s3, s30
	s_addc_u32 s5, s5, s31
	s_mov_b64 s[6:7], -1
	s_and_b64 vcc, exec, s[28:29]
	s_waitcnt lgkmcnt(0)
	s_barrier
	s_cbranch_vccz .LBB3036_36
; %bb.35:
	v_mov_b32_e32 v23, 0
	v_lshl_add_u64 v[2:3], s[4:5], 0, v[22:23]
	v_add_co_u32_e32 v4, vcc, 0x1000, v2
	global_load_dword v10, v22, s[4:5]
	global_load_dword v11, v22, s[4:5] offset:2048
	v_addc_co_u32_e32 v5, vcc, 0, v3, vcc
	v_add_co_u32_e32 v6, vcc, 0x2000, v2
	s_mov_b64 s[6:7], 0
	s_nop 0
	v_addc_co_u32_e32 v7, vcc, 0, v3, vcc
	v_add_co_u32_e32 v8, vcc, 0x3000, v2
	s_nop 1
	v_addc_co_u32_e32 v9, vcc, 0, v3, vcc
	global_load_dword v12, v[4:5], off
	global_load_dword v13, v[4:5], off offset:2048
	global_load_dword v14, v[6:7], off
	global_load_dword v15, v[6:7], off offset:2048
	;; [unrolled: 2-line block ×3, first 2 shown]
	v_add_co_u32_e32 v4, vcc, 0x4000, v2
	s_nop 1
	v_addc_co_u32_e32 v5, vcc, 0, v3, vcc
	global_load_dword v6, v[4:5], off
	global_load_dword v7, v[4:5], off offset:2048
	v_add_co_u32_e32 v4, vcc, 0x5000, v2
	s_waitcnt vmcnt(1)
	v_xor_b32_e32 v6, -1, v6
	v_addc_co_u32_e32 v5, vcc, 0, v3, vcc
	global_load_dword v8, v[4:5], off
	global_load_dword v9, v[4:5], off offset:2048
	v_add_co_u32_e32 v4, vcc, 0x6000, v2
	s_waitcnt vmcnt(2)
	v_xor_b32_e32 v7, -1, v7
	v_addc_co_u32_e32 v5, vcc, 0, v3, vcc
	v_add_co_u32_e32 v2, vcc, 0x7000, v2
	global_load_dword v18, v[4:5], off
	global_load_dword v19, v[4:5], off offset:2048
	v_addc_co_u32_e32 v3, vcc, 0, v3, vcc
	global_load_dword v2, v[2:3], off
	v_xor_b32_e32 v3, -1, v10
	v_xor_b32_e32 v4, -1, v11
	v_and_b32_e32 v3, 1, v3
	v_and_b32_e32 v4, 1, v4
	ds_write_b8 v0, v3
	ds_write_b8 v0, v4 offset:512
	v_xor_b32_e32 v3, -1, v12
	v_xor_b32_e32 v4, -1, v13
	;; [unrolled: 1-line block ×3, first 2 shown]
	v_and_b32_e32 v3, 1, v3
	v_and_b32_e32 v4, 1, v4
	v_xor_b32_e32 v10, -1, v15
	v_and_b32_e32 v5, 1, v5
	v_xor_b32_e32 v11, -1, v16
	v_xor_b32_e32 v12, -1, v17
	v_and_b32_e32 v10, 1, v10
	ds_write_b8 v0, v3 offset:1024
	ds_write_b8 v0, v4 offset:1536
	v_and_b32_e32 v3, 1, v11
	v_and_b32_e32 v4, 1, v12
	ds_write_b8 v0, v5 offset:2048
	ds_write_b8 v0, v10 offset:2560
	v_and_b32_e32 v5, 1, v6
	v_and_b32_e32 v6, 1, v7
	ds_write_b8 v0, v3 offset:3072
	ds_write_b8 v0, v4 offset:3584
	;; [unrolled: 1-line block ×4, first 2 shown]
	s_waitcnt vmcnt(4)
	v_xor_b32_e32 v7, -1, v8
	s_waitcnt vmcnt(3)
	v_xor_b32_e32 v8, -1, v9
	v_and_b32_e32 v3, 1, v7
	v_and_b32_e32 v4, 1, v8
	s_waitcnt vmcnt(2)
	v_xor_b32_e32 v7, -1, v18
	s_waitcnt vmcnt(1)
	v_xor_b32_e32 v8, -1, v19
	v_and_b32_e32 v5, 1, v7
	v_and_b32_e32 v6, 1, v8
	s_waitcnt vmcnt(0)
	v_xor_b32_e32 v2, -1, v2
	v_and_b32_e32 v2, 1, v2
	ds_write_b8 v0, v3 offset:5120
	ds_write_b8 v0, v4 offset:5632
	;; [unrolled: 1-line block ×5, first 2 shown]
	s_waitcnt lgkmcnt(0)
	s_barrier
.LBB3036_36:
	s_load_dwordx2 s[34:35], s[0:1], 0x78
	s_andn2_b64 vcc, exec, s[6:7]
	s_cbranch_vccnz .LBB3036_68
; %bb.37:
	v_cmp_gt_u32_e32 vcc, s33, v0
	v_mov_b32_e32 v2, 0
	v_mov_b32_e32 v3, 0
	s_and_saveexec_b64 s[6:7], vcc
	s_cbranch_execz .LBB3036_39
; %bb.38:
	global_load_dword v3, v22, s[4:5]
	s_waitcnt vmcnt(0)
	v_xor_b32_e32 v3, -1, v3
	v_and_b32_e32 v3, 1, v3
.LBB3036_39:
	s_or_b64 exec, exec, s[6:7]
	v_or_b32_e32 v4, 0x200, v0
	v_cmp_gt_u32_e32 vcc, s33, v4
	s_and_saveexec_b64 s[6:7], vcc
	s_cbranch_execz .LBB3036_41
; %bb.40:
	global_load_dword v2, v22, s[4:5] offset:2048
	s_waitcnt vmcnt(0)
	v_xor_b32_e32 v2, -1, v2
	v_and_b32_e32 v2, 1, v2
.LBB3036_41:
	s_or_b64 exec, exec, s[6:7]
	v_or_b32_e32 v6, 0x400, v0
	v_cmp_gt_u32_e32 vcc, s33, v6
	v_mov_b32_e32 v4, 0
	v_mov_b32_e32 v5, 0
	s_and_saveexec_b64 s[6:7], vcc
	s_cbranch_execz .LBB3036_43
; %bb.42:
	v_lshlrev_b32_e32 v5, 2, v6
	global_load_dword v5, v5, s[4:5]
	s_waitcnt vmcnt(0)
	v_xor_b32_e32 v5, -1, v5
	v_and_b32_e32 v5, 1, v5
.LBB3036_43:
	s_or_b64 exec, exec, s[6:7]
	v_or_b32_e32 v6, 0x600, v0
	v_cmp_gt_u32_e32 vcc, s33, v6
	s_and_saveexec_b64 s[6:7], vcc
	s_cbranch_execz .LBB3036_45
; %bb.44:
	v_lshlrev_b32_e32 v4, 2, v6
	global_load_dword v4, v4, s[4:5]
	s_waitcnt vmcnt(0)
	v_xor_b32_e32 v4, -1, v4
	v_and_b32_e32 v4, 1, v4
.LBB3036_45:
	s_or_b64 exec, exec, s[6:7]
	v_or_b32_e32 v8, 0x800, v0
	v_cmp_gt_u32_e32 vcc, s33, v8
	v_mov_b32_e32 v6, 0
	v_mov_b32_e32 v7, 0
	s_and_saveexec_b64 s[6:7], vcc
	s_cbranch_execz .LBB3036_47
; %bb.46:
	v_lshlrev_b32_e32 v7, 2, v8
	global_load_dword v7, v7, s[4:5]
	s_waitcnt vmcnt(0)
	v_xor_b32_e32 v7, -1, v7
	v_and_b32_e32 v7, 1, v7
.LBB3036_47:
	s_or_b64 exec, exec, s[6:7]
	v_or_b32_e32 v8, 0xa00, v0
	v_cmp_gt_u32_e32 vcc, s33, v8
	s_and_saveexec_b64 s[6:7], vcc
	s_cbranch_execz .LBB3036_49
; %bb.48:
	v_lshlrev_b32_e32 v6, 2, v8
	global_load_dword v6, v6, s[4:5]
	s_waitcnt vmcnt(0)
	v_xor_b32_e32 v6, -1, v6
	v_and_b32_e32 v6, 1, v6
.LBB3036_49:
	;; [unrolled: 26-line block ×6, first 2 shown]
	s_or_b64 exec, exec, s[6:7]
	v_or_b32_e32 v17, 0x1c00, v0
	v_cmp_gt_u32_e32 vcc, s33, v17
	v_mov_b32_e32 v16, 0
	s_and_saveexec_b64 s[6:7], vcc
	s_cbranch_execz .LBB3036_67
; %bb.66:
	v_lshlrev_b32_e32 v16, 2, v17
	global_load_dword v16, v16, s[4:5]
	s_waitcnt vmcnt(0)
	v_xor_b32_e32 v16, -1, v16
	v_and_b32_e32 v16, 1, v16
.LBB3036_67:
	s_or_b64 exec, exec, s[6:7]
	ds_write_b8 v0, v3
	ds_write_b8 v0, v2 offset:512
	ds_write_b8 v0, v5 offset:1024
	;; [unrolled: 1-line block ×14, first 2 shown]
	s_waitcnt lgkmcnt(0)
	s_barrier
.LBB3036_68:
	s_waitcnt lgkmcnt(0)
	ds_read_b96 v[18:20], v21
	ds_read_u8 v2, v21 offset:12
	ds_read_u8 v3, v21 offset:13
	;; [unrolled: 1-line block ×3, first 2 shown]
	s_cmp_lg_u32 s2, 0
	v_lshrrev_b32_e32 v56, 6, v0
	s_waitcnt lgkmcnt(2)
	v_and_b32_e32 v43, 1, v2
	v_and_b32_e32 v52, 0xff, v18
	v_bfe_u32 v53, v18, 8, 8
	v_bfe_u32 v54, v18, 16, 8
	v_lshrrev_b32_e32 v45, 24, v18
	v_and_b32_e32 v49, 0xff, v19
	v_add3_u32 v2, v53, v52, v54
	v_bfe_u32 v50, v19, 8, 8
	v_bfe_u32 v51, v19, 16, 8
	v_add3_u32 v2, v2, v45, v49
	v_lshrrev_b32_e32 v44, 24, v19
	v_and_b32_e32 v46, 0xff, v20
	v_add3_u32 v2, v2, v50, v51
	v_bfe_u32 v47, v20, 8, 8
	v_bfe_u32 v48, v20, 16, 8
	v_add3_u32 v2, v2, v44, v46
	v_lshrrev_b32_e32 v42, 24, v20
	v_add3_u32 v2, v2, v47, v48
	s_waitcnt lgkmcnt(1)
	v_and_b32_e32 v41, 1, v3
	s_waitcnt lgkmcnt(0)
	v_and_b32_e32 v23, 1, v4
	v_add3_u32 v2, v2, v42, v43
	v_add3_u32 v57, v2, v41, v23
	v_mbcnt_lo_u32_b32 v2, -1, 0
	v_mbcnt_hi_u32_b32 v55, -1, v2
	v_and_b32_e32 v2, 15, v55
	v_cmp_eq_u32_e64 s[14:15], 0, v2
	v_cmp_lt_u32_e64 s[12:13], 1, v2
	v_cmp_lt_u32_e64 s[10:11], 3, v2
	;; [unrolled: 1-line block ×3, first 2 shown]
	v_and_b32_e32 v2, 16, v55
	v_cmp_eq_u32_e64 s[6:7], 0, v2
	v_or_b32_e32 v2, 63, v0
	v_cmp_lt_u32_e64 s[18:19], 31, v55
	v_cmp_eq_u32_e64 s[4:5], v2, v0
	s_barrier
	s_cbranch_scc0 .LBB3036_95
; %bb.69:
	v_mov_b32_dpp v2, v57 row_shr:1 row_mask:0xf bank_mask:0xf
	v_cndmask_b32_e64 v2, v2, 0, s[14:15]
	v_add_u32_e32 v2, v2, v57
	s_nop 1
	v_mov_b32_dpp v3, v2 row_shr:2 row_mask:0xf bank_mask:0xf
	v_cndmask_b32_e64 v3, 0, v3, s[12:13]
	v_add_u32_e32 v2, v2, v3
	s_nop 1
	;; [unrolled: 4-line block ×4, first 2 shown]
	v_mov_b32_dpp v3, v2 row_bcast:15 row_mask:0xf bank_mask:0xf
	v_cndmask_b32_e64 v3, v3, 0, s[6:7]
	v_add_u32_e32 v2, v2, v3
	s_nop 1
	v_mov_b32_dpp v3, v2 row_bcast:31 row_mask:0xf bank_mask:0xf
	v_cndmask_b32_e64 v3, 0, v3, s[18:19]
	v_add_u32_e32 v2, v2, v3
	s_and_saveexec_b64 s[16:17], s[4:5]
	s_cbranch_execz .LBB3036_71
; %bb.70:
	v_lshlrev_b32_e32 v3, 2, v56
	ds_write_b32 v3, v2
.LBB3036_71:
	s_or_b64 exec, exec, s[16:17]
	v_cmp_gt_u32_e32 vcc, 8, v0
	s_waitcnt lgkmcnt(0)
	s_barrier
	s_and_saveexec_b64 s[16:17], vcc
	s_cbranch_execz .LBB3036_73
; %bb.72:
	ds_read_b32 v3, v22
	v_and_b32_e32 v4, 7, v55
	v_cmp_ne_u32_e32 vcc, 0, v4
	s_waitcnt lgkmcnt(0)
	v_mov_b32_dpp v5, v3 row_shr:1 row_mask:0xf bank_mask:0xf
	v_cndmask_b32_e32 v5, 0, v5, vcc
	v_add_u32_e32 v3, v5, v3
	v_cmp_lt_u32_e32 vcc, 1, v4
	s_nop 0
	v_mov_b32_dpp v5, v3 row_shr:2 row_mask:0xf bank_mask:0xf
	v_cndmask_b32_e32 v5, 0, v5, vcc
	v_add_u32_e32 v3, v3, v5
	v_cmp_lt_u32_e32 vcc, 3, v4
	s_nop 0
	v_mov_b32_dpp v5, v3 row_shr:4 row_mask:0xf bank_mask:0xf
	v_cndmask_b32_e32 v4, 0, v5, vcc
	v_add_u32_e32 v3, v3, v4
	ds_write_b32 v22, v3
.LBB3036_73:
	s_or_b64 exec, exec, s[16:17]
	v_cmp_gt_u32_e32 vcc, 64, v0
	v_cmp_lt_u32_e64 s[16:17], 63, v0
	s_waitcnt lgkmcnt(0)
	s_barrier
	s_waitcnt lgkmcnt(0)
                                        ; implicit-def: $vgpr12
	s_and_saveexec_b64 s[36:37], s[16:17]
	s_cbranch_execz .LBB3036_75
; %bb.74:
	v_lshl_add_u32 v3, v56, 2, -4
	ds_read_b32 v12, v3
	s_waitcnt lgkmcnt(0)
	v_add_u32_e32 v2, v12, v2
.LBB3036_75:
	s_or_b64 exec, exec, s[36:37]
	v_add_u32_e32 v3, -1, v55
	v_and_b32_e32 v4, 64, v55
	v_cmp_lt_i32_e64 s[16:17], v3, v4
	s_nop 1
	v_cndmask_b32_e64 v3, v3, v55, s[16:17]
	v_lshlrev_b32_e32 v3, 2, v3
	ds_bpermute_b32 v13, v3, v2
	v_cmp_eq_u32_e64 s[16:17], 0, v55
	s_and_saveexec_b64 s[36:37], vcc
	s_cbranch_execz .LBB3036_94
; %bb.76:
	v_mov_b32_e32 v9, 0
	ds_read_b32 v2, v9 offset:28
	s_and_saveexec_b64 s[38:39], s[16:17]
	s_cbranch_execz .LBB3036_78
; %bb.77:
	s_add_i32 s40, s2, 64
	s_mov_b32 s41, 0
	s_lshl_b64 s[40:41], s[40:41], 3
	s_add_u32 s40, s34, s40
	v_mov_b32_e32 v3, 1
	s_addc_u32 s41, s35, s41
	s_waitcnt lgkmcnt(0)
	global_store_dwordx2 v9, v[2:3], s[40:41] sc1
.LBB3036_78:
	s_or_b64 exec, exec, s[38:39]
	v_xad_u32 v4, v55, -1, s2
	v_add_u32_e32 v8, 64, v4
	v_lshl_add_u64 v[10:11], v[8:9], 3, s[34:35]
	global_load_dwordx2 v[6:7], v[10:11], off sc1
	s_waitcnt vmcnt(0)
	v_cmp_eq_u16_sdwa s[40:41], v7, v9 src0_sel:BYTE_0 src1_sel:DWORD
	s_and_saveexec_b64 s[38:39], s[40:41]
	s_cbranch_execz .LBB3036_82
; %bb.79:
	s_mov_b64 s[40:41], 0
	v_mov_b32_e32 v3, 0
.LBB3036_80:                            ; =>This Inner Loop Header: Depth=1
	global_load_dwordx2 v[6:7], v[10:11], off sc1
	s_waitcnt vmcnt(0)
	v_cmp_ne_u16_sdwa s[42:43], v7, v3 src0_sel:BYTE_0 src1_sel:DWORD
	s_or_b64 s[40:41], s[42:43], s[40:41]
	s_andn2_b64 exec, exec, s[40:41]
	s_cbranch_execnz .LBB3036_80
; %bb.81:
	s_or_b64 exec, exec, s[40:41]
.LBB3036_82:
	s_or_b64 exec, exec, s[38:39]
	v_and_b32_e32 v15, 63, v55
	v_mov_b32_e32 v14, 2
	v_cmp_ne_u32_e32 vcc, 63, v15
	v_cmp_eq_u16_sdwa s[38:39], v7, v14 src0_sel:BYTE_0 src1_sel:DWORD
	v_lshlrev_b64 v[8:9], v55, -1
	v_addc_co_u32_e32 v10, vcc, 0, v55, vcc
	v_and_b32_e32 v3, s39, v9
	v_lshlrev_b32_e32 v16, 2, v10
	v_or_b32_e32 v3, 0x80000000, v3
	ds_bpermute_b32 v10, v16, v6
	v_and_b32_e32 v5, s38, v8
	v_ffbl_b32_e32 v3, v3
	v_add_u32_e32 v3, 32, v3
	v_ffbl_b32_e32 v5, v5
	v_min_u32_e32 v3, v5, v3
	v_cmp_lt_u32_e32 vcc, v15, v3
	v_add_u32_e32 v38, 2, v15
	v_add_u32_e32 v40, 4, v15
	s_waitcnt lgkmcnt(0)
	v_cndmask_b32_e32 v5, 0, v10, vcc
	v_cmp_gt_u32_e32 vcc, 62, v15
	v_add_u32_e32 v5, v5, v6
	v_add_u32_e32 v59, 8, v15
	v_cndmask_b32_e64 v6, 0, 1, vcc
	v_lshlrev_b32_e32 v6, 1, v6
	v_add_lshl_u32 v17, v6, v55, 2
	ds_bpermute_b32 v6, v17, v5
	v_cmp_le_u32_e32 vcc, v38, v3
	v_add_u32_e32 v61, 16, v15
	v_add_u32_e32 v63, 32, v15
	s_waitcnt lgkmcnt(0)
	v_cndmask_b32_e32 v6, 0, v6, vcc
	v_cmp_gt_u32_e32 vcc, 60, v15
	v_add_u32_e32 v5, v5, v6
	s_nop 0
	v_cndmask_b32_e64 v6, 0, 1, vcc
	v_lshlrev_b32_e32 v6, 2, v6
	v_add_lshl_u32 v39, v6, v55, 2
	ds_bpermute_b32 v6, v39, v5
	v_cmp_le_u32_e32 vcc, v40, v3
	s_waitcnt lgkmcnt(0)
	s_nop 0
	v_cndmask_b32_e32 v6, 0, v6, vcc
	v_cmp_gt_u32_e32 vcc, 56, v15
	v_add_u32_e32 v5, v5, v6
	s_nop 0
	v_cndmask_b32_e64 v6, 0, 1, vcc
	v_lshlrev_b32_e32 v6, 3, v6
	v_add_lshl_u32 v58, v6, v55, 2
	ds_bpermute_b32 v6, v58, v5
	v_cmp_le_u32_e32 vcc, v59, v3
	s_waitcnt lgkmcnt(0)
	s_nop 0
	;; [unrolled: 11-line block ×4, first 2 shown]
	v_cndmask_b32_e32 v3, 0, v6, vcc
	v_add_u32_e32 v6, v5, v3
	v_mov_b32_e32 v5, 0
	s_branch .LBB3036_84
.LBB3036_83:                            ;   in Loop: Header=BB3036_84 Depth=1
	s_or_b64 exec, exec, s[38:39]
	v_cmp_eq_u16_sdwa s[38:39], v7, v14 src0_sel:BYTE_0 src1_sel:DWORD
	ds_bpermute_b32 v64, v16, v6
	v_subrev_u32_e32 v4, 64, v4
	v_and_b32_e32 v10, s39, v9
	v_or_b32_e32 v10, 0x80000000, v10
	v_and_b32_e32 v11, s38, v8
	v_ffbl_b32_e32 v10, v10
	v_add_u32_e32 v10, 32, v10
	v_ffbl_b32_e32 v11, v11
	v_min_u32_e32 v10, v11, v10
	v_cmp_lt_u32_e32 vcc, v15, v10
	s_waitcnt lgkmcnt(0)
	s_nop 0
	v_cndmask_b32_e32 v11, 0, v64, vcc
	v_add_u32_e32 v6, v11, v6
	ds_bpermute_b32 v11, v17, v6
	v_cmp_le_u32_e32 vcc, v38, v10
	s_waitcnt lgkmcnt(0)
	s_nop 0
	v_cndmask_b32_e32 v11, 0, v11, vcc
	v_add_u32_e32 v6, v6, v11
	ds_bpermute_b32 v11, v39, v6
	v_cmp_le_u32_e32 vcc, v40, v10
	;; [unrolled: 6-line block ×5, first 2 shown]
	s_waitcnt lgkmcnt(0)
	s_nop 0
	v_cndmask_b32_e32 v10, 0, v11, vcc
	v_add3_u32 v6, v10, v3, v6
.LBB3036_84:                            ; =>This Loop Header: Depth=1
                                        ;     Child Loop BB3036_87 Depth 2
	v_cmp_ne_u16_sdwa s[38:39], v7, v14 src0_sel:BYTE_0 src1_sel:DWORD
	s_nop 1
	v_cndmask_b32_e64 v3, 0, 1, s[38:39]
	;;#ASMSTART
	;;#ASMEND
	s_nop 0
	v_cmp_ne_u32_e32 vcc, 0, v3
	s_cmp_lg_u64 vcc, exec
	v_mov_b32_e32 v3, v6
	s_cbranch_scc1 .LBB3036_89
; %bb.85:                               ;   in Loop: Header=BB3036_84 Depth=1
	v_lshl_add_u64 v[10:11], v[4:5], 3, s[34:35]
	global_load_dwordx2 v[6:7], v[10:11], off sc1
	s_waitcnt vmcnt(0)
	v_cmp_eq_u16_sdwa s[40:41], v7, v5 src0_sel:BYTE_0 src1_sel:DWORD
	s_and_saveexec_b64 s[38:39], s[40:41]
	s_cbranch_execz .LBB3036_83
; %bb.86:                               ;   in Loop: Header=BB3036_84 Depth=1
	s_mov_b64 s[40:41], 0
.LBB3036_87:                            ;   Parent Loop BB3036_84 Depth=1
                                        ; =>  This Inner Loop Header: Depth=2
	global_load_dwordx2 v[6:7], v[10:11], off sc1
	s_waitcnt vmcnt(0)
	v_cmp_ne_u16_sdwa s[42:43], v7, v5 src0_sel:BYTE_0 src1_sel:DWORD
	s_or_b64 s[40:41], s[42:43], s[40:41]
	s_andn2_b64 exec, exec, s[40:41]
	s_cbranch_execnz .LBB3036_87
; %bb.88:                               ;   in Loop: Header=BB3036_84 Depth=1
	s_or_b64 exec, exec, s[40:41]
	s_branch .LBB3036_83
.LBB3036_89:                            ;   in Loop: Header=BB3036_84 Depth=1
                                        ; implicit-def: $vgpr6
                                        ; implicit-def: $vgpr7
	s_cbranch_execz .LBB3036_84
; %bb.90:
	s_and_saveexec_b64 s[38:39], s[16:17]
	s_cbranch_execz .LBB3036_92
; %bb.91:
	s_add_i32 s2, s2, 64
	s_mov_b32 s3, 0
	s_lshl_b64 s[2:3], s[2:3], 3
	s_add_u32 s2, s34, s2
	v_add_u32_e32 v4, v3, v2
	v_mov_b32_e32 v5, 2
	s_addc_u32 s3, s35, s3
	v_mov_b32_e32 v6, 0
	global_store_dwordx2 v6, v[4:5], s[2:3] sc1
	ds_write_b64 v6, v[2:3] offset:30720
.LBB3036_92:
	s_or_b64 exec, exec, s[38:39]
	v_cmp_eq_u32_e32 vcc, 0, v0
	s_and_b64 exec, exec, vcc
	s_cbranch_execz .LBB3036_94
; %bb.93:
	v_mov_b32_e32 v2, 0
	ds_write_b32 v2, v3 offset:28
.LBB3036_94:
	s_or_b64 exec, exec, s[36:37]
	v_mov_b32_e32 v14, 0
	s_waitcnt lgkmcnt(0)
	s_barrier
	ds_read_b32 v2, v14 offset:28
	v_cndmask_b32_e64 v3, v13, v12, s[16:17]
	v_cmp_ne_u32_e32 vcc, 0, v0
	s_waitcnt lgkmcnt(0)
	s_barrier
	v_cndmask_b32_e32 v3, 0, v3, vcc
	v_add_u32_e32 v2, v2, v3
	v_add_u32_e32 v3, v2, v52
	;; [unrolled: 1-line block ×10, first 2 shown]
	ds_read_b64 v[38:39], v14 offset:30720
	v_add_u32_e32 v12, v11, v47
	v_add_u32_e32 v13, v12, v48
	;; [unrolled: 1-line block ×5, first 2 shown]
	s_waitcnt lgkmcnt(0)
	v_mov_b32_e32 v40, v39
	s_branch .LBB3036_105
.LBB3036_95:
                                        ; implicit-def: $vgpr40
                                        ; implicit-def: $vgpr38
                                        ; implicit-def: $vgpr2_vgpr3_vgpr4_vgpr5_vgpr6_vgpr7_vgpr8_vgpr9_vgpr10_vgpr11_vgpr12_vgpr13_vgpr14_vgpr15_vgpr16_vgpr17
	s_cbranch_execz .LBB3036_105
; %bb.96:
	s_nop 0
	v_mov_b32_dpp v2, v57 row_shr:1 row_mask:0xf bank_mask:0xf
	v_cndmask_b32_e64 v2, v2, 0, s[14:15]
	v_add_u32_e32 v2, v2, v57
	s_nop 1
	v_mov_b32_dpp v3, v2 row_shr:2 row_mask:0xf bank_mask:0xf
	v_cndmask_b32_e64 v3, 0, v3, s[12:13]
	v_add_u32_e32 v2, v2, v3
	;; [unrolled: 4-line block ×4, first 2 shown]
	s_nop 1
	v_mov_b32_dpp v3, v2 row_bcast:15 row_mask:0xf bank_mask:0xf
	v_cndmask_b32_e64 v3, v3, 0, s[6:7]
	v_add_u32_e32 v2, v2, v3
	s_nop 1
	v_mov_b32_dpp v3, v2 row_bcast:31 row_mask:0xf bank_mask:0xf
	v_cndmask_b32_e64 v3, 0, v3, s[18:19]
	v_add_u32_e32 v2, v2, v3
	s_and_saveexec_b64 s[2:3], s[4:5]
	s_cbranch_execz .LBB3036_98
; %bb.97:
	v_lshlrev_b32_e32 v3, 2, v56
	ds_write_b32 v3, v2
.LBB3036_98:
	s_or_b64 exec, exec, s[2:3]
	v_cmp_gt_u32_e32 vcc, 8, v0
	s_waitcnt lgkmcnt(0)
	s_barrier
	s_and_saveexec_b64 s[2:3], vcc
	s_cbranch_execz .LBB3036_100
; %bb.99:
	v_mad_i32_i24 v3, v0, -11, v21
	ds_read_b32 v4, v3
	v_and_b32_e32 v5, 7, v55
	v_cmp_ne_u32_e32 vcc, 0, v5
	s_waitcnt lgkmcnt(0)
	v_mov_b32_dpp v6, v4 row_shr:1 row_mask:0xf bank_mask:0xf
	v_cndmask_b32_e32 v6, 0, v6, vcc
	v_add_u32_e32 v4, v6, v4
	v_cmp_lt_u32_e32 vcc, 1, v5
	s_nop 0
	v_mov_b32_dpp v6, v4 row_shr:2 row_mask:0xf bank_mask:0xf
	v_cndmask_b32_e32 v6, 0, v6, vcc
	v_add_u32_e32 v4, v4, v6
	v_cmp_lt_u32_e32 vcc, 3, v5
	s_nop 0
	v_mov_b32_dpp v6, v4 row_shr:4 row_mask:0xf bank_mask:0xf
	v_cndmask_b32_e32 v5, 0, v6, vcc
	v_add_u32_e32 v4, v4, v5
	ds_write_b32 v3, v4
.LBB3036_100:
	s_or_b64 exec, exec, s[2:3]
	v_cmp_lt_u32_e32 vcc, 63, v0
	v_mov_b32_e32 v4, 0
	v_mov_b32_e32 v3, 0
	s_waitcnt lgkmcnt(0)
	s_barrier
	s_and_saveexec_b64 s[2:3], vcc
	s_cbranch_execz .LBB3036_102
; %bb.101:
	v_lshl_add_u32 v3, v56, 2, -4
	ds_read_b32 v3, v3
.LBB3036_102:
	s_or_b64 exec, exec, s[2:3]
	v_add_u32_e32 v5, -1, v55
	v_and_b32_e32 v6, 64, v55
	v_cmp_lt_i32_e32 vcc, v5, v6
	s_waitcnt lgkmcnt(0)
	v_add_u32_e32 v2, v3, v2
	ds_read_b32 v38, v4 offset:28
	v_cndmask_b32_e32 v5, v5, v55, vcc
	v_lshlrev_b32_e32 v5, 2, v5
	ds_bpermute_b32 v2, v5, v2
	v_cmp_eq_u32_e32 vcc, 0, v0
	s_and_saveexec_b64 s[2:3], vcc
	s_cbranch_execz .LBB3036_104
; %bb.103:
	v_mov_b32_e32 v4, 0
	v_mov_b32_e32 v39, 2
	s_waitcnt lgkmcnt(1)
	global_store_dwordx2 v4, v[38:39], s[34:35] offset:512 sc1
.LBB3036_104:
	s_or_b64 exec, exec, s[2:3]
	v_cmp_eq_u32_e64 s[2:3], 0, v55
	v_mov_b32_e32 v40, 0
	s_waitcnt lgkmcnt(0)
	v_cndmask_b32_e64 v2, v2, v3, s[2:3]
	v_cndmask_b32_e64 v2, v2, 0, vcc
	v_add_u32_e32 v3, v2, v52
	v_add_u32_e32 v4, v3, v53
	;; [unrolled: 1-line block ×14, first 2 shown]
	s_barrier
.LBB3036_105:
	v_add_u32_e32 v21, v38, v21
	v_sub_u32_e32 v2, v2, v40
	v_and_b32_e32 v48, 1, v18
	v_sub_u32_e32 v47, v21, v2
	v_cmp_eq_u32_e32 vcc, 1, v48
	v_lshrrev_b32_e32 v46, 8, v18
	v_lshrrev_b32_e32 v39, 8, v19
	v_cndmask_b32_e32 v2, v47, v2, vcc
	v_lshlrev_b32_e32 v2, 2, v2
	ds_write_b32 v2, v36
	v_sub_u32_e32 v2, v3, v40
	v_sub_u32_e32 v3, v21, v2
	v_and_b32_e32 v36, 1, v46
	v_add_u32_e32 v3, 1, v3
	v_cmp_eq_u32_e32 vcc, 1, v36
	v_lshrrev_b32_e32 v17, 8, v20
	s_load_dwordx2 s[0:1], s[0:1], 0x40
	v_cndmask_b32_e32 v2, v3, v2, vcc
	v_lshlrev_b32_e32 v2, 2, v2
	ds_write_b32 v2, v37
	v_sub_u32_e32 v2, v4, v40
	v_mov_b32_e32 v4, 1
	v_sub_u32_e32 v3, v21, v2
	v_and_b32_sdwa v18, v4, v18 dst_sel:DWORD dst_unused:UNUSED_PAD src0_sel:DWORD src1_sel:WORD_1
	v_add_u32_e32 v3, 2, v3
	v_cmp_eq_u32_e32 vcc, 1, v18
	s_nop 1
	v_cndmask_b32_e32 v2, v3, v2, vcc
	v_lshlrev_b32_e32 v2, 2, v2
	ds_write_b32 v2, v34
	v_sub_u32_e32 v2, v5, v40
	v_sub_u32_e32 v3, v21, v2
	v_and_b32_e32 v5, 1, v45
	v_add_u32_e32 v3, 3, v3
	v_cmp_eq_u32_e32 vcc, 1, v5
	v_and_b32_e32 v5, 1, v19
	v_or_b32_e32 v34, 0x200, v0
	v_cndmask_b32_e32 v2, v3, v2, vcc
	v_lshlrev_b32_e32 v2, 2, v2
	ds_write_b32 v2, v35
	v_sub_u32_e32 v2, v6, v40
	v_sub_u32_e32 v3, v21, v2
	v_add_u32_e32 v3, 4, v3
	v_cmp_eq_u32_e32 vcc, 1, v5
	v_and_b32_e32 v5, 1, v39
	s_nop 0
	v_cndmask_b32_e32 v2, v3, v2, vcc
	v_lshlrev_b32_e32 v2, 2, v2
	ds_write_b32 v2, v32
	v_sub_u32_e32 v2, v7, v40
	v_sub_u32_e32 v3, v21, v2
	v_add_u32_e32 v3, 5, v3
	v_cmp_eq_u32_e32 vcc, 1, v5
	v_and_b32_sdwa v5, v4, v19 dst_sel:DWORD dst_unused:UNUSED_PAD src0_sel:DWORD src1_sel:WORD_1
	v_and_b32_sdwa v4, v4, v20 dst_sel:DWORD dst_unused:UNUSED_PAD src0_sel:DWORD src1_sel:WORD_1
	v_cndmask_b32_e32 v2, v3, v2, vcc
	v_lshlrev_b32_e32 v2, 2, v2
	ds_write_b32 v2, v33
	v_sub_u32_e32 v2, v8, v40
	v_sub_u32_e32 v3, v21, v2
	v_add_u32_e32 v3, 6, v3
	v_cmp_eq_u32_e32 vcc, 1, v5
	v_and_b32_e32 v5, 1, v44
	v_or_b32_e32 v33, 0x400, v0
	v_cndmask_b32_e32 v2, v3, v2, vcc
	v_lshlrev_b32_e32 v2, 2, v2
	ds_write_b32 v2, v30
	v_sub_u32_e32 v2, v9, v40
	v_sub_u32_e32 v3, v21, v2
	v_add_u32_e32 v3, 7, v3
	v_cmp_eq_u32_e32 vcc, 1, v5
	v_and_b32_e32 v5, 1, v20
	v_or_b32_e32 v32, 0x600, v0
	;; [unrolled: 9-line block ×3, first 2 shown]
	v_cndmask_b32_e32 v2, v3, v2, vcc
	v_lshlrev_b32_e32 v2, 2, v2
	ds_write_b32 v2, v28
	v_sub_u32_e32 v2, v11, v40
	v_sub_u32_e32 v3, v21, v2
	v_add_u32_e32 v3, 9, v3
	v_cmp_eq_u32_e32 vcc, 1, v5
	v_mov_b32_e32 v5, s27
	v_or_b32_e32 v30, 0xa00, v0
	v_cndmask_b32_e32 v2, v3, v2, vcc
	v_lshlrev_b32_e32 v2, 2, v2
	ds_write_b32 v2, v29
	v_sub_u32_e32 v2, v12, v40
	v_sub_u32_e32 v3, v21, v2
	v_add_u32_e32 v3, 10, v3
	v_cmp_eq_u32_e32 vcc, 1, v4
	v_and_b32_e32 v4, 1, v42
	v_or_b32_e32 v29, 0xc00, v0
	v_cndmask_b32_e32 v2, v3, v2, vcc
	v_lshlrev_b32_e32 v2, 2, v2
	ds_write_b32 v2, v26
	v_sub_u32_e32 v2, v13, v40
	v_sub_u32_e32 v3, v21, v2
	v_add_u32_e32 v3, 11, v3
	v_cmp_eq_u32_e32 vcc, 1, v4
	v_or_b32_e32 v28, 0xe00, v0
	v_or_b32_e32 v26, 0x1200, v0
	v_cndmask_b32_e32 v2, v3, v2, vcc
	v_lshlrev_b32_e32 v2, 2, v2
	ds_write_b32 v2, v27
	v_sub_u32_e32 v2, v14, v40
	v_sub_u32_e32 v3, v21, v2
	v_add_u32_e32 v3, 12, v3
	v_cmp_eq_u32_e32 vcc, 1, v43
	v_or_b32_e32 v27, 0x1000, v0
	v_or_b32_e32 v20, 0x1c00, v0
	v_cndmask_b32_e32 v2, v3, v2, vcc
	v_lshlrev_b32_e32 v2, 2, v2
	ds_write_b32 v2, v24
	v_sub_u32_e32 v2, v15, v40
	v_sub_u32_e32 v3, v21, v2
	v_add_u32_e32 v3, 13, v3
	v_cmp_eq_u32_e32 vcc, 1, v41
	v_mov_b32_e32 v41, 0
	v_mov_b32_e32 v39, v41
	v_cndmask_b32_e32 v2, v3, v2, vcc
	v_lshlrev_b32_e32 v2, 2, v2
	ds_write_b32 v2, v25
	v_sub_u32_e32 v2, v16, v40
	v_sub_u32_e32 v3, v21, v2
	v_add_u32_e32 v3, 14, v3
	v_cmp_eq_u32_e32 vcc, 1, v23
	v_or_b32_e32 v25, 0x1400, v0
	v_or_b32_e32 v24, 0x1600, v0
	v_cndmask_b32_e32 v2, v3, v2, vcc
	v_lshlrev_b32_e32 v2, 2, v2
	ds_write_b32 v2, v1
	v_lshl_add_u64 v[2:3], s[24:25], 0, v[38:39]
	v_lshl_add_u64 v[2:3], v[2:3], 0, v[40:41]
	s_waitcnt lgkmcnt(0)
	s_barrier
	ds_read2st64_b32 v[18:19], v22 offset1:8
	ds_read2st64_b32 v[16:17], v22 offset0:16 offset1:24
	ds_read2st64_b32 v[14:15], v22 offset0:32 offset1:40
	;; [unrolled: 1-line block ×6, first 2 shown]
	ds_read_b32 v1, v22 offset:28672
	v_sub_co_u32_e32 v4, vcc, s26, v2
	v_or_b32_e32 v23, 0x1800, v0
	s_nop 0
	v_subb_co_u32_e32 v5, vcc, v5, v3, vcc
	v_lshlrev_b64 v[4:5], 2, v[4:5]
	v_lshl_add_u64 v[4:5], s[0:1], 0, v[4:5]
	v_or_b32_e32 v21, 0x1a00, v0
	v_lshl_add_u64 v[4:5], v[4:5], 0, s[30:31]
	s_andn2_b64 vcc, exec, s[28:29]
	v_cmp_le_u32_e64 s[0:1], v38, v0
	s_cbranch_vccnz .LBB3036_122
; %bb.106:
	s_and_saveexec_b64 s[2:3], s[0:1]
	s_cbranch_execnz .LBB3036_157
; %bb.107:
	s_or_b64 exec, exec, s[2:3]
	v_cmp_ge_u32_e32 vcc, v34, v38
	s_and_saveexec_b64 s[0:1], vcc
	s_cbranch_execnz .LBB3036_158
.LBB3036_108:
	s_or_b64 exec, exec, s[0:1]
	v_cmp_ge_u32_e32 vcc, v33, v38
	s_and_saveexec_b64 s[0:1], vcc
	s_cbranch_execnz .LBB3036_159
.LBB3036_109:
	s_or_b64 exec, exec, s[0:1]
	v_cmp_ge_u32_e32 vcc, v32, v38
	s_and_saveexec_b64 s[0:1], vcc
	s_cbranch_execnz .LBB3036_160
.LBB3036_110:
	s_or_b64 exec, exec, s[0:1]
	v_cmp_ge_u32_e32 vcc, v31, v38
	s_and_saveexec_b64 s[0:1], vcc
	s_cbranch_execnz .LBB3036_161
.LBB3036_111:
	s_or_b64 exec, exec, s[0:1]
	v_cmp_ge_u32_e32 vcc, v30, v38
	s_and_saveexec_b64 s[0:1], vcc
	s_cbranch_execnz .LBB3036_162
.LBB3036_112:
	s_or_b64 exec, exec, s[0:1]
	v_cmp_ge_u32_e32 vcc, v29, v38
	s_and_saveexec_b64 s[0:1], vcc
	s_cbranch_execnz .LBB3036_163
.LBB3036_113:
	s_or_b64 exec, exec, s[0:1]
	v_cmp_ge_u32_e32 vcc, v28, v38
	s_and_saveexec_b64 s[0:1], vcc
	s_cbranch_execnz .LBB3036_164
.LBB3036_114:
	s_or_b64 exec, exec, s[0:1]
	v_cmp_ge_u32_e32 vcc, v27, v38
	s_and_saveexec_b64 s[0:1], vcc
	s_cbranch_execnz .LBB3036_165
.LBB3036_115:
	s_or_b64 exec, exec, s[0:1]
	v_cmp_ge_u32_e32 vcc, v26, v38
	s_and_saveexec_b64 s[0:1], vcc
	s_cbranch_execnz .LBB3036_166
.LBB3036_116:
	s_or_b64 exec, exec, s[0:1]
	v_cmp_ge_u32_e32 vcc, v25, v38
	s_and_saveexec_b64 s[0:1], vcc
	s_cbranch_execnz .LBB3036_167
.LBB3036_117:
	s_or_b64 exec, exec, s[0:1]
	v_cmp_ge_u32_e32 vcc, v24, v38
	s_and_saveexec_b64 s[0:1], vcc
	s_cbranch_execnz .LBB3036_168
.LBB3036_118:
	s_or_b64 exec, exec, s[0:1]
	v_cmp_ge_u32_e32 vcc, v23, v38
	s_and_saveexec_b64 s[0:1], vcc
	s_cbranch_execnz .LBB3036_169
.LBB3036_119:
	s_or_b64 exec, exec, s[0:1]
	v_cmp_ge_u32_e32 vcc, v21, v38
	s_and_saveexec_b64 s[0:1], vcc
	s_cbranch_execz .LBB3036_121
.LBB3036_120:
	v_lshlrev_b32_e32 v35, 2, v21
	v_readfirstlane_b32 s2, v4
	v_readfirstlane_b32 s3, v5
	s_waitcnt lgkmcnt(1)
	s_nop 3
	global_store_dword v35, v7, s[2:3]
.LBB3036_121:
	s_or_b64 exec, exec, s[0:1]
	v_cmp_ge_u32_e64 s[0:1], v20, v38
	s_branch .LBB3036_152
.LBB3036_122:
	s_mov_b64 s[0:1], 0
	s_cbranch_execz .LBB3036_152
; %bb.123:
	v_cmp_gt_u32_e32 vcc, s33, v0
	v_cmp_le_u32_e64 s[0:1], v38, v0
	s_and_b64 s[2:3], vcc, s[0:1]
	s_and_saveexec_b64 s[0:1], s[2:3]
	s_cbranch_execz .LBB3036_125
; %bb.124:
	v_readfirstlane_b32 s2, v4
	v_readfirstlane_b32 s3, v5
	s_waitcnt lgkmcnt(7)
	s_nop 3
	global_store_dword v22, v18, s[2:3]
.LBB3036_125:
	s_or_b64 exec, exec, s[0:1]
	v_cmp_gt_u32_e32 vcc, s33, v34
	v_cmp_ge_u32_e64 s[0:1], v34, v38
	s_and_b64 s[2:3], vcc, s[0:1]
	s_and_saveexec_b64 s[0:1], s[2:3]
	s_cbranch_execz .LBB3036_127
; %bb.126:
	v_readfirstlane_b32 s2, v4
	v_readfirstlane_b32 s3, v5
	s_waitcnt lgkmcnt(7)
	s_nop 3
	global_store_dword v22, v19, s[2:3] offset:2048
.LBB3036_127:
	s_or_b64 exec, exec, s[0:1]
	v_cmp_gt_u32_e32 vcc, s33, v33
	v_cmp_ge_u32_e64 s[0:1], v33, v38
	s_and_b64 s[2:3], vcc, s[0:1]
	s_and_saveexec_b64 s[0:1], s[2:3]
	s_cbranch_execz .LBB3036_129
; %bb.128:
	s_waitcnt lgkmcnt(7)
	v_lshlrev_b32_e32 v18, 2, v33
	v_readfirstlane_b32 s2, v4
	v_readfirstlane_b32 s3, v5
	s_waitcnt lgkmcnt(6)
	s_nop 3
	global_store_dword v18, v16, s[2:3]
.LBB3036_129:
	s_or_b64 exec, exec, s[0:1]
	v_cmp_gt_u32_e32 vcc, s33, v32
	v_cmp_ge_u32_e64 s[0:1], v32, v38
	s_and_b64 s[2:3], vcc, s[0:1]
	s_and_saveexec_b64 s[0:1], s[2:3]
	s_cbranch_execz .LBB3036_131
; %bb.130:
	s_waitcnt lgkmcnt(6)
	v_lshlrev_b32_e32 v16, 2, v32
	v_readfirstlane_b32 s2, v4
	v_readfirstlane_b32 s3, v5
	s_nop 4
	global_store_dword v16, v17, s[2:3]
.LBB3036_131:
	s_or_b64 exec, exec, s[0:1]
	v_cmp_gt_u32_e32 vcc, s33, v31
	v_cmp_ge_u32_e64 s[0:1], v31, v38
	s_and_b64 s[2:3], vcc, s[0:1]
	s_and_saveexec_b64 s[0:1], s[2:3]
	s_cbranch_execz .LBB3036_133
; %bb.132:
	s_waitcnt lgkmcnt(6)
	v_lshlrev_b32_e32 v16, 2, v31
	v_readfirstlane_b32 s2, v4
	v_readfirstlane_b32 s3, v5
	s_waitcnt lgkmcnt(5)
	s_nop 3
	global_store_dword v16, v14, s[2:3]
.LBB3036_133:
	s_or_b64 exec, exec, s[0:1]
	v_cmp_gt_u32_e32 vcc, s33, v30
	v_cmp_ge_u32_e64 s[0:1], v30, v38
	s_and_b64 s[2:3], vcc, s[0:1]
	s_and_saveexec_b64 s[0:1], s[2:3]
	s_cbranch_execz .LBB3036_135
; %bb.134:
	s_waitcnt lgkmcnt(5)
	v_lshlrev_b32_e32 v14, 2, v30
	v_readfirstlane_b32 s2, v4
	v_readfirstlane_b32 s3, v5
	s_nop 4
	global_store_dword v14, v15, s[2:3]
.LBB3036_135:
	;; [unrolled: 29-line block ×6, first 2 shown]
	s_or_b64 exec, exec, s[0:1]
	v_cmp_gt_u32_e32 vcc, s33, v20
	v_cmp_ge_u32_e64 s[0:1], v20, v38
	s_and_b64 s[0:1], vcc, s[0:1]
.LBB3036_152:
	s_and_saveexec_b64 s[2:3], s[0:1]
	s_cbranch_execz .LBB3036_154
; %bb.153:
	s_waitcnt lgkmcnt(1)
	v_lshlrev_b32_e32 v6, 2, v20
	v_readfirstlane_b32 s0, v4
	v_readfirstlane_b32 s1, v5
	s_waitcnt lgkmcnt(0)
	s_nop 3
	global_store_dword v6, v1, s[0:1]
.LBB3036_154:
	s_or_b64 exec, exec, s[2:3]
	v_cmp_eq_u32_e32 vcc, 0, v0
	s_and_b64 s[0:1], vcc, s[22:23]
	s_and_saveexec_b64 s[2:3], s[0:1]
	s_cbranch_execz .LBB3036_156
; %bb.155:
	v_mov_b32_e32 v0, 0
	global_store_dwordx2 v0, v[2:3], s[20:21]
.LBB3036_156:
	s_endpgm
.LBB3036_157:
	v_readfirstlane_b32 s0, v4
	v_readfirstlane_b32 s1, v5
	s_waitcnt lgkmcnt(7)
	s_nop 3
	global_store_dword v22, v18, s[0:1]
	s_or_b64 exec, exec, s[2:3]
	v_cmp_ge_u32_e32 vcc, v34, v38
	s_and_saveexec_b64 s[0:1], vcc
	s_cbranch_execz .LBB3036_108
.LBB3036_158:
	v_readfirstlane_b32 s2, v4
	v_readfirstlane_b32 s3, v5
	s_waitcnt lgkmcnt(7)
	s_nop 3
	global_store_dword v22, v19, s[2:3] offset:2048
	s_or_b64 exec, exec, s[0:1]
	v_cmp_ge_u32_e32 vcc, v33, v38
	s_and_saveexec_b64 s[0:1], vcc
	s_cbranch_execz .LBB3036_109
.LBB3036_159:
	v_lshlrev_b32_e32 v35, 2, v33
	v_readfirstlane_b32 s2, v4
	v_readfirstlane_b32 s3, v5
	s_waitcnt lgkmcnt(6)
	s_nop 3
	global_store_dword v35, v16, s[2:3]
	s_or_b64 exec, exec, s[0:1]
	v_cmp_ge_u32_e32 vcc, v32, v38
	s_and_saveexec_b64 s[0:1], vcc
	s_cbranch_execz .LBB3036_110
.LBB3036_160:
	v_lshlrev_b32_e32 v35, 2, v32
	v_readfirstlane_b32 s2, v4
	v_readfirstlane_b32 s3, v5
	s_waitcnt lgkmcnt(6)
	s_nop 3
	global_store_dword v35, v17, s[2:3]
	s_or_b64 exec, exec, s[0:1]
	v_cmp_ge_u32_e32 vcc, v31, v38
	s_and_saveexec_b64 s[0:1], vcc
	s_cbranch_execz .LBB3036_111
.LBB3036_161:
	v_lshlrev_b32_e32 v35, 2, v31
	v_readfirstlane_b32 s2, v4
	v_readfirstlane_b32 s3, v5
	s_waitcnt lgkmcnt(5)
	s_nop 3
	global_store_dword v35, v14, s[2:3]
	s_or_b64 exec, exec, s[0:1]
	v_cmp_ge_u32_e32 vcc, v30, v38
	s_and_saveexec_b64 s[0:1], vcc
	s_cbranch_execz .LBB3036_112
.LBB3036_162:
	v_lshlrev_b32_e32 v35, 2, v30
	v_readfirstlane_b32 s2, v4
	v_readfirstlane_b32 s3, v5
	s_waitcnt lgkmcnt(5)
	s_nop 3
	global_store_dword v35, v15, s[2:3]
	s_or_b64 exec, exec, s[0:1]
	v_cmp_ge_u32_e32 vcc, v29, v38
	s_and_saveexec_b64 s[0:1], vcc
	s_cbranch_execz .LBB3036_113
.LBB3036_163:
	v_lshlrev_b32_e32 v35, 2, v29
	v_readfirstlane_b32 s2, v4
	v_readfirstlane_b32 s3, v5
	s_waitcnt lgkmcnt(4)
	s_nop 3
	global_store_dword v35, v12, s[2:3]
	s_or_b64 exec, exec, s[0:1]
	v_cmp_ge_u32_e32 vcc, v28, v38
	s_and_saveexec_b64 s[0:1], vcc
	s_cbranch_execz .LBB3036_114
.LBB3036_164:
	v_lshlrev_b32_e32 v35, 2, v28
	v_readfirstlane_b32 s2, v4
	v_readfirstlane_b32 s3, v5
	s_waitcnt lgkmcnt(4)
	s_nop 3
	global_store_dword v35, v13, s[2:3]
	s_or_b64 exec, exec, s[0:1]
	v_cmp_ge_u32_e32 vcc, v27, v38
	s_and_saveexec_b64 s[0:1], vcc
	s_cbranch_execz .LBB3036_115
.LBB3036_165:
	v_lshlrev_b32_e32 v35, 2, v27
	v_readfirstlane_b32 s2, v4
	v_readfirstlane_b32 s3, v5
	s_waitcnt lgkmcnt(3)
	s_nop 3
	global_store_dword v35, v10, s[2:3]
	s_or_b64 exec, exec, s[0:1]
	v_cmp_ge_u32_e32 vcc, v26, v38
	s_and_saveexec_b64 s[0:1], vcc
	s_cbranch_execz .LBB3036_116
.LBB3036_166:
	v_lshlrev_b32_e32 v35, 2, v26
	v_readfirstlane_b32 s2, v4
	v_readfirstlane_b32 s3, v5
	s_waitcnt lgkmcnt(3)
	s_nop 3
	global_store_dword v35, v11, s[2:3]
	s_or_b64 exec, exec, s[0:1]
	v_cmp_ge_u32_e32 vcc, v25, v38
	s_and_saveexec_b64 s[0:1], vcc
	s_cbranch_execz .LBB3036_117
.LBB3036_167:
	v_lshlrev_b32_e32 v35, 2, v25
	v_readfirstlane_b32 s2, v4
	v_readfirstlane_b32 s3, v5
	s_waitcnt lgkmcnt(2)
	s_nop 3
	global_store_dword v35, v8, s[2:3]
	s_or_b64 exec, exec, s[0:1]
	v_cmp_ge_u32_e32 vcc, v24, v38
	s_and_saveexec_b64 s[0:1], vcc
	s_cbranch_execz .LBB3036_118
.LBB3036_168:
	v_lshlrev_b32_e32 v35, 2, v24
	v_readfirstlane_b32 s2, v4
	v_readfirstlane_b32 s3, v5
	s_waitcnt lgkmcnt(2)
	s_nop 3
	global_store_dword v35, v9, s[2:3]
	s_or_b64 exec, exec, s[0:1]
	v_cmp_ge_u32_e32 vcc, v23, v38
	s_and_saveexec_b64 s[0:1], vcc
	s_cbranch_execz .LBB3036_119
.LBB3036_169:
	v_lshlrev_b32_e32 v35, 2, v23
	v_readfirstlane_b32 s2, v4
	v_readfirstlane_b32 s3, v5
	s_waitcnt lgkmcnt(1)
	s_nop 3
	global_store_dword v35, v6, s[2:3]
	s_or_b64 exec, exec, s[0:1]
	v_cmp_ge_u32_e32 vcc, v21, v38
	s_and_saveexec_b64 s[0:1], vcc
	s_cbranch_execnz .LBB3036_120
	s_branch .LBB3036_121
	.section	.rodata,"a",@progbits
	.p2align	6, 0x0
	.amdhsa_kernel _ZN7rocprim17ROCPRIM_400000_NS6detail17trampoline_kernelINS0_14default_configENS1_25partition_config_selectorILNS1_17partition_subalgoE1EjNS0_10empty_typeEbEEZZNS1_14partition_implILS5_1ELb0ES3_jN6thrust23THRUST_200600_302600_NS6detail15normal_iteratorINSA_10device_ptrIjEEEEPS6_NSA_18transform_iteratorI7is_evenIjESF_NSA_11use_defaultESK_EENS0_5tupleIJNSA_16discard_iteratorISK_EESF_EEENSM_IJSG_SG_EEES6_PlJS6_EEE10hipError_tPvRmT3_T4_T5_T6_T7_T9_mT8_P12ihipStream_tbDpT10_ENKUlT_T0_E_clISt17integral_constantIbLb0EES1B_EEDaS16_S17_EUlS16_E_NS1_11comp_targetILNS1_3genE5ELNS1_11target_archE942ELNS1_3gpuE9ELNS1_3repE0EEENS1_30default_config_static_selectorELNS0_4arch9wavefront6targetE1EEEvT1_
		.amdhsa_group_segment_fixed_size 30728
		.amdhsa_private_segment_fixed_size 0
		.amdhsa_kernarg_size 136
		.amdhsa_user_sgpr_count 2
		.amdhsa_user_sgpr_dispatch_ptr 0
		.amdhsa_user_sgpr_queue_ptr 0
		.amdhsa_user_sgpr_kernarg_segment_ptr 1
		.amdhsa_user_sgpr_dispatch_id 0
		.amdhsa_user_sgpr_kernarg_preload_length 0
		.amdhsa_user_sgpr_kernarg_preload_offset 0
		.amdhsa_user_sgpr_private_segment_size 0
		.amdhsa_uses_dynamic_stack 0
		.amdhsa_enable_private_segment 0
		.amdhsa_system_sgpr_workgroup_id_x 1
		.amdhsa_system_sgpr_workgroup_id_y 0
		.amdhsa_system_sgpr_workgroup_id_z 0
		.amdhsa_system_sgpr_workgroup_info 0
		.amdhsa_system_vgpr_workitem_id 0
		.amdhsa_next_free_vgpr 65
		.amdhsa_next_free_sgpr 44
		.amdhsa_accum_offset 68
		.amdhsa_reserve_vcc 1
		.amdhsa_float_round_mode_32 0
		.amdhsa_float_round_mode_16_64 0
		.amdhsa_float_denorm_mode_32 3
		.amdhsa_float_denorm_mode_16_64 3
		.amdhsa_dx10_clamp 1
		.amdhsa_ieee_mode 1
		.amdhsa_fp16_overflow 0
		.amdhsa_tg_split 0
		.amdhsa_exception_fp_ieee_invalid_op 0
		.amdhsa_exception_fp_denorm_src 0
		.amdhsa_exception_fp_ieee_div_zero 0
		.amdhsa_exception_fp_ieee_overflow 0
		.amdhsa_exception_fp_ieee_underflow 0
		.amdhsa_exception_fp_ieee_inexact 0
		.amdhsa_exception_int_div_zero 0
	.end_amdhsa_kernel
	.section	.text._ZN7rocprim17ROCPRIM_400000_NS6detail17trampoline_kernelINS0_14default_configENS1_25partition_config_selectorILNS1_17partition_subalgoE1EjNS0_10empty_typeEbEEZZNS1_14partition_implILS5_1ELb0ES3_jN6thrust23THRUST_200600_302600_NS6detail15normal_iteratorINSA_10device_ptrIjEEEEPS6_NSA_18transform_iteratorI7is_evenIjESF_NSA_11use_defaultESK_EENS0_5tupleIJNSA_16discard_iteratorISK_EESF_EEENSM_IJSG_SG_EEES6_PlJS6_EEE10hipError_tPvRmT3_T4_T5_T6_T7_T9_mT8_P12ihipStream_tbDpT10_ENKUlT_T0_E_clISt17integral_constantIbLb0EES1B_EEDaS16_S17_EUlS16_E_NS1_11comp_targetILNS1_3genE5ELNS1_11target_archE942ELNS1_3gpuE9ELNS1_3repE0EEENS1_30default_config_static_selectorELNS0_4arch9wavefront6targetE1EEEvT1_,"axG",@progbits,_ZN7rocprim17ROCPRIM_400000_NS6detail17trampoline_kernelINS0_14default_configENS1_25partition_config_selectorILNS1_17partition_subalgoE1EjNS0_10empty_typeEbEEZZNS1_14partition_implILS5_1ELb0ES3_jN6thrust23THRUST_200600_302600_NS6detail15normal_iteratorINSA_10device_ptrIjEEEEPS6_NSA_18transform_iteratorI7is_evenIjESF_NSA_11use_defaultESK_EENS0_5tupleIJNSA_16discard_iteratorISK_EESF_EEENSM_IJSG_SG_EEES6_PlJS6_EEE10hipError_tPvRmT3_T4_T5_T6_T7_T9_mT8_P12ihipStream_tbDpT10_ENKUlT_T0_E_clISt17integral_constantIbLb0EES1B_EEDaS16_S17_EUlS16_E_NS1_11comp_targetILNS1_3genE5ELNS1_11target_archE942ELNS1_3gpuE9ELNS1_3repE0EEENS1_30default_config_static_selectorELNS0_4arch9wavefront6targetE1EEEvT1_,comdat
.Lfunc_end3036:
	.size	_ZN7rocprim17ROCPRIM_400000_NS6detail17trampoline_kernelINS0_14default_configENS1_25partition_config_selectorILNS1_17partition_subalgoE1EjNS0_10empty_typeEbEEZZNS1_14partition_implILS5_1ELb0ES3_jN6thrust23THRUST_200600_302600_NS6detail15normal_iteratorINSA_10device_ptrIjEEEEPS6_NSA_18transform_iteratorI7is_evenIjESF_NSA_11use_defaultESK_EENS0_5tupleIJNSA_16discard_iteratorISK_EESF_EEENSM_IJSG_SG_EEES6_PlJS6_EEE10hipError_tPvRmT3_T4_T5_T6_T7_T9_mT8_P12ihipStream_tbDpT10_ENKUlT_T0_E_clISt17integral_constantIbLb0EES1B_EEDaS16_S17_EUlS16_E_NS1_11comp_targetILNS1_3genE5ELNS1_11target_archE942ELNS1_3gpuE9ELNS1_3repE0EEENS1_30default_config_static_selectorELNS0_4arch9wavefront6targetE1EEEvT1_, .Lfunc_end3036-_ZN7rocprim17ROCPRIM_400000_NS6detail17trampoline_kernelINS0_14default_configENS1_25partition_config_selectorILNS1_17partition_subalgoE1EjNS0_10empty_typeEbEEZZNS1_14partition_implILS5_1ELb0ES3_jN6thrust23THRUST_200600_302600_NS6detail15normal_iteratorINSA_10device_ptrIjEEEEPS6_NSA_18transform_iteratorI7is_evenIjESF_NSA_11use_defaultESK_EENS0_5tupleIJNSA_16discard_iteratorISK_EESF_EEENSM_IJSG_SG_EEES6_PlJS6_EEE10hipError_tPvRmT3_T4_T5_T6_T7_T9_mT8_P12ihipStream_tbDpT10_ENKUlT_T0_E_clISt17integral_constantIbLb0EES1B_EEDaS16_S17_EUlS16_E_NS1_11comp_targetILNS1_3genE5ELNS1_11target_archE942ELNS1_3gpuE9ELNS1_3repE0EEENS1_30default_config_static_selectorELNS0_4arch9wavefront6targetE1EEEvT1_
                                        ; -- End function
	.section	.AMDGPU.csdata,"",@progbits
; Kernel info:
; codeLenInByte = 7688
; NumSgprs: 50
; NumVgprs: 65
; NumAgprs: 0
; TotalNumVgprs: 65
; ScratchSize: 0
; MemoryBound: 0
; FloatMode: 240
; IeeeMode: 1
; LDSByteSize: 30728 bytes/workgroup (compile time only)
; SGPRBlocks: 6
; VGPRBlocks: 8
; NumSGPRsForWavesPerEU: 50
; NumVGPRsForWavesPerEU: 65
; AccumOffset: 68
; Occupancy: 4
; WaveLimiterHint : 1
; COMPUTE_PGM_RSRC2:SCRATCH_EN: 0
; COMPUTE_PGM_RSRC2:USER_SGPR: 2
; COMPUTE_PGM_RSRC2:TRAP_HANDLER: 0
; COMPUTE_PGM_RSRC2:TGID_X_EN: 1
; COMPUTE_PGM_RSRC2:TGID_Y_EN: 0
; COMPUTE_PGM_RSRC2:TGID_Z_EN: 0
; COMPUTE_PGM_RSRC2:TIDIG_COMP_CNT: 0
; COMPUTE_PGM_RSRC3_GFX90A:ACCUM_OFFSET: 16
; COMPUTE_PGM_RSRC3_GFX90A:TG_SPLIT: 0
	.section	.text._ZN7rocprim17ROCPRIM_400000_NS6detail17trampoline_kernelINS0_14default_configENS1_25partition_config_selectorILNS1_17partition_subalgoE1EjNS0_10empty_typeEbEEZZNS1_14partition_implILS5_1ELb0ES3_jN6thrust23THRUST_200600_302600_NS6detail15normal_iteratorINSA_10device_ptrIjEEEEPS6_NSA_18transform_iteratorI7is_evenIjESF_NSA_11use_defaultESK_EENS0_5tupleIJNSA_16discard_iteratorISK_EESF_EEENSM_IJSG_SG_EEES6_PlJS6_EEE10hipError_tPvRmT3_T4_T5_T6_T7_T9_mT8_P12ihipStream_tbDpT10_ENKUlT_T0_E_clISt17integral_constantIbLb0EES1B_EEDaS16_S17_EUlS16_E_NS1_11comp_targetILNS1_3genE4ELNS1_11target_archE910ELNS1_3gpuE8ELNS1_3repE0EEENS1_30default_config_static_selectorELNS0_4arch9wavefront6targetE1EEEvT1_,"axG",@progbits,_ZN7rocprim17ROCPRIM_400000_NS6detail17trampoline_kernelINS0_14default_configENS1_25partition_config_selectorILNS1_17partition_subalgoE1EjNS0_10empty_typeEbEEZZNS1_14partition_implILS5_1ELb0ES3_jN6thrust23THRUST_200600_302600_NS6detail15normal_iteratorINSA_10device_ptrIjEEEEPS6_NSA_18transform_iteratorI7is_evenIjESF_NSA_11use_defaultESK_EENS0_5tupleIJNSA_16discard_iteratorISK_EESF_EEENSM_IJSG_SG_EEES6_PlJS6_EEE10hipError_tPvRmT3_T4_T5_T6_T7_T9_mT8_P12ihipStream_tbDpT10_ENKUlT_T0_E_clISt17integral_constantIbLb0EES1B_EEDaS16_S17_EUlS16_E_NS1_11comp_targetILNS1_3genE4ELNS1_11target_archE910ELNS1_3gpuE8ELNS1_3repE0EEENS1_30default_config_static_selectorELNS0_4arch9wavefront6targetE1EEEvT1_,comdat
	.protected	_ZN7rocprim17ROCPRIM_400000_NS6detail17trampoline_kernelINS0_14default_configENS1_25partition_config_selectorILNS1_17partition_subalgoE1EjNS0_10empty_typeEbEEZZNS1_14partition_implILS5_1ELb0ES3_jN6thrust23THRUST_200600_302600_NS6detail15normal_iteratorINSA_10device_ptrIjEEEEPS6_NSA_18transform_iteratorI7is_evenIjESF_NSA_11use_defaultESK_EENS0_5tupleIJNSA_16discard_iteratorISK_EESF_EEENSM_IJSG_SG_EEES6_PlJS6_EEE10hipError_tPvRmT3_T4_T5_T6_T7_T9_mT8_P12ihipStream_tbDpT10_ENKUlT_T0_E_clISt17integral_constantIbLb0EES1B_EEDaS16_S17_EUlS16_E_NS1_11comp_targetILNS1_3genE4ELNS1_11target_archE910ELNS1_3gpuE8ELNS1_3repE0EEENS1_30default_config_static_selectorELNS0_4arch9wavefront6targetE1EEEvT1_ ; -- Begin function _ZN7rocprim17ROCPRIM_400000_NS6detail17trampoline_kernelINS0_14default_configENS1_25partition_config_selectorILNS1_17partition_subalgoE1EjNS0_10empty_typeEbEEZZNS1_14partition_implILS5_1ELb0ES3_jN6thrust23THRUST_200600_302600_NS6detail15normal_iteratorINSA_10device_ptrIjEEEEPS6_NSA_18transform_iteratorI7is_evenIjESF_NSA_11use_defaultESK_EENS0_5tupleIJNSA_16discard_iteratorISK_EESF_EEENSM_IJSG_SG_EEES6_PlJS6_EEE10hipError_tPvRmT3_T4_T5_T6_T7_T9_mT8_P12ihipStream_tbDpT10_ENKUlT_T0_E_clISt17integral_constantIbLb0EES1B_EEDaS16_S17_EUlS16_E_NS1_11comp_targetILNS1_3genE4ELNS1_11target_archE910ELNS1_3gpuE8ELNS1_3repE0EEENS1_30default_config_static_selectorELNS0_4arch9wavefront6targetE1EEEvT1_
	.globl	_ZN7rocprim17ROCPRIM_400000_NS6detail17trampoline_kernelINS0_14default_configENS1_25partition_config_selectorILNS1_17partition_subalgoE1EjNS0_10empty_typeEbEEZZNS1_14partition_implILS5_1ELb0ES3_jN6thrust23THRUST_200600_302600_NS6detail15normal_iteratorINSA_10device_ptrIjEEEEPS6_NSA_18transform_iteratorI7is_evenIjESF_NSA_11use_defaultESK_EENS0_5tupleIJNSA_16discard_iteratorISK_EESF_EEENSM_IJSG_SG_EEES6_PlJS6_EEE10hipError_tPvRmT3_T4_T5_T6_T7_T9_mT8_P12ihipStream_tbDpT10_ENKUlT_T0_E_clISt17integral_constantIbLb0EES1B_EEDaS16_S17_EUlS16_E_NS1_11comp_targetILNS1_3genE4ELNS1_11target_archE910ELNS1_3gpuE8ELNS1_3repE0EEENS1_30default_config_static_selectorELNS0_4arch9wavefront6targetE1EEEvT1_
	.p2align	8
	.type	_ZN7rocprim17ROCPRIM_400000_NS6detail17trampoline_kernelINS0_14default_configENS1_25partition_config_selectorILNS1_17partition_subalgoE1EjNS0_10empty_typeEbEEZZNS1_14partition_implILS5_1ELb0ES3_jN6thrust23THRUST_200600_302600_NS6detail15normal_iteratorINSA_10device_ptrIjEEEEPS6_NSA_18transform_iteratorI7is_evenIjESF_NSA_11use_defaultESK_EENS0_5tupleIJNSA_16discard_iteratorISK_EESF_EEENSM_IJSG_SG_EEES6_PlJS6_EEE10hipError_tPvRmT3_T4_T5_T6_T7_T9_mT8_P12ihipStream_tbDpT10_ENKUlT_T0_E_clISt17integral_constantIbLb0EES1B_EEDaS16_S17_EUlS16_E_NS1_11comp_targetILNS1_3genE4ELNS1_11target_archE910ELNS1_3gpuE8ELNS1_3repE0EEENS1_30default_config_static_selectorELNS0_4arch9wavefront6targetE1EEEvT1_,@function
_ZN7rocprim17ROCPRIM_400000_NS6detail17trampoline_kernelINS0_14default_configENS1_25partition_config_selectorILNS1_17partition_subalgoE1EjNS0_10empty_typeEbEEZZNS1_14partition_implILS5_1ELb0ES3_jN6thrust23THRUST_200600_302600_NS6detail15normal_iteratorINSA_10device_ptrIjEEEEPS6_NSA_18transform_iteratorI7is_evenIjESF_NSA_11use_defaultESK_EENS0_5tupleIJNSA_16discard_iteratorISK_EESF_EEENSM_IJSG_SG_EEES6_PlJS6_EEE10hipError_tPvRmT3_T4_T5_T6_T7_T9_mT8_P12ihipStream_tbDpT10_ENKUlT_T0_E_clISt17integral_constantIbLb0EES1B_EEDaS16_S17_EUlS16_E_NS1_11comp_targetILNS1_3genE4ELNS1_11target_archE910ELNS1_3gpuE8ELNS1_3repE0EEENS1_30default_config_static_selectorELNS0_4arch9wavefront6targetE1EEEvT1_: ; @_ZN7rocprim17ROCPRIM_400000_NS6detail17trampoline_kernelINS0_14default_configENS1_25partition_config_selectorILNS1_17partition_subalgoE1EjNS0_10empty_typeEbEEZZNS1_14partition_implILS5_1ELb0ES3_jN6thrust23THRUST_200600_302600_NS6detail15normal_iteratorINSA_10device_ptrIjEEEEPS6_NSA_18transform_iteratorI7is_evenIjESF_NSA_11use_defaultESK_EENS0_5tupleIJNSA_16discard_iteratorISK_EESF_EEENSM_IJSG_SG_EEES6_PlJS6_EEE10hipError_tPvRmT3_T4_T5_T6_T7_T9_mT8_P12ihipStream_tbDpT10_ENKUlT_T0_E_clISt17integral_constantIbLb0EES1B_EEDaS16_S17_EUlS16_E_NS1_11comp_targetILNS1_3genE4ELNS1_11target_archE910ELNS1_3gpuE8ELNS1_3repE0EEENS1_30default_config_static_selectorELNS0_4arch9wavefront6targetE1EEEvT1_
; %bb.0:
	.section	.rodata,"a",@progbits
	.p2align	6, 0x0
	.amdhsa_kernel _ZN7rocprim17ROCPRIM_400000_NS6detail17trampoline_kernelINS0_14default_configENS1_25partition_config_selectorILNS1_17partition_subalgoE1EjNS0_10empty_typeEbEEZZNS1_14partition_implILS5_1ELb0ES3_jN6thrust23THRUST_200600_302600_NS6detail15normal_iteratorINSA_10device_ptrIjEEEEPS6_NSA_18transform_iteratorI7is_evenIjESF_NSA_11use_defaultESK_EENS0_5tupleIJNSA_16discard_iteratorISK_EESF_EEENSM_IJSG_SG_EEES6_PlJS6_EEE10hipError_tPvRmT3_T4_T5_T6_T7_T9_mT8_P12ihipStream_tbDpT10_ENKUlT_T0_E_clISt17integral_constantIbLb0EES1B_EEDaS16_S17_EUlS16_E_NS1_11comp_targetILNS1_3genE4ELNS1_11target_archE910ELNS1_3gpuE8ELNS1_3repE0EEENS1_30default_config_static_selectorELNS0_4arch9wavefront6targetE1EEEvT1_
		.amdhsa_group_segment_fixed_size 0
		.amdhsa_private_segment_fixed_size 0
		.amdhsa_kernarg_size 136
		.amdhsa_user_sgpr_count 2
		.amdhsa_user_sgpr_dispatch_ptr 0
		.amdhsa_user_sgpr_queue_ptr 0
		.amdhsa_user_sgpr_kernarg_segment_ptr 1
		.amdhsa_user_sgpr_dispatch_id 0
		.amdhsa_user_sgpr_kernarg_preload_length 0
		.amdhsa_user_sgpr_kernarg_preload_offset 0
		.amdhsa_user_sgpr_private_segment_size 0
		.amdhsa_uses_dynamic_stack 0
		.amdhsa_enable_private_segment 0
		.amdhsa_system_sgpr_workgroup_id_x 1
		.amdhsa_system_sgpr_workgroup_id_y 0
		.amdhsa_system_sgpr_workgroup_id_z 0
		.amdhsa_system_sgpr_workgroup_info 0
		.amdhsa_system_vgpr_workitem_id 0
		.amdhsa_next_free_vgpr 1
		.amdhsa_next_free_sgpr 0
		.amdhsa_accum_offset 4
		.amdhsa_reserve_vcc 0
		.amdhsa_float_round_mode_32 0
		.amdhsa_float_round_mode_16_64 0
		.amdhsa_float_denorm_mode_32 3
		.amdhsa_float_denorm_mode_16_64 3
		.amdhsa_dx10_clamp 1
		.amdhsa_ieee_mode 1
		.amdhsa_fp16_overflow 0
		.amdhsa_tg_split 0
		.amdhsa_exception_fp_ieee_invalid_op 0
		.amdhsa_exception_fp_denorm_src 0
		.amdhsa_exception_fp_ieee_div_zero 0
		.amdhsa_exception_fp_ieee_overflow 0
		.amdhsa_exception_fp_ieee_underflow 0
		.amdhsa_exception_fp_ieee_inexact 0
		.amdhsa_exception_int_div_zero 0
	.end_amdhsa_kernel
	.section	.text._ZN7rocprim17ROCPRIM_400000_NS6detail17trampoline_kernelINS0_14default_configENS1_25partition_config_selectorILNS1_17partition_subalgoE1EjNS0_10empty_typeEbEEZZNS1_14partition_implILS5_1ELb0ES3_jN6thrust23THRUST_200600_302600_NS6detail15normal_iteratorINSA_10device_ptrIjEEEEPS6_NSA_18transform_iteratorI7is_evenIjESF_NSA_11use_defaultESK_EENS0_5tupleIJNSA_16discard_iteratorISK_EESF_EEENSM_IJSG_SG_EEES6_PlJS6_EEE10hipError_tPvRmT3_T4_T5_T6_T7_T9_mT8_P12ihipStream_tbDpT10_ENKUlT_T0_E_clISt17integral_constantIbLb0EES1B_EEDaS16_S17_EUlS16_E_NS1_11comp_targetILNS1_3genE4ELNS1_11target_archE910ELNS1_3gpuE8ELNS1_3repE0EEENS1_30default_config_static_selectorELNS0_4arch9wavefront6targetE1EEEvT1_,"axG",@progbits,_ZN7rocprim17ROCPRIM_400000_NS6detail17trampoline_kernelINS0_14default_configENS1_25partition_config_selectorILNS1_17partition_subalgoE1EjNS0_10empty_typeEbEEZZNS1_14partition_implILS5_1ELb0ES3_jN6thrust23THRUST_200600_302600_NS6detail15normal_iteratorINSA_10device_ptrIjEEEEPS6_NSA_18transform_iteratorI7is_evenIjESF_NSA_11use_defaultESK_EENS0_5tupleIJNSA_16discard_iteratorISK_EESF_EEENSM_IJSG_SG_EEES6_PlJS6_EEE10hipError_tPvRmT3_T4_T5_T6_T7_T9_mT8_P12ihipStream_tbDpT10_ENKUlT_T0_E_clISt17integral_constantIbLb0EES1B_EEDaS16_S17_EUlS16_E_NS1_11comp_targetILNS1_3genE4ELNS1_11target_archE910ELNS1_3gpuE8ELNS1_3repE0EEENS1_30default_config_static_selectorELNS0_4arch9wavefront6targetE1EEEvT1_,comdat
.Lfunc_end3037:
	.size	_ZN7rocprim17ROCPRIM_400000_NS6detail17trampoline_kernelINS0_14default_configENS1_25partition_config_selectorILNS1_17partition_subalgoE1EjNS0_10empty_typeEbEEZZNS1_14partition_implILS5_1ELb0ES3_jN6thrust23THRUST_200600_302600_NS6detail15normal_iteratorINSA_10device_ptrIjEEEEPS6_NSA_18transform_iteratorI7is_evenIjESF_NSA_11use_defaultESK_EENS0_5tupleIJNSA_16discard_iteratorISK_EESF_EEENSM_IJSG_SG_EEES6_PlJS6_EEE10hipError_tPvRmT3_T4_T5_T6_T7_T9_mT8_P12ihipStream_tbDpT10_ENKUlT_T0_E_clISt17integral_constantIbLb0EES1B_EEDaS16_S17_EUlS16_E_NS1_11comp_targetILNS1_3genE4ELNS1_11target_archE910ELNS1_3gpuE8ELNS1_3repE0EEENS1_30default_config_static_selectorELNS0_4arch9wavefront6targetE1EEEvT1_, .Lfunc_end3037-_ZN7rocprim17ROCPRIM_400000_NS6detail17trampoline_kernelINS0_14default_configENS1_25partition_config_selectorILNS1_17partition_subalgoE1EjNS0_10empty_typeEbEEZZNS1_14partition_implILS5_1ELb0ES3_jN6thrust23THRUST_200600_302600_NS6detail15normal_iteratorINSA_10device_ptrIjEEEEPS6_NSA_18transform_iteratorI7is_evenIjESF_NSA_11use_defaultESK_EENS0_5tupleIJNSA_16discard_iteratorISK_EESF_EEENSM_IJSG_SG_EEES6_PlJS6_EEE10hipError_tPvRmT3_T4_T5_T6_T7_T9_mT8_P12ihipStream_tbDpT10_ENKUlT_T0_E_clISt17integral_constantIbLb0EES1B_EEDaS16_S17_EUlS16_E_NS1_11comp_targetILNS1_3genE4ELNS1_11target_archE910ELNS1_3gpuE8ELNS1_3repE0EEENS1_30default_config_static_selectorELNS0_4arch9wavefront6targetE1EEEvT1_
                                        ; -- End function
	.section	.AMDGPU.csdata,"",@progbits
; Kernel info:
; codeLenInByte = 0
; NumSgprs: 6
; NumVgprs: 0
; NumAgprs: 0
; TotalNumVgprs: 0
; ScratchSize: 0
; MemoryBound: 0
; FloatMode: 240
; IeeeMode: 1
; LDSByteSize: 0 bytes/workgroup (compile time only)
; SGPRBlocks: 0
; VGPRBlocks: 0
; NumSGPRsForWavesPerEU: 6
; NumVGPRsForWavesPerEU: 1
; AccumOffset: 4
; Occupancy: 8
; WaveLimiterHint : 0
; COMPUTE_PGM_RSRC2:SCRATCH_EN: 0
; COMPUTE_PGM_RSRC2:USER_SGPR: 2
; COMPUTE_PGM_RSRC2:TRAP_HANDLER: 0
; COMPUTE_PGM_RSRC2:TGID_X_EN: 1
; COMPUTE_PGM_RSRC2:TGID_Y_EN: 0
; COMPUTE_PGM_RSRC2:TGID_Z_EN: 0
; COMPUTE_PGM_RSRC2:TIDIG_COMP_CNT: 0
; COMPUTE_PGM_RSRC3_GFX90A:ACCUM_OFFSET: 0
; COMPUTE_PGM_RSRC3_GFX90A:TG_SPLIT: 0
	.section	.text._ZN7rocprim17ROCPRIM_400000_NS6detail17trampoline_kernelINS0_14default_configENS1_25partition_config_selectorILNS1_17partition_subalgoE1EjNS0_10empty_typeEbEEZZNS1_14partition_implILS5_1ELb0ES3_jN6thrust23THRUST_200600_302600_NS6detail15normal_iteratorINSA_10device_ptrIjEEEEPS6_NSA_18transform_iteratorI7is_evenIjESF_NSA_11use_defaultESK_EENS0_5tupleIJNSA_16discard_iteratorISK_EESF_EEENSM_IJSG_SG_EEES6_PlJS6_EEE10hipError_tPvRmT3_T4_T5_T6_T7_T9_mT8_P12ihipStream_tbDpT10_ENKUlT_T0_E_clISt17integral_constantIbLb0EES1B_EEDaS16_S17_EUlS16_E_NS1_11comp_targetILNS1_3genE3ELNS1_11target_archE908ELNS1_3gpuE7ELNS1_3repE0EEENS1_30default_config_static_selectorELNS0_4arch9wavefront6targetE1EEEvT1_,"axG",@progbits,_ZN7rocprim17ROCPRIM_400000_NS6detail17trampoline_kernelINS0_14default_configENS1_25partition_config_selectorILNS1_17partition_subalgoE1EjNS0_10empty_typeEbEEZZNS1_14partition_implILS5_1ELb0ES3_jN6thrust23THRUST_200600_302600_NS6detail15normal_iteratorINSA_10device_ptrIjEEEEPS6_NSA_18transform_iteratorI7is_evenIjESF_NSA_11use_defaultESK_EENS0_5tupleIJNSA_16discard_iteratorISK_EESF_EEENSM_IJSG_SG_EEES6_PlJS6_EEE10hipError_tPvRmT3_T4_T5_T6_T7_T9_mT8_P12ihipStream_tbDpT10_ENKUlT_T0_E_clISt17integral_constantIbLb0EES1B_EEDaS16_S17_EUlS16_E_NS1_11comp_targetILNS1_3genE3ELNS1_11target_archE908ELNS1_3gpuE7ELNS1_3repE0EEENS1_30default_config_static_selectorELNS0_4arch9wavefront6targetE1EEEvT1_,comdat
	.protected	_ZN7rocprim17ROCPRIM_400000_NS6detail17trampoline_kernelINS0_14default_configENS1_25partition_config_selectorILNS1_17partition_subalgoE1EjNS0_10empty_typeEbEEZZNS1_14partition_implILS5_1ELb0ES3_jN6thrust23THRUST_200600_302600_NS6detail15normal_iteratorINSA_10device_ptrIjEEEEPS6_NSA_18transform_iteratorI7is_evenIjESF_NSA_11use_defaultESK_EENS0_5tupleIJNSA_16discard_iteratorISK_EESF_EEENSM_IJSG_SG_EEES6_PlJS6_EEE10hipError_tPvRmT3_T4_T5_T6_T7_T9_mT8_P12ihipStream_tbDpT10_ENKUlT_T0_E_clISt17integral_constantIbLb0EES1B_EEDaS16_S17_EUlS16_E_NS1_11comp_targetILNS1_3genE3ELNS1_11target_archE908ELNS1_3gpuE7ELNS1_3repE0EEENS1_30default_config_static_selectorELNS0_4arch9wavefront6targetE1EEEvT1_ ; -- Begin function _ZN7rocprim17ROCPRIM_400000_NS6detail17trampoline_kernelINS0_14default_configENS1_25partition_config_selectorILNS1_17partition_subalgoE1EjNS0_10empty_typeEbEEZZNS1_14partition_implILS5_1ELb0ES3_jN6thrust23THRUST_200600_302600_NS6detail15normal_iteratorINSA_10device_ptrIjEEEEPS6_NSA_18transform_iteratorI7is_evenIjESF_NSA_11use_defaultESK_EENS0_5tupleIJNSA_16discard_iteratorISK_EESF_EEENSM_IJSG_SG_EEES6_PlJS6_EEE10hipError_tPvRmT3_T4_T5_T6_T7_T9_mT8_P12ihipStream_tbDpT10_ENKUlT_T0_E_clISt17integral_constantIbLb0EES1B_EEDaS16_S17_EUlS16_E_NS1_11comp_targetILNS1_3genE3ELNS1_11target_archE908ELNS1_3gpuE7ELNS1_3repE0EEENS1_30default_config_static_selectorELNS0_4arch9wavefront6targetE1EEEvT1_
	.globl	_ZN7rocprim17ROCPRIM_400000_NS6detail17trampoline_kernelINS0_14default_configENS1_25partition_config_selectorILNS1_17partition_subalgoE1EjNS0_10empty_typeEbEEZZNS1_14partition_implILS5_1ELb0ES3_jN6thrust23THRUST_200600_302600_NS6detail15normal_iteratorINSA_10device_ptrIjEEEEPS6_NSA_18transform_iteratorI7is_evenIjESF_NSA_11use_defaultESK_EENS0_5tupleIJNSA_16discard_iteratorISK_EESF_EEENSM_IJSG_SG_EEES6_PlJS6_EEE10hipError_tPvRmT3_T4_T5_T6_T7_T9_mT8_P12ihipStream_tbDpT10_ENKUlT_T0_E_clISt17integral_constantIbLb0EES1B_EEDaS16_S17_EUlS16_E_NS1_11comp_targetILNS1_3genE3ELNS1_11target_archE908ELNS1_3gpuE7ELNS1_3repE0EEENS1_30default_config_static_selectorELNS0_4arch9wavefront6targetE1EEEvT1_
	.p2align	8
	.type	_ZN7rocprim17ROCPRIM_400000_NS6detail17trampoline_kernelINS0_14default_configENS1_25partition_config_selectorILNS1_17partition_subalgoE1EjNS0_10empty_typeEbEEZZNS1_14partition_implILS5_1ELb0ES3_jN6thrust23THRUST_200600_302600_NS6detail15normal_iteratorINSA_10device_ptrIjEEEEPS6_NSA_18transform_iteratorI7is_evenIjESF_NSA_11use_defaultESK_EENS0_5tupleIJNSA_16discard_iteratorISK_EESF_EEENSM_IJSG_SG_EEES6_PlJS6_EEE10hipError_tPvRmT3_T4_T5_T6_T7_T9_mT8_P12ihipStream_tbDpT10_ENKUlT_T0_E_clISt17integral_constantIbLb0EES1B_EEDaS16_S17_EUlS16_E_NS1_11comp_targetILNS1_3genE3ELNS1_11target_archE908ELNS1_3gpuE7ELNS1_3repE0EEENS1_30default_config_static_selectorELNS0_4arch9wavefront6targetE1EEEvT1_,@function
_ZN7rocprim17ROCPRIM_400000_NS6detail17trampoline_kernelINS0_14default_configENS1_25partition_config_selectorILNS1_17partition_subalgoE1EjNS0_10empty_typeEbEEZZNS1_14partition_implILS5_1ELb0ES3_jN6thrust23THRUST_200600_302600_NS6detail15normal_iteratorINSA_10device_ptrIjEEEEPS6_NSA_18transform_iteratorI7is_evenIjESF_NSA_11use_defaultESK_EENS0_5tupleIJNSA_16discard_iteratorISK_EESF_EEENSM_IJSG_SG_EEES6_PlJS6_EEE10hipError_tPvRmT3_T4_T5_T6_T7_T9_mT8_P12ihipStream_tbDpT10_ENKUlT_T0_E_clISt17integral_constantIbLb0EES1B_EEDaS16_S17_EUlS16_E_NS1_11comp_targetILNS1_3genE3ELNS1_11target_archE908ELNS1_3gpuE7ELNS1_3repE0EEENS1_30default_config_static_selectorELNS0_4arch9wavefront6targetE1EEEvT1_: ; @_ZN7rocprim17ROCPRIM_400000_NS6detail17trampoline_kernelINS0_14default_configENS1_25partition_config_selectorILNS1_17partition_subalgoE1EjNS0_10empty_typeEbEEZZNS1_14partition_implILS5_1ELb0ES3_jN6thrust23THRUST_200600_302600_NS6detail15normal_iteratorINSA_10device_ptrIjEEEEPS6_NSA_18transform_iteratorI7is_evenIjESF_NSA_11use_defaultESK_EENS0_5tupleIJNSA_16discard_iteratorISK_EESF_EEENSM_IJSG_SG_EEES6_PlJS6_EEE10hipError_tPvRmT3_T4_T5_T6_T7_T9_mT8_P12ihipStream_tbDpT10_ENKUlT_T0_E_clISt17integral_constantIbLb0EES1B_EEDaS16_S17_EUlS16_E_NS1_11comp_targetILNS1_3genE3ELNS1_11target_archE908ELNS1_3gpuE7ELNS1_3repE0EEENS1_30default_config_static_selectorELNS0_4arch9wavefront6targetE1EEEvT1_
; %bb.0:
	.section	.rodata,"a",@progbits
	.p2align	6, 0x0
	.amdhsa_kernel _ZN7rocprim17ROCPRIM_400000_NS6detail17trampoline_kernelINS0_14default_configENS1_25partition_config_selectorILNS1_17partition_subalgoE1EjNS0_10empty_typeEbEEZZNS1_14partition_implILS5_1ELb0ES3_jN6thrust23THRUST_200600_302600_NS6detail15normal_iteratorINSA_10device_ptrIjEEEEPS6_NSA_18transform_iteratorI7is_evenIjESF_NSA_11use_defaultESK_EENS0_5tupleIJNSA_16discard_iteratorISK_EESF_EEENSM_IJSG_SG_EEES6_PlJS6_EEE10hipError_tPvRmT3_T4_T5_T6_T7_T9_mT8_P12ihipStream_tbDpT10_ENKUlT_T0_E_clISt17integral_constantIbLb0EES1B_EEDaS16_S17_EUlS16_E_NS1_11comp_targetILNS1_3genE3ELNS1_11target_archE908ELNS1_3gpuE7ELNS1_3repE0EEENS1_30default_config_static_selectorELNS0_4arch9wavefront6targetE1EEEvT1_
		.amdhsa_group_segment_fixed_size 0
		.amdhsa_private_segment_fixed_size 0
		.amdhsa_kernarg_size 136
		.amdhsa_user_sgpr_count 2
		.amdhsa_user_sgpr_dispatch_ptr 0
		.amdhsa_user_sgpr_queue_ptr 0
		.amdhsa_user_sgpr_kernarg_segment_ptr 1
		.amdhsa_user_sgpr_dispatch_id 0
		.amdhsa_user_sgpr_kernarg_preload_length 0
		.amdhsa_user_sgpr_kernarg_preload_offset 0
		.amdhsa_user_sgpr_private_segment_size 0
		.amdhsa_uses_dynamic_stack 0
		.amdhsa_enable_private_segment 0
		.amdhsa_system_sgpr_workgroup_id_x 1
		.amdhsa_system_sgpr_workgroup_id_y 0
		.amdhsa_system_sgpr_workgroup_id_z 0
		.amdhsa_system_sgpr_workgroup_info 0
		.amdhsa_system_vgpr_workitem_id 0
		.amdhsa_next_free_vgpr 1
		.amdhsa_next_free_sgpr 0
		.amdhsa_accum_offset 4
		.amdhsa_reserve_vcc 0
		.amdhsa_float_round_mode_32 0
		.amdhsa_float_round_mode_16_64 0
		.amdhsa_float_denorm_mode_32 3
		.amdhsa_float_denorm_mode_16_64 3
		.amdhsa_dx10_clamp 1
		.amdhsa_ieee_mode 1
		.amdhsa_fp16_overflow 0
		.amdhsa_tg_split 0
		.amdhsa_exception_fp_ieee_invalid_op 0
		.amdhsa_exception_fp_denorm_src 0
		.amdhsa_exception_fp_ieee_div_zero 0
		.amdhsa_exception_fp_ieee_overflow 0
		.amdhsa_exception_fp_ieee_underflow 0
		.amdhsa_exception_fp_ieee_inexact 0
		.amdhsa_exception_int_div_zero 0
	.end_amdhsa_kernel
	.section	.text._ZN7rocprim17ROCPRIM_400000_NS6detail17trampoline_kernelINS0_14default_configENS1_25partition_config_selectorILNS1_17partition_subalgoE1EjNS0_10empty_typeEbEEZZNS1_14partition_implILS5_1ELb0ES3_jN6thrust23THRUST_200600_302600_NS6detail15normal_iteratorINSA_10device_ptrIjEEEEPS6_NSA_18transform_iteratorI7is_evenIjESF_NSA_11use_defaultESK_EENS0_5tupleIJNSA_16discard_iteratorISK_EESF_EEENSM_IJSG_SG_EEES6_PlJS6_EEE10hipError_tPvRmT3_T4_T5_T6_T7_T9_mT8_P12ihipStream_tbDpT10_ENKUlT_T0_E_clISt17integral_constantIbLb0EES1B_EEDaS16_S17_EUlS16_E_NS1_11comp_targetILNS1_3genE3ELNS1_11target_archE908ELNS1_3gpuE7ELNS1_3repE0EEENS1_30default_config_static_selectorELNS0_4arch9wavefront6targetE1EEEvT1_,"axG",@progbits,_ZN7rocprim17ROCPRIM_400000_NS6detail17trampoline_kernelINS0_14default_configENS1_25partition_config_selectorILNS1_17partition_subalgoE1EjNS0_10empty_typeEbEEZZNS1_14partition_implILS5_1ELb0ES3_jN6thrust23THRUST_200600_302600_NS6detail15normal_iteratorINSA_10device_ptrIjEEEEPS6_NSA_18transform_iteratorI7is_evenIjESF_NSA_11use_defaultESK_EENS0_5tupleIJNSA_16discard_iteratorISK_EESF_EEENSM_IJSG_SG_EEES6_PlJS6_EEE10hipError_tPvRmT3_T4_T5_T6_T7_T9_mT8_P12ihipStream_tbDpT10_ENKUlT_T0_E_clISt17integral_constantIbLb0EES1B_EEDaS16_S17_EUlS16_E_NS1_11comp_targetILNS1_3genE3ELNS1_11target_archE908ELNS1_3gpuE7ELNS1_3repE0EEENS1_30default_config_static_selectorELNS0_4arch9wavefront6targetE1EEEvT1_,comdat
.Lfunc_end3038:
	.size	_ZN7rocprim17ROCPRIM_400000_NS6detail17trampoline_kernelINS0_14default_configENS1_25partition_config_selectorILNS1_17partition_subalgoE1EjNS0_10empty_typeEbEEZZNS1_14partition_implILS5_1ELb0ES3_jN6thrust23THRUST_200600_302600_NS6detail15normal_iteratorINSA_10device_ptrIjEEEEPS6_NSA_18transform_iteratorI7is_evenIjESF_NSA_11use_defaultESK_EENS0_5tupleIJNSA_16discard_iteratorISK_EESF_EEENSM_IJSG_SG_EEES6_PlJS6_EEE10hipError_tPvRmT3_T4_T5_T6_T7_T9_mT8_P12ihipStream_tbDpT10_ENKUlT_T0_E_clISt17integral_constantIbLb0EES1B_EEDaS16_S17_EUlS16_E_NS1_11comp_targetILNS1_3genE3ELNS1_11target_archE908ELNS1_3gpuE7ELNS1_3repE0EEENS1_30default_config_static_selectorELNS0_4arch9wavefront6targetE1EEEvT1_, .Lfunc_end3038-_ZN7rocprim17ROCPRIM_400000_NS6detail17trampoline_kernelINS0_14default_configENS1_25partition_config_selectorILNS1_17partition_subalgoE1EjNS0_10empty_typeEbEEZZNS1_14partition_implILS5_1ELb0ES3_jN6thrust23THRUST_200600_302600_NS6detail15normal_iteratorINSA_10device_ptrIjEEEEPS6_NSA_18transform_iteratorI7is_evenIjESF_NSA_11use_defaultESK_EENS0_5tupleIJNSA_16discard_iteratorISK_EESF_EEENSM_IJSG_SG_EEES6_PlJS6_EEE10hipError_tPvRmT3_T4_T5_T6_T7_T9_mT8_P12ihipStream_tbDpT10_ENKUlT_T0_E_clISt17integral_constantIbLb0EES1B_EEDaS16_S17_EUlS16_E_NS1_11comp_targetILNS1_3genE3ELNS1_11target_archE908ELNS1_3gpuE7ELNS1_3repE0EEENS1_30default_config_static_selectorELNS0_4arch9wavefront6targetE1EEEvT1_
                                        ; -- End function
	.section	.AMDGPU.csdata,"",@progbits
; Kernel info:
; codeLenInByte = 0
; NumSgprs: 6
; NumVgprs: 0
; NumAgprs: 0
; TotalNumVgprs: 0
; ScratchSize: 0
; MemoryBound: 0
; FloatMode: 240
; IeeeMode: 1
; LDSByteSize: 0 bytes/workgroup (compile time only)
; SGPRBlocks: 0
; VGPRBlocks: 0
; NumSGPRsForWavesPerEU: 6
; NumVGPRsForWavesPerEU: 1
; AccumOffset: 4
; Occupancy: 8
; WaveLimiterHint : 0
; COMPUTE_PGM_RSRC2:SCRATCH_EN: 0
; COMPUTE_PGM_RSRC2:USER_SGPR: 2
; COMPUTE_PGM_RSRC2:TRAP_HANDLER: 0
; COMPUTE_PGM_RSRC2:TGID_X_EN: 1
; COMPUTE_PGM_RSRC2:TGID_Y_EN: 0
; COMPUTE_PGM_RSRC2:TGID_Z_EN: 0
; COMPUTE_PGM_RSRC2:TIDIG_COMP_CNT: 0
; COMPUTE_PGM_RSRC3_GFX90A:ACCUM_OFFSET: 0
; COMPUTE_PGM_RSRC3_GFX90A:TG_SPLIT: 0
	.section	.text._ZN7rocprim17ROCPRIM_400000_NS6detail17trampoline_kernelINS0_14default_configENS1_25partition_config_selectorILNS1_17partition_subalgoE1EjNS0_10empty_typeEbEEZZNS1_14partition_implILS5_1ELb0ES3_jN6thrust23THRUST_200600_302600_NS6detail15normal_iteratorINSA_10device_ptrIjEEEEPS6_NSA_18transform_iteratorI7is_evenIjESF_NSA_11use_defaultESK_EENS0_5tupleIJNSA_16discard_iteratorISK_EESF_EEENSM_IJSG_SG_EEES6_PlJS6_EEE10hipError_tPvRmT3_T4_T5_T6_T7_T9_mT8_P12ihipStream_tbDpT10_ENKUlT_T0_E_clISt17integral_constantIbLb0EES1B_EEDaS16_S17_EUlS16_E_NS1_11comp_targetILNS1_3genE2ELNS1_11target_archE906ELNS1_3gpuE6ELNS1_3repE0EEENS1_30default_config_static_selectorELNS0_4arch9wavefront6targetE1EEEvT1_,"axG",@progbits,_ZN7rocprim17ROCPRIM_400000_NS6detail17trampoline_kernelINS0_14default_configENS1_25partition_config_selectorILNS1_17partition_subalgoE1EjNS0_10empty_typeEbEEZZNS1_14partition_implILS5_1ELb0ES3_jN6thrust23THRUST_200600_302600_NS6detail15normal_iteratorINSA_10device_ptrIjEEEEPS6_NSA_18transform_iteratorI7is_evenIjESF_NSA_11use_defaultESK_EENS0_5tupleIJNSA_16discard_iteratorISK_EESF_EEENSM_IJSG_SG_EEES6_PlJS6_EEE10hipError_tPvRmT3_T4_T5_T6_T7_T9_mT8_P12ihipStream_tbDpT10_ENKUlT_T0_E_clISt17integral_constantIbLb0EES1B_EEDaS16_S17_EUlS16_E_NS1_11comp_targetILNS1_3genE2ELNS1_11target_archE906ELNS1_3gpuE6ELNS1_3repE0EEENS1_30default_config_static_selectorELNS0_4arch9wavefront6targetE1EEEvT1_,comdat
	.protected	_ZN7rocprim17ROCPRIM_400000_NS6detail17trampoline_kernelINS0_14default_configENS1_25partition_config_selectorILNS1_17partition_subalgoE1EjNS0_10empty_typeEbEEZZNS1_14partition_implILS5_1ELb0ES3_jN6thrust23THRUST_200600_302600_NS6detail15normal_iteratorINSA_10device_ptrIjEEEEPS6_NSA_18transform_iteratorI7is_evenIjESF_NSA_11use_defaultESK_EENS0_5tupleIJNSA_16discard_iteratorISK_EESF_EEENSM_IJSG_SG_EEES6_PlJS6_EEE10hipError_tPvRmT3_T4_T5_T6_T7_T9_mT8_P12ihipStream_tbDpT10_ENKUlT_T0_E_clISt17integral_constantIbLb0EES1B_EEDaS16_S17_EUlS16_E_NS1_11comp_targetILNS1_3genE2ELNS1_11target_archE906ELNS1_3gpuE6ELNS1_3repE0EEENS1_30default_config_static_selectorELNS0_4arch9wavefront6targetE1EEEvT1_ ; -- Begin function _ZN7rocprim17ROCPRIM_400000_NS6detail17trampoline_kernelINS0_14default_configENS1_25partition_config_selectorILNS1_17partition_subalgoE1EjNS0_10empty_typeEbEEZZNS1_14partition_implILS5_1ELb0ES3_jN6thrust23THRUST_200600_302600_NS6detail15normal_iteratorINSA_10device_ptrIjEEEEPS6_NSA_18transform_iteratorI7is_evenIjESF_NSA_11use_defaultESK_EENS0_5tupleIJNSA_16discard_iteratorISK_EESF_EEENSM_IJSG_SG_EEES6_PlJS6_EEE10hipError_tPvRmT3_T4_T5_T6_T7_T9_mT8_P12ihipStream_tbDpT10_ENKUlT_T0_E_clISt17integral_constantIbLb0EES1B_EEDaS16_S17_EUlS16_E_NS1_11comp_targetILNS1_3genE2ELNS1_11target_archE906ELNS1_3gpuE6ELNS1_3repE0EEENS1_30default_config_static_selectorELNS0_4arch9wavefront6targetE1EEEvT1_
	.globl	_ZN7rocprim17ROCPRIM_400000_NS6detail17trampoline_kernelINS0_14default_configENS1_25partition_config_selectorILNS1_17partition_subalgoE1EjNS0_10empty_typeEbEEZZNS1_14partition_implILS5_1ELb0ES3_jN6thrust23THRUST_200600_302600_NS6detail15normal_iteratorINSA_10device_ptrIjEEEEPS6_NSA_18transform_iteratorI7is_evenIjESF_NSA_11use_defaultESK_EENS0_5tupleIJNSA_16discard_iteratorISK_EESF_EEENSM_IJSG_SG_EEES6_PlJS6_EEE10hipError_tPvRmT3_T4_T5_T6_T7_T9_mT8_P12ihipStream_tbDpT10_ENKUlT_T0_E_clISt17integral_constantIbLb0EES1B_EEDaS16_S17_EUlS16_E_NS1_11comp_targetILNS1_3genE2ELNS1_11target_archE906ELNS1_3gpuE6ELNS1_3repE0EEENS1_30default_config_static_selectorELNS0_4arch9wavefront6targetE1EEEvT1_
	.p2align	8
	.type	_ZN7rocprim17ROCPRIM_400000_NS6detail17trampoline_kernelINS0_14default_configENS1_25partition_config_selectorILNS1_17partition_subalgoE1EjNS0_10empty_typeEbEEZZNS1_14partition_implILS5_1ELb0ES3_jN6thrust23THRUST_200600_302600_NS6detail15normal_iteratorINSA_10device_ptrIjEEEEPS6_NSA_18transform_iteratorI7is_evenIjESF_NSA_11use_defaultESK_EENS0_5tupleIJNSA_16discard_iteratorISK_EESF_EEENSM_IJSG_SG_EEES6_PlJS6_EEE10hipError_tPvRmT3_T4_T5_T6_T7_T9_mT8_P12ihipStream_tbDpT10_ENKUlT_T0_E_clISt17integral_constantIbLb0EES1B_EEDaS16_S17_EUlS16_E_NS1_11comp_targetILNS1_3genE2ELNS1_11target_archE906ELNS1_3gpuE6ELNS1_3repE0EEENS1_30default_config_static_selectorELNS0_4arch9wavefront6targetE1EEEvT1_,@function
_ZN7rocprim17ROCPRIM_400000_NS6detail17trampoline_kernelINS0_14default_configENS1_25partition_config_selectorILNS1_17partition_subalgoE1EjNS0_10empty_typeEbEEZZNS1_14partition_implILS5_1ELb0ES3_jN6thrust23THRUST_200600_302600_NS6detail15normal_iteratorINSA_10device_ptrIjEEEEPS6_NSA_18transform_iteratorI7is_evenIjESF_NSA_11use_defaultESK_EENS0_5tupleIJNSA_16discard_iteratorISK_EESF_EEENSM_IJSG_SG_EEES6_PlJS6_EEE10hipError_tPvRmT3_T4_T5_T6_T7_T9_mT8_P12ihipStream_tbDpT10_ENKUlT_T0_E_clISt17integral_constantIbLb0EES1B_EEDaS16_S17_EUlS16_E_NS1_11comp_targetILNS1_3genE2ELNS1_11target_archE906ELNS1_3gpuE6ELNS1_3repE0EEENS1_30default_config_static_selectorELNS0_4arch9wavefront6targetE1EEEvT1_: ; @_ZN7rocprim17ROCPRIM_400000_NS6detail17trampoline_kernelINS0_14default_configENS1_25partition_config_selectorILNS1_17partition_subalgoE1EjNS0_10empty_typeEbEEZZNS1_14partition_implILS5_1ELb0ES3_jN6thrust23THRUST_200600_302600_NS6detail15normal_iteratorINSA_10device_ptrIjEEEEPS6_NSA_18transform_iteratorI7is_evenIjESF_NSA_11use_defaultESK_EENS0_5tupleIJNSA_16discard_iteratorISK_EESF_EEENSM_IJSG_SG_EEES6_PlJS6_EEE10hipError_tPvRmT3_T4_T5_T6_T7_T9_mT8_P12ihipStream_tbDpT10_ENKUlT_T0_E_clISt17integral_constantIbLb0EES1B_EEDaS16_S17_EUlS16_E_NS1_11comp_targetILNS1_3genE2ELNS1_11target_archE906ELNS1_3gpuE6ELNS1_3repE0EEENS1_30default_config_static_selectorELNS0_4arch9wavefront6targetE1EEEvT1_
; %bb.0:
	.section	.rodata,"a",@progbits
	.p2align	6, 0x0
	.amdhsa_kernel _ZN7rocprim17ROCPRIM_400000_NS6detail17trampoline_kernelINS0_14default_configENS1_25partition_config_selectorILNS1_17partition_subalgoE1EjNS0_10empty_typeEbEEZZNS1_14partition_implILS5_1ELb0ES3_jN6thrust23THRUST_200600_302600_NS6detail15normal_iteratorINSA_10device_ptrIjEEEEPS6_NSA_18transform_iteratorI7is_evenIjESF_NSA_11use_defaultESK_EENS0_5tupleIJNSA_16discard_iteratorISK_EESF_EEENSM_IJSG_SG_EEES6_PlJS6_EEE10hipError_tPvRmT3_T4_T5_T6_T7_T9_mT8_P12ihipStream_tbDpT10_ENKUlT_T0_E_clISt17integral_constantIbLb0EES1B_EEDaS16_S17_EUlS16_E_NS1_11comp_targetILNS1_3genE2ELNS1_11target_archE906ELNS1_3gpuE6ELNS1_3repE0EEENS1_30default_config_static_selectorELNS0_4arch9wavefront6targetE1EEEvT1_
		.amdhsa_group_segment_fixed_size 0
		.amdhsa_private_segment_fixed_size 0
		.amdhsa_kernarg_size 136
		.amdhsa_user_sgpr_count 2
		.amdhsa_user_sgpr_dispatch_ptr 0
		.amdhsa_user_sgpr_queue_ptr 0
		.amdhsa_user_sgpr_kernarg_segment_ptr 1
		.amdhsa_user_sgpr_dispatch_id 0
		.amdhsa_user_sgpr_kernarg_preload_length 0
		.amdhsa_user_sgpr_kernarg_preload_offset 0
		.amdhsa_user_sgpr_private_segment_size 0
		.amdhsa_uses_dynamic_stack 0
		.amdhsa_enable_private_segment 0
		.amdhsa_system_sgpr_workgroup_id_x 1
		.amdhsa_system_sgpr_workgroup_id_y 0
		.amdhsa_system_sgpr_workgroup_id_z 0
		.amdhsa_system_sgpr_workgroup_info 0
		.amdhsa_system_vgpr_workitem_id 0
		.amdhsa_next_free_vgpr 1
		.amdhsa_next_free_sgpr 0
		.amdhsa_accum_offset 4
		.amdhsa_reserve_vcc 0
		.amdhsa_float_round_mode_32 0
		.amdhsa_float_round_mode_16_64 0
		.amdhsa_float_denorm_mode_32 3
		.amdhsa_float_denorm_mode_16_64 3
		.amdhsa_dx10_clamp 1
		.amdhsa_ieee_mode 1
		.amdhsa_fp16_overflow 0
		.amdhsa_tg_split 0
		.amdhsa_exception_fp_ieee_invalid_op 0
		.amdhsa_exception_fp_denorm_src 0
		.amdhsa_exception_fp_ieee_div_zero 0
		.amdhsa_exception_fp_ieee_overflow 0
		.amdhsa_exception_fp_ieee_underflow 0
		.amdhsa_exception_fp_ieee_inexact 0
		.amdhsa_exception_int_div_zero 0
	.end_amdhsa_kernel
	.section	.text._ZN7rocprim17ROCPRIM_400000_NS6detail17trampoline_kernelINS0_14default_configENS1_25partition_config_selectorILNS1_17partition_subalgoE1EjNS0_10empty_typeEbEEZZNS1_14partition_implILS5_1ELb0ES3_jN6thrust23THRUST_200600_302600_NS6detail15normal_iteratorINSA_10device_ptrIjEEEEPS6_NSA_18transform_iteratorI7is_evenIjESF_NSA_11use_defaultESK_EENS0_5tupleIJNSA_16discard_iteratorISK_EESF_EEENSM_IJSG_SG_EEES6_PlJS6_EEE10hipError_tPvRmT3_T4_T5_T6_T7_T9_mT8_P12ihipStream_tbDpT10_ENKUlT_T0_E_clISt17integral_constantIbLb0EES1B_EEDaS16_S17_EUlS16_E_NS1_11comp_targetILNS1_3genE2ELNS1_11target_archE906ELNS1_3gpuE6ELNS1_3repE0EEENS1_30default_config_static_selectorELNS0_4arch9wavefront6targetE1EEEvT1_,"axG",@progbits,_ZN7rocprim17ROCPRIM_400000_NS6detail17trampoline_kernelINS0_14default_configENS1_25partition_config_selectorILNS1_17partition_subalgoE1EjNS0_10empty_typeEbEEZZNS1_14partition_implILS5_1ELb0ES3_jN6thrust23THRUST_200600_302600_NS6detail15normal_iteratorINSA_10device_ptrIjEEEEPS6_NSA_18transform_iteratorI7is_evenIjESF_NSA_11use_defaultESK_EENS0_5tupleIJNSA_16discard_iteratorISK_EESF_EEENSM_IJSG_SG_EEES6_PlJS6_EEE10hipError_tPvRmT3_T4_T5_T6_T7_T9_mT8_P12ihipStream_tbDpT10_ENKUlT_T0_E_clISt17integral_constantIbLb0EES1B_EEDaS16_S17_EUlS16_E_NS1_11comp_targetILNS1_3genE2ELNS1_11target_archE906ELNS1_3gpuE6ELNS1_3repE0EEENS1_30default_config_static_selectorELNS0_4arch9wavefront6targetE1EEEvT1_,comdat
.Lfunc_end3039:
	.size	_ZN7rocprim17ROCPRIM_400000_NS6detail17trampoline_kernelINS0_14default_configENS1_25partition_config_selectorILNS1_17partition_subalgoE1EjNS0_10empty_typeEbEEZZNS1_14partition_implILS5_1ELb0ES3_jN6thrust23THRUST_200600_302600_NS6detail15normal_iteratorINSA_10device_ptrIjEEEEPS6_NSA_18transform_iteratorI7is_evenIjESF_NSA_11use_defaultESK_EENS0_5tupleIJNSA_16discard_iteratorISK_EESF_EEENSM_IJSG_SG_EEES6_PlJS6_EEE10hipError_tPvRmT3_T4_T5_T6_T7_T9_mT8_P12ihipStream_tbDpT10_ENKUlT_T0_E_clISt17integral_constantIbLb0EES1B_EEDaS16_S17_EUlS16_E_NS1_11comp_targetILNS1_3genE2ELNS1_11target_archE906ELNS1_3gpuE6ELNS1_3repE0EEENS1_30default_config_static_selectorELNS0_4arch9wavefront6targetE1EEEvT1_, .Lfunc_end3039-_ZN7rocprim17ROCPRIM_400000_NS6detail17trampoline_kernelINS0_14default_configENS1_25partition_config_selectorILNS1_17partition_subalgoE1EjNS0_10empty_typeEbEEZZNS1_14partition_implILS5_1ELb0ES3_jN6thrust23THRUST_200600_302600_NS6detail15normal_iteratorINSA_10device_ptrIjEEEEPS6_NSA_18transform_iteratorI7is_evenIjESF_NSA_11use_defaultESK_EENS0_5tupleIJNSA_16discard_iteratorISK_EESF_EEENSM_IJSG_SG_EEES6_PlJS6_EEE10hipError_tPvRmT3_T4_T5_T6_T7_T9_mT8_P12ihipStream_tbDpT10_ENKUlT_T0_E_clISt17integral_constantIbLb0EES1B_EEDaS16_S17_EUlS16_E_NS1_11comp_targetILNS1_3genE2ELNS1_11target_archE906ELNS1_3gpuE6ELNS1_3repE0EEENS1_30default_config_static_selectorELNS0_4arch9wavefront6targetE1EEEvT1_
                                        ; -- End function
	.section	.AMDGPU.csdata,"",@progbits
; Kernel info:
; codeLenInByte = 0
; NumSgprs: 6
; NumVgprs: 0
; NumAgprs: 0
; TotalNumVgprs: 0
; ScratchSize: 0
; MemoryBound: 0
; FloatMode: 240
; IeeeMode: 1
; LDSByteSize: 0 bytes/workgroup (compile time only)
; SGPRBlocks: 0
; VGPRBlocks: 0
; NumSGPRsForWavesPerEU: 6
; NumVGPRsForWavesPerEU: 1
; AccumOffset: 4
; Occupancy: 8
; WaveLimiterHint : 0
; COMPUTE_PGM_RSRC2:SCRATCH_EN: 0
; COMPUTE_PGM_RSRC2:USER_SGPR: 2
; COMPUTE_PGM_RSRC2:TRAP_HANDLER: 0
; COMPUTE_PGM_RSRC2:TGID_X_EN: 1
; COMPUTE_PGM_RSRC2:TGID_Y_EN: 0
; COMPUTE_PGM_RSRC2:TGID_Z_EN: 0
; COMPUTE_PGM_RSRC2:TIDIG_COMP_CNT: 0
; COMPUTE_PGM_RSRC3_GFX90A:ACCUM_OFFSET: 0
; COMPUTE_PGM_RSRC3_GFX90A:TG_SPLIT: 0
	.section	.text._ZN7rocprim17ROCPRIM_400000_NS6detail17trampoline_kernelINS0_14default_configENS1_25partition_config_selectorILNS1_17partition_subalgoE1EjNS0_10empty_typeEbEEZZNS1_14partition_implILS5_1ELb0ES3_jN6thrust23THRUST_200600_302600_NS6detail15normal_iteratorINSA_10device_ptrIjEEEEPS6_NSA_18transform_iteratorI7is_evenIjESF_NSA_11use_defaultESK_EENS0_5tupleIJNSA_16discard_iteratorISK_EESF_EEENSM_IJSG_SG_EEES6_PlJS6_EEE10hipError_tPvRmT3_T4_T5_T6_T7_T9_mT8_P12ihipStream_tbDpT10_ENKUlT_T0_E_clISt17integral_constantIbLb0EES1B_EEDaS16_S17_EUlS16_E_NS1_11comp_targetILNS1_3genE10ELNS1_11target_archE1200ELNS1_3gpuE4ELNS1_3repE0EEENS1_30default_config_static_selectorELNS0_4arch9wavefront6targetE1EEEvT1_,"axG",@progbits,_ZN7rocprim17ROCPRIM_400000_NS6detail17trampoline_kernelINS0_14default_configENS1_25partition_config_selectorILNS1_17partition_subalgoE1EjNS0_10empty_typeEbEEZZNS1_14partition_implILS5_1ELb0ES3_jN6thrust23THRUST_200600_302600_NS6detail15normal_iteratorINSA_10device_ptrIjEEEEPS6_NSA_18transform_iteratorI7is_evenIjESF_NSA_11use_defaultESK_EENS0_5tupleIJNSA_16discard_iteratorISK_EESF_EEENSM_IJSG_SG_EEES6_PlJS6_EEE10hipError_tPvRmT3_T4_T5_T6_T7_T9_mT8_P12ihipStream_tbDpT10_ENKUlT_T0_E_clISt17integral_constantIbLb0EES1B_EEDaS16_S17_EUlS16_E_NS1_11comp_targetILNS1_3genE10ELNS1_11target_archE1200ELNS1_3gpuE4ELNS1_3repE0EEENS1_30default_config_static_selectorELNS0_4arch9wavefront6targetE1EEEvT1_,comdat
	.protected	_ZN7rocprim17ROCPRIM_400000_NS6detail17trampoline_kernelINS0_14default_configENS1_25partition_config_selectorILNS1_17partition_subalgoE1EjNS0_10empty_typeEbEEZZNS1_14partition_implILS5_1ELb0ES3_jN6thrust23THRUST_200600_302600_NS6detail15normal_iteratorINSA_10device_ptrIjEEEEPS6_NSA_18transform_iteratorI7is_evenIjESF_NSA_11use_defaultESK_EENS0_5tupleIJNSA_16discard_iteratorISK_EESF_EEENSM_IJSG_SG_EEES6_PlJS6_EEE10hipError_tPvRmT3_T4_T5_T6_T7_T9_mT8_P12ihipStream_tbDpT10_ENKUlT_T0_E_clISt17integral_constantIbLb0EES1B_EEDaS16_S17_EUlS16_E_NS1_11comp_targetILNS1_3genE10ELNS1_11target_archE1200ELNS1_3gpuE4ELNS1_3repE0EEENS1_30default_config_static_selectorELNS0_4arch9wavefront6targetE1EEEvT1_ ; -- Begin function _ZN7rocprim17ROCPRIM_400000_NS6detail17trampoline_kernelINS0_14default_configENS1_25partition_config_selectorILNS1_17partition_subalgoE1EjNS0_10empty_typeEbEEZZNS1_14partition_implILS5_1ELb0ES3_jN6thrust23THRUST_200600_302600_NS6detail15normal_iteratorINSA_10device_ptrIjEEEEPS6_NSA_18transform_iteratorI7is_evenIjESF_NSA_11use_defaultESK_EENS0_5tupleIJNSA_16discard_iteratorISK_EESF_EEENSM_IJSG_SG_EEES6_PlJS6_EEE10hipError_tPvRmT3_T4_T5_T6_T7_T9_mT8_P12ihipStream_tbDpT10_ENKUlT_T0_E_clISt17integral_constantIbLb0EES1B_EEDaS16_S17_EUlS16_E_NS1_11comp_targetILNS1_3genE10ELNS1_11target_archE1200ELNS1_3gpuE4ELNS1_3repE0EEENS1_30default_config_static_selectorELNS0_4arch9wavefront6targetE1EEEvT1_
	.globl	_ZN7rocprim17ROCPRIM_400000_NS6detail17trampoline_kernelINS0_14default_configENS1_25partition_config_selectorILNS1_17partition_subalgoE1EjNS0_10empty_typeEbEEZZNS1_14partition_implILS5_1ELb0ES3_jN6thrust23THRUST_200600_302600_NS6detail15normal_iteratorINSA_10device_ptrIjEEEEPS6_NSA_18transform_iteratorI7is_evenIjESF_NSA_11use_defaultESK_EENS0_5tupleIJNSA_16discard_iteratorISK_EESF_EEENSM_IJSG_SG_EEES6_PlJS6_EEE10hipError_tPvRmT3_T4_T5_T6_T7_T9_mT8_P12ihipStream_tbDpT10_ENKUlT_T0_E_clISt17integral_constantIbLb0EES1B_EEDaS16_S17_EUlS16_E_NS1_11comp_targetILNS1_3genE10ELNS1_11target_archE1200ELNS1_3gpuE4ELNS1_3repE0EEENS1_30default_config_static_selectorELNS0_4arch9wavefront6targetE1EEEvT1_
	.p2align	8
	.type	_ZN7rocprim17ROCPRIM_400000_NS6detail17trampoline_kernelINS0_14default_configENS1_25partition_config_selectorILNS1_17partition_subalgoE1EjNS0_10empty_typeEbEEZZNS1_14partition_implILS5_1ELb0ES3_jN6thrust23THRUST_200600_302600_NS6detail15normal_iteratorINSA_10device_ptrIjEEEEPS6_NSA_18transform_iteratorI7is_evenIjESF_NSA_11use_defaultESK_EENS0_5tupleIJNSA_16discard_iteratorISK_EESF_EEENSM_IJSG_SG_EEES6_PlJS6_EEE10hipError_tPvRmT3_T4_T5_T6_T7_T9_mT8_P12ihipStream_tbDpT10_ENKUlT_T0_E_clISt17integral_constantIbLb0EES1B_EEDaS16_S17_EUlS16_E_NS1_11comp_targetILNS1_3genE10ELNS1_11target_archE1200ELNS1_3gpuE4ELNS1_3repE0EEENS1_30default_config_static_selectorELNS0_4arch9wavefront6targetE1EEEvT1_,@function
_ZN7rocprim17ROCPRIM_400000_NS6detail17trampoline_kernelINS0_14default_configENS1_25partition_config_selectorILNS1_17partition_subalgoE1EjNS0_10empty_typeEbEEZZNS1_14partition_implILS5_1ELb0ES3_jN6thrust23THRUST_200600_302600_NS6detail15normal_iteratorINSA_10device_ptrIjEEEEPS6_NSA_18transform_iteratorI7is_evenIjESF_NSA_11use_defaultESK_EENS0_5tupleIJNSA_16discard_iteratorISK_EESF_EEENSM_IJSG_SG_EEES6_PlJS6_EEE10hipError_tPvRmT3_T4_T5_T6_T7_T9_mT8_P12ihipStream_tbDpT10_ENKUlT_T0_E_clISt17integral_constantIbLb0EES1B_EEDaS16_S17_EUlS16_E_NS1_11comp_targetILNS1_3genE10ELNS1_11target_archE1200ELNS1_3gpuE4ELNS1_3repE0EEENS1_30default_config_static_selectorELNS0_4arch9wavefront6targetE1EEEvT1_: ; @_ZN7rocprim17ROCPRIM_400000_NS6detail17trampoline_kernelINS0_14default_configENS1_25partition_config_selectorILNS1_17partition_subalgoE1EjNS0_10empty_typeEbEEZZNS1_14partition_implILS5_1ELb0ES3_jN6thrust23THRUST_200600_302600_NS6detail15normal_iteratorINSA_10device_ptrIjEEEEPS6_NSA_18transform_iteratorI7is_evenIjESF_NSA_11use_defaultESK_EENS0_5tupleIJNSA_16discard_iteratorISK_EESF_EEENSM_IJSG_SG_EEES6_PlJS6_EEE10hipError_tPvRmT3_T4_T5_T6_T7_T9_mT8_P12ihipStream_tbDpT10_ENKUlT_T0_E_clISt17integral_constantIbLb0EES1B_EEDaS16_S17_EUlS16_E_NS1_11comp_targetILNS1_3genE10ELNS1_11target_archE1200ELNS1_3gpuE4ELNS1_3repE0EEENS1_30default_config_static_selectorELNS0_4arch9wavefront6targetE1EEEvT1_
; %bb.0:
	.section	.rodata,"a",@progbits
	.p2align	6, 0x0
	.amdhsa_kernel _ZN7rocprim17ROCPRIM_400000_NS6detail17trampoline_kernelINS0_14default_configENS1_25partition_config_selectorILNS1_17partition_subalgoE1EjNS0_10empty_typeEbEEZZNS1_14partition_implILS5_1ELb0ES3_jN6thrust23THRUST_200600_302600_NS6detail15normal_iteratorINSA_10device_ptrIjEEEEPS6_NSA_18transform_iteratorI7is_evenIjESF_NSA_11use_defaultESK_EENS0_5tupleIJNSA_16discard_iteratorISK_EESF_EEENSM_IJSG_SG_EEES6_PlJS6_EEE10hipError_tPvRmT3_T4_T5_T6_T7_T9_mT8_P12ihipStream_tbDpT10_ENKUlT_T0_E_clISt17integral_constantIbLb0EES1B_EEDaS16_S17_EUlS16_E_NS1_11comp_targetILNS1_3genE10ELNS1_11target_archE1200ELNS1_3gpuE4ELNS1_3repE0EEENS1_30default_config_static_selectorELNS0_4arch9wavefront6targetE1EEEvT1_
		.amdhsa_group_segment_fixed_size 0
		.amdhsa_private_segment_fixed_size 0
		.amdhsa_kernarg_size 136
		.amdhsa_user_sgpr_count 2
		.amdhsa_user_sgpr_dispatch_ptr 0
		.amdhsa_user_sgpr_queue_ptr 0
		.amdhsa_user_sgpr_kernarg_segment_ptr 1
		.amdhsa_user_sgpr_dispatch_id 0
		.amdhsa_user_sgpr_kernarg_preload_length 0
		.amdhsa_user_sgpr_kernarg_preload_offset 0
		.amdhsa_user_sgpr_private_segment_size 0
		.amdhsa_uses_dynamic_stack 0
		.amdhsa_enable_private_segment 0
		.amdhsa_system_sgpr_workgroup_id_x 1
		.amdhsa_system_sgpr_workgroup_id_y 0
		.amdhsa_system_sgpr_workgroup_id_z 0
		.amdhsa_system_sgpr_workgroup_info 0
		.amdhsa_system_vgpr_workitem_id 0
		.amdhsa_next_free_vgpr 1
		.amdhsa_next_free_sgpr 0
		.amdhsa_accum_offset 4
		.amdhsa_reserve_vcc 0
		.amdhsa_float_round_mode_32 0
		.amdhsa_float_round_mode_16_64 0
		.amdhsa_float_denorm_mode_32 3
		.amdhsa_float_denorm_mode_16_64 3
		.amdhsa_dx10_clamp 1
		.amdhsa_ieee_mode 1
		.amdhsa_fp16_overflow 0
		.amdhsa_tg_split 0
		.amdhsa_exception_fp_ieee_invalid_op 0
		.amdhsa_exception_fp_denorm_src 0
		.amdhsa_exception_fp_ieee_div_zero 0
		.amdhsa_exception_fp_ieee_overflow 0
		.amdhsa_exception_fp_ieee_underflow 0
		.amdhsa_exception_fp_ieee_inexact 0
		.amdhsa_exception_int_div_zero 0
	.end_amdhsa_kernel
	.section	.text._ZN7rocprim17ROCPRIM_400000_NS6detail17trampoline_kernelINS0_14default_configENS1_25partition_config_selectorILNS1_17partition_subalgoE1EjNS0_10empty_typeEbEEZZNS1_14partition_implILS5_1ELb0ES3_jN6thrust23THRUST_200600_302600_NS6detail15normal_iteratorINSA_10device_ptrIjEEEEPS6_NSA_18transform_iteratorI7is_evenIjESF_NSA_11use_defaultESK_EENS0_5tupleIJNSA_16discard_iteratorISK_EESF_EEENSM_IJSG_SG_EEES6_PlJS6_EEE10hipError_tPvRmT3_T4_T5_T6_T7_T9_mT8_P12ihipStream_tbDpT10_ENKUlT_T0_E_clISt17integral_constantIbLb0EES1B_EEDaS16_S17_EUlS16_E_NS1_11comp_targetILNS1_3genE10ELNS1_11target_archE1200ELNS1_3gpuE4ELNS1_3repE0EEENS1_30default_config_static_selectorELNS0_4arch9wavefront6targetE1EEEvT1_,"axG",@progbits,_ZN7rocprim17ROCPRIM_400000_NS6detail17trampoline_kernelINS0_14default_configENS1_25partition_config_selectorILNS1_17partition_subalgoE1EjNS0_10empty_typeEbEEZZNS1_14partition_implILS5_1ELb0ES3_jN6thrust23THRUST_200600_302600_NS6detail15normal_iteratorINSA_10device_ptrIjEEEEPS6_NSA_18transform_iteratorI7is_evenIjESF_NSA_11use_defaultESK_EENS0_5tupleIJNSA_16discard_iteratorISK_EESF_EEENSM_IJSG_SG_EEES6_PlJS6_EEE10hipError_tPvRmT3_T4_T5_T6_T7_T9_mT8_P12ihipStream_tbDpT10_ENKUlT_T0_E_clISt17integral_constantIbLb0EES1B_EEDaS16_S17_EUlS16_E_NS1_11comp_targetILNS1_3genE10ELNS1_11target_archE1200ELNS1_3gpuE4ELNS1_3repE0EEENS1_30default_config_static_selectorELNS0_4arch9wavefront6targetE1EEEvT1_,comdat
.Lfunc_end3040:
	.size	_ZN7rocprim17ROCPRIM_400000_NS6detail17trampoline_kernelINS0_14default_configENS1_25partition_config_selectorILNS1_17partition_subalgoE1EjNS0_10empty_typeEbEEZZNS1_14partition_implILS5_1ELb0ES3_jN6thrust23THRUST_200600_302600_NS6detail15normal_iteratorINSA_10device_ptrIjEEEEPS6_NSA_18transform_iteratorI7is_evenIjESF_NSA_11use_defaultESK_EENS0_5tupleIJNSA_16discard_iteratorISK_EESF_EEENSM_IJSG_SG_EEES6_PlJS6_EEE10hipError_tPvRmT3_T4_T5_T6_T7_T9_mT8_P12ihipStream_tbDpT10_ENKUlT_T0_E_clISt17integral_constantIbLb0EES1B_EEDaS16_S17_EUlS16_E_NS1_11comp_targetILNS1_3genE10ELNS1_11target_archE1200ELNS1_3gpuE4ELNS1_3repE0EEENS1_30default_config_static_selectorELNS0_4arch9wavefront6targetE1EEEvT1_, .Lfunc_end3040-_ZN7rocprim17ROCPRIM_400000_NS6detail17trampoline_kernelINS0_14default_configENS1_25partition_config_selectorILNS1_17partition_subalgoE1EjNS0_10empty_typeEbEEZZNS1_14partition_implILS5_1ELb0ES3_jN6thrust23THRUST_200600_302600_NS6detail15normal_iteratorINSA_10device_ptrIjEEEEPS6_NSA_18transform_iteratorI7is_evenIjESF_NSA_11use_defaultESK_EENS0_5tupleIJNSA_16discard_iteratorISK_EESF_EEENSM_IJSG_SG_EEES6_PlJS6_EEE10hipError_tPvRmT3_T4_T5_T6_T7_T9_mT8_P12ihipStream_tbDpT10_ENKUlT_T0_E_clISt17integral_constantIbLb0EES1B_EEDaS16_S17_EUlS16_E_NS1_11comp_targetILNS1_3genE10ELNS1_11target_archE1200ELNS1_3gpuE4ELNS1_3repE0EEENS1_30default_config_static_selectorELNS0_4arch9wavefront6targetE1EEEvT1_
                                        ; -- End function
	.section	.AMDGPU.csdata,"",@progbits
; Kernel info:
; codeLenInByte = 0
; NumSgprs: 6
; NumVgprs: 0
; NumAgprs: 0
; TotalNumVgprs: 0
; ScratchSize: 0
; MemoryBound: 0
; FloatMode: 240
; IeeeMode: 1
; LDSByteSize: 0 bytes/workgroup (compile time only)
; SGPRBlocks: 0
; VGPRBlocks: 0
; NumSGPRsForWavesPerEU: 6
; NumVGPRsForWavesPerEU: 1
; AccumOffset: 4
; Occupancy: 8
; WaveLimiterHint : 0
; COMPUTE_PGM_RSRC2:SCRATCH_EN: 0
; COMPUTE_PGM_RSRC2:USER_SGPR: 2
; COMPUTE_PGM_RSRC2:TRAP_HANDLER: 0
; COMPUTE_PGM_RSRC2:TGID_X_EN: 1
; COMPUTE_PGM_RSRC2:TGID_Y_EN: 0
; COMPUTE_PGM_RSRC2:TGID_Z_EN: 0
; COMPUTE_PGM_RSRC2:TIDIG_COMP_CNT: 0
; COMPUTE_PGM_RSRC3_GFX90A:ACCUM_OFFSET: 0
; COMPUTE_PGM_RSRC3_GFX90A:TG_SPLIT: 0
	.section	.text._ZN7rocprim17ROCPRIM_400000_NS6detail17trampoline_kernelINS0_14default_configENS1_25partition_config_selectorILNS1_17partition_subalgoE1EjNS0_10empty_typeEbEEZZNS1_14partition_implILS5_1ELb0ES3_jN6thrust23THRUST_200600_302600_NS6detail15normal_iteratorINSA_10device_ptrIjEEEEPS6_NSA_18transform_iteratorI7is_evenIjESF_NSA_11use_defaultESK_EENS0_5tupleIJNSA_16discard_iteratorISK_EESF_EEENSM_IJSG_SG_EEES6_PlJS6_EEE10hipError_tPvRmT3_T4_T5_T6_T7_T9_mT8_P12ihipStream_tbDpT10_ENKUlT_T0_E_clISt17integral_constantIbLb0EES1B_EEDaS16_S17_EUlS16_E_NS1_11comp_targetILNS1_3genE9ELNS1_11target_archE1100ELNS1_3gpuE3ELNS1_3repE0EEENS1_30default_config_static_selectorELNS0_4arch9wavefront6targetE1EEEvT1_,"axG",@progbits,_ZN7rocprim17ROCPRIM_400000_NS6detail17trampoline_kernelINS0_14default_configENS1_25partition_config_selectorILNS1_17partition_subalgoE1EjNS0_10empty_typeEbEEZZNS1_14partition_implILS5_1ELb0ES3_jN6thrust23THRUST_200600_302600_NS6detail15normal_iteratorINSA_10device_ptrIjEEEEPS6_NSA_18transform_iteratorI7is_evenIjESF_NSA_11use_defaultESK_EENS0_5tupleIJNSA_16discard_iteratorISK_EESF_EEENSM_IJSG_SG_EEES6_PlJS6_EEE10hipError_tPvRmT3_T4_T5_T6_T7_T9_mT8_P12ihipStream_tbDpT10_ENKUlT_T0_E_clISt17integral_constantIbLb0EES1B_EEDaS16_S17_EUlS16_E_NS1_11comp_targetILNS1_3genE9ELNS1_11target_archE1100ELNS1_3gpuE3ELNS1_3repE0EEENS1_30default_config_static_selectorELNS0_4arch9wavefront6targetE1EEEvT1_,comdat
	.protected	_ZN7rocprim17ROCPRIM_400000_NS6detail17trampoline_kernelINS0_14default_configENS1_25partition_config_selectorILNS1_17partition_subalgoE1EjNS0_10empty_typeEbEEZZNS1_14partition_implILS5_1ELb0ES3_jN6thrust23THRUST_200600_302600_NS6detail15normal_iteratorINSA_10device_ptrIjEEEEPS6_NSA_18transform_iteratorI7is_evenIjESF_NSA_11use_defaultESK_EENS0_5tupleIJNSA_16discard_iteratorISK_EESF_EEENSM_IJSG_SG_EEES6_PlJS6_EEE10hipError_tPvRmT3_T4_T5_T6_T7_T9_mT8_P12ihipStream_tbDpT10_ENKUlT_T0_E_clISt17integral_constantIbLb0EES1B_EEDaS16_S17_EUlS16_E_NS1_11comp_targetILNS1_3genE9ELNS1_11target_archE1100ELNS1_3gpuE3ELNS1_3repE0EEENS1_30default_config_static_selectorELNS0_4arch9wavefront6targetE1EEEvT1_ ; -- Begin function _ZN7rocprim17ROCPRIM_400000_NS6detail17trampoline_kernelINS0_14default_configENS1_25partition_config_selectorILNS1_17partition_subalgoE1EjNS0_10empty_typeEbEEZZNS1_14partition_implILS5_1ELb0ES3_jN6thrust23THRUST_200600_302600_NS6detail15normal_iteratorINSA_10device_ptrIjEEEEPS6_NSA_18transform_iteratorI7is_evenIjESF_NSA_11use_defaultESK_EENS0_5tupleIJNSA_16discard_iteratorISK_EESF_EEENSM_IJSG_SG_EEES6_PlJS6_EEE10hipError_tPvRmT3_T4_T5_T6_T7_T9_mT8_P12ihipStream_tbDpT10_ENKUlT_T0_E_clISt17integral_constantIbLb0EES1B_EEDaS16_S17_EUlS16_E_NS1_11comp_targetILNS1_3genE9ELNS1_11target_archE1100ELNS1_3gpuE3ELNS1_3repE0EEENS1_30default_config_static_selectorELNS0_4arch9wavefront6targetE1EEEvT1_
	.globl	_ZN7rocprim17ROCPRIM_400000_NS6detail17trampoline_kernelINS0_14default_configENS1_25partition_config_selectorILNS1_17partition_subalgoE1EjNS0_10empty_typeEbEEZZNS1_14partition_implILS5_1ELb0ES3_jN6thrust23THRUST_200600_302600_NS6detail15normal_iteratorINSA_10device_ptrIjEEEEPS6_NSA_18transform_iteratorI7is_evenIjESF_NSA_11use_defaultESK_EENS0_5tupleIJNSA_16discard_iteratorISK_EESF_EEENSM_IJSG_SG_EEES6_PlJS6_EEE10hipError_tPvRmT3_T4_T5_T6_T7_T9_mT8_P12ihipStream_tbDpT10_ENKUlT_T0_E_clISt17integral_constantIbLb0EES1B_EEDaS16_S17_EUlS16_E_NS1_11comp_targetILNS1_3genE9ELNS1_11target_archE1100ELNS1_3gpuE3ELNS1_3repE0EEENS1_30default_config_static_selectorELNS0_4arch9wavefront6targetE1EEEvT1_
	.p2align	8
	.type	_ZN7rocprim17ROCPRIM_400000_NS6detail17trampoline_kernelINS0_14default_configENS1_25partition_config_selectorILNS1_17partition_subalgoE1EjNS0_10empty_typeEbEEZZNS1_14partition_implILS5_1ELb0ES3_jN6thrust23THRUST_200600_302600_NS6detail15normal_iteratorINSA_10device_ptrIjEEEEPS6_NSA_18transform_iteratorI7is_evenIjESF_NSA_11use_defaultESK_EENS0_5tupleIJNSA_16discard_iteratorISK_EESF_EEENSM_IJSG_SG_EEES6_PlJS6_EEE10hipError_tPvRmT3_T4_T5_T6_T7_T9_mT8_P12ihipStream_tbDpT10_ENKUlT_T0_E_clISt17integral_constantIbLb0EES1B_EEDaS16_S17_EUlS16_E_NS1_11comp_targetILNS1_3genE9ELNS1_11target_archE1100ELNS1_3gpuE3ELNS1_3repE0EEENS1_30default_config_static_selectorELNS0_4arch9wavefront6targetE1EEEvT1_,@function
_ZN7rocprim17ROCPRIM_400000_NS6detail17trampoline_kernelINS0_14default_configENS1_25partition_config_selectorILNS1_17partition_subalgoE1EjNS0_10empty_typeEbEEZZNS1_14partition_implILS5_1ELb0ES3_jN6thrust23THRUST_200600_302600_NS6detail15normal_iteratorINSA_10device_ptrIjEEEEPS6_NSA_18transform_iteratorI7is_evenIjESF_NSA_11use_defaultESK_EENS0_5tupleIJNSA_16discard_iteratorISK_EESF_EEENSM_IJSG_SG_EEES6_PlJS6_EEE10hipError_tPvRmT3_T4_T5_T6_T7_T9_mT8_P12ihipStream_tbDpT10_ENKUlT_T0_E_clISt17integral_constantIbLb0EES1B_EEDaS16_S17_EUlS16_E_NS1_11comp_targetILNS1_3genE9ELNS1_11target_archE1100ELNS1_3gpuE3ELNS1_3repE0EEENS1_30default_config_static_selectorELNS0_4arch9wavefront6targetE1EEEvT1_: ; @_ZN7rocprim17ROCPRIM_400000_NS6detail17trampoline_kernelINS0_14default_configENS1_25partition_config_selectorILNS1_17partition_subalgoE1EjNS0_10empty_typeEbEEZZNS1_14partition_implILS5_1ELb0ES3_jN6thrust23THRUST_200600_302600_NS6detail15normal_iteratorINSA_10device_ptrIjEEEEPS6_NSA_18transform_iteratorI7is_evenIjESF_NSA_11use_defaultESK_EENS0_5tupleIJNSA_16discard_iteratorISK_EESF_EEENSM_IJSG_SG_EEES6_PlJS6_EEE10hipError_tPvRmT3_T4_T5_T6_T7_T9_mT8_P12ihipStream_tbDpT10_ENKUlT_T0_E_clISt17integral_constantIbLb0EES1B_EEDaS16_S17_EUlS16_E_NS1_11comp_targetILNS1_3genE9ELNS1_11target_archE1100ELNS1_3gpuE3ELNS1_3repE0EEENS1_30default_config_static_selectorELNS0_4arch9wavefront6targetE1EEEvT1_
; %bb.0:
	.section	.rodata,"a",@progbits
	.p2align	6, 0x0
	.amdhsa_kernel _ZN7rocprim17ROCPRIM_400000_NS6detail17trampoline_kernelINS0_14default_configENS1_25partition_config_selectorILNS1_17partition_subalgoE1EjNS0_10empty_typeEbEEZZNS1_14partition_implILS5_1ELb0ES3_jN6thrust23THRUST_200600_302600_NS6detail15normal_iteratorINSA_10device_ptrIjEEEEPS6_NSA_18transform_iteratorI7is_evenIjESF_NSA_11use_defaultESK_EENS0_5tupleIJNSA_16discard_iteratorISK_EESF_EEENSM_IJSG_SG_EEES6_PlJS6_EEE10hipError_tPvRmT3_T4_T5_T6_T7_T9_mT8_P12ihipStream_tbDpT10_ENKUlT_T0_E_clISt17integral_constantIbLb0EES1B_EEDaS16_S17_EUlS16_E_NS1_11comp_targetILNS1_3genE9ELNS1_11target_archE1100ELNS1_3gpuE3ELNS1_3repE0EEENS1_30default_config_static_selectorELNS0_4arch9wavefront6targetE1EEEvT1_
		.amdhsa_group_segment_fixed_size 0
		.amdhsa_private_segment_fixed_size 0
		.amdhsa_kernarg_size 136
		.amdhsa_user_sgpr_count 2
		.amdhsa_user_sgpr_dispatch_ptr 0
		.amdhsa_user_sgpr_queue_ptr 0
		.amdhsa_user_sgpr_kernarg_segment_ptr 1
		.amdhsa_user_sgpr_dispatch_id 0
		.amdhsa_user_sgpr_kernarg_preload_length 0
		.amdhsa_user_sgpr_kernarg_preload_offset 0
		.amdhsa_user_sgpr_private_segment_size 0
		.amdhsa_uses_dynamic_stack 0
		.amdhsa_enable_private_segment 0
		.amdhsa_system_sgpr_workgroup_id_x 1
		.amdhsa_system_sgpr_workgroup_id_y 0
		.amdhsa_system_sgpr_workgroup_id_z 0
		.amdhsa_system_sgpr_workgroup_info 0
		.amdhsa_system_vgpr_workitem_id 0
		.amdhsa_next_free_vgpr 1
		.amdhsa_next_free_sgpr 0
		.amdhsa_accum_offset 4
		.amdhsa_reserve_vcc 0
		.amdhsa_float_round_mode_32 0
		.amdhsa_float_round_mode_16_64 0
		.amdhsa_float_denorm_mode_32 3
		.amdhsa_float_denorm_mode_16_64 3
		.amdhsa_dx10_clamp 1
		.amdhsa_ieee_mode 1
		.amdhsa_fp16_overflow 0
		.amdhsa_tg_split 0
		.amdhsa_exception_fp_ieee_invalid_op 0
		.amdhsa_exception_fp_denorm_src 0
		.amdhsa_exception_fp_ieee_div_zero 0
		.amdhsa_exception_fp_ieee_overflow 0
		.amdhsa_exception_fp_ieee_underflow 0
		.amdhsa_exception_fp_ieee_inexact 0
		.amdhsa_exception_int_div_zero 0
	.end_amdhsa_kernel
	.section	.text._ZN7rocprim17ROCPRIM_400000_NS6detail17trampoline_kernelINS0_14default_configENS1_25partition_config_selectorILNS1_17partition_subalgoE1EjNS0_10empty_typeEbEEZZNS1_14partition_implILS5_1ELb0ES3_jN6thrust23THRUST_200600_302600_NS6detail15normal_iteratorINSA_10device_ptrIjEEEEPS6_NSA_18transform_iteratorI7is_evenIjESF_NSA_11use_defaultESK_EENS0_5tupleIJNSA_16discard_iteratorISK_EESF_EEENSM_IJSG_SG_EEES6_PlJS6_EEE10hipError_tPvRmT3_T4_T5_T6_T7_T9_mT8_P12ihipStream_tbDpT10_ENKUlT_T0_E_clISt17integral_constantIbLb0EES1B_EEDaS16_S17_EUlS16_E_NS1_11comp_targetILNS1_3genE9ELNS1_11target_archE1100ELNS1_3gpuE3ELNS1_3repE0EEENS1_30default_config_static_selectorELNS0_4arch9wavefront6targetE1EEEvT1_,"axG",@progbits,_ZN7rocprim17ROCPRIM_400000_NS6detail17trampoline_kernelINS0_14default_configENS1_25partition_config_selectorILNS1_17partition_subalgoE1EjNS0_10empty_typeEbEEZZNS1_14partition_implILS5_1ELb0ES3_jN6thrust23THRUST_200600_302600_NS6detail15normal_iteratorINSA_10device_ptrIjEEEEPS6_NSA_18transform_iteratorI7is_evenIjESF_NSA_11use_defaultESK_EENS0_5tupleIJNSA_16discard_iteratorISK_EESF_EEENSM_IJSG_SG_EEES6_PlJS6_EEE10hipError_tPvRmT3_T4_T5_T6_T7_T9_mT8_P12ihipStream_tbDpT10_ENKUlT_T0_E_clISt17integral_constantIbLb0EES1B_EEDaS16_S17_EUlS16_E_NS1_11comp_targetILNS1_3genE9ELNS1_11target_archE1100ELNS1_3gpuE3ELNS1_3repE0EEENS1_30default_config_static_selectorELNS0_4arch9wavefront6targetE1EEEvT1_,comdat
.Lfunc_end3041:
	.size	_ZN7rocprim17ROCPRIM_400000_NS6detail17trampoline_kernelINS0_14default_configENS1_25partition_config_selectorILNS1_17partition_subalgoE1EjNS0_10empty_typeEbEEZZNS1_14partition_implILS5_1ELb0ES3_jN6thrust23THRUST_200600_302600_NS6detail15normal_iteratorINSA_10device_ptrIjEEEEPS6_NSA_18transform_iteratorI7is_evenIjESF_NSA_11use_defaultESK_EENS0_5tupleIJNSA_16discard_iteratorISK_EESF_EEENSM_IJSG_SG_EEES6_PlJS6_EEE10hipError_tPvRmT3_T4_T5_T6_T7_T9_mT8_P12ihipStream_tbDpT10_ENKUlT_T0_E_clISt17integral_constantIbLb0EES1B_EEDaS16_S17_EUlS16_E_NS1_11comp_targetILNS1_3genE9ELNS1_11target_archE1100ELNS1_3gpuE3ELNS1_3repE0EEENS1_30default_config_static_selectorELNS0_4arch9wavefront6targetE1EEEvT1_, .Lfunc_end3041-_ZN7rocprim17ROCPRIM_400000_NS6detail17trampoline_kernelINS0_14default_configENS1_25partition_config_selectorILNS1_17partition_subalgoE1EjNS0_10empty_typeEbEEZZNS1_14partition_implILS5_1ELb0ES3_jN6thrust23THRUST_200600_302600_NS6detail15normal_iteratorINSA_10device_ptrIjEEEEPS6_NSA_18transform_iteratorI7is_evenIjESF_NSA_11use_defaultESK_EENS0_5tupleIJNSA_16discard_iteratorISK_EESF_EEENSM_IJSG_SG_EEES6_PlJS6_EEE10hipError_tPvRmT3_T4_T5_T6_T7_T9_mT8_P12ihipStream_tbDpT10_ENKUlT_T0_E_clISt17integral_constantIbLb0EES1B_EEDaS16_S17_EUlS16_E_NS1_11comp_targetILNS1_3genE9ELNS1_11target_archE1100ELNS1_3gpuE3ELNS1_3repE0EEENS1_30default_config_static_selectorELNS0_4arch9wavefront6targetE1EEEvT1_
                                        ; -- End function
	.section	.AMDGPU.csdata,"",@progbits
; Kernel info:
; codeLenInByte = 0
; NumSgprs: 6
; NumVgprs: 0
; NumAgprs: 0
; TotalNumVgprs: 0
; ScratchSize: 0
; MemoryBound: 0
; FloatMode: 240
; IeeeMode: 1
; LDSByteSize: 0 bytes/workgroup (compile time only)
; SGPRBlocks: 0
; VGPRBlocks: 0
; NumSGPRsForWavesPerEU: 6
; NumVGPRsForWavesPerEU: 1
; AccumOffset: 4
; Occupancy: 8
; WaveLimiterHint : 0
; COMPUTE_PGM_RSRC2:SCRATCH_EN: 0
; COMPUTE_PGM_RSRC2:USER_SGPR: 2
; COMPUTE_PGM_RSRC2:TRAP_HANDLER: 0
; COMPUTE_PGM_RSRC2:TGID_X_EN: 1
; COMPUTE_PGM_RSRC2:TGID_Y_EN: 0
; COMPUTE_PGM_RSRC2:TGID_Z_EN: 0
; COMPUTE_PGM_RSRC2:TIDIG_COMP_CNT: 0
; COMPUTE_PGM_RSRC3_GFX90A:ACCUM_OFFSET: 0
; COMPUTE_PGM_RSRC3_GFX90A:TG_SPLIT: 0
	.section	.text._ZN7rocprim17ROCPRIM_400000_NS6detail17trampoline_kernelINS0_14default_configENS1_25partition_config_selectorILNS1_17partition_subalgoE1EjNS0_10empty_typeEbEEZZNS1_14partition_implILS5_1ELb0ES3_jN6thrust23THRUST_200600_302600_NS6detail15normal_iteratorINSA_10device_ptrIjEEEEPS6_NSA_18transform_iteratorI7is_evenIjESF_NSA_11use_defaultESK_EENS0_5tupleIJNSA_16discard_iteratorISK_EESF_EEENSM_IJSG_SG_EEES6_PlJS6_EEE10hipError_tPvRmT3_T4_T5_T6_T7_T9_mT8_P12ihipStream_tbDpT10_ENKUlT_T0_E_clISt17integral_constantIbLb0EES1B_EEDaS16_S17_EUlS16_E_NS1_11comp_targetILNS1_3genE8ELNS1_11target_archE1030ELNS1_3gpuE2ELNS1_3repE0EEENS1_30default_config_static_selectorELNS0_4arch9wavefront6targetE1EEEvT1_,"axG",@progbits,_ZN7rocprim17ROCPRIM_400000_NS6detail17trampoline_kernelINS0_14default_configENS1_25partition_config_selectorILNS1_17partition_subalgoE1EjNS0_10empty_typeEbEEZZNS1_14partition_implILS5_1ELb0ES3_jN6thrust23THRUST_200600_302600_NS6detail15normal_iteratorINSA_10device_ptrIjEEEEPS6_NSA_18transform_iteratorI7is_evenIjESF_NSA_11use_defaultESK_EENS0_5tupleIJNSA_16discard_iteratorISK_EESF_EEENSM_IJSG_SG_EEES6_PlJS6_EEE10hipError_tPvRmT3_T4_T5_T6_T7_T9_mT8_P12ihipStream_tbDpT10_ENKUlT_T0_E_clISt17integral_constantIbLb0EES1B_EEDaS16_S17_EUlS16_E_NS1_11comp_targetILNS1_3genE8ELNS1_11target_archE1030ELNS1_3gpuE2ELNS1_3repE0EEENS1_30default_config_static_selectorELNS0_4arch9wavefront6targetE1EEEvT1_,comdat
	.protected	_ZN7rocprim17ROCPRIM_400000_NS6detail17trampoline_kernelINS0_14default_configENS1_25partition_config_selectorILNS1_17partition_subalgoE1EjNS0_10empty_typeEbEEZZNS1_14partition_implILS5_1ELb0ES3_jN6thrust23THRUST_200600_302600_NS6detail15normal_iteratorINSA_10device_ptrIjEEEEPS6_NSA_18transform_iteratorI7is_evenIjESF_NSA_11use_defaultESK_EENS0_5tupleIJNSA_16discard_iteratorISK_EESF_EEENSM_IJSG_SG_EEES6_PlJS6_EEE10hipError_tPvRmT3_T4_T5_T6_T7_T9_mT8_P12ihipStream_tbDpT10_ENKUlT_T0_E_clISt17integral_constantIbLb0EES1B_EEDaS16_S17_EUlS16_E_NS1_11comp_targetILNS1_3genE8ELNS1_11target_archE1030ELNS1_3gpuE2ELNS1_3repE0EEENS1_30default_config_static_selectorELNS0_4arch9wavefront6targetE1EEEvT1_ ; -- Begin function _ZN7rocprim17ROCPRIM_400000_NS6detail17trampoline_kernelINS0_14default_configENS1_25partition_config_selectorILNS1_17partition_subalgoE1EjNS0_10empty_typeEbEEZZNS1_14partition_implILS5_1ELb0ES3_jN6thrust23THRUST_200600_302600_NS6detail15normal_iteratorINSA_10device_ptrIjEEEEPS6_NSA_18transform_iteratorI7is_evenIjESF_NSA_11use_defaultESK_EENS0_5tupleIJNSA_16discard_iteratorISK_EESF_EEENSM_IJSG_SG_EEES6_PlJS6_EEE10hipError_tPvRmT3_T4_T5_T6_T7_T9_mT8_P12ihipStream_tbDpT10_ENKUlT_T0_E_clISt17integral_constantIbLb0EES1B_EEDaS16_S17_EUlS16_E_NS1_11comp_targetILNS1_3genE8ELNS1_11target_archE1030ELNS1_3gpuE2ELNS1_3repE0EEENS1_30default_config_static_selectorELNS0_4arch9wavefront6targetE1EEEvT1_
	.globl	_ZN7rocprim17ROCPRIM_400000_NS6detail17trampoline_kernelINS0_14default_configENS1_25partition_config_selectorILNS1_17partition_subalgoE1EjNS0_10empty_typeEbEEZZNS1_14partition_implILS5_1ELb0ES3_jN6thrust23THRUST_200600_302600_NS6detail15normal_iteratorINSA_10device_ptrIjEEEEPS6_NSA_18transform_iteratorI7is_evenIjESF_NSA_11use_defaultESK_EENS0_5tupleIJNSA_16discard_iteratorISK_EESF_EEENSM_IJSG_SG_EEES6_PlJS6_EEE10hipError_tPvRmT3_T4_T5_T6_T7_T9_mT8_P12ihipStream_tbDpT10_ENKUlT_T0_E_clISt17integral_constantIbLb0EES1B_EEDaS16_S17_EUlS16_E_NS1_11comp_targetILNS1_3genE8ELNS1_11target_archE1030ELNS1_3gpuE2ELNS1_3repE0EEENS1_30default_config_static_selectorELNS0_4arch9wavefront6targetE1EEEvT1_
	.p2align	8
	.type	_ZN7rocprim17ROCPRIM_400000_NS6detail17trampoline_kernelINS0_14default_configENS1_25partition_config_selectorILNS1_17partition_subalgoE1EjNS0_10empty_typeEbEEZZNS1_14partition_implILS5_1ELb0ES3_jN6thrust23THRUST_200600_302600_NS6detail15normal_iteratorINSA_10device_ptrIjEEEEPS6_NSA_18transform_iteratorI7is_evenIjESF_NSA_11use_defaultESK_EENS0_5tupleIJNSA_16discard_iteratorISK_EESF_EEENSM_IJSG_SG_EEES6_PlJS6_EEE10hipError_tPvRmT3_T4_T5_T6_T7_T9_mT8_P12ihipStream_tbDpT10_ENKUlT_T0_E_clISt17integral_constantIbLb0EES1B_EEDaS16_S17_EUlS16_E_NS1_11comp_targetILNS1_3genE8ELNS1_11target_archE1030ELNS1_3gpuE2ELNS1_3repE0EEENS1_30default_config_static_selectorELNS0_4arch9wavefront6targetE1EEEvT1_,@function
_ZN7rocprim17ROCPRIM_400000_NS6detail17trampoline_kernelINS0_14default_configENS1_25partition_config_selectorILNS1_17partition_subalgoE1EjNS0_10empty_typeEbEEZZNS1_14partition_implILS5_1ELb0ES3_jN6thrust23THRUST_200600_302600_NS6detail15normal_iteratorINSA_10device_ptrIjEEEEPS6_NSA_18transform_iteratorI7is_evenIjESF_NSA_11use_defaultESK_EENS0_5tupleIJNSA_16discard_iteratorISK_EESF_EEENSM_IJSG_SG_EEES6_PlJS6_EEE10hipError_tPvRmT3_T4_T5_T6_T7_T9_mT8_P12ihipStream_tbDpT10_ENKUlT_T0_E_clISt17integral_constantIbLb0EES1B_EEDaS16_S17_EUlS16_E_NS1_11comp_targetILNS1_3genE8ELNS1_11target_archE1030ELNS1_3gpuE2ELNS1_3repE0EEENS1_30default_config_static_selectorELNS0_4arch9wavefront6targetE1EEEvT1_: ; @_ZN7rocprim17ROCPRIM_400000_NS6detail17trampoline_kernelINS0_14default_configENS1_25partition_config_selectorILNS1_17partition_subalgoE1EjNS0_10empty_typeEbEEZZNS1_14partition_implILS5_1ELb0ES3_jN6thrust23THRUST_200600_302600_NS6detail15normal_iteratorINSA_10device_ptrIjEEEEPS6_NSA_18transform_iteratorI7is_evenIjESF_NSA_11use_defaultESK_EENS0_5tupleIJNSA_16discard_iteratorISK_EESF_EEENSM_IJSG_SG_EEES6_PlJS6_EEE10hipError_tPvRmT3_T4_T5_T6_T7_T9_mT8_P12ihipStream_tbDpT10_ENKUlT_T0_E_clISt17integral_constantIbLb0EES1B_EEDaS16_S17_EUlS16_E_NS1_11comp_targetILNS1_3genE8ELNS1_11target_archE1030ELNS1_3gpuE2ELNS1_3repE0EEENS1_30default_config_static_selectorELNS0_4arch9wavefront6targetE1EEEvT1_
; %bb.0:
	.section	.rodata,"a",@progbits
	.p2align	6, 0x0
	.amdhsa_kernel _ZN7rocprim17ROCPRIM_400000_NS6detail17trampoline_kernelINS0_14default_configENS1_25partition_config_selectorILNS1_17partition_subalgoE1EjNS0_10empty_typeEbEEZZNS1_14partition_implILS5_1ELb0ES3_jN6thrust23THRUST_200600_302600_NS6detail15normal_iteratorINSA_10device_ptrIjEEEEPS6_NSA_18transform_iteratorI7is_evenIjESF_NSA_11use_defaultESK_EENS0_5tupleIJNSA_16discard_iteratorISK_EESF_EEENSM_IJSG_SG_EEES6_PlJS6_EEE10hipError_tPvRmT3_T4_T5_T6_T7_T9_mT8_P12ihipStream_tbDpT10_ENKUlT_T0_E_clISt17integral_constantIbLb0EES1B_EEDaS16_S17_EUlS16_E_NS1_11comp_targetILNS1_3genE8ELNS1_11target_archE1030ELNS1_3gpuE2ELNS1_3repE0EEENS1_30default_config_static_selectorELNS0_4arch9wavefront6targetE1EEEvT1_
		.amdhsa_group_segment_fixed_size 0
		.amdhsa_private_segment_fixed_size 0
		.amdhsa_kernarg_size 136
		.amdhsa_user_sgpr_count 2
		.amdhsa_user_sgpr_dispatch_ptr 0
		.amdhsa_user_sgpr_queue_ptr 0
		.amdhsa_user_sgpr_kernarg_segment_ptr 1
		.amdhsa_user_sgpr_dispatch_id 0
		.amdhsa_user_sgpr_kernarg_preload_length 0
		.amdhsa_user_sgpr_kernarg_preload_offset 0
		.amdhsa_user_sgpr_private_segment_size 0
		.amdhsa_uses_dynamic_stack 0
		.amdhsa_enable_private_segment 0
		.amdhsa_system_sgpr_workgroup_id_x 1
		.amdhsa_system_sgpr_workgroup_id_y 0
		.amdhsa_system_sgpr_workgroup_id_z 0
		.amdhsa_system_sgpr_workgroup_info 0
		.amdhsa_system_vgpr_workitem_id 0
		.amdhsa_next_free_vgpr 1
		.amdhsa_next_free_sgpr 0
		.amdhsa_accum_offset 4
		.amdhsa_reserve_vcc 0
		.amdhsa_float_round_mode_32 0
		.amdhsa_float_round_mode_16_64 0
		.amdhsa_float_denorm_mode_32 3
		.amdhsa_float_denorm_mode_16_64 3
		.amdhsa_dx10_clamp 1
		.amdhsa_ieee_mode 1
		.amdhsa_fp16_overflow 0
		.amdhsa_tg_split 0
		.amdhsa_exception_fp_ieee_invalid_op 0
		.amdhsa_exception_fp_denorm_src 0
		.amdhsa_exception_fp_ieee_div_zero 0
		.amdhsa_exception_fp_ieee_overflow 0
		.amdhsa_exception_fp_ieee_underflow 0
		.amdhsa_exception_fp_ieee_inexact 0
		.amdhsa_exception_int_div_zero 0
	.end_amdhsa_kernel
	.section	.text._ZN7rocprim17ROCPRIM_400000_NS6detail17trampoline_kernelINS0_14default_configENS1_25partition_config_selectorILNS1_17partition_subalgoE1EjNS0_10empty_typeEbEEZZNS1_14partition_implILS5_1ELb0ES3_jN6thrust23THRUST_200600_302600_NS6detail15normal_iteratorINSA_10device_ptrIjEEEEPS6_NSA_18transform_iteratorI7is_evenIjESF_NSA_11use_defaultESK_EENS0_5tupleIJNSA_16discard_iteratorISK_EESF_EEENSM_IJSG_SG_EEES6_PlJS6_EEE10hipError_tPvRmT3_T4_T5_T6_T7_T9_mT8_P12ihipStream_tbDpT10_ENKUlT_T0_E_clISt17integral_constantIbLb0EES1B_EEDaS16_S17_EUlS16_E_NS1_11comp_targetILNS1_3genE8ELNS1_11target_archE1030ELNS1_3gpuE2ELNS1_3repE0EEENS1_30default_config_static_selectorELNS0_4arch9wavefront6targetE1EEEvT1_,"axG",@progbits,_ZN7rocprim17ROCPRIM_400000_NS6detail17trampoline_kernelINS0_14default_configENS1_25partition_config_selectorILNS1_17partition_subalgoE1EjNS0_10empty_typeEbEEZZNS1_14partition_implILS5_1ELb0ES3_jN6thrust23THRUST_200600_302600_NS6detail15normal_iteratorINSA_10device_ptrIjEEEEPS6_NSA_18transform_iteratorI7is_evenIjESF_NSA_11use_defaultESK_EENS0_5tupleIJNSA_16discard_iteratorISK_EESF_EEENSM_IJSG_SG_EEES6_PlJS6_EEE10hipError_tPvRmT3_T4_T5_T6_T7_T9_mT8_P12ihipStream_tbDpT10_ENKUlT_T0_E_clISt17integral_constantIbLb0EES1B_EEDaS16_S17_EUlS16_E_NS1_11comp_targetILNS1_3genE8ELNS1_11target_archE1030ELNS1_3gpuE2ELNS1_3repE0EEENS1_30default_config_static_selectorELNS0_4arch9wavefront6targetE1EEEvT1_,comdat
.Lfunc_end3042:
	.size	_ZN7rocprim17ROCPRIM_400000_NS6detail17trampoline_kernelINS0_14default_configENS1_25partition_config_selectorILNS1_17partition_subalgoE1EjNS0_10empty_typeEbEEZZNS1_14partition_implILS5_1ELb0ES3_jN6thrust23THRUST_200600_302600_NS6detail15normal_iteratorINSA_10device_ptrIjEEEEPS6_NSA_18transform_iteratorI7is_evenIjESF_NSA_11use_defaultESK_EENS0_5tupleIJNSA_16discard_iteratorISK_EESF_EEENSM_IJSG_SG_EEES6_PlJS6_EEE10hipError_tPvRmT3_T4_T5_T6_T7_T9_mT8_P12ihipStream_tbDpT10_ENKUlT_T0_E_clISt17integral_constantIbLb0EES1B_EEDaS16_S17_EUlS16_E_NS1_11comp_targetILNS1_3genE8ELNS1_11target_archE1030ELNS1_3gpuE2ELNS1_3repE0EEENS1_30default_config_static_selectorELNS0_4arch9wavefront6targetE1EEEvT1_, .Lfunc_end3042-_ZN7rocprim17ROCPRIM_400000_NS6detail17trampoline_kernelINS0_14default_configENS1_25partition_config_selectorILNS1_17partition_subalgoE1EjNS0_10empty_typeEbEEZZNS1_14partition_implILS5_1ELb0ES3_jN6thrust23THRUST_200600_302600_NS6detail15normal_iteratorINSA_10device_ptrIjEEEEPS6_NSA_18transform_iteratorI7is_evenIjESF_NSA_11use_defaultESK_EENS0_5tupleIJNSA_16discard_iteratorISK_EESF_EEENSM_IJSG_SG_EEES6_PlJS6_EEE10hipError_tPvRmT3_T4_T5_T6_T7_T9_mT8_P12ihipStream_tbDpT10_ENKUlT_T0_E_clISt17integral_constantIbLb0EES1B_EEDaS16_S17_EUlS16_E_NS1_11comp_targetILNS1_3genE8ELNS1_11target_archE1030ELNS1_3gpuE2ELNS1_3repE0EEENS1_30default_config_static_selectorELNS0_4arch9wavefront6targetE1EEEvT1_
                                        ; -- End function
	.section	.AMDGPU.csdata,"",@progbits
; Kernel info:
; codeLenInByte = 0
; NumSgprs: 6
; NumVgprs: 0
; NumAgprs: 0
; TotalNumVgprs: 0
; ScratchSize: 0
; MemoryBound: 0
; FloatMode: 240
; IeeeMode: 1
; LDSByteSize: 0 bytes/workgroup (compile time only)
; SGPRBlocks: 0
; VGPRBlocks: 0
; NumSGPRsForWavesPerEU: 6
; NumVGPRsForWavesPerEU: 1
; AccumOffset: 4
; Occupancy: 8
; WaveLimiterHint : 0
; COMPUTE_PGM_RSRC2:SCRATCH_EN: 0
; COMPUTE_PGM_RSRC2:USER_SGPR: 2
; COMPUTE_PGM_RSRC2:TRAP_HANDLER: 0
; COMPUTE_PGM_RSRC2:TGID_X_EN: 1
; COMPUTE_PGM_RSRC2:TGID_Y_EN: 0
; COMPUTE_PGM_RSRC2:TGID_Z_EN: 0
; COMPUTE_PGM_RSRC2:TIDIG_COMP_CNT: 0
; COMPUTE_PGM_RSRC3_GFX90A:ACCUM_OFFSET: 0
; COMPUTE_PGM_RSRC3_GFX90A:TG_SPLIT: 0
	.section	.text._ZN7rocprim17ROCPRIM_400000_NS6detail17trampoline_kernelINS0_14default_configENS1_25partition_config_selectorILNS1_17partition_subalgoE1EjNS0_10empty_typeEbEEZZNS1_14partition_implILS5_1ELb0ES3_jN6thrust23THRUST_200600_302600_NS6detail15normal_iteratorINSA_10device_ptrIjEEEEPS6_NSA_18transform_iteratorI7is_evenIjESF_NSA_11use_defaultESK_EENS0_5tupleIJNSA_16discard_iteratorISK_EESF_EEENSM_IJSG_SG_EEES6_PlJS6_EEE10hipError_tPvRmT3_T4_T5_T6_T7_T9_mT8_P12ihipStream_tbDpT10_ENKUlT_T0_E_clISt17integral_constantIbLb1EES1B_EEDaS16_S17_EUlS16_E_NS1_11comp_targetILNS1_3genE0ELNS1_11target_archE4294967295ELNS1_3gpuE0ELNS1_3repE0EEENS1_30default_config_static_selectorELNS0_4arch9wavefront6targetE1EEEvT1_,"axG",@progbits,_ZN7rocprim17ROCPRIM_400000_NS6detail17trampoline_kernelINS0_14default_configENS1_25partition_config_selectorILNS1_17partition_subalgoE1EjNS0_10empty_typeEbEEZZNS1_14partition_implILS5_1ELb0ES3_jN6thrust23THRUST_200600_302600_NS6detail15normal_iteratorINSA_10device_ptrIjEEEEPS6_NSA_18transform_iteratorI7is_evenIjESF_NSA_11use_defaultESK_EENS0_5tupleIJNSA_16discard_iteratorISK_EESF_EEENSM_IJSG_SG_EEES6_PlJS6_EEE10hipError_tPvRmT3_T4_T5_T6_T7_T9_mT8_P12ihipStream_tbDpT10_ENKUlT_T0_E_clISt17integral_constantIbLb1EES1B_EEDaS16_S17_EUlS16_E_NS1_11comp_targetILNS1_3genE0ELNS1_11target_archE4294967295ELNS1_3gpuE0ELNS1_3repE0EEENS1_30default_config_static_selectorELNS0_4arch9wavefront6targetE1EEEvT1_,comdat
	.protected	_ZN7rocprim17ROCPRIM_400000_NS6detail17trampoline_kernelINS0_14default_configENS1_25partition_config_selectorILNS1_17partition_subalgoE1EjNS0_10empty_typeEbEEZZNS1_14partition_implILS5_1ELb0ES3_jN6thrust23THRUST_200600_302600_NS6detail15normal_iteratorINSA_10device_ptrIjEEEEPS6_NSA_18transform_iteratorI7is_evenIjESF_NSA_11use_defaultESK_EENS0_5tupleIJNSA_16discard_iteratorISK_EESF_EEENSM_IJSG_SG_EEES6_PlJS6_EEE10hipError_tPvRmT3_T4_T5_T6_T7_T9_mT8_P12ihipStream_tbDpT10_ENKUlT_T0_E_clISt17integral_constantIbLb1EES1B_EEDaS16_S17_EUlS16_E_NS1_11comp_targetILNS1_3genE0ELNS1_11target_archE4294967295ELNS1_3gpuE0ELNS1_3repE0EEENS1_30default_config_static_selectorELNS0_4arch9wavefront6targetE1EEEvT1_ ; -- Begin function _ZN7rocprim17ROCPRIM_400000_NS6detail17trampoline_kernelINS0_14default_configENS1_25partition_config_selectorILNS1_17partition_subalgoE1EjNS0_10empty_typeEbEEZZNS1_14partition_implILS5_1ELb0ES3_jN6thrust23THRUST_200600_302600_NS6detail15normal_iteratorINSA_10device_ptrIjEEEEPS6_NSA_18transform_iteratorI7is_evenIjESF_NSA_11use_defaultESK_EENS0_5tupleIJNSA_16discard_iteratorISK_EESF_EEENSM_IJSG_SG_EEES6_PlJS6_EEE10hipError_tPvRmT3_T4_T5_T6_T7_T9_mT8_P12ihipStream_tbDpT10_ENKUlT_T0_E_clISt17integral_constantIbLb1EES1B_EEDaS16_S17_EUlS16_E_NS1_11comp_targetILNS1_3genE0ELNS1_11target_archE4294967295ELNS1_3gpuE0ELNS1_3repE0EEENS1_30default_config_static_selectorELNS0_4arch9wavefront6targetE1EEEvT1_
	.globl	_ZN7rocprim17ROCPRIM_400000_NS6detail17trampoline_kernelINS0_14default_configENS1_25partition_config_selectorILNS1_17partition_subalgoE1EjNS0_10empty_typeEbEEZZNS1_14partition_implILS5_1ELb0ES3_jN6thrust23THRUST_200600_302600_NS6detail15normal_iteratorINSA_10device_ptrIjEEEEPS6_NSA_18transform_iteratorI7is_evenIjESF_NSA_11use_defaultESK_EENS0_5tupleIJNSA_16discard_iteratorISK_EESF_EEENSM_IJSG_SG_EEES6_PlJS6_EEE10hipError_tPvRmT3_T4_T5_T6_T7_T9_mT8_P12ihipStream_tbDpT10_ENKUlT_T0_E_clISt17integral_constantIbLb1EES1B_EEDaS16_S17_EUlS16_E_NS1_11comp_targetILNS1_3genE0ELNS1_11target_archE4294967295ELNS1_3gpuE0ELNS1_3repE0EEENS1_30default_config_static_selectorELNS0_4arch9wavefront6targetE1EEEvT1_
	.p2align	8
	.type	_ZN7rocprim17ROCPRIM_400000_NS6detail17trampoline_kernelINS0_14default_configENS1_25partition_config_selectorILNS1_17partition_subalgoE1EjNS0_10empty_typeEbEEZZNS1_14partition_implILS5_1ELb0ES3_jN6thrust23THRUST_200600_302600_NS6detail15normal_iteratorINSA_10device_ptrIjEEEEPS6_NSA_18transform_iteratorI7is_evenIjESF_NSA_11use_defaultESK_EENS0_5tupleIJNSA_16discard_iteratorISK_EESF_EEENSM_IJSG_SG_EEES6_PlJS6_EEE10hipError_tPvRmT3_T4_T5_T6_T7_T9_mT8_P12ihipStream_tbDpT10_ENKUlT_T0_E_clISt17integral_constantIbLb1EES1B_EEDaS16_S17_EUlS16_E_NS1_11comp_targetILNS1_3genE0ELNS1_11target_archE4294967295ELNS1_3gpuE0ELNS1_3repE0EEENS1_30default_config_static_selectorELNS0_4arch9wavefront6targetE1EEEvT1_,@function
_ZN7rocprim17ROCPRIM_400000_NS6detail17trampoline_kernelINS0_14default_configENS1_25partition_config_selectorILNS1_17partition_subalgoE1EjNS0_10empty_typeEbEEZZNS1_14partition_implILS5_1ELb0ES3_jN6thrust23THRUST_200600_302600_NS6detail15normal_iteratorINSA_10device_ptrIjEEEEPS6_NSA_18transform_iteratorI7is_evenIjESF_NSA_11use_defaultESK_EENS0_5tupleIJNSA_16discard_iteratorISK_EESF_EEENSM_IJSG_SG_EEES6_PlJS6_EEE10hipError_tPvRmT3_T4_T5_T6_T7_T9_mT8_P12ihipStream_tbDpT10_ENKUlT_T0_E_clISt17integral_constantIbLb1EES1B_EEDaS16_S17_EUlS16_E_NS1_11comp_targetILNS1_3genE0ELNS1_11target_archE4294967295ELNS1_3gpuE0ELNS1_3repE0EEENS1_30default_config_static_selectorELNS0_4arch9wavefront6targetE1EEEvT1_: ; @_ZN7rocprim17ROCPRIM_400000_NS6detail17trampoline_kernelINS0_14default_configENS1_25partition_config_selectorILNS1_17partition_subalgoE1EjNS0_10empty_typeEbEEZZNS1_14partition_implILS5_1ELb0ES3_jN6thrust23THRUST_200600_302600_NS6detail15normal_iteratorINSA_10device_ptrIjEEEEPS6_NSA_18transform_iteratorI7is_evenIjESF_NSA_11use_defaultESK_EENS0_5tupleIJNSA_16discard_iteratorISK_EESF_EEENSM_IJSG_SG_EEES6_PlJS6_EEE10hipError_tPvRmT3_T4_T5_T6_T7_T9_mT8_P12ihipStream_tbDpT10_ENKUlT_T0_E_clISt17integral_constantIbLb1EES1B_EEDaS16_S17_EUlS16_E_NS1_11comp_targetILNS1_3genE0ELNS1_11target_archE4294967295ELNS1_3gpuE0ELNS1_3repE0EEENS1_30default_config_static_selectorELNS0_4arch9wavefront6targetE1EEEvT1_
; %bb.0:
	.section	.rodata,"a",@progbits
	.p2align	6, 0x0
	.amdhsa_kernel _ZN7rocprim17ROCPRIM_400000_NS6detail17trampoline_kernelINS0_14default_configENS1_25partition_config_selectorILNS1_17partition_subalgoE1EjNS0_10empty_typeEbEEZZNS1_14partition_implILS5_1ELb0ES3_jN6thrust23THRUST_200600_302600_NS6detail15normal_iteratorINSA_10device_ptrIjEEEEPS6_NSA_18transform_iteratorI7is_evenIjESF_NSA_11use_defaultESK_EENS0_5tupleIJNSA_16discard_iteratorISK_EESF_EEENSM_IJSG_SG_EEES6_PlJS6_EEE10hipError_tPvRmT3_T4_T5_T6_T7_T9_mT8_P12ihipStream_tbDpT10_ENKUlT_T0_E_clISt17integral_constantIbLb1EES1B_EEDaS16_S17_EUlS16_E_NS1_11comp_targetILNS1_3genE0ELNS1_11target_archE4294967295ELNS1_3gpuE0ELNS1_3repE0EEENS1_30default_config_static_selectorELNS0_4arch9wavefront6targetE1EEEvT1_
		.amdhsa_group_segment_fixed_size 0
		.amdhsa_private_segment_fixed_size 0
		.amdhsa_kernarg_size 152
		.amdhsa_user_sgpr_count 2
		.amdhsa_user_sgpr_dispatch_ptr 0
		.amdhsa_user_sgpr_queue_ptr 0
		.amdhsa_user_sgpr_kernarg_segment_ptr 1
		.amdhsa_user_sgpr_dispatch_id 0
		.amdhsa_user_sgpr_kernarg_preload_length 0
		.amdhsa_user_sgpr_kernarg_preload_offset 0
		.amdhsa_user_sgpr_private_segment_size 0
		.amdhsa_uses_dynamic_stack 0
		.amdhsa_enable_private_segment 0
		.amdhsa_system_sgpr_workgroup_id_x 1
		.amdhsa_system_sgpr_workgroup_id_y 0
		.amdhsa_system_sgpr_workgroup_id_z 0
		.amdhsa_system_sgpr_workgroup_info 0
		.amdhsa_system_vgpr_workitem_id 0
		.amdhsa_next_free_vgpr 1
		.amdhsa_next_free_sgpr 0
		.amdhsa_accum_offset 4
		.amdhsa_reserve_vcc 0
		.amdhsa_float_round_mode_32 0
		.amdhsa_float_round_mode_16_64 0
		.amdhsa_float_denorm_mode_32 3
		.amdhsa_float_denorm_mode_16_64 3
		.amdhsa_dx10_clamp 1
		.amdhsa_ieee_mode 1
		.amdhsa_fp16_overflow 0
		.amdhsa_tg_split 0
		.amdhsa_exception_fp_ieee_invalid_op 0
		.amdhsa_exception_fp_denorm_src 0
		.amdhsa_exception_fp_ieee_div_zero 0
		.amdhsa_exception_fp_ieee_overflow 0
		.amdhsa_exception_fp_ieee_underflow 0
		.amdhsa_exception_fp_ieee_inexact 0
		.amdhsa_exception_int_div_zero 0
	.end_amdhsa_kernel
	.section	.text._ZN7rocprim17ROCPRIM_400000_NS6detail17trampoline_kernelINS0_14default_configENS1_25partition_config_selectorILNS1_17partition_subalgoE1EjNS0_10empty_typeEbEEZZNS1_14partition_implILS5_1ELb0ES3_jN6thrust23THRUST_200600_302600_NS6detail15normal_iteratorINSA_10device_ptrIjEEEEPS6_NSA_18transform_iteratorI7is_evenIjESF_NSA_11use_defaultESK_EENS0_5tupleIJNSA_16discard_iteratorISK_EESF_EEENSM_IJSG_SG_EEES6_PlJS6_EEE10hipError_tPvRmT3_T4_T5_T6_T7_T9_mT8_P12ihipStream_tbDpT10_ENKUlT_T0_E_clISt17integral_constantIbLb1EES1B_EEDaS16_S17_EUlS16_E_NS1_11comp_targetILNS1_3genE0ELNS1_11target_archE4294967295ELNS1_3gpuE0ELNS1_3repE0EEENS1_30default_config_static_selectorELNS0_4arch9wavefront6targetE1EEEvT1_,"axG",@progbits,_ZN7rocprim17ROCPRIM_400000_NS6detail17trampoline_kernelINS0_14default_configENS1_25partition_config_selectorILNS1_17partition_subalgoE1EjNS0_10empty_typeEbEEZZNS1_14partition_implILS5_1ELb0ES3_jN6thrust23THRUST_200600_302600_NS6detail15normal_iteratorINSA_10device_ptrIjEEEEPS6_NSA_18transform_iteratorI7is_evenIjESF_NSA_11use_defaultESK_EENS0_5tupleIJNSA_16discard_iteratorISK_EESF_EEENSM_IJSG_SG_EEES6_PlJS6_EEE10hipError_tPvRmT3_T4_T5_T6_T7_T9_mT8_P12ihipStream_tbDpT10_ENKUlT_T0_E_clISt17integral_constantIbLb1EES1B_EEDaS16_S17_EUlS16_E_NS1_11comp_targetILNS1_3genE0ELNS1_11target_archE4294967295ELNS1_3gpuE0ELNS1_3repE0EEENS1_30default_config_static_selectorELNS0_4arch9wavefront6targetE1EEEvT1_,comdat
.Lfunc_end3043:
	.size	_ZN7rocprim17ROCPRIM_400000_NS6detail17trampoline_kernelINS0_14default_configENS1_25partition_config_selectorILNS1_17partition_subalgoE1EjNS0_10empty_typeEbEEZZNS1_14partition_implILS5_1ELb0ES3_jN6thrust23THRUST_200600_302600_NS6detail15normal_iteratorINSA_10device_ptrIjEEEEPS6_NSA_18transform_iteratorI7is_evenIjESF_NSA_11use_defaultESK_EENS0_5tupleIJNSA_16discard_iteratorISK_EESF_EEENSM_IJSG_SG_EEES6_PlJS6_EEE10hipError_tPvRmT3_T4_T5_T6_T7_T9_mT8_P12ihipStream_tbDpT10_ENKUlT_T0_E_clISt17integral_constantIbLb1EES1B_EEDaS16_S17_EUlS16_E_NS1_11comp_targetILNS1_3genE0ELNS1_11target_archE4294967295ELNS1_3gpuE0ELNS1_3repE0EEENS1_30default_config_static_selectorELNS0_4arch9wavefront6targetE1EEEvT1_, .Lfunc_end3043-_ZN7rocprim17ROCPRIM_400000_NS6detail17trampoline_kernelINS0_14default_configENS1_25partition_config_selectorILNS1_17partition_subalgoE1EjNS0_10empty_typeEbEEZZNS1_14partition_implILS5_1ELb0ES3_jN6thrust23THRUST_200600_302600_NS6detail15normal_iteratorINSA_10device_ptrIjEEEEPS6_NSA_18transform_iteratorI7is_evenIjESF_NSA_11use_defaultESK_EENS0_5tupleIJNSA_16discard_iteratorISK_EESF_EEENSM_IJSG_SG_EEES6_PlJS6_EEE10hipError_tPvRmT3_T4_T5_T6_T7_T9_mT8_P12ihipStream_tbDpT10_ENKUlT_T0_E_clISt17integral_constantIbLb1EES1B_EEDaS16_S17_EUlS16_E_NS1_11comp_targetILNS1_3genE0ELNS1_11target_archE4294967295ELNS1_3gpuE0ELNS1_3repE0EEENS1_30default_config_static_selectorELNS0_4arch9wavefront6targetE1EEEvT1_
                                        ; -- End function
	.section	.AMDGPU.csdata,"",@progbits
; Kernel info:
; codeLenInByte = 0
; NumSgprs: 6
; NumVgprs: 0
; NumAgprs: 0
; TotalNumVgprs: 0
; ScratchSize: 0
; MemoryBound: 0
; FloatMode: 240
; IeeeMode: 1
; LDSByteSize: 0 bytes/workgroup (compile time only)
; SGPRBlocks: 0
; VGPRBlocks: 0
; NumSGPRsForWavesPerEU: 6
; NumVGPRsForWavesPerEU: 1
; AccumOffset: 4
; Occupancy: 8
; WaveLimiterHint : 0
; COMPUTE_PGM_RSRC2:SCRATCH_EN: 0
; COMPUTE_PGM_RSRC2:USER_SGPR: 2
; COMPUTE_PGM_RSRC2:TRAP_HANDLER: 0
; COMPUTE_PGM_RSRC2:TGID_X_EN: 1
; COMPUTE_PGM_RSRC2:TGID_Y_EN: 0
; COMPUTE_PGM_RSRC2:TGID_Z_EN: 0
; COMPUTE_PGM_RSRC2:TIDIG_COMP_CNT: 0
; COMPUTE_PGM_RSRC3_GFX90A:ACCUM_OFFSET: 0
; COMPUTE_PGM_RSRC3_GFX90A:TG_SPLIT: 0
	.section	.text._ZN7rocprim17ROCPRIM_400000_NS6detail17trampoline_kernelINS0_14default_configENS1_25partition_config_selectorILNS1_17partition_subalgoE1EjNS0_10empty_typeEbEEZZNS1_14partition_implILS5_1ELb0ES3_jN6thrust23THRUST_200600_302600_NS6detail15normal_iteratorINSA_10device_ptrIjEEEEPS6_NSA_18transform_iteratorI7is_evenIjESF_NSA_11use_defaultESK_EENS0_5tupleIJNSA_16discard_iteratorISK_EESF_EEENSM_IJSG_SG_EEES6_PlJS6_EEE10hipError_tPvRmT3_T4_T5_T6_T7_T9_mT8_P12ihipStream_tbDpT10_ENKUlT_T0_E_clISt17integral_constantIbLb1EES1B_EEDaS16_S17_EUlS16_E_NS1_11comp_targetILNS1_3genE5ELNS1_11target_archE942ELNS1_3gpuE9ELNS1_3repE0EEENS1_30default_config_static_selectorELNS0_4arch9wavefront6targetE1EEEvT1_,"axG",@progbits,_ZN7rocprim17ROCPRIM_400000_NS6detail17trampoline_kernelINS0_14default_configENS1_25partition_config_selectorILNS1_17partition_subalgoE1EjNS0_10empty_typeEbEEZZNS1_14partition_implILS5_1ELb0ES3_jN6thrust23THRUST_200600_302600_NS6detail15normal_iteratorINSA_10device_ptrIjEEEEPS6_NSA_18transform_iteratorI7is_evenIjESF_NSA_11use_defaultESK_EENS0_5tupleIJNSA_16discard_iteratorISK_EESF_EEENSM_IJSG_SG_EEES6_PlJS6_EEE10hipError_tPvRmT3_T4_T5_T6_T7_T9_mT8_P12ihipStream_tbDpT10_ENKUlT_T0_E_clISt17integral_constantIbLb1EES1B_EEDaS16_S17_EUlS16_E_NS1_11comp_targetILNS1_3genE5ELNS1_11target_archE942ELNS1_3gpuE9ELNS1_3repE0EEENS1_30default_config_static_selectorELNS0_4arch9wavefront6targetE1EEEvT1_,comdat
	.protected	_ZN7rocprim17ROCPRIM_400000_NS6detail17trampoline_kernelINS0_14default_configENS1_25partition_config_selectorILNS1_17partition_subalgoE1EjNS0_10empty_typeEbEEZZNS1_14partition_implILS5_1ELb0ES3_jN6thrust23THRUST_200600_302600_NS6detail15normal_iteratorINSA_10device_ptrIjEEEEPS6_NSA_18transform_iteratorI7is_evenIjESF_NSA_11use_defaultESK_EENS0_5tupleIJNSA_16discard_iteratorISK_EESF_EEENSM_IJSG_SG_EEES6_PlJS6_EEE10hipError_tPvRmT3_T4_T5_T6_T7_T9_mT8_P12ihipStream_tbDpT10_ENKUlT_T0_E_clISt17integral_constantIbLb1EES1B_EEDaS16_S17_EUlS16_E_NS1_11comp_targetILNS1_3genE5ELNS1_11target_archE942ELNS1_3gpuE9ELNS1_3repE0EEENS1_30default_config_static_selectorELNS0_4arch9wavefront6targetE1EEEvT1_ ; -- Begin function _ZN7rocprim17ROCPRIM_400000_NS6detail17trampoline_kernelINS0_14default_configENS1_25partition_config_selectorILNS1_17partition_subalgoE1EjNS0_10empty_typeEbEEZZNS1_14partition_implILS5_1ELb0ES3_jN6thrust23THRUST_200600_302600_NS6detail15normal_iteratorINSA_10device_ptrIjEEEEPS6_NSA_18transform_iteratorI7is_evenIjESF_NSA_11use_defaultESK_EENS0_5tupleIJNSA_16discard_iteratorISK_EESF_EEENSM_IJSG_SG_EEES6_PlJS6_EEE10hipError_tPvRmT3_T4_T5_T6_T7_T9_mT8_P12ihipStream_tbDpT10_ENKUlT_T0_E_clISt17integral_constantIbLb1EES1B_EEDaS16_S17_EUlS16_E_NS1_11comp_targetILNS1_3genE5ELNS1_11target_archE942ELNS1_3gpuE9ELNS1_3repE0EEENS1_30default_config_static_selectorELNS0_4arch9wavefront6targetE1EEEvT1_
	.globl	_ZN7rocprim17ROCPRIM_400000_NS6detail17trampoline_kernelINS0_14default_configENS1_25partition_config_selectorILNS1_17partition_subalgoE1EjNS0_10empty_typeEbEEZZNS1_14partition_implILS5_1ELb0ES3_jN6thrust23THRUST_200600_302600_NS6detail15normal_iteratorINSA_10device_ptrIjEEEEPS6_NSA_18transform_iteratorI7is_evenIjESF_NSA_11use_defaultESK_EENS0_5tupleIJNSA_16discard_iteratorISK_EESF_EEENSM_IJSG_SG_EEES6_PlJS6_EEE10hipError_tPvRmT3_T4_T5_T6_T7_T9_mT8_P12ihipStream_tbDpT10_ENKUlT_T0_E_clISt17integral_constantIbLb1EES1B_EEDaS16_S17_EUlS16_E_NS1_11comp_targetILNS1_3genE5ELNS1_11target_archE942ELNS1_3gpuE9ELNS1_3repE0EEENS1_30default_config_static_selectorELNS0_4arch9wavefront6targetE1EEEvT1_
	.p2align	8
	.type	_ZN7rocprim17ROCPRIM_400000_NS6detail17trampoline_kernelINS0_14default_configENS1_25partition_config_selectorILNS1_17partition_subalgoE1EjNS0_10empty_typeEbEEZZNS1_14partition_implILS5_1ELb0ES3_jN6thrust23THRUST_200600_302600_NS6detail15normal_iteratorINSA_10device_ptrIjEEEEPS6_NSA_18transform_iteratorI7is_evenIjESF_NSA_11use_defaultESK_EENS0_5tupleIJNSA_16discard_iteratorISK_EESF_EEENSM_IJSG_SG_EEES6_PlJS6_EEE10hipError_tPvRmT3_T4_T5_T6_T7_T9_mT8_P12ihipStream_tbDpT10_ENKUlT_T0_E_clISt17integral_constantIbLb1EES1B_EEDaS16_S17_EUlS16_E_NS1_11comp_targetILNS1_3genE5ELNS1_11target_archE942ELNS1_3gpuE9ELNS1_3repE0EEENS1_30default_config_static_selectorELNS0_4arch9wavefront6targetE1EEEvT1_,@function
_ZN7rocprim17ROCPRIM_400000_NS6detail17trampoline_kernelINS0_14default_configENS1_25partition_config_selectorILNS1_17partition_subalgoE1EjNS0_10empty_typeEbEEZZNS1_14partition_implILS5_1ELb0ES3_jN6thrust23THRUST_200600_302600_NS6detail15normal_iteratorINSA_10device_ptrIjEEEEPS6_NSA_18transform_iteratorI7is_evenIjESF_NSA_11use_defaultESK_EENS0_5tupleIJNSA_16discard_iteratorISK_EESF_EEENSM_IJSG_SG_EEES6_PlJS6_EEE10hipError_tPvRmT3_T4_T5_T6_T7_T9_mT8_P12ihipStream_tbDpT10_ENKUlT_T0_E_clISt17integral_constantIbLb1EES1B_EEDaS16_S17_EUlS16_E_NS1_11comp_targetILNS1_3genE5ELNS1_11target_archE942ELNS1_3gpuE9ELNS1_3repE0EEENS1_30default_config_static_selectorELNS0_4arch9wavefront6targetE1EEEvT1_: ; @_ZN7rocprim17ROCPRIM_400000_NS6detail17trampoline_kernelINS0_14default_configENS1_25partition_config_selectorILNS1_17partition_subalgoE1EjNS0_10empty_typeEbEEZZNS1_14partition_implILS5_1ELb0ES3_jN6thrust23THRUST_200600_302600_NS6detail15normal_iteratorINSA_10device_ptrIjEEEEPS6_NSA_18transform_iteratorI7is_evenIjESF_NSA_11use_defaultESK_EENS0_5tupleIJNSA_16discard_iteratorISK_EESF_EEENSM_IJSG_SG_EEES6_PlJS6_EEE10hipError_tPvRmT3_T4_T5_T6_T7_T9_mT8_P12ihipStream_tbDpT10_ENKUlT_T0_E_clISt17integral_constantIbLb1EES1B_EEDaS16_S17_EUlS16_E_NS1_11comp_targetILNS1_3genE5ELNS1_11target_archE942ELNS1_3gpuE9ELNS1_3repE0EEENS1_30default_config_static_selectorELNS0_4arch9wavefront6targetE1EEEvT1_
; %bb.0:
	s_load_dwordx2 s[2:3], s[0:1], 0x20
	s_load_dwordx4 s[20:23], s[0:1], 0x58
	s_load_dwordx2 s[6:7], s[0:1], 0x68
	s_load_dwordx2 s[30:31], s[0:1], 0x78
	v_cmp_eq_u32_e64 s[18:19], 0, v0
	s_and_saveexec_b64 s[4:5], s[18:19]
	s_cbranch_execz .LBB3044_4
; %bb.1:
	s_mov_b64 s[10:11], exec
	v_mbcnt_lo_u32_b32 v1, s10, 0
	v_mbcnt_hi_u32_b32 v1, s11, v1
	v_cmp_eq_u32_e32 vcc, 0, v1
                                        ; implicit-def: $vgpr2
	s_and_saveexec_b64 s[8:9], vcc
	s_cbranch_execz .LBB3044_3
; %bb.2:
	s_load_dwordx2 s[12:13], s[0:1], 0x88
	s_bcnt1_i32_b64 s10, s[10:11]
	v_mov_b32_e32 v2, 0
	v_mov_b32_e32 v3, s10
	s_waitcnt lgkmcnt(0)
	global_atomic_add v2, v2, v3, s[12:13] sc0
.LBB3044_3:
	s_or_b64 exec, exec, s[8:9]
	s_waitcnt vmcnt(0)
	v_readfirstlane_b32 s8, v2
	v_mov_b32_e32 v2, 0
	s_nop 0
	v_add_u32_e32 v1, s8, v1
	ds_write_b32 v2, v1
.LBB3044_4:
	s_or_b64 exec, exec, s[4:5]
	v_mov_b32_e32 v23, 0
	s_load_dwordx4 s[24:27], s[0:1], 0x8
	s_load_dwordx2 s[28:29], s[0:1], 0x40
	s_load_dword s8, s[0:1], 0x80
	s_waitcnt lgkmcnt(0)
	s_barrier
	ds_read_b32 v1, v23
	s_waitcnt lgkmcnt(0)
	s_barrier
	global_load_dwordx2 v[24:25], v23, s[22:23]
	v_mov_b32_e32 v3, s7
	s_lshl_b64 s[4:5], s[26:27], 2
	s_movk_i32 s7, 0x1e00
	s_add_u32 s0, s24, s4
	v_mul_lo_u32 v22, v1, s7
	s_mul_i32 s7, s8, 0x1e00
	s_addc_u32 s1, s25, s5
	s_add_i32 s9, s8, -1
	s_add_i32 s8, s7, s26
	s_sub_i32 s33, s6, s8
	s_addk_i32 s33, 0x1e00
	v_mov_b32_e32 v2, s6
	s_add_u32 s6, s26, s7
	v_readfirstlane_b32 s38, v1
	s_addc_u32 s7, s27, 0
	s_cmp_eq_u32 s38, s9
	s_cselect_b64 s[22:23], -1, 0
	s_cmp_lg_u32 s38, s9
	v_cmp_lt_u64_e32 vcc, s[6:7], v[2:3]
	s_cselect_b64 s[6:7], -1, 0
	s_or_b64 s[24:25], vcc, s[6:7]
	v_lshlrev_b64 v[26:27], 2, v[22:23]
	v_lshl_add_u64 v[18:19], s[0:1], 0, v[26:27]
	s_mov_b64 s[0:1], -1
	s_and_b64 vcc, exec, s[24:25]
	v_lshlrev_b32_e32 v22, 2, v0
	s_cbranch_vccz .LBB3044_6
; %bb.5:
	v_lshl_add_u64 v[2:3], v[18:19], 0, v[22:23]
	v_add_co_u32_e32 v4, vcc, 0x1000, v2
	s_mov_b64 s[0:1], 0
	s_nop 0
	v_addc_co_u32_e32 v5, vcc, 0, v3, vcc
	v_add_co_u32_e32 v6, vcc, 0x2000, v2
	s_nop 1
	v_addc_co_u32_e32 v7, vcc, 0, v3, vcc
	v_add_co_u32_e32 v8, vcc, 0x3000, v2
	s_nop 1
	v_addc_co_u32_e32 v9, vcc, 0, v3, vcc
	flat_load_dword v1, v[2:3]
	flat_load_dword v10, v[2:3] offset:2048
	flat_load_dword v11, v[4:5]
	flat_load_dword v12, v[4:5] offset:2048
	;; [unrolled: 2-line block ×4, first 2 shown]
	v_add_co_u32_e32 v4, vcc, 0x4000, v2
	s_nop 1
	v_addc_co_u32_e32 v5, vcc, 0, v3, vcc
	v_add_co_u32_e32 v6, vcc, 0x5000, v2
	s_nop 1
	v_addc_co_u32_e32 v7, vcc, 0, v3, vcc
	;; [unrolled: 3-line block ×4, first 2 shown]
	flat_load_dword v17, v[4:5]
	flat_load_dword v20, v[4:5] offset:2048
	flat_load_dword v21, v[6:7]
	flat_load_dword v23, v[6:7] offset:2048
	;; [unrolled: 2-line block ×3, first 2 shown]
	flat_load_dword v30, v[2:3]
	s_waitcnt vmcnt(0) lgkmcnt(0)
	ds_write2st64_b32 v22, v1, v10 offset1:8
	ds_write2st64_b32 v22, v11, v12 offset0:16 offset1:24
	ds_write2st64_b32 v22, v13, v14 offset0:32 offset1:40
	;; [unrolled: 1-line block ×6, first 2 shown]
	ds_write_b32 v22, v30 offset:28672
	s_waitcnt lgkmcnt(0)
	s_barrier
.LBB3044_6:
	s_andn2_b64 vcc, exec, s[0:1]
	v_cmp_gt_u32_e64 s[0:1], s33, v0
	s_cbranch_vccnz .LBB3044_38
; %bb.7:
                                        ; implicit-def: $vgpr2_vgpr3_vgpr4_vgpr5_vgpr6_vgpr7_vgpr8_vgpr9_vgpr10_vgpr11_vgpr12_vgpr13_vgpr14_vgpr15_vgpr16_vgpr17
	s_and_saveexec_b64 s[6:7], s[0:1]
	s_cbranch_execz .LBB3044_9
; %bb.8:
	v_mov_b32_e32 v23, 0
	v_lshl_add_u64 v[2:3], v[18:19], 0, v[22:23]
	flat_load_dword v2, v[2:3]
.LBB3044_9:
	s_or_b64 exec, exec, s[6:7]
	v_or_b32_e32 v1, 0x200, v0
	v_cmp_gt_u32_e32 vcc, s33, v1
	s_and_saveexec_b64 s[0:1], vcc
	s_cbranch_execz .LBB3044_11
; %bb.10:
	v_mov_b32_e32 v23, 0
	v_lshl_add_u64 v[20:21], v[18:19], 0, v[22:23]
	flat_load_dword v3, v[20:21] offset:2048
.LBB3044_11:
	s_or_b64 exec, exec, s[0:1]
	v_or_b32_e32 v1, 0x400, v0
	v_cmp_gt_u32_e32 vcc, s33, v1
	s_and_saveexec_b64 s[0:1], vcc
	s_cbranch_execz .LBB3044_13
; %bb.12:
	v_lshlrev_b32_e32 v20, 2, v1
	v_mov_b32_e32 v21, 0
	v_lshl_add_u64 v[20:21], v[18:19], 0, v[20:21]
	flat_load_dword v4, v[20:21]
.LBB3044_13:
	s_or_b64 exec, exec, s[0:1]
	v_or_b32_e32 v1, 0x600, v0
	v_cmp_gt_u32_e32 vcc, s33, v1
	s_and_saveexec_b64 s[0:1], vcc
	s_cbranch_execz .LBB3044_15
; %bb.14:
	v_lshlrev_b32_e32 v20, 2, v1
	v_mov_b32_e32 v21, 0
	v_lshl_add_u64 v[20:21], v[18:19], 0, v[20:21]
	flat_load_dword v5, v[20:21]
.LBB3044_15:
	;; [unrolled: 11-line block ×13, first 2 shown]
	s_or_b64 exec, exec, s[0:1]
	s_waitcnt vmcnt(0) lgkmcnt(0)
	ds_write2st64_b32 v22, v2, v3 offset1:8
	ds_write2st64_b32 v22, v4, v5 offset0:16 offset1:24
	ds_write2st64_b32 v22, v6, v7 offset0:32 offset1:40
	;; [unrolled: 1-line block ×6, first 2 shown]
	ds_write_b32 v22, v16 offset:28672
	s_waitcnt lgkmcnt(0)
	s_barrier
.LBB3044_38:
	v_mul_u32_u24_e32 v21, 15, v0
	v_lshlrev_b32_e32 v1, 2, v21
	ds_read2_b32 v[40:41], v1 offset1:1
	ds_read2_b32 v[38:39], v1 offset0:2 offset1:3
	ds_read2_b32 v[36:37], v1 offset0:4 offset1:5
	;; [unrolled: 1-line block ×6, first 2 shown]
	ds_read_b32 v1, v1 offset:56
	s_add_u32 s0, s2, s4
	s_addc_u32 s1, s3, s5
	v_lshl_add_u64 v[2:3], s[0:1], 0, v[26:27]
	s_mov_b64 s[0:1], -1
	s_and_b64 vcc, exec, s[24:25]
	s_waitcnt lgkmcnt(0)
	s_barrier
	s_cbranch_vccz .LBB3044_40
; %bb.39:
	v_mov_b32_e32 v23, 0
	v_lshl_add_u64 v[4:5], v[2:3], 0, v[22:23]
	v_add_co_u32_e32 v6, vcc, 0x1000, v4
	v_readfirstlane_b32 s0, v2
	s_nop 0
	v_addc_co_u32_e32 v7, vcc, 0, v5, vcc
	v_add_co_u32_e32 v8, vcc, 0x2000, v4
	v_readfirstlane_b32 s1, v3
	s_nop 0
	v_addc_co_u32_e32 v9, vcc, 0, v5, vcc
	s_nop 2
	global_load_dword v10, v22, s[0:1]
	global_load_dword v11, v22, s[0:1] offset:2048
	global_load_dword v12, v[6:7], off
	global_load_dword v13, v[6:7], off offset:2048
	global_load_dword v14, v[8:9], off
	global_load_dword v15, v[8:9], off offset:2048
	v_add_co_u32_e32 v6, vcc, 0x3000, v4
	s_mov_b64 s[0:1], 0
	s_nop 0
	v_addc_co_u32_e32 v7, vcc, 0, v5, vcc
	v_add_co_u32_e32 v8, vcc, 0x4000, v4
	s_nop 1
	v_addc_co_u32_e32 v9, vcc, 0, v5, vcc
	global_load_dword v16, v[6:7], off
	global_load_dword v17, v[6:7], off offset:2048
	global_load_dword v18, v[8:9], off
	global_load_dword v19, v[8:9], off offset:2048
	v_add_co_u32_e32 v6, vcc, 0x5000, v4
	s_nop 1
	v_addc_co_u32_e32 v7, vcc, 0, v5, vcc
	global_load_dword v8, v[6:7], off
	global_load_dword v9, v[6:7], off offset:2048
	v_add_co_u32_e32 v6, vcc, 0x6000, v4
	s_waitcnt vmcnt(1)
	v_xor_b32_e32 v8, -1, v8
	v_addc_co_u32_e32 v7, vcc, 0, v5, vcc
	v_add_co_u32_e32 v4, vcc, 0x7000, v4
	global_load_dword v20, v[6:7], off
	global_load_dword v23, v[6:7], off offset:2048
	v_addc_co_u32_e32 v5, vcc, 0, v5, vcc
	global_load_dword v4, v[4:5], off
	v_xor_b32_e32 v5, -1, v10
	v_xor_b32_e32 v6, -1, v11
	v_and_b32_e32 v5, 1, v5
	v_and_b32_e32 v6, 1, v6
	ds_write_b8 v0, v5
	ds_write_b8 v0, v6 offset:512
	v_xor_b32_e32 v5, -1, v12
	v_xor_b32_e32 v6, -1, v13
	v_and_b32_e32 v5, 1, v5
	v_and_b32_e32 v6, 1, v6
	v_xor_b32_e32 v7, -1, v14
	v_xor_b32_e32 v11, -1, v16
	;; [unrolled: 1-line block ×4, first 2 shown]
	v_and_b32_e32 v7, 1, v7
	ds_write_b8 v0, v5 offset:1024
	ds_write_b8 v0, v6 offset:1536
	v_and_b32_e32 v5, 1, v11
	v_and_b32_e32 v6, 1, v12
	v_xor_b32_e32 v11, -1, v18
	s_waitcnt vmcnt(3)
	v_xor_b32_e32 v9, -1, v9
	v_and_b32_e32 v10, 1, v10
	v_xor_b32_e32 v12, -1, v19
	ds_write_b8 v0, v7 offset:2048
	ds_write_b8 v0, v10 offset:2560
	v_and_b32_e32 v7, 1, v11
	ds_write_b8 v0, v5 offset:3072
	ds_write_b8 v0, v6 offset:3584
	v_and_b32_e32 v5, 1, v8
	v_and_b32_e32 v6, 1, v9
	;; [unrolled: 1-line block ×3, first 2 shown]
	s_waitcnt vmcnt(2)
	v_xor_b32_e32 v8, -1, v20
	s_waitcnt vmcnt(1)
	v_xor_b32_e32 v9, -1, v23
	v_and_b32_e32 v8, 1, v8
	v_and_b32_e32 v9, 1, v9
	s_waitcnt vmcnt(0)
	v_xor_b32_e32 v4, -1, v4
	v_and_b32_e32 v4, 1, v4
	ds_write_b8 v0, v7 offset:4096
	ds_write_b8 v0, v10 offset:4608
	;; [unrolled: 1-line block ×7, first 2 shown]
	s_waitcnt lgkmcnt(0)
	s_barrier
.LBB3044_40:
	s_andn2_b64 vcc, exec, s[0:1]
	s_cbranch_vccnz .LBB3044_72
; %bb.41:
	v_cmp_gt_u32_e32 vcc, s33, v0
	v_mov_b32_e32 v4, 0
	v_mov_b32_e32 v5, 0
	s_and_saveexec_b64 s[0:1], vcc
	s_cbranch_execz .LBB3044_43
; %bb.42:
	v_readfirstlane_b32 s2, v2
	v_readfirstlane_b32 s3, v3
	s_nop 4
	global_load_dword v5, v22, s[2:3]
	s_waitcnt vmcnt(0)
	v_xor_b32_e32 v5, -1, v5
	v_and_b32_e32 v5, 1, v5
.LBB3044_43:
	s_or_b64 exec, exec, s[0:1]
	v_or_b32_e32 v6, 0x200, v0
	v_cmp_gt_u32_e32 vcc, s33, v6
	s_and_saveexec_b64 s[0:1], vcc
	s_cbranch_execz .LBB3044_45
; %bb.44:
	v_readfirstlane_b32 s2, v2
	v_readfirstlane_b32 s3, v3
	s_nop 4
	global_load_dword v4, v22, s[2:3] offset:2048
	s_waitcnt vmcnt(0)
	v_xor_b32_e32 v4, -1, v4
	v_and_b32_e32 v4, 1, v4
.LBB3044_45:
	s_or_b64 exec, exec, s[0:1]
	v_or_b32_e32 v8, 0x400, v0
	v_cmp_gt_u32_e32 vcc, s33, v8
	v_mov_b32_e32 v6, 0
	v_mov_b32_e32 v7, 0
	s_and_saveexec_b64 s[0:1], vcc
	s_cbranch_execz .LBB3044_47
; %bb.46:
	v_lshlrev_b32_e32 v7, 2, v8
	v_readfirstlane_b32 s2, v2
	v_readfirstlane_b32 s3, v3
	s_nop 4
	global_load_dword v7, v7, s[2:3]
	s_waitcnt vmcnt(0)
	v_xor_b32_e32 v7, -1, v7
	v_and_b32_e32 v7, 1, v7
.LBB3044_47:
	s_or_b64 exec, exec, s[0:1]
	v_or_b32_e32 v8, 0x600, v0
	v_cmp_gt_u32_e32 vcc, s33, v8
	s_and_saveexec_b64 s[0:1], vcc
	s_cbranch_execz .LBB3044_49
; %bb.48:
	v_lshlrev_b32_e32 v6, 2, v8
	v_readfirstlane_b32 s2, v2
	v_readfirstlane_b32 s3, v3
	s_nop 4
	global_load_dword v6, v6, s[2:3]
	s_waitcnt vmcnt(0)
	v_xor_b32_e32 v6, -1, v6
	v_and_b32_e32 v6, 1, v6
.LBB3044_49:
	s_or_b64 exec, exec, s[0:1]
	v_or_b32_e32 v10, 0x800, v0
	v_cmp_gt_u32_e32 vcc, s33, v10
	v_mov_b32_e32 v8, 0
	v_mov_b32_e32 v9, 0
	s_and_saveexec_b64 s[0:1], vcc
	s_cbranch_execz .LBB3044_51
; %bb.50:
	v_lshlrev_b32_e32 v9, 2, v10
	v_readfirstlane_b32 s2, v2
	v_readfirstlane_b32 s3, v3
	s_nop 4
	global_load_dword v9, v9, s[2:3]
	s_waitcnt vmcnt(0)
	v_xor_b32_e32 v9, -1, v9
	v_and_b32_e32 v9, 1, v9
.LBB3044_51:
	s_or_b64 exec, exec, s[0:1]
	v_or_b32_e32 v10, 0xa00, v0
	v_cmp_gt_u32_e32 vcc, s33, v10
	s_and_saveexec_b64 s[0:1], vcc
	s_cbranch_execz .LBB3044_53
; %bb.52:
	v_lshlrev_b32_e32 v8, 2, v10
	v_readfirstlane_b32 s2, v2
	v_readfirstlane_b32 s3, v3
	s_nop 4
	global_load_dword v8, v8, s[2:3]
	s_waitcnt vmcnt(0)
	v_xor_b32_e32 v8, -1, v8
	v_and_b32_e32 v8, 1, v8
.LBB3044_53:
	;; [unrolled: 32-line block ×6, first 2 shown]
	s_or_b64 exec, exec, s[0:1]
	v_or_b32_e32 v19, 0x1c00, v0
	v_cmp_gt_u32_e32 vcc, s33, v19
	v_mov_b32_e32 v18, 0
	s_and_saveexec_b64 s[0:1], vcc
	s_cbranch_execz .LBB3044_71
; %bb.70:
	v_lshlrev_b32_e32 v18, 2, v19
	v_readfirstlane_b32 s2, v2
	v_readfirstlane_b32 s3, v3
	s_nop 4
	global_load_dword v2, v18, s[2:3]
	s_waitcnt vmcnt(0)
	v_xor_b32_e32 v2, -1, v2
	v_and_b32_e32 v18, 1, v2
.LBB3044_71:
	s_or_b64 exec, exec, s[0:1]
	ds_write_b8 v0, v5
	ds_write_b8 v0, v4 offset:512
	ds_write_b8 v0, v7 offset:1024
	;; [unrolled: 1-line block ×14, first 2 shown]
	s_waitcnt lgkmcnt(0)
	s_barrier
.LBB3044_72:
	ds_read_b96 v[18:20], v21
	ds_read_u8 v2, v21 offset:12
	ds_read_u8 v3, v21 offset:13
	;; [unrolled: 1-line block ×3, first 2 shown]
	s_cmp_lg_u32 s38, 0
	v_lshrrev_b32_e32 v60, 6, v0
	s_waitcnt lgkmcnt(2)
	v_and_b32_e32 v47, 1, v2
	v_and_b32_e32 v56, 0xff, v18
	v_bfe_u32 v57, v18, 8, 8
	v_bfe_u32 v58, v18, 16, 8
	v_lshrrev_b32_e32 v49, 24, v18
	v_and_b32_e32 v53, 0xff, v19
	v_add3_u32 v2, v57, v56, v58
	v_bfe_u32 v54, v19, 8, 8
	v_bfe_u32 v55, v19, 16, 8
	v_add3_u32 v2, v2, v49, v53
	v_lshrrev_b32_e32 v48, 24, v19
	v_and_b32_e32 v50, 0xff, v20
	v_add3_u32 v2, v2, v54, v55
	v_bfe_u32 v51, v20, 8, 8
	v_bfe_u32 v52, v20, 16, 8
	v_add3_u32 v2, v2, v48, v50
	v_lshrrev_b32_e32 v46, 24, v20
	v_add3_u32 v2, v2, v51, v52
	s_waitcnt lgkmcnt(1)
	v_and_b32_e32 v45, 1, v3
	s_waitcnt lgkmcnt(0)
	v_and_b32_e32 v23, 1, v4
	v_add3_u32 v2, v2, v46, v47
	v_add3_u32 v61, v2, v45, v23
	v_mbcnt_lo_u32_b32 v2, -1, 0
	v_mbcnt_hi_u32_b32 v59, -1, v2
	v_and_b32_e32 v2, 15, v59
	v_cmp_eq_u32_e64 s[14:15], 0, v2
	v_cmp_lt_u32_e64 s[12:13], 1, v2
	v_cmp_lt_u32_e64 s[10:11], 3, v2
	;; [unrolled: 1-line block ×3, first 2 shown]
	v_and_b32_e32 v2, 16, v59
	v_cmp_eq_u32_e64 s[6:7], 0, v2
	v_or_b32_e32 v2, 63, v0
	v_cmp_lt_u32_e64 s[2:3], 31, v59
	v_cmp_eq_u32_e64 s[4:5], v2, v0
	s_barrier
	s_cbranch_scc0 .LBB3044_103
; %bb.73:
	v_mov_b32_dpp v2, v61 row_shr:1 row_mask:0xf bank_mask:0xf
	v_cndmask_b32_e64 v2, v2, 0, s[14:15]
	v_add_u32_e32 v2, v2, v61
	s_nop 1
	v_mov_b32_dpp v3, v2 row_shr:2 row_mask:0xf bank_mask:0xf
	v_cndmask_b32_e64 v3, 0, v3, s[12:13]
	v_add_u32_e32 v2, v2, v3
	s_nop 1
	;; [unrolled: 4-line block ×4, first 2 shown]
	v_mov_b32_dpp v3, v2 row_bcast:15 row_mask:0xf bank_mask:0xf
	v_cndmask_b32_e64 v3, v3, 0, s[6:7]
	v_add_u32_e32 v2, v2, v3
	s_nop 1
	v_mov_b32_dpp v3, v2 row_bcast:31 row_mask:0xf bank_mask:0xf
	v_cndmask_b32_e64 v3, 0, v3, s[2:3]
	v_add_u32_e32 v2, v2, v3
	s_and_saveexec_b64 s[0:1], s[4:5]
	s_cbranch_execz .LBB3044_75
; %bb.74:
	v_lshlrev_b32_e32 v3, 2, v60
	ds_write_b32 v3, v2
.LBB3044_75:
	s_or_b64 exec, exec, s[0:1]
	v_cmp_gt_u32_e32 vcc, 8, v0
	s_waitcnt lgkmcnt(0)
	s_barrier
	s_and_saveexec_b64 s[0:1], vcc
	s_cbranch_execz .LBB3044_77
; %bb.76:
	ds_read_b32 v3, v22
	v_and_b32_e32 v4, 7, v59
	v_cmp_ne_u32_e32 vcc, 0, v4
	s_waitcnt lgkmcnt(0)
	v_mov_b32_dpp v5, v3 row_shr:1 row_mask:0xf bank_mask:0xf
	v_cndmask_b32_e32 v5, 0, v5, vcc
	v_add_u32_e32 v3, v5, v3
	v_cmp_lt_u32_e32 vcc, 1, v4
	s_nop 0
	v_mov_b32_dpp v5, v3 row_shr:2 row_mask:0xf bank_mask:0xf
	v_cndmask_b32_e32 v5, 0, v5, vcc
	v_add_u32_e32 v3, v3, v5
	v_cmp_lt_u32_e32 vcc, 3, v4
	s_nop 0
	v_mov_b32_dpp v5, v3 row_shr:4 row_mask:0xf bank_mask:0xf
	v_cndmask_b32_e32 v4, 0, v5, vcc
	v_add_u32_e32 v3, v3, v4
	ds_write_b32 v22, v3
.LBB3044_77:
	s_or_b64 exec, exec, s[0:1]
	v_cmp_gt_u32_e32 vcc, 64, v0
	v_cmp_lt_u32_e64 s[0:1], 63, v0
	s_waitcnt lgkmcnt(0)
	s_barrier
	s_waitcnt lgkmcnt(0)
                                        ; implicit-def: $vgpr12
	s_and_saveexec_b64 s[16:17], s[0:1]
	s_cbranch_execz .LBB3044_79
; %bb.78:
	v_lshl_add_u32 v3, v60, 2, -4
	ds_read_b32 v12, v3
	s_waitcnt lgkmcnt(0)
	v_add_u32_e32 v2, v12, v2
.LBB3044_79:
	s_or_b64 exec, exec, s[16:17]
	v_add_u32_e32 v3, -1, v59
	v_and_b32_e32 v4, 64, v59
	v_cmp_lt_i32_e64 s[0:1], v3, v4
	v_cmp_eq_u32_e64 s[16:17], 0, v59
	s_nop 0
	v_cndmask_b32_e64 v3, v3, v59, s[0:1]
	v_lshlrev_b32_e32 v3, 2, v3
	ds_bpermute_b32 v13, v3, v2
	s_and_saveexec_b64 s[0:1], vcc
	s_cbranch_execz .LBB3044_102
; %bb.80:
	v_mov_b32_e32 v11, 0
	ds_read_b32 v2, v11 offset:28
	s_and_saveexec_b64 s[34:35], s[16:17]
	s_cbranch_execz .LBB3044_82
; %bb.81:
	s_add_i32 s36, s38, 64
	s_mov_b32 s37, 0
	s_lshl_b64 s[36:37], s[36:37], 3
	s_add_u32 s36, s30, s36
	v_mov_b32_e32 v3, 1
	s_addc_u32 s37, s31, s37
	s_waitcnt lgkmcnt(0)
	global_store_dwordx2 v11, v[2:3], s[36:37] sc1
.LBB3044_82:
	s_or_b64 exec, exec, s[34:35]
	v_xad_u32 v4, v59, -1, s38
	v_add_u32_e32 v10, 64, v4
	v_lshl_add_u64 v[6:7], v[10:11], 3, s[30:31]
	global_load_dwordx2 v[8:9], v[6:7], off sc1
	s_waitcnt vmcnt(0)
	v_cmp_eq_u16_sdwa s[36:37], v9, v11 src0_sel:BYTE_0 src1_sel:DWORD
	s_and_saveexec_b64 s[34:35], s[36:37]
	s_cbranch_execz .LBB3044_88
; %bb.83:
	s_mov_b32 s39, 1
	s_mov_b64 s[36:37], 0
	v_mov_b32_e32 v3, 0
.LBB3044_84:                            ; =>This Loop Header: Depth=1
                                        ;     Child Loop BB3044_85 Depth 2
	s_max_u32 s40, s39, 1
.LBB3044_85:                            ;   Parent Loop BB3044_84 Depth=1
                                        ; =>  This Inner Loop Header: Depth=2
	s_add_i32 s40, s40, -1
	s_cmp_eq_u32 s40, 0
	s_sleep 1
	s_cbranch_scc0 .LBB3044_85
; %bb.86:                               ;   in Loop: Header=BB3044_84 Depth=1
	global_load_dwordx2 v[8:9], v[6:7], off sc1
	s_cmp_lt_u32 s39, 32
	s_cselect_b64 s[40:41], -1, 0
	s_cmp_lg_u64 s[40:41], 0
	s_addc_u32 s39, s39, 0
	s_waitcnt vmcnt(0)
	v_cmp_ne_u16_sdwa s[40:41], v9, v3 src0_sel:BYTE_0 src1_sel:DWORD
	s_or_b64 s[36:37], s[40:41], s[36:37]
	s_andn2_b64 exec, exec, s[36:37]
	s_cbranch_execnz .LBB3044_84
; %bb.87:
	s_or_b64 exec, exec, s[36:37]
.LBB3044_88:
	s_or_b64 exec, exec, s[34:35]
	v_and_b32_e32 v15, 63, v59
	v_mov_b32_e32 v14, 2
	v_cmp_ne_u32_e32 vcc, 63, v15
	v_cmp_eq_u16_sdwa s[34:35], v9, v14 src0_sel:BYTE_0 src1_sel:DWORD
	v_lshlrev_b64 v[6:7], v59, -1
	v_addc_co_u32_e32 v10, vcc, 0, v59, vcc
	v_and_b32_e32 v3, s35, v7
	v_lshlrev_b32_e32 v16, 2, v10
	v_or_b32_e32 v3, 0x80000000, v3
	ds_bpermute_b32 v10, v16, v8
	v_and_b32_e32 v5, s34, v6
	v_ffbl_b32_e32 v3, v3
	v_add_u32_e32 v3, 32, v3
	v_ffbl_b32_e32 v5, v5
	v_min_u32_e32 v3, v5, v3
	v_cmp_lt_u32_e32 vcc, v15, v3
	v_add_u32_e32 v42, 2, v15
	v_add_u32_e32 v44, 4, v15
	s_waitcnt lgkmcnt(0)
	v_cndmask_b32_e32 v5, 0, v10, vcc
	v_cmp_gt_u32_e32 vcc, 62, v15
	v_add_u32_e32 v5, v5, v8
	v_add_u32_e32 v63, 8, v15
	v_cndmask_b32_e64 v8, 0, 1, vcc
	v_lshlrev_b32_e32 v8, 1, v8
	v_add_lshl_u32 v17, v8, v59, 2
	ds_bpermute_b32 v8, v17, v5
	v_cmp_le_u32_e32 vcc, v42, v3
	v_add_u32_e32 v65, 16, v15
	v_add_u32_e32 v67, 32, v15
	s_waitcnt lgkmcnt(0)
	v_cndmask_b32_e32 v8, 0, v8, vcc
	v_cmp_gt_u32_e32 vcc, 60, v15
	v_add_u32_e32 v5, v5, v8
	s_nop 0
	v_cndmask_b32_e64 v8, 0, 1, vcc
	v_lshlrev_b32_e32 v8, 2, v8
	v_add_lshl_u32 v43, v8, v59, 2
	ds_bpermute_b32 v8, v43, v5
	v_cmp_le_u32_e32 vcc, v44, v3
	s_waitcnt lgkmcnt(0)
	s_nop 0
	v_cndmask_b32_e32 v8, 0, v8, vcc
	v_cmp_gt_u32_e32 vcc, 56, v15
	v_add_u32_e32 v5, v5, v8
	s_nop 0
	v_cndmask_b32_e64 v8, 0, 1, vcc
	v_lshlrev_b32_e32 v8, 3, v8
	v_add_lshl_u32 v62, v8, v59, 2
	ds_bpermute_b32 v8, v62, v5
	v_cmp_le_u32_e32 vcc, v63, v3
	s_waitcnt lgkmcnt(0)
	s_nop 0
	;; [unrolled: 11-line block ×4, first 2 shown]
	v_cndmask_b32_e32 v3, 0, v8, vcc
	v_add_u32_e32 v8, v5, v3
	v_mov_b32_e32 v5, 0
	s_branch .LBB3044_90
.LBB3044_89:                            ;   in Loop: Header=BB3044_90 Depth=1
	s_or_b64 exec, exec, s[34:35]
	v_cmp_eq_u16_sdwa s[34:35], v9, v14 src0_sel:BYTE_0 src1_sel:DWORD
	ds_bpermute_b32 v68, v16, v8
	v_subrev_u32_e32 v4, 64, v4
	v_and_b32_e32 v10, s35, v7
	v_or_b32_e32 v10, 0x80000000, v10
	v_and_b32_e32 v11, s34, v6
	v_ffbl_b32_e32 v10, v10
	v_add_u32_e32 v10, 32, v10
	v_ffbl_b32_e32 v11, v11
	v_min_u32_e32 v10, v11, v10
	v_cmp_lt_u32_e32 vcc, v15, v10
	s_waitcnt lgkmcnt(0)
	s_nop 0
	v_cndmask_b32_e32 v11, 0, v68, vcc
	v_add_u32_e32 v8, v11, v8
	ds_bpermute_b32 v11, v17, v8
	v_cmp_le_u32_e32 vcc, v42, v10
	s_waitcnt lgkmcnt(0)
	s_nop 0
	v_cndmask_b32_e32 v11, 0, v11, vcc
	v_add_u32_e32 v8, v8, v11
	ds_bpermute_b32 v11, v43, v8
	v_cmp_le_u32_e32 vcc, v44, v10
	;; [unrolled: 6-line block ×5, first 2 shown]
	s_waitcnt lgkmcnt(0)
	s_nop 0
	v_cndmask_b32_e32 v10, 0, v11, vcc
	v_add3_u32 v8, v10, v3, v8
.LBB3044_90:                            ; =>This Loop Header: Depth=1
                                        ;     Child Loop BB3044_93 Depth 2
                                        ;       Child Loop BB3044_94 Depth 3
	v_cmp_ne_u16_sdwa s[34:35], v9, v14 src0_sel:BYTE_0 src1_sel:DWORD
	s_nop 1
	v_cndmask_b32_e64 v3, 0, 1, s[34:35]
	;;#ASMSTART
	;;#ASMEND
	s_nop 0
	v_cmp_ne_u32_e32 vcc, 0, v3
	s_cmp_lg_u64 vcc, exec
	v_mov_b32_e32 v3, v8
	s_cbranch_scc1 .LBB3044_97
; %bb.91:                               ;   in Loop: Header=BB3044_90 Depth=1
	v_lshl_add_u64 v[10:11], v[4:5], 3, s[30:31]
	global_load_dwordx2 v[8:9], v[10:11], off sc1
	s_waitcnt vmcnt(0)
	v_cmp_eq_u16_sdwa s[36:37], v9, v5 src0_sel:BYTE_0 src1_sel:DWORD
	s_and_saveexec_b64 s[34:35], s[36:37]
	s_cbranch_execz .LBB3044_89
; %bb.92:                               ;   in Loop: Header=BB3044_90 Depth=1
	s_mov_b32 s39, 1
	s_mov_b64 s[36:37], 0
.LBB3044_93:                            ;   Parent Loop BB3044_90 Depth=1
                                        ; =>  This Loop Header: Depth=2
                                        ;       Child Loop BB3044_94 Depth 3
	s_max_u32 s40, s39, 1
.LBB3044_94:                            ;   Parent Loop BB3044_90 Depth=1
                                        ;     Parent Loop BB3044_93 Depth=2
                                        ; =>    This Inner Loop Header: Depth=3
	s_add_i32 s40, s40, -1
	s_cmp_eq_u32 s40, 0
	s_sleep 1
	s_cbranch_scc0 .LBB3044_94
; %bb.95:                               ;   in Loop: Header=BB3044_93 Depth=2
	global_load_dwordx2 v[8:9], v[10:11], off sc1
	s_cmp_lt_u32 s39, 32
	s_cselect_b64 s[40:41], -1, 0
	s_cmp_lg_u64 s[40:41], 0
	s_addc_u32 s39, s39, 0
	s_waitcnt vmcnt(0)
	v_cmp_ne_u16_sdwa s[40:41], v9, v5 src0_sel:BYTE_0 src1_sel:DWORD
	s_or_b64 s[36:37], s[40:41], s[36:37]
	s_andn2_b64 exec, exec, s[36:37]
	s_cbranch_execnz .LBB3044_93
; %bb.96:                               ;   in Loop: Header=BB3044_90 Depth=1
	s_or_b64 exec, exec, s[36:37]
	s_branch .LBB3044_89
.LBB3044_97:                            ;   in Loop: Header=BB3044_90 Depth=1
                                        ; implicit-def: $vgpr8
                                        ; implicit-def: $vgpr9
	s_cbranch_execz .LBB3044_90
; %bb.98:
	s_and_saveexec_b64 s[34:35], s[16:17]
	s_cbranch_execz .LBB3044_100
; %bb.99:
	s_add_i32 s36, s38, 64
	s_mov_b32 s37, 0
	s_lshl_b64 s[36:37], s[36:37], 3
	s_add_u32 s36, s30, s36
	v_add_u32_e32 v4, v3, v2
	v_mov_b32_e32 v5, 2
	s_addc_u32 s37, s31, s37
	v_mov_b32_e32 v6, 0
	global_store_dwordx2 v6, v[4:5], s[36:37] sc1
	ds_write_b64 v6, v[2:3] offset:30720
.LBB3044_100:
	s_or_b64 exec, exec, s[34:35]
	s_and_b64 exec, exec, s[18:19]
	s_cbranch_execz .LBB3044_102
; %bb.101:
	v_mov_b32_e32 v2, 0
	ds_write_b32 v2, v3 offset:28
.LBB3044_102:
	s_or_b64 exec, exec, s[0:1]
	v_mov_b32_e32 v14, 0
	s_waitcnt lgkmcnt(0)
	s_barrier
	ds_read_b32 v2, v14 offset:28
	v_cndmask_b32_e64 v3, v13, v12, s[16:17]
	v_cndmask_b32_e64 v3, v3, 0, s[18:19]
	s_waitcnt lgkmcnt(0)
	s_barrier
	v_add_u32_e32 v2, v2, v3
	v_add_u32_e32 v3, v2, v56
	;; [unrolled: 1-line block ×10, first 2 shown]
	ds_read_b64 v[42:43], v14 offset:30720
	v_add_u32_e32 v12, v11, v51
	v_add_u32_e32 v13, v12, v52
	;; [unrolled: 1-line block ×5, first 2 shown]
	s_waitcnt lgkmcnt(0)
	v_mov_b32_e32 v44, v43
	s_branch .LBB3044_113
.LBB3044_103:
                                        ; implicit-def: $vgpr44
                                        ; implicit-def: $vgpr42
                                        ; implicit-def: $vgpr2_vgpr3_vgpr4_vgpr5_vgpr6_vgpr7_vgpr8_vgpr9_vgpr10_vgpr11_vgpr12_vgpr13_vgpr14_vgpr15_vgpr16_vgpr17
	s_cbranch_execz .LBB3044_113
; %bb.104:
	s_nop 0
	v_mov_b32_dpp v2, v61 row_shr:1 row_mask:0xf bank_mask:0xf
	v_cndmask_b32_e64 v2, v2, 0, s[14:15]
	v_add_u32_e32 v2, v2, v61
	s_nop 1
	v_mov_b32_dpp v3, v2 row_shr:2 row_mask:0xf bank_mask:0xf
	v_cndmask_b32_e64 v3, 0, v3, s[12:13]
	v_add_u32_e32 v2, v2, v3
	s_nop 1
	v_mov_b32_dpp v3, v2 row_shr:4 row_mask:0xf bank_mask:0xf
	v_cndmask_b32_e64 v3, 0, v3, s[10:11]
	v_add_u32_e32 v2, v2, v3
	s_nop 1
	v_mov_b32_dpp v3, v2 row_shr:8 row_mask:0xf bank_mask:0xf
	v_cndmask_b32_e64 v3, 0, v3, s[8:9]
	v_add_u32_e32 v2, v2, v3
	s_nop 1
	v_mov_b32_dpp v3, v2 row_bcast:15 row_mask:0xf bank_mask:0xf
	v_cndmask_b32_e64 v3, v3, 0, s[6:7]
	v_add_u32_e32 v2, v2, v3
	s_nop 1
	v_mov_b32_dpp v3, v2 row_bcast:31 row_mask:0xf bank_mask:0xf
	v_cndmask_b32_e64 v3, 0, v3, s[2:3]
	v_add_u32_e32 v2, v2, v3
	s_and_saveexec_b64 s[0:1], s[4:5]
	s_cbranch_execz .LBB3044_106
; %bb.105:
	v_lshlrev_b32_e32 v3, 2, v60
	ds_write_b32 v3, v2
.LBB3044_106:
	s_or_b64 exec, exec, s[0:1]
	v_cmp_gt_u32_e32 vcc, 8, v0
	s_waitcnt lgkmcnt(0)
	s_barrier
	s_and_saveexec_b64 s[0:1], vcc
	s_cbranch_execz .LBB3044_108
; %bb.107:
	v_mad_i32_i24 v3, v0, -11, v21
	ds_read_b32 v4, v3
	v_and_b32_e32 v5, 7, v59
	v_cmp_ne_u32_e32 vcc, 0, v5
	s_waitcnt lgkmcnt(0)
	v_mov_b32_dpp v6, v4 row_shr:1 row_mask:0xf bank_mask:0xf
	v_cndmask_b32_e32 v6, 0, v6, vcc
	v_add_u32_e32 v4, v6, v4
	v_cmp_lt_u32_e32 vcc, 1, v5
	s_nop 0
	v_mov_b32_dpp v6, v4 row_shr:2 row_mask:0xf bank_mask:0xf
	v_cndmask_b32_e32 v6, 0, v6, vcc
	v_add_u32_e32 v4, v4, v6
	v_cmp_lt_u32_e32 vcc, 3, v5
	s_nop 0
	v_mov_b32_dpp v6, v4 row_shr:4 row_mask:0xf bank_mask:0xf
	v_cndmask_b32_e32 v5, 0, v6, vcc
	v_add_u32_e32 v4, v4, v5
	ds_write_b32 v3, v4
.LBB3044_108:
	s_or_b64 exec, exec, s[0:1]
	v_cmp_lt_u32_e32 vcc, 63, v0
	v_mov_b32_e32 v4, 0
	v_mov_b32_e32 v3, 0
	s_waitcnt lgkmcnt(0)
	s_barrier
	s_and_saveexec_b64 s[0:1], vcc
	s_cbranch_execz .LBB3044_110
; %bb.109:
	v_lshl_add_u32 v3, v60, 2, -4
	ds_read_b32 v3, v3
.LBB3044_110:
	s_or_b64 exec, exec, s[0:1]
	v_add_u32_e32 v5, -1, v59
	v_and_b32_e32 v6, 64, v59
	v_cmp_lt_i32_e32 vcc, v5, v6
	s_waitcnt lgkmcnt(0)
	v_add_u32_e32 v2, v3, v2
	ds_read_b32 v42, v4 offset:28
	v_cndmask_b32_e32 v5, v5, v59, vcc
	v_lshlrev_b32_e32 v5, 2, v5
	ds_bpermute_b32 v2, v5, v2
	s_and_saveexec_b64 s[0:1], s[18:19]
	s_cbranch_execz .LBB3044_112
; %bb.111:
	v_mov_b32_e32 v4, 0
	v_mov_b32_e32 v43, 2
	s_waitcnt lgkmcnt(1)
	global_store_dwordx2 v4, v[42:43], s[30:31] offset:512 sc1
.LBB3044_112:
	s_or_b64 exec, exec, s[0:1]
	v_cmp_eq_u32_e32 vcc, 0, v59
	v_mov_b32_e32 v44, 0
	s_waitcnt lgkmcnt(0)
	v_cndmask_b32_e32 v2, v2, v3, vcc
	v_cndmask_b32_e64 v2, v2, 0, s[18:19]
	v_add_u32_e32 v3, v2, v56
	v_add_u32_e32 v4, v3, v57
	;; [unrolled: 1-line block ×14, first 2 shown]
	s_barrier
.LBB3044_113:
	v_add_u32_e32 v21, v42, v21
	v_sub_u32_e32 v2, v2, v44
	v_and_b32_e32 v52, 1, v18
	v_sub_u32_e32 v51, v21, v2
	v_cmp_eq_u32_e32 vcc, 1, v52
	v_lshrrev_b32_e32 v50, 8, v18
	v_lshrrev_b32_e32 v43, 8, v19
	v_cndmask_b32_e32 v2, v51, v2, vcc
	v_lshlrev_b32_e32 v2, 2, v2
	ds_write_b32 v2, v40
	v_sub_u32_e32 v2, v3, v44
	v_sub_u32_e32 v3, v21, v2
	v_and_b32_e32 v40, 1, v50
	v_add_u32_e32 v3, 1, v3
	v_cmp_eq_u32_e32 vcc, 1, v40
	v_lshrrev_b32_e32 v17, 8, v20
	v_cmp_le_u32_e64 s[0:1], v42, v0
	v_cndmask_b32_e32 v2, v3, v2, vcc
	v_lshlrev_b32_e32 v2, 2, v2
	ds_write_b32 v2, v41
	v_sub_u32_e32 v2, v4, v44
	v_mov_b32_e32 v4, 1
	v_sub_u32_e32 v3, v21, v2
	v_and_b32_sdwa v18, v4, v18 dst_sel:DWORD dst_unused:UNUSED_PAD src0_sel:DWORD src1_sel:WORD_1
	v_add_u32_e32 v3, 2, v3
	v_cmp_eq_u32_e32 vcc, 1, v18
	s_nop 1
	v_cndmask_b32_e32 v2, v3, v2, vcc
	v_lshlrev_b32_e32 v2, 2, v2
	ds_write_b32 v2, v38
	v_sub_u32_e32 v2, v5, v44
	v_sub_u32_e32 v3, v21, v2
	v_and_b32_e32 v5, 1, v49
	v_add_u32_e32 v3, 3, v3
	v_cmp_eq_u32_e32 vcc, 1, v5
	v_and_b32_e32 v5, 1, v19
	v_or_b32_e32 v38, 0x200, v0
	v_cndmask_b32_e32 v2, v3, v2, vcc
	v_lshlrev_b32_e32 v2, 2, v2
	ds_write_b32 v2, v39
	v_sub_u32_e32 v2, v6, v44
	v_sub_u32_e32 v3, v21, v2
	v_add_u32_e32 v3, 4, v3
	v_cmp_eq_u32_e32 vcc, 1, v5
	v_and_b32_e32 v5, 1, v43
	s_nop 0
	v_cndmask_b32_e32 v2, v3, v2, vcc
	v_lshlrev_b32_e32 v2, 2, v2
	ds_write_b32 v2, v36
	v_sub_u32_e32 v2, v7, v44
	v_sub_u32_e32 v3, v21, v2
	v_add_u32_e32 v3, 5, v3
	v_cmp_eq_u32_e32 vcc, 1, v5
	v_and_b32_sdwa v5, v4, v19 dst_sel:DWORD dst_unused:UNUSED_PAD src0_sel:DWORD src1_sel:WORD_1
	v_and_b32_sdwa v4, v4, v20 dst_sel:DWORD dst_unused:UNUSED_PAD src0_sel:DWORD src1_sel:WORD_1
	v_cndmask_b32_e32 v2, v3, v2, vcc
	v_lshlrev_b32_e32 v2, 2, v2
	ds_write_b32 v2, v37
	v_sub_u32_e32 v2, v8, v44
	v_sub_u32_e32 v3, v21, v2
	v_add_u32_e32 v3, 6, v3
	v_cmp_eq_u32_e32 vcc, 1, v5
	v_and_b32_e32 v5, 1, v48
	v_or_b32_e32 v37, 0x400, v0
	v_cndmask_b32_e32 v2, v3, v2, vcc
	v_lshlrev_b32_e32 v2, 2, v2
	ds_write_b32 v2, v34
	v_sub_u32_e32 v2, v9, v44
	v_sub_u32_e32 v3, v21, v2
	v_add_u32_e32 v3, 7, v3
	v_cmp_eq_u32_e32 vcc, 1, v5
	v_and_b32_e32 v5, 1, v20
	v_or_b32_e32 v36, 0x600, v0
	;; [unrolled: 9-line block ×3, first 2 shown]
	v_cndmask_b32_e32 v2, v3, v2, vcc
	v_lshlrev_b32_e32 v2, 2, v2
	ds_write_b32 v2, v32
	v_sub_u32_e32 v2, v11, v44
	v_sub_u32_e32 v3, v21, v2
	v_add_u32_e32 v3, 9, v3
	v_cmp_eq_u32_e32 vcc, 1, v5
	v_mov_b32_e32 v5, s27
	v_or_b32_e32 v34, 0xa00, v0
	v_cndmask_b32_e32 v2, v3, v2, vcc
	v_lshlrev_b32_e32 v2, 2, v2
	ds_write_b32 v2, v33
	v_sub_u32_e32 v2, v12, v44
	v_sub_u32_e32 v3, v21, v2
	v_add_u32_e32 v3, 10, v3
	v_cmp_eq_u32_e32 vcc, 1, v4
	v_and_b32_e32 v4, 1, v46
	v_or_b32_e32 v33, 0xc00, v0
	v_cndmask_b32_e32 v2, v3, v2, vcc
	v_lshlrev_b32_e32 v2, 2, v2
	ds_write_b32 v2, v30
	v_sub_u32_e32 v2, v13, v44
	v_sub_u32_e32 v3, v21, v2
	v_add_u32_e32 v3, 11, v3
	v_cmp_eq_u32_e32 vcc, 1, v4
	v_or_b32_e32 v32, 0xe00, v0
	v_or_b32_e32 v30, 0x1200, v0
	v_cndmask_b32_e32 v2, v3, v2, vcc
	v_lshlrev_b32_e32 v2, 2, v2
	ds_write_b32 v2, v31
	v_sub_u32_e32 v2, v14, v44
	v_sub_u32_e32 v3, v21, v2
	v_add_u32_e32 v3, 12, v3
	v_cmp_eq_u32_e32 vcc, 1, v47
	v_or_b32_e32 v31, 0x1000, v0
	v_or_b32_e32 v20, 0x1c00, v0
	v_cndmask_b32_e32 v2, v3, v2, vcc
	v_lshlrev_b32_e32 v2, 2, v2
	ds_write_b32 v2, v28
	v_sub_u32_e32 v2, v15, v44
	v_sub_u32_e32 v3, v21, v2
	v_add_u32_e32 v3, 13, v3
	v_cmp_eq_u32_e32 vcc, 1, v45
	v_mov_b32_e32 v45, 0
	v_mov_b32_e32 v43, v45
	v_cndmask_b32_e32 v2, v3, v2, vcc
	v_lshlrev_b32_e32 v2, 2, v2
	ds_write_b32 v2, v29
	v_sub_u32_e32 v2, v16, v44
	v_sub_u32_e32 v3, v21, v2
	v_add_u32_e32 v3, 14, v3
	v_cmp_eq_u32_e32 vcc, 1, v23
	v_or_b32_e32 v29, 0x1400, v0
	v_or_b32_e32 v28, 0x1600, v0
	v_cndmask_b32_e32 v2, v3, v2, vcc
	v_lshlrev_b32_e32 v2, 2, v2
	ds_write_b32 v2, v1
	s_waitcnt vmcnt(0)
	v_lshl_add_u64 v[2:3], v[24:25], 0, v[42:43]
	v_lshl_add_u64 v[2:3], v[2:3], 0, v[44:45]
	s_waitcnt lgkmcnt(0)
	s_barrier
	ds_read2st64_b32 v[18:19], v22 offset1:8
	ds_read2st64_b32 v[16:17], v22 offset0:16 offset1:24
	ds_read2st64_b32 v[14:15], v22 offset0:32 offset1:40
	;; [unrolled: 1-line block ×6, first 2 shown]
	ds_read_b32 v1, v22 offset:28672
	v_sub_co_u32_e32 v4, vcc, s26, v2
	v_or_b32_e32 v23, 0x1800, v0
	s_nop 0
	v_subb_co_u32_e32 v5, vcc, v5, v3, vcc
	v_lshlrev_b64 v[4:5], 2, v[4:5]
	v_lshl_add_u64 v[4:5], s[28:29], 0, v[4:5]
	v_or_b32_e32 v21, 0x1a00, v0
	v_lshl_add_u64 v[4:5], v[4:5], 0, v[26:27]
	s_andn2_b64 vcc, exec, s[24:25]
	s_cbranch_vccnz .LBB3044_130
; %bb.114:
	s_and_saveexec_b64 s[2:3], s[0:1]
	s_cbranch_execnz .LBB3044_165
; %bb.115:
	s_or_b64 exec, exec, s[2:3]
	v_cmp_ge_u32_e32 vcc, v38, v42
	s_and_saveexec_b64 s[0:1], vcc
	s_cbranch_execnz .LBB3044_166
.LBB3044_116:
	s_or_b64 exec, exec, s[0:1]
	v_cmp_ge_u32_e32 vcc, v37, v42
	s_and_saveexec_b64 s[0:1], vcc
	s_cbranch_execnz .LBB3044_167
.LBB3044_117:
	s_or_b64 exec, exec, s[0:1]
	v_cmp_ge_u32_e32 vcc, v36, v42
	s_and_saveexec_b64 s[0:1], vcc
	s_cbranch_execnz .LBB3044_168
.LBB3044_118:
	s_or_b64 exec, exec, s[0:1]
	v_cmp_ge_u32_e32 vcc, v35, v42
	s_and_saveexec_b64 s[0:1], vcc
	s_cbranch_execnz .LBB3044_169
.LBB3044_119:
	s_or_b64 exec, exec, s[0:1]
	v_cmp_ge_u32_e32 vcc, v34, v42
	s_and_saveexec_b64 s[0:1], vcc
	s_cbranch_execnz .LBB3044_170
.LBB3044_120:
	s_or_b64 exec, exec, s[0:1]
	v_cmp_ge_u32_e32 vcc, v33, v42
	s_and_saveexec_b64 s[0:1], vcc
	s_cbranch_execnz .LBB3044_171
.LBB3044_121:
	s_or_b64 exec, exec, s[0:1]
	v_cmp_ge_u32_e32 vcc, v32, v42
	s_and_saveexec_b64 s[0:1], vcc
	s_cbranch_execnz .LBB3044_172
.LBB3044_122:
	s_or_b64 exec, exec, s[0:1]
	v_cmp_ge_u32_e32 vcc, v31, v42
	s_and_saveexec_b64 s[0:1], vcc
	s_cbranch_execnz .LBB3044_173
.LBB3044_123:
	s_or_b64 exec, exec, s[0:1]
	v_cmp_ge_u32_e32 vcc, v30, v42
	s_and_saveexec_b64 s[0:1], vcc
	s_cbranch_execnz .LBB3044_174
.LBB3044_124:
	s_or_b64 exec, exec, s[0:1]
	v_cmp_ge_u32_e32 vcc, v29, v42
	s_and_saveexec_b64 s[0:1], vcc
	s_cbranch_execnz .LBB3044_175
.LBB3044_125:
	s_or_b64 exec, exec, s[0:1]
	v_cmp_ge_u32_e32 vcc, v28, v42
	s_and_saveexec_b64 s[0:1], vcc
	s_cbranch_execnz .LBB3044_176
.LBB3044_126:
	s_or_b64 exec, exec, s[0:1]
	v_cmp_ge_u32_e32 vcc, v23, v42
	s_and_saveexec_b64 s[0:1], vcc
	s_cbranch_execnz .LBB3044_177
.LBB3044_127:
	s_or_b64 exec, exec, s[0:1]
	v_cmp_ge_u32_e32 vcc, v21, v42
	s_and_saveexec_b64 s[0:1], vcc
	s_cbranch_execz .LBB3044_129
.LBB3044_128:
	v_lshlrev_b32_e32 v24, 2, v21
	v_readfirstlane_b32 s2, v4
	v_readfirstlane_b32 s3, v5
	s_waitcnt lgkmcnt(1)
	s_nop 3
	global_store_dword v24, v7, s[2:3]
.LBB3044_129:
	s_or_b64 exec, exec, s[0:1]
	v_cmp_ge_u32_e64 s[0:1], v20, v42
	s_branch .LBB3044_160
.LBB3044_130:
	s_mov_b64 s[0:1], 0
	s_cbranch_execz .LBB3044_160
; %bb.131:
	v_cmp_gt_u32_e32 vcc, s33, v0
	v_cmp_le_u32_e64 s[0:1], v42, v0
	s_and_b64 s[2:3], vcc, s[0:1]
	s_and_saveexec_b64 s[0:1], s[2:3]
	s_cbranch_execz .LBB3044_133
; %bb.132:
	v_readfirstlane_b32 s2, v4
	v_readfirstlane_b32 s3, v5
	s_waitcnt lgkmcnt(7)
	s_nop 3
	global_store_dword v22, v18, s[2:3]
.LBB3044_133:
	s_or_b64 exec, exec, s[0:1]
	v_cmp_gt_u32_e32 vcc, s33, v38
	v_cmp_ge_u32_e64 s[0:1], v38, v42
	s_and_b64 s[2:3], vcc, s[0:1]
	s_and_saveexec_b64 s[0:1], s[2:3]
	s_cbranch_execz .LBB3044_135
; %bb.134:
	v_readfirstlane_b32 s2, v4
	v_readfirstlane_b32 s3, v5
	s_waitcnt lgkmcnt(7)
	s_nop 3
	global_store_dword v22, v19, s[2:3] offset:2048
.LBB3044_135:
	s_or_b64 exec, exec, s[0:1]
	v_cmp_gt_u32_e32 vcc, s33, v37
	v_cmp_ge_u32_e64 s[0:1], v37, v42
	s_and_b64 s[2:3], vcc, s[0:1]
	s_and_saveexec_b64 s[0:1], s[2:3]
	s_cbranch_execz .LBB3044_137
; %bb.136:
	v_lshlrev_b32_e32 v0, 2, v37
	v_readfirstlane_b32 s2, v4
	v_readfirstlane_b32 s3, v5
	s_waitcnt lgkmcnt(6)
	s_nop 3
	global_store_dword v0, v16, s[2:3]
.LBB3044_137:
	s_or_b64 exec, exec, s[0:1]
	v_cmp_gt_u32_e32 vcc, s33, v36
	v_cmp_ge_u32_e64 s[0:1], v36, v42
	s_and_b64 s[2:3], vcc, s[0:1]
	s_and_saveexec_b64 s[0:1], s[2:3]
	s_cbranch_execz .LBB3044_139
; %bb.138:
	v_lshlrev_b32_e32 v0, 2, v36
	v_readfirstlane_b32 s2, v4
	v_readfirstlane_b32 s3, v5
	s_waitcnt lgkmcnt(6)
	s_nop 3
	global_store_dword v0, v17, s[2:3]
.LBB3044_139:
	s_or_b64 exec, exec, s[0:1]
	v_cmp_gt_u32_e32 vcc, s33, v35
	v_cmp_ge_u32_e64 s[0:1], v35, v42
	s_and_b64 s[2:3], vcc, s[0:1]
	s_and_saveexec_b64 s[0:1], s[2:3]
	s_cbranch_execz .LBB3044_141
; %bb.140:
	v_lshlrev_b32_e32 v0, 2, v35
	v_readfirstlane_b32 s2, v4
	v_readfirstlane_b32 s3, v5
	s_waitcnt lgkmcnt(5)
	s_nop 3
	global_store_dword v0, v14, s[2:3]
.LBB3044_141:
	s_or_b64 exec, exec, s[0:1]
	v_cmp_gt_u32_e32 vcc, s33, v34
	v_cmp_ge_u32_e64 s[0:1], v34, v42
	s_and_b64 s[2:3], vcc, s[0:1]
	s_and_saveexec_b64 s[0:1], s[2:3]
	s_cbranch_execz .LBB3044_143
; %bb.142:
	v_lshlrev_b32_e32 v0, 2, v34
	v_readfirstlane_b32 s2, v4
	v_readfirstlane_b32 s3, v5
	s_waitcnt lgkmcnt(5)
	s_nop 3
	global_store_dword v0, v15, s[2:3]
.LBB3044_143:
	s_or_b64 exec, exec, s[0:1]
	v_cmp_gt_u32_e32 vcc, s33, v33
	v_cmp_ge_u32_e64 s[0:1], v33, v42
	s_and_b64 s[2:3], vcc, s[0:1]
	s_and_saveexec_b64 s[0:1], s[2:3]
	s_cbranch_execz .LBB3044_145
; %bb.144:
	v_lshlrev_b32_e32 v0, 2, v33
	v_readfirstlane_b32 s2, v4
	v_readfirstlane_b32 s3, v5
	s_waitcnt lgkmcnt(4)
	s_nop 3
	global_store_dword v0, v12, s[2:3]
.LBB3044_145:
	s_or_b64 exec, exec, s[0:1]
	v_cmp_gt_u32_e32 vcc, s33, v32
	v_cmp_ge_u32_e64 s[0:1], v32, v42
	s_and_b64 s[2:3], vcc, s[0:1]
	s_and_saveexec_b64 s[0:1], s[2:3]
	s_cbranch_execz .LBB3044_147
; %bb.146:
	v_lshlrev_b32_e32 v0, 2, v32
	v_readfirstlane_b32 s2, v4
	v_readfirstlane_b32 s3, v5
	s_waitcnt lgkmcnt(4)
	s_nop 3
	global_store_dword v0, v13, s[2:3]
.LBB3044_147:
	s_or_b64 exec, exec, s[0:1]
	v_cmp_gt_u32_e32 vcc, s33, v31
	v_cmp_ge_u32_e64 s[0:1], v31, v42
	s_and_b64 s[2:3], vcc, s[0:1]
	s_and_saveexec_b64 s[0:1], s[2:3]
	s_cbranch_execz .LBB3044_149
; %bb.148:
	v_lshlrev_b32_e32 v0, 2, v31
	v_readfirstlane_b32 s2, v4
	v_readfirstlane_b32 s3, v5
	s_waitcnt lgkmcnt(3)
	s_nop 3
	global_store_dword v0, v10, s[2:3]
.LBB3044_149:
	s_or_b64 exec, exec, s[0:1]
	v_cmp_gt_u32_e32 vcc, s33, v30
	v_cmp_ge_u32_e64 s[0:1], v30, v42
	s_and_b64 s[2:3], vcc, s[0:1]
	s_and_saveexec_b64 s[0:1], s[2:3]
	s_cbranch_execz .LBB3044_151
; %bb.150:
	v_lshlrev_b32_e32 v0, 2, v30
	v_readfirstlane_b32 s2, v4
	v_readfirstlane_b32 s3, v5
	s_waitcnt lgkmcnt(3)
	s_nop 3
	global_store_dword v0, v11, s[2:3]
.LBB3044_151:
	s_or_b64 exec, exec, s[0:1]
	v_cmp_gt_u32_e32 vcc, s33, v29
	v_cmp_ge_u32_e64 s[0:1], v29, v42
	s_and_b64 s[2:3], vcc, s[0:1]
	s_and_saveexec_b64 s[0:1], s[2:3]
	s_cbranch_execz .LBB3044_153
; %bb.152:
	v_lshlrev_b32_e32 v0, 2, v29
	v_readfirstlane_b32 s2, v4
	v_readfirstlane_b32 s3, v5
	s_waitcnt lgkmcnt(2)
	s_nop 3
	global_store_dword v0, v8, s[2:3]
.LBB3044_153:
	s_or_b64 exec, exec, s[0:1]
	v_cmp_gt_u32_e32 vcc, s33, v28
	v_cmp_ge_u32_e64 s[0:1], v28, v42
	s_and_b64 s[2:3], vcc, s[0:1]
	s_and_saveexec_b64 s[0:1], s[2:3]
	s_cbranch_execz .LBB3044_155
; %bb.154:
	v_lshlrev_b32_e32 v0, 2, v28
	v_readfirstlane_b32 s2, v4
	v_readfirstlane_b32 s3, v5
	s_waitcnt lgkmcnt(2)
	s_nop 3
	global_store_dword v0, v9, s[2:3]
.LBB3044_155:
	s_or_b64 exec, exec, s[0:1]
	v_cmp_gt_u32_e32 vcc, s33, v23
	v_cmp_ge_u32_e64 s[0:1], v23, v42
	s_and_b64 s[2:3], vcc, s[0:1]
	s_and_saveexec_b64 s[0:1], s[2:3]
	s_cbranch_execz .LBB3044_157
; %bb.156:
	v_lshlrev_b32_e32 v0, 2, v23
	v_readfirstlane_b32 s2, v4
	v_readfirstlane_b32 s3, v5
	s_waitcnt lgkmcnt(1)
	s_nop 3
	global_store_dword v0, v6, s[2:3]
.LBB3044_157:
	s_or_b64 exec, exec, s[0:1]
	v_cmp_gt_u32_e32 vcc, s33, v21
	v_cmp_ge_u32_e64 s[0:1], v21, v42
	s_and_b64 s[2:3], vcc, s[0:1]
	s_and_saveexec_b64 s[0:1], s[2:3]
	s_cbranch_execz .LBB3044_159
; %bb.158:
	v_lshlrev_b32_e32 v0, 2, v21
	v_readfirstlane_b32 s2, v4
	v_readfirstlane_b32 s3, v5
	s_waitcnt lgkmcnt(1)
	s_nop 3
	global_store_dword v0, v7, s[2:3]
.LBB3044_159:
	s_or_b64 exec, exec, s[0:1]
	v_cmp_gt_u32_e32 vcc, s33, v20
	v_cmp_ge_u32_e64 s[0:1], v20, v42
	s_and_b64 s[0:1], vcc, s[0:1]
.LBB3044_160:
	s_and_saveexec_b64 s[2:3], s[0:1]
	s_cbranch_execnz .LBB3044_163
; %bb.161:
	s_or_b64 exec, exec, s[2:3]
	s_and_b64 s[0:1], s[18:19], s[22:23]
	s_and_saveexec_b64 s[2:3], s[0:1]
	s_cbranch_execnz .LBB3044_164
.LBB3044_162:
	s_endpgm
.LBB3044_163:
	v_lshlrev_b32_e32 v0, 2, v20
	v_readfirstlane_b32 s0, v4
	v_readfirstlane_b32 s1, v5
	s_waitcnt lgkmcnt(0)
	s_nop 3
	global_store_dword v0, v1, s[0:1]
	s_or_b64 exec, exec, s[2:3]
	s_and_b64 s[0:1], s[18:19], s[22:23]
	s_and_saveexec_b64 s[2:3], s[0:1]
	s_cbranch_execz .LBB3044_162
.LBB3044_164:
	v_mov_b32_e32 v0, 0
	global_store_dwordx2 v0, v[2:3], s[20:21]
	s_endpgm
.LBB3044_165:
	v_readfirstlane_b32 s0, v4
	v_readfirstlane_b32 s1, v5
	s_waitcnt lgkmcnt(7)
	s_nop 3
	global_store_dword v22, v18, s[0:1]
	s_or_b64 exec, exec, s[2:3]
	v_cmp_ge_u32_e32 vcc, v38, v42
	s_and_saveexec_b64 s[0:1], vcc
	s_cbranch_execz .LBB3044_116
.LBB3044_166:
	v_readfirstlane_b32 s2, v4
	v_readfirstlane_b32 s3, v5
	s_waitcnt lgkmcnt(7)
	s_nop 3
	global_store_dword v22, v19, s[2:3] offset:2048
	s_or_b64 exec, exec, s[0:1]
	v_cmp_ge_u32_e32 vcc, v37, v42
	s_and_saveexec_b64 s[0:1], vcc
	s_cbranch_execz .LBB3044_117
.LBB3044_167:
	v_lshlrev_b32_e32 v24, 2, v37
	v_readfirstlane_b32 s2, v4
	v_readfirstlane_b32 s3, v5
	s_waitcnt lgkmcnt(6)
	s_nop 3
	global_store_dword v24, v16, s[2:3]
	s_or_b64 exec, exec, s[0:1]
	v_cmp_ge_u32_e32 vcc, v36, v42
	s_and_saveexec_b64 s[0:1], vcc
	s_cbranch_execz .LBB3044_118
.LBB3044_168:
	v_lshlrev_b32_e32 v24, 2, v36
	v_readfirstlane_b32 s2, v4
	v_readfirstlane_b32 s3, v5
	s_waitcnt lgkmcnt(6)
	s_nop 3
	global_store_dword v24, v17, s[2:3]
	s_or_b64 exec, exec, s[0:1]
	v_cmp_ge_u32_e32 vcc, v35, v42
	s_and_saveexec_b64 s[0:1], vcc
	s_cbranch_execz .LBB3044_119
.LBB3044_169:
	v_lshlrev_b32_e32 v24, 2, v35
	v_readfirstlane_b32 s2, v4
	v_readfirstlane_b32 s3, v5
	s_waitcnt lgkmcnt(5)
	s_nop 3
	global_store_dword v24, v14, s[2:3]
	s_or_b64 exec, exec, s[0:1]
	v_cmp_ge_u32_e32 vcc, v34, v42
	s_and_saveexec_b64 s[0:1], vcc
	s_cbranch_execz .LBB3044_120
.LBB3044_170:
	v_lshlrev_b32_e32 v24, 2, v34
	v_readfirstlane_b32 s2, v4
	v_readfirstlane_b32 s3, v5
	s_waitcnt lgkmcnt(5)
	s_nop 3
	global_store_dword v24, v15, s[2:3]
	s_or_b64 exec, exec, s[0:1]
	v_cmp_ge_u32_e32 vcc, v33, v42
	s_and_saveexec_b64 s[0:1], vcc
	s_cbranch_execz .LBB3044_121
.LBB3044_171:
	v_lshlrev_b32_e32 v24, 2, v33
	v_readfirstlane_b32 s2, v4
	v_readfirstlane_b32 s3, v5
	s_waitcnt lgkmcnt(4)
	s_nop 3
	global_store_dword v24, v12, s[2:3]
	s_or_b64 exec, exec, s[0:1]
	v_cmp_ge_u32_e32 vcc, v32, v42
	s_and_saveexec_b64 s[0:1], vcc
	s_cbranch_execz .LBB3044_122
.LBB3044_172:
	v_lshlrev_b32_e32 v24, 2, v32
	v_readfirstlane_b32 s2, v4
	v_readfirstlane_b32 s3, v5
	s_waitcnt lgkmcnt(4)
	s_nop 3
	global_store_dword v24, v13, s[2:3]
	s_or_b64 exec, exec, s[0:1]
	v_cmp_ge_u32_e32 vcc, v31, v42
	s_and_saveexec_b64 s[0:1], vcc
	s_cbranch_execz .LBB3044_123
.LBB3044_173:
	v_lshlrev_b32_e32 v24, 2, v31
	v_readfirstlane_b32 s2, v4
	v_readfirstlane_b32 s3, v5
	s_waitcnt lgkmcnt(3)
	s_nop 3
	global_store_dword v24, v10, s[2:3]
	s_or_b64 exec, exec, s[0:1]
	v_cmp_ge_u32_e32 vcc, v30, v42
	s_and_saveexec_b64 s[0:1], vcc
	s_cbranch_execz .LBB3044_124
.LBB3044_174:
	v_lshlrev_b32_e32 v24, 2, v30
	v_readfirstlane_b32 s2, v4
	v_readfirstlane_b32 s3, v5
	s_waitcnt lgkmcnt(3)
	s_nop 3
	global_store_dword v24, v11, s[2:3]
	s_or_b64 exec, exec, s[0:1]
	v_cmp_ge_u32_e32 vcc, v29, v42
	s_and_saveexec_b64 s[0:1], vcc
	s_cbranch_execz .LBB3044_125
.LBB3044_175:
	v_lshlrev_b32_e32 v24, 2, v29
	v_readfirstlane_b32 s2, v4
	v_readfirstlane_b32 s3, v5
	s_waitcnt lgkmcnt(2)
	s_nop 3
	global_store_dword v24, v8, s[2:3]
	s_or_b64 exec, exec, s[0:1]
	v_cmp_ge_u32_e32 vcc, v28, v42
	s_and_saveexec_b64 s[0:1], vcc
	s_cbranch_execz .LBB3044_126
.LBB3044_176:
	v_lshlrev_b32_e32 v24, 2, v28
	v_readfirstlane_b32 s2, v4
	v_readfirstlane_b32 s3, v5
	s_waitcnt lgkmcnt(2)
	s_nop 3
	global_store_dword v24, v9, s[2:3]
	s_or_b64 exec, exec, s[0:1]
	v_cmp_ge_u32_e32 vcc, v23, v42
	s_and_saveexec_b64 s[0:1], vcc
	s_cbranch_execz .LBB3044_127
.LBB3044_177:
	v_lshlrev_b32_e32 v24, 2, v23
	v_readfirstlane_b32 s2, v4
	v_readfirstlane_b32 s3, v5
	s_waitcnt lgkmcnt(1)
	s_nop 3
	global_store_dword v24, v6, s[2:3]
	s_or_b64 exec, exec, s[0:1]
	v_cmp_ge_u32_e32 vcc, v21, v42
	s_and_saveexec_b64 s[0:1], vcc
	s_cbranch_execnz .LBB3044_128
	s_branch .LBB3044_129
	.section	.rodata,"a",@progbits
	.p2align	6, 0x0
	.amdhsa_kernel _ZN7rocprim17ROCPRIM_400000_NS6detail17trampoline_kernelINS0_14default_configENS1_25partition_config_selectorILNS1_17partition_subalgoE1EjNS0_10empty_typeEbEEZZNS1_14partition_implILS5_1ELb0ES3_jN6thrust23THRUST_200600_302600_NS6detail15normal_iteratorINSA_10device_ptrIjEEEEPS6_NSA_18transform_iteratorI7is_evenIjESF_NSA_11use_defaultESK_EENS0_5tupleIJNSA_16discard_iteratorISK_EESF_EEENSM_IJSG_SG_EEES6_PlJS6_EEE10hipError_tPvRmT3_T4_T5_T6_T7_T9_mT8_P12ihipStream_tbDpT10_ENKUlT_T0_E_clISt17integral_constantIbLb1EES1B_EEDaS16_S17_EUlS16_E_NS1_11comp_targetILNS1_3genE5ELNS1_11target_archE942ELNS1_3gpuE9ELNS1_3repE0EEENS1_30default_config_static_selectorELNS0_4arch9wavefront6targetE1EEEvT1_
		.amdhsa_group_segment_fixed_size 30728
		.amdhsa_private_segment_fixed_size 0
		.amdhsa_kernarg_size 152
		.amdhsa_user_sgpr_count 2
		.amdhsa_user_sgpr_dispatch_ptr 0
		.amdhsa_user_sgpr_queue_ptr 0
		.amdhsa_user_sgpr_kernarg_segment_ptr 1
		.amdhsa_user_sgpr_dispatch_id 0
		.amdhsa_user_sgpr_kernarg_preload_length 0
		.amdhsa_user_sgpr_kernarg_preload_offset 0
		.amdhsa_user_sgpr_private_segment_size 0
		.amdhsa_uses_dynamic_stack 0
		.amdhsa_enable_private_segment 0
		.amdhsa_system_sgpr_workgroup_id_x 1
		.amdhsa_system_sgpr_workgroup_id_y 0
		.amdhsa_system_sgpr_workgroup_id_z 0
		.amdhsa_system_sgpr_workgroup_info 0
		.amdhsa_system_vgpr_workitem_id 0
		.amdhsa_next_free_vgpr 69
		.amdhsa_next_free_sgpr 42
		.amdhsa_accum_offset 72
		.amdhsa_reserve_vcc 1
		.amdhsa_float_round_mode_32 0
		.amdhsa_float_round_mode_16_64 0
		.amdhsa_float_denorm_mode_32 3
		.amdhsa_float_denorm_mode_16_64 3
		.amdhsa_dx10_clamp 1
		.amdhsa_ieee_mode 1
		.amdhsa_fp16_overflow 0
		.amdhsa_tg_split 0
		.amdhsa_exception_fp_ieee_invalid_op 0
		.amdhsa_exception_fp_denorm_src 0
		.amdhsa_exception_fp_ieee_div_zero 0
		.amdhsa_exception_fp_ieee_overflow 0
		.amdhsa_exception_fp_ieee_underflow 0
		.amdhsa_exception_fp_ieee_inexact 0
		.amdhsa_exception_int_div_zero 0
	.end_amdhsa_kernel
	.section	.text._ZN7rocprim17ROCPRIM_400000_NS6detail17trampoline_kernelINS0_14default_configENS1_25partition_config_selectorILNS1_17partition_subalgoE1EjNS0_10empty_typeEbEEZZNS1_14partition_implILS5_1ELb0ES3_jN6thrust23THRUST_200600_302600_NS6detail15normal_iteratorINSA_10device_ptrIjEEEEPS6_NSA_18transform_iteratorI7is_evenIjESF_NSA_11use_defaultESK_EENS0_5tupleIJNSA_16discard_iteratorISK_EESF_EEENSM_IJSG_SG_EEES6_PlJS6_EEE10hipError_tPvRmT3_T4_T5_T6_T7_T9_mT8_P12ihipStream_tbDpT10_ENKUlT_T0_E_clISt17integral_constantIbLb1EES1B_EEDaS16_S17_EUlS16_E_NS1_11comp_targetILNS1_3genE5ELNS1_11target_archE942ELNS1_3gpuE9ELNS1_3repE0EEENS1_30default_config_static_selectorELNS0_4arch9wavefront6targetE1EEEvT1_,"axG",@progbits,_ZN7rocprim17ROCPRIM_400000_NS6detail17trampoline_kernelINS0_14default_configENS1_25partition_config_selectorILNS1_17partition_subalgoE1EjNS0_10empty_typeEbEEZZNS1_14partition_implILS5_1ELb0ES3_jN6thrust23THRUST_200600_302600_NS6detail15normal_iteratorINSA_10device_ptrIjEEEEPS6_NSA_18transform_iteratorI7is_evenIjESF_NSA_11use_defaultESK_EENS0_5tupleIJNSA_16discard_iteratorISK_EESF_EEENSM_IJSG_SG_EEES6_PlJS6_EEE10hipError_tPvRmT3_T4_T5_T6_T7_T9_mT8_P12ihipStream_tbDpT10_ENKUlT_T0_E_clISt17integral_constantIbLb1EES1B_EEDaS16_S17_EUlS16_E_NS1_11comp_targetILNS1_3genE5ELNS1_11target_archE942ELNS1_3gpuE9ELNS1_3repE0EEENS1_30default_config_static_selectorELNS0_4arch9wavefront6targetE1EEEvT1_,comdat
.Lfunc_end3044:
	.size	_ZN7rocprim17ROCPRIM_400000_NS6detail17trampoline_kernelINS0_14default_configENS1_25partition_config_selectorILNS1_17partition_subalgoE1EjNS0_10empty_typeEbEEZZNS1_14partition_implILS5_1ELb0ES3_jN6thrust23THRUST_200600_302600_NS6detail15normal_iteratorINSA_10device_ptrIjEEEEPS6_NSA_18transform_iteratorI7is_evenIjESF_NSA_11use_defaultESK_EENS0_5tupleIJNSA_16discard_iteratorISK_EESF_EEENSM_IJSG_SG_EEES6_PlJS6_EEE10hipError_tPvRmT3_T4_T5_T6_T7_T9_mT8_P12ihipStream_tbDpT10_ENKUlT_T0_E_clISt17integral_constantIbLb1EES1B_EEDaS16_S17_EUlS16_E_NS1_11comp_targetILNS1_3genE5ELNS1_11target_archE942ELNS1_3gpuE9ELNS1_3repE0EEENS1_30default_config_static_selectorELNS0_4arch9wavefront6targetE1EEEvT1_, .Lfunc_end3044-_ZN7rocprim17ROCPRIM_400000_NS6detail17trampoline_kernelINS0_14default_configENS1_25partition_config_selectorILNS1_17partition_subalgoE1EjNS0_10empty_typeEbEEZZNS1_14partition_implILS5_1ELb0ES3_jN6thrust23THRUST_200600_302600_NS6detail15normal_iteratorINSA_10device_ptrIjEEEEPS6_NSA_18transform_iteratorI7is_evenIjESF_NSA_11use_defaultESK_EENS0_5tupleIJNSA_16discard_iteratorISK_EESF_EEENSM_IJSG_SG_EEES6_PlJS6_EEE10hipError_tPvRmT3_T4_T5_T6_T7_T9_mT8_P12ihipStream_tbDpT10_ENKUlT_T0_E_clISt17integral_constantIbLb1EES1B_EEDaS16_S17_EUlS16_E_NS1_11comp_targetILNS1_3genE5ELNS1_11target_archE942ELNS1_3gpuE9ELNS1_3repE0EEENS1_30default_config_static_selectorELNS0_4arch9wavefront6targetE1EEEvT1_
                                        ; -- End function
	.section	.AMDGPU.csdata,"",@progbits
; Kernel info:
; codeLenInByte = 8076
; NumSgprs: 48
; NumVgprs: 69
; NumAgprs: 0
; TotalNumVgprs: 69
; ScratchSize: 0
; MemoryBound: 0
; FloatMode: 240
; IeeeMode: 1
; LDSByteSize: 30728 bytes/workgroup (compile time only)
; SGPRBlocks: 5
; VGPRBlocks: 8
; NumSGPRsForWavesPerEU: 48
; NumVGPRsForWavesPerEU: 69
; AccumOffset: 72
; Occupancy: 4
; WaveLimiterHint : 1
; COMPUTE_PGM_RSRC2:SCRATCH_EN: 0
; COMPUTE_PGM_RSRC2:USER_SGPR: 2
; COMPUTE_PGM_RSRC2:TRAP_HANDLER: 0
; COMPUTE_PGM_RSRC2:TGID_X_EN: 1
; COMPUTE_PGM_RSRC2:TGID_Y_EN: 0
; COMPUTE_PGM_RSRC2:TGID_Z_EN: 0
; COMPUTE_PGM_RSRC2:TIDIG_COMP_CNT: 0
; COMPUTE_PGM_RSRC3_GFX90A:ACCUM_OFFSET: 17
; COMPUTE_PGM_RSRC3_GFX90A:TG_SPLIT: 0
	.section	.text._ZN7rocprim17ROCPRIM_400000_NS6detail17trampoline_kernelINS0_14default_configENS1_25partition_config_selectorILNS1_17partition_subalgoE1EjNS0_10empty_typeEbEEZZNS1_14partition_implILS5_1ELb0ES3_jN6thrust23THRUST_200600_302600_NS6detail15normal_iteratorINSA_10device_ptrIjEEEEPS6_NSA_18transform_iteratorI7is_evenIjESF_NSA_11use_defaultESK_EENS0_5tupleIJNSA_16discard_iteratorISK_EESF_EEENSM_IJSG_SG_EEES6_PlJS6_EEE10hipError_tPvRmT3_T4_T5_T6_T7_T9_mT8_P12ihipStream_tbDpT10_ENKUlT_T0_E_clISt17integral_constantIbLb1EES1B_EEDaS16_S17_EUlS16_E_NS1_11comp_targetILNS1_3genE4ELNS1_11target_archE910ELNS1_3gpuE8ELNS1_3repE0EEENS1_30default_config_static_selectorELNS0_4arch9wavefront6targetE1EEEvT1_,"axG",@progbits,_ZN7rocprim17ROCPRIM_400000_NS6detail17trampoline_kernelINS0_14default_configENS1_25partition_config_selectorILNS1_17partition_subalgoE1EjNS0_10empty_typeEbEEZZNS1_14partition_implILS5_1ELb0ES3_jN6thrust23THRUST_200600_302600_NS6detail15normal_iteratorINSA_10device_ptrIjEEEEPS6_NSA_18transform_iteratorI7is_evenIjESF_NSA_11use_defaultESK_EENS0_5tupleIJNSA_16discard_iteratorISK_EESF_EEENSM_IJSG_SG_EEES6_PlJS6_EEE10hipError_tPvRmT3_T4_T5_T6_T7_T9_mT8_P12ihipStream_tbDpT10_ENKUlT_T0_E_clISt17integral_constantIbLb1EES1B_EEDaS16_S17_EUlS16_E_NS1_11comp_targetILNS1_3genE4ELNS1_11target_archE910ELNS1_3gpuE8ELNS1_3repE0EEENS1_30default_config_static_selectorELNS0_4arch9wavefront6targetE1EEEvT1_,comdat
	.protected	_ZN7rocprim17ROCPRIM_400000_NS6detail17trampoline_kernelINS0_14default_configENS1_25partition_config_selectorILNS1_17partition_subalgoE1EjNS0_10empty_typeEbEEZZNS1_14partition_implILS5_1ELb0ES3_jN6thrust23THRUST_200600_302600_NS6detail15normal_iteratorINSA_10device_ptrIjEEEEPS6_NSA_18transform_iteratorI7is_evenIjESF_NSA_11use_defaultESK_EENS0_5tupleIJNSA_16discard_iteratorISK_EESF_EEENSM_IJSG_SG_EEES6_PlJS6_EEE10hipError_tPvRmT3_T4_T5_T6_T7_T9_mT8_P12ihipStream_tbDpT10_ENKUlT_T0_E_clISt17integral_constantIbLb1EES1B_EEDaS16_S17_EUlS16_E_NS1_11comp_targetILNS1_3genE4ELNS1_11target_archE910ELNS1_3gpuE8ELNS1_3repE0EEENS1_30default_config_static_selectorELNS0_4arch9wavefront6targetE1EEEvT1_ ; -- Begin function _ZN7rocprim17ROCPRIM_400000_NS6detail17trampoline_kernelINS0_14default_configENS1_25partition_config_selectorILNS1_17partition_subalgoE1EjNS0_10empty_typeEbEEZZNS1_14partition_implILS5_1ELb0ES3_jN6thrust23THRUST_200600_302600_NS6detail15normal_iteratorINSA_10device_ptrIjEEEEPS6_NSA_18transform_iteratorI7is_evenIjESF_NSA_11use_defaultESK_EENS0_5tupleIJNSA_16discard_iteratorISK_EESF_EEENSM_IJSG_SG_EEES6_PlJS6_EEE10hipError_tPvRmT3_T4_T5_T6_T7_T9_mT8_P12ihipStream_tbDpT10_ENKUlT_T0_E_clISt17integral_constantIbLb1EES1B_EEDaS16_S17_EUlS16_E_NS1_11comp_targetILNS1_3genE4ELNS1_11target_archE910ELNS1_3gpuE8ELNS1_3repE0EEENS1_30default_config_static_selectorELNS0_4arch9wavefront6targetE1EEEvT1_
	.globl	_ZN7rocprim17ROCPRIM_400000_NS6detail17trampoline_kernelINS0_14default_configENS1_25partition_config_selectorILNS1_17partition_subalgoE1EjNS0_10empty_typeEbEEZZNS1_14partition_implILS5_1ELb0ES3_jN6thrust23THRUST_200600_302600_NS6detail15normal_iteratorINSA_10device_ptrIjEEEEPS6_NSA_18transform_iteratorI7is_evenIjESF_NSA_11use_defaultESK_EENS0_5tupleIJNSA_16discard_iteratorISK_EESF_EEENSM_IJSG_SG_EEES6_PlJS6_EEE10hipError_tPvRmT3_T4_T5_T6_T7_T9_mT8_P12ihipStream_tbDpT10_ENKUlT_T0_E_clISt17integral_constantIbLb1EES1B_EEDaS16_S17_EUlS16_E_NS1_11comp_targetILNS1_3genE4ELNS1_11target_archE910ELNS1_3gpuE8ELNS1_3repE0EEENS1_30default_config_static_selectorELNS0_4arch9wavefront6targetE1EEEvT1_
	.p2align	8
	.type	_ZN7rocprim17ROCPRIM_400000_NS6detail17trampoline_kernelINS0_14default_configENS1_25partition_config_selectorILNS1_17partition_subalgoE1EjNS0_10empty_typeEbEEZZNS1_14partition_implILS5_1ELb0ES3_jN6thrust23THRUST_200600_302600_NS6detail15normal_iteratorINSA_10device_ptrIjEEEEPS6_NSA_18transform_iteratorI7is_evenIjESF_NSA_11use_defaultESK_EENS0_5tupleIJNSA_16discard_iteratorISK_EESF_EEENSM_IJSG_SG_EEES6_PlJS6_EEE10hipError_tPvRmT3_T4_T5_T6_T7_T9_mT8_P12ihipStream_tbDpT10_ENKUlT_T0_E_clISt17integral_constantIbLb1EES1B_EEDaS16_S17_EUlS16_E_NS1_11comp_targetILNS1_3genE4ELNS1_11target_archE910ELNS1_3gpuE8ELNS1_3repE0EEENS1_30default_config_static_selectorELNS0_4arch9wavefront6targetE1EEEvT1_,@function
_ZN7rocprim17ROCPRIM_400000_NS6detail17trampoline_kernelINS0_14default_configENS1_25partition_config_selectorILNS1_17partition_subalgoE1EjNS0_10empty_typeEbEEZZNS1_14partition_implILS5_1ELb0ES3_jN6thrust23THRUST_200600_302600_NS6detail15normal_iteratorINSA_10device_ptrIjEEEEPS6_NSA_18transform_iteratorI7is_evenIjESF_NSA_11use_defaultESK_EENS0_5tupleIJNSA_16discard_iteratorISK_EESF_EEENSM_IJSG_SG_EEES6_PlJS6_EEE10hipError_tPvRmT3_T4_T5_T6_T7_T9_mT8_P12ihipStream_tbDpT10_ENKUlT_T0_E_clISt17integral_constantIbLb1EES1B_EEDaS16_S17_EUlS16_E_NS1_11comp_targetILNS1_3genE4ELNS1_11target_archE910ELNS1_3gpuE8ELNS1_3repE0EEENS1_30default_config_static_selectorELNS0_4arch9wavefront6targetE1EEEvT1_: ; @_ZN7rocprim17ROCPRIM_400000_NS6detail17trampoline_kernelINS0_14default_configENS1_25partition_config_selectorILNS1_17partition_subalgoE1EjNS0_10empty_typeEbEEZZNS1_14partition_implILS5_1ELb0ES3_jN6thrust23THRUST_200600_302600_NS6detail15normal_iteratorINSA_10device_ptrIjEEEEPS6_NSA_18transform_iteratorI7is_evenIjESF_NSA_11use_defaultESK_EENS0_5tupleIJNSA_16discard_iteratorISK_EESF_EEENSM_IJSG_SG_EEES6_PlJS6_EEE10hipError_tPvRmT3_T4_T5_T6_T7_T9_mT8_P12ihipStream_tbDpT10_ENKUlT_T0_E_clISt17integral_constantIbLb1EES1B_EEDaS16_S17_EUlS16_E_NS1_11comp_targetILNS1_3genE4ELNS1_11target_archE910ELNS1_3gpuE8ELNS1_3repE0EEENS1_30default_config_static_selectorELNS0_4arch9wavefront6targetE1EEEvT1_
; %bb.0:
	.section	.rodata,"a",@progbits
	.p2align	6, 0x0
	.amdhsa_kernel _ZN7rocprim17ROCPRIM_400000_NS6detail17trampoline_kernelINS0_14default_configENS1_25partition_config_selectorILNS1_17partition_subalgoE1EjNS0_10empty_typeEbEEZZNS1_14partition_implILS5_1ELb0ES3_jN6thrust23THRUST_200600_302600_NS6detail15normal_iteratorINSA_10device_ptrIjEEEEPS6_NSA_18transform_iteratorI7is_evenIjESF_NSA_11use_defaultESK_EENS0_5tupleIJNSA_16discard_iteratorISK_EESF_EEENSM_IJSG_SG_EEES6_PlJS6_EEE10hipError_tPvRmT3_T4_T5_T6_T7_T9_mT8_P12ihipStream_tbDpT10_ENKUlT_T0_E_clISt17integral_constantIbLb1EES1B_EEDaS16_S17_EUlS16_E_NS1_11comp_targetILNS1_3genE4ELNS1_11target_archE910ELNS1_3gpuE8ELNS1_3repE0EEENS1_30default_config_static_selectorELNS0_4arch9wavefront6targetE1EEEvT1_
		.amdhsa_group_segment_fixed_size 0
		.amdhsa_private_segment_fixed_size 0
		.amdhsa_kernarg_size 152
		.amdhsa_user_sgpr_count 2
		.amdhsa_user_sgpr_dispatch_ptr 0
		.amdhsa_user_sgpr_queue_ptr 0
		.amdhsa_user_sgpr_kernarg_segment_ptr 1
		.amdhsa_user_sgpr_dispatch_id 0
		.amdhsa_user_sgpr_kernarg_preload_length 0
		.amdhsa_user_sgpr_kernarg_preload_offset 0
		.amdhsa_user_sgpr_private_segment_size 0
		.amdhsa_uses_dynamic_stack 0
		.amdhsa_enable_private_segment 0
		.amdhsa_system_sgpr_workgroup_id_x 1
		.amdhsa_system_sgpr_workgroup_id_y 0
		.amdhsa_system_sgpr_workgroup_id_z 0
		.amdhsa_system_sgpr_workgroup_info 0
		.amdhsa_system_vgpr_workitem_id 0
		.amdhsa_next_free_vgpr 1
		.amdhsa_next_free_sgpr 0
		.amdhsa_accum_offset 4
		.amdhsa_reserve_vcc 0
		.amdhsa_float_round_mode_32 0
		.amdhsa_float_round_mode_16_64 0
		.amdhsa_float_denorm_mode_32 3
		.amdhsa_float_denorm_mode_16_64 3
		.amdhsa_dx10_clamp 1
		.amdhsa_ieee_mode 1
		.amdhsa_fp16_overflow 0
		.amdhsa_tg_split 0
		.amdhsa_exception_fp_ieee_invalid_op 0
		.amdhsa_exception_fp_denorm_src 0
		.amdhsa_exception_fp_ieee_div_zero 0
		.amdhsa_exception_fp_ieee_overflow 0
		.amdhsa_exception_fp_ieee_underflow 0
		.amdhsa_exception_fp_ieee_inexact 0
		.amdhsa_exception_int_div_zero 0
	.end_amdhsa_kernel
	.section	.text._ZN7rocprim17ROCPRIM_400000_NS6detail17trampoline_kernelINS0_14default_configENS1_25partition_config_selectorILNS1_17partition_subalgoE1EjNS0_10empty_typeEbEEZZNS1_14partition_implILS5_1ELb0ES3_jN6thrust23THRUST_200600_302600_NS6detail15normal_iteratorINSA_10device_ptrIjEEEEPS6_NSA_18transform_iteratorI7is_evenIjESF_NSA_11use_defaultESK_EENS0_5tupleIJNSA_16discard_iteratorISK_EESF_EEENSM_IJSG_SG_EEES6_PlJS6_EEE10hipError_tPvRmT3_T4_T5_T6_T7_T9_mT8_P12ihipStream_tbDpT10_ENKUlT_T0_E_clISt17integral_constantIbLb1EES1B_EEDaS16_S17_EUlS16_E_NS1_11comp_targetILNS1_3genE4ELNS1_11target_archE910ELNS1_3gpuE8ELNS1_3repE0EEENS1_30default_config_static_selectorELNS0_4arch9wavefront6targetE1EEEvT1_,"axG",@progbits,_ZN7rocprim17ROCPRIM_400000_NS6detail17trampoline_kernelINS0_14default_configENS1_25partition_config_selectorILNS1_17partition_subalgoE1EjNS0_10empty_typeEbEEZZNS1_14partition_implILS5_1ELb0ES3_jN6thrust23THRUST_200600_302600_NS6detail15normal_iteratorINSA_10device_ptrIjEEEEPS6_NSA_18transform_iteratorI7is_evenIjESF_NSA_11use_defaultESK_EENS0_5tupleIJNSA_16discard_iteratorISK_EESF_EEENSM_IJSG_SG_EEES6_PlJS6_EEE10hipError_tPvRmT3_T4_T5_T6_T7_T9_mT8_P12ihipStream_tbDpT10_ENKUlT_T0_E_clISt17integral_constantIbLb1EES1B_EEDaS16_S17_EUlS16_E_NS1_11comp_targetILNS1_3genE4ELNS1_11target_archE910ELNS1_3gpuE8ELNS1_3repE0EEENS1_30default_config_static_selectorELNS0_4arch9wavefront6targetE1EEEvT1_,comdat
.Lfunc_end3045:
	.size	_ZN7rocprim17ROCPRIM_400000_NS6detail17trampoline_kernelINS0_14default_configENS1_25partition_config_selectorILNS1_17partition_subalgoE1EjNS0_10empty_typeEbEEZZNS1_14partition_implILS5_1ELb0ES3_jN6thrust23THRUST_200600_302600_NS6detail15normal_iteratorINSA_10device_ptrIjEEEEPS6_NSA_18transform_iteratorI7is_evenIjESF_NSA_11use_defaultESK_EENS0_5tupleIJNSA_16discard_iteratorISK_EESF_EEENSM_IJSG_SG_EEES6_PlJS6_EEE10hipError_tPvRmT3_T4_T5_T6_T7_T9_mT8_P12ihipStream_tbDpT10_ENKUlT_T0_E_clISt17integral_constantIbLb1EES1B_EEDaS16_S17_EUlS16_E_NS1_11comp_targetILNS1_3genE4ELNS1_11target_archE910ELNS1_3gpuE8ELNS1_3repE0EEENS1_30default_config_static_selectorELNS0_4arch9wavefront6targetE1EEEvT1_, .Lfunc_end3045-_ZN7rocprim17ROCPRIM_400000_NS6detail17trampoline_kernelINS0_14default_configENS1_25partition_config_selectorILNS1_17partition_subalgoE1EjNS0_10empty_typeEbEEZZNS1_14partition_implILS5_1ELb0ES3_jN6thrust23THRUST_200600_302600_NS6detail15normal_iteratorINSA_10device_ptrIjEEEEPS6_NSA_18transform_iteratorI7is_evenIjESF_NSA_11use_defaultESK_EENS0_5tupleIJNSA_16discard_iteratorISK_EESF_EEENSM_IJSG_SG_EEES6_PlJS6_EEE10hipError_tPvRmT3_T4_T5_T6_T7_T9_mT8_P12ihipStream_tbDpT10_ENKUlT_T0_E_clISt17integral_constantIbLb1EES1B_EEDaS16_S17_EUlS16_E_NS1_11comp_targetILNS1_3genE4ELNS1_11target_archE910ELNS1_3gpuE8ELNS1_3repE0EEENS1_30default_config_static_selectorELNS0_4arch9wavefront6targetE1EEEvT1_
                                        ; -- End function
	.section	.AMDGPU.csdata,"",@progbits
; Kernel info:
; codeLenInByte = 0
; NumSgprs: 6
; NumVgprs: 0
; NumAgprs: 0
; TotalNumVgprs: 0
; ScratchSize: 0
; MemoryBound: 0
; FloatMode: 240
; IeeeMode: 1
; LDSByteSize: 0 bytes/workgroup (compile time only)
; SGPRBlocks: 0
; VGPRBlocks: 0
; NumSGPRsForWavesPerEU: 6
; NumVGPRsForWavesPerEU: 1
; AccumOffset: 4
; Occupancy: 8
; WaveLimiterHint : 0
; COMPUTE_PGM_RSRC2:SCRATCH_EN: 0
; COMPUTE_PGM_RSRC2:USER_SGPR: 2
; COMPUTE_PGM_RSRC2:TRAP_HANDLER: 0
; COMPUTE_PGM_RSRC2:TGID_X_EN: 1
; COMPUTE_PGM_RSRC2:TGID_Y_EN: 0
; COMPUTE_PGM_RSRC2:TGID_Z_EN: 0
; COMPUTE_PGM_RSRC2:TIDIG_COMP_CNT: 0
; COMPUTE_PGM_RSRC3_GFX90A:ACCUM_OFFSET: 0
; COMPUTE_PGM_RSRC3_GFX90A:TG_SPLIT: 0
	.section	.text._ZN7rocprim17ROCPRIM_400000_NS6detail17trampoline_kernelINS0_14default_configENS1_25partition_config_selectorILNS1_17partition_subalgoE1EjNS0_10empty_typeEbEEZZNS1_14partition_implILS5_1ELb0ES3_jN6thrust23THRUST_200600_302600_NS6detail15normal_iteratorINSA_10device_ptrIjEEEEPS6_NSA_18transform_iteratorI7is_evenIjESF_NSA_11use_defaultESK_EENS0_5tupleIJNSA_16discard_iteratorISK_EESF_EEENSM_IJSG_SG_EEES6_PlJS6_EEE10hipError_tPvRmT3_T4_T5_T6_T7_T9_mT8_P12ihipStream_tbDpT10_ENKUlT_T0_E_clISt17integral_constantIbLb1EES1B_EEDaS16_S17_EUlS16_E_NS1_11comp_targetILNS1_3genE3ELNS1_11target_archE908ELNS1_3gpuE7ELNS1_3repE0EEENS1_30default_config_static_selectorELNS0_4arch9wavefront6targetE1EEEvT1_,"axG",@progbits,_ZN7rocprim17ROCPRIM_400000_NS6detail17trampoline_kernelINS0_14default_configENS1_25partition_config_selectorILNS1_17partition_subalgoE1EjNS0_10empty_typeEbEEZZNS1_14partition_implILS5_1ELb0ES3_jN6thrust23THRUST_200600_302600_NS6detail15normal_iteratorINSA_10device_ptrIjEEEEPS6_NSA_18transform_iteratorI7is_evenIjESF_NSA_11use_defaultESK_EENS0_5tupleIJNSA_16discard_iteratorISK_EESF_EEENSM_IJSG_SG_EEES6_PlJS6_EEE10hipError_tPvRmT3_T4_T5_T6_T7_T9_mT8_P12ihipStream_tbDpT10_ENKUlT_T0_E_clISt17integral_constantIbLb1EES1B_EEDaS16_S17_EUlS16_E_NS1_11comp_targetILNS1_3genE3ELNS1_11target_archE908ELNS1_3gpuE7ELNS1_3repE0EEENS1_30default_config_static_selectorELNS0_4arch9wavefront6targetE1EEEvT1_,comdat
	.protected	_ZN7rocprim17ROCPRIM_400000_NS6detail17trampoline_kernelINS0_14default_configENS1_25partition_config_selectorILNS1_17partition_subalgoE1EjNS0_10empty_typeEbEEZZNS1_14partition_implILS5_1ELb0ES3_jN6thrust23THRUST_200600_302600_NS6detail15normal_iteratorINSA_10device_ptrIjEEEEPS6_NSA_18transform_iteratorI7is_evenIjESF_NSA_11use_defaultESK_EENS0_5tupleIJNSA_16discard_iteratorISK_EESF_EEENSM_IJSG_SG_EEES6_PlJS6_EEE10hipError_tPvRmT3_T4_T5_T6_T7_T9_mT8_P12ihipStream_tbDpT10_ENKUlT_T0_E_clISt17integral_constantIbLb1EES1B_EEDaS16_S17_EUlS16_E_NS1_11comp_targetILNS1_3genE3ELNS1_11target_archE908ELNS1_3gpuE7ELNS1_3repE0EEENS1_30default_config_static_selectorELNS0_4arch9wavefront6targetE1EEEvT1_ ; -- Begin function _ZN7rocprim17ROCPRIM_400000_NS6detail17trampoline_kernelINS0_14default_configENS1_25partition_config_selectorILNS1_17partition_subalgoE1EjNS0_10empty_typeEbEEZZNS1_14partition_implILS5_1ELb0ES3_jN6thrust23THRUST_200600_302600_NS6detail15normal_iteratorINSA_10device_ptrIjEEEEPS6_NSA_18transform_iteratorI7is_evenIjESF_NSA_11use_defaultESK_EENS0_5tupleIJNSA_16discard_iteratorISK_EESF_EEENSM_IJSG_SG_EEES6_PlJS6_EEE10hipError_tPvRmT3_T4_T5_T6_T7_T9_mT8_P12ihipStream_tbDpT10_ENKUlT_T0_E_clISt17integral_constantIbLb1EES1B_EEDaS16_S17_EUlS16_E_NS1_11comp_targetILNS1_3genE3ELNS1_11target_archE908ELNS1_3gpuE7ELNS1_3repE0EEENS1_30default_config_static_selectorELNS0_4arch9wavefront6targetE1EEEvT1_
	.globl	_ZN7rocprim17ROCPRIM_400000_NS6detail17trampoline_kernelINS0_14default_configENS1_25partition_config_selectorILNS1_17partition_subalgoE1EjNS0_10empty_typeEbEEZZNS1_14partition_implILS5_1ELb0ES3_jN6thrust23THRUST_200600_302600_NS6detail15normal_iteratorINSA_10device_ptrIjEEEEPS6_NSA_18transform_iteratorI7is_evenIjESF_NSA_11use_defaultESK_EENS0_5tupleIJNSA_16discard_iteratorISK_EESF_EEENSM_IJSG_SG_EEES6_PlJS6_EEE10hipError_tPvRmT3_T4_T5_T6_T7_T9_mT8_P12ihipStream_tbDpT10_ENKUlT_T0_E_clISt17integral_constantIbLb1EES1B_EEDaS16_S17_EUlS16_E_NS1_11comp_targetILNS1_3genE3ELNS1_11target_archE908ELNS1_3gpuE7ELNS1_3repE0EEENS1_30default_config_static_selectorELNS0_4arch9wavefront6targetE1EEEvT1_
	.p2align	8
	.type	_ZN7rocprim17ROCPRIM_400000_NS6detail17trampoline_kernelINS0_14default_configENS1_25partition_config_selectorILNS1_17partition_subalgoE1EjNS0_10empty_typeEbEEZZNS1_14partition_implILS5_1ELb0ES3_jN6thrust23THRUST_200600_302600_NS6detail15normal_iteratorINSA_10device_ptrIjEEEEPS6_NSA_18transform_iteratorI7is_evenIjESF_NSA_11use_defaultESK_EENS0_5tupleIJNSA_16discard_iteratorISK_EESF_EEENSM_IJSG_SG_EEES6_PlJS6_EEE10hipError_tPvRmT3_T4_T5_T6_T7_T9_mT8_P12ihipStream_tbDpT10_ENKUlT_T0_E_clISt17integral_constantIbLb1EES1B_EEDaS16_S17_EUlS16_E_NS1_11comp_targetILNS1_3genE3ELNS1_11target_archE908ELNS1_3gpuE7ELNS1_3repE0EEENS1_30default_config_static_selectorELNS0_4arch9wavefront6targetE1EEEvT1_,@function
_ZN7rocprim17ROCPRIM_400000_NS6detail17trampoline_kernelINS0_14default_configENS1_25partition_config_selectorILNS1_17partition_subalgoE1EjNS0_10empty_typeEbEEZZNS1_14partition_implILS5_1ELb0ES3_jN6thrust23THRUST_200600_302600_NS6detail15normal_iteratorINSA_10device_ptrIjEEEEPS6_NSA_18transform_iteratorI7is_evenIjESF_NSA_11use_defaultESK_EENS0_5tupleIJNSA_16discard_iteratorISK_EESF_EEENSM_IJSG_SG_EEES6_PlJS6_EEE10hipError_tPvRmT3_T4_T5_T6_T7_T9_mT8_P12ihipStream_tbDpT10_ENKUlT_T0_E_clISt17integral_constantIbLb1EES1B_EEDaS16_S17_EUlS16_E_NS1_11comp_targetILNS1_3genE3ELNS1_11target_archE908ELNS1_3gpuE7ELNS1_3repE0EEENS1_30default_config_static_selectorELNS0_4arch9wavefront6targetE1EEEvT1_: ; @_ZN7rocprim17ROCPRIM_400000_NS6detail17trampoline_kernelINS0_14default_configENS1_25partition_config_selectorILNS1_17partition_subalgoE1EjNS0_10empty_typeEbEEZZNS1_14partition_implILS5_1ELb0ES3_jN6thrust23THRUST_200600_302600_NS6detail15normal_iteratorINSA_10device_ptrIjEEEEPS6_NSA_18transform_iteratorI7is_evenIjESF_NSA_11use_defaultESK_EENS0_5tupleIJNSA_16discard_iteratorISK_EESF_EEENSM_IJSG_SG_EEES6_PlJS6_EEE10hipError_tPvRmT3_T4_T5_T6_T7_T9_mT8_P12ihipStream_tbDpT10_ENKUlT_T0_E_clISt17integral_constantIbLb1EES1B_EEDaS16_S17_EUlS16_E_NS1_11comp_targetILNS1_3genE3ELNS1_11target_archE908ELNS1_3gpuE7ELNS1_3repE0EEENS1_30default_config_static_selectorELNS0_4arch9wavefront6targetE1EEEvT1_
; %bb.0:
	.section	.rodata,"a",@progbits
	.p2align	6, 0x0
	.amdhsa_kernel _ZN7rocprim17ROCPRIM_400000_NS6detail17trampoline_kernelINS0_14default_configENS1_25partition_config_selectorILNS1_17partition_subalgoE1EjNS0_10empty_typeEbEEZZNS1_14partition_implILS5_1ELb0ES3_jN6thrust23THRUST_200600_302600_NS6detail15normal_iteratorINSA_10device_ptrIjEEEEPS6_NSA_18transform_iteratorI7is_evenIjESF_NSA_11use_defaultESK_EENS0_5tupleIJNSA_16discard_iteratorISK_EESF_EEENSM_IJSG_SG_EEES6_PlJS6_EEE10hipError_tPvRmT3_T4_T5_T6_T7_T9_mT8_P12ihipStream_tbDpT10_ENKUlT_T0_E_clISt17integral_constantIbLb1EES1B_EEDaS16_S17_EUlS16_E_NS1_11comp_targetILNS1_3genE3ELNS1_11target_archE908ELNS1_3gpuE7ELNS1_3repE0EEENS1_30default_config_static_selectorELNS0_4arch9wavefront6targetE1EEEvT1_
		.amdhsa_group_segment_fixed_size 0
		.amdhsa_private_segment_fixed_size 0
		.amdhsa_kernarg_size 152
		.amdhsa_user_sgpr_count 2
		.amdhsa_user_sgpr_dispatch_ptr 0
		.amdhsa_user_sgpr_queue_ptr 0
		.amdhsa_user_sgpr_kernarg_segment_ptr 1
		.amdhsa_user_sgpr_dispatch_id 0
		.amdhsa_user_sgpr_kernarg_preload_length 0
		.amdhsa_user_sgpr_kernarg_preload_offset 0
		.amdhsa_user_sgpr_private_segment_size 0
		.amdhsa_uses_dynamic_stack 0
		.amdhsa_enable_private_segment 0
		.amdhsa_system_sgpr_workgroup_id_x 1
		.amdhsa_system_sgpr_workgroup_id_y 0
		.amdhsa_system_sgpr_workgroup_id_z 0
		.amdhsa_system_sgpr_workgroup_info 0
		.amdhsa_system_vgpr_workitem_id 0
		.amdhsa_next_free_vgpr 1
		.amdhsa_next_free_sgpr 0
		.amdhsa_accum_offset 4
		.amdhsa_reserve_vcc 0
		.amdhsa_float_round_mode_32 0
		.amdhsa_float_round_mode_16_64 0
		.amdhsa_float_denorm_mode_32 3
		.amdhsa_float_denorm_mode_16_64 3
		.amdhsa_dx10_clamp 1
		.amdhsa_ieee_mode 1
		.amdhsa_fp16_overflow 0
		.amdhsa_tg_split 0
		.amdhsa_exception_fp_ieee_invalid_op 0
		.amdhsa_exception_fp_denorm_src 0
		.amdhsa_exception_fp_ieee_div_zero 0
		.amdhsa_exception_fp_ieee_overflow 0
		.amdhsa_exception_fp_ieee_underflow 0
		.amdhsa_exception_fp_ieee_inexact 0
		.amdhsa_exception_int_div_zero 0
	.end_amdhsa_kernel
	.section	.text._ZN7rocprim17ROCPRIM_400000_NS6detail17trampoline_kernelINS0_14default_configENS1_25partition_config_selectorILNS1_17partition_subalgoE1EjNS0_10empty_typeEbEEZZNS1_14partition_implILS5_1ELb0ES3_jN6thrust23THRUST_200600_302600_NS6detail15normal_iteratorINSA_10device_ptrIjEEEEPS6_NSA_18transform_iteratorI7is_evenIjESF_NSA_11use_defaultESK_EENS0_5tupleIJNSA_16discard_iteratorISK_EESF_EEENSM_IJSG_SG_EEES6_PlJS6_EEE10hipError_tPvRmT3_T4_T5_T6_T7_T9_mT8_P12ihipStream_tbDpT10_ENKUlT_T0_E_clISt17integral_constantIbLb1EES1B_EEDaS16_S17_EUlS16_E_NS1_11comp_targetILNS1_3genE3ELNS1_11target_archE908ELNS1_3gpuE7ELNS1_3repE0EEENS1_30default_config_static_selectorELNS0_4arch9wavefront6targetE1EEEvT1_,"axG",@progbits,_ZN7rocprim17ROCPRIM_400000_NS6detail17trampoline_kernelINS0_14default_configENS1_25partition_config_selectorILNS1_17partition_subalgoE1EjNS0_10empty_typeEbEEZZNS1_14partition_implILS5_1ELb0ES3_jN6thrust23THRUST_200600_302600_NS6detail15normal_iteratorINSA_10device_ptrIjEEEEPS6_NSA_18transform_iteratorI7is_evenIjESF_NSA_11use_defaultESK_EENS0_5tupleIJNSA_16discard_iteratorISK_EESF_EEENSM_IJSG_SG_EEES6_PlJS6_EEE10hipError_tPvRmT3_T4_T5_T6_T7_T9_mT8_P12ihipStream_tbDpT10_ENKUlT_T0_E_clISt17integral_constantIbLb1EES1B_EEDaS16_S17_EUlS16_E_NS1_11comp_targetILNS1_3genE3ELNS1_11target_archE908ELNS1_3gpuE7ELNS1_3repE0EEENS1_30default_config_static_selectorELNS0_4arch9wavefront6targetE1EEEvT1_,comdat
.Lfunc_end3046:
	.size	_ZN7rocprim17ROCPRIM_400000_NS6detail17trampoline_kernelINS0_14default_configENS1_25partition_config_selectorILNS1_17partition_subalgoE1EjNS0_10empty_typeEbEEZZNS1_14partition_implILS5_1ELb0ES3_jN6thrust23THRUST_200600_302600_NS6detail15normal_iteratorINSA_10device_ptrIjEEEEPS6_NSA_18transform_iteratorI7is_evenIjESF_NSA_11use_defaultESK_EENS0_5tupleIJNSA_16discard_iteratorISK_EESF_EEENSM_IJSG_SG_EEES6_PlJS6_EEE10hipError_tPvRmT3_T4_T5_T6_T7_T9_mT8_P12ihipStream_tbDpT10_ENKUlT_T0_E_clISt17integral_constantIbLb1EES1B_EEDaS16_S17_EUlS16_E_NS1_11comp_targetILNS1_3genE3ELNS1_11target_archE908ELNS1_3gpuE7ELNS1_3repE0EEENS1_30default_config_static_selectorELNS0_4arch9wavefront6targetE1EEEvT1_, .Lfunc_end3046-_ZN7rocprim17ROCPRIM_400000_NS6detail17trampoline_kernelINS0_14default_configENS1_25partition_config_selectorILNS1_17partition_subalgoE1EjNS0_10empty_typeEbEEZZNS1_14partition_implILS5_1ELb0ES3_jN6thrust23THRUST_200600_302600_NS6detail15normal_iteratorINSA_10device_ptrIjEEEEPS6_NSA_18transform_iteratorI7is_evenIjESF_NSA_11use_defaultESK_EENS0_5tupleIJNSA_16discard_iteratorISK_EESF_EEENSM_IJSG_SG_EEES6_PlJS6_EEE10hipError_tPvRmT3_T4_T5_T6_T7_T9_mT8_P12ihipStream_tbDpT10_ENKUlT_T0_E_clISt17integral_constantIbLb1EES1B_EEDaS16_S17_EUlS16_E_NS1_11comp_targetILNS1_3genE3ELNS1_11target_archE908ELNS1_3gpuE7ELNS1_3repE0EEENS1_30default_config_static_selectorELNS0_4arch9wavefront6targetE1EEEvT1_
                                        ; -- End function
	.section	.AMDGPU.csdata,"",@progbits
; Kernel info:
; codeLenInByte = 0
; NumSgprs: 6
; NumVgprs: 0
; NumAgprs: 0
; TotalNumVgprs: 0
; ScratchSize: 0
; MemoryBound: 0
; FloatMode: 240
; IeeeMode: 1
; LDSByteSize: 0 bytes/workgroup (compile time only)
; SGPRBlocks: 0
; VGPRBlocks: 0
; NumSGPRsForWavesPerEU: 6
; NumVGPRsForWavesPerEU: 1
; AccumOffset: 4
; Occupancy: 8
; WaveLimiterHint : 0
; COMPUTE_PGM_RSRC2:SCRATCH_EN: 0
; COMPUTE_PGM_RSRC2:USER_SGPR: 2
; COMPUTE_PGM_RSRC2:TRAP_HANDLER: 0
; COMPUTE_PGM_RSRC2:TGID_X_EN: 1
; COMPUTE_PGM_RSRC2:TGID_Y_EN: 0
; COMPUTE_PGM_RSRC2:TGID_Z_EN: 0
; COMPUTE_PGM_RSRC2:TIDIG_COMP_CNT: 0
; COMPUTE_PGM_RSRC3_GFX90A:ACCUM_OFFSET: 0
; COMPUTE_PGM_RSRC3_GFX90A:TG_SPLIT: 0
	.section	.text._ZN7rocprim17ROCPRIM_400000_NS6detail17trampoline_kernelINS0_14default_configENS1_25partition_config_selectorILNS1_17partition_subalgoE1EjNS0_10empty_typeEbEEZZNS1_14partition_implILS5_1ELb0ES3_jN6thrust23THRUST_200600_302600_NS6detail15normal_iteratorINSA_10device_ptrIjEEEEPS6_NSA_18transform_iteratorI7is_evenIjESF_NSA_11use_defaultESK_EENS0_5tupleIJNSA_16discard_iteratorISK_EESF_EEENSM_IJSG_SG_EEES6_PlJS6_EEE10hipError_tPvRmT3_T4_T5_T6_T7_T9_mT8_P12ihipStream_tbDpT10_ENKUlT_T0_E_clISt17integral_constantIbLb1EES1B_EEDaS16_S17_EUlS16_E_NS1_11comp_targetILNS1_3genE2ELNS1_11target_archE906ELNS1_3gpuE6ELNS1_3repE0EEENS1_30default_config_static_selectorELNS0_4arch9wavefront6targetE1EEEvT1_,"axG",@progbits,_ZN7rocprim17ROCPRIM_400000_NS6detail17trampoline_kernelINS0_14default_configENS1_25partition_config_selectorILNS1_17partition_subalgoE1EjNS0_10empty_typeEbEEZZNS1_14partition_implILS5_1ELb0ES3_jN6thrust23THRUST_200600_302600_NS6detail15normal_iteratorINSA_10device_ptrIjEEEEPS6_NSA_18transform_iteratorI7is_evenIjESF_NSA_11use_defaultESK_EENS0_5tupleIJNSA_16discard_iteratorISK_EESF_EEENSM_IJSG_SG_EEES6_PlJS6_EEE10hipError_tPvRmT3_T4_T5_T6_T7_T9_mT8_P12ihipStream_tbDpT10_ENKUlT_T0_E_clISt17integral_constantIbLb1EES1B_EEDaS16_S17_EUlS16_E_NS1_11comp_targetILNS1_3genE2ELNS1_11target_archE906ELNS1_3gpuE6ELNS1_3repE0EEENS1_30default_config_static_selectorELNS0_4arch9wavefront6targetE1EEEvT1_,comdat
	.protected	_ZN7rocprim17ROCPRIM_400000_NS6detail17trampoline_kernelINS0_14default_configENS1_25partition_config_selectorILNS1_17partition_subalgoE1EjNS0_10empty_typeEbEEZZNS1_14partition_implILS5_1ELb0ES3_jN6thrust23THRUST_200600_302600_NS6detail15normal_iteratorINSA_10device_ptrIjEEEEPS6_NSA_18transform_iteratorI7is_evenIjESF_NSA_11use_defaultESK_EENS0_5tupleIJNSA_16discard_iteratorISK_EESF_EEENSM_IJSG_SG_EEES6_PlJS6_EEE10hipError_tPvRmT3_T4_T5_T6_T7_T9_mT8_P12ihipStream_tbDpT10_ENKUlT_T0_E_clISt17integral_constantIbLb1EES1B_EEDaS16_S17_EUlS16_E_NS1_11comp_targetILNS1_3genE2ELNS1_11target_archE906ELNS1_3gpuE6ELNS1_3repE0EEENS1_30default_config_static_selectorELNS0_4arch9wavefront6targetE1EEEvT1_ ; -- Begin function _ZN7rocprim17ROCPRIM_400000_NS6detail17trampoline_kernelINS0_14default_configENS1_25partition_config_selectorILNS1_17partition_subalgoE1EjNS0_10empty_typeEbEEZZNS1_14partition_implILS5_1ELb0ES3_jN6thrust23THRUST_200600_302600_NS6detail15normal_iteratorINSA_10device_ptrIjEEEEPS6_NSA_18transform_iteratorI7is_evenIjESF_NSA_11use_defaultESK_EENS0_5tupleIJNSA_16discard_iteratorISK_EESF_EEENSM_IJSG_SG_EEES6_PlJS6_EEE10hipError_tPvRmT3_T4_T5_T6_T7_T9_mT8_P12ihipStream_tbDpT10_ENKUlT_T0_E_clISt17integral_constantIbLb1EES1B_EEDaS16_S17_EUlS16_E_NS1_11comp_targetILNS1_3genE2ELNS1_11target_archE906ELNS1_3gpuE6ELNS1_3repE0EEENS1_30default_config_static_selectorELNS0_4arch9wavefront6targetE1EEEvT1_
	.globl	_ZN7rocprim17ROCPRIM_400000_NS6detail17trampoline_kernelINS0_14default_configENS1_25partition_config_selectorILNS1_17partition_subalgoE1EjNS0_10empty_typeEbEEZZNS1_14partition_implILS5_1ELb0ES3_jN6thrust23THRUST_200600_302600_NS6detail15normal_iteratorINSA_10device_ptrIjEEEEPS6_NSA_18transform_iteratorI7is_evenIjESF_NSA_11use_defaultESK_EENS0_5tupleIJNSA_16discard_iteratorISK_EESF_EEENSM_IJSG_SG_EEES6_PlJS6_EEE10hipError_tPvRmT3_T4_T5_T6_T7_T9_mT8_P12ihipStream_tbDpT10_ENKUlT_T0_E_clISt17integral_constantIbLb1EES1B_EEDaS16_S17_EUlS16_E_NS1_11comp_targetILNS1_3genE2ELNS1_11target_archE906ELNS1_3gpuE6ELNS1_3repE0EEENS1_30default_config_static_selectorELNS0_4arch9wavefront6targetE1EEEvT1_
	.p2align	8
	.type	_ZN7rocprim17ROCPRIM_400000_NS6detail17trampoline_kernelINS0_14default_configENS1_25partition_config_selectorILNS1_17partition_subalgoE1EjNS0_10empty_typeEbEEZZNS1_14partition_implILS5_1ELb0ES3_jN6thrust23THRUST_200600_302600_NS6detail15normal_iteratorINSA_10device_ptrIjEEEEPS6_NSA_18transform_iteratorI7is_evenIjESF_NSA_11use_defaultESK_EENS0_5tupleIJNSA_16discard_iteratorISK_EESF_EEENSM_IJSG_SG_EEES6_PlJS6_EEE10hipError_tPvRmT3_T4_T5_T6_T7_T9_mT8_P12ihipStream_tbDpT10_ENKUlT_T0_E_clISt17integral_constantIbLb1EES1B_EEDaS16_S17_EUlS16_E_NS1_11comp_targetILNS1_3genE2ELNS1_11target_archE906ELNS1_3gpuE6ELNS1_3repE0EEENS1_30default_config_static_selectorELNS0_4arch9wavefront6targetE1EEEvT1_,@function
_ZN7rocprim17ROCPRIM_400000_NS6detail17trampoline_kernelINS0_14default_configENS1_25partition_config_selectorILNS1_17partition_subalgoE1EjNS0_10empty_typeEbEEZZNS1_14partition_implILS5_1ELb0ES3_jN6thrust23THRUST_200600_302600_NS6detail15normal_iteratorINSA_10device_ptrIjEEEEPS6_NSA_18transform_iteratorI7is_evenIjESF_NSA_11use_defaultESK_EENS0_5tupleIJNSA_16discard_iteratorISK_EESF_EEENSM_IJSG_SG_EEES6_PlJS6_EEE10hipError_tPvRmT3_T4_T5_T6_T7_T9_mT8_P12ihipStream_tbDpT10_ENKUlT_T0_E_clISt17integral_constantIbLb1EES1B_EEDaS16_S17_EUlS16_E_NS1_11comp_targetILNS1_3genE2ELNS1_11target_archE906ELNS1_3gpuE6ELNS1_3repE0EEENS1_30default_config_static_selectorELNS0_4arch9wavefront6targetE1EEEvT1_: ; @_ZN7rocprim17ROCPRIM_400000_NS6detail17trampoline_kernelINS0_14default_configENS1_25partition_config_selectorILNS1_17partition_subalgoE1EjNS0_10empty_typeEbEEZZNS1_14partition_implILS5_1ELb0ES3_jN6thrust23THRUST_200600_302600_NS6detail15normal_iteratorINSA_10device_ptrIjEEEEPS6_NSA_18transform_iteratorI7is_evenIjESF_NSA_11use_defaultESK_EENS0_5tupleIJNSA_16discard_iteratorISK_EESF_EEENSM_IJSG_SG_EEES6_PlJS6_EEE10hipError_tPvRmT3_T4_T5_T6_T7_T9_mT8_P12ihipStream_tbDpT10_ENKUlT_T0_E_clISt17integral_constantIbLb1EES1B_EEDaS16_S17_EUlS16_E_NS1_11comp_targetILNS1_3genE2ELNS1_11target_archE906ELNS1_3gpuE6ELNS1_3repE0EEENS1_30default_config_static_selectorELNS0_4arch9wavefront6targetE1EEEvT1_
; %bb.0:
	.section	.rodata,"a",@progbits
	.p2align	6, 0x0
	.amdhsa_kernel _ZN7rocprim17ROCPRIM_400000_NS6detail17trampoline_kernelINS0_14default_configENS1_25partition_config_selectorILNS1_17partition_subalgoE1EjNS0_10empty_typeEbEEZZNS1_14partition_implILS5_1ELb0ES3_jN6thrust23THRUST_200600_302600_NS6detail15normal_iteratorINSA_10device_ptrIjEEEEPS6_NSA_18transform_iteratorI7is_evenIjESF_NSA_11use_defaultESK_EENS0_5tupleIJNSA_16discard_iteratorISK_EESF_EEENSM_IJSG_SG_EEES6_PlJS6_EEE10hipError_tPvRmT3_T4_T5_T6_T7_T9_mT8_P12ihipStream_tbDpT10_ENKUlT_T0_E_clISt17integral_constantIbLb1EES1B_EEDaS16_S17_EUlS16_E_NS1_11comp_targetILNS1_3genE2ELNS1_11target_archE906ELNS1_3gpuE6ELNS1_3repE0EEENS1_30default_config_static_selectorELNS0_4arch9wavefront6targetE1EEEvT1_
		.amdhsa_group_segment_fixed_size 0
		.amdhsa_private_segment_fixed_size 0
		.amdhsa_kernarg_size 152
		.amdhsa_user_sgpr_count 2
		.amdhsa_user_sgpr_dispatch_ptr 0
		.amdhsa_user_sgpr_queue_ptr 0
		.amdhsa_user_sgpr_kernarg_segment_ptr 1
		.amdhsa_user_sgpr_dispatch_id 0
		.amdhsa_user_sgpr_kernarg_preload_length 0
		.amdhsa_user_sgpr_kernarg_preload_offset 0
		.amdhsa_user_sgpr_private_segment_size 0
		.amdhsa_uses_dynamic_stack 0
		.amdhsa_enable_private_segment 0
		.amdhsa_system_sgpr_workgroup_id_x 1
		.amdhsa_system_sgpr_workgroup_id_y 0
		.amdhsa_system_sgpr_workgroup_id_z 0
		.amdhsa_system_sgpr_workgroup_info 0
		.amdhsa_system_vgpr_workitem_id 0
		.amdhsa_next_free_vgpr 1
		.amdhsa_next_free_sgpr 0
		.amdhsa_accum_offset 4
		.amdhsa_reserve_vcc 0
		.amdhsa_float_round_mode_32 0
		.amdhsa_float_round_mode_16_64 0
		.amdhsa_float_denorm_mode_32 3
		.amdhsa_float_denorm_mode_16_64 3
		.amdhsa_dx10_clamp 1
		.amdhsa_ieee_mode 1
		.amdhsa_fp16_overflow 0
		.amdhsa_tg_split 0
		.amdhsa_exception_fp_ieee_invalid_op 0
		.amdhsa_exception_fp_denorm_src 0
		.amdhsa_exception_fp_ieee_div_zero 0
		.amdhsa_exception_fp_ieee_overflow 0
		.amdhsa_exception_fp_ieee_underflow 0
		.amdhsa_exception_fp_ieee_inexact 0
		.amdhsa_exception_int_div_zero 0
	.end_amdhsa_kernel
	.section	.text._ZN7rocprim17ROCPRIM_400000_NS6detail17trampoline_kernelINS0_14default_configENS1_25partition_config_selectorILNS1_17partition_subalgoE1EjNS0_10empty_typeEbEEZZNS1_14partition_implILS5_1ELb0ES3_jN6thrust23THRUST_200600_302600_NS6detail15normal_iteratorINSA_10device_ptrIjEEEEPS6_NSA_18transform_iteratorI7is_evenIjESF_NSA_11use_defaultESK_EENS0_5tupleIJNSA_16discard_iteratorISK_EESF_EEENSM_IJSG_SG_EEES6_PlJS6_EEE10hipError_tPvRmT3_T4_T5_T6_T7_T9_mT8_P12ihipStream_tbDpT10_ENKUlT_T0_E_clISt17integral_constantIbLb1EES1B_EEDaS16_S17_EUlS16_E_NS1_11comp_targetILNS1_3genE2ELNS1_11target_archE906ELNS1_3gpuE6ELNS1_3repE0EEENS1_30default_config_static_selectorELNS0_4arch9wavefront6targetE1EEEvT1_,"axG",@progbits,_ZN7rocprim17ROCPRIM_400000_NS6detail17trampoline_kernelINS0_14default_configENS1_25partition_config_selectorILNS1_17partition_subalgoE1EjNS0_10empty_typeEbEEZZNS1_14partition_implILS5_1ELb0ES3_jN6thrust23THRUST_200600_302600_NS6detail15normal_iteratorINSA_10device_ptrIjEEEEPS6_NSA_18transform_iteratorI7is_evenIjESF_NSA_11use_defaultESK_EENS0_5tupleIJNSA_16discard_iteratorISK_EESF_EEENSM_IJSG_SG_EEES6_PlJS6_EEE10hipError_tPvRmT3_T4_T5_T6_T7_T9_mT8_P12ihipStream_tbDpT10_ENKUlT_T0_E_clISt17integral_constantIbLb1EES1B_EEDaS16_S17_EUlS16_E_NS1_11comp_targetILNS1_3genE2ELNS1_11target_archE906ELNS1_3gpuE6ELNS1_3repE0EEENS1_30default_config_static_selectorELNS0_4arch9wavefront6targetE1EEEvT1_,comdat
.Lfunc_end3047:
	.size	_ZN7rocprim17ROCPRIM_400000_NS6detail17trampoline_kernelINS0_14default_configENS1_25partition_config_selectorILNS1_17partition_subalgoE1EjNS0_10empty_typeEbEEZZNS1_14partition_implILS5_1ELb0ES3_jN6thrust23THRUST_200600_302600_NS6detail15normal_iteratorINSA_10device_ptrIjEEEEPS6_NSA_18transform_iteratorI7is_evenIjESF_NSA_11use_defaultESK_EENS0_5tupleIJNSA_16discard_iteratorISK_EESF_EEENSM_IJSG_SG_EEES6_PlJS6_EEE10hipError_tPvRmT3_T4_T5_T6_T7_T9_mT8_P12ihipStream_tbDpT10_ENKUlT_T0_E_clISt17integral_constantIbLb1EES1B_EEDaS16_S17_EUlS16_E_NS1_11comp_targetILNS1_3genE2ELNS1_11target_archE906ELNS1_3gpuE6ELNS1_3repE0EEENS1_30default_config_static_selectorELNS0_4arch9wavefront6targetE1EEEvT1_, .Lfunc_end3047-_ZN7rocprim17ROCPRIM_400000_NS6detail17trampoline_kernelINS0_14default_configENS1_25partition_config_selectorILNS1_17partition_subalgoE1EjNS0_10empty_typeEbEEZZNS1_14partition_implILS5_1ELb0ES3_jN6thrust23THRUST_200600_302600_NS6detail15normal_iteratorINSA_10device_ptrIjEEEEPS6_NSA_18transform_iteratorI7is_evenIjESF_NSA_11use_defaultESK_EENS0_5tupleIJNSA_16discard_iteratorISK_EESF_EEENSM_IJSG_SG_EEES6_PlJS6_EEE10hipError_tPvRmT3_T4_T5_T6_T7_T9_mT8_P12ihipStream_tbDpT10_ENKUlT_T0_E_clISt17integral_constantIbLb1EES1B_EEDaS16_S17_EUlS16_E_NS1_11comp_targetILNS1_3genE2ELNS1_11target_archE906ELNS1_3gpuE6ELNS1_3repE0EEENS1_30default_config_static_selectorELNS0_4arch9wavefront6targetE1EEEvT1_
                                        ; -- End function
	.section	.AMDGPU.csdata,"",@progbits
; Kernel info:
; codeLenInByte = 0
; NumSgprs: 6
; NumVgprs: 0
; NumAgprs: 0
; TotalNumVgprs: 0
; ScratchSize: 0
; MemoryBound: 0
; FloatMode: 240
; IeeeMode: 1
; LDSByteSize: 0 bytes/workgroup (compile time only)
; SGPRBlocks: 0
; VGPRBlocks: 0
; NumSGPRsForWavesPerEU: 6
; NumVGPRsForWavesPerEU: 1
; AccumOffset: 4
; Occupancy: 8
; WaveLimiterHint : 0
; COMPUTE_PGM_RSRC2:SCRATCH_EN: 0
; COMPUTE_PGM_RSRC2:USER_SGPR: 2
; COMPUTE_PGM_RSRC2:TRAP_HANDLER: 0
; COMPUTE_PGM_RSRC2:TGID_X_EN: 1
; COMPUTE_PGM_RSRC2:TGID_Y_EN: 0
; COMPUTE_PGM_RSRC2:TGID_Z_EN: 0
; COMPUTE_PGM_RSRC2:TIDIG_COMP_CNT: 0
; COMPUTE_PGM_RSRC3_GFX90A:ACCUM_OFFSET: 0
; COMPUTE_PGM_RSRC3_GFX90A:TG_SPLIT: 0
	.section	.text._ZN7rocprim17ROCPRIM_400000_NS6detail17trampoline_kernelINS0_14default_configENS1_25partition_config_selectorILNS1_17partition_subalgoE1EjNS0_10empty_typeEbEEZZNS1_14partition_implILS5_1ELb0ES3_jN6thrust23THRUST_200600_302600_NS6detail15normal_iteratorINSA_10device_ptrIjEEEEPS6_NSA_18transform_iteratorI7is_evenIjESF_NSA_11use_defaultESK_EENS0_5tupleIJNSA_16discard_iteratorISK_EESF_EEENSM_IJSG_SG_EEES6_PlJS6_EEE10hipError_tPvRmT3_T4_T5_T6_T7_T9_mT8_P12ihipStream_tbDpT10_ENKUlT_T0_E_clISt17integral_constantIbLb1EES1B_EEDaS16_S17_EUlS16_E_NS1_11comp_targetILNS1_3genE10ELNS1_11target_archE1200ELNS1_3gpuE4ELNS1_3repE0EEENS1_30default_config_static_selectorELNS0_4arch9wavefront6targetE1EEEvT1_,"axG",@progbits,_ZN7rocprim17ROCPRIM_400000_NS6detail17trampoline_kernelINS0_14default_configENS1_25partition_config_selectorILNS1_17partition_subalgoE1EjNS0_10empty_typeEbEEZZNS1_14partition_implILS5_1ELb0ES3_jN6thrust23THRUST_200600_302600_NS6detail15normal_iteratorINSA_10device_ptrIjEEEEPS6_NSA_18transform_iteratorI7is_evenIjESF_NSA_11use_defaultESK_EENS0_5tupleIJNSA_16discard_iteratorISK_EESF_EEENSM_IJSG_SG_EEES6_PlJS6_EEE10hipError_tPvRmT3_T4_T5_T6_T7_T9_mT8_P12ihipStream_tbDpT10_ENKUlT_T0_E_clISt17integral_constantIbLb1EES1B_EEDaS16_S17_EUlS16_E_NS1_11comp_targetILNS1_3genE10ELNS1_11target_archE1200ELNS1_3gpuE4ELNS1_3repE0EEENS1_30default_config_static_selectorELNS0_4arch9wavefront6targetE1EEEvT1_,comdat
	.protected	_ZN7rocprim17ROCPRIM_400000_NS6detail17trampoline_kernelINS0_14default_configENS1_25partition_config_selectorILNS1_17partition_subalgoE1EjNS0_10empty_typeEbEEZZNS1_14partition_implILS5_1ELb0ES3_jN6thrust23THRUST_200600_302600_NS6detail15normal_iteratorINSA_10device_ptrIjEEEEPS6_NSA_18transform_iteratorI7is_evenIjESF_NSA_11use_defaultESK_EENS0_5tupleIJNSA_16discard_iteratorISK_EESF_EEENSM_IJSG_SG_EEES6_PlJS6_EEE10hipError_tPvRmT3_T4_T5_T6_T7_T9_mT8_P12ihipStream_tbDpT10_ENKUlT_T0_E_clISt17integral_constantIbLb1EES1B_EEDaS16_S17_EUlS16_E_NS1_11comp_targetILNS1_3genE10ELNS1_11target_archE1200ELNS1_3gpuE4ELNS1_3repE0EEENS1_30default_config_static_selectorELNS0_4arch9wavefront6targetE1EEEvT1_ ; -- Begin function _ZN7rocprim17ROCPRIM_400000_NS6detail17trampoline_kernelINS0_14default_configENS1_25partition_config_selectorILNS1_17partition_subalgoE1EjNS0_10empty_typeEbEEZZNS1_14partition_implILS5_1ELb0ES3_jN6thrust23THRUST_200600_302600_NS6detail15normal_iteratorINSA_10device_ptrIjEEEEPS6_NSA_18transform_iteratorI7is_evenIjESF_NSA_11use_defaultESK_EENS0_5tupleIJNSA_16discard_iteratorISK_EESF_EEENSM_IJSG_SG_EEES6_PlJS6_EEE10hipError_tPvRmT3_T4_T5_T6_T7_T9_mT8_P12ihipStream_tbDpT10_ENKUlT_T0_E_clISt17integral_constantIbLb1EES1B_EEDaS16_S17_EUlS16_E_NS1_11comp_targetILNS1_3genE10ELNS1_11target_archE1200ELNS1_3gpuE4ELNS1_3repE0EEENS1_30default_config_static_selectorELNS0_4arch9wavefront6targetE1EEEvT1_
	.globl	_ZN7rocprim17ROCPRIM_400000_NS6detail17trampoline_kernelINS0_14default_configENS1_25partition_config_selectorILNS1_17partition_subalgoE1EjNS0_10empty_typeEbEEZZNS1_14partition_implILS5_1ELb0ES3_jN6thrust23THRUST_200600_302600_NS6detail15normal_iteratorINSA_10device_ptrIjEEEEPS6_NSA_18transform_iteratorI7is_evenIjESF_NSA_11use_defaultESK_EENS0_5tupleIJNSA_16discard_iteratorISK_EESF_EEENSM_IJSG_SG_EEES6_PlJS6_EEE10hipError_tPvRmT3_T4_T5_T6_T7_T9_mT8_P12ihipStream_tbDpT10_ENKUlT_T0_E_clISt17integral_constantIbLb1EES1B_EEDaS16_S17_EUlS16_E_NS1_11comp_targetILNS1_3genE10ELNS1_11target_archE1200ELNS1_3gpuE4ELNS1_3repE0EEENS1_30default_config_static_selectorELNS0_4arch9wavefront6targetE1EEEvT1_
	.p2align	8
	.type	_ZN7rocprim17ROCPRIM_400000_NS6detail17trampoline_kernelINS0_14default_configENS1_25partition_config_selectorILNS1_17partition_subalgoE1EjNS0_10empty_typeEbEEZZNS1_14partition_implILS5_1ELb0ES3_jN6thrust23THRUST_200600_302600_NS6detail15normal_iteratorINSA_10device_ptrIjEEEEPS6_NSA_18transform_iteratorI7is_evenIjESF_NSA_11use_defaultESK_EENS0_5tupleIJNSA_16discard_iteratorISK_EESF_EEENSM_IJSG_SG_EEES6_PlJS6_EEE10hipError_tPvRmT3_T4_T5_T6_T7_T9_mT8_P12ihipStream_tbDpT10_ENKUlT_T0_E_clISt17integral_constantIbLb1EES1B_EEDaS16_S17_EUlS16_E_NS1_11comp_targetILNS1_3genE10ELNS1_11target_archE1200ELNS1_3gpuE4ELNS1_3repE0EEENS1_30default_config_static_selectorELNS0_4arch9wavefront6targetE1EEEvT1_,@function
_ZN7rocprim17ROCPRIM_400000_NS6detail17trampoline_kernelINS0_14default_configENS1_25partition_config_selectorILNS1_17partition_subalgoE1EjNS0_10empty_typeEbEEZZNS1_14partition_implILS5_1ELb0ES3_jN6thrust23THRUST_200600_302600_NS6detail15normal_iteratorINSA_10device_ptrIjEEEEPS6_NSA_18transform_iteratorI7is_evenIjESF_NSA_11use_defaultESK_EENS0_5tupleIJNSA_16discard_iteratorISK_EESF_EEENSM_IJSG_SG_EEES6_PlJS6_EEE10hipError_tPvRmT3_T4_T5_T6_T7_T9_mT8_P12ihipStream_tbDpT10_ENKUlT_T0_E_clISt17integral_constantIbLb1EES1B_EEDaS16_S17_EUlS16_E_NS1_11comp_targetILNS1_3genE10ELNS1_11target_archE1200ELNS1_3gpuE4ELNS1_3repE0EEENS1_30default_config_static_selectorELNS0_4arch9wavefront6targetE1EEEvT1_: ; @_ZN7rocprim17ROCPRIM_400000_NS6detail17trampoline_kernelINS0_14default_configENS1_25partition_config_selectorILNS1_17partition_subalgoE1EjNS0_10empty_typeEbEEZZNS1_14partition_implILS5_1ELb0ES3_jN6thrust23THRUST_200600_302600_NS6detail15normal_iteratorINSA_10device_ptrIjEEEEPS6_NSA_18transform_iteratorI7is_evenIjESF_NSA_11use_defaultESK_EENS0_5tupleIJNSA_16discard_iteratorISK_EESF_EEENSM_IJSG_SG_EEES6_PlJS6_EEE10hipError_tPvRmT3_T4_T5_T6_T7_T9_mT8_P12ihipStream_tbDpT10_ENKUlT_T0_E_clISt17integral_constantIbLb1EES1B_EEDaS16_S17_EUlS16_E_NS1_11comp_targetILNS1_3genE10ELNS1_11target_archE1200ELNS1_3gpuE4ELNS1_3repE0EEENS1_30default_config_static_selectorELNS0_4arch9wavefront6targetE1EEEvT1_
; %bb.0:
	.section	.rodata,"a",@progbits
	.p2align	6, 0x0
	.amdhsa_kernel _ZN7rocprim17ROCPRIM_400000_NS6detail17trampoline_kernelINS0_14default_configENS1_25partition_config_selectorILNS1_17partition_subalgoE1EjNS0_10empty_typeEbEEZZNS1_14partition_implILS5_1ELb0ES3_jN6thrust23THRUST_200600_302600_NS6detail15normal_iteratorINSA_10device_ptrIjEEEEPS6_NSA_18transform_iteratorI7is_evenIjESF_NSA_11use_defaultESK_EENS0_5tupleIJNSA_16discard_iteratorISK_EESF_EEENSM_IJSG_SG_EEES6_PlJS6_EEE10hipError_tPvRmT3_T4_T5_T6_T7_T9_mT8_P12ihipStream_tbDpT10_ENKUlT_T0_E_clISt17integral_constantIbLb1EES1B_EEDaS16_S17_EUlS16_E_NS1_11comp_targetILNS1_3genE10ELNS1_11target_archE1200ELNS1_3gpuE4ELNS1_3repE0EEENS1_30default_config_static_selectorELNS0_4arch9wavefront6targetE1EEEvT1_
		.amdhsa_group_segment_fixed_size 0
		.amdhsa_private_segment_fixed_size 0
		.amdhsa_kernarg_size 152
		.amdhsa_user_sgpr_count 2
		.amdhsa_user_sgpr_dispatch_ptr 0
		.amdhsa_user_sgpr_queue_ptr 0
		.amdhsa_user_sgpr_kernarg_segment_ptr 1
		.amdhsa_user_sgpr_dispatch_id 0
		.amdhsa_user_sgpr_kernarg_preload_length 0
		.amdhsa_user_sgpr_kernarg_preload_offset 0
		.amdhsa_user_sgpr_private_segment_size 0
		.amdhsa_uses_dynamic_stack 0
		.amdhsa_enable_private_segment 0
		.amdhsa_system_sgpr_workgroup_id_x 1
		.amdhsa_system_sgpr_workgroup_id_y 0
		.amdhsa_system_sgpr_workgroup_id_z 0
		.amdhsa_system_sgpr_workgroup_info 0
		.amdhsa_system_vgpr_workitem_id 0
		.amdhsa_next_free_vgpr 1
		.amdhsa_next_free_sgpr 0
		.amdhsa_accum_offset 4
		.amdhsa_reserve_vcc 0
		.amdhsa_float_round_mode_32 0
		.amdhsa_float_round_mode_16_64 0
		.amdhsa_float_denorm_mode_32 3
		.amdhsa_float_denorm_mode_16_64 3
		.amdhsa_dx10_clamp 1
		.amdhsa_ieee_mode 1
		.amdhsa_fp16_overflow 0
		.amdhsa_tg_split 0
		.amdhsa_exception_fp_ieee_invalid_op 0
		.amdhsa_exception_fp_denorm_src 0
		.amdhsa_exception_fp_ieee_div_zero 0
		.amdhsa_exception_fp_ieee_overflow 0
		.amdhsa_exception_fp_ieee_underflow 0
		.amdhsa_exception_fp_ieee_inexact 0
		.amdhsa_exception_int_div_zero 0
	.end_amdhsa_kernel
	.section	.text._ZN7rocprim17ROCPRIM_400000_NS6detail17trampoline_kernelINS0_14default_configENS1_25partition_config_selectorILNS1_17partition_subalgoE1EjNS0_10empty_typeEbEEZZNS1_14partition_implILS5_1ELb0ES3_jN6thrust23THRUST_200600_302600_NS6detail15normal_iteratorINSA_10device_ptrIjEEEEPS6_NSA_18transform_iteratorI7is_evenIjESF_NSA_11use_defaultESK_EENS0_5tupleIJNSA_16discard_iteratorISK_EESF_EEENSM_IJSG_SG_EEES6_PlJS6_EEE10hipError_tPvRmT3_T4_T5_T6_T7_T9_mT8_P12ihipStream_tbDpT10_ENKUlT_T0_E_clISt17integral_constantIbLb1EES1B_EEDaS16_S17_EUlS16_E_NS1_11comp_targetILNS1_3genE10ELNS1_11target_archE1200ELNS1_3gpuE4ELNS1_3repE0EEENS1_30default_config_static_selectorELNS0_4arch9wavefront6targetE1EEEvT1_,"axG",@progbits,_ZN7rocprim17ROCPRIM_400000_NS6detail17trampoline_kernelINS0_14default_configENS1_25partition_config_selectorILNS1_17partition_subalgoE1EjNS0_10empty_typeEbEEZZNS1_14partition_implILS5_1ELb0ES3_jN6thrust23THRUST_200600_302600_NS6detail15normal_iteratorINSA_10device_ptrIjEEEEPS6_NSA_18transform_iteratorI7is_evenIjESF_NSA_11use_defaultESK_EENS0_5tupleIJNSA_16discard_iteratorISK_EESF_EEENSM_IJSG_SG_EEES6_PlJS6_EEE10hipError_tPvRmT3_T4_T5_T6_T7_T9_mT8_P12ihipStream_tbDpT10_ENKUlT_T0_E_clISt17integral_constantIbLb1EES1B_EEDaS16_S17_EUlS16_E_NS1_11comp_targetILNS1_3genE10ELNS1_11target_archE1200ELNS1_3gpuE4ELNS1_3repE0EEENS1_30default_config_static_selectorELNS0_4arch9wavefront6targetE1EEEvT1_,comdat
.Lfunc_end3048:
	.size	_ZN7rocprim17ROCPRIM_400000_NS6detail17trampoline_kernelINS0_14default_configENS1_25partition_config_selectorILNS1_17partition_subalgoE1EjNS0_10empty_typeEbEEZZNS1_14partition_implILS5_1ELb0ES3_jN6thrust23THRUST_200600_302600_NS6detail15normal_iteratorINSA_10device_ptrIjEEEEPS6_NSA_18transform_iteratorI7is_evenIjESF_NSA_11use_defaultESK_EENS0_5tupleIJNSA_16discard_iteratorISK_EESF_EEENSM_IJSG_SG_EEES6_PlJS6_EEE10hipError_tPvRmT3_T4_T5_T6_T7_T9_mT8_P12ihipStream_tbDpT10_ENKUlT_T0_E_clISt17integral_constantIbLb1EES1B_EEDaS16_S17_EUlS16_E_NS1_11comp_targetILNS1_3genE10ELNS1_11target_archE1200ELNS1_3gpuE4ELNS1_3repE0EEENS1_30default_config_static_selectorELNS0_4arch9wavefront6targetE1EEEvT1_, .Lfunc_end3048-_ZN7rocprim17ROCPRIM_400000_NS6detail17trampoline_kernelINS0_14default_configENS1_25partition_config_selectorILNS1_17partition_subalgoE1EjNS0_10empty_typeEbEEZZNS1_14partition_implILS5_1ELb0ES3_jN6thrust23THRUST_200600_302600_NS6detail15normal_iteratorINSA_10device_ptrIjEEEEPS6_NSA_18transform_iteratorI7is_evenIjESF_NSA_11use_defaultESK_EENS0_5tupleIJNSA_16discard_iteratorISK_EESF_EEENSM_IJSG_SG_EEES6_PlJS6_EEE10hipError_tPvRmT3_T4_T5_T6_T7_T9_mT8_P12ihipStream_tbDpT10_ENKUlT_T0_E_clISt17integral_constantIbLb1EES1B_EEDaS16_S17_EUlS16_E_NS1_11comp_targetILNS1_3genE10ELNS1_11target_archE1200ELNS1_3gpuE4ELNS1_3repE0EEENS1_30default_config_static_selectorELNS0_4arch9wavefront6targetE1EEEvT1_
                                        ; -- End function
	.section	.AMDGPU.csdata,"",@progbits
; Kernel info:
; codeLenInByte = 0
; NumSgprs: 6
; NumVgprs: 0
; NumAgprs: 0
; TotalNumVgprs: 0
; ScratchSize: 0
; MemoryBound: 0
; FloatMode: 240
; IeeeMode: 1
; LDSByteSize: 0 bytes/workgroup (compile time only)
; SGPRBlocks: 0
; VGPRBlocks: 0
; NumSGPRsForWavesPerEU: 6
; NumVGPRsForWavesPerEU: 1
; AccumOffset: 4
; Occupancy: 8
; WaveLimiterHint : 0
; COMPUTE_PGM_RSRC2:SCRATCH_EN: 0
; COMPUTE_PGM_RSRC2:USER_SGPR: 2
; COMPUTE_PGM_RSRC2:TRAP_HANDLER: 0
; COMPUTE_PGM_RSRC2:TGID_X_EN: 1
; COMPUTE_PGM_RSRC2:TGID_Y_EN: 0
; COMPUTE_PGM_RSRC2:TGID_Z_EN: 0
; COMPUTE_PGM_RSRC2:TIDIG_COMP_CNT: 0
; COMPUTE_PGM_RSRC3_GFX90A:ACCUM_OFFSET: 0
; COMPUTE_PGM_RSRC3_GFX90A:TG_SPLIT: 0
	.section	.text._ZN7rocprim17ROCPRIM_400000_NS6detail17trampoline_kernelINS0_14default_configENS1_25partition_config_selectorILNS1_17partition_subalgoE1EjNS0_10empty_typeEbEEZZNS1_14partition_implILS5_1ELb0ES3_jN6thrust23THRUST_200600_302600_NS6detail15normal_iteratorINSA_10device_ptrIjEEEEPS6_NSA_18transform_iteratorI7is_evenIjESF_NSA_11use_defaultESK_EENS0_5tupleIJNSA_16discard_iteratorISK_EESF_EEENSM_IJSG_SG_EEES6_PlJS6_EEE10hipError_tPvRmT3_T4_T5_T6_T7_T9_mT8_P12ihipStream_tbDpT10_ENKUlT_T0_E_clISt17integral_constantIbLb1EES1B_EEDaS16_S17_EUlS16_E_NS1_11comp_targetILNS1_3genE9ELNS1_11target_archE1100ELNS1_3gpuE3ELNS1_3repE0EEENS1_30default_config_static_selectorELNS0_4arch9wavefront6targetE1EEEvT1_,"axG",@progbits,_ZN7rocprim17ROCPRIM_400000_NS6detail17trampoline_kernelINS0_14default_configENS1_25partition_config_selectorILNS1_17partition_subalgoE1EjNS0_10empty_typeEbEEZZNS1_14partition_implILS5_1ELb0ES3_jN6thrust23THRUST_200600_302600_NS6detail15normal_iteratorINSA_10device_ptrIjEEEEPS6_NSA_18transform_iteratorI7is_evenIjESF_NSA_11use_defaultESK_EENS0_5tupleIJNSA_16discard_iteratorISK_EESF_EEENSM_IJSG_SG_EEES6_PlJS6_EEE10hipError_tPvRmT3_T4_T5_T6_T7_T9_mT8_P12ihipStream_tbDpT10_ENKUlT_T0_E_clISt17integral_constantIbLb1EES1B_EEDaS16_S17_EUlS16_E_NS1_11comp_targetILNS1_3genE9ELNS1_11target_archE1100ELNS1_3gpuE3ELNS1_3repE0EEENS1_30default_config_static_selectorELNS0_4arch9wavefront6targetE1EEEvT1_,comdat
	.protected	_ZN7rocprim17ROCPRIM_400000_NS6detail17trampoline_kernelINS0_14default_configENS1_25partition_config_selectorILNS1_17partition_subalgoE1EjNS0_10empty_typeEbEEZZNS1_14partition_implILS5_1ELb0ES3_jN6thrust23THRUST_200600_302600_NS6detail15normal_iteratorINSA_10device_ptrIjEEEEPS6_NSA_18transform_iteratorI7is_evenIjESF_NSA_11use_defaultESK_EENS0_5tupleIJNSA_16discard_iteratorISK_EESF_EEENSM_IJSG_SG_EEES6_PlJS6_EEE10hipError_tPvRmT3_T4_T5_T6_T7_T9_mT8_P12ihipStream_tbDpT10_ENKUlT_T0_E_clISt17integral_constantIbLb1EES1B_EEDaS16_S17_EUlS16_E_NS1_11comp_targetILNS1_3genE9ELNS1_11target_archE1100ELNS1_3gpuE3ELNS1_3repE0EEENS1_30default_config_static_selectorELNS0_4arch9wavefront6targetE1EEEvT1_ ; -- Begin function _ZN7rocprim17ROCPRIM_400000_NS6detail17trampoline_kernelINS0_14default_configENS1_25partition_config_selectorILNS1_17partition_subalgoE1EjNS0_10empty_typeEbEEZZNS1_14partition_implILS5_1ELb0ES3_jN6thrust23THRUST_200600_302600_NS6detail15normal_iteratorINSA_10device_ptrIjEEEEPS6_NSA_18transform_iteratorI7is_evenIjESF_NSA_11use_defaultESK_EENS0_5tupleIJNSA_16discard_iteratorISK_EESF_EEENSM_IJSG_SG_EEES6_PlJS6_EEE10hipError_tPvRmT3_T4_T5_T6_T7_T9_mT8_P12ihipStream_tbDpT10_ENKUlT_T0_E_clISt17integral_constantIbLb1EES1B_EEDaS16_S17_EUlS16_E_NS1_11comp_targetILNS1_3genE9ELNS1_11target_archE1100ELNS1_3gpuE3ELNS1_3repE0EEENS1_30default_config_static_selectorELNS0_4arch9wavefront6targetE1EEEvT1_
	.globl	_ZN7rocprim17ROCPRIM_400000_NS6detail17trampoline_kernelINS0_14default_configENS1_25partition_config_selectorILNS1_17partition_subalgoE1EjNS0_10empty_typeEbEEZZNS1_14partition_implILS5_1ELb0ES3_jN6thrust23THRUST_200600_302600_NS6detail15normal_iteratorINSA_10device_ptrIjEEEEPS6_NSA_18transform_iteratorI7is_evenIjESF_NSA_11use_defaultESK_EENS0_5tupleIJNSA_16discard_iteratorISK_EESF_EEENSM_IJSG_SG_EEES6_PlJS6_EEE10hipError_tPvRmT3_T4_T5_T6_T7_T9_mT8_P12ihipStream_tbDpT10_ENKUlT_T0_E_clISt17integral_constantIbLb1EES1B_EEDaS16_S17_EUlS16_E_NS1_11comp_targetILNS1_3genE9ELNS1_11target_archE1100ELNS1_3gpuE3ELNS1_3repE0EEENS1_30default_config_static_selectorELNS0_4arch9wavefront6targetE1EEEvT1_
	.p2align	8
	.type	_ZN7rocprim17ROCPRIM_400000_NS6detail17trampoline_kernelINS0_14default_configENS1_25partition_config_selectorILNS1_17partition_subalgoE1EjNS0_10empty_typeEbEEZZNS1_14partition_implILS5_1ELb0ES3_jN6thrust23THRUST_200600_302600_NS6detail15normal_iteratorINSA_10device_ptrIjEEEEPS6_NSA_18transform_iteratorI7is_evenIjESF_NSA_11use_defaultESK_EENS0_5tupleIJNSA_16discard_iteratorISK_EESF_EEENSM_IJSG_SG_EEES6_PlJS6_EEE10hipError_tPvRmT3_T4_T5_T6_T7_T9_mT8_P12ihipStream_tbDpT10_ENKUlT_T0_E_clISt17integral_constantIbLb1EES1B_EEDaS16_S17_EUlS16_E_NS1_11comp_targetILNS1_3genE9ELNS1_11target_archE1100ELNS1_3gpuE3ELNS1_3repE0EEENS1_30default_config_static_selectorELNS0_4arch9wavefront6targetE1EEEvT1_,@function
_ZN7rocprim17ROCPRIM_400000_NS6detail17trampoline_kernelINS0_14default_configENS1_25partition_config_selectorILNS1_17partition_subalgoE1EjNS0_10empty_typeEbEEZZNS1_14partition_implILS5_1ELb0ES3_jN6thrust23THRUST_200600_302600_NS6detail15normal_iteratorINSA_10device_ptrIjEEEEPS6_NSA_18transform_iteratorI7is_evenIjESF_NSA_11use_defaultESK_EENS0_5tupleIJNSA_16discard_iteratorISK_EESF_EEENSM_IJSG_SG_EEES6_PlJS6_EEE10hipError_tPvRmT3_T4_T5_T6_T7_T9_mT8_P12ihipStream_tbDpT10_ENKUlT_T0_E_clISt17integral_constantIbLb1EES1B_EEDaS16_S17_EUlS16_E_NS1_11comp_targetILNS1_3genE9ELNS1_11target_archE1100ELNS1_3gpuE3ELNS1_3repE0EEENS1_30default_config_static_selectorELNS0_4arch9wavefront6targetE1EEEvT1_: ; @_ZN7rocprim17ROCPRIM_400000_NS6detail17trampoline_kernelINS0_14default_configENS1_25partition_config_selectorILNS1_17partition_subalgoE1EjNS0_10empty_typeEbEEZZNS1_14partition_implILS5_1ELb0ES3_jN6thrust23THRUST_200600_302600_NS6detail15normal_iteratorINSA_10device_ptrIjEEEEPS6_NSA_18transform_iteratorI7is_evenIjESF_NSA_11use_defaultESK_EENS0_5tupleIJNSA_16discard_iteratorISK_EESF_EEENSM_IJSG_SG_EEES6_PlJS6_EEE10hipError_tPvRmT3_T4_T5_T6_T7_T9_mT8_P12ihipStream_tbDpT10_ENKUlT_T0_E_clISt17integral_constantIbLb1EES1B_EEDaS16_S17_EUlS16_E_NS1_11comp_targetILNS1_3genE9ELNS1_11target_archE1100ELNS1_3gpuE3ELNS1_3repE0EEENS1_30default_config_static_selectorELNS0_4arch9wavefront6targetE1EEEvT1_
; %bb.0:
	.section	.rodata,"a",@progbits
	.p2align	6, 0x0
	.amdhsa_kernel _ZN7rocprim17ROCPRIM_400000_NS6detail17trampoline_kernelINS0_14default_configENS1_25partition_config_selectorILNS1_17partition_subalgoE1EjNS0_10empty_typeEbEEZZNS1_14partition_implILS5_1ELb0ES3_jN6thrust23THRUST_200600_302600_NS6detail15normal_iteratorINSA_10device_ptrIjEEEEPS6_NSA_18transform_iteratorI7is_evenIjESF_NSA_11use_defaultESK_EENS0_5tupleIJNSA_16discard_iteratorISK_EESF_EEENSM_IJSG_SG_EEES6_PlJS6_EEE10hipError_tPvRmT3_T4_T5_T6_T7_T9_mT8_P12ihipStream_tbDpT10_ENKUlT_T0_E_clISt17integral_constantIbLb1EES1B_EEDaS16_S17_EUlS16_E_NS1_11comp_targetILNS1_3genE9ELNS1_11target_archE1100ELNS1_3gpuE3ELNS1_3repE0EEENS1_30default_config_static_selectorELNS0_4arch9wavefront6targetE1EEEvT1_
		.amdhsa_group_segment_fixed_size 0
		.amdhsa_private_segment_fixed_size 0
		.amdhsa_kernarg_size 152
		.amdhsa_user_sgpr_count 2
		.amdhsa_user_sgpr_dispatch_ptr 0
		.amdhsa_user_sgpr_queue_ptr 0
		.amdhsa_user_sgpr_kernarg_segment_ptr 1
		.amdhsa_user_sgpr_dispatch_id 0
		.amdhsa_user_sgpr_kernarg_preload_length 0
		.amdhsa_user_sgpr_kernarg_preload_offset 0
		.amdhsa_user_sgpr_private_segment_size 0
		.amdhsa_uses_dynamic_stack 0
		.amdhsa_enable_private_segment 0
		.amdhsa_system_sgpr_workgroup_id_x 1
		.amdhsa_system_sgpr_workgroup_id_y 0
		.amdhsa_system_sgpr_workgroup_id_z 0
		.amdhsa_system_sgpr_workgroup_info 0
		.amdhsa_system_vgpr_workitem_id 0
		.amdhsa_next_free_vgpr 1
		.amdhsa_next_free_sgpr 0
		.amdhsa_accum_offset 4
		.amdhsa_reserve_vcc 0
		.amdhsa_float_round_mode_32 0
		.amdhsa_float_round_mode_16_64 0
		.amdhsa_float_denorm_mode_32 3
		.amdhsa_float_denorm_mode_16_64 3
		.amdhsa_dx10_clamp 1
		.amdhsa_ieee_mode 1
		.amdhsa_fp16_overflow 0
		.amdhsa_tg_split 0
		.amdhsa_exception_fp_ieee_invalid_op 0
		.amdhsa_exception_fp_denorm_src 0
		.amdhsa_exception_fp_ieee_div_zero 0
		.amdhsa_exception_fp_ieee_overflow 0
		.amdhsa_exception_fp_ieee_underflow 0
		.amdhsa_exception_fp_ieee_inexact 0
		.amdhsa_exception_int_div_zero 0
	.end_amdhsa_kernel
	.section	.text._ZN7rocprim17ROCPRIM_400000_NS6detail17trampoline_kernelINS0_14default_configENS1_25partition_config_selectorILNS1_17partition_subalgoE1EjNS0_10empty_typeEbEEZZNS1_14partition_implILS5_1ELb0ES3_jN6thrust23THRUST_200600_302600_NS6detail15normal_iteratorINSA_10device_ptrIjEEEEPS6_NSA_18transform_iteratorI7is_evenIjESF_NSA_11use_defaultESK_EENS0_5tupleIJNSA_16discard_iteratorISK_EESF_EEENSM_IJSG_SG_EEES6_PlJS6_EEE10hipError_tPvRmT3_T4_T5_T6_T7_T9_mT8_P12ihipStream_tbDpT10_ENKUlT_T0_E_clISt17integral_constantIbLb1EES1B_EEDaS16_S17_EUlS16_E_NS1_11comp_targetILNS1_3genE9ELNS1_11target_archE1100ELNS1_3gpuE3ELNS1_3repE0EEENS1_30default_config_static_selectorELNS0_4arch9wavefront6targetE1EEEvT1_,"axG",@progbits,_ZN7rocprim17ROCPRIM_400000_NS6detail17trampoline_kernelINS0_14default_configENS1_25partition_config_selectorILNS1_17partition_subalgoE1EjNS0_10empty_typeEbEEZZNS1_14partition_implILS5_1ELb0ES3_jN6thrust23THRUST_200600_302600_NS6detail15normal_iteratorINSA_10device_ptrIjEEEEPS6_NSA_18transform_iteratorI7is_evenIjESF_NSA_11use_defaultESK_EENS0_5tupleIJNSA_16discard_iteratorISK_EESF_EEENSM_IJSG_SG_EEES6_PlJS6_EEE10hipError_tPvRmT3_T4_T5_T6_T7_T9_mT8_P12ihipStream_tbDpT10_ENKUlT_T0_E_clISt17integral_constantIbLb1EES1B_EEDaS16_S17_EUlS16_E_NS1_11comp_targetILNS1_3genE9ELNS1_11target_archE1100ELNS1_3gpuE3ELNS1_3repE0EEENS1_30default_config_static_selectorELNS0_4arch9wavefront6targetE1EEEvT1_,comdat
.Lfunc_end3049:
	.size	_ZN7rocprim17ROCPRIM_400000_NS6detail17trampoline_kernelINS0_14default_configENS1_25partition_config_selectorILNS1_17partition_subalgoE1EjNS0_10empty_typeEbEEZZNS1_14partition_implILS5_1ELb0ES3_jN6thrust23THRUST_200600_302600_NS6detail15normal_iteratorINSA_10device_ptrIjEEEEPS6_NSA_18transform_iteratorI7is_evenIjESF_NSA_11use_defaultESK_EENS0_5tupleIJNSA_16discard_iteratorISK_EESF_EEENSM_IJSG_SG_EEES6_PlJS6_EEE10hipError_tPvRmT3_T4_T5_T6_T7_T9_mT8_P12ihipStream_tbDpT10_ENKUlT_T0_E_clISt17integral_constantIbLb1EES1B_EEDaS16_S17_EUlS16_E_NS1_11comp_targetILNS1_3genE9ELNS1_11target_archE1100ELNS1_3gpuE3ELNS1_3repE0EEENS1_30default_config_static_selectorELNS0_4arch9wavefront6targetE1EEEvT1_, .Lfunc_end3049-_ZN7rocprim17ROCPRIM_400000_NS6detail17trampoline_kernelINS0_14default_configENS1_25partition_config_selectorILNS1_17partition_subalgoE1EjNS0_10empty_typeEbEEZZNS1_14partition_implILS5_1ELb0ES3_jN6thrust23THRUST_200600_302600_NS6detail15normal_iteratorINSA_10device_ptrIjEEEEPS6_NSA_18transform_iteratorI7is_evenIjESF_NSA_11use_defaultESK_EENS0_5tupleIJNSA_16discard_iteratorISK_EESF_EEENSM_IJSG_SG_EEES6_PlJS6_EEE10hipError_tPvRmT3_T4_T5_T6_T7_T9_mT8_P12ihipStream_tbDpT10_ENKUlT_T0_E_clISt17integral_constantIbLb1EES1B_EEDaS16_S17_EUlS16_E_NS1_11comp_targetILNS1_3genE9ELNS1_11target_archE1100ELNS1_3gpuE3ELNS1_3repE0EEENS1_30default_config_static_selectorELNS0_4arch9wavefront6targetE1EEEvT1_
                                        ; -- End function
	.section	.AMDGPU.csdata,"",@progbits
; Kernel info:
; codeLenInByte = 0
; NumSgprs: 6
; NumVgprs: 0
; NumAgprs: 0
; TotalNumVgprs: 0
; ScratchSize: 0
; MemoryBound: 0
; FloatMode: 240
; IeeeMode: 1
; LDSByteSize: 0 bytes/workgroup (compile time only)
; SGPRBlocks: 0
; VGPRBlocks: 0
; NumSGPRsForWavesPerEU: 6
; NumVGPRsForWavesPerEU: 1
; AccumOffset: 4
; Occupancy: 8
; WaveLimiterHint : 0
; COMPUTE_PGM_RSRC2:SCRATCH_EN: 0
; COMPUTE_PGM_RSRC2:USER_SGPR: 2
; COMPUTE_PGM_RSRC2:TRAP_HANDLER: 0
; COMPUTE_PGM_RSRC2:TGID_X_EN: 1
; COMPUTE_PGM_RSRC2:TGID_Y_EN: 0
; COMPUTE_PGM_RSRC2:TGID_Z_EN: 0
; COMPUTE_PGM_RSRC2:TIDIG_COMP_CNT: 0
; COMPUTE_PGM_RSRC3_GFX90A:ACCUM_OFFSET: 0
; COMPUTE_PGM_RSRC3_GFX90A:TG_SPLIT: 0
	.section	.text._ZN7rocprim17ROCPRIM_400000_NS6detail17trampoline_kernelINS0_14default_configENS1_25partition_config_selectorILNS1_17partition_subalgoE1EjNS0_10empty_typeEbEEZZNS1_14partition_implILS5_1ELb0ES3_jN6thrust23THRUST_200600_302600_NS6detail15normal_iteratorINSA_10device_ptrIjEEEEPS6_NSA_18transform_iteratorI7is_evenIjESF_NSA_11use_defaultESK_EENS0_5tupleIJNSA_16discard_iteratorISK_EESF_EEENSM_IJSG_SG_EEES6_PlJS6_EEE10hipError_tPvRmT3_T4_T5_T6_T7_T9_mT8_P12ihipStream_tbDpT10_ENKUlT_T0_E_clISt17integral_constantIbLb1EES1B_EEDaS16_S17_EUlS16_E_NS1_11comp_targetILNS1_3genE8ELNS1_11target_archE1030ELNS1_3gpuE2ELNS1_3repE0EEENS1_30default_config_static_selectorELNS0_4arch9wavefront6targetE1EEEvT1_,"axG",@progbits,_ZN7rocprim17ROCPRIM_400000_NS6detail17trampoline_kernelINS0_14default_configENS1_25partition_config_selectorILNS1_17partition_subalgoE1EjNS0_10empty_typeEbEEZZNS1_14partition_implILS5_1ELb0ES3_jN6thrust23THRUST_200600_302600_NS6detail15normal_iteratorINSA_10device_ptrIjEEEEPS6_NSA_18transform_iteratorI7is_evenIjESF_NSA_11use_defaultESK_EENS0_5tupleIJNSA_16discard_iteratorISK_EESF_EEENSM_IJSG_SG_EEES6_PlJS6_EEE10hipError_tPvRmT3_T4_T5_T6_T7_T9_mT8_P12ihipStream_tbDpT10_ENKUlT_T0_E_clISt17integral_constantIbLb1EES1B_EEDaS16_S17_EUlS16_E_NS1_11comp_targetILNS1_3genE8ELNS1_11target_archE1030ELNS1_3gpuE2ELNS1_3repE0EEENS1_30default_config_static_selectorELNS0_4arch9wavefront6targetE1EEEvT1_,comdat
	.protected	_ZN7rocprim17ROCPRIM_400000_NS6detail17trampoline_kernelINS0_14default_configENS1_25partition_config_selectorILNS1_17partition_subalgoE1EjNS0_10empty_typeEbEEZZNS1_14partition_implILS5_1ELb0ES3_jN6thrust23THRUST_200600_302600_NS6detail15normal_iteratorINSA_10device_ptrIjEEEEPS6_NSA_18transform_iteratorI7is_evenIjESF_NSA_11use_defaultESK_EENS0_5tupleIJNSA_16discard_iteratorISK_EESF_EEENSM_IJSG_SG_EEES6_PlJS6_EEE10hipError_tPvRmT3_T4_T5_T6_T7_T9_mT8_P12ihipStream_tbDpT10_ENKUlT_T0_E_clISt17integral_constantIbLb1EES1B_EEDaS16_S17_EUlS16_E_NS1_11comp_targetILNS1_3genE8ELNS1_11target_archE1030ELNS1_3gpuE2ELNS1_3repE0EEENS1_30default_config_static_selectorELNS0_4arch9wavefront6targetE1EEEvT1_ ; -- Begin function _ZN7rocprim17ROCPRIM_400000_NS6detail17trampoline_kernelINS0_14default_configENS1_25partition_config_selectorILNS1_17partition_subalgoE1EjNS0_10empty_typeEbEEZZNS1_14partition_implILS5_1ELb0ES3_jN6thrust23THRUST_200600_302600_NS6detail15normal_iteratorINSA_10device_ptrIjEEEEPS6_NSA_18transform_iteratorI7is_evenIjESF_NSA_11use_defaultESK_EENS0_5tupleIJNSA_16discard_iteratorISK_EESF_EEENSM_IJSG_SG_EEES6_PlJS6_EEE10hipError_tPvRmT3_T4_T5_T6_T7_T9_mT8_P12ihipStream_tbDpT10_ENKUlT_T0_E_clISt17integral_constantIbLb1EES1B_EEDaS16_S17_EUlS16_E_NS1_11comp_targetILNS1_3genE8ELNS1_11target_archE1030ELNS1_3gpuE2ELNS1_3repE0EEENS1_30default_config_static_selectorELNS0_4arch9wavefront6targetE1EEEvT1_
	.globl	_ZN7rocprim17ROCPRIM_400000_NS6detail17trampoline_kernelINS0_14default_configENS1_25partition_config_selectorILNS1_17partition_subalgoE1EjNS0_10empty_typeEbEEZZNS1_14partition_implILS5_1ELb0ES3_jN6thrust23THRUST_200600_302600_NS6detail15normal_iteratorINSA_10device_ptrIjEEEEPS6_NSA_18transform_iteratorI7is_evenIjESF_NSA_11use_defaultESK_EENS0_5tupleIJNSA_16discard_iteratorISK_EESF_EEENSM_IJSG_SG_EEES6_PlJS6_EEE10hipError_tPvRmT3_T4_T5_T6_T7_T9_mT8_P12ihipStream_tbDpT10_ENKUlT_T0_E_clISt17integral_constantIbLb1EES1B_EEDaS16_S17_EUlS16_E_NS1_11comp_targetILNS1_3genE8ELNS1_11target_archE1030ELNS1_3gpuE2ELNS1_3repE0EEENS1_30default_config_static_selectorELNS0_4arch9wavefront6targetE1EEEvT1_
	.p2align	8
	.type	_ZN7rocprim17ROCPRIM_400000_NS6detail17trampoline_kernelINS0_14default_configENS1_25partition_config_selectorILNS1_17partition_subalgoE1EjNS0_10empty_typeEbEEZZNS1_14partition_implILS5_1ELb0ES3_jN6thrust23THRUST_200600_302600_NS6detail15normal_iteratorINSA_10device_ptrIjEEEEPS6_NSA_18transform_iteratorI7is_evenIjESF_NSA_11use_defaultESK_EENS0_5tupleIJNSA_16discard_iteratorISK_EESF_EEENSM_IJSG_SG_EEES6_PlJS6_EEE10hipError_tPvRmT3_T4_T5_T6_T7_T9_mT8_P12ihipStream_tbDpT10_ENKUlT_T0_E_clISt17integral_constantIbLb1EES1B_EEDaS16_S17_EUlS16_E_NS1_11comp_targetILNS1_3genE8ELNS1_11target_archE1030ELNS1_3gpuE2ELNS1_3repE0EEENS1_30default_config_static_selectorELNS0_4arch9wavefront6targetE1EEEvT1_,@function
_ZN7rocprim17ROCPRIM_400000_NS6detail17trampoline_kernelINS0_14default_configENS1_25partition_config_selectorILNS1_17partition_subalgoE1EjNS0_10empty_typeEbEEZZNS1_14partition_implILS5_1ELb0ES3_jN6thrust23THRUST_200600_302600_NS6detail15normal_iteratorINSA_10device_ptrIjEEEEPS6_NSA_18transform_iteratorI7is_evenIjESF_NSA_11use_defaultESK_EENS0_5tupleIJNSA_16discard_iteratorISK_EESF_EEENSM_IJSG_SG_EEES6_PlJS6_EEE10hipError_tPvRmT3_T4_T5_T6_T7_T9_mT8_P12ihipStream_tbDpT10_ENKUlT_T0_E_clISt17integral_constantIbLb1EES1B_EEDaS16_S17_EUlS16_E_NS1_11comp_targetILNS1_3genE8ELNS1_11target_archE1030ELNS1_3gpuE2ELNS1_3repE0EEENS1_30default_config_static_selectorELNS0_4arch9wavefront6targetE1EEEvT1_: ; @_ZN7rocprim17ROCPRIM_400000_NS6detail17trampoline_kernelINS0_14default_configENS1_25partition_config_selectorILNS1_17partition_subalgoE1EjNS0_10empty_typeEbEEZZNS1_14partition_implILS5_1ELb0ES3_jN6thrust23THRUST_200600_302600_NS6detail15normal_iteratorINSA_10device_ptrIjEEEEPS6_NSA_18transform_iteratorI7is_evenIjESF_NSA_11use_defaultESK_EENS0_5tupleIJNSA_16discard_iteratorISK_EESF_EEENSM_IJSG_SG_EEES6_PlJS6_EEE10hipError_tPvRmT3_T4_T5_T6_T7_T9_mT8_P12ihipStream_tbDpT10_ENKUlT_T0_E_clISt17integral_constantIbLb1EES1B_EEDaS16_S17_EUlS16_E_NS1_11comp_targetILNS1_3genE8ELNS1_11target_archE1030ELNS1_3gpuE2ELNS1_3repE0EEENS1_30default_config_static_selectorELNS0_4arch9wavefront6targetE1EEEvT1_
; %bb.0:
	.section	.rodata,"a",@progbits
	.p2align	6, 0x0
	.amdhsa_kernel _ZN7rocprim17ROCPRIM_400000_NS6detail17trampoline_kernelINS0_14default_configENS1_25partition_config_selectorILNS1_17partition_subalgoE1EjNS0_10empty_typeEbEEZZNS1_14partition_implILS5_1ELb0ES3_jN6thrust23THRUST_200600_302600_NS6detail15normal_iteratorINSA_10device_ptrIjEEEEPS6_NSA_18transform_iteratorI7is_evenIjESF_NSA_11use_defaultESK_EENS0_5tupleIJNSA_16discard_iteratorISK_EESF_EEENSM_IJSG_SG_EEES6_PlJS6_EEE10hipError_tPvRmT3_T4_T5_T6_T7_T9_mT8_P12ihipStream_tbDpT10_ENKUlT_T0_E_clISt17integral_constantIbLb1EES1B_EEDaS16_S17_EUlS16_E_NS1_11comp_targetILNS1_3genE8ELNS1_11target_archE1030ELNS1_3gpuE2ELNS1_3repE0EEENS1_30default_config_static_selectorELNS0_4arch9wavefront6targetE1EEEvT1_
		.amdhsa_group_segment_fixed_size 0
		.amdhsa_private_segment_fixed_size 0
		.amdhsa_kernarg_size 152
		.amdhsa_user_sgpr_count 2
		.amdhsa_user_sgpr_dispatch_ptr 0
		.amdhsa_user_sgpr_queue_ptr 0
		.amdhsa_user_sgpr_kernarg_segment_ptr 1
		.amdhsa_user_sgpr_dispatch_id 0
		.amdhsa_user_sgpr_kernarg_preload_length 0
		.amdhsa_user_sgpr_kernarg_preload_offset 0
		.amdhsa_user_sgpr_private_segment_size 0
		.amdhsa_uses_dynamic_stack 0
		.amdhsa_enable_private_segment 0
		.amdhsa_system_sgpr_workgroup_id_x 1
		.amdhsa_system_sgpr_workgroup_id_y 0
		.amdhsa_system_sgpr_workgroup_id_z 0
		.amdhsa_system_sgpr_workgroup_info 0
		.amdhsa_system_vgpr_workitem_id 0
		.amdhsa_next_free_vgpr 1
		.amdhsa_next_free_sgpr 0
		.amdhsa_accum_offset 4
		.amdhsa_reserve_vcc 0
		.amdhsa_float_round_mode_32 0
		.amdhsa_float_round_mode_16_64 0
		.amdhsa_float_denorm_mode_32 3
		.amdhsa_float_denorm_mode_16_64 3
		.amdhsa_dx10_clamp 1
		.amdhsa_ieee_mode 1
		.amdhsa_fp16_overflow 0
		.amdhsa_tg_split 0
		.amdhsa_exception_fp_ieee_invalid_op 0
		.amdhsa_exception_fp_denorm_src 0
		.amdhsa_exception_fp_ieee_div_zero 0
		.amdhsa_exception_fp_ieee_overflow 0
		.amdhsa_exception_fp_ieee_underflow 0
		.amdhsa_exception_fp_ieee_inexact 0
		.amdhsa_exception_int_div_zero 0
	.end_amdhsa_kernel
	.section	.text._ZN7rocprim17ROCPRIM_400000_NS6detail17trampoline_kernelINS0_14default_configENS1_25partition_config_selectorILNS1_17partition_subalgoE1EjNS0_10empty_typeEbEEZZNS1_14partition_implILS5_1ELb0ES3_jN6thrust23THRUST_200600_302600_NS6detail15normal_iteratorINSA_10device_ptrIjEEEEPS6_NSA_18transform_iteratorI7is_evenIjESF_NSA_11use_defaultESK_EENS0_5tupleIJNSA_16discard_iteratorISK_EESF_EEENSM_IJSG_SG_EEES6_PlJS6_EEE10hipError_tPvRmT3_T4_T5_T6_T7_T9_mT8_P12ihipStream_tbDpT10_ENKUlT_T0_E_clISt17integral_constantIbLb1EES1B_EEDaS16_S17_EUlS16_E_NS1_11comp_targetILNS1_3genE8ELNS1_11target_archE1030ELNS1_3gpuE2ELNS1_3repE0EEENS1_30default_config_static_selectorELNS0_4arch9wavefront6targetE1EEEvT1_,"axG",@progbits,_ZN7rocprim17ROCPRIM_400000_NS6detail17trampoline_kernelINS0_14default_configENS1_25partition_config_selectorILNS1_17partition_subalgoE1EjNS0_10empty_typeEbEEZZNS1_14partition_implILS5_1ELb0ES3_jN6thrust23THRUST_200600_302600_NS6detail15normal_iteratorINSA_10device_ptrIjEEEEPS6_NSA_18transform_iteratorI7is_evenIjESF_NSA_11use_defaultESK_EENS0_5tupleIJNSA_16discard_iteratorISK_EESF_EEENSM_IJSG_SG_EEES6_PlJS6_EEE10hipError_tPvRmT3_T4_T5_T6_T7_T9_mT8_P12ihipStream_tbDpT10_ENKUlT_T0_E_clISt17integral_constantIbLb1EES1B_EEDaS16_S17_EUlS16_E_NS1_11comp_targetILNS1_3genE8ELNS1_11target_archE1030ELNS1_3gpuE2ELNS1_3repE0EEENS1_30default_config_static_selectorELNS0_4arch9wavefront6targetE1EEEvT1_,comdat
.Lfunc_end3050:
	.size	_ZN7rocprim17ROCPRIM_400000_NS6detail17trampoline_kernelINS0_14default_configENS1_25partition_config_selectorILNS1_17partition_subalgoE1EjNS0_10empty_typeEbEEZZNS1_14partition_implILS5_1ELb0ES3_jN6thrust23THRUST_200600_302600_NS6detail15normal_iteratorINSA_10device_ptrIjEEEEPS6_NSA_18transform_iteratorI7is_evenIjESF_NSA_11use_defaultESK_EENS0_5tupleIJNSA_16discard_iteratorISK_EESF_EEENSM_IJSG_SG_EEES6_PlJS6_EEE10hipError_tPvRmT3_T4_T5_T6_T7_T9_mT8_P12ihipStream_tbDpT10_ENKUlT_T0_E_clISt17integral_constantIbLb1EES1B_EEDaS16_S17_EUlS16_E_NS1_11comp_targetILNS1_3genE8ELNS1_11target_archE1030ELNS1_3gpuE2ELNS1_3repE0EEENS1_30default_config_static_selectorELNS0_4arch9wavefront6targetE1EEEvT1_, .Lfunc_end3050-_ZN7rocprim17ROCPRIM_400000_NS6detail17trampoline_kernelINS0_14default_configENS1_25partition_config_selectorILNS1_17partition_subalgoE1EjNS0_10empty_typeEbEEZZNS1_14partition_implILS5_1ELb0ES3_jN6thrust23THRUST_200600_302600_NS6detail15normal_iteratorINSA_10device_ptrIjEEEEPS6_NSA_18transform_iteratorI7is_evenIjESF_NSA_11use_defaultESK_EENS0_5tupleIJNSA_16discard_iteratorISK_EESF_EEENSM_IJSG_SG_EEES6_PlJS6_EEE10hipError_tPvRmT3_T4_T5_T6_T7_T9_mT8_P12ihipStream_tbDpT10_ENKUlT_T0_E_clISt17integral_constantIbLb1EES1B_EEDaS16_S17_EUlS16_E_NS1_11comp_targetILNS1_3genE8ELNS1_11target_archE1030ELNS1_3gpuE2ELNS1_3repE0EEENS1_30default_config_static_selectorELNS0_4arch9wavefront6targetE1EEEvT1_
                                        ; -- End function
	.section	.AMDGPU.csdata,"",@progbits
; Kernel info:
; codeLenInByte = 0
; NumSgprs: 6
; NumVgprs: 0
; NumAgprs: 0
; TotalNumVgprs: 0
; ScratchSize: 0
; MemoryBound: 0
; FloatMode: 240
; IeeeMode: 1
; LDSByteSize: 0 bytes/workgroup (compile time only)
; SGPRBlocks: 0
; VGPRBlocks: 0
; NumSGPRsForWavesPerEU: 6
; NumVGPRsForWavesPerEU: 1
; AccumOffset: 4
; Occupancy: 8
; WaveLimiterHint : 0
; COMPUTE_PGM_RSRC2:SCRATCH_EN: 0
; COMPUTE_PGM_RSRC2:USER_SGPR: 2
; COMPUTE_PGM_RSRC2:TRAP_HANDLER: 0
; COMPUTE_PGM_RSRC2:TGID_X_EN: 1
; COMPUTE_PGM_RSRC2:TGID_Y_EN: 0
; COMPUTE_PGM_RSRC2:TGID_Z_EN: 0
; COMPUTE_PGM_RSRC2:TIDIG_COMP_CNT: 0
; COMPUTE_PGM_RSRC3_GFX90A:ACCUM_OFFSET: 0
; COMPUTE_PGM_RSRC3_GFX90A:TG_SPLIT: 0
	.section	.text._ZN7rocprim17ROCPRIM_400000_NS6detail17trampoline_kernelINS0_14default_configENS1_25partition_config_selectorILNS1_17partition_subalgoE1EjNS0_10empty_typeEbEEZZNS1_14partition_implILS5_1ELb0ES3_jN6thrust23THRUST_200600_302600_NS6detail15normal_iteratorINSA_10device_ptrIjEEEEPS6_NSA_18transform_iteratorI7is_evenIjESF_NSA_11use_defaultESK_EENS0_5tupleIJNSA_16discard_iteratorISK_EESF_EEENSM_IJSG_SG_EEES6_PlJS6_EEE10hipError_tPvRmT3_T4_T5_T6_T7_T9_mT8_P12ihipStream_tbDpT10_ENKUlT_T0_E_clISt17integral_constantIbLb1EES1A_IbLb0EEEEDaS16_S17_EUlS16_E_NS1_11comp_targetILNS1_3genE0ELNS1_11target_archE4294967295ELNS1_3gpuE0ELNS1_3repE0EEENS1_30default_config_static_selectorELNS0_4arch9wavefront6targetE1EEEvT1_,"axG",@progbits,_ZN7rocprim17ROCPRIM_400000_NS6detail17trampoline_kernelINS0_14default_configENS1_25partition_config_selectorILNS1_17partition_subalgoE1EjNS0_10empty_typeEbEEZZNS1_14partition_implILS5_1ELb0ES3_jN6thrust23THRUST_200600_302600_NS6detail15normal_iteratorINSA_10device_ptrIjEEEEPS6_NSA_18transform_iteratorI7is_evenIjESF_NSA_11use_defaultESK_EENS0_5tupleIJNSA_16discard_iteratorISK_EESF_EEENSM_IJSG_SG_EEES6_PlJS6_EEE10hipError_tPvRmT3_T4_T5_T6_T7_T9_mT8_P12ihipStream_tbDpT10_ENKUlT_T0_E_clISt17integral_constantIbLb1EES1A_IbLb0EEEEDaS16_S17_EUlS16_E_NS1_11comp_targetILNS1_3genE0ELNS1_11target_archE4294967295ELNS1_3gpuE0ELNS1_3repE0EEENS1_30default_config_static_selectorELNS0_4arch9wavefront6targetE1EEEvT1_,comdat
	.protected	_ZN7rocprim17ROCPRIM_400000_NS6detail17trampoline_kernelINS0_14default_configENS1_25partition_config_selectorILNS1_17partition_subalgoE1EjNS0_10empty_typeEbEEZZNS1_14partition_implILS5_1ELb0ES3_jN6thrust23THRUST_200600_302600_NS6detail15normal_iteratorINSA_10device_ptrIjEEEEPS6_NSA_18transform_iteratorI7is_evenIjESF_NSA_11use_defaultESK_EENS0_5tupleIJNSA_16discard_iteratorISK_EESF_EEENSM_IJSG_SG_EEES6_PlJS6_EEE10hipError_tPvRmT3_T4_T5_T6_T7_T9_mT8_P12ihipStream_tbDpT10_ENKUlT_T0_E_clISt17integral_constantIbLb1EES1A_IbLb0EEEEDaS16_S17_EUlS16_E_NS1_11comp_targetILNS1_3genE0ELNS1_11target_archE4294967295ELNS1_3gpuE0ELNS1_3repE0EEENS1_30default_config_static_selectorELNS0_4arch9wavefront6targetE1EEEvT1_ ; -- Begin function _ZN7rocprim17ROCPRIM_400000_NS6detail17trampoline_kernelINS0_14default_configENS1_25partition_config_selectorILNS1_17partition_subalgoE1EjNS0_10empty_typeEbEEZZNS1_14partition_implILS5_1ELb0ES3_jN6thrust23THRUST_200600_302600_NS6detail15normal_iteratorINSA_10device_ptrIjEEEEPS6_NSA_18transform_iteratorI7is_evenIjESF_NSA_11use_defaultESK_EENS0_5tupleIJNSA_16discard_iteratorISK_EESF_EEENSM_IJSG_SG_EEES6_PlJS6_EEE10hipError_tPvRmT3_T4_T5_T6_T7_T9_mT8_P12ihipStream_tbDpT10_ENKUlT_T0_E_clISt17integral_constantIbLb1EES1A_IbLb0EEEEDaS16_S17_EUlS16_E_NS1_11comp_targetILNS1_3genE0ELNS1_11target_archE4294967295ELNS1_3gpuE0ELNS1_3repE0EEENS1_30default_config_static_selectorELNS0_4arch9wavefront6targetE1EEEvT1_
	.globl	_ZN7rocprim17ROCPRIM_400000_NS6detail17trampoline_kernelINS0_14default_configENS1_25partition_config_selectorILNS1_17partition_subalgoE1EjNS0_10empty_typeEbEEZZNS1_14partition_implILS5_1ELb0ES3_jN6thrust23THRUST_200600_302600_NS6detail15normal_iteratorINSA_10device_ptrIjEEEEPS6_NSA_18transform_iteratorI7is_evenIjESF_NSA_11use_defaultESK_EENS0_5tupleIJNSA_16discard_iteratorISK_EESF_EEENSM_IJSG_SG_EEES6_PlJS6_EEE10hipError_tPvRmT3_T4_T5_T6_T7_T9_mT8_P12ihipStream_tbDpT10_ENKUlT_T0_E_clISt17integral_constantIbLb1EES1A_IbLb0EEEEDaS16_S17_EUlS16_E_NS1_11comp_targetILNS1_3genE0ELNS1_11target_archE4294967295ELNS1_3gpuE0ELNS1_3repE0EEENS1_30default_config_static_selectorELNS0_4arch9wavefront6targetE1EEEvT1_
	.p2align	8
	.type	_ZN7rocprim17ROCPRIM_400000_NS6detail17trampoline_kernelINS0_14default_configENS1_25partition_config_selectorILNS1_17partition_subalgoE1EjNS0_10empty_typeEbEEZZNS1_14partition_implILS5_1ELb0ES3_jN6thrust23THRUST_200600_302600_NS6detail15normal_iteratorINSA_10device_ptrIjEEEEPS6_NSA_18transform_iteratorI7is_evenIjESF_NSA_11use_defaultESK_EENS0_5tupleIJNSA_16discard_iteratorISK_EESF_EEENSM_IJSG_SG_EEES6_PlJS6_EEE10hipError_tPvRmT3_T4_T5_T6_T7_T9_mT8_P12ihipStream_tbDpT10_ENKUlT_T0_E_clISt17integral_constantIbLb1EES1A_IbLb0EEEEDaS16_S17_EUlS16_E_NS1_11comp_targetILNS1_3genE0ELNS1_11target_archE4294967295ELNS1_3gpuE0ELNS1_3repE0EEENS1_30default_config_static_selectorELNS0_4arch9wavefront6targetE1EEEvT1_,@function
_ZN7rocprim17ROCPRIM_400000_NS6detail17trampoline_kernelINS0_14default_configENS1_25partition_config_selectorILNS1_17partition_subalgoE1EjNS0_10empty_typeEbEEZZNS1_14partition_implILS5_1ELb0ES3_jN6thrust23THRUST_200600_302600_NS6detail15normal_iteratorINSA_10device_ptrIjEEEEPS6_NSA_18transform_iteratorI7is_evenIjESF_NSA_11use_defaultESK_EENS0_5tupleIJNSA_16discard_iteratorISK_EESF_EEENSM_IJSG_SG_EEES6_PlJS6_EEE10hipError_tPvRmT3_T4_T5_T6_T7_T9_mT8_P12ihipStream_tbDpT10_ENKUlT_T0_E_clISt17integral_constantIbLb1EES1A_IbLb0EEEEDaS16_S17_EUlS16_E_NS1_11comp_targetILNS1_3genE0ELNS1_11target_archE4294967295ELNS1_3gpuE0ELNS1_3repE0EEENS1_30default_config_static_selectorELNS0_4arch9wavefront6targetE1EEEvT1_: ; @_ZN7rocprim17ROCPRIM_400000_NS6detail17trampoline_kernelINS0_14default_configENS1_25partition_config_selectorILNS1_17partition_subalgoE1EjNS0_10empty_typeEbEEZZNS1_14partition_implILS5_1ELb0ES3_jN6thrust23THRUST_200600_302600_NS6detail15normal_iteratorINSA_10device_ptrIjEEEEPS6_NSA_18transform_iteratorI7is_evenIjESF_NSA_11use_defaultESK_EENS0_5tupleIJNSA_16discard_iteratorISK_EESF_EEENSM_IJSG_SG_EEES6_PlJS6_EEE10hipError_tPvRmT3_T4_T5_T6_T7_T9_mT8_P12ihipStream_tbDpT10_ENKUlT_T0_E_clISt17integral_constantIbLb1EES1A_IbLb0EEEEDaS16_S17_EUlS16_E_NS1_11comp_targetILNS1_3genE0ELNS1_11target_archE4294967295ELNS1_3gpuE0ELNS1_3repE0EEENS1_30default_config_static_selectorELNS0_4arch9wavefront6targetE1EEEvT1_
; %bb.0:
	.section	.rodata,"a",@progbits
	.p2align	6, 0x0
	.amdhsa_kernel _ZN7rocprim17ROCPRIM_400000_NS6detail17trampoline_kernelINS0_14default_configENS1_25partition_config_selectorILNS1_17partition_subalgoE1EjNS0_10empty_typeEbEEZZNS1_14partition_implILS5_1ELb0ES3_jN6thrust23THRUST_200600_302600_NS6detail15normal_iteratorINSA_10device_ptrIjEEEEPS6_NSA_18transform_iteratorI7is_evenIjESF_NSA_11use_defaultESK_EENS0_5tupleIJNSA_16discard_iteratorISK_EESF_EEENSM_IJSG_SG_EEES6_PlJS6_EEE10hipError_tPvRmT3_T4_T5_T6_T7_T9_mT8_P12ihipStream_tbDpT10_ENKUlT_T0_E_clISt17integral_constantIbLb1EES1A_IbLb0EEEEDaS16_S17_EUlS16_E_NS1_11comp_targetILNS1_3genE0ELNS1_11target_archE4294967295ELNS1_3gpuE0ELNS1_3repE0EEENS1_30default_config_static_selectorELNS0_4arch9wavefront6targetE1EEEvT1_
		.amdhsa_group_segment_fixed_size 0
		.amdhsa_private_segment_fixed_size 0
		.amdhsa_kernarg_size 136
		.amdhsa_user_sgpr_count 2
		.amdhsa_user_sgpr_dispatch_ptr 0
		.amdhsa_user_sgpr_queue_ptr 0
		.amdhsa_user_sgpr_kernarg_segment_ptr 1
		.amdhsa_user_sgpr_dispatch_id 0
		.amdhsa_user_sgpr_kernarg_preload_length 0
		.amdhsa_user_sgpr_kernarg_preload_offset 0
		.amdhsa_user_sgpr_private_segment_size 0
		.amdhsa_uses_dynamic_stack 0
		.amdhsa_enable_private_segment 0
		.amdhsa_system_sgpr_workgroup_id_x 1
		.amdhsa_system_sgpr_workgroup_id_y 0
		.amdhsa_system_sgpr_workgroup_id_z 0
		.amdhsa_system_sgpr_workgroup_info 0
		.amdhsa_system_vgpr_workitem_id 0
		.amdhsa_next_free_vgpr 1
		.amdhsa_next_free_sgpr 0
		.amdhsa_accum_offset 4
		.amdhsa_reserve_vcc 0
		.amdhsa_float_round_mode_32 0
		.amdhsa_float_round_mode_16_64 0
		.amdhsa_float_denorm_mode_32 3
		.amdhsa_float_denorm_mode_16_64 3
		.amdhsa_dx10_clamp 1
		.amdhsa_ieee_mode 1
		.amdhsa_fp16_overflow 0
		.amdhsa_tg_split 0
		.amdhsa_exception_fp_ieee_invalid_op 0
		.amdhsa_exception_fp_denorm_src 0
		.amdhsa_exception_fp_ieee_div_zero 0
		.amdhsa_exception_fp_ieee_overflow 0
		.amdhsa_exception_fp_ieee_underflow 0
		.amdhsa_exception_fp_ieee_inexact 0
		.amdhsa_exception_int_div_zero 0
	.end_amdhsa_kernel
	.section	.text._ZN7rocprim17ROCPRIM_400000_NS6detail17trampoline_kernelINS0_14default_configENS1_25partition_config_selectorILNS1_17partition_subalgoE1EjNS0_10empty_typeEbEEZZNS1_14partition_implILS5_1ELb0ES3_jN6thrust23THRUST_200600_302600_NS6detail15normal_iteratorINSA_10device_ptrIjEEEEPS6_NSA_18transform_iteratorI7is_evenIjESF_NSA_11use_defaultESK_EENS0_5tupleIJNSA_16discard_iteratorISK_EESF_EEENSM_IJSG_SG_EEES6_PlJS6_EEE10hipError_tPvRmT3_T4_T5_T6_T7_T9_mT8_P12ihipStream_tbDpT10_ENKUlT_T0_E_clISt17integral_constantIbLb1EES1A_IbLb0EEEEDaS16_S17_EUlS16_E_NS1_11comp_targetILNS1_3genE0ELNS1_11target_archE4294967295ELNS1_3gpuE0ELNS1_3repE0EEENS1_30default_config_static_selectorELNS0_4arch9wavefront6targetE1EEEvT1_,"axG",@progbits,_ZN7rocprim17ROCPRIM_400000_NS6detail17trampoline_kernelINS0_14default_configENS1_25partition_config_selectorILNS1_17partition_subalgoE1EjNS0_10empty_typeEbEEZZNS1_14partition_implILS5_1ELb0ES3_jN6thrust23THRUST_200600_302600_NS6detail15normal_iteratorINSA_10device_ptrIjEEEEPS6_NSA_18transform_iteratorI7is_evenIjESF_NSA_11use_defaultESK_EENS0_5tupleIJNSA_16discard_iteratorISK_EESF_EEENSM_IJSG_SG_EEES6_PlJS6_EEE10hipError_tPvRmT3_T4_T5_T6_T7_T9_mT8_P12ihipStream_tbDpT10_ENKUlT_T0_E_clISt17integral_constantIbLb1EES1A_IbLb0EEEEDaS16_S17_EUlS16_E_NS1_11comp_targetILNS1_3genE0ELNS1_11target_archE4294967295ELNS1_3gpuE0ELNS1_3repE0EEENS1_30default_config_static_selectorELNS0_4arch9wavefront6targetE1EEEvT1_,comdat
.Lfunc_end3051:
	.size	_ZN7rocprim17ROCPRIM_400000_NS6detail17trampoline_kernelINS0_14default_configENS1_25partition_config_selectorILNS1_17partition_subalgoE1EjNS0_10empty_typeEbEEZZNS1_14partition_implILS5_1ELb0ES3_jN6thrust23THRUST_200600_302600_NS6detail15normal_iteratorINSA_10device_ptrIjEEEEPS6_NSA_18transform_iteratorI7is_evenIjESF_NSA_11use_defaultESK_EENS0_5tupleIJNSA_16discard_iteratorISK_EESF_EEENSM_IJSG_SG_EEES6_PlJS6_EEE10hipError_tPvRmT3_T4_T5_T6_T7_T9_mT8_P12ihipStream_tbDpT10_ENKUlT_T0_E_clISt17integral_constantIbLb1EES1A_IbLb0EEEEDaS16_S17_EUlS16_E_NS1_11comp_targetILNS1_3genE0ELNS1_11target_archE4294967295ELNS1_3gpuE0ELNS1_3repE0EEENS1_30default_config_static_selectorELNS0_4arch9wavefront6targetE1EEEvT1_, .Lfunc_end3051-_ZN7rocprim17ROCPRIM_400000_NS6detail17trampoline_kernelINS0_14default_configENS1_25partition_config_selectorILNS1_17partition_subalgoE1EjNS0_10empty_typeEbEEZZNS1_14partition_implILS5_1ELb0ES3_jN6thrust23THRUST_200600_302600_NS6detail15normal_iteratorINSA_10device_ptrIjEEEEPS6_NSA_18transform_iteratorI7is_evenIjESF_NSA_11use_defaultESK_EENS0_5tupleIJNSA_16discard_iteratorISK_EESF_EEENSM_IJSG_SG_EEES6_PlJS6_EEE10hipError_tPvRmT3_T4_T5_T6_T7_T9_mT8_P12ihipStream_tbDpT10_ENKUlT_T0_E_clISt17integral_constantIbLb1EES1A_IbLb0EEEEDaS16_S17_EUlS16_E_NS1_11comp_targetILNS1_3genE0ELNS1_11target_archE4294967295ELNS1_3gpuE0ELNS1_3repE0EEENS1_30default_config_static_selectorELNS0_4arch9wavefront6targetE1EEEvT1_
                                        ; -- End function
	.section	.AMDGPU.csdata,"",@progbits
; Kernel info:
; codeLenInByte = 0
; NumSgprs: 6
; NumVgprs: 0
; NumAgprs: 0
; TotalNumVgprs: 0
; ScratchSize: 0
; MemoryBound: 0
; FloatMode: 240
; IeeeMode: 1
; LDSByteSize: 0 bytes/workgroup (compile time only)
; SGPRBlocks: 0
; VGPRBlocks: 0
; NumSGPRsForWavesPerEU: 6
; NumVGPRsForWavesPerEU: 1
; AccumOffset: 4
; Occupancy: 8
; WaveLimiterHint : 0
; COMPUTE_PGM_RSRC2:SCRATCH_EN: 0
; COMPUTE_PGM_RSRC2:USER_SGPR: 2
; COMPUTE_PGM_RSRC2:TRAP_HANDLER: 0
; COMPUTE_PGM_RSRC2:TGID_X_EN: 1
; COMPUTE_PGM_RSRC2:TGID_Y_EN: 0
; COMPUTE_PGM_RSRC2:TGID_Z_EN: 0
; COMPUTE_PGM_RSRC2:TIDIG_COMP_CNT: 0
; COMPUTE_PGM_RSRC3_GFX90A:ACCUM_OFFSET: 0
; COMPUTE_PGM_RSRC3_GFX90A:TG_SPLIT: 0
	.section	.text._ZN7rocprim17ROCPRIM_400000_NS6detail17trampoline_kernelINS0_14default_configENS1_25partition_config_selectorILNS1_17partition_subalgoE1EjNS0_10empty_typeEbEEZZNS1_14partition_implILS5_1ELb0ES3_jN6thrust23THRUST_200600_302600_NS6detail15normal_iteratorINSA_10device_ptrIjEEEEPS6_NSA_18transform_iteratorI7is_evenIjESF_NSA_11use_defaultESK_EENS0_5tupleIJNSA_16discard_iteratorISK_EESF_EEENSM_IJSG_SG_EEES6_PlJS6_EEE10hipError_tPvRmT3_T4_T5_T6_T7_T9_mT8_P12ihipStream_tbDpT10_ENKUlT_T0_E_clISt17integral_constantIbLb1EES1A_IbLb0EEEEDaS16_S17_EUlS16_E_NS1_11comp_targetILNS1_3genE5ELNS1_11target_archE942ELNS1_3gpuE9ELNS1_3repE0EEENS1_30default_config_static_selectorELNS0_4arch9wavefront6targetE1EEEvT1_,"axG",@progbits,_ZN7rocprim17ROCPRIM_400000_NS6detail17trampoline_kernelINS0_14default_configENS1_25partition_config_selectorILNS1_17partition_subalgoE1EjNS0_10empty_typeEbEEZZNS1_14partition_implILS5_1ELb0ES3_jN6thrust23THRUST_200600_302600_NS6detail15normal_iteratorINSA_10device_ptrIjEEEEPS6_NSA_18transform_iteratorI7is_evenIjESF_NSA_11use_defaultESK_EENS0_5tupleIJNSA_16discard_iteratorISK_EESF_EEENSM_IJSG_SG_EEES6_PlJS6_EEE10hipError_tPvRmT3_T4_T5_T6_T7_T9_mT8_P12ihipStream_tbDpT10_ENKUlT_T0_E_clISt17integral_constantIbLb1EES1A_IbLb0EEEEDaS16_S17_EUlS16_E_NS1_11comp_targetILNS1_3genE5ELNS1_11target_archE942ELNS1_3gpuE9ELNS1_3repE0EEENS1_30default_config_static_selectorELNS0_4arch9wavefront6targetE1EEEvT1_,comdat
	.protected	_ZN7rocprim17ROCPRIM_400000_NS6detail17trampoline_kernelINS0_14default_configENS1_25partition_config_selectorILNS1_17partition_subalgoE1EjNS0_10empty_typeEbEEZZNS1_14partition_implILS5_1ELb0ES3_jN6thrust23THRUST_200600_302600_NS6detail15normal_iteratorINSA_10device_ptrIjEEEEPS6_NSA_18transform_iteratorI7is_evenIjESF_NSA_11use_defaultESK_EENS0_5tupleIJNSA_16discard_iteratorISK_EESF_EEENSM_IJSG_SG_EEES6_PlJS6_EEE10hipError_tPvRmT3_T4_T5_T6_T7_T9_mT8_P12ihipStream_tbDpT10_ENKUlT_T0_E_clISt17integral_constantIbLb1EES1A_IbLb0EEEEDaS16_S17_EUlS16_E_NS1_11comp_targetILNS1_3genE5ELNS1_11target_archE942ELNS1_3gpuE9ELNS1_3repE0EEENS1_30default_config_static_selectorELNS0_4arch9wavefront6targetE1EEEvT1_ ; -- Begin function _ZN7rocprim17ROCPRIM_400000_NS6detail17trampoline_kernelINS0_14default_configENS1_25partition_config_selectorILNS1_17partition_subalgoE1EjNS0_10empty_typeEbEEZZNS1_14partition_implILS5_1ELb0ES3_jN6thrust23THRUST_200600_302600_NS6detail15normal_iteratorINSA_10device_ptrIjEEEEPS6_NSA_18transform_iteratorI7is_evenIjESF_NSA_11use_defaultESK_EENS0_5tupleIJNSA_16discard_iteratorISK_EESF_EEENSM_IJSG_SG_EEES6_PlJS6_EEE10hipError_tPvRmT3_T4_T5_T6_T7_T9_mT8_P12ihipStream_tbDpT10_ENKUlT_T0_E_clISt17integral_constantIbLb1EES1A_IbLb0EEEEDaS16_S17_EUlS16_E_NS1_11comp_targetILNS1_3genE5ELNS1_11target_archE942ELNS1_3gpuE9ELNS1_3repE0EEENS1_30default_config_static_selectorELNS0_4arch9wavefront6targetE1EEEvT1_
	.globl	_ZN7rocprim17ROCPRIM_400000_NS6detail17trampoline_kernelINS0_14default_configENS1_25partition_config_selectorILNS1_17partition_subalgoE1EjNS0_10empty_typeEbEEZZNS1_14partition_implILS5_1ELb0ES3_jN6thrust23THRUST_200600_302600_NS6detail15normal_iteratorINSA_10device_ptrIjEEEEPS6_NSA_18transform_iteratorI7is_evenIjESF_NSA_11use_defaultESK_EENS0_5tupleIJNSA_16discard_iteratorISK_EESF_EEENSM_IJSG_SG_EEES6_PlJS6_EEE10hipError_tPvRmT3_T4_T5_T6_T7_T9_mT8_P12ihipStream_tbDpT10_ENKUlT_T0_E_clISt17integral_constantIbLb1EES1A_IbLb0EEEEDaS16_S17_EUlS16_E_NS1_11comp_targetILNS1_3genE5ELNS1_11target_archE942ELNS1_3gpuE9ELNS1_3repE0EEENS1_30default_config_static_selectorELNS0_4arch9wavefront6targetE1EEEvT1_
	.p2align	8
	.type	_ZN7rocprim17ROCPRIM_400000_NS6detail17trampoline_kernelINS0_14default_configENS1_25partition_config_selectorILNS1_17partition_subalgoE1EjNS0_10empty_typeEbEEZZNS1_14partition_implILS5_1ELb0ES3_jN6thrust23THRUST_200600_302600_NS6detail15normal_iteratorINSA_10device_ptrIjEEEEPS6_NSA_18transform_iteratorI7is_evenIjESF_NSA_11use_defaultESK_EENS0_5tupleIJNSA_16discard_iteratorISK_EESF_EEENSM_IJSG_SG_EEES6_PlJS6_EEE10hipError_tPvRmT3_T4_T5_T6_T7_T9_mT8_P12ihipStream_tbDpT10_ENKUlT_T0_E_clISt17integral_constantIbLb1EES1A_IbLb0EEEEDaS16_S17_EUlS16_E_NS1_11comp_targetILNS1_3genE5ELNS1_11target_archE942ELNS1_3gpuE9ELNS1_3repE0EEENS1_30default_config_static_selectorELNS0_4arch9wavefront6targetE1EEEvT1_,@function
_ZN7rocprim17ROCPRIM_400000_NS6detail17trampoline_kernelINS0_14default_configENS1_25partition_config_selectorILNS1_17partition_subalgoE1EjNS0_10empty_typeEbEEZZNS1_14partition_implILS5_1ELb0ES3_jN6thrust23THRUST_200600_302600_NS6detail15normal_iteratorINSA_10device_ptrIjEEEEPS6_NSA_18transform_iteratorI7is_evenIjESF_NSA_11use_defaultESK_EENS0_5tupleIJNSA_16discard_iteratorISK_EESF_EEENSM_IJSG_SG_EEES6_PlJS6_EEE10hipError_tPvRmT3_T4_T5_T6_T7_T9_mT8_P12ihipStream_tbDpT10_ENKUlT_T0_E_clISt17integral_constantIbLb1EES1A_IbLb0EEEEDaS16_S17_EUlS16_E_NS1_11comp_targetILNS1_3genE5ELNS1_11target_archE942ELNS1_3gpuE9ELNS1_3repE0EEENS1_30default_config_static_selectorELNS0_4arch9wavefront6targetE1EEEvT1_: ; @_ZN7rocprim17ROCPRIM_400000_NS6detail17trampoline_kernelINS0_14default_configENS1_25partition_config_selectorILNS1_17partition_subalgoE1EjNS0_10empty_typeEbEEZZNS1_14partition_implILS5_1ELb0ES3_jN6thrust23THRUST_200600_302600_NS6detail15normal_iteratorINSA_10device_ptrIjEEEEPS6_NSA_18transform_iteratorI7is_evenIjESF_NSA_11use_defaultESK_EENS0_5tupleIJNSA_16discard_iteratorISK_EESF_EEENSM_IJSG_SG_EEES6_PlJS6_EEE10hipError_tPvRmT3_T4_T5_T6_T7_T9_mT8_P12ihipStream_tbDpT10_ENKUlT_T0_E_clISt17integral_constantIbLb1EES1A_IbLb0EEEEDaS16_S17_EUlS16_E_NS1_11comp_targetILNS1_3genE5ELNS1_11target_archE942ELNS1_3gpuE9ELNS1_3repE0EEENS1_30default_config_static_selectorELNS0_4arch9wavefront6targetE1EEEvT1_
; %bb.0:
	s_load_dwordx2 s[4:5], s[0:1], 0x68
	s_load_dwordx4 s[24:27], s[0:1], 0x8
	s_load_dwordx2 s[6:7], s[0:1], 0x20
	s_load_dwordx4 s[20:23], s[0:1], 0x58
	s_load_dword s3, s[0:1], 0x80
	s_waitcnt lgkmcnt(0)
	v_mov_b32_e32 v3, s5
	s_lshl_b64 s[8:9], s[26:27], 2
	s_add_u32 s12, s24, s8
	s_addc_u32 s13, s25, s9
	s_add_i32 s14, s3, -1
	s_mulk_i32 s3, 0x1e00
	s_add_i32 s5, s3, s26
	s_sub_i32 s33, s4, s5
	s_addk_i32 s33, 0x1e00
	v_mov_b32_e32 v2, s4
	s_add_u32 s4, s26, s3
	s_addc_u32 s5, s27, 0
	s_cmp_eq_u32 s2, s14
	s_load_dwordx2 s[24:25], s[22:23], 0x0
	s_cselect_b64 s[22:23], -1, 0
	s_cmp_lg_u32 s2, s14
	s_mul_i32 s10, s2, 0x1e00
	s_mov_b32 s11, 0
	v_cmp_lt_u64_e32 vcc, s[4:5], v[2:3]
	s_cselect_b64 s[4:5], -1, 0
	s_or_b64 s[28:29], s[4:5], vcc
	s_lshl_b64 s[30:31], s[10:11], 2
	s_add_u32 s10, s12, s30
	s_addc_u32 s11, s13, s31
	s_mov_b64 s[4:5], -1
	s_and_b64 vcc, exec, s[28:29]
	v_lshlrev_b32_e32 v22, 2, v0
	s_cbranch_vccz .LBB3052_2
; %bb.1:
	v_mov_b32_e32 v23, 0
	v_lshl_add_u64 v[2:3], s[10:11], 0, v[22:23]
	v_add_co_u32_e32 v4, vcc, 0x1000, v2
	s_mov_b64 s[4:5], 0
	s_nop 0
	v_addc_co_u32_e32 v5, vcc, 0, v3, vcc
	v_add_co_u32_e32 v6, vcc, 0x2000, v2
	s_nop 1
	v_addc_co_u32_e32 v7, vcc, 0, v3, vcc
	v_add_co_u32_e32 v8, vcc, 0x3000, v2
	s_nop 1
	v_addc_co_u32_e32 v9, vcc, 0, v3, vcc
	flat_load_dword v1, v[2:3]
	flat_load_dword v10, v[2:3] offset:2048
	flat_load_dword v11, v[4:5]
	flat_load_dword v12, v[4:5] offset:2048
	;; [unrolled: 2-line block ×4, first 2 shown]
	v_add_co_u32_e32 v4, vcc, 0x4000, v2
	s_nop 1
	v_addc_co_u32_e32 v5, vcc, 0, v3, vcc
	v_add_co_u32_e32 v6, vcc, 0x5000, v2
	s_nop 1
	v_addc_co_u32_e32 v7, vcc, 0, v3, vcc
	;; [unrolled: 3-line block ×4, first 2 shown]
	flat_load_dword v17, v[4:5]
	flat_load_dword v18, v[4:5] offset:2048
	flat_load_dword v19, v[6:7]
	flat_load_dword v20, v[6:7] offset:2048
	;; [unrolled: 2-line block ×3, first 2 shown]
	flat_load_dword v24, v[2:3]
	s_waitcnt vmcnt(0) lgkmcnt(0)
	ds_write2st64_b32 v22, v1, v10 offset1:8
	ds_write2st64_b32 v22, v11, v12 offset0:16 offset1:24
	ds_write2st64_b32 v22, v13, v14 offset0:32 offset1:40
	;; [unrolled: 1-line block ×6, first 2 shown]
	ds_write_b32 v22, v24 offset:28672
	s_waitcnt lgkmcnt(0)
	s_barrier
.LBB3052_2:
	s_andn2_b64 vcc, exec, s[4:5]
	v_cmp_gt_u32_e64 s[4:5], s33, v0
	s_cbranch_vccnz .LBB3052_34
; %bb.3:
                                        ; implicit-def: $vgpr2_vgpr3_vgpr4_vgpr5_vgpr6_vgpr7_vgpr8_vgpr9_vgpr10_vgpr11_vgpr12_vgpr13_vgpr14_vgpr15_vgpr16_vgpr17
	s_and_saveexec_b64 s[12:13], s[4:5]
	s_cbranch_execz .LBB3052_5
; %bb.4:
	v_mov_b32_e32 v23, 0
	v_lshl_add_u64 v[2:3], s[10:11], 0, v[22:23]
	flat_load_dword v2, v[2:3]
.LBB3052_5:
	s_or_b64 exec, exec, s[12:13]
	v_or_b32_e32 v1, 0x200, v0
	v_cmp_gt_u32_e32 vcc, s33, v1
	s_and_saveexec_b64 s[4:5], vcc
	s_cbranch_execz .LBB3052_7
; %bb.6:
	v_mov_b32_e32 v23, 0
	v_lshl_add_u64 v[18:19], s[10:11], 0, v[22:23]
	flat_load_dword v3, v[18:19] offset:2048
.LBB3052_7:
	s_or_b64 exec, exec, s[4:5]
	v_or_b32_e32 v1, 0x400, v0
	v_cmp_gt_u32_e32 vcc, s33, v1
	s_and_saveexec_b64 s[4:5], vcc
	s_cbranch_execz .LBB3052_9
; %bb.8:
	v_lshlrev_b32_e32 v18, 2, v1
	v_mov_b32_e32 v19, 0
	v_lshl_add_u64 v[18:19], s[10:11], 0, v[18:19]
	flat_load_dword v4, v[18:19]
.LBB3052_9:
	s_or_b64 exec, exec, s[4:5]
	v_or_b32_e32 v1, 0x600, v0
	v_cmp_gt_u32_e32 vcc, s33, v1
	s_and_saveexec_b64 s[4:5], vcc
	s_cbranch_execz .LBB3052_11
; %bb.10:
	v_lshlrev_b32_e32 v18, 2, v1
	v_mov_b32_e32 v19, 0
	v_lshl_add_u64 v[18:19], s[10:11], 0, v[18:19]
	flat_load_dword v5, v[18:19]
.LBB3052_11:
	;; [unrolled: 11-line block ×13, first 2 shown]
	s_or_b64 exec, exec, s[4:5]
	s_waitcnt vmcnt(0) lgkmcnt(0)
	ds_write2st64_b32 v22, v2, v3 offset1:8
	ds_write2st64_b32 v22, v4, v5 offset0:16 offset1:24
	ds_write2st64_b32 v22, v6, v7 offset0:32 offset1:40
	;; [unrolled: 1-line block ×6, first 2 shown]
	ds_write_b32 v22, v16 offset:28672
	s_waitcnt lgkmcnt(0)
	s_barrier
.LBB3052_34:
	v_mul_u32_u24_e32 v21, 15, v0
	v_lshlrev_b32_e32 v1, 2, v21
	s_waitcnt lgkmcnt(0)
	ds_read2_b32 v[36:37], v1 offset1:1
	ds_read2_b32 v[34:35], v1 offset0:2 offset1:3
	ds_read2_b32 v[32:33], v1 offset0:4 offset1:5
	;; [unrolled: 1-line block ×6, first 2 shown]
	ds_read_b32 v1, v1 offset:56
	s_add_u32 s3, s6, s8
	s_addc_u32 s5, s7, s9
	s_add_u32 s4, s3, s30
	s_addc_u32 s5, s5, s31
	s_mov_b64 s[6:7], -1
	s_and_b64 vcc, exec, s[28:29]
	s_waitcnt lgkmcnt(0)
	s_barrier
	s_cbranch_vccz .LBB3052_36
; %bb.35:
	v_mov_b32_e32 v23, 0
	v_lshl_add_u64 v[2:3], s[4:5], 0, v[22:23]
	v_add_co_u32_e32 v4, vcc, 0x1000, v2
	global_load_dword v10, v22, s[4:5]
	global_load_dword v11, v22, s[4:5] offset:2048
	v_addc_co_u32_e32 v5, vcc, 0, v3, vcc
	v_add_co_u32_e32 v6, vcc, 0x2000, v2
	s_mov_b64 s[6:7], 0
	s_nop 0
	v_addc_co_u32_e32 v7, vcc, 0, v3, vcc
	v_add_co_u32_e32 v8, vcc, 0x3000, v2
	s_nop 1
	v_addc_co_u32_e32 v9, vcc, 0, v3, vcc
	global_load_dword v12, v[4:5], off
	global_load_dword v13, v[4:5], off offset:2048
	global_load_dword v14, v[6:7], off
	global_load_dword v15, v[6:7], off offset:2048
	;; [unrolled: 2-line block ×3, first 2 shown]
	v_add_co_u32_e32 v4, vcc, 0x4000, v2
	s_nop 1
	v_addc_co_u32_e32 v5, vcc, 0, v3, vcc
	global_load_dword v6, v[4:5], off
	global_load_dword v7, v[4:5], off offset:2048
	v_add_co_u32_e32 v4, vcc, 0x5000, v2
	s_waitcnt vmcnt(1)
	v_xor_b32_e32 v6, -1, v6
	v_addc_co_u32_e32 v5, vcc, 0, v3, vcc
	global_load_dword v8, v[4:5], off
	global_load_dword v9, v[4:5], off offset:2048
	v_add_co_u32_e32 v4, vcc, 0x6000, v2
	s_waitcnt vmcnt(2)
	v_xor_b32_e32 v7, -1, v7
	v_addc_co_u32_e32 v5, vcc, 0, v3, vcc
	v_add_co_u32_e32 v2, vcc, 0x7000, v2
	global_load_dword v18, v[4:5], off
	global_load_dword v19, v[4:5], off offset:2048
	v_addc_co_u32_e32 v3, vcc, 0, v3, vcc
	global_load_dword v2, v[2:3], off
	v_xor_b32_e32 v3, -1, v10
	v_xor_b32_e32 v4, -1, v11
	v_and_b32_e32 v3, 1, v3
	v_and_b32_e32 v4, 1, v4
	ds_write_b8 v0, v3
	ds_write_b8 v0, v4 offset:512
	v_xor_b32_e32 v3, -1, v12
	v_xor_b32_e32 v4, -1, v13
	;; [unrolled: 1-line block ×3, first 2 shown]
	v_and_b32_e32 v3, 1, v3
	v_and_b32_e32 v4, 1, v4
	v_xor_b32_e32 v10, -1, v15
	v_and_b32_e32 v5, 1, v5
	v_xor_b32_e32 v11, -1, v16
	v_xor_b32_e32 v12, -1, v17
	v_and_b32_e32 v10, 1, v10
	ds_write_b8 v0, v3 offset:1024
	ds_write_b8 v0, v4 offset:1536
	v_and_b32_e32 v3, 1, v11
	v_and_b32_e32 v4, 1, v12
	ds_write_b8 v0, v5 offset:2048
	ds_write_b8 v0, v10 offset:2560
	v_and_b32_e32 v5, 1, v6
	v_and_b32_e32 v6, 1, v7
	ds_write_b8 v0, v3 offset:3072
	ds_write_b8 v0, v4 offset:3584
	;; [unrolled: 1-line block ×4, first 2 shown]
	s_waitcnt vmcnt(4)
	v_xor_b32_e32 v7, -1, v8
	s_waitcnt vmcnt(3)
	v_xor_b32_e32 v8, -1, v9
	v_and_b32_e32 v3, 1, v7
	v_and_b32_e32 v4, 1, v8
	s_waitcnt vmcnt(2)
	v_xor_b32_e32 v7, -1, v18
	s_waitcnt vmcnt(1)
	v_xor_b32_e32 v8, -1, v19
	v_and_b32_e32 v5, 1, v7
	v_and_b32_e32 v6, 1, v8
	s_waitcnt vmcnt(0)
	v_xor_b32_e32 v2, -1, v2
	v_and_b32_e32 v2, 1, v2
	ds_write_b8 v0, v3 offset:5120
	ds_write_b8 v0, v4 offset:5632
	ds_write_b8 v0, v5 offset:6144
	ds_write_b8 v0, v6 offset:6656
	ds_write_b8 v0, v2 offset:7168
	s_waitcnt lgkmcnt(0)
	s_barrier
.LBB3052_36:
	s_load_dwordx2 s[34:35], s[0:1], 0x78
	s_andn2_b64 vcc, exec, s[6:7]
	s_cbranch_vccnz .LBB3052_68
; %bb.37:
	v_cmp_gt_u32_e32 vcc, s33, v0
	v_mov_b32_e32 v2, 0
	v_mov_b32_e32 v3, 0
	s_and_saveexec_b64 s[6:7], vcc
	s_cbranch_execz .LBB3052_39
; %bb.38:
	global_load_dword v3, v22, s[4:5]
	s_waitcnt vmcnt(0)
	v_xor_b32_e32 v3, -1, v3
	v_and_b32_e32 v3, 1, v3
.LBB3052_39:
	s_or_b64 exec, exec, s[6:7]
	v_or_b32_e32 v4, 0x200, v0
	v_cmp_gt_u32_e32 vcc, s33, v4
	s_and_saveexec_b64 s[6:7], vcc
	s_cbranch_execz .LBB3052_41
; %bb.40:
	global_load_dword v2, v22, s[4:5] offset:2048
	s_waitcnt vmcnt(0)
	v_xor_b32_e32 v2, -1, v2
	v_and_b32_e32 v2, 1, v2
.LBB3052_41:
	s_or_b64 exec, exec, s[6:7]
	v_or_b32_e32 v6, 0x400, v0
	v_cmp_gt_u32_e32 vcc, s33, v6
	v_mov_b32_e32 v4, 0
	v_mov_b32_e32 v5, 0
	s_and_saveexec_b64 s[6:7], vcc
	s_cbranch_execz .LBB3052_43
; %bb.42:
	v_lshlrev_b32_e32 v5, 2, v6
	global_load_dword v5, v5, s[4:5]
	s_waitcnt vmcnt(0)
	v_xor_b32_e32 v5, -1, v5
	v_and_b32_e32 v5, 1, v5
.LBB3052_43:
	s_or_b64 exec, exec, s[6:7]
	v_or_b32_e32 v6, 0x600, v0
	v_cmp_gt_u32_e32 vcc, s33, v6
	s_and_saveexec_b64 s[6:7], vcc
	s_cbranch_execz .LBB3052_45
; %bb.44:
	v_lshlrev_b32_e32 v4, 2, v6
	global_load_dword v4, v4, s[4:5]
	s_waitcnt vmcnt(0)
	v_xor_b32_e32 v4, -1, v4
	v_and_b32_e32 v4, 1, v4
.LBB3052_45:
	s_or_b64 exec, exec, s[6:7]
	v_or_b32_e32 v8, 0x800, v0
	v_cmp_gt_u32_e32 vcc, s33, v8
	v_mov_b32_e32 v6, 0
	v_mov_b32_e32 v7, 0
	s_and_saveexec_b64 s[6:7], vcc
	s_cbranch_execz .LBB3052_47
; %bb.46:
	v_lshlrev_b32_e32 v7, 2, v8
	global_load_dword v7, v7, s[4:5]
	s_waitcnt vmcnt(0)
	v_xor_b32_e32 v7, -1, v7
	v_and_b32_e32 v7, 1, v7
.LBB3052_47:
	s_or_b64 exec, exec, s[6:7]
	v_or_b32_e32 v8, 0xa00, v0
	v_cmp_gt_u32_e32 vcc, s33, v8
	s_and_saveexec_b64 s[6:7], vcc
	s_cbranch_execz .LBB3052_49
; %bb.48:
	v_lshlrev_b32_e32 v6, 2, v8
	global_load_dword v6, v6, s[4:5]
	s_waitcnt vmcnt(0)
	v_xor_b32_e32 v6, -1, v6
	v_and_b32_e32 v6, 1, v6
.LBB3052_49:
	s_or_b64 exec, exec, s[6:7]
	v_or_b32_e32 v10, 0xc00, v0
	v_cmp_gt_u32_e32 vcc, s33, v10
	v_mov_b32_e32 v8, 0
	v_mov_b32_e32 v9, 0
	s_and_saveexec_b64 s[6:7], vcc
	s_cbranch_execz .LBB3052_51
; %bb.50:
	v_lshlrev_b32_e32 v9, 2, v10
	global_load_dword v9, v9, s[4:5]
	s_waitcnt vmcnt(0)
	v_xor_b32_e32 v9, -1, v9
	v_and_b32_e32 v9, 1, v9
.LBB3052_51:
	s_or_b64 exec, exec, s[6:7]
	v_or_b32_e32 v10, 0xe00, v0
	v_cmp_gt_u32_e32 vcc, s33, v10
	s_and_saveexec_b64 s[6:7], vcc
	s_cbranch_execz .LBB3052_53
; %bb.52:
	v_lshlrev_b32_e32 v8, 2, v10
	global_load_dword v8, v8, s[4:5]
	s_waitcnt vmcnt(0)
	v_xor_b32_e32 v8, -1, v8
	v_and_b32_e32 v8, 1, v8
.LBB3052_53:
	s_or_b64 exec, exec, s[6:7]
	v_or_b32_e32 v12, 0x1000, v0
	v_cmp_gt_u32_e32 vcc, s33, v12
	v_mov_b32_e32 v10, 0
	v_mov_b32_e32 v11, 0
	s_and_saveexec_b64 s[6:7], vcc
	s_cbranch_execz .LBB3052_55
; %bb.54:
	v_lshlrev_b32_e32 v11, 2, v12
	global_load_dword v11, v11, s[4:5]
	s_waitcnt vmcnt(0)
	v_xor_b32_e32 v11, -1, v11
	v_and_b32_e32 v11, 1, v11
.LBB3052_55:
	s_or_b64 exec, exec, s[6:7]
	v_or_b32_e32 v12, 0x1200, v0
	v_cmp_gt_u32_e32 vcc, s33, v12
	s_and_saveexec_b64 s[6:7], vcc
	s_cbranch_execz .LBB3052_57
; %bb.56:
	v_lshlrev_b32_e32 v10, 2, v12
	global_load_dword v10, v10, s[4:5]
	s_waitcnt vmcnt(0)
	v_xor_b32_e32 v10, -1, v10
	v_and_b32_e32 v10, 1, v10
.LBB3052_57:
	s_or_b64 exec, exec, s[6:7]
	v_or_b32_e32 v14, 0x1400, v0
	v_cmp_gt_u32_e32 vcc, s33, v14
	v_mov_b32_e32 v12, 0
	v_mov_b32_e32 v13, 0
	s_and_saveexec_b64 s[6:7], vcc
	s_cbranch_execz .LBB3052_59
; %bb.58:
	v_lshlrev_b32_e32 v13, 2, v14
	global_load_dword v13, v13, s[4:5]
	s_waitcnt vmcnt(0)
	v_xor_b32_e32 v13, -1, v13
	v_and_b32_e32 v13, 1, v13
.LBB3052_59:
	s_or_b64 exec, exec, s[6:7]
	v_or_b32_e32 v14, 0x1600, v0
	v_cmp_gt_u32_e32 vcc, s33, v14
	s_and_saveexec_b64 s[6:7], vcc
	s_cbranch_execz .LBB3052_61
; %bb.60:
	v_lshlrev_b32_e32 v12, 2, v14
	global_load_dword v12, v12, s[4:5]
	s_waitcnt vmcnt(0)
	v_xor_b32_e32 v12, -1, v12
	v_and_b32_e32 v12, 1, v12
.LBB3052_61:
	s_or_b64 exec, exec, s[6:7]
	v_or_b32_e32 v16, 0x1800, v0
	v_cmp_gt_u32_e32 vcc, s33, v16
	v_mov_b32_e32 v14, 0
	v_mov_b32_e32 v15, 0
	s_and_saveexec_b64 s[6:7], vcc
	s_cbranch_execz .LBB3052_63
; %bb.62:
	v_lshlrev_b32_e32 v15, 2, v16
	global_load_dword v15, v15, s[4:5]
	s_waitcnt vmcnt(0)
	v_xor_b32_e32 v15, -1, v15
	v_and_b32_e32 v15, 1, v15
.LBB3052_63:
	s_or_b64 exec, exec, s[6:7]
	v_or_b32_e32 v16, 0x1a00, v0
	v_cmp_gt_u32_e32 vcc, s33, v16
	s_and_saveexec_b64 s[6:7], vcc
	s_cbranch_execz .LBB3052_65
; %bb.64:
	v_lshlrev_b32_e32 v14, 2, v16
	global_load_dword v14, v14, s[4:5]
	s_waitcnt vmcnt(0)
	v_xor_b32_e32 v14, -1, v14
	v_and_b32_e32 v14, 1, v14
.LBB3052_65:
	s_or_b64 exec, exec, s[6:7]
	v_or_b32_e32 v17, 0x1c00, v0
	v_cmp_gt_u32_e32 vcc, s33, v17
	v_mov_b32_e32 v16, 0
	s_and_saveexec_b64 s[6:7], vcc
	s_cbranch_execz .LBB3052_67
; %bb.66:
	v_lshlrev_b32_e32 v16, 2, v17
	global_load_dword v16, v16, s[4:5]
	s_waitcnt vmcnt(0)
	v_xor_b32_e32 v16, -1, v16
	v_and_b32_e32 v16, 1, v16
.LBB3052_67:
	s_or_b64 exec, exec, s[6:7]
	ds_write_b8 v0, v3
	ds_write_b8 v0, v2 offset:512
	ds_write_b8 v0, v5 offset:1024
	;; [unrolled: 1-line block ×14, first 2 shown]
	s_waitcnt lgkmcnt(0)
	s_barrier
.LBB3052_68:
	s_waitcnt lgkmcnt(0)
	ds_read_b96 v[18:20], v21
	ds_read_u8 v2, v21 offset:12
	ds_read_u8 v3, v21 offset:13
	;; [unrolled: 1-line block ×3, first 2 shown]
	s_cmp_lg_u32 s2, 0
	v_lshrrev_b32_e32 v56, 6, v0
	s_waitcnt lgkmcnt(2)
	v_and_b32_e32 v43, 1, v2
	v_and_b32_e32 v52, 0xff, v18
	v_bfe_u32 v53, v18, 8, 8
	v_bfe_u32 v54, v18, 16, 8
	v_lshrrev_b32_e32 v45, 24, v18
	v_and_b32_e32 v49, 0xff, v19
	v_add3_u32 v2, v53, v52, v54
	v_bfe_u32 v50, v19, 8, 8
	v_bfe_u32 v51, v19, 16, 8
	v_add3_u32 v2, v2, v45, v49
	v_lshrrev_b32_e32 v44, 24, v19
	v_and_b32_e32 v46, 0xff, v20
	v_add3_u32 v2, v2, v50, v51
	v_bfe_u32 v47, v20, 8, 8
	v_bfe_u32 v48, v20, 16, 8
	v_add3_u32 v2, v2, v44, v46
	v_lshrrev_b32_e32 v42, 24, v20
	v_add3_u32 v2, v2, v47, v48
	s_waitcnt lgkmcnt(1)
	v_and_b32_e32 v41, 1, v3
	s_waitcnt lgkmcnt(0)
	v_and_b32_e32 v23, 1, v4
	v_add3_u32 v2, v2, v42, v43
	v_add3_u32 v57, v2, v41, v23
	v_mbcnt_lo_u32_b32 v2, -1, 0
	v_mbcnt_hi_u32_b32 v55, -1, v2
	v_and_b32_e32 v2, 15, v55
	v_cmp_eq_u32_e64 s[14:15], 0, v2
	v_cmp_lt_u32_e64 s[12:13], 1, v2
	v_cmp_lt_u32_e64 s[10:11], 3, v2
	;; [unrolled: 1-line block ×3, first 2 shown]
	v_and_b32_e32 v2, 16, v55
	v_cmp_eq_u32_e64 s[6:7], 0, v2
	v_or_b32_e32 v2, 63, v0
	v_cmp_lt_u32_e64 s[18:19], 31, v55
	v_cmp_eq_u32_e64 s[4:5], v2, v0
	s_barrier
	s_cbranch_scc0 .LBB3052_99
; %bb.69:
	v_mov_b32_dpp v2, v57 row_shr:1 row_mask:0xf bank_mask:0xf
	v_cndmask_b32_e64 v2, v2, 0, s[14:15]
	v_add_u32_e32 v2, v2, v57
	s_nop 1
	v_mov_b32_dpp v3, v2 row_shr:2 row_mask:0xf bank_mask:0xf
	v_cndmask_b32_e64 v3, 0, v3, s[12:13]
	v_add_u32_e32 v2, v2, v3
	s_nop 1
	;; [unrolled: 4-line block ×4, first 2 shown]
	v_mov_b32_dpp v3, v2 row_bcast:15 row_mask:0xf bank_mask:0xf
	v_cndmask_b32_e64 v3, v3, 0, s[6:7]
	v_add_u32_e32 v2, v2, v3
	s_nop 1
	v_mov_b32_dpp v3, v2 row_bcast:31 row_mask:0xf bank_mask:0xf
	v_cndmask_b32_e64 v3, 0, v3, s[18:19]
	v_add_u32_e32 v2, v2, v3
	s_and_saveexec_b64 s[16:17], s[4:5]
	s_cbranch_execz .LBB3052_71
; %bb.70:
	v_lshlrev_b32_e32 v3, 2, v56
	ds_write_b32 v3, v2
.LBB3052_71:
	s_or_b64 exec, exec, s[16:17]
	v_cmp_gt_u32_e32 vcc, 8, v0
	s_waitcnt lgkmcnt(0)
	s_barrier
	s_and_saveexec_b64 s[16:17], vcc
	s_cbranch_execz .LBB3052_73
; %bb.72:
	ds_read_b32 v3, v22
	v_and_b32_e32 v4, 7, v55
	v_cmp_ne_u32_e32 vcc, 0, v4
	s_waitcnt lgkmcnt(0)
	v_mov_b32_dpp v5, v3 row_shr:1 row_mask:0xf bank_mask:0xf
	v_cndmask_b32_e32 v5, 0, v5, vcc
	v_add_u32_e32 v3, v5, v3
	v_cmp_lt_u32_e32 vcc, 1, v4
	s_nop 0
	v_mov_b32_dpp v5, v3 row_shr:2 row_mask:0xf bank_mask:0xf
	v_cndmask_b32_e32 v5, 0, v5, vcc
	v_add_u32_e32 v3, v3, v5
	v_cmp_lt_u32_e32 vcc, 3, v4
	s_nop 0
	v_mov_b32_dpp v5, v3 row_shr:4 row_mask:0xf bank_mask:0xf
	v_cndmask_b32_e32 v4, 0, v5, vcc
	v_add_u32_e32 v3, v3, v4
	ds_write_b32 v22, v3
.LBB3052_73:
	s_or_b64 exec, exec, s[16:17]
	v_cmp_gt_u32_e32 vcc, 64, v0
	v_cmp_lt_u32_e64 s[16:17], 63, v0
	s_waitcnt lgkmcnt(0)
	s_barrier
	s_waitcnt lgkmcnt(0)
                                        ; implicit-def: $vgpr12
	s_and_saveexec_b64 s[36:37], s[16:17]
	s_cbranch_execz .LBB3052_75
; %bb.74:
	v_lshl_add_u32 v3, v56, 2, -4
	ds_read_b32 v12, v3
	s_waitcnt lgkmcnt(0)
	v_add_u32_e32 v2, v12, v2
.LBB3052_75:
	s_or_b64 exec, exec, s[36:37]
	v_add_u32_e32 v3, -1, v55
	v_and_b32_e32 v4, 64, v55
	v_cmp_lt_i32_e64 s[16:17], v3, v4
	s_nop 1
	v_cndmask_b32_e64 v3, v3, v55, s[16:17]
	v_lshlrev_b32_e32 v3, 2, v3
	ds_bpermute_b32 v13, v3, v2
	v_cmp_eq_u32_e64 s[16:17], 0, v55
	s_and_saveexec_b64 s[36:37], vcc
	s_cbranch_execz .LBB3052_98
; %bb.76:
	v_mov_b32_e32 v11, 0
	ds_read_b32 v2, v11 offset:28
	s_and_saveexec_b64 s[38:39], s[16:17]
	s_cbranch_execz .LBB3052_78
; %bb.77:
	s_add_i32 s40, s2, 64
	s_mov_b32 s41, 0
	s_lshl_b64 s[40:41], s[40:41], 3
	s_add_u32 s40, s34, s40
	v_mov_b32_e32 v3, 1
	s_addc_u32 s41, s35, s41
	s_waitcnt lgkmcnt(0)
	global_store_dwordx2 v11, v[2:3], s[40:41] sc1
.LBB3052_78:
	s_or_b64 exec, exec, s[38:39]
	v_xad_u32 v4, v55, -1, s2
	v_add_u32_e32 v10, 64, v4
	v_lshl_add_u64 v[6:7], v[10:11], 3, s[34:35]
	global_load_dwordx2 v[8:9], v[6:7], off sc1
	s_waitcnt vmcnt(0)
	v_cmp_eq_u16_sdwa s[40:41], v9, v11 src0_sel:BYTE_0 src1_sel:DWORD
	s_and_saveexec_b64 s[38:39], s[40:41]
	s_cbranch_execz .LBB3052_84
; %bb.79:
	s_mov_b32 s3, 1
	s_mov_b64 s[40:41], 0
	v_mov_b32_e32 v3, 0
.LBB3052_80:                            ; =>This Loop Header: Depth=1
                                        ;     Child Loop BB3052_81 Depth 2
	s_max_u32 s42, s3, 1
.LBB3052_81:                            ;   Parent Loop BB3052_80 Depth=1
                                        ; =>  This Inner Loop Header: Depth=2
	s_add_i32 s42, s42, -1
	s_cmp_eq_u32 s42, 0
	s_sleep 1
	s_cbranch_scc0 .LBB3052_81
; %bb.82:                               ;   in Loop: Header=BB3052_80 Depth=1
	global_load_dwordx2 v[8:9], v[6:7], off sc1
	s_cmp_lt_u32 s3, 32
	s_cselect_b64 s[42:43], -1, 0
	s_cmp_lg_u64 s[42:43], 0
	s_addc_u32 s3, s3, 0
	s_waitcnt vmcnt(0)
	v_cmp_ne_u16_sdwa s[42:43], v9, v3 src0_sel:BYTE_0 src1_sel:DWORD
	s_or_b64 s[40:41], s[42:43], s[40:41]
	s_andn2_b64 exec, exec, s[40:41]
	s_cbranch_execnz .LBB3052_80
; %bb.83:
	s_or_b64 exec, exec, s[40:41]
.LBB3052_84:
	s_or_b64 exec, exec, s[38:39]
	v_and_b32_e32 v15, 63, v55
	v_mov_b32_e32 v14, 2
	v_cmp_ne_u32_e32 vcc, 63, v15
	v_cmp_eq_u16_sdwa s[38:39], v9, v14 src0_sel:BYTE_0 src1_sel:DWORD
	v_lshlrev_b64 v[6:7], v55, -1
	v_addc_co_u32_e32 v10, vcc, 0, v55, vcc
	v_and_b32_e32 v3, s39, v7
	v_lshlrev_b32_e32 v16, 2, v10
	v_or_b32_e32 v3, 0x80000000, v3
	ds_bpermute_b32 v10, v16, v8
	v_and_b32_e32 v5, s38, v6
	v_ffbl_b32_e32 v3, v3
	v_add_u32_e32 v3, 32, v3
	v_ffbl_b32_e32 v5, v5
	v_min_u32_e32 v3, v5, v3
	v_cmp_lt_u32_e32 vcc, v15, v3
	v_add_u32_e32 v38, 2, v15
	v_add_u32_e32 v40, 4, v15
	s_waitcnt lgkmcnt(0)
	v_cndmask_b32_e32 v5, 0, v10, vcc
	v_cmp_gt_u32_e32 vcc, 62, v15
	v_add_u32_e32 v5, v5, v8
	v_add_u32_e32 v59, 8, v15
	v_cndmask_b32_e64 v8, 0, 1, vcc
	v_lshlrev_b32_e32 v8, 1, v8
	v_add_lshl_u32 v17, v8, v55, 2
	ds_bpermute_b32 v8, v17, v5
	v_cmp_le_u32_e32 vcc, v38, v3
	v_add_u32_e32 v61, 16, v15
	v_add_u32_e32 v63, 32, v15
	s_waitcnt lgkmcnt(0)
	v_cndmask_b32_e32 v8, 0, v8, vcc
	v_cmp_gt_u32_e32 vcc, 60, v15
	v_add_u32_e32 v5, v5, v8
	s_nop 0
	v_cndmask_b32_e64 v8, 0, 1, vcc
	v_lshlrev_b32_e32 v8, 2, v8
	v_add_lshl_u32 v39, v8, v55, 2
	ds_bpermute_b32 v8, v39, v5
	v_cmp_le_u32_e32 vcc, v40, v3
	s_waitcnt lgkmcnt(0)
	s_nop 0
	v_cndmask_b32_e32 v8, 0, v8, vcc
	v_cmp_gt_u32_e32 vcc, 56, v15
	v_add_u32_e32 v5, v5, v8
	s_nop 0
	v_cndmask_b32_e64 v8, 0, 1, vcc
	v_lshlrev_b32_e32 v8, 3, v8
	v_add_lshl_u32 v58, v8, v55, 2
	ds_bpermute_b32 v8, v58, v5
	v_cmp_le_u32_e32 vcc, v59, v3
	s_waitcnt lgkmcnt(0)
	s_nop 0
	;; [unrolled: 11-line block ×4, first 2 shown]
	v_cndmask_b32_e32 v3, 0, v8, vcc
	v_add_u32_e32 v8, v5, v3
	v_mov_b32_e32 v5, 0
	s_branch .LBB3052_86
.LBB3052_85:                            ;   in Loop: Header=BB3052_86 Depth=1
	s_or_b64 exec, exec, s[38:39]
	v_cmp_eq_u16_sdwa s[38:39], v9, v14 src0_sel:BYTE_0 src1_sel:DWORD
	ds_bpermute_b32 v64, v16, v8
	v_subrev_u32_e32 v4, 64, v4
	v_and_b32_e32 v10, s39, v7
	v_or_b32_e32 v10, 0x80000000, v10
	v_and_b32_e32 v11, s38, v6
	v_ffbl_b32_e32 v10, v10
	v_add_u32_e32 v10, 32, v10
	v_ffbl_b32_e32 v11, v11
	v_min_u32_e32 v10, v11, v10
	v_cmp_lt_u32_e32 vcc, v15, v10
	s_waitcnt lgkmcnt(0)
	s_nop 0
	v_cndmask_b32_e32 v11, 0, v64, vcc
	v_add_u32_e32 v8, v11, v8
	ds_bpermute_b32 v11, v17, v8
	v_cmp_le_u32_e32 vcc, v38, v10
	s_waitcnt lgkmcnt(0)
	s_nop 0
	v_cndmask_b32_e32 v11, 0, v11, vcc
	v_add_u32_e32 v8, v8, v11
	ds_bpermute_b32 v11, v39, v8
	v_cmp_le_u32_e32 vcc, v40, v10
	;; [unrolled: 6-line block ×5, first 2 shown]
	s_waitcnt lgkmcnt(0)
	s_nop 0
	v_cndmask_b32_e32 v10, 0, v11, vcc
	v_add3_u32 v8, v10, v3, v8
.LBB3052_86:                            ; =>This Loop Header: Depth=1
                                        ;     Child Loop BB3052_89 Depth 2
                                        ;       Child Loop BB3052_90 Depth 3
	v_cmp_ne_u16_sdwa s[38:39], v9, v14 src0_sel:BYTE_0 src1_sel:DWORD
	s_nop 1
	v_cndmask_b32_e64 v3, 0, 1, s[38:39]
	;;#ASMSTART
	;;#ASMEND
	s_nop 0
	v_cmp_ne_u32_e32 vcc, 0, v3
	s_cmp_lg_u64 vcc, exec
	v_mov_b32_e32 v3, v8
	s_cbranch_scc1 .LBB3052_93
; %bb.87:                               ;   in Loop: Header=BB3052_86 Depth=1
	v_lshl_add_u64 v[10:11], v[4:5], 3, s[34:35]
	global_load_dwordx2 v[8:9], v[10:11], off sc1
	s_waitcnt vmcnt(0)
	v_cmp_eq_u16_sdwa s[40:41], v9, v5 src0_sel:BYTE_0 src1_sel:DWORD
	s_and_saveexec_b64 s[38:39], s[40:41]
	s_cbranch_execz .LBB3052_85
; %bb.88:                               ;   in Loop: Header=BB3052_86 Depth=1
	s_mov_b32 s3, 1
	s_mov_b64 s[40:41], 0
.LBB3052_89:                            ;   Parent Loop BB3052_86 Depth=1
                                        ; =>  This Loop Header: Depth=2
                                        ;       Child Loop BB3052_90 Depth 3
	s_max_u32 s42, s3, 1
.LBB3052_90:                            ;   Parent Loop BB3052_86 Depth=1
                                        ;     Parent Loop BB3052_89 Depth=2
                                        ; =>    This Inner Loop Header: Depth=3
	s_add_i32 s42, s42, -1
	s_cmp_eq_u32 s42, 0
	s_sleep 1
	s_cbranch_scc0 .LBB3052_90
; %bb.91:                               ;   in Loop: Header=BB3052_89 Depth=2
	global_load_dwordx2 v[8:9], v[10:11], off sc1
	s_cmp_lt_u32 s3, 32
	s_cselect_b64 s[42:43], -1, 0
	s_cmp_lg_u64 s[42:43], 0
	s_addc_u32 s3, s3, 0
	s_waitcnt vmcnt(0)
	v_cmp_ne_u16_sdwa s[42:43], v9, v5 src0_sel:BYTE_0 src1_sel:DWORD
	s_or_b64 s[40:41], s[42:43], s[40:41]
	s_andn2_b64 exec, exec, s[40:41]
	s_cbranch_execnz .LBB3052_89
; %bb.92:                               ;   in Loop: Header=BB3052_86 Depth=1
	s_or_b64 exec, exec, s[40:41]
	s_branch .LBB3052_85
.LBB3052_93:                            ;   in Loop: Header=BB3052_86 Depth=1
                                        ; implicit-def: $vgpr8
                                        ; implicit-def: $vgpr9
	s_cbranch_execz .LBB3052_86
; %bb.94:
	s_and_saveexec_b64 s[38:39], s[16:17]
	s_cbranch_execz .LBB3052_96
; %bb.95:
	s_add_i32 s2, s2, 64
	s_mov_b32 s3, 0
	s_lshl_b64 s[2:3], s[2:3], 3
	s_add_u32 s2, s34, s2
	v_add_u32_e32 v4, v3, v2
	v_mov_b32_e32 v5, 2
	s_addc_u32 s3, s35, s3
	v_mov_b32_e32 v6, 0
	global_store_dwordx2 v6, v[4:5], s[2:3] sc1
	ds_write_b64 v6, v[2:3] offset:30720
.LBB3052_96:
	s_or_b64 exec, exec, s[38:39]
	v_cmp_eq_u32_e32 vcc, 0, v0
	s_and_b64 exec, exec, vcc
	s_cbranch_execz .LBB3052_98
; %bb.97:
	v_mov_b32_e32 v2, 0
	ds_write_b32 v2, v3 offset:28
.LBB3052_98:
	s_or_b64 exec, exec, s[36:37]
	v_mov_b32_e32 v14, 0
	s_waitcnt lgkmcnt(0)
	s_barrier
	ds_read_b32 v2, v14 offset:28
	v_cndmask_b32_e64 v3, v13, v12, s[16:17]
	v_cmp_ne_u32_e32 vcc, 0, v0
	s_waitcnt lgkmcnt(0)
	s_barrier
	v_cndmask_b32_e32 v3, 0, v3, vcc
	v_add_u32_e32 v2, v2, v3
	v_add_u32_e32 v3, v2, v52
	;; [unrolled: 1-line block ×10, first 2 shown]
	ds_read_b64 v[38:39], v14 offset:30720
	v_add_u32_e32 v12, v11, v47
	v_add_u32_e32 v13, v12, v48
	;; [unrolled: 1-line block ×5, first 2 shown]
	s_waitcnt lgkmcnt(0)
	v_mov_b32_e32 v40, v39
	s_branch .LBB3052_109
.LBB3052_99:
                                        ; implicit-def: $vgpr40
                                        ; implicit-def: $vgpr38
                                        ; implicit-def: $vgpr2_vgpr3_vgpr4_vgpr5_vgpr6_vgpr7_vgpr8_vgpr9_vgpr10_vgpr11_vgpr12_vgpr13_vgpr14_vgpr15_vgpr16_vgpr17
	s_cbranch_execz .LBB3052_109
; %bb.100:
	s_nop 0
	v_mov_b32_dpp v2, v57 row_shr:1 row_mask:0xf bank_mask:0xf
	v_cndmask_b32_e64 v2, v2, 0, s[14:15]
	v_add_u32_e32 v2, v2, v57
	s_nop 1
	v_mov_b32_dpp v3, v2 row_shr:2 row_mask:0xf bank_mask:0xf
	v_cndmask_b32_e64 v3, 0, v3, s[12:13]
	v_add_u32_e32 v2, v2, v3
	;; [unrolled: 4-line block ×4, first 2 shown]
	s_nop 1
	v_mov_b32_dpp v3, v2 row_bcast:15 row_mask:0xf bank_mask:0xf
	v_cndmask_b32_e64 v3, v3, 0, s[6:7]
	v_add_u32_e32 v2, v2, v3
	s_nop 1
	v_mov_b32_dpp v3, v2 row_bcast:31 row_mask:0xf bank_mask:0xf
	v_cndmask_b32_e64 v3, 0, v3, s[18:19]
	v_add_u32_e32 v2, v2, v3
	s_and_saveexec_b64 s[2:3], s[4:5]
	s_cbranch_execz .LBB3052_102
; %bb.101:
	v_lshlrev_b32_e32 v3, 2, v56
	ds_write_b32 v3, v2
.LBB3052_102:
	s_or_b64 exec, exec, s[2:3]
	v_cmp_gt_u32_e32 vcc, 8, v0
	s_waitcnt lgkmcnt(0)
	s_barrier
	s_and_saveexec_b64 s[2:3], vcc
	s_cbranch_execz .LBB3052_104
; %bb.103:
	v_mad_i32_i24 v3, v0, -11, v21
	ds_read_b32 v4, v3
	v_and_b32_e32 v5, 7, v55
	v_cmp_ne_u32_e32 vcc, 0, v5
	s_waitcnt lgkmcnt(0)
	v_mov_b32_dpp v6, v4 row_shr:1 row_mask:0xf bank_mask:0xf
	v_cndmask_b32_e32 v6, 0, v6, vcc
	v_add_u32_e32 v4, v6, v4
	v_cmp_lt_u32_e32 vcc, 1, v5
	s_nop 0
	v_mov_b32_dpp v6, v4 row_shr:2 row_mask:0xf bank_mask:0xf
	v_cndmask_b32_e32 v6, 0, v6, vcc
	v_add_u32_e32 v4, v4, v6
	v_cmp_lt_u32_e32 vcc, 3, v5
	s_nop 0
	v_mov_b32_dpp v6, v4 row_shr:4 row_mask:0xf bank_mask:0xf
	v_cndmask_b32_e32 v5, 0, v6, vcc
	v_add_u32_e32 v4, v4, v5
	ds_write_b32 v3, v4
.LBB3052_104:
	s_or_b64 exec, exec, s[2:3]
	v_cmp_lt_u32_e32 vcc, 63, v0
	v_mov_b32_e32 v4, 0
	v_mov_b32_e32 v3, 0
	s_waitcnt lgkmcnt(0)
	s_barrier
	s_and_saveexec_b64 s[2:3], vcc
	s_cbranch_execz .LBB3052_106
; %bb.105:
	v_lshl_add_u32 v3, v56, 2, -4
	ds_read_b32 v3, v3
.LBB3052_106:
	s_or_b64 exec, exec, s[2:3]
	v_add_u32_e32 v5, -1, v55
	v_and_b32_e32 v6, 64, v55
	v_cmp_lt_i32_e32 vcc, v5, v6
	s_waitcnt lgkmcnt(0)
	v_add_u32_e32 v2, v3, v2
	ds_read_b32 v38, v4 offset:28
	v_cndmask_b32_e32 v5, v5, v55, vcc
	v_lshlrev_b32_e32 v5, 2, v5
	ds_bpermute_b32 v2, v5, v2
	v_cmp_eq_u32_e32 vcc, 0, v0
	s_and_saveexec_b64 s[2:3], vcc
	s_cbranch_execz .LBB3052_108
; %bb.107:
	v_mov_b32_e32 v4, 0
	v_mov_b32_e32 v39, 2
	s_waitcnt lgkmcnt(1)
	global_store_dwordx2 v4, v[38:39], s[34:35] offset:512 sc1
.LBB3052_108:
	s_or_b64 exec, exec, s[2:3]
	v_cmp_eq_u32_e64 s[2:3], 0, v55
	v_mov_b32_e32 v40, 0
	s_waitcnt lgkmcnt(0)
	v_cndmask_b32_e64 v2, v2, v3, s[2:3]
	v_cndmask_b32_e64 v2, v2, 0, vcc
	v_add_u32_e32 v3, v2, v52
	v_add_u32_e32 v4, v3, v53
	;; [unrolled: 1-line block ×14, first 2 shown]
	s_barrier
.LBB3052_109:
	v_add_u32_e32 v21, v38, v21
	v_sub_u32_e32 v2, v2, v40
	v_and_b32_e32 v48, 1, v18
	v_sub_u32_e32 v47, v21, v2
	v_cmp_eq_u32_e32 vcc, 1, v48
	v_lshrrev_b32_e32 v46, 8, v18
	v_lshrrev_b32_e32 v39, 8, v19
	v_cndmask_b32_e32 v2, v47, v2, vcc
	v_lshlrev_b32_e32 v2, 2, v2
	ds_write_b32 v2, v36
	v_sub_u32_e32 v2, v3, v40
	v_sub_u32_e32 v3, v21, v2
	v_and_b32_e32 v36, 1, v46
	v_add_u32_e32 v3, 1, v3
	v_cmp_eq_u32_e32 vcc, 1, v36
	v_lshrrev_b32_e32 v17, 8, v20
	s_load_dwordx2 s[0:1], s[0:1], 0x40
	v_cndmask_b32_e32 v2, v3, v2, vcc
	v_lshlrev_b32_e32 v2, 2, v2
	ds_write_b32 v2, v37
	v_sub_u32_e32 v2, v4, v40
	v_mov_b32_e32 v4, 1
	v_sub_u32_e32 v3, v21, v2
	v_and_b32_sdwa v18, v4, v18 dst_sel:DWORD dst_unused:UNUSED_PAD src0_sel:DWORD src1_sel:WORD_1
	v_add_u32_e32 v3, 2, v3
	v_cmp_eq_u32_e32 vcc, 1, v18
	s_nop 1
	v_cndmask_b32_e32 v2, v3, v2, vcc
	v_lshlrev_b32_e32 v2, 2, v2
	ds_write_b32 v2, v34
	v_sub_u32_e32 v2, v5, v40
	v_sub_u32_e32 v3, v21, v2
	v_and_b32_e32 v5, 1, v45
	v_add_u32_e32 v3, 3, v3
	v_cmp_eq_u32_e32 vcc, 1, v5
	v_and_b32_e32 v5, 1, v19
	v_or_b32_e32 v34, 0x200, v0
	v_cndmask_b32_e32 v2, v3, v2, vcc
	v_lshlrev_b32_e32 v2, 2, v2
	ds_write_b32 v2, v35
	v_sub_u32_e32 v2, v6, v40
	v_sub_u32_e32 v3, v21, v2
	v_add_u32_e32 v3, 4, v3
	v_cmp_eq_u32_e32 vcc, 1, v5
	v_and_b32_e32 v5, 1, v39
	s_nop 0
	v_cndmask_b32_e32 v2, v3, v2, vcc
	v_lshlrev_b32_e32 v2, 2, v2
	ds_write_b32 v2, v32
	v_sub_u32_e32 v2, v7, v40
	v_sub_u32_e32 v3, v21, v2
	v_add_u32_e32 v3, 5, v3
	v_cmp_eq_u32_e32 vcc, 1, v5
	v_and_b32_sdwa v5, v4, v19 dst_sel:DWORD dst_unused:UNUSED_PAD src0_sel:DWORD src1_sel:WORD_1
	v_and_b32_sdwa v4, v4, v20 dst_sel:DWORD dst_unused:UNUSED_PAD src0_sel:DWORD src1_sel:WORD_1
	v_cndmask_b32_e32 v2, v3, v2, vcc
	v_lshlrev_b32_e32 v2, 2, v2
	ds_write_b32 v2, v33
	v_sub_u32_e32 v2, v8, v40
	v_sub_u32_e32 v3, v21, v2
	v_add_u32_e32 v3, 6, v3
	v_cmp_eq_u32_e32 vcc, 1, v5
	v_and_b32_e32 v5, 1, v44
	v_or_b32_e32 v33, 0x400, v0
	v_cndmask_b32_e32 v2, v3, v2, vcc
	v_lshlrev_b32_e32 v2, 2, v2
	ds_write_b32 v2, v30
	v_sub_u32_e32 v2, v9, v40
	v_sub_u32_e32 v3, v21, v2
	v_add_u32_e32 v3, 7, v3
	v_cmp_eq_u32_e32 vcc, 1, v5
	v_and_b32_e32 v5, 1, v20
	v_or_b32_e32 v32, 0x600, v0
	;; [unrolled: 9-line block ×3, first 2 shown]
	v_cndmask_b32_e32 v2, v3, v2, vcc
	v_lshlrev_b32_e32 v2, 2, v2
	ds_write_b32 v2, v28
	v_sub_u32_e32 v2, v11, v40
	v_sub_u32_e32 v3, v21, v2
	v_add_u32_e32 v3, 9, v3
	v_cmp_eq_u32_e32 vcc, 1, v5
	v_mov_b32_e32 v5, s27
	v_or_b32_e32 v30, 0xa00, v0
	v_cndmask_b32_e32 v2, v3, v2, vcc
	v_lshlrev_b32_e32 v2, 2, v2
	ds_write_b32 v2, v29
	v_sub_u32_e32 v2, v12, v40
	v_sub_u32_e32 v3, v21, v2
	v_add_u32_e32 v3, 10, v3
	v_cmp_eq_u32_e32 vcc, 1, v4
	v_and_b32_e32 v4, 1, v42
	v_or_b32_e32 v29, 0xc00, v0
	v_cndmask_b32_e32 v2, v3, v2, vcc
	v_lshlrev_b32_e32 v2, 2, v2
	ds_write_b32 v2, v26
	v_sub_u32_e32 v2, v13, v40
	v_sub_u32_e32 v3, v21, v2
	v_add_u32_e32 v3, 11, v3
	v_cmp_eq_u32_e32 vcc, 1, v4
	v_or_b32_e32 v28, 0xe00, v0
	v_or_b32_e32 v26, 0x1200, v0
	v_cndmask_b32_e32 v2, v3, v2, vcc
	v_lshlrev_b32_e32 v2, 2, v2
	ds_write_b32 v2, v27
	v_sub_u32_e32 v2, v14, v40
	v_sub_u32_e32 v3, v21, v2
	v_add_u32_e32 v3, 12, v3
	v_cmp_eq_u32_e32 vcc, 1, v43
	v_or_b32_e32 v27, 0x1000, v0
	v_or_b32_e32 v20, 0x1c00, v0
	v_cndmask_b32_e32 v2, v3, v2, vcc
	v_lshlrev_b32_e32 v2, 2, v2
	ds_write_b32 v2, v24
	v_sub_u32_e32 v2, v15, v40
	v_sub_u32_e32 v3, v21, v2
	v_add_u32_e32 v3, 13, v3
	v_cmp_eq_u32_e32 vcc, 1, v41
	v_mov_b32_e32 v41, 0
	v_mov_b32_e32 v39, v41
	v_cndmask_b32_e32 v2, v3, v2, vcc
	v_lshlrev_b32_e32 v2, 2, v2
	ds_write_b32 v2, v25
	v_sub_u32_e32 v2, v16, v40
	v_sub_u32_e32 v3, v21, v2
	v_add_u32_e32 v3, 14, v3
	v_cmp_eq_u32_e32 vcc, 1, v23
	v_or_b32_e32 v25, 0x1400, v0
	v_or_b32_e32 v24, 0x1600, v0
	v_cndmask_b32_e32 v2, v3, v2, vcc
	v_lshlrev_b32_e32 v2, 2, v2
	ds_write_b32 v2, v1
	v_lshl_add_u64 v[2:3], s[24:25], 0, v[38:39]
	v_lshl_add_u64 v[2:3], v[2:3], 0, v[40:41]
	s_waitcnt lgkmcnt(0)
	s_barrier
	ds_read2st64_b32 v[18:19], v22 offset1:8
	ds_read2st64_b32 v[16:17], v22 offset0:16 offset1:24
	ds_read2st64_b32 v[14:15], v22 offset0:32 offset1:40
	ds_read2st64_b32 v[12:13], v22 offset0:48 offset1:56
	ds_read2st64_b32 v[10:11], v22 offset0:64 offset1:72
	ds_read2st64_b32 v[8:9], v22 offset0:80 offset1:88
	ds_read2st64_b32 v[6:7], v22 offset0:96 offset1:104
	ds_read_b32 v1, v22 offset:28672
	v_sub_co_u32_e32 v4, vcc, s26, v2
	v_or_b32_e32 v23, 0x1800, v0
	s_nop 0
	v_subb_co_u32_e32 v5, vcc, v5, v3, vcc
	v_lshlrev_b64 v[4:5], 2, v[4:5]
	v_lshl_add_u64 v[4:5], s[0:1], 0, v[4:5]
	v_or_b32_e32 v21, 0x1a00, v0
	v_lshl_add_u64 v[4:5], v[4:5], 0, s[30:31]
	s_andn2_b64 vcc, exec, s[28:29]
	v_cmp_le_u32_e64 s[0:1], v38, v0
	s_cbranch_vccnz .LBB3052_126
; %bb.110:
	s_and_saveexec_b64 s[2:3], s[0:1]
	s_cbranch_execnz .LBB3052_161
; %bb.111:
	s_or_b64 exec, exec, s[2:3]
	v_cmp_ge_u32_e32 vcc, v34, v38
	s_and_saveexec_b64 s[0:1], vcc
	s_cbranch_execnz .LBB3052_162
.LBB3052_112:
	s_or_b64 exec, exec, s[0:1]
	v_cmp_ge_u32_e32 vcc, v33, v38
	s_and_saveexec_b64 s[0:1], vcc
	s_cbranch_execnz .LBB3052_163
.LBB3052_113:
	s_or_b64 exec, exec, s[0:1]
	v_cmp_ge_u32_e32 vcc, v32, v38
	s_and_saveexec_b64 s[0:1], vcc
	s_cbranch_execnz .LBB3052_164
.LBB3052_114:
	s_or_b64 exec, exec, s[0:1]
	v_cmp_ge_u32_e32 vcc, v31, v38
	s_and_saveexec_b64 s[0:1], vcc
	s_cbranch_execnz .LBB3052_165
.LBB3052_115:
	s_or_b64 exec, exec, s[0:1]
	v_cmp_ge_u32_e32 vcc, v30, v38
	s_and_saveexec_b64 s[0:1], vcc
	s_cbranch_execnz .LBB3052_166
.LBB3052_116:
	s_or_b64 exec, exec, s[0:1]
	v_cmp_ge_u32_e32 vcc, v29, v38
	s_and_saveexec_b64 s[0:1], vcc
	s_cbranch_execnz .LBB3052_167
.LBB3052_117:
	s_or_b64 exec, exec, s[0:1]
	v_cmp_ge_u32_e32 vcc, v28, v38
	s_and_saveexec_b64 s[0:1], vcc
	s_cbranch_execnz .LBB3052_168
.LBB3052_118:
	s_or_b64 exec, exec, s[0:1]
	v_cmp_ge_u32_e32 vcc, v27, v38
	s_and_saveexec_b64 s[0:1], vcc
	s_cbranch_execnz .LBB3052_169
.LBB3052_119:
	s_or_b64 exec, exec, s[0:1]
	v_cmp_ge_u32_e32 vcc, v26, v38
	s_and_saveexec_b64 s[0:1], vcc
	s_cbranch_execnz .LBB3052_170
.LBB3052_120:
	s_or_b64 exec, exec, s[0:1]
	v_cmp_ge_u32_e32 vcc, v25, v38
	s_and_saveexec_b64 s[0:1], vcc
	s_cbranch_execnz .LBB3052_171
.LBB3052_121:
	s_or_b64 exec, exec, s[0:1]
	v_cmp_ge_u32_e32 vcc, v24, v38
	s_and_saveexec_b64 s[0:1], vcc
	s_cbranch_execnz .LBB3052_172
.LBB3052_122:
	s_or_b64 exec, exec, s[0:1]
	v_cmp_ge_u32_e32 vcc, v23, v38
	s_and_saveexec_b64 s[0:1], vcc
	s_cbranch_execnz .LBB3052_173
.LBB3052_123:
	s_or_b64 exec, exec, s[0:1]
	v_cmp_ge_u32_e32 vcc, v21, v38
	s_and_saveexec_b64 s[0:1], vcc
	s_cbranch_execz .LBB3052_125
.LBB3052_124:
	v_lshlrev_b32_e32 v35, 2, v21
	v_readfirstlane_b32 s2, v4
	v_readfirstlane_b32 s3, v5
	s_waitcnt lgkmcnt(1)
	s_nop 3
	global_store_dword v35, v7, s[2:3]
.LBB3052_125:
	s_or_b64 exec, exec, s[0:1]
	v_cmp_ge_u32_e64 s[0:1], v20, v38
	s_branch .LBB3052_156
.LBB3052_126:
	s_mov_b64 s[0:1], 0
	s_cbranch_execz .LBB3052_156
; %bb.127:
	v_cmp_gt_u32_e32 vcc, s33, v0
	v_cmp_le_u32_e64 s[0:1], v38, v0
	s_and_b64 s[2:3], vcc, s[0:1]
	s_and_saveexec_b64 s[0:1], s[2:3]
	s_cbranch_execz .LBB3052_129
; %bb.128:
	v_readfirstlane_b32 s2, v4
	v_readfirstlane_b32 s3, v5
	s_waitcnt lgkmcnt(7)
	s_nop 3
	global_store_dword v22, v18, s[2:3]
.LBB3052_129:
	s_or_b64 exec, exec, s[0:1]
	v_cmp_gt_u32_e32 vcc, s33, v34
	v_cmp_ge_u32_e64 s[0:1], v34, v38
	s_and_b64 s[2:3], vcc, s[0:1]
	s_and_saveexec_b64 s[0:1], s[2:3]
	s_cbranch_execz .LBB3052_131
; %bb.130:
	v_readfirstlane_b32 s2, v4
	v_readfirstlane_b32 s3, v5
	s_waitcnt lgkmcnt(7)
	s_nop 3
	global_store_dword v22, v19, s[2:3] offset:2048
.LBB3052_131:
	s_or_b64 exec, exec, s[0:1]
	v_cmp_gt_u32_e32 vcc, s33, v33
	v_cmp_ge_u32_e64 s[0:1], v33, v38
	s_and_b64 s[2:3], vcc, s[0:1]
	s_and_saveexec_b64 s[0:1], s[2:3]
	s_cbranch_execz .LBB3052_133
; %bb.132:
	s_waitcnt lgkmcnt(7)
	v_lshlrev_b32_e32 v18, 2, v33
	v_readfirstlane_b32 s2, v4
	v_readfirstlane_b32 s3, v5
	s_waitcnt lgkmcnt(6)
	s_nop 3
	global_store_dword v18, v16, s[2:3]
.LBB3052_133:
	s_or_b64 exec, exec, s[0:1]
	v_cmp_gt_u32_e32 vcc, s33, v32
	v_cmp_ge_u32_e64 s[0:1], v32, v38
	s_and_b64 s[2:3], vcc, s[0:1]
	s_and_saveexec_b64 s[0:1], s[2:3]
	s_cbranch_execz .LBB3052_135
; %bb.134:
	s_waitcnt lgkmcnt(6)
	v_lshlrev_b32_e32 v16, 2, v32
	v_readfirstlane_b32 s2, v4
	v_readfirstlane_b32 s3, v5
	s_nop 4
	global_store_dword v16, v17, s[2:3]
.LBB3052_135:
	s_or_b64 exec, exec, s[0:1]
	v_cmp_gt_u32_e32 vcc, s33, v31
	v_cmp_ge_u32_e64 s[0:1], v31, v38
	s_and_b64 s[2:3], vcc, s[0:1]
	s_and_saveexec_b64 s[0:1], s[2:3]
	s_cbranch_execz .LBB3052_137
; %bb.136:
	s_waitcnt lgkmcnt(6)
	v_lshlrev_b32_e32 v16, 2, v31
	v_readfirstlane_b32 s2, v4
	v_readfirstlane_b32 s3, v5
	s_waitcnt lgkmcnt(5)
	s_nop 3
	global_store_dword v16, v14, s[2:3]
.LBB3052_137:
	s_or_b64 exec, exec, s[0:1]
	v_cmp_gt_u32_e32 vcc, s33, v30
	v_cmp_ge_u32_e64 s[0:1], v30, v38
	s_and_b64 s[2:3], vcc, s[0:1]
	s_and_saveexec_b64 s[0:1], s[2:3]
	s_cbranch_execz .LBB3052_139
; %bb.138:
	s_waitcnt lgkmcnt(5)
	v_lshlrev_b32_e32 v14, 2, v30
	v_readfirstlane_b32 s2, v4
	v_readfirstlane_b32 s3, v5
	s_nop 4
	global_store_dword v14, v15, s[2:3]
.LBB3052_139:
	;; [unrolled: 29-line block ×6, first 2 shown]
	s_or_b64 exec, exec, s[0:1]
	v_cmp_gt_u32_e32 vcc, s33, v20
	v_cmp_ge_u32_e64 s[0:1], v20, v38
	s_and_b64 s[0:1], vcc, s[0:1]
.LBB3052_156:
	s_and_saveexec_b64 s[2:3], s[0:1]
	s_cbranch_execz .LBB3052_158
; %bb.157:
	s_waitcnt lgkmcnt(1)
	v_lshlrev_b32_e32 v6, 2, v20
	v_readfirstlane_b32 s0, v4
	v_readfirstlane_b32 s1, v5
	s_waitcnt lgkmcnt(0)
	s_nop 3
	global_store_dword v6, v1, s[0:1]
.LBB3052_158:
	s_or_b64 exec, exec, s[2:3]
	v_cmp_eq_u32_e32 vcc, 0, v0
	s_and_b64 s[0:1], vcc, s[22:23]
	s_and_saveexec_b64 s[2:3], s[0:1]
	s_cbranch_execz .LBB3052_160
; %bb.159:
	v_mov_b32_e32 v0, 0
	global_store_dwordx2 v0, v[2:3], s[20:21]
.LBB3052_160:
	s_endpgm
.LBB3052_161:
	v_readfirstlane_b32 s0, v4
	v_readfirstlane_b32 s1, v5
	s_waitcnt lgkmcnt(7)
	s_nop 3
	global_store_dword v22, v18, s[0:1]
	s_or_b64 exec, exec, s[2:3]
	v_cmp_ge_u32_e32 vcc, v34, v38
	s_and_saveexec_b64 s[0:1], vcc
	s_cbranch_execz .LBB3052_112
.LBB3052_162:
	v_readfirstlane_b32 s2, v4
	v_readfirstlane_b32 s3, v5
	s_waitcnt lgkmcnt(7)
	s_nop 3
	global_store_dword v22, v19, s[2:3] offset:2048
	s_or_b64 exec, exec, s[0:1]
	v_cmp_ge_u32_e32 vcc, v33, v38
	s_and_saveexec_b64 s[0:1], vcc
	s_cbranch_execz .LBB3052_113
.LBB3052_163:
	v_lshlrev_b32_e32 v35, 2, v33
	v_readfirstlane_b32 s2, v4
	v_readfirstlane_b32 s3, v5
	s_waitcnt lgkmcnt(6)
	s_nop 3
	global_store_dword v35, v16, s[2:3]
	s_or_b64 exec, exec, s[0:1]
	v_cmp_ge_u32_e32 vcc, v32, v38
	s_and_saveexec_b64 s[0:1], vcc
	s_cbranch_execz .LBB3052_114
.LBB3052_164:
	v_lshlrev_b32_e32 v35, 2, v32
	v_readfirstlane_b32 s2, v4
	v_readfirstlane_b32 s3, v5
	s_waitcnt lgkmcnt(6)
	s_nop 3
	global_store_dword v35, v17, s[2:3]
	s_or_b64 exec, exec, s[0:1]
	v_cmp_ge_u32_e32 vcc, v31, v38
	s_and_saveexec_b64 s[0:1], vcc
	s_cbranch_execz .LBB3052_115
.LBB3052_165:
	v_lshlrev_b32_e32 v35, 2, v31
	v_readfirstlane_b32 s2, v4
	v_readfirstlane_b32 s3, v5
	s_waitcnt lgkmcnt(5)
	s_nop 3
	global_store_dword v35, v14, s[2:3]
	s_or_b64 exec, exec, s[0:1]
	v_cmp_ge_u32_e32 vcc, v30, v38
	s_and_saveexec_b64 s[0:1], vcc
	s_cbranch_execz .LBB3052_116
.LBB3052_166:
	v_lshlrev_b32_e32 v35, 2, v30
	v_readfirstlane_b32 s2, v4
	v_readfirstlane_b32 s3, v5
	s_waitcnt lgkmcnt(5)
	s_nop 3
	global_store_dword v35, v15, s[2:3]
	s_or_b64 exec, exec, s[0:1]
	v_cmp_ge_u32_e32 vcc, v29, v38
	s_and_saveexec_b64 s[0:1], vcc
	s_cbranch_execz .LBB3052_117
.LBB3052_167:
	v_lshlrev_b32_e32 v35, 2, v29
	v_readfirstlane_b32 s2, v4
	v_readfirstlane_b32 s3, v5
	s_waitcnt lgkmcnt(4)
	s_nop 3
	global_store_dword v35, v12, s[2:3]
	s_or_b64 exec, exec, s[0:1]
	v_cmp_ge_u32_e32 vcc, v28, v38
	s_and_saveexec_b64 s[0:1], vcc
	s_cbranch_execz .LBB3052_118
.LBB3052_168:
	v_lshlrev_b32_e32 v35, 2, v28
	v_readfirstlane_b32 s2, v4
	v_readfirstlane_b32 s3, v5
	s_waitcnt lgkmcnt(4)
	s_nop 3
	global_store_dword v35, v13, s[2:3]
	s_or_b64 exec, exec, s[0:1]
	v_cmp_ge_u32_e32 vcc, v27, v38
	s_and_saveexec_b64 s[0:1], vcc
	s_cbranch_execz .LBB3052_119
.LBB3052_169:
	v_lshlrev_b32_e32 v35, 2, v27
	v_readfirstlane_b32 s2, v4
	v_readfirstlane_b32 s3, v5
	s_waitcnt lgkmcnt(3)
	s_nop 3
	global_store_dword v35, v10, s[2:3]
	s_or_b64 exec, exec, s[0:1]
	v_cmp_ge_u32_e32 vcc, v26, v38
	s_and_saveexec_b64 s[0:1], vcc
	s_cbranch_execz .LBB3052_120
.LBB3052_170:
	v_lshlrev_b32_e32 v35, 2, v26
	v_readfirstlane_b32 s2, v4
	v_readfirstlane_b32 s3, v5
	s_waitcnt lgkmcnt(3)
	s_nop 3
	global_store_dword v35, v11, s[2:3]
	s_or_b64 exec, exec, s[0:1]
	v_cmp_ge_u32_e32 vcc, v25, v38
	s_and_saveexec_b64 s[0:1], vcc
	s_cbranch_execz .LBB3052_121
.LBB3052_171:
	v_lshlrev_b32_e32 v35, 2, v25
	v_readfirstlane_b32 s2, v4
	v_readfirstlane_b32 s3, v5
	s_waitcnt lgkmcnt(2)
	s_nop 3
	global_store_dword v35, v8, s[2:3]
	s_or_b64 exec, exec, s[0:1]
	v_cmp_ge_u32_e32 vcc, v24, v38
	s_and_saveexec_b64 s[0:1], vcc
	s_cbranch_execz .LBB3052_122
.LBB3052_172:
	v_lshlrev_b32_e32 v35, 2, v24
	v_readfirstlane_b32 s2, v4
	v_readfirstlane_b32 s3, v5
	s_waitcnt lgkmcnt(2)
	s_nop 3
	global_store_dword v35, v9, s[2:3]
	s_or_b64 exec, exec, s[0:1]
	v_cmp_ge_u32_e32 vcc, v23, v38
	s_and_saveexec_b64 s[0:1], vcc
	s_cbranch_execz .LBB3052_123
.LBB3052_173:
	v_lshlrev_b32_e32 v35, 2, v23
	v_readfirstlane_b32 s2, v4
	v_readfirstlane_b32 s3, v5
	s_waitcnt lgkmcnt(1)
	s_nop 3
	global_store_dword v35, v6, s[2:3]
	s_or_b64 exec, exec, s[0:1]
	v_cmp_ge_u32_e32 vcc, v21, v38
	s_and_saveexec_b64 s[0:1], vcc
	s_cbranch_execnz .LBB3052_124
	s_branch .LBB3052_125
	.section	.rodata,"a",@progbits
	.p2align	6, 0x0
	.amdhsa_kernel _ZN7rocprim17ROCPRIM_400000_NS6detail17trampoline_kernelINS0_14default_configENS1_25partition_config_selectorILNS1_17partition_subalgoE1EjNS0_10empty_typeEbEEZZNS1_14partition_implILS5_1ELb0ES3_jN6thrust23THRUST_200600_302600_NS6detail15normal_iteratorINSA_10device_ptrIjEEEEPS6_NSA_18transform_iteratorI7is_evenIjESF_NSA_11use_defaultESK_EENS0_5tupleIJNSA_16discard_iteratorISK_EESF_EEENSM_IJSG_SG_EEES6_PlJS6_EEE10hipError_tPvRmT3_T4_T5_T6_T7_T9_mT8_P12ihipStream_tbDpT10_ENKUlT_T0_E_clISt17integral_constantIbLb1EES1A_IbLb0EEEEDaS16_S17_EUlS16_E_NS1_11comp_targetILNS1_3genE5ELNS1_11target_archE942ELNS1_3gpuE9ELNS1_3repE0EEENS1_30default_config_static_selectorELNS0_4arch9wavefront6targetE1EEEvT1_
		.amdhsa_group_segment_fixed_size 30728
		.amdhsa_private_segment_fixed_size 0
		.amdhsa_kernarg_size 136
		.amdhsa_user_sgpr_count 2
		.amdhsa_user_sgpr_dispatch_ptr 0
		.amdhsa_user_sgpr_queue_ptr 0
		.amdhsa_user_sgpr_kernarg_segment_ptr 1
		.amdhsa_user_sgpr_dispatch_id 0
		.amdhsa_user_sgpr_kernarg_preload_length 0
		.amdhsa_user_sgpr_kernarg_preload_offset 0
		.amdhsa_user_sgpr_private_segment_size 0
		.amdhsa_uses_dynamic_stack 0
		.amdhsa_enable_private_segment 0
		.amdhsa_system_sgpr_workgroup_id_x 1
		.amdhsa_system_sgpr_workgroup_id_y 0
		.amdhsa_system_sgpr_workgroup_id_z 0
		.amdhsa_system_sgpr_workgroup_info 0
		.amdhsa_system_vgpr_workitem_id 0
		.amdhsa_next_free_vgpr 65
		.amdhsa_next_free_sgpr 44
		.amdhsa_accum_offset 68
		.amdhsa_reserve_vcc 1
		.amdhsa_float_round_mode_32 0
		.amdhsa_float_round_mode_16_64 0
		.amdhsa_float_denorm_mode_32 3
		.amdhsa_float_denorm_mode_16_64 3
		.amdhsa_dx10_clamp 1
		.amdhsa_ieee_mode 1
		.amdhsa_fp16_overflow 0
		.amdhsa_tg_split 0
		.amdhsa_exception_fp_ieee_invalid_op 0
		.amdhsa_exception_fp_denorm_src 0
		.amdhsa_exception_fp_ieee_div_zero 0
		.amdhsa_exception_fp_ieee_overflow 0
		.amdhsa_exception_fp_ieee_underflow 0
		.amdhsa_exception_fp_ieee_inexact 0
		.amdhsa_exception_int_div_zero 0
	.end_amdhsa_kernel
	.section	.text._ZN7rocprim17ROCPRIM_400000_NS6detail17trampoline_kernelINS0_14default_configENS1_25partition_config_selectorILNS1_17partition_subalgoE1EjNS0_10empty_typeEbEEZZNS1_14partition_implILS5_1ELb0ES3_jN6thrust23THRUST_200600_302600_NS6detail15normal_iteratorINSA_10device_ptrIjEEEEPS6_NSA_18transform_iteratorI7is_evenIjESF_NSA_11use_defaultESK_EENS0_5tupleIJNSA_16discard_iteratorISK_EESF_EEENSM_IJSG_SG_EEES6_PlJS6_EEE10hipError_tPvRmT3_T4_T5_T6_T7_T9_mT8_P12ihipStream_tbDpT10_ENKUlT_T0_E_clISt17integral_constantIbLb1EES1A_IbLb0EEEEDaS16_S17_EUlS16_E_NS1_11comp_targetILNS1_3genE5ELNS1_11target_archE942ELNS1_3gpuE9ELNS1_3repE0EEENS1_30default_config_static_selectorELNS0_4arch9wavefront6targetE1EEEvT1_,"axG",@progbits,_ZN7rocprim17ROCPRIM_400000_NS6detail17trampoline_kernelINS0_14default_configENS1_25partition_config_selectorILNS1_17partition_subalgoE1EjNS0_10empty_typeEbEEZZNS1_14partition_implILS5_1ELb0ES3_jN6thrust23THRUST_200600_302600_NS6detail15normal_iteratorINSA_10device_ptrIjEEEEPS6_NSA_18transform_iteratorI7is_evenIjESF_NSA_11use_defaultESK_EENS0_5tupleIJNSA_16discard_iteratorISK_EESF_EEENSM_IJSG_SG_EEES6_PlJS6_EEE10hipError_tPvRmT3_T4_T5_T6_T7_T9_mT8_P12ihipStream_tbDpT10_ENKUlT_T0_E_clISt17integral_constantIbLb1EES1A_IbLb0EEEEDaS16_S17_EUlS16_E_NS1_11comp_targetILNS1_3genE5ELNS1_11target_archE942ELNS1_3gpuE9ELNS1_3repE0EEENS1_30default_config_static_selectorELNS0_4arch9wavefront6targetE1EEEvT1_,comdat
.Lfunc_end3052:
	.size	_ZN7rocprim17ROCPRIM_400000_NS6detail17trampoline_kernelINS0_14default_configENS1_25partition_config_selectorILNS1_17partition_subalgoE1EjNS0_10empty_typeEbEEZZNS1_14partition_implILS5_1ELb0ES3_jN6thrust23THRUST_200600_302600_NS6detail15normal_iteratorINSA_10device_ptrIjEEEEPS6_NSA_18transform_iteratorI7is_evenIjESF_NSA_11use_defaultESK_EENS0_5tupleIJNSA_16discard_iteratorISK_EESF_EEENSM_IJSG_SG_EEES6_PlJS6_EEE10hipError_tPvRmT3_T4_T5_T6_T7_T9_mT8_P12ihipStream_tbDpT10_ENKUlT_T0_E_clISt17integral_constantIbLb1EES1A_IbLb0EEEEDaS16_S17_EUlS16_E_NS1_11comp_targetILNS1_3genE5ELNS1_11target_archE942ELNS1_3gpuE9ELNS1_3repE0EEENS1_30default_config_static_selectorELNS0_4arch9wavefront6targetE1EEEvT1_, .Lfunc_end3052-_ZN7rocprim17ROCPRIM_400000_NS6detail17trampoline_kernelINS0_14default_configENS1_25partition_config_selectorILNS1_17partition_subalgoE1EjNS0_10empty_typeEbEEZZNS1_14partition_implILS5_1ELb0ES3_jN6thrust23THRUST_200600_302600_NS6detail15normal_iteratorINSA_10device_ptrIjEEEEPS6_NSA_18transform_iteratorI7is_evenIjESF_NSA_11use_defaultESK_EENS0_5tupleIJNSA_16discard_iteratorISK_EESF_EEENSM_IJSG_SG_EEES6_PlJS6_EEE10hipError_tPvRmT3_T4_T5_T6_T7_T9_mT8_P12ihipStream_tbDpT10_ENKUlT_T0_E_clISt17integral_constantIbLb1EES1A_IbLb0EEEEDaS16_S17_EUlS16_E_NS1_11comp_targetILNS1_3genE5ELNS1_11target_archE942ELNS1_3gpuE9ELNS1_3repE0EEENS1_30default_config_static_selectorELNS0_4arch9wavefront6targetE1EEEvT1_
                                        ; -- End function
	.section	.AMDGPU.csdata,"",@progbits
; Kernel info:
; codeLenInByte = 7768
; NumSgprs: 50
; NumVgprs: 65
; NumAgprs: 0
; TotalNumVgprs: 65
; ScratchSize: 0
; MemoryBound: 0
; FloatMode: 240
; IeeeMode: 1
; LDSByteSize: 30728 bytes/workgroup (compile time only)
; SGPRBlocks: 6
; VGPRBlocks: 8
; NumSGPRsForWavesPerEU: 50
; NumVGPRsForWavesPerEU: 65
; AccumOffset: 68
; Occupancy: 4
; WaveLimiterHint : 1
; COMPUTE_PGM_RSRC2:SCRATCH_EN: 0
; COMPUTE_PGM_RSRC2:USER_SGPR: 2
; COMPUTE_PGM_RSRC2:TRAP_HANDLER: 0
; COMPUTE_PGM_RSRC2:TGID_X_EN: 1
; COMPUTE_PGM_RSRC2:TGID_Y_EN: 0
; COMPUTE_PGM_RSRC2:TGID_Z_EN: 0
; COMPUTE_PGM_RSRC2:TIDIG_COMP_CNT: 0
; COMPUTE_PGM_RSRC3_GFX90A:ACCUM_OFFSET: 16
; COMPUTE_PGM_RSRC3_GFX90A:TG_SPLIT: 0
	.section	.text._ZN7rocprim17ROCPRIM_400000_NS6detail17trampoline_kernelINS0_14default_configENS1_25partition_config_selectorILNS1_17partition_subalgoE1EjNS0_10empty_typeEbEEZZNS1_14partition_implILS5_1ELb0ES3_jN6thrust23THRUST_200600_302600_NS6detail15normal_iteratorINSA_10device_ptrIjEEEEPS6_NSA_18transform_iteratorI7is_evenIjESF_NSA_11use_defaultESK_EENS0_5tupleIJNSA_16discard_iteratorISK_EESF_EEENSM_IJSG_SG_EEES6_PlJS6_EEE10hipError_tPvRmT3_T4_T5_T6_T7_T9_mT8_P12ihipStream_tbDpT10_ENKUlT_T0_E_clISt17integral_constantIbLb1EES1A_IbLb0EEEEDaS16_S17_EUlS16_E_NS1_11comp_targetILNS1_3genE4ELNS1_11target_archE910ELNS1_3gpuE8ELNS1_3repE0EEENS1_30default_config_static_selectorELNS0_4arch9wavefront6targetE1EEEvT1_,"axG",@progbits,_ZN7rocprim17ROCPRIM_400000_NS6detail17trampoline_kernelINS0_14default_configENS1_25partition_config_selectorILNS1_17partition_subalgoE1EjNS0_10empty_typeEbEEZZNS1_14partition_implILS5_1ELb0ES3_jN6thrust23THRUST_200600_302600_NS6detail15normal_iteratorINSA_10device_ptrIjEEEEPS6_NSA_18transform_iteratorI7is_evenIjESF_NSA_11use_defaultESK_EENS0_5tupleIJNSA_16discard_iteratorISK_EESF_EEENSM_IJSG_SG_EEES6_PlJS6_EEE10hipError_tPvRmT3_T4_T5_T6_T7_T9_mT8_P12ihipStream_tbDpT10_ENKUlT_T0_E_clISt17integral_constantIbLb1EES1A_IbLb0EEEEDaS16_S17_EUlS16_E_NS1_11comp_targetILNS1_3genE4ELNS1_11target_archE910ELNS1_3gpuE8ELNS1_3repE0EEENS1_30default_config_static_selectorELNS0_4arch9wavefront6targetE1EEEvT1_,comdat
	.protected	_ZN7rocprim17ROCPRIM_400000_NS6detail17trampoline_kernelINS0_14default_configENS1_25partition_config_selectorILNS1_17partition_subalgoE1EjNS0_10empty_typeEbEEZZNS1_14partition_implILS5_1ELb0ES3_jN6thrust23THRUST_200600_302600_NS6detail15normal_iteratorINSA_10device_ptrIjEEEEPS6_NSA_18transform_iteratorI7is_evenIjESF_NSA_11use_defaultESK_EENS0_5tupleIJNSA_16discard_iteratorISK_EESF_EEENSM_IJSG_SG_EEES6_PlJS6_EEE10hipError_tPvRmT3_T4_T5_T6_T7_T9_mT8_P12ihipStream_tbDpT10_ENKUlT_T0_E_clISt17integral_constantIbLb1EES1A_IbLb0EEEEDaS16_S17_EUlS16_E_NS1_11comp_targetILNS1_3genE4ELNS1_11target_archE910ELNS1_3gpuE8ELNS1_3repE0EEENS1_30default_config_static_selectorELNS0_4arch9wavefront6targetE1EEEvT1_ ; -- Begin function _ZN7rocprim17ROCPRIM_400000_NS6detail17trampoline_kernelINS0_14default_configENS1_25partition_config_selectorILNS1_17partition_subalgoE1EjNS0_10empty_typeEbEEZZNS1_14partition_implILS5_1ELb0ES3_jN6thrust23THRUST_200600_302600_NS6detail15normal_iteratorINSA_10device_ptrIjEEEEPS6_NSA_18transform_iteratorI7is_evenIjESF_NSA_11use_defaultESK_EENS0_5tupleIJNSA_16discard_iteratorISK_EESF_EEENSM_IJSG_SG_EEES6_PlJS6_EEE10hipError_tPvRmT3_T4_T5_T6_T7_T9_mT8_P12ihipStream_tbDpT10_ENKUlT_T0_E_clISt17integral_constantIbLb1EES1A_IbLb0EEEEDaS16_S17_EUlS16_E_NS1_11comp_targetILNS1_3genE4ELNS1_11target_archE910ELNS1_3gpuE8ELNS1_3repE0EEENS1_30default_config_static_selectorELNS0_4arch9wavefront6targetE1EEEvT1_
	.globl	_ZN7rocprim17ROCPRIM_400000_NS6detail17trampoline_kernelINS0_14default_configENS1_25partition_config_selectorILNS1_17partition_subalgoE1EjNS0_10empty_typeEbEEZZNS1_14partition_implILS5_1ELb0ES3_jN6thrust23THRUST_200600_302600_NS6detail15normal_iteratorINSA_10device_ptrIjEEEEPS6_NSA_18transform_iteratorI7is_evenIjESF_NSA_11use_defaultESK_EENS0_5tupleIJNSA_16discard_iteratorISK_EESF_EEENSM_IJSG_SG_EEES6_PlJS6_EEE10hipError_tPvRmT3_T4_T5_T6_T7_T9_mT8_P12ihipStream_tbDpT10_ENKUlT_T0_E_clISt17integral_constantIbLb1EES1A_IbLb0EEEEDaS16_S17_EUlS16_E_NS1_11comp_targetILNS1_3genE4ELNS1_11target_archE910ELNS1_3gpuE8ELNS1_3repE0EEENS1_30default_config_static_selectorELNS0_4arch9wavefront6targetE1EEEvT1_
	.p2align	8
	.type	_ZN7rocprim17ROCPRIM_400000_NS6detail17trampoline_kernelINS0_14default_configENS1_25partition_config_selectorILNS1_17partition_subalgoE1EjNS0_10empty_typeEbEEZZNS1_14partition_implILS5_1ELb0ES3_jN6thrust23THRUST_200600_302600_NS6detail15normal_iteratorINSA_10device_ptrIjEEEEPS6_NSA_18transform_iteratorI7is_evenIjESF_NSA_11use_defaultESK_EENS0_5tupleIJNSA_16discard_iteratorISK_EESF_EEENSM_IJSG_SG_EEES6_PlJS6_EEE10hipError_tPvRmT3_T4_T5_T6_T7_T9_mT8_P12ihipStream_tbDpT10_ENKUlT_T0_E_clISt17integral_constantIbLb1EES1A_IbLb0EEEEDaS16_S17_EUlS16_E_NS1_11comp_targetILNS1_3genE4ELNS1_11target_archE910ELNS1_3gpuE8ELNS1_3repE0EEENS1_30default_config_static_selectorELNS0_4arch9wavefront6targetE1EEEvT1_,@function
_ZN7rocprim17ROCPRIM_400000_NS6detail17trampoline_kernelINS0_14default_configENS1_25partition_config_selectorILNS1_17partition_subalgoE1EjNS0_10empty_typeEbEEZZNS1_14partition_implILS5_1ELb0ES3_jN6thrust23THRUST_200600_302600_NS6detail15normal_iteratorINSA_10device_ptrIjEEEEPS6_NSA_18transform_iteratorI7is_evenIjESF_NSA_11use_defaultESK_EENS0_5tupleIJNSA_16discard_iteratorISK_EESF_EEENSM_IJSG_SG_EEES6_PlJS6_EEE10hipError_tPvRmT3_T4_T5_T6_T7_T9_mT8_P12ihipStream_tbDpT10_ENKUlT_T0_E_clISt17integral_constantIbLb1EES1A_IbLb0EEEEDaS16_S17_EUlS16_E_NS1_11comp_targetILNS1_3genE4ELNS1_11target_archE910ELNS1_3gpuE8ELNS1_3repE0EEENS1_30default_config_static_selectorELNS0_4arch9wavefront6targetE1EEEvT1_: ; @_ZN7rocprim17ROCPRIM_400000_NS6detail17trampoline_kernelINS0_14default_configENS1_25partition_config_selectorILNS1_17partition_subalgoE1EjNS0_10empty_typeEbEEZZNS1_14partition_implILS5_1ELb0ES3_jN6thrust23THRUST_200600_302600_NS6detail15normal_iteratorINSA_10device_ptrIjEEEEPS6_NSA_18transform_iteratorI7is_evenIjESF_NSA_11use_defaultESK_EENS0_5tupleIJNSA_16discard_iteratorISK_EESF_EEENSM_IJSG_SG_EEES6_PlJS6_EEE10hipError_tPvRmT3_T4_T5_T6_T7_T9_mT8_P12ihipStream_tbDpT10_ENKUlT_T0_E_clISt17integral_constantIbLb1EES1A_IbLb0EEEEDaS16_S17_EUlS16_E_NS1_11comp_targetILNS1_3genE4ELNS1_11target_archE910ELNS1_3gpuE8ELNS1_3repE0EEENS1_30default_config_static_selectorELNS0_4arch9wavefront6targetE1EEEvT1_
; %bb.0:
	.section	.rodata,"a",@progbits
	.p2align	6, 0x0
	.amdhsa_kernel _ZN7rocprim17ROCPRIM_400000_NS6detail17trampoline_kernelINS0_14default_configENS1_25partition_config_selectorILNS1_17partition_subalgoE1EjNS0_10empty_typeEbEEZZNS1_14partition_implILS5_1ELb0ES3_jN6thrust23THRUST_200600_302600_NS6detail15normal_iteratorINSA_10device_ptrIjEEEEPS6_NSA_18transform_iteratorI7is_evenIjESF_NSA_11use_defaultESK_EENS0_5tupleIJNSA_16discard_iteratorISK_EESF_EEENSM_IJSG_SG_EEES6_PlJS6_EEE10hipError_tPvRmT3_T4_T5_T6_T7_T9_mT8_P12ihipStream_tbDpT10_ENKUlT_T0_E_clISt17integral_constantIbLb1EES1A_IbLb0EEEEDaS16_S17_EUlS16_E_NS1_11comp_targetILNS1_3genE4ELNS1_11target_archE910ELNS1_3gpuE8ELNS1_3repE0EEENS1_30default_config_static_selectorELNS0_4arch9wavefront6targetE1EEEvT1_
		.amdhsa_group_segment_fixed_size 0
		.amdhsa_private_segment_fixed_size 0
		.amdhsa_kernarg_size 136
		.amdhsa_user_sgpr_count 2
		.amdhsa_user_sgpr_dispatch_ptr 0
		.amdhsa_user_sgpr_queue_ptr 0
		.amdhsa_user_sgpr_kernarg_segment_ptr 1
		.amdhsa_user_sgpr_dispatch_id 0
		.amdhsa_user_sgpr_kernarg_preload_length 0
		.amdhsa_user_sgpr_kernarg_preload_offset 0
		.amdhsa_user_sgpr_private_segment_size 0
		.amdhsa_uses_dynamic_stack 0
		.amdhsa_enable_private_segment 0
		.amdhsa_system_sgpr_workgroup_id_x 1
		.amdhsa_system_sgpr_workgroup_id_y 0
		.amdhsa_system_sgpr_workgroup_id_z 0
		.amdhsa_system_sgpr_workgroup_info 0
		.amdhsa_system_vgpr_workitem_id 0
		.amdhsa_next_free_vgpr 1
		.amdhsa_next_free_sgpr 0
		.amdhsa_accum_offset 4
		.amdhsa_reserve_vcc 0
		.amdhsa_float_round_mode_32 0
		.amdhsa_float_round_mode_16_64 0
		.amdhsa_float_denorm_mode_32 3
		.amdhsa_float_denorm_mode_16_64 3
		.amdhsa_dx10_clamp 1
		.amdhsa_ieee_mode 1
		.amdhsa_fp16_overflow 0
		.amdhsa_tg_split 0
		.amdhsa_exception_fp_ieee_invalid_op 0
		.amdhsa_exception_fp_denorm_src 0
		.amdhsa_exception_fp_ieee_div_zero 0
		.amdhsa_exception_fp_ieee_overflow 0
		.amdhsa_exception_fp_ieee_underflow 0
		.amdhsa_exception_fp_ieee_inexact 0
		.amdhsa_exception_int_div_zero 0
	.end_amdhsa_kernel
	.section	.text._ZN7rocprim17ROCPRIM_400000_NS6detail17trampoline_kernelINS0_14default_configENS1_25partition_config_selectorILNS1_17partition_subalgoE1EjNS0_10empty_typeEbEEZZNS1_14partition_implILS5_1ELb0ES3_jN6thrust23THRUST_200600_302600_NS6detail15normal_iteratorINSA_10device_ptrIjEEEEPS6_NSA_18transform_iteratorI7is_evenIjESF_NSA_11use_defaultESK_EENS0_5tupleIJNSA_16discard_iteratorISK_EESF_EEENSM_IJSG_SG_EEES6_PlJS6_EEE10hipError_tPvRmT3_T4_T5_T6_T7_T9_mT8_P12ihipStream_tbDpT10_ENKUlT_T0_E_clISt17integral_constantIbLb1EES1A_IbLb0EEEEDaS16_S17_EUlS16_E_NS1_11comp_targetILNS1_3genE4ELNS1_11target_archE910ELNS1_3gpuE8ELNS1_3repE0EEENS1_30default_config_static_selectorELNS0_4arch9wavefront6targetE1EEEvT1_,"axG",@progbits,_ZN7rocprim17ROCPRIM_400000_NS6detail17trampoline_kernelINS0_14default_configENS1_25partition_config_selectorILNS1_17partition_subalgoE1EjNS0_10empty_typeEbEEZZNS1_14partition_implILS5_1ELb0ES3_jN6thrust23THRUST_200600_302600_NS6detail15normal_iteratorINSA_10device_ptrIjEEEEPS6_NSA_18transform_iteratorI7is_evenIjESF_NSA_11use_defaultESK_EENS0_5tupleIJNSA_16discard_iteratorISK_EESF_EEENSM_IJSG_SG_EEES6_PlJS6_EEE10hipError_tPvRmT3_T4_T5_T6_T7_T9_mT8_P12ihipStream_tbDpT10_ENKUlT_T0_E_clISt17integral_constantIbLb1EES1A_IbLb0EEEEDaS16_S17_EUlS16_E_NS1_11comp_targetILNS1_3genE4ELNS1_11target_archE910ELNS1_3gpuE8ELNS1_3repE0EEENS1_30default_config_static_selectorELNS0_4arch9wavefront6targetE1EEEvT1_,comdat
.Lfunc_end3053:
	.size	_ZN7rocprim17ROCPRIM_400000_NS6detail17trampoline_kernelINS0_14default_configENS1_25partition_config_selectorILNS1_17partition_subalgoE1EjNS0_10empty_typeEbEEZZNS1_14partition_implILS5_1ELb0ES3_jN6thrust23THRUST_200600_302600_NS6detail15normal_iteratorINSA_10device_ptrIjEEEEPS6_NSA_18transform_iteratorI7is_evenIjESF_NSA_11use_defaultESK_EENS0_5tupleIJNSA_16discard_iteratorISK_EESF_EEENSM_IJSG_SG_EEES6_PlJS6_EEE10hipError_tPvRmT3_T4_T5_T6_T7_T9_mT8_P12ihipStream_tbDpT10_ENKUlT_T0_E_clISt17integral_constantIbLb1EES1A_IbLb0EEEEDaS16_S17_EUlS16_E_NS1_11comp_targetILNS1_3genE4ELNS1_11target_archE910ELNS1_3gpuE8ELNS1_3repE0EEENS1_30default_config_static_selectorELNS0_4arch9wavefront6targetE1EEEvT1_, .Lfunc_end3053-_ZN7rocprim17ROCPRIM_400000_NS6detail17trampoline_kernelINS0_14default_configENS1_25partition_config_selectorILNS1_17partition_subalgoE1EjNS0_10empty_typeEbEEZZNS1_14partition_implILS5_1ELb0ES3_jN6thrust23THRUST_200600_302600_NS6detail15normal_iteratorINSA_10device_ptrIjEEEEPS6_NSA_18transform_iteratorI7is_evenIjESF_NSA_11use_defaultESK_EENS0_5tupleIJNSA_16discard_iteratorISK_EESF_EEENSM_IJSG_SG_EEES6_PlJS6_EEE10hipError_tPvRmT3_T4_T5_T6_T7_T9_mT8_P12ihipStream_tbDpT10_ENKUlT_T0_E_clISt17integral_constantIbLb1EES1A_IbLb0EEEEDaS16_S17_EUlS16_E_NS1_11comp_targetILNS1_3genE4ELNS1_11target_archE910ELNS1_3gpuE8ELNS1_3repE0EEENS1_30default_config_static_selectorELNS0_4arch9wavefront6targetE1EEEvT1_
                                        ; -- End function
	.section	.AMDGPU.csdata,"",@progbits
; Kernel info:
; codeLenInByte = 0
; NumSgprs: 6
; NumVgprs: 0
; NumAgprs: 0
; TotalNumVgprs: 0
; ScratchSize: 0
; MemoryBound: 0
; FloatMode: 240
; IeeeMode: 1
; LDSByteSize: 0 bytes/workgroup (compile time only)
; SGPRBlocks: 0
; VGPRBlocks: 0
; NumSGPRsForWavesPerEU: 6
; NumVGPRsForWavesPerEU: 1
; AccumOffset: 4
; Occupancy: 8
; WaveLimiterHint : 0
; COMPUTE_PGM_RSRC2:SCRATCH_EN: 0
; COMPUTE_PGM_RSRC2:USER_SGPR: 2
; COMPUTE_PGM_RSRC2:TRAP_HANDLER: 0
; COMPUTE_PGM_RSRC2:TGID_X_EN: 1
; COMPUTE_PGM_RSRC2:TGID_Y_EN: 0
; COMPUTE_PGM_RSRC2:TGID_Z_EN: 0
; COMPUTE_PGM_RSRC2:TIDIG_COMP_CNT: 0
; COMPUTE_PGM_RSRC3_GFX90A:ACCUM_OFFSET: 0
; COMPUTE_PGM_RSRC3_GFX90A:TG_SPLIT: 0
	.section	.text._ZN7rocprim17ROCPRIM_400000_NS6detail17trampoline_kernelINS0_14default_configENS1_25partition_config_selectorILNS1_17partition_subalgoE1EjNS0_10empty_typeEbEEZZNS1_14partition_implILS5_1ELb0ES3_jN6thrust23THRUST_200600_302600_NS6detail15normal_iteratorINSA_10device_ptrIjEEEEPS6_NSA_18transform_iteratorI7is_evenIjESF_NSA_11use_defaultESK_EENS0_5tupleIJNSA_16discard_iteratorISK_EESF_EEENSM_IJSG_SG_EEES6_PlJS6_EEE10hipError_tPvRmT3_T4_T5_T6_T7_T9_mT8_P12ihipStream_tbDpT10_ENKUlT_T0_E_clISt17integral_constantIbLb1EES1A_IbLb0EEEEDaS16_S17_EUlS16_E_NS1_11comp_targetILNS1_3genE3ELNS1_11target_archE908ELNS1_3gpuE7ELNS1_3repE0EEENS1_30default_config_static_selectorELNS0_4arch9wavefront6targetE1EEEvT1_,"axG",@progbits,_ZN7rocprim17ROCPRIM_400000_NS6detail17trampoline_kernelINS0_14default_configENS1_25partition_config_selectorILNS1_17partition_subalgoE1EjNS0_10empty_typeEbEEZZNS1_14partition_implILS5_1ELb0ES3_jN6thrust23THRUST_200600_302600_NS6detail15normal_iteratorINSA_10device_ptrIjEEEEPS6_NSA_18transform_iteratorI7is_evenIjESF_NSA_11use_defaultESK_EENS0_5tupleIJNSA_16discard_iteratorISK_EESF_EEENSM_IJSG_SG_EEES6_PlJS6_EEE10hipError_tPvRmT3_T4_T5_T6_T7_T9_mT8_P12ihipStream_tbDpT10_ENKUlT_T0_E_clISt17integral_constantIbLb1EES1A_IbLb0EEEEDaS16_S17_EUlS16_E_NS1_11comp_targetILNS1_3genE3ELNS1_11target_archE908ELNS1_3gpuE7ELNS1_3repE0EEENS1_30default_config_static_selectorELNS0_4arch9wavefront6targetE1EEEvT1_,comdat
	.protected	_ZN7rocprim17ROCPRIM_400000_NS6detail17trampoline_kernelINS0_14default_configENS1_25partition_config_selectorILNS1_17partition_subalgoE1EjNS0_10empty_typeEbEEZZNS1_14partition_implILS5_1ELb0ES3_jN6thrust23THRUST_200600_302600_NS6detail15normal_iteratorINSA_10device_ptrIjEEEEPS6_NSA_18transform_iteratorI7is_evenIjESF_NSA_11use_defaultESK_EENS0_5tupleIJNSA_16discard_iteratorISK_EESF_EEENSM_IJSG_SG_EEES6_PlJS6_EEE10hipError_tPvRmT3_T4_T5_T6_T7_T9_mT8_P12ihipStream_tbDpT10_ENKUlT_T0_E_clISt17integral_constantIbLb1EES1A_IbLb0EEEEDaS16_S17_EUlS16_E_NS1_11comp_targetILNS1_3genE3ELNS1_11target_archE908ELNS1_3gpuE7ELNS1_3repE0EEENS1_30default_config_static_selectorELNS0_4arch9wavefront6targetE1EEEvT1_ ; -- Begin function _ZN7rocprim17ROCPRIM_400000_NS6detail17trampoline_kernelINS0_14default_configENS1_25partition_config_selectorILNS1_17partition_subalgoE1EjNS0_10empty_typeEbEEZZNS1_14partition_implILS5_1ELb0ES3_jN6thrust23THRUST_200600_302600_NS6detail15normal_iteratorINSA_10device_ptrIjEEEEPS6_NSA_18transform_iteratorI7is_evenIjESF_NSA_11use_defaultESK_EENS0_5tupleIJNSA_16discard_iteratorISK_EESF_EEENSM_IJSG_SG_EEES6_PlJS6_EEE10hipError_tPvRmT3_T4_T5_T6_T7_T9_mT8_P12ihipStream_tbDpT10_ENKUlT_T0_E_clISt17integral_constantIbLb1EES1A_IbLb0EEEEDaS16_S17_EUlS16_E_NS1_11comp_targetILNS1_3genE3ELNS1_11target_archE908ELNS1_3gpuE7ELNS1_3repE0EEENS1_30default_config_static_selectorELNS0_4arch9wavefront6targetE1EEEvT1_
	.globl	_ZN7rocprim17ROCPRIM_400000_NS6detail17trampoline_kernelINS0_14default_configENS1_25partition_config_selectorILNS1_17partition_subalgoE1EjNS0_10empty_typeEbEEZZNS1_14partition_implILS5_1ELb0ES3_jN6thrust23THRUST_200600_302600_NS6detail15normal_iteratorINSA_10device_ptrIjEEEEPS6_NSA_18transform_iteratorI7is_evenIjESF_NSA_11use_defaultESK_EENS0_5tupleIJNSA_16discard_iteratorISK_EESF_EEENSM_IJSG_SG_EEES6_PlJS6_EEE10hipError_tPvRmT3_T4_T5_T6_T7_T9_mT8_P12ihipStream_tbDpT10_ENKUlT_T0_E_clISt17integral_constantIbLb1EES1A_IbLb0EEEEDaS16_S17_EUlS16_E_NS1_11comp_targetILNS1_3genE3ELNS1_11target_archE908ELNS1_3gpuE7ELNS1_3repE0EEENS1_30default_config_static_selectorELNS0_4arch9wavefront6targetE1EEEvT1_
	.p2align	8
	.type	_ZN7rocprim17ROCPRIM_400000_NS6detail17trampoline_kernelINS0_14default_configENS1_25partition_config_selectorILNS1_17partition_subalgoE1EjNS0_10empty_typeEbEEZZNS1_14partition_implILS5_1ELb0ES3_jN6thrust23THRUST_200600_302600_NS6detail15normal_iteratorINSA_10device_ptrIjEEEEPS6_NSA_18transform_iteratorI7is_evenIjESF_NSA_11use_defaultESK_EENS0_5tupleIJNSA_16discard_iteratorISK_EESF_EEENSM_IJSG_SG_EEES6_PlJS6_EEE10hipError_tPvRmT3_T4_T5_T6_T7_T9_mT8_P12ihipStream_tbDpT10_ENKUlT_T0_E_clISt17integral_constantIbLb1EES1A_IbLb0EEEEDaS16_S17_EUlS16_E_NS1_11comp_targetILNS1_3genE3ELNS1_11target_archE908ELNS1_3gpuE7ELNS1_3repE0EEENS1_30default_config_static_selectorELNS0_4arch9wavefront6targetE1EEEvT1_,@function
_ZN7rocprim17ROCPRIM_400000_NS6detail17trampoline_kernelINS0_14default_configENS1_25partition_config_selectorILNS1_17partition_subalgoE1EjNS0_10empty_typeEbEEZZNS1_14partition_implILS5_1ELb0ES3_jN6thrust23THRUST_200600_302600_NS6detail15normal_iteratorINSA_10device_ptrIjEEEEPS6_NSA_18transform_iteratorI7is_evenIjESF_NSA_11use_defaultESK_EENS0_5tupleIJNSA_16discard_iteratorISK_EESF_EEENSM_IJSG_SG_EEES6_PlJS6_EEE10hipError_tPvRmT3_T4_T5_T6_T7_T9_mT8_P12ihipStream_tbDpT10_ENKUlT_T0_E_clISt17integral_constantIbLb1EES1A_IbLb0EEEEDaS16_S17_EUlS16_E_NS1_11comp_targetILNS1_3genE3ELNS1_11target_archE908ELNS1_3gpuE7ELNS1_3repE0EEENS1_30default_config_static_selectorELNS0_4arch9wavefront6targetE1EEEvT1_: ; @_ZN7rocprim17ROCPRIM_400000_NS6detail17trampoline_kernelINS0_14default_configENS1_25partition_config_selectorILNS1_17partition_subalgoE1EjNS0_10empty_typeEbEEZZNS1_14partition_implILS5_1ELb0ES3_jN6thrust23THRUST_200600_302600_NS6detail15normal_iteratorINSA_10device_ptrIjEEEEPS6_NSA_18transform_iteratorI7is_evenIjESF_NSA_11use_defaultESK_EENS0_5tupleIJNSA_16discard_iteratorISK_EESF_EEENSM_IJSG_SG_EEES6_PlJS6_EEE10hipError_tPvRmT3_T4_T5_T6_T7_T9_mT8_P12ihipStream_tbDpT10_ENKUlT_T0_E_clISt17integral_constantIbLb1EES1A_IbLb0EEEEDaS16_S17_EUlS16_E_NS1_11comp_targetILNS1_3genE3ELNS1_11target_archE908ELNS1_3gpuE7ELNS1_3repE0EEENS1_30default_config_static_selectorELNS0_4arch9wavefront6targetE1EEEvT1_
; %bb.0:
	.section	.rodata,"a",@progbits
	.p2align	6, 0x0
	.amdhsa_kernel _ZN7rocprim17ROCPRIM_400000_NS6detail17trampoline_kernelINS0_14default_configENS1_25partition_config_selectorILNS1_17partition_subalgoE1EjNS0_10empty_typeEbEEZZNS1_14partition_implILS5_1ELb0ES3_jN6thrust23THRUST_200600_302600_NS6detail15normal_iteratorINSA_10device_ptrIjEEEEPS6_NSA_18transform_iteratorI7is_evenIjESF_NSA_11use_defaultESK_EENS0_5tupleIJNSA_16discard_iteratorISK_EESF_EEENSM_IJSG_SG_EEES6_PlJS6_EEE10hipError_tPvRmT3_T4_T5_T6_T7_T9_mT8_P12ihipStream_tbDpT10_ENKUlT_T0_E_clISt17integral_constantIbLb1EES1A_IbLb0EEEEDaS16_S17_EUlS16_E_NS1_11comp_targetILNS1_3genE3ELNS1_11target_archE908ELNS1_3gpuE7ELNS1_3repE0EEENS1_30default_config_static_selectorELNS0_4arch9wavefront6targetE1EEEvT1_
		.amdhsa_group_segment_fixed_size 0
		.amdhsa_private_segment_fixed_size 0
		.amdhsa_kernarg_size 136
		.amdhsa_user_sgpr_count 2
		.amdhsa_user_sgpr_dispatch_ptr 0
		.amdhsa_user_sgpr_queue_ptr 0
		.amdhsa_user_sgpr_kernarg_segment_ptr 1
		.amdhsa_user_sgpr_dispatch_id 0
		.amdhsa_user_sgpr_kernarg_preload_length 0
		.amdhsa_user_sgpr_kernarg_preload_offset 0
		.amdhsa_user_sgpr_private_segment_size 0
		.amdhsa_uses_dynamic_stack 0
		.amdhsa_enable_private_segment 0
		.amdhsa_system_sgpr_workgroup_id_x 1
		.amdhsa_system_sgpr_workgroup_id_y 0
		.amdhsa_system_sgpr_workgroup_id_z 0
		.amdhsa_system_sgpr_workgroup_info 0
		.amdhsa_system_vgpr_workitem_id 0
		.amdhsa_next_free_vgpr 1
		.amdhsa_next_free_sgpr 0
		.amdhsa_accum_offset 4
		.amdhsa_reserve_vcc 0
		.amdhsa_float_round_mode_32 0
		.amdhsa_float_round_mode_16_64 0
		.amdhsa_float_denorm_mode_32 3
		.amdhsa_float_denorm_mode_16_64 3
		.amdhsa_dx10_clamp 1
		.amdhsa_ieee_mode 1
		.amdhsa_fp16_overflow 0
		.amdhsa_tg_split 0
		.amdhsa_exception_fp_ieee_invalid_op 0
		.amdhsa_exception_fp_denorm_src 0
		.amdhsa_exception_fp_ieee_div_zero 0
		.amdhsa_exception_fp_ieee_overflow 0
		.amdhsa_exception_fp_ieee_underflow 0
		.amdhsa_exception_fp_ieee_inexact 0
		.amdhsa_exception_int_div_zero 0
	.end_amdhsa_kernel
	.section	.text._ZN7rocprim17ROCPRIM_400000_NS6detail17trampoline_kernelINS0_14default_configENS1_25partition_config_selectorILNS1_17partition_subalgoE1EjNS0_10empty_typeEbEEZZNS1_14partition_implILS5_1ELb0ES3_jN6thrust23THRUST_200600_302600_NS6detail15normal_iteratorINSA_10device_ptrIjEEEEPS6_NSA_18transform_iteratorI7is_evenIjESF_NSA_11use_defaultESK_EENS0_5tupleIJNSA_16discard_iteratorISK_EESF_EEENSM_IJSG_SG_EEES6_PlJS6_EEE10hipError_tPvRmT3_T4_T5_T6_T7_T9_mT8_P12ihipStream_tbDpT10_ENKUlT_T0_E_clISt17integral_constantIbLb1EES1A_IbLb0EEEEDaS16_S17_EUlS16_E_NS1_11comp_targetILNS1_3genE3ELNS1_11target_archE908ELNS1_3gpuE7ELNS1_3repE0EEENS1_30default_config_static_selectorELNS0_4arch9wavefront6targetE1EEEvT1_,"axG",@progbits,_ZN7rocprim17ROCPRIM_400000_NS6detail17trampoline_kernelINS0_14default_configENS1_25partition_config_selectorILNS1_17partition_subalgoE1EjNS0_10empty_typeEbEEZZNS1_14partition_implILS5_1ELb0ES3_jN6thrust23THRUST_200600_302600_NS6detail15normal_iteratorINSA_10device_ptrIjEEEEPS6_NSA_18transform_iteratorI7is_evenIjESF_NSA_11use_defaultESK_EENS0_5tupleIJNSA_16discard_iteratorISK_EESF_EEENSM_IJSG_SG_EEES6_PlJS6_EEE10hipError_tPvRmT3_T4_T5_T6_T7_T9_mT8_P12ihipStream_tbDpT10_ENKUlT_T0_E_clISt17integral_constantIbLb1EES1A_IbLb0EEEEDaS16_S17_EUlS16_E_NS1_11comp_targetILNS1_3genE3ELNS1_11target_archE908ELNS1_3gpuE7ELNS1_3repE0EEENS1_30default_config_static_selectorELNS0_4arch9wavefront6targetE1EEEvT1_,comdat
.Lfunc_end3054:
	.size	_ZN7rocprim17ROCPRIM_400000_NS6detail17trampoline_kernelINS0_14default_configENS1_25partition_config_selectorILNS1_17partition_subalgoE1EjNS0_10empty_typeEbEEZZNS1_14partition_implILS5_1ELb0ES3_jN6thrust23THRUST_200600_302600_NS6detail15normal_iteratorINSA_10device_ptrIjEEEEPS6_NSA_18transform_iteratorI7is_evenIjESF_NSA_11use_defaultESK_EENS0_5tupleIJNSA_16discard_iteratorISK_EESF_EEENSM_IJSG_SG_EEES6_PlJS6_EEE10hipError_tPvRmT3_T4_T5_T6_T7_T9_mT8_P12ihipStream_tbDpT10_ENKUlT_T0_E_clISt17integral_constantIbLb1EES1A_IbLb0EEEEDaS16_S17_EUlS16_E_NS1_11comp_targetILNS1_3genE3ELNS1_11target_archE908ELNS1_3gpuE7ELNS1_3repE0EEENS1_30default_config_static_selectorELNS0_4arch9wavefront6targetE1EEEvT1_, .Lfunc_end3054-_ZN7rocprim17ROCPRIM_400000_NS6detail17trampoline_kernelINS0_14default_configENS1_25partition_config_selectorILNS1_17partition_subalgoE1EjNS0_10empty_typeEbEEZZNS1_14partition_implILS5_1ELb0ES3_jN6thrust23THRUST_200600_302600_NS6detail15normal_iteratorINSA_10device_ptrIjEEEEPS6_NSA_18transform_iteratorI7is_evenIjESF_NSA_11use_defaultESK_EENS0_5tupleIJNSA_16discard_iteratorISK_EESF_EEENSM_IJSG_SG_EEES6_PlJS6_EEE10hipError_tPvRmT3_T4_T5_T6_T7_T9_mT8_P12ihipStream_tbDpT10_ENKUlT_T0_E_clISt17integral_constantIbLb1EES1A_IbLb0EEEEDaS16_S17_EUlS16_E_NS1_11comp_targetILNS1_3genE3ELNS1_11target_archE908ELNS1_3gpuE7ELNS1_3repE0EEENS1_30default_config_static_selectorELNS0_4arch9wavefront6targetE1EEEvT1_
                                        ; -- End function
	.section	.AMDGPU.csdata,"",@progbits
; Kernel info:
; codeLenInByte = 0
; NumSgprs: 6
; NumVgprs: 0
; NumAgprs: 0
; TotalNumVgprs: 0
; ScratchSize: 0
; MemoryBound: 0
; FloatMode: 240
; IeeeMode: 1
; LDSByteSize: 0 bytes/workgroup (compile time only)
; SGPRBlocks: 0
; VGPRBlocks: 0
; NumSGPRsForWavesPerEU: 6
; NumVGPRsForWavesPerEU: 1
; AccumOffset: 4
; Occupancy: 8
; WaveLimiterHint : 0
; COMPUTE_PGM_RSRC2:SCRATCH_EN: 0
; COMPUTE_PGM_RSRC2:USER_SGPR: 2
; COMPUTE_PGM_RSRC2:TRAP_HANDLER: 0
; COMPUTE_PGM_RSRC2:TGID_X_EN: 1
; COMPUTE_PGM_RSRC2:TGID_Y_EN: 0
; COMPUTE_PGM_RSRC2:TGID_Z_EN: 0
; COMPUTE_PGM_RSRC2:TIDIG_COMP_CNT: 0
; COMPUTE_PGM_RSRC3_GFX90A:ACCUM_OFFSET: 0
; COMPUTE_PGM_RSRC3_GFX90A:TG_SPLIT: 0
	.section	.text._ZN7rocprim17ROCPRIM_400000_NS6detail17trampoline_kernelINS0_14default_configENS1_25partition_config_selectorILNS1_17partition_subalgoE1EjNS0_10empty_typeEbEEZZNS1_14partition_implILS5_1ELb0ES3_jN6thrust23THRUST_200600_302600_NS6detail15normal_iteratorINSA_10device_ptrIjEEEEPS6_NSA_18transform_iteratorI7is_evenIjESF_NSA_11use_defaultESK_EENS0_5tupleIJNSA_16discard_iteratorISK_EESF_EEENSM_IJSG_SG_EEES6_PlJS6_EEE10hipError_tPvRmT3_T4_T5_T6_T7_T9_mT8_P12ihipStream_tbDpT10_ENKUlT_T0_E_clISt17integral_constantIbLb1EES1A_IbLb0EEEEDaS16_S17_EUlS16_E_NS1_11comp_targetILNS1_3genE2ELNS1_11target_archE906ELNS1_3gpuE6ELNS1_3repE0EEENS1_30default_config_static_selectorELNS0_4arch9wavefront6targetE1EEEvT1_,"axG",@progbits,_ZN7rocprim17ROCPRIM_400000_NS6detail17trampoline_kernelINS0_14default_configENS1_25partition_config_selectorILNS1_17partition_subalgoE1EjNS0_10empty_typeEbEEZZNS1_14partition_implILS5_1ELb0ES3_jN6thrust23THRUST_200600_302600_NS6detail15normal_iteratorINSA_10device_ptrIjEEEEPS6_NSA_18transform_iteratorI7is_evenIjESF_NSA_11use_defaultESK_EENS0_5tupleIJNSA_16discard_iteratorISK_EESF_EEENSM_IJSG_SG_EEES6_PlJS6_EEE10hipError_tPvRmT3_T4_T5_T6_T7_T9_mT8_P12ihipStream_tbDpT10_ENKUlT_T0_E_clISt17integral_constantIbLb1EES1A_IbLb0EEEEDaS16_S17_EUlS16_E_NS1_11comp_targetILNS1_3genE2ELNS1_11target_archE906ELNS1_3gpuE6ELNS1_3repE0EEENS1_30default_config_static_selectorELNS0_4arch9wavefront6targetE1EEEvT1_,comdat
	.protected	_ZN7rocprim17ROCPRIM_400000_NS6detail17trampoline_kernelINS0_14default_configENS1_25partition_config_selectorILNS1_17partition_subalgoE1EjNS0_10empty_typeEbEEZZNS1_14partition_implILS5_1ELb0ES3_jN6thrust23THRUST_200600_302600_NS6detail15normal_iteratorINSA_10device_ptrIjEEEEPS6_NSA_18transform_iteratorI7is_evenIjESF_NSA_11use_defaultESK_EENS0_5tupleIJNSA_16discard_iteratorISK_EESF_EEENSM_IJSG_SG_EEES6_PlJS6_EEE10hipError_tPvRmT3_T4_T5_T6_T7_T9_mT8_P12ihipStream_tbDpT10_ENKUlT_T0_E_clISt17integral_constantIbLb1EES1A_IbLb0EEEEDaS16_S17_EUlS16_E_NS1_11comp_targetILNS1_3genE2ELNS1_11target_archE906ELNS1_3gpuE6ELNS1_3repE0EEENS1_30default_config_static_selectorELNS0_4arch9wavefront6targetE1EEEvT1_ ; -- Begin function _ZN7rocprim17ROCPRIM_400000_NS6detail17trampoline_kernelINS0_14default_configENS1_25partition_config_selectorILNS1_17partition_subalgoE1EjNS0_10empty_typeEbEEZZNS1_14partition_implILS5_1ELb0ES3_jN6thrust23THRUST_200600_302600_NS6detail15normal_iteratorINSA_10device_ptrIjEEEEPS6_NSA_18transform_iteratorI7is_evenIjESF_NSA_11use_defaultESK_EENS0_5tupleIJNSA_16discard_iteratorISK_EESF_EEENSM_IJSG_SG_EEES6_PlJS6_EEE10hipError_tPvRmT3_T4_T5_T6_T7_T9_mT8_P12ihipStream_tbDpT10_ENKUlT_T0_E_clISt17integral_constantIbLb1EES1A_IbLb0EEEEDaS16_S17_EUlS16_E_NS1_11comp_targetILNS1_3genE2ELNS1_11target_archE906ELNS1_3gpuE6ELNS1_3repE0EEENS1_30default_config_static_selectorELNS0_4arch9wavefront6targetE1EEEvT1_
	.globl	_ZN7rocprim17ROCPRIM_400000_NS6detail17trampoline_kernelINS0_14default_configENS1_25partition_config_selectorILNS1_17partition_subalgoE1EjNS0_10empty_typeEbEEZZNS1_14partition_implILS5_1ELb0ES3_jN6thrust23THRUST_200600_302600_NS6detail15normal_iteratorINSA_10device_ptrIjEEEEPS6_NSA_18transform_iteratorI7is_evenIjESF_NSA_11use_defaultESK_EENS0_5tupleIJNSA_16discard_iteratorISK_EESF_EEENSM_IJSG_SG_EEES6_PlJS6_EEE10hipError_tPvRmT3_T4_T5_T6_T7_T9_mT8_P12ihipStream_tbDpT10_ENKUlT_T0_E_clISt17integral_constantIbLb1EES1A_IbLb0EEEEDaS16_S17_EUlS16_E_NS1_11comp_targetILNS1_3genE2ELNS1_11target_archE906ELNS1_3gpuE6ELNS1_3repE0EEENS1_30default_config_static_selectorELNS0_4arch9wavefront6targetE1EEEvT1_
	.p2align	8
	.type	_ZN7rocprim17ROCPRIM_400000_NS6detail17trampoline_kernelINS0_14default_configENS1_25partition_config_selectorILNS1_17partition_subalgoE1EjNS0_10empty_typeEbEEZZNS1_14partition_implILS5_1ELb0ES3_jN6thrust23THRUST_200600_302600_NS6detail15normal_iteratorINSA_10device_ptrIjEEEEPS6_NSA_18transform_iteratorI7is_evenIjESF_NSA_11use_defaultESK_EENS0_5tupleIJNSA_16discard_iteratorISK_EESF_EEENSM_IJSG_SG_EEES6_PlJS6_EEE10hipError_tPvRmT3_T4_T5_T6_T7_T9_mT8_P12ihipStream_tbDpT10_ENKUlT_T0_E_clISt17integral_constantIbLb1EES1A_IbLb0EEEEDaS16_S17_EUlS16_E_NS1_11comp_targetILNS1_3genE2ELNS1_11target_archE906ELNS1_3gpuE6ELNS1_3repE0EEENS1_30default_config_static_selectorELNS0_4arch9wavefront6targetE1EEEvT1_,@function
_ZN7rocprim17ROCPRIM_400000_NS6detail17trampoline_kernelINS0_14default_configENS1_25partition_config_selectorILNS1_17partition_subalgoE1EjNS0_10empty_typeEbEEZZNS1_14partition_implILS5_1ELb0ES3_jN6thrust23THRUST_200600_302600_NS6detail15normal_iteratorINSA_10device_ptrIjEEEEPS6_NSA_18transform_iteratorI7is_evenIjESF_NSA_11use_defaultESK_EENS0_5tupleIJNSA_16discard_iteratorISK_EESF_EEENSM_IJSG_SG_EEES6_PlJS6_EEE10hipError_tPvRmT3_T4_T5_T6_T7_T9_mT8_P12ihipStream_tbDpT10_ENKUlT_T0_E_clISt17integral_constantIbLb1EES1A_IbLb0EEEEDaS16_S17_EUlS16_E_NS1_11comp_targetILNS1_3genE2ELNS1_11target_archE906ELNS1_3gpuE6ELNS1_3repE0EEENS1_30default_config_static_selectorELNS0_4arch9wavefront6targetE1EEEvT1_: ; @_ZN7rocprim17ROCPRIM_400000_NS6detail17trampoline_kernelINS0_14default_configENS1_25partition_config_selectorILNS1_17partition_subalgoE1EjNS0_10empty_typeEbEEZZNS1_14partition_implILS5_1ELb0ES3_jN6thrust23THRUST_200600_302600_NS6detail15normal_iteratorINSA_10device_ptrIjEEEEPS6_NSA_18transform_iteratorI7is_evenIjESF_NSA_11use_defaultESK_EENS0_5tupleIJNSA_16discard_iteratorISK_EESF_EEENSM_IJSG_SG_EEES6_PlJS6_EEE10hipError_tPvRmT3_T4_T5_T6_T7_T9_mT8_P12ihipStream_tbDpT10_ENKUlT_T0_E_clISt17integral_constantIbLb1EES1A_IbLb0EEEEDaS16_S17_EUlS16_E_NS1_11comp_targetILNS1_3genE2ELNS1_11target_archE906ELNS1_3gpuE6ELNS1_3repE0EEENS1_30default_config_static_selectorELNS0_4arch9wavefront6targetE1EEEvT1_
; %bb.0:
	.section	.rodata,"a",@progbits
	.p2align	6, 0x0
	.amdhsa_kernel _ZN7rocprim17ROCPRIM_400000_NS6detail17trampoline_kernelINS0_14default_configENS1_25partition_config_selectorILNS1_17partition_subalgoE1EjNS0_10empty_typeEbEEZZNS1_14partition_implILS5_1ELb0ES3_jN6thrust23THRUST_200600_302600_NS6detail15normal_iteratorINSA_10device_ptrIjEEEEPS6_NSA_18transform_iteratorI7is_evenIjESF_NSA_11use_defaultESK_EENS0_5tupleIJNSA_16discard_iteratorISK_EESF_EEENSM_IJSG_SG_EEES6_PlJS6_EEE10hipError_tPvRmT3_T4_T5_T6_T7_T9_mT8_P12ihipStream_tbDpT10_ENKUlT_T0_E_clISt17integral_constantIbLb1EES1A_IbLb0EEEEDaS16_S17_EUlS16_E_NS1_11comp_targetILNS1_3genE2ELNS1_11target_archE906ELNS1_3gpuE6ELNS1_3repE0EEENS1_30default_config_static_selectorELNS0_4arch9wavefront6targetE1EEEvT1_
		.amdhsa_group_segment_fixed_size 0
		.amdhsa_private_segment_fixed_size 0
		.amdhsa_kernarg_size 136
		.amdhsa_user_sgpr_count 2
		.amdhsa_user_sgpr_dispatch_ptr 0
		.amdhsa_user_sgpr_queue_ptr 0
		.amdhsa_user_sgpr_kernarg_segment_ptr 1
		.amdhsa_user_sgpr_dispatch_id 0
		.amdhsa_user_sgpr_kernarg_preload_length 0
		.amdhsa_user_sgpr_kernarg_preload_offset 0
		.amdhsa_user_sgpr_private_segment_size 0
		.amdhsa_uses_dynamic_stack 0
		.amdhsa_enable_private_segment 0
		.amdhsa_system_sgpr_workgroup_id_x 1
		.amdhsa_system_sgpr_workgroup_id_y 0
		.amdhsa_system_sgpr_workgroup_id_z 0
		.amdhsa_system_sgpr_workgroup_info 0
		.amdhsa_system_vgpr_workitem_id 0
		.amdhsa_next_free_vgpr 1
		.amdhsa_next_free_sgpr 0
		.amdhsa_accum_offset 4
		.amdhsa_reserve_vcc 0
		.amdhsa_float_round_mode_32 0
		.amdhsa_float_round_mode_16_64 0
		.amdhsa_float_denorm_mode_32 3
		.amdhsa_float_denorm_mode_16_64 3
		.amdhsa_dx10_clamp 1
		.amdhsa_ieee_mode 1
		.amdhsa_fp16_overflow 0
		.amdhsa_tg_split 0
		.amdhsa_exception_fp_ieee_invalid_op 0
		.amdhsa_exception_fp_denorm_src 0
		.amdhsa_exception_fp_ieee_div_zero 0
		.amdhsa_exception_fp_ieee_overflow 0
		.amdhsa_exception_fp_ieee_underflow 0
		.amdhsa_exception_fp_ieee_inexact 0
		.amdhsa_exception_int_div_zero 0
	.end_amdhsa_kernel
	.section	.text._ZN7rocprim17ROCPRIM_400000_NS6detail17trampoline_kernelINS0_14default_configENS1_25partition_config_selectorILNS1_17partition_subalgoE1EjNS0_10empty_typeEbEEZZNS1_14partition_implILS5_1ELb0ES3_jN6thrust23THRUST_200600_302600_NS6detail15normal_iteratorINSA_10device_ptrIjEEEEPS6_NSA_18transform_iteratorI7is_evenIjESF_NSA_11use_defaultESK_EENS0_5tupleIJNSA_16discard_iteratorISK_EESF_EEENSM_IJSG_SG_EEES6_PlJS6_EEE10hipError_tPvRmT3_T4_T5_T6_T7_T9_mT8_P12ihipStream_tbDpT10_ENKUlT_T0_E_clISt17integral_constantIbLb1EES1A_IbLb0EEEEDaS16_S17_EUlS16_E_NS1_11comp_targetILNS1_3genE2ELNS1_11target_archE906ELNS1_3gpuE6ELNS1_3repE0EEENS1_30default_config_static_selectorELNS0_4arch9wavefront6targetE1EEEvT1_,"axG",@progbits,_ZN7rocprim17ROCPRIM_400000_NS6detail17trampoline_kernelINS0_14default_configENS1_25partition_config_selectorILNS1_17partition_subalgoE1EjNS0_10empty_typeEbEEZZNS1_14partition_implILS5_1ELb0ES3_jN6thrust23THRUST_200600_302600_NS6detail15normal_iteratorINSA_10device_ptrIjEEEEPS6_NSA_18transform_iteratorI7is_evenIjESF_NSA_11use_defaultESK_EENS0_5tupleIJNSA_16discard_iteratorISK_EESF_EEENSM_IJSG_SG_EEES6_PlJS6_EEE10hipError_tPvRmT3_T4_T5_T6_T7_T9_mT8_P12ihipStream_tbDpT10_ENKUlT_T0_E_clISt17integral_constantIbLb1EES1A_IbLb0EEEEDaS16_S17_EUlS16_E_NS1_11comp_targetILNS1_3genE2ELNS1_11target_archE906ELNS1_3gpuE6ELNS1_3repE0EEENS1_30default_config_static_selectorELNS0_4arch9wavefront6targetE1EEEvT1_,comdat
.Lfunc_end3055:
	.size	_ZN7rocprim17ROCPRIM_400000_NS6detail17trampoline_kernelINS0_14default_configENS1_25partition_config_selectorILNS1_17partition_subalgoE1EjNS0_10empty_typeEbEEZZNS1_14partition_implILS5_1ELb0ES3_jN6thrust23THRUST_200600_302600_NS6detail15normal_iteratorINSA_10device_ptrIjEEEEPS6_NSA_18transform_iteratorI7is_evenIjESF_NSA_11use_defaultESK_EENS0_5tupleIJNSA_16discard_iteratorISK_EESF_EEENSM_IJSG_SG_EEES6_PlJS6_EEE10hipError_tPvRmT3_T4_T5_T6_T7_T9_mT8_P12ihipStream_tbDpT10_ENKUlT_T0_E_clISt17integral_constantIbLb1EES1A_IbLb0EEEEDaS16_S17_EUlS16_E_NS1_11comp_targetILNS1_3genE2ELNS1_11target_archE906ELNS1_3gpuE6ELNS1_3repE0EEENS1_30default_config_static_selectorELNS0_4arch9wavefront6targetE1EEEvT1_, .Lfunc_end3055-_ZN7rocprim17ROCPRIM_400000_NS6detail17trampoline_kernelINS0_14default_configENS1_25partition_config_selectorILNS1_17partition_subalgoE1EjNS0_10empty_typeEbEEZZNS1_14partition_implILS5_1ELb0ES3_jN6thrust23THRUST_200600_302600_NS6detail15normal_iteratorINSA_10device_ptrIjEEEEPS6_NSA_18transform_iteratorI7is_evenIjESF_NSA_11use_defaultESK_EENS0_5tupleIJNSA_16discard_iteratorISK_EESF_EEENSM_IJSG_SG_EEES6_PlJS6_EEE10hipError_tPvRmT3_T4_T5_T6_T7_T9_mT8_P12ihipStream_tbDpT10_ENKUlT_T0_E_clISt17integral_constantIbLb1EES1A_IbLb0EEEEDaS16_S17_EUlS16_E_NS1_11comp_targetILNS1_3genE2ELNS1_11target_archE906ELNS1_3gpuE6ELNS1_3repE0EEENS1_30default_config_static_selectorELNS0_4arch9wavefront6targetE1EEEvT1_
                                        ; -- End function
	.section	.AMDGPU.csdata,"",@progbits
; Kernel info:
; codeLenInByte = 0
; NumSgprs: 6
; NumVgprs: 0
; NumAgprs: 0
; TotalNumVgprs: 0
; ScratchSize: 0
; MemoryBound: 0
; FloatMode: 240
; IeeeMode: 1
; LDSByteSize: 0 bytes/workgroup (compile time only)
; SGPRBlocks: 0
; VGPRBlocks: 0
; NumSGPRsForWavesPerEU: 6
; NumVGPRsForWavesPerEU: 1
; AccumOffset: 4
; Occupancy: 8
; WaveLimiterHint : 0
; COMPUTE_PGM_RSRC2:SCRATCH_EN: 0
; COMPUTE_PGM_RSRC2:USER_SGPR: 2
; COMPUTE_PGM_RSRC2:TRAP_HANDLER: 0
; COMPUTE_PGM_RSRC2:TGID_X_EN: 1
; COMPUTE_PGM_RSRC2:TGID_Y_EN: 0
; COMPUTE_PGM_RSRC2:TGID_Z_EN: 0
; COMPUTE_PGM_RSRC2:TIDIG_COMP_CNT: 0
; COMPUTE_PGM_RSRC3_GFX90A:ACCUM_OFFSET: 0
; COMPUTE_PGM_RSRC3_GFX90A:TG_SPLIT: 0
	.section	.text._ZN7rocprim17ROCPRIM_400000_NS6detail17trampoline_kernelINS0_14default_configENS1_25partition_config_selectorILNS1_17partition_subalgoE1EjNS0_10empty_typeEbEEZZNS1_14partition_implILS5_1ELb0ES3_jN6thrust23THRUST_200600_302600_NS6detail15normal_iteratorINSA_10device_ptrIjEEEEPS6_NSA_18transform_iteratorI7is_evenIjESF_NSA_11use_defaultESK_EENS0_5tupleIJNSA_16discard_iteratorISK_EESF_EEENSM_IJSG_SG_EEES6_PlJS6_EEE10hipError_tPvRmT3_T4_T5_T6_T7_T9_mT8_P12ihipStream_tbDpT10_ENKUlT_T0_E_clISt17integral_constantIbLb1EES1A_IbLb0EEEEDaS16_S17_EUlS16_E_NS1_11comp_targetILNS1_3genE10ELNS1_11target_archE1200ELNS1_3gpuE4ELNS1_3repE0EEENS1_30default_config_static_selectorELNS0_4arch9wavefront6targetE1EEEvT1_,"axG",@progbits,_ZN7rocprim17ROCPRIM_400000_NS6detail17trampoline_kernelINS0_14default_configENS1_25partition_config_selectorILNS1_17partition_subalgoE1EjNS0_10empty_typeEbEEZZNS1_14partition_implILS5_1ELb0ES3_jN6thrust23THRUST_200600_302600_NS6detail15normal_iteratorINSA_10device_ptrIjEEEEPS6_NSA_18transform_iteratorI7is_evenIjESF_NSA_11use_defaultESK_EENS0_5tupleIJNSA_16discard_iteratorISK_EESF_EEENSM_IJSG_SG_EEES6_PlJS6_EEE10hipError_tPvRmT3_T4_T5_T6_T7_T9_mT8_P12ihipStream_tbDpT10_ENKUlT_T0_E_clISt17integral_constantIbLb1EES1A_IbLb0EEEEDaS16_S17_EUlS16_E_NS1_11comp_targetILNS1_3genE10ELNS1_11target_archE1200ELNS1_3gpuE4ELNS1_3repE0EEENS1_30default_config_static_selectorELNS0_4arch9wavefront6targetE1EEEvT1_,comdat
	.protected	_ZN7rocprim17ROCPRIM_400000_NS6detail17trampoline_kernelINS0_14default_configENS1_25partition_config_selectorILNS1_17partition_subalgoE1EjNS0_10empty_typeEbEEZZNS1_14partition_implILS5_1ELb0ES3_jN6thrust23THRUST_200600_302600_NS6detail15normal_iteratorINSA_10device_ptrIjEEEEPS6_NSA_18transform_iteratorI7is_evenIjESF_NSA_11use_defaultESK_EENS0_5tupleIJNSA_16discard_iteratorISK_EESF_EEENSM_IJSG_SG_EEES6_PlJS6_EEE10hipError_tPvRmT3_T4_T5_T6_T7_T9_mT8_P12ihipStream_tbDpT10_ENKUlT_T0_E_clISt17integral_constantIbLb1EES1A_IbLb0EEEEDaS16_S17_EUlS16_E_NS1_11comp_targetILNS1_3genE10ELNS1_11target_archE1200ELNS1_3gpuE4ELNS1_3repE0EEENS1_30default_config_static_selectorELNS0_4arch9wavefront6targetE1EEEvT1_ ; -- Begin function _ZN7rocprim17ROCPRIM_400000_NS6detail17trampoline_kernelINS0_14default_configENS1_25partition_config_selectorILNS1_17partition_subalgoE1EjNS0_10empty_typeEbEEZZNS1_14partition_implILS5_1ELb0ES3_jN6thrust23THRUST_200600_302600_NS6detail15normal_iteratorINSA_10device_ptrIjEEEEPS6_NSA_18transform_iteratorI7is_evenIjESF_NSA_11use_defaultESK_EENS0_5tupleIJNSA_16discard_iteratorISK_EESF_EEENSM_IJSG_SG_EEES6_PlJS6_EEE10hipError_tPvRmT3_T4_T5_T6_T7_T9_mT8_P12ihipStream_tbDpT10_ENKUlT_T0_E_clISt17integral_constantIbLb1EES1A_IbLb0EEEEDaS16_S17_EUlS16_E_NS1_11comp_targetILNS1_3genE10ELNS1_11target_archE1200ELNS1_3gpuE4ELNS1_3repE0EEENS1_30default_config_static_selectorELNS0_4arch9wavefront6targetE1EEEvT1_
	.globl	_ZN7rocprim17ROCPRIM_400000_NS6detail17trampoline_kernelINS0_14default_configENS1_25partition_config_selectorILNS1_17partition_subalgoE1EjNS0_10empty_typeEbEEZZNS1_14partition_implILS5_1ELb0ES3_jN6thrust23THRUST_200600_302600_NS6detail15normal_iteratorINSA_10device_ptrIjEEEEPS6_NSA_18transform_iteratorI7is_evenIjESF_NSA_11use_defaultESK_EENS0_5tupleIJNSA_16discard_iteratorISK_EESF_EEENSM_IJSG_SG_EEES6_PlJS6_EEE10hipError_tPvRmT3_T4_T5_T6_T7_T9_mT8_P12ihipStream_tbDpT10_ENKUlT_T0_E_clISt17integral_constantIbLb1EES1A_IbLb0EEEEDaS16_S17_EUlS16_E_NS1_11comp_targetILNS1_3genE10ELNS1_11target_archE1200ELNS1_3gpuE4ELNS1_3repE0EEENS1_30default_config_static_selectorELNS0_4arch9wavefront6targetE1EEEvT1_
	.p2align	8
	.type	_ZN7rocprim17ROCPRIM_400000_NS6detail17trampoline_kernelINS0_14default_configENS1_25partition_config_selectorILNS1_17partition_subalgoE1EjNS0_10empty_typeEbEEZZNS1_14partition_implILS5_1ELb0ES3_jN6thrust23THRUST_200600_302600_NS6detail15normal_iteratorINSA_10device_ptrIjEEEEPS6_NSA_18transform_iteratorI7is_evenIjESF_NSA_11use_defaultESK_EENS0_5tupleIJNSA_16discard_iteratorISK_EESF_EEENSM_IJSG_SG_EEES6_PlJS6_EEE10hipError_tPvRmT3_T4_T5_T6_T7_T9_mT8_P12ihipStream_tbDpT10_ENKUlT_T0_E_clISt17integral_constantIbLb1EES1A_IbLb0EEEEDaS16_S17_EUlS16_E_NS1_11comp_targetILNS1_3genE10ELNS1_11target_archE1200ELNS1_3gpuE4ELNS1_3repE0EEENS1_30default_config_static_selectorELNS0_4arch9wavefront6targetE1EEEvT1_,@function
_ZN7rocprim17ROCPRIM_400000_NS6detail17trampoline_kernelINS0_14default_configENS1_25partition_config_selectorILNS1_17partition_subalgoE1EjNS0_10empty_typeEbEEZZNS1_14partition_implILS5_1ELb0ES3_jN6thrust23THRUST_200600_302600_NS6detail15normal_iteratorINSA_10device_ptrIjEEEEPS6_NSA_18transform_iteratorI7is_evenIjESF_NSA_11use_defaultESK_EENS0_5tupleIJNSA_16discard_iteratorISK_EESF_EEENSM_IJSG_SG_EEES6_PlJS6_EEE10hipError_tPvRmT3_T4_T5_T6_T7_T9_mT8_P12ihipStream_tbDpT10_ENKUlT_T0_E_clISt17integral_constantIbLb1EES1A_IbLb0EEEEDaS16_S17_EUlS16_E_NS1_11comp_targetILNS1_3genE10ELNS1_11target_archE1200ELNS1_3gpuE4ELNS1_3repE0EEENS1_30default_config_static_selectorELNS0_4arch9wavefront6targetE1EEEvT1_: ; @_ZN7rocprim17ROCPRIM_400000_NS6detail17trampoline_kernelINS0_14default_configENS1_25partition_config_selectorILNS1_17partition_subalgoE1EjNS0_10empty_typeEbEEZZNS1_14partition_implILS5_1ELb0ES3_jN6thrust23THRUST_200600_302600_NS6detail15normal_iteratorINSA_10device_ptrIjEEEEPS6_NSA_18transform_iteratorI7is_evenIjESF_NSA_11use_defaultESK_EENS0_5tupleIJNSA_16discard_iteratorISK_EESF_EEENSM_IJSG_SG_EEES6_PlJS6_EEE10hipError_tPvRmT3_T4_T5_T6_T7_T9_mT8_P12ihipStream_tbDpT10_ENKUlT_T0_E_clISt17integral_constantIbLb1EES1A_IbLb0EEEEDaS16_S17_EUlS16_E_NS1_11comp_targetILNS1_3genE10ELNS1_11target_archE1200ELNS1_3gpuE4ELNS1_3repE0EEENS1_30default_config_static_selectorELNS0_4arch9wavefront6targetE1EEEvT1_
; %bb.0:
	.section	.rodata,"a",@progbits
	.p2align	6, 0x0
	.amdhsa_kernel _ZN7rocprim17ROCPRIM_400000_NS6detail17trampoline_kernelINS0_14default_configENS1_25partition_config_selectorILNS1_17partition_subalgoE1EjNS0_10empty_typeEbEEZZNS1_14partition_implILS5_1ELb0ES3_jN6thrust23THRUST_200600_302600_NS6detail15normal_iteratorINSA_10device_ptrIjEEEEPS6_NSA_18transform_iteratorI7is_evenIjESF_NSA_11use_defaultESK_EENS0_5tupleIJNSA_16discard_iteratorISK_EESF_EEENSM_IJSG_SG_EEES6_PlJS6_EEE10hipError_tPvRmT3_T4_T5_T6_T7_T9_mT8_P12ihipStream_tbDpT10_ENKUlT_T0_E_clISt17integral_constantIbLb1EES1A_IbLb0EEEEDaS16_S17_EUlS16_E_NS1_11comp_targetILNS1_3genE10ELNS1_11target_archE1200ELNS1_3gpuE4ELNS1_3repE0EEENS1_30default_config_static_selectorELNS0_4arch9wavefront6targetE1EEEvT1_
		.amdhsa_group_segment_fixed_size 0
		.amdhsa_private_segment_fixed_size 0
		.amdhsa_kernarg_size 136
		.amdhsa_user_sgpr_count 2
		.amdhsa_user_sgpr_dispatch_ptr 0
		.amdhsa_user_sgpr_queue_ptr 0
		.amdhsa_user_sgpr_kernarg_segment_ptr 1
		.amdhsa_user_sgpr_dispatch_id 0
		.amdhsa_user_sgpr_kernarg_preload_length 0
		.amdhsa_user_sgpr_kernarg_preload_offset 0
		.amdhsa_user_sgpr_private_segment_size 0
		.amdhsa_uses_dynamic_stack 0
		.amdhsa_enable_private_segment 0
		.amdhsa_system_sgpr_workgroup_id_x 1
		.amdhsa_system_sgpr_workgroup_id_y 0
		.amdhsa_system_sgpr_workgroup_id_z 0
		.amdhsa_system_sgpr_workgroup_info 0
		.amdhsa_system_vgpr_workitem_id 0
		.amdhsa_next_free_vgpr 1
		.amdhsa_next_free_sgpr 0
		.amdhsa_accum_offset 4
		.amdhsa_reserve_vcc 0
		.amdhsa_float_round_mode_32 0
		.amdhsa_float_round_mode_16_64 0
		.amdhsa_float_denorm_mode_32 3
		.amdhsa_float_denorm_mode_16_64 3
		.amdhsa_dx10_clamp 1
		.amdhsa_ieee_mode 1
		.amdhsa_fp16_overflow 0
		.amdhsa_tg_split 0
		.amdhsa_exception_fp_ieee_invalid_op 0
		.amdhsa_exception_fp_denorm_src 0
		.amdhsa_exception_fp_ieee_div_zero 0
		.amdhsa_exception_fp_ieee_overflow 0
		.amdhsa_exception_fp_ieee_underflow 0
		.amdhsa_exception_fp_ieee_inexact 0
		.amdhsa_exception_int_div_zero 0
	.end_amdhsa_kernel
	.section	.text._ZN7rocprim17ROCPRIM_400000_NS6detail17trampoline_kernelINS0_14default_configENS1_25partition_config_selectorILNS1_17partition_subalgoE1EjNS0_10empty_typeEbEEZZNS1_14partition_implILS5_1ELb0ES3_jN6thrust23THRUST_200600_302600_NS6detail15normal_iteratorINSA_10device_ptrIjEEEEPS6_NSA_18transform_iteratorI7is_evenIjESF_NSA_11use_defaultESK_EENS0_5tupleIJNSA_16discard_iteratorISK_EESF_EEENSM_IJSG_SG_EEES6_PlJS6_EEE10hipError_tPvRmT3_T4_T5_T6_T7_T9_mT8_P12ihipStream_tbDpT10_ENKUlT_T0_E_clISt17integral_constantIbLb1EES1A_IbLb0EEEEDaS16_S17_EUlS16_E_NS1_11comp_targetILNS1_3genE10ELNS1_11target_archE1200ELNS1_3gpuE4ELNS1_3repE0EEENS1_30default_config_static_selectorELNS0_4arch9wavefront6targetE1EEEvT1_,"axG",@progbits,_ZN7rocprim17ROCPRIM_400000_NS6detail17trampoline_kernelINS0_14default_configENS1_25partition_config_selectorILNS1_17partition_subalgoE1EjNS0_10empty_typeEbEEZZNS1_14partition_implILS5_1ELb0ES3_jN6thrust23THRUST_200600_302600_NS6detail15normal_iteratorINSA_10device_ptrIjEEEEPS6_NSA_18transform_iteratorI7is_evenIjESF_NSA_11use_defaultESK_EENS0_5tupleIJNSA_16discard_iteratorISK_EESF_EEENSM_IJSG_SG_EEES6_PlJS6_EEE10hipError_tPvRmT3_T4_T5_T6_T7_T9_mT8_P12ihipStream_tbDpT10_ENKUlT_T0_E_clISt17integral_constantIbLb1EES1A_IbLb0EEEEDaS16_S17_EUlS16_E_NS1_11comp_targetILNS1_3genE10ELNS1_11target_archE1200ELNS1_3gpuE4ELNS1_3repE0EEENS1_30default_config_static_selectorELNS0_4arch9wavefront6targetE1EEEvT1_,comdat
.Lfunc_end3056:
	.size	_ZN7rocprim17ROCPRIM_400000_NS6detail17trampoline_kernelINS0_14default_configENS1_25partition_config_selectorILNS1_17partition_subalgoE1EjNS0_10empty_typeEbEEZZNS1_14partition_implILS5_1ELb0ES3_jN6thrust23THRUST_200600_302600_NS6detail15normal_iteratorINSA_10device_ptrIjEEEEPS6_NSA_18transform_iteratorI7is_evenIjESF_NSA_11use_defaultESK_EENS0_5tupleIJNSA_16discard_iteratorISK_EESF_EEENSM_IJSG_SG_EEES6_PlJS6_EEE10hipError_tPvRmT3_T4_T5_T6_T7_T9_mT8_P12ihipStream_tbDpT10_ENKUlT_T0_E_clISt17integral_constantIbLb1EES1A_IbLb0EEEEDaS16_S17_EUlS16_E_NS1_11comp_targetILNS1_3genE10ELNS1_11target_archE1200ELNS1_3gpuE4ELNS1_3repE0EEENS1_30default_config_static_selectorELNS0_4arch9wavefront6targetE1EEEvT1_, .Lfunc_end3056-_ZN7rocprim17ROCPRIM_400000_NS6detail17trampoline_kernelINS0_14default_configENS1_25partition_config_selectorILNS1_17partition_subalgoE1EjNS0_10empty_typeEbEEZZNS1_14partition_implILS5_1ELb0ES3_jN6thrust23THRUST_200600_302600_NS6detail15normal_iteratorINSA_10device_ptrIjEEEEPS6_NSA_18transform_iteratorI7is_evenIjESF_NSA_11use_defaultESK_EENS0_5tupleIJNSA_16discard_iteratorISK_EESF_EEENSM_IJSG_SG_EEES6_PlJS6_EEE10hipError_tPvRmT3_T4_T5_T6_T7_T9_mT8_P12ihipStream_tbDpT10_ENKUlT_T0_E_clISt17integral_constantIbLb1EES1A_IbLb0EEEEDaS16_S17_EUlS16_E_NS1_11comp_targetILNS1_3genE10ELNS1_11target_archE1200ELNS1_3gpuE4ELNS1_3repE0EEENS1_30default_config_static_selectorELNS0_4arch9wavefront6targetE1EEEvT1_
                                        ; -- End function
	.section	.AMDGPU.csdata,"",@progbits
; Kernel info:
; codeLenInByte = 0
; NumSgprs: 6
; NumVgprs: 0
; NumAgprs: 0
; TotalNumVgprs: 0
; ScratchSize: 0
; MemoryBound: 0
; FloatMode: 240
; IeeeMode: 1
; LDSByteSize: 0 bytes/workgroup (compile time only)
; SGPRBlocks: 0
; VGPRBlocks: 0
; NumSGPRsForWavesPerEU: 6
; NumVGPRsForWavesPerEU: 1
; AccumOffset: 4
; Occupancy: 8
; WaveLimiterHint : 0
; COMPUTE_PGM_RSRC2:SCRATCH_EN: 0
; COMPUTE_PGM_RSRC2:USER_SGPR: 2
; COMPUTE_PGM_RSRC2:TRAP_HANDLER: 0
; COMPUTE_PGM_RSRC2:TGID_X_EN: 1
; COMPUTE_PGM_RSRC2:TGID_Y_EN: 0
; COMPUTE_PGM_RSRC2:TGID_Z_EN: 0
; COMPUTE_PGM_RSRC2:TIDIG_COMP_CNT: 0
; COMPUTE_PGM_RSRC3_GFX90A:ACCUM_OFFSET: 0
; COMPUTE_PGM_RSRC3_GFX90A:TG_SPLIT: 0
	.section	.text._ZN7rocprim17ROCPRIM_400000_NS6detail17trampoline_kernelINS0_14default_configENS1_25partition_config_selectorILNS1_17partition_subalgoE1EjNS0_10empty_typeEbEEZZNS1_14partition_implILS5_1ELb0ES3_jN6thrust23THRUST_200600_302600_NS6detail15normal_iteratorINSA_10device_ptrIjEEEEPS6_NSA_18transform_iteratorI7is_evenIjESF_NSA_11use_defaultESK_EENS0_5tupleIJNSA_16discard_iteratorISK_EESF_EEENSM_IJSG_SG_EEES6_PlJS6_EEE10hipError_tPvRmT3_T4_T5_T6_T7_T9_mT8_P12ihipStream_tbDpT10_ENKUlT_T0_E_clISt17integral_constantIbLb1EES1A_IbLb0EEEEDaS16_S17_EUlS16_E_NS1_11comp_targetILNS1_3genE9ELNS1_11target_archE1100ELNS1_3gpuE3ELNS1_3repE0EEENS1_30default_config_static_selectorELNS0_4arch9wavefront6targetE1EEEvT1_,"axG",@progbits,_ZN7rocprim17ROCPRIM_400000_NS6detail17trampoline_kernelINS0_14default_configENS1_25partition_config_selectorILNS1_17partition_subalgoE1EjNS0_10empty_typeEbEEZZNS1_14partition_implILS5_1ELb0ES3_jN6thrust23THRUST_200600_302600_NS6detail15normal_iteratorINSA_10device_ptrIjEEEEPS6_NSA_18transform_iteratorI7is_evenIjESF_NSA_11use_defaultESK_EENS0_5tupleIJNSA_16discard_iteratorISK_EESF_EEENSM_IJSG_SG_EEES6_PlJS6_EEE10hipError_tPvRmT3_T4_T5_T6_T7_T9_mT8_P12ihipStream_tbDpT10_ENKUlT_T0_E_clISt17integral_constantIbLb1EES1A_IbLb0EEEEDaS16_S17_EUlS16_E_NS1_11comp_targetILNS1_3genE9ELNS1_11target_archE1100ELNS1_3gpuE3ELNS1_3repE0EEENS1_30default_config_static_selectorELNS0_4arch9wavefront6targetE1EEEvT1_,comdat
	.protected	_ZN7rocprim17ROCPRIM_400000_NS6detail17trampoline_kernelINS0_14default_configENS1_25partition_config_selectorILNS1_17partition_subalgoE1EjNS0_10empty_typeEbEEZZNS1_14partition_implILS5_1ELb0ES3_jN6thrust23THRUST_200600_302600_NS6detail15normal_iteratorINSA_10device_ptrIjEEEEPS6_NSA_18transform_iteratorI7is_evenIjESF_NSA_11use_defaultESK_EENS0_5tupleIJNSA_16discard_iteratorISK_EESF_EEENSM_IJSG_SG_EEES6_PlJS6_EEE10hipError_tPvRmT3_T4_T5_T6_T7_T9_mT8_P12ihipStream_tbDpT10_ENKUlT_T0_E_clISt17integral_constantIbLb1EES1A_IbLb0EEEEDaS16_S17_EUlS16_E_NS1_11comp_targetILNS1_3genE9ELNS1_11target_archE1100ELNS1_3gpuE3ELNS1_3repE0EEENS1_30default_config_static_selectorELNS0_4arch9wavefront6targetE1EEEvT1_ ; -- Begin function _ZN7rocprim17ROCPRIM_400000_NS6detail17trampoline_kernelINS0_14default_configENS1_25partition_config_selectorILNS1_17partition_subalgoE1EjNS0_10empty_typeEbEEZZNS1_14partition_implILS5_1ELb0ES3_jN6thrust23THRUST_200600_302600_NS6detail15normal_iteratorINSA_10device_ptrIjEEEEPS6_NSA_18transform_iteratorI7is_evenIjESF_NSA_11use_defaultESK_EENS0_5tupleIJNSA_16discard_iteratorISK_EESF_EEENSM_IJSG_SG_EEES6_PlJS6_EEE10hipError_tPvRmT3_T4_T5_T6_T7_T9_mT8_P12ihipStream_tbDpT10_ENKUlT_T0_E_clISt17integral_constantIbLb1EES1A_IbLb0EEEEDaS16_S17_EUlS16_E_NS1_11comp_targetILNS1_3genE9ELNS1_11target_archE1100ELNS1_3gpuE3ELNS1_3repE0EEENS1_30default_config_static_selectorELNS0_4arch9wavefront6targetE1EEEvT1_
	.globl	_ZN7rocprim17ROCPRIM_400000_NS6detail17trampoline_kernelINS0_14default_configENS1_25partition_config_selectorILNS1_17partition_subalgoE1EjNS0_10empty_typeEbEEZZNS1_14partition_implILS5_1ELb0ES3_jN6thrust23THRUST_200600_302600_NS6detail15normal_iteratorINSA_10device_ptrIjEEEEPS6_NSA_18transform_iteratorI7is_evenIjESF_NSA_11use_defaultESK_EENS0_5tupleIJNSA_16discard_iteratorISK_EESF_EEENSM_IJSG_SG_EEES6_PlJS6_EEE10hipError_tPvRmT3_T4_T5_T6_T7_T9_mT8_P12ihipStream_tbDpT10_ENKUlT_T0_E_clISt17integral_constantIbLb1EES1A_IbLb0EEEEDaS16_S17_EUlS16_E_NS1_11comp_targetILNS1_3genE9ELNS1_11target_archE1100ELNS1_3gpuE3ELNS1_3repE0EEENS1_30default_config_static_selectorELNS0_4arch9wavefront6targetE1EEEvT1_
	.p2align	8
	.type	_ZN7rocprim17ROCPRIM_400000_NS6detail17trampoline_kernelINS0_14default_configENS1_25partition_config_selectorILNS1_17partition_subalgoE1EjNS0_10empty_typeEbEEZZNS1_14partition_implILS5_1ELb0ES3_jN6thrust23THRUST_200600_302600_NS6detail15normal_iteratorINSA_10device_ptrIjEEEEPS6_NSA_18transform_iteratorI7is_evenIjESF_NSA_11use_defaultESK_EENS0_5tupleIJNSA_16discard_iteratorISK_EESF_EEENSM_IJSG_SG_EEES6_PlJS6_EEE10hipError_tPvRmT3_T4_T5_T6_T7_T9_mT8_P12ihipStream_tbDpT10_ENKUlT_T0_E_clISt17integral_constantIbLb1EES1A_IbLb0EEEEDaS16_S17_EUlS16_E_NS1_11comp_targetILNS1_3genE9ELNS1_11target_archE1100ELNS1_3gpuE3ELNS1_3repE0EEENS1_30default_config_static_selectorELNS0_4arch9wavefront6targetE1EEEvT1_,@function
_ZN7rocprim17ROCPRIM_400000_NS6detail17trampoline_kernelINS0_14default_configENS1_25partition_config_selectorILNS1_17partition_subalgoE1EjNS0_10empty_typeEbEEZZNS1_14partition_implILS5_1ELb0ES3_jN6thrust23THRUST_200600_302600_NS6detail15normal_iteratorINSA_10device_ptrIjEEEEPS6_NSA_18transform_iteratorI7is_evenIjESF_NSA_11use_defaultESK_EENS0_5tupleIJNSA_16discard_iteratorISK_EESF_EEENSM_IJSG_SG_EEES6_PlJS6_EEE10hipError_tPvRmT3_T4_T5_T6_T7_T9_mT8_P12ihipStream_tbDpT10_ENKUlT_T0_E_clISt17integral_constantIbLb1EES1A_IbLb0EEEEDaS16_S17_EUlS16_E_NS1_11comp_targetILNS1_3genE9ELNS1_11target_archE1100ELNS1_3gpuE3ELNS1_3repE0EEENS1_30default_config_static_selectorELNS0_4arch9wavefront6targetE1EEEvT1_: ; @_ZN7rocprim17ROCPRIM_400000_NS6detail17trampoline_kernelINS0_14default_configENS1_25partition_config_selectorILNS1_17partition_subalgoE1EjNS0_10empty_typeEbEEZZNS1_14partition_implILS5_1ELb0ES3_jN6thrust23THRUST_200600_302600_NS6detail15normal_iteratorINSA_10device_ptrIjEEEEPS6_NSA_18transform_iteratorI7is_evenIjESF_NSA_11use_defaultESK_EENS0_5tupleIJNSA_16discard_iteratorISK_EESF_EEENSM_IJSG_SG_EEES6_PlJS6_EEE10hipError_tPvRmT3_T4_T5_T6_T7_T9_mT8_P12ihipStream_tbDpT10_ENKUlT_T0_E_clISt17integral_constantIbLb1EES1A_IbLb0EEEEDaS16_S17_EUlS16_E_NS1_11comp_targetILNS1_3genE9ELNS1_11target_archE1100ELNS1_3gpuE3ELNS1_3repE0EEENS1_30default_config_static_selectorELNS0_4arch9wavefront6targetE1EEEvT1_
; %bb.0:
	.section	.rodata,"a",@progbits
	.p2align	6, 0x0
	.amdhsa_kernel _ZN7rocprim17ROCPRIM_400000_NS6detail17trampoline_kernelINS0_14default_configENS1_25partition_config_selectorILNS1_17partition_subalgoE1EjNS0_10empty_typeEbEEZZNS1_14partition_implILS5_1ELb0ES3_jN6thrust23THRUST_200600_302600_NS6detail15normal_iteratorINSA_10device_ptrIjEEEEPS6_NSA_18transform_iteratorI7is_evenIjESF_NSA_11use_defaultESK_EENS0_5tupleIJNSA_16discard_iteratorISK_EESF_EEENSM_IJSG_SG_EEES6_PlJS6_EEE10hipError_tPvRmT3_T4_T5_T6_T7_T9_mT8_P12ihipStream_tbDpT10_ENKUlT_T0_E_clISt17integral_constantIbLb1EES1A_IbLb0EEEEDaS16_S17_EUlS16_E_NS1_11comp_targetILNS1_3genE9ELNS1_11target_archE1100ELNS1_3gpuE3ELNS1_3repE0EEENS1_30default_config_static_selectorELNS0_4arch9wavefront6targetE1EEEvT1_
		.amdhsa_group_segment_fixed_size 0
		.amdhsa_private_segment_fixed_size 0
		.amdhsa_kernarg_size 136
		.amdhsa_user_sgpr_count 2
		.amdhsa_user_sgpr_dispatch_ptr 0
		.amdhsa_user_sgpr_queue_ptr 0
		.amdhsa_user_sgpr_kernarg_segment_ptr 1
		.amdhsa_user_sgpr_dispatch_id 0
		.amdhsa_user_sgpr_kernarg_preload_length 0
		.amdhsa_user_sgpr_kernarg_preload_offset 0
		.amdhsa_user_sgpr_private_segment_size 0
		.amdhsa_uses_dynamic_stack 0
		.amdhsa_enable_private_segment 0
		.amdhsa_system_sgpr_workgroup_id_x 1
		.amdhsa_system_sgpr_workgroup_id_y 0
		.amdhsa_system_sgpr_workgroup_id_z 0
		.amdhsa_system_sgpr_workgroup_info 0
		.amdhsa_system_vgpr_workitem_id 0
		.amdhsa_next_free_vgpr 1
		.amdhsa_next_free_sgpr 0
		.amdhsa_accum_offset 4
		.amdhsa_reserve_vcc 0
		.amdhsa_float_round_mode_32 0
		.amdhsa_float_round_mode_16_64 0
		.amdhsa_float_denorm_mode_32 3
		.amdhsa_float_denorm_mode_16_64 3
		.amdhsa_dx10_clamp 1
		.amdhsa_ieee_mode 1
		.amdhsa_fp16_overflow 0
		.amdhsa_tg_split 0
		.amdhsa_exception_fp_ieee_invalid_op 0
		.amdhsa_exception_fp_denorm_src 0
		.amdhsa_exception_fp_ieee_div_zero 0
		.amdhsa_exception_fp_ieee_overflow 0
		.amdhsa_exception_fp_ieee_underflow 0
		.amdhsa_exception_fp_ieee_inexact 0
		.amdhsa_exception_int_div_zero 0
	.end_amdhsa_kernel
	.section	.text._ZN7rocprim17ROCPRIM_400000_NS6detail17trampoline_kernelINS0_14default_configENS1_25partition_config_selectorILNS1_17partition_subalgoE1EjNS0_10empty_typeEbEEZZNS1_14partition_implILS5_1ELb0ES3_jN6thrust23THRUST_200600_302600_NS6detail15normal_iteratorINSA_10device_ptrIjEEEEPS6_NSA_18transform_iteratorI7is_evenIjESF_NSA_11use_defaultESK_EENS0_5tupleIJNSA_16discard_iteratorISK_EESF_EEENSM_IJSG_SG_EEES6_PlJS6_EEE10hipError_tPvRmT3_T4_T5_T6_T7_T9_mT8_P12ihipStream_tbDpT10_ENKUlT_T0_E_clISt17integral_constantIbLb1EES1A_IbLb0EEEEDaS16_S17_EUlS16_E_NS1_11comp_targetILNS1_3genE9ELNS1_11target_archE1100ELNS1_3gpuE3ELNS1_3repE0EEENS1_30default_config_static_selectorELNS0_4arch9wavefront6targetE1EEEvT1_,"axG",@progbits,_ZN7rocprim17ROCPRIM_400000_NS6detail17trampoline_kernelINS0_14default_configENS1_25partition_config_selectorILNS1_17partition_subalgoE1EjNS0_10empty_typeEbEEZZNS1_14partition_implILS5_1ELb0ES3_jN6thrust23THRUST_200600_302600_NS6detail15normal_iteratorINSA_10device_ptrIjEEEEPS6_NSA_18transform_iteratorI7is_evenIjESF_NSA_11use_defaultESK_EENS0_5tupleIJNSA_16discard_iteratorISK_EESF_EEENSM_IJSG_SG_EEES6_PlJS6_EEE10hipError_tPvRmT3_T4_T5_T6_T7_T9_mT8_P12ihipStream_tbDpT10_ENKUlT_T0_E_clISt17integral_constantIbLb1EES1A_IbLb0EEEEDaS16_S17_EUlS16_E_NS1_11comp_targetILNS1_3genE9ELNS1_11target_archE1100ELNS1_3gpuE3ELNS1_3repE0EEENS1_30default_config_static_selectorELNS0_4arch9wavefront6targetE1EEEvT1_,comdat
.Lfunc_end3057:
	.size	_ZN7rocprim17ROCPRIM_400000_NS6detail17trampoline_kernelINS0_14default_configENS1_25partition_config_selectorILNS1_17partition_subalgoE1EjNS0_10empty_typeEbEEZZNS1_14partition_implILS5_1ELb0ES3_jN6thrust23THRUST_200600_302600_NS6detail15normal_iteratorINSA_10device_ptrIjEEEEPS6_NSA_18transform_iteratorI7is_evenIjESF_NSA_11use_defaultESK_EENS0_5tupleIJNSA_16discard_iteratorISK_EESF_EEENSM_IJSG_SG_EEES6_PlJS6_EEE10hipError_tPvRmT3_T4_T5_T6_T7_T9_mT8_P12ihipStream_tbDpT10_ENKUlT_T0_E_clISt17integral_constantIbLb1EES1A_IbLb0EEEEDaS16_S17_EUlS16_E_NS1_11comp_targetILNS1_3genE9ELNS1_11target_archE1100ELNS1_3gpuE3ELNS1_3repE0EEENS1_30default_config_static_selectorELNS0_4arch9wavefront6targetE1EEEvT1_, .Lfunc_end3057-_ZN7rocprim17ROCPRIM_400000_NS6detail17trampoline_kernelINS0_14default_configENS1_25partition_config_selectorILNS1_17partition_subalgoE1EjNS0_10empty_typeEbEEZZNS1_14partition_implILS5_1ELb0ES3_jN6thrust23THRUST_200600_302600_NS6detail15normal_iteratorINSA_10device_ptrIjEEEEPS6_NSA_18transform_iteratorI7is_evenIjESF_NSA_11use_defaultESK_EENS0_5tupleIJNSA_16discard_iteratorISK_EESF_EEENSM_IJSG_SG_EEES6_PlJS6_EEE10hipError_tPvRmT3_T4_T5_T6_T7_T9_mT8_P12ihipStream_tbDpT10_ENKUlT_T0_E_clISt17integral_constantIbLb1EES1A_IbLb0EEEEDaS16_S17_EUlS16_E_NS1_11comp_targetILNS1_3genE9ELNS1_11target_archE1100ELNS1_3gpuE3ELNS1_3repE0EEENS1_30default_config_static_selectorELNS0_4arch9wavefront6targetE1EEEvT1_
                                        ; -- End function
	.section	.AMDGPU.csdata,"",@progbits
; Kernel info:
; codeLenInByte = 0
; NumSgprs: 6
; NumVgprs: 0
; NumAgprs: 0
; TotalNumVgprs: 0
; ScratchSize: 0
; MemoryBound: 0
; FloatMode: 240
; IeeeMode: 1
; LDSByteSize: 0 bytes/workgroup (compile time only)
; SGPRBlocks: 0
; VGPRBlocks: 0
; NumSGPRsForWavesPerEU: 6
; NumVGPRsForWavesPerEU: 1
; AccumOffset: 4
; Occupancy: 8
; WaveLimiterHint : 0
; COMPUTE_PGM_RSRC2:SCRATCH_EN: 0
; COMPUTE_PGM_RSRC2:USER_SGPR: 2
; COMPUTE_PGM_RSRC2:TRAP_HANDLER: 0
; COMPUTE_PGM_RSRC2:TGID_X_EN: 1
; COMPUTE_PGM_RSRC2:TGID_Y_EN: 0
; COMPUTE_PGM_RSRC2:TGID_Z_EN: 0
; COMPUTE_PGM_RSRC2:TIDIG_COMP_CNT: 0
; COMPUTE_PGM_RSRC3_GFX90A:ACCUM_OFFSET: 0
; COMPUTE_PGM_RSRC3_GFX90A:TG_SPLIT: 0
	.section	.text._ZN7rocprim17ROCPRIM_400000_NS6detail17trampoline_kernelINS0_14default_configENS1_25partition_config_selectorILNS1_17partition_subalgoE1EjNS0_10empty_typeEbEEZZNS1_14partition_implILS5_1ELb0ES3_jN6thrust23THRUST_200600_302600_NS6detail15normal_iteratorINSA_10device_ptrIjEEEEPS6_NSA_18transform_iteratorI7is_evenIjESF_NSA_11use_defaultESK_EENS0_5tupleIJNSA_16discard_iteratorISK_EESF_EEENSM_IJSG_SG_EEES6_PlJS6_EEE10hipError_tPvRmT3_T4_T5_T6_T7_T9_mT8_P12ihipStream_tbDpT10_ENKUlT_T0_E_clISt17integral_constantIbLb1EES1A_IbLb0EEEEDaS16_S17_EUlS16_E_NS1_11comp_targetILNS1_3genE8ELNS1_11target_archE1030ELNS1_3gpuE2ELNS1_3repE0EEENS1_30default_config_static_selectorELNS0_4arch9wavefront6targetE1EEEvT1_,"axG",@progbits,_ZN7rocprim17ROCPRIM_400000_NS6detail17trampoline_kernelINS0_14default_configENS1_25partition_config_selectorILNS1_17partition_subalgoE1EjNS0_10empty_typeEbEEZZNS1_14partition_implILS5_1ELb0ES3_jN6thrust23THRUST_200600_302600_NS6detail15normal_iteratorINSA_10device_ptrIjEEEEPS6_NSA_18transform_iteratorI7is_evenIjESF_NSA_11use_defaultESK_EENS0_5tupleIJNSA_16discard_iteratorISK_EESF_EEENSM_IJSG_SG_EEES6_PlJS6_EEE10hipError_tPvRmT3_T4_T5_T6_T7_T9_mT8_P12ihipStream_tbDpT10_ENKUlT_T0_E_clISt17integral_constantIbLb1EES1A_IbLb0EEEEDaS16_S17_EUlS16_E_NS1_11comp_targetILNS1_3genE8ELNS1_11target_archE1030ELNS1_3gpuE2ELNS1_3repE0EEENS1_30default_config_static_selectorELNS0_4arch9wavefront6targetE1EEEvT1_,comdat
	.protected	_ZN7rocprim17ROCPRIM_400000_NS6detail17trampoline_kernelINS0_14default_configENS1_25partition_config_selectorILNS1_17partition_subalgoE1EjNS0_10empty_typeEbEEZZNS1_14partition_implILS5_1ELb0ES3_jN6thrust23THRUST_200600_302600_NS6detail15normal_iteratorINSA_10device_ptrIjEEEEPS6_NSA_18transform_iteratorI7is_evenIjESF_NSA_11use_defaultESK_EENS0_5tupleIJNSA_16discard_iteratorISK_EESF_EEENSM_IJSG_SG_EEES6_PlJS6_EEE10hipError_tPvRmT3_T4_T5_T6_T7_T9_mT8_P12ihipStream_tbDpT10_ENKUlT_T0_E_clISt17integral_constantIbLb1EES1A_IbLb0EEEEDaS16_S17_EUlS16_E_NS1_11comp_targetILNS1_3genE8ELNS1_11target_archE1030ELNS1_3gpuE2ELNS1_3repE0EEENS1_30default_config_static_selectorELNS0_4arch9wavefront6targetE1EEEvT1_ ; -- Begin function _ZN7rocprim17ROCPRIM_400000_NS6detail17trampoline_kernelINS0_14default_configENS1_25partition_config_selectorILNS1_17partition_subalgoE1EjNS0_10empty_typeEbEEZZNS1_14partition_implILS5_1ELb0ES3_jN6thrust23THRUST_200600_302600_NS6detail15normal_iteratorINSA_10device_ptrIjEEEEPS6_NSA_18transform_iteratorI7is_evenIjESF_NSA_11use_defaultESK_EENS0_5tupleIJNSA_16discard_iteratorISK_EESF_EEENSM_IJSG_SG_EEES6_PlJS6_EEE10hipError_tPvRmT3_T4_T5_T6_T7_T9_mT8_P12ihipStream_tbDpT10_ENKUlT_T0_E_clISt17integral_constantIbLb1EES1A_IbLb0EEEEDaS16_S17_EUlS16_E_NS1_11comp_targetILNS1_3genE8ELNS1_11target_archE1030ELNS1_3gpuE2ELNS1_3repE0EEENS1_30default_config_static_selectorELNS0_4arch9wavefront6targetE1EEEvT1_
	.globl	_ZN7rocprim17ROCPRIM_400000_NS6detail17trampoline_kernelINS0_14default_configENS1_25partition_config_selectorILNS1_17partition_subalgoE1EjNS0_10empty_typeEbEEZZNS1_14partition_implILS5_1ELb0ES3_jN6thrust23THRUST_200600_302600_NS6detail15normal_iteratorINSA_10device_ptrIjEEEEPS6_NSA_18transform_iteratorI7is_evenIjESF_NSA_11use_defaultESK_EENS0_5tupleIJNSA_16discard_iteratorISK_EESF_EEENSM_IJSG_SG_EEES6_PlJS6_EEE10hipError_tPvRmT3_T4_T5_T6_T7_T9_mT8_P12ihipStream_tbDpT10_ENKUlT_T0_E_clISt17integral_constantIbLb1EES1A_IbLb0EEEEDaS16_S17_EUlS16_E_NS1_11comp_targetILNS1_3genE8ELNS1_11target_archE1030ELNS1_3gpuE2ELNS1_3repE0EEENS1_30default_config_static_selectorELNS0_4arch9wavefront6targetE1EEEvT1_
	.p2align	8
	.type	_ZN7rocprim17ROCPRIM_400000_NS6detail17trampoline_kernelINS0_14default_configENS1_25partition_config_selectorILNS1_17partition_subalgoE1EjNS0_10empty_typeEbEEZZNS1_14partition_implILS5_1ELb0ES3_jN6thrust23THRUST_200600_302600_NS6detail15normal_iteratorINSA_10device_ptrIjEEEEPS6_NSA_18transform_iteratorI7is_evenIjESF_NSA_11use_defaultESK_EENS0_5tupleIJNSA_16discard_iteratorISK_EESF_EEENSM_IJSG_SG_EEES6_PlJS6_EEE10hipError_tPvRmT3_T4_T5_T6_T7_T9_mT8_P12ihipStream_tbDpT10_ENKUlT_T0_E_clISt17integral_constantIbLb1EES1A_IbLb0EEEEDaS16_S17_EUlS16_E_NS1_11comp_targetILNS1_3genE8ELNS1_11target_archE1030ELNS1_3gpuE2ELNS1_3repE0EEENS1_30default_config_static_selectorELNS0_4arch9wavefront6targetE1EEEvT1_,@function
_ZN7rocprim17ROCPRIM_400000_NS6detail17trampoline_kernelINS0_14default_configENS1_25partition_config_selectorILNS1_17partition_subalgoE1EjNS0_10empty_typeEbEEZZNS1_14partition_implILS5_1ELb0ES3_jN6thrust23THRUST_200600_302600_NS6detail15normal_iteratorINSA_10device_ptrIjEEEEPS6_NSA_18transform_iteratorI7is_evenIjESF_NSA_11use_defaultESK_EENS0_5tupleIJNSA_16discard_iteratorISK_EESF_EEENSM_IJSG_SG_EEES6_PlJS6_EEE10hipError_tPvRmT3_T4_T5_T6_T7_T9_mT8_P12ihipStream_tbDpT10_ENKUlT_T0_E_clISt17integral_constantIbLb1EES1A_IbLb0EEEEDaS16_S17_EUlS16_E_NS1_11comp_targetILNS1_3genE8ELNS1_11target_archE1030ELNS1_3gpuE2ELNS1_3repE0EEENS1_30default_config_static_selectorELNS0_4arch9wavefront6targetE1EEEvT1_: ; @_ZN7rocprim17ROCPRIM_400000_NS6detail17trampoline_kernelINS0_14default_configENS1_25partition_config_selectorILNS1_17partition_subalgoE1EjNS0_10empty_typeEbEEZZNS1_14partition_implILS5_1ELb0ES3_jN6thrust23THRUST_200600_302600_NS6detail15normal_iteratorINSA_10device_ptrIjEEEEPS6_NSA_18transform_iteratorI7is_evenIjESF_NSA_11use_defaultESK_EENS0_5tupleIJNSA_16discard_iteratorISK_EESF_EEENSM_IJSG_SG_EEES6_PlJS6_EEE10hipError_tPvRmT3_T4_T5_T6_T7_T9_mT8_P12ihipStream_tbDpT10_ENKUlT_T0_E_clISt17integral_constantIbLb1EES1A_IbLb0EEEEDaS16_S17_EUlS16_E_NS1_11comp_targetILNS1_3genE8ELNS1_11target_archE1030ELNS1_3gpuE2ELNS1_3repE0EEENS1_30default_config_static_selectorELNS0_4arch9wavefront6targetE1EEEvT1_
; %bb.0:
	.section	.rodata,"a",@progbits
	.p2align	6, 0x0
	.amdhsa_kernel _ZN7rocprim17ROCPRIM_400000_NS6detail17trampoline_kernelINS0_14default_configENS1_25partition_config_selectorILNS1_17partition_subalgoE1EjNS0_10empty_typeEbEEZZNS1_14partition_implILS5_1ELb0ES3_jN6thrust23THRUST_200600_302600_NS6detail15normal_iteratorINSA_10device_ptrIjEEEEPS6_NSA_18transform_iteratorI7is_evenIjESF_NSA_11use_defaultESK_EENS0_5tupleIJNSA_16discard_iteratorISK_EESF_EEENSM_IJSG_SG_EEES6_PlJS6_EEE10hipError_tPvRmT3_T4_T5_T6_T7_T9_mT8_P12ihipStream_tbDpT10_ENKUlT_T0_E_clISt17integral_constantIbLb1EES1A_IbLb0EEEEDaS16_S17_EUlS16_E_NS1_11comp_targetILNS1_3genE8ELNS1_11target_archE1030ELNS1_3gpuE2ELNS1_3repE0EEENS1_30default_config_static_selectorELNS0_4arch9wavefront6targetE1EEEvT1_
		.amdhsa_group_segment_fixed_size 0
		.amdhsa_private_segment_fixed_size 0
		.amdhsa_kernarg_size 136
		.amdhsa_user_sgpr_count 2
		.amdhsa_user_sgpr_dispatch_ptr 0
		.amdhsa_user_sgpr_queue_ptr 0
		.amdhsa_user_sgpr_kernarg_segment_ptr 1
		.amdhsa_user_sgpr_dispatch_id 0
		.amdhsa_user_sgpr_kernarg_preload_length 0
		.amdhsa_user_sgpr_kernarg_preload_offset 0
		.amdhsa_user_sgpr_private_segment_size 0
		.amdhsa_uses_dynamic_stack 0
		.amdhsa_enable_private_segment 0
		.amdhsa_system_sgpr_workgroup_id_x 1
		.amdhsa_system_sgpr_workgroup_id_y 0
		.amdhsa_system_sgpr_workgroup_id_z 0
		.amdhsa_system_sgpr_workgroup_info 0
		.amdhsa_system_vgpr_workitem_id 0
		.amdhsa_next_free_vgpr 1
		.amdhsa_next_free_sgpr 0
		.amdhsa_accum_offset 4
		.amdhsa_reserve_vcc 0
		.amdhsa_float_round_mode_32 0
		.amdhsa_float_round_mode_16_64 0
		.amdhsa_float_denorm_mode_32 3
		.amdhsa_float_denorm_mode_16_64 3
		.amdhsa_dx10_clamp 1
		.amdhsa_ieee_mode 1
		.amdhsa_fp16_overflow 0
		.amdhsa_tg_split 0
		.amdhsa_exception_fp_ieee_invalid_op 0
		.amdhsa_exception_fp_denorm_src 0
		.amdhsa_exception_fp_ieee_div_zero 0
		.amdhsa_exception_fp_ieee_overflow 0
		.amdhsa_exception_fp_ieee_underflow 0
		.amdhsa_exception_fp_ieee_inexact 0
		.amdhsa_exception_int_div_zero 0
	.end_amdhsa_kernel
	.section	.text._ZN7rocprim17ROCPRIM_400000_NS6detail17trampoline_kernelINS0_14default_configENS1_25partition_config_selectorILNS1_17partition_subalgoE1EjNS0_10empty_typeEbEEZZNS1_14partition_implILS5_1ELb0ES3_jN6thrust23THRUST_200600_302600_NS6detail15normal_iteratorINSA_10device_ptrIjEEEEPS6_NSA_18transform_iteratorI7is_evenIjESF_NSA_11use_defaultESK_EENS0_5tupleIJNSA_16discard_iteratorISK_EESF_EEENSM_IJSG_SG_EEES6_PlJS6_EEE10hipError_tPvRmT3_T4_T5_T6_T7_T9_mT8_P12ihipStream_tbDpT10_ENKUlT_T0_E_clISt17integral_constantIbLb1EES1A_IbLb0EEEEDaS16_S17_EUlS16_E_NS1_11comp_targetILNS1_3genE8ELNS1_11target_archE1030ELNS1_3gpuE2ELNS1_3repE0EEENS1_30default_config_static_selectorELNS0_4arch9wavefront6targetE1EEEvT1_,"axG",@progbits,_ZN7rocprim17ROCPRIM_400000_NS6detail17trampoline_kernelINS0_14default_configENS1_25partition_config_selectorILNS1_17partition_subalgoE1EjNS0_10empty_typeEbEEZZNS1_14partition_implILS5_1ELb0ES3_jN6thrust23THRUST_200600_302600_NS6detail15normal_iteratorINSA_10device_ptrIjEEEEPS6_NSA_18transform_iteratorI7is_evenIjESF_NSA_11use_defaultESK_EENS0_5tupleIJNSA_16discard_iteratorISK_EESF_EEENSM_IJSG_SG_EEES6_PlJS6_EEE10hipError_tPvRmT3_T4_T5_T6_T7_T9_mT8_P12ihipStream_tbDpT10_ENKUlT_T0_E_clISt17integral_constantIbLb1EES1A_IbLb0EEEEDaS16_S17_EUlS16_E_NS1_11comp_targetILNS1_3genE8ELNS1_11target_archE1030ELNS1_3gpuE2ELNS1_3repE0EEENS1_30default_config_static_selectorELNS0_4arch9wavefront6targetE1EEEvT1_,comdat
.Lfunc_end3058:
	.size	_ZN7rocprim17ROCPRIM_400000_NS6detail17trampoline_kernelINS0_14default_configENS1_25partition_config_selectorILNS1_17partition_subalgoE1EjNS0_10empty_typeEbEEZZNS1_14partition_implILS5_1ELb0ES3_jN6thrust23THRUST_200600_302600_NS6detail15normal_iteratorINSA_10device_ptrIjEEEEPS6_NSA_18transform_iteratorI7is_evenIjESF_NSA_11use_defaultESK_EENS0_5tupleIJNSA_16discard_iteratorISK_EESF_EEENSM_IJSG_SG_EEES6_PlJS6_EEE10hipError_tPvRmT3_T4_T5_T6_T7_T9_mT8_P12ihipStream_tbDpT10_ENKUlT_T0_E_clISt17integral_constantIbLb1EES1A_IbLb0EEEEDaS16_S17_EUlS16_E_NS1_11comp_targetILNS1_3genE8ELNS1_11target_archE1030ELNS1_3gpuE2ELNS1_3repE0EEENS1_30default_config_static_selectorELNS0_4arch9wavefront6targetE1EEEvT1_, .Lfunc_end3058-_ZN7rocprim17ROCPRIM_400000_NS6detail17trampoline_kernelINS0_14default_configENS1_25partition_config_selectorILNS1_17partition_subalgoE1EjNS0_10empty_typeEbEEZZNS1_14partition_implILS5_1ELb0ES3_jN6thrust23THRUST_200600_302600_NS6detail15normal_iteratorINSA_10device_ptrIjEEEEPS6_NSA_18transform_iteratorI7is_evenIjESF_NSA_11use_defaultESK_EENS0_5tupleIJNSA_16discard_iteratorISK_EESF_EEENSM_IJSG_SG_EEES6_PlJS6_EEE10hipError_tPvRmT3_T4_T5_T6_T7_T9_mT8_P12ihipStream_tbDpT10_ENKUlT_T0_E_clISt17integral_constantIbLb1EES1A_IbLb0EEEEDaS16_S17_EUlS16_E_NS1_11comp_targetILNS1_3genE8ELNS1_11target_archE1030ELNS1_3gpuE2ELNS1_3repE0EEENS1_30default_config_static_selectorELNS0_4arch9wavefront6targetE1EEEvT1_
                                        ; -- End function
	.section	.AMDGPU.csdata,"",@progbits
; Kernel info:
; codeLenInByte = 0
; NumSgprs: 6
; NumVgprs: 0
; NumAgprs: 0
; TotalNumVgprs: 0
; ScratchSize: 0
; MemoryBound: 0
; FloatMode: 240
; IeeeMode: 1
; LDSByteSize: 0 bytes/workgroup (compile time only)
; SGPRBlocks: 0
; VGPRBlocks: 0
; NumSGPRsForWavesPerEU: 6
; NumVGPRsForWavesPerEU: 1
; AccumOffset: 4
; Occupancy: 8
; WaveLimiterHint : 0
; COMPUTE_PGM_RSRC2:SCRATCH_EN: 0
; COMPUTE_PGM_RSRC2:USER_SGPR: 2
; COMPUTE_PGM_RSRC2:TRAP_HANDLER: 0
; COMPUTE_PGM_RSRC2:TGID_X_EN: 1
; COMPUTE_PGM_RSRC2:TGID_Y_EN: 0
; COMPUTE_PGM_RSRC2:TGID_Z_EN: 0
; COMPUTE_PGM_RSRC2:TIDIG_COMP_CNT: 0
; COMPUTE_PGM_RSRC3_GFX90A:ACCUM_OFFSET: 0
; COMPUTE_PGM_RSRC3_GFX90A:TG_SPLIT: 0
	.section	.text._ZN7rocprim17ROCPRIM_400000_NS6detail17trampoline_kernelINS0_14default_configENS1_25partition_config_selectorILNS1_17partition_subalgoE1EjNS0_10empty_typeEbEEZZNS1_14partition_implILS5_1ELb0ES3_jN6thrust23THRUST_200600_302600_NS6detail15normal_iteratorINSA_10device_ptrIjEEEEPS6_NSA_18transform_iteratorI7is_evenIjESF_NSA_11use_defaultESK_EENS0_5tupleIJNSA_16discard_iteratorISK_EESF_EEENSM_IJSG_SG_EEES6_PlJS6_EEE10hipError_tPvRmT3_T4_T5_T6_T7_T9_mT8_P12ihipStream_tbDpT10_ENKUlT_T0_E_clISt17integral_constantIbLb0EES1A_IbLb1EEEEDaS16_S17_EUlS16_E_NS1_11comp_targetILNS1_3genE0ELNS1_11target_archE4294967295ELNS1_3gpuE0ELNS1_3repE0EEENS1_30default_config_static_selectorELNS0_4arch9wavefront6targetE1EEEvT1_,"axG",@progbits,_ZN7rocprim17ROCPRIM_400000_NS6detail17trampoline_kernelINS0_14default_configENS1_25partition_config_selectorILNS1_17partition_subalgoE1EjNS0_10empty_typeEbEEZZNS1_14partition_implILS5_1ELb0ES3_jN6thrust23THRUST_200600_302600_NS6detail15normal_iteratorINSA_10device_ptrIjEEEEPS6_NSA_18transform_iteratorI7is_evenIjESF_NSA_11use_defaultESK_EENS0_5tupleIJNSA_16discard_iteratorISK_EESF_EEENSM_IJSG_SG_EEES6_PlJS6_EEE10hipError_tPvRmT3_T4_T5_T6_T7_T9_mT8_P12ihipStream_tbDpT10_ENKUlT_T0_E_clISt17integral_constantIbLb0EES1A_IbLb1EEEEDaS16_S17_EUlS16_E_NS1_11comp_targetILNS1_3genE0ELNS1_11target_archE4294967295ELNS1_3gpuE0ELNS1_3repE0EEENS1_30default_config_static_selectorELNS0_4arch9wavefront6targetE1EEEvT1_,comdat
	.protected	_ZN7rocprim17ROCPRIM_400000_NS6detail17trampoline_kernelINS0_14default_configENS1_25partition_config_selectorILNS1_17partition_subalgoE1EjNS0_10empty_typeEbEEZZNS1_14partition_implILS5_1ELb0ES3_jN6thrust23THRUST_200600_302600_NS6detail15normal_iteratorINSA_10device_ptrIjEEEEPS6_NSA_18transform_iteratorI7is_evenIjESF_NSA_11use_defaultESK_EENS0_5tupleIJNSA_16discard_iteratorISK_EESF_EEENSM_IJSG_SG_EEES6_PlJS6_EEE10hipError_tPvRmT3_T4_T5_T6_T7_T9_mT8_P12ihipStream_tbDpT10_ENKUlT_T0_E_clISt17integral_constantIbLb0EES1A_IbLb1EEEEDaS16_S17_EUlS16_E_NS1_11comp_targetILNS1_3genE0ELNS1_11target_archE4294967295ELNS1_3gpuE0ELNS1_3repE0EEENS1_30default_config_static_selectorELNS0_4arch9wavefront6targetE1EEEvT1_ ; -- Begin function _ZN7rocprim17ROCPRIM_400000_NS6detail17trampoline_kernelINS0_14default_configENS1_25partition_config_selectorILNS1_17partition_subalgoE1EjNS0_10empty_typeEbEEZZNS1_14partition_implILS5_1ELb0ES3_jN6thrust23THRUST_200600_302600_NS6detail15normal_iteratorINSA_10device_ptrIjEEEEPS6_NSA_18transform_iteratorI7is_evenIjESF_NSA_11use_defaultESK_EENS0_5tupleIJNSA_16discard_iteratorISK_EESF_EEENSM_IJSG_SG_EEES6_PlJS6_EEE10hipError_tPvRmT3_T4_T5_T6_T7_T9_mT8_P12ihipStream_tbDpT10_ENKUlT_T0_E_clISt17integral_constantIbLb0EES1A_IbLb1EEEEDaS16_S17_EUlS16_E_NS1_11comp_targetILNS1_3genE0ELNS1_11target_archE4294967295ELNS1_3gpuE0ELNS1_3repE0EEENS1_30default_config_static_selectorELNS0_4arch9wavefront6targetE1EEEvT1_
	.globl	_ZN7rocprim17ROCPRIM_400000_NS6detail17trampoline_kernelINS0_14default_configENS1_25partition_config_selectorILNS1_17partition_subalgoE1EjNS0_10empty_typeEbEEZZNS1_14partition_implILS5_1ELb0ES3_jN6thrust23THRUST_200600_302600_NS6detail15normal_iteratorINSA_10device_ptrIjEEEEPS6_NSA_18transform_iteratorI7is_evenIjESF_NSA_11use_defaultESK_EENS0_5tupleIJNSA_16discard_iteratorISK_EESF_EEENSM_IJSG_SG_EEES6_PlJS6_EEE10hipError_tPvRmT3_T4_T5_T6_T7_T9_mT8_P12ihipStream_tbDpT10_ENKUlT_T0_E_clISt17integral_constantIbLb0EES1A_IbLb1EEEEDaS16_S17_EUlS16_E_NS1_11comp_targetILNS1_3genE0ELNS1_11target_archE4294967295ELNS1_3gpuE0ELNS1_3repE0EEENS1_30default_config_static_selectorELNS0_4arch9wavefront6targetE1EEEvT1_
	.p2align	8
	.type	_ZN7rocprim17ROCPRIM_400000_NS6detail17trampoline_kernelINS0_14default_configENS1_25partition_config_selectorILNS1_17partition_subalgoE1EjNS0_10empty_typeEbEEZZNS1_14partition_implILS5_1ELb0ES3_jN6thrust23THRUST_200600_302600_NS6detail15normal_iteratorINSA_10device_ptrIjEEEEPS6_NSA_18transform_iteratorI7is_evenIjESF_NSA_11use_defaultESK_EENS0_5tupleIJNSA_16discard_iteratorISK_EESF_EEENSM_IJSG_SG_EEES6_PlJS6_EEE10hipError_tPvRmT3_T4_T5_T6_T7_T9_mT8_P12ihipStream_tbDpT10_ENKUlT_T0_E_clISt17integral_constantIbLb0EES1A_IbLb1EEEEDaS16_S17_EUlS16_E_NS1_11comp_targetILNS1_3genE0ELNS1_11target_archE4294967295ELNS1_3gpuE0ELNS1_3repE0EEENS1_30default_config_static_selectorELNS0_4arch9wavefront6targetE1EEEvT1_,@function
_ZN7rocprim17ROCPRIM_400000_NS6detail17trampoline_kernelINS0_14default_configENS1_25partition_config_selectorILNS1_17partition_subalgoE1EjNS0_10empty_typeEbEEZZNS1_14partition_implILS5_1ELb0ES3_jN6thrust23THRUST_200600_302600_NS6detail15normal_iteratorINSA_10device_ptrIjEEEEPS6_NSA_18transform_iteratorI7is_evenIjESF_NSA_11use_defaultESK_EENS0_5tupleIJNSA_16discard_iteratorISK_EESF_EEENSM_IJSG_SG_EEES6_PlJS6_EEE10hipError_tPvRmT3_T4_T5_T6_T7_T9_mT8_P12ihipStream_tbDpT10_ENKUlT_T0_E_clISt17integral_constantIbLb0EES1A_IbLb1EEEEDaS16_S17_EUlS16_E_NS1_11comp_targetILNS1_3genE0ELNS1_11target_archE4294967295ELNS1_3gpuE0ELNS1_3repE0EEENS1_30default_config_static_selectorELNS0_4arch9wavefront6targetE1EEEvT1_: ; @_ZN7rocprim17ROCPRIM_400000_NS6detail17trampoline_kernelINS0_14default_configENS1_25partition_config_selectorILNS1_17partition_subalgoE1EjNS0_10empty_typeEbEEZZNS1_14partition_implILS5_1ELb0ES3_jN6thrust23THRUST_200600_302600_NS6detail15normal_iteratorINSA_10device_ptrIjEEEEPS6_NSA_18transform_iteratorI7is_evenIjESF_NSA_11use_defaultESK_EENS0_5tupleIJNSA_16discard_iteratorISK_EESF_EEENSM_IJSG_SG_EEES6_PlJS6_EEE10hipError_tPvRmT3_T4_T5_T6_T7_T9_mT8_P12ihipStream_tbDpT10_ENKUlT_T0_E_clISt17integral_constantIbLb0EES1A_IbLb1EEEEDaS16_S17_EUlS16_E_NS1_11comp_targetILNS1_3genE0ELNS1_11target_archE4294967295ELNS1_3gpuE0ELNS1_3repE0EEENS1_30default_config_static_selectorELNS0_4arch9wavefront6targetE1EEEvT1_
; %bb.0:
	.section	.rodata,"a",@progbits
	.p2align	6, 0x0
	.amdhsa_kernel _ZN7rocprim17ROCPRIM_400000_NS6detail17trampoline_kernelINS0_14default_configENS1_25partition_config_selectorILNS1_17partition_subalgoE1EjNS0_10empty_typeEbEEZZNS1_14partition_implILS5_1ELb0ES3_jN6thrust23THRUST_200600_302600_NS6detail15normal_iteratorINSA_10device_ptrIjEEEEPS6_NSA_18transform_iteratorI7is_evenIjESF_NSA_11use_defaultESK_EENS0_5tupleIJNSA_16discard_iteratorISK_EESF_EEENSM_IJSG_SG_EEES6_PlJS6_EEE10hipError_tPvRmT3_T4_T5_T6_T7_T9_mT8_P12ihipStream_tbDpT10_ENKUlT_T0_E_clISt17integral_constantIbLb0EES1A_IbLb1EEEEDaS16_S17_EUlS16_E_NS1_11comp_targetILNS1_3genE0ELNS1_11target_archE4294967295ELNS1_3gpuE0ELNS1_3repE0EEENS1_30default_config_static_selectorELNS0_4arch9wavefront6targetE1EEEvT1_
		.amdhsa_group_segment_fixed_size 0
		.amdhsa_private_segment_fixed_size 0
		.amdhsa_kernarg_size 152
		.amdhsa_user_sgpr_count 2
		.amdhsa_user_sgpr_dispatch_ptr 0
		.amdhsa_user_sgpr_queue_ptr 0
		.amdhsa_user_sgpr_kernarg_segment_ptr 1
		.amdhsa_user_sgpr_dispatch_id 0
		.amdhsa_user_sgpr_kernarg_preload_length 0
		.amdhsa_user_sgpr_kernarg_preload_offset 0
		.amdhsa_user_sgpr_private_segment_size 0
		.amdhsa_uses_dynamic_stack 0
		.amdhsa_enable_private_segment 0
		.amdhsa_system_sgpr_workgroup_id_x 1
		.amdhsa_system_sgpr_workgroup_id_y 0
		.amdhsa_system_sgpr_workgroup_id_z 0
		.amdhsa_system_sgpr_workgroup_info 0
		.amdhsa_system_vgpr_workitem_id 0
		.amdhsa_next_free_vgpr 1
		.amdhsa_next_free_sgpr 0
		.amdhsa_accum_offset 4
		.amdhsa_reserve_vcc 0
		.amdhsa_float_round_mode_32 0
		.amdhsa_float_round_mode_16_64 0
		.amdhsa_float_denorm_mode_32 3
		.amdhsa_float_denorm_mode_16_64 3
		.amdhsa_dx10_clamp 1
		.amdhsa_ieee_mode 1
		.amdhsa_fp16_overflow 0
		.amdhsa_tg_split 0
		.amdhsa_exception_fp_ieee_invalid_op 0
		.amdhsa_exception_fp_denorm_src 0
		.amdhsa_exception_fp_ieee_div_zero 0
		.amdhsa_exception_fp_ieee_overflow 0
		.amdhsa_exception_fp_ieee_underflow 0
		.amdhsa_exception_fp_ieee_inexact 0
		.amdhsa_exception_int_div_zero 0
	.end_amdhsa_kernel
	.section	.text._ZN7rocprim17ROCPRIM_400000_NS6detail17trampoline_kernelINS0_14default_configENS1_25partition_config_selectorILNS1_17partition_subalgoE1EjNS0_10empty_typeEbEEZZNS1_14partition_implILS5_1ELb0ES3_jN6thrust23THRUST_200600_302600_NS6detail15normal_iteratorINSA_10device_ptrIjEEEEPS6_NSA_18transform_iteratorI7is_evenIjESF_NSA_11use_defaultESK_EENS0_5tupleIJNSA_16discard_iteratorISK_EESF_EEENSM_IJSG_SG_EEES6_PlJS6_EEE10hipError_tPvRmT3_T4_T5_T6_T7_T9_mT8_P12ihipStream_tbDpT10_ENKUlT_T0_E_clISt17integral_constantIbLb0EES1A_IbLb1EEEEDaS16_S17_EUlS16_E_NS1_11comp_targetILNS1_3genE0ELNS1_11target_archE4294967295ELNS1_3gpuE0ELNS1_3repE0EEENS1_30default_config_static_selectorELNS0_4arch9wavefront6targetE1EEEvT1_,"axG",@progbits,_ZN7rocprim17ROCPRIM_400000_NS6detail17trampoline_kernelINS0_14default_configENS1_25partition_config_selectorILNS1_17partition_subalgoE1EjNS0_10empty_typeEbEEZZNS1_14partition_implILS5_1ELb0ES3_jN6thrust23THRUST_200600_302600_NS6detail15normal_iteratorINSA_10device_ptrIjEEEEPS6_NSA_18transform_iteratorI7is_evenIjESF_NSA_11use_defaultESK_EENS0_5tupleIJNSA_16discard_iteratorISK_EESF_EEENSM_IJSG_SG_EEES6_PlJS6_EEE10hipError_tPvRmT3_T4_T5_T6_T7_T9_mT8_P12ihipStream_tbDpT10_ENKUlT_T0_E_clISt17integral_constantIbLb0EES1A_IbLb1EEEEDaS16_S17_EUlS16_E_NS1_11comp_targetILNS1_3genE0ELNS1_11target_archE4294967295ELNS1_3gpuE0ELNS1_3repE0EEENS1_30default_config_static_selectorELNS0_4arch9wavefront6targetE1EEEvT1_,comdat
.Lfunc_end3059:
	.size	_ZN7rocprim17ROCPRIM_400000_NS6detail17trampoline_kernelINS0_14default_configENS1_25partition_config_selectorILNS1_17partition_subalgoE1EjNS0_10empty_typeEbEEZZNS1_14partition_implILS5_1ELb0ES3_jN6thrust23THRUST_200600_302600_NS6detail15normal_iteratorINSA_10device_ptrIjEEEEPS6_NSA_18transform_iteratorI7is_evenIjESF_NSA_11use_defaultESK_EENS0_5tupleIJNSA_16discard_iteratorISK_EESF_EEENSM_IJSG_SG_EEES6_PlJS6_EEE10hipError_tPvRmT3_T4_T5_T6_T7_T9_mT8_P12ihipStream_tbDpT10_ENKUlT_T0_E_clISt17integral_constantIbLb0EES1A_IbLb1EEEEDaS16_S17_EUlS16_E_NS1_11comp_targetILNS1_3genE0ELNS1_11target_archE4294967295ELNS1_3gpuE0ELNS1_3repE0EEENS1_30default_config_static_selectorELNS0_4arch9wavefront6targetE1EEEvT1_, .Lfunc_end3059-_ZN7rocprim17ROCPRIM_400000_NS6detail17trampoline_kernelINS0_14default_configENS1_25partition_config_selectorILNS1_17partition_subalgoE1EjNS0_10empty_typeEbEEZZNS1_14partition_implILS5_1ELb0ES3_jN6thrust23THRUST_200600_302600_NS6detail15normal_iteratorINSA_10device_ptrIjEEEEPS6_NSA_18transform_iteratorI7is_evenIjESF_NSA_11use_defaultESK_EENS0_5tupleIJNSA_16discard_iteratorISK_EESF_EEENSM_IJSG_SG_EEES6_PlJS6_EEE10hipError_tPvRmT3_T4_T5_T6_T7_T9_mT8_P12ihipStream_tbDpT10_ENKUlT_T0_E_clISt17integral_constantIbLb0EES1A_IbLb1EEEEDaS16_S17_EUlS16_E_NS1_11comp_targetILNS1_3genE0ELNS1_11target_archE4294967295ELNS1_3gpuE0ELNS1_3repE0EEENS1_30default_config_static_selectorELNS0_4arch9wavefront6targetE1EEEvT1_
                                        ; -- End function
	.section	.AMDGPU.csdata,"",@progbits
; Kernel info:
; codeLenInByte = 0
; NumSgprs: 6
; NumVgprs: 0
; NumAgprs: 0
; TotalNumVgprs: 0
; ScratchSize: 0
; MemoryBound: 0
; FloatMode: 240
; IeeeMode: 1
; LDSByteSize: 0 bytes/workgroup (compile time only)
; SGPRBlocks: 0
; VGPRBlocks: 0
; NumSGPRsForWavesPerEU: 6
; NumVGPRsForWavesPerEU: 1
; AccumOffset: 4
; Occupancy: 8
; WaveLimiterHint : 0
; COMPUTE_PGM_RSRC2:SCRATCH_EN: 0
; COMPUTE_PGM_RSRC2:USER_SGPR: 2
; COMPUTE_PGM_RSRC2:TRAP_HANDLER: 0
; COMPUTE_PGM_RSRC2:TGID_X_EN: 1
; COMPUTE_PGM_RSRC2:TGID_Y_EN: 0
; COMPUTE_PGM_RSRC2:TGID_Z_EN: 0
; COMPUTE_PGM_RSRC2:TIDIG_COMP_CNT: 0
; COMPUTE_PGM_RSRC3_GFX90A:ACCUM_OFFSET: 0
; COMPUTE_PGM_RSRC3_GFX90A:TG_SPLIT: 0
	.section	.text._ZN7rocprim17ROCPRIM_400000_NS6detail17trampoline_kernelINS0_14default_configENS1_25partition_config_selectorILNS1_17partition_subalgoE1EjNS0_10empty_typeEbEEZZNS1_14partition_implILS5_1ELb0ES3_jN6thrust23THRUST_200600_302600_NS6detail15normal_iteratorINSA_10device_ptrIjEEEEPS6_NSA_18transform_iteratorI7is_evenIjESF_NSA_11use_defaultESK_EENS0_5tupleIJNSA_16discard_iteratorISK_EESF_EEENSM_IJSG_SG_EEES6_PlJS6_EEE10hipError_tPvRmT3_T4_T5_T6_T7_T9_mT8_P12ihipStream_tbDpT10_ENKUlT_T0_E_clISt17integral_constantIbLb0EES1A_IbLb1EEEEDaS16_S17_EUlS16_E_NS1_11comp_targetILNS1_3genE5ELNS1_11target_archE942ELNS1_3gpuE9ELNS1_3repE0EEENS1_30default_config_static_selectorELNS0_4arch9wavefront6targetE1EEEvT1_,"axG",@progbits,_ZN7rocprim17ROCPRIM_400000_NS6detail17trampoline_kernelINS0_14default_configENS1_25partition_config_selectorILNS1_17partition_subalgoE1EjNS0_10empty_typeEbEEZZNS1_14partition_implILS5_1ELb0ES3_jN6thrust23THRUST_200600_302600_NS6detail15normal_iteratorINSA_10device_ptrIjEEEEPS6_NSA_18transform_iteratorI7is_evenIjESF_NSA_11use_defaultESK_EENS0_5tupleIJNSA_16discard_iteratorISK_EESF_EEENSM_IJSG_SG_EEES6_PlJS6_EEE10hipError_tPvRmT3_T4_T5_T6_T7_T9_mT8_P12ihipStream_tbDpT10_ENKUlT_T0_E_clISt17integral_constantIbLb0EES1A_IbLb1EEEEDaS16_S17_EUlS16_E_NS1_11comp_targetILNS1_3genE5ELNS1_11target_archE942ELNS1_3gpuE9ELNS1_3repE0EEENS1_30default_config_static_selectorELNS0_4arch9wavefront6targetE1EEEvT1_,comdat
	.protected	_ZN7rocprim17ROCPRIM_400000_NS6detail17trampoline_kernelINS0_14default_configENS1_25partition_config_selectorILNS1_17partition_subalgoE1EjNS0_10empty_typeEbEEZZNS1_14partition_implILS5_1ELb0ES3_jN6thrust23THRUST_200600_302600_NS6detail15normal_iteratorINSA_10device_ptrIjEEEEPS6_NSA_18transform_iteratorI7is_evenIjESF_NSA_11use_defaultESK_EENS0_5tupleIJNSA_16discard_iteratorISK_EESF_EEENSM_IJSG_SG_EEES6_PlJS6_EEE10hipError_tPvRmT3_T4_T5_T6_T7_T9_mT8_P12ihipStream_tbDpT10_ENKUlT_T0_E_clISt17integral_constantIbLb0EES1A_IbLb1EEEEDaS16_S17_EUlS16_E_NS1_11comp_targetILNS1_3genE5ELNS1_11target_archE942ELNS1_3gpuE9ELNS1_3repE0EEENS1_30default_config_static_selectorELNS0_4arch9wavefront6targetE1EEEvT1_ ; -- Begin function _ZN7rocprim17ROCPRIM_400000_NS6detail17trampoline_kernelINS0_14default_configENS1_25partition_config_selectorILNS1_17partition_subalgoE1EjNS0_10empty_typeEbEEZZNS1_14partition_implILS5_1ELb0ES3_jN6thrust23THRUST_200600_302600_NS6detail15normal_iteratorINSA_10device_ptrIjEEEEPS6_NSA_18transform_iteratorI7is_evenIjESF_NSA_11use_defaultESK_EENS0_5tupleIJNSA_16discard_iteratorISK_EESF_EEENSM_IJSG_SG_EEES6_PlJS6_EEE10hipError_tPvRmT3_T4_T5_T6_T7_T9_mT8_P12ihipStream_tbDpT10_ENKUlT_T0_E_clISt17integral_constantIbLb0EES1A_IbLb1EEEEDaS16_S17_EUlS16_E_NS1_11comp_targetILNS1_3genE5ELNS1_11target_archE942ELNS1_3gpuE9ELNS1_3repE0EEENS1_30default_config_static_selectorELNS0_4arch9wavefront6targetE1EEEvT1_
	.globl	_ZN7rocprim17ROCPRIM_400000_NS6detail17trampoline_kernelINS0_14default_configENS1_25partition_config_selectorILNS1_17partition_subalgoE1EjNS0_10empty_typeEbEEZZNS1_14partition_implILS5_1ELb0ES3_jN6thrust23THRUST_200600_302600_NS6detail15normal_iteratorINSA_10device_ptrIjEEEEPS6_NSA_18transform_iteratorI7is_evenIjESF_NSA_11use_defaultESK_EENS0_5tupleIJNSA_16discard_iteratorISK_EESF_EEENSM_IJSG_SG_EEES6_PlJS6_EEE10hipError_tPvRmT3_T4_T5_T6_T7_T9_mT8_P12ihipStream_tbDpT10_ENKUlT_T0_E_clISt17integral_constantIbLb0EES1A_IbLb1EEEEDaS16_S17_EUlS16_E_NS1_11comp_targetILNS1_3genE5ELNS1_11target_archE942ELNS1_3gpuE9ELNS1_3repE0EEENS1_30default_config_static_selectorELNS0_4arch9wavefront6targetE1EEEvT1_
	.p2align	8
	.type	_ZN7rocprim17ROCPRIM_400000_NS6detail17trampoline_kernelINS0_14default_configENS1_25partition_config_selectorILNS1_17partition_subalgoE1EjNS0_10empty_typeEbEEZZNS1_14partition_implILS5_1ELb0ES3_jN6thrust23THRUST_200600_302600_NS6detail15normal_iteratorINSA_10device_ptrIjEEEEPS6_NSA_18transform_iteratorI7is_evenIjESF_NSA_11use_defaultESK_EENS0_5tupleIJNSA_16discard_iteratorISK_EESF_EEENSM_IJSG_SG_EEES6_PlJS6_EEE10hipError_tPvRmT3_T4_T5_T6_T7_T9_mT8_P12ihipStream_tbDpT10_ENKUlT_T0_E_clISt17integral_constantIbLb0EES1A_IbLb1EEEEDaS16_S17_EUlS16_E_NS1_11comp_targetILNS1_3genE5ELNS1_11target_archE942ELNS1_3gpuE9ELNS1_3repE0EEENS1_30default_config_static_selectorELNS0_4arch9wavefront6targetE1EEEvT1_,@function
_ZN7rocprim17ROCPRIM_400000_NS6detail17trampoline_kernelINS0_14default_configENS1_25partition_config_selectorILNS1_17partition_subalgoE1EjNS0_10empty_typeEbEEZZNS1_14partition_implILS5_1ELb0ES3_jN6thrust23THRUST_200600_302600_NS6detail15normal_iteratorINSA_10device_ptrIjEEEEPS6_NSA_18transform_iteratorI7is_evenIjESF_NSA_11use_defaultESK_EENS0_5tupleIJNSA_16discard_iteratorISK_EESF_EEENSM_IJSG_SG_EEES6_PlJS6_EEE10hipError_tPvRmT3_T4_T5_T6_T7_T9_mT8_P12ihipStream_tbDpT10_ENKUlT_T0_E_clISt17integral_constantIbLb0EES1A_IbLb1EEEEDaS16_S17_EUlS16_E_NS1_11comp_targetILNS1_3genE5ELNS1_11target_archE942ELNS1_3gpuE9ELNS1_3repE0EEENS1_30default_config_static_selectorELNS0_4arch9wavefront6targetE1EEEvT1_: ; @_ZN7rocprim17ROCPRIM_400000_NS6detail17trampoline_kernelINS0_14default_configENS1_25partition_config_selectorILNS1_17partition_subalgoE1EjNS0_10empty_typeEbEEZZNS1_14partition_implILS5_1ELb0ES3_jN6thrust23THRUST_200600_302600_NS6detail15normal_iteratorINSA_10device_ptrIjEEEEPS6_NSA_18transform_iteratorI7is_evenIjESF_NSA_11use_defaultESK_EENS0_5tupleIJNSA_16discard_iteratorISK_EESF_EEENSM_IJSG_SG_EEES6_PlJS6_EEE10hipError_tPvRmT3_T4_T5_T6_T7_T9_mT8_P12ihipStream_tbDpT10_ENKUlT_T0_E_clISt17integral_constantIbLb0EES1A_IbLb1EEEEDaS16_S17_EUlS16_E_NS1_11comp_targetILNS1_3genE5ELNS1_11target_archE942ELNS1_3gpuE9ELNS1_3repE0EEENS1_30default_config_static_selectorELNS0_4arch9wavefront6targetE1EEEvT1_
; %bb.0:
	s_load_dwordx2 s[2:3], s[0:1], 0x20
	s_load_dwordx4 s[20:23], s[0:1], 0x58
	s_load_dwordx2 s[6:7], s[0:1], 0x68
	s_load_dwordx2 s[30:31], s[0:1], 0x78
	v_cmp_eq_u32_e64 s[18:19], 0, v0
	s_and_saveexec_b64 s[4:5], s[18:19]
	s_cbranch_execz .LBB3060_4
; %bb.1:
	s_mov_b64 s[10:11], exec
	v_mbcnt_lo_u32_b32 v1, s10, 0
	v_mbcnt_hi_u32_b32 v1, s11, v1
	v_cmp_eq_u32_e32 vcc, 0, v1
                                        ; implicit-def: $vgpr2
	s_and_saveexec_b64 s[8:9], vcc
	s_cbranch_execz .LBB3060_3
; %bb.2:
	s_load_dwordx2 s[12:13], s[0:1], 0x88
	s_bcnt1_i32_b64 s10, s[10:11]
	v_mov_b32_e32 v2, 0
	v_mov_b32_e32 v3, s10
	s_waitcnt lgkmcnt(0)
	global_atomic_add v2, v2, v3, s[12:13] sc0
.LBB3060_3:
	s_or_b64 exec, exec, s[8:9]
	s_waitcnt vmcnt(0)
	v_readfirstlane_b32 s8, v2
	v_mov_b32_e32 v2, 0
	s_nop 0
	v_add_u32_e32 v1, s8, v1
	ds_write_b32 v2, v1
.LBB3060_4:
	s_or_b64 exec, exec, s[4:5]
	v_mov_b32_e32 v23, 0
	s_load_dwordx4 s[24:27], s[0:1], 0x8
	s_load_dwordx2 s[28:29], s[0:1], 0x40
	s_load_dword s8, s[0:1], 0x80
	s_waitcnt lgkmcnt(0)
	s_barrier
	ds_read_b32 v1, v23
	s_waitcnt lgkmcnt(0)
	s_barrier
	global_load_dwordx2 v[24:25], v23, s[22:23]
	v_mov_b32_e32 v3, s7
	s_lshl_b64 s[4:5], s[26:27], 2
	s_movk_i32 s7, 0x1e00
	s_add_u32 s0, s24, s4
	v_mul_lo_u32 v22, v1, s7
	s_mul_i32 s7, s8, 0x1e00
	s_addc_u32 s1, s25, s5
	s_add_i32 s9, s8, -1
	s_add_i32 s8, s7, s26
	s_sub_i32 s33, s6, s8
	s_addk_i32 s33, 0x1e00
	v_mov_b32_e32 v2, s6
	s_add_u32 s6, s26, s7
	v_readfirstlane_b32 s38, v1
	s_addc_u32 s7, s27, 0
	s_cmp_eq_u32 s38, s9
	s_cselect_b64 s[22:23], -1, 0
	s_cmp_lg_u32 s38, s9
	v_cmp_lt_u64_e32 vcc, s[6:7], v[2:3]
	s_cselect_b64 s[6:7], -1, 0
	s_or_b64 s[24:25], vcc, s[6:7]
	v_lshlrev_b64 v[26:27], 2, v[22:23]
	v_lshl_add_u64 v[18:19], s[0:1], 0, v[26:27]
	s_mov_b64 s[0:1], -1
	s_and_b64 vcc, exec, s[24:25]
	v_lshlrev_b32_e32 v22, 2, v0
	s_cbranch_vccz .LBB3060_6
; %bb.5:
	v_lshl_add_u64 v[2:3], v[18:19], 0, v[22:23]
	v_add_co_u32_e32 v4, vcc, 0x1000, v2
	s_mov_b64 s[0:1], 0
	s_nop 0
	v_addc_co_u32_e32 v5, vcc, 0, v3, vcc
	v_add_co_u32_e32 v6, vcc, 0x2000, v2
	s_nop 1
	v_addc_co_u32_e32 v7, vcc, 0, v3, vcc
	v_add_co_u32_e32 v8, vcc, 0x3000, v2
	s_nop 1
	v_addc_co_u32_e32 v9, vcc, 0, v3, vcc
	flat_load_dword v1, v[2:3]
	flat_load_dword v10, v[2:3] offset:2048
	flat_load_dword v11, v[4:5]
	flat_load_dword v12, v[4:5] offset:2048
	;; [unrolled: 2-line block ×4, first 2 shown]
	v_add_co_u32_e32 v4, vcc, 0x4000, v2
	s_nop 1
	v_addc_co_u32_e32 v5, vcc, 0, v3, vcc
	v_add_co_u32_e32 v6, vcc, 0x5000, v2
	s_nop 1
	v_addc_co_u32_e32 v7, vcc, 0, v3, vcc
	;; [unrolled: 3-line block ×4, first 2 shown]
	flat_load_dword v17, v[4:5]
	flat_load_dword v20, v[4:5] offset:2048
	flat_load_dword v21, v[6:7]
	flat_load_dword v23, v[6:7] offset:2048
	;; [unrolled: 2-line block ×3, first 2 shown]
	flat_load_dword v30, v[2:3]
	s_waitcnt vmcnt(0) lgkmcnt(0)
	ds_write2st64_b32 v22, v1, v10 offset1:8
	ds_write2st64_b32 v22, v11, v12 offset0:16 offset1:24
	ds_write2st64_b32 v22, v13, v14 offset0:32 offset1:40
	;; [unrolled: 1-line block ×6, first 2 shown]
	ds_write_b32 v22, v30 offset:28672
	s_waitcnt lgkmcnt(0)
	s_barrier
.LBB3060_6:
	s_andn2_b64 vcc, exec, s[0:1]
	v_cmp_gt_u32_e64 s[0:1], s33, v0
	s_cbranch_vccnz .LBB3060_38
; %bb.7:
                                        ; implicit-def: $vgpr2_vgpr3_vgpr4_vgpr5_vgpr6_vgpr7_vgpr8_vgpr9_vgpr10_vgpr11_vgpr12_vgpr13_vgpr14_vgpr15_vgpr16_vgpr17
	s_and_saveexec_b64 s[6:7], s[0:1]
	s_cbranch_execz .LBB3060_9
; %bb.8:
	v_mov_b32_e32 v23, 0
	v_lshl_add_u64 v[2:3], v[18:19], 0, v[22:23]
	flat_load_dword v2, v[2:3]
.LBB3060_9:
	s_or_b64 exec, exec, s[6:7]
	v_or_b32_e32 v1, 0x200, v0
	v_cmp_gt_u32_e32 vcc, s33, v1
	s_and_saveexec_b64 s[0:1], vcc
	s_cbranch_execz .LBB3060_11
; %bb.10:
	v_mov_b32_e32 v23, 0
	v_lshl_add_u64 v[20:21], v[18:19], 0, v[22:23]
	flat_load_dword v3, v[20:21] offset:2048
.LBB3060_11:
	s_or_b64 exec, exec, s[0:1]
	v_or_b32_e32 v1, 0x400, v0
	v_cmp_gt_u32_e32 vcc, s33, v1
	s_and_saveexec_b64 s[0:1], vcc
	s_cbranch_execz .LBB3060_13
; %bb.12:
	v_lshlrev_b32_e32 v20, 2, v1
	v_mov_b32_e32 v21, 0
	v_lshl_add_u64 v[20:21], v[18:19], 0, v[20:21]
	flat_load_dword v4, v[20:21]
.LBB3060_13:
	s_or_b64 exec, exec, s[0:1]
	v_or_b32_e32 v1, 0x600, v0
	v_cmp_gt_u32_e32 vcc, s33, v1
	s_and_saveexec_b64 s[0:1], vcc
	s_cbranch_execz .LBB3060_15
; %bb.14:
	v_lshlrev_b32_e32 v20, 2, v1
	v_mov_b32_e32 v21, 0
	v_lshl_add_u64 v[20:21], v[18:19], 0, v[20:21]
	flat_load_dword v5, v[20:21]
.LBB3060_15:
	;; [unrolled: 11-line block ×13, first 2 shown]
	s_or_b64 exec, exec, s[0:1]
	s_waitcnt vmcnt(0) lgkmcnt(0)
	ds_write2st64_b32 v22, v2, v3 offset1:8
	ds_write2st64_b32 v22, v4, v5 offset0:16 offset1:24
	ds_write2st64_b32 v22, v6, v7 offset0:32 offset1:40
	;; [unrolled: 1-line block ×6, first 2 shown]
	ds_write_b32 v22, v16 offset:28672
	s_waitcnt lgkmcnt(0)
	s_barrier
.LBB3060_38:
	v_mul_u32_u24_e32 v21, 15, v0
	v_lshlrev_b32_e32 v1, 2, v21
	ds_read2_b32 v[40:41], v1 offset1:1
	ds_read2_b32 v[38:39], v1 offset0:2 offset1:3
	ds_read2_b32 v[36:37], v1 offset0:4 offset1:5
	;; [unrolled: 1-line block ×6, first 2 shown]
	ds_read_b32 v1, v1 offset:56
	s_add_u32 s0, s2, s4
	s_addc_u32 s1, s3, s5
	v_lshl_add_u64 v[2:3], s[0:1], 0, v[26:27]
	s_mov_b64 s[0:1], -1
	s_and_b64 vcc, exec, s[24:25]
	s_waitcnt lgkmcnt(0)
	s_barrier
	s_cbranch_vccz .LBB3060_40
; %bb.39:
	v_mov_b32_e32 v23, 0
	v_lshl_add_u64 v[4:5], v[2:3], 0, v[22:23]
	v_add_co_u32_e32 v6, vcc, 0x1000, v4
	v_readfirstlane_b32 s0, v2
	s_nop 0
	v_addc_co_u32_e32 v7, vcc, 0, v5, vcc
	v_add_co_u32_e32 v8, vcc, 0x2000, v4
	v_readfirstlane_b32 s1, v3
	s_nop 0
	v_addc_co_u32_e32 v9, vcc, 0, v5, vcc
	s_nop 2
	global_load_dword v10, v22, s[0:1]
	global_load_dword v11, v22, s[0:1] offset:2048
	global_load_dword v12, v[6:7], off
	global_load_dword v13, v[6:7], off offset:2048
	global_load_dword v14, v[8:9], off
	global_load_dword v15, v[8:9], off offset:2048
	v_add_co_u32_e32 v6, vcc, 0x3000, v4
	s_mov_b64 s[0:1], 0
	s_nop 0
	v_addc_co_u32_e32 v7, vcc, 0, v5, vcc
	v_add_co_u32_e32 v8, vcc, 0x4000, v4
	s_nop 1
	v_addc_co_u32_e32 v9, vcc, 0, v5, vcc
	global_load_dword v16, v[6:7], off
	global_load_dword v17, v[6:7], off offset:2048
	global_load_dword v18, v[8:9], off
	global_load_dword v19, v[8:9], off offset:2048
	v_add_co_u32_e32 v6, vcc, 0x5000, v4
	s_nop 1
	v_addc_co_u32_e32 v7, vcc, 0, v5, vcc
	global_load_dword v8, v[6:7], off
	global_load_dword v9, v[6:7], off offset:2048
	v_add_co_u32_e32 v6, vcc, 0x6000, v4
	s_waitcnt vmcnt(1)
	v_xor_b32_e32 v8, -1, v8
	v_addc_co_u32_e32 v7, vcc, 0, v5, vcc
	v_add_co_u32_e32 v4, vcc, 0x7000, v4
	global_load_dword v20, v[6:7], off
	global_load_dword v23, v[6:7], off offset:2048
	v_addc_co_u32_e32 v5, vcc, 0, v5, vcc
	global_load_dword v4, v[4:5], off
	v_xor_b32_e32 v5, -1, v10
	v_xor_b32_e32 v6, -1, v11
	v_and_b32_e32 v5, 1, v5
	v_and_b32_e32 v6, 1, v6
	ds_write_b8 v0, v5
	ds_write_b8 v0, v6 offset:512
	v_xor_b32_e32 v5, -1, v12
	v_xor_b32_e32 v6, -1, v13
	v_and_b32_e32 v5, 1, v5
	v_and_b32_e32 v6, 1, v6
	v_xor_b32_e32 v7, -1, v14
	v_xor_b32_e32 v11, -1, v16
	v_xor_b32_e32 v12, -1, v17
	v_xor_b32_e32 v10, -1, v15
	v_and_b32_e32 v7, 1, v7
	ds_write_b8 v0, v5 offset:1024
	ds_write_b8 v0, v6 offset:1536
	v_and_b32_e32 v5, 1, v11
	v_and_b32_e32 v6, 1, v12
	v_xor_b32_e32 v11, -1, v18
	s_waitcnt vmcnt(3)
	v_xor_b32_e32 v9, -1, v9
	v_and_b32_e32 v10, 1, v10
	v_xor_b32_e32 v12, -1, v19
	ds_write_b8 v0, v7 offset:2048
	ds_write_b8 v0, v10 offset:2560
	v_and_b32_e32 v7, 1, v11
	ds_write_b8 v0, v5 offset:3072
	ds_write_b8 v0, v6 offset:3584
	v_and_b32_e32 v5, 1, v8
	v_and_b32_e32 v6, 1, v9
	;; [unrolled: 1-line block ×3, first 2 shown]
	s_waitcnt vmcnt(2)
	v_xor_b32_e32 v8, -1, v20
	s_waitcnt vmcnt(1)
	v_xor_b32_e32 v9, -1, v23
	v_and_b32_e32 v8, 1, v8
	v_and_b32_e32 v9, 1, v9
	s_waitcnt vmcnt(0)
	v_xor_b32_e32 v4, -1, v4
	v_and_b32_e32 v4, 1, v4
	ds_write_b8 v0, v7 offset:4096
	ds_write_b8 v0, v10 offset:4608
	ds_write_b8 v0, v5 offset:5120
	ds_write_b8 v0, v6 offset:5632
	ds_write_b8 v0, v8 offset:6144
	ds_write_b8 v0, v9 offset:6656
	ds_write_b8 v0, v4 offset:7168
	s_waitcnt lgkmcnt(0)
	s_barrier
.LBB3060_40:
	s_andn2_b64 vcc, exec, s[0:1]
	s_cbranch_vccnz .LBB3060_72
; %bb.41:
	v_cmp_gt_u32_e32 vcc, s33, v0
	v_mov_b32_e32 v4, 0
	v_mov_b32_e32 v5, 0
	s_and_saveexec_b64 s[0:1], vcc
	s_cbranch_execz .LBB3060_43
; %bb.42:
	v_readfirstlane_b32 s2, v2
	v_readfirstlane_b32 s3, v3
	s_nop 4
	global_load_dword v5, v22, s[2:3]
	s_waitcnt vmcnt(0)
	v_xor_b32_e32 v5, -1, v5
	v_and_b32_e32 v5, 1, v5
.LBB3060_43:
	s_or_b64 exec, exec, s[0:1]
	v_or_b32_e32 v6, 0x200, v0
	v_cmp_gt_u32_e32 vcc, s33, v6
	s_and_saveexec_b64 s[0:1], vcc
	s_cbranch_execz .LBB3060_45
; %bb.44:
	v_readfirstlane_b32 s2, v2
	v_readfirstlane_b32 s3, v3
	s_nop 4
	global_load_dword v4, v22, s[2:3] offset:2048
	s_waitcnt vmcnt(0)
	v_xor_b32_e32 v4, -1, v4
	v_and_b32_e32 v4, 1, v4
.LBB3060_45:
	s_or_b64 exec, exec, s[0:1]
	v_or_b32_e32 v8, 0x400, v0
	v_cmp_gt_u32_e32 vcc, s33, v8
	v_mov_b32_e32 v6, 0
	v_mov_b32_e32 v7, 0
	s_and_saveexec_b64 s[0:1], vcc
	s_cbranch_execz .LBB3060_47
; %bb.46:
	v_lshlrev_b32_e32 v7, 2, v8
	v_readfirstlane_b32 s2, v2
	v_readfirstlane_b32 s3, v3
	s_nop 4
	global_load_dword v7, v7, s[2:3]
	s_waitcnt vmcnt(0)
	v_xor_b32_e32 v7, -1, v7
	v_and_b32_e32 v7, 1, v7
.LBB3060_47:
	s_or_b64 exec, exec, s[0:1]
	v_or_b32_e32 v8, 0x600, v0
	v_cmp_gt_u32_e32 vcc, s33, v8
	s_and_saveexec_b64 s[0:1], vcc
	s_cbranch_execz .LBB3060_49
; %bb.48:
	v_lshlrev_b32_e32 v6, 2, v8
	v_readfirstlane_b32 s2, v2
	v_readfirstlane_b32 s3, v3
	s_nop 4
	global_load_dword v6, v6, s[2:3]
	s_waitcnt vmcnt(0)
	v_xor_b32_e32 v6, -1, v6
	v_and_b32_e32 v6, 1, v6
.LBB3060_49:
	s_or_b64 exec, exec, s[0:1]
	v_or_b32_e32 v10, 0x800, v0
	v_cmp_gt_u32_e32 vcc, s33, v10
	v_mov_b32_e32 v8, 0
	v_mov_b32_e32 v9, 0
	s_and_saveexec_b64 s[0:1], vcc
	s_cbranch_execz .LBB3060_51
; %bb.50:
	v_lshlrev_b32_e32 v9, 2, v10
	v_readfirstlane_b32 s2, v2
	v_readfirstlane_b32 s3, v3
	s_nop 4
	global_load_dword v9, v9, s[2:3]
	s_waitcnt vmcnt(0)
	v_xor_b32_e32 v9, -1, v9
	v_and_b32_e32 v9, 1, v9
.LBB3060_51:
	s_or_b64 exec, exec, s[0:1]
	v_or_b32_e32 v10, 0xa00, v0
	v_cmp_gt_u32_e32 vcc, s33, v10
	s_and_saveexec_b64 s[0:1], vcc
	s_cbranch_execz .LBB3060_53
; %bb.52:
	v_lshlrev_b32_e32 v8, 2, v10
	v_readfirstlane_b32 s2, v2
	v_readfirstlane_b32 s3, v3
	s_nop 4
	global_load_dword v8, v8, s[2:3]
	s_waitcnt vmcnt(0)
	v_xor_b32_e32 v8, -1, v8
	v_and_b32_e32 v8, 1, v8
.LBB3060_53:
	;; [unrolled: 32-line block ×6, first 2 shown]
	s_or_b64 exec, exec, s[0:1]
	v_or_b32_e32 v19, 0x1c00, v0
	v_cmp_gt_u32_e32 vcc, s33, v19
	v_mov_b32_e32 v18, 0
	s_and_saveexec_b64 s[0:1], vcc
	s_cbranch_execz .LBB3060_71
; %bb.70:
	v_lshlrev_b32_e32 v18, 2, v19
	v_readfirstlane_b32 s2, v2
	v_readfirstlane_b32 s3, v3
	s_nop 4
	global_load_dword v2, v18, s[2:3]
	s_waitcnt vmcnt(0)
	v_xor_b32_e32 v2, -1, v2
	v_and_b32_e32 v18, 1, v2
.LBB3060_71:
	s_or_b64 exec, exec, s[0:1]
	ds_write_b8 v0, v5
	ds_write_b8 v0, v4 offset:512
	ds_write_b8 v0, v7 offset:1024
	;; [unrolled: 1-line block ×14, first 2 shown]
	s_waitcnt lgkmcnt(0)
	s_barrier
.LBB3060_72:
	ds_read_b96 v[18:20], v21
	ds_read_u8 v2, v21 offset:12
	ds_read_u8 v3, v21 offset:13
	;; [unrolled: 1-line block ×3, first 2 shown]
	s_cmp_lg_u32 s38, 0
	v_lshrrev_b32_e32 v60, 6, v0
	s_waitcnt lgkmcnt(2)
	v_and_b32_e32 v47, 1, v2
	v_and_b32_e32 v56, 0xff, v18
	v_bfe_u32 v57, v18, 8, 8
	v_bfe_u32 v58, v18, 16, 8
	v_lshrrev_b32_e32 v49, 24, v18
	v_and_b32_e32 v53, 0xff, v19
	v_add3_u32 v2, v57, v56, v58
	v_bfe_u32 v54, v19, 8, 8
	v_bfe_u32 v55, v19, 16, 8
	v_add3_u32 v2, v2, v49, v53
	v_lshrrev_b32_e32 v48, 24, v19
	v_and_b32_e32 v50, 0xff, v20
	v_add3_u32 v2, v2, v54, v55
	v_bfe_u32 v51, v20, 8, 8
	v_bfe_u32 v52, v20, 16, 8
	v_add3_u32 v2, v2, v48, v50
	v_lshrrev_b32_e32 v46, 24, v20
	v_add3_u32 v2, v2, v51, v52
	s_waitcnt lgkmcnt(1)
	v_and_b32_e32 v45, 1, v3
	s_waitcnt lgkmcnt(0)
	v_and_b32_e32 v23, 1, v4
	v_add3_u32 v2, v2, v46, v47
	v_add3_u32 v61, v2, v45, v23
	v_mbcnt_lo_u32_b32 v2, -1, 0
	v_mbcnt_hi_u32_b32 v59, -1, v2
	v_and_b32_e32 v2, 15, v59
	v_cmp_eq_u32_e64 s[14:15], 0, v2
	v_cmp_lt_u32_e64 s[12:13], 1, v2
	v_cmp_lt_u32_e64 s[10:11], 3, v2
	;; [unrolled: 1-line block ×3, first 2 shown]
	v_and_b32_e32 v2, 16, v59
	v_cmp_eq_u32_e64 s[6:7], 0, v2
	v_or_b32_e32 v2, 63, v0
	v_cmp_lt_u32_e64 s[2:3], 31, v59
	v_cmp_eq_u32_e64 s[4:5], v2, v0
	s_barrier
	s_cbranch_scc0 .LBB3060_99
; %bb.73:
	v_mov_b32_dpp v2, v61 row_shr:1 row_mask:0xf bank_mask:0xf
	v_cndmask_b32_e64 v2, v2, 0, s[14:15]
	v_add_u32_e32 v2, v2, v61
	s_nop 1
	v_mov_b32_dpp v3, v2 row_shr:2 row_mask:0xf bank_mask:0xf
	v_cndmask_b32_e64 v3, 0, v3, s[12:13]
	v_add_u32_e32 v2, v2, v3
	s_nop 1
	;; [unrolled: 4-line block ×4, first 2 shown]
	v_mov_b32_dpp v3, v2 row_bcast:15 row_mask:0xf bank_mask:0xf
	v_cndmask_b32_e64 v3, v3, 0, s[6:7]
	v_add_u32_e32 v2, v2, v3
	s_nop 1
	v_mov_b32_dpp v3, v2 row_bcast:31 row_mask:0xf bank_mask:0xf
	v_cndmask_b32_e64 v3, 0, v3, s[2:3]
	v_add_u32_e32 v2, v2, v3
	s_and_saveexec_b64 s[0:1], s[4:5]
	s_cbranch_execz .LBB3060_75
; %bb.74:
	v_lshlrev_b32_e32 v3, 2, v60
	ds_write_b32 v3, v2
.LBB3060_75:
	s_or_b64 exec, exec, s[0:1]
	v_cmp_gt_u32_e32 vcc, 8, v0
	s_waitcnt lgkmcnt(0)
	s_barrier
	s_and_saveexec_b64 s[0:1], vcc
	s_cbranch_execz .LBB3060_77
; %bb.76:
	ds_read_b32 v3, v22
	v_and_b32_e32 v4, 7, v59
	v_cmp_ne_u32_e32 vcc, 0, v4
	s_waitcnt lgkmcnt(0)
	v_mov_b32_dpp v5, v3 row_shr:1 row_mask:0xf bank_mask:0xf
	v_cndmask_b32_e32 v5, 0, v5, vcc
	v_add_u32_e32 v3, v5, v3
	v_cmp_lt_u32_e32 vcc, 1, v4
	s_nop 0
	v_mov_b32_dpp v5, v3 row_shr:2 row_mask:0xf bank_mask:0xf
	v_cndmask_b32_e32 v5, 0, v5, vcc
	v_add_u32_e32 v3, v3, v5
	v_cmp_lt_u32_e32 vcc, 3, v4
	s_nop 0
	v_mov_b32_dpp v5, v3 row_shr:4 row_mask:0xf bank_mask:0xf
	v_cndmask_b32_e32 v4, 0, v5, vcc
	v_add_u32_e32 v3, v3, v4
	ds_write_b32 v22, v3
.LBB3060_77:
	s_or_b64 exec, exec, s[0:1]
	v_cmp_gt_u32_e32 vcc, 64, v0
	v_cmp_lt_u32_e64 s[0:1], 63, v0
	s_waitcnt lgkmcnt(0)
	s_barrier
	s_waitcnt lgkmcnt(0)
                                        ; implicit-def: $vgpr12
	s_and_saveexec_b64 s[16:17], s[0:1]
	s_cbranch_execz .LBB3060_79
; %bb.78:
	v_lshl_add_u32 v3, v60, 2, -4
	ds_read_b32 v12, v3
	s_waitcnt lgkmcnt(0)
	v_add_u32_e32 v2, v12, v2
.LBB3060_79:
	s_or_b64 exec, exec, s[16:17]
	v_add_u32_e32 v3, -1, v59
	v_and_b32_e32 v4, 64, v59
	v_cmp_lt_i32_e64 s[0:1], v3, v4
	v_cmp_eq_u32_e64 s[16:17], 0, v59
	s_nop 0
	v_cndmask_b32_e64 v3, v3, v59, s[0:1]
	v_lshlrev_b32_e32 v3, 2, v3
	ds_bpermute_b32 v13, v3, v2
	s_and_saveexec_b64 s[0:1], vcc
	s_cbranch_execz .LBB3060_98
; %bb.80:
	v_mov_b32_e32 v9, 0
	ds_read_b32 v2, v9 offset:28
	s_and_saveexec_b64 s[34:35], s[16:17]
	s_cbranch_execz .LBB3060_82
; %bb.81:
	s_add_i32 s36, s38, 64
	s_mov_b32 s37, 0
	s_lshl_b64 s[36:37], s[36:37], 3
	s_add_u32 s36, s30, s36
	v_mov_b32_e32 v3, 1
	s_addc_u32 s37, s31, s37
	s_waitcnt lgkmcnt(0)
	global_store_dwordx2 v9, v[2:3], s[36:37] sc1
.LBB3060_82:
	s_or_b64 exec, exec, s[34:35]
	v_xad_u32 v4, v59, -1, s38
	v_add_u32_e32 v8, 64, v4
	v_lshl_add_u64 v[10:11], v[8:9], 3, s[30:31]
	global_load_dwordx2 v[6:7], v[10:11], off sc1
	s_waitcnt vmcnt(0)
	v_cmp_eq_u16_sdwa s[36:37], v7, v9 src0_sel:BYTE_0 src1_sel:DWORD
	s_and_saveexec_b64 s[34:35], s[36:37]
	s_cbranch_execz .LBB3060_86
; %bb.83:
	s_mov_b64 s[36:37], 0
	v_mov_b32_e32 v3, 0
.LBB3060_84:                            ; =>This Inner Loop Header: Depth=1
	global_load_dwordx2 v[6:7], v[10:11], off sc1
	s_waitcnt vmcnt(0)
	v_cmp_ne_u16_sdwa s[40:41], v7, v3 src0_sel:BYTE_0 src1_sel:DWORD
	s_or_b64 s[36:37], s[40:41], s[36:37]
	s_andn2_b64 exec, exec, s[36:37]
	s_cbranch_execnz .LBB3060_84
; %bb.85:
	s_or_b64 exec, exec, s[36:37]
.LBB3060_86:
	s_or_b64 exec, exec, s[34:35]
	v_and_b32_e32 v15, 63, v59
	v_mov_b32_e32 v14, 2
	v_cmp_ne_u32_e32 vcc, 63, v15
	v_cmp_eq_u16_sdwa s[34:35], v7, v14 src0_sel:BYTE_0 src1_sel:DWORD
	v_lshlrev_b64 v[8:9], v59, -1
	v_addc_co_u32_e32 v10, vcc, 0, v59, vcc
	v_and_b32_e32 v3, s35, v9
	v_lshlrev_b32_e32 v16, 2, v10
	v_or_b32_e32 v3, 0x80000000, v3
	ds_bpermute_b32 v10, v16, v6
	v_and_b32_e32 v5, s34, v8
	v_ffbl_b32_e32 v3, v3
	v_add_u32_e32 v3, 32, v3
	v_ffbl_b32_e32 v5, v5
	v_min_u32_e32 v3, v5, v3
	v_cmp_lt_u32_e32 vcc, v15, v3
	v_add_u32_e32 v42, 2, v15
	v_add_u32_e32 v44, 4, v15
	s_waitcnt lgkmcnt(0)
	v_cndmask_b32_e32 v5, 0, v10, vcc
	v_cmp_gt_u32_e32 vcc, 62, v15
	v_add_u32_e32 v5, v5, v6
	v_add_u32_e32 v63, 8, v15
	v_cndmask_b32_e64 v6, 0, 1, vcc
	v_lshlrev_b32_e32 v6, 1, v6
	v_add_lshl_u32 v17, v6, v59, 2
	ds_bpermute_b32 v6, v17, v5
	v_cmp_le_u32_e32 vcc, v42, v3
	v_add_u32_e32 v65, 16, v15
	v_add_u32_e32 v67, 32, v15
	s_waitcnt lgkmcnt(0)
	v_cndmask_b32_e32 v6, 0, v6, vcc
	v_cmp_gt_u32_e32 vcc, 60, v15
	v_add_u32_e32 v5, v5, v6
	s_nop 0
	v_cndmask_b32_e64 v6, 0, 1, vcc
	v_lshlrev_b32_e32 v6, 2, v6
	v_add_lshl_u32 v43, v6, v59, 2
	ds_bpermute_b32 v6, v43, v5
	v_cmp_le_u32_e32 vcc, v44, v3
	s_waitcnt lgkmcnt(0)
	s_nop 0
	v_cndmask_b32_e32 v6, 0, v6, vcc
	v_cmp_gt_u32_e32 vcc, 56, v15
	v_add_u32_e32 v5, v5, v6
	s_nop 0
	v_cndmask_b32_e64 v6, 0, 1, vcc
	v_lshlrev_b32_e32 v6, 3, v6
	v_add_lshl_u32 v62, v6, v59, 2
	ds_bpermute_b32 v6, v62, v5
	v_cmp_le_u32_e32 vcc, v63, v3
	s_waitcnt lgkmcnt(0)
	s_nop 0
	;; [unrolled: 11-line block ×4, first 2 shown]
	v_cndmask_b32_e32 v3, 0, v6, vcc
	v_add_u32_e32 v6, v5, v3
	v_mov_b32_e32 v5, 0
	s_branch .LBB3060_88
.LBB3060_87:                            ;   in Loop: Header=BB3060_88 Depth=1
	s_or_b64 exec, exec, s[34:35]
	v_cmp_eq_u16_sdwa s[34:35], v7, v14 src0_sel:BYTE_0 src1_sel:DWORD
	ds_bpermute_b32 v68, v16, v6
	v_subrev_u32_e32 v4, 64, v4
	v_and_b32_e32 v10, s35, v9
	v_or_b32_e32 v10, 0x80000000, v10
	v_and_b32_e32 v11, s34, v8
	v_ffbl_b32_e32 v10, v10
	v_add_u32_e32 v10, 32, v10
	v_ffbl_b32_e32 v11, v11
	v_min_u32_e32 v10, v11, v10
	v_cmp_lt_u32_e32 vcc, v15, v10
	s_waitcnt lgkmcnt(0)
	s_nop 0
	v_cndmask_b32_e32 v11, 0, v68, vcc
	v_add_u32_e32 v6, v11, v6
	ds_bpermute_b32 v11, v17, v6
	v_cmp_le_u32_e32 vcc, v42, v10
	s_waitcnt lgkmcnt(0)
	s_nop 0
	v_cndmask_b32_e32 v11, 0, v11, vcc
	v_add_u32_e32 v6, v6, v11
	ds_bpermute_b32 v11, v43, v6
	v_cmp_le_u32_e32 vcc, v44, v10
	;; [unrolled: 6-line block ×5, first 2 shown]
	s_waitcnt lgkmcnt(0)
	s_nop 0
	v_cndmask_b32_e32 v10, 0, v11, vcc
	v_add3_u32 v6, v10, v3, v6
.LBB3060_88:                            ; =>This Loop Header: Depth=1
                                        ;     Child Loop BB3060_91 Depth 2
	v_cmp_ne_u16_sdwa s[34:35], v7, v14 src0_sel:BYTE_0 src1_sel:DWORD
	s_nop 1
	v_cndmask_b32_e64 v3, 0, 1, s[34:35]
	;;#ASMSTART
	;;#ASMEND
	s_nop 0
	v_cmp_ne_u32_e32 vcc, 0, v3
	s_cmp_lg_u64 vcc, exec
	v_mov_b32_e32 v3, v6
	s_cbranch_scc1 .LBB3060_93
; %bb.89:                               ;   in Loop: Header=BB3060_88 Depth=1
	v_lshl_add_u64 v[10:11], v[4:5], 3, s[30:31]
	global_load_dwordx2 v[6:7], v[10:11], off sc1
	s_waitcnt vmcnt(0)
	v_cmp_eq_u16_sdwa s[36:37], v7, v5 src0_sel:BYTE_0 src1_sel:DWORD
	s_and_saveexec_b64 s[34:35], s[36:37]
	s_cbranch_execz .LBB3060_87
; %bb.90:                               ;   in Loop: Header=BB3060_88 Depth=1
	s_mov_b64 s[36:37], 0
.LBB3060_91:                            ;   Parent Loop BB3060_88 Depth=1
                                        ; =>  This Inner Loop Header: Depth=2
	global_load_dwordx2 v[6:7], v[10:11], off sc1
	s_waitcnt vmcnt(0)
	v_cmp_ne_u16_sdwa s[40:41], v7, v5 src0_sel:BYTE_0 src1_sel:DWORD
	s_or_b64 s[36:37], s[40:41], s[36:37]
	s_andn2_b64 exec, exec, s[36:37]
	s_cbranch_execnz .LBB3060_91
; %bb.92:                               ;   in Loop: Header=BB3060_88 Depth=1
	s_or_b64 exec, exec, s[36:37]
	s_branch .LBB3060_87
.LBB3060_93:                            ;   in Loop: Header=BB3060_88 Depth=1
                                        ; implicit-def: $vgpr6
                                        ; implicit-def: $vgpr7
	s_cbranch_execz .LBB3060_88
; %bb.94:
	s_and_saveexec_b64 s[34:35], s[16:17]
	s_cbranch_execz .LBB3060_96
; %bb.95:
	s_add_i32 s36, s38, 64
	s_mov_b32 s37, 0
	s_lshl_b64 s[36:37], s[36:37], 3
	s_add_u32 s36, s30, s36
	v_add_u32_e32 v4, v3, v2
	v_mov_b32_e32 v5, 2
	s_addc_u32 s37, s31, s37
	v_mov_b32_e32 v6, 0
	global_store_dwordx2 v6, v[4:5], s[36:37] sc1
	ds_write_b64 v6, v[2:3] offset:30720
.LBB3060_96:
	s_or_b64 exec, exec, s[34:35]
	s_and_b64 exec, exec, s[18:19]
	s_cbranch_execz .LBB3060_98
; %bb.97:
	v_mov_b32_e32 v2, 0
	ds_write_b32 v2, v3 offset:28
.LBB3060_98:
	s_or_b64 exec, exec, s[0:1]
	v_mov_b32_e32 v14, 0
	s_waitcnt lgkmcnt(0)
	s_barrier
	ds_read_b32 v2, v14 offset:28
	v_cndmask_b32_e64 v3, v13, v12, s[16:17]
	v_cndmask_b32_e64 v3, v3, 0, s[18:19]
	s_waitcnt lgkmcnt(0)
	s_barrier
	v_add_u32_e32 v2, v2, v3
	v_add_u32_e32 v3, v2, v56
	;; [unrolled: 1-line block ×10, first 2 shown]
	ds_read_b64 v[42:43], v14 offset:30720
	v_add_u32_e32 v12, v11, v51
	v_add_u32_e32 v13, v12, v52
	;; [unrolled: 1-line block ×5, first 2 shown]
	s_waitcnt lgkmcnt(0)
	v_mov_b32_e32 v44, v43
	s_branch .LBB3060_109
.LBB3060_99:
                                        ; implicit-def: $vgpr44
                                        ; implicit-def: $vgpr42
                                        ; implicit-def: $vgpr2_vgpr3_vgpr4_vgpr5_vgpr6_vgpr7_vgpr8_vgpr9_vgpr10_vgpr11_vgpr12_vgpr13_vgpr14_vgpr15_vgpr16_vgpr17
	s_cbranch_execz .LBB3060_109
; %bb.100:
	s_nop 0
	v_mov_b32_dpp v2, v61 row_shr:1 row_mask:0xf bank_mask:0xf
	v_cndmask_b32_e64 v2, v2, 0, s[14:15]
	v_add_u32_e32 v2, v2, v61
	s_nop 1
	v_mov_b32_dpp v3, v2 row_shr:2 row_mask:0xf bank_mask:0xf
	v_cndmask_b32_e64 v3, 0, v3, s[12:13]
	v_add_u32_e32 v2, v2, v3
	;; [unrolled: 4-line block ×4, first 2 shown]
	s_nop 1
	v_mov_b32_dpp v3, v2 row_bcast:15 row_mask:0xf bank_mask:0xf
	v_cndmask_b32_e64 v3, v3, 0, s[6:7]
	v_add_u32_e32 v2, v2, v3
	s_nop 1
	v_mov_b32_dpp v3, v2 row_bcast:31 row_mask:0xf bank_mask:0xf
	v_cndmask_b32_e64 v3, 0, v3, s[2:3]
	v_add_u32_e32 v2, v2, v3
	s_and_saveexec_b64 s[0:1], s[4:5]
	s_cbranch_execz .LBB3060_102
; %bb.101:
	v_lshlrev_b32_e32 v3, 2, v60
	ds_write_b32 v3, v2
.LBB3060_102:
	s_or_b64 exec, exec, s[0:1]
	v_cmp_gt_u32_e32 vcc, 8, v0
	s_waitcnt lgkmcnt(0)
	s_barrier
	s_and_saveexec_b64 s[0:1], vcc
	s_cbranch_execz .LBB3060_104
; %bb.103:
	v_mad_i32_i24 v3, v0, -11, v21
	ds_read_b32 v4, v3
	v_and_b32_e32 v5, 7, v59
	v_cmp_ne_u32_e32 vcc, 0, v5
	s_waitcnt lgkmcnt(0)
	v_mov_b32_dpp v6, v4 row_shr:1 row_mask:0xf bank_mask:0xf
	v_cndmask_b32_e32 v6, 0, v6, vcc
	v_add_u32_e32 v4, v6, v4
	v_cmp_lt_u32_e32 vcc, 1, v5
	s_nop 0
	v_mov_b32_dpp v6, v4 row_shr:2 row_mask:0xf bank_mask:0xf
	v_cndmask_b32_e32 v6, 0, v6, vcc
	v_add_u32_e32 v4, v4, v6
	v_cmp_lt_u32_e32 vcc, 3, v5
	s_nop 0
	v_mov_b32_dpp v6, v4 row_shr:4 row_mask:0xf bank_mask:0xf
	v_cndmask_b32_e32 v5, 0, v6, vcc
	v_add_u32_e32 v4, v4, v5
	ds_write_b32 v3, v4
.LBB3060_104:
	s_or_b64 exec, exec, s[0:1]
	v_cmp_lt_u32_e32 vcc, 63, v0
	v_mov_b32_e32 v4, 0
	v_mov_b32_e32 v3, 0
	s_waitcnt lgkmcnt(0)
	s_barrier
	s_and_saveexec_b64 s[0:1], vcc
	s_cbranch_execz .LBB3060_106
; %bb.105:
	v_lshl_add_u32 v3, v60, 2, -4
	ds_read_b32 v3, v3
.LBB3060_106:
	s_or_b64 exec, exec, s[0:1]
	v_add_u32_e32 v5, -1, v59
	v_and_b32_e32 v6, 64, v59
	v_cmp_lt_i32_e32 vcc, v5, v6
	s_waitcnt lgkmcnt(0)
	v_add_u32_e32 v2, v3, v2
	ds_read_b32 v42, v4 offset:28
	v_cndmask_b32_e32 v5, v5, v59, vcc
	v_lshlrev_b32_e32 v5, 2, v5
	ds_bpermute_b32 v2, v5, v2
	s_and_saveexec_b64 s[0:1], s[18:19]
	s_cbranch_execz .LBB3060_108
; %bb.107:
	v_mov_b32_e32 v4, 0
	v_mov_b32_e32 v43, 2
	s_waitcnt lgkmcnt(1)
	global_store_dwordx2 v4, v[42:43], s[30:31] offset:512 sc1
.LBB3060_108:
	s_or_b64 exec, exec, s[0:1]
	v_cmp_eq_u32_e32 vcc, 0, v59
	v_mov_b32_e32 v44, 0
	s_waitcnt lgkmcnt(0)
	v_cndmask_b32_e32 v2, v2, v3, vcc
	v_cndmask_b32_e64 v2, v2, 0, s[18:19]
	v_add_u32_e32 v3, v2, v56
	v_add_u32_e32 v4, v3, v57
	;; [unrolled: 1-line block ×14, first 2 shown]
	s_barrier
.LBB3060_109:
	v_add_u32_e32 v21, v42, v21
	v_sub_u32_e32 v2, v2, v44
	v_and_b32_e32 v52, 1, v18
	v_sub_u32_e32 v51, v21, v2
	v_cmp_eq_u32_e32 vcc, 1, v52
	v_lshrrev_b32_e32 v50, 8, v18
	v_lshrrev_b32_e32 v43, 8, v19
	v_cndmask_b32_e32 v2, v51, v2, vcc
	v_lshlrev_b32_e32 v2, 2, v2
	ds_write_b32 v2, v40
	v_sub_u32_e32 v2, v3, v44
	v_sub_u32_e32 v3, v21, v2
	v_and_b32_e32 v40, 1, v50
	v_add_u32_e32 v3, 1, v3
	v_cmp_eq_u32_e32 vcc, 1, v40
	v_lshrrev_b32_e32 v17, 8, v20
	v_cmp_le_u32_e64 s[0:1], v42, v0
	v_cndmask_b32_e32 v2, v3, v2, vcc
	v_lshlrev_b32_e32 v2, 2, v2
	ds_write_b32 v2, v41
	v_sub_u32_e32 v2, v4, v44
	v_mov_b32_e32 v4, 1
	v_sub_u32_e32 v3, v21, v2
	v_and_b32_sdwa v18, v4, v18 dst_sel:DWORD dst_unused:UNUSED_PAD src0_sel:DWORD src1_sel:WORD_1
	v_add_u32_e32 v3, 2, v3
	v_cmp_eq_u32_e32 vcc, 1, v18
	s_nop 1
	v_cndmask_b32_e32 v2, v3, v2, vcc
	v_lshlrev_b32_e32 v2, 2, v2
	ds_write_b32 v2, v38
	v_sub_u32_e32 v2, v5, v44
	v_sub_u32_e32 v3, v21, v2
	v_and_b32_e32 v5, 1, v49
	v_add_u32_e32 v3, 3, v3
	v_cmp_eq_u32_e32 vcc, 1, v5
	v_and_b32_e32 v5, 1, v19
	v_or_b32_e32 v38, 0x200, v0
	v_cndmask_b32_e32 v2, v3, v2, vcc
	v_lshlrev_b32_e32 v2, 2, v2
	ds_write_b32 v2, v39
	v_sub_u32_e32 v2, v6, v44
	v_sub_u32_e32 v3, v21, v2
	v_add_u32_e32 v3, 4, v3
	v_cmp_eq_u32_e32 vcc, 1, v5
	v_and_b32_e32 v5, 1, v43
	s_nop 0
	v_cndmask_b32_e32 v2, v3, v2, vcc
	v_lshlrev_b32_e32 v2, 2, v2
	ds_write_b32 v2, v36
	v_sub_u32_e32 v2, v7, v44
	v_sub_u32_e32 v3, v21, v2
	v_add_u32_e32 v3, 5, v3
	v_cmp_eq_u32_e32 vcc, 1, v5
	v_and_b32_sdwa v5, v4, v19 dst_sel:DWORD dst_unused:UNUSED_PAD src0_sel:DWORD src1_sel:WORD_1
	v_and_b32_sdwa v4, v4, v20 dst_sel:DWORD dst_unused:UNUSED_PAD src0_sel:DWORD src1_sel:WORD_1
	v_cndmask_b32_e32 v2, v3, v2, vcc
	v_lshlrev_b32_e32 v2, 2, v2
	ds_write_b32 v2, v37
	v_sub_u32_e32 v2, v8, v44
	v_sub_u32_e32 v3, v21, v2
	v_add_u32_e32 v3, 6, v3
	v_cmp_eq_u32_e32 vcc, 1, v5
	v_and_b32_e32 v5, 1, v48
	v_or_b32_e32 v37, 0x400, v0
	v_cndmask_b32_e32 v2, v3, v2, vcc
	v_lshlrev_b32_e32 v2, 2, v2
	ds_write_b32 v2, v34
	v_sub_u32_e32 v2, v9, v44
	v_sub_u32_e32 v3, v21, v2
	v_add_u32_e32 v3, 7, v3
	v_cmp_eq_u32_e32 vcc, 1, v5
	v_and_b32_e32 v5, 1, v20
	v_or_b32_e32 v36, 0x600, v0
	;; [unrolled: 9-line block ×3, first 2 shown]
	v_cndmask_b32_e32 v2, v3, v2, vcc
	v_lshlrev_b32_e32 v2, 2, v2
	ds_write_b32 v2, v32
	v_sub_u32_e32 v2, v11, v44
	v_sub_u32_e32 v3, v21, v2
	v_add_u32_e32 v3, 9, v3
	v_cmp_eq_u32_e32 vcc, 1, v5
	v_mov_b32_e32 v5, s27
	v_or_b32_e32 v34, 0xa00, v0
	v_cndmask_b32_e32 v2, v3, v2, vcc
	v_lshlrev_b32_e32 v2, 2, v2
	ds_write_b32 v2, v33
	v_sub_u32_e32 v2, v12, v44
	v_sub_u32_e32 v3, v21, v2
	v_add_u32_e32 v3, 10, v3
	v_cmp_eq_u32_e32 vcc, 1, v4
	v_and_b32_e32 v4, 1, v46
	v_or_b32_e32 v33, 0xc00, v0
	v_cndmask_b32_e32 v2, v3, v2, vcc
	v_lshlrev_b32_e32 v2, 2, v2
	ds_write_b32 v2, v30
	v_sub_u32_e32 v2, v13, v44
	v_sub_u32_e32 v3, v21, v2
	v_add_u32_e32 v3, 11, v3
	v_cmp_eq_u32_e32 vcc, 1, v4
	v_or_b32_e32 v32, 0xe00, v0
	v_or_b32_e32 v30, 0x1200, v0
	v_cndmask_b32_e32 v2, v3, v2, vcc
	v_lshlrev_b32_e32 v2, 2, v2
	ds_write_b32 v2, v31
	v_sub_u32_e32 v2, v14, v44
	v_sub_u32_e32 v3, v21, v2
	v_add_u32_e32 v3, 12, v3
	v_cmp_eq_u32_e32 vcc, 1, v47
	v_or_b32_e32 v31, 0x1000, v0
	v_or_b32_e32 v20, 0x1c00, v0
	v_cndmask_b32_e32 v2, v3, v2, vcc
	v_lshlrev_b32_e32 v2, 2, v2
	ds_write_b32 v2, v28
	v_sub_u32_e32 v2, v15, v44
	v_sub_u32_e32 v3, v21, v2
	v_add_u32_e32 v3, 13, v3
	v_cmp_eq_u32_e32 vcc, 1, v45
	v_mov_b32_e32 v45, 0
	v_mov_b32_e32 v43, v45
	v_cndmask_b32_e32 v2, v3, v2, vcc
	v_lshlrev_b32_e32 v2, 2, v2
	ds_write_b32 v2, v29
	v_sub_u32_e32 v2, v16, v44
	v_sub_u32_e32 v3, v21, v2
	v_add_u32_e32 v3, 14, v3
	v_cmp_eq_u32_e32 vcc, 1, v23
	v_or_b32_e32 v29, 0x1400, v0
	v_or_b32_e32 v28, 0x1600, v0
	v_cndmask_b32_e32 v2, v3, v2, vcc
	v_lshlrev_b32_e32 v2, 2, v2
	ds_write_b32 v2, v1
	s_waitcnt vmcnt(0)
	v_lshl_add_u64 v[2:3], v[24:25], 0, v[42:43]
	v_lshl_add_u64 v[2:3], v[2:3], 0, v[44:45]
	s_waitcnt lgkmcnt(0)
	s_barrier
	ds_read2st64_b32 v[18:19], v22 offset1:8
	ds_read2st64_b32 v[16:17], v22 offset0:16 offset1:24
	ds_read2st64_b32 v[14:15], v22 offset0:32 offset1:40
	;; [unrolled: 1-line block ×6, first 2 shown]
	ds_read_b32 v1, v22 offset:28672
	v_sub_co_u32_e32 v4, vcc, s26, v2
	v_or_b32_e32 v23, 0x1800, v0
	s_nop 0
	v_subb_co_u32_e32 v5, vcc, v5, v3, vcc
	v_lshlrev_b64 v[4:5], 2, v[4:5]
	v_lshl_add_u64 v[4:5], s[28:29], 0, v[4:5]
	v_or_b32_e32 v21, 0x1a00, v0
	v_lshl_add_u64 v[4:5], v[4:5], 0, v[26:27]
	s_andn2_b64 vcc, exec, s[24:25]
	s_cbranch_vccnz .LBB3060_126
; %bb.110:
	s_and_saveexec_b64 s[2:3], s[0:1]
	s_cbranch_execnz .LBB3060_161
; %bb.111:
	s_or_b64 exec, exec, s[2:3]
	v_cmp_ge_u32_e32 vcc, v38, v42
	s_and_saveexec_b64 s[0:1], vcc
	s_cbranch_execnz .LBB3060_162
.LBB3060_112:
	s_or_b64 exec, exec, s[0:1]
	v_cmp_ge_u32_e32 vcc, v37, v42
	s_and_saveexec_b64 s[0:1], vcc
	s_cbranch_execnz .LBB3060_163
.LBB3060_113:
	s_or_b64 exec, exec, s[0:1]
	v_cmp_ge_u32_e32 vcc, v36, v42
	s_and_saveexec_b64 s[0:1], vcc
	s_cbranch_execnz .LBB3060_164
.LBB3060_114:
	s_or_b64 exec, exec, s[0:1]
	v_cmp_ge_u32_e32 vcc, v35, v42
	s_and_saveexec_b64 s[0:1], vcc
	s_cbranch_execnz .LBB3060_165
.LBB3060_115:
	s_or_b64 exec, exec, s[0:1]
	v_cmp_ge_u32_e32 vcc, v34, v42
	s_and_saveexec_b64 s[0:1], vcc
	s_cbranch_execnz .LBB3060_166
.LBB3060_116:
	s_or_b64 exec, exec, s[0:1]
	v_cmp_ge_u32_e32 vcc, v33, v42
	s_and_saveexec_b64 s[0:1], vcc
	s_cbranch_execnz .LBB3060_167
.LBB3060_117:
	s_or_b64 exec, exec, s[0:1]
	v_cmp_ge_u32_e32 vcc, v32, v42
	s_and_saveexec_b64 s[0:1], vcc
	s_cbranch_execnz .LBB3060_168
.LBB3060_118:
	s_or_b64 exec, exec, s[0:1]
	v_cmp_ge_u32_e32 vcc, v31, v42
	s_and_saveexec_b64 s[0:1], vcc
	s_cbranch_execnz .LBB3060_169
.LBB3060_119:
	s_or_b64 exec, exec, s[0:1]
	v_cmp_ge_u32_e32 vcc, v30, v42
	s_and_saveexec_b64 s[0:1], vcc
	s_cbranch_execnz .LBB3060_170
.LBB3060_120:
	s_or_b64 exec, exec, s[0:1]
	v_cmp_ge_u32_e32 vcc, v29, v42
	s_and_saveexec_b64 s[0:1], vcc
	s_cbranch_execnz .LBB3060_171
.LBB3060_121:
	s_or_b64 exec, exec, s[0:1]
	v_cmp_ge_u32_e32 vcc, v28, v42
	s_and_saveexec_b64 s[0:1], vcc
	s_cbranch_execnz .LBB3060_172
.LBB3060_122:
	s_or_b64 exec, exec, s[0:1]
	v_cmp_ge_u32_e32 vcc, v23, v42
	s_and_saveexec_b64 s[0:1], vcc
	s_cbranch_execnz .LBB3060_173
.LBB3060_123:
	s_or_b64 exec, exec, s[0:1]
	v_cmp_ge_u32_e32 vcc, v21, v42
	s_and_saveexec_b64 s[0:1], vcc
	s_cbranch_execz .LBB3060_125
.LBB3060_124:
	v_lshlrev_b32_e32 v24, 2, v21
	v_readfirstlane_b32 s2, v4
	v_readfirstlane_b32 s3, v5
	s_waitcnt lgkmcnt(1)
	s_nop 3
	global_store_dword v24, v7, s[2:3]
.LBB3060_125:
	s_or_b64 exec, exec, s[0:1]
	v_cmp_ge_u32_e64 s[0:1], v20, v42
	s_branch .LBB3060_156
.LBB3060_126:
	s_mov_b64 s[0:1], 0
	s_cbranch_execz .LBB3060_156
; %bb.127:
	v_cmp_gt_u32_e32 vcc, s33, v0
	v_cmp_le_u32_e64 s[0:1], v42, v0
	s_and_b64 s[2:3], vcc, s[0:1]
	s_and_saveexec_b64 s[0:1], s[2:3]
	s_cbranch_execz .LBB3060_129
; %bb.128:
	v_readfirstlane_b32 s2, v4
	v_readfirstlane_b32 s3, v5
	s_waitcnt lgkmcnt(7)
	s_nop 3
	global_store_dword v22, v18, s[2:3]
.LBB3060_129:
	s_or_b64 exec, exec, s[0:1]
	v_cmp_gt_u32_e32 vcc, s33, v38
	v_cmp_ge_u32_e64 s[0:1], v38, v42
	s_and_b64 s[2:3], vcc, s[0:1]
	s_and_saveexec_b64 s[0:1], s[2:3]
	s_cbranch_execz .LBB3060_131
; %bb.130:
	v_readfirstlane_b32 s2, v4
	v_readfirstlane_b32 s3, v5
	s_waitcnt lgkmcnt(7)
	s_nop 3
	global_store_dword v22, v19, s[2:3] offset:2048
.LBB3060_131:
	s_or_b64 exec, exec, s[0:1]
	v_cmp_gt_u32_e32 vcc, s33, v37
	v_cmp_ge_u32_e64 s[0:1], v37, v42
	s_and_b64 s[2:3], vcc, s[0:1]
	s_and_saveexec_b64 s[0:1], s[2:3]
	s_cbranch_execz .LBB3060_133
; %bb.132:
	v_lshlrev_b32_e32 v0, 2, v37
	v_readfirstlane_b32 s2, v4
	v_readfirstlane_b32 s3, v5
	s_waitcnt lgkmcnt(6)
	s_nop 3
	global_store_dword v0, v16, s[2:3]
.LBB3060_133:
	s_or_b64 exec, exec, s[0:1]
	v_cmp_gt_u32_e32 vcc, s33, v36
	v_cmp_ge_u32_e64 s[0:1], v36, v42
	s_and_b64 s[2:3], vcc, s[0:1]
	s_and_saveexec_b64 s[0:1], s[2:3]
	s_cbranch_execz .LBB3060_135
; %bb.134:
	v_lshlrev_b32_e32 v0, 2, v36
	v_readfirstlane_b32 s2, v4
	v_readfirstlane_b32 s3, v5
	s_waitcnt lgkmcnt(6)
	s_nop 3
	global_store_dword v0, v17, s[2:3]
.LBB3060_135:
	;; [unrolled: 14-line block ×12, first 2 shown]
	s_or_b64 exec, exec, s[0:1]
	v_cmp_gt_u32_e32 vcc, s33, v20
	v_cmp_ge_u32_e64 s[0:1], v20, v42
	s_and_b64 s[0:1], vcc, s[0:1]
.LBB3060_156:
	s_and_saveexec_b64 s[2:3], s[0:1]
	s_cbranch_execnz .LBB3060_159
; %bb.157:
	s_or_b64 exec, exec, s[2:3]
	s_and_b64 s[0:1], s[18:19], s[22:23]
	s_and_saveexec_b64 s[2:3], s[0:1]
	s_cbranch_execnz .LBB3060_160
.LBB3060_158:
	s_endpgm
.LBB3060_159:
	v_lshlrev_b32_e32 v0, 2, v20
	v_readfirstlane_b32 s0, v4
	v_readfirstlane_b32 s1, v5
	s_waitcnt lgkmcnt(0)
	s_nop 3
	global_store_dword v0, v1, s[0:1]
	s_or_b64 exec, exec, s[2:3]
	s_and_b64 s[0:1], s[18:19], s[22:23]
	s_and_saveexec_b64 s[2:3], s[0:1]
	s_cbranch_execz .LBB3060_158
.LBB3060_160:
	v_mov_b32_e32 v0, 0
	global_store_dwordx2 v0, v[2:3], s[20:21]
	s_endpgm
.LBB3060_161:
	v_readfirstlane_b32 s0, v4
	v_readfirstlane_b32 s1, v5
	s_waitcnt lgkmcnt(7)
	s_nop 3
	global_store_dword v22, v18, s[0:1]
	s_or_b64 exec, exec, s[2:3]
	v_cmp_ge_u32_e32 vcc, v38, v42
	s_and_saveexec_b64 s[0:1], vcc
	s_cbranch_execz .LBB3060_112
.LBB3060_162:
	v_readfirstlane_b32 s2, v4
	v_readfirstlane_b32 s3, v5
	s_waitcnt lgkmcnt(7)
	s_nop 3
	global_store_dword v22, v19, s[2:3] offset:2048
	s_or_b64 exec, exec, s[0:1]
	v_cmp_ge_u32_e32 vcc, v37, v42
	s_and_saveexec_b64 s[0:1], vcc
	s_cbranch_execz .LBB3060_113
.LBB3060_163:
	v_lshlrev_b32_e32 v24, 2, v37
	v_readfirstlane_b32 s2, v4
	v_readfirstlane_b32 s3, v5
	s_waitcnt lgkmcnt(6)
	s_nop 3
	global_store_dword v24, v16, s[2:3]
	s_or_b64 exec, exec, s[0:1]
	v_cmp_ge_u32_e32 vcc, v36, v42
	s_and_saveexec_b64 s[0:1], vcc
	s_cbranch_execz .LBB3060_114
.LBB3060_164:
	v_lshlrev_b32_e32 v24, 2, v36
	v_readfirstlane_b32 s2, v4
	v_readfirstlane_b32 s3, v5
	s_waitcnt lgkmcnt(6)
	s_nop 3
	global_store_dword v24, v17, s[2:3]
	s_or_b64 exec, exec, s[0:1]
	v_cmp_ge_u32_e32 vcc, v35, v42
	s_and_saveexec_b64 s[0:1], vcc
	s_cbranch_execz .LBB3060_115
.LBB3060_165:
	v_lshlrev_b32_e32 v24, 2, v35
	v_readfirstlane_b32 s2, v4
	v_readfirstlane_b32 s3, v5
	s_waitcnt lgkmcnt(5)
	s_nop 3
	global_store_dword v24, v14, s[2:3]
	s_or_b64 exec, exec, s[0:1]
	v_cmp_ge_u32_e32 vcc, v34, v42
	s_and_saveexec_b64 s[0:1], vcc
	s_cbranch_execz .LBB3060_116
.LBB3060_166:
	v_lshlrev_b32_e32 v24, 2, v34
	v_readfirstlane_b32 s2, v4
	v_readfirstlane_b32 s3, v5
	s_waitcnt lgkmcnt(5)
	s_nop 3
	global_store_dword v24, v15, s[2:3]
	s_or_b64 exec, exec, s[0:1]
	v_cmp_ge_u32_e32 vcc, v33, v42
	s_and_saveexec_b64 s[0:1], vcc
	s_cbranch_execz .LBB3060_117
.LBB3060_167:
	v_lshlrev_b32_e32 v24, 2, v33
	v_readfirstlane_b32 s2, v4
	v_readfirstlane_b32 s3, v5
	s_waitcnt lgkmcnt(4)
	s_nop 3
	global_store_dword v24, v12, s[2:3]
	s_or_b64 exec, exec, s[0:1]
	v_cmp_ge_u32_e32 vcc, v32, v42
	s_and_saveexec_b64 s[0:1], vcc
	s_cbranch_execz .LBB3060_118
.LBB3060_168:
	v_lshlrev_b32_e32 v24, 2, v32
	v_readfirstlane_b32 s2, v4
	v_readfirstlane_b32 s3, v5
	s_waitcnt lgkmcnt(4)
	s_nop 3
	global_store_dword v24, v13, s[2:3]
	s_or_b64 exec, exec, s[0:1]
	v_cmp_ge_u32_e32 vcc, v31, v42
	s_and_saveexec_b64 s[0:1], vcc
	s_cbranch_execz .LBB3060_119
.LBB3060_169:
	v_lshlrev_b32_e32 v24, 2, v31
	v_readfirstlane_b32 s2, v4
	v_readfirstlane_b32 s3, v5
	s_waitcnt lgkmcnt(3)
	s_nop 3
	global_store_dword v24, v10, s[2:3]
	s_or_b64 exec, exec, s[0:1]
	v_cmp_ge_u32_e32 vcc, v30, v42
	s_and_saveexec_b64 s[0:1], vcc
	s_cbranch_execz .LBB3060_120
.LBB3060_170:
	v_lshlrev_b32_e32 v24, 2, v30
	v_readfirstlane_b32 s2, v4
	v_readfirstlane_b32 s3, v5
	s_waitcnt lgkmcnt(3)
	s_nop 3
	global_store_dword v24, v11, s[2:3]
	s_or_b64 exec, exec, s[0:1]
	v_cmp_ge_u32_e32 vcc, v29, v42
	s_and_saveexec_b64 s[0:1], vcc
	s_cbranch_execz .LBB3060_121
.LBB3060_171:
	v_lshlrev_b32_e32 v24, 2, v29
	v_readfirstlane_b32 s2, v4
	v_readfirstlane_b32 s3, v5
	s_waitcnt lgkmcnt(2)
	s_nop 3
	global_store_dword v24, v8, s[2:3]
	s_or_b64 exec, exec, s[0:1]
	v_cmp_ge_u32_e32 vcc, v28, v42
	s_and_saveexec_b64 s[0:1], vcc
	s_cbranch_execz .LBB3060_122
.LBB3060_172:
	v_lshlrev_b32_e32 v24, 2, v28
	v_readfirstlane_b32 s2, v4
	v_readfirstlane_b32 s3, v5
	s_waitcnt lgkmcnt(2)
	s_nop 3
	global_store_dword v24, v9, s[2:3]
	s_or_b64 exec, exec, s[0:1]
	v_cmp_ge_u32_e32 vcc, v23, v42
	s_and_saveexec_b64 s[0:1], vcc
	s_cbranch_execz .LBB3060_123
.LBB3060_173:
	v_lshlrev_b32_e32 v24, 2, v23
	v_readfirstlane_b32 s2, v4
	v_readfirstlane_b32 s3, v5
	s_waitcnt lgkmcnt(1)
	s_nop 3
	global_store_dword v24, v6, s[2:3]
	s_or_b64 exec, exec, s[0:1]
	v_cmp_ge_u32_e32 vcc, v21, v42
	s_and_saveexec_b64 s[0:1], vcc
	s_cbranch_execnz .LBB3060_124
	s_branch .LBB3060_125
	.section	.rodata,"a",@progbits
	.p2align	6, 0x0
	.amdhsa_kernel _ZN7rocprim17ROCPRIM_400000_NS6detail17trampoline_kernelINS0_14default_configENS1_25partition_config_selectorILNS1_17partition_subalgoE1EjNS0_10empty_typeEbEEZZNS1_14partition_implILS5_1ELb0ES3_jN6thrust23THRUST_200600_302600_NS6detail15normal_iteratorINSA_10device_ptrIjEEEEPS6_NSA_18transform_iteratorI7is_evenIjESF_NSA_11use_defaultESK_EENS0_5tupleIJNSA_16discard_iteratorISK_EESF_EEENSM_IJSG_SG_EEES6_PlJS6_EEE10hipError_tPvRmT3_T4_T5_T6_T7_T9_mT8_P12ihipStream_tbDpT10_ENKUlT_T0_E_clISt17integral_constantIbLb0EES1A_IbLb1EEEEDaS16_S17_EUlS16_E_NS1_11comp_targetILNS1_3genE5ELNS1_11target_archE942ELNS1_3gpuE9ELNS1_3repE0EEENS1_30default_config_static_selectorELNS0_4arch9wavefront6targetE1EEEvT1_
		.amdhsa_group_segment_fixed_size 30728
		.amdhsa_private_segment_fixed_size 0
		.amdhsa_kernarg_size 152
		.amdhsa_user_sgpr_count 2
		.amdhsa_user_sgpr_dispatch_ptr 0
		.amdhsa_user_sgpr_queue_ptr 0
		.amdhsa_user_sgpr_kernarg_segment_ptr 1
		.amdhsa_user_sgpr_dispatch_id 0
		.amdhsa_user_sgpr_kernarg_preload_length 0
		.amdhsa_user_sgpr_kernarg_preload_offset 0
		.amdhsa_user_sgpr_private_segment_size 0
		.amdhsa_uses_dynamic_stack 0
		.amdhsa_enable_private_segment 0
		.amdhsa_system_sgpr_workgroup_id_x 1
		.amdhsa_system_sgpr_workgroup_id_y 0
		.amdhsa_system_sgpr_workgroup_id_z 0
		.amdhsa_system_sgpr_workgroup_info 0
		.amdhsa_system_vgpr_workitem_id 0
		.amdhsa_next_free_vgpr 69
		.amdhsa_next_free_sgpr 42
		.amdhsa_accum_offset 72
		.amdhsa_reserve_vcc 1
		.amdhsa_float_round_mode_32 0
		.amdhsa_float_round_mode_16_64 0
		.amdhsa_float_denorm_mode_32 3
		.amdhsa_float_denorm_mode_16_64 3
		.amdhsa_dx10_clamp 1
		.amdhsa_ieee_mode 1
		.amdhsa_fp16_overflow 0
		.amdhsa_tg_split 0
		.amdhsa_exception_fp_ieee_invalid_op 0
		.amdhsa_exception_fp_denorm_src 0
		.amdhsa_exception_fp_ieee_div_zero 0
		.amdhsa_exception_fp_ieee_overflow 0
		.amdhsa_exception_fp_ieee_underflow 0
		.amdhsa_exception_fp_ieee_inexact 0
		.amdhsa_exception_int_div_zero 0
	.end_amdhsa_kernel
	.section	.text._ZN7rocprim17ROCPRIM_400000_NS6detail17trampoline_kernelINS0_14default_configENS1_25partition_config_selectorILNS1_17partition_subalgoE1EjNS0_10empty_typeEbEEZZNS1_14partition_implILS5_1ELb0ES3_jN6thrust23THRUST_200600_302600_NS6detail15normal_iteratorINSA_10device_ptrIjEEEEPS6_NSA_18transform_iteratorI7is_evenIjESF_NSA_11use_defaultESK_EENS0_5tupleIJNSA_16discard_iteratorISK_EESF_EEENSM_IJSG_SG_EEES6_PlJS6_EEE10hipError_tPvRmT3_T4_T5_T6_T7_T9_mT8_P12ihipStream_tbDpT10_ENKUlT_T0_E_clISt17integral_constantIbLb0EES1A_IbLb1EEEEDaS16_S17_EUlS16_E_NS1_11comp_targetILNS1_3genE5ELNS1_11target_archE942ELNS1_3gpuE9ELNS1_3repE0EEENS1_30default_config_static_selectorELNS0_4arch9wavefront6targetE1EEEvT1_,"axG",@progbits,_ZN7rocprim17ROCPRIM_400000_NS6detail17trampoline_kernelINS0_14default_configENS1_25partition_config_selectorILNS1_17partition_subalgoE1EjNS0_10empty_typeEbEEZZNS1_14partition_implILS5_1ELb0ES3_jN6thrust23THRUST_200600_302600_NS6detail15normal_iteratorINSA_10device_ptrIjEEEEPS6_NSA_18transform_iteratorI7is_evenIjESF_NSA_11use_defaultESK_EENS0_5tupleIJNSA_16discard_iteratorISK_EESF_EEENSM_IJSG_SG_EEES6_PlJS6_EEE10hipError_tPvRmT3_T4_T5_T6_T7_T9_mT8_P12ihipStream_tbDpT10_ENKUlT_T0_E_clISt17integral_constantIbLb0EES1A_IbLb1EEEEDaS16_S17_EUlS16_E_NS1_11comp_targetILNS1_3genE5ELNS1_11target_archE942ELNS1_3gpuE9ELNS1_3repE0EEENS1_30default_config_static_selectorELNS0_4arch9wavefront6targetE1EEEvT1_,comdat
.Lfunc_end3060:
	.size	_ZN7rocprim17ROCPRIM_400000_NS6detail17trampoline_kernelINS0_14default_configENS1_25partition_config_selectorILNS1_17partition_subalgoE1EjNS0_10empty_typeEbEEZZNS1_14partition_implILS5_1ELb0ES3_jN6thrust23THRUST_200600_302600_NS6detail15normal_iteratorINSA_10device_ptrIjEEEEPS6_NSA_18transform_iteratorI7is_evenIjESF_NSA_11use_defaultESK_EENS0_5tupleIJNSA_16discard_iteratorISK_EESF_EEENSM_IJSG_SG_EEES6_PlJS6_EEE10hipError_tPvRmT3_T4_T5_T6_T7_T9_mT8_P12ihipStream_tbDpT10_ENKUlT_T0_E_clISt17integral_constantIbLb0EES1A_IbLb1EEEEDaS16_S17_EUlS16_E_NS1_11comp_targetILNS1_3genE5ELNS1_11target_archE942ELNS1_3gpuE9ELNS1_3repE0EEENS1_30default_config_static_selectorELNS0_4arch9wavefront6targetE1EEEvT1_, .Lfunc_end3060-_ZN7rocprim17ROCPRIM_400000_NS6detail17trampoline_kernelINS0_14default_configENS1_25partition_config_selectorILNS1_17partition_subalgoE1EjNS0_10empty_typeEbEEZZNS1_14partition_implILS5_1ELb0ES3_jN6thrust23THRUST_200600_302600_NS6detail15normal_iteratorINSA_10device_ptrIjEEEEPS6_NSA_18transform_iteratorI7is_evenIjESF_NSA_11use_defaultESK_EENS0_5tupleIJNSA_16discard_iteratorISK_EESF_EEENSM_IJSG_SG_EEES6_PlJS6_EEE10hipError_tPvRmT3_T4_T5_T6_T7_T9_mT8_P12ihipStream_tbDpT10_ENKUlT_T0_E_clISt17integral_constantIbLb0EES1A_IbLb1EEEEDaS16_S17_EUlS16_E_NS1_11comp_targetILNS1_3genE5ELNS1_11target_archE942ELNS1_3gpuE9ELNS1_3repE0EEENS1_30default_config_static_selectorELNS0_4arch9wavefront6targetE1EEEvT1_
                                        ; -- End function
	.section	.AMDGPU.csdata,"",@progbits
; Kernel info:
; codeLenInByte = 7996
; NumSgprs: 48
; NumVgprs: 69
; NumAgprs: 0
; TotalNumVgprs: 69
; ScratchSize: 0
; MemoryBound: 0
; FloatMode: 240
; IeeeMode: 1
; LDSByteSize: 30728 bytes/workgroup (compile time only)
; SGPRBlocks: 5
; VGPRBlocks: 8
; NumSGPRsForWavesPerEU: 48
; NumVGPRsForWavesPerEU: 69
; AccumOffset: 72
; Occupancy: 4
; WaveLimiterHint : 1
; COMPUTE_PGM_RSRC2:SCRATCH_EN: 0
; COMPUTE_PGM_RSRC2:USER_SGPR: 2
; COMPUTE_PGM_RSRC2:TRAP_HANDLER: 0
; COMPUTE_PGM_RSRC2:TGID_X_EN: 1
; COMPUTE_PGM_RSRC2:TGID_Y_EN: 0
; COMPUTE_PGM_RSRC2:TGID_Z_EN: 0
; COMPUTE_PGM_RSRC2:TIDIG_COMP_CNT: 0
; COMPUTE_PGM_RSRC3_GFX90A:ACCUM_OFFSET: 17
; COMPUTE_PGM_RSRC3_GFX90A:TG_SPLIT: 0
	.section	.text._ZN7rocprim17ROCPRIM_400000_NS6detail17trampoline_kernelINS0_14default_configENS1_25partition_config_selectorILNS1_17partition_subalgoE1EjNS0_10empty_typeEbEEZZNS1_14partition_implILS5_1ELb0ES3_jN6thrust23THRUST_200600_302600_NS6detail15normal_iteratorINSA_10device_ptrIjEEEEPS6_NSA_18transform_iteratorI7is_evenIjESF_NSA_11use_defaultESK_EENS0_5tupleIJNSA_16discard_iteratorISK_EESF_EEENSM_IJSG_SG_EEES6_PlJS6_EEE10hipError_tPvRmT3_T4_T5_T6_T7_T9_mT8_P12ihipStream_tbDpT10_ENKUlT_T0_E_clISt17integral_constantIbLb0EES1A_IbLb1EEEEDaS16_S17_EUlS16_E_NS1_11comp_targetILNS1_3genE4ELNS1_11target_archE910ELNS1_3gpuE8ELNS1_3repE0EEENS1_30default_config_static_selectorELNS0_4arch9wavefront6targetE1EEEvT1_,"axG",@progbits,_ZN7rocprim17ROCPRIM_400000_NS6detail17trampoline_kernelINS0_14default_configENS1_25partition_config_selectorILNS1_17partition_subalgoE1EjNS0_10empty_typeEbEEZZNS1_14partition_implILS5_1ELb0ES3_jN6thrust23THRUST_200600_302600_NS6detail15normal_iteratorINSA_10device_ptrIjEEEEPS6_NSA_18transform_iteratorI7is_evenIjESF_NSA_11use_defaultESK_EENS0_5tupleIJNSA_16discard_iteratorISK_EESF_EEENSM_IJSG_SG_EEES6_PlJS6_EEE10hipError_tPvRmT3_T4_T5_T6_T7_T9_mT8_P12ihipStream_tbDpT10_ENKUlT_T0_E_clISt17integral_constantIbLb0EES1A_IbLb1EEEEDaS16_S17_EUlS16_E_NS1_11comp_targetILNS1_3genE4ELNS1_11target_archE910ELNS1_3gpuE8ELNS1_3repE0EEENS1_30default_config_static_selectorELNS0_4arch9wavefront6targetE1EEEvT1_,comdat
	.protected	_ZN7rocprim17ROCPRIM_400000_NS6detail17trampoline_kernelINS0_14default_configENS1_25partition_config_selectorILNS1_17partition_subalgoE1EjNS0_10empty_typeEbEEZZNS1_14partition_implILS5_1ELb0ES3_jN6thrust23THRUST_200600_302600_NS6detail15normal_iteratorINSA_10device_ptrIjEEEEPS6_NSA_18transform_iteratorI7is_evenIjESF_NSA_11use_defaultESK_EENS0_5tupleIJNSA_16discard_iteratorISK_EESF_EEENSM_IJSG_SG_EEES6_PlJS6_EEE10hipError_tPvRmT3_T4_T5_T6_T7_T9_mT8_P12ihipStream_tbDpT10_ENKUlT_T0_E_clISt17integral_constantIbLb0EES1A_IbLb1EEEEDaS16_S17_EUlS16_E_NS1_11comp_targetILNS1_3genE4ELNS1_11target_archE910ELNS1_3gpuE8ELNS1_3repE0EEENS1_30default_config_static_selectorELNS0_4arch9wavefront6targetE1EEEvT1_ ; -- Begin function _ZN7rocprim17ROCPRIM_400000_NS6detail17trampoline_kernelINS0_14default_configENS1_25partition_config_selectorILNS1_17partition_subalgoE1EjNS0_10empty_typeEbEEZZNS1_14partition_implILS5_1ELb0ES3_jN6thrust23THRUST_200600_302600_NS6detail15normal_iteratorINSA_10device_ptrIjEEEEPS6_NSA_18transform_iteratorI7is_evenIjESF_NSA_11use_defaultESK_EENS0_5tupleIJNSA_16discard_iteratorISK_EESF_EEENSM_IJSG_SG_EEES6_PlJS6_EEE10hipError_tPvRmT3_T4_T5_T6_T7_T9_mT8_P12ihipStream_tbDpT10_ENKUlT_T0_E_clISt17integral_constantIbLb0EES1A_IbLb1EEEEDaS16_S17_EUlS16_E_NS1_11comp_targetILNS1_3genE4ELNS1_11target_archE910ELNS1_3gpuE8ELNS1_3repE0EEENS1_30default_config_static_selectorELNS0_4arch9wavefront6targetE1EEEvT1_
	.globl	_ZN7rocprim17ROCPRIM_400000_NS6detail17trampoline_kernelINS0_14default_configENS1_25partition_config_selectorILNS1_17partition_subalgoE1EjNS0_10empty_typeEbEEZZNS1_14partition_implILS5_1ELb0ES3_jN6thrust23THRUST_200600_302600_NS6detail15normal_iteratorINSA_10device_ptrIjEEEEPS6_NSA_18transform_iteratorI7is_evenIjESF_NSA_11use_defaultESK_EENS0_5tupleIJNSA_16discard_iteratorISK_EESF_EEENSM_IJSG_SG_EEES6_PlJS6_EEE10hipError_tPvRmT3_T4_T5_T6_T7_T9_mT8_P12ihipStream_tbDpT10_ENKUlT_T0_E_clISt17integral_constantIbLb0EES1A_IbLb1EEEEDaS16_S17_EUlS16_E_NS1_11comp_targetILNS1_3genE4ELNS1_11target_archE910ELNS1_3gpuE8ELNS1_3repE0EEENS1_30default_config_static_selectorELNS0_4arch9wavefront6targetE1EEEvT1_
	.p2align	8
	.type	_ZN7rocprim17ROCPRIM_400000_NS6detail17trampoline_kernelINS0_14default_configENS1_25partition_config_selectorILNS1_17partition_subalgoE1EjNS0_10empty_typeEbEEZZNS1_14partition_implILS5_1ELb0ES3_jN6thrust23THRUST_200600_302600_NS6detail15normal_iteratorINSA_10device_ptrIjEEEEPS6_NSA_18transform_iteratorI7is_evenIjESF_NSA_11use_defaultESK_EENS0_5tupleIJNSA_16discard_iteratorISK_EESF_EEENSM_IJSG_SG_EEES6_PlJS6_EEE10hipError_tPvRmT3_T4_T5_T6_T7_T9_mT8_P12ihipStream_tbDpT10_ENKUlT_T0_E_clISt17integral_constantIbLb0EES1A_IbLb1EEEEDaS16_S17_EUlS16_E_NS1_11comp_targetILNS1_3genE4ELNS1_11target_archE910ELNS1_3gpuE8ELNS1_3repE0EEENS1_30default_config_static_selectorELNS0_4arch9wavefront6targetE1EEEvT1_,@function
_ZN7rocprim17ROCPRIM_400000_NS6detail17trampoline_kernelINS0_14default_configENS1_25partition_config_selectorILNS1_17partition_subalgoE1EjNS0_10empty_typeEbEEZZNS1_14partition_implILS5_1ELb0ES3_jN6thrust23THRUST_200600_302600_NS6detail15normal_iteratorINSA_10device_ptrIjEEEEPS6_NSA_18transform_iteratorI7is_evenIjESF_NSA_11use_defaultESK_EENS0_5tupleIJNSA_16discard_iteratorISK_EESF_EEENSM_IJSG_SG_EEES6_PlJS6_EEE10hipError_tPvRmT3_T4_T5_T6_T7_T9_mT8_P12ihipStream_tbDpT10_ENKUlT_T0_E_clISt17integral_constantIbLb0EES1A_IbLb1EEEEDaS16_S17_EUlS16_E_NS1_11comp_targetILNS1_3genE4ELNS1_11target_archE910ELNS1_3gpuE8ELNS1_3repE0EEENS1_30default_config_static_selectorELNS0_4arch9wavefront6targetE1EEEvT1_: ; @_ZN7rocprim17ROCPRIM_400000_NS6detail17trampoline_kernelINS0_14default_configENS1_25partition_config_selectorILNS1_17partition_subalgoE1EjNS0_10empty_typeEbEEZZNS1_14partition_implILS5_1ELb0ES3_jN6thrust23THRUST_200600_302600_NS6detail15normal_iteratorINSA_10device_ptrIjEEEEPS6_NSA_18transform_iteratorI7is_evenIjESF_NSA_11use_defaultESK_EENS0_5tupleIJNSA_16discard_iteratorISK_EESF_EEENSM_IJSG_SG_EEES6_PlJS6_EEE10hipError_tPvRmT3_T4_T5_T6_T7_T9_mT8_P12ihipStream_tbDpT10_ENKUlT_T0_E_clISt17integral_constantIbLb0EES1A_IbLb1EEEEDaS16_S17_EUlS16_E_NS1_11comp_targetILNS1_3genE4ELNS1_11target_archE910ELNS1_3gpuE8ELNS1_3repE0EEENS1_30default_config_static_selectorELNS0_4arch9wavefront6targetE1EEEvT1_
; %bb.0:
	.section	.rodata,"a",@progbits
	.p2align	6, 0x0
	.amdhsa_kernel _ZN7rocprim17ROCPRIM_400000_NS6detail17trampoline_kernelINS0_14default_configENS1_25partition_config_selectorILNS1_17partition_subalgoE1EjNS0_10empty_typeEbEEZZNS1_14partition_implILS5_1ELb0ES3_jN6thrust23THRUST_200600_302600_NS6detail15normal_iteratorINSA_10device_ptrIjEEEEPS6_NSA_18transform_iteratorI7is_evenIjESF_NSA_11use_defaultESK_EENS0_5tupleIJNSA_16discard_iteratorISK_EESF_EEENSM_IJSG_SG_EEES6_PlJS6_EEE10hipError_tPvRmT3_T4_T5_T6_T7_T9_mT8_P12ihipStream_tbDpT10_ENKUlT_T0_E_clISt17integral_constantIbLb0EES1A_IbLb1EEEEDaS16_S17_EUlS16_E_NS1_11comp_targetILNS1_3genE4ELNS1_11target_archE910ELNS1_3gpuE8ELNS1_3repE0EEENS1_30default_config_static_selectorELNS0_4arch9wavefront6targetE1EEEvT1_
		.amdhsa_group_segment_fixed_size 0
		.amdhsa_private_segment_fixed_size 0
		.amdhsa_kernarg_size 152
		.amdhsa_user_sgpr_count 2
		.amdhsa_user_sgpr_dispatch_ptr 0
		.amdhsa_user_sgpr_queue_ptr 0
		.amdhsa_user_sgpr_kernarg_segment_ptr 1
		.amdhsa_user_sgpr_dispatch_id 0
		.amdhsa_user_sgpr_kernarg_preload_length 0
		.amdhsa_user_sgpr_kernarg_preload_offset 0
		.amdhsa_user_sgpr_private_segment_size 0
		.amdhsa_uses_dynamic_stack 0
		.amdhsa_enable_private_segment 0
		.amdhsa_system_sgpr_workgroup_id_x 1
		.amdhsa_system_sgpr_workgroup_id_y 0
		.amdhsa_system_sgpr_workgroup_id_z 0
		.amdhsa_system_sgpr_workgroup_info 0
		.amdhsa_system_vgpr_workitem_id 0
		.amdhsa_next_free_vgpr 1
		.amdhsa_next_free_sgpr 0
		.amdhsa_accum_offset 4
		.amdhsa_reserve_vcc 0
		.amdhsa_float_round_mode_32 0
		.amdhsa_float_round_mode_16_64 0
		.amdhsa_float_denorm_mode_32 3
		.amdhsa_float_denorm_mode_16_64 3
		.amdhsa_dx10_clamp 1
		.amdhsa_ieee_mode 1
		.amdhsa_fp16_overflow 0
		.amdhsa_tg_split 0
		.amdhsa_exception_fp_ieee_invalid_op 0
		.amdhsa_exception_fp_denorm_src 0
		.amdhsa_exception_fp_ieee_div_zero 0
		.amdhsa_exception_fp_ieee_overflow 0
		.amdhsa_exception_fp_ieee_underflow 0
		.amdhsa_exception_fp_ieee_inexact 0
		.amdhsa_exception_int_div_zero 0
	.end_amdhsa_kernel
	.section	.text._ZN7rocprim17ROCPRIM_400000_NS6detail17trampoline_kernelINS0_14default_configENS1_25partition_config_selectorILNS1_17partition_subalgoE1EjNS0_10empty_typeEbEEZZNS1_14partition_implILS5_1ELb0ES3_jN6thrust23THRUST_200600_302600_NS6detail15normal_iteratorINSA_10device_ptrIjEEEEPS6_NSA_18transform_iteratorI7is_evenIjESF_NSA_11use_defaultESK_EENS0_5tupleIJNSA_16discard_iteratorISK_EESF_EEENSM_IJSG_SG_EEES6_PlJS6_EEE10hipError_tPvRmT3_T4_T5_T6_T7_T9_mT8_P12ihipStream_tbDpT10_ENKUlT_T0_E_clISt17integral_constantIbLb0EES1A_IbLb1EEEEDaS16_S17_EUlS16_E_NS1_11comp_targetILNS1_3genE4ELNS1_11target_archE910ELNS1_3gpuE8ELNS1_3repE0EEENS1_30default_config_static_selectorELNS0_4arch9wavefront6targetE1EEEvT1_,"axG",@progbits,_ZN7rocprim17ROCPRIM_400000_NS6detail17trampoline_kernelINS0_14default_configENS1_25partition_config_selectorILNS1_17partition_subalgoE1EjNS0_10empty_typeEbEEZZNS1_14partition_implILS5_1ELb0ES3_jN6thrust23THRUST_200600_302600_NS6detail15normal_iteratorINSA_10device_ptrIjEEEEPS6_NSA_18transform_iteratorI7is_evenIjESF_NSA_11use_defaultESK_EENS0_5tupleIJNSA_16discard_iteratorISK_EESF_EEENSM_IJSG_SG_EEES6_PlJS6_EEE10hipError_tPvRmT3_T4_T5_T6_T7_T9_mT8_P12ihipStream_tbDpT10_ENKUlT_T0_E_clISt17integral_constantIbLb0EES1A_IbLb1EEEEDaS16_S17_EUlS16_E_NS1_11comp_targetILNS1_3genE4ELNS1_11target_archE910ELNS1_3gpuE8ELNS1_3repE0EEENS1_30default_config_static_selectorELNS0_4arch9wavefront6targetE1EEEvT1_,comdat
.Lfunc_end3061:
	.size	_ZN7rocprim17ROCPRIM_400000_NS6detail17trampoline_kernelINS0_14default_configENS1_25partition_config_selectorILNS1_17partition_subalgoE1EjNS0_10empty_typeEbEEZZNS1_14partition_implILS5_1ELb0ES3_jN6thrust23THRUST_200600_302600_NS6detail15normal_iteratorINSA_10device_ptrIjEEEEPS6_NSA_18transform_iteratorI7is_evenIjESF_NSA_11use_defaultESK_EENS0_5tupleIJNSA_16discard_iteratorISK_EESF_EEENSM_IJSG_SG_EEES6_PlJS6_EEE10hipError_tPvRmT3_T4_T5_T6_T7_T9_mT8_P12ihipStream_tbDpT10_ENKUlT_T0_E_clISt17integral_constantIbLb0EES1A_IbLb1EEEEDaS16_S17_EUlS16_E_NS1_11comp_targetILNS1_3genE4ELNS1_11target_archE910ELNS1_3gpuE8ELNS1_3repE0EEENS1_30default_config_static_selectorELNS0_4arch9wavefront6targetE1EEEvT1_, .Lfunc_end3061-_ZN7rocprim17ROCPRIM_400000_NS6detail17trampoline_kernelINS0_14default_configENS1_25partition_config_selectorILNS1_17partition_subalgoE1EjNS0_10empty_typeEbEEZZNS1_14partition_implILS5_1ELb0ES3_jN6thrust23THRUST_200600_302600_NS6detail15normal_iteratorINSA_10device_ptrIjEEEEPS6_NSA_18transform_iteratorI7is_evenIjESF_NSA_11use_defaultESK_EENS0_5tupleIJNSA_16discard_iteratorISK_EESF_EEENSM_IJSG_SG_EEES6_PlJS6_EEE10hipError_tPvRmT3_T4_T5_T6_T7_T9_mT8_P12ihipStream_tbDpT10_ENKUlT_T0_E_clISt17integral_constantIbLb0EES1A_IbLb1EEEEDaS16_S17_EUlS16_E_NS1_11comp_targetILNS1_3genE4ELNS1_11target_archE910ELNS1_3gpuE8ELNS1_3repE0EEENS1_30default_config_static_selectorELNS0_4arch9wavefront6targetE1EEEvT1_
                                        ; -- End function
	.section	.AMDGPU.csdata,"",@progbits
; Kernel info:
; codeLenInByte = 0
; NumSgprs: 6
; NumVgprs: 0
; NumAgprs: 0
; TotalNumVgprs: 0
; ScratchSize: 0
; MemoryBound: 0
; FloatMode: 240
; IeeeMode: 1
; LDSByteSize: 0 bytes/workgroup (compile time only)
; SGPRBlocks: 0
; VGPRBlocks: 0
; NumSGPRsForWavesPerEU: 6
; NumVGPRsForWavesPerEU: 1
; AccumOffset: 4
; Occupancy: 8
; WaveLimiterHint : 0
; COMPUTE_PGM_RSRC2:SCRATCH_EN: 0
; COMPUTE_PGM_RSRC2:USER_SGPR: 2
; COMPUTE_PGM_RSRC2:TRAP_HANDLER: 0
; COMPUTE_PGM_RSRC2:TGID_X_EN: 1
; COMPUTE_PGM_RSRC2:TGID_Y_EN: 0
; COMPUTE_PGM_RSRC2:TGID_Z_EN: 0
; COMPUTE_PGM_RSRC2:TIDIG_COMP_CNT: 0
; COMPUTE_PGM_RSRC3_GFX90A:ACCUM_OFFSET: 0
; COMPUTE_PGM_RSRC3_GFX90A:TG_SPLIT: 0
	.section	.text._ZN7rocprim17ROCPRIM_400000_NS6detail17trampoline_kernelINS0_14default_configENS1_25partition_config_selectorILNS1_17partition_subalgoE1EjNS0_10empty_typeEbEEZZNS1_14partition_implILS5_1ELb0ES3_jN6thrust23THRUST_200600_302600_NS6detail15normal_iteratorINSA_10device_ptrIjEEEEPS6_NSA_18transform_iteratorI7is_evenIjESF_NSA_11use_defaultESK_EENS0_5tupleIJNSA_16discard_iteratorISK_EESF_EEENSM_IJSG_SG_EEES6_PlJS6_EEE10hipError_tPvRmT3_T4_T5_T6_T7_T9_mT8_P12ihipStream_tbDpT10_ENKUlT_T0_E_clISt17integral_constantIbLb0EES1A_IbLb1EEEEDaS16_S17_EUlS16_E_NS1_11comp_targetILNS1_3genE3ELNS1_11target_archE908ELNS1_3gpuE7ELNS1_3repE0EEENS1_30default_config_static_selectorELNS0_4arch9wavefront6targetE1EEEvT1_,"axG",@progbits,_ZN7rocprim17ROCPRIM_400000_NS6detail17trampoline_kernelINS0_14default_configENS1_25partition_config_selectorILNS1_17partition_subalgoE1EjNS0_10empty_typeEbEEZZNS1_14partition_implILS5_1ELb0ES3_jN6thrust23THRUST_200600_302600_NS6detail15normal_iteratorINSA_10device_ptrIjEEEEPS6_NSA_18transform_iteratorI7is_evenIjESF_NSA_11use_defaultESK_EENS0_5tupleIJNSA_16discard_iteratorISK_EESF_EEENSM_IJSG_SG_EEES6_PlJS6_EEE10hipError_tPvRmT3_T4_T5_T6_T7_T9_mT8_P12ihipStream_tbDpT10_ENKUlT_T0_E_clISt17integral_constantIbLb0EES1A_IbLb1EEEEDaS16_S17_EUlS16_E_NS1_11comp_targetILNS1_3genE3ELNS1_11target_archE908ELNS1_3gpuE7ELNS1_3repE0EEENS1_30default_config_static_selectorELNS0_4arch9wavefront6targetE1EEEvT1_,comdat
	.protected	_ZN7rocprim17ROCPRIM_400000_NS6detail17trampoline_kernelINS0_14default_configENS1_25partition_config_selectorILNS1_17partition_subalgoE1EjNS0_10empty_typeEbEEZZNS1_14partition_implILS5_1ELb0ES3_jN6thrust23THRUST_200600_302600_NS6detail15normal_iteratorINSA_10device_ptrIjEEEEPS6_NSA_18transform_iteratorI7is_evenIjESF_NSA_11use_defaultESK_EENS0_5tupleIJNSA_16discard_iteratorISK_EESF_EEENSM_IJSG_SG_EEES6_PlJS6_EEE10hipError_tPvRmT3_T4_T5_T6_T7_T9_mT8_P12ihipStream_tbDpT10_ENKUlT_T0_E_clISt17integral_constantIbLb0EES1A_IbLb1EEEEDaS16_S17_EUlS16_E_NS1_11comp_targetILNS1_3genE3ELNS1_11target_archE908ELNS1_3gpuE7ELNS1_3repE0EEENS1_30default_config_static_selectorELNS0_4arch9wavefront6targetE1EEEvT1_ ; -- Begin function _ZN7rocprim17ROCPRIM_400000_NS6detail17trampoline_kernelINS0_14default_configENS1_25partition_config_selectorILNS1_17partition_subalgoE1EjNS0_10empty_typeEbEEZZNS1_14partition_implILS5_1ELb0ES3_jN6thrust23THRUST_200600_302600_NS6detail15normal_iteratorINSA_10device_ptrIjEEEEPS6_NSA_18transform_iteratorI7is_evenIjESF_NSA_11use_defaultESK_EENS0_5tupleIJNSA_16discard_iteratorISK_EESF_EEENSM_IJSG_SG_EEES6_PlJS6_EEE10hipError_tPvRmT3_T4_T5_T6_T7_T9_mT8_P12ihipStream_tbDpT10_ENKUlT_T0_E_clISt17integral_constantIbLb0EES1A_IbLb1EEEEDaS16_S17_EUlS16_E_NS1_11comp_targetILNS1_3genE3ELNS1_11target_archE908ELNS1_3gpuE7ELNS1_3repE0EEENS1_30default_config_static_selectorELNS0_4arch9wavefront6targetE1EEEvT1_
	.globl	_ZN7rocprim17ROCPRIM_400000_NS6detail17trampoline_kernelINS0_14default_configENS1_25partition_config_selectorILNS1_17partition_subalgoE1EjNS0_10empty_typeEbEEZZNS1_14partition_implILS5_1ELb0ES3_jN6thrust23THRUST_200600_302600_NS6detail15normal_iteratorINSA_10device_ptrIjEEEEPS6_NSA_18transform_iteratorI7is_evenIjESF_NSA_11use_defaultESK_EENS0_5tupleIJNSA_16discard_iteratorISK_EESF_EEENSM_IJSG_SG_EEES6_PlJS6_EEE10hipError_tPvRmT3_T4_T5_T6_T7_T9_mT8_P12ihipStream_tbDpT10_ENKUlT_T0_E_clISt17integral_constantIbLb0EES1A_IbLb1EEEEDaS16_S17_EUlS16_E_NS1_11comp_targetILNS1_3genE3ELNS1_11target_archE908ELNS1_3gpuE7ELNS1_3repE0EEENS1_30default_config_static_selectorELNS0_4arch9wavefront6targetE1EEEvT1_
	.p2align	8
	.type	_ZN7rocprim17ROCPRIM_400000_NS6detail17trampoline_kernelINS0_14default_configENS1_25partition_config_selectorILNS1_17partition_subalgoE1EjNS0_10empty_typeEbEEZZNS1_14partition_implILS5_1ELb0ES3_jN6thrust23THRUST_200600_302600_NS6detail15normal_iteratorINSA_10device_ptrIjEEEEPS6_NSA_18transform_iteratorI7is_evenIjESF_NSA_11use_defaultESK_EENS0_5tupleIJNSA_16discard_iteratorISK_EESF_EEENSM_IJSG_SG_EEES6_PlJS6_EEE10hipError_tPvRmT3_T4_T5_T6_T7_T9_mT8_P12ihipStream_tbDpT10_ENKUlT_T0_E_clISt17integral_constantIbLb0EES1A_IbLb1EEEEDaS16_S17_EUlS16_E_NS1_11comp_targetILNS1_3genE3ELNS1_11target_archE908ELNS1_3gpuE7ELNS1_3repE0EEENS1_30default_config_static_selectorELNS0_4arch9wavefront6targetE1EEEvT1_,@function
_ZN7rocprim17ROCPRIM_400000_NS6detail17trampoline_kernelINS0_14default_configENS1_25partition_config_selectorILNS1_17partition_subalgoE1EjNS0_10empty_typeEbEEZZNS1_14partition_implILS5_1ELb0ES3_jN6thrust23THRUST_200600_302600_NS6detail15normal_iteratorINSA_10device_ptrIjEEEEPS6_NSA_18transform_iteratorI7is_evenIjESF_NSA_11use_defaultESK_EENS0_5tupleIJNSA_16discard_iteratorISK_EESF_EEENSM_IJSG_SG_EEES6_PlJS6_EEE10hipError_tPvRmT3_T4_T5_T6_T7_T9_mT8_P12ihipStream_tbDpT10_ENKUlT_T0_E_clISt17integral_constantIbLb0EES1A_IbLb1EEEEDaS16_S17_EUlS16_E_NS1_11comp_targetILNS1_3genE3ELNS1_11target_archE908ELNS1_3gpuE7ELNS1_3repE0EEENS1_30default_config_static_selectorELNS0_4arch9wavefront6targetE1EEEvT1_: ; @_ZN7rocprim17ROCPRIM_400000_NS6detail17trampoline_kernelINS0_14default_configENS1_25partition_config_selectorILNS1_17partition_subalgoE1EjNS0_10empty_typeEbEEZZNS1_14partition_implILS5_1ELb0ES3_jN6thrust23THRUST_200600_302600_NS6detail15normal_iteratorINSA_10device_ptrIjEEEEPS6_NSA_18transform_iteratorI7is_evenIjESF_NSA_11use_defaultESK_EENS0_5tupleIJNSA_16discard_iteratorISK_EESF_EEENSM_IJSG_SG_EEES6_PlJS6_EEE10hipError_tPvRmT3_T4_T5_T6_T7_T9_mT8_P12ihipStream_tbDpT10_ENKUlT_T0_E_clISt17integral_constantIbLb0EES1A_IbLb1EEEEDaS16_S17_EUlS16_E_NS1_11comp_targetILNS1_3genE3ELNS1_11target_archE908ELNS1_3gpuE7ELNS1_3repE0EEENS1_30default_config_static_selectorELNS0_4arch9wavefront6targetE1EEEvT1_
; %bb.0:
	.section	.rodata,"a",@progbits
	.p2align	6, 0x0
	.amdhsa_kernel _ZN7rocprim17ROCPRIM_400000_NS6detail17trampoline_kernelINS0_14default_configENS1_25partition_config_selectorILNS1_17partition_subalgoE1EjNS0_10empty_typeEbEEZZNS1_14partition_implILS5_1ELb0ES3_jN6thrust23THRUST_200600_302600_NS6detail15normal_iteratorINSA_10device_ptrIjEEEEPS6_NSA_18transform_iteratorI7is_evenIjESF_NSA_11use_defaultESK_EENS0_5tupleIJNSA_16discard_iteratorISK_EESF_EEENSM_IJSG_SG_EEES6_PlJS6_EEE10hipError_tPvRmT3_T4_T5_T6_T7_T9_mT8_P12ihipStream_tbDpT10_ENKUlT_T0_E_clISt17integral_constantIbLb0EES1A_IbLb1EEEEDaS16_S17_EUlS16_E_NS1_11comp_targetILNS1_3genE3ELNS1_11target_archE908ELNS1_3gpuE7ELNS1_3repE0EEENS1_30default_config_static_selectorELNS0_4arch9wavefront6targetE1EEEvT1_
		.amdhsa_group_segment_fixed_size 0
		.amdhsa_private_segment_fixed_size 0
		.amdhsa_kernarg_size 152
		.amdhsa_user_sgpr_count 2
		.amdhsa_user_sgpr_dispatch_ptr 0
		.amdhsa_user_sgpr_queue_ptr 0
		.amdhsa_user_sgpr_kernarg_segment_ptr 1
		.amdhsa_user_sgpr_dispatch_id 0
		.amdhsa_user_sgpr_kernarg_preload_length 0
		.amdhsa_user_sgpr_kernarg_preload_offset 0
		.amdhsa_user_sgpr_private_segment_size 0
		.amdhsa_uses_dynamic_stack 0
		.amdhsa_enable_private_segment 0
		.amdhsa_system_sgpr_workgroup_id_x 1
		.amdhsa_system_sgpr_workgroup_id_y 0
		.amdhsa_system_sgpr_workgroup_id_z 0
		.amdhsa_system_sgpr_workgroup_info 0
		.amdhsa_system_vgpr_workitem_id 0
		.amdhsa_next_free_vgpr 1
		.amdhsa_next_free_sgpr 0
		.amdhsa_accum_offset 4
		.amdhsa_reserve_vcc 0
		.amdhsa_float_round_mode_32 0
		.amdhsa_float_round_mode_16_64 0
		.amdhsa_float_denorm_mode_32 3
		.amdhsa_float_denorm_mode_16_64 3
		.amdhsa_dx10_clamp 1
		.amdhsa_ieee_mode 1
		.amdhsa_fp16_overflow 0
		.amdhsa_tg_split 0
		.amdhsa_exception_fp_ieee_invalid_op 0
		.amdhsa_exception_fp_denorm_src 0
		.amdhsa_exception_fp_ieee_div_zero 0
		.amdhsa_exception_fp_ieee_overflow 0
		.amdhsa_exception_fp_ieee_underflow 0
		.amdhsa_exception_fp_ieee_inexact 0
		.amdhsa_exception_int_div_zero 0
	.end_amdhsa_kernel
	.section	.text._ZN7rocprim17ROCPRIM_400000_NS6detail17trampoline_kernelINS0_14default_configENS1_25partition_config_selectorILNS1_17partition_subalgoE1EjNS0_10empty_typeEbEEZZNS1_14partition_implILS5_1ELb0ES3_jN6thrust23THRUST_200600_302600_NS6detail15normal_iteratorINSA_10device_ptrIjEEEEPS6_NSA_18transform_iteratorI7is_evenIjESF_NSA_11use_defaultESK_EENS0_5tupleIJNSA_16discard_iteratorISK_EESF_EEENSM_IJSG_SG_EEES6_PlJS6_EEE10hipError_tPvRmT3_T4_T5_T6_T7_T9_mT8_P12ihipStream_tbDpT10_ENKUlT_T0_E_clISt17integral_constantIbLb0EES1A_IbLb1EEEEDaS16_S17_EUlS16_E_NS1_11comp_targetILNS1_3genE3ELNS1_11target_archE908ELNS1_3gpuE7ELNS1_3repE0EEENS1_30default_config_static_selectorELNS0_4arch9wavefront6targetE1EEEvT1_,"axG",@progbits,_ZN7rocprim17ROCPRIM_400000_NS6detail17trampoline_kernelINS0_14default_configENS1_25partition_config_selectorILNS1_17partition_subalgoE1EjNS0_10empty_typeEbEEZZNS1_14partition_implILS5_1ELb0ES3_jN6thrust23THRUST_200600_302600_NS6detail15normal_iteratorINSA_10device_ptrIjEEEEPS6_NSA_18transform_iteratorI7is_evenIjESF_NSA_11use_defaultESK_EENS0_5tupleIJNSA_16discard_iteratorISK_EESF_EEENSM_IJSG_SG_EEES6_PlJS6_EEE10hipError_tPvRmT3_T4_T5_T6_T7_T9_mT8_P12ihipStream_tbDpT10_ENKUlT_T0_E_clISt17integral_constantIbLb0EES1A_IbLb1EEEEDaS16_S17_EUlS16_E_NS1_11comp_targetILNS1_3genE3ELNS1_11target_archE908ELNS1_3gpuE7ELNS1_3repE0EEENS1_30default_config_static_selectorELNS0_4arch9wavefront6targetE1EEEvT1_,comdat
.Lfunc_end3062:
	.size	_ZN7rocprim17ROCPRIM_400000_NS6detail17trampoline_kernelINS0_14default_configENS1_25partition_config_selectorILNS1_17partition_subalgoE1EjNS0_10empty_typeEbEEZZNS1_14partition_implILS5_1ELb0ES3_jN6thrust23THRUST_200600_302600_NS6detail15normal_iteratorINSA_10device_ptrIjEEEEPS6_NSA_18transform_iteratorI7is_evenIjESF_NSA_11use_defaultESK_EENS0_5tupleIJNSA_16discard_iteratorISK_EESF_EEENSM_IJSG_SG_EEES6_PlJS6_EEE10hipError_tPvRmT3_T4_T5_T6_T7_T9_mT8_P12ihipStream_tbDpT10_ENKUlT_T0_E_clISt17integral_constantIbLb0EES1A_IbLb1EEEEDaS16_S17_EUlS16_E_NS1_11comp_targetILNS1_3genE3ELNS1_11target_archE908ELNS1_3gpuE7ELNS1_3repE0EEENS1_30default_config_static_selectorELNS0_4arch9wavefront6targetE1EEEvT1_, .Lfunc_end3062-_ZN7rocprim17ROCPRIM_400000_NS6detail17trampoline_kernelINS0_14default_configENS1_25partition_config_selectorILNS1_17partition_subalgoE1EjNS0_10empty_typeEbEEZZNS1_14partition_implILS5_1ELb0ES3_jN6thrust23THRUST_200600_302600_NS6detail15normal_iteratorINSA_10device_ptrIjEEEEPS6_NSA_18transform_iteratorI7is_evenIjESF_NSA_11use_defaultESK_EENS0_5tupleIJNSA_16discard_iteratorISK_EESF_EEENSM_IJSG_SG_EEES6_PlJS6_EEE10hipError_tPvRmT3_T4_T5_T6_T7_T9_mT8_P12ihipStream_tbDpT10_ENKUlT_T0_E_clISt17integral_constantIbLb0EES1A_IbLb1EEEEDaS16_S17_EUlS16_E_NS1_11comp_targetILNS1_3genE3ELNS1_11target_archE908ELNS1_3gpuE7ELNS1_3repE0EEENS1_30default_config_static_selectorELNS0_4arch9wavefront6targetE1EEEvT1_
                                        ; -- End function
	.section	.AMDGPU.csdata,"",@progbits
; Kernel info:
; codeLenInByte = 0
; NumSgprs: 6
; NumVgprs: 0
; NumAgprs: 0
; TotalNumVgprs: 0
; ScratchSize: 0
; MemoryBound: 0
; FloatMode: 240
; IeeeMode: 1
; LDSByteSize: 0 bytes/workgroup (compile time only)
; SGPRBlocks: 0
; VGPRBlocks: 0
; NumSGPRsForWavesPerEU: 6
; NumVGPRsForWavesPerEU: 1
; AccumOffset: 4
; Occupancy: 8
; WaveLimiterHint : 0
; COMPUTE_PGM_RSRC2:SCRATCH_EN: 0
; COMPUTE_PGM_RSRC2:USER_SGPR: 2
; COMPUTE_PGM_RSRC2:TRAP_HANDLER: 0
; COMPUTE_PGM_RSRC2:TGID_X_EN: 1
; COMPUTE_PGM_RSRC2:TGID_Y_EN: 0
; COMPUTE_PGM_RSRC2:TGID_Z_EN: 0
; COMPUTE_PGM_RSRC2:TIDIG_COMP_CNT: 0
; COMPUTE_PGM_RSRC3_GFX90A:ACCUM_OFFSET: 0
; COMPUTE_PGM_RSRC3_GFX90A:TG_SPLIT: 0
	.section	.text._ZN7rocprim17ROCPRIM_400000_NS6detail17trampoline_kernelINS0_14default_configENS1_25partition_config_selectorILNS1_17partition_subalgoE1EjNS0_10empty_typeEbEEZZNS1_14partition_implILS5_1ELb0ES3_jN6thrust23THRUST_200600_302600_NS6detail15normal_iteratorINSA_10device_ptrIjEEEEPS6_NSA_18transform_iteratorI7is_evenIjESF_NSA_11use_defaultESK_EENS0_5tupleIJNSA_16discard_iteratorISK_EESF_EEENSM_IJSG_SG_EEES6_PlJS6_EEE10hipError_tPvRmT3_T4_T5_T6_T7_T9_mT8_P12ihipStream_tbDpT10_ENKUlT_T0_E_clISt17integral_constantIbLb0EES1A_IbLb1EEEEDaS16_S17_EUlS16_E_NS1_11comp_targetILNS1_3genE2ELNS1_11target_archE906ELNS1_3gpuE6ELNS1_3repE0EEENS1_30default_config_static_selectorELNS0_4arch9wavefront6targetE1EEEvT1_,"axG",@progbits,_ZN7rocprim17ROCPRIM_400000_NS6detail17trampoline_kernelINS0_14default_configENS1_25partition_config_selectorILNS1_17partition_subalgoE1EjNS0_10empty_typeEbEEZZNS1_14partition_implILS5_1ELb0ES3_jN6thrust23THRUST_200600_302600_NS6detail15normal_iteratorINSA_10device_ptrIjEEEEPS6_NSA_18transform_iteratorI7is_evenIjESF_NSA_11use_defaultESK_EENS0_5tupleIJNSA_16discard_iteratorISK_EESF_EEENSM_IJSG_SG_EEES6_PlJS6_EEE10hipError_tPvRmT3_T4_T5_T6_T7_T9_mT8_P12ihipStream_tbDpT10_ENKUlT_T0_E_clISt17integral_constantIbLb0EES1A_IbLb1EEEEDaS16_S17_EUlS16_E_NS1_11comp_targetILNS1_3genE2ELNS1_11target_archE906ELNS1_3gpuE6ELNS1_3repE0EEENS1_30default_config_static_selectorELNS0_4arch9wavefront6targetE1EEEvT1_,comdat
	.protected	_ZN7rocprim17ROCPRIM_400000_NS6detail17trampoline_kernelINS0_14default_configENS1_25partition_config_selectorILNS1_17partition_subalgoE1EjNS0_10empty_typeEbEEZZNS1_14partition_implILS5_1ELb0ES3_jN6thrust23THRUST_200600_302600_NS6detail15normal_iteratorINSA_10device_ptrIjEEEEPS6_NSA_18transform_iteratorI7is_evenIjESF_NSA_11use_defaultESK_EENS0_5tupleIJNSA_16discard_iteratorISK_EESF_EEENSM_IJSG_SG_EEES6_PlJS6_EEE10hipError_tPvRmT3_T4_T5_T6_T7_T9_mT8_P12ihipStream_tbDpT10_ENKUlT_T0_E_clISt17integral_constantIbLb0EES1A_IbLb1EEEEDaS16_S17_EUlS16_E_NS1_11comp_targetILNS1_3genE2ELNS1_11target_archE906ELNS1_3gpuE6ELNS1_3repE0EEENS1_30default_config_static_selectorELNS0_4arch9wavefront6targetE1EEEvT1_ ; -- Begin function _ZN7rocprim17ROCPRIM_400000_NS6detail17trampoline_kernelINS0_14default_configENS1_25partition_config_selectorILNS1_17partition_subalgoE1EjNS0_10empty_typeEbEEZZNS1_14partition_implILS5_1ELb0ES3_jN6thrust23THRUST_200600_302600_NS6detail15normal_iteratorINSA_10device_ptrIjEEEEPS6_NSA_18transform_iteratorI7is_evenIjESF_NSA_11use_defaultESK_EENS0_5tupleIJNSA_16discard_iteratorISK_EESF_EEENSM_IJSG_SG_EEES6_PlJS6_EEE10hipError_tPvRmT3_T4_T5_T6_T7_T9_mT8_P12ihipStream_tbDpT10_ENKUlT_T0_E_clISt17integral_constantIbLb0EES1A_IbLb1EEEEDaS16_S17_EUlS16_E_NS1_11comp_targetILNS1_3genE2ELNS1_11target_archE906ELNS1_3gpuE6ELNS1_3repE0EEENS1_30default_config_static_selectorELNS0_4arch9wavefront6targetE1EEEvT1_
	.globl	_ZN7rocprim17ROCPRIM_400000_NS6detail17trampoline_kernelINS0_14default_configENS1_25partition_config_selectorILNS1_17partition_subalgoE1EjNS0_10empty_typeEbEEZZNS1_14partition_implILS5_1ELb0ES3_jN6thrust23THRUST_200600_302600_NS6detail15normal_iteratorINSA_10device_ptrIjEEEEPS6_NSA_18transform_iteratorI7is_evenIjESF_NSA_11use_defaultESK_EENS0_5tupleIJNSA_16discard_iteratorISK_EESF_EEENSM_IJSG_SG_EEES6_PlJS6_EEE10hipError_tPvRmT3_T4_T5_T6_T7_T9_mT8_P12ihipStream_tbDpT10_ENKUlT_T0_E_clISt17integral_constantIbLb0EES1A_IbLb1EEEEDaS16_S17_EUlS16_E_NS1_11comp_targetILNS1_3genE2ELNS1_11target_archE906ELNS1_3gpuE6ELNS1_3repE0EEENS1_30default_config_static_selectorELNS0_4arch9wavefront6targetE1EEEvT1_
	.p2align	8
	.type	_ZN7rocprim17ROCPRIM_400000_NS6detail17trampoline_kernelINS0_14default_configENS1_25partition_config_selectorILNS1_17partition_subalgoE1EjNS0_10empty_typeEbEEZZNS1_14partition_implILS5_1ELb0ES3_jN6thrust23THRUST_200600_302600_NS6detail15normal_iteratorINSA_10device_ptrIjEEEEPS6_NSA_18transform_iteratorI7is_evenIjESF_NSA_11use_defaultESK_EENS0_5tupleIJNSA_16discard_iteratorISK_EESF_EEENSM_IJSG_SG_EEES6_PlJS6_EEE10hipError_tPvRmT3_T4_T5_T6_T7_T9_mT8_P12ihipStream_tbDpT10_ENKUlT_T0_E_clISt17integral_constantIbLb0EES1A_IbLb1EEEEDaS16_S17_EUlS16_E_NS1_11comp_targetILNS1_3genE2ELNS1_11target_archE906ELNS1_3gpuE6ELNS1_3repE0EEENS1_30default_config_static_selectorELNS0_4arch9wavefront6targetE1EEEvT1_,@function
_ZN7rocprim17ROCPRIM_400000_NS6detail17trampoline_kernelINS0_14default_configENS1_25partition_config_selectorILNS1_17partition_subalgoE1EjNS0_10empty_typeEbEEZZNS1_14partition_implILS5_1ELb0ES3_jN6thrust23THRUST_200600_302600_NS6detail15normal_iteratorINSA_10device_ptrIjEEEEPS6_NSA_18transform_iteratorI7is_evenIjESF_NSA_11use_defaultESK_EENS0_5tupleIJNSA_16discard_iteratorISK_EESF_EEENSM_IJSG_SG_EEES6_PlJS6_EEE10hipError_tPvRmT3_T4_T5_T6_T7_T9_mT8_P12ihipStream_tbDpT10_ENKUlT_T0_E_clISt17integral_constantIbLb0EES1A_IbLb1EEEEDaS16_S17_EUlS16_E_NS1_11comp_targetILNS1_3genE2ELNS1_11target_archE906ELNS1_3gpuE6ELNS1_3repE0EEENS1_30default_config_static_selectorELNS0_4arch9wavefront6targetE1EEEvT1_: ; @_ZN7rocprim17ROCPRIM_400000_NS6detail17trampoline_kernelINS0_14default_configENS1_25partition_config_selectorILNS1_17partition_subalgoE1EjNS0_10empty_typeEbEEZZNS1_14partition_implILS5_1ELb0ES3_jN6thrust23THRUST_200600_302600_NS6detail15normal_iteratorINSA_10device_ptrIjEEEEPS6_NSA_18transform_iteratorI7is_evenIjESF_NSA_11use_defaultESK_EENS0_5tupleIJNSA_16discard_iteratorISK_EESF_EEENSM_IJSG_SG_EEES6_PlJS6_EEE10hipError_tPvRmT3_T4_T5_T6_T7_T9_mT8_P12ihipStream_tbDpT10_ENKUlT_T0_E_clISt17integral_constantIbLb0EES1A_IbLb1EEEEDaS16_S17_EUlS16_E_NS1_11comp_targetILNS1_3genE2ELNS1_11target_archE906ELNS1_3gpuE6ELNS1_3repE0EEENS1_30default_config_static_selectorELNS0_4arch9wavefront6targetE1EEEvT1_
; %bb.0:
	.section	.rodata,"a",@progbits
	.p2align	6, 0x0
	.amdhsa_kernel _ZN7rocprim17ROCPRIM_400000_NS6detail17trampoline_kernelINS0_14default_configENS1_25partition_config_selectorILNS1_17partition_subalgoE1EjNS0_10empty_typeEbEEZZNS1_14partition_implILS5_1ELb0ES3_jN6thrust23THRUST_200600_302600_NS6detail15normal_iteratorINSA_10device_ptrIjEEEEPS6_NSA_18transform_iteratorI7is_evenIjESF_NSA_11use_defaultESK_EENS0_5tupleIJNSA_16discard_iteratorISK_EESF_EEENSM_IJSG_SG_EEES6_PlJS6_EEE10hipError_tPvRmT3_T4_T5_T6_T7_T9_mT8_P12ihipStream_tbDpT10_ENKUlT_T0_E_clISt17integral_constantIbLb0EES1A_IbLb1EEEEDaS16_S17_EUlS16_E_NS1_11comp_targetILNS1_3genE2ELNS1_11target_archE906ELNS1_3gpuE6ELNS1_3repE0EEENS1_30default_config_static_selectorELNS0_4arch9wavefront6targetE1EEEvT1_
		.amdhsa_group_segment_fixed_size 0
		.amdhsa_private_segment_fixed_size 0
		.amdhsa_kernarg_size 152
		.amdhsa_user_sgpr_count 2
		.amdhsa_user_sgpr_dispatch_ptr 0
		.amdhsa_user_sgpr_queue_ptr 0
		.amdhsa_user_sgpr_kernarg_segment_ptr 1
		.amdhsa_user_sgpr_dispatch_id 0
		.amdhsa_user_sgpr_kernarg_preload_length 0
		.amdhsa_user_sgpr_kernarg_preload_offset 0
		.amdhsa_user_sgpr_private_segment_size 0
		.amdhsa_uses_dynamic_stack 0
		.amdhsa_enable_private_segment 0
		.amdhsa_system_sgpr_workgroup_id_x 1
		.amdhsa_system_sgpr_workgroup_id_y 0
		.amdhsa_system_sgpr_workgroup_id_z 0
		.amdhsa_system_sgpr_workgroup_info 0
		.amdhsa_system_vgpr_workitem_id 0
		.amdhsa_next_free_vgpr 1
		.amdhsa_next_free_sgpr 0
		.amdhsa_accum_offset 4
		.amdhsa_reserve_vcc 0
		.amdhsa_float_round_mode_32 0
		.amdhsa_float_round_mode_16_64 0
		.amdhsa_float_denorm_mode_32 3
		.amdhsa_float_denorm_mode_16_64 3
		.amdhsa_dx10_clamp 1
		.amdhsa_ieee_mode 1
		.amdhsa_fp16_overflow 0
		.amdhsa_tg_split 0
		.amdhsa_exception_fp_ieee_invalid_op 0
		.amdhsa_exception_fp_denorm_src 0
		.amdhsa_exception_fp_ieee_div_zero 0
		.amdhsa_exception_fp_ieee_overflow 0
		.amdhsa_exception_fp_ieee_underflow 0
		.amdhsa_exception_fp_ieee_inexact 0
		.amdhsa_exception_int_div_zero 0
	.end_amdhsa_kernel
	.section	.text._ZN7rocprim17ROCPRIM_400000_NS6detail17trampoline_kernelINS0_14default_configENS1_25partition_config_selectorILNS1_17partition_subalgoE1EjNS0_10empty_typeEbEEZZNS1_14partition_implILS5_1ELb0ES3_jN6thrust23THRUST_200600_302600_NS6detail15normal_iteratorINSA_10device_ptrIjEEEEPS6_NSA_18transform_iteratorI7is_evenIjESF_NSA_11use_defaultESK_EENS0_5tupleIJNSA_16discard_iteratorISK_EESF_EEENSM_IJSG_SG_EEES6_PlJS6_EEE10hipError_tPvRmT3_T4_T5_T6_T7_T9_mT8_P12ihipStream_tbDpT10_ENKUlT_T0_E_clISt17integral_constantIbLb0EES1A_IbLb1EEEEDaS16_S17_EUlS16_E_NS1_11comp_targetILNS1_3genE2ELNS1_11target_archE906ELNS1_3gpuE6ELNS1_3repE0EEENS1_30default_config_static_selectorELNS0_4arch9wavefront6targetE1EEEvT1_,"axG",@progbits,_ZN7rocprim17ROCPRIM_400000_NS6detail17trampoline_kernelINS0_14default_configENS1_25partition_config_selectorILNS1_17partition_subalgoE1EjNS0_10empty_typeEbEEZZNS1_14partition_implILS5_1ELb0ES3_jN6thrust23THRUST_200600_302600_NS6detail15normal_iteratorINSA_10device_ptrIjEEEEPS6_NSA_18transform_iteratorI7is_evenIjESF_NSA_11use_defaultESK_EENS0_5tupleIJNSA_16discard_iteratorISK_EESF_EEENSM_IJSG_SG_EEES6_PlJS6_EEE10hipError_tPvRmT3_T4_T5_T6_T7_T9_mT8_P12ihipStream_tbDpT10_ENKUlT_T0_E_clISt17integral_constantIbLb0EES1A_IbLb1EEEEDaS16_S17_EUlS16_E_NS1_11comp_targetILNS1_3genE2ELNS1_11target_archE906ELNS1_3gpuE6ELNS1_3repE0EEENS1_30default_config_static_selectorELNS0_4arch9wavefront6targetE1EEEvT1_,comdat
.Lfunc_end3063:
	.size	_ZN7rocprim17ROCPRIM_400000_NS6detail17trampoline_kernelINS0_14default_configENS1_25partition_config_selectorILNS1_17partition_subalgoE1EjNS0_10empty_typeEbEEZZNS1_14partition_implILS5_1ELb0ES3_jN6thrust23THRUST_200600_302600_NS6detail15normal_iteratorINSA_10device_ptrIjEEEEPS6_NSA_18transform_iteratorI7is_evenIjESF_NSA_11use_defaultESK_EENS0_5tupleIJNSA_16discard_iteratorISK_EESF_EEENSM_IJSG_SG_EEES6_PlJS6_EEE10hipError_tPvRmT3_T4_T5_T6_T7_T9_mT8_P12ihipStream_tbDpT10_ENKUlT_T0_E_clISt17integral_constantIbLb0EES1A_IbLb1EEEEDaS16_S17_EUlS16_E_NS1_11comp_targetILNS1_3genE2ELNS1_11target_archE906ELNS1_3gpuE6ELNS1_3repE0EEENS1_30default_config_static_selectorELNS0_4arch9wavefront6targetE1EEEvT1_, .Lfunc_end3063-_ZN7rocprim17ROCPRIM_400000_NS6detail17trampoline_kernelINS0_14default_configENS1_25partition_config_selectorILNS1_17partition_subalgoE1EjNS0_10empty_typeEbEEZZNS1_14partition_implILS5_1ELb0ES3_jN6thrust23THRUST_200600_302600_NS6detail15normal_iteratorINSA_10device_ptrIjEEEEPS6_NSA_18transform_iteratorI7is_evenIjESF_NSA_11use_defaultESK_EENS0_5tupleIJNSA_16discard_iteratorISK_EESF_EEENSM_IJSG_SG_EEES6_PlJS6_EEE10hipError_tPvRmT3_T4_T5_T6_T7_T9_mT8_P12ihipStream_tbDpT10_ENKUlT_T0_E_clISt17integral_constantIbLb0EES1A_IbLb1EEEEDaS16_S17_EUlS16_E_NS1_11comp_targetILNS1_3genE2ELNS1_11target_archE906ELNS1_3gpuE6ELNS1_3repE0EEENS1_30default_config_static_selectorELNS0_4arch9wavefront6targetE1EEEvT1_
                                        ; -- End function
	.section	.AMDGPU.csdata,"",@progbits
; Kernel info:
; codeLenInByte = 0
; NumSgprs: 6
; NumVgprs: 0
; NumAgprs: 0
; TotalNumVgprs: 0
; ScratchSize: 0
; MemoryBound: 0
; FloatMode: 240
; IeeeMode: 1
; LDSByteSize: 0 bytes/workgroup (compile time only)
; SGPRBlocks: 0
; VGPRBlocks: 0
; NumSGPRsForWavesPerEU: 6
; NumVGPRsForWavesPerEU: 1
; AccumOffset: 4
; Occupancy: 8
; WaveLimiterHint : 0
; COMPUTE_PGM_RSRC2:SCRATCH_EN: 0
; COMPUTE_PGM_RSRC2:USER_SGPR: 2
; COMPUTE_PGM_RSRC2:TRAP_HANDLER: 0
; COMPUTE_PGM_RSRC2:TGID_X_EN: 1
; COMPUTE_PGM_RSRC2:TGID_Y_EN: 0
; COMPUTE_PGM_RSRC2:TGID_Z_EN: 0
; COMPUTE_PGM_RSRC2:TIDIG_COMP_CNT: 0
; COMPUTE_PGM_RSRC3_GFX90A:ACCUM_OFFSET: 0
; COMPUTE_PGM_RSRC3_GFX90A:TG_SPLIT: 0
	.section	.text._ZN7rocprim17ROCPRIM_400000_NS6detail17trampoline_kernelINS0_14default_configENS1_25partition_config_selectorILNS1_17partition_subalgoE1EjNS0_10empty_typeEbEEZZNS1_14partition_implILS5_1ELb0ES3_jN6thrust23THRUST_200600_302600_NS6detail15normal_iteratorINSA_10device_ptrIjEEEEPS6_NSA_18transform_iteratorI7is_evenIjESF_NSA_11use_defaultESK_EENS0_5tupleIJNSA_16discard_iteratorISK_EESF_EEENSM_IJSG_SG_EEES6_PlJS6_EEE10hipError_tPvRmT3_T4_T5_T6_T7_T9_mT8_P12ihipStream_tbDpT10_ENKUlT_T0_E_clISt17integral_constantIbLb0EES1A_IbLb1EEEEDaS16_S17_EUlS16_E_NS1_11comp_targetILNS1_3genE10ELNS1_11target_archE1200ELNS1_3gpuE4ELNS1_3repE0EEENS1_30default_config_static_selectorELNS0_4arch9wavefront6targetE1EEEvT1_,"axG",@progbits,_ZN7rocprim17ROCPRIM_400000_NS6detail17trampoline_kernelINS0_14default_configENS1_25partition_config_selectorILNS1_17partition_subalgoE1EjNS0_10empty_typeEbEEZZNS1_14partition_implILS5_1ELb0ES3_jN6thrust23THRUST_200600_302600_NS6detail15normal_iteratorINSA_10device_ptrIjEEEEPS6_NSA_18transform_iteratorI7is_evenIjESF_NSA_11use_defaultESK_EENS0_5tupleIJNSA_16discard_iteratorISK_EESF_EEENSM_IJSG_SG_EEES6_PlJS6_EEE10hipError_tPvRmT3_T4_T5_T6_T7_T9_mT8_P12ihipStream_tbDpT10_ENKUlT_T0_E_clISt17integral_constantIbLb0EES1A_IbLb1EEEEDaS16_S17_EUlS16_E_NS1_11comp_targetILNS1_3genE10ELNS1_11target_archE1200ELNS1_3gpuE4ELNS1_3repE0EEENS1_30default_config_static_selectorELNS0_4arch9wavefront6targetE1EEEvT1_,comdat
	.protected	_ZN7rocprim17ROCPRIM_400000_NS6detail17trampoline_kernelINS0_14default_configENS1_25partition_config_selectorILNS1_17partition_subalgoE1EjNS0_10empty_typeEbEEZZNS1_14partition_implILS5_1ELb0ES3_jN6thrust23THRUST_200600_302600_NS6detail15normal_iteratorINSA_10device_ptrIjEEEEPS6_NSA_18transform_iteratorI7is_evenIjESF_NSA_11use_defaultESK_EENS0_5tupleIJNSA_16discard_iteratorISK_EESF_EEENSM_IJSG_SG_EEES6_PlJS6_EEE10hipError_tPvRmT3_T4_T5_T6_T7_T9_mT8_P12ihipStream_tbDpT10_ENKUlT_T0_E_clISt17integral_constantIbLb0EES1A_IbLb1EEEEDaS16_S17_EUlS16_E_NS1_11comp_targetILNS1_3genE10ELNS1_11target_archE1200ELNS1_3gpuE4ELNS1_3repE0EEENS1_30default_config_static_selectorELNS0_4arch9wavefront6targetE1EEEvT1_ ; -- Begin function _ZN7rocprim17ROCPRIM_400000_NS6detail17trampoline_kernelINS0_14default_configENS1_25partition_config_selectorILNS1_17partition_subalgoE1EjNS0_10empty_typeEbEEZZNS1_14partition_implILS5_1ELb0ES3_jN6thrust23THRUST_200600_302600_NS6detail15normal_iteratorINSA_10device_ptrIjEEEEPS6_NSA_18transform_iteratorI7is_evenIjESF_NSA_11use_defaultESK_EENS0_5tupleIJNSA_16discard_iteratorISK_EESF_EEENSM_IJSG_SG_EEES6_PlJS6_EEE10hipError_tPvRmT3_T4_T5_T6_T7_T9_mT8_P12ihipStream_tbDpT10_ENKUlT_T0_E_clISt17integral_constantIbLb0EES1A_IbLb1EEEEDaS16_S17_EUlS16_E_NS1_11comp_targetILNS1_3genE10ELNS1_11target_archE1200ELNS1_3gpuE4ELNS1_3repE0EEENS1_30default_config_static_selectorELNS0_4arch9wavefront6targetE1EEEvT1_
	.globl	_ZN7rocprim17ROCPRIM_400000_NS6detail17trampoline_kernelINS0_14default_configENS1_25partition_config_selectorILNS1_17partition_subalgoE1EjNS0_10empty_typeEbEEZZNS1_14partition_implILS5_1ELb0ES3_jN6thrust23THRUST_200600_302600_NS6detail15normal_iteratorINSA_10device_ptrIjEEEEPS6_NSA_18transform_iteratorI7is_evenIjESF_NSA_11use_defaultESK_EENS0_5tupleIJNSA_16discard_iteratorISK_EESF_EEENSM_IJSG_SG_EEES6_PlJS6_EEE10hipError_tPvRmT3_T4_T5_T6_T7_T9_mT8_P12ihipStream_tbDpT10_ENKUlT_T0_E_clISt17integral_constantIbLb0EES1A_IbLb1EEEEDaS16_S17_EUlS16_E_NS1_11comp_targetILNS1_3genE10ELNS1_11target_archE1200ELNS1_3gpuE4ELNS1_3repE0EEENS1_30default_config_static_selectorELNS0_4arch9wavefront6targetE1EEEvT1_
	.p2align	8
	.type	_ZN7rocprim17ROCPRIM_400000_NS6detail17trampoline_kernelINS0_14default_configENS1_25partition_config_selectorILNS1_17partition_subalgoE1EjNS0_10empty_typeEbEEZZNS1_14partition_implILS5_1ELb0ES3_jN6thrust23THRUST_200600_302600_NS6detail15normal_iteratorINSA_10device_ptrIjEEEEPS6_NSA_18transform_iteratorI7is_evenIjESF_NSA_11use_defaultESK_EENS0_5tupleIJNSA_16discard_iteratorISK_EESF_EEENSM_IJSG_SG_EEES6_PlJS6_EEE10hipError_tPvRmT3_T4_T5_T6_T7_T9_mT8_P12ihipStream_tbDpT10_ENKUlT_T0_E_clISt17integral_constantIbLb0EES1A_IbLb1EEEEDaS16_S17_EUlS16_E_NS1_11comp_targetILNS1_3genE10ELNS1_11target_archE1200ELNS1_3gpuE4ELNS1_3repE0EEENS1_30default_config_static_selectorELNS0_4arch9wavefront6targetE1EEEvT1_,@function
_ZN7rocprim17ROCPRIM_400000_NS6detail17trampoline_kernelINS0_14default_configENS1_25partition_config_selectorILNS1_17partition_subalgoE1EjNS0_10empty_typeEbEEZZNS1_14partition_implILS5_1ELb0ES3_jN6thrust23THRUST_200600_302600_NS6detail15normal_iteratorINSA_10device_ptrIjEEEEPS6_NSA_18transform_iteratorI7is_evenIjESF_NSA_11use_defaultESK_EENS0_5tupleIJNSA_16discard_iteratorISK_EESF_EEENSM_IJSG_SG_EEES6_PlJS6_EEE10hipError_tPvRmT3_T4_T5_T6_T7_T9_mT8_P12ihipStream_tbDpT10_ENKUlT_T0_E_clISt17integral_constantIbLb0EES1A_IbLb1EEEEDaS16_S17_EUlS16_E_NS1_11comp_targetILNS1_3genE10ELNS1_11target_archE1200ELNS1_3gpuE4ELNS1_3repE0EEENS1_30default_config_static_selectorELNS0_4arch9wavefront6targetE1EEEvT1_: ; @_ZN7rocprim17ROCPRIM_400000_NS6detail17trampoline_kernelINS0_14default_configENS1_25partition_config_selectorILNS1_17partition_subalgoE1EjNS0_10empty_typeEbEEZZNS1_14partition_implILS5_1ELb0ES3_jN6thrust23THRUST_200600_302600_NS6detail15normal_iteratorINSA_10device_ptrIjEEEEPS6_NSA_18transform_iteratorI7is_evenIjESF_NSA_11use_defaultESK_EENS0_5tupleIJNSA_16discard_iteratorISK_EESF_EEENSM_IJSG_SG_EEES6_PlJS6_EEE10hipError_tPvRmT3_T4_T5_T6_T7_T9_mT8_P12ihipStream_tbDpT10_ENKUlT_T0_E_clISt17integral_constantIbLb0EES1A_IbLb1EEEEDaS16_S17_EUlS16_E_NS1_11comp_targetILNS1_3genE10ELNS1_11target_archE1200ELNS1_3gpuE4ELNS1_3repE0EEENS1_30default_config_static_selectorELNS0_4arch9wavefront6targetE1EEEvT1_
; %bb.0:
	.section	.rodata,"a",@progbits
	.p2align	6, 0x0
	.amdhsa_kernel _ZN7rocprim17ROCPRIM_400000_NS6detail17trampoline_kernelINS0_14default_configENS1_25partition_config_selectorILNS1_17partition_subalgoE1EjNS0_10empty_typeEbEEZZNS1_14partition_implILS5_1ELb0ES3_jN6thrust23THRUST_200600_302600_NS6detail15normal_iteratorINSA_10device_ptrIjEEEEPS6_NSA_18transform_iteratorI7is_evenIjESF_NSA_11use_defaultESK_EENS0_5tupleIJNSA_16discard_iteratorISK_EESF_EEENSM_IJSG_SG_EEES6_PlJS6_EEE10hipError_tPvRmT3_T4_T5_T6_T7_T9_mT8_P12ihipStream_tbDpT10_ENKUlT_T0_E_clISt17integral_constantIbLb0EES1A_IbLb1EEEEDaS16_S17_EUlS16_E_NS1_11comp_targetILNS1_3genE10ELNS1_11target_archE1200ELNS1_3gpuE4ELNS1_3repE0EEENS1_30default_config_static_selectorELNS0_4arch9wavefront6targetE1EEEvT1_
		.amdhsa_group_segment_fixed_size 0
		.amdhsa_private_segment_fixed_size 0
		.amdhsa_kernarg_size 152
		.amdhsa_user_sgpr_count 2
		.amdhsa_user_sgpr_dispatch_ptr 0
		.amdhsa_user_sgpr_queue_ptr 0
		.amdhsa_user_sgpr_kernarg_segment_ptr 1
		.amdhsa_user_sgpr_dispatch_id 0
		.amdhsa_user_sgpr_kernarg_preload_length 0
		.amdhsa_user_sgpr_kernarg_preload_offset 0
		.amdhsa_user_sgpr_private_segment_size 0
		.amdhsa_uses_dynamic_stack 0
		.amdhsa_enable_private_segment 0
		.amdhsa_system_sgpr_workgroup_id_x 1
		.amdhsa_system_sgpr_workgroup_id_y 0
		.amdhsa_system_sgpr_workgroup_id_z 0
		.amdhsa_system_sgpr_workgroup_info 0
		.amdhsa_system_vgpr_workitem_id 0
		.amdhsa_next_free_vgpr 1
		.amdhsa_next_free_sgpr 0
		.amdhsa_accum_offset 4
		.amdhsa_reserve_vcc 0
		.amdhsa_float_round_mode_32 0
		.amdhsa_float_round_mode_16_64 0
		.amdhsa_float_denorm_mode_32 3
		.amdhsa_float_denorm_mode_16_64 3
		.amdhsa_dx10_clamp 1
		.amdhsa_ieee_mode 1
		.amdhsa_fp16_overflow 0
		.amdhsa_tg_split 0
		.amdhsa_exception_fp_ieee_invalid_op 0
		.amdhsa_exception_fp_denorm_src 0
		.amdhsa_exception_fp_ieee_div_zero 0
		.amdhsa_exception_fp_ieee_overflow 0
		.amdhsa_exception_fp_ieee_underflow 0
		.amdhsa_exception_fp_ieee_inexact 0
		.amdhsa_exception_int_div_zero 0
	.end_amdhsa_kernel
	.section	.text._ZN7rocprim17ROCPRIM_400000_NS6detail17trampoline_kernelINS0_14default_configENS1_25partition_config_selectorILNS1_17partition_subalgoE1EjNS0_10empty_typeEbEEZZNS1_14partition_implILS5_1ELb0ES3_jN6thrust23THRUST_200600_302600_NS6detail15normal_iteratorINSA_10device_ptrIjEEEEPS6_NSA_18transform_iteratorI7is_evenIjESF_NSA_11use_defaultESK_EENS0_5tupleIJNSA_16discard_iteratorISK_EESF_EEENSM_IJSG_SG_EEES6_PlJS6_EEE10hipError_tPvRmT3_T4_T5_T6_T7_T9_mT8_P12ihipStream_tbDpT10_ENKUlT_T0_E_clISt17integral_constantIbLb0EES1A_IbLb1EEEEDaS16_S17_EUlS16_E_NS1_11comp_targetILNS1_3genE10ELNS1_11target_archE1200ELNS1_3gpuE4ELNS1_3repE0EEENS1_30default_config_static_selectorELNS0_4arch9wavefront6targetE1EEEvT1_,"axG",@progbits,_ZN7rocprim17ROCPRIM_400000_NS6detail17trampoline_kernelINS0_14default_configENS1_25partition_config_selectorILNS1_17partition_subalgoE1EjNS0_10empty_typeEbEEZZNS1_14partition_implILS5_1ELb0ES3_jN6thrust23THRUST_200600_302600_NS6detail15normal_iteratorINSA_10device_ptrIjEEEEPS6_NSA_18transform_iteratorI7is_evenIjESF_NSA_11use_defaultESK_EENS0_5tupleIJNSA_16discard_iteratorISK_EESF_EEENSM_IJSG_SG_EEES6_PlJS6_EEE10hipError_tPvRmT3_T4_T5_T6_T7_T9_mT8_P12ihipStream_tbDpT10_ENKUlT_T0_E_clISt17integral_constantIbLb0EES1A_IbLb1EEEEDaS16_S17_EUlS16_E_NS1_11comp_targetILNS1_3genE10ELNS1_11target_archE1200ELNS1_3gpuE4ELNS1_3repE0EEENS1_30default_config_static_selectorELNS0_4arch9wavefront6targetE1EEEvT1_,comdat
.Lfunc_end3064:
	.size	_ZN7rocprim17ROCPRIM_400000_NS6detail17trampoline_kernelINS0_14default_configENS1_25partition_config_selectorILNS1_17partition_subalgoE1EjNS0_10empty_typeEbEEZZNS1_14partition_implILS5_1ELb0ES3_jN6thrust23THRUST_200600_302600_NS6detail15normal_iteratorINSA_10device_ptrIjEEEEPS6_NSA_18transform_iteratorI7is_evenIjESF_NSA_11use_defaultESK_EENS0_5tupleIJNSA_16discard_iteratorISK_EESF_EEENSM_IJSG_SG_EEES6_PlJS6_EEE10hipError_tPvRmT3_T4_T5_T6_T7_T9_mT8_P12ihipStream_tbDpT10_ENKUlT_T0_E_clISt17integral_constantIbLb0EES1A_IbLb1EEEEDaS16_S17_EUlS16_E_NS1_11comp_targetILNS1_3genE10ELNS1_11target_archE1200ELNS1_3gpuE4ELNS1_3repE0EEENS1_30default_config_static_selectorELNS0_4arch9wavefront6targetE1EEEvT1_, .Lfunc_end3064-_ZN7rocprim17ROCPRIM_400000_NS6detail17trampoline_kernelINS0_14default_configENS1_25partition_config_selectorILNS1_17partition_subalgoE1EjNS0_10empty_typeEbEEZZNS1_14partition_implILS5_1ELb0ES3_jN6thrust23THRUST_200600_302600_NS6detail15normal_iteratorINSA_10device_ptrIjEEEEPS6_NSA_18transform_iteratorI7is_evenIjESF_NSA_11use_defaultESK_EENS0_5tupleIJNSA_16discard_iteratorISK_EESF_EEENSM_IJSG_SG_EEES6_PlJS6_EEE10hipError_tPvRmT3_T4_T5_T6_T7_T9_mT8_P12ihipStream_tbDpT10_ENKUlT_T0_E_clISt17integral_constantIbLb0EES1A_IbLb1EEEEDaS16_S17_EUlS16_E_NS1_11comp_targetILNS1_3genE10ELNS1_11target_archE1200ELNS1_3gpuE4ELNS1_3repE0EEENS1_30default_config_static_selectorELNS0_4arch9wavefront6targetE1EEEvT1_
                                        ; -- End function
	.section	.AMDGPU.csdata,"",@progbits
; Kernel info:
; codeLenInByte = 0
; NumSgprs: 6
; NumVgprs: 0
; NumAgprs: 0
; TotalNumVgprs: 0
; ScratchSize: 0
; MemoryBound: 0
; FloatMode: 240
; IeeeMode: 1
; LDSByteSize: 0 bytes/workgroup (compile time only)
; SGPRBlocks: 0
; VGPRBlocks: 0
; NumSGPRsForWavesPerEU: 6
; NumVGPRsForWavesPerEU: 1
; AccumOffset: 4
; Occupancy: 8
; WaveLimiterHint : 0
; COMPUTE_PGM_RSRC2:SCRATCH_EN: 0
; COMPUTE_PGM_RSRC2:USER_SGPR: 2
; COMPUTE_PGM_RSRC2:TRAP_HANDLER: 0
; COMPUTE_PGM_RSRC2:TGID_X_EN: 1
; COMPUTE_PGM_RSRC2:TGID_Y_EN: 0
; COMPUTE_PGM_RSRC2:TGID_Z_EN: 0
; COMPUTE_PGM_RSRC2:TIDIG_COMP_CNT: 0
; COMPUTE_PGM_RSRC3_GFX90A:ACCUM_OFFSET: 0
; COMPUTE_PGM_RSRC3_GFX90A:TG_SPLIT: 0
	.section	.text._ZN7rocprim17ROCPRIM_400000_NS6detail17trampoline_kernelINS0_14default_configENS1_25partition_config_selectorILNS1_17partition_subalgoE1EjNS0_10empty_typeEbEEZZNS1_14partition_implILS5_1ELb0ES3_jN6thrust23THRUST_200600_302600_NS6detail15normal_iteratorINSA_10device_ptrIjEEEEPS6_NSA_18transform_iteratorI7is_evenIjESF_NSA_11use_defaultESK_EENS0_5tupleIJNSA_16discard_iteratorISK_EESF_EEENSM_IJSG_SG_EEES6_PlJS6_EEE10hipError_tPvRmT3_T4_T5_T6_T7_T9_mT8_P12ihipStream_tbDpT10_ENKUlT_T0_E_clISt17integral_constantIbLb0EES1A_IbLb1EEEEDaS16_S17_EUlS16_E_NS1_11comp_targetILNS1_3genE9ELNS1_11target_archE1100ELNS1_3gpuE3ELNS1_3repE0EEENS1_30default_config_static_selectorELNS0_4arch9wavefront6targetE1EEEvT1_,"axG",@progbits,_ZN7rocprim17ROCPRIM_400000_NS6detail17trampoline_kernelINS0_14default_configENS1_25partition_config_selectorILNS1_17partition_subalgoE1EjNS0_10empty_typeEbEEZZNS1_14partition_implILS5_1ELb0ES3_jN6thrust23THRUST_200600_302600_NS6detail15normal_iteratorINSA_10device_ptrIjEEEEPS6_NSA_18transform_iteratorI7is_evenIjESF_NSA_11use_defaultESK_EENS0_5tupleIJNSA_16discard_iteratorISK_EESF_EEENSM_IJSG_SG_EEES6_PlJS6_EEE10hipError_tPvRmT3_T4_T5_T6_T7_T9_mT8_P12ihipStream_tbDpT10_ENKUlT_T0_E_clISt17integral_constantIbLb0EES1A_IbLb1EEEEDaS16_S17_EUlS16_E_NS1_11comp_targetILNS1_3genE9ELNS1_11target_archE1100ELNS1_3gpuE3ELNS1_3repE0EEENS1_30default_config_static_selectorELNS0_4arch9wavefront6targetE1EEEvT1_,comdat
	.protected	_ZN7rocprim17ROCPRIM_400000_NS6detail17trampoline_kernelINS0_14default_configENS1_25partition_config_selectorILNS1_17partition_subalgoE1EjNS0_10empty_typeEbEEZZNS1_14partition_implILS5_1ELb0ES3_jN6thrust23THRUST_200600_302600_NS6detail15normal_iteratorINSA_10device_ptrIjEEEEPS6_NSA_18transform_iteratorI7is_evenIjESF_NSA_11use_defaultESK_EENS0_5tupleIJNSA_16discard_iteratorISK_EESF_EEENSM_IJSG_SG_EEES6_PlJS6_EEE10hipError_tPvRmT3_T4_T5_T6_T7_T9_mT8_P12ihipStream_tbDpT10_ENKUlT_T0_E_clISt17integral_constantIbLb0EES1A_IbLb1EEEEDaS16_S17_EUlS16_E_NS1_11comp_targetILNS1_3genE9ELNS1_11target_archE1100ELNS1_3gpuE3ELNS1_3repE0EEENS1_30default_config_static_selectorELNS0_4arch9wavefront6targetE1EEEvT1_ ; -- Begin function _ZN7rocprim17ROCPRIM_400000_NS6detail17trampoline_kernelINS0_14default_configENS1_25partition_config_selectorILNS1_17partition_subalgoE1EjNS0_10empty_typeEbEEZZNS1_14partition_implILS5_1ELb0ES3_jN6thrust23THRUST_200600_302600_NS6detail15normal_iteratorINSA_10device_ptrIjEEEEPS6_NSA_18transform_iteratorI7is_evenIjESF_NSA_11use_defaultESK_EENS0_5tupleIJNSA_16discard_iteratorISK_EESF_EEENSM_IJSG_SG_EEES6_PlJS6_EEE10hipError_tPvRmT3_T4_T5_T6_T7_T9_mT8_P12ihipStream_tbDpT10_ENKUlT_T0_E_clISt17integral_constantIbLb0EES1A_IbLb1EEEEDaS16_S17_EUlS16_E_NS1_11comp_targetILNS1_3genE9ELNS1_11target_archE1100ELNS1_3gpuE3ELNS1_3repE0EEENS1_30default_config_static_selectorELNS0_4arch9wavefront6targetE1EEEvT1_
	.globl	_ZN7rocprim17ROCPRIM_400000_NS6detail17trampoline_kernelINS0_14default_configENS1_25partition_config_selectorILNS1_17partition_subalgoE1EjNS0_10empty_typeEbEEZZNS1_14partition_implILS5_1ELb0ES3_jN6thrust23THRUST_200600_302600_NS6detail15normal_iteratorINSA_10device_ptrIjEEEEPS6_NSA_18transform_iteratorI7is_evenIjESF_NSA_11use_defaultESK_EENS0_5tupleIJNSA_16discard_iteratorISK_EESF_EEENSM_IJSG_SG_EEES6_PlJS6_EEE10hipError_tPvRmT3_T4_T5_T6_T7_T9_mT8_P12ihipStream_tbDpT10_ENKUlT_T0_E_clISt17integral_constantIbLb0EES1A_IbLb1EEEEDaS16_S17_EUlS16_E_NS1_11comp_targetILNS1_3genE9ELNS1_11target_archE1100ELNS1_3gpuE3ELNS1_3repE0EEENS1_30default_config_static_selectorELNS0_4arch9wavefront6targetE1EEEvT1_
	.p2align	8
	.type	_ZN7rocprim17ROCPRIM_400000_NS6detail17trampoline_kernelINS0_14default_configENS1_25partition_config_selectorILNS1_17partition_subalgoE1EjNS0_10empty_typeEbEEZZNS1_14partition_implILS5_1ELb0ES3_jN6thrust23THRUST_200600_302600_NS6detail15normal_iteratorINSA_10device_ptrIjEEEEPS6_NSA_18transform_iteratorI7is_evenIjESF_NSA_11use_defaultESK_EENS0_5tupleIJNSA_16discard_iteratorISK_EESF_EEENSM_IJSG_SG_EEES6_PlJS6_EEE10hipError_tPvRmT3_T4_T5_T6_T7_T9_mT8_P12ihipStream_tbDpT10_ENKUlT_T0_E_clISt17integral_constantIbLb0EES1A_IbLb1EEEEDaS16_S17_EUlS16_E_NS1_11comp_targetILNS1_3genE9ELNS1_11target_archE1100ELNS1_3gpuE3ELNS1_3repE0EEENS1_30default_config_static_selectorELNS0_4arch9wavefront6targetE1EEEvT1_,@function
_ZN7rocprim17ROCPRIM_400000_NS6detail17trampoline_kernelINS0_14default_configENS1_25partition_config_selectorILNS1_17partition_subalgoE1EjNS0_10empty_typeEbEEZZNS1_14partition_implILS5_1ELb0ES3_jN6thrust23THRUST_200600_302600_NS6detail15normal_iteratorINSA_10device_ptrIjEEEEPS6_NSA_18transform_iteratorI7is_evenIjESF_NSA_11use_defaultESK_EENS0_5tupleIJNSA_16discard_iteratorISK_EESF_EEENSM_IJSG_SG_EEES6_PlJS6_EEE10hipError_tPvRmT3_T4_T5_T6_T7_T9_mT8_P12ihipStream_tbDpT10_ENKUlT_T0_E_clISt17integral_constantIbLb0EES1A_IbLb1EEEEDaS16_S17_EUlS16_E_NS1_11comp_targetILNS1_3genE9ELNS1_11target_archE1100ELNS1_3gpuE3ELNS1_3repE0EEENS1_30default_config_static_selectorELNS0_4arch9wavefront6targetE1EEEvT1_: ; @_ZN7rocprim17ROCPRIM_400000_NS6detail17trampoline_kernelINS0_14default_configENS1_25partition_config_selectorILNS1_17partition_subalgoE1EjNS0_10empty_typeEbEEZZNS1_14partition_implILS5_1ELb0ES3_jN6thrust23THRUST_200600_302600_NS6detail15normal_iteratorINSA_10device_ptrIjEEEEPS6_NSA_18transform_iteratorI7is_evenIjESF_NSA_11use_defaultESK_EENS0_5tupleIJNSA_16discard_iteratorISK_EESF_EEENSM_IJSG_SG_EEES6_PlJS6_EEE10hipError_tPvRmT3_T4_T5_T6_T7_T9_mT8_P12ihipStream_tbDpT10_ENKUlT_T0_E_clISt17integral_constantIbLb0EES1A_IbLb1EEEEDaS16_S17_EUlS16_E_NS1_11comp_targetILNS1_3genE9ELNS1_11target_archE1100ELNS1_3gpuE3ELNS1_3repE0EEENS1_30default_config_static_selectorELNS0_4arch9wavefront6targetE1EEEvT1_
; %bb.0:
	.section	.rodata,"a",@progbits
	.p2align	6, 0x0
	.amdhsa_kernel _ZN7rocprim17ROCPRIM_400000_NS6detail17trampoline_kernelINS0_14default_configENS1_25partition_config_selectorILNS1_17partition_subalgoE1EjNS0_10empty_typeEbEEZZNS1_14partition_implILS5_1ELb0ES3_jN6thrust23THRUST_200600_302600_NS6detail15normal_iteratorINSA_10device_ptrIjEEEEPS6_NSA_18transform_iteratorI7is_evenIjESF_NSA_11use_defaultESK_EENS0_5tupleIJNSA_16discard_iteratorISK_EESF_EEENSM_IJSG_SG_EEES6_PlJS6_EEE10hipError_tPvRmT3_T4_T5_T6_T7_T9_mT8_P12ihipStream_tbDpT10_ENKUlT_T0_E_clISt17integral_constantIbLb0EES1A_IbLb1EEEEDaS16_S17_EUlS16_E_NS1_11comp_targetILNS1_3genE9ELNS1_11target_archE1100ELNS1_3gpuE3ELNS1_3repE0EEENS1_30default_config_static_selectorELNS0_4arch9wavefront6targetE1EEEvT1_
		.amdhsa_group_segment_fixed_size 0
		.amdhsa_private_segment_fixed_size 0
		.amdhsa_kernarg_size 152
		.amdhsa_user_sgpr_count 2
		.amdhsa_user_sgpr_dispatch_ptr 0
		.amdhsa_user_sgpr_queue_ptr 0
		.amdhsa_user_sgpr_kernarg_segment_ptr 1
		.amdhsa_user_sgpr_dispatch_id 0
		.amdhsa_user_sgpr_kernarg_preload_length 0
		.amdhsa_user_sgpr_kernarg_preload_offset 0
		.amdhsa_user_sgpr_private_segment_size 0
		.amdhsa_uses_dynamic_stack 0
		.amdhsa_enable_private_segment 0
		.amdhsa_system_sgpr_workgroup_id_x 1
		.amdhsa_system_sgpr_workgroup_id_y 0
		.amdhsa_system_sgpr_workgroup_id_z 0
		.amdhsa_system_sgpr_workgroup_info 0
		.amdhsa_system_vgpr_workitem_id 0
		.amdhsa_next_free_vgpr 1
		.amdhsa_next_free_sgpr 0
		.amdhsa_accum_offset 4
		.amdhsa_reserve_vcc 0
		.amdhsa_float_round_mode_32 0
		.amdhsa_float_round_mode_16_64 0
		.amdhsa_float_denorm_mode_32 3
		.amdhsa_float_denorm_mode_16_64 3
		.amdhsa_dx10_clamp 1
		.amdhsa_ieee_mode 1
		.amdhsa_fp16_overflow 0
		.amdhsa_tg_split 0
		.amdhsa_exception_fp_ieee_invalid_op 0
		.amdhsa_exception_fp_denorm_src 0
		.amdhsa_exception_fp_ieee_div_zero 0
		.amdhsa_exception_fp_ieee_overflow 0
		.amdhsa_exception_fp_ieee_underflow 0
		.amdhsa_exception_fp_ieee_inexact 0
		.amdhsa_exception_int_div_zero 0
	.end_amdhsa_kernel
	.section	.text._ZN7rocprim17ROCPRIM_400000_NS6detail17trampoline_kernelINS0_14default_configENS1_25partition_config_selectorILNS1_17partition_subalgoE1EjNS0_10empty_typeEbEEZZNS1_14partition_implILS5_1ELb0ES3_jN6thrust23THRUST_200600_302600_NS6detail15normal_iteratorINSA_10device_ptrIjEEEEPS6_NSA_18transform_iteratorI7is_evenIjESF_NSA_11use_defaultESK_EENS0_5tupleIJNSA_16discard_iteratorISK_EESF_EEENSM_IJSG_SG_EEES6_PlJS6_EEE10hipError_tPvRmT3_T4_T5_T6_T7_T9_mT8_P12ihipStream_tbDpT10_ENKUlT_T0_E_clISt17integral_constantIbLb0EES1A_IbLb1EEEEDaS16_S17_EUlS16_E_NS1_11comp_targetILNS1_3genE9ELNS1_11target_archE1100ELNS1_3gpuE3ELNS1_3repE0EEENS1_30default_config_static_selectorELNS0_4arch9wavefront6targetE1EEEvT1_,"axG",@progbits,_ZN7rocprim17ROCPRIM_400000_NS6detail17trampoline_kernelINS0_14default_configENS1_25partition_config_selectorILNS1_17partition_subalgoE1EjNS0_10empty_typeEbEEZZNS1_14partition_implILS5_1ELb0ES3_jN6thrust23THRUST_200600_302600_NS6detail15normal_iteratorINSA_10device_ptrIjEEEEPS6_NSA_18transform_iteratorI7is_evenIjESF_NSA_11use_defaultESK_EENS0_5tupleIJNSA_16discard_iteratorISK_EESF_EEENSM_IJSG_SG_EEES6_PlJS6_EEE10hipError_tPvRmT3_T4_T5_T6_T7_T9_mT8_P12ihipStream_tbDpT10_ENKUlT_T0_E_clISt17integral_constantIbLb0EES1A_IbLb1EEEEDaS16_S17_EUlS16_E_NS1_11comp_targetILNS1_3genE9ELNS1_11target_archE1100ELNS1_3gpuE3ELNS1_3repE0EEENS1_30default_config_static_selectorELNS0_4arch9wavefront6targetE1EEEvT1_,comdat
.Lfunc_end3065:
	.size	_ZN7rocprim17ROCPRIM_400000_NS6detail17trampoline_kernelINS0_14default_configENS1_25partition_config_selectorILNS1_17partition_subalgoE1EjNS0_10empty_typeEbEEZZNS1_14partition_implILS5_1ELb0ES3_jN6thrust23THRUST_200600_302600_NS6detail15normal_iteratorINSA_10device_ptrIjEEEEPS6_NSA_18transform_iteratorI7is_evenIjESF_NSA_11use_defaultESK_EENS0_5tupleIJNSA_16discard_iteratorISK_EESF_EEENSM_IJSG_SG_EEES6_PlJS6_EEE10hipError_tPvRmT3_T4_T5_T6_T7_T9_mT8_P12ihipStream_tbDpT10_ENKUlT_T0_E_clISt17integral_constantIbLb0EES1A_IbLb1EEEEDaS16_S17_EUlS16_E_NS1_11comp_targetILNS1_3genE9ELNS1_11target_archE1100ELNS1_3gpuE3ELNS1_3repE0EEENS1_30default_config_static_selectorELNS0_4arch9wavefront6targetE1EEEvT1_, .Lfunc_end3065-_ZN7rocprim17ROCPRIM_400000_NS6detail17trampoline_kernelINS0_14default_configENS1_25partition_config_selectorILNS1_17partition_subalgoE1EjNS0_10empty_typeEbEEZZNS1_14partition_implILS5_1ELb0ES3_jN6thrust23THRUST_200600_302600_NS6detail15normal_iteratorINSA_10device_ptrIjEEEEPS6_NSA_18transform_iteratorI7is_evenIjESF_NSA_11use_defaultESK_EENS0_5tupleIJNSA_16discard_iteratorISK_EESF_EEENSM_IJSG_SG_EEES6_PlJS6_EEE10hipError_tPvRmT3_T4_T5_T6_T7_T9_mT8_P12ihipStream_tbDpT10_ENKUlT_T0_E_clISt17integral_constantIbLb0EES1A_IbLb1EEEEDaS16_S17_EUlS16_E_NS1_11comp_targetILNS1_3genE9ELNS1_11target_archE1100ELNS1_3gpuE3ELNS1_3repE0EEENS1_30default_config_static_selectorELNS0_4arch9wavefront6targetE1EEEvT1_
                                        ; -- End function
	.section	.AMDGPU.csdata,"",@progbits
; Kernel info:
; codeLenInByte = 0
; NumSgprs: 6
; NumVgprs: 0
; NumAgprs: 0
; TotalNumVgprs: 0
; ScratchSize: 0
; MemoryBound: 0
; FloatMode: 240
; IeeeMode: 1
; LDSByteSize: 0 bytes/workgroup (compile time only)
; SGPRBlocks: 0
; VGPRBlocks: 0
; NumSGPRsForWavesPerEU: 6
; NumVGPRsForWavesPerEU: 1
; AccumOffset: 4
; Occupancy: 8
; WaveLimiterHint : 0
; COMPUTE_PGM_RSRC2:SCRATCH_EN: 0
; COMPUTE_PGM_RSRC2:USER_SGPR: 2
; COMPUTE_PGM_RSRC2:TRAP_HANDLER: 0
; COMPUTE_PGM_RSRC2:TGID_X_EN: 1
; COMPUTE_PGM_RSRC2:TGID_Y_EN: 0
; COMPUTE_PGM_RSRC2:TGID_Z_EN: 0
; COMPUTE_PGM_RSRC2:TIDIG_COMP_CNT: 0
; COMPUTE_PGM_RSRC3_GFX90A:ACCUM_OFFSET: 0
; COMPUTE_PGM_RSRC3_GFX90A:TG_SPLIT: 0
	.section	.text._ZN7rocprim17ROCPRIM_400000_NS6detail17trampoline_kernelINS0_14default_configENS1_25partition_config_selectorILNS1_17partition_subalgoE1EjNS0_10empty_typeEbEEZZNS1_14partition_implILS5_1ELb0ES3_jN6thrust23THRUST_200600_302600_NS6detail15normal_iteratorINSA_10device_ptrIjEEEEPS6_NSA_18transform_iteratorI7is_evenIjESF_NSA_11use_defaultESK_EENS0_5tupleIJNSA_16discard_iteratorISK_EESF_EEENSM_IJSG_SG_EEES6_PlJS6_EEE10hipError_tPvRmT3_T4_T5_T6_T7_T9_mT8_P12ihipStream_tbDpT10_ENKUlT_T0_E_clISt17integral_constantIbLb0EES1A_IbLb1EEEEDaS16_S17_EUlS16_E_NS1_11comp_targetILNS1_3genE8ELNS1_11target_archE1030ELNS1_3gpuE2ELNS1_3repE0EEENS1_30default_config_static_selectorELNS0_4arch9wavefront6targetE1EEEvT1_,"axG",@progbits,_ZN7rocprim17ROCPRIM_400000_NS6detail17trampoline_kernelINS0_14default_configENS1_25partition_config_selectorILNS1_17partition_subalgoE1EjNS0_10empty_typeEbEEZZNS1_14partition_implILS5_1ELb0ES3_jN6thrust23THRUST_200600_302600_NS6detail15normal_iteratorINSA_10device_ptrIjEEEEPS6_NSA_18transform_iteratorI7is_evenIjESF_NSA_11use_defaultESK_EENS0_5tupleIJNSA_16discard_iteratorISK_EESF_EEENSM_IJSG_SG_EEES6_PlJS6_EEE10hipError_tPvRmT3_T4_T5_T6_T7_T9_mT8_P12ihipStream_tbDpT10_ENKUlT_T0_E_clISt17integral_constantIbLb0EES1A_IbLb1EEEEDaS16_S17_EUlS16_E_NS1_11comp_targetILNS1_3genE8ELNS1_11target_archE1030ELNS1_3gpuE2ELNS1_3repE0EEENS1_30default_config_static_selectorELNS0_4arch9wavefront6targetE1EEEvT1_,comdat
	.protected	_ZN7rocprim17ROCPRIM_400000_NS6detail17trampoline_kernelINS0_14default_configENS1_25partition_config_selectorILNS1_17partition_subalgoE1EjNS0_10empty_typeEbEEZZNS1_14partition_implILS5_1ELb0ES3_jN6thrust23THRUST_200600_302600_NS6detail15normal_iteratorINSA_10device_ptrIjEEEEPS6_NSA_18transform_iteratorI7is_evenIjESF_NSA_11use_defaultESK_EENS0_5tupleIJNSA_16discard_iteratorISK_EESF_EEENSM_IJSG_SG_EEES6_PlJS6_EEE10hipError_tPvRmT3_T4_T5_T6_T7_T9_mT8_P12ihipStream_tbDpT10_ENKUlT_T0_E_clISt17integral_constantIbLb0EES1A_IbLb1EEEEDaS16_S17_EUlS16_E_NS1_11comp_targetILNS1_3genE8ELNS1_11target_archE1030ELNS1_3gpuE2ELNS1_3repE0EEENS1_30default_config_static_selectorELNS0_4arch9wavefront6targetE1EEEvT1_ ; -- Begin function _ZN7rocprim17ROCPRIM_400000_NS6detail17trampoline_kernelINS0_14default_configENS1_25partition_config_selectorILNS1_17partition_subalgoE1EjNS0_10empty_typeEbEEZZNS1_14partition_implILS5_1ELb0ES3_jN6thrust23THRUST_200600_302600_NS6detail15normal_iteratorINSA_10device_ptrIjEEEEPS6_NSA_18transform_iteratorI7is_evenIjESF_NSA_11use_defaultESK_EENS0_5tupleIJNSA_16discard_iteratorISK_EESF_EEENSM_IJSG_SG_EEES6_PlJS6_EEE10hipError_tPvRmT3_T4_T5_T6_T7_T9_mT8_P12ihipStream_tbDpT10_ENKUlT_T0_E_clISt17integral_constantIbLb0EES1A_IbLb1EEEEDaS16_S17_EUlS16_E_NS1_11comp_targetILNS1_3genE8ELNS1_11target_archE1030ELNS1_3gpuE2ELNS1_3repE0EEENS1_30default_config_static_selectorELNS0_4arch9wavefront6targetE1EEEvT1_
	.globl	_ZN7rocprim17ROCPRIM_400000_NS6detail17trampoline_kernelINS0_14default_configENS1_25partition_config_selectorILNS1_17partition_subalgoE1EjNS0_10empty_typeEbEEZZNS1_14partition_implILS5_1ELb0ES3_jN6thrust23THRUST_200600_302600_NS6detail15normal_iteratorINSA_10device_ptrIjEEEEPS6_NSA_18transform_iteratorI7is_evenIjESF_NSA_11use_defaultESK_EENS0_5tupleIJNSA_16discard_iteratorISK_EESF_EEENSM_IJSG_SG_EEES6_PlJS6_EEE10hipError_tPvRmT3_T4_T5_T6_T7_T9_mT8_P12ihipStream_tbDpT10_ENKUlT_T0_E_clISt17integral_constantIbLb0EES1A_IbLb1EEEEDaS16_S17_EUlS16_E_NS1_11comp_targetILNS1_3genE8ELNS1_11target_archE1030ELNS1_3gpuE2ELNS1_3repE0EEENS1_30default_config_static_selectorELNS0_4arch9wavefront6targetE1EEEvT1_
	.p2align	8
	.type	_ZN7rocprim17ROCPRIM_400000_NS6detail17trampoline_kernelINS0_14default_configENS1_25partition_config_selectorILNS1_17partition_subalgoE1EjNS0_10empty_typeEbEEZZNS1_14partition_implILS5_1ELb0ES3_jN6thrust23THRUST_200600_302600_NS6detail15normal_iteratorINSA_10device_ptrIjEEEEPS6_NSA_18transform_iteratorI7is_evenIjESF_NSA_11use_defaultESK_EENS0_5tupleIJNSA_16discard_iteratorISK_EESF_EEENSM_IJSG_SG_EEES6_PlJS6_EEE10hipError_tPvRmT3_T4_T5_T6_T7_T9_mT8_P12ihipStream_tbDpT10_ENKUlT_T0_E_clISt17integral_constantIbLb0EES1A_IbLb1EEEEDaS16_S17_EUlS16_E_NS1_11comp_targetILNS1_3genE8ELNS1_11target_archE1030ELNS1_3gpuE2ELNS1_3repE0EEENS1_30default_config_static_selectorELNS0_4arch9wavefront6targetE1EEEvT1_,@function
_ZN7rocprim17ROCPRIM_400000_NS6detail17trampoline_kernelINS0_14default_configENS1_25partition_config_selectorILNS1_17partition_subalgoE1EjNS0_10empty_typeEbEEZZNS1_14partition_implILS5_1ELb0ES3_jN6thrust23THRUST_200600_302600_NS6detail15normal_iteratorINSA_10device_ptrIjEEEEPS6_NSA_18transform_iteratorI7is_evenIjESF_NSA_11use_defaultESK_EENS0_5tupleIJNSA_16discard_iteratorISK_EESF_EEENSM_IJSG_SG_EEES6_PlJS6_EEE10hipError_tPvRmT3_T4_T5_T6_T7_T9_mT8_P12ihipStream_tbDpT10_ENKUlT_T0_E_clISt17integral_constantIbLb0EES1A_IbLb1EEEEDaS16_S17_EUlS16_E_NS1_11comp_targetILNS1_3genE8ELNS1_11target_archE1030ELNS1_3gpuE2ELNS1_3repE0EEENS1_30default_config_static_selectorELNS0_4arch9wavefront6targetE1EEEvT1_: ; @_ZN7rocprim17ROCPRIM_400000_NS6detail17trampoline_kernelINS0_14default_configENS1_25partition_config_selectorILNS1_17partition_subalgoE1EjNS0_10empty_typeEbEEZZNS1_14partition_implILS5_1ELb0ES3_jN6thrust23THRUST_200600_302600_NS6detail15normal_iteratorINSA_10device_ptrIjEEEEPS6_NSA_18transform_iteratorI7is_evenIjESF_NSA_11use_defaultESK_EENS0_5tupleIJNSA_16discard_iteratorISK_EESF_EEENSM_IJSG_SG_EEES6_PlJS6_EEE10hipError_tPvRmT3_T4_T5_T6_T7_T9_mT8_P12ihipStream_tbDpT10_ENKUlT_T0_E_clISt17integral_constantIbLb0EES1A_IbLb1EEEEDaS16_S17_EUlS16_E_NS1_11comp_targetILNS1_3genE8ELNS1_11target_archE1030ELNS1_3gpuE2ELNS1_3repE0EEENS1_30default_config_static_selectorELNS0_4arch9wavefront6targetE1EEEvT1_
; %bb.0:
	.section	.rodata,"a",@progbits
	.p2align	6, 0x0
	.amdhsa_kernel _ZN7rocprim17ROCPRIM_400000_NS6detail17trampoline_kernelINS0_14default_configENS1_25partition_config_selectorILNS1_17partition_subalgoE1EjNS0_10empty_typeEbEEZZNS1_14partition_implILS5_1ELb0ES3_jN6thrust23THRUST_200600_302600_NS6detail15normal_iteratorINSA_10device_ptrIjEEEEPS6_NSA_18transform_iteratorI7is_evenIjESF_NSA_11use_defaultESK_EENS0_5tupleIJNSA_16discard_iteratorISK_EESF_EEENSM_IJSG_SG_EEES6_PlJS6_EEE10hipError_tPvRmT3_T4_T5_T6_T7_T9_mT8_P12ihipStream_tbDpT10_ENKUlT_T0_E_clISt17integral_constantIbLb0EES1A_IbLb1EEEEDaS16_S17_EUlS16_E_NS1_11comp_targetILNS1_3genE8ELNS1_11target_archE1030ELNS1_3gpuE2ELNS1_3repE0EEENS1_30default_config_static_selectorELNS0_4arch9wavefront6targetE1EEEvT1_
		.amdhsa_group_segment_fixed_size 0
		.amdhsa_private_segment_fixed_size 0
		.amdhsa_kernarg_size 152
		.amdhsa_user_sgpr_count 2
		.amdhsa_user_sgpr_dispatch_ptr 0
		.amdhsa_user_sgpr_queue_ptr 0
		.amdhsa_user_sgpr_kernarg_segment_ptr 1
		.amdhsa_user_sgpr_dispatch_id 0
		.amdhsa_user_sgpr_kernarg_preload_length 0
		.amdhsa_user_sgpr_kernarg_preload_offset 0
		.amdhsa_user_sgpr_private_segment_size 0
		.amdhsa_uses_dynamic_stack 0
		.amdhsa_enable_private_segment 0
		.amdhsa_system_sgpr_workgroup_id_x 1
		.amdhsa_system_sgpr_workgroup_id_y 0
		.amdhsa_system_sgpr_workgroup_id_z 0
		.amdhsa_system_sgpr_workgroup_info 0
		.amdhsa_system_vgpr_workitem_id 0
		.amdhsa_next_free_vgpr 1
		.amdhsa_next_free_sgpr 0
		.amdhsa_accum_offset 4
		.amdhsa_reserve_vcc 0
		.amdhsa_float_round_mode_32 0
		.amdhsa_float_round_mode_16_64 0
		.amdhsa_float_denorm_mode_32 3
		.amdhsa_float_denorm_mode_16_64 3
		.amdhsa_dx10_clamp 1
		.amdhsa_ieee_mode 1
		.amdhsa_fp16_overflow 0
		.amdhsa_tg_split 0
		.amdhsa_exception_fp_ieee_invalid_op 0
		.amdhsa_exception_fp_denorm_src 0
		.amdhsa_exception_fp_ieee_div_zero 0
		.amdhsa_exception_fp_ieee_overflow 0
		.amdhsa_exception_fp_ieee_underflow 0
		.amdhsa_exception_fp_ieee_inexact 0
		.amdhsa_exception_int_div_zero 0
	.end_amdhsa_kernel
	.section	.text._ZN7rocprim17ROCPRIM_400000_NS6detail17trampoline_kernelINS0_14default_configENS1_25partition_config_selectorILNS1_17partition_subalgoE1EjNS0_10empty_typeEbEEZZNS1_14partition_implILS5_1ELb0ES3_jN6thrust23THRUST_200600_302600_NS6detail15normal_iteratorINSA_10device_ptrIjEEEEPS6_NSA_18transform_iteratorI7is_evenIjESF_NSA_11use_defaultESK_EENS0_5tupleIJNSA_16discard_iteratorISK_EESF_EEENSM_IJSG_SG_EEES6_PlJS6_EEE10hipError_tPvRmT3_T4_T5_T6_T7_T9_mT8_P12ihipStream_tbDpT10_ENKUlT_T0_E_clISt17integral_constantIbLb0EES1A_IbLb1EEEEDaS16_S17_EUlS16_E_NS1_11comp_targetILNS1_3genE8ELNS1_11target_archE1030ELNS1_3gpuE2ELNS1_3repE0EEENS1_30default_config_static_selectorELNS0_4arch9wavefront6targetE1EEEvT1_,"axG",@progbits,_ZN7rocprim17ROCPRIM_400000_NS6detail17trampoline_kernelINS0_14default_configENS1_25partition_config_selectorILNS1_17partition_subalgoE1EjNS0_10empty_typeEbEEZZNS1_14partition_implILS5_1ELb0ES3_jN6thrust23THRUST_200600_302600_NS6detail15normal_iteratorINSA_10device_ptrIjEEEEPS6_NSA_18transform_iteratorI7is_evenIjESF_NSA_11use_defaultESK_EENS0_5tupleIJNSA_16discard_iteratorISK_EESF_EEENSM_IJSG_SG_EEES6_PlJS6_EEE10hipError_tPvRmT3_T4_T5_T6_T7_T9_mT8_P12ihipStream_tbDpT10_ENKUlT_T0_E_clISt17integral_constantIbLb0EES1A_IbLb1EEEEDaS16_S17_EUlS16_E_NS1_11comp_targetILNS1_3genE8ELNS1_11target_archE1030ELNS1_3gpuE2ELNS1_3repE0EEENS1_30default_config_static_selectorELNS0_4arch9wavefront6targetE1EEEvT1_,comdat
.Lfunc_end3066:
	.size	_ZN7rocprim17ROCPRIM_400000_NS6detail17trampoline_kernelINS0_14default_configENS1_25partition_config_selectorILNS1_17partition_subalgoE1EjNS0_10empty_typeEbEEZZNS1_14partition_implILS5_1ELb0ES3_jN6thrust23THRUST_200600_302600_NS6detail15normal_iteratorINSA_10device_ptrIjEEEEPS6_NSA_18transform_iteratorI7is_evenIjESF_NSA_11use_defaultESK_EENS0_5tupleIJNSA_16discard_iteratorISK_EESF_EEENSM_IJSG_SG_EEES6_PlJS6_EEE10hipError_tPvRmT3_T4_T5_T6_T7_T9_mT8_P12ihipStream_tbDpT10_ENKUlT_T0_E_clISt17integral_constantIbLb0EES1A_IbLb1EEEEDaS16_S17_EUlS16_E_NS1_11comp_targetILNS1_3genE8ELNS1_11target_archE1030ELNS1_3gpuE2ELNS1_3repE0EEENS1_30default_config_static_selectorELNS0_4arch9wavefront6targetE1EEEvT1_, .Lfunc_end3066-_ZN7rocprim17ROCPRIM_400000_NS6detail17trampoline_kernelINS0_14default_configENS1_25partition_config_selectorILNS1_17partition_subalgoE1EjNS0_10empty_typeEbEEZZNS1_14partition_implILS5_1ELb0ES3_jN6thrust23THRUST_200600_302600_NS6detail15normal_iteratorINSA_10device_ptrIjEEEEPS6_NSA_18transform_iteratorI7is_evenIjESF_NSA_11use_defaultESK_EENS0_5tupleIJNSA_16discard_iteratorISK_EESF_EEENSM_IJSG_SG_EEES6_PlJS6_EEE10hipError_tPvRmT3_T4_T5_T6_T7_T9_mT8_P12ihipStream_tbDpT10_ENKUlT_T0_E_clISt17integral_constantIbLb0EES1A_IbLb1EEEEDaS16_S17_EUlS16_E_NS1_11comp_targetILNS1_3genE8ELNS1_11target_archE1030ELNS1_3gpuE2ELNS1_3repE0EEENS1_30default_config_static_selectorELNS0_4arch9wavefront6targetE1EEEvT1_
                                        ; -- End function
	.section	.AMDGPU.csdata,"",@progbits
; Kernel info:
; codeLenInByte = 0
; NumSgprs: 6
; NumVgprs: 0
; NumAgprs: 0
; TotalNumVgprs: 0
; ScratchSize: 0
; MemoryBound: 0
; FloatMode: 240
; IeeeMode: 1
; LDSByteSize: 0 bytes/workgroup (compile time only)
; SGPRBlocks: 0
; VGPRBlocks: 0
; NumSGPRsForWavesPerEU: 6
; NumVGPRsForWavesPerEU: 1
; AccumOffset: 4
; Occupancy: 8
; WaveLimiterHint : 0
; COMPUTE_PGM_RSRC2:SCRATCH_EN: 0
; COMPUTE_PGM_RSRC2:USER_SGPR: 2
; COMPUTE_PGM_RSRC2:TRAP_HANDLER: 0
; COMPUTE_PGM_RSRC2:TGID_X_EN: 1
; COMPUTE_PGM_RSRC2:TGID_Y_EN: 0
; COMPUTE_PGM_RSRC2:TGID_Z_EN: 0
; COMPUTE_PGM_RSRC2:TIDIG_COMP_CNT: 0
; COMPUTE_PGM_RSRC3_GFX90A:ACCUM_OFFSET: 0
; COMPUTE_PGM_RSRC3_GFX90A:TG_SPLIT: 0
	.section	.text._ZN7rocprim17ROCPRIM_400000_NS6detail17trampoline_kernelINS0_14default_configENS1_25partition_config_selectorILNS1_17partition_subalgoE1EtNS0_10empty_typeEbEEZZNS1_14partition_implILS5_1ELb0ES3_jN6thrust23THRUST_200600_302600_NS6detail15normal_iteratorINSA_10device_ptrItEEEEPS6_NSA_18transform_iteratorI7is_evenItESF_NSA_11use_defaultESK_EENS0_5tupleIJNSA_16discard_iteratorISK_EESO_EEENSM_IJSG_SG_EEES6_PlJS6_EEE10hipError_tPvRmT3_T4_T5_T6_T7_T9_mT8_P12ihipStream_tbDpT10_ENKUlT_T0_E_clISt17integral_constantIbLb0EES1B_EEDaS16_S17_EUlS16_E_NS1_11comp_targetILNS1_3genE0ELNS1_11target_archE4294967295ELNS1_3gpuE0ELNS1_3repE0EEENS1_30default_config_static_selectorELNS0_4arch9wavefront6targetE1EEEvT1_,"axG",@progbits,_ZN7rocprim17ROCPRIM_400000_NS6detail17trampoline_kernelINS0_14default_configENS1_25partition_config_selectorILNS1_17partition_subalgoE1EtNS0_10empty_typeEbEEZZNS1_14partition_implILS5_1ELb0ES3_jN6thrust23THRUST_200600_302600_NS6detail15normal_iteratorINSA_10device_ptrItEEEEPS6_NSA_18transform_iteratorI7is_evenItESF_NSA_11use_defaultESK_EENS0_5tupleIJNSA_16discard_iteratorISK_EESO_EEENSM_IJSG_SG_EEES6_PlJS6_EEE10hipError_tPvRmT3_T4_T5_T6_T7_T9_mT8_P12ihipStream_tbDpT10_ENKUlT_T0_E_clISt17integral_constantIbLb0EES1B_EEDaS16_S17_EUlS16_E_NS1_11comp_targetILNS1_3genE0ELNS1_11target_archE4294967295ELNS1_3gpuE0ELNS1_3repE0EEENS1_30default_config_static_selectorELNS0_4arch9wavefront6targetE1EEEvT1_,comdat
	.protected	_ZN7rocprim17ROCPRIM_400000_NS6detail17trampoline_kernelINS0_14default_configENS1_25partition_config_selectorILNS1_17partition_subalgoE1EtNS0_10empty_typeEbEEZZNS1_14partition_implILS5_1ELb0ES3_jN6thrust23THRUST_200600_302600_NS6detail15normal_iteratorINSA_10device_ptrItEEEEPS6_NSA_18transform_iteratorI7is_evenItESF_NSA_11use_defaultESK_EENS0_5tupleIJNSA_16discard_iteratorISK_EESO_EEENSM_IJSG_SG_EEES6_PlJS6_EEE10hipError_tPvRmT3_T4_T5_T6_T7_T9_mT8_P12ihipStream_tbDpT10_ENKUlT_T0_E_clISt17integral_constantIbLb0EES1B_EEDaS16_S17_EUlS16_E_NS1_11comp_targetILNS1_3genE0ELNS1_11target_archE4294967295ELNS1_3gpuE0ELNS1_3repE0EEENS1_30default_config_static_selectorELNS0_4arch9wavefront6targetE1EEEvT1_ ; -- Begin function _ZN7rocprim17ROCPRIM_400000_NS6detail17trampoline_kernelINS0_14default_configENS1_25partition_config_selectorILNS1_17partition_subalgoE1EtNS0_10empty_typeEbEEZZNS1_14partition_implILS5_1ELb0ES3_jN6thrust23THRUST_200600_302600_NS6detail15normal_iteratorINSA_10device_ptrItEEEEPS6_NSA_18transform_iteratorI7is_evenItESF_NSA_11use_defaultESK_EENS0_5tupleIJNSA_16discard_iteratorISK_EESO_EEENSM_IJSG_SG_EEES6_PlJS6_EEE10hipError_tPvRmT3_T4_T5_T6_T7_T9_mT8_P12ihipStream_tbDpT10_ENKUlT_T0_E_clISt17integral_constantIbLb0EES1B_EEDaS16_S17_EUlS16_E_NS1_11comp_targetILNS1_3genE0ELNS1_11target_archE4294967295ELNS1_3gpuE0ELNS1_3repE0EEENS1_30default_config_static_selectorELNS0_4arch9wavefront6targetE1EEEvT1_
	.globl	_ZN7rocprim17ROCPRIM_400000_NS6detail17trampoline_kernelINS0_14default_configENS1_25partition_config_selectorILNS1_17partition_subalgoE1EtNS0_10empty_typeEbEEZZNS1_14partition_implILS5_1ELb0ES3_jN6thrust23THRUST_200600_302600_NS6detail15normal_iteratorINSA_10device_ptrItEEEEPS6_NSA_18transform_iteratorI7is_evenItESF_NSA_11use_defaultESK_EENS0_5tupleIJNSA_16discard_iteratorISK_EESO_EEENSM_IJSG_SG_EEES6_PlJS6_EEE10hipError_tPvRmT3_T4_T5_T6_T7_T9_mT8_P12ihipStream_tbDpT10_ENKUlT_T0_E_clISt17integral_constantIbLb0EES1B_EEDaS16_S17_EUlS16_E_NS1_11comp_targetILNS1_3genE0ELNS1_11target_archE4294967295ELNS1_3gpuE0ELNS1_3repE0EEENS1_30default_config_static_selectorELNS0_4arch9wavefront6targetE1EEEvT1_
	.p2align	8
	.type	_ZN7rocprim17ROCPRIM_400000_NS6detail17trampoline_kernelINS0_14default_configENS1_25partition_config_selectorILNS1_17partition_subalgoE1EtNS0_10empty_typeEbEEZZNS1_14partition_implILS5_1ELb0ES3_jN6thrust23THRUST_200600_302600_NS6detail15normal_iteratorINSA_10device_ptrItEEEEPS6_NSA_18transform_iteratorI7is_evenItESF_NSA_11use_defaultESK_EENS0_5tupleIJNSA_16discard_iteratorISK_EESO_EEENSM_IJSG_SG_EEES6_PlJS6_EEE10hipError_tPvRmT3_T4_T5_T6_T7_T9_mT8_P12ihipStream_tbDpT10_ENKUlT_T0_E_clISt17integral_constantIbLb0EES1B_EEDaS16_S17_EUlS16_E_NS1_11comp_targetILNS1_3genE0ELNS1_11target_archE4294967295ELNS1_3gpuE0ELNS1_3repE0EEENS1_30default_config_static_selectorELNS0_4arch9wavefront6targetE1EEEvT1_,@function
_ZN7rocprim17ROCPRIM_400000_NS6detail17trampoline_kernelINS0_14default_configENS1_25partition_config_selectorILNS1_17partition_subalgoE1EtNS0_10empty_typeEbEEZZNS1_14partition_implILS5_1ELb0ES3_jN6thrust23THRUST_200600_302600_NS6detail15normal_iteratorINSA_10device_ptrItEEEEPS6_NSA_18transform_iteratorI7is_evenItESF_NSA_11use_defaultESK_EENS0_5tupleIJNSA_16discard_iteratorISK_EESO_EEENSM_IJSG_SG_EEES6_PlJS6_EEE10hipError_tPvRmT3_T4_T5_T6_T7_T9_mT8_P12ihipStream_tbDpT10_ENKUlT_T0_E_clISt17integral_constantIbLb0EES1B_EEDaS16_S17_EUlS16_E_NS1_11comp_targetILNS1_3genE0ELNS1_11target_archE4294967295ELNS1_3gpuE0ELNS1_3repE0EEENS1_30default_config_static_selectorELNS0_4arch9wavefront6targetE1EEEvT1_: ; @_ZN7rocprim17ROCPRIM_400000_NS6detail17trampoline_kernelINS0_14default_configENS1_25partition_config_selectorILNS1_17partition_subalgoE1EtNS0_10empty_typeEbEEZZNS1_14partition_implILS5_1ELb0ES3_jN6thrust23THRUST_200600_302600_NS6detail15normal_iteratorINSA_10device_ptrItEEEEPS6_NSA_18transform_iteratorI7is_evenItESF_NSA_11use_defaultESK_EENS0_5tupleIJNSA_16discard_iteratorISK_EESO_EEENSM_IJSG_SG_EEES6_PlJS6_EEE10hipError_tPvRmT3_T4_T5_T6_T7_T9_mT8_P12ihipStream_tbDpT10_ENKUlT_T0_E_clISt17integral_constantIbLb0EES1B_EEDaS16_S17_EUlS16_E_NS1_11comp_targetILNS1_3genE0ELNS1_11target_archE4294967295ELNS1_3gpuE0ELNS1_3repE0EEENS1_30default_config_static_selectorELNS0_4arch9wavefront6targetE1EEEvT1_
; %bb.0:
	.section	.rodata,"a",@progbits
	.p2align	6, 0x0
	.amdhsa_kernel _ZN7rocprim17ROCPRIM_400000_NS6detail17trampoline_kernelINS0_14default_configENS1_25partition_config_selectorILNS1_17partition_subalgoE1EtNS0_10empty_typeEbEEZZNS1_14partition_implILS5_1ELb0ES3_jN6thrust23THRUST_200600_302600_NS6detail15normal_iteratorINSA_10device_ptrItEEEEPS6_NSA_18transform_iteratorI7is_evenItESF_NSA_11use_defaultESK_EENS0_5tupleIJNSA_16discard_iteratorISK_EESO_EEENSM_IJSG_SG_EEES6_PlJS6_EEE10hipError_tPvRmT3_T4_T5_T6_T7_T9_mT8_P12ihipStream_tbDpT10_ENKUlT_T0_E_clISt17integral_constantIbLb0EES1B_EEDaS16_S17_EUlS16_E_NS1_11comp_targetILNS1_3genE0ELNS1_11target_archE4294967295ELNS1_3gpuE0ELNS1_3repE0EEENS1_30default_config_static_selectorELNS0_4arch9wavefront6targetE1EEEvT1_
		.amdhsa_group_segment_fixed_size 0
		.amdhsa_private_segment_fixed_size 0
		.amdhsa_kernarg_size 144
		.amdhsa_user_sgpr_count 2
		.amdhsa_user_sgpr_dispatch_ptr 0
		.amdhsa_user_sgpr_queue_ptr 0
		.amdhsa_user_sgpr_kernarg_segment_ptr 1
		.amdhsa_user_sgpr_dispatch_id 0
		.amdhsa_user_sgpr_kernarg_preload_length 0
		.amdhsa_user_sgpr_kernarg_preload_offset 0
		.amdhsa_user_sgpr_private_segment_size 0
		.amdhsa_uses_dynamic_stack 0
		.amdhsa_enable_private_segment 0
		.amdhsa_system_sgpr_workgroup_id_x 1
		.amdhsa_system_sgpr_workgroup_id_y 0
		.amdhsa_system_sgpr_workgroup_id_z 0
		.amdhsa_system_sgpr_workgroup_info 0
		.amdhsa_system_vgpr_workitem_id 0
		.amdhsa_next_free_vgpr 1
		.amdhsa_next_free_sgpr 0
		.amdhsa_accum_offset 4
		.amdhsa_reserve_vcc 0
		.amdhsa_float_round_mode_32 0
		.amdhsa_float_round_mode_16_64 0
		.amdhsa_float_denorm_mode_32 3
		.amdhsa_float_denorm_mode_16_64 3
		.amdhsa_dx10_clamp 1
		.amdhsa_ieee_mode 1
		.amdhsa_fp16_overflow 0
		.amdhsa_tg_split 0
		.amdhsa_exception_fp_ieee_invalid_op 0
		.amdhsa_exception_fp_denorm_src 0
		.amdhsa_exception_fp_ieee_div_zero 0
		.amdhsa_exception_fp_ieee_overflow 0
		.amdhsa_exception_fp_ieee_underflow 0
		.amdhsa_exception_fp_ieee_inexact 0
		.amdhsa_exception_int_div_zero 0
	.end_amdhsa_kernel
	.section	.text._ZN7rocprim17ROCPRIM_400000_NS6detail17trampoline_kernelINS0_14default_configENS1_25partition_config_selectorILNS1_17partition_subalgoE1EtNS0_10empty_typeEbEEZZNS1_14partition_implILS5_1ELb0ES3_jN6thrust23THRUST_200600_302600_NS6detail15normal_iteratorINSA_10device_ptrItEEEEPS6_NSA_18transform_iteratorI7is_evenItESF_NSA_11use_defaultESK_EENS0_5tupleIJNSA_16discard_iteratorISK_EESO_EEENSM_IJSG_SG_EEES6_PlJS6_EEE10hipError_tPvRmT3_T4_T5_T6_T7_T9_mT8_P12ihipStream_tbDpT10_ENKUlT_T0_E_clISt17integral_constantIbLb0EES1B_EEDaS16_S17_EUlS16_E_NS1_11comp_targetILNS1_3genE0ELNS1_11target_archE4294967295ELNS1_3gpuE0ELNS1_3repE0EEENS1_30default_config_static_selectorELNS0_4arch9wavefront6targetE1EEEvT1_,"axG",@progbits,_ZN7rocprim17ROCPRIM_400000_NS6detail17trampoline_kernelINS0_14default_configENS1_25partition_config_selectorILNS1_17partition_subalgoE1EtNS0_10empty_typeEbEEZZNS1_14partition_implILS5_1ELb0ES3_jN6thrust23THRUST_200600_302600_NS6detail15normal_iteratorINSA_10device_ptrItEEEEPS6_NSA_18transform_iteratorI7is_evenItESF_NSA_11use_defaultESK_EENS0_5tupleIJNSA_16discard_iteratorISK_EESO_EEENSM_IJSG_SG_EEES6_PlJS6_EEE10hipError_tPvRmT3_T4_T5_T6_T7_T9_mT8_P12ihipStream_tbDpT10_ENKUlT_T0_E_clISt17integral_constantIbLb0EES1B_EEDaS16_S17_EUlS16_E_NS1_11comp_targetILNS1_3genE0ELNS1_11target_archE4294967295ELNS1_3gpuE0ELNS1_3repE0EEENS1_30default_config_static_selectorELNS0_4arch9wavefront6targetE1EEEvT1_,comdat
.Lfunc_end3067:
	.size	_ZN7rocprim17ROCPRIM_400000_NS6detail17trampoline_kernelINS0_14default_configENS1_25partition_config_selectorILNS1_17partition_subalgoE1EtNS0_10empty_typeEbEEZZNS1_14partition_implILS5_1ELb0ES3_jN6thrust23THRUST_200600_302600_NS6detail15normal_iteratorINSA_10device_ptrItEEEEPS6_NSA_18transform_iteratorI7is_evenItESF_NSA_11use_defaultESK_EENS0_5tupleIJNSA_16discard_iteratorISK_EESO_EEENSM_IJSG_SG_EEES6_PlJS6_EEE10hipError_tPvRmT3_T4_T5_T6_T7_T9_mT8_P12ihipStream_tbDpT10_ENKUlT_T0_E_clISt17integral_constantIbLb0EES1B_EEDaS16_S17_EUlS16_E_NS1_11comp_targetILNS1_3genE0ELNS1_11target_archE4294967295ELNS1_3gpuE0ELNS1_3repE0EEENS1_30default_config_static_selectorELNS0_4arch9wavefront6targetE1EEEvT1_, .Lfunc_end3067-_ZN7rocprim17ROCPRIM_400000_NS6detail17trampoline_kernelINS0_14default_configENS1_25partition_config_selectorILNS1_17partition_subalgoE1EtNS0_10empty_typeEbEEZZNS1_14partition_implILS5_1ELb0ES3_jN6thrust23THRUST_200600_302600_NS6detail15normal_iteratorINSA_10device_ptrItEEEEPS6_NSA_18transform_iteratorI7is_evenItESF_NSA_11use_defaultESK_EENS0_5tupleIJNSA_16discard_iteratorISK_EESO_EEENSM_IJSG_SG_EEES6_PlJS6_EEE10hipError_tPvRmT3_T4_T5_T6_T7_T9_mT8_P12ihipStream_tbDpT10_ENKUlT_T0_E_clISt17integral_constantIbLb0EES1B_EEDaS16_S17_EUlS16_E_NS1_11comp_targetILNS1_3genE0ELNS1_11target_archE4294967295ELNS1_3gpuE0ELNS1_3repE0EEENS1_30default_config_static_selectorELNS0_4arch9wavefront6targetE1EEEvT1_
                                        ; -- End function
	.section	.AMDGPU.csdata,"",@progbits
; Kernel info:
; codeLenInByte = 0
; NumSgprs: 6
; NumVgprs: 0
; NumAgprs: 0
; TotalNumVgprs: 0
; ScratchSize: 0
; MemoryBound: 0
; FloatMode: 240
; IeeeMode: 1
; LDSByteSize: 0 bytes/workgroup (compile time only)
; SGPRBlocks: 0
; VGPRBlocks: 0
; NumSGPRsForWavesPerEU: 6
; NumVGPRsForWavesPerEU: 1
; AccumOffset: 4
; Occupancy: 8
; WaveLimiterHint : 0
; COMPUTE_PGM_RSRC2:SCRATCH_EN: 0
; COMPUTE_PGM_RSRC2:USER_SGPR: 2
; COMPUTE_PGM_RSRC2:TRAP_HANDLER: 0
; COMPUTE_PGM_RSRC2:TGID_X_EN: 1
; COMPUTE_PGM_RSRC2:TGID_Y_EN: 0
; COMPUTE_PGM_RSRC2:TGID_Z_EN: 0
; COMPUTE_PGM_RSRC2:TIDIG_COMP_CNT: 0
; COMPUTE_PGM_RSRC3_GFX90A:ACCUM_OFFSET: 0
; COMPUTE_PGM_RSRC3_GFX90A:TG_SPLIT: 0
	.section	.text._ZN7rocprim17ROCPRIM_400000_NS6detail17trampoline_kernelINS0_14default_configENS1_25partition_config_selectorILNS1_17partition_subalgoE1EtNS0_10empty_typeEbEEZZNS1_14partition_implILS5_1ELb0ES3_jN6thrust23THRUST_200600_302600_NS6detail15normal_iteratorINSA_10device_ptrItEEEEPS6_NSA_18transform_iteratorI7is_evenItESF_NSA_11use_defaultESK_EENS0_5tupleIJNSA_16discard_iteratorISK_EESO_EEENSM_IJSG_SG_EEES6_PlJS6_EEE10hipError_tPvRmT3_T4_T5_T6_T7_T9_mT8_P12ihipStream_tbDpT10_ENKUlT_T0_E_clISt17integral_constantIbLb0EES1B_EEDaS16_S17_EUlS16_E_NS1_11comp_targetILNS1_3genE5ELNS1_11target_archE942ELNS1_3gpuE9ELNS1_3repE0EEENS1_30default_config_static_selectorELNS0_4arch9wavefront6targetE1EEEvT1_,"axG",@progbits,_ZN7rocprim17ROCPRIM_400000_NS6detail17trampoline_kernelINS0_14default_configENS1_25partition_config_selectorILNS1_17partition_subalgoE1EtNS0_10empty_typeEbEEZZNS1_14partition_implILS5_1ELb0ES3_jN6thrust23THRUST_200600_302600_NS6detail15normal_iteratorINSA_10device_ptrItEEEEPS6_NSA_18transform_iteratorI7is_evenItESF_NSA_11use_defaultESK_EENS0_5tupleIJNSA_16discard_iteratorISK_EESO_EEENSM_IJSG_SG_EEES6_PlJS6_EEE10hipError_tPvRmT3_T4_T5_T6_T7_T9_mT8_P12ihipStream_tbDpT10_ENKUlT_T0_E_clISt17integral_constantIbLb0EES1B_EEDaS16_S17_EUlS16_E_NS1_11comp_targetILNS1_3genE5ELNS1_11target_archE942ELNS1_3gpuE9ELNS1_3repE0EEENS1_30default_config_static_selectorELNS0_4arch9wavefront6targetE1EEEvT1_,comdat
	.protected	_ZN7rocprim17ROCPRIM_400000_NS6detail17trampoline_kernelINS0_14default_configENS1_25partition_config_selectorILNS1_17partition_subalgoE1EtNS0_10empty_typeEbEEZZNS1_14partition_implILS5_1ELb0ES3_jN6thrust23THRUST_200600_302600_NS6detail15normal_iteratorINSA_10device_ptrItEEEEPS6_NSA_18transform_iteratorI7is_evenItESF_NSA_11use_defaultESK_EENS0_5tupleIJNSA_16discard_iteratorISK_EESO_EEENSM_IJSG_SG_EEES6_PlJS6_EEE10hipError_tPvRmT3_T4_T5_T6_T7_T9_mT8_P12ihipStream_tbDpT10_ENKUlT_T0_E_clISt17integral_constantIbLb0EES1B_EEDaS16_S17_EUlS16_E_NS1_11comp_targetILNS1_3genE5ELNS1_11target_archE942ELNS1_3gpuE9ELNS1_3repE0EEENS1_30default_config_static_selectorELNS0_4arch9wavefront6targetE1EEEvT1_ ; -- Begin function _ZN7rocprim17ROCPRIM_400000_NS6detail17trampoline_kernelINS0_14default_configENS1_25partition_config_selectorILNS1_17partition_subalgoE1EtNS0_10empty_typeEbEEZZNS1_14partition_implILS5_1ELb0ES3_jN6thrust23THRUST_200600_302600_NS6detail15normal_iteratorINSA_10device_ptrItEEEEPS6_NSA_18transform_iteratorI7is_evenItESF_NSA_11use_defaultESK_EENS0_5tupleIJNSA_16discard_iteratorISK_EESO_EEENSM_IJSG_SG_EEES6_PlJS6_EEE10hipError_tPvRmT3_T4_T5_T6_T7_T9_mT8_P12ihipStream_tbDpT10_ENKUlT_T0_E_clISt17integral_constantIbLb0EES1B_EEDaS16_S17_EUlS16_E_NS1_11comp_targetILNS1_3genE5ELNS1_11target_archE942ELNS1_3gpuE9ELNS1_3repE0EEENS1_30default_config_static_selectorELNS0_4arch9wavefront6targetE1EEEvT1_
	.globl	_ZN7rocprim17ROCPRIM_400000_NS6detail17trampoline_kernelINS0_14default_configENS1_25partition_config_selectorILNS1_17partition_subalgoE1EtNS0_10empty_typeEbEEZZNS1_14partition_implILS5_1ELb0ES3_jN6thrust23THRUST_200600_302600_NS6detail15normal_iteratorINSA_10device_ptrItEEEEPS6_NSA_18transform_iteratorI7is_evenItESF_NSA_11use_defaultESK_EENS0_5tupleIJNSA_16discard_iteratorISK_EESO_EEENSM_IJSG_SG_EEES6_PlJS6_EEE10hipError_tPvRmT3_T4_T5_T6_T7_T9_mT8_P12ihipStream_tbDpT10_ENKUlT_T0_E_clISt17integral_constantIbLb0EES1B_EEDaS16_S17_EUlS16_E_NS1_11comp_targetILNS1_3genE5ELNS1_11target_archE942ELNS1_3gpuE9ELNS1_3repE0EEENS1_30default_config_static_selectorELNS0_4arch9wavefront6targetE1EEEvT1_
	.p2align	8
	.type	_ZN7rocprim17ROCPRIM_400000_NS6detail17trampoline_kernelINS0_14default_configENS1_25partition_config_selectorILNS1_17partition_subalgoE1EtNS0_10empty_typeEbEEZZNS1_14partition_implILS5_1ELb0ES3_jN6thrust23THRUST_200600_302600_NS6detail15normal_iteratorINSA_10device_ptrItEEEEPS6_NSA_18transform_iteratorI7is_evenItESF_NSA_11use_defaultESK_EENS0_5tupleIJNSA_16discard_iteratorISK_EESO_EEENSM_IJSG_SG_EEES6_PlJS6_EEE10hipError_tPvRmT3_T4_T5_T6_T7_T9_mT8_P12ihipStream_tbDpT10_ENKUlT_T0_E_clISt17integral_constantIbLb0EES1B_EEDaS16_S17_EUlS16_E_NS1_11comp_targetILNS1_3genE5ELNS1_11target_archE942ELNS1_3gpuE9ELNS1_3repE0EEENS1_30default_config_static_selectorELNS0_4arch9wavefront6targetE1EEEvT1_,@function
_ZN7rocprim17ROCPRIM_400000_NS6detail17trampoline_kernelINS0_14default_configENS1_25partition_config_selectorILNS1_17partition_subalgoE1EtNS0_10empty_typeEbEEZZNS1_14partition_implILS5_1ELb0ES3_jN6thrust23THRUST_200600_302600_NS6detail15normal_iteratorINSA_10device_ptrItEEEEPS6_NSA_18transform_iteratorI7is_evenItESF_NSA_11use_defaultESK_EENS0_5tupleIJNSA_16discard_iteratorISK_EESO_EEENSM_IJSG_SG_EEES6_PlJS6_EEE10hipError_tPvRmT3_T4_T5_T6_T7_T9_mT8_P12ihipStream_tbDpT10_ENKUlT_T0_E_clISt17integral_constantIbLb0EES1B_EEDaS16_S17_EUlS16_E_NS1_11comp_targetILNS1_3genE5ELNS1_11target_archE942ELNS1_3gpuE9ELNS1_3repE0EEENS1_30default_config_static_selectorELNS0_4arch9wavefront6targetE1EEEvT1_: ; @_ZN7rocprim17ROCPRIM_400000_NS6detail17trampoline_kernelINS0_14default_configENS1_25partition_config_selectorILNS1_17partition_subalgoE1EtNS0_10empty_typeEbEEZZNS1_14partition_implILS5_1ELb0ES3_jN6thrust23THRUST_200600_302600_NS6detail15normal_iteratorINSA_10device_ptrItEEEEPS6_NSA_18transform_iteratorI7is_evenItESF_NSA_11use_defaultESK_EENS0_5tupleIJNSA_16discard_iteratorISK_EESO_EEENSM_IJSG_SG_EEES6_PlJS6_EEE10hipError_tPvRmT3_T4_T5_T6_T7_T9_mT8_P12ihipStream_tbDpT10_ENKUlT_T0_E_clISt17integral_constantIbLb0EES1B_EEDaS16_S17_EUlS16_E_NS1_11comp_targetILNS1_3genE5ELNS1_11target_archE942ELNS1_3gpuE9ELNS1_3repE0EEENS1_30default_config_static_selectorELNS0_4arch9wavefront6targetE1EEEvT1_
; %bb.0:
	s_load_dword s3, s[0:1], 0x88
	s_load_dwordx2 s[4:5], s[0:1], 0x70
	s_load_dwordx4 s[12:15], s[0:1], 0x8
	s_load_dwordx2 s[6:7], s[0:1], 0x20
	s_load_dwordx4 s[20:23], s[0:1], 0x60
	v_lshlrev_b32_e32 v16, 1, v0
	s_waitcnt lgkmcnt(0)
	v_mov_b32_e32 v3, s5
	s_lshl_b64 s[8:9], s[14:15], 1
	s_add_u32 s16, s12, s8
	s_mul_i32 s5, s3, 0x3800
	s_addc_u32 s17, s13, s9
	s_add_i32 s10, s3, -1
	s_add_i32 s3, s5, s14
	s_sub_i32 s3, s4, s3
	s_addk_i32 s3, 0x3800
	v_mov_b32_e32 v2, s4
	s_add_u32 s4, s14, s5
	s_addc_u32 s5, s15, 0
	s_cmp_eq_u32 s2, s10
	s_load_dwordx2 s[18:19], s[22:23], 0x0
	s_cselect_b64 s[22:23], -1, 0
	s_cmp_lg_u32 s2, s10
	s_mul_i32 s12, s2, 0x3800
	s_mov_b32 s13, 0
	v_cmp_lt_u64_e32 vcc, s[4:5], v[2:3]
	s_cselect_b64 s[4:5], -1, 0
	s_or_b64 s[10:11], s[4:5], vcc
	s_lshl_b64 s[12:13], s[12:13], 1
	s_add_u32 s14, s16, s12
	s_addc_u32 s15, s17, s13
	s_mov_b64 s[4:5], -1
	s_and_b64 vcc, exec, s[10:11]
	s_cbranch_vccz .LBB3068_2
; %bb.1:
	v_mov_b32_e32 v17, 0
	v_lshl_add_u64 v[2:3], s[14:15], 0, v[16:17]
	v_add_co_u32_e32 v4, vcc, 0x1000, v2
	s_mov_b64 s[4:5], 0
	s_nop 0
	v_addc_co_u32_e32 v5, vcc, 0, v3, vcc
	flat_load_ushort v1, v[2:3]
	flat_load_ushort v8, v[2:3] offset:1024
	flat_load_ushort v9, v[2:3] offset:2048
	;; [unrolled: 1-line block ×3, first 2 shown]
	flat_load_ushort v11, v[4:5]
	flat_load_ushort v12, v[4:5] offset:1024
	flat_load_ushort v13, v[4:5] offset:2048
	;; [unrolled: 1-line block ×3, first 2 shown]
	v_add_co_u32_e32 v4, vcc, 0x2000, v2
	s_nop 1
	v_addc_co_u32_e32 v5, vcc, 0, v3, vcc
	v_add_co_u32_e32 v6, vcc, 0x3000, v2
	s_nop 1
	v_addc_co_u32_e32 v7, vcc, 0, v3, vcc
	flat_load_ushort v15, v[4:5]
	flat_load_ushort v17, v[4:5] offset:1024
	flat_load_ushort v18, v[4:5] offset:2048
	;; [unrolled: 1-line block ×3, first 2 shown]
	flat_load_ushort v20, v[6:7]
	flat_load_ushort v21, v[6:7] offset:1024
	flat_load_ushort v22, v[6:7] offset:2048
	;; [unrolled: 1-line block ×3, first 2 shown]
	v_add_co_u32_e32 v4, vcc, 0x4000, v2
	s_nop 1
	v_addc_co_u32_e32 v5, vcc, 0, v3, vcc
	v_add_co_u32_e32 v6, vcc, 0x5000, v2
	s_nop 1
	v_addc_co_u32_e32 v7, vcc, 0, v3, vcc
	v_add_co_u32_e32 v2, vcc, 0x6000, v2
	flat_load_ushort v24, v[4:5]
	flat_load_ushort v25, v[4:5] offset:1024
	flat_load_ushort v26, v[4:5] offset:2048
	;; [unrolled: 1-line block ×3, first 2 shown]
	flat_load_ushort v28, v[6:7]
	flat_load_ushort v29, v[6:7] offset:1024
	flat_load_ushort v30, v[6:7] offset:2048
	;; [unrolled: 1-line block ×3, first 2 shown]
	v_addc_co_u32_e32 v3, vcc, 0, v3, vcc
	flat_load_ushort v4, v[2:3]
	flat_load_ushort v5, v[2:3] offset:1024
	flat_load_ushort v6, v[2:3] offset:2048
	;; [unrolled: 1-line block ×3, first 2 shown]
	s_waitcnt vmcnt(0) lgkmcnt(0)
	ds_write_b16 v16, v1
	ds_write_b16 v16, v8 offset:1024
	ds_write_b16 v16, v9 offset:2048
	;; [unrolled: 1-line block ×27, first 2 shown]
	s_waitcnt lgkmcnt(0)
	s_barrier
.LBB3068_2:
	s_andn2_b64 vcc, exec, s[4:5]
	v_cmp_gt_u32_e64 s[4:5], s3, v0
	s_cbranch_vccnz .LBB3068_60
; %bb.3:
                                        ; implicit-def: $vgpr1
	s_and_saveexec_b64 s[16:17], s[4:5]
	s_cbranch_execz .LBB3068_5
; %bb.4:
	v_mov_b32_e32 v17, 0
	v_lshl_add_u64 v[2:3], s[14:15], 0, v[16:17]
	flat_load_ushort v1, v[2:3]
.LBB3068_5:
	s_or_b64 exec, exec, s[16:17]
	v_or_b32_e32 v2, 0x200, v0
	v_cmp_gt_u32_e32 vcc, s3, v2
                                        ; implicit-def: $vgpr2
	s_and_saveexec_b64 s[4:5], vcc
	s_cbranch_execz .LBB3068_7
; %bb.6:
	v_mov_b32_e32 v17, 0
	v_lshl_add_u64 v[2:3], s[14:15], 0, v[16:17]
	flat_load_ushort v2, v[2:3] offset:1024
.LBB3068_7:
	s_or_b64 exec, exec, s[4:5]
	v_or_b32_e32 v3, 0x400, v0
	v_cmp_gt_u32_e32 vcc, s3, v3
                                        ; implicit-def: $vgpr3
	s_and_saveexec_b64 s[4:5], vcc
	s_cbranch_execz .LBB3068_9
; %bb.8:
	v_mov_b32_e32 v17, 0
	v_lshl_add_u64 v[4:5], s[14:15], 0, v[16:17]
	flat_load_ushort v3, v[4:5] offset:2048
.LBB3068_9:
	s_or_b64 exec, exec, s[4:5]
	v_or_b32_e32 v4, 0x600, v0
	v_cmp_gt_u32_e32 vcc, s3, v4
                                        ; implicit-def: $vgpr4
	s_and_saveexec_b64 s[4:5], vcc
	s_cbranch_execz .LBB3068_11
; %bb.10:
	v_mov_b32_e32 v17, 0
	v_lshl_add_u64 v[4:5], s[14:15], 0, v[16:17]
	flat_load_ushort v4, v[4:5] offset:3072
.LBB3068_11:
	s_or_b64 exec, exec, s[4:5]
	v_or_b32_e32 v6, 0x800, v0
	v_cmp_gt_u32_e32 vcc, s3, v6
                                        ; implicit-def: $vgpr5
	s_and_saveexec_b64 s[4:5], vcc
	s_cbranch_execz .LBB3068_13
; %bb.12:
	v_lshlrev_b32_e32 v6, 1, v6
	v_mov_b32_e32 v7, 0
	v_lshl_add_u64 v[6:7], s[14:15], 0, v[6:7]
	flat_load_ushort v5, v[6:7]
.LBB3068_13:
	s_or_b64 exec, exec, s[4:5]
	v_or_b32_e32 v7, 0xa00, v0
	v_cmp_gt_u32_e32 vcc, s3, v7
                                        ; implicit-def: $vgpr6
	s_and_saveexec_b64 s[4:5], vcc
	s_cbranch_execz .LBB3068_15
; %bb.14:
	v_lshlrev_b32_e32 v6, 1, v7
	v_mov_b32_e32 v7, 0
	v_lshl_add_u64 v[6:7], s[14:15], 0, v[6:7]
	flat_load_ushort v6, v[6:7]
.LBB3068_15:
	s_or_b64 exec, exec, s[4:5]
	v_or_b32_e32 v8, 0xc00, v0
	v_cmp_gt_u32_e32 vcc, s3, v8
                                        ; implicit-def: $vgpr7
	s_and_saveexec_b64 s[4:5], vcc
	s_cbranch_execz .LBB3068_17
; %bb.16:
	v_lshlrev_b32_e32 v8, 1, v8
	v_mov_b32_e32 v9, 0
	v_lshl_add_u64 v[8:9], s[14:15], 0, v[8:9]
	flat_load_ushort v7, v[8:9]
.LBB3068_17:
	s_or_b64 exec, exec, s[4:5]
	v_or_b32_e32 v9, 0xe00, v0
	v_cmp_gt_u32_e32 vcc, s3, v9
                                        ; implicit-def: $vgpr8
	s_and_saveexec_b64 s[4:5], vcc
	s_cbranch_execz .LBB3068_19
; %bb.18:
	v_lshlrev_b32_e32 v8, 1, v9
	v_mov_b32_e32 v9, 0
	v_lshl_add_u64 v[8:9], s[14:15], 0, v[8:9]
	flat_load_ushort v8, v[8:9]
.LBB3068_19:
	s_or_b64 exec, exec, s[4:5]
	v_or_b32_e32 v10, 0x1000, v0
	v_cmp_gt_u32_e32 vcc, s3, v10
                                        ; implicit-def: $vgpr9
	s_and_saveexec_b64 s[4:5], vcc
	s_cbranch_execz .LBB3068_21
; %bb.20:
	v_lshlrev_b32_e32 v10, 1, v10
	v_mov_b32_e32 v11, 0
	v_lshl_add_u64 v[10:11], s[14:15], 0, v[10:11]
	flat_load_ushort v9, v[10:11]
.LBB3068_21:
	s_or_b64 exec, exec, s[4:5]
	v_or_b32_e32 v11, 0x1200, v0
	v_cmp_gt_u32_e32 vcc, s3, v11
                                        ; implicit-def: $vgpr10
	s_and_saveexec_b64 s[4:5], vcc
	s_cbranch_execz .LBB3068_23
; %bb.22:
	v_lshlrev_b32_e32 v10, 1, v11
	v_mov_b32_e32 v11, 0
	v_lshl_add_u64 v[10:11], s[14:15], 0, v[10:11]
	flat_load_ushort v10, v[10:11]
.LBB3068_23:
	s_or_b64 exec, exec, s[4:5]
	v_or_b32_e32 v12, 0x1400, v0
	v_cmp_gt_u32_e32 vcc, s3, v12
                                        ; implicit-def: $vgpr11
	s_and_saveexec_b64 s[4:5], vcc
	s_cbranch_execz .LBB3068_25
; %bb.24:
	v_lshlrev_b32_e32 v12, 1, v12
	v_mov_b32_e32 v13, 0
	v_lshl_add_u64 v[12:13], s[14:15], 0, v[12:13]
	flat_load_ushort v11, v[12:13]
.LBB3068_25:
	s_or_b64 exec, exec, s[4:5]
	v_or_b32_e32 v13, 0x1600, v0
	v_cmp_gt_u32_e32 vcc, s3, v13
                                        ; implicit-def: $vgpr12
	s_and_saveexec_b64 s[4:5], vcc
	s_cbranch_execz .LBB3068_27
; %bb.26:
	v_lshlrev_b32_e32 v12, 1, v13
	v_mov_b32_e32 v13, 0
	v_lshl_add_u64 v[12:13], s[14:15], 0, v[12:13]
	flat_load_ushort v12, v[12:13]
.LBB3068_27:
	s_or_b64 exec, exec, s[4:5]
	v_or_b32_e32 v14, 0x1800, v0
	v_cmp_gt_u32_e32 vcc, s3, v14
                                        ; implicit-def: $vgpr13
	s_and_saveexec_b64 s[4:5], vcc
	s_cbranch_execz .LBB3068_29
; %bb.28:
	v_lshlrev_b32_e32 v14, 1, v14
	v_mov_b32_e32 v15, 0
	v_lshl_add_u64 v[14:15], s[14:15], 0, v[14:15]
	flat_load_ushort v13, v[14:15]
.LBB3068_29:
	s_or_b64 exec, exec, s[4:5]
	v_or_b32_e32 v15, 0x1a00, v0
	v_cmp_gt_u32_e32 vcc, s3, v15
                                        ; implicit-def: $vgpr14
	s_and_saveexec_b64 s[4:5], vcc
	s_cbranch_execz .LBB3068_31
; %bb.30:
	v_lshlrev_b32_e32 v14, 1, v15
	v_mov_b32_e32 v15, 0
	v_lshl_add_u64 v[14:15], s[14:15], 0, v[14:15]
	flat_load_ushort v14, v[14:15]
.LBB3068_31:
	s_or_b64 exec, exec, s[4:5]
	v_or_b32_e32 v17, 0x1c00, v0
	v_cmp_gt_u32_e32 vcc, s3, v17
                                        ; implicit-def: $vgpr15
	s_and_saveexec_b64 s[4:5], vcc
	s_cbranch_execz .LBB3068_33
; %bb.32:
	v_lshlrev_b32_e32 v18, 1, v17
	v_mov_b32_e32 v19, 0
	v_lshl_add_u64 v[18:19], s[14:15], 0, v[18:19]
	flat_load_ushort v15, v[18:19]
.LBB3068_33:
	s_or_b64 exec, exec, s[4:5]
	v_or_b32_e32 v18, 0x1e00, v0
	v_cmp_gt_u32_e32 vcc, s3, v18
                                        ; implicit-def: $vgpr17
	s_and_saveexec_b64 s[4:5], vcc
	s_cbranch_execz .LBB3068_35
; %bb.34:
	v_lshlrev_b32_e32 v18, 1, v18
	v_mov_b32_e32 v19, 0
	v_lshl_add_u64 v[18:19], s[14:15], 0, v[18:19]
	flat_load_ushort v17, v[18:19]
.LBB3068_35:
	s_or_b64 exec, exec, s[4:5]
	v_or_b32_e32 v19, 0x2000, v0
	v_cmp_gt_u32_e32 vcc, s3, v19
                                        ; implicit-def: $vgpr18
	s_and_saveexec_b64 s[4:5], vcc
	s_cbranch_execz .LBB3068_37
; %bb.36:
	v_lshlrev_b32_e32 v18, 1, v19
	v_mov_b32_e32 v19, 0
	v_lshl_add_u64 v[18:19], s[14:15], 0, v[18:19]
	flat_load_ushort v18, v[18:19]
.LBB3068_37:
	s_or_b64 exec, exec, s[4:5]
	v_or_b32_e32 v20, 0x2200, v0
	v_cmp_gt_u32_e32 vcc, s3, v20
                                        ; implicit-def: $vgpr19
	s_and_saveexec_b64 s[4:5], vcc
	s_cbranch_execz .LBB3068_39
; %bb.38:
	v_lshlrev_b32_e32 v20, 1, v20
	v_mov_b32_e32 v21, 0
	v_lshl_add_u64 v[20:21], s[14:15], 0, v[20:21]
	flat_load_ushort v19, v[20:21]
.LBB3068_39:
	s_or_b64 exec, exec, s[4:5]
	v_or_b32_e32 v21, 0x2400, v0
	v_cmp_gt_u32_e32 vcc, s3, v21
                                        ; implicit-def: $vgpr20
	s_and_saveexec_b64 s[4:5], vcc
	s_cbranch_execz .LBB3068_41
; %bb.40:
	v_lshlrev_b32_e32 v20, 1, v21
	v_mov_b32_e32 v21, 0
	v_lshl_add_u64 v[20:21], s[14:15], 0, v[20:21]
	flat_load_ushort v20, v[20:21]
.LBB3068_41:
	s_or_b64 exec, exec, s[4:5]
	v_or_b32_e32 v22, 0x2600, v0
	v_cmp_gt_u32_e32 vcc, s3, v22
                                        ; implicit-def: $vgpr21
	s_and_saveexec_b64 s[4:5], vcc
	s_cbranch_execz .LBB3068_43
; %bb.42:
	v_lshlrev_b32_e32 v22, 1, v22
	v_mov_b32_e32 v23, 0
	v_lshl_add_u64 v[22:23], s[14:15], 0, v[22:23]
	flat_load_ushort v21, v[22:23]
.LBB3068_43:
	s_or_b64 exec, exec, s[4:5]
	v_or_b32_e32 v23, 0x2800, v0
	v_cmp_gt_u32_e32 vcc, s3, v23
                                        ; implicit-def: $vgpr22
	s_and_saveexec_b64 s[4:5], vcc
	s_cbranch_execz .LBB3068_45
; %bb.44:
	v_lshlrev_b32_e32 v22, 1, v23
	v_mov_b32_e32 v23, 0
	v_lshl_add_u64 v[22:23], s[14:15], 0, v[22:23]
	flat_load_ushort v22, v[22:23]
.LBB3068_45:
	s_or_b64 exec, exec, s[4:5]
	v_or_b32_e32 v24, 0x2a00, v0
	v_cmp_gt_u32_e32 vcc, s3, v24
                                        ; implicit-def: $vgpr23
	s_and_saveexec_b64 s[4:5], vcc
	s_cbranch_execz .LBB3068_47
; %bb.46:
	v_lshlrev_b32_e32 v24, 1, v24
	v_mov_b32_e32 v25, 0
	v_lshl_add_u64 v[24:25], s[14:15], 0, v[24:25]
	flat_load_ushort v23, v[24:25]
.LBB3068_47:
	s_or_b64 exec, exec, s[4:5]
	v_or_b32_e32 v25, 0x2c00, v0
	v_cmp_gt_u32_e32 vcc, s3, v25
                                        ; implicit-def: $vgpr24
	s_and_saveexec_b64 s[4:5], vcc
	s_cbranch_execz .LBB3068_49
; %bb.48:
	v_lshlrev_b32_e32 v24, 1, v25
	v_mov_b32_e32 v25, 0
	v_lshl_add_u64 v[24:25], s[14:15], 0, v[24:25]
	flat_load_ushort v24, v[24:25]
.LBB3068_49:
	s_or_b64 exec, exec, s[4:5]
	v_or_b32_e32 v26, 0x2e00, v0
	v_cmp_gt_u32_e32 vcc, s3, v26
                                        ; implicit-def: $vgpr25
	s_and_saveexec_b64 s[4:5], vcc
	s_cbranch_execz .LBB3068_51
; %bb.50:
	v_lshlrev_b32_e32 v26, 1, v26
	v_mov_b32_e32 v27, 0
	v_lshl_add_u64 v[26:27], s[14:15], 0, v[26:27]
	flat_load_ushort v25, v[26:27]
.LBB3068_51:
	s_or_b64 exec, exec, s[4:5]
	v_or_b32_e32 v27, 0x3000, v0
	v_cmp_gt_u32_e32 vcc, s3, v27
                                        ; implicit-def: $vgpr26
	s_and_saveexec_b64 s[4:5], vcc
	s_cbranch_execz .LBB3068_53
; %bb.52:
	v_lshlrev_b32_e32 v26, 1, v27
	v_mov_b32_e32 v27, 0
	v_lshl_add_u64 v[26:27], s[14:15], 0, v[26:27]
	flat_load_ushort v26, v[26:27]
.LBB3068_53:
	s_or_b64 exec, exec, s[4:5]
	v_or_b32_e32 v28, 0x3200, v0
	v_cmp_gt_u32_e32 vcc, s3, v28
                                        ; implicit-def: $vgpr27
	s_and_saveexec_b64 s[4:5], vcc
	s_cbranch_execz .LBB3068_55
; %bb.54:
	v_lshlrev_b32_e32 v28, 1, v28
	v_mov_b32_e32 v29, 0
	v_lshl_add_u64 v[28:29], s[14:15], 0, v[28:29]
	flat_load_ushort v27, v[28:29]
.LBB3068_55:
	s_or_b64 exec, exec, s[4:5]
	v_or_b32_e32 v29, 0x3400, v0
	v_cmp_gt_u32_e32 vcc, s3, v29
                                        ; implicit-def: $vgpr28
	s_and_saveexec_b64 s[4:5], vcc
	s_cbranch_execz .LBB3068_57
; %bb.56:
	v_lshlrev_b32_e32 v28, 1, v29
	v_mov_b32_e32 v29, 0
	v_lshl_add_u64 v[28:29], s[14:15], 0, v[28:29]
	flat_load_ushort v28, v[28:29]
.LBB3068_57:
	s_or_b64 exec, exec, s[4:5]
	v_or_b32_e32 v30, 0x3600, v0
	v_cmp_gt_u32_e32 vcc, s3, v30
                                        ; implicit-def: $vgpr29
	s_and_saveexec_b64 s[4:5], vcc
	s_cbranch_execz .LBB3068_59
; %bb.58:
	v_lshlrev_b32_e32 v30, 1, v30
	v_mov_b32_e32 v31, 0
	v_lshl_add_u64 v[30:31], s[14:15], 0, v[30:31]
	flat_load_ushort v29, v[30:31]
.LBB3068_59:
	s_or_b64 exec, exec, s[4:5]
	s_waitcnt vmcnt(0) lgkmcnt(0)
	ds_write_b16 v16, v1
	ds_write_b16 v16, v2 offset:1024
	ds_write_b16 v16, v3 offset:2048
	;; [unrolled: 1-line block ×27, first 2 shown]
	s_waitcnt lgkmcnt(0)
	s_barrier
.LBB3068_60:
	v_mul_u32_u24_e32 v1, 28, v0
	v_lshlrev_b32_e32 v6, 1, v1
	s_waitcnt lgkmcnt(0)
	ds_read_b64 v[14:15], v6 offset:48
	ds_read2_b64 v[2:5], v6 offset0:4 offset1:5
	ds_read2_b64 v[10:13], v6 offset1:1
	ds_read2_b64 v[6:9], v6 offset0:2 offset1:3
	s_add_u32 s4, s6, s8
	s_addc_u32 s5, s7, s9
	s_add_u32 s4, s4, s12
	s_addc_u32 s5, s5, s13
	s_mov_b64 s[6:7], -1
	s_and_b64 vcc, exec, s[10:11]
	s_waitcnt lgkmcnt(0)
	s_barrier
	s_cbranch_vccz .LBB3068_62
; %bb.61:
	v_mov_b32_e32 v17, 0
	v_lshl_add_u64 v[18:19], s[4:5], 0, v[16:17]
	s_movk_i32 s6, 0x1000
	v_add_co_u32_e32 v20, vcc, s6, v18
	s_movk_i32 s6, 0x2000
	s_nop 0
	v_addc_co_u32_e32 v21, vcc, 0, v19, vcc
	v_add_co_u32_e32 v22, vcc, s6, v18
	s_movk_i32 s7, 0x4000
	s_nop 0
	v_addc_co_u32_e32 v23, vcc, 0, v19, vcc
	global_load_ubyte v17, v16, s[4:5]
	global_load_ubyte v24, v16, s[4:5] offset:1024
	global_load_ubyte v25, v16, s[4:5] offset:2048
	;; [unrolled: 1-line block ×3, first 2 shown]
	global_load_ubyte v27, v[20:21], off offset:1024
	global_load_ubyte v28, v[20:21], off offset:2048
	;; [unrolled: 1-line block ×3, first 2 shown]
	global_load_ubyte v30, v[22:23], off offset:-4096
	global_load_ubyte v31, v[22:23], off
	global_load_ubyte v32, v[22:23], off offset:1024
	v_add_co_u32_e32 v20, vcc, s7, v18
	s_movk_i32 s6, 0x3000
	s_nop 0
	v_addc_co_u32_e32 v21, vcc, 0, v19, vcc
	global_load_ubyte v33, v[22:23], off offset:2048
	global_load_ubyte v34, v[22:23], off offset:3072
	global_load_ubyte v35, v[20:21], off offset:-4096
	v_add_co_u32_e32 v22, vcc, s6, v18
	s_movk_i32 s7, 0x6000
	s_nop 0
	v_addc_co_u32_e32 v23, vcc, 0, v19, vcc
	global_load_ubyte v36, v[22:23], off offset:1024
	global_load_ubyte v37, v[22:23], off offset:2048
	;; [unrolled: 1-line block ×3, first 2 shown]
	global_load_ubyte v39, v[20:21], off
	v_add_co_u32_e32 v22, vcc, s7, v18
	s_movk_i32 s6, 0x5000
	s_nop 0
	v_addc_co_u32_e32 v23, vcc, 0, v19, vcc
	v_add_co_u32_e32 v18, vcc, s6, v18
	global_load_ubyte v40, v[20:21], off offset:1024
	global_load_ubyte v41, v[20:21], off offset:2048
	;; [unrolled: 1-line block ×3, first 2 shown]
	global_load_ubyte v43, v[22:23], off offset:-4096
	v_addc_co_u32_e32 v19, vcc, 0, v19, vcc
	global_load_ubyte v20, v[18:19], off offset:1024
	global_load_ubyte v21, v[18:19], off offset:2048
	;; [unrolled: 1-line block ×3, first 2 shown]
	global_load_ubyte v45, v[22:23], off
	global_load_ubyte v46, v[22:23], off offset:1024
	global_load_ubyte v47, v[22:23], off offset:2048
	;; [unrolled: 1-line block ×3, first 2 shown]
	s_mov_b64 s[6:7], 0
	s_waitcnt vmcnt(23)
	v_xor_b32_e32 v23, -1, v27
	v_xor_b32_e32 v17, -1, v17
	;; [unrolled: 1-line block ×5, first 2 shown]
	v_and_b32_e32 v17, 1, v17
	s_waitcnt vmcnt(22)
	v_xor_b32_e32 v24, -1, v28
	s_waitcnt vmcnt(21)
	v_xor_b32_e32 v25, -1, v29
	;; [unrolled: 2-line block ×12, first 2 shown]
	v_and_b32_e32 v18, 1, v18
	v_and_b32_e32 v19, 1, v19
	;; [unrolled: 1-line block ×4, first 2 shown]
	s_waitcnt vmcnt(10)
	v_xor_b32_e32 v36, -1, v40
	s_waitcnt vmcnt(9)
	v_xor_b32_e32 v37, -1, v41
	;; [unrolled: 2-line block ×11, first 2 shown]
	v_and_b32_e32 v24, 1, v24
	v_and_b32_e32 v25, 1, v25
	v_and_b32_e32 v26, 1, v26
	v_and_b32_e32 v27, 1, v27
	v_and_b32_e32 v28, 1, v28
	v_and_b32_e32 v29, 1, v29
	v_and_b32_e32 v30, 1, v30
	v_and_b32_e32 v31, 1, v31
	v_and_b32_e32 v32, 1, v32
	v_and_b32_e32 v33, 1, v33
	v_and_b32_e32 v34, 1, v34
	v_and_b32_e32 v35, 1, v35
	v_and_b32_e32 v36, 1, v36
	v_and_b32_e32 v37, 1, v37
	v_and_b32_e32 v38, 1, v38
	v_and_b32_e32 v39, 1, v39
	v_and_b32_e32 v20, 1, v20
	v_and_b32_e32 v21, 1, v21
	v_and_b32_e32 v40, 1, v40
	v_and_b32_e32 v41, 1, v41
	v_and_b32_e32 v42, 1, v42
	v_and_b32_e32 v43, 1, v43
	v_and_b32_e32 v44, 1, v44
	ds_write_b8 v0, v17
	ds_write_b8 v0, v18 offset:512
	ds_write_b8 v0, v19 offset:1024
	ds_write_b8 v0, v22 offset:1536
	ds_write_b8 v0, v26 offset:2048
	ds_write_b8 v0, v23 offset:2560
	ds_write_b8 v0, v24 offset:3072
	ds_write_b8 v0, v25 offset:3584
	ds_write_b8 v0, v27 offset:4096
	ds_write_b8 v0, v28 offset:4608
	ds_write_b8 v0, v29 offset:5120
	ds_write_b8 v0, v30 offset:5632
	ds_write_b8 v0, v31 offset:6144
	ds_write_b8 v0, v32 offset:6656
	ds_write_b8 v0, v33 offset:7168
	ds_write_b8 v0, v34 offset:7680
	ds_write_b8 v0, v35 offset:8192
	ds_write_b8 v0, v36 offset:8704
	ds_write_b8 v0, v37 offset:9216
	ds_write_b8 v0, v38 offset:9728
	ds_write_b8 v0, v39 offset:10240
	ds_write_b8 v0, v20 offset:10752
	ds_write_b8 v0, v21 offset:11264
	ds_write_b8 v0, v40 offset:11776
	ds_write_b8 v0, v41 offset:12288
	ds_write_b8 v0, v42 offset:12800
	ds_write_b8 v0, v43 offset:13312
	ds_write_b8 v0, v44 offset:13824
	s_waitcnt lgkmcnt(0)
	s_barrier
.LBB3068_62:
	s_load_dwordx2 s[24:25], s[0:1], 0x80
	s_andn2_b64 vcc, exec, s[6:7]
	s_cbranch_vccnz .LBB3068_120
; %bb.63:
	v_cmp_gt_u32_e32 vcc, s3, v0
	v_mov_b32_e32 v17, 0
	v_mov_b32_e32 v18, 0
	s_and_saveexec_b64 s[0:1], vcc
	s_cbranch_execz .LBB3068_65
; %bb.64:
	global_load_ubyte v18, v16, s[4:5]
	s_waitcnt vmcnt(0)
	v_xor_b32_e32 v18, -1, v18
	v_and_b32_e32 v18, 1, v18
.LBB3068_65:
	s_or_b64 exec, exec, s[0:1]
	v_or_b32_e32 v19, 0x200, v0
	v_cmp_gt_u32_e32 vcc, s3, v19
	s_and_saveexec_b64 s[0:1], vcc
	s_cbranch_execz .LBB3068_67
; %bb.66:
	global_load_ubyte v17, v16, s[4:5] offset:1024
	s_waitcnt vmcnt(0)
	v_xor_b32_e32 v17, -1, v17
	v_and_b32_e32 v17, 1, v17
.LBB3068_67:
	s_or_b64 exec, exec, s[0:1]
	v_or_b32_e32 v19, 0x400, v0
	v_cmp_gt_u32_e32 vcc, s3, v19
	v_mov_b32_e32 v19, 0
	v_mov_b32_e32 v20, 0
	s_and_saveexec_b64 s[0:1], vcc
	s_cbranch_execz .LBB3068_69
; %bb.68:
	global_load_ubyte v20, v16, s[4:5] offset:2048
	s_waitcnt vmcnt(0)
	v_xor_b32_e32 v20, -1, v20
	v_and_b32_e32 v20, 1, v20
.LBB3068_69:
	s_or_b64 exec, exec, s[0:1]
	v_or_b32_e32 v21, 0x600, v0
	v_cmp_gt_u32_e32 vcc, s3, v21
	s_and_saveexec_b64 s[0:1], vcc
	s_cbranch_execz .LBB3068_71
; %bb.70:
	global_load_ubyte v16, v16, s[4:5] offset:3072
	s_waitcnt vmcnt(0)
	v_xor_b32_e32 v16, -1, v16
	v_and_b32_e32 v19, 1, v16
.LBB3068_71:
	s_or_b64 exec, exec, s[0:1]
	v_or_b32_e32 v22, 0x800, v0
	v_cmp_gt_u32_e32 vcc, s3, v22
	v_mov_b32_e32 v16, 0
	v_mov_b32_e32 v21, 0
	s_and_saveexec_b64 s[0:1], vcc
	s_cbranch_execz .LBB3068_73
; %bb.72:
	v_lshlrev_b32_e32 v21, 1, v22
	global_load_ubyte v21, v21, s[4:5]
	s_waitcnt vmcnt(0)
	v_xor_b32_e32 v21, -1, v21
	v_and_b32_e32 v21, 1, v21
.LBB3068_73:
	s_or_b64 exec, exec, s[0:1]
	v_or_b32_e32 v22, 0xa00, v0
	v_cmp_gt_u32_e32 vcc, s3, v22
	s_and_saveexec_b64 s[0:1], vcc
	s_cbranch_execz .LBB3068_75
; %bb.74:
	v_lshlrev_b32_e32 v16, 1, v22
	global_load_ubyte v16, v16, s[4:5]
	s_waitcnt vmcnt(0)
	v_xor_b32_e32 v16, -1, v16
	v_and_b32_e32 v16, 1, v16
.LBB3068_75:
	s_or_b64 exec, exec, s[0:1]
	v_or_b32_e32 v24, 0xc00, v0
	v_cmp_gt_u32_e32 vcc, s3, v24
	v_mov_b32_e32 v22, 0
	v_mov_b32_e32 v23, 0
	s_and_saveexec_b64 s[0:1], vcc
	s_cbranch_execz .LBB3068_77
; %bb.76:
	v_lshlrev_b32_e32 v23, 1, v24
	global_load_ubyte v23, v23, s[4:5]
	s_waitcnt vmcnt(0)
	v_xor_b32_e32 v23, -1, v23
	v_and_b32_e32 v23, 1, v23
.LBB3068_77:
	s_or_b64 exec, exec, s[0:1]
	v_or_b32_e32 v24, 0xe00, v0
	v_cmp_gt_u32_e32 vcc, s3, v24
	s_and_saveexec_b64 s[0:1], vcc
	s_cbranch_execz .LBB3068_79
; %bb.78:
	v_lshlrev_b32_e32 v22, 1, v24
	global_load_ubyte v22, v22, s[4:5]
	s_waitcnt vmcnt(0)
	v_xor_b32_e32 v22, -1, v22
	v_and_b32_e32 v22, 1, v22
.LBB3068_79:
	;; [unrolled: 26-line block ×12, first 2 shown]
	s_or_b64 exec, exec, s[0:1]
	ds_write_b8 v0, v18
	ds_write_b8 v0, v17 offset:512
	ds_write_b8 v0, v20 offset:1024
	;; [unrolled: 1-line block ×27, first 2 shown]
	s_waitcnt lgkmcnt(0)
	s_barrier
.LBB3068_120:
	s_waitcnt lgkmcnt(0)
	ds_read2_b32 v[20:21], v1 offset1:1
	ds_read2_b32 v[18:19], v1 offset0:2 offset1:3
	ds_read2_b32 v[16:17], v1 offset0:4 offset1:5
	ds_read_b32 v33, v1 offset:24
	s_cmp_lg_u32 s2, 0
	v_lshrrev_b32_e32 v60, 6, v0
	s_waitcnt lgkmcnt(2)
	v_and_b32_e32 v52, 0xff, v18
	v_lshrrev_b32_e32 v40, 24, v20
	v_bfe_u32 v58, v20, 16, 8
	v_add_u32_sdwa v22, v20, v20 dst_sel:DWORD dst_unused:UNUSED_PAD src0_sel:BYTE_1 src1_sel:BYTE_0
	v_and_b32_e32 v55, 0xff, v21
	v_bfe_u32 v56, v21, 8, 8
	v_add3_u32 v22, v22, v58, v40
	v_lshrrev_b32_e32 v39, 24, v21
	v_bfe_u32 v57, v21, 16, 8
	v_add3_u32 v22, v22, v55, v56
	v_bfe_u32 v53, v18, 8, 8
	v_add3_u32 v22, v22, v57, v39
	v_lshrrev_b32_e32 v38, 24, v18
	v_bfe_u32 v54, v18, 16, 8
	v_add3_u32 v22, v22, v52, v53
	v_and_b32_e32 v49, 0xff, v19
	v_bfe_u32 v50, v19, 8, 8
	v_add3_u32 v22, v22, v54, v38
	v_lshrrev_b32_e32 v37, 24, v19
	v_bfe_u32 v51, v19, 16, 8
	v_add3_u32 v22, v22, v49, v50
	s_waitcnt lgkmcnt(1)
	v_and_b32_e32 v46, 0xff, v16
	v_bfe_u32 v47, v16, 8, 8
	v_add3_u32 v22, v22, v51, v37
	v_lshrrev_b32_e32 v36, 24, v16
	v_bfe_u32 v48, v16, 16, 8
	v_add3_u32 v22, v22, v46, v47
	v_and_b32_e32 v43, 0xff, v17
	v_bfe_u32 v44, v17, 8, 8
	v_add3_u32 v22, v22, v48, v36
	v_lshrrev_b32_e32 v35, 24, v17
	v_bfe_u32 v45, v17, 16, 8
	v_add3_u32 v22, v22, v43, v44
	s_waitcnt lgkmcnt(0)
	v_and_b32_e32 v41, 0xff, v33
	v_bfe_u32 v42, v33, 8, 8
	v_add3_u32 v22, v22, v45, v35
	v_lshrrev_b32_e32 v32, 24, v33
	v_bfe_u32 v34, v33, 16, 8
	v_add3_u32 v22, v22, v41, v42
	v_add3_u32 v61, v22, v34, v32
	v_mbcnt_lo_u32_b32 v22, -1, 0
	v_mbcnt_hi_u32_b32 v59, -1, v22
	v_and_b32_e32 v22, 15, v59
	v_cmp_eq_u32_e64 s[12:13], 0, v22
	v_cmp_lt_u32_e64 s[10:11], 1, v22
	v_cmp_lt_u32_e64 s[8:9], 3, v22
	;; [unrolled: 1-line block ×3, first 2 shown]
	v_and_b32_e32 v22, 16, v59
	v_cmp_eq_u32_e64 s[4:5], 0, v22
	v_or_b32_e32 v22, 63, v0
	v_cmp_lt_u32_e64 s[0:1], 31, v59
	v_cmp_eq_u32_e64 s[16:17], v22, v0
	s_barrier
	s_cbranch_scc0 .LBB3068_147
; %bb.121:
	v_mov_b32_dpp v22, v61 row_shr:1 row_mask:0xf bank_mask:0xf
	v_cndmask_b32_e64 v22, v22, 0, s[12:13]
	v_add_u32_e32 v22, v22, v61
	s_nop 1
	v_mov_b32_dpp v23, v22 row_shr:2 row_mask:0xf bank_mask:0xf
	v_cndmask_b32_e64 v23, 0, v23, s[10:11]
	v_add_u32_e32 v22, v22, v23
	s_nop 1
	;; [unrolled: 4-line block ×4, first 2 shown]
	v_mov_b32_dpp v23, v22 row_bcast:15 row_mask:0xf bank_mask:0xf
	v_cndmask_b32_e64 v23, v23, 0, s[4:5]
	v_add_u32_e32 v22, v22, v23
	s_nop 1
	v_mov_b32_dpp v23, v22 row_bcast:31 row_mask:0xf bank_mask:0xf
	v_cndmask_b32_e64 v23, 0, v23, s[0:1]
	v_add_u32_e32 v22, v22, v23
	s_and_saveexec_b64 s[14:15], s[16:17]
	s_cbranch_execz .LBB3068_123
; %bb.122:
	v_lshlrev_b32_e32 v23, 2, v60
	ds_write_b32 v23, v22
.LBB3068_123:
	s_or_b64 exec, exec, s[14:15]
	v_cmp_gt_u32_e32 vcc, 8, v0
	s_waitcnt lgkmcnt(0)
	s_barrier
	s_and_saveexec_b64 s[14:15], vcc
	s_cbranch_execz .LBB3068_125
; %bb.124:
	v_lshlrev_b32_e32 v23, 2, v0
	ds_read_b32 v24, v23
	v_and_b32_e32 v25, 7, v59
	v_cmp_ne_u32_e32 vcc, 0, v25
	s_waitcnt lgkmcnt(0)
	v_mov_b32_dpp v26, v24 row_shr:1 row_mask:0xf bank_mask:0xf
	v_cndmask_b32_e32 v26, 0, v26, vcc
	v_add_u32_e32 v24, v26, v24
	v_cmp_lt_u32_e32 vcc, 1, v25
	s_nop 0
	v_mov_b32_dpp v26, v24 row_shr:2 row_mask:0xf bank_mask:0xf
	v_cndmask_b32_e32 v26, 0, v26, vcc
	v_add_u32_e32 v24, v24, v26
	v_cmp_lt_u32_e32 vcc, 3, v25
	s_nop 0
	v_mov_b32_dpp v26, v24 row_shr:4 row_mask:0xf bank_mask:0xf
	v_cndmask_b32_e32 v25, 0, v26, vcc
	v_add_u32_e32 v24, v24, v25
	ds_write_b32 v23, v24
.LBB3068_125:
	s_or_b64 exec, exec, s[14:15]
	v_cmp_gt_u32_e32 vcc, 64, v0
	v_cmp_lt_u32_e64 s[14:15], 63, v0
	s_waitcnt lgkmcnt(0)
	s_barrier
	s_waitcnt lgkmcnt(0)
                                        ; implicit-def: $vgpr62
	s_and_saveexec_b64 s[26:27], s[14:15]
	s_cbranch_execz .LBB3068_127
; %bb.126:
	v_lshl_add_u32 v23, v60, 2, -4
	ds_read_b32 v62, v23
	s_waitcnt lgkmcnt(0)
	v_add_u32_e32 v22, v62, v22
.LBB3068_127:
	s_or_b64 exec, exec, s[26:27]
	v_add_u32_e32 v23, -1, v59
	v_and_b32_e32 v24, 64, v59
	v_cmp_lt_i32_e64 s[14:15], v23, v24
	s_nop 1
	v_cndmask_b32_e64 v23, v23, v59, s[14:15]
	v_lshlrev_b32_e32 v23, 2, v23
	ds_bpermute_b32 v63, v23, v22
	v_cmp_eq_u32_e64 s[14:15], 0, v59
	s_and_saveexec_b64 s[26:27], vcc
	s_cbranch_execz .LBB3068_146
; %bb.128:
	v_mov_b32_e32 v29, 0
	ds_read_b32 v22, v29 offset:28
	s_and_saveexec_b64 s[28:29], s[14:15]
	s_cbranch_execz .LBB3068_130
; %bb.129:
	s_add_i32 s30, s2, 64
	s_mov_b32 s31, 0
	s_lshl_b64 s[30:31], s[30:31], 3
	s_add_u32 s30, s24, s30
	v_mov_b32_e32 v23, 1
	s_addc_u32 s31, s25, s31
	s_waitcnt lgkmcnt(0)
	global_store_dwordx2 v29, v[22:23], s[30:31] sc1
.LBB3068_130:
	s_or_b64 exec, exec, s[28:29]
	v_xad_u32 v24, v59, -1, s2
	v_add_u32_e32 v28, 64, v24
	v_lshl_add_u64 v[30:31], v[28:29], 3, s[24:25]
	global_load_dwordx2 v[26:27], v[30:31], off sc1
	s_waitcnt vmcnt(0)
	v_cmp_eq_u16_sdwa s[30:31], v27, v29 src0_sel:BYTE_0 src1_sel:DWORD
	s_and_saveexec_b64 s[28:29], s[30:31]
	s_cbranch_execz .LBB3068_134
; %bb.131:
	s_mov_b64 s[30:31], 0
	v_mov_b32_e32 v23, 0
.LBB3068_132:                           ; =>This Inner Loop Header: Depth=1
	global_load_dwordx2 v[26:27], v[30:31], off sc1
	s_waitcnt vmcnt(0)
	v_cmp_ne_u16_sdwa s[34:35], v27, v23 src0_sel:BYTE_0 src1_sel:DWORD
	s_or_b64 s[30:31], s[34:35], s[30:31]
	s_andn2_b64 exec, exec, s[30:31]
	s_cbranch_execnz .LBB3068_132
; %bb.133:
	s_or_b64 exec, exec, s[30:31]
.LBB3068_134:
	s_or_b64 exec, exec, s[28:29]
	v_and_b32_e32 v65, 63, v59
	v_mov_b32_e32 v64, 2
	v_cmp_ne_u32_e32 vcc, 63, v65
	v_cmp_eq_u16_sdwa s[28:29], v27, v64 src0_sel:BYTE_0 src1_sel:DWORD
	v_lshlrev_b64 v[28:29], v59, -1
	v_addc_co_u32_e32 v30, vcc, 0, v59, vcc
	v_and_b32_e32 v23, s29, v29
	v_lshlrev_b32_e32 v66, 2, v30
	v_or_b32_e32 v23, 0x80000000, v23
	ds_bpermute_b32 v30, v66, v26
	v_and_b32_e32 v25, s28, v28
	v_ffbl_b32_e32 v23, v23
	v_add_u32_e32 v23, 32, v23
	v_ffbl_b32_e32 v25, v25
	v_min_u32_e32 v23, v25, v23
	v_cmp_lt_u32_e32 vcc, v65, v23
	v_add_u32_e32 v68, 2, v65
	v_add_u32_e32 v70, 4, v65
	s_waitcnt lgkmcnt(0)
	v_cndmask_b32_e32 v25, 0, v30, vcc
	v_cmp_gt_u32_e32 vcc, 62, v65
	v_add_u32_e32 v25, v25, v26
	v_add_u32_e32 v72, 8, v65
	v_cndmask_b32_e64 v26, 0, 1, vcc
	v_lshlrev_b32_e32 v26, 1, v26
	v_add_lshl_u32 v67, v26, v59, 2
	ds_bpermute_b32 v26, v67, v25
	v_cmp_le_u32_e32 vcc, v68, v23
	v_add_u32_e32 v74, 16, v65
	v_add_u32_e32 v76, 32, v65
	s_waitcnt lgkmcnt(0)
	v_cndmask_b32_e32 v26, 0, v26, vcc
	v_cmp_gt_u32_e32 vcc, 60, v65
	v_add_u32_e32 v25, v25, v26
	s_nop 0
	v_cndmask_b32_e64 v26, 0, 1, vcc
	v_lshlrev_b32_e32 v26, 2, v26
	v_add_lshl_u32 v69, v26, v59, 2
	ds_bpermute_b32 v26, v69, v25
	v_cmp_le_u32_e32 vcc, v70, v23
	s_waitcnt lgkmcnt(0)
	s_nop 0
	v_cndmask_b32_e32 v26, 0, v26, vcc
	v_cmp_gt_u32_e32 vcc, 56, v65
	v_add_u32_e32 v25, v25, v26
	s_nop 0
	v_cndmask_b32_e64 v26, 0, 1, vcc
	v_lshlrev_b32_e32 v26, 3, v26
	v_add_lshl_u32 v71, v26, v59, 2
	ds_bpermute_b32 v26, v71, v25
	v_cmp_le_u32_e32 vcc, v72, v23
	s_waitcnt lgkmcnt(0)
	s_nop 0
	;; [unrolled: 11-line block ×4, first 2 shown]
	v_cndmask_b32_e32 v23, 0, v26, vcc
	v_add_u32_e32 v26, v25, v23
	v_mov_b32_e32 v25, 0
	s_branch .LBB3068_136
.LBB3068_135:                           ;   in Loop: Header=BB3068_136 Depth=1
	s_or_b64 exec, exec, s[28:29]
	v_cmp_eq_u16_sdwa s[28:29], v27, v64 src0_sel:BYTE_0 src1_sel:DWORD
	ds_bpermute_b32 v77, v66, v26
	v_subrev_u32_e32 v24, 64, v24
	v_and_b32_e32 v30, s29, v29
	v_or_b32_e32 v30, 0x80000000, v30
	v_and_b32_e32 v31, s28, v28
	v_ffbl_b32_e32 v30, v30
	v_add_u32_e32 v30, 32, v30
	v_ffbl_b32_e32 v31, v31
	v_min_u32_e32 v30, v31, v30
	v_cmp_lt_u32_e32 vcc, v65, v30
	s_waitcnt lgkmcnt(0)
	s_nop 0
	v_cndmask_b32_e32 v31, 0, v77, vcc
	v_add_u32_e32 v26, v31, v26
	ds_bpermute_b32 v31, v67, v26
	v_cmp_le_u32_e32 vcc, v68, v30
	s_waitcnt lgkmcnt(0)
	s_nop 0
	v_cndmask_b32_e32 v31, 0, v31, vcc
	v_add_u32_e32 v26, v26, v31
	ds_bpermute_b32 v31, v69, v26
	v_cmp_le_u32_e32 vcc, v70, v30
	;; [unrolled: 6-line block ×5, first 2 shown]
	s_waitcnt lgkmcnt(0)
	s_nop 0
	v_cndmask_b32_e32 v30, 0, v31, vcc
	v_add3_u32 v26, v30, v23, v26
.LBB3068_136:                           ; =>This Loop Header: Depth=1
                                        ;     Child Loop BB3068_139 Depth 2
	v_cmp_ne_u16_sdwa s[28:29], v27, v64 src0_sel:BYTE_0 src1_sel:DWORD
	s_nop 1
	v_cndmask_b32_e64 v23, 0, 1, s[28:29]
	;;#ASMSTART
	;;#ASMEND
	s_nop 0
	v_cmp_ne_u32_e32 vcc, 0, v23
	s_cmp_lg_u64 vcc, exec
	v_mov_b32_e32 v23, v26
	s_cbranch_scc1 .LBB3068_141
; %bb.137:                              ;   in Loop: Header=BB3068_136 Depth=1
	v_lshl_add_u64 v[30:31], v[24:25], 3, s[24:25]
	global_load_dwordx2 v[26:27], v[30:31], off sc1
	s_waitcnt vmcnt(0)
	v_cmp_eq_u16_sdwa s[30:31], v27, v25 src0_sel:BYTE_0 src1_sel:DWORD
	s_and_saveexec_b64 s[28:29], s[30:31]
	s_cbranch_execz .LBB3068_135
; %bb.138:                              ;   in Loop: Header=BB3068_136 Depth=1
	s_mov_b64 s[30:31], 0
.LBB3068_139:                           ;   Parent Loop BB3068_136 Depth=1
                                        ; =>  This Inner Loop Header: Depth=2
	global_load_dwordx2 v[26:27], v[30:31], off sc1
	s_waitcnt vmcnt(0)
	v_cmp_ne_u16_sdwa s[34:35], v27, v25 src0_sel:BYTE_0 src1_sel:DWORD
	s_or_b64 s[30:31], s[34:35], s[30:31]
	s_andn2_b64 exec, exec, s[30:31]
	s_cbranch_execnz .LBB3068_139
; %bb.140:                              ;   in Loop: Header=BB3068_136 Depth=1
	s_or_b64 exec, exec, s[30:31]
	s_branch .LBB3068_135
.LBB3068_141:                           ;   in Loop: Header=BB3068_136 Depth=1
                                        ; implicit-def: $vgpr26
                                        ; implicit-def: $vgpr27
	s_cbranch_execz .LBB3068_136
; %bb.142:
	s_and_saveexec_b64 s[28:29], s[14:15]
	s_cbranch_execz .LBB3068_144
; %bb.143:
	s_add_i32 s2, s2, 64
	s_mov_b32 s3, 0
	s_lshl_b64 s[2:3], s[2:3], 3
	s_add_u32 s2, s24, s2
	v_add_u32_e32 v24, v23, v22
	v_mov_b32_e32 v25, 2
	s_addc_u32 s3, s25, s3
	v_mov_b32_e32 v26, 0
	global_store_dwordx2 v26, v[24:25], s[2:3] sc1
	ds_write_b64 v26, v[22:23] offset:28672
.LBB3068_144:
	s_or_b64 exec, exec, s[28:29]
	v_cmp_eq_u32_e32 vcc, 0, v0
	s_and_b64 exec, exec, vcc
	s_cbranch_execz .LBB3068_146
; %bb.145:
	v_mov_b32_e32 v22, 0
	ds_write_b32 v22, v23 offset:28
.LBB3068_146:
	s_or_b64 exec, exec, s[26:27]
	v_mov_b32_e32 v22, 0
	s_waitcnt lgkmcnt(0)
	s_barrier
	ds_read_b32 v25, v22 offset:28
	s_waitcnt lgkmcnt(0)
	s_barrier
	ds_read_b64 v[22:23], v22 offset:28672
	v_cndmask_b32_e64 v24, v63, v62, s[14:15]
	v_cmp_ne_u32_e32 vcc, 0, v0
	s_nop 1
	v_cndmask_b32_e32 v24, 0, v24, vcc
	v_add_u32_e32 v30, v25, v24
	s_branch .LBB3068_157
.LBB3068_147:
                                        ; implicit-def: $vgpr23
                                        ; implicit-def: $vgpr30
	s_cbranch_execz .LBB3068_157
; %bb.148:
	s_waitcnt lgkmcnt(0)
	v_mov_b32_dpp v22, v61 row_shr:1 row_mask:0xf bank_mask:0xf
	v_cndmask_b32_e64 v22, v22, 0, s[12:13]
	v_add_u32_e32 v22, v22, v61
	s_nop 1
	v_mov_b32_dpp v23, v22 row_shr:2 row_mask:0xf bank_mask:0xf
	v_cndmask_b32_e64 v23, 0, v23, s[10:11]
	v_add_u32_e32 v22, v22, v23
	s_nop 1
	;; [unrolled: 4-line block ×4, first 2 shown]
	v_mov_b32_dpp v23, v22 row_bcast:15 row_mask:0xf bank_mask:0xf
	v_cndmask_b32_e64 v23, v23, 0, s[4:5]
	v_add_u32_e32 v22, v22, v23
	s_nop 1
	v_mov_b32_dpp v23, v22 row_bcast:31 row_mask:0xf bank_mask:0xf
	v_cndmask_b32_e64 v23, 0, v23, s[0:1]
	v_add_u32_e32 v22, v22, v23
	s_and_saveexec_b64 s[0:1], s[16:17]
	s_cbranch_execz .LBB3068_150
; %bb.149:
	v_lshlrev_b32_e32 v23, 2, v60
	ds_write_b32 v23, v22
.LBB3068_150:
	s_or_b64 exec, exec, s[0:1]
	v_cmp_gt_u32_e32 vcc, 8, v0
	s_waitcnt lgkmcnt(0)
	s_barrier
	s_and_saveexec_b64 s[0:1], vcc
	s_cbranch_execz .LBB3068_152
; %bb.151:
	v_lshlrev_b32_e32 v23, 2, v0
	ds_read_b32 v24, v23
	v_and_b32_e32 v25, 7, v59
	v_cmp_ne_u32_e32 vcc, 0, v25
	s_waitcnt lgkmcnt(0)
	v_mov_b32_dpp v26, v24 row_shr:1 row_mask:0xf bank_mask:0xf
	v_cndmask_b32_e32 v26, 0, v26, vcc
	v_add_u32_e32 v24, v26, v24
	v_cmp_lt_u32_e32 vcc, 1, v25
	s_nop 0
	v_mov_b32_dpp v26, v24 row_shr:2 row_mask:0xf bank_mask:0xf
	v_cndmask_b32_e32 v26, 0, v26, vcc
	v_add_u32_e32 v24, v24, v26
	v_cmp_lt_u32_e32 vcc, 3, v25
	s_nop 0
	v_mov_b32_dpp v26, v24 row_shr:4 row_mask:0xf bank_mask:0xf
	v_cndmask_b32_e32 v25, 0, v26, vcc
	v_add_u32_e32 v24, v24, v25
	ds_write_b32 v23, v24
.LBB3068_152:
	s_or_b64 exec, exec, s[0:1]
	v_cmp_lt_u32_e32 vcc, 63, v0
	v_mov_b32_e32 v23, 0
	v_mov_b32_e32 v24, 0
	s_waitcnt lgkmcnt(0)
	s_barrier
	s_and_saveexec_b64 s[0:1], vcc
	s_cbranch_execz .LBB3068_154
; %bb.153:
	v_lshl_add_u32 v24, v60, 2, -4
	ds_read_b32 v24, v24
.LBB3068_154:
	s_or_b64 exec, exec, s[0:1]
	v_add_u32_e32 v25, -1, v59
	v_and_b32_e32 v26, 64, v59
	v_cmp_lt_i32_e32 vcc, v25, v26
	s_waitcnt lgkmcnt(0)
	v_add_u32_e32 v22, v24, v22
	v_cndmask_b32_e32 v25, v25, v59, vcc
	v_lshlrev_b32_e32 v25, 2, v25
	ds_bpermute_b32 v25, v25, v22
	ds_read_b32 v22, v23 offset:28
	v_cmp_eq_u32_e32 vcc, 0, v0
	s_and_saveexec_b64 s[0:1], vcc
	s_cbranch_execz .LBB3068_156
; %bb.155:
	v_mov_b32_e32 v26, 0
	v_mov_b32_e32 v23, 2
	s_waitcnt lgkmcnt(0)
	global_store_dwordx2 v26, v[22:23], s[24:25] offset:512 sc1
.LBB3068_156:
	s_or_b64 exec, exec, s[0:1]
	v_cmp_eq_u32_e64 s[0:1], 0, v59
	v_mov_b32_e32 v23, 0
	s_waitcnt lgkmcnt(0)
	v_cndmask_b32_e64 v24, v25, v24, s[0:1]
	v_cndmask_b32_e64 v30, v24, 0, vcc
	s_barrier
.LBB3068_157:
	v_add_u32_sdwa v59, v30, v20 dst_sel:DWORD dst_unused:UNUSED_PAD src0_sel:DWORD src1_sel:BYTE_0
	s_waitcnt lgkmcnt(0)
	v_add_u32_e32 v1, v22, v1
	v_sub_u32_e32 v30, v30, v23
	v_and_b32_e32 v68, 1, v20
	v_sub_u32_e32 v67, v1, v30
	v_cmp_eq_u32_e32 vcc, 1, v68
	v_lshrrev_b32_e32 v31, 8, v20
	v_add_u32_sdwa v60, v59, v20 dst_sel:DWORD dst_unused:UNUSED_PAD src0_sel:DWORD src1_sel:BYTE_1
	v_cndmask_b32_e32 v30, v67, v30, vcc
	v_lshlrev_b32_e32 v30, 1, v30
	ds_write_b16 v30, v10
	v_sub_u32_e32 v30, v59, v23
	v_sub_u32_e32 v59, v1, v30
	v_and_b32_e32 v31, 1, v31
	v_add_u32_e32 v59, 1, v59
	v_cmp_eq_u32_e32 vcc, 1, v31
	v_mov_b32_e32 v31, 1
	v_and_b32_sdwa v20, v31, v20 dst_sel:DWORD dst_unused:UNUSED_PAD src0_sel:DWORD src1_sel:WORD_1
	v_cndmask_b32_e32 v30, v59, v30, vcc
	v_lshlrev_b32_e32 v30, 1, v30
	ds_write_b16_d16_hi v30, v10
	v_sub_u32_e32 v10, v60, v23
	v_sub_u32_e32 v30, v1, v10
	v_add_u32_e32 v30, 2, v30
	v_cmp_eq_u32_e32 vcc, 1, v20
	v_add_u32_e32 v58, v60, v58
	v_add_u32_e32 v61, v58, v40
	v_cndmask_b32_e32 v10, v30, v10, vcc
	v_lshlrev_b32_e32 v10, 1, v10
	ds_write_b16 v10, v11
	v_sub_u32_e32 v10, v58, v23
	v_sub_u32_e32 v20, v1, v10
	v_and_b32_e32 v30, 1, v40
	v_add_u32_e32 v20, 3, v20
	v_cmp_eq_u32_e32 vcc, 1, v30
	v_add_u32_e32 v55, v61, v55
	v_lshrrev_b32_e32 v29, 8, v21
	v_cndmask_b32_e32 v10, v20, v10, vcc
	v_lshlrev_b32_e32 v10, 1, v10
	ds_write_b16_d16_hi v10, v11
	v_sub_u32_e32 v10, v61, v23
	v_sub_u32_e32 v11, v1, v10
	v_and_b32_e32 v20, 1, v21
	v_add_u32_e32 v11, 4, v11
	v_cmp_eq_u32_e32 vcc, 1, v20
	v_and_b32_e32 v20, 1, v29
	v_add_u32_e32 v56, v55, v56
	v_cndmask_b32_e32 v10, v11, v10, vcc
	v_lshlrev_b32_e32 v10, 1, v10
	ds_write_b16 v10, v12
	v_sub_u32_e32 v10, v55, v23
	v_sub_u32_e32 v11, v1, v10
	v_add_u32_e32 v11, 5, v11
	v_cmp_eq_u32_e32 vcc, 1, v20
	v_add_u32_e32 v57, v56, v57
	v_add_u32_e32 v62, v57, v39
	v_cndmask_b32_e32 v10, v11, v10, vcc
	v_lshlrev_b32_e32 v10, 1, v10
	ds_write_b16_d16_hi v10, v12
	v_sub_u32_e32 v10, v56, v23
	v_sub_u32_e32 v11, v1, v10
	v_and_b32_sdwa v12, v31, v21 dst_sel:DWORD dst_unused:UNUSED_PAD src0_sel:DWORD src1_sel:WORD_1
	v_add_u32_e32 v11, 6, v11
	v_cmp_eq_u32_e32 vcc, 1, v12
	v_and_b32_e32 v12, 1, v39
	v_add_u32_e32 v52, v62, v52
	v_cndmask_b32_e32 v10, v11, v10, vcc
	v_lshlrev_b32_e32 v10, 1, v10
	ds_write_b16 v10, v13
	v_sub_u32_e32 v10, v57, v23
	v_sub_u32_e32 v11, v1, v10
	v_add_u32_e32 v11, 7, v11
	v_cmp_eq_u32_e32 vcc, 1, v12
	v_and_b32_e32 v12, 1, v18
	v_lshrrev_b32_e32 v28, 8, v18
	v_cndmask_b32_e32 v10, v11, v10, vcc
	v_lshlrev_b32_e32 v10, 1, v10
	ds_write_b16_d16_hi v10, v13
	v_sub_u32_e32 v10, v62, v23
	v_sub_u32_e32 v11, v1, v10
	v_add_u32_e32 v11, 8, v11
	v_cmp_eq_u32_e32 vcc, 1, v12
	v_and_b32_e32 v12, 1, v28
	v_add_u32_e32 v53, v52, v53
	v_cndmask_b32_e32 v10, v11, v10, vcc
	v_lshlrev_b32_e32 v10, 1, v10
	ds_write_b16 v10, v6
	v_sub_u32_e32 v10, v52, v23
	v_sub_u32_e32 v11, v1, v10
	v_add_u32_e32 v11, 9, v11
	v_cmp_eq_u32_e32 vcc, 1, v12
	v_add_u32_e32 v54, v53, v54
	v_add_u32_e32 v63, v54, v38
	v_cndmask_b32_e32 v10, v11, v10, vcc
	v_lshlrev_b32_e32 v10, 1, v10
	ds_write_b16_d16_hi v10, v6
	v_sub_u32_e32 v6, v53, v23
	v_sub_u32_e32 v10, v1, v6
	v_and_b32_sdwa v11, v31, v18 dst_sel:DWORD dst_unused:UNUSED_PAD src0_sel:DWORD src1_sel:WORD_1
	v_add_u32_e32 v10, 10, v10
	v_cmp_eq_u32_e32 vcc, 1, v11
	v_and_b32_e32 v11, 1, v38
	v_add_u32_e32 v49, v63, v49
	v_cndmask_b32_e32 v6, v10, v6, vcc
	v_lshlrev_b32_e32 v6, 1, v6
	ds_write_b16 v6, v7
	v_sub_u32_e32 v6, v54, v23
	v_sub_u32_e32 v10, v1, v6
	v_add_u32_e32 v10, 11, v10
	v_cmp_eq_u32_e32 vcc, 1, v11
	v_lshrrev_b32_e32 v27, 8, v19
	v_add_u32_e32 v50, v49, v50
	v_cndmask_b32_e32 v6, v10, v6, vcc
	v_lshlrev_b32_e32 v6, 1, v6
	ds_write_b16_d16_hi v6, v7
	v_sub_u32_e32 v6, v63, v23
	v_sub_u32_e32 v7, v1, v6
	v_and_b32_e32 v10, 1, v19
	v_add_u32_e32 v7, 12, v7
	v_cmp_eq_u32_e32 vcc, 1, v10
	v_and_b32_e32 v10, 1, v27
	v_add_u32_e32 v51, v50, v51
	v_cndmask_b32_e32 v6, v7, v6, vcc
	v_lshlrev_b32_e32 v6, 1, v6
	ds_write_b16 v6, v8
	v_sub_u32_e32 v6, v49, v23
	v_sub_u32_e32 v7, v1, v6
	v_add_u32_e32 v7, 13, v7
	v_cmp_eq_u32_e32 vcc, 1, v10
	v_add_u32_e32 v64, v51, v37
	v_add_u32_e32 v46, v64, v46
	v_cndmask_b32_e32 v6, v7, v6, vcc
	v_lshlrev_b32_e32 v6, 1, v6
	ds_write_b16_d16_hi v6, v8
	v_sub_u32_e32 v6, v50, v23
	v_sub_u32_e32 v7, v1, v6
	v_and_b32_sdwa v8, v31, v19 dst_sel:DWORD dst_unused:UNUSED_PAD src0_sel:DWORD src1_sel:WORD_1
	v_add_u32_e32 v7, 14, v7
	v_cmp_eq_u32_e32 vcc, 1, v8
	v_and_b32_e32 v8, 1, v37
	v_lshrrev_b32_e32 v26, 8, v16
	v_cndmask_b32_e32 v6, v7, v6, vcc
	v_lshlrev_b32_e32 v6, 1, v6
	ds_write_b16 v6, v9
	v_sub_u32_e32 v6, v51, v23
	v_sub_u32_e32 v7, v1, v6
	v_add_u32_e32 v7, 15, v7
	v_cmp_eq_u32_e32 vcc, 1, v8
	v_and_b32_e32 v8, 1, v16
	v_add_u32_e32 v47, v46, v47
	v_cndmask_b32_e32 v6, v7, v6, vcc
	v_lshlrev_b32_e32 v6, 1, v6
	ds_write_b16_d16_hi v6, v9
	v_sub_u32_e32 v6, v64, v23
	v_sub_u32_e32 v7, v1, v6
	v_add_u32_e32 v7, 16, v7
	v_cmp_eq_u32_e32 vcc, 1, v8
	v_and_b32_e32 v8, 1, v26
	v_add_u32_e32 v48, v47, v48
	v_cndmask_b32_e32 v6, v7, v6, vcc
	v_lshlrev_b32_e32 v6, 1, v6
	ds_write_b16 v6, v2
	v_sub_u32_e32 v6, v46, v23
	v_sub_u32_e32 v7, v1, v6
	v_add_u32_e32 v7, 17, v7
	v_cmp_eq_u32_e32 vcc, 1, v8
	v_add_u32_e32 v65, v48, v36
	v_add_u32_e32 v43, v65, v43
	v_cndmask_b32_e32 v6, v7, v6, vcc
	v_lshlrev_b32_e32 v6, 1, v6
	ds_write_b16_d16_hi v6, v2
	v_sub_u32_e32 v2, v47, v23
	v_sub_u32_e32 v6, v1, v2
	v_and_b32_sdwa v7, v31, v16 dst_sel:DWORD dst_unused:UNUSED_PAD src0_sel:DWORD src1_sel:WORD_1
	v_add_u32_e32 v6, 18, v6
	v_cmp_eq_u32_e32 vcc, 1, v7
	v_and_b32_e32 v7, 1, v36
	v_lshrrev_b32_e32 v25, 8, v17
	v_cndmask_b32_e32 v2, v6, v2, vcc
	v_lshlrev_b32_e32 v2, 1, v2
	ds_write_b16 v2, v3
	v_sub_u32_e32 v2, v48, v23
	v_sub_u32_e32 v6, v1, v2
	v_add_u32_e32 v6, 19, v6
	v_cmp_eq_u32_e32 vcc, 1, v7
	v_add_u32_e32 v44, v43, v44
	v_add_u32_e32 v45, v44, v45
	v_cndmask_b32_e32 v2, v6, v2, vcc
	v_lshlrev_b32_e32 v2, 1, v2
	ds_write_b16_d16_hi v2, v3
	v_sub_u32_e32 v2, v65, v23
	v_sub_u32_e32 v3, v1, v2
	v_and_b32_e32 v6, 1, v17
	v_add_u32_e32 v3, 20, v3
	v_cmp_eq_u32_e32 vcc, 1, v6
	v_and_b32_e32 v6, 1, v25
	v_add_u32_e32 v66, v45, v35
	v_cndmask_b32_e32 v2, v3, v2, vcc
	v_lshlrev_b32_e32 v2, 1, v2
	ds_write_b16 v2, v4
	v_sub_u32_e32 v2, v43, v23
	v_sub_u32_e32 v3, v1, v2
	v_add_u32_e32 v3, 21, v3
	v_cmp_eq_u32_e32 vcc, 1, v6
	v_add_u32_e32 v41, v66, v41
	v_lshrrev_b32_e32 v24, 8, v33
	v_cndmask_b32_e32 v2, v3, v2, vcc
	v_lshlrev_b32_e32 v2, 1, v2
	ds_write_b16_d16_hi v2, v4
	v_sub_u32_e32 v2, v44, v23
	v_sub_u32_e32 v3, v1, v2
	v_and_b32_sdwa v4, v31, v17 dst_sel:DWORD dst_unused:UNUSED_PAD src0_sel:DWORD src1_sel:WORD_1
	v_add_u32_e32 v3, 22, v3
	v_cmp_eq_u32_e32 vcc, 1, v4
	v_and_b32_e32 v4, 1, v35
	v_add_u32_e32 v42, v41, v42
	v_cndmask_b32_e32 v2, v3, v2, vcc
	v_lshlrev_b32_e32 v2, 1, v2
	ds_write_b16 v2, v5
	v_sub_u32_e32 v2, v45, v23
	v_sub_u32_e32 v3, v1, v2
	v_add_u32_e32 v3, 23, v3
	v_cmp_eq_u32_e32 vcc, 1, v4
	v_and_b32_e32 v4, 1, v33
	s_nop 0
	v_cndmask_b32_e32 v2, v3, v2, vcc
	v_lshlrev_b32_e32 v2, 1, v2
	ds_write_b16_d16_hi v2, v5
	v_sub_u32_e32 v2, v66, v23
	v_sub_u32_e32 v3, v1, v2
	v_add_u32_e32 v3, 24, v3
	v_cmp_eq_u32_e32 vcc, 1, v4
	v_and_b32_e32 v4, 1, v24
	s_nop 0
	v_cndmask_b32_e32 v2, v3, v2, vcc
	v_lshlrev_b32_e32 v2, 1, v2
	ds_write_b16 v2, v14
	v_sub_u32_e32 v2, v41, v23
	v_sub_u32_e32 v3, v1, v2
	v_add_u32_e32 v3, 25, v3
	v_cmp_eq_u32_e32 vcc, 1, v4
	v_and_b32_sdwa v4, v31, v33 dst_sel:DWORD dst_unused:UNUSED_PAD src0_sel:DWORD src1_sel:WORD_1
	s_nop 0
	v_cndmask_b32_e32 v2, v3, v2, vcc
	v_lshlrev_b32_e32 v2, 1, v2
	ds_write_b16_d16_hi v2, v14
	v_sub_u32_e32 v2, v42, v23
	v_sub_u32_e32 v3, v1, v2
	v_add_u32_e32 v3, 26, v3
	v_cmp_eq_u32_e32 vcc, 1, v4
	s_nop 1
	v_cndmask_b32_e32 v2, v3, v2, vcc
	v_lshlrev_b32_e32 v2, 1, v2
	ds_write_b16 v2, v15
	v_sub_u32_e32 v2, v34, v23
	v_add_u32_e32 v2, v42, v2
	v_sub_u32_e32 v1, v1, v2
	v_and_b32_e32 v3, 1, v32
	v_add_u32_e32 v1, 27, v1
	v_cmp_eq_u32_e32 vcc, 1, v3
	s_nop 1
	v_cndmask_b32_e32 v1, v1, v2, vcc
	v_cmp_eq_u32_e32 vcc, 0, v0
	v_lshlrev_b32_e32 v1, 1, v1
	s_and_b64 s[0:1], vcc, s[22:23]
	ds_write_b16_d16_hi v1, v15
	s_waitcnt lgkmcnt(0)
	s_barrier
	s_and_saveexec_b64 s[2:3], s[0:1]
	s_cbranch_execz .LBB3068_159
; %bb.158:
	v_mov_b32_e32 v1, 0
	v_mov_b32_e32 v0, v22
	v_lshl_add_u64 v[2:3], s[18:19], 0, v[0:1]
	v_mov_b32_e32 v0, v23
	v_lshl_add_u64 v[2:3], v[2:3], 0, v[0:1]
	global_store_dwordx2 v1, v[2:3], s[20:21]
.LBB3068_159:
	s_endpgm
	.section	.rodata,"a",@progbits
	.p2align	6, 0x0
	.amdhsa_kernel _ZN7rocprim17ROCPRIM_400000_NS6detail17trampoline_kernelINS0_14default_configENS1_25partition_config_selectorILNS1_17partition_subalgoE1EtNS0_10empty_typeEbEEZZNS1_14partition_implILS5_1ELb0ES3_jN6thrust23THRUST_200600_302600_NS6detail15normal_iteratorINSA_10device_ptrItEEEEPS6_NSA_18transform_iteratorI7is_evenItESF_NSA_11use_defaultESK_EENS0_5tupleIJNSA_16discard_iteratorISK_EESO_EEENSM_IJSG_SG_EEES6_PlJS6_EEE10hipError_tPvRmT3_T4_T5_T6_T7_T9_mT8_P12ihipStream_tbDpT10_ENKUlT_T0_E_clISt17integral_constantIbLb0EES1B_EEDaS16_S17_EUlS16_E_NS1_11comp_targetILNS1_3genE5ELNS1_11target_archE942ELNS1_3gpuE9ELNS1_3repE0EEENS1_30default_config_static_selectorELNS0_4arch9wavefront6targetE1EEEvT1_
		.amdhsa_group_segment_fixed_size 28680
		.amdhsa_private_segment_fixed_size 0
		.amdhsa_kernarg_size 144
		.amdhsa_user_sgpr_count 2
		.amdhsa_user_sgpr_dispatch_ptr 0
		.amdhsa_user_sgpr_queue_ptr 0
		.amdhsa_user_sgpr_kernarg_segment_ptr 1
		.amdhsa_user_sgpr_dispatch_id 0
		.amdhsa_user_sgpr_kernarg_preload_length 0
		.amdhsa_user_sgpr_kernarg_preload_offset 0
		.amdhsa_user_sgpr_private_segment_size 0
		.amdhsa_uses_dynamic_stack 0
		.amdhsa_enable_private_segment 0
		.amdhsa_system_sgpr_workgroup_id_x 1
		.amdhsa_system_sgpr_workgroup_id_y 0
		.amdhsa_system_sgpr_workgroup_id_z 0
		.amdhsa_system_sgpr_workgroup_info 0
		.amdhsa_system_vgpr_workitem_id 0
		.amdhsa_next_free_vgpr 78
		.amdhsa_next_free_sgpr 36
		.amdhsa_accum_offset 80
		.amdhsa_reserve_vcc 1
		.amdhsa_float_round_mode_32 0
		.amdhsa_float_round_mode_16_64 0
		.amdhsa_float_denorm_mode_32 3
		.amdhsa_float_denorm_mode_16_64 3
		.amdhsa_dx10_clamp 1
		.amdhsa_ieee_mode 1
		.amdhsa_fp16_overflow 0
		.amdhsa_tg_split 0
		.amdhsa_exception_fp_ieee_invalid_op 0
		.amdhsa_exception_fp_denorm_src 0
		.amdhsa_exception_fp_ieee_div_zero 0
		.amdhsa_exception_fp_ieee_overflow 0
		.amdhsa_exception_fp_ieee_underflow 0
		.amdhsa_exception_fp_ieee_inexact 0
		.amdhsa_exception_int_div_zero 0
	.end_amdhsa_kernel
	.section	.text._ZN7rocprim17ROCPRIM_400000_NS6detail17trampoline_kernelINS0_14default_configENS1_25partition_config_selectorILNS1_17partition_subalgoE1EtNS0_10empty_typeEbEEZZNS1_14partition_implILS5_1ELb0ES3_jN6thrust23THRUST_200600_302600_NS6detail15normal_iteratorINSA_10device_ptrItEEEEPS6_NSA_18transform_iteratorI7is_evenItESF_NSA_11use_defaultESK_EENS0_5tupleIJNSA_16discard_iteratorISK_EESO_EEENSM_IJSG_SG_EEES6_PlJS6_EEE10hipError_tPvRmT3_T4_T5_T6_T7_T9_mT8_P12ihipStream_tbDpT10_ENKUlT_T0_E_clISt17integral_constantIbLb0EES1B_EEDaS16_S17_EUlS16_E_NS1_11comp_targetILNS1_3genE5ELNS1_11target_archE942ELNS1_3gpuE9ELNS1_3repE0EEENS1_30default_config_static_selectorELNS0_4arch9wavefront6targetE1EEEvT1_,"axG",@progbits,_ZN7rocprim17ROCPRIM_400000_NS6detail17trampoline_kernelINS0_14default_configENS1_25partition_config_selectorILNS1_17partition_subalgoE1EtNS0_10empty_typeEbEEZZNS1_14partition_implILS5_1ELb0ES3_jN6thrust23THRUST_200600_302600_NS6detail15normal_iteratorINSA_10device_ptrItEEEEPS6_NSA_18transform_iteratorI7is_evenItESF_NSA_11use_defaultESK_EENS0_5tupleIJNSA_16discard_iteratorISK_EESO_EEENSM_IJSG_SG_EEES6_PlJS6_EEE10hipError_tPvRmT3_T4_T5_T6_T7_T9_mT8_P12ihipStream_tbDpT10_ENKUlT_T0_E_clISt17integral_constantIbLb0EES1B_EEDaS16_S17_EUlS16_E_NS1_11comp_targetILNS1_3genE5ELNS1_11target_archE942ELNS1_3gpuE9ELNS1_3repE0EEENS1_30default_config_static_selectorELNS0_4arch9wavefront6targetE1EEEvT1_,comdat
.Lfunc_end3068:
	.size	_ZN7rocprim17ROCPRIM_400000_NS6detail17trampoline_kernelINS0_14default_configENS1_25partition_config_selectorILNS1_17partition_subalgoE1EtNS0_10empty_typeEbEEZZNS1_14partition_implILS5_1ELb0ES3_jN6thrust23THRUST_200600_302600_NS6detail15normal_iteratorINSA_10device_ptrItEEEEPS6_NSA_18transform_iteratorI7is_evenItESF_NSA_11use_defaultESK_EENS0_5tupleIJNSA_16discard_iteratorISK_EESO_EEENSM_IJSG_SG_EEES6_PlJS6_EEE10hipError_tPvRmT3_T4_T5_T6_T7_T9_mT8_P12ihipStream_tbDpT10_ENKUlT_T0_E_clISt17integral_constantIbLb0EES1B_EEDaS16_S17_EUlS16_E_NS1_11comp_targetILNS1_3genE5ELNS1_11target_archE942ELNS1_3gpuE9ELNS1_3repE0EEENS1_30default_config_static_selectorELNS0_4arch9wavefront6targetE1EEEvT1_, .Lfunc_end3068-_ZN7rocprim17ROCPRIM_400000_NS6detail17trampoline_kernelINS0_14default_configENS1_25partition_config_selectorILNS1_17partition_subalgoE1EtNS0_10empty_typeEbEEZZNS1_14partition_implILS5_1ELb0ES3_jN6thrust23THRUST_200600_302600_NS6detail15normal_iteratorINSA_10device_ptrItEEEEPS6_NSA_18transform_iteratorI7is_evenItESF_NSA_11use_defaultESK_EENS0_5tupleIJNSA_16discard_iteratorISK_EESO_EEENSM_IJSG_SG_EEES6_PlJS6_EEE10hipError_tPvRmT3_T4_T5_T6_T7_T9_mT8_P12ihipStream_tbDpT10_ENKUlT_T0_E_clISt17integral_constantIbLb0EES1B_EEDaS16_S17_EUlS16_E_NS1_11comp_targetILNS1_3genE5ELNS1_11target_archE942ELNS1_3gpuE9ELNS1_3repE0EEENS1_30default_config_static_selectorELNS0_4arch9wavefront6targetE1EEEvT1_
                                        ; -- End function
	.section	.AMDGPU.csdata,"",@progbits
; Kernel info:
; codeLenInByte = 8560
; NumSgprs: 42
; NumVgprs: 78
; NumAgprs: 0
; TotalNumVgprs: 78
; ScratchSize: 0
; MemoryBound: 0
; FloatMode: 240
; IeeeMode: 1
; LDSByteSize: 28680 bytes/workgroup (compile time only)
; SGPRBlocks: 5
; VGPRBlocks: 9
; NumSGPRsForWavesPerEU: 42
; NumVGPRsForWavesPerEU: 78
; AccumOffset: 80
; Occupancy: 4
; WaveLimiterHint : 1
; COMPUTE_PGM_RSRC2:SCRATCH_EN: 0
; COMPUTE_PGM_RSRC2:USER_SGPR: 2
; COMPUTE_PGM_RSRC2:TRAP_HANDLER: 0
; COMPUTE_PGM_RSRC2:TGID_X_EN: 1
; COMPUTE_PGM_RSRC2:TGID_Y_EN: 0
; COMPUTE_PGM_RSRC2:TGID_Z_EN: 0
; COMPUTE_PGM_RSRC2:TIDIG_COMP_CNT: 0
; COMPUTE_PGM_RSRC3_GFX90A:ACCUM_OFFSET: 19
; COMPUTE_PGM_RSRC3_GFX90A:TG_SPLIT: 0
	.section	.text._ZN7rocprim17ROCPRIM_400000_NS6detail17trampoline_kernelINS0_14default_configENS1_25partition_config_selectorILNS1_17partition_subalgoE1EtNS0_10empty_typeEbEEZZNS1_14partition_implILS5_1ELb0ES3_jN6thrust23THRUST_200600_302600_NS6detail15normal_iteratorINSA_10device_ptrItEEEEPS6_NSA_18transform_iteratorI7is_evenItESF_NSA_11use_defaultESK_EENS0_5tupleIJNSA_16discard_iteratorISK_EESO_EEENSM_IJSG_SG_EEES6_PlJS6_EEE10hipError_tPvRmT3_T4_T5_T6_T7_T9_mT8_P12ihipStream_tbDpT10_ENKUlT_T0_E_clISt17integral_constantIbLb0EES1B_EEDaS16_S17_EUlS16_E_NS1_11comp_targetILNS1_3genE4ELNS1_11target_archE910ELNS1_3gpuE8ELNS1_3repE0EEENS1_30default_config_static_selectorELNS0_4arch9wavefront6targetE1EEEvT1_,"axG",@progbits,_ZN7rocprim17ROCPRIM_400000_NS6detail17trampoline_kernelINS0_14default_configENS1_25partition_config_selectorILNS1_17partition_subalgoE1EtNS0_10empty_typeEbEEZZNS1_14partition_implILS5_1ELb0ES3_jN6thrust23THRUST_200600_302600_NS6detail15normal_iteratorINSA_10device_ptrItEEEEPS6_NSA_18transform_iteratorI7is_evenItESF_NSA_11use_defaultESK_EENS0_5tupleIJNSA_16discard_iteratorISK_EESO_EEENSM_IJSG_SG_EEES6_PlJS6_EEE10hipError_tPvRmT3_T4_T5_T6_T7_T9_mT8_P12ihipStream_tbDpT10_ENKUlT_T0_E_clISt17integral_constantIbLb0EES1B_EEDaS16_S17_EUlS16_E_NS1_11comp_targetILNS1_3genE4ELNS1_11target_archE910ELNS1_3gpuE8ELNS1_3repE0EEENS1_30default_config_static_selectorELNS0_4arch9wavefront6targetE1EEEvT1_,comdat
	.protected	_ZN7rocprim17ROCPRIM_400000_NS6detail17trampoline_kernelINS0_14default_configENS1_25partition_config_selectorILNS1_17partition_subalgoE1EtNS0_10empty_typeEbEEZZNS1_14partition_implILS5_1ELb0ES3_jN6thrust23THRUST_200600_302600_NS6detail15normal_iteratorINSA_10device_ptrItEEEEPS6_NSA_18transform_iteratorI7is_evenItESF_NSA_11use_defaultESK_EENS0_5tupleIJNSA_16discard_iteratorISK_EESO_EEENSM_IJSG_SG_EEES6_PlJS6_EEE10hipError_tPvRmT3_T4_T5_T6_T7_T9_mT8_P12ihipStream_tbDpT10_ENKUlT_T0_E_clISt17integral_constantIbLb0EES1B_EEDaS16_S17_EUlS16_E_NS1_11comp_targetILNS1_3genE4ELNS1_11target_archE910ELNS1_3gpuE8ELNS1_3repE0EEENS1_30default_config_static_selectorELNS0_4arch9wavefront6targetE1EEEvT1_ ; -- Begin function _ZN7rocprim17ROCPRIM_400000_NS6detail17trampoline_kernelINS0_14default_configENS1_25partition_config_selectorILNS1_17partition_subalgoE1EtNS0_10empty_typeEbEEZZNS1_14partition_implILS5_1ELb0ES3_jN6thrust23THRUST_200600_302600_NS6detail15normal_iteratorINSA_10device_ptrItEEEEPS6_NSA_18transform_iteratorI7is_evenItESF_NSA_11use_defaultESK_EENS0_5tupleIJNSA_16discard_iteratorISK_EESO_EEENSM_IJSG_SG_EEES6_PlJS6_EEE10hipError_tPvRmT3_T4_T5_T6_T7_T9_mT8_P12ihipStream_tbDpT10_ENKUlT_T0_E_clISt17integral_constantIbLb0EES1B_EEDaS16_S17_EUlS16_E_NS1_11comp_targetILNS1_3genE4ELNS1_11target_archE910ELNS1_3gpuE8ELNS1_3repE0EEENS1_30default_config_static_selectorELNS0_4arch9wavefront6targetE1EEEvT1_
	.globl	_ZN7rocprim17ROCPRIM_400000_NS6detail17trampoline_kernelINS0_14default_configENS1_25partition_config_selectorILNS1_17partition_subalgoE1EtNS0_10empty_typeEbEEZZNS1_14partition_implILS5_1ELb0ES3_jN6thrust23THRUST_200600_302600_NS6detail15normal_iteratorINSA_10device_ptrItEEEEPS6_NSA_18transform_iteratorI7is_evenItESF_NSA_11use_defaultESK_EENS0_5tupleIJNSA_16discard_iteratorISK_EESO_EEENSM_IJSG_SG_EEES6_PlJS6_EEE10hipError_tPvRmT3_T4_T5_T6_T7_T9_mT8_P12ihipStream_tbDpT10_ENKUlT_T0_E_clISt17integral_constantIbLb0EES1B_EEDaS16_S17_EUlS16_E_NS1_11comp_targetILNS1_3genE4ELNS1_11target_archE910ELNS1_3gpuE8ELNS1_3repE0EEENS1_30default_config_static_selectorELNS0_4arch9wavefront6targetE1EEEvT1_
	.p2align	8
	.type	_ZN7rocprim17ROCPRIM_400000_NS6detail17trampoline_kernelINS0_14default_configENS1_25partition_config_selectorILNS1_17partition_subalgoE1EtNS0_10empty_typeEbEEZZNS1_14partition_implILS5_1ELb0ES3_jN6thrust23THRUST_200600_302600_NS6detail15normal_iteratorINSA_10device_ptrItEEEEPS6_NSA_18transform_iteratorI7is_evenItESF_NSA_11use_defaultESK_EENS0_5tupleIJNSA_16discard_iteratorISK_EESO_EEENSM_IJSG_SG_EEES6_PlJS6_EEE10hipError_tPvRmT3_T4_T5_T6_T7_T9_mT8_P12ihipStream_tbDpT10_ENKUlT_T0_E_clISt17integral_constantIbLb0EES1B_EEDaS16_S17_EUlS16_E_NS1_11comp_targetILNS1_3genE4ELNS1_11target_archE910ELNS1_3gpuE8ELNS1_3repE0EEENS1_30default_config_static_selectorELNS0_4arch9wavefront6targetE1EEEvT1_,@function
_ZN7rocprim17ROCPRIM_400000_NS6detail17trampoline_kernelINS0_14default_configENS1_25partition_config_selectorILNS1_17partition_subalgoE1EtNS0_10empty_typeEbEEZZNS1_14partition_implILS5_1ELb0ES3_jN6thrust23THRUST_200600_302600_NS6detail15normal_iteratorINSA_10device_ptrItEEEEPS6_NSA_18transform_iteratorI7is_evenItESF_NSA_11use_defaultESK_EENS0_5tupleIJNSA_16discard_iteratorISK_EESO_EEENSM_IJSG_SG_EEES6_PlJS6_EEE10hipError_tPvRmT3_T4_T5_T6_T7_T9_mT8_P12ihipStream_tbDpT10_ENKUlT_T0_E_clISt17integral_constantIbLb0EES1B_EEDaS16_S17_EUlS16_E_NS1_11comp_targetILNS1_3genE4ELNS1_11target_archE910ELNS1_3gpuE8ELNS1_3repE0EEENS1_30default_config_static_selectorELNS0_4arch9wavefront6targetE1EEEvT1_: ; @_ZN7rocprim17ROCPRIM_400000_NS6detail17trampoline_kernelINS0_14default_configENS1_25partition_config_selectorILNS1_17partition_subalgoE1EtNS0_10empty_typeEbEEZZNS1_14partition_implILS5_1ELb0ES3_jN6thrust23THRUST_200600_302600_NS6detail15normal_iteratorINSA_10device_ptrItEEEEPS6_NSA_18transform_iteratorI7is_evenItESF_NSA_11use_defaultESK_EENS0_5tupleIJNSA_16discard_iteratorISK_EESO_EEENSM_IJSG_SG_EEES6_PlJS6_EEE10hipError_tPvRmT3_T4_T5_T6_T7_T9_mT8_P12ihipStream_tbDpT10_ENKUlT_T0_E_clISt17integral_constantIbLb0EES1B_EEDaS16_S17_EUlS16_E_NS1_11comp_targetILNS1_3genE4ELNS1_11target_archE910ELNS1_3gpuE8ELNS1_3repE0EEENS1_30default_config_static_selectorELNS0_4arch9wavefront6targetE1EEEvT1_
; %bb.0:
	.section	.rodata,"a",@progbits
	.p2align	6, 0x0
	.amdhsa_kernel _ZN7rocprim17ROCPRIM_400000_NS6detail17trampoline_kernelINS0_14default_configENS1_25partition_config_selectorILNS1_17partition_subalgoE1EtNS0_10empty_typeEbEEZZNS1_14partition_implILS5_1ELb0ES3_jN6thrust23THRUST_200600_302600_NS6detail15normal_iteratorINSA_10device_ptrItEEEEPS6_NSA_18transform_iteratorI7is_evenItESF_NSA_11use_defaultESK_EENS0_5tupleIJNSA_16discard_iteratorISK_EESO_EEENSM_IJSG_SG_EEES6_PlJS6_EEE10hipError_tPvRmT3_T4_T5_T6_T7_T9_mT8_P12ihipStream_tbDpT10_ENKUlT_T0_E_clISt17integral_constantIbLb0EES1B_EEDaS16_S17_EUlS16_E_NS1_11comp_targetILNS1_3genE4ELNS1_11target_archE910ELNS1_3gpuE8ELNS1_3repE0EEENS1_30default_config_static_selectorELNS0_4arch9wavefront6targetE1EEEvT1_
		.amdhsa_group_segment_fixed_size 0
		.amdhsa_private_segment_fixed_size 0
		.amdhsa_kernarg_size 144
		.amdhsa_user_sgpr_count 2
		.amdhsa_user_sgpr_dispatch_ptr 0
		.amdhsa_user_sgpr_queue_ptr 0
		.amdhsa_user_sgpr_kernarg_segment_ptr 1
		.amdhsa_user_sgpr_dispatch_id 0
		.amdhsa_user_sgpr_kernarg_preload_length 0
		.amdhsa_user_sgpr_kernarg_preload_offset 0
		.amdhsa_user_sgpr_private_segment_size 0
		.amdhsa_uses_dynamic_stack 0
		.amdhsa_enable_private_segment 0
		.amdhsa_system_sgpr_workgroup_id_x 1
		.amdhsa_system_sgpr_workgroup_id_y 0
		.amdhsa_system_sgpr_workgroup_id_z 0
		.amdhsa_system_sgpr_workgroup_info 0
		.amdhsa_system_vgpr_workitem_id 0
		.amdhsa_next_free_vgpr 1
		.amdhsa_next_free_sgpr 0
		.amdhsa_accum_offset 4
		.amdhsa_reserve_vcc 0
		.amdhsa_float_round_mode_32 0
		.amdhsa_float_round_mode_16_64 0
		.amdhsa_float_denorm_mode_32 3
		.amdhsa_float_denorm_mode_16_64 3
		.amdhsa_dx10_clamp 1
		.amdhsa_ieee_mode 1
		.amdhsa_fp16_overflow 0
		.amdhsa_tg_split 0
		.amdhsa_exception_fp_ieee_invalid_op 0
		.amdhsa_exception_fp_denorm_src 0
		.amdhsa_exception_fp_ieee_div_zero 0
		.amdhsa_exception_fp_ieee_overflow 0
		.amdhsa_exception_fp_ieee_underflow 0
		.amdhsa_exception_fp_ieee_inexact 0
		.amdhsa_exception_int_div_zero 0
	.end_amdhsa_kernel
	.section	.text._ZN7rocprim17ROCPRIM_400000_NS6detail17trampoline_kernelINS0_14default_configENS1_25partition_config_selectorILNS1_17partition_subalgoE1EtNS0_10empty_typeEbEEZZNS1_14partition_implILS5_1ELb0ES3_jN6thrust23THRUST_200600_302600_NS6detail15normal_iteratorINSA_10device_ptrItEEEEPS6_NSA_18transform_iteratorI7is_evenItESF_NSA_11use_defaultESK_EENS0_5tupleIJNSA_16discard_iteratorISK_EESO_EEENSM_IJSG_SG_EEES6_PlJS6_EEE10hipError_tPvRmT3_T4_T5_T6_T7_T9_mT8_P12ihipStream_tbDpT10_ENKUlT_T0_E_clISt17integral_constantIbLb0EES1B_EEDaS16_S17_EUlS16_E_NS1_11comp_targetILNS1_3genE4ELNS1_11target_archE910ELNS1_3gpuE8ELNS1_3repE0EEENS1_30default_config_static_selectorELNS0_4arch9wavefront6targetE1EEEvT1_,"axG",@progbits,_ZN7rocprim17ROCPRIM_400000_NS6detail17trampoline_kernelINS0_14default_configENS1_25partition_config_selectorILNS1_17partition_subalgoE1EtNS0_10empty_typeEbEEZZNS1_14partition_implILS5_1ELb0ES3_jN6thrust23THRUST_200600_302600_NS6detail15normal_iteratorINSA_10device_ptrItEEEEPS6_NSA_18transform_iteratorI7is_evenItESF_NSA_11use_defaultESK_EENS0_5tupleIJNSA_16discard_iteratorISK_EESO_EEENSM_IJSG_SG_EEES6_PlJS6_EEE10hipError_tPvRmT3_T4_T5_T6_T7_T9_mT8_P12ihipStream_tbDpT10_ENKUlT_T0_E_clISt17integral_constantIbLb0EES1B_EEDaS16_S17_EUlS16_E_NS1_11comp_targetILNS1_3genE4ELNS1_11target_archE910ELNS1_3gpuE8ELNS1_3repE0EEENS1_30default_config_static_selectorELNS0_4arch9wavefront6targetE1EEEvT1_,comdat
.Lfunc_end3069:
	.size	_ZN7rocprim17ROCPRIM_400000_NS6detail17trampoline_kernelINS0_14default_configENS1_25partition_config_selectorILNS1_17partition_subalgoE1EtNS0_10empty_typeEbEEZZNS1_14partition_implILS5_1ELb0ES3_jN6thrust23THRUST_200600_302600_NS6detail15normal_iteratorINSA_10device_ptrItEEEEPS6_NSA_18transform_iteratorI7is_evenItESF_NSA_11use_defaultESK_EENS0_5tupleIJNSA_16discard_iteratorISK_EESO_EEENSM_IJSG_SG_EEES6_PlJS6_EEE10hipError_tPvRmT3_T4_T5_T6_T7_T9_mT8_P12ihipStream_tbDpT10_ENKUlT_T0_E_clISt17integral_constantIbLb0EES1B_EEDaS16_S17_EUlS16_E_NS1_11comp_targetILNS1_3genE4ELNS1_11target_archE910ELNS1_3gpuE8ELNS1_3repE0EEENS1_30default_config_static_selectorELNS0_4arch9wavefront6targetE1EEEvT1_, .Lfunc_end3069-_ZN7rocprim17ROCPRIM_400000_NS6detail17trampoline_kernelINS0_14default_configENS1_25partition_config_selectorILNS1_17partition_subalgoE1EtNS0_10empty_typeEbEEZZNS1_14partition_implILS5_1ELb0ES3_jN6thrust23THRUST_200600_302600_NS6detail15normal_iteratorINSA_10device_ptrItEEEEPS6_NSA_18transform_iteratorI7is_evenItESF_NSA_11use_defaultESK_EENS0_5tupleIJNSA_16discard_iteratorISK_EESO_EEENSM_IJSG_SG_EEES6_PlJS6_EEE10hipError_tPvRmT3_T4_T5_T6_T7_T9_mT8_P12ihipStream_tbDpT10_ENKUlT_T0_E_clISt17integral_constantIbLb0EES1B_EEDaS16_S17_EUlS16_E_NS1_11comp_targetILNS1_3genE4ELNS1_11target_archE910ELNS1_3gpuE8ELNS1_3repE0EEENS1_30default_config_static_selectorELNS0_4arch9wavefront6targetE1EEEvT1_
                                        ; -- End function
	.section	.AMDGPU.csdata,"",@progbits
; Kernel info:
; codeLenInByte = 0
; NumSgprs: 6
; NumVgprs: 0
; NumAgprs: 0
; TotalNumVgprs: 0
; ScratchSize: 0
; MemoryBound: 0
; FloatMode: 240
; IeeeMode: 1
; LDSByteSize: 0 bytes/workgroup (compile time only)
; SGPRBlocks: 0
; VGPRBlocks: 0
; NumSGPRsForWavesPerEU: 6
; NumVGPRsForWavesPerEU: 1
; AccumOffset: 4
; Occupancy: 8
; WaveLimiterHint : 0
; COMPUTE_PGM_RSRC2:SCRATCH_EN: 0
; COMPUTE_PGM_RSRC2:USER_SGPR: 2
; COMPUTE_PGM_RSRC2:TRAP_HANDLER: 0
; COMPUTE_PGM_RSRC2:TGID_X_EN: 1
; COMPUTE_PGM_RSRC2:TGID_Y_EN: 0
; COMPUTE_PGM_RSRC2:TGID_Z_EN: 0
; COMPUTE_PGM_RSRC2:TIDIG_COMP_CNT: 0
; COMPUTE_PGM_RSRC3_GFX90A:ACCUM_OFFSET: 0
; COMPUTE_PGM_RSRC3_GFX90A:TG_SPLIT: 0
	.section	.text._ZN7rocprim17ROCPRIM_400000_NS6detail17trampoline_kernelINS0_14default_configENS1_25partition_config_selectorILNS1_17partition_subalgoE1EtNS0_10empty_typeEbEEZZNS1_14partition_implILS5_1ELb0ES3_jN6thrust23THRUST_200600_302600_NS6detail15normal_iteratorINSA_10device_ptrItEEEEPS6_NSA_18transform_iteratorI7is_evenItESF_NSA_11use_defaultESK_EENS0_5tupleIJNSA_16discard_iteratorISK_EESO_EEENSM_IJSG_SG_EEES6_PlJS6_EEE10hipError_tPvRmT3_T4_T5_T6_T7_T9_mT8_P12ihipStream_tbDpT10_ENKUlT_T0_E_clISt17integral_constantIbLb0EES1B_EEDaS16_S17_EUlS16_E_NS1_11comp_targetILNS1_3genE3ELNS1_11target_archE908ELNS1_3gpuE7ELNS1_3repE0EEENS1_30default_config_static_selectorELNS0_4arch9wavefront6targetE1EEEvT1_,"axG",@progbits,_ZN7rocprim17ROCPRIM_400000_NS6detail17trampoline_kernelINS0_14default_configENS1_25partition_config_selectorILNS1_17partition_subalgoE1EtNS0_10empty_typeEbEEZZNS1_14partition_implILS5_1ELb0ES3_jN6thrust23THRUST_200600_302600_NS6detail15normal_iteratorINSA_10device_ptrItEEEEPS6_NSA_18transform_iteratorI7is_evenItESF_NSA_11use_defaultESK_EENS0_5tupleIJNSA_16discard_iteratorISK_EESO_EEENSM_IJSG_SG_EEES6_PlJS6_EEE10hipError_tPvRmT3_T4_T5_T6_T7_T9_mT8_P12ihipStream_tbDpT10_ENKUlT_T0_E_clISt17integral_constantIbLb0EES1B_EEDaS16_S17_EUlS16_E_NS1_11comp_targetILNS1_3genE3ELNS1_11target_archE908ELNS1_3gpuE7ELNS1_3repE0EEENS1_30default_config_static_selectorELNS0_4arch9wavefront6targetE1EEEvT1_,comdat
	.protected	_ZN7rocprim17ROCPRIM_400000_NS6detail17trampoline_kernelINS0_14default_configENS1_25partition_config_selectorILNS1_17partition_subalgoE1EtNS0_10empty_typeEbEEZZNS1_14partition_implILS5_1ELb0ES3_jN6thrust23THRUST_200600_302600_NS6detail15normal_iteratorINSA_10device_ptrItEEEEPS6_NSA_18transform_iteratorI7is_evenItESF_NSA_11use_defaultESK_EENS0_5tupleIJNSA_16discard_iteratorISK_EESO_EEENSM_IJSG_SG_EEES6_PlJS6_EEE10hipError_tPvRmT3_T4_T5_T6_T7_T9_mT8_P12ihipStream_tbDpT10_ENKUlT_T0_E_clISt17integral_constantIbLb0EES1B_EEDaS16_S17_EUlS16_E_NS1_11comp_targetILNS1_3genE3ELNS1_11target_archE908ELNS1_3gpuE7ELNS1_3repE0EEENS1_30default_config_static_selectorELNS0_4arch9wavefront6targetE1EEEvT1_ ; -- Begin function _ZN7rocprim17ROCPRIM_400000_NS6detail17trampoline_kernelINS0_14default_configENS1_25partition_config_selectorILNS1_17partition_subalgoE1EtNS0_10empty_typeEbEEZZNS1_14partition_implILS5_1ELb0ES3_jN6thrust23THRUST_200600_302600_NS6detail15normal_iteratorINSA_10device_ptrItEEEEPS6_NSA_18transform_iteratorI7is_evenItESF_NSA_11use_defaultESK_EENS0_5tupleIJNSA_16discard_iteratorISK_EESO_EEENSM_IJSG_SG_EEES6_PlJS6_EEE10hipError_tPvRmT3_T4_T5_T6_T7_T9_mT8_P12ihipStream_tbDpT10_ENKUlT_T0_E_clISt17integral_constantIbLb0EES1B_EEDaS16_S17_EUlS16_E_NS1_11comp_targetILNS1_3genE3ELNS1_11target_archE908ELNS1_3gpuE7ELNS1_3repE0EEENS1_30default_config_static_selectorELNS0_4arch9wavefront6targetE1EEEvT1_
	.globl	_ZN7rocprim17ROCPRIM_400000_NS6detail17trampoline_kernelINS0_14default_configENS1_25partition_config_selectorILNS1_17partition_subalgoE1EtNS0_10empty_typeEbEEZZNS1_14partition_implILS5_1ELb0ES3_jN6thrust23THRUST_200600_302600_NS6detail15normal_iteratorINSA_10device_ptrItEEEEPS6_NSA_18transform_iteratorI7is_evenItESF_NSA_11use_defaultESK_EENS0_5tupleIJNSA_16discard_iteratorISK_EESO_EEENSM_IJSG_SG_EEES6_PlJS6_EEE10hipError_tPvRmT3_T4_T5_T6_T7_T9_mT8_P12ihipStream_tbDpT10_ENKUlT_T0_E_clISt17integral_constantIbLb0EES1B_EEDaS16_S17_EUlS16_E_NS1_11comp_targetILNS1_3genE3ELNS1_11target_archE908ELNS1_3gpuE7ELNS1_3repE0EEENS1_30default_config_static_selectorELNS0_4arch9wavefront6targetE1EEEvT1_
	.p2align	8
	.type	_ZN7rocprim17ROCPRIM_400000_NS6detail17trampoline_kernelINS0_14default_configENS1_25partition_config_selectorILNS1_17partition_subalgoE1EtNS0_10empty_typeEbEEZZNS1_14partition_implILS5_1ELb0ES3_jN6thrust23THRUST_200600_302600_NS6detail15normal_iteratorINSA_10device_ptrItEEEEPS6_NSA_18transform_iteratorI7is_evenItESF_NSA_11use_defaultESK_EENS0_5tupleIJNSA_16discard_iteratorISK_EESO_EEENSM_IJSG_SG_EEES6_PlJS6_EEE10hipError_tPvRmT3_T4_T5_T6_T7_T9_mT8_P12ihipStream_tbDpT10_ENKUlT_T0_E_clISt17integral_constantIbLb0EES1B_EEDaS16_S17_EUlS16_E_NS1_11comp_targetILNS1_3genE3ELNS1_11target_archE908ELNS1_3gpuE7ELNS1_3repE0EEENS1_30default_config_static_selectorELNS0_4arch9wavefront6targetE1EEEvT1_,@function
_ZN7rocprim17ROCPRIM_400000_NS6detail17trampoline_kernelINS0_14default_configENS1_25partition_config_selectorILNS1_17partition_subalgoE1EtNS0_10empty_typeEbEEZZNS1_14partition_implILS5_1ELb0ES3_jN6thrust23THRUST_200600_302600_NS6detail15normal_iteratorINSA_10device_ptrItEEEEPS6_NSA_18transform_iteratorI7is_evenItESF_NSA_11use_defaultESK_EENS0_5tupleIJNSA_16discard_iteratorISK_EESO_EEENSM_IJSG_SG_EEES6_PlJS6_EEE10hipError_tPvRmT3_T4_T5_T6_T7_T9_mT8_P12ihipStream_tbDpT10_ENKUlT_T0_E_clISt17integral_constantIbLb0EES1B_EEDaS16_S17_EUlS16_E_NS1_11comp_targetILNS1_3genE3ELNS1_11target_archE908ELNS1_3gpuE7ELNS1_3repE0EEENS1_30default_config_static_selectorELNS0_4arch9wavefront6targetE1EEEvT1_: ; @_ZN7rocprim17ROCPRIM_400000_NS6detail17trampoline_kernelINS0_14default_configENS1_25partition_config_selectorILNS1_17partition_subalgoE1EtNS0_10empty_typeEbEEZZNS1_14partition_implILS5_1ELb0ES3_jN6thrust23THRUST_200600_302600_NS6detail15normal_iteratorINSA_10device_ptrItEEEEPS6_NSA_18transform_iteratorI7is_evenItESF_NSA_11use_defaultESK_EENS0_5tupleIJNSA_16discard_iteratorISK_EESO_EEENSM_IJSG_SG_EEES6_PlJS6_EEE10hipError_tPvRmT3_T4_T5_T6_T7_T9_mT8_P12ihipStream_tbDpT10_ENKUlT_T0_E_clISt17integral_constantIbLb0EES1B_EEDaS16_S17_EUlS16_E_NS1_11comp_targetILNS1_3genE3ELNS1_11target_archE908ELNS1_3gpuE7ELNS1_3repE0EEENS1_30default_config_static_selectorELNS0_4arch9wavefront6targetE1EEEvT1_
; %bb.0:
	.section	.rodata,"a",@progbits
	.p2align	6, 0x0
	.amdhsa_kernel _ZN7rocprim17ROCPRIM_400000_NS6detail17trampoline_kernelINS0_14default_configENS1_25partition_config_selectorILNS1_17partition_subalgoE1EtNS0_10empty_typeEbEEZZNS1_14partition_implILS5_1ELb0ES3_jN6thrust23THRUST_200600_302600_NS6detail15normal_iteratorINSA_10device_ptrItEEEEPS6_NSA_18transform_iteratorI7is_evenItESF_NSA_11use_defaultESK_EENS0_5tupleIJNSA_16discard_iteratorISK_EESO_EEENSM_IJSG_SG_EEES6_PlJS6_EEE10hipError_tPvRmT3_T4_T5_T6_T7_T9_mT8_P12ihipStream_tbDpT10_ENKUlT_T0_E_clISt17integral_constantIbLb0EES1B_EEDaS16_S17_EUlS16_E_NS1_11comp_targetILNS1_3genE3ELNS1_11target_archE908ELNS1_3gpuE7ELNS1_3repE0EEENS1_30default_config_static_selectorELNS0_4arch9wavefront6targetE1EEEvT1_
		.amdhsa_group_segment_fixed_size 0
		.amdhsa_private_segment_fixed_size 0
		.amdhsa_kernarg_size 144
		.amdhsa_user_sgpr_count 2
		.amdhsa_user_sgpr_dispatch_ptr 0
		.amdhsa_user_sgpr_queue_ptr 0
		.amdhsa_user_sgpr_kernarg_segment_ptr 1
		.amdhsa_user_sgpr_dispatch_id 0
		.amdhsa_user_sgpr_kernarg_preload_length 0
		.amdhsa_user_sgpr_kernarg_preload_offset 0
		.amdhsa_user_sgpr_private_segment_size 0
		.amdhsa_uses_dynamic_stack 0
		.amdhsa_enable_private_segment 0
		.amdhsa_system_sgpr_workgroup_id_x 1
		.amdhsa_system_sgpr_workgroup_id_y 0
		.amdhsa_system_sgpr_workgroup_id_z 0
		.amdhsa_system_sgpr_workgroup_info 0
		.amdhsa_system_vgpr_workitem_id 0
		.amdhsa_next_free_vgpr 1
		.amdhsa_next_free_sgpr 0
		.amdhsa_accum_offset 4
		.amdhsa_reserve_vcc 0
		.amdhsa_float_round_mode_32 0
		.amdhsa_float_round_mode_16_64 0
		.amdhsa_float_denorm_mode_32 3
		.amdhsa_float_denorm_mode_16_64 3
		.amdhsa_dx10_clamp 1
		.amdhsa_ieee_mode 1
		.amdhsa_fp16_overflow 0
		.amdhsa_tg_split 0
		.amdhsa_exception_fp_ieee_invalid_op 0
		.amdhsa_exception_fp_denorm_src 0
		.amdhsa_exception_fp_ieee_div_zero 0
		.amdhsa_exception_fp_ieee_overflow 0
		.amdhsa_exception_fp_ieee_underflow 0
		.amdhsa_exception_fp_ieee_inexact 0
		.amdhsa_exception_int_div_zero 0
	.end_amdhsa_kernel
	.section	.text._ZN7rocprim17ROCPRIM_400000_NS6detail17trampoline_kernelINS0_14default_configENS1_25partition_config_selectorILNS1_17partition_subalgoE1EtNS0_10empty_typeEbEEZZNS1_14partition_implILS5_1ELb0ES3_jN6thrust23THRUST_200600_302600_NS6detail15normal_iteratorINSA_10device_ptrItEEEEPS6_NSA_18transform_iteratorI7is_evenItESF_NSA_11use_defaultESK_EENS0_5tupleIJNSA_16discard_iteratorISK_EESO_EEENSM_IJSG_SG_EEES6_PlJS6_EEE10hipError_tPvRmT3_T4_T5_T6_T7_T9_mT8_P12ihipStream_tbDpT10_ENKUlT_T0_E_clISt17integral_constantIbLb0EES1B_EEDaS16_S17_EUlS16_E_NS1_11comp_targetILNS1_3genE3ELNS1_11target_archE908ELNS1_3gpuE7ELNS1_3repE0EEENS1_30default_config_static_selectorELNS0_4arch9wavefront6targetE1EEEvT1_,"axG",@progbits,_ZN7rocprim17ROCPRIM_400000_NS6detail17trampoline_kernelINS0_14default_configENS1_25partition_config_selectorILNS1_17partition_subalgoE1EtNS0_10empty_typeEbEEZZNS1_14partition_implILS5_1ELb0ES3_jN6thrust23THRUST_200600_302600_NS6detail15normal_iteratorINSA_10device_ptrItEEEEPS6_NSA_18transform_iteratorI7is_evenItESF_NSA_11use_defaultESK_EENS0_5tupleIJNSA_16discard_iteratorISK_EESO_EEENSM_IJSG_SG_EEES6_PlJS6_EEE10hipError_tPvRmT3_T4_T5_T6_T7_T9_mT8_P12ihipStream_tbDpT10_ENKUlT_T0_E_clISt17integral_constantIbLb0EES1B_EEDaS16_S17_EUlS16_E_NS1_11comp_targetILNS1_3genE3ELNS1_11target_archE908ELNS1_3gpuE7ELNS1_3repE0EEENS1_30default_config_static_selectorELNS0_4arch9wavefront6targetE1EEEvT1_,comdat
.Lfunc_end3070:
	.size	_ZN7rocprim17ROCPRIM_400000_NS6detail17trampoline_kernelINS0_14default_configENS1_25partition_config_selectorILNS1_17partition_subalgoE1EtNS0_10empty_typeEbEEZZNS1_14partition_implILS5_1ELb0ES3_jN6thrust23THRUST_200600_302600_NS6detail15normal_iteratorINSA_10device_ptrItEEEEPS6_NSA_18transform_iteratorI7is_evenItESF_NSA_11use_defaultESK_EENS0_5tupleIJNSA_16discard_iteratorISK_EESO_EEENSM_IJSG_SG_EEES6_PlJS6_EEE10hipError_tPvRmT3_T4_T5_T6_T7_T9_mT8_P12ihipStream_tbDpT10_ENKUlT_T0_E_clISt17integral_constantIbLb0EES1B_EEDaS16_S17_EUlS16_E_NS1_11comp_targetILNS1_3genE3ELNS1_11target_archE908ELNS1_3gpuE7ELNS1_3repE0EEENS1_30default_config_static_selectorELNS0_4arch9wavefront6targetE1EEEvT1_, .Lfunc_end3070-_ZN7rocprim17ROCPRIM_400000_NS6detail17trampoline_kernelINS0_14default_configENS1_25partition_config_selectorILNS1_17partition_subalgoE1EtNS0_10empty_typeEbEEZZNS1_14partition_implILS5_1ELb0ES3_jN6thrust23THRUST_200600_302600_NS6detail15normal_iteratorINSA_10device_ptrItEEEEPS6_NSA_18transform_iteratorI7is_evenItESF_NSA_11use_defaultESK_EENS0_5tupleIJNSA_16discard_iteratorISK_EESO_EEENSM_IJSG_SG_EEES6_PlJS6_EEE10hipError_tPvRmT3_T4_T5_T6_T7_T9_mT8_P12ihipStream_tbDpT10_ENKUlT_T0_E_clISt17integral_constantIbLb0EES1B_EEDaS16_S17_EUlS16_E_NS1_11comp_targetILNS1_3genE3ELNS1_11target_archE908ELNS1_3gpuE7ELNS1_3repE0EEENS1_30default_config_static_selectorELNS0_4arch9wavefront6targetE1EEEvT1_
                                        ; -- End function
	.section	.AMDGPU.csdata,"",@progbits
; Kernel info:
; codeLenInByte = 0
; NumSgprs: 6
; NumVgprs: 0
; NumAgprs: 0
; TotalNumVgprs: 0
; ScratchSize: 0
; MemoryBound: 0
; FloatMode: 240
; IeeeMode: 1
; LDSByteSize: 0 bytes/workgroup (compile time only)
; SGPRBlocks: 0
; VGPRBlocks: 0
; NumSGPRsForWavesPerEU: 6
; NumVGPRsForWavesPerEU: 1
; AccumOffset: 4
; Occupancy: 8
; WaveLimiterHint : 0
; COMPUTE_PGM_RSRC2:SCRATCH_EN: 0
; COMPUTE_PGM_RSRC2:USER_SGPR: 2
; COMPUTE_PGM_RSRC2:TRAP_HANDLER: 0
; COMPUTE_PGM_RSRC2:TGID_X_EN: 1
; COMPUTE_PGM_RSRC2:TGID_Y_EN: 0
; COMPUTE_PGM_RSRC2:TGID_Z_EN: 0
; COMPUTE_PGM_RSRC2:TIDIG_COMP_CNT: 0
; COMPUTE_PGM_RSRC3_GFX90A:ACCUM_OFFSET: 0
; COMPUTE_PGM_RSRC3_GFX90A:TG_SPLIT: 0
	.section	.text._ZN7rocprim17ROCPRIM_400000_NS6detail17trampoline_kernelINS0_14default_configENS1_25partition_config_selectorILNS1_17partition_subalgoE1EtNS0_10empty_typeEbEEZZNS1_14partition_implILS5_1ELb0ES3_jN6thrust23THRUST_200600_302600_NS6detail15normal_iteratorINSA_10device_ptrItEEEEPS6_NSA_18transform_iteratorI7is_evenItESF_NSA_11use_defaultESK_EENS0_5tupleIJNSA_16discard_iteratorISK_EESO_EEENSM_IJSG_SG_EEES6_PlJS6_EEE10hipError_tPvRmT3_T4_T5_T6_T7_T9_mT8_P12ihipStream_tbDpT10_ENKUlT_T0_E_clISt17integral_constantIbLb0EES1B_EEDaS16_S17_EUlS16_E_NS1_11comp_targetILNS1_3genE2ELNS1_11target_archE906ELNS1_3gpuE6ELNS1_3repE0EEENS1_30default_config_static_selectorELNS0_4arch9wavefront6targetE1EEEvT1_,"axG",@progbits,_ZN7rocprim17ROCPRIM_400000_NS6detail17trampoline_kernelINS0_14default_configENS1_25partition_config_selectorILNS1_17partition_subalgoE1EtNS0_10empty_typeEbEEZZNS1_14partition_implILS5_1ELb0ES3_jN6thrust23THRUST_200600_302600_NS6detail15normal_iteratorINSA_10device_ptrItEEEEPS6_NSA_18transform_iteratorI7is_evenItESF_NSA_11use_defaultESK_EENS0_5tupleIJNSA_16discard_iteratorISK_EESO_EEENSM_IJSG_SG_EEES6_PlJS6_EEE10hipError_tPvRmT3_T4_T5_T6_T7_T9_mT8_P12ihipStream_tbDpT10_ENKUlT_T0_E_clISt17integral_constantIbLb0EES1B_EEDaS16_S17_EUlS16_E_NS1_11comp_targetILNS1_3genE2ELNS1_11target_archE906ELNS1_3gpuE6ELNS1_3repE0EEENS1_30default_config_static_selectorELNS0_4arch9wavefront6targetE1EEEvT1_,comdat
	.protected	_ZN7rocprim17ROCPRIM_400000_NS6detail17trampoline_kernelINS0_14default_configENS1_25partition_config_selectorILNS1_17partition_subalgoE1EtNS0_10empty_typeEbEEZZNS1_14partition_implILS5_1ELb0ES3_jN6thrust23THRUST_200600_302600_NS6detail15normal_iteratorINSA_10device_ptrItEEEEPS6_NSA_18transform_iteratorI7is_evenItESF_NSA_11use_defaultESK_EENS0_5tupleIJNSA_16discard_iteratorISK_EESO_EEENSM_IJSG_SG_EEES6_PlJS6_EEE10hipError_tPvRmT3_T4_T5_T6_T7_T9_mT8_P12ihipStream_tbDpT10_ENKUlT_T0_E_clISt17integral_constantIbLb0EES1B_EEDaS16_S17_EUlS16_E_NS1_11comp_targetILNS1_3genE2ELNS1_11target_archE906ELNS1_3gpuE6ELNS1_3repE0EEENS1_30default_config_static_selectorELNS0_4arch9wavefront6targetE1EEEvT1_ ; -- Begin function _ZN7rocprim17ROCPRIM_400000_NS6detail17trampoline_kernelINS0_14default_configENS1_25partition_config_selectorILNS1_17partition_subalgoE1EtNS0_10empty_typeEbEEZZNS1_14partition_implILS5_1ELb0ES3_jN6thrust23THRUST_200600_302600_NS6detail15normal_iteratorINSA_10device_ptrItEEEEPS6_NSA_18transform_iteratorI7is_evenItESF_NSA_11use_defaultESK_EENS0_5tupleIJNSA_16discard_iteratorISK_EESO_EEENSM_IJSG_SG_EEES6_PlJS6_EEE10hipError_tPvRmT3_T4_T5_T6_T7_T9_mT8_P12ihipStream_tbDpT10_ENKUlT_T0_E_clISt17integral_constantIbLb0EES1B_EEDaS16_S17_EUlS16_E_NS1_11comp_targetILNS1_3genE2ELNS1_11target_archE906ELNS1_3gpuE6ELNS1_3repE0EEENS1_30default_config_static_selectorELNS0_4arch9wavefront6targetE1EEEvT1_
	.globl	_ZN7rocprim17ROCPRIM_400000_NS6detail17trampoline_kernelINS0_14default_configENS1_25partition_config_selectorILNS1_17partition_subalgoE1EtNS0_10empty_typeEbEEZZNS1_14partition_implILS5_1ELb0ES3_jN6thrust23THRUST_200600_302600_NS6detail15normal_iteratorINSA_10device_ptrItEEEEPS6_NSA_18transform_iteratorI7is_evenItESF_NSA_11use_defaultESK_EENS0_5tupleIJNSA_16discard_iteratorISK_EESO_EEENSM_IJSG_SG_EEES6_PlJS6_EEE10hipError_tPvRmT3_T4_T5_T6_T7_T9_mT8_P12ihipStream_tbDpT10_ENKUlT_T0_E_clISt17integral_constantIbLb0EES1B_EEDaS16_S17_EUlS16_E_NS1_11comp_targetILNS1_3genE2ELNS1_11target_archE906ELNS1_3gpuE6ELNS1_3repE0EEENS1_30default_config_static_selectorELNS0_4arch9wavefront6targetE1EEEvT1_
	.p2align	8
	.type	_ZN7rocprim17ROCPRIM_400000_NS6detail17trampoline_kernelINS0_14default_configENS1_25partition_config_selectorILNS1_17partition_subalgoE1EtNS0_10empty_typeEbEEZZNS1_14partition_implILS5_1ELb0ES3_jN6thrust23THRUST_200600_302600_NS6detail15normal_iteratorINSA_10device_ptrItEEEEPS6_NSA_18transform_iteratorI7is_evenItESF_NSA_11use_defaultESK_EENS0_5tupleIJNSA_16discard_iteratorISK_EESO_EEENSM_IJSG_SG_EEES6_PlJS6_EEE10hipError_tPvRmT3_T4_T5_T6_T7_T9_mT8_P12ihipStream_tbDpT10_ENKUlT_T0_E_clISt17integral_constantIbLb0EES1B_EEDaS16_S17_EUlS16_E_NS1_11comp_targetILNS1_3genE2ELNS1_11target_archE906ELNS1_3gpuE6ELNS1_3repE0EEENS1_30default_config_static_selectorELNS0_4arch9wavefront6targetE1EEEvT1_,@function
_ZN7rocprim17ROCPRIM_400000_NS6detail17trampoline_kernelINS0_14default_configENS1_25partition_config_selectorILNS1_17partition_subalgoE1EtNS0_10empty_typeEbEEZZNS1_14partition_implILS5_1ELb0ES3_jN6thrust23THRUST_200600_302600_NS6detail15normal_iteratorINSA_10device_ptrItEEEEPS6_NSA_18transform_iteratorI7is_evenItESF_NSA_11use_defaultESK_EENS0_5tupleIJNSA_16discard_iteratorISK_EESO_EEENSM_IJSG_SG_EEES6_PlJS6_EEE10hipError_tPvRmT3_T4_T5_T6_T7_T9_mT8_P12ihipStream_tbDpT10_ENKUlT_T0_E_clISt17integral_constantIbLb0EES1B_EEDaS16_S17_EUlS16_E_NS1_11comp_targetILNS1_3genE2ELNS1_11target_archE906ELNS1_3gpuE6ELNS1_3repE0EEENS1_30default_config_static_selectorELNS0_4arch9wavefront6targetE1EEEvT1_: ; @_ZN7rocprim17ROCPRIM_400000_NS6detail17trampoline_kernelINS0_14default_configENS1_25partition_config_selectorILNS1_17partition_subalgoE1EtNS0_10empty_typeEbEEZZNS1_14partition_implILS5_1ELb0ES3_jN6thrust23THRUST_200600_302600_NS6detail15normal_iteratorINSA_10device_ptrItEEEEPS6_NSA_18transform_iteratorI7is_evenItESF_NSA_11use_defaultESK_EENS0_5tupleIJNSA_16discard_iteratorISK_EESO_EEENSM_IJSG_SG_EEES6_PlJS6_EEE10hipError_tPvRmT3_T4_T5_T6_T7_T9_mT8_P12ihipStream_tbDpT10_ENKUlT_T0_E_clISt17integral_constantIbLb0EES1B_EEDaS16_S17_EUlS16_E_NS1_11comp_targetILNS1_3genE2ELNS1_11target_archE906ELNS1_3gpuE6ELNS1_3repE0EEENS1_30default_config_static_selectorELNS0_4arch9wavefront6targetE1EEEvT1_
; %bb.0:
	.section	.rodata,"a",@progbits
	.p2align	6, 0x0
	.amdhsa_kernel _ZN7rocprim17ROCPRIM_400000_NS6detail17trampoline_kernelINS0_14default_configENS1_25partition_config_selectorILNS1_17partition_subalgoE1EtNS0_10empty_typeEbEEZZNS1_14partition_implILS5_1ELb0ES3_jN6thrust23THRUST_200600_302600_NS6detail15normal_iteratorINSA_10device_ptrItEEEEPS6_NSA_18transform_iteratorI7is_evenItESF_NSA_11use_defaultESK_EENS0_5tupleIJNSA_16discard_iteratorISK_EESO_EEENSM_IJSG_SG_EEES6_PlJS6_EEE10hipError_tPvRmT3_T4_T5_T6_T7_T9_mT8_P12ihipStream_tbDpT10_ENKUlT_T0_E_clISt17integral_constantIbLb0EES1B_EEDaS16_S17_EUlS16_E_NS1_11comp_targetILNS1_3genE2ELNS1_11target_archE906ELNS1_3gpuE6ELNS1_3repE0EEENS1_30default_config_static_selectorELNS0_4arch9wavefront6targetE1EEEvT1_
		.amdhsa_group_segment_fixed_size 0
		.amdhsa_private_segment_fixed_size 0
		.amdhsa_kernarg_size 144
		.amdhsa_user_sgpr_count 2
		.amdhsa_user_sgpr_dispatch_ptr 0
		.amdhsa_user_sgpr_queue_ptr 0
		.amdhsa_user_sgpr_kernarg_segment_ptr 1
		.amdhsa_user_sgpr_dispatch_id 0
		.amdhsa_user_sgpr_kernarg_preload_length 0
		.amdhsa_user_sgpr_kernarg_preload_offset 0
		.amdhsa_user_sgpr_private_segment_size 0
		.amdhsa_uses_dynamic_stack 0
		.amdhsa_enable_private_segment 0
		.amdhsa_system_sgpr_workgroup_id_x 1
		.amdhsa_system_sgpr_workgroup_id_y 0
		.amdhsa_system_sgpr_workgroup_id_z 0
		.amdhsa_system_sgpr_workgroup_info 0
		.amdhsa_system_vgpr_workitem_id 0
		.amdhsa_next_free_vgpr 1
		.amdhsa_next_free_sgpr 0
		.amdhsa_accum_offset 4
		.amdhsa_reserve_vcc 0
		.amdhsa_float_round_mode_32 0
		.amdhsa_float_round_mode_16_64 0
		.amdhsa_float_denorm_mode_32 3
		.amdhsa_float_denorm_mode_16_64 3
		.amdhsa_dx10_clamp 1
		.amdhsa_ieee_mode 1
		.amdhsa_fp16_overflow 0
		.amdhsa_tg_split 0
		.amdhsa_exception_fp_ieee_invalid_op 0
		.amdhsa_exception_fp_denorm_src 0
		.amdhsa_exception_fp_ieee_div_zero 0
		.amdhsa_exception_fp_ieee_overflow 0
		.amdhsa_exception_fp_ieee_underflow 0
		.amdhsa_exception_fp_ieee_inexact 0
		.amdhsa_exception_int_div_zero 0
	.end_amdhsa_kernel
	.section	.text._ZN7rocprim17ROCPRIM_400000_NS6detail17trampoline_kernelINS0_14default_configENS1_25partition_config_selectorILNS1_17partition_subalgoE1EtNS0_10empty_typeEbEEZZNS1_14partition_implILS5_1ELb0ES3_jN6thrust23THRUST_200600_302600_NS6detail15normal_iteratorINSA_10device_ptrItEEEEPS6_NSA_18transform_iteratorI7is_evenItESF_NSA_11use_defaultESK_EENS0_5tupleIJNSA_16discard_iteratorISK_EESO_EEENSM_IJSG_SG_EEES6_PlJS6_EEE10hipError_tPvRmT3_T4_T5_T6_T7_T9_mT8_P12ihipStream_tbDpT10_ENKUlT_T0_E_clISt17integral_constantIbLb0EES1B_EEDaS16_S17_EUlS16_E_NS1_11comp_targetILNS1_3genE2ELNS1_11target_archE906ELNS1_3gpuE6ELNS1_3repE0EEENS1_30default_config_static_selectorELNS0_4arch9wavefront6targetE1EEEvT1_,"axG",@progbits,_ZN7rocprim17ROCPRIM_400000_NS6detail17trampoline_kernelINS0_14default_configENS1_25partition_config_selectorILNS1_17partition_subalgoE1EtNS0_10empty_typeEbEEZZNS1_14partition_implILS5_1ELb0ES3_jN6thrust23THRUST_200600_302600_NS6detail15normal_iteratorINSA_10device_ptrItEEEEPS6_NSA_18transform_iteratorI7is_evenItESF_NSA_11use_defaultESK_EENS0_5tupleIJNSA_16discard_iteratorISK_EESO_EEENSM_IJSG_SG_EEES6_PlJS6_EEE10hipError_tPvRmT3_T4_T5_T6_T7_T9_mT8_P12ihipStream_tbDpT10_ENKUlT_T0_E_clISt17integral_constantIbLb0EES1B_EEDaS16_S17_EUlS16_E_NS1_11comp_targetILNS1_3genE2ELNS1_11target_archE906ELNS1_3gpuE6ELNS1_3repE0EEENS1_30default_config_static_selectorELNS0_4arch9wavefront6targetE1EEEvT1_,comdat
.Lfunc_end3071:
	.size	_ZN7rocprim17ROCPRIM_400000_NS6detail17trampoline_kernelINS0_14default_configENS1_25partition_config_selectorILNS1_17partition_subalgoE1EtNS0_10empty_typeEbEEZZNS1_14partition_implILS5_1ELb0ES3_jN6thrust23THRUST_200600_302600_NS6detail15normal_iteratorINSA_10device_ptrItEEEEPS6_NSA_18transform_iteratorI7is_evenItESF_NSA_11use_defaultESK_EENS0_5tupleIJNSA_16discard_iteratorISK_EESO_EEENSM_IJSG_SG_EEES6_PlJS6_EEE10hipError_tPvRmT3_T4_T5_T6_T7_T9_mT8_P12ihipStream_tbDpT10_ENKUlT_T0_E_clISt17integral_constantIbLb0EES1B_EEDaS16_S17_EUlS16_E_NS1_11comp_targetILNS1_3genE2ELNS1_11target_archE906ELNS1_3gpuE6ELNS1_3repE0EEENS1_30default_config_static_selectorELNS0_4arch9wavefront6targetE1EEEvT1_, .Lfunc_end3071-_ZN7rocprim17ROCPRIM_400000_NS6detail17trampoline_kernelINS0_14default_configENS1_25partition_config_selectorILNS1_17partition_subalgoE1EtNS0_10empty_typeEbEEZZNS1_14partition_implILS5_1ELb0ES3_jN6thrust23THRUST_200600_302600_NS6detail15normal_iteratorINSA_10device_ptrItEEEEPS6_NSA_18transform_iteratorI7is_evenItESF_NSA_11use_defaultESK_EENS0_5tupleIJNSA_16discard_iteratorISK_EESO_EEENSM_IJSG_SG_EEES6_PlJS6_EEE10hipError_tPvRmT3_T4_T5_T6_T7_T9_mT8_P12ihipStream_tbDpT10_ENKUlT_T0_E_clISt17integral_constantIbLb0EES1B_EEDaS16_S17_EUlS16_E_NS1_11comp_targetILNS1_3genE2ELNS1_11target_archE906ELNS1_3gpuE6ELNS1_3repE0EEENS1_30default_config_static_selectorELNS0_4arch9wavefront6targetE1EEEvT1_
                                        ; -- End function
	.section	.AMDGPU.csdata,"",@progbits
; Kernel info:
; codeLenInByte = 0
; NumSgprs: 6
; NumVgprs: 0
; NumAgprs: 0
; TotalNumVgprs: 0
; ScratchSize: 0
; MemoryBound: 0
; FloatMode: 240
; IeeeMode: 1
; LDSByteSize: 0 bytes/workgroup (compile time only)
; SGPRBlocks: 0
; VGPRBlocks: 0
; NumSGPRsForWavesPerEU: 6
; NumVGPRsForWavesPerEU: 1
; AccumOffset: 4
; Occupancy: 8
; WaveLimiterHint : 0
; COMPUTE_PGM_RSRC2:SCRATCH_EN: 0
; COMPUTE_PGM_RSRC2:USER_SGPR: 2
; COMPUTE_PGM_RSRC2:TRAP_HANDLER: 0
; COMPUTE_PGM_RSRC2:TGID_X_EN: 1
; COMPUTE_PGM_RSRC2:TGID_Y_EN: 0
; COMPUTE_PGM_RSRC2:TGID_Z_EN: 0
; COMPUTE_PGM_RSRC2:TIDIG_COMP_CNT: 0
; COMPUTE_PGM_RSRC3_GFX90A:ACCUM_OFFSET: 0
; COMPUTE_PGM_RSRC3_GFX90A:TG_SPLIT: 0
	.section	.text._ZN7rocprim17ROCPRIM_400000_NS6detail17trampoline_kernelINS0_14default_configENS1_25partition_config_selectorILNS1_17partition_subalgoE1EtNS0_10empty_typeEbEEZZNS1_14partition_implILS5_1ELb0ES3_jN6thrust23THRUST_200600_302600_NS6detail15normal_iteratorINSA_10device_ptrItEEEEPS6_NSA_18transform_iteratorI7is_evenItESF_NSA_11use_defaultESK_EENS0_5tupleIJNSA_16discard_iteratorISK_EESO_EEENSM_IJSG_SG_EEES6_PlJS6_EEE10hipError_tPvRmT3_T4_T5_T6_T7_T9_mT8_P12ihipStream_tbDpT10_ENKUlT_T0_E_clISt17integral_constantIbLb0EES1B_EEDaS16_S17_EUlS16_E_NS1_11comp_targetILNS1_3genE10ELNS1_11target_archE1200ELNS1_3gpuE4ELNS1_3repE0EEENS1_30default_config_static_selectorELNS0_4arch9wavefront6targetE1EEEvT1_,"axG",@progbits,_ZN7rocprim17ROCPRIM_400000_NS6detail17trampoline_kernelINS0_14default_configENS1_25partition_config_selectorILNS1_17partition_subalgoE1EtNS0_10empty_typeEbEEZZNS1_14partition_implILS5_1ELb0ES3_jN6thrust23THRUST_200600_302600_NS6detail15normal_iteratorINSA_10device_ptrItEEEEPS6_NSA_18transform_iteratorI7is_evenItESF_NSA_11use_defaultESK_EENS0_5tupleIJNSA_16discard_iteratorISK_EESO_EEENSM_IJSG_SG_EEES6_PlJS6_EEE10hipError_tPvRmT3_T4_T5_T6_T7_T9_mT8_P12ihipStream_tbDpT10_ENKUlT_T0_E_clISt17integral_constantIbLb0EES1B_EEDaS16_S17_EUlS16_E_NS1_11comp_targetILNS1_3genE10ELNS1_11target_archE1200ELNS1_3gpuE4ELNS1_3repE0EEENS1_30default_config_static_selectorELNS0_4arch9wavefront6targetE1EEEvT1_,comdat
	.protected	_ZN7rocprim17ROCPRIM_400000_NS6detail17trampoline_kernelINS0_14default_configENS1_25partition_config_selectorILNS1_17partition_subalgoE1EtNS0_10empty_typeEbEEZZNS1_14partition_implILS5_1ELb0ES3_jN6thrust23THRUST_200600_302600_NS6detail15normal_iteratorINSA_10device_ptrItEEEEPS6_NSA_18transform_iteratorI7is_evenItESF_NSA_11use_defaultESK_EENS0_5tupleIJNSA_16discard_iteratorISK_EESO_EEENSM_IJSG_SG_EEES6_PlJS6_EEE10hipError_tPvRmT3_T4_T5_T6_T7_T9_mT8_P12ihipStream_tbDpT10_ENKUlT_T0_E_clISt17integral_constantIbLb0EES1B_EEDaS16_S17_EUlS16_E_NS1_11comp_targetILNS1_3genE10ELNS1_11target_archE1200ELNS1_3gpuE4ELNS1_3repE0EEENS1_30default_config_static_selectorELNS0_4arch9wavefront6targetE1EEEvT1_ ; -- Begin function _ZN7rocprim17ROCPRIM_400000_NS6detail17trampoline_kernelINS0_14default_configENS1_25partition_config_selectorILNS1_17partition_subalgoE1EtNS0_10empty_typeEbEEZZNS1_14partition_implILS5_1ELb0ES3_jN6thrust23THRUST_200600_302600_NS6detail15normal_iteratorINSA_10device_ptrItEEEEPS6_NSA_18transform_iteratorI7is_evenItESF_NSA_11use_defaultESK_EENS0_5tupleIJNSA_16discard_iteratorISK_EESO_EEENSM_IJSG_SG_EEES6_PlJS6_EEE10hipError_tPvRmT3_T4_T5_T6_T7_T9_mT8_P12ihipStream_tbDpT10_ENKUlT_T0_E_clISt17integral_constantIbLb0EES1B_EEDaS16_S17_EUlS16_E_NS1_11comp_targetILNS1_3genE10ELNS1_11target_archE1200ELNS1_3gpuE4ELNS1_3repE0EEENS1_30default_config_static_selectorELNS0_4arch9wavefront6targetE1EEEvT1_
	.globl	_ZN7rocprim17ROCPRIM_400000_NS6detail17trampoline_kernelINS0_14default_configENS1_25partition_config_selectorILNS1_17partition_subalgoE1EtNS0_10empty_typeEbEEZZNS1_14partition_implILS5_1ELb0ES3_jN6thrust23THRUST_200600_302600_NS6detail15normal_iteratorINSA_10device_ptrItEEEEPS6_NSA_18transform_iteratorI7is_evenItESF_NSA_11use_defaultESK_EENS0_5tupleIJNSA_16discard_iteratorISK_EESO_EEENSM_IJSG_SG_EEES6_PlJS6_EEE10hipError_tPvRmT3_T4_T5_T6_T7_T9_mT8_P12ihipStream_tbDpT10_ENKUlT_T0_E_clISt17integral_constantIbLb0EES1B_EEDaS16_S17_EUlS16_E_NS1_11comp_targetILNS1_3genE10ELNS1_11target_archE1200ELNS1_3gpuE4ELNS1_3repE0EEENS1_30default_config_static_selectorELNS0_4arch9wavefront6targetE1EEEvT1_
	.p2align	8
	.type	_ZN7rocprim17ROCPRIM_400000_NS6detail17trampoline_kernelINS0_14default_configENS1_25partition_config_selectorILNS1_17partition_subalgoE1EtNS0_10empty_typeEbEEZZNS1_14partition_implILS5_1ELb0ES3_jN6thrust23THRUST_200600_302600_NS6detail15normal_iteratorINSA_10device_ptrItEEEEPS6_NSA_18transform_iteratorI7is_evenItESF_NSA_11use_defaultESK_EENS0_5tupleIJNSA_16discard_iteratorISK_EESO_EEENSM_IJSG_SG_EEES6_PlJS6_EEE10hipError_tPvRmT3_T4_T5_T6_T7_T9_mT8_P12ihipStream_tbDpT10_ENKUlT_T0_E_clISt17integral_constantIbLb0EES1B_EEDaS16_S17_EUlS16_E_NS1_11comp_targetILNS1_3genE10ELNS1_11target_archE1200ELNS1_3gpuE4ELNS1_3repE0EEENS1_30default_config_static_selectorELNS0_4arch9wavefront6targetE1EEEvT1_,@function
_ZN7rocprim17ROCPRIM_400000_NS6detail17trampoline_kernelINS0_14default_configENS1_25partition_config_selectorILNS1_17partition_subalgoE1EtNS0_10empty_typeEbEEZZNS1_14partition_implILS5_1ELb0ES3_jN6thrust23THRUST_200600_302600_NS6detail15normal_iteratorINSA_10device_ptrItEEEEPS6_NSA_18transform_iteratorI7is_evenItESF_NSA_11use_defaultESK_EENS0_5tupleIJNSA_16discard_iteratorISK_EESO_EEENSM_IJSG_SG_EEES6_PlJS6_EEE10hipError_tPvRmT3_T4_T5_T6_T7_T9_mT8_P12ihipStream_tbDpT10_ENKUlT_T0_E_clISt17integral_constantIbLb0EES1B_EEDaS16_S17_EUlS16_E_NS1_11comp_targetILNS1_3genE10ELNS1_11target_archE1200ELNS1_3gpuE4ELNS1_3repE0EEENS1_30default_config_static_selectorELNS0_4arch9wavefront6targetE1EEEvT1_: ; @_ZN7rocprim17ROCPRIM_400000_NS6detail17trampoline_kernelINS0_14default_configENS1_25partition_config_selectorILNS1_17partition_subalgoE1EtNS0_10empty_typeEbEEZZNS1_14partition_implILS5_1ELb0ES3_jN6thrust23THRUST_200600_302600_NS6detail15normal_iteratorINSA_10device_ptrItEEEEPS6_NSA_18transform_iteratorI7is_evenItESF_NSA_11use_defaultESK_EENS0_5tupleIJNSA_16discard_iteratorISK_EESO_EEENSM_IJSG_SG_EEES6_PlJS6_EEE10hipError_tPvRmT3_T4_T5_T6_T7_T9_mT8_P12ihipStream_tbDpT10_ENKUlT_T0_E_clISt17integral_constantIbLb0EES1B_EEDaS16_S17_EUlS16_E_NS1_11comp_targetILNS1_3genE10ELNS1_11target_archE1200ELNS1_3gpuE4ELNS1_3repE0EEENS1_30default_config_static_selectorELNS0_4arch9wavefront6targetE1EEEvT1_
; %bb.0:
	.section	.rodata,"a",@progbits
	.p2align	6, 0x0
	.amdhsa_kernel _ZN7rocprim17ROCPRIM_400000_NS6detail17trampoline_kernelINS0_14default_configENS1_25partition_config_selectorILNS1_17partition_subalgoE1EtNS0_10empty_typeEbEEZZNS1_14partition_implILS5_1ELb0ES3_jN6thrust23THRUST_200600_302600_NS6detail15normal_iteratorINSA_10device_ptrItEEEEPS6_NSA_18transform_iteratorI7is_evenItESF_NSA_11use_defaultESK_EENS0_5tupleIJNSA_16discard_iteratorISK_EESO_EEENSM_IJSG_SG_EEES6_PlJS6_EEE10hipError_tPvRmT3_T4_T5_T6_T7_T9_mT8_P12ihipStream_tbDpT10_ENKUlT_T0_E_clISt17integral_constantIbLb0EES1B_EEDaS16_S17_EUlS16_E_NS1_11comp_targetILNS1_3genE10ELNS1_11target_archE1200ELNS1_3gpuE4ELNS1_3repE0EEENS1_30default_config_static_selectorELNS0_4arch9wavefront6targetE1EEEvT1_
		.amdhsa_group_segment_fixed_size 0
		.amdhsa_private_segment_fixed_size 0
		.amdhsa_kernarg_size 144
		.amdhsa_user_sgpr_count 2
		.amdhsa_user_sgpr_dispatch_ptr 0
		.amdhsa_user_sgpr_queue_ptr 0
		.amdhsa_user_sgpr_kernarg_segment_ptr 1
		.amdhsa_user_sgpr_dispatch_id 0
		.amdhsa_user_sgpr_kernarg_preload_length 0
		.amdhsa_user_sgpr_kernarg_preload_offset 0
		.amdhsa_user_sgpr_private_segment_size 0
		.amdhsa_uses_dynamic_stack 0
		.amdhsa_enable_private_segment 0
		.amdhsa_system_sgpr_workgroup_id_x 1
		.amdhsa_system_sgpr_workgroup_id_y 0
		.amdhsa_system_sgpr_workgroup_id_z 0
		.amdhsa_system_sgpr_workgroup_info 0
		.amdhsa_system_vgpr_workitem_id 0
		.amdhsa_next_free_vgpr 1
		.amdhsa_next_free_sgpr 0
		.amdhsa_accum_offset 4
		.amdhsa_reserve_vcc 0
		.amdhsa_float_round_mode_32 0
		.amdhsa_float_round_mode_16_64 0
		.amdhsa_float_denorm_mode_32 3
		.amdhsa_float_denorm_mode_16_64 3
		.amdhsa_dx10_clamp 1
		.amdhsa_ieee_mode 1
		.amdhsa_fp16_overflow 0
		.amdhsa_tg_split 0
		.amdhsa_exception_fp_ieee_invalid_op 0
		.amdhsa_exception_fp_denorm_src 0
		.amdhsa_exception_fp_ieee_div_zero 0
		.amdhsa_exception_fp_ieee_overflow 0
		.amdhsa_exception_fp_ieee_underflow 0
		.amdhsa_exception_fp_ieee_inexact 0
		.amdhsa_exception_int_div_zero 0
	.end_amdhsa_kernel
	.section	.text._ZN7rocprim17ROCPRIM_400000_NS6detail17trampoline_kernelINS0_14default_configENS1_25partition_config_selectorILNS1_17partition_subalgoE1EtNS0_10empty_typeEbEEZZNS1_14partition_implILS5_1ELb0ES3_jN6thrust23THRUST_200600_302600_NS6detail15normal_iteratorINSA_10device_ptrItEEEEPS6_NSA_18transform_iteratorI7is_evenItESF_NSA_11use_defaultESK_EENS0_5tupleIJNSA_16discard_iteratorISK_EESO_EEENSM_IJSG_SG_EEES6_PlJS6_EEE10hipError_tPvRmT3_T4_T5_T6_T7_T9_mT8_P12ihipStream_tbDpT10_ENKUlT_T0_E_clISt17integral_constantIbLb0EES1B_EEDaS16_S17_EUlS16_E_NS1_11comp_targetILNS1_3genE10ELNS1_11target_archE1200ELNS1_3gpuE4ELNS1_3repE0EEENS1_30default_config_static_selectorELNS0_4arch9wavefront6targetE1EEEvT1_,"axG",@progbits,_ZN7rocprim17ROCPRIM_400000_NS6detail17trampoline_kernelINS0_14default_configENS1_25partition_config_selectorILNS1_17partition_subalgoE1EtNS0_10empty_typeEbEEZZNS1_14partition_implILS5_1ELb0ES3_jN6thrust23THRUST_200600_302600_NS6detail15normal_iteratorINSA_10device_ptrItEEEEPS6_NSA_18transform_iteratorI7is_evenItESF_NSA_11use_defaultESK_EENS0_5tupleIJNSA_16discard_iteratorISK_EESO_EEENSM_IJSG_SG_EEES6_PlJS6_EEE10hipError_tPvRmT3_T4_T5_T6_T7_T9_mT8_P12ihipStream_tbDpT10_ENKUlT_T0_E_clISt17integral_constantIbLb0EES1B_EEDaS16_S17_EUlS16_E_NS1_11comp_targetILNS1_3genE10ELNS1_11target_archE1200ELNS1_3gpuE4ELNS1_3repE0EEENS1_30default_config_static_selectorELNS0_4arch9wavefront6targetE1EEEvT1_,comdat
.Lfunc_end3072:
	.size	_ZN7rocprim17ROCPRIM_400000_NS6detail17trampoline_kernelINS0_14default_configENS1_25partition_config_selectorILNS1_17partition_subalgoE1EtNS0_10empty_typeEbEEZZNS1_14partition_implILS5_1ELb0ES3_jN6thrust23THRUST_200600_302600_NS6detail15normal_iteratorINSA_10device_ptrItEEEEPS6_NSA_18transform_iteratorI7is_evenItESF_NSA_11use_defaultESK_EENS0_5tupleIJNSA_16discard_iteratorISK_EESO_EEENSM_IJSG_SG_EEES6_PlJS6_EEE10hipError_tPvRmT3_T4_T5_T6_T7_T9_mT8_P12ihipStream_tbDpT10_ENKUlT_T0_E_clISt17integral_constantIbLb0EES1B_EEDaS16_S17_EUlS16_E_NS1_11comp_targetILNS1_3genE10ELNS1_11target_archE1200ELNS1_3gpuE4ELNS1_3repE0EEENS1_30default_config_static_selectorELNS0_4arch9wavefront6targetE1EEEvT1_, .Lfunc_end3072-_ZN7rocprim17ROCPRIM_400000_NS6detail17trampoline_kernelINS0_14default_configENS1_25partition_config_selectorILNS1_17partition_subalgoE1EtNS0_10empty_typeEbEEZZNS1_14partition_implILS5_1ELb0ES3_jN6thrust23THRUST_200600_302600_NS6detail15normal_iteratorINSA_10device_ptrItEEEEPS6_NSA_18transform_iteratorI7is_evenItESF_NSA_11use_defaultESK_EENS0_5tupleIJNSA_16discard_iteratorISK_EESO_EEENSM_IJSG_SG_EEES6_PlJS6_EEE10hipError_tPvRmT3_T4_T5_T6_T7_T9_mT8_P12ihipStream_tbDpT10_ENKUlT_T0_E_clISt17integral_constantIbLb0EES1B_EEDaS16_S17_EUlS16_E_NS1_11comp_targetILNS1_3genE10ELNS1_11target_archE1200ELNS1_3gpuE4ELNS1_3repE0EEENS1_30default_config_static_selectorELNS0_4arch9wavefront6targetE1EEEvT1_
                                        ; -- End function
	.section	.AMDGPU.csdata,"",@progbits
; Kernel info:
; codeLenInByte = 0
; NumSgprs: 6
; NumVgprs: 0
; NumAgprs: 0
; TotalNumVgprs: 0
; ScratchSize: 0
; MemoryBound: 0
; FloatMode: 240
; IeeeMode: 1
; LDSByteSize: 0 bytes/workgroup (compile time only)
; SGPRBlocks: 0
; VGPRBlocks: 0
; NumSGPRsForWavesPerEU: 6
; NumVGPRsForWavesPerEU: 1
; AccumOffset: 4
; Occupancy: 8
; WaveLimiterHint : 0
; COMPUTE_PGM_RSRC2:SCRATCH_EN: 0
; COMPUTE_PGM_RSRC2:USER_SGPR: 2
; COMPUTE_PGM_RSRC2:TRAP_HANDLER: 0
; COMPUTE_PGM_RSRC2:TGID_X_EN: 1
; COMPUTE_PGM_RSRC2:TGID_Y_EN: 0
; COMPUTE_PGM_RSRC2:TGID_Z_EN: 0
; COMPUTE_PGM_RSRC2:TIDIG_COMP_CNT: 0
; COMPUTE_PGM_RSRC3_GFX90A:ACCUM_OFFSET: 0
; COMPUTE_PGM_RSRC3_GFX90A:TG_SPLIT: 0
	.section	.text._ZN7rocprim17ROCPRIM_400000_NS6detail17trampoline_kernelINS0_14default_configENS1_25partition_config_selectorILNS1_17partition_subalgoE1EtNS0_10empty_typeEbEEZZNS1_14partition_implILS5_1ELb0ES3_jN6thrust23THRUST_200600_302600_NS6detail15normal_iteratorINSA_10device_ptrItEEEEPS6_NSA_18transform_iteratorI7is_evenItESF_NSA_11use_defaultESK_EENS0_5tupleIJNSA_16discard_iteratorISK_EESO_EEENSM_IJSG_SG_EEES6_PlJS6_EEE10hipError_tPvRmT3_T4_T5_T6_T7_T9_mT8_P12ihipStream_tbDpT10_ENKUlT_T0_E_clISt17integral_constantIbLb0EES1B_EEDaS16_S17_EUlS16_E_NS1_11comp_targetILNS1_3genE9ELNS1_11target_archE1100ELNS1_3gpuE3ELNS1_3repE0EEENS1_30default_config_static_selectorELNS0_4arch9wavefront6targetE1EEEvT1_,"axG",@progbits,_ZN7rocprim17ROCPRIM_400000_NS6detail17trampoline_kernelINS0_14default_configENS1_25partition_config_selectorILNS1_17partition_subalgoE1EtNS0_10empty_typeEbEEZZNS1_14partition_implILS5_1ELb0ES3_jN6thrust23THRUST_200600_302600_NS6detail15normal_iteratorINSA_10device_ptrItEEEEPS6_NSA_18transform_iteratorI7is_evenItESF_NSA_11use_defaultESK_EENS0_5tupleIJNSA_16discard_iteratorISK_EESO_EEENSM_IJSG_SG_EEES6_PlJS6_EEE10hipError_tPvRmT3_T4_T5_T6_T7_T9_mT8_P12ihipStream_tbDpT10_ENKUlT_T0_E_clISt17integral_constantIbLb0EES1B_EEDaS16_S17_EUlS16_E_NS1_11comp_targetILNS1_3genE9ELNS1_11target_archE1100ELNS1_3gpuE3ELNS1_3repE0EEENS1_30default_config_static_selectorELNS0_4arch9wavefront6targetE1EEEvT1_,comdat
	.protected	_ZN7rocprim17ROCPRIM_400000_NS6detail17trampoline_kernelINS0_14default_configENS1_25partition_config_selectorILNS1_17partition_subalgoE1EtNS0_10empty_typeEbEEZZNS1_14partition_implILS5_1ELb0ES3_jN6thrust23THRUST_200600_302600_NS6detail15normal_iteratorINSA_10device_ptrItEEEEPS6_NSA_18transform_iteratorI7is_evenItESF_NSA_11use_defaultESK_EENS0_5tupleIJNSA_16discard_iteratorISK_EESO_EEENSM_IJSG_SG_EEES6_PlJS6_EEE10hipError_tPvRmT3_T4_T5_T6_T7_T9_mT8_P12ihipStream_tbDpT10_ENKUlT_T0_E_clISt17integral_constantIbLb0EES1B_EEDaS16_S17_EUlS16_E_NS1_11comp_targetILNS1_3genE9ELNS1_11target_archE1100ELNS1_3gpuE3ELNS1_3repE0EEENS1_30default_config_static_selectorELNS0_4arch9wavefront6targetE1EEEvT1_ ; -- Begin function _ZN7rocprim17ROCPRIM_400000_NS6detail17trampoline_kernelINS0_14default_configENS1_25partition_config_selectorILNS1_17partition_subalgoE1EtNS0_10empty_typeEbEEZZNS1_14partition_implILS5_1ELb0ES3_jN6thrust23THRUST_200600_302600_NS6detail15normal_iteratorINSA_10device_ptrItEEEEPS6_NSA_18transform_iteratorI7is_evenItESF_NSA_11use_defaultESK_EENS0_5tupleIJNSA_16discard_iteratorISK_EESO_EEENSM_IJSG_SG_EEES6_PlJS6_EEE10hipError_tPvRmT3_T4_T5_T6_T7_T9_mT8_P12ihipStream_tbDpT10_ENKUlT_T0_E_clISt17integral_constantIbLb0EES1B_EEDaS16_S17_EUlS16_E_NS1_11comp_targetILNS1_3genE9ELNS1_11target_archE1100ELNS1_3gpuE3ELNS1_3repE0EEENS1_30default_config_static_selectorELNS0_4arch9wavefront6targetE1EEEvT1_
	.globl	_ZN7rocprim17ROCPRIM_400000_NS6detail17trampoline_kernelINS0_14default_configENS1_25partition_config_selectorILNS1_17partition_subalgoE1EtNS0_10empty_typeEbEEZZNS1_14partition_implILS5_1ELb0ES3_jN6thrust23THRUST_200600_302600_NS6detail15normal_iteratorINSA_10device_ptrItEEEEPS6_NSA_18transform_iteratorI7is_evenItESF_NSA_11use_defaultESK_EENS0_5tupleIJNSA_16discard_iteratorISK_EESO_EEENSM_IJSG_SG_EEES6_PlJS6_EEE10hipError_tPvRmT3_T4_T5_T6_T7_T9_mT8_P12ihipStream_tbDpT10_ENKUlT_T0_E_clISt17integral_constantIbLb0EES1B_EEDaS16_S17_EUlS16_E_NS1_11comp_targetILNS1_3genE9ELNS1_11target_archE1100ELNS1_3gpuE3ELNS1_3repE0EEENS1_30default_config_static_selectorELNS0_4arch9wavefront6targetE1EEEvT1_
	.p2align	8
	.type	_ZN7rocprim17ROCPRIM_400000_NS6detail17trampoline_kernelINS0_14default_configENS1_25partition_config_selectorILNS1_17partition_subalgoE1EtNS0_10empty_typeEbEEZZNS1_14partition_implILS5_1ELb0ES3_jN6thrust23THRUST_200600_302600_NS6detail15normal_iteratorINSA_10device_ptrItEEEEPS6_NSA_18transform_iteratorI7is_evenItESF_NSA_11use_defaultESK_EENS0_5tupleIJNSA_16discard_iteratorISK_EESO_EEENSM_IJSG_SG_EEES6_PlJS6_EEE10hipError_tPvRmT3_T4_T5_T6_T7_T9_mT8_P12ihipStream_tbDpT10_ENKUlT_T0_E_clISt17integral_constantIbLb0EES1B_EEDaS16_S17_EUlS16_E_NS1_11comp_targetILNS1_3genE9ELNS1_11target_archE1100ELNS1_3gpuE3ELNS1_3repE0EEENS1_30default_config_static_selectorELNS0_4arch9wavefront6targetE1EEEvT1_,@function
_ZN7rocprim17ROCPRIM_400000_NS6detail17trampoline_kernelINS0_14default_configENS1_25partition_config_selectorILNS1_17partition_subalgoE1EtNS0_10empty_typeEbEEZZNS1_14partition_implILS5_1ELb0ES3_jN6thrust23THRUST_200600_302600_NS6detail15normal_iteratorINSA_10device_ptrItEEEEPS6_NSA_18transform_iteratorI7is_evenItESF_NSA_11use_defaultESK_EENS0_5tupleIJNSA_16discard_iteratorISK_EESO_EEENSM_IJSG_SG_EEES6_PlJS6_EEE10hipError_tPvRmT3_T4_T5_T6_T7_T9_mT8_P12ihipStream_tbDpT10_ENKUlT_T0_E_clISt17integral_constantIbLb0EES1B_EEDaS16_S17_EUlS16_E_NS1_11comp_targetILNS1_3genE9ELNS1_11target_archE1100ELNS1_3gpuE3ELNS1_3repE0EEENS1_30default_config_static_selectorELNS0_4arch9wavefront6targetE1EEEvT1_: ; @_ZN7rocprim17ROCPRIM_400000_NS6detail17trampoline_kernelINS0_14default_configENS1_25partition_config_selectorILNS1_17partition_subalgoE1EtNS0_10empty_typeEbEEZZNS1_14partition_implILS5_1ELb0ES3_jN6thrust23THRUST_200600_302600_NS6detail15normal_iteratorINSA_10device_ptrItEEEEPS6_NSA_18transform_iteratorI7is_evenItESF_NSA_11use_defaultESK_EENS0_5tupleIJNSA_16discard_iteratorISK_EESO_EEENSM_IJSG_SG_EEES6_PlJS6_EEE10hipError_tPvRmT3_T4_T5_T6_T7_T9_mT8_P12ihipStream_tbDpT10_ENKUlT_T0_E_clISt17integral_constantIbLb0EES1B_EEDaS16_S17_EUlS16_E_NS1_11comp_targetILNS1_3genE9ELNS1_11target_archE1100ELNS1_3gpuE3ELNS1_3repE0EEENS1_30default_config_static_selectorELNS0_4arch9wavefront6targetE1EEEvT1_
; %bb.0:
	.section	.rodata,"a",@progbits
	.p2align	6, 0x0
	.amdhsa_kernel _ZN7rocprim17ROCPRIM_400000_NS6detail17trampoline_kernelINS0_14default_configENS1_25partition_config_selectorILNS1_17partition_subalgoE1EtNS0_10empty_typeEbEEZZNS1_14partition_implILS5_1ELb0ES3_jN6thrust23THRUST_200600_302600_NS6detail15normal_iteratorINSA_10device_ptrItEEEEPS6_NSA_18transform_iteratorI7is_evenItESF_NSA_11use_defaultESK_EENS0_5tupleIJNSA_16discard_iteratorISK_EESO_EEENSM_IJSG_SG_EEES6_PlJS6_EEE10hipError_tPvRmT3_T4_T5_T6_T7_T9_mT8_P12ihipStream_tbDpT10_ENKUlT_T0_E_clISt17integral_constantIbLb0EES1B_EEDaS16_S17_EUlS16_E_NS1_11comp_targetILNS1_3genE9ELNS1_11target_archE1100ELNS1_3gpuE3ELNS1_3repE0EEENS1_30default_config_static_selectorELNS0_4arch9wavefront6targetE1EEEvT1_
		.amdhsa_group_segment_fixed_size 0
		.amdhsa_private_segment_fixed_size 0
		.amdhsa_kernarg_size 144
		.amdhsa_user_sgpr_count 2
		.amdhsa_user_sgpr_dispatch_ptr 0
		.amdhsa_user_sgpr_queue_ptr 0
		.amdhsa_user_sgpr_kernarg_segment_ptr 1
		.amdhsa_user_sgpr_dispatch_id 0
		.amdhsa_user_sgpr_kernarg_preload_length 0
		.amdhsa_user_sgpr_kernarg_preload_offset 0
		.amdhsa_user_sgpr_private_segment_size 0
		.amdhsa_uses_dynamic_stack 0
		.amdhsa_enable_private_segment 0
		.amdhsa_system_sgpr_workgroup_id_x 1
		.amdhsa_system_sgpr_workgroup_id_y 0
		.amdhsa_system_sgpr_workgroup_id_z 0
		.amdhsa_system_sgpr_workgroup_info 0
		.amdhsa_system_vgpr_workitem_id 0
		.amdhsa_next_free_vgpr 1
		.amdhsa_next_free_sgpr 0
		.amdhsa_accum_offset 4
		.amdhsa_reserve_vcc 0
		.amdhsa_float_round_mode_32 0
		.amdhsa_float_round_mode_16_64 0
		.amdhsa_float_denorm_mode_32 3
		.amdhsa_float_denorm_mode_16_64 3
		.amdhsa_dx10_clamp 1
		.amdhsa_ieee_mode 1
		.amdhsa_fp16_overflow 0
		.amdhsa_tg_split 0
		.amdhsa_exception_fp_ieee_invalid_op 0
		.amdhsa_exception_fp_denorm_src 0
		.amdhsa_exception_fp_ieee_div_zero 0
		.amdhsa_exception_fp_ieee_overflow 0
		.amdhsa_exception_fp_ieee_underflow 0
		.amdhsa_exception_fp_ieee_inexact 0
		.amdhsa_exception_int_div_zero 0
	.end_amdhsa_kernel
	.section	.text._ZN7rocprim17ROCPRIM_400000_NS6detail17trampoline_kernelINS0_14default_configENS1_25partition_config_selectorILNS1_17partition_subalgoE1EtNS0_10empty_typeEbEEZZNS1_14partition_implILS5_1ELb0ES3_jN6thrust23THRUST_200600_302600_NS6detail15normal_iteratorINSA_10device_ptrItEEEEPS6_NSA_18transform_iteratorI7is_evenItESF_NSA_11use_defaultESK_EENS0_5tupleIJNSA_16discard_iteratorISK_EESO_EEENSM_IJSG_SG_EEES6_PlJS6_EEE10hipError_tPvRmT3_T4_T5_T6_T7_T9_mT8_P12ihipStream_tbDpT10_ENKUlT_T0_E_clISt17integral_constantIbLb0EES1B_EEDaS16_S17_EUlS16_E_NS1_11comp_targetILNS1_3genE9ELNS1_11target_archE1100ELNS1_3gpuE3ELNS1_3repE0EEENS1_30default_config_static_selectorELNS0_4arch9wavefront6targetE1EEEvT1_,"axG",@progbits,_ZN7rocprim17ROCPRIM_400000_NS6detail17trampoline_kernelINS0_14default_configENS1_25partition_config_selectorILNS1_17partition_subalgoE1EtNS0_10empty_typeEbEEZZNS1_14partition_implILS5_1ELb0ES3_jN6thrust23THRUST_200600_302600_NS6detail15normal_iteratorINSA_10device_ptrItEEEEPS6_NSA_18transform_iteratorI7is_evenItESF_NSA_11use_defaultESK_EENS0_5tupleIJNSA_16discard_iteratorISK_EESO_EEENSM_IJSG_SG_EEES6_PlJS6_EEE10hipError_tPvRmT3_T4_T5_T6_T7_T9_mT8_P12ihipStream_tbDpT10_ENKUlT_T0_E_clISt17integral_constantIbLb0EES1B_EEDaS16_S17_EUlS16_E_NS1_11comp_targetILNS1_3genE9ELNS1_11target_archE1100ELNS1_3gpuE3ELNS1_3repE0EEENS1_30default_config_static_selectorELNS0_4arch9wavefront6targetE1EEEvT1_,comdat
.Lfunc_end3073:
	.size	_ZN7rocprim17ROCPRIM_400000_NS6detail17trampoline_kernelINS0_14default_configENS1_25partition_config_selectorILNS1_17partition_subalgoE1EtNS0_10empty_typeEbEEZZNS1_14partition_implILS5_1ELb0ES3_jN6thrust23THRUST_200600_302600_NS6detail15normal_iteratorINSA_10device_ptrItEEEEPS6_NSA_18transform_iteratorI7is_evenItESF_NSA_11use_defaultESK_EENS0_5tupleIJNSA_16discard_iteratorISK_EESO_EEENSM_IJSG_SG_EEES6_PlJS6_EEE10hipError_tPvRmT3_T4_T5_T6_T7_T9_mT8_P12ihipStream_tbDpT10_ENKUlT_T0_E_clISt17integral_constantIbLb0EES1B_EEDaS16_S17_EUlS16_E_NS1_11comp_targetILNS1_3genE9ELNS1_11target_archE1100ELNS1_3gpuE3ELNS1_3repE0EEENS1_30default_config_static_selectorELNS0_4arch9wavefront6targetE1EEEvT1_, .Lfunc_end3073-_ZN7rocprim17ROCPRIM_400000_NS6detail17trampoline_kernelINS0_14default_configENS1_25partition_config_selectorILNS1_17partition_subalgoE1EtNS0_10empty_typeEbEEZZNS1_14partition_implILS5_1ELb0ES3_jN6thrust23THRUST_200600_302600_NS6detail15normal_iteratorINSA_10device_ptrItEEEEPS6_NSA_18transform_iteratorI7is_evenItESF_NSA_11use_defaultESK_EENS0_5tupleIJNSA_16discard_iteratorISK_EESO_EEENSM_IJSG_SG_EEES6_PlJS6_EEE10hipError_tPvRmT3_T4_T5_T6_T7_T9_mT8_P12ihipStream_tbDpT10_ENKUlT_T0_E_clISt17integral_constantIbLb0EES1B_EEDaS16_S17_EUlS16_E_NS1_11comp_targetILNS1_3genE9ELNS1_11target_archE1100ELNS1_3gpuE3ELNS1_3repE0EEENS1_30default_config_static_selectorELNS0_4arch9wavefront6targetE1EEEvT1_
                                        ; -- End function
	.section	.AMDGPU.csdata,"",@progbits
; Kernel info:
; codeLenInByte = 0
; NumSgprs: 6
; NumVgprs: 0
; NumAgprs: 0
; TotalNumVgprs: 0
; ScratchSize: 0
; MemoryBound: 0
; FloatMode: 240
; IeeeMode: 1
; LDSByteSize: 0 bytes/workgroup (compile time only)
; SGPRBlocks: 0
; VGPRBlocks: 0
; NumSGPRsForWavesPerEU: 6
; NumVGPRsForWavesPerEU: 1
; AccumOffset: 4
; Occupancy: 8
; WaveLimiterHint : 0
; COMPUTE_PGM_RSRC2:SCRATCH_EN: 0
; COMPUTE_PGM_RSRC2:USER_SGPR: 2
; COMPUTE_PGM_RSRC2:TRAP_HANDLER: 0
; COMPUTE_PGM_RSRC2:TGID_X_EN: 1
; COMPUTE_PGM_RSRC2:TGID_Y_EN: 0
; COMPUTE_PGM_RSRC2:TGID_Z_EN: 0
; COMPUTE_PGM_RSRC2:TIDIG_COMP_CNT: 0
; COMPUTE_PGM_RSRC3_GFX90A:ACCUM_OFFSET: 0
; COMPUTE_PGM_RSRC3_GFX90A:TG_SPLIT: 0
	.section	.text._ZN7rocprim17ROCPRIM_400000_NS6detail17trampoline_kernelINS0_14default_configENS1_25partition_config_selectorILNS1_17partition_subalgoE1EtNS0_10empty_typeEbEEZZNS1_14partition_implILS5_1ELb0ES3_jN6thrust23THRUST_200600_302600_NS6detail15normal_iteratorINSA_10device_ptrItEEEEPS6_NSA_18transform_iteratorI7is_evenItESF_NSA_11use_defaultESK_EENS0_5tupleIJNSA_16discard_iteratorISK_EESO_EEENSM_IJSG_SG_EEES6_PlJS6_EEE10hipError_tPvRmT3_T4_T5_T6_T7_T9_mT8_P12ihipStream_tbDpT10_ENKUlT_T0_E_clISt17integral_constantIbLb0EES1B_EEDaS16_S17_EUlS16_E_NS1_11comp_targetILNS1_3genE8ELNS1_11target_archE1030ELNS1_3gpuE2ELNS1_3repE0EEENS1_30default_config_static_selectorELNS0_4arch9wavefront6targetE1EEEvT1_,"axG",@progbits,_ZN7rocprim17ROCPRIM_400000_NS6detail17trampoline_kernelINS0_14default_configENS1_25partition_config_selectorILNS1_17partition_subalgoE1EtNS0_10empty_typeEbEEZZNS1_14partition_implILS5_1ELb0ES3_jN6thrust23THRUST_200600_302600_NS6detail15normal_iteratorINSA_10device_ptrItEEEEPS6_NSA_18transform_iteratorI7is_evenItESF_NSA_11use_defaultESK_EENS0_5tupleIJNSA_16discard_iteratorISK_EESO_EEENSM_IJSG_SG_EEES6_PlJS6_EEE10hipError_tPvRmT3_T4_T5_T6_T7_T9_mT8_P12ihipStream_tbDpT10_ENKUlT_T0_E_clISt17integral_constantIbLb0EES1B_EEDaS16_S17_EUlS16_E_NS1_11comp_targetILNS1_3genE8ELNS1_11target_archE1030ELNS1_3gpuE2ELNS1_3repE0EEENS1_30default_config_static_selectorELNS0_4arch9wavefront6targetE1EEEvT1_,comdat
	.protected	_ZN7rocprim17ROCPRIM_400000_NS6detail17trampoline_kernelINS0_14default_configENS1_25partition_config_selectorILNS1_17partition_subalgoE1EtNS0_10empty_typeEbEEZZNS1_14partition_implILS5_1ELb0ES3_jN6thrust23THRUST_200600_302600_NS6detail15normal_iteratorINSA_10device_ptrItEEEEPS6_NSA_18transform_iteratorI7is_evenItESF_NSA_11use_defaultESK_EENS0_5tupleIJNSA_16discard_iteratorISK_EESO_EEENSM_IJSG_SG_EEES6_PlJS6_EEE10hipError_tPvRmT3_T4_T5_T6_T7_T9_mT8_P12ihipStream_tbDpT10_ENKUlT_T0_E_clISt17integral_constantIbLb0EES1B_EEDaS16_S17_EUlS16_E_NS1_11comp_targetILNS1_3genE8ELNS1_11target_archE1030ELNS1_3gpuE2ELNS1_3repE0EEENS1_30default_config_static_selectorELNS0_4arch9wavefront6targetE1EEEvT1_ ; -- Begin function _ZN7rocprim17ROCPRIM_400000_NS6detail17trampoline_kernelINS0_14default_configENS1_25partition_config_selectorILNS1_17partition_subalgoE1EtNS0_10empty_typeEbEEZZNS1_14partition_implILS5_1ELb0ES3_jN6thrust23THRUST_200600_302600_NS6detail15normal_iteratorINSA_10device_ptrItEEEEPS6_NSA_18transform_iteratorI7is_evenItESF_NSA_11use_defaultESK_EENS0_5tupleIJNSA_16discard_iteratorISK_EESO_EEENSM_IJSG_SG_EEES6_PlJS6_EEE10hipError_tPvRmT3_T4_T5_T6_T7_T9_mT8_P12ihipStream_tbDpT10_ENKUlT_T0_E_clISt17integral_constantIbLb0EES1B_EEDaS16_S17_EUlS16_E_NS1_11comp_targetILNS1_3genE8ELNS1_11target_archE1030ELNS1_3gpuE2ELNS1_3repE0EEENS1_30default_config_static_selectorELNS0_4arch9wavefront6targetE1EEEvT1_
	.globl	_ZN7rocprim17ROCPRIM_400000_NS6detail17trampoline_kernelINS0_14default_configENS1_25partition_config_selectorILNS1_17partition_subalgoE1EtNS0_10empty_typeEbEEZZNS1_14partition_implILS5_1ELb0ES3_jN6thrust23THRUST_200600_302600_NS6detail15normal_iteratorINSA_10device_ptrItEEEEPS6_NSA_18transform_iteratorI7is_evenItESF_NSA_11use_defaultESK_EENS0_5tupleIJNSA_16discard_iteratorISK_EESO_EEENSM_IJSG_SG_EEES6_PlJS6_EEE10hipError_tPvRmT3_T4_T5_T6_T7_T9_mT8_P12ihipStream_tbDpT10_ENKUlT_T0_E_clISt17integral_constantIbLb0EES1B_EEDaS16_S17_EUlS16_E_NS1_11comp_targetILNS1_3genE8ELNS1_11target_archE1030ELNS1_3gpuE2ELNS1_3repE0EEENS1_30default_config_static_selectorELNS0_4arch9wavefront6targetE1EEEvT1_
	.p2align	8
	.type	_ZN7rocprim17ROCPRIM_400000_NS6detail17trampoline_kernelINS0_14default_configENS1_25partition_config_selectorILNS1_17partition_subalgoE1EtNS0_10empty_typeEbEEZZNS1_14partition_implILS5_1ELb0ES3_jN6thrust23THRUST_200600_302600_NS6detail15normal_iteratorINSA_10device_ptrItEEEEPS6_NSA_18transform_iteratorI7is_evenItESF_NSA_11use_defaultESK_EENS0_5tupleIJNSA_16discard_iteratorISK_EESO_EEENSM_IJSG_SG_EEES6_PlJS6_EEE10hipError_tPvRmT3_T4_T5_T6_T7_T9_mT8_P12ihipStream_tbDpT10_ENKUlT_T0_E_clISt17integral_constantIbLb0EES1B_EEDaS16_S17_EUlS16_E_NS1_11comp_targetILNS1_3genE8ELNS1_11target_archE1030ELNS1_3gpuE2ELNS1_3repE0EEENS1_30default_config_static_selectorELNS0_4arch9wavefront6targetE1EEEvT1_,@function
_ZN7rocprim17ROCPRIM_400000_NS6detail17trampoline_kernelINS0_14default_configENS1_25partition_config_selectorILNS1_17partition_subalgoE1EtNS0_10empty_typeEbEEZZNS1_14partition_implILS5_1ELb0ES3_jN6thrust23THRUST_200600_302600_NS6detail15normal_iteratorINSA_10device_ptrItEEEEPS6_NSA_18transform_iteratorI7is_evenItESF_NSA_11use_defaultESK_EENS0_5tupleIJNSA_16discard_iteratorISK_EESO_EEENSM_IJSG_SG_EEES6_PlJS6_EEE10hipError_tPvRmT3_T4_T5_T6_T7_T9_mT8_P12ihipStream_tbDpT10_ENKUlT_T0_E_clISt17integral_constantIbLb0EES1B_EEDaS16_S17_EUlS16_E_NS1_11comp_targetILNS1_3genE8ELNS1_11target_archE1030ELNS1_3gpuE2ELNS1_3repE0EEENS1_30default_config_static_selectorELNS0_4arch9wavefront6targetE1EEEvT1_: ; @_ZN7rocprim17ROCPRIM_400000_NS6detail17trampoline_kernelINS0_14default_configENS1_25partition_config_selectorILNS1_17partition_subalgoE1EtNS0_10empty_typeEbEEZZNS1_14partition_implILS5_1ELb0ES3_jN6thrust23THRUST_200600_302600_NS6detail15normal_iteratorINSA_10device_ptrItEEEEPS6_NSA_18transform_iteratorI7is_evenItESF_NSA_11use_defaultESK_EENS0_5tupleIJNSA_16discard_iteratorISK_EESO_EEENSM_IJSG_SG_EEES6_PlJS6_EEE10hipError_tPvRmT3_T4_T5_T6_T7_T9_mT8_P12ihipStream_tbDpT10_ENKUlT_T0_E_clISt17integral_constantIbLb0EES1B_EEDaS16_S17_EUlS16_E_NS1_11comp_targetILNS1_3genE8ELNS1_11target_archE1030ELNS1_3gpuE2ELNS1_3repE0EEENS1_30default_config_static_selectorELNS0_4arch9wavefront6targetE1EEEvT1_
; %bb.0:
	.section	.rodata,"a",@progbits
	.p2align	6, 0x0
	.amdhsa_kernel _ZN7rocprim17ROCPRIM_400000_NS6detail17trampoline_kernelINS0_14default_configENS1_25partition_config_selectorILNS1_17partition_subalgoE1EtNS0_10empty_typeEbEEZZNS1_14partition_implILS5_1ELb0ES3_jN6thrust23THRUST_200600_302600_NS6detail15normal_iteratorINSA_10device_ptrItEEEEPS6_NSA_18transform_iteratorI7is_evenItESF_NSA_11use_defaultESK_EENS0_5tupleIJNSA_16discard_iteratorISK_EESO_EEENSM_IJSG_SG_EEES6_PlJS6_EEE10hipError_tPvRmT3_T4_T5_T6_T7_T9_mT8_P12ihipStream_tbDpT10_ENKUlT_T0_E_clISt17integral_constantIbLb0EES1B_EEDaS16_S17_EUlS16_E_NS1_11comp_targetILNS1_3genE8ELNS1_11target_archE1030ELNS1_3gpuE2ELNS1_3repE0EEENS1_30default_config_static_selectorELNS0_4arch9wavefront6targetE1EEEvT1_
		.amdhsa_group_segment_fixed_size 0
		.amdhsa_private_segment_fixed_size 0
		.amdhsa_kernarg_size 144
		.amdhsa_user_sgpr_count 2
		.amdhsa_user_sgpr_dispatch_ptr 0
		.amdhsa_user_sgpr_queue_ptr 0
		.amdhsa_user_sgpr_kernarg_segment_ptr 1
		.amdhsa_user_sgpr_dispatch_id 0
		.amdhsa_user_sgpr_kernarg_preload_length 0
		.amdhsa_user_sgpr_kernarg_preload_offset 0
		.amdhsa_user_sgpr_private_segment_size 0
		.amdhsa_uses_dynamic_stack 0
		.amdhsa_enable_private_segment 0
		.amdhsa_system_sgpr_workgroup_id_x 1
		.amdhsa_system_sgpr_workgroup_id_y 0
		.amdhsa_system_sgpr_workgroup_id_z 0
		.amdhsa_system_sgpr_workgroup_info 0
		.amdhsa_system_vgpr_workitem_id 0
		.amdhsa_next_free_vgpr 1
		.amdhsa_next_free_sgpr 0
		.amdhsa_accum_offset 4
		.amdhsa_reserve_vcc 0
		.amdhsa_float_round_mode_32 0
		.amdhsa_float_round_mode_16_64 0
		.amdhsa_float_denorm_mode_32 3
		.amdhsa_float_denorm_mode_16_64 3
		.amdhsa_dx10_clamp 1
		.amdhsa_ieee_mode 1
		.amdhsa_fp16_overflow 0
		.amdhsa_tg_split 0
		.amdhsa_exception_fp_ieee_invalid_op 0
		.amdhsa_exception_fp_denorm_src 0
		.amdhsa_exception_fp_ieee_div_zero 0
		.amdhsa_exception_fp_ieee_overflow 0
		.amdhsa_exception_fp_ieee_underflow 0
		.amdhsa_exception_fp_ieee_inexact 0
		.amdhsa_exception_int_div_zero 0
	.end_amdhsa_kernel
	.section	.text._ZN7rocprim17ROCPRIM_400000_NS6detail17trampoline_kernelINS0_14default_configENS1_25partition_config_selectorILNS1_17partition_subalgoE1EtNS0_10empty_typeEbEEZZNS1_14partition_implILS5_1ELb0ES3_jN6thrust23THRUST_200600_302600_NS6detail15normal_iteratorINSA_10device_ptrItEEEEPS6_NSA_18transform_iteratorI7is_evenItESF_NSA_11use_defaultESK_EENS0_5tupleIJNSA_16discard_iteratorISK_EESO_EEENSM_IJSG_SG_EEES6_PlJS6_EEE10hipError_tPvRmT3_T4_T5_T6_T7_T9_mT8_P12ihipStream_tbDpT10_ENKUlT_T0_E_clISt17integral_constantIbLb0EES1B_EEDaS16_S17_EUlS16_E_NS1_11comp_targetILNS1_3genE8ELNS1_11target_archE1030ELNS1_3gpuE2ELNS1_3repE0EEENS1_30default_config_static_selectorELNS0_4arch9wavefront6targetE1EEEvT1_,"axG",@progbits,_ZN7rocprim17ROCPRIM_400000_NS6detail17trampoline_kernelINS0_14default_configENS1_25partition_config_selectorILNS1_17partition_subalgoE1EtNS0_10empty_typeEbEEZZNS1_14partition_implILS5_1ELb0ES3_jN6thrust23THRUST_200600_302600_NS6detail15normal_iteratorINSA_10device_ptrItEEEEPS6_NSA_18transform_iteratorI7is_evenItESF_NSA_11use_defaultESK_EENS0_5tupleIJNSA_16discard_iteratorISK_EESO_EEENSM_IJSG_SG_EEES6_PlJS6_EEE10hipError_tPvRmT3_T4_T5_T6_T7_T9_mT8_P12ihipStream_tbDpT10_ENKUlT_T0_E_clISt17integral_constantIbLb0EES1B_EEDaS16_S17_EUlS16_E_NS1_11comp_targetILNS1_3genE8ELNS1_11target_archE1030ELNS1_3gpuE2ELNS1_3repE0EEENS1_30default_config_static_selectorELNS0_4arch9wavefront6targetE1EEEvT1_,comdat
.Lfunc_end3074:
	.size	_ZN7rocprim17ROCPRIM_400000_NS6detail17trampoline_kernelINS0_14default_configENS1_25partition_config_selectorILNS1_17partition_subalgoE1EtNS0_10empty_typeEbEEZZNS1_14partition_implILS5_1ELb0ES3_jN6thrust23THRUST_200600_302600_NS6detail15normal_iteratorINSA_10device_ptrItEEEEPS6_NSA_18transform_iteratorI7is_evenItESF_NSA_11use_defaultESK_EENS0_5tupleIJNSA_16discard_iteratorISK_EESO_EEENSM_IJSG_SG_EEES6_PlJS6_EEE10hipError_tPvRmT3_T4_T5_T6_T7_T9_mT8_P12ihipStream_tbDpT10_ENKUlT_T0_E_clISt17integral_constantIbLb0EES1B_EEDaS16_S17_EUlS16_E_NS1_11comp_targetILNS1_3genE8ELNS1_11target_archE1030ELNS1_3gpuE2ELNS1_3repE0EEENS1_30default_config_static_selectorELNS0_4arch9wavefront6targetE1EEEvT1_, .Lfunc_end3074-_ZN7rocprim17ROCPRIM_400000_NS6detail17trampoline_kernelINS0_14default_configENS1_25partition_config_selectorILNS1_17partition_subalgoE1EtNS0_10empty_typeEbEEZZNS1_14partition_implILS5_1ELb0ES3_jN6thrust23THRUST_200600_302600_NS6detail15normal_iteratorINSA_10device_ptrItEEEEPS6_NSA_18transform_iteratorI7is_evenItESF_NSA_11use_defaultESK_EENS0_5tupleIJNSA_16discard_iteratorISK_EESO_EEENSM_IJSG_SG_EEES6_PlJS6_EEE10hipError_tPvRmT3_T4_T5_T6_T7_T9_mT8_P12ihipStream_tbDpT10_ENKUlT_T0_E_clISt17integral_constantIbLb0EES1B_EEDaS16_S17_EUlS16_E_NS1_11comp_targetILNS1_3genE8ELNS1_11target_archE1030ELNS1_3gpuE2ELNS1_3repE0EEENS1_30default_config_static_selectorELNS0_4arch9wavefront6targetE1EEEvT1_
                                        ; -- End function
	.section	.AMDGPU.csdata,"",@progbits
; Kernel info:
; codeLenInByte = 0
; NumSgprs: 6
; NumVgprs: 0
; NumAgprs: 0
; TotalNumVgprs: 0
; ScratchSize: 0
; MemoryBound: 0
; FloatMode: 240
; IeeeMode: 1
; LDSByteSize: 0 bytes/workgroup (compile time only)
; SGPRBlocks: 0
; VGPRBlocks: 0
; NumSGPRsForWavesPerEU: 6
; NumVGPRsForWavesPerEU: 1
; AccumOffset: 4
; Occupancy: 8
; WaveLimiterHint : 0
; COMPUTE_PGM_RSRC2:SCRATCH_EN: 0
; COMPUTE_PGM_RSRC2:USER_SGPR: 2
; COMPUTE_PGM_RSRC2:TRAP_HANDLER: 0
; COMPUTE_PGM_RSRC2:TGID_X_EN: 1
; COMPUTE_PGM_RSRC2:TGID_Y_EN: 0
; COMPUTE_PGM_RSRC2:TGID_Z_EN: 0
; COMPUTE_PGM_RSRC2:TIDIG_COMP_CNT: 0
; COMPUTE_PGM_RSRC3_GFX90A:ACCUM_OFFSET: 0
; COMPUTE_PGM_RSRC3_GFX90A:TG_SPLIT: 0
	.section	.text._ZN7rocprim17ROCPRIM_400000_NS6detail17trampoline_kernelINS0_14default_configENS1_25partition_config_selectorILNS1_17partition_subalgoE1EtNS0_10empty_typeEbEEZZNS1_14partition_implILS5_1ELb0ES3_jN6thrust23THRUST_200600_302600_NS6detail15normal_iteratorINSA_10device_ptrItEEEEPS6_NSA_18transform_iteratorI7is_evenItESF_NSA_11use_defaultESK_EENS0_5tupleIJNSA_16discard_iteratorISK_EESO_EEENSM_IJSG_SG_EEES6_PlJS6_EEE10hipError_tPvRmT3_T4_T5_T6_T7_T9_mT8_P12ihipStream_tbDpT10_ENKUlT_T0_E_clISt17integral_constantIbLb1EES1B_EEDaS16_S17_EUlS16_E_NS1_11comp_targetILNS1_3genE0ELNS1_11target_archE4294967295ELNS1_3gpuE0ELNS1_3repE0EEENS1_30default_config_static_selectorELNS0_4arch9wavefront6targetE1EEEvT1_,"axG",@progbits,_ZN7rocprim17ROCPRIM_400000_NS6detail17trampoline_kernelINS0_14default_configENS1_25partition_config_selectorILNS1_17partition_subalgoE1EtNS0_10empty_typeEbEEZZNS1_14partition_implILS5_1ELb0ES3_jN6thrust23THRUST_200600_302600_NS6detail15normal_iteratorINSA_10device_ptrItEEEEPS6_NSA_18transform_iteratorI7is_evenItESF_NSA_11use_defaultESK_EENS0_5tupleIJNSA_16discard_iteratorISK_EESO_EEENSM_IJSG_SG_EEES6_PlJS6_EEE10hipError_tPvRmT3_T4_T5_T6_T7_T9_mT8_P12ihipStream_tbDpT10_ENKUlT_T0_E_clISt17integral_constantIbLb1EES1B_EEDaS16_S17_EUlS16_E_NS1_11comp_targetILNS1_3genE0ELNS1_11target_archE4294967295ELNS1_3gpuE0ELNS1_3repE0EEENS1_30default_config_static_selectorELNS0_4arch9wavefront6targetE1EEEvT1_,comdat
	.protected	_ZN7rocprim17ROCPRIM_400000_NS6detail17trampoline_kernelINS0_14default_configENS1_25partition_config_selectorILNS1_17partition_subalgoE1EtNS0_10empty_typeEbEEZZNS1_14partition_implILS5_1ELb0ES3_jN6thrust23THRUST_200600_302600_NS6detail15normal_iteratorINSA_10device_ptrItEEEEPS6_NSA_18transform_iteratorI7is_evenItESF_NSA_11use_defaultESK_EENS0_5tupleIJNSA_16discard_iteratorISK_EESO_EEENSM_IJSG_SG_EEES6_PlJS6_EEE10hipError_tPvRmT3_T4_T5_T6_T7_T9_mT8_P12ihipStream_tbDpT10_ENKUlT_T0_E_clISt17integral_constantIbLb1EES1B_EEDaS16_S17_EUlS16_E_NS1_11comp_targetILNS1_3genE0ELNS1_11target_archE4294967295ELNS1_3gpuE0ELNS1_3repE0EEENS1_30default_config_static_selectorELNS0_4arch9wavefront6targetE1EEEvT1_ ; -- Begin function _ZN7rocprim17ROCPRIM_400000_NS6detail17trampoline_kernelINS0_14default_configENS1_25partition_config_selectorILNS1_17partition_subalgoE1EtNS0_10empty_typeEbEEZZNS1_14partition_implILS5_1ELb0ES3_jN6thrust23THRUST_200600_302600_NS6detail15normal_iteratorINSA_10device_ptrItEEEEPS6_NSA_18transform_iteratorI7is_evenItESF_NSA_11use_defaultESK_EENS0_5tupleIJNSA_16discard_iteratorISK_EESO_EEENSM_IJSG_SG_EEES6_PlJS6_EEE10hipError_tPvRmT3_T4_T5_T6_T7_T9_mT8_P12ihipStream_tbDpT10_ENKUlT_T0_E_clISt17integral_constantIbLb1EES1B_EEDaS16_S17_EUlS16_E_NS1_11comp_targetILNS1_3genE0ELNS1_11target_archE4294967295ELNS1_3gpuE0ELNS1_3repE0EEENS1_30default_config_static_selectorELNS0_4arch9wavefront6targetE1EEEvT1_
	.globl	_ZN7rocprim17ROCPRIM_400000_NS6detail17trampoline_kernelINS0_14default_configENS1_25partition_config_selectorILNS1_17partition_subalgoE1EtNS0_10empty_typeEbEEZZNS1_14partition_implILS5_1ELb0ES3_jN6thrust23THRUST_200600_302600_NS6detail15normal_iteratorINSA_10device_ptrItEEEEPS6_NSA_18transform_iteratorI7is_evenItESF_NSA_11use_defaultESK_EENS0_5tupleIJNSA_16discard_iteratorISK_EESO_EEENSM_IJSG_SG_EEES6_PlJS6_EEE10hipError_tPvRmT3_T4_T5_T6_T7_T9_mT8_P12ihipStream_tbDpT10_ENKUlT_T0_E_clISt17integral_constantIbLb1EES1B_EEDaS16_S17_EUlS16_E_NS1_11comp_targetILNS1_3genE0ELNS1_11target_archE4294967295ELNS1_3gpuE0ELNS1_3repE0EEENS1_30default_config_static_selectorELNS0_4arch9wavefront6targetE1EEEvT1_
	.p2align	8
	.type	_ZN7rocprim17ROCPRIM_400000_NS6detail17trampoline_kernelINS0_14default_configENS1_25partition_config_selectorILNS1_17partition_subalgoE1EtNS0_10empty_typeEbEEZZNS1_14partition_implILS5_1ELb0ES3_jN6thrust23THRUST_200600_302600_NS6detail15normal_iteratorINSA_10device_ptrItEEEEPS6_NSA_18transform_iteratorI7is_evenItESF_NSA_11use_defaultESK_EENS0_5tupleIJNSA_16discard_iteratorISK_EESO_EEENSM_IJSG_SG_EEES6_PlJS6_EEE10hipError_tPvRmT3_T4_T5_T6_T7_T9_mT8_P12ihipStream_tbDpT10_ENKUlT_T0_E_clISt17integral_constantIbLb1EES1B_EEDaS16_S17_EUlS16_E_NS1_11comp_targetILNS1_3genE0ELNS1_11target_archE4294967295ELNS1_3gpuE0ELNS1_3repE0EEENS1_30default_config_static_selectorELNS0_4arch9wavefront6targetE1EEEvT1_,@function
_ZN7rocprim17ROCPRIM_400000_NS6detail17trampoline_kernelINS0_14default_configENS1_25partition_config_selectorILNS1_17partition_subalgoE1EtNS0_10empty_typeEbEEZZNS1_14partition_implILS5_1ELb0ES3_jN6thrust23THRUST_200600_302600_NS6detail15normal_iteratorINSA_10device_ptrItEEEEPS6_NSA_18transform_iteratorI7is_evenItESF_NSA_11use_defaultESK_EENS0_5tupleIJNSA_16discard_iteratorISK_EESO_EEENSM_IJSG_SG_EEES6_PlJS6_EEE10hipError_tPvRmT3_T4_T5_T6_T7_T9_mT8_P12ihipStream_tbDpT10_ENKUlT_T0_E_clISt17integral_constantIbLb1EES1B_EEDaS16_S17_EUlS16_E_NS1_11comp_targetILNS1_3genE0ELNS1_11target_archE4294967295ELNS1_3gpuE0ELNS1_3repE0EEENS1_30default_config_static_selectorELNS0_4arch9wavefront6targetE1EEEvT1_: ; @_ZN7rocprim17ROCPRIM_400000_NS6detail17trampoline_kernelINS0_14default_configENS1_25partition_config_selectorILNS1_17partition_subalgoE1EtNS0_10empty_typeEbEEZZNS1_14partition_implILS5_1ELb0ES3_jN6thrust23THRUST_200600_302600_NS6detail15normal_iteratorINSA_10device_ptrItEEEEPS6_NSA_18transform_iteratorI7is_evenItESF_NSA_11use_defaultESK_EENS0_5tupleIJNSA_16discard_iteratorISK_EESO_EEENSM_IJSG_SG_EEES6_PlJS6_EEE10hipError_tPvRmT3_T4_T5_T6_T7_T9_mT8_P12ihipStream_tbDpT10_ENKUlT_T0_E_clISt17integral_constantIbLb1EES1B_EEDaS16_S17_EUlS16_E_NS1_11comp_targetILNS1_3genE0ELNS1_11target_archE4294967295ELNS1_3gpuE0ELNS1_3repE0EEENS1_30default_config_static_selectorELNS0_4arch9wavefront6targetE1EEEvT1_
; %bb.0:
	.section	.rodata,"a",@progbits
	.p2align	6, 0x0
	.amdhsa_kernel _ZN7rocprim17ROCPRIM_400000_NS6detail17trampoline_kernelINS0_14default_configENS1_25partition_config_selectorILNS1_17partition_subalgoE1EtNS0_10empty_typeEbEEZZNS1_14partition_implILS5_1ELb0ES3_jN6thrust23THRUST_200600_302600_NS6detail15normal_iteratorINSA_10device_ptrItEEEEPS6_NSA_18transform_iteratorI7is_evenItESF_NSA_11use_defaultESK_EENS0_5tupleIJNSA_16discard_iteratorISK_EESO_EEENSM_IJSG_SG_EEES6_PlJS6_EEE10hipError_tPvRmT3_T4_T5_T6_T7_T9_mT8_P12ihipStream_tbDpT10_ENKUlT_T0_E_clISt17integral_constantIbLb1EES1B_EEDaS16_S17_EUlS16_E_NS1_11comp_targetILNS1_3genE0ELNS1_11target_archE4294967295ELNS1_3gpuE0ELNS1_3repE0EEENS1_30default_config_static_selectorELNS0_4arch9wavefront6targetE1EEEvT1_
		.amdhsa_group_segment_fixed_size 0
		.amdhsa_private_segment_fixed_size 0
		.amdhsa_kernarg_size 160
		.amdhsa_user_sgpr_count 2
		.amdhsa_user_sgpr_dispatch_ptr 0
		.amdhsa_user_sgpr_queue_ptr 0
		.amdhsa_user_sgpr_kernarg_segment_ptr 1
		.amdhsa_user_sgpr_dispatch_id 0
		.amdhsa_user_sgpr_kernarg_preload_length 0
		.amdhsa_user_sgpr_kernarg_preload_offset 0
		.amdhsa_user_sgpr_private_segment_size 0
		.amdhsa_uses_dynamic_stack 0
		.amdhsa_enable_private_segment 0
		.amdhsa_system_sgpr_workgroup_id_x 1
		.amdhsa_system_sgpr_workgroup_id_y 0
		.amdhsa_system_sgpr_workgroup_id_z 0
		.amdhsa_system_sgpr_workgroup_info 0
		.amdhsa_system_vgpr_workitem_id 0
		.amdhsa_next_free_vgpr 1
		.amdhsa_next_free_sgpr 0
		.amdhsa_accum_offset 4
		.amdhsa_reserve_vcc 0
		.amdhsa_float_round_mode_32 0
		.amdhsa_float_round_mode_16_64 0
		.amdhsa_float_denorm_mode_32 3
		.amdhsa_float_denorm_mode_16_64 3
		.amdhsa_dx10_clamp 1
		.amdhsa_ieee_mode 1
		.amdhsa_fp16_overflow 0
		.amdhsa_tg_split 0
		.amdhsa_exception_fp_ieee_invalid_op 0
		.amdhsa_exception_fp_denorm_src 0
		.amdhsa_exception_fp_ieee_div_zero 0
		.amdhsa_exception_fp_ieee_overflow 0
		.amdhsa_exception_fp_ieee_underflow 0
		.amdhsa_exception_fp_ieee_inexact 0
		.amdhsa_exception_int_div_zero 0
	.end_amdhsa_kernel
	.section	.text._ZN7rocprim17ROCPRIM_400000_NS6detail17trampoline_kernelINS0_14default_configENS1_25partition_config_selectorILNS1_17partition_subalgoE1EtNS0_10empty_typeEbEEZZNS1_14partition_implILS5_1ELb0ES3_jN6thrust23THRUST_200600_302600_NS6detail15normal_iteratorINSA_10device_ptrItEEEEPS6_NSA_18transform_iteratorI7is_evenItESF_NSA_11use_defaultESK_EENS0_5tupleIJNSA_16discard_iteratorISK_EESO_EEENSM_IJSG_SG_EEES6_PlJS6_EEE10hipError_tPvRmT3_T4_T5_T6_T7_T9_mT8_P12ihipStream_tbDpT10_ENKUlT_T0_E_clISt17integral_constantIbLb1EES1B_EEDaS16_S17_EUlS16_E_NS1_11comp_targetILNS1_3genE0ELNS1_11target_archE4294967295ELNS1_3gpuE0ELNS1_3repE0EEENS1_30default_config_static_selectorELNS0_4arch9wavefront6targetE1EEEvT1_,"axG",@progbits,_ZN7rocprim17ROCPRIM_400000_NS6detail17trampoline_kernelINS0_14default_configENS1_25partition_config_selectorILNS1_17partition_subalgoE1EtNS0_10empty_typeEbEEZZNS1_14partition_implILS5_1ELb0ES3_jN6thrust23THRUST_200600_302600_NS6detail15normal_iteratorINSA_10device_ptrItEEEEPS6_NSA_18transform_iteratorI7is_evenItESF_NSA_11use_defaultESK_EENS0_5tupleIJNSA_16discard_iteratorISK_EESO_EEENSM_IJSG_SG_EEES6_PlJS6_EEE10hipError_tPvRmT3_T4_T5_T6_T7_T9_mT8_P12ihipStream_tbDpT10_ENKUlT_T0_E_clISt17integral_constantIbLb1EES1B_EEDaS16_S17_EUlS16_E_NS1_11comp_targetILNS1_3genE0ELNS1_11target_archE4294967295ELNS1_3gpuE0ELNS1_3repE0EEENS1_30default_config_static_selectorELNS0_4arch9wavefront6targetE1EEEvT1_,comdat
.Lfunc_end3075:
	.size	_ZN7rocprim17ROCPRIM_400000_NS6detail17trampoline_kernelINS0_14default_configENS1_25partition_config_selectorILNS1_17partition_subalgoE1EtNS0_10empty_typeEbEEZZNS1_14partition_implILS5_1ELb0ES3_jN6thrust23THRUST_200600_302600_NS6detail15normal_iteratorINSA_10device_ptrItEEEEPS6_NSA_18transform_iteratorI7is_evenItESF_NSA_11use_defaultESK_EENS0_5tupleIJNSA_16discard_iteratorISK_EESO_EEENSM_IJSG_SG_EEES6_PlJS6_EEE10hipError_tPvRmT3_T4_T5_T6_T7_T9_mT8_P12ihipStream_tbDpT10_ENKUlT_T0_E_clISt17integral_constantIbLb1EES1B_EEDaS16_S17_EUlS16_E_NS1_11comp_targetILNS1_3genE0ELNS1_11target_archE4294967295ELNS1_3gpuE0ELNS1_3repE0EEENS1_30default_config_static_selectorELNS0_4arch9wavefront6targetE1EEEvT1_, .Lfunc_end3075-_ZN7rocprim17ROCPRIM_400000_NS6detail17trampoline_kernelINS0_14default_configENS1_25partition_config_selectorILNS1_17partition_subalgoE1EtNS0_10empty_typeEbEEZZNS1_14partition_implILS5_1ELb0ES3_jN6thrust23THRUST_200600_302600_NS6detail15normal_iteratorINSA_10device_ptrItEEEEPS6_NSA_18transform_iteratorI7is_evenItESF_NSA_11use_defaultESK_EENS0_5tupleIJNSA_16discard_iteratorISK_EESO_EEENSM_IJSG_SG_EEES6_PlJS6_EEE10hipError_tPvRmT3_T4_T5_T6_T7_T9_mT8_P12ihipStream_tbDpT10_ENKUlT_T0_E_clISt17integral_constantIbLb1EES1B_EEDaS16_S17_EUlS16_E_NS1_11comp_targetILNS1_3genE0ELNS1_11target_archE4294967295ELNS1_3gpuE0ELNS1_3repE0EEENS1_30default_config_static_selectorELNS0_4arch9wavefront6targetE1EEEvT1_
                                        ; -- End function
	.section	.AMDGPU.csdata,"",@progbits
; Kernel info:
; codeLenInByte = 0
; NumSgprs: 6
; NumVgprs: 0
; NumAgprs: 0
; TotalNumVgprs: 0
; ScratchSize: 0
; MemoryBound: 0
; FloatMode: 240
; IeeeMode: 1
; LDSByteSize: 0 bytes/workgroup (compile time only)
; SGPRBlocks: 0
; VGPRBlocks: 0
; NumSGPRsForWavesPerEU: 6
; NumVGPRsForWavesPerEU: 1
; AccumOffset: 4
; Occupancy: 8
; WaveLimiterHint : 0
; COMPUTE_PGM_RSRC2:SCRATCH_EN: 0
; COMPUTE_PGM_RSRC2:USER_SGPR: 2
; COMPUTE_PGM_RSRC2:TRAP_HANDLER: 0
; COMPUTE_PGM_RSRC2:TGID_X_EN: 1
; COMPUTE_PGM_RSRC2:TGID_Y_EN: 0
; COMPUTE_PGM_RSRC2:TGID_Z_EN: 0
; COMPUTE_PGM_RSRC2:TIDIG_COMP_CNT: 0
; COMPUTE_PGM_RSRC3_GFX90A:ACCUM_OFFSET: 0
; COMPUTE_PGM_RSRC3_GFX90A:TG_SPLIT: 0
	.section	.text._ZN7rocprim17ROCPRIM_400000_NS6detail17trampoline_kernelINS0_14default_configENS1_25partition_config_selectorILNS1_17partition_subalgoE1EtNS0_10empty_typeEbEEZZNS1_14partition_implILS5_1ELb0ES3_jN6thrust23THRUST_200600_302600_NS6detail15normal_iteratorINSA_10device_ptrItEEEEPS6_NSA_18transform_iteratorI7is_evenItESF_NSA_11use_defaultESK_EENS0_5tupleIJNSA_16discard_iteratorISK_EESO_EEENSM_IJSG_SG_EEES6_PlJS6_EEE10hipError_tPvRmT3_T4_T5_T6_T7_T9_mT8_P12ihipStream_tbDpT10_ENKUlT_T0_E_clISt17integral_constantIbLb1EES1B_EEDaS16_S17_EUlS16_E_NS1_11comp_targetILNS1_3genE5ELNS1_11target_archE942ELNS1_3gpuE9ELNS1_3repE0EEENS1_30default_config_static_selectorELNS0_4arch9wavefront6targetE1EEEvT1_,"axG",@progbits,_ZN7rocprim17ROCPRIM_400000_NS6detail17trampoline_kernelINS0_14default_configENS1_25partition_config_selectorILNS1_17partition_subalgoE1EtNS0_10empty_typeEbEEZZNS1_14partition_implILS5_1ELb0ES3_jN6thrust23THRUST_200600_302600_NS6detail15normal_iteratorINSA_10device_ptrItEEEEPS6_NSA_18transform_iteratorI7is_evenItESF_NSA_11use_defaultESK_EENS0_5tupleIJNSA_16discard_iteratorISK_EESO_EEENSM_IJSG_SG_EEES6_PlJS6_EEE10hipError_tPvRmT3_T4_T5_T6_T7_T9_mT8_P12ihipStream_tbDpT10_ENKUlT_T0_E_clISt17integral_constantIbLb1EES1B_EEDaS16_S17_EUlS16_E_NS1_11comp_targetILNS1_3genE5ELNS1_11target_archE942ELNS1_3gpuE9ELNS1_3repE0EEENS1_30default_config_static_selectorELNS0_4arch9wavefront6targetE1EEEvT1_,comdat
	.protected	_ZN7rocprim17ROCPRIM_400000_NS6detail17trampoline_kernelINS0_14default_configENS1_25partition_config_selectorILNS1_17partition_subalgoE1EtNS0_10empty_typeEbEEZZNS1_14partition_implILS5_1ELb0ES3_jN6thrust23THRUST_200600_302600_NS6detail15normal_iteratorINSA_10device_ptrItEEEEPS6_NSA_18transform_iteratorI7is_evenItESF_NSA_11use_defaultESK_EENS0_5tupleIJNSA_16discard_iteratorISK_EESO_EEENSM_IJSG_SG_EEES6_PlJS6_EEE10hipError_tPvRmT3_T4_T5_T6_T7_T9_mT8_P12ihipStream_tbDpT10_ENKUlT_T0_E_clISt17integral_constantIbLb1EES1B_EEDaS16_S17_EUlS16_E_NS1_11comp_targetILNS1_3genE5ELNS1_11target_archE942ELNS1_3gpuE9ELNS1_3repE0EEENS1_30default_config_static_selectorELNS0_4arch9wavefront6targetE1EEEvT1_ ; -- Begin function _ZN7rocprim17ROCPRIM_400000_NS6detail17trampoline_kernelINS0_14default_configENS1_25partition_config_selectorILNS1_17partition_subalgoE1EtNS0_10empty_typeEbEEZZNS1_14partition_implILS5_1ELb0ES3_jN6thrust23THRUST_200600_302600_NS6detail15normal_iteratorINSA_10device_ptrItEEEEPS6_NSA_18transform_iteratorI7is_evenItESF_NSA_11use_defaultESK_EENS0_5tupleIJNSA_16discard_iteratorISK_EESO_EEENSM_IJSG_SG_EEES6_PlJS6_EEE10hipError_tPvRmT3_T4_T5_T6_T7_T9_mT8_P12ihipStream_tbDpT10_ENKUlT_T0_E_clISt17integral_constantIbLb1EES1B_EEDaS16_S17_EUlS16_E_NS1_11comp_targetILNS1_3genE5ELNS1_11target_archE942ELNS1_3gpuE9ELNS1_3repE0EEENS1_30default_config_static_selectorELNS0_4arch9wavefront6targetE1EEEvT1_
	.globl	_ZN7rocprim17ROCPRIM_400000_NS6detail17trampoline_kernelINS0_14default_configENS1_25partition_config_selectorILNS1_17partition_subalgoE1EtNS0_10empty_typeEbEEZZNS1_14partition_implILS5_1ELb0ES3_jN6thrust23THRUST_200600_302600_NS6detail15normal_iteratorINSA_10device_ptrItEEEEPS6_NSA_18transform_iteratorI7is_evenItESF_NSA_11use_defaultESK_EENS0_5tupleIJNSA_16discard_iteratorISK_EESO_EEENSM_IJSG_SG_EEES6_PlJS6_EEE10hipError_tPvRmT3_T4_T5_T6_T7_T9_mT8_P12ihipStream_tbDpT10_ENKUlT_T0_E_clISt17integral_constantIbLb1EES1B_EEDaS16_S17_EUlS16_E_NS1_11comp_targetILNS1_3genE5ELNS1_11target_archE942ELNS1_3gpuE9ELNS1_3repE0EEENS1_30default_config_static_selectorELNS0_4arch9wavefront6targetE1EEEvT1_
	.p2align	8
	.type	_ZN7rocprim17ROCPRIM_400000_NS6detail17trampoline_kernelINS0_14default_configENS1_25partition_config_selectorILNS1_17partition_subalgoE1EtNS0_10empty_typeEbEEZZNS1_14partition_implILS5_1ELb0ES3_jN6thrust23THRUST_200600_302600_NS6detail15normal_iteratorINSA_10device_ptrItEEEEPS6_NSA_18transform_iteratorI7is_evenItESF_NSA_11use_defaultESK_EENS0_5tupleIJNSA_16discard_iteratorISK_EESO_EEENSM_IJSG_SG_EEES6_PlJS6_EEE10hipError_tPvRmT3_T4_T5_T6_T7_T9_mT8_P12ihipStream_tbDpT10_ENKUlT_T0_E_clISt17integral_constantIbLb1EES1B_EEDaS16_S17_EUlS16_E_NS1_11comp_targetILNS1_3genE5ELNS1_11target_archE942ELNS1_3gpuE9ELNS1_3repE0EEENS1_30default_config_static_selectorELNS0_4arch9wavefront6targetE1EEEvT1_,@function
_ZN7rocprim17ROCPRIM_400000_NS6detail17trampoline_kernelINS0_14default_configENS1_25partition_config_selectorILNS1_17partition_subalgoE1EtNS0_10empty_typeEbEEZZNS1_14partition_implILS5_1ELb0ES3_jN6thrust23THRUST_200600_302600_NS6detail15normal_iteratorINSA_10device_ptrItEEEEPS6_NSA_18transform_iteratorI7is_evenItESF_NSA_11use_defaultESK_EENS0_5tupleIJNSA_16discard_iteratorISK_EESO_EEENSM_IJSG_SG_EEES6_PlJS6_EEE10hipError_tPvRmT3_T4_T5_T6_T7_T9_mT8_P12ihipStream_tbDpT10_ENKUlT_T0_E_clISt17integral_constantIbLb1EES1B_EEDaS16_S17_EUlS16_E_NS1_11comp_targetILNS1_3genE5ELNS1_11target_archE942ELNS1_3gpuE9ELNS1_3repE0EEENS1_30default_config_static_selectorELNS0_4arch9wavefront6targetE1EEEvT1_: ; @_ZN7rocprim17ROCPRIM_400000_NS6detail17trampoline_kernelINS0_14default_configENS1_25partition_config_selectorILNS1_17partition_subalgoE1EtNS0_10empty_typeEbEEZZNS1_14partition_implILS5_1ELb0ES3_jN6thrust23THRUST_200600_302600_NS6detail15normal_iteratorINSA_10device_ptrItEEEEPS6_NSA_18transform_iteratorI7is_evenItESF_NSA_11use_defaultESK_EENS0_5tupleIJNSA_16discard_iteratorISK_EESO_EEENSM_IJSG_SG_EEES6_PlJS6_EEE10hipError_tPvRmT3_T4_T5_T6_T7_T9_mT8_P12ihipStream_tbDpT10_ENKUlT_T0_E_clISt17integral_constantIbLb1EES1B_EEDaS16_S17_EUlS16_E_NS1_11comp_targetILNS1_3genE5ELNS1_11target_archE942ELNS1_3gpuE9ELNS1_3repE0EEENS1_30default_config_static_selectorELNS0_4arch9wavefront6targetE1EEEvT1_
; %bb.0:
	s_load_dwordx2 s[2:3], s[0:1], 0x20
	s_load_dwordx4 s[20:23], s[0:1], 0x60
	s_load_dwordx2 s[10:11], s[0:1], 0x70
	s_load_dwordx2 s[24:25], s[0:1], 0x80
	v_cmp_eq_u32_e64 s[18:19], 0, v0
	s_and_saveexec_b64 s[4:5], s[18:19]
	s_cbranch_execz .LBB3076_4
; %bb.1:
	s_mov_b64 s[8:9], exec
	v_mbcnt_lo_u32_b32 v1, s8, 0
	v_mbcnt_hi_u32_b32 v1, s9, v1
	v_cmp_eq_u32_e32 vcc, 0, v1
                                        ; implicit-def: $vgpr2
	s_and_saveexec_b64 s[6:7], vcc
	s_cbranch_execz .LBB3076_3
; %bb.2:
	s_load_dwordx2 s[12:13], s[0:1], 0x90
	s_bcnt1_i32_b64 s8, s[8:9]
	v_mov_b32_e32 v2, 0
	v_mov_b32_e32 v3, s8
	s_waitcnt lgkmcnt(0)
	global_atomic_add v2, v2, v3, s[12:13] sc0
.LBB3076_3:
	s_or_b64 exec, exec, s[6:7]
	s_waitcnt vmcnt(0)
	v_readfirstlane_b32 s6, v2
	v_mov_b32_e32 v2, 0
	s_nop 0
	v_add_u32_e32 v1, s6, v1
	ds_write_b32 v2, v1
.LBB3076_4:
	s_or_b64 exec, exec, s[4:5]
	v_mov_b32_e32 v3, 0
	s_load_dwordx4 s[4:7], s[0:1], 0x8
	s_load_dword s12, s[0:1], 0x88
	s_waitcnt lgkmcnt(0)
	s_barrier
	ds_read_b32 v1, v3
	s_waitcnt lgkmcnt(0)
	s_barrier
	global_load_dwordx2 v[14:15], v3, s[22:23]
	s_lshl_b64 s[8:9], s[6:7], 1
	v_mov_b32_e32 v5, s11
	s_add_u32 s11, s4, s8
	s_mul_i32 s4, s12, 0x3800
	s_addc_u32 s13, s5, s9
	s_add_i32 s1, s4, s6
	s_sub_i32 s14, s10, s1
	s_add_i32 s15, s12, -1
	s_addk_i32 s14, 0x3800
	s_add_u32 s4, s6, s4
	v_readfirstlane_b32 s30, v1
	s_addc_u32 s5, s7, 0
	s_cmp_eq_u32 s30, s15
	v_mov_b32_e32 v4, s10
	s_cselect_b64 s[22:23], -1, 0
	s_cmp_lg_u32 s30, s15
	s_mul_i32 s0, s30, 0x3800
	s_mov_b32 s1, 0
	v_cmp_lt_u64_e32 vcc, s[4:5], v[4:5]
	s_cselect_b64 s[4:5], -1, 0
	s_or_b64 s[4:5], vcc, s[4:5]
	s_lshl_b64 s[6:7], s[0:1], 1
	s_add_u32 s10, s11, s6
	s_addc_u32 s11, s13, s7
	s_mov_b64 s[0:1], -1
	s_and_b64 vcc, exec, s[4:5]
	s_cbranch_vccz .LBB3076_6
; %bb.5:
	v_lshlrev_b32_e32 v2, 1, v0
	v_lshl_add_u64 v[4:5], s[10:11], 0, v[2:3]
	v_add_co_u32_e32 v6, vcc, 0x1000, v4
	s_mov_b64 s[0:1], 0
	s_nop 0
	v_addc_co_u32_e32 v7, vcc, 0, v5, vcc
	flat_load_ushort v1, v[4:5]
	flat_load_ushort v3, v[4:5] offset:1024
	flat_load_ushort v10, v[4:5] offset:2048
	;; [unrolled: 1-line block ×3, first 2 shown]
	flat_load_ushort v12, v[6:7]
	flat_load_ushort v13, v[6:7] offset:1024
	flat_load_ushort v16, v[6:7] offset:2048
	;; [unrolled: 1-line block ×3, first 2 shown]
	v_add_co_u32_e32 v6, vcc, 0x2000, v4
	s_nop 1
	v_addc_co_u32_e32 v7, vcc, 0, v5, vcc
	v_add_co_u32_e32 v8, vcc, 0x3000, v4
	s_nop 1
	v_addc_co_u32_e32 v9, vcc, 0, v5, vcc
	flat_load_ushort v18, v[6:7]
	flat_load_ushort v19, v[6:7] offset:1024
	flat_load_ushort v20, v[6:7] offset:2048
	;; [unrolled: 1-line block ×3, first 2 shown]
	flat_load_ushort v22, v[8:9]
	flat_load_ushort v23, v[8:9] offset:1024
	flat_load_ushort v24, v[8:9] offset:2048
	;; [unrolled: 1-line block ×3, first 2 shown]
	v_add_co_u32_e32 v6, vcc, 0x4000, v4
	s_nop 1
	v_addc_co_u32_e32 v7, vcc, 0, v5, vcc
	v_add_co_u32_e32 v8, vcc, 0x5000, v4
	s_nop 1
	v_addc_co_u32_e32 v9, vcc, 0, v5, vcc
	v_add_co_u32_e32 v4, vcc, 0x6000, v4
	flat_load_ushort v26, v[6:7]
	flat_load_ushort v27, v[6:7] offset:1024
	flat_load_ushort v28, v[6:7] offset:2048
	;; [unrolled: 1-line block ×3, first 2 shown]
	flat_load_ushort v30, v[8:9]
	flat_load_ushort v31, v[8:9] offset:1024
	flat_load_ushort v32, v[8:9] offset:2048
	;; [unrolled: 1-line block ×3, first 2 shown]
	v_addc_co_u32_e32 v5, vcc, 0, v5, vcc
	flat_load_ushort v6, v[4:5]
	flat_load_ushort v7, v[4:5] offset:1024
	flat_load_ushort v8, v[4:5] offset:2048
	;; [unrolled: 1-line block ×3, first 2 shown]
	s_waitcnt vmcnt(0) lgkmcnt(0)
	ds_write_b16 v2, v1
	ds_write_b16 v2, v3 offset:1024
	ds_write_b16 v2, v10 offset:2048
	;; [unrolled: 1-line block ×27, first 2 shown]
	s_waitcnt lgkmcnt(0)
	s_barrier
.LBB3076_6:
	s_andn2_b64 vcc, exec, s[0:1]
	v_cmp_gt_u32_e64 s[0:1], s14, v0
	s_cbranch_vccnz .LBB3076_64
; %bb.7:
                                        ; implicit-def: $vgpr1
	s_and_saveexec_b64 s[12:13], s[0:1]
	s_cbranch_execz .LBB3076_9
; %bb.8:
	v_lshlrev_b32_e32 v2, 1, v0
	v_mov_b32_e32 v3, 0
	v_lshl_add_u64 v[2:3], s[10:11], 0, v[2:3]
	flat_load_ushort v1, v[2:3]
.LBB3076_9:
	s_or_b64 exec, exec, s[12:13]
	v_or_b32_e32 v2, 0x200, v0
	v_cmp_gt_u32_e32 vcc, s14, v2
                                        ; implicit-def: $vgpr2
	s_and_saveexec_b64 s[0:1], vcc
	s_cbranch_execz .LBB3076_11
; %bb.10:
	v_lshlrev_b32_e32 v2, 1, v0
	v_mov_b32_e32 v3, 0
	v_lshl_add_u64 v[2:3], s[10:11], 0, v[2:3]
	flat_load_ushort v2, v[2:3] offset:1024
.LBB3076_11:
	s_or_b64 exec, exec, s[0:1]
	v_or_b32_e32 v3, 0x400, v0
	v_cmp_gt_u32_e32 vcc, s14, v3
                                        ; implicit-def: $vgpr3
	s_and_saveexec_b64 s[0:1], vcc
	s_cbranch_execz .LBB3076_13
; %bb.12:
	v_lshlrev_b32_e32 v4, 1, v0
	v_mov_b32_e32 v5, 0
	v_lshl_add_u64 v[4:5], s[10:11], 0, v[4:5]
	flat_load_ushort v3, v[4:5] offset:2048
.LBB3076_13:
	s_or_b64 exec, exec, s[0:1]
	v_or_b32_e32 v4, 0x600, v0
	v_cmp_gt_u32_e32 vcc, s14, v4
                                        ; implicit-def: $vgpr4
	s_and_saveexec_b64 s[0:1], vcc
	s_cbranch_execz .LBB3076_15
; %bb.14:
	v_lshlrev_b32_e32 v4, 1, v0
	v_mov_b32_e32 v5, 0
	v_lshl_add_u64 v[4:5], s[10:11], 0, v[4:5]
	flat_load_ushort v4, v[4:5] offset:3072
.LBB3076_15:
	s_or_b64 exec, exec, s[0:1]
	v_or_b32_e32 v6, 0x800, v0
	v_cmp_gt_u32_e32 vcc, s14, v6
                                        ; implicit-def: $vgpr5
	s_and_saveexec_b64 s[0:1], vcc
	s_cbranch_execz .LBB3076_17
; %bb.16:
	v_lshlrev_b32_e32 v6, 1, v6
	v_mov_b32_e32 v7, 0
	v_lshl_add_u64 v[6:7], s[10:11], 0, v[6:7]
	flat_load_ushort v5, v[6:7]
.LBB3076_17:
	s_or_b64 exec, exec, s[0:1]
	v_or_b32_e32 v7, 0xa00, v0
	v_cmp_gt_u32_e32 vcc, s14, v7
                                        ; implicit-def: $vgpr6
	s_and_saveexec_b64 s[0:1], vcc
	s_cbranch_execz .LBB3076_19
; %bb.18:
	v_lshlrev_b32_e32 v6, 1, v7
	v_mov_b32_e32 v7, 0
	v_lshl_add_u64 v[6:7], s[10:11], 0, v[6:7]
	flat_load_ushort v6, v[6:7]
.LBB3076_19:
	s_or_b64 exec, exec, s[0:1]
	v_or_b32_e32 v8, 0xc00, v0
	v_cmp_gt_u32_e32 vcc, s14, v8
                                        ; implicit-def: $vgpr7
	s_and_saveexec_b64 s[0:1], vcc
	s_cbranch_execz .LBB3076_21
; %bb.20:
	v_lshlrev_b32_e32 v8, 1, v8
	v_mov_b32_e32 v9, 0
	v_lshl_add_u64 v[8:9], s[10:11], 0, v[8:9]
	flat_load_ushort v7, v[8:9]
.LBB3076_21:
	s_or_b64 exec, exec, s[0:1]
	v_or_b32_e32 v9, 0xe00, v0
	v_cmp_gt_u32_e32 vcc, s14, v9
                                        ; implicit-def: $vgpr8
	s_and_saveexec_b64 s[0:1], vcc
	s_cbranch_execz .LBB3076_23
; %bb.22:
	v_lshlrev_b32_e32 v8, 1, v9
	v_mov_b32_e32 v9, 0
	v_lshl_add_u64 v[8:9], s[10:11], 0, v[8:9]
	flat_load_ushort v8, v[8:9]
.LBB3076_23:
	s_or_b64 exec, exec, s[0:1]
	v_or_b32_e32 v10, 0x1000, v0
	v_cmp_gt_u32_e32 vcc, s14, v10
                                        ; implicit-def: $vgpr9
	s_and_saveexec_b64 s[0:1], vcc
	s_cbranch_execz .LBB3076_25
; %bb.24:
	v_lshlrev_b32_e32 v10, 1, v10
	v_mov_b32_e32 v11, 0
	v_lshl_add_u64 v[10:11], s[10:11], 0, v[10:11]
	flat_load_ushort v9, v[10:11]
.LBB3076_25:
	s_or_b64 exec, exec, s[0:1]
	v_or_b32_e32 v11, 0x1200, v0
	v_cmp_gt_u32_e32 vcc, s14, v11
                                        ; implicit-def: $vgpr10
	s_and_saveexec_b64 s[0:1], vcc
	s_cbranch_execz .LBB3076_27
; %bb.26:
	v_lshlrev_b32_e32 v10, 1, v11
	v_mov_b32_e32 v11, 0
	v_lshl_add_u64 v[10:11], s[10:11], 0, v[10:11]
	flat_load_ushort v10, v[10:11]
.LBB3076_27:
	s_or_b64 exec, exec, s[0:1]
	v_or_b32_e32 v12, 0x1400, v0
	v_cmp_gt_u32_e32 vcc, s14, v12
                                        ; implicit-def: $vgpr11
	s_and_saveexec_b64 s[0:1], vcc
	s_cbranch_execz .LBB3076_29
; %bb.28:
	v_lshlrev_b32_e32 v12, 1, v12
	v_mov_b32_e32 v13, 0
	v_lshl_add_u64 v[12:13], s[10:11], 0, v[12:13]
	flat_load_ushort v11, v[12:13]
.LBB3076_29:
	s_or_b64 exec, exec, s[0:1]
	v_or_b32_e32 v13, 0x1600, v0
	v_cmp_gt_u32_e32 vcc, s14, v13
                                        ; implicit-def: $vgpr12
	s_and_saveexec_b64 s[0:1], vcc
	s_cbranch_execz .LBB3076_31
; %bb.30:
	v_lshlrev_b32_e32 v12, 1, v13
	v_mov_b32_e32 v13, 0
	v_lshl_add_u64 v[12:13], s[10:11], 0, v[12:13]
	flat_load_ushort v12, v[12:13]
.LBB3076_31:
	s_or_b64 exec, exec, s[0:1]
	v_or_b32_e32 v16, 0x1800, v0
	v_cmp_gt_u32_e32 vcc, s14, v16
                                        ; implicit-def: $vgpr13
	s_and_saveexec_b64 s[0:1], vcc
	s_cbranch_execz .LBB3076_33
; %bb.32:
	v_lshlrev_b32_e32 v16, 1, v16
	v_mov_b32_e32 v17, 0
	v_lshl_add_u64 v[16:17], s[10:11], 0, v[16:17]
	flat_load_ushort v13, v[16:17]
.LBB3076_33:
	s_or_b64 exec, exec, s[0:1]
	v_or_b32_e32 v17, 0x1a00, v0
	v_cmp_gt_u32_e32 vcc, s14, v17
                                        ; implicit-def: $vgpr16
	s_and_saveexec_b64 s[0:1], vcc
	s_cbranch_execz .LBB3076_35
; %bb.34:
	v_lshlrev_b32_e32 v16, 1, v17
	v_mov_b32_e32 v17, 0
	v_lshl_add_u64 v[16:17], s[10:11], 0, v[16:17]
	flat_load_ushort v16, v[16:17]
.LBB3076_35:
	s_or_b64 exec, exec, s[0:1]
	v_or_b32_e32 v18, 0x1c00, v0
	v_cmp_gt_u32_e32 vcc, s14, v18
                                        ; implicit-def: $vgpr17
	s_and_saveexec_b64 s[0:1], vcc
	s_cbranch_execz .LBB3076_37
; %bb.36:
	v_lshlrev_b32_e32 v18, 1, v18
	v_mov_b32_e32 v19, 0
	v_lshl_add_u64 v[18:19], s[10:11], 0, v[18:19]
	flat_load_ushort v17, v[18:19]
.LBB3076_37:
	s_or_b64 exec, exec, s[0:1]
	v_or_b32_e32 v19, 0x1e00, v0
	v_cmp_gt_u32_e32 vcc, s14, v19
                                        ; implicit-def: $vgpr18
	s_and_saveexec_b64 s[0:1], vcc
	s_cbranch_execz .LBB3076_39
; %bb.38:
	v_lshlrev_b32_e32 v18, 1, v19
	v_mov_b32_e32 v19, 0
	v_lshl_add_u64 v[18:19], s[10:11], 0, v[18:19]
	flat_load_ushort v18, v[18:19]
.LBB3076_39:
	s_or_b64 exec, exec, s[0:1]
	v_or_b32_e32 v20, 0x2000, v0
	v_cmp_gt_u32_e32 vcc, s14, v20
                                        ; implicit-def: $vgpr19
	s_and_saveexec_b64 s[0:1], vcc
	s_cbranch_execz .LBB3076_41
; %bb.40:
	v_lshlrev_b32_e32 v20, 1, v20
	v_mov_b32_e32 v21, 0
	v_lshl_add_u64 v[20:21], s[10:11], 0, v[20:21]
	flat_load_ushort v19, v[20:21]
.LBB3076_41:
	s_or_b64 exec, exec, s[0:1]
	v_or_b32_e32 v21, 0x2200, v0
	v_cmp_gt_u32_e32 vcc, s14, v21
                                        ; implicit-def: $vgpr20
	s_and_saveexec_b64 s[0:1], vcc
	s_cbranch_execz .LBB3076_43
; %bb.42:
	v_lshlrev_b32_e32 v20, 1, v21
	v_mov_b32_e32 v21, 0
	v_lshl_add_u64 v[20:21], s[10:11], 0, v[20:21]
	flat_load_ushort v20, v[20:21]
.LBB3076_43:
	s_or_b64 exec, exec, s[0:1]
	v_or_b32_e32 v22, 0x2400, v0
	v_cmp_gt_u32_e32 vcc, s14, v22
                                        ; implicit-def: $vgpr21
	s_and_saveexec_b64 s[0:1], vcc
	s_cbranch_execz .LBB3076_45
; %bb.44:
	v_lshlrev_b32_e32 v22, 1, v22
	v_mov_b32_e32 v23, 0
	v_lshl_add_u64 v[22:23], s[10:11], 0, v[22:23]
	flat_load_ushort v21, v[22:23]
.LBB3076_45:
	s_or_b64 exec, exec, s[0:1]
	v_or_b32_e32 v23, 0x2600, v0
	v_cmp_gt_u32_e32 vcc, s14, v23
                                        ; implicit-def: $vgpr22
	s_and_saveexec_b64 s[0:1], vcc
	s_cbranch_execz .LBB3076_47
; %bb.46:
	v_lshlrev_b32_e32 v22, 1, v23
	v_mov_b32_e32 v23, 0
	v_lshl_add_u64 v[22:23], s[10:11], 0, v[22:23]
	flat_load_ushort v22, v[22:23]
.LBB3076_47:
	s_or_b64 exec, exec, s[0:1]
	v_or_b32_e32 v24, 0x2800, v0
	v_cmp_gt_u32_e32 vcc, s14, v24
                                        ; implicit-def: $vgpr23
	s_and_saveexec_b64 s[0:1], vcc
	s_cbranch_execz .LBB3076_49
; %bb.48:
	v_lshlrev_b32_e32 v24, 1, v24
	v_mov_b32_e32 v25, 0
	v_lshl_add_u64 v[24:25], s[10:11], 0, v[24:25]
	flat_load_ushort v23, v[24:25]
.LBB3076_49:
	s_or_b64 exec, exec, s[0:1]
	v_or_b32_e32 v25, 0x2a00, v0
	v_cmp_gt_u32_e32 vcc, s14, v25
                                        ; implicit-def: $vgpr24
	s_and_saveexec_b64 s[0:1], vcc
	s_cbranch_execz .LBB3076_51
; %bb.50:
	v_lshlrev_b32_e32 v24, 1, v25
	v_mov_b32_e32 v25, 0
	v_lshl_add_u64 v[24:25], s[10:11], 0, v[24:25]
	flat_load_ushort v24, v[24:25]
.LBB3076_51:
	s_or_b64 exec, exec, s[0:1]
	v_or_b32_e32 v26, 0x2c00, v0
	v_cmp_gt_u32_e32 vcc, s14, v26
                                        ; implicit-def: $vgpr25
	s_and_saveexec_b64 s[0:1], vcc
	s_cbranch_execz .LBB3076_53
; %bb.52:
	v_lshlrev_b32_e32 v26, 1, v26
	v_mov_b32_e32 v27, 0
	v_lshl_add_u64 v[26:27], s[10:11], 0, v[26:27]
	flat_load_ushort v25, v[26:27]
.LBB3076_53:
	s_or_b64 exec, exec, s[0:1]
	v_or_b32_e32 v27, 0x2e00, v0
	v_cmp_gt_u32_e32 vcc, s14, v27
                                        ; implicit-def: $vgpr26
	s_and_saveexec_b64 s[0:1], vcc
	s_cbranch_execz .LBB3076_55
; %bb.54:
	v_lshlrev_b32_e32 v26, 1, v27
	v_mov_b32_e32 v27, 0
	v_lshl_add_u64 v[26:27], s[10:11], 0, v[26:27]
	flat_load_ushort v26, v[26:27]
.LBB3076_55:
	s_or_b64 exec, exec, s[0:1]
	v_or_b32_e32 v28, 0x3000, v0
	v_cmp_gt_u32_e32 vcc, s14, v28
                                        ; implicit-def: $vgpr27
	s_and_saveexec_b64 s[0:1], vcc
	s_cbranch_execz .LBB3076_57
; %bb.56:
	v_lshlrev_b32_e32 v28, 1, v28
	v_mov_b32_e32 v29, 0
	v_lshl_add_u64 v[28:29], s[10:11], 0, v[28:29]
	flat_load_ushort v27, v[28:29]
.LBB3076_57:
	s_or_b64 exec, exec, s[0:1]
	v_or_b32_e32 v29, 0x3200, v0
	v_cmp_gt_u32_e32 vcc, s14, v29
                                        ; implicit-def: $vgpr28
	s_and_saveexec_b64 s[0:1], vcc
	s_cbranch_execz .LBB3076_59
; %bb.58:
	v_lshlrev_b32_e32 v28, 1, v29
	v_mov_b32_e32 v29, 0
	v_lshl_add_u64 v[28:29], s[10:11], 0, v[28:29]
	flat_load_ushort v28, v[28:29]
.LBB3076_59:
	s_or_b64 exec, exec, s[0:1]
	v_or_b32_e32 v30, 0x3400, v0
	v_cmp_gt_u32_e32 vcc, s14, v30
                                        ; implicit-def: $vgpr29
	s_and_saveexec_b64 s[0:1], vcc
	s_cbranch_execz .LBB3076_61
; %bb.60:
	v_lshlrev_b32_e32 v30, 1, v30
	v_mov_b32_e32 v31, 0
	v_lshl_add_u64 v[30:31], s[10:11], 0, v[30:31]
	flat_load_ushort v29, v[30:31]
.LBB3076_61:
	s_or_b64 exec, exec, s[0:1]
	v_or_b32_e32 v31, 0x3600, v0
	v_cmp_gt_u32_e32 vcc, s14, v31
                                        ; implicit-def: $vgpr30
	s_and_saveexec_b64 s[0:1], vcc
	s_cbranch_execz .LBB3076_63
; %bb.62:
	v_lshlrev_b32_e32 v30, 1, v31
	v_mov_b32_e32 v31, 0
	v_lshl_add_u64 v[30:31], s[10:11], 0, v[30:31]
	flat_load_ushort v30, v[30:31]
.LBB3076_63:
	s_or_b64 exec, exec, s[0:1]
	v_lshlrev_b32_e32 v31, 1, v0
	s_waitcnt vmcnt(0) lgkmcnt(0)
	ds_write_b16 v31, v1
	ds_write_b16 v31, v2 offset:1024
	ds_write_b16 v31, v3 offset:2048
	ds_write_b16 v31, v4 offset:3072
	ds_write_b16 v31, v5 offset:4096
	ds_write_b16 v31, v6 offset:5120
	ds_write_b16 v31, v7 offset:6144
	ds_write_b16 v31, v8 offset:7168
	ds_write_b16 v31, v9 offset:8192
	ds_write_b16 v31, v10 offset:9216
	ds_write_b16 v31, v11 offset:10240
	ds_write_b16 v31, v12 offset:11264
	ds_write_b16 v31, v13 offset:12288
	ds_write_b16 v31, v16 offset:13312
	ds_write_b16 v31, v17 offset:14336
	ds_write_b16 v31, v18 offset:15360
	ds_write_b16 v31, v19 offset:16384
	ds_write_b16 v31, v20 offset:17408
	ds_write_b16 v31, v21 offset:18432
	ds_write_b16 v31, v22 offset:19456
	ds_write_b16 v31, v23 offset:20480
	ds_write_b16 v31, v24 offset:21504
	ds_write_b16 v31, v25 offset:22528
	ds_write_b16 v31, v26 offset:23552
	ds_write_b16 v31, v27 offset:24576
	ds_write_b16 v31, v28 offset:25600
	ds_write_b16 v31, v29 offset:26624
	ds_write_b16 v31, v30 offset:27648
	s_waitcnt lgkmcnt(0)
	s_barrier
.LBB3076_64:
	v_mul_u32_u24_e32 v1, 28, v0
	v_lshlrev_b32_e32 v6, 1, v1
	ds_read_b64 v[16:17], v6 offset:48
	ds_read2_b64 v[2:5], v6 offset0:4 offset1:5
	ds_read2_b64 v[10:13], v6 offset1:1
	ds_read2_b64 v[6:9], v6 offset0:2 offset1:3
	s_add_u32 s0, s2, s8
	s_addc_u32 s1, s3, s9
	s_add_u32 s0, s0, s6
	s_addc_u32 s1, s1, s7
	s_mov_b64 s[2:3], -1
	s_and_b64 vcc, exec, s[4:5]
	s_waitcnt lgkmcnt(0)
	s_barrier
	s_cbranch_vccz .LBB3076_66
; %bb.65:
	v_lshlrev_b32_e32 v18, 1, v0
	v_mov_b32_e32 v19, 0
	v_lshl_add_u64 v[20:21], s[0:1], 0, v[18:19]
	s_movk_i32 s2, 0x1000
	global_load_ubyte v24, v18, s[0:1]
	global_load_ubyte v25, v18, s[0:1] offset:1024
	global_load_ubyte v26, v18, s[0:1] offset:2048
	;; [unrolled: 1-line block ×3, first 2 shown]
	v_add_co_u32_e32 v18, vcc, s2, v20
	s_movk_i32 s2, 0x2000
	s_nop 0
	v_addc_co_u32_e32 v19, vcc, 0, v21, vcc
	v_add_co_u32_e32 v22, vcc, s2, v20
	s_movk_i32 s2, 0x3000
	s_nop 0
	v_addc_co_u32_e32 v23, vcc, 0, v21, vcc
	global_load_ubyte v28, v[18:19], off offset:1024
	global_load_ubyte v29, v[18:19], off offset:2048
	;; [unrolled: 1-line block ×3, first 2 shown]
	global_load_ubyte v31, v[22:23], off offset:-4096
	global_load_ubyte v32, v[22:23], off
	global_load_ubyte v33, v[22:23], off offset:1024
	global_load_ubyte v34, v[22:23], off offset:2048
	;; [unrolled: 1-line block ×3, first 2 shown]
	v_add_co_u32_e32 v18, vcc, s2, v20
	s_movk_i32 s2, 0x4000
	s_nop 0
	v_addc_co_u32_e32 v19, vcc, 0, v21, vcc
	v_add_co_u32_e32 v22, vcc, s2, v20
	s_movk_i32 s3, 0x6000
	s_nop 0
	v_addc_co_u32_e32 v23, vcc, 0, v21, vcc
	global_load_ubyte v36, v[22:23], off offset:-4096
	global_load_ubyte v37, v[18:19], off offset:1024
	global_load_ubyte v38, v[18:19], off offset:2048
	global_load_ubyte v39, v[18:19], off offset:3072
	global_load_ubyte v40, v[22:23], off
	v_add_co_u32_e32 v18, vcc, s3, v20
	s_movk_i32 s2, 0x5000
	s_nop 0
	v_addc_co_u32_e32 v19, vcc, 0, v21, vcc
	v_add_co_u32_e32 v20, vcc, s2, v20
	global_load_ubyte v41, v[22:23], off offset:1024
	global_load_ubyte v42, v[22:23], off offset:2048
	;; [unrolled: 1-line block ×3, first 2 shown]
	global_load_ubyte v44, v[18:19], off offset:-4096
	v_addc_co_u32_e32 v21, vcc, 0, v21, vcc
	global_load_ubyte v22, v[20:21], off offset:1024
	global_load_ubyte v23, v[20:21], off offset:2048
	;; [unrolled: 1-line block ×3, first 2 shown]
	global_load_ubyte v46, v[18:19], off
	global_load_ubyte v47, v[18:19], off offset:1024
	global_load_ubyte v48, v[18:19], off offset:2048
	;; [unrolled: 1-line block ×3, first 2 shown]
	s_mov_b64 s[2:3], 0
	s_waitcnt vmcnt(27)
	v_xor_b32_e32 v18, -1, v24
	s_waitcnt vmcnt(26)
	v_xor_b32_e32 v19, -1, v25
	;; [unrolled: 2-line block ×4, first 2 shown]
	v_and_b32_e32 v18, 1, v18
	v_and_b32_e32 v19, 1, v19
	;; [unrolled: 1-line block ×3, first 2 shown]
	s_waitcnt vmcnt(23)
	v_xor_b32_e32 v25, -1, v28
	s_waitcnt vmcnt(22)
	v_xor_b32_e32 v26, -1, v29
	;; [unrolled: 2-line block ×8, first 2 shown]
	v_and_b32_e32 v21, 1, v21
	v_and_b32_e32 v24, 1, v24
	;; [unrolled: 1-line block ×6, first 2 shown]
	s_waitcnt vmcnt(15)
	v_xor_b32_e32 v32, -1, v36
	s_waitcnt vmcnt(14)
	v_xor_b32_e32 v33, -1, v37
	;; [unrolled: 2-line block ×5, first 2 shown]
	v_and_b32_e32 v29, 1, v29
	v_and_b32_e32 v30, 1, v30
	;; [unrolled: 1-line block ×4, first 2 shown]
	s_waitcnt vmcnt(10)
	v_xor_b32_e32 v37, -1, v41
	s_waitcnt vmcnt(9)
	v_xor_b32_e32 v38, -1, v42
	;; [unrolled: 2-line block ×11, first 2 shown]
	v_and_b32_e32 v33, 1, v33
	v_and_b32_e32 v34, 1, v34
	;; [unrolled: 1-line block ×15, first 2 shown]
	ds_write_b8 v0, v18
	ds_write_b8 v0, v19 offset:512
	ds_write_b8 v0, v20 offset:1024
	;; [unrolled: 1-line block ×27, first 2 shown]
	s_waitcnt lgkmcnt(0)
	s_barrier
.LBB3076_66:
	s_andn2_b64 vcc, exec, s[2:3]
	s_cbranch_vccnz .LBB3076_124
; %bb.67:
	v_cmp_gt_u32_e32 vcc, s14, v0
	v_mov_b32_e32 v18, 0
	v_mov_b32_e32 v19, 0
	s_and_saveexec_b64 s[2:3], vcc
	s_cbranch_execz .LBB3076_69
; %bb.68:
	v_lshlrev_b32_e32 v19, 1, v0
	global_load_ubyte v19, v19, s[0:1]
	s_waitcnt vmcnt(0)
	v_xor_b32_e32 v19, -1, v19
	v_and_b32_e32 v19, 1, v19
.LBB3076_69:
	s_or_b64 exec, exec, s[2:3]
	v_or_b32_e32 v20, 0x200, v0
	v_cmp_gt_u32_e32 vcc, s14, v20
	s_and_saveexec_b64 s[2:3], vcc
	s_cbranch_execz .LBB3076_71
; %bb.70:
	v_lshlrev_b32_e32 v18, 1, v0
	global_load_ubyte v18, v18, s[0:1] offset:1024
	s_waitcnt vmcnt(0)
	v_xor_b32_e32 v18, -1, v18
	v_and_b32_e32 v18, 1, v18
.LBB3076_71:
	s_or_b64 exec, exec, s[2:3]
	v_or_b32_e32 v20, 0x400, v0
	v_cmp_gt_u32_e32 vcc, s14, v20
	v_mov_b32_e32 v20, 0
	v_mov_b32_e32 v21, 0
	s_and_saveexec_b64 s[2:3], vcc
	s_cbranch_execz .LBB3076_73
; %bb.72:
	v_lshlrev_b32_e32 v21, 1, v0
	global_load_ubyte v21, v21, s[0:1] offset:2048
	s_waitcnt vmcnt(0)
	v_xor_b32_e32 v21, -1, v21
	v_and_b32_e32 v21, 1, v21
.LBB3076_73:
	s_or_b64 exec, exec, s[2:3]
	v_or_b32_e32 v22, 0x600, v0
	v_cmp_gt_u32_e32 vcc, s14, v22
	s_and_saveexec_b64 s[2:3], vcc
	s_cbranch_execz .LBB3076_75
; %bb.74:
	v_lshlrev_b32_e32 v20, 1, v0
	global_load_ubyte v20, v20, s[0:1] offset:3072
	s_waitcnt vmcnt(0)
	v_xor_b32_e32 v20, -1, v20
	v_and_b32_e32 v20, 1, v20
.LBB3076_75:
	s_or_b64 exec, exec, s[2:3]
	v_or_b32_e32 v24, 0x800, v0
	v_cmp_gt_u32_e32 vcc, s14, v24
	v_mov_b32_e32 v22, 0
	v_mov_b32_e32 v23, 0
	s_and_saveexec_b64 s[2:3], vcc
	s_cbranch_execz .LBB3076_77
; %bb.76:
	v_lshlrev_b32_e32 v23, 1, v24
	global_load_ubyte v23, v23, s[0:1]
	s_waitcnt vmcnt(0)
	v_xor_b32_e32 v23, -1, v23
	v_and_b32_e32 v23, 1, v23
.LBB3076_77:
	s_or_b64 exec, exec, s[2:3]
	v_or_b32_e32 v24, 0xa00, v0
	v_cmp_gt_u32_e32 vcc, s14, v24
	s_and_saveexec_b64 s[2:3], vcc
	s_cbranch_execz .LBB3076_79
; %bb.78:
	v_lshlrev_b32_e32 v22, 1, v24
	global_load_ubyte v22, v22, s[0:1]
	s_waitcnt vmcnt(0)
	v_xor_b32_e32 v22, -1, v22
	v_and_b32_e32 v22, 1, v22
.LBB3076_79:
	s_or_b64 exec, exec, s[2:3]
	v_or_b32_e32 v26, 0xc00, v0
	v_cmp_gt_u32_e32 vcc, s14, v26
	v_mov_b32_e32 v24, 0
	v_mov_b32_e32 v25, 0
	s_and_saveexec_b64 s[2:3], vcc
	s_cbranch_execz .LBB3076_81
; %bb.80:
	v_lshlrev_b32_e32 v25, 1, v26
	global_load_ubyte v25, v25, s[0:1]
	s_waitcnt vmcnt(0)
	v_xor_b32_e32 v25, -1, v25
	v_and_b32_e32 v25, 1, v25
.LBB3076_81:
	s_or_b64 exec, exec, s[2:3]
	v_or_b32_e32 v26, 0xe00, v0
	v_cmp_gt_u32_e32 vcc, s14, v26
	s_and_saveexec_b64 s[2:3], vcc
	s_cbranch_execz .LBB3076_83
; %bb.82:
	v_lshlrev_b32_e32 v24, 1, v26
	global_load_ubyte v24, v24, s[0:1]
	s_waitcnt vmcnt(0)
	v_xor_b32_e32 v24, -1, v24
	v_and_b32_e32 v24, 1, v24
.LBB3076_83:
	;; [unrolled: 26-line block ×12, first 2 shown]
	s_or_b64 exec, exec, s[2:3]
	ds_write_b8 v0, v19
	ds_write_b8 v0, v18 offset:512
	ds_write_b8 v0, v21 offset:1024
	;; [unrolled: 1-line block ×27, first 2 shown]
	s_waitcnt lgkmcnt(0)
	s_barrier
.LBB3076_124:
	ds_read2_b32 v[22:23], v1 offset1:1
	ds_read2_b32 v[20:21], v1 offset0:2 offset1:3
	ds_read2_b32 v[18:19], v1 offset0:4 offset1:5
	ds_read_b32 v35, v1 offset:24
	s_cmp_lg_u32 s30, 0
	v_lshrrev_b32_e32 v62, 6, v0
	s_waitcnt lgkmcnt(2)
	v_and_b32_e32 v54, 0xff, v20
	v_lshrrev_b32_e32 v42, 24, v22
	v_bfe_u32 v60, v22, 16, 8
	v_add_u32_sdwa v24, v22, v22 dst_sel:DWORD dst_unused:UNUSED_PAD src0_sel:BYTE_1 src1_sel:BYTE_0
	v_and_b32_e32 v57, 0xff, v23
	v_bfe_u32 v58, v23, 8, 8
	v_add3_u32 v24, v24, v60, v42
	v_lshrrev_b32_e32 v41, 24, v23
	v_bfe_u32 v59, v23, 16, 8
	v_add3_u32 v24, v24, v57, v58
	v_bfe_u32 v55, v20, 8, 8
	v_add3_u32 v24, v24, v59, v41
	v_lshrrev_b32_e32 v40, 24, v20
	v_bfe_u32 v56, v20, 16, 8
	v_add3_u32 v24, v24, v54, v55
	v_and_b32_e32 v51, 0xff, v21
	v_bfe_u32 v52, v21, 8, 8
	v_add3_u32 v24, v24, v56, v40
	v_lshrrev_b32_e32 v39, 24, v21
	v_bfe_u32 v53, v21, 16, 8
	v_add3_u32 v24, v24, v51, v52
	s_waitcnt lgkmcnt(1)
	v_and_b32_e32 v48, 0xff, v18
	v_bfe_u32 v49, v18, 8, 8
	v_add3_u32 v24, v24, v53, v39
	v_lshrrev_b32_e32 v38, 24, v18
	v_bfe_u32 v50, v18, 16, 8
	v_add3_u32 v24, v24, v48, v49
	v_and_b32_e32 v45, 0xff, v19
	v_bfe_u32 v46, v19, 8, 8
	v_add3_u32 v24, v24, v50, v38
	v_lshrrev_b32_e32 v37, 24, v19
	v_bfe_u32 v47, v19, 16, 8
	v_add3_u32 v24, v24, v45, v46
	s_waitcnt lgkmcnt(0)
	v_and_b32_e32 v43, 0xff, v35
	v_bfe_u32 v44, v35, 8, 8
	v_add3_u32 v24, v24, v47, v37
	v_lshrrev_b32_e32 v34, 24, v35
	v_bfe_u32 v36, v35, 16, 8
	v_add3_u32 v24, v24, v43, v44
	v_add3_u32 v63, v24, v36, v34
	v_mbcnt_lo_u32_b32 v24, -1, 0
	v_mbcnt_hi_u32_b32 v61, -1, v24
	v_and_b32_e32 v24, 15, v61
	v_cmp_eq_u32_e64 s[14:15], 0, v24
	v_cmp_lt_u32_e64 s[12:13], 1, v24
	v_cmp_lt_u32_e64 s[10:11], 3, v24
	;; [unrolled: 1-line block ×3, first 2 shown]
	v_and_b32_e32 v24, 16, v61
	v_cmp_eq_u32_e64 s[6:7], 0, v24
	v_or_b32_e32 v24, 63, v0
	v_cmp_lt_u32_e64 s[2:3], 31, v61
	v_cmp_eq_u32_e64 s[4:5], v24, v0
	s_barrier
	s_cbranch_scc0 .LBB3076_155
; %bb.125:
	v_mov_b32_dpp v24, v63 row_shr:1 row_mask:0xf bank_mask:0xf
	v_cndmask_b32_e64 v24, v24, 0, s[14:15]
	v_add_u32_e32 v24, v24, v63
	s_nop 1
	v_mov_b32_dpp v25, v24 row_shr:2 row_mask:0xf bank_mask:0xf
	v_cndmask_b32_e64 v25, 0, v25, s[12:13]
	v_add_u32_e32 v24, v24, v25
	s_nop 1
	;; [unrolled: 4-line block ×4, first 2 shown]
	v_mov_b32_dpp v25, v24 row_bcast:15 row_mask:0xf bank_mask:0xf
	v_cndmask_b32_e64 v25, v25, 0, s[6:7]
	v_add_u32_e32 v24, v24, v25
	s_nop 1
	v_mov_b32_dpp v25, v24 row_bcast:31 row_mask:0xf bank_mask:0xf
	v_cndmask_b32_e64 v25, 0, v25, s[2:3]
	v_add_u32_e32 v24, v24, v25
	s_and_saveexec_b64 s[0:1], s[4:5]
	s_cbranch_execz .LBB3076_127
; %bb.126:
	v_lshlrev_b32_e32 v25, 2, v62
	ds_write_b32 v25, v24
.LBB3076_127:
	s_or_b64 exec, exec, s[0:1]
	v_cmp_gt_u32_e32 vcc, 8, v0
	s_waitcnt lgkmcnt(0)
	s_barrier
	s_and_saveexec_b64 s[0:1], vcc
	s_cbranch_execz .LBB3076_129
; %bb.128:
	v_lshlrev_b32_e32 v25, 2, v0
	ds_read_b32 v26, v25
	v_and_b32_e32 v27, 7, v61
	v_cmp_ne_u32_e32 vcc, 0, v27
	s_waitcnt lgkmcnt(0)
	v_mov_b32_dpp v28, v26 row_shr:1 row_mask:0xf bank_mask:0xf
	v_cndmask_b32_e32 v28, 0, v28, vcc
	v_add_u32_e32 v26, v28, v26
	v_cmp_lt_u32_e32 vcc, 1, v27
	s_nop 0
	v_mov_b32_dpp v28, v26 row_shr:2 row_mask:0xf bank_mask:0xf
	v_cndmask_b32_e32 v28, 0, v28, vcc
	v_add_u32_e32 v26, v26, v28
	v_cmp_lt_u32_e32 vcc, 3, v27
	s_nop 0
	v_mov_b32_dpp v28, v26 row_shr:4 row_mask:0xf bank_mask:0xf
	v_cndmask_b32_e32 v27, 0, v28, vcc
	v_add_u32_e32 v26, v26, v27
	ds_write_b32 v25, v26
.LBB3076_129:
	s_or_b64 exec, exec, s[0:1]
	v_cmp_gt_u32_e32 vcc, 64, v0
	v_cmp_lt_u32_e64 s[0:1], 63, v0
	s_waitcnt lgkmcnt(0)
	s_barrier
	s_waitcnt lgkmcnt(0)
                                        ; implicit-def: $vgpr64
	s_and_saveexec_b64 s[16:17], s[0:1]
	s_cbranch_execz .LBB3076_131
; %bb.130:
	v_lshl_add_u32 v25, v62, 2, -4
	ds_read_b32 v64, v25
	s_waitcnt lgkmcnt(0)
	v_add_u32_e32 v24, v64, v24
.LBB3076_131:
	s_or_b64 exec, exec, s[16:17]
	v_add_u32_e32 v25, -1, v61
	v_and_b32_e32 v26, 64, v61
	v_cmp_lt_i32_e64 s[0:1], v25, v26
	v_cmp_eq_u32_e64 s[16:17], 0, v61
	s_nop 0
	v_cndmask_b32_e64 v25, v25, v61, s[0:1]
	v_lshlrev_b32_e32 v25, 2, v25
	ds_bpermute_b32 v65, v25, v24
	s_and_saveexec_b64 s[0:1], vcc
	s_cbranch_execz .LBB3076_154
; %bb.132:
	v_mov_b32_e32 v33, 0
	ds_read_b32 v24, v33 offset:28
	s_and_saveexec_b64 s[26:27], s[16:17]
	s_cbranch_execz .LBB3076_134
; %bb.133:
	s_add_i32 s28, s30, 64
	s_mov_b32 s29, 0
	s_lshl_b64 s[28:29], s[28:29], 3
	s_add_u32 s28, s24, s28
	v_mov_b32_e32 v25, 1
	s_addc_u32 s29, s25, s29
	s_waitcnt lgkmcnt(0)
	global_store_dwordx2 v33, v[24:25], s[28:29] sc1
.LBB3076_134:
	s_or_b64 exec, exec, s[26:27]
	v_xad_u32 v26, v61, -1, s30
	v_add_u32_e32 v32, 64, v26
	v_lshl_add_u64 v[28:29], v[32:33], 3, s[24:25]
	global_load_dwordx2 v[30:31], v[28:29], off sc1
	s_waitcnt vmcnt(0)
	v_cmp_eq_u16_sdwa s[28:29], v31, v33 src0_sel:BYTE_0 src1_sel:DWORD
	s_and_saveexec_b64 s[26:27], s[28:29]
	s_cbranch_execz .LBB3076_140
; %bb.135:
	s_mov_b32 s31, 1
	s_mov_b64 s[28:29], 0
	v_mov_b32_e32 v25, 0
.LBB3076_136:                           ; =>This Loop Header: Depth=1
                                        ;     Child Loop BB3076_137 Depth 2
	s_max_u32 s33, s31, 1
.LBB3076_137:                           ;   Parent Loop BB3076_136 Depth=1
                                        ; =>  This Inner Loop Header: Depth=2
	s_add_i32 s33, s33, -1
	s_cmp_eq_u32 s33, 0
	s_sleep 1
	s_cbranch_scc0 .LBB3076_137
; %bb.138:                              ;   in Loop: Header=BB3076_136 Depth=1
	global_load_dwordx2 v[30:31], v[28:29], off sc1
	s_cmp_lt_u32 s31, 32
	s_cselect_b64 s[34:35], -1, 0
	s_cmp_lg_u64 s[34:35], 0
	s_addc_u32 s31, s31, 0
	s_waitcnt vmcnt(0)
	v_cmp_ne_u16_sdwa s[34:35], v31, v25 src0_sel:BYTE_0 src1_sel:DWORD
	s_or_b64 s[28:29], s[34:35], s[28:29]
	s_andn2_b64 exec, exec, s[28:29]
	s_cbranch_execnz .LBB3076_136
; %bb.139:
	s_or_b64 exec, exec, s[28:29]
.LBB3076_140:
	s_or_b64 exec, exec, s[26:27]
	v_and_b32_e32 v67, 63, v61
	v_mov_b32_e32 v66, 2
	v_cmp_ne_u32_e32 vcc, 63, v67
	v_cmp_eq_u16_sdwa s[26:27], v31, v66 src0_sel:BYTE_0 src1_sel:DWORD
	v_lshlrev_b64 v[28:29], v61, -1
	v_addc_co_u32_e32 v32, vcc, 0, v61, vcc
	v_and_b32_e32 v25, s27, v29
	v_lshlrev_b32_e32 v68, 2, v32
	v_or_b32_e32 v25, 0x80000000, v25
	ds_bpermute_b32 v32, v68, v30
	v_and_b32_e32 v27, s26, v28
	v_ffbl_b32_e32 v25, v25
	v_add_u32_e32 v25, 32, v25
	v_ffbl_b32_e32 v27, v27
	v_min_u32_e32 v25, v27, v25
	v_cmp_lt_u32_e32 vcc, v67, v25
	v_add_u32_e32 v70, 2, v67
	v_add_u32_e32 v72, 4, v67
	s_waitcnt lgkmcnt(0)
	v_cndmask_b32_e32 v27, 0, v32, vcc
	v_cmp_gt_u32_e32 vcc, 62, v67
	v_add_u32_e32 v27, v27, v30
	v_add_u32_e32 v74, 8, v67
	v_cndmask_b32_e64 v30, 0, 1, vcc
	v_lshlrev_b32_e32 v30, 1, v30
	v_add_lshl_u32 v69, v30, v61, 2
	ds_bpermute_b32 v30, v69, v27
	v_cmp_le_u32_e32 vcc, v70, v25
	v_add_u32_e32 v76, 16, v67
	v_add_u32_e32 v78, 32, v67
	s_waitcnt lgkmcnt(0)
	v_cndmask_b32_e32 v30, 0, v30, vcc
	v_cmp_gt_u32_e32 vcc, 60, v67
	v_add_u32_e32 v27, v27, v30
	s_nop 0
	v_cndmask_b32_e64 v30, 0, 1, vcc
	v_lshlrev_b32_e32 v30, 2, v30
	v_add_lshl_u32 v71, v30, v61, 2
	ds_bpermute_b32 v30, v71, v27
	v_cmp_le_u32_e32 vcc, v72, v25
	s_waitcnt lgkmcnt(0)
	s_nop 0
	v_cndmask_b32_e32 v30, 0, v30, vcc
	v_cmp_gt_u32_e32 vcc, 56, v67
	v_add_u32_e32 v27, v27, v30
	s_nop 0
	v_cndmask_b32_e64 v30, 0, 1, vcc
	v_lshlrev_b32_e32 v30, 3, v30
	v_add_lshl_u32 v73, v30, v61, 2
	ds_bpermute_b32 v30, v73, v27
	v_cmp_le_u32_e32 vcc, v74, v25
	s_waitcnt lgkmcnt(0)
	s_nop 0
	v_cndmask_b32_e32 v30, 0, v30, vcc
	v_cmp_gt_u32_e32 vcc, 48, v67
	v_add_u32_e32 v27, v27, v30
	s_nop 0
	v_cndmask_b32_e64 v30, 0, 1, vcc
	v_lshlrev_b32_e32 v30, 4, v30
	v_add_lshl_u32 v75, v30, v61, 2
	ds_bpermute_b32 v30, v75, v27
	v_cmp_le_u32_e32 vcc, v76, v25
	s_waitcnt lgkmcnt(0)
	s_nop 0
	v_cndmask_b32_e32 v30, 0, v30, vcc
	v_cmp_gt_u32_e32 vcc, 32, v67
	v_add_u32_e32 v27, v27, v30
	s_nop 0
	v_cndmask_b32_e64 v30, 0, 1, vcc
	v_lshlrev_b32_e32 v30, 5, v30
	v_add_lshl_u32 v77, v30, v61, 2
	ds_bpermute_b32 v30, v77, v27
	v_cmp_le_u32_e32 vcc, v78, v25
	s_waitcnt lgkmcnt(0)
	s_nop 0
	v_cndmask_b32_e32 v25, 0, v30, vcc
	v_add_u32_e32 v30, v27, v25
	v_mov_b32_e32 v27, 0
	s_branch .LBB3076_142
.LBB3076_141:                           ;   in Loop: Header=BB3076_142 Depth=1
	s_or_b64 exec, exec, s[26:27]
	v_cmp_eq_u16_sdwa s[26:27], v31, v66 src0_sel:BYTE_0 src1_sel:DWORD
	ds_bpermute_b32 v79, v68, v30
	v_subrev_u32_e32 v26, 64, v26
	v_and_b32_e32 v32, s27, v29
	v_or_b32_e32 v32, 0x80000000, v32
	v_and_b32_e32 v33, s26, v28
	v_ffbl_b32_e32 v32, v32
	v_add_u32_e32 v32, 32, v32
	v_ffbl_b32_e32 v33, v33
	v_min_u32_e32 v32, v33, v32
	v_cmp_lt_u32_e32 vcc, v67, v32
	s_waitcnt lgkmcnt(0)
	s_nop 0
	v_cndmask_b32_e32 v33, 0, v79, vcc
	v_add_u32_e32 v30, v33, v30
	ds_bpermute_b32 v33, v69, v30
	v_cmp_le_u32_e32 vcc, v70, v32
	s_waitcnt lgkmcnt(0)
	s_nop 0
	v_cndmask_b32_e32 v33, 0, v33, vcc
	v_add_u32_e32 v30, v30, v33
	ds_bpermute_b32 v33, v71, v30
	v_cmp_le_u32_e32 vcc, v72, v32
	;; [unrolled: 6-line block ×5, first 2 shown]
	s_waitcnt lgkmcnt(0)
	s_nop 0
	v_cndmask_b32_e32 v32, 0, v33, vcc
	v_add3_u32 v30, v32, v25, v30
.LBB3076_142:                           ; =>This Loop Header: Depth=1
                                        ;     Child Loop BB3076_145 Depth 2
                                        ;       Child Loop BB3076_146 Depth 3
	v_cmp_ne_u16_sdwa s[26:27], v31, v66 src0_sel:BYTE_0 src1_sel:DWORD
	s_nop 1
	v_cndmask_b32_e64 v25, 0, 1, s[26:27]
	;;#ASMSTART
	;;#ASMEND
	s_nop 0
	v_cmp_ne_u32_e32 vcc, 0, v25
	s_cmp_lg_u64 vcc, exec
	v_mov_b32_e32 v25, v30
	s_cbranch_scc1 .LBB3076_149
; %bb.143:                              ;   in Loop: Header=BB3076_142 Depth=1
	v_lshl_add_u64 v[32:33], v[26:27], 3, s[24:25]
	global_load_dwordx2 v[30:31], v[32:33], off sc1
	s_waitcnt vmcnt(0)
	v_cmp_eq_u16_sdwa s[28:29], v31, v27 src0_sel:BYTE_0 src1_sel:DWORD
	s_and_saveexec_b64 s[26:27], s[28:29]
	s_cbranch_execz .LBB3076_141
; %bb.144:                              ;   in Loop: Header=BB3076_142 Depth=1
	s_mov_b32 s31, 1
	s_mov_b64 s[28:29], 0
.LBB3076_145:                           ;   Parent Loop BB3076_142 Depth=1
                                        ; =>  This Loop Header: Depth=2
                                        ;       Child Loop BB3076_146 Depth 3
	s_max_u32 s33, s31, 1
.LBB3076_146:                           ;   Parent Loop BB3076_142 Depth=1
                                        ;     Parent Loop BB3076_145 Depth=2
                                        ; =>    This Inner Loop Header: Depth=3
	s_add_i32 s33, s33, -1
	s_cmp_eq_u32 s33, 0
	s_sleep 1
	s_cbranch_scc0 .LBB3076_146
; %bb.147:                              ;   in Loop: Header=BB3076_145 Depth=2
	global_load_dwordx2 v[30:31], v[32:33], off sc1
	s_cmp_lt_u32 s31, 32
	s_cselect_b64 s[34:35], -1, 0
	s_cmp_lg_u64 s[34:35], 0
	s_addc_u32 s31, s31, 0
	s_waitcnt vmcnt(0)
	v_cmp_ne_u16_sdwa s[34:35], v31, v27 src0_sel:BYTE_0 src1_sel:DWORD
	s_or_b64 s[28:29], s[34:35], s[28:29]
	s_andn2_b64 exec, exec, s[28:29]
	s_cbranch_execnz .LBB3076_145
; %bb.148:                              ;   in Loop: Header=BB3076_142 Depth=1
	s_or_b64 exec, exec, s[28:29]
	s_branch .LBB3076_141
.LBB3076_149:                           ;   in Loop: Header=BB3076_142 Depth=1
                                        ; implicit-def: $vgpr30
                                        ; implicit-def: $vgpr31
	s_cbranch_execz .LBB3076_142
; %bb.150:
	s_and_saveexec_b64 s[26:27], s[16:17]
	s_cbranch_execz .LBB3076_152
; %bb.151:
	s_add_i32 s28, s30, 64
	s_mov_b32 s29, 0
	s_lshl_b64 s[28:29], s[28:29], 3
	s_add_u32 s28, s24, s28
	v_add_u32_e32 v26, v25, v24
	v_mov_b32_e32 v27, 2
	s_addc_u32 s29, s25, s29
	v_mov_b32_e32 v28, 0
	global_store_dwordx2 v28, v[26:27], s[28:29] sc1
	ds_write_b64 v28, v[24:25] offset:28672
.LBB3076_152:
	s_or_b64 exec, exec, s[26:27]
	s_and_b64 exec, exec, s[18:19]
	s_cbranch_execz .LBB3076_154
; %bb.153:
	v_mov_b32_e32 v24, 0
	ds_write_b32 v24, v25 offset:28
.LBB3076_154:
	s_or_b64 exec, exec, s[0:1]
	v_mov_b32_e32 v24, 0
	s_waitcnt lgkmcnt(0)
	s_barrier
	ds_read_b32 v26, v24 offset:28
	s_waitcnt lgkmcnt(0)
	s_barrier
	ds_read_b64 v[24:25], v24 offset:28672
	v_cndmask_b32_e64 v27, v65, v64, s[16:17]
	v_cndmask_b32_e64 v27, v27, 0, s[18:19]
	v_add_u32_e32 v31, v26, v27
	s_branch .LBB3076_165
.LBB3076_155:
                                        ; implicit-def: $vgpr25
                                        ; implicit-def: $vgpr31
	s_cbranch_execz .LBB3076_165
; %bb.156:
	s_waitcnt lgkmcnt(0)
	v_mov_b32_dpp v24, v63 row_shr:1 row_mask:0xf bank_mask:0xf
	v_cndmask_b32_e64 v24, v24, 0, s[14:15]
	v_add_u32_e32 v24, v24, v63
	s_nop 1
	v_mov_b32_dpp v25, v24 row_shr:2 row_mask:0xf bank_mask:0xf
	v_cndmask_b32_e64 v25, 0, v25, s[12:13]
	v_add_u32_e32 v24, v24, v25
	s_nop 1
	v_mov_b32_dpp v25, v24 row_shr:4 row_mask:0xf bank_mask:0xf
	v_cndmask_b32_e64 v25, 0, v25, s[10:11]
	v_add_u32_e32 v24, v24, v25
	s_nop 1
	v_mov_b32_dpp v25, v24 row_shr:8 row_mask:0xf bank_mask:0xf
	v_cndmask_b32_e64 v25, 0, v25, s[8:9]
	v_add_u32_e32 v24, v24, v25
	s_nop 1
	v_mov_b32_dpp v25, v24 row_bcast:15 row_mask:0xf bank_mask:0xf
	v_cndmask_b32_e64 v25, v25, 0, s[6:7]
	v_add_u32_e32 v24, v24, v25
	s_nop 1
	v_mov_b32_dpp v25, v24 row_bcast:31 row_mask:0xf bank_mask:0xf
	v_cndmask_b32_e64 v25, 0, v25, s[2:3]
	v_add_u32_e32 v24, v24, v25
	s_and_saveexec_b64 s[0:1], s[4:5]
	s_cbranch_execz .LBB3076_158
; %bb.157:
	v_lshlrev_b32_e32 v25, 2, v62
	ds_write_b32 v25, v24
.LBB3076_158:
	s_or_b64 exec, exec, s[0:1]
	v_cmp_gt_u32_e32 vcc, 8, v0
	s_waitcnt lgkmcnt(0)
	s_barrier
	s_and_saveexec_b64 s[0:1], vcc
	s_cbranch_execz .LBB3076_160
; %bb.159:
	v_lshlrev_b32_e32 v25, 2, v0
	ds_read_b32 v26, v25
	v_and_b32_e32 v27, 7, v61
	v_cmp_ne_u32_e32 vcc, 0, v27
	s_waitcnt lgkmcnt(0)
	v_mov_b32_dpp v28, v26 row_shr:1 row_mask:0xf bank_mask:0xf
	v_cndmask_b32_e32 v28, 0, v28, vcc
	v_add_u32_e32 v26, v28, v26
	v_cmp_lt_u32_e32 vcc, 1, v27
	s_nop 0
	v_mov_b32_dpp v28, v26 row_shr:2 row_mask:0xf bank_mask:0xf
	v_cndmask_b32_e32 v28, 0, v28, vcc
	v_add_u32_e32 v26, v26, v28
	v_cmp_lt_u32_e32 vcc, 3, v27
	s_nop 0
	v_mov_b32_dpp v28, v26 row_shr:4 row_mask:0xf bank_mask:0xf
	v_cndmask_b32_e32 v27, 0, v28, vcc
	v_add_u32_e32 v26, v26, v27
	ds_write_b32 v25, v26
.LBB3076_160:
	s_or_b64 exec, exec, s[0:1]
	v_cmp_lt_u32_e32 vcc, 63, v0
	v_mov_b32_e32 v25, 0
	v_mov_b32_e32 v0, 0
	s_waitcnt lgkmcnt(0)
	s_barrier
	s_and_saveexec_b64 s[0:1], vcc
	s_cbranch_execz .LBB3076_162
; %bb.161:
	v_lshl_add_u32 v0, v62, 2, -4
	ds_read_b32 v0, v0
.LBB3076_162:
	s_or_b64 exec, exec, s[0:1]
	v_add_u32_e32 v26, -1, v61
	v_and_b32_e32 v27, 64, v61
	v_cmp_lt_i32_e32 vcc, v26, v27
	s_waitcnt lgkmcnt(0)
	v_add_u32_e32 v24, v0, v24
	v_cndmask_b32_e32 v26, v26, v61, vcc
	v_lshlrev_b32_e32 v26, 2, v26
	ds_bpermute_b32 v26, v26, v24
	ds_read_b32 v24, v25 offset:28
	s_and_saveexec_b64 s[0:1], s[18:19]
	s_cbranch_execz .LBB3076_164
; %bb.163:
	v_mov_b32_e32 v27, 0
	v_mov_b32_e32 v25, 2
	s_waitcnt lgkmcnt(0)
	global_store_dwordx2 v27, v[24:25], s[24:25] offset:512 sc1
.LBB3076_164:
	s_or_b64 exec, exec, s[0:1]
	v_cmp_eq_u32_e32 vcc, 0, v61
	v_mov_b32_e32 v25, 0
	s_waitcnt lgkmcnt(0)
	v_cndmask_b32_e32 v0, v26, v0, vcc
	v_cndmask_b32_e64 v31, v0, 0, s[18:19]
	s_barrier
.LBB3076_165:
	v_add_u32_sdwa v33, v31, v22 dst_sel:DWORD dst_unused:UNUSED_PAD src0_sel:DWORD src1_sel:BYTE_0
	s_waitcnt lgkmcnt(0)
	v_add_u32_e32 v1, v24, v1
	v_sub_u32_e32 v31, v31, v25
	v_and_b32_e32 v69, 1, v22
	v_sub_u32_e32 v68, v1, v31
	v_cmp_eq_u32_e32 vcc, 1, v69
	v_lshrrev_b32_e32 v32, 8, v22
	v_add_u32_sdwa v61, v33, v22 dst_sel:DWORD dst_unused:UNUSED_PAD src0_sel:DWORD src1_sel:BYTE_1
	v_cndmask_b32_e32 v31, v68, v31, vcc
	v_lshlrev_b32_e32 v31, 1, v31
	ds_write_b16 v31, v10
	v_sub_u32_e32 v31, v33, v25
	v_sub_u32_e32 v33, v1, v31
	v_and_b32_e32 v32, 1, v32
	v_add_u32_e32 v33, 1, v33
	v_cmp_eq_u32_e32 vcc, 1, v32
	v_mov_b32_e32 v32, 1
	v_and_b32_sdwa v22, v32, v22 dst_sel:DWORD dst_unused:UNUSED_PAD src0_sel:DWORD src1_sel:WORD_1
	v_cndmask_b32_e32 v31, v33, v31, vcc
	v_lshlrev_b32_e32 v31, 1, v31
	ds_write_b16_d16_hi v31, v10
	v_sub_u32_e32 v10, v61, v25
	v_sub_u32_e32 v31, v1, v10
	v_add_u32_e32 v31, 2, v31
	v_cmp_eq_u32_e32 vcc, 1, v22
	v_add_u32_e32 v60, v61, v60
	v_add_u32_e32 v62, v60, v42
	v_cndmask_b32_e32 v10, v31, v10, vcc
	v_lshlrev_b32_e32 v10, 1, v10
	ds_write_b16 v10, v11
	v_sub_u32_e32 v10, v60, v25
	v_sub_u32_e32 v22, v1, v10
	v_and_b32_e32 v31, 1, v42
	v_add_u32_e32 v22, 3, v22
	v_cmp_eq_u32_e32 vcc, 1, v31
	v_add_u32_e32 v57, v62, v57
	v_lshrrev_b32_e32 v30, 8, v23
	v_cndmask_b32_e32 v10, v22, v10, vcc
	v_lshlrev_b32_e32 v10, 1, v10
	ds_write_b16_d16_hi v10, v11
	v_sub_u32_e32 v10, v62, v25
	v_sub_u32_e32 v11, v1, v10
	v_and_b32_e32 v22, 1, v23
	v_add_u32_e32 v11, 4, v11
	v_cmp_eq_u32_e32 vcc, 1, v22
	v_and_b32_e32 v22, 1, v30
	v_add_u32_e32 v58, v57, v58
	v_cndmask_b32_e32 v10, v11, v10, vcc
	v_lshlrev_b32_e32 v10, 1, v10
	ds_write_b16 v10, v12
	v_sub_u32_e32 v10, v57, v25
	v_sub_u32_e32 v11, v1, v10
	v_add_u32_e32 v11, 5, v11
	v_cmp_eq_u32_e32 vcc, 1, v22
	v_add_u32_e32 v59, v58, v59
	v_add_u32_e32 v63, v59, v41
	v_cndmask_b32_e32 v10, v11, v10, vcc
	v_lshlrev_b32_e32 v10, 1, v10
	ds_write_b16_d16_hi v10, v12
	v_sub_u32_e32 v10, v58, v25
	v_sub_u32_e32 v11, v1, v10
	v_and_b32_sdwa v12, v32, v23 dst_sel:DWORD dst_unused:UNUSED_PAD src0_sel:DWORD src1_sel:WORD_1
	v_add_u32_e32 v11, 6, v11
	v_cmp_eq_u32_e32 vcc, 1, v12
	v_and_b32_e32 v12, 1, v41
	v_add_u32_e32 v54, v63, v54
	v_cndmask_b32_e32 v10, v11, v10, vcc
	v_lshlrev_b32_e32 v10, 1, v10
	ds_write_b16 v10, v13
	v_sub_u32_e32 v10, v59, v25
	v_sub_u32_e32 v11, v1, v10
	v_add_u32_e32 v11, 7, v11
	v_cmp_eq_u32_e32 vcc, 1, v12
	v_and_b32_e32 v12, 1, v20
	v_lshrrev_b32_e32 v29, 8, v20
	v_cndmask_b32_e32 v10, v11, v10, vcc
	v_lshlrev_b32_e32 v10, 1, v10
	ds_write_b16_d16_hi v10, v13
	v_sub_u32_e32 v10, v63, v25
	v_sub_u32_e32 v11, v1, v10
	v_add_u32_e32 v11, 8, v11
	v_cmp_eq_u32_e32 vcc, 1, v12
	v_and_b32_e32 v12, 1, v29
	v_add_u32_e32 v55, v54, v55
	v_cndmask_b32_e32 v10, v11, v10, vcc
	v_lshlrev_b32_e32 v10, 1, v10
	ds_write_b16 v10, v6
	v_sub_u32_e32 v10, v54, v25
	v_sub_u32_e32 v11, v1, v10
	v_add_u32_e32 v11, 9, v11
	v_cmp_eq_u32_e32 vcc, 1, v12
	v_add_u32_e32 v56, v55, v56
	v_add_u32_e32 v64, v56, v40
	v_cndmask_b32_e32 v10, v11, v10, vcc
	v_lshlrev_b32_e32 v10, 1, v10
	ds_write_b16_d16_hi v10, v6
	v_sub_u32_e32 v6, v55, v25
	v_sub_u32_e32 v10, v1, v6
	v_and_b32_sdwa v11, v32, v20 dst_sel:DWORD dst_unused:UNUSED_PAD src0_sel:DWORD src1_sel:WORD_1
	v_add_u32_e32 v10, 10, v10
	v_cmp_eq_u32_e32 vcc, 1, v11
	v_and_b32_e32 v11, 1, v40
	v_add_u32_e32 v51, v64, v51
	v_cndmask_b32_e32 v6, v10, v6, vcc
	v_lshlrev_b32_e32 v6, 1, v6
	ds_write_b16 v6, v7
	v_sub_u32_e32 v6, v56, v25
	v_sub_u32_e32 v10, v1, v6
	v_add_u32_e32 v10, 11, v10
	v_cmp_eq_u32_e32 vcc, 1, v11
	v_lshrrev_b32_e32 v28, 8, v21
	v_add_u32_e32 v52, v51, v52
	v_cndmask_b32_e32 v6, v10, v6, vcc
	v_lshlrev_b32_e32 v6, 1, v6
	ds_write_b16_d16_hi v6, v7
	v_sub_u32_e32 v6, v64, v25
	v_sub_u32_e32 v7, v1, v6
	v_and_b32_e32 v10, 1, v21
	v_add_u32_e32 v7, 12, v7
	v_cmp_eq_u32_e32 vcc, 1, v10
	v_and_b32_e32 v10, 1, v28
	v_add_u32_e32 v53, v52, v53
	v_cndmask_b32_e32 v6, v7, v6, vcc
	v_lshlrev_b32_e32 v6, 1, v6
	ds_write_b16 v6, v8
	v_sub_u32_e32 v6, v51, v25
	v_sub_u32_e32 v7, v1, v6
	v_add_u32_e32 v7, 13, v7
	v_cmp_eq_u32_e32 vcc, 1, v10
	v_add_u32_e32 v65, v53, v39
	v_add_u32_e32 v48, v65, v48
	v_cndmask_b32_e32 v6, v7, v6, vcc
	v_lshlrev_b32_e32 v6, 1, v6
	ds_write_b16_d16_hi v6, v8
	v_sub_u32_e32 v6, v52, v25
	v_sub_u32_e32 v7, v1, v6
	v_and_b32_sdwa v8, v32, v21 dst_sel:DWORD dst_unused:UNUSED_PAD src0_sel:DWORD src1_sel:WORD_1
	v_add_u32_e32 v7, 14, v7
	v_cmp_eq_u32_e32 vcc, 1, v8
	v_and_b32_e32 v8, 1, v39
	v_lshrrev_b32_e32 v27, 8, v18
	v_cndmask_b32_e32 v6, v7, v6, vcc
	v_lshlrev_b32_e32 v6, 1, v6
	ds_write_b16 v6, v9
	v_sub_u32_e32 v6, v53, v25
	v_sub_u32_e32 v7, v1, v6
	v_add_u32_e32 v7, 15, v7
	v_cmp_eq_u32_e32 vcc, 1, v8
	v_and_b32_e32 v8, 1, v18
	v_add_u32_e32 v49, v48, v49
	v_cndmask_b32_e32 v6, v7, v6, vcc
	v_lshlrev_b32_e32 v6, 1, v6
	ds_write_b16_d16_hi v6, v9
	v_sub_u32_e32 v6, v65, v25
	v_sub_u32_e32 v7, v1, v6
	v_add_u32_e32 v7, 16, v7
	v_cmp_eq_u32_e32 vcc, 1, v8
	v_and_b32_e32 v8, 1, v27
	v_add_u32_e32 v50, v49, v50
	v_cndmask_b32_e32 v6, v7, v6, vcc
	v_lshlrev_b32_e32 v6, 1, v6
	ds_write_b16 v6, v2
	v_sub_u32_e32 v6, v48, v25
	v_sub_u32_e32 v7, v1, v6
	v_add_u32_e32 v7, 17, v7
	v_cmp_eq_u32_e32 vcc, 1, v8
	v_add_u32_e32 v66, v50, v38
	v_add_u32_e32 v45, v66, v45
	v_cndmask_b32_e32 v6, v7, v6, vcc
	v_lshlrev_b32_e32 v6, 1, v6
	ds_write_b16_d16_hi v6, v2
	v_sub_u32_e32 v2, v49, v25
	v_sub_u32_e32 v6, v1, v2
	v_and_b32_sdwa v7, v32, v18 dst_sel:DWORD dst_unused:UNUSED_PAD src0_sel:DWORD src1_sel:WORD_1
	v_add_u32_e32 v6, 18, v6
	v_cmp_eq_u32_e32 vcc, 1, v7
	v_and_b32_e32 v7, 1, v38
	v_lshrrev_b32_e32 v26, 8, v19
	v_cndmask_b32_e32 v2, v6, v2, vcc
	v_lshlrev_b32_e32 v2, 1, v2
	ds_write_b16 v2, v3
	v_sub_u32_e32 v2, v50, v25
	v_sub_u32_e32 v6, v1, v2
	v_add_u32_e32 v6, 19, v6
	v_cmp_eq_u32_e32 vcc, 1, v7
	v_add_u32_e32 v46, v45, v46
	v_add_u32_e32 v47, v46, v47
	v_cndmask_b32_e32 v2, v6, v2, vcc
	v_lshlrev_b32_e32 v2, 1, v2
	ds_write_b16_d16_hi v2, v3
	v_sub_u32_e32 v2, v66, v25
	v_sub_u32_e32 v3, v1, v2
	v_and_b32_e32 v6, 1, v19
	v_add_u32_e32 v3, 20, v3
	v_cmp_eq_u32_e32 vcc, 1, v6
	v_and_b32_e32 v6, 1, v26
	v_add_u32_e32 v67, v47, v37
	v_cndmask_b32_e32 v2, v3, v2, vcc
	v_lshlrev_b32_e32 v2, 1, v2
	ds_write_b16 v2, v4
	v_sub_u32_e32 v2, v45, v25
	v_sub_u32_e32 v3, v1, v2
	v_add_u32_e32 v3, 21, v3
	v_cmp_eq_u32_e32 vcc, 1, v6
	v_add_u32_e32 v43, v67, v43
	v_lshrrev_b32_e32 v0, 8, v35
	v_cndmask_b32_e32 v2, v3, v2, vcc
	v_lshlrev_b32_e32 v2, 1, v2
	ds_write_b16_d16_hi v2, v4
	v_sub_u32_e32 v2, v46, v25
	v_sub_u32_e32 v3, v1, v2
	v_and_b32_sdwa v4, v32, v19 dst_sel:DWORD dst_unused:UNUSED_PAD src0_sel:DWORD src1_sel:WORD_1
	v_add_u32_e32 v3, 22, v3
	v_cmp_eq_u32_e32 vcc, 1, v4
	v_and_b32_e32 v4, 1, v37
	v_and_b32_e32 v0, 1, v0
	v_cndmask_b32_e32 v2, v3, v2, vcc
	v_lshlrev_b32_e32 v2, 1, v2
	ds_write_b16 v2, v5
	v_sub_u32_e32 v2, v47, v25
	v_sub_u32_e32 v3, v1, v2
	v_add_u32_e32 v3, 23, v3
	v_cmp_eq_u32_e32 vcc, 1, v4
	v_and_b32_e32 v4, 1, v35
	v_add_u32_e32 v44, v43, v44
	v_cndmask_b32_e32 v2, v3, v2, vcc
	v_lshlrev_b32_e32 v2, 1, v2
	ds_write_b16_d16_hi v2, v5
	v_sub_u32_e32 v2, v67, v25
	v_sub_u32_e32 v3, v1, v2
	v_add_u32_e32 v3, 24, v3
	v_cmp_eq_u32_e32 vcc, 1, v4
	s_and_b64 s[0:1], s[18:19], s[22:23]
	s_nop 0
	v_cndmask_b32_e32 v2, v3, v2, vcc
	v_lshlrev_b32_e32 v2, 1, v2
	ds_write_b16 v2, v16
	v_sub_u32_e32 v2, v43, v25
	v_sub_u32_e32 v3, v1, v2
	v_add_u32_e32 v3, 25, v3
	v_cmp_eq_u32_e32 vcc, 1, v0
	s_nop 1
	v_cndmask_b32_e32 v0, v3, v2, vcc
	v_lshlrev_b32_e32 v0, 1, v0
	ds_write_b16_d16_hi v0, v16
	v_sub_u32_e32 v0, v44, v25
	v_sub_u32_e32 v2, v1, v0
	v_and_b32_sdwa v3, v32, v35 dst_sel:DWORD dst_unused:UNUSED_PAD src0_sel:DWORD src1_sel:WORD_1
	v_add_u32_e32 v2, 26, v2
	v_cmp_eq_u32_e32 vcc, 1, v3
	s_nop 1
	v_cndmask_b32_e32 v0, v2, v0, vcc
	v_lshlrev_b32_e32 v0, 1, v0
	ds_write_b16 v0, v17
	v_sub_u32_e32 v0, v36, v25
	v_add_u32_e32 v0, v44, v0
	v_sub_u32_e32 v1, v1, v0
	v_and_b32_e32 v2, 1, v34
	v_add_u32_e32 v1, 27, v1
	v_cmp_eq_u32_e32 vcc, 1, v2
	s_nop 1
	v_cndmask_b32_e32 v0, v1, v0, vcc
	v_lshlrev_b32_e32 v0, 1, v0
	ds_write_b16_d16_hi v0, v17
	s_waitcnt lgkmcnt(0)
	s_barrier
	s_and_saveexec_b64 s[2:3], s[0:1]
	s_cbranch_execz .LBB3076_167
; %bb.166:
	v_mov_b32_e32 v1, 0
	v_mov_b32_e32 v0, v24
	s_waitcnt vmcnt(0)
	v_lshl_add_u64 v[2:3], v[14:15], 0, v[0:1]
	v_mov_b32_e32 v0, v25
	v_lshl_add_u64 v[2:3], v[2:3], 0, v[0:1]
	global_store_dwordx2 v1, v[2:3], s[20:21]
.LBB3076_167:
	s_endpgm
	.section	.rodata,"a",@progbits
	.p2align	6, 0x0
	.amdhsa_kernel _ZN7rocprim17ROCPRIM_400000_NS6detail17trampoline_kernelINS0_14default_configENS1_25partition_config_selectorILNS1_17partition_subalgoE1EtNS0_10empty_typeEbEEZZNS1_14partition_implILS5_1ELb0ES3_jN6thrust23THRUST_200600_302600_NS6detail15normal_iteratorINSA_10device_ptrItEEEEPS6_NSA_18transform_iteratorI7is_evenItESF_NSA_11use_defaultESK_EENS0_5tupleIJNSA_16discard_iteratorISK_EESO_EEENSM_IJSG_SG_EEES6_PlJS6_EEE10hipError_tPvRmT3_T4_T5_T6_T7_T9_mT8_P12ihipStream_tbDpT10_ENKUlT_T0_E_clISt17integral_constantIbLb1EES1B_EEDaS16_S17_EUlS16_E_NS1_11comp_targetILNS1_3genE5ELNS1_11target_archE942ELNS1_3gpuE9ELNS1_3repE0EEENS1_30default_config_static_selectorELNS0_4arch9wavefront6targetE1EEEvT1_
		.amdhsa_group_segment_fixed_size 28680
		.amdhsa_private_segment_fixed_size 0
		.amdhsa_kernarg_size 160
		.amdhsa_user_sgpr_count 2
		.amdhsa_user_sgpr_dispatch_ptr 0
		.amdhsa_user_sgpr_queue_ptr 0
		.amdhsa_user_sgpr_kernarg_segment_ptr 1
		.amdhsa_user_sgpr_dispatch_id 0
		.amdhsa_user_sgpr_kernarg_preload_length 0
		.amdhsa_user_sgpr_kernarg_preload_offset 0
		.amdhsa_user_sgpr_private_segment_size 0
		.amdhsa_uses_dynamic_stack 0
		.amdhsa_enable_private_segment 0
		.amdhsa_system_sgpr_workgroup_id_x 1
		.amdhsa_system_sgpr_workgroup_id_y 0
		.amdhsa_system_sgpr_workgroup_id_z 0
		.amdhsa_system_sgpr_workgroup_info 0
		.amdhsa_system_vgpr_workitem_id 0
		.amdhsa_next_free_vgpr 80
		.amdhsa_next_free_sgpr 36
		.amdhsa_accum_offset 80
		.amdhsa_reserve_vcc 1
		.amdhsa_float_round_mode_32 0
		.amdhsa_float_round_mode_16_64 0
		.amdhsa_float_denorm_mode_32 3
		.amdhsa_float_denorm_mode_16_64 3
		.amdhsa_dx10_clamp 1
		.amdhsa_ieee_mode 1
		.amdhsa_fp16_overflow 0
		.amdhsa_tg_split 0
		.amdhsa_exception_fp_ieee_invalid_op 0
		.amdhsa_exception_fp_denorm_src 0
		.amdhsa_exception_fp_ieee_div_zero 0
		.amdhsa_exception_fp_ieee_overflow 0
		.amdhsa_exception_fp_ieee_underflow 0
		.amdhsa_exception_fp_ieee_inexact 0
		.amdhsa_exception_int_div_zero 0
	.end_amdhsa_kernel
	.section	.text._ZN7rocprim17ROCPRIM_400000_NS6detail17trampoline_kernelINS0_14default_configENS1_25partition_config_selectorILNS1_17partition_subalgoE1EtNS0_10empty_typeEbEEZZNS1_14partition_implILS5_1ELb0ES3_jN6thrust23THRUST_200600_302600_NS6detail15normal_iteratorINSA_10device_ptrItEEEEPS6_NSA_18transform_iteratorI7is_evenItESF_NSA_11use_defaultESK_EENS0_5tupleIJNSA_16discard_iteratorISK_EESO_EEENSM_IJSG_SG_EEES6_PlJS6_EEE10hipError_tPvRmT3_T4_T5_T6_T7_T9_mT8_P12ihipStream_tbDpT10_ENKUlT_T0_E_clISt17integral_constantIbLb1EES1B_EEDaS16_S17_EUlS16_E_NS1_11comp_targetILNS1_3genE5ELNS1_11target_archE942ELNS1_3gpuE9ELNS1_3repE0EEENS1_30default_config_static_selectorELNS0_4arch9wavefront6targetE1EEEvT1_,"axG",@progbits,_ZN7rocprim17ROCPRIM_400000_NS6detail17trampoline_kernelINS0_14default_configENS1_25partition_config_selectorILNS1_17partition_subalgoE1EtNS0_10empty_typeEbEEZZNS1_14partition_implILS5_1ELb0ES3_jN6thrust23THRUST_200600_302600_NS6detail15normal_iteratorINSA_10device_ptrItEEEEPS6_NSA_18transform_iteratorI7is_evenItESF_NSA_11use_defaultESK_EENS0_5tupleIJNSA_16discard_iteratorISK_EESO_EEENSM_IJSG_SG_EEES6_PlJS6_EEE10hipError_tPvRmT3_T4_T5_T6_T7_T9_mT8_P12ihipStream_tbDpT10_ENKUlT_T0_E_clISt17integral_constantIbLb1EES1B_EEDaS16_S17_EUlS16_E_NS1_11comp_targetILNS1_3genE5ELNS1_11target_archE942ELNS1_3gpuE9ELNS1_3repE0EEENS1_30default_config_static_selectorELNS0_4arch9wavefront6targetE1EEEvT1_,comdat
.Lfunc_end3076:
	.size	_ZN7rocprim17ROCPRIM_400000_NS6detail17trampoline_kernelINS0_14default_configENS1_25partition_config_selectorILNS1_17partition_subalgoE1EtNS0_10empty_typeEbEEZZNS1_14partition_implILS5_1ELb0ES3_jN6thrust23THRUST_200600_302600_NS6detail15normal_iteratorINSA_10device_ptrItEEEEPS6_NSA_18transform_iteratorI7is_evenItESF_NSA_11use_defaultESK_EENS0_5tupleIJNSA_16discard_iteratorISK_EESO_EEENSM_IJSG_SG_EEES6_PlJS6_EEE10hipError_tPvRmT3_T4_T5_T6_T7_T9_mT8_P12ihipStream_tbDpT10_ENKUlT_T0_E_clISt17integral_constantIbLb1EES1B_EEDaS16_S17_EUlS16_E_NS1_11comp_targetILNS1_3genE5ELNS1_11target_archE942ELNS1_3gpuE9ELNS1_3repE0EEENS1_30default_config_static_selectorELNS0_4arch9wavefront6targetE1EEEvT1_, .Lfunc_end3076-_ZN7rocprim17ROCPRIM_400000_NS6detail17trampoline_kernelINS0_14default_configENS1_25partition_config_selectorILNS1_17partition_subalgoE1EtNS0_10empty_typeEbEEZZNS1_14partition_implILS5_1ELb0ES3_jN6thrust23THRUST_200600_302600_NS6detail15normal_iteratorINSA_10device_ptrItEEEEPS6_NSA_18transform_iteratorI7is_evenItESF_NSA_11use_defaultESK_EENS0_5tupleIJNSA_16discard_iteratorISK_EESO_EEENSM_IJSG_SG_EEES6_PlJS6_EEE10hipError_tPvRmT3_T4_T5_T6_T7_T9_mT8_P12ihipStream_tbDpT10_ENKUlT_T0_E_clISt17integral_constantIbLb1EES1B_EEDaS16_S17_EUlS16_E_NS1_11comp_targetILNS1_3genE5ELNS1_11target_archE942ELNS1_3gpuE9ELNS1_3repE0EEENS1_30default_config_static_selectorELNS0_4arch9wavefront6targetE1EEEvT1_
                                        ; -- End function
	.section	.AMDGPU.csdata,"",@progbits
; Kernel info:
; codeLenInByte = 8804
; NumSgprs: 42
; NumVgprs: 80
; NumAgprs: 0
; TotalNumVgprs: 80
; ScratchSize: 0
; MemoryBound: 0
; FloatMode: 240
; IeeeMode: 1
; LDSByteSize: 28680 bytes/workgroup (compile time only)
; SGPRBlocks: 5
; VGPRBlocks: 9
; NumSGPRsForWavesPerEU: 42
; NumVGPRsForWavesPerEU: 80
; AccumOffset: 80
; Occupancy: 4
; WaveLimiterHint : 1
; COMPUTE_PGM_RSRC2:SCRATCH_EN: 0
; COMPUTE_PGM_RSRC2:USER_SGPR: 2
; COMPUTE_PGM_RSRC2:TRAP_HANDLER: 0
; COMPUTE_PGM_RSRC2:TGID_X_EN: 1
; COMPUTE_PGM_RSRC2:TGID_Y_EN: 0
; COMPUTE_PGM_RSRC2:TGID_Z_EN: 0
; COMPUTE_PGM_RSRC2:TIDIG_COMP_CNT: 0
; COMPUTE_PGM_RSRC3_GFX90A:ACCUM_OFFSET: 19
; COMPUTE_PGM_RSRC3_GFX90A:TG_SPLIT: 0
	.section	.text._ZN7rocprim17ROCPRIM_400000_NS6detail17trampoline_kernelINS0_14default_configENS1_25partition_config_selectorILNS1_17partition_subalgoE1EtNS0_10empty_typeEbEEZZNS1_14partition_implILS5_1ELb0ES3_jN6thrust23THRUST_200600_302600_NS6detail15normal_iteratorINSA_10device_ptrItEEEEPS6_NSA_18transform_iteratorI7is_evenItESF_NSA_11use_defaultESK_EENS0_5tupleIJNSA_16discard_iteratorISK_EESO_EEENSM_IJSG_SG_EEES6_PlJS6_EEE10hipError_tPvRmT3_T4_T5_T6_T7_T9_mT8_P12ihipStream_tbDpT10_ENKUlT_T0_E_clISt17integral_constantIbLb1EES1B_EEDaS16_S17_EUlS16_E_NS1_11comp_targetILNS1_3genE4ELNS1_11target_archE910ELNS1_3gpuE8ELNS1_3repE0EEENS1_30default_config_static_selectorELNS0_4arch9wavefront6targetE1EEEvT1_,"axG",@progbits,_ZN7rocprim17ROCPRIM_400000_NS6detail17trampoline_kernelINS0_14default_configENS1_25partition_config_selectorILNS1_17partition_subalgoE1EtNS0_10empty_typeEbEEZZNS1_14partition_implILS5_1ELb0ES3_jN6thrust23THRUST_200600_302600_NS6detail15normal_iteratorINSA_10device_ptrItEEEEPS6_NSA_18transform_iteratorI7is_evenItESF_NSA_11use_defaultESK_EENS0_5tupleIJNSA_16discard_iteratorISK_EESO_EEENSM_IJSG_SG_EEES6_PlJS6_EEE10hipError_tPvRmT3_T4_T5_T6_T7_T9_mT8_P12ihipStream_tbDpT10_ENKUlT_T0_E_clISt17integral_constantIbLb1EES1B_EEDaS16_S17_EUlS16_E_NS1_11comp_targetILNS1_3genE4ELNS1_11target_archE910ELNS1_3gpuE8ELNS1_3repE0EEENS1_30default_config_static_selectorELNS0_4arch9wavefront6targetE1EEEvT1_,comdat
	.protected	_ZN7rocprim17ROCPRIM_400000_NS6detail17trampoline_kernelINS0_14default_configENS1_25partition_config_selectorILNS1_17partition_subalgoE1EtNS0_10empty_typeEbEEZZNS1_14partition_implILS5_1ELb0ES3_jN6thrust23THRUST_200600_302600_NS6detail15normal_iteratorINSA_10device_ptrItEEEEPS6_NSA_18transform_iteratorI7is_evenItESF_NSA_11use_defaultESK_EENS0_5tupleIJNSA_16discard_iteratorISK_EESO_EEENSM_IJSG_SG_EEES6_PlJS6_EEE10hipError_tPvRmT3_T4_T5_T6_T7_T9_mT8_P12ihipStream_tbDpT10_ENKUlT_T0_E_clISt17integral_constantIbLb1EES1B_EEDaS16_S17_EUlS16_E_NS1_11comp_targetILNS1_3genE4ELNS1_11target_archE910ELNS1_3gpuE8ELNS1_3repE0EEENS1_30default_config_static_selectorELNS0_4arch9wavefront6targetE1EEEvT1_ ; -- Begin function _ZN7rocprim17ROCPRIM_400000_NS6detail17trampoline_kernelINS0_14default_configENS1_25partition_config_selectorILNS1_17partition_subalgoE1EtNS0_10empty_typeEbEEZZNS1_14partition_implILS5_1ELb0ES3_jN6thrust23THRUST_200600_302600_NS6detail15normal_iteratorINSA_10device_ptrItEEEEPS6_NSA_18transform_iteratorI7is_evenItESF_NSA_11use_defaultESK_EENS0_5tupleIJNSA_16discard_iteratorISK_EESO_EEENSM_IJSG_SG_EEES6_PlJS6_EEE10hipError_tPvRmT3_T4_T5_T6_T7_T9_mT8_P12ihipStream_tbDpT10_ENKUlT_T0_E_clISt17integral_constantIbLb1EES1B_EEDaS16_S17_EUlS16_E_NS1_11comp_targetILNS1_3genE4ELNS1_11target_archE910ELNS1_3gpuE8ELNS1_3repE0EEENS1_30default_config_static_selectorELNS0_4arch9wavefront6targetE1EEEvT1_
	.globl	_ZN7rocprim17ROCPRIM_400000_NS6detail17trampoline_kernelINS0_14default_configENS1_25partition_config_selectorILNS1_17partition_subalgoE1EtNS0_10empty_typeEbEEZZNS1_14partition_implILS5_1ELb0ES3_jN6thrust23THRUST_200600_302600_NS6detail15normal_iteratorINSA_10device_ptrItEEEEPS6_NSA_18transform_iteratorI7is_evenItESF_NSA_11use_defaultESK_EENS0_5tupleIJNSA_16discard_iteratorISK_EESO_EEENSM_IJSG_SG_EEES6_PlJS6_EEE10hipError_tPvRmT3_T4_T5_T6_T7_T9_mT8_P12ihipStream_tbDpT10_ENKUlT_T0_E_clISt17integral_constantIbLb1EES1B_EEDaS16_S17_EUlS16_E_NS1_11comp_targetILNS1_3genE4ELNS1_11target_archE910ELNS1_3gpuE8ELNS1_3repE0EEENS1_30default_config_static_selectorELNS0_4arch9wavefront6targetE1EEEvT1_
	.p2align	8
	.type	_ZN7rocprim17ROCPRIM_400000_NS6detail17trampoline_kernelINS0_14default_configENS1_25partition_config_selectorILNS1_17partition_subalgoE1EtNS0_10empty_typeEbEEZZNS1_14partition_implILS5_1ELb0ES3_jN6thrust23THRUST_200600_302600_NS6detail15normal_iteratorINSA_10device_ptrItEEEEPS6_NSA_18transform_iteratorI7is_evenItESF_NSA_11use_defaultESK_EENS0_5tupleIJNSA_16discard_iteratorISK_EESO_EEENSM_IJSG_SG_EEES6_PlJS6_EEE10hipError_tPvRmT3_T4_T5_T6_T7_T9_mT8_P12ihipStream_tbDpT10_ENKUlT_T0_E_clISt17integral_constantIbLb1EES1B_EEDaS16_S17_EUlS16_E_NS1_11comp_targetILNS1_3genE4ELNS1_11target_archE910ELNS1_3gpuE8ELNS1_3repE0EEENS1_30default_config_static_selectorELNS0_4arch9wavefront6targetE1EEEvT1_,@function
_ZN7rocprim17ROCPRIM_400000_NS6detail17trampoline_kernelINS0_14default_configENS1_25partition_config_selectorILNS1_17partition_subalgoE1EtNS0_10empty_typeEbEEZZNS1_14partition_implILS5_1ELb0ES3_jN6thrust23THRUST_200600_302600_NS6detail15normal_iteratorINSA_10device_ptrItEEEEPS6_NSA_18transform_iteratorI7is_evenItESF_NSA_11use_defaultESK_EENS0_5tupleIJNSA_16discard_iteratorISK_EESO_EEENSM_IJSG_SG_EEES6_PlJS6_EEE10hipError_tPvRmT3_T4_T5_T6_T7_T9_mT8_P12ihipStream_tbDpT10_ENKUlT_T0_E_clISt17integral_constantIbLb1EES1B_EEDaS16_S17_EUlS16_E_NS1_11comp_targetILNS1_3genE4ELNS1_11target_archE910ELNS1_3gpuE8ELNS1_3repE0EEENS1_30default_config_static_selectorELNS0_4arch9wavefront6targetE1EEEvT1_: ; @_ZN7rocprim17ROCPRIM_400000_NS6detail17trampoline_kernelINS0_14default_configENS1_25partition_config_selectorILNS1_17partition_subalgoE1EtNS0_10empty_typeEbEEZZNS1_14partition_implILS5_1ELb0ES3_jN6thrust23THRUST_200600_302600_NS6detail15normal_iteratorINSA_10device_ptrItEEEEPS6_NSA_18transform_iteratorI7is_evenItESF_NSA_11use_defaultESK_EENS0_5tupleIJNSA_16discard_iteratorISK_EESO_EEENSM_IJSG_SG_EEES6_PlJS6_EEE10hipError_tPvRmT3_T4_T5_T6_T7_T9_mT8_P12ihipStream_tbDpT10_ENKUlT_T0_E_clISt17integral_constantIbLb1EES1B_EEDaS16_S17_EUlS16_E_NS1_11comp_targetILNS1_3genE4ELNS1_11target_archE910ELNS1_3gpuE8ELNS1_3repE0EEENS1_30default_config_static_selectorELNS0_4arch9wavefront6targetE1EEEvT1_
; %bb.0:
	.section	.rodata,"a",@progbits
	.p2align	6, 0x0
	.amdhsa_kernel _ZN7rocprim17ROCPRIM_400000_NS6detail17trampoline_kernelINS0_14default_configENS1_25partition_config_selectorILNS1_17partition_subalgoE1EtNS0_10empty_typeEbEEZZNS1_14partition_implILS5_1ELb0ES3_jN6thrust23THRUST_200600_302600_NS6detail15normal_iteratorINSA_10device_ptrItEEEEPS6_NSA_18transform_iteratorI7is_evenItESF_NSA_11use_defaultESK_EENS0_5tupleIJNSA_16discard_iteratorISK_EESO_EEENSM_IJSG_SG_EEES6_PlJS6_EEE10hipError_tPvRmT3_T4_T5_T6_T7_T9_mT8_P12ihipStream_tbDpT10_ENKUlT_T0_E_clISt17integral_constantIbLb1EES1B_EEDaS16_S17_EUlS16_E_NS1_11comp_targetILNS1_3genE4ELNS1_11target_archE910ELNS1_3gpuE8ELNS1_3repE0EEENS1_30default_config_static_selectorELNS0_4arch9wavefront6targetE1EEEvT1_
		.amdhsa_group_segment_fixed_size 0
		.amdhsa_private_segment_fixed_size 0
		.amdhsa_kernarg_size 160
		.amdhsa_user_sgpr_count 2
		.amdhsa_user_sgpr_dispatch_ptr 0
		.amdhsa_user_sgpr_queue_ptr 0
		.amdhsa_user_sgpr_kernarg_segment_ptr 1
		.amdhsa_user_sgpr_dispatch_id 0
		.amdhsa_user_sgpr_kernarg_preload_length 0
		.amdhsa_user_sgpr_kernarg_preload_offset 0
		.amdhsa_user_sgpr_private_segment_size 0
		.amdhsa_uses_dynamic_stack 0
		.amdhsa_enable_private_segment 0
		.amdhsa_system_sgpr_workgroup_id_x 1
		.amdhsa_system_sgpr_workgroup_id_y 0
		.amdhsa_system_sgpr_workgroup_id_z 0
		.amdhsa_system_sgpr_workgroup_info 0
		.amdhsa_system_vgpr_workitem_id 0
		.amdhsa_next_free_vgpr 1
		.amdhsa_next_free_sgpr 0
		.amdhsa_accum_offset 4
		.amdhsa_reserve_vcc 0
		.amdhsa_float_round_mode_32 0
		.amdhsa_float_round_mode_16_64 0
		.amdhsa_float_denorm_mode_32 3
		.amdhsa_float_denorm_mode_16_64 3
		.amdhsa_dx10_clamp 1
		.amdhsa_ieee_mode 1
		.amdhsa_fp16_overflow 0
		.amdhsa_tg_split 0
		.amdhsa_exception_fp_ieee_invalid_op 0
		.amdhsa_exception_fp_denorm_src 0
		.amdhsa_exception_fp_ieee_div_zero 0
		.amdhsa_exception_fp_ieee_overflow 0
		.amdhsa_exception_fp_ieee_underflow 0
		.amdhsa_exception_fp_ieee_inexact 0
		.amdhsa_exception_int_div_zero 0
	.end_amdhsa_kernel
	.section	.text._ZN7rocprim17ROCPRIM_400000_NS6detail17trampoline_kernelINS0_14default_configENS1_25partition_config_selectorILNS1_17partition_subalgoE1EtNS0_10empty_typeEbEEZZNS1_14partition_implILS5_1ELb0ES3_jN6thrust23THRUST_200600_302600_NS6detail15normal_iteratorINSA_10device_ptrItEEEEPS6_NSA_18transform_iteratorI7is_evenItESF_NSA_11use_defaultESK_EENS0_5tupleIJNSA_16discard_iteratorISK_EESO_EEENSM_IJSG_SG_EEES6_PlJS6_EEE10hipError_tPvRmT3_T4_T5_T6_T7_T9_mT8_P12ihipStream_tbDpT10_ENKUlT_T0_E_clISt17integral_constantIbLb1EES1B_EEDaS16_S17_EUlS16_E_NS1_11comp_targetILNS1_3genE4ELNS1_11target_archE910ELNS1_3gpuE8ELNS1_3repE0EEENS1_30default_config_static_selectorELNS0_4arch9wavefront6targetE1EEEvT1_,"axG",@progbits,_ZN7rocprim17ROCPRIM_400000_NS6detail17trampoline_kernelINS0_14default_configENS1_25partition_config_selectorILNS1_17partition_subalgoE1EtNS0_10empty_typeEbEEZZNS1_14partition_implILS5_1ELb0ES3_jN6thrust23THRUST_200600_302600_NS6detail15normal_iteratorINSA_10device_ptrItEEEEPS6_NSA_18transform_iteratorI7is_evenItESF_NSA_11use_defaultESK_EENS0_5tupleIJNSA_16discard_iteratorISK_EESO_EEENSM_IJSG_SG_EEES6_PlJS6_EEE10hipError_tPvRmT3_T4_T5_T6_T7_T9_mT8_P12ihipStream_tbDpT10_ENKUlT_T0_E_clISt17integral_constantIbLb1EES1B_EEDaS16_S17_EUlS16_E_NS1_11comp_targetILNS1_3genE4ELNS1_11target_archE910ELNS1_3gpuE8ELNS1_3repE0EEENS1_30default_config_static_selectorELNS0_4arch9wavefront6targetE1EEEvT1_,comdat
.Lfunc_end3077:
	.size	_ZN7rocprim17ROCPRIM_400000_NS6detail17trampoline_kernelINS0_14default_configENS1_25partition_config_selectorILNS1_17partition_subalgoE1EtNS0_10empty_typeEbEEZZNS1_14partition_implILS5_1ELb0ES3_jN6thrust23THRUST_200600_302600_NS6detail15normal_iteratorINSA_10device_ptrItEEEEPS6_NSA_18transform_iteratorI7is_evenItESF_NSA_11use_defaultESK_EENS0_5tupleIJNSA_16discard_iteratorISK_EESO_EEENSM_IJSG_SG_EEES6_PlJS6_EEE10hipError_tPvRmT3_T4_T5_T6_T7_T9_mT8_P12ihipStream_tbDpT10_ENKUlT_T0_E_clISt17integral_constantIbLb1EES1B_EEDaS16_S17_EUlS16_E_NS1_11comp_targetILNS1_3genE4ELNS1_11target_archE910ELNS1_3gpuE8ELNS1_3repE0EEENS1_30default_config_static_selectorELNS0_4arch9wavefront6targetE1EEEvT1_, .Lfunc_end3077-_ZN7rocprim17ROCPRIM_400000_NS6detail17trampoline_kernelINS0_14default_configENS1_25partition_config_selectorILNS1_17partition_subalgoE1EtNS0_10empty_typeEbEEZZNS1_14partition_implILS5_1ELb0ES3_jN6thrust23THRUST_200600_302600_NS6detail15normal_iteratorINSA_10device_ptrItEEEEPS6_NSA_18transform_iteratorI7is_evenItESF_NSA_11use_defaultESK_EENS0_5tupleIJNSA_16discard_iteratorISK_EESO_EEENSM_IJSG_SG_EEES6_PlJS6_EEE10hipError_tPvRmT3_T4_T5_T6_T7_T9_mT8_P12ihipStream_tbDpT10_ENKUlT_T0_E_clISt17integral_constantIbLb1EES1B_EEDaS16_S17_EUlS16_E_NS1_11comp_targetILNS1_3genE4ELNS1_11target_archE910ELNS1_3gpuE8ELNS1_3repE0EEENS1_30default_config_static_selectorELNS0_4arch9wavefront6targetE1EEEvT1_
                                        ; -- End function
	.section	.AMDGPU.csdata,"",@progbits
; Kernel info:
; codeLenInByte = 0
; NumSgprs: 6
; NumVgprs: 0
; NumAgprs: 0
; TotalNumVgprs: 0
; ScratchSize: 0
; MemoryBound: 0
; FloatMode: 240
; IeeeMode: 1
; LDSByteSize: 0 bytes/workgroup (compile time only)
; SGPRBlocks: 0
; VGPRBlocks: 0
; NumSGPRsForWavesPerEU: 6
; NumVGPRsForWavesPerEU: 1
; AccumOffset: 4
; Occupancy: 8
; WaveLimiterHint : 0
; COMPUTE_PGM_RSRC2:SCRATCH_EN: 0
; COMPUTE_PGM_RSRC2:USER_SGPR: 2
; COMPUTE_PGM_RSRC2:TRAP_HANDLER: 0
; COMPUTE_PGM_RSRC2:TGID_X_EN: 1
; COMPUTE_PGM_RSRC2:TGID_Y_EN: 0
; COMPUTE_PGM_RSRC2:TGID_Z_EN: 0
; COMPUTE_PGM_RSRC2:TIDIG_COMP_CNT: 0
; COMPUTE_PGM_RSRC3_GFX90A:ACCUM_OFFSET: 0
; COMPUTE_PGM_RSRC3_GFX90A:TG_SPLIT: 0
	.section	.text._ZN7rocprim17ROCPRIM_400000_NS6detail17trampoline_kernelINS0_14default_configENS1_25partition_config_selectorILNS1_17partition_subalgoE1EtNS0_10empty_typeEbEEZZNS1_14partition_implILS5_1ELb0ES3_jN6thrust23THRUST_200600_302600_NS6detail15normal_iteratorINSA_10device_ptrItEEEEPS6_NSA_18transform_iteratorI7is_evenItESF_NSA_11use_defaultESK_EENS0_5tupleIJNSA_16discard_iteratorISK_EESO_EEENSM_IJSG_SG_EEES6_PlJS6_EEE10hipError_tPvRmT3_T4_T5_T6_T7_T9_mT8_P12ihipStream_tbDpT10_ENKUlT_T0_E_clISt17integral_constantIbLb1EES1B_EEDaS16_S17_EUlS16_E_NS1_11comp_targetILNS1_3genE3ELNS1_11target_archE908ELNS1_3gpuE7ELNS1_3repE0EEENS1_30default_config_static_selectorELNS0_4arch9wavefront6targetE1EEEvT1_,"axG",@progbits,_ZN7rocprim17ROCPRIM_400000_NS6detail17trampoline_kernelINS0_14default_configENS1_25partition_config_selectorILNS1_17partition_subalgoE1EtNS0_10empty_typeEbEEZZNS1_14partition_implILS5_1ELb0ES3_jN6thrust23THRUST_200600_302600_NS6detail15normal_iteratorINSA_10device_ptrItEEEEPS6_NSA_18transform_iteratorI7is_evenItESF_NSA_11use_defaultESK_EENS0_5tupleIJNSA_16discard_iteratorISK_EESO_EEENSM_IJSG_SG_EEES6_PlJS6_EEE10hipError_tPvRmT3_T4_T5_T6_T7_T9_mT8_P12ihipStream_tbDpT10_ENKUlT_T0_E_clISt17integral_constantIbLb1EES1B_EEDaS16_S17_EUlS16_E_NS1_11comp_targetILNS1_3genE3ELNS1_11target_archE908ELNS1_3gpuE7ELNS1_3repE0EEENS1_30default_config_static_selectorELNS0_4arch9wavefront6targetE1EEEvT1_,comdat
	.protected	_ZN7rocprim17ROCPRIM_400000_NS6detail17trampoline_kernelINS0_14default_configENS1_25partition_config_selectorILNS1_17partition_subalgoE1EtNS0_10empty_typeEbEEZZNS1_14partition_implILS5_1ELb0ES3_jN6thrust23THRUST_200600_302600_NS6detail15normal_iteratorINSA_10device_ptrItEEEEPS6_NSA_18transform_iteratorI7is_evenItESF_NSA_11use_defaultESK_EENS0_5tupleIJNSA_16discard_iteratorISK_EESO_EEENSM_IJSG_SG_EEES6_PlJS6_EEE10hipError_tPvRmT3_T4_T5_T6_T7_T9_mT8_P12ihipStream_tbDpT10_ENKUlT_T0_E_clISt17integral_constantIbLb1EES1B_EEDaS16_S17_EUlS16_E_NS1_11comp_targetILNS1_3genE3ELNS1_11target_archE908ELNS1_3gpuE7ELNS1_3repE0EEENS1_30default_config_static_selectorELNS0_4arch9wavefront6targetE1EEEvT1_ ; -- Begin function _ZN7rocprim17ROCPRIM_400000_NS6detail17trampoline_kernelINS0_14default_configENS1_25partition_config_selectorILNS1_17partition_subalgoE1EtNS0_10empty_typeEbEEZZNS1_14partition_implILS5_1ELb0ES3_jN6thrust23THRUST_200600_302600_NS6detail15normal_iteratorINSA_10device_ptrItEEEEPS6_NSA_18transform_iteratorI7is_evenItESF_NSA_11use_defaultESK_EENS0_5tupleIJNSA_16discard_iteratorISK_EESO_EEENSM_IJSG_SG_EEES6_PlJS6_EEE10hipError_tPvRmT3_T4_T5_T6_T7_T9_mT8_P12ihipStream_tbDpT10_ENKUlT_T0_E_clISt17integral_constantIbLb1EES1B_EEDaS16_S17_EUlS16_E_NS1_11comp_targetILNS1_3genE3ELNS1_11target_archE908ELNS1_3gpuE7ELNS1_3repE0EEENS1_30default_config_static_selectorELNS0_4arch9wavefront6targetE1EEEvT1_
	.globl	_ZN7rocprim17ROCPRIM_400000_NS6detail17trampoline_kernelINS0_14default_configENS1_25partition_config_selectorILNS1_17partition_subalgoE1EtNS0_10empty_typeEbEEZZNS1_14partition_implILS5_1ELb0ES3_jN6thrust23THRUST_200600_302600_NS6detail15normal_iteratorINSA_10device_ptrItEEEEPS6_NSA_18transform_iteratorI7is_evenItESF_NSA_11use_defaultESK_EENS0_5tupleIJNSA_16discard_iteratorISK_EESO_EEENSM_IJSG_SG_EEES6_PlJS6_EEE10hipError_tPvRmT3_T4_T5_T6_T7_T9_mT8_P12ihipStream_tbDpT10_ENKUlT_T0_E_clISt17integral_constantIbLb1EES1B_EEDaS16_S17_EUlS16_E_NS1_11comp_targetILNS1_3genE3ELNS1_11target_archE908ELNS1_3gpuE7ELNS1_3repE0EEENS1_30default_config_static_selectorELNS0_4arch9wavefront6targetE1EEEvT1_
	.p2align	8
	.type	_ZN7rocprim17ROCPRIM_400000_NS6detail17trampoline_kernelINS0_14default_configENS1_25partition_config_selectorILNS1_17partition_subalgoE1EtNS0_10empty_typeEbEEZZNS1_14partition_implILS5_1ELb0ES3_jN6thrust23THRUST_200600_302600_NS6detail15normal_iteratorINSA_10device_ptrItEEEEPS6_NSA_18transform_iteratorI7is_evenItESF_NSA_11use_defaultESK_EENS0_5tupleIJNSA_16discard_iteratorISK_EESO_EEENSM_IJSG_SG_EEES6_PlJS6_EEE10hipError_tPvRmT3_T4_T5_T6_T7_T9_mT8_P12ihipStream_tbDpT10_ENKUlT_T0_E_clISt17integral_constantIbLb1EES1B_EEDaS16_S17_EUlS16_E_NS1_11comp_targetILNS1_3genE3ELNS1_11target_archE908ELNS1_3gpuE7ELNS1_3repE0EEENS1_30default_config_static_selectorELNS0_4arch9wavefront6targetE1EEEvT1_,@function
_ZN7rocprim17ROCPRIM_400000_NS6detail17trampoline_kernelINS0_14default_configENS1_25partition_config_selectorILNS1_17partition_subalgoE1EtNS0_10empty_typeEbEEZZNS1_14partition_implILS5_1ELb0ES3_jN6thrust23THRUST_200600_302600_NS6detail15normal_iteratorINSA_10device_ptrItEEEEPS6_NSA_18transform_iteratorI7is_evenItESF_NSA_11use_defaultESK_EENS0_5tupleIJNSA_16discard_iteratorISK_EESO_EEENSM_IJSG_SG_EEES6_PlJS6_EEE10hipError_tPvRmT3_T4_T5_T6_T7_T9_mT8_P12ihipStream_tbDpT10_ENKUlT_T0_E_clISt17integral_constantIbLb1EES1B_EEDaS16_S17_EUlS16_E_NS1_11comp_targetILNS1_3genE3ELNS1_11target_archE908ELNS1_3gpuE7ELNS1_3repE0EEENS1_30default_config_static_selectorELNS0_4arch9wavefront6targetE1EEEvT1_: ; @_ZN7rocprim17ROCPRIM_400000_NS6detail17trampoline_kernelINS0_14default_configENS1_25partition_config_selectorILNS1_17partition_subalgoE1EtNS0_10empty_typeEbEEZZNS1_14partition_implILS5_1ELb0ES3_jN6thrust23THRUST_200600_302600_NS6detail15normal_iteratorINSA_10device_ptrItEEEEPS6_NSA_18transform_iteratorI7is_evenItESF_NSA_11use_defaultESK_EENS0_5tupleIJNSA_16discard_iteratorISK_EESO_EEENSM_IJSG_SG_EEES6_PlJS6_EEE10hipError_tPvRmT3_T4_T5_T6_T7_T9_mT8_P12ihipStream_tbDpT10_ENKUlT_T0_E_clISt17integral_constantIbLb1EES1B_EEDaS16_S17_EUlS16_E_NS1_11comp_targetILNS1_3genE3ELNS1_11target_archE908ELNS1_3gpuE7ELNS1_3repE0EEENS1_30default_config_static_selectorELNS0_4arch9wavefront6targetE1EEEvT1_
; %bb.0:
	.section	.rodata,"a",@progbits
	.p2align	6, 0x0
	.amdhsa_kernel _ZN7rocprim17ROCPRIM_400000_NS6detail17trampoline_kernelINS0_14default_configENS1_25partition_config_selectorILNS1_17partition_subalgoE1EtNS0_10empty_typeEbEEZZNS1_14partition_implILS5_1ELb0ES3_jN6thrust23THRUST_200600_302600_NS6detail15normal_iteratorINSA_10device_ptrItEEEEPS6_NSA_18transform_iteratorI7is_evenItESF_NSA_11use_defaultESK_EENS0_5tupleIJNSA_16discard_iteratorISK_EESO_EEENSM_IJSG_SG_EEES6_PlJS6_EEE10hipError_tPvRmT3_T4_T5_T6_T7_T9_mT8_P12ihipStream_tbDpT10_ENKUlT_T0_E_clISt17integral_constantIbLb1EES1B_EEDaS16_S17_EUlS16_E_NS1_11comp_targetILNS1_3genE3ELNS1_11target_archE908ELNS1_3gpuE7ELNS1_3repE0EEENS1_30default_config_static_selectorELNS0_4arch9wavefront6targetE1EEEvT1_
		.amdhsa_group_segment_fixed_size 0
		.amdhsa_private_segment_fixed_size 0
		.amdhsa_kernarg_size 160
		.amdhsa_user_sgpr_count 2
		.amdhsa_user_sgpr_dispatch_ptr 0
		.amdhsa_user_sgpr_queue_ptr 0
		.amdhsa_user_sgpr_kernarg_segment_ptr 1
		.amdhsa_user_sgpr_dispatch_id 0
		.amdhsa_user_sgpr_kernarg_preload_length 0
		.amdhsa_user_sgpr_kernarg_preload_offset 0
		.amdhsa_user_sgpr_private_segment_size 0
		.amdhsa_uses_dynamic_stack 0
		.amdhsa_enable_private_segment 0
		.amdhsa_system_sgpr_workgroup_id_x 1
		.amdhsa_system_sgpr_workgroup_id_y 0
		.amdhsa_system_sgpr_workgroup_id_z 0
		.amdhsa_system_sgpr_workgroup_info 0
		.amdhsa_system_vgpr_workitem_id 0
		.amdhsa_next_free_vgpr 1
		.amdhsa_next_free_sgpr 0
		.amdhsa_accum_offset 4
		.amdhsa_reserve_vcc 0
		.amdhsa_float_round_mode_32 0
		.amdhsa_float_round_mode_16_64 0
		.amdhsa_float_denorm_mode_32 3
		.amdhsa_float_denorm_mode_16_64 3
		.amdhsa_dx10_clamp 1
		.amdhsa_ieee_mode 1
		.amdhsa_fp16_overflow 0
		.amdhsa_tg_split 0
		.amdhsa_exception_fp_ieee_invalid_op 0
		.amdhsa_exception_fp_denorm_src 0
		.amdhsa_exception_fp_ieee_div_zero 0
		.amdhsa_exception_fp_ieee_overflow 0
		.amdhsa_exception_fp_ieee_underflow 0
		.amdhsa_exception_fp_ieee_inexact 0
		.amdhsa_exception_int_div_zero 0
	.end_amdhsa_kernel
	.section	.text._ZN7rocprim17ROCPRIM_400000_NS6detail17trampoline_kernelINS0_14default_configENS1_25partition_config_selectorILNS1_17partition_subalgoE1EtNS0_10empty_typeEbEEZZNS1_14partition_implILS5_1ELb0ES3_jN6thrust23THRUST_200600_302600_NS6detail15normal_iteratorINSA_10device_ptrItEEEEPS6_NSA_18transform_iteratorI7is_evenItESF_NSA_11use_defaultESK_EENS0_5tupleIJNSA_16discard_iteratorISK_EESO_EEENSM_IJSG_SG_EEES6_PlJS6_EEE10hipError_tPvRmT3_T4_T5_T6_T7_T9_mT8_P12ihipStream_tbDpT10_ENKUlT_T0_E_clISt17integral_constantIbLb1EES1B_EEDaS16_S17_EUlS16_E_NS1_11comp_targetILNS1_3genE3ELNS1_11target_archE908ELNS1_3gpuE7ELNS1_3repE0EEENS1_30default_config_static_selectorELNS0_4arch9wavefront6targetE1EEEvT1_,"axG",@progbits,_ZN7rocprim17ROCPRIM_400000_NS6detail17trampoline_kernelINS0_14default_configENS1_25partition_config_selectorILNS1_17partition_subalgoE1EtNS0_10empty_typeEbEEZZNS1_14partition_implILS5_1ELb0ES3_jN6thrust23THRUST_200600_302600_NS6detail15normal_iteratorINSA_10device_ptrItEEEEPS6_NSA_18transform_iteratorI7is_evenItESF_NSA_11use_defaultESK_EENS0_5tupleIJNSA_16discard_iteratorISK_EESO_EEENSM_IJSG_SG_EEES6_PlJS6_EEE10hipError_tPvRmT3_T4_T5_T6_T7_T9_mT8_P12ihipStream_tbDpT10_ENKUlT_T0_E_clISt17integral_constantIbLb1EES1B_EEDaS16_S17_EUlS16_E_NS1_11comp_targetILNS1_3genE3ELNS1_11target_archE908ELNS1_3gpuE7ELNS1_3repE0EEENS1_30default_config_static_selectorELNS0_4arch9wavefront6targetE1EEEvT1_,comdat
.Lfunc_end3078:
	.size	_ZN7rocprim17ROCPRIM_400000_NS6detail17trampoline_kernelINS0_14default_configENS1_25partition_config_selectorILNS1_17partition_subalgoE1EtNS0_10empty_typeEbEEZZNS1_14partition_implILS5_1ELb0ES3_jN6thrust23THRUST_200600_302600_NS6detail15normal_iteratorINSA_10device_ptrItEEEEPS6_NSA_18transform_iteratorI7is_evenItESF_NSA_11use_defaultESK_EENS0_5tupleIJNSA_16discard_iteratorISK_EESO_EEENSM_IJSG_SG_EEES6_PlJS6_EEE10hipError_tPvRmT3_T4_T5_T6_T7_T9_mT8_P12ihipStream_tbDpT10_ENKUlT_T0_E_clISt17integral_constantIbLb1EES1B_EEDaS16_S17_EUlS16_E_NS1_11comp_targetILNS1_3genE3ELNS1_11target_archE908ELNS1_3gpuE7ELNS1_3repE0EEENS1_30default_config_static_selectorELNS0_4arch9wavefront6targetE1EEEvT1_, .Lfunc_end3078-_ZN7rocprim17ROCPRIM_400000_NS6detail17trampoline_kernelINS0_14default_configENS1_25partition_config_selectorILNS1_17partition_subalgoE1EtNS0_10empty_typeEbEEZZNS1_14partition_implILS5_1ELb0ES3_jN6thrust23THRUST_200600_302600_NS6detail15normal_iteratorINSA_10device_ptrItEEEEPS6_NSA_18transform_iteratorI7is_evenItESF_NSA_11use_defaultESK_EENS0_5tupleIJNSA_16discard_iteratorISK_EESO_EEENSM_IJSG_SG_EEES6_PlJS6_EEE10hipError_tPvRmT3_T4_T5_T6_T7_T9_mT8_P12ihipStream_tbDpT10_ENKUlT_T0_E_clISt17integral_constantIbLb1EES1B_EEDaS16_S17_EUlS16_E_NS1_11comp_targetILNS1_3genE3ELNS1_11target_archE908ELNS1_3gpuE7ELNS1_3repE0EEENS1_30default_config_static_selectorELNS0_4arch9wavefront6targetE1EEEvT1_
                                        ; -- End function
	.section	.AMDGPU.csdata,"",@progbits
; Kernel info:
; codeLenInByte = 0
; NumSgprs: 6
; NumVgprs: 0
; NumAgprs: 0
; TotalNumVgprs: 0
; ScratchSize: 0
; MemoryBound: 0
; FloatMode: 240
; IeeeMode: 1
; LDSByteSize: 0 bytes/workgroup (compile time only)
; SGPRBlocks: 0
; VGPRBlocks: 0
; NumSGPRsForWavesPerEU: 6
; NumVGPRsForWavesPerEU: 1
; AccumOffset: 4
; Occupancy: 8
; WaveLimiterHint : 0
; COMPUTE_PGM_RSRC2:SCRATCH_EN: 0
; COMPUTE_PGM_RSRC2:USER_SGPR: 2
; COMPUTE_PGM_RSRC2:TRAP_HANDLER: 0
; COMPUTE_PGM_RSRC2:TGID_X_EN: 1
; COMPUTE_PGM_RSRC2:TGID_Y_EN: 0
; COMPUTE_PGM_RSRC2:TGID_Z_EN: 0
; COMPUTE_PGM_RSRC2:TIDIG_COMP_CNT: 0
; COMPUTE_PGM_RSRC3_GFX90A:ACCUM_OFFSET: 0
; COMPUTE_PGM_RSRC3_GFX90A:TG_SPLIT: 0
	.section	.text._ZN7rocprim17ROCPRIM_400000_NS6detail17trampoline_kernelINS0_14default_configENS1_25partition_config_selectorILNS1_17partition_subalgoE1EtNS0_10empty_typeEbEEZZNS1_14partition_implILS5_1ELb0ES3_jN6thrust23THRUST_200600_302600_NS6detail15normal_iteratorINSA_10device_ptrItEEEEPS6_NSA_18transform_iteratorI7is_evenItESF_NSA_11use_defaultESK_EENS0_5tupleIJNSA_16discard_iteratorISK_EESO_EEENSM_IJSG_SG_EEES6_PlJS6_EEE10hipError_tPvRmT3_T4_T5_T6_T7_T9_mT8_P12ihipStream_tbDpT10_ENKUlT_T0_E_clISt17integral_constantIbLb1EES1B_EEDaS16_S17_EUlS16_E_NS1_11comp_targetILNS1_3genE2ELNS1_11target_archE906ELNS1_3gpuE6ELNS1_3repE0EEENS1_30default_config_static_selectorELNS0_4arch9wavefront6targetE1EEEvT1_,"axG",@progbits,_ZN7rocprim17ROCPRIM_400000_NS6detail17trampoline_kernelINS0_14default_configENS1_25partition_config_selectorILNS1_17partition_subalgoE1EtNS0_10empty_typeEbEEZZNS1_14partition_implILS5_1ELb0ES3_jN6thrust23THRUST_200600_302600_NS6detail15normal_iteratorINSA_10device_ptrItEEEEPS6_NSA_18transform_iteratorI7is_evenItESF_NSA_11use_defaultESK_EENS0_5tupleIJNSA_16discard_iteratorISK_EESO_EEENSM_IJSG_SG_EEES6_PlJS6_EEE10hipError_tPvRmT3_T4_T5_T6_T7_T9_mT8_P12ihipStream_tbDpT10_ENKUlT_T0_E_clISt17integral_constantIbLb1EES1B_EEDaS16_S17_EUlS16_E_NS1_11comp_targetILNS1_3genE2ELNS1_11target_archE906ELNS1_3gpuE6ELNS1_3repE0EEENS1_30default_config_static_selectorELNS0_4arch9wavefront6targetE1EEEvT1_,comdat
	.protected	_ZN7rocprim17ROCPRIM_400000_NS6detail17trampoline_kernelINS0_14default_configENS1_25partition_config_selectorILNS1_17partition_subalgoE1EtNS0_10empty_typeEbEEZZNS1_14partition_implILS5_1ELb0ES3_jN6thrust23THRUST_200600_302600_NS6detail15normal_iteratorINSA_10device_ptrItEEEEPS6_NSA_18transform_iteratorI7is_evenItESF_NSA_11use_defaultESK_EENS0_5tupleIJNSA_16discard_iteratorISK_EESO_EEENSM_IJSG_SG_EEES6_PlJS6_EEE10hipError_tPvRmT3_T4_T5_T6_T7_T9_mT8_P12ihipStream_tbDpT10_ENKUlT_T0_E_clISt17integral_constantIbLb1EES1B_EEDaS16_S17_EUlS16_E_NS1_11comp_targetILNS1_3genE2ELNS1_11target_archE906ELNS1_3gpuE6ELNS1_3repE0EEENS1_30default_config_static_selectorELNS0_4arch9wavefront6targetE1EEEvT1_ ; -- Begin function _ZN7rocprim17ROCPRIM_400000_NS6detail17trampoline_kernelINS0_14default_configENS1_25partition_config_selectorILNS1_17partition_subalgoE1EtNS0_10empty_typeEbEEZZNS1_14partition_implILS5_1ELb0ES3_jN6thrust23THRUST_200600_302600_NS6detail15normal_iteratorINSA_10device_ptrItEEEEPS6_NSA_18transform_iteratorI7is_evenItESF_NSA_11use_defaultESK_EENS0_5tupleIJNSA_16discard_iteratorISK_EESO_EEENSM_IJSG_SG_EEES6_PlJS6_EEE10hipError_tPvRmT3_T4_T5_T6_T7_T9_mT8_P12ihipStream_tbDpT10_ENKUlT_T0_E_clISt17integral_constantIbLb1EES1B_EEDaS16_S17_EUlS16_E_NS1_11comp_targetILNS1_3genE2ELNS1_11target_archE906ELNS1_3gpuE6ELNS1_3repE0EEENS1_30default_config_static_selectorELNS0_4arch9wavefront6targetE1EEEvT1_
	.globl	_ZN7rocprim17ROCPRIM_400000_NS6detail17trampoline_kernelINS0_14default_configENS1_25partition_config_selectorILNS1_17partition_subalgoE1EtNS0_10empty_typeEbEEZZNS1_14partition_implILS5_1ELb0ES3_jN6thrust23THRUST_200600_302600_NS6detail15normal_iteratorINSA_10device_ptrItEEEEPS6_NSA_18transform_iteratorI7is_evenItESF_NSA_11use_defaultESK_EENS0_5tupleIJNSA_16discard_iteratorISK_EESO_EEENSM_IJSG_SG_EEES6_PlJS6_EEE10hipError_tPvRmT3_T4_T5_T6_T7_T9_mT8_P12ihipStream_tbDpT10_ENKUlT_T0_E_clISt17integral_constantIbLb1EES1B_EEDaS16_S17_EUlS16_E_NS1_11comp_targetILNS1_3genE2ELNS1_11target_archE906ELNS1_3gpuE6ELNS1_3repE0EEENS1_30default_config_static_selectorELNS0_4arch9wavefront6targetE1EEEvT1_
	.p2align	8
	.type	_ZN7rocprim17ROCPRIM_400000_NS6detail17trampoline_kernelINS0_14default_configENS1_25partition_config_selectorILNS1_17partition_subalgoE1EtNS0_10empty_typeEbEEZZNS1_14partition_implILS5_1ELb0ES3_jN6thrust23THRUST_200600_302600_NS6detail15normal_iteratorINSA_10device_ptrItEEEEPS6_NSA_18transform_iteratorI7is_evenItESF_NSA_11use_defaultESK_EENS0_5tupleIJNSA_16discard_iteratorISK_EESO_EEENSM_IJSG_SG_EEES6_PlJS6_EEE10hipError_tPvRmT3_T4_T5_T6_T7_T9_mT8_P12ihipStream_tbDpT10_ENKUlT_T0_E_clISt17integral_constantIbLb1EES1B_EEDaS16_S17_EUlS16_E_NS1_11comp_targetILNS1_3genE2ELNS1_11target_archE906ELNS1_3gpuE6ELNS1_3repE0EEENS1_30default_config_static_selectorELNS0_4arch9wavefront6targetE1EEEvT1_,@function
_ZN7rocprim17ROCPRIM_400000_NS6detail17trampoline_kernelINS0_14default_configENS1_25partition_config_selectorILNS1_17partition_subalgoE1EtNS0_10empty_typeEbEEZZNS1_14partition_implILS5_1ELb0ES3_jN6thrust23THRUST_200600_302600_NS6detail15normal_iteratorINSA_10device_ptrItEEEEPS6_NSA_18transform_iteratorI7is_evenItESF_NSA_11use_defaultESK_EENS0_5tupleIJNSA_16discard_iteratorISK_EESO_EEENSM_IJSG_SG_EEES6_PlJS6_EEE10hipError_tPvRmT3_T4_T5_T6_T7_T9_mT8_P12ihipStream_tbDpT10_ENKUlT_T0_E_clISt17integral_constantIbLb1EES1B_EEDaS16_S17_EUlS16_E_NS1_11comp_targetILNS1_3genE2ELNS1_11target_archE906ELNS1_3gpuE6ELNS1_3repE0EEENS1_30default_config_static_selectorELNS0_4arch9wavefront6targetE1EEEvT1_: ; @_ZN7rocprim17ROCPRIM_400000_NS6detail17trampoline_kernelINS0_14default_configENS1_25partition_config_selectorILNS1_17partition_subalgoE1EtNS0_10empty_typeEbEEZZNS1_14partition_implILS5_1ELb0ES3_jN6thrust23THRUST_200600_302600_NS6detail15normal_iteratorINSA_10device_ptrItEEEEPS6_NSA_18transform_iteratorI7is_evenItESF_NSA_11use_defaultESK_EENS0_5tupleIJNSA_16discard_iteratorISK_EESO_EEENSM_IJSG_SG_EEES6_PlJS6_EEE10hipError_tPvRmT3_T4_T5_T6_T7_T9_mT8_P12ihipStream_tbDpT10_ENKUlT_T0_E_clISt17integral_constantIbLb1EES1B_EEDaS16_S17_EUlS16_E_NS1_11comp_targetILNS1_3genE2ELNS1_11target_archE906ELNS1_3gpuE6ELNS1_3repE0EEENS1_30default_config_static_selectorELNS0_4arch9wavefront6targetE1EEEvT1_
; %bb.0:
	.section	.rodata,"a",@progbits
	.p2align	6, 0x0
	.amdhsa_kernel _ZN7rocprim17ROCPRIM_400000_NS6detail17trampoline_kernelINS0_14default_configENS1_25partition_config_selectorILNS1_17partition_subalgoE1EtNS0_10empty_typeEbEEZZNS1_14partition_implILS5_1ELb0ES3_jN6thrust23THRUST_200600_302600_NS6detail15normal_iteratorINSA_10device_ptrItEEEEPS6_NSA_18transform_iteratorI7is_evenItESF_NSA_11use_defaultESK_EENS0_5tupleIJNSA_16discard_iteratorISK_EESO_EEENSM_IJSG_SG_EEES6_PlJS6_EEE10hipError_tPvRmT3_T4_T5_T6_T7_T9_mT8_P12ihipStream_tbDpT10_ENKUlT_T0_E_clISt17integral_constantIbLb1EES1B_EEDaS16_S17_EUlS16_E_NS1_11comp_targetILNS1_3genE2ELNS1_11target_archE906ELNS1_3gpuE6ELNS1_3repE0EEENS1_30default_config_static_selectorELNS0_4arch9wavefront6targetE1EEEvT1_
		.amdhsa_group_segment_fixed_size 0
		.amdhsa_private_segment_fixed_size 0
		.amdhsa_kernarg_size 160
		.amdhsa_user_sgpr_count 2
		.amdhsa_user_sgpr_dispatch_ptr 0
		.amdhsa_user_sgpr_queue_ptr 0
		.amdhsa_user_sgpr_kernarg_segment_ptr 1
		.amdhsa_user_sgpr_dispatch_id 0
		.amdhsa_user_sgpr_kernarg_preload_length 0
		.amdhsa_user_sgpr_kernarg_preload_offset 0
		.amdhsa_user_sgpr_private_segment_size 0
		.amdhsa_uses_dynamic_stack 0
		.amdhsa_enable_private_segment 0
		.amdhsa_system_sgpr_workgroup_id_x 1
		.amdhsa_system_sgpr_workgroup_id_y 0
		.amdhsa_system_sgpr_workgroup_id_z 0
		.amdhsa_system_sgpr_workgroup_info 0
		.amdhsa_system_vgpr_workitem_id 0
		.amdhsa_next_free_vgpr 1
		.amdhsa_next_free_sgpr 0
		.amdhsa_accum_offset 4
		.amdhsa_reserve_vcc 0
		.amdhsa_float_round_mode_32 0
		.amdhsa_float_round_mode_16_64 0
		.amdhsa_float_denorm_mode_32 3
		.amdhsa_float_denorm_mode_16_64 3
		.amdhsa_dx10_clamp 1
		.amdhsa_ieee_mode 1
		.amdhsa_fp16_overflow 0
		.amdhsa_tg_split 0
		.amdhsa_exception_fp_ieee_invalid_op 0
		.amdhsa_exception_fp_denorm_src 0
		.amdhsa_exception_fp_ieee_div_zero 0
		.amdhsa_exception_fp_ieee_overflow 0
		.amdhsa_exception_fp_ieee_underflow 0
		.amdhsa_exception_fp_ieee_inexact 0
		.amdhsa_exception_int_div_zero 0
	.end_amdhsa_kernel
	.section	.text._ZN7rocprim17ROCPRIM_400000_NS6detail17trampoline_kernelINS0_14default_configENS1_25partition_config_selectorILNS1_17partition_subalgoE1EtNS0_10empty_typeEbEEZZNS1_14partition_implILS5_1ELb0ES3_jN6thrust23THRUST_200600_302600_NS6detail15normal_iteratorINSA_10device_ptrItEEEEPS6_NSA_18transform_iteratorI7is_evenItESF_NSA_11use_defaultESK_EENS0_5tupleIJNSA_16discard_iteratorISK_EESO_EEENSM_IJSG_SG_EEES6_PlJS6_EEE10hipError_tPvRmT3_T4_T5_T6_T7_T9_mT8_P12ihipStream_tbDpT10_ENKUlT_T0_E_clISt17integral_constantIbLb1EES1B_EEDaS16_S17_EUlS16_E_NS1_11comp_targetILNS1_3genE2ELNS1_11target_archE906ELNS1_3gpuE6ELNS1_3repE0EEENS1_30default_config_static_selectorELNS0_4arch9wavefront6targetE1EEEvT1_,"axG",@progbits,_ZN7rocprim17ROCPRIM_400000_NS6detail17trampoline_kernelINS0_14default_configENS1_25partition_config_selectorILNS1_17partition_subalgoE1EtNS0_10empty_typeEbEEZZNS1_14partition_implILS5_1ELb0ES3_jN6thrust23THRUST_200600_302600_NS6detail15normal_iteratorINSA_10device_ptrItEEEEPS6_NSA_18transform_iteratorI7is_evenItESF_NSA_11use_defaultESK_EENS0_5tupleIJNSA_16discard_iteratorISK_EESO_EEENSM_IJSG_SG_EEES6_PlJS6_EEE10hipError_tPvRmT3_T4_T5_T6_T7_T9_mT8_P12ihipStream_tbDpT10_ENKUlT_T0_E_clISt17integral_constantIbLb1EES1B_EEDaS16_S17_EUlS16_E_NS1_11comp_targetILNS1_3genE2ELNS1_11target_archE906ELNS1_3gpuE6ELNS1_3repE0EEENS1_30default_config_static_selectorELNS0_4arch9wavefront6targetE1EEEvT1_,comdat
.Lfunc_end3079:
	.size	_ZN7rocprim17ROCPRIM_400000_NS6detail17trampoline_kernelINS0_14default_configENS1_25partition_config_selectorILNS1_17partition_subalgoE1EtNS0_10empty_typeEbEEZZNS1_14partition_implILS5_1ELb0ES3_jN6thrust23THRUST_200600_302600_NS6detail15normal_iteratorINSA_10device_ptrItEEEEPS6_NSA_18transform_iteratorI7is_evenItESF_NSA_11use_defaultESK_EENS0_5tupleIJNSA_16discard_iteratorISK_EESO_EEENSM_IJSG_SG_EEES6_PlJS6_EEE10hipError_tPvRmT3_T4_T5_T6_T7_T9_mT8_P12ihipStream_tbDpT10_ENKUlT_T0_E_clISt17integral_constantIbLb1EES1B_EEDaS16_S17_EUlS16_E_NS1_11comp_targetILNS1_3genE2ELNS1_11target_archE906ELNS1_3gpuE6ELNS1_3repE0EEENS1_30default_config_static_selectorELNS0_4arch9wavefront6targetE1EEEvT1_, .Lfunc_end3079-_ZN7rocprim17ROCPRIM_400000_NS6detail17trampoline_kernelINS0_14default_configENS1_25partition_config_selectorILNS1_17partition_subalgoE1EtNS0_10empty_typeEbEEZZNS1_14partition_implILS5_1ELb0ES3_jN6thrust23THRUST_200600_302600_NS6detail15normal_iteratorINSA_10device_ptrItEEEEPS6_NSA_18transform_iteratorI7is_evenItESF_NSA_11use_defaultESK_EENS0_5tupleIJNSA_16discard_iteratorISK_EESO_EEENSM_IJSG_SG_EEES6_PlJS6_EEE10hipError_tPvRmT3_T4_T5_T6_T7_T9_mT8_P12ihipStream_tbDpT10_ENKUlT_T0_E_clISt17integral_constantIbLb1EES1B_EEDaS16_S17_EUlS16_E_NS1_11comp_targetILNS1_3genE2ELNS1_11target_archE906ELNS1_3gpuE6ELNS1_3repE0EEENS1_30default_config_static_selectorELNS0_4arch9wavefront6targetE1EEEvT1_
                                        ; -- End function
	.section	.AMDGPU.csdata,"",@progbits
; Kernel info:
; codeLenInByte = 0
; NumSgprs: 6
; NumVgprs: 0
; NumAgprs: 0
; TotalNumVgprs: 0
; ScratchSize: 0
; MemoryBound: 0
; FloatMode: 240
; IeeeMode: 1
; LDSByteSize: 0 bytes/workgroup (compile time only)
; SGPRBlocks: 0
; VGPRBlocks: 0
; NumSGPRsForWavesPerEU: 6
; NumVGPRsForWavesPerEU: 1
; AccumOffset: 4
; Occupancy: 8
; WaveLimiterHint : 0
; COMPUTE_PGM_RSRC2:SCRATCH_EN: 0
; COMPUTE_PGM_RSRC2:USER_SGPR: 2
; COMPUTE_PGM_RSRC2:TRAP_HANDLER: 0
; COMPUTE_PGM_RSRC2:TGID_X_EN: 1
; COMPUTE_PGM_RSRC2:TGID_Y_EN: 0
; COMPUTE_PGM_RSRC2:TGID_Z_EN: 0
; COMPUTE_PGM_RSRC2:TIDIG_COMP_CNT: 0
; COMPUTE_PGM_RSRC3_GFX90A:ACCUM_OFFSET: 0
; COMPUTE_PGM_RSRC3_GFX90A:TG_SPLIT: 0
	.section	.text._ZN7rocprim17ROCPRIM_400000_NS6detail17trampoline_kernelINS0_14default_configENS1_25partition_config_selectorILNS1_17partition_subalgoE1EtNS0_10empty_typeEbEEZZNS1_14partition_implILS5_1ELb0ES3_jN6thrust23THRUST_200600_302600_NS6detail15normal_iteratorINSA_10device_ptrItEEEEPS6_NSA_18transform_iteratorI7is_evenItESF_NSA_11use_defaultESK_EENS0_5tupleIJNSA_16discard_iteratorISK_EESO_EEENSM_IJSG_SG_EEES6_PlJS6_EEE10hipError_tPvRmT3_T4_T5_T6_T7_T9_mT8_P12ihipStream_tbDpT10_ENKUlT_T0_E_clISt17integral_constantIbLb1EES1B_EEDaS16_S17_EUlS16_E_NS1_11comp_targetILNS1_3genE10ELNS1_11target_archE1200ELNS1_3gpuE4ELNS1_3repE0EEENS1_30default_config_static_selectorELNS0_4arch9wavefront6targetE1EEEvT1_,"axG",@progbits,_ZN7rocprim17ROCPRIM_400000_NS6detail17trampoline_kernelINS0_14default_configENS1_25partition_config_selectorILNS1_17partition_subalgoE1EtNS0_10empty_typeEbEEZZNS1_14partition_implILS5_1ELb0ES3_jN6thrust23THRUST_200600_302600_NS6detail15normal_iteratorINSA_10device_ptrItEEEEPS6_NSA_18transform_iteratorI7is_evenItESF_NSA_11use_defaultESK_EENS0_5tupleIJNSA_16discard_iteratorISK_EESO_EEENSM_IJSG_SG_EEES6_PlJS6_EEE10hipError_tPvRmT3_T4_T5_T6_T7_T9_mT8_P12ihipStream_tbDpT10_ENKUlT_T0_E_clISt17integral_constantIbLb1EES1B_EEDaS16_S17_EUlS16_E_NS1_11comp_targetILNS1_3genE10ELNS1_11target_archE1200ELNS1_3gpuE4ELNS1_3repE0EEENS1_30default_config_static_selectorELNS0_4arch9wavefront6targetE1EEEvT1_,comdat
	.protected	_ZN7rocprim17ROCPRIM_400000_NS6detail17trampoline_kernelINS0_14default_configENS1_25partition_config_selectorILNS1_17partition_subalgoE1EtNS0_10empty_typeEbEEZZNS1_14partition_implILS5_1ELb0ES3_jN6thrust23THRUST_200600_302600_NS6detail15normal_iteratorINSA_10device_ptrItEEEEPS6_NSA_18transform_iteratorI7is_evenItESF_NSA_11use_defaultESK_EENS0_5tupleIJNSA_16discard_iteratorISK_EESO_EEENSM_IJSG_SG_EEES6_PlJS6_EEE10hipError_tPvRmT3_T4_T5_T6_T7_T9_mT8_P12ihipStream_tbDpT10_ENKUlT_T0_E_clISt17integral_constantIbLb1EES1B_EEDaS16_S17_EUlS16_E_NS1_11comp_targetILNS1_3genE10ELNS1_11target_archE1200ELNS1_3gpuE4ELNS1_3repE0EEENS1_30default_config_static_selectorELNS0_4arch9wavefront6targetE1EEEvT1_ ; -- Begin function _ZN7rocprim17ROCPRIM_400000_NS6detail17trampoline_kernelINS0_14default_configENS1_25partition_config_selectorILNS1_17partition_subalgoE1EtNS0_10empty_typeEbEEZZNS1_14partition_implILS5_1ELb0ES3_jN6thrust23THRUST_200600_302600_NS6detail15normal_iteratorINSA_10device_ptrItEEEEPS6_NSA_18transform_iteratorI7is_evenItESF_NSA_11use_defaultESK_EENS0_5tupleIJNSA_16discard_iteratorISK_EESO_EEENSM_IJSG_SG_EEES6_PlJS6_EEE10hipError_tPvRmT3_T4_T5_T6_T7_T9_mT8_P12ihipStream_tbDpT10_ENKUlT_T0_E_clISt17integral_constantIbLb1EES1B_EEDaS16_S17_EUlS16_E_NS1_11comp_targetILNS1_3genE10ELNS1_11target_archE1200ELNS1_3gpuE4ELNS1_3repE0EEENS1_30default_config_static_selectorELNS0_4arch9wavefront6targetE1EEEvT1_
	.globl	_ZN7rocprim17ROCPRIM_400000_NS6detail17trampoline_kernelINS0_14default_configENS1_25partition_config_selectorILNS1_17partition_subalgoE1EtNS0_10empty_typeEbEEZZNS1_14partition_implILS5_1ELb0ES3_jN6thrust23THRUST_200600_302600_NS6detail15normal_iteratorINSA_10device_ptrItEEEEPS6_NSA_18transform_iteratorI7is_evenItESF_NSA_11use_defaultESK_EENS0_5tupleIJNSA_16discard_iteratorISK_EESO_EEENSM_IJSG_SG_EEES6_PlJS6_EEE10hipError_tPvRmT3_T4_T5_T6_T7_T9_mT8_P12ihipStream_tbDpT10_ENKUlT_T0_E_clISt17integral_constantIbLb1EES1B_EEDaS16_S17_EUlS16_E_NS1_11comp_targetILNS1_3genE10ELNS1_11target_archE1200ELNS1_3gpuE4ELNS1_3repE0EEENS1_30default_config_static_selectorELNS0_4arch9wavefront6targetE1EEEvT1_
	.p2align	8
	.type	_ZN7rocprim17ROCPRIM_400000_NS6detail17trampoline_kernelINS0_14default_configENS1_25partition_config_selectorILNS1_17partition_subalgoE1EtNS0_10empty_typeEbEEZZNS1_14partition_implILS5_1ELb0ES3_jN6thrust23THRUST_200600_302600_NS6detail15normal_iteratorINSA_10device_ptrItEEEEPS6_NSA_18transform_iteratorI7is_evenItESF_NSA_11use_defaultESK_EENS0_5tupleIJNSA_16discard_iteratorISK_EESO_EEENSM_IJSG_SG_EEES6_PlJS6_EEE10hipError_tPvRmT3_T4_T5_T6_T7_T9_mT8_P12ihipStream_tbDpT10_ENKUlT_T0_E_clISt17integral_constantIbLb1EES1B_EEDaS16_S17_EUlS16_E_NS1_11comp_targetILNS1_3genE10ELNS1_11target_archE1200ELNS1_3gpuE4ELNS1_3repE0EEENS1_30default_config_static_selectorELNS0_4arch9wavefront6targetE1EEEvT1_,@function
_ZN7rocprim17ROCPRIM_400000_NS6detail17trampoline_kernelINS0_14default_configENS1_25partition_config_selectorILNS1_17partition_subalgoE1EtNS0_10empty_typeEbEEZZNS1_14partition_implILS5_1ELb0ES3_jN6thrust23THRUST_200600_302600_NS6detail15normal_iteratorINSA_10device_ptrItEEEEPS6_NSA_18transform_iteratorI7is_evenItESF_NSA_11use_defaultESK_EENS0_5tupleIJNSA_16discard_iteratorISK_EESO_EEENSM_IJSG_SG_EEES6_PlJS6_EEE10hipError_tPvRmT3_T4_T5_T6_T7_T9_mT8_P12ihipStream_tbDpT10_ENKUlT_T0_E_clISt17integral_constantIbLb1EES1B_EEDaS16_S17_EUlS16_E_NS1_11comp_targetILNS1_3genE10ELNS1_11target_archE1200ELNS1_3gpuE4ELNS1_3repE0EEENS1_30default_config_static_selectorELNS0_4arch9wavefront6targetE1EEEvT1_: ; @_ZN7rocprim17ROCPRIM_400000_NS6detail17trampoline_kernelINS0_14default_configENS1_25partition_config_selectorILNS1_17partition_subalgoE1EtNS0_10empty_typeEbEEZZNS1_14partition_implILS5_1ELb0ES3_jN6thrust23THRUST_200600_302600_NS6detail15normal_iteratorINSA_10device_ptrItEEEEPS6_NSA_18transform_iteratorI7is_evenItESF_NSA_11use_defaultESK_EENS0_5tupleIJNSA_16discard_iteratorISK_EESO_EEENSM_IJSG_SG_EEES6_PlJS6_EEE10hipError_tPvRmT3_T4_T5_T6_T7_T9_mT8_P12ihipStream_tbDpT10_ENKUlT_T0_E_clISt17integral_constantIbLb1EES1B_EEDaS16_S17_EUlS16_E_NS1_11comp_targetILNS1_3genE10ELNS1_11target_archE1200ELNS1_3gpuE4ELNS1_3repE0EEENS1_30default_config_static_selectorELNS0_4arch9wavefront6targetE1EEEvT1_
; %bb.0:
	.section	.rodata,"a",@progbits
	.p2align	6, 0x0
	.amdhsa_kernel _ZN7rocprim17ROCPRIM_400000_NS6detail17trampoline_kernelINS0_14default_configENS1_25partition_config_selectorILNS1_17partition_subalgoE1EtNS0_10empty_typeEbEEZZNS1_14partition_implILS5_1ELb0ES3_jN6thrust23THRUST_200600_302600_NS6detail15normal_iteratorINSA_10device_ptrItEEEEPS6_NSA_18transform_iteratorI7is_evenItESF_NSA_11use_defaultESK_EENS0_5tupleIJNSA_16discard_iteratorISK_EESO_EEENSM_IJSG_SG_EEES6_PlJS6_EEE10hipError_tPvRmT3_T4_T5_T6_T7_T9_mT8_P12ihipStream_tbDpT10_ENKUlT_T0_E_clISt17integral_constantIbLb1EES1B_EEDaS16_S17_EUlS16_E_NS1_11comp_targetILNS1_3genE10ELNS1_11target_archE1200ELNS1_3gpuE4ELNS1_3repE0EEENS1_30default_config_static_selectorELNS0_4arch9wavefront6targetE1EEEvT1_
		.amdhsa_group_segment_fixed_size 0
		.amdhsa_private_segment_fixed_size 0
		.amdhsa_kernarg_size 160
		.amdhsa_user_sgpr_count 2
		.amdhsa_user_sgpr_dispatch_ptr 0
		.amdhsa_user_sgpr_queue_ptr 0
		.amdhsa_user_sgpr_kernarg_segment_ptr 1
		.amdhsa_user_sgpr_dispatch_id 0
		.amdhsa_user_sgpr_kernarg_preload_length 0
		.amdhsa_user_sgpr_kernarg_preload_offset 0
		.amdhsa_user_sgpr_private_segment_size 0
		.amdhsa_uses_dynamic_stack 0
		.amdhsa_enable_private_segment 0
		.amdhsa_system_sgpr_workgroup_id_x 1
		.amdhsa_system_sgpr_workgroup_id_y 0
		.amdhsa_system_sgpr_workgroup_id_z 0
		.amdhsa_system_sgpr_workgroup_info 0
		.amdhsa_system_vgpr_workitem_id 0
		.amdhsa_next_free_vgpr 1
		.amdhsa_next_free_sgpr 0
		.amdhsa_accum_offset 4
		.amdhsa_reserve_vcc 0
		.amdhsa_float_round_mode_32 0
		.amdhsa_float_round_mode_16_64 0
		.amdhsa_float_denorm_mode_32 3
		.amdhsa_float_denorm_mode_16_64 3
		.amdhsa_dx10_clamp 1
		.amdhsa_ieee_mode 1
		.amdhsa_fp16_overflow 0
		.amdhsa_tg_split 0
		.amdhsa_exception_fp_ieee_invalid_op 0
		.amdhsa_exception_fp_denorm_src 0
		.amdhsa_exception_fp_ieee_div_zero 0
		.amdhsa_exception_fp_ieee_overflow 0
		.amdhsa_exception_fp_ieee_underflow 0
		.amdhsa_exception_fp_ieee_inexact 0
		.amdhsa_exception_int_div_zero 0
	.end_amdhsa_kernel
	.section	.text._ZN7rocprim17ROCPRIM_400000_NS6detail17trampoline_kernelINS0_14default_configENS1_25partition_config_selectorILNS1_17partition_subalgoE1EtNS0_10empty_typeEbEEZZNS1_14partition_implILS5_1ELb0ES3_jN6thrust23THRUST_200600_302600_NS6detail15normal_iteratorINSA_10device_ptrItEEEEPS6_NSA_18transform_iteratorI7is_evenItESF_NSA_11use_defaultESK_EENS0_5tupleIJNSA_16discard_iteratorISK_EESO_EEENSM_IJSG_SG_EEES6_PlJS6_EEE10hipError_tPvRmT3_T4_T5_T6_T7_T9_mT8_P12ihipStream_tbDpT10_ENKUlT_T0_E_clISt17integral_constantIbLb1EES1B_EEDaS16_S17_EUlS16_E_NS1_11comp_targetILNS1_3genE10ELNS1_11target_archE1200ELNS1_3gpuE4ELNS1_3repE0EEENS1_30default_config_static_selectorELNS0_4arch9wavefront6targetE1EEEvT1_,"axG",@progbits,_ZN7rocprim17ROCPRIM_400000_NS6detail17trampoline_kernelINS0_14default_configENS1_25partition_config_selectorILNS1_17partition_subalgoE1EtNS0_10empty_typeEbEEZZNS1_14partition_implILS5_1ELb0ES3_jN6thrust23THRUST_200600_302600_NS6detail15normal_iteratorINSA_10device_ptrItEEEEPS6_NSA_18transform_iteratorI7is_evenItESF_NSA_11use_defaultESK_EENS0_5tupleIJNSA_16discard_iteratorISK_EESO_EEENSM_IJSG_SG_EEES6_PlJS6_EEE10hipError_tPvRmT3_T4_T5_T6_T7_T9_mT8_P12ihipStream_tbDpT10_ENKUlT_T0_E_clISt17integral_constantIbLb1EES1B_EEDaS16_S17_EUlS16_E_NS1_11comp_targetILNS1_3genE10ELNS1_11target_archE1200ELNS1_3gpuE4ELNS1_3repE0EEENS1_30default_config_static_selectorELNS0_4arch9wavefront6targetE1EEEvT1_,comdat
.Lfunc_end3080:
	.size	_ZN7rocprim17ROCPRIM_400000_NS6detail17trampoline_kernelINS0_14default_configENS1_25partition_config_selectorILNS1_17partition_subalgoE1EtNS0_10empty_typeEbEEZZNS1_14partition_implILS5_1ELb0ES3_jN6thrust23THRUST_200600_302600_NS6detail15normal_iteratorINSA_10device_ptrItEEEEPS6_NSA_18transform_iteratorI7is_evenItESF_NSA_11use_defaultESK_EENS0_5tupleIJNSA_16discard_iteratorISK_EESO_EEENSM_IJSG_SG_EEES6_PlJS6_EEE10hipError_tPvRmT3_T4_T5_T6_T7_T9_mT8_P12ihipStream_tbDpT10_ENKUlT_T0_E_clISt17integral_constantIbLb1EES1B_EEDaS16_S17_EUlS16_E_NS1_11comp_targetILNS1_3genE10ELNS1_11target_archE1200ELNS1_3gpuE4ELNS1_3repE0EEENS1_30default_config_static_selectorELNS0_4arch9wavefront6targetE1EEEvT1_, .Lfunc_end3080-_ZN7rocprim17ROCPRIM_400000_NS6detail17trampoline_kernelINS0_14default_configENS1_25partition_config_selectorILNS1_17partition_subalgoE1EtNS0_10empty_typeEbEEZZNS1_14partition_implILS5_1ELb0ES3_jN6thrust23THRUST_200600_302600_NS6detail15normal_iteratorINSA_10device_ptrItEEEEPS6_NSA_18transform_iteratorI7is_evenItESF_NSA_11use_defaultESK_EENS0_5tupleIJNSA_16discard_iteratorISK_EESO_EEENSM_IJSG_SG_EEES6_PlJS6_EEE10hipError_tPvRmT3_T4_T5_T6_T7_T9_mT8_P12ihipStream_tbDpT10_ENKUlT_T0_E_clISt17integral_constantIbLb1EES1B_EEDaS16_S17_EUlS16_E_NS1_11comp_targetILNS1_3genE10ELNS1_11target_archE1200ELNS1_3gpuE4ELNS1_3repE0EEENS1_30default_config_static_selectorELNS0_4arch9wavefront6targetE1EEEvT1_
                                        ; -- End function
	.section	.AMDGPU.csdata,"",@progbits
; Kernel info:
; codeLenInByte = 0
; NumSgprs: 6
; NumVgprs: 0
; NumAgprs: 0
; TotalNumVgprs: 0
; ScratchSize: 0
; MemoryBound: 0
; FloatMode: 240
; IeeeMode: 1
; LDSByteSize: 0 bytes/workgroup (compile time only)
; SGPRBlocks: 0
; VGPRBlocks: 0
; NumSGPRsForWavesPerEU: 6
; NumVGPRsForWavesPerEU: 1
; AccumOffset: 4
; Occupancy: 8
; WaveLimiterHint : 0
; COMPUTE_PGM_RSRC2:SCRATCH_EN: 0
; COMPUTE_PGM_RSRC2:USER_SGPR: 2
; COMPUTE_PGM_RSRC2:TRAP_HANDLER: 0
; COMPUTE_PGM_RSRC2:TGID_X_EN: 1
; COMPUTE_PGM_RSRC2:TGID_Y_EN: 0
; COMPUTE_PGM_RSRC2:TGID_Z_EN: 0
; COMPUTE_PGM_RSRC2:TIDIG_COMP_CNT: 0
; COMPUTE_PGM_RSRC3_GFX90A:ACCUM_OFFSET: 0
; COMPUTE_PGM_RSRC3_GFX90A:TG_SPLIT: 0
	.section	.text._ZN7rocprim17ROCPRIM_400000_NS6detail17trampoline_kernelINS0_14default_configENS1_25partition_config_selectorILNS1_17partition_subalgoE1EtNS0_10empty_typeEbEEZZNS1_14partition_implILS5_1ELb0ES3_jN6thrust23THRUST_200600_302600_NS6detail15normal_iteratorINSA_10device_ptrItEEEEPS6_NSA_18transform_iteratorI7is_evenItESF_NSA_11use_defaultESK_EENS0_5tupleIJNSA_16discard_iteratorISK_EESO_EEENSM_IJSG_SG_EEES6_PlJS6_EEE10hipError_tPvRmT3_T4_T5_T6_T7_T9_mT8_P12ihipStream_tbDpT10_ENKUlT_T0_E_clISt17integral_constantIbLb1EES1B_EEDaS16_S17_EUlS16_E_NS1_11comp_targetILNS1_3genE9ELNS1_11target_archE1100ELNS1_3gpuE3ELNS1_3repE0EEENS1_30default_config_static_selectorELNS0_4arch9wavefront6targetE1EEEvT1_,"axG",@progbits,_ZN7rocprim17ROCPRIM_400000_NS6detail17trampoline_kernelINS0_14default_configENS1_25partition_config_selectorILNS1_17partition_subalgoE1EtNS0_10empty_typeEbEEZZNS1_14partition_implILS5_1ELb0ES3_jN6thrust23THRUST_200600_302600_NS6detail15normal_iteratorINSA_10device_ptrItEEEEPS6_NSA_18transform_iteratorI7is_evenItESF_NSA_11use_defaultESK_EENS0_5tupleIJNSA_16discard_iteratorISK_EESO_EEENSM_IJSG_SG_EEES6_PlJS6_EEE10hipError_tPvRmT3_T4_T5_T6_T7_T9_mT8_P12ihipStream_tbDpT10_ENKUlT_T0_E_clISt17integral_constantIbLb1EES1B_EEDaS16_S17_EUlS16_E_NS1_11comp_targetILNS1_3genE9ELNS1_11target_archE1100ELNS1_3gpuE3ELNS1_3repE0EEENS1_30default_config_static_selectorELNS0_4arch9wavefront6targetE1EEEvT1_,comdat
	.protected	_ZN7rocprim17ROCPRIM_400000_NS6detail17trampoline_kernelINS0_14default_configENS1_25partition_config_selectorILNS1_17partition_subalgoE1EtNS0_10empty_typeEbEEZZNS1_14partition_implILS5_1ELb0ES3_jN6thrust23THRUST_200600_302600_NS6detail15normal_iteratorINSA_10device_ptrItEEEEPS6_NSA_18transform_iteratorI7is_evenItESF_NSA_11use_defaultESK_EENS0_5tupleIJNSA_16discard_iteratorISK_EESO_EEENSM_IJSG_SG_EEES6_PlJS6_EEE10hipError_tPvRmT3_T4_T5_T6_T7_T9_mT8_P12ihipStream_tbDpT10_ENKUlT_T0_E_clISt17integral_constantIbLb1EES1B_EEDaS16_S17_EUlS16_E_NS1_11comp_targetILNS1_3genE9ELNS1_11target_archE1100ELNS1_3gpuE3ELNS1_3repE0EEENS1_30default_config_static_selectorELNS0_4arch9wavefront6targetE1EEEvT1_ ; -- Begin function _ZN7rocprim17ROCPRIM_400000_NS6detail17trampoline_kernelINS0_14default_configENS1_25partition_config_selectorILNS1_17partition_subalgoE1EtNS0_10empty_typeEbEEZZNS1_14partition_implILS5_1ELb0ES3_jN6thrust23THRUST_200600_302600_NS6detail15normal_iteratorINSA_10device_ptrItEEEEPS6_NSA_18transform_iteratorI7is_evenItESF_NSA_11use_defaultESK_EENS0_5tupleIJNSA_16discard_iteratorISK_EESO_EEENSM_IJSG_SG_EEES6_PlJS6_EEE10hipError_tPvRmT3_T4_T5_T6_T7_T9_mT8_P12ihipStream_tbDpT10_ENKUlT_T0_E_clISt17integral_constantIbLb1EES1B_EEDaS16_S17_EUlS16_E_NS1_11comp_targetILNS1_3genE9ELNS1_11target_archE1100ELNS1_3gpuE3ELNS1_3repE0EEENS1_30default_config_static_selectorELNS0_4arch9wavefront6targetE1EEEvT1_
	.globl	_ZN7rocprim17ROCPRIM_400000_NS6detail17trampoline_kernelINS0_14default_configENS1_25partition_config_selectorILNS1_17partition_subalgoE1EtNS0_10empty_typeEbEEZZNS1_14partition_implILS5_1ELb0ES3_jN6thrust23THRUST_200600_302600_NS6detail15normal_iteratorINSA_10device_ptrItEEEEPS6_NSA_18transform_iteratorI7is_evenItESF_NSA_11use_defaultESK_EENS0_5tupleIJNSA_16discard_iteratorISK_EESO_EEENSM_IJSG_SG_EEES6_PlJS6_EEE10hipError_tPvRmT3_T4_T5_T6_T7_T9_mT8_P12ihipStream_tbDpT10_ENKUlT_T0_E_clISt17integral_constantIbLb1EES1B_EEDaS16_S17_EUlS16_E_NS1_11comp_targetILNS1_3genE9ELNS1_11target_archE1100ELNS1_3gpuE3ELNS1_3repE0EEENS1_30default_config_static_selectorELNS0_4arch9wavefront6targetE1EEEvT1_
	.p2align	8
	.type	_ZN7rocprim17ROCPRIM_400000_NS6detail17trampoline_kernelINS0_14default_configENS1_25partition_config_selectorILNS1_17partition_subalgoE1EtNS0_10empty_typeEbEEZZNS1_14partition_implILS5_1ELb0ES3_jN6thrust23THRUST_200600_302600_NS6detail15normal_iteratorINSA_10device_ptrItEEEEPS6_NSA_18transform_iteratorI7is_evenItESF_NSA_11use_defaultESK_EENS0_5tupleIJNSA_16discard_iteratorISK_EESO_EEENSM_IJSG_SG_EEES6_PlJS6_EEE10hipError_tPvRmT3_T4_T5_T6_T7_T9_mT8_P12ihipStream_tbDpT10_ENKUlT_T0_E_clISt17integral_constantIbLb1EES1B_EEDaS16_S17_EUlS16_E_NS1_11comp_targetILNS1_3genE9ELNS1_11target_archE1100ELNS1_3gpuE3ELNS1_3repE0EEENS1_30default_config_static_selectorELNS0_4arch9wavefront6targetE1EEEvT1_,@function
_ZN7rocprim17ROCPRIM_400000_NS6detail17trampoline_kernelINS0_14default_configENS1_25partition_config_selectorILNS1_17partition_subalgoE1EtNS0_10empty_typeEbEEZZNS1_14partition_implILS5_1ELb0ES3_jN6thrust23THRUST_200600_302600_NS6detail15normal_iteratorINSA_10device_ptrItEEEEPS6_NSA_18transform_iteratorI7is_evenItESF_NSA_11use_defaultESK_EENS0_5tupleIJNSA_16discard_iteratorISK_EESO_EEENSM_IJSG_SG_EEES6_PlJS6_EEE10hipError_tPvRmT3_T4_T5_T6_T7_T9_mT8_P12ihipStream_tbDpT10_ENKUlT_T0_E_clISt17integral_constantIbLb1EES1B_EEDaS16_S17_EUlS16_E_NS1_11comp_targetILNS1_3genE9ELNS1_11target_archE1100ELNS1_3gpuE3ELNS1_3repE0EEENS1_30default_config_static_selectorELNS0_4arch9wavefront6targetE1EEEvT1_: ; @_ZN7rocprim17ROCPRIM_400000_NS6detail17trampoline_kernelINS0_14default_configENS1_25partition_config_selectorILNS1_17partition_subalgoE1EtNS0_10empty_typeEbEEZZNS1_14partition_implILS5_1ELb0ES3_jN6thrust23THRUST_200600_302600_NS6detail15normal_iteratorINSA_10device_ptrItEEEEPS6_NSA_18transform_iteratorI7is_evenItESF_NSA_11use_defaultESK_EENS0_5tupleIJNSA_16discard_iteratorISK_EESO_EEENSM_IJSG_SG_EEES6_PlJS6_EEE10hipError_tPvRmT3_T4_T5_T6_T7_T9_mT8_P12ihipStream_tbDpT10_ENKUlT_T0_E_clISt17integral_constantIbLb1EES1B_EEDaS16_S17_EUlS16_E_NS1_11comp_targetILNS1_3genE9ELNS1_11target_archE1100ELNS1_3gpuE3ELNS1_3repE0EEENS1_30default_config_static_selectorELNS0_4arch9wavefront6targetE1EEEvT1_
; %bb.0:
	.section	.rodata,"a",@progbits
	.p2align	6, 0x0
	.amdhsa_kernel _ZN7rocprim17ROCPRIM_400000_NS6detail17trampoline_kernelINS0_14default_configENS1_25partition_config_selectorILNS1_17partition_subalgoE1EtNS0_10empty_typeEbEEZZNS1_14partition_implILS5_1ELb0ES3_jN6thrust23THRUST_200600_302600_NS6detail15normal_iteratorINSA_10device_ptrItEEEEPS6_NSA_18transform_iteratorI7is_evenItESF_NSA_11use_defaultESK_EENS0_5tupleIJNSA_16discard_iteratorISK_EESO_EEENSM_IJSG_SG_EEES6_PlJS6_EEE10hipError_tPvRmT3_T4_T5_T6_T7_T9_mT8_P12ihipStream_tbDpT10_ENKUlT_T0_E_clISt17integral_constantIbLb1EES1B_EEDaS16_S17_EUlS16_E_NS1_11comp_targetILNS1_3genE9ELNS1_11target_archE1100ELNS1_3gpuE3ELNS1_3repE0EEENS1_30default_config_static_selectorELNS0_4arch9wavefront6targetE1EEEvT1_
		.amdhsa_group_segment_fixed_size 0
		.amdhsa_private_segment_fixed_size 0
		.amdhsa_kernarg_size 160
		.amdhsa_user_sgpr_count 2
		.amdhsa_user_sgpr_dispatch_ptr 0
		.amdhsa_user_sgpr_queue_ptr 0
		.amdhsa_user_sgpr_kernarg_segment_ptr 1
		.amdhsa_user_sgpr_dispatch_id 0
		.amdhsa_user_sgpr_kernarg_preload_length 0
		.amdhsa_user_sgpr_kernarg_preload_offset 0
		.amdhsa_user_sgpr_private_segment_size 0
		.amdhsa_uses_dynamic_stack 0
		.amdhsa_enable_private_segment 0
		.amdhsa_system_sgpr_workgroup_id_x 1
		.amdhsa_system_sgpr_workgroup_id_y 0
		.amdhsa_system_sgpr_workgroup_id_z 0
		.amdhsa_system_sgpr_workgroup_info 0
		.amdhsa_system_vgpr_workitem_id 0
		.amdhsa_next_free_vgpr 1
		.amdhsa_next_free_sgpr 0
		.amdhsa_accum_offset 4
		.amdhsa_reserve_vcc 0
		.amdhsa_float_round_mode_32 0
		.amdhsa_float_round_mode_16_64 0
		.amdhsa_float_denorm_mode_32 3
		.amdhsa_float_denorm_mode_16_64 3
		.amdhsa_dx10_clamp 1
		.amdhsa_ieee_mode 1
		.amdhsa_fp16_overflow 0
		.amdhsa_tg_split 0
		.amdhsa_exception_fp_ieee_invalid_op 0
		.amdhsa_exception_fp_denorm_src 0
		.amdhsa_exception_fp_ieee_div_zero 0
		.amdhsa_exception_fp_ieee_overflow 0
		.amdhsa_exception_fp_ieee_underflow 0
		.amdhsa_exception_fp_ieee_inexact 0
		.amdhsa_exception_int_div_zero 0
	.end_amdhsa_kernel
	.section	.text._ZN7rocprim17ROCPRIM_400000_NS6detail17trampoline_kernelINS0_14default_configENS1_25partition_config_selectorILNS1_17partition_subalgoE1EtNS0_10empty_typeEbEEZZNS1_14partition_implILS5_1ELb0ES3_jN6thrust23THRUST_200600_302600_NS6detail15normal_iteratorINSA_10device_ptrItEEEEPS6_NSA_18transform_iteratorI7is_evenItESF_NSA_11use_defaultESK_EENS0_5tupleIJNSA_16discard_iteratorISK_EESO_EEENSM_IJSG_SG_EEES6_PlJS6_EEE10hipError_tPvRmT3_T4_T5_T6_T7_T9_mT8_P12ihipStream_tbDpT10_ENKUlT_T0_E_clISt17integral_constantIbLb1EES1B_EEDaS16_S17_EUlS16_E_NS1_11comp_targetILNS1_3genE9ELNS1_11target_archE1100ELNS1_3gpuE3ELNS1_3repE0EEENS1_30default_config_static_selectorELNS0_4arch9wavefront6targetE1EEEvT1_,"axG",@progbits,_ZN7rocprim17ROCPRIM_400000_NS6detail17trampoline_kernelINS0_14default_configENS1_25partition_config_selectorILNS1_17partition_subalgoE1EtNS0_10empty_typeEbEEZZNS1_14partition_implILS5_1ELb0ES3_jN6thrust23THRUST_200600_302600_NS6detail15normal_iteratorINSA_10device_ptrItEEEEPS6_NSA_18transform_iteratorI7is_evenItESF_NSA_11use_defaultESK_EENS0_5tupleIJNSA_16discard_iteratorISK_EESO_EEENSM_IJSG_SG_EEES6_PlJS6_EEE10hipError_tPvRmT3_T4_T5_T6_T7_T9_mT8_P12ihipStream_tbDpT10_ENKUlT_T0_E_clISt17integral_constantIbLb1EES1B_EEDaS16_S17_EUlS16_E_NS1_11comp_targetILNS1_3genE9ELNS1_11target_archE1100ELNS1_3gpuE3ELNS1_3repE0EEENS1_30default_config_static_selectorELNS0_4arch9wavefront6targetE1EEEvT1_,comdat
.Lfunc_end3081:
	.size	_ZN7rocprim17ROCPRIM_400000_NS6detail17trampoline_kernelINS0_14default_configENS1_25partition_config_selectorILNS1_17partition_subalgoE1EtNS0_10empty_typeEbEEZZNS1_14partition_implILS5_1ELb0ES3_jN6thrust23THRUST_200600_302600_NS6detail15normal_iteratorINSA_10device_ptrItEEEEPS6_NSA_18transform_iteratorI7is_evenItESF_NSA_11use_defaultESK_EENS0_5tupleIJNSA_16discard_iteratorISK_EESO_EEENSM_IJSG_SG_EEES6_PlJS6_EEE10hipError_tPvRmT3_T4_T5_T6_T7_T9_mT8_P12ihipStream_tbDpT10_ENKUlT_T0_E_clISt17integral_constantIbLb1EES1B_EEDaS16_S17_EUlS16_E_NS1_11comp_targetILNS1_3genE9ELNS1_11target_archE1100ELNS1_3gpuE3ELNS1_3repE0EEENS1_30default_config_static_selectorELNS0_4arch9wavefront6targetE1EEEvT1_, .Lfunc_end3081-_ZN7rocprim17ROCPRIM_400000_NS6detail17trampoline_kernelINS0_14default_configENS1_25partition_config_selectorILNS1_17partition_subalgoE1EtNS0_10empty_typeEbEEZZNS1_14partition_implILS5_1ELb0ES3_jN6thrust23THRUST_200600_302600_NS6detail15normal_iteratorINSA_10device_ptrItEEEEPS6_NSA_18transform_iteratorI7is_evenItESF_NSA_11use_defaultESK_EENS0_5tupleIJNSA_16discard_iteratorISK_EESO_EEENSM_IJSG_SG_EEES6_PlJS6_EEE10hipError_tPvRmT3_T4_T5_T6_T7_T9_mT8_P12ihipStream_tbDpT10_ENKUlT_T0_E_clISt17integral_constantIbLb1EES1B_EEDaS16_S17_EUlS16_E_NS1_11comp_targetILNS1_3genE9ELNS1_11target_archE1100ELNS1_3gpuE3ELNS1_3repE0EEENS1_30default_config_static_selectorELNS0_4arch9wavefront6targetE1EEEvT1_
                                        ; -- End function
	.section	.AMDGPU.csdata,"",@progbits
; Kernel info:
; codeLenInByte = 0
; NumSgprs: 6
; NumVgprs: 0
; NumAgprs: 0
; TotalNumVgprs: 0
; ScratchSize: 0
; MemoryBound: 0
; FloatMode: 240
; IeeeMode: 1
; LDSByteSize: 0 bytes/workgroup (compile time only)
; SGPRBlocks: 0
; VGPRBlocks: 0
; NumSGPRsForWavesPerEU: 6
; NumVGPRsForWavesPerEU: 1
; AccumOffset: 4
; Occupancy: 8
; WaveLimiterHint : 0
; COMPUTE_PGM_RSRC2:SCRATCH_EN: 0
; COMPUTE_PGM_RSRC2:USER_SGPR: 2
; COMPUTE_PGM_RSRC2:TRAP_HANDLER: 0
; COMPUTE_PGM_RSRC2:TGID_X_EN: 1
; COMPUTE_PGM_RSRC2:TGID_Y_EN: 0
; COMPUTE_PGM_RSRC2:TGID_Z_EN: 0
; COMPUTE_PGM_RSRC2:TIDIG_COMP_CNT: 0
; COMPUTE_PGM_RSRC3_GFX90A:ACCUM_OFFSET: 0
; COMPUTE_PGM_RSRC3_GFX90A:TG_SPLIT: 0
	.section	.text._ZN7rocprim17ROCPRIM_400000_NS6detail17trampoline_kernelINS0_14default_configENS1_25partition_config_selectorILNS1_17partition_subalgoE1EtNS0_10empty_typeEbEEZZNS1_14partition_implILS5_1ELb0ES3_jN6thrust23THRUST_200600_302600_NS6detail15normal_iteratorINSA_10device_ptrItEEEEPS6_NSA_18transform_iteratorI7is_evenItESF_NSA_11use_defaultESK_EENS0_5tupleIJNSA_16discard_iteratorISK_EESO_EEENSM_IJSG_SG_EEES6_PlJS6_EEE10hipError_tPvRmT3_T4_T5_T6_T7_T9_mT8_P12ihipStream_tbDpT10_ENKUlT_T0_E_clISt17integral_constantIbLb1EES1B_EEDaS16_S17_EUlS16_E_NS1_11comp_targetILNS1_3genE8ELNS1_11target_archE1030ELNS1_3gpuE2ELNS1_3repE0EEENS1_30default_config_static_selectorELNS0_4arch9wavefront6targetE1EEEvT1_,"axG",@progbits,_ZN7rocprim17ROCPRIM_400000_NS6detail17trampoline_kernelINS0_14default_configENS1_25partition_config_selectorILNS1_17partition_subalgoE1EtNS0_10empty_typeEbEEZZNS1_14partition_implILS5_1ELb0ES3_jN6thrust23THRUST_200600_302600_NS6detail15normal_iteratorINSA_10device_ptrItEEEEPS6_NSA_18transform_iteratorI7is_evenItESF_NSA_11use_defaultESK_EENS0_5tupleIJNSA_16discard_iteratorISK_EESO_EEENSM_IJSG_SG_EEES6_PlJS6_EEE10hipError_tPvRmT3_T4_T5_T6_T7_T9_mT8_P12ihipStream_tbDpT10_ENKUlT_T0_E_clISt17integral_constantIbLb1EES1B_EEDaS16_S17_EUlS16_E_NS1_11comp_targetILNS1_3genE8ELNS1_11target_archE1030ELNS1_3gpuE2ELNS1_3repE0EEENS1_30default_config_static_selectorELNS0_4arch9wavefront6targetE1EEEvT1_,comdat
	.protected	_ZN7rocprim17ROCPRIM_400000_NS6detail17trampoline_kernelINS0_14default_configENS1_25partition_config_selectorILNS1_17partition_subalgoE1EtNS0_10empty_typeEbEEZZNS1_14partition_implILS5_1ELb0ES3_jN6thrust23THRUST_200600_302600_NS6detail15normal_iteratorINSA_10device_ptrItEEEEPS6_NSA_18transform_iteratorI7is_evenItESF_NSA_11use_defaultESK_EENS0_5tupleIJNSA_16discard_iteratorISK_EESO_EEENSM_IJSG_SG_EEES6_PlJS6_EEE10hipError_tPvRmT3_T4_T5_T6_T7_T9_mT8_P12ihipStream_tbDpT10_ENKUlT_T0_E_clISt17integral_constantIbLb1EES1B_EEDaS16_S17_EUlS16_E_NS1_11comp_targetILNS1_3genE8ELNS1_11target_archE1030ELNS1_3gpuE2ELNS1_3repE0EEENS1_30default_config_static_selectorELNS0_4arch9wavefront6targetE1EEEvT1_ ; -- Begin function _ZN7rocprim17ROCPRIM_400000_NS6detail17trampoline_kernelINS0_14default_configENS1_25partition_config_selectorILNS1_17partition_subalgoE1EtNS0_10empty_typeEbEEZZNS1_14partition_implILS5_1ELb0ES3_jN6thrust23THRUST_200600_302600_NS6detail15normal_iteratorINSA_10device_ptrItEEEEPS6_NSA_18transform_iteratorI7is_evenItESF_NSA_11use_defaultESK_EENS0_5tupleIJNSA_16discard_iteratorISK_EESO_EEENSM_IJSG_SG_EEES6_PlJS6_EEE10hipError_tPvRmT3_T4_T5_T6_T7_T9_mT8_P12ihipStream_tbDpT10_ENKUlT_T0_E_clISt17integral_constantIbLb1EES1B_EEDaS16_S17_EUlS16_E_NS1_11comp_targetILNS1_3genE8ELNS1_11target_archE1030ELNS1_3gpuE2ELNS1_3repE0EEENS1_30default_config_static_selectorELNS0_4arch9wavefront6targetE1EEEvT1_
	.globl	_ZN7rocprim17ROCPRIM_400000_NS6detail17trampoline_kernelINS0_14default_configENS1_25partition_config_selectorILNS1_17partition_subalgoE1EtNS0_10empty_typeEbEEZZNS1_14partition_implILS5_1ELb0ES3_jN6thrust23THRUST_200600_302600_NS6detail15normal_iteratorINSA_10device_ptrItEEEEPS6_NSA_18transform_iteratorI7is_evenItESF_NSA_11use_defaultESK_EENS0_5tupleIJNSA_16discard_iteratorISK_EESO_EEENSM_IJSG_SG_EEES6_PlJS6_EEE10hipError_tPvRmT3_T4_T5_T6_T7_T9_mT8_P12ihipStream_tbDpT10_ENKUlT_T0_E_clISt17integral_constantIbLb1EES1B_EEDaS16_S17_EUlS16_E_NS1_11comp_targetILNS1_3genE8ELNS1_11target_archE1030ELNS1_3gpuE2ELNS1_3repE0EEENS1_30default_config_static_selectorELNS0_4arch9wavefront6targetE1EEEvT1_
	.p2align	8
	.type	_ZN7rocprim17ROCPRIM_400000_NS6detail17trampoline_kernelINS0_14default_configENS1_25partition_config_selectorILNS1_17partition_subalgoE1EtNS0_10empty_typeEbEEZZNS1_14partition_implILS5_1ELb0ES3_jN6thrust23THRUST_200600_302600_NS6detail15normal_iteratorINSA_10device_ptrItEEEEPS6_NSA_18transform_iteratorI7is_evenItESF_NSA_11use_defaultESK_EENS0_5tupleIJNSA_16discard_iteratorISK_EESO_EEENSM_IJSG_SG_EEES6_PlJS6_EEE10hipError_tPvRmT3_T4_T5_T6_T7_T9_mT8_P12ihipStream_tbDpT10_ENKUlT_T0_E_clISt17integral_constantIbLb1EES1B_EEDaS16_S17_EUlS16_E_NS1_11comp_targetILNS1_3genE8ELNS1_11target_archE1030ELNS1_3gpuE2ELNS1_3repE0EEENS1_30default_config_static_selectorELNS0_4arch9wavefront6targetE1EEEvT1_,@function
_ZN7rocprim17ROCPRIM_400000_NS6detail17trampoline_kernelINS0_14default_configENS1_25partition_config_selectorILNS1_17partition_subalgoE1EtNS0_10empty_typeEbEEZZNS1_14partition_implILS5_1ELb0ES3_jN6thrust23THRUST_200600_302600_NS6detail15normal_iteratorINSA_10device_ptrItEEEEPS6_NSA_18transform_iteratorI7is_evenItESF_NSA_11use_defaultESK_EENS0_5tupleIJNSA_16discard_iteratorISK_EESO_EEENSM_IJSG_SG_EEES6_PlJS6_EEE10hipError_tPvRmT3_T4_T5_T6_T7_T9_mT8_P12ihipStream_tbDpT10_ENKUlT_T0_E_clISt17integral_constantIbLb1EES1B_EEDaS16_S17_EUlS16_E_NS1_11comp_targetILNS1_3genE8ELNS1_11target_archE1030ELNS1_3gpuE2ELNS1_3repE0EEENS1_30default_config_static_selectorELNS0_4arch9wavefront6targetE1EEEvT1_: ; @_ZN7rocprim17ROCPRIM_400000_NS6detail17trampoline_kernelINS0_14default_configENS1_25partition_config_selectorILNS1_17partition_subalgoE1EtNS0_10empty_typeEbEEZZNS1_14partition_implILS5_1ELb0ES3_jN6thrust23THRUST_200600_302600_NS6detail15normal_iteratorINSA_10device_ptrItEEEEPS6_NSA_18transform_iteratorI7is_evenItESF_NSA_11use_defaultESK_EENS0_5tupleIJNSA_16discard_iteratorISK_EESO_EEENSM_IJSG_SG_EEES6_PlJS6_EEE10hipError_tPvRmT3_T4_T5_T6_T7_T9_mT8_P12ihipStream_tbDpT10_ENKUlT_T0_E_clISt17integral_constantIbLb1EES1B_EEDaS16_S17_EUlS16_E_NS1_11comp_targetILNS1_3genE8ELNS1_11target_archE1030ELNS1_3gpuE2ELNS1_3repE0EEENS1_30default_config_static_selectorELNS0_4arch9wavefront6targetE1EEEvT1_
; %bb.0:
	.section	.rodata,"a",@progbits
	.p2align	6, 0x0
	.amdhsa_kernel _ZN7rocprim17ROCPRIM_400000_NS6detail17trampoline_kernelINS0_14default_configENS1_25partition_config_selectorILNS1_17partition_subalgoE1EtNS0_10empty_typeEbEEZZNS1_14partition_implILS5_1ELb0ES3_jN6thrust23THRUST_200600_302600_NS6detail15normal_iteratorINSA_10device_ptrItEEEEPS6_NSA_18transform_iteratorI7is_evenItESF_NSA_11use_defaultESK_EENS0_5tupleIJNSA_16discard_iteratorISK_EESO_EEENSM_IJSG_SG_EEES6_PlJS6_EEE10hipError_tPvRmT3_T4_T5_T6_T7_T9_mT8_P12ihipStream_tbDpT10_ENKUlT_T0_E_clISt17integral_constantIbLb1EES1B_EEDaS16_S17_EUlS16_E_NS1_11comp_targetILNS1_3genE8ELNS1_11target_archE1030ELNS1_3gpuE2ELNS1_3repE0EEENS1_30default_config_static_selectorELNS0_4arch9wavefront6targetE1EEEvT1_
		.amdhsa_group_segment_fixed_size 0
		.amdhsa_private_segment_fixed_size 0
		.amdhsa_kernarg_size 160
		.amdhsa_user_sgpr_count 2
		.amdhsa_user_sgpr_dispatch_ptr 0
		.amdhsa_user_sgpr_queue_ptr 0
		.amdhsa_user_sgpr_kernarg_segment_ptr 1
		.amdhsa_user_sgpr_dispatch_id 0
		.amdhsa_user_sgpr_kernarg_preload_length 0
		.amdhsa_user_sgpr_kernarg_preload_offset 0
		.amdhsa_user_sgpr_private_segment_size 0
		.amdhsa_uses_dynamic_stack 0
		.amdhsa_enable_private_segment 0
		.amdhsa_system_sgpr_workgroup_id_x 1
		.amdhsa_system_sgpr_workgroup_id_y 0
		.amdhsa_system_sgpr_workgroup_id_z 0
		.amdhsa_system_sgpr_workgroup_info 0
		.amdhsa_system_vgpr_workitem_id 0
		.amdhsa_next_free_vgpr 1
		.amdhsa_next_free_sgpr 0
		.amdhsa_accum_offset 4
		.amdhsa_reserve_vcc 0
		.amdhsa_float_round_mode_32 0
		.amdhsa_float_round_mode_16_64 0
		.amdhsa_float_denorm_mode_32 3
		.amdhsa_float_denorm_mode_16_64 3
		.amdhsa_dx10_clamp 1
		.amdhsa_ieee_mode 1
		.amdhsa_fp16_overflow 0
		.amdhsa_tg_split 0
		.amdhsa_exception_fp_ieee_invalid_op 0
		.amdhsa_exception_fp_denorm_src 0
		.amdhsa_exception_fp_ieee_div_zero 0
		.amdhsa_exception_fp_ieee_overflow 0
		.amdhsa_exception_fp_ieee_underflow 0
		.amdhsa_exception_fp_ieee_inexact 0
		.amdhsa_exception_int_div_zero 0
	.end_amdhsa_kernel
	.section	.text._ZN7rocprim17ROCPRIM_400000_NS6detail17trampoline_kernelINS0_14default_configENS1_25partition_config_selectorILNS1_17partition_subalgoE1EtNS0_10empty_typeEbEEZZNS1_14partition_implILS5_1ELb0ES3_jN6thrust23THRUST_200600_302600_NS6detail15normal_iteratorINSA_10device_ptrItEEEEPS6_NSA_18transform_iteratorI7is_evenItESF_NSA_11use_defaultESK_EENS0_5tupleIJNSA_16discard_iteratorISK_EESO_EEENSM_IJSG_SG_EEES6_PlJS6_EEE10hipError_tPvRmT3_T4_T5_T6_T7_T9_mT8_P12ihipStream_tbDpT10_ENKUlT_T0_E_clISt17integral_constantIbLb1EES1B_EEDaS16_S17_EUlS16_E_NS1_11comp_targetILNS1_3genE8ELNS1_11target_archE1030ELNS1_3gpuE2ELNS1_3repE0EEENS1_30default_config_static_selectorELNS0_4arch9wavefront6targetE1EEEvT1_,"axG",@progbits,_ZN7rocprim17ROCPRIM_400000_NS6detail17trampoline_kernelINS0_14default_configENS1_25partition_config_selectorILNS1_17partition_subalgoE1EtNS0_10empty_typeEbEEZZNS1_14partition_implILS5_1ELb0ES3_jN6thrust23THRUST_200600_302600_NS6detail15normal_iteratorINSA_10device_ptrItEEEEPS6_NSA_18transform_iteratorI7is_evenItESF_NSA_11use_defaultESK_EENS0_5tupleIJNSA_16discard_iteratorISK_EESO_EEENSM_IJSG_SG_EEES6_PlJS6_EEE10hipError_tPvRmT3_T4_T5_T6_T7_T9_mT8_P12ihipStream_tbDpT10_ENKUlT_T0_E_clISt17integral_constantIbLb1EES1B_EEDaS16_S17_EUlS16_E_NS1_11comp_targetILNS1_3genE8ELNS1_11target_archE1030ELNS1_3gpuE2ELNS1_3repE0EEENS1_30default_config_static_selectorELNS0_4arch9wavefront6targetE1EEEvT1_,comdat
.Lfunc_end3082:
	.size	_ZN7rocprim17ROCPRIM_400000_NS6detail17trampoline_kernelINS0_14default_configENS1_25partition_config_selectorILNS1_17partition_subalgoE1EtNS0_10empty_typeEbEEZZNS1_14partition_implILS5_1ELb0ES3_jN6thrust23THRUST_200600_302600_NS6detail15normal_iteratorINSA_10device_ptrItEEEEPS6_NSA_18transform_iteratorI7is_evenItESF_NSA_11use_defaultESK_EENS0_5tupleIJNSA_16discard_iteratorISK_EESO_EEENSM_IJSG_SG_EEES6_PlJS6_EEE10hipError_tPvRmT3_T4_T5_T6_T7_T9_mT8_P12ihipStream_tbDpT10_ENKUlT_T0_E_clISt17integral_constantIbLb1EES1B_EEDaS16_S17_EUlS16_E_NS1_11comp_targetILNS1_3genE8ELNS1_11target_archE1030ELNS1_3gpuE2ELNS1_3repE0EEENS1_30default_config_static_selectorELNS0_4arch9wavefront6targetE1EEEvT1_, .Lfunc_end3082-_ZN7rocprim17ROCPRIM_400000_NS6detail17trampoline_kernelINS0_14default_configENS1_25partition_config_selectorILNS1_17partition_subalgoE1EtNS0_10empty_typeEbEEZZNS1_14partition_implILS5_1ELb0ES3_jN6thrust23THRUST_200600_302600_NS6detail15normal_iteratorINSA_10device_ptrItEEEEPS6_NSA_18transform_iteratorI7is_evenItESF_NSA_11use_defaultESK_EENS0_5tupleIJNSA_16discard_iteratorISK_EESO_EEENSM_IJSG_SG_EEES6_PlJS6_EEE10hipError_tPvRmT3_T4_T5_T6_T7_T9_mT8_P12ihipStream_tbDpT10_ENKUlT_T0_E_clISt17integral_constantIbLb1EES1B_EEDaS16_S17_EUlS16_E_NS1_11comp_targetILNS1_3genE8ELNS1_11target_archE1030ELNS1_3gpuE2ELNS1_3repE0EEENS1_30default_config_static_selectorELNS0_4arch9wavefront6targetE1EEEvT1_
                                        ; -- End function
	.section	.AMDGPU.csdata,"",@progbits
; Kernel info:
; codeLenInByte = 0
; NumSgprs: 6
; NumVgprs: 0
; NumAgprs: 0
; TotalNumVgprs: 0
; ScratchSize: 0
; MemoryBound: 0
; FloatMode: 240
; IeeeMode: 1
; LDSByteSize: 0 bytes/workgroup (compile time only)
; SGPRBlocks: 0
; VGPRBlocks: 0
; NumSGPRsForWavesPerEU: 6
; NumVGPRsForWavesPerEU: 1
; AccumOffset: 4
; Occupancy: 8
; WaveLimiterHint : 0
; COMPUTE_PGM_RSRC2:SCRATCH_EN: 0
; COMPUTE_PGM_RSRC2:USER_SGPR: 2
; COMPUTE_PGM_RSRC2:TRAP_HANDLER: 0
; COMPUTE_PGM_RSRC2:TGID_X_EN: 1
; COMPUTE_PGM_RSRC2:TGID_Y_EN: 0
; COMPUTE_PGM_RSRC2:TGID_Z_EN: 0
; COMPUTE_PGM_RSRC2:TIDIG_COMP_CNT: 0
; COMPUTE_PGM_RSRC3_GFX90A:ACCUM_OFFSET: 0
; COMPUTE_PGM_RSRC3_GFX90A:TG_SPLIT: 0
	.section	.text._ZN7rocprim17ROCPRIM_400000_NS6detail17trampoline_kernelINS0_14default_configENS1_25partition_config_selectorILNS1_17partition_subalgoE1EtNS0_10empty_typeEbEEZZNS1_14partition_implILS5_1ELb0ES3_jN6thrust23THRUST_200600_302600_NS6detail15normal_iteratorINSA_10device_ptrItEEEEPS6_NSA_18transform_iteratorI7is_evenItESF_NSA_11use_defaultESK_EENS0_5tupleIJNSA_16discard_iteratorISK_EESO_EEENSM_IJSG_SG_EEES6_PlJS6_EEE10hipError_tPvRmT3_T4_T5_T6_T7_T9_mT8_P12ihipStream_tbDpT10_ENKUlT_T0_E_clISt17integral_constantIbLb1EES1A_IbLb0EEEEDaS16_S17_EUlS16_E_NS1_11comp_targetILNS1_3genE0ELNS1_11target_archE4294967295ELNS1_3gpuE0ELNS1_3repE0EEENS1_30default_config_static_selectorELNS0_4arch9wavefront6targetE1EEEvT1_,"axG",@progbits,_ZN7rocprim17ROCPRIM_400000_NS6detail17trampoline_kernelINS0_14default_configENS1_25partition_config_selectorILNS1_17partition_subalgoE1EtNS0_10empty_typeEbEEZZNS1_14partition_implILS5_1ELb0ES3_jN6thrust23THRUST_200600_302600_NS6detail15normal_iteratorINSA_10device_ptrItEEEEPS6_NSA_18transform_iteratorI7is_evenItESF_NSA_11use_defaultESK_EENS0_5tupleIJNSA_16discard_iteratorISK_EESO_EEENSM_IJSG_SG_EEES6_PlJS6_EEE10hipError_tPvRmT3_T4_T5_T6_T7_T9_mT8_P12ihipStream_tbDpT10_ENKUlT_T0_E_clISt17integral_constantIbLb1EES1A_IbLb0EEEEDaS16_S17_EUlS16_E_NS1_11comp_targetILNS1_3genE0ELNS1_11target_archE4294967295ELNS1_3gpuE0ELNS1_3repE0EEENS1_30default_config_static_selectorELNS0_4arch9wavefront6targetE1EEEvT1_,comdat
	.protected	_ZN7rocprim17ROCPRIM_400000_NS6detail17trampoline_kernelINS0_14default_configENS1_25partition_config_selectorILNS1_17partition_subalgoE1EtNS0_10empty_typeEbEEZZNS1_14partition_implILS5_1ELb0ES3_jN6thrust23THRUST_200600_302600_NS6detail15normal_iteratorINSA_10device_ptrItEEEEPS6_NSA_18transform_iteratorI7is_evenItESF_NSA_11use_defaultESK_EENS0_5tupleIJNSA_16discard_iteratorISK_EESO_EEENSM_IJSG_SG_EEES6_PlJS6_EEE10hipError_tPvRmT3_T4_T5_T6_T7_T9_mT8_P12ihipStream_tbDpT10_ENKUlT_T0_E_clISt17integral_constantIbLb1EES1A_IbLb0EEEEDaS16_S17_EUlS16_E_NS1_11comp_targetILNS1_3genE0ELNS1_11target_archE4294967295ELNS1_3gpuE0ELNS1_3repE0EEENS1_30default_config_static_selectorELNS0_4arch9wavefront6targetE1EEEvT1_ ; -- Begin function _ZN7rocprim17ROCPRIM_400000_NS6detail17trampoline_kernelINS0_14default_configENS1_25partition_config_selectorILNS1_17partition_subalgoE1EtNS0_10empty_typeEbEEZZNS1_14partition_implILS5_1ELb0ES3_jN6thrust23THRUST_200600_302600_NS6detail15normal_iteratorINSA_10device_ptrItEEEEPS6_NSA_18transform_iteratorI7is_evenItESF_NSA_11use_defaultESK_EENS0_5tupleIJNSA_16discard_iteratorISK_EESO_EEENSM_IJSG_SG_EEES6_PlJS6_EEE10hipError_tPvRmT3_T4_T5_T6_T7_T9_mT8_P12ihipStream_tbDpT10_ENKUlT_T0_E_clISt17integral_constantIbLb1EES1A_IbLb0EEEEDaS16_S17_EUlS16_E_NS1_11comp_targetILNS1_3genE0ELNS1_11target_archE4294967295ELNS1_3gpuE0ELNS1_3repE0EEENS1_30default_config_static_selectorELNS0_4arch9wavefront6targetE1EEEvT1_
	.globl	_ZN7rocprim17ROCPRIM_400000_NS6detail17trampoline_kernelINS0_14default_configENS1_25partition_config_selectorILNS1_17partition_subalgoE1EtNS0_10empty_typeEbEEZZNS1_14partition_implILS5_1ELb0ES3_jN6thrust23THRUST_200600_302600_NS6detail15normal_iteratorINSA_10device_ptrItEEEEPS6_NSA_18transform_iteratorI7is_evenItESF_NSA_11use_defaultESK_EENS0_5tupleIJNSA_16discard_iteratorISK_EESO_EEENSM_IJSG_SG_EEES6_PlJS6_EEE10hipError_tPvRmT3_T4_T5_T6_T7_T9_mT8_P12ihipStream_tbDpT10_ENKUlT_T0_E_clISt17integral_constantIbLb1EES1A_IbLb0EEEEDaS16_S17_EUlS16_E_NS1_11comp_targetILNS1_3genE0ELNS1_11target_archE4294967295ELNS1_3gpuE0ELNS1_3repE0EEENS1_30default_config_static_selectorELNS0_4arch9wavefront6targetE1EEEvT1_
	.p2align	8
	.type	_ZN7rocprim17ROCPRIM_400000_NS6detail17trampoline_kernelINS0_14default_configENS1_25partition_config_selectorILNS1_17partition_subalgoE1EtNS0_10empty_typeEbEEZZNS1_14partition_implILS5_1ELb0ES3_jN6thrust23THRUST_200600_302600_NS6detail15normal_iteratorINSA_10device_ptrItEEEEPS6_NSA_18transform_iteratorI7is_evenItESF_NSA_11use_defaultESK_EENS0_5tupleIJNSA_16discard_iteratorISK_EESO_EEENSM_IJSG_SG_EEES6_PlJS6_EEE10hipError_tPvRmT3_T4_T5_T6_T7_T9_mT8_P12ihipStream_tbDpT10_ENKUlT_T0_E_clISt17integral_constantIbLb1EES1A_IbLb0EEEEDaS16_S17_EUlS16_E_NS1_11comp_targetILNS1_3genE0ELNS1_11target_archE4294967295ELNS1_3gpuE0ELNS1_3repE0EEENS1_30default_config_static_selectorELNS0_4arch9wavefront6targetE1EEEvT1_,@function
_ZN7rocprim17ROCPRIM_400000_NS6detail17trampoline_kernelINS0_14default_configENS1_25partition_config_selectorILNS1_17partition_subalgoE1EtNS0_10empty_typeEbEEZZNS1_14partition_implILS5_1ELb0ES3_jN6thrust23THRUST_200600_302600_NS6detail15normal_iteratorINSA_10device_ptrItEEEEPS6_NSA_18transform_iteratorI7is_evenItESF_NSA_11use_defaultESK_EENS0_5tupleIJNSA_16discard_iteratorISK_EESO_EEENSM_IJSG_SG_EEES6_PlJS6_EEE10hipError_tPvRmT3_T4_T5_T6_T7_T9_mT8_P12ihipStream_tbDpT10_ENKUlT_T0_E_clISt17integral_constantIbLb1EES1A_IbLb0EEEEDaS16_S17_EUlS16_E_NS1_11comp_targetILNS1_3genE0ELNS1_11target_archE4294967295ELNS1_3gpuE0ELNS1_3repE0EEENS1_30default_config_static_selectorELNS0_4arch9wavefront6targetE1EEEvT1_: ; @_ZN7rocprim17ROCPRIM_400000_NS6detail17trampoline_kernelINS0_14default_configENS1_25partition_config_selectorILNS1_17partition_subalgoE1EtNS0_10empty_typeEbEEZZNS1_14partition_implILS5_1ELb0ES3_jN6thrust23THRUST_200600_302600_NS6detail15normal_iteratorINSA_10device_ptrItEEEEPS6_NSA_18transform_iteratorI7is_evenItESF_NSA_11use_defaultESK_EENS0_5tupleIJNSA_16discard_iteratorISK_EESO_EEENSM_IJSG_SG_EEES6_PlJS6_EEE10hipError_tPvRmT3_T4_T5_T6_T7_T9_mT8_P12ihipStream_tbDpT10_ENKUlT_T0_E_clISt17integral_constantIbLb1EES1A_IbLb0EEEEDaS16_S17_EUlS16_E_NS1_11comp_targetILNS1_3genE0ELNS1_11target_archE4294967295ELNS1_3gpuE0ELNS1_3repE0EEENS1_30default_config_static_selectorELNS0_4arch9wavefront6targetE1EEEvT1_
; %bb.0:
	.section	.rodata,"a",@progbits
	.p2align	6, 0x0
	.amdhsa_kernel _ZN7rocprim17ROCPRIM_400000_NS6detail17trampoline_kernelINS0_14default_configENS1_25partition_config_selectorILNS1_17partition_subalgoE1EtNS0_10empty_typeEbEEZZNS1_14partition_implILS5_1ELb0ES3_jN6thrust23THRUST_200600_302600_NS6detail15normal_iteratorINSA_10device_ptrItEEEEPS6_NSA_18transform_iteratorI7is_evenItESF_NSA_11use_defaultESK_EENS0_5tupleIJNSA_16discard_iteratorISK_EESO_EEENSM_IJSG_SG_EEES6_PlJS6_EEE10hipError_tPvRmT3_T4_T5_T6_T7_T9_mT8_P12ihipStream_tbDpT10_ENKUlT_T0_E_clISt17integral_constantIbLb1EES1A_IbLb0EEEEDaS16_S17_EUlS16_E_NS1_11comp_targetILNS1_3genE0ELNS1_11target_archE4294967295ELNS1_3gpuE0ELNS1_3repE0EEENS1_30default_config_static_selectorELNS0_4arch9wavefront6targetE1EEEvT1_
		.amdhsa_group_segment_fixed_size 0
		.amdhsa_private_segment_fixed_size 0
		.amdhsa_kernarg_size 144
		.amdhsa_user_sgpr_count 2
		.amdhsa_user_sgpr_dispatch_ptr 0
		.amdhsa_user_sgpr_queue_ptr 0
		.amdhsa_user_sgpr_kernarg_segment_ptr 1
		.amdhsa_user_sgpr_dispatch_id 0
		.amdhsa_user_sgpr_kernarg_preload_length 0
		.amdhsa_user_sgpr_kernarg_preload_offset 0
		.amdhsa_user_sgpr_private_segment_size 0
		.amdhsa_uses_dynamic_stack 0
		.amdhsa_enable_private_segment 0
		.amdhsa_system_sgpr_workgroup_id_x 1
		.amdhsa_system_sgpr_workgroup_id_y 0
		.amdhsa_system_sgpr_workgroup_id_z 0
		.amdhsa_system_sgpr_workgroup_info 0
		.amdhsa_system_vgpr_workitem_id 0
		.amdhsa_next_free_vgpr 1
		.amdhsa_next_free_sgpr 0
		.amdhsa_accum_offset 4
		.amdhsa_reserve_vcc 0
		.amdhsa_float_round_mode_32 0
		.amdhsa_float_round_mode_16_64 0
		.amdhsa_float_denorm_mode_32 3
		.amdhsa_float_denorm_mode_16_64 3
		.amdhsa_dx10_clamp 1
		.amdhsa_ieee_mode 1
		.amdhsa_fp16_overflow 0
		.amdhsa_tg_split 0
		.amdhsa_exception_fp_ieee_invalid_op 0
		.amdhsa_exception_fp_denorm_src 0
		.amdhsa_exception_fp_ieee_div_zero 0
		.amdhsa_exception_fp_ieee_overflow 0
		.amdhsa_exception_fp_ieee_underflow 0
		.amdhsa_exception_fp_ieee_inexact 0
		.amdhsa_exception_int_div_zero 0
	.end_amdhsa_kernel
	.section	.text._ZN7rocprim17ROCPRIM_400000_NS6detail17trampoline_kernelINS0_14default_configENS1_25partition_config_selectorILNS1_17partition_subalgoE1EtNS0_10empty_typeEbEEZZNS1_14partition_implILS5_1ELb0ES3_jN6thrust23THRUST_200600_302600_NS6detail15normal_iteratorINSA_10device_ptrItEEEEPS6_NSA_18transform_iteratorI7is_evenItESF_NSA_11use_defaultESK_EENS0_5tupleIJNSA_16discard_iteratorISK_EESO_EEENSM_IJSG_SG_EEES6_PlJS6_EEE10hipError_tPvRmT3_T4_T5_T6_T7_T9_mT8_P12ihipStream_tbDpT10_ENKUlT_T0_E_clISt17integral_constantIbLb1EES1A_IbLb0EEEEDaS16_S17_EUlS16_E_NS1_11comp_targetILNS1_3genE0ELNS1_11target_archE4294967295ELNS1_3gpuE0ELNS1_3repE0EEENS1_30default_config_static_selectorELNS0_4arch9wavefront6targetE1EEEvT1_,"axG",@progbits,_ZN7rocprim17ROCPRIM_400000_NS6detail17trampoline_kernelINS0_14default_configENS1_25partition_config_selectorILNS1_17partition_subalgoE1EtNS0_10empty_typeEbEEZZNS1_14partition_implILS5_1ELb0ES3_jN6thrust23THRUST_200600_302600_NS6detail15normal_iteratorINSA_10device_ptrItEEEEPS6_NSA_18transform_iteratorI7is_evenItESF_NSA_11use_defaultESK_EENS0_5tupleIJNSA_16discard_iteratorISK_EESO_EEENSM_IJSG_SG_EEES6_PlJS6_EEE10hipError_tPvRmT3_T4_T5_T6_T7_T9_mT8_P12ihipStream_tbDpT10_ENKUlT_T0_E_clISt17integral_constantIbLb1EES1A_IbLb0EEEEDaS16_S17_EUlS16_E_NS1_11comp_targetILNS1_3genE0ELNS1_11target_archE4294967295ELNS1_3gpuE0ELNS1_3repE0EEENS1_30default_config_static_selectorELNS0_4arch9wavefront6targetE1EEEvT1_,comdat
.Lfunc_end3083:
	.size	_ZN7rocprim17ROCPRIM_400000_NS6detail17trampoline_kernelINS0_14default_configENS1_25partition_config_selectorILNS1_17partition_subalgoE1EtNS0_10empty_typeEbEEZZNS1_14partition_implILS5_1ELb0ES3_jN6thrust23THRUST_200600_302600_NS6detail15normal_iteratorINSA_10device_ptrItEEEEPS6_NSA_18transform_iteratorI7is_evenItESF_NSA_11use_defaultESK_EENS0_5tupleIJNSA_16discard_iteratorISK_EESO_EEENSM_IJSG_SG_EEES6_PlJS6_EEE10hipError_tPvRmT3_T4_T5_T6_T7_T9_mT8_P12ihipStream_tbDpT10_ENKUlT_T0_E_clISt17integral_constantIbLb1EES1A_IbLb0EEEEDaS16_S17_EUlS16_E_NS1_11comp_targetILNS1_3genE0ELNS1_11target_archE4294967295ELNS1_3gpuE0ELNS1_3repE0EEENS1_30default_config_static_selectorELNS0_4arch9wavefront6targetE1EEEvT1_, .Lfunc_end3083-_ZN7rocprim17ROCPRIM_400000_NS6detail17trampoline_kernelINS0_14default_configENS1_25partition_config_selectorILNS1_17partition_subalgoE1EtNS0_10empty_typeEbEEZZNS1_14partition_implILS5_1ELb0ES3_jN6thrust23THRUST_200600_302600_NS6detail15normal_iteratorINSA_10device_ptrItEEEEPS6_NSA_18transform_iteratorI7is_evenItESF_NSA_11use_defaultESK_EENS0_5tupleIJNSA_16discard_iteratorISK_EESO_EEENSM_IJSG_SG_EEES6_PlJS6_EEE10hipError_tPvRmT3_T4_T5_T6_T7_T9_mT8_P12ihipStream_tbDpT10_ENKUlT_T0_E_clISt17integral_constantIbLb1EES1A_IbLb0EEEEDaS16_S17_EUlS16_E_NS1_11comp_targetILNS1_3genE0ELNS1_11target_archE4294967295ELNS1_3gpuE0ELNS1_3repE0EEENS1_30default_config_static_selectorELNS0_4arch9wavefront6targetE1EEEvT1_
                                        ; -- End function
	.section	.AMDGPU.csdata,"",@progbits
; Kernel info:
; codeLenInByte = 0
; NumSgprs: 6
; NumVgprs: 0
; NumAgprs: 0
; TotalNumVgprs: 0
; ScratchSize: 0
; MemoryBound: 0
; FloatMode: 240
; IeeeMode: 1
; LDSByteSize: 0 bytes/workgroup (compile time only)
; SGPRBlocks: 0
; VGPRBlocks: 0
; NumSGPRsForWavesPerEU: 6
; NumVGPRsForWavesPerEU: 1
; AccumOffset: 4
; Occupancy: 8
; WaveLimiterHint : 0
; COMPUTE_PGM_RSRC2:SCRATCH_EN: 0
; COMPUTE_PGM_RSRC2:USER_SGPR: 2
; COMPUTE_PGM_RSRC2:TRAP_HANDLER: 0
; COMPUTE_PGM_RSRC2:TGID_X_EN: 1
; COMPUTE_PGM_RSRC2:TGID_Y_EN: 0
; COMPUTE_PGM_RSRC2:TGID_Z_EN: 0
; COMPUTE_PGM_RSRC2:TIDIG_COMP_CNT: 0
; COMPUTE_PGM_RSRC3_GFX90A:ACCUM_OFFSET: 0
; COMPUTE_PGM_RSRC3_GFX90A:TG_SPLIT: 0
	.section	.text._ZN7rocprim17ROCPRIM_400000_NS6detail17trampoline_kernelINS0_14default_configENS1_25partition_config_selectorILNS1_17partition_subalgoE1EtNS0_10empty_typeEbEEZZNS1_14partition_implILS5_1ELb0ES3_jN6thrust23THRUST_200600_302600_NS6detail15normal_iteratorINSA_10device_ptrItEEEEPS6_NSA_18transform_iteratorI7is_evenItESF_NSA_11use_defaultESK_EENS0_5tupleIJNSA_16discard_iteratorISK_EESO_EEENSM_IJSG_SG_EEES6_PlJS6_EEE10hipError_tPvRmT3_T4_T5_T6_T7_T9_mT8_P12ihipStream_tbDpT10_ENKUlT_T0_E_clISt17integral_constantIbLb1EES1A_IbLb0EEEEDaS16_S17_EUlS16_E_NS1_11comp_targetILNS1_3genE5ELNS1_11target_archE942ELNS1_3gpuE9ELNS1_3repE0EEENS1_30default_config_static_selectorELNS0_4arch9wavefront6targetE1EEEvT1_,"axG",@progbits,_ZN7rocprim17ROCPRIM_400000_NS6detail17trampoline_kernelINS0_14default_configENS1_25partition_config_selectorILNS1_17partition_subalgoE1EtNS0_10empty_typeEbEEZZNS1_14partition_implILS5_1ELb0ES3_jN6thrust23THRUST_200600_302600_NS6detail15normal_iteratorINSA_10device_ptrItEEEEPS6_NSA_18transform_iteratorI7is_evenItESF_NSA_11use_defaultESK_EENS0_5tupleIJNSA_16discard_iteratorISK_EESO_EEENSM_IJSG_SG_EEES6_PlJS6_EEE10hipError_tPvRmT3_T4_T5_T6_T7_T9_mT8_P12ihipStream_tbDpT10_ENKUlT_T0_E_clISt17integral_constantIbLb1EES1A_IbLb0EEEEDaS16_S17_EUlS16_E_NS1_11comp_targetILNS1_3genE5ELNS1_11target_archE942ELNS1_3gpuE9ELNS1_3repE0EEENS1_30default_config_static_selectorELNS0_4arch9wavefront6targetE1EEEvT1_,comdat
	.protected	_ZN7rocprim17ROCPRIM_400000_NS6detail17trampoline_kernelINS0_14default_configENS1_25partition_config_selectorILNS1_17partition_subalgoE1EtNS0_10empty_typeEbEEZZNS1_14partition_implILS5_1ELb0ES3_jN6thrust23THRUST_200600_302600_NS6detail15normal_iteratorINSA_10device_ptrItEEEEPS6_NSA_18transform_iteratorI7is_evenItESF_NSA_11use_defaultESK_EENS0_5tupleIJNSA_16discard_iteratorISK_EESO_EEENSM_IJSG_SG_EEES6_PlJS6_EEE10hipError_tPvRmT3_T4_T5_T6_T7_T9_mT8_P12ihipStream_tbDpT10_ENKUlT_T0_E_clISt17integral_constantIbLb1EES1A_IbLb0EEEEDaS16_S17_EUlS16_E_NS1_11comp_targetILNS1_3genE5ELNS1_11target_archE942ELNS1_3gpuE9ELNS1_3repE0EEENS1_30default_config_static_selectorELNS0_4arch9wavefront6targetE1EEEvT1_ ; -- Begin function _ZN7rocprim17ROCPRIM_400000_NS6detail17trampoline_kernelINS0_14default_configENS1_25partition_config_selectorILNS1_17partition_subalgoE1EtNS0_10empty_typeEbEEZZNS1_14partition_implILS5_1ELb0ES3_jN6thrust23THRUST_200600_302600_NS6detail15normal_iteratorINSA_10device_ptrItEEEEPS6_NSA_18transform_iteratorI7is_evenItESF_NSA_11use_defaultESK_EENS0_5tupleIJNSA_16discard_iteratorISK_EESO_EEENSM_IJSG_SG_EEES6_PlJS6_EEE10hipError_tPvRmT3_T4_T5_T6_T7_T9_mT8_P12ihipStream_tbDpT10_ENKUlT_T0_E_clISt17integral_constantIbLb1EES1A_IbLb0EEEEDaS16_S17_EUlS16_E_NS1_11comp_targetILNS1_3genE5ELNS1_11target_archE942ELNS1_3gpuE9ELNS1_3repE0EEENS1_30default_config_static_selectorELNS0_4arch9wavefront6targetE1EEEvT1_
	.globl	_ZN7rocprim17ROCPRIM_400000_NS6detail17trampoline_kernelINS0_14default_configENS1_25partition_config_selectorILNS1_17partition_subalgoE1EtNS0_10empty_typeEbEEZZNS1_14partition_implILS5_1ELb0ES3_jN6thrust23THRUST_200600_302600_NS6detail15normal_iteratorINSA_10device_ptrItEEEEPS6_NSA_18transform_iteratorI7is_evenItESF_NSA_11use_defaultESK_EENS0_5tupleIJNSA_16discard_iteratorISK_EESO_EEENSM_IJSG_SG_EEES6_PlJS6_EEE10hipError_tPvRmT3_T4_T5_T6_T7_T9_mT8_P12ihipStream_tbDpT10_ENKUlT_T0_E_clISt17integral_constantIbLb1EES1A_IbLb0EEEEDaS16_S17_EUlS16_E_NS1_11comp_targetILNS1_3genE5ELNS1_11target_archE942ELNS1_3gpuE9ELNS1_3repE0EEENS1_30default_config_static_selectorELNS0_4arch9wavefront6targetE1EEEvT1_
	.p2align	8
	.type	_ZN7rocprim17ROCPRIM_400000_NS6detail17trampoline_kernelINS0_14default_configENS1_25partition_config_selectorILNS1_17partition_subalgoE1EtNS0_10empty_typeEbEEZZNS1_14partition_implILS5_1ELb0ES3_jN6thrust23THRUST_200600_302600_NS6detail15normal_iteratorINSA_10device_ptrItEEEEPS6_NSA_18transform_iteratorI7is_evenItESF_NSA_11use_defaultESK_EENS0_5tupleIJNSA_16discard_iteratorISK_EESO_EEENSM_IJSG_SG_EEES6_PlJS6_EEE10hipError_tPvRmT3_T4_T5_T6_T7_T9_mT8_P12ihipStream_tbDpT10_ENKUlT_T0_E_clISt17integral_constantIbLb1EES1A_IbLb0EEEEDaS16_S17_EUlS16_E_NS1_11comp_targetILNS1_3genE5ELNS1_11target_archE942ELNS1_3gpuE9ELNS1_3repE0EEENS1_30default_config_static_selectorELNS0_4arch9wavefront6targetE1EEEvT1_,@function
_ZN7rocprim17ROCPRIM_400000_NS6detail17trampoline_kernelINS0_14default_configENS1_25partition_config_selectorILNS1_17partition_subalgoE1EtNS0_10empty_typeEbEEZZNS1_14partition_implILS5_1ELb0ES3_jN6thrust23THRUST_200600_302600_NS6detail15normal_iteratorINSA_10device_ptrItEEEEPS6_NSA_18transform_iteratorI7is_evenItESF_NSA_11use_defaultESK_EENS0_5tupleIJNSA_16discard_iteratorISK_EESO_EEENSM_IJSG_SG_EEES6_PlJS6_EEE10hipError_tPvRmT3_T4_T5_T6_T7_T9_mT8_P12ihipStream_tbDpT10_ENKUlT_T0_E_clISt17integral_constantIbLb1EES1A_IbLb0EEEEDaS16_S17_EUlS16_E_NS1_11comp_targetILNS1_3genE5ELNS1_11target_archE942ELNS1_3gpuE9ELNS1_3repE0EEENS1_30default_config_static_selectorELNS0_4arch9wavefront6targetE1EEEvT1_: ; @_ZN7rocprim17ROCPRIM_400000_NS6detail17trampoline_kernelINS0_14default_configENS1_25partition_config_selectorILNS1_17partition_subalgoE1EtNS0_10empty_typeEbEEZZNS1_14partition_implILS5_1ELb0ES3_jN6thrust23THRUST_200600_302600_NS6detail15normal_iteratorINSA_10device_ptrItEEEEPS6_NSA_18transform_iteratorI7is_evenItESF_NSA_11use_defaultESK_EENS0_5tupleIJNSA_16discard_iteratorISK_EESO_EEENSM_IJSG_SG_EEES6_PlJS6_EEE10hipError_tPvRmT3_T4_T5_T6_T7_T9_mT8_P12ihipStream_tbDpT10_ENKUlT_T0_E_clISt17integral_constantIbLb1EES1A_IbLb0EEEEDaS16_S17_EUlS16_E_NS1_11comp_targetILNS1_3genE5ELNS1_11target_archE942ELNS1_3gpuE9ELNS1_3repE0EEENS1_30default_config_static_selectorELNS0_4arch9wavefront6targetE1EEEvT1_
; %bb.0:
	s_load_dword s3, s[0:1], 0x88
	s_load_dwordx2 s[4:5], s[0:1], 0x70
	s_load_dwordx4 s[12:15], s[0:1], 0x8
	s_load_dwordx2 s[6:7], s[0:1], 0x20
	s_load_dwordx4 s[20:23], s[0:1], 0x60
	s_waitcnt lgkmcnt(0)
	v_mov_b32_e32 v3, s5
	s_lshl_b64 s[8:9], s[14:15], 1
	s_add_u32 s16, s12, s8
	s_mul_i32 s5, s3, 0x3800
	s_addc_u32 s17, s13, s9
	s_add_i32 s10, s3, -1
	s_add_i32 s3, s5, s14
	s_sub_i32 s3, s4, s3
	s_addk_i32 s3, 0x3800
	v_mov_b32_e32 v2, s4
	s_add_u32 s4, s14, s5
	s_addc_u32 s5, s15, 0
	s_cmp_eq_u32 s2, s10
	s_load_dwordx2 s[18:19], s[22:23], 0x0
	s_cselect_b64 s[22:23], -1, 0
	s_cmp_lg_u32 s2, s10
	s_mul_i32 s12, s2, 0x3800
	s_mov_b32 s13, 0
	v_cmp_lt_u64_e32 vcc, s[4:5], v[2:3]
	s_cselect_b64 s[4:5], -1, 0
	s_or_b64 s[10:11], s[4:5], vcc
	s_lshl_b64 s[12:13], s[12:13], 1
	s_add_u32 s14, s16, s12
	s_addc_u32 s15, s17, s13
	s_mov_b64 s[4:5], -1
	s_and_b64 vcc, exec, s[10:11]
	s_cbranch_vccz .LBB3084_2
; %bb.1:
	v_lshlrev_b32_e32 v2, 1, v0
	v_mov_b32_e32 v3, 0
	v_lshl_add_u64 v[4:5], s[14:15], 0, v[2:3]
	v_add_co_u32_e32 v6, vcc, 0x1000, v4
	s_mov_b64 s[4:5], 0
	s_nop 0
	v_addc_co_u32_e32 v7, vcc, 0, v5, vcc
	flat_load_ushort v1, v[4:5]
	flat_load_ushort v3, v[4:5] offset:1024
	flat_load_ushort v10, v[4:5] offset:2048
	;; [unrolled: 1-line block ×3, first 2 shown]
	flat_load_ushort v12, v[6:7]
	flat_load_ushort v13, v[6:7] offset:1024
	flat_load_ushort v14, v[6:7] offset:2048
	;; [unrolled: 1-line block ×3, first 2 shown]
	v_add_co_u32_e32 v6, vcc, 0x2000, v4
	s_nop 1
	v_addc_co_u32_e32 v7, vcc, 0, v5, vcc
	v_add_co_u32_e32 v8, vcc, 0x3000, v4
	s_nop 1
	v_addc_co_u32_e32 v9, vcc, 0, v5, vcc
	flat_load_ushort v16, v[6:7]
	flat_load_ushort v17, v[6:7] offset:1024
	flat_load_ushort v18, v[6:7] offset:2048
	flat_load_ushort v19, v[6:7] offset:3072
	flat_load_ushort v20, v[8:9]
	flat_load_ushort v21, v[8:9] offset:1024
	flat_load_ushort v22, v[8:9] offset:2048
	;; [unrolled: 1-line block ×3, first 2 shown]
	v_add_co_u32_e32 v6, vcc, 0x4000, v4
	s_nop 1
	v_addc_co_u32_e32 v7, vcc, 0, v5, vcc
	v_add_co_u32_e32 v8, vcc, 0x5000, v4
	s_nop 1
	v_addc_co_u32_e32 v9, vcc, 0, v5, vcc
	v_add_co_u32_e32 v4, vcc, 0x6000, v4
	flat_load_ushort v24, v[6:7]
	flat_load_ushort v25, v[6:7] offset:1024
	flat_load_ushort v26, v[6:7] offset:2048
	;; [unrolled: 1-line block ×3, first 2 shown]
	flat_load_ushort v28, v[8:9]
	flat_load_ushort v29, v[8:9] offset:1024
	flat_load_ushort v30, v[8:9] offset:2048
	;; [unrolled: 1-line block ×3, first 2 shown]
	v_addc_co_u32_e32 v5, vcc, 0, v5, vcc
	flat_load_ushort v6, v[4:5]
	flat_load_ushort v7, v[4:5] offset:1024
	flat_load_ushort v8, v[4:5] offset:2048
	;; [unrolled: 1-line block ×3, first 2 shown]
	s_waitcnt vmcnt(0) lgkmcnt(0)
	ds_write_b16 v2, v1
	ds_write_b16 v2, v3 offset:1024
	ds_write_b16 v2, v10 offset:2048
	;; [unrolled: 1-line block ×27, first 2 shown]
	s_waitcnt lgkmcnt(0)
	s_barrier
.LBB3084_2:
	s_andn2_b64 vcc, exec, s[4:5]
	v_cmp_gt_u32_e64 s[4:5], s3, v0
	s_cbranch_vccnz .LBB3084_60
; %bb.3:
                                        ; implicit-def: $vgpr1
	s_and_saveexec_b64 s[16:17], s[4:5]
	s_cbranch_execz .LBB3084_5
; %bb.4:
	v_lshlrev_b32_e32 v2, 1, v0
	v_mov_b32_e32 v3, 0
	v_lshl_add_u64 v[2:3], s[14:15], 0, v[2:3]
	flat_load_ushort v1, v[2:3]
.LBB3084_5:
	s_or_b64 exec, exec, s[16:17]
	v_or_b32_e32 v2, 0x200, v0
	v_cmp_gt_u32_e32 vcc, s3, v2
                                        ; implicit-def: $vgpr2
	s_and_saveexec_b64 s[4:5], vcc
	s_cbranch_execz .LBB3084_7
; %bb.6:
	v_lshlrev_b32_e32 v2, 1, v0
	v_mov_b32_e32 v3, 0
	v_lshl_add_u64 v[2:3], s[14:15], 0, v[2:3]
	flat_load_ushort v2, v[2:3] offset:1024
.LBB3084_7:
	s_or_b64 exec, exec, s[4:5]
	v_or_b32_e32 v3, 0x400, v0
	v_cmp_gt_u32_e32 vcc, s3, v3
                                        ; implicit-def: $vgpr3
	s_and_saveexec_b64 s[4:5], vcc
	s_cbranch_execz .LBB3084_9
; %bb.8:
	v_lshlrev_b32_e32 v4, 1, v0
	v_mov_b32_e32 v5, 0
	v_lshl_add_u64 v[4:5], s[14:15], 0, v[4:5]
	flat_load_ushort v3, v[4:5] offset:2048
.LBB3084_9:
	s_or_b64 exec, exec, s[4:5]
	v_or_b32_e32 v4, 0x600, v0
	v_cmp_gt_u32_e32 vcc, s3, v4
                                        ; implicit-def: $vgpr4
	s_and_saveexec_b64 s[4:5], vcc
	s_cbranch_execz .LBB3084_11
; %bb.10:
	v_lshlrev_b32_e32 v4, 1, v0
	v_mov_b32_e32 v5, 0
	v_lshl_add_u64 v[4:5], s[14:15], 0, v[4:5]
	flat_load_ushort v4, v[4:5] offset:3072
.LBB3084_11:
	s_or_b64 exec, exec, s[4:5]
	v_or_b32_e32 v6, 0x800, v0
	v_cmp_gt_u32_e32 vcc, s3, v6
                                        ; implicit-def: $vgpr5
	s_and_saveexec_b64 s[4:5], vcc
	s_cbranch_execz .LBB3084_13
; %bb.12:
	v_lshlrev_b32_e32 v6, 1, v6
	v_mov_b32_e32 v7, 0
	v_lshl_add_u64 v[6:7], s[14:15], 0, v[6:7]
	flat_load_ushort v5, v[6:7]
.LBB3084_13:
	s_or_b64 exec, exec, s[4:5]
	v_or_b32_e32 v7, 0xa00, v0
	v_cmp_gt_u32_e32 vcc, s3, v7
                                        ; implicit-def: $vgpr6
	s_and_saveexec_b64 s[4:5], vcc
	s_cbranch_execz .LBB3084_15
; %bb.14:
	v_lshlrev_b32_e32 v6, 1, v7
	v_mov_b32_e32 v7, 0
	v_lshl_add_u64 v[6:7], s[14:15], 0, v[6:7]
	flat_load_ushort v6, v[6:7]
.LBB3084_15:
	s_or_b64 exec, exec, s[4:5]
	v_or_b32_e32 v8, 0xc00, v0
	v_cmp_gt_u32_e32 vcc, s3, v8
                                        ; implicit-def: $vgpr7
	s_and_saveexec_b64 s[4:5], vcc
	s_cbranch_execz .LBB3084_17
; %bb.16:
	v_lshlrev_b32_e32 v8, 1, v8
	v_mov_b32_e32 v9, 0
	v_lshl_add_u64 v[8:9], s[14:15], 0, v[8:9]
	flat_load_ushort v7, v[8:9]
.LBB3084_17:
	s_or_b64 exec, exec, s[4:5]
	v_or_b32_e32 v9, 0xe00, v0
	v_cmp_gt_u32_e32 vcc, s3, v9
                                        ; implicit-def: $vgpr8
	s_and_saveexec_b64 s[4:5], vcc
	s_cbranch_execz .LBB3084_19
; %bb.18:
	v_lshlrev_b32_e32 v8, 1, v9
	v_mov_b32_e32 v9, 0
	v_lshl_add_u64 v[8:9], s[14:15], 0, v[8:9]
	flat_load_ushort v8, v[8:9]
.LBB3084_19:
	s_or_b64 exec, exec, s[4:5]
	v_or_b32_e32 v10, 0x1000, v0
	v_cmp_gt_u32_e32 vcc, s3, v10
                                        ; implicit-def: $vgpr9
	s_and_saveexec_b64 s[4:5], vcc
	s_cbranch_execz .LBB3084_21
; %bb.20:
	v_lshlrev_b32_e32 v10, 1, v10
	v_mov_b32_e32 v11, 0
	v_lshl_add_u64 v[10:11], s[14:15], 0, v[10:11]
	flat_load_ushort v9, v[10:11]
.LBB3084_21:
	s_or_b64 exec, exec, s[4:5]
	v_or_b32_e32 v11, 0x1200, v0
	v_cmp_gt_u32_e32 vcc, s3, v11
                                        ; implicit-def: $vgpr10
	s_and_saveexec_b64 s[4:5], vcc
	s_cbranch_execz .LBB3084_23
; %bb.22:
	v_lshlrev_b32_e32 v10, 1, v11
	v_mov_b32_e32 v11, 0
	v_lshl_add_u64 v[10:11], s[14:15], 0, v[10:11]
	flat_load_ushort v10, v[10:11]
.LBB3084_23:
	s_or_b64 exec, exec, s[4:5]
	v_or_b32_e32 v12, 0x1400, v0
	v_cmp_gt_u32_e32 vcc, s3, v12
                                        ; implicit-def: $vgpr11
	s_and_saveexec_b64 s[4:5], vcc
	s_cbranch_execz .LBB3084_25
; %bb.24:
	v_lshlrev_b32_e32 v12, 1, v12
	v_mov_b32_e32 v13, 0
	v_lshl_add_u64 v[12:13], s[14:15], 0, v[12:13]
	flat_load_ushort v11, v[12:13]
.LBB3084_25:
	s_or_b64 exec, exec, s[4:5]
	v_or_b32_e32 v13, 0x1600, v0
	v_cmp_gt_u32_e32 vcc, s3, v13
                                        ; implicit-def: $vgpr12
	s_and_saveexec_b64 s[4:5], vcc
	s_cbranch_execz .LBB3084_27
; %bb.26:
	v_lshlrev_b32_e32 v12, 1, v13
	v_mov_b32_e32 v13, 0
	v_lshl_add_u64 v[12:13], s[14:15], 0, v[12:13]
	flat_load_ushort v12, v[12:13]
.LBB3084_27:
	s_or_b64 exec, exec, s[4:5]
	v_or_b32_e32 v14, 0x1800, v0
	v_cmp_gt_u32_e32 vcc, s3, v14
                                        ; implicit-def: $vgpr13
	s_and_saveexec_b64 s[4:5], vcc
	s_cbranch_execz .LBB3084_29
; %bb.28:
	v_lshlrev_b32_e32 v14, 1, v14
	v_mov_b32_e32 v15, 0
	v_lshl_add_u64 v[14:15], s[14:15], 0, v[14:15]
	flat_load_ushort v13, v[14:15]
.LBB3084_29:
	s_or_b64 exec, exec, s[4:5]
	v_or_b32_e32 v15, 0x1a00, v0
	v_cmp_gt_u32_e32 vcc, s3, v15
                                        ; implicit-def: $vgpr14
	s_and_saveexec_b64 s[4:5], vcc
	s_cbranch_execz .LBB3084_31
; %bb.30:
	v_lshlrev_b32_e32 v14, 1, v15
	v_mov_b32_e32 v15, 0
	v_lshl_add_u64 v[14:15], s[14:15], 0, v[14:15]
	flat_load_ushort v14, v[14:15]
.LBB3084_31:
	s_or_b64 exec, exec, s[4:5]
	v_or_b32_e32 v16, 0x1c00, v0
	v_cmp_gt_u32_e32 vcc, s3, v16
                                        ; implicit-def: $vgpr15
	s_and_saveexec_b64 s[4:5], vcc
	s_cbranch_execz .LBB3084_33
; %bb.32:
	v_lshlrev_b32_e32 v16, 1, v16
	v_mov_b32_e32 v17, 0
	v_lshl_add_u64 v[16:17], s[14:15], 0, v[16:17]
	flat_load_ushort v15, v[16:17]
.LBB3084_33:
	s_or_b64 exec, exec, s[4:5]
	v_or_b32_e32 v17, 0x1e00, v0
	v_cmp_gt_u32_e32 vcc, s3, v17
                                        ; implicit-def: $vgpr16
	s_and_saveexec_b64 s[4:5], vcc
	s_cbranch_execz .LBB3084_35
; %bb.34:
	v_lshlrev_b32_e32 v16, 1, v17
	v_mov_b32_e32 v17, 0
	v_lshl_add_u64 v[16:17], s[14:15], 0, v[16:17]
	flat_load_ushort v16, v[16:17]
.LBB3084_35:
	s_or_b64 exec, exec, s[4:5]
	v_or_b32_e32 v18, 0x2000, v0
	v_cmp_gt_u32_e32 vcc, s3, v18
                                        ; implicit-def: $vgpr17
	s_and_saveexec_b64 s[4:5], vcc
	s_cbranch_execz .LBB3084_37
; %bb.36:
	v_lshlrev_b32_e32 v18, 1, v18
	v_mov_b32_e32 v19, 0
	v_lshl_add_u64 v[18:19], s[14:15], 0, v[18:19]
	flat_load_ushort v17, v[18:19]
.LBB3084_37:
	s_or_b64 exec, exec, s[4:5]
	v_or_b32_e32 v19, 0x2200, v0
	v_cmp_gt_u32_e32 vcc, s3, v19
                                        ; implicit-def: $vgpr18
	s_and_saveexec_b64 s[4:5], vcc
	s_cbranch_execz .LBB3084_39
; %bb.38:
	v_lshlrev_b32_e32 v18, 1, v19
	v_mov_b32_e32 v19, 0
	v_lshl_add_u64 v[18:19], s[14:15], 0, v[18:19]
	flat_load_ushort v18, v[18:19]
.LBB3084_39:
	s_or_b64 exec, exec, s[4:5]
	v_or_b32_e32 v20, 0x2400, v0
	v_cmp_gt_u32_e32 vcc, s3, v20
                                        ; implicit-def: $vgpr19
	s_and_saveexec_b64 s[4:5], vcc
	s_cbranch_execz .LBB3084_41
; %bb.40:
	v_lshlrev_b32_e32 v20, 1, v20
	v_mov_b32_e32 v21, 0
	v_lshl_add_u64 v[20:21], s[14:15], 0, v[20:21]
	flat_load_ushort v19, v[20:21]
.LBB3084_41:
	s_or_b64 exec, exec, s[4:5]
	v_or_b32_e32 v21, 0x2600, v0
	v_cmp_gt_u32_e32 vcc, s3, v21
                                        ; implicit-def: $vgpr20
	s_and_saveexec_b64 s[4:5], vcc
	s_cbranch_execz .LBB3084_43
; %bb.42:
	v_lshlrev_b32_e32 v20, 1, v21
	v_mov_b32_e32 v21, 0
	v_lshl_add_u64 v[20:21], s[14:15], 0, v[20:21]
	flat_load_ushort v20, v[20:21]
.LBB3084_43:
	s_or_b64 exec, exec, s[4:5]
	v_or_b32_e32 v22, 0x2800, v0
	v_cmp_gt_u32_e32 vcc, s3, v22
                                        ; implicit-def: $vgpr21
	s_and_saveexec_b64 s[4:5], vcc
	s_cbranch_execz .LBB3084_45
; %bb.44:
	v_lshlrev_b32_e32 v22, 1, v22
	v_mov_b32_e32 v23, 0
	v_lshl_add_u64 v[22:23], s[14:15], 0, v[22:23]
	flat_load_ushort v21, v[22:23]
.LBB3084_45:
	s_or_b64 exec, exec, s[4:5]
	v_or_b32_e32 v23, 0x2a00, v0
	v_cmp_gt_u32_e32 vcc, s3, v23
                                        ; implicit-def: $vgpr22
	s_and_saveexec_b64 s[4:5], vcc
	s_cbranch_execz .LBB3084_47
; %bb.46:
	v_lshlrev_b32_e32 v22, 1, v23
	v_mov_b32_e32 v23, 0
	v_lshl_add_u64 v[22:23], s[14:15], 0, v[22:23]
	flat_load_ushort v22, v[22:23]
.LBB3084_47:
	s_or_b64 exec, exec, s[4:5]
	v_or_b32_e32 v24, 0x2c00, v0
	v_cmp_gt_u32_e32 vcc, s3, v24
                                        ; implicit-def: $vgpr23
	s_and_saveexec_b64 s[4:5], vcc
	s_cbranch_execz .LBB3084_49
; %bb.48:
	v_lshlrev_b32_e32 v24, 1, v24
	v_mov_b32_e32 v25, 0
	v_lshl_add_u64 v[24:25], s[14:15], 0, v[24:25]
	flat_load_ushort v23, v[24:25]
.LBB3084_49:
	s_or_b64 exec, exec, s[4:5]
	v_or_b32_e32 v25, 0x2e00, v0
	v_cmp_gt_u32_e32 vcc, s3, v25
                                        ; implicit-def: $vgpr24
	s_and_saveexec_b64 s[4:5], vcc
	s_cbranch_execz .LBB3084_51
; %bb.50:
	v_lshlrev_b32_e32 v24, 1, v25
	v_mov_b32_e32 v25, 0
	v_lshl_add_u64 v[24:25], s[14:15], 0, v[24:25]
	flat_load_ushort v24, v[24:25]
.LBB3084_51:
	s_or_b64 exec, exec, s[4:5]
	v_or_b32_e32 v26, 0x3000, v0
	v_cmp_gt_u32_e32 vcc, s3, v26
                                        ; implicit-def: $vgpr25
	s_and_saveexec_b64 s[4:5], vcc
	s_cbranch_execz .LBB3084_53
; %bb.52:
	v_lshlrev_b32_e32 v26, 1, v26
	v_mov_b32_e32 v27, 0
	v_lshl_add_u64 v[26:27], s[14:15], 0, v[26:27]
	flat_load_ushort v25, v[26:27]
.LBB3084_53:
	s_or_b64 exec, exec, s[4:5]
	v_or_b32_e32 v27, 0x3200, v0
	v_cmp_gt_u32_e32 vcc, s3, v27
                                        ; implicit-def: $vgpr26
	s_and_saveexec_b64 s[4:5], vcc
	s_cbranch_execz .LBB3084_55
; %bb.54:
	v_lshlrev_b32_e32 v26, 1, v27
	v_mov_b32_e32 v27, 0
	v_lshl_add_u64 v[26:27], s[14:15], 0, v[26:27]
	flat_load_ushort v26, v[26:27]
.LBB3084_55:
	s_or_b64 exec, exec, s[4:5]
	v_or_b32_e32 v28, 0x3400, v0
	v_cmp_gt_u32_e32 vcc, s3, v28
                                        ; implicit-def: $vgpr27
	s_and_saveexec_b64 s[4:5], vcc
	s_cbranch_execz .LBB3084_57
; %bb.56:
	v_lshlrev_b32_e32 v28, 1, v28
	v_mov_b32_e32 v29, 0
	v_lshl_add_u64 v[28:29], s[14:15], 0, v[28:29]
	flat_load_ushort v27, v[28:29]
.LBB3084_57:
	s_or_b64 exec, exec, s[4:5]
	v_or_b32_e32 v29, 0x3600, v0
	v_cmp_gt_u32_e32 vcc, s3, v29
                                        ; implicit-def: $vgpr28
	s_and_saveexec_b64 s[4:5], vcc
	s_cbranch_execz .LBB3084_59
; %bb.58:
	v_lshlrev_b32_e32 v28, 1, v29
	v_mov_b32_e32 v29, 0
	v_lshl_add_u64 v[28:29], s[14:15], 0, v[28:29]
	flat_load_ushort v28, v[28:29]
.LBB3084_59:
	s_or_b64 exec, exec, s[4:5]
	v_lshlrev_b32_e32 v29, 1, v0
	s_waitcnt vmcnt(0) lgkmcnt(0)
	ds_write_b16 v29, v1
	ds_write_b16 v29, v2 offset:1024
	ds_write_b16 v29, v3 offset:2048
	ds_write_b16 v29, v4 offset:3072
	ds_write_b16 v29, v5 offset:4096
	ds_write_b16 v29, v6 offset:5120
	ds_write_b16 v29, v7 offset:6144
	ds_write_b16 v29, v8 offset:7168
	ds_write_b16 v29, v9 offset:8192
	ds_write_b16 v29, v10 offset:9216
	ds_write_b16 v29, v11 offset:10240
	ds_write_b16 v29, v12 offset:11264
	ds_write_b16 v29, v13 offset:12288
	ds_write_b16 v29, v14 offset:13312
	ds_write_b16 v29, v15 offset:14336
	ds_write_b16 v29, v16 offset:15360
	ds_write_b16 v29, v17 offset:16384
	ds_write_b16 v29, v18 offset:17408
	ds_write_b16 v29, v19 offset:18432
	ds_write_b16 v29, v20 offset:19456
	ds_write_b16 v29, v21 offset:20480
	ds_write_b16 v29, v22 offset:21504
	ds_write_b16 v29, v23 offset:22528
	ds_write_b16 v29, v24 offset:23552
	ds_write_b16 v29, v25 offset:24576
	ds_write_b16 v29, v26 offset:25600
	ds_write_b16 v29, v27 offset:26624
	ds_write_b16 v29, v28 offset:27648
	s_waitcnt lgkmcnt(0)
	s_barrier
.LBB3084_60:
	v_mul_u32_u24_e32 v1, 28, v0
	v_lshlrev_b32_e32 v6, 1, v1
	s_waitcnt lgkmcnt(0)
	ds_read_b64 v[14:15], v6 offset:48
	ds_read2_b64 v[2:5], v6 offset0:4 offset1:5
	ds_read2_b64 v[10:13], v6 offset1:1
	ds_read2_b64 v[6:9], v6 offset0:2 offset1:3
	s_add_u32 s4, s6, s8
	s_addc_u32 s5, s7, s9
	s_add_u32 s4, s4, s12
	s_addc_u32 s5, s5, s13
	s_mov_b64 s[6:7], -1
	s_and_b64 vcc, exec, s[10:11]
	s_waitcnt lgkmcnt(0)
	s_barrier
	s_cbranch_vccz .LBB3084_62
; %bb.61:
	v_lshlrev_b32_e32 v16, 1, v0
	v_mov_b32_e32 v17, 0
	v_lshl_add_u64 v[18:19], s[4:5], 0, v[16:17]
	s_movk_i32 s6, 0x1000
	global_load_ubyte v22, v16, s[4:5]
	global_load_ubyte v23, v16, s[4:5] offset:1024
	global_load_ubyte v24, v16, s[4:5] offset:2048
	;; [unrolled: 1-line block ×3, first 2 shown]
	v_add_co_u32_e32 v16, vcc, s6, v18
	s_movk_i32 s6, 0x2000
	s_nop 0
	v_addc_co_u32_e32 v17, vcc, 0, v19, vcc
	v_add_co_u32_e32 v20, vcc, s6, v18
	s_movk_i32 s6, 0x3000
	s_nop 0
	v_addc_co_u32_e32 v21, vcc, 0, v19, vcc
	global_load_ubyte v26, v[16:17], off offset:1024
	global_load_ubyte v27, v[16:17], off offset:2048
	;; [unrolled: 1-line block ×3, first 2 shown]
	global_load_ubyte v29, v[20:21], off offset:-4096
	global_load_ubyte v30, v[20:21], off
	global_load_ubyte v31, v[20:21], off offset:1024
	global_load_ubyte v32, v[20:21], off offset:2048
	;; [unrolled: 1-line block ×3, first 2 shown]
	v_add_co_u32_e32 v16, vcc, s6, v18
	s_movk_i32 s6, 0x4000
	s_nop 0
	v_addc_co_u32_e32 v17, vcc, 0, v19, vcc
	v_add_co_u32_e32 v20, vcc, s6, v18
	s_movk_i32 s7, 0x6000
	s_nop 0
	v_addc_co_u32_e32 v21, vcc, 0, v19, vcc
	global_load_ubyte v34, v[20:21], off offset:-4096
	global_load_ubyte v35, v[16:17], off offset:1024
	global_load_ubyte v36, v[16:17], off offset:2048
	;; [unrolled: 1-line block ×3, first 2 shown]
	global_load_ubyte v38, v[20:21], off
	v_add_co_u32_e32 v16, vcc, s7, v18
	s_movk_i32 s6, 0x5000
	s_nop 0
	v_addc_co_u32_e32 v17, vcc, 0, v19, vcc
	v_add_co_u32_e32 v18, vcc, s6, v18
	global_load_ubyte v39, v[20:21], off offset:1024
	global_load_ubyte v40, v[20:21], off offset:2048
	;; [unrolled: 1-line block ×3, first 2 shown]
	global_load_ubyte v42, v[16:17], off offset:-4096
	v_addc_co_u32_e32 v19, vcc, 0, v19, vcc
	global_load_ubyte v20, v[18:19], off offset:1024
	global_load_ubyte v21, v[18:19], off offset:2048
	;; [unrolled: 1-line block ×3, first 2 shown]
	global_load_ubyte v44, v[16:17], off
	global_load_ubyte v45, v[16:17], off offset:1024
	global_load_ubyte v46, v[16:17], off offset:2048
	global_load_ubyte v47, v[16:17], off offset:3072
	s_mov_b64 s[6:7], 0
	s_waitcnt vmcnt(27)
	v_xor_b32_e32 v16, -1, v22
	s_waitcnt vmcnt(26)
	v_xor_b32_e32 v17, -1, v23
	;; [unrolled: 2-line block ×4, first 2 shown]
	v_and_b32_e32 v16, 1, v16
	v_and_b32_e32 v17, 1, v17
	;; [unrolled: 1-line block ×3, first 2 shown]
	s_waitcnt vmcnt(23)
	v_xor_b32_e32 v23, -1, v26
	s_waitcnt vmcnt(22)
	v_xor_b32_e32 v24, -1, v27
	;; [unrolled: 2-line block ×8, first 2 shown]
	v_and_b32_e32 v19, 1, v19
	v_and_b32_e32 v22, 1, v22
	;; [unrolled: 1-line block ×6, first 2 shown]
	s_waitcnt vmcnt(15)
	v_xor_b32_e32 v30, -1, v34
	s_waitcnt vmcnt(14)
	v_xor_b32_e32 v31, -1, v35
	;; [unrolled: 2-line block ×5, first 2 shown]
	v_and_b32_e32 v27, 1, v27
	v_and_b32_e32 v28, 1, v28
	;; [unrolled: 1-line block ×4, first 2 shown]
	s_waitcnt vmcnt(10)
	v_xor_b32_e32 v35, -1, v39
	s_waitcnt vmcnt(9)
	v_xor_b32_e32 v36, -1, v40
	;; [unrolled: 2-line block ×11, first 2 shown]
	v_and_b32_e32 v31, 1, v31
	v_and_b32_e32 v32, 1, v32
	;; [unrolled: 1-line block ×15, first 2 shown]
	ds_write_b8 v0, v16
	ds_write_b8 v0, v17 offset:512
	ds_write_b8 v0, v18 offset:1024
	;; [unrolled: 1-line block ×27, first 2 shown]
	s_waitcnt lgkmcnt(0)
	s_barrier
.LBB3084_62:
	s_load_dwordx2 s[24:25], s[0:1], 0x80
	s_andn2_b64 vcc, exec, s[6:7]
	s_cbranch_vccnz .LBB3084_120
; %bb.63:
	v_cmp_gt_u32_e32 vcc, s3, v0
	v_mov_b32_e32 v16, 0
	v_mov_b32_e32 v17, 0
	s_and_saveexec_b64 s[0:1], vcc
	s_cbranch_execz .LBB3084_65
; %bb.64:
	v_lshlrev_b32_e32 v17, 1, v0
	global_load_ubyte v17, v17, s[4:5]
	s_waitcnt vmcnt(0)
	v_xor_b32_e32 v17, -1, v17
	v_and_b32_e32 v17, 1, v17
.LBB3084_65:
	s_or_b64 exec, exec, s[0:1]
	v_or_b32_e32 v18, 0x200, v0
	v_cmp_gt_u32_e32 vcc, s3, v18
	s_and_saveexec_b64 s[0:1], vcc
	s_cbranch_execz .LBB3084_67
; %bb.66:
	v_lshlrev_b32_e32 v16, 1, v0
	global_load_ubyte v16, v16, s[4:5] offset:1024
	s_waitcnt vmcnt(0)
	v_xor_b32_e32 v16, -1, v16
	v_and_b32_e32 v16, 1, v16
.LBB3084_67:
	s_or_b64 exec, exec, s[0:1]
	v_or_b32_e32 v18, 0x400, v0
	v_cmp_gt_u32_e32 vcc, s3, v18
	v_mov_b32_e32 v18, 0
	v_mov_b32_e32 v19, 0
	s_and_saveexec_b64 s[0:1], vcc
	s_cbranch_execz .LBB3084_69
; %bb.68:
	v_lshlrev_b32_e32 v19, 1, v0
	global_load_ubyte v19, v19, s[4:5] offset:2048
	s_waitcnt vmcnt(0)
	v_xor_b32_e32 v19, -1, v19
	v_and_b32_e32 v19, 1, v19
.LBB3084_69:
	s_or_b64 exec, exec, s[0:1]
	v_or_b32_e32 v20, 0x600, v0
	v_cmp_gt_u32_e32 vcc, s3, v20
	s_and_saveexec_b64 s[0:1], vcc
	s_cbranch_execz .LBB3084_71
; %bb.70:
	v_lshlrev_b32_e32 v18, 1, v0
	global_load_ubyte v18, v18, s[4:5] offset:3072
	s_waitcnt vmcnt(0)
	v_xor_b32_e32 v18, -1, v18
	v_and_b32_e32 v18, 1, v18
.LBB3084_71:
	s_or_b64 exec, exec, s[0:1]
	v_or_b32_e32 v22, 0x800, v0
	v_cmp_gt_u32_e32 vcc, s3, v22
	v_mov_b32_e32 v20, 0
	v_mov_b32_e32 v21, 0
	s_and_saveexec_b64 s[0:1], vcc
	s_cbranch_execz .LBB3084_73
; %bb.72:
	v_lshlrev_b32_e32 v21, 1, v22
	global_load_ubyte v21, v21, s[4:5]
	s_waitcnt vmcnt(0)
	v_xor_b32_e32 v21, -1, v21
	v_and_b32_e32 v21, 1, v21
.LBB3084_73:
	s_or_b64 exec, exec, s[0:1]
	v_or_b32_e32 v22, 0xa00, v0
	v_cmp_gt_u32_e32 vcc, s3, v22
	s_and_saveexec_b64 s[0:1], vcc
	s_cbranch_execz .LBB3084_75
; %bb.74:
	v_lshlrev_b32_e32 v20, 1, v22
	global_load_ubyte v20, v20, s[4:5]
	s_waitcnt vmcnt(0)
	v_xor_b32_e32 v20, -1, v20
	v_and_b32_e32 v20, 1, v20
.LBB3084_75:
	s_or_b64 exec, exec, s[0:1]
	v_or_b32_e32 v24, 0xc00, v0
	v_cmp_gt_u32_e32 vcc, s3, v24
	v_mov_b32_e32 v22, 0
	v_mov_b32_e32 v23, 0
	s_and_saveexec_b64 s[0:1], vcc
	s_cbranch_execz .LBB3084_77
; %bb.76:
	v_lshlrev_b32_e32 v23, 1, v24
	global_load_ubyte v23, v23, s[4:5]
	s_waitcnt vmcnt(0)
	v_xor_b32_e32 v23, -1, v23
	v_and_b32_e32 v23, 1, v23
.LBB3084_77:
	s_or_b64 exec, exec, s[0:1]
	v_or_b32_e32 v24, 0xe00, v0
	v_cmp_gt_u32_e32 vcc, s3, v24
	s_and_saveexec_b64 s[0:1], vcc
	s_cbranch_execz .LBB3084_79
; %bb.78:
	v_lshlrev_b32_e32 v22, 1, v24
	global_load_ubyte v22, v22, s[4:5]
	s_waitcnt vmcnt(0)
	v_xor_b32_e32 v22, -1, v22
	v_and_b32_e32 v22, 1, v22
.LBB3084_79:
	s_or_b64 exec, exec, s[0:1]
	v_or_b32_e32 v26, 0x1000, v0
	v_cmp_gt_u32_e32 vcc, s3, v26
	v_mov_b32_e32 v24, 0
	v_mov_b32_e32 v25, 0
	s_and_saveexec_b64 s[0:1], vcc
	s_cbranch_execz .LBB3084_81
; %bb.80:
	v_lshlrev_b32_e32 v25, 1, v26
	global_load_ubyte v25, v25, s[4:5]
	s_waitcnt vmcnt(0)
	v_xor_b32_e32 v25, -1, v25
	v_and_b32_e32 v25, 1, v25
.LBB3084_81:
	s_or_b64 exec, exec, s[0:1]
	v_or_b32_e32 v26, 0x1200, v0
	v_cmp_gt_u32_e32 vcc, s3, v26
	s_and_saveexec_b64 s[0:1], vcc
	s_cbranch_execz .LBB3084_83
; %bb.82:
	v_lshlrev_b32_e32 v24, 1, v26
	global_load_ubyte v24, v24, s[4:5]
	s_waitcnt vmcnt(0)
	v_xor_b32_e32 v24, -1, v24
	v_and_b32_e32 v24, 1, v24
.LBB3084_83:
	s_or_b64 exec, exec, s[0:1]
	v_or_b32_e32 v28, 0x1400, v0
	v_cmp_gt_u32_e32 vcc, s3, v28
	v_mov_b32_e32 v26, 0
	v_mov_b32_e32 v27, 0
	s_and_saveexec_b64 s[0:1], vcc
	s_cbranch_execz .LBB3084_85
; %bb.84:
	v_lshlrev_b32_e32 v27, 1, v28
	global_load_ubyte v27, v27, s[4:5]
	s_waitcnt vmcnt(0)
	v_xor_b32_e32 v27, -1, v27
	v_and_b32_e32 v27, 1, v27
.LBB3084_85:
	s_or_b64 exec, exec, s[0:1]
	v_or_b32_e32 v28, 0x1600, v0
	v_cmp_gt_u32_e32 vcc, s3, v28
	s_and_saveexec_b64 s[0:1], vcc
	s_cbranch_execz .LBB3084_87
; %bb.86:
	v_lshlrev_b32_e32 v26, 1, v28
	global_load_ubyte v26, v26, s[4:5]
	s_waitcnt vmcnt(0)
	v_xor_b32_e32 v26, -1, v26
	v_and_b32_e32 v26, 1, v26
.LBB3084_87:
	s_or_b64 exec, exec, s[0:1]
	v_or_b32_e32 v30, 0x1800, v0
	v_cmp_gt_u32_e32 vcc, s3, v30
	v_mov_b32_e32 v28, 0
	v_mov_b32_e32 v29, 0
	s_and_saveexec_b64 s[0:1], vcc
	s_cbranch_execz .LBB3084_89
; %bb.88:
	v_lshlrev_b32_e32 v29, 1, v30
	global_load_ubyte v29, v29, s[4:5]
	s_waitcnt vmcnt(0)
	v_xor_b32_e32 v29, -1, v29
	v_and_b32_e32 v29, 1, v29
.LBB3084_89:
	s_or_b64 exec, exec, s[0:1]
	v_or_b32_e32 v30, 0x1a00, v0
	v_cmp_gt_u32_e32 vcc, s3, v30
	s_and_saveexec_b64 s[0:1], vcc
	s_cbranch_execz .LBB3084_91
; %bb.90:
	v_lshlrev_b32_e32 v28, 1, v30
	global_load_ubyte v28, v28, s[4:5]
	s_waitcnt vmcnt(0)
	v_xor_b32_e32 v28, -1, v28
	v_and_b32_e32 v28, 1, v28
.LBB3084_91:
	s_or_b64 exec, exec, s[0:1]
	v_or_b32_e32 v32, 0x1c00, v0
	v_cmp_gt_u32_e32 vcc, s3, v32
	v_mov_b32_e32 v30, 0
	v_mov_b32_e32 v31, 0
	s_and_saveexec_b64 s[0:1], vcc
	s_cbranch_execz .LBB3084_93
; %bb.92:
	v_lshlrev_b32_e32 v31, 1, v32
	global_load_ubyte v31, v31, s[4:5]
	s_waitcnt vmcnt(0)
	v_xor_b32_e32 v31, -1, v31
	v_and_b32_e32 v31, 1, v31
.LBB3084_93:
	s_or_b64 exec, exec, s[0:1]
	v_or_b32_e32 v32, 0x1e00, v0
	v_cmp_gt_u32_e32 vcc, s3, v32
	s_and_saveexec_b64 s[0:1], vcc
	s_cbranch_execz .LBB3084_95
; %bb.94:
	v_lshlrev_b32_e32 v30, 1, v32
	global_load_ubyte v30, v30, s[4:5]
	s_waitcnt vmcnt(0)
	v_xor_b32_e32 v30, -1, v30
	v_and_b32_e32 v30, 1, v30
.LBB3084_95:
	s_or_b64 exec, exec, s[0:1]
	v_or_b32_e32 v34, 0x2000, v0
	v_cmp_gt_u32_e32 vcc, s3, v34
	v_mov_b32_e32 v32, 0
	v_mov_b32_e32 v33, 0
	s_and_saveexec_b64 s[0:1], vcc
	s_cbranch_execz .LBB3084_97
; %bb.96:
	v_lshlrev_b32_e32 v33, 1, v34
	global_load_ubyte v33, v33, s[4:5]
	s_waitcnt vmcnt(0)
	v_xor_b32_e32 v33, -1, v33
	v_and_b32_e32 v33, 1, v33
.LBB3084_97:
	s_or_b64 exec, exec, s[0:1]
	v_or_b32_e32 v34, 0x2200, v0
	v_cmp_gt_u32_e32 vcc, s3, v34
	s_and_saveexec_b64 s[0:1], vcc
	s_cbranch_execz .LBB3084_99
; %bb.98:
	v_lshlrev_b32_e32 v32, 1, v34
	global_load_ubyte v32, v32, s[4:5]
	s_waitcnt vmcnt(0)
	v_xor_b32_e32 v32, -1, v32
	v_and_b32_e32 v32, 1, v32
.LBB3084_99:
	s_or_b64 exec, exec, s[0:1]
	v_or_b32_e32 v36, 0x2400, v0
	v_cmp_gt_u32_e32 vcc, s3, v36
	v_mov_b32_e32 v34, 0
	v_mov_b32_e32 v35, 0
	s_and_saveexec_b64 s[0:1], vcc
	s_cbranch_execz .LBB3084_101
; %bb.100:
	v_lshlrev_b32_e32 v35, 1, v36
	global_load_ubyte v35, v35, s[4:5]
	s_waitcnt vmcnt(0)
	v_xor_b32_e32 v35, -1, v35
	v_and_b32_e32 v35, 1, v35
.LBB3084_101:
	s_or_b64 exec, exec, s[0:1]
	v_or_b32_e32 v36, 0x2600, v0
	v_cmp_gt_u32_e32 vcc, s3, v36
	s_and_saveexec_b64 s[0:1], vcc
	s_cbranch_execz .LBB3084_103
; %bb.102:
	v_lshlrev_b32_e32 v34, 1, v36
	global_load_ubyte v34, v34, s[4:5]
	s_waitcnt vmcnt(0)
	v_xor_b32_e32 v34, -1, v34
	v_and_b32_e32 v34, 1, v34
.LBB3084_103:
	s_or_b64 exec, exec, s[0:1]
	v_or_b32_e32 v38, 0x2800, v0
	v_cmp_gt_u32_e32 vcc, s3, v38
	v_mov_b32_e32 v36, 0
	v_mov_b32_e32 v37, 0
	s_and_saveexec_b64 s[0:1], vcc
	s_cbranch_execz .LBB3084_105
; %bb.104:
	v_lshlrev_b32_e32 v37, 1, v38
	global_load_ubyte v37, v37, s[4:5]
	s_waitcnt vmcnt(0)
	v_xor_b32_e32 v37, -1, v37
	v_and_b32_e32 v37, 1, v37
.LBB3084_105:
	s_or_b64 exec, exec, s[0:1]
	v_or_b32_e32 v38, 0x2a00, v0
	v_cmp_gt_u32_e32 vcc, s3, v38
	s_and_saveexec_b64 s[0:1], vcc
	s_cbranch_execz .LBB3084_107
; %bb.106:
	v_lshlrev_b32_e32 v36, 1, v38
	global_load_ubyte v36, v36, s[4:5]
	s_waitcnt vmcnt(0)
	v_xor_b32_e32 v36, -1, v36
	v_and_b32_e32 v36, 1, v36
.LBB3084_107:
	s_or_b64 exec, exec, s[0:1]
	v_or_b32_e32 v40, 0x2c00, v0
	v_cmp_gt_u32_e32 vcc, s3, v40
	v_mov_b32_e32 v38, 0
	v_mov_b32_e32 v39, 0
	s_and_saveexec_b64 s[0:1], vcc
	s_cbranch_execz .LBB3084_109
; %bb.108:
	v_lshlrev_b32_e32 v39, 1, v40
	global_load_ubyte v39, v39, s[4:5]
	s_waitcnt vmcnt(0)
	v_xor_b32_e32 v39, -1, v39
	v_and_b32_e32 v39, 1, v39
.LBB3084_109:
	s_or_b64 exec, exec, s[0:1]
	v_or_b32_e32 v40, 0x2e00, v0
	v_cmp_gt_u32_e32 vcc, s3, v40
	s_and_saveexec_b64 s[0:1], vcc
	s_cbranch_execz .LBB3084_111
; %bb.110:
	v_lshlrev_b32_e32 v38, 1, v40
	global_load_ubyte v38, v38, s[4:5]
	s_waitcnt vmcnt(0)
	v_xor_b32_e32 v38, -1, v38
	v_and_b32_e32 v38, 1, v38
.LBB3084_111:
	s_or_b64 exec, exec, s[0:1]
	v_or_b32_e32 v42, 0x3000, v0
	v_cmp_gt_u32_e32 vcc, s3, v42
	v_mov_b32_e32 v40, 0
	v_mov_b32_e32 v41, 0
	s_and_saveexec_b64 s[0:1], vcc
	s_cbranch_execz .LBB3084_113
; %bb.112:
	v_lshlrev_b32_e32 v41, 1, v42
	global_load_ubyte v41, v41, s[4:5]
	s_waitcnt vmcnt(0)
	v_xor_b32_e32 v41, -1, v41
	v_and_b32_e32 v41, 1, v41
.LBB3084_113:
	s_or_b64 exec, exec, s[0:1]
	v_or_b32_e32 v42, 0x3200, v0
	v_cmp_gt_u32_e32 vcc, s3, v42
	s_and_saveexec_b64 s[0:1], vcc
	s_cbranch_execz .LBB3084_115
; %bb.114:
	v_lshlrev_b32_e32 v40, 1, v42
	global_load_ubyte v40, v40, s[4:5]
	s_waitcnt vmcnt(0)
	v_xor_b32_e32 v40, -1, v40
	v_and_b32_e32 v40, 1, v40
.LBB3084_115:
	s_or_b64 exec, exec, s[0:1]
	v_or_b32_e32 v44, 0x3400, v0
	v_cmp_gt_u32_e32 vcc, s3, v44
	v_mov_b32_e32 v42, 0
	v_mov_b32_e32 v43, 0
	s_and_saveexec_b64 s[0:1], vcc
	s_cbranch_execz .LBB3084_117
; %bb.116:
	v_lshlrev_b32_e32 v43, 1, v44
	global_load_ubyte v43, v43, s[4:5]
	s_waitcnt vmcnt(0)
	v_xor_b32_e32 v43, -1, v43
	v_and_b32_e32 v43, 1, v43
.LBB3084_117:
	s_or_b64 exec, exec, s[0:1]
	v_or_b32_e32 v44, 0x3600, v0
	v_cmp_gt_u32_e32 vcc, s3, v44
	s_and_saveexec_b64 s[0:1], vcc
	s_cbranch_execz .LBB3084_119
; %bb.118:
	v_lshlrev_b32_e32 v42, 1, v44
	global_load_ubyte v42, v42, s[4:5]
	s_waitcnt vmcnt(0)
	v_xor_b32_e32 v42, -1, v42
	v_and_b32_e32 v42, 1, v42
.LBB3084_119:
	s_or_b64 exec, exec, s[0:1]
	ds_write_b8 v0, v17
	ds_write_b8 v0, v16 offset:512
	ds_write_b8 v0, v19 offset:1024
	ds_write_b8 v0, v18 offset:1536
	ds_write_b8 v0, v21 offset:2048
	ds_write_b8 v0, v20 offset:2560
	ds_write_b8 v0, v23 offset:3072
	ds_write_b8 v0, v22 offset:3584
	ds_write_b8 v0, v25 offset:4096
	ds_write_b8 v0, v24 offset:4608
	ds_write_b8 v0, v27 offset:5120
	ds_write_b8 v0, v26 offset:5632
	ds_write_b8 v0, v29 offset:6144
	ds_write_b8 v0, v28 offset:6656
	ds_write_b8 v0, v31 offset:7168
	ds_write_b8 v0, v30 offset:7680
	ds_write_b8 v0, v33 offset:8192
	ds_write_b8 v0, v32 offset:8704
	ds_write_b8 v0, v35 offset:9216
	ds_write_b8 v0, v34 offset:9728
	ds_write_b8 v0, v37 offset:10240
	ds_write_b8 v0, v36 offset:10752
	ds_write_b8 v0, v39 offset:11264
	ds_write_b8 v0, v38 offset:11776
	ds_write_b8 v0, v41 offset:12288
	ds_write_b8 v0, v40 offset:12800
	ds_write_b8 v0, v43 offset:13312
	ds_write_b8 v0, v42 offset:13824
	s_waitcnt lgkmcnt(0)
	s_barrier
.LBB3084_120:
	s_waitcnt lgkmcnt(0)
	ds_read2_b32 v[20:21], v1 offset1:1
	ds_read2_b32 v[18:19], v1 offset0:2 offset1:3
	ds_read2_b32 v[16:17], v1 offset0:4 offset1:5
	ds_read_b32 v33, v1 offset:24
	s_cmp_lg_u32 s2, 0
	v_lshrrev_b32_e32 v60, 6, v0
	s_waitcnt lgkmcnt(2)
	v_and_b32_e32 v52, 0xff, v18
	v_lshrrev_b32_e32 v40, 24, v20
	v_bfe_u32 v58, v20, 16, 8
	v_add_u32_sdwa v22, v20, v20 dst_sel:DWORD dst_unused:UNUSED_PAD src0_sel:BYTE_1 src1_sel:BYTE_0
	v_and_b32_e32 v55, 0xff, v21
	v_bfe_u32 v56, v21, 8, 8
	v_add3_u32 v22, v22, v58, v40
	v_lshrrev_b32_e32 v39, 24, v21
	v_bfe_u32 v57, v21, 16, 8
	v_add3_u32 v22, v22, v55, v56
	v_bfe_u32 v53, v18, 8, 8
	v_add3_u32 v22, v22, v57, v39
	v_lshrrev_b32_e32 v38, 24, v18
	v_bfe_u32 v54, v18, 16, 8
	v_add3_u32 v22, v22, v52, v53
	v_and_b32_e32 v49, 0xff, v19
	v_bfe_u32 v50, v19, 8, 8
	v_add3_u32 v22, v22, v54, v38
	v_lshrrev_b32_e32 v37, 24, v19
	v_bfe_u32 v51, v19, 16, 8
	v_add3_u32 v22, v22, v49, v50
	s_waitcnt lgkmcnt(1)
	v_and_b32_e32 v46, 0xff, v16
	v_bfe_u32 v47, v16, 8, 8
	v_add3_u32 v22, v22, v51, v37
	v_lshrrev_b32_e32 v36, 24, v16
	v_bfe_u32 v48, v16, 16, 8
	v_add3_u32 v22, v22, v46, v47
	v_and_b32_e32 v43, 0xff, v17
	v_bfe_u32 v44, v17, 8, 8
	v_add3_u32 v22, v22, v48, v36
	v_lshrrev_b32_e32 v35, 24, v17
	v_bfe_u32 v45, v17, 16, 8
	v_add3_u32 v22, v22, v43, v44
	s_waitcnt lgkmcnt(0)
	v_and_b32_e32 v41, 0xff, v33
	v_bfe_u32 v42, v33, 8, 8
	v_add3_u32 v22, v22, v45, v35
	v_lshrrev_b32_e32 v32, 24, v33
	v_bfe_u32 v34, v33, 16, 8
	v_add3_u32 v22, v22, v41, v42
	v_add3_u32 v61, v22, v34, v32
	v_mbcnt_lo_u32_b32 v22, -1, 0
	v_mbcnt_hi_u32_b32 v59, -1, v22
	v_and_b32_e32 v22, 15, v59
	v_cmp_eq_u32_e64 s[12:13], 0, v22
	v_cmp_lt_u32_e64 s[10:11], 1, v22
	v_cmp_lt_u32_e64 s[8:9], 3, v22
	;; [unrolled: 1-line block ×3, first 2 shown]
	v_and_b32_e32 v22, 16, v59
	v_cmp_eq_u32_e64 s[4:5], 0, v22
	v_or_b32_e32 v22, 63, v0
	v_cmp_lt_u32_e64 s[0:1], 31, v59
	v_cmp_eq_u32_e64 s[16:17], v22, v0
	s_barrier
	s_cbranch_scc0 .LBB3084_151
; %bb.121:
	v_mov_b32_dpp v22, v61 row_shr:1 row_mask:0xf bank_mask:0xf
	v_cndmask_b32_e64 v22, v22, 0, s[12:13]
	v_add_u32_e32 v22, v22, v61
	s_nop 1
	v_mov_b32_dpp v23, v22 row_shr:2 row_mask:0xf bank_mask:0xf
	v_cndmask_b32_e64 v23, 0, v23, s[10:11]
	v_add_u32_e32 v22, v22, v23
	s_nop 1
	;; [unrolled: 4-line block ×4, first 2 shown]
	v_mov_b32_dpp v23, v22 row_bcast:15 row_mask:0xf bank_mask:0xf
	v_cndmask_b32_e64 v23, v23, 0, s[4:5]
	v_add_u32_e32 v22, v22, v23
	s_nop 1
	v_mov_b32_dpp v23, v22 row_bcast:31 row_mask:0xf bank_mask:0xf
	v_cndmask_b32_e64 v23, 0, v23, s[0:1]
	v_add_u32_e32 v22, v22, v23
	s_and_saveexec_b64 s[14:15], s[16:17]
	s_cbranch_execz .LBB3084_123
; %bb.122:
	v_lshlrev_b32_e32 v23, 2, v60
	ds_write_b32 v23, v22
.LBB3084_123:
	s_or_b64 exec, exec, s[14:15]
	v_cmp_gt_u32_e32 vcc, 8, v0
	s_waitcnt lgkmcnt(0)
	s_barrier
	s_and_saveexec_b64 s[14:15], vcc
	s_cbranch_execz .LBB3084_125
; %bb.124:
	v_lshlrev_b32_e32 v23, 2, v0
	ds_read_b32 v24, v23
	v_and_b32_e32 v25, 7, v59
	v_cmp_ne_u32_e32 vcc, 0, v25
	s_waitcnt lgkmcnt(0)
	v_mov_b32_dpp v26, v24 row_shr:1 row_mask:0xf bank_mask:0xf
	v_cndmask_b32_e32 v26, 0, v26, vcc
	v_add_u32_e32 v24, v26, v24
	v_cmp_lt_u32_e32 vcc, 1, v25
	s_nop 0
	v_mov_b32_dpp v26, v24 row_shr:2 row_mask:0xf bank_mask:0xf
	v_cndmask_b32_e32 v26, 0, v26, vcc
	v_add_u32_e32 v24, v24, v26
	v_cmp_lt_u32_e32 vcc, 3, v25
	s_nop 0
	v_mov_b32_dpp v26, v24 row_shr:4 row_mask:0xf bank_mask:0xf
	v_cndmask_b32_e32 v25, 0, v26, vcc
	v_add_u32_e32 v24, v24, v25
	ds_write_b32 v23, v24
.LBB3084_125:
	s_or_b64 exec, exec, s[14:15]
	v_cmp_gt_u32_e32 vcc, 64, v0
	v_cmp_lt_u32_e64 s[14:15], 63, v0
	s_waitcnt lgkmcnt(0)
	s_barrier
	s_waitcnt lgkmcnt(0)
                                        ; implicit-def: $vgpr62
	s_and_saveexec_b64 s[26:27], s[14:15]
	s_cbranch_execz .LBB3084_127
; %bb.126:
	v_lshl_add_u32 v23, v60, 2, -4
	ds_read_b32 v62, v23
	s_waitcnt lgkmcnt(0)
	v_add_u32_e32 v22, v62, v22
.LBB3084_127:
	s_or_b64 exec, exec, s[26:27]
	v_add_u32_e32 v23, -1, v59
	v_and_b32_e32 v24, 64, v59
	v_cmp_lt_i32_e64 s[14:15], v23, v24
	s_nop 1
	v_cndmask_b32_e64 v23, v23, v59, s[14:15]
	v_lshlrev_b32_e32 v23, 2, v23
	ds_bpermute_b32 v63, v23, v22
	v_cmp_eq_u32_e64 s[14:15], 0, v59
	s_and_saveexec_b64 s[26:27], vcc
	s_cbranch_execz .LBB3084_150
; %bb.128:
	v_mov_b32_e32 v31, 0
	ds_read_b32 v22, v31 offset:28
	s_and_saveexec_b64 s[28:29], s[14:15]
	s_cbranch_execz .LBB3084_130
; %bb.129:
	s_add_i32 s30, s2, 64
	s_mov_b32 s31, 0
	s_lshl_b64 s[30:31], s[30:31], 3
	s_add_u32 s30, s24, s30
	v_mov_b32_e32 v23, 1
	s_addc_u32 s31, s25, s31
	s_waitcnt lgkmcnt(0)
	global_store_dwordx2 v31, v[22:23], s[30:31] sc1
.LBB3084_130:
	s_or_b64 exec, exec, s[28:29]
	v_xad_u32 v24, v59, -1, s2
	v_add_u32_e32 v30, 64, v24
	v_lshl_add_u64 v[26:27], v[30:31], 3, s[24:25]
	global_load_dwordx2 v[28:29], v[26:27], off sc1
	s_waitcnt vmcnt(0)
	v_cmp_eq_u16_sdwa s[30:31], v29, v31 src0_sel:BYTE_0 src1_sel:DWORD
	s_and_saveexec_b64 s[28:29], s[30:31]
	s_cbranch_execz .LBB3084_136
; %bb.131:
	s_mov_b32 s3, 1
	s_mov_b64 s[30:31], 0
	v_mov_b32_e32 v23, 0
.LBB3084_132:                           ; =>This Loop Header: Depth=1
                                        ;     Child Loop BB3084_133 Depth 2
	s_max_u32 s33, s3, 1
.LBB3084_133:                           ;   Parent Loop BB3084_132 Depth=1
                                        ; =>  This Inner Loop Header: Depth=2
	s_add_i32 s33, s33, -1
	s_cmp_eq_u32 s33, 0
	s_sleep 1
	s_cbranch_scc0 .LBB3084_133
; %bb.134:                              ;   in Loop: Header=BB3084_132 Depth=1
	global_load_dwordx2 v[28:29], v[26:27], off sc1
	s_cmp_lt_u32 s3, 32
	s_cselect_b64 s[34:35], -1, 0
	s_cmp_lg_u64 s[34:35], 0
	s_addc_u32 s3, s3, 0
	s_waitcnt vmcnt(0)
	v_cmp_ne_u16_sdwa s[34:35], v29, v23 src0_sel:BYTE_0 src1_sel:DWORD
	s_or_b64 s[30:31], s[34:35], s[30:31]
	s_andn2_b64 exec, exec, s[30:31]
	s_cbranch_execnz .LBB3084_132
; %bb.135:
	s_or_b64 exec, exec, s[30:31]
.LBB3084_136:
	s_or_b64 exec, exec, s[28:29]
	v_and_b32_e32 v65, 63, v59
	v_mov_b32_e32 v64, 2
	v_cmp_ne_u32_e32 vcc, 63, v65
	v_cmp_eq_u16_sdwa s[28:29], v29, v64 src0_sel:BYTE_0 src1_sel:DWORD
	v_lshlrev_b64 v[26:27], v59, -1
	v_addc_co_u32_e32 v30, vcc, 0, v59, vcc
	v_and_b32_e32 v23, s29, v27
	v_lshlrev_b32_e32 v66, 2, v30
	v_or_b32_e32 v23, 0x80000000, v23
	ds_bpermute_b32 v30, v66, v28
	v_and_b32_e32 v25, s28, v26
	v_ffbl_b32_e32 v23, v23
	v_add_u32_e32 v23, 32, v23
	v_ffbl_b32_e32 v25, v25
	v_min_u32_e32 v23, v25, v23
	v_cmp_lt_u32_e32 vcc, v65, v23
	v_add_u32_e32 v68, 2, v65
	v_add_u32_e32 v70, 4, v65
	s_waitcnt lgkmcnt(0)
	v_cndmask_b32_e32 v25, 0, v30, vcc
	v_cmp_gt_u32_e32 vcc, 62, v65
	v_add_u32_e32 v25, v25, v28
	v_add_u32_e32 v72, 8, v65
	v_cndmask_b32_e64 v28, 0, 1, vcc
	v_lshlrev_b32_e32 v28, 1, v28
	v_add_lshl_u32 v67, v28, v59, 2
	ds_bpermute_b32 v28, v67, v25
	v_cmp_le_u32_e32 vcc, v68, v23
	v_add_u32_e32 v74, 16, v65
	v_add_u32_e32 v76, 32, v65
	s_waitcnt lgkmcnt(0)
	v_cndmask_b32_e32 v28, 0, v28, vcc
	v_cmp_gt_u32_e32 vcc, 60, v65
	v_add_u32_e32 v25, v25, v28
	s_nop 0
	v_cndmask_b32_e64 v28, 0, 1, vcc
	v_lshlrev_b32_e32 v28, 2, v28
	v_add_lshl_u32 v69, v28, v59, 2
	ds_bpermute_b32 v28, v69, v25
	v_cmp_le_u32_e32 vcc, v70, v23
	s_waitcnt lgkmcnt(0)
	s_nop 0
	v_cndmask_b32_e32 v28, 0, v28, vcc
	v_cmp_gt_u32_e32 vcc, 56, v65
	v_add_u32_e32 v25, v25, v28
	s_nop 0
	v_cndmask_b32_e64 v28, 0, 1, vcc
	v_lshlrev_b32_e32 v28, 3, v28
	v_add_lshl_u32 v71, v28, v59, 2
	ds_bpermute_b32 v28, v71, v25
	v_cmp_le_u32_e32 vcc, v72, v23
	s_waitcnt lgkmcnt(0)
	s_nop 0
	;; [unrolled: 11-line block ×4, first 2 shown]
	v_cndmask_b32_e32 v23, 0, v28, vcc
	v_add_u32_e32 v28, v25, v23
	v_mov_b32_e32 v25, 0
	s_branch .LBB3084_138
.LBB3084_137:                           ;   in Loop: Header=BB3084_138 Depth=1
	s_or_b64 exec, exec, s[28:29]
	v_cmp_eq_u16_sdwa s[28:29], v29, v64 src0_sel:BYTE_0 src1_sel:DWORD
	ds_bpermute_b32 v77, v66, v28
	v_subrev_u32_e32 v24, 64, v24
	v_and_b32_e32 v30, s29, v27
	v_or_b32_e32 v30, 0x80000000, v30
	v_and_b32_e32 v31, s28, v26
	v_ffbl_b32_e32 v30, v30
	v_add_u32_e32 v30, 32, v30
	v_ffbl_b32_e32 v31, v31
	v_min_u32_e32 v30, v31, v30
	v_cmp_lt_u32_e32 vcc, v65, v30
	s_waitcnt lgkmcnt(0)
	s_nop 0
	v_cndmask_b32_e32 v31, 0, v77, vcc
	v_add_u32_e32 v28, v31, v28
	ds_bpermute_b32 v31, v67, v28
	v_cmp_le_u32_e32 vcc, v68, v30
	s_waitcnt lgkmcnt(0)
	s_nop 0
	v_cndmask_b32_e32 v31, 0, v31, vcc
	v_add_u32_e32 v28, v28, v31
	ds_bpermute_b32 v31, v69, v28
	v_cmp_le_u32_e32 vcc, v70, v30
	;; [unrolled: 6-line block ×5, first 2 shown]
	s_waitcnt lgkmcnt(0)
	s_nop 0
	v_cndmask_b32_e32 v30, 0, v31, vcc
	v_add3_u32 v28, v30, v23, v28
.LBB3084_138:                           ; =>This Loop Header: Depth=1
                                        ;     Child Loop BB3084_141 Depth 2
                                        ;       Child Loop BB3084_142 Depth 3
	v_cmp_ne_u16_sdwa s[28:29], v29, v64 src0_sel:BYTE_0 src1_sel:DWORD
	s_nop 1
	v_cndmask_b32_e64 v23, 0, 1, s[28:29]
	;;#ASMSTART
	;;#ASMEND
	s_nop 0
	v_cmp_ne_u32_e32 vcc, 0, v23
	s_cmp_lg_u64 vcc, exec
	v_mov_b32_e32 v23, v28
	s_cbranch_scc1 .LBB3084_145
; %bb.139:                              ;   in Loop: Header=BB3084_138 Depth=1
	v_lshl_add_u64 v[30:31], v[24:25], 3, s[24:25]
	global_load_dwordx2 v[28:29], v[30:31], off sc1
	s_waitcnt vmcnt(0)
	v_cmp_eq_u16_sdwa s[30:31], v29, v25 src0_sel:BYTE_0 src1_sel:DWORD
	s_and_saveexec_b64 s[28:29], s[30:31]
	s_cbranch_execz .LBB3084_137
; %bb.140:                              ;   in Loop: Header=BB3084_138 Depth=1
	s_mov_b32 s3, 1
	s_mov_b64 s[30:31], 0
.LBB3084_141:                           ;   Parent Loop BB3084_138 Depth=1
                                        ; =>  This Loop Header: Depth=2
                                        ;       Child Loop BB3084_142 Depth 3
	s_max_u32 s33, s3, 1
.LBB3084_142:                           ;   Parent Loop BB3084_138 Depth=1
                                        ;     Parent Loop BB3084_141 Depth=2
                                        ; =>    This Inner Loop Header: Depth=3
	s_add_i32 s33, s33, -1
	s_cmp_eq_u32 s33, 0
	s_sleep 1
	s_cbranch_scc0 .LBB3084_142
; %bb.143:                              ;   in Loop: Header=BB3084_141 Depth=2
	global_load_dwordx2 v[28:29], v[30:31], off sc1
	s_cmp_lt_u32 s3, 32
	s_cselect_b64 s[34:35], -1, 0
	s_cmp_lg_u64 s[34:35], 0
	s_addc_u32 s3, s3, 0
	s_waitcnt vmcnt(0)
	v_cmp_ne_u16_sdwa s[34:35], v29, v25 src0_sel:BYTE_0 src1_sel:DWORD
	s_or_b64 s[30:31], s[34:35], s[30:31]
	s_andn2_b64 exec, exec, s[30:31]
	s_cbranch_execnz .LBB3084_141
; %bb.144:                              ;   in Loop: Header=BB3084_138 Depth=1
	s_or_b64 exec, exec, s[30:31]
	s_branch .LBB3084_137
.LBB3084_145:                           ;   in Loop: Header=BB3084_138 Depth=1
                                        ; implicit-def: $vgpr28
                                        ; implicit-def: $vgpr29
	s_cbranch_execz .LBB3084_138
; %bb.146:
	s_and_saveexec_b64 s[28:29], s[14:15]
	s_cbranch_execz .LBB3084_148
; %bb.147:
	s_add_i32 s2, s2, 64
	s_mov_b32 s3, 0
	s_lshl_b64 s[2:3], s[2:3], 3
	s_add_u32 s2, s24, s2
	v_add_u32_e32 v24, v23, v22
	v_mov_b32_e32 v25, 2
	s_addc_u32 s3, s25, s3
	v_mov_b32_e32 v26, 0
	global_store_dwordx2 v26, v[24:25], s[2:3] sc1
	ds_write_b64 v26, v[22:23] offset:28672
.LBB3084_148:
	s_or_b64 exec, exec, s[28:29]
	v_cmp_eq_u32_e32 vcc, 0, v0
	s_and_b64 exec, exec, vcc
	s_cbranch_execz .LBB3084_150
; %bb.149:
	v_mov_b32_e32 v22, 0
	ds_write_b32 v22, v23 offset:28
.LBB3084_150:
	s_or_b64 exec, exec, s[26:27]
	v_mov_b32_e32 v22, 0
	s_waitcnt lgkmcnt(0)
	s_barrier
	ds_read_b32 v25, v22 offset:28
	s_waitcnt lgkmcnt(0)
	s_barrier
	ds_read_b64 v[22:23], v22 offset:28672
	v_cndmask_b32_e64 v24, v63, v62, s[14:15]
	v_cmp_ne_u32_e32 vcc, 0, v0
	s_nop 1
	v_cndmask_b32_e32 v24, 0, v24, vcc
	v_add_u32_e32 v30, v25, v24
	s_branch .LBB3084_161
.LBB3084_151:
                                        ; implicit-def: $vgpr23
                                        ; implicit-def: $vgpr30
	s_cbranch_execz .LBB3084_161
; %bb.152:
	s_waitcnt lgkmcnt(0)
	v_mov_b32_dpp v22, v61 row_shr:1 row_mask:0xf bank_mask:0xf
	v_cndmask_b32_e64 v22, v22, 0, s[12:13]
	v_add_u32_e32 v22, v22, v61
	s_nop 1
	v_mov_b32_dpp v23, v22 row_shr:2 row_mask:0xf bank_mask:0xf
	v_cndmask_b32_e64 v23, 0, v23, s[10:11]
	v_add_u32_e32 v22, v22, v23
	s_nop 1
	;; [unrolled: 4-line block ×4, first 2 shown]
	v_mov_b32_dpp v23, v22 row_bcast:15 row_mask:0xf bank_mask:0xf
	v_cndmask_b32_e64 v23, v23, 0, s[4:5]
	v_add_u32_e32 v22, v22, v23
	s_nop 1
	v_mov_b32_dpp v23, v22 row_bcast:31 row_mask:0xf bank_mask:0xf
	v_cndmask_b32_e64 v23, 0, v23, s[0:1]
	v_add_u32_e32 v22, v22, v23
	s_and_saveexec_b64 s[0:1], s[16:17]
	s_cbranch_execz .LBB3084_154
; %bb.153:
	v_lshlrev_b32_e32 v23, 2, v60
	ds_write_b32 v23, v22
.LBB3084_154:
	s_or_b64 exec, exec, s[0:1]
	v_cmp_gt_u32_e32 vcc, 8, v0
	s_waitcnt lgkmcnt(0)
	s_barrier
	s_and_saveexec_b64 s[0:1], vcc
	s_cbranch_execz .LBB3084_156
; %bb.155:
	v_lshlrev_b32_e32 v23, 2, v0
	ds_read_b32 v24, v23
	v_and_b32_e32 v25, 7, v59
	v_cmp_ne_u32_e32 vcc, 0, v25
	s_waitcnt lgkmcnt(0)
	v_mov_b32_dpp v26, v24 row_shr:1 row_mask:0xf bank_mask:0xf
	v_cndmask_b32_e32 v26, 0, v26, vcc
	v_add_u32_e32 v24, v26, v24
	v_cmp_lt_u32_e32 vcc, 1, v25
	s_nop 0
	v_mov_b32_dpp v26, v24 row_shr:2 row_mask:0xf bank_mask:0xf
	v_cndmask_b32_e32 v26, 0, v26, vcc
	v_add_u32_e32 v24, v24, v26
	v_cmp_lt_u32_e32 vcc, 3, v25
	s_nop 0
	v_mov_b32_dpp v26, v24 row_shr:4 row_mask:0xf bank_mask:0xf
	v_cndmask_b32_e32 v25, 0, v26, vcc
	v_add_u32_e32 v24, v24, v25
	ds_write_b32 v23, v24
.LBB3084_156:
	s_or_b64 exec, exec, s[0:1]
	v_cmp_lt_u32_e32 vcc, 63, v0
	v_mov_b32_e32 v23, 0
	v_mov_b32_e32 v24, 0
	s_waitcnt lgkmcnt(0)
	s_barrier
	s_and_saveexec_b64 s[0:1], vcc
	s_cbranch_execz .LBB3084_158
; %bb.157:
	v_lshl_add_u32 v24, v60, 2, -4
	ds_read_b32 v24, v24
.LBB3084_158:
	s_or_b64 exec, exec, s[0:1]
	v_add_u32_e32 v25, -1, v59
	v_and_b32_e32 v26, 64, v59
	v_cmp_lt_i32_e32 vcc, v25, v26
	s_waitcnt lgkmcnt(0)
	v_add_u32_e32 v22, v24, v22
	v_cndmask_b32_e32 v25, v25, v59, vcc
	v_lshlrev_b32_e32 v25, 2, v25
	ds_bpermute_b32 v25, v25, v22
	ds_read_b32 v22, v23 offset:28
	v_cmp_eq_u32_e32 vcc, 0, v0
	s_and_saveexec_b64 s[0:1], vcc
	s_cbranch_execz .LBB3084_160
; %bb.159:
	v_mov_b32_e32 v26, 0
	v_mov_b32_e32 v23, 2
	s_waitcnt lgkmcnt(0)
	global_store_dwordx2 v26, v[22:23], s[24:25] offset:512 sc1
.LBB3084_160:
	s_or_b64 exec, exec, s[0:1]
	v_cmp_eq_u32_e64 s[0:1], 0, v59
	v_mov_b32_e32 v23, 0
	s_waitcnt lgkmcnt(0)
	v_cndmask_b32_e64 v24, v25, v24, s[0:1]
	v_cndmask_b32_e64 v30, v24, 0, vcc
	s_barrier
.LBB3084_161:
	v_add_u32_sdwa v59, v30, v20 dst_sel:DWORD dst_unused:UNUSED_PAD src0_sel:DWORD src1_sel:BYTE_0
	s_waitcnt lgkmcnt(0)
	v_add_u32_e32 v1, v22, v1
	v_sub_u32_e32 v30, v30, v23
	v_and_b32_e32 v68, 1, v20
	v_sub_u32_e32 v67, v1, v30
	v_cmp_eq_u32_e32 vcc, 1, v68
	v_lshrrev_b32_e32 v31, 8, v20
	v_add_u32_sdwa v60, v59, v20 dst_sel:DWORD dst_unused:UNUSED_PAD src0_sel:DWORD src1_sel:BYTE_1
	v_cndmask_b32_e32 v30, v67, v30, vcc
	v_lshlrev_b32_e32 v30, 1, v30
	ds_write_b16 v30, v10
	v_sub_u32_e32 v30, v59, v23
	v_sub_u32_e32 v59, v1, v30
	v_and_b32_e32 v31, 1, v31
	v_add_u32_e32 v59, 1, v59
	v_cmp_eq_u32_e32 vcc, 1, v31
	v_mov_b32_e32 v31, 1
	v_and_b32_sdwa v20, v31, v20 dst_sel:DWORD dst_unused:UNUSED_PAD src0_sel:DWORD src1_sel:WORD_1
	v_cndmask_b32_e32 v30, v59, v30, vcc
	v_lshlrev_b32_e32 v30, 1, v30
	ds_write_b16_d16_hi v30, v10
	v_sub_u32_e32 v10, v60, v23
	v_sub_u32_e32 v30, v1, v10
	v_add_u32_e32 v30, 2, v30
	v_cmp_eq_u32_e32 vcc, 1, v20
	v_add_u32_e32 v58, v60, v58
	v_add_u32_e32 v61, v58, v40
	v_cndmask_b32_e32 v10, v30, v10, vcc
	v_lshlrev_b32_e32 v10, 1, v10
	ds_write_b16 v10, v11
	v_sub_u32_e32 v10, v58, v23
	v_sub_u32_e32 v20, v1, v10
	v_and_b32_e32 v30, 1, v40
	v_add_u32_e32 v20, 3, v20
	v_cmp_eq_u32_e32 vcc, 1, v30
	v_add_u32_e32 v55, v61, v55
	v_lshrrev_b32_e32 v29, 8, v21
	v_cndmask_b32_e32 v10, v20, v10, vcc
	v_lshlrev_b32_e32 v10, 1, v10
	ds_write_b16_d16_hi v10, v11
	v_sub_u32_e32 v10, v61, v23
	v_sub_u32_e32 v11, v1, v10
	v_and_b32_e32 v20, 1, v21
	v_add_u32_e32 v11, 4, v11
	v_cmp_eq_u32_e32 vcc, 1, v20
	v_and_b32_e32 v20, 1, v29
	v_add_u32_e32 v56, v55, v56
	v_cndmask_b32_e32 v10, v11, v10, vcc
	v_lshlrev_b32_e32 v10, 1, v10
	ds_write_b16 v10, v12
	v_sub_u32_e32 v10, v55, v23
	v_sub_u32_e32 v11, v1, v10
	v_add_u32_e32 v11, 5, v11
	v_cmp_eq_u32_e32 vcc, 1, v20
	v_add_u32_e32 v57, v56, v57
	v_add_u32_e32 v62, v57, v39
	v_cndmask_b32_e32 v10, v11, v10, vcc
	v_lshlrev_b32_e32 v10, 1, v10
	ds_write_b16_d16_hi v10, v12
	v_sub_u32_e32 v10, v56, v23
	v_sub_u32_e32 v11, v1, v10
	v_and_b32_sdwa v12, v31, v21 dst_sel:DWORD dst_unused:UNUSED_PAD src0_sel:DWORD src1_sel:WORD_1
	v_add_u32_e32 v11, 6, v11
	v_cmp_eq_u32_e32 vcc, 1, v12
	v_and_b32_e32 v12, 1, v39
	v_add_u32_e32 v52, v62, v52
	v_cndmask_b32_e32 v10, v11, v10, vcc
	v_lshlrev_b32_e32 v10, 1, v10
	ds_write_b16 v10, v13
	v_sub_u32_e32 v10, v57, v23
	v_sub_u32_e32 v11, v1, v10
	v_add_u32_e32 v11, 7, v11
	v_cmp_eq_u32_e32 vcc, 1, v12
	v_and_b32_e32 v12, 1, v18
	v_lshrrev_b32_e32 v28, 8, v18
	v_cndmask_b32_e32 v10, v11, v10, vcc
	v_lshlrev_b32_e32 v10, 1, v10
	ds_write_b16_d16_hi v10, v13
	v_sub_u32_e32 v10, v62, v23
	v_sub_u32_e32 v11, v1, v10
	v_add_u32_e32 v11, 8, v11
	v_cmp_eq_u32_e32 vcc, 1, v12
	v_and_b32_e32 v12, 1, v28
	v_add_u32_e32 v53, v52, v53
	v_cndmask_b32_e32 v10, v11, v10, vcc
	v_lshlrev_b32_e32 v10, 1, v10
	ds_write_b16 v10, v6
	v_sub_u32_e32 v10, v52, v23
	v_sub_u32_e32 v11, v1, v10
	v_add_u32_e32 v11, 9, v11
	v_cmp_eq_u32_e32 vcc, 1, v12
	v_add_u32_e32 v54, v53, v54
	v_add_u32_e32 v63, v54, v38
	v_cndmask_b32_e32 v10, v11, v10, vcc
	v_lshlrev_b32_e32 v10, 1, v10
	ds_write_b16_d16_hi v10, v6
	v_sub_u32_e32 v6, v53, v23
	v_sub_u32_e32 v10, v1, v6
	v_and_b32_sdwa v11, v31, v18 dst_sel:DWORD dst_unused:UNUSED_PAD src0_sel:DWORD src1_sel:WORD_1
	v_add_u32_e32 v10, 10, v10
	v_cmp_eq_u32_e32 vcc, 1, v11
	v_and_b32_e32 v11, 1, v38
	v_add_u32_e32 v49, v63, v49
	v_cndmask_b32_e32 v6, v10, v6, vcc
	v_lshlrev_b32_e32 v6, 1, v6
	ds_write_b16 v6, v7
	v_sub_u32_e32 v6, v54, v23
	v_sub_u32_e32 v10, v1, v6
	v_add_u32_e32 v10, 11, v10
	v_cmp_eq_u32_e32 vcc, 1, v11
	v_lshrrev_b32_e32 v27, 8, v19
	v_add_u32_e32 v50, v49, v50
	v_cndmask_b32_e32 v6, v10, v6, vcc
	v_lshlrev_b32_e32 v6, 1, v6
	ds_write_b16_d16_hi v6, v7
	v_sub_u32_e32 v6, v63, v23
	v_sub_u32_e32 v7, v1, v6
	v_and_b32_e32 v10, 1, v19
	v_add_u32_e32 v7, 12, v7
	v_cmp_eq_u32_e32 vcc, 1, v10
	v_and_b32_e32 v10, 1, v27
	v_add_u32_e32 v51, v50, v51
	v_cndmask_b32_e32 v6, v7, v6, vcc
	v_lshlrev_b32_e32 v6, 1, v6
	ds_write_b16 v6, v8
	v_sub_u32_e32 v6, v49, v23
	v_sub_u32_e32 v7, v1, v6
	v_add_u32_e32 v7, 13, v7
	v_cmp_eq_u32_e32 vcc, 1, v10
	v_add_u32_e32 v64, v51, v37
	v_add_u32_e32 v46, v64, v46
	v_cndmask_b32_e32 v6, v7, v6, vcc
	v_lshlrev_b32_e32 v6, 1, v6
	ds_write_b16_d16_hi v6, v8
	v_sub_u32_e32 v6, v50, v23
	v_sub_u32_e32 v7, v1, v6
	v_and_b32_sdwa v8, v31, v19 dst_sel:DWORD dst_unused:UNUSED_PAD src0_sel:DWORD src1_sel:WORD_1
	v_add_u32_e32 v7, 14, v7
	v_cmp_eq_u32_e32 vcc, 1, v8
	v_and_b32_e32 v8, 1, v37
	v_lshrrev_b32_e32 v26, 8, v16
	v_cndmask_b32_e32 v6, v7, v6, vcc
	v_lshlrev_b32_e32 v6, 1, v6
	ds_write_b16 v6, v9
	v_sub_u32_e32 v6, v51, v23
	v_sub_u32_e32 v7, v1, v6
	v_add_u32_e32 v7, 15, v7
	v_cmp_eq_u32_e32 vcc, 1, v8
	v_and_b32_e32 v8, 1, v16
	v_add_u32_e32 v47, v46, v47
	v_cndmask_b32_e32 v6, v7, v6, vcc
	v_lshlrev_b32_e32 v6, 1, v6
	ds_write_b16_d16_hi v6, v9
	v_sub_u32_e32 v6, v64, v23
	v_sub_u32_e32 v7, v1, v6
	v_add_u32_e32 v7, 16, v7
	v_cmp_eq_u32_e32 vcc, 1, v8
	v_and_b32_e32 v8, 1, v26
	v_add_u32_e32 v48, v47, v48
	v_cndmask_b32_e32 v6, v7, v6, vcc
	v_lshlrev_b32_e32 v6, 1, v6
	ds_write_b16 v6, v2
	v_sub_u32_e32 v6, v46, v23
	v_sub_u32_e32 v7, v1, v6
	v_add_u32_e32 v7, 17, v7
	v_cmp_eq_u32_e32 vcc, 1, v8
	v_add_u32_e32 v65, v48, v36
	v_add_u32_e32 v43, v65, v43
	v_cndmask_b32_e32 v6, v7, v6, vcc
	v_lshlrev_b32_e32 v6, 1, v6
	ds_write_b16_d16_hi v6, v2
	v_sub_u32_e32 v2, v47, v23
	v_sub_u32_e32 v6, v1, v2
	v_and_b32_sdwa v7, v31, v16 dst_sel:DWORD dst_unused:UNUSED_PAD src0_sel:DWORD src1_sel:WORD_1
	v_add_u32_e32 v6, 18, v6
	v_cmp_eq_u32_e32 vcc, 1, v7
	v_and_b32_e32 v7, 1, v36
	v_lshrrev_b32_e32 v25, 8, v17
	v_cndmask_b32_e32 v2, v6, v2, vcc
	v_lshlrev_b32_e32 v2, 1, v2
	ds_write_b16 v2, v3
	v_sub_u32_e32 v2, v48, v23
	v_sub_u32_e32 v6, v1, v2
	v_add_u32_e32 v6, 19, v6
	v_cmp_eq_u32_e32 vcc, 1, v7
	v_add_u32_e32 v44, v43, v44
	v_add_u32_e32 v45, v44, v45
	v_cndmask_b32_e32 v2, v6, v2, vcc
	v_lshlrev_b32_e32 v2, 1, v2
	ds_write_b16_d16_hi v2, v3
	v_sub_u32_e32 v2, v65, v23
	v_sub_u32_e32 v3, v1, v2
	v_and_b32_e32 v6, 1, v17
	v_add_u32_e32 v3, 20, v3
	v_cmp_eq_u32_e32 vcc, 1, v6
	v_and_b32_e32 v6, 1, v25
	v_add_u32_e32 v66, v45, v35
	v_cndmask_b32_e32 v2, v3, v2, vcc
	v_lshlrev_b32_e32 v2, 1, v2
	ds_write_b16 v2, v4
	v_sub_u32_e32 v2, v43, v23
	v_sub_u32_e32 v3, v1, v2
	v_add_u32_e32 v3, 21, v3
	v_cmp_eq_u32_e32 vcc, 1, v6
	v_add_u32_e32 v41, v66, v41
	v_lshrrev_b32_e32 v24, 8, v33
	v_cndmask_b32_e32 v2, v3, v2, vcc
	v_lshlrev_b32_e32 v2, 1, v2
	ds_write_b16_d16_hi v2, v4
	v_sub_u32_e32 v2, v44, v23
	v_sub_u32_e32 v3, v1, v2
	v_and_b32_sdwa v4, v31, v17 dst_sel:DWORD dst_unused:UNUSED_PAD src0_sel:DWORD src1_sel:WORD_1
	v_add_u32_e32 v3, 22, v3
	v_cmp_eq_u32_e32 vcc, 1, v4
	v_and_b32_e32 v4, 1, v35
	v_add_u32_e32 v42, v41, v42
	v_cndmask_b32_e32 v2, v3, v2, vcc
	v_lshlrev_b32_e32 v2, 1, v2
	ds_write_b16 v2, v5
	v_sub_u32_e32 v2, v45, v23
	v_sub_u32_e32 v3, v1, v2
	v_add_u32_e32 v3, 23, v3
	v_cmp_eq_u32_e32 vcc, 1, v4
	v_and_b32_e32 v4, 1, v33
	s_nop 0
	v_cndmask_b32_e32 v2, v3, v2, vcc
	v_lshlrev_b32_e32 v2, 1, v2
	ds_write_b16_d16_hi v2, v5
	v_sub_u32_e32 v2, v66, v23
	v_sub_u32_e32 v3, v1, v2
	v_add_u32_e32 v3, 24, v3
	v_cmp_eq_u32_e32 vcc, 1, v4
	v_and_b32_e32 v4, 1, v24
	s_nop 0
	v_cndmask_b32_e32 v2, v3, v2, vcc
	v_lshlrev_b32_e32 v2, 1, v2
	ds_write_b16 v2, v14
	v_sub_u32_e32 v2, v41, v23
	v_sub_u32_e32 v3, v1, v2
	v_add_u32_e32 v3, 25, v3
	v_cmp_eq_u32_e32 vcc, 1, v4
	v_and_b32_sdwa v4, v31, v33 dst_sel:DWORD dst_unused:UNUSED_PAD src0_sel:DWORD src1_sel:WORD_1
	s_nop 0
	v_cndmask_b32_e32 v2, v3, v2, vcc
	v_lshlrev_b32_e32 v2, 1, v2
	ds_write_b16_d16_hi v2, v14
	v_sub_u32_e32 v2, v42, v23
	v_sub_u32_e32 v3, v1, v2
	v_add_u32_e32 v3, 26, v3
	v_cmp_eq_u32_e32 vcc, 1, v4
	s_nop 1
	v_cndmask_b32_e32 v2, v3, v2, vcc
	v_lshlrev_b32_e32 v2, 1, v2
	ds_write_b16 v2, v15
	v_sub_u32_e32 v2, v34, v23
	v_add_u32_e32 v2, v42, v2
	v_sub_u32_e32 v1, v1, v2
	v_and_b32_e32 v3, 1, v32
	v_add_u32_e32 v1, 27, v1
	v_cmp_eq_u32_e32 vcc, 1, v3
	s_nop 1
	v_cndmask_b32_e32 v1, v1, v2, vcc
	v_cmp_eq_u32_e32 vcc, 0, v0
	v_lshlrev_b32_e32 v1, 1, v1
	s_and_b64 s[0:1], vcc, s[22:23]
	ds_write_b16_d16_hi v1, v15
	s_waitcnt lgkmcnt(0)
	s_barrier
	s_and_saveexec_b64 s[2:3], s[0:1]
	s_cbranch_execz .LBB3084_163
; %bb.162:
	v_mov_b32_e32 v1, 0
	v_mov_b32_e32 v0, v22
	v_lshl_add_u64 v[2:3], s[18:19], 0, v[0:1]
	v_mov_b32_e32 v0, v23
	v_lshl_add_u64 v[2:3], v[2:3], 0, v[0:1]
	global_store_dwordx2 v1, v[2:3], s[20:21]
.LBB3084_163:
	s_endpgm
	.section	.rodata,"a",@progbits
	.p2align	6, 0x0
	.amdhsa_kernel _ZN7rocprim17ROCPRIM_400000_NS6detail17trampoline_kernelINS0_14default_configENS1_25partition_config_selectorILNS1_17partition_subalgoE1EtNS0_10empty_typeEbEEZZNS1_14partition_implILS5_1ELb0ES3_jN6thrust23THRUST_200600_302600_NS6detail15normal_iteratorINSA_10device_ptrItEEEEPS6_NSA_18transform_iteratorI7is_evenItESF_NSA_11use_defaultESK_EENS0_5tupleIJNSA_16discard_iteratorISK_EESO_EEENSM_IJSG_SG_EEES6_PlJS6_EEE10hipError_tPvRmT3_T4_T5_T6_T7_T9_mT8_P12ihipStream_tbDpT10_ENKUlT_T0_E_clISt17integral_constantIbLb1EES1A_IbLb0EEEEDaS16_S17_EUlS16_E_NS1_11comp_targetILNS1_3genE5ELNS1_11target_archE942ELNS1_3gpuE9ELNS1_3repE0EEENS1_30default_config_static_selectorELNS0_4arch9wavefront6targetE1EEEvT1_
		.amdhsa_group_segment_fixed_size 28680
		.amdhsa_private_segment_fixed_size 0
		.amdhsa_kernarg_size 144
		.amdhsa_user_sgpr_count 2
		.amdhsa_user_sgpr_dispatch_ptr 0
		.amdhsa_user_sgpr_queue_ptr 0
		.amdhsa_user_sgpr_kernarg_segment_ptr 1
		.amdhsa_user_sgpr_dispatch_id 0
		.amdhsa_user_sgpr_kernarg_preload_length 0
		.amdhsa_user_sgpr_kernarg_preload_offset 0
		.amdhsa_user_sgpr_private_segment_size 0
		.amdhsa_uses_dynamic_stack 0
		.amdhsa_enable_private_segment 0
		.amdhsa_system_sgpr_workgroup_id_x 1
		.amdhsa_system_sgpr_workgroup_id_y 0
		.amdhsa_system_sgpr_workgroup_id_z 0
		.amdhsa_system_sgpr_workgroup_info 0
		.amdhsa_system_vgpr_workitem_id 0
		.amdhsa_next_free_vgpr 78
		.amdhsa_next_free_sgpr 36
		.amdhsa_accum_offset 80
		.amdhsa_reserve_vcc 1
		.amdhsa_float_round_mode_32 0
		.amdhsa_float_round_mode_16_64 0
		.amdhsa_float_denorm_mode_32 3
		.amdhsa_float_denorm_mode_16_64 3
		.amdhsa_dx10_clamp 1
		.amdhsa_ieee_mode 1
		.amdhsa_fp16_overflow 0
		.amdhsa_tg_split 0
		.amdhsa_exception_fp_ieee_invalid_op 0
		.amdhsa_exception_fp_denorm_src 0
		.amdhsa_exception_fp_ieee_div_zero 0
		.amdhsa_exception_fp_ieee_overflow 0
		.amdhsa_exception_fp_ieee_underflow 0
		.amdhsa_exception_fp_ieee_inexact 0
		.amdhsa_exception_int_div_zero 0
	.end_amdhsa_kernel
	.section	.text._ZN7rocprim17ROCPRIM_400000_NS6detail17trampoline_kernelINS0_14default_configENS1_25partition_config_selectorILNS1_17partition_subalgoE1EtNS0_10empty_typeEbEEZZNS1_14partition_implILS5_1ELb0ES3_jN6thrust23THRUST_200600_302600_NS6detail15normal_iteratorINSA_10device_ptrItEEEEPS6_NSA_18transform_iteratorI7is_evenItESF_NSA_11use_defaultESK_EENS0_5tupleIJNSA_16discard_iteratorISK_EESO_EEENSM_IJSG_SG_EEES6_PlJS6_EEE10hipError_tPvRmT3_T4_T5_T6_T7_T9_mT8_P12ihipStream_tbDpT10_ENKUlT_T0_E_clISt17integral_constantIbLb1EES1A_IbLb0EEEEDaS16_S17_EUlS16_E_NS1_11comp_targetILNS1_3genE5ELNS1_11target_archE942ELNS1_3gpuE9ELNS1_3repE0EEENS1_30default_config_static_selectorELNS0_4arch9wavefront6targetE1EEEvT1_,"axG",@progbits,_ZN7rocprim17ROCPRIM_400000_NS6detail17trampoline_kernelINS0_14default_configENS1_25partition_config_selectorILNS1_17partition_subalgoE1EtNS0_10empty_typeEbEEZZNS1_14partition_implILS5_1ELb0ES3_jN6thrust23THRUST_200600_302600_NS6detail15normal_iteratorINSA_10device_ptrItEEEEPS6_NSA_18transform_iteratorI7is_evenItESF_NSA_11use_defaultESK_EENS0_5tupleIJNSA_16discard_iteratorISK_EESO_EEENSM_IJSG_SG_EEES6_PlJS6_EEE10hipError_tPvRmT3_T4_T5_T6_T7_T9_mT8_P12ihipStream_tbDpT10_ENKUlT_T0_E_clISt17integral_constantIbLb1EES1A_IbLb0EEEEDaS16_S17_EUlS16_E_NS1_11comp_targetILNS1_3genE5ELNS1_11target_archE942ELNS1_3gpuE9ELNS1_3repE0EEENS1_30default_config_static_selectorELNS0_4arch9wavefront6targetE1EEEvT1_,comdat
.Lfunc_end3084:
	.size	_ZN7rocprim17ROCPRIM_400000_NS6detail17trampoline_kernelINS0_14default_configENS1_25partition_config_selectorILNS1_17partition_subalgoE1EtNS0_10empty_typeEbEEZZNS1_14partition_implILS5_1ELb0ES3_jN6thrust23THRUST_200600_302600_NS6detail15normal_iteratorINSA_10device_ptrItEEEEPS6_NSA_18transform_iteratorI7is_evenItESF_NSA_11use_defaultESK_EENS0_5tupleIJNSA_16discard_iteratorISK_EESO_EEENSM_IJSG_SG_EEES6_PlJS6_EEE10hipError_tPvRmT3_T4_T5_T6_T7_T9_mT8_P12ihipStream_tbDpT10_ENKUlT_T0_E_clISt17integral_constantIbLb1EES1A_IbLb0EEEEDaS16_S17_EUlS16_E_NS1_11comp_targetILNS1_3genE5ELNS1_11target_archE942ELNS1_3gpuE9ELNS1_3repE0EEENS1_30default_config_static_selectorELNS0_4arch9wavefront6targetE1EEEvT1_, .Lfunc_end3084-_ZN7rocprim17ROCPRIM_400000_NS6detail17trampoline_kernelINS0_14default_configENS1_25partition_config_selectorILNS1_17partition_subalgoE1EtNS0_10empty_typeEbEEZZNS1_14partition_implILS5_1ELb0ES3_jN6thrust23THRUST_200600_302600_NS6detail15normal_iteratorINSA_10device_ptrItEEEEPS6_NSA_18transform_iteratorI7is_evenItESF_NSA_11use_defaultESK_EENS0_5tupleIJNSA_16discard_iteratorISK_EESO_EEENSM_IJSG_SG_EEES6_PlJS6_EEE10hipError_tPvRmT3_T4_T5_T6_T7_T9_mT8_P12ihipStream_tbDpT10_ENKUlT_T0_E_clISt17integral_constantIbLb1EES1A_IbLb0EEEEDaS16_S17_EUlS16_E_NS1_11comp_targetILNS1_3genE5ELNS1_11target_archE942ELNS1_3gpuE9ELNS1_3repE0EEENS1_30default_config_static_selectorELNS0_4arch9wavefront6targetE1EEEvT1_
                                        ; -- End function
	.section	.AMDGPU.csdata,"",@progbits
; Kernel info:
; codeLenInByte = 8696
; NumSgprs: 42
; NumVgprs: 78
; NumAgprs: 0
; TotalNumVgprs: 78
; ScratchSize: 0
; MemoryBound: 0
; FloatMode: 240
; IeeeMode: 1
; LDSByteSize: 28680 bytes/workgroup (compile time only)
; SGPRBlocks: 5
; VGPRBlocks: 9
; NumSGPRsForWavesPerEU: 42
; NumVGPRsForWavesPerEU: 78
; AccumOffset: 80
; Occupancy: 4
; WaveLimiterHint : 1
; COMPUTE_PGM_RSRC2:SCRATCH_EN: 0
; COMPUTE_PGM_RSRC2:USER_SGPR: 2
; COMPUTE_PGM_RSRC2:TRAP_HANDLER: 0
; COMPUTE_PGM_RSRC2:TGID_X_EN: 1
; COMPUTE_PGM_RSRC2:TGID_Y_EN: 0
; COMPUTE_PGM_RSRC2:TGID_Z_EN: 0
; COMPUTE_PGM_RSRC2:TIDIG_COMP_CNT: 0
; COMPUTE_PGM_RSRC3_GFX90A:ACCUM_OFFSET: 19
; COMPUTE_PGM_RSRC3_GFX90A:TG_SPLIT: 0
	.section	.text._ZN7rocprim17ROCPRIM_400000_NS6detail17trampoline_kernelINS0_14default_configENS1_25partition_config_selectorILNS1_17partition_subalgoE1EtNS0_10empty_typeEbEEZZNS1_14partition_implILS5_1ELb0ES3_jN6thrust23THRUST_200600_302600_NS6detail15normal_iteratorINSA_10device_ptrItEEEEPS6_NSA_18transform_iteratorI7is_evenItESF_NSA_11use_defaultESK_EENS0_5tupleIJNSA_16discard_iteratorISK_EESO_EEENSM_IJSG_SG_EEES6_PlJS6_EEE10hipError_tPvRmT3_T4_T5_T6_T7_T9_mT8_P12ihipStream_tbDpT10_ENKUlT_T0_E_clISt17integral_constantIbLb1EES1A_IbLb0EEEEDaS16_S17_EUlS16_E_NS1_11comp_targetILNS1_3genE4ELNS1_11target_archE910ELNS1_3gpuE8ELNS1_3repE0EEENS1_30default_config_static_selectorELNS0_4arch9wavefront6targetE1EEEvT1_,"axG",@progbits,_ZN7rocprim17ROCPRIM_400000_NS6detail17trampoline_kernelINS0_14default_configENS1_25partition_config_selectorILNS1_17partition_subalgoE1EtNS0_10empty_typeEbEEZZNS1_14partition_implILS5_1ELb0ES3_jN6thrust23THRUST_200600_302600_NS6detail15normal_iteratorINSA_10device_ptrItEEEEPS6_NSA_18transform_iteratorI7is_evenItESF_NSA_11use_defaultESK_EENS0_5tupleIJNSA_16discard_iteratorISK_EESO_EEENSM_IJSG_SG_EEES6_PlJS6_EEE10hipError_tPvRmT3_T4_T5_T6_T7_T9_mT8_P12ihipStream_tbDpT10_ENKUlT_T0_E_clISt17integral_constantIbLb1EES1A_IbLb0EEEEDaS16_S17_EUlS16_E_NS1_11comp_targetILNS1_3genE4ELNS1_11target_archE910ELNS1_3gpuE8ELNS1_3repE0EEENS1_30default_config_static_selectorELNS0_4arch9wavefront6targetE1EEEvT1_,comdat
	.protected	_ZN7rocprim17ROCPRIM_400000_NS6detail17trampoline_kernelINS0_14default_configENS1_25partition_config_selectorILNS1_17partition_subalgoE1EtNS0_10empty_typeEbEEZZNS1_14partition_implILS5_1ELb0ES3_jN6thrust23THRUST_200600_302600_NS6detail15normal_iteratorINSA_10device_ptrItEEEEPS6_NSA_18transform_iteratorI7is_evenItESF_NSA_11use_defaultESK_EENS0_5tupleIJNSA_16discard_iteratorISK_EESO_EEENSM_IJSG_SG_EEES6_PlJS6_EEE10hipError_tPvRmT3_T4_T5_T6_T7_T9_mT8_P12ihipStream_tbDpT10_ENKUlT_T0_E_clISt17integral_constantIbLb1EES1A_IbLb0EEEEDaS16_S17_EUlS16_E_NS1_11comp_targetILNS1_3genE4ELNS1_11target_archE910ELNS1_3gpuE8ELNS1_3repE0EEENS1_30default_config_static_selectorELNS0_4arch9wavefront6targetE1EEEvT1_ ; -- Begin function _ZN7rocprim17ROCPRIM_400000_NS6detail17trampoline_kernelINS0_14default_configENS1_25partition_config_selectorILNS1_17partition_subalgoE1EtNS0_10empty_typeEbEEZZNS1_14partition_implILS5_1ELb0ES3_jN6thrust23THRUST_200600_302600_NS6detail15normal_iteratorINSA_10device_ptrItEEEEPS6_NSA_18transform_iteratorI7is_evenItESF_NSA_11use_defaultESK_EENS0_5tupleIJNSA_16discard_iteratorISK_EESO_EEENSM_IJSG_SG_EEES6_PlJS6_EEE10hipError_tPvRmT3_T4_T5_T6_T7_T9_mT8_P12ihipStream_tbDpT10_ENKUlT_T0_E_clISt17integral_constantIbLb1EES1A_IbLb0EEEEDaS16_S17_EUlS16_E_NS1_11comp_targetILNS1_3genE4ELNS1_11target_archE910ELNS1_3gpuE8ELNS1_3repE0EEENS1_30default_config_static_selectorELNS0_4arch9wavefront6targetE1EEEvT1_
	.globl	_ZN7rocprim17ROCPRIM_400000_NS6detail17trampoline_kernelINS0_14default_configENS1_25partition_config_selectorILNS1_17partition_subalgoE1EtNS0_10empty_typeEbEEZZNS1_14partition_implILS5_1ELb0ES3_jN6thrust23THRUST_200600_302600_NS6detail15normal_iteratorINSA_10device_ptrItEEEEPS6_NSA_18transform_iteratorI7is_evenItESF_NSA_11use_defaultESK_EENS0_5tupleIJNSA_16discard_iteratorISK_EESO_EEENSM_IJSG_SG_EEES6_PlJS6_EEE10hipError_tPvRmT3_T4_T5_T6_T7_T9_mT8_P12ihipStream_tbDpT10_ENKUlT_T0_E_clISt17integral_constantIbLb1EES1A_IbLb0EEEEDaS16_S17_EUlS16_E_NS1_11comp_targetILNS1_3genE4ELNS1_11target_archE910ELNS1_3gpuE8ELNS1_3repE0EEENS1_30default_config_static_selectorELNS0_4arch9wavefront6targetE1EEEvT1_
	.p2align	8
	.type	_ZN7rocprim17ROCPRIM_400000_NS6detail17trampoline_kernelINS0_14default_configENS1_25partition_config_selectorILNS1_17partition_subalgoE1EtNS0_10empty_typeEbEEZZNS1_14partition_implILS5_1ELb0ES3_jN6thrust23THRUST_200600_302600_NS6detail15normal_iteratorINSA_10device_ptrItEEEEPS6_NSA_18transform_iteratorI7is_evenItESF_NSA_11use_defaultESK_EENS0_5tupleIJNSA_16discard_iteratorISK_EESO_EEENSM_IJSG_SG_EEES6_PlJS6_EEE10hipError_tPvRmT3_T4_T5_T6_T7_T9_mT8_P12ihipStream_tbDpT10_ENKUlT_T0_E_clISt17integral_constantIbLb1EES1A_IbLb0EEEEDaS16_S17_EUlS16_E_NS1_11comp_targetILNS1_3genE4ELNS1_11target_archE910ELNS1_3gpuE8ELNS1_3repE0EEENS1_30default_config_static_selectorELNS0_4arch9wavefront6targetE1EEEvT1_,@function
_ZN7rocprim17ROCPRIM_400000_NS6detail17trampoline_kernelINS0_14default_configENS1_25partition_config_selectorILNS1_17partition_subalgoE1EtNS0_10empty_typeEbEEZZNS1_14partition_implILS5_1ELb0ES3_jN6thrust23THRUST_200600_302600_NS6detail15normal_iteratorINSA_10device_ptrItEEEEPS6_NSA_18transform_iteratorI7is_evenItESF_NSA_11use_defaultESK_EENS0_5tupleIJNSA_16discard_iteratorISK_EESO_EEENSM_IJSG_SG_EEES6_PlJS6_EEE10hipError_tPvRmT3_T4_T5_T6_T7_T9_mT8_P12ihipStream_tbDpT10_ENKUlT_T0_E_clISt17integral_constantIbLb1EES1A_IbLb0EEEEDaS16_S17_EUlS16_E_NS1_11comp_targetILNS1_3genE4ELNS1_11target_archE910ELNS1_3gpuE8ELNS1_3repE0EEENS1_30default_config_static_selectorELNS0_4arch9wavefront6targetE1EEEvT1_: ; @_ZN7rocprim17ROCPRIM_400000_NS6detail17trampoline_kernelINS0_14default_configENS1_25partition_config_selectorILNS1_17partition_subalgoE1EtNS0_10empty_typeEbEEZZNS1_14partition_implILS5_1ELb0ES3_jN6thrust23THRUST_200600_302600_NS6detail15normal_iteratorINSA_10device_ptrItEEEEPS6_NSA_18transform_iteratorI7is_evenItESF_NSA_11use_defaultESK_EENS0_5tupleIJNSA_16discard_iteratorISK_EESO_EEENSM_IJSG_SG_EEES6_PlJS6_EEE10hipError_tPvRmT3_T4_T5_T6_T7_T9_mT8_P12ihipStream_tbDpT10_ENKUlT_T0_E_clISt17integral_constantIbLb1EES1A_IbLb0EEEEDaS16_S17_EUlS16_E_NS1_11comp_targetILNS1_3genE4ELNS1_11target_archE910ELNS1_3gpuE8ELNS1_3repE0EEENS1_30default_config_static_selectorELNS0_4arch9wavefront6targetE1EEEvT1_
; %bb.0:
	.section	.rodata,"a",@progbits
	.p2align	6, 0x0
	.amdhsa_kernel _ZN7rocprim17ROCPRIM_400000_NS6detail17trampoline_kernelINS0_14default_configENS1_25partition_config_selectorILNS1_17partition_subalgoE1EtNS0_10empty_typeEbEEZZNS1_14partition_implILS5_1ELb0ES3_jN6thrust23THRUST_200600_302600_NS6detail15normal_iteratorINSA_10device_ptrItEEEEPS6_NSA_18transform_iteratorI7is_evenItESF_NSA_11use_defaultESK_EENS0_5tupleIJNSA_16discard_iteratorISK_EESO_EEENSM_IJSG_SG_EEES6_PlJS6_EEE10hipError_tPvRmT3_T4_T5_T6_T7_T9_mT8_P12ihipStream_tbDpT10_ENKUlT_T0_E_clISt17integral_constantIbLb1EES1A_IbLb0EEEEDaS16_S17_EUlS16_E_NS1_11comp_targetILNS1_3genE4ELNS1_11target_archE910ELNS1_3gpuE8ELNS1_3repE0EEENS1_30default_config_static_selectorELNS0_4arch9wavefront6targetE1EEEvT1_
		.amdhsa_group_segment_fixed_size 0
		.amdhsa_private_segment_fixed_size 0
		.amdhsa_kernarg_size 144
		.amdhsa_user_sgpr_count 2
		.amdhsa_user_sgpr_dispatch_ptr 0
		.amdhsa_user_sgpr_queue_ptr 0
		.amdhsa_user_sgpr_kernarg_segment_ptr 1
		.amdhsa_user_sgpr_dispatch_id 0
		.amdhsa_user_sgpr_kernarg_preload_length 0
		.amdhsa_user_sgpr_kernarg_preload_offset 0
		.amdhsa_user_sgpr_private_segment_size 0
		.amdhsa_uses_dynamic_stack 0
		.amdhsa_enable_private_segment 0
		.amdhsa_system_sgpr_workgroup_id_x 1
		.amdhsa_system_sgpr_workgroup_id_y 0
		.amdhsa_system_sgpr_workgroup_id_z 0
		.amdhsa_system_sgpr_workgroup_info 0
		.amdhsa_system_vgpr_workitem_id 0
		.amdhsa_next_free_vgpr 1
		.amdhsa_next_free_sgpr 0
		.amdhsa_accum_offset 4
		.amdhsa_reserve_vcc 0
		.amdhsa_float_round_mode_32 0
		.amdhsa_float_round_mode_16_64 0
		.amdhsa_float_denorm_mode_32 3
		.amdhsa_float_denorm_mode_16_64 3
		.amdhsa_dx10_clamp 1
		.amdhsa_ieee_mode 1
		.amdhsa_fp16_overflow 0
		.amdhsa_tg_split 0
		.amdhsa_exception_fp_ieee_invalid_op 0
		.amdhsa_exception_fp_denorm_src 0
		.amdhsa_exception_fp_ieee_div_zero 0
		.amdhsa_exception_fp_ieee_overflow 0
		.amdhsa_exception_fp_ieee_underflow 0
		.amdhsa_exception_fp_ieee_inexact 0
		.amdhsa_exception_int_div_zero 0
	.end_amdhsa_kernel
	.section	.text._ZN7rocprim17ROCPRIM_400000_NS6detail17trampoline_kernelINS0_14default_configENS1_25partition_config_selectorILNS1_17partition_subalgoE1EtNS0_10empty_typeEbEEZZNS1_14partition_implILS5_1ELb0ES3_jN6thrust23THRUST_200600_302600_NS6detail15normal_iteratorINSA_10device_ptrItEEEEPS6_NSA_18transform_iteratorI7is_evenItESF_NSA_11use_defaultESK_EENS0_5tupleIJNSA_16discard_iteratorISK_EESO_EEENSM_IJSG_SG_EEES6_PlJS6_EEE10hipError_tPvRmT3_T4_T5_T6_T7_T9_mT8_P12ihipStream_tbDpT10_ENKUlT_T0_E_clISt17integral_constantIbLb1EES1A_IbLb0EEEEDaS16_S17_EUlS16_E_NS1_11comp_targetILNS1_3genE4ELNS1_11target_archE910ELNS1_3gpuE8ELNS1_3repE0EEENS1_30default_config_static_selectorELNS0_4arch9wavefront6targetE1EEEvT1_,"axG",@progbits,_ZN7rocprim17ROCPRIM_400000_NS6detail17trampoline_kernelINS0_14default_configENS1_25partition_config_selectorILNS1_17partition_subalgoE1EtNS0_10empty_typeEbEEZZNS1_14partition_implILS5_1ELb0ES3_jN6thrust23THRUST_200600_302600_NS6detail15normal_iteratorINSA_10device_ptrItEEEEPS6_NSA_18transform_iteratorI7is_evenItESF_NSA_11use_defaultESK_EENS0_5tupleIJNSA_16discard_iteratorISK_EESO_EEENSM_IJSG_SG_EEES6_PlJS6_EEE10hipError_tPvRmT3_T4_T5_T6_T7_T9_mT8_P12ihipStream_tbDpT10_ENKUlT_T0_E_clISt17integral_constantIbLb1EES1A_IbLb0EEEEDaS16_S17_EUlS16_E_NS1_11comp_targetILNS1_3genE4ELNS1_11target_archE910ELNS1_3gpuE8ELNS1_3repE0EEENS1_30default_config_static_selectorELNS0_4arch9wavefront6targetE1EEEvT1_,comdat
.Lfunc_end3085:
	.size	_ZN7rocprim17ROCPRIM_400000_NS6detail17trampoline_kernelINS0_14default_configENS1_25partition_config_selectorILNS1_17partition_subalgoE1EtNS0_10empty_typeEbEEZZNS1_14partition_implILS5_1ELb0ES3_jN6thrust23THRUST_200600_302600_NS6detail15normal_iteratorINSA_10device_ptrItEEEEPS6_NSA_18transform_iteratorI7is_evenItESF_NSA_11use_defaultESK_EENS0_5tupleIJNSA_16discard_iteratorISK_EESO_EEENSM_IJSG_SG_EEES6_PlJS6_EEE10hipError_tPvRmT3_T4_T5_T6_T7_T9_mT8_P12ihipStream_tbDpT10_ENKUlT_T0_E_clISt17integral_constantIbLb1EES1A_IbLb0EEEEDaS16_S17_EUlS16_E_NS1_11comp_targetILNS1_3genE4ELNS1_11target_archE910ELNS1_3gpuE8ELNS1_3repE0EEENS1_30default_config_static_selectorELNS0_4arch9wavefront6targetE1EEEvT1_, .Lfunc_end3085-_ZN7rocprim17ROCPRIM_400000_NS6detail17trampoline_kernelINS0_14default_configENS1_25partition_config_selectorILNS1_17partition_subalgoE1EtNS0_10empty_typeEbEEZZNS1_14partition_implILS5_1ELb0ES3_jN6thrust23THRUST_200600_302600_NS6detail15normal_iteratorINSA_10device_ptrItEEEEPS6_NSA_18transform_iteratorI7is_evenItESF_NSA_11use_defaultESK_EENS0_5tupleIJNSA_16discard_iteratorISK_EESO_EEENSM_IJSG_SG_EEES6_PlJS6_EEE10hipError_tPvRmT3_T4_T5_T6_T7_T9_mT8_P12ihipStream_tbDpT10_ENKUlT_T0_E_clISt17integral_constantIbLb1EES1A_IbLb0EEEEDaS16_S17_EUlS16_E_NS1_11comp_targetILNS1_3genE4ELNS1_11target_archE910ELNS1_3gpuE8ELNS1_3repE0EEENS1_30default_config_static_selectorELNS0_4arch9wavefront6targetE1EEEvT1_
                                        ; -- End function
	.section	.AMDGPU.csdata,"",@progbits
; Kernel info:
; codeLenInByte = 0
; NumSgprs: 6
; NumVgprs: 0
; NumAgprs: 0
; TotalNumVgprs: 0
; ScratchSize: 0
; MemoryBound: 0
; FloatMode: 240
; IeeeMode: 1
; LDSByteSize: 0 bytes/workgroup (compile time only)
; SGPRBlocks: 0
; VGPRBlocks: 0
; NumSGPRsForWavesPerEU: 6
; NumVGPRsForWavesPerEU: 1
; AccumOffset: 4
; Occupancy: 8
; WaveLimiterHint : 0
; COMPUTE_PGM_RSRC2:SCRATCH_EN: 0
; COMPUTE_PGM_RSRC2:USER_SGPR: 2
; COMPUTE_PGM_RSRC2:TRAP_HANDLER: 0
; COMPUTE_PGM_RSRC2:TGID_X_EN: 1
; COMPUTE_PGM_RSRC2:TGID_Y_EN: 0
; COMPUTE_PGM_RSRC2:TGID_Z_EN: 0
; COMPUTE_PGM_RSRC2:TIDIG_COMP_CNT: 0
; COMPUTE_PGM_RSRC3_GFX90A:ACCUM_OFFSET: 0
; COMPUTE_PGM_RSRC3_GFX90A:TG_SPLIT: 0
	.section	.text._ZN7rocprim17ROCPRIM_400000_NS6detail17trampoline_kernelINS0_14default_configENS1_25partition_config_selectorILNS1_17partition_subalgoE1EtNS0_10empty_typeEbEEZZNS1_14partition_implILS5_1ELb0ES3_jN6thrust23THRUST_200600_302600_NS6detail15normal_iteratorINSA_10device_ptrItEEEEPS6_NSA_18transform_iteratorI7is_evenItESF_NSA_11use_defaultESK_EENS0_5tupleIJNSA_16discard_iteratorISK_EESO_EEENSM_IJSG_SG_EEES6_PlJS6_EEE10hipError_tPvRmT3_T4_T5_T6_T7_T9_mT8_P12ihipStream_tbDpT10_ENKUlT_T0_E_clISt17integral_constantIbLb1EES1A_IbLb0EEEEDaS16_S17_EUlS16_E_NS1_11comp_targetILNS1_3genE3ELNS1_11target_archE908ELNS1_3gpuE7ELNS1_3repE0EEENS1_30default_config_static_selectorELNS0_4arch9wavefront6targetE1EEEvT1_,"axG",@progbits,_ZN7rocprim17ROCPRIM_400000_NS6detail17trampoline_kernelINS0_14default_configENS1_25partition_config_selectorILNS1_17partition_subalgoE1EtNS0_10empty_typeEbEEZZNS1_14partition_implILS5_1ELb0ES3_jN6thrust23THRUST_200600_302600_NS6detail15normal_iteratorINSA_10device_ptrItEEEEPS6_NSA_18transform_iteratorI7is_evenItESF_NSA_11use_defaultESK_EENS0_5tupleIJNSA_16discard_iteratorISK_EESO_EEENSM_IJSG_SG_EEES6_PlJS6_EEE10hipError_tPvRmT3_T4_T5_T6_T7_T9_mT8_P12ihipStream_tbDpT10_ENKUlT_T0_E_clISt17integral_constantIbLb1EES1A_IbLb0EEEEDaS16_S17_EUlS16_E_NS1_11comp_targetILNS1_3genE3ELNS1_11target_archE908ELNS1_3gpuE7ELNS1_3repE0EEENS1_30default_config_static_selectorELNS0_4arch9wavefront6targetE1EEEvT1_,comdat
	.protected	_ZN7rocprim17ROCPRIM_400000_NS6detail17trampoline_kernelINS0_14default_configENS1_25partition_config_selectorILNS1_17partition_subalgoE1EtNS0_10empty_typeEbEEZZNS1_14partition_implILS5_1ELb0ES3_jN6thrust23THRUST_200600_302600_NS6detail15normal_iteratorINSA_10device_ptrItEEEEPS6_NSA_18transform_iteratorI7is_evenItESF_NSA_11use_defaultESK_EENS0_5tupleIJNSA_16discard_iteratorISK_EESO_EEENSM_IJSG_SG_EEES6_PlJS6_EEE10hipError_tPvRmT3_T4_T5_T6_T7_T9_mT8_P12ihipStream_tbDpT10_ENKUlT_T0_E_clISt17integral_constantIbLb1EES1A_IbLb0EEEEDaS16_S17_EUlS16_E_NS1_11comp_targetILNS1_3genE3ELNS1_11target_archE908ELNS1_3gpuE7ELNS1_3repE0EEENS1_30default_config_static_selectorELNS0_4arch9wavefront6targetE1EEEvT1_ ; -- Begin function _ZN7rocprim17ROCPRIM_400000_NS6detail17trampoline_kernelINS0_14default_configENS1_25partition_config_selectorILNS1_17partition_subalgoE1EtNS0_10empty_typeEbEEZZNS1_14partition_implILS5_1ELb0ES3_jN6thrust23THRUST_200600_302600_NS6detail15normal_iteratorINSA_10device_ptrItEEEEPS6_NSA_18transform_iteratorI7is_evenItESF_NSA_11use_defaultESK_EENS0_5tupleIJNSA_16discard_iteratorISK_EESO_EEENSM_IJSG_SG_EEES6_PlJS6_EEE10hipError_tPvRmT3_T4_T5_T6_T7_T9_mT8_P12ihipStream_tbDpT10_ENKUlT_T0_E_clISt17integral_constantIbLb1EES1A_IbLb0EEEEDaS16_S17_EUlS16_E_NS1_11comp_targetILNS1_3genE3ELNS1_11target_archE908ELNS1_3gpuE7ELNS1_3repE0EEENS1_30default_config_static_selectorELNS0_4arch9wavefront6targetE1EEEvT1_
	.globl	_ZN7rocprim17ROCPRIM_400000_NS6detail17trampoline_kernelINS0_14default_configENS1_25partition_config_selectorILNS1_17partition_subalgoE1EtNS0_10empty_typeEbEEZZNS1_14partition_implILS5_1ELb0ES3_jN6thrust23THRUST_200600_302600_NS6detail15normal_iteratorINSA_10device_ptrItEEEEPS6_NSA_18transform_iteratorI7is_evenItESF_NSA_11use_defaultESK_EENS0_5tupleIJNSA_16discard_iteratorISK_EESO_EEENSM_IJSG_SG_EEES6_PlJS6_EEE10hipError_tPvRmT3_T4_T5_T6_T7_T9_mT8_P12ihipStream_tbDpT10_ENKUlT_T0_E_clISt17integral_constantIbLb1EES1A_IbLb0EEEEDaS16_S17_EUlS16_E_NS1_11comp_targetILNS1_3genE3ELNS1_11target_archE908ELNS1_3gpuE7ELNS1_3repE0EEENS1_30default_config_static_selectorELNS0_4arch9wavefront6targetE1EEEvT1_
	.p2align	8
	.type	_ZN7rocprim17ROCPRIM_400000_NS6detail17trampoline_kernelINS0_14default_configENS1_25partition_config_selectorILNS1_17partition_subalgoE1EtNS0_10empty_typeEbEEZZNS1_14partition_implILS5_1ELb0ES3_jN6thrust23THRUST_200600_302600_NS6detail15normal_iteratorINSA_10device_ptrItEEEEPS6_NSA_18transform_iteratorI7is_evenItESF_NSA_11use_defaultESK_EENS0_5tupleIJNSA_16discard_iteratorISK_EESO_EEENSM_IJSG_SG_EEES6_PlJS6_EEE10hipError_tPvRmT3_T4_T5_T6_T7_T9_mT8_P12ihipStream_tbDpT10_ENKUlT_T0_E_clISt17integral_constantIbLb1EES1A_IbLb0EEEEDaS16_S17_EUlS16_E_NS1_11comp_targetILNS1_3genE3ELNS1_11target_archE908ELNS1_3gpuE7ELNS1_3repE0EEENS1_30default_config_static_selectorELNS0_4arch9wavefront6targetE1EEEvT1_,@function
_ZN7rocprim17ROCPRIM_400000_NS6detail17trampoline_kernelINS0_14default_configENS1_25partition_config_selectorILNS1_17partition_subalgoE1EtNS0_10empty_typeEbEEZZNS1_14partition_implILS5_1ELb0ES3_jN6thrust23THRUST_200600_302600_NS6detail15normal_iteratorINSA_10device_ptrItEEEEPS6_NSA_18transform_iteratorI7is_evenItESF_NSA_11use_defaultESK_EENS0_5tupleIJNSA_16discard_iteratorISK_EESO_EEENSM_IJSG_SG_EEES6_PlJS6_EEE10hipError_tPvRmT3_T4_T5_T6_T7_T9_mT8_P12ihipStream_tbDpT10_ENKUlT_T0_E_clISt17integral_constantIbLb1EES1A_IbLb0EEEEDaS16_S17_EUlS16_E_NS1_11comp_targetILNS1_3genE3ELNS1_11target_archE908ELNS1_3gpuE7ELNS1_3repE0EEENS1_30default_config_static_selectorELNS0_4arch9wavefront6targetE1EEEvT1_: ; @_ZN7rocprim17ROCPRIM_400000_NS6detail17trampoline_kernelINS0_14default_configENS1_25partition_config_selectorILNS1_17partition_subalgoE1EtNS0_10empty_typeEbEEZZNS1_14partition_implILS5_1ELb0ES3_jN6thrust23THRUST_200600_302600_NS6detail15normal_iteratorINSA_10device_ptrItEEEEPS6_NSA_18transform_iteratorI7is_evenItESF_NSA_11use_defaultESK_EENS0_5tupleIJNSA_16discard_iteratorISK_EESO_EEENSM_IJSG_SG_EEES6_PlJS6_EEE10hipError_tPvRmT3_T4_T5_T6_T7_T9_mT8_P12ihipStream_tbDpT10_ENKUlT_T0_E_clISt17integral_constantIbLb1EES1A_IbLb0EEEEDaS16_S17_EUlS16_E_NS1_11comp_targetILNS1_3genE3ELNS1_11target_archE908ELNS1_3gpuE7ELNS1_3repE0EEENS1_30default_config_static_selectorELNS0_4arch9wavefront6targetE1EEEvT1_
; %bb.0:
	.section	.rodata,"a",@progbits
	.p2align	6, 0x0
	.amdhsa_kernel _ZN7rocprim17ROCPRIM_400000_NS6detail17trampoline_kernelINS0_14default_configENS1_25partition_config_selectorILNS1_17partition_subalgoE1EtNS0_10empty_typeEbEEZZNS1_14partition_implILS5_1ELb0ES3_jN6thrust23THRUST_200600_302600_NS6detail15normal_iteratorINSA_10device_ptrItEEEEPS6_NSA_18transform_iteratorI7is_evenItESF_NSA_11use_defaultESK_EENS0_5tupleIJNSA_16discard_iteratorISK_EESO_EEENSM_IJSG_SG_EEES6_PlJS6_EEE10hipError_tPvRmT3_T4_T5_T6_T7_T9_mT8_P12ihipStream_tbDpT10_ENKUlT_T0_E_clISt17integral_constantIbLb1EES1A_IbLb0EEEEDaS16_S17_EUlS16_E_NS1_11comp_targetILNS1_3genE3ELNS1_11target_archE908ELNS1_3gpuE7ELNS1_3repE0EEENS1_30default_config_static_selectorELNS0_4arch9wavefront6targetE1EEEvT1_
		.amdhsa_group_segment_fixed_size 0
		.amdhsa_private_segment_fixed_size 0
		.amdhsa_kernarg_size 144
		.amdhsa_user_sgpr_count 2
		.amdhsa_user_sgpr_dispatch_ptr 0
		.amdhsa_user_sgpr_queue_ptr 0
		.amdhsa_user_sgpr_kernarg_segment_ptr 1
		.amdhsa_user_sgpr_dispatch_id 0
		.amdhsa_user_sgpr_kernarg_preload_length 0
		.amdhsa_user_sgpr_kernarg_preload_offset 0
		.amdhsa_user_sgpr_private_segment_size 0
		.amdhsa_uses_dynamic_stack 0
		.amdhsa_enable_private_segment 0
		.amdhsa_system_sgpr_workgroup_id_x 1
		.amdhsa_system_sgpr_workgroup_id_y 0
		.amdhsa_system_sgpr_workgroup_id_z 0
		.amdhsa_system_sgpr_workgroup_info 0
		.amdhsa_system_vgpr_workitem_id 0
		.amdhsa_next_free_vgpr 1
		.amdhsa_next_free_sgpr 0
		.amdhsa_accum_offset 4
		.amdhsa_reserve_vcc 0
		.amdhsa_float_round_mode_32 0
		.amdhsa_float_round_mode_16_64 0
		.amdhsa_float_denorm_mode_32 3
		.amdhsa_float_denorm_mode_16_64 3
		.amdhsa_dx10_clamp 1
		.amdhsa_ieee_mode 1
		.amdhsa_fp16_overflow 0
		.amdhsa_tg_split 0
		.amdhsa_exception_fp_ieee_invalid_op 0
		.amdhsa_exception_fp_denorm_src 0
		.amdhsa_exception_fp_ieee_div_zero 0
		.amdhsa_exception_fp_ieee_overflow 0
		.amdhsa_exception_fp_ieee_underflow 0
		.amdhsa_exception_fp_ieee_inexact 0
		.amdhsa_exception_int_div_zero 0
	.end_amdhsa_kernel
	.section	.text._ZN7rocprim17ROCPRIM_400000_NS6detail17trampoline_kernelINS0_14default_configENS1_25partition_config_selectorILNS1_17partition_subalgoE1EtNS0_10empty_typeEbEEZZNS1_14partition_implILS5_1ELb0ES3_jN6thrust23THRUST_200600_302600_NS6detail15normal_iteratorINSA_10device_ptrItEEEEPS6_NSA_18transform_iteratorI7is_evenItESF_NSA_11use_defaultESK_EENS0_5tupleIJNSA_16discard_iteratorISK_EESO_EEENSM_IJSG_SG_EEES6_PlJS6_EEE10hipError_tPvRmT3_T4_T5_T6_T7_T9_mT8_P12ihipStream_tbDpT10_ENKUlT_T0_E_clISt17integral_constantIbLb1EES1A_IbLb0EEEEDaS16_S17_EUlS16_E_NS1_11comp_targetILNS1_3genE3ELNS1_11target_archE908ELNS1_3gpuE7ELNS1_3repE0EEENS1_30default_config_static_selectorELNS0_4arch9wavefront6targetE1EEEvT1_,"axG",@progbits,_ZN7rocprim17ROCPRIM_400000_NS6detail17trampoline_kernelINS0_14default_configENS1_25partition_config_selectorILNS1_17partition_subalgoE1EtNS0_10empty_typeEbEEZZNS1_14partition_implILS5_1ELb0ES3_jN6thrust23THRUST_200600_302600_NS6detail15normal_iteratorINSA_10device_ptrItEEEEPS6_NSA_18transform_iteratorI7is_evenItESF_NSA_11use_defaultESK_EENS0_5tupleIJNSA_16discard_iteratorISK_EESO_EEENSM_IJSG_SG_EEES6_PlJS6_EEE10hipError_tPvRmT3_T4_T5_T6_T7_T9_mT8_P12ihipStream_tbDpT10_ENKUlT_T0_E_clISt17integral_constantIbLb1EES1A_IbLb0EEEEDaS16_S17_EUlS16_E_NS1_11comp_targetILNS1_3genE3ELNS1_11target_archE908ELNS1_3gpuE7ELNS1_3repE0EEENS1_30default_config_static_selectorELNS0_4arch9wavefront6targetE1EEEvT1_,comdat
.Lfunc_end3086:
	.size	_ZN7rocprim17ROCPRIM_400000_NS6detail17trampoline_kernelINS0_14default_configENS1_25partition_config_selectorILNS1_17partition_subalgoE1EtNS0_10empty_typeEbEEZZNS1_14partition_implILS5_1ELb0ES3_jN6thrust23THRUST_200600_302600_NS6detail15normal_iteratorINSA_10device_ptrItEEEEPS6_NSA_18transform_iteratorI7is_evenItESF_NSA_11use_defaultESK_EENS0_5tupleIJNSA_16discard_iteratorISK_EESO_EEENSM_IJSG_SG_EEES6_PlJS6_EEE10hipError_tPvRmT3_T4_T5_T6_T7_T9_mT8_P12ihipStream_tbDpT10_ENKUlT_T0_E_clISt17integral_constantIbLb1EES1A_IbLb0EEEEDaS16_S17_EUlS16_E_NS1_11comp_targetILNS1_3genE3ELNS1_11target_archE908ELNS1_3gpuE7ELNS1_3repE0EEENS1_30default_config_static_selectorELNS0_4arch9wavefront6targetE1EEEvT1_, .Lfunc_end3086-_ZN7rocprim17ROCPRIM_400000_NS6detail17trampoline_kernelINS0_14default_configENS1_25partition_config_selectorILNS1_17partition_subalgoE1EtNS0_10empty_typeEbEEZZNS1_14partition_implILS5_1ELb0ES3_jN6thrust23THRUST_200600_302600_NS6detail15normal_iteratorINSA_10device_ptrItEEEEPS6_NSA_18transform_iteratorI7is_evenItESF_NSA_11use_defaultESK_EENS0_5tupleIJNSA_16discard_iteratorISK_EESO_EEENSM_IJSG_SG_EEES6_PlJS6_EEE10hipError_tPvRmT3_T4_T5_T6_T7_T9_mT8_P12ihipStream_tbDpT10_ENKUlT_T0_E_clISt17integral_constantIbLb1EES1A_IbLb0EEEEDaS16_S17_EUlS16_E_NS1_11comp_targetILNS1_3genE3ELNS1_11target_archE908ELNS1_3gpuE7ELNS1_3repE0EEENS1_30default_config_static_selectorELNS0_4arch9wavefront6targetE1EEEvT1_
                                        ; -- End function
	.section	.AMDGPU.csdata,"",@progbits
; Kernel info:
; codeLenInByte = 0
; NumSgprs: 6
; NumVgprs: 0
; NumAgprs: 0
; TotalNumVgprs: 0
; ScratchSize: 0
; MemoryBound: 0
; FloatMode: 240
; IeeeMode: 1
; LDSByteSize: 0 bytes/workgroup (compile time only)
; SGPRBlocks: 0
; VGPRBlocks: 0
; NumSGPRsForWavesPerEU: 6
; NumVGPRsForWavesPerEU: 1
; AccumOffset: 4
; Occupancy: 8
; WaveLimiterHint : 0
; COMPUTE_PGM_RSRC2:SCRATCH_EN: 0
; COMPUTE_PGM_RSRC2:USER_SGPR: 2
; COMPUTE_PGM_RSRC2:TRAP_HANDLER: 0
; COMPUTE_PGM_RSRC2:TGID_X_EN: 1
; COMPUTE_PGM_RSRC2:TGID_Y_EN: 0
; COMPUTE_PGM_RSRC2:TGID_Z_EN: 0
; COMPUTE_PGM_RSRC2:TIDIG_COMP_CNT: 0
; COMPUTE_PGM_RSRC3_GFX90A:ACCUM_OFFSET: 0
; COMPUTE_PGM_RSRC3_GFX90A:TG_SPLIT: 0
	.section	.text._ZN7rocprim17ROCPRIM_400000_NS6detail17trampoline_kernelINS0_14default_configENS1_25partition_config_selectorILNS1_17partition_subalgoE1EtNS0_10empty_typeEbEEZZNS1_14partition_implILS5_1ELb0ES3_jN6thrust23THRUST_200600_302600_NS6detail15normal_iteratorINSA_10device_ptrItEEEEPS6_NSA_18transform_iteratorI7is_evenItESF_NSA_11use_defaultESK_EENS0_5tupleIJNSA_16discard_iteratorISK_EESO_EEENSM_IJSG_SG_EEES6_PlJS6_EEE10hipError_tPvRmT3_T4_T5_T6_T7_T9_mT8_P12ihipStream_tbDpT10_ENKUlT_T0_E_clISt17integral_constantIbLb1EES1A_IbLb0EEEEDaS16_S17_EUlS16_E_NS1_11comp_targetILNS1_3genE2ELNS1_11target_archE906ELNS1_3gpuE6ELNS1_3repE0EEENS1_30default_config_static_selectorELNS0_4arch9wavefront6targetE1EEEvT1_,"axG",@progbits,_ZN7rocprim17ROCPRIM_400000_NS6detail17trampoline_kernelINS0_14default_configENS1_25partition_config_selectorILNS1_17partition_subalgoE1EtNS0_10empty_typeEbEEZZNS1_14partition_implILS5_1ELb0ES3_jN6thrust23THRUST_200600_302600_NS6detail15normal_iteratorINSA_10device_ptrItEEEEPS6_NSA_18transform_iteratorI7is_evenItESF_NSA_11use_defaultESK_EENS0_5tupleIJNSA_16discard_iteratorISK_EESO_EEENSM_IJSG_SG_EEES6_PlJS6_EEE10hipError_tPvRmT3_T4_T5_T6_T7_T9_mT8_P12ihipStream_tbDpT10_ENKUlT_T0_E_clISt17integral_constantIbLb1EES1A_IbLb0EEEEDaS16_S17_EUlS16_E_NS1_11comp_targetILNS1_3genE2ELNS1_11target_archE906ELNS1_3gpuE6ELNS1_3repE0EEENS1_30default_config_static_selectorELNS0_4arch9wavefront6targetE1EEEvT1_,comdat
	.protected	_ZN7rocprim17ROCPRIM_400000_NS6detail17trampoline_kernelINS0_14default_configENS1_25partition_config_selectorILNS1_17partition_subalgoE1EtNS0_10empty_typeEbEEZZNS1_14partition_implILS5_1ELb0ES3_jN6thrust23THRUST_200600_302600_NS6detail15normal_iteratorINSA_10device_ptrItEEEEPS6_NSA_18transform_iteratorI7is_evenItESF_NSA_11use_defaultESK_EENS0_5tupleIJNSA_16discard_iteratorISK_EESO_EEENSM_IJSG_SG_EEES6_PlJS6_EEE10hipError_tPvRmT3_T4_T5_T6_T7_T9_mT8_P12ihipStream_tbDpT10_ENKUlT_T0_E_clISt17integral_constantIbLb1EES1A_IbLb0EEEEDaS16_S17_EUlS16_E_NS1_11comp_targetILNS1_3genE2ELNS1_11target_archE906ELNS1_3gpuE6ELNS1_3repE0EEENS1_30default_config_static_selectorELNS0_4arch9wavefront6targetE1EEEvT1_ ; -- Begin function _ZN7rocprim17ROCPRIM_400000_NS6detail17trampoline_kernelINS0_14default_configENS1_25partition_config_selectorILNS1_17partition_subalgoE1EtNS0_10empty_typeEbEEZZNS1_14partition_implILS5_1ELb0ES3_jN6thrust23THRUST_200600_302600_NS6detail15normal_iteratorINSA_10device_ptrItEEEEPS6_NSA_18transform_iteratorI7is_evenItESF_NSA_11use_defaultESK_EENS0_5tupleIJNSA_16discard_iteratorISK_EESO_EEENSM_IJSG_SG_EEES6_PlJS6_EEE10hipError_tPvRmT3_T4_T5_T6_T7_T9_mT8_P12ihipStream_tbDpT10_ENKUlT_T0_E_clISt17integral_constantIbLb1EES1A_IbLb0EEEEDaS16_S17_EUlS16_E_NS1_11comp_targetILNS1_3genE2ELNS1_11target_archE906ELNS1_3gpuE6ELNS1_3repE0EEENS1_30default_config_static_selectorELNS0_4arch9wavefront6targetE1EEEvT1_
	.globl	_ZN7rocprim17ROCPRIM_400000_NS6detail17trampoline_kernelINS0_14default_configENS1_25partition_config_selectorILNS1_17partition_subalgoE1EtNS0_10empty_typeEbEEZZNS1_14partition_implILS5_1ELb0ES3_jN6thrust23THRUST_200600_302600_NS6detail15normal_iteratorINSA_10device_ptrItEEEEPS6_NSA_18transform_iteratorI7is_evenItESF_NSA_11use_defaultESK_EENS0_5tupleIJNSA_16discard_iteratorISK_EESO_EEENSM_IJSG_SG_EEES6_PlJS6_EEE10hipError_tPvRmT3_T4_T5_T6_T7_T9_mT8_P12ihipStream_tbDpT10_ENKUlT_T0_E_clISt17integral_constantIbLb1EES1A_IbLb0EEEEDaS16_S17_EUlS16_E_NS1_11comp_targetILNS1_3genE2ELNS1_11target_archE906ELNS1_3gpuE6ELNS1_3repE0EEENS1_30default_config_static_selectorELNS0_4arch9wavefront6targetE1EEEvT1_
	.p2align	8
	.type	_ZN7rocprim17ROCPRIM_400000_NS6detail17trampoline_kernelINS0_14default_configENS1_25partition_config_selectorILNS1_17partition_subalgoE1EtNS0_10empty_typeEbEEZZNS1_14partition_implILS5_1ELb0ES3_jN6thrust23THRUST_200600_302600_NS6detail15normal_iteratorINSA_10device_ptrItEEEEPS6_NSA_18transform_iteratorI7is_evenItESF_NSA_11use_defaultESK_EENS0_5tupleIJNSA_16discard_iteratorISK_EESO_EEENSM_IJSG_SG_EEES6_PlJS6_EEE10hipError_tPvRmT3_T4_T5_T6_T7_T9_mT8_P12ihipStream_tbDpT10_ENKUlT_T0_E_clISt17integral_constantIbLb1EES1A_IbLb0EEEEDaS16_S17_EUlS16_E_NS1_11comp_targetILNS1_3genE2ELNS1_11target_archE906ELNS1_3gpuE6ELNS1_3repE0EEENS1_30default_config_static_selectorELNS0_4arch9wavefront6targetE1EEEvT1_,@function
_ZN7rocprim17ROCPRIM_400000_NS6detail17trampoline_kernelINS0_14default_configENS1_25partition_config_selectorILNS1_17partition_subalgoE1EtNS0_10empty_typeEbEEZZNS1_14partition_implILS5_1ELb0ES3_jN6thrust23THRUST_200600_302600_NS6detail15normal_iteratorINSA_10device_ptrItEEEEPS6_NSA_18transform_iteratorI7is_evenItESF_NSA_11use_defaultESK_EENS0_5tupleIJNSA_16discard_iteratorISK_EESO_EEENSM_IJSG_SG_EEES6_PlJS6_EEE10hipError_tPvRmT3_T4_T5_T6_T7_T9_mT8_P12ihipStream_tbDpT10_ENKUlT_T0_E_clISt17integral_constantIbLb1EES1A_IbLb0EEEEDaS16_S17_EUlS16_E_NS1_11comp_targetILNS1_3genE2ELNS1_11target_archE906ELNS1_3gpuE6ELNS1_3repE0EEENS1_30default_config_static_selectorELNS0_4arch9wavefront6targetE1EEEvT1_: ; @_ZN7rocprim17ROCPRIM_400000_NS6detail17trampoline_kernelINS0_14default_configENS1_25partition_config_selectorILNS1_17partition_subalgoE1EtNS0_10empty_typeEbEEZZNS1_14partition_implILS5_1ELb0ES3_jN6thrust23THRUST_200600_302600_NS6detail15normal_iteratorINSA_10device_ptrItEEEEPS6_NSA_18transform_iteratorI7is_evenItESF_NSA_11use_defaultESK_EENS0_5tupleIJNSA_16discard_iteratorISK_EESO_EEENSM_IJSG_SG_EEES6_PlJS6_EEE10hipError_tPvRmT3_T4_T5_T6_T7_T9_mT8_P12ihipStream_tbDpT10_ENKUlT_T0_E_clISt17integral_constantIbLb1EES1A_IbLb0EEEEDaS16_S17_EUlS16_E_NS1_11comp_targetILNS1_3genE2ELNS1_11target_archE906ELNS1_3gpuE6ELNS1_3repE0EEENS1_30default_config_static_selectorELNS0_4arch9wavefront6targetE1EEEvT1_
; %bb.0:
	.section	.rodata,"a",@progbits
	.p2align	6, 0x0
	.amdhsa_kernel _ZN7rocprim17ROCPRIM_400000_NS6detail17trampoline_kernelINS0_14default_configENS1_25partition_config_selectorILNS1_17partition_subalgoE1EtNS0_10empty_typeEbEEZZNS1_14partition_implILS5_1ELb0ES3_jN6thrust23THRUST_200600_302600_NS6detail15normal_iteratorINSA_10device_ptrItEEEEPS6_NSA_18transform_iteratorI7is_evenItESF_NSA_11use_defaultESK_EENS0_5tupleIJNSA_16discard_iteratorISK_EESO_EEENSM_IJSG_SG_EEES6_PlJS6_EEE10hipError_tPvRmT3_T4_T5_T6_T7_T9_mT8_P12ihipStream_tbDpT10_ENKUlT_T0_E_clISt17integral_constantIbLb1EES1A_IbLb0EEEEDaS16_S17_EUlS16_E_NS1_11comp_targetILNS1_3genE2ELNS1_11target_archE906ELNS1_3gpuE6ELNS1_3repE0EEENS1_30default_config_static_selectorELNS0_4arch9wavefront6targetE1EEEvT1_
		.amdhsa_group_segment_fixed_size 0
		.amdhsa_private_segment_fixed_size 0
		.amdhsa_kernarg_size 144
		.amdhsa_user_sgpr_count 2
		.amdhsa_user_sgpr_dispatch_ptr 0
		.amdhsa_user_sgpr_queue_ptr 0
		.amdhsa_user_sgpr_kernarg_segment_ptr 1
		.amdhsa_user_sgpr_dispatch_id 0
		.amdhsa_user_sgpr_kernarg_preload_length 0
		.amdhsa_user_sgpr_kernarg_preload_offset 0
		.amdhsa_user_sgpr_private_segment_size 0
		.amdhsa_uses_dynamic_stack 0
		.amdhsa_enable_private_segment 0
		.amdhsa_system_sgpr_workgroup_id_x 1
		.amdhsa_system_sgpr_workgroup_id_y 0
		.amdhsa_system_sgpr_workgroup_id_z 0
		.amdhsa_system_sgpr_workgroup_info 0
		.amdhsa_system_vgpr_workitem_id 0
		.amdhsa_next_free_vgpr 1
		.amdhsa_next_free_sgpr 0
		.amdhsa_accum_offset 4
		.amdhsa_reserve_vcc 0
		.amdhsa_float_round_mode_32 0
		.amdhsa_float_round_mode_16_64 0
		.amdhsa_float_denorm_mode_32 3
		.amdhsa_float_denorm_mode_16_64 3
		.amdhsa_dx10_clamp 1
		.amdhsa_ieee_mode 1
		.amdhsa_fp16_overflow 0
		.amdhsa_tg_split 0
		.amdhsa_exception_fp_ieee_invalid_op 0
		.amdhsa_exception_fp_denorm_src 0
		.amdhsa_exception_fp_ieee_div_zero 0
		.amdhsa_exception_fp_ieee_overflow 0
		.amdhsa_exception_fp_ieee_underflow 0
		.amdhsa_exception_fp_ieee_inexact 0
		.amdhsa_exception_int_div_zero 0
	.end_amdhsa_kernel
	.section	.text._ZN7rocprim17ROCPRIM_400000_NS6detail17trampoline_kernelINS0_14default_configENS1_25partition_config_selectorILNS1_17partition_subalgoE1EtNS0_10empty_typeEbEEZZNS1_14partition_implILS5_1ELb0ES3_jN6thrust23THRUST_200600_302600_NS6detail15normal_iteratorINSA_10device_ptrItEEEEPS6_NSA_18transform_iteratorI7is_evenItESF_NSA_11use_defaultESK_EENS0_5tupleIJNSA_16discard_iteratorISK_EESO_EEENSM_IJSG_SG_EEES6_PlJS6_EEE10hipError_tPvRmT3_T4_T5_T6_T7_T9_mT8_P12ihipStream_tbDpT10_ENKUlT_T0_E_clISt17integral_constantIbLb1EES1A_IbLb0EEEEDaS16_S17_EUlS16_E_NS1_11comp_targetILNS1_3genE2ELNS1_11target_archE906ELNS1_3gpuE6ELNS1_3repE0EEENS1_30default_config_static_selectorELNS0_4arch9wavefront6targetE1EEEvT1_,"axG",@progbits,_ZN7rocprim17ROCPRIM_400000_NS6detail17trampoline_kernelINS0_14default_configENS1_25partition_config_selectorILNS1_17partition_subalgoE1EtNS0_10empty_typeEbEEZZNS1_14partition_implILS5_1ELb0ES3_jN6thrust23THRUST_200600_302600_NS6detail15normal_iteratorINSA_10device_ptrItEEEEPS6_NSA_18transform_iteratorI7is_evenItESF_NSA_11use_defaultESK_EENS0_5tupleIJNSA_16discard_iteratorISK_EESO_EEENSM_IJSG_SG_EEES6_PlJS6_EEE10hipError_tPvRmT3_T4_T5_T6_T7_T9_mT8_P12ihipStream_tbDpT10_ENKUlT_T0_E_clISt17integral_constantIbLb1EES1A_IbLb0EEEEDaS16_S17_EUlS16_E_NS1_11comp_targetILNS1_3genE2ELNS1_11target_archE906ELNS1_3gpuE6ELNS1_3repE0EEENS1_30default_config_static_selectorELNS0_4arch9wavefront6targetE1EEEvT1_,comdat
.Lfunc_end3087:
	.size	_ZN7rocprim17ROCPRIM_400000_NS6detail17trampoline_kernelINS0_14default_configENS1_25partition_config_selectorILNS1_17partition_subalgoE1EtNS0_10empty_typeEbEEZZNS1_14partition_implILS5_1ELb0ES3_jN6thrust23THRUST_200600_302600_NS6detail15normal_iteratorINSA_10device_ptrItEEEEPS6_NSA_18transform_iteratorI7is_evenItESF_NSA_11use_defaultESK_EENS0_5tupleIJNSA_16discard_iteratorISK_EESO_EEENSM_IJSG_SG_EEES6_PlJS6_EEE10hipError_tPvRmT3_T4_T5_T6_T7_T9_mT8_P12ihipStream_tbDpT10_ENKUlT_T0_E_clISt17integral_constantIbLb1EES1A_IbLb0EEEEDaS16_S17_EUlS16_E_NS1_11comp_targetILNS1_3genE2ELNS1_11target_archE906ELNS1_3gpuE6ELNS1_3repE0EEENS1_30default_config_static_selectorELNS0_4arch9wavefront6targetE1EEEvT1_, .Lfunc_end3087-_ZN7rocprim17ROCPRIM_400000_NS6detail17trampoline_kernelINS0_14default_configENS1_25partition_config_selectorILNS1_17partition_subalgoE1EtNS0_10empty_typeEbEEZZNS1_14partition_implILS5_1ELb0ES3_jN6thrust23THRUST_200600_302600_NS6detail15normal_iteratorINSA_10device_ptrItEEEEPS6_NSA_18transform_iteratorI7is_evenItESF_NSA_11use_defaultESK_EENS0_5tupleIJNSA_16discard_iteratorISK_EESO_EEENSM_IJSG_SG_EEES6_PlJS6_EEE10hipError_tPvRmT3_T4_T5_T6_T7_T9_mT8_P12ihipStream_tbDpT10_ENKUlT_T0_E_clISt17integral_constantIbLb1EES1A_IbLb0EEEEDaS16_S17_EUlS16_E_NS1_11comp_targetILNS1_3genE2ELNS1_11target_archE906ELNS1_3gpuE6ELNS1_3repE0EEENS1_30default_config_static_selectorELNS0_4arch9wavefront6targetE1EEEvT1_
                                        ; -- End function
	.section	.AMDGPU.csdata,"",@progbits
; Kernel info:
; codeLenInByte = 0
; NumSgprs: 6
; NumVgprs: 0
; NumAgprs: 0
; TotalNumVgprs: 0
; ScratchSize: 0
; MemoryBound: 0
; FloatMode: 240
; IeeeMode: 1
; LDSByteSize: 0 bytes/workgroup (compile time only)
; SGPRBlocks: 0
; VGPRBlocks: 0
; NumSGPRsForWavesPerEU: 6
; NumVGPRsForWavesPerEU: 1
; AccumOffset: 4
; Occupancy: 8
; WaveLimiterHint : 0
; COMPUTE_PGM_RSRC2:SCRATCH_EN: 0
; COMPUTE_PGM_RSRC2:USER_SGPR: 2
; COMPUTE_PGM_RSRC2:TRAP_HANDLER: 0
; COMPUTE_PGM_RSRC2:TGID_X_EN: 1
; COMPUTE_PGM_RSRC2:TGID_Y_EN: 0
; COMPUTE_PGM_RSRC2:TGID_Z_EN: 0
; COMPUTE_PGM_RSRC2:TIDIG_COMP_CNT: 0
; COMPUTE_PGM_RSRC3_GFX90A:ACCUM_OFFSET: 0
; COMPUTE_PGM_RSRC3_GFX90A:TG_SPLIT: 0
	.section	.text._ZN7rocprim17ROCPRIM_400000_NS6detail17trampoline_kernelINS0_14default_configENS1_25partition_config_selectorILNS1_17partition_subalgoE1EtNS0_10empty_typeEbEEZZNS1_14partition_implILS5_1ELb0ES3_jN6thrust23THRUST_200600_302600_NS6detail15normal_iteratorINSA_10device_ptrItEEEEPS6_NSA_18transform_iteratorI7is_evenItESF_NSA_11use_defaultESK_EENS0_5tupleIJNSA_16discard_iteratorISK_EESO_EEENSM_IJSG_SG_EEES6_PlJS6_EEE10hipError_tPvRmT3_T4_T5_T6_T7_T9_mT8_P12ihipStream_tbDpT10_ENKUlT_T0_E_clISt17integral_constantIbLb1EES1A_IbLb0EEEEDaS16_S17_EUlS16_E_NS1_11comp_targetILNS1_3genE10ELNS1_11target_archE1200ELNS1_3gpuE4ELNS1_3repE0EEENS1_30default_config_static_selectorELNS0_4arch9wavefront6targetE1EEEvT1_,"axG",@progbits,_ZN7rocprim17ROCPRIM_400000_NS6detail17trampoline_kernelINS0_14default_configENS1_25partition_config_selectorILNS1_17partition_subalgoE1EtNS0_10empty_typeEbEEZZNS1_14partition_implILS5_1ELb0ES3_jN6thrust23THRUST_200600_302600_NS6detail15normal_iteratorINSA_10device_ptrItEEEEPS6_NSA_18transform_iteratorI7is_evenItESF_NSA_11use_defaultESK_EENS0_5tupleIJNSA_16discard_iteratorISK_EESO_EEENSM_IJSG_SG_EEES6_PlJS6_EEE10hipError_tPvRmT3_T4_T5_T6_T7_T9_mT8_P12ihipStream_tbDpT10_ENKUlT_T0_E_clISt17integral_constantIbLb1EES1A_IbLb0EEEEDaS16_S17_EUlS16_E_NS1_11comp_targetILNS1_3genE10ELNS1_11target_archE1200ELNS1_3gpuE4ELNS1_3repE0EEENS1_30default_config_static_selectorELNS0_4arch9wavefront6targetE1EEEvT1_,comdat
	.protected	_ZN7rocprim17ROCPRIM_400000_NS6detail17trampoline_kernelINS0_14default_configENS1_25partition_config_selectorILNS1_17partition_subalgoE1EtNS0_10empty_typeEbEEZZNS1_14partition_implILS5_1ELb0ES3_jN6thrust23THRUST_200600_302600_NS6detail15normal_iteratorINSA_10device_ptrItEEEEPS6_NSA_18transform_iteratorI7is_evenItESF_NSA_11use_defaultESK_EENS0_5tupleIJNSA_16discard_iteratorISK_EESO_EEENSM_IJSG_SG_EEES6_PlJS6_EEE10hipError_tPvRmT3_T4_T5_T6_T7_T9_mT8_P12ihipStream_tbDpT10_ENKUlT_T0_E_clISt17integral_constantIbLb1EES1A_IbLb0EEEEDaS16_S17_EUlS16_E_NS1_11comp_targetILNS1_3genE10ELNS1_11target_archE1200ELNS1_3gpuE4ELNS1_3repE0EEENS1_30default_config_static_selectorELNS0_4arch9wavefront6targetE1EEEvT1_ ; -- Begin function _ZN7rocprim17ROCPRIM_400000_NS6detail17trampoline_kernelINS0_14default_configENS1_25partition_config_selectorILNS1_17partition_subalgoE1EtNS0_10empty_typeEbEEZZNS1_14partition_implILS5_1ELb0ES3_jN6thrust23THRUST_200600_302600_NS6detail15normal_iteratorINSA_10device_ptrItEEEEPS6_NSA_18transform_iteratorI7is_evenItESF_NSA_11use_defaultESK_EENS0_5tupleIJNSA_16discard_iteratorISK_EESO_EEENSM_IJSG_SG_EEES6_PlJS6_EEE10hipError_tPvRmT3_T4_T5_T6_T7_T9_mT8_P12ihipStream_tbDpT10_ENKUlT_T0_E_clISt17integral_constantIbLb1EES1A_IbLb0EEEEDaS16_S17_EUlS16_E_NS1_11comp_targetILNS1_3genE10ELNS1_11target_archE1200ELNS1_3gpuE4ELNS1_3repE0EEENS1_30default_config_static_selectorELNS0_4arch9wavefront6targetE1EEEvT1_
	.globl	_ZN7rocprim17ROCPRIM_400000_NS6detail17trampoline_kernelINS0_14default_configENS1_25partition_config_selectorILNS1_17partition_subalgoE1EtNS0_10empty_typeEbEEZZNS1_14partition_implILS5_1ELb0ES3_jN6thrust23THRUST_200600_302600_NS6detail15normal_iteratorINSA_10device_ptrItEEEEPS6_NSA_18transform_iteratorI7is_evenItESF_NSA_11use_defaultESK_EENS0_5tupleIJNSA_16discard_iteratorISK_EESO_EEENSM_IJSG_SG_EEES6_PlJS6_EEE10hipError_tPvRmT3_T4_T5_T6_T7_T9_mT8_P12ihipStream_tbDpT10_ENKUlT_T0_E_clISt17integral_constantIbLb1EES1A_IbLb0EEEEDaS16_S17_EUlS16_E_NS1_11comp_targetILNS1_3genE10ELNS1_11target_archE1200ELNS1_3gpuE4ELNS1_3repE0EEENS1_30default_config_static_selectorELNS0_4arch9wavefront6targetE1EEEvT1_
	.p2align	8
	.type	_ZN7rocprim17ROCPRIM_400000_NS6detail17trampoline_kernelINS0_14default_configENS1_25partition_config_selectorILNS1_17partition_subalgoE1EtNS0_10empty_typeEbEEZZNS1_14partition_implILS5_1ELb0ES3_jN6thrust23THRUST_200600_302600_NS6detail15normal_iteratorINSA_10device_ptrItEEEEPS6_NSA_18transform_iteratorI7is_evenItESF_NSA_11use_defaultESK_EENS0_5tupleIJNSA_16discard_iteratorISK_EESO_EEENSM_IJSG_SG_EEES6_PlJS6_EEE10hipError_tPvRmT3_T4_T5_T6_T7_T9_mT8_P12ihipStream_tbDpT10_ENKUlT_T0_E_clISt17integral_constantIbLb1EES1A_IbLb0EEEEDaS16_S17_EUlS16_E_NS1_11comp_targetILNS1_3genE10ELNS1_11target_archE1200ELNS1_3gpuE4ELNS1_3repE0EEENS1_30default_config_static_selectorELNS0_4arch9wavefront6targetE1EEEvT1_,@function
_ZN7rocprim17ROCPRIM_400000_NS6detail17trampoline_kernelINS0_14default_configENS1_25partition_config_selectorILNS1_17partition_subalgoE1EtNS0_10empty_typeEbEEZZNS1_14partition_implILS5_1ELb0ES3_jN6thrust23THRUST_200600_302600_NS6detail15normal_iteratorINSA_10device_ptrItEEEEPS6_NSA_18transform_iteratorI7is_evenItESF_NSA_11use_defaultESK_EENS0_5tupleIJNSA_16discard_iteratorISK_EESO_EEENSM_IJSG_SG_EEES6_PlJS6_EEE10hipError_tPvRmT3_T4_T5_T6_T7_T9_mT8_P12ihipStream_tbDpT10_ENKUlT_T0_E_clISt17integral_constantIbLb1EES1A_IbLb0EEEEDaS16_S17_EUlS16_E_NS1_11comp_targetILNS1_3genE10ELNS1_11target_archE1200ELNS1_3gpuE4ELNS1_3repE0EEENS1_30default_config_static_selectorELNS0_4arch9wavefront6targetE1EEEvT1_: ; @_ZN7rocprim17ROCPRIM_400000_NS6detail17trampoline_kernelINS0_14default_configENS1_25partition_config_selectorILNS1_17partition_subalgoE1EtNS0_10empty_typeEbEEZZNS1_14partition_implILS5_1ELb0ES3_jN6thrust23THRUST_200600_302600_NS6detail15normal_iteratorINSA_10device_ptrItEEEEPS6_NSA_18transform_iteratorI7is_evenItESF_NSA_11use_defaultESK_EENS0_5tupleIJNSA_16discard_iteratorISK_EESO_EEENSM_IJSG_SG_EEES6_PlJS6_EEE10hipError_tPvRmT3_T4_T5_T6_T7_T9_mT8_P12ihipStream_tbDpT10_ENKUlT_T0_E_clISt17integral_constantIbLb1EES1A_IbLb0EEEEDaS16_S17_EUlS16_E_NS1_11comp_targetILNS1_3genE10ELNS1_11target_archE1200ELNS1_3gpuE4ELNS1_3repE0EEENS1_30default_config_static_selectorELNS0_4arch9wavefront6targetE1EEEvT1_
; %bb.0:
	.section	.rodata,"a",@progbits
	.p2align	6, 0x0
	.amdhsa_kernel _ZN7rocprim17ROCPRIM_400000_NS6detail17trampoline_kernelINS0_14default_configENS1_25partition_config_selectorILNS1_17partition_subalgoE1EtNS0_10empty_typeEbEEZZNS1_14partition_implILS5_1ELb0ES3_jN6thrust23THRUST_200600_302600_NS6detail15normal_iteratorINSA_10device_ptrItEEEEPS6_NSA_18transform_iteratorI7is_evenItESF_NSA_11use_defaultESK_EENS0_5tupleIJNSA_16discard_iteratorISK_EESO_EEENSM_IJSG_SG_EEES6_PlJS6_EEE10hipError_tPvRmT3_T4_T5_T6_T7_T9_mT8_P12ihipStream_tbDpT10_ENKUlT_T0_E_clISt17integral_constantIbLb1EES1A_IbLb0EEEEDaS16_S17_EUlS16_E_NS1_11comp_targetILNS1_3genE10ELNS1_11target_archE1200ELNS1_3gpuE4ELNS1_3repE0EEENS1_30default_config_static_selectorELNS0_4arch9wavefront6targetE1EEEvT1_
		.amdhsa_group_segment_fixed_size 0
		.amdhsa_private_segment_fixed_size 0
		.amdhsa_kernarg_size 144
		.amdhsa_user_sgpr_count 2
		.amdhsa_user_sgpr_dispatch_ptr 0
		.amdhsa_user_sgpr_queue_ptr 0
		.amdhsa_user_sgpr_kernarg_segment_ptr 1
		.amdhsa_user_sgpr_dispatch_id 0
		.amdhsa_user_sgpr_kernarg_preload_length 0
		.amdhsa_user_sgpr_kernarg_preload_offset 0
		.amdhsa_user_sgpr_private_segment_size 0
		.amdhsa_uses_dynamic_stack 0
		.amdhsa_enable_private_segment 0
		.amdhsa_system_sgpr_workgroup_id_x 1
		.amdhsa_system_sgpr_workgroup_id_y 0
		.amdhsa_system_sgpr_workgroup_id_z 0
		.amdhsa_system_sgpr_workgroup_info 0
		.amdhsa_system_vgpr_workitem_id 0
		.amdhsa_next_free_vgpr 1
		.amdhsa_next_free_sgpr 0
		.amdhsa_accum_offset 4
		.amdhsa_reserve_vcc 0
		.amdhsa_float_round_mode_32 0
		.amdhsa_float_round_mode_16_64 0
		.amdhsa_float_denorm_mode_32 3
		.amdhsa_float_denorm_mode_16_64 3
		.amdhsa_dx10_clamp 1
		.amdhsa_ieee_mode 1
		.amdhsa_fp16_overflow 0
		.amdhsa_tg_split 0
		.amdhsa_exception_fp_ieee_invalid_op 0
		.amdhsa_exception_fp_denorm_src 0
		.amdhsa_exception_fp_ieee_div_zero 0
		.amdhsa_exception_fp_ieee_overflow 0
		.amdhsa_exception_fp_ieee_underflow 0
		.amdhsa_exception_fp_ieee_inexact 0
		.amdhsa_exception_int_div_zero 0
	.end_amdhsa_kernel
	.section	.text._ZN7rocprim17ROCPRIM_400000_NS6detail17trampoline_kernelINS0_14default_configENS1_25partition_config_selectorILNS1_17partition_subalgoE1EtNS0_10empty_typeEbEEZZNS1_14partition_implILS5_1ELb0ES3_jN6thrust23THRUST_200600_302600_NS6detail15normal_iteratorINSA_10device_ptrItEEEEPS6_NSA_18transform_iteratorI7is_evenItESF_NSA_11use_defaultESK_EENS0_5tupleIJNSA_16discard_iteratorISK_EESO_EEENSM_IJSG_SG_EEES6_PlJS6_EEE10hipError_tPvRmT3_T4_T5_T6_T7_T9_mT8_P12ihipStream_tbDpT10_ENKUlT_T0_E_clISt17integral_constantIbLb1EES1A_IbLb0EEEEDaS16_S17_EUlS16_E_NS1_11comp_targetILNS1_3genE10ELNS1_11target_archE1200ELNS1_3gpuE4ELNS1_3repE0EEENS1_30default_config_static_selectorELNS0_4arch9wavefront6targetE1EEEvT1_,"axG",@progbits,_ZN7rocprim17ROCPRIM_400000_NS6detail17trampoline_kernelINS0_14default_configENS1_25partition_config_selectorILNS1_17partition_subalgoE1EtNS0_10empty_typeEbEEZZNS1_14partition_implILS5_1ELb0ES3_jN6thrust23THRUST_200600_302600_NS6detail15normal_iteratorINSA_10device_ptrItEEEEPS6_NSA_18transform_iteratorI7is_evenItESF_NSA_11use_defaultESK_EENS0_5tupleIJNSA_16discard_iteratorISK_EESO_EEENSM_IJSG_SG_EEES6_PlJS6_EEE10hipError_tPvRmT3_T4_T5_T6_T7_T9_mT8_P12ihipStream_tbDpT10_ENKUlT_T0_E_clISt17integral_constantIbLb1EES1A_IbLb0EEEEDaS16_S17_EUlS16_E_NS1_11comp_targetILNS1_3genE10ELNS1_11target_archE1200ELNS1_3gpuE4ELNS1_3repE0EEENS1_30default_config_static_selectorELNS0_4arch9wavefront6targetE1EEEvT1_,comdat
.Lfunc_end3088:
	.size	_ZN7rocprim17ROCPRIM_400000_NS6detail17trampoline_kernelINS0_14default_configENS1_25partition_config_selectorILNS1_17partition_subalgoE1EtNS0_10empty_typeEbEEZZNS1_14partition_implILS5_1ELb0ES3_jN6thrust23THRUST_200600_302600_NS6detail15normal_iteratorINSA_10device_ptrItEEEEPS6_NSA_18transform_iteratorI7is_evenItESF_NSA_11use_defaultESK_EENS0_5tupleIJNSA_16discard_iteratorISK_EESO_EEENSM_IJSG_SG_EEES6_PlJS6_EEE10hipError_tPvRmT3_T4_T5_T6_T7_T9_mT8_P12ihipStream_tbDpT10_ENKUlT_T0_E_clISt17integral_constantIbLb1EES1A_IbLb0EEEEDaS16_S17_EUlS16_E_NS1_11comp_targetILNS1_3genE10ELNS1_11target_archE1200ELNS1_3gpuE4ELNS1_3repE0EEENS1_30default_config_static_selectorELNS0_4arch9wavefront6targetE1EEEvT1_, .Lfunc_end3088-_ZN7rocprim17ROCPRIM_400000_NS6detail17trampoline_kernelINS0_14default_configENS1_25partition_config_selectorILNS1_17partition_subalgoE1EtNS0_10empty_typeEbEEZZNS1_14partition_implILS5_1ELb0ES3_jN6thrust23THRUST_200600_302600_NS6detail15normal_iteratorINSA_10device_ptrItEEEEPS6_NSA_18transform_iteratorI7is_evenItESF_NSA_11use_defaultESK_EENS0_5tupleIJNSA_16discard_iteratorISK_EESO_EEENSM_IJSG_SG_EEES6_PlJS6_EEE10hipError_tPvRmT3_T4_T5_T6_T7_T9_mT8_P12ihipStream_tbDpT10_ENKUlT_T0_E_clISt17integral_constantIbLb1EES1A_IbLb0EEEEDaS16_S17_EUlS16_E_NS1_11comp_targetILNS1_3genE10ELNS1_11target_archE1200ELNS1_3gpuE4ELNS1_3repE0EEENS1_30default_config_static_selectorELNS0_4arch9wavefront6targetE1EEEvT1_
                                        ; -- End function
	.section	.AMDGPU.csdata,"",@progbits
; Kernel info:
; codeLenInByte = 0
; NumSgprs: 6
; NumVgprs: 0
; NumAgprs: 0
; TotalNumVgprs: 0
; ScratchSize: 0
; MemoryBound: 0
; FloatMode: 240
; IeeeMode: 1
; LDSByteSize: 0 bytes/workgroup (compile time only)
; SGPRBlocks: 0
; VGPRBlocks: 0
; NumSGPRsForWavesPerEU: 6
; NumVGPRsForWavesPerEU: 1
; AccumOffset: 4
; Occupancy: 8
; WaveLimiterHint : 0
; COMPUTE_PGM_RSRC2:SCRATCH_EN: 0
; COMPUTE_PGM_RSRC2:USER_SGPR: 2
; COMPUTE_PGM_RSRC2:TRAP_HANDLER: 0
; COMPUTE_PGM_RSRC2:TGID_X_EN: 1
; COMPUTE_PGM_RSRC2:TGID_Y_EN: 0
; COMPUTE_PGM_RSRC2:TGID_Z_EN: 0
; COMPUTE_PGM_RSRC2:TIDIG_COMP_CNT: 0
; COMPUTE_PGM_RSRC3_GFX90A:ACCUM_OFFSET: 0
; COMPUTE_PGM_RSRC3_GFX90A:TG_SPLIT: 0
	.section	.text._ZN7rocprim17ROCPRIM_400000_NS6detail17trampoline_kernelINS0_14default_configENS1_25partition_config_selectorILNS1_17partition_subalgoE1EtNS0_10empty_typeEbEEZZNS1_14partition_implILS5_1ELb0ES3_jN6thrust23THRUST_200600_302600_NS6detail15normal_iteratorINSA_10device_ptrItEEEEPS6_NSA_18transform_iteratorI7is_evenItESF_NSA_11use_defaultESK_EENS0_5tupleIJNSA_16discard_iteratorISK_EESO_EEENSM_IJSG_SG_EEES6_PlJS6_EEE10hipError_tPvRmT3_T4_T5_T6_T7_T9_mT8_P12ihipStream_tbDpT10_ENKUlT_T0_E_clISt17integral_constantIbLb1EES1A_IbLb0EEEEDaS16_S17_EUlS16_E_NS1_11comp_targetILNS1_3genE9ELNS1_11target_archE1100ELNS1_3gpuE3ELNS1_3repE0EEENS1_30default_config_static_selectorELNS0_4arch9wavefront6targetE1EEEvT1_,"axG",@progbits,_ZN7rocprim17ROCPRIM_400000_NS6detail17trampoline_kernelINS0_14default_configENS1_25partition_config_selectorILNS1_17partition_subalgoE1EtNS0_10empty_typeEbEEZZNS1_14partition_implILS5_1ELb0ES3_jN6thrust23THRUST_200600_302600_NS6detail15normal_iteratorINSA_10device_ptrItEEEEPS6_NSA_18transform_iteratorI7is_evenItESF_NSA_11use_defaultESK_EENS0_5tupleIJNSA_16discard_iteratorISK_EESO_EEENSM_IJSG_SG_EEES6_PlJS6_EEE10hipError_tPvRmT3_T4_T5_T6_T7_T9_mT8_P12ihipStream_tbDpT10_ENKUlT_T0_E_clISt17integral_constantIbLb1EES1A_IbLb0EEEEDaS16_S17_EUlS16_E_NS1_11comp_targetILNS1_3genE9ELNS1_11target_archE1100ELNS1_3gpuE3ELNS1_3repE0EEENS1_30default_config_static_selectorELNS0_4arch9wavefront6targetE1EEEvT1_,comdat
	.protected	_ZN7rocprim17ROCPRIM_400000_NS6detail17trampoline_kernelINS0_14default_configENS1_25partition_config_selectorILNS1_17partition_subalgoE1EtNS0_10empty_typeEbEEZZNS1_14partition_implILS5_1ELb0ES3_jN6thrust23THRUST_200600_302600_NS6detail15normal_iteratorINSA_10device_ptrItEEEEPS6_NSA_18transform_iteratorI7is_evenItESF_NSA_11use_defaultESK_EENS0_5tupleIJNSA_16discard_iteratorISK_EESO_EEENSM_IJSG_SG_EEES6_PlJS6_EEE10hipError_tPvRmT3_T4_T5_T6_T7_T9_mT8_P12ihipStream_tbDpT10_ENKUlT_T0_E_clISt17integral_constantIbLb1EES1A_IbLb0EEEEDaS16_S17_EUlS16_E_NS1_11comp_targetILNS1_3genE9ELNS1_11target_archE1100ELNS1_3gpuE3ELNS1_3repE0EEENS1_30default_config_static_selectorELNS0_4arch9wavefront6targetE1EEEvT1_ ; -- Begin function _ZN7rocprim17ROCPRIM_400000_NS6detail17trampoline_kernelINS0_14default_configENS1_25partition_config_selectorILNS1_17partition_subalgoE1EtNS0_10empty_typeEbEEZZNS1_14partition_implILS5_1ELb0ES3_jN6thrust23THRUST_200600_302600_NS6detail15normal_iteratorINSA_10device_ptrItEEEEPS6_NSA_18transform_iteratorI7is_evenItESF_NSA_11use_defaultESK_EENS0_5tupleIJNSA_16discard_iteratorISK_EESO_EEENSM_IJSG_SG_EEES6_PlJS6_EEE10hipError_tPvRmT3_T4_T5_T6_T7_T9_mT8_P12ihipStream_tbDpT10_ENKUlT_T0_E_clISt17integral_constantIbLb1EES1A_IbLb0EEEEDaS16_S17_EUlS16_E_NS1_11comp_targetILNS1_3genE9ELNS1_11target_archE1100ELNS1_3gpuE3ELNS1_3repE0EEENS1_30default_config_static_selectorELNS0_4arch9wavefront6targetE1EEEvT1_
	.globl	_ZN7rocprim17ROCPRIM_400000_NS6detail17trampoline_kernelINS0_14default_configENS1_25partition_config_selectorILNS1_17partition_subalgoE1EtNS0_10empty_typeEbEEZZNS1_14partition_implILS5_1ELb0ES3_jN6thrust23THRUST_200600_302600_NS6detail15normal_iteratorINSA_10device_ptrItEEEEPS6_NSA_18transform_iteratorI7is_evenItESF_NSA_11use_defaultESK_EENS0_5tupleIJNSA_16discard_iteratorISK_EESO_EEENSM_IJSG_SG_EEES6_PlJS6_EEE10hipError_tPvRmT3_T4_T5_T6_T7_T9_mT8_P12ihipStream_tbDpT10_ENKUlT_T0_E_clISt17integral_constantIbLb1EES1A_IbLb0EEEEDaS16_S17_EUlS16_E_NS1_11comp_targetILNS1_3genE9ELNS1_11target_archE1100ELNS1_3gpuE3ELNS1_3repE0EEENS1_30default_config_static_selectorELNS0_4arch9wavefront6targetE1EEEvT1_
	.p2align	8
	.type	_ZN7rocprim17ROCPRIM_400000_NS6detail17trampoline_kernelINS0_14default_configENS1_25partition_config_selectorILNS1_17partition_subalgoE1EtNS0_10empty_typeEbEEZZNS1_14partition_implILS5_1ELb0ES3_jN6thrust23THRUST_200600_302600_NS6detail15normal_iteratorINSA_10device_ptrItEEEEPS6_NSA_18transform_iteratorI7is_evenItESF_NSA_11use_defaultESK_EENS0_5tupleIJNSA_16discard_iteratorISK_EESO_EEENSM_IJSG_SG_EEES6_PlJS6_EEE10hipError_tPvRmT3_T4_T5_T6_T7_T9_mT8_P12ihipStream_tbDpT10_ENKUlT_T0_E_clISt17integral_constantIbLb1EES1A_IbLb0EEEEDaS16_S17_EUlS16_E_NS1_11comp_targetILNS1_3genE9ELNS1_11target_archE1100ELNS1_3gpuE3ELNS1_3repE0EEENS1_30default_config_static_selectorELNS0_4arch9wavefront6targetE1EEEvT1_,@function
_ZN7rocprim17ROCPRIM_400000_NS6detail17trampoline_kernelINS0_14default_configENS1_25partition_config_selectorILNS1_17partition_subalgoE1EtNS0_10empty_typeEbEEZZNS1_14partition_implILS5_1ELb0ES3_jN6thrust23THRUST_200600_302600_NS6detail15normal_iteratorINSA_10device_ptrItEEEEPS6_NSA_18transform_iteratorI7is_evenItESF_NSA_11use_defaultESK_EENS0_5tupleIJNSA_16discard_iteratorISK_EESO_EEENSM_IJSG_SG_EEES6_PlJS6_EEE10hipError_tPvRmT3_T4_T5_T6_T7_T9_mT8_P12ihipStream_tbDpT10_ENKUlT_T0_E_clISt17integral_constantIbLb1EES1A_IbLb0EEEEDaS16_S17_EUlS16_E_NS1_11comp_targetILNS1_3genE9ELNS1_11target_archE1100ELNS1_3gpuE3ELNS1_3repE0EEENS1_30default_config_static_selectorELNS0_4arch9wavefront6targetE1EEEvT1_: ; @_ZN7rocprim17ROCPRIM_400000_NS6detail17trampoline_kernelINS0_14default_configENS1_25partition_config_selectorILNS1_17partition_subalgoE1EtNS0_10empty_typeEbEEZZNS1_14partition_implILS5_1ELb0ES3_jN6thrust23THRUST_200600_302600_NS6detail15normal_iteratorINSA_10device_ptrItEEEEPS6_NSA_18transform_iteratorI7is_evenItESF_NSA_11use_defaultESK_EENS0_5tupleIJNSA_16discard_iteratorISK_EESO_EEENSM_IJSG_SG_EEES6_PlJS6_EEE10hipError_tPvRmT3_T4_T5_T6_T7_T9_mT8_P12ihipStream_tbDpT10_ENKUlT_T0_E_clISt17integral_constantIbLb1EES1A_IbLb0EEEEDaS16_S17_EUlS16_E_NS1_11comp_targetILNS1_3genE9ELNS1_11target_archE1100ELNS1_3gpuE3ELNS1_3repE0EEENS1_30default_config_static_selectorELNS0_4arch9wavefront6targetE1EEEvT1_
; %bb.0:
	.section	.rodata,"a",@progbits
	.p2align	6, 0x0
	.amdhsa_kernel _ZN7rocprim17ROCPRIM_400000_NS6detail17trampoline_kernelINS0_14default_configENS1_25partition_config_selectorILNS1_17partition_subalgoE1EtNS0_10empty_typeEbEEZZNS1_14partition_implILS5_1ELb0ES3_jN6thrust23THRUST_200600_302600_NS6detail15normal_iteratorINSA_10device_ptrItEEEEPS6_NSA_18transform_iteratorI7is_evenItESF_NSA_11use_defaultESK_EENS0_5tupleIJNSA_16discard_iteratorISK_EESO_EEENSM_IJSG_SG_EEES6_PlJS6_EEE10hipError_tPvRmT3_T4_T5_T6_T7_T9_mT8_P12ihipStream_tbDpT10_ENKUlT_T0_E_clISt17integral_constantIbLb1EES1A_IbLb0EEEEDaS16_S17_EUlS16_E_NS1_11comp_targetILNS1_3genE9ELNS1_11target_archE1100ELNS1_3gpuE3ELNS1_3repE0EEENS1_30default_config_static_selectorELNS0_4arch9wavefront6targetE1EEEvT1_
		.amdhsa_group_segment_fixed_size 0
		.amdhsa_private_segment_fixed_size 0
		.amdhsa_kernarg_size 144
		.amdhsa_user_sgpr_count 2
		.amdhsa_user_sgpr_dispatch_ptr 0
		.amdhsa_user_sgpr_queue_ptr 0
		.amdhsa_user_sgpr_kernarg_segment_ptr 1
		.amdhsa_user_sgpr_dispatch_id 0
		.amdhsa_user_sgpr_kernarg_preload_length 0
		.amdhsa_user_sgpr_kernarg_preload_offset 0
		.amdhsa_user_sgpr_private_segment_size 0
		.amdhsa_uses_dynamic_stack 0
		.amdhsa_enable_private_segment 0
		.amdhsa_system_sgpr_workgroup_id_x 1
		.amdhsa_system_sgpr_workgroup_id_y 0
		.amdhsa_system_sgpr_workgroup_id_z 0
		.amdhsa_system_sgpr_workgroup_info 0
		.amdhsa_system_vgpr_workitem_id 0
		.amdhsa_next_free_vgpr 1
		.amdhsa_next_free_sgpr 0
		.amdhsa_accum_offset 4
		.amdhsa_reserve_vcc 0
		.amdhsa_float_round_mode_32 0
		.amdhsa_float_round_mode_16_64 0
		.amdhsa_float_denorm_mode_32 3
		.amdhsa_float_denorm_mode_16_64 3
		.amdhsa_dx10_clamp 1
		.amdhsa_ieee_mode 1
		.amdhsa_fp16_overflow 0
		.amdhsa_tg_split 0
		.amdhsa_exception_fp_ieee_invalid_op 0
		.amdhsa_exception_fp_denorm_src 0
		.amdhsa_exception_fp_ieee_div_zero 0
		.amdhsa_exception_fp_ieee_overflow 0
		.amdhsa_exception_fp_ieee_underflow 0
		.amdhsa_exception_fp_ieee_inexact 0
		.amdhsa_exception_int_div_zero 0
	.end_amdhsa_kernel
	.section	.text._ZN7rocprim17ROCPRIM_400000_NS6detail17trampoline_kernelINS0_14default_configENS1_25partition_config_selectorILNS1_17partition_subalgoE1EtNS0_10empty_typeEbEEZZNS1_14partition_implILS5_1ELb0ES3_jN6thrust23THRUST_200600_302600_NS6detail15normal_iteratorINSA_10device_ptrItEEEEPS6_NSA_18transform_iteratorI7is_evenItESF_NSA_11use_defaultESK_EENS0_5tupleIJNSA_16discard_iteratorISK_EESO_EEENSM_IJSG_SG_EEES6_PlJS6_EEE10hipError_tPvRmT3_T4_T5_T6_T7_T9_mT8_P12ihipStream_tbDpT10_ENKUlT_T0_E_clISt17integral_constantIbLb1EES1A_IbLb0EEEEDaS16_S17_EUlS16_E_NS1_11comp_targetILNS1_3genE9ELNS1_11target_archE1100ELNS1_3gpuE3ELNS1_3repE0EEENS1_30default_config_static_selectorELNS0_4arch9wavefront6targetE1EEEvT1_,"axG",@progbits,_ZN7rocprim17ROCPRIM_400000_NS6detail17trampoline_kernelINS0_14default_configENS1_25partition_config_selectorILNS1_17partition_subalgoE1EtNS0_10empty_typeEbEEZZNS1_14partition_implILS5_1ELb0ES3_jN6thrust23THRUST_200600_302600_NS6detail15normal_iteratorINSA_10device_ptrItEEEEPS6_NSA_18transform_iteratorI7is_evenItESF_NSA_11use_defaultESK_EENS0_5tupleIJNSA_16discard_iteratorISK_EESO_EEENSM_IJSG_SG_EEES6_PlJS6_EEE10hipError_tPvRmT3_T4_T5_T6_T7_T9_mT8_P12ihipStream_tbDpT10_ENKUlT_T0_E_clISt17integral_constantIbLb1EES1A_IbLb0EEEEDaS16_S17_EUlS16_E_NS1_11comp_targetILNS1_3genE9ELNS1_11target_archE1100ELNS1_3gpuE3ELNS1_3repE0EEENS1_30default_config_static_selectorELNS0_4arch9wavefront6targetE1EEEvT1_,comdat
.Lfunc_end3089:
	.size	_ZN7rocprim17ROCPRIM_400000_NS6detail17trampoline_kernelINS0_14default_configENS1_25partition_config_selectorILNS1_17partition_subalgoE1EtNS0_10empty_typeEbEEZZNS1_14partition_implILS5_1ELb0ES3_jN6thrust23THRUST_200600_302600_NS6detail15normal_iteratorINSA_10device_ptrItEEEEPS6_NSA_18transform_iteratorI7is_evenItESF_NSA_11use_defaultESK_EENS0_5tupleIJNSA_16discard_iteratorISK_EESO_EEENSM_IJSG_SG_EEES6_PlJS6_EEE10hipError_tPvRmT3_T4_T5_T6_T7_T9_mT8_P12ihipStream_tbDpT10_ENKUlT_T0_E_clISt17integral_constantIbLb1EES1A_IbLb0EEEEDaS16_S17_EUlS16_E_NS1_11comp_targetILNS1_3genE9ELNS1_11target_archE1100ELNS1_3gpuE3ELNS1_3repE0EEENS1_30default_config_static_selectorELNS0_4arch9wavefront6targetE1EEEvT1_, .Lfunc_end3089-_ZN7rocprim17ROCPRIM_400000_NS6detail17trampoline_kernelINS0_14default_configENS1_25partition_config_selectorILNS1_17partition_subalgoE1EtNS0_10empty_typeEbEEZZNS1_14partition_implILS5_1ELb0ES3_jN6thrust23THRUST_200600_302600_NS6detail15normal_iteratorINSA_10device_ptrItEEEEPS6_NSA_18transform_iteratorI7is_evenItESF_NSA_11use_defaultESK_EENS0_5tupleIJNSA_16discard_iteratorISK_EESO_EEENSM_IJSG_SG_EEES6_PlJS6_EEE10hipError_tPvRmT3_T4_T5_T6_T7_T9_mT8_P12ihipStream_tbDpT10_ENKUlT_T0_E_clISt17integral_constantIbLb1EES1A_IbLb0EEEEDaS16_S17_EUlS16_E_NS1_11comp_targetILNS1_3genE9ELNS1_11target_archE1100ELNS1_3gpuE3ELNS1_3repE0EEENS1_30default_config_static_selectorELNS0_4arch9wavefront6targetE1EEEvT1_
                                        ; -- End function
	.section	.AMDGPU.csdata,"",@progbits
; Kernel info:
; codeLenInByte = 0
; NumSgprs: 6
; NumVgprs: 0
; NumAgprs: 0
; TotalNumVgprs: 0
; ScratchSize: 0
; MemoryBound: 0
; FloatMode: 240
; IeeeMode: 1
; LDSByteSize: 0 bytes/workgroup (compile time only)
; SGPRBlocks: 0
; VGPRBlocks: 0
; NumSGPRsForWavesPerEU: 6
; NumVGPRsForWavesPerEU: 1
; AccumOffset: 4
; Occupancy: 8
; WaveLimiterHint : 0
; COMPUTE_PGM_RSRC2:SCRATCH_EN: 0
; COMPUTE_PGM_RSRC2:USER_SGPR: 2
; COMPUTE_PGM_RSRC2:TRAP_HANDLER: 0
; COMPUTE_PGM_RSRC2:TGID_X_EN: 1
; COMPUTE_PGM_RSRC2:TGID_Y_EN: 0
; COMPUTE_PGM_RSRC2:TGID_Z_EN: 0
; COMPUTE_PGM_RSRC2:TIDIG_COMP_CNT: 0
; COMPUTE_PGM_RSRC3_GFX90A:ACCUM_OFFSET: 0
; COMPUTE_PGM_RSRC3_GFX90A:TG_SPLIT: 0
	.section	.text._ZN7rocprim17ROCPRIM_400000_NS6detail17trampoline_kernelINS0_14default_configENS1_25partition_config_selectorILNS1_17partition_subalgoE1EtNS0_10empty_typeEbEEZZNS1_14partition_implILS5_1ELb0ES3_jN6thrust23THRUST_200600_302600_NS6detail15normal_iteratorINSA_10device_ptrItEEEEPS6_NSA_18transform_iteratorI7is_evenItESF_NSA_11use_defaultESK_EENS0_5tupleIJNSA_16discard_iteratorISK_EESO_EEENSM_IJSG_SG_EEES6_PlJS6_EEE10hipError_tPvRmT3_T4_T5_T6_T7_T9_mT8_P12ihipStream_tbDpT10_ENKUlT_T0_E_clISt17integral_constantIbLb1EES1A_IbLb0EEEEDaS16_S17_EUlS16_E_NS1_11comp_targetILNS1_3genE8ELNS1_11target_archE1030ELNS1_3gpuE2ELNS1_3repE0EEENS1_30default_config_static_selectorELNS0_4arch9wavefront6targetE1EEEvT1_,"axG",@progbits,_ZN7rocprim17ROCPRIM_400000_NS6detail17trampoline_kernelINS0_14default_configENS1_25partition_config_selectorILNS1_17partition_subalgoE1EtNS0_10empty_typeEbEEZZNS1_14partition_implILS5_1ELb0ES3_jN6thrust23THRUST_200600_302600_NS6detail15normal_iteratorINSA_10device_ptrItEEEEPS6_NSA_18transform_iteratorI7is_evenItESF_NSA_11use_defaultESK_EENS0_5tupleIJNSA_16discard_iteratorISK_EESO_EEENSM_IJSG_SG_EEES6_PlJS6_EEE10hipError_tPvRmT3_T4_T5_T6_T7_T9_mT8_P12ihipStream_tbDpT10_ENKUlT_T0_E_clISt17integral_constantIbLb1EES1A_IbLb0EEEEDaS16_S17_EUlS16_E_NS1_11comp_targetILNS1_3genE8ELNS1_11target_archE1030ELNS1_3gpuE2ELNS1_3repE0EEENS1_30default_config_static_selectorELNS0_4arch9wavefront6targetE1EEEvT1_,comdat
	.protected	_ZN7rocprim17ROCPRIM_400000_NS6detail17trampoline_kernelINS0_14default_configENS1_25partition_config_selectorILNS1_17partition_subalgoE1EtNS0_10empty_typeEbEEZZNS1_14partition_implILS5_1ELb0ES3_jN6thrust23THRUST_200600_302600_NS6detail15normal_iteratorINSA_10device_ptrItEEEEPS6_NSA_18transform_iteratorI7is_evenItESF_NSA_11use_defaultESK_EENS0_5tupleIJNSA_16discard_iteratorISK_EESO_EEENSM_IJSG_SG_EEES6_PlJS6_EEE10hipError_tPvRmT3_T4_T5_T6_T7_T9_mT8_P12ihipStream_tbDpT10_ENKUlT_T0_E_clISt17integral_constantIbLb1EES1A_IbLb0EEEEDaS16_S17_EUlS16_E_NS1_11comp_targetILNS1_3genE8ELNS1_11target_archE1030ELNS1_3gpuE2ELNS1_3repE0EEENS1_30default_config_static_selectorELNS0_4arch9wavefront6targetE1EEEvT1_ ; -- Begin function _ZN7rocprim17ROCPRIM_400000_NS6detail17trampoline_kernelINS0_14default_configENS1_25partition_config_selectorILNS1_17partition_subalgoE1EtNS0_10empty_typeEbEEZZNS1_14partition_implILS5_1ELb0ES3_jN6thrust23THRUST_200600_302600_NS6detail15normal_iteratorINSA_10device_ptrItEEEEPS6_NSA_18transform_iteratorI7is_evenItESF_NSA_11use_defaultESK_EENS0_5tupleIJNSA_16discard_iteratorISK_EESO_EEENSM_IJSG_SG_EEES6_PlJS6_EEE10hipError_tPvRmT3_T4_T5_T6_T7_T9_mT8_P12ihipStream_tbDpT10_ENKUlT_T0_E_clISt17integral_constantIbLb1EES1A_IbLb0EEEEDaS16_S17_EUlS16_E_NS1_11comp_targetILNS1_3genE8ELNS1_11target_archE1030ELNS1_3gpuE2ELNS1_3repE0EEENS1_30default_config_static_selectorELNS0_4arch9wavefront6targetE1EEEvT1_
	.globl	_ZN7rocprim17ROCPRIM_400000_NS6detail17trampoline_kernelINS0_14default_configENS1_25partition_config_selectorILNS1_17partition_subalgoE1EtNS0_10empty_typeEbEEZZNS1_14partition_implILS5_1ELb0ES3_jN6thrust23THRUST_200600_302600_NS6detail15normal_iteratorINSA_10device_ptrItEEEEPS6_NSA_18transform_iteratorI7is_evenItESF_NSA_11use_defaultESK_EENS0_5tupleIJNSA_16discard_iteratorISK_EESO_EEENSM_IJSG_SG_EEES6_PlJS6_EEE10hipError_tPvRmT3_T4_T5_T6_T7_T9_mT8_P12ihipStream_tbDpT10_ENKUlT_T0_E_clISt17integral_constantIbLb1EES1A_IbLb0EEEEDaS16_S17_EUlS16_E_NS1_11comp_targetILNS1_3genE8ELNS1_11target_archE1030ELNS1_3gpuE2ELNS1_3repE0EEENS1_30default_config_static_selectorELNS0_4arch9wavefront6targetE1EEEvT1_
	.p2align	8
	.type	_ZN7rocprim17ROCPRIM_400000_NS6detail17trampoline_kernelINS0_14default_configENS1_25partition_config_selectorILNS1_17partition_subalgoE1EtNS0_10empty_typeEbEEZZNS1_14partition_implILS5_1ELb0ES3_jN6thrust23THRUST_200600_302600_NS6detail15normal_iteratorINSA_10device_ptrItEEEEPS6_NSA_18transform_iteratorI7is_evenItESF_NSA_11use_defaultESK_EENS0_5tupleIJNSA_16discard_iteratorISK_EESO_EEENSM_IJSG_SG_EEES6_PlJS6_EEE10hipError_tPvRmT3_T4_T5_T6_T7_T9_mT8_P12ihipStream_tbDpT10_ENKUlT_T0_E_clISt17integral_constantIbLb1EES1A_IbLb0EEEEDaS16_S17_EUlS16_E_NS1_11comp_targetILNS1_3genE8ELNS1_11target_archE1030ELNS1_3gpuE2ELNS1_3repE0EEENS1_30default_config_static_selectorELNS0_4arch9wavefront6targetE1EEEvT1_,@function
_ZN7rocprim17ROCPRIM_400000_NS6detail17trampoline_kernelINS0_14default_configENS1_25partition_config_selectorILNS1_17partition_subalgoE1EtNS0_10empty_typeEbEEZZNS1_14partition_implILS5_1ELb0ES3_jN6thrust23THRUST_200600_302600_NS6detail15normal_iteratorINSA_10device_ptrItEEEEPS6_NSA_18transform_iteratorI7is_evenItESF_NSA_11use_defaultESK_EENS0_5tupleIJNSA_16discard_iteratorISK_EESO_EEENSM_IJSG_SG_EEES6_PlJS6_EEE10hipError_tPvRmT3_T4_T5_T6_T7_T9_mT8_P12ihipStream_tbDpT10_ENKUlT_T0_E_clISt17integral_constantIbLb1EES1A_IbLb0EEEEDaS16_S17_EUlS16_E_NS1_11comp_targetILNS1_3genE8ELNS1_11target_archE1030ELNS1_3gpuE2ELNS1_3repE0EEENS1_30default_config_static_selectorELNS0_4arch9wavefront6targetE1EEEvT1_: ; @_ZN7rocprim17ROCPRIM_400000_NS6detail17trampoline_kernelINS0_14default_configENS1_25partition_config_selectorILNS1_17partition_subalgoE1EtNS0_10empty_typeEbEEZZNS1_14partition_implILS5_1ELb0ES3_jN6thrust23THRUST_200600_302600_NS6detail15normal_iteratorINSA_10device_ptrItEEEEPS6_NSA_18transform_iteratorI7is_evenItESF_NSA_11use_defaultESK_EENS0_5tupleIJNSA_16discard_iteratorISK_EESO_EEENSM_IJSG_SG_EEES6_PlJS6_EEE10hipError_tPvRmT3_T4_T5_T6_T7_T9_mT8_P12ihipStream_tbDpT10_ENKUlT_T0_E_clISt17integral_constantIbLb1EES1A_IbLb0EEEEDaS16_S17_EUlS16_E_NS1_11comp_targetILNS1_3genE8ELNS1_11target_archE1030ELNS1_3gpuE2ELNS1_3repE0EEENS1_30default_config_static_selectorELNS0_4arch9wavefront6targetE1EEEvT1_
; %bb.0:
	.section	.rodata,"a",@progbits
	.p2align	6, 0x0
	.amdhsa_kernel _ZN7rocprim17ROCPRIM_400000_NS6detail17trampoline_kernelINS0_14default_configENS1_25partition_config_selectorILNS1_17partition_subalgoE1EtNS0_10empty_typeEbEEZZNS1_14partition_implILS5_1ELb0ES3_jN6thrust23THRUST_200600_302600_NS6detail15normal_iteratorINSA_10device_ptrItEEEEPS6_NSA_18transform_iteratorI7is_evenItESF_NSA_11use_defaultESK_EENS0_5tupleIJNSA_16discard_iteratorISK_EESO_EEENSM_IJSG_SG_EEES6_PlJS6_EEE10hipError_tPvRmT3_T4_T5_T6_T7_T9_mT8_P12ihipStream_tbDpT10_ENKUlT_T0_E_clISt17integral_constantIbLb1EES1A_IbLb0EEEEDaS16_S17_EUlS16_E_NS1_11comp_targetILNS1_3genE8ELNS1_11target_archE1030ELNS1_3gpuE2ELNS1_3repE0EEENS1_30default_config_static_selectorELNS0_4arch9wavefront6targetE1EEEvT1_
		.amdhsa_group_segment_fixed_size 0
		.amdhsa_private_segment_fixed_size 0
		.amdhsa_kernarg_size 144
		.amdhsa_user_sgpr_count 2
		.amdhsa_user_sgpr_dispatch_ptr 0
		.amdhsa_user_sgpr_queue_ptr 0
		.amdhsa_user_sgpr_kernarg_segment_ptr 1
		.amdhsa_user_sgpr_dispatch_id 0
		.amdhsa_user_sgpr_kernarg_preload_length 0
		.amdhsa_user_sgpr_kernarg_preload_offset 0
		.amdhsa_user_sgpr_private_segment_size 0
		.amdhsa_uses_dynamic_stack 0
		.amdhsa_enable_private_segment 0
		.amdhsa_system_sgpr_workgroup_id_x 1
		.amdhsa_system_sgpr_workgroup_id_y 0
		.amdhsa_system_sgpr_workgroup_id_z 0
		.amdhsa_system_sgpr_workgroup_info 0
		.amdhsa_system_vgpr_workitem_id 0
		.amdhsa_next_free_vgpr 1
		.amdhsa_next_free_sgpr 0
		.amdhsa_accum_offset 4
		.amdhsa_reserve_vcc 0
		.amdhsa_float_round_mode_32 0
		.amdhsa_float_round_mode_16_64 0
		.amdhsa_float_denorm_mode_32 3
		.amdhsa_float_denorm_mode_16_64 3
		.amdhsa_dx10_clamp 1
		.amdhsa_ieee_mode 1
		.amdhsa_fp16_overflow 0
		.amdhsa_tg_split 0
		.amdhsa_exception_fp_ieee_invalid_op 0
		.amdhsa_exception_fp_denorm_src 0
		.amdhsa_exception_fp_ieee_div_zero 0
		.amdhsa_exception_fp_ieee_overflow 0
		.amdhsa_exception_fp_ieee_underflow 0
		.amdhsa_exception_fp_ieee_inexact 0
		.amdhsa_exception_int_div_zero 0
	.end_amdhsa_kernel
	.section	.text._ZN7rocprim17ROCPRIM_400000_NS6detail17trampoline_kernelINS0_14default_configENS1_25partition_config_selectorILNS1_17partition_subalgoE1EtNS0_10empty_typeEbEEZZNS1_14partition_implILS5_1ELb0ES3_jN6thrust23THRUST_200600_302600_NS6detail15normal_iteratorINSA_10device_ptrItEEEEPS6_NSA_18transform_iteratorI7is_evenItESF_NSA_11use_defaultESK_EENS0_5tupleIJNSA_16discard_iteratorISK_EESO_EEENSM_IJSG_SG_EEES6_PlJS6_EEE10hipError_tPvRmT3_T4_T5_T6_T7_T9_mT8_P12ihipStream_tbDpT10_ENKUlT_T0_E_clISt17integral_constantIbLb1EES1A_IbLb0EEEEDaS16_S17_EUlS16_E_NS1_11comp_targetILNS1_3genE8ELNS1_11target_archE1030ELNS1_3gpuE2ELNS1_3repE0EEENS1_30default_config_static_selectorELNS0_4arch9wavefront6targetE1EEEvT1_,"axG",@progbits,_ZN7rocprim17ROCPRIM_400000_NS6detail17trampoline_kernelINS0_14default_configENS1_25partition_config_selectorILNS1_17partition_subalgoE1EtNS0_10empty_typeEbEEZZNS1_14partition_implILS5_1ELb0ES3_jN6thrust23THRUST_200600_302600_NS6detail15normal_iteratorINSA_10device_ptrItEEEEPS6_NSA_18transform_iteratorI7is_evenItESF_NSA_11use_defaultESK_EENS0_5tupleIJNSA_16discard_iteratorISK_EESO_EEENSM_IJSG_SG_EEES6_PlJS6_EEE10hipError_tPvRmT3_T4_T5_T6_T7_T9_mT8_P12ihipStream_tbDpT10_ENKUlT_T0_E_clISt17integral_constantIbLb1EES1A_IbLb0EEEEDaS16_S17_EUlS16_E_NS1_11comp_targetILNS1_3genE8ELNS1_11target_archE1030ELNS1_3gpuE2ELNS1_3repE0EEENS1_30default_config_static_selectorELNS0_4arch9wavefront6targetE1EEEvT1_,comdat
.Lfunc_end3090:
	.size	_ZN7rocprim17ROCPRIM_400000_NS6detail17trampoline_kernelINS0_14default_configENS1_25partition_config_selectorILNS1_17partition_subalgoE1EtNS0_10empty_typeEbEEZZNS1_14partition_implILS5_1ELb0ES3_jN6thrust23THRUST_200600_302600_NS6detail15normal_iteratorINSA_10device_ptrItEEEEPS6_NSA_18transform_iteratorI7is_evenItESF_NSA_11use_defaultESK_EENS0_5tupleIJNSA_16discard_iteratorISK_EESO_EEENSM_IJSG_SG_EEES6_PlJS6_EEE10hipError_tPvRmT3_T4_T5_T6_T7_T9_mT8_P12ihipStream_tbDpT10_ENKUlT_T0_E_clISt17integral_constantIbLb1EES1A_IbLb0EEEEDaS16_S17_EUlS16_E_NS1_11comp_targetILNS1_3genE8ELNS1_11target_archE1030ELNS1_3gpuE2ELNS1_3repE0EEENS1_30default_config_static_selectorELNS0_4arch9wavefront6targetE1EEEvT1_, .Lfunc_end3090-_ZN7rocprim17ROCPRIM_400000_NS6detail17trampoline_kernelINS0_14default_configENS1_25partition_config_selectorILNS1_17partition_subalgoE1EtNS0_10empty_typeEbEEZZNS1_14partition_implILS5_1ELb0ES3_jN6thrust23THRUST_200600_302600_NS6detail15normal_iteratorINSA_10device_ptrItEEEEPS6_NSA_18transform_iteratorI7is_evenItESF_NSA_11use_defaultESK_EENS0_5tupleIJNSA_16discard_iteratorISK_EESO_EEENSM_IJSG_SG_EEES6_PlJS6_EEE10hipError_tPvRmT3_T4_T5_T6_T7_T9_mT8_P12ihipStream_tbDpT10_ENKUlT_T0_E_clISt17integral_constantIbLb1EES1A_IbLb0EEEEDaS16_S17_EUlS16_E_NS1_11comp_targetILNS1_3genE8ELNS1_11target_archE1030ELNS1_3gpuE2ELNS1_3repE0EEENS1_30default_config_static_selectorELNS0_4arch9wavefront6targetE1EEEvT1_
                                        ; -- End function
	.section	.AMDGPU.csdata,"",@progbits
; Kernel info:
; codeLenInByte = 0
; NumSgprs: 6
; NumVgprs: 0
; NumAgprs: 0
; TotalNumVgprs: 0
; ScratchSize: 0
; MemoryBound: 0
; FloatMode: 240
; IeeeMode: 1
; LDSByteSize: 0 bytes/workgroup (compile time only)
; SGPRBlocks: 0
; VGPRBlocks: 0
; NumSGPRsForWavesPerEU: 6
; NumVGPRsForWavesPerEU: 1
; AccumOffset: 4
; Occupancy: 8
; WaveLimiterHint : 0
; COMPUTE_PGM_RSRC2:SCRATCH_EN: 0
; COMPUTE_PGM_RSRC2:USER_SGPR: 2
; COMPUTE_PGM_RSRC2:TRAP_HANDLER: 0
; COMPUTE_PGM_RSRC2:TGID_X_EN: 1
; COMPUTE_PGM_RSRC2:TGID_Y_EN: 0
; COMPUTE_PGM_RSRC2:TGID_Z_EN: 0
; COMPUTE_PGM_RSRC2:TIDIG_COMP_CNT: 0
; COMPUTE_PGM_RSRC3_GFX90A:ACCUM_OFFSET: 0
; COMPUTE_PGM_RSRC3_GFX90A:TG_SPLIT: 0
	.section	.text._ZN7rocprim17ROCPRIM_400000_NS6detail17trampoline_kernelINS0_14default_configENS1_25partition_config_selectorILNS1_17partition_subalgoE1EtNS0_10empty_typeEbEEZZNS1_14partition_implILS5_1ELb0ES3_jN6thrust23THRUST_200600_302600_NS6detail15normal_iteratorINSA_10device_ptrItEEEEPS6_NSA_18transform_iteratorI7is_evenItESF_NSA_11use_defaultESK_EENS0_5tupleIJNSA_16discard_iteratorISK_EESO_EEENSM_IJSG_SG_EEES6_PlJS6_EEE10hipError_tPvRmT3_T4_T5_T6_T7_T9_mT8_P12ihipStream_tbDpT10_ENKUlT_T0_E_clISt17integral_constantIbLb0EES1A_IbLb1EEEEDaS16_S17_EUlS16_E_NS1_11comp_targetILNS1_3genE0ELNS1_11target_archE4294967295ELNS1_3gpuE0ELNS1_3repE0EEENS1_30default_config_static_selectorELNS0_4arch9wavefront6targetE1EEEvT1_,"axG",@progbits,_ZN7rocprim17ROCPRIM_400000_NS6detail17trampoline_kernelINS0_14default_configENS1_25partition_config_selectorILNS1_17partition_subalgoE1EtNS0_10empty_typeEbEEZZNS1_14partition_implILS5_1ELb0ES3_jN6thrust23THRUST_200600_302600_NS6detail15normal_iteratorINSA_10device_ptrItEEEEPS6_NSA_18transform_iteratorI7is_evenItESF_NSA_11use_defaultESK_EENS0_5tupleIJNSA_16discard_iteratorISK_EESO_EEENSM_IJSG_SG_EEES6_PlJS6_EEE10hipError_tPvRmT3_T4_T5_T6_T7_T9_mT8_P12ihipStream_tbDpT10_ENKUlT_T0_E_clISt17integral_constantIbLb0EES1A_IbLb1EEEEDaS16_S17_EUlS16_E_NS1_11comp_targetILNS1_3genE0ELNS1_11target_archE4294967295ELNS1_3gpuE0ELNS1_3repE0EEENS1_30default_config_static_selectorELNS0_4arch9wavefront6targetE1EEEvT1_,comdat
	.protected	_ZN7rocprim17ROCPRIM_400000_NS6detail17trampoline_kernelINS0_14default_configENS1_25partition_config_selectorILNS1_17partition_subalgoE1EtNS0_10empty_typeEbEEZZNS1_14partition_implILS5_1ELb0ES3_jN6thrust23THRUST_200600_302600_NS6detail15normal_iteratorINSA_10device_ptrItEEEEPS6_NSA_18transform_iteratorI7is_evenItESF_NSA_11use_defaultESK_EENS0_5tupleIJNSA_16discard_iteratorISK_EESO_EEENSM_IJSG_SG_EEES6_PlJS6_EEE10hipError_tPvRmT3_T4_T5_T6_T7_T9_mT8_P12ihipStream_tbDpT10_ENKUlT_T0_E_clISt17integral_constantIbLb0EES1A_IbLb1EEEEDaS16_S17_EUlS16_E_NS1_11comp_targetILNS1_3genE0ELNS1_11target_archE4294967295ELNS1_3gpuE0ELNS1_3repE0EEENS1_30default_config_static_selectorELNS0_4arch9wavefront6targetE1EEEvT1_ ; -- Begin function _ZN7rocprim17ROCPRIM_400000_NS6detail17trampoline_kernelINS0_14default_configENS1_25partition_config_selectorILNS1_17partition_subalgoE1EtNS0_10empty_typeEbEEZZNS1_14partition_implILS5_1ELb0ES3_jN6thrust23THRUST_200600_302600_NS6detail15normal_iteratorINSA_10device_ptrItEEEEPS6_NSA_18transform_iteratorI7is_evenItESF_NSA_11use_defaultESK_EENS0_5tupleIJNSA_16discard_iteratorISK_EESO_EEENSM_IJSG_SG_EEES6_PlJS6_EEE10hipError_tPvRmT3_T4_T5_T6_T7_T9_mT8_P12ihipStream_tbDpT10_ENKUlT_T0_E_clISt17integral_constantIbLb0EES1A_IbLb1EEEEDaS16_S17_EUlS16_E_NS1_11comp_targetILNS1_3genE0ELNS1_11target_archE4294967295ELNS1_3gpuE0ELNS1_3repE0EEENS1_30default_config_static_selectorELNS0_4arch9wavefront6targetE1EEEvT1_
	.globl	_ZN7rocprim17ROCPRIM_400000_NS6detail17trampoline_kernelINS0_14default_configENS1_25partition_config_selectorILNS1_17partition_subalgoE1EtNS0_10empty_typeEbEEZZNS1_14partition_implILS5_1ELb0ES3_jN6thrust23THRUST_200600_302600_NS6detail15normal_iteratorINSA_10device_ptrItEEEEPS6_NSA_18transform_iteratorI7is_evenItESF_NSA_11use_defaultESK_EENS0_5tupleIJNSA_16discard_iteratorISK_EESO_EEENSM_IJSG_SG_EEES6_PlJS6_EEE10hipError_tPvRmT3_T4_T5_T6_T7_T9_mT8_P12ihipStream_tbDpT10_ENKUlT_T0_E_clISt17integral_constantIbLb0EES1A_IbLb1EEEEDaS16_S17_EUlS16_E_NS1_11comp_targetILNS1_3genE0ELNS1_11target_archE4294967295ELNS1_3gpuE0ELNS1_3repE0EEENS1_30default_config_static_selectorELNS0_4arch9wavefront6targetE1EEEvT1_
	.p2align	8
	.type	_ZN7rocprim17ROCPRIM_400000_NS6detail17trampoline_kernelINS0_14default_configENS1_25partition_config_selectorILNS1_17partition_subalgoE1EtNS0_10empty_typeEbEEZZNS1_14partition_implILS5_1ELb0ES3_jN6thrust23THRUST_200600_302600_NS6detail15normal_iteratorINSA_10device_ptrItEEEEPS6_NSA_18transform_iteratorI7is_evenItESF_NSA_11use_defaultESK_EENS0_5tupleIJNSA_16discard_iteratorISK_EESO_EEENSM_IJSG_SG_EEES6_PlJS6_EEE10hipError_tPvRmT3_T4_T5_T6_T7_T9_mT8_P12ihipStream_tbDpT10_ENKUlT_T0_E_clISt17integral_constantIbLb0EES1A_IbLb1EEEEDaS16_S17_EUlS16_E_NS1_11comp_targetILNS1_3genE0ELNS1_11target_archE4294967295ELNS1_3gpuE0ELNS1_3repE0EEENS1_30default_config_static_selectorELNS0_4arch9wavefront6targetE1EEEvT1_,@function
_ZN7rocprim17ROCPRIM_400000_NS6detail17trampoline_kernelINS0_14default_configENS1_25partition_config_selectorILNS1_17partition_subalgoE1EtNS0_10empty_typeEbEEZZNS1_14partition_implILS5_1ELb0ES3_jN6thrust23THRUST_200600_302600_NS6detail15normal_iteratorINSA_10device_ptrItEEEEPS6_NSA_18transform_iteratorI7is_evenItESF_NSA_11use_defaultESK_EENS0_5tupleIJNSA_16discard_iteratorISK_EESO_EEENSM_IJSG_SG_EEES6_PlJS6_EEE10hipError_tPvRmT3_T4_T5_T6_T7_T9_mT8_P12ihipStream_tbDpT10_ENKUlT_T0_E_clISt17integral_constantIbLb0EES1A_IbLb1EEEEDaS16_S17_EUlS16_E_NS1_11comp_targetILNS1_3genE0ELNS1_11target_archE4294967295ELNS1_3gpuE0ELNS1_3repE0EEENS1_30default_config_static_selectorELNS0_4arch9wavefront6targetE1EEEvT1_: ; @_ZN7rocprim17ROCPRIM_400000_NS6detail17trampoline_kernelINS0_14default_configENS1_25partition_config_selectorILNS1_17partition_subalgoE1EtNS0_10empty_typeEbEEZZNS1_14partition_implILS5_1ELb0ES3_jN6thrust23THRUST_200600_302600_NS6detail15normal_iteratorINSA_10device_ptrItEEEEPS6_NSA_18transform_iteratorI7is_evenItESF_NSA_11use_defaultESK_EENS0_5tupleIJNSA_16discard_iteratorISK_EESO_EEENSM_IJSG_SG_EEES6_PlJS6_EEE10hipError_tPvRmT3_T4_T5_T6_T7_T9_mT8_P12ihipStream_tbDpT10_ENKUlT_T0_E_clISt17integral_constantIbLb0EES1A_IbLb1EEEEDaS16_S17_EUlS16_E_NS1_11comp_targetILNS1_3genE0ELNS1_11target_archE4294967295ELNS1_3gpuE0ELNS1_3repE0EEENS1_30default_config_static_selectorELNS0_4arch9wavefront6targetE1EEEvT1_
; %bb.0:
	.section	.rodata,"a",@progbits
	.p2align	6, 0x0
	.amdhsa_kernel _ZN7rocprim17ROCPRIM_400000_NS6detail17trampoline_kernelINS0_14default_configENS1_25partition_config_selectorILNS1_17partition_subalgoE1EtNS0_10empty_typeEbEEZZNS1_14partition_implILS5_1ELb0ES3_jN6thrust23THRUST_200600_302600_NS6detail15normal_iteratorINSA_10device_ptrItEEEEPS6_NSA_18transform_iteratorI7is_evenItESF_NSA_11use_defaultESK_EENS0_5tupleIJNSA_16discard_iteratorISK_EESO_EEENSM_IJSG_SG_EEES6_PlJS6_EEE10hipError_tPvRmT3_T4_T5_T6_T7_T9_mT8_P12ihipStream_tbDpT10_ENKUlT_T0_E_clISt17integral_constantIbLb0EES1A_IbLb1EEEEDaS16_S17_EUlS16_E_NS1_11comp_targetILNS1_3genE0ELNS1_11target_archE4294967295ELNS1_3gpuE0ELNS1_3repE0EEENS1_30default_config_static_selectorELNS0_4arch9wavefront6targetE1EEEvT1_
		.amdhsa_group_segment_fixed_size 0
		.amdhsa_private_segment_fixed_size 0
		.amdhsa_kernarg_size 160
		.amdhsa_user_sgpr_count 2
		.amdhsa_user_sgpr_dispatch_ptr 0
		.amdhsa_user_sgpr_queue_ptr 0
		.amdhsa_user_sgpr_kernarg_segment_ptr 1
		.amdhsa_user_sgpr_dispatch_id 0
		.amdhsa_user_sgpr_kernarg_preload_length 0
		.amdhsa_user_sgpr_kernarg_preload_offset 0
		.amdhsa_user_sgpr_private_segment_size 0
		.amdhsa_uses_dynamic_stack 0
		.amdhsa_enable_private_segment 0
		.amdhsa_system_sgpr_workgroup_id_x 1
		.amdhsa_system_sgpr_workgroup_id_y 0
		.amdhsa_system_sgpr_workgroup_id_z 0
		.amdhsa_system_sgpr_workgroup_info 0
		.amdhsa_system_vgpr_workitem_id 0
		.amdhsa_next_free_vgpr 1
		.amdhsa_next_free_sgpr 0
		.amdhsa_accum_offset 4
		.amdhsa_reserve_vcc 0
		.amdhsa_float_round_mode_32 0
		.amdhsa_float_round_mode_16_64 0
		.amdhsa_float_denorm_mode_32 3
		.amdhsa_float_denorm_mode_16_64 3
		.amdhsa_dx10_clamp 1
		.amdhsa_ieee_mode 1
		.amdhsa_fp16_overflow 0
		.amdhsa_tg_split 0
		.amdhsa_exception_fp_ieee_invalid_op 0
		.amdhsa_exception_fp_denorm_src 0
		.amdhsa_exception_fp_ieee_div_zero 0
		.amdhsa_exception_fp_ieee_overflow 0
		.amdhsa_exception_fp_ieee_underflow 0
		.amdhsa_exception_fp_ieee_inexact 0
		.amdhsa_exception_int_div_zero 0
	.end_amdhsa_kernel
	.section	.text._ZN7rocprim17ROCPRIM_400000_NS6detail17trampoline_kernelINS0_14default_configENS1_25partition_config_selectorILNS1_17partition_subalgoE1EtNS0_10empty_typeEbEEZZNS1_14partition_implILS5_1ELb0ES3_jN6thrust23THRUST_200600_302600_NS6detail15normal_iteratorINSA_10device_ptrItEEEEPS6_NSA_18transform_iteratorI7is_evenItESF_NSA_11use_defaultESK_EENS0_5tupleIJNSA_16discard_iteratorISK_EESO_EEENSM_IJSG_SG_EEES6_PlJS6_EEE10hipError_tPvRmT3_T4_T5_T6_T7_T9_mT8_P12ihipStream_tbDpT10_ENKUlT_T0_E_clISt17integral_constantIbLb0EES1A_IbLb1EEEEDaS16_S17_EUlS16_E_NS1_11comp_targetILNS1_3genE0ELNS1_11target_archE4294967295ELNS1_3gpuE0ELNS1_3repE0EEENS1_30default_config_static_selectorELNS0_4arch9wavefront6targetE1EEEvT1_,"axG",@progbits,_ZN7rocprim17ROCPRIM_400000_NS6detail17trampoline_kernelINS0_14default_configENS1_25partition_config_selectorILNS1_17partition_subalgoE1EtNS0_10empty_typeEbEEZZNS1_14partition_implILS5_1ELb0ES3_jN6thrust23THRUST_200600_302600_NS6detail15normal_iteratorINSA_10device_ptrItEEEEPS6_NSA_18transform_iteratorI7is_evenItESF_NSA_11use_defaultESK_EENS0_5tupleIJNSA_16discard_iteratorISK_EESO_EEENSM_IJSG_SG_EEES6_PlJS6_EEE10hipError_tPvRmT3_T4_T5_T6_T7_T9_mT8_P12ihipStream_tbDpT10_ENKUlT_T0_E_clISt17integral_constantIbLb0EES1A_IbLb1EEEEDaS16_S17_EUlS16_E_NS1_11comp_targetILNS1_3genE0ELNS1_11target_archE4294967295ELNS1_3gpuE0ELNS1_3repE0EEENS1_30default_config_static_selectorELNS0_4arch9wavefront6targetE1EEEvT1_,comdat
.Lfunc_end3091:
	.size	_ZN7rocprim17ROCPRIM_400000_NS6detail17trampoline_kernelINS0_14default_configENS1_25partition_config_selectorILNS1_17partition_subalgoE1EtNS0_10empty_typeEbEEZZNS1_14partition_implILS5_1ELb0ES3_jN6thrust23THRUST_200600_302600_NS6detail15normal_iteratorINSA_10device_ptrItEEEEPS6_NSA_18transform_iteratorI7is_evenItESF_NSA_11use_defaultESK_EENS0_5tupleIJNSA_16discard_iteratorISK_EESO_EEENSM_IJSG_SG_EEES6_PlJS6_EEE10hipError_tPvRmT3_T4_T5_T6_T7_T9_mT8_P12ihipStream_tbDpT10_ENKUlT_T0_E_clISt17integral_constantIbLb0EES1A_IbLb1EEEEDaS16_S17_EUlS16_E_NS1_11comp_targetILNS1_3genE0ELNS1_11target_archE4294967295ELNS1_3gpuE0ELNS1_3repE0EEENS1_30default_config_static_selectorELNS0_4arch9wavefront6targetE1EEEvT1_, .Lfunc_end3091-_ZN7rocprim17ROCPRIM_400000_NS6detail17trampoline_kernelINS0_14default_configENS1_25partition_config_selectorILNS1_17partition_subalgoE1EtNS0_10empty_typeEbEEZZNS1_14partition_implILS5_1ELb0ES3_jN6thrust23THRUST_200600_302600_NS6detail15normal_iteratorINSA_10device_ptrItEEEEPS6_NSA_18transform_iteratorI7is_evenItESF_NSA_11use_defaultESK_EENS0_5tupleIJNSA_16discard_iteratorISK_EESO_EEENSM_IJSG_SG_EEES6_PlJS6_EEE10hipError_tPvRmT3_T4_T5_T6_T7_T9_mT8_P12ihipStream_tbDpT10_ENKUlT_T0_E_clISt17integral_constantIbLb0EES1A_IbLb1EEEEDaS16_S17_EUlS16_E_NS1_11comp_targetILNS1_3genE0ELNS1_11target_archE4294967295ELNS1_3gpuE0ELNS1_3repE0EEENS1_30default_config_static_selectorELNS0_4arch9wavefront6targetE1EEEvT1_
                                        ; -- End function
	.section	.AMDGPU.csdata,"",@progbits
; Kernel info:
; codeLenInByte = 0
; NumSgprs: 6
; NumVgprs: 0
; NumAgprs: 0
; TotalNumVgprs: 0
; ScratchSize: 0
; MemoryBound: 0
; FloatMode: 240
; IeeeMode: 1
; LDSByteSize: 0 bytes/workgroup (compile time only)
; SGPRBlocks: 0
; VGPRBlocks: 0
; NumSGPRsForWavesPerEU: 6
; NumVGPRsForWavesPerEU: 1
; AccumOffset: 4
; Occupancy: 8
; WaveLimiterHint : 0
; COMPUTE_PGM_RSRC2:SCRATCH_EN: 0
; COMPUTE_PGM_RSRC2:USER_SGPR: 2
; COMPUTE_PGM_RSRC2:TRAP_HANDLER: 0
; COMPUTE_PGM_RSRC2:TGID_X_EN: 1
; COMPUTE_PGM_RSRC2:TGID_Y_EN: 0
; COMPUTE_PGM_RSRC2:TGID_Z_EN: 0
; COMPUTE_PGM_RSRC2:TIDIG_COMP_CNT: 0
; COMPUTE_PGM_RSRC3_GFX90A:ACCUM_OFFSET: 0
; COMPUTE_PGM_RSRC3_GFX90A:TG_SPLIT: 0
	.section	.text._ZN7rocprim17ROCPRIM_400000_NS6detail17trampoline_kernelINS0_14default_configENS1_25partition_config_selectorILNS1_17partition_subalgoE1EtNS0_10empty_typeEbEEZZNS1_14partition_implILS5_1ELb0ES3_jN6thrust23THRUST_200600_302600_NS6detail15normal_iteratorINSA_10device_ptrItEEEEPS6_NSA_18transform_iteratorI7is_evenItESF_NSA_11use_defaultESK_EENS0_5tupleIJNSA_16discard_iteratorISK_EESO_EEENSM_IJSG_SG_EEES6_PlJS6_EEE10hipError_tPvRmT3_T4_T5_T6_T7_T9_mT8_P12ihipStream_tbDpT10_ENKUlT_T0_E_clISt17integral_constantIbLb0EES1A_IbLb1EEEEDaS16_S17_EUlS16_E_NS1_11comp_targetILNS1_3genE5ELNS1_11target_archE942ELNS1_3gpuE9ELNS1_3repE0EEENS1_30default_config_static_selectorELNS0_4arch9wavefront6targetE1EEEvT1_,"axG",@progbits,_ZN7rocprim17ROCPRIM_400000_NS6detail17trampoline_kernelINS0_14default_configENS1_25partition_config_selectorILNS1_17partition_subalgoE1EtNS0_10empty_typeEbEEZZNS1_14partition_implILS5_1ELb0ES3_jN6thrust23THRUST_200600_302600_NS6detail15normal_iteratorINSA_10device_ptrItEEEEPS6_NSA_18transform_iteratorI7is_evenItESF_NSA_11use_defaultESK_EENS0_5tupleIJNSA_16discard_iteratorISK_EESO_EEENSM_IJSG_SG_EEES6_PlJS6_EEE10hipError_tPvRmT3_T4_T5_T6_T7_T9_mT8_P12ihipStream_tbDpT10_ENKUlT_T0_E_clISt17integral_constantIbLb0EES1A_IbLb1EEEEDaS16_S17_EUlS16_E_NS1_11comp_targetILNS1_3genE5ELNS1_11target_archE942ELNS1_3gpuE9ELNS1_3repE0EEENS1_30default_config_static_selectorELNS0_4arch9wavefront6targetE1EEEvT1_,comdat
	.protected	_ZN7rocprim17ROCPRIM_400000_NS6detail17trampoline_kernelINS0_14default_configENS1_25partition_config_selectorILNS1_17partition_subalgoE1EtNS0_10empty_typeEbEEZZNS1_14partition_implILS5_1ELb0ES3_jN6thrust23THRUST_200600_302600_NS6detail15normal_iteratorINSA_10device_ptrItEEEEPS6_NSA_18transform_iteratorI7is_evenItESF_NSA_11use_defaultESK_EENS0_5tupleIJNSA_16discard_iteratorISK_EESO_EEENSM_IJSG_SG_EEES6_PlJS6_EEE10hipError_tPvRmT3_T4_T5_T6_T7_T9_mT8_P12ihipStream_tbDpT10_ENKUlT_T0_E_clISt17integral_constantIbLb0EES1A_IbLb1EEEEDaS16_S17_EUlS16_E_NS1_11comp_targetILNS1_3genE5ELNS1_11target_archE942ELNS1_3gpuE9ELNS1_3repE0EEENS1_30default_config_static_selectorELNS0_4arch9wavefront6targetE1EEEvT1_ ; -- Begin function _ZN7rocprim17ROCPRIM_400000_NS6detail17trampoline_kernelINS0_14default_configENS1_25partition_config_selectorILNS1_17partition_subalgoE1EtNS0_10empty_typeEbEEZZNS1_14partition_implILS5_1ELb0ES3_jN6thrust23THRUST_200600_302600_NS6detail15normal_iteratorINSA_10device_ptrItEEEEPS6_NSA_18transform_iteratorI7is_evenItESF_NSA_11use_defaultESK_EENS0_5tupleIJNSA_16discard_iteratorISK_EESO_EEENSM_IJSG_SG_EEES6_PlJS6_EEE10hipError_tPvRmT3_T4_T5_T6_T7_T9_mT8_P12ihipStream_tbDpT10_ENKUlT_T0_E_clISt17integral_constantIbLb0EES1A_IbLb1EEEEDaS16_S17_EUlS16_E_NS1_11comp_targetILNS1_3genE5ELNS1_11target_archE942ELNS1_3gpuE9ELNS1_3repE0EEENS1_30default_config_static_selectorELNS0_4arch9wavefront6targetE1EEEvT1_
	.globl	_ZN7rocprim17ROCPRIM_400000_NS6detail17trampoline_kernelINS0_14default_configENS1_25partition_config_selectorILNS1_17partition_subalgoE1EtNS0_10empty_typeEbEEZZNS1_14partition_implILS5_1ELb0ES3_jN6thrust23THRUST_200600_302600_NS6detail15normal_iteratorINSA_10device_ptrItEEEEPS6_NSA_18transform_iteratorI7is_evenItESF_NSA_11use_defaultESK_EENS0_5tupleIJNSA_16discard_iteratorISK_EESO_EEENSM_IJSG_SG_EEES6_PlJS6_EEE10hipError_tPvRmT3_T4_T5_T6_T7_T9_mT8_P12ihipStream_tbDpT10_ENKUlT_T0_E_clISt17integral_constantIbLb0EES1A_IbLb1EEEEDaS16_S17_EUlS16_E_NS1_11comp_targetILNS1_3genE5ELNS1_11target_archE942ELNS1_3gpuE9ELNS1_3repE0EEENS1_30default_config_static_selectorELNS0_4arch9wavefront6targetE1EEEvT1_
	.p2align	8
	.type	_ZN7rocprim17ROCPRIM_400000_NS6detail17trampoline_kernelINS0_14default_configENS1_25partition_config_selectorILNS1_17partition_subalgoE1EtNS0_10empty_typeEbEEZZNS1_14partition_implILS5_1ELb0ES3_jN6thrust23THRUST_200600_302600_NS6detail15normal_iteratorINSA_10device_ptrItEEEEPS6_NSA_18transform_iteratorI7is_evenItESF_NSA_11use_defaultESK_EENS0_5tupleIJNSA_16discard_iteratorISK_EESO_EEENSM_IJSG_SG_EEES6_PlJS6_EEE10hipError_tPvRmT3_T4_T5_T6_T7_T9_mT8_P12ihipStream_tbDpT10_ENKUlT_T0_E_clISt17integral_constantIbLb0EES1A_IbLb1EEEEDaS16_S17_EUlS16_E_NS1_11comp_targetILNS1_3genE5ELNS1_11target_archE942ELNS1_3gpuE9ELNS1_3repE0EEENS1_30default_config_static_selectorELNS0_4arch9wavefront6targetE1EEEvT1_,@function
_ZN7rocprim17ROCPRIM_400000_NS6detail17trampoline_kernelINS0_14default_configENS1_25partition_config_selectorILNS1_17partition_subalgoE1EtNS0_10empty_typeEbEEZZNS1_14partition_implILS5_1ELb0ES3_jN6thrust23THRUST_200600_302600_NS6detail15normal_iteratorINSA_10device_ptrItEEEEPS6_NSA_18transform_iteratorI7is_evenItESF_NSA_11use_defaultESK_EENS0_5tupleIJNSA_16discard_iteratorISK_EESO_EEENSM_IJSG_SG_EEES6_PlJS6_EEE10hipError_tPvRmT3_T4_T5_T6_T7_T9_mT8_P12ihipStream_tbDpT10_ENKUlT_T0_E_clISt17integral_constantIbLb0EES1A_IbLb1EEEEDaS16_S17_EUlS16_E_NS1_11comp_targetILNS1_3genE5ELNS1_11target_archE942ELNS1_3gpuE9ELNS1_3repE0EEENS1_30default_config_static_selectorELNS0_4arch9wavefront6targetE1EEEvT1_: ; @_ZN7rocprim17ROCPRIM_400000_NS6detail17trampoline_kernelINS0_14default_configENS1_25partition_config_selectorILNS1_17partition_subalgoE1EtNS0_10empty_typeEbEEZZNS1_14partition_implILS5_1ELb0ES3_jN6thrust23THRUST_200600_302600_NS6detail15normal_iteratorINSA_10device_ptrItEEEEPS6_NSA_18transform_iteratorI7is_evenItESF_NSA_11use_defaultESK_EENS0_5tupleIJNSA_16discard_iteratorISK_EESO_EEENSM_IJSG_SG_EEES6_PlJS6_EEE10hipError_tPvRmT3_T4_T5_T6_T7_T9_mT8_P12ihipStream_tbDpT10_ENKUlT_T0_E_clISt17integral_constantIbLb0EES1A_IbLb1EEEEDaS16_S17_EUlS16_E_NS1_11comp_targetILNS1_3genE5ELNS1_11target_archE942ELNS1_3gpuE9ELNS1_3repE0EEENS1_30default_config_static_selectorELNS0_4arch9wavefront6targetE1EEEvT1_
; %bb.0:
	s_load_dwordx2 s[2:3], s[0:1], 0x20
	s_load_dwordx4 s[20:23], s[0:1], 0x60
	s_load_dwordx2 s[10:11], s[0:1], 0x70
	s_load_dwordx2 s[24:25], s[0:1], 0x80
	v_cmp_eq_u32_e64 s[18:19], 0, v0
	s_and_saveexec_b64 s[4:5], s[18:19]
	s_cbranch_execz .LBB3092_4
; %bb.1:
	s_mov_b64 s[8:9], exec
	v_mbcnt_lo_u32_b32 v1, s8, 0
	v_mbcnt_hi_u32_b32 v1, s9, v1
	v_cmp_eq_u32_e32 vcc, 0, v1
                                        ; implicit-def: $vgpr2
	s_and_saveexec_b64 s[6:7], vcc
	s_cbranch_execz .LBB3092_3
; %bb.2:
	s_load_dwordx2 s[12:13], s[0:1], 0x90
	s_bcnt1_i32_b64 s8, s[8:9]
	v_mov_b32_e32 v2, 0
	v_mov_b32_e32 v3, s8
	s_waitcnt lgkmcnt(0)
	global_atomic_add v2, v2, v3, s[12:13] sc0
.LBB3092_3:
	s_or_b64 exec, exec, s[6:7]
	s_waitcnt vmcnt(0)
	v_readfirstlane_b32 s6, v2
	v_mov_b32_e32 v2, 0
	s_nop 0
	v_add_u32_e32 v1, s6, v1
	ds_write_b32 v2, v1
.LBB3092_4:
	s_or_b64 exec, exec, s[4:5]
	v_mov_b32_e32 v19, 0
	s_load_dwordx4 s[4:7], s[0:1], 0x8
	s_load_dword s12, s[0:1], 0x88
	s_waitcnt lgkmcnt(0)
	s_barrier
	ds_read_b32 v1, v19
	s_waitcnt lgkmcnt(0)
	s_barrier
	global_load_dwordx2 v[14:15], v19, s[22:23]
	s_lshl_b64 s[8:9], s[6:7], 1
	v_mov_b32_e32 v3, s11
	s_add_u32 s11, s4, s8
	s_mul_i32 s4, s12, 0x3800
	s_addc_u32 s13, s5, s9
	s_add_i32 s1, s4, s6
	s_sub_i32 s14, s10, s1
	s_add_i32 s15, s12, -1
	s_addk_i32 s14, 0x3800
	s_add_u32 s4, s6, s4
	v_readfirstlane_b32 s30, v1
	s_addc_u32 s5, s7, 0
	s_cmp_eq_u32 s30, s15
	v_mov_b32_e32 v2, s10
	s_cselect_b64 s[22:23], -1, 0
	s_cmp_lg_u32 s30, s15
	s_mul_i32 s0, s30, 0x3800
	s_mov_b32 s1, 0
	v_cmp_lt_u64_e32 vcc, s[4:5], v[2:3]
	s_cselect_b64 s[4:5], -1, 0
	s_or_b64 s[4:5], vcc, s[4:5]
	s_lshl_b64 s[6:7], s[0:1], 1
	s_add_u32 s10, s11, s6
	s_addc_u32 s11, s13, s7
	s_mov_b64 s[0:1], -1
	s_and_b64 vcc, exec, s[4:5]
	v_lshlrev_b32_e32 v18, 1, v0
	s_cbranch_vccz .LBB3092_6
; %bb.5:
	v_lshl_add_u64 v[2:3], s[10:11], 0, v[18:19]
	v_add_co_u32_e32 v4, vcc, 0x1000, v2
	s_mov_b64 s[0:1], 0
	s_nop 0
	v_addc_co_u32_e32 v5, vcc, 0, v3, vcc
	flat_load_ushort v1, v[2:3]
	flat_load_ushort v8, v[2:3] offset:1024
	flat_load_ushort v9, v[2:3] offset:2048
	;; [unrolled: 1-line block ×3, first 2 shown]
	flat_load_ushort v11, v[4:5]
	flat_load_ushort v12, v[4:5] offset:1024
	flat_load_ushort v13, v[4:5] offset:2048
	;; [unrolled: 1-line block ×3, first 2 shown]
	v_add_co_u32_e32 v4, vcc, 0x2000, v2
	s_nop 1
	v_addc_co_u32_e32 v5, vcc, 0, v3, vcc
	v_add_co_u32_e32 v6, vcc, 0x3000, v2
	s_nop 1
	v_addc_co_u32_e32 v7, vcc, 0, v3, vcc
	flat_load_ushort v17, v[4:5]
	flat_load_ushort v19, v[4:5] offset:1024
	flat_load_ushort v20, v[4:5] offset:2048
	;; [unrolled: 1-line block ×3, first 2 shown]
	flat_load_ushort v22, v[6:7]
	flat_load_ushort v23, v[6:7] offset:1024
	flat_load_ushort v24, v[6:7] offset:2048
	;; [unrolled: 1-line block ×3, first 2 shown]
	v_add_co_u32_e32 v4, vcc, 0x4000, v2
	s_nop 1
	v_addc_co_u32_e32 v5, vcc, 0, v3, vcc
	v_add_co_u32_e32 v6, vcc, 0x5000, v2
	s_nop 1
	v_addc_co_u32_e32 v7, vcc, 0, v3, vcc
	v_add_co_u32_e32 v2, vcc, 0x6000, v2
	flat_load_ushort v26, v[4:5]
	flat_load_ushort v27, v[4:5] offset:1024
	flat_load_ushort v28, v[4:5] offset:2048
	;; [unrolled: 1-line block ×3, first 2 shown]
	flat_load_ushort v30, v[6:7]
	flat_load_ushort v31, v[6:7] offset:1024
	flat_load_ushort v32, v[6:7] offset:2048
	;; [unrolled: 1-line block ×3, first 2 shown]
	v_addc_co_u32_e32 v3, vcc, 0, v3, vcc
	flat_load_ushort v4, v[2:3]
	flat_load_ushort v5, v[2:3] offset:1024
	flat_load_ushort v6, v[2:3] offset:2048
	;; [unrolled: 1-line block ×3, first 2 shown]
	s_waitcnt vmcnt(0) lgkmcnt(0)
	ds_write_b16 v18, v1
	ds_write_b16 v18, v8 offset:1024
	ds_write_b16 v18, v9 offset:2048
	;; [unrolled: 1-line block ×27, first 2 shown]
	s_waitcnt lgkmcnt(0)
	s_barrier
.LBB3092_6:
	s_andn2_b64 vcc, exec, s[0:1]
	v_cmp_gt_u32_e64 s[0:1], s14, v0
	s_cbranch_vccnz .LBB3092_64
; %bb.7:
                                        ; implicit-def: $vgpr1
	s_and_saveexec_b64 s[12:13], s[0:1]
	s_cbranch_execz .LBB3092_9
; %bb.8:
	v_mov_b32_e32 v19, 0
	v_lshl_add_u64 v[2:3], s[10:11], 0, v[18:19]
	flat_load_ushort v1, v[2:3]
.LBB3092_9:
	s_or_b64 exec, exec, s[12:13]
	v_or_b32_e32 v2, 0x200, v0
	v_cmp_gt_u32_e32 vcc, s14, v2
                                        ; implicit-def: $vgpr2
	s_and_saveexec_b64 s[0:1], vcc
	s_cbranch_execz .LBB3092_11
; %bb.10:
	v_mov_b32_e32 v19, 0
	v_lshl_add_u64 v[2:3], s[10:11], 0, v[18:19]
	flat_load_ushort v2, v[2:3] offset:1024
.LBB3092_11:
	s_or_b64 exec, exec, s[0:1]
	v_or_b32_e32 v3, 0x400, v0
	v_cmp_gt_u32_e32 vcc, s14, v3
                                        ; implicit-def: $vgpr3
	s_and_saveexec_b64 s[0:1], vcc
	s_cbranch_execz .LBB3092_13
; %bb.12:
	v_mov_b32_e32 v19, 0
	v_lshl_add_u64 v[4:5], s[10:11], 0, v[18:19]
	flat_load_ushort v3, v[4:5] offset:2048
.LBB3092_13:
	s_or_b64 exec, exec, s[0:1]
	v_or_b32_e32 v4, 0x600, v0
	v_cmp_gt_u32_e32 vcc, s14, v4
                                        ; implicit-def: $vgpr4
	s_and_saveexec_b64 s[0:1], vcc
	s_cbranch_execz .LBB3092_15
; %bb.14:
	v_mov_b32_e32 v19, 0
	v_lshl_add_u64 v[4:5], s[10:11], 0, v[18:19]
	flat_load_ushort v4, v[4:5] offset:3072
.LBB3092_15:
	s_or_b64 exec, exec, s[0:1]
	v_or_b32_e32 v6, 0x800, v0
	v_cmp_gt_u32_e32 vcc, s14, v6
                                        ; implicit-def: $vgpr5
	s_and_saveexec_b64 s[0:1], vcc
	s_cbranch_execz .LBB3092_17
; %bb.16:
	v_lshlrev_b32_e32 v6, 1, v6
	v_mov_b32_e32 v7, 0
	v_lshl_add_u64 v[6:7], s[10:11], 0, v[6:7]
	flat_load_ushort v5, v[6:7]
.LBB3092_17:
	s_or_b64 exec, exec, s[0:1]
	v_or_b32_e32 v7, 0xa00, v0
	v_cmp_gt_u32_e32 vcc, s14, v7
                                        ; implicit-def: $vgpr6
	s_and_saveexec_b64 s[0:1], vcc
	s_cbranch_execz .LBB3092_19
; %bb.18:
	v_lshlrev_b32_e32 v6, 1, v7
	v_mov_b32_e32 v7, 0
	v_lshl_add_u64 v[6:7], s[10:11], 0, v[6:7]
	flat_load_ushort v6, v[6:7]
.LBB3092_19:
	s_or_b64 exec, exec, s[0:1]
	v_or_b32_e32 v8, 0xc00, v0
	v_cmp_gt_u32_e32 vcc, s14, v8
                                        ; implicit-def: $vgpr7
	s_and_saveexec_b64 s[0:1], vcc
	s_cbranch_execz .LBB3092_21
; %bb.20:
	v_lshlrev_b32_e32 v8, 1, v8
	v_mov_b32_e32 v9, 0
	v_lshl_add_u64 v[8:9], s[10:11], 0, v[8:9]
	flat_load_ushort v7, v[8:9]
.LBB3092_21:
	s_or_b64 exec, exec, s[0:1]
	v_or_b32_e32 v9, 0xe00, v0
	v_cmp_gt_u32_e32 vcc, s14, v9
                                        ; implicit-def: $vgpr8
	s_and_saveexec_b64 s[0:1], vcc
	s_cbranch_execz .LBB3092_23
; %bb.22:
	v_lshlrev_b32_e32 v8, 1, v9
	v_mov_b32_e32 v9, 0
	v_lshl_add_u64 v[8:9], s[10:11], 0, v[8:9]
	flat_load_ushort v8, v[8:9]
.LBB3092_23:
	s_or_b64 exec, exec, s[0:1]
	v_or_b32_e32 v10, 0x1000, v0
	v_cmp_gt_u32_e32 vcc, s14, v10
                                        ; implicit-def: $vgpr9
	s_and_saveexec_b64 s[0:1], vcc
	s_cbranch_execz .LBB3092_25
; %bb.24:
	v_lshlrev_b32_e32 v10, 1, v10
	v_mov_b32_e32 v11, 0
	v_lshl_add_u64 v[10:11], s[10:11], 0, v[10:11]
	flat_load_ushort v9, v[10:11]
.LBB3092_25:
	s_or_b64 exec, exec, s[0:1]
	v_or_b32_e32 v11, 0x1200, v0
	v_cmp_gt_u32_e32 vcc, s14, v11
                                        ; implicit-def: $vgpr10
	s_and_saveexec_b64 s[0:1], vcc
	s_cbranch_execz .LBB3092_27
; %bb.26:
	v_lshlrev_b32_e32 v10, 1, v11
	v_mov_b32_e32 v11, 0
	v_lshl_add_u64 v[10:11], s[10:11], 0, v[10:11]
	flat_load_ushort v10, v[10:11]
.LBB3092_27:
	s_or_b64 exec, exec, s[0:1]
	v_or_b32_e32 v12, 0x1400, v0
	v_cmp_gt_u32_e32 vcc, s14, v12
                                        ; implicit-def: $vgpr11
	s_and_saveexec_b64 s[0:1], vcc
	s_cbranch_execz .LBB3092_29
; %bb.28:
	v_lshlrev_b32_e32 v12, 1, v12
	v_mov_b32_e32 v13, 0
	v_lshl_add_u64 v[12:13], s[10:11], 0, v[12:13]
	flat_load_ushort v11, v[12:13]
.LBB3092_29:
	s_or_b64 exec, exec, s[0:1]
	v_or_b32_e32 v13, 0x1600, v0
	v_cmp_gt_u32_e32 vcc, s14, v13
                                        ; implicit-def: $vgpr12
	s_and_saveexec_b64 s[0:1], vcc
	s_cbranch_execz .LBB3092_31
; %bb.30:
	v_lshlrev_b32_e32 v12, 1, v13
	v_mov_b32_e32 v13, 0
	v_lshl_add_u64 v[12:13], s[10:11], 0, v[12:13]
	flat_load_ushort v12, v[12:13]
.LBB3092_31:
	s_or_b64 exec, exec, s[0:1]
	v_or_b32_e32 v16, 0x1800, v0
	v_cmp_gt_u32_e32 vcc, s14, v16
                                        ; implicit-def: $vgpr13
	s_and_saveexec_b64 s[0:1], vcc
	s_cbranch_execz .LBB3092_33
; %bb.32:
	v_lshlrev_b32_e32 v16, 1, v16
	v_mov_b32_e32 v17, 0
	v_lshl_add_u64 v[16:17], s[10:11], 0, v[16:17]
	flat_load_ushort v13, v[16:17]
.LBB3092_33:
	s_or_b64 exec, exec, s[0:1]
	v_or_b32_e32 v17, 0x1a00, v0
	v_cmp_gt_u32_e32 vcc, s14, v17
                                        ; implicit-def: $vgpr16
	s_and_saveexec_b64 s[0:1], vcc
	s_cbranch_execz .LBB3092_35
; %bb.34:
	v_lshlrev_b32_e32 v16, 1, v17
	v_mov_b32_e32 v17, 0
	v_lshl_add_u64 v[16:17], s[10:11], 0, v[16:17]
	flat_load_ushort v16, v[16:17]
.LBB3092_35:
	s_or_b64 exec, exec, s[0:1]
	v_or_b32_e32 v19, 0x1c00, v0
	v_cmp_gt_u32_e32 vcc, s14, v19
                                        ; implicit-def: $vgpr17
	s_and_saveexec_b64 s[0:1], vcc
	s_cbranch_execz .LBB3092_37
; %bb.36:
	v_lshlrev_b32_e32 v20, 1, v19
	v_mov_b32_e32 v21, 0
	v_lshl_add_u64 v[20:21], s[10:11], 0, v[20:21]
	flat_load_ushort v17, v[20:21]
.LBB3092_37:
	s_or_b64 exec, exec, s[0:1]
	v_or_b32_e32 v20, 0x1e00, v0
	v_cmp_gt_u32_e32 vcc, s14, v20
                                        ; implicit-def: $vgpr19
	s_and_saveexec_b64 s[0:1], vcc
	s_cbranch_execz .LBB3092_39
; %bb.38:
	v_lshlrev_b32_e32 v20, 1, v20
	v_mov_b32_e32 v21, 0
	v_lshl_add_u64 v[20:21], s[10:11], 0, v[20:21]
	flat_load_ushort v19, v[20:21]
.LBB3092_39:
	s_or_b64 exec, exec, s[0:1]
	v_or_b32_e32 v21, 0x2000, v0
	v_cmp_gt_u32_e32 vcc, s14, v21
                                        ; implicit-def: $vgpr20
	s_and_saveexec_b64 s[0:1], vcc
	s_cbranch_execz .LBB3092_41
; %bb.40:
	v_lshlrev_b32_e32 v20, 1, v21
	v_mov_b32_e32 v21, 0
	v_lshl_add_u64 v[20:21], s[10:11], 0, v[20:21]
	flat_load_ushort v20, v[20:21]
.LBB3092_41:
	s_or_b64 exec, exec, s[0:1]
	v_or_b32_e32 v22, 0x2200, v0
	v_cmp_gt_u32_e32 vcc, s14, v22
                                        ; implicit-def: $vgpr21
	s_and_saveexec_b64 s[0:1], vcc
	s_cbranch_execz .LBB3092_43
; %bb.42:
	v_lshlrev_b32_e32 v22, 1, v22
	v_mov_b32_e32 v23, 0
	v_lshl_add_u64 v[22:23], s[10:11], 0, v[22:23]
	flat_load_ushort v21, v[22:23]
.LBB3092_43:
	s_or_b64 exec, exec, s[0:1]
	v_or_b32_e32 v23, 0x2400, v0
	v_cmp_gt_u32_e32 vcc, s14, v23
                                        ; implicit-def: $vgpr22
	s_and_saveexec_b64 s[0:1], vcc
	s_cbranch_execz .LBB3092_45
; %bb.44:
	v_lshlrev_b32_e32 v22, 1, v23
	v_mov_b32_e32 v23, 0
	v_lshl_add_u64 v[22:23], s[10:11], 0, v[22:23]
	flat_load_ushort v22, v[22:23]
.LBB3092_45:
	s_or_b64 exec, exec, s[0:1]
	v_or_b32_e32 v24, 0x2600, v0
	v_cmp_gt_u32_e32 vcc, s14, v24
                                        ; implicit-def: $vgpr23
	s_and_saveexec_b64 s[0:1], vcc
	s_cbranch_execz .LBB3092_47
; %bb.46:
	v_lshlrev_b32_e32 v24, 1, v24
	v_mov_b32_e32 v25, 0
	v_lshl_add_u64 v[24:25], s[10:11], 0, v[24:25]
	flat_load_ushort v23, v[24:25]
.LBB3092_47:
	s_or_b64 exec, exec, s[0:1]
	v_or_b32_e32 v25, 0x2800, v0
	v_cmp_gt_u32_e32 vcc, s14, v25
                                        ; implicit-def: $vgpr24
	s_and_saveexec_b64 s[0:1], vcc
	s_cbranch_execz .LBB3092_49
; %bb.48:
	v_lshlrev_b32_e32 v24, 1, v25
	v_mov_b32_e32 v25, 0
	v_lshl_add_u64 v[24:25], s[10:11], 0, v[24:25]
	flat_load_ushort v24, v[24:25]
.LBB3092_49:
	s_or_b64 exec, exec, s[0:1]
	v_or_b32_e32 v26, 0x2a00, v0
	v_cmp_gt_u32_e32 vcc, s14, v26
                                        ; implicit-def: $vgpr25
	s_and_saveexec_b64 s[0:1], vcc
	s_cbranch_execz .LBB3092_51
; %bb.50:
	v_lshlrev_b32_e32 v26, 1, v26
	v_mov_b32_e32 v27, 0
	v_lshl_add_u64 v[26:27], s[10:11], 0, v[26:27]
	flat_load_ushort v25, v[26:27]
.LBB3092_51:
	s_or_b64 exec, exec, s[0:1]
	v_or_b32_e32 v27, 0x2c00, v0
	v_cmp_gt_u32_e32 vcc, s14, v27
                                        ; implicit-def: $vgpr26
	s_and_saveexec_b64 s[0:1], vcc
	s_cbranch_execz .LBB3092_53
; %bb.52:
	v_lshlrev_b32_e32 v26, 1, v27
	v_mov_b32_e32 v27, 0
	v_lshl_add_u64 v[26:27], s[10:11], 0, v[26:27]
	flat_load_ushort v26, v[26:27]
.LBB3092_53:
	s_or_b64 exec, exec, s[0:1]
	v_or_b32_e32 v28, 0x2e00, v0
	v_cmp_gt_u32_e32 vcc, s14, v28
                                        ; implicit-def: $vgpr27
	s_and_saveexec_b64 s[0:1], vcc
	s_cbranch_execz .LBB3092_55
; %bb.54:
	v_lshlrev_b32_e32 v28, 1, v28
	v_mov_b32_e32 v29, 0
	v_lshl_add_u64 v[28:29], s[10:11], 0, v[28:29]
	flat_load_ushort v27, v[28:29]
.LBB3092_55:
	s_or_b64 exec, exec, s[0:1]
	v_or_b32_e32 v29, 0x3000, v0
	v_cmp_gt_u32_e32 vcc, s14, v29
                                        ; implicit-def: $vgpr28
	s_and_saveexec_b64 s[0:1], vcc
	s_cbranch_execz .LBB3092_57
; %bb.56:
	v_lshlrev_b32_e32 v28, 1, v29
	v_mov_b32_e32 v29, 0
	v_lshl_add_u64 v[28:29], s[10:11], 0, v[28:29]
	flat_load_ushort v28, v[28:29]
.LBB3092_57:
	s_or_b64 exec, exec, s[0:1]
	v_or_b32_e32 v30, 0x3200, v0
	v_cmp_gt_u32_e32 vcc, s14, v30
                                        ; implicit-def: $vgpr29
	s_and_saveexec_b64 s[0:1], vcc
	s_cbranch_execz .LBB3092_59
; %bb.58:
	v_lshlrev_b32_e32 v30, 1, v30
	v_mov_b32_e32 v31, 0
	v_lshl_add_u64 v[30:31], s[10:11], 0, v[30:31]
	flat_load_ushort v29, v[30:31]
.LBB3092_59:
	s_or_b64 exec, exec, s[0:1]
	v_or_b32_e32 v31, 0x3400, v0
	v_cmp_gt_u32_e32 vcc, s14, v31
                                        ; implicit-def: $vgpr30
	s_and_saveexec_b64 s[0:1], vcc
	s_cbranch_execz .LBB3092_61
; %bb.60:
	v_lshlrev_b32_e32 v30, 1, v31
	v_mov_b32_e32 v31, 0
	v_lshl_add_u64 v[30:31], s[10:11], 0, v[30:31]
	flat_load_ushort v30, v[30:31]
.LBB3092_61:
	s_or_b64 exec, exec, s[0:1]
	v_or_b32_e32 v32, 0x3600, v0
	v_cmp_gt_u32_e32 vcc, s14, v32
                                        ; implicit-def: $vgpr31
	s_and_saveexec_b64 s[0:1], vcc
	s_cbranch_execz .LBB3092_63
; %bb.62:
	v_lshlrev_b32_e32 v32, 1, v32
	v_mov_b32_e32 v33, 0
	v_lshl_add_u64 v[32:33], s[10:11], 0, v[32:33]
	flat_load_ushort v31, v[32:33]
.LBB3092_63:
	s_or_b64 exec, exec, s[0:1]
	s_waitcnt vmcnt(0) lgkmcnt(0)
	ds_write_b16 v18, v1
	ds_write_b16 v18, v2 offset:1024
	ds_write_b16 v18, v3 offset:2048
	;; [unrolled: 1-line block ×27, first 2 shown]
	s_waitcnt lgkmcnt(0)
	s_barrier
.LBB3092_64:
	v_mul_u32_u24_e32 v1, 28, v0
	v_lshlrev_b32_e32 v6, 1, v1
	ds_read_b64 v[16:17], v6 offset:48
	ds_read2_b64 v[2:5], v6 offset0:4 offset1:5
	ds_read2_b64 v[10:13], v6 offset1:1
	ds_read2_b64 v[6:9], v6 offset0:2 offset1:3
	s_add_u32 s0, s2, s8
	s_addc_u32 s1, s3, s9
	s_add_u32 s0, s0, s6
	s_addc_u32 s1, s1, s7
	s_mov_b64 s[2:3], -1
	s_and_b64 vcc, exec, s[4:5]
	s_waitcnt lgkmcnt(0)
	s_barrier
	s_cbranch_vccz .LBB3092_66
; %bb.65:
	v_mov_b32_e32 v19, 0
	v_lshl_add_u64 v[20:21], s[0:1], 0, v[18:19]
	s_movk_i32 s2, 0x1000
	v_add_co_u32_e32 v22, vcc, s2, v20
	s_movk_i32 s2, 0x2000
	s_nop 0
	v_addc_co_u32_e32 v23, vcc, 0, v21, vcc
	v_add_co_u32_e32 v24, vcc, s2, v20
	s_movk_i32 s3, 0x4000
	s_nop 0
	v_addc_co_u32_e32 v25, vcc, 0, v21, vcc
	global_load_ubyte v19, v18, s[0:1]
	global_load_ubyte v26, v18, s[0:1] offset:1024
	global_load_ubyte v27, v18, s[0:1] offset:2048
	;; [unrolled: 1-line block ×3, first 2 shown]
	global_load_ubyte v29, v[22:23], off offset:1024
	global_load_ubyte v30, v[22:23], off offset:2048
	global_load_ubyte v31, v[22:23], off offset:3072
	global_load_ubyte v32, v[24:25], off offset:-4096
	global_load_ubyte v33, v[24:25], off
	global_load_ubyte v34, v[24:25], off offset:1024
	v_add_co_u32_e32 v22, vcc, s3, v20
	s_movk_i32 s2, 0x3000
	s_nop 0
	v_addc_co_u32_e32 v23, vcc, 0, v21, vcc
	global_load_ubyte v35, v[24:25], off offset:2048
	global_load_ubyte v36, v[24:25], off offset:3072
	global_load_ubyte v37, v[22:23], off offset:-4096
	v_add_co_u32_e32 v24, vcc, s2, v20
	s_movk_i32 s3, 0x6000
	s_nop 0
	v_addc_co_u32_e32 v25, vcc, 0, v21, vcc
	global_load_ubyte v38, v[24:25], off offset:1024
	global_load_ubyte v39, v[24:25], off offset:2048
	;; [unrolled: 1-line block ×3, first 2 shown]
	global_load_ubyte v41, v[22:23], off
	v_add_co_u32_e32 v24, vcc, s3, v20
	s_movk_i32 s2, 0x5000
	s_nop 0
	v_addc_co_u32_e32 v25, vcc, 0, v21, vcc
	v_add_co_u32_e32 v20, vcc, s2, v20
	global_load_ubyte v42, v[22:23], off offset:1024
	global_load_ubyte v43, v[22:23], off offset:2048
	;; [unrolled: 1-line block ×3, first 2 shown]
	global_load_ubyte v45, v[24:25], off offset:-4096
	v_addc_co_u32_e32 v21, vcc, 0, v21, vcc
	global_load_ubyte v22, v[20:21], off offset:1024
	global_load_ubyte v23, v[20:21], off offset:2048
	;; [unrolled: 1-line block ×3, first 2 shown]
	global_load_ubyte v47, v[24:25], off
	global_load_ubyte v48, v[24:25], off offset:1024
	global_load_ubyte v49, v[24:25], off offset:2048
	;; [unrolled: 1-line block ×3, first 2 shown]
	s_mov_b64 s[2:3], 0
	s_waitcnt vmcnt(23)
	v_xor_b32_e32 v25, -1, v29
	v_xor_b32_e32 v19, -1, v19
	;; [unrolled: 1-line block ×5, first 2 shown]
	v_and_b32_e32 v19, 1, v19
	s_waitcnt vmcnt(22)
	v_xor_b32_e32 v26, -1, v30
	s_waitcnt vmcnt(21)
	v_xor_b32_e32 v27, -1, v31
	s_waitcnt vmcnt(20)
	v_xor_b32_e32 v28, -1, v32
	s_waitcnt vmcnt(19)
	v_xor_b32_e32 v29, -1, v33
	s_waitcnt vmcnt(18)
	v_xor_b32_e32 v30, -1, v34
	s_waitcnt vmcnt(17)
	v_xor_b32_e32 v31, -1, v35
	s_waitcnt vmcnt(16)
	v_xor_b32_e32 v32, -1, v36
	s_waitcnt vmcnt(15)
	v_xor_b32_e32 v33, -1, v37
	s_waitcnt vmcnt(14)
	v_xor_b32_e32 v34, -1, v38
	s_waitcnt vmcnt(13)
	v_xor_b32_e32 v35, -1, v39
	s_waitcnt vmcnt(12)
	v_xor_b32_e32 v36, -1, v40
	s_waitcnt vmcnt(11)
	v_xor_b32_e32 v37, -1, v41
	v_and_b32_e32 v20, 1, v20
	v_and_b32_e32 v21, 1, v21
	;; [unrolled: 1-line block ×4, first 2 shown]
	s_waitcnt vmcnt(10)
	v_xor_b32_e32 v38, -1, v42
	s_waitcnt vmcnt(9)
	v_xor_b32_e32 v39, -1, v43
	s_waitcnt vmcnt(8)
	v_xor_b32_e32 v40, -1, v44
	s_waitcnt vmcnt(7)
	v_xor_b32_e32 v41, -1, v45
	s_waitcnt vmcnt(6)
	v_xor_b32_e32 v22, -1, v22
	s_waitcnt vmcnt(5)
	v_xor_b32_e32 v23, -1, v23
	s_waitcnt vmcnt(4)
	v_xor_b32_e32 v42, -1, v46
	s_waitcnt vmcnt(3)
	v_xor_b32_e32 v43, -1, v47
	s_waitcnt vmcnt(2)
	v_xor_b32_e32 v44, -1, v48
	s_waitcnt vmcnt(1)
	v_xor_b32_e32 v45, -1, v49
	s_waitcnt vmcnt(0)
	v_xor_b32_e32 v46, -1, v50
	v_and_b32_e32 v26, 1, v26
	v_and_b32_e32 v27, 1, v27
	v_and_b32_e32 v28, 1, v28
	v_and_b32_e32 v29, 1, v29
	v_and_b32_e32 v30, 1, v30
	v_and_b32_e32 v31, 1, v31
	v_and_b32_e32 v32, 1, v32
	v_and_b32_e32 v33, 1, v33
	v_and_b32_e32 v34, 1, v34
	v_and_b32_e32 v35, 1, v35
	v_and_b32_e32 v36, 1, v36
	v_and_b32_e32 v37, 1, v37
	v_and_b32_e32 v38, 1, v38
	v_and_b32_e32 v39, 1, v39
	v_and_b32_e32 v40, 1, v40
	v_and_b32_e32 v41, 1, v41
	v_and_b32_e32 v22, 1, v22
	v_and_b32_e32 v23, 1, v23
	v_and_b32_e32 v42, 1, v42
	v_and_b32_e32 v43, 1, v43
	v_and_b32_e32 v44, 1, v44
	v_and_b32_e32 v45, 1, v45
	v_and_b32_e32 v46, 1, v46
	ds_write_b8 v0, v19
	ds_write_b8 v0, v20 offset:512
	ds_write_b8 v0, v21 offset:1024
	ds_write_b8 v0, v24 offset:1536
	ds_write_b8 v0, v28 offset:2048
	ds_write_b8 v0, v25 offset:2560
	ds_write_b8 v0, v26 offset:3072
	ds_write_b8 v0, v27 offset:3584
	ds_write_b8 v0, v29 offset:4096
	ds_write_b8 v0, v30 offset:4608
	ds_write_b8 v0, v31 offset:5120
	ds_write_b8 v0, v32 offset:5632
	ds_write_b8 v0, v33 offset:6144
	ds_write_b8 v0, v34 offset:6656
	ds_write_b8 v0, v35 offset:7168
	ds_write_b8 v0, v36 offset:7680
	ds_write_b8 v0, v37 offset:8192
	ds_write_b8 v0, v38 offset:8704
	ds_write_b8 v0, v39 offset:9216
	ds_write_b8 v0, v40 offset:9728
	ds_write_b8 v0, v41 offset:10240
	ds_write_b8 v0, v22 offset:10752
	ds_write_b8 v0, v23 offset:11264
	ds_write_b8 v0, v42 offset:11776
	ds_write_b8 v0, v43 offset:12288
	ds_write_b8 v0, v44 offset:12800
	ds_write_b8 v0, v45 offset:13312
	ds_write_b8 v0, v46 offset:13824
	s_waitcnt lgkmcnt(0)
	s_barrier
.LBB3092_66:
	s_andn2_b64 vcc, exec, s[2:3]
	s_cbranch_vccnz .LBB3092_124
; %bb.67:
	v_cmp_gt_u32_e32 vcc, s14, v0
	v_mov_b32_e32 v19, 0
	v_mov_b32_e32 v20, 0
	s_and_saveexec_b64 s[2:3], vcc
	s_cbranch_execz .LBB3092_69
; %bb.68:
	global_load_ubyte v20, v18, s[0:1]
	s_waitcnt vmcnt(0)
	v_xor_b32_e32 v20, -1, v20
	v_and_b32_e32 v20, 1, v20
.LBB3092_69:
	s_or_b64 exec, exec, s[2:3]
	v_or_b32_e32 v21, 0x200, v0
	v_cmp_gt_u32_e32 vcc, s14, v21
	s_and_saveexec_b64 s[2:3], vcc
	s_cbranch_execz .LBB3092_71
; %bb.70:
	global_load_ubyte v19, v18, s[0:1] offset:1024
	s_waitcnt vmcnt(0)
	v_xor_b32_e32 v19, -1, v19
	v_and_b32_e32 v19, 1, v19
.LBB3092_71:
	s_or_b64 exec, exec, s[2:3]
	v_or_b32_e32 v21, 0x400, v0
	v_cmp_gt_u32_e32 vcc, s14, v21
	v_mov_b32_e32 v21, 0
	v_mov_b32_e32 v22, 0
	s_and_saveexec_b64 s[2:3], vcc
	s_cbranch_execz .LBB3092_73
; %bb.72:
	global_load_ubyte v22, v18, s[0:1] offset:2048
	s_waitcnt vmcnt(0)
	v_xor_b32_e32 v22, -1, v22
	v_and_b32_e32 v22, 1, v22
.LBB3092_73:
	s_or_b64 exec, exec, s[2:3]
	v_or_b32_e32 v23, 0x600, v0
	v_cmp_gt_u32_e32 vcc, s14, v23
	s_and_saveexec_b64 s[2:3], vcc
	s_cbranch_execz .LBB3092_75
; %bb.74:
	global_load_ubyte v18, v18, s[0:1] offset:3072
	s_waitcnt vmcnt(0)
	v_xor_b32_e32 v18, -1, v18
	v_and_b32_e32 v21, 1, v18
.LBB3092_75:
	s_or_b64 exec, exec, s[2:3]
	v_or_b32_e32 v24, 0x800, v0
	v_cmp_gt_u32_e32 vcc, s14, v24
	v_mov_b32_e32 v18, 0
	v_mov_b32_e32 v23, 0
	s_and_saveexec_b64 s[2:3], vcc
	s_cbranch_execz .LBB3092_77
; %bb.76:
	v_lshlrev_b32_e32 v23, 1, v24
	global_load_ubyte v23, v23, s[0:1]
	s_waitcnt vmcnt(0)
	v_xor_b32_e32 v23, -1, v23
	v_and_b32_e32 v23, 1, v23
.LBB3092_77:
	s_or_b64 exec, exec, s[2:3]
	v_or_b32_e32 v24, 0xa00, v0
	v_cmp_gt_u32_e32 vcc, s14, v24
	s_and_saveexec_b64 s[2:3], vcc
	s_cbranch_execz .LBB3092_79
; %bb.78:
	v_lshlrev_b32_e32 v18, 1, v24
	global_load_ubyte v18, v18, s[0:1]
	s_waitcnt vmcnt(0)
	v_xor_b32_e32 v18, -1, v18
	v_and_b32_e32 v18, 1, v18
.LBB3092_79:
	s_or_b64 exec, exec, s[2:3]
	v_or_b32_e32 v26, 0xc00, v0
	v_cmp_gt_u32_e32 vcc, s14, v26
	v_mov_b32_e32 v24, 0
	v_mov_b32_e32 v25, 0
	s_and_saveexec_b64 s[2:3], vcc
	s_cbranch_execz .LBB3092_81
; %bb.80:
	v_lshlrev_b32_e32 v25, 1, v26
	global_load_ubyte v25, v25, s[0:1]
	s_waitcnt vmcnt(0)
	v_xor_b32_e32 v25, -1, v25
	v_and_b32_e32 v25, 1, v25
.LBB3092_81:
	s_or_b64 exec, exec, s[2:3]
	v_or_b32_e32 v26, 0xe00, v0
	v_cmp_gt_u32_e32 vcc, s14, v26
	s_and_saveexec_b64 s[2:3], vcc
	s_cbranch_execz .LBB3092_83
; %bb.82:
	v_lshlrev_b32_e32 v24, 1, v26
	global_load_ubyte v24, v24, s[0:1]
	s_waitcnt vmcnt(0)
	v_xor_b32_e32 v24, -1, v24
	v_and_b32_e32 v24, 1, v24
.LBB3092_83:
	;; [unrolled: 26-line block ×12, first 2 shown]
	s_or_b64 exec, exec, s[2:3]
	ds_write_b8 v0, v20
	ds_write_b8 v0, v19 offset:512
	ds_write_b8 v0, v22 offset:1024
	;; [unrolled: 1-line block ×27, first 2 shown]
	s_waitcnt lgkmcnt(0)
	s_barrier
.LBB3092_124:
	ds_read2_b32 v[22:23], v1 offset1:1
	ds_read2_b32 v[20:21], v1 offset0:2 offset1:3
	ds_read2_b32 v[18:19], v1 offset0:4 offset1:5
	ds_read_b32 v35, v1 offset:24
	s_cmp_lg_u32 s30, 0
	v_lshrrev_b32_e32 v62, 6, v0
	s_waitcnt lgkmcnt(2)
	v_and_b32_e32 v54, 0xff, v20
	v_lshrrev_b32_e32 v42, 24, v22
	v_bfe_u32 v60, v22, 16, 8
	v_add_u32_sdwa v24, v22, v22 dst_sel:DWORD dst_unused:UNUSED_PAD src0_sel:BYTE_1 src1_sel:BYTE_0
	v_and_b32_e32 v57, 0xff, v23
	v_bfe_u32 v58, v23, 8, 8
	v_add3_u32 v24, v24, v60, v42
	v_lshrrev_b32_e32 v41, 24, v23
	v_bfe_u32 v59, v23, 16, 8
	v_add3_u32 v24, v24, v57, v58
	v_bfe_u32 v55, v20, 8, 8
	v_add3_u32 v24, v24, v59, v41
	v_lshrrev_b32_e32 v40, 24, v20
	v_bfe_u32 v56, v20, 16, 8
	v_add3_u32 v24, v24, v54, v55
	v_and_b32_e32 v51, 0xff, v21
	v_bfe_u32 v52, v21, 8, 8
	v_add3_u32 v24, v24, v56, v40
	v_lshrrev_b32_e32 v39, 24, v21
	v_bfe_u32 v53, v21, 16, 8
	v_add3_u32 v24, v24, v51, v52
	s_waitcnt lgkmcnt(1)
	v_and_b32_e32 v48, 0xff, v18
	v_bfe_u32 v49, v18, 8, 8
	v_add3_u32 v24, v24, v53, v39
	v_lshrrev_b32_e32 v38, 24, v18
	v_bfe_u32 v50, v18, 16, 8
	v_add3_u32 v24, v24, v48, v49
	v_and_b32_e32 v45, 0xff, v19
	v_bfe_u32 v46, v19, 8, 8
	v_add3_u32 v24, v24, v50, v38
	v_lshrrev_b32_e32 v37, 24, v19
	v_bfe_u32 v47, v19, 16, 8
	v_add3_u32 v24, v24, v45, v46
	s_waitcnt lgkmcnt(0)
	v_and_b32_e32 v43, 0xff, v35
	v_bfe_u32 v44, v35, 8, 8
	v_add3_u32 v24, v24, v47, v37
	v_lshrrev_b32_e32 v34, 24, v35
	v_bfe_u32 v36, v35, 16, 8
	v_add3_u32 v24, v24, v43, v44
	v_add3_u32 v63, v24, v36, v34
	v_mbcnt_lo_u32_b32 v24, -1, 0
	v_mbcnt_hi_u32_b32 v61, -1, v24
	v_and_b32_e32 v24, 15, v61
	v_cmp_eq_u32_e64 s[14:15], 0, v24
	v_cmp_lt_u32_e64 s[12:13], 1, v24
	v_cmp_lt_u32_e64 s[10:11], 3, v24
	v_cmp_lt_u32_e64 s[8:9], 7, v24
	v_and_b32_e32 v24, 16, v61
	v_cmp_eq_u32_e64 s[6:7], 0, v24
	v_or_b32_e32 v24, 63, v0
	v_cmp_lt_u32_e64 s[2:3], 31, v61
	v_cmp_eq_u32_e64 s[4:5], v24, v0
	s_barrier
	s_cbranch_scc0 .LBB3092_151
; %bb.125:
	v_mov_b32_dpp v24, v63 row_shr:1 row_mask:0xf bank_mask:0xf
	v_cndmask_b32_e64 v24, v24, 0, s[14:15]
	v_add_u32_e32 v24, v24, v63
	s_nop 1
	v_mov_b32_dpp v25, v24 row_shr:2 row_mask:0xf bank_mask:0xf
	v_cndmask_b32_e64 v25, 0, v25, s[12:13]
	v_add_u32_e32 v24, v24, v25
	s_nop 1
	;; [unrolled: 4-line block ×4, first 2 shown]
	v_mov_b32_dpp v25, v24 row_bcast:15 row_mask:0xf bank_mask:0xf
	v_cndmask_b32_e64 v25, v25, 0, s[6:7]
	v_add_u32_e32 v24, v24, v25
	s_nop 1
	v_mov_b32_dpp v25, v24 row_bcast:31 row_mask:0xf bank_mask:0xf
	v_cndmask_b32_e64 v25, 0, v25, s[2:3]
	v_add_u32_e32 v24, v24, v25
	s_and_saveexec_b64 s[0:1], s[4:5]
	s_cbranch_execz .LBB3092_127
; %bb.126:
	v_lshlrev_b32_e32 v25, 2, v62
	ds_write_b32 v25, v24
.LBB3092_127:
	s_or_b64 exec, exec, s[0:1]
	v_cmp_gt_u32_e32 vcc, 8, v0
	s_waitcnt lgkmcnt(0)
	s_barrier
	s_and_saveexec_b64 s[0:1], vcc
	s_cbranch_execz .LBB3092_129
; %bb.128:
	v_lshlrev_b32_e32 v25, 2, v0
	ds_read_b32 v26, v25
	v_and_b32_e32 v27, 7, v61
	v_cmp_ne_u32_e32 vcc, 0, v27
	s_waitcnt lgkmcnt(0)
	v_mov_b32_dpp v28, v26 row_shr:1 row_mask:0xf bank_mask:0xf
	v_cndmask_b32_e32 v28, 0, v28, vcc
	v_add_u32_e32 v26, v28, v26
	v_cmp_lt_u32_e32 vcc, 1, v27
	s_nop 0
	v_mov_b32_dpp v28, v26 row_shr:2 row_mask:0xf bank_mask:0xf
	v_cndmask_b32_e32 v28, 0, v28, vcc
	v_add_u32_e32 v26, v26, v28
	v_cmp_lt_u32_e32 vcc, 3, v27
	s_nop 0
	v_mov_b32_dpp v28, v26 row_shr:4 row_mask:0xf bank_mask:0xf
	v_cndmask_b32_e32 v27, 0, v28, vcc
	v_add_u32_e32 v26, v26, v27
	ds_write_b32 v25, v26
.LBB3092_129:
	s_or_b64 exec, exec, s[0:1]
	v_cmp_gt_u32_e32 vcc, 64, v0
	v_cmp_lt_u32_e64 s[0:1], 63, v0
	s_waitcnt lgkmcnt(0)
	s_barrier
	s_waitcnt lgkmcnt(0)
                                        ; implicit-def: $vgpr64
	s_and_saveexec_b64 s[16:17], s[0:1]
	s_cbranch_execz .LBB3092_131
; %bb.130:
	v_lshl_add_u32 v25, v62, 2, -4
	ds_read_b32 v64, v25
	s_waitcnt lgkmcnt(0)
	v_add_u32_e32 v24, v64, v24
.LBB3092_131:
	s_or_b64 exec, exec, s[16:17]
	v_add_u32_e32 v25, -1, v61
	v_and_b32_e32 v26, 64, v61
	v_cmp_lt_i32_e64 s[0:1], v25, v26
	v_cmp_eq_u32_e64 s[16:17], 0, v61
	s_nop 0
	v_cndmask_b32_e64 v25, v25, v61, s[0:1]
	v_lshlrev_b32_e32 v25, 2, v25
	ds_bpermute_b32 v65, v25, v24
	s_and_saveexec_b64 s[0:1], vcc
	s_cbranch_execz .LBB3092_150
; %bb.132:
	v_mov_b32_e32 v31, 0
	ds_read_b32 v24, v31 offset:28
	s_and_saveexec_b64 s[26:27], s[16:17]
	s_cbranch_execz .LBB3092_134
; %bb.133:
	s_add_i32 s28, s30, 64
	s_mov_b32 s29, 0
	s_lshl_b64 s[28:29], s[28:29], 3
	s_add_u32 s28, s24, s28
	v_mov_b32_e32 v25, 1
	s_addc_u32 s29, s25, s29
	s_waitcnt lgkmcnt(0)
	global_store_dwordx2 v31, v[24:25], s[28:29] sc1
.LBB3092_134:
	s_or_b64 exec, exec, s[26:27]
	v_xad_u32 v26, v61, -1, s30
	v_add_u32_e32 v30, 64, v26
	v_lshl_add_u64 v[32:33], v[30:31], 3, s[24:25]
	global_load_dwordx2 v[28:29], v[32:33], off sc1
	s_waitcnt vmcnt(0)
	v_cmp_eq_u16_sdwa s[28:29], v29, v31 src0_sel:BYTE_0 src1_sel:DWORD
	s_and_saveexec_b64 s[26:27], s[28:29]
	s_cbranch_execz .LBB3092_138
; %bb.135:
	s_mov_b64 s[28:29], 0
	v_mov_b32_e32 v25, 0
.LBB3092_136:                           ; =>This Inner Loop Header: Depth=1
	global_load_dwordx2 v[28:29], v[32:33], off sc1
	s_waitcnt vmcnt(0)
	v_cmp_ne_u16_sdwa s[34:35], v29, v25 src0_sel:BYTE_0 src1_sel:DWORD
	s_or_b64 s[28:29], s[34:35], s[28:29]
	s_andn2_b64 exec, exec, s[28:29]
	s_cbranch_execnz .LBB3092_136
; %bb.137:
	s_or_b64 exec, exec, s[28:29]
.LBB3092_138:
	s_or_b64 exec, exec, s[26:27]
	v_and_b32_e32 v67, 63, v61
	v_mov_b32_e32 v66, 2
	v_cmp_ne_u32_e32 vcc, 63, v67
	v_cmp_eq_u16_sdwa s[26:27], v29, v66 src0_sel:BYTE_0 src1_sel:DWORD
	v_lshlrev_b64 v[30:31], v61, -1
	v_addc_co_u32_e32 v32, vcc, 0, v61, vcc
	v_and_b32_e32 v25, s27, v31
	v_lshlrev_b32_e32 v68, 2, v32
	v_or_b32_e32 v25, 0x80000000, v25
	ds_bpermute_b32 v32, v68, v28
	v_and_b32_e32 v27, s26, v30
	v_ffbl_b32_e32 v25, v25
	v_add_u32_e32 v25, 32, v25
	v_ffbl_b32_e32 v27, v27
	v_min_u32_e32 v25, v27, v25
	v_cmp_lt_u32_e32 vcc, v67, v25
	v_add_u32_e32 v70, 2, v67
	v_add_u32_e32 v72, 4, v67
	s_waitcnt lgkmcnt(0)
	v_cndmask_b32_e32 v27, 0, v32, vcc
	v_cmp_gt_u32_e32 vcc, 62, v67
	v_add_u32_e32 v27, v27, v28
	v_add_u32_e32 v74, 8, v67
	v_cndmask_b32_e64 v28, 0, 1, vcc
	v_lshlrev_b32_e32 v28, 1, v28
	v_add_lshl_u32 v69, v28, v61, 2
	ds_bpermute_b32 v28, v69, v27
	v_cmp_le_u32_e32 vcc, v70, v25
	v_add_u32_e32 v76, 16, v67
	v_add_u32_e32 v78, 32, v67
	s_waitcnt lgkmcnt(0)
	v_cndmask_b32_e32 v28, 0, v28, vcc
	v_cmp_gt_u32_e32 vcc, 60, v67
	v_add_u32_e32 v27, v27, v28
	s_nop 0
	v_cndmask_b32_e64 v28, 0, 1, vcc
	v_lshlrev_b32_e32 v28, 2, v28
	v_add_lshl_u32 v71, v28, v61, 2
	ds_bpermute_b32 v28, v71, v27
	v_cmp_le_u32_e32 vcc, v72, v25
	s_waitcnt lgkmcnt(0)
	s_nop 0
	v_cndmask_b32_e32 v28, 0, v28, vcc
	v_cmp_gt_u32_e32 vcc, 56, v67
	v_add_u32_e32 v27, v27, v28
	s_nop 0
	v_cndmask_b32_e64 v28, 0, 1, vcc
	v_lshlrev_b32_e32 v28, 3, v28
	v_add_lshl_u32 v73, v28, v61, 2
	ds_bpermute_b32 v28, v73, v27
	v_cmp_le_u32_e32 vcc, v74, v25
	s_waitcnt lgkmcnt(0)
	s_nop 0
	;; [unrolled: 11-line block ×4, first 2 shown]
	v_cndmask_b32_e32 v25, 0, v28, vcc
	v_add_u32_e32 v28, v27, v25
	v_mov_b32_e32 v27, 0
	s_branch .LBB3092_140
.LBB3092_139:                           ;   in Loop: Header=BB3092_140 Depth=1
	s_or_b64 exec, exec, s[26:27]
	v_cmp_eq_u16_sdwa s[26:27], v29, v66 src0_sel:BYTE_0 src1_sel:DWORD
	ds_bpermute_b32 v79, v68, v28
	v_subrev_u32_e32 v26, 64, v26
	v_and_b32_e32 v32, s27, v31
	v_or_b32_e32 v32, 0x80000000, v32
	v_and_b32_e32 v33, s26, v30
	v_ffbl_b32_e32 v32, v32
	v_add_u32_e32 v32, 32, v32
	v_ffbl_b32_e32 v33, v33
	v_min_u32_e32 v32, v33, v32
	v_cmp_lt_u32_e32 vcc, v67, v32
	s_waitcnt lgkmcnt(0)
	s_nop 0
	v_cndmask_b32_e32 v33, 0, v79, vcc
	v_add_u32_e32 v28, v33, v28
	ds_bpermute_b32 v33, v69, v28
	v_cmp_le_u32_e32 vcc, v70, v32
	s_waitcnt lgkmcnt(0)
	s_nop 0
	v_cndmask_b32_e32 v33, 0, v33, vcc
	v_add_u32_e32 v28, v28, v33
	ds_bpermute_b32 v33, v71, v28
	v_cmp_le_u32_e32 vcc, v72, v32
	;; [unrolled: 6-line block ×5, first 2 shown]
	s_waitcnt lgkmcnt(0)
	s_nop 0
	v_cndmask_b32_e32 v32, 0, v33, vcc
	v_add3_u32 v28, v32, v25, v28
.LBB3092_140:                           ; =>This Loop Header: Depth=1
                                        ;     Child Loop BB3092_143 Depth 2
	v_cmp_ne_u16_sdwa s[26:27], v29, v66 src0_sel:BYTE_0 src1_sel:DWORD
	s_nop 1
	v_cndmask_b32_e64 v25, 0, 1, s[26:27]
	;;#ASMSTART
	;;#ASMEND
	s_nop 0
	v_cmp_ne_u32_e32 vcc, 0, v25
	s_cmp_lg_u64 vcc, exec
	v_mov_b32_e32 v25, v28
	s_cbranch_scc1 .LBB3092_145
; %bb.141:                              ;   in Loop: Header=BB3092_140 Depth=1
	v_lshl_add_u64 v[32:33], v[26:27], 3, s[24:25]
	global_load_dwordx2 v[28:29], v[32:33], off sc1
	s_waitcnt vmcnt(0)
	v_cmp_eq_u16_sdwa s[28:29], v29, v27 src0_sel:BYTE_0 src1_sel:DWORD
	s_and_saveexec_b64 s[26:27], s[28:29]
	s_cbranch_execz .LBB3092_139
; %bb.142:                              ;   in Loop: Header=BB3092_140 Depth=1
	s_mov_b64 s[28:29], 0
.LBB3092_143:                           ;   Parent Loop BB3092_140 Depth=1
                                        ; =>  This Inner Loop Header: Depth=2
	global_load_dwordx2 v[28:29], v[32:33], off sc1
	s_waitcnt vmcnt(0)
	v_cmp_ne_u16_sdwa s[34:35], v29, v27 src0_sel:BYTE_0 src1_sel:DWORD
	s_or_b64 s[28:29], s[34:35], s[28:29]
	s_andn2_b64 exec, exec, s[28:29]
	s_cbranch_execnz .LBB3092_143
; %bb.144:                              ;   in Loop: Header=BB3092_140 Depth=1
	s_or_b64 exec, exec, s[28:29]
	s_branch .LBB3092_139
.LBB3092_145:                           ;   in Loop: Header=BB3092_140 Depth=1
                                        ; implicit-def: $vgpr28
                                        ; implicit-def: $vgpr29
	s_cbranch_execz .LBB3092_140
; %bb.146:
	s_and_saveexec_b64 s[26:27], s[16:17]
	s_cbranch_execz .LBB3092_148
; %bb.147:
	s_add_i32 s28, s30, 64
	s_mov_b32 s29, 0
	s_lshl_b64 s[28:29], s[28:29], 3
	s_add_u32 s28, s24, s28
	v_add_u32_e32 v26, v25, v24
	v_mov_b32_e32 v27, 2
	s_addc_u32 s29, s25, s29
	v_mov_b32_e32 v28, 0
	global_store_dwordx2 v28, v[26:27], s[28:29] sc1
	ds_write_b64 v28, v[24:25] offset:28672
.LBB3092_148:
	s_or_b64 exec, exec, s[26:27]
	s_and_b64 exec, exec, s[18:19]
	s_cbranch_execz .LBB3092_150
; %bb.149:
	v_mov_b32_e32 v24, 0
	ds_write_b32 v24, v25 offset:28
.LBB3092_150:
	s_or_b64 exec, exec, s[0:1]
	v_mov_b32_e32 v24, 0
	s_waitcnt lgkmcnt(0)
	s_barrier
	ds_read_b32 v26, v24 offset:28
	s_waitcnt lgkmcnt(0)
	s_barrier
	ds_read_b64 v[24:25], v24 offset:28672
	v_cndmask_b32_e64 v27, v65, v64, s[16:17]
	v_cndmask_b32_e64 v27, v27, 0, s[18:19]
	v_add_u32_e32 v31, v26, v27
	s_branch .LBB3092_161
.LBB3092_151:
                                        ; implicit-def: $vgpr25
                                        ; implicit-def: $vgpr31
	s_cbranch_execz .LBB3092_161
; %bb.152:
	s_waitcnt lgkmcnt(0)
	v_mov_b32_dpp v24, v63 row_shr:1 row_mask:0xf bank_mask:0xf
	v_cndmask_b32_e64 v24, v24, 0, s[14:15]
	v_add_u32_e32 v24, v24, v63
	s_nop 1
	v_mov_b32_dpp v25, v24 row_shr:2 row_mask:0xf bank_mask:0xf
	v_cndmask_b32_e64 v25, 0, v25, s[12:13]
	v_add_u32_e32 v24, v24, v25
	s_nop 1
	;; [unrolled: 4-line block ×4, first 2 shown]
	v_mov_b32_dpp v25, v24 row_bcast:15 row_mask:0xf bank_mask:0xf
	v_cndmask_b32_e64 v25, v25, 0, s[6:7]
	v_add_u32_e32 v24, v24, v25
	s_nop 1
	v_mov_b32_dpp v25, v24 row_bcast:31 row_mask:0xf bank_mask:0xf
	v_cndmask_b32_e64 v25, 0, v25, s[2:3]
	v_add_u32_e32 v24, v24, v25
	s_and_saveexec_b64 s[0:1], s[4:5]
	s_cbranch_execz .LBB3092_154
; %bb.153:
	v_lshlrev_b32_e32 v25, 2, v62
	ds_write_b32 v25, v24
.LBB3092_154:
	s_or_b64 exec, exec, s[0:1]
	v_cmp_gt_u32_e32 vcc, 8, v0
	s_waitcnt lgkmcnt(0)
	s_barrier
	s_and_saveexec_b64 s[0:1], vcc
	s_cbranch_execz .LBB3092_156
; %bb.155:
	v_lshlrev_b32_e32 v25, 2, v0
	ds_read_b32 v26, v25
	v_and_b32_e32 v27, 7, v61
	v_cmp_ne_u32_e32 vcc, 0, v27
	s_waitcnt lgkmcnt(0)
	v_mov_b32_dpp v28, v26 row_shr:1 row_mask:0xf bank_mask:0xf
	v_cndmask_b32_e32 v28, 0, v28, vcc
	v_add_u32_e32 v26, v28, v26
	v_cmp_lt_u32_e32 vcc, 1, v27
	s_nop 0
	v_mov_b32_dpp v28, v26 row_shr:2 row_mask:0xf bank_mask:0xf
	v_cndmask_b32_e32 v28, 0, v28, vcc
	v_add_u32_e32 v26, v26, v28
	v_cmp_lt_u32_e32 vcc, 3, v27
	s_nop 0
	v_mov_b32_dpp v28, v26 row_shr:4 row_mask:0xf bank_mask:0xf
	v_cndmask_b32_e32 v27, 0, v28, vcc
	v_add_u32_e32 v26, v26, v27
	ds_write_b32 v25, v26
.LBB3092_156:
	s_or_b64 exec, exec, s[0:1]
	v_cmp_lt_u32_e32 vcc, 63, v0
	v_mov_b32_e32 v25, 0
	v_mov_b32_e32 v0, 0
	s_waitcnt lgkmcnt(0)
	s_barrier
	s_and_saveexec_b64 s[0:1], vcc
	s_cbranch_execz .LBB3092_158
; %bb.157:
	v_lshl_add_u32 v0, v62, 2, -4
	ds_read_b32 v0, v0
.LBB3092_158:
	s_or_b64 exec, exec, s[0:1]
	v_add_u32_e32 v26, -1, v61
	v_and_b32_e32 v27, 64, v61
	v_cmp_lt_i32_e32 vcc, v26, v27
	s_waitcnt lgkmcnt(0)
	v_add_u32_e32 v24, v0, v24
	v_cndmask_b32_e32 v26, v26, v61, vcc
	v_lshlrev_b32_e32 v26, 2, v26
	ds_bpermute_b32 v26, v26, v24
	ds_read_b32 v24, v25 offset:28
	s_and_saveexec_b64 s[0:1], s[18:19]
	s_cbranch_execz .LBB3092_160
; %bb.159:
	v_mov_b32_e32 v27, 0
	v_mov_b32_e32 v25, 2
	s_waitcnt lgkmcnt(0)
	global_store_dwordx2 v27, v[24:25], s[24:25] offset:512 sc1
.LBB3092_160:
	s_or_b64 exec, exec, s[0:1]
	v_cmp_eq_u32_e32 vcc, 0, v61
	v_mov_b32_e32 v25, 0
	s_waitcnt lgkmcnt(0)
	v_cndmask_b32_e32 v0, v26, v0, vcc
	v_cndmask_b32_e64 v31, v0, 0, s[18:19]
	s_barrier
.LBB3092_161:
	v_add_u32_sdwa v33, v31, v22 dst_sel:DWORD dst_unused:UNUSED_PAD src0_sel:DWORD src1_sel:BYTE_0
	s_waitcnt lgkmcnt(0)
	v_add_u32_e32 v1, v24, v1
	v_sub_u32_e32 v31, v31, v25
	v_and_b32_e32 v69, 1, v22
	v_sub_u32_e32 v68, v1, v31
	v_cmp_eq_u32_e32 vcc, 1, v69
	v_lshrrev_b32_e32 v32, 8, v22
	v_add_u32_sdwa v61, v33, v22 dst_sel:DWORD dst_unused:UNUSED_PAD src0_sel:DWORD src1_sel:BYTE_1
	v_cndmask_b32_e32 v31, v68, v31, vcc
	v_lshlrev_b32_e32 v31, 1, v31
	ds_write_b16 v31, v10
	v_sub_u32_e32 v31, v33, v25
	v_sub_u32_e32 v33, v1, v31
	v_and_b32_e32 v32, 1, v32
	v_add_u32_e32 v33, 1, v33
	v_cmp_eq_u32_e32 vcc, 1, v32
	v_mov_b32_e32 v32, 1
	v_and_b32_sdwa v22, v32, v22 dst_sel:DWORD dst_unused:UNUSED_PAD src0_sel:DWORD src1_sel:WORD_1
	v_cndmask_b32_e32 v31, v33, v31, vcc
	v_lshlrev_b32_e32 v31, 1, v31
	ds_write_b16_d16_hi v31, v10
	v_sub_u32_e32 v10, v61, v25
	v_sub_u32_e32 v31, v1, v10
	v_add_u32_e32 v31, 2, v31
	v_cmp_eq_u32_e32 vcc, 1, v22
	v_add_u32_e32 v60, v61, v60
	v_add_u32_e32 v62, v60, v42
	v_cndmask_b32_e32 v10, v31, v10, vcc
	v_lshlrev_b32_e32 v10, 1, v10
	ds_write_b16 v10, v11
	v_sub_u32_e32 v10, v60, v25
	v_sub_u32_e32 v22, v1, v10
	v_and_b32_e32 v31, 1, v42
	v_add_u32_e32 v22, 3, v22
	v_cmp_eq_u32_e32 vcc, 1, v31
	v_add_u32_e32 v57, v62, v57
	v_lshrrev_b32_e32 v30, 8, v23
	v_cndmask_b32_e32 v10, v22, v10, vcc
	v_lshlrev_b32_e32 v10, 1, v10
	ds_write_b16_d16_hi v10, v11
	v_sub_u32_e32 v10, v62, v25
	v_sub_u32_e32 v11, v1, v10
	v_and_b32_e32 v22, 1, v23
	v_add_u32_e32 v11, 4, v11
	v_cmp_eq_u32_e32 vcc, 1, v22
	v_and_b32_e32 v22, 1, v30
	v_add_u32_e32 v58, v57, v58
	v_cndmask_b32_e32 v10, v11, v10, vcc
	v_lshlrev_b32_e32 v10, 1, v10
	ds_write_b16 v10, v12
	v_sub_u32_e32 v10, v57, v25
	v_sub_u32_e32 v11, v1, v10
	v_add_u32_e32 v11, 5, v11
	v_cmp_eq_u32_e32 vcc, 1, v22
	v_add_u32_e32 v59, v58, v59
	v_add_u32_e32 v63, v59, v41
	v_cndmask_b32_e32 v10, v11, v10, vcc
	v_lshlrev_b32_e32 v10, 1, v10
	ds_write_b16_d16_hi v10, v12
	v_sub_u32_e32 v10, v58, v25
	v_sub_u32_e32 v11, v1, v10
	v_and_b32_sdwa v12, v32, v23 dst_sel:DWORD dst_unused:UNUSED_PAD src0_sel:DWORD src1_sel:WORD_1
	v_add_u32_e32 v11, 6, v11
	v_cmp_eq_u32_e32 vcc, 1, v12
	v_and_b32_e32 v12, 1, v41
	v_add_u32_e32 v54, v63, v54
	v_cndmask_b32_e32 v10, v11, v10, vcc
	v_lshlrev_b32_e32 v10, 1, v10
	ds_write_b16 v10, v13
	v_sub_u32_e32 v10, v59, v25
	v_sub_u32_e32 v11, v1, v10
	v_add_u32_e32 v11, 7, v11
	v_cmp_eq_u32_e32 vcc, 1, v12
	v_and_b32_e32 v12, 1, v20
	v_lshrrev_b32_e32 v29, 8, v20
	v_cndmask_b32_e32 v10, v11, v10, vcc
	v_lshlrev_b32_e32 v10, 1, v10
	ds_write_b16_d16_hi v10, v13
	v_sub_u32_e32 v10, v63, v25
	v_sub_u32_e32 v11, v1, v10
	v_add_u32_e32 v11, 8, v11
	v_cmp_eq_u32_e32 vcc, 1, v12
	v_and_b32_e32 v12, 1, v29
	v_add_u32_e32 v55, v54, v55
	v_cndmask_b32_e32 v10, v11, v10, vcc
	v_lshlrev_b32_e32 v10, 1, v10
	ds_write_b16 v10, v6
	v_sub_u32_e32 v10, v54, v25
	v_sub_u32_e32 v11, v1, v10
	v_add_u32_e32 v11, 9, v11
	v_cmp_eq_u32_e32 vcc, 1, v12
	v_add_u32_e32 v56, v55, v56
	v_add_u32_e32 v64, v56, v40
	v_cndmask_b32_e32 v10, v11, v10, vcc
	v_lshlrev_b32_e32 v10, 1, v10
	ds_write_b16_d16_hi v10, v6
	v_sub_u32_e32 v6, v55, v25
	v_sub_u32_e32 v10, v1, v6
	v_and_b32_sdwa v11, v32, v20 dst_sel:DWORD dst_unused:UNUSED_PAD src0_sel:DWORD src1_sel:WORD_1
	v_add_u32_e32 v10, 10, v10
	v_cmp_eq_u32_e32 vcc, 1, v11
	v_and_b32_e32 v11, 1, v40
	v_add_u32_e32 v51, v64, v51
	v_cndmask_b32_e32 v6, v10, v6, vcc
	v_lshlrev_b32_e32 v6, 1, v6
	ds_write_b16 v6, v7
	v_sub_u32_e32 v6, v56, v25
	v_sub_u32_e32 v10, v1, v6
	v_add_u32_e32 v10, 11, v10
	v_cmp_eq_u32_e32 vcc, 1, v11
	v_lshrrev_b32_e32 v28, 8, v21
	v_add_u32_e32 v52, v51, v52
	v_cndmask_b32_e32 v6, v10, v6, vcc
	v_lshlrev_b32_e32 v6, 1, v6
	ds_write_b16_d16_hi v6, v7
	v_sub_u32_e32 v6, v64, v25
	v_sub_u32_e32 v7, v1, v6
	v_and_b32_e32 v10, 1, v21
	v_add_u32_e32 v7, 12, v7
	v_cmp_eq_u32_e32 vcc, 1, v10
	v_and_b32_e32 v10, 1, v28
	v_add_u32_e32 v53, v52, v53
	v_cndmask_b32_e32 v6, v7, v6, vcc
	v_lshlrev_b32_e32 v6, 1, v6
	ds_write_b16 v6, v8
	v_sub_u32_e32 v6, v51, v25
	v_sub_u32_e32 v7, v1, v6
	v_add_u32_e32 v7, 13, v7
	v_cmp_eq_u32_e32 vcc, 1, v10
	v_add_u32_e32 v65, v53, v39
	v_add_u32_e32 v48, v65, v48
	v_cndmask_b32_e32 v6, v7, v6, vcc
	v_lshlrev_b32_e32 v6, 1, v6
	ds_write_b16_d16_hi v6, v8
	v_sub_u32_e32 v6, v52, v25
	v_sub_u32_e32 v7, v1, v6
	v_and_b32_sdwa v8, v32, v21 dst_sel:DWORD dst_unused:UNUSED_PAD src0_sel:DWORD src1_sel:WORD_1
	v_add_u32_e32 v7, 14, v7
	v_cmp_eq_u32_e32 vcc, 1, v8
	v_and_b32_e32 v8, 1, v39
	v_lshrrev_b32_e32 v27, 8, v18
	v_cndmask_b32_e32 v6, v7, v6, vcc
	v_lshlrev_b32_e32 v6, 1, v6
	ds_write_b16 v6, v9
	v_sub_u32_e32 v6, v53, v25
	v_sub_u32_e32 v7, v1, v6
	v_add_u32_e32 v7, 15, v7
	v_cmp_eq_u32_e32 vcc, 1, v8
	v_and_b32_e32 v8, 1, v18
	v_add_u32_e32 v49, v48, v49
	v_cndmask_b32_e32 v6, v7, v6, vcc
	v_lshlrev_b32_e32 v6, 1, v6
	ds_write_b16_d16_hi v6, v9
	v_sub_u32_e32 v6, v65, v25
	v_sub_u32_e32 v7, v1, v6
	v_add_u32_e32 v7, 16, v7
	v_cmp_eq_u32_e32 vcc, 1, v8
	v_and_b32_e32 v8, 1, v27
	v_add_u32_e32 v50, v49, v50
	v_cndmask_b32_e32 v6, v7, v6, vcc
	v_lshlrev_b32_e32 v6, 1, v6
	ds_write_b16 v6, v2
	v_sub_u32_e32 v6, v48, v25
	v_sub_u32_e32 v7, v1, v6
	v_add_u32_e32 v7, 17, v7
	v_cmp_eq_u32_e32 vcc, 1, v8
	v_add_u32_e32 v66, v50, v38
	v_add_u32_e32 v45, v66, v45
	v_cndmask_b32_e32 v6, v7, v6, vcc
	v_lshlrev_b32_e32 v6, 1, v6
	ds_write_b16_d16_hi v6, v2
	v_sub_u32_e32 v2, v49, v25
	v_sub_u32_e32 v6, v1, v2
	v_and_b32_sdwa v7, v32, v18 dst_sel:DWORD dst_unused:UNUSED_PAD src0_sel:DWORD src1_sel:WORD_1
	v_add_u32_e32 v6, 18, v6
	v_cmp_eq_u32_e32 vcc, 1, v7
	v_and_b32_e32 v7, 1, v38
	v_lshrrev_b32_e32 v26, 8, v19
	v_cndmask_b32_e32 v2, v6, v2, vcc
	v_lshlrev_b32_e32 v2, 1, v2
	ds_write_b16 v2, v3
	v_sub_u32_e32 v2, v50, v25
	v_sub_u32_e32 v6, v1, v2
	v_add_u32_e32 v6, 19, v6
	v_cmp_eq_u32_e32 vcc, 1, v7
	v_add_u32_e32 v46, v45, v46
	v_add_u32_e32 v47, v46, v47
	v_cndmask_b32_e32 v2, v6, v2, vcc
	v_lshlrev_b32_e32 v2, 1, v2
	ds_write_b16_d16_hi v2, v3
	v_sub_u32_e32 v2, v66, v25
	v_sub_u32_e32 v3, v1, v2
	v_and_b32_e32 v6, 1, v19
	v_add_u32_e32 v3, 20, v3
	v_cmp_eq_u32_e32 vcc, 1, v6
	v_and_b32_e32 v6, 1, v26
	v_add_u32_e32 v67, v47, v37
	v_cndmask_b32_e32 v2, v3, v2, vcc
	v_lshlrev_b32_e32 v2, 1, v2
	ds_write_b16 v2, v4
	v_sub_u32_e32 v2, v45, v25
	v_sub_u32_e32 v3, v1, v2
	v_add_u32_e32 v3, 21, v3
	v_cmp_eq_u32_e32 vcc, 1, v6
	v_add_u32_e32 v43, v67, v43
	v_lshrrev_b32_e32 v0, 8, v35
	v_cndmask_b32_e32 v2, v3, v2, vcc
	v_lshlrev_b32_e32 v2, 1, v2
	ds_write_b16_d16_hi v2, v4
	v_sub_u32_e32 v2, v46, v25
	v_sub_u32_e32 v3, v1, v2
	v_and_b32_sdwa v4, v32, v19 dst_sel:DWORD dst_unused:UNUSED_PAD src0_sel:DWORD src1_sel:WORD_1
	v_add_u32_e32 v3, 22, v3
	v_cmp_eq_u32_e32 vcc, 1, v4
	v_and_b32_e32 v4, 1, v37
	v_and_b32_e32 v0, 1, v0
	v_cndmask_b32_e32 v2, v3, v2, vcc
	v_lshlrev_b32_e32 v2, 1, v2
	ds_write_b16 v2, v5
	v_sub_u32_e32 v2, v47, v25
	v_sub_u32_e32 v3, v1, v2
	v_add_u32_e32 v3, 23, v3
	v_cmp_eq_u32_e32 vcc, 1, v4
	v_and_b32_e32 v4, 1, v35
	v_add_u32_e32 v44, v43, v44
	v_cndmask_b32_e32 v2, v3, v2, vcc
	v_lshlrev_b32_e32 v2, 1, v2
	ds_write_b16_d16_hi v2, v5
	v_sub_u32_e32 v2, v67, v25
	v_sub_u32_e32 v3, v1, v2
	v_add_u32_e32 v3, 24, v3
	v_cmp_eq_u32_e32 vcc, 1, v4
	s_and_b64 s[0:1], s[18:19], s[22:23]
	s_nop 0
	v_cndmask_b32_e32 v2, v3, v2, vcc
	v_lshlrev_b32_e32 v2, 1, v2
	ds_write_b16 v2, v16
	v_sub_u32_e32 v2, v43, v25
	v_sub_u32_e32 v3, v1, v2
	v_add_u32_e32 v3, 25, v3
	v_cmp_eq_u32_e32 vcc, 1, v0
	s_nop 1
	v_cndmask_b32_e32 v0, v3, v2, vcc
	v_lshlrev_b32_e32 v0, 1, v0
	ds_write_b16_d16_hi v0, v16
	v_sub_u32_e32 v0, v44, v25
	v_sub_u32_e32 v2, v1, v0
	v_and_b32_sdwa v3, v32, v35 dst_sel:DWORD dst_unused:UNUSED_PAD src0_sel:DWORD src1_sel:WORD_1
	v_add_u32_e32 v2, 26, v2
	v_cmp_eq_u32_e32 vcc, 1, v3
	s_nop 1
	v_cndmask_b32_e32 v0, v2, v0, vcc
	v_lshlrev_b32_e32 v0, 1, v0
	ds_write_b16 v0, v17
	v_sub_u32_e32 v0, v36, v25
	v_add_u32_e32 v0, v44, v0
	v_sub_u32_e32 v1, v1, v0
	v_and_b32_e32 v2, 1, v34
	v_add_u32_e32 v1, 27, v1
	v_cmp_eq_u32_e32 vcc, 1, v2
	s_nop 1
	v_cndmask_b32_e32 v0, v1, v0, vcc
	v_lshlrev_b32_e32 v0, 1, v0
	ds_write_b16_d16_hi v0, v17
	s_waitcnt lgkmcnt(0)
	s_barrier
	s_and_saveexec_b64 s[2:3], s[0:1]
	s_cbranch_execz .LBB3092_163
; %bb.162:
	v_mov_b32_e32 v1, 0
	v_mov_b32_e32 v0, v24
	s_waitcnt vmcnt(0)
	v_lshl_add_u64 v[2:3], v[14:15], 0, v[0:1]
	v_mov_b32_e32 v0, v25
	v_lshl_add_u64 v[2:3], v[2:3], 0, v[0:1]
	global_store_dwordx2 v1, v[2:3], s[20:21]
.LBB3092_163:
	s_endpgm
	.section	.rodata,"a",@progbits
	.p2align	6, 0x0
	.amdhsa_kernel _ZN7rocprim17ROCPRIM_400000_NS6detail17trampoline_kernelINS0_14default_configENS1_25partition_config_selectorILNS1_17partition_subalgoE1EtNS0_10empty_typeEbEEZZNS1_14partition_implILS5_1ELb0ES3_jN6thrust23THRUST_200600_302600_NS6detail15normal_iteratorINSA_10device_ptrItEEEEPS6_NSA_18transform_iteratorI7is_evenItESF_NSA_11use_defaultESK_EENS0_5tupleIJNSA_16discard_iteratorISK_EESO_EEENSM_IJSG_SG_EEES6_PlJS6_EEE10hipError_tPvRmT3_T4_T5_T6_T7_T9_mT8_P12ihipStream_tbDpT10_ENKUlT_T0_E_clISt17integral_constantIbLb0EES1A_IbLb1EEEEDaS16_S17_EUlS16_E_NS1_11comp_targetILNS1_3genE5ELNS1_11target_archE942ELNS1_3gpuE9ELNS1_3repE0EEENS1_30default_config_static_selectorELNS0_4arch9wavefront6targetE1EEEvT1_
		.amdhsa_group_segment_fixed_size 28680
		.amdhsa_private_segment_fixed_size 0
		.amdhsa_kernarg_size 160
		.amdhsa_user_sgpr_count 2
		.amdhsa_user_sgpr_dispatch_ptr 0
		.amdhsa_user_sgpr_queue_ptr 0
		.amdhsa_user_sgpr_kernarg_segment_ptr 1
		.amdhsa_user_sgpr_dispatch_id 0
		.amdhsa_user_sgpr_kernarg_preload_length 0
		.amdhsa_user_sgpr_kernarg_preload_offset 0
		.amdhsa_user_sgpr_private_segment_size 0
		.amdhsa_uses_dynamic_stack 0
		.amdhsa_enable_private_segment 0
		.amdhsa_system_sgpr_workgroup_id_x 1
		.amdhsa_system_sgpr_workgroup_id_y 0
		.amdhsa_system_sgpr_workgroup_id_z 0
		.amdhsa_system_sgpr_workgroup_info 0
		.amdhsa_system_vgpr_workitem_id 0
		.amdhsa_next_free_vgpr 80
		.amdhsa_next_free_sgpr 36
		.amdhsa_accum_offset 80
		.amdhsa_reserve_vcc 1
		.amdhsa_float_round_mode_32 0
		.amdhsa_float_round_mode_16_64 0
		.amdhsa_float_denorm_mode_32 3
		.amdhsa_float_denorm_mode_16_64 3
		.amdhsa_dx10_clamp 1
		.amdhsa_ieee_mode 1
		.amdhsa_fp16_overflow 0
		.amdhsa_tg_split 0
		.amdhsa_exception_fp_ieee_invalid_op 0
		.amdhsa_exception_fp_denorm_src 0
		.amdhsa_exception_fp_ieee_div_zero 0
		.amdhsa_exception_fp_ieee_overflow 0
		.amdhsa_exception_fp_ieee_underflow 0
		.amdhsa_exception_fp_ieee_inexact 0
		.amdhsa_exception_int_div_zero 0
	.end_amdhsa_kernel
	.section	.text._ZN7rocprim17ROCPRIM_400000_NS6detail17trampoline_kernelINS0_14default_configENS1_25partition_config_selectorILNS1_17partition_subalgoE1EtNS0_10empty_typeEbEEZZNS1_14partition_implILS5_1ELb0ES3_jN6thrust23THRUST_200600_302600_NS6detail15normal_iteratorINSA_10device_ptrItEEEEPS6_NSA_18transform_iteratorI7is_evenItESF_NSA_11use_defaultESK_EENS0_5tupleIJNSA_16discard_iteratorISK_EESO_EEENSM_IJSG_SG_EEES6_PlJS6_EEE10hipError_tPvRmT3_T4_T5_T6_T7_T9_mT8_P12ihipStream_tbDpT10_ENKUlT_T0_E_clISt17integral_constantIbLb0EES1A_IbLb1EEEEDaS16_S17_EUlS16_E_NS1_11comp_targetILNS1_3genE5ELNS1_11target_archE942ELNS1_3gpuE9ELNS1_3repE0EEENS1_30default_config_static_selectorELNS0_4arch9wavefront6targetE1EEEvT1_,"axG",@progbits,_ZN7rocprim17ROCPRIM_400000_NS6detail17trampoline_kernelINS0_14default_configENS1_25partition_config_selectorILNS1_17partition_subalgoE1EtNS0_10empty_typeEbEEZZNS1_14partition_implILS5_1ELb0ES3_jN6thrust23THRUST_200600_302600_NS6detail15normal_iteratorINSA_10device_ptrItEEEEPS6_NSA_18transform_iteratorI7is_evenItESF_NSA_11use_defaultESK_EENS0_5tupleIJNSA_16discard_iteratorISK_EESO_EEENSM_IJSG_SG_EEES6_PlJS6_EEE10hipError_tPvRmT3_T4_T5_T6_T7_T9_mT8_P12ihipStream_tbDpT10_ENKUlT_T0_E_clISt17integral_constantIbLb0EES1A_IbLb1EEEEDaS16_S17_EUlS16_E_NS1_11comp_targetILNS1_3genE5ELNS1_11target_archE942ELNS1_3gpuE9ELNS1_3repE0EEENS1_30default_config_static_selectorELNS0_4arch9wavefront6targetE1EEEvT1_,comdat
.Lfunc_end3092:
	.size	_ZN7rocprim17ROCPRIM_400000_NS6detail17trampoline_kernelINS0_14default_configENS1_25partition_config_selectorILNS1_17partition_subalgoE1EtNS0_10empty_typeEbEEZZNS1_14partition_implILS5_1ELb0ES3_jN6thrust23THRUST_200600_302600_NS6detail15normal_iteratorINSA_10device_ptrItEEEEPS6_NSA_18transform_iteratorI7is_evenItESF_NSA_11use_defaultESK_EENS0_5tupleIJNSA_16discard_iteratorISK_EESO_EEENSM_IJSG_SG_EEES6_PlJS6_EEE10hipError_tPvRmT3_T4_T5_T6_T7_T9_mT8_P12ihipStream_tbDpT10_ENKUlT_T0_E_clISt17integral_constantIbLb0EES1A_IbLb1EEEEDaS16_S17_EUlS16_E_NS1_11comp_targetILNS1_3genE5ELNS1_11target_archE942ELNS1_3gpuE9ELNS1_3repE0EEENS1_30default_config_static_selectorELNS0_4arch9wavefront6targetE1EEEvT1_, .Lfunc_end3092-_ZN7rocprim17ROCPRIM_400000_NS6detail17trampoline_kernelINS0_14default_configENS1_25partition_config_selectorILNS1_17partition_subalgoE1EtNS0_10empty_typeEbEEZZNS1_14partition_implILS5_1ELb0ES3_jN6thrust23THRUST_200600_302600_NS6detail15normal_iteratorINSA_10device_ptrItEEEEPS6_NSA_18transform_iteratorI7is_evenItESF_NSA_11use_defaultESK_EENS0_5tupleIJNSA_16discard_iteratorISK_EESO_EEENSM_IJSG_SG_EEES6_PlJS6_EEE10hipError_tPvRmT3_T4_T5_T6_T7_T9_mT8_P12ihipStream_tbDpT10_ENKUlT_T0_E_clISt17integral_constantIbLb0EES1A_IbLb1EEEEDaS16_S17_EUlS16_E_NS1_11comp_targetILNS1_3genE5ELNS1_11target_archE942ELNS1_3gpuE9ELNS1_3repE0EEENS1_30default_config_static_selectorELNS0_4arch9wavefront6targetE1EEEvT1_
                                        ; -- End function
	.section	.AMDGPU.csdata,"",@progbits
; Kernel info:
; codeLenInByte = 8668
; NumSgprs: 42
; NumVgprs: 80
; NumAgprs: 0
; TotalNumVgprs: 80
; ScratchSize: 0
; MemoryBound: 0
; FloatMode: 240
; IeeeMode: 1
; LDSByteSize: 28680 bytes/workgroup (compile time only)
; SGPRBlocks: 5
; VGPRBlocks: 9
; NumSGPRsForWavesPerEU: 42
; NumVGPRsForWavesPerEU: 80
; AccumOffset: 80
; Occupancy: 4
; WaveLimiterHint : 1
; COMPUTE_PGM_RSRC2:SCRATCH_EN: 0
; COMPUTE_PGM_RSRC2:USER_SGPR: 2
; COMPUTE_PGM_RSRC2:TRAP_HANDLER: 0
; COMPUTE_PGM_RSRC2:TGID_X_EN: 1
; COMPUTE_PGM_RSRC2:TGID_Y_EN: 0
; COMPUTE_PGM_RSRC2:TGID_Z_EN: 0
; COMPUTE_PGM_RSRC2:TIDIG_COMP_CNT: 0
; COMPUTE_PGM_RSRC3_GFX90A:ACCUM_OFFSET: 19
; COMPUTE_PGM_RSRC3_GFX90A:TG_SPLIT: 0
	.section	.text._ZN7rocprim17ROCPRIM_400000_NS6detail17trampoline_kernelINS0_14default_configENS1_25partition_config_selectorILNS1_17partition_subalgoE1EtNS0_10empty_typeEbEEZZNS1_14partition_implILS5_1ELb0ES3_jN6thrust23THRUST_200600_302600_NS6detail15normal_iteratorINSA_10device_ptrItEEEEPS6_NSA_18transform_iteratorI7is_evenItESF_NSA_11use_defaultESK_EENS0_5tupleIJNSA_16discard_iteratorISK_EESO_EEENSM_IJSG_SG_EEES6_PlJS6_EEE10hipError_tPvRmT3_T4_T5_T6_T7_T9_mT8_P12ihipStream_tbDpT10_ENKUlT_T0_E_clISt17integral_constantIbLb0EES1A_IbLb1EEEEDaS16_S17_EUlS16_E_NS1_11comp_targetILNS1_3genE4ELNS1_11target_archE910ELNS1_3gpuE8ELNS1_3repE0EEENS1_30default_config_static_selectorELNS0_4arch9wavefront6targetE1EEEvT1_,"axG",@progbits,_ZN7rocprim17ROCPRIM_400000_NS6detail17trampoline_kernelINS0_14default_configENS1_25partition_config_selectorILNS1_17partition_subalgoE1EtNS0_10empty_typeEbEEZZNS1_14partition_implILS5_1ELb0ES3_jN6thrust23THRUST_200600_302600_NS6detail15normal_iteratorINSA_10device_ptrItEEEEPS6_NSA_18transform_iteratorI7is_evenItESF_NSA_11use_defaultESK_EENS0_5tupleIJNSA_16discard_iteratorISK_EESO_EEENSM_IJSG_SG_EEES6_PlJS6_EEE10hipError_tPvRmT3_T4_T5_T6_T7_T9_mT8_P12ihipStream_tbDpT10_ENKUlT_T0_E_clISt17integral_constantIbLb0EES1A_IbLb1EEEEDaS16_S17_EUlS16_E_NS1_11comp_targetILNS1_3genE4ELNS1_11target_archE910ELNS1_3gpuE8ELNS1_3repE0EEENS1_30default_config_static_selectorELNS0_4arch9wavefront6targetE1EEEvT1_,comdat
	.protected	_ZN7rocprim17ROCPRIM_400000_NS6detail17trampoline_kernelINS0_14default_configENS1_25partition_config_selectorILNS1_17partition_subalgoE1EtNS0_10empty_typeEbEEZZNS1_14partition_implILS5_1ELb0ES3_jN6thrust23THRUST_200600_302600_NS6detail15normal_iteratorINSA_10device_ptrItEEEEPS6_NSA_18transform_iteratorI7is_evenItESF_NSA_11use_defaultESK_EENS0_5tupleIJNSA_16discard_iteratorISK_EESO_EEENSM_IJSG_SG_EEES6_PlJS6_EEE10hipError_tPvRmT3_T4_T5_T6_T7_T9_mT8_P12ihipStream_tbDpT10_ENKUlT_T0_E_clISt17integral_constantIbLb0EES1A_IbLb1EEEEDaS16_S17_EUlS16_E_NS1_11comp_targetILNS1_3genE4ELNS1_11target_archE910ELNS1_3gpuE8ELNS1_3repE0EEENS1_30default_config_static_selectorELNS0_4arch9wavefront6targetE1EEEvT1_ ; -- Begin function _ZN7rocprim17ROCPRIM_400000_NS6detail17trampoline_kernelINS0_14default_configENS1_25partition_config_selectorILNS1_17partition_subalgoE1EtNS0_10empty_typeEbEEZZNS1_14partition_implILS5_1ELb0ES3_jN6thrust23THRUST_200600_302600_NS6detail15normal_iteratorINSA_10device_ptrItEEEEPS6_NSA_18transform_iteratorI7is_evenItESF_NSA_11use_defaultESK_EENS0_5tupleIJNSA_16discard_iteratorISK_EESO_EEENSM_IJSG_SG_EEES6_PlJS6_EEE10hipError_tPvRmT3_T4_T5_T6_T7_T9_mT8_P12ihipStream_tbDpT10_ENKUlT_T0_E_clISt17integral_constantIbLb0EES1A_IbLb1EEEEDaS16_S17_EUlS16_E_NS1_11comp_targetILNS1_3genE4ELNS1_11target_archE910ELNS1_3gpuE8ELNS1_3repE0EEENS1_30default_config_static_selectorELNS0_4arch9wavefront6targetE1EEEvT1_
	.globl	_ZN7rocprim17ROCPRIM_400000_NS6detail17trampoline_kernelINS0_14default_configENS1_25partition_config_selectorILNS1_17partition_subalgoE1EtNS0_10empty_typeEbEEZZNS1_14partition_implILS5_1ELb0ES3_jN6thrust23THRUST_200600_302600_NS6detail15normal_iteratorINSA_10device_ptrItEEEEPS6_NSA_18transform_iteratorI7is_evenItESF_NSA_11use_defaultESK_EENS0_5tupleIJNSA_16discard_iteratorISK_EESO_EEENSM_IJSG_SG_EEES6_PlJS6_EEE10hipError_tPvRmT3_T4_T5_T6_T7_T9_mT8_P12ihipStream_tbDpT10_ENKUlT_T0_E_clISt17integral_constantIbLb0EES1A_IbLb1EEEEDaS16_S17_EUlS16_E_NS1_11comp_targetILNS1_3genE4ELNS1_11target_archE910ELNS1_3gpuE8ELNS1_3repE0EEENS1_30default_config_static_selectorELNS0_4arch9wavefront6targetE1EEEvT1_
	.p2align	8
	.type	_ZN7rocprim17ROCPRIM_400000_NS6detail17trampoline_kernelINS0_14default_configENS1_25partition_config_selectorILNS1_17partition_subalgoE1EtNS0_10empty_typeEbEEZZNS1_14partition_implILS5_1ELb0ES3_jN6thrust23THRUST_200600_302600_NS6detail15normal_iteratorINSA_10device_ptrItEEEEPS6_NSA_18transform_iteratorI7is_evenItESF_NSA_11use_defaultESK_EENS0_5tupleIJNSA_16discard_iteratorISK_EESO_EEENSM_IJSG_SG_EEES6_PlJS6_EEE10hipError_tPvRmT3_T4_T5_T6_T7_T9_mT8_P12ihipStream_tbDpT10_ENKUlT_T0_E_clISt17integral_constantIbLb0EES1A_IbLb1EEEEDaS16_S17_EUlS16_E_NS1_11comp_targetILNS1_3genE4ELNS1_11target_archE910ELNS1_3gpuE8ELNS1_3repE0EEENS1_30default_config_static_selectorELNS0_4arch9wavefront6targetE1EEEvT1_,@function
_ZN7rocprim17ROCPRIM_400000_NS6detail17trampoline_kernelINS0_14default_configENS1_25partition_config_selectorILNS1_17partition_subalgoE1EtNS0_10empty_typeEbEEZZNS1_14partition_implILS5_1ELb0ES3_jN6thrust23THRUST_200600_302600_NS6detail15normal_iteratorINSA_10device_ptrItEEEEPS6_NSA_18transform_iteratorI7is_evenItESF_NSA_11use_defaultESK_EENS0_5tupleIJNSA_16discard_iteratorISK_EESO_EEENSM_IJSG_SG_EEES6_PlJS6_EEE10hipError_tPvRmT3_T4_T5_T6_T7_T9_mT8_P12ihipStream_tbDpT10_ENKUlT_T0_E_clISt17integral_constantIbLb0EES1A_IbLb1EEEEDaS16_S17_EUlS16_E_NS1_11comp_targetILNS1_3genE4ELNS1_11target_archE910ELNS1_3gpuE8ELNS1_3repE0EEENS1_30default_config_static_selectorELNS0_4arch9wavefront6targetE1EEEvT1_: ; @_ZN7rocprim17ROCPRIM_400000_NS6detail17trampoline_kernelINS0_14default_configENS1_25partition_config_selectorILNS1_17partition_subalgoE1EtNS0_10empty_typeEbEEZZNS1_14partition_implILS5_1ELb0ES3_jN6thrust23THRUST_200600_302600_NS6detail15normal_iteratorINSA_10device_ptrItEEEEPS6_NSA_18transform_iteratorI7is_evenItESF_NSA_11use_defaultESK_EENS0_5tupleIJNSA_16discard_iteratorISK_EESO_EEENSM_IJSG_SG_EEES6_PlJS6_EEE10hipError_tPvRmT3_T4_T5_T6_T7_T9_mT8_P12ihipStream_tbDpT10_ENKUlT_T0_E_clISt17integral_constantIbLb0EES1A_IbLb1EEEEDaS16_S17_EUlS16_E_NS1_11comp_targetILNS1_3genE4ELNS1_11target_archE910ELNS1_3gpuE8ELNS1_3repE0EEENS1_30default_config_static_selectorELNS0_4arch9wavefront6targetE1EEEvT1_
; %bb.0:
	.section	.rodata,"a",@progbits
	.p2align	6, 0x0
	.amdhsa_kernel _ZN7rocprim17ROCPRIM_400000_NS6detail17trampoline_kernelINS0_14default_configENS1_25partition_config_selectorILNS1_17partition_subalgoE1EtNS0_10empty_typeEbEEZZNS1_14partition_implILS5_1ELb0ES3_jN6thrust23THRUST_200600_302600_NS6detail15normal_iteratorINSA_10device_ptrItEEEEPS6_NSA_18transform_iteratorI7is_evenItESF_NSA_11use_defaultESK_EENS0_5tupleIJNSA_16discard_iteratorISK_EESO_EEENSM_IJSG_SG_EEES6_PlJS6_EEE10hipError_tPvRmT3_T4_T5_T6_T7_T9_mT8_P12ihipStream_tbDpT10_ENKUlT_T0_E_clISt17integral_constantIbLb0EES1A_IbLb1EEEEDaS16_S17_EUlS16_E_NS1_11comp_targetILNS1_3genE4ELNS1_11target_archE910ELNS1_3gpuE8ELNS1_3repE0EEENS1_30default_config_static_selectorELNS0_4arch9wavefront6targetE1EEEvT1_
		.amdhsa_group_segment_fixed_size 0
		.amdhsa_private_segment_fixed_size 0
		.amdhsa_kernarg_size 160
		.amdhsa_user_sgpr_count 2
		.amdhsa_user_sgpr_dispatch_ptr 0
		.amdhsa_user_sgpr_queue_ptr 0
		.amdhsa_user_sgpr_kernarg_segment_ptr 1
		.amdhsa_user_sgpr_dispatch_id 0
		.amdhsa_user_sgpr_kernarg_preload_length 0
		.amdhsa_user_sgpr_kernarg_preload_offset 0
		.amdhsa_user_sgpr_private_segment_size 0
		.amdhsa_uses_dynamic_stack 0
		.amdhsa_enable_private_segment 0
		.amdhsa_system_sgpr_workgroup_id_x 1
		.amdhsa_system_sgpr_workgroup_id_y 0
		.amdhsa_system_sgpr_workgroup_id_z 0
		.amdhsa_system_sgpr_workgroup_info 0
		.amdhsa_system_vgpr_workitem_id 0
		.amdhsa_next_free_vgpr 1
		.amdhsa_next_free_sgpr 0
		.amdhsa_accum_offset 4
		.amdhsa_reserve_vcc 0
		.amdhsa_float_round_mode_32 0
		.amdhsa_float_round_mode_16_64 0
		.amdhsa_float_denorm_mode_32 3
		.amdhsa_float_denorm_mode_16_64 3
		.amdhsa_dx10_clamp 1
		.amdhsa_ieee_mode 1
		.amdhsa_fp16_overflow 0
		.amdhsa_tg_split 0
		.amdhsa_exception_fp_ieee_invalid_op 0
		.amdhsa_exception_fp_denorm_src 0
		.amdhsa_exception_fp_ieee_div_zero 0
		.amdhsa_exception_fp_ieee_overflow 0
		.amdhsa_exception_fp_ieee_underflow 0
		.amdhsa_exception_fp_ieee_inexact 0
		.amdhsa_exception_int_div_zero 0
	.end_amdhsa_kernel
	.section	.text._ZN7rocprim17ROCPRIM_400000_NS6detail17trampoline_kernelINS0_14default_configENS1_25partition_config_selectorILNS1_17partition_subalgoE1EtNS0_10empty_typeEbEEZZNS1_14partition_implILS5_1ELb0ES3_jN6thrust23THRUST_200600_302600_NS6detail15normal_iteratorINSA_10device_ptrItEEEEPS6_NSA_18transform_iteratorI7is_evenItESF_NSA_11use_defaultESK_EENS0_5tupleIJNSA_16discard_iteratorISK_EESO_EEENSM_IJSG_SG_EEES6_PlJS6_EEE10hipError_tPvRmT3_T4_T5_T6_T7_T9_mT8_P12ihipStream_tbDpT10_ENKUlT_T0_E_clISt17integral_constantIbLb0EES1A_IbLb1EEEEDaS16_S17_EUlS16_E_NS1_11comp_targetILNS1_3genE4ELNS1_11target_archE910ELNS1_3gpuE8ELNS1_3repE0EEENS1_30default_config_static_selectorELNS0_4arch9wavefront6targetE1EEEvT1_,"axG",@progbits,_ZN7rocprim17ROCPRIM_400000_NS6detail17trampoline_kernelINS0_14default_configENS1_25partition_config_selectorILNS1_17partition_subalgoE1EtNS0_10empty_typeEbEEZZNS1_14partition_implILS5_1ELb0ES3_jN6thrust23THRUST_200600_302600_NS6detail15normal_iteratorINSA_10device_ptrItEEEEPS6_NSA_18transform_iteratorI7is_evenItESF_NSA_11use_defaultESK_EENS0_5tupleIJNSA_16discard_iteratorISK_EESO_EEENSM_IJSG_SG_EEES6_PlJS6_EEE10hipError_tPvRmT3_T4_T5_T6_T7_T9_mT8_P12ihipStream_tbDpT10_ENKUlT_T0_E_clISt17integral_constantIbLb0EES1A_IbLb1EEEEDaS16_S17_EUlS16_E_NS1_11comp_targetILNS1_3genE4ELNS1_11target_archE910ELNS1_3gpuE8ELNS1_3repE0EEENS1_30default_config_static_selectorELNS0_4arch9wavefront6targetE1EEEvT1_,comdat
.Lfunc_end3093:
	.size	_ZN7rocprim17ROCPRIM_400000_NS6detail17trampoline_kernelINS0_14default_configENS1_25partition_config_selectorILNS1_17partition_subalgoE1EtNS0_10empty_typeEbEEZZNS1_14partition_implILS5_1ELb0ES3_jN6thrust23THRUST_200600_302600_NS6detail15normal_iteratorINSA_10device_ptrItEEEEPS6_NSA_18transform_iteratorI7is_evenItESF_NSA_11use_defaultESK_EENS0_5tupleIJNSA_16discard_iteratorISK_EESO_EEENSM_IJSG_SG_EEES6_PlJS6_EEE10hipError_tPvRmT3_T4_T5_T6_T7_T9_mT8_P12ihipStream_tbDpT10_ENKUlT_T0_E_clISt17integral_constantIbLb0EES1A_IbLb1EEEEDaS16_S17_EUlS16_E_NS1_11comp_targetILNS1_3genE4ELNS1_11target_archE910ELNS1_3gpuE8ELNS1_3repE0EEENS1_30default_config_static_selectorELNS0_4arch9wavefront6targetE1EEEvT1_, .Lfunc_end3093-_ZN7rocprim17ROCPRIM_400000_NS6detail17trampoline_kernelINS0_14default_configENS1_25partition_config_selectorILNS1_17partition_subalgoE1EtNS0_10empty_typeEbEEZZNS1_14partition_implILS5_1ELb0ES3_jN6thrust23THRUST_200600_302600_NS6detail15normal_iteratorINSA_10device_ptrItEEEEPS6_NSA_18transform_iteratorI7is_evenItESF_NSA_11use_defaultESK_EENS0_5tupleIJNSA_16discard_iteratorISK_EESO_EEENSM_IJSG_SG_EEES6_PlJS6_EEE10hipError_tPvRmT3_T4_T5_T6_T7_T9_mT8_P12ihipStream_tbDpT10_ENKUlT_T0_E_clISt17integral_constantIbLb0EES1A_IbLb1EEEEDaS16_S17_EUlS16_E_NS1_11comp_targetILNS1_3genE4ELNS1_11target_archE910ELNS1_3gpuE8ELNS1_3repE0EEENS1_30default_config_static_selectorELNS0_4arch9wavefront6targetE1EEEvT1_
                                        ; -- End function
	.section	.AMDGPU.csdata,"",@progbits
; Kernel info:
; codeLenInByte = 0
; NumSgprs: 6
; NumVgprs: 0
; NumAgprs: 0
; TotalNumVgprs: 0
; ScratchSize: 0
; MemoryBound: 0
; FloatMode: 240
; IeeeMode: 1
; LDSByteSize: 0 bytes/workgroup (compile time only)
; SGPRBlocks: 0
; VGPRBlocks: 0
; NumSGPRsForWavesPerEU: 6
; NumVGPRsForWavesPerEU: 1
; AccumOffset: 4
; Occupancy: 8
; WaveLimiterHint : 0
; COMPUTE_PGM_RSRC2:SCRATCH_EN: 0
; COMPUTE_PGM_RSRC2:USER_SGPR: 2
; COMPUTE_PGM_RSRC2:TRAP_HANDLER: 0
; COMPUTE_PGM_RSRC2:TGID_X_EN: 1
; COMPUTE_PGM_RSRC2:TGID_Y_EN: 0
; COMPUTE_PGM_RSRC2:TGID_Z_EN: 0
; COMPUTE_PGM_RSRC2:TIDIG_COMP_CNT: 0
; COMPUTE_PGM_RSRC3_GFX90A:ACCUM_OFFSET: 0
; COMPUTE_PGM_RSRC3_GFX90A:TG_SPLIT: 0
	.section	.text._ZN7rocprim17ROCPRIM_400000_NS6detail17trampoline_kernelINS0_14default_configENS1_25partition_config_selectorILNS1_17partition_subalgoE1EtNS0_10empty_typeEbEEZZNS1_14partition_implILS5_1ELb0ES3_jN6thrust23THRUST_200600_302600_NS6detail15normal_iteratorINSA_10device_ptrItEEEEPS6_NSA_18transform_iteratorI7is_evenItESF_NSA_11use_defaultESK_EENS0_5tupleIJNSA_16discard_iteratorISK_EESO_EEENSM_IJSG_SG_EEES6_PlJS6_EEE10hipError_tPvRmT3_T4_T5_T6_T7_T9_mT8_P12ihipStream_tbDpT10_ENKUlT_T0_E_clISt17integral_constantIbLb0EES1A_IbLb1EEEEDaS16_S17_EUlS16_E_NS1_11comp_targetILNS1_3genE3ELNS1_11target_archE908ELNS1_3gpuE7ELNS1_3repE0EEENS1_30default_config_static_selectorELNS0_4arch9wavefront6targetE1EEEvT1_,"axG",@progbits,_ZN7rocprim17ROCPRIM_400000_NS6detail17trampoline_kernelINS0_14default_configENS1_25partition_config_selectorILNS1_17partition_subalgoE1EtNS0_10empty_typeEbEEZZNS1_14partition_implILS5_1ELb0ES3_jN6thrust23THRUST_200600_302600_NS6detail15normal_iteratorINSA_10device_ptrItEEEEPS6_NSA_18transform_iteratorI7is_evenItESF_NSA_11use_defaultESK_EENS0_5tupleIJNSA_16discard_iteratorISK_EESO_EEENSM_IJSG_SG_EEES6_PlJS6_EEE10hipError_tPvRmT3_T4_T5_T6_T7_T9_mT8_P12ihipStream_tbDpT10_ENKUlT_T0_E_clISt17integral_constantIbLb0EES1A_IbLb1EEEEDaS16_S17_EUlS16_E_NS1_11comp_targetILNS1_3genE3ELNS1_11target_archE908ELNS1_3gpuE7ELNS1_3repE0EEENS1_30default_config_static_selectorELNS0_4arch9wavefront6targetE1EEEvT1_,comdat
	.protected	_ZN7rocprim17ROCPRIM_400000_NS6detail17trampoline_kernelINS0_14default_configENS1_25partition_config_selectorILNS1_17partition_subalgoE1EtNS0_10empty_typeEbEEZZNS1_14partition_implILS5_1ELb0ES3_jN6thrust23THRUST_200600_302600_NS6detail15normal_iteratorINSA_10device_ptrItEEEEPS6_NSA_18transform_iteratorI7is_evenItESF_NSA_11use_defaultESK_EENS0_5tupleIJNSA_16discard_iteratorISK_EESO_EEENSM_IJSG_SG_EEES6_PlJS6_EEE10hipError_tPvRmT3_T4_T5_T6_T7_T9_mT8_P12ihipStream_tbDpT10_ENKUlT_T0_E_clISt17integral_constantIbLb0EES1A_IbLb1EEEEDaS16_S17_EUlS16_E_NS1_11comp_targetILNS1_3genE3ELNS1_11target_archE908ELNS1_3gpuE7ELNS1_3repE0EEENS1_30default_config_static_selectorELNS0_4arch9wavefront6targetE1EEEvT1_ ; -- Begin function _ZN7rocprim17ROCPRIM_400000_NS6detail17trampoline_kernelINS0_14default_configENS1_25partition_config_selectorILNS1_17partition_subalgoE1EtNS0_10empty_typeEbEEZZNS1_14partition_implILS5_1ELb0ES3_jN6thrust23THRUST_200600_302600_NS6detail15normal_iteratorINSA_10device_ptrItEEEEPS6_NSA_18transform_iteratorI7is_evenItESF_NSA_11use_defaultESK_EENS0_5tupleIJNSA_16discard_iteratorISK_EESO_EEENSM_IJSG_SG_EEES6_PlJS6_EEE10hipError_tPvRmT3_T4_T5_T6_T7_T9_mT8_P12ihipStream_tbDpT10_ENKUlT_T0_E_clISt17integral_constantIbLb0EES1A_IbLb1EEEEDaS16_S17_EUlS16_E_NS1_11comp_targetILNS1_3genE3ELNS1_11target_archE908ELNS1_3gpuE7ELNS1_3repE0EEENS1_30default_config_static_selectorELNS0_4arch9wavefront6targetE1EEEvT1_
	.globl	_ZN7rocprim17ROCPRIM_400000_NS6detail17trampoline_kernelINS0_14default_configENS1_25partition_config_selectorILNS1_17partition_subalgoE1EtNS0_10empty_typeEbEEZZNS1_14partition_implILS5_1ELb0ES3_jN6thrust23THRUST_200600_302600_NS6detail15normal_iteratorINSA_10device_ptrItEEEEPS6_NSA_18transform_iteratorI7is_evenItESF_NSA_11use_defaultESK_EENS0_5tupleIJNSA_16discard_iteratorISK_EESO_EEENSM_IJSG_SG_EEES6_PlJS6_EEE10hipError_tPvRmT3_T4_T5_T6_T7_T9_mT8_P12ihipStream_tbDpT10_ENKUlT_T0_E_clISt17integral_constantIbLb0EES1A_IbLb1EEEEDaS16_S17_EUlS16_E_NS1_11comp_targetILNS1_3genE3ELNS1_11target_archE908ELNS1_3gpuE7ELNS1_3repE0EEENS1_30default_config_static_selectorELNS0_4arch9wavefront6targetE1EEEvT1_
	.p2align	8
	.type	_ZN7rocprim17ROCPRIM_400000_NS6detail17trampoline_kernelINS0_14default_configENS1_25partition_config_selectorILNS1_17partition_subalgoE1EtNS0_10empty_typeEbEEZZNS1_14partition_implILS5_1ELb0ES3_jN6thrust23THRUST_200600_302600_NS6detail15normal_iteratorINSA_10device_ptrItEEEEPS6_NSA_18transform_iteratorI7is_evenItESF_NSA_11use_defaultESK_EENS0_5tupleIJNSA_16discard_iteratorISK_EESO_EEENSM_IJSG_SG_EEES6_PlJS6_EEE10hipError_tPvRmT3_T4_T5_T6_T7_T9_mT8_P12ihipStream_tbDpT10_ENKUlT_T0_E_clISt17integral_constantIbLb0EES1A_IbLb1EEEEDaS16_S17_EUlS16_E_NS1_11comp_targetILNS1_3genE3ELNS1_11target_archE908ELNS1_3gpuE7ELNS1_3repE0EEENS1_30default_config_static_selectorELNS0_4arch9wavefront6targetE1EEEvT1_,@function
_ZN7rocprim17ROCPRIM_400000_NS6detail17trampoline_kernelINS0_14default_configENS1_25partition_config_selectorILNS1_17partition_subalgoE1EtNS0_10empty_typeEbEEZZNS1_14partition_implILS5_1ELb0ES3_jN6thrust23THRUST_200600_302600_NS6detail15normal_iteratorINSA_10device_ptrItEEEEPS6_NSA_18transform_iteratorI7is_evenItESF_NSA_11use_defaultESK_EENS0_5tupleIJNSA_16discard_iteratorISK_EESO_EEENSM_IJSG_SG_EEES6_PlJS6_EEE10hipError_tPvRmT3_T4_T5_T6_T7_T9_mT8_P12ihipStream_tbDpT10_ENKUlT_T0_E_clISt17integral_constantIbLb0EES1A_IbLb1EEEEDaS16_S17_EUlS16_E_NS1_11comp_targetILNS1_3genE3ELNS1_11target_archE908ELNS1_3gpuE7ELNS1_3repE0EEENS1_30default_config_static_selectorELNS0_4arch9wavefront6targetE1EEEvT1_: ; @_ZN7rocprim17ROCPRIM_400000_NS6detail17trampoline_kernelINS0_14default_configENS1_25partition_config_selectorILNS1_17partition_subalgoE1EtNS0_10empty_typeEbEEZZNS1_14partition_implILS5_1ELb0ES3_jN6thrust23THRUST_200600_302600_NS6detail15normal_iteratorINSA_10device_ptrItEEEEPS6_NSA_18transform_iteratorI7is_evenItESF_NSA_11use_defaultESK_EENS0_5tupleIJNSA_16discard_iteratorISK_EESO_EEENSM_IJSG_SG_EEES6_PlJS6_EEE10hipError_tPvRmT3_T4_T5_T6_T7_T9_mT8_P12ihipStream_tbDpT10_ENKUlT_T0_E_clISt17integral_constantIbLb0EES1A_IbLb1EEEEDaS16_S17_EUlS16_E_NS1_11comp_targetILNS1_3genE3ELNS1_11target_archE908ELNS1_3gpuE7ELNS1_3repE0EEENS1_30default_config_static_selectorELNS0_4arch9wavefront6targetE1EEEvT1_
; %bb.0:
	.section	.rodata,"a",@progbits
	.p2align	6, 0x0
	.amdhsa_kernel _ZN7rocprim17ROCPRIM_400000_NS6detail17trampoline_kernelINS0_14default_configENS1_25partition_config_selectorILNS1_17partition_subalgoE1EtNS0_10empty_typeEbEEZZNS1_14partition_implILS5_1ELb0ES3_jN6thrust23THRUST_200600_302600_NS6detail15normal_iteratorINSA_10device_ptrItEEEEPS6_NSA_18transform_iteratorI7is_evenItESF_NSA_11use_defaultESK_EENS0_5tupleIJNSA_16discard_iteratorISK_EESO_EEENSM_IJSG_SG_EEES6_PlJS6_EEE10hipError_tPvRmT3_T4_T5_T6_T7_T9_mT8_P12ihipStream_tbDpT10_ENKUlT_T0_E_clISt17integral_constantIbLb0EES1A_IbLb1EEEEDaS16_S17_EUlS16_E_NS1_11comp_targetILNS1_3genE3ELNS1_11target_archE908ELNS1_3gpuE7ELNS1_3repE0EEENS1_30default_config_static_selectorELNS0_4arch9wavefront6targetE1EEEvT1_
		.amdhsa_group_segment_fixed_size 0
		.amdhsa_private_segment_fixed_size 0
		.amdhsa_kernarg_size 160
		.amdhsa_user_sgpr_count 2
		.amdhsa_user_sgpr_dispatch_ptr 0
		.amdhsa_user_sgpr_queue_ptr 0
		.amdhsa_user_sgpr_kernarg_segment_ptr 1
		.amdhsa_user_sgpr_dispatch_id 0
		.amdhsa_user_sgpr_kernarg_preload_length 0
		.amdhsa_user_sgpr_kernarg_preload_offset 0
		.amdhsa_user_sgpr_private_segment_size 0
		.amdhsa_uses_dynamic_stack 0
		.amdhsa_enable_private_segment 0
		.amdhsa_system_sgpr_workgroup_id_x 1
		.amdhsa_system_sgpr_workgroup_id_y 0
		.amdhsa_system_sgpr_workgroup_id_z 0
		.amdhsa_system_sgpr_workgroup_info 0
		.amdhsa_system_vgpr_workitem_id 0
		.amdhsa_next_free_vgpr 1
		.amdhsa_next_free_sgpr 0
		.amdhsa_accum_offset 4
		.amdhsa_reserve_vcc 0
		.amdhsa_float_round_mode_32 0
		.amdhsa_float_round_mode_16_64 0
		.amdhsa_float_denorm_mode_32 3
		.amdhsa_float_denorm_mode_16_64 3
		.amdhsa_dx10_clamp 1
		.amdhsa_ieee_mode 1
		.amdhsa_fp16_overflow 0
		.amdhsa_tg_split 0
		.amdhsa_exception_fp_ieee_invalid_op 0
		.amdhsa_exception_fp_denorm_src 0
		.amdhsa_exception_fp_ieee_div_zero 0
		.amdhsa_exception_fp_ieee_overflow 0
		.amdhsa_exception_fp_ieee_underflow 0
		.amdhsa_exception_fp_ieee_inexact 0
		.amdhsa_exception_int_div_zero 0
	.end_amdhsa_kernel
	.section	.text._ZN7rocprim17ROCPRIM_400000_NS6detail17trampoline_kernelINS0_14default_configENS1_25partition_config_selectorILNS1_17partition_subalgoE1EtNS0_10empty_typeEbEEZZNS1_14partition_implILS5_1ELb0ES3_jN6thrust23THRUST_200600_302600_NS6detail15normal_iteratorINSA_10device_ptrItEEEEPS6_NSA_18transform_iteratorI7is_evenItESF_NSA_11use_defaultESK_EENS0_5tupleIJNSA_16discard_iteratorISK_EESO_EEENSM_IJSG_SG_EEES6_PlJS6_EEE10hipError_tPvRmT3_T4_T5_T6_T7_T9_mT8_P12ihipStream_tbDpT10_ENKUlT_T0_E_clISt17integral_constantIbLb0EES1A_IbLb1EEEEDaS16_S17_EUlS16_E_NS1_11comp_targetILNS1_3genE3ELNS1_11target_archE908ELNS1_3gpuE7ELNS1_3repE0EEENS1_30default_config_static_selectorELNS0_4arch9wavefront6targetE1EEEvT1_,"axG",@progbits,_ZN7rocprim17ROCPRIM_400000_NS6detail17trampoline_kernelINS0_14default_configENS1_25partition_config_selectorILNS1_17partition_subalgoE1EtNS0_10empty_typeEbEEZZNS1_14partition_implILS5_1ELb0ES3_jN6thrust23THRUST_200600_302600_NS6detail15normal_iteratorINSA_10device_ptrItEEEEPS6_NSA_18transform_iteratorI7is_evenItESF_NSA_11use_defaultESK_EENS0_5tupleIJNSA_16discard_iteratorISK_EESO_EEENSM_IJSG_SG_EEES6_PlJS6_EEE10hipError_tPvRmT3_T4_T5_T6_T7_T9_mT8_P12ihipStream_tbDpT10_ENKUlT_T0_E_clISt17integral_constantIbLb0EES1A_IbLb1EEEEDaS16_S17_EUlS16_E_NS1_11comp_targetILNS1_3genE3ELNS1_11target_archE908ELNS1_3gpuE7ELNS1_3repE0EEENS1_30default_config_static_selectorELNS0_4arch9wavefront6targetE1EEEvT1_,comdat
.Lfunc_end3094:
	.size	_ZN7rocprim17ROCPRIM_400000_NS6detail17trampoline_kernelINS0_14default_configENS1_25partition_config_selectorILNS1_17partition_subalgoE1EtNS0_10empty_typeEbEEZZNS1_14partition_implILS5_1ELb0ES3_jN6thrust23THRUST_200600_302600_NS6detail15normal_iteratorINSA_10device_ptrItEEEEPS6_NSA_18transform_iteratorI7is_evenItESF_NSA_11use_defaultESK_EENS0_5tupleIJNSA_16discard_iteratorISK_EESO_EEENSM_IJSG_SG_EEES6_PlJS6_EEE10hipError_tPvRmT3_T4_T5_T6_T7_T9_mT8_P12ihipStream_tbDpT10_ENKUlT_T0_E_clISt17integral_constantIbLb0EES1A_IbLb1EEEEDaS16_S17_EUlS16_E_NS1_11comp_targetILNS1_3genE3ELNS1_11target_archE908ELNS1_3gpuE7ELNS1_3repE0EEENS1_30default_config_static_selectorELNS0_4arch9wavefront6targetE1EEEvT1_, .Lfunc_end3094-_ZN7rocprim17ROCPRIM_400000_NS6detail17trampoline_kernelINS0_14default_configENS1_25partition_config_selectorILNS1_17partition_subalgoE1EtNS0_10empty_typeEbEEZZNS1_14partition_implILS5_1ELb0ES3_jN6thrust23THRUST_200600_302600_NS6detail15normal_iteratorINSA_10device_ptrItEEEEPS6_NSA_18transform_iteratorI7is_evenItESF_NSA_11use_defaultESK_EENS0_5tupleIJNSA_16discard_iteratorISK_EESO_EEENSM_IJSG_SG_EEES6_PlJS6_EEE10hipError_tPvRmT3_T4_T5_T6_T7_T9_mT8_P12ihipStream_tbDpT10_ENKUlT_T0_E_clISt17integral_constantIbLb0EES1A_IbLb1EEEEDaS16_S17_EUlS16_E_NS1_11comp_targetILNS1_3genE3ELNS1_11target_archE908ELNS1_3gpuE7ELNS1_3repE0EEENS1_30default_config_static_selectorELNS0_4arch9wavefront6targetE1EEEvT1_
                                        ; -- End function
	.section	.AMDGPU.csdata,"",@progbits
; Kernel info:
; codeLenInByte = 0
; NumSgprs: 6
; NumVgprs: 0
; NumAgprs: 0
; TotalNumVgprs: 0
; ScratchSize: 0
; MemoryBound: 0
; FloatMode: 240
; IeeeMode: 1
; LDSByteSize: 0 bytes/workgroup (compile time only)
; SGPRBlocks: 0
; VGPRBlocks: 0
; NumSGPRsForWavesPerEU: 6
; NumVGPRsForWavesPerEU: 1
; AccumOffset: 4
; Occupancy: 8
; WaveLimiterHint : 0
; COMPUTE_PGM_RSRC2:SCRATCH_EN: 0
; COMPUTE_PGM_RSRC2:USER_SGPR: 2
; COMPUTE_PGM_RSRC2:TRAP_HANDLER: 0
; COMPUTE_PGM_RSRC2:TGID_X_EN: 1
; COMPUTE_PGM_RSRC2:TGID_Y_EN: 0
; COMPUTE_PGM_RSRC2:TGID_Z_EN: 0
; COMPUTE_PGM_RSRC2:TIDIG_COMP_CNT: 0
; COMPUTE_PGM_RSRC3_GFX90A:ACCUM_OFFSET: 0
; COMPUTE_PGM_RSRC3_GFX90A:TG_SPLIT: 0
	.section	.text._ZN7rocprim17ROCPRIM_400000_NS6detail17trampoline_kernelINS0_14default_configENS1_25partition_config_selectorILNS1_17partition_subalgoE1EtNS0_10empty_typeEbEEZZNS1_14partition_implILS5_1ELb0ES3_jN6thrust23THRUST_200600_302600_NS6detail15normal_iteratorINSA_10device_ptrItEEEEPS6_NSA_18transform_iteratorI7is_evenItESF_NSA_11use_defaultESK_EENS0_5tupleIJNSA_16discard_iteratorISK_EESO_EEENSM_IJSG_SG_EEES6_PlJS6_EEE10hipError_tPvRmT3_T4_T5_T6_T7_T9_mT8_P12ihipStream_tbDpT10_ENKUlT_T0_E_clISt17integral_constantIbLb0EES1A_IbLb1EEEEDaS16_S17_EUlS16_E_NS1_11comp_targetILNS1_3genE2ELNS1_11target_archE906ELNS1_3gpuE6ELNS1_3repE0EEENS1_30default_config_static_selectorELNS0_4arch9wavefront6targetE1EEEvT1_,"axG",@progbits,_ZN7rocprim17ROCPRIM_400000_NS6detail17trampoline_kernelINS0_14default_configENS1_25partition_config_selectorILNS1_17partition_subalgoE1EtNS0_10empty_typeEbEEZZNS1_14partition_implILS5_1ELb0ES3_jN6thrust23THRUST_200600_302600_NS6detail15normal_iteratorINSA_10device_ptrItEEEEPS6_NSA_18transform_iteratorI7is_evenItESF_NSA_11use_defaultESK_EENS0_5tupleIJNSA_16discard_iteratorISK_EESO_EEENSM_IJSG_SG_EEES6_PlJS6_EEE10hipError_tPvRmT3_T4_T5_T6_T7_T9_mT8_P12ihipStream_tbDpT10_ENKUlT_T0_E_clISt17integral_constantIbLb0EES1A_IbLb1EEEEDaS16_S17_EUlS16_E_NS1_11comp_targetILNS1_3genE2ELNS1_11target_archE906ELNS1_3gpuE6ELNS1_3repE0EEENS1_30default_config_static_selectorELNS0_4arch9wavefront6targetE1EEEvT1_,comdat
	.protected	_ZN7rocprim17ROCPRIM_400000_NS6detail17trampoline_kernelINS0_14default_configENS1_25partition_config_selectorILNS1_17partition_subalgoE1EtNS0_10empty_typeEbEEZZNS1_14partition_implILS5_1ELb0ES3_jN6thrust23THRUST_200600_302600_NS6detail15normal_iteratorINSA_10device_ptrItEEEEPS6_NSA_18transform_iteratorI7is_evenItESF_NSA_11use_defaultESK_EENS0_5tupleIJNSA_16discard_iteratorISK_EESO_EEENSM_IJSG_SG_EEES6_PlJS6_EEE10hipError_tPvRmT3_T4_T5_T6_T7_T9_mT8_P12ihipStream_tbDpT10_ENKUlT_T0_E_clISt17integral_constantIbLb0EES1A_IbLb1EEEEDaS16_S17_EUlS16_E_NS1_11comp_targetILNS1_3genE2ELNS1_11target_archE906ELNS1_3gpuE6ELNS1_3repE0EEENS1_30default_config_static_selectorELNS0_4arch9wavefront6targetE1EEEvT1_ ; -- Begin function _ZN7rocprim17ROCPRIM_400000_NS6detail17trampoline_kernelINS0_14default_configENS1_25partition_config_selectorILNS1_17partition_subalgoE1EtNS0_10empty_typeEbEEZZNS1_14partition_implILS5_1ELb0ES3_jN6thrust23THRUST_200600_302600_NS6detail15normal_iteratorINSA_10device_ptrItEEEEPS6_NSA_18transform_iteratorI7is_evenItESF_NSA_11use_defaultESK_EENS0_5tupleIJNSA_16discard_iteratorISK_EESO_EEENSM_IJSG_SG_EEES6_PlJS6_EEE10hipError_tPvRmT3_T4_T5_T6_T7_T9_mT8_P12ihipStream_tbDpT10_ENKUlT_T0_E_clISt17integral_constantIbLb0EES1A_IbLb1EEEEDaS16_S17_EUlS16_E_NS1_11comp_targetILNS1_3genE2ELNS1_11target_archE906ELNS1_3gpuE6ELNS1_3repE0EEENS1_30default_config_static_selectorELNS0_4arch9wavefront6targetE1EEEvT1_
	.globl	_ZN7rocprim17ROCPRIM_400000_NS6detail17trampoline_kernelINS0_14default_configENS1_25partition_config_selectorILNS1_17partition_subalgoE1EtNS0_10empty_typeEbEEZZNS1_14partition_implILS5_1ELb0ES3_jN6thrust23THRUST_200600_302600_NS6detail15normal_iteratorINSA_10device_ptrItEEEEPS6_NSA_18transform_iteratorI7is_evenItESF_NSA_11use_defaultESK_EENS0_5tupleIJNSA_16discard_iteratorISK_EESO_EEENSM_IJSG_SG_EEES6_PlJS6_EEE10hipError_tPvRmT3_T4_T5_T6_T7_T9_mT8_P12ihipStream_tbDpT10_ENKUlT_T0_E_clISt17integral_constantIbLb0EES1A_IbLb1EEEEDaS16_S17_EUlS16_E_NS1_11comp_targetILNS1_3genE2ELNS1_11target_archE906ELNS1_3gpuE6ELNS1_3repE0EEENS1_30default_config_static_selectorELNS0_4arch9wavefront6targetE1EEEvT1_
	.p2align	8
	.type	_ZN7rocprim17ROCPRIM_400000_NS6detail17trampoline_kernelINS0_14default_configENS1_25partition_config_selectorILNS1_17partition_subalgoE1EtNS0_10empty_typeEbEEZZNS1_14partition_implILS5_1ELb0ES3_jN6thrust23THRUST_200600_302600_NS6detail15normal_iteratorINSA_10device_ptrItEEEEPS6_NSA_18transform_iteratorI7is_evenItESF_NSA_11use_defaultESK_EENS0_5tupleIJNSA_16discard_iteratorISK_EESO_EEENSM_IJSG_SG_EEES6_PlJS6_EEE10hipError_tPvRmT3_T4_T5_T6_T7_T9_mT8_P12ihipStream_tbDpT10_ENKUlT_T0_E_clISt17integral_constantIbLb0EES1A_IbLb1EEEEDaS16_S17_EUlS16_E_NS1_11comp_targetILNS1_3genE2ELNS1_11target_archE906ELNS1_3gpuE6ELNS1_3repE0EEENS1_30default_config_static_selectorELNS0_4arch9wavefront6targetE1EEEvT1_,@function
_ZN7rocprim17ROCPRIM_400000_NS6detail17trampoline_kernelINS0_14default_configENS1_25partition_config_selectorILNS1_17partition_subalgoE1EtNS0_10empty_typeEbEEZZNS1_14partition_implILS5_1ELb0ES3_jN6thrust23THRUST_200600_302600_NS6detail15normal_iteratorINSA_10device_ptrItEEEEPS6_NSA_18transform_iteratorI7is_evenItESF_NSA_11use_defaultESK_EENS0_5tupleIJNSA_16discard_iteratorISK_EESO_EEENSM_IJSG_SG_EEES6_PlJS6_EEE10hipError_tPvRmT3_T4_T5_T6_T7_T9_mT8_P12ihipStream_tbDpT10_ENKUlT_T0_E_clISt17integral_constantIbLb0EES1A_IbLb1EEEEDaS16_S17_EUlS16_E_NS1_11comp_targetILNS1_3genE2ELNS1_11target_archE906ELNS1_3gpuE6ELNS1_3repE0EEENS1_30default_config_static_selectorELNS0_4arch9wavefront6targetE1EEEvT1_: ; @_ZN7rocprim17ROCPRIM_400000_NS6detail17trampoline_kernelINS0_14default_configENS1_25partition_config_selectorILNS1_17partition_subalgoE1EtNS0_10empty_typeEbEEZZNS1_14partition_implILS5_1ELb0ES3_jN6thrust23THRUST_200600_302600_NS6detail15normal_iteratorINSA_10device_ptrItEEEEPS6_NSA_18transform_iteratorI7is_evenItESF_NSA_11use_defaultESK_EENS0_5tupleIJNSA_16discard_iteratorISK_EESO_EEENSM_IJSG_SG_EEES6_PlJS6_EEE10hipError_tPvRmT3_T4_T5_T6_T7_T9_mT8_P12ihipStream_tbDpT10_ENKUlT_T0_E_clISt17integral_constantIbLb0EES1A_IbLb1EEEEDaS16_S17_EUlS16_E_NS1_11comp_targetILNS1_3genE2ELNS1_11target_archE906ELNS1_3gpuE6ELNS1_3repE0EEENS1_30default_config_static_selectorELNS0_4arch9wavefront6targetE1EEEvT1_
; %bb.0:
	.section	.rodata,"a",@progbits
	.p2align	6, 0x0
	.amdhsa_kernel _ZN7rocprim17ROCPRIM_400000_NS6detail17trampoline_kernelINS0_14default_configENS1_25partition_config_selectorILNS1_17partition_subalgoE1EtNS0_10empty_typeEbEEZZNS1_14partition_implILS5_1ELb0ES3_jN6thrust23THRUST_200600_302600_NS6detail15normal_iteratorINSA_10device_ptrItEEEEPS6_NSA_18transform_iteratorI7is_evenItESF_NSA_11use_defaultESK_EENS0_5tupleIJNSA_16discard_iteratorISK_EESO_EEENSM_IJSG_SG_EEES6_PlJS6_EEE10hipError_tPvRmT3_T4_T5_T6_T7_T9_mT8_P12ihipStream_tbDpT10_ENKUlT_T0_E_clISt17integral_constantIbLb0EES1A_IbLb1EEEEDaS16_S17_EUlS16_E_NS1_11comp_targetILNS1_3genE2ELNS1_11target_archE906ELNS1_3gpuE6ELNS1_3repE0EEENS1_30default_config_static_selectorELNS0_4arch9wavefront6targetE1EEEvT1_
		.amdhsa_group_segment_fixed_size 0
		.amdhsa_private_segment_fixed_size 0
		.amdhsa_kernarg_size 160
		.amdhsa_user_sgpr_count 2
		.amdhsa_user_sgpr_dispatch_ptr 0
		.amdhsa_user_sgpr_queue_ptr 0
		.amdhsa_user_sgpr_kernarg_segment_ptr 1
		.amdhsa_user_sgpr_dispatch_id 0
		.amdhsa_user_sgpr_kernarg_preload_length 0
		.amdhsa_user_sgpr_kernarg_preload_offset 0
		.amdhsa_user_sgpr_private_segment_size 0
		.amdhsa_uses_dynamic_stack 0
		.amdhsa_enable_private_segment 0
		.amdhsa_system_sgpr_workgroup_id_x 1
		.amdhsa_system_sgpr_workgroup_id_y 0
		.amdhsa_system_sgpr_workgroup_id_z 0
		.amdhsa_system_sgpr_workgroup_info 0
		.amdhsa_system_vgpr_workitem_id 0
		.amdhsa_next_free_vgpr 1
		.amdhsa_next_free_sgpr 0
		.amdhsa_accum_offset 4
		.amdhsa_reserve_vcc 0
		.amdhsa_float_round_mode_32 0
		.amdhsa_float_round_mode_16_64 0
		.amdhsa_float_denorm_mode_32 3
		.amdhsa_float_denorm_mode_16_64 3
		.amdhsa_dx10_clamp 1
		.amdhsa_ieee_mode 1
		.amdhsa_fp16_overflow 0
		.amdhsa_tg_split 0
		.amdhsa_exception_fp_ieee_invalid_op 0
		.amdhsa_exception_fp_denorm_src 0
		.amdhsa_exception_fp_ieee_div_zero 0
		.amdhsa_exception_fp_ieee_overflow 0
		.amdhsa_exception_fp_ieee_underflow 0
		.amdhsa_exception_fp_ieee_inexact 0
		.amdhsa_exception_int_div_zero 0
	.end_amdhsa_kernel
	.section	.text._ZN7rocprim17ROCPRIM_400000_NS6detail17trampoline_kernelINS0_14default_configENS1_25partition_config_selectorILNS1_17partition_subalgoE1EtNS0_10empty_typeEbEEZZNS1_14partition_implILS5_1ELb0ES3_jN6thrust23THRUST_200600_302600_NS6detail15normal_iteratorINSA_10device_ptrItEEEEPS6_NSA_18transform_iteratorI7is_evenItESF_NSA_11use_defaultESK_EENS0_5tupleIJNSA_16discard_iteratorISK_EESO_EEENSM_IJSG_SG_EEES6_PlJS6_EEE10hipError_tPvRmT3_T4_T5_T6_T7_T9_mT8_P12ihipStream_tbDpT10_ENKUlT_T0_E_clISt17integral_constantIbLb0EES1A_IbLb1EEEEDaS16_S17_EUlS16_E_NS1_11comp_targetILNS1_3genE2ELNS1_11target_archE906ELNS1_3gpuE6ELNS1_3repE0EEENS1_30default_config_static_selectorELNS0_4arch9wavefront6targetE1EEEvT1_,"axG",@progbits,_ZN7rocprim17ROCPRIM_400000_NS6detail17trampoline_kernelINS0_14default_configENS1_25partition_config_selectorILNS1_17partition_subalgoE1EtNS0_10empty_typeEbEEZZNS1_14partition_implILS5_1ELb0ES3_jN6thrust23THRUST_200600_302600_NS6detail15normal_iteratorINSA_10device_ptrItEEEEPS6_NSA_18transform_iteratorI7is_evenItESF_NSA_11use_defaultESK_EENS0_5tupleIJNSA_16discard_iteratorISK_EESO_EEENSM_IJSG_SG_EEES6_PlJS6_EEE10hipError_tPvRmT3_T4_T5_T6_T7_T9_mT8_P12ihipStream_tbDpT10_ENKUlT_T0_E_clISt17integral_constantIbLb0EES1A_IbLb1EEEEDaS16_S17_EUlS16_E_NS1_11comp_targetILNS1_3genE2ELNS1_11target_archE906ELNS1_3gpuE6ELNS1_3repE0EEENS1_30default_config_static_selectorELNS0_4arch9wavefront6targetE1EEEvT1_,comdat
.Lfunc_end3095:
	.size	_ZN7rocprim17ROCPRIM_400000_NS6detail17trampoline_kernelINS0_14default_configENS1_25partition_config_selectorILNS1_17partition_subalgoE1EtNS0_10empty_typeEbEEZZNS1_14partition_implILS5_1ELb0ES3_jN6thrust23THRUST_200600_302600_NS6detail15normal_iteratorINSA_10device_ptrItEEEEPS6_NSA_18transform_iteratorI7is_evenItESF_NSA_11use_defaultESK_EENS0_5tupleIJNSA_16discard_iteratorISK_EESO_EEENSM_IJSG_SG_EEES6_PlJS6_EEE10hipError_tPvRmT3_T4_T5_T6_T7_T9_mT8_P12ihipStream_tbDpT10_ENKUlT_T0_E_clISt17integral_constantIbLb0EES1A_IbLb1EEEEDaS16_S17_EUlS16_E_NS1_11comp_targetILNS1_3genE2ELNS1_11target_archE906ELNS1_3gpuE6ELNS1_3repE0EEENS1_30default_config_static_selectorELNS0_4arch9wavefront6targetE1EEEvT1_, .Lfunc_end3095-_ZN7rocprim17ROCPRIM_400000_NS6detail17trampoline_kernelINS0_14default_configENS1_25partition_config_selectorILNS1_17partition_subalgoE1EtNS0_10empty_typeEbEEZZNS1_14partition_implILS5_1ELb0ES3_jN6thrust23THRUST_200600_302600_NS6detail15normal_iteratorINSA_10device_ptrItEEEEPS6_NSA_18transform_iteratorI7is_evenItESF_NSA_11use_defaultESK_EENS0_5tupleIJNSA_16discard_iteratorISK_EESO_EEENSM_IJSG_SG_EEES6_PlJS6_EEE10hipError_tPvRmT3_T4_T5_T6_T7_T9_mT8_P12ihipStream_tbDpT10_ENKUlT_T0_E_clISt17integral_constantIbLb0EES1A_IbLb1EEEEDaS16_S17_EUlS16_E_NS1_11comp_targetILNS1_3genE2ELNS1_11target_archE906ELNS1_3gpuE6ELNS1_3repE0EEENS1_30default_config_static_selectorELNS0_4arch9wavefront6targetE1EEEvT1_
                                        ; -- End function
	.section	.AMDGPU.csdata,"",@progbits
; Kernel info:
; codeLenInByte = 0
; NumSgprs: 6
; NumVgprs: 0
; NumAgprs: 0
; TotalNumVgprs: 0
; ScratchSize: 0
; MemoryBound: 0
; FloatMode: 240
; IeeeMode: 1
; LDSByteSize: 0 bytes/workgroup (compile time only)
; SGPRBlocks: 0
; VGPRBlocks: 0
; NumSGPRsForWavesPerEU: 6
; NumVGPRsForWavesPerEU: 1
; AccumOffset: 4
; Occupancy: 8
; WaveLimiterHint : 0
; COMPUTE_PGM_RSRC2:SCRATCH_EN: 0
; COMPUTE_PGM_RSRC2:USER_SGPR: 2
; COMPUTE_PGM_RSRC2:TRAP_HANDLER: 0
; COMPUTE_PGM_RSRC2:TGID_X_EN: 1
; COMPUTE_PGM_RSRC2:TGID_Y_EN: 0
; COMPUTE_PGM_RSRC2:TGID_Z_EN: 0
; COMPUTE_PGM_RSRC2:TIDIG_COMP_CNT: 0
; COMPUTE_PGM_RSRC3_GFX90A:ACCUM_OFFSET: 0
; COMPUTE_PGM_RSRC3_GFX90A:TG_SPLIT: 0
	.section	.text._ZN7rocprim17ROCPRIM_400000_NS6detail17trampoline_kernelINS0_14default_configENS1_25partition_config_selectorILNS1_17partition_subalgoE1EtNS0_10empty_typeEbEEZZNS1_14partition_implILS5_1ELb0ES3_jN6thrust23THRUST_200600_302600_NS6detail15normal_iteratorINSA_10device_ptrItEEEEPS6_NSA_18transform_iteratorI7is_evenItESF_NSA_11use_defaultESK_EENS0_5tupleIJNSA_16discard_iteratorISK_EESO_EEENSM_IJSG_SG_EEES6_PlJS6_EEE10hipError_tPvRmT3_T4_T5_T6_T7_T9_mT8_P12ihipStream_tbDpT10_ENKUlT_T0_E_clISt17integral_constantIbLb0EES1A_IbLb1EEEEDaS16_S17_EUlS16_E_NS1_11comp_targetILNS1_3genE10ELNS1_11target_archE1200ELNS1_3gpuE4ELNS1_3repE0EEENS1_30default_config_static_selectorELNS0_4arch9wavefront6targetE1EEEvT1_,"axG",@progbits,_ZN7rocprim17ROCPRIM_400000_NS6detail17trampoline_kernelINS0_14default_configENS1_25partition_config_selectorILNS1_17partition_subalgoE1EtNS0_10empty_typeEbEEZZNS1_14partition_implILS5_1ELb0ES3_jN6thrust23THRUST_200600_302600_NS6detail15normal_iteratorINSA_10device_ptrItEEEEPS6_NSA_18transform_iteratorI7is_evenItESF_NSA_11use_defaultESK_EENS0_5tupleIJNSA_16discard_iteratorISK_EESO_EEENSM_IJSG_SG_EEES6_PlJS6_EEE10hipError_tPvRmT3_T4_T5_T6_T7_T9_mT8_P12ihipStream_tbDpT10_ENKUlT_T0_E_clISt17integral_constantIbLb0EES1A_IbLb1EEEEDaS16_S17_EUlS16_E_NS1_11comp_targetILNS1_3genE10ELNS1_11target_archE1200ELNS1_3gpuE4ELNS1_3repE0EEENS1_30default_config_static_selectorELNS0_4arch9wavefront6targetE1EEEvT1_,comdat
	.protected	_ZN7rocprim17ROCPRIM_400000_NS6detail17trampoline_kernelINS0_14default_configENS1_25partition_config_selectorILNS1_17partition_subalgoE1EtNS0_10empty_typeEbEEZZNS1_14partition_implILS5_1ELb0ES3_jN6thrust23THRUST_200600_302600_NS6detail15normal_iteratorINSA_10device_ptrItEEEEPS6_NSA_18transform_iteratorI7is_evenItESF_NSA_11use_defaultESK_EENS0_5tupleIJNSA_16discard_iteratorISK_EESO_EEENSM_IJSG_SG_EEES6_PlJS6_EEE10hipError_tPvRmT3_T4_T5_T6_T7_T9_mT8_P12ihipStream_tbDpT10_ENKUlT_T0_E_clISt17integral_constantIbLb0EES1A_IbLb1EEEEDaS16_S17_EUlS16_E_NS1_11comp_targetILNS1_3genE10ELNS1_11target_archE1200ELNS1_3gpuE4ELNS1_3repE0EEENS1_30default_config_static_selectorELNS0_4arch9wavefront6targetE1EEEvT1_ ; -- Begin function _ZN7rocprim17ROCPRIM_400000_NS6detail17trampoline_kernelINS0_14default_configENS1_25partition_config_selectorILNS1_17partition_subalgoE1EtNS0_10empty_typeEbEEZZNS1_14partition_implILS5_1ELb0ES3_jN6thrust23THRUST_200600_302600_NS6detail15normal_iteratorINSA_10device_ptrItEEEEPS6_NSA_18transform_iteratorI7is_evenItESF_NSA_11use_defaultESK_EENS0_5tupleIJNSA_16discard_iteratorISK_EESO_EEENSM_IJSG_SG_EEES6_PlJS6_EEE10hipError_tPvRmT3_T4_T5_T6_T7_T9_mT8_P12ihipStream_tbDpT10_ENKUlT_T0_E_clISt17integral_constantIbLb0EES1A_IbLb1EEEEDaS16_S17_EUlS16_E_NS1_11comp_targetILNS1_3genE10ELNS1_11target_archE1200ELNS1_3gpuE4ELNS1_3repE0EEENS1_30default_config_static_selectorELNS0_4arch9wavefront6targetE1EEEvT1_
	.globl	_ZN7rocprim17ROCPRIM_400000_NS6detail17trampoline_kernelINS0_14default_configENS1_25partition_config_selectorILNS1_17partition_subalgoE1EtNS0_10empty_typeEbEEZZNS1_14partition_implILS5_1ELb0ES3_jN6thrust23THRUST_200600_302600_NS6detail15normal_iteratorINSA_10device_ptrItEEEEPS6_NSA_18transform_iteratorI7is_evenItESF_NSA_11use_defaultESK_EENS0_5tupleIJNSA_16discard_iteratorISK_EESO_EEENSM_IJSG_SG_EEES6_PlJS6_EEE10hipError_tPvRmT3_T4_T5_T6_T7_T9_mT8_P12ihipStream_tbDpT10_ENKUlT_T0_E_clISt17integral_constantIbLb0EES1A_IbLb1EEEEDaS16_S17_EUlS16_E_NS1_11comp_targetILNS1_3genE10ELNS1_11target_archE1200ELNS1_3gpuE4ELNS1_3repE0EEENS1_30default_config_static_selectorELNS0_4arch9wavefront6targetE1EEEvT1_
	.p2align	8
	.type	_ZN7rocprim17ROCPRIM_400000_NS6detail17trampoline_kernelINS0_14default_configENS1_25partition_config_selectorILNS1_17partition_subalgoE1EtNS0_10empty_typeEbEEZZNS1_14partition_implILS5_1ELb0ES3_jN6thrust23THRUST_200600_302600_NS6detail15normal_iteratorINSA_10device_ptrItEEEEPS6_NSA_18transform_iteratorI7is_evenItESF_NSA_11use_defaultESK_EENS0_5tupleIJNSA_16discard_iteratorISK_EESO_EEENSM_IJSG_SG_EEES6_PlJS6_EEE10hipError_tPvRmT3_T4_T5_T6_T7_T9_mT8_P12ihipStream_tbDpT10_ENKUlT_T0_E_clISt17integral_constantIbLb0EES1A_IbLb1EEEEDaS16_S17_EUlS16_E_NS1_11comp_targetILNS1_3genE10ELNS1_11target_archE1200ELNS1_3gpuE4ELNS1_3repE0EEENS1_30default_config_static_selectorELNS0_4arch9wavefront6targetE1EEEvT1_,@function
_ZN7rocprim17ROCPRIM_400000_NS6detail17trampoline_kernelINS0_14default_configENS1_25partition_config_selectorILNS1_17partition_subalgoE1EtNS0_10empty_typeEbEEZZNS1_14partition_implILS5_1ELb0ES3_jN6thrust23THRUST_200600_302600_NS6detail15normal_iteratorINSA_10device_ptrItEEEEPS6_NSA_18transform_iteratorI7is_evenItESF_NSA_11use_defaultESK_EENS0_5tupleIJNSA_16discard_iteratorISK_EESO_EEENSM_IJSG_SG_EEES6_PlJS6_EEE10hipError_tPvRmT3_T4_T5_T6_T7_T9_mT8_P12ihipStream_tbDpT10_ENKUlT_T0_E_clISt17integral_constantIbLb0EES1A_IbLb1EEEEDaS16_S17_EUlS16_E_NS1_11comp_targetILNS1_3genE10ELNS1_11target_archE1200ELNS1_3gpuE4ELNS1_3repE0EEENS1_30default_config_static_selectorELNS0_4arch9wavefront6targetE1EEEvT1_: ; @_ZN7rocprim17ROCPRIM_400000_NS6detail17trampoline_kernelINS0_14default_configENS1_25partition_config_selectorILNS1_17partition_subalgoE1EtNS0_10empty_typeEbEEZZNS1_14partition_implILS5_1ELb0ES3_jN6thrust23THRUST_200600_302600_NS6detail15normal_iteratorINSA_10device_ptrItEEEEPS6_NSA_18transform_iteratorI7is_evenItESF_NSA_11use_defaultESK_EENS0_5tupleIJNSA_16discard_iteratorISK_EESO_EEENSM_IJSG_SG_EEES6_PlJS6_EEE10hipError_tPvRmT3_T4_T5_T6_T7_T9_mT8_P12ihipStream_tbDpT10_ENKUlT_T0_E_clISt17integral_constantIbLb0EES1A_IbLb1EEEEDaS16_S17_EUlS16_E_NS1_11comp_targetILNS1_3genE10ELNS1_11target_archE1200ELNS1_3gpuE4ELNS1_3repE0EEENS1_30default_config_static_selectorELNS0_4arch9wavefront6targetE1EEEvT1_
; %bb.0:
	.section	.rodata,"a",@progbits
	.p2align	6, 0x0
	.amdhsa_kernel _ZN7rocprim17ROCPRIM_400000_NS6detail17trampoline_kernelINS0_14default_configENS1_25partition_config_selectorILNS1_17partition_subalgoE1EtNS0_10empty_typeEbEEZZNS1_14partition_implILS5_1ELb0ES3_jN6thrust23THRUST_200600_302600_NS6detail15normal_iteratorINSA_10device_ptrItEEEEPS6_NSA_18transform_iteratorI7is_evenItESF_NSA_11use_defaultESK_EENS0_5tupleIJNSA_16discard_iteratorISK_EESO_EEENSM_IJSG_SG_EEES6_PlJS6_EEE10hipError_tPvRmT3_T4_T5_T6_T7_T9_mT8_P12ihipStream_tbDpT10_ENKUlT_T0_E_clISt17integral_constantIbLb0EES1A_IbLb1EEEEDaS16_S17_EUlS16_E_NS1_11comp_targetILNS1_3genE10ELNS1_11target_archE1200ELNS1_3gpuE4ELNS1_3repE0EEENS1_30default_config_static_selectorELNS0_4arch9wavefront6targetE1EEEvT1_
		.amdhsa_group_segment_fixed_size 0
		.amdhsa_private_segment_fixed_size 0
		.amdhsa_kernarg_size 160
		.amdhsa_user_sgpr_count 2
		.amdhsa_user_sgpr_dispatch_ptr 0
		.amdhsa_user_sgpr_queue_ptr 0
		.amdhsa_user_sgpr_kernarg_segment_ptr 1
		.amdhsa_user_sgpr_dispatch_id 0
		.amdhsa_user_sgpr_kernarg_preload_length 0
		.amdhsa_user_sgpr_kernarg_preload_offset 0
		.amdhsa_user_sgpr_private_segment_size 0
		.amdhsa_uses_dynamic_stack 0
		.amdhsa_enable_private_segment 0
		.amdhsa_system_sgpr_workgroup_id_x 1
		.amdhsa_system_sgpr_workgroup_id_y 0
		.amdhsa_system_sgpr_workgroup_id_z 0
		.amdhsa_system_sgpr_workgroup_info 0
		.amdhsa_system_vgpr_workitem_id 0
		.amdhsa_next_free_vgpr 1
		.amdhsa_next_free_sgpr 0
		.amdhsa_accum_offset 4
		.amdhsa_reserve_vcc 0
		.amdhsa_float_round_mode_32 0
		.amdhsa_float_round_mode_16_64 0
		.amdhsa_float_denorm_mode_32 3
		.amdhsa_float_denorm_mode_16_64 3
		.amdhsa_dx10_clamp 1
		.amdhsa_ieee_mode 1
		.amdhsa_fp16_overflow 0
		.amdhsa_tg_split 0
		.amdhsa_exception_fp_ieee_invalid_op 0
		.amdhsa_exception_fp_denorm_src 0
		.amdhsa_exception_fp_ieee_div_zero 0
		.amdhsa_exception_fp_ieee_overflow 0
		.amdhsa_exception_fp_ieee_underflow 0
		.amdhsa_exception_fp_ieee_inexact 0
		.amdhsa_exception_int_div_zero 0
	.end_amdhsa_kernel
	.section	.text._ZN7rocprim17ROCPRIM_400000_NS6detail17trampoline_kernelINS0_14default_configENS1_25partition_config_selectorILNS1_17partition_subalgoE1EtNS0_10empty_typeEbEEZZNS1_14partition_implILS5_1ELb0ES3_jN6thrust23THRUST_200600_302600_NS6detail15normal_iteratorINSA_10device_ptrItEEEEPS6_NSA_18transform_iteratorI7is_evenItESF_NSA_11use_defaultESK_EENS0_5tupleIJNSA_16discard_iteratorISK_EESO_EEENSM_IJSG_SG_EEES6_PlJS6_EEE10hipError_tPvRmT3_T4_T5_T6_T7_T9_mT8_P12ihipStream_tbDpT10_ENKUlT_T0_E_clISt17integral_constantIbLb0EES1A_IbLb1EEEEDaS16_S17_EUlS16_E_NS1_11comp_targetILNS1_3genE10ELNS1_11target_archE1200ELNS1_3gpuE4ELNS1_3repE0EEENS1_30default_config_static_selectorELNS0_4arch9wavefront6targetE1EEEvT1_,"axG",@progbits,_ZN7rocprim17ROCPRIM_400000_NS6detail17trampoline_kernelINS0_14default_configENS1_25partition_config_selectorILNS1_17partition_subalgoE1EtNS0_10empty_typeEbEEZZNS1_14partition_implILS5_1ELb0ES3_jN6thrust23THRUST_200600_302600_NS6detail15normal_iteratorINSA_10device_ptrItEEEEPS6_NSA_18transform_iteratorI7is_evenItESF_NSA_11use_defaultESK_EENS0_5tupleIJNSA_16discard_iteratorISK_EESO_EEENSM_IJSG_SG_EEES6_PlJS6_EEE10hipError_tPvRmT3_T4_T5_T6_T7_T9_mT8_P12ihipStream_tbDpT10_ENKUlT_T0_E_clISt17integral_constantIbLb0EES1A_IbLb1EEEEDaS16_S17_EUlS16_E_NS1_11comp_targetILNS1_3genE10ELNS1_11target_archE1200ELNS1_3gpuE4ELNS1_3repE0EEENS1_30default_config_static_selectorELNS0_4arch9wavefront6targetE1EEEvT1_,comdat
.Lfunc_end3096:
	.size	_ZN7rocprim17ROCPRIM_400000_NS6detail17trampoline_kernelINS0_14default_configENS1_25partition_config_selectorILNS1_17partition_subalgoE1EtNS0_10empty_typeEbEEZZNS1_14partition_implILS5_1ELb0ES3_jN6thrust23THRUST_200600_302600_NS6detail15normal_iteratorINSA_10device_ptrItEEEEPS6_NSA_18transform_iteratorI7is_evenItESF_NSA_11use_defaultESK_EENS0_5tupleIJNSA_16discard_iteratorISK_EESO_EEENSM_IJSG_SG_EEES6_PlJS6_EEE10hipError_tPvRmT3_T4_T5_T6_T7_T9_mT8_P12ihipStream_tbDpT10_ENKUlT_T0_E_clISt17integral_constantIbLb0EES1A_IbLb1EEEEDaS16_S17_EUlS16_E_NS1_11comp_targetILNS1_3genE10ELNS1_11target_archE1200ELNS1_3gpuE4ELNS1_3repE0EEENS1_30default_config_static_selectorELNS0_4arch9wavefront6targetE1EEEvT1_, .Lfunc_end3096-_ZN7rocprim17ROCPRIM_400000_NS6detail17trampoline_kernelINS0_14default_configENS1_25partition_config_selectorILNS1_17partition_subalgoE1EtNS0_10empty_typeEbEEZZNS1_14partition_implILS5_1ELb0ES3_jN6thrust23THRUST_200600_302600_NS6detail15normal_iteratorINSA_10device_ptrItEEEEPS6_NSA_18transform_iteratorI7is_evenItESF_NSA_11use_defaultESK_EENS0_5tupleIJNSA_16discard_iteratorISK_EESO_EEENSM_IJSG_SG_EEES6_PlJS6_EEE10hipError_tPvRmT3_T4_T5_T6_T7_T9_mT8_P12ihipStream_tbDpT10_ENKUlT_T0_E_clISt17integral_constantIbLb0EES1A_IbLb1EEEEDaS16_S17_EUlS16_E_NS1_11comp_targetILNS1_3genE10ELNS1_11target_archE1200ELNS1_3gpuE4ELNS1_3repE0EEENS1_30default_config_static_selectorELNS0_4arch9wavefront6targetE1EEEvT1_
                                        ; -- End function
	.section	.AMDGPU.csdata,"",@progbits
; Kernel info:
; codeLenInByte = 0
; NumSgprs: 6
; NumVgprs: 0
; NumAgprs: 0
; TotalNumVgprs: 0
; ScratchSize: 0
; MemoryBound: 0
; FloatMode: 240
; IeeeMode: 1
; LDSByteSize: 0 bytes/workgroup (compile time only)
; SGPRBlocks: 0
; VGPRBlocks: 0
; NumSGPRsForWavesPerEU: 6
; NumVGPRsForWavesPerEU: 1
; AccumOffset: 4
; Occupancy: 8
; WaveLimiterHint : 0
; COMPUTE_PGM_RSRC2:SCRATCH_EN: 0
; COMPUTE_PGM_RSRC2:USER_SGPR: 2
; COMPUTE_PGM_RSRC2:TRAP_HANDLER: 0
; COMPUTE_PGM_RSRC2:TGID_X_EN: 1
; COMPUTE_PGM_RSRC2:TGID_Y_EN: 0
; COMPUTE_PGM_RSRC2:TGID_Z_EN: 0
; COMPUTE_PGM_RSRC2:TIDIG_COMP_CNT: 0
; COMPUTE_PGM_RSRC3_GFX90A:ACCUM_OFFSET: 0
; COMPUTE_PGM_RSRC3_GFX90A:TG_SPLIT: 0
	.section	.text._ZN7rocprim17ROCPRIM_400000_NS6detail17trampoline_kernelINS0_14default_configENS1_25partition_config_selectorILNS1_17partition_subalgoE1EtNS0_10empty_typeEbEEZZNS1_14partition_implILS5_1ELb0ES3_jN6thrust23THRUST_200600_302600_NS6detail15normal_iteratorINSA_10device_ptrItEEEEPS6_NSA_18transform_iteratorI7is_evenItESF_NSA_11use_defaultESK_EENS0_5tupleIJNSA_16discard_iteratorISK_EESO_EEENSM_IJSG_SG_EEES6_PlJS6_EEE10hipError_tPvRmT3_T4_T5_T6_T7_T9_mT8_P12ihipStream_tbDpT10_ENKUlT_T0_E_clISt17integral_constantIbLb0EES1A_IbLb1EEEEDaS16_S17_EUlS16_E_NS1_11comp_targetILNS1_3genE9ELNS1_11target_archE1100ELNS1_3gpuE3ELNS1_3repE0EEENS1_30default_config_static_selectorELNS0_4arch9wavefront6targetE1EEEvT1_,"axG",@progbits,_ZN7rocprim17ROCPRIM_400000_NS6detail17trampoline_kernelINS0_14default_configENS1_25partition_config_selectorILNS1_17partition_subalgoE1EtNS0_10empty_typeEbEEZZNS1_14partition_implILS5_1ELb0ES3_jN6thrust23THRUST_200600_302600_NS6detail15normal_iteratorINSA_10device_ptrItEEEEPS6_NSA_18transform_iteratorI7is_evenItESF_NSA_11use_defaultESK_EENS0_5tupleIJNSA_16discard_iteratorISK_EESO_EEENSM_IJSG_SG_EEES6_PlJS6_EEE10hipError_tPvRmT3_T4_T5_T6_T7_T9_mT8_P12ihipStream_tbDpT10_ENKUlT_T0_E_clISt17integral_constantIbLb0EES1A_IbLb1EEEEDaS16_S17_EUlS16_E_NS1_11comp_targetILNS1_3genE9ELNS1_11target_archE1100ELNS1_3gpuE3ELNS1_3repE0EEENS1_30default_config_static_selectorELNS0_4arch9wavefront6targetE1EEEvT1_,comdat
	.protected	_ZN7rocprim17ROCPRIM_400000_NS6detail17trampoline_kernelINS0_14default_configENS1_25partition_config_selectorILNS1_17partition_subalgoE1EtNS0_10empty_typeEbEEZZNS1_14partition_implILS5_1ELb0ES3_jN6thrust23THRUST_200600_302600_NS6detail15normal_iteratorINSA_10device_ptrItEEEEPS6_NSA_18transform_iteratorI7is_evenItESF_NSA_11use_defaultESK_EENS0_5tupleIJNSA_16discard_iteratorISK_EESO_EEENSM_IJSG_SG_EEES6_PlJS6_EEE10hipError_tPvRmT3_T4_T5_T6_T7_T9_mT8_P12ihipStream_tbDpT10_ENKUlT_T0_E_clISt17integral_constantIbLb0EES1A_IbLb1EEEEDaS16_S17_EUlS16_E_NS1_11comp_targetILNS1_3genE9ELNS1_11target_archE1100ELNS1_3gpuE3ELNS1_3repE0EEENS1_30default_config_static_selectorELNS0_4arch9wavefront6targetE1EEEvT1_ ; -- Begin function _ZN7rocprim17ROCPRIM_400000_NS6detail17trampoline_kernelINS0_14default_configENS1_25partition_config_selectorILNS1_17partition_subalgoE1EtNS0_10empty_typeEbEEZZNS1_14partition_implILS5_1ELb0ES3_jN6thrust23THRUST_200600_302600_NS6detail15normal_iteratorINSA_10device_ptrItEEEEPS6_NSA_18transform_iteratorI7is_evenItESF_NSA_11use_defaultESK_EENS0_5tupleIJNSA_16discard_iteratorISK_EESO_EEENSM_IJSG_SG_EEES6_PlJS6_EEE10hipError_tPvRmT3_T4_T5_T6_T7_T9_mT8_P12ihipStream_tbDpT10_ENKUlT_T0_E_clISt17integral_constantIbLb0EES1A_IbLb1EEEEDaS16_S17_EUlS16_E_NS1_11comp_targetILNS1_3genE9ELNS1_11target_archE1100ELNS1_3gpuE3ELNS1_3repE0EEENS1_30default_config_static_selectorELNS0_4arch9wavefront6targetE1EEEvT1_
	.globl	_ZN7rocprim17ROCPRIM_400000_NS6detail17trampoline_kernelINS0_14default_configENS1_25partition_config_selectorILNS1_17partition_subalgoE1EtNS0_10empty_typeEbEEZZNS1_14partition_implILS5_1ELb0ES3_jN6thrust23THRUST_200600_302600_NS6detail15normal_iteratorINSA_10device_ptrItEEEEPS6_NSA_18transform_iteratorI7is_evenItESF_NSA_11use_defaultESK_EENS0_5tupleIJNSA_16discard_iteratorISK_EESO_EEENSM_IJSG_SG_EEES6_PlJS6_EEE10hipError_tPvRmT3_T4_T5_T6_T7_T9_mT8_P12ihipStream_tbDpT10_ENKUlT_T0_E_clISt17integral_constantIbLb0EES1A_IbLb1EEEEDaS16_S17_EUlS16_E_NS1_11comp_targetILNS1_3genE9ELNS1_11target_archE1100ELNS1_3gpuE3ELNS1_3repE0EEENS1_30default_config_static_selectorELNS0_4arch9wavefront6targetE1EEEvT1_
	.p2align	8
	.type	_ZN7rocprim17ROCPRIM_400000_NS6detail17trampoline_kernelINS0_14default_configENS1_25partition_config_selectorILNS1_17partition_subalgoE1EtNS0_10empty_typeEbEEZZNS1_14partition_implILS5_1ELb0ES3_jN6thrust23THRUST_200600_302600_NS6detail15normal_iteratorINSA_10device_ptrItEEEEPS6_NSA_18transform_iteratorI7is_evenItESF_NSA_11use_defaultESK_EENS0_5tupleIJNSA_16discard_iteratorISK_EESO_EEENSM_IJSG_SG_EEES6_PlJS6_EEE10hipError_tPvRmT3_T4_T5_T6_T7_T9_mT8_P12ihipStream_tbDpT10_ENKUlT_T0_E_clISt17integral_constantIbLb0EES1A_IbLb1EEEEDaS16_S17_EUlS16_E_NS1_11comp_targetILNS1_3genE9ELNS1_11target_archE1100ELNS1_3gpuE3ELNS1_3repE0EEENS1_30default_config_static_selectorELNS0_4arch9wavefront6targetE1EEEvT1_,@function
_ZN7rocprim17ROCPRIM_400000_NS6detail17trampoline_kernelINS0_14default_configENS1_25partition_config_selectorILNS1_17partition_subalgoE1EtNS0_10empty_typeEbEEZZNS1_14partition_implILS5_1ELb0ES3_jN6thrust23THRUST_200600_302600_NS6detail15normal_iteratorINSA_10device_ptrItEEEEPS6_NSA_18transform_iteratorI7is_evenItESF_NSA_11use_defaultESK_EENS0_5tupleIJNSA_16discard_iteratorISK_EESO_EEENSM_IJSG_SG_EEES6_PlJS6_EEE10hipError_tPvRmT3_T4_T5_T6_T7_T9_mT8_P12ihipStream_tbDpT10_ENKUlT_T0_E_clISt17integral_constantIbLb0EES1A_IbLb1EEEEDaS16_S17_EUlS16_E_NS1_11comp_targetILNS1_3genE9ELNS1_11target_archE1100ELNS1_3gpuE3ELNS1_3repE0EEENS1_30default_config_static_selectorELNS0_4arch9wavefront6targetE1EEEvT1_: ; @_ZN7rocprim17ROCPRIM_400000_NS6detail17trampoline_kernelINS0_14default_configENS1_25partition_config_selectorILNS1_17partition_subalgoE1EtNS0_10empty_typeEbEEZZNS1_14partition_implILS5_1ELb0ES3_jN6thrust23THRUST_200600_302600_NS6detail15normal_iteratorINSA_10device_ptrItEEEEPS6_NSA_18transform_iteratorI7is_evenItESF_NSA_11use_defaultESK_EENS0_5tupleIJNSA_16discard_iteratorISK_EESO_EEENSM_IJSG_SG_EEES6_PlJS6_EEE10hipError_tPvRmT3_T4_T5_T6_T7_T9_mT8_P12ihipStream_tbDpT10_ENKUlT_T0_E_clISt17integral_constantIbLb0EES1A_IbLb1EEEEDaS16_S17_EUlS16_E_NS1_11comp_targetILNS1_3genE9ELNS1_11target_archE1100ELNS1_3gpuE3ELNS1_3repE0EEENS1_30default_config_static_selectorELNS0_4arch9wavefront6targetE1EEEvT1_
; %bb.0:
	.section	.rodata,"a",@progbits
	.p2align	6, 0x0
	.amdhsa_kernel _ZN7rocprim17ROCPRIM_400000_NS6detail17trampoline_kernelINS0_14default_configENS1_25partition_config_selectorILNS1_17partition_subalgoE1EtNS0_10empty_typeEbEEZZNS1_14partition_implILS5_1ELb0ES3_jN6thrust23THRUST_200600_302600_NS6detail15normal_iteratorINSA_10device_ptrItEEEEPS6_NSA_18transform_iteratorI7is_evenItESF_NSA_11use_defaultESK_EENS0_5tupleIJNSA_16discard_iteratorISK_EESO_EEENSM_IJSG_SG_EEES6_PlJS6_EEE10hipError_tPvRmT3_T4_T5_T6_T7_T9_mT8_P12ihipStream_tbDpT10_ENKUlT_T0_E_clISt17integral_constantIbLb0EES1A_IbLb1EEEEDaS16_S17_EUlS16_E_NS1_11comp_targetILNS1_3genE9ELNS1_11target_archE1100ELNS1_3gpuE3ELNS1_3repE0EEENS1_30default_config_static_selectorELNS0_4arch9wavefront6targetE1EEEvT1_
		.amdhsa_group_segment_fixed_size 0
		.amdhsa_private_segment_fixed_size 0
		.amdhsa_kernarg_size 160
		.amdhsa_user_sgpr_count 2
		.amdhsa_user_sgpr_dispatch_ptr 0
		.amdhsa_user_sgpr_queue_ptr 0
		.amdhsa_user_sgpr_kernarg_segment_ptr 1
		.amdhsa_user_sgpr_dispatch_id 0
		.amdhsa_user_sgpr_kernarg_preload_length 0
		.amdhsa_user_sgpr_kernarg_preload_offset 0
		.amdhsa_user_sgpr_private_segment_size 0
		.amdhsa_uses_dynamic_stack 0
		.amdhsa_enable_private_segment 0
		.amdhsa_system_sgpr_workgroup_id_x 1
		.amdhsa_system_sgpr_workgroup_id_y 0
		.amdhsa_system_sgpr_workgroup_id_z 0
		.amdhsa_system_sgpr_workgroup_info 0
		.amdhsa_system_vgpr_workitem_id 0
		.amdhsa_next_free_vgpr 1
		.amdhsa_next_free_sgpr 0
		.amdhsa_accum_offset 4
		.amdhsa_reserve_vcc 0
		.amdhsa_float_round_mode_32 0
		.amdhsa_float_round_mode_16_64 0
		.amdhsa_float_denorm_mode_32 3
		.amdhsa_float_denorm_mode_16_64 3
		.amdhsa_dx10_clamp 1
		.amdhsa_ieee_mode 1
		.amdhsa_fp16_overflow 0
		.amdhsa_tg_split 0
		.amdhsa_exception_fp_ieee_invalid_op 0
		.amdhsa_exception_fp_denorm_src 0
		.amdhsa_exception_fp_ieee_div_zero 0
		.amdhsa_exception_fp_ieee_overflow 0
		.amdhsa_exception_fp_ieee_underflow 0
		.amdhsa_exception_fp_ieee_inexact 0
		.amdhsa_exception_int_div_zero 0
	.end_amdhsa_kernel
	.section	.text._ZN7rocprim17ROCPRIM_400000_NS6detail17trampoline_kernelINS0_14default_configENS1_25partition_config_selectorILNS1_17partition_subalgoE1EtNS0_10empty_typeEbEEZZNS1_14partition_implILS5_1ELb0ES3_jN6thrust23THRUST_200600_302600_NS6detail15normal_iteratorINSA_10device_ptrItEEEEPS6_NSA_18transform_iteratorI7is_evenItESF_NSA_11use_defaultESK_EENS0_5tupleIJNSA_16discard_iteratorISK_EESO_EEENSM_IJSG_SG_EEES6_PlJS6_EEE10hipError_tPvRmT3_T4_T5_T6_T7_T9_mT8_P12ihipStream_tbDpT10_ENKUlT_T0_E_clISt17integral_constantIbLb0EES1A_IbLb1EEEEDaS16_S17_EUlS16_E_NS1_11comp_targetILNS1_3genE9ELNS1_11target_archE1100ELNS1_3gpuE3ELNS1_3repE0EEENS1_30default_config_static_selectorELNS0_4arch9wavefront6targetE1EEEvT1_,"axG",@progbits,_ZN7rocprim17ROCPRIM_400000_NS6detail17trampoline_kernelINS0_14default_configENS1_25partition_config_selectorILNS1_17partition_subalgoE1EtNS0_10empty_typeEbEEZZNS1_14partition_implILS5_1ELb0ES3_jN6thrust23THRUST_200600_302600_NS6detail15normal_iteratorINSA_10device_ptrItEEEEPS6_NSA_18transform_iteratorI7is_evenItESF_NSA_11use_defaultESK_EENS0_5tupleIJNSA_16discard_iteratorISK_EESO_EEENSM_IJSG_SG_EEES6_PlJS6_EEE10hipError_tPvRmT3_T4_T5_T6_T7_T9_mT8_P12ihipStream_tbDpT10_ENKUlT_T0_E_clISt17integral_constantIbLb0EES1A_IbLb1EEEEDaS16_S17_EUlS16_E_NS1_11comp_targetILNS1_3genE9ELNS1_11target_archE1100ELNS1_3gpuE3ELNS1_3repE0EEENS1_30default_config_static_selectorELNS0_4arch9wavefront6targetE1EEEvT1_,comdat
.Lfunc_end3097:
	.size	_ZN7rocprim17ROCPRIM_400000_NS6detail17trampoline_kernelINS0_14default_configENS1_25partition_config_selectorILNS1_17partition_subalgoE1EtNS0_10empty_typeEbEEZZNS1_14partition_implILS5_1ELb0ES3_jN6thrust23THRUST_200600_302600_NS6detail15normal_iteratorINSA_10device_ptrItEEEEPS6_NSA_18transform_iteratorI7is_evenItESF_NSA_11use_defaultESK_EENS0_5tupleIJNSA_16discard_iteratorISK_EESO_EEENSM_IJSG_SG_EEES6_PlJS6_EEE10hipError_tPvRmT3_T4_T5_T6_T7_T9_mT8_P12ihipStream_tbDpT10_ENKUlT_T0_E_clISt17integral_constantIbLb0EES1A_IbLb1EEEEDaS16_S17_EUlS16_E_NS1_11comp_targetILNS1_3genE9ELNS1_11target_archE1100ELNS1_3gpuE3ELNS1_3repE0EEENS1_30default_config_static_selectorELNS0_4arch9wavefront6targetE1EEEvT1_, .Lfunc_end3097-_ZN7rocprim17ROCPRIM_400000_NS6detail17trampoline_kernelINS0_14default_configENS1_25partition_config_selectorILNS1_17partition_subalgoE1EtNS0_10empty_typeEbEEZZNS1_14partition_implILS5_1ELb0ES3_jN6thrust23THRUST_200600_302600_NS6detail15normal_iteratorINSA_10device_ptrItEEEEPS6_NSA_18transform_iteratorI7is_evenItESF_NSA_11use_defaultESK_EENS0_5tupleIJNSA_16discard_iteratorISK_EESO_EEENSM_IJSG_SG_EEES6_PlJS6_EEE10hipError_tPvRmT3_T4_T5_T6_T7_T9_mT8_P12ihipStream_tbDpT10_ENKUlT_T0_E_clISt17integral_constantIbLb0EES1A_IbLb1EEEEDaS16_S17_EUlS16_E_NS1_11comp_targetILNS1_3genE9ELNS1_11target_archE1100ELNS1_3gpuE3ELNS1_3repE0EEENS1_30default_config_static_selectorELNS0_4arch9wavefront6targetE1EEEvT1_
                                        ; -- End function
	.section	.AMDGPU.csdata,"",@progbits
; Kernel info:
; codeLenInByte = 0
; NumSgprs: 6
; NumVgprs: 0
; NumAgprs: 0
; TotalNumVgprs: 0
; ScratchSize: 0
; MemoryBound: 0
; FloatMode: 240
; IeeeMode: 1
; LDSByteSize: 0 bytes/workgroup (compile time only)
; SGPRBlocks: 0
; VGPRBlocks: 0
; NumSGPRsForWavesPerEU: 6
; NumVGPRsForWavesPerEU: 1
; AccumOffset: 4
; Occupancy: 8
; WaveLimiterHint : 0
; COMPUTE_PGM_RSRC2:SCRATCH_EN: 0
; COMPUTE_PGM_RSRC2:USER_SGPR: 2
; COMPUTE_PGM_RSRC2:TRAP_HANDLER: 0
; COMPUTE_PGM_RSRC2:TGID_X_EN: 1
; COMPUTE_PGM_RSRC2:TGID_Y_EN: 0
; COMPUTE_PGM_RSRC2:TGID_Z_EN: 0
; COMPUTE_PGM_RSRC2:TIDIG_COMP_CNT: 0
; COMPUTE_PGM_RSRC3_GFX90A:ACCUM_OFFSET: 0
; COMPUTE_PGM_RSRC3_GFX90A:TG_SPLIT: 0
	.section	.text._ZN7rocprim17ROCPRIM_400000_NS6detail17trampoline_kernelINS0_14default_configENS1_25partition_config_selectorILNS1_17partition_subalgoE1EtNS0_10empty_typeEbEEZZNS1_14partition_implILS5_1ELb0ES3_jN6thrust23THRUST_200600_302600_NS6detail15normal_iteratorINSA_10device_ptrItEEEEPS6_NSA_18transform_iteratorI7is_evenItESF_NSA_11use_defaultESK_EENS0_5tupleIJNSA_16discard_iteratorISK_EESO_EEENSM_IJSG_SG_EEES6_PlJS6_EEE10hipError_tPvRmT3_T4_T5_T6_T7_T9_mT8_P12ihipStream_tbDpT10_ENKUlT_T0_E_clISt17integral_constantIbLb0EES1A_IbLb1EEEEDaS16_S17_EUlS16_E_NS1_11comp_targetILNS1_3genE8ELNS1_11target_archE1030ELNS1_3gpuE2ELNS1_3repE0EEENS1_30default_config_static_selectorELNS0_4arch9wavefront6targetE1EEEvT1_,"axG",@progbits,_ZN7rocprim17ROCPRIM_400000_NS6detail17trampoline_kernelINS0_14default_configENS1_25partition_config_selectorILNS1_17partition_subalgoE1EtNS0_10empty_typeEbEEZZNS1_14partition_implILS5_1ELb0ES3_jN6thrust23THRUST_200600_302600_NS6detail15normal_iteratorINSA_10device_ptrItEEEEPS6_NSA_18transform_iteratorI7is_evenItESF_NSA_11use_defaultESK_EENS0_5tupleIJNSA_16discard_iteratorISK_EESO_EEENSM_IJSG_SG_EEES6_PlJS6_EEE10hipError_tPvRmT3_T4_T5_T6_T7_T9_mT8_P12ihipStream_tbDpT10_ENKUlT_T0_E_clISt17integral_constantIbLb0EES1A_IbLb1EEEEDaS16_S17_EUlS16_E_NS1_11comp_targetILNS1_3genE8ELNS1_11target_archE1030ELNS1_3gpuE2ELNS1_3repE0EEENS1_30default_config_static_selectorELNS0_4arch9wavefront6targetE1EEEvT1_,comdat
	.protected	_ZN7rocprim17ROCPRIM_400000_NS6detail17trampoline_kernelINS0_14default_configENS1_25partition_config_selectorILNS1_17partition_subalgoE1EtNS0_10empty_typeEbEEZZNS1_14partition_implILS5_1ELb0ES3_jN6thrust23THRUST_200600_302600_NS6detail15normal_iteratorINSA_10device_ptrItEEEEPS6_NSA_18transform_iteratorI7is_evenItESF_NSA_11use_defaultESK_EENS0_5tupleIJNSA_16discard_iteratorISK_EESO_EEENSM_IJSG_SG_EEES6_PlJS6_EEE10hipError_tPvRmT3_T4_T5_T6_T7_T9_mT8_P12ihipStream_tbDpT10_ENKUlT_T0_E_clISt17integral_constantIbLb0EES1A_IbLb1EEEEDaS16_S17_EUlS16_E_NS1_11comp_targetILNS1_3genE8ELNS1_11target_archE1030ELNS1_3gpuE2ELNS1_3repE0EEENS1_30default_config_static_selectorELNS0_4arch9wavefront6targetE1EEEvT1_ ; -- Begin function _ZN7rocprim17ROCPRIM_400000_NS6detail17trampoline_kernelINS0_14default_configENS1_25partition_config_selectorILNS1_17partition_subalgoE1EtNS0_10empty_typeEbEEZZNS1_14partition_implILS5_1ELb0ES3_jN6thrust23THRUST_200600_302600_NS6detail15normal_iteratorINSA_10device_ptrItEEEEPS6_NSA_18transform_iteratorI7is_evenItESF_NSA_11use_defaultESK_EENS0_5tupleIJNSA_16discard_iteratorISK_EESO_EEENSM_IJSG_SG_EEES6_PlJS6_EEE10hipError_tPvRmT3_T4_T5_T6_T7_T9_mT8_P12ihipStream_tbDpT10_ENKUlT_T0_E_clISt17integral_constantIbLb0EES1A_IbLb1EEEEDaS16_S17_EUlS16_E_NS1_11comp_targetILNS1_3genE8ELNS1_11target_archE1030ELNS1_3gpuE2ELNS1_3repE0EEENS1_30default_config_static_selectorELNS0_4arch9wavefront6targetE1EEEvT1_
	.globl	_ZN7rocprim17ROCPRIM_400000_NS6detail17trampoline_kernelINS0_14default_configENS1_25partition_config_selectorILNS1_17partition_subalgoE1EtNS0_10empty_typeEbEEZZNS1_14partition_implILS5_1ELb0ES3_jN6thrust23THRUST_200600_302600_NS6detail15normal_iteratorINSA_10device_ptrItEEEEPS6_NSA_18transform_iteratorI7is_evenItESF_NSA_11use_defaultESK_EENS0_5tupleIJNSA_16discard_iteratorISK_EESO_EEENSM_IJSG_SG_EEES6_PlJS6_EEE10hipError_tPvRmT3_T4_T5_T6_T7_T9_mT8_P12ihipStream_tbDpT10_ENKUlT_T0_E_clISt17integral_constantIbLb0EES1A_IbLb1EEEEDaS16_S17_EUlS16_E_NS1_11comp_targetILNS1_3genE8ELNS1_11target_archE1030ELNS1_3gpuE2ELNS1_3repE0EEENS1_30default_config_static_selectorELNS0_4arch9wavefront6targetE1EEEvT1_
	.p2align	8
	.type	_ZN7rocprim17ROCPRIM_400000_NS6detail17trampoline_kernelINS0_14default_configENS1_25partition_config_selectorILNS1_17partition_subalgoE1EtNS0_10empty_typeEbEEZZNS1_14partition_implILS5_1ELb0ES3_jN6thrust23THRUST_200600_302600_NS6detail15normal_iteratorINSA_10device_ptrItEEEEPS6_NSA_18transform_iteratorI7is_evenItESF_NSA_11use_defaultESK_EENS0_5tupleIJNSA_16discard_iteratorISK_EESO_EEENSM_IJSG_SG_EEES6_PlJS6_EEE10hipError_tPvRmT3_T4_T5_T6_T7_T9_mT8_P12ihipStream_tbDpT10_ENKUlT_T0_E_clISt17integral_constantIbLb0EES1A_IbLb1EEEEDaS16_S17_EUlS16_E_NS1_11comp_targetILNS1_3genE8ELNS1_11target_archE1030ELNS1_3gpuE2ELNS1_3repE0EEENS1_30default_config_static_selectorELNS0_4arch9wavefront6targetE1EEEvT1_,@function
_ZN7rocprim17ROCPRIM_400000_NS6detail17trampoline_kernelINS0_14default_configENS1_25partition_config_selectorILNS1_17partition_subalgoE1EtNS0_10empty_typeEbEEZZNS1_14partition_implILS5_1ELb0ES3_jN6thrust23THRUST_200600_302600_NS6detail15normal_iteratorINSA_10device_ptrItEEEEPS6_NSA_18transform_iteratorI7is_evenItESF_NSA_11use_defaultESK_EENS0_5tupleIJNSA_16discard_iteratorISK_EESO_EEENSM_IJSG_SG_EEES6_PlJS6_EEE10hipError_tPvRmT3_T4_T5_T6_T7_T9_mT8_P12ihipStream_tbDpT10_ENKUlT_T0_E_clISt17integral_constantIbLb0EES1A_IbLb1EEEEDaS16_S17_EUlS16_E_NS1_11comp_targetILNS1_3genE8ELNS1_11target_archE1030ELNS1_3gpuE2ELNS1_3repE0EEENS1_30default_config_static_selectorELNS0_4arch9wavefront6targetE1EEEvT1_: ; @_ZN7rocprim17ROCPRIM_400000_NS6detail17trampoline_kernelINS0_14default_configENS1_25partition_config_selectorILNS1_17partition_subalgoE1EtNS0_10empty_typeEbEEZZNS1_14partition_implILS5_1ELb0ES3_jN6thrust23THRUST_200600_302600_NS6detail15normal_iteratorINSA_10device_ptrItEEEEPS6_NSA_18transform_iteratorI7is_evenItESF_NSA_11use_defaultESK_EENS0_5tupleIJNSA_16discard_iteratorISK_EESO_EEENSM_IJSG_SG_EEES6_PlJS6_EEE10hipError_tPvRmT3_T4_T5_T6_T7_T9_mT8_P12ihipStream_tbDpT10_ENKUlT_T0_E_clISt17integral_constantIbLb0EES1A_IbLb1EEEEDaS16_S17_EUlS16_E_NS1_11comp_targetILNS1_3genE8ELNS1_11target_archE1030ELNS1_3gpuE2ELNS1_3repE0EEENS1_30default_config_static_selectorELNS0_4arch9wavefront6targetE1EEEvT1_
; %bb.0:
	.section	.rodata,"a",@progbits
	.p2align	6, 0x0
	.amdhsa_kernel _ZN7rocprim17ROCPRIM_400000_NS6detail17trampoline_kernelINS0_14default_configENS1_25partition_config_selectorILNS1_17partition_subalgoE1EtNS0_10empty_typeEbEEZZNS1_14partition_implILS5_1ELb0ES3_jN6thrust23THRUST_200600_302600_NS6detail15normal_iteratorINSA_10device_ptrItEEEEPS6_NSA_18transform_iteratorI7is_evenItESF_NSA_11use_defaultESK_EENS0_5tupleIJNSA_16discard_iteratorISK_EESO_EEENSM_IJSG_SG_EEES6_PlJS6_EEE10hipError_tPvRmT3_T4_T5_T6_T7_T9_mT8_P12ihipStream_tbDpT10_ENKUlT_T0_E_clISt17integral_constantIbLb0EES1A_IbLb1EEEEDaS16_S17_EUlS16_E_NS1_11comp_targetILNS1_3genE8ELNS1_11target_archE1030ELNS1_3gpuE2ELNS1_3repE0EEENS1_30default_config_static_selectorELNS0_4arch9wavefront6targetE1EEEvT1_
		.amdhsa_group_segment_fixed_size 0
		.amdhsa_private_segment_fixed_size 0
		.amdhsa_kernarg_size 160
		.amdhsa_user_sgpr_count 2
		.amdhsa_user_sgpr_dispatch_ptr 0
		.amdhsa_user_sgpr_queue_ptr 0
		.amdhsa_user_sgpr_kernarg_segment_ptr 1
		.amdhsa_user_sgpr_dispatch_id 0
		.amdhsa_user_sgpr_kernarg_preload_length 0
		.amdhsa_user_sgpr_kernarg_preload_offset 0
		.amdhsa_user_sgpr_private_segment_size 0
		.amdhsa_uses_dynamic_stack 0
		.amdhsa_enable_private_segment 0
		.amdhsa_system_sgpr_workgroup_id_x 1
		.amdhsa_system_sgpr_workgroup_id_y 0
		.amdhsa_system_sgpr_workgroup_id_z 0
		.amdhsa_system_sgpr_workgroup_info 0
		.amdhsa_system_vgpr_workitem_id 0
		.amdhsa_next_free_vgpr 1
		.amdhsa_next_free_sgpr 0
		.amdhsa_accum_offset 4
		.amdhsa_reserve_vcc 0
		.amdhsa_float_round_mode_32 0
		.amdhsa_float_round_mode_16_64 0
		.amdhsa_float_denorm_mode_32 3
		.amdhsa_float_denorm_mode_16_64 3
		.amdhsa_dx10_clamp 1
		.amdhsa_ieee_mode 1
		.amdhsa_fp16_overflow 0
		.amdhsa_tg_split 0
		.amdhsa_exception_fp_ieee_invalid_op 0
		.amdhsa_exception_fp_denorm_src 0
		.amdhsa_exception_fp_ieee_div_zero 0
		.amdhsa_exception_fp_ieee_overflow 0
		.amdhsa_exception_fp_ieee_underflow 0
		.amdhsa_exception_fp_ieee_inexact 0
		.amdhsa_exception_int_div_zero 0
	.end_amdhsa_kernel
	.section	.text._ZN7rocprim17ROCPRIM_400000_NS6detail17trampoline_kernelINS0_14default_configENS1_25partition_config_selectorILNS1_17partition_subalgoE1EtNS0_10empty_typeEbEEZZNS1_14partition_implILS5_1ELb0ES3_jN6thrust23THRUST_200600_302600_NS6detail15normal_iteratorINSA_10device_ptrItEEEEPS6_NSA_18transform_iteratorI7is_evenItESF_NSA_11use_defaultESK_EENS0_5tupleIJNSA_16discard_iteratorISK_EESO_EEENSM_IJSG_SG_EEES6_PlJS6_EEE10hipError_tPvRmT3_T4_T5_T6_T7_T9_mT8_P12ihipStream_tbDpT10_ENKUlT_T0_E_clISt17integral_constantIbLb0EES1A_IbLb1EEEEDaS16_S17_EUlS16_E_NS1_11comp_targetILNS1_3genE8ELNS1_11target_archE1030ELNS1_3gpuE2ELNS1_3repE0EEENS1_30default_config_static_selectorELNS0_4arch9wavefront6targetE1EEEvT1_,"axG",@progbits,_ZN7rocprim17ROCPRIM_400000_NS6detail17trampoline_kernelINS0_14default_configENS1_25partition_config_selectorILNS1_17partition_subalgoE1EtNS0_10empty_typeEbEEZZNS1_14partition_implILS5_1ELb0ES3_jN6thrust23THRUST_200600_302600_NS6detail15normal_iteratorINSA_10device_ptrItEEEEPS6_NSA_18transform_iteratorI7is_evenItESF_NSA_11use_defaultESK_EENS0_5tupleIJNSA_16discard_iteratorISK_EESO_EEENSM_IJSG_SG_EEES6_PlJS6_EEE10hipError_tPvRmT3_T4_T5_T6_T7_T9_mT8_P12ihipStream_tbDpT10_ENKUlT_T0_E_clISt17integral_constantIbLb0EES1A_IbLb1EEEEDaS16_S17_EUlS16_E_NS1_11comp_targetILNS1_3genE8ELNS1_11target_archE1030ELNS1_3gpuE2ELNS1_3repE0EEENS1_30default_config_static_selectorELNS0_4arch9wavefront6targetE1EEEvT1_,comdat
.Lfunc_end3098:
	.size	_ZN7rocprim17ROCPRIM_400000_NS6detail17trampoline_kernelINS0_14default_configENS1_25partition_config_selectorILNS1_17partition_subalgoE1EtNS0_10empty_typeEbEEZZNS1_14partition_implILS5_1ELb0ES3_jN6thrust23THRUST_200600_302600_NS6detail15normal_iteratorINSA_10device_ptrItEEEEPS6_NSA_18transform_iteratorI7is_evenItESF_NSA_11use_defaultESK_EENS0_5tupleIJNSA_16discard_iteratorISK_EESO_EEENSM_IJSG_SG_EEES6_PlJS6_EEE10hipError_tPvRmT3_T4_T5_T6_T7_T9_mT8_P12ihipStream_tbDpT10_ENKUlT_T0_E_clISt17integral_constantIbLb0EES1A_IbLb1EEEEDaS16_S17_EUlS16_E_NS1_11comp_targetILNS1_3genE8ELNS1_11target_archE1030ELNS1_3gpuE2ELNS1_3repE0EEENS1_30default_config_static_selectorELNS0_4arch9wavefront6targetE1EEEvT1_, .Lfunc_end3098-_ZN7rocprim17ROCPRIM_400000_NS6detail17trampoline_kernelINS0_14default_configENS1_25partition_config_selectorILNS1_17partition_subalgoE1EtNS0_10empty_typeEbEEZZNS1_14partition_implILS5_1ELb0ES3_jN6thrust23THRUST_200600_302600_NS6detail15normal_iteratorINSA_10device_ptrItEEEEPS6_NSA_18transform_iteratorI7is_evenItESF_NSA_11use_defaultESK_EENS0_5tupleIJNSA_16discard_iteratorISK_EESO_EEENSM_IJSG_SG_EEES6_PlJS6_EEE10hipError_tPvRmT3_T4_T5_T6_T7_T9_mT8_P12ihipStream_tbDpT10_ENKUlT_T0_E_clISt17integral_constantIbLb0EES1A_IbLb1EEEEDaS16_S17_EUlS16_E_NS1_11comp_targetILNS1_3genE8ELNS1_11target_archE1030ELNS1_3gpuE2ELNS1_3repE0EEENS1_30default_config_static_selectorELNS0_4arch9wavefront6targetE1EEEvT1_
                                        ; -- End function
	.section	.AMDGPU.csdata,"",@progbits
; Kernel info:
; codeLenInByte = 0
; NumSgprs: 6
; NumVgprs: 0
; NumAgprs: 0
; TotalNumVgprs: 0
; ScratchSize: 0
; MemoryBound: 0
; FloatMode: 240
; IeeeMode: 1
; LDSByteSize: 0 bytes/workgroup (compile time only)
; SGPRBlocks: 0
; VGPRBlocks: 0
; NumSGPRsForWavesPerEU: 6
; NumVGPRsForWavesPerEU: 1
; AccumOffset: 4
; Occupancy: 8
; WaveLimiterHint : 0
; COMPUTE_PGM_RSRC2:SCRATCH_EN: 0
; COMPUTE_PGM_RSRC2:USER_SGPR: 2
; COMPUTE_PGM_RSRC2:TRAP_HANDLER: 0
; COMPUTE_PGM_RSRC2:TGID_X_EN: 1
; COMPUTE_PGM_RSRC2:TGID_Y_EN: 0
; COMPUTE_PGM_RSRC2:TGID_Z_EN: 0
; COMPUTE_PGM_RSRC2:TIDIG_COMP_CNT: 0
; COMPUTE_PGM_RSRC3_GFX90A:ACCUM_OFFSET: 0
; COMPUTE_PGM_RSRC3_GFX90A:TG_SPLIT: 0
	.section	.text._ZN7rocprim17ROCPRIM_400000_NS6detail17trampoline_kernelINS0_14default_configENS1_25partition_config_selectorILNS1_17partition_subalgoE1EtNS0_10empty_typeEbEEZZNS1_14partition_implILS5_1ELb0ES3_jN6thrust23THRUST_200600_302600_NS6detail15normal_iteratorINSA_10device_ptrItEEEEPS6_NSA_18transform_iteratorI7is_evenItESF_NSA_11use_defaultESK_EENS0_5tupleIJSF_NSA_16discard_iteratorISK_EEEEENSM_IJSG_SG_EEES6_PlJS6_EEE10hipError_tPvRmT3_T4_T5_T6_T7_T9_mT8_P12ihipStream_tbDpT10_ENKUlT_T0_E_clISt17integral_constantIbLb0EES1B_EEDaS16_S17_EUlS16_E_NS1_11comp_targetILNS1_3genE0ELNS1_11target_archE4294967295ELNS1_3gpuE0ELNS1_3repE0EEENS1_30default_config_static_selectorELNS0_4arch9wavefront6targetE1EEEvT1_,"axG",@progbits,_ZN7rocprim17ROCPRIM_400000_NS6detail17trampoline_kernelINS0_14default_configENS1_25partition_config_selectorILNS1_17partition_subalgoE1EtNS0_10empty_typeEbEEZZNS1_14partition_implILS5_1ELb0ES3_jN6thrust23THRUST_200600_302600_NS6detail15normal_iteratorINSA_10device_ptrItEEEEPS6_NSA_18transform_iteratorI7is_evenItESF_NSA_11use_defaultESK_EENS0_5tupleIJSF_NSA_16discard_iteratorISK_EEEEENSM_IJSG_SG_EEES6_PlJS6_EEE10hipError_tPvRmT3_T4_T5_T6_T7_T9_mT8_P12ihipStream_tbDpT10_ENKUlT_T0_E_clISt17integral_constantIbLb0EES1B_EEDaS16_S17_EUlS16_E_NS1_11comp_targetILNS1_3genE0ELNS1_11target_archE4294967295ELNS1_3gpuE0ELNS1_3repE0EEENS1_30default_config_static_selectorELNS0_4arch9wavefront6targetE1EEEvT1_,comdat
	.protected	_ZN7rocprim17ROCPRIM_400000_NS6detail17trampoline_kernelINS0_14default_configENS1_25partition_config_selectorILNS1_17partition_subalgoE1EtNS0_10empty_typeEbEEZZNS1_14partition_implILS5_1ELb0ES3_jN6thrust23THRUST_200600_302600_NS6detail15normal_iteratorINSA_10device_ptrItEEEEPS6_NSA_18transform_iteratorI7is_evenItESF_NSA_11use_defaultESK_EENS0_5tupleIJSF_NSA_16discard_iteratorISK_EEEEENSM_IJSG_SG_EEES6_PlJS6_EEE10hipError_tPvRmT3_T4_T5_T6_T7_T9_mT8_P12ihipStream_tbDpT10_ENKUlT_T0_E_clISt17integral_constantIbLb0EES1B_EEDaS16_S17_EUlS16_E_NS1_11comp_targetILNS1_3genE0ELNS1_11target_archE4294967295ELNS1_3gpuE0ELNS1_3repE0EEENS1_30default_config_static_selectorELNS0_4arch9wavefront6targetE1EEEvT1_ ; -- Begin function _ZN7rocprim17ROCPRIM_400000_NS6detail17trampoline_kernelINS0_14default_configENS1_25partition_config_selectorILNS1_17partition_subalgoE1EtNS0_10empty_typeEbEEZZNS1_14partition_implILS5_1ELb0ES3_jN6thrust23THRUST_200600_302600_NS6detail15normal_iteratorINSA_10device_ptrItEEEEPS6_NSA_18transform_iteratorI7is_evenItESF_NSA_11use_defaultESK_EENS0_5tupleIJSF_NSA_16discard_iteratorISK_EEEEENSM_IJSG_SG_EEES6_PlJS6_EEE10hipError_tPvRmT3_T4_T5_T6_T7_T9_mT8_P12ihipStream_tbDpT10_ENKUlT_T0_E_clISt17integral_constantIbLb0EES1B_EEDaS16_S17_EUlS16_E_NS1_11comp_targetILNS1_3genE0ELNS1_11target_archE4294967295ELNS1_3gpuE0ELNS1_3repE0EEENS1_30default_config_static_selectorELNS0_4arch9wavefront6targetE1EEEvT1_
	.globl	_ZN7rocprim17ROCPRIM_400000_NS6detail17trampoline_kernelINS0_14default_configENS1_25partition_config_selectorILNS1_17partition_subalgoE1EtNS0_10empty_typeEbEEZZNS1_14partition_implILS5_1ELb0ES3_jN6thrust23THRUST_200600_302600_NS6detail15normal_iteratorINSA_10device_ptrItEEEEPS6_NSA_18transform_iteratorI7is_evenItESF_NSA_11use_defaultESK_EENS0_5tupleIJSF_NSA_16discard_iteratorISK_EEEEENSM_IJSG_SG_EEES6_PlJS6_EEE10hipError_tPvRmT3_T4_T5_T6_T7_T9_mT8_P12ihipStream_tbDpT10_ENKUlT_T0_E_clISt17integral_constantIbLb0EES1B_EEDaS16_S17_EUlS16_E_NS1_11comp_targetILNS1_3genE0ELNS1_11target_archE4294967295ELNS1_3gpuE0ELNS1_3repE0EEENS1_30default_config_static_selectorELNS0_4arch9wavefront6targetE1EEEvT1_
	.p2align	8
	.type	_ZN7rocprim17ROCPRIM_400000_NS6detail17trampoline_kernelINS0_14default_configENS1_25partition_config_selectorILNS1_17partition_subalgoE1EtNS0_10empty_typeEbEEZZNS1_14partition_implILS5_1ELb0ES3_jN6thrust23THRUST_200600_302600_NS6detail15normal_iteratorINSA_10device_ptrItEEEEPS6_NSA_18transform_iteratorI7is_evenItESF_NSA_11use_defaultESK_EENS0_5tupleIJSF_NSA_16discard_iteratorISK_EEEEENSM_IJSG_SG_EEES6_PlJS6_EEE10hipError_tPvRmT3_T4_T5_T6_T7_T9_mT8_P12ihipStream_tbDpT10_ENKUlT_T0_E_clISt17integral_constantIbLb0EES1B_EEDaS16_S17_EUlS16_E_NS1_11comp_targetILNS1_3genE0ELNS1_11target_archE4294967295ELNS1_3gpuE0ELNS1_3repE0EEENS1_30default_config_static_selectorELNS0_4arch9wavefront6targetE1EEEvT1_,@function
_ZN7rocprim17ROCPRIM_400000_NS6detail17trampoline_kernelINS0_14default_configENS1_25partition_config_selectorILNS1_17partition_subalgoE1EtNS0_10empty_typeEbEEZZNS1_14partition_implILS5_1ELb0ES3_jN6thrust23THRUST_200600_302600_NS6detail15normal_iteratorINSA_10device_ptrItEEEEPS6_NSA_18transform_iteratorI7is_evenItESF_NSA_11use_defaultESK_EENS0_5tupleIJSF_NSA_16discard_iteratorISK_EEEEENSM_IJSG_SG_EEES6_PlJS6_EEE10hipError_tPvRmT3_T4_T5_T6_T7_T9_mT8_P12ihipStream_tbDpT10_ENKUlT_T0_E_clISt17integral_constantIbLb0EES1B_EEDaS16_S17_EUlS16_E_NS1_11comp_targetILNS1_3genE0ELNS1_11target_archE4294967295ELNS1_3gpuE0ELNS1_3repE0EEENS1_30default_config_static_selectorELNS0_4arch9wavefront6targetE1EEEvT1_: ; @_ZN7rocprim17ROCPRIM_400000_NS6detail17trampoline_kernelINS0_14default_configENS1_25partition_config_selectorILNS1_17partition_subalgoE1EtNS0_10empty_typeEbEEZZNS1_14partition_implILS5_1ELb0ES3_jN6thrust23THRUST_200600_302600_NS6detail15normal_iteratorINSA_10device_ptrItEEEEPS6_NSA_18transform_iteratorI7is_evenItESF_NSA_11use_defaultESK_EENS0_5tupleIJSF_NSA_16discard_iteratorISK_EEEEENSM_IJSG_SG_EEES6_PlJS6_EEE10hipError_tPvRmT3_T4_T5_T6_T7_T9_mT8_P12ihipStream_tbDpT10_ENKUlT_T0_E_clISt17integral_constantIbLb0EES1B_EEDaS16_S17_EUlS16_E_NS1_11comp_targetILNS1_3genE0ELNS1_11target_archE4294967295ELNS1_3gpuE0ELNS1_3repE0EEENS1_30default_config_static_selectorELNS0_4arch9wavefront6targetE1EEEvT1_
; %bb.0:
	.section	.rodata,"a",@progbits
	.p2align	6, 0x0
	.amdhsa_kernel _ZN7rocprim17ROCPRIM_400000_NS6detail17trampoline_kernelINS0_14default_configENS1_25partition_config_selectorILNS1_17partition_subalgoE1EtNS0_10empty_typeEbEEZZNS1_14partition_implILS5_1ELb0ES3_jN6thrust23THRUST_200600_302600_NS6detail15normal_iteratorINSA_10device_ptrItEEEEPS6_NSA_18transform_iteratorI7is_evenItESF_NSA_11use_defaultESK_EENS0_5tupleIJSF_NSA_16discard_iteratorISK_EEEEENSM_IJSG_SG_EEES6_PlJS6_EEE10hipError_tPvRmT3_T4_T5_T6_T7_T9_mT8_P12ihipStream_tbDpT10_ENKUlT_T0_E_clISt17integral_constantIbLb0EES1B_EEDaS16_S17_EUlS16_E_NS1_11comp_targetILNS1_3genE0ELNS1_11target_archE4294967295ELNS1_3gpuE0ELNS1_3repE0EEENS1_30default_config_static_selectorELNS0_4arch9wavefront6targetE1EEEvT1_
		.amdhsa_group_segment_fixed_size 0
		.amdhsa_private_segment_fixed_size 0
		.amdhsa_kernarg_size 136
		.amdhsa_user_sgpr_count 2
		.amdhsa_user_sgpr_dispatch_ptr 0
		.amdhsa_user_sgpr_queue_ptr 0
		.amdhsa_user_sgpr_kernarg_segment_ptr 1
		.amdhsa_user_sgpr_dispatch_id 0
		.amdhsa_user_sgpr_kernarg_preload_length 0
		.amdhsa_user_sgpr_kernarg_preload_offset 0
		.amdhsa_user_sgpr_private_segment_size 0
		.amdhsa_uses_dynamic_stack 0
		.amdhsa_enable_private_segment 0
		.amdhsa_system_sgpr_workgroup_id_x 1
		.amdhsa_system_sgpr_workgroup_id_y 0
		.amdhsa_system_sgpr_workgroup_id_z 0
		.amdhsa_system_sgpr_workgroup_info 0
		.amdhsa_system_vgpr_workitem_id 0
		.amdhsa_next_free_vgpr 1
		.amdhsa_next_free_sgpr 0
		.amdhsa_accum_offset 4
		.amdhsa_reserve_vcc 0
		.amdhsa_float_round_mode_32 0
		.amdhsa_float_round_mode_16_64 0
		.amdhsa_float_denorm_mode_32 3
		.amdhsa_float_denorm_mode_16_64 3
		.amdhsa_dx10_clamp 1
		.amdhsa_ieee_mode 1
		.amdhsa_fp16_overflow 0
		.amdhsa_tg_split 0
		.amdhsa_exception_fp_ieee_invalid_op 0
		.amdhsa_exception_fp_denorm_src 0
		.amdhsa_exception_fp_ieee_div_zero 0
		.amdhsa_exception_fp_ieee_overflow 0
		.amdhsa_exception_fp_ieee_underflow 0
		.amdhsa_exception_fp_ieee_inexact 0
		.amdhsa_exception_int_div_zero 0
	.end_amdhsa_kernel
	.section	.text._ZN7rocprim17ROCPRIM_400000_NS6detail17trampoline_kernelINS0_14default_configENS1_25partition_config_selectorILNS1_17partition_subalgoE1EtNS0_10empty_typeEbEEZZNS1_14partition_implILS5_1ELb0ES3_jN6thrust23THRUST_200600_302600_NS6detail15normal_iteratorINSA_10device_ptrItEEEEPS6_NSA_18transform_iteratorI7is_evenItESF_NSA_11use_defaultESK_EENS0_5tupleIJSF_NSA_16discard_iteratorISK_EEEEENSM_IJSG_SG_EEES6_PlJS6_EEE10hipError_tPvRmT3_T4_T5_T6_T7_T9_mT8_P12ihipStream_tbDpT10_ENKUlT_T0_E_clISt17integral_constantIbLb0EES1B_EEDaS16_S17_EUlS16_E_NS1_11comp_targetILNS1_3genE0ELNS1_11target_archE4294967295ELNS1_3gpuE0ELNS1_3repE0EEENS1_30default_config_static_selectorELNS0_4arch9wavefront6targetE1EEEvT1_,"axG",@progbits,_ZN7rocprim17ROCPRIM_400000_NS6detail17trampoline_kernelINS0_14default_configENS1_25partition_config_selectorILNS1_17partition_subalgoE1EtNS0_10empty_typeEbEEZZNS1_14partition_implILS5_1ELb0ES3_jN6thrust23THRUST_200600_302600_NS6detail15normal_iteratorINSA_10device_ptrItEEEEPS6_NSA_18transform_iteratorI7is_evenItESF_NSA_11use_defaultESK_EENS0_5tupleIJSF_NSA_16discard_iteratorISK_EEEEENSM_IJSG_SG_EEES6_PlJS6_EEE10hipError_tPvRmT3_T4_T5_T6_T7_T9_mT8_P12ihipStream_tbDpT10_ENKUlT_T0_E_clISt17integral_constantIbLb0EES1B_EEDaS16_S17_EUlS16_E_NS1_11comp_targetILNS1_3genE0ELNS1_11target_archE4294967295ELNS1_3gpuE0ELNS1_3repE0EEENS1_30default_config_static_selectorELNS0_4arch9wavefront6targetE1EEEvT1_,comdat
.Lfunc_end3099:
	.size	_ZN7rocprim17ROCPRIM_400000_NS6detail17trampoline_kernelINS0_14default_configENS1_25partition_config_selectorILNS1_17partition_subalgoE1EtNS0_10empty_typeEbEEZZNS1_14partition_implILS5_1ELb0ES3_jN6thrust23THRUST_200600_302600_NS6detail15normal_iteratorINSA_10device_ptrItEEEEPS6_NSA_18transform_iteratorI7is_evenItESF_NSA_11use_defaultESK_EENS0_5tupleIJSF_NSA_16discard_iteratorISK_EEEEENSM_IJSG_SG_EEES6_PlJS6_EEE10hipError_tPvRmT3_T4_T5_T6_T7_T9_mT8_P12ihipStream_tbDpT10_ENKUlT_T0_E_clISt17integral_constantIbLb0EES1B_EEDaS16_S17_EUlS16_E_NS1_11comp_targetILNS1_3genE0ELNS1_11target_archE4294967295ELNS1_3gpuE0ELNS1_3repE0EEENS1_30default_config_static_selectorELNS0_4arch9wavefront6targetE1EEEvT1_, .Lfunc_end3099-_ZN7rocprim17ROCPRIM_400000_NS6detail17trampoline_kernelINS0_14default_configENS1_25partition_config_selectorILNS1_17partition_subalgoE1EtNS0_10empty_typeEbEEZZNS1_14partition_implILS5_1ELb0ES3_jN6thrust23THRUST_200600_302600_NS6detail15normal_iteratorINSA_10device_ptrItEEEEPS6_NSA_18transform_iteratorI7is_evenItESF_NSA_11use_defaultESK_EENS0_5tupleIJSF_NSA_16discard_iteratorISK_EEEEENSM_IJSG_SG_EEES6_PlJS6_EEE10hipError_tPvRmT3_T4_T5_T6_T7_T9_mT8_P12ihipStream_tbDpT10_ENKUlT_T0_E_clISt17integral_constantIbLb0EES1B_EEDaS16_S17_EUlS16_E_NS1_11comp_targetILNS1_3genE0ELNS1_11target_archE4294967295ELNS1_3gpuE0ELNS1_3repE0EEENS1_30default_config_static_selectorELNS0_4arch9wavefront6targetE1EEEvT1_
                                        ; -- End function
	.section	.AMDGPU.csdata,"",@progbits
; Kernel info:
; codeLenInByte = 0
; NumSgprs: 6
; NumVgprs: 0
; NumAgprs: 0
; TotalNumVgprs: 0
; ScratchSize: 0
; MemoryBound: 0
; FloatMode: 240
; IeeeMode: 1
; LDSByteSize: 0 bytes/workgroup (compile time only)
; SGPRBlocks: 0
; VGPRBlocks: 0
; NumSGPRsForWavesPerEU: 6
; NumVGPRsForWavesPerEU: 1
; AccumOffset: 4
; Occupancy: 8
; WaveLimiterHint : 0
; COMPUTE_PGM_RSRC2:SCRATCH_EN: 0
; COMPUTE_PGM_RSRC2:USER_SGPR: 2
; COMPUTE_PGM_RSRC2:TRAP_HANDLER: 0
; COMPUTE_PGM_RSRC2:TGID_X_EN: 1
; COMPUTE_PGM_RSRC2:TGID_Y_EN: 0
; COMPUTE_PGM_RSRC2:TGID_Z_EN: 0
; COMPUTE_PGM_RSRC2:TIDIG_COMP_CNT: 0
; COMPUTE_PGM_RSRC3_GFX90A:ACCUM_OFFSET: 0
; COMPUTE_PGM_RSRC3_GFX90A:TG_SPLIT: 0
	.section	.text._ZN7rocprim17ROCPRIM_400000_NS6detail17trampoline_kernelINS0_14default_configENS1_25partition_config_selectorILNS1_17partition_subalgoE1EtNS0_10empty_typeEbEEZZNS1_14partition_implILS5_1ELb0ES3_jN6thrust23THRUST_200600_302600_NS6detail15normal_iteratorINSA_10device_ptrItEEEEPS6_NSA_18transform_iteratorI7is_evenItESF_NSA_11use_defaultESK_EENS0_5tupleIJSF_NSA_16discard_iteratorISK_EEEEENSM_IJSG_SG_EEES6_PlJS6_EEE10hipError_tPvRmT3_T4_T5_T6_T7_T9_mT8_P12ihipStream_tbDpT10_ENKUlT_T0_E_clISt17integral_constantIbLb0EES1B_EEDaS16_S17_EUlS16_E_NS1_11comp_targetILNS1_3genE5ELNS1_11target_archE942ELNS1_3gpuE9ELNS1_3repE0EEENS1_30default_config_static_selectorELNS0_4arch9wavefront6targetE1EEEvT1_,"axG",@progbits,_ZN7rocprim17ROCPRIM_400000_NS6detail17trampoline_kernelINS0_14default_configENS1_25partition_config_selectorILNS1_17partition_subalgoE1EtNS0_10empty_typeEbEEZZNS1_14partition_implILS5_1ELb0ES3_jN6thrust23THRUST_200600_302600_NS6detail15normal_iteratorINSA_10device_ptrItEEEEPS6_NSA_18transform_iteratorI7is_evenItESF_NSA_11use_defaultESK_EENS0_5tupleIJSF_NSA_16discard_iteratorISK_EEEEENSM_IJSG_SG_EEES6_PlJS6_EEE10hipError_tPvRmT3_T4_T5_T6_T7_T9_mT8_P12ihipStream_tbDpT10_ENKUlT_T0_E_clISt17integral_constantIbLb0EES1B_EEDaS16_S17_EUlS16_E_NS1_11comp_targetILNS1_3genE5ELNS1_11target_archE942ELNS1_3gpuE9ELNS1_3repE0EEENS1_30default_config_static_selectorELNS0_4arch9wavefront6targetE1EEEvT1_,comdat
	.protected	_ZN7rocprim17ROCPRIM_400000_NS6detail17trampoline_kernelINS0_14default_configENS1_25partition_config_selectorILNS1_17partition_subalgoE1EtNS0_10empty_typeEbEEZZNS1_14partition_implILS5_1ELb0ES3_jN6thrust23THRUST_200600_302600_NS6detail15normal_iteratorINSA_10device_ptrItEEEEPS6_NSA_18transform_iteratorI7is_evenItESF_NSA_11use_defaultESK_EENS0_5tupleIJSF_NSA_16discard_iteratorISK_EEEEENSM_IJSG_SG_EEES6_PlJS6_EEE10hipError_tPvRmT3_T4_T5_T6_T7_T9_mT8_P12ihipStream_tbDpT10_ENKUlT_T0_E_clISt17integral_constantIbLb0EES1B_EEDaS16_S17_EUlS16_E_NS1_11comp_targetILNS1_3genE5ELNS1_11target_archE942ELNS1_3gpuE9ELNS1_3repE0EEENS1_30default_config_static_selectorELNS0_4arch9wavefront6targetE1EEEvT1_ ; -- Begin function _ZN7rocprim17ROCPRIM_400000_NS6detail17trampoline_kernelINS0_14default_configENS1_25partition_config_selectorILNS1_17partition_subalgoE1EtNS0_10empty_typeEbEEZZNS1_14partition_implILS5_1ELb0ES3_jN6thrust23THRUST_200600_302600_NS6detail15normal_iteratorINSA_10device_ptrItEEEEPS6_NSA_18transform_iteratorI7is_evenItESF_NSA_11use_defaultESK_EENS0_5tupleIJSF_NSA_16discard_iteratorISK_EEEEENSM_IJSG_SG_EEES6_PlJS6_EEE10hipError_tPvRmT3_T4_T5_T6_T7_T9_mT8_P12ihipStream_tbDpT10_ENKUlT_T0_E_clISt17integral_constantIbLb0EES1B_EEDaS16_S17_EUlS16_E_NS1_11comp_targetILNS1_3genE5ELNS1_11target_archE942ELNS1_3gpuE9ELNS1_3repE0EEENS1_30default_config_static_selectorELNS0_4arch9wavefront6targetE1EEEvT1_
	.globl	_ZN7rocprim17ROCPRIM_400000_NS6detail17trampoline_kernelINS0_14default_configENS1_25partition_config_selectorILNS1_17partition_subalgoE1EtNS0_10empty_typeEbEEZZNS1_14partition_implILS5_1ELb0ES3_jN6thrust23THRUST_200600_302600_NS6detail15normal_iteratorINSA_10device_ptrItEEEEPS6_NSA_18transform_iteratorI7is_evenItESF_NSA_11use_defaultESK_EENS0_5tupleIJSF_NSA_16discard_iteratorISK_EEEEENSM_IJSG_SG_EEES6_PlJS6_EEE10hipError_tPvRmT3_T4_T5_T6_T7_T9_mT8_P12ihipStream_tbDpT10_ENKUlT_T0_E_clISt17integral_constantIbLb0EES1B_EEDaS16_S17_EUlS16_E_NS1_11comp_targetILNS1_3genE5ELNS1_11target_archE942ELNS1_3gpuE9ELNS1_3repE0EEENS1_30default_config_static_selectorELNS0_4arch9wavefront6targetE1EEEvT1_
	.p2align	8
	.type	_ZN7rocprim17ROCPRIM_400000_NS6detail17trampoline_kernelINS0_14default_configENS1_25partition_config_selectorILNS1_17partition_subalgoE1EtNS0_10empty_typeEbEEZZNS1_14partition_implILS5_1ELb0ES3_jN6thrust23THRUST_200600_302600_NS6detail15normal_iteratorINSA_10device_ptrItEEEEPS6_NSA_18transform_iteratorI7is_evenItESF_NSA_11use_defaultESK_EENS0_5tupleIJSF_NSA_16discard_iteratorISK_EEEEENSM_IJSG_SG_EEES6_PlJS6_EEE10hipError_tPvRmT3_T4_T5_T6_T7_T9_mT8_P12ihipStream_tbDpT10_ENKUlT_T0_E_clISt17integral_constantIbLb0EES1B_EEDaS16_S17_EUlS16_E_NS1_11comp_targetILNS1_3genE5ELNS1_11target_archE942ELNS1_3gpuE9ELNS1_3repE0EEENS1_30default_config_static_selectorELNS0_4arch9wavefront6targetE1EEEvT1_,@function
_ZN7rocprim17ROCPRIM_400000_NS6detail17trampoline_kernelINS0_14default_configENS1_25partition_config_selectorILNS1_17partition_subalgoE1EtNS0_10empty_typeEbEEZZNS1_14partition_implILS5_1ELb0ES3_jN6thrust23THRUST_200600_302600_NS6detail15normal_iteratorINSA_10device_ptrItEEEEPS6_NSA_18transform_iteratorI7is_evenItESF_NSA_11use_defaultESK_EENS0_5tupleIJSF_NSA_16discard_iteratorISK_EEEEENSM_IJSG_SG_EEES6_PlJS6_EEE10hipError_tPvRmT3_T4_T5_T6_T7_T9_mT8_P12ihipStream_tbDpT10_ENKUlT_T0_E_clISt17integral_constantIbLb0EES1B_EEDaS16_S17_EUlS16_E_NS1_11comp_targetILNS1_3genE5ELNS1_11target_archE942ELNS1_3gpuE9ELNS1_3repE0EEENS1_30default_config_static_selectorELNS0_4arch9wavefront6targetE1EEEvT1_: ; @_ZN7rocprim17ROCPRIM_400000_NS6detail17trampoline_kernelINS0_14default_configENS1_25partition_config_selectorILNS1_17partition_subalgoE1EtNS0_10empty_typeEbEEZZNS1_14partition_implILS5_1ELb0ES3_jN6thrust23THRUST_200600_302600_NS6detail15normal_iteratorINSA_10device_ptrItEEEEPS6_NSA_18transform_iteratorI7is_evenItESF_NSA_11use_defaultESK_EENS0_5tupleIJSF_NSA_16discard_iteratorISK_EEEEENSM_IJSG_SG_EEES6_PlJS6_EEE10hipError_tPvRmT3_T4_T5_T6_T7_T9_mT8_P12ihipStream_tbDpT10_ENKUlT_T0_E_clISt17integral_constantIbLb0EES1B_EEDaS16_S17_EUlS16_E_NS1_11comp_targetILNS1_3genE5ELNS1_11target_archE942ELNS1_3gpuE9ELNS1_3repE0EEENS1_30default_config_static_selectorELNS0_4arch9wavefront6targetE1EEEvT1_
; %bb.0:
	s_load_dwordx2 s[4:5], s[0:1], 0x68
	s_load_dwordx4 s[12:15], s[0:1], 0x8
	s_load_dwordx2 s[6:7], s[0:1], 0x20
	s_load_dwordx4 s[20:23], s[0:1], 0x58
	s_load_dword s3, s[0:1], 0x80
	s_waitcnt lgkmcnt(0)
	v_mov_b32_e32 v3, s5
	s_lshl_b64 s[8:9], s[14:15], 1
	s_add_u32 s12, s12, s8
	s_addc_u32 s13, s13, s9
	s_add_i32 s16, s3, -1
	s_mulk_i32 s3, 0x3800
	s_add_i32 s5, s3, s14
	s_sub_i32 s33, s4, s5
	s_addk_i32 s33, 0x3800
	v_mov_b32_e32 v2, s4
	s_add_u32 s4, s14, s3
	s_addc_u32 s5, s15, 0
	s_cmp_eq_u32 s2, s16
	s_load_dwordx2 s[22:23], s[22:23], 0x0
	s_cselect_b64 s[24:25], -1, 0
	s_cmp_lg_u32 s2, s16
	s_mul_i32 s10, s2, 0x3800
	s_mov_b32 s11, 0
	v_cmp_lt_u64_e32 vcc, s[4:5], v[2:3]
	s_cselect_b64 s[4:5], -1, 0
	s_or_b64 s[26:27], s[4:5], vcc
	s_lshl_b64 s[10:11], s[10:11], 1
	s_add_u32 s12, s12, s10
	s_addc_u32 s13, s13, s11
	s_mov_b64 s[4:5], -1
	s_and_b64 vcc, exec, s[26:27]
	v_lshlrev_b32_e32 v14, 1, v0
	s_cbranch_vccz .LBB3100_2
; %bb.1:
	v_mov_b32_e32 v15, 0
	v_lshl_add_u64 v[2:3], s[12:13], 0, v[14:15]
	v_add_co_u32_e32 v4, vcc, 0x1000, v2
	s_mov_b64 s[4:5], 0
	s_nop 0
	v_addc_co_u32_e32 v5, vcc, 0, v3, vcc
	flat_load_ushort v1, v[2:3]
	flat_load_ushort v8, v[2:3] offset:1024
	flat_load_ushort v9, v[2:3] offset:2048
	;; [unrolled: 1-line block ×3, first 2 shown]
	flat_load_ushort v11, v[4:5]
	flat_load_ushort v12, v[4:5] offset:1024
	flat_load_ushort v13, v[4:5] offset:2048
	;; [unrolled: 1-line block ×3, first 2 shown]
	v_add_co_u32_e32 v4, vcc, 0x2000, v2
	s_nop 1
	v_addc_co_u32_e32 v5, vcc, 0, v3, vcc
	v_add_co_u32_e32 v6, vcc, 0x3000, v2
	s_nop 1
	v_addc_co_u32_e32 v7, vcc, 0, v3, vcc
	flat_load_ushort v16, v[4:5]
	flat_load_ushort v17, v[4:5] offset:1024
	flat_load_ushort v18, v[4:5] offset:2048
	;; [unrolled: 1-line block ×3, first 2 shown]
	flat_load_ushort v20, v[6:7]
	flat_load_ushort v21, v[6:7] offset:1024
	flat_load_ushort v22, v[6:7] offset:2048
	;; [unrolled: 1-line block ×3, first 2 shown]
	v_add_co_u32_e32 v4, vcc, 0x4000, v2
	s_nop 1
	v_addc_co_u32_e32 v5, vcc, 0, v3, vcc
	v_add_co_u32_e32 v6, vcc, 0x5000, v2
	s_nop 1
	v_addc_co_u32_e32 v7, vcc, 0, v3, vcc
	v_add_co_u32_e32 v2, vcc, 0x6000, v2
	flat_load_ushort v24, v[4:5]
	flat_load_ushort v25, v[4:5] offset:1024
	flat_load_ushort v26, v[4:5] offset:2048
	;; [unrolled: 1-line block ×3, first 2 shown]
	flat_load_ushort v28, v[6:7]
	flat_load_ushort v29, v[6:7] offset:1024
	flat_load_ushort v30, v[6:7] offset:2048
	;; [unrolled: 1-line block ×3, first 2 shown]
	v_addc_co_u32_e32 v3, vcc, 0, v3, vcc
	flat_load_ushort v4, v[2:3]
	flat_load_ushort v5, v[2:3] offset:1024
	flat_load_ushort v6, v[2:3] offset:2048
	;; [unrolled: 1-line block ×3, first 2 shown]
	s_waitcnt vmcnt(0) lgkmcnt(0)
	ds_write_b16 v14, v1
	ds_write_b16 v14, v8 offset:1024
	ds_write_b16 v14, v9 offset:2048
	;; [unrolled: 1-line block ×27, first 2 shown]
	s_waitcnt lgkmcnt(0)
	s_barrier
.LBB3100_2:
	s_andn2_b64 vcc, exec, s[4:5]
	v_cmp_gt_u32_e64 s[4:5], s33, v0
	s_cbranch_vccnz .LBB3100_60
; %bb.3:
                                        ; implicit-def: $vgpr1
	s_and_saveexec_b64 s[14:15], s[4:5]
	s_cbranch_execz .LBB3100_5
; %bb.4:
	v_mov_b32_e32 v15, 0
	v_lshl_add_u64 v[2:3], s[12:13], 0, v[14:15]
	flat_load_ushort v1, v[2:3]
.LBB3100_5:
	s_or_b64 exec, exec, s[14:15]
	v_or_b32_e32 v2, 0x200, v0
	v_cmp_gt_u32_e32 vcc, s33, v2
                                        ; implicit-def: $vgpr2
	s_and_saveexec_b64 s[4:5], vcc
	s_cbranch_execz .LBB3100_7
; %bb.6:
	v_mov_b32_e32 v15, 0
	v_lshl_add_u64 v[2:3], s[12:13], 0, v[14:15]
	flat_load_ushort v2, v[2:3] offset:1024
.LBB3100_7:
	s_or_b64 exec, exec, s[4:5]
	v_or_b32_e32 v3, 0x400, v0
	v_cmp_gt_u32_e32 vcc, s33, v3
                                        ; implicit-def: $vgpr3
	s_and_saveexec_b64 s[4:5], vcc
	s_cbranch_execz .LBB3100_9
; %bb.8:
	v_mov_b32_e32 v15, 0
	v_lshl_add_u64 v[4:5], s[12:13], 0, v[14:15]
	flat_load_ushort v3, v[4:5] offset:2048
.LBB3100_9:
	s_or_b64 exec, exec, s[4:5]
	v_or_b32_e32 v4, 0x600, v0
	v_cmp_gt_u32_e32 vcc, s33, v4
                                        ; implicit-def: $vgpr4
	s_and_saveexec_b64 s[4:5], vcc
	s_cbranch_execz .LBB3100_11
; %bb.10:
	v_mov_b32_e32 v15, 0
	v_lshl_add_u64 v[4:5], s[12:13], 0, v[14:15]
	flat_load_ushort v4, v[4:5] offset:3072
.LBB3100_11:
	s_or_b64 exec, exec, s[4:5]
	v_or_b32_e32 v6, 0x800, v0
	v_cmp_gt_u32_e32 vcc, s33, v6
                                        ; implicit-def: $vgpr5
	s_and_saveexec_b64 s[4:5], vcc
	s_cbranch_execz .LBB3100_13
; %bb.12:
	v_lshlrev_b32_e32 v6, 1, v6
	v_mov_b32_e32 v7, 0
	v_lshl_add_u64 v[6:7], s[12:13], 0, v[6:7]
	flat_load_ushort v5, v[6:7]
.LBB3100_13:
	s_or_b64 exec, exec, s[4:5]
	v_or_b32_e32 v7, 0xa00, v0
	v_cmp_gt_u32_e32 vcc, s33, v7
                                        ; implicit-def: $vgpr6
	s_and_saveexec_b64 s[4:5], vcc
	s_cbranch_execz .LBB3100_15
; %bb.14:
	v_lshlrev_b32_e32 v6, 1, v7
	v_mov_b32_e32 v7, 0
	v_lshl_add_u64 v[6:7], s[12:13], 0, v[6:7]
	flat_load_ushort v6, v[6:7]
.LBB3100_15:
	s_or_b64 exec, exec, s[4:5]
	v_or_b32_e32 v8, 0xc00, v0
	v_cmp_gt_u32_e32 vcc, s33, v8
                                        ; implicit-def: $vgpr7
	s_and_saveexec_b64 s[4:5], vcc
	s_cbranch_execz .LBB3100_17
; %bb.16:
	v_lshlrev_b32_e32 v8, 1, v8
	v_mov_b32_e32 v9, 0
	v_lshl_add_u64 v[8:9], s[12:13], 0, v[8:9]
	flat_load_ushort v7, v[8:9]
.LBB3100_17:
	s_or_b64 exec, exec, s[4:5]
	v_or_b32_e32 v9, 0xe00, v0
	v_cmp_gt_u32_e32 vcc, s33, v9
                                        ; implicit-def: $vgpr8
	s_and_saveexec_b64 s[4:5], vcc
	s_cbranch_execz .LBB3100_19
; %bb.18:
	v_lshlrev_b32_e32 v8, 1, v9
	v_mov_b32_e32 v9, 0
	v_lshl_add_u64 v[8:9], s[12:13], 0, v[8:9]
	flat_load_ushort v8, v[8:9]
.LBB3100_19:
	s_or_b64 exec, exec, s[4:5]
	v_or_b32_e32 v10, 0x1000, v0
	v_cmp_gt_u32_e32 vcc, s33, v10
                                        ; implicit-def: $vgpr9
	s_and_saveexec_b64 s[4:5], vcc
	s_cbranch_execz .LBB3100_21
; %bb.20:
	v_lshlrev_b32_e32 v10, 1, v10
	v_mov_b32_e32 v11, 0
	v_lshl_add_u64 v[10:11], s[12:13], 0, v[10:11]
	flat_load_ushort v9, v[10:11]
.LBB3100_21:
	s_or_b64 exec, exec, s[4:5]
	v_or_b32_e32 v11, 0x1200, v0
	v_cmp_gt_u32_e32 vcc, s33, v11
                                        ; implicit-def: $vgpr10
	s_and_saveexec_b64 s[4:5], vcc
	s_cbranch_execz .LBB3100_23
; %bb.22:
	v_lshlrev_b32_e32 v10, 1, v11
	v_mov_b32_e32 v11, 0
	v_lshl_add_u64 v[10:11], s[12:13], 0, v[10:11]
	flat_load_ushort v10, v[10:11]
.LBB3100_23:
	s_or_b64 exec, exec, s[4:5]
	v_or_b32_e32 v12, 0x1400, v0
	v_cmp_gt_u32_e32 vcc, s33, v12
                                        ; implicit-def: $vgpr11
	s_and_saveexec_b64 s[4:5], vcc
	s_cbranch_execz .LBB3100_25
; %bb.24:
	v_lshlrev_b32_e32 v12, 1, v12
	v_mov_b32_e32 v13, 0
	v_lshl_add_u64 v[12:13], s[12:13], 0, v[12:13]
	flat_load_ushort v11, v[12:13]
.LBB3100_25:
	s_or_b64 exec, exec, s[4:5]
	v_or_b32_e32 v13, 0x1600, v0
	v_cmp_gt_u32_e32 vcc, s33, v13
                                        ; implicit-def: $vgpr12
	s_and_saveexec_b64 s[4:5], vcc
	s_cbranch_execz .LBB3100_27
; %bb.26:
	v_lshlrev_b32_e32 v12, 1, v13
	v_mov_b32_e32 v13, 0
	v_lshl_add_u64 v[12:13], s[12:13], 0, v[12:13]
	flat_load_ushort v12, v[12:13]
.LBB3100_27:
	s_or_b64 exec, exec, s[4:5]
	v_or_b32_e32 v15, 0x1800, v0
	v_cmp_gt_u32_e32 vcc, s33, v15
                                        ; implicit-def: $vgpr13
	s_and_saveexec_b64 s[4:5], vcc
	s_cbranch_execz .LBB3100_29
; %bb.28:
	v_lshlrev_b32_e32 v16, 1, v15
	v_mov_b32_e32 v17, 0
	v_lshl_add_u64 v[16:17], s[12:13], 0, v[16:17]
	flat_load_ushort v13, v[16:17]
.LBB3100_29:
	s_or_b64 exec, exec, s[4:5]
	v_or_b32_e32 v16, 0x1a00, v0
	v_cmp_gt_u32_e32 vcc, s33, v16
                                        ; implicit-def: $vgpr15
	s_and_saveexec_b64 s[4:5], vcc
	s_cbranch_execz .LBB3100_31
; %bb.30:
	v_lshlrev_b32_e32 v16, 1, v16
	v_mov_b32_e32 v17, 0
	v_lshl_add_u64 v[16:17], s[12:13], 0, v[16:17]
	flat_load_ushort v15, v[16:17]
.LBB3100_31:
	s_or_b64 exec, exec, s[4:5]
	v_or_b32_e32 v17, 0x1c00, v0
	v_cmp_gt_u32_e32 vcc, s33, v17
                                        ; implicit-def: $vgpr16
	s_and_saveexec_b64 s[4:5], vcc
	s_cbranch_execz .LBB3100_33
; %bb.32:
	v_lshlrev_b32_e32 v16, 1, v17
	v_mov_b32_e32 v17, 0
	v_lshl_add_u64 v[16:17], s[12:13], 0, v[16:17]
	flat_load_ushort v16, v[16:17]
.LBB3100_33:
	s_or_b64 exec, exec, s[4:5]
	v_or_b32_e32 v18, 0x1e00, v0
	v_cmp_gt_u32_e32 vcc, s33, v18
                                        ; implicit-def: $vgpr17
	s_and_saveexec_b64 s[4:5], vcc
	s_cbranch_execz .LBB3100_35
; %bb.34:
	v_lshlrev_b32_e32 v18, 1, v18
	v_mov_b32_e32 v19, 0
	v_lshl_add_u64 v[18:19], s[12:13], 0, v[18:19]
	flat_load_ushort v17, v[18:19]
.LBB3100_35:
	s_or_b64 exec, exec, s[4:5]
	v_or_b32_e32 v19, 0x2000, v0
	v_cmp_gt_u32_e32 vcc, s33, v19
                                        ; implicit-def: $vgpr18
	s_and_saveexec_b64 s[4:5], vcc
	s_cbranch_execz .LBB3100_37
; %bb.36:
	v_lshlrev_b32_e32 v18, 1, v19
	v_mov_b32_e32 v19, 0
	v_lshl_add_u64 v[18:19], s[12:13], 0, v[18:19]
	flat_load_ushort v18, v[18:19]
.LBB3100_37:
	s_or_b64 exec, exec, s[4:5]
	v_or_b32_e32 v20, 0x2200, v0
	v_cmp_gt_u32_e32 vcc, s33, v20
                                        ; implicit-def: $vgpr19
	s_and_saveexec_b64 s[4:5], vcc
	s_cbranch_execz .LBB3100_39
; %bb.38:
	v_lshlrev_b32_e32 v20, 1, v20
	v_mov_b32_e32 v21, 0
	v_lshl_add_u64 v[20:21], s[12:13], 0, v[20:21]
	flat_load_ushort v19, v[20:21]
.LBB3100_39:
	s_or_b64 exec, exec, s[4:5]
	v_or_b32_e32 v21, 0x2400, v0
	v_cmp_gt_u32_e32 vcc, s33, v21
                                        ; implicit-def: $vgpr20
	s_and_saveexec_b64 s[4:5], vcc
	s_cbranch_execz .LBB3100_41
; %bb.40:
	v_lshlrev_b32_e32 v20, 1, v21
	v_mov_b32_e32 v21, 0
	v_lshl_add_u64 v[20:21], s[12:13], 0, v[20:21]
	flat_load_ushort v20, v[20:21]
.LBB3100_41:
	s_or_b64 exec, exec, s[4:5]
	v_or_b32_e32 v22, 0x2600, v0
	v_cmp_gt_u32_e32 vcc, s33, v22
                                        ; implicit-def: $vgpr21
	s_and_saveexec_b64 s[4:5], vcc
	s_cbranch_execz .LBB3100_43
; %bb.42:
	v_lshlrev_b32_e32 v22, 1, v22
	v_mov_b32_e32 v23, 0
	v_lshl_add_u64 v[22:23], s[12:13], 0, v[22:23]
	flat_load_ushort v21, v[22:23]
.LBB3100_43:
	s_or_b64 exec, exec, s[4:5]
	v_or_b32_e32 v23, 0x2800, v0
	v_cmp_gt_u32_e32 vcc, s33, v23
                                        ; implicit-def: $vgpr22
	s_and_saveexec_b64 s[4:5], vcc
	s_cbranch_execz .LBB3100_45
; %bb.44:
	v_lshlrev_b32_e32 v22, 1, v23
	v_mov_b32_e32 v23, 0
	v_lshl_add_u64 v[22:23], s[12:13], 0, v[22:23]
	flat_load_ushort v22, v[22:23]
.LBB3100_45:
	s_or_b64 exec, exec, s[4:5]
	v_or_b32_e32 v24, 0x2a00, v0
	v_cmp_gt_u32_e32 vcc, s33, v24
                                        ; implicit-def: $vgpr23
	s_and_saveexec_b64 s[4:5], vcc
	s_cbranch_execz .LBB3100_47
; %bb.46:
	v_lshlrev_b32_e32 v24, 1, v24
	v_mov_b32_e32 v25, 0
	v_lshl_add_u64 v[24:25], s[12:13], 0, v[24:25]
	flat_load_ushort v23, v[24:25]
.LBB3100_47:
	s_or_b64 exec, exec, s[4:5]
	v_or_b32_e32 v25, 0x2c00, v0
	v_cmp_gt_u32_e32 vcc, s33, v25
                                        ; implicit-def: $vgpr24
	s_and_saveexec_b64 s[4:5], vcc
	s_cbranch_execz .LBB3100_49
; %bb.48:
	v_lshlrev_b32_e32 v24, 1, v25
	v_mov_b32_e32 v25, 0
	v_lshl_add_u64 v[24:25], s[12:13], 0, v[24:25]
	flat_load_ushort v24, v[24:25]
.LBB3100_49:
	s_or_b64 exec, exec, s[4:5]
	v_or_b32_e32 v26, 0x2e00, v0
	v_cmp_gt_u32_e32 vcc, s33, v26
                                        ; implicit-def: $vgpr25
	s_and_saveexec_b64 s[4:5], vcc
	s_cbranch_execz .LBB3100_51
; %bb.50:
	v_lshlrev_b32_e32 v26, 1, v26
	v_mov_b32_e32 v27, 0
	v_lshl_add_u64 v[26:27], s[12:13], 0, v[26:27]
	flat_load_ushort v25, v[26:27]
.LBB3100_51:
	s_or_b64 exec, exec, s[4:5]
	v_or_b32_e32 v27, 0x3000, v0
	v_cmp_gt_u32_e32 vcc, s33, v27
                                        ; implicit-def: $vgpr26
	s_and_saveexec_b64 s[4:5], vcc
	s_cbranch_execz .LBB3100_53
; %bb.52:
	v_lshlrev_b32_e32 v26, 1, v27
	v_mov_b32_e32 v27, 0
	v_lshl_add_u64 v[26:27], s[12:13], 0, v[26:27]
	flat_load_ushort v26, v[26:27]
.LBB3100_53:
	s_or_b64 exec, exec, s[4:5]
	v_or_b32_e32 v28, 0x3200, v0
	v_cmp_gt_u32_e32 vcc, s33, v28
                                        ; implicit-def: $vgpr27
	s_and_saveexec_b64 s[4:5], vcc
	s_cbranch_execz .LBB3100_55
; %bb.54:
	v_lshlrev_b32_e32 v28, 1, v28
	v_mov_b32_e32 v29, 0
	v_lshl_add_u64 v[28:29], s[12:13], 0, v[28:29]
	flat_load_ushort v27, v[28:29]
.LBB3100_55:
	s_or_b64 exec, exec, s[4:5]
	v_or_b32_e32 v29, 0x3400, v0
	v_cmp_gt_u32_e32 vcc, s33, v29
                                        ; implicit-def: $vgpr28
	s_and_saveexec_b64 s[4:5], vcc
	s_cbranch_execz .LBB3100_57
; %bb.56:
	v_lshlrev_b32_e32 v28, 1, v29
	v_mov_b32_e32 v29, 0
	v_lshl_add_u64 v[28:29], s[12:13], 0, v[28:29]
	flat_load_ushort v28, v[28:29]
.LBB3100_57:
	s_or_b64 exec, exec, s[4:5]
	v_or_b32_e32 v30, 0x3600, v0
	v_cmp_gt_u32_e32 vcc, s33, v30
                                        ; implicit-def: $vgpr29
	s_and_saveexec_b64 s[4:5], vcc
	s_cbranch_execz .LBB3100_59
; %bb.58:
	v_lshlrev_b32_e32 v30, 1, v30
	v_mov_b32_e32 v31, 0
	v_lshl_add_u64 v[30:31], s[12:13], 0, v[30:31]
	flat_load_ushort v29, v[30:31]
.LBB3100_59:
	s_or_b64 exec, exec, s[4:5]
	s_waitcnt vmcnt(0) lgkmcnt(0)
	ds_write_b16 v14, v1
	ds_write_b16 v14, v2 offset:1024
	ds_write_b16 v14, v3 offset:2048
	;; [unrolled: 1-line block ×27, first 2 shown]
	s_waitcnt lgkmcnt(0)
	s_barrier
.LBB3100_60:
	v_mul_u32_u24_e32 v1, 28, v0
	v_lshlrev_b32_e32 v6, 1, v1
	s_waitcnt lgkmcnt(0)
	ds_read_b64 v[16:17], v6 offset:48
	ds_read2_b64 v[2:5], v6 offset0:4 offset1:5
	ds_read2_b64 v[10:13], v6 offset1:1
	ds_read2_b64 v[6:9], v6 offset0:2 offset1:3
	s_add_u32 s3, s6, s8
	s_addc_u32 s5, s7, s9
	s_add_u32 s4, s3, s10
	s_addc_u32 s5, s5, s11
	s_mov_b64 s[6:7], -1
	s_and_b64 vcc, exec, s[26:27]
	s_waitcnt lgkmcnt(0)
	s_barrier
	s_cbranch_vccz .LBB3100_62
; %bb.61:
	v_mov_b32_e32 v15, 0
	v_lshl_add_u64 v[18:19], s[4:5], 0, v[14:15]
	s_movk_i32 s3, 0x1000
	v_add_co_u32_e32 v20, vcc, s3, v18
	s_movk_i32 s3, 0x2000
	s_nop 0
	v_addc_co_u32_e32 v21, vcc, 0, v19, vcc
	v_add_co_u32_e32 v22, vcc, s3, v18
	s_movk_i32 s6, 0x4000
	s_nop 0
	v_addc_co_u32_e32 v23, vcc, 0, v19, vcc
	global_load_ubyte v15, v14, s[4:5]
	global_load_ubyte v24, v14, s[4:5] offset:1024
	global_load_ubyte v25, v14, s[4:5] offset:2048
	;; [unrolled: 1-line block ×3, first 2 shown]
	global_load_ubyte v27, v[20:21], off offset:1024
	global_load_ubyte v28, v[20:21], off offset:2048
	;; [unrolled: 1-line block ×3, first 2 shown]
	global_load_ubyte v30, v[22:23], off offset:-4096
	global_load_ubyte v31, v[22:23], off
	global_load_ubyte v32, v[22:23], off offset:1024
	v_add_co_u32_e32 v20, vcc, s6, v18
	s_movk_i32 s3, 0x3000
	s_nop 0
	v_addc_co_u32_e32 v21, vcc, 0, v19, vcc
	global_load_ubyte v33, v[22:23], off offset:2048
	global_load_ubyte v34, v[22:23], off offset:3072
	global_load_ubyte v35, v[20:21], off offset:-4096
	v_add_co_u32_e32 v22, vcc, s3, v18
	s_movk_i32 s6, 0x6000
	s_nop 0
	v_addc_co_u32_e32 v23, vcc, 0, v19, vcc
	global_load_ubyte v36, v[22:23], off offset:1024
	global_load_ubyte v37, v[22:23], off offset:2048
	;; [unrolled: 1-line block ×3, first 2 shown]
	global_load_ubyte v39, v[20:21], off
	v_add_co_u32_e32 v22, vcc, s6, v18
	s_movk_i32 s3, 0x5000
	s_nop 0
	v_addc_co_u32_e32 v23, vcc, 0, v19, vcc
	v_add_co_u32_e32 v18, vcc, s3, v18
	global_load_ubyte v40, v[20:21], off offset:1024
	global_load_ubyte v41, v[20:21], off offset:2048
	;; [unrolled: 1-line block ×3, first 2 shown]
	global_load_ubyte v43, v[22:23], off offset:-4096
	v_addc_co_u32_e32 v19, vcc, 0, v19, vcc
	global_load_ubyte v20, v[18:19], off offset:1024
	global_load_ubyte v21, v[18:19], off offset:2048
	;; [unrolled: 1-line block ×3, first 2 shown]
	global_load_ubyte v45, v[22:23], off
	global_load_ubyte v46, v[22:23], off offset:1024
	global_load_ubyte v47, v[22:23], off offset:2048
	;; [unrolled: 1-line block ×3, first 2 shown]
	s_mov_b64 s[6:7], 0
	s_waitcnt vmcnt(23)
	v_xor_b32_e32 v23, -1, v27
	v_xor_b32_e32 v15, -1, v15
	;; [unrolled: 1-line block ×5, first 2 shown]
	v_and_b32_e32 v15, 1, v15
	s_waitcnt vmcnt(22)
	v_xor_b32_e32 v24, -1, v28
	s_waitcnt vmcnt(21)
	v_xor_b32_e32 v25, -1, v29
	;; [unrolled: 2-line block ×12, first 2 shown]
	v_and_b32_e32 v18, 1, v18
	v_and_b32_e32 v19, 1, v19
	;; [unrolled: 1-line block ×4, first 2 shown]
	s_waitcnt vmcnt(10)
	v_xor_b32_e32 v36, -1, v40
	s_waitcnt vmcnt(9)
	v_xor_b32_e32 v37, -1, v41
	;; [unrolled: 2-line block ×11, first 2 shown]
	v_and_b32_e32 v24, 1, v24
	v_and_b32_e32 v25, 1, v25
	;; [unrolled: 1-line block ×23, first 2 shown]
	ds_write_b8 v0, v15
	ds_write_b8 v0, v18 offset:512
	ds_write_b8 v0, v19 offset:1024
	;; [unrolled: 1-line block ×27, first 2 shown]
	s_waitcnt lgkmcnt(0)
	s_barrier
.LBB3100_62:
	s_load_dwordx2 s[28:29], s[0:1], 0x78
	s_andn2_b64 vcc, exec, s[6:7]
	s_cbranch_vccnz .LBB3100_120
; %bb.63:
	v_cmp_gt_u32_e32 vcc, s33, v0
	v_mov_b32_e32 v15, 0
	v_mov_b32_e32 v18, 0
	s_and_saveexec_b64 s[6:7], vcc
	s_cbranch_execz .LBB3100_65
; %bb.64:
	global_load_ubyte v18, v14, s[4:5]
	s_waitcnt vmcnt(0)
	v_xor_b32_e32 v18, -1, v18
	v_and_b32_e32 v18, 1, v18
.LBB3100_65:
	s_or_b64 exec, exec, s[6:7]
	v_or_b32_e32 v19, 0x200, v0
	v_cmp_gt_u32_e32 vcc, s33, v19
	s_and_saveexec_b64 s[6:7], vcc
	s_cbranch_execz .LBB3100_67
; %bb.66:
	global_load_ubyte v15, v14, s[4:5] offset:1024
	s_waitcnt vmcnt(0)
	v_xor_b32_e32 v15, -1, v15
	v_and_b32_e32 v15, 1, v15
.LBB3100_67:
	s_or_b64 exec, exec, s[6:7]
	v_or_b32_e32 v19, 0x400, v0
	v_cmp_gt_u32_e32 vcc, s33, v19
	v_mov_b32_e32 v19, 0
	v_mov_b32_e32 v20, 0
	s_and_saveexec_b64 s[6:7], vcc
	s_cbranch_execz .LBB3100_69
; %bb.68:
	global_load_ubyte v20, v14, s[4:5] offset:2048
	s_waitcnt vmcnt(0)
	v_xor_b32_e32 v20, -1, v20
	v_and_b32_e32 v20, 1, v20
.LBB3100_69:
	s_or_b64 exec, exec, s[6:7]
	v_or_b32_e32 v21, 0x600, v0
	v_cmp_gt_u32_e32 vcc, s33, v21
	s_and_saveexec_b64 s[6:7], vcc
	s_cbranch_execz .LBB3100_71
; %bb.70:
	global_load_ubyte v19, v14, s[4:5] offset:3072
	s_waitcnt vmcnt(0)
	v_xor_b32_e32 v19, -1, v19
	v_and_b32_e32 v19, 1, v19
.LBB3100_71:
	s_or_b64 exec, exec, s[6:7]
	v_or_b32_e32 v23, 0x800, v0
	v_cmp_gt_u32_e32 vcc, s33, v23
	v_mov_b32_e32 v21, 0
	v_mov_b32_e32 v22, 0
	s_and_saveexec_b64 s[6:7], vcc
	s_cbranch_execz .LBB3100_73
; %bb.72:
	v_lshlrev_b32_e32 v22, 1, v23
	global_load_ubyte v22, v22, s[4:5]
	s_waitcnt vmcnt(0)
	v_xor_b32_e32 v22, -1, v22
	v_and_b32_e32 v22, 1, v22
.LBB3100_73:
	s_or_b64 exec, exec, s[6:7]
	v_or_b32_e32 v23, 0xa00, v0
	v_cmp_gt_u32_e32 vcc, s33, v23
	s_and_saveexec_b64 s[6:7], vcc
	s_cbranch_execz .LBB3100_75
; %bb.74:
	v_lshlrev_b32_e32 v21, 1, v23
	global_load_ubyte v21, v21, s[4:5]
	s_waitcnt vmcnt(0)
	v_xor_b32_e32 v21, -1, v21
	v_and_b32_e32 v21, 1, v21
.LBB3100_75:
	s_or_b64 exec, exec, s[6:7]
	v_or_b32_e32 v25, 0xc00, v0
	v_cmp_gt_u32_e32 vcc, s33, v25
	v_mov_b32_e32 v23, 0
	v_mov_b32_e32 v24, 0
	s_and_saveexec_b64 s[6:7], vcc
	s_cbranch_execz .LBB3100_77
; %bb.76:
	v_lshlrev_b32_e32 v24, 1, v25
	global_load_ubyte v24, v24, s[4:5]
	s_waitcnt vmcnt(0)
	v_xor_b32_e32 v24, -1, v24
	v_and_b32_e32 v24, 1, v24
.LBB3100_77:
	s_or_b64 exec, exec, s[6:7]
	v_or_b32_e32 v25, 0xe00, v0
	v_cmp_gt_u32_e32 vcc, s33, v25
	s_and_saveexec_b64 s[6:7], vcc
	s_cbranch_execz .LBB3100_79
; %bb.78:
	v_lshlrev_b32_e32 v23, 1, v25
	global_load_ubyte v23, v23, s[4:5]
	s_waitcnt vmcnt(0)
	v_xor_b32_e32 v23, -1, v23
	v_and_b32_e32 v23, 1, v23
.LBB3100_79:
	;; [unrolled: 26-line block ×12, first 2 shown]
	s_or_b64 exec, exec, s[6:7]
	ds_write_b8 v0, v18
	ds_write_b8 v0, v15 offset:512
	ds_write_b8 v0, v20 offset:1024
	;; [unrolled: 1-line block ×27, first 2 shown]
	s_waitcnt lgkmcnt(0)
	s_barrier
.LBB3100_120:
	s_waitcnt lgkmcnt(0)
	ds_read2_b32 v[26:27], v1 offset1:1
	ds_read2_b32 v[24:25], v1 offset0:2 offset1:3
	ds_read2_b32 v[22:23], v1 offset0:4 offset1:5
	ds_read_b32 v34, v1 offset:24
	s_cmp_lg_u32 s2, 0
	v_lshrrev_b32_e32 v61, 6, v0
	s_waitcnt lgkmcnt(2)
	v_and_b32_e32 v53, 0xff, v24
	v_lshrrev_b32_e32 v41, 24, v26
	v_bfe_u32 v59, v26, 16, 8
	v_add_u32_sdwa v18, v26, v26 dst_sel:DWORD dst_unused:UNUSED_PAD src0_sel:BYTE_1 src1_sel:BYTE_0
	v_and_b32_e32 v56, 0xff, v27
	v_bfe_u32 v57, v27, 8, 8
	v_add3_u32 v18, v18, v59, v41
	v_lshrrev_b32_e32 v40, 24, v27
	v_bfe_u32 v58, v27, 16, 8
	v_add3_u32 v18, v18, v56, v57
	v_bfe_u32 v54, v24, 8, 8
	v_add3_u32 v18, v18, v58, v40
	v_lshrrev_b32_e32 v39, 24, v24
	v_bfe_u32 v55, v24, 16, 8
	v_add3_u32 v18, v18, v53, v54
	v_and_b32_e32 v50, 0xff, v25
	v_bfe_u32 v51, v25, 8, 8
	v_add3_u32 v18, v18, v55, v39
	v_lshrrev_b32_e32 v38, 24, v25
	v_bfe_u32 v52, v25, 16, 8
	v_add3_u32 v18, v18, v50, v51
	s_waitcnt lgkmcnt(1)
	v_and_b32_e32 v47, 0xff, v22
	v_bfe_u32 v48, v22, 8, 8
	v_add3_u32 v18, v18, v52, v38
	v_lshrrev_b32_e32 v37, 24, v22
	v_bfe_u32 v49, v22, 16, 8
	v_add3_u32 v18, v18, v47, v48
	v_and_b32_e32 v44, 0xff, v23
	v_bfe_u32 v45, v23, 8, 8
	v_add3_u32 v18, v18, v49, v37
	v_lshrrev_b32_e32 v36, 24, v23
	v_bfe_u32 v46, v23, 16, 8
	v_add3_u32 v18, v18, v44, v45
	s_waitcnt lgkmcnt(0)
	v_and_b32_e32 v42, 0xff, v34
	v_bfe_u32 v43, v34, 8, 8
	v_add3_u32 v18, v18, v46, v36
	v_lshrrev_b32_e32 v15, 24, v34
	v_bfe_u32 v35, v34, 16, 8
	v_add3_u32 v18, v18, v42, v43
	v_add3_u32 v62, v18, v35, v15
	v_mbcnt_lo_u32_b32 v18, -1, 0
	v_mbcnt_hi_u32_b32 v60, -1, v18
	v_and_b32_e32 v18, 15, v60
	v_cmp_eq_u32_e64 s[14:15], 0, v18
	v_cmp_lt_u32_e64 s[12:13], 1, v18
	v_cmp_lt_u32_e64 s[10:11], 3, v18
	;; [unrolled: 1-line block ×3, first 2 shown]
	v_and_b32_e32 v18, 16, v60
	v_cmp_eq_u32_e64 s[6:7], 0, v18
	v_or_b32_e32 v18, 63, v0
	v_cmp_lt_u32_e64 s[18:19], 31, v60
	v_cmp_eq_u32_e64 s[4:5], v18, v0
	s_barrier
	s_cbranch_scc0 .LBB3100_147
; %bb.121:
	v_mov_b32_dpp v18, v62 row_shr:1 row_mask:0xf bank_mask:0xf
	v_cndmask_b32_e64 v18, v18, 0, s[14:15]
	v_add_u32_e32 v18, v18, v62
	s_nop 1
	v_mov_b32_dpp v19, v18 row_shr:2 row_mask:0xf bank_mask:0xf
	v_cndmask_b32_e64 v19, 0, v19, s[12:13]
	v_add_u32_e32 v18, v18, v19
	s_nop 1
	;; [unrolled: 4-line block ×4, first 2 shown]
	v_mov_b32_dpp v19, v18 row_bcast:15 row_mask:0xf bank_mask:0xf
	v_cndmask_b32_e64 v19, v19, 0, s[6:7]
	v_add_u32_e32 v18, v18, v19
	s_nop 1
	v_mov_b32_dpp v19, v18 row_bcast:31 row_mask:0xf bank_mask:0xf
	v_cndmask_b32_e64 v19, 0, v19, s[18:19]
	v_add_u32_e32 v18, v18, v19
	s_and_saveexec_b64 s[16:17], s[4:5]
	s_cbranch_execz .LBB3100_123
; %bb.122:
	v_lshlrev_b32_e32 v19, 2, v61
	ds_write_b32 v19, v18
.LBB3100_123:
	s_or_b64 exec, exec, s[16:17]
	v_cmp_gt_u32_e32 vcc, 8, v0
	s_waitcnt lgkmcnt(0)
	s_barrier
	s_and_saveexec_b64 s[16:17], vcc
	s_cbranch_execz .LBB3100_125
; %bb.124:
	v_lshlrev_b32_e32 v19, 2, v0
	ds_read_b32 v20, v19
	v_and_b32_e32 v21, 7, v60
	v_cmp_ne_u32_e32 vcc, 0, v21
	s_waitcnt lgkmcnt(0)
	v_mov_b32_dpp v28, v20 row_shr:1 row_mask:0xf bank_mask:0xf
	v_cndmask_b32_e32 v28, 0, v28, vcc
	v_add_u32_e32 v20, v28, v20
	v_cmp_lt_u32_e32 vcc, 1, v21
	s_nop 0
	v_mov_b32_dpp v28, v20 row_shr:2 row_mask:0xf bank_mask:0xf
	v_cndmask_b32_e32 v28, 0, v28, vcc
	v_add_u32_e32 v20, v20, v28
	v_cmp_lt_u32_e32 vcc, 3, v21
	s_nop 0
	v_mov_b32_dpp v28, v20 row_shr:4 row_mask:0xf bank_mask:0xf
	v_cndmask_b32_e32 v21, 0, v28, vcc
	v_add_u32_e32 v20, v20, v21
	ds_write_b32 v19, v20
.LBB3100_125:
	s_or_b64 exec, exec, s[16:17]
	v_cmp_gt_u32_e32 vcc, 64, v0
	v_cmp_lt_u32_e64 s[16:17], 63, v0
	s_waitcnt lgkmcnt(0)
	s_barrier
	s_waitcnt lgkmcnt(0)
                                        ; implicit-def: $vgpr63
	s_and_saveexec_b64 s[30:31], s[16:17]
	s_cbranch_execz .LBB3100_127
; %bb.126:
	v_lshl_add_u32 v19, v61, 2, -4
	ds_read_b32 v63, v19
	s_waitcnt lgkmcnt(0)
	v_add_u32_e32 v18, v63, v18
.LBB3100_127:
	s_or_b64 exec, exec, s[30:31]
	v_add_u32_e32 v19, -1, v60
	v_and_b32_e32 v20, 64, v60
	v_cmp_lt_i32_e64 s[16:17], v19, v20
	s_nop 1
	v_cndmask_b32_e64 v19, v19, v60, s[16:17]
	v_lshlrev_b32_e32 v19, 2, v19
	ds_bpermute_b32 v64, v19, v18
	v_cmp_eq_u32_e64 s[16:17], 0, v60
	s_and_saveexec_b64 s[30:31], vcc
	s_cbranch_execz .LBB3100_146
; %bb.128:
	v_mov_b32_e32 v31, 0
	ds_read_b32 v18, v31 offset:28
	s_and_saveexec_b64 s[34:35], s[16:17]
	s_cbranch_execz .LBB3100_130
; %bb.129:
	s_add_i32 s36, s2, 64
	s_mov_b32 s37, 0
	s_lshl_b64 s[36:37], s[36:37], 3
	s_add_u32 s36, s28, s36
	v_mov_b32_e32 v19, 1
	s_addc_u32 s37, s29, s37
	s_waitcnt lgkmcnt(0)
	global_store_dwordx2 v31, v[18:19], s[36:37] sc1
.LBB3100_130:
	s_or_b64 exec, exec, s[34:35]
	v_xad_u32 v20, v60, -1, s2
	v_add_u32_e32 v30, 64, v20
	v_lshl_add_u64 v[32:33], v[30:31], 3, s[28:29]
	global_load_dwordx2 v[28:29], v[32:33], off sc1
	s_waitcnt vmcnt(0)
	v_cmp_eq_u16_sdwa s[36:37], v29, v31 src0_sel:BYTE_0 src1_sel:DWORD
	s_and_saveexec_b64 s[34:35], s[36:37]
	s_cbranch_execz .LBB3100_134
; %bb.131:
	s_mov_b64 s[36:37], 0
	v_mov_b32_e32 v19, 0
.LBB3100_132:                           ; =>This Inner Loop Header: Depth=1
	global_load_dwordx2 v[28:29], v[32:33], off sc1
	s_waitcnt vmcnt(0)
	v_cmp_ne_u16_sdwa s[38:39], v29, v19 src0_sel:BYTE_0 src1_sel:DWORD
	s_or_b64 s[36:37], s[38:39], s[36:37]
	s_andn2_b64 exec, exec, s[36:37]
	s_cbranch_execnz .LBB3100_132
; %bb.133:
	s_or_b64 exec, exec, s[36:37]
.LBB3100_134:
	s_or_b64 exec, exec, s[34:35]
	v_and_b32_e32 v66, 63, v60
	v_mov_b32_e32 v65, 2
	v_cmp_ne_u32_e32 vcc, 63, v66
	v_cmp_eq_u16_sdwa s[34:35], v29, v65 src0_sel:BYTE_0 src1_sel:DWORD
	v_lshlrev_b64 v[30:31], v60, -1
	v_addc_co_u32_e32 v32, vcc, 0, v60, vcc
	v_and_b32_e32 v19, s35, v31
	v_lshlrev_b32_e32 v67, 2, v32
	v_or_b32_e32 v19, 0x80000000, v19
	ds_bpermute_b32 v32, v67, v28
	v_and_b32_e32 v21, s34, v30
	v_ffbl_b32_e32 v19, v19
	v_add_u32_e32 v19, 32, v19
	v_ffbl_b32_e32 v21, v21
	v_min_u32_e32 v19, v21, v19
	v_cmp_lt_u32_e32 vcc, v66, v19
	v_add_u32_e32 v69, 2, v66
	v_add_u32_e32 v71, 4, v66
	s_waitcnt lgkmcnt(0)
	v_cndmask_b32_e32 v21, 0, v32, vcc
	v_cmp_gt_u32_e32 vcc, 62, v66
	v_add_u32_e32 v21, v21, v28
	v_add_u32_e32 v73, 8, v66
	v_cndmask_b32_e64 v28, 0, 1, vcc
	v_lshlrev_b32_e32 v28, 1, v28
	v_add_lshl_u32 v68, v28, v60, 2
	ds_bpermute_b32 v28, v68, v21
	v_cmp_le_u32_e32 vcc, v69, v19
	v_add_u32_e32 v75, 16, v66
	v_add_u32_e32 v77, 32, v66
	s_waitcnt lgkmcnt(0)
	v_cndmask_b32_e32 v28, 0, v28, vcc
	v_cmp_gt_u32_e32 vcc, 60, v66
	v_add_u32_e32 v21, v21, v28
	s_nop 0
	v_cndmask_b32_e64 v28, 0, 1, vcc
	v_lshlrev_b32_e32 v28, 2, v28
	v_add_lshl_u32 v70, v28, v60, 2
	ds_bpermute_b32 v28, v70, v21
	v_cmp_le_u32_e32 vcc, v71, v19
	s_waitcnt lgkmcnt(0)
	s_nop 0
	v_cndmask_b32_e32 v28, 0, v28, vcc
	v_cmp_gt_u32_e32 vcc, 56, v66
	v_add_u32_e32 v21, v21, v28
	s_nop 0
	v_cndmask_b32_e64 v28, 0, 1, vcc
	v_lshlrev_b32_e32 v28, 3, v28
	v_add_lshl_u32 v72, v28, v60, 2
	ds_bpermute_b32 v28, v72, v21
	v_cmp_le_u32_e32 vcc, v73, v19
	s_waitcnt lgkmcnt(0)
	s_nop 0
	;; [unrolled: 11-line block ×4, first 2 shown]
	v_cndmask_b32_e32 v19, 0, v28, vcc
	v_add_u32_e32 v28, v21, v19
	v_mov_b32_e32 v21, 0
	s_branch .LBB3100_136
.LBB3100_135:                           ;   in Loop: Header=BB3100_136 Depth=1
	s_or_b64 exec, exec, s[34:35]
	v_cmp_eq_u16_sdwa s[34:35], v29, v65 src0_sel:BYTE_0 src1_sel:DWORD
	ds_bpermute_b32 v78, v67, v28
	v_subrev_u32_e32 v20, 64, v20
	v_and_b32_e32 v32, s35, v31
	v_or_b32_e32 v32, 0x80000000, v32
	v_and_b32_e32 v33, s34, v30
	v_ffbl_b32_e32 v32, v32
	v_add_u32_e32 v32, 32, v32
	v_ffbl_b32_e32 v33, v33
	v_min_u32_e32 v32, v33, v32
	v_cmp_lt_u32_e32 vcc, v66, v32
	s_waitcnt lgkmcnt(0)
	s_nop 0
	v_cndmask_b32_e32 v33, 0, v78, vcc
	v_add_u32_e32 v28, v33, v28
	ds_bpermute_b32 v33, v68, v28
	v_cmp_le_u32_e32 vcc, v69, v32
	s_waitcnt lgkmcnt(0)
	s_nop 0
	v_cndmask_b32_e32 v33, 0, v33, vcc
	v_add_u32_e32 v28, v28, v33
	ds_bpermute_b32 v33, v70, v28
	v_cmp_le_u32_e32 vcc, v71, v32
	;; [unrolled: 6-line block ×5, first 2 shown]
	s_waitcnt lgkmcnt(0)
	s_nop 0
	v_cndmask_b32_e32 v32, 0, v33, vcc
	v_add3_u32 v28, v32, v19, v28
.LBB3100_136:                           ; =>This Loop Header: Depth=1
                                        ;     Child Loop BB3100_139 Depth 2
	v_cmp_ne_u16_sdwa s[34:35], v29, v65 src0_sel:BYTE_0 src1_sel:DWORD
	s_nop 1
	v_cndmask_b32_e64 v19, 0, 1, s[34:35]
	;;#ASMSTART
	;;#ASMEND
	s_nop 0
	v_cmp_ne_u32_e32 vcc, 0, v19
	s_cmp_lg_u64 vcc, exec
	v_mov_b32_e32 v19, v28
	s_cbranch_scc1 .LBB3100_141
; %bb.137:                              ;   in Loop: Header=BB3100_136 Depth=1
	v_lshl_add_u64 v[32:33], v[20:21], 3, s[28:29]
	global_load_dwordx2 v[28:29], v[32:33], off sc1
	s_waitcnt vmcnt(0)
	v_cmp_eq_u16_sdwa s[36:37], v29, v21 src0_sel:BYTE_0 src1_sel:DWORD
	s_and_saveexec_b64 s[34:35], s[36:37]
	s_cbranch_execz .LBB3100_135
; %bb.138:                              ;   in Loop: Header=BB3100_136 Depth=1
	s_mov_b64 s[36:37], 0
.LBB3100_139:                           ;   Parent Loop BB3100_136 Depth=1
                                        ; =>  This Inner Loop Header: Depth=2
	global_load_dwordx2 v[28:29], v[32:33], off sc1
	s_waitcnt vmcnt(0)
	v_cmp_ne_u16_sdwa s[38:39], v29, v21 src0_sel:BYTE_0 src1_sel:DWORD
	s_or_b64 s[36:37], s[38:39], s[36:37]
	s_andn2_b64 exec, exec, s[36:37]
	s_cbranch_execnz .LBB3100_139
; %bb.140:                              ;   in Loop: Header=BB3100_136 Depth=1
	s_or_b64 exec, exec, s[36:37]
	s_branch .LBB3100_135
.LBB3100_141:                           ;   in Loop: Header=BB3100_136 Depth=1
                                        ; implicit-def: $vgpr28
                                        ; implicit-def: $vgpr29
	s_cbranch_execz .LBB3100_136
; %bb.142:
	s_and_saveexec_b64 s[34:35], s[16:17]
	s_cbranch_execz .LBB3100_144
; %bb.143:
	s_add_i32 s2, s2, 64
	s_mov_b32 s3, 0
	s_lshl_b64 s[2:3], s[2:3], 3
	s_add_u32 s2, s28, s2
	v_add_u32_e32 v20, v19, v18
	v_mov_b32_e32 v21, 2
	s_addc_u32 s3, s29, s3
	v_mov_b32_e32 v28, 0
	global_store_dwordx2 v28, v[20:21], s[2:3] sc1
	ds_write_b64 v28, v[18:19] offset:28672
.LBB3100_144:
	s_or_b64 exec, exec, s[34:35]
	v_cmp_eq_u32_e32 vcc, 0, v0
	s_and_b64 exec, exec, vcc
	s_cbranch_execz .LBB3100_146
; %bb.145:
	v_mov_b32_e32 v18, 0
	ds_write_b32 v18, v19 offset:28
.LBB3100_146:
	s_or_b64 exec, exec, s[30:31]
	v_mov_b32_e32 v18, 0
	s_waitcnt lgkmcnt(0)
	s_barrier
	ds_read_b32 v21, v18 offset:28
	s_waitcnt lgkmcnt(0)
	s_barrier
	ds_read_b64 v[18:19], v18 offset:28672
	v_cndmask_b32_e64 v20, v64, v63, s[16:17]
	v_cmp_ne_u32_e32 vcc, 0, v0
	s_nop 1
	v_cndmask_b32_e32 v20, 0, v20, vcc
	v_add_u32_e32 v32, v21, v20
	s_waitcnt lgkmcnt(0)
	v_mov_b32_e32 v20, v19
	s_load_dwordx2 s[2:3], s[0:1], 0x30
	s_branch .LBB3100_157
.LBB3100_147:
                                        ; implicit-def: $vgpr20
                                        ; implicit-def: $vgpr18
                                        ; implicit-def: $vgpr32
	s_load_dwordx2 s[2:3], s[0:1], 0x30
	s_cbranch_execz .LBB3100_157
; %bb.148:
	v_mov_b32_dpp v18, v62 row_shr:1 row_mask:0xf bank_mask:0xf
	v_cndmask_b32_e64 v18, v18, 0, s[14:15]
	v_add_u32_e32 v18, v18, v62
	s_nop 1
	v_mov_b32_dpp v19, v18 row_shr:2 row_mask:0xf bank_mask:0xf
	v_cndmask_b32_e64 v19, 0, v19, s[12:13]
	v_add_u32_e32 v18, v18, v19
	s_nop 1
	;; [unrolled: 4-line block ×4, first 2 shown]
	v_mov_b32_dpp v19, v18 row_bcast:15 row_mask:0xf bank_mask:0xf
	v_cndmask_b32_e64 v19, v19, 0, s[6:7]
	v_add_u32_e32 v18, v18, v19
	s_nop 1
	v_mov_b32_dpp v19, v18 row_bcast:31 row_mask:0xf bank_mask:0xf
	v_cndmask_b32_e64 v19, 0, v19, s[18:19]
	v_add_u32_e32 v18, v18, v19
	s_and_saveexec_b64 s[0:1], s[4:5]
	s_cbranch_execz .LBB3100_150
; %bb.149:
	v_lshlrev_b32_e32 v19, 2, v61
	ds_write_b32 v19, v18
.LBB3100_150:
	s_or_b64 exec, exec, s[0:1]
	v_cmp_gt_u32_e32 vcc, 8, v0
	s_waitcnt lgkmcnt(0)
	s_barrier
	s_and_saveexec_b64 s[0:1], vcc
	s_cbranch_execz .LBB3100_152
; %bb.151:
	v_lshlrev_b32_e32 v19, 2, v0
	ds_read_b32 v20, v19
	v_and_b32_e32 v21, 7, v60
	v_cmp_ne_u32_e32 vcc, 0, v21
	s_waitcnt lgkmcnt(0)
	v_mov_b32_dpp v28, v20 row_shr:1 row_mask:0xf bank_mask:0xf
	v_cndmask_b32_e32 v28, 0, v28, vcc
	v_add_u32_e32 v20, v28, v20
	v_cmp_lt_u32_e32 vcc, 1, v21
	s_nop 0
	v_mov_b32_dpp v28, v20 row_shr:2 row_mask:0xf bank_mask:0xf
	v_cndmask_b32_e32 v28, 0, v28, vcc
	v_add_u32_e32 v20, v20, v28
	v_cmp_lt_u32_e32 vcc, 3, v21
	s_nop 0
	v_mov_b32_dpp v28, v20 row_shr:4 row_mask:0xf bank_mask:0xf
	v_cndmask_b32_e32 v21, 0, v28, vcc
	v_add_u32_e32 v20, v20, v21
	ds_write_b32 v19, v20
.LBB3100_152:
	s_or_b64 exec, exec, s[0:1]
	v_cmp_lt_u32_e32 vcc, 63, v0
	v_mov_b32_e32 v19, 0
	v_mov_b32_e32 v20, 0
	s_waitcnt lgkmcnt(0)
	s_barrier
	s_and_saveexec_b64 s[0:1], vcc
	s_cbranch_execz .LBB3100_154
; %bb.153:
	v_lshl_add_u32 v20, v61, 2, -4
	ds_read_b32 v20, v20
.LBB3100_154:
	s_or_b64 exec, exec, s[0:1]
	v_add_u32_e32 v21, -1, v60
	v_and_b32_e32 v28, 64, v60
	v_cmp_lt_i32_e32 vcc, v21, v28
	s_waitcnt lgkmcnt(0)
	v_add_u32_e32 v18, v20, v18
	v_cndmask_b32_e32 v21, v21, v60, vcc
	v_lshlrev_b32_e32 v21, 2, v21
	ds_bpermute_b32 v21, v21, v18
	ds_read_b32 v18, v19 offset:28
	v_cmp_eq_u32_e32 vcc, 0, v0
	s_and_saveexec_b64 s[0:1], vcc
	s_cbranch_execz .LBB3100_156
; %bb.155:
	v_mov_b32_e32 v28, 0
	v_mov_b32_e32 v19, 2
	s_waitcnt lgkmcnt(0)
	global_store_dwordx2 v28, v[18:19], s[28:29] offset:512 sc1
.LBB3100_156:
	s_or_b64 exec, exec, s[0:1]
	v_cmp_eq_u32_e64 s[0:1], 0, v60
	s_waitcnt lgkmcnt(0)
	s_barrier
	v_cndmask_b32_e64 v19, v21, v20, s[0:1]
	v_mov_b32_e32 v20, 0
	v_cndmask_b32_e64 v32, v19, 0, vcc
.LBB3100_157:
	v_add_u32_sdwa v60, v32, v26 dst_sel:DWORD dst_unused:UNUSED_PAD src0_sel:DWORD src1_sel:BYTE_0
	v_add_u32_e32 v1, v18, v1
	v_sub_u32_e32 v32, v32, v20
	v_and_b32_e32 v69, 1, v26
	v_sub_u32_e32 v68, v1, v32
	v_cmp_eq_u32_e32 vcc, 1, v69
	v_lshrrev_b32_e32 v33, 8, v26
	v_add_u32_sdwa v61, v60, v26 dst_sel:DWORD dst_unused:UNUSED_PAD src0_sel:DWORD src1_sel:BYTE_1
	v_cndmask_b32_e32 v32, v68, v32, vcc
	v_lshlrev_b32_e32 v32, 1, v32
	ds_write_b16 v32, v10
	v_sub_u32_e32 v32, v60, v20
	v_sub_u32_e32 v60, v1, v32
	v_and_b32_e32 v33, 1, v33
	v_add_u32_e32 v60, 1, v60
	v_cmp_eq_u32_e32 vcc, 1, v33
	v_mov_b32_e32 v33, 1
	v_and_b32_sdwa v26, v33, v26 dst_sel:DWORD dst_unused:UNUSED_PAD src0_sel:DWORD src1_sel:WORD_1
	v_cndmask_b32_e32 v32, v60, v32, vcc
	v_lshlrev_b32_e32 v32, 1, v32
	ds_write_b16_d16_hi v32, v10
	v_sub_u32_e32 v10, v61, v20
	v_sub_u32_e32 v32, v1, v10
	v_add_u32_e32 v32, 2, v32
	v_cmp_eq_u32_e32 vcc, 1, v26
	v_add_u32_e32 v59, v61, v59
	v_add_u32_e32 v62, v59, v41
	v_cndmask_b32_e32 v10, v32, v10, vcc
	v_lshlrev_b32_e32 v10, 1, v10
	ds_write_b16 v10, v11
	v_sub_u32_e32 v10, v59, v20
	v_sub_u32_e32 v26, v1, v10
	v_and_b32_e32 v32, 1, v41
	v_add_u32_e32 v26, 3, v26
	v_cmp_eq_u32_e32 vcc, 1, v32
	v_add_u32_e32 v56, v62, v56
	v_lshrrev_b32_e32 v31, 8, v27
	v_cndmask_b32_e32 v10, v26, v10, vcc
	v_lshlrev_b32_e32 v10, 1, v10
	ds_write_b16_d16_hi v10, v11
	v_sub_u32_e32 v10, v62, v20
	v_sub_u32_e32 v11, v1, v10
	v_and_b32_e32 v26, 1, v27
	v_add_u32_e32 v11, 4, v11
	v_cmp_eq_u32_e32 vcc, 1, v26
	v_and_b32_e32 v26, 1, v31
	v_add_u32_e32 v57, v56, v57
	v_cndmask_b32_e32 v10, v11, v10, vcc
	v_lshlrev_b32_e32 v10, 1, v10
	ds_write_b16 v10, v12
	v_sub_u32_e32 v10, v56, v20
	v_sub_u32_e32 v11, v1, v10
	v_add_u32_e32 v11, 5, v11
	v_cmp_eq_u32_e32 vcc, 1, v26
	v_add_u32_e32 v58, v57, v58
	v_add_u32_e32 v63, v58, v40
	v_cndmask_b32_e32 v10, v11, v10, vcc
	v_lshlrev_b32_e32 v10, 1, v10
	ds_write_b16_d16_hi v10, v12
	v_sub_u32_e32 v10, v57, v20
	v_sub_u32_e32 v11, v1, v10
	v_and_b32_sdwa v12, v33, v27 dst_sel:DWORD dst_unused:UNUSED_PAD src0_sel:DWORD src1_sel:WORD_1
	v_add_u32_e32 v11, 6, v11
	v_cmp_eq_u32_e32 vcc, 1, v12
	v_and_b32_e32 v12, 1, v40
	v_add_u32_e32 v53, v63, v53
	v_cndmask_b32_e32 v10, v11, v10, vcc
	v_lshlrev_b32_e32 v10, 1, v10
	ds_write_b16 v10, v13
	v_sub_u32_e32 v10, v58, v20
	v_sub_u32_e32 v11, v1, v10
	v_add_u32_e32 v11, 7, v11
	v_cmp_eq_u32_e32 vcc, 1, v12
	v_and_b32_e32 v12, 1, v24
	v_lshrrev_b32_e32 v30, 8, v24
	v_cndmask_b32_e32 v10, v11, v10, vcc
	v_lshlrev_b32_e32 v10, 1, v10
	ds_write_b16_d16_hi v10, v13
	v_sub_u32_e32 v10, v63, v20
	v_sub_u32_e32 v11, v1, v10
	v_add_u32_e32 v11, 8, v11
	v_cmp_eq_u32_e32 vcc, 1, v12
	v_and_b32_e32 v12, 1, v30
	v_add_u32_e32 v54, v53, v54
	v_cndmask_b32_e32 v10, v11, v10, vcc
	v_lshlrev_b32_e32 v10, 1, v10
	ds_write_b16 v10, v6
	v_sub_u32_e32 v10, v53, v20
	v_sub_u32_e32 v11, v1, v10
	v_add_u32_e32 v11, 9, v11
	v_cmp_eq_u32_e32 vcc, 1, v12
	v_add_u32_e32 v55, v54, v55
	v_add_u32_e32 v64, v55, v39
	v_cndmask_b32_e32 v10, v11, v10, vcc
	v_lshlrev_b32_e32 v10, 1, v10
	ds_write_b16_d16_hi v10, v6
	v_sub_u32_e32 v6, v54, v20
	v_sub_u32_e32 v10, v1, v6
	v_and_b32_sdwa v11, v33, v24 dst_sel:DWORD dst_unused:UNUSED_PAD src0_sel:DWORD src1_sel:WORD_1
	v_add_u32_e32 v10, 10, v10
	v_cmp_eq_u32_e32 vcc, 1, v11
	v_and_b32_e32 v11, 1, v39
	v_add_u32_e32 v50, v64, v50
	v_cndmask_b32_e32 v6, v10, v6, vcc
	v_lshlrev_b32_e32 v6, 1, v6
	ds_write_b16 v6, v7
	v_sub_u32_e32 v6, v55, v20
	v_sub_u32_e32 v10, v1, v6
	v_add_u32_e32 v10, 11, v10
	v_cmp_eq_u32_e32 vcc, 1, v11
	v_lshrrev_b32_e32 v29, 8, v25
	v_add_u32_e32 v51, v50, v51
	v_cndmask_b32_e32 v6, v10, v6, vcc
	v_lshlrev_b32_e32 v6, 1, v6
	ds_write_b16_d16_hi v6, v7
	v_sub_u32_e32 v6, v64, v20
	v_sub_u32_e32 v7, v1, v6
	v_and_b32_e32 v10, 1, v25
	v_add_u32_e32 v7, 12, v7
	v_cmp_eq_u32_e32 vcc, 1, v10
	v_and_b32_e32 v10, 1, v29
	v_add_u32_e32 v52, v51, v52
	v_cndmask_b32_e32 v6, v7, v6, vcc
	v_lshlrev_b32_e32 v6, 1, v6
	ds_write_b16 v6, v8
	v_sub_u32_e32 v6, v50, v20
	v_sub_u32_e32 v7, v1, v6
	v_add_u32_e32 v7, 13, v7
	v_cmp_eq_u32_e32 vcc, 1, v10
	v_add_u32_e32 v65, v52, v38
	v_add_u32_e32 v47, v65, v47
	v_cndmask_b32_e32 v6, v7, v6, vcc
	v_lshlrev_b32_e32 v6, 1, v6
	ds_write_b16_d16_hi v6, v8
	v_sub_u32_e32 v6, v51, v20
	v_sub_u32_e32 v7, v1, v6
	v_and_b32_sdwa v8, v33, v25 dst_sel:DWORD dst_unused:UNUSED_PAD src0_sel:DWORD src1_sel:WORD_1
	v_add_u32_e32 v7, 14, v7
	v_cmp_eq_u32_e32 vcc, 1, v8
	v_and_b32_e32 v8, 1, v38
	v_lshrrev_b32_e32 v28, 8, v22
	v_cndmask_b32_e32 v6, v7, v6, vcc
	v_lshlrev_b32_e32 v6, 1, v6
	ds_write_b16 v6, v9
	v_sub_u32_e32 v6, v52, v20
	v_sub_u32_e32 v7, v1, v6
	v_add_u32_e32 v7, 15, v7
	v_cmp_eq_u32_e32 vcc, 1, v8
	v_and_b32_e32 v8, 1, v22
	v_add_u32_e32 v48, v47, v48
	v_cndmask_b32_e32 v6, v7, v6, vcc
	v_lshlrev_b32_e32 v6, 1, v6
	ds_write_b16_d16_hi v6, v9
	v_sub_u32_e32 v6, v65, v20
	v_sub_u32_e32 v7, v1, v6
	v_add_u32_e32 v7, 16, v7
	v_cmp_eq_u32_e32 vcc, 1, v8
	v_and_b32_e32 v8, 1, v28
	v_add_u32_e32 v49, v48, v49
	v_cndmask_b32_e32 v6, v7, v6, vcc
	v_lshlrev_b32_e32 v6, 1, v6
	ds_write_b16 v6, v2
	v_sub_u32_e32 v6, v47, v20
	v_sub_u32_e32 v7, v1, v6
	v_add_u32_e32 v7, 17, v7
	v_cmp_eq_u32_e32 vcc, 1, v8
	v_add_u32_e32 v66, v49, v37
	v_add_u32_e32 v44, v66, v44
	v_cndmask_b32_e32 v6, v7, v6, vcc
	v_lshlrev_b32_e32 v6, 1, v6
	ds_write_b16_d16_hi v6, v2
	v_sub_u32_e32 v2, v48, v20
	v_sub_u32_e32 v6, v1, v2
	v_and_b32_sdwa v7, v33, v22 dst_sel:DWORD dst_unused:UNUSED_PAD src0_sel:DWORD src1_sel:WORD_1
	v_add_u32_e32 v6, 18, v6
	v_cmp_eq_u32_e32 vcc, 1, v7
	v_and_b32_e32 v7, 1, v37
	v_lshrrev_b32_e32 v21, 8, v23
	v_cndmask_b32_e32 v2, v6, v2, vcc
	v_lshlrev_b32_e32 v2, 1, v2
	ds_write_b16 v2, v3
	v_sub_u32_e32 v2, v49, v20
	v_sub_u32_e32 v6, v1, v2
	v_add_u32_e32 v6, 19, v6
	v_cmp_eq_u32_e32 vcc, 1, v7
	v_add_u32_e32 v45, v44, v45
	v_add_u32_e32 v46, v45, v46
	v_cndmask_b32_e32 v2, v6, v2, vcc
	v_lshlrev_b32_e32 v2, 1, v2
	ds_write_b16_d16_hi v2, v3
	v_sub_u32_e32 v2, v66, v20
	v_sub_u32_e32 v3, v1, v2
	v_and_b32_e32 v6, 1, v23
	v_add_u32_e32 v3, 20, v3
	v_cmp_eq_u32_e32 vcc, 1, v6
	v_and_b32_e32 v6, 1, v21
	v_add_u32_e32 v67, v46, v36
	v_cndmask_b32_e32 v2, v3, v2, vcc
	v_lshlrev_b32_e32 v2, 1, v2
	ds_write_b16 v2, v4
	v_sub_u32_e32 v2, v44, v20
	v_sub_u32_e32 v3, v1, v2
	v_add_u32_e32 v3, 21, v3
	v_cmp_eq_u32_e32 vcc, 1, v6
	v_add_u32_e32 v42, v67, v42
	v_lshrrev_b32_e32 v19, 8, v34
	v_cndmask_b32_e32 v2, v3, v2, vcc
	v_lshlrev_b32_e32 v2, 1, v2
	ds_write_b16_d16_hi v2, v4
	v_sub_u32_e32 v2, v45, v20
	v_sub_u32_e32 v3, v1, v2
	v_and_b32_sdwa v4, v33, v23 dst_sel:DWORD dst_unused:UNUSED_PAD src0_sel:DWORD src1_sel:WORD_1
	v_add_u32_e32 v3, 22, v3
	v_cmp_eq_u32_e32 vcc, 1, v4
	v_and_b32_e32 v4, 1, v36
	v_add_u32_e32 v43, v42, v43
	v_cndmask_b32_e32 v2, v3, v2, vcc
	v_lshlrev_b32_e32 v2, 1, v2
	ds_write_b16 v2, v5
	v_sub_u32_e32 v2, v46, v20
	v_sub_u32_e32 v3, v1, v2
	v_add_u32_e32 v3, 23, v3
	v_cmp_eq_u32_e32 vcc, 1, v4
	v_and_b32_e32 v4, 1, v34
	v_or_b32_e32 v59, 0x200, v0
	v_cndmask_b32_e32 v2, v3, v2, vcc
	v_lshlrev_b32_e32 v2, 1, v2
	ds_write_b16_d16_hi v2, v5
	v_sub_u32_e32 v2, v67, v20
	v_sub_u32_e32 v3, v1, v2
	v_add_u32_e32 v3, 24, v3
	v_cmp_eq_u32_e32 vcc, 1, v4
	v_and_b32_e32 v4, 1, v19
	v_or_b32_e32 v57, 0x400, v0
	v_cndmask_b32_e32 v2, v3, v2, vcc
	v_lshlrev_b32_e32 v2, 1, v2
	ds_write_b16 v2, v16
	v_sub_u32_e32 v2, v42, v20
	v_sub_u32_e32 v3, v1, v2
	v_add_u32_e32 v3, 25, v3
	v_cmp_eq_u32_e32 vcc, 1, v4
	v_and_b32_sdwa v4, v33, v34 dst_sel:DWORD dst_unused:UNUSED_PAD src0_sel:DWORD src1_sel:WORD_1
	v_or_b32_e32 v55, 0x600, v0
	v_cndmask_b32_e32 v2, v3, v2, vcc
	v_lshlrev_b32_e32 v2, 1, v2
	ds_write_b16_d16_hi v2, v16
	v_sub_u32_e32 v2, v43, v20
	v_sub_u32_e32 v3, v1, v2
	v_add_u32_e32 v3, 26, v3
	v_cmp_eq_u32_e32 vcc, 1, v4
	v_or_b32_e32 v53, 0x800, v0
	v_or_b32_e32 v51, 0xa00, v0
	v_cndmask_b32_e32 v2, v3, v2, vcc
	v_lshlrev_b32_e32 v2, 1, v2
	ds_write_b16 v2, v17
	v_sub_u32_e32 v2, v35, v20
	v_add_u32_e32 v2, v43, v2
	v_sub_u32_e32 v1, v1, v2
	v_and_b32_e32 v3, 1, v15
	v_add_u32_e32 v1, 27, v1
	v_cmp_eq_u32_e32 vcc, 1, v3
	v_or_b32_e32 v49, 0xc00, v0
	v_or_b32_e32 v46, 0xe00, v0
	v_cndmask_b32_e32 v1, v1, v2, vcc
	v_lshlrev_b32_e32 v1, 1, v1
	ds_write_b16_d16_hi v1, v17
	s_waitcnt lgkmcnt(0)
	s_barrier
	ds_read_u16 v61, v14
	ds_read_u16 v60, v14 offset:1024
	ds_read_u16 v58, v14 offset:2048
	ds_read_u16 v56, v14 offset:3072
	ds_read_u16 v54, v14 offset:4096
	ds_read_u16 v52, v14 offset:5120
	ds_read_u16 v50, v14 offset:6144
	ds_read_u16 v47, v14 offset:7168
	ds_read_u16 v48, v14 offset:8192
	ds_read_u16 v44, v14 offset:9216
	ds_read_u16 v42, v14 offset:10240
	ds_read_u16 v40, v14 offset:11264
	ds_read_u16 v38, v14 offset:12288
	ds_read_u16 v36, v14 offset:13312
	ds_read_u16 v34, v14 offset:14336
	ds_read_u16 v31, v14 offset:15360
	ds_read_u16 v32, v14 offset:16384
	ds_read_u16 v28, v14 offset:17408
	ds_read_u16 v26, v14 offset:18432
	ds_read_u16 v24, v14 offset:19456
	ds_read_u16 v22, v14 offset:20480
	ds_read_u16 v17, v14 offset:21504
	ds_read_u16 v15, v14 offset:22528
	ds_read_u16 v12, v14 offset:23552
	ds_read_u16 v9, v14 offset:24576
	ds_read_u16 v7, v14 offset:25600
	ds_read_u16 v5, v14 offset:26624
	ds_read_u16 v1, v14 offset:27648
	v_or_b32_e32 v45, 0x1000, v0
	v_or_b32_e32 v43, 0x1200, v0
	v_or_b32_e32 v41, 0x1400, v0
	v_or_b32_e32 v39, 0x1600, v0
	v_or_b32_e32 v37, 0x1800, v0
	v_or_b32_e32 v35, 0x1a00, v0
	v_or_b32_e32 v33, 0x1c00, v0
	v_or_b32_e32 v30, 0x1e00, v0
	v_or_b32_e32 v29, 0x2000, v0
	v_or_b32_e32 v27, 0x2200, v0
	v_or_b32_e32 v25, 0x2400, v0
	v_or_b32_e32 v23, 0x2600, v0
	v_or_b32_e32 v19, 0x2800, v0
	v_or_b32_e32 v16, 0x2a00, v0
	v_or_b32_e32 v13, 0x2c00, v0
	v_or_b32_e32 v11, 0x2e00, v0
	v_or_b32_e32 v10, 0x3000, v0
	v_or_b32_e32 v8, 0x3200, v0
	v_or_b32_e32 v6, 0x3400, v0
	s_andn2_b64 vcc, exec, s[26:27]
	v_or_b32_e32 v4, 0x3600, v0
	s_cbranch_vccnz .LBB3100_187
; %bb.158:
	s_lshl_b64 s[0:1], s[22:23], 1
	v_mov_b32_e32 v21, 0
	s_add_u32 s0, s2, s0
	s_addc_u32 s1, s3, s1
	v_lshlrev_b64 v[2:3], 1, v[20:21]
	v_lshl_add_u64 v[2:3], s[0:1], 0, v[2:3]
	v_cmp_lt_u32_e32 vcc, v0, v18
	s_and_saveexec_b64 s[0:1], vcc
	s_cbranch_execnz .LBB3100_222
; %bb.159:
	s_or_b64 exec, exec, s[0:1]
	v_cmp_lt_u32_e32 vcc, v59, v18
	s_and_saveexec_b64 s[0:1], vcc
	s_cbranch_execnz .LBB3100_223
.LBB3100_160:
	s_or_b64 exec, exec, s[0:1]
	v_cmp_lt_u32_e32 vcc, v57, v18
	s_and_saveexec_b64 s[0:1], vcc
	s_cbranch_execnz .LBB3100_224
.LBB3100_161:
	s_or_b64 exec, exec, s[0:1]
	v_cmp_lt_u32_e32 vcc, v55, v18
	s_and_saveexec_b64 s[0:1], vcc
	s_cbranch_execnz .LBB3100_225
.LBB3100_162:
	s_or_b64 exec, exec, s[0:1]
	v_cmp_lt_u32_e32 vcc, v53, v18
	s_and_saveexec_b64 s[0:1], vcc
	s_cbranch_execnz .LBB3100_226
.LBB3100_163:
	s_or_b64 exec, exec, s[0:1]
	v_cmp_lt_u32_e32 vcc, v51, v18
	s_and_saveexec_b64 s[0:1], vcc
	s_cbranch_execnz .LBB3100_227
.LBB3100_164:
	s_or_b64 exec, exec, s[0:1]
	v_cmp_lt_u32_e32 vcc, v49, v18
	s_and_saveexec_b64 s[0:1], vcc
	s_cbranch_execnz .LBB3100_228
.LBB3100_165:
	s_or_b64 exec, exec, s[0:1]
	v_cmp_lt_u32_e32 vcc, v46, v18
	s_and_saveexec_b64 s[0:1], vcc
	s_cbranch_execnz .LBB3100_229
.LBB3100_166:
	s_or_b64 exec, exec, s[0:1]
	v_cmp_lt_u32_e32 vcc, v45, v18
	s_and_saveexec_b64 s[0:1], vcc
	s_cbranch_execnz .LBB3100_230
.LBB3100_167:
	s_or_b64 exec, exec, s[0:1]
	v_cmp_lt_u32_e32 vcc, v43, v18
	s_and_saveexec_b64 s[0:1], vcc
	s_cbranch_execnz .LBB3100_231
.LBB3100_168:
	s_or_b64 exec, exec, s[0:1]
	v_cmp_lt_u32_e32 vcc, v41, v18
	s_and_saveexec_b64 s[0:1], vcc
	s_cbranch_execnz .LBB3100_232
.LBB3100_169:
	s_or_b64 exec, exec, s[0:1]
	v_cmp_lt_u32_e32 vcc, v39, v18
	s_and_saveexec_b64 s[0:1], vcc
	s_cbranch_execnz .LBB3100_233
.LBB3100_170:
	s_or_b64 exec, exec, s[0:1]
	v_cmp_lt_u32_e32 vcc, v37, v18
	s_and_saveexec_b64 s[0:1], vcc
	s_cbranch_execnz .LBB3100_234
.LBB3100_171:
	s_or_b64 exec, exec, s[0:1]
	v_cmp_lt_u32_e32 vcc, v35, v18
	s_and_saveexec_b64 s[0:1], vcc
	s_cbranch_execnz .LBB3100_235
.LBB3100_172:
	s_or_b64 exec, exec, s[0:1]
	v_cmp_lt_u32_e32 vcc, v33, v18
	s_and_saveexec_b64 s[0:1], vcc
	s_cbranch_execnz .LBB3100_236
.LBB3100_173:
	s_or_b64 exec, exec, s[0:1]
	v_cmp_lt_u32_e32 vcc, v30, v18
	s_and_saveexec_b64 s[0:1], vcc
	s_cbranch_execnz .LBB3100_237
.LBB3100_174:
	s_or_b64 exec, exec, s[0:1]
	v_cmp_lt_u32_e32 vcc, v29, v18
	s_and_saveexec_b64 s[0:1], vcc
	s_cbranch_execnz .LBB3100_238
.LBB3100_175:
	s_or_b64 exec, exec, s[0:1]
	v_cmp_lt_u32_e32 vcc, v27, v18
	s_and_saveexec_b64 s[0:1], vcc
	s_cbranch_execnz .LBB3100_239
.LBB3100_176:
	s_or_b64 exec, exec, s[0:1]
	v_cmp_lt_u32_e32 vcc, v25, v18
	s_and_saveexec_b64 s[0:1], vcc
	s_cbranch_execnz .LBB3100_240
.LBB3100_177:
	s_or_b64 exec, exec, s[0:1]
	v_cmp_lt_u32_e32 vcc, v23, v18
	s_and_saveexec_b64 s[0:1], vcc
	s_cbranch_execnz .LBB3100_241
.LBB3100_178:
	s_or_b64 exec, exec, s[0:1]
	v_cmp_lt_u32_e32 vcc, v19, v18
	s_and_saveexec_b64 s[0:1], vcc
	s_cbranch_execnz .LBB3100_242
.LBB3100_179:
	s_or_b64 exec, exec, s[0:1]
	v_cmp_lt_u32_e32 vcc, v16, v18
	s_and_saveexec_b64 s[0:1], vcc
	s_cbranch_execnz .LBB3100_243
.LBB3100_180:
	s_or_b64 exec, exec, s[0:1]
	v_cmp_lt_u32_e32 vcc, v13, v18
	s_and_saveexec_b64 s[0:1], vcc
	s_cbranch_execnz .LBB3100_244
.LBB3100_181:
	s_or_b64 exec, exec, s[0:1]
	v_cmp_lt_u32_e32 vcc, v11, v18
	s_and_saveexec_b64 s[0:1], vcc
	s_cbranch_execnz .LBB3100_245
.LBB3100_182:
	s_or_b64 exec, exec, s[0:1]
	v_cmp_lt_u32_e32 vcc, v10, v18
	s_and_saveexec_b64 s[0:1], vcc
	s_cbranch_execnz .LBB3100_246
.LBB3100_183:
	s_or_b64 exec, exec, s[0:1]
	v_cmp_lt_u32_e32 vcc, v8, v18
	s_and_saveexec_b64 s[0:1], vcc
	s_cbranch_execnz .LBB3100_247
.LBB3100_184:
	s_or_b64 exec, exec, s[0:1]
	v_cmp_lt_u32_e32 vcc, v6, v18
	s_and_saveexec_b64 s[0:1], vcc
	s_cbranch_execz .LBB3100_186
.LBB3100_185:
	v_lshlrev_b32_e32 v21, 1, v6
	v_readfirstlane_b32 s4, v2
	v_readfirstlane_b32 s5, v3
	s_waitcnt lgkmcnt(1)
	s_nop 3
	global_store_short v21, v5, s[4:5]
.LBB3100_186:
	s_or_b64 exec, exec, s[0:1]
	v_cmp_lt_u32_e64 s[0:1], v4, v18
	s_branch .LBB3100_217
.LBB3100_187:
	s_mov_b64 s[0:1], 0
                                        ; implicit-def: $vgpr2_vgpr3
	s_cbranch_execz .LBB3100_217
; %bb.188:
	s_lshl_b64 s[0:1], s[22:23], 1
	v_mov_b32_e32 v21, 0
	s_add_u32 s0, s2, s0
	v_min_u32_e32 v62, s33, v18
	s_addc_u32 s1, s3, s1
	v_lshlrev_b64 v[2:3], 1, v[20:21]
	v_lshl_add_u64 v[2:3], s[0:1], 0, v[2:3]
	v_cmp_gt_u32_e32 vcc, v62, v0
	s_and_saveexec_b64 s[0:1], vcc
	s_cbranch_execnz .LBB3100_248
; %bb.189:
	s_or_b64 exec, exec, s[0:1]
	v_cmp_lt_u32_e32 vcc, v59, v62
	s_and_saveexec_b64 s[0:1], vcc
	s_cbranch_execnz .LBB3100_249
.LBB3100_190:
	s_or_b64 exec, exec, s[0:1]
	v_cmp_lt_u32_e32 vcc, v57, v62
	s_and_saveexec_b64 s[0:1], vcc
	s_cbranch_execnz .LBB3100_250
.LBB3100_191:
	s_or_b64 exec, exec, s[0:1]
	v_cmp_lt_u32_e32 vcc, v55, v62
	s_and_saveexec_b64 s[0:1], vcc
	s_cbranch_execnz .LBB3100_251
.LBB3100_192:
	s_or_b64 exec, exec, s[0:1]
	v_cmp_lt_u32_e32 vcc, v53, v62
	s_and_saveexec_b64 s[0:1], vcc
	s_cbranch_execnz .LBB3100_252
.LBB3100_193:
	s_or_b64 exec, exec, s[0:1]
	v_cmp_lt_u32_e32 vcc, v51, v62
	s_and_saveexec_b64 s[0:1], vcc
	s_cbranch_execnz .LBB3100_253
.LBB3100_194:
	s_or_b64 exec, exec, s[0:1]
	v_cmp_lt_u32_e32 vcc, v49, v62
	s_and_saveexec_b64 s[0:1], vcc
	s_cbranch_execnz .LBB3100_254
.LBB3100_195:
	s_or_b64 exec, exec, s[0:1]
	v_cmp_lt_u32_e32 vcc, v46, v62
	s_and_saveexec_b64 s[0:1], vcc
	s_cbranch_execnz .LBB3100_255
.LBB3100_196:
	s_or_b64 exec, exec, s[0:1]
	v_cmp_lt_u32_e32 vcc, v45, v62
	s_and_saveexec_b64 s[0:1], vcc
	s_cbranch_execnz .LBB3100_256
.LBB3100_197:
	s_or_b64 exec, exec, s[0:1]
	v_cmp_lt_u32_e32 vcc, v43, v62
	s_and_saveexec_b64 s[0:1], vcc
	s_cbranch_execnz .LBB3100_257
.LBB3100_198:
	s_or_b64 exec, exec, s[0:1]
	v_cmp_lt_u32_e32 vcc, v41, v62
	s_and_saveexec_b64 s[0:1], vcc
	s_cbranch_execnz .LBB3100_258
.LBB3100_199:
	s_or_b64 exec, exec, s[0:1]
	v_cmp_lt_u32_e32 vcc, v39, v62
	s_and_saveexec_b64 s[0:1], vcc
	s_cbranch_execnz .LBB3100_259
.LBB3100_200:
	s_or_b64 exec, exec, s[0:1]
	v_cmp_lt_u32_e32 vcc, v37, v62
	s_and_saveexec_b64 s[0:1], vcc
	s_cbranch_execnz .LBB3100_260
.LBB3100_201:
	s_or_b64 exec, exec, s[0:1]
	v_cmp_lt_u32_e32 vcc, v35, v62
	s_and_saveexec_b64 s[0:1], vcc
	s_cbranch_execnz .LBB3100_261
.LBB3100_202:
	s_or_b64 exec, exec, s[0:1]
	v_cmp_lt_u32_e32 vcc, v33, v62
	s_and_saveexec_b64 s[0:1], vcc
	s_cbranch_execnz .LBB3100_262
.LBB3100_203:
	s_or_b64 exec, exec, s[0:1]
	v_cmp_lt_u32_e32 vcc, v30, v62
	s_and_saveexec_b64 s[0:1], vcc
	s_cbranch_execnz .LBB3100_263
.LBB3100_204:
	s_or_b64 exec, exec, s[0:1]
	v_cmp_lt_u32_e32 vcc, v29, v62
	s_and_saveexec_b64 s[0:1], vcc
	s_cbranch_execnz .LBB3100_264
.LBB3100_205:
	s_or_b64 exec, exec, s[0:1]
	v_cmp_lt_u32_e32 vcc, v27, v62
	s_and_saveexec_b64 s[0:1], vcc
	s_cbranch_execnz .LBB3100_265
.LBB3100_206:
	s_or_b64 exec, exec, s[0:1]
	v_cmp_lt_u32_e32 vcc, v25, v62
	s_and_saveexec_b64 s[0:1], vcc
	s_cbranch_execnz .LBB3100_266
.LBB3100_207:
	s_or_b64 exec, exec, s[0:1]
	v_cmp_lt_u32_e32 vcc, v23, v62
	s_and_saveexec_b64 s[0:1], vcc
	s_cbranch_execnz .LBB3100_267
.LBB3100_208:
	s_or_b64 exec, exec, s[0:1]
	v_cmp_lt_u32_e32 vcc, v19, v62
	s_and_saveexec_b64 s[0:1], vcc
	s_cbranch_execnz .LBB3100_268
.LBB3100_209:
	s_or_b64 exec, exec, s[0:1]
	v_cmp_lt_u32_e32 vcc, v16, v62
	s_and_saveexec_b64 s[0:1], vcc
	s_cbranch_execnz .LBB3100_269
.LBB3100_210:
	s_or_b64 exec, exec, s[0:1]
	v_cmp_lt_u32_e32 vcc, v13, v62
	s_and_saveexec_b64 s[0:1], vcc
	s_cbranch_execnz .LBB3100_270
.LBB3100_211:
	s_or_b64 exec, exec, s[0:1]
	v_cmp_lt_u32_e32 vcc, v11, v62
	s_and_saveexec_b64 s[0:1], vcc
	s_cbranch_execnz .LBB3100_271
.LBB3100_212:
	s_or_b64 exec, exec, s[0:1]
	v_cmp_lt_u32_e32 vcc, v10, v62
	s_and_saveexec_b64 s[0:1], vcc
	s_cbranch_execnz .LBB3100_272
.LBB3100_213:
	s_or_b64 exec, exec, s[0:1]
	v_cmp_lt_u32_e32 vcc, v8, v62
	s_and_saveexec_b64 s[0:1], vcc
	s_cbranch_execnz .LBB3100_273
.LBB3100_214:
	s_or_b64 exec, exec, s[0:1]
	v_cmp_lt_u32_e32 vcc, v6, v62
	s_and_saveexec_b64 s[0:1], vcc
	s_cbranch_execz .LBB3100_216
.LBB3100_215:
	v_lshlrev_b32_e32 v6, 1, v6
	v_readfirstlane_b32 s2, v2
	v_readfirstlane_b32 s3, v3
	s_waitcnt lgkmcnt(1)
	s_nop 3
	global_store_short v6, v5, s[2:3]
.LBB3100_216:
	s_or_b64 exec, exec, s[0:1]
	v_cmp_lt_u32_e64 s[0:1], v4, v62
.LBB3100_217:
	s_and_saveexec_b64 s[2:3], s[0:1]
	s_cbranch_execz .LBB3100_219
; %bb.218:
	v_lshlrev_b32_e32 v4, 1, v4
	v_readfirstlane_b32 s0, v2
	v_readfirstlane_b32 s1, v3
	s_waitcnt lgkmcnt(0)
	s_nop 3
	global_store_short v4, v1, s[0:1]
.LBB3100_219:
	s_or_b64 exec, exec, s[2:3]
	v_cmp_eq_u32_e32 vcc, 0, v0
	s_and_b64 s[0:1], vcc, s[24:25]
	s_and_saveexec_b64 s[2:3], s[0:1]
	s_cbranch_execz .LBB3100_221
; %bb.220:
	v_mov_b32_e32 v19, 0
	s_waitcnt lgkmcnt(0)
	v_lshl_add_u64 v[0:1], s[22:23], 0, v[18:19]
	v_mov_b32_e32 v21, v19
	v_lshl_add_u64 v[0:1], v[0:1], 0, v[20:21]
	global_store_dwordx2 v19, v[0:1], s[20:21]
.LBB3100_221:
	s_endpgm
.LBB3100_222:
	v_readfirstlane_b32 s4, v2
	v_readfirstlane_b32 s5, v3
	s_waitcnt lgkmcnt(14)
	s_nop 3
	global_store_short v14, v61, s[4:5]
	s_or_b64 exec, exec, s[0:1]
	v_cmp_lt_u32_e32 vcc, v59, v18
	s_and_saveexec_b64 s[0:1], vcc
	s_cbranch_execz .LBB3100_160
.LBB3100_223:
	v_readfirstlane_b32 s4, v2
	v_readfirstlane_b32 s5, v3
	s_waitcnt lgkmcnt(14)
	s_nop 3
	global_store_short v14, v60, s[4:5] offset:1024
	s_or_b64 exec, exec, s[0:1]
	v_cmp_lt_u32_e32 vcc, v57, v18
	s_and_saveexec_b64 s[0:1], vcc
	s_cbranch_execz .LBB3100_161
.LBB3100_224:
	v_readfirstlane_b32 s4, v2
	v_readfirstlane_b32 s5, v3
	s_waitcnt lgkmcnt(14)
	s_nop 3
	global_store_short v14, v58, s[4:5] offset:2048
	s_or_b64 exec, exec, s[0:1]
	v_cmp_lt_u32_e32 vcc, v55, v18
	s_and_saveexec_b64 s[0:1], vcc
	s_cbranch_execz .LBB3100_162
.LBB3100_225:
	v_readfirstlane_b32 s4, v2
	v_readfirstlane_b32 s5, v3
	s_waitcnt lgkmcnt(14)
	s_nop 3
	global_store_short v14, v56, s[4:5] offset:3072
	s_or_b64 exec, exec, s[0:1]
	v_cmp_lt_u32_e32 vcc, v53, v18
	s_and_saveexec_b64 s[0:1], vcc
	s_cbranch_execz .LBB3100_163
.LBB3100_226:
	v_lshlrev_b32_e32 v21, 1, v53
	v_readfirstlane_b32 s4, v2
	v_readfirstlane_b32 s5, v3
	s_waitcnt lgkmcnt(14)
	s_nop 3
	global_store_short v21, v54, s[4:5]
	s_or_b64 exec, exec, s[0:1]
	v_cmp_lt_u32_e32 vcc, v51, v18
	s_and_saveexec_b64 s[0:1], vcc
	s_cbranch_execz .LBB3100_164
.LBB3100_227:
	v_lshlrev_b32_e32 v21, 1, v51
	v_readfirstlane_b32 s4, v2
	v_readfirstlane_b32 s5, v3
	s_waitcnt lgkmcnt(14)
	s_nop 3
	global_store_short v21, v52, s[4:5]
	s_or_b64 exec, exec, s[0:1]
	v_cmp_lt_u32_e32 vcc, v49, v18
	s_and_saveexec_b64 s[0:1], vcc
	s_cbranch_execz .LBB3100_165
.LBB3100_228:
	v_lshlrev_b32_e32 v21, 1, v49
	v_readfirstlane_b32 s4, v2
	v_readfirstlane_b32 s5, v3
	s_waitcnt lgkmcnt(14)
	s_nop 3
	global_store_short v21, v50, s[4:5]
	s_or_b64 exec, exec, s[0:1]
	v_cmp_lt_u32_e32 vcc, v46, v18
	s_and_saveexec_b64 s[0:1], vcc
	s_cbranch_execz .LBB3100_166
.LBB3100_229:
	v_lshlrev_b32_e32 v21, 1, v46
	v_readfirstlane_b32 s4, v2
	v_readfirstlane_b32 s5, v3
	s_waitcnt lgkmcnt(14)
	s_nop 3
	global_store_short v21, v47, s[4:5]
	s_or_b64 exec, exec, s[0:1]
	v_cmp_lt_u32_e32 vcc, v45, v18
	s_and_saveexec_b64 s[0:1], vcc
	s_cbranch_execz .LBB3100_167
.LBB3100_230:
	v_lshlrev_b32_e32 v21, 1, v45
	v_readfirstlane_b32 s4, v2
	v_readfirstlane_b32 s5, v3
	s_waitcnt lgkmcnt(14)
	s_nop 3
	global_store_short v21, v48, s[4:5]
	s_or_b64 exec, exec, s[0:1]
	v_cmp_lt_u32_e32 vcc, v43, v18
	s_and_saveexec_b64 s[0:1], vcc
	s_cbranch_execz .LBB3100_168
.LBB3100_231:
	v_lshlrev_b32_e32 v21, 1, v43
	v_readfirstlane_b32 s4, v2
	v_readfirstlane_b32 s5, v3
	s_waitcnt lgkmcnt(14)
	s_nop 3
	global_store_short v21, v44, s[4:5]
	s_or_b64 exec, exec, s[0:1]
	v_cmp_lt_u32_e32 vcc, v41, v18
	s_and_saveexec_b64 s[0:1], vcc
	s_cbranch_execz .LBB3100_169
.LBB3100_232:
	v_lshlrev_b32_e32 v21, 1, v41
	v_readfirstlane_b32 s4, v2
	v_readfirstlane_b32 s5, v3
	s_waitcnt lgkmcnt(14)
	s_nop 3
	global_store_short v21, v42, s[4:5]
	s_or_b64 exec, exec, s[0:1]
	v_cmp_lt_u32_e32 vcc, v39, v18
	s_and_saveexec_b64 s[0:1], vcc
	s_cbranch_execz .LBB3100_170
.LBB3100_233:
	v_lshlrev_b32_e32 v21, 1, v39
	v_readfirstlane_b32 s4, v2
	v_readfirstlane_b32 s5, v3
	s_waitcnt lgkmcnt(14)
	s_nop 3
	global_store_short v21, v40, s[4:5]
	s_or_b64 exec, exec, s[0:1]
	v_cmp_lt_u32_e32 vcc, v37, v18
	s_and_saveexec_b64 s[0:1], vcc
	s_cbranch_execz .LBB3100_171
.LBB3100_234:
	v_lshlrev_b32_e32 v21, 1, v37
	v_readfirstlane_b32 s4, v2
	v_readfirstlane_b32 s5, v3
	s_waitcnt lgkmcnt(14)
	s_nop 3
	global_store_short v21, v38, s[4:5]
	s_or_b64 exec, exec, s[0:1]
	v_cmp_lt_u32_e32 vcc, v35, v18
	s_and_saveexec_b64 s[0:1], vcc
	s_cbranch_execz .LBB3100_172
.LBB3100_235:
	v_lshlrev_b32_e32 v21, 1, v35
	v_readfirstlane_b32 s4, v2
	v_readfirstlane_b32 s5, v3
	s_waitcnt lgkmcnt(14)
	s_nop 3
	global_store_short v21, v36, s[4:5]
	s_or_b64 exec, exec, s[0:1]
	v_cmp_lt_u32_e32 vcc, v33, v18
	s_and_saveexec_b64 s[0:1], vcc
	s_cbranch_execz .LBB3100_173
.LBB3100_236:
	v_lshlrev_b32_e32 v21, 1, v33
	v_readfirstlane_b32 s4, v2
	v_readfirstlane_b32 s5, v3
	s_waitcnt lgkmcnt(13)
	s_nop 3
	global_store_short v21, v34, s[4:5]
	s_or_b64 exec, exec, s[0:1]
	v_cmp_lt_u32_e32 vcc, v30, v18
	s_and_saveexec_b64 s[0:1], vcc
	s_cbranch_execz .LBB3100_174
.LBB3100_237:
	v_lshlrev_b32_e32 v21, 1, v30
	v_readfirstlane_b32 s4, v2
	v_readfirstlane_b32 s5, v3
	s_waitcnt lgkmcnt(12)
	s_nop 3
	global_store_short v21, v31, s[4:5]
	s_or_b64 exec, exec, s[0:1]
	v_cmp_lt_u32_e32 vcc, v29, v18
	s_and_saveexec_b64 s[0:1], vcc
	s_cbranch_execz .LBB3100_175
.LBB3100_238:
	v_lshlrev_b32_e32 v21, 1, v29
	v_readfirstlane_b32 s4, v2
	v_readfirstlane_b32 s5, v3
	s_waitcnt lgkmcnt(11)
	s_nop 3
	global_store_short v21, v32, s[4:5]
	s_or_b64 exec, exec, s[0:1]
	v_cmp_lt_u32_e32 vcc, v27, v18
	s_and_saveexec_b64 s[0:1], vcc
	s_cbranch_execz .LBB3100_176
.LBB3100_239:
	v_lshlrev_b32_e32 v21, 1, v27
	v_readfirstlane_b32 s4, v2
	v_readfirstlane_b32 s5, v3
	s_waitcnt lgkmcnt(10)
	s_nop 3
	global_store_short v21, v28, s[4:5]
	s_or_b64 exec, exec, s[0:1]
	v_cmp_lt_u32_e32 vcc, v25, v18
	s_and_saveexec_b64 s[0:1], vcc
	s_cbranch_execz .LBB3100_177
.LBB3100_240:
	v_lshlrev_b32_e32 v21, 1, v25
	v_readfirstlane_b32 s4, v2
	v_readfirstlane_b32 s5, v3
	s_waitcnt lgkmcnt(9)
	s_nop 3
	global_store_short v21, v26, s[4:5]
	s_or_b64 exec, exec, s[0:1]
	v_cmp_lt_u32_e32 vcc, v23, v18
	s_and_saveexec_b64 s[0:1], vcc
	s_cbranch_execz .LBB3100_178
.LBB3100_241:
	v_lshlrev_b32_e32 v21, 1, v23
	v_readfirstlane_b32 s4, v2
	v_readfirstlane_b32 s5, v3
	s_waitcnt lgkmcnt(8)
	s_nop 3
	global_store_short v21, v24, s[4:5]
	s_or_b64 exec, exec, s[0:1]
	v_cmp_lt_u32_e32 vcc, v19, v18
	s_and_saveexec_b64 s[0:1], vcc
	s_cbranch_execz .LBB3100_179
.LBB3100_242:
	v_lshlrev_b32_e32 v21, 1, v19
	v_readfirstlane_b32 s4, v2
	v_readfirstlane_b32 s5, v3
	s_waitcnt lgkmcnt(7)
	s_nop 3
	global_store_short v21, v22, s[4:5]
	s_or_b64 exec, exec, s[0:1]
	v_cmp_lt_u32_e32 vcc, v16, v18
	s_and_saveexec_b64 s[0:1], vcc
	s_cbranch_execz .LBB3100_180
.LBB3100_243:
	v_lshlrev_b32_e32 v21, 1, v16
	v_readfirstlane_b32 s4, v2
	v_readfirstlane_b32 s5, v3
	s_waitcnt lgkmcnt(6)
	s_nop 3
	global_store_short v21, v17, s[4:5]
	s_or_b64 exec, exec, s[0:1]
	v_cmp_lt_u32_e32 vcc, v13, v18
	s_and_saveexec_b64 s[0:1], vcc
	s_cbranch_execz .LBB3100_181
.LBB3100_244:
	v_lshlrev_b32_e32 v21, 1, v13
	v_readfirstlane_b32 s4, v2
	v_readfirstlane_b32 s5, v3
	s_waitcnt lgkmcnt(5)
	s_nop 3
	global_store_short v21, v15, s[4:5]
	s_or_b64 exec, exec, s[0:1]
	v_cmp_lt_u32_e32 vcc, v11, v18
	s_and_saveexec_b64 s[0:1], vcc
	s_cbranch_execz .LBB3100_182
.LBB3100_245:
	v_lshlrev_b32_e32 v21, 1, v11
	v_readfirstlane_b32 s4, v2
	v_readfirstlane_b32 s5, v3
	s_waitcnt lgkmcnt(4)
	s_nop 3
	global_store_short v21, v12, s[4:5]
	s_or_b64 exec, exec, s[0:1]
	v_cmp_lt_u32_e32 vcc, v10, v18
	s_and_saveexec_b64 s[0:1], vcc
	s_cbranch_execz .LBB3100_183
.LBB3100_246:
	v_lshlrev_b32_e32 v21, 1, v10
	v_readfirstlane_b32 s4, v2
	v_readfirstlane_b32 s5, v3
	s_waitcnt lgkmcnt(3)
	s_nop 3
	global_store_short v21, v9, s[4:5]
	s_or_b64 exec, exec, s[0:1]
	v_cmp_lt_u32_e32 vcc, v8, v18
	s_and_saveexec_b64 s[0:1], vcc
	s_cbranch_execz .LBB3100_184
.LBB3100_247:
	v_lshlrev_b32_e32 v21, 1, v8
	v_readfirstlane_b32 s4, v2
	v_readfirstlane_b32 s5, v3
	s_waitcnt lgkmcnt(2)
	s_nop 3
	global_store_short v21, v7, s[4:5]
	s_or_b64 exec, exec, s[0:1]
	v_cmp_lt_u32_e32 vcc, v6, v18
	s_and_saveexec_b64 s[0:1], vcc
	s_cbranch_execnz .LBB3100_185
	s_branch .LBB3100_186
.LBB3100_248:
	v_readfirstlane_b32 s2, v2
	v_readfirstlane_b32 s3, v3
	s_waitcnt lgkmcnt(14)
	s_nop 3
	global_store_short v14, v61, s[2:3]
	s_or_b64 exec, exec, s[0:1]
	v_cmp_lt_u32_e32 vcc, v59, v62
	s_and_saveexec_b64 s[0:1], vcc
	s_cbranch_execz .LBB3100_190
.LBB3100_249:
	v_readfirstlane_b32 s2, v2
	v_readfirstlane_b32 s3, v3
	s_waitcnt lgkmcnt(14)
	s_nop 3
	global_store_short v14, v60, s[2:3] offset:1024
	s_or_b64 exec, exec, s[0:1]
	v_cmp_lt_u32_e32 vcc, v57, v62
	s_and_saveexec_b64 s[0:1], vcc
	s_cbranch_execz .LBB3100_191
.LBB3100_250:
	v_readfirstlane_b32 s2, v2
	v_readfirstlane_b32 s3, v3
	s_waitcnt lgkmcnt(14)
	s_nop 3
	global_store_short v14, v58, s[2:3] offset:2048
	s_or_b64 exec, exec, s[0:1]
	v_cmp_lt_u32_e32 vcc, v55, v62
	s_and_saveexec_b64 s[0:1], vcc
	s_cbranch_execz .LBB3100_192
.LBB3100_251:
	v_readfirstlane_b32 s2, v2
	v_readfirstlane_b32 s3, v3
	s_waitcnt lgkmcnt(14)
	s_nop 3
	global_store_short v14, v56, s[2:3] offset:3072
	s_or_b64 exec, exec, s[0:1]
	v_cmp_lt_u32_e32 vcc, v53, v62
	s_and_saveexec_b64 s[0:1], vcc
	s_cbranch_execz .LBB3100_193
.LBB3100_252:
	v_lshlrev_b32_e32 v14, 1, v53
	v_readfirstlane_b32 s2, v2
	v_readfirstlane_b32 s3, v3
	s_waitcnt lgkmcnt(14)
	s_nop 3
	global_store_short v14, v54, s[2:3]
	s_or_b64 exec, exec, s[0:1]
	v_cmp_lt_u32_e32 vcc, v51, v62
	s_and_saveexec_b64 s[0:1], vcc
	s_cbranch_execz .LBB3100_194
.LBB3100_253:
	v_lshlrev_b32_e32 v14, 1, v51
	v_readfirstlane_b32 s2, v2
	v_readfirstlane_b32 s3, v3
	s_waitcnt lgkmcnt(14)
	s_nop 3
	global_store_short v14, v52, s[2:3]
	s_or_b64 exec, exec, s[0:1]
	v_cmp_lt_u32_e32 vcc, v49, v62
	s_and_saveexec_b64 s[0:1], vcc
	s_cbranch_execz .LBB3100_195
.LBB3100_254:
	v_lshlrev_b32_e32 v14, 1, v49
	v_readfirstlane_b32 s2, v2
	v_readfirstlane_b32 s3, v3
	s_waitcnt lgkmcnt(14)
	s_nop 3
	global_store_short v14, v50, s[2:3]
	s_or_b64 exec, exec, s[0:1]
	v_cmp_lt_u32_e32 vcc, v46, v62
	s_and_saveexec_b64 s[0:1], vcc
	s_cbranch_execz .LBB3100_196
.LBB3100_255:
	v_lshlrev_b32_e32 v14, 1, v46
	v_readfirstlane_b32 s2, v2
	v_readfirstlane_b32 s3, v3
	s_waitcnt lgkmcnt(14)
	s_nop 3
	global_store_short v14, v47, s[2:3]
	s_or_b64 exec, exec, s[0:1]
	v_cmp_lt_u32_e32 vcc, v45, v62
	s_and_saveexec_b64 s[0:1], vcc
	s_cbranch_execz .LBB3100_197
.LBB3100_256:
	v_lshlrev_b32_e32 v14, 1, v45
	v_readfirstlane_b32 s2, v2
	v_readfirstlane_b32 s3, v3
	s_waitcnt lgkmcnt(14)
	s_nop 3
	global_store_short v14, v48, s[2:3]
	s_or_b64 exec, exec, s[0:1]
	v_cmp_lt_u32_e32 vcc, v43, v62
	s_and_saveexec_b64 s[0:1], vcc
	s_cbranch_execz .LBB3100_198
.LBB3100_257:
	v_lshlrev_b32_e32 v14, 1, v43
	v_readfirstlane_b32 s2, v2
	v_readfirstlane_b32 s3, v3
	s_waitcnt lgkmcnt(14)
	s_nop 3
	global_store_short v14, v44, s[2:3]
	s_or_b64 exec, exec, s[0:1]
	v_cmp_lt_u32_e32 vcc, v41, v62
	s_and_saveexec_b64 s[0:1], vcc
	s_cbranch_execz .LBB3100_199
.LBB3100_258:
	v_lshlrev_b32_e32 v14, 1, v41
	v_readfirstlane_b32 s2, v2
	v_readfirstlane_b32 s3, v3
	s_waitcnt lgkmcnt(14)
	s_nop 3
	global_store_short v14, v42, s[2:3]
	s_or_b64 exec, exec, s[0:1]
	v_cmp_lt_u32_e32 vcc, v39, v62
	s_and_saveexec_b64 s[0:1], vcc
	s_cbranch_execz .LBB3100_200
.LBB3100_259:
	v_lshlrev_b32_e32 v14, 1, v39
	v_readfirstlane_b32 s2, v2
	v_readfirstlane_b32 s3, v3
	s_waitcnt lgkmcnt(14)
	s_nop 3
	global_store_short v14, v40, s[2:3]
	s_or_b64 exec, exec, s[0:1]
	v_cmp_lt_u32_e32 vcc, v37, v62
	s_and_saveexec_b64 s[0:1], vcc
	s_cbranch_execz .LBB3100_201
.LBB3100_260:
	v_lshlrev_b32_e32 v14, 1, v37
	v_readfirstlane_b32 s2, v2
	v_readfirstlane_b32 s3, v3
	s_waitcnt lgkmcnt(14)
	s_nop 3
	global_store_short v14, v38, s[2:3]
	s_or_b64 exec, exec, s[0:1]
	v_cmp_lt_u32_e32 vcc, v35, v62
	s_and_saveexec_b64 s[0:1], vcc
	s_cbranch_execz .LBB3100_202
.LBB3100_261:
	v_lshlrev_b32_e32 v14, 1, v35
	v_readfirstlane_b32 s2, v2
	v_readfirstlane_b32 s3, v3
	s_waitcnt lgkmcnt(14)
	s_nop 3
	global_store_short v14, v36, s[2:3]
	s_or_b64 exec, exec, s[0:1]
	v_cmp_lt_u32_e32 vcc, v33, v62
	s_and_saveexec_b64 s[0:1], vcc
	s_cbranch_execz .LBB3100_203
.LBB3100_262:
	v_lshlrev_b32_e32 v14, 1, v33
	v_readfirstlane_b32 s2, v2
	v_readfirstlane_b32 s3, v3
	s_waitcnt lgkmcnt(13)
	s_nop 3
	global_store_short v14, v34, s[2:3]
	s_or_b64 exec, exec, s[0:1]
	v_cmp_lt_u32_e32 vcc, v30, v62
	s_and_saveexec_b64 s[0:1], vcc
	s_cbranch_execz .LBB3100_204
.LBB3100_263:
	v_lshlrev_b32_e32 v14, 1, v30
	v_readfirstlane_b32 s2, v2
	v_readfirstlane_b32 s3, v3
	s_waitcnt lgkmcnt(12)
	s_nop 3
	global_store_short v14, v31, s[2:3]
	s_or_b64 exec, exec, s[0:1]
	v_cmp_lt_u32_e32 vcc, v29, v62
	s_and_saveexec_b64 s[0:1], vcc
	s_cbranch_execz .LBB3100_205
.LBB3100_264:
	v_lshlrev_b32_e32 v14, 1, v29
	v_readfirstlane_b32 s2, v2
	v_readfirstlane_b32 s3, v3
	s_waitcnt lgkmcnt(11)
	s_nop 3
	global_store_short v14, v32, s[2:3]
	s_or_b64 exec, exec, s[0:1]
	v_cmp_lt_u32_e32 vcc, v27, v62
	s_and_saveexec_b64 s[0:1], vcc
	s_cbranch_execz .LBB3100_206
.LBB3100_265:
	v_lshlrev_b32_e32 v14, 1, v27
	v_readfirstlane_b32 s2, v2
	v_readfirstlane_b32 s3, v3
	s_waitcnt lgkmcnt(10)
	s_nop 3
	global_store_short v14, v28, s[2:3]
	s_or_b64 exec, exec, s[0:1]
	v_cmp_lt_u32_e32 vcc, v25, v62
	s_and_saveexec_b64 s[0:1], vcc
	s_cbranch_execz .LBB3100_207
.LBB3100_266:
	v_lshlrev_b32_e32 v14, 1, v25
	v_readfirstlane_b32 s2, v2
	v_readfirstlane_b32 s3, v3
	s_waitcnt lgkmcnt(9)
	s_nop 3
	global_store_short v14, v26, s[2:3]
	s_or_b64 exec, exec, s[0:1]
	v_cmp_lt_u32_e32 vcc, v23, v62
	s_and_saveexec_b64 s[0:1], vcc
	s_cbranch_execz .LBB3100_208
.LBB3100_267:
	v_lshlrev_b32_e32 v14, 1, v23
	v_readfirstlane_b32 s2, v2
	v_readfirstlane_b32 s3, v3
	s_waitcnt lgkmcnt(8)
	s_nop 3
	global_store_short v14, v24, s[2:3]
	s_or_b64 exec, exec, s[0:1]
	v_cmp_lt_u32_e32 vcc, v19, v62
	s_and_saveexec_b64 s[0:1], vcc
	s_cbranch_execz .LBB3100_209
.LBB3100_268:
	v_lshlrev_b32_e32 v14, 1, v19
	v_readfirstlane_b32 s2, v2
	v_readfirstlane_b32 s3, v3
	s_waitcnt lgkmcnt(7)
	s_nop 3
	global_store_short v14, v22, s[2:3]
	s_or_b64 exec, exec, s[0:1]
	v_cmp_lt_u32_e32 vcc, v16, v62
	s_and_saveexec_b64 s[0:1], vcc
	s_cbranch_execz .LBB3100_210
.LBB3100_269:
	v_lshlrev_b32_e32 v14, 1, v16
	v_readfirstlane_b32 s2, v2
	v_readfirstlane_b32 s3, v3
	s_waitcnt lgkmcnt(6)
	s_nop 3
	global_store_short v14, v17, s[2:3]
	s_or_b64 exec, exec, s[0:1]
	v_cmp_lt_u32_e32 vcc, v13, v62
	s_and_saveexec_b64 s[0:1], vcc
	s_cbranch_execz .LBB3100_211
.LBB3100_270:
	v_lshlrev_b32_e32 v13, 1, v13
	v_readfirstlane_b32 s2, v2
	v_readfirstlane_b32 s3, v3
	s_waitcnt lgkmcnt(5)
	s_nop 3
	global_store_short v13, v15, s[2:3]
	s_or_b64 exec, exec, s[0:1]
	v_cmp_lt_u32_e32 vcc, v11, v62
	s_and_saveexec_b64 s[0:1], vcc
	s_cbranch_execz .LBB3100_212
.LBB3100_271:
	v_lshlrev_b32_e32 v11, 1, v11
	v_readfirstlane_b32 s2, v2
	v_readfirstlane_b32 s3, v3
	s_waitcnt lgkmcnt(4)
	s_nop 3
	global_store_short v11, v12, s[2:3]
	s_or_b64 exec, exec, s[0:1]
	v_cmp_lt_u32_e32 vcc, v10, v62
	s_and_saveexec_b64 s[0:1], vcc
	s_cbranch_execz .LBB3100_213
.LBB3100_272:
	v_lshlrev_b32_e32 v10, 1, v10
	v_readfirstlane_b32 s2, v2
	v_readfirstlane_b32 s3, v3
	s_waitcnt lgkmcnt(3)
	s_nop 3
	global_store_short v10, v9, s[2:3]
	s_or_b64 exec, exec, s[0:1]
	v_cmp_lt_u32_e32 vcc, v8, v62
	s_and_saveexec_b64 s[0:1], vcc
	s_cbranch_execz .LBB3100_214
.LBB3100_273:
	v_lshlrev_b32_e32 v8, 1, v8
	v_readfirstlane_b32 s2, v2
	v_readfirstlane_b32 s3, v3
	s_waitcnt lgkmcnt(2)
	s_nop 3
	global_store_short v8, v7, s[2:3]
	s_or_b64 exec, exec, s[0:1]
	v_cmp_lt_u32_e32 vcc, v6, v62
	s_and_saveexec_b64 s[0:1], vcc
	s_cbranch_execnz .LBB3100_215
	s_branch .LBB3100_216
	.section	.rodata,"a",@progbits
	.p2align	6, 0x0
	.amdhsa_kernel _ZN7rocprim17ROCPRIM_400000_NS6detail17trampoline_kernelINS0_14default_configENS1_25partition_config_selectorILNS1_17partition_subalgoE1EtNS0_10empty_typeEbEEZZNS1_14partition_implILS5_1ELb0ES3_jN6thrust23THRUST_200600_302600_NS6detail15normal_iteratorINSA_10device_ptrItEEEEPS6_NSA_18transform_iteratorI7is_evenItESF_NSA_11use_defaultESK_EENS0_5tupleIJSF_NSA_16discard_iteratorISK_EEEEENSM_IJSG_SG_EEES6_PlJS6_EEE10hipError_tPvRmT3_T4_T5_T6_T7_T9_mT8_P12ihipStream_tbDpT10_ENKUlT_T0_E_clISt17integral_constantIbLb0EES1B_EEDaS16_S17_EUlS16_E_NS1_11comp_targetILNS1_3genE5ELNS1_11target_archE942ELNS1_3gpuE9ELNS1_3repE0EEENS1_30default_config_static_selectorELNS0_4arch9wavefront6targetE1EEEvT1_
		.amdhsa_group_segment_fixed_size 28680
		.amdhsa_private_segment_fixed_size 0
		.amdhsa_kernarg_size 136
		.amdhsa_user_sgpr_count 2
		.amdhsa_user_sgpr_dispatch_ptr 0
		.amdhsa_user_sgpr_queue_ptr 0
		.amdhsa_user_sgpr_kernarg_segment_ptr 1
		.amdhsa_user_sgpr_dispatch_id 0
		.amdhsa_user_sgpr_kernarg_preload_length 0
		.amdhsa_user_sgpr_kernarg_preload_offset 0
		.amdhsa_user_sgpr_private_segment_size 0
		.amdhsa_uses_dynamic_stack 0
		.amdhsa_enable_private_segment 0
		.amdhsa_system_sgpr_workgroup_id_x 1
		.amdhsa_system_sgpr_workgroup_id_y 0
		.amdhsa_system_sgpr_workgroup_id_z 0
		.amdhsa_system_sgpr_workgroup_info 0
		.amdhsa_system_vgpr_workitem_id 0
		.amdhsa_next_free_vgpr 79
		.amdhsa_next_free_sgpr 40
		.amdhsa_accum_offset 80
		.amdhsa_reserve_vcc 1
		.amdhsa_float_round_mode_32 0
		.amdhsa_float_round_mode_16_64 0
		.amdhsa_float_denorm_mode_32 3
		.amdhsa_float_denorm_mode_16_64 3
		.amdhsa_dx10_clamp 1
		.amdhsa_ieee_mode 1
		.amdhsa_fp16_overflow 0
		.amdhsa_tg_split 0
		.amdhsa_exception_fp_ieee_invalid_op 0
		.amdhsa_exception_fp_denorm_src 0
		.amdhsa_exception_fp_ieee_div_zero 0
		.amdhsa_exception_fp_ieee_overflow 0
		.amdhsa_exception_fp_ieee_underflow 0
		.amdhsa_exception_fp_ieee_inexact 0
		.amdhsa_exception_int_div_zero 0
	.end_amdhsa_kernel
	.section	.text._ZN7rocprim17ROCPRIM_400000_NS6detail17trampoline_kernelINS0_14default_configENS1_25partition_config_selectorILNS1_17partition_subalgoE1EtNS0_10empty_typeEbEEZZNS1_14partition_implILS5_1ELb0ES3_jN6thrust23THRUST_200600_302600_NS6detail15normal_iteratorINSA_10device_ptrItEEEEPS6_NSA_18transform_iteratorI7is_evenItESF_NSA_11use_defaultESK_EENS0_5tupleIJSF_NSA_16discard_iteratorISK_EEEEENSM_IJSG_SG_EEES6_PlJS6_EEE10hipError_tPvRmT3_T4_T5_T6_T7_T9_mT8_P12ihipStream_tbDpT10_ENKUlT_T0_E_clISt17integral_constantIbLb0EES1B_EEDaS16_S17_EUlS16_E_NS1_11comp_targetILNS1_3genE5ELNS1_11target_archE942ELNS1_3gpuE9ELNS1_3repE0EEENS1_30default_config_static_selectorELNS0_4arch9wavefront6targetE1EEEvT1_,"axG",@progbits,_ZN7rocprim17ROCPRIM_400000_NS6detail17trampoline_kernelINS0_14default_configENS1_25partition_config_selectorILNS1_17partition_subalgoE1EtNS0_10empty_typeEbEEZZNS1_14partition_implILS5_1ELb0ES3_jN6thrust23THRUST_200600_302600_NS6detail15normal_iteratorINSA_10device_ptrItEEEEPS6_NSA_18transform_iteratorI7is_evenItESF_NSA_11use_defaultESK_EENS0_5tupleIJSF_NSA_16discard_iteratorISK_EEEEENSM_IJSG_SG_EEES6_PlJS6_EEE10hipError_tPvRmT3_T4_T5_T6_T7_T9_mT8_P12ihipStream_tbDpT10_ENKUlT_T0_E_clISt17integral_constantIbLb0EES1B_EEDaS16_S17_EUlS16_E_NS1_11comp_targetILNS1_3genE5ELNS1_11target_archE942ELNS1_3gpuE9ELNS1_3repE0EEENS1_30default_config_static_selectorELNS0_4arch9wavefront6targetE1EEEvT1_,comdat
.Lfunc_end3100:
	.size	_ZN7rocprim17ROCPRIM_400000_NS6detail17trampoline_kernelINS0_14default_configENS1_25partition_config_selectorILNS1_17partition_subalgoE1EtNS0_10empty_typeEbEEZZNS1_14partition_implILS5_1ELb0ES3_jN6thrust23THRUST_200600_302600_NS6detail15normal_iteratorINSA_10device_ptrItEEEEPS6_NSA_18transform_iteratorI7is_evenItESF_NSA_11use_defaultESK_EENS0_5tupleIJSF_NSA_16discard_iteratorISK_EEEEENSM_IJSG_SG_EEES6_PlJS6_EEE10hipError_tPvRmT3_T4_T5_T6_T7_T9_mT8_P12ihipStream_tbDpT10_ENKUlT_T0_E_clISt17integral_constantIbLb0EES1B_EEDaS16_S17_EUlS16_E_NS1_11comp_targetILNS1_3genE5ELNS1_11target_archE942ELNS1_3gpuE9ELNS1_3repE0EEENS1_30default_config_static_selectorELNS0_4arch9wavefront6targetE1EEEvT1_, .Lfunc_end3100-_ZN7rocprim17ROCPRIM_400000_NS6detail17trampoline_kernelINS0_14default_configENS1_25partition_config_selectorILNS1_17partition_subalgoE1EtNS0_10empty_typeEbEEZZNS1_14partition_implILS5_1ELb0ES3_jN6thrust23THRUST_200600_302600_NS6detail15normal_iteratorINSA_10device_ptrItEEEEPS6_NSA_18transform_iteratorI7is_evenItESF_NSA_11use_defaultESK_EENS0_5tupleIJSF_NSA_16discard_iteratorISK_EEEEENSM_IJSG_SG_EEES6_PlJS6_EEE10hipError_tPvRmT3_T4_T5_T6_T7_T9_mT8_P12ihipStream_tbDpT10_ENKUlT_T0_E_clISt17integral_constantIbLb0EES1B_EEDaS16_S17_EUlS16_E_NS1_11comp_targetILNS1_3genE5ELNS1_11target_archE942ELNS1_3gpuE9ELNS1_3repE0EEENS1_30default_config_static_selectorELNS0_4arch9wavefront6targetE1EEEvT1_
                                        ; -- End function
	.section	.AMDGPU.csdata,"",@progbits
; Kernel info:
; codeLenInByte = 12320
; NumSgprs: 46
; NumVgprs: 79
; NumAgprs: 0
; TotalNumVgprs: 79
; ScratchSize: 0
; MemoryBound: 0
; FloatMode: 240
; IeeeMode: 1
; LDSByteSize: 28680 bytes/workgroup (compile time only)
; SGPRBlocks: 5
; VGPRBlocks: 9
; NumSGPRsForWavesPerEU: 46
; NumVGPRsForWavesPerEU: 79
; AccumOffset: 80
; Occupancy: 4
; WaveLimiterHint : 1
; COMPUTE_PGM_RSRC2:SCRATCH_EN: 0
; COMPUTE_PGM_RSRC2:USER_SGPR: 2
; COMPUTE_PGM_RSRC2:TRAP_HANDLER: 0
; COMPUTE_PGM_RSRC2:TGID_X_EN: 1
; COMPUTE_PGM_RSRC2:TGID_Y_EN: 0
; COMPUTE_PGM_RSRC2:TGID_Z_EN: 0
; COMPUTE_PGM_RSRC2:TIDIG_COMP_CNT: 0
; COMPUTE_PGM_RSRC3_GFX90A:ACCUM_OFFSET: 19
; COMPUTE_PGM_RSRC3_GFX90A:TG_SPLIT: 0
	.section	.text._ZN7rocprim17ROCPRIM_400000_NS6detail17trampoline_kernelINS0_14default_configENS1_25partition_config_selectorILNS1_17partition_subalgoE1EtNS0_10empty_typeEbEEZZNS1_14partition_implILS5_1ELb0ES3_jN6thrust23THRUST_200600_302600_NS6detail15normal_iteratorINSA_10device_ptrItEEEEPS6_NSA_18transform_iteratorI7is_evenItESF_NSA_11use_defaultESK_EENS0_5tupleIJSF_NSA_16discard_iteratorISK_EEEEENSM_IJSG_SG_EEES6_PlJS6_EEE10hipError_tPvRmT3_T4_T5_T6_T7_T9_mT8_P12ihipStream_tbDpT10_ENKUlT_T0_E_clISt17integral_constantIbLb0EES1B_EEDaS16_S17_EUlS16_E_NS1_11comp_targetILNS1_3genE4ELNS1_11target_archE910ELNS1_3gpuE8ELNS1_3repE0EEENS1_30default_config_static_selectorELNS0_4arch9wavefront6targetE1EEEvT1_,"axG",@progbits,_ZN7rocprim17ROCPRIM_400000_NS6detail17trampoline_kernelINS0_14default_configENS1_25partition_config_selectorILNS1_17partition_subalgoE1EtNS0_10empty_typeEbEEZZNS1_14partition_implILS5_1ELb0ES3_jN6thrust23THRUST_200600_302600_NS6detail15normal_iteratorINSA_10device_ptrItEEEEPS6_NSA_18transform_iteratorI7is_evenItESF_NSA_11use_defaultESK_EENS0_5tupleIJSF_NSA_16discard_iteratorISK_EEEEENSM_IJSG_SG_EEES6_PlJS6_EEE10hipError_tPvRmT3_T4_T5_T6_T7_T9_mT8_P12ihipStream_tbDpT10_ENKUlT_T0_E_clISt17integral_constantIbLb0EES1B_EEDaS16_S17_EUlS16_E_NS1_11comp_targetILNS1_3genE4ELNS1_11target_archE910ELNS1_3gpuE8ELNS1_3repE0EEENS1_30default_config_static_selectorELNS0_4arch9wavefront6targetE1EEEvT1_,comdat
	.protected	_ZN7rocprim17ROCPRIM_400000_NS6detail17trampoline_kernelINS0_14default_configENS1_25partition_config_selectorILNS1_17partition_subalgoE1EtNS0_10empty_typeEbEEZZNS1_14partition_implILS5_1ELb0ES3_jN6thrust23THRUST_200600_302600_NS6detail15normal_iteratorINSA_10device_ptrItEEEEPS6_NSA_18transform_iteratorI7is_evenItESF_NSA_11use_defaultESK_EENS0_5tupleIJSF_NSA_16discard_iteratorISK_EEEEENSM_IJSG_SG_EEES6_PlJS6_EEE10hipError_tPvRmT3_T4_T5_T6_T7_T9_mT8_P12ihipStream_tbDpT10_ENKUlT_T0_E_clISt17integral_constantIbLb0EES1B_EEDaS16_S17_EUlS16_E_NS1_11comp_targetILNS1_3genE4ELNS1_11target_archE910ELNS1_3gpuE8ELNS1_3repE0EEENS1_30default_config_static_selectorELNS0_4arch9wavefront6targetE1EEEvT1_ ; -- Begin function _ZN7rocprim17ROCPRIM_400000_NS6detail17trampoline_kernelINS0_14default_configENS1_25partition_config_selectorILNS1_17partition_subalgoE1EtNS0_10empty_typeEbEEZZNS1_14partition_implILS5_1ELb0ES3_jN6thrust23THRUST_200600_302600_NS6detail15normal_iteratorINSA_10device_ptrItEEEEPS6_NSA_18transform_iteratorI7is_evenItESF_NSA_11use_defaultESK_EENS0_5tupleIJSF_NSA_16discard_iteratorISK_EEEEENSM_IJSG_SG_EEES6_PlJS6_EEE10hipError_tPvRmT3_T4_T5_T6_T7_T9_mT8_P12ihipStream_tbDpT10_ENKUlT_T0_E_clISt17integral_constantIbLb0EES1B_EEDaS16_S17_EUlS16_E_NS1_11comp_targetILNS1_3genE4ELNS1_11target_archE910ELNS1_3gpuE8ELNS1_3repE0EEENS1_30default_config_static_selectorELNS0_4arch9wavefront6targetE1EEEvT1_
	.globl	_ZN7rocprim17ROCPRIM_400000_NS6detail17trampoline_kernelINS0_14default_configENS1_25partition_config_selectorILNS1_17partition_subalgoE1EtNS0_10empty_typeEbEEZZNS1_14partition_implILS5_1ELb0ES3_jN6thrust23THRUST_200600_302600_NS6detail15normal_iteratorINSA_10device_ptrItEEEEPS6_NSA_18transform_iteratorI7is_evenItESF_NSA_11use_defaultESK_EENS0_5tupleIJSF_NSA_16discard_iteratorISK_EEEEENSM_IJSG_SG_EEES6_PlJS6_EEE10hipError_tPvRmT3_T4_T5_T6_T7_T9_mT8_P12ihipStream_tbDpT10_ENKUlT_T0_E_clISt17integral_constantIbLb0EES1B_EEDaS16_S17_EUlS16_E_NS1_11comp_targetILNS1_3genE4ELNS1_11target_archE910ELNS1_3gpuE8ELNS1_3repE0EEENS1_30default_config_static_selectorELNS0_4arch9wavefront6targetE1EEEvT1_
	.p2align	8
	.type	_ZN7rocprim17ROCPRIM_400000_NS6detail17trampoline_kernelINS0_14default_configENS1_25partition_config_selectorILNS1_17partition_subalgoE1EtNS0_10empty_typeEbEEZZNS1_14partition_implILS5_1ELb0ES3_jN6thrust23THRUST_200600_302600_NS6detail15normal_iteratorINSA_10device_ptrItEEEEPS6_NSA_18transform_iteratorI7is_evenItESF_NSA_11use_defaultESK_EENS0_5tupleIJSF_NSA_16discard_iteratorISK_EEEEENSM_IJSG_SG_EEES6_PlJS6_EEE10hipError_tPvRmT3_T4_T5_T6_T7_T9_mT8_P12ihipStream_tbDpT10_ENKUlT_T0_E_clISt17integral_constantIbLb0EES1B_EEDaS16_S17_EUlS16_E_NS1_11comp_targetILNS1_3genE4ELNS1_11target_archE910ELNS1_3gpuE8ELNS1_3repE0EEENS1_30default_config_static_selectorELNS0_4arch9wavefront6targetE1EEEvT1_,@function
_ZN7rocprim17ROCPRIM_400000_NS6detail17trampoline_kernelINS0_14default_configENS1_25partition_config_selectorILNS1_17partition_subalgoE1EtNS0_10empty_typeEbEEZZNS1_14partition_implILS5_1ELb0ES3_jN6thrust23THRUST_200600_302600_NS6detail15normal_iteratorINSA_10device_ptrItEEEEPS6_NSA_18transform_iteratorI7is_evenItESF_NSA_11use_defaultESK_EENS0_5tupleIJSF_NSA_16discard_iteratorISK_EEEEENSM_IJSG_SG_EEES6_PlJS6_EEE10hipError_tPvRmT3_T4_T5_T6_T7_T9_mT8_P12ihipStream_tbDpT10_ENKUlT_T0_E_clISt17integral_constantIbLb0EES1B_EEDaS16_S17_EUlS16_E_NS1_11comp_targetILNS1_3genE4ELNS1_11target_archE910ELNS1_3gpuE8ELNS1_3repE0EEENS1_30default_config_static_selectorELNS0_4arch9wavefront6targetE1EEEvT1_: ; @_ZN7rocprim17ROCPRIM_400000_NS6detail17trampoline_kernelINS0_14default_configENS1_25partition_config_selectorILNS1_17partition_subalgoE1EtNS0_10empty_typeEbEEZZNS1_14partition_implILS5_1ELb0ES3_jN6thrust23THRUST_200600_302600_NS6detail15normal_iteratorINSA_10device_ptrItEEEEPS6_NSA_18transform_iteratorI7is_evenItESF_NSA_11use_defaultESK_EENS0_5tupleIJSF_NSA_16discard_iteratorISK_EEEEENSM_IJSG_SG_EEES6_PlJS6_EEE10hipError_tPvRmT3_T4_T5_T6_T7_T9_mT8_P12ihipStream_tbDpT10_ENKUlT_T0_E_clISt17integral_constantIbLb0EES1B_EEDaS16_S17_EUlS16_E_NS1_11comp_targetILNS1_3genE4ELNS1_11target_archE910ELNS1_3gpuE8ELNS1_3repE0EEENS1_30default_config_static_selectorELNS0_4arch9wavefront6targetE1EEEvT1_
; %bb.0:
	.section	.rodata,"a",@progbits
	.p2align	6, 0x0
	.amdhsa_kernel _ZN7rocprim17ROCPRIM_400000_NS6detail17trampoline_kernelINS0_14default_configENS1_25partition_config_selectorILNS1_17partition_subalgoE1EtNS0_10empty_typeEbEEZZNS1_14partition_implILS5_1ELb0ES3_jN6thrust23THRUST_200600_302600_NS6detail15normal_iteratorINSA_10device_ptrItEEEEPS6_NSA_18transform_iteratorI7is_evenItESF_NSA_11use_defaultESK_EENS0_5tupleIJSF_NSA_16discard_iteratorISK_EEEEENSM_IJSG_SG_EEES6_PlJS6_EEE10hipError_tPvRmT3_T4_T5_T6_T7_T9_mT8_P12ihipStream_tbDpT10_ENKUlT_T0_E_clISt17integral_constantIbLb0EES1B_EEDaS16_S17_EUlS16_E_NS1_11comp_targetILNS1_3genE4ELNS1_11target_archE910ELNS1_3gpuE8ELNS1_3repE0EEENS1_30default_config_static_selectorELNS0_4arch9wavefront6targetE1EEEvT1_
		.amdhsa_group_segment_fixed_size 0
		.amdhsa_private_segment_fixed_size 0
		.amdhsa_kernarg_size 136
		.amdhsa_user_sgpr_count 2
		.amdhsa_user_sgpr_dispatch_ptr 0
		.amdhsa_user_sgpr_queue_ptr 0
		.amdhsa_user_sgpr_kernarg_segment_ptr 1
		.amdhsa_user_sgpr_dispatch_id 0
		.amdhsa_user_sgpr_kernarg_preload_length 0
		.amdhsa_user_sgpr_kernarg_preload_offset 0
		.amdhsa_user_sgpr_private_segment_size 0
		.amdhsa_uses_dynamic_stack 0
		.amdhsa_enable_private_segment 0
		.amdhsa_system_sgpr_workgroup_id_x 1
		.amdhsa_system_sgpr_workgroup_id_y 0
		.amdhsa_system_sgpr_workgroup_id_z 0
		.amdhsa_system_sgpr_workgroup_info 0
		.amdhsa_system_vgpr_workitem_id 0
		.amdhsa_next_free_vgpr 1
		.amdhsa_next_free_sgpr 0
		.amdhsa_accum_offset 4
		.amdhsa_reserve_vcc 0
		.amdhsa_float_round_mode_32 0
		.amdhsa_float_round_mode_16_64 0
		.amdhsa_float_denorm_mode_32 3
		.amdhsa_float_denorm_mode_16_64 3
		.amdhsa_dx10_clamp 1
		.amdhsa_ieee_mode 1
		.amdhsa_fp16_overflow 0
		.amdhsa_tg_split 0
		.amdhsa_exception_fp_ieee_invalid_op 0
		.amdhsa_exception_fp_denorm_src 0
		.amdhsa_exception_fp_ieee_div_zero 0
		.amdhsa_exception_fp_ieee_overflow 0
		.amdhsa_exception_fp_ieee_underflow 0
		.amdhsa_exception_fp_ieee_inexact 0
		.amdhsa_exception_int_div_zero 0
	.end_amdhsa_kernel
	.section	.text._ZN7rocprim17ROCPRIM_400000_NS6detail17trampoline_kernelINS0_14default_configENS1_25partition_config_selectorILNS1_17partition_subalgoE1EtNS0_10empty_typeEbEEZZNS1_14partition_implILS5_1ELb0ES3_jN6thrust23THRUST_200600_302600_NS6detail15normal_iteratorINSA_10device_ptrItEEEEPS6_NSA_18transform_iteratorI7is_evenItESF_NSA_11use_defaultESK_EENS0_5tupleIJSF_NSA_16discard_iteratorISK_EEEEENSM_IJSG_SG_EEES6_PlJS6_EEE10hipError_tPvRmT3_T4_T5_T6_T7_T9_mT8_P12ihipStream_tbDpT10_ENKUlT_T0_E_clISt17integral_constantIbLb0EES1B_EEDaS16_S17_EUlS16_E_NS1_11comp_targetILNS1_3genE4ELNS1_11target_archE910ELNS1_3gpuE8ELNS1_3repE0EEENS1_30default_config_static_selectorELNS0_4arch9wavefront6targetE1EEEvT1_,"axG",@progbits,_ZN7rocprim17ROCPRIM_400000_NS6detail17trampoline_kernelINS0_14default_configENS1_25partition_config_selectorILNS1_17partition_subalgoE1EtNS0_10empty_typeEbEEZZNS1_14partition_implILS5_1ELb0ES3_jN6thrust23THRUST_200600_302600_NS6detail15normal_iteratorINSA_10device_ptrItEEEEPS6_NSA_18transform_iteratorI7is_evenItESF_NSA_11use_defaultESK_EENS0_5tupleIJSF_NSA_16discard_iteratorISK_EEEEENSM_IJSG_SG_EEES6_PlJS6_EEE10hipError_tPvRmT3_T4_T5_T6_T7_T9_mT8_P12ihipStream_tbDpT10_ENKUlT_T0_E_clISt17integral_constantIbLb0EES1B_EEDaS16_S17_EUlS16_E_NS1_11comp_targetILNS1_3genE4ELNS1_11target_archE910ELNS1_3gpuE8ELNS1_3repE0EEENS1_30default_config_static_selectorELNS0_4arch9wavefront6targetE1EEEvT1_,comdat
.Lfunc_end3101:
	.size	_ZN7rocprim17ROCPRIM_400000_NS6detail17trampoline_kernelINS0_14default_configENS1_25partition_config_selectorILNS1_17partition_subalgoE1EtNS0_10empty_typeEbEEZZNS1_14partition_implILS5_1ELb0ES3_jN6thrust23THRUST_200600_302600_NS6detail15normal_iteratorINSA_10device_ptrItEEEEPS6_NSA_18transform_iteratorI7is_evenItESF_NSA_11use_defaultESK_EENS0_5tupleIJSF_NSA_16discard_iteratorISK_EEEEENSM_IJSG_SG_EEES6_PlJS6_EEE10hipError_tPvRmT3_T4_T5_T6_T7_T9_mT8_P12ihipStream_tbDpT10_ENKUlT_T0_E_clISt17integral_constantIbLb0EES1B_EEDaS16_S17_EUlS16_E_NS1_11comp_targetILNS1_3genE4ELNS1_11target_archE910ELNS1_3gpuE8ELNS1_3repE0EEENS1_30default_config_static_selectorELNS0_4arch9wavefront6targetE1EEEvT1_, .Lfunc_end3101-_ZN7rocprim17ROCPRIM_400000_NS6detail17trampoline_kernelINS0_14default_configENS1_25partition_config_selectorILNS1_17partition_subalgoE1EtNS0_10empty_typeEbEEZZNS1_14partition_implILS5_1ELb0ES3_jN6thrust23THRUST_200600_302600_NS6detail15normal_iteratorINSA_10device_ptrItEEEEPS6_NSA_18transform_iteratorI7is_evenItESF_NSA_11use_defaultESK_EENS0_5tupleIJSF_NSA_16discard_iteratorISK_EEEEENSM_IJSG_SG_EEES6_PlJS6_EEE10hipError_tPvRmT3_T4_T5_T6_T7_T9_mT8_P12ihipStream_tbDpT10_ENKUlT_T0_E_clISt17integral_constantIbLb0EES1B_EEDaS16_S17_EUlS16_E_NS1_11comp_targetILNS1_3genE4ELNS1_11target_archE910ELNS1_3gpuE8ELNS1_3repE0EEENS1_30default_config_static_selectorELNS0_4arch9wavefront6targetE1EEEvT1_
                                        ; -- End function
	.section	.AMDGPU.csdata,"",@progbits
; Kernel info:
; codeLenInByte = 0
; NumSgprs: 6
; NumVgprs: 0
; NumAgprs: 0
; TotalNumVgprs: 0
; ScratchSize: 0
; MemoryBound: 0
; FloatMode: 240
; IeeeMode: 1
; LDSByteSize: 0 bytes/workgroup (compile time only)
; SGPRBlocks: 0
; VGPRBlocks: 0
; NumSGPRsForWavesPerEU: 6
; NumVGPRsForWavesPerEU: 1
; AccumOffset: 4
; Occupancy: 8
; WaveLimiterHint : 0
; COMPUTE_PGM_RSRC2:SCRATCH_EN: 0
; COMPUTE_PGM_RSRC2:USER_SGPR: 2
; COMPUTE_PGM_RSRC2:TRAP_HANDLER: 0
; COMPUTE_PGM_RSRC2:TGID_X_EN: 1
; COMPUTE_PGM_RSRC2:TGID_Y_EN: 0
; COMPUTE_PGM_RSRC2:TGID_Z_EN: 0
; COMPUTE_PGM_RSRC2:TIDIG_COMP_CNT: 0
; COMPUTE_PGM_RSRC3_GFX90A:ACCUM_OFFSET: 0
; COMPUTE_PGM_RSRC3_GFX90A:TG_SPLIT: 0
	.section	.text._ZN7rocprim17ROCPRIM_400000_NS6detail17trampoline_kernelINS0_14default_configENS1_25partition_config_selectorILNS1_17partition_subalgoE1EtNS0_10empty_typeEbEEZZNS1_14partition_implILS5_1ELb0ES3_jN6thrust23THRUST_200600_302600_NS6detail15normal_iteratorINSA_10device_ptrItEEEEPS6_NSA_18transform_iteratorI7is_evenItESF_NSA_11use_defaultESK_EENS0_5tupleIJSF_NSA_16discard_iteratorISK_EEEEENSM_IJSG_SG_EEES6_PlJS6_EEE10hipError_tPvRmT3_T4_T5_T6_T7_T9_mT8_P12ihipStream_tbDpT10_ENKUlT_T0_E_clISt17integral_constantIbLb0EES1B_EEDaS16_S17_EUlS16_E_NS1_11comp_targetILNS1_3genE3ELNS1_11target_archE908ELNS1_3gpuE7ELNS1_3repE0EEENS1_30default_config_static_selectorELNS0_4arch9wavefront6targetE1EEEvT1_,"axG",@progbits,_ZN7rocprim17ROCPRIM_400000_NS6detail17trampoline_kernelINS0_14default_configENS1_25partition_config_selectorILNS1_17partition_subalgoE1EtNS0_10empty_typeEbEEZZNS1_14partition_implILS5_1ELb0ES3_jN6thrust23THRUST_200600_302600_NS6detail15normal_iteratorINSA_10device_ptrItEEEEPS6_NSA_18transform_iteratorI7is_evenItESF_NSA_11use_defaultESK_EENS0_5tupleIJSF_NSA_16discard_iteratorISK_EEEEENSM_IJSG_SG_EEES6_PlJS6_EEE10hipError_tPvRmT3_T4_T5_T6_T7_T9_mT8_P12ihipStream_tbDpT10_ENKUlT_T0_E_clISt17integral_constantIbLb0EES1B_EEDaS16_S17_EUlS16_E_NS1_11comp_targetILNS1_3genE3ELNS1_11target_archE908ELNS1_3gpuE7ELNS1_3repE0EEENS1_30default_config_static_selectorELNS0_4arch9wavefront6targetE1EEEvT1_,comdat
	.protected	_ZN7rocprim17ROCPRIM_400000_NS6detail17trampoline_kernelINS0_14default_configENS1_25partition_config_selectorILNS1_17partition_subalgoE1EtNS0_10empty_typeEbEEZZNS1_14partition_implILS5_1ELb0ES3_jN6thrust23THRUST_200600_302600_NS6detail15normal_iteratorINSA_10device_ptrItEEEEPS6_NSA_18transform_iteratorI7is_evenItESF_NSA_11use_defaultESK_EENS0_5tupleIJSF_NSA_16discard_iteratorISK_EEEEENSM_IJSG_SG_EEES6_PlJS6_EEE10hipError_tPvRmT3_T4_T5_T6_T7_T9_mT8_P12ihipStream_tbDpT10_ENKUlT_T0_E_clISt17integral_constantIbLb0EES1B_EEDaS16_S17_EUlS16_E_NS1_11comp_targetILNS1_3genE3ELNS1_11target_archE908ELNS1_3gpuE7ELNS1_3repE0EEENS1_30default_config_static_selectorELNS0_4arch9wavefront6targetE1EEEvT1_ ; -- Begin function _ZN7rocprim17ROCPRIM_400000_NS6detail17trampoline_kernelINS0_14default_configENS1_25partition_config_selectorILNS1_17partition_subalgoE1EtNS0_10empty_typeEbEEZZNS1_14partition_implILS5_1ELb0ES3_jN6thrust23THRUST_200600_302600_NS6detail15normal_iteratorINSA_10device_ptrItEEEEPS6_NSA_18transform_iteratorI7is_evenItESF_NSA_11use_defaultESK_EENS0_5tupleIJSF_NSA_16discard_iteratorISK_EEEEENSM_IJSG_SG_EEES6_PlJS6_EEE10hipError_tPvRmT3_T4_T5_T6_T7_T9_mT8_P12ihipStream_tbDpT10_ENKUlT_T0_E_clISt17integral_constantIbLb0EES1B_EEDaS16_S17_EUlS16_E_NS1_11comp_targetILNS1_3genE3ELNS1_11target_archE908ELNS1_3gpuE7ELNS1_3repE0EEENS1_30default_config_static_selectorELNS0_4arch9wavefront6targetE1EEEvT1_
	.globl	_ZN7rocprim17ROCPRIM_400000_NS6detail17trampoline_kernelINS0_14default_configENS1_25partition_config_selectorILNS1_17partition_subalgoE1EtNS0_10empty_typeEbEEZZNS1_14partition_implILS5_1ELb0ES3_jN6thrust23THRUST_200600_302600_NS6detail15normal_iteratorINSA_10device_ptrItEEEEPS6_NSA_18transform_iteratorI7is_evenItESF_NSA_11use_defaultESK_EENS0_5tupleIJSF_NSA_16discard_iteratorISK_EEEEENSM_IJSG_SG_EEES6_PlJS6_EEE10hipError_tPvRmT3_T4_T5_T6_T7_T9_mT8_P12ihipStream_tbDpT10_ENKUlT_T0_E_clISt17integral_constantIbLb0EES1B_EEDaS16_S17_EUlS16_E_NS1_11comp_targetILNS1_3genE3ELNS1_11target_archE908ELNS1_3gpuE7ELNS1_3repE0EEENS1_30default_config_static_selectorELNS0_4arch9wavefront6targetE1EEEvT1_
	.p2align	8
	.type	_ZN7rocprim17ROCPRIM_400000_NS6detail17trampoline_kernelINS0_14default_configENS1_25partition_config_selectorILNS1_17partition_subalgoE1EtNS0_10empty_typeEbEEZZNS1_14partition_implILS5_1ELb0ES3_jN6thrust23THRUST_200600_302600_NS6detail15normal_iteratorINSA_10device_ptrItEEEEPS6_NSA_18transform_iteratorI7is_evenItESF_NSA_11use_defaultESK_EENS0_5tupleIJSF_NSA_16discard_iteratorISK_EEEEENSM_IJSG_SG_EEES6_PlJS6_EEE10hipError_tPvRmT3_T4_T5_T6_T7_T9_mT8_P12ihipStream_tbDpT10_ENKUlT_T0_E_clISt17integral_constantIbLb0EES1B_EEDaS16_S17_EUlS16_E_NS1_11comp_targetILNS1_3genE3ELNS1_11target_archE908ELNS1_3gpuE7ELNS1_3repE0EEENS1_30default_config_static_selectorELNS0_4arch9wavefront6targetE1EEEvT1_,@function
_ZN7rocprim17ROCPRIM_400000_NS6detail17trampoline_kernelINS0_14default_configENS1_25partition_config_selectorILNS1_17partition_subalgoE1EtNS0_10empty_typeEbEEZZNS1_14partition_implILS5_1ELb0ES3_jN6thrust23THRUST_200600_302600_NS6detail15normal_iteratorINSA_10device_ptrItEEEEPS6_NSA_18transform_iteratorI7is_evenItESF_NSA_11use_defaultESK_EENS0_5tupleIJSF_NSA_16discard_iteratorISK_EEEEENSM_IJSG_SG_EEES6_PlJS6_EEE10hipError_tPvRmT3_T4_T5_T6_T7_T9_mT8_P12ihipStream_tbDpT10_ENKUlT_T0_E_clISt17integral_constantIbLb0EES1B_EEDaS16_S17_EUlS16_E_NS1_11comp_targetILNS1_3genE3ELNS1_11target_archE908ELNS1_3gpuE7ELNS1_3repE0EEENS1_30default_config_static_selectorELNS0_4arch9wavefront6targetE1EEEvT1_: ; @_ZN7rocprim17ROCPRIM_400000_NS6detail17trampoline_kernelINS0_14default_configENS1_25partition_config_selectorILNS1_17partition_subalgoE1EtNS0_10empty_typeEbEEZZNS1_14partition_implILS5_1ELb0ES3_jN6thrust23THRUST_200600_302600_NS6detail15normal_iteratorINSA_10device_ptrItEEEEPS6_NSA_18transform_iteratorI7is_evenItESF_NSA_11use_defaultESK_EENS0_5tupleIJSF_NSA_16discard_iteratorISK_EEEEENSM_IJSG_SG_EEES6_PlJS6_EEE10hipError_tPvRmT3_T4_T5_T6_T7_T9_mT8_P12ihipStream_tbDpT10_ENKUlT_T0_E_clISt17integral_constantIbLb0EES1B_EEDaS16_S17_EUlS16_E_NS1_11comp_targetILNS1_3genE3ELNS1_11target_archE908ELNS1_3gpuE7ELNS1_3repE0EEENS1_30default_config_static_selectorELNS0_4arch9wavefront6targetE1EEEvT1_
; %bb.0:
	.section	.rodata,"a",@progbits
	.p2align	6, 0x0
	.amdhsa_kernel _ZN7rocprim17ROCPRIM_400000_NS6detail17trampoline_kernelINS0_14default_configENS1_25partition_config_selectorILNS1_17partition_subalgoE1EtNS0_10empty_typeEbEEZZNS1_14partition_implILS5_1ELb0ES3_jN6thrust23THRUST_200600_302600_NS6detail15normal_iteratorINSA_10device_ptrItEEEEPS6_NSA_18transform_iteratorI7is_evenItESF_NSA_11use_defaultESK_EENS0_5tupleIJSF_NSA_16discard_iteratorISK_EEEEENSM_IJSG_SG_EEES6_PlJS6_EEE10hipError_tPvRmT3_T4_T5_T6_T7_T9_mT8_P12ihipStream_tbDpT10_ENKUlT_T0_E_clISt17integral_constantIbLb0EES1B_EEDaS16_S17_EUlS16_E_NS1_11comp_targetILNS1_3genE3ELNS1_11target_archE908ELNS1_3gpuE7ELNS1_3repE0EEENS1_30default_config_static_selectorELNS0_4arch9wavefront6targetE1EEEvT1_
		.amdhsa_group_segment_fixed_size 0
		.amdhsa_private_segment_fixed_size 0
		.amdhsa_kernarg_size 136
		.amdhsa_user_sgpr_count 2
		.amdhsa_user_sgpr_dispatch_ptr 0
		.amdhsa_user_sgpr_queue_ptr 0
		.amdhsa_user_sgpr_kernarg_segment_ptr 1
		.amdhsa_user_sgpr_dispatch_id 0
		.amdhsa_user_sgpr_kernarg_preload_length 0
		.amdhsa_user_sgpr_kernarg_preload_offset 0
		.amdhsa_user_sgpr_private_segment_size 0
		.amdhsa_uses_dynamic_stack 0
		.amdhsa_enable_private_segment 0
		.amdhsa_system_sgpr_workgroup_id_x 1
		.amdhsa_system_sgpr_workgroup_id_y 0
		.amdhsa_system_sgpr_workgroup_id_z 0
		.amdhsa_system_sgpr_workgroup_info 0
		.amdhsa_system_vgpr_workitem_id 0
		.amdhsa_next_free_vgpr 1
		.amdhsa_next_free_sgpr 0
		.amdhsa_accum_offset 4
		.amdhsa_reserve_vcc 0
		.amdhsa_float_round_mode_32 0
		.amdhsa_float_round_mode_16_64 0
		.amdhsa_float_denorm_mode_32 3
		.amdhsa_float_denorm_mode_16_64 3
		.amdhsa_dx10_clamp 1
		.amdhsa_ieee_mode 1
		.amdhsa_fp16_overflow 0
		.amdhsa_tg_split 0
		.amdhsa_exception_fp_ieee_invalid_op 0
		.amdhsa_exception_fp_denorm_src 0
		.amdhsa_exception_fp_ieee_div_zero 0
		.amdhsa_exception_fp_ieee_overflow 0
		.amdhsa_exception_fp_ieee_underflow 0
		.amdhsa_exception_fp_ieee_inexact 0
		.amdhsa_exception_int_div_zero 0
	.end_amdhsa_kernel
	.section	.text._ZN7rocprim17ROCPRIM_400000_NS6detail17trampoline_kernelINS0_14default_configENS1_25partition_config_selectorILNS1_17partition_subalgoE1EtNS0_10empty_typeEbEEZZNS1_14partition_implILS5_1ELb0ES3_jN6thrust23THRUST_200600_302600_NS6detail15normal_iteratorINSA_10device_ptrItEEEEPS6_NSA_18transform_iteratorI7is_evenItESF_NSA_11use_defaultESK_EENS0_5tupleIJSF_NSA_16discard_iteratorISK_EEEEENSM_IJSG_SG_EEES6_PlJS6_EEE10hipError_tPvRmT3_T4_T5_T6_T7_T9_mT8_P12ihipStream_tbDpT10_ENKUlT_T0_E_clISt17integral_constantIbLb0EES1B_EEDaS16_S17_EUlS16_E_NS1_11comp_targetILNS1_3genE3ELNS1_11target_archE908ELNS1_3gpuE7ELNS1_3repE0EEENS1_30default_config_static_selectorELNS0_4arch9wavefront6targetE1EEEvT1_,"axG",@progbits,_ZN7rocprim17ROCPRIM_400000_NS6detail17trampoline_kernelINS0_14default_configENS1_25partition_config_selectorILNS1_17partition_subalgoE1EtNS0_10empty_typeEbEEZZNS1_14partition_implILS5_1ELb0ES3_jN6thrust23THRUST_200600_302600_NS6detail15normal_iteratorINSA_10device_ptrItEEEEPS6_NSA_18transform_iteratorI7is_evenItESF_NSA_11use_defaultESK_EENS0_5tupleIJSF_NSA_16discard_iteratorISK_EEEEENSM_IJSG_SG_EEES6_PlJS6_EEE10hipError_tPvRmT3_T4_T5_T6_T7_T9_mT8_P12ihipStream_tbDpT10_ENKUlT_T0_E_clISt17integral_constantIbLb0EES1B_EEDaS16_S17_EUlS16_E_NS1_11comp_targetILNS1_3genE3ELNS1_11target_archE908ELNS1_3gpuE7ELNS1_3repE0EEENS1_30default_config_static_selectorELNS0_4arch9wavefront6targetE1EEEvT1_,comdat
.Lfunc_end3102:
	.size	_ZN7rocprim17ROCPRIM_400000_NS6detail17trampoline_kernelINS0_14default_configENS1_25partition_config_selectorILNS1_17partition_subalgoE1EtNS0_10empty_typeEbEEZZNS1_14partition_implILS5_1ELb0ES3_jN6thrust23THRUST_200600_302600_NS6detail15normal_iteratorINSA_10device_ptrItEEEEPS6_NSA_18transform_iteratorI7is_evenItESF_NSA_11use_defaultESK_EENS0_5tupleIJSF_NSA_16discard_iteratorISK_EEEEENSM_IJSG_SG_EEES6_PlJS6_EEE10hipError_tPvRmT3_T4_T5_T6_T7_T9_mT8_P12ihipStream_tbDpT10_ENKUlT_T0_E_clISt17integral_constantIbLb0EES1B_EEDaS16_S17_EUlS16_E_NS1_11comp_targetILNS1_3genE3ELNS1_11target_archE908ELNS1_3gpuE7ELNS1_3repE0EEENS1_30default_config_static_selectorELNS0_4arch9wavefront6targetE1EEEvT1_, .Lfunc_end3102-_ZN7rocprim17ROCPRIM_400000_NS6detail17trampoline_kernelINS0_14default_configENS1_25partition_config_selectorILNS1_17partition_subalgoE1EtNS0_10empty_typeEbEEZZNS1_14partition_implILS5_1ELb0ES3_jN6thrust23THRUST_200600_302600_NS6detail15normal_iteratorINSA_10device_ptrItEEEEPS6_NSA_18transform_iteratorI7is_evenItESF_NSA_11use_defaultESK_EENS0_5tupleIJSF_NSA_16discard_iteratorISK_EEEEENSM_IJSG_SG_EEES6_PlJS6_EEE10hipError_tPvRmT3_T4_T5_T6_T7_T9_mT8_P12ihipStream_tbDpT10_ENKUlT_T0_E_clISt17integral_constantIbLb0EES1B_EEDaS16_S17_EUlS16_E_NS1_11comp_targetILNS1_3genE3ELNS1_11target_archE908ELNS1_3gpuE7ELNS1_3repE0EEENS1_30default_config_static_selectorELNS0_4arch9wavefront6targetE1EEEvT1_
                                        ; -- End function
	.section	.AMDGPU.csdata,"",@progbits
; Kernel info:
; codeLenInByte = 0
; NumSgprs: 6
; NumVgprs: 0
; NumAgprs: 0
; TotalNumVgprs: 0
; ScratchSize: 0
; MemoryBound: 0
; FloatMode: 240
; IeeeMode: 1
; LDSByteSize: 0 bytes/workgroup (compile time only)
; SGPRBlocks: 0
; VGPRBlocks: 0
; NumSGPRsForWavesPerEU: 6
; NumVGPRsForWavesPerEU: 1
; AccumOffset: 4
; Occupancy: 8
; WaveLimiterHint : 0
; COMPUTE_PGM_RSRC2:SCRATCH_EN: 0
; COMPUTE_PGM_RSRC2:USER_SGPR: 2
; COMPUTE_PGM_RSRC2:TRAP_HANDLER: 0
; COMPUTE_PGM_RSRC2:TGID_X_EN: 1
; COMPUTE_PGM_RSRC2:TGID_Y_EN: 0
; COMPUTE_PGM_RSRC2:TGID_Z_EN: 0
; COMPUTE_PGM_RSRC2:TIDIG_COMP_CNT: 0
; COMPUTE_PGM_RSRC3_GFX90A:ACCUM_OFFSET: 0
; COMPUTE_PGM_RSRC3_GFX90A:TG_SPLIT: 0
	.section	.text._ZN7rocprim17ROCPRIM_400000_NS6detail17trampoline_kernelINS0_14default_configENS1_25partition_config_selectorILNS1_17partition_subalgoE1EtNS0_10empty_typeEbEEZZNS1_14partition_implILS5_1ELb0ES3_jN6thrust23THRUST_200600_302600_NS6detail15normal_iteratorINSA_10device_ptrItEEEEPS6_NSA_18transform_iteratorI7is_evenItESF_NSA_11use_defaultESK_EENS0_5tupleIJSF_NSA_16discard_iteratorISK_EEEEENSM_IJSG_SG_EEES6_PlJS6_EEE10hipError_tPvRmT3_T4_T5_T6_T7_T9_mT8_P12ihipStream_tbDpT10_ENKUlT_T0_E_clISt17integral_constantIbLb0EES1B_EEDaS16_S17_EUlS16_E_NS1_11comp_targetILNS1_3genE2ELNS1_11target_archE906ELNS1_3gpuE6ELNS1_3repE0EEENS1_30default_config_static_selectorELNS0_4arch9wavefront6targetE1EEEvT1_,"axG",@progbits,_ZN7rocprim17ROCPRIM_400000_NS6detail17trampoline_kernelINS0_14default_configENS1_25partition_config_selectorILNS1_17partition_subalgoE1EtNS0_10empty_typeEbEEZZNS1_14partition_implILS5_1ELb0ES3_jN6thrust23THRUST_200600_302600_NS6detail15normal_iteratorINSA_10device_ptrItEEEEPS6_NSA_18transform_iteratorI7is_evenItESF_NSA_11use_defaultESK_EENS0_5tupleIJSF_NSA_16discard_iteratorISK_EEEEENSM_IJSG_SG_EEES6_PlJS6_EEE10hipError_tPvRmT3_T4_T5_T6_T7_T9_mT8_P12ihipStream_tbDpT10_ENKUlT_T0_E_clISt17integral_constantIbLb0EES1B_EEDaS16_S17_EUlS16_E_NS1_11comp_targetILNS1_3genE2ELNS1_11target_archE906ELNS1_3gpuE6ELNS1_3repE0EEENS1_30default_config_static_selectorELNS0_4arch9wavefront6targetE1EEEvT1_,comdat
	.protected	_ZN7rocprim17ROCPRIM_400000_NS6detail17trampoline_kernelINS0_14default_configENS1_25partition_config_selectorILNS1_17partition_subalgoE1EtNS0_10empty_typeEbEEZZNS1_14partition_implILS5_1ELb0ES3_jN6thrust23THRUST_200600_302600_NS6detail15normal_iteratorINSA_10device_ptrItEEEEPS6_NSA_18transform_iteratorI7is_evenItESF_NSA_11use_defaultESK_EENS0_5tupleIJSF_NSA_16discard_iteratorISK_EEEEENSM_IJSG_SG_EEES6_PlJS6_EEE10hipError_tPvRmT3_T4_T5_T6_T7_T9_mT8_P12ihipStream_tbDpT10_ENKUlT_T0_E_clISt17integral_constantIbLb0EES1B_EEDaS16_S17_EUlS16_E_NS1_11comp_targetILNS1_3genE2ELNS1_11target_archE906ELNS1_3gpuE6ELNS1_3repE0EEENS1_30default_config_static_selectorELNS0_4arch9wavefront6targetE1EEEvT1_ ; -- Begin function _ZN7rocprim17ROCPRIM_400000_NS6detail17trampoline_kernelINS0_14default_configENS1_25partition_config_selectorILNS1_17partition_subalgoE1EtNS0_10empty_typeEbEEZZNS1_14partition_implILS5_1ELb0ES3_jN6thrust23THRUST_200600_302600_NS6detail15normal_iteratorINSA_10device_ptrItEEEEPS6_NSA_18transform_iteratorI7is_evenItESF_NSA_11use_defaultESK_EENS0_5tupleIJSF_NSA_16discard_iteratorISK_EEEEENSM_IJSG_SG_EEES6_PlJS6_EEE10hipError_tPvRmT3_T4_T5_T6_T7_T9_mT8_P12ihipStream_tbDpT10_ENKUlT_T0_E_clISt17integral_constantIbLb0EES1B_EEDaS16_S17_EUlS16_E_NS1_11comp_targetILNS1_3genE2ELNS1_11target_archE906ELNS1_3gpuE6ELNS1_3repE0EEENS1_30default_config_static_selectorELNS0_4arch9wavefront6targetE1EEEvT1_
	.globl	_ZN7rocprim17ROCPRIM_400000_NS6detail17trampoline_kernelINS0_14default_configENS1_25partition_config_selectorILNS1_17partition_subalgoE1EtNS0_10empty_typeEbEEZZNS1_14partition_implILS5_1ELb0ES3_jN6thrust23THRUST_200600_302600_NS6detail15normal_iteratorINSA_10device_ptrItEEEEPS6_NSA_18transform_iteratorI7is_evenItESF_NSA_11use_defaultESK_EENS0_5tupleIJSF_NSA_16discard_iteratorISK_EEEEENSM_IJSG_SG_EEES6_PlJS6_EEE10hipError_tPvRmT3_T4_T5_T6_T7_T9_mT8_P12ihipStream_tbDpT10_ENKUlT_T0_E_clISt17integral_constantIbLb0EES1B_EEDaS16_S17_EUlS16_E_NS1_11comp_targetILNS1_3genE2ELNS1_11target_archE906ELNS1_3gpuE6ELNS1_3repE0EEENS1_30default_config_static_selectorELNS0_4arch9wavefront6targetE1EEEvT1_
	.p2align	8
	.type	_ZN7rocprim17ROCPRIM_400000_NS6detail17trampoline_kernelINS0_14default_configENS1_25partition_config_selectorILNS1_17partition_subalgoE1EtNS0_10empty_typeEbEEZZNS1_14partition_implILS5_1ELb0ES3_jN6thrust23THRUST_200600_302600_NS6detail15normal_iteratorINSA_10device_ptrItEEEEPS6_NSA_18transform_iteratorI7is_evenItESF_NSA_11use_defaultESK_EENS0_5tupleIJSF_NSA_16discard_iteratorISK_EEEEENSM_IJSG_SG_EEES6_PlJS6_EEE10hipError_tPvRmT3_T4_T5_T6_T7_T9_mT8_P12ihipStream_tbDpT10_ENKUlT_T0_E_clISt17integral_constantIbLb0EES1B_EEDaS16_S17_EUlS16_E_NS1_11comp_targetILNS1_3genE2ELNS1_11target_archE906ELNS1_3gpuE6ELNS1_3repE0EEENS1_30default_config_static_selectorELNS0_4arch9wavefront6targetE1EEEvT1_,@function
_ZN7rocprim17ROCPRIM_400000_NS6detail17trampoline_kernelINS0_14default_configENS1_25partition_config_selectorILNS1_17partition_subalgoE1EtNS0_10empty_typeEbEEZZNS1_14partition_implILS5_1ELb0ES3_jN6thrust23THRUST_200600_302600_NS6detail15normal_iteratorINSA_10device_ptrItEEEEPS6_NSA_18transform_iteratorI7is_evenItESF_NSA_11use_defaultESK_EENS0_5tupleIJSF_NSA_16discard_iteratorISK_EEEEENSM_IJSG_SG_EEES6_PlJS6_EEE10hipError_tPvRmT3_T4_T5_T6_T7_T9_mT8_P12ihipStream_tbDpT10_ENKUlT_T0_E_clISt17integral_constantIbLb0EES1B_EEDaS16_S17_EUlS16_E_NS1_11comp_targetILNS1_3genE2ELNS1_11target_archE906ELNS1_3gpuE6ELNS1_3repE0EEENS1_30default_config_static_selectorELNS0_4arch9wavefront6targetE1EEEvT1_: ; @_ZN7rocprim17ROCPRIM_400000_NS6detail17trampoline_kernelINS0_14default_configENS1_25partition_config_selectorILNS1_17partition_subalgoE1EtNS0_10empty_typeEbEEZZNS1_14partition_implILS5_1ELb0ES3_jN6thrust23THRUST_200600_302600_NS6detail15normal_iteratorINSA_10device_ptrItEEEEPS6_NSA_18transform_iteratorI7is_evenItESF_NSA_11use_defaultESK_EENS0_5tupleIJSF_NSA_16discard_iteratorISK_EEEEENSM_IJSG_SG_EEES6_PlJS6_EEE10hipError_tPvRmT3_T4_T5_T6_T7_T9_mT8_P12ihipStream_tbDpT10_ENKUlT_T0_E_clISt17integral_constantIbLb0EES1B_EEDaS16_S17_EUlS16_E_NS1_11comp_targetILNS1_3genE2ELNS1_11target_archE906ELNS1_3gpuE6ELNS1_3repE0EEENS1_30default_config_static_selectorELNS0_4arch9wavefront6targetE1EEEvT1_
; %bb.0:
	.section	.rodata,"a",@progbits
	.p2align	6, 0x0
	.amdhsa_kernel _ZN7rocprim17ROCPRIM_400000_NS6detail17trampoline_kernelINS0_14default_configENS1_25partition_config_selectorILNS1_17partition_subalgoE1EtNS0_10empty_typeEbEEZZNS1_14partition_implILS5_1ELb0ES3_jN6thrust23THRUST_200600_302600_NS6detail15normal_iteratorINSA_10device_ptrItEEEEPS6_NSA_18transform_iteratorI7is_evenItESF_NSA_11use_defaultESK_EENS0_5tupleIJSF_NSA_16discard_iteratorISK_EEEEENSM_IJSG_SG_EEES6_PlJS6_EEE10hipError_tPvRmT3_T4_T5_T6_T7_T9_mT8_P12ihipStream_tbDpT10_ENKUlT_T0_E_clISt17integral_constantIbLb0EES1B_EEDaS16_S17_EUlS16_E_NS1_11comp_targetILNS1_3genE2ELNS1_11target_archE906ELNS1_3gpuE6ELNS1_3repE0EEENS1_30default_config_static_selectorELNS0_4arch9wavefront6targetE1EEEvT1_
		.amdhsa_group_segment_fixed_size 0
		.amdhsa_private_segment_fixed_size 0
		.amdhsa_kernarg_size 136
		.amdhsa_user_sgpr_count 2
		.amdhsa_user_sgpr_dispatch_ptr 0
		.amdhsa_user_sgpr_queue_ptr 0
		.amdhsa_user_sgpr_kernarg_segment_ptr 1
		.amdhsa_user_sgpr_dispatch_id 0
		.amdhsa_user_sgpr_kernarg_preload_length 0
		.amdhsa_user_sgpr_kernarg_preload_offset 0
		.amdhsa_user_sgpr_private_segment_size 0
		.amdhsa_uses_dynamic_stack 0
		.amdhsa_enable_private_segment 0
		.amdhsa_system_sgpr_workgroup_id_x 1
		.amdhsa_system_sgpr_workgroup_id_y 0
		.amdhsa_system_sgpr_workgroup_id_z 0
		.amdhsa_system_sgpr_workgroup_info 0
		.amdhsa_system_vgpr_workitem_id 0
		.amdhsa_next_free_vgpr 1
		.amdhsa_next_free_sgpr 0
		.amdhsa_accum_offset 4
		.amdhsa_reserve_vcc 0
		.amdhsa_float_round_mode_32 0
		.amdhsa_float_round_mode_16_64 0
		.amdhsa_float_denorm_mode_32 3
		.amdhsa_float_denorm_mode_16_64 3
		.amdhsa_dx10_clamp 1
		.amdhsa_ieee_mode 1
		.amdhsa_fp16_overflow 0
		.amdhsa_tg_split 0
		.amdhsa_exception_fp_ieee_invalid_op 0
		.amdhsa_exception_fp_denorm_src 0
		.amdhsa_exception_fp_ieee_div_zero 0
		.amdhsa_exception_fp_ieee_overflow 0
		.amdhsa_exception_fp_ieee_underflow 0
		.amdhsa_exception_fp_ieee_inexact 0
		.amdhsa_exception_int_div_zero 0
	.end_amdhsa_kernel
	.section	.text._ZN7rocprim17ROCPRIM_400000_NS6detail17trampoline_kernelINS0_14default_configENS1_25partition_config_selectorILNS1_17partition_subalgoE1EtNS0_10empty_typeEbEEZZNS1_14partition_implILS5_1ELb0ES3_jN6thrust23THRUST_200600_302600_NS6detail15normal_iteratorINSA_10device_ptrItEEEEPS6_NSA_18transform_iteratorI7is_evenItESF_NSA_11use_defaultESK_EENS0_5tupleIJSF_NSA_16discard_iteratorISK_EEEEENSM_IJSG_SG_EEES6_PlJS6_EEE10hipError_tPvRmT3_T4_T5_T6_T7_T9_mT8_P12ihipStream_tbDpT10_ENKUlT_T0_E_clISt17integral_constantIbLb0EES1B_EEDaS16_S17_EUlS16_E_NS1_11comp_targetILNS1_3genE2ELNS1_11target_archE906ELNS1_3gpuE6ELNS1_3repE0EEENS1_30default_config_static_selectorELNS0_4arch9wavefront6targetE1EEEvT1_,"axG",@progbits,_ZN7rocprim17ROCPRIM_400000_NS6detail17trampoline_kernelINS0_14default_configENS1_25partition_config_selectorILNS1_17partition_subalgoE1EtNS0_10empty_typeEbEEZZNS1_14partition_implILS5_1ELb0ES3_jN6thrust23THRUST_200600_302600_NS6detail15normal_iteratorINSA_10device_ptrItEEEEPS6_NSA_18transform_iteratorI7is_evenItESF_NSA_11use_defaultESK_EENS0_5tupleIJSF_NSA_16discard_iteratorISK_EEEEENSM_IJSG_SG_EEES6_PlJS6_EEE10hipError_tPvRmT3_T4_T5_T6_T7_T9_mT8_P12ihipStream_tbDpT10_ENKUlT_T0_E_clISt17integral_constantIbLb0EES1B_EEDaS16_S17_EUlS16_E_NS1_11comp_targetILNS1_3genE2ELNS1_11target_archE906ELNS1_3gpuE6ELNS1_3repE0EEENS1_30default_config_static_selectorELNS0_4arch9wavefront6targetE1EEEvT1_,comdat
.Lfunc_end3103:
	.size	_ZN7rocprim17ROCPRIM_400000_NS6detail17trampoline_kernelINS0_14default_configENS1_25partition_config_selectorILNS1_17partition_subalgoE1EtNS0_10empty_typeEbEEZZNS1_14partition_implILS5_1ELb0ES3_jN6thrust23THRUST_200600_302600_NS6detail15normal_iteratorINSA_10device_ptrItEEEEPS6_NSA_18transform_iteratorI7is_evenItESF_NSA_11use_defaultESK_EENS0_5tupleIJSF_NSA_16discard_iteratorISK_EEEEENSM_IJSG_SG_EEES6_PlJS6_EEE10hipError_tPvRmT3_T4_T5_T6_T7_T9_mT8_P12ihipStream_tbDpT10_ENKUlT_T0_E_clISt17integral_constantIbLb0EES1B_EEDaS16_S17_EUlS16_E_NS1_11comp_targetILNS1_3genE2ELNS1_11target_archE906ELNS1_3gpuE6ELNS1_3repE0EEENS1_30default_config_static_selectorELNS0_4arch9wavefront6targetE1EEEvT1_, .Lfunc_end3103-_ZN7rocprim17ROCPRIM_400000_NS6detail17trampoline_kernelINS0_14default_configENS1_25partition_config_selectorILNS1_17partition_subalgoE1EtNS0_10empty_typeEbEEZZNS1_14partition_implILS5_1ELb0ES3_jN6thrust23THRUST_200600_302600_NS6detail15normal_iteratorINSA_10device_ptrItEEEEPS6_NSA_18transform_iteratorI7is_evenItESF_NSA_11use_defaultESK_EENS0_5tupleIJSF_NSA_16discard_iteratorISK_EEEEENSM_IJSG_SG_EEES6_PlJS6_EEE10hipError_tPvRmT3_T4_T5_T6_T7_T9_mT8_P12ihipStream_tbDpT10_ENKUlT_T0_E_clISt17integral_constantIbLb0EES1B_EEDaS16_S17_EUlS16_E_NS1_11comp_targetILNS1_3genE2ELNS1_11target_archE906ELNS1_3gpuE6ELNS1_3repE0EEENS1_30default_config_static_selectorELNS0_4arch9wavefront6targetE1EEEvT1_
                                        ; -- End function
	.section	.AMDGPU.csdata,"",@progbits
; Kernel info:
; codeLenInByte = 0
; NumSgprs: 6
; NumVgprs: 0
; NumAgprs: 0
; TotalNumVgprs: 0
; ScratchSize: 0
; MemoryBound: 0
; FloatMode: 240
; IeeeMode: 1
; LDSByteSize: 0 bytes/workgroup (compile time only)
; SGPRBlocks: 0
; VGPRBlocks: 0
; NumSGPRsForWavesPerEU: 6
; NumVGPRsForWavesPerEU: 1
; AccumOffset: 4
; Occupancy: 8
; WaveLimiterHint : 0
; COMPUTE_PGM_RSRC2:SCRATCH_EN: 0
; COMPUTE_PGM_RSRC2:USER_SGPR: 2
; COMPUTE_PGM_RSRC2:TRAP_HANDLER: 0
; COMPUTE_PGM_RSRC2:TGID_X_EN: 1
; COMPUTE_PGM_RSRC2:TGID_Y_EN: 0
; COMPUTE_PGM_RSRC2:TGID_Z_EN: 0
; COMPUTE_PGM_RSRC2:TIDIG_COMP_CNT: 0
; COMPUTE_PGM_RSRC3_GFX90A:ACCUM_OFFSET: 0
; COMPUTE_PGM_RSRC3_GFX90A:TG_SPLIT: 0
	.section	.text._ZN7rocprim17ROCPRIM_400000_NS6detail17trampoline_kernelINS0_14default_configENS1_25partition_config_selectorILNS1_17partition_subalgoE1EtNS0_10empty_typeEbEEZZNS1_14partition_implILS5_1ELb0ES3_jN6thrust23THRUST_200600_302600_NS6detail15normal_iteratorINSA_10device_ptrItEEEEPS6_NSA_18transform_iteratorI7is_evenItESF_NSA_11use_defaultESK_EENS0_5tupleIJSF_NSA_16discard_iteratorISK_EEEEENSM_IJSG_SG_EEES6_PlJS6_EEE10hipError_tPvRmT3_T4_T5_T6_T7_T9_mT8_P12ihipStream_tbDpT10_ENKUlT_T0_E_clISt17integral_constantIbLb0EES1B_EEDaS16_S17_EUlS16_E_NS1_11comp_targetILNS1_3genE10ELNS1_11target_archE1200ELNS1_3gpuE4ELNS1_3repE0EEENS1_30default_config_static_selectorELNS0_4arch9wavefront6targetE1EEEvT1_,"axG",@progbits,_ZN7rocprim17ROCPRIM_400000_NS6detail17trampoline_kernelINS0_14default_configENS1_25partition_config_selectorILNS1_17partition_subalgoE1EtNS0_10empty_typeEbEEZZNS1_14partition_implILS5_1ELb0ES3_jN6thrust23THRUST_200600_302600_NS6detail15normal_iteratorINSA_10device_ptrItEEEEPS6_NSA_18transform_iteratorI7is_evenItESF_NSA_11use_defaultESK_EENS0_5tupleIJSF_NSA_16discard_iteratorISK_EEEEENSM_IJSG_SG_EEES6_PlJS6_EEE10hipError_tPvRmT3_T4_T5_T6_T7_T9_mT8_P12ihipStream_tbDpT10_ENKUlT_T0_E_clISt17integral_constantIbLb0EES1B_EEDaS16_S17_EUlS16_E_NS1_11comp_targetILNS1_3genE10ELNS1_11target_archE1200ELNS1_3gpuE4ELNS1_3repE0EEENS1_30default_config_static_selectorELNS0_4arch9wavefront6targetE1EEEvT1_,comdat
	.protected	_ZN7rocprim17ROCPRIM_400000_NS6detail17trampoline_kernelINS0_14default_configENS1_25partition_config_selectorILNS1_17partition_subalgoE1EtNS0_10empty_typeEbEEZZNS1_14partition_implILS5_1ELb0ES3_jN6thrust23THRUST_200600_302600_NS6detail15normal_iteratorINSA_10device_ptrItEEEEPS6_NSA_18transform_iteratorI7is_evenItESF_NSA_11use_defaultESK_EENS0_5tupleIJSF_NSA_16discard_iteratorISK_EEEEENSM_IJSG_SG_EEES6_PlJS6_EEE10hipError_tPvRmT3_T4_T5_T6_T7_T9_mT8_P12ihipStream_tbDpT10_ENKUlT_T0_E_clISt17integral_constantIbLb0EES1B_EEDaS16_S17_EUlS16_E_NS1_11comp_targetILNS1_3genE10ELNS1_11target_archE1200ELNS1_3gpuE4ELNS1_3repE0EEENS1_30default_config_static_selectorELNS0_4arch9wavefront6targetE1EEEvT1_ ; -- Begin function _ZN7rocprim17ROCPRIM_400000_NS6detail17trampoline_kernelINS0_14default_configENS1_25partition_config_selectorILNS1_17partition_subalgoE1EtNS0_10empty_typeEbEEZZNS1_14partition_implILS5_1ELb0ES3_jN6thrust23THRUST_200600_302600_NS6detail15normal_iteratorINSA_10device_ptrItEEEEPS6_NSA_18transform_iteratorI7is_evenItESF_NSA_11use_defaultESK_EENS0_5tupleIJSF_NSA_16discard_iteratorISK_EEEEENSM_IJSG_SG_EEES6_PlJS6_EEE10hipError_tPvRmT3_T4_T5_T6_T7_T9_mT8_P12ihipStream_tbDpT10_ENKUlT_T0_E_clISt17integral_constantIbLb0EES1B_EEDaS16_S17_EUlS16_E_NS1_11comp_targetILNS1_3genE10ELNS1_11target_archE1200ELNS1_3gpuE4ELNS1_3repE0EEENS1_30default_config_static_selectorELNS0_4arch9wavefront6targetE1EEEvT1_
	.globl	_ZN7rocprim17ROCPRIM_400000_NS6detail17trampoline_kernelINS0_14default_configENS1_25partition_config_selectorILNS1_17partition_subalgoE1EtNS0_10empty_typeEbEEZZNS1_14partition_implILS5_1ELb0ES3_jN6thrust23THRUST_200600_302600_NS6detail15normal_iteratorINSA_10device_ptrItEEEEPS6_NSA_18transform_iteratorI7is_evenItESF_NSA_11use_defaultESK_EENS0_5tupleIJSF_NSA_16discard_iteratorISK_EEEEENSM_IJSG_SG_EEES6_PlJS6_EEE10hipError_tPvRmT3_T4_T5_T6_T7_T9_mT8_P12ihipStream_tbDpT10_ENKUlT_T0_E_clISt17integral_constantIbLb0EES1B_EEDaS16_S17_EUlS16_E_NS1_11comp_targetILNS1_3genE10ELNS1_11target_archE1200ELNS1_3gpuE4ELNS1_3repE0EEENS1_30default_config_static_selectorELNS0_4arch9wavefront6targetE1EEEvT1_
	.p2align	8
	.type	_ZN7rocprim17ROCPRIM_400000_NS6detail17trampoline_kernelINS0_14default_configENS1_25partition_config_selectorILNS1_17partition_subalgoE1EtNS0_10empty_typeEbEEZZNS1_14partition_implILS5_1ELb0ES3_jN6thrust23THRUST_200600_302600_NS6detail15normal_iteratorINSA_10device_ptrItEEEEPS6_NSA_18transform_iteratorI7is_evenItESF_NSA_11use_defaultESK_EENS0_5tupleIJSF_NSA_16discard_iteratorISK_EEEEENSM_IJSG_SG_EEES6_PlJS6_EEE10hipError_tPvRmT3_T4_T5_T6_T7_T9_mT8_P12ihipStream_tbDpT10_ENKUlT_T0_E_clISt17integral_constantIbLb0EES1B_EEDaS16_S17_EUlS16_E_NS1_11comp_targetILNS1_3genE10ELNS1_11target_archE1200ELNS1_3gpuE4ELNS1_3repE0EEENS1_30default_config_static_selectorELNS0_4arch9wavefront6targetE1EEEvT1_,@function
_ZN7rocprim17ROCPRIM_400000_NS6detail17trampoline_kernelINS0_14default_configENS1_25partition_config_selectorILNS1_17partition_subalgoE1EtNS0_10empty_typeEbEEZZNS1_14partition_implILS5_1ELb0ES3_jN6thrust23THRUST_200600_302600_NS6detail15normal_iteratorINSA_10device_ptrItEEEEPS6_NSA_18transform_iteratorI7is_evenItESF_NSA_11use_defaultESK_EENS0_5tupleIJSF_NSA_16discard_iteratorISK_EEEEENSM_IJSG_SG_EEES6_PlJS6_EEE10hipError_tPvRmT3_T4_T5_T6_T7_T9_mT8_P12ihipStream_tbDpT10_ENKUlT_T0_E_clISt17integral_constantIbLb0EES1B_EEDaS16_S17_EUlS16_E_NS1_11comp_targetILNS1_3genE10ELNS1_11target_archE1200ELNS1_3gpuE4ELNS1_3repE0EEENS1_30default_config_static_selectorELNS0_4arch9wavefront6targetE1EEEvT1_: ; @_ZN7rocprim17ROCPRIM_400000_NS6detail17trampoline_kernelINS0_14default_configENS1_25partition_config_selectorILNS1_17partition_subalgoE1EtNS0_10empty_typeEbEEZZNS1_14partition_implILS5_1ELb0ES3_jN6thrust23THRUST_200600_302600_NS6detail15normal_iteratorINSA_10device_ptrItEEEEPS6_NSA_18transform_iteratorI7is_evenItESF_NSA_11use_defaultESK_EENS0_5tupleIJSF_NSA_16discard_iteratorISK_EEEEENSM_IJSG_SG_EEES6_PlJS6_EEE10hipError_tPvRmT3_T4_T5_T6_T7_T9_mT8_P12ihipStream_tbDpT10_ENKUlT_T0_E_clISt17integral_constantIbLb0EES1B_EEDaS16_S17_EUlS16_E_NS1_11comp_targetILNS1_3genE10ELNS1_11target_archE1200ELNS1_3gpuE4ELNS1_3repE0EEENS1_30default_config_static_selectorELNS0_4arch9wavefront6targetE1EEEvT1_
; %bb.0:
	.section	.rodata,"a",@progbits
	.p2align	6, 0x0
	.amdhsa_kernel _ZN7rocprim17ROCPRIM_400000_NS6detail17trampoline_kernelINS0_14default_configENS1_25partition_config_selectorILNS1_17partition_subalgoE1EtNS0_10empty_typeEbEEZZNS1_14partition_implILS5_1ELb0ES3_jN6thrust23THRUST_200600_302600_NS6detail15normal_iteratorINSA_10device_ptrItEEEEPS6_NSA_18transform_iteratorI7is_evenItESF_NSA_11use_defaultESK_EENS0_5tupleIJSF_NSA_16discard_iteratorISK_EEEEENSM_IJSG_SG_EEES6_PlJS6_EEE10hipError_tPvRmT3_T4_T5_T6_T7_T9_mT8_P12ihipStream_tbDpT10_ENKUlT_T0_E_clISt17integral_constantIbLb0EES1B_EEDaS16_S17_EUlS16_E_NS1_11comp_targetILNS1_3genE10ELNS1_11target_archE1200ELNS1_3gpuE4ELNS1_3repE0EEENS1_30default_config_static_selectorELNS0_4arch9wavefront6targetE1EEEvT1_
		.amdhsa_group_segment_fixed_size 0
		.amdhsa_private_segment_fixed_size 0
		.amdhsa_kernarg_size 136
		.amdhsa_user_sgpr_count 2
		.amdhsa_user_sgpr_dispatch_ptr 0
		.amdhsa_user_sgpr_queue_ptr 0
		.amdhsa_user_sgpr_kernarg_segment_ptr 1
		.amdhsa_user_sgpr_dispatch_id 0
		.amdhsa_user_sgpr_kernarg_preload_length 0
		.amdhsa_user_sgpr_kernarg_preload_offset 0
		.amdhsa_user_sgpr_private_segment_size 0
		.amdhsa_uses_dynamic_stack 0
		.amdhsa_enable_private_segment 0
		.amdhsa_system_sgpr_workgroup_id_x 1
		.amdhsa_system_sgpr_workgroup_id_y 0
		.amdhsa_system_sgpr_workgroup_id_z 0
		.amdhsa_system_sgpr_workgroup_info 0
		.amdhsa_system_vgpr_workitem_id 0
		.amdhsa_next_free_vgpr 1
		.amdhsa_next_free_sgpr 0
		.amdhsa_accum_offset 4
		.amdhsa_reserve_vcc 0
		.amdhsa_float_round_mode_32 0
		.amdhsa_float_round_mode_16_64 0
		.amdhsa_float_denorm_mode_32 3
		.amdhsa_float_denorm_mode_16_64 3
		.amdhsa_dx10_clamp 1
		.amdhsa_ieee_mode 1
		.amdhsa_fp16_overflow 0
		.amdhsa_tg_split 0
		.amdhsa_exception_fp_ieee_invalid_op 0
		.amdhsa_exception_fp_denorm_src 0
		.amdhsa_exception_fp_ieee_div_zero 0
		.amdhsa_exception_fp_ieee_overflow 0
		.amdhsa_exception_fp_ieee_underflow 0
		.amdhsa_exception_fp_ieee_inexact 0
		.amdhsa_exception_int_div_zero 0
	.end_amdhsa_kernel
	.section	.text._ZN7rocprim17ROCPRIM_400000_NS6detail17trampoline_kernelINS0_14default_configENS1_25partition_config_selectorILNS1_17partition_subalgoE1EtNS0_10empty_typeEbEEZZNS1_14partition_implILS5_1ELb0ES3_jN6thrust23THRUST_200600_302600_NS6detail15normal_iteratorINSA_10device_ptrItEEEEPS6_NSA_18transform_iteratorI7is_evenItESF_NSA_11use_defaultESK_EENS0_5tupleIJSF_NSA_16discard_iteratorISK_EEEEENSM_IJSG_SG_EEES6_PlJS6_EEE10hipError_tPvRmT3_T4_T5_T6_T7_T9_mT8_P12ihipStream_tbDpT10_ENKUlT_T0_E_clISt17integral_constantIbLb0EES1B_EEDaS16_S17_EUlS16_E_NS1_11comp_targetILNS1_3genE10ELNS1_11target_archE1200ELNS1_3gpuE4ELNS1_3repE0EEENS1_30default_config_static_selectorELNS0_4arch9wavefront6targetE1EEEvT1_,"axG",@progbits,_ZN7rocprim17ROCPRIM_400000_NS6detail17trampoline_kernelINS0_14default_configENS1_25partition_config_selectorILNS1_17partition_subalgoE1EtNS0_10empty_typeEbEEZZNS1_14partition_implILS5_1ELb0ES3_jN6thrust23THRUST_200600_302600_NS6detail15normal_iteratorINSA_10device_ptrItEEEEPS6_NSA_18transform_iteratorI7is_evenItESF_NSA_11use_defaultESK_EENS0_5tupleIJSF_NSA_16discard_iteratorISK_EEEEENSM_IJSG_SG_EEES6_PlJS6_EEE10hipError_tPvRmT3_T4_T5_T6_T7_T9_mT8_P12ihipStream_tbDpT10_ENKUlT_T0_E_clISt17integral_constantIbLb0EES1B_EEDaS16_S17_EUlS16_E_NS1_11comp_targetILNS1_3genE10ELNS1_11target_archE1200ELNS1_3gpuE4ELNS1_3repE0EEENS1_30default_config_static_selectorELNS0_4arch9wavefront6targetE1EEEvT1_,comdat
.Lfunc_end3104:
	.size	_ZN7rocprim17ROCPRIM_400000_NS6detail17trampoline_kernelINS0_14default_configENS1_25partition_config_selectorILNS1_17partition_subalgoE1EtNS0_10empty_typeEbEEZZNS1_14partition_implILS5_1ELb0ES3_jN6thrust23THRUST_200600_302600_NS6detail15normal_iteratorINSA_10device_ptrItEEEEPS6_NSA_18transform_iteratorI7is_evenItESF_NSA_11use_defaultESK_EENS0_5tupleIJSF_NSA_16discard_iteratorISK_EEEEENSM_IJSG_SG_EEES6_PlJS6_EEE10hipError_tPvRmT3_T4_T5_T6_T7_T9_mT8_P12ihipStream_tbDpT10_ENKUlT_T0_E_clISt17integral_constantIbLb0EES1B_EEDaS16_S17_EUlS16_E_NS1_11comp_targetILNS1_3genE10ELNS1_11target_archE1200ELNS1_3gpuE4ELNS1_3repE0EEENS1_30default_config_static_selectorELNS0_4arch9wavefront6targetE1EEEvT1_, .Lfunc_end3104-_ZN7rocprim17ROCPRIM_400000_NS6detail17trampoline_kernelINS0_14default_configENS1_25partition_config_selectorILNS1_17partition_subalgoE1EtNS0_10empty_typeEbEEZZNS1_14partition_implILS5_1ELb0ES3_jN6thrust23THRUST_200600_302600_NS6detail15normal_iteratorINSA_10device_ptrItEEEEPS6_NSA_18transform_iteratorI7is_evenItESF_NSA_11use_defaultESK_EENS0_5tupleIJSF_NSA_16discard_iteratorISK_EEEEENSM_IJSG_SG_EEES6_PlJS6_EEE10hipError_tPvRmT3_T4_T5_T6_T7_T9_mT8_P12ihipStream_tbDpT10_ENKUlT_T0_E_clISt17integral_constantIbLb0EES1B_EEDaS16_S17_EUlS16_E_NS1_11comp_targetILNS1_3genE10ELNS1_11target_archE1200ELNS1_3gpuE4ELNS1_3repE0EEENS1_30default_config_static_selectorELNS0_4arch9wavefront6targetE1EEEvT1_
                                        ; -- End function
	.section	.AMDGPU.csdata,"",@progbits
; Kernel info:
; codeLenInByte = 0
; NumSgprs: 6
; NumVgprs: 0
; NumAgprs: 0
; TotalNumVgprs: 0
; ScratchSize: 0
; MemoryBound: 0
; FloatMode: 240
; IeeeMode: 1
; LDSByteSize: 0 bytes/workgroup (compile time only)
; SGPRBlocks: 0
; VGPRBlocks: 0
; NumSGPRsForWavesPerEU: 6
; NumVGPRsForWavesPerEU: 1
; AccumOffset: 4
; Occupancy: 8
; WaveLimiterHint : 0
; COMPUTE_PGM_RSRC2:SCRATCH_EN: 0
; COMPUTE_PGM_RSRC2:USER_SGPR: 2
; COMPUTE_PGM_RSRC2:TRAP_HANDLER: 0
; COMPUTE_PGM_RSRC2:TGID_X_EN: 1
; COMPUTE_PGM_RSRC2:TGID_Y_EN: 0
; COMPUTE_PGM_RSRC2:TGID_Z_EN: 0
; COMPUTE_PGM_RSRC2:TIDIG_COMP_CNT: 0
; COMPUTE_PGM_RSRC3_GFX90A:ACCUM_OFFSET: 0
; COMPUTE_PGM_RSRC3_GFX90A:TG_SPLIT: 0
	.section	.text._ZN7rocprim17ROCPRIM_400000_NS6detail17trampoline_kernelINS0_14default_configENS1_25partition_config_selectorILNS1_17partition_subalgoE1EtNS0_10empty_typeEbEEZZNS1_14partition_implILS5_1ELb0ES3_jN6thrust23THRUST_200600_302600_NS6detail15normal_iteratorINSA_10device_ptrItEEEEPS6_NSA_18transform_iteratorI7is_evenItESF_NSA_11use_defaultESK_EENS0_5tupleIJSF_NSA_16discard_iteratorISK_EEEEENSM_IJSG_SG_EEES6_PlJS6_EEE10hipError_tPvRmT3_T4_T5_T6_T7_T9_mT8_P12ihipStream_tbDpT10_ENKUlT_T0_E_clISt17integral_constantIbLb0EES1B_EEDaS16_S17_EUlS16_E_NS1_11comp_targetILNS1_3genE9ELNS1_11target_archE1100ELNS1_3gpuE3ELNS1_3repE0EEENS1_30default_config_static_selectorELNS0_4arch9wavefront6targetE1EEEvT1_,"axG",@progbits,_ZN7rocprim17ROCPRIM_400000_NS6detail17trampoline_kernelINS0_14default_configENS1_25partition_config_selectorILNS1_17partition_subalgoE1EtNS0_10empty_typeEbEEZZNS1_14partition_implILS5_1ELb0ES3_jN6thrust23THRUST_200600_302600_NS6detail15normal_iteratorINSA_10device_ptrItEEEEPS6_NSA_18transform_iteratorI7is_evenItESF_NSA_11use_defaultESK_EENS0_5tupleIJSF_NSA_16discard_iteratorISK_EEEEENSM_IJSG_SG_EEES6_PlJS6_EEE10hipError_tPvRmT3_T4_T5_T6_T7_T9_mT8_P12ihipStream_tbDpT10_ENKUlT_T0_E_clISt17integral_constantIbLb0EES1B_EEDaS16_S17_EUlS16_E_NS1_11comp_targetILNS1_3genE9ELNS1_11target_archE1100ELNS1_3gpuE3ELNS1_3repE0EEENS1_30default_config_static_selectorELNS0_4arch9wavefront6targetE1EEEvT1_,comdat
	.protected	_ZN7rocprim17ROCPRIM_400000_NS6detail17trampoline_kernelINS0_14default_configENS1_25partition_config_selectorILNS1_17partition_subalgoE1EtNS0_10empty_typeEbEEZZNS1_14partition_implILS5_1ELb0ES3_jN6thrust23THRUST_200600_302600_NS6detail15normal_iteratorINSA_10device_ptrItEEEEPS6_NSA_18transform_iteratorI7is_evenItESF_NSA_11use_defaultESK_EENS0_5tupleIJSF_NSA_16discard_iteratorISK_EEEEENSM_IJSG_SG_EEES6_PlJS6_EEE10hipError_tPvRmT3_T4_T5_T6_T7_T9_mT8_P12ihipStream_tbDpT10_ENKUlT_T0_E_clISt17integral_constantIbLb0EES1B_EEDaS16_S17_EUlS16_E_NS1_11comp_targetILNS1_3genE9ELNS1_11target_archE1100ELNS1_3gpuE3ELNS1_3repE0EEENS1_30default_config_static_selectorELNS0_4arch9wavefront6targetE1EEEvT1_ ; -- Begin function _ZN7rocprim17ROCPRIM_400000_NS6detail17trampoline_kernelINS0_14default_configENS1_25partition_config_selectorILNS1_17partition_subalgoE1EtNS0_10empty_typeEbEEZZNS1_14partition_implILS5_1ELb0ES3_jN6thrust23THRUST_200600_302600_NS6detail15normal_iteratorINSA_10device_ptrItEEEEPS6_NSA_18transform_iteratorI7is_evenItESF_NSA_11use_defaultESK_EENS0_5tupleIJSF_NSA_16discard_iteratorISK_EEEEENSM_IJSG_SG_EEES6_PlJS6_EEE10hipError_tPvRmT3_T4_T5_T6_T7_T9_mT8_P12ihipStream_tbDpT10_ENKUlT_T0_E_clISt17integral_constantIbLb0EES1B_EEDaS16_S17_EUlS16_E_NS1_11comp_targetILNS1_3genE9ELNS1_11target_archE1100ELNS1_3gpuE3ELNS1_3repE0EEENS1_30default_config_static_selectorELNS0_4arch9wavefront6targetE1EEEvT1_
	.globl	_ZN7rocprim17ROCPRIM_400000_NS6detail17trampoline_kernelINS0_14default_configENS1_25partition_config_selectorILNS1_17partition_subalgoE1EtNS0_10empty_typeEbEEZZNS1_14partition_implILS5_1ELb0ES3_jN6thrust23THRUST_200600_302600_NS6detail15normal_iteratorINSA_10device_ptrItEEEEPS6_NSA_18transform_iteratorI7is_evenItESF_NSA_11use_defaultESK_EENS0_5tupleIJSF_NSA_16discard_iteratorISK_EEEEENSM_IJSG_SG_EEES6_PlJS6_EEE10hipError_tPvRmT3_T4_T5_T6_T7_T9_mT8_P12ihipStream_tbDpT10_ENKUlT_T0_E_clISt17integral_constantIbLb0EES1B_EEDaS16_S17_EUlS16_E_NS1_11comp_targetILNS1_3genE9ELNS1_11target_archE1100ELNS1_3gpuE3ELNS1_3repE0EEENS1_30default_config_static_selectorELNS0_4arch9wavefront6targetE1EEEvT1_
	.p2align	8
	.type	_ZN7rocprim17ROCPRIM_400000_NS6detail17trampoline_kernelINS0_14default_configENS1_25partition_config_selectorILNS1_17partition_subalgoE1EtNS0_10empty_typeEbEEZZNS1_14partition_implILS5_1ELb0ES3_jN6thrust23THRUST_200600_302600_NS6detail15normal_iteratorINSA_10device_ptrItEEEEPS6_NSA_18transform_iteratorI7is_evenItESF_NSA_11use_defaultESK_EENS0_5tupleIJSF_NSA_16discard_iteratorISK_EEEEENSM_IJSG_SG_EEES6_PlJS6_EEE10hipError_tPvRmT3_T4_T5_T6_T7_T9_mT8_P12ihipStream_tbDpT10_ENKUlT_T0_E_clISt17integral_constantIbLb0EES1B_EEDaS16_S17_EUlS16_E_NS1_11comp_targetILNS1_3genE9ELNS1_11target_archE1100ELNS1_3gpuE3ELNS1_3repE0EEENS1_30default_config_static_selectorELNS0_4arch9wavefront6targetE1EEEvT1_,@function
_ZN7rocprim17ROCPRIM_400000_NS6detail17trampoline_kernelINS0_14default_configENS1_25partition_config_selectorILNS1_17partition_subalgoE1EtNS0_10empty_typeEbEEZZNS1_14partition_implILS5_1ELb0ES3_jN6thrust23THRUST_200600_302600_NS6detail15normal_iteratorINSA_10device_ptrItEEEEPS6_NSA_18transform_iteratorI7is_evenItESF_NSA_11use_defaultESK_EENS0_5tupleIJSF_NSA_16discard_iteratorISK_EEEEENSM_IJSG_SG_EEES6_PlJS6_EEE10hipError_tPvRmT3_T4_T5_T6_T7_T9_mT8_P12ihipStream_tbDpT10_ENKUlT_T0_E_clISt17integral_constantIbLb0EES1B_EEDaS16_S17_EUlS16_E_NS1_11comp_targetILNS1_3genE9ELNS1_11target_archE1100ELNS1_3gpuE3ELNS1_3repE0EEENS1_30default_config_static_selectorELNS0_4arch9wavefront6targetE1EEEvT1_: ; @_ZN7rocprim17ROCPRIM_400000_NS6detail17trampoline_kernelINS0_14default_configENS1_25partition_config_selectorILNS1_17partition_subalgoE1EtNS0_10empty_typeEbEEZZNS1_14partition_implILS5_1ELb0ES3_jN6thrust23THRUST_200600_302600_NS6detail15normal_iteratorINSA_10device_ptrItEEEEPS6_NSA_18transform_iteratorI7is_evenItESF_NSA_11use_defaultESK_EENS0_5tupleIJSF_NSA_16discard_iteratorISK_EEEEENSM_IJSG_SG_EEES6_PlJS6_EEE10hipError_tPvRmT3_T4_T5_T6_T7_T9_mT8_P12ihipStream_tbDpT10_ENKUlT_T0_E_clISt17integral_constantIbLb0EES1B_EEDaS16_S17_EUlS16_E_NS1_11comp_targetILNS1_3genE9ELNS1_11target_archE1100ELNS1_3gpuE3ELNS1_3repE0EEENS1_30default_config_static_selectorELNS0_4arch9wavefront6targetE1EEEvT1_
; %bb.0:
	.section	.rodata,"a",@progbits
	.p2align	6, 0x0
	.amdhsa_kernel _ZN7rocprim17ROCPRIM_400000_NS6detail17trampoline_kernelINS0_14default_configENS1_25partition_config_selectorILNS1_17partition_subalgoE1EtNS0_10empty_typeEbEEZZNS1_14partition_implILS5_1ELb0ES3_jN6thrust23THRUST_200600_302600_NS6detail15normal_iteratorINSA_10device_ptrItEEEEPS6_NSA_18transform_iteratorI7is_evenItESF_NSA_11use_defaultESK_EENS0_5tupleIJSF_NSA_16discard_iteratorISK_EEEEENSM_IJSG_SG_EEES6_PlJS6_EEE10hipError_tPvRmT3_T4_T5_T6_T7_T9_mT8_P12ihipStream_tbDpT10_ENKUlT_T0_E_clISt17integral_constantIbLb0EES1B_EEDaS16_S17_EUlS16_E_NS1_11comp_targetILNS1_3genE9ELNS1_11target_archE1100ELNS1_3gpuE3ELNS1_3repE0EEENS1_30default_config_static_selectorELNS0_4arch9wavefront6targetE1EEEvT1_
		.amdhsa_group_segment_fixed_size 0
		.amdhsa_private_segment_fixed_size 0
		.amdhsa_kernarg_size 136
		.amdhsa_user_sgpr_count 2
		.amdhsa_user_sgpr_dispatch_ptr 0
		.amdhsa_user_sgpr_queue_ptr 0
		.amdhsa_user_sgpr_kernarg_segment_ptr 1
		.amdhsa_user_sgpr_dispatch_id 0
		.amdhsa_user_sgpr_kernarg_preload_length 0
		.amdhsa_user_sgpr_kernarg_preload_offset 0
		.amdhsa_user_sgpr_private_segment_size 0
		.amdhsa_uses_dynamic_stack 0
		.amdhsa_enable_private_segment 0
		.amdhsa_system_sgpr_workgroup_id_x 1
		.amdhsa_system_sgpr_workgroup_id_y 0
		.amdhsa_system_sgpr_workgroup_id_z 0
		.amdhsa_system_sgpr_workgroup_info 0
		.amdhsa_system_vgpr_workitem_id 0
		.amdhsa_next_free_vgpr 1
		.amdhsa_next_free_sgpr 0
		.amdhsa_accum_offset 4
		.amdhsa_reserve_vcc 0
		.amdhsa_float_round_mode_32 0
		.amdhsa_float_round_mode_16_64 0
		.amdhsa_float_denorm_mode_32 3
		.amdhsa_float_denorm_mode_16_64 3
		.amdhsa_dx10_clamp 1
		.amdhsa_ieee_mode 1
		.amdhsa_fp16_overflow 0
		.amdhsa_tg_split 0
		.amdhsa_exception_fp_ieee_invalid_op 0
		.amdhsa_exception_fp_denorm_src 0
		.amdhsa_exception_fp_ieee_div_zero 0
		.amdhsa_exception_fp_ieee_overflow 0
		.amdhsa_exception_fp_ieee_underflow 0
		.amdhsa_exception_fp_ieee_inexact 0
		.amdhsa_exception_int_div_zero 0
	.end_amdhsa_kernel
	.section	.text._ZN7rocprim17ROCPRIM_400000_NS6detail17trampoline_kernelINS0_14default_configENS1_25partition_config_selectorILNS1_17partition_subalgoE1EtNS0_10empty_typeEbEEZZNS1_14partition_implILS5_1ELb0ES3_jN6thrust23THRUST_200600_302600_NS6detail15normal_iteratorINSA_10device_ptrItEEEEPS6_NSA_18transform_iteratorI7is_evenItESF_NSA_11use_defaultESK_EENS0_5tupleIJSF_NSA_16discard_iteratorISK_EEEEENSM_IJSG_SG_EEES6_PlJS6_EEE10hipError_tPvRmT3_T4_T5_T6_T7_T9_mT8_P12ihipStream_tbDpT10_ENKUlT_T0_E_clISt17integral_constantIbLb0EES1B_EEDaS16_S17_EUlS16_E_NS1_11comp_targetILNS1_3genE9ELNS1_11target_archE1100ELNS1_3gpuE3ELNS1_3repE0EEENS1_30default_config_static_selectorELNS0_4arch9wavefront6targetE1EEEvT1_,"axG",@progbits,_ZN7rocprim17ROCPRIM_400000_NS6detail17trampoline_kernelINS0_14default_configENS1_25partition_config_selectorILNS1_17partition_subalgoE1EtNS0_10empty_typeEbEEZZNS1_14partition_implILS5_1ELb0ES3_jN6thrust23THRUST_200600_302600_NS6detail15normal_iteratorINSA_10device_ptrItEEEEPS6_NSA_18transform_iteratorI7is_evenItESF_NSA_11use_defaultESK_EENS0_5tupleIJSF_NSA_16discard_iteratorISK_EEEEENSM_IJSG_SG_EEES6_PlJS6_EEE10hipError_tPvRmT3_T4_T5_T6_T7_T9_mT8_P12ihipStream_tbDpT10_ENKUlT_T0_E_clISt17integral_constantIbLb0EES1B_EEDaS16_S17_EUlS16_E_NS1_11comp_targetILNS1_3genE9ELNS1_11target_archE1100ELNS1_3gpuE3ELNS1_3repE0EEENS1_30default_config_static_selectorELNS0_4arch9wavefront6targetE1EEEvT1_,comdat
.Lfunc_end3105:
	.size	_ZN7rocprim17ROCPRIM_400000_NS6detail17trampoline_kernelINS0_14default_configENS1_25partition_config_selectorILNS1_17partition_subalgoE1EtNS0_10empty_typeEbEEZZNS1_14partition_implILS5_1ELb0ES3_jN6thrust23THRUST_200600_302600_NS6detail15normal_iteratorINSA_10device_ptrItEEEEPS6_NSA_18transform_iteratorI7is_evenItESF_NSA_11use_defaultESK_EENS0_5tupleIJSF_NSA_16discard_iteratorISK_EEEEENSM_IJSG_SG_EEES6_PlJS6_EEE10hipError_tPvRmT3_T4_T5_T6_T7_T9_mT8_P12ihipStream_tbDpT10_ENKUlT_T0_E_clISt17integral_constantIbLb0EES1B_EEDaS16_S17_EUlS16_E_NS1_11comp_targetILNS1_3genE9ELNS1_11target_archE1100ELNS1_3gpuE3ELNS1_3repE0EEENS1_30default_config_static_selectorELNS0_4arch9wavefront6targetE1EEEvT1_, .Lfunc_end3105-_ZN7rocprim17ROCPRIM_400000_NS6detail17trampoline_kernelINS0_14default_configENS1_25partition_config_selectorILNS1_17partition_subalgoE1EtNS0_10empty_typeEbEEZZNS1_14partition_implILS5_1ELb0ES3_jN6thrust23THRUST_200600_302600_NS6detail15normal_iteratorINSA_10device_ptrItEEEEPS6_NSA_18transform_iteratorI7is_evenItESF_NSA_11use_defaultESK_EENS0_5tupleIJSF_NSA_16discard_iteratorISK_EEEEENSM_IJSG_SG_EEES6_PlJS6_EEE10hipError_tPvRmT3_T4_T5_T6_T7_T9_mT8_P12ihipStream_tbDpT10_ENKUlT_T0_E_clISt17integral_constantIbLb0EES1B_EEDaS16_S17_EUlS16_E_NS1_11comp_targetILNS1_3genE9ELNS1_11target_archE1100ELNS1_3gpuE3ELNS1_3repE0EEENS1_30default_config_static_selectorELNS0_4arch9wavefront6targetE1EEEvT1_
                                        ; -- End function
	.section	.AMDGPU.csdata,"",@progbits
; Kernel info:
; codeLenInByte = 0
; NumSgprs: 6
; NumVgprs: 0
; NumAgprs: 0
; TotalNumVgprs: 0
; ScratchSize: 0
; MemoryBound: 0
; FloatMode: 240
; IeeeMode: 1
; LDSByteSize: 0 bytes/workgroup (compile time only)
; SGPRBlocks: 0
; VGPRBlocks: 0
; NumSGPRsForWavesPerEU: 6
; NumVGPRsForWavesPerEU: 1
; AccumOffset: 4
; Occupancy: 8
; WaveLimiterHint : 0
; COMPUTE_PGM_RSRC2:SCRATCH_EN: 0
; COMPUTE_PGM_RSRC2:USER_SGPR: 2
; COMPUTE_PGM_RSRC2:TRAP_HANDLER: 0
; COMPUTE_PGM_RSRC2:TGID_X_EN: 1
; COMPUTE_PGM_RSRC2:TGID_Y_EN: 0
; COMPUTE_PGM_RSRC2:TGID_Z_EN: 0
; COMPUTE_PGM_RSRC2:TIDIG_COMP_CNT: 0
; COMPUTE_PGM_RSRC3_GFX90A:ACCUM_OFFSET: 0
; COMPUTE_PGM_RSRC3_GFX90A:TG_SPLIT: 0
	.section	.text._ZN7rocprim17ROCPRIM_400000_NS6detail17trampoline_kernelINS0_14default_configENS1_25partition_config_selectorILNS1_17partition_subalgoE1EtNS0_10empty_typeEbEEZZNS1_14partition_implILS5_1ELb0ES3_jN6thrust23THRUST_200600_302600_NS6detail15normal_iteratorINSA_10device_ptrItEEEEPS6_NSA_18transform_iteratorI7is_evenItESF_NSA_11use_defaultESK_EENS0_5tupleIJSF_NSA_16discard_iteratorISK_EEEEENSM_IJSG_SG_EEES6_PlJS6_EEE10hipError_tPvRmT3_T4_T5_T6_T7_T9_mT8_P12ihipStream_tbDpT10_ENKUlT_T0_E_clISt17integral_constantIbLb0EES1B_EEDaS16_S17_EUlS16_E_NS1_11comp_targetILNS1_3genE8ELNS1_11target_archE1030ELNS1_3gpuE2ELNS1_3repE0EEENS1_30default_config_static_selectorELNS0_4arch9wavefront6targetE1EEEvT1_,"axG",@progbits,_ZN7rocprim17ROCPRIM_400000_NS6detail17trampoline_kernelINS0_14default_configENS1_25partition_config_selectorILNS1_17partition_subalgoE1EtNS0_10empty_typeEbEEZZNS1_14partition_implILS5_1ELb0ES3_jN6thrust23THRUST_200600_302600_NS6detail15normal_iteratorINSA_10device_ptrItEEEEPS6_NSA_18transform_iteratorI7is_evenItESF_NSA_11use_defaultESK_EENS0_5tupleIJSF_NSA_16discard_iteratorISK_EEEEENSM_IJSG_SG_EEES6_PlJS6_EEE10hipError_tPvRmT3_T4_T5_T6_T7_T9_mT8_P12ihipStream_tbDpT10_ENKUlT_T0_E_clISt17integral_constantIbLb0EES1B_EEDaS16_S17_EUlS16_E_NS1_11comp_targetILNS1_3genE8ELNS1_11target_archE1030ELNS1_3gpuE2ELNS1_3repE0EEENS1_30default_config_static_selectorELNS0_4arch9wavefront6targetE1EEEvT1_,comdat
	.protected	_ZN7rocprim17ROCPRIM_400000_NS6detail17trampoline_kernelINS0_14default_configENS1_25partition_config_selectorILNS1_17partition_subalgoE1EtNS0_10empty_typeEbEEZZNS1_14partition_implILS5_1ELb0ES3_jN6thrust23THRUST_200600_302600_NS6detail15normal_iteratorINSA_10device_ptrItEEEEPS6_NSA_18transform_iteratorI7is_evenItESF_NSA_11use_defaultESK_EENS0_5tupleIJSF_NSA_16discard_iteratorISK_EEEEENSM_IJSG_SG_EEES6_PlJS6_EEE10hipError_tPvRmT3_T4_T5_T6_T7_T9_mT8_P12ihipStream_tbDpT10_ENKUlT_T0_E_clISt17integral_constantIbLb0EES1B_EEDaS16_S17_EUlS16_E_NS1_11comp_targetILNS1_3genE8ELNS1_11target_archE1030ELNS1_3gpuE2ELNS1_3repE0EEENS1_30default_config_static_selectorELNS0_4arch9wavefront6targetE1EEEvT1_ ; -- Begin function _ZN7rocprim17ROCPRIM_400000_NS6detail17trampoline_kernelINS0_14default_configENS1_25partition_config_selectorILNS1_17partition_subalgoE1EtNS0_10empty_typeEbEEZZNS1_14partition_implILS5_1ELb0ES3_jN6thrust23THRUST_200600_302600_NS6detail15normal_iteratorINSA_10device_ptrItEEEEPS6_NSA_18transform_iteratorI7is_evenItESF_NSA_11use_defaultESK_EENS0_5tupleIJSF_NSA_16discard_iteratorISK_EEEEENSM_IJSG_SG_EEES6_PlJS6_EEE10hipError_tPvRmT3_T4_T5_T6_T7_T9_mT8_P12ihipStream_tbDpT10_ENKUlT_T0_E_clISt17integral_constantIbLb0EES1B_EEDaS16_S17_EUlS16_E_NS1_11comp_targetILNS1_3genE8ELNS1_11target_archE1030ELNS1_3gpuE2ELNS1_3repE0EEENS1_30default_config_static_selectorELNS0_4arch9wavefront6targetE1EEEvT1_
	.globl	_ZN7rocprim17ROCPRIM_400000_NS6detail17trampoline_kernelINS0_14default_configENS1_25partition_config_selectorILNS1_17partition_subalgoE1EtNS0_10empty_typeEbEEZZNS1_14partition_implILS5_1ELb0ES3_jN6thrust23THRUST_200600_302600_NS6detail15normal_iteratorINSA_10device_ptrItEEEEPS6_NSA_18transform_iteratorI7is_evenItESF_NSA_11use_defaultESK_EENS0_5tupleIJSF_NSA_16discard_iteratorISK_EEEEENSM_IJSG_SG_EEES6_PlJS6_EEE10hipError_tPvRmT3_T4_T5_T6_T7_T9_mT8_P12ihipStream_tbDpT10_ENKUlT_T0_E_clISt17integral_constantIbLb0EES1B_EEDaS16_S17_EUlS16_E_NS1_11comp_targetILNS1_3genE8ELNS1_11target_archE1030ELNS1_3gpuE2ELNS1_3repE0EEENS1_30default_config_static_selectorELNS0_4arch9wavefront6targetE1EEEvT1_
	.p2align	8
	.type	_ZN7rocprim17ROCPRIM_400000_NS6detail17trampoline_kernelINS0_14default_configENS1_25partition_config_selectorILNS1_17partition_subalgoE1EtNS0_10empty_typeEbEEZZNS1_14partition_implILS5_1ELb0ES3_jN6thrust23THRUST_200600_302600_NS6detail15normal_iteratorINSA_10device_ptrItEEEEPS6_NSA_18transform_iteratorI7is_evenItESF_NSA_11use_defaultESK_EENS0_5tupleIJSF_NSA_16discard_iteratorISK_EEEEENSM_IJSG_SG_EEES6_PlJS6_EEE10hipError_tPvRmT3_T4_T5_T6_T7_T9_mT8_P12ihipStream_tbDpT10_ENKUlT_T0_E_clISt17integral_constantIbLb0EES1B_EEDaS16_S17_EUlS16_E_NS1_11comp_targetILNS1_3genE8ELNS1_11target_archE1030ELNS1_3gpuE2ELNS1_3repE0EEENS1_30default_config_static_selectorELNS0_4arch9wavefront6targetE1EEEvT1_,@function
_ZN7rocprim17ROCPRIM_400000_NS6detail17trampoline_kernelINS0_14default_configENS1_25partition_config_selectorILNS1_17partition_subalgoE1EtNS0_10empty_typeEbEEZZNS1_14partition_implILS5_1ELb0ES3_jN6thrust23THRUST_200600_302600_NS6detail15normal_iteratorINSA_10device_ptrItEEEEPS6_NSA_18transform_iteratorI7is_evenItESF_NSA_11use_defaultESK_EENS0_5tupleIJSF_NSA_16discard_iteratorISK_EEEEENSM_IJSG_SG_EEES6_PlJS6_EEE10hipError_tPvRmT3_T4_T5_T6_T7_T9_mT8_P12ihipStream_tbDpT10_ENKUlT_T0_E_clISt17integral_constantIbLb0EES1B_EEDaS16_S17_EUlS16_E_NS1_11comp_targetILNS1_3genE8ELNS1_11target_archE1030ELNS1_3gpuE2ELNS1_3repE0EEENS1_30default_config_static_selectorELNS0_4arch9wavefront6targetE1EEEvT1_: ; @_ZN7rocprim17ROCPRIM_400000_NS6detail17trampoline_kernelINS0_14default_configENS1_25partition_config_selectorILNS1_17partition_subalgoE1EtNS0_10empty_typeEbEEZZNS1_14partition_implILS5_1ELb0ES3_jN6thrust23THRUST_200600_302600_NS6detail15normal_iteratorINSA_10device_ptrItEEEEPS6_NSA_18transform_iteratorI7is_evenItESF_NSA_11use_defaultESK_EENS0_5tupleIJSF_NSA_16discard_iteratorISK_EEEEENSM_IJSG_SG_EEES6_PlJS6_EEE10hipError_tPvRmT3_T4_T5_T6_T7_T9_mT8_P12ihipStream_tbDpT10_ENKUlT_T0_E_clISt17integral_constantIbLb0EES1B_EEDaS16_S17_EUlS16_E_NS1_11comp_targetILNS1_3genE8ELNS1_11target_archE1030ELNS1_3gpuE2ELNS1_3repE0EEENS1_30default_config_static_selectorELNS0_4arch9wavefront6targetE1EEEvT1_
; %bb.0:
	.section	.rodata,"a",@progbits
	.p2align	6, 0x0
	.amdhsa_kernel _ZN7rocprim17ROCPRIM_400000_NS6detail17trampoline_kernelINS0_14default_configENS1_25partition_config_selectorILNS1_17partition_subalgoE1EtNS0_10empty_typeEbEEZZNS1_14partition_implILS5_1ELb0ES3_jN6thrust23THRUST_200600_302600_NS6detail15normal_iteratorINSA_10device_ptrItEEEEPS6_NSA_18transform_iteratorI7is_evenItESF_NSA_11use_defaultESK_EENS0_5tupleIJSF_NSA_16discard_iteratorISK_EEEEENSM_IJSG_SG_EEES6_PlJS6_EEE10hipError_tPvRmT3_T4_T5_T6_T7_T9_mT8_P12ihipStream_tbDpT10_ENKUlT_T0_E_clISt17integral_constantIbLb0EES1B_EEDaS16_S17_EUlS16_E_NS1_11comp_targetILNS1_3genE8ELNS1_11target_archE1030ELNS1_3gpuE2ELNS1_3repE0EEENS1_30default_config_static_selectorELNS0_4arch9wavefront6targetE1EEEvT1_
		.amdhsa_group_segment_fixed_size 0
		.amdhsa_private_segment_fixed_size 0
		.amdhsa_kernarg_size 136
		.amdhsa_user_sgpr_count 2
		.amdhsa_user_sgpr_dispatch_ptr 0
		.amdhsa_user_sgpr_queue_ptr 0
		.amdhsa_user_sgpr_kernarg_segment_ptr 1
		.amdhsa_user_sgpr_dispatch_id 0
		.amdhsa_user_sgpr_kernarg_preload_length 0
		.amdhsa_user_sgpr_kernarg_preload_offset 0
		.amdhsa_user_sgpr_private_segment_size 0
		.amdhsa_uses_dynamic_stack 0
		.amdhsa_enable_private_segment 0
		.amdhsa_system_sgpr_workgroup_id_x 1
		.amdhsa_system_sgpr_workgroup_id_y 0
		.amdhsa_system_sgpr_workgroup_id_z 0
		.amdhsa_system_sgpr_workgroup_info 0
		.amdhsa_system_vgpr_workitem_id 0
		.amdhsa_next_free_vgpr 1
		.amdhsa_next_free_sgpr 0
		.amdhsa_accum_offset 4
		.amdhsa_reserve_vcc 0
		.amdhsa_float_round_mode_32 0
		.amdhsa_float_round_mode_16_64 0
		.amdhsa_float_denorm_mode_32 3
		.amdhsa_float_denorm_mode_16_64 3
		.amdhsa_dx10_clamp 1
		.amdhsa_ieee_mode 1
		.amdhsa_fp16_overflow 0
		.amdhsa_tg_split 0
		.amdhsa_exception_fp_ieee_invalid_op 0
		.amdhsa_exception_fp_denorm_src 0
		.amdhsa_exception_fp_ieee_div_zero 0
		.amdhsa_exception_fp_ieee_overflow 0
		.amdhsa_exception_fp_ieee_underflow 0
		.amdhsa_exception_fp_ieee_inexact 0
		.amdhsa_exception_int_div_zero 0
	.end_amdhsa_kernel
	.section	.text._ZN7rocprim17ROCPRIM_400000_NS6detail17trampoline_kernelINS0_14default_configENS1_25partition_config_selectorILNS1_17partition_subalgoE1EtNS0_10empty_typeEbEEZZNS1_14partition_implILS5_1ELb0ES3_jN6thrust23THRUST_200600_302600_NS6detail15normal_iteratorINSA_10device_ptrItEEEEPS6_NSA_18transform_iteratorI7is_evenItESF_NSA_11use_defaultESK_EENS0_5tupleIJSF_NSA_16discard_iteratorISK_EEEEENSM_IJSG_SG_EEES6_PlJS6_EEE10hipError_tPvRmT3_T4_T5_T6_T7_T9_mT8_P12ihipStream_tbDpT10_ENKUlT_T0_E_clISt17integral_constantIbLb0EES1B_EEDaS16_S17_EUlS16_E_NS1_11comp_targetILNS1_3genE8ELNS1_11target_archE1030ELNS1_3gpuE2ELNS1_3repE0EEENS1_30default_config_static_selectorELNS0_4arch9wavefront6targetE1EEEvT1_,"axG",@progbits,_ZN7rocprim17ROCPRIM_400000_NS6detail17trampoline_kernelINS0_14default_configENS1_25partition_config_selectorILNS1_17partition_subalgoE1EtNS0_10empty_typeEbEEZZNS1_14partition_implILS5_1ELb0ES3_jN6thrust23THRUST_200600_302600_NS6detail15normal_iteratorINSA_10device_ptrItEEEEPS6_NSA_18transform_iteratorI7is_evenItESF_NSA_11use_defaultESK_EENS0_5tupleIJSF_NSA_16discard_iteratorISK_EEEEENSM_IJSG_SG_EEES6_PlJS6_EEE10hipError_tPvRmT3_T4_T5_T6_T7_T9_mT8_P12ihipStream_tbDpT10_ENKUlT_T0_E_clISt17integral_constantIbLb0EES1B_EEDaS16_S17_EUlS16_E_NS1_11comp_targetILNS1_3genE8ELNS1_11target_archE1030ELNS1_3gpuE2ELNS1_3repE0EEENS1_30default_config_static_selectorELNS0_4arch9wavefront6targetE1EEEvT1_,comdat
.Lfunc_end3106:
	.size	_ZN7rocprim17ROCPRIM_400000_NS6detail17trampoline_kernelINS0_14default_configENS1_25partition_config_selectorILNS1_17partition_subalgoE1EtNS0_10empty_typeEbEEZZNS1_14partition_implILS5_1ELb0ES3_jN6thrust23THRUST_200600_302600_NS6detail15normal_iteratorINSA_10device_ptrItEEEEPS6_NSA_18transform_iteratorI7is_evenItESF_NSA_11use_defaultESK_EENS0_5tupleIJSF_NSA_16discard_iteratorISK_EEEEENSM_IJSG_SG_EEES6_PlJS6_EEE10hipError_tPvRmT3_T4_T5_T6_T7_T9_mT8_P12ihipStream_tbDpT10_ENKUlT_T0_E_clISt17integral_constantIbLb0EES1B_EEDaS16_S17_EUlS16_E_NS1_11comp_targetILNS1_3genE8ELNS1_11target_archE1030ELNS1_3gpuE2ELNS1_3repE0EEENS1_30default_config_static_selectorELNS0_4arch9wavefront6targetE1EEEvT1_, .Lfunc_end3106-_ZN7rocprim17ROCPRIM_400000_NS6detail17trampoline_kernelINS0_14default_configENS1_25partition_config_selectorILNS1_17partition_subalgoE1EtNS0_10empty_typeEbEEZZNS1_14partition_implILS5_1ELb0ES3_jN6thrust23THRUST_200600_302600_NS6detail15normal_iteratorINSA_10device_ptrItEEEEPS6_NSA_18transform_iteratorI7is_evenItESF_NSA_11use_defaultESK_EENS0_5tupleIJSF_NSA_16discard_iteratorISK_EEEEENSM_IJSG_SG_EEES6_PlJS6_EEE10hipError_tPvRmT3_T4_T5_T6_T7_T9_mT8_P12ihipStream_tbDpT10_ENKUlT_T0_E_clISt17integral_constantIbLb0EES1B_EEDaS16_S17_EUlS16_E_NS1_11comp_targetILNS1_3genE8ELNS1_11target_archE1030ELNS1_3gpuE2ELNS1_3repE0EEENS1_30default_config_static_selectorELNS0_4arch9wavefront6targetE1EEEvT1_
                                        ; -- End function
	.section	.AMDGPU.csdata,"",@progbits
; Kernel info:
; codeLenInByte = 0
; NumSgprs: 6
; NumVgprs: 0
; NumAgprs: 0
; TotalNumVgprs: 0
; ScratchSize: 0
; MemoryBound: 0
; FloatMode: 240
; IeeeMode: 1
; LDSByteSize: 0 bytes/workgroup (compile time only)
; SGPRBlocks: 0
; VGPRBlocks: 0
; NumSGPRsForWavesPerEU: 6
; NumVGPRsForWavesPerEU: 1
; AccumOffset: 4
; Occupancy: 8
; WaveLimiterHint : 0
; COMPUTE_PGM_RSRC2:SCRATCH_EN: 0
; COMPUTE_PGM_RSRC2:USER_SGPR: 2
; COMPUTE_PGM_RSRC2:TRAP_HANDLER: 0
; COMPUTE_PGM_RSRC2:TGID_X_EN: 1
; COMPUTE_PGM_RSRC2:TGID_Y_EN: 0
; COMPUTE_PGM_RSRC2:TGID_Z_EN: 0
; COMPUTE_PGM_RSRC2:TIDIG_COMP_CNT: 0
; COMPUTE_PGM_RSRC3_GFX90A:ACCUM_OFFSET: 0
; COMPUTE_PGM_RSRC3_GFX90A:TG_SPLIT: 0
	.section	.text._ZN7rocprim17ROCPRIM_400000_NS6detail17trampoline_kernelINS0_14default_configENS1_25partition_config_selectorILNS1_17partition_subalgoE1EtNS0_10empty_typeEbEEZZNS1_14partition_implILS5_1ELb0ES3_jN6thrust23THRUST_200600_302600_NS6detail15normal_iteratorINSA_10device_ptrItEEEEPS6_NSA_18transform_iteratorI7is_evenItESF_NSA_11use_defaultESK_EENS0_5tupleIJSF_NSA_16discard_iteratorISK_EEEEENSM_IJSG_SG_EEES6_PlJS6_EEE10hipError_tPvRmT3_T4_T5_T6_T7_T9_mT8_P12ihipStream_tbDpT10_ENKUlT_T0_E_clISt17integral_constantIbLb1EES1B_EEDaS16_S17_EUlS16_E_NS1_11comp_targetILNS1_3genE0ELNS1_11target_archE4294967295ELNS1_3gpuE0ELNS1_3repE0EEENS1_30default_config_static_selectorELNS0_4arch9wavefront6targetE1EEEvT1_,"axG",@progbits,_ZN7rocprim17ROCPRIM_400000_NS6detail17trampoline_kernelINS0_14default_configENS1_25partition_config_selectorILNS1_17partition_subalgoE1EtNS0_10empty_typeEbEEZZNS1_14partition_implILS5_1ELb0ES3_jN6thrust23THRUST_200600_302600_NS6detail15normal_iteratorINSA_10device_ptrItEEEEPS6_NSA_18transform_iteratorI7is_evenItESF_NSA_11use_defaultESK_EENS0_5tupleIJSF_NSA_16discard_iteratorISK_EEEEENSM_IJSG_SG_EEES6_PlJS6_EEE10hipError_tPvRmT3_T4_T5_T6_T7_T9_mT8_P12ihipStream_tbDpT10_ENKUlT_T0_E_clISt17integral_constantIbLb1EES1B_EEDaS16_S17_EUlS16_E_NS1_11comp_targetILNS1_3genE0ELNS1_11target_archE4294967295ELNS1_3gpuE0ELNS1_3repE0EEENS1_30default_config_static_selectorELNS0_4arch9wavefront6targetE1EEEvT1_,comdat
	.protected	_ZN7rocprim17ROCPRIM_400000_NS6detail17trampoline_kernelINS0_14default_configENS1_25partition_config_selectorILNS1_17partition_subalgoE1EtNS0_10empty_typeEbEEZZNS1_14partition_implILS5_1ELb0ES3_jN6thrust23THRUST_200600_302600_NS6detail15normal_iteratorINSA_10device_ptrItEEEEPS6_NSA_18transform_iteratorI7is_evenItESF_NSA_11use_defaultESK_EENS0_5tupleIJSF_NSA_16discard_iteratorISK_EEEEENSM_IJSG_SG_EEES6_PlJS6_EEE10hipError_tPvRmT3_T4_T5_T6_T7_T9_mT8_P12ihipStream_tbDpT10_ENKUlT_T0_E_clISt17integral_constantIbLb1EES1B_EEDaS16_S17_EUlS16_E_NS1_11comp_targetILNS1_3genE0ELNS1_11target_archE4294967295ELNS1_3gpuE0ELNS1_3repE0EEENS1_30default_config_static_selectorELNS0_4arch9wavefront6targetE1EEEvT1_ ; -- Begin function _ZN7rocprim17ROCPRIM_400000_NS6detail17trampoline_kernelINS0_14default_configENS1_25partition_config_selectorILNS1_17partition_subalgoE1EtNS0_10empty_typeEbEEZZNS1_14partition_implILS5_1ELb0ES3_jN6thrust23THRUST_200600_302600_NS6detail15normal_iteratorINSA_10device_ptrItEEEEPS6_NSA_18transform_iteratorI7is_evenItESF_NSA_11use_defaultESK_EENS0_5tupleIJSF_NSA_16discard_iteratorISK_EEEEENSM_IJSG_SG_EEES6_PlJS6_EEE10hipError_tPvRmT3_T4_T5_T6_T7_T9_mT8_P12ihipStream_tbDpT10_ENKUlT_T0_E_clISt17integral_constantIbLb1EES1B_EEDaS16_S17_EUlS16_E_NS1_11comp_targetILNS1_3genE0ELNS1_11target_archE4294967295ELNS1_3gpuE0ELNS1_3repE0EEENS1_30default_config_static_selectorELNS0_4arch9wavefront6targetE1EEEvT1_
	.globl	_ZN7rocprim17ROCPRIM_400000_NS6detail17trampoline_kernelINS0_14default_configENS1_25partition_config_selectorILNS1_17partition_subalgoE1EtNS0_10empty_typeEbEEZZNS1_14partition_implILS5_1ELb0ES3_jN6thrust23THRUST_200600_302600_NS6detail15normal_iteratorINSA_10device_ptrItEEEEPS6_NSA_18transform_iteratorI7is_evenItESF_NSA_11use_defaultESK_EENS0_5tupleIJSF_NSA_16discard_iteratorISK_EEEEENSM_IJSG_SG_EEES6_PlJS6_EEE10hipError_tPvRmT3_T4_T5_T6_T7_T9_mT8_P12ihipStream_tbDpT10_ENKUlT_T0_E_clISt17integral_constantIbLb1EES1B_EEDaS16_S17_EUlS16_E_NS1_11comp_targetILNS1_3genE0ELNS1_11target_archE4294967295ELNS1_3gpuE0ELNS1_3repE0EEENS1_30default_config_static_selectorELNS0_4arch9wavefront6targetE1EEEvT1_
	.p2align	8
	.type	_ZN7rocprim17ROCPRIM_400000_NS6detail17trampoline_kernelINS0_14default_configENS1_25partition_config_selectorILNS1_17partition_subalgoE1EtNS0_10empty_typeEbEEZZNS1_14partition_implILS5_1ELb0ES3_jN6thrust23THRUST_200600_302600_NS6detail15normal_iteratorINSA_10device_ptrItEEEEPS6_NSA_18transform_iteratorI7is_evenItESF_NSA_11use_defaultESK_EENS0_5tupleIJSF_NSA_16discard_iteratorISK_EEEEENSM_IJSG_SG_EEES6_PlJS6_EEE10hipError_tPvRmT3_T4_T5_T6_T7_T9_mT8_P12ihipStream_tbDpT10_ENKUlT_T0_E_clISt17integral_constantIbLb1EES1B_EEDaS16_S17_EUlS16_E_NS1_11comp_targetILNS1_3genE0ELNS1_11target_archE4294967295ELNS1_3gpuE0ELNS1_3repE0EEENS1_30default_config_static_selectorELNS0_4arch9wavefront6targetE1EEEvT1_,@function
_ZN7rocprim17ROCPRIM_400000_NS6detail17trampoline_kernelINS0_14default_configENS1_25partition_config_selectorILNS1_17partition_subalgoE1EtNS0_10empty_typeEbEEZZNS1_14partition_implILS5_1ELb0ES3_jN6thrust23THRUST_200600_302600_NS6detail15normal_iteratorINSA_10device_ptrItEEEEPS6_NSA_18transform_iteratorI7is_evenItESF_NSA_11use_defaultESK_EENS0_5tupleIJSF_NSA_16discard_iteratorISK_EEEEENSM_IJSG_SG_EEES6_PlJS6_EEE10hipError_tPvRmT3_T4_T5_T6_T7_T9_mT8_P12ihipStream_tbDpT10_ENKUlT_T0_E_clISt17integral_constantIbLb1EES1B_EEDaS16_S17_EUlS16_E_NS1_11comp_targetILNS1_3genE0ELNS1_11target_archE4294967295ELNS1_3gpuE0ELNS1_3repE0EEENS1_30default_config_static_selectorELNS0_4arch9wavefront6targetE1EEEvT1_: ; @_ZN7rocprim17ROCPRIM_400000_NS6detail17trampoline_kernelINS0_14default_configENS1_25partition_config_selectorILNS1_17partition_subalgoE1EtNS0_10empty_typeEbEEZZNS1_14partition_implILS5_1ELb0ES3_jN6thrust23THRUST_200600_302600_NS6detail15normal_iteratorINSA_10device_ptrItEEEEPS6_NSA_18transform_iteratorI7is_evenItESF_NSA_11use_defaultESK_EENS0_5tupleIJSF_NSA_16discard_iteratorISK_EEEEENSM_IJSG_SG_EEES6_PlJS6_EEE10hipError_tPvRmT3_T4_T5_T6_T7_T9_mT8_P12ihipStream_tbDpT10_ENKUlT_T0_E_clISt17integral_constantIbLb1EES1B_EEDaS16_S17_EUlS16_E_NS1_11comp_targetILNS1_3genE0ELNS1_11target_archE4294967295ELNS1_3gpuE0ELNS1_3repE0EEENS1_30default_config_static_selectorELNS0_4arch9wavefront6targetE1EEEvT1_
; %bb.0:
	.section	.rodata,"a",@progbits
	.p2align	6, 0x0
	.amdhsa_kernel _ZN7rocprim17ROCPRIM_400000_NS6detail17trampoline_kernelINS0_14default_configENS1_25partition_config_selectorILNS1_17partition_subalgoE1EtNS0_10empty_typeEbEEZZNS1_14partition_implILS5_1ELb0ES3_jN6thrust23THRUST_200600_302600_NS6detail15normal_iteratorINSA_10device_ptrItEEEEPS6_NSA_18transform_iteratorI7is_evenItESF_NSA_11use_defaultESK_EENS0_5tupleIJSF_NSA_16discard_iteratorISK_EEEEENSM_IJSG_SG_EEES6_PlJS6_EEE10hipError_tPvRmT3_T4_T5_T6_T7_T9_mT8_P12ihipStream_tbDpT10_ENKUlT_T0_E_clISt17integral_constantIbLb1EES1B_EEDaS16_S17_EUlS16_E_NS1_11comp_targetILNS1_3genE0ELNS1_11target_archE4294967295ELNS1_3gpuE0ELNS1_3repE0EEENS1_30default_config_static_selectorELNS0_4arch9wavefront6targetE1EEEvT1_
		.amdhsa_group_segment_fixed_size 0
		.amdhsa_private_segment_fixed_size 0
		.amdhsa_kernarg_size 152
		.amdhsa_user_sgpr_count 2
		.amdhsa_user_sgpr_dispatch_ptr 0
		.amdhsa_user_sgpr_queue_ptr 0
		.amdhsa_user_sgpr_kernarg_segment_ptr 1
		.amdhsa_user_sgpr_dispatch_id 0
		.amdhsa_user_sgpr_kernarg_preload_length 0
		.amdhsa_user_sgpr_kernarg_preload_offset 0
		.amdhsa_user_sgpr_private_segment_size 0
		.amdhsa_uses_dynamic_stack 0
		.amdhsa_enable_private_segment 0
		.amdhsa_system_sgpr_workgroup_id_x 1
		.amdhsa_system_sgpr_workgroup_id_y 0
		.amdhsa_system_sgpr_workgroup_id_z 0
		.amdhsa_system_sgpr_workgroup_info 0
		.amdhsa_system_vgpr_workitem_id 0
		.amdhsa_next_free_vgpr 1
		.amdhsa_next_free_sgpr 0
		.amdhsa_accum_offset 4
		.amdhsa_reserve_vcc 0
		.amdhsa_float_round_mode_32 0
		.amdhsa_float_round_mode_16_64 0
		.amdhsa_float_denorm_mode_32 3
		.amdhsa_float_denorm_mode_16_64 3
		.amdhsa_dx10_clamp 1
		.amdhsa_ieee_mode 1
		.amdhsa_fp16_overflow 0
		.amdhsa_tg_split 0
		.amdhsa_exception_fp_ieee_invalid_op 0
		.amdhsa_exception_fp_denorm_src 0
		.amdhsa_exception_fp_ieee_div_zero 0
		.amdhsa_exception_fp_ieee_overflow 0
		.amdhsa_exception_fp_ieee_underflow 0
		.amdhsa_exception_fp_ieee_inexact 0
		.amdhsa_exception_int_div_zero 0
	.end_amdhsa_kernel
	.section	.text._ZN7rocprim17ROCPRIM_400000_NS6detail17trampoline_kernelINS0_14default_configENS1_25partition_config_selectorILNS1_17partition_subalgoE1EtNS0_10empty_typeEbEEZZNS1_14partition_implILS5_1ELb0ES3_jN6thrust23THRUST_200600_302600_NS6detail15normal_iteratorINSA_10device_ptrItEEEEPS6_NSA_18transform_iteratorI7is_evenItESF_NSA_11use_defaultESK_EENS0_5tupleIJSF_NSA_16discard_iteratorISK_EEEEENSM_IJSG_SG_EEES6_PlJS6_EEE10hipError_tPvRmT3_T4_T5_T6_T7_T9_mT8_P12ihipStream_tbDpT10_ENKUlT_T0_E_clISt17integral_constantIbLb1EES1B_EEDaS16_S17_EUlS16_E_NS1_11comp_targetILNS1_3genE0ELNS1_11target_archE4294967295ELNS1_3gpuE0ELNS1_3repE0EEENS1_30default_config_static_selectorELNS0_4arch9wavefront6targetE1EEEvT1_,"axG",@progbits,_ZN7rocprim17ROCPRIM_400000_NS6detail17trampoline_kernelINS0_14default_configENS1_25partition_config_selectorILNS1_17partition_subalgoE1EtNS0_10empty_typeEbEEZZNS1_14partition_implILS5_1ELb0ES3_jN6thrust23THRUST_200600_302600_NS6detail15normal_iteratorINSA_10device_ptrItEEEEPS6_NSA_18transform_iteratorI7is_evenItESF_NSA_11use_defaultESK_EENS0_5tupleIJSF_NSA_16discard_iteratorISK_EEEEENSM_IJSG_SG_EEES6_PlJS6_EEE10hipError_tPvRmT3_T4_T5_T6_T7_T9_mT8_P12ihipStream_tbDpT10_ENKUlT_T0_E_clISt17integral_constantIbLb1EES1B_EEDaS16_S17_EUlS16_E_NS1_11comp_targetILNS1_3genE0ELNS1_11target_archE4294967295ELNS1_3gpuE0ELNS1_3repE0EEENS1_30default_config_static_selectorELNS0_4arch9wavefront6targetE1EEEvT1_,comdat
.Lfunc_end3107:
	.size	_ZN7rocprim17ROCPRIM_400000_NS6detail17trampoline_kernelINS0_14default_configENS1_25partition_config_selectorILNS1_17partition_subalgoE1EtNS0_10empty_typeEbEEZZNS1_14partition_implILS5_1ELb0ES3_jN6thrust23THRUST_200600_302600_NS6detail15normal_iteratorINSA_10device_ptrItEEEEPS6_NSA_18transform_iteratorI7is_evenItESF_NSA_11use_defaultESK_EENS0_5tupleIJSF_NSA_16discard_iteratorISK_EEEEENSM_IJSG_SG_EEES6_PlJS6_EEE10hipError_tPvRmT3_T4_T5_T6_T7_T9_mT8_P12ihipStream_tbDpT10_ENKUlT_T0_E_clISt17integral_constantIbLb1EES1B_EEDaS16_S17_EUlS16_E_NS1_11comp_targetILNS1_3genE0ELNS1_11target_archE4294967295ELNS1_3gpuE0ELNS1_3repE0EEENS1_30default_config_static_selectorELNS0_4arch9wavefront6targetE1EEEvT1_, .Lfunc_end3107-_ZN7rocprim17ROCPRIM_400000_NS6detail17trampoline_kernelINS0_14default_configENS1_25partition_config_selectorILNS1_17partition_subalgoE1EtNS0_10empty_typeEbEEZZNS1_14partition_implILS5_1ELb0ES3_jN6thrust23THRUST_200600_302600_NS6detail15normal_iteratorINSA_10device_ptrItEEEEPS6_NSA_18transform_iteratorI7is_evenItESF_NSA_11use_defaultESK_EENS0_5tupleIJSF_NSA_16discard_iteratorISK_EEEEENSM_IJSG_SG_EEES6_PlJS6_EEE10hipError_tPvRmT3_T4_T5_T6_T7_T9_mT8_P12ihipStream_tbDpT10_ENKUlT_T0_E_clISt17integral_constantIbLb1EES1B_EEDaS16_S17_EUlS16_E_NS1_11comp_targetILNS1_3genE0ELNS1_11target_archE4294967295ELNS1_3gpuE0ELNS1_3repE0EEENS1_30default_config_static_selectorELNS0_4arch9wavefront6targetE1EEEvT1_
                                        ; -- End function
	.section	.AMDGPU.csdata,"",@progbits
; Kernel info:
; codeLenInByte = 0
; NumSgprs: 6
; NumVgprs: 0
; NumAgprs: 0
; TotalNumVgprs: 0
; ScratchSize: 0
; MemoryBound: 0
; FloatMode: 240
; IeeeMode: 1
; LDSByteSize: 0 bytes/workgroup (compile time only)
; SGPRBlocks: 0
; VGPRBlocks: 0
; NumSGPRsForWavesPerEU: 6
; NumVGPRsForWavesPerEU: 1
; AccumOffset: 4
; Occupancy: 8
; WaveLimiterHint : 0
; COMPUTE_PGM_RSRC2:SCRATCH_EN: 0
; COMPUTE_PGM_RSRC2:USER_SGPR: 2
; COMPUTE_PGM_RSRC2:TRAP_HANDLER: 0
; COMPUTE_PGM_RSRC2:TGID_X_EN: 1
; COMPUTE_PGM_RSRC2:TGID_Y_EN: 0
; COMPUTE_PGM_RSRC2:TGID_Z_EN: 0
; COMPUTE_PGM_RSRC2:TIDIG_COMP_CNT: 0
; COMPUTE_PGM_RSRC3_GFX90A:ACCUM_OFFSET: 0
; COMPUTE_PGM_RSRC3_GFX90A:TG_SPLIT: 0
	.section	.text._ZN7rocprim17ROCPRIM_400000_NS6detail17trampoline_kernelINS0_14default_configENS1_25partition_config_selectorILNS1_17partition_subalgoE1EtNS0_10empty_typeEbEEZZNS1_14partition_implILS5_1ELb0ES3_jN6thrust23THRUST_200600_302600_NS6detail15normal_iteratorINSA_10device_ptrItEEEEPS6_NSA_18transform_iteratorI7is_evenItESF_NSA_11use_defaultESK_EENS0_5tupleIJSF_NSA_16discard_iteratorISK_EEEEENSM_IJSG_SG_EEES6_PlJS6_EEE10hipError_tPvRmT3_T4_T5_T6_T7_T9_mT8_P12ihipStream_tbDpT10_ENKUlT_T0_E_clISt17integral_constantIbLb1EES1B_EEDaS16_S17_EUlS16_E_NS1_11comp_targetILNS1_3genE5ELNS1_11target_archE942ELNS1_3gpuE9ELNS1_3repE0EEENS1_30default_config_static_selectorELNS0_4arch9wavefront6targetE1EEEvT1_,"axG",@progbits,_ZN7rocprim17ROCPRIM_400000_NS6detail17trampoline_kernelINS0_14default_configENS1_25partition_config_selectorILNS1_17partition_subalgoE1EtNS0_10empty_typeEbEEZZNS1_14partition_implILS5_1ELb0ES3_jN6thrust23THRUST_200600_302600_NS6detail15normal_iteratorINSA_10device_ptrItEEEEPS6_NSA_18transform_iteratorI7is_evenItESF_NSA_11use_defaultESK_EENS0_5tupleIJSF_NSA_16discard_iteratorISK_EEEEENSM_IJSG_SG_EEES6_PlJS6_EEE10hipError_tPvRmT3_T4_T5_T6_T7_T9_mT8_P12ihipStream_tbDpT10_ENKUlT_T0_E_clISt17integral_constantIbLb1EES1B_EEDaS16_S17_EUlS16_E_NS1_11comp_targetILNS1_3genE5ELNS1_11target_archE942ELNS1_3gpuE9ELNS1_3repE0EEENS1_30default_config_static_selectorELNS0_4arch9wavefront6targetE1EEEvT1_,comdat
	.protected	_ZN7rocprim17ROCPRIM_400000_NS6detail17trampoline_kernelINS0_14default_configENS1_25partition_config_selectorILNS1_17partition_subalgoE1EtNS0_10empty_typeEbEEZZNS1_14partition_implILS5_1ELb0ES3_jN6thrust23THRUST_200600_302600_NS6detail15normal_iteratorINSA_10device_ptrItEEEEPS6_NSA_18transform_iteratorI7is_evenItESF_NSA_11use_defaultESK_EENS0_5tupleIJSF_NSA_16discard_iteratorISK_EEEEENSM_IJSG_SG_EEES6_PlJS6_EEE10hipError_tPvRmT3_T4_T5_T6_T7_T9_mT8_P12ihipStream_tbDpT10_ENKUlT_T0_E_clISt17integral_constantIbLb1EES1B_EEDaS16_S17_EUlS16_E_NS1_11comp_targetILNS1_3genE5ELNS1_11target_archE942ELNS1_3gpuE9ELNS1_3repE0EEENS1_30default_config_static_selectorELNS0_4arch9wavefront6targetE1EEEvT1_ ; -- Begin function _ZN7rocprim17ROCPRIM_400000_NS6detail17trampoline_kernelINS0_14default_configENS1_25partition_config_selectorILNS1_17partition_subalgoE1EtNS0_10empty_typeEbEEZZNS1_14partition_implILS5_1ELb0ES3_jN6thrust23THRUST_200600_302600_NS6detail15normal_iteratorINSA_10device_ptrItEEEEPS6_NSA_18transform_iteratorI7is_evenItESF_NSA_11use_defaultESK_EENS0_5tupleIJSF_NSA_16discard_iteratorISK_EEEEENSM_IJSG_SG_EEES6_PlJS6_EEE10hipError_tPvRmT3_T4_T5_T6_T7_T9_mT8_P12ihipStream_tbDpT10_ENKUlT_T0_E_clISt17integral_constantIbLb1EES1B_EEDaS16_S17_EUlS16_E_NS1_11comp_targetILNS1_3genE5ELNS1_11target_archE942ELNS1_3gpuE9ELNS1_3repE0EEENS1_30default_config_static_selectorELNS0_4arch9wavefront6targetE1EEEvT1_
	.globl	_ZN7rocprim17ROCPRIM_400000_NS6detail17trampoline_kernelINS0_14default_configENS1_25partition_config_selectorILNS1_17partition_subalgoE1EtNS0_10empty_typeEbEEZZNS1_14partition_implILS5_1ELb0ES3_jN6thrust23THRUST_200600_302600_NS6detail15normal_iteratorINSA_10device_ptrItEEEEPS6_NSA_18transform_iteratorI7is_evenItESF_NSA_11use_defaultESK_EENS0_5tupleIJSF_NSA_16discard_iteratorISK_EEEEENSM_IJSG_SG_EEES6_PlJS6_EEE10hipError_tPvRmT3_T4_T5_T6_T7_T9_mT8_P12ihipStream_tbDpT10_ENKUlT_T0_E_clISt17integral_constantIbLb1EES1B_EEDaS16_S17_EUlS16_E_NS1_11comp_targetILNS1_3genE5ELNS1_11target_archE942ELNS1_3gpuE9ELNS1_3repE0EEENS1_30default_config_static_selectorELNS0_4arch9wavefront6targetE1EEEvT1_
	.p2align	8
	.type	_ZN7rocprim17ROCPRIM_400000_NS6detail17trampoline_kernelINS0_14default_configENS1_25partition_config_selectorILNS1_17partition_subalgoE1EtNS0_10empty_typeEbEEZZNS1_14partition_implILS5_1ELb0ES3_jN6thrust23THRUST_200600_302600_NS6detail15normal_iteratorINSA_10device_ptrItEEEEPS6_NSA_18transform_iteratorI7is_evenItESF_NSA_11use_defaultESK_EENS0_5tupleIJSF_NSA_16discard_iteratorISK_EEEEENSM_IJSG_SG_EEES6_PlJS6_EEE10hipError_tPvRmT3_T4_T5_T6_T7_T9_mT8_P12ihipStream_tbDpT10_ENKUlT_T0_E_clISt17integral_constantIbLb1EES1B_EEDaS16_S17_EUlS16_E_NS1_11comp_targetILNS1_3genE5ELNS1_11target_archE942ELNS1_3gpuE9ELNS1_3repE0EEENS1_30default_config_static_selectorELNS0_4arch9wavefront6targetE1EEEvT1_,@function
_ZN7rocprim17ROCPRIM_400000_NS6detail17trampoline_kernelINS0_14default_configENS1_25partition_config_selectorILNS1_17partition_subalgoE1EtNS0_10empty_typeEbEEZZNS1_14partition_implILS5_1ELb0ES3_jN6thrust23THRUST_200600_302600_NS6detail15normal_iteratorINSA_10device_ptrItEEEEPS6_NSA_18transform_iteratorI7is_evenItESF_NSA_11use_defaultESK_EENS0_5tupleIJSF_NSA_16discard_iteratorISK_EEEEENSM_IJSG_SG_EEES6_PlJS6_EEE10hipError_tPvRmT3_T4_T5_T6_T7_T9_mT8_P12ihipStream_tbDpT10_ENKUlT_T0_E_clISt17integral_constantIbLb1EES1B_EEDaS16_S17_EUlS16_E_NS1_11comp_targetILNS1_3genE5ELNS1_11target_archE942ELNS1_3gpuE9ELNS1_3repE0EEENS1_30default_config_static_selectorELNS0_4arch9wavefront6targetE1EEEvT1_: ; @_ZN7rocprim17ROCPRIM_400000_NS6detail17trampoline_kernelINS0_14default_configENS1_25partition_config_selectorILNS1_17partition_subalgoE1EtNS0_10empty_typeEbEEZZNS1_14partition_implILS5_1ELb0ES3_jN6thrust23THRUST_200600_302600_NS6detail15normal_iteratorINSA_10device_ptrItEEEEPS6_NSA_18transform_iteratorI7is_evenItESF_NSA_11use_defaultESK_EENS0_5tupleIJSF_NSA_16discard_iteratorISK_EEEEENSM_IJSG_SG_EEES6_PlJS6_EEE10hipError_tPvRmT3_T4_T5_T6_T7_T9_mT8_P12ihipStream_tbDpT10_ENKUlT_T0_E_clISt17integral_constantIbLb1EES1B_EEDaS16_S17_EUlS16_E_NS1_11comp_targetILNS1_3genE5ELNS1_11target_archE942ELNS1_3gpuE9ELNS1_3repE0EEENS1_30default_config_static_selectorELNS0_4arch9wavefront6targetE1EEEvT1_
; %bb.0:
	s_load_dwordx2 s[2:3], s[0:1], 0x20
	s_load_dwordx4 s[20:23], s[0:1], 0x58
	s_load_dwordx2 s[10:11], s[0:1], 0x68
	s_load_dwordx2 s[28:29], s[0:1], 0x78
	v_cmp_eq_u32_e64 s[18:19], 0, v0
	s_and_saveexec_b64 s[4:5], s[18:19]
	s_cbranch_execz .LBB3108_4
; %bb.1:
	s_mov_b64 s[8:9], exec
	v_mbcnt_lo_u32_b32 v1, s8, 0
	v_mbcnt_hi_u32_b32 v1, s9, v1
	v_cmp_eq_u32_e32 vcc, 0, v1
                                        ; implicit-def: $vgpr2
	s_and_saveexec_b64 s[6:7], vcc
	s_cbranch_execz .LBB3108_3
; %bb.2:
	s_load_dwordx2 s[12:13], s[0:1], 0x88
	s_bcnt1_i32_b64 s8, s[8:9]
	v_mov_b32_e32 v2, 0
	v_mov_b32_e32 v3, s8
	s_waitcnt lgkmcnt(0)
	global_atomic_add v2, v2, v3, s[12:13] sc0
.LBB3108_3:
	s_or_b64 exec, exec, s[6:7]
	s_waitcnt vmcnt(0)
	v_readfirstlane_b32 s6, v2
	v_mov_b32_e32 v2, 0
	s_nop 0
	v_add_u32_e32 v1, s6, v1
	ds_write_b32 v2, v1
.LBB3108_4:
	s_or_b64 exec, exec, s[4:5]
	v_mov_b32_e32 v17, 0
	s_load_dwordx4 s[4:7], s[0:1], 0x8
	s_load_dwordx2 s[24:25], s[0:1], 0x30
	s_load_dword s12, s[0:1], 0x80
	s_waitcnt lgkmcnt(0)
	s_barrier
	ds_read_b32 v1, v17
	s_waitcnt lgkmcnt(0)
	s_barrier
	global_load_dwordx2 v[14:15], v17, s[22:23]
	s_lshl_b64 s[8:9], s[6:7], 1
	v_mov_b32_e32 v3, s11
	s_add_u32 s11, s4, s8
	s_mul_i32 s4, s12, 0x3800
	s_addc_u32 s13, s5, s9
	s_add_i32 s1, s4, s6
	s_sub_i32 s33, s10, s1
	s_add_i32 s14, s12, -1
	s_addk_i32 s33, 0x3800
	s_add_u32 s4, s6, s4
	v_readfirstlane_b32 s36, v1
	s_addc_u32 s5, s7, 0
	s_cmp_eq_u32 s36, s14
	v_mov_b32_e32 v2, s10
	s_cselect_b64 s[22:23], -1, 0
	s_cmp_lg_u32 s36, s14
	s_mul_i32 s0, s36, 0x3800
	s_mov_b32 s1, 0
	v_cmp_lt_u64_e32 vcc, s[4:5], v[2:3]
	s_cselect_b64 s[4:5], -1, 0
	s_or_b64 s[26:27], vcc, s[4:5]
	s_lshl_b64 s[4:5], s[0:1], 1
	s_add_u32 s6, s11, s4
	s_addc_u32 s7, s13, s5
	s_mov_b64 s[0:1], -1
	s_and_b64 vcc, exec, s[26:27]
	v_lshlrev_b32_e32 v16, 1, v0
	s_cbranch_vccz .LBB3108_6
; %bb.5:
	v_lshl_add_u64 v[2:3], s[6:7], 0, v[16:17]
	v_add_co_u32_e32 v4, vcc, 0x1000, v2
	s_mov_b64 s[0:1], 0
	s_nop 0
	v_addc_co_u32_e32 v5, vcc, 0, v3, vcc
	flat_load_ushort v1, v[2:3]
	flat_load_ushort v8, v[2:3] offset:1024
	flat_load_ushort v9, v[2:3] offset:2048
	;; [unrolled: 1-line block ×3, first 2 shown]
	flat_load_ushort v11, v[4:5]
	flat_load_ushort v12, v[4:5] offset:1024
	flat_load_ushort v13, v[4:5] offset:2048
	flat_load_ushort v17, v[4:5] offset:3072
	v_add_co_u32_e32 v4, vcc, 0x2000, v2
	s_nop 1
	v_addc_co_u32_e32 v5, vcc, 0, v3, vcc
	v_add_co_u32_e32 v6, vcc, 0x3000, v2
	s_nop 1
	v_addc_co_u32_e32 v7, vcc, 0, v3, vcc
	flat_load_ushort v18, v[4:5]
	flat_load_ushort v19, v[4:5] offset:1024
	flat_load_ushort v20, v[4:5] offset:2048
	;; [unrolled: 1-line block ×3, first 2 shown]
	flat_load_ushort v22, v[6:7]
	flat_load_ushort v23, v[6:7] offset:1024
	flat_load_ushort v24, v[6:7] offset:2048
	;; [unrolled: 1-line block ×3, first 2 shown]
	v_add_co_u32_e32 v4, vcc, 0x4000, v2
	s_nop 1
	v_addc_co_u32_e32 v5, vcc, 0, v3, vcc
	v_add_co_u32_e32 v6, vcc, 0x5000, v2
	s_nop 1
	v_addc_co_u32_e32 v7, vcc, 0, v3, vcc
	v_add_co_u32_e32 v2, vcc, 0x6000, v2
	flat_load_ushort v26, v[4:5]
	flat_load_ushort v27, v[4:5] offset:1024
	flat_load_ushort v28, v[4:5] offset:2048
	;; [unrolled: 1-line block ×3, first 2 shown]
	flat_load_ushort v30, v[6:7]
	flat_load_ushort v31, v[6:7] offset:1024
	flat_load_ushort v32, v[6:7] offset:2048
	;; [unrolled: 1-line block ×3, first 2 shown]
	v_addc_co_u32_e32 v3, vcc, 0, v3, vcc
	flat_load_ushort v4, v[2:3]
	flat_load_ushort v5, v[2:3] offset:1024
	flat_load_ushort v6, v[2:3] offset:2048
	;; [unrolled: 1-line block ×3, first 2 shown]
	s_waitcnt vmcnt(0) lgkmcnt(0)
	ds_write_b16 v16, v1
	ds_write_b16 v16, v8 offset:1024
	ds_write_b16 v16, v9 offset:2048
	;; [unrolled: 1-line block ×27, first 2 shown]
	s_waitcnt lgkmcnt(0)
	s_barrier
.LBB3108_6:
	s_andn2_b64 vcc, exec, s[0:1]
	v_cmp_gt_u32_e64 s[0:1], s33, v0
	s_cbranch_vccnz .LBB3108_64
; %bb.7:
                                        ; implicit-def: $vgpr1
	s_and_saveexec_b64 s[10:11], s[0:1]
	s_cbranch_execz .LBB3108_9
; %bb.8:
	v_mov_b32_e32 v17, 0
	v_lshl_add_u64 v[2:3], s[6:7], 0, v[16:17]
	flat_load_ushort v1, v[2:3]
.LBB3108_9:
	s_or_b64 exec, exec, s[10:11]
	v_or_b32_e32 v2, 0x200, v0
	v_cmp_gt_u32_e32 vcc, s33, v2
                                        ; implicit-def: $vgpr2
	s_and_saveexec_b64 s[0:1], vcc
	s_cbranch_execz .LBB3108_11
; %bb.10:
	v_mov_b32_e32 v17, 0
	v_lshl_add_u64 v[2:3], s[6:7], 0, v[16:17]
	flat_load_ushort v2, v[2:3] offset:1024
.LBB3108_11:
	s_or_b64 exec, exec, s[0:1]
	v_or_b32_e32 v3, 0x400, v0
	v_cmp_gt_u32_e32 vcc, s33, v3
                                        ; implicit-def: $vgpr3
	s_and_saveexec_b64 s[0:1], vcc
	s_cbranch_execz .LBB3108_13
; %bb.12:
	v_mov_b32_e32 v17, 0
	v_lshl_add_u64 v[4:5], s[6:7], 0, v[16:17]
	flat_load_ushort v3, v[4:5] offset:2048
.LBB3108_13:
	s_or_b64 exec, exec, s[0:1]
	v_or_b32_e32 v4, 0x600, v0
	v_cmp_gt_u32_e32 vcc, s33, v4
                                        ; implicit-def: $vgpr4
	s_and_saveexec_b64 s[0:1], vcc
	s_cbranch_execz .LBB3108_15
; %bb.14:
	v_mov_b32_e32 v17, 0
	v_lshl_add_u64 v[4:5], s[6:7], 0, v[16:17]
	flat_load_ushort v4, v[4:5] offset:3072
.LBB3108_15:
	s_or_b64 exec, exec, s[0:1]
	v_or_b32_e32 v6, 0x800, v0
	v_cmp_gt_u32_e32 vcc, s33, v6
                                        ; implicit-def: $vgpr5
	s_and_saveexec_b64 s[0:1], vcc
	s_cbranch_execz .LBB3108_17
; %bb.16:
	v_lshlrev_b32_e32 v6, 1, v6
	v_mov_b32_e32 v7, 0
	v_lshl_add_u64 v[6:7], s[6:7], 0, v[6:7]
	flat_load_ushort v5, v[6:7]
.LBB3108_17:
	s_or_b64 exec, exec, s[0:1]
	v_or_b32_e32 v7, 0xa00, v0
	v_cmp_gt_u32_e32 vcc, s33, v7
                                        ; implicit-def: $vgpr6
	s_and_saveexec_b64 s[0:1], vcc
	s_cbranch_execz .LBB3108_19
; %bb.18:
	v_lshlrev_b32_e32 v6, 1, v7
	v_mov_b32_e32 v7, 0
	v_lshl_add_u64 v[6:7], s[6:7], 0, v[6:7]
	flat_load_ushort v6, v[6:7]
.LBB3108_19:
	s_or_b64 exec, exec, s[0:1]
	v_or_b32_e32 v8, 0xc00, v0
	v_cmp_gt_u32_e32 vcc, s33, v8
                                        ; implicit-def: $vgpr7
	s_and_saveexec_b64 s[0:1], vcc
	s_cbranch_execz .LBB3108_21
; %bb.20:
	v_lshlrev_b32_e32 v8, 1, v8
	v_mov_b32_e32 v9, 0
	v_lshl_add_u64 v[8:9], s[6:7], 0, v[8:9]
	flat_load_ushort v7, v[8:9]
.LBB3108_21:
	s_or_b64 exec, exec, s[0:1]
	v_or_b32_e32 v9, 0xe00, v0
	v_cmp_gt_u32_e32 vcc, s33, v9
                                        ; implicit-def: $vgpr8
	s_and_saveexec_b64 s[0:1], vcc
	s_cbranch_execz .LBB3108_23
; %bb.22:
	v_lshlrev_b32_e32 v8, 1, v9
	v_mov_b32_e32 v9, 0
	v_lshl_add_u64 v[8:9], s[6:7], 0, v[8:9]
	flat_load_ushort v8, v[8:9]
.LBB3108_23:
	s_or_b64 exec, exec, s[0:1]
	v_or_b32_e32 v10, 0x1000, v0
	v_cmp_gt_u32_e32 vcc, s33, v10
                                        ; implicit-def: $vgpr9
	s_and_saveexec_b64 s[0:1], vcc
	s_cbranch_execz .LBB3108_25
; %bb.24:
	v_lshlrev_b32_e32 v10, 1, v10
	v_mov_b32_e32 v11, 0
	v_lshl_add_u64 v[10:11], s[6:7], 0, v[10:11]
	flat_load_ushort v9, v[10:11]
.LBB3108_25:
	s_or_b64 exec, exec, s[0:1]
	v_or_b32_e32 v11, 0x1200, v0
	v_cmp_gt_u32_e32 vcc, s33, v11
                                        ; implicit-def: $vgpr10
	s_and_saveexec_b64 s[0:1], vcc
	s_cbranch_execz .LBB3108_27
; %bb.26:
	v_lshlrev_b32_e32 v10, 1, v11
	v_mov_b32_e32 v11, 0
	v_lshl_add_u64 v[10:11], s[6:7], 0, v[10:11]
	flat_load_ushort v10, v[10:11]
.LBB3108_27:
	s_or_b64 exec, exec, s[0:1]
	v_or_b32_e32 v12, 0x1400, v0
	v_cmp_gt_u32_e32 vcc, s33, v12
                                        ; implicit-def: $vgpr11
	s_and_saveexec_b64 s[0:1], vcc
	s_cbranch_execz .LBB3108_29
; %bb.28:
	v_lshlrev_b32_e32 v12, 1, v12
	v_mov_b32_e32 v13, 0
	v_lshl_add_u64 v[12:13], s[6:7], 0, v[12:13]
	flat_load_ushort v11, v[12:13]
.LBB3108_29:
	s_or_b64 exec, exec, s[0:1]
	v_or_b32_e32 v13, 0x1600, v0
	v_cmp_gt_u32_e32 vcc, s33, v13
                                        ; implicit-def: $vgpr12
	s_and_saveexec_b64 s[0:1], vcc
	s_cbranch_execz .LBB3108_31
; %bb.30:
	v_lshlrev_b32_e32 v12, 1, v13
	v_mov_b32_e32 v13, 0
	v_lshl_add_u64 v[12:13], s[6:7], 0, v[12:13]
	flat_load_ushort v12, v[12:13]
.LBB3108_31:
	s_or_b64 exec, exec, s[0:1]
	v_or_b32_e32 v17, 0x1800, v0
	v_cmp_gt_u32_e32 vcc, s33, v17
                                        ; implicit-def: $vgpr13
	s_and_saveexec_b64 s[0:1], vcc
	s_cbranch_execz .LBB3108_33
; %bb.32:
	v_lshlrev_b32_e32 v18, 1, v17
	v_mov_b32_e32 v19, 0
	v_lshl_add_u64 v[18:19], s[6:7], 0, v[18:19]
	flat_load_ushort v13, v[18:19]
.LBB3108_33:
	s_or_b64 exec, exec, s[0:1]
	v_or_b32_e32 v18, 0x1a00, v0
	v_cmp_gt_u32_e32 vcc, s33, v18
                                        ; implicit-def: $vgpr17
	s_and_saveexec_b64 s[0:1], vcc
	s_cbranch_execz .LBB3108_35
; %bb.34:
	v_lshlrev_b32_e32 v18, 1, v18
	v_mov_b32_e32 v19, 0
	v_lshl_add_u64 v[18:19], s[6:7], 0, v[18:19]
	flat_load_ushort v17, v[18:19]
.LBB3108_35:
	s_or_b64 exec, exec, s[0:1]
	v_or_b32_e32 v19, 0x1c00, v0
	v_cmp_gt_u32_e32 vcc, s33, v19
                                        ; implicit-def: $vgpr18
	s_and_saveexec_b64 s[0:1], vcc
	s_cbranch_execz .LBB3108_37
; %bb.36:
	v_lshlrev_b32_e32 v18, 1, v19
	v_mov_b32_e32 v19, 0
	v_lshl_add_u64 v[18:19], s[6:7], 0, v[18:19]
	flat_load_ushort v18, v[18:19]
.LBB3108_37:
	s_or_b64 exec, exec, s[0:1]
	v_or_b32_e32 v20, 0x1e00, v0
	v_cmp_gt_u32_e32 vcc, s33, v20
                                        ; implicit-def: $vgpr19
	s_and_saveexec_b64 s[0:1], vcc
	s_cbranch_execz .LBB3108_39
; %bb.38:
	v_lshlrev_b32_e32 v20, 1, v20
	v_mov_b32_e32 v21, 0
	v_lshl_add_u64 v[20:21], s[6:7], 0, v[20:21]
	flat_load_ushort v19, v[20:21]
.LBB3108_39:
	s_or_b64 exec, exec, s[0:1]
	v_or_b32_e32 v21, 0x2000, v0
	v_cmp_gt_u32_e32 vcc, s33, v21
                                        ; implicit-def: $vgpr20
	s_and_saveexec_b64 s[0:1], vcc
	s_cbranch_execz .LBB3108_41
; %bb.40:
	v_lshlrev_b32_e32 v20, 1, v21
	v_mov_b32_e32 v21, 0
	v_lshl_add_u64 v[20:21], s[6:7], 0, v[20:21]
	flat_load_ushort v20, v[20:21]
.LBB3108_41:
	s_or_b64 exec, exec, s[0:1]
	v_or_b32_e32 v22, 0x2200, v0
	v_cmp_gt_u32_e32 vcc, s33, v22
                                        ; implicit-def: $vgpr21
	s_and_saveexec_b64 s[0:1], vcc
	s_cbranch_execz .LBB3108_43
; %bb.42:
	v_lshlrev_b32_e32 v22, 1, v22
	v_mov_b32_e32 v23, 0
	v_lshl_add_u64 v[22:23], s[6:7], 0, v[22:23]
	flat_load_ushort v21, v[22:23]
.LBB3108_43:
	s_or_b64 exec, exec, s[0:1]
	v_or_b32_e32 v23, 0x2400, v0
	v_cmp_gt_u32_e32 vcc, s33, v23
                                        ; implicit-def: $vgpr22
	s_and_saveexec_b64 s[0:1], vcc
	s_cbranch_execz .LBB3108_45
; %bb.44:
	v_lshlrev_b32_e32 v22, 1, v23
	v_mov_b32_e32 v23, 0
	v_lshl_add_u64 v[22:23], s[6:7], 0, v[22:23]
	flat_load_ushort v22, v[22:23]
.LBB3108_45:
	s_or_b64 exec, exec, s[0:1]
	v_or_b32_e32 v24, 0x2600, v0
	v_cmp_gt_u32_e32 vcc, s33, v24
                                        ; implicit-def: $vgpr23
	s_and_saveexec_b64 s[0:1], vcc
	s_cbranch_execz .LBB3108_47
; %bb.46:
	v_lshlrev_b32_e32 v24, 1, v24
	v_mov_b32_e32 v25, 0
	v_lshl_add_u64 v[24:25], s[6:7], 0, v[24:25]
	flat_load_ushort v23, v[24:25]
.LBB3108_47:
	s_or_b64 exec, exec, s[0:1]
	v_or_b32_e32 v25, 0x2800, v0
	v_cmp_gt_u32_e32 vcc, s33, v25
                                        ; implicit-def: $vgpr24
	s_and_saveexec_b64 s[0:1], vcc
	s_cbranch_execz .LBB3108_49
; %bb.48:
	v_lshlrev_b32_e32 v24, 1, v25
	v_mov_b32_e32 v25, 0
	v_lshl_add_u64 v[24:25], s[6:7], 0, v[24:25]
	flat_load_ushort v24, v[24:25]
.LBB3108_49:
	s_or_b64 exec, exec, s[0:1]
	v_or_b32_e32 v26, 0x2a00, v0
	v_cmp_gt_u32_e32 vcc, s33, v26
                                        ; implicit-def: $vgpr25
	s_and_saveexec_b64 s[0:1], vcc
	s_cbranch_execz .LBB3108_51
; %bb.50:
	v_lshlrev_b32_e32 v26, 1, v26
	v_mov_b32_e32 v27, 0
	v_lshl_add_u64 v[26:27], s[6:7], 0, v[26:27]
	flat_load_ushort v25, v[26:27]
.LBB3108_51:
	s_or_b64 exec, exec, s[0:1]
	v_or_b32_e32 v27, 0x2c00, v0
	v_cmp_gt_u32_e32 vcc, s33, v27
                                        ; implicit-def: $vgpr26
	s_and_saveexec_b64 s[0:1], vcc
	s_cbranch_execz .LBB3108_53
; %bb.52:
	v_lshlrev_b32_e32 v26, 1, v27
	v_mov_b32_e32 v27, 0
	v_lshl_add_u64 v[26:27], s[6:7], 0, v[26:27]
	flat_load_ushort v26, v[26:27]
.LBB3108_53:
	s_or_b64 exec, exec, s[0:1]
	v_or_b32_e32 v28, 0x2e00, v0
	v_cmp_gt_u32_e32 vcc, s33, v28
                                        ; implicit-def: $vgpr27
	s_and_saveexec_b64 s[0:1], vcc
	s_cbranch_execz .LBB3108_55
; %bb.54:
	v_lshlrev_b32_e32 v28, 1, v28
	v_mov_b32_e32 v29, 0
	v_lshl_add_u64 v[28:29], s[6:7], 0, v[28:29]
	flat_load_ushort v27, v[28:29]
.LBB3108_55:
	s_or_b64 exec, exec, s[0:1]
	v_or_b32_e32 v29, 0x3000, v0
	v_cmp_gt_u32_e32 vcc, s33, v29
                                        ; implicit-def: $vgpr28
	s_and_saveexec_b64 s[0:1], vcc
	s_cbranch_execz .LBB3108_57
; %bb.56:
	v_lshlrev_b32_e32 v28, 1, v29
	v_mov_b32_e32 v29, 0
	v_lshl_add_u64 v[28:29], s[6:7], 0, v[28:29]
	flat_load_ushort v28, v[28:29]
.LBB3108_57:
	s_or_b64 exec, exec, s[0:1]
	v_or_b32_e32 v30, 0x3200, v0
	v_cmp_gt_u32_e32 vcc, s33, v30
                                        ; implicit-def: $vgpr29
	s_and_saveexec_b64 s[0:1], vcc
	s_cbranch_execz .LBB3108_59
; %bb.58:
	v_lshlrev_b32_e32 v30, 1, v30
	v_mov_b32_e32 v31, 0
	v_lshl_add_u64 v[30:31], s[6:7], 0, v[30:31]
	flat_load_ushort v29, v[30:31]
.LBB3108_59:
	s_or_b64 exec, exec, s[0:1]
	v_or_b32_e32 v31, 0x3400, v0
	v_cmp_gt_u32_e32 vcc, s33, v31
                                        ; implicit-def: $vgpr30
	s_and_saveexec_b64 s[0:1], vcc
	s_cbranch_execz .LBB3108_61
; %bb.60:
	v_lshlrev_b32_e32 v30, 1, v31
	v_mov_b32_e32 v31, 0
	v_lshl_add_u64 v[30:31], s[6:7], 0, v[30:31]
	flat_load_ushort v30, v[30:31]
.LBB3108_61:
	s_or_b64 exec, exec, s[0:1]
	v_or_b32_e32 v32, 0x3600, v0
	v_cmp_gt_u32_e32 vcc, s33, v32
                                        ; implicit-def: $vgpr31
	s_and_saveexec_b64 s[0:1], vcc
	s_cbranch_execz .LBB3108_63
; %bb.62:
	v_lshlrev_b32_e32 v32, 1, v32
	v_mov_b32_e32 v33, 0
	v_lshl_add_u64 v[32:33], s[6:7], 0, v[32:33]
	flat_load_ushort v31, v[32:33]
.LBB3108_63:
	s_or_b64 exec, exec, s[0:1]
	s_waitcnt vmcnt(0) lgkmcnt(0)
	ds_write_b16 v16, v1
	ds_write_b16 v16, v2 offset:1024
	ds_write_b16 v16, v3 offset:2048
	;; [unrolled: 1-line block ×27, first 2 shown]
	s_waitcnt lgkmcnt(0)
	s_barrier
.LBB3108_64:
	v_mul_u32_u24_e32 v1, 28, v0
	v_lshlrev_b32_e32 v6, 1, v1
	ds_read_b64 v[18:19], v6 offset:48
	ds_read2_b64 v[2:5], v6 offset0:4 offset1:5
	ds_read2_b64 v[10:13], v6 offset1:1
	ds_read2_b64 v[6:9], v6 offset0:2 offset1:3
	s_add_u32 s0, s2, s8
	s_addc_u32 s1, s3, s9
	s_add_u32 s0, s0, s4
	s_addc_u32 s1, s1, s5
	s_mov_b64 s[2:3], -1
	s_and_b64 vcc, exec, s[26:27]
	s_waitcnt lgkmcnt(0)
	s_barrier
	s_cbranch_vccz .LBB3108_66
; %bb.65:
	v_mov_b32_e32 v17, 0
	v_lshl_add_u64 v[20:21], s[0:1], 0, v[16:17]
	s_movk_i32 s2, 0x1000
	v_add_co_u32_e32 v22, vcc, s2, v20
	s_movk_i32 s2, 0x2000
	s_nop 0
	v_addc_co_u32_e32 v23, vcc, 0, v21, vcc
	v_add_co_u32_e32 v24, vcc, s2, v20
	s_movk_i32 s3, 0x4000
	s_nop 0
	v_addc_co_u32_e32 v25, vcc, 0, v21, vcc
	global_load_ubyte v17, v16, s[0:1]
	global_load_ubyte v26, v16, s[0:1] offset:1024
	global_load_ubyte v27, v16, s[0:1] offset:2048
	;; [unrolled: 1-line block ×3, first 2 shown]
	global_load_ubyte v29, v[22:23], off offset:1024
	global_load_ubyte v30, v[22:23], off offset:2048
	;; [unrolled: 1-line block ×3, first 2 shown]
	global_load_ubyte v32, v[24:25], off offset:-4096
	global_load_ubyte v33, v[24:25], off
	global_load_ubyte v34, v[24:25], off offset:1024
	v_add_co_u32_e32 v22, vcc, s3, v20
	s_movk_i32 s2, 0x3000
	s_nop 0
	v_addc_co_u32_e32 v23, vcc, 0, v21, vcc
	global_load_ubyte v35, v[24:25], off offset:2048
	global_load_ubyte v36, v[24:25], off offset:3072
	global_load_ubyte v37, v[22:23], off offset:-4096
	v_add_co_u32_e32 v24, vcc, s2, v20
	s_movk_i32 s3, 0x6000
	s_nop 0
	v_addc_co_u32_e32 v25, vcc, 0, v21, vcc
	global_load_ubyte v38, v[24:25], off offset:1024
	global_load_ubyte v39, v[24:25], off offset:2048
	;; [unrolled: 1-line block ×3, first 2 shown]
	global_load_ubyte v41, v[22:23], off
	v_add_co_u32_e32 v24, vcc, s3, v20
	s_movk_i32 s2, 0x5000
	s_nop 0
	v_addc_co_u32_e32 v25, vcc, 0, v21, vcc
	v_add_co_u32_e32 v20, vcc, s2, v20
	global_load_ubyte v42, v[22:23], off offset:1024
	global_load_ubyte v43, v[22:23], off offset:2048
	;; [unrolled: 1-line block ×3, first 2 shown]
	global_load_ubyte v45, v[24:25], off offset:-4096
	v_addc_co_u32_e32 v21, vcc, 0, v21, vcc
	global_load_ubyte v22, v[20:21], off offset:1024
	global_load_ubyte v23, v[20:21], off offset:2048
	;; [unrolled: 1-line block ×3, first 2 shown]
	global_load_ubyte v47, v[24:25], off
	global_load_ubyte v48, v[24:25], off offset:1024
	global_load_ubyte v49, v[24:25], off offset:2048
	global_load_ubyte v50, v[24:25], off offset:3072
	s_mov_b64 s[2:3], 0
	s_waitcnt vmcnt(23)
	v_xor_b32_e32 v25, -1, v29
	v_xor_b32_e32 v17, -1, v17
	;; [unrolled: 1-line block ×5, first 2 shown]
	v_and_b32_e32 v17, 1, v17
	s_waitcnt vmcnt(22)
	v_xor_b32_e32 v26, -1, v30
	s_waitcnt vmcnt(21)
	v_xor_b32_e32 v27, -1, v31
	;; [unrolled: 2-line block ×12, first 2 shown]
	v_and_b32_e32 v20, 1, v20
	v_and_b32_e32 v21, 1, v21
	;; [unrolled: 1-line block ×4, first 2 shown]
	s_waitcnt vmcnt(10)
	v_xor_b32_e32 v38, -1, v42
	s_waitcnt vmcnt(9)
	v_xor_b32_e32 v39, -1, v43
	;; [unrolled: 2-line block ×11, first 2 shown]
	v_and_b32_e32 v26, 1, v26
	v_and_b32_e32 v27, 1, v27
	;; [unrolled: 1-line block ×23, first 2 shown]
	ds_write_b8 v0, v17
	ds_write_b8 v0, v20 offset:512
	ds_write_b8 v0, v21 offset:1024
	;; [unrolled: 1-line block ×27, first 2 shown]
	s_waitcnt lgkmcnt(0)
	s_barrier
.LBB3108_66:
	s_andn2_b64 vcc, exec, s[2:3]
	s_cbranch_vccnz .LBB3108_124
; %bb.67:
	v_cmp_gt_u32_e32 vcc, s33, v0
	v_mov_b32_e32 v17, 0
	v_mov_b32_e32 v20, 0
	s_and_saveexec_b64 s[2:3], vcc
	s_cbranch_execz .LBB3108_69
; %bb.68:
	global_load_ubyte v20, v16, s[0:1]
	s_waitcnt vmcnt(0)
	v_xor_b32_e32 v20, -1, v20
	v_and_b32_e32 v20, 1, v20
.LBB3108_69:
	s_or_b64 exec, exec, s[2:3]
	v_or_b32_e32 v21, 0x200, v0
	v_cmp_gt_u32_e32 vcc, s33, v21
	s_and_saveexec_b64 s[2:3], vcc
	s_cbranch_execz .LBB3108_71
; %bb.70:
	global_load_ubyte v17, v16, s[0:1] offset:1024
	s_waitcnt vmcnt(0)
	v_xor_b32_e32 v17, -1, v17
	v_and_b32_e32 v17, 1, v17
.LBB3108_71:
	s_or_b64 exec, exec, s[2:3]
	v_or_b32_e32 v21, 0x400, v0
	v_cmp_gt_u32_e32 vcc, s33, v21
	v_mov_b32_e32 v21, 0
	v_mov_b32_e32 v22, 0
	s_and_saveexec_b64 s[2:3], vcc
	s_cbranch_execz .LBB3108_73
; %bb.72:
	global_load_ubyte v22, v16, s[0:1] offset:2048
	s_waitcnt vmcnt(0)
	v_xor_b32_e32 v22, -1, v22
	v_and_b32_e32 v22, 1, v22
.LBB3108_73:
	s_or_b64 exec, exec, s[2:3]
	v_or_b32_e32 v23, 0x600, v0
	v_cmp_gt_u32_e32 vcc, s33, v23
	s_and_saveexec_b64 s[2:3], vcc
	s_cbranch_execz .LBB3108_75
; %bb.74:
	global_load_ubyte v21, v16, s[0:1] offset:3072
	s_waitcnt vmcnt(0)
	v_xor_b32_e32 v21, -1, v21
	v_and_b32_e32 v21, 1, v21
.LBB3108_75:
	s_or_b64 exec, exec, s[2:3]
	v_or_b32_e32 v25, 0x800, v0
	v_cmp_gt_u32_e32 vcc, s33, v25
	v_mov_b32_e32 v23, 0
	v_mov_b32_e32 v24, 0
	s_and_saveexec_b64 s[2:3], vcc
	s_cbranch_execz .LBB3108_77
; %bb.76:
	v_lshlrev_b32_e32 v24, 1, v25
	global_load_ubyte v24, v24, s[0:1]
	s_waitcnt vmcnt(0)
	v_xor_b32_e32 v24, -1, v24
	v_and_b32_e32 v24, 1, v24
.LBB3108_77:
	s_or_b64 exec, exec, s[2:3]
	v_or_b32_e32 v25, 0xa00, v0
	v_cmp_gt_u32_e32 vcc, s33, v25
	s_and_saveexec_b64 s[2:3], vcc
	s_cbranch_execz .LBB3108_79
; %bb.78:
	v_lshlrev_b32_e32 v23, 1, v25
	global_load_ubyte v23, v23, s[0:1]
	s_waitcnt vmcnt(0)
	v_xor_b32_e32 v23, -1, v23
	v_and_b32_e32 v23, 1, v23
.LBB3108_79:
	s_or_b64 exec, exec, s[2:3]
	v_or_b32_e32 v27, 0xc00, v0
	v_cmp_gt_u32_e32 vcc, s33, v27
	v_mov_b32_e32 v25, 0
	v_mov_b32_e32 v26, 0
	s_and_saveexec_b64 s[2:3], vcc
	s_cbranch_execz .LBB3108_81
; %bb.80:
	v_lshlrev_b32_e32 v26, 1, v27
	global_load_ubyte v26, v26, s[0:1]
	s_waitcnt vmcnt(0)
	v_xor_b32_e32 v26, -1, v26
	v_and_b32_e32 v26, 1, v26
.LBB3108_81:
	s_or_b64 exec, exec, s[2:3]
	v_or_b32_e32 v27, 0xe00, v0
	v_cmp_gt_u32_e32 vcc, s33, v27
	s_and_saveexec_b64 s[2:3], vcc
	s_cbranch_execz .LBB3108_83
; %bb.82:
	v_lshlrev_b32_e32 v25, 1, v27
	global_load_ubyte v25, v25, s[0:1]
	s_waitcnt vmcnt(0)
	v_xor_b32_e32 v25, -1, v25
	v_and_b32_e32 v25, 1, v25
.LBB3108_83:
	;; [unrolled: 26-line block ×12, first 2 shown]
	s_or_b64 exec, exec, s[2:3]
	ds_write_b8 v0, v20
	ds_write_b8 v0, v17 offset:512
	ds_write_b8 v0, v22 offset:1024
	;; [unrolled: 1-line block ×27, first 2 shown]
	s_waitcnt lgkmcnt(0)
	s_barrier
.LBB3108_124:
	ds_read2_b32 v[28:29], v1 offset1:1
	ds_read2_b32 v[26:27], v1 offset0:2 offset1:3
	ds_read2_b32 v[24:25], v1 offset0:4 offset1:5
	ds_read_b32 v36, v1 offset:24
	s_cmp_lg_u32 s36, 0
	v_lshrrev_b32_e32 v63, 6, v0
	s_waitcnt lgkmcnt(2)
	v_and_b32_e32 v55, 0xff, v26
	v_lshrrev_b32_e32 v43, 24, v28
	v_bfe_u32 v61, v28, 16, 8
	v_add_u32_sdwa v20, v28, v28 dst_sel:DWORD dst_unused:UNUSED_PAD src0_sel:BYTE_1 src1_sel:BYTE_0
	v_and_b32_e32 v58, 0xff, v29
	v_bfe_u32 v59, v29, 8, 8
	v_add3_u32 v20, v20, v61, v43
	v_lshrrev_b32_e32 v42, 24, v29
	v_bfe_u32 v60, v29, 16, 8
	v_add3_u32 v20, v20, v58, v59
	v_bfe_u32 v56, v26, 8, 8
	v_add3_u32 v20, v20, v60, v42
	v_lshrrev_b32_e32 v41, 24, v26
	v_bfe_u32 v57, v26, 16, 8
	v_add3_u32 v20, v20, v55, v56
	v_and_b32_e32 v52, 0xff, v27
	v_bfe_u32 v53, v27, 8, 8
	v_add3_u32 v20, v20, v57, v41
	v_lshrrev_b32_e32 v40, 24, v27
	v_bfe_u32 v54, v27, 16, 8
	v_add3_u32 v20, v20, v52, v53
	s_waitcnt lgkmcnt(1)
	v_and_b32_e32 v49, 0xff, v24
	v_bfe_u32 v50, v24, 8, 8
	v_add3_u32 v20, v20, v54, v40
	v_lshrrev_b32_e32 v39, 24, v24
	v_bfe_u32 v51, v24, 16, 8
	v_add3_u32 v20, v20, v49, v50
	v_and_b32_e32 v46, 0xff, v25
	v_bfe_u32 v47, v25, 8, 8
	v_add3_u32 v20, v20, v51, v39
	v_lshrrev_b32_e32 v38, 24, v25
	v_bfe_u32 v48, v25, 16, 8
	v_add3_u32 v20, v20, v46, v47
	s_waitcnt lgkmcnt(0)
	v_and_b32_e32 v44, 0xff, v36
	v_bfe_u32 v45, v36, 8, 8
	v_add3_u32 v20, v20, v48, v38
	v_lshrrev_b32_e32 v17, 24, v36
	v_bfe_u32 v37, v36, 16, 8
	v_add3_u32 v20, v20, v44, v45
	v_add3_u32 v64, v20, v37, v17
	v_mbcnt_lo_u32_b32 v20, -1, 0
	v_mbcnt_hi_u32_b32 v62, -1, v20
	v_and_b32_e32 v20, 15, v62
	v_cmp_eq_u32_e64 s[14:15], 0, v20
	v_cmp_lt_u32_e64 s[12:13], 1, v20
	v_cmp_lt_u32_e64 s[10:11], 3, v20
	;; [unrolled: 1-line block ×3, first 2 shown]
	v_and_b32_e32 v20, 16, v62
	v_cmp_eq_u32_e64 s[6:7], 0, v20
	v_or_b32_e32 v20, 63, v0
	v_cmp_lt_u32_e64 s[2:3], 31, v62
	v_cmp_eq_u32_e64 s[4:5], v20, v0
	s_barrier
	s_cbranch_scc0 .LBB3108_155
; %bb.125:
	v_mov_b32_dpp v20, v64 row_shr:1 row_mask:0xf bank_mask:0xf
	v_cndmask_b32_e64 v20, v20, 0, s[14:15]
	v_add_u32_e32 v20, v20, v64
	s_nop 1
	v_mov_b32_dpp v21, v20 row_shr:2 row_mask:0xf bank_mask:0xf
	v_cndmask_b32_e64 v21, 0, v21, s[12:13]
	v_add_u32_e32 v20, v20, v21
	s_nop 1
	;; [unrolled: 4-line block ×4, first 2 shown]
	v_mov_b32_dpp v21, v20 row_bcast:15 row_mask:0xf bank_mask:0xf
	v_cndmask_b32_e64 v21, v21, 0, s[6:7]
	v_add_u32_e32 v20, v20, v21
	s_nop 1
	v_mov_b32_dpp v21, v20 row_bcast:31 row_mask:0xf bank_mask:0xf
	v_cndmask_b32_e64 v21, 0, v21, s[2:3]
	v_add_u32_e32 v20, v20, v21
	s_and_saveexec_b64 s[0:1], s[4:5]
	s_cbranch_execz .LBB3108_127
; %bb.126:
	v_lshlrev_b32_e32 v21, 2, v63
	ds_write_b32 v21, v20
.LBB3108_127:
	s_or_b64 exec, exec, s[0:1]
	v_cmp_gt_u32_e32 vcc, 8, v0
	s_waitcnt lgkmcnt(0)
	s_barrier
	s_and_saveexec_b64 s[0:1], vcc
	s_cbranch_execz .LBB3108_129
; %bb.128:
	v_lshlrev_b32_e32 v21, 2, v0
	ds_read_b32 v22, v21
	v_and_b32_e32 v23, 7, v62
	v_cmp_ne_u32_e32 vcc, 0, v23
	s_waitcnt lgkmcnt(0)
	v_mov_b32_dpp v30, v22 row_shr:1 row_mask:0xf bank_mask:0xf
	v_cndmask_b32_e32 v30, 0, v30, vcc
	v_add_u32_e32 v22, v30, v22
	v_cmp_lt_u32_e32 vcc, 1, v23
	s_nop 0
	v_mov_b32_dpp v30, v22 row_shr:2 row_mask:0xf bank_mask:0xf
	v_cndmask_b32_e32 v30, 0, v30, vcc
	v_add_u32_e32 v22, v22, v30
	v_cmp_lt_u32_e32 vcc, 3, v23
	s_nop 0
	v_mov_b32_dpp v30, v22 row_shr:4 row_mask:0xf bank_mask:0xf
	v_cndmask_b32_e32 v23, 0, v30, vcc
	v_add_u32_e32 v22, v22, v23
	ds_write_b32 v21, v22
.LBB3108_129:
	s_or_b64 exec, exec, s[0:1]
	v_cmp_gt_u32_e32 vcc, 64, v0
	v_cmp_lt_u32_e64 s[0:1], 63, v0
	s_waitcnt lgkmcnt(0)
	s_barrier
	s_waitcnt lgkmcnt(0)
                                        ; implicit-def: $vgpr65
	s_and_saveexec_b64 s[16:17], s[0:1]
	s_cbranch_execz .LBB3108_131
; %bb.130:
	v_lshl_add_u32 v21, v63, 2, -4
	ds_read_b32 v65, v21
	s_waitcnt lgkmcnt(0)
	v_add_u32_e32 v20, v65, v20
.LBB3108_131:
	s_or_b64 exec, exec, s[16:17]
	v_add_u32_e32 v21, -1, v62
	v_and_b32_e32 v22, 64, v62
	v_cmp_lt_i32_e64 s[0:1], v21, v22
	v_cmp_eq_u32_e64 s[16:17], 0, v62
	s_nop 0
	v_cndmask_b32_e64 v21, v21, v62, s[0:1]
	v_lshlrev_b32_e32 v21, 2, v21
	ds_bpermute_b32 v66, v21, v20
	s_and_saveexec_b64 s[0:1], vcc
	s_cbranch_execz .LBB3108_154
; %bb.132:
	v_mov_b32_e32 v35, 0
	ds_read_b32 v20, v35 offset:28
	s_and_saveexec_b64 s[30:31], s[16:17]
	s_cbranch_execz .LBB3108_134
; %bb.133:
	s_add_i32 s34, s36, 64
	s_mov_b32 s35, 0
	s_lshl_b64 s[34:35], s[34:35], 3
	s_add_u32 s34, s28, s34
	v_mov_b32_e32 v21, 1
	s_addc_u32 s35, s29, s35
	s_waitcnt lgkmcnt(0)
	global_store_dwordx2 v35, v[20:21], s[34:35] sc1
.LBB3108_134:
	s_or_b64 exec, exec, s[30:31]
	v_xad_u32 v22, v62, -1, s36
	v_add_u32_e32 v34, 64, v22
	v_lshl_add_u64 v[30:31], v[34:35], 3, s[28:29]
	global_load_dwordx2 v[32:33], v[30:31], off sc1
	s_waitcnt vmcnt(0)
	v_cmp_eq_u16_sdwa s[34:35], v33, v35 src0_sel:BYTE_0 src1_sel:DWORD
	s_and_saveexec_b64 s[30:31], s[34:35]
	s_cbranch_execz .LBB3108_140
; %bb.135:
	s_mov_b32 s37, 1
	s_mov_b64 s[34:35], 0
	v_mov_b32_e32 v21, 0
.LBB3108_136:                           ; =>This Loop Header: Depth=1
                                        ;     Child Loop BB3108_137 Depth 2
	s_max_u32 s38, s37, 1
.LBB3108_137:                           ;   Parent Loop BB3108_136 Depth=1
                                        ; =>  This Inner Loop Header: Depth=2
	s_add_i32 s38, s38, -1
	s_cmp_eq_u32 s38, 0
	s_sleep 1
	s_cbranch_scc0 .LBB3108_137
; %bb.138:                              ;   in Loop: Header=BB3108_136 Depth=1
	global_load_dwordx2 v[32:33], v[30:31], off sc1
	s_cmp_lt_u32 s37, 32
	s_cselect_b64 s[38:39], -1, 0
	s_cmp_lg_u64 s[38:39], 0
	s_addc_u32 s37, s37, 0
	s_waitcnt vmcnt(0)
	v_cmp_ne_u16_sdwa s[38:39], v33, v21 src0_sel:BYTE_0 src1_sel:DWORD
	s_or_b64 s[34:35], s[38:39], s[34:35]
	s_andn2_b64 exec, exec, s[34:35]
	s_cbranch_execnz .LBB3108_136
; %bb.139:
	s_or_b64 exec, exec, s[34:35]
.LBB3108_140:
	s_or_b64 exec, exec, s[30:31]
	v_and_b32_e32 v68, 63, v62
	v_mov_b32_e32 v67, 2
	v_cmp_ne_u32_e32 vcc, 63, v68
	v_cmp_eq_u16_sdwa s[30:31], v33, v67 src0_sel:BYTE_0 src1_sel:DWORD
	v_lshlrev_b64 v[30:31], v62, -1
	v_addc_co_u32_e32 v34, vcc, 0, v62, vcc
	v_and_b32_e32 v21, s31, v31
	v_lshlrev_b32_e32 v69, 2, v34
	v_or_b32_e32 v21, 0x80000000, v21
	ds_bpermute_b32 v34, v69, v32
	v_and_b32_e32 v23, s30, v30
	v_ffbl_b32_e32 v21, v21
	v_add_u32_e32 v21, 32, v21
	v_ffbl_b32_e32 v23, v23
	v_min_u32_e32 v21, v23, v21
	v_cmp_lt_u32_e32 vcc, v68, v21
	v_add_u32_e32 v71, 2, v68
	v_add_u32_e32 v73, 4, v68
	s_waitcnt lgkmcnt(0)
	v_cndmask_b32_e32 v23, 0, v34, vcc
	v_cmp_gt_u32_e32 vcc, 62, v68
	v_add_u32_e32 v23, v23, v32
	v_add_u32_e32 v75, 8, v68
	v_cndmask_b32_e64 v32, 0, 1, vcc
	v_lshlrev_b32_e32 v32, 1, v32
	v_add_lshl_u32 v70, v32, v62, 2
	ds_bpermute_b32 v32, v70, v23
	v_cmp_le_u32_e32 vcc, v71, v21
	v_add_u32_e32 v77, 16, v68
	v_add_u32_e32 v79, 32, v68
	s_waitcnt lgkmcnt(0)
	v_cndmask_b32_e32 v32, 0, v32, vcc
	v_cmp_gt_u32_e32 vcc, 60, v68
	v_add_u32_e32 v23, v23, v32
	s_nop 0
	v_cndmask_b32_e64 v32, 0, 1, vcc
	v_lshlrev_b32_e32 v32, 2, v32
	v_add_lshl_u32 v72, v32, v62, 2
	ds_bpermute_b32 v32, v72, v23
	v_cmp_le_u32_e32 vcc, v73, v21
	s_waitcnt lgkmcnt(0)
	s_nop 0
	v_cndmask_b32_e32 v32, 0, v32, vcc
	v_cmp_gt_u32_e32 vcc, 56, v68
	v_add_u32_e32 v23, v23, v32
	s_nop 0
	v_cndmask_b32_e64 v32, 0, 1, vcc
	v_lshlrev_b32_e32 v32, 3, v32
	v_add_lshl_u32 v74, v32, v62, 2
	ds_bpermute_b32 v32, v74, v23
	v_cmp_le_u32_e32 vcc, v75, v21
	s_waitcnt lgkmcnt(0)
	s_nop 0
	;; [unrolled: 11-line block ×4, first 2 shown]
	v_cndmask_b32_e32 v21, 0, v32, vcc
	v_add_u32_e32 v32, v23, v21
	v_mov_b32_e32 v23, 0
	s_branch .LBB3108_142
.LBB3108_141:                           ;   in Loop: Header=BB3108_142 Depth=1
	s_or_b64 exec, exec, s[30:31]
	v_cmp_eq_u16_sdwa s[30:31], v33, v67 src0_sel:BYTE_0 src1_sel:DWORD
	ds_bpermute_b32 v80, v69, v32
	v_subrev_u32_e32 v22, 64, v22
	v_and_b32_e32 v34, s31, v31
	v_or_b32_e32 v34, 0x80000000, v34
	v_and_b32_e32 v35, s30, v30
	v_ffbl_b32_e32 v34, v34
	v_add_u32_e32 v34, 32, v34
	v_ffbl_b32_e32 v35, v35
	v_min_u32_e32 v34, v35, v34
	v_cmp_lt_u32_e32 vcc, v68, v34
	s_waitcnt lgkmcnt(0)
	s_nop 0
	v_cndmask_b32_e32 v35, 0, v80, vcc
	v_add_u32_e32 v32, v35, v32
	ds_bpermute_b32 v35, v70, v32
	v_cmp_le_u32_e32 vcc, v71, v34
	s_waitcnt lgkmcnt(0)
	s_nop 0
	v_cndmask_b32_e32 v35, 0, v35, vcc
	v_add_u32_e32 v32, v32, v35
	ds_bpermute_b32 v35, v72, v32
	v_cmp_le_u32_e32 vcc, v73, v34
	;; [unrolled: 6-line block ×5, first 2 shown]
	s_waitcnt lgkmcnt(0)
	s_nop 0
	v_cndmask_b32_e32 v34, 0, v35, vcc
	v_add3_u32 v32, v34, v21, v32
.LBB3108_142:                           ; =>This Loop Header: Depth=1
                                        ;     Child Loop BB3108_145 Depth 2
                                        ;       Child Loop BB3108_146 Depth 3
	v_cmp_ne_u16_sdwa s[30:31], v33, v67 src0_sel:BYTE_0 src1_sel:DWORD
	s_nop 1
	v_cndmask_b32_e64 v21, 0, 1, s[30:31]
	;;#ASMSTART
	;;#ASMEND
	s_nop 0
	v_cmp_ne_u32_e32 vcc, 0, v21
	s_cmp_lg_u64 vcc, exec
	v_mov_b32_e32 v21, v32
	s_cbranch_scc1 .LBB3108_149
; %bb.143:                              ;   in Loop: Header=BB3108_142 Depth=1
	v_lshl_add_u64 v[34:35], v[22:23], 3, s[28:29]
	global_load_dwordx2 v[32:33], v[34:35], off sc1
	s_waitcnt vmcnt(0)
	v_cmp_eq_u16_sdwa s[34:35], v33, v23 src0_sel:BYTE_0 src1_sel:DWORD
	s_and_saveexec_b64 s[30:31], s[34:35]
	s_cbranch_execz .LBB3108_141
; %bb.144:                              ;   in Loop: Header=BB3108_142 Depth=1
	s_mov_b32 s37, 1
	s_mov_b64 s[34:35], 0
.LBB3108_145:                           ;   Parent Loop BB3108_142 Depth=1
                                        ; =>  This Loop Header: Depth=2
                                        ;       Child Loop BB3108_146 Depth 3
	s_max_u32 s38, s37, 1
.LBB3108_146:                           ;   Parent Loop BB3108_142 Depth=1
                                        ;     Parent Loop BB3108_145 Depth=2
                                        ; =>    This Inner Loop Header: Depth=3
	s_add_i32 s38, s38, -1
	s_cmp_eq_u32 s38, 0
	s_sleep 1
	s_cbranch_scc0 .LBB3108_146
; %bb.147:                              ;   in Loop: Header=BB3108_145 Depth=2
	global_load_dwordx2 v[32:33], v[34:35], off sc1
	s_cmp_lt_u32 s37, 32
	s_cselect_b64 s[38:39], -1, 0
	s_cmp_lg_u64 s[38:39], 0
	s_addc_u32 s37, s37, 0
	s_waitcnt vmcnt(0)
	v_cmp_ne_u16_sdwa s[38:39], v33, v23 src0_sel:BYTE_0 src1_sel:DWORD
	s_or_b64 s[34:35], s[38:39], s[34:35]
	s_andn2_b64 exec, exec, s[34:35]
	s_cbranch_execnz .LBB3108_145
; %bb.148:                              ;   in Loop: Header=BB3108_142 Depth=1
	s_or_b64 exec, exec, s[34:35]
	s_branch .LBB3108_141
.LBB3108_149:                           ;   in Loop: Header=BB3108_142 Depth=1
                                        ; implicit-def: $vgpr32
                                        ; implicit-def: $vgpr33
	s_cbranch_execz .LBB3108_142
; %bb.150:
	s_and_saveexec_b64 s[30:31], s[16:17]
	s_cbranch_execz .LBB3108_152
; %bb.151:
	s_add_i32 s34, s36, 64
	s_mov_b32 s35, 0
	s_lshl_b64 s[34:35], s[34:35], 3
	s_add_u32 s34, s28, s34
	v_add_u32_e32 v22, v21, v20
	v_mov_b32_e32 v23, 2
	s_addc_u32 s35, s29, s35
	v_mov_b32_e32 v30, 0
	global_store_dwordx2 v30, v[22:23], s[34:35] sc1
	ds_write_b64 v30, v[20:21] offset:28672
.LBB3108_152:
	s_or_b64 exec, exec, s[30:31]
	s_and_b64 exec, exec, s[18:19]
	s_cbranch_execz .LBB3108_154
; %bb.153:
	v_mov_b32_e32 v20, 0
	ds_write_b32 v20, v21 offset:28
.LBB3108_154:
	s_or_b64 exec, exec, s[0:1]
	v_mov_b32_e32 v20, 0
	s_waitcnt lgkmcnt(0)
	s_barrier
	ds_read_b32 v22, v20 offset:28
	s_waitcnt lgkmcnt(0)
	s_barrier
	ds_read_b64 v[20:21], v20 offset:28672
	v_cndmask_b32_e64 v23, v66, v65, s[16:17]
	v_cndmask_b32_e64 v23, v23, 0, s[18:19]
	v_add_u32_e32 v34, v22, v23
	s_waitcnt lgkmcnt(0)
	v_mov_b32_e32 v22, v21
	s_branch .LBB3108_165
.LBB3108_155:
                                        ; implicit-def: $vgpr22
                                        ; implicit-def: $vgpr20
                                        ; implicit-def: $vgpr34
	s_cbranch_execz .LBB3108_165
; %bb.156:
	s_nop 0
	v_mov_b32_dpp v20, v64 row_shr:1 row_mask:0xf bank_mask:0xf
	v_cndmask_b32_e64 v20, v20, 0, s[14:15]
	v_add_u32_e32 v20, v20, v64
	s_nop 1
	v_mov_b32_dpp v21, v20 row_shr:2 row_mask:0xf bank_mask:0xf
	v_cndmask_b32_e64 v21, 0, v21, s[12:13]
	v_add_u32_e32 v20, v20, v21
	;; [unrolled: 4-line block ×4, first 2 shown]
	s_nop 1
	v_mov_b32_dpp v21, v20 row_bcast:15 row_mask:0xf bank_mask:0xf
	v_cndmask_b32_e64 v21, v21, 0, s[6:7]
	v_add_u32_e32 v20, v20, v21
	s_nop 1
	v_mov_b32_dpp v21, v20 row_bcast:31 row_mask:0xf bank_mask:0xf
	v_cndmask_b32_e64 v21, 0, v21, s[2:3]
	v_add_u32_e32 v20, v20, v21
	s_and_saveexec_b64 s[0:1], s[4:5]
	s_cbranch_execz .LBB3108_158
; %bb.157:
	v_lshlrev_b32_e32 v21, 2, v63
	ds_write_b32 v21, v20
.LBB3108_158:
	s_or_b64 exec, exec, s[0:1]
	v_cmp_gt_u32_e32 vcc, 8, v0
	s_waitcnt lgkmcnt(0)
	s_barrier
	s_and_saveexec_b64 s[0:1], vcc
	s_cbranch_execz .LBB3108_160
; %bb.159:
	v_lshlrev_b32_e32 v21, 2, v0
	ds_read_b32 v22, v21
	v_and_b32_e32 v23, 7, v62
	v_cmp_ne_u32_e32 vcc, 0, v23
	s_waitcnt lgkmcnt(0)
	v_mov_b32_dpp v30, v22 row_shr:1 row_mask:0xf bank_mask:0xf
	v_cndmask_b32_e32 v30, 0, v30, vcc
	v_add_u32_e32 v22, v30, v22
	v_cmp_lt_u32_e32 vcc, 1, v23
	s_nop 0
	v_mov_b32_dpp v30, v22 row_shr:2 row_mask:0xf bank_mask:0xf
	v_cndmask_b32_e32 v30, 0, v30, vcc
	v_add_u32_e32 v22, v22, v30
	v_cmp_lt_u32_e32 vcc, 3, v23
	s_nop 0
	v_mov_b32_dpp v30, v22 row_shr:4 row_mask:0xf bank_mask:0xf
	v_cndmask_b32_e32 v23, 0, v30, vcc
	v_add_u32_e32 v22, v22, v23
	ds_write_b32 v21, v22
.LBB3108_160:
	s_or_b64 exec, exec, s[0:1]
	v_cmp_lt_u32_e32 vcc, 63, v0
	v_mov_b32_e32 v21, 0
	v_mov_b32_e32 v22, 0
	s_waitcnt lgkmcnt(0)
	s_barrier
	s_and_saveexec_b64 s[0:1], vcc
	s_cbranch_execz .LBB3108_162
; %bb.161:
	v_lshl_add_u32 v22, v63, 2, -4
	ds_read_b32 v22, v22
.LBB3108_162:
	s_or_b64 exec, exec, s[0:1]
	v_add_u32_e32 v23, -1, v62
	v_and_b32_e32 v30, 64, v62
	v_cmp_lt_i32_e32 vcc, v23, v30
	s_waitcnt lgkmcnt(0)
	v_add_u32_e32 v20, v22, v20
	v_cndmask_b32_e32 v23, v23, v62, vcc
	v_lshlrev_b32_e32 v23, 2, v23
	ds_bpermute_b32 v23, v23, v20
	ds_read_b32 v20, v21 offset:28
	s_and_saveexec_b64 s[0:1], s[18:19]
	s_cbranch_execz .LBB3108_164
; %bb.163:
	v_mov_b32_e32 v30, 0
	v_mov_b32_e32 v21, 2
	s_waitcnt lgkmcnt(0)
	global_store_dwordx2 v30, v[20:21], s[28:29] offset:512 sc1
.LBB3108_164:
	s_or_b64 exec, exec, s[0:1]
	v_cmp_eq_u32_e32 vcc, 0, v62
	s_waitcnt lgkmcnt(0)
	s_barrier
	v_cndmask_b32_e32 v21, v23, v22, vcc
	v_mov_b32_e32 v22, 0
	v_cndmask_b32_e64 v34, v21, 0, s[18:19]
.LBB3108_165:
	v_add_u32_sdwa v62, v34, v28 dst_sel:DWORD dst_unused:UNUSED_PAD src0_sel:DWORD src1_sel:BYTE_0
	v_add_u32_e32 v1, v20, v1
	v_sub_u32_e32 v34, v34, v22
	v_and_b32_e32 v71, 1, v28
	v_sub_u32_e32 v70, v1, v34
	v_cmp_eq_u32_e32 vcc, 1, v71
	v_lshrrev_b32_e32 v35, 8, v28
	v_add_u32_sdwa v63, v62, v28 dst_sel:DWORD dst_unused:UNUSED_PAD src0_sel:DWORD src1_sel:BYTE_1
	v_cndmask_b32_e32 v34, v70, v34, vcc
	v_lshlrev_b32_e32 v34, 1, v34
	ds_write_b16 v34, v10
	v_sub_u32_e32 v34, v62, v22
	v_sub_u32_e32 v62, v1, v34
	v_and_b32_e32 v35, 1, v35
	v_add_u32_e32 v62, 1, v62
	v_cmp_eq_u32_e32 vcc, 1, v35
	v_mov_b32_e32 v35, 1
	v_and_b32_sdwa v28, v35, v28 dst_sel:DWORD dst_unused:UNUSED_PAD src0_sel:DWORD src1_sel:WORD_1
	v_cndmask_b32_e32 v34, v62, v34, vcc
	v_lshlrev_b32_e32 v34, 1, v34
	ds_write_b16_d16_hi v34, v10
	v_sub_u32_e32 v10, v63, v22
	v_sub_u32_e32 v34, v1, v10
	v_add_u32_e32 v34, 2, v34
	v_cmp_eq_u32_e32 vcc, 1, v28
	v_add_u32_e32 v61, v63, v61
	v_add_u32_e32 v64, v61, v43
	v_cndmask_b32_e32 v10, v34, v10, vcc
	v_lshlrev_b32_e32 v10, 1, v10
	ds_write_b16 v10, v11
	v_sub_u32_e32 v10, v61, v22
	v_sub_u32_e32 v28, v1, v10
	v_and_b32_e32 v34, 1, v43
	v_add_u32_e32 v28, 3, v28
	v_cmp_eq_u32_e32 vcc, 1, v34
	v_add_u32_e32 v58, v64, v58
	v_lshrrev_b32_e32 v33, 8, v29
	v_cndmask_b32_e32 v10, v28, v10, vcc
	v_lshlrev_b32_e32 v10, 1, v10
	ds_write_b16_d16_hi v10, v11
	v_sub_u32_e32 v10, v64, v22
	v_sub_u32_e32 v11, v1, v10
	v_and_b32_e32 v28, 1, v29
	v_add_u32_e32 v11, 4, v11
	v_cmp_eq_u32_e32 vcc, 1, v28
	v_and_b32_e32 v28, 1, v33
	v_add_u32_e32 v59, v58, v59
	v_cndmask_b32_e32 v10, v11, v10, vcc
	v_lshlrev_b32_e32 v10, 1, v10
	ds_write_b16 v10, v12
	v_sub_u32_e32 v10, v58, v22
	v_sub_u32_e32 v11, v1, v10
	v_add_u32_e32 v11, 5, v11
	v_cmp_eq_u32_e32 vcc, 1, v28
	v_add_u32_e32 v60, v59, v60
	v_add_u32_e32 v65, v60, v42
	v_cndmask_b32_e32 v10, v11, v10, vcc
	v_lshlrev_b32_e32 v10, 1, v10
	ds_write_b16_d16_hi v10, v12
	v_sub_u32_e32 v10, v59, v22
	v_sub_u32_e32 v11, v1, v10
	v_and_b32_sdwa v12, v35, v29 dst_sel:DWORD dst_unused:UNUSED_PAD src0_sel:DWORD src1_sel:WORD_1
	v_add_u32_e32 v11, 6, v11
	v_cmp_eq_u32_e32 vcc, 1, v12
	v_and_b32_e32 v12, 1, v42
	v_add_u32_e32 v55, v65, v55
	v_cndmask_b32_e32 v10, v11, v10, vcc
	v_lshlrev_b32_e32 v10, 1, v10
	ds_write_b16 v10, v13
	v_sub_u32_e32 v10, v60, v22
	v_sub_u32_e32 v11, v1, v10
	v_add_u32_e32 v11, 7, v11
	v_cmp_eq_u32_e32 vcc, 1, v12
	v_and_b32_e32 v12, 1, v26
	v_lshrrev_b32_e32 v32, 8, v26
	v_cndmask_b32_e32 v10, v11, v10, vcc
	v_lshlrev_b32_e32 v10, 1, v10
	ds_write_b16_d16_hi v10, v13
	v_sub_u32_e32 v10, v65, v22
	v_sub_u32_e32 v11, v1, v10
	v_add_u32_e32 v11, 8, v11
	v_cmp_eq_u32_e32 vcc, 1, v12
	v_and_b32_e32 v12, 1, v32
	v_add_u32_e32 v56, v55, v56
	v_cndmask_b32_e32 v10, v11, v10, vcc
	v_lshlrev_b32_e32 v10, 1, v10
	ds_write_b16 v10, v6
	v_sub_u32_e32 v10, v55, v22
	v_sub_u32_e32 v11, v1, v10
	v_add_u32_e32 v11, 9, v11
	v_cmp_eq_u32_e32 vcc, 1, v12
	v_add_u32_e32 v57, v56, v57
	v_add_u32_e32 v66, v57, v41
	v_cndmask_b32_e32 v10, v11, v10, vcc
	v_lshlrev_b32_e32 v10, 1, v10
	ds_write_b16_d16_hi v10, v6
	v_sub_u32_e32 v6, v56, v22
	v_sub_u32_e32 v10, v1, v6
	v_and_b32_sdwa v11, v35, v26 dst_sel:DWORD dst_unused:UNUSED_PAD src0_sel:DWORD src1_sel:WORD_1
	v_add_u32_e32 v10, 10, v10
	v_cmp_eq_u32_e32 vcc, 1, v11
	v_and_b32_e32 v11, 1, v41
	v_add_u32_e32 v52, v66, v52
	v_cndmask_b32_e32 v6, v10, v6, vcc
	v_lshlrev_b32_e32 v6, 1, v6
	ds_write_b16 v6, v7
	v_sub_u32_e32 v6, v57, v22
	v_sub_u32_e32 v10, v1, v6
	v_add_u32_e32 v10, 11, v10
	v_cmp_eq_u32_e32 vcc, 1, v11
	v_lshrrev_b32_e32 v31, 8, v27
	v_add_u32_e32 v53, v52, v53
	v_cndmask_b32_e32 v6, v10, v6, vcc
	v_lshlrev_b32_e32 v6, 1, v6
	ds_write_b16_d16_hi v6, v7
	v_sub_u32_e32 v6, v66, v22
	v_sub_u32_e32 v7, v1, v6
	v_and_b32_e32 v10, 1, v27
	v_add_u32_e32 v7, 12, v7
	v_cmp_eq_u32_e32 vcc, 1, v10
	v_and_b32_e32 v10, 1, v31
	v_add_u32_e32 v54, v53, v54
	v_cndmask_b32_e32 v6, v7, v6, vcc
	v_lshlrev_b32_e32 v6, 1, v6
	ds_write_b16 v6, v8
	v_sub_u32_e32 v6, v52, v22
	v_sub_u32_e32 v7, v1, v6
	v_add_u32_e32 v7, 13, v7
	v_cmp_eq_u32_e32 vcc, 1, v10
	v_add_u32_e32 v67, v54, v40
	v_add_u32_e32 v49, v67, v49
	v_cndmask_b32_e32 v6, v7, v6, vcc
	v_lshlrev_b32_e32 v6, 1, v6
	ds_write_b16_d16_hi v6, v8
	v_sub_u32_e32 v6, v53, v22
	v_sub_u32_e32 v7, v1, v6
	v_and_b32_sdwa v8, v35, v27 dst_sel:DWORD dst_unused:UNUSED_PAD src0_sel:DWORD src1_sel:WORD_1
	v_add_u32_e32 v7, 14, v7
	v_cmp_eq_u32_e32 vcc, 1, v8
	v_and_b32_e32 v8, 1, v40
	v_lshrrev_b32_e32 v30, 8, v24
	v_cndmask_b32_e32 v6, v7, v6, vcc
	v_lshlrev_b32_e32 v6, 1, v6
	ds_write_b16 v6, v9
	v_sub_u32_e32 v6, v54, v22
	v_sub_u32_e32 v7, v1, v6
	v_add_u32_e32 v7, 15, v7
	v_cmp_eq_u32_e32 vcc, 1, v8
	v_and_b32_e32 v8, 1, v24
	v_add_u32_e32 v50, v49, v50
	v_cndmask_b32_e32 v6, v7, v6, vcc
	v_lshlrev_b32_e32 v6, 1, v6
	ds_write_b16_d16_hi v6, v9
	v_sub_u32_e32 v6, v67, v22
	v_sub_u32_e32 v7, v1, v6
	v_add_u32_e32 v7, 16, v7
	v_cmp_eq_u32_e32 vcc, 1, v8
	v_and_b32_e32 v8, 1, v30
	v_add_u32_e32 v51, v50, v51
	v_cndmask_b32_e32 v6, v7, v6, vcc
	v_lshlrev_b32_e32 v6, 1, v6
	ds_write_b16 v6, v2
	v_sub_u32_e32 v6, v49, v22
	v_sub_u32_e32 v7, v1, v6
	v_add_u32_e32 v7, 17, v7
	v_cmp_eq_u32_e32 vcc, 1, v8
	v_add_u32_e32 v68, v51, v39
	v_add_u32_e32 v46, v68, v46
	v_cndmask_b32_e32 v6, v7, v6, vcc
	v_lshlrev_b32_e32 v6, 1, v6
	ds_write_b16_d16_hi v6, v2
	v_sub_u32_e32 v2, v50, v22
	v_sub_u32_e32 v6, v1, v2
	v_and_b32_sdwa v7, v35, v24 dst_sel:DWORD dst_unused:UNUSED_PAD src0_sel:DWORD src1_sel:WORD_1
	v_add_u32_e32 v6, 18, v6
	v_cmp_eq_u32_e32 vcc, 1, v7
	v_and_b32_e32 v7, 1, v39
	v_lshrrev_b32_e32 v23, 8, v25
	v_cndmask_b32_e32 v2, v6, v2, vcc
	v_lshlrev_b32_e32 v2, 1, v2
	ds_write_b16 v2, v3
	v_sub_u32_e32 v2, v51, v22
	v_sub_u32_e32 v6, v1, v2
	v_add_u32_e32 v6, 19, v6
	v_cmp_eq_u32_e32 vcc, 1, v7
	v_add_u32_e32 v47, v46, v47
	v_add_u32_e32 v48, v47, v48
	v_cndmask_b32_e32 v2, v6, v2, vcc
	v_lshlrev_b32_e32 v2, 1, v2
	ds_write_b16_d16_hi v2, v3
	v_sub_u32_e32 v2, v68, v22
	v_sub_u32_e32 v3, v1, v2
	v_and_b32_e32 v6, 1, v25
	v_add_u32_e32 v3, 20, v3
	v_cmp_eq_u32_e32 vcc, 1, v6
	v_and_b32_e32 v6, 1, v23
	v_add_u32_e32 v69, v48, v38
	v_cndmask_b32_e32 v2, v3, v2, vcc
	v_lshlrev_b32_e32 v2, 1, v2
	ds_write_b16 v2, v4
	v_sub_u32_e32 v2, v46, v22
	v_sub_u32_e32 v3, v1, v2
	v_add_u32_e32 v3, 21, v3
	v_cmp_eq_u32_e32 vcc, 1, v6
	v_add_u32_e32 v44, v69, v44
	v_lshrrev_b32_e32 v21, 8, v36
	v_cndmask_b32_e32 v2, v3, v2, vcc
	v_lshlrev_b32_e32 v2, 1, v2
	ds_write_b16_d16_hi v2, v4
	v_sub_u32_e32 v2, v47, v22
	v_sub_u32_e32 v3, v1, v2
	v_and_b32_sdwa v4, v35, v25 dst_sel:DWORD dst_unused:UNUSED_PAD src0_sel:DWORD src1_sel:WORD_1
	v_add_u32_e32 v3, 22, v3
	v_cmp_eq_u32_e32 vcc, 1, v4
	v_and_b32_e32 v4, 1, v38
	v_add_u32_e32 v45, v44, v45
	v_cndmask_b32_e32 v2, v3, v2, vcc
	v_lshlrev_b32_e32 v2, 1, v2
	ds_write_b16 v2, v5
	v_sub_u32_e32 v2, v48, v22
	v_sub_u32_e32 v3, v1, v2
	v_add_u32_e32 v3, 23, v3
	v_cmp_eq_u32_e32 vcc, 1, v4
	v_and_b32_e32 v4, 1, v36
	v_or_b32_e32 v63, 0x200, v0
	v_cndmask_b32_e32 v2, v3, v2, vcc
	v_lshlrev_b32_e32 v2, 1, v2
	ds_write_b16_d16_hi v2, v5
	v_sub_u32_e32 v2, v69, v22
	v_sub_u32_e32 v3, v1, v2
	v_add_u32_e32 v3, 24, v3
	v_cmp_eq_u32_e32 vcc, 1, v4
	v_and_b32_e32 v4, 1, v21
	v_or_b32_e32 v61, 0x400, v0
	v_cndmask_b32_e32 v2, v3, v2, vcc
	v_lshlrev_b32_e32 v2, 1, v2
	ds_write_b16 v2, v18
	v_sub_u32_e32 v2, v44, v22
	v_sub_u32_e32 v3, v1, v2
	v_add_u32_e32 v3, 25, v3
	v_cmp_eq_u32_e32 vcc, 1, v4
	v_and_b32_sdwa v4, v35, v36 dst_sel:DWORD dst_unused:UNUSED_PAD src0_sel:DWORD src1_sel:WORD_1
	v_or_b32_e32 v59, 0x600, v0
	v_cndmask_b32_e32 v2, v3, v2, vcc
	v_lshlrev_b32_e32 v2, 1, v2
	ds_write_b16_d16_hi v2, v18
	v_sub_u32_e32 v2, v45, v22
	v_sub_u32_e32 v3, v1, v2
	v_add_u32_e32 v3, 26, v3
	v_cmp_eq_u32_e32 vcc, 1, v4
	v_or_b32_e32 v57, 0x800, v0
	v_or_b32_e32 v55, 0xa00, v0
	v_cndmask_b32_e32 v2, v3, v2, vcc
	v_lshlrev_b32_e32 v2, 1, v2
	ds_write_b16 v2, v19
	v_sub_u32_e32 v2, v37, v22
	v_add_u32_e32 v2, v45, v2
	v_sub_u32_e32 v1, v1, v2
	v_and_b32_e32 v3, 1, v17
	v_add_u32_e32 v1, 27, v1
	v_cmp_eq_u32_e32 vcc, 1, v3
	v_or_b32_e32 v53, 0xc00, v0
	v_or_b32_e32 v50, 0xe00, v0
	v_cndmask_b32_e32 v1, v1, v2, vcc
	v_lshlrev_b32_e32 v1, 1, v1
	ds_write_b16_d16_hi v1, v19
	s_waitcnt lgkmcnt(0)
	s_barrier
	ds_read_u16 v65, v16
	ds_read_u16 v64, v16 offset:1024
	ds_read_u16 v62, v16 offset:2048
	;; [unrolled: 1-line block ×27, first 2 shown]
	v_or_b32_e32 v49, 0x1000, v0
	v_or_b32_e32 v47, 0x1200, v0
	;; [unrolled: 1-line block ×20, first 2 shown]
	s_andn2_b64 vcc, exec, s[26:27]
	s_waitcnt vmcnt(0)
	v_lshlrev_b64 v[4:5], 1, v[14:15]
	s_cbranch_vccnz .LBB3108_195
; %bb.166:
	v_mov_b32_e32 v23, 0
	v_lshl_add_u64 v[2:3], s[24:25], 0, v[4:5]
	v_lshlrev_b64 v[66:67], 1, v[22:23]
	v_lshl_add_u64 v[2:3], v[2:3], 0, v[66:67]
	v_cmp_lt_u32_e32 vcc, v0, v20
	s_and_saveexec_b64 s[0:1], vcc
	s_cbranch_execnz .LBB3108_230
; %bb.167:
	s_or_b64 exec, exec, s[0:1]
	v_cmp_lt_u32_e32 vcc, v63, v20
	s_and_saveexec_b64 s[0:1], vcc
	s_cbranch_execnz .LBB3108_231
.LBB3108_168:
	s_or_b64 exec, exec, s[0:1]
	v_cmp_lt_u32_e32 vcc, v61, v20
	s_and_saveexec_b64 s[0:1], vcc
	s_cbranch_execnz .LBB3108_232
.LBB3108_169:
	s_or_b64 exec, exec, s[0:1]
	v_cmp_lt_u32_e32 vcc, v59, v20
	s_and_saveexec_b64 s[0:1], vcc
	s_cbranch_execnz .LBB3108_233
.LBB3108_170:
	s_or_b64 exec, exec, s[0:1]
	v_cmp_lt_u32_e32 vcc, v57, v20
	s_and_saveexec_b64 s[0:1], vcc
	s_cbranch_execnz .LBB3108_234
.LBB3108_171:
	s_or_b64 exec, exec, s[0:1]
	v_cmp_lt_u32_e32 vcc, v55, v20
	s_and_saveexec_b64 s[0:1], vcc
	s_cbranch_execnz .LBB3108_235
.LBB3108_172:
	s_or_b64 exec, exec, s[0:1]
	v_cmp_lt_u32_e32 vcc, v53, v20
	s_and_saveexec_b64 s[0:1], vcc
	s_cbranch_execnz .LBB3108_236
.LBB3108_173:
	s_or_b64 exec, exec, s[0:1]
	v_cmp_lt_u32_e32 vcc, v50, v20
	s_and_saveexec_b64 s[0:1], vcc
	s_cbranch_execnz .LBB3108_237
.LBB3108_174:
	s_or_b64 exec, exec, s[0:1]
	v_cmp_lt_u32_e32 vcc, v49, v20
	s_and_saveexec_b64 s[0:1], vcc
	s_cbranch_execnz .LBB3108_238
.LBB3108_175:
	s_or_b64 exec, exec, s[0:1]
	v_cmp_lt_u32_e32 vcc, v47, v20
	s_and_saveexec_b64 s[0:1], vcc
	s_cbranch_execnz .LBB3108_239
.LBB3108_176:
	s_or_b64 exec, exec, s[0:1]
	v_cmp_lt_u32_e32 vcc, v45, v20
	s_and_saveexec_b64 s[0:1], vcc
	s_cbranch_execnz .LBB3108_240
.LBB3108_177:
	s_or_b64 exec, exec, s[0:1]
	v_cmp_lt_u32_e32 vcc, v43, v20
	s_and_saveexec_b64 s[0:1], vcc
	s_cbranch_execnz .LBB3108_241
.LBB3108_178:
	s_or_b64 exec, exec, s[0:1]
	v_cmp_lt_u32_e32 vcc, v41, v20
	s_and_saveexec_b64 s[0:1], vcc
	s_cbranch_execnz .LBB3108_242
.LBB3108_179:
	s_or_b64 exec, exec, s[0:1]
	v_cmp_lt_u32_e32 vcc, v39, v20
	s_and_saveexec_b64 s[0:1], vcc
	s_cbranch_execnz .LBB3108_243
.LBB3108_180:
	s_or_b64 exec, exec, s[0:1]
	v_cmp_lt_u32_e32 vcc, v37, v20
	s_and_saveexec_b64 s[0:1], vcc
	s_cbranch_execnz .LBB3108_244
.LBB3108_181:
	s_or_b64 exec, exec, s[0:1]
	v_cmp_lt_u32_e32 vcc, v34, v20
	s_and_saveexec_b64 s[0:1], vcc
	s_cbranch_execnz .LBB3108_245
.LBB3108_182:
	s_or_b64 exec, exec, s[0:1]
	v_cmp_lt_u32_e32 vcc, v33, v20
	s_and_saveexec_b64 s[0:1], vcc
	s_cbranch_execnz .LBB3108_246
.LBB3108_183:
	s_or_b64 exec, exec, s[0:1]
	v_cmp_lt_u32_e32 vcc, v31, v20
	s_and_saveexec_b64 s[0:1], vcc
	s_cbranch_execnz .LBB3108_247
.LBB3108_184:
	s_or_b64 exec, exec, s[0:1]
	v_cmp_lt_u32_e32 vcc, v29, v20
	s_and_saveexec_b64 s[0:1], vcc
	s_cbranch_execnz .LBB3108_248
.LBB3108_185:
	s_or_b64 exec, exec, s[0:1]
	v_cmp_lt_u32_e32 vcc, v27, v20
	s_and_saveexec_b64 s[0:1], vcc
	s_cbranch_execnz .LBB3108_249
.LBB3108_186:
	s_or_b64 exec, exec, s[0:1]
	v_cmp_lt_u32_e32 vcc, v25, v20
	s_and_saveexec_b64 s[0:1], vcc
	s_cbranch_execnz .LBB3108_250
.LBB3108_187:
	s_or_b64 exec, exec, s[0:1]
	v_cmp_lt_u32_e32 vcc, v21, v20
	s_and_saveexec_b64 s[0:1], vcc
	s_cbranch_execnz .LBB3108_251
.LBB3108_188:
	s_or_b64 exec, exec, s[0:1]
	v_cmp_lt_u32_e32 vcc, v18, v20
	s_and_saveexec_b64 s[0:1], vcc
	s_cbranch_execnz .LBB3108_252
.LBB3108_189:
	s_or_b64 exec, exec, s[0:1]
	v_cmp_lt_u32_e32 vcc, v13, v20
	s_and_saveexec_b64 s[0:1], vcc
	s_cbranch_execnz .LBB3108_253
.LBB3108_190:
	s_or_b64 exec, exec, s[0:1]
	v_cmp_lt_u32_e32 vcc, v11, v20
	s_and_saveexec_b64 s[0:1], vcc
	s_cbranch_execnz .LBB3108_254
.LBB3108_191:
	s_or_b64 exec, exec, s[0:1]
	v_cmp_lt_u32_e32 vcc, v9, v20
	s_and_saveexec_b64 s[0:1], vcc
	s_cbranch_execnz .LBB3108_255
.LBB3108_192:
	s_or_b64 exec, exec, s[0:1]
	v_cmp_lt_u32_e32 vcc, v8, v20
	s_and_saveexec_b64 s[0:1], vcc
	s_cbranch_execz .LBB3108_194
.LBB3108_193:
	v_lshlrev_b32_e32 v23, 1, v8
	v_readfirstlane_b32 s2, v2
	v_readfirstlane_b32 s3, v3
	s_waitcnt lgkmcnt(1)
	s_nop 3
	global_store_short v23, v7, s[2:3]
.LBB3108_194:
	s_or_b64 exec, exec, s[0:1]
	v_cmp_lt_u32_e64 s[0:1], v6, v20
	s_branch .LBB3108_225
.LBB3108_195:
	s_mov_b64 s[0:1], 0
                                        ; implicit-def: $vgpr2_vgpr3
	s_cbranch_execz .LBB3108_225
; %bb.196:
	v_mov_b32_e32 v23, 0
	v_min_u32_e32 v66, s33, v20
	v_lshl_add_u64 v[2:3], s[24:25], 0, v[4:5]
	v_lshlrev_b64 v[4:5], 1, v[22:23]
	v_lshl_add_u64 v[2:3], v[2:3], 0, v[4:5]
	v_cmp_gt_u32_e32 vcc, v66, v0
	s_and_saveexec_b64 s[0:1], vcc
	s_cbranch_execnz .LBB3108_256
; %bb.197:
	s_or_b64 exec, exec, s[0:1]
	v_cmp_lt_u32_e32 vcc, v63, v66
	s_and_saveexec_b64 s[0:1], vcc
	s_cbranch_execnz .LBB3108_257
.LBB3108_198:
	s_or_b64 exec, exec, s[0:1]
	v_cmp_lt_u32_e32 vcc, v61, v66
	s_and_saveexec_b64 s[0:1], vcc
	s_cbranch_execnz .LBB3108_258
.LBB3108_199:
	s_or_b64 exec, exec, s[0:1]
	v_cmp_lt_u32_e32 vcc, v59, v66
	s_and_saveexec_b64 s[0:1], vcc
	s_cbranch_execnz .LBB3108_259
.LBB3108_200:
	s_or_b64 exec, exec, s[0:1]
	v_cmp_lt_u32_e32 vcc, v57, v66
	s_and_saveexec_b64 s[0:1], vcc
	s_cbranch_execnz .LBB3108_260
.LBB3108_201:
	s_or_b64 exec, exec, s[0:1]
	v_cmp_lt_u32_e32 vcc, v55, v66
	s_and_saveexec_b64 s[0:1], vcc
	s_cbranch_execnz .LBB3108_261
.LBB3108_202:
	s_or_b64 exec, exec, s[0:1]
	v_cmp_lt_u32_e32 vcc, v53, v66
	s_and_saveexec_b64 s[0:1], vcc
	s_cbranch_execnz .LBB3108_262
.LBB3108_203:
	s_or_b64 exec, exec, s[0:1]
	v_cmp_lt_u32_e32 vcc, v50, v66
	s_and_saveexec_b64 s[0:1], vcc
	s_cbranch_execnz .LBB3108_263
.LBB3108_204:
	s_or_b64 exec, exec, s[0:1]
	v_cmp_lt_u32_e32 vcc, v49, v66
	s_and_saveexec_b64 s[0:1], vcc
	s_cbranch_execnz .LBB3108_264
.LBB3108_205:
	s_or_b64 exec, exec, s[0:1]
	v_cmp_lt_u32_e32 vcc, v47, v66
	s_and_saveexec_b64 s[0:1], vcc
	s_cbranch_execnz .LBB3108_265
.LBB3108_206:
	s_or_b64 exec, exec, s[0:1]
	v_cmp_lt_u32_e32 vcc, v45, v66
	s_and_saveexec_b64 s[0:1], vcc
	s_cbranch_execnz .LBB3108_266
.LBB3108_207:
	s_or_b64 exec, exec, s[0:1]
	v_cmp_lt_u32_e32 vcc, v43, v66
	s_and_saveexec_b64 s[0:1], vcc
	s_cbranch_execnz .LBB3108_267
.LBB3108_208:
	s_or_b64 exec, exec, s[0:1]
	v_cmp_lt_u32_e32 vcc, v41, v66
	s_and_saveexec_b64 s[0:1], vcc
	s_cbranch_execnz .LBB3108_268
.LBB3108_209:
	s_or_b64 exec, exec, s[0:1]
	v_cmp_lt_u32_e32 vcc, v39, v66
	s_and_saveexec_b64 s[0:1], vcc
	s_cbranch_execnz .LBB3108_269
.LBB3108_210:
	s_or_b64 exec, exec, s[0:1]
	v_cmp_lt_u32_e32 vcc, v37, v66
	s_and_saveexec_b64 s[0:1], vcc
	s_cbranch_execnz .LBB3108_270
.LBB3108_211:
	s_or_b64 exec, exec, s[0:1]
	v_cmp_lt_u32_e32 vcc, v34, v66
	s_and_saveexec_b64 s[0:1], vcc
	s_cbranch_execnz .LBB3108_271
.LBB3108_212:
	s_or_b64 exec, exec, s[0:1]
	v_cmp_lt_u32_e32 vcc, v33, v66
	s_and_saveexec_b64 s[0:1], vcc
	s_cbranch_execnz .LBB3108_272
.LBB3108_213:
	s_or_b64 exec, exec, s[0:1]
	v_cmp_lt_u32_e32 vcc, v31, v66
	s_and_saveexec_b64 s[0:1], vcc
	s_cbranch_execnz .LBB3108_273
.LBB3108_214:
	s_or_b64 exec, exec, s[0:1]
	v_cmp_lt_u32_e32 vcc, v29, v66
	s_and_saveexec_b64 s[0:1], vcc
	s_cbranch_execnz .LBB3108_274
.LBB3108_215:
	s_or_b64 exec, exec, s[0:1]
	v_cmp_lt_u32_e32 vcc, v27, v66
	s_and_saveexec_b64 s[0:1], vcc
	s_cbranch_execnz .LBB3108_275
.LBB3108_216:
	s_or_b64 exec, exec, s[0:1]
	v_cmp_lt_u32_e32 vcc, v25, v66
	s_and_saveexec_b64 s[0:1], vcc
	s_cbranch_execnz .LBB3108_276
.LBB3108_217:
	s_or_b64 exec, exec, s[0:1]
	v_cmp_lt_u32_e32 vcc, v21, v66
	s_and_saveexec_b64 s[0:1], vcc
	s_cbranch_execnz .LBB3108_277
.LBB3108_218:
	s_or_b64 exec, exec, s[0:1]
	v_cmp_lt_u32_e32 vcc, v18, v66
	s_and_saveexec_b64 s[0:1], vcc
	s_cbranch_execnz .LBB3108_278
.LBB3108_219:
	s_or_b64 exec, exec, s[0:1]
	v_cmp_lt_u32_e32 vcc, v13, v66
	s_and_saveexec_b64 s[0:1], vcc
	s_cbranch_execnz .LBB3108_279
.LBB3108_220:
	s_or_b64 exec, exec, s[0:1]
	v_cmp_lt_u32_e32 vcc, v11, v66
	s_and_saveexec_b64 s[0:1], vcc
	s_cbranch_execnz .LBB3108_280
.LBB3108_221:
	s_or_b64 exec, exec, s[0:1]
	v_cmp_lt_u32_e32 vcc, v9, v66
	s_and_saveexec_b64 s[0:1], vcc
	s_cbranch_execnz .LBB3108_281
.LBB3108_222:
	s_or_b64 exec, exec, s[0:1]
	v_cmp_lt_u32_e32 vcc, v8, v66
	s_and_saveexec_b64 s[0:1], vcc
	s_cbranch_execz .LBB3108_224
.LBB3108_223:
	v_lshlrev_b32_e32 v0, 1, v8
	v_readfirstlane_b32 s2, v2
	v_readfirstlane_b32 s3, v3
	s_waitcnt lgkmcnt(1)
	s_nop 3
	global_store_short v0, v7, s[2:3]
.LBB3108_224:
	s_or_b64 exec, exec, s[0:1]
	v_cmp_lt_u32_e64 s[0:1], v6, v66
.LBB3108_225:
	s_and_saveexec_b64 s[2:3], s[0:1]
	s_cbranch_execnz .LBB3108_228
; %bb.226:
	s_or_b64 exec, exec, s[2:3]
	s_and_b64 s[0:1], s[18:19], s[22:23]
	s_and_saveexec_b64 s[2:3], s[0:1]
	s_cbranch_execnz .LBB3108_229
.LBB3108_227:
	s_endpgm
.LBB3108_228:
	v_lshlrev_b32_e32 v0, 1, v6
	v_readfirstlane_b32 s0, v2
	v_readfirstlane_b32 s1, v3
	s_waitcnt lgkmcnt(0)
	s_nop 3
	global_store_short v0, v1, s[0:1]
	s_or_b64 exec, exec, s[2:3]
	s_and_b64 s[0:1], s[18:19], s[22:23]
	s_and_saveexec_b64 s[2:3], s[0:1]
	s_cbranch_execz .LBB3108_227
.LBB3108_229:
	v_mov_b32_e32 v21, 0
	s_waitcnt lgkmcnt(0)
	v_lshl_add_u64 v[0:1], v[14:15], 0, v[20:21]
	v_mov_b32_e32 v23, v21
	v_lshl_add_u64 v[0:1], v[0:1], 0, v[22:23]
	global_store_dwordx2 v21, v[0:1], s[20:21]
	s_endpgm
.LBB3108_230:
	v_readfirstlane_b32 s2, v2
	v_readfirstlane_b32 s3, v3
	s_waitcnt lgkmcnt(14)
	s_nop 3
	global_store_short v16, v65, s[2:3]
	s_or_b64 exec, exec, s[0:1]
	v_cmp_lt_u32_e32 vcc, v63, v20
	s_and_saveexec_b64 s[0:1], vcc
	s_cbranch_execz .LBB3108_168
.LBB3108_231:
	v_readfirstlane_b32 s2, v2
	v_readfirstlane_b32 s3, v3
	s_waitcnt lgkmcnt(14)
	s_nop 3
	global_store_short v16, v64, s[2:3] offset:1024
	s_or_b64 exec, exec, s[0:1]
	v_cmp_lt_u32_e32 vcc, v61, v20
	s_and_saveexec_b64 s[0:1], vcc
	s_cbranch_execz .LBB3108_169
.LBB3108_232:
	v_readfirstlane_b32 s2, v2
	v_readfirstlane_b32 s3, v3
	s_waitcnt lgkmcnt(14)
	s_nop 3
	global_store_short v16, v62, s[2:3] offset:2048
	s_or_b64 exec, exec, s[0:1]
	v_cmp_lt_u32_e32 vcc, v59, v20
	s_and_saveexec_b64 s[0:1], vcc
	s_cbranch_execz .LBB3108_170
.LBB3108_233:
	v_readfirstlane_b32 s2, v2
	v_readfirstlane_b32 s3, v3
	s_waitcnt lgkmcnt(14)
	s_nop 3
	global_store_short v16, v60, s[2:3] offset:3072
	s_or_b64 exec, exec, s[0:1]
	v_cmp_lt_u32_e32 vcc, v57, v20
	s_and_saveexec_b64 s[0:1], vcc
	s_cbranch_execz .LBB3108_171
.LBB3108_234:
	v_lshlrev_b32_e32 v23, 1, v57
	v_readfirstlane_b32 s2, v2
	v_readfirstlane_b32 s3, v3
	s_waitcnt lgkmcnt(14)
	s_nop 3
	global_store_short v23, v58, s[2:3]
	s_or_b64 exec, exec, s[0:1]
	v_cmp_lt_u32_e32 vcc, v55, v20
	s_and_saveexec_b64 s[0:1], vcc
	s_cbranch_execz .LBB3108_172
.LBB3108_235:
	v_lshlrev_b32_e32 v23, 1, v55
	v_readfirstlane_b32 s2, v2
	v_readfirstlane_b32 s3, v3
	s_waitcnt lgkmcnt(14)
	s_nop 3
	global_store_short v23, v56, s[2:3]
	s_or_b64 exec, exec, s[0:1]
	v_cmp_lt_u32_e32 vcc, v53, v20
	s_and_saveexec_b64 s[0:1], vcc
	s_cbranch_execz .LBB3108_173
.LBB3108_236:
	v_lshlrev_b32_e32 v23, 1, v53
	v_readfirstlane_b32 s2, v2
	v_readfirstlane_b32 s3, v3
	s_waitcnt lgkmcnt(14)
	s_nop 3
	global_store_short v23, v54, s[2:3]
	s_or_b64 exec, exec, s[0:1]
	v_cmp_lt_u32_e32 vcc, v50, v20
	s_and_saveexec_b64 s[0:1], vcc
	s_cbranch_execz .LBB3108_174
.LBB3108_237:
	v_lshlrev_b32_e32 v23, 1, v50
	v_readfirstlane_b32 s2, v2
	v_readfirstlane_b32 s3, v3
	s_waitcnt lgkmcnt(14)
	s_nop 3
	global_store_short v23, v51, s[2:3]
	s_or_b64 exec, exec, s[0:1]
	v_cmp_lt_u32_e32 vcc, v49, v20
	s_and_saveexec_b64 s[0:1], vcc
	s_cbranch_execz .LBB3108_175
.LBB3108_238:
	v_lshlrev_b32_e32 v23, 1, v49
	v_readfirstlane_b32 s2, v2
	v_readfirstlane_b32 s3, v3
	s_waitcnt lgkmcnt(14)
	s_nop 3
	global_store_short v23, v52, s[2:3]
	s_or_b64 exec, exec, s[0:1]
	v_cmp_lt_u32_e32 vcc, v47, v20
	s_and_saveexec_b64 s[0:1], vcc
	s_cbranch_execz .LBB3108_176
.LBB3108_239:
	v_lshlrev_b32_e32 v23, 1, v47
	v_readfirstlane_b32 s2, v2
	v_readfirstlane_b32 s3, v3
	s_waitcnt lgkmcnt(14)
	s_nop 3
	global_store_short v23, v48, s[2:3]
	s_or_b64 exec, exec, s[0:1]
	v_cmp_lt_u32_e32 vcc, v45, v20
	s_and_saveexec_b64 s[0:1], vcc
	s_cbranch_execz .LBB3108_177
.LBB3108_240:
	v_lshlrev_b32_e32 v23, 1, v45
	v_readfirstlane_b32 s2, v2
	v_readfirstlane_b32 s3, v3
	s_waitcnt lgkmcnt(14)
	s_nop 3
	global_store_short v23, v46, s[2:3]
	s_or_b64 exec, exec, s[0:1]
	v_cmp_lt_u32_e32 vcc, v43, v20
	s_and_saveexec_b64 s[0:1], vcc
	s_cbranch_execz .LBB3108_178
.LBB3108_241:
	v_lshlrev_b32_e32 v23, 1, v43
	v_readfirstlane_b32 s2, v2
	v_readfirstlane_b32 s3, v3
	s_waitcnt lgkmcnt(14)
	s_nop 3
	global_store_short v23, v44, s[2:3]
	s_or_b64 exec, exec, s[0:1]
	v_cmp_lt_u32_e32 vcc, v41, v20
	s_and_saveexec_b64 s[0:1], vcc
	s_cbranch_execz .LBB3108_179
.LBB3108_242:
	v_lshlrev_b32_e32 v23, 1, v41
	v_readfirstlane_b32 s2, v2
	v_readfirstlane_b32 s3, v3
	s_waitcnt lgkmcnt(14)
	s_nop 3
	global_store_short v23, v42, s[2:3]
	s_or_b64 exec, exec, s[0:1]
	v_cmp_lt_u32_e32 vcc, v39, v20
	s_and_saveexec_b64 s[0:1], vcc
	s_cbranch_execz .LBB3108_180
.LBB3108_243:
	v_lshlrev_b32_e32 v23, 1, v39
	v_readfirstlane_b32 s2, v2
	v_readfirstlane_b32 s3, v3
	s_waitcnt lgkmcnt(14)
	s_nop 3
	global_store_short v23, v40, s[2:3]
	s_or_b64 exec, exec, s[0:1]
	v_cmp_lt_u32_e32 vcc, v37, v20
	s_and_saveexec_b64 s[0:1], vcc
	s_cbranch_execz .LBB3108_181
.LBB3108_244:
	v_lshlrev_b32_e32 v23, 1, v37
	v_readfirstlane_b32 s2, v2
	v_readfirstlane_b32 s3, v3
	s_waitcnt lgkmcnt(13)
	s_nop 3
	global_store_short v23, v38, s[2:3]
	s_or_b64 exec, exec, s[0:1]
	v_cmp_lt_u32_e32 vcc, v34, v20
	s_and_saveexec_b64 s[0:1], vcc
	s_cbranch_execz .LBB3108_182
.LBB3108_245:
	v_lshlrev_b32_e32 v23, 1, v34
	v_readfirstlane_b32 s2, v2
	v_readfirstlane_b32 s3, v3
	s_waitcnt lgkmcnt(12)
	s_nop 3
	global_store_short v23, v35, s[2:3]
	s_or_b64 exec, exec, s[0:1]
	v_cmp_lt_u32_e32 vcc, v33, v20
	s_and_saveexec_b64 s[0:1], vcc
	s_cbranch_execz .LBB3108_183
.LBB3108_246:
	v_lshlrev_b32_e32 v23, 1, v33
	v_readfirstlane_b32 s2, v2
	v_readfirstlane_b32 s3, v3
	s_waitcnt lgkmcnt(11)
	s_nop 3
	global_store_short v23, v36, s[2:3]
	s_or_b64 exec, exec, s[0:1]
	v_cmp_lt_u32_e32 vcc, v31, v20
	s_and_saveexec_b64 s[0:1], vcc
	s_cbranch_execz .LBB3108_184
.LBB3108_247:
	v_lshlrev_b32_e32 v23, 1, v31
	v_readfirstlane_b32 s2, v2
	v_readfirstlane_b32 s3, v3
	s_waitcnt lgkmcnt(10)
	s_nop 3
	global_store_short v23, v32, s[2:3]
	s_or_b64 exec, exec, s[0:1]
	v_cmp_lt_u32_e32 vcc, v29, v20
	s_and_saveexec_b64 s[0:1], vcc
	s_cbranch_execz .LBB3108_185
.LBB3108_248:
	v_lshlrev_b32_e32 v23, 1, v29
	v_readfirstlane_b32 s2, v2
	v_readfirstlane_b32 s3, v3
	s_waitcnt lgkmcnt(9)
	s_nop 3
	global_store_short v23, v30, s[2:3]
	s_or_b64 exec, exec, s[0:1]
	v_cmp_lt_u32_e32 vcc, v27, v20
	s_and_saveexec_b64 s[0:1], vcc
	s_cbranch_execz .LBB3108_186
.LBB3108_249:
	v_lshlrev_b32_e32 v23, 1, v27
	v_readfirstlane_b32 s2, v2
	v_readfirstlane_b32 s3, v3
	s_waitcnt lgkmcnt(8)
	s_nop 3
	global_store_short v23, v28, s[2:3]
	s_or_b64 exec, exec, s[0:1]
	v_cmp_lt_u32_e32 vcc, v25, v20
	s_and_saveexec_b64 s[0:1], vcc
	s_cbranch_execz .LBB3108_187
.LBB3108_250:
	v_lshlrev_b32_e32 v23, 1, v25
	v_readfirstlane_b32 s2, v2
	v_readfirstlane_b32 s3, v3
	s_waitcnt lgkmcnt(7)
	s_nop 3
	global_store_short v23, v26, s[2:3]
	s_or_b64 exec, exec, s[0:1]
	v_cmp_lt_u32_e32 vcc, v21, v20
	s_and_saveexec_b64 s[0:1], vcc
	s_cbranch_execz .LBB3108_188
.LBB3108_251:
	v_lshlrev_b32_e32 v23, 1, v21
	v_readfirstlane_b32 s2, v2
	v_readfirstlane_b32 s3, v3
	s_waitcnt lgkmcnt(6)
	s_nop 3
	global_store_short v23, v24, s[2:3]
	s_or_b64 exec, exec, s[0:1]
	v_cmp_lt_u32_e32 vcc, v18, v20
	s_and_saveexec_b64 s[0:1], vcc
	s_cbranch_execz .LBB3108_189
.LBB3108_252:
	v_lshlrev_b32_e32 v23, 1, v18
	v_readfirstlane_b32 s2, v2
	v_readfirstlane_b32 s3, v3
	s_waitcnt lgkmcnt(5)
	s_nop 3
	global_store_short v23, v19, s[2:3]
	s_or_b64 exec, exec, s[0:1]
	v_cmp_lt_u32_e32 vcc, v13, v20
	s_and_saveexec_b64 s[0:1], vcc
	s_cbranch_execz .LBB3108_190
.LBB3108_253:
	v_lshlrev_b32_e32 v23, 1, v13
	v_readfirstlane_b32 s2, v2
	v_readfirstlane_b32 s3, v3
	s_waitcnt lgkmcnt(4)
	s_nop 3
	global_store_short v23, v17, s[2:3]
	s_or_b64 exec, exec, s[0:1]
	v_cmp_lt_u32_e32 vcc, v11, v20
	s_and_saveexec_b64 s[0:1], vcc
	s_cbranch_execz .LBB3108_191
.LBB3108_254:
	v_lshlrev_b32_e32 v23, 1, v11
	v_readfirstlane_b32 s2, v2
	v_readfirstlane_b32 s3, v3
	s_waitcnt lgkmcnt(3)
	s_nop 3
	global_store_short v23, v12, s[2:3]
	s_or_b64 exec, exec, s[0:1]
	v_cmp_lt_u32_e32 vcc, v9, v20
	s_and_saveexec_b64 s[0:1], vcc
	s_cbranch_execz .LBB3108_192
.LBB3108_255:
	v_lshlrev_b32_e32 v23, 1, v9
	v_readfirstlane_b32 s2, v2
	v_readfirstlane_b32 s3, v3
	s_waitcnt lgkmcnt(2)
	s_nop 3
	global_store_short v23, v10, s[2:3]
	s_or_b64 exec, exec, s[0:1]
	v_cmp_lt_u32_e32 vcc, v8, v20
	s_and_saveexec_b64 s[0:1], vcc
	s_cbranch_execnz .LBB3108_193
	s_branch .LBB3108_194
.LBB3108_256:
	v_readfirstlane_b32 s2, v2
	v_readfirstlane_b32 s3, v3
	s_waitcnt lgkmcnt(14)
	s_nop 3
	global_store_short v16, v65, s[2:3]
	s_or_b64 exec, exec, s[0:1]
	v_cmp_lt_u32_e32 vcc, v63, v66
	s_and_saveexec_b64 s[0:1], vcc
	s_cbranch_execz .LBB3108_198
.LBB3108_257:
	v_readfirstlane_b32 s2, v2
	v_readfirstlane_b32 s3, v3
	s_waitcnt lgkmcnt(14)
	s_nop 3
	global_store_short v16, v64, s[2:3] offset:1024
	s_or_b64 exec, exec, s[0:1]
	v_cmp_lt_u32_e32 vcc, v61, v66
	s_and_saveexec_b64 s[0:1], vcc
	s_cbranch_execz .LBB3108_199
.LBB3108_258:
	v_readfirstlane_b32 s2, v2
	v_readfirstlane_b32 s3, v3
	s_waitcnt lgkmcnt(14)
	s_nop 3
	global_store_short v16, v62, s[2:3] offset:2048
	s_or_b64 exec, exec, s[0:1]
	v_cmp_lt_u32_e32 vcc, v59, v66
	s_and_saveexec_b64 s[0:1], vcc
	s_cbranch_execz .LBB3108_200
.LBB3108_259:
	v_readfirstlane_b32 s2, v2
	v_readfirstlane_b32 s3, v3
	s_waitcnt lgkmcnt(14)
	s_nop 3
	global_store_short v16, v60, s[2:3] offset:3072
	s_or_b64 exec, exec, s[0:1]
	v_cmp_lt_u32_e32 vcc, v57, v66
	s_and_saveexec_b64 s[0:1], vcc
	s_cbranch_execz .LBB3108_201
.LBB3108_260:
	v_lshlrev_b32_e32 v0, 1, v57
	v_readfirstlane_b32 s2, v2
	v_readfirstlane_b32 s3, v3
	s_waitcnt lgkmcnt(14)
	s_nop 3
	global_store_short v0, v58, s[2:3]
	s_or_b64 exec, exec, s[0:1]
	v_cmp_lt_u32_e32 vcc, v55, v66
	s_and_saveexec_b64 s[0:1], vcc
	s_cbranch_execz .LBB3108_202
.LBB3108_261:
	v_lshlrev_b32_e32 v0, 1, v55
	v_readfirstlane_b32 s2, v2
	v_readfirstlane_b32 s3, v3
	s_waitcnt lgkmcnt(14)
	s_nop 3
	global_store_short v0, v56, s[2:3]
	s_or_b64 exec, exec, s[0:1]
	v_cmp_lt_u32_e32 vcc, v53, v66
	s_and_saveexec_b64 s[0:1], vcc
	s_cbranch_execz .LBB3108_203
.LBB3108_262:
	v_lshlrev_b32_e32 v0, 1, v53
	v_readfirstlane_b32 s2, v2
	v_readfirstlane_b32 s3, v3
	s_waitcnt lgkmcnt(14)
	s_nop 3
	global_store_short v0, v54, s[2:3]
	s_or_b64 exec, exec, s[0:1]
	v_cmp_lt_u32_e32 vcc, v50, v66
	s_and_saveexec_b64 s[0:1], vcc
	s_cbranch_execz .LBB3108_204
.LBB3108_263:
	v_lshlrev_b32_e32 v0, 1, v50
	v_readfirstlane_b32 s2, v2
	v_readfirstlane_b32 s3, v3
	s_waitcnt lgkmcnt(14)
	s_nop 3
	global_store_short v0, v51, s[2:3]
	s_or_b64 exec, exec, s[0:1]
	v_cmp_lt_u32_e32 vcc, v49, v66
	s_and_saveexec_b64 s[0:1], vcc
	s_cbranch_execz .LBB3108_205
.LBB3108_264:
	v_lshlrev_b32_e32 v0, 1, v49
	v_readfirstlane_b32 s2, v2
	v_readfirstlane_b32 s3, v3
	s_waitcnt lgkmcnt(14)
	s_nop 3
	global_store_short v0, v52, s[2:3]
	s_or_b64 exec, exec, s[0:1]
	v_cmp_lt_u32_e32 vcc, v47, v66
	s_and_saveexec_b64 s[0:1], vcc
	s_cbranch_execz .LBB3108_206
.LBB3108_265:
	v_lshlrev_b32_e32 v0, 1, v47
	v_readfirstlane_b32 s2, v2
	v_readfirstlane_b32 s3, v3
	s_waitcnt lgkmcnt(14)
	s_nop 3
	global_store_short v0, v48, s[2:3]
	s_or_b64 exec, exec, s[0:1]
	v_cmp_lt_u32_e32 vcc, v45, v66
	s_and_saveexec_b64 s[0:1], vcc
	s_cbranch_execz .LBB3108_207
.LBB3108_266:
	v_lshlrev_b32_e32 v0, 1, v45
	v_readfirstlane_b32 s2, v2
	v_readfirstlane_b32 s3, v3
	s_waitcnt lgkmcnt(14)
	s_nop 3
	global_store_short v0, v46, s[2:3]
	s_or_b64 exec, exec, s[0:1]
	v_cmp_lt_u32_e32 vcc, v43, v66
	s_and_saveexec_b64 s[0:1], vcc
	s_cbranch_execz .LBB3108_208
.LBB3108_267:
	v_lshlrev_b32_e32 v0, 1, v43
	v_readfirstlane_b32 s2, v2
	v_readfirstlane_b32 s3, v3
	s_waitcnt lgkmcnt(14)
	s_nop 3
	global_store_short v0, v44, s[2:3]
	s_or_b64 exec, exec, s[0:1]
	v_cmp_lt_u32_e32 vcc, v41, v66
	s_and_saveexec_b64 s[0:1], vcc
	s_cbranch_execz .LBB3108_209
.LBB3108_268:
	v_lshlrev_b32_e32 v0, 1, v41
	v_readfirstlane_b32 s2, v2
	v_readfirstlane_b32 s3, v3
	s_waitcnt lgkmcnt(14)
	s_nop 3
	global_store_short v0, v42, s[2:3]
	s_or_b64 exec, exec, s[0:1]
	v_cmp_lt_u32_e32 vcc, v39, v66
	s_and_saveexec_b64 s[0:1], vcc
	s_cbranch_execz .LBB3108_210
.LBB3108_269:
	v_lshlrev_b32_e32 v0, 1, v39
	v_readfirstlane_b32 s2, v2
	v_readfirstlane_b32 s3, v3
	s_waitcnt lgkmcnt(14)
	s_nop 3
	global_store_short v0, v40, s[2:3]
	s_or_b64 exec, exec, s[0:1]
	v_cmp_lt_u32_e32 vcc, v37, v66
	s_and_saveexec_b64 s[0:1], vcc
	s_cbranch_execz .LBB3108_211
.LBB3108_270:
	v_lshlrev_b32_e32 v0, 1, v37
	v_readfirstlane_b32 s2, v2
	v_readfirstlane_b32 s3, v3
	s_waitcnt lgkmcnt(13)
	s_nop 3
	global_store_short v0, v38, s[2:3]
	s_or_b64 exec, exec, s[0:1]
	v_cmp_lt_u32_e32 vcc, v34, v66
	s_and_saveexec_b64 s[0:1], vcc
	s_cbranch_execz .LBB3108_212
.LBB3108_271:
	v_lshlrev_b32_e32 v0, 1, v34
	v_readfirstlane_b32 s2, v2
	v_readfirstlane_b32 s3, v3
	s_waitcnt lgkmcnt(12)
	s_nop 3
	global_store_short v0, v35, s[2:3]
	s_or_b64 exec, exec, s[0:1]
	v_cmp_lt_u32_e32 vcc, v33, v66
	s_and_saveexec_b64 s[0:1], vcc
	s_cbranch_execz .LBB3108_213
.LBB3108_272:
	v_lshlrev_b32_e32 v0, 1, v33
	v_readfirstlane_b32 s2, v2
	v_readfirstlane_b32 s3, v3
	s_waitcnt lgkmcnt(11)
	s_nop 3
	global_store_short v0, v36, s[2:3]
	s_or_b64 exec, exec, s[0:1]
	v_cmp_lt_u32_e32 vcc, v31, v66
	s_and_saveexec_b64 s[0:1], vcc
	s_cbranch_execz .LBB3108_214
.LBB3108_273:
	v_lshlrev_b32_e32 v0, 1, v31
	v_readfirstlane_b32 s2, v2
	v_readfirstlane_b32 s3, v3
	s_waitcnt lgkmcnt(10)
	s_nop 3
	global_store_short v0, v32, s[2:3]
	s_or_b64 exec, exec, s[0:1]
	v_cmp_lt_u32_e32 vcc, v29, v66
	s_and_saveexec_b64 s[0:1], vcc
	s_cbranch_execz .LBB3108_215
.LBB3108_274:
	v_lshlrev_b32_e32 v0, 1, v29
	v_readfirstlane_b32 s2, v2
	v_readfirstlane_b32 s3, v3
	s_waitcnt lgkmcnt(9)
	s_nop 3
	global_store_short v0, v30, s[2:3]
	s_or_b64 exec, exec, s[0:1]
	v_cmp_lt_u32_e32 vcc, v27, v66
	s_and_saveexec_b64 s[0:1], vcc
	s_cbranch_execz .LBB3108_216
.LBB3108_275:
	v_lshlrev_b32_e32 v0, 1, v27
	v_readfirstlane_b32 s2, v2
	v_readfirstlane_b32 s3, v3
	s_waitcnt lgkmcnt(8)
	s_nop 3
	global_store_short v0, v28, s[2:3]
	s_or_b64 exec, exec, s[0:1]
	v_cmp_lt_u32_e32 vcc, v25, v66
	s_and_saveexec_b64 s[0:1], vcc
	s_cbranch_execz .LBB3108_217
.LBB3108_276:
	v_lshlrev_b32_e32 v0, 1, v25
	v_readfirstlane_b32 s2, v2
	v_readfirstlane_b32 s3, v3
	s_waitcnt lgkmcnt(7)
	s_nop 3
	global_store_short v0, v26, s[2:3]
	s_or_b64 exec, exec, s[0:1]
	v_cmp_lt_u32_e32 vcc, v21, v66
	s_and_saveexec_b64 s[0:1], vcc
	s_cbranch_execz .LBB3108_218
.LBB3108_277:
	v_lshlrev_b32_e32 v0, 1, v21
	v_readfirstlane_b32 s2, v2
	v_readfirstlane_b32 s3, v3
	s_waitcnt lgkmcnt(6)
	s_nop 3
	global_store_short v0, v24, s[2:3]
	s_or_b64 exec, exec, s[0:1]
	v_cmp_lt_u32_e32 vcc, v18, v66
	s_and_saveexec_b64 s[0:1], vcc
	s_cbranch_execz .LBB3108_219
.LBB3108_278:
	v_lshlrev_b32_e32 v0, 1, v18
	v_readfirstlane_b32 s2, v2
	v_readfirstlane_b32 s3, v3
	s_waitcnt lgkmcnt(5)
	s_nop 3
	global_store_short v0, v19, s[2:3]
	s_or_b64 exec, exec, s[0:1]
	v_cmp_lt_u32_e32 vcc, v13, v66
	s_and_saveexec_b64 s[0:1], vcc
	s_cbranch_execz .LBB3108_220
.LBB3108_279:
	v_lshlrev_b32_e32 v0, 1, v13
	v_readfirstlane_b32 s2, v2
	v_readfirstlane_b32 s3, v3
	s_waitcnt lgkmcnt(4)
	s_nop 3
	global_store_short v0, v17, s[2:3]
	s_or_b64 exec, exec, s[0:1]
	v_cmp_lt_u32_e32 vcc, v11, v66
	s_and_saveexec_b64 s[0:1], vcc
	s_cbranch_execz .LBB3108_221
.LBB3108_280:
	v_lshlrev_b32_e32 v0, 1, v11
	v_readfirstlane_b32 s2, v2
	v_readfirstlane_b32 s3, v3
	s_waitcnt lgkmcnt(3)
	s_nop 3
	global_store_short v0, v12, s[2:3]
	s_or_b64 exec, exec, s[0:1]
	v_cmp_lt_u32_e32 vcc, v9, v66
	s_and_saveexec_b64 s[0:1], vcc
	s_cbranch_execz .LBB3108_222
.LBB3108_281:
	v_lshlrev_b32_e32 v0, 1, v9
	v_readfirstlane_b32 s2, v2
	v_readfirstlane_b32 s3, v3
	s_waitcnt lgkmcnt(2)
	s_nop 3
	global_store_short v0, v10, s[2:3]
	s_or_b64 exec, exec, s[0:1]
	v_cmp_lt_u32_e32 vcc, v8, v66
	s_and_saveexec_b64 s[0:1], vcc
	s_cbranch_execnz .LBB3108_223
	s_branch .LBB3108_224
	.section	.rodata,"a",@progbits
	.p2align	6, 0x0
	.amdhsa_kernel _ZN7rocprim17ROCPRIM_400000_NS6detail17trampoline_kernelINS0_14default_configENS1_25partition_config_selectorILNS1_17partition_subalgoE1EtNS0_10empty_typeEbEEZZNS1_14partition_implILS5_1ELb0ES3_jN6thrust23THRUST_200600_302600_NS6detail15normal_iteratorINSA_10device_ptrItEEEEPS6_NSA_18transform_iteratorI7is_evenItESF_NSA_11use_defaultESK_EENS0_5tupleIJSF_NSA_16discard_iteratorISK_EEEEENSM_IJSG_SG_EEES6_PlJS6_EEE10hipError_tPvRmT3_T4_T5_T6_T7_T9_mT8_P12ihipStream_tbDpT10_ENKUlT_T0_E_clISt17integral_constantIbLb1EES1B_EEDaS16_S17_EUlS16_E_NS1_11comp_targetILNS1_3genE5ELNS1_11target_archE942ELNS1_3gpuE9ELNS1_3repE0EEENS1_30default_config_static_selectorELNS0_4arch9wavefront6targetE1EEEvT1_
		.amdhsa_group_segment_fixed_size 28680
		.amdhsa_private_segment_fixed_size 0
		.amdhsa_kernarg_size 152
		.amdhsa_user_sgpr_count 2
		.amdhsa_user_sgpr_dispatch_ptr 0
		.amdhsa_user_sgpr_queue_ptr 0
		.amdhsa_user_sgpr_kernarg_segment_ptr 1
		.amdhsa_user_sgpr_dispatch_id 0
		.amdhsa_user_sgpr_kernarg_preload_length 0
		.amdhsa_user_sgpr_kernarg_preload_offset 0
		.amdhsa_user_sgpr_private_segment_size 0
		.amdhsa_uses_dynamic_stack 0
		.amdhsa_enable_private_segment 0
		.amdhsa_system_sgpr_workgroup_id_x 1
		.amdhsa_system_sgpr_workgroup_id_y 0
		.amdhsa_system_sgpr_workgroup_id_z 0
		.amdhsa_system_sgpr_workgroup_info 0
		.amdhsa_system_vgpr_workitem_id 0
		.amdhsa_next_free_vgpr 81
		.amdhsa_next_free_sgpr 40
		.amdhsa_accum_offset 84
		.amdhsa_reserve_vcc 1
		.amdhsa_float_round_mode_32 0
		.amdhsa_float_round_mode_16_64 0
		.amdhsa_float_denorm_mode_32 3
		.amdhsa_float_denorm_mode_16_64 3
		.amdhsa_dx10_clamp 1
		.amdhsa_ieee_mode 1
		.amdhsa_fp16_overflow 0
		.amdhsa_tg_split 0
		.amdhsa_exception_fp_ieee_invalid_op 0
		.amdhsa_exception_fp_denorm_src 0
		.amdhsa_exception_fp_ieee_div_zero 0
		.amdhsa_exception_fp_ieee_overflow 0
		.amdhsa_exception_fp_ieee_underflow 0
		.amdhsa_exception_fp_ieee_inexact 0
		.amdhsa_exception_int_div_zero 0
	.end_amdhsa_kernel
	.section	.text._ZN7rocprim17ROCPRIM_400000_NS6detail17trampoline_kernelINS0_14default_configENS1_25partition_config_selectorILNS1_17partition_subalgoE1EtNS0_10empty_typeEbEEZZNS1_14partition_implILS5_1ELb0ES3_jN6thrust23THRUST_200600_302600_NS6detail15normal_iteratorINSA_10device_ptrItEEEEPS6_NSA_18transform_iteratorI7is_evenItESF_NSA_11use_defaultESK_EENS0_5tupleIJSF_NSA_16discard_iteratorISK_EEEEENSM_IJSG_SG_EEES6_PlJS6_EEE10hipError_tPvRmT3_T4_T5_T6_T7_T9_mT8_P12ihipStream_tbDpT10_ENKUlT_T0_E_clISt17integral_constantIbLb1EES1B_EEDaS16_S17_EUlS16_E_NS1_11comp_targetILNS1_3genE5ELNS1_11target_archE942ELNS1_3gpuE9ELNS1_3repE0EEENS1_30default_config_static_selectorELNS0_4arch9wavefront6targetE1EEEvT1_,"axG",@progbits,_ZN7rocprim17ROCPRIM_400000_NS6detail17trampoline_kernelINS0_14default_configENS1_25partition_config_selectorILNS1_17partition_subalgoE1EtNS0_10empty_typeEbEEZZNS1_14partition_implILS5_1ELb0ES3_jN6thrust23THRUST_200600_302600_NS6detail15normal_iteratorINSA_10device_ptrItEEEEPS6_NSA_18transform_iteratorI7is_evenItESF_NSA_11use_defaultESK_EENS0_5tupleIJSF_NSA_16discard_iteratorISK_EEEEENSM_IJSG_SG_EEES6_PlJS6_EEE10hipError_tPvRmT3_T4_T5_T6_T7_T9_mT8_P12ihipStream_tbDpT10_ENKUlT_T0_E_clISt17integral_constantIbLb1EES1B_EEDaS16_S17_EUlS16_E_NS1_11comp_targetILNS1_3genE5ELNS1_11target_archE942ELNS1_3gpuE9ELNS1_3repE0EEENS1_30default_config_static_selectorELNS0_4arch9wavefront6targetE1EEEvT1_,comdat
.Lfunc_end3108:
	.size	_ZN7rocprim17ROCPRIM_400000_NS6detail17trampoline_kernelINS0_14default_configENS1_25partition_config_selectorILNS1_17partition_subalgoE1EtNS0_10empty_typeEbEEZZNS1_14partition_implILS5_1ELb0ES3_jN6thrust23THRUST_200600_302600_NS6detail15normal_iteratorINSA_10device_ptrItEEEEPS6_NSA_18transform_iteratorI7is_evenItESF_NSA_11use_defaultESK_EENS0_5tupleIJSF_NSA_16discard_iteratorISK_EEEEENSM_IJSG_SG_EEES6_PlJS6_EEE10hipError_tPvRmT3_T4_T5_T6_T7_T9_mT8_P12ihipStream_tbDpT10_ENKUlT_T0_E_clISt17integral_constantIbLb1EES1B_EEDaS16_S17_EUlS16_E_NS1_11comp_targetILNS1_3genE5ELNS1_11target_archE942ELNS1_3gpuE9ELNS1_3repE0EEENS1_30default_config_static_selectorELNS0_4arch9wavefront6targetE1EEEvT1_, .Lfunc_end3108-_ZN7rocprim17ROCPRIM_400000_NS6detail17trampoline_kernelINS0_14default_configENS1_25partition_config_selectorILNS1_17partition_subalgoE1EtNS0_10empty_typeEbEEZZNS1_14partition_implILS5_1ELb0ES3_jN6thrust23THRUST_200600_302600_NS6detail15normal_iteratorINSA_10device_ptrItEEEEPS6_NSA_18transform_iteratorI7is_evenItESF_NSA_11use_defaultESK_EENS0_5tupleIJSF_NSA_16discard_iteratorISK_EEEEENSM_IJSG_SG_EEES6_PlJS6_EEE10hipError_tPvRmT3_T4_T5_T6_T7_T9_mT8_P12ihipStream_tbDpT10_ENKUlT_T0_E_clISt17integral_constantIbLb1EES1B_EEDaS16_S17_EUlS16_E_NS1_11comp_targetILNS1_3genE5ELNS1_11target_archE942ELNS1_3gpuE9ELNS1_3repE0EEENS1_30default_config_static_selectorELNS0_4arch9wavefront6targetE1EEEvT1_
                                        ; -- End function
	.section	.AMDGPU.csdata,"",@progbits
; Kernel info:
; codeLenInByte = 12532
; NumSgprs: 46
; NumVgprs: 81
; NumAgprs: 0
; TotalNumVgprs: 81
; ScratchSize: 0
; MemoryBound: 0
; FloatMode: 240
; IeeeMode: 1
; LDSByteSize: 28680 bytes/workgroup (compile time only)
; SGPRBlocks: 5
; VGPRBlocks: 10
; NumSGPRsForWavesPerEU: 46
; NumVGPRsForWavesPerEU: 81
; AccumOffset: 84
; Occupancy: 4
; WaveLimiterHint : 1
; COMPUTE_PGM_RSRC2:SCRATCH_EN: 0
; COMPUTE_PGM_RSRC2:USER_SGPR: 2
; COMPUTE_PGM_RSRC2:TRAP_HANDLER: 0
; COMPUTE_PGM_RSRC2:TGID_X_EN: 1
; COMPUTE_PGM_RSRC2:TGID_Y_EN: 0
; COMPUTE_PGM_RSRC2:TGID_Z_EN: 0
; COMPUTE_PGM_RSRC2:TIDIG_COMP_CNT: 0
; COMPUTE_PGM_RSRC3_GFX90A:ACCUM_OFFSET: 20
; COMPUTE_PGM_RSRC3_GFX90A:TG_SPLIT: 0
	.section	.text._ZN7rocprim17ROCPRIM_400000_NS6detail17trampoline_kernelINS0_14default_configENS1_25partition_config_selectorILNS1_17partition_subalgoE1EtNS0_10empty_typeEbEEZZNS1_14partition_implILS5_1ELb0ES3_jN6thrust23THRUST_200600_302600_NS6detail15normal_iteratorINSA_10device_ptrItEEEEPS6_NSA_18transform_iteratorI7is_evenItESF_NSA_11use_defaultESK_EENS0_5tupleIJSF_NSA_16discard_iteratorISK_EEEEENSM_IJSG_SG_EEES6_PlJS6_EEE10hipError_tPvRmT3_T4_T5_T6_T7_T9_mT8_P12ihipStream_tbDpT10_ENKUlT_T0_E_clISt17integral_constantIbLb1EES1B_EEDaS16_S17_EUlS16_E_NS1_11comp_targetILNS1_3genE4ELNS1_11target_archE910ELNS1_3gpuE8ELNS1_3repE0EEENS1_30default_config_static_selectorELNS0_4arch9wavefront6targetE1EEEvT1_,"axG",@progbits,_ZN7rocprim17ROCPRIM_400000_NS6detail17trampoline_kernelINS0_14default_configENS1_25partition_config_selectorILNS1_17partition_subalgoE1EtNS0_10empty_typeEbEEZZNS1_14partition_implILS5_1ELb0ES3_jN6thrust23THRUST_200600_302600_NS6detail15normal_iteratorINSA_10device_ptrItEEEEPS6_NSA_18transform_iteratorI7is_evenItESF_NSA_11use_defaultESK_EENS0_5tupleIJSF_NSA_16discard_iteratorISK_EEEEENSM_IJSG_SG_EEES6_PlJS6_EEE10hipError_tPvRmT3_T4_T5_T6_T7_T9_mT8_P12ihipStream_tbDpT10_ENKUlT_T0_E_clISt17integral_constantIbLb1EES1B_EEDaS16_S17_EUlS16_E_NS1_11comp_targetILNS1_3genE4ELNS1_11target_archE910ELNS1_3gpuE8ELNS1_3repE0EEENS1_30default_config_static_selectorELNS0_4arch9wavefront6targetE1EEEvT1_,comdat
	.protected	_ZN7rocprim17ROCPRIM_400000_NS6detail17trampoline_kernelINS0_14default_configENS1_25partition_config_selectorILNS1_17partition_subalgoE1EtNS0_10empty_typeEbEEZZNS1_14partition_implILS5_1ELb0ES3_jN6thrust23THRUST_200600_302600_NS6detail15normal_iteratorINSA_10device_ptrItEEEEPS6_NSA_18transform_iteratorI7is_evenItESF_NSA_11use_defaultESK_EENS0_5tupleIJSF_NSA_16discard_iteratorISK_EEEEENSM_IJSG_SG_EEES6_PlJS6_EEE10hipError_tPvRmT3_T4_T5_T6_T7_T9_mT8_P12ihipStream_tbDpT10_ENKUlT_T0_E_clISt17integral_constantIbLb1EES1B_EEDaS16_S17_EUlS16_E_NS1_11comp_targetILNS1_3genE4ELNS1_11target_archE910ELNS1_3gpuE8ELNS1_3repE0EEENS1_30default_config_static_selectorELNS0_4arch9wavefront6targetE1EEEvT1_ ; -- Begin function _ZN7rocprim17ROCPRIM_400000_NS6detail17trampoline_kernelINS0_14default_configENS1_25partition_config_selectorILNS1_17partition_subalgoE1EtNS0_10empty_typeEbEEZZNS1_14partition_implILS5_1ELb0ES3_jN6thrust23THRUST_200600_302600_NS6detail15normal_iteratorINSA_10device_ptrItEEEEPS6_NSA_18transform_iteratorI7is_evenItESF_NSA_11use_defaultESK_EENS0_5tupleIJSF_NSA_16discard_iteratorISK_EEEEENSM_IJSG_SG_EEES6_PlJS6_EEE10hipError_tPvRmT3_T4_T5_T6_T7_T9_mT8_P12ihipStream_tbDpT10_ENKUlT_T0_E_clISt17integral_constantIbLb1EES1B_EEDaS16_S17_EUlS16_E_NS1_11comp_targetILNS1_3genE4ELNS1_11target_archE910ELNS1_3gpuE8ELNS1_3repE0EEENS1_30default_config_static_selectorELNS0_4arch9wavefront6targetE1EEEvT1_
	.globl	_ZN7rocprim17ROCPRIM_400000_NS6detail17trampoline_kernelINS0_14default_configENS1_25partition_config_selectorILNS1_17partition_subalgoE1EtNS0_10empty_typeEbEEZZNS1_14partition_implILS5_1ELb0ES3_jN6thrust23THRUST_200600_302600_NS6detail15normal_iteratorINSA_10device_ptrItEEEEPS6_NSA_18transform_iteratorI7is_evenItESF_NSA_11use_defaultESK_EENS0_5tupleIJSF_NSA_16discard_iteratorISK_EEEEENSM_IJSG_SG_EEES6_PlJS6_EEE10hipError_tPvRmT3_T4_T5_T6_T7_T9_mT8_P12ihipStream_tbDpT10_ENKUlT_T0_E_clISt17integral_constantIbLb1EES1B_EEDaS16_S17_EUlS16_E_NS1_11comp_targetILNS1_3genE4ELNS1_11target_archE910ELNS1_3gpuE8ELNS1_3repE0EEENS1_30default_config_static_selectorELNS0_4arch9wavefront6targetE1EEEvT1_
	.p2align	8
	.type	_ZN7rocprim17ROCPRIM_400000_NS6detail17trampoline_kernelINS0_14default_configENS1_25partition_config_selectorILNS1_17partition_subalgoE1EtNS0_10empty_typeEbEEZZNS1_14partition_implILS5_1ELb0ES3_jN6thrust23THRUST_200600_302600_NS6detail15normal_iteratorINSA_10device_ptrItEEEEPS6_NSA_18transform_iteratorI7is_evenItESF_NSA_11use_defaultESK_EENS0_5tupleIJSF_NSA_16discard_iteratorISK_EEEEENSM_IJSG_SG_EEES6_PlJS6_EEE10hipError_tPvRmT3_T4_T5_T6_T7_T9_mT8_P12ihipStream_tbDpT10_ENKUlT_T0_E_clISt17integral_constantIbLb1EES1B_EEDaS16_S17_EUlS16_E_NS1_11comp_targetILNS1_3genE4ELNS1_11target_archE910ELNS1_3gpuE8ELNS1_3repE0EEENS1_30default_config_static_selectorELNS0_4arch9wavefront6targetE1EEEvT1_,@function
_ZN7rocprim17ROCPRIM_400000_NS6detail17trampoline_kernelINS0_14default_configENS1_25partition_config_selectorILNS1_17partition_subalgoE1EtNS0_10empty_typeEbEEZZNS1_14partition_implILS5_1ELb0ES3_jN6thrust23THRUST_200600_302600_NS6detail15normal_iteratorINSA_10device_ptrItEEEEPS6_NSA_18transform_iteratorI7is_evenItESF_NSA_11use_defaultESK_EENS0_5tupleIJSF_NSA_16discard_iteratorISK_EEEEENSM_IJSG_SG_EEES6_PlJS6_EEE10hipError_tPvRmT3_T4_T5_T6_T7_T9_mT8_P12ihipStream_tbDpT10_ENKUlT_T0_E_clISt17integral_constantIbLb1EES1B_EEDaS16_S17_EUlS16_E_NS1_11comp_targetILNS1_3genE4ELNS1_11target_archE910ELNS1_3gpuE8ELNS1_3repE0EEENS1_30default_config_static_selectorELNS0_4arch9wavefront6targetE1EEEvT1_: ; @_ZN7rocprim17ROCPRIM_400000_NS6detail17trampoline_kernelINS0_14default_configENS1_25partition_config_selectorILNS1_17partition_subalgoE1EtNS0_10empty_typeEbEEZZNS1_14partition_implILS5_1ELb0ES3_jN6thrust23THRUST_200600_302600_NS6detail15normal_iteratorINSA_10device_ptrItEEEEPS6_NSA_18transform_iteratorI7is_evenItESF_NSA_11use_defaultESK_EENS0_5tupleIJSF_NSA_16discard_iteratorISK_EEEEENSM_IJSG_SG_EEES6_PlJS6_EEE10hipError_tPvRmT3_T4_T5_T6_T7_T9_mT8_P12ihipStream_tbDpT10_ENKUlT_T0_E_clISt17integral_constantIbLb1EES1B_EEDaS16_S17_EUlS16_E_NS1_11comp_targetILNS1_3genE4ELNS1_11target_archE910ELNS1_3gpuE8ELNS1_3repE0EEENS1_30default_config_static_selectorELNS0_4arch9wavefront6targetE1EEEvT1_
; %bb.0:
	.section	.rodata,"a",@progbits
	.p2align	6, 0x0
	.amdhsa_kernel _ZN7rocprim17ROCPRIM_400000_NS6detail17trampoline_kernelINS0_14default_configENS1_25partition_config_selectorILNS1_17partition_subalgoE1EtNS0_10empty_typeEbEEZZNS1_14partition_implILS5_1ELb0ES3_jN6thrust23THRUST_200600_302600_NS6detail15normal_iteratorINSA_10device_ptrItEEEEPS6_NSA_18transform_iteratorI7is_evenItESF_NSA_11use_defaultESK_EENS0_5tupleIJSF_NSA_16discard_iteratorISK_EEEEENSM_IJSG_SG_EEES6_PlJS6_EEE10hipError_tPvRmT3_T4_T5_T6_T7_T9_mT8_P12ihipStream_tbDpT10_ENKUlT_T0_E_clISt17integral_constantIbLb1EES1B_EEDaS16_S17_EUlS16_E_NS1_11comp_targetILNS1_3genE4ELNS1_11target_archE910ELNS1_3gpuE8ELNS1_3repE0EEENS1_30default_config_static_selectorELNS0_4arch9wavefront6targetE1EEEvT1_
		.amdhsa_group_segment_fixed_size 0
		.amdhsa_private_segment_fixed_size 0
		.amdhsa_kernarg_size 152
		.amdhsa_user_sgpr_count 2
		.amdhsa_user_sgpr_dispatch_ptr 0
		.amdhsa_user_sgpr_queue_ptr 0
		.amdhsa_user_sgpr_kernarg_segment_ptr 1
		.amdhsa_user_sgpr_dispatch_id 0
		.amdhsa_user_sgpr_kernarg_preload_length 0
		.amdhsa_user_sgpr_kernarg_preload_offset 0
		.amdhsa_user_sgpr_private_segment_size 0
		.amdhsa_uses_dynamic_stack 0
		.amdhsa_enable_private_segment 0
		.amdhsa_system_sgpr_workgroup_id_x 1
		.amdhsa_system_sgpr_workgroup_id_y 0
		.amdhsa_system_sgpr_workgroup_id_z 0
		.amdhsa_system_sgpr_workgroup_info 0
		.amdhsa_system_vgpr_workitem_id 0
		.amdhsa_next_free_vgpr 1
		.amdhsa_next_free_sgpr 0
		.amdhsa_accum_offset 4
		.amdhsa_reserve_vcc 0
		.amdhsa_float_round_mode_32 0
		.amdhsa_float_round_mode_16_64 0
		.amdhsa_float_denorm_mode_32 3
		.amdhsa_float_denorm_mode_16_64 3
		.amdhsa_dx10_clamp 1
		.amdhsa_ieee_mode 1
		.amdhsa_fp16_overflow 0
		.amdhsa_tg_split 0
		.amdhsa_exception_fp_ieee_invalid_op 0
		.amdhsa_exception_fp_denorm_src 0
		.amdhsa_exception_fp_ieee_div_zero 0
		.amdhsa_exception_fp_ieee_overflow 0
		.amdhsa_exception_fp_ieee_underflow 0
		.amdhsa_exception_fp_ieee_inexact 0
		.amdhsa_exception_int_div_zero 0
	.end_amdhsa_kernel
	.section	.text._ZN7rocprim17ROCPRIM_400000_NS6detail17trampoline_kernelINS0_14default_configENS1_25partition_config_selectorILNS1_17partition_subalgoE1EtNS0_10empty_typeEbEEZZNS1_14partition_implILS5_1ELb0ES3_jN6thrust23THRUST_200600_302600_NS6detail15normal_iteratorINSA_10device_ptrItEEEEPS6_NSA_18transform_iteratorI7is_evenItESF_NSA_11use_defaultESK_EENS0_5tupleIJSF_NSA_16discard_iteratorISK_EEEEENSM_IJSG_SG_EEES6_PlJS6_EEE10hipError_tPvRmT3_T4_T5_T6_T7_T9_mT8_P12ihipStream_tbDpT10_ENKUlT_T0_E_clISt17integral_constantIbLb1EES1B_EEDaS16_S17_EUlS16_E_NS1_11comp_targetILNS1_3genE4ELNS1_11target_archE910ELNS1_3gpuE8ELNS1_3repE0EEENS1_30default_config_static_selectorELNS0_4arch9wavefront6targetE1EEEvT1_,"axG",@progbits,_ZN7rocprim17ROCPRIM_400000_NS6detail17trampoline_kernelINS0_14default_configENS1_25partition_config_selectorILNS1_17partition_subalgoE1EtNS0_10empty_typeEbEEZZNS1_14partition_implILS5_1ELb0ES3_jN6thrust23THRUST_200600_302600_NS6detail15normal_iteratorINSA_10device_ptrItEEEEPS6_NSA_18transform_iteratorI7is_evenItESF_NSA_11use_defaultESK_EENS0_5tupleIJSF_NSA_16discard_iteratorISK_EEEEENSM_IJSG_SG_EEES6_PlJS6_EEE10hipError_tPvRmT3_T4_T5_T6_T7_T9_mT8_P12ihipStream_tbDpT10_ENKUlT_T0_E_clISt17integral_constantIbLb1EES1B_EEDaS16_S17_EUlS16_E_NS1_11comp_targetILNS1_3genE4ELNS1_11target_archE910ELNS1_3gpuE8ELNS1_3repE0EEENS1_30default_config_static_selectorELNS0_4arch9wavefront6targetE1EEEvT1_,comdat
.Lfunc_end3109:
	.size	_ZN7rocprim17ROCPRIM_400000_NS6detail17trampoline_kernelINS0_14default_configENS1_25partition_config_selectorILNS1_17partition_subalgoE1EtNS0_10empty_typeEbEEZZNS1_14partition_implILS5_1ELb0ES3_jN6thrust23THRUST_200600_302600_NS6detail15normal_iteratorINSA_10device_ptrItEEEEPS6_NSA_18transform_iteratorI7is_evenItESF_NSA_11use_defaultESK_EENS0_5tupleIJSF_NSA_16discard_iteratorISK_EEEEENSM_IJSG_SG_EEES6_PlJS6_EEE10hipError_tPvRmT3_T4_T5_T6_T7_T9_mT8_P12ihipStream_tbDpT10_ENKUlT_T0_E_clISt17integral_constantIbLb1EES1B_EEDaS16_S17_EUlS16_E_NS1_11comp_targetILNS1_3genE4ELNS1_11target_archE910ELNS1_3gpuE8ELNS1_3repE0EEENS1_30default_config_static_selectorELNS0_4arch9wavefront6targetE1EEEvT1_, .Lfunc_end3109-_ZN7rocprim17ROCPRIM_400000_NS6detail17trampoline_kernelINS0_14default_configENS1_25partition_config_selectorILNS1_17partition_subalgoE1EtNS0_10empty_typeEbEEZZNS1_14partition_implILS5_1ELb0ES3_jN6thrust23THRUST_200600_302600_NS6detail15normal_iteratorINSA_10device_ptrItEEEEPS6_NSA_18transform_iteratorI7is_evenItESF_NSA_11use_defaultESK_EENS0_5tupleIJSF_NSA_16discard_iteratorISK_EEEEENSM_IJSG_SG_EEES6_PlJS6_EEE10hipError_tPvRmT3_T4_T5_T6_T7_T9_mT8_P12ihipStream_tbDpT10_ENKUlT_T0_E_clISt17integral_constantIbLb1EES1B_EEDaS16_S17_EUlS16_E_NS1_11comp_targetILNS1_3genE4ELNS1_11target_archE910ELNS1_3gpuE8ELNS1_3repE0EEENS1_30default_config_static_selectorELNS0_4arch9wavefront6targetE1EEEvT1_
                                        ; -- End function
	.section	.AMDGPU.csdata,"",@progbits
; Kernel info:
; codeLenInByte = 0
; NumSgprs: 6
; NumVgprs: 0
; NumAgprs: 0
; TotalNumVgprs: 0
; ScratchSize: 0
; MemoryBound: 0
; FloatMode: 240
; IeeeMode: 1
; LDSByteSize: 0 bytes/workgroup (compile time only)
; SGPRBlocks: 0
; VGPRBlocks: 0
; NumSGPRsForWavesPerEU: 6
; NumVGPRsForWavesPerEU: 1
; AccumOffset: 4
; Occupancy: 8
; WaveLimiterHint : 0
; COMPUTE_PGM_RSRC2:SCRATCH_EN: 0
; COMPUTE_PGM_RSRC2:USER_SGPR: 2
; COMPUTE_PGM_RSRC2:TRAP_HANDLER: 0
; COMPUTE_PGM_RSRC2:TGID_X_EN: 1
; COMPUTE_PGM_RSRC2:TGID_Y_EN: 0
; COMPUTE_PGM_RSRC2:TGID_Z_EN: 0
; COMPUTE_PGM_RSRC2:TIDIG_COMP_CNT: 0
; COMPUTE_PGM_RSRC3_GFX90A:ACCUM_OFFSET: 0
; COMPUTE_PGM_RSRC3_GFX90A:TG_SPLIT: 0
	.section	.text._ZN7rocprim17ROCPRIM_400000_NS6detail17trampoline_kernelINS0_14default_configENS1_25partition_config_selectorILNS1_17partition_subalgoE1EtNS0_10empty_typeEbEEZZNS1_14partition_implILS5_1ELb0ES3_jN6thrust23THRUST_200600_302600_NS6detail15normal_iteratorINSA_10device_ptrItEEEEPS6_NSA_18transform_iteratorI7is_evenItESF_NSA_11use_defaultESK_EENS0_5tupleIJSF_NSA_16discard_iteratorISK_EEEEENSM_IJSG_SG_EEES6_PlJS6_EEE10hipError_tPvRmT3_T4_T5_T6_T7_T9_mT8_P12ihipStream_tbDpT10_ENKUlT_T0_E_clISt17integral_constantIbLb1EES1B_EEDaS16_S17_EUlS16_E_NS1_11comp_targetILNS1_3genE3ELNS1_11target_archE908ELNS1_3gpuE7ELNS1_3repE0EEENS1_30default_config_static_selectorELNS0_4arch9wavefront6targetE1EEEvT1_,"axG",@progbits,_ZN7rocprim17ROCPRIM_400000_NS6detail17trampoline_kernelINS0_14default_configENS1_25partition_config_selectorILNS1_17partition_subalgoE1EtNS0_10empty_typeEbEEZZNS1_14partition_implILS5_1ELb0ES3_jN6thrust23THRUST_200600_302600_NS6detail15normal_iteratorINSA_10device_ptrItEEEEPS6_NSA_18transform_iteratorI7is_evenItESF_NSA_11use_defaultESK_EENS0_5tupleIJSF_NSA_16discard_iteratorISK_EEEEENSM_IJSG_SG_EEES6_PlJS6_EEE10hipError_tPvRmT3_T4_T5_T6_T7_T9_mT8_P12ihipStream_tbDpT10_ENKUlT_T0_E_clISt17integral_constantIbLb1EES1B_EEDaS16_S17_EUlS16_E_NS1_11comp_targetILNS1_3genE3ELNS1_11target_archE908ELNS1_3gpuE7ELNS1_3repE0EEENS1_30default_config_static_selectorELNS0_4arch9wavefront6targetE1EEEvT1_,comdat
	.protected	_ZN7rocprim17ROCPRIM_400000_NS6detail17trampoline_kernelINS0_14default_configENS1_25partition_config_selectorILNS1_17partition_subalgoE1EtNS0_10empty_typeEbEEZZNS1_14partition_implILS5_1ELb0ES3_jN6thrust23THRUST_200600_302600_NS6detail15normal_iteratorINSA_10device_ptrItEEEEPS6_NSA_18transform_iteratorI7is_evenItESF_NSA_11use_defaultESK_EENS0_5tupleIJSF_NSA_16discard_iteratorISK_EEEEENSM_IJSG_SG_EEES6_PlJS6_EEE10hipError_tPvRmT3_T4_T5_T6_T7_T9_mT8_P12ihipStream_tbDpT10_ENKUlT_T0_E_clISt17integral_constantIbLb1EES1B_EEDaS16_S17_EUlS16_E_NS1_11comp_targetILNS1_3genE3ELNS1_11target_archE908ELNS1_3gpuE7ELNS1_3repE0EEENS1_30default_config_static_selectorELNS0_4arch9wavefront6targetE1EEEvT1_ ; -- Begin function _ZN7rocprim17ROCPRIM_400000_NS6detail17trampoline_kernelINS0_14default_configENS1_25partition_config_selectorILNS1_17partition_subalgoE1EtNS0_10empty_typeEbEEZZNS1_14partition_implILS5_1ELb0ES3_jN6thrust23THRUST_200600_302600_NS6detail15normal_iteratorINSA_10device_ptrItEEEEPS6_NSA_18transform_iteratorI7is_evenItESF_NSA_11use_defaultESK_EENS0_5tupleIJSF_NSA_16discard_iteratorISK_EEEEENSM_IJSG_SG_EEES6_PlJS6_EEE10hipError_tPvRmT3_T4_T5_T6_T7_T9_mT8_P12ihipStream_tbDpT10_ENKUlT_T0_E_clISt17integral_constantIbLb1EES1B_EEDaS16_S17_EUlS16_E_NS1_11comp_targetILNS1_3genE3ELNS1_11target_archE908ELNS1_3gpuE7ELNS1_3repE0EEENS1_30default_config_static_selectorELNS0_4arch9wavefront6targetE1EEEvT1_
	.globl	_ZN7rocprim17ROCPRIM_400000_NS6detail17trampoline_kernelINS0_14default_configENS1_25partition_config_selectorILNS1_17partition_subalgoE1EtNS0_10empty_typeEbEEZZNS1_14partition_implILS5_1ELb0ES3_jN6thrust23THRUST_200600_302600_NS6detail15normal_iteratorINSA_10device_ptrItEEEEPS6_NSA_18transform_iteratorI7is_evenItESF_NSA_11use_defaultESK_EENS0_5tupleIJSF_NSA_16discard_iteratorISK_EEEEENSM_IJSG_SG_EEES6_PlJS6_EEE10hipError_tPvRmT3_T4_T5_T6_T7_T9_mT8_P12ihipStream_tbDpT10_ENKUlT_T0_E_clISt17integral_constantIbLb1EES1B_EEDaS16_S17_EUlS16_E_NS1_11comp_targetILNS1_3genE3ELNS1_11target_archE908ELNS1_3gpuE7ELNS1_3repE0EEENS1_30default_config_static_selectorELNS0_4arch9wavefront6targetE1EEEvT1_
	.p2align	8
	.type	_ZN7rocprim17ROCPRIM_400000_NS6detail17trampoline_kernelINS0_14default_configENS1_25partition_config_selectorILNS1_17partition_subalgoE1EtNS0_10empty_typeEbEEZZNS1_14partition_implILS5_1ELb0ES3_jN6thrust23THRUST_200600_302600_NS6detail15normal_iteratorINSA_10device_ptrItEEEEPS6_NSA_18transform_iteratorI7is_evenItESF_NSA_11use_defaultESK_EENS0_5tupleIJSF_NSA_16discard_iteratorISK_EEEEENSM_IJSG_SG_EEES6_PlJS6_EEE10hipError_tPvRmT3_T4_T5_T6_T7_T9_mT8_P12ihipStream_tbDpT10_ENKUlT_T0_E_clISt17integral_constantIbLb1EES1B_EEDaS16_S17_EUlS16_E_NS1_11comp_targetILNS1_3genE3ELNS1_11target_archE908ELNS1_3gpuE7ELNS1_3repE0EEENS1_30default_config_static_selectorELNS0_4arch9wavefront6targetE1EEEvT1_,@function
_ZN7rocprim17ROCPRIM_400000_NS6detail17trampoline_kernelINS0_14default_configENS1_25partition_config_selectorILNS1_17partition_subalgoE1EtNS0_10empty_typeEbEEZZNS1_14partition_implILS5_1ELb0ES3_jN6thrust23THRUST_200600_302600_NS6detail15normal_iteratorINSA_10device_ptrItEEEEPS6_NSA_18transform_iteratorI7is_evenItESF_NSA_11use_defaultESK_EENS0_5tupleIJSF_NSA_16discard_iteratorISK_EEEEENSM_IJSG_SG_EEES6_PlJS6_EEE10hipError_tPvRmT3_T4_T5_T6_T7_T9_mT8_P12ihipStream_tbDpT10_ENKUlT_T0_E_clISt17integral_constantIbLb1EES1B_EEDaS16_S17_EUlS16_E_NS1_11comp_targetILNS1_3genE3ELNS1_11target_archE908ELNS1_3gpuE7ELNS1_3repE0EEENS1_30default_config_static_selectorELNS0_4arch9wavefront6targetE1EEEvT1_: ; @_ZN7rocprim17ROCPRIM_400000_NS6detail17trampoline_kernelINS0_14default_configENS1_25partition_config_selectorILNS1_17partition_subalgoE1EtNS0_10empty_typeEbEEZZNS1_14partition_implILS5_1ELb0ES3_jN6thrust23THRUST_200600_302600_NS6detail15normal_iteratorINSA_10device_ptrItEEEEPS6_NSA_18transform_iteratorI7is_evenItESF_NSA_11use_defaultESK_EENS0_5tupleIJSF_NSA_16discard_iteratorISK_EEEEENSM_IJSG_SG_EEES6_PlJS6_EEE10hipError_tPvRmT3_T4_T5_T6_T7_T9_mT8_P12ihipStream_tbDpT10_ENKUlT_T0_E_clISt17integral_constantIbLb1EES1B_EEDaS16_S17_EUlS16_E_NS1_11comp_targetILNS1_3genE3ELNS1_11target_archE908ELNS1_3gpuE7ELNS1_3repE0EEENS1_30default_config_static_selectorELNS0_4arch9wavefront6targetE1EEEvT1_
; %bb.0:
	.section	.rodata,"a",@progbits
	.p2align	6, 0x0
	.amdhsa_kernel _ZN7rocprim17ROCPRIM_400000_NS6detail17trampoline_kernelINS0_14default_configENS1_25partition_config_selectorILNS1_17partition_subalgoE1EtNS0_10empty_typeEbEEZZNS1_14partition_implILS5_1ELb0ES3_jN6thrust23THRUST_200600_302600_NS6detail15normal_iteratorINSA_10device_ptrItEEEEPS6_NSA_18transform_iteratorI7is_evenItESF_NSA_11use_defaultESK_EENS0_5tupleIJSF_NSA_16discard_iteratorISK_EEEEENSM_IJSG_SG_EEES6_PlJS6_EEE10hipError_tPvRmT3_T4_T5_T6_T7_T9_mT8_P12ihipStream_tbDpT10_ENKUlT_T0_E_clISt17integral_constantIbLb1EES1B_EEDaS16_S17_EUlS16_E_NS1_11comp_targetILNS1_3genE3ELNS1_11target_archE908ELNS1_3gpuE7ELNS1_3repE0EEENS1_30default_config_static_selectorELNS0_4arch9wavefront6targetE1EEEvT1_
		.amdhsa_group_segment_fixed_size 0
		.amdhsa_private_segment_fixed_size 0
		.amdhsa_kernarg_size 152
		.amdhsa_user_sgpr_count 2
		.amdhsa_user_sgpr_dispatch_ptr 0
		.amdhsa_user_sgpr_queue_ptr 0
		.amdhsa_user_sgpr_kernarg_segment_ptr 1
		.amdhsa_user_sgpr_dispatch_id 0
		.amdhsa_user_sgpr_kernarg_preload_length 0
		.amdhsa_user_sgpr_kernarg_preload_offset 0
		.amdhsa_user_sgpr_private_segment_size 0
		.amdhsa_uses_dynamic_stack 0
		.amdhsa_enable_private_segment 0
		.amdhsa_system_sgpr_workgroup_id_x 1
		.amdhsa_system_sgpr_workgroup_id_y 0
		.amdhsa_system_sgpr_workgroup_id_z 0
		.amdhsa_system_sgpr_workgroup_info 0
		.amdhsa_system_vgpr_workitem_id 0
		.amdhsa_next_free_vgpr 1
		.amdhsa_next_free_sgpr 0
		.amdhsa_accum_offset 4
		.amdhsa_reserve_vcc 0
		.amdhsa_float_round_mode_32 0
		.amdhsa_float_round_mode_16_64 0
		.amdhsa_float_denorm_mode_32 3
		.amdhsa_float_denorm_mode_16_64 3
		.amdhsa_dx10_clamp 1
		.amdhsa_ieee_mode 1
		.amdhsa_fp16_overflow 0
		.amdhsa_tg_split 0
		.amdhsa_exception_fp_ieee_invalid_op 0
		.amdhsa_exception_fp_denorm_src 0
		.amdhsa_exception_fp_ieee_div_zero 0
		.amdhsa_exception_fp_ieee_overflow 0
		.amdhsa_exception_fp_ieee_underflow 0
		.amdhsa_exception_fp_ieee_inexact 0
		.amdhsa_exception_int_div_zero 0
	.end_amdhsa_kernel
	.section	.text._ZN7rocprim17ROCPRIM_400000_NS6detail17trampoline_kernelINS0_14default_configENS1_25partition_config_selectorILNS1_17partition_subalgoE1EtNS0_10empty_typeEbEEZZNS1_14partition_implILS5_1ELb0ES3_jN6thrust23THRUST_200600_302600_NS6detail15normal_iteratorINSA_10device_ptrItEEEEPS6_NSA_18transform_iteratorI7is_evenItESF_NSA_11use_defaultESK_EENS0_5tupleIJSF_NSA_16discard_iteratorISK_EEEEENSM_IJSG_SG_EEES6_PlJS6_EEE10hipError_tPvRmT3_T4_T5_T6_T7_T9_mT8_P12ihipStream_tbDpT10_ENKUlT_T0_E_clISt17integral_constantIbLb1EES1B_EEDaS16_S17_EUlS16_E_NS1_11comp_targetILNS1_3genE3ELNS1_11target_archE908ELNS1_3gpuE7ELNS1_3repE0EEENS1_30default_config_static_selectorELNS0_4arch9wavefront6targetE1EEEvT1_,"axG",@progbits,_ZN7rocprim17ROCPRIM_400000_NS6detail17trampoline_kernelINS0_14default_configENS1_25partition_config_selectorILNS1_17partition_subalgoE1EtNS0_10empty_typeEbEEZZNS1_14partition_implILS5_1ELb0ES3_jN6thrust23THRUST_200600_302600_NS6detail15normal_iteratorINSA_10device_ptrItEEEEPS6_NSA_18transform_iteratorI7is_evenItESF_NSA_11use_defaultESK_EENS0_5tupleIJSF_NSA_16discard_iteratorISK_EEEEENSM_IJSG_SG_EEES6_PlJS6_EEE10hipError_tPvRmT3_T4_T5_T6_T7_T9_mT8_P12ihipStream_tbDpT10_ENKUlT_T0_E_clISt17integral_constantIbLb1EES1B_EEDaS16_S17_EUlS16_E_NS1_11comp_targetILNS1_3genE3ELNS1_11target_archE908ELNS1_3gpuE7ELNS1_3repE0EEENS1_30default_config_static_selectorELNS0_4arch9wavefront6targetE1EEEvT1_,comdat
.Lfunc_end3110:
	.size	_ZN7rocprim17ROCPRIM_400000_NS6detail17trampoline_kernelINS0_14default_configENS1_25partition_config_selectorILNS1_17partition_subalgoE1EtNS0_10empty_typeEbEEZZNS1_14partition_implILS5_1ELb0ES3_jN6thrust23THRUST_200600_302600_NS6detail15normal_iteratorINSA_10device_ptrItEEEEPS6_NSA_18transform_iteratorI7is_evenItESF_NSA_11use_defaultESK_EENS0_5tupleIJSF_NSA_16discard_iteratorISK_EEEEENSM_IJSG_SG_EEES6_PlJS6_EEE10hipError_tPvRmT3_T4_T5_T6_T7_T9_mT8_P12ihipStream_tbDpT10_ENKUlT_T0_E_clISt17integral_constantIbLb1EES1B_EEDaS16_S17_EUlS16_E_NS1_11comp_targetILNS1_3genE3ELNS1_11target_archE908ELNS1_3gpuE7ELNS1_3repE0EEENS1_30default_config_static_selectorELNS0_4arch9wavefront6targetE1EEEvT1_, .Lfunc_end3110-_ZN7rocprim17ROCPRIM_400000_NS6detail17trampoline_kernelINS0_14default_configENS1_25partition_config_selectorILNS1_17partition_subalgoE1EtNS0_10empty_typeEbEEZZNS1_14partition_implILS5_1ELb0ES3_jN6thrust23THRUST_200600_302600_NS6detail15normal_iteratorINSA_10device_ptrItEEEEPS6_NSA_18transform_iteratorI7is_evenItESF_NSA_11use_defaultESK_EENS0_5tupleIJSF_NSA_16discard_iteratorISK_EEEEENSM_IJSG_SG_EEES6_PlJS6_EEE10hipError_tPvRmT3_T4_T5_T6_T7_T9_mT8_P12ihipStream_tbDpT10_ENKUlT_T0_E_clISt17integral_constantIbLb1EES1B_EEDaS16_S17_EUlS16_E_NS1_11comp_targetILNS1_3genE3ELNS1_11target_archE908ELNS1_3gpuE7ELNS1_3repE0EEENS1_30default_config_static_selectorELNS0_4arch9wavefront6targetE1EEEvT1_
                                        ; -- End function
	.section	.AMDGPU.csdata,"",@progbits
; Kernel info:
; codeLenInByte = 0
; NumSgprs: 6
; NumVgprs: 0
; NumAgprs: 0
; TotalNumVgprs: 0
; ScratchSize: 0
; MemoryBound: 0
; FloatMode: 240
; IeeeMode: 1
; LDSByteSize: 0 bytes/workgroup (compile time only)
; SGPRBlocks: 0
; VGPRBlocks: 0
; NumSGPRsForWavesPerEU: 6
; NumVGPRsForWavesPerEU: 1
; AccumOffset: 4
; Occupancy: 8
; WaveLimiterHint : 0
; COMPUTE_PGM_RSRC2:SCRATCH_EN: 0
; COMPUTE_PGM_RSRC2:USER_SGPR: 2
; COMPUTE_PGM_RSRC2:TRAP_HANDLER: 0
; COMPUTE_PGM_RSRC2:TGID_X_EN: 1
; COMPUTE_PGM_RSRC2:TGID_Y_EN: 0
; COMPUTE_PGM_RSRC2:TGID_Z_EN: 0
; COMPUTE_PGM_RSRC2:TIDIG_COMP_CNT: 0
; COMPUTE_PGM_RSRC3_GFX90A:ACCUM_OFFSET: 0
; COMPUTE_PGM_RSRC3_GFX90A:TG_SPLIT: 0
	.section	.text._ZN7rocprim17ROCPRIM_400000_NS6detail17trampoline_kernelINS0_14default_configENS1_25partition_config_selectorILNS1_17partition_subalgoE1EtNS0_10empty_typeEbEEZZNS1_14partition_implILS5_1ELb0ES3_jN6thrust23THRUST_200600_302600_NS6detail15normal_iteratorINSA_10device_ptrItEEEEPS6_NSA_18transform_iteratorI7is_evenItESF_NSA_11use_defaultESK_EENS0_5tupleIJSF_NSA_16discard_iteratorISK_EEEEENSM_IJSG_SG_EEES6_PlJS6_EEE10hipError_tPvRmT3_T4_T5_T6_T7_T9_mT8_P12ihipStream_tbDpT10_ENKUlT_T0_E_clISt17integral_constantIbLb1EES1B_EEDaS16_S17_EUlS16_E_NS1_11comp_targetILNS1_3genE2ELNS1_11target_archE906ELNS1_3gpuE6ELNS1_3repE0EEENS1_30default_config_static_selectorELNS0_4arch9wavefront6targetE1EEEvT1_,"axG",@progbits,_ZN7rocprim17ROCPRIM_400000_NS6detail17trampoline_kernelINS0_14default_configENS1_25partition_config_selectorILNS1_17partition_subalgoE1EtNS0_10empty_typeEbEEZZNS1_14partition_implILS5_1ELb0ES3_jN6thrust23THRUST_200600_302600_NS6detail15normal_iteratorINSA_10device_ptrItEEEEPS6_NSA_18transform_iteratorI7is_evenItESF_NSA_11use_defaultESK_EENS0_5tupleIJSF_NSA_16discard_iteratorISK_EEEEENSM_IJSG_SG_EEES6_PlJS6_EEE10hipError_tPvRmT3_T4_T5_T6_T7_T9_mT8_P12ihipStream_tbDpT10_ENKUlT_T0_E_clISt17integral_constantIbLb1EES1B_EEDaS16_S17_EUlS16_E_NS1_11comp_targetILNS1_3genE2ELNS1_11target_archE906ELNS1_3gpuE6ELNS1_3repE0EEENS1_30default_config_static_selectorELNS0_4arch9wavefront6targetE1EEEvT1_,comdat
	.protected	_ZN7rocprim17ROCPRIM_400000_NS6detail17trampoline_kernelINS0_14default_configENS1_25partition_config_selectorILNS1_17partition_subalgoE1EtNS0_10empty_typeEbEEZZNS1_14partition_implILS5_1ELb0ES3_jN6thrust23THRUST_200600_302600_NS6detail15normal_iteratorINSA_10device_ptrItEEEEPS6_NSA_18transform_iteratorI7is_evenItESF_NSA_11use_defaultESK_EENS0_5tupleIJSF_NSA_16discard_iteratorISK_EEEEENSM_IJSG_SG_EEES6_PlJS6_EEE10hipError_tPvRmT3_T4_T5_T6_T7_T9_mT8_P12ihipStream_tbDpT10_ENKUlT_T0_E_clISt17integral_constantIbLb1EES1B_EEDaS16_S17_EUlS16_E_NS1_11comp_targetILNS1_3genE2ELNS1_11target_archE906ELNS1_3gpuE6ELNS1_3repE0EEENS1_30default_config_static_selectorELNS0_4arch9wavefront6targetE1EEEvT1_ ; -- Begin function _ZN7rocprim17ROCPRIM_400000_NS6detail17trampoline_kernelINS0_14default_configENS1_25partition_config_selectorILNS1_17partition_subalgoE1EtNS0_10empty_typeEbEEZZNS1_14partition_implILS5_1ELb0ES3_jN6thrust23THRUST_200600_302600_NS6detail15normal_iteratorINSA_10device_ptrItEEEEPS6_NSA_18transform_iteratorI7is_evenItESF_NSA_11use_defaultESK_EENS0_5tupleIJSF_NSA_16discard_iteratorISK_EEEEENSM_IJSG_SG_EEES6_PlJS6_EEE10hipError_tPvRmT3_T4_T5_T6_T7_T9_mT8_P12ihipStream_tbDpT10_ENKUlT_T0_E_clISt17integral_constantIbLb1EES1B_EEDaS16_S17_EUlS16_E_NS1_11comp_targetILNS1_3genE2ELNS1_11target_archE906ELNS1_3gpuE6ELNS1_3repE0EEENS1_30default_config_static_selectorELNS0_4arch9wavefront6targetE1EEEvT1_
	.globl	_ZN7rocprim17ROCPRIM_400000_NS6detail17trampoline_kernelINS0_14default_configENS1_25partition_config_selectorILNS1_17partition_subalgoE1EtNS0_10empty_typeEbEEZZNS1_14partition_implILS5_1ELb0ES3_jN6thrust23THRUST_200600_302600_NS6detail15normal_iteratorINSA_10device_ptrItEEEEPS6_NSA_18transform_iteratorI7is_evenItESF_NSA_11use_defaultESK_EENS0_5tupleIJSF_NSA_16discard_iteratorISK_EEEEENSM_IJSG_SG_EEES6_PlJS6_EEE10hipError_tPvRmT3_T4_T5_T6_T7_T9_mT8_P12ihipStream_tbDpT10_ENKUlT_T0_E_clISt17integral_constantIbLb1EES1B_EEDaS16_S17_EUlS16_E_NS1_11comp_targetILNS1_3genE2ELNS1_11target_archE906ELNS1_3gpuE6ELNS1_3repE0EEENS1_30default_config_static_selectorELNS0_4arch9wavefront6targetE1EEEvT1_
	.p2align	8
	.type	_ZN7rocprim17ROCPRIM_400000_NS6detail17trampoline_kernelINS0_14default_configENS1_25partition_config_selectorILNS1_17partition_subalgoE1EtNS0_10empty_typeEbEEZZNS1_14partition_implILS5_1ELb0ES3_jN6thrust23THRUST_200600_302600_NS6detail15normal_iteratorINSA_10device_ptrItEEEEPS6_NSA_18transform_iteratorI7is_evenItESF_NSA_11use_defaultESK_EENS0_5tupleIJSF_NSA_16discard_iteratorISK_EEEEENSM_IJSG_SG_EEES6_PlJS6_EEE10hipError_tPvRmT3_T4_T5_T6_T7_T9_mT8_P12ihipStream_tbDpT10_ENKUlT_T0_E_clISt17integral_constantIbLb1EES1B_EEDaS16_S17_EUlS16_E_NS1_11comp_targetILNS1_3genE2ELNS1_11target_archE906ELNS1_3gpuE6ELNS1_3repE0EEENS1_30default_config_static_selectorELNS0_4arch9wavefront6targetE1EEEvT1_,@function
_ZN7rocprim17ROCPRIM_400000_NS6detail17trampoline_kernelINS0_14default_configENS1_25partition_config_selectorILNS1_17partition_subalgoE1EtNS0_10empty_typeEbEEZZNS1_14partition_implILS5_1ELb0ES3_jN6thrust23THRUST_200600_302600_NS6detail15normal_iteratorINSA_10device_ptrItEEEEPS6_NSA_18transform_iteratorI7is_evenItESF_NSA_11use_defaultESK_EENS0_5tupleIJSF_NSA_16discard_iteratorISK_EEEEENSM_IJSG_SG_EEES6_PlJS6_EEE10hipError_tPvRmT3_T4_T5_T6_T7_T9_mT8_P12ihipStream_tbDpT10_ENKUlT_T0_E_clISt17integral_constantIbLb1EES1B_EEDaS16_S17_EUlS16_E_NS1_11comp_targetILNS1_3genE2ELNS1_11target_archE906ELNS1_3gpuE6ELNS1_3repE0EEENS1_30default_config_static_selectorELNS0_4arch9wavefront6targetE1EEEvT1_: ; @_ZN7rocprim17ROCPRIM_400000_NS6detail17trampoline_kernelINS0_14default_configENS1_25partition_config_selectorILNS1_17partition_subalgoE1EtNS0_10empty_typeEbEEZZNS1_14partition_implILS5_1ELb0ES3_jN6thrust23THRUST_200600_302600_NS6detail15normal_iteratorINSA_10device_ptrItEEEEPS6_NSA_18transform_iteratorI7is_evenItESF_NSA_11use_defaultESK_EENS0_5tupleIJSF_NSA_16discard_iteratorISK_EEEEENSM_IJSG_SG_EEES6_PlJS6_EEE10hipError_tPvRmT3_T4_T5_T6_T7_T9_mT8_P12ihipStream_tbDpT10_ENKUlT_T0_E_clISt17integral_constantIbLb1EES1B_EEDaS16_S17_EUlS16_E_NS1_11comp_targetILNS1_3genE2ELNS1_11target_archE906ELNS1_3gpuE6ELNS1_3repE0EEENS1_30default_config_static_selectorELNS0_4arch9wavefront6targetE1EEEvT1_
; %bb.0:
	.section	.rodata,"a",@progbits
	.p2align	6, 0x0
	.amdhsa_kernel _ZN7rocprim17ROCPRIM_400000_NS6detail17trampoline_kernelINS0_14default_configENS1_25partition_config_selectorILNS1_17partition_subalgoE1EtNS0_10empty_typeEbEEZZNS1_14partition_implILS5_1ELb0ES3_jN6thrust23THRUST_200600_302600_NS6detail15normal_iteratorINSA_10device_ptrItEEEEPS6_NSA_18transform_iteratorI7is_evenItESF_NSA_11use_defaultESK_EENS0_5tupleIJSF_NSA_16discard_iteratorISK_EEEEENSM_IJSG_SG_EEES6_PlJS6_EEE10hipError_tPvRmT3_T4_T5_T6_T7_T9_mT8_P12ihipStream_tbDpT10_ENKUlT_T0_E_clISt17integral_constantIbLb1EES1B_EEDaS16_S17_EUlS16_E_NS1_11comp_targetILNS1_3genE2ELNS1_11target_archE906ELNS1_3gpuE6ELNS1_3repE0EEENS1_30default_config_static_selectorELNS0_4arch9wavefront6targetE1EEEvT1_
		.amdhsa_group_segment_fixed_size 0
		.amdhsa_private_segment_fixed_size 0
		.amdhsa_kernarg_size 152
		.amdhsa_user_sgpr_count 2
		.amdhsa_user_sgpr_dispatch_ptr 0
		.amdhsa_user_sgpr_queue_ptr 0
		.amdhsa_user_sgpr_kernarg_segment_ptr 1
		.amdhsa_user_sgpr_dispatch_id 0
		.amdhsa_user_sgpr_kernarg_preload_length 0
		.amdhsa_user_sgpr_kernarg_preload_offset 0
		.amdhsa_user_sgpr_private_segment_size 0
		.amdhsa_uses_dynamic_stack 0
		.amdhsa_enable_private_segment 0
		.amdhsa_system_sgpr_workgroup_id_x 1
		.amdhsa_system_sgpr_workgroup_id_y 0
		.amdhsa_system_sgpr_workgroup_id_z 0
		.amdhsa_system_sgpr_workgroup_info 0
		.amdhsa_system_vgpr_workitem_id 0
		.amdhsa_next_free_vgpr 1
		.amdhsa_next_free_sgpr 0
		.amdhsa_accum_offset 4
		.amdhsa_reserve_vcc 0
		.amdhsa_float_round_mode_32 0
		.amdhsa_float_round_mode_16_64 0
		.amdhsa_float_denorm_mode_32 3
		.amdhsa_float_denorm_mode_16_64 3
		.amdhsa_dx10_clamp 1
		.amdhsa_ieee_mode 1
		.amdhsa_fp16_overflow 0
		.amdhsa_tg_split 0
		.amdhsa_exception_fp_ieee_invalid_op 0
		.amdhsa_exception_fp_denorm_src 0
		.amdhsa_exception_fp_ieee_div_zero 0
		.amdhsa_exception_fp_ieee_overflow 0
		.amdhsa_exception_fp_ieee_underflow 0
		.amdhsa_exception_fp_ieee_inexact 0
		.amdhsa_exception_int_div_zero 0
	.end_amdhsa_kernel
	.section	.text._ZN7rocprim17ROCPRIM_400000_NS6detail17trampoline_kernelINS0_14default_configENS1_25partition_config_selectorILNS1_17partition_subalgoE1EtNS0_10empty_typeEbEEZZNS1_14partition_implILS5_1ELb0ES3_jN6thrust23THRUST_200600_302600_NS6detail15normal_iteratorINSA_10device_ptrItEEEEPS6_NSA_18transform_iteratorI7is_evenItESF_NSA_11use_defaultESK_EENS0_5tupleIJSF_NSA_16discard_iteratorISK_EEEEENSM_IJSG_SG_EEES6_PlJS6_EEE10hipError_tPvRmT3_T4_T5_T6_T7_T9_mT8_P12ihipStream_tbDpT10_ENKUlT_T0_E_clISt17integral_constantIbLb1EES1B_EEDaS16_S17_EUlS16_E_NS1_11comp_targetILNS1_3genE2ELNS1_11target_archE906ELNS1_3gpuE6ELNS1_3repE0EEENS1_30default_config_static_selectorELNS0_4arch9wavefront6targetE1EEEvT1_,"axG",@progbits,_ZN7rocprim17ROCPRIM_400000_NS6detail17trampoline_kernelINS0_14default_configENS1_25partition_config_selectorILNS1_17partition_subalgoE1EtNS0_10empty_typeEbEEZZNS1_14partition_implILS5_1ELb0ES3_jN6thrust23THRUST_200600_302600_NS6detail15normal_iteratorINSA_10device_ptrItEEEEPS6_NSA_18transform_iteratorI7is_evenItESF_NSA_11use_defaultESK_EENS0_5tupleIJSF_NSA_16discard_iteratorISK_EEEEENSM_IJSG_SG_EEES6_PlJS6_EEE10hipError_tPvRmT3_T4_T5_T6_T7_T9_mT8_P12ihipStream_tbDpT10_ENKUlT_T0_E_clISt17integral_constantIbLb1EES1B_EEDaS16_S17_EUlS16_E_NS1_11comp_targetILNS1_3genE2ELNS1_11target_archE906ELNS1_3gpuE6ELNS1_3repE0EEENS1_30default_config_static_selectorELNS0_4arch9wavefront6targetE1EEEvT1_,comdat
.Lfunc_end3111:
	.size	_ZN7rocprim17ROCPRIM_400000_NS6detail17trampoline_kernelINS0_14default_configENS1_25partition_config_selectorILNS1_17partition_subalgoE1EtNS0_10empty_typeEbEEZZNS1_14partition_implILS5_1ELb0ES3_jN6thrust23THRUST_200600_302600_NS6detail15normal_iteratorINSA_10device_ptrItEEEEPS6_NSA_18transform_iteratorI7is_evenItESF_NSA_11use_defaultESK_EENS0_5tupleIJSF_NSA_16discard_iteratorISK_EEEEENSM_IJSG_SG_EEES6_PlJS6_EEE10hipError_tPvRmT3_T4_T5_T6_T7_T9_mT8_P12ihipStream_tbDpT10_ENKUlT_T0_E_clISt17integral_constantIbLb1EES1B_EEDaS16_S17_EUlS16_E_NS1_11comp_targetILNS1_3genE2ELNS1_11target_archE906ELNS1_3gpuE6ELNS1_3repE0EEENS1_30default_config_static_selectorELNS0_4arch9wavefront6targetE1EEEvT1_, .Lfunc_end3111-_ZN7rocprim17ROCPRIM_400000_NS6detail17trampoline_kernelINS0_14default_configENS1_25partition_config_selectorILNS1_17partition_subalgoE1EtNS0_10empty_typeEbEEZZNS1_14partition_implILS5_1ELb0ES3_jN6thrust23THRUST_200600_302600_NS6detail15normal_iteratorINSA_10device_ptrItEEEEPS6_NSA_18transform_iteratorI7is_evenItESF_NSA_11use_defaultESK_EENS0_5tupleIJSF_NSA_16discard_iteratorISK_EEEEENSM_IJSG_SG_EEES6_PlJS6_EEE10hipError_tPvRmT3_T4_T5_T6_T7_T9_mT8_P12ihipStream_tbDpT10_ENKUlT_T0_E_clISt17integral_constantIbLb1EES1B_EEDaS16_S17_EUlS16_E_NS1_11comp_targetILNS1_3genE2ELNS1_11target_archE906ELNS1_3gpuE6ELNS1_3repE0EEENS1_30default_config_static_selectorELNS0_4arch9wavefront6targetE1EEEvT1_
                                        ; -- End function
	.section	.AMDGPU.csdata,"",@progbits
; Kernel info:
; codeLenInByte = 0
; NumSgprs: 6
; NumVgprs: 0
; NumAgprs: 0
; TotalNumVgprs: 0
; ScratchSize: 0
; MemoryBound: 0
; FloatMode: 240
; IeeeMode: 1
; LDSByteSize: 0 bytes/workgroup (compile time only)
; SGPRBlocks: 0
; VGPRBlocks: 0
; NumSGPRsForWavesPerEU: 6
; NumVGPRsForWavesPerEU: 1
; AccumOffset: 4
; Occupancy: 8
; WaveLimiterHint : 0
; COMPUTE_PGM_RSRC2:SCRATCH_EN: 0
; COMPUTE_PGM_RSRC2:USER_SGPR: 2
; COMPUTE_PGM_RSRC2:TRAP_HANDLER: 0
; COMPUTE_PGM_RSRC2:TGID_X_EN: 1
; COMPUTE_PGM_RSRC2:TGID_Y_EN: 0
; COMPUTE_PGM_RSRC2:TGID_Z_EN: 0
; COMPUTE_PGM_RSRC2:TIDIG_COMP_CNT: 0
; COMPUTE_PGM_RSRC3_GFX90A:ACCUM_OFFSET: 0
; COMPUTE_PGM_RSRC3_GFX90A:TG_SPLIT: 0
	.section	.text._ZN7rocprim17ROCPRIM_400000_NS6detail17trampoline_kernelINS0_14default_configENS1_25partition_config_selectorILNS1_17partition_subalgoE1EtNS0_10empty_typeEbEEZZNS1_14partition_implILS5_1ELb0ES3_jN6thrust23THRUST_200600_302600_NS6detail15normal_iteratorINSA_10device_ptrItEEEEPS6_NSA_18transform_iteratorI7is_evenItESF_NSA_11use_defaultESK_EENS0_5tupleIJSF_NSA_16discard_iteratorISK_EEEEENSM_IJSG_SG_EEES6_PlJS6_EEE10hipError_tPvRmT3_T4_T5_T6_T7_T9_mT8_P12ihipStream_tbDpT10_ENKUlT_T0_E_clISt17integral_constantIbLb1EES1B_EEDaS16_S17_EUlS16_E_NS1_11comp_targetILNS1_3genE10ELNS1_11target_archE1200ELNS1_3gpuE4ELNS1_3repE0EEENS1_30default_config_static_selectorELNS0_4arch9wavefront6targetE1EEEvT1_,"axG",@progbits,_ZN7rocprim17ROCPRIM_400000_NS6detail17trampoline_kernelINS0_14default_configENS1_25partition_config_selectorILNS1_17partition_subalgoE1EtNS0_10empty_typeEbEEZZNS1_14partition_implILS5_1ELb0ES3_jN6thrust23THRUST_200600_302600_NS6detail15normal_iteratorINSA_10device_ptrItEEEEPS6_NSA_18transform_iteratorI7is_evenItESF_NSA_11use_defaultESK_EENS0_5tupleIJSF_NSA_16discard_iteratorISK_EEEEENSM_IJSG_SG_EEES6_PlJS6_EEE10hipError_tPvRmT3_T4_T5_T6_T7_T9_mT8_P12ihipStream_tbDpT10_ENKUlT_T0_E_clISt17integral_constantIbLb1EES1B_EEDaS16_S17_EUlS16_E_NS1_11comp_targetILNS1_3genE10ELNS1_11target_archE1200ELNS1_3gpuE4ELNS1_3repE0EEENS1_30default_config_static_selectorELNS0_4arch9wavefront6targetE1EEEvT1_,comdat
	.protected	_ZN7rocprim17ROCPRIM_400000_NS6detail17trampoline_kernelINS0_14default_configENS1_25partition_config_selectorILNS1_17partition_subalgoE1EtNS0_10empty_typeEbEEZZNS1_14partition_implILS5_1ELb0ES3_jN6thrust23THRUST_200600_302600_NS6detail15normal_iteratorINSA_10device_ptrItEEEEPS6_NSA_18transform_iteratorI7is_evenItESF_NSA_11use_defaultESK_EENS0_5tupleIJSF_NSA_16discard_iteratorISK_EEEEENSM_IJSG_SG_EEES6_PlJS6_EEE10hipError_tPvRmT3_T4_T5_T6_T7_T9_mT8_P12ihipStream_tbDpT10_ENKUlT_T0_E_clISt17integral_constantIbLb1EES1B_EEDaS16_S17_EUlS16_E_NS1_11comp_targetILNS1_3genE10ELNS1_11target_archE1200ELNS1_3gpuE4ELNS1_3repE0EEENS1_30default_config_static_selectorELNS0_4arch9wavefront6targetE1EEEvT1_ ; -- Begin function _ZN7rocprim17ROCPRIM_400000_NS6detail17trampoline_kernelINS0_14default_configENS1_25partition_config_selectorILNS1_17partition_subalgoE1EtNS0_10empty_typeEbEEZZNS1_14partition_implILS5_1ELb0ES3_jN6thrust23THRUST_200600_302600_NS6detail15normal_iteratorINSA_10device_ptrItEEEEPS6_NSA_18transform_iteratorI7is_evenItESF_NSA_11use_defaultESK_EENS0_5tupleIJSF_NSA_16discard_iteratorISK_EEEEENSM_IJSG_SG_EEES6_PlJS6_EEE10hipError_tPvRmT3_T4_T5_T6_T7_T9_mT8_P12ihipStream_tbDpT10_ENKUlT_T0_E_clISt17integral_constantIbLb1EES1B_EEDaS16_S17_EUlS16_E_NS1_11comp_targetILNS1_3genE10ELNS1_11target_archE1200ELNS1_3gpuE4ELNS1_3repE0EEENS1_30default_config_static_selectorELNS0_4arch9wavefront6targetE1EEEvT1_
	.globl	_ZN7rocprim17ROCPRIM_400000_NS6detail17trampoline_kernelINS0_14default_configENS1_25partition_config_selectorILNS1_17partition_subalgoE1EtNS0_10empty_typeEbEEZZNS1_14partition_implILS5_1ELb0ES3_jN6thrust23THRUST_200600_302600_NS6detail15normal_iteratorINSA_10device_ptrItEEEEPS6_NSA_18transform_iteratorI7is_evenItESF_NSA_11use_defaultESK_EENS0_5tupleIJSF_NSA_16discard_iteratorISK_EEEEENSM_IJSG_SG_EEES6_PlJS6_EEE10hipError_tPvRmT3_T4_T5_T6_T7_T9_mT8_P12ihipStream_tbDpT10_ENKUlT_T0_E_clISt17integral_constantIbLb1EES1B_EEDaS16_S17_EUlS16_E_NS1_11comp_targetILNS1_3genE10ELNS1_11target_archE1200ELNS1_3gpuE4ELNS1_3repE0EEENS1_30default_config_static_selectorELNS0_4arch9wavefront6targetE1EEEvT1_
	.p2align	8
	.type	_ZN7rocprim17ROCPRIM_400000_NS6detail17trampoline_kernelINS0_14default_configENS1_25partition_config_selectorILNS1_17partition_subalgoE1EtNS0_10empty_typeEbEEZZNS1_14partition_implILS5_1ELb0ES3_jN6thrust23THRUST_200600_302600_NS6detail15normal_iteratorINSA_10device_ptrItEEEEPS6_NSA_18transform_iteratorI7is_evenItESF_NSA_11use_defaultESK_EENS0_5tupleIJSF_NSA_16discard_iteratorISK_EEEEENSM_IJSG_SG_EEES6_PlJS6_EEE10hipError_tPvRmT3_T4_T5_T6_T7_T9_mT8_P12ihipStream_tbDpT10_ENKUlT_T0_E_clISt17integral_constantIbLb1EES1B_EEDaS16_S17_EUlS16_E_NS1_11comp_targetILNS1_3genE10ELNS1_11target_archE1200ELNS1_3gpuE4ELNS1_3repE0EEENS1_30default_config_static_selectorELNS0_4arch9wavefront6targetE1EEEvT1_,@function
_ZN7rocprim17ROCPRIM_400000_NS6detail17trampoline_kernelINS0_14default_configENS1_25partition_config_selectorILNS1_17partition_subalgoE1EtNS0_10empty_typeEbEEZZNS1_14partition_implILS5_1ELb0ES3_jN6thrust23THRUST_200600_302600_NS6detail15normal_iteratorINSA_10device_ptrItEEEEPS6_NSA_18transform_iteratorI7is_evenItESF_NSA_11use_defaultESK_EENS0_5tupleIJSF_NSA_16discard_iteratorISK_EEEEENSM_IJSG_SG_EEES6_PlJS6_EEE10hipError_tPvRmT3_T4_T5_T6_T7_T9_mT8_P12ihipStream_tbDpT10_ENKUlT_T0_E_clISt17integral_constantIbLb1EES1B_EEDaS16_S17_EUlS16_E_NS1_11comp_targetILNS1_3genE10ELNS1_11target_archE1200ELNS1_3gpuE4ELNS1_3repE0EEENS1_30default_config_static_selectorELNS0_4arch9wavefront6targetE1EEEvT1_: ; @_ZN7rocprim17ROCPRIM_400000_NS6detail17trampoline_kernelINS0_14default_configENS1_25partition_config_selectorILNS1_17partition_subalgoE1EtNS0_10empty_typeEbEEZZNS1_14partition_implILS5_1ELb0ES3_jN6thrust23THRUST_200600_302600_NS6detail15normal_iteratorINSA_10device_ptrItEEEEPS6_NSA_18transform_iteratorI7is_evenItESF_NSA_11use_defaultESK_EENS0_5tupleIJSF_NSA_16discard_iteratorISK_EEEEENSM_IJSG_SG_EEES6_PlJS6_EEE10hipError_tPvRmT3_T4_T5_T6_T7_T9_mT8_P12ihipStream_tbDpT10_ENKUlT_T0_E_clISt17integral_constantIbLb1EES1B_EEDaS16_S17_EUlS16_E_NS1_11comp_targetILNS1_3genE10ELNS1_11target_archE1200ELNS1_3gpuE4ELNS1_3repE0EEENS1_30default_config_static_selectorELNS0_4arch9wavefront6targetE1EEEvT1_
; %bb.0:
	.section	.rodata,"a",@progbits
	.p2align	6, 0x0
	.amdhsa_kernel _ZN7rocprim17ROCPRIM_400000_NS6detail17trampoline_kernelINS0_14default_configENS1_25partition_config_selectorILNS1_17partition_subalgoE1EtNS0_10empty_typeEbEEZZNS1_14partition_implILS5_1ELb0ES3_jN6thrust23THRUST_200600_302600_NS6detail15normal_iteratorINSA_10device_ptrItEEEEPS6_NSA_18transform_iteratorI7is_evenItESF_NSA_11use_defaultESK_EENS0_5tupleIJSF_NSA_16discard_iteratorISK_EEEEENSM_IJSG_SG_EEES6_PlJS6_EEE10hipError_tPvRmT3_T4_T5_T6_T7_T9_mT8_P12ihipStream_tbDpT10_ENKUlT_T0_E_clISt17integral_constantIbLb1EES1B_EEDaS16_S17_EUlS16_E_NS1_11comp_targetILNS1_3genE10ELNS1_11target_archE1200ELNS1_3gpuE4ELNS1_3repE0EEENS1_30default_config_static_selectorELNS0_4arch9wavefront6targetE1EEEvT1_
		.amdhsa_group_segment_fixed_size 0
		.amdhsa_private_segment_fixed_size 0
		.amdhsa_kernarg_size 152
		.amdhsa_user_sgpr_count 2
		.amdhsa_user_sgpr_dispatch_ptr 0
		.amdhsa_user_sgpr_queue_ptr 0
		.amdhsa_user_sgpr_kernarg_segment_ptr 1
		.amdhsa_user_sgpr_dispatch_id 0
		.amdhsa_user_sgpr_kernarg_preload_length 0
		.amdhsa_user_sgpr_kernarg_preload_offset 0
		.amdhsa_user_sgpr_private_segment_size 0
		.amdhsa_uses_dynamic_stack 0
		.amdhsa_enable_private_segment 0
		.amdhsa_system_sgpr_workgroup_id_x 1
		.amdhsa_system_sgpr_workgroup_id_y 0
		.amdhsa_system_sgpr_workgroup_id_z 0
		.amdhsa_system_sgpr_workgroup_info 0
		.amdhsa_system_vgpr_workitem_id 0
		.amdhsa_next_free_vgpr 1
		.amdhsa_next_free_sgpr 0
		.amdhsa_accum_offset 4
		.amdhsa_reserve_vcc 0
		.amdhsa_float_round_mode_32 0
		.amdhsa_float_round_mode_16_64 0
		.amdhsa_float_denorm_mode_32 3
		.amdhsa_float_denorm_mode_16_64 3
		.amdhsa_dx10_clamp 1
		.amdhsa_ieee_mode 1
		.amdhsa_fp16_overflow 0
		.amdhsa_tg_split 0
		.amdhsa_exception_fp_ieee_invalid_op 0
		.amdhsa_exception_fp_denorm_src 0
		.amdhsa_exception_fp_ieee_div_zero 0
		.amdhsa_exception_fp_ieee_overflow 0
		.amdhsa_exception_fp_ieee_underflow 0
		.amdhsa_exception_fp_ieee_inexact 0
		.amdhsa_exception_int_div_zero 0
	.end_amdhsa_kernel
	.section	.text._ZN7rocprim17ROCPRIM_400000_NS6detail17trampoline_kernelINS0_14default_configENS1_25partition_config_selectorILNS1_17partition_subalgoE1EtNS0_10empty_typeEbEEZZNS1_14partition_implILS5_1ELb0ES3_jN6thrust23THRUST_200600_302600_NS6detail15normal_iteratorINSA_10device_ptrItEEEEPS6_NSA_18transform_iteratorI7is_evenItESF_NSA_11use_defaultESK_EENS0_5tupleIJSF_NSA_16discard_iteratorISK_EEEEENSM_IJSG_SG_EEES6_PlJS6_EEE10hipError_tPvRmT3_T4_T5_T6_T7_T9_mT8_P12ihipStream_tbDpT10_ENKUlT_T0_E_clISt17integral_constantIbLb1EES1B_EEDaS16_S17_EUlS16_E_NS1_11comp_targetILNS1_3genE10ELNS1_11target_archE1200ELNS1_3gpuE4ELNS1_3repE0EEENS1_30default_config_static_selectorELNS0_4arch9wavefront6targetE1EEEvT1_,"axG",@progbits,_ZN7rocprim17ROCPRIM_400000_NS6detail17trampoline_kernelINS0_14default_configENS1_25partition_config_selectorILNS1_17partition_subalgoE1EtNS0_10empty_typeEbEEZZNS1_14partition_implILS5_1ELb0ES3_jN6thrust23THRUST_200600_302600_NS6detail15normal_iteratorINSA_10device_ptrItEEEEPS6_NSA_18transform_iteratorI7is_evenItESF_NSA_11use_defaultESK_EENS0_5tupleIJSF_NSA_16discard_iteratorISK_EEEEENSM_IJSG_SG_EEES6_PlJS6_EEE10hipError_tPvRmT3_T4_T5_T6_T7_T9_mT8_P12ihipStream_tbDpT10_ENKUlT_T0_E_clISt17integral_constantIbLb1EES1B_EEDaS16_S17_EUlS16_E_NS1_11comp_targetILNS1_3genE10ELNS1_11target_archE1200ELNS1_3gpuE4ELNS1_3repE0EEENS1_30default_config_static_selectorELNS0_4arch9wavefront6targetE1EEEvT1_,comdat
.Lfunc_end3112:
	.size	_ZN7rocprim17ROCPRIM_400000_NS6detail17trampoline_kernelINS0_14default_configENS1_25partition_config_selectorILNS1_17partition_subalgoE1EtNS0_10empty_typeEbEEZZNS1_14partition_implILS5_1ELb0ES3_jN6thrust23THRUST_200600_302600_NS6detail15normal_iteratorINSA_10device_ptrItEEEEPS6_NSA_18transform_iteratorI7is_evenItESF_NSA_11use_defaultESK_EENS0_5tupleIJSF_NSA_16discard_iteratorISK_EEEEENSM_IJSG_SG_EEES6_PlJS6_EEE10hipError_tPvRmT3_T4_T5_T6_T7_T9_mT8_P12ihipStream_tbDpT10_ENKUlT_T0_E_clISt17integral_constantIbLb1EES1B_EEDaS16_S17_EUlS16_E_NS1_11comp_targetILNS1_3genE10ELNS1_11target_archE1200ELNS1_3gpuE4ELNS1_3repE0EEENS1_30default_config_static_selectorELNS0_4arch9wavefront6targetE1EEEvT1_, .Lfunc_end3112-_ZN7rocprim17ROCPRIM_400000_NS6detail17trampoline_kernelINS0_14default_configENS1_25partition_config_selectorILNS1_17partition_subalgoE1EtNS0_10empty_typeEbEEZZNS1_14partition_implILS5_1ELb0ES3_jN6thrust23THRUST_200600_302600_NS6detail15normal_iteratorINSA_10device_ptrItEEEEPS6_NSA_18transform_iteratorI7is_evenItESF_NSA_11use_defaultESK_EENS0_5tupleIJSF_NSA_16discard_iteratorISK_EEEEENSM_IJSG_SG_EEES6_PlJS6_EEE10hipError_tPvRmT3_T4_T5_T6_T7_T9_mT8_P12ihipStream_tbDpT10_ENKUlT_T0_E_clISt17integral_constantIbLb1EES1B_EEDaS16_S17_EUlS16_E_NS1_11comp_targetILNS1_3genE10ELNS1_11target_archE1200ELNS1_3gpuE4ELNS1_3repE0EEENS1_30default_config_static_selectorELNS0_4arch9wavefront6targetE1EEEvT1_
                                        ; -- End function
	.section	.AMDGPU.csdata,"",@progbits
; Kernel info:
; codeLenInByte = 0
; NumSgprs: 6
; NumVgprs: 0
; NumAgprs: 0
; TotalNumVgprs: 0
; ScratchSize: 0
; MemoryBound: 0
; FloatMode: 240
; IeeeMode: 1
; LDSByteSize: 0 bytes/workgroup (compile time only)
; SGPRBlocks: 0
; VGPRBlocks: 0
; NumSGPRsForWavesPerEU: 6
; NumVGPRsForWavesPerEU: 1
; AccumOffset: 4
; Occupancy: 8
; WaveLimiterHint : 0
; COMPUTE_PGM_RSRC2:SCRATCH_EN: 0
; COMPUTE_PGM_RSRC2:USER_SGPR: 2
; COMPUTE_PGM_RSRC2:TRAP_HANDLER: 0
; COMPUTE_PGM_RSRC2:TGID_X_EN: 1
; COMPUTE_PGM_RSRC2:TGID_Y_EN: 0
; COMPUTE_PGM_RSRC2:TGID_Z_EN: 0
; COMPUTE_PGM_RSRC2:TIDIG_COMP_CNT: 0
; COMPUTE_PGM_RSRC3_GFX90A:ACCUM_OFFSET: 0
; COMPUTE_PGM_RSRC3_GFX90A:TG_SPLIT: 0
	.section	.text._ZN7rocprim17ROCPRIM_400000_NS6detail17trampoline_kernelINS0_14default_configENS1_25partition_config_selectorILNS1_17partition_subalgoE1EtNS0_10empty_typeEbEEZZNS1_14partition_implILS5_1ELb0ES3_jN6thrust23THRUST_200600_302600_NS6detail15normal_iteratorINSA_10device_ptrItEEEEPS6_NSA_18transform_iteratorI7is_evenItESF_NSA_11use_defaultESK_EENS0_5tupleIJSF_NSA_16discard_iteratorISK_EEEEENSM_IJSG_SG_EEES6_PlJS6_EEE10hipError_tPvRmT3_T4_T5_T6_T7_T9_mT8_P12ihipStream_tbDpT10_ENKUlT_T0_E_clISt17integral_constantIbLb1EES1B_EEDaS16_S17_EUlS16_E_NS1_11comp_targetILNS1_3genE9ELNS1_11target_archE1100ELNS1_3gpuE3ELNS1_3repE0EEENS1_30default_config_static_selectorELNS0_4arch9wavefront6targetE1EEEvT1_,"axG",@progbits,_ZN7rocprim17ROCPRIM_400000_NS6detail17trampoline_kernelINS0_14default_configENS1_25partition_config_selectorILNS1_17partition_subalgoE1EtNS0_10empty_typeEbEEZZNS1_14partition_implILS5_1ELb0ES3_jN6thrust23THRUST_200600_302600_NS6detail15normal_iteratorINSA_10device_ptrItEEEEPS6_NSA_18transform_iteratorI7is_evenItESF_NSA_11use_defaultESK_EENS0_5tupleIJSF_NSA_16discard_iteratorISK_EEEEENSM_IJSG_SG_EEES6_PlJS6_EEE10hipError_tPvRmT3_T4_T5_T6_T7_T9_mT8_P12ihipStream_tbDpT10_ENKUlT_T0_E_clISt17integral_constantIbLb1EES1B_EEDaS16_S17_EUlS16_E_NS1_11comp_targetILNS1_3genE9ELNS1_11target_archE1100ELNS1_3gpuE3ELNS1_3repE0EEENS1_30default_config_static_selectorELNS0_4arch9wavefront6targetE1EEEvT1_,comdat
	.protected	_ZN7rocprim17ROCPRIM_400000_NS6detail17trampoline_kernelINS0_14default_configENS1_25partition_config_selectorILNS1_17partition_subalgoE1EtNS0_10empty_typeEbEEZZNS1_14partition_implILS5_1ELb0ES3_jN6thrust23THRUST_200600_302600_NS6detail15normal_iteratorINSA_10device_ptrItEEEEPS6_NSA_18transform_iteratorI7is_evenItESF_NSA_11use_defaultESK_EENS0_5tupleIJSF_NSA_16discard_iteratorISK_EEEEENSM_IJSG_SG_EEES6_PlJS6_EEE10hipError_tPvRmT3_T4_T5_T6_T7_T9_mT8_P12ihipStream_tbDpT10_ENKUlT_T0_E_clISt17integral_constantIbLb1EES1B_EEDaS16_S17_EUlS16_E_NS1_11comp_targetILNS1_3genE9ELNS1_11target_archE1100ELNS1_3gpuE3ELNS1_3repE0EEENS1_30default_config_static_selectorELNS0_4arch9wavefront6targetE1EEEvT1_ ; -- Begin function _ZN7rocprim17ROCPRIM_400000_NS6detail17trampoline_kernelINS0_14default_configENS1_25partition_config_selectorILNS1_17partition_subalgoE1EtNS0_10empty_typeEbEEZZNS1_14partition_implILS5_1ELb0ES3_jN6thrust23THRUST_200600_302600_NS6detail15normal_iteratorINSA_10device_ptrItEEEEPS6_NSA_18transform_iteratorI7is_evenItESF_NSA_11use_defaultESK_EENS0_5tupleIJSF_NSA_16discard_iteratorISK_EEEEENSM_IJSG_SG_EEES6_PlJS6_EEE10hipError_tPvRmT3_T4_T5_T6_T7_T9_mT8_P12ihipStream_tbDpT10_ENKUlT_T0_E_clISt17integral_constantIbLb1EES1B_EEDaS16_S17_EUlS16_E_NS1_11comp_targetILNS1_3genE9ELNS1_11target_archE1100ELNS1_3gpuE3ELNS1_3repE0EEENS1_30default_config_static_selectorELNS0_4arch9wavefront6targetE1EEEvT1_
	.globl	_ZN7rocprim17ROCPRIM_400000_NS6detail17trampoline_kernelINS0_14default_configENS1_25partition_config_selectorILNS1_17partition_subalgoE1EtNS0_10empty_typeEbEEZZNS1_14partition_implILS5_1ELb0ES3_jN6thrust23THRUST_200600_302600_NS6detail15normal_iteratorINSA_10device_ptrItEEEEPS6_NSA_18transform_iteratorI7is_evenItESF_NSA_11use_defaultESK_EENS0_5tupleIJSF_NSA_16discard_iteratorISK_EEEEENSM_IJSG_SG_EEES6_PlJS6_EEE10hipError_tPvRmT3_T4_T5_T6_T7_T9_mT8_P12ihipStream_tbDpT10_ENKUlT_T0_E_clISt17integral_constantIbLb1EES1B_EEDaS16_S17_EUlS16_E_NS1_11comp_targetILNS1_3genE9ELNS1_11target_archE1100ELNS1_3gpuE3ELNS1_3repE0EEENS1_30default_config_static_selectorELNS0_4arch9wavefront6targetE1EEEvT1_
	.p2align	8
	.type	_ZN7rocprim17ROCPRIM_400000_NS6detail17trampoline_kernelINS0_14default_configENS1_25partition_config_selectorILNS1_17partition_subalgoE1EtNS0_10empty_typeEbEEZZNS1_14partition_implILS5_1ELb0ES3_jN6thrust23THRUST_200600_302600_NS6detail15normal_iteratorINSA_10device_ptrItEEEEPS6_NSA_18transform_iteratorI7is_evenItESF_NSA_11use_defaultESK_EENS0_5tupleIJSF_NSA_16discard_iteratorISK_EEEEENSM_IJSG_SG_EEES6_PlJS6_EEE10hipError_tPvRmT3_T4_T5_T6_T7_T9_mT8_P12ihipStream_tbDpT10_ENKUlT_T0_E_clISt17integral_constantIbLb1EES1B_EEDaS16_S17_EUlS16_E_NS1_11comp_targetILNS1_3genE9ELNS1_11target_archE1100ELNS1_3gpuE3ELNS1_3repE0EEENS1_30default_config_static_selectorELNS0_4arch9wavefront6targetE1EEEvT1_,@function
_ZN7rocprim17ROCPRIM_400000_NS6detail17trampoline_kernelINS0_14default_configENS1_25partition_config_selectorILNS1_17partition_subalgoE1EtNS0_10empty_typeEbEEZZNS1_14partition_implILS5_1ELb0ES3_jN6thrust23THRUST_200600_302600_NS6detail15normal_iteratorINSA_10device_ptrItEEEEPS6_NSA_18transform_iteratorI7is_evenItESF_NSA_11use_defaultESK_EENS0_5tupleIJSF_NSA_16discard_iteratorISK_EEEEENSM_IJSG_SG_EEES6_PlJS6_EEE10hipError_tPvRmT3_T4_T5_T6_T7_T9_mT8_P12ihipStream_tbDpT10_ENKUlT_T0_E_clISt17integral_constantIbLb1EES1B_EEDaS16_S17_EUlS16_E_NS1_11comp_targetILNS1_3genE9ELNS1_11target_archE1100ELNS1_3gpuE3ELNS1_3repE0EEENS1_30default_config_static_selectorELNS0_4arch9wavefront6targetE1EEEvT1_: ; @_ZN7rocprim17ROCPRIM_400000_NS6detail17trampoline_kernelINS0_14default_configENS1_25partition_config_selectorILNS1_17partition_subalgoE1EtNS0_10empty_typeEbEEZZNS1_14partition_implILS5_1ELb0ES3_jN6thrust23THRUST_200600_302600_NS6detail15normal_iteratorINSA_10device_ptrItEEEEPS6_NSA_18transform_iteratorI7is_evenItESF_NSA_11use_defaultESK_EENS0_5tupleIJSF_NSA_16discard_iteratorISK_EEEEENSM_IJSG_SG_EEES6_PlJS6_EEE10hipError_tPvRmT3_T4_T5_T6_T7_T9_mT8_P12ihipStream_tbDpT10_ENKUlT_T0_E_clISt17integral_constantIbLb1EES1B_EEDaS16_S17_EUlS16_E_NS1_11comp_targetILNS1_3genE9ELNS1_11target_archE1100ELNS1_3gpuE3ELNS1_3repE0EEENS1_30default_config_static_selectorELNS0_4arch9wavefront6targetE1EEEvT1_
; %bb.0:
	.section	.rodata,"a",@progbits
	.p2align	6, 0x0
	.amdhsa_kernel _ZN7rocprim17ROCPRIM_400000_NS6detail17trampoline_kernelINS0_14default_configENS1_25partition_config_selectorILNS1_17partition_subalgoE1EtNS0_10empty_typeEbEEZZNS1_14partition_implILS5_1ELb0ES3_jN6thrust23THRUST_200600_302600_NS6detail15normal_iteratorINSA_10device_ptrItEEEEPS6_NSA_18transform_iteratorI7is_evenItESF_NSA_11use_defaultESK_EENS0_5tupleIJSF_NSA_16discard_iteratorISK_EEEEENSM_IJSG_SG_EEES6_PlJS6_EEE10hipError_tPvRmT3_T4_T5_T6_T7_T9_mT8_P12ihipStream_tbDpT10_ENKUlT_T0_E_clISt17integral_constantIbLb1EES1B_EEDaS16_S17_EUlS16_E_NS1_11comp_targetILNS1_3genE9ELNS1_11target_archE1100ELNS1_3gpuE3ELNS1_3repE0EEENS1_30default_config_static_selectorELNS0_4arch9wavefront6targetE1EEEvT1_
		.amdhsa_group_segment_fixed_size 0
		.amdhsa_private_segment_fixed_size 0
		.amdhsa_kernarg_size 152
		.amdhsa_user_sgpr_count 2
		.amdhsa_user_sgpr_dispatch_ptr 0
		.amdhsa_user_sgpr_queue_ptr 0
		.amdhsa_user_sgpr_kernarg_segment_ptr 1
		.amdhsa_user_sgpr_dispatch_id 0
		.amdhsa_user_sgpr_kernarg_preload_length 0
		.amdhsa_user_sgpr_kernarg_preload_offset 0
		.amdhsa_user_sgpr_private_segment_size 0
		.amdhsa_uses_dynamic_stack 0
		.amdhsa_enable_private_segment 0
		.amdhsa_system_sgpr_workgroup_id_x 1
		.amdhsa_system_sgpr_workgroup_id_y 0
		.amdhsa_system_sgpr_workgroup_id_z 0
		.amdhsa_system_sgpr_workgroup_info 0
		.amdhsa_system_vgpr_workitem_id 0
		.amdhsa_next_free_vgpr 1
		.amdhsa_next_free_sgpr 0
		.amdhsa_accum_offset 4
		.amdhsa_reserve_vcc 0
		.amdhsa_float_round_mode_32 0
		.amdhsa_float_round_mode_16_64 0
		.amdhsa_float_denorm_mode_32 3
		.amdhsa_float_denorm_mode_16_64 3
		.amdhsa_dx10_clamp 1
		.amdhsa_ieee_mode 1
		.amdhsa_fp16_overflow 0
		.amdhsa_tg_split 0
		.amdhsa_exception_fp_ieee_invalid_op 0
		.amdhsa_exception_fp_denorm_src 0
		.amdhsa_exception_fp_ieee_div_zero 0
		.amdhsa_exception_fp_ieee_overflow 0
		.amdhsa_exception_fp_ieee_underflow 0
		.amdhsa_exception_fp_ieee_inexact 0
		.amdhsa_exception_int_div_zero 0
	.end_amdhsa_kernel
	.section	.text._ZN7rocprim17ROCPRIM_400000_NS6detail17trampoline_kernelINS0_14default_configENS1_25partition_config_selectorILNS1_17partition_subalgoE1EtNS0_10empty_typeEbEEZZNS1_14partition_implILS5_1ELb0ES3_jN6thrust23THRUST_200600_302600_NS6detail15normal_iteratorINSA_10device_ptrItEEEEPS6_NSA_18transform_iteratorI7is_evenItESF_NSA_11use_defaultESK_EENS0_5tupleIJSF_NSA_16discard_iteratorISK_EEEEENSM_IJSG_SG_EEES6_PlJS6_EEE10hipError_tPvRmT3_T4_T5_T6_T7_T9_mT8_P12ihipStream_tbDpT10_ENKUlT_T0_E_clISt17integral_constantIbLb1EES1B_EEDaS16_S17_EUlS16_E_NS1_11comp_targetILNS1_3genE9ELNS1_11target_archE1100ELNS1_3gpuE3ELNS1_3repE0EEENS1_30default_config_static_selectorELNS0_4arch9wavefront6targetE1EEEvT1_,"axG",@progbits,_ZN7rocprim17ROCPRIM_400000_NS6detail17trampoline_kernelINS0_14default_configENS1_25partition_config_selectorILNS1_17partition_subalgoE1EtNS0_10empty_typeEbEEZZNS1_14partition_implILS5_1ELb0ES3_jN6thrust23THRUST_200600_302600_NS6detail15normal_iteratorINSA_10device_ptrItEEEEPS6_NSA_18transform_iteratorI7is_evenItESF_NSA_11use_defaultESK_EENS0_5tupleIJSF_NSA_16discard_iteratorISK_EEEEENSM_IJSG_SG_EEES6_PlJS6_EEE10hipError_tPvRmT3_T4_T5_T6_T7_T9_mT8_P12ihipStream_tbDpT10_ENKUlT_T0_E_clISt17integral_constantIbLb1EES1B_EEDaS16_S17_EUlS16_E_NS1_11comp_targetILNS1_3genE9ELNS1_11target_archE1100ELNS1_3gpuE3ELNS1_3repE0EEENS1_30default_config_static_selectorELNS0_4arch9wavefront6targetE1EEEvT1_,comdat
.Lfunc_end3113:
	.size	_ZN7rocprim17ROCPRIM_400000_NS6detail17trampoline_kernelINS0_14default_configENS1_25partition_config_selectorILNS1_17partition_subalgoE1EtNS0_10empty_typeEbEEZZNS1_14partition_implILS5_1ELb0ES3_jN6thrust23THRUST_200600_302600_NS6detail15normal_iteratorINSA_10device_ptrItEEEEPS6_NSA_18transform_iteratorI7is_evenItESF_NSA_11use_defaultESK_EENS0_5tupleIJSF_NSA_16discard_iteratorISK_EEEEENSM_IJSG_SG_EEES6_PlJS6_EEE10hipError_tPvRmT3_T4_T5_T6_T7_T9_mT8_P12ihipStream_tbDpT10_ENKUlT_T0_E_clISt17integral_constantIbLb1EES1B_EEDaS16_S17_EUlS16_E_NS1_11comp_targetILNS1_3genE9ELNS1_11target_archE1100ELNS1_3gpuE3ELNS1_3repE0EEENS1_30default_config_static_selectorELNS0_4arch9wavefront6targetE1EEEvT1_, .Lfunc_end3113-_ZN7rocprim17ROCPRIM_400000_NS6detail17trampoline_kernelINS0_14default_configENS1_25partition_config_selectorILNS1_17partition_subalgoE1EtNS0_10empty_typeEbEEZZNS1_14partition_implILS5_1ELb0ES3_jN6thrust23THRUST_200600_302600_NS6detail15normal_iteratorINSA_10device_ptrItEEEEPS6_NSA_18transform_iteratorI7is_evenItESF_NSA_11use_defaultESK_EENS0_5tupleIJSF_NSA_16discard_iteratorISK_EEEEENSM_IJSG_SG_EEES6_PlJS6_EEE10hipError_tPvRmT3_T4_T5_T6_T7_T9_mT8_P12ihipStream_tbDpT10_ENKUlT_T0_E_clISt17integral_constantIbLb1EES1B_EEDaS16_S17_EUlS16_E_NS1_11comp_targetILNS1_3genE9ELNS1_11target_archE1100ELNS1_3gpuE3ELNS1_3repE0EEENS1_30default_config_static_selectorELNS0_4arch9wavefront6targetE1EEEvT1_
                                        ; -- End function
	.section	.AMDGPU.csdata,"",@progbits
; Kernel info:
; codeLenInByte = 0
; NumSgprs: 6
; NumVgprs: 0
; NumAgprs: 0
; TotalNumVgprs: 0
; ScratchSize: 0
; MemoryBound: 0
; FloatMode: 240
; IeeeMode: 1
; LDSByteSize: 0 bytes/workgroup (compile time only)
; SGPRBlocks: 0
; VGPRBlocks: 0
; NumSGPRsForWavesPerEU: 6
; NumVGPRsForWavesPerEU: 1
; AccumOffset: 4
; Occupancy: 8
; WaveLimiterHint : 0
; COMPUTE_PGM_RSRC2:SCRATCH_EN: 0
; COMPUTE_PGM_RSRC2:USER_SGPR: 2
; COMPUTE_PGM_RSRC2:TRAP_HANDLER: 0
; COMPUTE_PGM_RSRC2:TGID_X_EN: 1
; COMPUTE_PGM_RSRC2:TGID_Y_EN: 0
; COMPUTE_PGM_RSRC2:TGID_Z_EN: 0
; COMPUTE_PGM_RSRC2:TIDIG_COMP_CNT: 0
; COMPUTE_PGM_RSRC3_GFX90A:ACCUM_OFFSET: 0
; COMPUTE_PGM_RSRC3_GFX90A:TG_SPLIT: 0
	.section	.text._ZN7rocprim17ROCPRIM_400000_NS6detail17trampoline_kernelINS0_14default_configENS1_25partition_config_selectorILNS1_17partition_subalgoE1EtNS0_10empty_typeEbEEZZNS1_14partition_implILS5_1ELb0ES3_jN6thrust23THRUST_200600_302600_NS6detail15normal_iteratorINSA_10device_ptrItEEEEPS6_NSA_18transform_iteratorI7is_evenItESF_NSA_11use_defaultESK_EENS0_5tupleIJSF_NSA_16discard_iteratorISK_EEEEENSM_IJSG_SG_EEES6_PlJS6_EEE10hipError_tPvRmT3_T4_T5_T6_T7_T9_mT8_P12ihipStream_tbDpT10_ENKUlT_T0_E_clISt17integral_constantIbLb1EES1B_EEDaS16_S17_EUlS16_E_NS1_11comp_targetILNS1_3genE8ELNS1_11target_archE1030ELNS1_3gpuE2ELNS1_3repE0EEENS1_30default_config_static_selectorELNS0_4arch9wavefront6targetE1EEEvT1_,"axG",@progbits,_ZN7rocprim17ROCPRIM_400000_NS6detail17trampoline_kernelINS0_14default_configENS1_25partition_config_selectorILNS1_17partition_subalgoE1EtNS0_10empty_typeEbEEZZNS1_14partition_implILS5_1ELb0ES3_jN6thrust23THRUST_200600_302600_NS6detail15normal_iteratorINSA_10device_ptrItEEEEPS6_NSA_18transform_iteratorI7is_evenItESF_NSA_11use_defaultESK_EENS0_5tupleIJSF_NSA_16discard_iteratorISK_EEEEENSM_IJSG_SG_EEES6_PlJS6_EEE10hipError_tPvRmT3_T4_T5_T6_T7_T9_mT8_P12ihipStream_tbDpT10_ENKUlT_T0_E_clISt17integral_constantIbLb1EES1B_EEDaS16_S17_EUlS16_E_NS1_11comp_targetILNS1_3genE8ELNS1_11target_archE1030ELNS1_3gpuE2ELNS1_3repE0EEENS1_30default_config_static_selectorELNS0_4arch9wavefront6targetE1EEEvT1_,comdat
	.protected	_ZN7rocprim17ROCPRIM_400000_NS6detail17trampoline_kernelINS0_14default_configENS1_25partition_config_selectorILNS1_17partition_subalgoE1EtNS0_10empty_typeEbEEZZNS1_14partition_implILS5_1ELb0ES3_jN6thrust23THRUST_200600_302600_NS6detail15normal_iteratorINSA_10device_ptrItEEEEPS6_NSA_18transform_iteratorI7is_evenItESF_NSA_11use_defaultESK_EENS0_5tupleIJSF_NSA_16discard_iteratorISK_EEEEENSM_IJSG_SG_EEES6_PlJS6_EEE10hipError_tPvRmT3_T4_T5_T6_T7_T9_mT8_P12ihipStream_tbDpT10_ENKUlT_T0_E_clISt17integral_constantIbLb1EES1B_EEDaS16_S17_EUlS16_E_NS1_11comp_targetILNS1_3genE8ELNS1_11target_archE1030ELNS1_3gpuE2ELNS1_3repE0EEENS1_30default_config_static_selectorELNS0_4arch9wavefront6targetE1EEEvT1_ ; -- Begin function _ZN7rocprim17ROCPRIM_400000_NS6detail17trampoline_kernelINS0_14default_configENS1_25partition_config_selectorILNS1_17partition_subalgoE1EtNS0_10empty_typeEbEEZZNS1_14partition_implILS5_1ELb0ES3_jN6thrust23THRUST_200600_302600_NS6detail15normal_iteratorINSA_10device_ptrItEEEEPS6_NSA_18transform_iteratorI7is_evenItESF_NSA_11use_defaultESK_EENS0_5tupleIJSF_NSA_16discard_iteratorISK_EEEEENSM_IJSG_SG_EEES6_PlJS6_EEE10hipError_tPvRmT3_T4_T5_T6_T7_T9_mT8_P12ihipStream_tbDpT10_ENKUlT_T0_E_clISt17integral_constantIbLb1EES1B_EEDaS16_S17_EUlS16_E_NS1_11comp_targetILNS1_3genE8ELNS1_11target_archE1030ELNS1_3gpuE2ELNS1_3repE0EEENS1_30default_config_static_selectorELNS0_4arch9wavefront6targetE1EEEvT1_
	.globl	_ZN7rocprim17ROCPRIM_400000_NS6detail17trampoline_kernelINS0_14default_configENS1_25partition_config_selectorILNS1_17partition_subalgoE1EtNS0_10empty_typeEbEEZZNS1_14partition_implILS5_1ELb0ES3_jN6thrust23THRUST_200600_302600_NS6detail15normal_iteratorINSA_10device_ptrItEEEEPS6_NSA_18transform_iteratorI7is_evenItESF_NSA_11use_defaultESK_EENS0_5tupleIJSF_NSA_16discard_iteratorISK_EEEEENSM_IJSG_SG_EEES6_PlJS6_EEE10hipError_tPvRmT3_T4_T5_T6_T7_T9_mT8_P12ihipStream_tbDpT10_ENKUlT_T0_E_clISt17integral_constantIbLb1EES1B_EEDaS16_S17_EUlS16_E_NS1_11comp_targetILNS1_3genE8ELNS1_11target_archE1030ELNS1_3gpuE2ELNS1_3repE0EEENS1_30default_config_static_selectorELNS0_4arch9wavefront6targetE1EEEvT1_
	.p2align	8
	.type	_ZN7rocprim17ROCPRIM_400000_NS6detail17trampoline_kernelINS0_14default_configENS1_25partition_config_selectorILNS1_17partition_subalgoE1EtNS0_10empty_typeEbEEZZNS1_14partition_implILS5_1ELb0ES3_jN6thrust23THRUST_200600_302600_NS6detail15normal_iteratorINSA_10device_ptrItEEEEPS6_NSA_18transform_iteratorI7is_evenItESF_NSA_11use_defaultESK_EENS0_5tupleIJSF_NSA_16discard_iteratorISK_EEEEENSM_IJSG_SG_EEES6_PlJS6_EEE10hipError_tPvRmT3_T4_T5_T6_T7_T9_mT8_P12ihipStream_tbDpT10_ENKUlT_T0_E_clISt17integral_constantIbLb1EES1B_EEDaS16_S17_EUlS16_E_NS1_11comp_targetILNS1_3genE8ELNS1_11target_archE1030ELNS1_3gpuE2ELNS1_3repE0EEENS1_30default_config_static_selectorELNS0_4arch9wavefront6targetE1EEEvT1_,@function
_ZN7rocprim17ROCPRIM_400000_NS6detail17trampoline_kernelINS0_14default_configENS1_25partition_config_selectorILNS1_17partition_subalgoE1EtNS0_10empty_typeEbEEZZNS1_14partition_implILS5_1ELb0ES3_jN6thrust23THRUST_200600_302600_NS6detail15normal_iteratorINSA_10device_ptrItEEEEPS6_NSA_18transform_iteratorI7is_evenItESF_NSA_11use_defaultESK_EENS0_5tupleIJSF_NSA_16discard_iteratorISK_EEEEENSM_IJSG_SG_EEES6_PlJS6_EEE10hipError_tPvRmT3_T4_T5_T6_T7_T9_mT8_P12ihipStream_tbDpT10_ENKUlT_T0_E_clISt17integral_constantIbLb1EES1B_EEDaS16_S17_EUlS16_E_NS1_11comp_targetILNS1_3genE8ELNS1_11target_archE1030ELNS1_3gpuE2ELNS1_3repE0EEENS1_30default_config_static_selectorELNS0_4arch9wavefront6targetE1EEEvT1_: ; @_ZN7rocprim17ROCPRIM_400000_NS6detail17trampoline_kernelINS0_14default_configENS1_25partition_config_selectorILNS1_17partition_subalgoE1EtNS0_10empty_typeEbEEZZNS1_14partition_implILS5_1ELb0ES3_jN6thrust23THRUST_200600_302600_NS6detail15normal_iteratorINSA_10device_ptrItEEEEPS6_NSA_18transform_iteratorI7is_evenItESF_NSA_11use_defaultESK_EENS0_5tupleIJSF_NSA_16discard_iteratorISK_EEEEENSM_IJSG_SG_EEES6_PlJS6_EEE10hipError_tPvRmT3_T4_T5_T6_T7_T9_mT8_P12ihipStream_tbDpT10_ENKUlT_T0_E_clISt17integral_constantIbLb1EES1B_EEDaS16_S17_EUlS16_E_NS1_11comp_targetILNS1_3genE8ELNS1_11target_archE1030ELNS1_3gpuE2ELNS1_3repE0EEENS1_30default_config_static_selectorELNS0_4arch9wavefront6targetE1EEEvT1_
; %bb.0:
	.section	.rodata,"a",@progbits
	.p2align	6, 0x0
	.amdhsa_kernel _ZN7rocprim17ROCPRIM_400000_NS6detail17trampoline_kernelINS0_14default_configENS1_25partition_config_selectorILNS1_17partition_subalgoE1EtNS0_10empty_typeEbEEZZNS1_14partition_implILS5_1ELb0ES3_jN6thrust23THRUST_200600_302600_NS6detail15normal_iteratorINSA_10device_ptrItEEEEPS6_NSA_18transform_iteratorI7is_evenItESF_NSA_11use_defaultESK_EENS0_5tupleIJSF_NSA_16discard_iteratorISK_EEEEENSM_IJSG_SG_EEES6_PlJS6_EEE10hipError_tPvRmT3_T4_T5_T6_T7_T9_mT8_P12ihipStream_tbDpT10_ENKUlT_T0_E_clISt17integral_constantIbLb1EES1B_EEDaS16_S17_EUlS16_E_NS1_11comp_targetILNS1_3genE8ELNS1_11target_archE1030ELNS1_3gpuE2ELNS1_3repE0EEENS1_30default_config_static_selectorELNS0_4arch9wavefront6targetE1EEEvT1_
		.amdhsa_group_segment_fixed_size 0
		.amdhsa_private_segment_fixed_size 0
		.amdhsa_kernarg_size 152
		.amdhsa_user_sgpr_count 2
		.amdhsa_user_sgpr_dispatch_ptr 0
		.amdhsa_user_sgpr_queue_ptr 0
		.amdhsa_user_sgpr_kernarg_segment_ptr 1
		.amdhsa_user_sgpr_dispatch_id 0
		.amdhsa_user_sgpr_kernarg_preload_length 0
		.amdhsa_user_sgpr_kernarg_preload_offset 0
		.amdhsa_user_sgpr_private_segment_size 0
		.amdhsa_uses_dynamic_stack 0
		.amdhsa_enable_private_segment 0
		.amdhsa_system_sgpr_workgroup_id_x 1
		.amdhsa_system_sgpr_workgroup_id_y 0
		.amdhsa_system_sgpr_workgroup_id_z 0
		.amdhsa_system_sgpr_workgroup_info 0
		.amdhsa_system_vgpr_workitem_id 0
		.amdhsa_next_free_vgpr 1
		.amdhsa_next_free_sgpr 0
		.amdhsa_accum_offset 4
		.amdhsa_reserve_vcc 0
		.amdhsa_float_round_mode_32 0
		.amdhsa_float_round_mode_16_64 0
		.amdhsa_float_denorm_mode_32 3
		.amdhsa_float_denorm_mode_16_64 3
		.amdhsa_dx10_clamp 1
		.amdhsa_ieee_mode 1
		.amdhsa_fp16_overflow 0
		.amdhsa_tg_split 0
		.amdhsa_exception_fp_ieee_invalid_op 0
		.amdhsa_exception_fp_denorm_src 0
		.amdhsa_exception_fp_ieee_div_zero 0
		.amdhsa_exception_fp_ieee_overflow 0
		.amdhsa_exception_fp_ieee_underflow 0
		.amdhsa_exception_fp_ieee_inexact 0
		.amdhsa_exception_int_div_zero 0
	.end_amdhsa_kernel
	.section	.text._ZN7rocprim17ROCPRIM_400000_NS6detail17trampoline_kernelINS0_14default_configENS1_25partition_config_selectorILNS1_17partition_subalgoE1EtNS0_10empty_typeEbEEZZNS1_14partition_implILS5_1ELb0ES3_jN6thrust23THRUST_200600_302600_NS6detail15normal_iteratorINSA_10device_ptrItEEEEPS6_NSA_18transform_iteratorI7is_evenItESF_NSA_11use_defaultESK_EENS0_5tupleIJSF_NSA_16discard_iteratorISK_EEEEENSM_IJSG_SG_EEES6_PlJS6_EEE10hipError_tPvRmT3_T4_T5_T6_T7_T9_mT8_P12ihipStream_tbDpT10_ENKUlT_T0_E_clISt17integral_constantIbLb1EES1B_EEDaS16_S17_EUlS16_E_NS1_11comp_targetILNS1_3genE8ELNS1_11target_archE1030ELNS1_3gpuE2ELNS1_3repE0EEENS1_30default_config_static_selectorELNS0_4arch9wavefront6targetE1EEEvT1_,"axG",@progbits,_ZN7rocprim17ROCPRIM_400000_NS6detail17trampoline_kernelINS0_14default_configENS1_25partition_config_selectorILNS1_17partition_subalgoE1EtNS0_10empty_typeEbEEZZNS1_14partition_implILS5_1ELb0ES3_jN6thrust23THRUST_200600_302600_NS6detail15normal_iteratorINSA_10device_ptrItEEEEPS6_NSA_18transform_iteratorI7is_evenItESF_NSA_11use_defaultESK_EENS0_5tupleIJSF_NSA_16discard_iteratorISK_EEEEENSM_IJSG_SG_EEES6_PlJS6_EEE10hipError_tPvRmT3_T4_T5_T6_T7_T9_mT8_P12ihipStream_tbDpT10_ENKUlT_T0_E_clISt17integral_constantIbLb1EES1B_EEDaS16_S17_EUlS16_E_NS1_11comp_targetILNS1_3genE8ELNS1_11target_archE1030ELNS1_3gpuE2ELNS1_3repE0EEENS1_30default_config_static_selectorELNS0_4arch9wavefront6targetE1EEEvT1_,comdat
.Lfunc_end3114:
	.size	_ZN7rocprim17ROCPRIM_400000_NS6detail17trampoline_kernelINS0_14default_configENS1_25partition_config_selectorILNS1_17partition_subalgoE1EtNS0_10empty_typeEbEEZZNS1_14partition_implILS5_1ELb0ES3_jN6thrust23THRUST_200600_302600_NS6detail15normal_iteratorINSA_10device_ptrItEEEEPS6_NSA_18transform_iteratorI7is_evenItESF_NSA_11use_defaultESK_EENS0_5tupleIJSF_NSA_16discard_iteratorISK_EEEEENSM_IJSG_SG_EEES6_PlJS6_EEE10hipError_tPvRmT3_T4_T5_T6_T7_T9_mT8_P12ihipStream_tbDpT10_ENKUlT_T0_E_clISt17integral_constantIbLb1EES1B_EEDaS16_S17_EUlS16_E_NS1_11comp_targetILNS1_3genE8ELNS1_11target_archE1030ELNS1_3gpuE2ELNS1_3repE0EEENS1_30default_config_static_selectorELNS0_4arch9wavefront6targetE1EEEvT1_, .Lfunc_end3114-_ZN7rocprim17ROCPRIM_400000_NS6detail17trampoline_kernelINS0_14default_configENS1_25partition_config_selectorILNS1_17partition_subalgoE1EtNS0_10empty_typeEbEEZZNS1_14partition_implILS5_1ELb0ES3_jN6thrust23THRUST_200600_302600_NS6detail15normal_iteratorINSA_10device_ptrItEEEEPS6_NSA_18transform_iteratorI7is_evenItESF_NSA_11use_defaultESK_EENS0_5tupleIJSF_NSA_16discard_iteratorISK_EEEEENSM_IJSG_SG_EEES6_PlJS6_EEE10hipError_tPvRmT3_T4_T5_T6_T7_T9_mT8_P12ihipStream_tbDpT10_ENKUlT_T0_E_clISt17integral_constantIbLb1EES1B_EEDaS16_S17_EUlS16_E_NS1_11comp_targetILNS1_3genE8ELNS1_11target_archE1030ELNS1_3gpuE2ELNS1_3repE0EEENS1_30default_config_static_selectorELNS0_4arch9wavefront6targetE1EEEvT1_
                                        ; -- End function
	.section	.AMDGPU.csdata,"",@progbits
; Kernel info:
; codeLenInByte = 0
; NumSgprs: 6
; NumVgprs: 0
; NumAgprs: 0
; TotalNumVgprs: 0
; ScratchSize: 0
; MemoryBound: 0
; FloatMode: 240
; IeeeMode: 1
; LDSByteSize: 0 bytes/workgroup (compile time only)
; SGPRBlocks: 0
; VGPRBlocks: 0
; NumSGPRsForWavesPerEU: 6
; NumVGPRsForWavesPerEU: 1
; AccumOffset: 4
; Occupancy: 8
; WaveLimiterHint : 0
; COMPUTE_PGM_RSRC2:SCRATCH_EN: 0
; COMPUTE_PGM_RSRC2:USER_SGPR: 2
; COMPUTE_PGM_RSRC2:TRAP_HANDLER: 0
; COMPUTE_PGM_RSRC2:TGID_X_EN: 1
; COMPUTE_PGM_RSRC2:TGID_Y_EN: 0
; COMPUTE_PGM_RSRC2:TGID_Z_EN: 0
; COMPUTE_PGM_RSRC2:TIDIG_COMP_CNT: 0
; COMPUTE_PGM_RSRC3_GFX90A:ACCUM_OFFSET: 0
; COMPUTE_PGM_RSRC3_GFX90A:TG_SPLIT: 0
	.section	.text._ZN7rocprim17ROCPRIM_400000_NS6detail17trampoline_kernelINS0_14default_configENS1_25partition_config_selectorILNS1_17partition_subalgoE1EtNS0_10empty_typeEbEEZZNS1_14partition_implILS5_1ELb0ES3_jN6thrust23THRUST_200600_302600_NS6detail15normal_iteratorINSA_10device_ptrItEEEEPS6_NSA_18transform_iteratorI7is_evenItESF_NSA_11use_defaultESK_EENS0_5tupleIJSF_NSA_16discard_iteratorISK_EEEEENSM_IJSG_SG_EEES6_PlJS6_EEE10hipError_tPvRmT3_T4_T5_T6_T7_T9_mT8_P12ihipStream_tbDpT10_ENKUlT_T0_E_clISt17integral_constantIbLb1EES1A_IbLb0EEEEDaS16_S17_EUlS16_E_NS1_11comp_targetILNS1_3genE0ELNS1_11target_archE4294967295ELNS1_3gpuE0ELNS1_3repE0EEENS1_30default_config_static_selectorELNS0_4arch9wavefront6targetE1EEEvT1_,"axG",@progbits,_ZN7rocprim17ROCPRIM_400000_NS6detail17trampoline_kernelINS0_14default_configENS1_25partition_config_selectorILNS1_17partition_subalgoE1EtNS0_10empty_typeEbEEZZNS1_14partition_implILS5_1ELb0ES3_jN6thrust23THRUST_200600_302600_NS6detail15normal_iteratorINSA_10device_ptrItEEEEPS6_NSA_18transform_iteratorI7is_evenItESF_NSA_11use_defaultESK_EENS0_5tupleIJSF_NSA_16discard_iteratorISK_EEEEENSM_IJSG_SG_EEES6_PlJS6_EEE10hipError_tPvRmT3_T4_T5_T6_T7_T9_mT8_P12ihipStream_tbDpT10_ENKUlT_T0_E_clISt17integral_constantIbLb1EES1A_IbLb0EEEEDaS16_S17_EUlS16_E_NS1_11comp_targetILNS1_3genE0ELNS1_11target_archE4294967295ELNS1_3gpuE0ELNS1_3repE0EEENS1_30default_config_static_selectorELNS0_4arch9wavefront6targetE1EEEvT1_,comdat
	.protected	_ZN7rocprim17ROCPRIM_400000_NS6detail17trampoline_kernelINS0_14default_configENS1_25partition_config_selectorILNS1_17partition_subalgoE1EtNS0_10empty_typeEbEEZZNS1_14partition_implILS5_1ELb0ES3_jN6thrust23THRUST_200600_302600_NS6detail15normal_iteratorINSA_10device_ptrItEEEEPS6_NSA_18transform_iteratorI7is_evenItESF_NSA_11use_defaultESK_EENS0_5tupleIJSF_NSA_16discard_iteratorISK_EEEEENSM_IJSG_SG_EEES6_PlJS6_EEE10hipError_tPvRmT3_T4_T5_T6_T7_T9_mT8_P12ihipStream_tbDpT10_ENKUlT_T0_E_clISt17integral_constantIbLb1EES1A_IbLb0EEEEDaS16_S17_EUlS16_E_NS1_11comp_targetILNS1_3genE0ELNS1_11target_archE4294967295ELNS1_3gpuE0ELNS1_3repE0EEENS1_30default_config_static_selectorELNS0_4arch9wavefront6targetE1EEEvT1_ ; -- Begin function _ZN7rocprim17ROCPRIM_400000_NS6detail17trampoline_kernelINS0_14default_configENS1_25partition_config_selectorILNS1_17partition_subalgoE1EtNS0_10empty_typeEbEEZZNS1_14partition_implILS5_1ELb0ES3_jN6thrust23THRUST_200600_302600_NS6detail15normal_iteratorINSA_10device_ptrItEEEEPS6_NSA_18transform_iteratorI7is_evenItESF_NSA_11use_defaultESK_EENS0_5tupleIJSF_NSA_16discard_iteratorISK_EEEEENSM_IJSG_SG_EEES6_PlJS6_EEE10hipError_tPvRmT3_T4_T5_T6_T7_T9_mT8_P12ihipStream_tbDpT10_ENKUlT_T0_E_clISt17integral_constantIbLb1EES1A_IbLb0EEEEDaS16_S17_EUlS16_E_NS1_11comp_targetILNS1_3genE0ELNS1_11target_archE4294967295ELNS1_3gpuE0ELNS1_3repE0EEENS1_30default_config_static_selectorELNS0_4arch9wavefront6targetE1EEEvT1_
	.globl	_ZN7rocprim17ROCPRIM_400000_NS6detail17trampoline_kernelINS0_14default_configENS1_25partition_config_selectorILNS1_17partition_subalgoE1EtNS0_10empty_typeEbEEZZNS1_14partition_implILS5_1ELb0ES3_jN6thrust23THRUST_200600_302600_NS6detail15normal_iteratorINSA_10device_ptrItEEEEPS6_NSA_18transform_iteratorI7is_evenItESF_NSA_11use_defaultESK_EENS0_5tupleIJSF_NSA_16discard_iteratorISK_EEEEENSM_IJSG_SG_EEES6_PlJS6_EEE10hipError_tPvRmT3_T4_T5_T6_T7_T9_mT8_P12ihipStream_tbDpT10_ENKUlT_T0_E_clISt17integral_constantIbLb1EES1A_IbLb0EEEEDaS16_S17_EUlS16_E_NS1_11comp_targetILNS1_3genE0ELNS1_11target_archE4294967295ELNS1_3gpuE0ELNS1_3repE0EEENS1_30default_config_static_selectorELNS0_4arch9wavefront6targetE1EEEvT1_
	.p2align	8
	.type	_ZN7rocprim17ROCPRIM_400000_NS6detail17trampoline_kernelINS0_14default_configENS1_25partition_config_selectorILNS1_17partition_subalgoE1EtNS0_10empty_typeEbEEZZNS1_14partition_implILS5_1ELb0ES3_jN6thrust23THRUST_200600_302600_NS6detail15normal_iteratorINSA_10device_ptrItEEEEPS6_NSA_18transform_iteratorI7is_evenItESF_NSA_11use_defaultESK_EENS0_5tupleIJSF_NSA_16discard_iteratorISK_EEEEENSM_IJSG_SG_EEES6_PlJS6_EEE10hipError_tPvRmT3_T4_T5_T6_T7_T9_mT8_P12ihipStream_tbDpT10_ENKUlT_T0_E_clISt17integral_constantIbLb1EES1A_IbLb0EEEEDaS16_S17_EUlS16_E_NS1_11comp_targetILNS1_3genE0ELNS1_11target_archE4294967295ELNS1_3gpuE0ELNS1_3repE0EEENS1_30default_config_static_selectorELNS0_4arch9wavefront6targetE1EEEvT1_,@function
_ZN7rocprim17ROCPRIM_400000_NS6detail17trampoline_kernelINS0_14default_configENS1_25partition_config_selectorILNS1_17partition_subalgoE1EtNS0_10empty_typeEbEEZZNS1_14partition_implILS5_1ELb0ES3_jN6thrust23THRUST_200600_302600_NS6detail15normal_iteratorINSA_10device_ptrItEEEEPS6_NSA_18transform_iteratorI7is_evenItESF_NSA_11use_defaultESK_EENS0_5tupleIJSF_NSA_16discard_iteratorISK_EEEEENSM_IJSG_SG_EEES6_PlJS6_EEE10hipError_tPvRmT3_T4_T5_T6_T7_T9_mT8_P12ihipStream_tbDpT10_ENKUlT_T0_E_clISt17integral_constantIbLb1EES1A_IbLb0EEEEDaS16_S17_EUlS16_E_NS1_11comp_targetILNS1_3genE0ELNS1_11target_archE4294967295ELNS1_3gpuE0ELNS1_3repE0EEENS1_30default_config_static_selectorELNS0_4arch9wavefront6targetE1EEEvT1_: ; @_ZN7rocprim17ROCPRIM_400000_NS6detail17trampoline_kernelINS0_14default_configENS1_25partition_config_selectorILNS1_17partition_subalgoE1EtNS0_10empty_typeEbEEZZNS1_14partition_implILS5_1ELb0ES3_jN6thrust23THRUST_200600_302600_NS6detail15normal_iteratorINSA_10device_ptrItEEEEPS6_NSA_18transform_iteratorI7is_evenItESF_NSA_11use_defaultESK_EENS0_5tupleIJSF_NSA_16discard_iteratorISK_EEEEENSM_IJSG_SG_EEES6_PlJS6_EEE10hipError_tPvRmT3_T4_T5_T6_T7_T9_mT8_P12ihipStream_tbDpT10_ENKUlT_T0_E_clISt17integral_constantIbLb1EES1A_IbLb0EEEEDaS16_S17_EUlS16_E_NS1_11comp_targetILNS1_3genE0ELNS1_11target_archE4294967295ELNS1_3gpuE0ELNS1_3repE0EEENS1_30default_config_static_selectorELNS0_4arch9wavefront6targetE1EEEvT1_
; %bb.0:
	.section	.rodata,"a",@progbits
	.p2align	6, 0x0
	.amdhsa_kernel _ZN7rocprim17ROCPRIM_400000_NS6detail17trampoline_kernelINS0_14default_configENS1_25partition_config_selectorILNS1_17partition_subalgoE1EtNS0_10empty_typeEbEEZZNS1_14partition_implILS5_1ELb0ES3_jN6thrust23THRUST_200600_302600_NS6detail15normal_iteratorINSA_10device_ptrItEEEEPS6_NSA_18transform_iteratorI7is_evenItESF_NSA_11use_defaultESK_EENS0_5tupleIJSF_NSA_16discard_iteratorISK_EEEEENSM_IJSG_SG_EEES6_PlJS6_EEE10hipError_tPvRmT3_T4_T5_T6_T7_T9_mT8_P12ihipStream_tbDpT10_ENKUlT_T0_E_clISt17integral_constantIbLb1EES1A_IbLb0EEEEDaS16_S17_EUlS16_E_NS1_11comp_targetILNS1_3genE0ELNS1_11target_archE4294967295ELNS1_3gpuE0ELNS1_3repE0EEENS1_30default_config_static_selectorELNS0_4arch9wavefront6targetE1EEEvT1_
		.amdhsa_group_segment_fixed_size 0
		.amdhsa_private_segment_fixed_size 0
		.amdhsa_kernarg_size 136
		.amdhsa_user_sgpr_count 2
		.amdhsa_user_sgpr_dispatch_ptr 0
		.amdhsa_user_sgpr_queue_ptr 0
		.amdhsa_user_sgpr_kernarg_segment_ptr 1
		.amdhsa_user_sgpr_dispatch_id 0
		.amdhsa_user_sgpr_kernarg_preload_length 0
		.amdhsa_user_sgpr_kernarg_preload_offset 0
		.amdhsa_user_sgpr_private_segment_size 0
		.amdhsa_uses_dynamic_stack 0
		.amdhsa_enable_private_segment 0
		.amdhsa_system_sgpr_workgroup_id_x 1
		.amdhsa_system_sgpr_workgroup_id_y 0
		.amdhsa_system_sgpr_workgroup_id_z 0
		.amdhsa_system_sgpr_workgroup_info 0
		.amdhsa_system_vgpr_workitem_id 0
		.amdhsa_next_free_vgpr 1
		.amdhsa_next_free_sgpr 0
		.amdhsa_accum_offset 4
		.amdhsa_reserve_vcc 0
		.amdhsa_float_round_mode_32 0
		.amdhsa_float_round_mode_16_64 0
		.amdhsa_float_denorm_mode_32 3
		.amdhsa_float_denorm_mode_16_64 3
		.amdhsa_dx10_clamp 1
		.amdhsa_ieee_mode 1
		.amdhsa_fp16_overflow 0
		.amdhsa_tg_split 0
		.amdhsa_exception_fp_ieee_invalid_op 0
		.amdhsa_exception_fp_denorm_src 0
		.amdhsa_exception_fp_ieee_div_zero 0
		.amdhsa_exception_fp_ieee_overflow 0
		.amdhsa_exception_fp_ieee_underflow 0
		.amdhsa_exception_fp_ieee_inexact 0
		.amdhsa_exception_int_div_zero 0
	.end_amdhsa_kernel
	.section	.text._ZN7rocprim17ROCPRIM_400000_NS6detail17trampoline_kernelINS0_14default_configENS1_25partition_config_selectorILNS1_17partition_subalgoE1EtNS0_10empty_typeEbEEZZNS1_14partition_implILS5_1ELb0ES3_jN6thrust23THRUST_200600_302600_NS6detail15normal_iteratorINSA_10device_ptrItEEEEPS6_NSA_18transform_iteratorI7is_evenItESF_NSA_11use_defaultESK_EENS0_5tupleIJSF_NSA_16discard_iteratorISK_EEEEENSM_IJSG_SG_EEES6_PlJS6_EEE10hipError_tPvRmT3_T4_T5_T6_T7_T9_mT8_P12ihipStream_tbDpT10_ENKUlT_T0_E_clISt17integral_constantIbLb1EES1A_IbLb0EEEEDaS16_S17_EUlS16_E_NS1_11comp_targetILNS1_3genE0ELNS1_11target_archE4294967295ELNS1_3gpuE0ELNS1_3repE0EEENS1_30default_config_static_selectorELNS0_4arch9wavefront6targetE1EEEvT1_,"axG",@progbits,_ZN7rocprim17ROCPRIM_400000_NS6detail17trampoline_kernelINS0_14default_configENS1_25partition_config_selectorILNS1_17partition_subalgoE1EtNS0_10empty_typeEbEEZZNS1_14partition_implILS5_1ELb0ES3_jN6thrust23THRUST_200600_302600_NS6detail15normal_iteratorINSA_10device_ptrItEEEEPS6_NSA_18transform_iteratorI7is_evenItESF_NSA_11use_defaultESK_EENS0_5tupleIJSF_NSA_16discard_iteratorISK_EEEEENSM_IJSG_SG_EEES6_PlJS6_EEE10hipError_tPvRmT3_T4_T5_T6_T7_T9_mT8_P12ihipStream_tbDpT10_ENKUlT_T0_E_clISt17integral_constantIbLb1EES1A_IbLb0EEEEDaS16_S17_EUlS16_E_NS1_11comp_targetILNS1_3genE0ELNS1_11target_archE4294967295ELNS1_3gpuE0ELNS1_3repE0EEENS1_30default_config_static_selectorELNS0_4arch9wavefront6targetE1EEEvT1_,comdat
.Lfunc_end3115:
	.size	_ZN7rocprim17ROCPRIM_400000_NS6detail17trampoline_kernelINS0_14default_configENS1_25partition_config_selectorILNS1_17partition_subalgoE1EtNS0_10empty_typeEbEEZZNS1_14partition_implILS5_1ELb0ES3_jN6thrust23THRUST_200600_302600_NS6detail15normal_iteratorINSA_10device_ptrItEEEEPS6_NSA_18transform_iteratorI7is_evenItESF_NSA_11use_defaultESK_EENS0_5tupleIJSF_NSA_16discard_iteratorISK_EEEEENSM_IJSG_SG_EEES6_PlJS6_EEE10hipError_tPvRmT3_T4_T5_T6_T7_T9_mT8_P12ihipStream_tbDpT10_ENKUlT_T0_E_clISt17integral_constantIbLb1EES1A_IbLb0EEEEDaS16_S17_EUlS16_E_NS1_11comp_targetILNS1_3genE0ELNS1_11target_archE4294967295ELNS1_3gpuE0ELNS1_3repE0EEENS1_30default_config_static_selectorELNS0_4arch9wavefront6targetE1EEEvT1_, .Lfunc_end3115-_ZN7rocprim17ROCPRIM_400000_NS6detail17trampoline_kernelINS0_14default_configENS1_25partition_config_selectorILNS1_17partition_subalgoE1EtNS0_10empty_typeEbEEZZNS1_14partition_implILS5_1ELb0ES3_jN6thrust23THRUST_200600_302600_NS6detail15normal_iteratorINSA_10device_ptrItEEEEPS6_NSA_18transform_iteratorI7is_evenItESF_NSA_11use_defaultESK_EENS0_5tupleIJSF_NSA_16discard_iteratorISK_EEEEENSM_IJSG_SG_EEES6_PlJS6_EEE10hipError_tPvRmT3_T4_T5_T6_T7_T9_mT8_P12ihipStream_tbDpT10_ENKUlT_T0_E_clISt17integral_constantIbLb1EES1A_IbLb0EEEEDaS16_S17_EUlS16_E_NS1_11comp_targetILNS1_3genE0ELNS1_11target_archE4294967295ELNS1_3gpuE0ELNS1_3repE0EEENS1_30default_config_static_selectorELNS0_4arch9wavefront6targetE1EEEvT1_
                                        ; -- End function
	.section	.AMDGPU.csdata,"",@progbits
; Kernel info:
; codeLenInByte = 0
; NumSgprs: 6
; NumVgprs: 0
; NumAgprs: 0
; TotalNumVgprs: 0
; ScratchSize: 0
; MemoryBound: 0
; FloatMode: 240
; IeeeMode: 1
; LDSByteSize: 0 bytes/workgroup (compile time only)
; SGPRBlocks: 0
; VGPRBlocks: 0
; NumSGPRsForWavesPerEU: 6
; NumVGPRsForWavesPerEU: 1
; AccumOffset: 4
; Occupancy: 8
; WaveLimiterHint : 0
; COMPUTE_PGM_RSRC2:SCRATCH_EN: 0
; COMPUTE_PGM_RSRC2:USER_SGPR: 2
; COMPUTE_PGM_RSRC2:TRAP_HANDLER: 0
; COMPUTE_PGM_RSRC2:TGID_X_EN: 1
; COMPUTE_PGM_RSRC2:TGID_Y_EN: 0
; COMPUTE_PGM_RSRC2:TGID_Z_EN: 0
; COMPUTE_PGM_RSRC2:TIDIG_COMP_CNT: 0
; COMPUTE_PGM_RSRC3_GFX90A:ACCUM_OFFSET: 0
; COMPUTE_PGM_RSRC3_GFX90A:TG_SPLIT: 0
	.section	.text._ZN7rocprim17ROCPRIM_400000_NS6detail17trampoline_kernelINS0_14default_configENS1_25partition_config_selectorILNS1_17partition_subalgoE1EtNS0_10empty_typeEbEEZZNS1_14partition_implILS5_1ELb0ES3_jN6thrust23THRUST_200600_302600_NS6detail15normal_iteratorINSA_10device_ptrItEEEEPS6_NSA_18transform_iteratorI7is_evenItESF_NSA_11use_defaultESK_EENS0_5tupleIJSF_NSA_16discard_iteratorISK_EEEEENSM_IJSG_SG_EEES6_PlJS6_EEE10hipError_tPvRmT3_T4_T5_T6_T7_T9_mT8_P12ihipStream_tbDpT10_ENKUlT_T0_E_clISt17integral_constantIbLb1EES1A_IbLb0EEEEDaS16_S17_EUlS16_E_NS1_11comp_targetILNS1_3genE5ELNS1_11target_archE942ELNS1_3gpuE9ELNS1_3repE0EEENS1_30default_config_static_selectorELNS0_4arch9wavefront6targetE1EEEvT1_,"axG",@progbits,_ZN7rocprim17ROCPRIM_400000_NS6detail17trampoline_kernelINS0_14default_configENS1_25partition_config_selectorILNS1_17partition_subalgoE1EtNS0_10empty_typeEbEEZZNS1_14partition_implILS5_1ELb0ES3_jN6thrust23THRUST_200600_302600_NS6detail15normal_iteratorINSA_10device_ptrItEEEEPS6_NSA_18transform_iteratorI7is_evenItESF_NSA_11use_defaultESK_EENS0_5tupleIJSF_NSA_16discard_iteratorISK_EEEEENSM_IJSG_SG_EEES6_PlJS6_EEE10hipError_tPvRmT3_T4_T5_T6_T7_T9_mT8_P12ihipStream_tbDpT10_ENKUlT_T0_E_clISt17integral_constantIbLb1EES1A_IbLb0EEEEDaS16_S17_EUlS16_E_NS1_11comp_targetILNS1_3genE5ELNS1_11target_archE942ELNS1_3gpuE9ELNS1_3repE0EEENS1_30default_config_static_selectorELNS0_4arch9wavefront6targetE1EEEvT1_,comdat
	.protected	_ZN7rocprim17ROCPRIM_400000_NS6detail17trampoline_kernelINS0_14default_configENS1_25partition_config_selectorILNS1_17partition_subalgoE1EtNS0_10empty_typeEbEEZZNS1_14partition_implILS5_1ELb0ES3_jN6thrust23THRUST_200600_302600_NS6detail15normal_iteratorINSA_10device_ptrItEEEEPS6_NSA_18transform_iteratorI7is_evenItESF_NSA_11use_defaultESK_EENS0_5tupleIJSF_NSA_16discard_iteratorISK_EEEEENSM_IJSG_SG_EEES6_PlJS6_EEE10hipError_tPvRmT3_T4_T5_T6_T7_T9_mT8_P12ihipStream_tbDpT10_ENKUlT_T0_E_clISt17integral_constantIbLb1EES1A_IbLb0EEEEDaS16_S17_EUlS16_E_NS1_11comp_targetILNS1_3genE5ELNS1_11target_archE942ELNS1_3gpuE9ELNS1_3repE0EEENS1_30default_config_static_selectorELNS0_4arch9wavefront6targetE1EEEvT1_ ; -- Begin function _ZN7rocprim17ROCPRIM_400000_NS6detail17trampoline_kernelINS0_14default_configENS1_25partition_config_selectorILNS1_17partition_subalgoE1EtNS0_10empty_typeEbEEZZNS1_14partition_implILS5_1ELb0ES3_jN6thrust23THRUST_200600_302600_NS6detail15normal_iteratorINSA_10device_ptrItEEEEPS6_NSA_18transform_iteratorI7is_evenItESF_NSA_11use_defaultESK_EENS0_5tupleIJSF_NSA_16discard_iteratorISK_EEEEENSM_IJSG_SG_EEES6_PlJS6_EEE10hipError_tPvRmT3_T4_T5_T6_T7_T9_mT8_P12ihipStream_tbDpT10_ENKUlT_T0_E_clISt17integral_constantIbLb1EES1A_IbLb0EEEEDaS16_S17_EUlS16_E_NS1_11comp_targetILNS1_3genE5ELNS1_11target_archE942ELNS1_3gpuE9ELNS1_3repE0EEENS1_30default_config_static_selectorELNS0_4arch9wavefront6targetE1EEEvT1_
	.globl	_ZN7rocprim17ROCPRIM_400000_NS6detail17trampoline_kernelINS0_14default_configENS1_25partition_config_selectorILNS1_17partition_subalgoE1EtNS0_10empty_typeEbEEZZNS1_14partition_implILS5_1ELb0ES3_jN6thrust23THRUST_200600_302600_NS6detail15normal_iteratorINSA_10device_ptrItEEEEPS6_NSA_18transform_iteratorI7is_evenItESF_NSA_11use_defaultESK_EENS0_5tupleIJSF_NSA_16discard_iteratorISK_EEEEENSM_IJSG_SG_EEES6_PlJS6_EEE10hipError_tPvRmT3_T4_T5_T6_T7_T9_mT8_P12ihipStream_tbDpT10_ENKUlT_T0_E_clISt17integral_constantIbLb1EES1A_IbLb0EEEEDaS16_S17_EUlS16_E_NS1_11comp_targetILNS1_3genE5ELNS1_11target_archE942ELNS1_3gpuE9ELNS1_3repE0EEENS1_30default_config_static_selectorELNS0_4arch9wavefront6targetE1EEEvT1_
	.p2align	8
	.type	_ZN7rocprim17ROCPRIM_400000_NS6detail17trampoline_kernelINS0_14default_configENS1_25partition_config_selectorILNS1_17partition_subalgoE1EtNS0_10empty_typeEbEEZZNS1_14partition_implILS5_1ELb0ES3_jN6thrust23THRUST_200600_302600_NS6detail15normal_iteratorINSA_10device_ptrItEEEEPS6_NSA_18transform_iteratorI7is_evenItESF_NSA_11use_defaultESK_EENS0_5tupleIJSF_NSA_16discard_iteratorISK_EEEEENSM_IJSG_SG_EEES6_PlJS6_EEE10hipError_tPvRmT3_T4_T5_T6_T7_T9_mT8_P12ihipStream_tbDpT10_ENKUlT_T0_E_clISt17integral_constantIbLb1EES1A_IbLb0EEEEDaS16_S17_EUlS16_E_NS1_11comp_targetILNS1_3genE5ELNS1_11target_archE942ELNS1_3gpuE9ELNS1_3repE0EEENS1_30default_config_static_selectorELNS0_4arch9wavefront6targetE1EEEvT1_,@function
_ZN7rocprim17ROCPRIM_400000_NS6detail17trampoline_kernelINS0_14default_configENS1_25partition_config_selectorILNS1_17partition_subalgoE1EtNS0_10empty_typeEbEEZZNS1_14partition_implILS5_1ELb0ES3_jN6thrust23THRUST_200600_302600_NS6detail15normal_iteratorINSA_10device_ptrItEEEEPS6_NSA_18transform_iteratorI7is_evenItESF_NSA_11use_defaultESK_EENS0_5tupleIJSF_NSA_16discard_iteratorISK_EEEEENSM_IJSG_SG_EEES6_PlJS6_EEE10hipError_tPvRmT3_T4_T5_T6_T7_T9_mT8_P12ihipStream_tbDpT10_ENKUlT_T0_E_clISt17integral_constantIbLb1EES1A_IbLb0EEEEDaS16_S17_EUlS16_E_NS1_11comp_targetILNS1_3genE5ELNS1_11target_archE942ELNS1_3gpuE9ELNS1_3repE0EEENS1_30default_config_static_selectorELNS0_4arch9wavefront6targetE1EEEvT1_: ; @_ZN7rocprim17ROCPRIM_400000_NS6detail17trampoline_kernelINS0_14default_configENS1_25partition_config_selectorILNS1_17partition_subalgoE1EtNS0_10empty_typeEbEEZZNS1_14partition_implILS5_1ELb0ES3_jN6thrust23THRUST_200600_302600_NS6detail15normal_iteratorINSA_10device_ptrItEEEEPS6_NSA_18transform_iteratorI7is_evenItESF_NSA_11use_defaultESK_EENS0_5tupleIJSF_NSA_16discard_iteratorISK_EEEEENSM_IJSG_SG_EEES6_PlJS6_EEE10hipError_tPvRmT3_T4_T5_T6_T7_T9_mT8_P12ihipStream_tbDpT10_ENKUlT_T0_E_clISt17integral_constantIbLb1EES1A_IbLb0EEEEDaS16_S17_EUlS16_E_NS1_11comp_targetILNS1_3genE5ELNS1_11target_archE942ELNS1_3gpuE9ELNS1_3repE0EEENS1_30default_config_static_selectorELNS0_4arch9wavefront6targetE1EEEvT1_
; %bb.0:
	s_load_dwordx2 s[4:5], s[0:1], 0x68
	s_load_dwordx4 s[12:15], s[0:1], 0x8
	s_load_dwordx2 s[6:7], s[0:1], 0x20
	s_load_dwordx4 s[20:23], s[0:1], 0x58
	s_load_dword s3, s[0:1], 0x80
	s_waitcnt lgkmcnt(0)
	v_mov_b32_e32 v3, s5
	s_lshl_b64 s[8:9], s[14:15], 1
	s_add_u32 s12, s12, s8
	s_addc_u32 s13, s13, s9
	s_add_i32 s16, s3, -1
	s_mulk_i32 s3, 0x3800
	s_add_i32 s5, s3, s14
	s_sub_i32 s33, s4, s5
	s_addk_i32 s33, 0x3800
	v_mov_b32_e32 v2, s4
	s_add_u32 s4, s14, s3
	s_addc_u32 s5, s15, 0
	s_cmp_eq_u32 s2, s16
	s_load_dwordx2 s[22:23], s[22:23], 0x0
	s_cselect_b64 s[24:25], -1, 0
	s_cmp_lg_u32 s2, s16
	s_mul_i32 s10, s2, 0x3800
	s_mov_b32 s11, 0
	v_cmp_lt_u64_e32 vcc, s[4:5], v[2:3]
	s_cselect_b64 s[4:5], -1, 0
	s_or_b64 s[26:27], s[4:5], vcc
	s_lshl_b64 s[10:11], s[10:11], 1
	s_add_u32 s12, s12, s10
	s_addc_u32 s13, s13, s11
	s_mov_b64 s[4:5], -1
	s_and_b64 vcc, exec, s[26:27]
	v_lshlrev_b32_e32 v14, 1, v0
	s_cbranch_vccz .LBB3116_2
; %bb.1:
	v_mov_b32_e32 v15, 0
	v_lshl_add_u64 v[2:3], s[12:13], 0, v[14:15]
	v_add_co_u32_e32 v4, vcc, 0x1000, v2
	s_mov_b64 s[4:5], 0
	s_nop 0
	v_addc_co_u32_e32 v5, vcc, 0, v3, vcc
	flat_load_ushort v1, v[2:3]
	flat_load_ushort v8, v[2:3] offset:1024
	flat_load_ushort v9, v[2:3] offset:2048
	;; [unrolled: 1-line block ×3, first 2 shown]
	flat_load_ushort v11, v[4:5]
	flat_load_ushort v12, v[4:5] offset:1024
	flat_load_ushort v13, v[4:5] offset:2048
	;; [unrolled: 1-line block ×3, first 2 shown]
	v_add_co_u32_e32 v4, vcc, 0x2000, v2
	s_nop 1
	v_addc_co_u32_e32 v5, vcc, 0, v3, vcc
	v_add_co_u32_e32 v6, vcc, 0x3000, v2
	s_nop 1
	v_addc_co_u32_e32 v7, vcc, 0, v3, vcc
	flat_load_ushort v16, v[4:5]
	flat_load_ushort v17, v[4:5] offset:1024
	flat_load_ushort v18, v[4:5] offset:2048
	;; [unrolled: 1-line block ×3, first 2 shown]
	flat_load_ushort v20, v[6:7]
	flat_load_ushort v21, v[6:7] offset:1024
	flat_load_ushort v22, v[6:7] offset:2048
	;; [unrolled: 1-line block ×3, first 2 shown]
	v_add_co_u32_e32 v4, vcc, 0x4000, v2
	s_nop 1
	v_addc_co_u32_e32 v5, vcc, 0, v3, vcc
	v_add_co_u32_e32 v6, vcc, 0x5000, v2
	s_nop 1
	v_addc_co_u32_e32 v7, vcc, 0, v3, vcc
	v_add_co_u32_e32 v2, vcc, 0x6000, v2
	flat_load_ushort v24, v[4:5]
	flat_load_ushort v25, v[4:5] offset:1024
	flat_load_ushort v26, v[4:5] offset:2048
	;; [unrolled: 1-line block ×3, first 2 shown]
	flat_load_ushort v28, v[6:7]
	flat_load_ushort v29, v[6:7] offset:1024
	flat_load_ushort v30, v[6:7] offset:2048
	;; [unrolled: 1-line block ×3, first 2 shown]
	v_addc_co_u32_e32 v3, vcc, 0, v3, vcc
	flat_load_ushort v4, v[2:3]
	flat_load_ushort v5, v[2:3] offset:1024
	flat_load_ushort v6, v[2:3] offset:2048
	;; [unrolled: 1-line block ×3, first 2 shown]
	s_waitcnt vmcnt(0) lgkmcnt(0)
	ds_write_b16 v14, v1
	ds_write_b16 v14, v8 offset:1024
	ds_write_b16 v14, v9 offset:2048
	;; [unrolled: 1-line block ×27, first 2 shown]
	s_waitcnt lgkmcnt(0)
	s_barrier
.LBB3116_2:
	s_andn2_b64 vcc, exec, s[4:5]
	v_cmp_gt_u32_e64 s[4:5], s33, v0
	s_cbranch_vccnz .LBB3116_60
; %bb.3:
                                        ; implicit-def: $vgpr1
	s_and_saveexec_b64 s[14:15], s[4:5]
	s_cbranch_execz .LBB3116_5
; %bb.4:
	v_mov_b32_e32 v15, 0
	v_lshl_add_u64 v[2:3], s[12:13], 0, v[14:15]
	flat_load_ushort v1, v[2:3]
.LBB3116_5:
	s_or_b64 exec, exec, s[14:15]
	v_or_b32_e32 v2, 0x200, v0
	v_cmp_gt_u32_e32 vcc, s33, v2
                                        ; implicit-def: $vgpr2
	s_and_saveexec_b64 s[4:5], vcc
	s_cbranch_execz .LBB3116_7
; %bb.6:
	v_mov_b32_e32 v15, 0
	v_lshl_add_u64 v[2:3], s[12:13], 0, v[14:15]
	flat_load_ushort v2, v[2:3] offset:1024
.LBB3116_7:
	s_or_b64 exec, exec, s[4:5]
	v_or_b32_e32 v3, 0x400, v0
	v_cmp_gt_u32_e32 vcc, s33, v3
                                        ; implicit-def: $vgpr3
	s_and_saveexec_b64 s[4:5], vcc
	s_cbranch_execz .LBB3116_9
; %bb.8:
	v_mov_b32_e32 v15, 0
	v_lshl_add_u64 v[4:5], s[12:13], 0, v[14:15]
	flat_load_ushort v3, v[4:5] offset:2048
.LBB3116_9:
	s_or_b64 exec, exec, s[4:5]
	v_or_b32_e32 v4, 0x600, v0
	v_cmp_gt_u32_e32 vcc, s33, v4
                                        ; implicit-def: $vgpr4
	s_and_saveexec_b64 s[4:5], vcc
	s_cbranch_execz .LBB3116_11
; %bb.10:
	v_mov_b32_e32 v15, 0
	v_lshl_add_u64 v[4:5], s[12:13], 0, v[14:15]
	flat_load_ushort v4, v[4:5] offset:3072
.LBB3116_11:
	s_or_b64 exec, exec, s[4:5]
	v_or_b32_e32 v6, 0x800, v0
	v_cmp_gt_u32_e32 vcc, s33, v6
                                        ; implicit-def: $vgpr5
	s_and_saveexec_b64 s[4:5], vcc
	s_cbranch_execz .LBB3116_13
; %bb.12:
	v_lshlrev_b32_e32 v6, 1, v6
	v_mov_b32_e32 v7, 0
	v_lshl_add_u64 v[6:7], s[12:13], 0, v[6:7]
	flat_load_ushort v5, v[6:7]
.LBB3116_13:
	s_or_b64 exec, exec, s[4:5]
	v_or_b32_e32 v7, 0xa00, v0
	v_cmp_gt_u32_e32 vcc, s33, v7
                                        ; implicit-def: $vgpr6
	s_and_saveexec_b64 s[4:5], vcc
	s_cbranch_execz .LBB3116_15
; %bb.14:
	v_lshlrev_b32_e32 v6, 1, v7
	v_mov_b32_e32 v7, 0
	v_lshl_add_u64 v[6:7], s[12:13], 0, v[6:7]
	flat_load_ushort v6, v[6:7]
.LBB3116_15:
	s_or_b64 exec, exec, s[4:5]
	v_or_b32_e32 v8, 0xc00, v0
	v_cmp_gt_u32_e32 vcc, s33, v8
                                        ; implicit-def: $vgpr7
	s_and_saveexec_b64 s[4:5], vcc
	s_cbranch_execz .LBB3116_17
; %bb.16:
	v_lshlrev_b32_e32 v8, 1, v8
	v_mov_b32_e32 v9, 0
	v_lshl_add_u64 v[8:9], s[12:13], 0, v[8:9]
	flat_load_ushort v7, v[8:9]
.LBB3116_17:
	s_or_b64 exec, exec, s[4:5]
	v_or_b32_e32 v9, 0xe00, v0
	v_cmp_gt_u32_e32 vcc, s33, v9
                                        ; implicit-def: $vgpr8
	s_and_saveexec_b64 s[4:5], vcc
	s_cbranch_execz .LBB3116_19
; %bb.18:
	v_lshlrev_b32_e32 v8, 1, v9
	v_mov_b32_e32 v9, 0
	v_lshl_add_u64 v[8:9], s[12:13], 0, v[8:9]
	flat_load_ushort v8, v[8:9]
.LBB3116_19:
	s_or_b64 exec, exec, s[4:5]
	v_or_b32_e32 v10, 0x1000, v0
	v_cmp_gt_u32_e32 vcc, s33, v10
                                        ; implicit-def: $vgpr9
	s_and_saveexec_b64 s[4:5], vcc
	s_cbranch_execz .LBB3116_21
; %bb.20:
	v_lshlrev_b32_e32 v10, 1, v10
	v_mov_b32_e32 v11, 0
	v_lshl_add_u64 v[10:11], s[12:13], 0, v[10:11]
	flat_load_ushort v9, v[10:11]
.LBB3116_21:
	s_or_b64 exec, exec, s[4:5]
	v_or_b32_e32 v11, 0x1200, v0
	v_cmp_gt_u32_e32 vcc, s33, v11
                                        ; implicit-def: $vgpr10
	s_and_saveexec_b64 s[4:5], vcc
	s_cbranch_execz .LBB3116_23
; %bb.22:
	v_lshlrev_b32_e32 v10, 1, v11
	v_mov_b32_e32 v11, 0
	v_lshl_add_u64 v[10:11], s[12:13], 0, v[10:11]
	flat_load_ushort v10, v[10:11]
.LBB3116_23:
	s_or_b64 exec, exec, s[4:5]
	v_or_b32_e32 v12, 0x1400, v0
	v_cmp_gt_u32_e32 vcc, s33, v12
                                        ; implicit-def: $vgpr11
	s_and_saveexec_b64 s[4:5], vcc
	s_cbranch_execz .LBB3116_25
; %bb.24:
	v_lshlrev_b32_e32 v12, 1, v12
	v_mov_b32_e32 v13, 0
	v_lshl_add_u64 v[12:13], s[12:13], 0, v[12:13]
	flat_load_ushort v11, v[12:13]
.LBB3116_25:
	s_or_b64 exec, exec, s[4:5]
	v_or_b32_e32 v13, 0x1600, v0
	v_cmp_gt_u32_e32 vcc, s33, v13
                                        ; implicit-def: $vgpr12
	s_and_saveexec_b64 s[4:5], vcc
	s_cbranch_execz .LBB3116_27
; %bb.26:
	v_lshlrev_b32_e32 v12, 1, v13
	v_mov_b32_e32 v13, 0
	v_lshl_add_u64 v[12:13], s[12:13], 0, v[12:13]
	flat_load_ushort v12, v[12:13]
.LBB3116_27:
	s_or_b64 exec, exec, s[4:5]
	v_or_b32_e32 v15, 0x1800, v0
	v_cmp_gt_u32_e32 vcc, s33, v15
                                        ; implicit-def: $vgpr13
	s_and_saveexec_b64 s[4:5], vcc
	s_cbranch_execz .LBB3116_29
; %bb.28:
	v_lshlrev_b32_e32 v16, 1, v15
	v_mov_b32_e32 v17, 0
	v_lshl_add_u64 v[16:17], s[12:13], 0, v[16:17]
	flat_load_ushort v13, v[16:17]
.LBB3116_29:
	s_or_b64 exec, exec, s[4:5]
	v_or_b32_e32 v16, 0x1a00, v0
	v_cmp_gt_u32_e32 vcc, s33, v16
                                        ; implicit-def: $vgpr15
	s_and_saveexec_b64 s[4:5], vcc
	s_cbranch_execz .LBB3116_31
; %bb.30:
	v_lshlrev_b32_e32 v16, 1, v16
	v_mov_b32_e32 v17, 0
	v_lshl_add_u64 v[16:17], s[12:13], 0, v[16:17]
	flat_load_ushort v15, v[16:17]
.LBB3116_31:
	s_or_b64 exec, exec, s[4:5]
	v_or_b32_e32 v17, 0x1c00, v0
	v_cmp_gt_u32_e32 vcc, s33, v17
                                        ; implicit-def: $vgpr16
	s_and_saveexec_b64 s[4:5], vcc
	s_cbranch_execz .LBB3116_33
; %bb.32:
	v_lshlrev_b32_e32 v16, 1, v17
	v_mov_b32_e32 v17, 0
	v_lshl_add_u64 v[16:17], s[12:13], 0, v[16:17]
	flat_load_ushort v16, v[16:17]
.LBB3116_33:
	s_or_b64 exec, exec, s[4:5]
	v_or_b32_e32 v18, 0x1e00, v0
	v_cmp_gt_u32_e32 vcc, s33, v18
                                        ; implicit-def: $vgpr17
	s_and_saveexec_b64 s[4:5], vcc
	s_cbranch_execz .LBB3116_35
; %bb.34:
	v_lshlrev_b32_e32 v18, 1, v18
	v_mov_b32_e32 v19, 0
	v_lshl_add_u64 v[18:19], s[12:13], 0, v[18:19]
	flat_load_ushort v17, v[18:19]
.LBB3116_35:
	s_or_b64 exec, exec, s[4:5]
	v_or_b32_e32 v19, 0x2000, v0
	v_cmp_gt_u32_e32 vcc, s33, v19
                                        ; implicit-def: $vgpr18
	s_and_saveexec_b64 s[4:5], vcc
	s_cbranch_execz .LBB3116_37
; %bb.36:
	v_lshlrev_b32_e32 v18, 1, v19
	v_mov_b32_e32 v19, 0
	v_lshl_add_u64 v[18:19], s[12:13], 0, v[18:19]
	flat_load_ushort v18, v[18:19]
.LBB3116_37:
	s_or_b64 exec, exec, s[4:5]
	v_or_b32_e32 v20, 0x2200, v0
	v_cmp_gt_u32_e32 vcc, s33, v20
                                        ; implicit-def: $vgpr19
	s_and_saveexec_b64 s[4:5], vcc
	s_cbranch_execz .LBB3116_39
; %bb.38:
	v_lshlrev_b32_e32 v20, 1, v20
	v_mov_b32_e32 v21, 0
	v_lshl_add_u64 v[20:21], s[12:13], 0, v[20:21]
	flat_load_ushort v19, v[20:21]
.LBB3116_39:
	s_or_b64 exec, exec, s[4:5]
	v_or_b32_e32 v21, 0x2400, v0
	v_cmp_gt_u32_e32 vcc, s33, v21
                                        ; implicit-def: $vgpr20
	s_and_saveexec_b64 s[4:5], vcc
	s_cbranch_execz .LBB3116_41
; %bb.40:
	v_lshlrev_b32_e32 v20, 1, v21
	v_mov_b32_e32 v21, 0
	v_lshl_add_u64 v[20:21], s[12:13], 0, v[20:21]
	flat_load_ushort v20, v[20:21]
.LBB3116_41:
	s_or_b64 exec, exec, s[4:5]
	v_or_b32_e32 v22, 0x2600, v0
	v_cmp_gt_u32_e32 vcc, s33, v22
                                        ; implicit-def: $vgpr21
	s_and_saveexec_b64 s[4:5], vcc
	s_cbranch_execz .LBB3116_43
; %bb.42:
	v_lshlrev_b32_e32 v22, 1, v22
	v_mov_b32_e32 v23, 0
	v_lshl_add_u64 v[22:23], s[12:13], 0, v[22:23]
	flat_load_ushort v21, v[22:23]
.LBB3116_43:
	s_or_b64 exec, exec, s[4:5]
	v_or_b32_e32 v23, 0x2800, v0
	v_cmp_gt_u32_e32 vcc, s33, v23
                                        ; implicit-def: $vgpr22
	s_and_saveexec_b64 s[4:5], vcc
	s_cbranch_execz .LBB3116_45
; %bb.44:
	v_lshlrev_b32_e32 v22, 1, v23
	v_mov_b32_e32 v23, 0
	v_lshl_add_u64 v[22:23], s[12:13], 0, v[22:23]
	flat_load_ushort v22, v[22:23]
.LBB3116_45:
	s_or_b64 exec, exec, s[4:5]
	v_or_b32_e32 v24, 0x2a00, v0
	v_cmp_gt_u32_e32 vcc, s33, v24
                                        ; implicit-def: $vgpr23
	s_and_saveexec_b64 s[4:5], vcc
	s_cbranch_execz .LBB3116_47
; %bb.46:
	v_lshlrev_b32_e32 v24, 1, v24
	v_mov_b32_e32 v25, 0
	v_lshl_add_u64 v[24:25], s[12:13], 0, v[24:25]
	flat_load_ushort v23, v[24:25]
.LBB3116_47:
	s_or_b64 exec, exec, s[4:5]
	v_or_b32_e32 v25, 0x2c00, v0
	v_cmp_gt_u32_e32 vcc, s33, v25
                                        ; implicit-def: $vgpr24
	s_and_saveexec_b64 s[4:5], vcc
	s_cbranch_execz .LBB3116_49
; %bb.48:
	v_lshlrev_b32_e32 v24, 1, v25
	v_mov_b32_e32 v25, 0
	v_lshl_add_u64 v[24:25], s[12:13], 0, v[24:25]
	flat_load_ushort v24, v[24:25]
.LBB3116_49:
	s_or_b64 exec, exec, s[4:5]
	v_or_b32_e32 v26, 0x2e00, v0
	v_cmp_gt_u32_e32 vcc, s33, v26
                                        ; implicit-def: $vgpr25
	s_and_saveexec_b64 s[4:5], vcc
	s_cbranch_execz .LBB3116_51
; %bb.50:
	v_lshlrev_b32_e32 v26, 1, v26
	v_mov_b32_e32 v27, 0
	v_lshl_add_u64 v[26:27], s[12:13], 0, v[26:27]
	flat_load_ushort v25, v[26:27]
.LBB3116_51:
	s_or_b64 exec, exec, s[4:5]
	v_or_b32_e32 v27, 0x3000, v0
	v_cmp_gt_u32_e32 vcc, s33, v27
                                        ; implicit-def: $vgpr26
	s_and_saveexec_b64 s[4:5], vcc
	s_cbranch_execz .LBB3116_53
; %bb.52:
	v_lshlrev_b32_e32 v26, 1, v27
	v_mov_b32_e32 v27, 0
	v_lshl_add_u64 v[26:27], s[12:13], 0, v[26:27]
	flat_load_ushort v26, v[26:27]
.LBB3116_53:
	s_or_b64 exec, exec, s[4:5]
	v_or_b32_e32 v28, 0x3200, v0
	v_cmp_gt_u32_e32 vcc, s33, v28
                                        ; implicit-def: $vgpr27
	s_and_saveexec_b64 s[4:5], vcc
	s_cbranch_execz .LBB3116_55
; %bb.54:
	v_lshlrev_b32_e32 v28, 1, v28
	v_mov_b32_e32 v29, 0
	v_lshl_add_u64 v[28:29], s[12:13], 0, v[28:29]
	flat_load_ushort v27, v[28:29]
.LBB3116_55:
	s_or_b64 exec, exec, s[4:5]
	v_or_b32_e32 v29, 0x3400, v0
	v_cmp_gt_u32_e32 vcc, s33, v29
                                        ; implicit-def: $vgpr28
	s_and_saveexec_b64 s[4:5], vcc
	s_cbranch_execz .LBB3116_57
; %bb.56:
	v_lshlrev_b32_e32 v28, 1, v29
	v_mov_b32_e32 v29, 0
	v_lshl_add_u64 v[28:29], s[12:13], 0, v[28:29]
	flat_load_ushort v28, v[28:29]
.LBB3116_57:
	s_or_b64 exec, exec, s[4:5]
	v_or_b32_e32 v30, 0x3600, v0
	v_cmp_gt_u32_e32 vcc, s33, v30
                                        ; implicit-def: $vgpr29
	s_and_saveexec_b64 s[4:5], vcc
	s_cbranch_execz .LBB3116_59
; %bb.58:
	v_lshlrev_b32_e32 v30, 1, v30
	v_mov_b32_e32 v31, 0
	v_lshl_add_u64 v[30:31], s[12:13], 0, v[30:31]
	flat_load_ushort v29, v[30:31]
.LBB3116_59:
	s_or_b64 exec, exec, s[4:5]
	s_waitcnt vmcnt(0) lgkmcnt(0)
	ds_write_b16 v14, v1
	ds_write_b16 v14, v2 offset:1024
	ds_write_b16 v14, v3 offset:2048
	;; [unrolled: 1-line block ×27, first 2 shown]
	s_waitcnt lgkmcnt(0)
	s_barrier
.LBB3116_60:
	v_mul_u32_u24_e32 v1, 28, v0
	v_lshlrev_b32_e32 v6, 1, v1
	s_waitcnt lgkmcnt(0)
	ds_read_b64 v[16:17], v6 offset:48
	ds_read2_b64 v[2:5], v6 offset0:4 offset1:5
	ds_read2_b64 v[10:13], v6 offset1:1
	ds_read2_b64 v[6:9], v6 offset0:2 offset1:3
	s_add_u32 s3, s6, s8
	s_addc_u32 s5, s7, s9
	s_add_u32 s4, s3, s10
	s_addc_u32 s5, s5, s11
	s_mov_b64 s[6:7], -1
	s_and_b64 vcc, exec, s[26:27]
	s_waitcnt lgkmcnt(0)
	s_barrier
	s_cbranch_vccz .LBB3116_62
; %bb.61:
	v_mov_b32_e32 v15, 0
	v_lshl_add_u64 v[18:19], s[4:5], 0, v[14:15]
	s_movk_i32 s3, 0x1000
	v_add_co_u32_e32 v20, vcc, s3, v18
	s_movk_i32 s3, 0x2000
	s_nop 0
	v_addc_co_u32_e32 v21, vcc, 0, v19, vcc
	v_add_co_u32_e32 v22, vcc, s3, v18
	s_movk_i32 s6, 0x4000
	s_nop 0
	v_addc_co_u32_e32 v23, vcc, 0, v19, vcc
	global_load_ubyte v15, v14, s[4:5]
	global_load_ubyte v24, v14, s[4:5] offset:1024
	global_load_ubyte v25, v14, s[4:5] offset:2048
	;; [unrolled: 1-line block ×3, first 2 shown]
	global_load_ubyte v27, v[20:21], off offset:1024
	global_load_ubyte v28, v[20:21], off offset:2048
	;; [unrolled: 1-line block ×3, first 2 shown]
	global_load_ubyte v30, v[22:23], off offset:-4096
	global_load_ubyte v31, v[22:23], off
	global_load_ubyte v32, v[22:23], off offset:1024
	v_add_co_u32_e32 v20, vcc, s6, v18
	s_movk_i32 s3, 0x3000
	s_nop 0
	v_addc_co_u32_e32 v21, vcc, 0, v19, vcc
	global_load_ubyte v33, v[22:23], off offset:2048
	global_load_ubyte v34, v[22:23], off offset:3072
	global_load_ubyte v35, v[20:21], off offset:-4096
	v_add_co_u32_e32 v22, vcc, s3, v18
	s_movk_i32 s6, 0x6000
	s_nop 0
	v_addc_co_u32_e32 v23, vcc, 0, v19, vcc
	global_load_ubyte v36, v[22:23], off offset:1024
	global_load_ubyte v37, v[22:23], off offset:2048
	;; [unrolled: 1-line block ×3, first 2 shown]
	global_load_ubyte v39, v[20:21], off
	v_add_co_u32_e32 v22, vcc, s6, v18
	s_movk_i32 s3, 0x5000
	s_nop 0
	v_addc_co_u32_e32 v23, vcc, 0, v19, vcc
	v_add_co_u32_e32 v18, vcc, s3, v18
	global_load_ubyte v40, v[20:21], off offset:1024
	global_load_ubyte v41, v[20:21], off offset:2048
	;; [unrolled: 1-line block ×3, first 2 shown]
	global_load_ubyte v43, v[22:23], off offset:-4096
	v_addc_co_u32_e32 v19, vcc, 0, v19, vcc
	global_load_ubyte v20, v[18:19], off offset:1024
	global_load_ubyte v21, v[18:19], off offset:2048
	;; [unrolled: 1-line block ×3, first 2 shown]
	global_load_ubyte v45, v[22:23], off
	global_load_ubyte v46, v[22:23], off offset:1024
	global_load_ubyte v47, v[22:23], off offset:2048
	;; [unrolled: 1-line block ×3, first 2 shown]
	s_mov_b64 s[6:7], 0
	s_waitcnt vmcnt(23)
	v_xor_b32_e32 v23, -1, v27
	v_xor_b32_e32 v15, -1, v15
	;; [unrolled: 1-line block ×5, first 2 shown]
	v_and_b32_e32 v15, 1, v15
	s_waitcnt vmcnt(22)
	v_xor_b32_e32 v24, -1, v28
	s_waitcnt vmcnt(21)
	v_xor_b32_e32 v25, -1, v29
	;; [unrolled: 2-line block ×12, first 2 shown]
	v_and_b32_e32 v18, 1, v18
	v_and_b32_e32 v19, 1, v19
	;; [unrolled: 1-line block ×4, first 2 shown]
	s_waitcnt vmcnt(10)
	v_xor_b32_e32 v36, -1, v40
	s_waitcnt vmcnt(9)
	v_xor_b32_e32 v37, -1, v41
	;; [unrolled: 2-line block ×11, first 2 shown]
	v_and_b32_e32 v24, 1, v24
	v_and_b32_e32 v25, 1, v25
	;; [unrolled: 1-line block ×23, first 2 shown]
	ds_write_b8 v0, v15
	ds_write_b8 v0, v18 offset:512
	ds_write_b8 v0, v19 offset:1024
	;; [unrolled: 1-line block ×27, first 2 shown]
	s_waitcnt lgkmcnt(0)
	s_barrier
.LBB3116_62:
	s_load_dwordx2 s[28:29], s[0:1], 0x78
	s_andn2_b64 vcc, exec, s[6:7]
	s_cbranch_vccnz .LBB3116_120
; %bb.63:
	v_cmp_gt_u32_e32 vcc, s33, v0
	v_mov_b32_e32 v15, 0
	v_mov_b32_e32 v18, 0
	s_and_saveexec_b64 s[6:7], vcc
	s_cbranch_execz .LBB3116_65
; %bb.64:
	global_load_ubyte v18, v14, s[4:5]
	s_waitcnt vmcnt(0)
	v_xor_b32_e32 v18, -1, v18
	v_and_b32_e32 v18, 1, v18
.LBB3116_65:
	s_or_b64 exec, exec, s[6:7]
	v_or_b32_e32 v19, 0x200, v0
	v_cmp_gt_u32_e32 vcc, s33, v19
	s_and_saveexec_b64 s[6:7], vcc
	s_cbranch_execz .LBB3116_67
; %bb.66:
	global_load_ubyte v15, v14, s[4:5] offset:1024
	s_waitcnt vmcnt(0)
	v_xor_b32_e32 v15, -1, v15
	v_and_b32_e32 v15, 1, v15
.LBB3116_67:
	s_or_b64 exec, exec, s[6:7]
	v_or_b32_e32 v19, 0x400, v0
	v_cmp_gt_u32_e32 vcc, s33, v19
	v_mov_b32_e32 v19, 0
	v_mov_b32_e32 v20, 0
	s_and_saveexec_b64 s[6:7], vcc
	s_cbranch_execz .LBB3116_69
; %bb.68:
	global_load_ubyte v20, v14, s[4:5] offset:2048
	s_waitcnt vmcnt(0)
	v_xor_b32_e32 v20, -1, v20
	v_and_b32_e32 v20, 1, v20
.LBB3116_69:
	s_or_b64 exec, exec, s[6:7]
	v_or_b32_e32 v21, 0x600, v0
	v_cmp_gt_u32_e32 vcc, s33, v21
	s_and_saveexec_b64 s[6:7], vcc
	s_cbranch_execz .LBB3116_71
; %bb.70:
	global_load_ubyte v19, v14, s[4:5] offset:3072
	s_waitcnt vmcnt(0)
	v_xor_b32_e32 v19, -1, v19
	v_and_b32_e32 v19, 1, v19
.LBB3116_71:
	s_or_b64 exec, exec, s[6:7]
	v_or_b32_e32 v23, 0x800, v0
	v_cmp_gt_u32_e32 vcc, s33, v23
	v_mov_b32_e32 v21, 0
	v_mov_b32_e32 v22, 0
	s_and_saveexec_b64 s[6:7], vcc
	s_cbranch_execz .LBB3116_73
; %bb.72:
	v_lshlrev_b32_e32 v22, 1, v23
	global_load_ubyte v22, v22, s[4:5]
	s_waitcnt vmcnt(0)
	v_xor_b32_e32 v22, -1, v22
	v_and_b32_e32 v22, 1, v22
.LBB3116_73:
	s_or_b64 exec, exec, s[6:7]
	v_or_b32_e32 v23, 0xa00, v0
	v_cmp_gt_u32_e32 vcc, s33, v23
	s_and_saveexec_b64 s[6:7], vcc
	s_cbranch_execz .LBB3116_75
; %bb.74:
	v_lshlrev_b32_e32 v21, 1, v23
	global_load_ubyte v21, v21, s[4:5]
	s_waitcnt vmcnt(0)
	v_xor_b32_e32 v21, -1, v21
	v_and_b32_e32 v21, 1, v21
.LBB3116_75:
	s_or_b64 exec, exec, s[6:7]
	v_or_b32_e32 v25, 0xc00, v0
	v_cmp_gt_u32_e32 vcc, s33, v25
	v_mov_b32_e32 v23, 0
	v_mov_b32_e32 v24, 0
	s_and_saveexec_b64 s[6:7], vcc
	s_cbranch_execz .LBB3116_77
; %bb.76:
	v_lshlrev_b32_e32 v24, 1, v25
	global_load_ubyte v24, v24, s[4:5]
	s_waitcnt vmcnt(0)
	v_xor_b32_e32 v24, -1, v24
	v_and_b32_e32 v24, 1, v24
.LBB3116_77:
	s_or_b64 exec, exec, s[6:7]
	v_or_b32_e32 v25, 0xe00, v0
	v_cmp_gt_u32_e32 vcc, s33, v25
	s_and_saveexec_b64 s[6:7], vcc
	s_cbranch_execz .LBB3116_79
; %bb.78:
	v_lshlrev_b32_e32 v23, 1, v25
	global_load_ubyte v23, v23, s[4:5]
	s_waitcnt vmcnt(0)
	v_xor_b32_e32 v23, -1, v23
	v_and_b32_e32 v23, 1, v23
.LBB3116_79:
	;; [unrolled: 26-line block ×12, first 2 shown]
	s_or_b64 exec, exec, s[6:7]
	ds_write_b8 v0, v18
	ds_write_b8 v0, v15 offset:512
	ds_write_b8 v0, v20 offset:1024
	;; [unrolled: 1-line block ×27, first 2 shown]
	s_waitcnt lgkmcnt(0)
	s_barrier
.LBB3116_120:
	s_waitcnt lgkmcnt(0)
	ds_read2_b32 v[26:27], v1 offset1:1
	ds_read2_b32 v[24:25], v1 offset0:2 offset1:3
	ds_read2_b32 v[22:23], v1 offset0:4 offset1:5
	ds_read_b32 v34, v1 offset:24
	s_cmp_lg_u32 s2, 0
	v_lshrrev_b32_e32 v61, 6, v0
	s_waitcnt lgkmcnt(2)
	v_and_b32_e32 v53, 0xff, v24
	v_lshrrev_b32_e32 v41, 24, v26
	v_bfe_u32 v59, v26, 16, 8
	v_add_u32_sdwa v18, v26, v26 dst_sel:DWORD dst_unused:UNUSED_PAD src0_sel:BYTE_1 src1_sel:BYTE_0
	v_and_b32_e32 v56, 0xff, v27
	v_bfe_u32 v57, v27, 8, 8
	v_add3_u32 v18, v18, v59, v41
	v_lshrrev_b32_e32 v40, 24, v27
	v_bfe_u32 v58, v27, 16, 8
	v_add3_u32 v18, v18, v56, v57
	v_bfe_u32 v54, v24, 8, 8
	v_add3_u32 v18, v18, v58, v40
	v_lshrrev_b32_e32 v39, 24, v24
	v_bfe_u32 v55, v24, 16, 8
	v_add3_u32 v18, v18, v53, v54
	v_and_b32_e32 v50, 0xff, v25
	v_bfe_u32 v51, v25, 8, 8
	v_add3_u32 v18, v18, v55, v39
	v_lshrrev_b32_e32 v38, 24, v25
	v_bfe_u32 v52, v25, 16, 8
	v_add3_u32 v18, v18, v50, v51
	s_waitcnt lgkmcnt(1)
	v_and_b32_e32 v47, 0xff, v22
	v_bfe_u32 v48, v22, 8, 8
	v_add3_u32 v18, v18, v52, v38
	v_lshrrev_b32_e32 v37, 24, v22
	v_bfe_u32 v49, v22, 16, 8
	v_add3_u32 v18, v18, v47, v48
	v_and_b32_e32 v44, 0xff, v23
	v_bfe_u32 v45, v23, 8, 8
	v_add3_u32 v18, v18, v49, v37
	v_lshrrev_b32_e32 v36, 24, v23
	v_bfe_u32 v46, v23, 16, 8
	v_add3_u32 v18, v18, v44, v45
	s_waitcnt lgkmcnt(0)
	v_and_b32_e32 v42, 0xff, v34
	v_bfe_u32 v43, v34, 8, 8
	v_add3_u32 v18, v18, v46, v36
	v_lshrrev_b32_e32 v15, 24, v34
	v_bfe_u32 v35, v34, 16, 8
	v_add3_u32 v18, v18, v42, v43
	v_add3_u32 v62, v18, v35, v15
	v_mbcnt_lo_u32_b32 v18, -1, 0
	v_mbcnt_hi_u32_b32 v60, -1, v18
	v_and_b32_e32 v18, 15, v60
	v_cmp_eq_u32_e64 s[14:15], 0, v18
	v_cmp_lt_u32_e64 s[12:13], 1, v18
	v_cmp_lt_u32_e64 s[10:11], 3, v18
	;; [unrolled: 1-line block ×3, first 2 shown]
	v_and_b32_e32 v18, 16, v60
	v_cmp_eq_u32_e64 s[6:7], 0, v18
	v_or_b32_e32 v18, 63, v0
	v_cmp_lt_u32_e64 s[18:19], 31, v60
	v_cmp_eq_u32_e64 s[4:5], v18, v0
	s_barrier
	s_cbranch_scc0 .LBB3116_151
; %bb.121:
	v_mov_b32_dpp v18, v62 row_shr:1 row_mask:0xf bank_mask:0xf
	v_cndmask_b32_e64 v18, v18, 0, s[14:15]
	v_add_u32_e32 v18, v18, v62
	s_nop 1
	v_mov_b32_dpp v19, v18 row_shr:2 row_mask:0xf bank_mask:0xf
	v_cndmask_b32_e64 v19, 0, v19, s[12:13]
	v_add_u32_e32 v18, v18, v19
	s_nop 1
	;; [unrolled: 4-line block ×4, first 2 shown]
	v_mov_b32_dpp v19, v18 row_bcast:15 row_mask:0xf bank_mask:0xf
	v_cndmask_b32_e64 v19, v19, 0, s[6:7]
	v_add_u32_e32 v18, v18, v19
	s_nop 1
	v_mov_b32_dpp v19, v18 row_bcast:31 row_mask:0xf bank_mask:0xf
	v_cndmask_b32_e64 v19, 0, v19, s[18:19]
	v_add_u32_e32 v18, v18, v19
	s_and_saveexec_b64 s[16:17], s[4:5]
	s_cbranch_execz .LBB3116_123
; %bb.122:
	v_lshlrev_b32_e32 v19, 2, v61
	ds_write_b32 v19, v18
.LBB3116_123:
	s_or_b64 exec, exec, s[16:17]
	v_cmp_gt_u32_e32 vcc, 8, v0
	s_waitcnt lgkmcnt(0)
	s_barrier
	s_and_saveexec_b64 s[16:17], vcc
	s_cbranch_execz .LBB3116_125
; %bb.124:
	v_lshlrev_b32_e32 v19, 2, v0
	ds_read_b32 v20, v19
	v_and_b32_e32 v21, 7, v60
	v_cmp_ne_u32_e32 vcc, 0, v21
	s_waitcnt lgkmcnt(0)
	v_mov_b32_dpp v28, v20 row_shr:1 row_mask:0xf bank_mask:0xf
	v_cndmask_b32_e32 v28, 0, v28, vcc
	v_add_u32_e32 v20, v28, v20
	v_cmp_lt_u32_e32 vcc, 1, v21
	s_nop 0
	v_mov_b32_dpp v28, v20 row_shr:2 row_mask:0xf bank_mask:0xf
	v_cndmask_b32_e32 v28, 0, v28, vcc
	v_add_u32_e32 v20, v20, v28
	v_cmp_lt_u32_e32 vcc, 3, v21
	s_nop 0
	v_mov_b32_dpp v28, v20 row_shr:4 row_mask:0xf bank_mask:0xf
	v_cndmask_b32_e32 v21, 0, v28, vcc
	v_add_u32_e32 v20, v20, v21
	ds_write_b32 v19, v20
.LBB3116_125:
	s_or_b64 exec, exec, s[16:17]
	v_cmp_gt_u32_e32 vcc, 64, v0
	v_cmp_lt_u32_e64 s[16:17], 63, v0
	s_waitcnt lgkmcnt(0)
	s_barrier
	s_waitcnt lgkmcnt(0)
                                        ; implicit-def: $vgpr63
	s_and_saveexec_b64 s[30:31], s[16:17]
	s_cbranch_execz .LBB3116_127
; %bb.126:
	v_lshl_add_u32 v19, v61, 2, -4
	ds_read_b32 v63, v19
	s_waitcnt lgkmcnt(0)
	v_add_u32_e32 v18, v63, v18
.LBB3116_127:
	s_or_b64 exec, exec, s[30:31]
	v_add_u32_e32 v19, -1, v60
	v_and_b32_e32 v20, 64, v60
	v_cmp_lt_i32_e64 s[16:17], v19, v20
	s_nop 1
	v_cndmask_b32_e64 v19, v19, v60, s[16:17]
	v_lshlrev_b32_e32 v19, 2, v19
	ds_bpermute_b32 v64, v19, v18
	v_cmp_eq_u32_e64 s[16:17], 0, v60
	s_and_saveexec_b64 s[30:31], vcc
	s_cbranch_execz .LBB3116_150
; %bb.128:
	v_mov_b32_e32 v33, 0
	ds_read_b32 v18, v33 offset:28
	s_and_saveexec_b64 s[34:35], s[16:17]
	s_cbranch_execz .LBB3116_130
; %bb.129:
	s_add_i32 s36, s2, 64
	s_mov_b32 s37, 0
	s_lshl_b64 s[36:37], s[36:37], 3
	s_add_u32 s36, s28, s36
	v_mov_b32_e32 v19, 1
	s_addc_u32 s37, s29, s37
	s_waitcnt lgkmcnt(0)
	global_store_dwordx2 v33, v[18:19], s[36:37] sc1
.LBB3116_130:
	s_or_b64 exec, exec, s[34:35]
	v_xad_u32 v20, v60, -1, s2
	v_add_u32_e32 v32, 64, v20
	v_lshl_add_u64 v[28:29], v[32:33], 3, s[28:29]
	global_load_dwordx2 v[30:31], v[28:29], off sc1
	s_waitcnt vmcnt(0)
	v_cmp_eq_u16_sdwa s[36:37], v31, v33 src0_sel:BYTE_0 src1_sel:DWORD
	s_and_saveexec_b64 s[34:35], s[36:37]
	s_cbranch_execz .LBB3116_136
; %bb.131:
	s_mov_b32 s3, 1
	s_mov_b64 s[36:37], 0
	v_mov_b32_e32 v19, 0
.LBB3116_132:                           ; =>This Loop Header: Depth=1
                                        ;     Child Loop BB3116_133 Depth 2
	s_max_u32 s38, s3, 1
.LBB3116_133:                           ;   Parent Loop BB3116_132 Depth=1
                                        ; =>  This Inner Loop Header: Depth=2
	s_add_i32 s38, s38, -1
	s_cmp_eq_u32 s38, 0
	s_sleep 1
	s_cbranch_scc0 .LBB3116_133
; %bb.134:                              ;   in Loop: Header=BB3116_132 Depth=1
	global_load_dwordx2 v[30:31], v[28:29], off sc1
	s_cmp_lt_u32 s3, 32
	s_cselect_b64 s[38:39], -1, 0
	s_cmp_lg_u64 s[38:39], 0
	s_addc_u32 s3, s3, 0
	s_waitcnt vmcnt(0)
	v_cmp_ne_u16_sdwa s[38:39], v31, v19 src0_sel:BYTE_0 src1_sel:DWORD
	s_or_b64 s[36:37], s[38:39], s[36:37]
	s_andn2_b64 exec, exec, s[36:37]
	s_cbranch_execnz .LBB3116_132
; %bb.135:
	s_or_b64 exec, exec, s[36:37]
.LBB3116_136:
	s_or_b64 exec, exec, s[34:35]
	v_and_b32_e32 v66, 63, v60
	v_mov_b32_e32 v65, 2
	v_cmp_ne_u32_e32 vcc, 63, v66
	v_cmp_eq_u16_sdwa s[34:35], v31, v65 src0_sel:BYTE_0 src1_sel:DWORD
	v_lshlrev_b64 v[28:29], v60, -1
	v_addc_co_u32_e32 v32, vcc, 0, v60, vcc
	v_and_b32_e32 v19, s35, v29
	v_lshlrev_b32_e32 v67, 2, v32
	v_or_b32_e32 v19, 0x80000000, v19
	ds_bpermute_b32 v32, v67, v30
	v_and_b32_e32 v21, s34, v28
	v_ffbl_b32_e32 v19, v19
	v_add_u32_e32 v19, 32, v19
	v_ffbl_b32_e32 v21, v21
	v_min_u32_e32 v19, v21, v19
	v_cmp_lt_u32_e32 vcc, v66, v19
	v_add_u32_e32 v69, 2, v66
	v_add_u32_e32 v71, 4, v66
	s_waitcnt lgkmcnt(0)
	v_cndmask_b32_e32 v21, 0, v32, vcc
	v_cmp_gt_u32_e32 vcc, 62, v66
	v_add_u32_e32 v21, v21, v30
	v_add_u32_e32 v73, 8, v66
	v_cndmask_b32_e64 v30, 0, 1, vcc
	v_lshlrev_b32_e32 v30, 1, v30
	v_add_lshl_u32 v68, v30, v60, 2
	ds_bpermute_b32 v30, v68, v21
	v_cmp_le_u32_e32 vcc, v69, v19
	v_add_u32_e32 v75, 16, v66
	v_add_u32_e32 v77, 32, v66
	s_waitcnt lgkmcnt(0)
	v_cndmask_b32_e32 v30, 0, v30, vcc
	v_cmp_gt_u32_e32 vcc, 60, v66
	v_add_u32_e32 v21, v21, v30
	s_nop 0
	v_cndmask_b32_e64 v30, 0, 1, vcc
	v_lshlrev_b32_e32 v30, 2, v30
	v_add_lshl_u32 v70, v30, v60, 2
	ds_bpermute_b32 v30, v70, v21
	v_cmp_le_u32_e32 vcc, v71, v19
	s_waitcnt lgkmcnt(0)
	s_nop 0
	v_cndmask_b32_e32 v30, 0, v30, vcc
	v_cmp_gt_u32_e32 vcc, 56, v66
	v_add_u32_e32 v21, v21, v30
	s_nop 0
	v_cndmask_b32_e64 v30, 0, 1, vcc
	v_lshlrev_b32_e32 v30, 3, v30
	v_add_lshl_u32 v72, v30, v60, 2
	ds_bpermute_b32 v30, v72, v21
	v_cmp_le_u32_e32 vcc, v73, v19
	s_waitcnt lgkmcnt(0)
	s_nop 0
	;; [unrolled: 11-line block ×4, first 2 shown]
	v_cndmask_b32_e32 v19, 0, v30, vcc
	v_add_u32_e32 v30, v21, v19
	v_mov_b32_e32 v21, 0
	s_branch .LBB3116_138
.LBB3116_137:                           ;   in Loop: Header=BB3116_138 Depth=1
	s_or_b64 exec, exec, s[34:35]
	v_cmp_eq_u16_sdwa s[34:35], v31, v65 src0_sel:BYTE_0 src1_sel:DWORD
	ds_bpermute_b32 v78, v67, v30
	v_subrev_u32_e32 v20, 64, v20
	v_and_b32_e32 v32, s35, v29
	v_or_b32_e32 v32, 0x80000000, v32
	v_and_b32_e32 v33, s34, v28
	v_ffbl_b32_e32 v32, v32
	v_add_u32_e32 v32, 32, v32
	v_ffbl_b32_e32 v33, v33
	v_min_u32_e32 v32, v33, v32
	v_cmp_lt_u32_e32 vcc, v66, v32
	s_waitcnt lgkmcnt(0)
	s_nop 0
	v_cndmask_b32_e32 v33, 0, v78, vcc
	v_add_u32_e32 v30, v33, v30
	ds_bpermute_b32 v33, v68, v30
	v_cmp_le_u32_e32 vcc, v69, v32
	s_waitcnt lgkmcnt(0)
	s_nop 0
	v_cndmask_b32_e32 v33, 0, v33, vcc
	v_add_u32_e32 v30, v30, v33
	ds_bpermute_b32 v33, v70, v30
	v_cmp_le_u32_e32 vcc, v71, v32
	;; [unrolled: 6-line block ×5, first 2 shown]
	s_waitcnt lgkmcnt(0)
	s_nop 0
	v_cndmask_b32_e32 v32, 0, v33, vcc
	v_add3_u32 v30, v32, v19, v30
.LBB3116_138:                           ; =>This Loop Header: Depth=1
                                        ;     Child Loop BB3116_141 Depth 2
                                        ;       Child Loop BB3116_142 Depth 3
	v_cmp_ne_u16_sdwa s[34:35], v31, v65 src0_sel:BYTE_0 src1_sel:DWORD
	s_nop 1
	v_cndmask_b32_e64 v19, 0, 1, s[34:35]
	;;#ASMSTART
	;;#ASMEND
	s_nop 0
	v_cmp_ne_u32_e32 vcc, 0, v19
	s_cmp_lg_u64 vcc, exec
	v_mov_b32_e32 v19, v30
	s_cbranch_scc1 .LBB3116_145
; %bb.139:                              ;   in Loop: Header=BB3116_138 Depth=1
	v_lshl_add_u64 v[32:33], v[20:21], 3, s[28:29]
	global_load_dwordx2 v[30:31], v[32:33], off sc1
	s_waitcnt vmcnt(0)
	v_cmp_eq_u16_sdwa s[36:37], v31, v21 src0_sel:BYTE_0 src1_sel:DWORD
	s_and_saveexec_b64 s[34:35], s[36:37]
	s_cbranch_execz .LBB3116_137
; %bb.140:                              ;   in Loop: Header=BB3116_138 Depth=1
	s_mov_b32 s3, 1
	s_mov_b64 s[36:37], 0
.LBB3116_141:                           ;   Parent Loop BB3116_138 Depth=1
                                        ; =>  This Loop Header: Depth=2
                                        ;       Child Loop BB3116_142 Depth 3
	s_max_u32 s38, s3, 1
.LBB3116_142:                           ;   Parent Loop BB3116_138 Depth=1
                                        ;     Parent Loop BB3116_141 Depth=2
                                        ; =>    This Inner Loop Header: Depth=3
	s_add_i32 s38, s38, -1
	s_cmp_eq_u32 s38, 0
	s_sleep 1
	s_cbranch_scc0 .LBB3116_142
; %bb.143:                              ;   in Loop: Header=BB3116_141 Depth=2
	global_load_dwordx2 v[30:31], v[32:33], off sc1
	s_cmp_lt_u32 s3, 32
	s_cselect_b64 s[38:39], -1, 0
	s_cmp_lg_u64 s[38:39], 0
	s_addc_u32 s3, s3, 0
	s_waitcnt vmcnt(0)
	v_cmp_ne_u16_sdwa s[38:39], v31, v21 src0_sel:BYTE_0 src1_sel:DWORD
	s_or_b64 s[36:37], s[38:39], s[36:37]
	s_andn2_b64 exec, exec, s[36:37]
	s_cbranch_execnz .LBB3116_141
; %bb.144:                              ;   in Loop: Header=BB3116_138 Depth=1
	s_or_b64 exec, exec, s[36:37]
	s_branch .LBB3116_137
.LBB3116_145:                           ;   in Loop: Header=BB3116_138 Depth=1
                                        ; implicit-def: $vgpr30
                                        ; implicit-def: $vgpr31
	s_cbranch_execz .LBB3116_138
; %bb.146:
	s_and_saveexec_b64 s[34:35], s[16:17]
	s_cbranch_execz .LBB3116_148
; %bb.147:
	s_add_i32 s2, s2, 64
	s_mov_b32 s3, 0
	s_lshl_b64 s[2:3], s[2:3], 3
	s_add_u32 s2, s28, s2
	v_add_u32_e32 v20, v19, v18
	v_mov_b32_e32 v21, 2
	s_addc_u32 s3, s29, s3
	v_mov_b32_e32 v28, 0
	global_store_dwordx2 v28, v[20:21], s[2:3] sc1
	ds_write_b64 v28, v[18:19] offset:28672
.LBB3116_148:
	s_or_b64 exec, exec, s[34:35]
	v_cmp_eq_u32_e32 vcc, 0, v0
	s_and_b64 exec, exec, vcc
	s_cbranch_execz .LBB3116_150
; %bb.149:
	v_mov_b32_e32 v18, 0
	ds_write_b32 v18, v19 offset:28
.LBB3116_150:
	s_or_b64 exec, exec, s[30:31]
	v_mov_b32_e32 v18, 0
	s_waitcnt lgkmcnt(0)
	s_barrier
	ds_read_b32 v21, v18 offset:28
	s_waitcnt lgkmcnt(0)
	s_barrier
	ds_read_b64 v[18:19], v18 offset:28672
	v_cndmask_b32_e64 v20, v64, v63, s[16:17]
	v_cmp_ne_u32_e32 vcc, 0, v0
	s_nop 1
	v_cndmask_b32_e32 v20, 0, v20, vcc
	v_add_u32_e32 v32, v21, v20
	s_waitcnt lgkmcnt(0)
	v_mov_b32_e32 v20, v19
	s_load_dwordx2 s[2:3], s[0:1], 0x30
	s_branch .LBB3116_161
.LBB3116_151:
                                        ; implicit-def: $vgpr20
                                        ; implicit-def: $vgpr18
                                        ; implicit-def: $vgpr32
	s_load_dwordx2 s[2:3], s[0:1], 0x30
	s_cbranch_execz .LBB3116_161
; %bb.152:
	v_mov_b32_dpp v18, v62 row_shr:1 row_mask:0xf bank_mask:0xf
	v_cndmask_b32_e64 v18, v18, 0, s[14:15]
	v_add_u32_e32 v18, v18, v62
	s_nop 1
	v_mov_b32_dpp v19, v18 row_shr:2 row_mask:0xf bank_mask:0xf
	v_cndmask_b32_e64 v19, 0, v19, s[12:13]
	v_add_u32_e32 v18, v18, v19
	s_nop 1
	;; [unrolled: 4-line block ×4, first 2 shown]
	v_mov_b32_dpp v19, v18 row_bcast:15 row_mask:0xf bank_mask:0xf
	v_cndmask_b32_e64 v19, v19, 0, s[6:7]
	v_add_u32_e32 v18, v18, v19
	s_nop 1
	v_mov_b32_dpp v19, v18 row_bcast:31 row_mask:0xf bank_mask:0xf
	v_cndmask_b32_e64 v19, 0, v19, s[18:19]
	v_add_u32_e32 v18, v18, v19
	s_and_saveexec_b64 s[0:1], s[4:5]
	s_cbranch_execz .LBB3116_154
; %bb.153:
	v_lshlrev_b32_e32 v19, 2, v61
	ds_write_b32 v19, v18
.LBB3116_154:
	s_or_b64 exec, exec, s[0:1]
	v_cmp_gt_u32_e32 vcc, 8, v0
	s_waitcnt lgkmcnt(0)
	s_barrier
	s_and_saveexec_b64 s[0:1], vcc
	s_cbranch_execz .LBB3116_156
; %bb.155:
	v_lshlrev_b32_e32 v19, 2, v0
	ds_read_b32 v20, v19
	v_and_b32_e32 v21, 7, v60
	v_cmp_ne_u32_e32 vcc, 0, v21
	s_waitcnt lgkmcnt(0)
	v_mov_b32_dpp v28, v20 row_shr:1 row_mask:0xf bank_mask:0xf
	v_cndmask_b32_e32 v28, 0, v28, vcc
	v_add_u32_e32 v20, v28, v20
	v_cmp_lt_u32_e32 vcc, 1, v21
	s_nop 0
	v_mov_b32_dpp v28, v20 row_shr:2 row_mask:0xf bank_mask:0xf
	v_cndmask_b32_e32 v28, 0, v28, vcc
	v_add_u32_e32 v20, v20, v28
	v_cmp_lt_u32_e32 vcc, 3, v21
	s_nop 0
	v_mov_b32_dpp v28, v20 row_shr:4 row_mask:0xf bank_mask:0xf
	v_cndmask_b32_e32 v21, 0, v28, vcc
	v_add_u32_e32 v20, v20, v21
	ds_write_b32 v19, v20
.LBB3116_156:
	s_or_b64 exec, exec, s[0:1]
	v_cmp_lt_u32_e32 vcc, 63, v0
	v_mov_b32_e32 v19, 0
	v_mov_b32_e32 v20, 0
	s_waitcnt lgkmcnt(0)
	s_barrier
	s_and_saveexec_b64 s[0:1], vcc
	s_cbranch_execz .LBB3116_158
; %bb.157:
	v_lshl_add_u32 v20, v61, 2, -4
	ds_read_b32 v20, v20
.LBB3116_158:
	s_or_b64 exec, exec, s[0:1]
	v_add_u32_e32 v21, -1, v60
	v_and_b32_e32 v28, 64, v60
	v_cmp_lt_i32_e32 vcc, v21, v28
	s_waitcnt lgkmcnt(0)
	v_add_u32_e32 v18, v20, v18
	v_cndmask_b32_e32 v21, v21, v60, vcc
	v_lshlrev_b32_e32 v21, 2, v21
	ds_bpermute_b32 v21, v21, v18
	ds_read_b32 v18, v19 offset:28
	v_cmp_eq_u32_e32 vcc, 0, v0
	s_and_saveexec_b64 s[0:1], vcc
	s_cbranch_execz .LBB3116_160
; %bb.159:
	v_mov_b32_e32 v28, 0
	v_mov_b32_e32 v19, 2
	s_waitcnt lgkmcnt(0)
	global_store_dwordx2 v28, v[18:19], s[28:29] offset:512 sc1
.LBB3116_160:
	s_or_b64 exec, exec, s[0:1]
	v_cmp_eq_u32_e64 s[0:1], 0, v60
	s_waitcnt lgkmcnt(0)
	s_barrier
	v_cndmask_b32_e64 v19, v21, v20, s[0:1]
	v_mov_b32_e32 v20, 0
	v_cndmask_b32_e64 v32, v19, 0, vcc
.LBB3116_161:
	v_add_u32_sdwa v60, v32, v26 dst_sel:DWORD dst_unused:UNUSED_PAD src0_sel:DWORD src1_sel:BYTE_0
	v_add_u32_e32 v1, v18, v1
	v_sub_u32_e32 v32, v32, v20
	v_and_b32_e32 v69, 1, v26
	v_sub_u32_e32 v68, v1, v32
	v_cmp_eq_u32_e32 vcc, 1, v69
	v_lshrrev_b32_e32 v33, 8, v26
	v_add_u32_sdwa v61, v60, v26 dst_sel:DWORD dst_unused:UNUSED_PAD src0_sel:DWORD src1_sel:BYTE_1
	v_cndmask_b32_e32 v32, v68, v32, vcc
	v_lshlrev_b32_e32 v32, 1, v32
	ds_write_b16 v32, v10
	v_sub_u32_e32 v32, v60, v20
	v_sub_u32_e32 v60, v1, v32
	v_and_b32_e32 v33, 1, v33
	v_add_u32_e32 v60, 1, v60
	v_cmp_eq_u32_e32 vcc, 1, v33
	v_mov_b32_e32 v33, 1
	v_and_b32_sdwa v26, v33, v26 dst_sel:DWORD dst_unused:UNUSED_PAD src0_sel:DWORD src1_sel:WORD_1
	v_cndmask_b32_e32 v32, v60, v32, vcc
	v_lshlrev_b32_e32 v32, 1, v32
	ds_write_b16_d16_hi v32, v10
	v_sub_u32_e32 v10, v61, v20
	v_sub_u32_e32 v32, v1, v10
	v_add_u32_e32 v32, 2, v32
	v_cmp_eq_u32_e32 vcc, 1, v26
	v_add_u32_e32 v59, v61, v59
	v_add_u32_e32 v62, v59, v41
	v_cndmask_b32_e32 v10, v32, v10, vcc
	v_lshlrev_b32_e32 v10, 1, v10
	ds_write_b16 v10, v11
	v_sub_u32_e32 v10, v59, v20
	v_sub_u32_e32 v26, v1, v10
	v_and_b32_e32 v32, 1, v41
	v_add_u32_e32 v26, 3, v26
	v_cmp_eq_u32_e32 vcc, 1, v32
	v_add_u32_e32 v56, v62, v56
	v_lshrrev_b32_e32 v31, 8, v27
	v_cndmask_b32_e32 v10, v26, v10, vcc
	v_lshlrev_b32_e32 v10, 1, v10
	ds_write_b16_d16_hi v10, v11
	v_sub_u32_e32 v10, v62, v20
	v_sub_u32_e32 v11, v1, v10
	v_and_b32_e32 v26, 1, v27
	v_add_u32_e32 v11, 4, v11
	v_cmp_eq_u32_e32 vcc, 1, v26
	v_and_b32_e32 v26, 1, v31
	v_add_u32_e32 v57, v56, v57
	v_cndmask_b32_e32 v10, v11, v10, vcc
	v_lshlrev_b32_e32 v10, 1, v10
	ds_write_b16 v10, v12
	v_sub_u32_e32 v10, v56, v20
	v_sub_u32_e32 v11, v1, v10
	v_add_u32_e32 v11, 5, v11
	v_cmp_eq_u32_e32 vcc, 1, v26
	v_add_u32_e32 v58, v57, v58
	v_add_u32_e32 v63, v58, v40
	v_cndmask_b32_e32 v10, v11, v10, vcc
	v_lshlrev_b32_e32 v10, 1, v10
	ds_write_b16_d16_hi v10, v12
	v_sub_u32_e32 v10, v57, v20
	v_sub_u32_e32 v11, v1, v10
	v_and_b32_sdwa v12, v33, v27 dst_sel:DWORD dst_unused:UNUSED_PAD src0_sel:DWORD src1_sel:WORD_1
	v_add_u32_e32 v11, 6, v11
	v_cmp_eq_u32_e32 vcc, 1, v12
	v_and_b32_e32 v12, 1, v40
	v_add_u32_e32 v53, v63, v53
	v_cndmask_b32_e32 v10, v11, v10, vcc
	v_lshlrev_b32_e32 v10, 1, v10
	ds_write_b16 v10, v13
	v_sub_u32_e32 v10, v58, v20
	v_sub_u32_e32 v11, v1, v10
	v_add_u32_e32 v11, 7, v11
	v_cmp_eq_u32_e32 vcc, 1, v12
	v_and_b32_e32 v12, 1, v24
	v_lshrrev_b32_e32 v30, 8, v24
	v_cndmask_b32_e32 v10, v11, v10, vcc
	v_lshlrev_b32_e32 v10, 1, v10
	ds_write_b16_d16_hi v10, v13
	v_sub_u32_e32 v10, v63, v20
	v_sub_u32_e32 v11, v1, v10
	v_add_u32_e32 v11, 8, v11
	v_cmp_eq_u32_e32 vcc, 1, v12
	v_and_b32_e32 v12, 1, v30
	v_add_u32_e32 v54, v53, v54
	v_cndmask_b32_e32 v10, v11, v10, vcc
	v_lshlrev_b32_e32 v10, 1, v10
	ds_write_b16 v10, v6
	v_sub_u32_e32 v10, v53, v20
	v_sub_u32_e32 v11, v1, v10
	v_add_u32_e32 v11, 9, v11
	v_cmp_eq_u32_e32 vcc, 1, v12
	v_add_u32_e32 v55, v54, v55
	v_add_u32_e32 v64, v55, v39
	v_cndmask_b32_e32 v10, v11, v10, vcc
	v_lshlrev_b32_e32 v10, 1, v10
	ds_write_b16_d16_hi v10, v6
	v_sub_u32_e32 v6, v54, v20
	v_sub_u32_e32 v10, v1, v6
	v_and_b32_sdwa v11, v33, v24 dst_sel:DWORD dst_unused:UNUSED_PAD src0_sel:DWORD src1_sel:WORD_1
	v_add_u32_e32 v10, 10, v10
	v_cmp_eq_u32_e32 vcc, 1, v11
	v_and_b32_e32 v11, 1, v39
	v_add_u32_e32 v50, v64, v50
	v_cndmask_b32_e32 v6, v10, v6, vcc
	v_lshlrev_b32_e32 v6, 1, v6
	ds_write_b16 v6, v7
	v_sub_u32_e32 v6, v55, v20
	v_sub_u32_e32 v10, v1, v6
	v_add_u32_e32 v10, 11, v10
	v_cmp_eq_u32_e32 vcc, 1, v11
	v_lshrrev_b32_e32 v29, 8, v25
	v_add_u32_e32 v51, v50, v51
	v_cndmask_b32_e32 v6, v10, v6, vcc
	v_lshlrev_b32_e32 v6, 1, v6
	ds_write_b16_d16_hi v6, v7
	v_sub_u32_e32 v6, v64, v20
	v_sub_u32_e32 v7, v1, v6
	v_and_b32_e32 v10, 1, v25
	v_add_u32_e32 v7, 12, v7
	v_cmp_eq_u32_e32 vcc, 1, v10
	v_and_b32_e32 v10, 1, v29
	v_add_u32_e32 v52, v51, v52
	v_cndmask_b32_e32 v6, v7, v6, vcc
	v_lshlrev_b32_e32 v6, 1, v6
	ds_write_b16 v6, v8
	v_sub_u32_e32 v6, v50, v20
	v_sub_u32_e32 v7, v1, v6
	v_add_u32_e32 v7, 13, v7
	v_cmp_eq_u32_e32 vcc, 1, v10
	v_add_u32_e32 v65, v52, v38
	v_add_u32_e32 v47, v65, v47
	v_cndmask_b32_e32 v6, v7, v6, vcc
	v_lshlrev_b32_e32 v6, 1, v6
	ds_write_b16_d16_hi v6, v8
	v_sub_u32_e32 v6, v51, v20
	v_sub_u32_e32 v7, v1, v6
	v_and_b32_sdwa v8, v33, v25 dst_sel:DWORD dst_unused:UNUSED_PAD src0_sel:DWORD src1_sel:WORD_1
	v_add_u32_e32 v7, 14, v7
	v_cmp_eq_u32_e32 vcc, 1, v8
	v_and_b32_e32 v8, 1, v38
	v_lshrrev_b32_e32 v28, 8, v22
	v_cndmask_b32_e32 v6, v7, v6, vcc
	v_lshlrev_b32_e32 v6, 1, v6
	ds_write_b16 v6, v9
	v_sub_u32_e32 v6, v52, v20
	v_sub_u32_e32 v7, v1, v6
	v_add_u32_e32 v7, 15, v7
	v_cmp_eq_u32_e32 vcc, 1, v8
	v_and_b32_e32 v8, 1, v22
	v_add_u32_e32 v48, v47, v48
	v_cndmask_b32_e32 v6, v7, v6, vcc
	v_lshlrev_b32_e32 v6, 1, v6
	ds_write_b16_d16_hi v6, v9
	v_sub_u32_e32 v6, v65, v20
	v_sub_u32_e32 v7, v1, v6
	v_add_u32_e32 v7, 16, v7
	v_cmp_eq_u32_e32 vcc, 1, v8
	v_and_b32_e32 v8, 1, v28
	v_add_u32_e32 v49, v48, v49
	v_cndmask_b32_e32 v6, v7, v6, vcc
	v_lshlrev_b32_e32 v6, 1, v6
	ds_write_b16 v6, v2
	v_sub_u32_e32 v6, v47, v20
	v_sub_u32_e32 v7, v1, v6
	v_add_u32_e32 v7, 17, v7
	v_cmp_eq_u32_e32 vcc, 1, v8
	v_add_u32_e32 v66, v49, v37
	v_add_u32_e32 v44, v66, v44
	v_cndmask_b32_e32 v6, v7, v6, vcc
	v_lshlrev_b32_e32 v6, 1, v6
	ds_write_b16_d16_hi v6, v2
	v_sub_u32_e32 v2, v48, v20
	v_sub_u32_e32 v6, v1, v2
	v_and_b32_sdwa v7, v33, v22 dst_sel:DWORD dst_unused:UNUSED_PAD src0_sel:DWORD src1_sel:WORD_1
	v_add_u32_e32 v6, 18, v6
	v_cmp_eq_u32_e32 vcc, 1, v7
	v_and_b32_e32 v7, 1, v37
	v_lshrrev_b32_e32 v21, 8, v23
	v_cndmask_b32_e32 v2, v6, v2, vcc
	v_lshlrev_b32_e32 v2, 1, v2
	ds_write_b16 v2, v3
	v_sub_u32_e32 v2, v49, v20
	v_sub_u32_e32 v6, v1, v2
	v_add_u32_e32 v6, 19, v6
	v_cmp_eq_u32_e32 vcc, 1, v7
	v_add_u32_e32 v45, v44, v45
	v_add_u32_e32 v46, v45, v46
	v_cndmask_b32_e32 v2, v6, v2, vcc
	v_lshlrev_b32_e32 v2, 1, v2
	ds_write_b16_d16_hi v2, v3
	v_sub_u32_e32 v2, v66, v20
	v_sub_u32_e32 v3, v1, v2
	v_and_b32_e32 v6, 1, v23
	v_add_u32_e32 v3, 20, v3
	v_cmp_eq_u32_e32 vcc, 1, v6
	v_and_b32_e32 v6, 1, v21
	v_add_u32_e32 v67, v46, v36
	v_cndmask_b32_e32 v2, v3, v2, vcc
	v_lshlrev_b32_e32 v2, 1, v2
	ds_write_b16 v2, v4
	v_sub_u32_e32 v2, v44, v20
	v_sub_u32_e32 v3, v1, v2
	v_add_u32_e32 v3, 21, v3
	v_cmp_eq_u32_e32 vcc, 1, v6
	v_add_u32_e32 v42, v67, v42
	v_lshrrev_b32_e32 v19, 8, v34
	v_cndmask_b32_e32 v2, v3, v2, vcc
	v_lshlrev_b32_e32 v2, 1, v2
	ds_write_b16_d16_hi v2, v4
	v_sub_u32_e32 v2, v45, v20
	v_sub_u32_e32 v3, v1, v2
	v_and_b32_sdwa v4, v33, v23 dst_sel:DWORD dst_unused:UNUSED_PAD src0_sel:DWORD src1_sel:WORD_1
	v_add_u32_e32 v3, 22, v3
	v_cmp_eq_u32_e32 vcc, 1, v4
	v_and_b32_e32 v4, 1, v36
	v_add_u32_e32 v43, v42, v43
	v_cndmask_b32_e32 v2, v3, v2, vcc
	v_lshlrev_b32_e32 v2, 1, v2
	ds_write_b16 v2, v5
	v_sub_u32_e32 v2, v46, v20
	v_sub_u32_e32 v3, v1, v2
	v_add_u32_e32 v3, 23, v3
	v_cmp_eq_u32_e32 vcc, 1, v4
	v_and_b32_e32 v4, 1, v34
	v_or_b32_e32 v59, 0x200, v0
	v_cndmask_b32_e32 v2, v3, v2, vcc
	v_lshlrev_b32_e32 v2, 1, v2
	ds_write_b16_d16_hi v2, v5
	v_sub_u32_e32 v2, v67, v20
	v_sub_u32_e32 v3, v1, v2
	v_add_u32_e32 v3, 24, v3
	v_cmp_eq_u32_e32 vcc, 1, v4
	v_and_b32_e32 v4, 1, v19
	v_or_b32_e32 v57, 0x400, v0
	v_cndmask_b32_e32 v2, v3, v2, vcc
	v_lshlrev_b32_e32 v2, 1, v2
	ds_write_b16 v2, v16
	v_sub_u32_e32 v2, v42, v20
	v_sub_u32_e32 v3, v1, v2
	v_add_u32_e32 v3, 25, v3
	v_cmp_eq_u32_e32 vcc, 1, v4
	v_and_b32_sdwa v4, v33, v34 dst_sel:DWORD dst_unused:UNUSED_PAD src0_sel:DWORD src1_sel:WORD_1
	v_or_b32_e32 v55, 0x600, v0
	v_cndmask_b32_e32 v2, v3, v2, vcc
	v_lshlrev_b32_e32 v2, 1, v2
	ds_write_b16_d16_hi v2, v16
	v_sub_u32_e32 v2, v43, v20
	v_sub_u32_e32 v3, v1, v2
	v_add_u32_e32 v3, 26, v3
	v_cmp_eq_u32_e32 vcc, 1, v4
	v_or_b32_e32 v53, 0x800, v0
	v_or_b32_e32 v51, 0xa00, v0
	v_cndmask_b32_e32 v2, v3, v2, vcc
	v_lshlrev_b32_e32 v2, 1, v2
	ds_write_b16 v2, v17
	v_sub_u32_e32 v2, v35, v20
	v_add_u32_e32 v2, v43, v2
	v_sub_u32_e32 v1, v1, v2
	v_and_b32_e32 v3, 1, v15
	v_add_u32_e32 v1, 27, v1
	v_cmp_eq_u32_e32 vcc, 1, v3
	v_or_b32_e32 v49, 0xc00, v0
	v_or_b32_e32 v46, 0xe00, v0
	v_cndmask_b32_e32 v1, v1, v2, vcc
	v_lshlrev_b32_e32 v1, 1, v1
	ds_write_b16_d16_hi v1, v17
	s_waitcnt lgkmcnt(0)
	s_barrier
	ds_read_u16 v61, v14
	ds_read_u16 v60, v14 offset:1024
	ds_read_u16 v58, v14 offset:2048
	ds_read_u16 v56, v14 offset:3072
	ds_read_u16 v54, v14 offset:4096
	ds_read_u16 v52, v14 offset:5120
	ds_read_u16 v50, v14 offset:6144
	ds_read_u16 v47, v14 offset:7168
	ds_read_u16 v48, v14 offset:8192
	ds_read_u16 v44, v14 offset:9216
	ds_read_u16 v42, v14 offset:10240
	ds_read_u16 v40, v14 offset:11264
	ds_read_u16 v38, v14 offset:12288
	ds_read_u16 v36, v14 offset:13312
	ds_read_u16 v34, v14 offset:14336
	ds_read_u16 v31, v14 offset:15360
	ds_read_u16 v32, v14 offset:16384
	ds_read_u16 v28, v14 offset:17408
	ds_read_u16 v26, v14 offset:18432
	ds_read_u16 v24, v14 offset:19456
	ds_read_u16 v22, v14 offset:20480
	ds_read_u16 v17, v14 offset:21504
	ds_read_u16 v15, v14 offset:22528
	ds_read_u16 v12, v14 offset:23552
	ds_read_u16 v9, v14 offset:24576
	ds_read_u16 v7, v14 offset:25600
	ds_read_u16 v5, v14 offset:26624
	ds_read_u16 v1, v14 offset:27648
	v_or_b32_e32 v45, 0x1000, v0
	v_or_b32_e32 v43, 0x1200, v0
	;; [unrolled: 1-line block ×19, first 2 shown]
	s_andn2_b64 vcc, exec, s[26:27]
	v_or_b32_e32 v4, 0x3600, v0
	s_cbranch_vccnz .LBB3116_191
; %bb.162:
	s_lshl_b64 s[0:1], s[22:23], 1
	v_mov_b32_e32 v21, 0
	s_add_u32 s0, s2, s0
	s_addc_u32 s1, s3, s1
	v_lshlrev_b64 v[2:3], 1, v[20:21]
	v_lshl_add_u64 v[2:3], s[0:1], 0, v[2:3]
	v_cmp_lt_u32_e32 vcc, v0, v18
	s_and_saveexec_b64 s[0:1], vcc
	s_cbranch_execnz .LBB3116_226
; %bb.163:
	s_or_b64 exec, exec, s[0:1]
	v_cmp_lt_u32_e32 vcc, v59, v18
	s_and_saveexec_b64 s[0:1], vcc
	s_cbranch_execnz .LBB3116_227
.LBB3116_164:
	s_or_b64 exec, exec, s[0:1]
	v_cmp_lt_u32_e32 vcc, v57, v18
	s_and_saveexec_b64 s[0:1], vcc
	s_cbranch_execnz .LBB3116_228
.LBB3116_165:
	s_or_b64 exec, exec, s[0:1]
	v_cmp_lt_u32_e32 vcc, v55, v18
	s_and_saveexec_b64 s[0:1], vcc
	s_cbranch_execnz .LBB3116_229
.LBB3116_166:
	s_or_b64 exec, exec, s[0:1]
	v_cmp_lt_u32_e32 vcc, v53, v18
	s_and_saveexec_b64 s[0:1], vcc
	s_cbranch_execnz .LBB3116_230
.LBB3116_167:
	s_or_b64 exec, exec, s[0:1]
	v_cmp_lt_u32_e32 vcc, v51, v18
	s_and_saveexec_b64 s[0:1], vcc
	s_cbranch_execnz .LBB3116_231
.LBB3116_168:
	s_or_b64 exec, exec, s[0:1]
	v_cmp_lt_u32_e32 vcc, v49, v18
	s_and_saveexec_b64 s[0:1], vcc
	s_cbranch_execnz .LBB3116_232
.LBB3116_169:
	s_or_b64 exec, exec, s[0:1]
	v_cmp_lt_u32_e32 vcc, v46, v18
	s_and_saveexec_b64 s[0:1], vcc
	s_cbranch_execnz .LBB3116_233
.LBB3116_170:
	s_or_b64 exec, exec, s[0:1]
	v_cmp_lt_u32_e32 vcc, v45, v18
	s_and_saveexec_b64 s[0:1], vcc
	s_cbranch_execnz .LBB3116_234
.LBB3116_171:
	s_or_b64 exec, exec, s[0:1]
	v_cmp_lt_u32_e32 vcc, v43, v18
	s_and_saveexec_b64 s[0:1], vcc
	s_cbranch_execnz .LBB3116_235
.LBB3116_172:
	s_or_b64 exec, exec, s[0:1]
	v_cmp_lt_u32_e32 vcc, v41, v18
	s_and_saveexec_b64 s[0:1], vcc
	s_cbranch_execnz .LBB3116_236
.LBB3116_173:
	s_or_b64 exec, exec, s[0:1]
	v_cmp_lt_u32_e32 vcc, v39, v18
	s_and_saveexec_b64 s[0:1], vcc
	s_cbranch_execnz .LBB3116_237
.LBB3116_174:
	s_or_b64 exec, exec, s[0:1]
	v_cmp_lt_u32_e32 vcc, v37, v18
	s_and_saveexec_b64 s[0:1], vcc
	s_cbranch_execnz .LBB3116_238
.LBB3116_175:
	s_or_b64 exec, exec, s[0:1]
	v_cmp_lt_u32_e32 vcc, v35, v18
	s_and_saveexec_b64 s[0:1], vcc
	s_cbranch_execnz .LBB3116_239
.LBB3116_176:
	s_or_b64 exec, exec, s[0:1]
	v_cmp_lt_u32_e32 vcc, v33, v18
	s_and_saveexec_b64 s[0:1], vcc
	s_cbranch_execnz .LBB3116_240
.LBB3116_177:
	s_or_b64 exec, exec, s[0:1]
	v_cmp_lt_u32_e32 vcc, v30, v18
	s_and_saveexec_b64 s[0:1], vcc
	s_cbranch_execnz .LBB3116_241
.LBB3116_178:
	s_or_b64 exec, exec, s[0:1]
	v_cmp_lt_u32_e32 vcc, v29, v18
	s_and_saveexec_b64 s[0:1], vcc
	s_cbranch_execnz .LBB3116_242
.LBB3116_179:
	s_or_b64 exec, exec, s[0:1]
	v_cmp_lt_u32_e32 vcc, v27, v18
	s_and_saveexec_b64 s[0:1], vcc
	s_cbranch_execnz .LBB3116_243
.LBB3116_180:
	s_or_b64 exec, exec, s[0:1]
	v_cmp_lt_u32_e32 vcc, v25, v18
	s_and_saveexec_b64 s[0:1], vcc
	s_cbranch_execnz .LBB3116_244
.LBB3116_181:
	s_or_b64 exec, exec, s[0:1]
	v_cmp_lt_u32_e32 vcc, v23, v18
	s_and_saveexec_b64 s[0:1], vcc
	s_cbranch_execnz .LBB3116_245
.LBB3116_182:
	s_or_b64 exec, exec, s[0:1]
	v_cmp_lt_u32_e32 vcc, v19, v18
	s_and_saveexec_b64 s[0:1], vcc
	s_cbranch_execnz .LBB3116_246
.LBB3116_183:
	s_or_b64 exec, exec, s[0:1]
	v_cmp_lt_u32_e32 vcc, v16, v18
	s_and_saveexec_b64 s[0:1], vcc
	s_cbranch_execnz .LBB3116_247
.LBB3116_184:
	s_or_b64 exec, exec, s[0:1]
	v_cmp_lt_u32_e32 vcc, v13, v18
	s_and_saveexec_b64 s[0:1], vcc
	s_cbranch_execnz .LBB3116_248
.LBB3116_185:
	s_or_b64 exec, exec, s[0:1]
	v_cmp_lt_u32_e32 vcc, v11, v18
	s_and_saveexec_b64 s[0:1], vcc
	s_cbranch_execnz .LBB3116_249
.LBB3116_186:
	s_or_b64 exec, exec, s[0:1]
	v_cmp_lt_u32_e32 vcc, v10, v18
	s_and_saveexec_b64 s[0:1], vcc
	s_cbranch_execnz .LBB3116_250
.LBB3116_187:
	s_or_b64 exec, exec, s[0:1]
	v_cmp_lt_u32_e32 vcc, v8, v18
	s_and_saveexec_b64 s[0:1], vcc
	s_cbranch_execnz .LBB3116_251
.LBB3116_188:
	s_or_b64 exec, exec, s[0:1]
	v_cmp_lt_u32_e32 vcc, v6, v18
	s_and_saveexec_b64 s[0:1], vcc
	s_cbranch_execz .LBB3116_190
.LBB3116_189:
	v_lshlrev_b32_e32 v21, 1, v6
	v_readfirstlane_b32 s4, v2
	v_readfirstlane_b32 s5, v3
	s_waitcnt lgkmcnt(1)
	s_nop 3
	global_store_short v21, v5, s[4:5]
.LBB3116_190:
	s_or_b64 exec, exec, s[0:1]
	v_cmp_lt_u32_e64 s[0:1], v4, v18
	s_branch .LBB3116_221
.LBB3116_191:
	s_mov_b64 s[0:1], 0
                                        ; implicit-def: $vgpr2_vgpr3
	s_cbranch_execz .LBB3116_221
; %bb.192:
	s_lshl_b64 s[0:1], s[22:23], 1
	v_mov_b32_e32 v21, 0
	s_add_u32 s0, s2, s0
	v_min_u32_e32 v62, s33, v18
	s_addc_u32 s1, s3, s1
	v_lshlrev_b64 v[2:3], 1, v[20:21]
	v_lshl_add_u64 v[2:3], s[0:1], 0, v[2:3]
	v_cmp_gt_u32_e32 vcc, v62, v0
	s_and_saveexec_b64 s[0:1], vcc
	s_cbranch_execnz .LBB3116_252
; %bb.193:
	s_or_b64 exec, exec, s[0:1]
	v_cmp_lt_u32_e32 vcc, v59, v62
	s_and_saveexec_b64 s[0:1], vcc
	s_cbranch_execnz .LBB3116_253
.LBB3116_194:
	s_or_b64 exec, exec, s[0:1]
	v_cmp_lt_u32_e32 vcc, v57, v62
	s_and_saveexec_b64 s[0:1], vcc
	s_cbranch_execnz .LBB3116_254
.LBB3116_195:
	s_or_b64 exec, exec, s[0:1]
	v_cmp_lt_u32_e32 vcc, v55, v62
	s_and_saveexec_b64 s[0:1], vcc
	s_cbranch_execnz .LBB3116_255
.LBB3116_196:
	s_or_b64 exec, exec, s[0:1]
	v_cmp_lt_u32_e32 vcc, v53, v62
	s_and_saveexec_b64 s[0:1], vcc
	s_cbranch_execnz .LBB3116_256
.LBB3116_197:
	s_or_b64 exec, exec, s[0:1]
	v_cmp_lt_u32_e32 vcc, v51, v62
	s_and_saveexec_b64 s[0:1], vcc
	s_cbranch_execnz .LBB3116_257
.LBB3116_198:
	s_or_b64 exec, exec, s[0:1]
	v_cmp_lt_u32_e32 vcc, v49, v62
	s_and_saveexec_b64 s[0:1], vcc
	s_cbranch_execnz .LBB3116_258
.LBB3116_199:
	s_or_b64 exec, exec, s[0:1]
	v_cmp_lt_u32_e32 vcc, v46, v62
	s_and_saveexec_b64 s[0:1], vcc
	s_cbranch_execnz .LBB3116_259
.LBB3116_200:
	s_or_b64 exec, exec, s[0:1]
	v_cmp_lt_u32_e32 vcc, v45, v62
	s_and_saveexec_b64 s[0:1], vcc
	s_cbranch_execnz .LBB3116_260
.LBB3116_201:
	s_or_b64 exec, exec, s[0:1]
	v_cmp_lt_u32_e32 vcc, v43, v62
	s_and_saveexec_b64 s[0:1], vcc
	s_cbranch_execnz .LBB3116_261
.LBB3116_202:
	s_or_b64 exec, exec, s[0:1]
	v_cmp_lt_u32_e32 vcc, v41, v62
	s_and_saveexec_b64 s[0:1], vcc
	s_cbranch_execnz .LBB3116_262
.LBB3116_203:
	s_or_b64 exec, exec, s[0:1]
	v_cmp_lt_u32_e32 vcc, v39, v62
	s_and_saveexec_b64 s[0:1], vcc
	s_cbranch_execnz .LBB3116_263
.LBB3116_204:
	s_or_b64 exec, exec, s[0:1]
	v_cmp_lt_u32_e32 vcc, v37, v62
	s_and_saveexec_b64 s[0:1], vcc
	s_cbranch_execnz .LBB3116_264
.LBB3116_205:
	s_or_b64 exec, exec, s[0:1]
	v_cmp_lt_u32_e32 vcc, v35, v62
	s_and_saveexec_b64 s[0:1], vcc
	s_cbranch_execnz .LBB3116_265
.LBB3116_206:
	s_or_b64 exec, exec, s[0:1]
	v_cmp_lt_u32_e32 vcc, v33, v62
	s_and_saveexec_b64 s[0:1], vcc
	s_cbranch_execnz .LBB3116_266
.LBB3116_207:
	s_or_b64 exec, exec, s[0:1]
	v_cmp_lt_u32_e32 vcc, v30, v62
	s_and_saveexec_b64 s[0:1], vcc
	s_cbranch_execnz .LBB3116_267
.LBB3116_208:
	s_or_b64 exec, exec, s[0:1]
	v_cmp_lt_u32_e32 vcc, v29, v62
	s_and_saveexec_b64 s[0:1], vcc
	s_cbranch_execnz .LBB3116_268
.LBB3116_209:
	s_or_b64 exec, exec, s[0:1]
	v_cmp_lt_u32_e32 vcc, v27, v62
	s_and_saveexec_b64 s[0:1], vcc
	s_cbranch_execnz .LBB3116_269
.LBB3116_210:
	s_or_b64 exec, exec, s[0:1]
	v_cmp_lt_u32_e32 vcc, v25, v62
	s_and_saveexec_b64 s[0:1], vcc
	s_cbranch_execnz .LBB3116_270
.LBB3116_211:
	s_or_b64 exec, exec, s[0:1]
	v_cmp_lt_u32_e32 vcc, v23, v62
	s_and_saveexec_b64 s[0:1], vcc
	s_cbranch_execnz .LBB3116_271
.LBB3116_212:
	s_or_b64 exec, exec, s[0:1]
	v_cmp_lt_u32_e32 vcc, v19, v62
	s_and_saveexec_b64 s[0:1], vcc
	s_cbranch_execnz .LBB3116_272
.LBB3116_213:
	s_or_b64 exec, exec, s[0:1]
	v_cmp_lt_u32_e32 vcc, v16, v62
	s_and_saveexec_b64 s[0:1], vcc
	s_cbranch_execnz .LBB3116_273
.LBB3116_214:
	s_or_b64 exec, exec, s[0:1]
	v_cmp_lt_u32_e32 vcc, v13, v62
	s_and_saveexec_b64 s[0:1], vcc
	s_cbranch_execnz .LBB3116_274
.LBB3116_215:
	s_or_b64 exec, exec, s[0:1]
	v_cmp_lt_u32_e32 vcc, v11, v62
	s_and_saveexec_b64 s[0:1], vcc
	s_cbranch_execnz .LBB3116_275
.LBB3116_216:
	s_or_b64 exec, exec, s[0:1]
	v_cmp_lt_u32_e32 vcc, v10, v62
	s_and_saveexec_b64 s[0:1], vcc
	s_cbranch_execnz .LBB3116_276
.LBB3116_217:
	s_or_b64 exec, exec, s[0:1]
	v_cmp_lt_u32_e32 vcc, v8, v62
	s_and_saveexec_b64 s[0:1], vcc
	s_cbranch_execnz .LBB3116_277
.LBB3116_218:
	s_or_b64 exec, exec, s[0:1]
	v_cmp_lt_u32_e32 vcc, v6, v62
	s_and_saveexec_b64 s[0:1], vcc
	s_cbranch_execz .LBB3116_220
.LBB3116_219:
	v_lshlrev_b32_e32 v6, 1, v6
	v_readfirstlane_b32 s2, v2
	v_readfirstlane_b32 s3, v3
	s_waitcnt lgkmcnt(1)
	s_nop 3
	global_store_short v6, v5, s[2:3]
.LBB3116_220:
	s_or_b64 exec, exec, s[0:1]
	v_cmp_lt_u32_e64 s[0:1], v4, v62
.LBB3116_221:
	s_and_saveexec_b64 s[2:3], s[0:1]
	s_cbranch_execz .LBB3116_223
; %bb.222:
	v_lshlrev_b32_e32 v4, 1, v4
	v_readfirstlane_b32 s0, v2
	v_readfirstlane_b32 s1, v3
	s_waitcnt lgkmcnt(0)
	s_nop 3
	global_store_short v4, v1, s[0:1]
.LBB3116_223:
	s_or_b64 exec, exec, s[2:3]
	v_cmp_eq_u32_e32 vcc, 0, v0
	s_and_b64 s[0:1], vcc, s[24:25]
	s_and_saveexec_b64 s[2:3], s[0:1]
	s_cbranch_execz .LBB3116_225
; %bb.224:
	v_mov_b32_e32 v19, 0
	s_waitcnt lgkmcnt(0)
	v_lshl_add_u64 v[0:1], s[22:23], 0, v[18:19]
	v_mov_b32_e32 v21, v19
	v_lshl_add_u64 v[0:1], v[0:1], 0, v[20:21]
	global_store_dwordx2 v19, v[0:1], s[20:21]
.LBB3116_225:
	s_endpgm
.LBB3116_226:
	v_readfirstlane_b32 s4, v2
	v_readfirstlane_b32 s5, v3
	s_waitcnt lgkmcnt(14)
	s_nop 3
	global_store_short v14, v61, s[4:5]
	s_or_b64 exec, exec, s[0:1]
	v_cmp_lt_u32_e32 vcc, v59, v18
	s_and_saveexec_b64 s[0:1], vcc
	s_cbranch_execz .LBB3116_164
.LBB3116_227:
	v_readfirstlane_b32 s4, v2
	v_readfirstlane_b32 s5, v3
	s_waitcnt lgkmcnt(14)
	s_nop 3
	global_store_short v14, v60, s[4:5] offset:1024
	s_or_b64 exec, exec, s[0:1]
	v_cmp_lt_u32_e32 vcc, v57, v18
	s_and_saveexec_b64 s[0:1], vcc
	s_cbranch_execz .LBB3116_165
.LBB3116_228:
	v_readfirstlane_b32 s4, v2
	v_readfirstlane_b32 s5, v3
	s_waitcnt lgkmcnt(14)
	s_nop 3
	global_store_short v14, v58, s[4:5] offset:2048
	s_or_b64 exec, exec, s[0:1]
	v_cmp_lt_u32_e32 vcc, v55, v18
	s_and_saveexec_b64 s[0:1], vcc
	s_cbranch_execz .LBB3116_166
.LBB3116_229:
	v_readfirstlane_b32 s4, v2
	v_readfirstlane_b32 s5, v3
	s_waitcnt lgkmcnt(14)
	s_nop 3
	global_store_short v14, v56, s[4:5] offset:3072
	s_or_b64 exec, exec, s[0:1]
	v_cmp_lt_u32_e32 vcc, v53, v18
	s_and_saveexec_b64 s[0:1], vcc
	s_cbranch_execz .LBB3116_167
.LBB3116_230:
	v_lshlrev_b32_e32 v21, 1, v53
	v_readfirstlane_b32 s4, v2
	v_readfirstlane_b32 s5, v3
	s_waitcnt lgkmcnt(14)
	s_nop 3
	global_store_short v21, v54, s[4:5]
	s_or_b64 exec, exec, s[0:1]
	v_cmp_lt_u32_e32 vcc, v51, v18
	s_and_saveexec_b64 s[0:1], vcc
	s_cbranch_execz .LBB3116_168
.LBB3116_231:
	v_lshlrev_b32_e32 v21, 1, v51
	v_readfirstlane_b32 s4, v2
	v_readfirstlane_b32 s5, v3
	s_waitcnt lgkmcnt(14)
	s_nop 3
	global_store_short v21, v52, s[4:5]
	s_or_b64 exec, exec, s[0:1]
	v_cmp_lt_u32_e32 vcc, v49, v18
	s_and_saveexec_b64 s[0:1], vcc
	s_cbranch_execz .LBB3116_169
.LBB3116_232:
	v_lshlrev_b32_e32 v21, 1, v49
	v_readfirstlane_b32 s4, v2
	v_readfirstlane_b32 s5, v3
	s_waitcnt lgkmcnt(14)
	s_nop 3
	global_store_short v21, v50, s[4:5]
	s_or_b64 exec, exec, s[0:1]
	v_cmp_lt_u32_e32 vcc, v46, v18
	s_and_saveexec_b64 s[0:1], vcc
	s_cbranch_execz .LBB3116_170
.LBB3116_233:
	v_lshlrev_b32_e32 v21, 1, v46
	v_readfirstlane_b32 s4, v2
	v_readfirstlane_b32 s5, v3
	s_waitcnt lgkmcnt(14)
	s_nop 3
	global_store_short v21, v47, s[4:5]
	s_or_b64 exec, exec, s[0:1]
	v_cmp_lt_u32_e32 vcc, v45, v18
	s_and_saveexec_b64 s[0:1], vcc
	s_cbranch_execz .LBB3116_171
.LBB3116_234:
	v_lshlrev_b32_e32 v21, 1, v45
	v_readfirstlane_b32 s4, v2
	v_readfirstlane_b32 s5, v3
	s_waitcnt lgkmcnt(14)
	s_nop 3
	global_store_short v21, v48, s[4:5]
	s_or_b64 exec, exec, s[0:1]
	v_cmp_lt_u32_e32 vcc, v43, v18
	s_and_saveexec_b64 s[0:1], vcc
	s_cbranch_execz .LBB3116_172
.LBB3116_235:
	v_lshlrev_b32_e32 v21, 1, v43
	v_readfirstlane_b32 s4, v2
	v_readfirstlane_b32 s5, v3
	s_waitcnt lgkmcnt(14)
	s_nop 3
	global_store_short v21, v44, s[4:5]
	s_or_b64 exec, exec, s[0:1]
	v_cmp_lt_u32_e32 vcc, v41, v18
	s_and_saveexec_b64 s[0:1], vcc
	s_cbranch_execz .LBB3116_173
.LBB3116_236:
	v_lshlrev_b32_e32 v21, 1, v41
	v_readfirstlane_b32 s4, v2
	v_readfirstlane_b32 s5, v3
	s_waitcnt lgkmcnt(14)
	s_nop 3
	global_store_short v21, v42, s[4:5]
	s_or_b64 exec, exec, s[0:1]
	v_cmp_lt_u32_e32 vcc, v39, v18
	s_and_saveexec_b64 s[0:1], vcc
	s_cbranch_execz .LBB3116_174
.LBB3116_237:
	v_lshlrev_b32_e32 v21, 1, v39
	v_readfirstlane_b32 s4, v2
	v_readfirstlane_b32 s5, v3
	s_waitcnt lgkmcnt(14)
	s_nop 3
	global_store_short v21, v40, s[4:5]
	s_or_b64 exec, exec, s[0:1]
	v_cmp_lt_u32_e32 vcc, v37, v18
	s_and_saveexec_b64 s[0:1], vcc
	s_cbranch_execz .LBB3116_175
.LBB3116_238:
	v_lshlrev_b32_e32 v21, 1, v37
	v_readfirstlane_b32 s4, v2
	v_readfirstlane_b32 s5, v3
	s_waitcnt lgkmcnt(14)
	s_nop 3
	global_store_short v21, v38, s[4:5]
	s_or_b64 exec, exec, s[0:1]
	v_cmp_lt_u32_e32 vcc, v35, v18
	s_and_saveexec_b64 s[0:1], vcc
	s_cbranch_execz .LBB3116_176
.LBB3116_239:
	v_lshlrev_b32_e32 v21, 1, v35
	v_readfirstlane_b32 s4, v2
	v_readfirstlane_b32 s5, v3
	s_waitcnt lgkmcnt(14)
	s_nop 3
	global_store_short v21, v36, s[4:5]
	s_or_b64 exec, exec, s[0:1]
	v_cmp_lt_u32_e32 vcc, v33, v18
	s_and_saveexec_b64 s[0:1], vcc
	s_cbranch_execz .LBB3116_177
.LBB3116_240:
	v_lshlrev_b32_e32 v21, 1, v33
	v_readfirstlane_b32 s4, v2
	v_readfirstlane_b32 s5, v3
	s_waitcnt lgkmcnt(13)
	s_nop 3
	global_store_short v21, v34, s[4:5]
	s_or_b64 exec, exec, s[0:1]
	v_cmp_lt_u32_e32 vcc, v30, v18
	s_and_saveexec_b64 s[0:1], vcc
	s_cbranch_execz .LBB3116_178
.LBB3116_241:
	v_lshlrev_b32_e32 v21, 1, v30
	v_readfirstlane_b32 s4, v2
	v_readfirstlane_b32 s5, v3
	s_waitcnt lgkmcnt(12)
	s_nop 3
	global_store_short v21, v31, s[4:5]
	s_or_b64 exec, exec, s[0:1]
	v_cmp_lt_u32_e32 vcc, v29, v18
	s_and_saveexec_b64 s[0:1], vcc
	s_cbranch_execz .LBB3116_179
.LBB3116_242:
	v_lshlrev_b32_e32 v21, 1, v29
	v_readfirstlane_b32 s4, v2
	v_readfirstlane_b32 s5, v3
	s_waitcnt lgkmcnt(11)
	s_nop 3
	global_store_short v21, v32, s[4:5]
	s_or_b64 exec, exec, s[0:1]
	v_cmp_lt_u32_e32 vcc, v27, v18
	s_and_saveexec_b64 s[0:1], vcc
	s_cbranch_execz .LBB3116_180
.LBB3116_243:
	v_lshlrev_b32_e32 v21, 1, v27
	v_readfirstlane_b32 s4, v2
	v_readfirstlane_b32 s5, v3
	s_waitcnt lgkmcnt(10)
	s_nop 3
	global_store_short v21, v28, s[4:5]
	s_or_b64 exec, exec, s[0:1]
	v_cmp_lt_u32_e32 vcc, v25, v18
	s_and_saveexec_b64 s[0:1], vcc
	s_cbranch_execz .LBB3116_181
.LBB3116_244:
	v_lshlrev_b32_e32 v21, 1, v25
	v_readfirstlane_b32 s4, v2
	v_readfirstlane_b32 s5, v3
	s_waitcnt lgkmcnt(9)
	s_nop 3
	global_store_short v21, v26, s[4:5]
	s_or_b64 exec, exec, s[0:1]
	v_cmp_lt_u32_e32 vcc, v23, v18
	s_and_saveexec_b64 s[0:1], vcc
	s_cbranch_execz .LBB3116_182
.LBB3116_245:
	v_lshlrev_b32_e32 v21, 1, v23
	v_readfirstlane_b32 s4, v2
	v_readfirstlane_b32 s5, v3
	s_waitcnt lgkmcnt(8)
	s_nop 3
	global_store_short v21, v24, s[4:5]
	s_or_b64 exec, exec, s[0:1]
	v_cmp_lt_u32_e32 vcc, v19, v18
	s_and_saveexec_b64 s[0:1], vcc
	s_cbranch_execz .LBB3116_183
.LBB3116_246:
	v_lshlrev_b32_e32 v21, 1, v19
	v_readfirstlane_b32 s4, v2
	v_readfirstlane_b32 s5, v3
	s_waitcnt lgkmcnt(7)
	s_nop 3
	global_store_short v21, v22, s[4:5]
	s_or_b64 exec, exec, s[0:1]
	v_cmp_lt_u32_e32 vcc, v16, v18
	s_and_saveexec_b64 s[0:1], vcc
	s_cbranch_execz .LBB3116_184
.LBB3116_247:
	v_lshlrev_b32_e32 v21, 1, v16
	v_readfirstlane_b32 s4, v2
	v_readfirstlane_b32 s5, v3
	s_waitcnt lgkmcnt(6)
	s_nop 3
	global_store_short v21, v17, s[4:5]
	s_or_b64 exec, exec, s[0:1]
	v_cmp_lt_u32_e32 vcc, v13, v18
	s_and_saveexec_b64 s[0:1], vcc
	s_cbranch_execz .LBB3116_185
.LBB3116_248:
	v_lshlrev_b32_e32 v21, 1, v13
	v_readfirstlane_b32 s4, v2
	v_readfirstlane_b32 s5, v3
	s_waitcnt lgkmcnt(5)
	s_nop 3
	global_store_short v21, v15, s[4:5]
	s_or_b64 exec, exec, s[0:1]
	v_cmp_lt_u32_e32 vcc, v11, v18
	s_and_saveexec_b64 s[0:1], vcc
	s_cbranch_execz .LBB3116_186
.LBB3116_249:
	v_lshlrev_b32_e32 v21, 1, v11
	v_readfirstlane_b32 s4, v2
	v_readfirstlane_b32 s5, v3
	s_waitcnt lgkmcnt(4)
	s_nop 3
	global_store_short v21, v12, s[4:5]
	s_or_b64 exec, exec, s[0:1]
	v_cmp_lt_u32_e32 vcc, v10, v18
	s_and_saveexec_b64 s[0:1], vcc
	s_cbranch_execz .LBB3116_187
.LBB3116_250:
	v_lshlrev_b32_e32 v21, 1, v10
	v_readfirstlane_b32 s4, v2
	v_readfirstlane_b32 s5, v3
	s_waitcnt lgkmcnt(3)
	s_nop 3
	global_store_short v21, v9, s[4:5]
	s_or_b64 exec, exec, s[0:1]
	v_cmp_lt_u32_e32 vcc, v8, v18
	s_and_saveexec_b64 s[0:1], vcc
	s_cbranch_execz .LBB3116_188
.LBB3116_251:
	v_lshlrev_b32_e32 v21, 1, v8
	v_readfirstlane_b32 s4, v2
	v_readfirstlane_b32 s5, v3
	s_waitcnt lgkmcnt(2)
	s_nop 3
	global_store_short v21, v7, s[4:5]
	s_or_b64 exec, exec, s[0:1]
	v_cmp_lt_u32_e32 vcc, v6, v18
	s_and_saveexec_b64 s[0:1], vcc
	s_cbranch_execnz .LBB3116_189
	s_branch .LBB3116_190
.LBB3116_252:
	v_readfirstlane_b32 s2, v2
	v_readfirstlane_b32 s3, v3
	s_waitcnt lgkmcnt(14)
	s_nop 3
	global_store_short v14, v61, s[2:3]
	s_or_b64 exec, exec, s[0:1]
	v_cmp_lt_u32_e32 vcc, v59, v62
	s_and_saveexec_b64 s[0:1], vcc
	s_cbranch_execz .LBB3116_194
.LBB3116_253:
	v_readfirstlane_b32 s2, v2
	v_readfirstlane_b32 s3, v3
	s_waitcnt lgkmcnt(14)
	s_nop 3
	global_store_short v14, v60, s[2:3] offset:1024
	s_or_b64 exec, exec, s[0:1]
	v_cmp_lt_u32_e32 vcc, v57, v62
	s_and_saveexec_b64 s[0:1], vcc
	s_cbranch_execz .LBB3116_195
.LBB3116_254:
	v_readfirstlane_b32 s2, v2
	v_readfirstlane_b32 s3, v3
	s_waitcnt lgkmcnt(14)
	s_nop 3
	global_store_short v14, v58, s[2:3] offset:2048
	s_or_b64 exec, exec, s[0:1]
	v_cmp_lt_u32_e32 vcc, v55, v62
	s_and_saveexec_b64 s[0:1], vcc
	s_cbranch_execz .LBB3116_196
.LBB3116_255:
	v_readfirstlane_b32 s2, v2
	v_readfirstlane_b32 s3, v3
	s_waitcnt lgkmcnt(14)
	s_nop 3
	global_store_short v14, v56, s[2:3] offset:3072
	s_or_b64 exec, exec, s[0:1]
	v_cmp_lt_u32_e32 vcc, v53, v62
	s_and_saveexec_b64 s[0:1], vcc
	s_cbranch_execz .LBB3116_197
.LBB3116_256:
	v_lshlrev_b32_e32 v14, 1, v53
	v_readfirstlane_b32 s2, v2
	v_readfirstlane_b32 s3, v3
	s_waitcnt lgkmcnt(14)
	s_nop 3
	global_store_short v14, v54, s[2:3]
	s_or_b64 exec, exec, s[0:1]
	v_cmp_lt_u32_e32 vcc, v51, v62
	s_and_saveexec_b64 s[0:1], vcc
	s_cbranch_execz .LBB3116_198
.LBB3116_257:
	v_lshlrev_b32_e32 v14, 1, v51
	v_readfirstlane_b32 s2, v2
	v_readfirstlane_b32 s3, v3
	s_waitcnt lgkmcnt(14)
	s_nop 3
	global_store_short v14, v52, s[2:3]
	s_or_b64 exec, exec, s[0:1]
	v_cmp_lt_u32_e32 vcc, v49, v62
	s_and_saveexec_b64 s[0:1], vcc
	s_cbranch_execz .LBB3116_199
.LBB3116_258:
	v_lshlrev_b32_e32 v14, 1, v49
	v_readfirstlane_b32 s2, v2
	v_readfirstlane_b32 s3, v3
	s_waitcnt lgkmcnt(14)
	s_nop 3
	global_store_short v14, v50, s[2:3]
	s_or_b64 exec, exec, s[0:1]
	v_cmp_lt_u32_e32 vcc, v46, v62
	s_and_saveexec_b64 s[0:1], vcc
	s_cbranch_execz .LBB3116_200
.LBB3116_259:
	v_lshlrev_b32_e32 v14, 1, v46
	v_readfirstlane_b32 s2, v2
	v_readfirstlane_b32 s3, v3
	s_waitcnt lgkmcnt(14)
	s_nop 3
	global_store_short v14, v47, s[2:3]
	s_or_b64 exec, exec, s[0:1]
	v_cmp_lt_u32_e32 vcc, v45, v62
	s_and_saveexec_b64 s[0:1], vcc
	s_cbranch_execz .LBB3116_201
.LBB3116_260:
	v_lshlrev_b32_e32 v14, 1, v45
	v_readfirstlane_b32 s2, v2
	v_readfirstlane_b32 s3, v3
	s_waitcnt lgkmcnt(14)
	s_nop 3
	global_store_short v14, v48, s[2:3]
	s_or_b64 exec, exec, s[0:1]
	v_cmp_lt_u32_e32 vcc, v43, v62
	s_and_saveexec_b64 s[0:1], vcc
	s_cbranch_execz .LBB3116_202
.LBB3116_261:
	v_lshlrev_b32_e32 v14, 1, v43
	v_readfirstlane_b32 s2, v2
	v_readfirstlane_b32 s3, v3
	s_waitcnt lgkmcnt(14)
	s_nop 3
	global_store_short v14, v44, s[2:3]
	s_or_b64 exec, exec, s[0:1]
	v_cmp_lt_u32_e32 vcc, v41, v62
	s_and_saveexec_b64 s[0:1], vcc
	s_cbranch_execz .LBB3116_203
.LBB3116_262:
	v_lshlrev_b32_e32 v14, 1, v41
	v_readfirstlane_b32 s2, v2
	v_readfirstlane_b32 s3, v3
	s_waitcnt lgkmcnt(14)
	s_nop 3
	global_store_short v14, v42, s[2:3]
	s_or_b64 exec, exec, s[0:1]
	v_cmp_lt_u32_e32 vcc, v39, v62
	s_and_saveexec_b64 s[0:1], vcc
	s_cbranch_execz .LBB3116_204
.LBB3116_263:
	v_lshlrev_b32_e32 v14, 1, v39
	v_readfirstlane_b32 s2, v2
	v_readfirstlane_b32 s3, v3
	s_waitcnt lgkmcnt(14)
	s_nop 3
	global_store_short v14, v40, s[2:3]
	s_or_b64 exec, exec, s[0:1]
	v_cmp_lt_u32_e32 vcc, v37, v62
	s_and_saveexec_b64 s[0:1], vcc
	s_cbranch_execz .LBB3116_205
.LBB3116_264:
	v_lshlrev_b32_e32 v14, 1, v37
	v_readfirstlane_b32 s2, v2
	v_readfirstlane_b32 s3, v3
	s_waitcnt lgkmcnt(14)
	s_nop 3
	global_store_short v14, v38, s[2:3]
	s_or_b64 exec, exec, s[0:1]
	v_cmp_lt_u32_e32 vcc, v35, v62
	s_and_saveexec_b64 s[0:1], vcc
	s_cbranch_execz .LBB3116_206
.LBB3116_265:
	v_lshlrev_b32_e32 v14, 1, v35
	v_readfirstlane_b32 s2, v2
	v_readfirstlane_b32 s3, v3
	s_waitcnt lgkmcnt(14)
	s_nop 3
	global_store_short v14, v36, s[2:3]
	s_or_b64 exec, exec, s[0:1]
	v_cmp_lt_u32_e32 vcc, v33, v62
	s_and_saveexec_b64 s[0:1], vcc
	s_cbranch_execz .LBB3116_207
.LBB3116_266:
	v_lshlrev_b32_e32 v14, 1, v33
	v_readfirstlane_b32 s2, v2
	v_readfirstlane_b32 s3, v3
	s_waitcnt lgkmcnt(13)
	s_nop 3
	global_store_short v14, v34, s[2:3]
	s_or_b64 exec, exec, s[0:1]
	v_cmp_lt_u32_e32 vcc, v30, v62
	s_and_saveexec_b64 s[0:1], vcc
	s_cbranch_execz .LBB3116_208
.LBB3116_267:
	v_lshlrev_b32_e32 v14, 1, v30
	v_readfirstlane_b32 s2, v2
	v_readfirstlane_b32 s3, v3
	s_waitcnt lgkmcnt(12)
	s_nop 3
	global_store_short v14, v31, s[2:3]
	s_or_b64 exec, exec, s[0:1]
	v_cmp_lt_u32_e32 vcc, v29, v62
	s_and_saveexec_b64 s[0:1], vcc
	s_cbranch_execz .LBB3116_209
.LBB3116_268:
	v_lshlrev_b32_e32 v14, 1, v29
	v_readfirstlane_b32 s2, v2
	v_readfirstlane_b32 s3, v3
	s_waitcnt lgkmcnt(11)
	s_nop 3
	global_store_short v14, v32, s[2:3]
	s_or_b64 exec, exec, s[0:1]
	v_cmp_lt_u32_e32 vcc, v27, v62
	s_and_saveexec_b64 s[0:1], vcc
	s_cbranch_execz .LBB3116_210
.LBB3116_269:
	v_lshlrev_b32_e32 v14, 1, v27
	v_readfirstlane_b32 s2, v2
	v_readfirstlane_b32 s3, v3
	s_waitcnt lgkmcnt(10)
	s_nop 3
	global_store_short v14, v28, s[2:3]
	s_or_b64 exec, exec, s[0:1]
	v_cmp_lt_u32_e32 vcc, v25, v62
	s_and_saveexec_b64 s[0:1], vcc
	s_cbranch_execz .LBB3116_211
.LBB3116_270:
	v_lshlrev_b32_e32 v14, 1, v25
	v_readfirstlane_b32 s2, v2
	v_readfirstlane_b32 s3, v3
	s_waitcnt lgkmcnt(9)
	s_nop 3
	global_store_short v14, v26, s[2:3]
	s_or_b64 exec, exec, s[0:1]
	v_cmp_lt_u32_e32 vcc, v23, v62
	s_and_saveexec_b64 s[0:1], vcc
	s_cbranch_execz .LBB3116_212
.LBB3116_271:
	v_lshlrev_b32_e32 v14, 1, v23
	v_readfirstlane_b32 s2, v2
	v_readfirstlane_b32 s3, v3
	s_waitcnt lgkmcnt(8)
	s_nop 3
	global_store_short v14, v24, s[2:3]
	s_or_b64 exec, exec, s[0:1]
	v_cmp_lt_u32_e32 vcc, v19, v62
	s_and_saveexec_b64 s[0:1], vcc
	s_cbranch_execz .LBB3116_213
.LBB3116_272:
	v_lshlrev_b32_e32 v14, 1, v19
	v_readfirstlane_b32 s2, v2
	v_readfirstlane_b32 s3, v3
	s_waitcnt lgkmcnt(7)
	s_nop 3
	global_store_short v14, v22, s[2:3]
	s_or_b64 exec, exec, s[0:1]
	v_cmp_lt_u32_e32 vcc, v16, v62
	s_and_saveexec_b64 s[0:1], vcc
	s_cbranch_execz .LBB3116_214
.LBB3116_273:
	v_lshlrev_b32_e32 v14, 1, v16
	v_readfirstlane_b32 s2, v2
	v_readfirstlane_b32 s3, v3
	s_waitcnt lgkmcnt(6)
	s_nop 3
	global_store_short v14, v17, s[2:3]
	s_or_b64 exec, exec, s[0:1]
	v_cmp_lt_u32_e32 vcc, v13, v62
	s_and_saveexec_b64 s[0:1], vcc
	s_cbranch_execz .LBB3116_215
.LBB3116_274:
	v_lshlrev_b32_e32 v13, 1, v13
	v_readfirstlane_b32 s2, v2
	v_readfirstlane_b32 s3, v3
	s_waitcnt lgkmcnt(5)
	s_nop 3
	global_store_short v13, v15, s[2:3]
	s_or_b64 exec, exec, s[0:1]
	v_cmp_lt_u32_e32 vcc, v11, v62
	s_and_saveexec_b64 s[0:1], vcc
	s_cbranch_execz .LBB3116_216
.LBB3116_275:
	v_lshlrev_b32_e32 v11, 1, v11
	v_readfirstlane_b32 s2, v2
	v_readfirstlane_b32 s3, v3
	s_waitcnt lgkmcnt(4)
	s_nop 3
	global_store_short v11, v12, s[2:3]
	s_or_b64 exec, exec, s[0:1]
	v_cmp_lt_u32_e32 vcc, v10, v62
	s_and_saveexec_b64 s[0:1], vcc
	s_cbranch_execz .LBB3116_217
.LBB3116_276:
	v_lshlrev_b32_e32 v10, 1, v10
	v_readfirstlane_b32 s2, v2
	v_readfirstlane_b32 s3, v3
	s_waitcnt lgkmcnt(3)
	s_nop 3
	global_store_short v10, v9, s[2:3]
	s_or_b64 exec, exec, s[0:1]
	v_cmp_lt_u32_e32 vcc, v8, v62
	s_and_saveexec_b64 s[0:1], vcc
	s_cbranch_execz .LBB3116_218
.LBB3116_277:
	v_lshlrev_b32_e32 v8, 1, v8
	v_readfirstlane_b32 s2, v2
	v_readfirstlane_b32 s3, v3
	s_waitcnt lgkmcnt(2)
	s_nop 3
	global_store_short v8, v7, s[2:3]
	s_or_b64 exec, exec, s[0:1]
	v_cmp_lt_u32_e32 vcc, v6, v62
	s_and_saveexec_b64 s[0:1], vcc
	s_cbranch_execnz .LBB3116_219
	s_branch .LBB3116_220
	.section	.rodata,"a",@progbits
	.p2align	6, 0x0
	.amdhsa_kernel _ZN7rocprim17ROCPRIM_400000_NS6detail17trampoline_kernelINS0_14default_configENS1_25partition_config_selectorILNS1_17partition_subalgoE1EtNS0_10empty_typeEbEEZZNS1_14partition_implILS5_1ELb0ES3_jN6thrust23THRUST_200600_302600_NS6detail15normal_iteratorINSA_10device_ptrItEEEEPS6_NSA_18transform_iteratorI7is_evenItESF_NSA_11use_defaultESK_EENS0_5tupleIJSF_NSA_16discard_iteratorISK_EEEEENSM_IJSG_SG_EEES6_PlJS6_EEE10hipError_tPvRmT3_T4_T5_T6_T7_T9_mT8_P12ihipStream_tbDpT10_ENKUlT_T0_E_clISt17integral_constantIbLb1EES1A_IbLb0EEEEDaS16_S17_EUlS16_E_NS1_11comp_targetILNS1_3genE5ELNS1_11target_archE942ELNS1_3gpuE9ELNS1_3repE0EEENS1_30default_config_static_selectorELNS0_4arch9wavefront6targetE1EEEvT1_
		.amdhsa_group_segment_fixed_size 28680
		.amdhsa_private_segment_fixed_size 0
		.amdhsa_kernarg_size 136
		.amdhsa_user_sgpr_count 2
		.amdhsa_user_sgpr_dispatch_ptr 0
		.amdhsa_user_sgpr_queue_ptr 0
		.amdhsa_user_sgpr_kernarg_segment_ptr 1
		.amdhsa_user_sgpr_dispatch_id 0
		.amdhsa_user_sgpr_kernarg_preload_length 0
		.amdhsa_user_sgpr_kernarg_preload_offset 0
		.amdhsa_user_sgpr_private_segment_size 0
		.amdhsa_uses_dynamic_stack 0
		.amdhsa_enable_private_segment 0
		.amdhsa_system_sgpr_workgroup_id_x 1
		.amdhsa_system_sgpr_workgroup_id_y 0
		.amdhsa_system_sgpr_workgroup_id_z 0
		.amdhsa_system_sgpr_workgroup_info 0
		.amdhsa_system_vgpr_workitem_id 0
		.amdhsa_next_free_vgpr 79
		.amdhsa_next_free_sgpr 40
		.amdhsa_accum_offset 80
		.amdhsa_reserve_vcc 1
		.amdhsa_float_round_mode_32 0
		.amdhsa_float_round_mode_16_64 0
		.amdhsa_float_denorm_mode_32 3
		.amdhsa_float_denorm_mode_16_64 3
		.amdhsa_dx10_clamp 1
		.amdhsa_ieee_mode 1
		.amdhsa_fp16_overflow 0
		.amdhsa_tg_split 0
		.amdhsa_exception_fp_ieee_invalid_op 0
		.amdhsa_exception_fp_denorm_src 0
		.amdhsa_exception_fp_ieee_div_zero 0
		.amdhsa_exception_fp_ieee_overflow 0
		.amdhsa_exception_fp_ieee_underflow 0
		.amdhsa_exception_fp_ieee_inexact 0
		.amdhsa_exception_int_div_zero 0
	.end_amdhsa_kernel
	.section	.text._ZN7rocprim17ROCPRIM_400000_NS6detail17trampoline_kernelINS0_14default_configENS1_25partition_config_selectorILNS1_17partition_subalgoE1EtNS0_10empty_typeEbEEZZNS1_14partition_implILS5_1ELb0ES3_jN6thrust23THRUST_200600_302600_NS6detail15normal_iteratorINSA_10device_ptrItEEEEPS6_NSA_18transform_iteratorI7is_evenItESF_NSA_11use_defaultESK_EENS0_5tupleIJSF_NSA_16discard_iteratorISK_EEEEENSM_IJSG_SG_EEES6_PlJS6_EEE10hipError_tPvRmT3_T4_T5_T6_T7_T9_mT8_P12ihipStream_tbDpT10_ENKUlT_T0_E_clISt17integral_constantIbLb1EES1A_IbLb0EEEEDaS16_S17_EUlS16_E_NS1_11comp_targetILNS1_3genE5ELNS1_11target_archE942ELNS1_3gpuE9ELNS1_3repE0EEENS1_30default_config_static_selectorELNS0_4arch9wavefront6targetE1EEEvT1_,"axG",@progbits,_ZN7rocprim17ROCPRIM_400000_NS6detail17trampoline_kernelINS0_14default_configENS1_25partition_config_selectorILNS1_17partition_subalgoE1EtNS0_10empty_typeEbEEZZNS1_14partition_implILS5_1ELb0ES3_jN6thrust23THRUST_200600_302600_NS6detail15normal_iteratorINSA_10device_ptrItEEEEPS6_NSA_18transform_iteratorI7is_evenItESF_NSA_11use_defaultESK_EENS0_5tupleIJSF_NSA_16discard_iteratorISK_EEEEENSM_IJSG_SG_EEES6_PlJS6_EEE10hipError_tPvRmT3_T4_T5_T6_T7_T9_mT8_P12ihipStream_tbDpT10_ENKUlT_T0_E_clISt17integral_constantIbLb1EES1A_IbLb0EEEEDaS16_S17_EUlS16_E_NS1_11comp_targetILNS1_3genE5ELNS1_11target_archE942ELNS1_3gpuE9ELNS1_3repE0EEENS1_30default_config_static_selectorELNS0_4arch9wavefront6targetE1EEEvT1_,comdat
.Lfunc_end3116:
	.size	_ZN7rocprim17ROCPRIM_400000_NS6detail17trampoline_kernelINS0_14default_configENS1_25partition_config_selectorILNS1_17partition_subalgoE1EtNS0_10empty_typeEbEEZZNS1_14partition_implILS5_1ELb0ES3_jN6thrust23THRUST_200600_302600_NS6detail15normal_iteratorINSA_10device_ptrItEEEEPS6_NSA_18transform_iteratorI7is_evenItESF_NSA_11use_defaultESK_EENS0_5tupleIJSF_NSA_16discard_iteratorISK_EEEEENSM_IJSG_SG_EEES6_PlJS6_EEE10hipError_tPvRmT3_T4_T5_T6_T7_T9_mT8_P12ihipStream_tbDpT10_ENKUlT_T0_E_clISt17integral_constantIbLb1EES1A_IbLb0EEEEDaS16_S17_EUlS16_E_NS1_11comp_targetILNS1_3genE5ELNS1_11target_archE942ELNS1_3gpuE9ELNS1_3repE0EEENS1_30default_config_static_selectorELNS0_4arch9wavefront6targetE1EEEvT1_, .Lfunc_end3116-_ZN7rocprim17ROCPRIM_400000_NS6detail17trampoline_kernelINS0_14default_configENS1_25partition_config_selectorILNS1_17partition_subalgoE1EtNS0_10empty_typeEbEEZZNS1_14partition_implILS5_1ELb0ES3_jN6thrust23THRUST_200600_302600_NS6detail15normal_iteratorINSA_10device_ptrItEEEEPS6_NSA_18transform_iteratorI7is_evenItESF_NSA_11use_defaultESK_EENS0_5tupleIJSF_NSA_16discard_iteratorISK_EEEEENSM_IJSG_SG_EEES6_PlJS6_EEE10hipError_tPvRmT3_T4_T5_T6_T7_T9_mT8_P12ihipStream_tbDpT10_ENKUlT_T0_E_clISt17integral_constantIbLb1EES1A_IbLb0EEEEDaS16_S17_EUlS16_E_NS1_11comp_targetILNS1_3genE5ELNS1_11target_archE942ELNS1_3gpuE9ELNS1_3repE0EEENS1_30default_config_static_selectorELNS0_4arch9wavefront6targetE1EEEvT1_
                                        ; -- End function
	.section	.AMDGPU.csdata,"",@progbits
; Kernel info:
; codeLenInByte = 12400
; NumSgprs: 46
; NumVgprs: 79
; NumAgprs: 0
; TotalNumVgprs: 79
; ScratchSize: 0
; MemoryBound: 0
; FloatMode: 240
; IeeeMode: 1
; LDSByteSize: 28680 bytes/workgroup (compile time only)
; SGPRBlocks: 5
; VGPRBlocks: 9
; NumSGPRsForWavesPerEU: 46
; NumVGPRsForWavesPerEU: 79
; AccumOffset: 80
; Occupancy: 4
; WaveLimiterHint : 1
; COMPUTE_PGM_RSRC2:SCRATCH_EN: 0
; COMPUTE_PGM_RSRC2:USER_SGPR: 2
; COMPUTE_PGM_RSRC2:TRAP_HANDLER: 0
; COMPUTE_PGM_RSRC2:TGID_X_EN: 1
; COMPUTE_PGM_RSRC2:TGID_Y_EN: 0
; COMPUTE_PGM_RSRC2:TGID_Z_EN: 0
; COMPUTE_PGM_RSRC2:TIDIG_COMP_CNT: 0
; COMPUTE_PGM_RSRC3_GFX90A:ACCUM_OFFSET: 19
; COMPUTE_PGM_RSRC3_GFX90A:TG_SPLIT: 0
	.section	.text._ZN7rocprim17ROCPRIM_400000_NS6detail17trampoline_kernelINS0_14default_configENS1_25partition_config_selectorILNS1_17partition_subalgoE1EtNS0_10empty_typeEbEEZZNS1_14partition_implILS5_1ELb0ES3_jN6thrust23THRUST_200600_302600_NS6detail15normal_iteratorINSA_10device_ptrItEEEEPS6_NSA_18transform_iteratorI7is_evenItESF_NSA_11use_defaultESK_EENS0_5tupleIJSF_NSA_16discard_iteratorISK_EEEEENSM_IJSG_SG_EEES6_PlJS6_EEE10hipError_tPvRmT3_T4_T5_T6_T7_T9_mT8_P12ihipStream_tbDpT10_ENKUlT_T0_E_clISt17integral_constantIbLb1EES1A_IbLb0EEEEDaS16_S17_EUlS16_E_NS1_11comp_targetILNS1_3genE4ELNS1_11target_archE910ELNS1_3gpuE8ELNS1_3repE0EEENS1_30default_config_static_selectorELNS0_4arch9wavefront6targetE1EEEvT1_,"axG",@progbits,_ZN7rocprim17ROCPRIM_400000_NS6detail17trampoline_kernelINS0_14default_configENS1_25partition_config_selectorILNS1_17partition_subalgoE1EtNS0_10empty_typeEbEEZZNS1_14partition_implILS5_1ELb0ES3_jN6thrust23THRUST_200600_302600_NS6detail15normal_iteratorINSA_10device_ptrItEEEEPS6_NSA_18transform_iteratorI7is_evenItESF_NSA_11use_defaultESK_EENS0_5tupleIJSF_NSA_16discard_iteratorISK_EEEEENSM_IJSG_SG_EEES6_PlJS6_EEE10hipError_tPvRmT3_T4_T5_T6_T7_T9_mT8_P12ihipStream_tbDpT10_ENKUlT_T0_E_clISt17integral_constantIbLb1EES1A_IbLb0EEEEDaS16_S17_EUlS16_E_NS1_11comp_targetILNS1_3genE4ELNS1_11target_archE910ELNS1_3gpuE8ELNS1_3repE0EEENS1_30default_config_static_selectorELNS0_4arch9wavefront6targetE1EEEvT1_,comdat
	.protected	_ZN7rocprim17ROCPRIM_400000_NS6detail17trampoline_kernelINS0_14default_configENS1_25partition_config_selectorILNS1_17partition_subalgoE1EtNS0_10empty_typeEbEEZZNS1_14partition_implILS5_1ELb0ES3_jN6thrust23THRUST_200600_302600_NS6detail15normal_iteratorINSA_10device_ptrItEEEEPS6_NSA_18transform_iteratorI7is_evenItESF_NSA_11use_defaultESK_EENS0_5tupleIJSF_NSA_16discard_iteratorISK_EEEEENSM_IJSG_SG_EEES6_PlJS6_EEE10hipError_tPvRmT3_T4_T5_T6_T7_T9_mT8_P12ihipStream_tbDpT10_ENKUlT_T0_E_clISt17integral_constantIbLb1EES1A_IbLb0EEEEDaS16_S17_EUlS16_E_NS1_11comp_targetILNS1_3genE4ELNS1_11target_archE910ELNS1_3gpuE8ELNS1_3repE0EEENS1_30default_config_static_selectorELNS0_4arch9wavefront6targetE1EEEvT1_ ; -- Begin function _ZN7rocprim17ROCPRIM_400000_NS6detail17trampoline_kernelINS0_14default_configENS1_25partition_config_selectorILNS1_17partition_subalgoE1EtNS0_10empty_typeEbEEZZNS1_14partition_implILS5_1ELb0ES3_jN6thrust23THRUST_200600_302600_NS6detail15normal_iteratorINSA_10device_ptrItEEEEPS6_NSA_18transform_iteratorI7is_evenItESF_NSA_11use_defaultESK_EENS0_5tupleIJSF_NSA_16discard_iteratorISK_EEEEENSM_IJSG_SG_EEES6_PlJS6_EEE10hipError_tPvRmT3_T4_T5_T6_T7_T9_mT8_P12ihipStream_tbDpT10_ENKUlT_T0_E_clISt17integral_constantIbLb1EES1A_IbLb0EEEEDaS16_S17_EUlS16_E_NS1_11comp_targetILNS1_3genE4ELNS1_11target_archE910ELNS1_3gpuE8ELNS1_3repE0EEENS1_30default_config_static_selectorELNS0_4arch9wavefront6targetE1EEEvT1_
	.globl	_ZN7rocprim17ROCPRIM_400000_NS6detail17trampoline_kernelINS0_14default_configENS1_25partition_config_selectorILNS1_17partition_subalgoE1EtNS0_10empty_typeEbEEZZNS1_14partition_implILS5_1ELb0ES3_jN6thrust23THRUST_200600_302600_NS6detail15normal_iteratorINSA_10device_ptrItEEEEPS6_NSA_18transform_iteratorI7is_evenItESF_NSA_11use_defaultESK_EENS0_5tupleIJSF_NSA_16discard_iteratorISK_EEEEENSM_IJSG_SG_EEES6_PlJS6_EEE10hipError_tPvRmT3_T4_T5_T6_T7_T9_mT8_P12ihipStream_tbDpT10_ENKUlT_T0_E_clISt17integral_constantIbLb1EES1A_IbLb0EEEEDaS16_S17_EUlS16_E_NS1_11comp_targetILNS1_3genE4ELNS1_11target_archE910ELNS1_3gpuE8ELNS1_3repE0EEENS1_30default_config_static_selectorELNS0_4arch9wavefront6targetE1EEEvT1_
	.p2align	8
	.type	_ZN7rocprim17ROCPRIM_400000_NS6detail17trampoline_kernelINS0_14default_configENS1_25partition_config_selectorILNS1_17partition_subalgoE1EtNS0_10empty_typeEbEEZZNS1_14partition_implILS5_1ELb0ES3_jN6thrust23THRUST_200600_302600_NS6detail15normal_iteratorINSA_10device_ptrItEEEEPS6_NSA_18transform_iteratorI7is_evenItESF_NSA_11use_defaultESK_EENS0_5tupleIJSF_NSA_16discard_iteratorISK_EEEEENSM_IJSG_SG_EEES6_PlJS6_EEE10hipError_tPvRmT3_T4_T5_T6_T7_T9_mT8_P12ihipStream_tbDpT10_ENKUlT_T0_E_clISt17integral_constantIbLb1EES1A_IbLb0EEEEDaS16_S17_EUlS16_E_NS1_11comp_targetILNS1_3genE4ELNS1_11target_archE910ELNS1_3gpuE8ELNS1_3repE0EEENS1_30default_config_static_selectorELNS0_4arch9wavefront6targetE1EEEvT1_,@function
_ZN7rocprim17ROCPRIM_400000_NS6detail17trampoline_kernelINS0_14default_configENS1_25partition_config_selectorILNS1_17partition_subalgoE1EtNS0_10empty_typeEbEEZZNS1_14partition_implILS5_1ELb0ES3_jN6thrust23THRUST_200600_302600_NS6detail15normal_iteratorINSA_10device_ptrItEEEEPS6_NSA_18transform_iteratorI7is_evenItESF_NSA_11use_defaultESK_EENS0_5tupleIJSF_NSA_16discard_iteratorISK_EEEEENSM_IJSG_SG_EEES6_PlJS6_EEE10hipError_tPvRmT3_T4_T5_T6_T7_T9_mT8_P12ihipStream_tbDpT10_ENKUlT_T0_E_clISt17integral_constantIbLb1EES1A_IbLb0EEEEDaS16_S17_EUlS16_E_NS1_11comp_targetILNS1_3genE4ELNS1_11target_archE910ELNS1_3gpuE8ELNS1_3repE0EEENS1_30default_config_static_selectorELNS0_4arch9wavefront6targetE1EEEvT1_: ; @_ZN7rocprim17ROCPRIM_400000_NS6detail17trampoline_kernelINS0_14default_configENS1_25partition_config_selectorILNS1_17partition_subalgoE1EtNS0_10empty_typeEbEEZZNS1_14partition_implILS5_1ELb0ES3_jN6thrust23THRUST_200600_302600_NS6detail15normal_iteratorINSA_10device_ptrItEEEEPS6_NSA_18transform_iteratorI7is_evenItESF_NSA_11use_defaultESK_EENS0_5tupleIJSF_NSA_16discard_iteratorISK_EEEEENSM_IJSG_SG_EEES6_PlJS6_EEE10hipError_tPvRmT3_T4_T5_T6_T7_T9_mT8_P12ihipStream_tbDpT10_ENKUlT_T0_E_clISt17integral_constantIbLb1EES1A_IbLb0EEEEDaS16_S17_EUlS16_E_NS1_11comp_targetILNS1_3genE4ELNS1_11target_archE910ELNS1_3gpuE8ELNS1_3repE0EEENS1_30default_config_static_selectorELNS0_4arch9wavefront6targetE1EEEvT1_
; %bb.0:
	.section	.rodata,"a",@progbits
	.p2align	6, 0x0
	.amdhsa_kernel _ZN7rocprim17ROCPRIM_400000_NS6detail17trampoline_kernelINS0_14default_configENS1_25partition_config_selectorILNS1_17partition_subalgoE1EtNS0_10empty_typeEbEEZZNS1_14partition_implILS5_1ELb0ES3_jN6thrust23THRUST_200600_302600_NS6detail15normal_iteratorINSA_10device_ptrItEEEEPS6_NSA_18transform_iteratorI7is_evenItESF_NSA_11use_defaultESK_EENS0_5tupleIJSF_NSA_16discard_iteratorISK_EEEEENSM_IJSG_SG_EEES6_PlJS6_EEE10hipError_tPvRmT3_T4_T5_T6_T7_T9_mT8_P12ihipStream_tbDpT10_ENKUlT_T0_E_clISt17integral_constantIbLb1EES1A_IbLb0EEEEDaS16_S17_EUlS16_E_NS1_11comp_targetILNS1_3genE4ELNS1_11target_archE910ELNS1_3gpuE8ELNS1_3repE0EEENS1_30default_config_static_selectorELNS0_4arch9wavefront6targetE1EEEvT1_
		.amdhsa_group_segment_fixed_size 0
		.amdhsa_private_segment_fixed_size 0
		.amdhsa_kernarg_size 136
		.amdhsa_user_sgpr_count 2
		.amdhsa_user_sgpr_dispatch_ptr 0
		.amdhsa_user_sgpr_queue_ptr 0
		.amdhsa_user_sgpr_kernarg_segment_ptr 1
		.amdhsa_user_sgpr_dispatch_id 0
		.amdhsa_user_sgpr_kernarg_preload_length 0
		.amdhsa_user_sgpr_kernarg_preload_offset 0
		.amdhsa_user_sgpr_private_segment_size 0
		.amdhsa_uses_dynamic_stack 0
		.amdhsa_enable_private_segment 0
		.amdhsa_system_sgpr_workgroup_id_x 1
		.amdhsa_system_sgpr_workgroup_id_y 0
		.amdhsa_system_sgpr_workgroup_id_z 0
		.amdhsa_system_sgpr_workgroup_info 0
		.amdhsa_system_vgpr_workitem_id 0
		.amdhsa_next_free_vgpr 1
		.amdhsa_next_free_sgpr 0
		.amdhsa_accum_offset 4
		.amdhsa_reserve_vcc 0
		.amdhsa_float_round_mode_32 0
		.amdhsa_float_round_mode_16_64 0
		.amdhsa_float_denorm_mode_32 3
		.amdhsa_float_denorm_mode_16_64 3
		.amdhsa_dx10_clamp 1
		.amdhsa_ieee_mode 1
		.amdhsa_fp16_overflow 0
		.amdhsa_tg_split 0
		.amdhsa_exception_fp_ieee_invalid_op 0
		.amdhsa_exception_fp_denorm_src 0
		.amdhsa_exception_fp_ieee_div_zero 0
		.amdhsa_exception_fp_ieee_overflow 0
		.amdhsa_exception_fp_ieee_underflow 0
		.amdhsa_exception_fp_ieee_inexact 0
		.amdhsa_exception_int_div_zero 0
	.end_amdhsa_kernel
	.section	.text._ZN7rocprim17ROCPRIM_400000_NS6detail17trampoline_kernelINS0_14default_configENS1_25partition_config_selectorILNS1_17partition_subalgoE1EtNS0_10empty_typeEbEEZZNS1_14partition_implILS5_1ELb0ES3_jN6thrust23THRUST_200600_302600_NS6detail15normal_iteratorINSA_10device_ptrItEEEEPS6_NSA_18transform_iteratorI7is_evenItESF_NSA_11use_defaultESK_EENS0_5tupleIJSF_NSA_16discard_iteratorISK_EEEEENSM_IJSG_SG_EEES6_PlJS6_EEE10hipError_tPvRmT3_T4_T5_T6_T7_T9_mT8_P12ihipStream_tbDpT10_ENKUlT_T0_E_clISt17integral_constantIbLb1EES1A_IbLb0EEEEDaS16_S17_EUlS16_E_NS1_11comp_targetILNS1_3genE4ELNS1_11target_archE910ELNS1_3gpuE8ELNS1_3repE0EEENS1_30default_config_static_selectorELNS0_4arch9wavefront6targetE1EEEvT1_,"axG",@progbits,_ZN7rocprim17ROCPRIM_400000_NS6detail17trampoline_kernelINS0_14default_configENS1_25partition_config_selectorILNS1_17partition_subalgoE1EtNS0_10empty_typeEbEEZZNS1_14partition_implILS5_1ELb0ES3_jN6thrust23THRUST_200600_302600_NS6detail15normal_iteratorINSA_10device_ptrItEEEEPS6_NSA_18transform_iteratorI7is_evenItESF_NSA_11use_defaultESK_EENS0_5tupleIJSF_NSA_16discard_iteratorISK_EEEEENSM_IJSG_SG_EEES6_PlJS6_EEE10hipError_tPvRmT3_T4_T5_T6_T7_T9_mT8_P12ihipStream_tbDpT10_ENKUlT_T0_E_clISt17integral_constantIbLb1EES1A_IbLb0EEEEDaS16_S17_EUlS16_E_NS1_11comp_targetILNS1_3genE4ELNS1_11target_archE910ELNS1_3gpuE8ELNS1_3repE0EEENS1_30default_config_static_selectorELNS0_4arch9wavefront6targetE1EEEvT1_,comdat
.Lfunc_end3117:
	.size	_ZN7rocprim17ROCPRIM_400000_NS6detail17trampoline_kernelINS0_14default_configENS1_25partition_config_selectorILNS1_17partition_subalgoE1EtNS0_10empty_typeEbEEZZNS1_14partition_implILS5_1ELb0ES3_jN6thrust23THRUST_200600_302600_NS6detail15normal_iteratorINSA_10device_ptrItEEEEPS6_NSA_18transform_iteratorI7is_evenItESF_NSA_11use_defaultESK_EENS0_5tupleIJSF_NSA_16discard_iteratorISK_EEEEENSM_IJSG_SG_EEES6_PlJS6_EEE10hipError_tPvRmT3_T4_T5_T6_T7_T9_mT8_P12ihipStream_tbDpT10_ENKUlT_T0_E_clISt17integral_constantIbLb1EES1A_IbLb0EEEEDaS16_S17_EUlS16_E_NS1_11comp_targetILNS1_3genE4ELNS1_11target_archE910ELNS1_3gpuE8ELNS1_3repE0EEENS1_30default_config_static_selectorELNS0_4arch9wavefront6targetE1EEEvT1_, .Lfunc_end3117-_ZN7rocprim17ROCPRIM_400000_NS6detail17trampoline_kernelINS0_14default_configENS1_25partition_config_selectorILNS1_17partition_subalgoE1EtNS0_10empty_typeEbEEZZNS1_14partition_implILS5_1ELb0ES3_jN6thrust23THRUST_200600_302600_NS6detail15normal_iteratorINSA_10device_ptrItEEEEPS6_NSA_18transform_iteratorI7is_evenItESF_NSA_11use_defaultESK_EENS0_5tupleIJSF_NSA_16discard_iteratorISK_EEEEENSM_IJSG_SG_EEES6_PlJS6_EEE10hipError_tPvRmT3_T4_T5_T6_T7_T9_mT8_P12ihipStream_tbDpT10_ENKUlT_T0_E_clISt17integral_constantIbLb1EES1A_IbLb0EEEEDaS16_S17_EUlS16_E_NS1_11comp_targetILNS1_3genE4ELNS1_11target_archE910ELNS1_3gpuE8ELNS1_3repE0EEENS1_30default_config_static_selectorELNS0_4arch9wavefront6targetE1EEEvT1_
                                        ; -- End function
	.section	.AMDGPU.csdata,"",@progbits
; Kernel info:
; codeLenInByte = 0
; NumSgprs: 6
; NumVgprs: 0
; NumAgprs: 0
; TotalNumVgprs: 0
; ScratchSize: 0
; MemoryBound: 0
; FloatMode: 240
; IeeeMode: 1
; LDSByteSize: 0 bytes/workgroup (compile time only)
; SGPRBlocks: 0
; VGPRBlocks: 0
; NumSGPRsForWavesPerEU: 6
; NumVGPRsForWavesPerEU: 1
; AccumOffset: 4
; Occupancy: 8
; WaveLimiterHint : 0
; COMPUTE_PGM_RSRC2:SCRATCH_EN: 0
; COMPUTE_PGM_RSRC2:USER_SGPR: 2
; COMPUTE_PGM_RSRC2:TRAP_HANDLER: 0
; COMPUTE_PGM_RSRC2:TGID_X_EN: 1
; COMPUTE_PGM_RSRC2:TGID_Y_EN: 0
; COMPUTE_PGM_RSRC2:TGID_Z_EN: 0
; COMPUTE_PGM_RSRC2:TIDIG_COMP_CNT: 0
; COMPUTE_PGM_RSRC3_GFX90A:ACCUM_OFFSET: 0
; COMPUTE_PGM_RSRC3_GFX90A:TG_SPLIT: 0
	.section	.text._ZN7rocprim17ROCPRIM_400000_NS6detail17trampoline_kernelINS0_14default_configENS1_25partition_config_selectorILNS1_17partition_subalgoE1EtNS0_10empty_typeEbEEZZNS1_14partition_implILS5_1ELb0ES3_jN6thrust23THRUST_200600_302600_NS6detail15normal_iteratorINSA_10device_ptrItEEEEPS6_NSA_18transform_iteratorI7is_evenItESF_NSA_11use_defaultESK_EENS0_5tupleIJSF_NSA_16discard_iteratorISK_EEEEENSM_IJSG_SG_EEES6_PlJS6_EEE10hipError_tPvRmT3_T4_T5_T6_T7_T9_mT8_P12ihipStream_tbDpT10_ENKUlT_T0_E_clISt17integral_constantIbLb1EES1A_IbLb0EEEEDaS16_S17_EUlS16_E_NS1_11comp_targetILNS1_3genE3ELNS1_11target_archE908ELNS1_3gpuE7ELNS1_3repE0EEENS1_30default_config_static_selectorELNS0_4arch9wavefront6targetE1EEEvT1_,"axG",@progbits,_ZN7rocprim17ROCPRIM_400000_NS6detail17trampoline_kernelINS0_14default_configENS1_25partition_config_selectorILNS1_17partition_subalgoE1EtNS0_10empty_typeEbEEZZNS1_14partition_implILS5_1ELb0ES3_jN6thrust23THRUST_200600_302600_NS6detail15normal_iteratorINSA_10device_ptrItEEEEPS6_NSA_18transform_iteratorI7is_evenItESF_NSA_11use_defaultESK_EENS0_5tupleIJSF_NSA_16discard_iteratorISK_EEEEENSM_IJSG_SG_EEES6_PlJS6_EEE10hipError_tPvRmT3_T4_T5_T6_T7_T9_mT8_P12ihipStream_tbDpT10_ENKUlT_T0_E_clISt17integral_constantIbLb1EES1A_IbLb0EEEEDaS16_S17_EUlS16_E_NS1_11comp_targetILNS1_3genE3ELNS1_11target_archE908ELNS1_3gpuE7ELNS1_3repE0EEENS1_30default_config_static_selectorELNS0_4arch9wavefront6targetE1EEEvT1_,comdat
	.protected	_ZN7rocprim17ROCPRIM_400000_NS6detail17trampoline_kernelINS0_14default_configENS1_25partition_config_selectorILNS1_17partition_subalgoE1EtNS0_10empty_typeEbEEZZNS1_14partition_implILS5_1ELb0ES3_jN6thrust23THRUST_200600_302600_NS6detail15normal_iteratorINSA_10device_ptrItEEEEPS6_NSA_18transform_iteratorI7is_evenItESF_NSA_11use_defaultESK_EENS0_5tupleIJSF_NSA_16discard_iteratorISK_EEEEENSM_IJSG_SG_EEES6_PlJS6_EEE10hipError_tPvRmT3_T4_T5_T6_T7_T9_mT8_P12ihipStream_tbDpT10_ENKUlT_T0_E_clISt17integral_constantIbLb1EES1A_IbLb0EEEEDaS16_S17_EUlS16_E_NS1_11comp_targetILNS1_3genE3ELNS1_11target_archE908ELNS1_3gpuE7ELNS1_3repE0EEENS1_30default_config_static_selectorELNS0_4arch9wavefront6targetE1EEEvT1_ ; -- Begin function _ZN7rocprim17ROCPRIM_400000_NS6detail17trampoline_kernelINS0_14default_configENS1_25partition_config_selectorILNS1_17partition_subalgoE1EtNS0_10empty_typeEbEEZZNS1_14partition_implILS5_1ELb0ES3_jN6thrust23THRUST_200600_302600_NS6detail15normal_iteratorINSA_10device_ptrItEEEEPS6_NSA_18transform_iteratorI7is_evenItESF_NSA_11use_defaultESK_EENS0_5tupleIJSF_NSA_16discard_iteratorISK_EEEEENSM_IJSG_SG_EEES6_PlJS6_EEE10hipError_tPvRmT3_T4_T5_T6_T7_T9_mT8_P12ihipStream_tbDpT10_ENKUlT_T0_E_clISt17integral_constantIbLb1EES1A_IbLb0EEEEDaS16_S17_EUlS16_E_NS1_11comp_targetILNS1_3genE3ELNS1_11target_archE908ELNS1_3gpuE7ELNS1_3repE0EEENS1_30default_config_static_selectorELNS0_4arch9wavefront6targetE1EEEvT1_
	.globl	_ZN7rocprim17ROCPRIM_400000_NS6detail17trampoline_kernelINS0_14default_configENS1_25partition_config_selectorILNS1_17partition_subalgoE1EtNS0_10empty_typeEbEEZZNS1_14partition_implILS5_1ELb0ES3_jN6thrust23THRUST_200600_302600_NS6detail15normal_iteratorINSA_10device_ptrItEEEEPS6_NSA_18transform_iteratorI7is_evenItESF_NSA_11use_defaultESK_EENS0_5tupleIJSF_NSA_16discard_iteratorISK_EEEEENSM_IJSG_SG_EEES6_PlJS6_EEE10hipError_tPvRmT3_T4_T5_T6_T7_T9_mT8_P12ihipStream_tbDpT10_ENKUlT_T0_E_clISt17integral_constantIbLb1EES1A_IbLb0EEEEDaS16_S17_EUlS16_E_NS1_11comp_targetILNS1_3genE3ELNS1_11target_archE908ELNS1_3gpuE7ELNS1_3repE0EEENS1_30default_config_static_selectorELNS0_4arch9wavefront6targetE1EEEvT1_
	.p2align	8
	.type	_ZN7rocprim17ROCPRIM_400000_NS6detail17trampoline_kernelINS0_14default_configENS1_25partition_config_selectorILNS1_17partition_subalgoE1EtNS0_10empty_typeEbEEZZNS1_14partition_implILS5_1ELb0ES3_jN6thrust23THRUST_200600_302600_NS6detail15normal_iteratorINSA_10device_ptrItEEEEPS6_NSA_18transform_iteratorI7is_evenItESF_NSA_11use_defaultESK_EENS0_5tupleIJSF_NSA_16discard_iteratorISK_EEEEENSM_IJSG_SG_EEES6_PlJS6_EEE10hipError_tPvRmT3_T4_T5_T6_T7_T9_mT8_P12ihipStream_tbDpT10_ENKUlT_T0_E_clISt17integral_constantIbLb1EES1A_IbLb0EEEEDaS16_S17_EUlS16_E_NS1_11comp_targetILNS1_3genE3ELNS1_11target_archE908ELNS1_3gpuE7ELNS1_3repE0EEENS1_30default_config_static_selectorELNS0_4arch9wavefront6targetE1EEEvT1_,@function
_ZN7rocprim17ROCPRIM_400000_NS6detail17trampoline_kernelINS0_14default_configENS1_25partition_config_selectorILNS1_17partition_subalgoE1EtNS0_10empty_typeEbEEZZNS1_14partition_implILS5_1ELb0ES3_jN6thrust23THRUST_200600_302600_NS6detail15normal_iteratorINSA_10device_ptrItEEEEPS6_NSA_18transform_iteratorI7is_evenItESF_NSA_11use_defaultESK_EENS0_5tupleIJSF_NSA_16discard_iteratorISK_EEEEENSM_IJSG_SG_EEES6_PlJS6_EEE10hipError_tPvRmT3_T4_T5_T6_T7_T9_mT8_P12ihipStream_tbDpT10_ENKUlT_T0_E_clISt17integral_constantIbLb1EES1A_IbLb0EEEEDaS16_S17_EUlS16_E_NS1_11comp_targetILNS1_3genE3ELNS1_11target_archE908ELNS1_3gpuE7ELNS1_3repE0EEENS1_30default_config_static_selectorELNS0_4arch9wavefront6targetE1EEEvT1_: ; @_ZN7rocprim17ROCPRIM_400000_NS6detail17trampoline_kernelINS0_14default_configENS1_25partition_config_selectorILNS1_17partition_subalgoE1EtNS0_10empty_typeEbEEZZNS1_14partition_implILS5_1ELb0ES3_jN6thrust23THRUST_200600_302600_NS6detail15normal_iteratorINSA_10device_ptrItEEEEPS6_NSA_18transform_iteratorI7is_evenItESF_NSA_11use_defaultESK_EENS0_5tupleIJSF_NSA_16discard_iteratorISK_EEEEENSM_IJSG_SG_EEES6_PlJS6_EEE10hipError_tPvRmT3_T4_T5_T6_T7_T9_mT8_P12ihipStream_tbDpT10_ENKUlT_T0_E_clISt17integral_constantIbLb1EES1A_IbLb0EEEEDaS16_S17_EUlS16_E_NS1_11comp_targetILNS1_3genE3ELNS1_11target_archE908ELNS1_3gpuE7ELNS1_3repE0EEENS1_30default_config_static_selectorELNS0_4arch9wavefront6targetE1EEEvT1_
; %bb.0:
	.section	.rodata,"a",@progbits
	.p2align	6, 0x0
	.amdhsa_kernel _ZN7rocprim17ROCPRIM_400000_NS6detail17trampoline_kernelINS0_14default_configENS1_25partition_config_selectorILNS1_17partition_subalgoE1EtNS0_10empty_typeEbEEZZNS1_14partition_implILS5_1ELb0ES3_jN6thrust23THRUST_200600_302600_NS6detail15normal_iteratorINSA_10device_ptrItEEEEPS6_NSA_18transform_iteratorI7is_evenItESF_NSA_11use_defaultESK_EENS0_5tupleIJSF_NSA_16discard_iteratorISK_EEEEENSM_IJSG_SG_EEES6_PlJS6_EEE10hipError_tPvRmT3_T4_T5_T6_T7_T9_mT8_P12ihipStream_tbDpT10_ENKUlT_T0_E_clISt17integral_constantIbLb1EES1A_IbLb0EEEEDaS16_S17_EUlS16_E_NS1_11comp_targetILNS1_3genE3ELNS1_11target_archE908ELNS1_3gpuE7ELNS1_3repE0EEENS1_30default_config_static_selectorELNS0_4arch9wavefront6targetE1EEEvT1_
		.amdhsa_group_segment_fixed_size 0
		.amdhsa_private_segment_fixed_size 0
		.amdhsa_kernarg_size 136
		.amdhsa_user_sgpr_count 2
		.amdhsa_user_sgpr_dispatch_ptr 0
		.amdhsa_user_sgpr_queue_ptr 0
		.amdhsa_user_sgpr_kernarg_segment_ptr 1
		.amdhsa_user_sgpr_dispatch_id 0
		.amdhsa_user_sgpr_kernarg_preload_length 0
		.amdhsa_user_sgpr_kernarg_preload_offset 0
		.amdhsa_user_sgpr_private_segment_size 0
		.amdhsa_uses_dynamic_stack 0
		.amdhsa_enable_private_segment 0
		.amdhsa_system_sgpr_workgroup_id_x 1
		.amdhsa_system_sgpr_workgroup_id_y 0
		.amdhsa_system_sgpr_workgroup_id_z 0
		.amdhsa_system_sgpr_workgroup_info 0
		.amdhsa_system_vgpr_workitem_id 0
		.amdhsa_next_free_vgpr 1
		.amdhsa_next_free_sgpr 0
		.amdhsa_accum_offset 4
		.amdhsa_reserve_vcc 0
		.amdhsa_float_round_mode_32 0
		.amdhsa_float_round_mode_16_64 0
		.amdhsa_float_denorm_mode_32 3
		.amdhsa_float_denorm_mode_16_64 3
		.amdhsa_dx10_clamp 1
		.amdhsa_ieee_mode 1
		.amdhsa_fp16_overflow 0
		.amdhsa_tg_split 0
		.amdhsa_exception_fp_ieee_invalid_op 0
		.amdhsa_exception_fp_denorm_src 0
		.amdhsa_exception_fp_ieee_div_zero 0
		.amdhsa_exception_fp_ieee_overflow 0
		.amdhsa_exception_fp_ieee_underflow 0
		.amdhsa_exception_fp_ieee_inexact 0
		.amdhsa_exception_int_div_zero 0
	.end_amdhsa_kernel
	.section	.text._ZN7rocprim17ROCPRIM_400000_NS6detail17trampoline_kernelINS0_14default_configENS1_25partition_config_selectorILNS1_17partition_subalgoE1EtNS0_10empty_typeEbEEZZNS1_14partition_implILS5_1ELb0ES3_jN6thrust23THRUST_200600_302600_NS6detail15normal_iteratorINSA_10device_ptrItEEEEPS6_NSA_18transform_iteratorI7is_evenItESF_NSA_11use_defaultESK_EENS0_5tupleIJSF_NSA_16discard_iteratorISK_EEEEENSM_IJSG_SG_EEES6_PlJS6_EEE10hipError_tPvRmT3_T4_T5_T6_T7_T9_mT8_P12ihipStream_tbDpT10_ENKUlT_T0_E_clISt17integral_constantIbLb1EES1A_IbLb0EEEEDaS16_S17_EUlS16_E_NS1_11comp_targetILNS1_3genE3ELNS1_11target_archE908ELNS1_3gpuE7ELNS1_3repE0EEENS1_30default_config_static_selectorELNS0_4arch9wavefront6targetE1EEEvT1_,"axG",@progbits,_ZN7rocprim17ROCPRIM_400000_NS6detail17trampoline_kernelINS0_14default_configENS1_25partition_config_selectorILNS1_17partition_subalgoE1EtNS0_10empty_typeEbEEZZNS1_14partition_implILS5_1ELb0ES3_jN6thrust23THRUST_200600_302600_NS6detail15normal_iteratorINSA_10device_ptrItEEEEPS6_NSA_18transform_iteratorI7is_evenItESF_NSA_11use_defaultESK_EENS0_5tupleIJSF_NSA_16discard_iteratorISK_EEEEENSM_IJSG_SG_EEES6_PlJS6_EEE10hipError_tPvRmT3_T4_T5_T6_T7_T9_mT8_P12ihipStream_tbDpT10_ENKUlT_T0_E_clISt17integral_constantIbLb1EES1A_IbLb0EEEEDaS16_S17_EUlS16_E_NS1_11comp_targetILNS1_3genE3ELNS1_11target_archE908ELNS1_3gpuE7ELNS1_3repE0EEENS1_30default_config_static_selectorELNS0_4arch9wavefront6targetE1EEEvT1_,comdat
.Lfunc_end3118:
	.size	_ZN7rocprim17ROCPRIM_400000_NS6detail17trampoline_kernelINS0_14default_configENS1_25partition_config_selectorILNS1_17partition_subalgoE1EtNS0_10empty_typeEbEEZZNS1_14partition_implILS5_1ELb0ES3_jN6thrust23THRUST_200600_302600_NS6detail15normal_iteratorINSA_10device_ptrItEEEEPS6_NSA_18transform_iteratorI7is_evenItESF_NSA_11use_defaultESK_EENS0_5tupleIJSF_NSA_16discard_iteratorISK_EEEEENSM_IJSG_SG_EEES6_PlJS6_EEE10hipError_tPvRmT3_T4_T5_T6_T7_T9_mT8_P12ihipStream_tbDpT10_ENKUlT_T0_E_clISt17integral_constantIbLb1EES1A_IbLb0EEEEDaS16_S17_EUlS16_E_NS1_11comp_targetILNS1_3genE3ELNS1_11target_archE908ELNS1_3gpuE7ELNS1_3repE0EEENS1_30default_config_static_selectorELNS0_4arch9wavefront6targetE1EEEvT1_, .Lfunc_end3118-_ZN7rocprim17ROCPRIM_400000_NS6detail17trampoline_kernelINS0_14default_configENS1_25partition_config_selectorILNS1_17partition_subalgoE1EtNS0_10empty_typeEbEEZZNS1_14partition_implILS5_1ELb0ES3_jN6thrust23THRUST_200600_302600_NS6detail15normal_iteratorINSA_10device_ptrItEEEEPS6_NSA_18transform_iteratorI7is_evenItESF_NSA_11use_defaultESK_EENS0_5tupleIJSF_NSA_16discard_iteratorISK_EEEEENSM_IJSG_SG_EEES6_PlJS6_EEE10hipError_tPvRmT3_T4_T5_T6_T7_T9_mT8_P12ihipStream_tbDpT10_ENKUlT_T0_E_clISt17integral_constantIbLb1EES1A_IbLb0EEEEDaS16_S17_EUlS16_E_NS1_11comp_targetILNS1_3genE3ELNS1_11target_archE908ELNS1_3gpuE7ELNS1_3repE0EEENS1_30default_config_static_selectorELNS0_4arch9wavefront6targetE1EEEvT1_
                                        ; -- End function
	.section	.AMDGPU.csdata,"",@progbits
; Kernel info:
; codeLenInByte = 0
; NumSgprs: 6
; NumVgprs: 0
; NumAgprs: 0
; TotalNumVgprs: 0
; ScratchSize: 0
; MemoryBound: 0
; FloatMode: 240
; IeeeMode: 1
; LDSByteSize: 0 bytes/workgroup (compile time only)
; SGPRBlocks: 0
; VGPRBlocks: 0
; NumSGPRsForWavesPerEU: 6
; NumVGPRsForWavesPerEU: 1
; AccumOffset: 4
; Occupancy: 8
; WaveLimiterHint : 0
; COMPUTE_PGM_RSRC2:SCRATCH_EN: 0
; COMPUTE_PGM_RSRC2:USER_SGPR: 2
; COMPUTE_PGM_RSRC2:TRAP_HANDLER: 0
; COMPUTE_PGM_RSRC2:TGID_X_EN: 1
; COMPUTE_PGM_RSRC2:TGID_Y_EN: 0
; COMPUTE_PGM_RSRC2:TGID_Z_EN: 0
; COMPUTE_PGM_RSRC2:TIDIG_COMP_CNT: 0
; COMPUTE_PGM_RSRC3_GFX90A:ACCUM_OFFSET: 0
; COMPUTE_PGM_RSRC3_GFX90A:TG_SPLIT: 0
	.section	.text._ZN7rocprim17ROCPRIM_400000_NS6detail17trampoline_kernelINS0_14default_configENS1_25partition_config_selectorILNS1_17partition_subalgoE1EtNS0_10empty_typeEbEEZZNS1_14partition_implILS5_1ELb0ES3_jN6thrust23THRUST_200600_302600_NS6detail15normal_iteratorINSA_10device_ptrItEEEEPS6_NSA_18transform_iteratorI7is_evenItESF_NSA_11use_defaultESK_EENS0_5tupleIJSF_NSA_16discard_iteratorISK_EEEEENSM_IJSG_SG_EEES6_PlJS6_EEE10hipError_tPvRmT3_T4_T5_T6_T7_T9_mT8_P12ihipStream_tbDpT10_ENKUlT_T0_E_clISt17integral_constantIbLb1EES1A_IbLb0EEEEDaS16_S17_EUlS16_E_NS1_11comp_targetILNS1_3genE2ELNS1_11target_archE906ELNS1_3gpuE6ELNS1_3repE0EEENS1_30default_config_static_selectorELNS0_4arch9wavefront6targetE1EEEvT1_,"axG",@progbits,_ZN7rocprim17ROCPRIM_400000_NS6detail17trampoline_kernelINS0_14default_configENS1_25partition_config_selectorILNS1_17partition_subalgoE1EtNS0_10empty_typeEbEEZZNS1_14partition_implILS5_1ELb0ES3_jN6thrust23THRUST_200600_302600_NS6detail15normal_iteratorINSA_10device_ptrItEEEEPS6_NSA_18transform_iteratorI7is_evenItESF_NSA_11use_defaultESK_EENS0_5tupleIJSF_NSA_16discard_iteratorISK_EEEEENSM_IJSG_SG_EEES6_PlJS6_EEE10hipError_tPvRmT3_T4_T5_T6_T7_T9_mT8_P12ihipStream_tbDpT10_ENKUlT_T0_E_clISt17integral_constantIbLb1EES1A_IbLb0EEEEDaS16_S17_EUlS16_E_NS1_11comp_targetILNS1_3genE2ELNS1_11target_archE906ELNS1_3gpuE6ELNS1_3repE0EEENS1_30default_config_static_selectorELNS0_4arch9wavefront6targetE1EEEvT1_,comdat
	.protected	_ZN7rocprim17ROCPRIM_400000_NS6detail17trampoline_kernelINS0_14default_configENS1_25partition_config_selectorILNS1_17partition_subalgoE1EtNS0_10empty_typeEbEEZZNS1_14partition_implILS5_1ELb0ES3_jN6thrust23THRUST_200600_302600_NS6detail15normal_iteratorINSA_10device_ptrItEEEEPS6_NSA_18transform_iteratorI7is_evenItESF_NSA_11use_defaultESK_EENS0_5tupleIJSF_NSA_16discard_iteratorISK_EEEEENSM_IJSG_SG_EEES6_PlJS6_EEE10hipError_tPvRmT3_T4_T5_T6_T7_T9_mT8_P12ihipStream_tbDpT10_ENKUlT_T0_E_clISt17integral_constantIbLb1EES1A_IbLb0EEEEDaS16_S17_EUlS16_E_NS1_11comp_targetILNS1_3genE2ELNS1_11target_archE906ELNS1_3gpuE6ELNS1_3repE0EEENS1_30default_config_static_selectorELNS0_4arch9wavefront6targetE1EEEvT1_ ; -- Begin function _ZN7rocprim17ROCPRIM_400000_NS6detail17trampoline_kernelINS0_14default_configENS1_25partition_config_selectorILNS1_17partition_subalgoE1EtNS0_10empty_typeEbEEZZNS1_14partition_implILS5_1ELb0ES3_jN6thrust23THRUST_200600_302600_NS6detail15normal_iteratorINSA_10device_ptrItEEEEPS6_NSA_18transform_iteratorI7is_evenItESF_NSA_11use_defaultESK_EENS0_5tupleIJSF_NSA_16discard_iteratorISK_EEEEENSM_IJSG_SG_EEES6_PlJS6_EEE10hipError_tPvRmT3_T4_T5_T6_T7_T9_mT8_P12ihipStream_tbDpT10_ENKUlT_T0_E_clISt17integral_constantIbLb1EES1A_IbLb0EEEEDaS16_S17_EUlS16_E_NS1_11comp_targetILNS1_3genE2ELNS1_11target_archE906ELNS1_3gpuE6ELNS1_3repE0EEENS1_30default_config_static_selectorELNS0_4arch9wavefront6targetE1EEEvT1_
	.globl	_ZN7rocprim17ROCPRIM_400000_NS6detail17trampoline_kernelINS0_14default_configENS1_25partition_config_selectorILNS1_17partition_subalgoE1EtNS0_10empty_typeEbEEZZNS1_14partition_implILS5_1ELb0ES3_jN6thrust23THRUST_200600_302600_NS6detail15normal_iteratorINSA_10device_ptrItEEEEPS6_NSA_18transform_iteratorI7is_evenItESF_NSA_11use_defaultESK_EENS0_5tupleIJSF_NSA_16discard_iteratorISK_EEEEENSM_IJSG_SG_EEES6_PlJS6_EEE10hipError_tPvRmT3_T4_T5_T6_T7_T9_mT8_P12ihipStream_tbDpT10_ENKUlT_T0_E_clISt17integral_constantIbLb1EES1A_IbLb0EEEEDaS16_S17_EUlS16_E_NS1_11comp_targetILNS1_3genE2ELNS1_11target_archE906ELNS1_3gpuE6ELNS1_3repE0EEENS1_30default_config_static_selectorELNS0_4arch9wavefront6targetE1EEEvT1_
	.p2align	8
	.type	_ZN7rocprim17ROCPRIM_400000_NS6detail17trampoline_kernelINS0_14default_configENS1_25partition_config_selectorILNS1_17partition_subalgoE1EtNS0_10empty_typeEbEEZZNS1_14partition_implILS5_1ELb0ES3_jN6thrust23THRUST_200600_302600_NS6detail15normal_iteratorINSA_10device_ptrItEEEEPS6_NSA_18transform_iteratorI7is_evenItESF_NSA_11use_defaultESK_EENS0_5tupleIJSF_NSA_16discard_iteratorISK_EEEEENSM_IJSG_SG_EEES6_PlJS6_EEE10hipError_tPvRmT3_T4_T5_T6_T7_T9_mT8_P12ihipStream_tbDpT10_ENKUlT_T0_E_clISt17integral_constantIbLb1EES1A_IbLb0EEEEDaS16_S17_EUlS16_E_NS1_11comp_targetILNS1_3genE2ELNS1_11target_archE906ELNS1_3gpuE6ELNS1_3repE0EEENS1_30default_config_static_selectorELNS0_4arch9wavefront6targetE1EEEvT1_,@function
_ZN7rocprim17ROCPRIM_400000_NS6detail17trampoline_kernelINS0_14default_configENS1_25partition_config_selectorILNS1_17partition_subalgoE1EtNS0_10empty_typeEbEEZZNS1_14partition_implILS5_1ELb0ES3_jN6thrust23THRUST_200600_302600_NS6detail15normal_iteratorINSA_10device_ptrItEEEEPS6_NSA_18transform_iteratorI7is_evenItESF_NSA_11use_defaultESK_EENS0_5tupleIJSF_NSA_16discard_iteratorISK_EEEEENSM_IJSG_SG_EEES6_PlJS6_EEE10hipError_tPvRmT3_T4_T5_T6_T7_T9_mT8_P12ihipStream_tbDpT10_ENKUlT_T0_E_clISt17integral_constantIbLb1EES1A_IbLb0EEEEDaS16_S17_EUlS16_E_NS1_11comp_targetILNS1_3genE2ELNS1_11target_archE906ELNS1_3gpuE6ELNS1_3repE0EEENS1_30default_config_static_selectorELNS0_4arch9wavefront6targetE1EEEvT1_: ; @_ZN7rocprim17ROCPRIM_400000_NS6detail17trampoline_kernelINS0_14default_configENS1_25partition_config_selectorILNS1_17partition_subalgoE1EtNS0_10empty_typeEbEEZZNS1_14partition_implILS5_1ELb0ES3_jN6thrust23THRUST_200600_302600_NS6detail15normal_iteratorINSA_10device_ptrItEEEEPS6_NSA_18transform_iteratorI7is_evenItESF_NSA_11use_defaultESK_EENS0_5tupleIJSF_NSA_16discard_iteratorISK_EEEEENSM_IJSG_SG_EEES6_PlJS6_EEE10hipError_tPvRmT3_T4_T5_T6_T7_T9_mT8_P12ihipStream_tbDpT10_ENKUlT_T0_E_clISt17integral_constantIbLb1EES1A_IbLb0EEEEDaS16_S17_EUlS16_E_NS1_11comp_targetILNS1_3genE2ELNS1_11target_archE906ELNS1_3gpuE6ELNS1_3repE0EEENS1_30default_config_static_selectorELNS0_4arch9wavefront6targetE1EEEvT1_
; %bb.0:
	.section	.rodata,"a",@progbits
	.p2align	6, 0x0
	.amdhsa_kernel _ZN7rocprim17ROCPRIM_400000_NS6detail17trampoline_kernelINS0_14default_configENS1_25partition_config_selectorILNS1_17partition_subalgoE1EtNS0_10empty_typeEbEEZZNS1_14partition_implILS5_1ELb0ES3_jN6thrust23THRUST_200600_302600_NS6detail15normal_iteratorINSA_10device_ptrItEEEEPS6_NSA_18transform_iteratorI7is_evenItESF_NSA_11use_defaultESK_EENS0_5tupleIJSF_NSA_16discard_iteratorISK_EEEEENSM_IJSG_SG_EEES6_PlJS6_EEE10hipError_tPvRmT3_T4_T5_T6_T7_T9_mT8_P12ihipStream_tbDpT10_ENKUlT_T0_E_clISt17integral_constantIbLb1EES1A_IbLb0EEEEDaS16_S17_EUlS16_E_NS1_11comp_targetILNS1_3genE2ELNS1_11target_archE906ELNS1_3gpuE6ELNS1_3repE0EEENS1_30default_config_static_selectorELNS0_4arch9wavefront6targetE1EEEvT1_
		.amdhsa_group_segment_fixed_size 0
		.amdhsa_private_segment_fixed_size 0
		.amdhsa_kernarg_size 136
		.amdhsa_user_sgpr_count 2
		.amdhsa_user_sgpr_dispatch_ptr 0
		.amdhsa_user_sgpr_queue_ptr 0
		.amdhsa_user_sgpr_kernarg_segment_ptr 1
		.amdhsa_user_sgpr_dispatch_id 0
		.amdhsa_user_sgpr_kernarg_preload_length 0
		.amdhsa_user_sgpr_kernarg_preload_offset 0
		.amdhsa_user_sgpr_private_segment_size 0
		.amdhsa_uses_dynamic_stack 0
		.amdhsa_enable_private_segment 0
		.amdhsa_system_sgpr_workgroup_id_x 1
		.amdhsa_system_sgpr_workgroup_id_y 0
		.amdhsa_system_sgpr_workgroup_id_z 0
		.amdhsa_system_sgpr_workgroup_info 0
		.amdhsa_system_vgpr_workitem_id 0
		.amdhsa_next_free_vgpr 1
		.amdhsa_next_free_sgpr 0
		.amdhsa_accum_offset 4
		.amdhsa_reserve_vcc 0
		.amdhsa_float_round_mode_32 0
		.amdhsa_float_round_mode_16_64 0
		.amdhsa_float_denorm_mode_32 3
		.amdhsa_float_denorm_mode_16_64 3
		.amdhsa_dx10_clamp 1
		.amdhsa_ieee_mode 1
		.amdhsa_fp16_overflow 0
		.amdhsa_tg_split 0
		.amdhsa_exception_fp_ieee_invalid_op 0
		.amdhsa_exception_fp_denorm_src 0
		.amdhsa_exception_fp_ieee_div_zero 0
		.amdhsa_exception_fp_ieee_overflow 0
		.amdhsa_exception_fp_ieee_underflow 0
		.amdhsa_exception_fp_ieee_inexact 0
		.amdhsa_exception_int_div_zero 0
	.end_amdhsa_kernel
	.section	.text._ZN7rocprim17ROCPRIM_400000_NS6detail17trampoline_kernelINS0_14default_configENS1_25partition_config_selectorILNS1_17partition_subalgoE1EtNS0_10empty_typeEbEEZZNS1_14partition_implILS5_1ELb0ES3_jN6thrust23THRUST_200600_302600_NS6detail15normal_iteratorINSA_10device_ptrItEEEEPS6_NSA_18transform_iteratorI7is_evenItESF_NSA_11use_defaultESK_EENS0_5tupleIJSF_NSA_16discard_iteratorISK_EEEEENSM_IJSG_SG_EEES6_PlJS6_EEE10hipError_tPvRmT3_T4_T5_T6_T7_T9_mT8_P12ihipStream_tbDpT10_ENKUlT_T0_E_clISt17integral_constantIbLb1EES1A_IbLb0EEEEDaS16_S17_EUlS16_E_NS1_11comp_targetILNS1_3genE2ELNS1_11target_archE906ELNS1_3gpuE6ELNS1_3repE0EEENS1_30default_config_static_selectorELNS0_4arch9wavefront6targetE1EEEvT1_,"axG",@progbits,_ZN7rocprim17ROCPRIM_400000_NS6detail17trampoline_kernelINS0_14default_configENS1_25partition_config_selectorILNS1_17partition_subalgoE1EtNS0_10empty_typeEbEEZZNS1_14partition_implILS5_1ELb0ES3_jN6thrust23THRUST_200600_302600_NS6detail15normal_iteratorINSA_10device_ptrItEEEEPS6_NSA_18transform_iteratorI7is_evenItESF_NSA_11use_defaultESK_EENS0_5tupleIJSF_NSA_16discard_iteratorISK_EEEEENSM_IJSG_SG_EEES6_PlJS6_EEE10hipError_tPvRmT3_T4_T5_T6_T7_T9_mT8_P12ihipStream_tbDpT10_ENKUlT_T0_E_clISt17integral_constantIbLb1EES1A_IbLb0EEEEDaS16_S17_EUlS16_E_NS1_11comp_targetILNS1_3genE2ELNS1_11target_archE906ELNS1_3gpuE6ELNS1_3repE0EEENS1_30default_config_static_selectorELNS0_4arch9wavefront6targetE1EEEvT1_,comdat
.Lfunc_end3119:
	.size	_ZN7rocprim17ROCPRIM_400000_NS6detail17trampoline_kernelINS0_14default_configENS1_25partition_config_selectorILNS1_17partition_subalgoE1EtNS0_10empty_typeEbEEZZNS1_14partition_implILS5_1ELb0ES3_jN6thrust23THRUST_200600_302600_NS6detail15normal_iteratorINSA_10device_ptrItEEEEPS6_NSA_18transform_iteratorI7is_evenItESF_NSA_11use_defaultESK_EENS0_5tupleIJSF_NSA_16discard_iteratorISK_EEEEENSM_IJSG_SG_EEES6_PlJS6_EEE10hipError_tPvRmT3_T4_T5_T6_T7_T9_mT8_P12ihipStream_tbDpT10_ENKUlT_T0_E_clISt17integral_constantIbLb1EES1A_IbLb0EEEEDaS16_S17_EUlS16_E_NS1_11comp_targetILNS1_3genE2ELNS1_11target_archE906ELNS1_3gpuE6ELNS1_3repE0EEENS1_30default_config_static_selectorELNS0_4arch9wavefront6targetE1EEEvT1_, .Lfunc_end3119-_ZN7rocprim17ROCPRIM_400000_NS6detail17trampoline_kernelINS0_14default_configENS1_25partition_config_selectorILNS1_17partition_subalgoE1EtNS0_10empty_typeEbEEZZNS1_14partition_implILS5_1ELb0ES3_jN6thrust23THRUST_200600_302600_NS6detail15normal_iteratorINSA_10device_ptrItEEEEPS6_NSA_18transform_iteratorI7is_evenItESF_NSA_11use_defaultESK_EENS0_5tupleIJSF_NSA_16discard_iteratorISK_EEEEENSM_IJSG_SG_EEES6_PlJS6_EEE10hipError_tPvRmT3_T4_T5_T6_T7_T9_mT8_P12ihipStream_tbDpT10_ENKUlT_T0_E_clISt17integral_constantIbLb1EES1A_IbLb0EEEEDaS16_S17_EUlS16_E_NS1_11comp_targetILNS1_3genE2ELNS1_11target_archE906ELNS1_3gpuE6ELNS1_3repE0EEENS1_30default_config_static_selectorELNS0_4arch9wavefront6targetE1EEEvT1_
                                        ; -- End function
	.section	.AMDGPU.csdata,"",@progbits
; Kernel info:
; codeLenInByte = 0
; NumSgprs: 6
; NumVgprs: 0
; NumAgprs: 0
; TotalNumVgprs: 0
; ScratchSize: 0
; MemoryBound: 0
; FloatMode: 240
; IeeeMode: 1
; LDSByteSize: 0 bytes/workgroup (compile time only)
; SGPRBlocks: 0
; VGPRBlocks: 0
; NumSGPRsForWavesPerEU: 6
; NumVGPRsForWavesPerEU: 1
; AccumOffset: 4
; Occupancy: 8
; WaveLimiterHint : 0
; COMPUTE_PGM_RSRC2:SCRATCH_EN: 0
; COMPUTE_PGM_RSRC2:USER_SGPR: 2
; COMPUTE_PGM_RSRC2:TRAP_HANDLER: 0
; COMPUTE_PGM_RSRC2:TGID_X_EN: 1
; COMPUTE_PGM_RSRC2:TGID_Y_EN: 0
; COMPUTE_PGM_RSRC2:TGID_Z_EN: 0
; COMPUTE_PGM_RSRC2:TIDIG_COMP_CNT: 0
; COMPUTE_PGM_RSRC3_GFX90A:ACCUM_OFFSET: 0
; COMPUTE_PGM_RSRC3_GFX90A:TG_SPLIT: 0
	.section	.text._ZN7rocprim17ROCPRIM_400000_NS6detail17trampoline_kernelINS0_14default_configENS1_25partition_config_selectorILNS1_17partition_subalgoE1EtNS0_10empty_typeEbEEZZNS1_14partition_implILS5_1ELb0ES3_jN6thrust23THRUST_200600_302600_NS6detail15normal_iteratorINSA_10device_ptrItEEEEPS6_NSA_18transform_iteratorI7is_evenItESF_NSA_11use_defaultESK_EENS0_5tupleIJSF_NSA_16discard_iteratorISK_EEEEENSM_IJSG_SG_EEES6_PlJS6_EEE10hipError_tPvRmT3_T4_T5_T6_T7_T9_mT8_P12ihipStream_tbDpT10_ENKUlT_T0_E_clISt17integral_constantIbLb1EES1A_IbLb0EEEEDaS16_S17_EUlS16_E_NS1_11comp_targetILNS1_3genE10ELNS1_11target_archE1200ELNS1_3gpuE4ELNS1_3repE0EEENS1_30default_config_static_selectorELNS0_4arch9wavefront6targetE1EEEvT1_,"axG",@progbits,_ZN7rocprim17ROCPRIM_400000_NS6detail17trampoline_kernelINS0_14default_configENS1_25partition_config_selectorILNS1_17partition_subalgoE1EtNS0_10empty_typeEbEEZZNS1_14partition_implILS5_1ELb0ES3_jN6thrust23THRUST_200600_302600_NS6detail15normal_iteratorINSA_10device_ptrItEEEEPS6_NSA_18transform_iteratorI7is_evenItESF_NSA_11use_defaultESK_EENS0_5tupleIJSF_NSA_16discard_iteratorISK_EEEEENSM_IJSG_SG_EEES6_PlJS6_EEE10hipError_tPvRmT3_T4_T5_T6_T7_T9_mT8_P12ihipStream_tbDpT10_ENKUlT_T0_E_clISt17integral_constantIbLb1EES1A_IbLb0EEEEDaS16_S17_EUlS16_E_NS1_11comp_targetILNS1_3genE10ELNS1_11target_archE1200ELNS1_3gpuE4ELNS1_3repE0EEENS1_30default_config_static_selectorELNS0_4arch9wavefront6targetE1EEEvT1_,comdat
	.protected	_ZN7rocprim17ROCPRIM_400000_NS6detail17trampoline_kernelINS0_14default_configENS1_25partition_config_selectorILNS1_17partition_subalgoE1EtNS0_10empty_typeEbEEZZNS1_14partition_implILS5_1ELb0ES3_jN6thrust23THRUST_200600_302600_NS6detail15normal_iteratorINSA_10device_ptrItEEEEPS6_NSA_18transform_iteratorI7is_evenItESF_NSA_11use_defaultESK_EENS0_5tupleIJSF_NSA_16discard_iteratorISK_EEEEENSM_IJSG_SG_EEES6_PlJS6_EEE10hipError_tPvRmT3_T4_T5_T6_T7_T9_mT8_P12ihipStream_tbDpT10_ENKUlT_T0_E_clISt17integral_constantIbLb1EES1A_IbLb0EEEEDaS16_S17_EUlS16_E_NS1_11comp_targetILNS1_3genE10ELNS1_11target_archE1200ELNS1_3gpuE4ELNS1_3repE0EEENS1_30default_config_static_selectorELNS0_4arch9wavefront6targetE1EEEvT1_ ; -- Begin function _ZN7rocprim17ROCPRIM_400000_NS6detail17trampoline_kernelINS0_14default_configENS1_25partition_config_selectorILNS1_17partition_subalgoE1EtNS0_10empty_typeEbEEZZNS1_14partition_implILS5_1ELb0ES3_jN6thrust23THRUST_200600_302600_NS6detail15normal_iteratorINSA_10device_ptrItEEEEPS6_NSA_18transform_iteratorI7is_evenItESF_NSA_11use_defaultESK_EENS0_5tupleIJSF_NSA_16discard_iteratorISK_EEEEENSM_IJSG_SG_EEES6_PlJS6_EEE10hipError_tPvRmT3_T4_T5_T6_T7_T9_mT8_P12ihipStream_tbDpT10_ENKUlT_T0_E_clISt17integral_constantIbLb1EES1A_IbLb0EEEEDaS16_S17_EUlS16_E_NS1_11comp_targetILNS1_3genE10ELNS1_11target_archE1200ELNS1_3gpuE4ELNS1_3repE0EEENS1_30default_config_static_selectorELNS0_4arch9wavefront6targetE1EEEvT1_
	.globl	_ZN7rocprim17ROCPRIM_400000_NS6detail17trampoline_kernelINS0_14default_configENS1_25partition_config_selectorILNS1_17partition_subalgoE1EtNS0_10empty_typeEbEEZZNS1_14partition_implILS5_1ELb0ES3_jN6thrust23THRUST_200600_302600_NS6detail15normal_iteratorINSA_10device_ptrItEEEEPS6_NSA_18transform_iteratorI7is_evenItESF_NSA_11use_defaultESK_EENS0_5tupleIJSF_NSA_16discard_iteratorISK_EEEEENSM_IJSG_SG_EEES6_PlJS6_EEE10hipError_tPvRmT3_T4_T5_T6_T7_T9_mT8_P12ihipStream_tbDpT10_ENKUlT_T0_E_clISt17integral_constantIbLb1EES1A_IbLb0EEEEDaS16_S17_EUlS16_E_NS1_11comp_targetILNS1_3genE10ELNS1_11target_archE1200ELNS1_3gpuE4ELNS1_3repE0EEENS1_30default_config_static_selectorELNS0_4arch9wavefront6targetE1EEEvT1_
	.p2align	8
	.type	_ZN7rocprim17ROCPRIM_400000_NS6detail17trampoline_kernelINS0_14default_configENS1_25partition_config_selectorILNS1_17partition_subalgoE1EtNS0_10empty_typeEbEEZZNS1_14partition_implILS5_1ELb0ES3_jN6thrust23THRUST_200600_302600_NS6detail15normal_iteratorINSA_10device_ptrItEEEEPS6_NSA_18transform_iteratorI7is_evenItESF_NSA_11use_defaultESK_EENS0_5tupleIJSF_NSA_16discard_iteratorISK_EEEEENSM_IJSG_SG_EEES6_PlJS6_EEE10hipError_tPvRmT3_T4_T5_T6_T7_T9_mT8_P12ihipStream_tbDpT10_ENKUlT_T0_E_clISt17integral_constantIbLb1EES1A_IbLb0EEEEDaS16_S17_EUlS16_E_NS1_11comp_targetILNS1_3genE10ELNS1_11target_archE1200ELNS1_3gpuE4ELNS1_3repE0EEENS1_30default_config_static_selectorELNS0_4arch9wavefront6targetE1EEEvT1_,@function
_ZN7rocprim17ROCPRIM_400000_NS6detail17trampoline_kernelINS0_14default_configENS1_25partition_config_selectorILNS1_17partition_subalgoE1EtNS0_10empty_typeEbEEZZNS1_14partition_implILS5_1ELb0ES3_jN6thrust23THRUST_200600_302600_NS6detail15normal_iteratorINSA_10device_ptrItEEEEPS6_NSA_18transform_iteratorI7is_evenItESF_NSA_11use_defaultESK_EENS0_5tupleIJSF_NSA_16discard_iteratorISK_EEEEENSM_IJSG_SG_EEES6_PlJS6_EEE10hipError_tPvRmT3_T4_T5_T6_T7_T9_mT8_P12ihipStream_tbDpT10_ENKUlT_T0_E_clISt17integral_constantIbLb1EES1A_IbLb0EEEEDaS16_S17_EUlS16_E_NS1_11comp_targetILNS1_3genE10ELNS1_11target_archE1200ELNS1_3gpuE4ELNS1_3repE0EEENS1_30default_config_static_selectorELNS0_4arch9wavefront6targetE1EEEvT1_: ; @_ZN7rocprim17ROCPRIM_400000_NS6detail17trampoline_kernelINS0_14default_configENS1_25partition_config_selectorILNS1_17partition_subalgoE1EtNS0_10empty_typeEbEEZZNS1_14partition_implILS5_1ELb0ES3_jN6thrust23THRUST_200600_302600_NS6detail15normal_iteratorINSA_10device_ptrItEEEEPS6_NSA_18transform_iteratorI7is_evenItESF_NSA_11use_defaultESK_EENS0_5tupleIJSF_NSA_16discard_iteratorISK_EEEEENSM_IJSG_SG_EEES6_PlJS6_EEE10hipError_tPvRmT3_T4_T5_T6_T7_T9_mT8_P12ihipStream_tbDpT10_ENKUlT_T0_E_clISt17integral_constantIbLb1EES1A_IbLb0EEEEDaS16_S17_EUlS16_E_NS1_11comp_targetILNS1_3genE10ELNS1_11target_archE1200ELNS1_3gpuE4ELNS1_3repE0EEENS1_30default_config_static_selectorELNS0_4arch9wavefront6targetE1EEEvT1_
; %bb.0:
	.section	.rodata,"a",@progbits
	.p2align	6, 0x0
	.amdhsa_kernel _ZN7rocprim17ROCPRIM_400000_NS6detail17trampoline_kernelINS0_14default_configENS1_25partition_config_selectorILNS1_17partition_subalgoE1EtNS0_10empty_typeEbEEZZNS1_14partition_implILS5_1ELb0ES3_jN6thrust23THRUST_200600_302600_NS6detail15normal_iteratorINSA_10device_ptrItEEEEPS6_NSA_18transform_iteratorI7is_evenItESF_NSA_11use_defaultESK_EENS0_5tupleIJSF_NSA_16discard_iteratorISK_EEEEENSM_IJSG_SG_EEES6_PlJS6_EEE10hipError_tPvRmT3_T4_T5_T6_T7_T9_mT8_P12ihipStream_tbDpT10_ENKUlT_T0_E_clISt17integral_constantIbLb1EES1A_IbLb0EEEEDaS16_S17_EUlS16_E_NS1_11comp_targetILNS1_3genE10ELNS1_11target_archE1200ELNS1_3gpuE4ELNS1_3repE0EEENS1_30default_config_static_selectorELNS0_4arch9wavefront6targetE1EEEvT1_
		.amdhsa_group_segment_fixed_size 0
		.amdhsa_private_segment_fixed_size 0
		.amdhsa_kernarg_size 136
		.amdhsa_user_sgpr_count 2
		.amdhsa_user_sgpr_dispatch_ptr 0
		.amdhsa_user_sgpr_queue_ptr 0
		.amdhsa_user_sgpr_kernarg_segment_ptr 1
		.amdhsa_user_sgpr_dispatch_id 0
		.amdhsa_user_sgpr_kernarg_preload_length 0
		.amdhsa_user_sgpr_kernarg_preload_offset 0
		.amdhsa_user_sgpr_private_segment_size 0
		.amdhsa_uses_dynamic_stack 0
		.amdhsa_enable_private_segment 0
		.amdhsa_system_sgpr_workgroup_id_x 1
		.amdhsa_system_sgpr_workgroup_id_y 0
		.amdhsa_system_sgpr_workgroup_id_z 0
		.amdhsa_system_sgpr_workgroup_info 0
		.amdhsa_system_vgpr_workitem_id 0
		.amdhsa_next_free_vgpr 1
		.amdhsa_next_free_sgpr 0
		.amdhsa_accum_offset 4
		.amdhsa_reserve_vcc 0
		.amdhsa_float_round_mode_32 0
		.amdhsa_float_round_mode_16_64 0
		.amdhsa_float_denorm_mode_32 3
		.amdhsa_float_denorm_mode_16_64 3
		.amdhsa_dx10_clamp 1
		.amdhsa_ieee_mode 1
		.amdhsa_fp16_overflow 0
		.amdhsa_tg_split 0
		.amdhsa_exception_fp_ieee_invalid_op 0
		.amdhsa_exception_fp_denorm_src 0
		.amdhsa_exception_fp_ieee_div_zero 0
		.amdhsa_exception_fp_ieee_overflow 0
		.amdhsa_exception_fp_ieee_underflow 0
		.amdhsa_exception_fp_ieee_inexact 0
		.amdhsa_exception_int_div_zero 0
	.end_amdhsa_kernel
	.section	.text._ZN7rocprim17ROCPRIM_400000_NS6detail17trampoline_kernelINS0_14default_configENS1_25partition_config_selectorILNS1_17partition_subalgoE1EtNS0_10empty_typeEbEEZZNS1_14partition_implILS5_1ELb0ES3_jN6thrust23THRUST_200600_302600_NS6detail15normal_iteratorINSA_10device_ptrItEEEEPS6_NSA_18transform_iteratorI7is_evenItESF_NSA_11use_defaultESK_EENS0_5tupleIJSF_NSA_16discard_iteratorISK_EEEEENSM_IJSG_SG_EEES6_PlJS6_EEE10hipError_tPvRmT3_T4_T5_T6_T7_T9_mT8_P12ihipStream_tbDpT10_ENKUlT_T0_E_clISt17integral_constantIbLb1EES1A_IbLb0EEEEDaS16_S17_EUlS16_E_NS1_11comp_targetILNS1_3genE10ELNS1_11target_archE1200ELNS1_3gpuE4ELNS1_3repE0EEENS1_30default_config_static_selectorELNS0_4arch9wavefront6targetE1EEEvT1_,"axG",@progbits,_ZN7rocprim17ROCPRIM_400000_NS6detail17trampoline_kernelINS0_14default_configENS1_25partition_config_selectorILNS1_17partition_subalgoE1EtNS0_10empty_typeEbEEZZNS1_14partition_implILS5_1ELb0ES3_jN6thrust23THRUST_200600_302600_NS6detail15normal_iteratorINSA_10device_ptrItEEEEPS6_NSA_18transform_iteratorI7is_evenItESF_NSA_11use_defaultESK_EENS0_5tupleIJSF_NSA_16discard_iteratorISK_EEEEENSM_IJSG_SG_EEES6_PlJS6_EEE10hipError_tPvRmT3_T4_T5_T6_T7_T9_mT8_P12ihipStream_tbDpT10_ENKUlT_T0_E_clISt17integral_constantIbLb1EES1A_IbLb0EEEEDaS16_S17_EUlS16_E_NS1_11comp_targetILNS1_3genE10ELNS1_11target_archE1200ELNS1_3gpuE4ELNS1_3repE0EEENS1_30default_config_static_selectorELNS0_4arch9wavefront6targetE1EEEvT1_,comdat
.Lfunc_end3120:
	.size	_ZN7rocprim17ROCPRIM_400000_NS6detail17trampoline_kernelINS0_14default_configENS1_25partition_config_selectorILNS1_17partition_subalgoE1EtNS0_10empty_typeEbEEZZNS1_14partition_implILS5_1ELb0ES3_jN6thrust23THRUST_200600_302600_NS6detail15normal_iteratorINSA_10device_ptrItEEEEPS6_NSA_18transform_iteratorI7is_evenItESF_NSA_11use_defaultESK_EENS0_5tupleIJSF_NSA_16discard_iteratorISK_EEEEENSM_IJSG_SG_EEES6_PlJS6_EEE10hipError_tPvRmT3_T4_T5_T6_T7_T9_mT8_P12ihipStream_tbDpT10_ENKUlT_T0_E_clISt17integral_constantIbLb1EES1A_IbLb0EEEEDaS16_S17_EUlS16_E_NS1_11comp_targetILNS1_3genE10ELNS1_11target_archE1200ELNS1_3gpuE4ELNS1_3repE0EEENS1_30default_config_static_selectorELNS0_4arch9wavefront6targetE1EEEvT1_, .Lfunc_end3120-_ZN7rocprim17ROCPRIM_400000_NS6detail17trampoline_kernelINS0_14default_configENS1_25partition_config_selectorILNS1_17partition_subalgoE1EtNS0_10empty_typeEbEEZZNS1_14partition_implILS5_1ELb0ES3_jN6thrust23THRUST_200600_302600_NS6detail15normal_iteratorINSA_10device_ptrItEEEEPS6_NSA_18transform_iteratorI7is_evenItESF_NSA_11use_defaultESK_EENS0_5tupleIJSF_NSA_16discard_iteratorISK_EEEEENSM_IJSG_SG_EEES6_PlJS6_EEE10hipError_tPvRmT3_T4_T5_T6_T7_T9_mT8_P12ihipStream_tbDpT10_ENKUlT_T0_E_clISt17integral_constantIbLb1EES1A_IbLb0EEEEDaS16_S17_EUlS16_E_NS1_11comp_targetILNS1_3genE10ELNS1_11target_archE1200ELNS1_3gpuE4ELNS1_3repE0EEENS1_30default_config_static_selectorELNS0_4arch9wavefront6targetE1EEEvT1_
                                        ; -- End function
	.section	.AMDGPU.csdata,"",@progbits
; Kernel info:
; codeLenInByte = 0
; NumSgprs: 6
; NumVgprs: 0
; NumAgprs: 0
; TotalNumVgprs: 0
; ScratchSize: 0
; MemoryBound: 0
; FloatMode: 240
; IeeeMode: 1
; LDSByteSize: 0 bytes/workgroup (compile time only)
; SGPRBlocks: 0
; VGPRBlocks: 0
; NumSGPRsForWavesPerEU: 6
; NumVGPRsForWavesPerEU: 1
; AccumOffset: 4
; Occupancy: 8
; WaveLimiterHint : 0
; COMPUTE_PGM_RSRC2:SCRATCH_EN: 0
; COMPUTE_PGM_RSRC2:USER_SGPR: 2
; COMPUTE_PGM_RSRC2:TRAP_HANDLER: 0
; COMPUTE_PGM_RSRC2:TGID_X_EN: 1
; COMPUTE_PGM_RSRC2:TGID_Y_EN: 0
; COMPUTE_PGM_RSRC2:TGID_Z_EN: 0
; COMPUTE_PGM_RSRC2:TIDIG_COMP_CNT: 0
; COMPUTE_PGM_RSRC3_GFX90A:ACCUM_OFFSET: 0
; COMPUTE_PGM_RSRC3_GFX90A:TG_SPLIT: 0
	.section	.text._ZN7rocprim17ROCPRIM_400000_NS6detail17trampoline_kernelINS0_14default_configENS1_25partition_config_selectorILNS1_17partition_subalgoE1EtNS0_10empty_typeEbEEZZNS1_14partition_implILS5_1ELb0ES3_jN6thrust23THRUST_200600_302600_NS6detail15normal_iteratorINSA_10device_ptrItEEEEPS6_NSA_18transform_iteratorI7is_evenItESF_NSA_11use_defaultESK_EENS0_5tupleIJSF_NSA_16discard_iteratorISK_EEEEENSM_IJSG_SG_EEES6_PlJS6_EEE10hipError_tPvRmT3_T4_T5_T6_T7_T9_mT8_P12ihipStream_tbDpT10_ENKUlT_T0_E_clISt17integral_constantIbLb1EES1A_IbLb0EEEEDaS16_S17_EUlS16_E_NS1_11comp_targetILNS1_3genE9ELNS1_11target_archE1100ELNS1_3gpuE3ELNS1_3repE0EEENS1_30default_config_static_selectorELNS0_4arch9wavefront6targetE1EEEvT1_,"axG",@progbits,_ZN7rocprim17ROCPRIM_400000_NS6detail17trampoline_kernelINS0_14default_configENS1_25partition_config_selectorILNS1_17partition_subalgoE1EtNS0_10empty_typeEbEEZZNS1_14partition_implILS5_1ELb0ES3_jN6thrust23THRUST_200600_302600_NS6detail15normal_iteratorINSA_10device_ptrItEEEEPS6_NSA_18transform_iteratorI7is_evenItESF_NSA_11use_defaultESK_EENS0_5tupleIJSF_NSA_16discard_iteratorISK_EEEEENSM_IJSG_SG_EEES6_PlJS6_EEE10hipError_tPvRmT3_T4_T5_T6_T7_T9_mT8_P12ihipStream_tbDpT10_ENKUlT_T0_E_clISt17integral_constantIbLb1EES1A_IbLb0EEEEDaS16_S17_EUlS16_E_NS1_11comp_targetILNS1_3genE9ELNS1_11target_archE1100ELNS1_3gpuE3ELNS1_3repE0EEENS1_30default_config_static_selectorELNS0_4arch9wavefront6targetE1EEEvT1_,comdat
	.protected	_ZN7rocprim17ROCPRIM_400000_NS6detail17trampoline_kernelINS0_14default_configENS1_25partition_config_selectorILNS1_17partition_subalgoE1EtNS0_10empty_typeEbEEZZNS1_14partition_implILS5_1ELb0ES3_jN6thrust23THRUST_200600_302600_NS6detail15normal_iteratorINSA_10device_ptrItEEEEPS6_NSA_18transform_iteratorI7is_evenItESF_NSA_11use_defaultESK_EENS0_5tupleIJSF_NSA_16discard_iteratorISK_EEEEENSM_IJSG_SG_EEES6_PlJS6_EEE10hipError_tPvRmT3_T4_T5_T6_T7_T9_mT8_P12ihipStream_tbDpT10_ENKUlT_T0_E_clISt17integral_constantIbLb1EES1A_IbLb0EEEEDaS16_S17_EUlS16_E_NS1_11comp_targetILNS1_3genE9ELNS1_11target_archE1100ELNS1_3gpuE3ELNS1_3repE0EEENS1_30default_config_static_selectorELNS0_4arch9wavefront6targetE1EEEvT1_ ; -- Begin function _ZN7rocprim17ROCPRIM_400000_NS6detail17trampoline_kernelINS0_14default_configENS1_25partition_config_selectorILNS1_17partition_subalgoE1EtNS0_10empty_typeEbEEZZNS1_14partition_implILS5_1ELb0ES3_jN6thrust23THRUST_200600_302600_NS6detail15normal_iteratorINSA_10device_ptrItEEEEPS6_NSA_18transform_iteratorI7is_evenItESF_NSA_11use_defaultESK_EENS0_5tupleIJSF_NSA_16discard_iteratorISK_EEEEENSM_IJSG_SG_EEES6_PlJS6_EEE10hipError_tPvRmT3_T4_T5_T6_T7_T9_mT8_P12ihipStream_tbDpT10_ENKUlT_T0_E_clISt17integral_constantIbLb1EES1A_IbLb0EEEEDaS16_S17_EUlS16_E_NS1_11comp_targetILNS1_3genE9ELNS1_11target_archE1100ELNS1_3gpuE3ELNS1_3repE0EEENS1_30default_config_static_selectorELNS0_4arch9wavefront6targetE1EEEvT1_
	.globl	_ZN7rocprim17ROCPRIM_400000_NS6detail17trampoline_kernelINS0_14default_configENS1_25partition_config_selectorILNS1_17partition_subalgoE1EtNS0_10empty_typeEbEEZZNS1_14partition_implILS5_1ELb0ES3_jN6thrust23THRUST_200600_302600_NS6detail15normal_iteratorINSA_10device_ptrItEEEEPS6_NSA_18transform_iteratorI7is_evenItESF_NSA_11use_defaultESK_EENS0_5tupleIJSF_NSA_16discard_iteratorISK_EEEEENSM_IJSG_SG_EEES6_PlJS6_EEE10hipError_tPvRmT3_T4_T5_T6_T7_T9_mT8_P12ihipStream_tbDpT10_ENKUlT_T0_E_clISt17integral_constantIbLb1EES1A_IbLb0EEEEDaS16_S17_EUlS16_E_NS1_11comp_targetILNS1_3genE9ELNS1_11target_archE1100ELNS1_3gpuE3ELNS1_3repE0EEENS1_30default_config_static_selectorELNS0_4arch9wavefront6targetE1EEEvT1_
	.p2align	8
	.type	_ZN7rocprim17ROCPRIM_400000_NS6detail17trampoline_kernelINS0_14default_configENS1_25partition_config_selectorILNS1_17partition_subalgoE1EtNS0_10empty_typeEbEEZZNS1_14partition_implILS5_1ELb0ES3_jN6thrust23THRUST_200600_302600_NS6detail15normal_iteratorINSA_10device_ptrItEEEEPS6_NSA_18transform_iteratorI7is_evenItESF_NSA_11use_defaultESK_EENS0_5tupleIJSF_NSA_16discard_iteratorISK_EEEEENSM_IJSG_SG_EEES6_PlJS6_EEE10hipError_tPvRmT3_T4_T5_T6_T7_T9_mT8_P12ihipStream_tbDpT10_ENKUlT_T0_E_clISt17integral_constantIbLb1EES1A_IbLb0EEEEDaS16_S17_EUlS16_E_NS1_11comp_targetILNS1_3genE9ELNS1_11target_archE1100ELNS1_3gpuE3ELNS1_3repE0EEENS1_30default_config_static_selectorELNS0_4arch9wavefront6targetE1EEEvT1_,@function
_ZN7rocprim17ROCPRIM_400000_NS6detail17trampoline_kernelINS0_14default_configENS1_25partition_config_selectorILNS1_17partition_subalgoE1EtNS0_10empty_typeEbEEZZNS1_14partition_implILS5_1ELb0ES3_jN6thrust23THRUST_200600_302600_NS6detail15normal_iteratorINSA_10device_ptrItEEEEPS6_NSA_18transform_iteratorI7is_evenItESF_NSA_11use_defaultESK_EENS0_5tupleIJSF_NSA_16discard_iteratorISK_EEEEENSM_IJSG_SG_EEES6_PlJS6_EEE10hipError_tPvRmT3_T4_T5_T6_T7_T9_mT8_P12ihipStream_tbDpT10_ENKUlT_T0_E_clISt17integral_constantIbLb1EES1A_IbLb0EEEEDaS16_S17_EUlS16_E_NS1_11comp_targetILNS1_3genE9ELNS1_11target_archE1100ELNS1_3gpuE3ELNS1_3repE0EEENS1_30default_config_static_selectorELNS0_4arch9wavefront6targetE1EEEvT1_: ; @_ZN7rocprim17ROCPRIM_400000_NS6detail17trampoline_kernelINS0_14default_configENS1_25partition_config_selectorILNS1_17partition_subalgoE1EtNS0_10empty_typeEbEEZZNS1_14partition_implILS5_1ELb0ES3_jN6thrust23THRUST_200600_302600_NS6detail15normal_iteratorINSA_10device_ptrItEEEEPS6_NSA_18transform_iteratorI7is_evenItESF_NSA_11use_defaultESK_EENS0_5tupleIJSF_NSA_16discard_iteratorISK_EEEEENSM_IJSG_SG_EEES6_PlJS6_EEE10hipError_tPvRmT3_T4_T5_T6_T7_T9_mT8_P12ihipStream_tbDpT10_ENKUlT_T0_E_clISt17integral_constantIbLb1EES1A_IbLb0EEEEDaS16_S17_EUlS16_E_NS1_11comp_targetILNS1_3genE9ELNS1_11target_archE1100ELNS1_3gpuE3ELNS1_3repE0EEENS1_30default_config_static_selectorELNS0_4arch9wavefront6targetE1EEEvT1_
; %bb.0:
	.section	.rodata,"a",@progbits
	.p2align	6, 0x0
	.amdhsa_kernel _ZN7rocprim17ROCPRIM_400000_NS6detail17trampoline_kernelINS0_14default_configENS1_25partition_config_selectorILNS1_17partition_subalgoE1EtNS0_10empty_typeEbEEZZNS1_14partition_implILS5_1ELb0ES3_jN6thrust23THRUST_200600_302600_NS6detail15normal_iteratorINSA_10device_ptrItEEEEPS6_NSA_18transform_iteratorI7is_evenItESF_NSA_11use_defaultESK_EENS0_5tupleIJSF_NSA_16discard_iteratorISK_EEEEENSM_IJSG_SG_EEES6_PlJS6_EEE10hipError_tPvRmT3_T4_T5_T6_T7_T9_mT8_P12ihipStream_tbDpT10_ENKUlT_T0_E_clISt17integral_constantIbLb1EES1A_IbLb0EEEEDaS16_S17_EUlS16_E_NS1_11comp_targetILNS1_3genE9ELNS1_11target_archE1100ELNS1_3gpuE3ELNS1_3repE0EEENS1_30default_config_static_selectorELNS0_4arch9wavefront6targetE1EEEvT1_
		.amdhsa_group_segment_fixed_size 0
		.amdhsa_private_segment_fixed_size 0
		.amdhsa_kernarg_size 136
		.amdhsa_user_sgpr_count 2
		.amdhsa_user_sgpr_dispatch_ptr 0
		.amdhsa_user_sgpr_queue_ptr 0
		.amdhsa_user_sgpr_kernarg_segment_ptr 1
		.amdhsa_user_sgpr_dispatch_id 0
		.amdhsa_user_sgpr_kernarg_preload_length 0
		.amdhsa_user_sgpr_kernarg_preload_offset 0
		.amdhsa_user_sgpr_private_segment_size 0
		.amdhsa_uses_dynamic_stack 0
		.amdhsa_enable_private_segment 0
		.amdhsa_system_sgpr_workgroup_id_x 1
		.amdhsa_system_sgpr_workgroup_id_y 0
		.amdhsa_system_sgpr_workgroup_id_z 0
		.amdhsa_system_sgpr_workgroup_info 0
		.amdhsa_system_vgpr_workitem_id 0
		.amdhsa_next_free_vgpr 1
		.amdhsa_next_free_sgpr 0
		.amdhsa_accum_offset 4
		.amdhsa_reserve_vcc 0
		.amdhsa_float_round_mode_32 0
		.amdhsa_float_round_mode_16_64 0
		.amdhsa_float_denorm_mode_32 3
		.amdhsa_float_denorm_mode_16_64 3
		.amdhsa_dx10_clamp 1
		.amdhsa_ieee_mode 1
		.amdhsa_fp16_overflow 0
		.amdhsa_tg_split 0
		.amdhsa_exception_fp_ieee_invalid_op 0
		.amdhsa_exception_fp_denorm_src 0
		.amdhsa_exception_fp_ieee_div_zero 0
		.amdhsa_exception_fp_ieee_overflow 0
		.amdhsa_exception_fp_ieee_underflow 0
		.amdhsa_exception_fp_ieee_inexact 0
		.amdhsa_exception_int_div_zero 0
	.end_amdhsa_kernel
	.section	.text._ZN7rocprim17ROCPRIM_400000_NS6detail17trampoline_kernelINS0_14default_configENS1_25partition_config_selectorILNS1_17partition_subalgoE1EtNS0_10empty_typeEbEEZZNS1_14partition_implILS5_1ELb0ES3_jN6thrust23THRUST_200600_302600_NS6detail15normal_iteratorINSA_10device_ptrItEEEEPS6_NSA_18transform_iteratorI7is_evenItESF_NSA_11use_defaultESK_EENS0_5tupleIJSF_NSA_16discard_iteratorISK_EEEEENSM_IJSG_SG_EEES6_PlJS6_EEE10hipError_tPvRmT3_T4_T5_T6_T7_T9_mT8_P12ihipStream_tbDpT10_ENKUlT_T0_E_clISt17integral_constantIbLb1EES1A_IbLb0EEEEDaS16_S17_EUlS16_E_NS1_11comp_targetILNS1_3genE9ELNS1_11target_archE1100ELNS1_3gpuE3ELNS1_3repE0EEENS1_30default_config_static_selectorELNS0_4arch9wavefront6targetE1EEEvT1_,"axG",@progbits,_ZN7rocprim17ROCPRIM_400000_NS6detail17trampoline_kernelINS0_14default_configENS1_25partition_config_selectorILNS1_17partition_subalgoE1EtNS0_10empty_typeEbEEZZNS1_14partition_implILS5_1ELb0ES3_jN6thrust23THRUST_200600_302600_NS6detail15normal_iteratorINSA_10device_ptrItEEEEPS6_NSA_18transform_iteratorI7is_evenItESF_NSA_11use_defaultESK_EENS0_5tupleIJSF_NSA_16discard_iteratorISK_EEEEENSM_IJSG_SG_EEES6_PlJS6_EEE10hipError_tPvRmT3_T4_T5_T6_T7_T9_mT8_P12ihipStream_tbDpT10_ENKUlT_T0_E_clISt17integral_constantIbLb1EES1A_IbLb0EEEEDaS16_S17_EUlS16_E_NS1_11comp_targetILNS1_3genE9ELNS1_11target_archE1100ELNS1_3gpuE3ELNS1_3repE0EEENS1_30default_config_static_selectorELNS0_4arch9wavefront6targetE1EEEvT1_,comdat
.Lfunc_end3121:
	.size	_ZN7rocprim17ROCPRIM_400000_NS6detail17trampoline_kernelINS0_14default_configENS1_25partition_config_selectorILNS1_17partition_subalgoE1EtNS0_10empty_typeEbEEZZNS1_14partition_implILS5_1ELb0ES3_jN6thrust23THRUST_200600_302600_NS6detail15normal_iteratorINSA_10device_ptrItEEEEPS6_NSA_18transform_iteratorI7is_evenItESF_NSA_11use_defaultESK_EENS0_5tupleIJSF_NSA_16discard_iteratorISK_EEEEENSM_IJSG_SG_EEES6_PlJS6_EEE10hipError_tPvRmT3_T4_T5_T6_T7_T9_mT8_P12ihipStream_tbDpT10_ENKUlT_T0_E_clISt17integral_constantIbLb1EES1A_IbLb0EEEEDaS16_S17_EUlS16_E_NS1_11comp_targetILNS1_3genE9ELNS1_11target_archE1100ELNS1_3gpuE3ELNS1_3repE0EEENS1_30default_config_static_selectorELNS0_4arch9wavefront6targetE1EEEvT1_, .Lfunc_end3121-_ZN7rocprim17ROCPRIM_400000_NS6detail17trampoline_kernelINS0_14default_configENS1_25partition_config_selectorILNS1_17partition_subalgoE1EtNS0_10empty_typeEbEEZZNS1_14partition_implILS5_1ELb0ES3_jN6thrust23THRUST_200600_302600_NS6detail15normal_iteratorINSA_10device_ptrItEEEEPS6_NSA_18transform_iteratorI7is_evenItESF_NSA_11use_defaultESK_EENS0_5tupleIJSF_NSA_16discard_iteratorISK_EEEEENSM_IJSG_SG_EEES6_PlJS6_EEE10hipError_tPvRmT3_T4_T5_T6_T7_T9_mT8_P12ihipStream_tbDpT10_ENKUlT_T0_E_clISt17integral_constantIbLb1EES1A_IbLb0EEEEDaS16_S17_EUlS16_E_NS1_11comp_targetILNS1_3genE9ELNS1_11target_archE1100ELNS1_3gpuE3ELNS1_3repE0EEENS1_30default_config_static_selectorELNS0_4arch9wavefront6targetE1EEEvT1_
                                        ; -- End function
	.section	.AMDGPU.csdata,"",@progbits
; Kernel info:
; codeLenInByte = 0
; NumSgprs: 6
; NumVgprs: 0
; NumAgprs: 0
; TotalNumVgprs: 0
; ScratchSize: 0
; MemoryBound: 0
; FloatMode: 240
; IeeeMode: 1
; LDSByteSize: 0 bytes/workgroup (compile time only)
; SGPRBlocks: 0
; VGPRBlocks: 0
; NumSGPRsForWavesPerEU: 6
; NumVGPRsForWavesPerEU: 1
; AccumOffset: 4
; Occupancy: 8
; WaveLimiterHint : 0
; COMPUTE_PGM_RSRC2:SCRATCH_EN: 0
; COMPUTE_PGM_RSRC2:USER_SGPR: 2
; COMPUTE_PGM_RSRC2:TRAP_HANDLER: 0
; COMPUTE_PGM_RSRC2:TGID_X_EN: 1
; COMPUTE_PGM_RSRC2:TGID_Y_EN: 0
; COMPUTE_PGM_RSRC2:TGID_Z_EN: 0
; COMPUTE_PGM_RSRC2:TIDIG_COMP_CNT: 0
; COMPUTE_PGM_RSRC3_GFX90A:ACCUM_OFFSET: 0
; COMPUTE_PGM_RSRC3_GFX90A:TG_SPLIT: 0
	.section	.text._ZN7rocprim17ROCPRIM_400000_NS6detail17trampoline_kernelINS0_14default_configENS1_25partition_config_selectorILNS1_17partition_subalgoE1EtNS0_10empty_typeEbEEZZNS1_14partition_implILS5_1ELb0ES3_jN6thrust23THRUST_200600_302600_NS6detail15normal_iteratorINSA_10device_ptrItEEEEPS6_NSA_18transform_iteratorI7is_evenItESF_NSA_11use_defaultESK_EENS0_5tupleIJSF_NSA_16discard_iteratorISK_EEEEENSM_IJSG_SG_EEES6_PlJS6_EEE10hipError_tPvRmT3_T4_T5_T6_T7_T9_mT8_P12ihipStream_tbDpT10_ENKUlT_T0_E_clISt17integral_constantIbLb1EES1A_IbLb0EEEEDaS16_S17_EUlS16_E_NS1_11comp_targetILNS1_3genE8ELNS1_11target_archE1030ELNS1_3gpuE2ELNS1_3repE0EEENS1_30default_config_static_selectorELNS0_4arch9wavefront6targetE1EEEvT1_,"axG",@progbits,_ZN7rocprim17ROCPRIM_400000_NS6detail17trampoline_kernelINS0_14default_configENS1_25partition_config_selectorILNS1_17partition_subalgoE1EtNS0_10empty_typeEbEEZZNS1_14partition_implILS5_1ELb0ES3_jN6thrust23THRUST_200600_302600_NS6detail15normal_iteratorINSA_10device_ptrItEEEEPS6_NSA_18transform_iteratorI7is_evenItESF_NSA_11use_defaultESK_EENS0_5tupleIJSF_NSA_16discard_iteratorISK_EEEEENSM_IJSG_SG_EEES6_PlJS6_EEE10hipError_tPvRmT3_T4_T5_T6_T7_T9_mT8_P12ihipStream_tbDpT10_ENKUlT_T0_E_clISt17integral_constantIbLb1EES1A_IbLb0EEEEDaS16_S17_EUlS16_E_NS1_11comp_targetILNS1_3genE8ELNS1_11target_archE1030ELNS1_3gpuE2ELNS1_3repE0EEENS1_30default_config_static_selectorELNS0_4arch9wavefront6targetE1EEEvT1_,comdat
	.protected	_ZN7rocprim17ROCPRIM_400000_NS6detail17trampoline_kernelINS0_14default_configENS1_25partition_config_selectorILNS1_17partition_subalgoE1EtNS0_10empty_typeEbEEZZNS1_14partition_implILS5_1ELb0ES3_jN6thrust23THRUST_200600_302600_NS6detail15normal_iteratorINSA_10device_ptrItEEEEPS6_NSA_18transform_iteratorI7is_evenItESF_NSA_11use_defaultESK_EENS0_5tupleIJSF_NSA_16discard_iteratorISK_EEEEENSM_IJSG_SG_EEES6_PlJS6_EEE10hipError_tPvRmT3_T4_T5_T6_T7_T9_mT8_P12ihipStream_tbDpT10_ENKUlT_T0_E_clISt17integral_constantIbLb1EES1A_IbLb0EEEEDaS16_S17_EUlS16_E_NS1_11comp_targetILNS1_3genE8ELNS1_11target_archE1030ELNS1_3gpuE2ELNS1_3repE0EEENS1_30default_config_static_selectorELNS0_4arch9wavefront6targetE1EEEvT1_ ; -- Begin function _ZN7rocprim17ROCPRIM_400000_NS6detail17trampoline_kernelINS0_14default_configENS1_25partition_config_selectorILNS1_17partition_subalgoE1EtNS0_10empty_typeEbEEZZNS1_14partition_implILS5_1ELb0ES3_jN6thrust23THRUST_200600_302600_NS6detail15normal_iteratorINSA_10device_ptrItEEEEPS6_NSA_18transform_iteratorI7is_evenItESF_NSA_11use_defaultESK_EENS0_5tupleIJSF_NSA_16discard_iteratorISK_EEEEENSM_IJSG_SG_EEES6_PlJS6_EEE10hipError_tPvRmT3_T4_T5_T6_T7_T9_mT8_P12ihipStream_tbDpT10_ENKUlT_T0_E_clISt17integral_constantIbLb1EES1A_IbLb0EEEEDaS16_S17_EUlS16_E_NS1_11comp_targetILNS1_3genE8ELNS1_11target_archE1030ELNS1_3gpuE2ELNS1_3repE0EEENS1_30default_config_static_selectorELNS0_4arch9wavefront6targetE1EEEvT1_
	.globl	_ZN7rocprim17ROCPRIM_400000_NS6detail17trampoline_kernelINS0_14default_configENS1_25partition_config_selectorILNS1_17partition_subalgoE1EtNS0_10empty_typeEbEEZZNS1_14partition_implILS5_1ELb0ES3_jN6thrust23THRUST_200600_302600_NS6detail15normal_iteratorINSA_10device_ptrItEEEEPS6_NSA_18transform_iteratorI7is_evenItESF_NSA_11use_defaultESK_EENS0_5tupleIJSF_NSA_16discard_iteratorISK_EEEEENSM_IJSG_SG_EEES6_PlJS6_EEE10hipError_tPvRmT3_T4_T5_T6_T7_T9_mT8_P12ihipStream_tbDpT10_ENKUlT_T0_E_clISt17integral_constantIbLb1EES1A_IbLb0EEEEDaS16_S17_EUlS16_E_NS1_11comp_targetILNS1_3genE8ELNS1_11target_archE1030ELNS1_3gpuE2ELNS1_3repE0EEENS1_30default_config_static_selectorELNS0_4arch9wavefront6targetE1EEEvT1_
	.p2align	8
	.type	_ZN7rocprim17ROCPRIM_400000_NS6detail17trampoline_kernelINS0_14default_configENS1_25partition_config_selectorILNS1_17partition_subalgoE1EtNS0_10empty_typeEbEEZZNS1_14partition_implILS5_1ELb0ES3_jN6thrust23THRUST_200600_302600_NS6detail15normal_iteratorINSA_10device_ptrItEEEEPS6_NSA_18transform_iteratorI7is_evenItESF_NSA_11use_defaultESK_EENS0_5tupleIJSF_NSA_16discard_iteratorISK_EEEEENSM_IJSG_SG_EEES6_PlJS6_EEE10hipError_tPvRmT3_T4_T5_T6_T7_T9_mT8_P12ihipStream_tbDpT10_ENKUlT_T0_E_clISt17integral_constantIbLb1EES1A_IbLb0EEEEDaS16_S17_EUlS16_E_NS1_11comp_targetILNS1_3genE8ELNS1_11target_archE1030ELNS1_3gpuE2ELNS1_3repE0EEENS1_30default_config_static_selectorELNS0_4arch9wavefront6targetE1EEEvT1_,@function
_ZN7rocprim17ROCPRIM_400000_NS6detail17trampoline_kernelINS0_14default_configENS1_25partition_config_selectorILNS1_17partition_subalgoE1EtNS0_10empty_typeEbEEZZNS1_14partition_implILS5_1ELb0ES3_jN6thrust23THRUST_200600_302600_NS6detail15normal_iteratorINSA_10device_ptrItEEEEPS6_NSA_18transform_iteratorI7is_evenItESF_NSA_11use_defaultESK_EENS0_5tupleIJSF_NSA_16discard_iteratorISK_EEEEENSM_IJSG_SG_EEES6_PlJS6_EEE10hipError_tPvRmT3_T4_T5_T6_T7_T9_mT8_P12ihipStream_tbDpT10_ENKUlT_T0_E_clISt17integral_constantIbLb1EES1A_IbLb0EEEEDaS16_S17_EUlS16_E_NS1_11comp_targetILNS1_3genE8ELNS1_11target_archE1030ELNS1_3gpuE2ELNS1_3repE0EEENS1_30default_config_static_selectorELNS0_4arch9wavefront6targetE1EEEvT1_: ; @_ZN7rocprim17ROCPRIM_400000_NS6detail17trampoline_kernelINS0_14default_configENS1_25partition_config_selectorILNS1_17partition_subalgoE1EtNS0_10empty_typeEbEEZZNS1_14partition_implILS5_1ELb0ES3_jN6thrust23THRUST_200600_302600_NS6detail15normal_iteratorINSA_10device_ptrItEEEEPS6_NSA_18transform_iteratorI7is_evenItESF_NSA_11use_defaultESK_EENS0_5tupleIJSF_NSA_16discard_iteratorISK_EEEEENSM_IJSG_SG_EEES6_PlJS6_EEE10hipError_tPvRmT3_T4_T5_T6_T7_T9_mT8_P12ihipStream_tbDpT10_ENKUlT_T0_E_clISt17integral_constantIbLb1EES1A_IbLb0EEEEDaS16_S17_EUlS16_E_NS1_11comp_targetILNS1_3genE8ELNS1_11target_archE1030ELNS1_3gpuE2ELNS1_3repE0EEENS1_30default_config_static_selectorELNS0_4arch9wavefront6targetE1EEEvT1_
; %bb.0:
	.section	.rodata,"a",@progbits
	.p2align	6, 0x0
	.amdhsa_kernel _ZN7rocprim17ROCPRIM_400000_NS6detail17trampoline_kernelINS0_14default_configENS1_25partition_config_selectorILNS1_17partition_subalgoE1EtNS0_10empty_typeEbEEZZNS1_14partition_implILS5_1ELb0ES3_jN6thrust23THRUST_200600_302600_NS6detail15normal_iteratorINSA_10device_ptrItEEEEPS6_NSA_18transform_iteratorI7is_evenItESF_NSA_11use_defaultESK_EENS0_5tupleIJSF_NSA_16discard_iteratorISK_EEEEENSM_IJSG_SG_EEES6_PlJS6_EEE10hipError_tPvRmT3_T4_T5_T6_T7_T9_mT8_P12ihipStream_tbDpT10_ENKUlT_T0_E_clISt17integral_constantIbLb1EES1A_IbLb0EEEEDaS16_S17_EUlS16_E_NS1_11comp_targetILNS1_3genE8ELNS1_11target_archE1030ELNS1_3gpuE2ELNS1_3repE0EEENS1_30default_config_static_selectorELNS0_4arch9wavefront6targetE1EEEvT1_
		.amdhsa_group_segment_fixed_size 0
		.amdhsa_private_segment_fixed_size 0
		.amdhsa_kernarg_size 136
		.amdhsa_user_sgpr_count 2
		.amdhsa_user_sgpr_dispatch_ptr 0
		.amdhsa_user_sgpr_queue_ptr 0
		.amdhsa_user_sgpr_kernarg_segment_ptr 1
		.amdhsa_user_sgpr_dispatch_id 0
		.amdhsa_user_sgpr_kernarg_preload_length 0
		.amdhsa_user_sgpr_kernarg_preload_offset 0
		.amdhsa_user_sgpr_private_segment_size 0
		.amdhsa_uses_dynamic_stack 0
		.amdhsa_enable_private_segment 0
		.amdhsa_system_sgpr_workgroup_id_x 1
		.amdhsa_system_sgpr_workgroup_id_y 0
		.amdhsa_system_sgpr_workgroup_id_z 0
		.amdhsa_system_sgpr_workgroup_info 0
		.amdhsa_system_vgpr_workitem_id 0
		.amdhsa_next_free_vgpr 1
		.amdhsa_next_free_sgpr 0
		.amdhsa_accum_offset 4
		.amdhsa_reserve_vcc 0
		.amdhsa_float_round_mode_32 0
		.amdhsa_float_round_mode_16_64 0
		.amdhsa_float_denorm_mode_32 3
		.amdhsa_float_denorm_mode_16_64 3
		.amdhsa_dx10_clamp 1
		.amdhsa_ieee_mode 1
		.amdhsa_fp16_overflow 0
		.amdhsa_tg_split 0
		.amdhsa_exception_fp_ieee_invalid_op 0
		.amdhsa_exception_fp_denorm_src 0
		.amdhsa_exception_fp_ieee_div_zero 0
		.amdhsa_exception_fp_ieee_overflow 0
		.amdhsa_exception_fp_ieee_underflow 0
		.amdhsa_exception_fp_ieee_inexact 0
		.amdhsa_exception_int_div_zero 0
	.end_amdhsa_kernel
	.section	.text._ZN7rocprim17ROCPRIM_400000_NS6detail17trampoline_kernelINS0_14default_configENS1_25partition_config_selectorILNS1_17partition_subalgoE1EtNS0_10empty_typeEbEEZZNS1_14partition_implILS5_1ELb0ES3_jN6thrust23THRUST_200600_302600_NS6detail15normal_iteratorINSA_10device_ptrItEEEEPS6_NSA_18transform_iteratorI7is_evenItESF_NSA_11use_defaultESK_EENS0_5tupleIJSF_NSA_16discard_iteratorISK_EEEEENSM_IJSG_SG_EEES6_PlJS6_EEE10hipError_tPvRmT3_T4_T5_T6_T7_T9_mT8_P12ihipStream_tbDpT10_ENKUlT_T0_E_clISt17integral_constantIbLb1EES1A_IbLb0EEEEDaS16_S17_EUlS16_E_NS1_11comp_targetILNS1_3genE8ELNS1_11target_archE1030ELNS1_3gpuE2ELNS1_3repE0EEENS1_30default_config_static_selectorELNS0_4arch9wavefront6targetE1EEEvT1_,"axG",@progbits,_ZN7rocprim17ROCPRIM_400000_NS6detail17trampoline_kernelINS0_14default_configENS1_25partition_config_selectorILNS1_17partition_subalgoE1EtNS0_10empty_typeEbEEZZNS1_14partition_implILS5_1ELb0ES3_jN6thrust23THRUST_200600_302600_NS6detail15normal_iteratorINSA_10device_ptrItEEEEPS6_NSA_18transform_iteratorI7is_evenItESF_NSA_11use_defaultESK_EENS0_5tupleIJSF_NSA_16discard_iteratorISK_EEEEENSM_IJSG_SG_EEES6_PlJS6_EEE10hipError_tPvRmT3_T4_T5_T6_T7_T9_mT8_P12ihipStream_tbDpT10_ENKUlT_T0_E_clISt17integral_constantIbLb1EES1A_IbLb0EEEEDaS16_S17_EUlS16_E_NS1_11comp_targetILNS1_3genE8ELNS1_11target_archE1030ELNS1_3gpuE2ELNS1_3repE0EEENS1_30default_config_static_selectorELNS0_4arch9wavefront6targetE1EEEvT1_,comdat
.Lfunc_end3122:
	.size	_ZN7rocprim17ROCPRIM_400000_NS6detail17trampoline_kernelINS0_14default_configENS1_25partition_config_selectorILNS1_17partition_subalgoE1EtNS0_10empty_typeEbEEZZNS1_14partition_implILS5_1ELb0ES3_jN6thrust23THRUST_200600_302600_NS6detail15normal_iteratorINSA_10device_ptrItEEEEPS6_NSA_18transform_iteratorI7is_evenItESF_NSA_11use_defaultESK_EENS0_5tupleIJSF_NSA_16discard_iteratorISK_EEEEENSM_IJSG_SG_EEES6_PlJS6_EEE10hipError_tPvRmT3_T4_T5_T6_T7_T9_mT8_P12ihipStream_tbDpT10_ENKUlT_T0_E_clISt17integral_constantIbLb1EES1A_IbLb0EEEEDaS16_S17_EUlS16_E_NS1_11comp_targetILNS1_3genE8ELNS1_11target_archE1030ELNS1_3gpuE2ELNS1_3repE0EEENS1_30default_config_static_selectorELNS0_4arch9wavefront6targetE1EEEvT1_, .Lfunc_end3122-_ZN7rocprim17ROCPRIM_400000_NS6detail17trampoline_kernelINS0_14default_configENS1_25partition_config_selectorILNS1_17partition_subalgoE1EtNS0_10empty_typeEbEEZZNS1_14partition_implILS5_1ELb0ES3_jN6thrust23THRUST_200600_302600_NS6detail15normal_iteratorINSA_10device_ptrItEEEEPS6_NSA_18transform_iteratorI7is_evenItESF_NSA_11use_defaultESK_EENS0_5tupleIJSF_NSA_16discard_iteratorISK_EEEEENSM_IJSG_SG_EEES6_PlJS6_EEE10hipError_tPvRmT3_T4_T5_T6_T7_T9_mT8_P12ihipStream_tbDpT10_ENKUlT_T0_E_clISt17integral_constantIbLb1EES1A_IbLb0EEEEDaS16_S17_EUlS16_E_NS1_11comp_targetILNS1_3genE8ELNS1_11target_archE1030ELNS1_3gpuE2ELNS1_3repE0EEENS1_30default_config_static_selectorELNS0_4arch9wavefront6targetE1EEEvT1_
                                        ; -- End function
	.section	.AMDGPU.csdata,"",@progbits
; Kernel info:
; codeLenInByte = 0
; NumSgprs: 6
; NumVgprs: 0
; NumAgprs: 0
; TotalNumVgprs: 0
; ScratchSize: 0
; MemoryBound: 0
; FloatMode: 240
; IeeeMode: 1
; LDSByteSize: 0 bytes/workgroup (compile time only)
; SGPRBlocks: 0
; VGPRBlocks: 0
; NumSGPRsForWavesPerEU: 6
; NumVGPRsForWavesPerEU: 1
; AccumOffset: 4
; Occupancy: 8
; WaveLimiterHint : 0
; COMPUTE_PGM_RSRC2:SCRATCH_EN: 0
; COMPUTE_PGM_RSRC2:USER_SGPR: 2
; COMPUTE_PGM_RSRC2:TRAP_HANDLER: 0
; COMPUTE_PGM_RSRC2:TGID_X_EN: 1
; COMPUTE_PGM_RSRC2:TGID_Y_EN: 0
; COMPUTE_PGM_RSRC2:TGID_Z_EN: 0
; COMPUTE_PGM_RSRC2:TIDIG_COMP_CNT: 0
; COMPUTE_PGM_RSRC3_GFX90A:ACCUM_OFFSET: 0
; COMPUTE_PGM_RSRC3_GFX90A:TG_SPLIT: 0
	.section	.text._ZN7rocprim17ROCPRIM_400000_NS6detail17trampoline_kernelINS0_14default_configENS1_25partition_config_selectorILNS1_17partition_subalgoE1EtNS0_10empty_typeEbEEZZNS1_14partition_implILS5_1ELb0ES3_jN6thrust23THRUST_200600_302600_NS6detail15normal_iteratorINSA_10device_ptrItEEEEPS6_NSA_18transform_iteratorI7is_evenItESF_NSA_11use_defaultESK_EENS0_5tupleIJSF_NSA_16discard_iteratorISK_EEEEENSM_IJSG_SG_EEES6_PlJS6_EEE10hipError_tPvRmT3_T4_T5_T6_T7_T9_mT8_P12ihipStream_tbDpT10_ENKUlT_T0_E_clISt17integral_constantIbLb0EES1A_IbLb1EEEEDaS16_S17_EUlS16_E_NS1_11comp_targetILNS1_3genE0ELNS1_11target_archE4294967295ELNS1_3gpuE0ELNS1_3repE0EEENS1_30default_config_static_selectorELNS0_4arch9wavefront6targetE1EEEvT1_,"axG",@progbits,_ZN7rocprim17ROCPRIM_400000_NS6detail17trampoline_kernelINS0_14default_configENS1_25partition_config_selectorILNS1_17partition_subalgoE1EtNS0_10empty_typeEbEEZZNS1_14partition_implILS5_1ELb0ES3_jN6thrust23THRUST_200600_302600_NS6detail15normal_iteratorINSA_10device_ptrItEEEEPS6_NSA_18transform_iteratorI7is_evenItESF_NSA_11use_defaultESK_EENS0_5tupleIJSF_NSA_16discard_iteratorISK_EEEEENSM_IJSG_SG_EEES6_PlJS6_EEE10hipError_tPvRmT3_T4_T5_T6_T7_T9_mT8_P12ihipStream_tbDpT10_ENKUlT_T0_E_clISt17integral_constantIbLb0EES1A_IbLb1EEEEDaS16_S17_EUlS16_E_NS1_11comp_targetILNS1_3genE0ELNS1_11target_archE4294967295ELNS1_3gpuE0ELNS1_3repE0EEENS1_30default_config_static_selectorELNS0_4arch9wavefront6targetE1EEEvT1_,comdat
	.protected	_ZN7rocprim17ROCPRIM_400000_NS6detail17trampoline_kernelINS0_14default_configENS1_25partition_config_selectorILNS1_17partition_subalgoE1EtNS0_10empty_typeEbEEZZNS1_14partition_implILS5_1ELb0ES3_jN6thrust23THRUST_200600_302600_NS6detail15normal_iteratorINSA_10device_ptrItEEEEPS6_NSA_18transform_iteratorI7is_evenItESF_NSA_11use_defaultESK_EENS0_5tupleIJSF_NSA_16discard_iteratorISK_EEEEENSM_IJSG_SG_EEES6_PlJS6_EEE10hipError_tPvRmT3_T4_T5_T6_T7_T9_mT8_P12ihipStream_tbDpT10_ENKUlT_T0_E_clISt17integral_constantIbLb0EES1A_IbLb1EEEEDaS16_S17_EUlS16_E_NS1_11comp_targetILNS1_3genE0ELNS1_11target_archE4294967295ELNS1_3gpuE0ELNS1_3repE0EEENS1_30default_config_static_selectorELNS0_4arch9wavefront6targetE1EEEvT1_ ; -- Begin function _ZN7rocprim17ROCPRIM_400000_NS6detail17trampoline_kernelINS0_14default_configENS1_25partition_config_selectorILNS1_17partition_subalgoE1EtNS0_10empty_typeEbEEZZNS1_14partition_implILS5_1ELb0ES3_jN6thrust23THRUST_200600_302600_NS6detail15normal_iteratorINSA_10device_ptrItEEEEPS6_NSA_18transform_iteratorI7is_evenItESF_NSA_11use_defaultESK_EENS0_5tupleIJSF_NSA_16discard_iteratorISK_EEEEENSM_IJSG_SG_EEES6_PlJS6_EEE10hipError_tPvRmT3_T4_T5_T6_T7_T9_mT8_P12ihipStream_tbDpT10_ENKUlT_T0_E_clISt17integral_constantIbLb0EES1A_IbLb1EEEEDaS16_S17_EUlS16_E_NS1_11comp_targetILNS1_3genE0ELNS1_11target_archE4294967295ELNS1_3gpuE0ELNS1_3repE0EEENS1_30default_config_static_selectorELNS0_4arch9wavefront6targetE1EEEvT1_
	.globl	_ZN7rocprim17ROCPRIM_400000_NS6detail17trampoline_kernelINS0_14default_configENS1_25partition_config_selectorILNS1_17partition_subalgoE1EtNS0_10empty_typeEbEEZZNS1_14partition_implILS5_1ELb0ES3_jN6thrust23THRUST_200600_302600_NS6detail15normal_iteratorINSA_10device_ptrItEEEEPS6_NSA_18transform_iteratorI7is_evenItESF_NSA_11use_defaultESK_EENS0_5tupleIJSF_NSA_16discard_iteratorISK_EEEEENSM_IJSG_SG_EEES6_PlJS6_EEE10hipError_tPvRmT3_T4_T5_T6_T7_T9_mT8_P12ihipStream_tbDpT10_ENKUlT_T0_E_clISt17integral_constantIbLb0EES1A_IbLb1EEEEDaS16_S17_EUlS16_E_NS1_11comp_targetILNS1_3genE0ELNS1_11target_archE4294967295ELNS1_3gpuE0ELNS1_3repE0EEENS1_30default_config_static_selectorELNS0_4arch9wavefront6targetE1EEEvT1_
	.p2align	8
	.type	_ZN7rocprim17ROCPRIM_400000_NS6detail17trampoline_kernelINS0_14default_configENS1_25partition_config_selectorILNS1_17partition_subalgoE1EtNS0_10empty_typeEbEEZZNS1_14partition_implILS5_1ELb0ES3_jN6thrust23THRUST_200600_302600_NS6detail15normal_iteratorINSA_10device_ptrItEEEEPS6_NSA_18transform_iteratorI7is_evenItESF_NSA_11use_defaultESK_EENS0_5tupleIJSF_NSA_16discard_iteratorISK_EEEEENSM_IJSG_SG_EEES6_PlJS6_EEE10hipError_tPvRmT3_T4_T5_T6_T7_T9_mT8_P12ihipStream_tbDpT10_ENKUlT_T0_E_clISt17integral_constantIbLb0EES1A_IbLb1EEEEDaS16_S17_EUlS16_E_NS1_11comp_targetILNS1_3genE0ELNS1_11target_archE4294967295ELNS1_3gpuE0ELNS1_3repE0EEENS1_30default_config_static_selectorELNS0_4arch9wavefront6targetE1EEEvT1_,@function
_ZN7rocprim17ROCPRIM_400000_NS6detail17trampoline_kernelINS0_14default_configENS1_25partition_config_selectorILNS1_17partition_subalgoE1EtNS0_10empty_typeEbEEZZNS1_14partition_implILS5_1ELb0ES3_jN6thrust23THRUST_200600_302600_NS6detail15normal_iteratorINSA_10device_ptrItEEEEPS6_NSA_18transform_iteratorI7is_evenItESF_NSA_11use_defaultESK_EENS0_5tupleIJSF_NSA_16discard_iteratorISK_EEEEENSM_IJSG_SG_EEES6_PlJS6_EEE10hipError_tPvRmT3_T4_T5_T6_T7_T9_mT8_P12ihipStream_tbDpT10_ENKUlT_T0_E_clISt17integral_constantIbLb0EES1A_IbLb1EEEEDaS16_S17_EUlS16_E_NS1_11comp_targetILNS1_3genE0ELNS1_11target_archE4294967295ELNS1_3gpuE0ELNS1_3repE0EEENS1_30default_config_static_selectorELNS0_4arch9wavefront6targetE1EEEvT1_: ; @_ZN7rocprim17ROCPRIM_400000_NS6detail17trampoline_kernelINS0_14default_configENS1_25partition_config_selectorILNS1_17partition_subalgoE1EtNS0_10empty_typeEbEEZZNS1_14partition_implILS5_1ELb0ES3_jN6thrust23THRUST_200600_302600_NS6detail15normal_iteratorINSA_10device_ptrItEEEEPS6_NSA_18transform_iteratorI7is_evenItESF_NSA_11use_defaultESK_EENS0_5tupleIJSF_NSA_16discard_iteratorISK_EEEEENSM_IJSG_SG_EEES6_PlJS6_EEE10hipError_tPvRmT3_T4_T5_T6_T7_T9_mT8_P12ihipStream_tbDpT10_ENKUlT_T0_E_clISt17integral_constantIbLb0EES1A_IbLb1EEEEDaS16_S17_EUlS16_E_NS1_11comp_targetILNS1_3genE0ELNS1_11target_archE4294967295ELNS1_3gpuE0ELNS1_3repE0EEENS1_30default_config_static_selectorELNS0_4arch9wavefront6targetE1EEEvT1_
; %bb.0:
	.section	.rodata,"a",@progbits
	.p2align	6, 0x0
	.amdhsa_kernel _ZN7rocprim17ROCPRIM_400000_NS6detail17trampoline_kernelINS0_14default_configENS1_25partition_config_selectorILNS1_17partition_subalgoE1EtNS0_10empty_typeEbEEZZNS1_14partition_implILS5_1ELb0ES3_jN6thrust23THRUST_200600_302600_NS6detail15normal_iteratorINSA_10device_ptrItEEEEPS6_NSA_18transform_iteratorI7is_evenItESF_NSA_11use_defaultESK_EENS0_5tupleIJSF_NSA_16discard_iteratorISK_EEEEENSM_IJSG_SG_EEES6_PlJS6_EEE10hipError_tPvRmT3_T4_T5_T6_T7_T9_mT8_P12ihipStream_tbDpT10_ENKUlT_T0_E_clISt17integral_constantIbLb0EES1A_IbLb1EEEEDaS16_S17_EUlS16_E_NS1_11comp_targetILNS1_3genE0ELNS1_11target_archE4294967295ELNS1_3gpuE0ELNS1_3repE0EEENS1_30default_config_static_selectorELNS0_4arch9wavefront6targetE1EEEvT1_
		.amdhsa_group_segment_fixed_size 0
		.amdhsa_private_segment_fixed_size 0
		.amdhsa_kernarg_size 152
		.amdhsa_user_sgpr_count 2
		.amdhsa_user_sgpr_dispatch_ptr 0
		.amdhsa_user_sgpr_queue_ptr 0
		.amdhsa_user_sgpr_kernarg_segment_ptr 1
		.amdhsa_user_sgpr_dispatch_id 0
		.amdhsa_user_sgpr_kernarg_preload_length 0
		.amdhsa_user_sgpr_kernarg_preload_offset 0
		.amdhsa_user_sgpr_private_segment_size 0
		.amdhsa_uses_dynamic_stack 0
		.amdhsa_enable_private_segment 0
		.amdhsa_system_sgpr_workgroup_id_x 1
		.amdhsa_system_sgpr_workgroup_id_y 0
		.amdhsa_system_sgpr_workgroup_id_z 0
		.amdhsa_system_sgpr_workgroup_info 0
		.amdhsa_system_vgpr_workitem_id 0
		.amdhsa_next_free_vgpr 1
		.amdhsa_next_free_sgpr 0
		.amdhsa_accum_offset 4
		.amdhsa_reserve_vcc 0
		.amdhsa_float_round_mode_32 0
		.amdhsa_float_round_mode_16_64 0
		.amdhsa_float_denorm_mode_32 3
		.amdhsa_float_denorm_mode_16_64 3
		.amdhsa_dx10_clamp 1
		.amdhsa_ieee_mode 1
		.amdhsa_fp16_overflow 0
		.amdhsa_tg_split 0
		.amdhsa_exception_fp_ieee_invalid_op 0
		.amdhsa_exception_fp_denorm_src 0
		.amdhsa_exception_fp_ieee_div_zero 0
		.amdhsa_exception_fp_ieee_overflow 0
		.amdhsa_exception_fp_ieee_underflow 0
		.amdhsa_exception_fp_ieee_inexact 0
		.amdhsa_exception_int_div_zero 0
	.end_amdhsa_kernel
	.section	.text._ZN7rocprim17ROCPRIM_400000_NS6detail17trampoline_kernelINS0_14default_configENS1_25partition_config_selectorILNS1_17partition_subalgoE1EtNS0_10empty_typeEbEEZZNS1_14partition_implILS5_1ELb0ES3_jN6thrust23THRUST_200600_302600_NS6detail15normal_iteratorINSA_10device_ptrItEEEEPS6_NSA_18transform_iteratorI7is_evenItESF_NSA_11use_defaultESK_EENS0_5tupleIJSF_NSA_16discard_iteratorISK_EEEEENSM_IJSG_SG_EEES6_PlJS6_EEE10hipError_tPvRmT3_T4_T5_T6_T7_T9_mT8_P12ihipStream_tbDpT10_ENKUlT_T0_E_clISt17integral_constantIbLb0EES1A_IbLb1EEEEDaS16_S17_EUlS16_E_NS1_11comp_targetILNS1_3genE0ELNS1_11target_archE4294967295ELNS1_3gpuE0ELNS1_3repE0EEENS1_30default_config_static_selectorELNS0_4arch9wavefront6targetE1EEEvT1_,"axG",@progbits,_ZN7rocprim17ROCPRIM_400000_NS6detail17trampoline_kernelINS0_14default_configENS1_25partition_config_selectorILNS1_17partition_subalgoE1EtNS0_10empty_typeEbEEZZNS1_14partition_implILS5_1ELb0ES3_jN6thrust23THRUST_200600_302600_NS6detail15normal_iteratorINSA_10device_ptrItEEEEPS6_NSA_18transform_iteratorI7is_evenItESF_NSA_11use_defaultESK_EENS0_5tupleIJSF_NSA_16discard_iteratorISK_EEEEENSM_IJSG_SG_EEES6_PlJS6_EEE10hipError_tPvRmT3_T4_T5_T6_T7_T9_mT8_P12ihipStream_tbDpT10_ENKUlT_T0_E_clISt17integral_constantIbLb0EES1A_IbLb1EEEEDaS16_S17_EUlS16_E_NS1_11comp_targetILNS1_3genE0ELNS1_11target_archE4294967295ELNS1_3gpuE0ELNS1_3repE0EEENS1_30default_config_static_selectorELNS0_4arch9wavefront6targetE1EEEvT1_,comdat
.Lfunc_end3123:
	.size	_ZN7rocprim17ROCPRIM_400000_NS6detail17trampoline_kernelINS0_14default_configENS1_25partition_config_selectorILNS1_17partition_subalgoE1EtNS0_10empty_typeEbEEZZNS1_14partition_implILS5_1ELb0ES3_jN6thrust23THRUST_200600_302600_NS6detail15normal_iteratorINSA_10device_ptrItEEEEPS6_NSA_18transform_iteratorI7is_evenItESF_NSA_11use_defaultESK_EENS0_5tupleIJSF_NSA_16discard_iteratorISK_EEEEENSM_IJSG_SG_EEES6_PlJS6_EEE10hipError_tPvRmT3_T4_T5_T6_T7_T9_mT8_P12ihipStream_tbDpT10_ENKUlT_T0_E_clISt17integral_constantIbLb0EES1A_IbLb1EEEEDaS16_S17_EUlS16_E_NS1_11comp_targetILNS1_3genE0ELNS1_11target_archE4294967295ELNS1_3gpuE0ELNS1_3repE0EEENS1_30default_config_static_selectorELNS0_4arch9wavefront6targetE1EEEvT1_, .Lfunc_end3123-_ZN7rocprim17ROCPRIM_400000_NS6detail17trampoline_kernelINS0_14default_configENS1_25partition_config_selectorILNS1_17partition_subalgoE1EtNS0_10empty_typeEbEEZZNS1_14partition_implILS5_1ELb0ES3_jN6thrust23THRUST_200600_302600_NS6detail15normal_iteratorINSA_10device_ptrItEEEEPS6_NSA_18transform_iteratorI7is_evenItESF_NSA_11use_defaultESK_EENS0_5tupleIJSF_NSA_16discard_iteratorISK_EEEEENSM_IJSG_SG_EEES6_PlJS6_EEE10hipError_tPvRmT3_T4_T5_T6_T7_T9_mT8_P12ihipStream_tbDpT10_ENKUlT_T0_E_clISt17integral_constantIbLb0EES1A_IbLb1EEEEDaS16_S17_EUlS16_E_NS1_11comp_targetILNS1_3genE0ELNS1_11target_archE4294967295ELNS1_3gpuE0ELNS1_3repE0EEENS1_30default_config_static_selectorELNS0_4arch9wavefront6targetE1EEEvT1_
                                        ; -- End function
	.section	.AMDGPU.csdata,"",@progbits
; Kernel info:
; codeLenInByte = 0
; NumSgprs: 6
; NumVgprs: 0
; NumAgprs: 0
; TotalNumVgprs: 0
; ScratchSize: 0
; MemoryBound: 0
; FloatMode: 240
; IeeeMode: 1
; LDSByteSize: 0 bytes/workgroup (compile time only)
; SGPRBlocks: 0
; VGPRBlocks: 0
; NumSGPRsForWavesPerEU: 6
; NumVGPRsForWavesPerEU: 1
; AccumOffset: 4
; Occupancy: 8
; WaveLimiterHint : 0
; COMPUTE_PGM_RSRC2:SCRATCH_EN: 0
; COMPUTE_PGM_RSRC2:USER_SGPR: 2
; COMPUTE_PGM_RSRC2:TRAP_HANDLER: 0
; COMPUTE_PGM_RSRC2:TGID_X_EN: 1
; COMPUTE_PGM_RSRC2:TGID_Y_EN: 0
; COMPUTE_PGM_RSRC2:TGID_Z_EN: 0
; COMPUTE_PGM_RSRC2:TIDIG_COMP_CNT: 0
; COMPUTE_PGM_RSRC3_GFX90A:ACCUM_OFFSET: 0
; COMPUTE_PGM_RSRC3_GFX90A:TG_SPLIT: 0
	.section	.text._ZN7rocprim17ROCPRIM_400000_NS6detail17trampoline_kernelINS0_14default_configENS1_25partition_config_selectorILNS1_17partition_subalgoE1EtNS0_10empty_typeEbEEZZNS1_14partition_implILS5_1ELb0ES3_jN6thrust23THRUST_200600_302600_NS6detail15normal_iteratorINSA_10device_ptrItEEEEPS6_NSA_18transform_iteratorI7is_evenItESF_NSA_11use_defaultESK_EENS0_5tupleIJSF_NSA_16discard_iteratorISK_EEEEENSM_IJSG_SG_EEES6_PlJS6_EEE10hipError_tPvRmT3_T4_T5_T6_T7_T9_mT8_P12ihipStream_tbDpT10_ENKUlT_T0_E_clISt17integral_constantIbLb0EES1A_IbLb1EEEEDaS16_S17_EUlS16_E_NS1_11comp_targetILNS1_3genE5ELNS1_11target_archE942ELNS1_3gpuE9ELNS1_3repE0EEENS1_30default_config_static_selectorELNS0_4arch9wavefront6targetE1EEEvT1_,"axG",@progbits,_ZN7rocprim17ROCPRIM_400000_NS6detail17trampoline_kernelINS0_14default_configENS1_25partition_config_selectorILNS1_17partition_subalgoE1EtNS0_10empty_typeEbEEZZNS1_14partition_implILS5_1ELb0ES3_jN6thrust23THRUST_200600_302600_NS6detail15normal_iteratorINSA_10device_ptrItEEEEPS6_NSA_18transform_iteratorI7is_evenItESF_NSA_11use_defaultESK_EENS0_5tupleIJSF_NSA_16discard_iteratorISK_EEEEENSM_IJSG_SG_EEES6_PlJS6_EEE10hipError_tPvRmT3_T4_T5_T6_T7_T9_mT8_P12ihipStream_tbDpT10_ENKUlT_T0_E_clISt17integral_constantIbLb0EES1A_IbLb1EEEEDaS16_S17_EUlS16_E_NS1_11comp_targetILNS1_3genE5ELNS1_11target_archE942ELNS1_3gpuE9ELNS1_3repE0EEENS1_30default_config_static_selectorELNS0_4arch9wavefront6targetE1EEEvT1_,comdat
	.protected	_ZN7rocprim17ROCPRIM_400000_NS6detail17trampoline_kernelINS0_14default_configENS1_25partition_config_selectorILNS1_17partition_subalgoE1EtNS0_10empty_typeEbEEZZNS1_14partition_implILS5_1ELb0ES3_jN6thrust23THRUST_200600_302600_NS6detail15normal_iteratorINSA_10device_ptrItEEEEPS6_NSA_18transform_iteratorI7is_evenItESF_NSA_11use_defaultESK_EENS0_5tupleIJSF_NSA_16discard_iteratorISK_EEEEENSM_IJSG_SG_EEES6_PlJS6_EEE10hipError_tPvRmT3_T4_T5_T6_T7_T9_mT8_P12ihipStream_tbDpT10_ENKUlT_T0_E_clISt17integral_constantIbLb0EES1A_IbLb1EEEEDaS16_S17_EUlS16_E_NS1_11comp_targetILNS1_3genE5ELNS1_11target_archE942ELNS1_3gpuE9ELNS1_3repE0EEENS1_30default_config_static_selectorELNS0_4arch9wavefront6targetE1EEEvT1_ ; -- Begin function _ZN7rocprim17ROCPRIM_400000_NS6detail17trampoline_kernelINS0_14default_configENS1_25partition_config_selectorILNS1_17partition_subalgoE1EtNS0_10empty_typeEbEEZZNS1_14partition_implILS5_1ELb0ES3_jN6thrust23THRUST_200600_302600_NS6detail15normal_iteratorINSA_10device_ptrItEEEEPS6_NSA_18transform_iteratorI7is_evenItESF_NSA_11use_defaultESK_EENS0_5tupleIJSF_NSA_16discard_iteratorISK_EEEEENSM_IJSG_SG_EEES6_PlJS6_EEE10hipError_tPvRmT3_T4_T5_T6_T7_T9_mT8_P12ihipStream_tbDpT10_ENKUlT_T0_E_clISt17integral_constantIbLb0EES1A_IbLb1EEEEDaS16_S17_EUlS16_E_NS1_11comp_targetILNS1_3genE5ELNS1_11target_archE942ELNS1_3gpuE9ELNS1_3repE0EEENS1_30default_config_static_selectorELNS0_4arch9wavefront6targetE1EEEvT1_
	.globl	_ZN7rocprim17ROCPRIM_400000_NS6detail17trampoline_kernelINS0_14default_configENS1_25partition_config_selectorILNS1_17partition_subalgoE1EtNS0_10empty_typeEbEEZZNS1_14partition_implILS5_1ELb0ES3_jN6thrust23THRUST_200600_302600_NS6detail15normal_iteratorINSA_10device_ptrItEEEEPS6_NSA_18transform_iteratorI7is_evenItESF_NSA_11use_defaultESK_EENS0_5tupleIJSF_NSA_16discard_iteratorISK_EEEEENSM_IJSG_SG_EEES6_PlJS6_EEE10hipError_tPvRmT3_T4_T5_T6_T7_T9_mT8_P12ihipStream_tbDpT10_ENKUlT_T0_E_clISt17integral_constantIbLb0EES1A_IbLb1EEEEDaS16_S17_EUlS16_E_NS1_11comp_targetILNS1_3genE5ELNS1_11target_archE942ELNS1_3gpuE9ELNS1_3repE0EEENS1_30default_config_static_selectorELNS0_4arch9wavefront6targetE1EEEvT1_
	.p2align	8
	.type	_ZN7rocprim17ROCPRIM_400000_NS6detail17trampoline_kernelINS0_14default_configENS1_25partition_config_selectorILNS1_17partition_subalgoE1EtNS0_10empty_typeEbEEZZNS1_14partition_implILS5_1ELb0ES3_jN6thrust23THRUST_200600_302600_NS6detail15normal_iteratorINSA_10device_ptrItEEEEPS6_NSA_18transform_iteratorI7is_evenItESF_NSA_11use_defaultESK_EENS0_5tupleIJSF_NSA_16discard_iteratorISK_EEEEENSM_IJSG_SG_EEES6_PlJS6_EEE10hipError_tPvRmT3_T4_T5_T6_T7_T9_mT8_P12ihipStream_tbDpT10_ENKUlT_T0_E_clISt17integral_constantIbLb0EES1A_IbLb1EEEEDaS16_S17_EUlS16_E_NS1_11comp_targetILNS1_3genE5ELNS1_11target_archE942ELNS1_3gpuE9ELNS1_3repE0EEENS1_30default_config_static_selectorELNS0_4arch9wavefront6targetE1EEEvT1_,@function
_ZN7rocprim17ROCPRIM_400000_NS6detail17trampoline_kernelINS0_14default_configENS1_25partition_config_selectorILNS1_17partition_subalgoE1EtNS0_10empty_typeEbEEZZNS1_14partition_implILS5_1ELb0ES3_jN6thrust23THRUST_200600_302600_NS6detail15normal_iteratorINSA_10device_ptrItEEEEPS6_NSA_18transform_iteratorI7is_evenItESF_NSA_11use_defaultESK_EENS0_5tupleIJSF_NSA_16discard_iteratorISK_EEEEENSM_IJSG_SG_EEES6_PlJS6_EEE10hipError_tPvRmT3_T4_T5_T6_T7_T9_mT8_P12ihipStream_tbDpT10_ENKUlT_T0_E_clISt17integral_constantIbLb0EES1A_IbLb1EEEEDaS16_S17_EUlS16_E_NS1_11comp_targetILNS1_3genE5ELNS1_11target_archE942ELNS1_3gpuE9ELNS1_3repE0EEENS1_30default_config_static_selectorELNS0_4arch9wavefront6targetE1EEEvT1_: ; @_ZN7rocprim17ROCPRIM_400000_NS6detail17trampoline_kernelINS0_14default_configENS1_25partition_config_selectorILNS1_17partition_subalgoE1EtNS0_10empty_typeEbEEZZNS1_14partition_implILS5_1ELb0ES3_jN6thrust23THRUST_200600_302600_NS6detail15normal_iteratorINSA_10device_ptrItEEEEPS6_NSA_18transform_iteratorI7is_evenItESF_NSA_11use_defaultESK_EENS0_5tupleIJSF_NSA_16discard_iteratorISK_EEEEENSM_IJSG_SG_EEES6_PlJS6_EEE10hipError_tPvRmT3_T4_T5_T6_T7_T9_mT8_P12ihipStream_tbDpT10_ENKUlT_T0_E_clISt17integral_constantIbLb0EES1A_IbLb1EEEEDaS16_S17_EUlS16_E_NS1_11comp_targetILNS1_3genE5ELNS1_11target_archE942ELNS1_3gpuE9ELNS1_3repE0EEENS1_30default_config_static_selectorELNS0_4arch9wavefront6targetE1EEEvT1_
; %bb.0:
	s_load_dwordx2 s[2:3], s[0:1], 0x20
	s_load_dwordx4 s[20:23], s[0:1], 0x58
	s_load_dwordx2 s[10:11], s[0:1], 0x68
	s_load_dwordx2 s[28:29], s[0:1], 0x78
	v_cmp_eq_u32_e64 s[18:19], 0, v0
	s_and_saveexec_b64 s[4:5], s[18:19]
	s_cbranch_execz .LBB3124_4
; %bb.1:
	s_mov_b64 s[8:9], exec
	v_mbcnt_lo_u32_b32 v1, s8, 0
	v_mbcnt_hi_u32_b32 v1, s9, v1
	v_cmp_eq_u32_e32 vcc, 0, v1
                                        ; implicit-def: $vgpr2
	s_and_saveexec_b64 s[6:7], vcc
	s_cbranch_execz .LBB3124_3
; %bb.2:
	s_load_dwordx2 s[12:13], s[0:1], 0x88
	s_bcnt1_i32_b64 s8, s[8:9]
	v_mov_b32_e32 v2, 0
	v_mov_b32_e32 v3, s8
	s_waitcnt lgkmcnt(0)
	global_atomic_add v2, v2, v3, s[12:13] sc0
.LBB3124_3:
	s_or_b64 exec, exec, s[6:7]
	s_waitcnt vmcnt(0)
	v_readfirstlane_b32 s6, v2
	v_mov_b32_e32 v2, 0
	s_nop 0
	v_add_u32_e32 v1, s6, v1
	ds_write_b32 v2, v1
.LBB3124_4:
	s_or_b64 exec, exec, s[4:5]
	v_mov_b32_e32 v17, 0
	s_load_dwordx4 s[4:7], s[0:1], 0x8
	s_load_dwordx2 s[24:25], s[0:1], 0x30
	s_load_dword s12, s[0:1], 0x80
	s_waitcnt lgkmcnt(0)
	s_barrier
	ds_read_b32 v1, v17
	s_waitcnt lgkmcnt(0)
	s_barrier
	global_load_dwordx2 v[14:15], v17, s[22:23]
	s_lshl_b64 s[8:9], s[6:7], 1
	v_mov_b32_e32 v3, s11
	s_add_u32 s11, s4, s8
	s_mul_i32 s4, s12, 0x3800
	s_addc_u32 s13, s5, s9
	s_add_i32 s1, s4, s6
	s_sub_i32 s33, s10, s1
	s_add_i32 s14, s12, -1
	s_addk_i32 s33, 0x3800
	s_add_u32 s4, s6, s4
	v_readfirstlane_b32 s36, v1
	s_addc_u32 s5, s7, 0
	s_cmp_eq_u32 s36, s14
	v_mov_b32_e32 v2, s10
	s_cselect_b64 s[22:23], -1, 0
	s_cmp_lg_u32 s36, s14
	s_mul_i32 s0, s36, 0x3800
	s_mov_b32 s1, 0
	v_cmp_lt_u64_e32 vcc, s[4:5], v[2:3]
	s_cselect_b64 s[4:5], -1, 0
	s_or_b64 s[26:27], vcc, s[4:5]
	s_lshl_b64 s[4:5], s[0:1], 1
	s_add_u32 s6, s11, s4
	s_addc_u32 s7, s13, s5
	s_mov_b64 s[0:1], -1
	s_and_b64 vcc, exec, s[26:27]
	v_lshlrev_b32_e32 v16, 1, v0
	s_cbranch_vccz .LBB3124_6
; %bb.5:
	v_lshl_add_u64 v[2:3], s[6:7], 0, v[16:17]
	v_add_co_u32_e32 v4, vcc, 0x1000, v2
	s_mov_b64 s[0:1], 0
	s_nop 0
	v_addc_co_u32_e32 v5, vcc, 0, v3, vcc
	flat_load_ushort v1, v[2:3]
	flat_load_ushort v8, v[2:3] offset:1024
	flat_load_ushort v9, v[2:3] offset:2048
	;; [unrolled: 1-line block ×3, first 2 shown]
	flat_load_ushort v11, v[4:5]
	flat_load_ushort v12, v[4:5] offset:1024
	flat_load_ushort v13, v[4:5] offset:2048
	;; [unrolled: 1-line block ×3, first 2 shown]
	v_add_co_u32_e32 v4, vcc, 0x2000, v2
	s_nop 1
	v_addc_co_u32_e32 v5, vcc, 0, v3, vcc
	v_add_co_u32_e32 v6, vcc, 0x3000, v2
	s_nop 1
	v_addc_co_u32_e32 v7, vcc, 0, v3, vcc
	flat_load_ushort v18, v[4:5]
	flat_load_ushort v19, v[4:5] offset:1024
	flat_load_ushort v20, v[4:5] offset:2048
	;; [unrolled: 1-line block ×3, first 2 shown]
	flat_load_ushort v22, v[6:7]
	flat_load_ushort v23, v[6:7] offset:1024
	flat_load_ushort v24, v[6:7] offset:2048
	;; [unrolled: 1-line block ×3, first 2 shown]
	v_add_co_u32_e32 v4, vcc, 0x4000, v2
	s_nop 1
	v_addc_co_u32_e32 v5, vcc, 0, v3, vcc
	v_add_co_u32_e32 v6, vcc, 0x5000, v2
	s_nop 1
	v_addc_co_u32_e32 v7, vcc, 0, v3, vcc
	v_add_co_u32_e32 v2, vcc, 0x6000, v2
	flat_load_ushort v26, v[4:5]
	flat_load_ushort v27, v[4:5] offset:1024
	flat_load_ushort v28, v[4:5] offset:2048
	;; [unrolled: 1-line block ×3, first 2 shown]
	flat_load_ushort v30, v[6:7]
	flat_load_ushort v31, v[6:7] offset:1024
	flat_load_ushort v32, v[6:7] offset:2048
	;; [unrolled: 1-line block ×3, first 2 shown]
	v_addc_co_u32_e32 v3, vcc, 0, v3, vcc
	flat_load_ushort v4, v[2:3]
	flat_load_ushort v5, v[2:3] offset:1024
	flat_load_ushort v6, v[2:3] offset:2048
	;; [unrolled: 1-line block ×3, first 2 shown]
	s_waitcnt vmcnt(0) lgkmcnt(0)
	ds_write_b16 v16, v1
	ds_write_b16 v16, v8 offset:1024
	ds_write_b16 v16, v9 offset:2048
	;; [unrolled: 1-line block ×27, first 2 shown]
	s_waitcnt lgkmcnt(0)
	s_barrier
.LBB3124_6:
	s_andn2_b64 vcc, exec, s[0:1]
	v_cmp_gt_u32_e64 s[0:1], s33, v0
	s_cbranch_vccnz .LBB3124_64
; %bb.7:
                                        ; implicit-def: $vgpr1
	s_and_saveexec_b64 s[10:11], s[0:1]
	s_cbranch_execz .LBB3124_9
; %bb.8:
	v_mov_b32_e32 v17, 0
	v_lshl_add_u64 v[2:3], s[6:7], 0, v[16:17]
	flat_load_ushort v1, v[2:3]
.LBB3124_9:
	s_or_b64 exec, exec, s[10:11]
	v_or_b32_e32 v2, 0x200, v0
	v_cmp_gt_u32_e32 vcc, s33, v2
                                        ; implicit-def: $vgpr2
	s_and_saveexec_b64 s[0:1], vcc
	s_cbranch_execz .LBB3124_11
; %bb.10:
	v_mov_b32_e32 v17, 0
	v_lshl_add_u64 v[2:3], s[6:7], 0, v[16:17]
	flat_load_ushort v2, v[2:3] offset:1024
.LBB3124_11:
	s_or_b64 exec, exec, s[0:1]
	v_or_b32_e32 v3, 0x400, v0
	v_cmp_gt_u32_e32 vcc, s33, v3
                                        ; implicit-def: $vgpr3
	s_and_saveexec_b64 s[0:1], vcc
	s_cbranch_execz .LBB3124_13
; %bb.12:
	v_mov_b32_e32 v17, 0
	v_lshl_add_u64 v[4:5], s[6:7], 0, v[16:17]
	flat_load_ushort v3, v[4:5] offset:2048
.LBB3124_13:
	s_or_b64 exec, exec, s[0:1]
	v_or_b32_e32 v4, 0x600, v0
	v_cmp_gt_u32_e32 vcc, s33, v4
                                        ; implicit-def: $vgpr4
	s_and_saveexec_b64 s[0:1], vcc
	s_cbranch_execz .LBB3124_15
; %bb.14:
	v_mov_b32_e32 v17, 0
	v_lshl_add_u64 v[4:5], s[6:7], 0, v[16:17]
	flat_load_ushort v4, v[4:5] offset:3072
.LBB3124_15:
	s_or_b64 exec, exec, s[0:1]
	v_or_b32_e32 v6, 0x800, v0
	v_cmp_gt_u32_e32 vcc, s33, v6
                                        ; implicit-def: $vgpr5
	s_and_saveexec_b64 s[0:1], vcc
	s_cbranch_execz .LBB3124_17
; %bb.16:
	v_lshlrev_b32_e32 v6, 1, v6
	v_mov_b32_e32 v7, 0
	v_lshl_add_u64 v[6:7], s[6:7], 0, v[6:7]
	flat_load_ushort v5, v[6:7]
.LBB3124_17:
	s_or_b64 exec, exec, s[0:1]
	v_or_b32_e32 v7, 0xa00, v0
	v_cmp_gt_u32_e32 vcc, s33, v7
                                        ; implicit-def: $vgpr6
	s_and_saveexec_b64 s[0:1], vcc
	s_cbranch_execz .LBB3124_19
; %bb.18:
	v_lshlrev_b32_e32 v6, 1, v7
	v_mov_b32_e32 v7, 0
	v_lshl_add_u64 v[6:7], s[6:7], 0, v[6:7]
	flat_load_ushort v6, v[6:7]
.LBB3124_19:
	s_or_b64 exec, exec, s[0:1]
	v_or_b32_e32 v8, 0xc00, v0
	v_cmp_gt_u32_e32 vcc, s33, v8
                                        ; implicit-def: $vgpr7
	s_and_saveexec_b64 s[0:1], vcc
	s_cbranch_execz .LBB3124_21
; %bb.20:
	v_lshlrev_b32_e32 v8, 1, v8
	v_mov_b32_e32 v9, 0
	v_lshl_add_u64 v[8:9], s[6:7], 0, v[8:9]
	flat_load_ushort v7, v[8:9]
.LBB3124_21:
	s_or_b64 exec, exec, s[0:1]
	v_or_b32_e32 v9, 0xe00, v0
	v_cmp_gt_u32_e32 vcc, s33, v9
                                        ; implicit-def: $vgpr8
	s_and_saveexec_b64 s[0:1], vcc
	s_cbranch_execz .LBB3124_23
; %bb.22:
	v_lshlrev_b32_e32 v8, 1, v9
	v_mov_b32_e32 v9, 0
	v_lshl_add_u64 v[8:9], s[6:7], 0, v[8:9]
	flat_load_ushort v8, v[8:9]
.LBB3124_23:
	s_or_b64 exec, exec, s[0:1]
	v_or_b32_e32 v10, 0x1000, v0
	v_cmp_gt_u32_e32 vcc, s33, v10
                                        ; implicit-def: $vgpr9
	s_and_saveexec_b64 s[0:1], vcc
	s_cbranch_execz .LBB3124_25
; %bb.24:
	v_lshlrev_b32_e32 v10, 1, v10
	v_mov_b32_e32 v11, 0
	v_lshl_add_u64 v[10:11], s[6:7], 0, v[10:11]
	flat_load_ushort v9, v[10:11]
.LBB3124_25:
	s_or_b64 exec, exec, s[0:1]
	v_or_b32_e32 v11, 0x1200, v0
	v_cmp_gt_u32_e32 vcc, s33, v11
                                        ; implicit-def: $vgpr10
	s_and_saveexec_b64 s[0:1], vcc
	s_cbranch_execz .LBB3124_27
; %bb.26:
	v_lshlrev_b32_e32 v10, 1, v11
	v_mov_b32_e32 v11, 0
	v_lshl_add_u64 v[10:11], s[6:7], 0, v[10:11]
	flat_load_ushort v10, v[10:11]
.LBB3124_27:
	s_or_b64 exec, exec, s[0:1]
	v_or_b32_e32 v12, 0x1400, v0
	v_cmp_gt_u32_e32 vcc, s33, v12
                                        ; implicit-def: $vgpr11
	s_and_saveexec_b64 s[0:1], vcc
	s_cbranch_execz .LBB3124_29
; %bb.28:
	v_lshlrev_b32_e32 v12, 1, v12
	v_mov_b32_e32 v13, 0
	v_lshl_add_u64 v[12:13], s[6:7], 0, v[12:13]
	flat_load_ushort v11, v[12:13]
.LBB3124_29:
	s_or_b64 exec, exec, s[0:1]
	v_or_b32_e32 v13, 0x1600, v0
	v_cmp_gt_u32_e32 vcc, s33, v13
                                        ; implicit-def: $vgpr12
	s_and_saveexec_b64 s[0:1], vcc
	s_cbranch_execz .LBB3124_31
; %bb.30:
	v_lshlrev_b32_e32 v12, 1, v13
	v_mov_b32_e32 v13, 0
	v_lshl_add_u64 v[12:13], s[6:7], 0, v[12:13]
	flat_load_ushort v12, v[12:13]
.LBB3124_31:
	s_or_b64 exec, exec, s[0:1]
	v_or_b32_e32 v17, 0x1800, v0
	v_cmp_gt_u32_e32 vcc, s33, v17
                                        ; implicit-def: $vgpr13
	s_and_saveexec_b64 s[0:1], vcc
	s_cbranch_execz .LBB3124_33
; %bb.32:
	v_lshlrev_b32_e32 v18, 1, v17
	v_mov_b32_e32 v19, 0
	v_lshl_add_u64 v[18:19], s[6:7], 0, v[18:19]
	flat_load_ushort v13, v[18:19]
.LBB3124_33:
	s_or_b64 exec, exec, s[0:1]
	v_or_b32_e32 v18, 0x1a00, v0
	v_cmp_gt_u32_e32 vcc, s33, v18
                                        ; implicit-def: $vgpr17
	s_and_saveexec_b64 s[0:1], vcc
	s_cbranch_execz .LBB3124_35
; %bb.34:
	v_lshlrev_b32_e32 v18, 1, v18
	v_mov_b32_e32 v19, 0
	v_lshl_add_u64 v[18:19], s[6:7], 0, v[18:19]
	flat_load_ushort v17, v[18:19]
.LBB3124_35:
	s_or_b64 exec, exec, s[0:1]
	v_or_b32_e32 v19, 0x1c00, v0
	v_cmp_gt_u32_e32 vcc, s33, v19
                                        ; implicit-def: $vgpr18
	s_and_saveexec_b64 s[0:1], vcc
	s_cbranch_execz .LBB3124_37
; %bb.36:
	v_lshlrev_b32_e32 v18, 1, v19
	v_mov_b32_e32 v19, 0
	v_lshl_add_u64 v[18:19], s[6:7], 0, v[18:19]
	flat_load_ushort v18, v[18:19]
.LBB3124_37:
	s_or_b64 exec, exec, s[0:1]
	v_or_b32_e32 v20, 0x1e00, v0
	v_cmp_gt_u32_e32 vcc, s33, v20
                                        ; implicit-def: $vgpr19
	s_and_saveexec_b64 s[0:1], vcc
	s_cbranch_execz .LBB3124_39
; %bb.38:
	v_lshlrev_b32_e32 v20, 1, v20
	v_mov_b32_e32 v21, 0
	v_lshl_add_u64 v[20:21], s[6:7], 0, v[20:21]
	flat_load_ushort v19, v[20:21]
.LBB3124_39:
	s_or_b64 exec, exec, s[0:1]
	v_or_b32_e32 v21, 0x2000, v0
	v_cmp_gt_u32_e32 vcc, s33, v21
                                        ; implicit-def: $vgpr20
	s_and_saveexec_b64 s[0:1], vcc
	s_cbranch_execz .LBB3124_41
; %bb.40:
	v_lshlrev_b32_e32 v20, 1, v21
	v_mov_b32_e32 v21, 0
	v_lshl_add_u64 v[20:21], s[6:7], 0, v[20:21]
	flat_load_ushort v20, v[20:21]
.LBB3124_41:
	s_or_b64 exec, exec, s[0:1]
	v_or_b32_e32 v22, 0x2200, v0
	v_cmp_gt_u32_e32 vcc, s33, v22
                                        ; implicit-def: $vgpr21
	s_and_saveexec_b64 s[0:1], vcc
	s_cbranch_execz .LBB3124_43
; %bb.42:
	v_lshlrev_b32_e32 v22, 1, v22
	v_mov_b32_e32 v23, 0
	v_lshl_add_u64 v[22:23], s[6:7], 0, v[22:23]
	flat_load_ushort v21, v[22:23]
.LBB3124_43:
	s_or_b64 exec, exec, s[0:1]
	v_or_b32_e32 v23, 0x2400, v0
	v_cmp_gt_u32_e32 vcc, s33, v23
                                        ; implicit-def: $vgpr22
	s_and_saveexec_b64 s[0:1], vcc
	s_cbranch_execz .LBB3124_45
; %bb.44:
	v_lshlrev_b32_e32 v22, 1, v23
	v_mov_b32_e32 v23, 0
	v_lshl_add_u64 v[22:23], s[6:7], 0, v[22:23]
	flat_load_ushort v22, v[22:23]
.LBB3124_45:
	s_or_b64 exec, exec, s[0:1]
	v_or_b32_e32 v24, 0x2600, v0
	v_cmp_gt_u32_e32 vcc, s33, v24
                                        ; implicit-def: $vgpr23
	s_and_saveexec_b64 s[0:1], vcc
	s_cbranch_execz .LBB3124_47
; %bb.46:
	v_lshlrev_b32_e32 v24, 1, v24
	v_mov_b32_e32 v25, 0
	v_lshl_add_u64 v[24:25], s[6:7], 0, v[24:25]
	flat_load_ushort v23, v[24:25]
.LBB3124_47:
	s_or_b64 exec, exec, s[0:1]
	v_or_b32_e32 v25, 0x2800, v0
	v_cmp_gt_u32_e32 vcc, s33, v25
                                        ; implicit-def: $vgpr24
	s_and_saveexec_b64 s[0:1], vcc
	s_cbranch_execz .LBB3124_49
; %bb.48:
	v_lshlrev_b32_e32 v24, 1, v25
	v_mov_b32_e32 v25, 0
	v_lshl_add_u64 v[24:25], s[6:7], 0, v[24:25]
	flat_load_ushort v24, v[24:25]
.LBB3124_49:
	s_or_b64 exec, exec, s[0:1]
	v_or_b32_e32 v26, 0x2a00, v0
	v_cmp_gt_u32_e32 vcc, s33, v26
                                        ; implicit-def: $vgpr25
	s_and_saveexec_b64 s[0:1], vcc
	s_cbranch_execz .LBB3124_51
; %bb.50:
	v_lshlrev_b32_e32 v26, 1, v26
	v_mov_b32_e32 v27, 0
	v_lshl_add_u64 v[26:27], s[6:7], 0, v[26:27]
	flat_load_ushort v25, v[26:27]
.LBB3124_51:
	s_or_b64 exec, exec, s[0:1]
	v_or_b32_e32 v27, 0x2c00, v0
	v_cmp_gt_u32_e32 vcc, s33, v27
                                        ; implicit-def: $vgpr26
	s_and_saveexec_b64 s[0:1], vcc
	s_cbranch_execz .LBB3124_53
; %bb.52:
	v_lshlrev_b32_e32 v26, 1, v27
	v_mov_b32_e32 v27, 0
	v_lshl_add_u64 v[26:27], s[6:7], 0, v[26:27]
	flat_load_ushort v26, v[26:27]
.LBB3124_53:
	s_or_b64 exec, exec, s[0:1]
	v_or_b32_e32 v28, 0x2e00, v0
	v_cmp_gt_u32_e32 vcc, s33, v28
                                        ; implicit-def: $vgpr27
	s_and_saveexec_b64 s[0:1], vcc
	s_cbranch_execz .LBB3124_55
; %bb.54:
	v_lshlrev_b32_e32 v28, 1, v28
	v_mov_b32_e32 v29, 0
	v_lshl_add_u64 v[28:29], s[6:7], 0, v[28:29]
	flat_load_ushort v27, v[28:29]
.LBB3124_55:
	s_or_b64 exec, exec, s[0:1]
	v_or_b32_e32 v29, 0x3000, v0
	v_cmp_gt_u32_e32 vcc, s33, v29
                                        ; implicit-def: $vgpr28
	s_and_saveexec_b64 s[0:1], vcc
	s_cbranch_execz .LBB3124_57
; %bb.56:
	v_lshlrev_b32_e32 v28, 1, v29
	v_mov_b32_e32 v29, 0
	v_lshl_add_u64 v[28:29], s[6:7], 0, v[28:29]
	flat_load_ushort v28, v[28:29]
.LBB3124_57:
	s_or_b64 exec, exec, s[0:1]
	v_or_b32_e32 v30, 0x3200, v0
	v_cmp_gt_u32_e32 vcc, s33, v30
                                        ; implicit-def: $vgpr29
	s_and_saveexec_b64 s[0:1], vcc
	s_cbranch_execz .LBB3124_59
; %bb.58:
	v_lshlrev_b32_e32 v30, 1, v30
	v_mov_b32_e32 v31, 0
	v_lshl_add_u64 v[30:31], s[6:7], 0, v[30:31]
	flat_load_ushort v29, v[30:31]
.LBB3124_59:
	s_or_b64 exec, exec, s[0:1]
	v_or_b32_e32 v31, 0x3400, v0
	v_cmp_gt_u32_e32 vcc, s33, v31
                                        ; implicit-def: $vgpr30
	s_and_saveexec_b64 s[0:1], vcc
	s_cbranch_execz .LBB3124_61
; %bb.60:
	v_lshlrev_b32_e32 v30, 1, v31
	v_mov_b32_e32 v31, 0
	v_lshl_add_u64 v[30:31], s[6:7], 0, v[30:31]
	flat_load_ushort v30, v[30:31]
.LBB3124_61:
	s_or_b64 exec, exec, s[0:1]
	v_or_b32_e32 v32, 0x3600, v0
	v_cmp_gt_u32_e32 vcc, s33, v32
                                        ; implicit-def: $vgpr31
	s_and_saveexec_b64 s[0:1], vcc
	s_cbranch_execz .LBB3124_63
; %bb.62:
	v_lshlrev_b32_e32 v32, 1, v32
	v_mov_b32_e32 v33, 0
	v_lshl_add_u64 v[32:33], s[6:7], 0, v[32:33]
	flat_load_ushort v31, v[32:33]
.LBB3124_63:
	s_or_b64 exec, exec, s[0:1]
	s_waitcnt vmcnt(0) lgkmcnt(0)
	ds_write_b16 v16, v1
	ds_write_b16 v16, v2 offset:1024
	ds_write_b16 v16, v3 offset:2048
	;; [unrolled: 1-line block ×27, first 2 shown]
	s_waitcnt lgkmcnt(0)
	s_barrier
.LBB3124_64:
	v_mul_u32_u24_e32 v1, 28, v0
	v_lshlrev_b32_e32 v6, 1, v1
	ds_read_b64 v[18:19], v6 offset:48
	ds_read2_b64 v[2:5], v6 offset0:4 offset1:5
	ds_read2_b64 v[10:13], v6 offset1:1
	ds_read2_b64 v[6:9], v6 offset0:2 offset1:3
	s_add_u32 s0, s2, s8
	s_addc_u32 s1, s3, s9
	s_add_u32 s0, s0, s4
	s_addc_u32 s1, s1, s5
	s_mov_b64 s[2:3], -1
	s_and_b64 vcc, exec, s[26:27]
	s_waitcnt lgkmcnt(0)
	s_barrier
	s_cbranch_vccz .LBB3124_66
; %bb.65:
	v_mov_b32_e32 v17, 0
	v_lshl_add_u64 v[20:21], s[0:1], 0, v[16:17]
	s_movk_i32 s2, 0x1000
	v_add_co_u32_e32 v22, vcc, s2, v20
	s_movk_i32 s2, 0x2000
	s_nop 0
	v_addc_co_u32_e32 v23, vcc, 0, v21, vcc
	v_add_co_u32_e32 v24, vcc, s2, v20
	s_movk_i32 s3, 0x4000
	s_nop 0
	v_addc_co_u32_e32 v25, vcc, 0, v21, vcc
	global_load_ubyte v17, v16, s[0:1]
	global_load_ubyte v26, v16, s[0:1] offset:1024
	global_load_ubyte v27, v16, s[0:1] offset:2048
	;; [unrolled: 1-line block ×3, first 2 shown]
	global_load_ubyte v29, v[22:23], off offset:1024
	global_load_ubyte v30, v[22:23], off offset:2048
	;; [unrolled: 1-line block ×3, first 2 shown]
	global_load_ubyte v32, v[24:25], off offset:-4096
	global_load_ubyte v33, v[24:25], off
	global_load_ubyte v34, v[24:25], off offset:1024
	v_add_co_u32_e32 v22, vcc, s3, v20
	s_movk_i32 s2, 0x3000
	s_nop 0
	v_addc_co_u32_e32 v23, vcc, 0, v21, vcc
	global_load_ubyte v35, v[24:25], off offset:2048
	global_load_ubyte v36, v[24:25], off offset:3072
	global_load_ubyte v37, v[22:23], off offset:-4096
	v_add_co_u32_e32 v24, vcc, s2, v20
	s_movk_i32 s3, 0x6000
	s_nop 0
	v_addc_co_u32_e32 v25, vcc, 0, v21, vcc
	global_load_ubyte v38, v[24:25], off offset:1024
	global_load_ubyte v39, v[24:25], off offset:2048
	;; [unrolled: 1-line block ×3, first 2 shown]
	global_load_ubyte v41, v[22:23], off
	v_add_co_u32_e32 v24, vcc, s3, v20
	s_movk_i32 s2, 0x5000
	s_nop 0
	v_addc_co_u32_e32 v25, vcc, 0, v21, vcc
	v_add_co_u32_e32 v20, vcc, s2, v20
	global_load_ubyte v42, v[22:23], off offset:1024
	global_load_ubyte v43, v[22:23], off offset:2048
	;; [unrolled: 1-line block ×3, first 2 shown]
	global_load_ubyte v45, v[24:25], off offset:-4096
	v_addc_co_u32_e32 v21, vcc, 0, v21, vcc
	global_load_ubyte v22, v[20:21], off offset:1024
	global_load_ubyte v23, v[20:21], off offset:2048
	;; [unrolled: 1-line block ×3, first 2 shown]
	global_load_ubyte v47, v[24:25], off
	global_load_ubyte v48, v[24:25], off offset:1024
	global_load_ubyte v49, v[24:25], off offset:2048
	;; [unrolled: 1-line block ×3, first 2 shown]
	s_mov_b64 s[2:3], 0
	s_waitcnt vmcnt(23)
	v_xor_b32_e32 v25, -1, v29
	v_xor_b32_e32 v17, -1, v17
	;; [unrolled: 1-line block ×5, first 2 shown]
	v_and_b32_e32 v17, 1, v17
	s_waitcnt vmcnt(22)
	v_xor_b32_e32 v26, -1, v30
	s_waitcnt vmcnt(21)
	v_xor_b32_e32 v27, -1, v31
	;; [unrolled: 2-line block ×12, first 2 shown]
	v_and_b32_e32 v20, 1, v20
	v_and_b32_e32 v21, 1, v21
	;; [unrolled: 1-line block ×4, first 2 shown]
	s_waitcnt vmcnt(10)
	v_xor_b32_e32 v38, -1, v42
	s_waitcnt vmcnt(9)
	v_xor_b32_e32 v39, -1, v43
	;; [unrolled: 2-line block ×11, first 2 shown]
	v_and_b32_e32 v26, 1, v26
	v_and_b32_e32 v27, 1, v27
	;; [unrolled: 1-line block ×23, first 2 shown]
	ds_write_b8 v0, v17
	ds_write_b8 v0, v20 offset:512
	ds_write_b8 v0, v21 offset:1024
	;; [unrolled: 1-line block ×27, first 2 shown]
	s_waitcnt lgkmcnt(0)
	s_barrier
.LBB3124_66:
	s_andn2_b64 vcc, exec, s[2:3]
	s_cbranch_vccnz .LBB3124_124
; %bb.67:
	v_cmp_gt_u32_e32 vcc, s33, v0
	v_mov_b32_e32 v17, 0
	v_mov_b32_e32 v20, 0
	s_and_saveexec_b64 s[2:3], vcc
	s_cbranch_execz .LBB3124_69
; %bb.68:
	global_load_ubyte v20, v16, s[0:1]
	s_waitcnt vmcnt(0)
	v_xor_b32_e32 v20, -1, v20
	v_and_b32_e32 v20, 1, v20
.LBB3124_69:
	s_or_b64 exec, exec, s[2:3]
	v_or_b32_e32 v21, 0x200, v0
	v_cmp_gt_u32_e32 vcc, s33, v21
	s_and_saveexec_b64 s[2:3], vcc
	s_cbranch_execz .LBB3124_71
; %bb.70:
	global_load_ubyte v17, v16, s[0:1] offset:1024
	s_waitcnt vmcnt(0)
	v_xor_b32_e32 v17, -1, v17
	v_and_b32_e32 v17, 1, v17
.LBB3124_71:
	s_or_b64 exec, exec, s[2:3]
	v_or_b32_e32 v21, 0x400, v0
	v_cmp_gt_u32_e32 vcc, s33, v21
	v_mov_b32_e32 v21, 0
	v_mov_b32_e32 v22, 0
	s_and_saveexec_b64 s[2:3], vcc
	s_cbranch_execz .LBB3124_73
; %bb.72:
	global_load_ubyte v22, v16, s[0:1] offset:2048
	s_waitcnt vmcnt(0)
	v_xor_b32_e32 v22, -1, v22
	v_and_b32_e32 v22, 1, v22
.LBB3124_73:
	s_or_b64 exec, exec, s[2:3]
	v_or_b32_e32 v23, 0x600, v0
	v_cmp_gt_u32_e32 vcc, s33, v23
	s_and_saveexec_b64 s[2:3], vcc
	s_cbranch_execz .LBB3124_75
; %bb.74:
	global_load_ubyte v21, v16, s[0:1] offset:3072
	s_waitcnt vmcnt(0)
	v_xor_b32_e32 v21, -1, v21
	v_and_b32_e32 v21, 1, v21
.LBB3124_75:
	s_or_b64 exec, exec, s[2:3]
	v_or_b32_e32 v25, 0x800, v0
	v_cmp_gt_u32_e32 vcc, s33, v25
	v_mov_b32_e32 v23, 0
	v_mov_b32_e32 v24, 0
	s_and_saveexec_b64 s[2:3], vcc
	s_cbranch_execz .LBB3124_77
; %bb.76:
	v_lshlrev_b32_e32 v24, 1, v25
	global_load_ubyte v24, v24, s[0:1]
	s_waitcnt vmcnt(0)
	v_xor_b32_e32 v24, -1, v24
	v_and_b32_e32 v24, 1, v24
.LBB3124_77:
	s_or_b64 exec, exec, s[2:3]
	v_or_b32_e32 v25, 0xa00, v0
	v_cmp_gt_u32_e32 vcc, s33, v25
	s_and_saveexec_b64 s[2:3], vcc
	s_cbranch_execz .LBB3124_79
; %bb.78:
	v_lshlrev_b32_e32 v23, 1, v25
	global_load_ubyte v23, v23, s[0:1]
	s_waitcnt vmcnt(0)
	v_xor_b32_e32 v23, -1, v23
	v_and_b32_e32 v23, 1, v23
.LBB3124_79:
	s_or_b64 exec, exec, s[2:3]
	v_or_b32_e32 v27, 0xc00, v0
	v_cmp_gt_u32_e32 vcc, s33, v27
	v_mov_b32_e32 v25, 0
	v_mov_b32_e32 v26, 0
	s_and_saveexec_b64 s[2:3], vcc
	s_cbranch_execz .LBB3124_81
; %bb.80:
	v_lshlrev_b32_e32 v26, 1, v27
	global_load_ubyte v26, v26, s[0:1]
	s_waitcnt vmcnt(0)
	v_xor_b32_e32 v26, -1, v26
	v_and_b32_e32 v26, 1, v26
.LBB3124_81:
	s_or_b64 exec, exec, s[2:3]
	v_or_b32_e32 v27, 0xe00, v0
	v_cmp_gt_u32_e32 vcc, s33, v27
	s_and_saveexec_b64 s[2:3], vcc
	s_cbranch_execz .LBB3124_83
; %bb.82:
	v_lshlrev_b32_e32 v25, 1, v27
	global_load_ubyte v25, v25, s[0:1]
	s_waitcnt vmcnt(0)
	v_xor_b32_e32 v25, -1, v25
	v_and_b32_e32 v25, 1, v25
.LBB3124_83:
	;; [unrolled: 26-line block ×12, first 2 shown]
	s_or_b64 exec, exec, s[2:3]
	ds_write_b8 v0, v20
	ds_write_b8 v0, v17 offset:512
	ds_write_b8 v0, v22 offset:1024
	;; [unrolled: 1-line block ×27, first 2 shown]
	s_waitcnt lgkmcnt(0)
	s_barrier
.LBB3124_124:
	ds_read2_b32 v[28:29], v1 offset1:1
	ds_read2_b32 v[26:27], v1 offset0:2 offset1:3
	ds_read2_b32 v[24:25], v1 offset0:4 offset1:5
	ds_read_b32 v36, v1 offset:24
	s_cmp_lg_u32 s36, 0
	v_lshrrev_b32_e32 v63, 6, v0
	s_waitcnt lgkmcnt(2)
	v_and_b32_e32 v55, 0xff, v26
	v_lshrrev_b32_e32 v43, 24, v28
	v_bfe_u32 v61, v28, 16, 8
	v_add_u32_sdwa v20, v28, v28 dst_sel:DWORD dst_unused:UNUSED_PAD src0_sel:BYTE_1 src1_sel:BYTE_0
	v_and_b32_e32 v58, 0xff, v29
	v_bfe_u32 v59, v29, 8, 8
	v_add3_u32 v20, v20, v61, v43
	v_lshrrev_b32_e32 v42, 24, v29
	v_bfe_u32 v60, v29, 16, 8
	v_add3_u32 v20, v20, v58, v59
	v_bfe_u32 v56, v26, 8, 8
	v_add3_u32 v20, v20, v60, v42
	v_lshrrev_b32_e32 v41, 24, v26
	v_bfe_u32 v57, v26, 16, 8
	v_add3_u32 v20, v20, v55, v56
	v_and_b32_e32 v52, 0xff, v27
	v_bfe_u32 v53, v27, 8, 8
	v_add3_u32 v20, v20, v57, v41
	v_lshrrev_b32_e32 v40, 24, v27
	v_bfe_u32 v54, v27, 16, 8
	v_add3_u32 v20, v20, v52, v53
	s_waitcnt lgkmcnt(1)
	v_and_b32_e32 v49, 0xff, v24
	v_bfe_u32 v50, v24, 8, 8
	v_add3_u32 v20, v20, v54, v40
	v_lshrrev_b32_e32 v39, 24, v24
	v_bfe_u32 v51, v24, 16, 8
	v_add3_u32 v20, v20, v49, v50
	v_and_b32_e32 v46, 0xff, v25
	v_bfe_u32 v47, v25, 8, 8
	v_add3_u32 v20, v20, v51, v39
	v_lshrrev_b32_e32 v38, 24, v25
	v_bfe_u32 v48, v25, 16, 8
	v_add3_u32 v20, v20, v46, v47
	s_waitcnt lgkmcnt(0)
	v_and_b32_e32 v44, 0xff, v36
	v_bfe_u32 v45, v36, 8, 8
	v_add3_u32 v20, v20, v48, v38
	v_lshrrev_b32_e32 v17, 24, v36
	v_bfe_u32 v37, v36, 16, 8
	v_add3_u32 v20, v20, v44, v45
	v_add3_u32 v64, v20, v37, v17
	v_mbcnt_lo_u32_b32 v20, -1, 0
	v_mbcnt_hi_u32_b32 v62, -1, v20
	v_and_b32_e32 v20, 15, v62
	v_cmp_eq_u32_e64 s[14:15], 0, v20
	v_cmp_lt_u32_e64 s[12:13], 1, v20
	v_cmp_lt_u32_e64 s[10:11], 3, v20
	;; [unrolled: 1-line block ×3, first 2 shown]
	v_and_b32_e32 v20, 16, v62
	v_cmp_eq_u32_e64 s[6:7], 0, v20
	v_or_b32_e32 v20, 63, v0
	v_cmp_lt_u32_e64 s[2:3], 31, v62
	v_cmp_eq_u32_e64 s[4:5], v20, v0
	s_barrier
	s_cbranch_scc0 .LBB3124_151
; %bb.125:
	v_mov_b32_dpp v20, v64 row_shr:1 row_mask:0xf bank_mask:0xf
	v_cndmask_b32_e64 v20, v20, 0, s[14:15]
	v_add_u32_e32 v20, v20, v64
	s_nop 1
	v_mov_b32_dpp v21, v20 row_shr:2 row_mask:0xf bank_mask:0xf
	v_cndmask_b32_e64 v21, 0, v21, s[12:13]
	v_add_u32_e32 v20, v20, v21
	s_nop 1
	;; [unrolled: 4-line block ×4, first 2 shown]
	v_mov_b32_dpp v21, v20 row_bcast:15 row_mask:0xf bank_mask:0xf
	v_cndmask_b32_e64 v21, v21, 0, s[6:7]
	v_add_u32_e32 v20, v20, v21
	s_nop 1
	v_mov_b32_dpp v21, v20 row_bcast:31 row_mask:0xf bank_mask:0xf
	v_cndmask_b32_e64 v21, 0, v21, s[2:3]
	v_add_u32_e32 v20, v20, v21
	s_and_saveexec_b64 s[0:1], s[4:5]
	s_cbranch_execz .LBB3124_127
; %bb.126:
	v_lshlrev_b32_e32 v21, 2, v63
	ds_write_b32 v21, v20
.LBB3124_127:
	s_or_b64 exec, exec, s[0:1]
	v_cmp_gt_u32_e32 vcc, 8, v0
	s_waitcnt lgkmcnt(0)
	s_barrier
	s_and_saveexec_b64 s[0:1], vcc
	s_cbranch_execz .LBB3124_129
; %bb.128:
	v_lshlrev_b32_e32 v21, 2, v0
	ds_read_b32 v22, v21
	v_and_b32_e32 v23, 7, v62
	v_cmp_ne_u32_e32 vcc, 0, v23
	s_waitcnt lgkmcnt(0)
	v_mov_b32_dpp v30, v22 row_shr:1 row_mask:0xf bank_mask:0xf
	v_cndmask_b32_e32 v30, 0, v30, vcc
	v_add_u32_e32 v22, v30, v22
	v_cmp_lt_u32_e32 vcc, 1, v23
	s_nop 0
	v_mov_b32_dpp v30, v22 row_shr:2 row_mask:0xf bank_mask:0xf
	v_cndmask_b32_e32 v30, 0, v30, vcc
	v_add_u32_e32 v22, v22, v30
	v_cmp_lt_u32_e32 vcc, 3, v23
	s_nop 0
	v_mov_b32_dpp v30, v22 row_shr:4 row_mask:0xf bank_mask:0xf
	v_cndmask_b32_e32 v23, 0, v30, vcc
	v_add_u32_e32 v22, v22, v23
	ds_write_b32 v21, v22
.LBB3124_129:
	s_or_b64 exec, exec, s[0:1]
	v_cmp_gt_u32_e32 vcc, 64, v0
	v_cmp_lt_u32_e64 s[0:1], 63, v0
	s_waitcnt lgkmcnt(0)
	s_barrier
	s_waitcnt lgkmcnt(0)
                                        ; implicit-def: $vgpr65
	s_and_saveexec_b64 s[16:17], s[0:1]
	s_cbranch_execz .LBB3124_131
; %bb.130:
	v_lshl_add_u32 v21, v63, 2, -4
	ds_read_b32 v65, v21
	s_waitcnt lgkmcnt(0)
	v_add_u32_e32 v20, v65, v20
.LBB3124_131:
	s_or_b64 exec, exec, s[16:17]
	v_add_u32_e32 v21, -1, v62
	v_and_b32_e32 v22, 64, v62
	v_cmp_lt_i32_e64 s[0:1], v21, v22
	v_cmp_eq_u32_e64 s[16:17], 0, v62
	s_nop 0
	v_cndmask_b32_e64 v21, v21, v62, s[0:1]
	v_lshlrev_b32_e32 v21, 2, v21
	ds_bpermute_b32 v66, v21, v20
	s_and_saveexec_b64 s[0:1], vcc
	s_cbranch_execz .LBB3124_150
; %bb.132:
	v_mov_b32_e32 v33, 0
	ds_read_b32 v20, v33 offset:28
	s_and_saveexec_b64 s[30:31], s[16:17]
	s_cbranch_execz .LBB3124_134
; %bb.133:
	s_add_i32 s34, s36, 64
	s_mov_b32 s35, 0
	s_lshl_b64 s[34:35], s[34:35], 3
	s_add_u32 s34, s28, s34
	v_mov_b32_e32 v21, 1
	s_addc_u32 s35, s29, s35
	s_waitcnt lgkmcnt(0)
	global_store_dwordx2 v33, v[20:21], s[34:35] sc1
.LBB3124_134:
	s_or_b64 exec, exec, s[30:31]
	v_xad_u32 v22, v62, -1, s36
	v_add_u32_e32 v32, 64, v22
	v_lshl_add_u64 v[34:35], v[32:33], 3, s[28:29]
	global_load_dwordx2 v[30:31], v[34:35], off sc1
	s_waitcnt vmcnt(0)
	v_cmp_eq_u16_sdwa s[34:35], v31, v33 src0_sel:BYTE_0 src1_sel:DWORD
	s_and_saveexec_b64 s[30:31], s[34:35]
	s_cbranch_execz .LBB3124_138
; %bb.135:
	s_mov_b64 s[34:35], 0
	v_mov_b32_e32 v21, 0
.LBB3124_136:                           ; =>This Inner Loop Header: Depth=1
	global_load_dwordx2 v[30:31], v[34:35], off sc1
	s_waitcnt vmcnt(0)
	v_cmp_ne_u16_sdwa s[38:39], v31, v21 src0_sel:BYTE_0 src1_sel:DWORD
	s_or_b64 s[34:35], s[38:39], s[34:35]
	s_andn2_b64 exec, exec, s[34:35]
	s_cbranch_execnz .LBB3124_136
; %bb.137:
	s_or_b64 exec, exec, s[34:35]
.LBB3124_138:
	s_or_b64 exec, exec, s[30:31]
	v_and_b32_e32 v68, 63, v62
	v_mov_b32_e32 v67, 2
	v_cmp_ne_u32_e32 vcc, 63, v68
	v_cmp_eq_u16_sdwa s[30:31], v31, v67 src0_sel:BYTE_0 src1_sel:DWORD
	v_lshlrev_b64 v[32:33], v62, -1
	v_addc_co_u32_e32 v34, vcc, 0, v62, vcc
	v_and_b32_e32 v21, s31, v33
	v_lshlrev_b32_e32 v69, 2, v34
	v_or_b32_e32 v21, 0x80000000, v21
	ds_bpermute_b32 v34, v69, v30
	v_and_b32_e32 v23, s30, v32
	v_ffbl_b32_e32 v21, v21
	v_add_u32_e32 v21, 32, v21
	v_ffbl_b32_e32 v23, v23
	v_min_u32_e32 v21, v23, v21
	v_cmp_lt_u32_e32 vcc, v68, v21
	v_add_u32_e32 v71, 2, v68
	v_add_u32_e32 v73, 4, v68
	s_waitcnt lgkmcnt(0)
	v_cndmask_b32_e32 v23, 0, v34, vcc
	v_cmp_gt_u32_e32 vcc, 62, v68
	v_add_u32_e32 v23, v23, v30
	v_add_u32_e32 v75, 8, v68
	v_cndmask_b32_e64 v30, 0, 1, vcc
	v_lshlrev_b32_e32 v30, 1, v30
	v_add_lshl_u32 v70, v30, v62, 2
	ds_bpermute_b32 v30, v70, v23
	v_cmp_le_u32_e32 vcc, v71, v21
	v_add_u32_e32 v77, 16, v68
	v_add_u32_e32 v79, 32, v68
	s_waitcnt lgkmcnt(0)
	v_cndmask_b32_e32 v30, 0, v30, vcc
	v_cmp_gt_u32_e32 vcc, 60, v68
	v_add_u32_e32 v23, v23, v30
	s_nop 0
	v_cndmask_b32_e64 v30, 0, 1, vcc
	v_lshlrev_b32_e32 v30, 2, v30
	v_add_lshl_u32 v72, v30, v62, 2
	ds_bpermute_b32 v30, v72, v23
	v_cmp_le_u32_e32 vcc, v73, v21
	s_waitcnt lgkmcnt(0)
	s_nop 0
	v_cndmask_b32_e32 v30, 0, v30, vcc
	v_cmp_gt_u32_e32 vcc, 56, v68
	v_add_u32_e32 v23, v23, v30
	s_nop 0
	v_cndmask_b32_e64 v30, 0, 1, vcc
	v_lshlrev_b32_e32 v30, 3, v30
	v_add_lshl_u32 v74, v30, v62, 2
	ds_bpermute_b32 v30, v74, v23
	v_cmp_le_u32_e32 vcc, v75, v21
	s_waitcnt lgkmcnt(0)
	s_nop 0
	;; [unrolled: 11-line block ×4, first 2 shown]
	v_cndmask_b32_e32 v21, 0, v30, vcc
	v_add_u32_e32 v30, v23, v21
	v_mov_b32_e32 v23, 0
	s_branch .LBB3124_140
.LBB3124_139:                           ;   in Loop: Header=BB3124_140 Depth=1
	s_or_b64 exec, exec, s[30:31]
	v_cmp_eq_u16_sdwa s[30:31], v31, v67 src0_sel:BYTE_0 src1_sel:DWORD
	ds_bpermute_b32 v80, v69, v30
	v_subrev_u32_e32 v22, 64, v22
	v_and_b32_e32 v34, s31, v33
	v_or_b32_e32 v34, 0x80000000, v34
	v_and_b32_e32 v35, s30, v32
	v_ffbl_b32_e32 v34, v34
	v_add_u32_e32 v34, 32, v34
	v_ffbl_b32_e32 v35, v35
	v_min_u32_e32 v34, v35, v34
	v_cmp_lt_u32_e32 vcc, v68, v34
	s_waitcnt lgkmcnt(0)
	s_nop 0
	v_cndmask_b32_e32 v35, 0, v80, vcc
	v_add_u32_e32 v30, v35, v30
	ds_bpermute_b32 v35, v70, v30
	v_cmp_le_u32_e32 vcc, v71, v34
	s_waitcnt lgkmcnt(0)
	s_nop 0
	v_cndmask_b32_e32 v35, 0, v35, vcc
	v_add_u32_e32 v30, v30, v35
	ds_bpermute_b32 v35, v72, v30
	v_cmp_le_u32_e32 vcc, v73, v34
	;; [unrolled: 6-line block ×5, first 2 shown]
	s_waitcnt lgkmcnt(0)
	s_nop 0
	v_cndmask_b32_e32 v34, 0, v35, vcc
	v_add3_u32 v30, v34, v21, v30
.LBB3124_140:                           ; =>This Loop Header: Depth=1
                                        ;     Child Loop BB3124_143 Depth 2
	v_cmp_ne_u16_sdwa s[30:31], v31, v67 src0_sel:BYTE_0 src1_sel:DWORD
	s_nop 1
	v_cndmask_b32_e64 v21, 0, 1, s[30:31]
	;;#ASMSTART
	;;#ASMEND
	s_nop 0
	v_cmp_ne_u32_e32 vcc, 0, v21
	s_cmp_lg_u64 vcc, exec
	v_mov_b32_e32 v21, v30
	s_cbranch_scc1 .LBB3124_145
; %bb.141:                              ;   in Loop: Header=BB3124_140 Depth=1
	v_lshl_add_u64 v[34:35], v[22:23], 3, s[28:29]
	global_load_dwordx2 v[30:31], v[34:35], off sc1
	s_waitcnt vmcnt(0)
	v_cmp_eq_u16_sdwa s[34:35], v31, v23 src0_sel:BYTE_0 src1_sel:DWORD
	s_and_saveexec_b64 s[30:31], s[34:35]
	s_cbranch_execz .LBB3124_139
; %bb.142:                              ;   in Loop: Header=BB3124_140 Depth=1
	s_mov_b64 s[34:35], 0
.LBB3124_143:                           ;   Parent Loop BB3124_140 Depth=1
                                        ; =>  This Inner Loop Header: Depth=2
	global_load_dwordx2 v[30:31], v[34:35], off sc1
	s_waitcnt vmcnt(0)
	v_cmp_ne_u16_sdwa s[38:39], v31, v23 src0_sel:BYTE_0 src1_sel:DWORD
	s_or_b64 s[34:35], s[38:39], s[34:35]
	s_andn2_b64 exec, exec, s[34:35]
	s_cbranch_execnz .LBB3124_143
; %bb.144:                              ;   in Loop: Header=BB3124_140 Depth=1
	s_or_b64 exec, exec, s[34:35]
	s_branch .LBB3124_139
.LBB3124_145:                           ;   in Loop: Header=BB3124_140 Depth=1
                                        ; implicit-def: $vgpr30
                                        ; implicit-def: $vgpr31
	s_cbranch_execz .LBB3124_140
; %bb.146:
	s_and_saveexec_b64 s[30:31], s[16:17]
	s_cbranch_execz .LBB3124_148
; %bb.147:
	s_add_i32 s34, s36, 64
	s_mov_b32 s35, 0
	s_lshl_b64 s[34:35], s[34:35], 3
	s_add_u32 s34, s28, s34
	v_add_u32_e32 v22, v21, v20
	v_mov_b32_e32 v23, 2
	s_addc_u32 s35, s29, s35
	v_mov_b32_e32 v30, 0
	global_store_dwordx2 v30, v[22:23], s[34:35] sc1
	ds_write_b64 v30, v[20:21] offset:28672
.LBB3124_148:
	s_or_b64 exec, exec, s[30:31]
	s_and_b64 exec, exec, s[18:19]
	s_cbranch_execz .LBB3124_150
; %bb.149:
	v_mov_b32_e32 v20, 0
	ds_write_b32 v20, v21 offset:28
.LBB3124_150:
	s_or_b64 exec, exec, s[0:1]
	v_mov_b32_e32 v20, 0
	s_waitcnt lgkmcnt(0)
	s_barrier
	ds_read_b32 v22, v20 offset:28
	s_waitcnt lgkmcnt(0)
	s_barrier
	ds_read_b64 v[20:21], v20 offset:28672
	v_cndmask_b32_e64 v23, v66, v65, s[16:17]
	v_cndmask_b32_e64 v23, v23, 0, s[18:19]
	v_add_u32_e32 v34, v22, v23
	s_waitcnt lgkmcnt(0)
	v_mov_b32_e32 v22, v21
	s_branch .LBB3124_161
.LBB3124_151:
                                        ; implicit-def: $vgpr22
                                        ; implicit-def: $vgpr20
                                        ; implicit-def: $vgpr34
	s_cbranch_execz .LBB3124_161
; %bb.152:
	s_nop 0
	v_mov_b32_dpp v20, v64 row_shr:1 row_mask:0xf bank_mask:0xf
	v_cndmask_b32_e64 v20, v20, 0, s[14:15]
	v_add_u32_e32 v20, v20, v64
	s_nop 1
	v_mov_b32_dpp v21, v20 row_shr:2 row_mask:0xf bank_mask:0xf
	v_cndmask_b32_e64 v21, 0, v21, s[12:13]
	v_add_u32_e32 v20, v20, v21
	;; [unrolled: 4-line block ×4, first 2 shown]
	s_nop 1
	v_mov_b32_dpp v21, v20 row_bcast:15 row_mask:0xf bank_mask:0xf
	v_cndmask_b32_e64 v21, v21, 0, s[6:7]
	v_add_u32_e32 v20, v20, v21
	s_nop 1
	v_mov_b32_dpp v21, v20 row_bcast:31 row_mask:0xf bank_mask:0xf
	v_cndmask_b32_e64 v21, 0, v21, s[2:3]
	v_add_u32_e32 v20, v20, v21
	s_and_saveexec_b64 s[0:1], s[4:5]
	s_cbranch_execz .LBB3124_154
; %bb.153:
	v_lshlrev_b32_e32 v21, 2, v63
	ds_write_b32 v21, v20
.LBB3124_154:
	s_or_b64 exec, exec, s[0:1]
	v_cmp_gt_u32_e32 vcc, 8, v0
	s_waitcnt lgkmcnt(0)
	s_barrier
	s_and_saveexec_b64 s[0:1], vcc
	s_cbranch_execz .LBB3124_156
; %bb.155:
	v_lshlrev_b32_e32 v21, 2, v0
	ds_read_b32 v22, v21
	v_and_b32_e32 v23, 7, v62
	v_cmp_ne_u32_e32 vcc, 0, v23
	s_waitcnt lgkmcnt(0)
	v_mov_b32_dpp v30, v22 row_shr:1 row_mask:0xf bank_mask:0xf
	v_cndmask_b32_e32 v30, 0, v30, vcc
	v_add_u32_e32 v22, v30, v22
	v_cmp_lt_u32_e32 vcc, 1, v23
	s_nop 0
	v_mov_b32_dpp v30, v22 row_shr:2 row_mask:0xf bank_mask:0xf
	v_cndmask_b32_e32 v30, 0, v30, vcc
	v_add_u32_e32 v22, v22, v30
	v_cmp_lt_u32_e32 vcc, 3, v23
	s_nop 0
	v_mov_b32_dpp v30, v22 row_shr:4 row_mask:0xf bank_mask:0xf
	v_cndmask_b32_e32 v23, 0, v30, vcc
	v_add_u32_e32 v22, v22, v23
	ds_write_b32 v21, v22
.LBB3124_156:
	s_or_b64 exec, exec, s[0:1]
	v_cmp_lt_u32_e32 vcc, 63, v0
	v_mov_b32_e32 v21, 0
	v_mov_b32_e32 v22, 0
	s_waitcnt lgkmcnt(0)
	s_barrier
	s_and_saveexec_b64 s[0:1], vcc
	s_cbranch_execz .LBB3124_158
; %bb.157:
	v_lshl_add_u32 v22, v63, 2, -4
	ds_read_b32 v22, v22
.LBB3124_158:
	s_or_b64 exec, exec, s[0:1]
	v_add_u32_e32 v23, -1, v62
	v_and_b32_e32 v30, 64, v62
	v_cmp_lt_i32_e32 vcc, v23, v30
	s_waitcnt lgkmcnt(0)
	v_add_u32_e32 v20, v22, v20
	v_cndmask_b32_e32 v23, v23, v62, vcc
	v_lshlrev_b32_e32 v23, 2, v23
	ds_bpermute_b32 v23, v23, v20
	ds_read_b32 v20, v21 offset:28
	s_and_saveexec_b64 s[0:1], s[18:19]
	s_cbranch_execz .LBB3124_160
; %bb.159:
	v_mov_b32_e32 v30, 0
	v_mov_b32_e32 v21, 2
	s_waitcnt lgkmcnt(0)
	global_store_dwordx2 v30, v[20:21], s[28:29] offset:512 sc1
.LBB3124_160:
	s_or_b64 exec, exec, s[0:1]
	v_cmp_eq_u32_e32 vcc, 0, v62
	s_waitcnt lgkmcnt(0)
	s_barrier
	v_cndmask_b32_e32 v21, v23, v22, vcc
	v_mov_b32_e32 v22, 0
	v_cndmask_b32_e64 v34, v21, 0, s[18:19]
.LBB3124_161:
	v_add_u32_sdwa v62, v34, v28 dst_sel:DWORD dst_unused:UNUSED_PAD src0_sel:DWORD src1_sel:BYTE_0
	v_add_u32_e32 v1, v20, v1
	v_sub_u32_e32 v34, v34, v22
	v_and_b32_e32 v71, 1, v28
	v_sub_u32_e32 v70, v1, v34
	v_cmp_eq_u32_e32 vcc, 1, v71
	v_lshrrev_b32_e32 v35, 8, v28
	v_add_u32_sdwa v63, v62, v28 dst_sel:DWORD dst_unused:UNUSED_PAD src0_sel:DWORD src1_sel:BYTE_1
	v_cndmask_b32_e32 v34, v70, v34, vcc
	v_lshlrev_b32_e32 v34, 1, v34
	ds_write_b16 v34, v10
	v_sub_u32_e32 v34, v62, v22
	v_sub_u32_e32 v62, v1, v34
	v_and_b32_e32 v35, 1, v35
	v_add_u32_e32 v62, 1, v62
	v_cmp_eq_u32_e32 vcc, 1, v35
	v_mov_b32_e32 v35, 1
	v_and_b32_sdwa v28, v35, v28 dst_sel:DWORD dst_unused:UNUSED_PAD src0_sel:DWORD src1_sel:WORD_1
	v_cndmask_b32_e32 v34, v62, v34, vcc
	v_lshlrev_b32_e32 v34, 1, v34
	ds_write_b16_d16_hi v34, v10
	v_sub_u32_e32 v10, v63, v22
	v_sub_u32_e32 v34, v1, v10
	v_add_u32_e32 v34, 2, v34
	v_cmp_eq_u32_e32 vcc, 1, v28
	v_add_u32_e32 v61, v63, v61
	v_add_u32_e32 v64, v61, v43
	v_cndmask_b32_e32 v10, v34, v10, vcc
	v_lshlrev_b32_e32 v10, 1, v10
	ds_write_b16 v10, v11
	v_sub_u32_e32 v10, v61, v22
	v_sub_u32_e32 v28, v1, v10
	v_and_b32_e32 v34, 1, v43
	v_add_u32_e32 v28, 3, v28
	v_cmp_eq_u32_e32 vcc, 1, v34
	v_add_u32_e32 v58, v64, v58
	v_lshrrev_b32_e32 v33, 8, v29
	v_cndmask_b32_e32 v10, v28, v10, vcc
	v_lshlrev_b32_e32 v10, 1, v10
	ds_write_b16_d16_hi v10, v11
	v_sub_u32_e32 v10, v64, v22
	v_sub_u32_e32 v11, v1, v10
	v_and_b32_e32 v28, 1, v29
	v_add_u32_e32 v11, 4, v11
	v_cmp_eq_u32_e32 vcc, 1, v28
	v_and_b32_e32 v28, 1, v33
	v_add_u32_e32 v59, v58, v59
	v_cndmask_b32_e32 v10, v11, v10, vcc
	v_lshlrev_b32_e32 v10, 1, v10
	ds_write_b16 v10, v12
	v_sub_u32_e32 v10, v58, v22
	v_sub_u32_e32 v11, v1, v10
	v_add_u32_e32 v11, 5, v11
	v_cmp_eq_u32_e32 vcc, 1, v28
	v_add_u32_e32 v60, v59, v60
	v_add_u32_e32 v65, v60, v42
	v_cndmask_b32_e32 v10, v11, v10, vcc
	v_lshlrev_b32_e32 v10, 1, v10
	ds_write_b16_d16_hi v10, v12
	v_sub_u32_e32 v10, v59, v22
	v_sub_u32_e32 v11, v1, v10
	v_and_b32_sdwa v12, v35, v29 dst_sel:DWORD dst_unused:UNUSED_PAD src0_sel:DWORD src1_sel:WORD_1
	v_add_u32_e32 v11, 6, v11
	v_cmp_eq_u32_e32 vcc, 1, v12
	v_and_b32_e32 v12, 1, v42
	v_add_u32_e32 v55, v65, v55
	v_cndmask_b32_e32 v10, v11, v10, vcc
	v_lshlrev_b32_e32 v10, 1, v10
	ds_write_b16 v10, v13
	v_sub_u32_e32 v10, v60, v22
	v_sub_u32_e32 v11, v1, v10
	v_add_u32_e32 v11, 7, v11
	v_cmp_eq_u32_e32 vcc, 1, v12
	v_and_b32_e32 v12, 1, v26
	v_lshrrev_b32_e32 v32, 8, v26
	v_cndmask_b32_e32 v10, v11, v10, vcc
	v_lshlrev_b32_e32 v10, 1, v10
	ds_write_b16_d16_hi v10, v13
	v_sub_u32_e32 v10, v65, v22
	v_sub_u32_e32 v11, v1, v10
	v_add_u32_e32 v11, 8, v11
	v_cmp_eq_u32_e32 vcc, 1, v12
	v_and_b32_e32 v12, 1, v32
	v_add_u32_e32 v56, v55, v56
	v_cndmask_b32_e32 v10, v11, v10, vcc
	v_lshlrev_b32_e32 v10, 1, v10
	ds_write_b16 v10, v6
	v_sub_u32_e32 v10, v55, v22
	v_sub_u32_e32 v11, v1, v10
	v_add_u32_e32 v11, 9, v11
	v_cmp_eq_u32_e32 vcc, 1, v12
	v_add_u32_e32 v57, v56, v57
	v_add_u32_e32 v66, v57, v41
	v_cndmask_b32_e32 v10, v11, v10, vcc
	v_lshlrev_b32_e32 v10, 1, v10
	ds_write_b16_d16_hi v10, v6
	v_sub_u32_e32 v6, v56, v22
	v_sub_u32_e32 v10, v1, v6
	v_and_b32_sdwa v11, v35, v26 dst_sel:DWORD dst_unused:UNUSED_PAD src0_sel:DWORD src1_sel:WORD_1
	v_add_u32_e32 v10, 10, v10
	v_cmp_eq_u32_e32 vcc, 1, v11
	v_and_b32_e32 v11, 1, v41
	v_add_u32_e32 v52, v66, v52
	v_cndmask_b32_e32 v6, v10, v6, vcc
	v_lshlrev_b32_e32 v6, 1, v6
	ds_write_b16 v6, v7
	v_sub_u32_e32 v6, v57, v22
	v_sub_u32_e32 v10, v1, v6
	v_add_u32_e32 v10, 11, v10
	v_cmp_eq_u32_e32 vcc, 1, v11
	v_lshrrev_b32_e32 v31, 8, v27
	v_add_u32_e32 v53, v52, v53
	v_cndmask_b32_e32 v6, v10, v6, vcc
	v_lshlrev_b32_e32 v6, 1, v6
	ds_write_b16_d16_hi v6, v7
	v_sub_u32_e32 v6, v66, v22
	v_sub_u32_e32 v7, v1, v6
	v_and_b32_e32 v10, 1, v27
	v_add_u32_e32 v7, 12, v7
	v_cmp_eq_u32_e32 vcc, 1, v10
	v_and_b32_e32 v10, 1, v31
	v_add_u32_e32 v54, v53, v54
	v_cndmask_b32_e32 v6, v7, v6, vcc
	v_lshlrev_b32_e32 v6, 1, v6
	ds_write_b16 v6, v8
	v_sub_u32_e32 v6, v52, v22
	v_sub_u32_e32 v7, v1, v6
	v_add_u32_e32 v7, 13, v7
	v_cmp_eq_u32_e32 vcc, 1, v10
	v_add_u32_e32 v67, v54, v40
	v_add_u32_e32 v49, v67, v49
	v_cndmask_b32_e32 v6, v7, v6, vcc
	v_lshlrev_b32_e32 v6, 1, v6
	ds_write_b16_d16_hi v6, v8
	v_sub_u32_e32 v6, v53, v22
	v_sub_u32_e32 v7, v1, v6
	v_and_b32_sdwa v8, v35, v27 dst_sel:DWORD dst_unused:UNUSED_PAD src0_sel:DWORD src1_sel:WORD_1
	v_add_u32_e32 v7, 14, v7
	v_cmp_eq_u32_e32 vcc, 1, v8
	v_and_b32_e32 v8, 1, v40
	v_lshrrev_b32_e32 v30, 8, v24
	v_cndmask_b32_e32 v6, v7, v6, vcc
	v_lshlrev_b32_e32 v6, 1, v6
	ds_write_b16 v6, v9
	v_sub_u32_e32 v6, v54, v22
	v_sub_u32_e32 v7, v1, v6
	v_add_u32_e32 v7, 15, v7
	v_cmp_eq_u32_e32 vcc, 1, v8
	v_and_b32_e32 v8, 1, v24
	v_add_u32_e32 v50, v49, v50
	v_cndmask_b32_e32 v6, v7, v6, vcc
	v_lshlrev_b32_e32 v6, 1, v6
	ds_write_b16_d16_hi v6, v9
	v_sub_u32_e32 v6, v67, v22
	v_sub_u32_e32 v7, v1, v6
	v_add_u32_e32 v7, 16, v7
	v_cmp_eq_u32_e32 vcc, 1, v8
	v_and_b32_e32 v8, 1, v30
	v_add_u32_e32 v51, v50, v51
	v_cndmask_b32_e32 v6, v7, v6, vcc
	v_lshlrev_b32_e32 v6, 1, v6
	ds_write_b16 v6, v2
	v_sub_u32_e32 v6, v49, v22
	v_sub_u32_e32 v7, v1, v6
	v_add_u32_e32 v7, 17, v7
	v_cmp_eq_u32_e32 vcc, 1, v8
	v_add_u32_e32 v68, v51, v39
	v_add_u32_e32 v46, v68, v46
	v_cndmask_b32_e32 v6, v7, v6, vcc
	v_lshlrev_b32_e32 v6, 1, v6
	ds_write_b16_d16_hi v6, v2
	v_sub_u32_e32 v2, v50, v22
	v_sub_u32_e32 v6, v1, v2
	v_and_b32_sdwa v7, v35, v24 dst_sel:DWORD dst_unused:UNUSED_PAD src0_sel:DWORD src1_sel:WORD_1
	v_add_u32_e32 v6, 18, v6
	v_cmp_eq_u32_e32 vcc, 1, v7
	v_and_b32_e32 v7, 1, v39
	v_lshrrev_b32_e32 v23, 8, v25
	v_cndmask_b32_e32 v2, v6, v2, vcc
	v_lshlrev_b32_e32 v2, 1, v2
	ds_write_b16 v2, v3
	v_sub_u32_e32 v2, v51, v22
	v_sub_u32_e32 v6, v1, v2
	v_add_u32_e32 v6, 19, v6
	v_cmp_eq_u32_e32 vcc, 1, v7
	v_add_u32_e32 v47, v46, v47
	v_add_u32_e32 v48, v47, v48
	v_cndmask_b32_e32 v2, v6, v2, vcc
	v_lshlrev_b32_e32 v2, 1, v2
	ds_write_b16_d16_hi v2, v3
	v_sub_u32_e32 v2, v68, v22
	v_sub_u32_e32 v3, v1, v2
	v_and_b32_e32 v6, 1, v25
	v_add_u32_e32 v3, 20, v3
	v_cmp_eq_u32_e32 vcc, 1, v6
	v_and_b32_e32 v6, 1, v23
	v_add_u32_e32 v69, v48, v38
	v_cndmask_b32_e32 v2, v3, v2, vcc
	v_lshlrev_b32_e32 v2, 1, v2
	ds_write_b16 v2, v4
	v_sub_u32_e32 v2, v46, v22
	v_sub_u32_e32 v3, v1, v2
	v_add_u32_e32 v3, 21, v3
	v_cmp_eq_u32_e32 vcc, 1, v6
	v_add_u32_e32 v44, v69, v44
	v_lshrrev_b32_e32 v21, 8, v36
	v_cndmask_b32_e32 v2, v3, v2, vcc
	v_lshlrev_b32_e32 v2, 1, v2
	ds_write_b16_d16_hi v2, v4
	v_sub_u32_e32 v2, v47, v22
	v_sub_u32_e32 v3, v1, v2
	v_and_b32_sdwa v4, v35, v25 dst_sel:DWORD dst_unused:UNUSED_PAD src0_sel:DWORD src1_sel:WORD_1
	v_add_u32_e32 v3, 22, v3
	v_cmp_eq_u32_e32 vcc, 1, v4
	v_and_b32_e32 v4, 1, v38
	v_add_u32_e32 v45, v44, v45
	v_cndmask_b32_e32 v2, v3, v2, vcc
	v_lshlrev_b32_e32 v2, 1, v2
	ds_write_b16 v2, v5
	v_sub_u32_e32 v2, v48, v22
	v_sub_u32_e32 v3, v1, v2
	v_add_u32_e32 v3, 23, v3
	v_cmp_eq_u32_e32 vcc, 1, v4
	v_and_b32_e32 v4, 1, v36
	v_or_b32_e32 v63, 0x200, v0
	v_cndmask_b32_e32 v2, v3, v2, vcc
	v_lshlrev_b32_e32 v2, 1, v2
	ds_write_b16_d16_hi v2, v5
	v_sub_u32_e32 v2, v69, v22
	v_sub_u32_e32 v3, v1, v2
	v_add_u32_e32 v3, 24, v3
	v_cmp_eq_u32_e32 vcc, 1, v4
	v_and_b32_e32 v4, 1, v21
	v_or_b32_e32 v61, 0x400, v0
	v_cndmask_b32_e32 v2, v3, v2, vcc
	v_lshlrev_b32_e32 v2, 1, v2
	ds_write_b16 v2, v18
	v_sub_u32_e32 v2, v44, v22
	v_sub_u32_e32 v3, v1, v2
	v_add_u32_e32 v3, 25, v3
	v_cmp_eq_u32_e32 vcc, 1, v4
	v_and_b32_sdwa v4, v35, v36 dst_sel:DWORD dst_unused:UNUSED_PAD src0_sel:DWORD src1_sel:WORD_1
	v_or_b32_e32 v59, 0x600, v0
	v_cndmask_b32_e32 v2, v3, v2, vcc
	v_lshlrev_b32_e32 v2, 1, v2
	ds_write_b16_d16_hi v2, v18
	v_sub_u32_e32 v2, v45, v22
	v_sub_u32_e32 v3, v1, v2
	v_add_u32_e32 v3, 26, v3
	v_cmp_eq_u32_e32 vcc, 1, v4
	v_or_b32_e32 v57, 0x800, v0
	v_or_b32_e32 v55, 0xa00, v0
	v_cndmask_b32_e32 v2, v3, v2, vcc
	v_lshlrev_b32_e32 v2, 1, v2
	ds_write_b16 v2, v19
	v_sub_u32_e32 v2, v37, v22
	v_add_u32_e32 v2, v45, v2
	v_sub_u32_e32 v1, v1, v2
	v_and_b32_e32 v3, 1, v17
	v_add_u32_e32 v1, 27, v1
	v_cmp_eq_u32_e32 vcc, 1, v3
	v_or_b32_e32 v53, 0xc00, v0
	v_or_b32_e32 v50, 0xe00, v0
	v_cndmask_b32_e32 v1, v1, v2, vcc
	v_lshlrev_b32_e32 v1, 1, v1
	ds_write_b16_d16_hi v1, v19
	s_waitcnt lgkmcnt(0)
	s_barrier
	ds_read_u16 v65, v16
	ds_read_u16 v64, v16 offset:1024
	ds_read_u16 v62, v16 offset:2048
	;; [unrolled: 1-line block ×27, first 2 shown]
	v_or_b32_e32 v49, 0x1000, v0
	v_or_b32_e32 v47, 0x1200, v0
	;; [unrolled: 1-line block ×20, first 2 shown]
	s_andn2_b64 vcc, exec, s[26:27]
	s_waitcnt vmcnt(0)
	v_lshlrev_b64 v[4:5], 1, v[14:15]
	s_cbranch_vccnz .LBB3124_191
; %bb.162:
	v_mov_b32_e32 v23, 0
	v_lshl_add_u64 v[2:3], s[24:25], 0, v[4:5]
	v_lshlrev_b64 v[66:67], 1, v[22:23]
	v_lshl_add_u64 v[2:3], v[2:3], 0, v[66:67]
	v_cmp_lt_u32_e32 vcc, v0, v20
	s_and_saveexec_b64 s[0:1], vcc
	s_cbranch_execnz .LBB3124_226
; %bb.163:
	s_or_b64 exec, exec, s[0:1]
	v_cmp_lt_u32_e32 vcc, v63, v20
	s_and_saveexec_b64 s[0:1], vcc
	s_cbranch_execnz .LBB3124_227
.LBB3124_164:
	s_or_b64 exec, exec, s[0:1]
	v_cmp_lt_u32_e32 vcc, v61, v20
	s_and_saveexec_b64 s[0:1], vcc
	s_cbranch_execnz .LBB3124_228
.LBB3124_165:
	s_or_b64 exec, exec, s[0:1]
	v_cmp_lt_u32_e32 vcc, v59, v20
	s_and_saveexec_b64 s[0:1], vcc
	s_cbranch_execnz .LBB3124_229
.LBB3124_166:
	s_or_b64 exec, exec, s[0:1]
	v_cmp_lt_u32_e32 vcc, v57, v20
	s_and_saveexec_b64 s[0:1], vcc
	s_cbranch_execnz .LBB3124_230
.LBB3124_167:
	s_or_b64 exec, exec, s[0:1]
	v_cmp_lt_u32_e32 vcc, v55, v20
	s_and_saveexec_b64 s[0:1], vcc
	s_cbranch_execnz .LBB3124_231
.LBB3124_168:
	s_or_b64 exec, exec, s[0:1]
	v_cmp_lt_u32_e32 vcc, v53, v20
	s_and_saveexec_b64 s[0:1], vcc
	s_cbranch_execnz .LBB3124_232
.LBB3124_169:
	s_or_b64 exec, exec, s[0:1]
	v_cmp_lt_u32_e32 vcc, v50, v20
	s_and_saveexec_b64 s[0:1], vcc
	s_cbranch_execnz .LBB3124_233
.LBB3124_170:
	s_or_b64 exec, exec, s[0:1]
	v_cmp_lt_u32_e32 vcc, v49, v20
	s_and_saveexec_b64 s[0:1], vcc
	s_cbranch_execnz .LBB3124_234
.LBB3124_171:
	s_or_b64 exec, exec, s[0:1]
	v_cmp_lt_u32_e32 vcc, v47, v20
	s_and_saveexec_b64 s[0:1], vcc
	s_cbranch_execnz .LBB3124_235
.LBB3124_172:
	s_or_b64 exec, exec, s[0:1]
	v_cmp_lt_u32_e32 vcc, v45, v20
	s_and_saveexec_b64 s[0:1], vcc
	s_cbranch_execnz .LBB3124_236
.LBB3124_173:
	s_or_b64 exec, exec, s[0:1]
	v_cmp_lt_u32_e32 vcc, v43, v20
	s_and_saveexec_b64 s[0:1], vcc
	s_cbranch_execnz .LBB3124_237
.LBB3124_174:
	s_or_b64 exec, exec, s[0:1]
	v_cmp_lt_u32_e32 vcc, v41, v20
	s_and_saveexec_b64 s[0:1], vcc
	s_cbranch_execnz .LBB3124_238
.LBB3124_175:
	s_or_b64 exec, exec, s[0:1]
	v_cmp_lt_u32_e32 vcc, v39, v20
	s_and_saveexec_b64 s[0:1], vcc
	s_cbranch_execnz .LBB3124_239
.LBB3124_176:
	s_or_b64 exec, exec, s[0:1]
	v_cmp_lt_u32_e32 vcc, v37, v20
	s_and_saveexec_b64 s[0:1], vcc
	s_cbranch_execnz .LBB3124_240
.LBB3124_177:
	s_or_b64 exec, exec, s[0:1]
	v_cmp_lt_u32_e32 vcc, v34, v20
	s_and_saveexec_b64 s[0:1], vcc
	s_cbranch_execnz .LBB3124_241
.LBB3124_178:
	s_or_b64 exec, exec, s[0:1]
	v_cmp_lt_u32_e32 vcc, v33, v20
	s_and_saveexec_b64 s[0:1], vcc
	s_cbranch_execnz .LBB3124_242
.LBB3124_179:
	s_or_b64 exec, exec, s[0:1]
	v_cmp_lt_u32_e32 vcc, v31, v20
	s_and_saveexec_b64 s[0:1], vcc
	s_cbranch_execnz .LBB3124_243
.LBB3124_180:
	s_or_b64 exec, exec, s[0:1]
	v_cmp_lt_u32_e32 vcc, v29, v20
	s_and_saveexec_b64 s[0:1], vcc
	s_cbranch_execnz .LBB3124_244
.LBB3124_181:
	s_or_b64 exec, exec, s[0:1]
	v_cmp_lt_u32_e32 vcc, v27, v20
	s_and_saveexec_b64 s[0:1], vcc
	s_cbranch_execnz .LBB3124_245
.LBB3124_182:
	s_or_b64 exec, exec, s[0:1]
	v_cmp_lt_u32_e32 vcc, v25, v20
	s_and_saveexec_b64 s[0:1], vcc
	s_cbranch_execnz .LBB3124_246
.LBB3124_183:
	s_or_b64 exec, exec, s[0:1]
	v_cmp_lt_u32_e32 vcc, v21, v20
	s_and_saveexec_b64 s[0:1], vcc
	s_cbranch_execnz .LBB3124_247
.LBB3124_184:
	s_or_b64 exec, exec, s[0:1]
	v_cmp_lt_u32_e32 vcc, v18, v20
	s_and_saveexec_b64 s[0:1], vcc
	s_cbranch_execnz .LBB3124_248
.LBB3124_185:
	s_or_b64 exec, exec, s[0:1]
	v_cmp_lt_u32_e32 vcc, v13, v20
	s_and_saveexec_b64 s[0:1], vcc
	s_cbranch_execnz .LBB3124_249
.LBB3124_186:
	s_or_b64 exec, exec, s[0:1]
	v_cmp_lt_u32_e32 vcc, v11, v20
	s_and_saveexec_b64 s[0:1], vcc
	s_cbranch_execnz .LBB3124_250
.LBB3124_187:
	s_or_b64 exec, exec, s[0:1]
	v_cmp_lt_u32_e32 vcc, v9, v20
	s_and_saveexec_b64 s[0:1], vcc
	s_cbranch_execnz .LBB3124_251
.LBB3124_188:
	s_or_b64 exec, exec, s[0:1]
	v_cmp_lt_u32_e32 vcc, v8, v20
	s_and_saveexec_b64 s[0:1], vcc
	s_cbranch_execz .LBB3124_190
.LBB3124_189:
	v_lshlrev_b32_e32 v23, 1, v8
	v_readfirstlane_b32 s2, v2
	v_readfirstlane_b32 s3, v3
	s_waitcnt lgkmcnt(1)
	s_nop 3
	global_store_short v23, v7, s[2:3]
.LBB3124_190:
	s_or_b64 exec, exec, s[0:1]
	v_cmp_lt_u32_e64 s[0:1], v6, v20
	s_branch .LBB3124_221
.LBB3124_191:
	s_mov_b64 s[0:1], 0
                                        ; implicit-def: $vgpr2_vgpr3
	s_cbranch_execz .LBB3124_221
; %bb.192:
	v_mov_b32_e32 v23, 0
	v_min_u32_e32 v66, s33, v20
	v_lshl_add_u64 v[2:3], s[24:25], 0, v[4:5]
	v_lshlrev_b64 v[4:5], 1, v[22:23]
	v_lshl_add_u64 v[2:3], v[2:3], 0, v[4:5]
	v_cmp_gt_u32_e32 vcc, v66, v0
	s_and_saveexec_b64 s[0:1], vcc
	s_cbranch_execnz .LBB3124_252
; %bb.193:
	s_or_b64 exec, exec, s[0:1]
	v_cmp_lt_u32_e32 vcc, v63, v66
	s_and_saveexec_b64 s[0:1], vcc
	s_cbranch_execnz .LBB3124_253
.LBB3124_194:
	s_or_b64 exec, exec, s[0:1]
	v_cmp_lt_u32_e32 vcc, v61, v66
	s_and_saveexec_b64 s[0:1], vcc
	s_cbranch_execnz .LBB3124_254
.LBB3124_195:
	s_or_b64 exec, exec, s[0:1]
	v_cmp_lt_u32_e32 vcc, v59, v66
	s_and_saveexec_b64 s[0:1], vcc
	s_cbranch_execnz .LBB3124_255
.LBB3124_196:
	s_or_b64 exec, exec, s[0:1]
	v_cmp_lt_u32_e32 vcc, v57, v66
	s_and_saveexec_b64 s[0:1], vcc
	s_cbranch_execnz .LBB3124_256
.LBB3124_197:
	s_or_b64 exec, exec, s[0:1]
	v_cmp_lt_u32_e32 vcc, v55, v66
	s_and_saveexec_b64 s[0:1], vcc
	s_cbranch_execnz .LBB3124_257
.LBB3124_198:
	s_or_b64 exec, exec, s[0:1]
	v_cmp_lt_u32_e32 vcc, v53, v66
	s_and_saveexec_b64 s[0:1], vcc
	s_cbranch_execnz .LBB3124_258
.LBB3124_199:
	s_or_b64 exec, exec, s[0:1]
	v_cmp_lt_u32_e32 vcc, v50, v66
	s_and_saveexec_b64 s[0:1], vcc
	s_cbranch_execnz .LBB3124_259
.LBB3124_200:
	s_or_b64 exec, exec, s[0:1]
	v_cmp_lt_u32_e32 vcc, v49, v66
	s_and_saveexec_b64 s[0:1], vcc
	s_cbranch_execnz .LBB3124_260
.LBB3124_201:
	s_or_b64 exec, exec, s[0:1]
	v_cmp_lt_u32_e32 vcc, v47, v66
	s_and_saveexec_b64 s[0:1], vcc
	s_cbranch_execnz .LBB3124_261
.LBB3124_202:
	s_or_b64 exec, exec, s[0:1]
	v_cmp_lt_u32_e32 vcc, v45, v66
	s_and_saveexec_b64 s[0:1], vcc
	s_cbranch_execnz .LBB3124_262
.LBB3124_203:
	s_or_b64 exec, exec, s[0:1]
	v_cmp_lt_u32_e32 vcc, v43, v66
	s_and_saveexec_b64 s[0:1], vcc
	s_cbranch_execnz .LBB3124_263
.LBB3124_204:
	s_or_b64 exec, exec, s[0:1]
	v_cmp_lt_u32_e32 vcc, v41, v66
	s_and_saveexec_b64 s[0:1], vcc
	s_cbranch_execnz .LBB3124_264
.LBB3124_205:
	s_or_b64 exec, exec, s[0:1]
	v_cmp_lt_u32_e32 vcc, v39, v66
	s_and_saveexec_b64 s[0:1], vcc
	s_cbranch_execnz .LBB3124_265
.LBB3124_206:
	s_or_b64 exec, exec, s[0:1]
	v_cmp_lt_u32_e32 vcc, v37, v66
	s_and_saveexec_b64 s[0:1], vcc
	s_cbranch_execnz .LBB3124_266
.LBB3124_207:
	s_or_b64 exec, exec, s[0:1]
	v_cmp_lt_u32_e32 vcc, v34, v66
	s_and_saveexec_b64 s[0:1], vcc
	s_cbranch_execnz .LBB3124_267
.LBB3124_208:
	s_or_b64 exec, exec, s[0:1]
	v_cmp_lt_u32_e32 vcc, v33, v66
	s_and_saveexec_b64 s[0:1], vcc
	s_cbranch_execnz .LBB3124_268
.LBB3124_209:
	s_or_b64 exec, exec, s[0:1]
	v_cmp_lt_u32_e32 vcc, v31, v66
	s_and_saveexec_b64 s[0:1], vcc
	s_cbranch_execnz .LBB3124_269
.LBB3124_210:
	s_or_b64 exec, exec, s[0:1]
	v_cmp_lt_u32_e32 vcc, v29, v66
	s_and_saveexec_b64 s[0:1], vcc
	s_cbranch_execnz .LBB3124_270
.LBB3124_211:
	s_or_b64 exec, exec, s[0:1]
	v_cmp_lt_u32_e32 vcc, v27, v66
	s_and_saveexec_b64 s[0:1], vcc
	s_cbranch_execnz .LBB3124_271
.LBB3124_212:
	s_or_b64 exec, exec, s[0:1]
	v_cmp_lt_u32_e32 vcc, v25, v66
	s_and_saveexec_b64 s[0:1], vcc
	s_cbranch_execnz .LBB3124_272
.LBB3124_213:
	s_or_b64 exec, exec, s[0:1]
	v_cmp_lt_u32_e32 vcc, v21, v66
	s_and_saveexec_b64 s[0:1], vcc
	s_cbranch_execnz .LBB3124_273
.LBB3124_214:
	s_or_b64 exec, exec, s[0:1]
	v_cmp_lt_u32_e32 vcc, v18, v66
	s_and_saveexec_b64 s[0:1], vcc
	s_cbranch_execnz .LBB3124_274
.LBB3124_215:
	s_or_b64 exec, exec, s[0:1]
	v_cmp_lt_u32_e32 vcc, v13, v66
	s_and_saveexec_b64 s[0:1], vcc
	s_cbranch_execnz .LBB3124_275
.LBB3124_216:
	s_or_b64 exec, exec, s[0:1]
	v_cmp_lt_u32_e32 vcc, v11, v66
	s_and_saveexec_b64 s[0:1], vcc
	s_cbranch_execnz .LBB3124_276
.LBB3124_217:
	s_or_b64 exec, exec, s[0:1]
	v_cmp_lt_u32_e32 vcc, v9, v66
	s_and_saveexec_b64 s[0:1], vcc
	s_cbranch_execnz .LBB3124_277
.LBB3124_218:
	s_or_b64 exec, exec, s[0:1]
	v_cmp_lt_u32_e32 vcc, v8, v66
	s_and_saveexec_b64 s[0:1], vcc
	s_cbranch_execz .LBB3124_220
.LBB3124_219:
	v_lshlrev_b32_e32 v0, 1, v8
	v_readfirstlane_b32 s2, v2
	v_readfirstlane_b32 s3, v3
	s_waitcnt lgkmcnt(1)
	s_nop 3
	global_store_short v0, v7, s[2:3]
.LBB3124_220:
	s_or_b64 exec, exec, s[0:1]
	v_cmp_lt_u32_e64 s[0:1], v6, v66
.LBB3124_221:
	s_and_saveexec_b64 s[2:3], s[0:1]
	s_cbranch_execnz .LBB3124_224
; %bb.222:
	s_or_b64 exec, exec, s[2:3]
	s_and_b64 s[0:1], s[18:19], s[22:23]
	s_and_saveexec_b64 s[2:3], s[0:1]
	s_cbranch_execnz .LBB3124_225
.LBB3124_223:
	s_endpgm
.LBB3124_224:
	v_lshlrev_b32_e32 v0, 1, v6
	v_readfirstlane_b32 s0, v2
	v_readfirstlane_b32 s1, v3
	s_waitcnt lgkmcnt(0)
	s_nop 3
	global_store_short v0, v1, s[0:1]
	s_or_b64 exec, exec, s[2:3]
	s_and_b64 s[0:1], s[18:19], s[22:23]
	s_and_saveexec_b64 s[2:3], s[0:1]
	s_cbranch_execz .LBB3124_223
.LBB3124_225:
	v_mov_b32_e32 v21, 0
	s_waitcnt lgkmcnt(0)
	v_lshl_add_u64 v[0:1], v[14:15], 0, v[20:21]
	v_mov_b32_e32 v23, v21
	v_lshl_add_u64 v[0:1], v[0:1], 0, v[22:23]
	global_store_dwordx2 v21, v[0:1], s[20:21]
	s_endpgm
.LBB3124_226:
	v_readfirstlane_b32 s2, v2
	v_readfirstlane_b32 s3, v3
	s_waitcnt lgkmcnt(14)
	s_nop 3
	global_store_short v16, v65, s[2:3]
	s_or_b64 exec, exec, s[0:1]
	v_cmp_lt_u32_e32 vcc, v63, v20
	s_and_saveexec_b64 s[0:1], vcc
	s_cbranch_execz .LBB3124_164
.LBB3124_227:
	v_readfirstlane_b32 s2, v2
	v_readfirstlane_b32 s3, v3
	s_waitcnt lgkmcnt(14)
	s_nop 3
	global_store_short v16, v64, s[2:3] offset:1024
	s_or_b64 exec, exec, s[0:1]
	v_cmp_lt_u32_e32 vcc, v61, v20
	s_and_saveexec_b64 s[0:1], vcc
	s_cbranch_execz .LBB3124_165
.LBB3124_228:
	v_readfirstlane_b32 s2, v2
	v_readfirstlane_b32 s3, v3
	s_waitcnt lgkmcnt(14)
	s_nop 3
	global_store_short v16, v62, s[2:3] offset:2048
	s_or_b64 exec, exec, s[0:1]
	v_cmp_lt_u32_e32 vcc, v59, v20
	s_and_saveexec_b64 s[0:1], vcc
	s_cbranch_execz .LBB3124_166
.LBB3124_229:
	v_readfirstlane_b32 s2, v2
	v_readfirstlane_b32 s3, v3
	s_waitcnt lgkmcnt(14)
	s_nop 3
	global_store_short v16, v60, s[2:3] offset:3072
	s_or_b64 exec, exec, s[0:1]
	v_cmp_lt_u32_e32 vcc, v57, v20
	s_and_saveexec_b64 s[0:1], vcc
	s_cbranch_execz .LBB3124_167
.LBB3124_230:
	v_lshlrev_b32_e32 v23, 1, v57
	v_readfirstlane_b32 s2, v2
	v_readfirstlane_b32 s3, v3
	s_waitcnt lgkmcnt(14)
	s_nop 3
	global_store_short v23, v58, s[2:3]
	s_or_b64 exec, exec, s[0:1]
	v_cmp_lt_u32_e32 vcc, v55, v20
	s_and_saveexec_b64 s[0:1], vcc
	s_cbranch_execz .LBB3124_168
.LBB3124_231:
	v_lshlrev_b32_e32 v23, 1, v55
	v_readfirstlane_b32 s2, v2
	v_readfirstlane_b32 s3, v3
	s_waitcnt lgkmcnt(14)
	s_nop 3
	global_store_short v23, v56, s[2:3]
	s_or_b64 exec, exec, s[0:1]
	v_cmp_lt_u32_e32 vcc, v53, v20
	s_and_saveexec_b64 s[0:1], vcc
	s_cbranch_execz .LBB3124_169
.LBB3124_232:
	v_lshlrev_b32_e32 v23, 1, v53
	v_readfirstlane_b32 s2, v2
	v_readfirstlane_b32 s3, v3
	s_waitcnt lgkmcnt(14)
	s_nop 3
	global_store_short v23, v54, s[2:3]
	s_or_b64 exec, exec, s[0:1]
	v_cmp_lt_u32_e32 vcc, v50, v20
	s_and_saveexec_b64 s[0:1], vcc
	s_cbranch_execz .LBB3124_170
.LBB3124_233:
	v_lshlrev_b32_e32 v23, 1, v50
	v_readfirstlane_b32 s2, v2
	v_readfirstlane_b32 s3, v3
	s_waitcnt lgkmcnt(14)
	s_nop 3
	global_store_short v23, v51, s[2:3]
	s_or_b64 exec, exec, s[0:1]
	v_cmp_lt_u32_e32 vcc, v49, v20
	s_and_saveexec_b64 s[0:1], vcc
	s_cbranch_execz .LBB3124_171
.LBB3124_234:
	v_lshlrev_b32_e32 v23, 1, v49
	v_readfirstlane_b32 s2, v2
	v_readfirstlane_b32 s3, v3
	s_waitcnt lgkmcnt(14)
	s_nop 3
	global_store_short v23, v52, s[2:3]
	s_or_b64 exec, exec, s[0:1]
	v_cmp_lt_u32_e32 vcc, v47, v20
	s_and_saveexec_b64 s[0:1], vcc
	s_cbranch_execz .LBB3124_172
.LBB3124_235:
	v_lshlrev_b32_e32 v23, 1, v47
	v_readfirstlane_b32 s2, v2
	v_readfirstlane_b32 s3, v3
	s_waitcnt lgkmcnt(14)
	s_nop 3
	global_store_short v23, v48, s[2:3]
	s_or_b64 exec, exec, s[0:1]
	v_cmp_lt_u32_e32 vcc, v45, v20
	s_and_saveexec_b64 s[0:1], vcc
	s_cbranch_execz .LBB3124_173
.LBB3124_236:
	v_lshlrev_b32_e32 v23, 1, v45
	v_readfirstlane_b32 s2, v2
	v_readfirstlane_b32 s3, v3
	s_waitcnt lgkmcnt(14)
	s_nop 3
	global_store_short v23, v46, s[2:3]
	s_or_b64 exec, exec, s[0:1]
	v_cmp_lt_u32_e32 vcc, v43, v20
	s_and_saveexec_b64 s[0:1], vcc
	s_cbranch_execz .LBB3124_174
.LBB3124_237:
	v_lshlrev_b32_e32 v23, 1, v43
	v_readfirstlane_b32 s2, v2
	v_readfirstlane_b32 s3, v3
	s_waitcnt lgkmcnt(14)
	s_nop 3
	global_store_short v23, v44, s[2:3]
	s_or_b64 exec, exec, s[0:1]
	v_cmp_lt_u32_e32 vcc, v41, v20
	s_and_saveexec_b64 s[0:1], vcc
	s_cbranch_execz .LBB3124_175
.LBB3124_238:
	v_lshlrev_b32_e32 v23, 1, v41
	v_readfirstlane_b32 s2, v2
	v_readfirstlane_b32 s3, v3
	s_waitcnt lgkmcnt(14)
	s_nop 3
	global_store_short v23, v42, s[2:3]
	s_or_b64 exec, exec, s[0:1]
	v_cmp_lt_u32_e32 vcc, v39, v20
	s_and_saveexec_b64 s[0:1], vcc
	s_cbranch_execz .LBB3124_176
.LBB3124_239:
	v_lshlrev_b32_e32 v23, 1, v39
	v_readfirstlane_b32 s2, v2
	v_readfirstlane_b32 s3, v3
	s_waitcnt lgkmcnt(14)
	s_nop 3
	global_store_short v23, v40, s[2:3]
	s_or_b64 exec, exec, s[0:1]
	v_cmp_lt_u32_e32 vcc, v37, v20
	s_and_saveexec_b64 s[0:1], vcc
	s_cbranch_execz .LBB3124_177
.LBB3124_240:
	v_lshlrev_b32_e32 v23, 1, v37
	v_readfirstlane_b32 s2, v2
	v_readfirstlane_b32 s3, v3
	s_waitcnt lgkmcnt(13)
	s_nop 3
	global_store_short v23, v38, s[2:3]
	s_or_b64 exec, exec, s[0:1]
	v_cmp_lt_u32_e32 vcc, v34, v20
	s_and_saveexec_b64 s[0:1], vcc
	s_cbranch_execz .LBB3124_178
.LBB3124_241:
	v_lshlrev_b32_e32 v23, 1, v34
	v_readfirstlane_b32 s2, v2
	v_readfirstlane_b32 s3, v3
	s_waitcnt lgkmcnt(12)
	s_nop 3
	global_store_short v23, v35, s[2:3]
	s_or_b64 exec, exec, s[0:1]
	v_cmp_lt_u32_e32 vcc, v33, v20
	s_and_saveexec_b64 s[0:1], vcc
	s_cbranch_execz .LBB3124_179
.LBB3124_242:
	v_lshlrev_b32_e32 v23, 1, v33
	v_readfirstlane_b32 s2, v2
	v_readfirstlane_b32 s3, v3
	s_waitcnt lgkmcnt(11)
	s_nop 3
	global_store_short v23, v36, s[2:3]
	s_or_b64 exec, exec, s[0:1]
	v_cmp_lt_u32_e32 vcc, v31, v20
	s_and_saveexec_b64 s[0:1], vcc
	s_cbranch_execz .LBB3124_180
.LBB3124_243:
	v_lshlrev_b32_e32 v23, 1, v31
	v_readfirstlane_b32 s2, v2
	v_readfirstlane_b32 s3, v3
	s_waitcnt lgkmcnt(10)
	s_nop 3
	global_store_short v23, v32, s[2:3]
	s_or_b64 exec, exec, s[0:1]
	v_cmp_lt_u32_e32 vcc, v29, v20
	s_and_saveexec_b64 s[0:1], vcc
	s_cbranch_execz .LBB3124_181
.LBB3124_244:
	v_lshlrev_b32_e32 v23, 1, v29
	v_readfirstlane_b32 s2, v2
	v_readfirstlane_b32 s3, v3
	s_waitcnt lgkmcnt(9)
	s_nop 3
	global_store_short v23, v30, s[2:3]
	s_or_b64 exec, exec, s[0:1]
	v_cmp_lt_u32_e32 vcc, v27, v20
	s_and_saveexec_b64 s[0:1], vcc
	s_cbranch_execz .LBB3124_182
.LBB3124_245:
	v_lshlrev_b32_e32 v23, 1, v27
	v_readfirstlane_b32 s2, v2
	v_readfirstlane_b32 s3, v3
	s_waitcnt lgkmcnt(8)
	s_nop 3
	global_store_short v23, v28, s[2:3]
	s_or_b64 exec, exec, s[0:1]
	v_cmp_lt_u32_e32 vcc, v25, v20
	s_and_saveexec_b64 s[0:1], vcc
	s_cbranch_execz .LBB3124_183
.LBB3124_246:
	v_lshlrev_b32_e32 v23, 1, v25
	v_readfirstlane_b32 s2, v2
	v_readfirstlane_b32 s3, v3
	s_waitcnt lgkmcnt(7)
	s_nop 3
	global_store_short v23, v26, s[2:3]
	s_or_b64 exec, exec, s[0:1]
	v_cmp_lt_u32_e32 vcc, v21, v20
	s_and_saveexec_b64 s[0:1], vcc
	s_cbranch_execz .LBB3124_184
.LBB3124_247:
	v_lshlrev_b32_e32 v23, 1, v21
	v_readfirstlane_b32 s2, v2
	v_readfirstlane_b32 s3, v3
	s_waitcnt lgkmcnt(6)
	s_nop 3
	global_store_short v23, v24, s[2:3]
	s_or_b64 exec, exec, s[0:1]
	v_cmp_lt_u32_e32 vcc, v18, v20
	s_and_saveexec_b64 s[0:1], vcc
	s_cbranch_execz .LBB3124_185
.LBB3124_248:
	v_lshlrev_b32_e32 v23, 1, v18
	v_readfirstlane_b32 s2, v2
	v_readfirstlane_b32 s3, v3
	s_waitcnt lgkmcnt(5)
	s_nop 3
	global_store_short v23, v19, s[2:3]
	s_or_b64 exec, exec, s[0:1]
	v_cmp_lt_u32_e32 vcc, v13, v20
	s_and_saveexec_b64 s[0:1], vcc
	s_cbranch_execz .LBB3124_186
.LBB3124_249:
	v_lshlrev_b32_e32 v23, 1, v13
	v_readfirstlane_b32 s2, v2
	v_readfirstlane_b32 s3, v3
	s_waitcnt lgkmcnt(4)
	s_nop 3
	global_store_short v23, v17, s[2:3]
	s_or_b64 exec, exec, s[0:1]
	v_cmp_lt_u32_e32 vcc, v11, v20
	s_and_saveexec_b64 s[0:1], vcc
	s_cbranch_execz .LBB3124_187
.LBB3124_250:
	v_lshlrev_b32_e32 v23, 1, v11
	v_readfirstlane_b32 s2, v2
	v_readfirstlane_b32 s3, v3
	s_waitcnt lgkmcnt(3)
	s_nop 3
	global_store_short v23, v12, s[2:3]
	s_or_b64 exec, exec, s[0:1]
	v_cmp_lt_u32_e32 vcc, v9, v20
	s_and_saveexec_b64 s[0:1], vcc
	s_cbranch_execz .LBB3124_188
.LBB3124_251:
	v_lshlrev_b32_e32 v23, 1, v9
	v_readfirstlane_b32 s2, v2
	v_readfirstlane_b32 s3, v3
	s_waitcnt lgkmcnt(2)
	s_nop 3
	global_store_short v23, v10, s[2:3]
	s_or_b64 exec, exec, s[0:1]
	v_cmp_lt_u32_e32 vcc, v8, v20
	s_and_saveexec_b64 s[0:1], vcc
	s_cbranch_execnz .LBB3124_189
	s_branch .LBB3124_190
.LBB3124_252:
	v_readfirstlane_b32 s2, v2
	v_readfirstlane_b32 s3, v3
	s_waitcnt lgkmcnt(14)
	s_nop 3
	global_store_short v16, v65, s[2:3]
	s_or_b64 exec, exec, s[0:1]
	v_cmp_lt_u32_e32 vcc, v63, v66
	s_and_saveexec_b64 s[0:1], vcc
	s_cbranch_execz .LBB3124_194
.LBB3124_253:
	v_readfirstlane_b32 s2, v2
	v_readfirstlane_b32 s3, v3
	s_waitcnt lgkmcnt(14)
	s_nop 3
	global_store_short v16, v64, s[2:3] offset:1024
	s_or_b64 exec, exec, s[0:1]
	v_cmp_lt_u32_e32 vcc, v61, v66
	s_and_saveexec_b64 s[0:1], vcc
	s_cbranch_execz .LBB3124_195
.LBB3124_254:
	v_readfirstlane_b32 s2, v2
	v_readfirstlane_b32 s3, v3
	s_waitcnt lgkmcnt(14)
	s_nop 3
	global_store_short v16, v62, s[2:3] offset:2048
	s_or_b64 exec, exec, s[0:1]
	v_cmp_lt_u32_e32 vcc, v59, v66
	s_and_saveexec_b64 s[0:1], vcc
	s_cbranch_execz .LBB3124_196
.LBB3124_255:
	v_readfirstlane_b32 s2, v2
	v_readfirstlane_b32 s3, v3
	s_waitcnt lgkmcnt(14)
	s_nop 3
	global_store_short v16, v60, s[2:3] offset:3072
	s_or_b64 exec, exec, s[0:1]
	v_cmp_lt_u32_e32 vcc, v57, v66
	s_and_saveexec_b64 s[0:1], vcc
	s_cbranch_execz .LBB3124_197
.LBB3124_256:
	v_lshlrev_b32_e32 v0, 1, v57
	v_readfirstlane_b32 s2, v2
	v_readfirstlane_b32 s3, v3
	s_waitcnt lgkmcnt(14)
	s_nop 3
	global_store_short v0, v58, s[2:3]
	s_or_b64 exec, exec, s[0:1]
	v_cmp_lt_u32_e32 vcc, v55, v66
	s_and_saveexec_b64 s[0:1], vcc
	s_cbranch_execz .LBB3124_198
.LBB3124_257:
	v_lshlrev_b32_e32 v0, 1, v55
	v_readfirstlane_b32 s2, v2
	v_readfirstlane_b32 s3, v3
	s_waitcnt lgkmcnt(14)
	s_nop 3
	global_store_short v0, v56, s[2:3]
	s_or_b64 exec, exec, s[0:1]
	v_cmp_lt_u32_e32 vcc, v53, v66
	s_and_saveexec_b64 s[0:1], vcc
	s_cbranch_execz .LBB3124_199
.LBB3124_258:
	v_lshlrev_b32_e32 v0, 1, v53
	v_readfirstlane_b32 s2, v2
	v_readfirstlane_b32 s3, v3
	s_waitcnt lgkmcnt(14)
	s_nop 3
	global_store_short v0, v54, s[2:3]
	s_or_b64 exec, exec, s[0:1]
	v_cmp_lt_u32_e32 vcc, v50, v66
	s_and_saveexec_b64 s[0:1], vcc
	s_cbranch_execz .LBB3124_200
.LBB3124_259:
	v_lshlrev_b32_e32 v0, 1, v50
	v_readfirstlane_b32 s2, v2
	v_readfirstlane_b32 s3, v3
	s_waitcnt lgkmcnt(14)
	s_nop 3
	global_store_short v0, v51, s[2:3]
	s_or_b64 exec, exec, s[0:1]
	v_cmp_lt_u32_e32 vcc, v49, v66
	s_and_saveexec_b64 s[0:1], vcc
	s_cbranch_execz .LBB3124_201
.LBB3124_260:
	v_lshlrev_b32_e32 v0, 1, v49
	v_readfirstlane_b32 s2, v2
	v_readfirstlane_b32 s3, v3
	s_waitcnt lgkmcnt(14)
	s_nop 3
	global_store_short v0, v52, s[2:3]
	s_or_b64 exec, exec, s[0:1]
	v_cmp_lt_u32_e32 vcc, v47, v66
	s_and_saveexec_b64 s[0:1], vcc
	s_cbranch_execz .LBB3124_202
.LBB3124_261:
	v_lshlrev_b32_e32 v0, 1, v47
	v_readfirstlane_b32 s2, v2
	v_readfirstlane_b32 s3, v3
	s_waitcnt lgkmcnt(14)
	s_nop 3
	global_store_short v0, v48, s[2:3]
	s_or_b64 exec, exec, s[0:1]
	v_cmp_lt_u32_e32 vcc, v45, v66
	s_and_saveexec_b64 s[0:1], vcc
	s_cbranch_execz .LBB3124_203
.LBB3124_262:
	v_lshlrev_b32_e32 v0, 1, v45
	v_readfirstlane_b32 s2, v2
	v_readfirstlane_b32 s3, v3
	s_waitcnt lgkmcnt(14)
	s_nop 3
	global_store_short v0, v46, s[2:3]
	s_or_b64 exec, exec, s[0:1]
	v_cmp_lt_u32_e32 vcc, v43, v66
	s_and_saveexec_b64 s[0:1], vcc
	s_cbranch_execz .LBB3124_204
.LBB3124_263:
	v_lshlrev_b32_e32 v0, 1, v43
	v_readfirstlane_b32 s2, v2
	v_readfirstlane_b32 s3, v3
	s_waitcnt lgkmcnt(14)
	s_nop 3
	global_store_short v0, v44, s[2:3]
	s_or_b64 exec, exec, s[0:1]
	v_cmp_lt_u32_e32 vcc, v41, v66
	s_and_saveexec_b64 s[0:1], vcc
	s_cbranch_execz .LBB3124_205
.LBB3124_264:
	v_lshlrev_b32_e32 v0, 1, v41
	v_readfirstlane_b32 s2, v2
	v_readfirstlane_b32 s3, v3
	s_waitcnt lgkmcnt(14)
	s_nop 3
	global_store_short v0, v42, s[2:3]
	s_or_b64 exec, exec, s[0:1]
	v_cmp_lt_u32_e32 vcc, v39, v66
	s_and_saveexec_b64 s[0:1], vcc
	s_cbranch_execz .LBB3124_206
.LBB3124_265:
	v_lshlrev_b32_e32 v0, 1, v39
	v_readfirstlane_b32 s2, v2
	v_readfirstlane_b32 s3, v3
	s_waitcnt lgkmcnt(14)
	s_nop 3
	global_store_short v0, v40, s[2:3]
	s_or_b64 exec, exec, s[0:1]
	v_cmp_lt_u32_e32 vcc, v37, v66
	s_and_saveexec_b64 s[0:1], vcc
	s_cbranch_execz .LBB3124_207
.LBB3124_266:
	v_lshlrev_b32_e32 v0, 1, v37
	v_readfirstlane_b32 s2, v2
	v_readfirstlane_b32 s3, v3
	s_waitcnt lgkmcnt(13)
	s_nop 3
	global_store_short v0, v38, s[2:3]
	s_or_b64 exec, exec, s[0:1]
	v_cmp_lt_u32_e32 vcc, v34, v66
	s_and_saveexec_b64 s[0:1], vcc
	s_cbranch_execz .LBB3124_208
.LBB3124_267:
	v_lshlrev_b32_e32 v0, 1, v34
	v_readfirstlane_b32 s2, v2
	v_readfirstlane_b32 s3, v3
	s_waitcnt lgkmcnt(12)
	s_nop 3
	global_store_short v0, v35, s[2:3]
	s_or_b64 exec, exec, s[0:1]
	v_cmp_lt_u32_e32 vcc, v33, v66
	s_and_saveexec_b64 s[0:1], vcc
	s_cbranch_execz .LBB3124_209
.LBB3124_268:
	v_lshlrev_b32_e32 v0, 1, v33
	v_readfirstlane_b32 s2, v2
	v_readfirstlane_b32 s3, v3
	s_waitcnt lgkmcnt(11)
	s_nop 3
	global_store_short v0, v36, s[2:3]
	s_or_b64 exec, exec, s[0:1]
	v_cmp_lt_u32_e32 vcc, v31, v66
	s_and_saveexec_b64 s[0:1], vcc
	s_cbranch_execz .LBB3124_210
.LBB3124_269:
	v_lshlrev_b32_e32 v0, 1, v31
	v_readfirstlane_b32 s2, v2
	v_readfirstlane_b32 s3, v3
	s_waitcnt lgkmcnt(10)
	s_nop 3
	global_store_short v0, v32, s[2:3]
	s_or_b64 exec, exec, s[0:1]
	v_cmp_lt_u32_e32 vcc, v29, v66
	s_and_saveexec_b64 s[0:1], vcc
	s_cbranch_execz .LBB3124_211
.LBB3124_270:
	v_lshlrev_b32_e32 v0, 1, v29
	v_readfirstlane_b32 s2, v2
	v_readfirstlane_b32 s3, v3
	s_waitcnt lgkmcnt(9)
	s_nop 3
	global_store_short v0, v30, s[2:3]
	s_or_b64 exec, exec, s[0:1]
	v_cmp_lt_u32_e32 vcc, v27, v66
	s_and_saveexec_b64 s[0:1], vcc
	s_cbranch_execz .LBB3124_212
.LBB3124_271:
	v_lshlrev_b32_e32 v0, 1, v27
	v_readfirstlane_b32 s2, v2
	v_readfirstlane_b32 s3, v3
	s_waitcnt lgkmcnt(8)
	s_nop 3
	global_store_short v0, v28, s[2:3]
	s_or_b64 exec, exec, s[0:1]
	v_cmp_lt_u32_e32 vcc, v25, v66
	s_and_saveexec_b64 s[0:1], vcc
	s_cbranch_execz .LBB3124_213
.LBB3124_272:
	v_lshlrev_b32_e32 v0, 1, v25
	v_readfirstlane_b32 s2, v2
	v_readfirstlane_b32 s3, v3
	s_waitcnt lgkmcnt(7)
	s_nop 3
	global_store_short v0, v26, s[2:3]
	s_or_b64 exec, exec, s[0:1]
	v_cmp_lt_u32_e32 vcc, v21, v66
	s_and_saveexec_b64 s[0:1], vcc
	s_cbranch_execz .LBB3124_214
.LBB3124_273:
	v_lshlrev_b32_e32 v0, 1, v21
	v_readfirstlane_b32 s2, v2
	v_readfirstlane_b32 s3, v3
	s_waitcnt lgkmcnt(6)
	s_nop 3
	global_store_short v0, v24, s[2:3]
	s_or_b64 exec, exec, s[0:1]
	v_cmp_lt_u32_e32 vcc, v18, v66
	s_and_saveexec_b64 s[0:1], vcc
	s_cbranch_execz .LBB3124_215
.LBB3124_274:
	v_lshlrev_b32_e32 v0, 1, v18
	v_readfirstlane_b32 s2, v2
	v_readfirstlane_b32 s3, v3
	s_waitcnt lgkmcnt(5)
	s_nop 3
	global_store_short v0, v19, s[2:3]
	s_or_b64 exec, exec, s[0:1]
	v_cmp_lt_u32_e32 vcc, v13, v66
	s_and_saveexec_b64 s[0:1], vcc
	s_cbranch_execz .LBB3124_216
.LBB3124_275:
	v_lshlrev_b32_e32 v0, 1, v13
	v_readfirstlane_b32 s2, v2
	v_readfirstlane_b32 s3, v3
	s_waitcnt lgkmcnt(4)
	s_nop 3
	global_store_short v0, v17, s[2:3]
	s_or_b64 exec, exec, s[0:1]
	v_cmp_lt_u32_e32 vcc, v11, v66
	s_and_saveexec_b64 s[0:1], vcc
	s_cbranch_execz .LBB3124_217
.LBB3124_276:
	v_lshlrev_b32_e32 v0, 1, v11
	v_readfirstlane_b32 s2, v2
	v_readfirstlane_b32 s3, v3
	s_waitcnt lgkmcnt(3)
	s_nop 3
	global_store_short v0, v12, s[2:3]
	s_or_b64 exec, exec, s[0:1]
	v_cmp_lt_u32_e32 vcc, v9, v66
	s_and_saveexec_b64 s[0:1], vcc
	s_cbranch_execz .LBB3124_218
.LBB3124_277:
	v_lshlrev_b32_e32 v0, 1, v9
	v_readfirstlane_b32 s2, v2
	v_readfirstlane_b32 s3, v3
	s_waitcnt lgkmcnt(2)
	s_nop 3
	global_store_short v0, v10, s[2:3]
	s_or_b64 exec, exec, s[0:1]
	v_cmp_lt_u32_e32 vcc, v8, v66
	s_and_saveexec_b64 s[0:1], vcc
	s_cbranch_execnz .LBB3124_219
	s_branch .LBB3124_220
	.section	.rodata,"a",@progbits
	.p2align	6, 0x0
	.amdhsa_kernel _ZN7rocprim17ROCPRIM_400000_NS6detail17trampoline_kernelINS0_14default_configENS1_25partition_config_selectorILNS1_17partition_subalgoE1EtNS0_10empty_typeEbEEZZNS1_14partition_implILS5_1ELb0ES3_jN6thrust23THRUST_200600_302600_NS6detail15normal_iteratorINSA_10device_ptrItEEEEPS6_NSA_18transform_iteratorI7is_evenItESF_NSA_11use_defaultESK_EENS0_5tupleIJSF_NSA_16discard_iteratorISK_EEEEENSM_IJSG_SG_EEES6_PlJS6_EEE10hipError_tPvRmT3_T4_T5_T6_T7_T9_mT8_P12ihipStream_tbDpT10_ENKUlT_T0_E_clISt17integral_constantIbLb0EES1A_IbLb1EEEEDaS16_S17_EUlS16_E_NS1_11comp_targetILNS1_3genE5ELNS1_11target_archE942ELNS1_3gpuE9ELNS1_3repE0EEENS1_30default_config_static_selectorELNS0_4arch9wavefront6targetE1EEEvT1_
		.amdhsa_group_segment_fixed_size 28680
		.amdhsa_private_segment_fixed_size 0
		.amdhsa_kernarg_size 152
		.amdhsa_user_sgpr_count 2
		.amdhsa_user_sgpr_dispatch_ptr 0
		.amdhsa_user_sgpr_queue_ptr 0
		.amdhsa_user_sgpr_kernarg_segment_ptr 1
		.amdhsa_user_sgpr_dispatch_id 0
		.amdhsa_user_sgpr_kernarg_preload_length 0
		.amdhsa_user_sgpr_kernarg_preload_offset 0
		.amdhsa_user_sgpr_private_segment_size 0
		.amdhsa_uses_dynamic_stack 0
		.amdhsa_enable_private_segment 0
		.amdhsa_system_sgpr_workgroup_id_x 1
		.amdhsa_system_sgpr_workgroup_id_y 0
		.amdhsa_system_sgpr_workgroup_id_z 0
		.amdhsa_system_sgpr_workgroup_info 0
		.amdhsa_system_vgpr_workitem_id 0
		.amdhsa_next_free_vgpr 81
		.amdhsa_next_free_sgpr 40
		.amdhsa_accum_offset 84
		.amdhsa_reserve_vcc 1
		.amdhsa_float_round_mode_32 0
		.amdhsa_float_round_mode_16_64 0
		.amdhsa_float_denorm_mode_32 3
		.amdhsa_float_denorm_mode_16_64 3
		.amdhsa_dx10_clamp 1
		.amdhsa_ieee_mode 1
		.amdhsa_fp16_overflow 0
		.amdhsa_tg_split 0
		.amdhsa_exception_fp_ieee_invalid_op 0
		.amdhsa_exception_fp_denorm_src 0
		.amdhsa_exception_fp_ieee_div_zero 0
		.amdhsa_exception_fp_ieee_overflow 0
		.amdhsa_exception_fp_ieee_underflow 0
		.amdhsa_exception_fp_ieee_inexact 0
		.amdhsa_exception_int_div_zero 0
	.end_amdhsa_kernel
	.section	.text._ZN7rocprim17ROCPRIM_400000_NS6detail17trampoline_kernelINS0_14default_configENS1_25partition_config_selectorILNS1_17partition_subalgoE1EtNS0_10empty_typeEbEEZZNS1_14partition_implILS5_1ELb0ES3_jN6thrust23THRUST_200600_302600_NS6detail15normal_iteratorINSA_10device_ptrItEEEEPS6_NSA_18transform_iteratorI7is_evenItESF_NSA_11use_defaultESK_EENS0_5tupleIJSF_NSA_16discard_iteratorISK_EEEEENSM_IJSG_SG_EEES6_PlJS6_EEE10hipError_tPvRmT3_T4_T5_T6_T7_T9_mT8_P12ihipStream_tbDpT10_ENKUlT_T0_E_clISt17integral_constantIbLb0EES1A_IbLb1EEEEDaS16_S17_EUlS16_E_NS1_11comp_targetILNS1_3genE5ELNS1_11target_archE942ELNS1_3gpuE9ELNS1_3repE0EEENS1_30default_config_static_selectorELNS0_4arch9wavefront6targetE1EEEvT1_,"axG",@progbits,_ZN7rocprim17ROCPRIM_400000_NS6detail17trampoline_kernelINS0_14default_configENS1_25partition_config_selectorILNS1_17partition_subalgoE1EtNS0_10empty_typeEbEEZZNS1_14partition_implILS5_1ELb0ES3_jN6thrust23THRUST_200600_302600_NS6detail15normal_iteratorINSA_10device_ptrItEEEEPS6_NSA_18transform_iteratorI7is_evenItESF_NSA_11use_defaultESK_EENS0_5tupleIJSF_NSA_16discard_iteratorISK_EEEEENSM_IJSG_SG_EEES6_PlJS6_EEE10hipError_tPvRmT3_T4_T5_T6_T7_T9_mT8_P12ihipStream_tbDpT10_ENKUlT_T0_E_clISt17integral_constantIbLb0EES1A_IbLb1EEEEDaS16_S17_EUlS16_E_NS1_11comp_targetILNS1_3genE5ELNS1_11target_archE942ELNS1_3gpuE9ELNS1_3repE0EEENS1_30default_config_static_selectorELNS0_4arch9wavefront6targetE1EEEvT1_,comdat
.Lfunc_end3124:
	.size	_ZN7rocprim17ROCPRIM_400000_NS6detail17trampoline_kernelINS0_14default_configENS1_25partition_config_selectorILNS1_17partition_subalgoE1EtNS0_10empty_typeEbEEZZNS1_14partition_implILS5_1ELb0ES3_jN6thrust23THRUST_200600_302600_NS6detail15normal_iteratorINSA_10device_ptrItEEEEPS6_NSA_18transform_iteratorI7is_evenItESF_NSA_11use_defaultESK_EENS0_5tupleIJSF_NSA_16discard_iteratorISK_EEEEENSM_IJSG_SG_EEES6_PlJS6_EEE10hipError_tPvRmT3_T4_T5_T6_T7_T9_mT8_P12ihipStream_tbDpT10_ENKUlT_T0_E_clISt17integral_constantIbLb0EES1A_IbLb1EEEEDaS16_S17_EUlS16_E_NS1_11comp_targetILNS1_3genE5ELNS1_11target_archE942ELNS1_3gpuE9ELNS1_3repE0EEENS1_30default_config_static_selectorELNS0_4arch9wavefront6targetE1EEEvT1_, .Lfunc_end3124-_ZN7rocprim17ROCPRIM_400000_NS6detail17trampoline_kernelINS0_14default_configENS1_25partition_config_selectorILNS1_17partition_subalgoE1EtNS0_10empty_typeEbEEZZNS1_14partition_implILS5_1ELb0ES3_jN6thrust23THRUST_200600_302600_NS6detail15normal_iteratorINSA_10device_ptrItEEEEPS6_NSA_18transform_iteratorI7is_evenItESF_NSA_11use_defaultESK_EENS0_5tupleIJSF_NSA_16discard_iteratorISK_EEEEENSM_IJSG_SG_EEES6_PlJS6_EEE10hipError_tPvRmT3_T4_T5_T6_T7_T9_mT8_P12ihipStream_tbDpT10_ENKUlT_T0_E_clISt17integral_constantIbLb0EES1A_IbLb1EEEEDaS16_S17_EUlS16_E_NS1_11comp_targetILNS1_3genE5ELNS1_11target_archE942ELNS1_3gpuE9ELNS1_3repE0EEENS1_30default_config_static_selectorELNS0_4arch9wavefront6targetE1EEEvT1_
                                        ; -- End function
	.section	.AMDGPU.csdata,"",@progbits
; Kernel info:
; codeLenInByte = 12452
; NumSgprs: 46
; NumVgprs: 81
; NumAgprs: 0
; TotalNumVgprs: 81
; ScratchSize: 0
; MemoryBound: 0
; FloatMode: 240
; IeeeMode: 1
; LDSByteSize: 28680 bytes/workgroup (compile time only)
; SGPRBlocks: 5
; VGPRBlocks: 10
; NumSGPRsForWavesPerEU: 46
; NumVGPRsForWavesPerEU: 81
; AccumOffset: 84
; Occupancy: 4
; WaveLimiterHint : 1
; COMPUTE_PGM_RSRC2:SCRATCH_EN: 0
; COMPUTE_PGM_RSRC2:USER_SGPR: 2
; COMPUTE_PGM_RSRC2:TRAP_HANDLER: 0
; COMPUTE_PGM_RSRC2:TGID_X_EN: 1
; COMPUTE_PGM_RSRC2:TGID_Y_EN: 0
; COMPUTE_PGM_RSRC2:TGID_Z_EN: 0
; COMPUTE_PGM_RSRC2:TIDIG_COMP_CNT: 0
; COMPUTE_PGM_RSRC3_GFX90A:ACCUM_OFFSET: 20
; COMPUTE_PGM_RSRC3_GFX90A:TG_SPLIT: 0
	.section	.text._ZN7rocprim17ROCPRIM_400000_NS6detail17trampoline_kernelINS0_14default_configENS1_25partition_config_selectorILNS1_17partition_subalgoE1EtNS0_10empty_typeEbEEZZNS1_14partition_implILS5_1ELb0ES3_jN6thrust23THRUST_200600_302600_NS6detail15normal_iteratorINSA_10device_ptrItEEEEPS6_NSA_18transform_iteratorI7is_evenItESF_NSA_11use_defaultESK_EENS0_5tupleIJSF_NSA_16discard_iteratorISK_EEEEENSM_IJSG_SG_EEES6_PlJS6_EEE10hipError_tPvRmT3_T4_T5_T6_T7_T9_mT8_P12ihipStream_tbDpT10_ENKUlT_T0_E_clISt17integral_constantIbLb0EES1A_IbLb1EEEEDaS16_S17_EUlS16_E_NS1_11comp_targetILNS1_3genE4ELNS1_11target_archE910ELNS1_3gpuE8ELNS1_3repE0EEENS1_30default_config_static_selectorELNS0_4arch9wavefront6targetE1EEEvT1_,"axG",@progbits,_ZN7rocprim17ROCPRIM_400000_NS6detail17trampoline_kernelINS0_14default_configENS1_25partition_config_selectorILNS1_17partition_subalgoE1EtNS0_10empty_typeEbEEZZNS1_14partition_implILS5_1ELb0ES3_jN6thrust23THRUST_200600_302600_NS6detail15normal_iteratorINSA_10device_ptrItEEEEPS6_NSA_18transform_iteratorI7is_evenItESF_NSA_11use_defaultESK_EENS0_5tupleIJSF_NSA_16discard_iteratorISK_EEEEENSM_IJSG_SG_EEES6_PlJS6_EEE10hipError_tPvRmT3_T4_T5_T6_T7_T9_mT8_P12ihipStream_tbDpT10_ENKUlT_T0_E_clISt17integral_constantIbLb0EES1A_IbLb1EEEEDaS16_S17_EUlS16_E_NS1_11comp_targetILNS1_3genE4ELNS1_11target_archE910ELNS1_3gpuE8ELNS1_3repE0EEENS1_30default_config_static_selectorELNS0_4arch9wavefront6targetE1EEEvT1_,comdat
	.protected	_ZN7rocprim17ROCPRIM_400000_NS6detail17trampoline_kernelINS0_14default_configENS1_25partition_config_selectorILNS1_17partition_subalgoE1EtNS0_10empty_typeEbEEZZNS1_14partition_implILS5_1ELb0ES3_jN6thrust23THRUST_200600_302600_NS6detail15normal_iteratorINSA_10device_ptrItEEEEPS6_NSA_18transform_iteratorI7is_evenItESF_NSA_11use_defaultESK_EENS0_5tupleIJSF_NSA_16discard_iteratorISK_EEEEENSM_IJSG_SG_EEES6_PlJS6_EEE10hipError_tPvRmT3_T4_T5_T6_T7_T9_mT8_P12ihipStream_tbDpT10_ENKUlT_T0_E_clISt17integral_constantIbLb0EES1A_IbLb1EEEEDaS16_S17_EUlS16_E_NS1_11comp_targetILNS1_3genE4ELNS1_11target_archE910ELNS1_3gpuE8ELNS1_3repE0EEENS1_30default_config_static_selectorELNS0_4arch9wavefront6targetE1EEEvT1_ ; -- Begin function _ZN7rocprim17ROCPRIM_400000_NS6detail17trampoline_kernelINS0_14default_configENS1_25partition_config_selectorILNS1_17partition_subalgoE1EtNS0_10empty_typeEbEEZZNS1_14partition_implILS5_1ELb0ES3_jN6thrust23THRUST_200600_302600_NS6detail15normal_iteratorINSA_10device_ptrItEEEEPS6_NSA_18transform_iteratorI7is_evenItESF_NSA_11use_defaultESK_EENS0_5tupleIJSF_NSA_16discard_iteratorISK_EEEEENSM_IJSG_SG_EEES6_PlJS6_EEE10hipError_tPvRmT3_T4_T5_T6_T7_T9_mT8_P12ihipStream_tbDpT10_ENKUlT_T0_E_clISt17integral_constantIbLb0EES1A_IbLb1EEEEDaS16_S17_EUlS16_E_NS1_11comp_targetILNS1_3genE4ELNS1_11target_archE910ELNS1_3gpuE8ELNS1_3repE0EEENS1_30default_config_static_selectorELNS0_4arch9wavefront6targetE1EEEvT1_
	.globl	_ZN7rocprim17ROCPRIM_400000_NS6detail17trampoline_kernelINS0_14default_configENS1_25partition_config_selectorILNS1_17partition_subalgoE1EtNS0_10empty_typeEbEEZZNS1_14partition_implILS5_1ELb0ES3_jN6thrust23THRUST_200600_302600_NS6detail15normal_iteratorINSA_10device_ptrItEEEEPS6_NSA_18transform_iteratorI7is_evenItESF_NSA_11use_defaultESK_EENS0_5tupleIJSF_NSA_16discard_iteratorISK_EEEEENSM_IJSG_SG_EEES6_PlJS6_EEE10hipError_tPvRmT3_T4_T5_T6_T7_T9_mT8_P12ihipStream_tbDpT10_ENKUlT_T0_E_clISt17integral_constantIbLb0EES1A_IbLb1EEEEDaS16_S17_EUlS16_E_NS1_11comp_targetILNS1_3genE4ELNS1_11target_archE910ELNS1_3gpuE8ELNS1_3repE0EEENS1_30default_config_static_selectorELNS0_4arch9wavefront6targetE1EEEvT1_
	.p2align	8
	.type	_ZN7rocprim17ROCPRIM_400000_NS6detail17trampoline_kernelINS0_14default_configENS1_25partition_config_selectorILNS1_17partition_subalgoE1EtNS0_10empty_typeEbEEZZNS1_14partition_implILS5_1ELb0ES3_jN6thrust23THRUST_200600_302600_NS6detail15normal_iteratorINSA_10device_ptrItEEEEPS6_NSA_18transform_iteratorI7is_evenItESF_NSA_11use_defaultESK_EENS0_5tupleIJSF_NSA_16discard_iteratorISK_EEEEENSM_IJSG_SG_EEES6_PlJS6_EEE10hipError_tPvRmT3_T4_T5_T6_T7_T9_mT8_P12ihipStream_tbDpT10_ENKUlT_T0_E_clISt17integral_constantIbLb0EES1A_IbLb1EEEEDaS16_S17_EUlS16_E_NS1_11comp_targetILNS1_3genE4ELNS1_11target_archE910ELNS1_3gpuE8ELNS1_3repE0EEENS1_30default_config_static_selectorELNS0_4arch9wavefront6targetE1EEEvT1_,@function
_ZN7rocprim17ROCPRIM_400000_NS6detail17trampoline_kernelINS0_14default_configENS1_25partition_config_selectorILNS1_17partition_subalgoE1EtNS0_10empty_typeEbEEZZNS1_14partition_implILS5_1ELb0ES3_jN6thrust23THRUST_200600_302600_NS6detail15normal_iteratorINSA_10device_ptrItEEEEPS6_NSA_18transform_iteratorI7is_evenItESF_NSA_11use_defaultESK_EENS0_5tupleIJSF_NSA_16discard_iteratorISK_EEEEENSM_IJSG_SG_EEES6_PlJS6_EEE10hipError_tPvRmT3_T4_T5_T6_T7_T9_mT8_P12ihipStream_tbDpT10_ENKUlT_T0_E_clISt17integral_constantIbLb0EES1A_IbLb1EEEEDaS16_S17_EUlS16_E_NS1_11comp_targetILNS1_3genE4ELNS1_11target_archE910ELNS1_3gpuE8ELNS1_3repE0EEENS1_30default_config_static_selectorELNS0_4arch9wavefront6targetE1EEEvT1_: ; @_ZN7rocprim17ROCPRIM_400000_NS6detail17trampoline_kernelINS0_14default_configENS1_25partition_config_selectorILNS1_17partition_subalgoE1EtNS0_10empty_typeEbEEZZNS1_14partition_implILS5_1ELb0ES3_jN6thrust23THRUST_200600_302600_NS6detail15normal_iteratorINSA_10device_ptrItEEEEPS6_NSA_18transform_iteratorI7is_evenItESF_NSA_11use_defaultESK_EENS0_5tupleIJSF_NSA_16discard_iteratorISK_EEEEENSM_IJSG_SG_EEES6_PlJS6_EEE10hipError_tPvRmT3_T4_T5_T6_T7_T9_mT8_P12ihipStream_tbDpT10_ENKUlT_T0_E_clISt17integral_constantIbLb0EES1A_IbLb1EEEEDaS16_S17_EUlS16_E_NS1_11comp_targetILNS1_3genE4ELNS1_11target_archE910ELNS1_3gpuE8ELNS1_3repE0EEENS1_30default_config_static_selectorELNS0_4arch9wavefront6targetE1EEEvT1_
; %bb.0:
	.section	.rodata,"a",@progbits
	.p2align	6, 0x0
	.amdhsa_kernel _ZN7rocprim17ROCPRIM_400000_NS6detail17trampoline_kernelINS0_14default_configENS1_25partition_config_selectorILNS1_17partition_subalgoE1EtNS0_10empty_typeEbEEZZNS1_14partition_implILS5_1ELb0ES3_jN6thrust23THRUST_200600_302600_NS6detail15normal_iteratorINSA_10device_ptrItEEEEPS6_NSA_18transform_iteratorI7is_evenItESF_NSA_11use_defaultESK_EENS0_5tupleIJSF_NSA_16discard_iteratorISK_EEEEENSM_IJSG_SG_EEES6_PlJS6_EEE10hipError_tPvRmT3_T4_T5_T6_T7_T9_mT8_P12ihipStream_tbDpT10_ENKUlT_T0_E_clISt17integral_constantIbLb0EES1A_IbLb1EEEEDaS16_S17_EUlS16_E_NS1_11comp_targetILNS1_3genE4ELNS1_11target_archE910ELNS1_3gpuE8ELNS1_3repE0EEENS1_30default_config_static_selectorELNS0_4arch9wavefront6targetE1EEEvT1_
		.amdhsa_group_segment_fixed_size 0
		.amdhsa_private_segment_fixed_size 0
		.amdhsa_kernarg_size 152
		.amdhsa_user_sgpr_count 2
		.amdhsa_user_sgpr_dispatch_ptr 0
		.amdhsa_user_sgpr_queue_ptr 0
		.amdhsa_user_sgpr_kernarg_segment_ptr 1
		.amdhsa_user_sgpr_dispatch_id 0
		.amdhsa_user_sgpr_kernarg_preload_length 0
		.amdhsa_user_sgpr_kernarg_preload_offset 0
		.amdhsa_user_sgpr_private_segment_size 0
		.amdhsa_uses_dynamic_stack 0
		.amdhsa_enable_private_segment 0
		.amdhsa_system_sgpr_workgroup_id_x 1
		.amdhsa_system_sgpr_workgroup_id_y 0
		.amdhsa_system_sgpr_workgroup_id_z 0
		.amdhsa_system_sgpr_workgroup_info 0
		.amdhsa_system_vgpr_workitem_id 0
		.amdhsa_next_free_vgpr 1
		.amdhsa_next_free_sgpr 0
		.amdhsa_accum_offset 4
		.amdhsa_reserve_vcc 0
		.amdhsa_float_round_mode_32 0
		.amdhsa_float_round_mode_16_64 0
		.amdhsa_float_denorm_mode_32 3
		.amdhsa_float_denorm_mode_16_64 3
		.amdhsa_dx10_clamp 1
		.amdhsa_ieee_mode 1
		.amdhsa_fp16_overflow 0
		.amdhsa_tg_split 0
		.amdhsa_exception_fp_ieee_invalid_op 0
		.amdhsa_exception_fp_denorm_src 0
		.amdhsa_exception_fp_ieee_div_zero 0
		.amdhsa_exception_fp_ieee_overflow 0
		.amdhsa_exception_fp_ieee_underflow 0
		.amdhsa_exception_fp_ieee_inexact 0
		.amdhsa_exception_int_div_zero 0
	.end_amdhsa_kernel
	.section	.text._ZN7rocprim17ROCPRIM_400000_NS6detail17trampoline_kernelINS0_14default_configENS1_25partition_config_selectorILNS1_17partition_subalgoE1EtNS0_10empty_typeEbEEZZNS1_14partition_implILS5_1ELb0ES3_jN6thrust23THRUST_200600_302600_NS6detail15normal_iteratorINSA_10device_ptrItEEEEPS6_NSA_18transform_iteratorI7is_evenItESF_NSA_11use_defaultESK_EENS0_5tupleIJSF_NSA_16discard_iteratorISK_EEEEENSM_IJSG_SG_EEES6_PlJS6_EEE10hipError_tPvRmT3_T4_T5_T6_T7_T9_mT8_P12ihipStream_tbDpT10_ENKUlT_T0_E_clISt17integral_constantIbLb0EES1A_IbLb1EEEEDaS16_S17_EUlS16_E_NS1_11comp_targetILNS1_3genE4ELNS1_11target_archE910ELNS1_3gpuE8ELNS1_3repE0EEENS1_30default_config_static_selectorELNS0_4arch9wavefront6targetE1EEEvT1_,"axG",@progbits,_ZN7rocprim17ROCPRIM_400000_NS6detail17trampoline_kernelINS0_14default_configENS1_25partition_config_selectorILNS1_17partition_subalgoE1EtNS0_10empty_typeEbEEZZNS1_14partition_implILS5_1ELb0ES3_jN6thrust23THRUST_200600_302600_NS6detail15normal_iteratorINSA_10device_ptrItEEEEPS6_NSA_18transform_iteratorI7is_evenItESF_NSA_11use_defaultESK_EENS0_5tupleIJSF_NSA_16discard_iteratorISK_EEEEENSM_IJSG_SG_EEES6_PlJS6_EEE10hipError_tPvRmT3_T4_T5_T6_T7_T9_mT8_P12ihipStream_tbDpT10_ENKUlT_T0_E_clISt17integral_constantIbLb0EES1A_IbLb1EEEEDaS16_S17_EUlS16_E_NS1_11comp_targetILNS1_3genE4ELNS1_11target_archE910ELNS1_3gpuE8ELNS1_3repE0EEENS1_30default_config_static_selectorELNS0_4arch9wavefront6targetE1EEEvT1_,comdat
.Lfunc_end3125:
	.size	_ZN7rocprim17ROCPRIM_400000_NS6detail17trampoline_kernelINS0_14default_configENS1_25partition_config_selectorILNS1_17partition_subalgoE1EtNS0_10empty_typeEbEEZZNS1_14partition_implILS5_1ELb0ES3_jN6thrust23THRUST_200600_302600_NS6detail15normal_iteratorINSA_10device_ptrItEEEEPS6_NSA_18transform_iteratorI7is_evenItESF_NSA_11use_defaultESK_EENS0_5tupleIJSF_NSA_16discard_iteratorISK_EEEEENSM_IJSG_SG_EEES6_PlJS6_EEE10hipError_tPvRmT3_T4_T5_T6_T7_T9_mT8_P12ihipStream_tbDpT10_ENKUlT_T0_E_clISt17integral_constantIbLb0EES1A_IbLb1EEEEDaS16_S17_EUlS16_E_NS1_11comp_targetILNS1_3genE4ELNS1_11target_archE910ELNS1_3gpuE8ELNS1_3repE0EEENS1_30default_config_static_selectorELNS0_4arch9wavefront6targetE1EEEvT1_, .Lfunc_end3125-_ZN7rocprim17ROCPRIM_400000_NS6detail17trampoline_kernelINS0_14default_configENS1_25partition_config_selectorILNS1_17partition_subalgoE1EtNS0_10empty_typeEbEEZZNS1_14partition_implILS5_1ELb0ES3_jN6thrust23THRUST_200600_302600_NS6detail15normal_iteratorINSA_10device_ptrItEEEEPS6_NSA_18transform_iteratorI7is_evenItESF_NSA_11use_defaultESK_EENS0_5tupleIJSF_NSA_16discard_iteratorISK_EEEEENSM_IJSG_SG_EEES6_PlJS6_EEE10hipError_tPvRmT3_T4_T5_T6_T7_T9_mT8_P12ihipStream_tbDpT10_ENKUlT_T0_E_clISt17integral_constantIbLb0EES1A_IbLb1EEEEDaS16_S17_EUlS16_E_NS1_11comp_targetILNS1_3genE4ELNS1_11target_archE910ELNS1_3gpuE8ELNS1_3repE0EEENS1_30default_config_static_selectorELNS0_4arch9wavefront6targetE1EEEvT1_
                                        ; -- End function
	.section	.AMDGPU.csdata,"",@progbits
; Kernel info:
; codeLenInByte = 0
; NumSgprs: 6
; NumVgprs: 0
; NumAgprs: 0
; TotalNumVgprs: 0
; ScratchSize: 0
; MemoryBound: 0
; FloatMode: 240
; IeeeMode: 1
; LDSByteSize: 0 bytes/workgroup (compile time only)
; SGPRBlocks: 0
; VGPRBlocks: 0
; NumSGPRsForWavesPerEU: 6
; NumVGPRsForWavesPerEU: 1
; AccumOffset: 4
; Occupancy: 8
; WaveLimiterHint : 0
; COMPUTE_PGM_RSRC2:SCRATCH_EN: 0
; COMPUTE_PGM_RSRC2:USER_SGPR: 2
; COMPUTE_PGM_RSRC2:TRAP_HANDLER: 0
; COMPUTE_PGM_RSRC2:TGID_X_EN: 1
; COMPUTE_PGM_RSRC2:TGID_Y_EN: 0
; COMPUTE_PGM_RSRC2:TGID_Z_EN: 0
; COMPUTE_PGM_RSRC2:TIDIG_COMP_CNT: 0
; COMPUTE_PGM_RSRC3_GFX90A:ACCUM_OFFSET: 0
; COMPUTE_PGM_RSRC3_GFX90A:TG_SPLIT: 0
	.section	.text._ZN7rocprim17ROCPRIM_400000_NS6detail17trampoline_kernelINS0_14default_configENS1_25partition_config_selectorILNS1_17partition_subalgoE1EtNS0_10empty_typeEbEEZZNS1_14partition_implILS5_1ELb0ES3_jN6thrust23THRUST_200600_302600_NS6detail15normal_iteratorINSA_10device_ptrItEEEEPS6_NSA_18transform_iteratorI7is_evenItESF_NSA_11use_defaultESK_EENS0_5tupleIJSF_NSA_16discard_iteratorISK_EEEEENSM_IJSG_SG_EEES6_PlJS6_EEE10hipError_tPvRmT3_T4_T5_T6_T7_T9_mT8_P12ihipStream_tbDpT10_ENKUlT_T0_E_clISt17integral_constantIbLb0EES1A_IbLb1EEEEDaS16_S17_EUlS16_E_NS1_11comp_targetILNS1_3genE3ELNS1_11target_archE908ELNS1_3gpuE7ELNS1_3repE0EEENS1_30default_config_static_selectorELNS0_4arch9wavefront6targetE1EEEvT1_,"axG",@progbits,_ZN7rocprim17ROCPRIM_400000_NS6detail17trampoline_kernelINS0_14default_configENS1_25partition_config_selectorILNS1_17partition_subalgoE1EtNS0_10empty_typeEbEEZZNS1_14partition_implILS5_1ELb0ES3_jN6thrust23THRUST_200600_302600_NS6detail15normal_iteratorINSA_10device_ptrItEEEEPS6_NSA_18transform_iteratorI7is_evenItESF_NSA_11use_defaultESK_EENS0_5tupleIJSF_NSA_16discard_iteratorISK_EEEEENSM_IJSG_SG_EEES6_PlJS6_EEE10hipError_tPvRmT3_T4_T5_T6_T7_T9_mT8_P12ihipStream_tbDpT10_ENKUlT_T0_E_clISt17integral_constantIbLb0EES1A_IbLb1EEEEDaS16_S17_EUlS16_E_NS1_11comp_targetILNS1_3genE3ELNS1_11target_archE908ELNS1_3gpuE7ELNS1_3repE0EEENS1_30default_config_static_selectorELNS0_4arch9wavefront6targetE1EEEvT1_,comdat
	.protected	_ZN7rocprim17ROCPRIM_400000_NS6detail17trampoline_kernelINS0_14default_configENS1_25partition_config_selectorILNS1_17partition_subalgoE1EtNS0_10empty_typeEbEEZZNS1_14partition_implILS5_1ELb0ES3_jN6thrust23THRUST_200600_302600_NS6detail15normal_iteratorINSA_10device_ptrItEEEEPS6_NSA_18transform_iteratorI7is_evenItESF_NSA_11use_defaultESK_EENS0_5tupleIJSF_NSA_16discard_iteratorISK_EEEEENSM_IJSG_SG_EEES6_PlJS6_EEE10hipError_tPvRmT3_T4_T5_T6_T7_T9_mT8_P12ihipStream_tbDpT10_ENKUlT_T0_E_clISt17integral_constantIbLb0EES1A_IbLb1EEEEDaS16_S17_EUlS16_E_NS1_11comp_targetILNS1_3genE3ELNS1_11target_archE908ELNS1_3gpuE7ELNS1_3repE0EEENS1_30default_config_static_selectorELNS0_4arch9wavefront6targetE1EEEvT1_ ; -- Begin function _ZN7rocprim17ROCPRIM_400000_NS6detail17trampoline_kernelINS0_14default_configENS1_25partition_config_selectorILNS1_17partition_subalgoE1EtNS0_10empty_typeEbEEZZNS1_14partition_implILS5_1ELb0ES3_jN6thrust23THRUST_200600_302600_NS6detail15normal_iteratorINSA_10device_ptrItEEEEPS6_NSA_18transform_iteratorI7is_evenItESF_NSA_11use_defaultESK_EENS0_5tupleIJSF_NSA_16discard_iteratorISK_EEEEENSM_IJSG_SG_EEES6_PlJS6_EEE10hipError_tPvRmT3_T4_T5_T6_T7_T9_mT8_P12ihipStream_tbDpT10_ENKUlT_T0_E_clISt17integral_constantIbLb0EES1A_IbLb1EEEEDaS16_S17_EUlS16_E_NS1_11comp_targetILNS1_3genE3ELNS1_11target_archE908ELNS1_3gpuE7ELNS1_3repE0EEENS1_30default_config_static_selectorELNS0_4arch9wavefront6targetE1EEEvT1_
	.globl	_ZN7rocprim17ROCPRIM_400000_NS6detail17trampoline_kernelINS0_14default_configENS1_25partition_config_selectorILNS1_17partition_subalgoE1EtNS0_10empty_typeEbEEZZNS1_14partition_implILS5_1ELb0ES3_jN6thrust23THRUST_200600_302600_NS6detail15normal_iteratorINSA_10device_ptrItEEEEPS6_NSA_18transform_iteratorI7is_evenItESF_NSA_11use_defaultESK_EENS0_5tupleIJSF_NSA_16discard_iteratorISK_EEEEENSM_IJSG_SG_EEES6_PlJS6_EEE10hipError_tPvRmT3_T4_T5_T6_T7_T9_mT8_P12ihipStream_tbDpT10_ENKUlT_T0_E_clISt17integral_constantIbLb0EES1A_IbLb1EEEEDaS16_S17_EUlS16_E_NS1_11comp_targetILNS1_3genE3ELNS1_11target_archE908ELNS1_3gpuE7ELNS1_3repE0EEENS1_30default_config_static_selectorELNS0_4arch9wavefront6targetE1EEEvT1_
	.p2align	8
	.type	_ZN7rocprim17ROCPRIM_400000_NS6detail17trampoline_kernelINS0_14default_configENS1_25partition_config_selectorILNS1_17partition_subalgoE1EtNS0_10empty_typeEbEEZZNS1_14partition_implILS5_1ELb0ES3_jN6thrust23THRUST_200600_302600_NS6detail15normal_iteratorINSA_10device_ptrItEEEEPS6_NSA_18transform_iteratorI7is_evenItESF_NSA_11use_defaultESK_EENS0_5tupleIJSF_NSA_16discard_iteratorISK_EEEEENSM_IJSG_SG_EEES6_PlJS6_EEE10hipError_tPvRmT3_T4_T5_T6_T7_T9_mT8_P12ihipStream_tbDpT10_ENKUlT_T0_E_clISt17integral_constantIbLb0EES1A_IbLb1EEEEDaS16_S17_EUlS16_E_NS1_11comp_targetILNS1_3genE3ELNS1_11target_archE908ELNS1_3gpuE7ELNS1_3repE0EEENS1_30default_config_static_selectorELNS0_4arch9wavefront6targetE1EEEvT1_,@function
_ZN7rocprim17ROCPRIM_400000_NS6detail17trampoline_kernelINS0_14default_configENS1_25partition_config_selectorILNS1_17partition_subalgoE1EtNS0_10empty_typeEbEEZZNS1_14partition_implILS5_1ELb0ES3_jN6thrust23THRUST_200600_302600_NS6detail15normal_iteratorINSA_10device_ptrItEEEEPS6_NSA_18transform_iteratorI7is_evenItESF_NSA_11use_defaultESK_EENS0_5tupleIJSF_NSA_16discard_iteratorISK_EEEEENSM_IJSG_SG_EEES6_PlJS6_EEE10hipError_tPvRmT3_T4_T5_T6_T7_T9_mT8_P12ihipStream_tbDpT10_ENKUlT_T0_E_clISt17integral_constantIbLb0EES1A_IbLb1EEEEDaS16_S17_EUlS16_E_NS1_11comp_targetILNS1_3genE3ELNS1_11target_archE908ELNS1_3gpuE7ELNS1_3repE0EEENS1_30default_config_static_selectorELNS0_4arch9wavefront6targetE1EEEvT1_: ; @_ZN7rocprim17ROCPRIM_400000_NS6detail17trampoline_kernelINS0_14default_configENS1_25partition_config_selectorILNS1_17partition_subalgoE1EtNS0_10empty_typeEbEEZZNS1_14partition_implILS5_1ELb0ES3_jN6thrust23THRUST_200600_302600_NS6detail15normal_iteratorINSA_10device_ptrItEEEEPS6_NSA_18transform_iteratorI7is_evenItESF_NSA_11use_defaultESK_EENS0_5tupleIJSF_NSA_16discard_iteratorISK_EEEEENSM_IJSG_SG_EEES6_PlJS6_EEE10hipError_tPvRmT3_T4_T5_T6_T7_T9_mT8_P12ihipStream_tbDpT10_ENKUlT_T0_E_clISt17integral_constantIbLb0EES1A_IbLb1EEEEDaS16_S17_EUlS16_E_NS1_11comp_targetILNS1_3genE3ELNS1_11target_archE908ELNS1_3gpuE7ELNS1_3repE0EEENS1_30default_config_static_selectorELNS0_4arch9wavefront6targetE1EEEvT1_
; %bb.0:
	.section	.rodata,"a",@progbits
	.p2align	6, 0x0
	.amdhsa_kernel _ZN7rocprim17ROCPRIM_400000_NS6detail17trampoline_kernelINS0_14default_configENS1_25partition_config_selectorILNS1_17partition_subalgoE1EtNS0_10empty_typeEbEEZZNS1_14partition_implILS5_1ELb0ES3_jN6thrust23THRUST_200600_302600_NS6detail15normal_iteratorINSA_10device_ptrItEEEEPS6_NSA_18transform_iteratorI7is_evenItESF_NSA_11use_defaultESK_EENS0_5tupleIJSF_NSA_16discard_iteratorISK_EEEEENSM_IJSG_SG_EEES6_PlJS6_EEE10hipError_tPvRmT3_T4_T5_T6_T7_T9_mT8_P12ihipStream_tbDpT10_ENKUlT_T0_E_clISt17integral_constantIbLb0EES1A_IbLb1EEEEDaS16_S17_EUlS16_E_NS1_11comp_targetILNS1_3genE3ELNS1_11target_archE908ELNS1_3gpuE7ELNS1_3repE0EEENS1_30default_config_static_selectorELNS0_4arch9wavefront6targetE1EEEvT1_
		.amdhsa_group_segment_fixed_size 0
		.amdhsa_private_segment_fixed_size 0
		.amdhsa_kernarg_size 152
		.amdhsa_user_sgpr_count 2
		.amdhsa_user_sgpr_dispatch_ptr 0
		.amdhsa_user_sgpr_queue_ptr 0
		.amdhsa_user_sgpr_kernarg_segment_ptr 1
		.amdhsa_user_sgpr_dispatch_id 0
		.amdhsa_user_sgpr_kernarg_preload_length 0
		.amdhsa_user_sgpr_kernarg_preload_offset 0
		.amdhsa_user_sgpr_private_segment_size 0
		.amdhsa_uses_dynamic_stack 0
		.amdhsa_enable_private_segment 0
		.amdhsa_system_sgpr_workgroup_id_x 1
		.amdhsa_system_sgpr_workgroup_id_y 0
		.amdhsa_system_sgpr_workgroup_id_z 0
		.amdhsa_system_sgpr_workgroup_info 0
		.amdhsa_system_vgpr_workitem_id 0
		.amdhsa_next_free_vgpr 1
		.amdhsa_next_free_sgpr 0
		.amdhsa_accum_offset 4
		.amdhsa_reserve_vcc 0
		.amdhsa_float_round_mode_32 0
		.amdhsa_float_round_mode_16_64 0
		.amdhsa_float_denorm_mode_32 3
		.amdhsa_float_denorm_mode_16_64 3
		.amdhsa_dx10_clamp 1
		.amdhsa_ieee_mode 1
		.amdhsa_fp16_overflow 0
		.amdhsa_tg_split 0
		.amdhsa_exception_fp_ieee_invalid_op 0
		.amdhsa_exception_fp_denorm_src 0
		.amdhsa_exception_fp_ieee_div_zero 0
		.amdhsa_exception_fp_ieee_overflow 0
		.amdhsa_exception_fp_ieee_underflow 0
		.amdhsa_exception_fp_ieee_inexact 0
		.amdhsa_exception_int_div_zero 0
	.end_amdhsa_kernel
	.section	.text._ZN7rocprim17ROCPRIM_400000_NS6detail17trampoline_kernelINS0_14default_configENS1_25partition_config_selectorILNS1_17partition_subalgoE1EtNS0_10empty_typeEbEEZZNS1_14partition_implILS5_1ELb0ES3_jN6thrust23THRUST_200600_302600_NS6detail15normal_iteratorINSA_10device_ptrItEEEEPS6_NSA_18transform_iteratorI7is_evenItESF_NSA_11use_defaultESK_EENS0_5tupleIJSF_NSA_16discard_iteratorISK_EEEEENSM_IJSG_SG_EEES6_PlJS6_EEE10hipError_tPvRmT3_T4_T5_T6_T7_T9_mT8_P12ihipStream_tbDpT10_ENKUlT_T0_E_clISt17integral_constantIbLb0EES1A_IbLb1EEEEDaS16_S17_EUlS16_E_NS1_11comp_targetILNS1_3genE3ELNS1_11target_archE908ELNS1_3gpuE7ELNS1_3repE0EEENS1_30default_config_static_selectorELNS0_4arch9wavefront6targetE1EEEvT1_,"axG",@progbits,_ZN7rocprim17ROCPRIM_400000_NS6detail17trampoline_kernelINS0_14default_configENS1_25partition_config_selectorILNS1_17partition_subalgoE1EtNS0_10empty_typeEbEEZZNS1_14partition_implILS5_1ELb0ES3_jN6thrust23THRUST_200600_302600_NS6detail15normal_iteratorINSA_10device_ptrItEEEEPS6_NSA_18transform_iteratorI7is_evenItESF_NSA_11use_defaultESK_EENS0_5tupleIJSF_NSA_16discard_iteratorISK_EEEEENSM_IJSG_SG_EEES6_PlJS6_EEE10hipError_tPvRmT3_T4_T5_T6_T7_T9_mT8_P12ihipStream_tbDpT10_ENKUlT_T0_E_clISt17integral_constantIbLb0EES1A_IbLb1EEEEDaS16_S17_EUlS16_E_NS1_11comp_targetILNS1_3genE3ELNS1_11target_archE908ELNS1_3gpuE7ELNS1_3repE0EEENS1_30default_config_static_selectorELNS0_4arch9wavefront6targetE1EEEvT1_,comdat
.Lfunc_end3126:
	.size	_ZN7rocprim17ROCPRIM_400000_NS6detail17trampoline_kernelINS0_14default_configENS1_25partition_config_selectorILNS1_17partition_subalgoE1EtNS0_10empty_typeEbEEZZNS1_14partition_implILS5_1ELb0ES3_jN6thrust23THRUST_200600_302600_NS6detail15normal_iteratorINSA_10device_ptrItEEEEPS6_NSA_18transform_iteratorI7is_evenItESF_NSA_11use_defaultESK_EENS0_5tupleIJSF_NSA_16discard_iteratorISK_EEEEENSM_IJSG_SG_EEES6_PlJS6_EEE10hipError_tPvRmT3_T4_T5_T6_T7_T9_mT8_P12ihipStream_tbDpT10_ENKUlT_T0_E_clISt17integral_constantIbLb0EES1A_IbLb1EEEEDaS16_S17_EUlS16_E_NS1_11comp_targetILNS1_3genE3ELNS1_11target_archE908ELNS1_3gpuE7ELNS1_3repE0EEENS1_30default_config_static_selectorELNS0_4arch9wavefront6targetE1EEEvT1_, .Lfunc_end3126-_ZN7rocprim17ROCPRIM_400000_NS6detail17trampoline_kernelINS0_14default_configENS1_25partition_config_selectorILNS1_17partition_subalgoE1EtNS0_10empty_typeEbEEZZNS1_14partition_implILS5_1ELb0ES3_jN6thrust23THRUST_200600_302600_NS6detail15normal_iteratorINSA_10device_ptrItEEEEPS6_NSA_18transform_iteratorI7is_evenItESF_NSA_11use_defaultESK_EENS0_5tupleIJSF_NSA_16discard_iteratorISK_EEEEENSM_IJSG_SG_EEES6_PlJS6_EEE10hipError_tPvRmT3_T4_T5_T6_T7_T9_mT8_P12ihipStream_tbDpT10_ENKUlT_T0_E_clISt17integral_constantIbLb0EES1A_IbLb1EEEEDaS16_S17_EUlS16_E_NS1_11comp_targetILNS1_3genE3ELNS1_11target_archE908ELNS1_3gpuE7ELNS1_3repE0EEENS1_30default_config_static_selectorELNS0_4arch9wavefront6targetE1EEEvT1_
                                        ; -- End function
	.section	.AMDGPU.csdata,"",@progbits
; Kernel info:
; codeLenInByte = 0
; NumSgprs: 6
; NumVgprs: 0
; NumAgprs: 0
; TotalNumVgprs: 0
; ScratchSize: 0
; MemoryBound: 0
; FloatMode: 240
; IeeeMode: 1
; LDSByteSize: 0 bytes/workgroup (compile time only)
; SGPRBlocks: 0
; VGPRBlocks: 0
; NumSGPRsForWavesPerEU: 6
; NumVGPRsForWavesPerEU: 1
; AccumOffset: 4
; Occupancy: 8
; WaveLimiterHint : 0
; COMPUTE_PGM_RSRC2:SCRATCH_EN: 0
; COMPUTE_PGM_RSRC2:USER_SGPR: 2
; COMPUTE_PGM_RSRC2:TRAP_HANDLER: 0
; COMPUTE_PGM_RSRC2:TGID_X_EN: 1
; COMPUTE_PGM_RSRC2:TGID_Y_EN: 0
; COMPUTE_PGM_RSRC2:TGID_Z_EN: 0
; COMPUTE_PGM_RSRC2:TIDIG_COMP_CNT: 0
; COMPUTE_PGM_RSRC3_GFX90A:ACCUM_OFFSET: 0
; COMPUTE_PGM_RSRC3_GFX90A:TG_SPLIT: 0
	.section	.text._ZN7rocprim17ROCPRIM_400000_NS6detail17trampoline_kernelINS0_14default_configENS1_25partition_config_selectorILNS1_17partition_subalgoE1EtNS0_10empty_typeEbEEZZNS1_14partition_implILS5_1ELb0ES3_jN6thrust23THRUST_200600_302600_NS6detail15normal_iteratorINSA_10device_ptrItEEEEPS6_NSA_18transform_iteratorI7is_evenItESF_NSA_11use_defaultESK_EENS0_5tupleIJSF_NSA_16discard_iteratorISK_EEEEENSM_IJSG_SG_EEES6_PlJS6_EEE10hipError_tPvRmT3_T4_T5_T6_T7_T9_mT8_P12ihipStream_tbDpT10_ENKUlT_T0_E_clISt17integral_constantIbLb0EES1A_IbLb1EEEEDaS16_S17_EUlS16_E_NS1_11comp_targetILNS1_3genE2ELNS1_11target_archE906ELNS1_3gpuE6ELNS1_3repE0EEENS1_30default_config_static_selectorELNS0_4arch9wavefront6targetE1EEEvT1_,"axG",@progbits,_ZN7rocprim17ROCPRIM_400000_NS6detail17trampoline_kernelINS0_14default_configENS1_25partition_config_selectorILNS1_17partition_subalgoE1EtNS0_10empty_typeEbEEZZNS1_14partition_implILS5_1ELb0ES3_jN6thrust23THRUST_200600_302600_NS6detail15normal_iteratorINSA_10device_ptrItEEEEPS6_NSA_18transform_iteratorI7is_evenItESF_NSA_11use_defaultESK_EENS0_5tupleIJSF_NSA_16discard_iteratorISK_EEEEENSM_IJSG_SG_EEES6_PlJS6_EEE10hipError_tPvRmT3_T4_T5_T6_T7_T9_mT8_P12ihipStream_tbDpT10_ENKUlT_T0_E_clISt17integral_constantIbLb0EES1A_IbLb1EEEEDaS16_S17_EUlS16_E_NS1_11comp_targetILNS1_3genE2ELNS1_11target_archE906ELNS1_3gpuE6ELNS1_3repE0EEENS1_30default_config_static_selectorELNS0_4arch9wavefront6targetE1EEEvT1_,comdat
	.protected	_ZN7rocprim17ROCPRIM_400000_NS6detail17trampoline_kernelINS0_14default_configENS1_25partition_config_selectorILNS1_17partition_subalgoE1EtNS0_10empty_typeEbEEZZNS1_14partition_implILS5_1ELb0ES3_jN6thrust23THRUST_200600_302600_NS6detail15normal_iteratorINSA_10device_ptrItEEEEPS6_NSA_18transform_iteratorI7is_evenItESF_NSA_11use_defaultESK_EENS0_5tupleIJSF_NSA_16discard_iteratorISK_EEEEENSM_IJSG_SG_EEES6_PlJS6_EEE10hipError_tPvRmT3_T4_T5_T6_T7_T9_mT8_P12ihipStream_tbDpT10_ENKUlT_T0_E_clISt17integral_constantIbLb0EES1A_IbLb1EEEEDaS16_S17_EUlS16_E_NS1_11comp_targetILNS1_3genE2ELNS1_11target_archE906ELNS1_3gpuE6ELNS1_3repE0EEENS1_30default_config_static_selectorELNS0_4arch9wavefront6targetE1EEEvT1_ ; -- Begin function _ZN7rocprim17ROCPRIM_400000_NS6detail17trampoline_kernelINS0_14default_configENS1_25partition_config_selectorILNS1_17partition_subalgoE1EtNS0_10empty_typeEbEEZZNS1_14partition_implILS5_1ELb0ES3_jN6thrust23THRUST_200600_302600_NS6detail15normal_iteratorINSA_10device_ptrItEEEEPS6_NSA_18transform_iteratorI7is_evenItESF_NSA_11use_defaultESK_EENS0_5tupleIJSF_NSA_16discard_iteratorISK_EEEEENSM_IJSG_SG_EEES6_PlJS6_EEE10hipError_tPvRmT3_T4_T5_T6_T7_T9_mT8_P12ihipStream_tbDpT10_ENKUlT_T0_E_clISt17integral_constantIbLb0EES1A_IbLb1EEEEDaS16_S17_EUlS16_E_NS1_11comp_targetILNS1_3genE2ELNS1_11target_archE906ELNS1_3gpuE6ELNS1_3repE0EEENS1_30default_config_static_selectorELNS0_4arch9wavefront6targetE1EEEvT1_
	.globl	_ZN7rocprim17ROCPRIM_400000_NS6detail17trampoline_kernelINS0_14default_configENS1_25partition_config_selectorILNS1_17partition_subalgoE1EtNS0_10empty_typeEbEEZZNS1_14partition_implILS5_1ELb0ES3_jN6thrust23THRUST_200600_302600_NS6detail15normal_iteratorINSA_10device_ptrItEEEEPS6_NSA_18transform_iteratorI7is_evenItESF_NSA_11use_defaultESK_EENS0_5tupleIJSF_NSA_16discard_iteratorISK_EEEEENSM_IJSG_SG_EEES6_PlJS6_EEE10hipError_tPvRmT3_T4_T5_T6_T7_T9_mT8_P12ihipStream_tbDpT10_ENKUlT_T0_E_clISt17integral_constantIbLb0EES1A_IbLb1EEEEDaS16_S17_EUlS16_E_NS1_11comp_targetILNS1_3genE2ELNS1_11target_archE906ELNS1_3gpuE6ELNS1_3repE0EEENS1_30default_config_static_selectorELNS0_4arch9wavefront6targetE1EEEvT1_
	.p2align	8
	.type	_ZN7rocprim17ROCPRIM_400000_NS6detail17trampoline_kernelINS0_14default_configENS1_25partition_config_selectorILNS1_17partition_subalgoE1EtNS0_10empty_typeEbEEZZNS1_14partition_implILS5_1ELb0ES3_jN6thrust23THRUST_200600_302600_NS6detail15normal_iteratorINSA_10device_ptrItEEEEPS6_NSA_18transform_iteratorI7is_evenItESF_NSA_11use_defaultESK_EENS0_5tupleIJSF_NSA_16discard_iteratorISK_EEEEENSM_IJSG_SG_EEES6_PlJS6_EEE10hipError_tPvRmT3_T4_T5_T6_T7_T9_mT8_P12ihipStream_tbDpT10_ENKUlT_T0_E_clISt17integral_constantIbLb0EES1A_IbLb1EEEEDaS16_S17_EUlS16_E_NS1_11comp_targetILNS1_3genE2ELNS1_11target_archE906ELNS1_3gpuE6ELNS1_3repE0EEENS1_30default_config_static_selectorELNS0_4arch9wavefront6targetE1EEEvT1_,@function
_ZN7rocprim17ROCPRIM_400000_NS6detail17trampoline_kernelINS0_14default_configENS1_25partition_config_selectorILNS1_17partition_subalgoE1EtNS0_10empty_typeEbEEZZNS1_14partition_implILS5_1ELb0ES3_jN6thrust23THRUST_200600_302600_NS6detail15normal_iteratorINSA_10device_ptrItEEEEPS6_NSA_18transform_iteratorI7is_evenItESF_NSA_11use_defaultESK_EENS0_5tupleIJSF_NSA_16discard_iteratorISK_EEEEENSM_IJSG_SG_EEES6_PlJS6_EEE10hipError_tPvRmT3_T4_T5_T6_T7_T9_mT8_P12ihipStream_tbDpT10_ENKUlT_T0_E_clISt17integral_constantIbLb0EES1A_IbLb1EEEEDaS16_S17_EUlS16_E_NS1_11comp_targetILNS1_3genE2ELNS1_11target_archE906ELNS1_3gpuE6ELNS1_3repE0EEENS1_30default_config_static_selectorELNS0_4arch9wavefront6targetE1EEEvT1_: ; @_ZN7rocprim17ROCPRIM_400000_NS6detail17trampoline_kernelINS0_14default_configENS1_25partition_config_selectorILNS1_17partition_subalgoE1EtNS0_10empty_typeEbEEZZNS1_14partition_implILS5_1ELb0ES3_jN6thrust23THRUST_200600_302600_NS6detail15normal_iteratorINSA_10device_ptrItEEEEPS6_NSA_18transform_iteratorI7is_evenItESF_NSA_11use_defaultESK_EENS0_5tupleIJSF_NSA_16discard_iteratorISK_EEEEENSM_IJSG_SG_EEES6_PlJS6_EEE10hipError_tPvRmT3_T4_T5_T6_T7_T9_mT8_P12ihipStream_tbDpT10_ENKUlT_T0_E_clISt17integral_constantIbLb0EES1A_IbLb1EEEEDaS16_S17_EUlS16_E_NS1_11comp_targetILNS1_3genE2ELNS1_11target_archE906ELNS1_3gpuE6ELNS1_3repE0EEENS1_30default_config_static_selectorELNS0_4arch9wavefront6targetE1EEEvT1_
; %bb.0:
	.section	.rodata,"a",@progbits
	.p2align	6, 0x0
	.amdhsa_kernel _ZN7rocprim17ROCPRIM_400000_NS6detail17trampoline_kernelINS0_14default_configENS1_25partition_config_selectorILNS1_17partition_subalgoE1EtNS0_10empty_typeEbEEZZNS1_14partition_implILS5_1ELb0ES3_jN6thrust23THRUST_200600_302600_NS6detail15normal_iteratorINSA_10device_ptrItEEEEPS6_NSA_18transform_iteratorI7is_evenItESF_NSA_11use_defaultESK_EENS0_5tupleIJSF_NSA_16discard_iteratorISK_EEEEENSM_IJSG_SG_EEES6_PlJS6_EEE10hipError_tPvRmT3_T4_T5_T6_T7_T9_mT8_P12ihipStream_tbDpT10_ENKUlT_T0_E_clISt17integral_constantIbLb0EES1A_IbLb1EEEEDaS16_S17_EUlS16_E_NS1_11comp_targetILNS1_3genE2ELNS1_11target_archE906ELNS1_3gpuE6ELNS1_3repE0EEENS1_30default_config_static_selectorELNS0_4arch9wavefront6targetE1EEEvT1_
		.amdhsa_group_segment_fixed_size 0
		.amdhsa_private_segment_fixed_size 0
		.amdhsa_kernarg_size 152
		.amdhsa_user_sgpr_count 2
		.amdhsa_user_sgpr_dispatch_ptr 0
		.amdhsa_user_sgpr_queue_ptr 0
		.amdhsa_user_sgpr_kernarg_segment_ptr 1
		.amdhsa_user_sgpr_dispatch_id 0
		.amdhsa_user_sgpr_kernarg_preload_length 0
		.amdhsa_user_sgpr_kernarg_preload_offset 0
		.amdhsa_user_sgpr_private_segment_size 0
		.amdhsa_uses_dynamic_stack 0
		.amdhsa_enable_private_segment 0
		.amdhsa_system_sgpr_workgroup_id_x 1
		.amdhsa_system_sgpr_workgroup_id_y 0
		.amdhsa_system_sgpr_workgroup_id_z 0
		.amdhsa_system_sgpr_workgroup_info 0
		.amdhsa_system_vgpr_workitem_id 0
		.amdhsa_next_free_vgpr 1
		.amdhsa_next_free_sgpr 0
		.amdhsa_accum_offset 4
		.amdhsa_reserve_vcc 0
		.amdhsa_float_round_mode_32 0
		.amdhsa_float_round_mode_16_64 0
		.amdhsa_float_denorm_mode_32 3
		.amdhsa_float_denorm_mode_16_64 3
		.amdhsa_dx10_clamp 1
		.amdhsa_ieee_mode 1
		.amdhsa_fp16_overflow 0
		.amdhsa_tg_split 0
		.amdhsa_exception_fp_ieee_invalid_op 0
		.amdhsa_exception_fp_denorm_src 0
		.amdhsa_exception_fp_ieee_div_zero 0
		.amdhsa_exception_fp_ieee_overflow 0
		.amdhsa_exception_fp_ieee_underflow 0
		.amdhsa_exception_fp_ieee_inexact 0
		.amdhsa_exception_int_div_zero 0
	.end_amdhsa_kernel
	.section	.text._ZN7rocprim17ROCPRIM_400000_NS6detail17trampoline_kernelINS0_14default_configENS1_25partition_config_selectorILNS1_17partition_subalgoE1EtNS0_10empty_typeEbEEZZNS1_14partition_implILS5_1ELb0ES3_jN6thrust23THRUST_200600_302600_NS6detail15normal_iteratorINSA_10device_ptrItEEEEPS6_NSA_18transform_iteratorI7is_evenItESF_NSA_11use_defaultESK_EENS0_5tupleIJSF_NSA_16discard_iteratorISK_EEEEENSM_IJSG_SG_EEES6_PlJS6_EEE10hipError_tPvRmT3_T4_T5_T6_T7_T9_mT8_P12ihipStream_tbDpT10_ENKUlT_T0_E_clISt17integral_constantIbLb0EES1A_IbLb1EEEEDaS16_S17_EUlS16_E_NS1_11comp_targetILNS1_3genE2ELNS1_11target_archE906ELNS1_3gpuE6ELNS1_3repE0EEENS1_30default_config_static_selectorELNS0_4arch9wavefront6targetE1EEEvT1_,"axG",@progbits,_ZN7rocprim17ROCPRIM_400000_NS6detail17trampoline_kernelINS0_14default_configENS1_25partition_config_selectorILNS1_17partition_subalgoE1EtNS0_10empty_typeEbEEZZNS1_14partition_implILS5_1ELb0ES3_jN6thrust23THRUST_200600_302600_NS6detail15normal_iteratorINSA_10device_ptrItEEEEPS6_NSA_18transform_iteratorI7is_evenItESF_NSA_11use_defaultESK_EENS0_5tupleIJSF_NSA_16discard_iteratorISK_EEEEENSM_IJSG_SG_EEES6_PlJS6_EEE10hipError_tPvRmT3_T4_T5_T6_T7_T9_mT8_P12ihipStream_tbDpT10_ENKUlT_T0_E_clISt17integral_constantIbLb0EES1A_IbLb1EEEEDaS16_S17_EUlS16_E_NS1_11comp_targetILNS1_3genE2ELNS1_11target_archE906ELNS1_3gpuE6ELNS1_3repE0EEENS1_30default_config_static_selectorELNS0_4arch9wavefront6targetE1EEEvT1_,comdat
.Lfunc_end3127:
	.size	_ZN7rocprim17ROCPRIM_400000_NS6detail17trampoline_kernelINS0_14default_configENS1_25partition_config_selectorILNS1_17partition_subalgoE1EtNS0_10empty_typeEbEEZZNS1_14partition_implILS5_1ELb0ES3_jN6thrust23THRUST_200600_302600_NS6detail15normal_iteratorINSA_10device_ptrItEEEEPS6_NSA_18transform_iteratorI7is_evenItESF_NSA_11use_defaultESK_EENS0_5tupleIJSF_NSA_16discard_iteratorISK_EEEEENSM_IJSG_SG_EEES6_PlJS6_EEE10hipError_tPvRmT3_T4_T5_T6_T7_T9_mT8_P12ihipStream_tbDpT10_ENKUlT_T0_E_clISt17integral_constantIbLb0EES1A_IbLb1EEEEDaS16_S17_EUlS16_E_NS1_11comp_targetILNS1_3genE2ELNS1_11target_archE906ELNS1_3gpuE6ELNS1_3repE0EEENS1_30default_config_static_selectorELNS0_4arch9wavefront6targetE1EEEvT1_, .Lfunc_end3127-_ZN7rocprim17ROCPRIM_400000_NS6detail17trampoline_kernelINS0_14default_configENS1_25partition_config_selectorILNS1_17partition_subalgoE1EtNS0_10empty_typeEbEEZZNS1_14partition_implILS5_1ELb0ES3_jN6thrust23THRUST_200600_302600_NS6detail15normal_iteratorINSA_10device_ptrItEEEEPS6_NSA_18transform_iteratorI7is_evenItESF_NSA_11use_defaultESK_EENS0_5tupleIJSF_NSA_16discard_iteratorISK_EEEEENSM_IJSG_SG_EEES6_PlJS6_EEE10hipError_tPvRmT3_T4_T5_T6_T7_T9_mT8_P12ihipStream_tbDpT10_ENKUlT_T0_E_clISt17integral_constantIbLb0EES1A_IbLb1EEEEDaS16_S17_EUlS16_E_NS1_11comp_targetILNS1_3genE2ELNS1_11target_archE906ELNS1_3gpuE6ELNS1_3repE0EEENS1_30default_config_static_selectorELNS0_4arch9wavefront6targetE1EEEvT1_
                                        ; -- End function
	.section	.AMDGPU.csdata,"",@progbits
; Kernel info:
; codeLenInByte = 0
; NumSgprs: 6
; NumVgprs: 0
; NumAgprs: 0
; TotalNumVgprs: 0
; ScratchSize: 0
; MemoryBound: 0
; FloatMode: 240
; IeeeMode: 1
; LDSByteSize: 0 bytes/workgroup (compile time only)
; SGPRBlocks: 0
; VGPRBlocks: 0
; NumSGPRsForWavesPerEU: 6
; NumVGPRsForWavesPerEU: 1
; AccumOffset: 4
; Occupancy: 8
; WaveLimiterHint : 0
; COMPUTE_PGM_RSRC2:SCRATCH_EN: 0
; COMPUTE_PGM_RSRC2:USER_SGPR: 2
; COMPUTE_PGM_RSRC2:TRAP_HANDLER: 0
; COMPUTE_PGM_RSRC2:TGID_X_EN: 1
; COMPUTE_PGM_RSRC2:TGID_Y_EN: 0
; COMPUTE_PGM_RSRC2:TGID_Z_EN: 0
; COMPUTE_PGM_RSRC2:TIDIG_COMP_CNT: 0
; COMPUTE_PGM_RSRC3_GFX90A:ACCUM_OFFSET: 0
; COMPUTE_PGM_RSRC3_GFX90A:TG_SPLIT: 0
	.section	.text._ZN7rocprim17ROCPRIM_400000_NS6detail17trampoline_kernelINS0_14default_configENS1_25partition_config_selectorILNS1_17partition_subalgoE1EtNS0_10empty_typeEbEEZZNS1_14partition_implILS5_1ELb0ES3_jN6thrust23THRUST_200600_302600_NS6detail15normal_iteratorINSA_10device_ptrItEEEEPS6_NSA_18transform_iteratorI7is_evenItESF_NSA_11use_defaultESK_EENS0_5tupleIJSF_NSA_16discard_iteratorISK_EEEEENSM_IJSG_SG_EEES6_PlJS6_EEE10hipError_tPvRmT3_T4_T5_T6_T7_T9_mT8_P12ihipStream_tbDpT10_ENKUlT_T0_E_clISt17integral_constantIbLb0EES1A_IbLb1EEEEDaS16_S17_EUlS16_E_NS1_11comp_targetILNS1_3genE10ELNS1_11target_archE1200ELNS1_3gpuE4ELNS1_3repE0EEENS1_30default_config_static_selectorELNS0_4arch9wavefront6targetE1EEEvT1_,"axG",@progbits,_ZN7rocprim17ROCPRIM_400000_NS6detail17trampoline_kernelINS0_14default_configENS1_25partition_config_selectorILNS1_17partition_subalgoE1EtNS0_10empty_typeEbEEZZNS1_14partition_implILS5_1ELb0ES3_jN6thrust23THRUST_200600_302600_NS6detail15normal_iteratorINSA_10device_ptrItEEEEPS6_NSA_18transform_iteratorI7is_evenItESF_NSA_11use_defaultESK_EENS0_5tupleIJSF_NSA_16discard_iteratorISK_EEEEENSM_IJSG_SG_EEES6_PlJS6_EEE10hipError_tPvRmT3_T4_T5_T6_T7_T9_mT8_P12ihipStream_tbDpT10_ENKUlT_T0_E_clISt17integral_constantIbLb0EES1A_IbLb1EEEEDaS16_S17_EUlS16_E_NS1_11comp_targetILNS1_3genE10ELNS1_11target_archE1200ELNS1_3gpuE4ELNS1_3repE0EEENS1_30default_config_static_selectorELNS0_4arch9wavefront6targetE1EEEvT1_,comdat
	.protected	_ZN7rocprim17ROCPRIM_400000_NS6detail17trampoline_kernelINS0_14default_configENS1_25partition_config_selectorILNS1_17partition_subalgoE1EtNS0_10empty_typeEbEEZZNS1_14partition_implILS5_1ELb0ES3_jN6thrust23THRUST_200600_302600_NS6detail15normal_iteratorINSA_10device_ptrItEEEEPS6_NSA_18transform_iteratorI7is_evenItESF_NSA_11use_defaultESK_EENS0_5tupleIJSF_NSA_16discard_iteratorISK_EEEEENSM_IJSG_SG_EEES6_PlJS6_EEE10hipError_tPvRmT3_T4_T5_T6_T7_T9_mT8_P12ihipStream_tbDpT10_ENKUlT_T0_E_clISt17integral_constantIbLb0EES1A_IbLb1EEEEDaS16_S17_EUlS16_E_NS1_11comp_targetILNS1_3genE10ELNS1_11target_archE1200ELNS1_3gpuE4ELNS1_3repE0EEENS1_30default_config_static_selectorELNS0_4arch9wavefront6targetE1EEEvT1_ ; -- Begin function _ZN7rocprim17ROCPRIM_400000_NS6detail17trampoline_kernelINS0_14default_configENS1_25partition_config_selectorILNS1_17partition_subalgoE1EtNS0_10empty_typeEbEEZZNS1_14partition_implILS5_1ELb0ES3_jN6thrust23THRUST_200600_302600_NS6detail15normal_iteratorINSA_10device_ptrItEEEEPS6_NSA_18transform_iteratorI7is_evenItESF_NSA_11use_defaultESK_EENS0_5tupleIJSF_NSA_16discard_iteratorISK_EEEEENSM_IJSG_SG_EEES6_PlJS6_EEE10hipError_tPvRmT3_T4_T5_T6_T7_T9_mT8_P12ihipStream_tbDpT10_ENKUlT_T0_E_clISt17integral_constantIbLb0EES1A_IbLb1EEEEDaS16_S17_EUlS16_E_NS1_11comp_targetILNS1_3genE10ELNS1_11target_archE1200ELNS1_3gpuE4ELNS1_3repE0EEENS1_30default_config_static_selectorELNS0_4arch9wavefront6targetE1EEEvT1_
	.globl	_ZN7rocprim17ROCPRIM_400000_NS6detail17trampoline_kernelINS0_14default_configENS1_25partition_config_selectorILNS1_17partition_subalgoE1EtNS0_10empty_typeEbEEZZNS1_14partition_implILS5_1ELb0ES3_jN6thrust23THRUST_200600_302600_NS6detail15normal_iteratorINSA_10device_ptrItEEEEPS6_NSA_18transform_iteratorI7is_evenItESF_NSA_11use_defaultESK_EENS0_5tupleIJSF_NSA_16discard_iteratorISK_EEEEENSM_IJSG_SG_EEES6_PlJS6_EEE10hipError_tPvRmT3_T4_T5_T6_T7_T9_mT8_P12ihipStream_tbDpT10_ENKUlT_T0_E_clISt17integral_constantIbLb0EES1A_IbLb1EEEEDaS16_S17_EUlS16_E_NS1_11comp_targetILNS1_3genE10ELNS1_11target_archE1200ELNS1_3gpuE4ELNS1_3repE0EEENS1_30default_config_static_selectorELNS0_4arch9wavefront6targetE1EEEvT1_
	.p2align	8
	.type	_ZN7rocprim17ROCPRIM_400000_NS6detail17trampoline_kernelINS0_14default_configENS1_25partition_config_selectorILNS1_17partition_subalgoE1EtNS0_10empty_typeEbEEZZNS1_14partition_implILS5_1ELb0ES3_jN6thrust23THRUST_200600_302600_NS6detail15normal_iteratorINSA_10device_ptrItEEEEPS6_NSA_18transform_iteratorI7is_evenItESF_NSA_11use_defaultESK_EENS0_5tupleIJSF_NSA_16discard_iteratorISK_EEEEENSM_IJSG_SG_EEES6_PlJS6_EEE10hipError_tPvRmT3_T4_T5_T6_T7_T9_mT8_P12ihipStream_tbDpT10_ENKUlT_T0_E_clISt17integral_constantIbLb0EES1A_IbLb1EEEEDaS16_S17_EUlS16_E_NS1_11comp_targetILNS1_3genE10ELNS1_11target_archE1200ELNS1_3gpuE4ELNS1_3repE0EEENS1_30default_config_static_selectorELNS0_4arch9wavefront6targetE1EEEvT1_,@function
_ZN7rocprim17ROCPRIM_400000_NS6detail17trampoline_kernelINS0_14default_configENS1_25partition_config_selectorILNS1_17partition_subalgoE1EtNS0_10empty_typeEbEEZZNS1_14partition_implILS5_1ELb0ES3_jN6thrust23THRUST_200600_302600_NS6detail15normal_iteratorINSA_10device_ptrItEEEEPS6_NSA_18transform_iteratorI7is_evenItESF_NSA_11use_defaultESK_EENS0_5tupleIJSF_NSA_16discard_iteratorISK_EEEEENSM_IJSG_SG_EEES6_PlJS6_EEE10hipError_tPvRmT3_T4_T5_T6_T7_T9_mT8_P12ihipStream_tbDpT10_ENKUlT_T0_E_clISt17integral_constantIbLb0EES1A_IbLb1EEEEDaS16_S17_EUlS16_E_NS1_11comp_targetILNS1_3genE10ELNS1_11target_archE1200ELNS1_3gpuE4ELNS1_3repE0EEENS1_30default_config_static_selectorELNS0_4arch9wavefront6targetE1EEEvT1_: ; @_ZN7rocprim17ROCPRIM_400000_NS6detail17trampoline_kernelINS0_14default_configENS1_25partition_config_selectorILNS1_17partition_subalgoE1EtNS0_10empty_typeEbEEZZNS1_14partition_implILS5_1ELb0ES3_jN6thrust23THRUST_200600_302600_NS6detail15normal_iteratorINSA_10device_ptrItEEEEPS6_NSA_18transform_iteratorI7is_evenItESF_NSA_11use_defaultESK_EENS0_5tupleIJSF_NSA_16discard_iteratorISK_EEEEENSM_IJSG_SG_EEES6_PlJS6_EEE10hipError_tPvRmT3_T4_T5_T6_T7_T9_mT8_P12ihipStream_tbDpT10_ENKUlT_T0_E_clISt17integral_constantIbLb0EES1A_IbLb1EEEEDaS16_S17_EUlS16_E_NS1_11comp_targetILNS1_3genE10ELNS1_11target_archE1200ELNS1_3gpuE4ELNS1_3repE0EEENS1_30default_config_static_selectorELNS0_4arch9wavefront6targetE1EEEvT1_
; %bb.0:
	.section	.rodata,"a",@progbits
	.p2align	6, 0x0
	.amdhsa_kernel _ZN7rocprim17ROCPRIM_400000_NS6detail17trampoline_kernelINS0_14default_configENS1_25partition_config_selectorILNS1_17partition_subalgoE1EtNS0_10empty_typeEbEEZZNS1_14partition_implILS5_1ELb0ES3_jN6thrust23THRUST_200600_302600_NS6detail15normal_iteratorINSA_10device_ptrItEEEEPS6_NSA_18transform_iteratorI7is_evenItESF_NSA_11use_defaultESK_EENS0_5tupleIJSF_NSA_16discard_iteratorISK_EEEEENSM_IJSG_SG_EEES6_PlJS6_EEE10hipError_tPvRmT3_T4_T5_T6_T7_T9_mT8_P12ihipStream_tbDpT10_ENKUlT_T0_E_clISt17integral_constantIbLb0EES1A_IbLb1EEEEDaS16_S17_EUlS16_E_NS1_11comp_targetILNS1_3genE10ELNS1_11target_archE1200ELNS1_3gpuE4ELNS1_3repE0EEENS1_30default_config_static_selectorELNS0_4arch9wavefront6targetE1EEEvT1_
		.amdhsa_group_segment_fixed_size 0
		.amdhsa_private_segment_fixed_size 0
		.amdhsa_kernarg_size 152
		.amdhsa_user_sgpr_count 2
		.amdhsa_user_sgpr_dispatch_ptr 0
		.amdhsa_user_sgpr_queue_ptr 0
		.amdhsa_user_sgpr_kernarg_segment_ptr 1
		.amdhsa_user_sgpr_dispatch_id 0
		.amdhsa_user_sgpr_kernarg_preload_length 0
		.amdhsa_user_sgpr_kernarg_preload_offset 0
		.amdhsa_user_sgpr_private_segment_size 0
		.amdhsa_uses_dynamic_stack 0
		.amdhsa_enable_private_segment 0
		.amdhsa_system_sgpr_workgroup_id_x 1
		.amdhsa_system_sgpr_workgroup_id_y 0
		.amdhsa_system_sgpr_workgroup_id_z 0
		.amdhsa_system_sgpr_workgroup_info 0
		.amdhsa_system_vgpr_workitem_id 0
		.amdhsa_next_free_vgpr 1
		.amdhsa_next_free_sgpr 0
		.amdhsa_accum_offset 4
		.amdhsa_reserve_vcc 0
		.amdhsa_float_round_mode_32 0
		.amdhsa_float_round_mode_16_64 0
		.amdhsa_float_denorm_mode_32 3
		.amdhsa_float_denorm_mode_16_64 3
		.amdhsa_dx10_clamp 1
		.amdhsa_ieee_mode 1
		.amdhsa_fp16_overflow 0
		.amdhsa_tg_split 0
		.amdhsa_exception_fp_ieee_invalid_op 0
		.amdhsa_exception_fp_denorm_src 0
		.amdhsa_exception_fp_ieee_div_zero 0
		.amdhsa_exception_fp_ieee_overflow 0
		.amdhsa_exception_fp_ieee_underflow 0
		.amdhsa_exception_fp_ieee_inexact 0
		.amdhsa_exception_int_div_zero 0
	.end_amdhsa_kernel
	.section	.text._ZN7rocprim17ROCPRIM_400000_NS6detail17trampoline_kernelINS0_14default_configENS1_25partition_config_selectorILNS1_17partition_subalgoE1EtNS0_10empty_typeEbEEZZNS1_14partition_implILS5_1ELb0ES3_jN6thrust23THRUST_200600_302600_NS6detail15normal_iteratorINSA_10device_ptrItEEEEPS6_NSA_18transform_iteratorI7is_evenItESF_NSA_11use_defaultESK_EENS0_5tupleIJSF_NSA_16discard_iteratorISK_EEEEENSM_IJSG_SG_EEES6_PlJS6_EEE10hipError_tPvRmT3_T4_T5_T6_T7_T9_mT8_P12ihipStream_tbDpT10_ENKUlT_T0_E_clISt17integral_constantIbLb0EES1A_IbLb1EEEEDaS16_S17_EUlS16_E_NS1_11comp_targetILNS1_3genE10ELNS1_11target_archE1200ELNS1_3gpuE4ELNS1_3repE0EEENS1_30default_config_static_selectorELNS0_4arch9wavefront6targetE1EEEvT1_,"axG",@progbits,_ZN7rocprim17ROCPRIM_400000_NS6detail17trampoline_kernelINS0_14default_configENS1_25partition_config_selectorILNS1_17partition_subalgoE1EtNS0_10empty_typeEbEEZZNS1_14partition_implILS5_1ELb0ES3_jN6thrust23THRUST_200600_302600_NS6detail15normal_iteratorINSA_10device_ptrItEEEEPS6_NSA_18transform_iteratorI7is_evenItESF_NSA_11use_defaultESK_EENS0_5tupleIJSF_NSA_16discard_iteratorISK_EEEEENSM_IJSG_SG_EEES6_PlJS6_EEE10hipError_tPvRmT3_T4_T5_T6_T7_T9_mT8_P12ihipStream_tbDpT10_ENKUlT_T0_E_clISt17integral_constantIbLb0EES1A_IbLb1EEEEDaS16_S17_EUlS16_E_NS1_11comp_targetILNS1_3genE10ELNS1_11target_archE1200ELNS1_3gpuE4ELNS1_3repE0EEENS1_30default_config_static_selectorELNS0_4arch9wavefront6targetE1EEEvT1_,comdat
.Lfunc_end3128:
	.size	_ZN7rocprim17ROCPRIM_400000_NS6detail17trampoline_kernelINS0_14default_configENS1_25partition_config_selectorILNS1_17partition_subalgoE1EtNS0_10empty_typeEbEEZZNS1_14partition_implILS5_1ELb0ES3_jN6thrust23THRUST_200600_302600_NS6detail15normal_iteratorINSA_10device_ptrItEEEEPS6_NSA_18transform_iteratorI7is_evenItESF_NSA_11use_defaultESK_EENS0_5tupleIJSF_NSA_16discard_iteratorISK_EEEEENSM_IJSG_SG_EEES6_PlJS6_EEE10hipError_tPvRmT3_T4_T5_T6_T7_T9_mT8_P12ihipStream_tbDpT10_ENKUlT_T0_E_clISt17integral_constantIbLb0EES1A_IbLb1EEEEDaS16_S17_EUlS16_E_NS1_11comp_targetILNS1_3genE10ELNS1_11target_archE1200ELNS1_3gpuE4ELNS1_3repE0EEENS1_30default_config_static_selectorELNS0_4arch9wavefront6targetE1EEEvT1_, .Lfunc_end3128-_ZN7rocprim17ROCPRIM_400000_NS6detail17trampoline_kernelINS0_14default_configENS1_25partition_config_selectorILNS1_17partition_subalgoE1EtNS0_10empty_typeEbEEZZNS1_14partition_implILS5_1ELb0ES3_jN6thrust23THRUST_200600_302600_NS6detail15normal_iteratorINSA_10device_ptrItEEEEPS6_NSA_18transform_iteratorI7is_evenItESF_NSA_11use_defaultESK_EENS0_5tupleIJSF_NSA_16discard_iteratorISK_EEEEENSM_IJSG_SG_EEES6_PlJS6_EEE10hipError_tPvRmT3_T4_T5_T6_T7_T9_mT8_P12ihipStream_tbDpT10_ENKUlT_T0_E_clISt17integral_constantIbLb0EES1A_IbLb1EEEEDaS16_S17_EUlS16_E_NS1_11comp_targetILNS1_3genE10ELNS1_11target_archE1200ELNS1_3gpuE4ELNS1_3repE0EEENS1_30default_config_static_selectorELNS0_4arch9wavefront6targetE1EEEvT1_
                                        ; -- End function
	.section	.AMDGPU.csdata,"",@progbits
; Kernel info:
; codeLenInByte = 0
; NumSgprs: 6
; NumVgprs: 0
; NumAgprs: 0
; TotalNumVgprs: 0
; ScratchSize: 0
; MemoryBound: 0
; FloatMode: 240
; IeeeMode: 1
; LDSByteSize: 0 bytes/workgroup (compile time only)
; SGPRBlocks: 0
; VGPRBlocks: 0
; NumSGPRsForWavesPerEU: 6
; NumVGPRsForWavesPerEU: 1
; AccumOffset: 4
; Occupancy: 8
; WaveLimiterHint : 0
; COMPUTE_PGM_RSRC2:SCRATCH_EN: 0
; COMPUTE_PGM_RSRC2:USER_SGPR: 2
; COMPUTE_PGM_RSRC2:TRAP_HANDLER: 0
; COMPUTE_PGM_RSRC2:TGID_X_EN: 1
; COMPUTE_PGM_RSRC2:TGID_Y_EN: 0
; COMPUTE_PGM_RSRC2:TGID_Z_EN: 0
; COMPUTE_PGM_RSRC2:TIDIG_COMP_CNT: 0
; COMPUTE_PGM_RSRC3_GFX90A:ACCUM_OFFSET: 0
; COMPUTE_PGM_RSRC3_GFX90A:TG_SPLIT: 0
	.section	.text._ZN7rocprim17ROCPRIM_400000_NS6detail17trampoline_kernelINS0_14default_configENS1_25partition_config_selectorILNS1_17partition_subalgoE1EtNS0_10empty_typeEbEEZZNS1_14partition_implILS5_1ELb0ES3_jN6thrust23THRUST_200600_302600_NS6detail15normal_iteratorINSA_10device_ptrItEEEEPS6_NSA_18transform_iteratorI7is_evenItESF_NSA_11use_defaultESK_EENS0_5tupleIJSF_NSA_16discard_iteratorISK_EEEEENSM_IJSG_SG_EEES6_PlJS6_EEE10hipError_tPvRmT3_T4_T5_T6_T7_T9_mT8_P12ihipStream_tbDpT10_ENKUlT_T0_E_clISt17integral_constantIbLb0EES1A_IbLb1EEEEDaS16_S17_EUlS16_E_NS1_11comp_targetILNS1_3genE9ELNS1_11target_archE1100ELNS1_3gpuE3ELNS1_3repE0EEENS1_30default_config_static_selectorELNS0_4arch9wavefront6targetE1EEEvT1_,"axG",@progbits,_ZN7rocprim17ROCPRIM_400000_NS6detail17trampoline_kernelINS0_14default_configENS1_25partition_config_selectorILNS1_17partition_subalgoE1EtNS0_10empty_typeEbEEZZNS1_14partition_implILS5_1ELb0ES3_jN6thrust23THRUST_200600_302600_NS6detail15normal_iteratorINSA_10device_ptrItEEEEPS6_NSA_18transform_iteratorI7is_evenItESF_NSA_11use_defaultESK_EENS0_5tupleIJSF_NSA_16discard_iteratorISK_EEEEENSM_IJSG_SG_EEES6_PlJS6_EEE10hipError_tPvRmT3_T4_T5_T6_T7_T9_mT8_P12ihipStream_tbDpT10_ENKUlT_T0_E_clISt17integral_constantIbLb0EES1A_IbLb1EEEEDaS16_S17_EUlS16_E_NS1_11comp_targetILNS1_3genE9ELNS1_11target_archE1100ELNS1_3gpuE3ELNS1_3repE0EEENS1_30default_config_static_selectorELNS0_4arch9wavefront6targetE1EEEvT1_,comdat
	.protected	_ZN7rocprim17ROCPRIM_400000_NS6detail17trampoline_kernelINS0_14default_configENS1_25partition_config_selectorILNS1_17partition_subalgoE1EtNS0_10empty_typeEbEEZZNS1_14partition_implILS5_1ELb0ES3_jN6thrust23THRUST_200600_302600_NS6detail15normal_iteratorINSA_10device_ptrItEEEEPS6_NSA_18transform_iteratorI7is_evenItESF_NSA_11use_defaultESK_EENS0_5tupleIJSF_NSA_16discard_iteratorISK_EEEEENSM_IJSG_SG_EEES6_PlJS6_EEE10hipError_tPvRmT3_T4_T5_T6_T7_T9_mT8_P12ihipStream_tbDpT10_ENKUlT_T0_E_clISt17integral_constantIbLb0EES1A_IbLb1EEEEDaS16_S17_EUlS16_E_NS1_11comp_targetILNS1_3genE9ELNS1_11target_archE1100ELNS1_3gpuE3ELNS1_3repE0EEENS1_30default_config_static_selectorELNS0_4arch9wavefront6targetE1EEEvT1_ ; -- Begin function _ZN7rocprim17ROCPRIM_400000_NS6detail17trampoline_kernelINS0_14default_configENS1_25partition_config_selectorILNS1_17partition_subalgoE1EtNS0_10empty_typeEbEEZZNS1_14partition_implILS5_1ELb0ES3_jN6thrust23THRUST_200600_302600_NS6detail15normal_iteratorINSA_10device_ptrItEEEEPS6_NSA_18transform_iteratorI7is_evenItESF_NSA_11use_defaultESK_EENS0_5tupleIJSF_NSA_16discard_iteratorISK_EEEEENSM_IJSG_SG_EEES6_PlJS6_EEE10hipError_tPvRmT3_T4_T5_T6_T7_T9_mT8_P12ihipStream_tbDpT10_ENKUlT_T0_E_clISt17integral_constantIbLb0EES1A_IbLb1EEEEDaS16_S17_EUlS16_E_NS1_11comp_targetILNS1_3genE9ELNS1_11target_archE1100ELNS1_3gpuE3ELNS1_3repE0EEENS1_30default_config_static_selectorELNS0_4arch9wavefront6targetE1EEEvT1_
	.globl	_ZN7rocprim17ROCPRIM_400000_NS6detail17trampoline_kernelINS0_14default_configENS1_25partition_config_selectorILNS1_17partition_subalgoE1EtNS0_10empty_typeEbEEZZNS1_14partition_implILS5_1ELb0ES3_jN6thrust23THRUST_200600_302600_NS6detail15normal_iteratorINSA_10device_ptrItEEEEPS6_NSA_18transform_iteratorI7is_evenItESF_NSA_11use_defaultESK_EENS0_5tupleIJSF_NSA_16discard_iteratorISK_EEEEENSM_IJSG_SG_EEES6_PlJS6_EEE10hipError_tPvRmT3_T4_T5_T6_T7_T9_mT8_P12ihipStream_tbDpT10_ENKUlT_T0_E_clISt17integral_constantIbLb0EES1A_IbLb1EEEEDaS16_S17_EUlS16_E_NS1_11comp_targetILNS1_3genE9ELNS1_11target_archE1100ELNS1_3gpuE3ELNS1_3repE0EEENS1_30default_config_static_selectorELNS0_4arch9wavefront6targetE1EEEvT1_
	.p2align	8
	.type	_ZN7rocprim17ROCPRIM_400000_NS6detail17trampoline_kernelINS0_14default_configENS1_25partition_config_selectorILNS1_17partition_subalgoE1EtNS0_10empty_typeEbEEZZNS1_14partition_implILS5_1ELb0ES3_jN6thrust23THRUST_200600_302600_NS6detail15normal_iteratorINSA_10device_ptrItEEEEPS6_NSA_18transform_iteratorI7is_evenItESF_NSA_11use_defaultESK_EENS0_5tupleIJSF_NSA_16discard_iteratorISK_EEEEENSM_IJSG_SG_EEES6_PlJS6_EEE10hipError_tPvRmT3_T4_T5_T6_T7_T9_mT8_P12ihipStream_tbDpT10_ENKUlT_T0_E_clISt17integral_constantIbLb0EES1A_IbLb1EEEEDaS16_S17_EUlS16_E_NS1_11comp_targetILNS1_3genE9ELNS1_11target_archE1100ELNS1_3gpuE3ELNS1_3repE0EEENS1_30default_config_static_selectorELNS0_4arch9wavefront6targetE1EEEvT1_,@function
_ZN7rocprim17ROCPRIM_400000_NS6detail17trampoline_kernelINS0_14default_configENS1_25partition_config_selectorILNS1_17partition_subalgoE1EtNS0_10empty_typeEbEEZZNS1_14partition_implILS5_1ELb0ES3_jN6thrust23THRUST_200600_302600_NS6detail15normal_iteratorINSA_10device_ptrItEEEEPS6_NSA_18transform_iteratorI7is_evenItESF_NSA_11use_defaultESK_EENS0_5tupleIJSF_NSA_16discard_iteratorISK_EEEEENSM_IJSG_SG_EEES6_PlJS6_EEE10hipError_tPvRmT3_T4_T5_T6_T7_T9_mT8_P12ihipStream_tbDpT10_ENKUlT_T0_E_clISt17integral_constantIbLb0EES1A_IbLb1EEEEDaS16_S17_EUlS16_E_NS1_11comp_targetILNS1_3genE9ELNS1_11target_archE1100ELNS1_3gpuE3ELNS1_3repE0EEENS1_30default_config_static_selectorELNS0_4arch9wavefront6targetE1EEEvT1_: ; @_ZN7rocprim17ROCPRIM_400000_NS6detail17trampoline_kernelINS0_14default_configENS1_25partition_config_selectorILNS1_17partition_subalgoE1EtNS0_10empty_typeEbEEZZNS1_14partition_implILS5_1ELb0ES3_jN6thrust23THRUST_200600_302600_NS6detail15normal_iteratorINSA_10device_ptrItEEEEPS6_NSA_18transform_iteratorI7is_evenItESF_NSA_11use_defaultESK_EENS0_5tupleIJSF_NSA_16discard_iteratorISK_EEEEENSM_IJSG_SG_EEES6_PlJS6_EEE10hipError_tPvRmT3_T4_T5_T6_T7_T9_mT8_P12ihipStream_tbDpT10_ENKUlT_T0_E_clISt17integral_constantIbLb0EES1A_IbLb1EEEEDaS16_S17_EUlS16_E_NS1_11comp_targetILNS1_3genE9ELNS1_11target_archE1100ELNS1_3gpuE3ELNS1_3repE0EEENS1_30default_config_static_selectorELNS0_4arch9wavefront6targetE1EEEvT1_
; %bb.0:
	.section	.rodata,"a",@progbits
	.p2align	6, 0x0
	.amdhsa_kernel _ZN7rocprim17ROCPRIM_400000_NS6detail17trampoline_kernelINS0_14default_configENS1_25partition_config_selectorILNS1_17partition_subalgoE1EtNS0_10empty_typeEbEEZZNS1_14partition_implILS5_1ELb0ES3_jN6thrust23THRUST_200600_302600_NS6detail15normal_iteratorINSA_10device_ptrItEEEEPS6_NSA_18transform_iteratorI7is_evenItESF_NSA_11use_defaultESK_EENS0_5tupleIJSF_NSA_16discard_iteratorISK_EEEEENSM_IJSG_SG_EEES6_PlJS6_EEE10hipError_tPvRmT3_T4_T5_T6_T7_T9_mT8_P12ihipStream_tbDpT10_ENKUlT_T0_E_clISt17integral_constantIbLb0EES1A_IbLb1EEEEDaS16_S17_EUlS16_E_NS1_11comp_targetILNS1_3genE9ELNS1_11target_archE1100ELNS1_3gpuE3ELNS1_3repE0EEENS1_30default_config_static_selectorELNS0_4arch9wavefront6targetE1EEEvT1_
		.amdhsa_group_segment_fixed_size 0
		.amdhsa_private_segment_fixed_size 0
		.amdhsa_kernarg_size 152
		.amdhsa_user_sgpr_count 2
		.amdhsa_user_sgpr_dispatch_ptr 0
		.amdhsa_user_sgpr_queue_ptr 0
		.amdhsa_user_sgpr_kernarg_segment_ptr 1
		.amdhsa_user_sgpr_dispatch_id 0
		.amdhsa_user_sgpr_kernarg_preload_length 0
		.amdhsa_user_sgpr_kernarg_preload_offset 0
		.amdhsa_user_sgpr_private_segment_size 0
		.amdhsa_uses_dynamic_stack 0
		.amdhsa_enable_private_segment 0
		.amdhsa_system_sgpr_workgroup_id_x 1
		.amdhsa_system_sgpr_workgroup_id_y 0
		.amdhsa_system_sgpr_workgroup_id_z 0
		.amdhsa_system_sgpr_workgroup_info 0
		.amdhsa_system_vgpr_workitem_id 0
		.amdhsa_next_free_vgpr 1
		.amdhsa_next_free_sgpr 0
		.amdhsa_accum_offset 4
		.amdhsa_reserve_vcc 0
		.amdhsa_float_round_mode_32 0
		.amdhsa_float_round_mode_16_64 0
		.amdhsa_float_denorm_mode_32 3
		.amdhsa_float_denorm_mode_16_64 3
		.amdhsa_dx10_clamp 1
		.amdhsa_ieee_mode 1
		.amdhsa_fp16_overflow 0
		.amdhsa_tg_split 0
		.amdhsa_exception_fp_ieee_invalid_op 0
		.amdhsa_exception_fp_denorm_src 0
		.amdhsa_exception_fp_ieee_div_zero 0
		.amdhsa_exception_fp_ieee_overflow 0
		.amdhsa_exception_fp_ieee_underflow 0
		.amdhsa_exception_fp_ieee_inexact 0
		.amdhsa_exception_int_div_zero 0
	.end_amdhsa_kernel
	.section	.text._ZN7rocprim17ROCPRIM_400000_NS6detail17trampoline_kernelINS0_14default_configENS1_25partition_config_selectorILNS1_17partition_subalgoE1EtNS0_10empty_typeEbEEZZNS1_14partition_implILS5_1ELb0ES3_jN6thrust23THRUST_200600_302600_NS6detail15normal_iteratorINSA_10device_ptrItEEEEPS6_NSA_18transform_iteratorI7is_evenItESF_NSA_11use_defaultESK_EENS0_5tupleIJSF_NSA_16discard_iteratorISK_EEEEENSM_IJSG_SG_EEES6_PlJS6_EEE10hipError_tPvRmT3_T4_T5_T6_T7_T9_mT8_P12ihipStream_tbDpT10_ENKUlT_T0_E_clISt17integral_constantIbLb0EES1A_IbLb1EEEEDaS16_S17_EUlS16_E_NS1_11comp_targetILNS1_3genE9ELNS1_11target_archE1100ELNS1_3gpuE3ELNS1_3repE0EEENS1_30default_config_static_selectorELNS0_4arch9wavefront6targetE1EEEvT1_,"axG",@progbits,_ZN7rocprim17ROCPRIM_400000_NS6detail17trampoline_kernelINS0_14default_configENS1_25partition_config_selectorILNS1_17partition_subalgoE1EtNS0_10empty_typeEbEEZZNS1_14partition_implILS5_1ELb0ES3_jN6thrust23THRUST_200600_302600_NS6detail15normal_iteratorINSA_10device_ptrItEEEEPS6_NSA_18transform_iteratorI7is_evenItESF_NSA_11use_defaultESK_EENS0_5tupleIJSF_NSA_16discard_iteratorISK_EEEEENSM_IJSG_SG_EEES6_PlJS6_EEE10hipError_tPvRmT3_T4_T5_T6_T7_T9_mT8_P12ihipStream_tbDpT10_ENKUlT_T0_E_clISt17integral_constantIbLb0EES1A_IbLb1EEEEDaS16_S17_EUlS16_E_NS1_11comp_targetILNS1_3genE9ELNS1_11target_archE1100ELNS1_3gpuE3ELNS1_3repE0EEENS1_30default_config_static_selectorELNS0_4arch9wavefront6targetE1EEEvT1_,comdat
.Lfunc_end3129:
	.size	_ZN7rocprim17ROCPRIM_400000_NS6detail17trampoline_kernelINS0_14default_configENS1_25partition_config_selectorILNS1_17partition_subalgoE1EtNS0_10empty_typeEbEEZZNS1_14partition_implILS5_1ELb0ES3_jN6thrust23THRUST_200600_302600_NS6detail15normal_iteratorINSA_10device_ptrItEEEEPS6_NSA_18transform_iteratorI7is_evenItESF_NSA_11use_defaultESK_EENS0_5tupleIJSF_NSA_16discard_iteratorISK_EEEEENSM_IJSG_SG_EEES6_PlJS6_EEE10hipError_tPvRmT3_T4_T5_T6_T7_T9_mT8_P12ihipStream_tbDpT10_ENKUlT_T0_E_clISt17integral_constantIbLb0EES1A_IbLb1EEEEDaS16_S17_EUlS16_E_NS1_11comp_targetILNS1_3genE9ELNS1_11target_archE1100ELNS1_3gpuE3ELNS1_3repE0EEENS1_30default_config_static_selectorELNS0_4arch9wavefront6targetE1EEEvT1_, .Lfunc_end3129-_ZN7rocprim17ROCPRIM_400000_NS6detail17trampoline_kernelINS0_14default_configENS1_25partition_config_selectorILNS1_17partition_subalgoE1EtNS0_10empty_typeEbEEZZNS1_14partition_implILS5_1ELb0ES3_jN6thrust23THRUST_200600_302600_NS6detail15normal_iteratorINSA_10device_ptrItEEEEPS6_NSA_18transform_iteratorI7is_evenItESF_NSA_11use_defaultESK_EENS0_5tupleIJSF_NSA_16discard_iteratorISK_EEEEENSM_IJSG_SG_EEES6_PlJS6_EEE10hipError_tPvRmT3_T4_T5_T6_T7_T9_mT8_P12ihipStream_tbDpT10_ENKUlT_T0_E_clISt17integral_constantIbLb0EES1A_IbLb1EEEEDaS16_S17_EUlS16_E_NS1_11comp_targetILNS1_3genE9ELNS1_11target_archE1100ELNS1_3gpuE3ELNS1_3repE0EEENS1_30default_config_static_selectorELNS0_4arch9wavefront6targetE1EEEvT1_
                                        ; -- End function
	.section	.AMDGPU.csdata,"",@progbits
; Kernel info:
; codeLenInByte = 0
; NumSgprs: 6
; NumVgprs: 0
; NumAgprs: 0
; TotalNumVgprs: 0
; ScratchSize: 0
; MemoryBound: 0
; FloatMode: 240
; IeeeMode: 1
; LDSByteSize: 0 bytes/workgroup (compile time only)
; SGPRBlocks: 0
; VGPRBlocks: 0
; NumSGPRsForWavesPerEU: 6
; NumVGPRsForWavesPerEU: 1
; AccumOffset: 4
; Occupancy: 8
; WaveLimiterHint : 0
; COMPUTE_PGM_RSRC2:SCRATCH_EN: 0
; COMPUTE_PGM_RSRC2:USER_SGPR: 2
; COMPUTE_PGM_RSRC2:TRAP_HANDLER: 0
; COMPUTE_PGM_RSRC2:TGID_X_EN: 1
; COMPUTE_PGM_RSRC2:TGID_Y_EN: 0
; COMPUTE_PGM_RSRC2:TGID_Z_EN: 0
; COMPUTE_PGM_RSRC2:TIDIG_COMP_CNT: 0
; COMPUTE_PGM_RSRC3_GFX90A:ACCUM_OFFSET: 0
; COMPUTE_PGM_RSRC3_GFX90A:TG_SPLIT: 0
	.section	.text._ZN7rocprim17ROCPRIM_400000_NS6detail17trampoline_kernelINS0_14default_configENS1_25partition_config_selectorILNS1_17partition_subalgoE1EtNS0_10empty_typeEbEEZZNS1_14partition_implILS5_1ELb0ES3_jN6thrust23THRUST_200600_302600_NS6detail15normal_iteratorINSA_10device_ptrItEEEEPS6_NSA_18transform_iteratorI7is_evenItESF_NSA_11use_defaultESK_EENS0_5tupleIJSF_NSA_16discard_iteratorISK_EEEEENSM_IJSG_SG_EEES6_PlJS6_EEE10hipError_tPvRmT3_T4_T5_T6_T7_T9_mT8_P12ihipStream_tbDpT10_ENKUlT_T0_E_clISt17integral_constantIbLb0EES1A_IbLb1EEEEDaS16_S17_EUlS16_E_NS1_11comp_targetILNS1_3genE8ELNS1_11target_archE1030ELNS1_3gpuE2ELNS1_3repE0EEENS1_30default_config_static_selectorELNS0_4arch9wavefront6targetE1EEEvT1_,"axG",@progbits,_ZN7rocprim17ROCPRIM_400000_NS6detail17trampoline_kernelINS0_14default_configENS1_25partition_config_selectorILNS1_17partition_subalgoE1EtNS0_10empty_typeEbEEZZNS1_14partition_implILS5_1ELb0ES3_jN6thrust23THRUST_200600_302600_NS6detail15normal_iteratorINSA_10device_ptrItEEEEPS6_NSA_18transform_iteratorI7is_evenItESF_NSA_11use_defaultESK_EENS0_5tupleIJSF_NSA_16discard_iteratorISK_EEEEENSM_IJSG_SG_EEES6_PlJS6_EEE10hipError_tPvRmT3_T4_T5_T6_T7_T9_mT8_P12ihipStream_tbDpT10_ENKUlT_T0_E_clISt17integral_constantIbLb0EES1A_IbLb1EEEEDaS16_S17_EUlS16_E_NS1_11comp_targetILNS1_3genE8ELNS1_11target_archE1030ELNS1_3gpuE2ELNS1_3repE0EEENS1_30default_config_static_selectorELNS0_4arch9wavefront6targetE1EEEvT1_,comdat
	.protected	_ZN7rocprim17ROCPRIM_400000_NS6detail17trampoline_kernelINS0_14default_configENS1_25partition_config_selectorILNS1_17partition_subalgoE1EtNS0_10empty_typeEbEEZZNS1_14partition_implILS5_1ELb0ES3_jN6thrust23THRUST_200600_302600_NS6detail15normal_iteratorINSA_10device_ptrItEEEEPS6_NSA_18transform_iteratorI7is_evenItESF_NSA_11use_defaultESK_EENS0_5tupleIJSF_NSA_16discard_iteratorISK_EEEEENSM_IJSG_SG_EEES6_PlJS6_EEE10hipError_tPvRmT3_T4_T5_T6_T7_T9_mT8_P12ihipStream_tbDpT10_ENKUlT_T0_E_clISt17integral_constantIbLb0EES1A_IbLb1EEEEDaS16_S17_EUlS16_E_NS1_11comp_targetILNS1_3genE8ELNS1_11target_archE1030ELNS1_3gpuE2ELNS1_3repE0EEENS1_30default_config_static_selectorELNS0_4arch9wavefront6targetE1EEEvT1_ ; -- Begin function _ZN7rocprim17ROCPRIM_400000_NS6detail17trampoline_kernelINS0_14default_configENS1_25partition_config_selectorILNS1_17partition_subalgoE1EtNS0_10empty_typeEbEEZZNS1_14partition_implILS5_1ELb0ES3_jN6thrust23THRUST_200600_302600_NS6detail15normal_iteratorINSA_10device_ptrItEEEEPS6_NSA_18transform_iteratorI7is_evenItESF_NSA_11use_defaultESK_EENS0_5tupleIJSF_NSA_16discard_iteratorISK_EEEEENSM_IJSG_SG_EEES6_PlJS6_EEE10hipError_tPvRmT3_T4_T5_T6_T7_T9_mT8_P12ihipStream_tbDpT10_ENKUlT_T0_E_clISt17integral_constantIbLb0EES1A_IbLb1EEEEDaS16_S17_EUlS16_E_NS1_11comp_targetILNS1_3genE8ELNS1_11target_archE1030ELNS1_3gpuE2ELNS1_3repE0EEENS1_30default_config_static_selectorELNS0_4arch9wavefront6targetE1EEEvT1_
	.globl	_ZN7rocprim17ROCPRIM_400000_NS6detail17trampoline_kernelINS0_14default_configENS1_25partition_config_selectorILNS1_17partition_subalgoE1EtNS0_10empty_typeEbEEZZNS1_14partition_implILS5_1ELb0ES3_jN6thrust23THRUST_200600_302600_NS6detail15normal_iteratorINSA_10device_ptrItEEEEPS6_NSA_18transform_iteratorI7is_evenItESF_NSA_11use_defaultESK_EENS0_5tupleIJSF_NSA_16discard_iteratorISK_EEEEENSM_IJSG_SG_EEES6_PlJS6_EEE10hipError_tPvRmT3_T4_T5_T6_T7_T9_mT8_P12ihipStream_tbDpT10_ENKUlT_T0_E_clISt17integral_constantIbLb0EES1A_IbLb1EEEEDaS16_S17_EUlS16_E_NS1_11comp_targetILNS1_3genE8ELNS1_11target_archE1030ELNS1_3gpuE2ELNS1_3repE0EEENS1_30default_config_static_selectorELNS0_4arch9wavefront6targetE1EEEvT1_
	.p2align	8
	.type	_ZN7rocprim17ROCPRIM_400000_NS6detail17trampoline_kernelINS0_14default_configENS1_25partition_config_selectorILNS1_17partition_subalgoE1EtNS0_10empty_typeEbEEZZNS1_14partition_implILS5_1ELb0ES3_jN6thrust23THRUST_200600_302600_NS6detail15normal_iteratorINSA_10device_ptrItEEEEPS6_NSA_18transform_iteratorI7is_evenItESF_NSA_11use_defaultESK_EENS0_5tupleIJSF_NSA_16discard_iteratorISK_EEEEENSM_IJSG_SG_EEES6_PlJS6_EEE10hipError_tPvRmT3_T4_T5_T6_T7_T9_mT8_P12ihipStream_tbDpT10_ENKUlT_T0_E_clISt17integral_constantIbLb0EES1A_IbLb1EEEEDaS16_S17_EUlS16_E_NS1_11comp_targetILNS1_3genE8ELNS1_11target_archE1030ELNS1_3gpuE2ELNS1_3repE0EEENS1_30default_config_static_selectorELNS0_4arch9wavefront6targetE1EEEvT1_,@function
_ZN7rocprim17ROCPRIM_400000_NS6detail17trampoline_kernelINS0_14default_configENS1_25partition_config_selectorILNS1_17partition_subalgoE1EtNS0_10empty_typeEbEEZZNS1_14partition_implILS5_1ELb0ES3_jN6thrust23THRUST_200600_302600_NS6detail15normal_iteratorINSA_10device_ptrItEEEEPS6_NSA_18transform_iteratorI7is_evenItESF_NSA_11use_defaultESK_EENS0_5tupleIJSF_NSA_16discard_iteratorISK_EEEEENSM_IJSG_SG_EEES6_PlJS6_EEE10hipError_tPvRmT3_T4_T5_T6_T7_T9_mT8_P12ihipStream_tbDpT10_ENKUlT_T0_E_clISt17integral_constantIbLb0EES1A_IbLb1EEEEDaS16_S17_EUlS16_E_NS1_11comp_targetILNS1_3genE8ELNS1_11target_archE1030ELNS1_3gpuE2ELNS1_3repE0EEENS1_30default_config_static_selectorELNS0_4arch9wavefront6targetE1EEEvT1_: ; @_ZN7rocprim17ROCPRIM_400000_NS6detail17trampoline_kernelINS0_14default_configENS1_25partition_config_selectorILNS1_17partition_subalgoE1EtNS0_10empty_typeEbEEZZNS1_14partition_implILS5_1ELb0ES3_jN6thrust23THRUST_200600_302600_NS6detail15normal_iteratorINSA_10device_ptrItEEEEPS6_NSA_18transform_iteratorI7is_evenItESF_NSA_11use_defaultESK_EENS0_5tupleIJSF_NSA_16discard_iteratorISK_EEEEENSM_IJSG_SG_EEES6_PlJS6_EEE10hipError_tPvRmT3_T4_T5_T6_T7_T9_mT8_P12ihipStream_tbDpT10_ENKUlT_T0_E_clISt17integral_constantIbLb0EES1A_IbLb1EEEEDaS16_S17_EUlS16_E_NS1_11comp_targetILNS1_3genE8ELNS1_11target_archE1030ELNS1_3gpuE2ELNS1_3repE0EEENS1_30default_config_static_selectorELNS0_4arch9wavefront6targetE1EEEvT1_
; %bb.0:
	.section	.rodata,"a",@progbits
	.p2align	6, 0x0
	.amdhsa_kernel _ZN7rocprim17ROCPRIM_400000_NS6detail17trampoline_kernelINS0_14default_configENS1_25partition_config_selectorILNS1_17partition_subalgoE1EtNS0_10empty_typeEbEEZZNS1_14partition_implILS5_1ELb0ES3_jN6thrust23THRUST_200600_302600_NS6detail15normal_iteratorINSA_10device_ptrItEEEEPS6_NSA_18transform_iteratorI7is_evenItESF_NSA_11use_defaultESK_EENS0_5tupleIJSF_NSA_16discard_iteratorISK_EEEEENSM_IJSG_SG_EEES6_PlJS6_EEE10hipError_tPvRmT3_T4_T5_T6_T7_T9_mT8_P12ihipStream_tbDpT10_ENKUlT_T0_E_clISt17integral_constantIbLb0EES1A_IbLb1EEEEDaS16_S17_EUlS16_E_NS1_11comp_targetILNS1_3genE8ELNS1_11target_archE1030ELNS1_3gpuE2ELNS1_3repE0EEENS1_30default_config_static_selectorELNS0_4arch9wavefront6targetE1EEEvT1_
		.amdhsa_group_segment_fixed_size 0
		.amdhsa_private_segment_fixed_size 0
		.amdhsa_kernarg_size 152
		.amdhsa_user_sgpr_count 2
		.amdhsa_user_sgpr_dispatch_ptr 0
		.amdhsa_user_sgpr_queue_ptr 0
		.amdhsa_user_sgpr_kernarg_segment_ptr 1
		.amdhsa_user_sgpr_dispatch_id 0
		.amdhsa_user_sgpr_kernarg_preload_length 0
		.amdhsa_user_sgpr_kernarg_preload_offset 0
		.amdhsa_user_sgpr_private_segment_size 0
		.amdhsa_uses_dynamic_stack 0
		.amdhsa_enable_private_segment 0
		.amdhsa_system_sgpr_workgroup_id_x 1
		.amdhsa_system_sgpr_workgroup_id_y 0
		.amdhsa_system_sgpr_workgroup_id_z 0
		.amdhsa_system_sgpr_workgroup_info 0
		.amdhsa_system_vgpr_workitem_id 0
		.amdhsa_next_free_vgpr 1
		.amdhsa_next_free_sgpr 0
		.amdhsa_accum_offset 4
		.amdhsa_reserve_vcc 0
		.amdhsa_float_round_mode_32 0
		.amdhsa_float_round_mode_16_64 0
		.amdhsa_float_denorm_mode_32 3
		.amdhsa_float_denorm_mode_16_64 3
		.amdhsa_dx10_clamp 1
		.amdhsa_ieee_mode 1
		.amdhsa_fp16_overflow 0
		.amdhsa_tg_split 0
		.amdhsa_exception_fp_ieee_invalid_op 0
		.amdhsa_exception_fp_denorm_src 0
		.amdhsa_exception_fp_ieee_div_zero 0
		.amdhsa_exception_fp_ieee_overflow 0
		.amdhsa_exception_fp_ieee_underflow 0
		.amdhsa_exception_fp_ieee_inexact 0
		.amdhsa_exception_int_div_zero 0
	.end_amdhsa_kernel
	.section	.text._ZN7rocprim17ROCPRIM_400000_NS6detail17trampoline_kernelINS0_14default_configENS1_25partition_config_selectorILNS1_17partition_subalgoE1EtNS0_10empty_typeEbEEZZNS1_14partition_implILS5_1ELb0ES3_jN6thrust23THRUST_200600_302600_NS6detail15normal_iteratorINSA_10device_ptrItEEEEPS6_NSA_18transform_iteratorI7is_evenItESF_NSA_11use_defaultESK_EENS0_5tupleIJSF_NSA_16discard_iteratorISK_EEEEENSM_IJSG_SG_EEES6_PlJS6_EEE10hipError_tPvRmT3_T4_T5_T6_T7_T9_mT8_P12ihipStream_tbDpT10_ENKUlT_T0_E_clISt17integral_constantIbLb0EES1A_IbLb1EEEEDaS16_S17_EUlS16_E_NS1_11comp_targetILNS1_3genE8ELNS1_11target_archE1030ELNS1_3gpuE2ELNS1_3repE0EEENS1_30default_config_static_selectorELNS0_4arch9wavefront6targetE1EEEvT1_,"axG",@progbits,_ZN7rocprim17ROCPRIM_400000_NS6detail17trampoline_kernelINS0_14default_configENS1_25partition_config_selectorILNS1_17partition_subalgoE1EtNS0_10empty_typeEbEEZZNS1_14partition_implILS5_1ELb0ES3_jN6thrust23THRUST_200600_302600_NS6detail15normal_iteratorINSA_10device_ptrItEEEEPS6_NSA_18transform_iteratorI7is_evenItESF_NSA_11use_defaultESK_EENS0_5tupleIJSF_NSA_16discard_iteratorISK_EEEEENSM_IJSG_SG_EEES6_PlJS6_EEE10hipError_tPvRmT3_T4_T5_T6_T7_T9_mT8_P12ihipStream_tbDpT10_ENKUlT_T0_E_clISt17integral_constantIbLb0EES1A_IbLb1EEEEDaS16_S17_EUlS16_E_NS1_11comp_targetILNS1_3genE8ELNS1_11target_archE1030ELNS1_3gpuE2ELNS1_3repE0EEENS1_30default_config_static_selectorELNS0_4arch9wavefront6targetE1EEEvT1_,comdat
.Lfunc_end3130:
	.size	_ZN7rocprim17ROCPRIM_400000_NS6detail17trampoline_kernelINS0_14default_configENS1_25partition_config_selectorILNS1_17partition_subalgoE1EtNS0_10empty_typeEbEEZZNS1_14partition_implILS5_1ELb0ES3_jN6thrust23THRUST_200600_302600_NS6detail15normal_iteratorINSA_10device_ptrItEEEEPS6_NSA_18transform_iteratorI7is_evenItESF_NSA_11use_defaultESK_EENS0_5tupleIJSF_NSA_16discard_iteratorISK_EEEEENSM_IJSG_SG_EEES6_PlJS6_EEE10hipError_tPvRmT3_T4_T5_T6_T7_T9_mT8_P12ihipStream_tbDpT10_ENKUlT_T0_E_clISt17integral_constantIbLb0EES1A_IbLb1EEEEDaS16_S17_EUlS16_E_NS1_11comp_targetILNS1_3genE8ELNS1_11target_archE1030ELNS1_3gpuE2ELNS1_3repE0EEENS1_30default_config_static_selectorELNS0_4arch9wavefront6targetE1EEEvT1_, .Lfunc_end3130-_ZN7rocprim17ROCPRIM_400000_NS6detail17trampoline_kernelINS0_14default_configENS1_25partition_config_selectorILNS1_17partition_subalgoE1EtNS0_10empty_typeEbEEZZNS1_14partition_implILS5_1ELb0ES3_jN6thrust23THRUST_200600_302600_NS6detail15normal_iteratorINSA_10device_ptrItEEEEPS6_NSA_18transform_iteratorI7is_evenItESF_NSA_11use_defaultESK_EENS0_5tupleIJSF_NSA_16discard_iteratorISK_EEEEENSM_IJSG_SG_EEES6_PlJS6_EEE10hipError_tPvRmT3_T4_T5_T6_T7_T9_mT8_P12ihipStream_tbDpT10_ENKUlT_T0_E_clISt17integral_constantIbLb0EES1A_IbLb1EEEEDaS16_S17_EUlS16_E_NS1_11comp_targetILNS1_3genE8ELNS1_11target_archE1030ELNS1_3gpuE2ELNS1_3repE0EEENS1_30default_config_static_selectorELNS0_4arch9wavefront6targetE1EEEvT1_
                                        ; -- End function
	.section	.AMDGPU.csdata,"",@progbits
; Kernel info:
; codeLenInByte = 0
; NumSgprs: 6
; NumVgprs: 0
; NumAgprs: 0
; TotalNumVgprs: 0
; ScratchSize: 0
; MemoryBound: 0
; FloatMode: 240
; IeeeMode: 1
; LDSByteSize: 0 bytes/workgroup (compile time only)
; SGPRBlocks: 0
; VGPRBlocks: 0
; NumSGPRsForWavesPerEU: 6
; NumVGPRsForWavesPerEU: 1
; AccumOffset: 4
; Occupancy: 8
; WaveLimiterHint : 0
; COMPUTE_PGM_RSRC2:SCRATCH_EN: 0
; COMPUTE_PGM_RSRC2:USER_SGPR: 2
; COMPUTE_PGM_RSRC2:TRAP_HANDLER: 0
; COMPUTE_PGM_RSRC2:TGID_X_EN: 1
; COMPUTE_PGM_RSRC2:TGID_Y_EN: 0
; COMPUTE_PGM_RSRC2:TGID_Z_EN: 0
; COMPUTE_PGM_RSRC2:TIDIG_COMP_CNT: 0
; COMPUTE_PGM_RSRC3_GFX90A:ACCUM_OFFSET: 0
; COMPUTE_PGM_RSRC3_GFX90A:TG_SPLIT: 0
	.section	.text._ZN7rocprim17ROCPRIM_400000_NS6detail17trampoline_kernelINS0_14default_configENS1_25partition_config_selectorILNS1_17partition_subalgoE1EtNS0_10empty_typeEbEEZZNS1_14partition_implILS5_1ELb0ES3_jN6thrust23THRUST_200600_302600_NS6detail15normal_iteratorINSA_10device_ptrItEEEEPS6_NSA_18transform_iteratorI7is_evenItESF_NSA_11use_defaultESK_EENS0_5tupleIJNSA_16discard_iteratorISK_EESF_EEENSM_IJSG_SG_EEES6_PlJS6_EEE10hipError_tPvRmT3_T4_T5_T6_T7_T9_mT8_P12ihipStream_tbDpT10_ENKUlT_T0_E_clISt17integral_constantIbLb0EES1B_EEDaS16_S17_EUlS16_E_NS1_11comp_targetILNS1_3genE0ELNS1_11target_archE4294967295ELNS1_3gpuE0ELNS1_3repE0EEENS1_30default_config_static_selectorELNS0_4arch9wavefront6targetE1EEEvT1_,"axG",@progbits,_ZN7rocprim17ROCPRIM_400000_NS6detail17trampoline_kernelINS0_14default_configENS1_25partition_config_selectorILNS1_17partition_subalgoE1EtNS0_10empty_typeEbEEZZNS1_14partition_implILS5_1ELb0ES3_jN6thrust23THRUST_200600_302600_NS6detail15normal_iteratorINSA_10device_ptrItEEEEPS6_NSA_18transform_iteratorI7is_evenItESF_NSA_11use_defaultESK_EENS0_5tupleIJNSA_16discard_iteratorISK_EESF_EEENSM_IJSG_SG_EEES6_PlJS6_EEE10hipError_tPvRmT3_T4_T5_T6_T7_T9_mT8_P12ihipStream_tbDpT10_ENKUlT_T0_E_clISt17integral_constantIbLb0EES1B_EEDaS16_S17_EUlS16_E_NS1_11comp_targetILNS1_3genE0ELNS1_11target_archE4294967295ELNS1_3gpuE0ELNS1_3repE0EEENS1_30default_config_static_selectorELNS0_4arch9wavefront6targetE1EEEvT1_,comdat
	.protected	_ZN7rocprim17ROCPRIM_400000_NS6detail17trampoline_kernelINS0_14default_configENS1_25partition_config_selectorILNS1_17partition_subalgoE1EtNS0_10empty_typeEbEEZZNS1_14partition_implILS5_1ELb0ES3_jN6thrust23THRUST_200600_302600_NS6detail15normal_iteratorINSA_10device_ptrItEEEEPS6_NSA_18transform_iteratorI7is_evenItESF_NSA_11use_defaultESK_EENS0_5tupleIJNSA_16discard_iteratorISK_EESF_EEENSM_IJSG_SG_EEES6_PlJS6_EEE10hipError_tPvRmT3_T4_T5_T6_T7_T9_mT8_P12ihipStream_tbDpT10_ENKUlT_T0_E_clISt17integral_constantIbLb0EES1B_EEDaS16_S17_EUlS16_E_NS1_11comp_targetILNS1_3genE0ELNS1_11target_archE4294967295ELNS1_3gpuE0ELNS1_3repE0EEENS1_30default_config_static_selectorELNS0_4arch9wavefront6targetE1EEEvT1_ ; -- Begin function _ZN7rocprim17ROCPRIM_400000_NS6detail17trampoline_kernelINS0_14default_configENS1_25partition_config_selectorILNS1_17partition_subalgoE1EtNS0_10empty_typeEbEEZZNS1_14partition_implILS5_1ELb0ES3_jN6thrust23THRUST_200600_302600_NS6detail15normal_iteratorINSA_10device_ptrItEEEEPS6_NSA_18transform_iteratorI7is_evenItESF_NSA_11use_defaultESK_EENS0_5tupleIJNSA_16discard_iteratorISK_EESF_EEENSM_IJSG_SG_EEES6_PlJS6_EEE10hipError_tPvRmT3_T4_T5_T6_T7_T9_mT8_P12ihipStream_tbDpT10_ENKUlT_T0_E_clISt17integral_constantIbLb0EES1B_EEDaS16_S17_EUlS16_E_NS1_11comp_targetILNS1_3genE0ELNS1_11target_archE4294967295ELNS1_3gpuE0ELNS1_3repE0EEENS1_30default_config_static_selectorELNS0_4arch9wavefront6targetE1EEEvT1_
	.globl	_ZN7rocprim17ROCPRIM_400000_NS6detail17trampoline_kernelINS0_14default_configENS1_25partition_config_selectorILNS1_17partition_subalgoE1EtNS0_10empty_typeEbEEZZNS1_14partition_implILS5_1ELb0ES3_jN6thrust23THRUST_200600_302600_NS6detail15normal_iteratorINSA_10device_ptrItEEEEPS6_NSA_18transform_iteratorI7is_evenItESF_NSA_11use_defaultESK_EENS0_5tupleIJNSA_16discard_iteratorISK_EESF_EEENSM_IJSG_SG_EEES6_PlJS6_EEE10hipError_tPvRmT3_T4_T5_T6_T7_T9_mT8_P12ihipStream_tbDpT10_ENKUlT_T0_E_clISt17integral_constantIbLb0EES1B_EEDaS16_S17_EUlS16_E_NS1_11comp_targetILNS1_3genE0ELNS1_11target_archE4294967295ELNS1_3gpuE0ELNS1_3repE0EEENS1_30default_config_static_selectorELNS0_4arch9wavefront6targetE1EEEvT1_
	.p2align	8
	.type	_ZN7rocprim17ROCPRIM_400000_NS6detail17trampoline_kernelINS0_14default_configENS1_25partition_config_selectorILNS1_17partition_subalgoE1EtNS0_10empty_typeEbEEZZNS1_14partition_implILS5_1ELb0ES3_jN6thrust23THRUST_200600_302600_NS6detail15normal_iteratorINSA_10device_ptrItEEEEPS6_NSA_18transform_iteratorI7is_evenItESF_NSA_11use_defaultESK_EENS0_5tupleIJNSA_16discard_iteratorISK_EESF_EEENSM_IJSG_SG_EEES6_PlJS6_EEE10hipError_tPvRmT3_T4_T5_T6_T7_T9_mT8_P12ihipStream_tbDpT10_ENKUlT_T0_E_clISt17integral_constantIbLb0EES1B_EEDaS16_S17_EUlS16_E_NS1_11comp_targetILNS1_3genE0ELNS1_11target_archE4294967295ELNS1_3gpuE0ELNS1_3repE0EEENS1_30default_config_static_selectorELNS0_4arch9wavefront6targetE1EEEvT1_,@function
_ZN7rocprim17ROCPRIM_400000_NS6detail17trampoline_kernelINS0_14default_configENS1_25partition_config_selectorILNS1_17partition_subalgoE1EtNS0_10empty_typeEbEEZZNS1_14partition_implILS5_1ELb0ES3_jN6thrust23THRUST_200600_302600_NS6detail15normal_iteratorINSA_10device_ptrItEEEEPS6_NSA_18transform_iteratorI7is_evenItESF_NSA_11use_defaultESK_EENS0_5tupleIJNSA_16discard_iteratorISK_EESF_EEENSM_IJSG_SG_EEES6_PlJS6_EEE10hipError_tPvRmT3_T4_T5_T6_T7_T9_mT8_P12ihipStream_tbDpT10_ENKUlT_T0_E_clISt17integral_constantIbLb0EES1B_EEDaS16_S17_EUlS16_E_NS1_11comp_targetILNS1_3genE0ELNS1_11target_archE4294967295ELNS1_3gpuE0ELNS1_3repE0EEENS1_30default_config_static_selectorELNS0_4arch9wavefront6targetE1EEEvT1_: ; @_ZN7rocprim17ROCPRIM_400000_NS6detail17trampoline_kernelINS0_14default_configENS1_25partition_config_selectorILNS1_17partition_subalgoE1EtNS0_10empty_typeEbEEZZNS1_14partition_implILS5_1ELb0ES3_jN6thrust23THRUST_200600_302600_NS6detail15normal_iteratorINSA_10device_ptrItEEEEPS6_NSA_18transform_iteratorI7is_evenItESF_NSA_11use_defaultESK_EENS0_5tupleIJNSA_16discard_iteratorISK_EESF_EEENSM_IJSG_SG_EEES6_PlJS6_EEE10hipError_tPvRmT3_T4_T5_T6_T7_T9_mT8_P12ihipStream_tbDpT10_ENKUlT_T0_E_clISt17integral_constantIbLb0EES1B_EEDaS16_S17_EUlS16_E_NS1_11comp_targetILNS1_3genE0ELNS1_11target_archE4294967295ELNS1_3gpuE0ELNS1_3repE0EEENS1_30default_config_static_selectorELNS0_4arch9wavefront6targetE1EEEvT1_
; %bb.0:
	.section	.rodata,"a",@progbits
	.p2align	6, 0x0
	.amdhsa_kernel _ZN7rocprim17ROCPRIM_400000_NS6detail17trampoline_kernelINS0_14default_configENS1_25partition_config_selectorILNS1_17partition_subalgoE1EtNS0_10empty_typeEbEEZZNS1_14partition_implILS5_1ELb0ES3_jN6thrust23THRUST_200600_302600_NS6detail15normal_iteratorINSA_10device_ptrItEEEEPS6_NSA_18transform_iteratorI7is_evenItESF_NSA_11use_defaultESK_EENS0_5tupleIJNSA_16discard_iteratorISK_EESF_EEENSM_IJSG_SG_EEES6_PlJS6_EEE10hipError_tPvRmT3_T4_T5_T6_T7_T9_mT8_P12ihipStream_tbDpT10_ENKUlT_T0_E_clISt17integral_constantIbLb0EES1B_EEDaS16_S17_EUlS16_E_NS1_11comp_targetILNS1_3genE0ELNS1_11target_archE4294967295ELNS1_3gpuE0ELNS1_3repE0EEENS1_30default_config_static_selectorELNS0_4arch9wavefront6targetE1EEEvT1_
		.amdhsa_group_segment_fixed_size 0
		.amdhsa_private_segment_fixed_size 0
		.amdhsa_kernarg_size 136
		.amdhsa_user_sgpr_count 2
		.amdhsa_user_sgpr_dispatch_ptr 0
		.amdhsa_user_sgpr_queue_ptr 0
		.amdhsa_user_sgpr_kernarg_segment_ptr 1
		.amdhsa_user_sgpr_dispatch_id 0
		.amdhsa_user_sgpr_kernarg_preload_length 0
		.amdhsa_user_sgpr_kernarg_preload_offset 0
		.amdhsa_user_sgpr_private_segment_size 0
		.amdhsa_uses_dynamic_stack 0
		.amdhsa_enable_private_segment 0
		.amdhsa_system_sgpr_workgroup_id_x 1
		.amdhsa_system_sgpr_workgroup_id_y 0
		.amdhsa_system_sgpr_workgroup_id_z 0
		.amdhsa_system_sgpr_workgroup_info 0
		.amdhsa_system_vgpr_workitem_id 0
		.amdhsa_next_free_vgpr 1
		.amdhsa_next_free_sgpr 0
		.amdhsa_accum_offset 4
		.amdhsa_reserve_vcc 0
		.amdhsa_float_round_mode_32 0
		.amdhsa_float_round_mode_16_64 0
		.amdhsa_float_denorm_mode_32 3
		.amdhsa_float_denorm_mode_16_64 3
		.amdhsa_dx10_clamp 1
		.amdhsa_ieee_mode 1
		.amdhsa_fp16_overflow 0
		.amdhsa_tg_split 0
		.amdhsa_exception_fp_ieee_invalid_op 0
		.amdhsa_exception_fp_denorm_src 0
		.amdhsa_exception_fp_ieee_div_zero 0
		.amdhsa_exception_fp_ieee_overflow 0
		.amdhsa_exception_fp_ieee_underflow 0
		.amdhsa_exception_fp_ieee_inexact 0
		.amdhsa_exception_int_div_zero 0
	.end_amdhsa_kernel
	.section	.text._ZN7rocprim17ROCPRIM_400000_NS6detail17trampoline_kernelINS0_14default_configENS1_25partition_config_selectorILNS1_17partition_subalgoE1EtNS0_10empty_typeEbEEZZNS1_14partition_implILS5_1ELb0ES3_jN6thrust23THRUST_200600_302600_NS6detail15normal_iteratorINSA_10device_ptrItEEEEPS6_NSA_18transform_iteratorI7is_evenItESF_NSA_11use_defaultESK_EENS0_5tupleIJNSA_16discard_iteratorISK_EESF_EEENSM_IJSG_SG_EEES6_PlJS6_EEE10hipError_tPvRmT3_T4_T5_T6_T7_T9_mT8_P12ihipStream_tbDpT10_ENKUlT_T0_E_clISt17integral_constantIbLb0EES1B_EEDaS16_S17_EUlS16_E_NS1_11comp_targetILNS1_3genE0ELNS1_11target_archE4294967295ELNS1_3gpuE0ELNS1_3repE0EEENS1_30default_config_static_selectorELNS0_4arch9wavefront6targetE1EEEvT1_,"axG",@progbits,_ZN7rocprim17ROCPRIM_400000_NS6detail17trampoline_kernelINS0_14default_configENS1_25partition_config_selectorILNS1_17partition_subalgoE1EtNS0_10empty_typeEbEEZZNS1_14partition_implILS5_1ELb0ES3_jN6thrust23THRUST_200600_302600_NS6detail15normal_iteratorINSA_10device_ptrItEEEEPS6_NSA_18transform_iteratorI7is_evenItESF_NSA_11use_defaultESK_EENS0_5tupleIJNSA_16discard_iteratorISK_EESF_EEENSM_IJSG_SG_EEES6_PlJS6_EEE10hipError_tPvRmT3_T4_T5_T6_T7_T9_mT8_P12ihipStream_tbDpT10_ENKUlT_T0_E_clISt17integral_constantIbLb0EES1B_EEDaS16_S17_EUlS16_E_NS1_11comp_targetILNS1_3genE0ELNS1_11target_archE4294967295ELNS1_3gpuE0ELNS1_3repE0EEENS1_30default_config_static_selectorELNS0_4arch9wavefront6targetE1EEEvT1_,comdat
.Lfunc_end3131:
	.size	_ZN7rocprim17ROCPRIM_400000_NS6detail17trampoline_kernelINS0_14default_configENS1_25partition_config_selectorILNS1_17partition_subalgoE1EtNS0_10empty_typeEbEEZZNS1_14partition_implILS5_1ELb0ES3_jN6thrust23THRUST_200600_302600_NS6detail15normal_iteratorINSA_10device_ptrItEEEEPS6_NSA_18transform_iteratorI7is_evenItESF_NSA_11use_defaultESK_EENS0_5tupleIJNSA_16discard_iteratorISK_EESF_EEENSM_IJSG_SG_EEES6_PlJS6_EEE10hipError_tPvRmT3_T4_T5_T6_T7_T9_mT8_P12ihipStream_tbDpT10_ENKUlT_T0_E_clISt17integral_constantIbLb0EES1B_EEDaS16_S17_EUlS16_E_NS1_11comp_targetILNS1_3genE0ELNS1_11target_archE4294967295ELNS1_3gpuE0ELNS1_3repE0EEENS1_30default_config_static_selectorELNS0_4arch9wavefront6targetE1EEEvT1_, .Lfunc_end3131-_ZN7rocprim17ROCPRIM_400000_NS6detail17trampoline_kernelINS0_14default_configENS1_25partition_config_selectorILNS1_17partition_subalgoE1EtNS0_10empty_typeEbEEZZNS1_14partition_implILS5_1ELb0ES3_jN6thrust23THRUST_200600_302600_NS6detail15normal_iteratorINSA_10device_ptrItEEEEPS6_NSA_18transform_iteratorI7is_evenItESF_NSA_11use_defaultESK_EENS0_5tupleIJNSA_16discard_iteratorISK_EESF_EEENSM_IJSG_SG_EEES6_PlJS6_EEE10hipError_tPvRmT3_T4_T5_T6_T7_T9_mT8_P12ihipStream_tbDpT10_ENKUlT_T0_E_clISt17integral_constantIbLb0EES1B_EEDaS16_S17_EUlS16_E_NS1_11comp_targetILNS1_3genE0ELNS1_11target_archE4294967295ELNS1_3gpuE0ELNS1_3repE0EEENS1_30default_config_static_selectorELNS0_4arch9wavefront6targetE1EEEvT1_
                                        ; -- End function
	.section	.AMDGPU.csdata,"",@progbits
; Kernel info:
; codeLenInByte = 0
; NumSgprs: 6
; NumVgprs: 0
; NumAgprs: 0
; TotalNumVgprs: 0
; ScratchSize: 0
; MemoryBound: 0
; FloatMode: 240
; IeeeMode: 1
; LDSByteSize: 0 bytes/workgroup (compile time only)
; SGPRBlocks: 0
; VGPRBlocks: 0
; NumSGPRsForWavesPerEU: 6
; NumVGPRsForWavesPerEU: 1
; AccumOffset: 4
; Occupancy: 8
; WaveLimiterHint : 0
; COMPUTE_PGM_RSRC2:SCRATCH_EN: 0
; COMPUTE_PGM_RSRC2:USER_SGPR: 2
; COMPUTE_PGM_RSRC2:TRAP_HANDLER: 0
; COMPUTE_PGM_RSRC2:TGID_X_EN: 1
; COMPUTE_PGM_RSRC2:TGID_Y_EN: 0
; COMPUTE_PGM_RSRC2:TGID_Z_EN: 0
; COMPUTE_PGM_RSRC2:TIDIG_COMP_CNT: 0
; COMPUTE_PGM_RSRC3_GFX90A:ACCUM_OFFSET: 0
; COMPUTE_PGM_RSRC3_GFX90A:TG_SPLIT: 0
	.section	.text._ZN7rocprim17ROCPRIM_400000_NS6detail17trampoline_kernelINS0_14default_configENS1_25partition_config_selectorILNS1_17partition_subalgoE1EtNS0_10empty_typeEbEEZZNS1_14partition_implILS5_1ELb0ES3_jN6thrust23THRUST_200600_302600_NS6detail15normal_iteratorINSA_10device_ptrItEEEEPS6_NSA_18transform_iteratorI7is_evenItESF_NSA_11use_defaultESK_EENS0_5tupleIJNSA_16discard_iteratorISK_EESF_EEENSM_IJSG_SG_EEES6_PlJS6_EEE10hipError_tPvRmT3_T4_T5_T6_T7_T9_mT8_P12ihipStream_tbDpT10_ENKUlT_T0_E_clISt17integral_constantIbLb0EES1B_EEDaS16_S17_EUlS16_E_NS1_11comp_targetILNS1_3genE5ELNS1_11target_archE942ELNS1_3gpuE9ELNS1_3repE0EEENS1_30default_config_static_selectorELNS0_4arch9wavefront6targetE1EEEvT1_,"axG",@progbits,_ZN7rocprim17ROCPRIM_400000_NS6detail17trampoline_kernelINS0_14default_configENS1_25partition_config_selectorILNS1_17partition_subalgoE1EtNS0_10empty_typeEbEEZZNS1_14partition_implILS5_1ELb0ES3_jN6thrust23THRUST_200600_302600_NS6detail15normal_iteratorINSA_10device_ptrItEEEEPS6_NSA_18transform_iteratorI7is_evenItESF_NSA_11use_defaultESK_EENS0_5tupleIJNSA_16discard_iteratorISK_EESF_EEENSM_IJSG_SG_EEES6_PlJS6_EEE10hipError_tPvRmT3_T4_T5_T6_T7_T9_mT8_P12ihipStream_tbDpT10_ENKUlT_T0_E_clISt17integral_constantIbLb0EES1B_EEDaS16_S17_EUlS16_E_NS1_11comp_targetILNS1_3genE5ELNS1_11target_archE942ELNS1_3gpuE9ELNS1_3repE0EEENS1_30default_config_static_selectorELNS0_4arch9wavefront6targetE1EEEvT1_,comdat
	.protected	_ZN7rocprim17ROCPRIM_400000_NS6detail17trampoline_kernelINS0_14default_configENS1_25partition_config_selectorILNS1_17partition_subalgoE1EtNS0_10empty_typeEbEEZZNS1_14partition_implILS5_1ELb0ES3_jN6thrust23THRUST_200600_302600_NS6detail15normal_iteratorINSA_10device_ptrItEEEEPS6_NSA_18transform_iteratorI7is_evenItESF_NSA_11use_defaultESK_EENS0_5tupleIJNSA_16discard_iteratorISK_EESF_EEENSM_IJSG_SG_EEES6_PlJS6_EEE10hipError_tPvRmT3_T4_T5_T6_T7_T9_mT8_P12ihipStream_tbDpT10_ENKUlT_T0_E_clISt17integral_constantIbLb0EES1B_EEDaS16_S17_EUlS16_E_NS1_11comp_targetILNS1_3genE5ELNS1_11target_archE942ELNS1_3gpuE9ELNS1_3repE0EEENS1_30default_config_static_selectorELNS0_4arch9wavefront6targetE1EEEvT1_ ; -- Begin function _ZN7rocprim17ROCPRIM_400000_NS6detail17trampoline_kernelINS0_14default_configENS1_25partition_config_selectorILNS1_17partition_subalgoE1EtNS0_10empty_typeEbEEZZNS1_14partition_implILS5_1ELb0ES3_jN6thrust23THRUST_200600_302600_NS6detail15normal_iteratorINSA_10device_ptrItEEEEPS6_NSA_18transform_iteratorI7is_evenItESF_NSA_11use_defaultESK_EENS0_5tupleIJNSA_16discard_iteratorISK_EESF_EEENSM_IJSG_SG_EEES6_PlJS6_EEE10hipError_tPvRmT3_T4_T5_T6_T7_T9_mT8_P12ihipStream_tbDpT10_ENKUlT_T0_E_clISt17integral_constantIbLb0EES1B_EEDaS16_S17_EUlS16_E_NS1_11comp_targetILNS1_3genE5ELNS1_11target_archE942ELNS1_3gpuE9ELNS1_3repE0EEENS1_30default_config_static_selectorELNS0_4arch9wavefront6targetE1EEEvT1_
	.globl	_ZN7rocprim17ROCPRIM_400000_NS6detail17trampoline_kernelINS0_14default_configENS1_25partition_config_selectorILNS1_17partition_subalgoE1EtNS0_10empty_typeEbEEZZNS1_14partition_implILS5_1ELb0ES3_jN6thrust23THRUST_200600_302600_NS6detail15normal_iteratorINSA_10device_ptrItEEEEPS6_NSA_18transform_iteratorI7is_evenItESF_NSA_11use_defaultESK_EENS0_5tupleIJNSA_16discard_iteratorISK_EESF_EEENSM_IJSG_SG_EEES6_PlJS6_EEE10hipError_tPvRmT3_T4_T5_T6_T7_T9_mT8_P12ihipStream_tbDpT10_ENKUlT_T0_E_clISt17integral_constantIbLb0EES1B_EEDaS16_S17_EUlS16_E_NS1_11comp_targetILNS1_3genE5ELNS1_11target_archE942ELNS1_3gpuE9ELNS1_3repE0EEENS1_30default_config_static_selectorELNS0_4arch9wavefront6targetE1EEEvT1_
	.p2align	8
	.type	_ZN7rocprim17ROCPRIM_400000_NS6detail17trampoline_kernelINS0_14default_configENS1_25partition_config_selectorILNS1_17partition_subalgoE1EtNS0_10empty_typeEbEEZZNS1_14partition_implILS5_1ELb0ES3_jN6thrust23THRUST_200600_302600_NS6detail15normal_iteratorINSA_10device_ptrItEEEEPS6_NSA_18transform_iteratorI7is_evenItESF_NSA_11use_defaultESK_EENS0_5tupleIJNSA_16discard_iteratorISK_EESF_EEENSM_IJSG_SG_EEES6_PlJS6_EEE10hipError_tPvRmT3_T4_T5_T6_T7_T9_mT8_P12ihipStream_tbDpT10_ENKUlT_T0_E_clISt17integral_constantIbLb0EES1B_EEDaS16_S17_EUlS16_E_NS1_11comp_targetILNS1_3genE5ELNS1_11target_archE942ELNS1_3gpuE9ELNS1_3repE0EEENS1_30default_config_static_selectorELNS0_4arch9wavefront6targetE1EEEvT1_,@function
_ZN7rocprim17ROCPRIM_400000_NS6detail17trampoline_kernelINS0_14default_configENS1_25partition_config_selectorILNS1_17partition_subalgoE1EtNS0_10empty_typeEbEEZZNS1_14partition_implILS5_1ELb0ES3_jN6thrust23THRUST_200600_302600_NS6detail15normal_iteratorINSA_10device_ptrItEEEEPS6_NSA_18transform_iteratorI7is_evenItESF_NSA_11use_defaultESK_EENS0_5tupleIJNSA_16discard_iteratorISK_EESF_EEENSM_IJSG_SG_EEES6_PlJS6_EEE10hipError_tPvRmT3_T4_T5_T6_T7_T9_mT8_P12ihipStream_tbDpT10_ENKUlT_T0_E_clISt17integral_constantIbLb0EES1B_EEDaS16_S17_EUlS16_E_NS1_11comp_targetILNS1_3genE5ELNS1_11target_archE942ELNS1_3gpuE9ELNS1_3repE0EEENS1_30default_config_static_selectorELNS0_4arch9wavefront6targetE1EEEvT1_: ; @_ZN7rocprim17ROCPRIM_400000_NS6detail17trampoline_kernelINS0_14default_configENS1_25partition_config_selectorILNS1_17partition_subalgoE1EtNS0_10empty_typeEbEEZZNS1_14partition_implILS5_1ELb0ES3_jN6thrust23THRUST_200600_302600_NS6detail15normal_iteratorINSA_10device_ptrItEEEEPS6_NSA_18transform_iteratorI7is_evenItESF_NSA_11use_defaultESK_EENS0_5tupleIJNSA_16discard_iteratorISK_EESF_EEENSM_IJSG_SG_EEES6_PlJS6_EEE10hipError_tPvRmT3_T4_T5_T6_T7_T9_mT8_P12ihipStream_tbDpT10_ENKUlT_T0_E_clISt17integral_constantIbLb0EES1B_EEDaS16_S17_EUlS16_E_NS1_11comp_targetILNS1_3genE5ELNS1_11target_archE942ELNS1_3gpuE9ELNS1_3repE0EEENS1_30default_config_static_selectorELNS0_4arch9wavefront6targetE1EEEvT1_
; %bb.0:
	s_load_dwordx2 s[4:5], s[0:1], 0x68
	s_load_dwordx4 s[24:27], s[0:1], 0x8
	s_load_dwordx2 s[6:7], s[0:1], 0x20
	s_load_dwordx4 s[20:23], s[0:1], 0x58
	s_load_dword s3, s[0:1], 0x80
	s_waitcnt lgkmcnt(0)
	v_mov_b32_e32 v3, s5
	s_lshl_b64 s[8:9], s[26:27], 1
	s_add_u32 s12, s24, s8
	s_addc_u32 s13, s25, s9
	s_add_i32 s14, s3, -1
	s_mulk_i32 s3, 0x3800
	s_add_i32 s5, s3, s26
	s_sub_i32 s33, s4, s5
	s_addk_i32 s33, 0x3800
	v_mov_b32_e32 v2, s4
	s_add_u32 s4, s26, s3
	s_addc_u32 s5, s27, 0
	s_cmp_eq_u32 s2, s14
	s_load_dwordx2 s[24:25], s[22:23], 0x0
	s_cselect_b64 s[22:23], -1, 0
	s_cmp_lg_u32 s2, s14
	s_mul_i32 s10, s2, 0x3800
	s_mov_b32 s11, 0
	v_cmp_lt_u64_e32 vcc, s[4:5], v[2:3]
	s_cselect_b64 s[4:5], -1, 0
	s_or_b64 s[28:29], s[4:5], vcc
	s_lshl_b64 s[30:31], s[10:11], 1
	s_add_u32 s10, s12, s30
	s_addc_u32 s11, s13, s31
	s_mov_b64 s[4:5], -1
	s_and_b64 vcc, exec, s[28:29]
	v_lshlrev_b32_e32 v14, 1, v0
	s_cbranch_vccz .LBB3132_2
; %bb.1:
	v_mov_b32_e32 v15, 0
	v_lshl_add_u64 v[2:3], s[10:11], 0, v[14:15]
	v_add_co_u32_e32 v4, vcc, 0x1000, v2
	s_mov_b64 s[4:5], 0
	s_nop 0
	v_addc_co_u32_e32 v5, vcc, 0, v3, vcc
	flat_load_ushort v1, v[2:3]
	flat_load_ushort v8, v[2:3] offset:1024
	flat_load_ushort v9, v[2:3] offset:2048
	;; [unrolled: 1-line block ×3, first 2 shown]
	flat_load_ushort v11, v[4:5]
	flat_load_ushort v12, v[4:5] offset:1024
	flat_load_ushort v13, v[4:5] offset:2048
	;; [unrolled: 1-line block ×3, first 2 shown]
	v_add_co_u32_e32 v4, vcc, 0x2000, v2
	s_nop 1
	v_addc_co_u32_e32 v5, vcc, 0, v3, vcc
	v_add_co_u32_e32 v6, vcc, 0x3000, v2
	s_nop 1
	v_addc_co_u32_e32 v7, vcc, 0, v3, vcc
	flat_load_ushort v16, v[4:5]
	flat_load_ushort v17, v[4:5] offset:1024
	flat_load_ushort v18, v[4:5] offset:2048
	;; [unrolled: 1-line block ×3, first 2 shown]
	flat_load_ushort v20, v[6:7]
	flat_load_ushort v21, v[6:7] offset:1024
	flat_load_ushort v22, v[6:7] offset:2048
	;; [unrolled: 1-line block ×3, first 2 shown]
	v_add_co_u32_e32 v4, vcc, 0x4000, v2
	s_nop 1
	v_addc_co_u32_e32 v5, vcc, 0, v3, vcc
	v_add_co_u32_e32 v6, vcc, 0x5000, v2
	s_nop 1
	v_addc_co_u32_e32 v7, vcc, 0, v3, vcc
	v_add_co_u32_e32 v2, vcc, 0x6000, v2
	flat_load_ushort v24, v[4:5]
	flat_load_ushort v25, v[4:5] offset:1024
	flat_load_ushort v26, v[4:5] offset:2048
	;; [unrolled: 1-line block ×3, first 2 shown]
	flat_load_ushort v28, v[6:7]
	flat_load_ushort v29, v[6:7] offset:1024
	flat_load_ushort v30, v[6:7] offset:2048
	;; [unrolled: 1-line block ×3, first 2 shown]
	v_addc_co_u32_e32 v3, vcc, 0, v3, vcc
	flat_load_ushort v4, v[2:3]
	flat_load_ushort v5, v[2:3] offset:1024
	flat_load_ushort v6, v[2:3] offset:2048
	;; [unrolled: 1-line block ×3, first 2 shown]
	s_waitcnt vmcnt(0) lgkmcnt(0)
	ds_write_b16 v14, v1
	ds_write_b16 v14, v8 offset:1024
	ds_write_b16 v14, v9 offset:2048
	ds_write_b16 v14, v10 offset:3072
	ds_write_b16 v14, v11 offset:4096
	ds_write_b16 v14, v12 offset:5120
	ds_write_b16 v14, v13 offset:6144
	ds_write_b16 v14, v15 offset:7168
	ds_write_b16 v14, v16 offset:8192
	ds_write_b16 v14, v17 offset:9216
	ds_write_b16 v14, v18 offset:10240
	ds_write_b16 v14, v19 offset:11264
	ds_write_b16 v14, v20 offset:12288
	ds_write_b16 v14, v21 offset:13312
	ds_write_b16 v14, v22 offset:14336
	ds_write_b16 v14, v23 offset:15360
	ds_write_b16 v14, v24 offset:16384
	ds_write_b16 v14, v25 offset:17408
	ds_write_b16 v14, v26 offset:18432
	ds_write_b16 v14, v27 offset:19456
	ds_write_b16 v14, v28 offset:20480
	ds_write_b16 v14, v29 offset:21504
	ds_write_b16 v14, v30 offset:22528
	ds_write_b16 v14, v31 offset:23552
	ds_write_b16 v14, v4 offset:24576
	ds_write_b16 v14, v5 offset:25600
	ds_write_b16 v14, v6 offset:26624
	ds_write_b16 v14, v7 offset:27648
	s_waitcnt lgkmcnt(0)
	s_barrier
.LBB3132_2:
	s_andn2_b64 vcc, exec, s[4:5]
	v_cmp_gt_u32_e64 s[4:5], s33, v0
	s_cbranch_vccnz .LBB3132_60
; %bb.3:
                                        ; implicit-def: $vgpr1
	s_and_saveexec_b64 s[12:13], s[4:5]
	s_cbranch_execz .LBB3132_5
; %bb.4:
	v_mov_b32_e32 v15, 0
	v_lshl_add_u64 v[2:3], s[10:11], 0, v[14:15]
	flat_load_ushort v1, v[2:3]
.LBB3132_5:
	s_or_b64 exec, exec, s[12:13]
	v_or_b32_e32 v2, 0x200, v0
	v_cmp_gt_u32_e32 vcc, s33, v2
                                        ; implicit-def: $vgpr2
	s_and_saveexec_b64 s[4:5], vcc
	s_cbranch_execz .LBB3132_7
; %bb.6:
	v_mov_b32_e32 v15, 0
	v_lshl_add_u64 v[2:3], s[10:11], 0, v[14:15]
	flat_load_ushort v2, v[2:3] offset:1024
.LBB3132_7:
	s_or_b64 exec, exec, s[4:5]
	v_or_b32_e32 v3, 0x400, v0
	v_cmp_gt_u32_e32 vcc, s33, v3
                                        ; implicit-def: $vgpr3
	s_and_saveexec_b64 s[4:5], vcc
	s_cbranch_execz .LBB3132_9
; %bb.8:
	v_mov_b32_e32 v15, 0
	v_lshl_add_u64 v[4:5], s[10:11], 0, v[14:15]
	flat_load_ushort v3, v[4:5] offset:2048
.LBB3132_9:
	s_or_b64 exec, exec, s[4:5]
	v_or_b32_e32 v4, 0x600, v0
	v_cmp_gt_u32_e32 vcc, s33, v4
                                        ; implicit-def: $vgpr4
	s_and_saveexec_b64 s[4:5], vcc
	s_cbranch_execz .LBB3132_11
; %bb.10:
	v_mov_b32_e32 v15, 0
	v_lshl_add_u64 v[4:5], s[10:11], 0, v[14:15]
	flat_load_ushort v4, v[4:5] offset:3072
.LBB3132_11:
	s_or_b64 exec, exec, s[4:5]
	v_or_b32_e32 v6, 0x800, v0
	v_cmp_gt_u32_e32 vcc, s33, v6
                                        ; implicit-def: $vgpr5
	s_and_saveexec_b64 s[4:5], vcc
	s_cbranch_execz .LBB3132_13
; %bb.12:
	v_lshlrev_b32_e32 v6, 1, v6
	v_mov_b32_e32 v7, 0
	v_lshl_add_u64 v[6:7], s[10:11], 0, v[6:7]
	flat_load_ushort v5, v[6:7]
.LBB3132_13:
	s_or_b64 exec, exec, s[4:5]
	v_or_b32_e32 v7, 0xa00, v0
	v_cmp_gt_u32_e32 vcc, s33, v7
                                        ; implicit-def: $vgpr6
	s_and_saveexec_b64 s[4:5], vcc
	s_cbranch_execz .LBB3132_15
; %bb.14:
	v_lshlrev_b32_e32 v6, 1, v7
	v_mov_b32_e32 v7, 0
	v_lshl_add_u64 v[6:7], s[10:11], 0, v[6:7]
	flat_load_ushort v6, v[6:7]
.LBB3132_15:
	s_or_b64 exec, exec, s[4:5]
	v_or_b32_e32 v8, 0xc00, v0
	v_cmp_gt_u32_e32 vcc, s33, v8
                                        ; implicit-def: $vgpr7
	s_and_saveexec_b64 s[4:5], vcc
	s_cbranch_execz .LBB3132_17
; %bb.16:
	v_lshlrev_b32_e32 v8, 1, v8
	v_mov_b32_e32 v9, 0
	v_lshl_add_u64 v[8:9], s[10:11], 0, v[8:9]
	flat_load_ushort v7, v[8:9]
.LBB3132_17:
	s_or_b64 exec, exec, s[4:5]
	v_or_b32_e32 v9, 0xe00, v0
	v_cmp_gt_u32_e32 vcc, s33, v9
                                        ; implicit-def: $vgpr8
	s_and_saveexec_b64 s[4:5], vcc
	s_cbranch_execz .LBB3132_19
; %bb.18:
	v_lshlrev_b32_e32 v8, 1, v9
	v_mov_b32_e32 v9, 0
	v_lshl_add_u64 v[8:9], s[10:11], 0, v[8:9]
	flat_load_ushort v8, v[8:9]
.LBB3132_19:
	s_or_b64 exec, exec, s[4:5]
	v_or_b32_e32 v10, 0x1000, v0
	v_cmp_gt_u32_e32 vcc, s33, v10
                                        ; implicit-def: $vgpr9
	s_and_saveexec_b64 s[4:5], vcc
	s_cbranch_execz .LBB3132_21
; %bb.20:
	v_lshlrev_b32_e32 v10, 1, v10
	v_mov_b32_e32 v11, 0
	v_lshl_add_u64 v[10:11], s[10:11], 0, v[10:11]
	flat_load_ushort v9, v[10:11]
.LBB3132_21:
	s_or_b64 exec, exec, s[4:5]
	v_or_b32_e32 v11, 0x1200, v0
	v_cmp_gt_u32_e32 vcc, s33, v11
                                        ; implicit-def: $vgpr10
	s_and_saveexec_b64 s[4:5], vcc
	s_cbranch_execz .LBB3132_23
; %bb.22:
	v_lshlrev_b32_e32 v10, 1, v11
	v_mov_b32_e32 v11, 0
	v_lshl_add_u64 v[10:11], s[10:11], 0, v[10:11]
	flat_load_ushort v10, v[10:11]
.LBB3132_23:
	s_or_b64 exec, exec, s[4:5]
	v_or_b32_e32 v12, 0x1400, v0
	v_cmp_gt_u32_e32 vcc, s33, v12
                                        ; implicit-def: $vgpr11
	s_and_saveexec_b64 s[4:5], vcc
	s_cbranch_execz .LBB3132_25
; %bb.24:
	v_lshlrev_b32_e32 v12, 1, v12
	v_mov_b32_e32 v13, 0
	v_lshl_add_u64 v[12:13], s[10:11], 0, v[12:13]
	flat_load_ushort v11, v[12:13]
.LBB3132_25:
	s_or_b64 exec, exec, s[4:5]
	v_or_b32_e32 v13, 0x1600, v0
	v_cmp_gt_u32_e32 vcc, s33, v13
                                        ; implicit-def: $vgpr12
	s_and_saveexec_b64 s[4:5], vcc
	s_cbranch_execz .LBB3132_27
; %bb.26:
	v_lshlrev_b32_e32 v12, 1, v13
	v_mov_b32_e32 v13, 0
	v_lshl_add_u64 v[12:13], s[10:11], 0, v[12:13]
	flat_load_ushort v12, v[12:13]
.LBB3132_27:
	s_or_b64 exec, exec, s[4:5]
	v_or_b32_e32 v15, 0x1800, v0
	v_cmp_gt_u32_e32 vcc, s33, v15
                                        ; implicit-def: $vgpr13
	s_and_saveexec_b64 s[4:5], vcc
	s_cbranch_execz .LBB3132_29
; %bb.28:
	v_lshlrev_b32_e32 v16, 1, v15
	v_mov_b32_e32 v17, 0
	v_lshl_add_u64 v[16:17], s[10:11], 0, v[16:17]
	flat_load_ushort v13, v[16:17]
.LBB3132_29:
	s_or_b64 exec, exec, s[4:5]
	v_or_b32_e32 v16, 0x1a00, v0
	v_cmp_gt_u32_e32 vcc, s33, v16
                                        ; implicit-def: $vgpr15
	s_and_saveexec_b64 s[4:5], vcc
	s_cbranch_execz .LBB3132_31
; %bb.30:
	v_lshlrev_b32_e32 v16, 1, v16
	v_mov_b32_e32 v17, 0
	v_lshl_add_u64 v[16:17], s[10:11], 0, v[16:17]
	flat_load_ushort v15, v[16:17]
.LBB3132_31:
	s_or_b64 exec, exec, s[4:5]
	v_or_b32_e32 v17, 0x1c00, v0
	v_cmp_gt_u32_e32 vcc, s33, v17
                                        ; implicit-def: $vgpr16
	s_and_saveexec_b64 s[4:5], vcc
	s_cbranch_execz .LBB3132_33
; %bb.32:
	v_lshlrev_b32_e32 v16, 1, v17
	v_mov_b32_e32 v17, 0
	v_lshl_add_u64 v[16:17], s[10:11], 0, v[16:17]
	flat_load_ushort v16, v[16:17]
.LBB3132_33:
	s_or_b64 exec, exec, s[4:5]
	v_or_b32_e32 v18, 0x1e00, v0
	v_cmp_gt_u32_e32 vcc, s33, v18
                                        ; implicit-def: $vgpr17
	s_and_saveexec_b64 s[4:5], vcc
	s_cbranch_execz .LBB3132_35
; %bb.34:
	v_lshlrev_b32_e32 v18, 1, v18
	v_mov_b32_e32 v19, 0
	v_lshl_add_u64 v[18:19], s[10:11], 0, v[18:19]
	flat_load_ushort v17, v[18:19]
.LBB3132_35:
	s_or_b64 exec, exec, s[4:5]
	v_or_b32_e32 v19, 0x2000, v0
	v_cmp_gt_u32_e32 vcc, s33, v19
                                        ; implicit-def: $vgpr18
	s_and_saveexec_b64 s[4:5], vcc
	s_cbranch_execz .LBB3132_37
; %bb.36:
	v_lshlrev_b32_e32 v18, 1, v19
	v_mov_b32_e32 v19, 0
	v_lshl_add_u64 v[18:19], s[10:11], 0, v[18:19]
	flat_load_ushort v18, v[18:19]
.LBB3132_37:
	s_or_b64 exec, exec, s[4:5]
	v_or_b32_e32 v20, 0x2200, v0
	v_cmp_gt_u32_e32 vcc, s33, v20
                                        ; implicit-def: $vgpr19
	s_and_saveexec_b64 s[4:5], vcc
	s_cbranch_execz .LBB3132_39
; %bb.38:
	v_lshlrev_b32_e32 v20, 1, v20
	v_mov_b32_e32 v21, 0
	v_lshl_add_u64 v[20:21], s[10:11], 0, v[20:21]
	flat_load_ushort v19, v[20:21]
.LBB3132_39:
	s_or_b64 exec, exec, s[4:5]
	v_or_b32_e32 v21, 0x2400, v0
	v_cmp_gt_u32_e32 vcc, s33, v21
                                        ; implicit-def: $vgpr20
	s_and_saveexec_b64 s[4:5], vcc
	s_cbranch_execz .LBB3132_41
; %bb.40:
	v_lshlrev_b32_e32 v20, 1, v21
	v_mov_b32_e32 v21, 0
	v_lshl_add_u64 v[20:21], s[10:11], 0, v[20:21]
	flat_load_ushort v20, v[20:21]
.LBB3132_41:
	s_or_b64 exec, exec, s[4:5]
	v_or_b32_e32 v22, 0x2600, v0
	v_cmp_gt_u32_e32 vcc, s33, v22
                                        ; implicit-def: $vgpr21
	s_and_saveexec_b64 s[4:5], vcc
	s_cbranch_execz .LBB3132_43
; %bb.42:
	v_lshlrev_b32_e32 v22, 1, v22
	v_mov_b32_e32 v23, 0
	v_lshl_add_u64 v[22:23], s[10:11], 0, v[22:23]
	flat_load_ushort v21, v[22:23]
.LBB3132_43:
	s_or_b64 exec, exec, s[4:5]
	v_or_b32_e32 v23, 0x2800, v0
	v_cmp_gt_u32_e32 vcc, s33, v23
                                        ; implicit-def: $vgpr22
	s_and_saveexec_b64 s[4:5], vcc
	s_cbranch_execz .LBB3132_45
; %bb.44:
	v_lshlrev_b32_e32 v22, 1, v23
	v_mov_b32_e32 v23, 0
	v_lshl_add_u64 v[22:23], s[10:11], 0, v[22:23]
	flat_load_ushort v22, v[22:23]
.LBB3132_45:
	s_or_b64 exec, exec, s[4:5]
	v_or_b32_e32 v24, 0x2a00, v0
	v_cmp_gt_u32_e32 vcc, s33, v24
                                        ; implicit-def: $vgpr23
	s_and_saveexec_b64 s[4:5], vcc
	s_cbranch_execz .LBB3132_47
; %bb.46:
	v_lshlrev_b32_e32 v24, 1, v24
	v_mov_b32_e32 v25, 0
	v_lshl_add_u64 v[24:25], s[10:11], 0, v[24:25]
	flat_load_ushort v23, v[24:25]
.LBB3132_47:
	s_or_b64 exec, exec, s[4:5]
	v_or_b32_e32 v25, 0x2c00, v0
	v_cmp_gt_u32_e32 vcc, s33, v25
                                        ; implicit-def: $vgpr24
	s_and_saveexec_b64 s[4:5], vcc
	s_cbranch_execz .LBB3132_49
; %bb.48:
	v_lshlrev_b32_e32 v24, 1, v25
	v_mov_b32_e32 v25, 0
	v_lshl_add_u64 v[24:25], s[10:11], 0, v[24:25]
	flat_load_ushort v24, v[24:25]
.LBB3132_49:
	s_or_b64 exec, exec, s[4:5]
	v_or_b32_e32 v26, 0x2e00, v0
	v_cmp_gt_u32_e32 vcc, s33, v26
                                        ; implicit-def: $vgpr25
	s_and_saveexec_b64 s[4:5], vcc
	s_cbranch_execz .LBB3132_51
; %bb.50:
	v_lshlrev_b32_e32 v26, 1, v26
	v_mov_b32_e32 v27, 0
	v_lshl_add_u64 v[26:27], s[10:11], 0, v[26:27]
	flat_load_ushort v25, v[26:27]
.LBB3132_51:
	s_or_b64 exec, exec, s[4:5]
	v_or_b32_e32 v27, 0x3000, v0
	v_cmp_gt_u32_e32 vcc, s33, v27
                                        ; implicit-def: $vgpr26
	s_and_saveexec_b64 s[4:5], vcc
	s_cbranch_execz .LBB3132_53
; %bb.52:
	v_lshlrev_b32_e32 v26, 1, v27
	v_mov_b32_e32 v27, 0
	v_lshl_add_u64 v[26:27], s[10:11], 0, v[26:27]
	flat_load_ushort v26, v[26:27]
.LBB3132_53:
	s_or_b64 exec, exec, s[4:5]
	v_or_b32_e32 v28, 0x3200, v0
	v_cmp_gt_u32_e32 vcc, s33, v28
                                        ; implicit-def: $vgpr27
	s_and_saveexec_b64 s[4:5], vcc
	s_cbranch_execz .LBB3132_55
; %bb.54:
	v_lshlrev_b32_e32 v28, 1, v28
	v_mov_b32_e32 v29, 0
	v_lshl_add_u64 v[28:29], s[10:11], 0, v[28:29]
	flat_load_ushort v27, v[28:29]
.LBB3132_55:
	s_or_b64 exec, exec, s[4:5]
	v_or_b32_e32 v29, 0x3400, v0
	v_cmp_gt_u32_e32 vcc, s33, v29
                                        ; implicit-def: $vgpr28
	s_and_saveexec_b64 s[4:5], vcc
	s_cbranch_execz .LBB3132_57
; %bb.56:
	v_lshlrev_b32_e32 v28, 1, v29
	v_mov_b32_e32 v29, 0
	v_lshl_add_u64 v[28:29], s[10:11], 0, v[28:29]
	flat_load_ushort v28, v[28:29]
.LBB3132_57:
	s_or_b64 exec, exec, s[4:5]
	v_or_b32_e32 v30, 0x3600, v0
	v_cmp_gt_u32_e32 vcc, s33, v30
                                        ; implicit-def: $vgpr29
	s_and_saveexec_b64 s[4:5], vcc
	s_cbranch_execz .LBB3132_59
; %bb.58:
	v_lshlrev_b32_e32 v30, 1, v30
	v_mov_b32_e32 v31, 0
	v_lshl_add_u64 v[30:31], s[10:11], 0, v[30:31]
	flat_load_ushort v29, v[30:31]
.LBB3132_59:
	s_or_b64 exec, exec, s[4:5]
	s_waitcnt vmcnt(0) lgkmcnt(0)
	ds_write_b16 v14, v1
	ds_write_b16 v14, v2 offset:1024
	ds_write_b16 v14, v3 offset:2048
	;; [unrolled: 1-line block ×27, first 2 shown]
	s_waitcnt lgkmcnt(0)
	s_barrier
.LBB3132_60:
	v_mul_u32_u24_e32 v1, 28, v0
	v_lshlrev_b32_e32 v6, 1, v1
	s_waitcnt lgkmcnt(0)
	ds_read_b64 v[16:17], v6 offset:48
	ds_read2_b64 v[2:5], v6 offset0:4 offset1:5
	ds_read2_b64 v[10:13], v6 offset1:1
	ds_read2_b64 v[6:9], v6 offset0:2 offset1:3
	s_add_u32 s3, s6, s8
	s_addc_u32 s5, s7, s9
	s_add_u32 s4, s3, s30
	s_addc_u32 s5, s5, s31
	s_mov_b64 s[6:7], -1
	s_and_b64 vcc, exec, s[28:29]
	s_waitcnt lgkmcnt(0)
	s_barrier
	s_cbranch_vccz .LBB3132_62
; %bb.61:
	v_mov_b32_e32 v15, 0
	v_lshl_add_u64 v[18:19], s[4:5], 0, v[14:15]
	s_movk_i32 s3, 0x1000
	v_add_co_u32_e32 v20, vcc, s3, v18
	s_movk_i32 s3, 0x2000
	s_nop 0
	v_addc_co_u32_e32 v21, vcc, 0, v19, vcc
	v_add_co_u32_e32 v22, vcc, s3, v18
	s_movk_i32 s6, 0x4000
	s_nop 0
	v_addc_co_u32_e32 v23, vcc, 0, v19, vcc
	global_load_ubyte v15, v14, s[4:5]
	global_load_ubyte v24, v14, s[4:5] offset:1024
	global_load_ubyte v25, v14, s[4:5] offset:2048
	;; [unrolled: 1-line block ×3, first 2 shown]
	global_load_ubyte v27, v[20:21], off offset:1024
	global_load_ubyte v28, v[20:21], off offset:2048
	;; [unrolled: 1-line block ×3, first 2 shown]
	global_load_ubyte v30, v[22:23], off offset:-4096
	global_load_ubyte v31, v[22:23], off
	global_load_ubyte v32, v[22:23], off offset:1024
	v_add_co_u32_e32 v20, vcc, s6, v18
	s_movk_i32 s3, 0x3000
	s_nop 0
	v_addc_co_u32_e32 v21, vcc, 0, v19, vcc
	global_load_ubyte v33, v[22:23], off offset:2048
	global_load_ubyte v34, v[22:23], off offset:3072
	global_load_ubyte v35, v[20:21], off offset:-4096
	v_add_co_u32_e32 v22, vcc, s3, v18
	s_movk_i32 s6, 0x6000
	s_nop 0
	v_addc_co_u32_e32 v23, vcc, 0, v19, vcc
	global_load_ubyte v36, v[22:23], off offset:1024
	global_load_ubyte v37, v[22:23], off offset:2048
	;; [unrolled: 1-line block ×3, first 2 shown]
	global_load_ubyte v39, v[20:21], off
	v_add_co_u32_e32 v22, vcc, s6, v18
	s_movk_i32 s3, 0x5000
	s_nop 0
	v_addc_co_u32_e32 v23, vcc, 0, v19, vcc
	v_add_co_u32_e32 v18, vcc, s3, v18
	global_load_ubyte v40, v[20:21], off offset:1024
	global_load_ubyte v41, v[20:21], off offset:2048
	;; [unrolled: 1-line block ×3, first 2 shown]
	global_load_ubyte v43, v[22:23], off offset:-4096
	v_addc_co_u32_e32 v19, vcc, 0, v19, vcc
	global_load_ubyte v20, v[18:19], off offset:1024
	global_load_ubyte v21, v[18:19], off offset:2048
	;; [unrolled: 1-line block ×3, first 2 shown]
	global_load_ubyte v45, v[22:23], off
	global_load_ubyte v46, v[22:23], off offset:1024
	global_load_ubyte v47, v[22:23], off offset:2048
	global_load_ubyte v48, v[22:23], off offset:3072
	s_mov_b64 s[6:7], 0
	s_waitcnt vmcnt(23)
	v_xor_b32_e32 v23, -1, v27
	v_xor_b32_e32 v15, -1, v15
	;; [unrolled: 1-line block ×5, first 2 shown]
	v_and_b32_e32 v15, 1, v15
	s_waitcnt vmcnt(22)
	v_xor_b32_e32 v24, -1, v28
	s_waitcnt vmcnt(21)
	v_xor_b32_e32 v25, -1, v29
	;; [unrolled: 2-line block ×12, first 2 shown]
	v_and_b32_e32 v18, 1, v18
	v_and_b32_e32 v19, 1, v19
	v_and_b32_e32 v22, 1, v22
	v_and_b32_e32 v23, 1, v23
	s_waitcnt vmcnt(10)
	v_xor_b32_e32 v36, -1, v40
	s_waitcnt vmcnt(9)
	v_xor_b32_e32 v37, -1, v41
	;; [unrolled: 2-line block ×11, first 2 shown]
	v_and_b32_e32 v24, 1, v24
	v_and_b32_e32 v25, 1, v25
	;; [unrolled: 1-line block ×23, first 2 shown]
	ds_write_b8 v0, v15
	ds_write_b8 v0, v18 offset:512
	ds_write_b8 v0, v19 offset:1024
	;; [unrolled: 1-line block ×27, first 2 shown]
	s_waitcnt lgkmcnt(0)
	s_barrier
.LBB3132_62:
	s_load_dwordx2 s[34:35], s[0:1], 0x78
	s_andn2_b64 vcc, exec, s[6:7]
	s_cbranch_vccnz .LBB3132_120
; %bb.63:
	v_cmp_gt_u32_e32 vcc, s33, v0
	v_mov_b32_e32 v15, 0
	v_mov_b32_e32 v18, 0
	s_and_saveexec_b64 s[6:7], vcc
	s_cbranch_execz .LBB3132_65
; %bb.64:
	global_load_ubyte v18, v14, s[4:5]
	s_waitcnt vmcnt(0)
	v_xor_b32_e32 v18, -1, v18
	v_and_b32_e32 v18, 1, v18
.LBB3132_65:
	s_or_b64 exec, exec, s[6:7]
	v_or_b32_e32 v19, 0x200, v0
	v_cmp_gt_u32_e32 vcc, s33, v19
	s_and_saveexec_b64 s[6:7], vcc
	s_cbranch_execz .LBB3132_67
; %bb.66:
	global_load_ubyte v15, v14, s[4:5] offset:1024
	s_waitcnt vmcnt(0)
	v_xor_b32_e32 v15, -1, v15
	v_and_b32_e32 v15, 1, v15
.LBB3132_67:
	s_or_b64 exec, exec, s[6:7]
	v_or_b32_e32 v19, 0x400, v0
	v_cmp_gt_u32_e32 vcc, s33, v19
	v_mov_b32_e32 v19, 0
	v_mov_b32_e32 v20, 0
	s_and_saveexec_b64 s[6:7], vcc
	s_cbranch_execz .LBB3132_69
; %bb.68:
	global_load_ubyte v20, v14, s[4:5] offset:2048
	s_waitcnt vmcnt(0)
	v_xor_b32_e32 v20, -1, v20
	v_and_b32_e32 v20, 1, v20
.LBB3132_69:
	s_or_b64 exec, exec, s[6:7]
	v_or_b32_e32 v21, 0x600, v0
	v_cmp_gt_u32_e32 vcc, s33, v21
	s_and_saveexec_b64 s[6:7], vcc
	s_cbranch_execz .LBB3132_71
; %bb.70:
	global_load_ubyte v19, v14, s[4:5] offset:3072
	s_waitcnt vmcnt(0)
	v_xor_b32_e32 v19, -1, v19
	v_and_b32_e32 v19, 1, v19
.LBB3132_71:
	s_or_b64 exec, exec, s[6:7]
	v_or_b32_e32 v23, 0x800, v0
	v_cmp_gt_u32_e32 vcc, s33, v23
	v_mov_b32_e32 v21, 0
	v_mov_b32_e32 v22, 0
	s_and_saveexec_b64 s[6:7], vcc
	s_cbranch_execz .LBB3132_73
; %bb.72:
	v_lshlrev_b32_e32 v22, 1, v23
	global_load_ubyte v22, v22, s[4:5]
	s_waitcnt vmcnt(0)
	v_xor_b32_e32 v22, -1, v22
	v_and_b32_e32 v22, 1, v22
.LBB3132_73:
	s_or_b64 exec, exec, s[6:7]
	v_or_b32_e32 v23, 0xa00, v0
	v_cmp_gt_u32_e32 vcc, s33, v23
	s_and_saveexec_b64 s[6:7], vcc
	s_cbranch_execz .LBB3132_75
; %bb.74:
	v_lshlrev_b32_e32 v21, 1, v23
	global_load_ubyte v21, v21, s[4:5]
	s_waitcnt vmcnt(0)
	v_xor_b32_e32 v21, -1, v21
	v_and_b32_e32 v21, 1, v21
.LBB3132_75:
	s_or_b64 exec, exec, s[6:7]
	v_or_b32_e32 v25, 0xc00, v0
	v_cmp_gt_u32_e32 vcc, s33, v25
	v_mov_b32_e32 v23, 0
	v_mov_b32_e32 v24, 0
	s_and_saveexec_b64 s[6:7], vcc
	s_cbranch_execz .LBB3132_77
; %bb.76:
	v_lshlrev_b32_e32 v24, 1, v25
	global_load_ubyte v24, v24, s[4:5]
	s_waitcnt vmcnt(0)
	v_xor_b32_e32 v24, -1, v24
	v_and_b32_e32 v24, 1, v24
.LBB3132_77:
	s_or_b64 exec, exec, s[6:7]
	v_or_b32_e32 v25, 0xe00, v0
	v_cmp_gt_u32_e32 vcc, s33, v25
	s_and_saveexec_b64 s[6:7], vcc
	s_cbranch_execz .LBB3132_79
; %bb.78:
	v_lshlrev_b32_e32 v23, 1, v25
	global_load_ubyte v23, v23, s[4:5]
	s_waitcnt vmcnt(0)
	v_xor_b32_e32 v23, -1, v23
	v_and_b32_e32 v23, 1, v23
.LBB3132_79:
	s_or_b64 exec, exec, s[6:7]
	v_or_b32_e32 v27, 0x1000, v0
	v_cmp_gt_u32_e32 vcc, s33, v27
	v_mov_b32_e32 v25, 0
	v_mov_b32_e32 v26, 0
	s_and_saveexec_b64 s[6:7], vcc
	s_cbranch_execz .LBB3132_81
; %bb.80:
	v_lshlrev_b32_e32 v26, 1, v27
	global_load_ubyte v26, v26, s[4:5]
	s_waitcnt vmcnt(0)
	v_xor_b32_e32 v26, -1, v26
	v_and_b32_e32 v26, 1, v26
.LBB3132_81:
	s_or_b64 exec, exec, s[6:7]
	v_or_b32_e32 v27, 0x1200, v0
	v_cmp_gt_u32_e32 vcc, s33, v27
	s_and_saveexec_b64 s[6:7], vcc
	s_cbranch_execz .LBB3132_83
; %bb.82:
	v_lshlrev_b32_e32 v25, 1, v27
	global_load_ubyte v25, v25, s[4:5]
	s_waitcnt vmcnt(0)
	v_xor_b32_e32 v25, -1, v25
	v_and_b32_e32 v25, 1, v25
.LBB3132_83:
	s_or_b64 exec, exec, s[6:7]
	v_or_b32_e32 v29, 0x1400, v0
	v_cmp_gt_u32_e32 vcc, s33, v29
	v_mov_b32_e32 v27, 0
	v_mov_b32_e32 v28, 0
	s_and_saveexec_b64 s[6:7], vcc
	s_cbranch_execz .LBB3132_85
; %bb.84:
	v_lshlrev_b32_e32 v28, 1, v29
	global_load_ubyte v28, v28, s[4:5]
	s_waitcnt vmcnt(0)
	v_xor_b32_e32 v28, -1, v28
	v_and_b32_e32 v28, 1, v28
.LBB3132_85:
	s_or_b64 exec, exec, s[6:7]
	v_or_b32_e32 v29, 0x1600, v0
	v_cmp_gt_u32_e32 vcc, s33, v29
	s_and_saveexec_b64 s[6:7], vcc
	s_cbranch_execz .LBB3132_87
; %bb.86:
	v_lshlrev_b32_e32 v27, 1, v29
	global_load_ubyte v27, v27, s[4:5]
	s_waitcnt vmcnt(0)
	v_xor_b32_e32 v27, -1, v27
	v_and_b32_e32 v27, 1, v27
.LBB3132_87:
	s_or_b64 exec, exec, s[6:7]
	v_or_b32_e32 v31, 0x1800, v0
	v_cmp_gt_u32_e32 vcc, s33, v31
	v_mov_b32_e32 v29, 0
	v_mov_b32_e32 v30, 0
	s_and_saveexec_b64 s[6:7], vcc
	s_cbranch_execz .LBB3132_89
; %bb.88:
	v_lshlrev_b32_e32 v30, 1, v31
	global_load_ubyte v30, v30, s[4:5]
	s_waitcnt vmcnt(0)
	v_xor_b32_e32 v30, -1, v30
	v_and_b32_e32 v30, 1, v30
.LBB3132_89:
	s_or_b64 exec, exec, s[6:7]
	v_or_b32_e32 v31, 0x1a00, v0
	v_cmp_gt_u32_e32 vcc, s33, v31
	s_and_saveexec_b64 s[6:7], vcc
	s_cbranch_execz .LBB3132_91
; %bb.90:
	v_lshlrev_b32_e32 v29, 1, v31
	global_load_ubyte v29, v29, s[4:5]
	s_waitcnt vmcnt(0)
	v_xor_b32_e32 v29, -1, v29
	v_and_b32_e32 v29, 1, v29
.LBB3132_91:
	s_or_b64 exec, exec, s[6:7]
	v_or_b32_e32 v33, 0x1c00, v0
	v_cmp_gt_u32_e32 vcc, s33, v33
	v_mov_b32_e32 v31, 0
	v_mov_b32_e32 v32, 0
	s_and_saveexec_b64 s[6:7], vcc
	s_cbranch_execz .LBB3132_93
; %bb.92:
	v_lshlrev_b32_e32 v32, 1, v33
	global_load_ubyte v32, v32, s[4:5]
	s_waitcnt vmcnt(0)
	v_xor_b32_e32 v32, -1, v32
	v_and_b32_e32 v32, 1, v32
.LBB3132_93:
	s_or_b64 exec, exec, s[6:7]
	v_or_b32_e32 v33, 0x1e00, v0
	v_cmp_gt_u32_e32 vcc, s33, v33
	s_and_saveexec_b64 s[6:7], vcc
	s_cbranch_execz .LBB3132_95
; %bb.94:
	v_lshlrev_b32_e32 v31, 1, v33
	global_load_ubyte v31, v31, s[4:5]
	s_waitcnt vmcnt(0)
	v_xor_b32_e32 v31, -1, v31
	v_and_b32_e32 v31, 1, v31
.LBB3132_95:
	s_or_b64 exec, exec, s[6:7]
	v_or_b32_e32 v35, 0x2000, v0
	v_cmp_gt_u32_e32 vcc, s33, v35
	v_mov_b32_e32 v33, 0
	v_mov_b32_e32 v34, 0
	s_and_saveexec_b64 s[6:7], vcc
	s_cbranch_execz .LBB3132_97
; %bb.96:
	v_lshlrev_b32_e32 v34, 1, v35
	global_load_ubyte v34, v34, s[4:5]
	s_waitcnt vmcnt(0)
	v_xor_b32_e32 v34, -1, v34
	v_and_b32_e32 v34, 1, v34
.LBB3132_97:
	s_or_b64 exec, exec, s[6:7]
	v_or_b32_e32 v35, 0x2200, v0
	v_cmp_gt_u32_e32 vcc, s33, v35
	s_and_saveexec_b64 s[6:7], vcc
	s_cbranch_execz .LBB3132_99
; %bb.98:
	v_lshlrev_b32_e32 v33, 1, v35
	global_load_ubyte v33, v33, s[4:5]
	s_waitcnt vmcnt(0)
	v_xor_b32_e32 v33, -1, v33
	v_and_b32_e32 v33, 1, v33
.LBB3132_99:
	s_or_b64 exec, exec, s[6:7]
	v_or_b32_e32 v37, 0x2400, v0
	v_cmp_gt_u32_e32 vcc, s33, v37
	v_mov_b32_e32 v35, 0
	v_mov_b32_e32 v36, 0
	s_and_saveexec_b64 s[6:7], vcc
	s_cbranch_execz .LBB3132_101
; %bb.100:
	v_lshlrev_b32_e32 v36, 1, v37
	global_load_ubyte v36, v36, s[4:5]
	s_waitcnt vmcnt(0)
	v_xor_b32_e32 v36, -1, v36
	v_and_b32_e32 v36, 1, v36
.LBB3132_101:
	s_or_b64 exec, exec, s[6:7]
	v_or_b32_e32 v37, 0x2600, v0
	v_cmp_gt_u32_e32 vcc, s33, v37
	s_and_saveexec_b64 s[6:7], vcc
	s_cbranch_execz .LBB3132_103
; %bb.102:
	v_lshlrev_b32_e32 v35, 1, v37
	global_load_ubyte v35, v35, s[4:5]
	s_waitcnt vmcnt(0)
	v_xor_b32_e32 v35, -1, v35
	v_and_b32_e32 v35, 1, v35
.LBB3132_103:
	s_or_b64 exec, exec, s[6:7]
	v_or_b32_e32 v39, 0x2800, v0
	v_cmp_gt_u32_e32 vcc, s33, v39
	v_mov_b32_e32 v37, 0
	v_mov_b32_e32 v38, 0
	s_and_saveexec_b64 s[6:7], vcc
	s_cbranch_execz .LBB3132_105
; %bb.104:
	v_lshlrev_b32_e32 v38, 1, v39
	global_load_ubyte v38, v38, s[4:5]
	s_waitcnt vmcnt(0)
	v_xor_b32_e32 v38, -1, v38
	v_and_b32_e32 v38, 1, v38
.LBB3132_105:
	s_or_b64 exec, exec, s[6:7]
	v_or_b32_e32 v39, 0x2a00, v0
	v_cmp_gt_u32_e32 vcc, s33, v39
	s_and_saveexec_b64 s[6:7], vcc
	s_cbranch_execz .LBB3132_107
; %bb.106:
	v_lshlrev_b32_e32 v37, 1, v39
	global_load_ubyte v37, v37, s[4:5]
	s_waitcnt vmcnt(0)
	v_xor_b32_e32 v37, -1, v37
	v_and_b32_e32 v37, 1, v37
.LBB3132_107:
	s_or_b64 exec, exec, s[6:7]
	v_or_b32_e32 v41, 0x2c00, v0
	v_cmp_gt_u32_e32 vcc, s33, v41
	v_mov_b32_e32 v39, 0
	v_mov_b32_e32 v40, 0
	s_and_saveexec_b64 s[6:7], vcc
	s_cbranch_execz .LBB3132_109
; %bb.108:
	v_lshlrev_b32_e32 v40, 1, v41
	global_load_ubyte v40, v40, s[4:5]
	s_waitcnt vmcnt(0)
	v_xor_b32_e32 v40, -1, v40
	v_and_b32_e32 v40, 1, v40
.LBB3132_109:
	s_or_b64 exec, exec, s[6:7]
	v_or_b32_e32 v41, 0x2e00, v0
	v_cmp_gt_u32_e32 vcc, s33, v41
	s_and_saveexec_b64 s[6:7], vcc
	s_cbranch_execz .LBB3132_111
; %bb.110:
	v_lshlrev_b32_e32 v39, 1, v41
	global_load_ubyte v39, v39, s[4:5]
	s_waitcnt vmcnt(0)
	v_xor_b32_e32 v39, -1, v39
	v_and_b32_e32 v39, 1, v39
.LBB3132_111:
	s_or_b64 exec, exec, s[6:7]
	v_or_b32_e32 v43, 0x3000, v0
	v_cmp_gt_u32_e32 vcc, s33, v43
	v_mov_b32_e32 v41, 0
	v_mov_b32_e32 v42, 0
	s_and_saveexec_b64 s[6:7], vcc
	s_cbranch_execz .LBB3132_113
; %bb.112:
	v_lshlrev_b32_e32 v42, 1, v43
	global_load_ubyte v42, v42, s[4:5]
	s_waitcnt vmcnt(0)
	v_xor_b32_e32 v42, -1, v42
	v_and_b32_e32 v42, 1, v42
.LBB3132_113:
	s_or_b64 exec, exec, s[6:7]
	v_or_b32_e32 v43, 0x3200, v0
	v_cmp_gt_u32_e32 vcc, s33, v43
	s_and_saveexec_b64 s[6:7], vcc
	s_cbranch_execz .LBB3132_115
; %bb.114:
	v_lshlrev_b32_e32 v41, 1, v43
	global_load_ubyte v41, v41, s[4:5]
	s_waitcnt vmcnt(0)
	v_xor_b32_e32 v41, -1, v41
	v_and_b32_e32 v41, 1, v41
.LBB3132_115:
	s_or_b64 exec, exec, s[6:7]
	v_or_b32_e32 v45, 0x3400, v0
	v_cmp_gt_u32_e32 vcc, s33, v45
	v_mov_b32_e32 v43, 0
	v_mov_b32_e32 v44, 0
	s_and_saveexec_b64 s[6:7], vcc
	s_cbranch_execz .LBB3132_117
; %bb.116:
	v_lshlrev_b32_e32 v44, 1, v45
	global_load_ubyte v44, v44, s[4:5]
	s_waitcnt vmcnt(0)
	v_xor_b32_e32 v44, -1, v44
	v_and_b32_e32 v44, 1, v44
.LBB3132_117:
	s_or_b64 exec, exec, s[6:7]
	v_or_b32_e32 v45, 0x3600, v0
	v_cmp_gt_u32_e32 vcc, s33, v45
	s_and_saveexec_b64 s[6:7], vcc
	s_cbranch_execz .LBB3132_119
; %bb.118:
	v_lshlrev_b32_e32 v43, 1, v45
	global_load_ubyte v43, v43, s[4:5]
	s_waitcnt vmcnt(0)
	v_xor_b32_e32 v43, -1, v43
	v_and_b32_e32 v43, 1, v43
.LBB3132_119:
	s_or_b64 exec, exec, s[6:7]
	ds_write_b8 v0, v18
	ds_write_b8 v0, v15 offset:512
	ds_write_b8 v0, v20 offset:1024
	;; [unrolled: 1-line block ×27, first 2 shown]
	s_waitcnt lgkmcnt(0)
	s_barrier
.LBB3132_120:
	s_waitcnt lgkmcnt(0)
	ds_read2_b32 v[24:25], v1 offset1:1
	ds_read2_b32 v[22:23], v1 offset0:2 offset1:3
	ds_read2_b32 v[20:21], v1 offset0:4 offset1:5
	ds_read_b32 v34, v1 offset:24
	s_cmp_lg_u32 s2, 0
	v_lshrrev_b32_e32 v61, 6, v0
	s_waitcnt lgkmcnt(2)
	v_and_b32_e32 v53, 0xff, v22
	v_lshrrev_b32_e32 v41, 24, v24
	v_bfe_u32 v59, v24, 16, 8
	v_add_u32_sdwa v18, v24, v24 dst_sel:DWORD dst_unused:UNUSED_PAD src0_sel:BYTE_1 src1_sel:BYTE_0
	v_and_b32_e32 v56, 0xff, v25
	v_bfe_u32 v57, v25, 8, 8
	v_add3_u32 v18, v18, v59, v41
	v_lshrrev_b32_e32 v40, 24, v25
	v_bfe_u32 v58, v25, 16, 8
	v_add3_u32 v18, v18, v56, v57
	v_bfe_u32 v54, v22, 8, 8
	v_add3_u32 v18, v18, v58, v40
	v_lshrrev_b32_e32 v39, 24, v22
	v_bfe_u32 v55, v22, 16, 8
	v_add3_u32 v18, v18, v53, v54
	v_and_b32_e32 v50, 0xff, v23
	v_bfe_u32 v51, v23, 8, 8
	v_add3_u32 v18, v18, v55, v39
	v_lshrrev_b32_e32 v38, 24, v23
	v_bfe_u32 v52, v23, 16, 8
	v_add3_u32 v18, v18, v50, v51
	s_waitcnt lgkmcnt(1)
	v_and_b32_e32 v47, 0xff, v20
	v_bfe_u32 v48, v20, 8, 8
	v_add3_u32 v18, v18, v52, v38
	v_lshrrev_b32_e32 v37, 24, v20
	v_bfe_u32 v49, v20, 16, 8
	v_add3_u32 v18, v18, v47, v48
	v_and_b32_e32 v44, 0xff, v21
	v_bfe_u32 v45, v21, 8, 8
	v_add3_u32 v18, v18, v49, v37
	v_lshrrev_b32_e32 v36, 24, v21
	v_bfe_u32 v46, v21, 16, 8
	v_add3_u32 v18, v18, v44, v45
	s_waitcnt lgkmcnt(0)
	v_and_b32_e32 v42, 0xff, v34
	v_bfe_u32 v43, v34, 8, 8
	v_add3_u32 v18, v18, v46, v36
	v_lshrrev_b32_e32 v15, 24, v34
	v_bfe_u32 v35, v34, 16, 8
	v_add3_u32 v18, v18, v42, v43
	v_add3_u32 v62, v18, v35, v15
	v_mbcnt_lo_u32_b32 v18, -1, 0
	v_mbcnt_hi_u32_b32 v60, -1, v18
	v_and_b32_e32 v18, 15, v60
	v_cmp_eq_u32_e64 s[14:15], 0, v18
	v_cmp_lt_u32_e64 s[12:13], 1, v18
	v_cmp_lt_u32_e64 s[10:11], 3, v18
	v_cmp_lt_u32_e64 s[8:9], 7, v18
	v_and_b32_e32 v18, 16, v60
	v_cmp_eq_u32_e64 s[6:7], 0, v18
	v_or_b32_e32 v18, 63, v0
	v_cmp_lt_u32_e64 s[18:19], 31, v60
	v_cmp_eq_u32_e64 s[4:5], v18, v0
	s_barrier
	s_cbranch_scc0 .LBB3132_147
; %bb.121:
	v_mov_b32_dpp v18, v62 row_shr:1 row_mask:0xf bank_mask:0xf
	v_cndmask_b32_e64 v18, v18, 0, s[14:15]
	v_add_u32_e32 v18, v18, v62
	s_nop 1
	v_mov_b32_dpp v19, v18 row_shr:2 row_mask:0xf bank_mask:0xf
	v_cndmask_b32_e64 v19, 0, v19, s[12:13]
	v_add_u32_e32 v18, v18, v19
	s_nop 1
	;; [unrolled: 4-line block ×4, first 2 shown]
	v_mov_b32_dpp v19, v18 row_bcast:15 row_mask:0xf bank_mask:0xf
	v_cndmask_b32_e64 v19, v19, 0, s[6:7]
	v_add_u32_e32 v18, v18, v19
	s_nop 1
	v_mov_b32_dpp v19, v18 row_bcast:31 row_mask:0xf bank_mask:0xf
	v_cndmask_b32_e64 v19, 0, v19, s[18:19]
	v_add_u32_e32 v18, v18, v19
	s_and_saveexec_b64 s[16:17], s[4:5]
	s_cbranch_execz .LBB3132_123
; %bb.122:
	v_lshlrev_b32_e32 v19, 2, v61
	ds_write_b32 v19, v18
.LBB3132_123:
	s_or_b64 exec, exec, s[16:17]
	v_cmp_gt_u32_e32 vcc, 8, v0
	s_waitcnt lgkmcnt(0)
	s_barrier
	s_and_saveexec_b64 s[16:17], vcc
	s_cbranch_execz .LBB3132_125
; %bb.124:
	v_lshlrev_b32_e32 v19, 2, v0
	ds_read_b32 v26, v19
	v_and_b32_e32 v27, 7, v60
	v_cmp_ne_u32_e32 vcc, 0, v27
	s_waitcnt lgkmcnt(0)
	v_mov_b32_dpp v28, v26 row_shr:1 row_mask:0xf bank_mask:0xf
	v_cndmask_b32_e32 v28, 0, v28, vcc
	v_add_u32_e32 v26, v28, v26
	v_cmp_lt_u32_e32 vcc, 1, v27
	s_nop 0
	v_mov_b32_dpp v28, v26 row_shr:2 row_mask:0xf bank_mask:0xf
	v_cndmask_b32_e32 v28, 0, v28, vcc
	v_add_u32_e32 v26, v26, v28
	v_cmp_lt_u32_e32 vcc, 3, v27
	s_nop 0
	v_mov_b32_dpp v28, v26 row_shr:4 row_mask:0xf bank_mask:0xf
	v_cndmask_b32_e32 v27, 0, v28, vcc
	v_add_u32_e32 v26, v26, v27
	ds_write_b32 v19, v26
.LBB3132_125:
	s_or_b64 exec, exec, s[16:17]
	v_cmp_gt_u32_e32 vcc, 64, v0
	v_cmp_lt_u32_e64 s[16:17], 63, v0
	s_waitcnt lgkmcnt(0)
	s_barrier
	s_waitcnt lgkmcnt(0)
                                        ; implicit-def: $vgpr63
	s_and_saveexec_b64 s[36:37], s[16:17]
	s_cbranch_execz .LBB3132_127
; %bb.126:
	v_lshl_add_u32 v19, v61, 2, -4
	ds_read_b32 v63, v19
	s_waitcnt lgkmcnt(0)
	v_add_u32_e32 v18, v63, v18
.LBB3132_127:
	s_or_b64 exec, exec, s[36:37]
	v_add_u32_e32 v19, -1, v60
	v_and_b32_e32 v26, 64, v60
	v_cmp_lt_i32_e64 s[16:17], v19, v26
	s_nop 1
	v_cndmask_b32_e64 v19, v19, v60, s[16:17]
	v_lshlrev_b32_e32 v19, 2, v19
	ds_bpermute_b32 v64, v19, v18
	v_cmp_eq_u32_e64 s[16:17], 0, v60
	s_and_saveexec_b64 s[36:37], vcc
	s_cbranch_execz .LBB3132_146
; %bb.128:
	v_mov_b32_e32 v31, 0
	ds_read_b32 v18, v31 offset:28
	s_and_saveexec_b64 s[38:39], s[16:17]
	s_cbranch_execz .LBB3132_130
; %bb.129:
	s_add_i32 s40, s2, 64
	s_mov_b32 s41, 0
	s_lshl_b64 s[40:41], s[40:41], 3
	s_add_u32 s40, s34, s40
	v_mov_b32_e32 v19, 1
	s_addc_u32 s41, s35, s41
	s_waitcnt lgkmcnt(0)
	global_store_dwordx2 v31, v[18:19], s[40:41] sc1
.LBB3132_130:
	s_or_b64 exec, exec, s[38:39]
	v_xad_u32 v26, v60, -1, s2
	v_add_u32_e32 v30, 64, v26
	v_lshl_add_u64 v[32:33], v[30:31], 3, s[34:35]
	global_load_dwordx2 v[28:29], v[32:33], off sc1
	s_waitcnt vmcnt(0)
	v_cmp_eq_u16_sdwa s[40:41], v29, v31 src0_sel:BYTE_0 src1_sel:DWORD
	s_and_saveexec_b64 s[38:39], s[40:41]
	s_cbranch_execz .LBB3132_134
; %bb.131:
	s_mov_b64 s[40:41], 0
	v_mov_b32_e32 v19, 0
.LBB3132_132:                           ; =>This Inner Loop Header: Depth=1
	global_load_dwordx2 v[28:29], v[32:33], off sc1
	s_waitcnt vmcnt(0)
	v_cmp_ne_u16_sdwa s[42:43], v29, v19 src0_sel:BYTE_0 src1_sel:DWORD
	s_or_b64 s[40:41], s[42:43], s[40:41]
	s_andn2_b64 exec, exec, s[40:41]
	s_cbranch_execnz .LBB3132_132
; %bb.133:
	s_or_b64 exec, exec, s[40:41]
.LBB3132_134:
	s_or_b64 exec, exec, s[38:39]
	v_and_b32_e32 v66, 63, v60
	v_mov_b32_e32 v65, 2
	v_cmp_ne_u32_e32 vcc, 63, v66
	v_cmp_eq_u16_sdwa s[38:39], v29, v65 src0_sel:BYTE_0 src1_sel:DWORD
	v_lshlrev_b64 v[30:31], v60, -1
	v_addc_co_u32_e32 v32, vcc, 0, v60, vcc
	v_and_b32_e32 v19, s39, v31
	v_lshlrev_b32_e32 v67, 2, v32
	v_or_b32_e32 v19, 0x80000000, v19
	ds_bpermute_b32 v32, v67, v28
	v_and_b32_e32 v27, s38, v30
	v_ffbl_b32_e32 v19, v19
	v_add_u32_e32 v19, 32, v19
	v_ffbl_b32_e32 v27, v27
	v_min_u32_e32 v19, v27, v19
	v_cmp_lt_u32_e32 vcc, v66, v19
	v_add_u32_e32 v69, 2, v66
	v_add_u32_e32 v71, 4, v66
	s_waitcnt lgkmcnt(0)
	v_cndmask_b32_e32 v27, 0, v32, vcc
	v_cmp_gt_u32_e32 vcc, 62, v66
	v_add_u32_e32 v27, v27, v28
	v_add_u32_e32 v73, 8, v66
	v_cndmask_b32_e64 v28, 0, 1, vcc
	v_lshlrev_b32_e32 v28, 1, v28
	v_add_lshl_u32 v68, v28, v60, 2
	ds_bpermute_b32 v28, v68, v27
	v_cmp_le_u32_e32 vcc, v69, v19
	v_add_u32_e32 v75, 16, v66
	v_add_u32_e32 v77, 32, v66
	s_waitcnt lgkmcnt(0)
	v_cndmask_b32_e32 v28, 0, v28, vcc
	v_cmp_gt_u32_e32 vcc, 60, v66
	v_add_u32_e32 v27, v27, v28
	s_nop 0
	v_cndmask_b32_e64 v28, 0, 1, vcc
	v_lshlrev_b32_e32 v28, 2, v28
	v_add_lshl_u32 v70, v28, v60, 2
	ds_bpermute_b32 v28, v70, v27
	v_cmp_le_u32_e32 vcc, v71, v19
	s_waitcnt lgkmcnt(0)
	s_nop 0
	v_cndmask_b32_e32 v28, 0, v28, vcc
	v_cmp_gt_u32_e32 vcc, 56, v66
	v_add_u32_e32 v27, v27, v28
	s_nop 0
	v_cndmask_b32_e64 v28, 0, 1, vcc
	v_lshlrev_b32_e32 v28, 3, v28
	v_add_lshl_u32 v72, v28, v60, 2
	ds_bpermute_b32 v28, v72, v27
	v_cmp_le_u32_e32 vcc, v73, v19
	s_waitcnt lgkmcnt(0)
	s_nop 0
	;; [unrolled: 11-line block ×4, first 2 shown]
	v_cndmask_b32_e32 v19, 0, v28, vcc
	v_add_u32_e32 v28, v27, v19
	v_mov_b32_e32 v27, 0
	s_branch .LBB3132_136
.LBB3132_135:                           ;   in Loop: Header=BB3132_136 Depth=1
	s_or_b64 exec, exec, s[38:39]
	v_cmp_eq_u16_sdwa s[38:39], v29, v65 src0_sel:BYTE_0 src1_sel:DWORD
	ds_bpermute_b32 v78, v67, v28
	v_subrev_u32_e32 v26, 64, v26
	v_and_b32_e32 v32, s39, v31
	v_or_b32_e32 v32, 0x80000000, v32
	v_and_b32_e32 v33, s38, v30
	v_ffbl_b32_e32 v32, v32
	v_add_u32_e32 v32, 32, v32
	v_ffbl_b32_e32 v33, v33
	v_min_u32_e32 v32, v33, v32
	v_cmp_lt_u32_e32 vcc, v66, v32
	s_waitcnt lgkmcnt(0)
	s_nop 0
	v_cndmask_b32_e32 v33, 0, v78, vcc
	v_add_u32_e32 v28, v33, v28
	ds_bpermute_b32 v33, v68, v28
	v_cmp_le_u32_e32 vcc, v69, v32
	s_waitcnt lgkmcnt(0)
	s_nop 0
	v_cndmask_b32_e32 v33, 0, v33, vcc
	v_add_u32_e32 v28, v28, v33
	ds_bpermute_b32 v33, v70, v28
	v_cmp_le_u32_e32 vcc, v71, v32
	;; [unrolled: 6-line block ×5, first 2 shown]
	s_waitcnt lgkmcnt(0)
	s_nop 0
	v_cndmask_b32_e32 v32, 0, v33, vcc
	v_add3_u32 v28, v32, v19, v28
.LBB3132_136:                           ; =>This Loop Header: Depth=1
                                        ;     Child Loop BB3132_139 Depth 2
	v_cmp_ne_u16_sdwa s[38:39], v29, v65 src0_sel:BYTE_0 src1_sel:DWORD
	s_nop 1
	v_cndmask_b32_e64 v19, 0, 1, s[38:39]
	;;#ASMSTART
	;;#ASMEND
	s_nop 0
	v_cmp_ne_u32_e32 vcc, 0, v19
	s_cmp_lg_u64 vcc, exec
	v_mov_b32_e32 v19, v28
	s_cbranch_scc1 .LBB3132_141
; %bb.137:                              ;   in Loop: Header=BB3132_136 Depth=1
	v_lshl_add_u64 v[32:33], v[26:27], 3, s[34:35]
	global_load_dwordx2 v[28:29], v[32:33], off sc1
	s_waitcnt vmcnt(0)
	v_cmp_eq_u16_sdwa s[40:41], v29, v27 src0_sel:BYTE_0 src1_sel:DWORD
	s_and_saveexec_b64 s[38:39], s[40:41]
	s_cbranch_execz .LBB3132_135
; %bb.138:                              ;   in Loop: Header=BB3132_136 Depth=1
	s_mov_b64 s[40:41], 0
.LBB3132_139:                           ;   Parent Loop BB3132_136 Depth=1
                                        ; =>  This Inner Loop Header: Depth=2
	global_load_dwordx2 v[28:29], v[32:33], off sc1
	s_waitcnt vmcnt(0)
	v_cmp_ne_u16_sdwa s[42:43], v29, v27 src0_sel:BYTE_0 src1_sel:DWORD
	s_or_b64 s[40:41], s[42:43], s[40:41]
	s_andn2_b64 exec, exec, s[40:41]
	s_cbranch_execnz .LBB3132_139
; %bb.140:                              ;   in Loop: Header=BB3132_136 Depth=1
	s_or_b64 exec, exec, s[40:41]
	s_branch .LBB3132_135
.LBB3132_141:                           ;   in Loop: Header=BB3132_136 Depth=1
                                        ; implicit-def: $vgpr28
                                        ; implicit-def: $vgpr29
	s_cbranch_execz .LBB3132_136
; %bb.142:
	s_and_saveexec_b64 s[38:39], s[16:17]
	s_cbranch_execz .LBB3132_144
; %bb.143:
	s_add_i32 s2, s2, 64
	s_mov_b32 s3, 0
	s_lshl_b64 s[2:3], s[2:3], 3
	s_add_u32 s2, s34, s2
	v_add_u32_e32 v26, v19, v18
	v_mov_b32_e32 v27, 2
	s_addc_u32 s3, s35, s3
	v_mov_b32_e32 v28, 0
	global_store_dwordx2 v28, v[26:27], s[2:3] sc1
	ds_write_b64 v28, v[18:19] offset:28672
.LBB3132_144:
	s_or_b64 exec, exec, s[38:39]
	v_cmp_eq_u32_e32 vcc, 0, v0
	s_and_b64 exec, exec, vcc
	s_cbranch_execz .LBB3132_146
; %bb.145:
	v_mov_b32_e32 v18, 0
	ds_write_b32 v18, v19 offset:28
.LBB3132_146:
	s_or_b64 exec, exec, s[36:37]
	v_mov_b32_e32 v18, 0
	s_waitcnt lgkmcnt(0)
	s_barrier
	ds_read_b32 v27, v18 offset:28
	s_waitcnt lgkmcnt(0)
	s_barrier
	ds_read_b64 v[18:19], v18 offset:28672
	v_cndmask_b32_e64 v26, v64, v63, s[16:17]
	v_cmp_ne_u32_e32 vcc, 0, v0
	s_nop 1
	v_cndmask_b32_e32 v26, 0, v26, vcc
	v_add_u32_e32 v32, v27, v26
	s_waitcnt lgkmcnt(0)
	v_mov_b32_e32 v26, v19
	s_branch .LBB3132_157
.LBB3132_147:
                                        ; implicit-def: $vgpr26
                                        ; implicit-def: $vgpr18
                                        ; implicit-def: $vgpr32
	s_cbranch_execz .LBB3132_157
; %bb.148:
	s_nop 0
	v_mov_b32_dpp v18, v62 row_shr:1 row_mask:0xf bank_mask:0xf
	v_cndmask_b32_e64 v18, v18, 0, s[14:15]
	v_add_u32_e32 v18, v18, v62
	s_nop 1
	v_mov_b32_dpp v19, v18 row_shr:2 row_mask:0xf bank_mask:0xf
	v_cndmask_b32_e64 v19, 0, v19, s[12:13]
	v_add_u32_e32 v18, v18, v19
	;; [unrolled: 4-line block ×4, first 2 shown]
	s_nop 1
	v_mov_b32_dpp v19, v18 row_bcast:15 row_mask:0xf bank_mask:0xf
	v_cndmask_b32_e64 v19, v19, 0, s[6:7]
	v_add_u32_e32 v18, v18, v19
	s_nop 1
	v_mov_b32_dpp v19, v18 row_bcast:31 row_mask:0xf bank_mask:0xf
	v_cndmask_b32_e64 v19, 0, v19, s[18:19]
	v_add_u32_e32 v18, v18, v19
	s_and_saveexec_b64 s[2:3], s[4:5]
	s_cbranch_execz .LBB3132_150
; %bb.149:
	v_lshlrev_b32_e32 v19, 2, v61
	ds_write_b32 v19, v18
.LBB3132_150:
	s_or_b64 exec, exec, s[2:3]
	v_cmp_gt_u32_e32 vcc, 8, v0
	s_waitcnt lgkmcnt(0)
	s_barrier
	s_and_saveexec_b64 s[2:3], vcc
	s_cbranch_execz .LBB3132_152
; %bb.151:
	v_lshlrev_b32_e32 v19, 2, v0
	ds_read_b32 v26, v19
	v_and_b32_e32 v27, 7, v60
	v_cmp_ne_u32_e32 vcc, 0, v27
	s_waitcnt lgkmcnt(0)
	v_mov_b32_dpp v28, v26 row_shr:1 row_mask:0xf bank_mask:0xf
	v_cndmask_b32_e32 v28, 0, v28, vcc
	v_add_u32_e32 v26, v28, v26
	v_cmp_lt_u32_e32 vcc, 1, v27
	s_nop 0
	v_mov_b32_dpp v28, v26 row_shr:2 row_mask:0xf bank_mask:0xf
	v_cndmask_b32_e32 v28, 0, v28, vcc
	v_add_u32_e32 v26, v26, v28
	v_cmp_lt_u32_e32 vcc, 3, v27
	s_nop 0
	v_mov_b32_dpp v28, v26 row_shr:4 row_mask:0xf bank_mask:0xf
	v_cndmask_b32_e32 v27, 0, v28, vcc
	v_add_u32_e32 v26, v26, v27
	ds_write_b32 v19, v26
.LBB3132_152:
	s_or_b64 exec, exec, s[2:3]
	v_cmp_lt_u32_e32 vcc, 63, v0
	v_mov_b32_e32 v19, 0
	v_mov_b32_e32 v26, 0
	s_waitcnt lgkmcnt(0)
	s_barrier
	s_and_saveexec_b64 s[2:3], vcc
	s_cbranch_execz .LBB3132_154
; %bb.153:
	v_lshl_add_u32 v26, v61, 2, -4
	ds_read_b32 v26, v26
.LBB3132_154:
	s_or_b64 exec, exec, s[2:3]
	v_add_u32_e32 v27, -1, v60
	v_and_b32_e32 v28, 64, v60
	v_cmp_lt_i32_e32 vcc, v27, v28
	s_waitcnt lgkmcnt(0)
	v_add_u32_e32 v18, v26, v18
	v_cndmask_b32_e32 v27, v27, v60, vcc
	v_lshlrev_b32_e32 v27, 2, v27
	ds_bpermute_b32 v27, v27, v18
	ds_read_b32 v18, v19 offset:28
	v_cmp_eq_u32_e32 vcc, 0, v0
	s_and_saveexec_b64 s[2:3], vcc
	s_cbranch_execz .LBB3132_156
; %bb.155:
	v_mov_b32_e32 v28, 0
	v_mov_b32_e32 v19, 2
	s_waitcnt lgkmcnt(0)
	global_store_dwordx2 v28, v[18:19], s[34:35] offset:512 sc1
.LBB3132_156:
	s_or_b64 exec, exec, s[2:3]
	v_cmp_eq_u32_e64 s[2:3], 0, v60
	s_waitcnt lgkmcnt(0)
	s_barrier
	v_cndmask_b32_e64 v19, v27, v26, s[2:3]
	v_mov_b32_e32 v26, 0
	v_cndmask_b32_e64 v32, v19, 0, vcc
.LBB3132_157:
	v_add_u32_sdwa v60, v32, v24 dst_sel:DWORD dst_unused:UNUSED_PAD src0_sel:DWORD src1_sel:BYTE_0
	v_add_u32_e32 v1, v18, v1
	v_sub_u32_e32 v32, v32, v26
	v_and_b32_e32 v69, 1, v24
	v_sub_u32_e32 v68, v1, v32
	v_cmp_eq_u32_e32 vcc, 1, v69
	v_lshrrev_b32_e32 v33, 8, v24
	v_add_u32_sdwa v61, v60, v24 dst_sel:DWORD dst_unused:UNUSED_PAD src0_sel:DWORD src1_sel:BYTE_1
	v_cndmask_b32_e32 v32, v68, v32, vcc
	v_lshlrev_b32_e32 v32, 1, v32
	ds_write_b16 v32, v10
	v_sub_u32_e32 v32, v60, v26
	v_sub_u32_e32 v60, v1, v32
	v_and_b32_e32 v33, 1, v33
	v_add_u32_e32 v60, 1, v60
	v_cmp_eq_u32_e32 vcc, 1, v33
	v_mov_b32_e32 v33, 1
	v_and_b32_sdwa v24, v33, v24 dst_sel:DWORD dst_unused:UNUSED_PAD src0_sel:DWORD src1_sel:WORD_1
	v_cndmask_b32_e32 v32, v60, v32, vcc
	v_lshlrev_b32_e32 v32, 1, v32
	ds_write_b16_d16_hi v32, v10
	v_sub_u32_e32 v10, v61, v26
	v_sub_u32_e32 v32, v1, v10
	v_add_u32_e32 v32, 2, v32
	v_cmp_eq_u32_e32 vcc, 1, v24
	v_add_u32_e32 v59, v61, v59
	v_add_u32_e32 v62, v59, v41
	v_cndmask_b32_e32 v10, v32, v10, vcc
	v_lshlrev_b32_e32 v10, 1, v10
	ds_write_b16 v10, v11
	v_sub_u32_e32 v10, v59, v26
	v_sub_u32_e32 v24, v1, v10
	v_and_b32_e32 v32, 1, v41
	v_add_u32_e32 v24, 3, v24
	v_cmp_eq_u32_e32 vcc, 1, v32
	v_add_u32_e32 v56, v62, v56
	v_lshrrev_b32_e32 v31, 8, v25
	v_cndmask_b32_e32 v10, v24, v10, vcc
	v_lshlrev_b32_e32 v10, 1, v10
	ds_write_b16_d16_hi v10, v11
	v_sub_u32_e32 v10, v62, v26
	v_sub_u32_e32 v11, v1, v10
	v_and_b32_e32 v24, 1, v25
	v_add_u32_e32 v11, 4, v11
	v_cmp_eq_u32_e32 vcc, 1, v24
	v_and_b32_e32 v24, 1, v31
	v_add_u32_e32 v57, v56, v57
	v_cndmask_b32_e32 v10, v11, v10, vcc
	v_lshlrev_b32_e32 v10, 1, v10
	ds_write_b16 v10, v12
	v_sub_u32_e32 v10, v56, v26
	v_sub_u32_e32 v11, v1, v10
	v_add_u32_e32 v11, 5, v11
	v_cmp_eq_u32_e32 vcc, 1, v24
	v_add_u32_e32 v58, v57, v58
	v_add_u32_e32 v63, v58, v40
	v_cndmask_b32_e32 v10, v11, v10, vcc
	v_lshlrev_b32_e32 v10, 1, v10
	ds_write_b16_d16_hi v10, v12
	v_sub_u32_e32 v10, v57, v26
	v_sub_u32_e32 v11, v1, v10
	v_and_b32_sdwa v12, v33, v25 dst_sel:DWORD dst_unused:UNUSED_PAD src0_sel:DWORD src1_sel:WORD_1
	v_add_u32_e32 v11, 6, v11
	v_cmp_eq_u32_e32 vcc, 1, v12
	v_and_b32_e32 v12, 1, v40
	v_add_u32_e32 v53, v63, v53
	v_cndmask_b32_e32 v10, v11, v10, vcc
	v_lshlrev_b32_e32 v10, 1, v10
	ds_write_b16 v10, v13
	v_sub_u32_e32 v10, v58, v26
	v_sub_u32_e32 v11, v1, v10
	v_add_u32_e32 v11, 7, v11
	v_cmp_eq_u32_e32 vcc, 1, v12
	v_and_b32_e32 v12, 1, v22
	v_lshrrev_b32_e32 v30, 8, v22
	v_cndmask_b32_e32 v10, v11, v10, vcc
	v_lshlrev_b32_e32 v10, 1, v10
	ds_write_b16_d16_hi v10, v13
	v_sub_u32_e32 v10, v63, v26
	v_sub_u32_e32 v11, v1, v10
	v_add_u32_e32 v11, 8, v11
	v_cmp_eq_u32_e32 vcc, 1, v12
	v_and_b32_e32 v12, 1, v30
	v_add_u32_e32 v54, v53, v54
	v_cndmask_b32_e32 v10, v11, v10, vcc
	v_lshlrev_b32_e32 v10, 1, v10
	ds_write_b16 v10, v6
	v_sub_u32_e32 v10, v53, v26
	v_sub_u32_e32 v11, v1, v10
	v_add_u32_e32 v11, 9, v11
	v_cmp_eq_u32_e32 vcc, 1, v12
	v_add_u32_e32 v55, v54, v55
	v_add_u32_e32 v64, v55, v39
	v_cndmask_b32_e32 v10, v11, v10, vcc
	v_lshlrev_b32_e32 v10, 1, v10
	ds_write_b16_d16_hi v10, v6
	v_sub_u32_e32 v6, v54, v26
	v_sub_u32_e32 v10, v1, v6
	v_and_b32_sdwa v11, v33, v22 dst_sel:DWORD dst_unused:UNUSED_PAD src0_sel:DWORD src1_sel:WORD_1
	v_add_u32_e32 v10, 10, v10
	v_cmp_eq_u32_e32 vcc, 1, v11
	v_and_b32_e32 v11, 1, v39
	v_add_u32_e32 v50, v64, v50
	v_cndmask_b32_e32 v6, v10, v6, vcc
	v_lshlrev_b32_e32 v6, 1, v6
	ds_write_b16 v6, v7
	v_sub_u32_e32 v6, v55, v26
	v_sub_u32_e32 v10, v1, v6
	v_add_u32_e32 v10, 11, v10
	v_cmp_eq_u32_e32 vcc, 1, v11
	v_lshrrev_b32_e32 v29, 8, v23
	v_add_u32_e32 v51, v50, v51
	v_cndmask_b32_e32 v6, v10, v6, vcc
	v_lshlrev_b32_e32 v6, 1, v6
	ds_write_b16_d16_hi v6, v7
	v_sub_u32_e32 v6, v64, v26
	v_sub_u32_e32 v7, v1, v6
	v_and_b32_e32 v10, 1, v23
	v_add_u32_e32 v7, 12, v7
	v_cmp_eq_u32_e32 vcc, 1, v10
	v_and_b32_e32 v10, 1, v29
	v_add_u32_e32 v52, v51, v52
	v_cndmask_b32_e32 v6, v7, v6, vcc
	v_lshlrev_b32_e32 v6, 1, v6
	ds_write_b16 v6, v8
	v_sub_u32_e32 v6, v50, v26
	v_sub_u32_e32 v7, v1, v6
	v_add_u32_e32 v7, 13, v7
	v_cmp_eq_u32_e32 vcc, 1, v10
	v_add_u32_e32 v65, v52, v38
	v_add_u32_e32 v47, v65, v47
	v_cndmask_b32_e32 v6, v7, v6, vcc
	v_lshlrev_b32_e32 v6, 1, v6
	ds_write_b16_d16_hi v6, v8
	v_sub_u32_e32 v6, v51, v26
	v_sub_u32_e32 v7, v1, v6
	v_and_b32_sdwa v8, v33, v23 dst_sel:DWORD dst_unused:UNUSED_PAD src0_sel:DWORD src1_sel:WORD_1
	v_add_u32_e32 v7, 14, v7
	v_cmp_eq_u32_e32 vcc, 1, v8
	v_and_b32_e32 v8, 1, v38
	v_lshrrev_b32_e32 v28, 8, v20
	v_cndmask_b32_e32 v6, v7, v6, vcc
	v_lshlrev_b32_e32 v6, 1, v6
	ds_write_b16 v6, v9
	v_sub_u32_e32 v6, v52, v26
	v_sub_u32_e32 v7, v1, v6
	v_add_u32_e32 v7, 15, v7
	v_cmp_eq_u32_e32 vcc, 1, v8
	v_and_b32_e32 v8, 1, v20
	v_add_u32_e32 v48, v47, v48
	v_cndmask_b32_e32 v6, v7, v6, vcc
	v_lshlrev_b32_e32 v6, 1, v6
	ds_write_b16_d16_hi v6, v9
	v_sub_u32_e32 v6, v65, v26
	v_sub_u32_e32 v7, v1, v6
	v_add_u32_e32 v7, 16, v7
	v_cmp_eq_u32_e32 vcc, 1, v8
	v_and_b32_e32 v8, 1, v28
	v_add_u32_e32 v49, v48, v49
	v_cndmask_b32_e32 v6, v7, v6, vcc
	v_lshlrev_b32_e32 v6, 1, v6
	ds_write_b16 v6, v2
	v_sub_u32_e32 v6, v47, v26
	v_sub_u32_e32 v7, v1, v6
	v_add_u32_e32 v7, 17, v7
	v_cmp_eq_u32_e32 vcc, 1, v8
	v_add_u32_e32 v66, v49, v37
	v_add_u32_e32 v44, v66, v44
	v_cndmask_b32_e32 v6, v7, v6, vcc
	v_lshlrev_b32_e32 v6, 1, v6
	ds_write_b16_d16_hi v6, v2
	v_sub_u32_e32 v2, v48, v26
	v_sub_u32_e32 v6, v1, v2
	v_and_b32_sdwa v7, v33, v20 dst_sel:DWORD dst_unused:UNUSED_PAD src0_sel:DWORD src1_sel:WORD_1
	v_add_u32_e32 v6, 18, v6
	v_cmp_eq_u32_e32 vcc, 1, v7
	v_and_b32_e32 v7, 1, v37
	v_lshrrev_b32_e32 v27, 8, v21
	v_cndmask_b32_e32 v2, v6, v2, vcc
	v_lshlrev_b32_e32 v2, 1, v2
	ds_write_b16 v2, v3
	v_sub_u32_e32 v2, v49, v26
	v_sub_u32_e32 v6, v1, v2
	v_add_u32_e32 v6, 19, v6
	v_cmp_eq_u32_e32 vcc, 1, v7
	v_add_u32_e32 v45, v44, v45
	v_add_u32_e32 v46, v45, v46
	v_cndmask_b32_e32 v2, v6, v2, vcc
	v_lshlrev_b32_e32 v2, 1, v2
	ds_write_b16_d16_hi v2, v3
	v_sub_u32_e32 v2, v66, v26
	v_sub_u32_e32 v3, v1, v2
	v_and_b32_e32 v6, 1, v21
	v_add_u32_e32 v3, 20, v3
	v_cmp_eq_u32_e32 vcc, 1, v6
	v_and_b32_e32 v6, 1, v27
	v_add_u32_e32 v67, v46, v36
	v_cndmask_b32_e32 v2, v3, v2, vcc
	v_lshlrev_b32_e32 v2, 1, v2
	ds_write_b16 v2, v4
	v_sub_u32_e32 v2, v44, v26
	v_sub_u32_e32 v3, v1, v2
	v_add_u32_e32 v3, 21, v3
	v_cmp_eq_u32_e32 vcc, 1, v6
	v_add_u32_e32 v42, v67, v42
	v_lshrrev_b32_e32 v19, 8, v34
	v_cndmask_b32_e32 v2, v3, v2, vcc
	v_lshlrev_b32_e32 v2, 1, v2
	ds_write_b16_d16_hi v2, v4
	v_sub_u32_e32 v2, v45, v26
	v_sub_u32_e32 v3, v1, v2
	v_and_b32_sdwa v4, v33, v21 dst_sel:DWORD dst_unused:UNUSED_PAD src0_sel:DWORD src1_sel:WORD_1
	v_add_u32_e32 v3, 22, v3
	v_cmp_eq_u32_e32 vcc, 1, v4
	v_and_b32_e32 v4, 1, v36
	v_add_u32_e32 v43, v42, v43
	v_cndmask_b32_e32 v2, v3, v2, vcc
	v_lshlrev_b32_e32 v2, 1, v2
	ds_write_b16 v2, v5
	v_sub_u32_e32 v2, v46, v26
	v_sub_u32_e32 v3, v1, v2
	v_add_u32_e32 v3, 23, v3
	v_cmp_eq_u32_e32 vcc, 1, v4
	v_and_b32_e32 v4, 1, v34
	v_mov_b32_e32 v27, 0
	v_cndmask_b32_e32 v2, v3, v2, vcc
	v_lshlrev_b32_e32 v2, 1, v2
	ds_write_b16_d16_hi v2, v5
	v_sub_u32_e32 v2, v67, v26
	v_sub_u32_e32 v3, v1, v2
	v_add_u32_e32 v3, 24, v3
	v_cmp_eq_u32_e32 vcc, 1, v4
	v_and_b32_e32 v4, 1, v19
	v_mov_b32_e32 v19, v27
	v_cndmask_b32_e32 v2, v3, v2, vcc
	v_lshlrev_b32_e32 v2, 1, v2
	ds_write_b16 v2, v16
	v_sub_u32_e32 v2, v42, v26
	v_sub_u32_e32 v3, v1, v2
	v_add_u32_e32 v3, 25, v3
	v_cmp_eq_u32_e32 vcc, 1, v4
	v_and_b32_sdwa v4, v33, v34 dst_sel:DWORD dst_unused:UNUSED_PAD src0_sel:DWORD src1_sel:WORD_1
	s_load_dwordx2 s[0:1], s[0:1], 0x40
	v_cndmask_b32_e32 v2, v3, v2, vcc
	v_lshlrev_b32_e32 v2, 1, v2
	ds_write_b16_d16_hi v2, v16
	v_sub_u32_e32 v2, v43, v26
	v_sub_u32_e32 v3, v1, v2
	v_add_u32_e32 v3, 26, v3
	v_cmp_eq_u32_e32 vcc, 1, v4
	v_mov_b32_e32 v5, s27
	v_or_b32_e32 v62, 0x200, v0
	v_cndmask_b32_e32 v2, v3, v2, vcc
	v_lshlrev_b32_e32 v2, 1, v2
	ds_write_b16 v2, v17
	v_sub_u32_e32 v2, v35, v26
	v_add_u32_e32 v2, v43, v2
	v_sub_u32_e32 v1, v1, v2
	v_and_b32_e32 v3, 1, v15
	v_add_u32_e32 v1, 27, v1
	v_cmp_eq_u32_e32 vcc, 1, v3
	v_or_b32_e32 v60, 0x400, v0
	v_or_b32_e32 v58, 0x600, v0
	v_cndmask_b32_e32 v1, v1, v2, vcc
	v_lshlrev_b32_e32 v1, 1, v1
	ds_write_b16_d16_hi v1, v17
	s_waitcnt lgkmcnt(0)
	s_barrier
	ds_read_u16 v64, v14
	ds_read_u16 v63, v14 offset:1024
	ds_read_u16 v61, v14 offset:2048
	ds_read_u16 v59, v14 offset:3072
	ds_read_u16 v57, v14 offset:4096
	ds_read_u16 v55, v14 offset:5120
	ds_read_u16 v53, v14 offset:6144
	ds_read_u16 v51, v14 offset:7168
	ds_read_u16 v50, v14 offset:8192
	ds_read_u16 v47, v14 offset:9216
	ds_read_u16 v45, v14 offset:10240
	ds_read_u16 v43, v14 offset:11264
	ds_read_u16 v41, v14 offset:12288
	ds_read_u16 v39, v14 offset:13312
	ds_read_u16 v37, v14 offset:14336
	ds_read_u16 v35, v14 offset:15360
	ds_read_u16 v34, v14 offset:16384
	ds_read_u16 v31, v14 offset:17408
	ds_read_u16 v29, v14 offset:18432
	ds_read_u16 v25, v14 offset:19456
	ds_read_u16 v23, v14 offset:20480
	ds_read_u16 v21, v14 offset:21504
	ds_read_u16 v17, v14 offset:22528
	ds_read_u16 v15, v14 offset:23552
	ds_read_u16 v12, v14 offset:24576
	ds_read_u16 v10, v14 offset:25600
	ds_read_u16 v7, v14 offset:26624
	ds_read_u16 v1, v14 offset:27648
	v_lshl_add_u64 v[2:3], s[24:25], 0, v[18:19]
	v_lshl_add_u64 v[2:3], v[2:3], 0, v[26:27]
	v_sub_co_u32_e32 v4, vcc, s26, v2
	v_or_b32_e32 v56, 0x800, v0
	s_nop 0
	v_subb_co_u32_e32 v5, vcc, v5, v3, vcc
	v_lshlrev_b64 v[4:5], 1, v[4:5]
	v_lshl_add_u64 v[4:5], s[0:1], 0, v[4:5]
	v_or_b32_e32 v54, 0xa00, v0
	v_or_b32_e32 v52, 0xc00, v0
	;; [unrolled: 1-line block ×23, first 2 shown]
	v_lshl_add_u64 v[4:5], v[4:5], 0, s[30:31]
	s_andn2_b64 vcc, exec, s[28:29]
	v_cmp_ge_u32_e64 s[0:1], v0, v18
	s_cbranch_vccnz .LBB3132_187
; %bb.158:
	s_and_saveexec_b64 s[2:3], s[0:1]
	s_cbranch_execnz .LBB3132_248
; %bb.159:
	s_or_b64 exec, exec, s[2:3]
	v_cmp_ge_u32_e32 vcc, v62, v18
	s_and_saveexec_b64 s[0:1], vcc
	s_cbranch_execnz .LBB3132_249
.LBB3132_160:
	s_or_b64 exec, exec, s[0:1]
	v_cmp_ge_u32_e32 vcc, v60, v18
	s_and_saveexec_b64 s[0:1], vcc
	s_cbranch_execnz .LBB3132_250
.LBB3132_161:
	s_or_b64 exec, exec, s[0:1]
	v_cmp_ge_u32_e32 vcc, v58, v18
	s_and_saveexec_b64 s[0:1], vcc
	s_cbranch_execnz .LBB3132_251
.LBB3132_162:
	s_or_b64 exec, exec, s[0:1]
	v_cmp_ge_u32_e32 vcc, v56, v18
	s_and_saveexec_b64 s[0:1], vcc
	s_cbranch_execnz .LBB3132_252
.LBB3132_163:
	s_or_b64 exec, exec, s[0:1]
	v_cmp_ge_u32_e32 vcc, v54, v18
	s_and_saveexec_b64 s[0:1], vcc
	s_cbranch_execnz .LBB3132_253
.LBB3132_164:
	s_or_b64 exec, exec, s[0:1]
	v_cmp_ge_u32_e32 vcc, v52, v18
	s_and_saveexec_b64 s[0:1], vcc
	s_cbranch_execnz .LBB3132_254
.LBB3132_165:
	s_or_b64 exec, exec, s[0:1]
	v_cmp_ge_u32_e32 vcc, v49, v18
	s_and_saveexec_b64 s[0:1], vcc
	s_cbranch_execnz .LBB3132_255
.LBB3132_166:
	s_or_b64 exec, exec, s[0:1]
	v_cmp_ge_u32_e32 vcc, v48, v18
	s_and_saveexec_b64 s[0:1], vcc
	s_cbranch_execnz .LBB3132_256
.LBB3132_167:
	s_or_b64 exec, exec, s[0:1]
	v_cmp_ge_u32_e32 vcc, v46, v18
	s_and_saveexec_b64 s[0:1], vcc
	s_cbranch_execnz .LBB3132_257
.LBB3132_168:
	s_or_b64 exec, exec, s[0:1]
	v_cmp_ge_u32_e32 vcc, v44, v18
	s_and_saveexec_b64 s[0:1], vcc
	s_cbranch_execnz .LBB3132_258
.LBB3132_169:
	s_or_b64 exec, exec, s[0:1]
	v_cmp_ge_u32_e32 vcc, v42, v18
	s_and_saveexec_b64 s[0:1], vcc
	s_cbranch_execnz .LBB3132_259
.LBB3132_170:
	s_or_b64 exec, exec, s[0:1]
	v_cmp_ge_u32_e32 vcc, v40, v18
	s_and_saveexec_b64 s[0:1], vcc
	s_cbranch_execnz .LBB3132_260
.LBB3132_171:
	s_or_b64 exec, exec, s[0:1]
	v_cmp_ge_u32_e32 vcc, v38, v18
	s_and_saveexec_b64 s[0:1], vcc
	s_cbranch_execnz .LBB3132_261
.LBB3132_172:
	s_or_b64 exec, exec, s[0:1]
	v_cmp_ge_u32_e32 vcc, v36, v18
	s_and_saveexec_b64 s[0:1], vcc
	s_cbranch_execnz .LBB3132_262
.LBB3132_173:
	s_or_b64 exec, exec, s[0:1]
	v_cmp_ge_u32_e32 vcc, v33, v18
	s_and_saveexec_b64 s[0:1], vcc
	s_cbranch_execnz .LBB3132_263
.LBB3132_174:
	s_or_b64 exec, exec, s[0:1]
	v_cmp_ge_u32_e32 vcc, v32, v18
	s_and_saveexec_b64 s[0:1], vcc
	s_cbranch_execnz .LBB3132_264
.LBB3132_175:
	s_or_b64 exec, exec, s[0:1]
	v_cmp_ge_u32_e32 vcc, v30, v18
	s_and_saveexec_b64 s[0:1], vcc
	s_cbranch_execnz .LBB3132_265
.LBB3132_176:
	s_or_b64 exec, exec, s[0:1]
	v_cmp_ge_u32_e32 vcc, v28, v18
	s_and_saveexec_b64 s[0:1], vcc
	s_cbranch_execnz .LBB3132_266
.LBB3132_177:
	s_or_b64 exec, exec, s[0:1]
	v_cmp_ge_u32_e32 vcc, v24, v18
	s_and_saveexec_b64 s[0:1], vcc
	s_cbranch_execnz .LBB3132_267
.LBB3132_178:
	s_or_b64 exec, exec, s[0:1]
	v_cmp_ge_u32_e32 vcc, v22, v18
	s_and_saveexec_b64 s[0:1], vcc
	s_cbranch_execnz .LBB3132_268
.LBB3132_179:
	s_or_b64 exec, exec, s[0:1]
	v_cmp_ge_u32_e32 vcc, v20, v18
	s_and_saveexec_b64 s[0:1], vcc
	s_cbranch_execnz .LBB3132_269
.LBB3132_180:
	s_or_b64 exec, exec, s[0:1]
	v_cmp_ge_u32_e32 vcc, v16, v18
	s_and_saveexec_b64 s[0:1], vcc
	s_cbranch_execnz .LBB3132_270
.LBB3132_181:
	s_or_b64 exec, exec, s[0:1]
	v_cmp_ge_u32_e32 vcc, v13, v18
	s_and_saveexec_b64 s[0:1], vcc
	s_cbranch_execnz .LBB3132_271
.LBB3132_182:
	s_or_b64 exec, exec, s[0:1]
	v_cmp_ge_u32_e32 vcc, v11, v18
	s_and_saveexec_b64 s[0:1], vcc
	s_cbranch_execnz .LBB3132_272
.LBB3132_183:
	s_or_b64 exec, exec, s[0:1]
	v_cmp_ge_u32_e32 vcc, v9, v18
	s_and_saveexec_b64 s[0:1], vcc
	s_cbranch_execnz .LBB3132_273
.LBB3132_184:
	s_or_b64 exec, exec, s[0:1]
	v_cmp_ge_u32_e32 vcc, v8, v18
	s_and_saveexec_b64 s[0:1], vcc
	s_cbranch_execz .LBB3132_186
.LBB3132_185:
	v_lshlrev_b32_e32 v19, 1, v8
	v_readfirstlane_b32 s2, v4
	v_readfirstlane_b32 s3, v5
	s_waitcnt lgkmcnt(1)
	s_nop 3
	global_store_short v19, v7, s[2:3]
.LBB3132_186:
	s_or_b64 exec, exec, s[0:1]
	v_cmp_ge_u32_e64 s[0:1], v6, v18
	s_branch .LBB3132_243
.LBB3132_187:
	s_mov_b64 s[0:1], 0
	s_cbranch_execz .LBB3132_243
; %bb.188:
	v_cmp_gt_u32_e32 vcc, s33, v0
	v_cmp_ge_u32_e64 s[0:1], v0, v18
	s_and_b64 s[2:3], vcc, s[0:1]
	s_and_saveexec_b64 s[0:1], s[2:3]
	s_cbranch_execz .LBB3132_190
; %bb.189:
	v_readfirstlane_b32 s2, v4
	v_readfirstlane_b32 s3, v5
	s_waitcnt lgkmcnt(14)
	s_nop 3
	global_store_short v14, v64, s[2:3]
.LBB3132_190:
	s_or_b64 exec, exec, s[0:1]
	v_cmp_gt_u32_e32 vcc, s33, v62
	v_cmp_ge_u32_e64 s[0:1], v62, v18
	s_and_b64 s[2:3], vcc, s[0:1]
	s_and_saveexec_b64 s[0:1], s[2:3]
	s_cbranch_execz .LBB3132_192
; %bb.191:
	v_readfirstlane_b32 s2, v4
	v_readfirstlane_b32 s3, v5
	s_waitcnt lgkmcnt(14)
	s_nop 3
	global_store_short v14, v63, s[2:3] offset:1024
.LBB3132_192:
	s_or_b64 exec, exec, s[0:1]
	v_cmp_gt_u32_e32 vcc, s33, v60
	v_cmp_ge_u32_e64 s[0:1], v60, v18
	s_and_b64 s[2:3], vcc, s[0:1]
	s_and_saveexec_b64 s[0:1], s[2:3]
	s_cbranch_execz .LBB3132_194
; %bb.193:
	v_readfirstlane_b32 s2, v4
	v_readfirstlane_b32 s3, v5
	s_waitcnt lgkmcnt(14)
	s_nop 3
	global_store_short v14, v61, s[2:3] offset:2048
.LBB3132_194:
	;; [unrolled: 13-line block ×3, first 2 shown]
	s_or_b64 exec, exec, s[0:1]
	v_cmp_gt_u32_e32 vcc, s33, v56
	v_cmp_ge_u32_e64 s[0:1], v56, v18
	s_and_b64 s[2:3], vcc, s[0:1]
	s_and_saveexec_b64 s[0:1], s[2:3]
	s_cbranch_execz .LBB3132_198
; %bb.197:
	v_lshlrev_b32_e32 v14, 1, v56
	v_readfirstlane_b32 s2, v4
	v_readfirstlane_b32 s3, v5
	s_waitcnt lgkmcnt(14)
	s_nop 3
	global_store_short v14, v57, s[2:3]
.LBB3132_198:
	s_or_b64 exec, exec, s[0:1]
	v_cmp_gt_u32_e32 vcc, s33, v54
	v_cmp_ge_u32_e64 s[0:1], v54, v18
	s_and_b64 s[2:3], vcc, s[0:1]
	s_and_saveexec_b64 s[0:1], s[2:3]
	s_cbranch_execz .LBB3132_200
; %bb.199:
	v_lshlrev_b32_e32 v14, 1, v54
	v_readfirstlane_b32 s2, v4
	v_readfirstlane_b32 s3, v5
	s_waitcnt lgkmcnt(14)
	s_nop 3
	global_store_short v14, v55, s[2:3]
.LBB3132_200:
	;; [unrolled: 14-line block ×23, first 2 shown]
	s_or_b64 exec, exec, s[0:1]
	v_cmp_gt_u32_e32 vcc, s33, v6
	v_cmp_ge_u32_e64 s[0:1], v6, v18
	s_and_b64 s[0:1], vcc, s[0:1]
.LBB3132_243:
	s_and_saveexec_b64 s[2:3], s[0:1]
	s_cbranch_execz .LBB3132_245
; %bb.244:
	v_lshlrev_b32_e32 v6, 1, v6
	v_readfirstlane_b32 s0, v4
	v_readfirstlane_b32 s1, v5
	s_waitcnt lgkmcnt(0)
	s_nop 3
	global_store_short v6, v1, s[0:1]
.LBB3132_245:
	s_or_b64 exec, exec, s[2:3]
	v_cmp_eq_u32_e32 vcc, 0, v0
	s_and_b64 s[0:1], vcc, s[22:23]
	s_and_saveexec_b64 s[2:3], s[0:1]
	s_cbranch_execz .LBB3132_247
; %bb.246:
	v_mov_b32_e32 v0, 0
	global_store_dwordx2 v0, v[2:3], s[20:21]
.LBB3132_247:
	s_endpgm
.LBB3132_248:
	v_readfirstlane_b32 s0, v4
	v_readfirstlane_b32 s1, v5
	s_waitcnt lgkmcnt(14)
	s_nop 3
	global_store_short v14, v64, s[0:1]
	s_or_b64 exec, exec, s[2:3]
	v_cmp_ge_u32_e32 vcc, v62, v18
	s_and_saveexec_b64 s[0:1], vcc
	s_cbranch_execz .LBB3132_160
.LBB3132_249:
	v_readfirstlane_b32 s2, v4
	v_readfirstlane_b32 s3, v5
	s_waitcnt lgkmcnt(14)
	s_nop 3
	global_store_short v14, v63, s[2:3] offset:1024
	s_or_b64 exec, exec, s[0:1]
	v_cmp_ge_u32_e32 vcc, v60, v18
	s_and_saveexec_b64 s[0:1], vcc
	s_cbranch_execz .LBB3132_161
.LBB3132_250:
	v_readfirstlane_b32 s2, v4
	v_readfirstlane_b32 s3, v5
	s_waitcnt lgkmcnt(14)
	s_nop 3
	global_store_short v14, v61, s[2:3] offset:2048
	s_or_b64 exec, exec, s[0:1]
	v_cmp_ge_u32_e32 vcc, v58, v18
	s_and_saveexec_b64 s[0:1], vcc
	s_cbranch_execz .LBB3132_162
.LBB3132_251:
	v_readfirstlane_b32 s2, v4
	v_readfirstlane_b32 s3, v5
	s_waitcnt lgkmcnt(14)
	s_nop 3
	global_store_short v14, v59, s[2:3] offset:3072
	s_or_b64 exec, exec, s[0:1]
	v_cmp_ge_u32_e32 vcc, v56, v18
	s_and_saveexec_b64 s[0:1], vcc
	s_cbranch_execz .LBB3132_163
.LBB3132_252:
	v_lshlrev_b32_e32 v19, 1, v56
	v_readfirstlane_b32 s2, v4
	v_readfirstlane_b32 s3, v5
	s_waitcnt lgkmcnt(14)
	s_nop 3
	global_store_short v19, v57, s[2:3]
	s_or_b64 exec, exec, s[0:1]
	v_cmp_ge_u32_e32 vcc, v54, v18
	s_and_saveexec_b64 s[0:1], vcc
	s_cbranch_execz .LBB3132_164
.LBB3132_253:
	v_lshlrev_b32_e32 v19, 1, v54
	v_readfirstlane_b32 s2, v4
	v_readfirstlane_b32 s3, v5
	s_waitcnt lgkmcnt(14)
	s_nop 3
	global_store_short v19, v55, s[2:3]
	s_or_b64 exec, exec, s[0:1]
	v_cmp_ge_u32_e32 vcc, v52, v18
	s_and_saveexec_b64 s[0:1], vcc
	s_cbranch_execz .LBB3132_165
.LBB3132_254:
	v_lshlrev_b32_e32 v19, 1, v52
	v_readfirstlane_b32 s2, v4
	v_readfirstlane_b32 s3, v5
	s_waitcnt lgkmcnt(14)
	s_nop 3
	global_store_short v19, v53, s[2:3]
	s_or_b64 exec, exec, s[0:1]
	v_cmp_ge_u32_e32 vcc, v49, v18
	s_and_saveexec_b64 s[0:1], vcc
	s_cbranch_execz .LBB3132_166
.LBB3132_255:
	v_lshlrev_b32_e32 v19, 1, v49
	v_readfirstlane_b32 s2, v4
	v_readfirstlane_b32 s3, v5
	s_waitcnt lgkmcnt(14)
	s_nop 3
	global_store_short v19, v51, s[2:3]
	s_or_b64 exec, exec, s[0:1]
	v_cmp_ge_u32_e32 vcc, v48, v18
	s_and_saveexec_b64 s[0:1], vcc
	s_cbranch_execz .LBB3132_167
.LBB3132_256:
	v_lshlrev_b32_e32 v19, 1, v48
	v_readfirstlane_b32 s2, v4
	v_readfirstlane_b32 s3, v5
	s_waitcnt lgkmcnt(14)
	s_nop 3
	global_store_short v19, v50, s[2:3]
	s_or_b64 exec, exec, s[0:1]
	v_cmp_ge_u32_e32 vcc, v46, v18
	s_and_saveexec_b64 s[0:1], vcc
	s_cbranch_execz .LBB3132_168
.LBB3132_257:
	v_lshlrev_b32_e32 v19, 1, v46
	v_readfirstlane_b32 s2, v4
	v_readfirstlane_b32 s3, v5
	s_waitcnt lgkmcnt(14)
	s_nop 3
	global_store_short v19, v47, s[2:3]
	s_or_b64 exec, exec, s[0:1]
	v_cmp_ge_u32_e32 vcc, v44, v18
	s_and_saveexec_b64 s[0:1], vcc
	s_cbranch_execz .LBB3132_169
.LBB3132_258:
	v_lshlrev_b32_e32 v19, 1, v44
	v_readfirstlane_b32 s2, v4
	v_readfirstlane_b32 s3, v5
	s_waitcnt lgkmcnt(14)
	s_nop 3
	global_store_short v19, v45, s[2:3]
	s_or_b64 exec, exec, s[0:1]
	v_cmp_ge_u32_e32 vcc, v42, v18
	s_and_saveexec_b64 s[0:1], vcc
	s_cbranch_execz .LBB3132_170
.LBB3132_259:
	v_lshlrev_b32_e32 v19, 1, v42
	v_readfirstlane_b32 s2, v4
	v_readfirstlane_b32 s3, v5
	s_waitcnt lgkmcnt(14)
	s_nop 3
	global_store_short v19, v43, s[2:3]
	s_or_b64 exec, exec, s[0:1]
	v_cmp_ge_u32_e32 vcc, v40, v18
	s_and_saveexec_b64 s[0:1], vcc
	s_cbranch_execz .LBB3132_171
.LBB3132_260:
	v_lshlrev_b32_e32 v19, 1, v40
	v_readfirstlane_b32 s2, v4
	v_readfirstlane_b32 s3, v5
	s_waitcnt lgkmcnt(14)
	s_nop 3
	global_store_short v19, v41, s[2:3]
	s_or_b64 exec, exec, s[0:1]
	v_cmp_ge_u32_e32 vcc, v38, v18
	s_and_saveexec_b64 s[0:1], vcc
	s_cbranch_execz .LBB3132_172
.LBB3132_261:
	v_lshlrev_b32_e32 v19, 1, v38
	v_readfirstlane_b32 s2, v4
	v_readfirstlane_b32 s3, v5
	s_waitcnt lgkmcnt(14)
	s_nop 3
	global_store_short v19, v39, s[2:3]
	s_or_b64 exec, exec, s[0:1]
	v_cmp_ge_u32_e32 vcc, v36, v18
	s_and_saveexec_b64 s[0:1], vcc
	s_cbranch_execz .LBB3132_173
.LBB3132_262:
	v_lshlrev_b32_e32 v19, 1, v36
	v_readfirstlane_b32 s2, v4
	v_readfirstlane_b32 s3, v5
	s_waitcnt lgkmcnt(13)
	s_nop 3
	global_store_short v19, v37, s[2:3]
	s_or_b64 exec, exec, s[0:1]
	v_cmp_ge_u32_e32 vcc, v33, v18
	s_and_saveexec_b64 s[0:1], vcc
	s_cbranch_execz .LBB3132_174
.LBB3132_263:
	v_lshlrev_b32_e32 v19, 1, v33
	v_readfirstlane_b32 s2, v4
	v_readfirstlane_b32 s3, v5
	s_waitcnt lgkmcnt(12)
	s_nop 3
	global_store_short v19, v35, s[2:3]
	s_or_b64 exec, exec, s[0:1]
	v_cmp_ge_u32_e32 vcc, v32, v18
	s_and_saveexec_b64 s[0:1], vcc
	s_cbranch_execz .LBB3132_175
.LBB3132_264:
	v_lshlrev_b32_e32 v19, 1, v32
	v_readfirstlane_b32 s2, v4
	v_readfirstlane_b32 s3, v5
	s_waitcnt lgkmcnt(11)
	s_nop 3
	global_store_short v19, v34, s[2:3]
	s_or_b64 exec, exec, s[0:1]
	v_cmp_ge_u32_e32 vcc, v30, v18
	s_and_saveexec_b64 s[0:1], vcc
	s_cbranch_execz .LBB3132_176
.LBB3132_265:
	v_lshlrev_b32_e32 v19, 1, v30
	v_readfirstlane_b32 s2, v4
	v_readfirstlane_b32 s3, v5
	s_waitcnt lgkmcnt(10)
	s_nop 3
	global_store_short v19, v31, s[2:3]
	s_or_b64 exec, exec, s[0:1]
	v_cmp_ge_u32_e32 vcc, v28, v18
	s_and_saveexec_b64 s[0:1], vcc
	s_cbranch_execz .LBB3132_177
.LBB3132_266:
	v_lshlrev_b32_e32 v19, 1, v28
	v_readfirstlane_b32 s2, v4
	v_readfirstlane_b32 s3, v5
	s_waitcnt lgkmcnt(9)
	s_nop 3
	global_store_short v19, v29, s[2:3]
	s_or_b64 exec, exec, s[0:1]
	v_cmp_ge_u32_e32 vcc, v24, v18
	s_and_saveexec_b64 s[0:1], vcc
	s_cbranch_execz .LBB3132_178
.LBB3132_267:
	v_lshlrev_b32_e32 v19, 1, v24
	v_readfirstlane_b32 s2, v4
	v_readfirstlane_b32 s3, v5
	s_waitcnt lgkmcnt(8)
	s_nop 3
	global_store_short v19, v25, s[2:3]
	s_or_b64 exec, exec, s[0:1]
	v_cmp_ge_u32_e32 vcc, v22, v18
	s_and_saveexec_b64 s[0:1], vcc
	s_cbranch_execz .LBB3132_179
.LBB3132_268:
	v_lshlrev_b32_e32 v19, 1, v22
	v_readfirstlane_b32 s2, v4
	v_readfirstlane_b32 s3, v5
	s_waitcnt lgkmcnt(7)
	s_nop 3
	global_store_short v19, v23, s[2:3]
	s_or_b64 exec, exec, s[0:1]
	v_cmp_ge_u32_e32 vcc, v20, v18
	s_and_saveexec_b64 s[0:1], vcc
	s_cbranch_execz .LBB3132_180
.LBB3132_269:
	v_lshlrev_b32_e32 v19, 1, v20
	v_readfirstlane_b32 s2, v4
	v_readfirstlane_b32 s3, v5
	s_waitcnt lgkmcnt(6)
	s_nop 3
	global_store_short v19, v21, s[2:3]
	s_or_b64 exec, exec, s[0:1]
	v_cmp_ge_u32_e32 vcc, v16, v18
	s_and_saveexec_b64 s[0:1], vcc
	s_cbranch_execz .LBB3132_181
.LBB3132_270:
	v_lshlrev_b32_e32 v19, 1, v16
	v_readfirstlane_b32 s2, v4
	v_readfirstlane_b32 s3, v5
	s_waitcnt lgkmcnt(5)
	s_nop 3
	global_store_short v19, v17, s[2:3]
	s_or_b64 exec, exec, s[0:1]
	v_cmp_ge_u32_e32 vcc, v13, v18
	s_and_saveexec_b64 s[0:1], vcc
	s_cbranch_execz .LBB3132_182
.LBB3132_271:
	v_lshlrev_b32_e32 v19, 1, v13
	v_readfirstlane_b32 s2, v4
	v_readfirstlane_b32 s3, v5
	s_waitcnt lgkmcnt(4)
	s_nop 3
	global_store_short v19, v15, s[2:3]
	s_or_b64 exec, exec, s[0:1]
	v_cmp_ge_u32_e32 vcc, v11, v18
	s_and_saveexec_b64 s[0:1], vcc
	s_cbranch_execz .LBB3132_183
.LBB3132_272:
	v_lshlrev_b32_e32 v19, 1, v11
	v_readfirstlane_b32 s2, v4
	v_readfirstlane_b32 s3, v5
	s_waitcnt lgkmcnt(3)
	s_nop 3
	global_store_short v19, v12, s[2:3]
	s_or_b64 exec, exec, s[0:1]
	v_cmp_ge_u32_e32 vcc, v9, v18
	s_and_saveexec_b64 s[0:1], vcc
	s_cbranch_execz .LBB3132_184
.LBB3132_273:
	v_lshlrev_b32_e32 v19, 1, v9
	v_readfirstlane_b32 s2, v4
	v_readfirstlane_b32 s3, v5
	s_waitcnt lgkmcnt(2)
	s_nop 3
	global_store_short v19, v10, s[2:3]
	s_or_b64 exec, exec, s[0:1]
	v_cmp_ge_u32_e32 vcc, v8, v18
	s_and_saveexec_b64 s[0:1], vcc
	s_cbranch_execnz .LBB3132_185
	s_branch .LBB3132_186
	.section	.rodata,"a",@progbits
	.p2align	6, 0x0
	.amdhsa_kernel _ZN7rocprim17ROCPRIM_400000_NS6detail17trampoline_kernelINS0_14default_configENS1_25partition_config_selectorILNS1_17partition_subalgoE1EtNS0_10empty_typeEbEEZZNS1_14partition_implILS5_1ELb0ES3_jN6thrust23THRUST_200600_302600_NS6detail15normal_iteratorINSA_10device_ptrItEEEEPS6_NSA_18transform_iteratorI7is_evenItESF_NSA_11use_defaultESK_EENS0_5tupleIJNSA_16discard_iteratorISK_EESF_EEENSM_IJSG_SG_EEES6_PlJS6_EEE10hipError_tPvRmT3_T4_T5_T6_T7_T9_mT8_P12ihipStream_tbDpT10_ENKUlT_T0_E_clISt17integral_constantIbLb0EES1B_EEDaS16_S17_EUlS16_E_NS1_11comp_targetILNS1_3genE5ELNS1_11target_archE942ELNS1_3gpuE9ELNS1_3repE0EEENS1_30default_config_static_selectorELNS0_4arch9wavefront6targetE1EEEvT1_
		.amdhsa_group_segment_fixed_size 28680
		.amdhsa_private_segment_fixed_size 0
		.amdhsa_kernarg_size 136
		.amdhsa_user_sgpr_count 2
		.amdhsa_user_sgpr_dispatch_ptr 0
		.amdhsa_user_sgpr_queue_ptr 0
		.amdhsa_user_sgpr_kernarg_segment_ptr 1
		.amdhsa_user_sgpr_dispatch_id 0
		.amdhsa_user_sgpr_kernarg_preload_length 0
		.amdhsa_user_sgpr_kernarg_preload_offset 0
		.amdhsa_user_sgpr_private_segment_size 0
		.amdhsa_uses_dynamic_stack 0
		.amdhsa_enable_private_segment 0
		.amdhsa_system_sgpr_workgroup_id_x 1
		.amdhsa_system_sgpr_workgroup_id_y 0
		.amdhsa_system_sgpr_workgroup_id_z 0
		.amdhsa_system_sgpr_workgroup_info 0
		.amdhsa_system_vgpr_workitem_id 0
		.amdhsa_next_free_vgpr 79
		.amdhsa_next_free_sgpr 44
		.amdhsa_accum_offset 80
		.amdhsa_reserve_vcc 1
		.amdhsa_float_round_mode_32 0
		.amdhsa_float_round_mode_16_64 0
		.amdhsa_float_denorm_mode_32 3
		.amdhsa_float_denorm_mode_16_64 3
		.amdhsa_dx10_clamp 1
		.amdhsa_ieee_mode 1
		.amdhsa_fp16_overflow 0
		.amdhsa_tg_split 0
		.amdhsa_exception_fp_ieee_invalid_op 0
		.amdhsa_exception_fp_denorm_src 0
		.amdhsa_exception_fp_ieee_div_zero 0
		.amdhsa_exception_fp_ieee_overflow 0
		.amdhsa_exception_fp_ieee_underflow 0
		.amdhsa_exception_fp_ieee_inexact 0
		.amdhsa_exception_int_div_zero 0
	.end_amdhsa_kernel
	.section	.text._ZN7rocprim17ROCPRIM_400000_NS6detail17trampoline_kernelINS0_14default_configENS1_25partition_config_selectorILNS1_17partition_subalgoE1EtNS0_10empty_typeEbEEZZNS1_14partition_implILS5_1ELb0ES3_jN6thrust23THRUST_200600_302600_NS6detail15normal_iteratorINSA_10device_ptrItEEEEPS6_NSA_18transform_iteratorI7is_evenItESF_NSA_11use_defaultESK_EENS0_5tupleIJNSA_16discard_iteratorISK_EESF_EEENSM_IJSG_SG_EEES6_PlJS6_EEE10hipError_tPvRmT3_T4_T5_T6_T7_T9_mT8_P12ihipStream_tbDpT10_ENKUlT_T0_E_clISt17integral_constantIbLb0EES1B_EEDaS16_S17_EUlS16_E_NS1_11comp_targetILNS1_3genE5ELNS1_11target_archE942ELNS1_3gpuE9ELNS1_3repE0EEENS1_30default_config_static_selectorELNS0_4arch9wavefront6targetE1EEEvT1_,"axG",@progbits,_ZN7rocprim17ROCPRIM_400000_NS6detail17trampoline_kernelINS0_14default_configENS1_25partition_config_selectorILNS1_17partition_subalgoE1EtNS0_10empty_typeEbEEZZNS1_14partition_implILS5_1ELb0ES3_jN6thrust23THRUST_200600_302600_NS6detail15normal_iteratorINSA_10device_ptrItEEEEPS6_NSA_18transform_iteratorI7is_evenItESF_NSA_11use_defaultESK_EENS0_5tupleIJNSA_16discard_iteratorISK_EESF_EEENSM_IJSG_SG_EEES6_PlJS6_EEE10hipError_tPvRmT3_T4_T5_T6_T7_T9_mT8_P12ihipStream_tbDpT10_ENKUlT_T0_E_clISt17integral_constantIbLb0EES1B_EEDaS16_S17_EUlS16_E_NS1_11comp_targetILNS1_3genE5ELNS1_11target_archE942ELNS1_3gpuE9ELNS1_3repE0EEENS1_30default_config_static_selectorELNS0_4arch9wavefront6targetE1EEEvT1_,comdat
.Lfunc_end3132:
	.size	_ZN7rocprim17ROCPRIM_400000_NS6detail17trampoline_kernelINS0_14default_configENS1_25partition_config_selectorILNS1_17partition_subalgoE1EtNS0_10empty_typeEbEEZZNS1_14partition_implILS5_1ELb0ES3_jN6thrust23THRUST_200600_302600_NS6detail15normal_iteratorINSA_10device_ptrItEEEEPS6_NSA_18transform_iteratorI7is_evenItESF_NSA_11use_defaultESK_EENS0_5tupleIJNSA_16discard_iteratorISK_EESF_EEENSM_IJSG_SG_EEES6_PlJS6_EEE10hipError_tPvRmT3_T4_T5_T6_T7_T9_mT8_P12ihipStream_tbDpT10_ENKUlT_T0_E_clISt17integral_constantIbLb0EES1B_EEDaS16_S17_EUlS16_E_NS1_11comp_targetILNS1_3genE5ELNS1_11target_archE942ELNS1_3gpuE9ELNS1_3repE0EEENS1_30default_config_static_selectorELNS0_4arch9wavefront6targetE1EEEvT1_, .Lfunc_end3132-_ZN7rocprim17ROCPRIM_400000_NS6detail17trampoline_kernelINS0_14default_configENS1_25partition_config_selectorILNS1_17partition_subalgoE1EtNS0_10empty_typeEbEEZZNS1_14partition_implILS5_1ELb0ES3_jN6thrust23THRUST_200600_302600_NS6detail15normal_iteratorINSA_10device_ptrItEEEEPS6_NSA_18transform_iteratorI7is_evenItESF_NSA_11use_defaultESK_EENS0_5tupleIJNSA_16discard_iteratorISK_EESF_EEENSM_IJSG_SG_EEES6_PlJS6_EEE10hipError_tPvRmT3_T4_T5_T6_T7_T9_mT8_P12ihipStream_tbDpT10_ENKUlT_T0_E_clISt17integral_constantIbLb0EES1B_EEDaS16_S17_EUlS16_E_NS1_11comp_targetILNS1_3genE5ELNS1_11target_archE942ELNS1_3gpuE9ELNS1_3repE0EEENS1_30default_config_static_selectorELNS0_4arch9wavefront6targetE1EEEvT1_
                                        ; -- End function
	.section	.AMDGPU.csdata,"",@progbits
; Kernel info:
; codeLenInByte = 12204
; NumSgprs: 50
; NumVgprs: 79
; NumAgprs: 0
; TotalNumVgprs: 79
; ScratchSize: 0
; MemoryBound: 0
; FloatMode: 240
; IeeeMode: 1
; LDSByteSize: 28680 bytes/workgroup (compile time only)
; SGPRBlocks: 6
; VGPRBlocks: 9
; NumSGPRsForWavesPerEU: 50
; NumVGPRsForWavesPerEU: 79
; AccumOffset: 80
; Occupancy: 4
; WaveLimiterHint : 1
; COMPUTE_PGM_RSRC2:SCRATCH_EN: 0
; COMPUTE_PGM_RSRC2:USER_SGPR: 2
; COMPUTE_PGM_RSRC2:TRAP_HANDLER: 0
; COMPUTE_PGM_RSRC2:TGID_X_EN: 1
; COMPUTE_PGM_RSRC2:TGID_Y_EN: 0
; COMPUTE_PGM_RSRC2:TGID_Z_EN: 0
; COMPUTE_PGM_RSRC2:TIDIG_COMP_CNT: 0
; COMPUTE_PGM_RSRC3_GFX90A:ACCUM_OFFSET: 19
; COMPUTE_PGM_RSRC3_GFX90A:TG_SPLIT: 0
	.section	.text._ZN7rocprim17ROCPRIM_400000_NS6detail17trampoline_kernelINS0_14default_configENS1_25partition_config_selectorILNS1_17partition_subalgoE1EtNS0_10empty_typeEbEEZZNS1_14partition_implILS5_1ELb0ES3_jN6thrust23THRUST_200600_302600_NS6detail15normal_iteratorINSA_10device_ptrItEEEEPS6_NSA_18transform_iteratorI7is_evenItESF_NSA_11use_defaultESK_EENS0_5tupleIJNSA_16discard_iteratorISK_EESF_EEENSM_IJSG_SG_EEES6_PlJS6_EEE10hipError_tPvRmT3_T4_T5_T6_T7_T9_mT8_P12ihipStream_tbDpT10_ENKUlT_T0_E_clISt17integral_constantIbLb0EES1B_EEDaS16_S17_EUlS16_E_NS1_11comp_targetILNS1_3genE4ELNS1_11target_archE910ELNS1_3gpuE8ELNS1_3repE0EEENS1_30default_config_static_selectorELNS0_4arch9wavefront6targetE1EEEvT1_,"axG",@progbits,_ZN7rocprim17ROCPRIM_400000_NS6detail17trampoline_kernelINS0_14default_configENS1_25partition_config_selectorILNS1_17partition_subalgoE1EtNS0_10empty_typeEbEEZZNS1_14partition_implILS5_1ELb0ES3_jN6thrust23THRUST_200600_302600_NS6detail15normal_iteratorINSA_10device_ptrItEEEEPS6_NSA_18transform_iteratorI7is_evenItESF_NSA_11use_defaultESK_EENS0_5tupleIJNSA_16discard_iteratorISK_EESF_EEENSM_IJSG_SG_EEES6_PlJS6_EEE10hipError_tPvRmT3_T4_T5_T6_T7_T9_mT8_P12ihipStream_tbDpT10_ENKUlT_T0_E_clISt17integral_constantIbLb0EES1B_EEDaS16_S17_EUlS16_E_NS1_11comp_targetILNS1_3genE4ELNS1_11target_archE910ELNS1_3gpuE8ELNS1_3repE0EEENS1_30default_config_static_selectorELNS0_4arch9wavefront6targetE1EEEvT1_,comdat
	.protected	_ZN7rocprim17ROCPRIM_400000_NS6detail17trampoline_kernelINS0_14default_configENS1_25partition_config_selectorILNS1_17partition_subalgoE1EtNS0_10empty_typeEbEEZZNS1_14partition_implILS5_1ELb0ES3_jN6thrust23THRUST_200600_302600_NS6detail15normal_iteratorINSA_10device_ptrItEEEEPS6_NSA_18transform_iteratorI7is_evenItESF_NSA_11use_defaultESK_EENS0_5tupleIJNSA_16discard_iteratorISK_EESF_EEENSM_IJSG_SG_EEES6_PlJS6_EEE10hipError_tPvRmT3_T4_T5_T6_T7_T9_mT8_P12ihipStream_tbDpT10_ENKUlT_T0_E_clISt17integral_constantIbLb0EES1B_EEDaS16_S17_EUlS16_E_NS1_11comp_targetILNS1_3genE4ELNS1_11target_archE910ELNS1_3gpuE8ELNS1_3repE0EEENS1_30default_config_static_selectorELNS0_4arch9wavefront6targetE1EEEvT1_ ; -- Begin function _ZN7rocprim17ROCPRIM_400000_NS6detail17trampoline_kernelINS0_14default_configENS1_25partition_config_selectorILNS1_17partition_subalgoE1EtNS0_10empty_typeEbEEZZNS1_14partition_implILS5_1ELb0ES3_jN6thrust23THRUST_200600_302600_NS6detail15normal_iteratorINSA_10device_ptrItEEEEPS6_NSA_18transform_iteratorI7is_evenItESF_NSA_11use_defaultESK_EENS0_5tupleIJNSA_16discard_iteratorISK_EESF_EEENSM_IJSG_SG_EEES6_PlJS6_EEE10hipError_tPvRmT3_T4_T5_T6_T7_T9_mT8_P12ihipStream_tbDpT10_ENKUlT_T0_E_clISt17integral_constantIbLb0EES1B_EEDaS16_S17_EUlS16_E_NS1_11comp_targetILNS1_3genE4ELNS1_11target_archE910ELNS1_3gpuE8ELNS1_3repE0EEENS1_30default_config_static_selectorELNS0_4arch9wavefront6targetE1EEEvT1_
	.globl	_ZN7rocprim17ROCPRIM_400000_NS6detail17trampoline_kernelINS0_14default_configENS1_25partition_config_selectorILNS1_17partition_subalgoE1EtNS0_10empty_typeEbEEZZNS1_14partition_implILS5_1ELb0ES3_jN6thrust23THRUST_200600_302600_NS6detail15normal_iteratorINSA_10device_ptrItEEEEPS6_NSA_18transform_iteratorI7is_evenItESF_NSA_11use_defaultESK_EENS0_5tupleIJNSA_16discard_iteratorISK_EESF_EEENSM_IJSG_SG_EEES6_PlJS6_EEE10hipError_tPvRmT3_T4_T5_T6_T7_T9_mT8_P12ihipStream_tbDpT10_ENKUlT_T0_E_clISt17integral_constantIbLb0EES1B_EEDaS16_S17_EUlS16_E_NS1_11comp_targetILNS1_3genE4ELNS1_11target_archE910ELNS1_3gpuE8ELNS1_3repE0EEENS1_30default_config_static_selectorELNS0_4arch9wavefront6targetE1EEEvT1_
	.p2align	8
	.type	_ZN7rocprim17ROCPRIM_400000_NS6detail17trampoline_kernelINS0_14default_configENS1_25partition_config_selectorILNS1_17partition_subalgoE1EtNS0_10empty_typeEbEEZZNS1_14partition_implILS5_1ELb0ES3_jN6thrust23THRUST_200600_302600_NS6detail15normal_iteratorINSA_10device_ptrItEEEEPS6_NSA_18transform_iteratorI7is_evenItESF_NSA_11use_defaultESK_EENS0_5tupleIJNSA_16discard_iteratorISK_EESF_EEENSM_IJSG_SG_EEES6_PlJS6_EEE10hipError_tPvRmT3_T4_T5_T6_T7_T9_mT8_P12ihipStream_tbDpT10_ENKUlT_T0_E_clISt17integral_constantIbLb0EES1B_EEDaS16_S17_EUlS16_E_NS1_11comp_targetILNS1_3genE4ELNS1_11target_archE910ELNS1_3gpuE8ELNS1_3repE0EEENS1_30default_config_static_selectorELNS0_4arch9wavefront6targetE1EEEvT1_,@function
_ZN7rocprim17ROCPRIM_400000_NS6detail17trampoline_kernelINS0_14default_configENS1_25partition_config_selectorILNS1_17partition_subalgoE1EtNS0_10empty_typeEbEEZZNS1_14partition_implILS5_1ELb0ES3_jN6thrust23THRUST_200600_302600_NS6detail15normal_iteratorINSA_10device_ptrItEEEEPS6_NSA_18transform_iteratorI7is_evenItESF_NSA_11use_defaultESK_EENS0_5tupleIJNSA_16discard_iteratorISK_EESF_EEENSM_IJSG_SG_EEES6_PlJS6_EEE10hipError_tPvRmT3_T4_T5_T6_T7_T9_mT8_P12ihipStream_tbDpT10_ENKUlT_T0_E_clISt17integral_constantIbLb0EES1B_EEDaS16_S17_EUlS16_E_NS1_11comp_targetILNS1_3genE4ELNS1_11target_archE910ELNS1_3gpuE8ELNS1_3repE0EEENS1_30default_config_static_selectorELNS0_4arch9wavefront6targetE1EEEvT1_: ; @_ZN7rocprim17ROCPRIM_400000_NS6detail17trampoline_kernelINS0_14default_configENS1_25partition_config_selectorILNS1_17partition_subalgoE1EtNS0_10empty_typeEbEEZZNS1_14partition_implILS5_1ELb0ES3_jN6thrust23THRUST_200600_302600_NS6detail15normal_iteratorINSA_10device_ptrItEEEEPS6_NSA_18transform_iteratorI7is_evenItESF_NSA_11use_defaultESK_EENS0_5tupleIJNSA_16discard_iteratorISK_EESF_EEENSM_IJSG_SG_EEES6_PlJS6_EEE10hipError_tPvRmT3_T4_T5_T6_T7_T9_mT8_P12ihipStream_tbDpT10_ENKUlT_T0_E_clISt17integral_constantIbLb0EES1B_EEDaS16_S17_EUlS16_E_NS1_11comp_targetILNS1_3genE4ELNS1_11target_archE910ELNS1_3gpuE8ELNS1_3repE0EEENS1_30default_config_static_selectorELNS0_4arch9wavefront6targetE1EEEvT1_
; %bb.0:
	.section	.rodata,"a",@progbits
	.p2align	6, 0x0
	.amdhsa_kernel _ZN7rocprim17ROCPRIM_400000_NS6detail17trampoline_kernelINS0_14default_configENS1_25partition_config_selectorILNS1_17partition_subalgoE1EtNS0_10empty_typeEbEEZZNS1_14partition_implILS5_1ELb0ES3_jN6thrust23THRUST_200600_302600_NS6detail15normal_iteratorINSA_10device_ptrItEEEEPS6_NSA_18transform_iteratorI7is_evenItESF_NSA_11use_defaultESK_EENS0_5tupleIJNSA_16discard_iteratorISK_EESF_EEENSM_IJSG_SG_EEES6_PlJS6_EEE10hipError_tPvRmT3_T4_T5_T6_T7_T9_mT8_P12ihipStream_tbDpT10_ENKUlT_T0_E_clISt17integral_constantIbLb0EES1B_EEDaS16_S17_EUlS16_E_NS1_11comp_targetILNS1_3genE4ELNS1_11target_archE910ELNS1_3gpuE8ELNS1_3repE0EEENS1_30default_config_static_selectorELNS0_4arch9wavefront6targetE1EEEvT1_
		.amdhsa_group_segment_fixed_size 0
		.amdhsa_private_segment_fixed_size 0
		.amdhsa_kernarg_size 136
		.amdhsa_user_sgpr_count 2
		.amdhsa_user_sgpr_dispatch_ptr 0
		.amdhsa_user_sgpr_queue_ptr 0
		.amdhsa_user_sgpr_kernarg_segment_ptr 1
		.amdhsa_user_sgpr_dispatch_id 0
		.amdhsa_user_sgpr_kernarg_preload_length 0
		.amdhsa_user_sgpr_kernarg_preload_offset 0
		.amdhsa_user_sgpr_private_segment_size 0
		.amdhsa_uses_dynamic_stack 0
		.amdhsa_enable_private_segment 0
		.amdhsa_system_sgpr_workgroup_id_x 1
		.amdhsa_system_sgpr_workgroup_id_y 0
		.amdhsa_system_sgpr_workgroup_id_z 0
		.amdhsa_system_sgpr_workgroup_info 0
		.amdhsa_system_vgpr_workitem_id 0
		.amdhsa_next_free_vgpr 1
		.amdhsa_next_free_sgpr 0
		.amdhsa_accum_offset 4
		.amdhsa_reserve_vcc 0
		.amdhsa_float_round_mode_32 0
		.amdhsa_float_round_mode_16_64 0
		.amdhsa_float_denorm_mode_32 3
		.amdhsa_float_denorm_mode_16_64 3
		.amdhsa_dx10_clamp 1
		.amdhsa_ieee_mode 1
		.amdhsa_fp16_overflow 0
		.amdhsa_tg_split 0
		.amdhsa_exception_fp_ieee_invalid_op 0
		.amdhsa_exception_fp_denorm_src 0
		.amdhsa_exception_fp_ieee_div_zero 0
		.amdhsa_exception_fp_ieee_overflow 0
		.amdhsa_exception_fp_ieee_underflow 0
		.amdhsa_exception_fp_ieee_inexact 0
		.amdhsa_exception_int_div_zero 0
	.end_amdhsa_kernel
	.section	.text._ZN7rocprim17ROCPRIM_400000_NS6detail17trampoline_kernelINS0_14default_configENS1_25partition_config_selectorILNS1_17partition_subalgoE1EtNS0_10empty_typeEbEEZZNS1_14partition_implILS5_1ELb0ES3_jN6thrust23THRUST_200600_302600_NS6detail15normal_iteratorINSA_10device_ptrItEEEEPS6_NSA_18transform_iteratorI7is_evenItESF_NSA_11use_defaultESK_EENS0_5tupleIJNSA_16discard_iteratorISK_EESF_EEENSM_IJSG_SG_EEES6_PlJS6_EEE10hipError_tPvRmT3_T4_T5_T6_T7_T9_mT8_P12ihipStream_tbDpT10_ENKUlT_T0_E_clISt17integral_constantIbLb0EES1B_EEDaS16_S17_EUlS16_E_NS1_11comp_targetILNS1_3genE4ELNS1_11target_archE910ELNS1_3gpuE8ELNS1_3repE0EEENS1_30default_config_static_selectorELNS0_4arch9wavefront6targetE1EEEvT1_,"axG",@progbits,_ZN7rocprim17ROCPRIM_400000_NS6detail17trampoline_kernelINS0_14default_configENS1_25partition_config_selectorILNS1_17partition_subalgoE1EtNS0_10empty_typeEbEEZZNS1_14partition_implILS5_1ELb0ES3_jN6thrust23THRUST_200600_302600_NS6detail15normal_iteratorINSA_10device_ptrItEEEEPS6_NSA_18transform_iteratorI7is_evenItESF_NSA_11use_defaultESK_EENS0_5tupleIJNSA_16discard_iteratorISK_EESF_EEENSM_IJSG_SG_EEES6_PlJS6_EEE10hipError_tPvRmT3_T4_T5_T6_T7_T9_mT8_P12ihipStream_tbDpT10_ENKUlT_T0_E_clISt17integral_constantIbLb0EES1B_EEDaS16_S17_EUlS16_E_NS1_11comp_targetILNS1_3genE4ELNS1_11target_archE910ELNS1_3gpuE8ELNS1_3repE0EEENS1_30default_config_static_selectorELNS0_4arch9wavefront6targetE1EEEvT1_,comdat
.Lfunc_end3133:
	.size	_ZN7rocprim17ROCPRIM_400000_NS6detail17trampoline_kernelINS0_14default_configENS1_25partition_config_selectorILNS1_17partition_subalgoE1EtNS0_10empty_typeEbEEZZNS1_14partition_implILS5_1ELb0ES3_jN6thrust23THRUST_200600_302600_NS6detail15normal_iteratorINSA_10device_ptrItEEEEPS6_NSA_18transform_iteratorI7is_evenItESF_NSA_11use_defaultESK_EENS0_5tupleIJNSA_16discard_iteratorISK_EESF_EEENSM_IJSG_SG_EEES6_PlJS6_EEE10hipError_tPvRmT3_T4_T5_T6_T7_T9_mT8_P12ihipStream_tbDpT10_ENKUlT_T0_E_clISt17integral_constantIbLb0EES1B_EEDaS16_S17_EUlS16_E_NS1_11comp_targetILNS1_3genE4ELNS1_11target_archE910ELNS1_3gpuE8ELNS1_3repE0EEENS1_30default_config_static_selectorELNS0_4arch9wavefront6targetE1EEEvT1_, .Lfunc_end3133-_ZN7rocprim17ROCPRIM_400000_NS6detail17trampoline_kernelINS0_14default_configENS1_25partition_config_selectorILNS1_17partition_subalgoE1EtNS0_10empty_typeEbEEZZNS1_14partition_implILS5_1ELb0ES3_jN6thrust23THRUST_200600_302600_NS6detail15normal_iteratorINSA_10device_ptrItEEEEPS6_NSA_18transform_iteratorI7is_evenItESF_NSA_11use_defaultESK_EENS0_5tupleIJNSA_16discard_iteratorISK_EESF_EEENSM_IJSG_SG_EEES6_PlJS6_EEE10hipError_tPvRmT3_T4_T5_T6_T7_T9_mT8_P12ihipStream_tbDpT10_ENKUlT_T0_E_clISt17integral_constantIbLb0EES1B_EEDaS16_S17_EUlS16_E_NS1_11comp_targetILNS1_3genE4ELNS1_11target_archE910ELNS1_3gpuE8ELNS1_3repE0EEENS1_30default_config_static_selectorELNS0_4arch9wavefront6targetE1EEEvT1_
                                        ; -- End function
	.section	.AMDGPU.csdata,"",@progbits
; Kernel info:
; codeLenInByte = 0
; NumSgprs: 6
; NumVgprs: 0
; NumAgprs: 0
; TotalNumVgprs: 0
; ScratchSize: 0
; MemoryBound: 0
; FloatMode: 240
; IeeeMode: 1
; LDSByteSize: 0 bytes/workgroup (compile time only)
; SGPRBlocks: 0
; VGPRBlocks: 0
; NumSGPRsForWavesPerEU: 6
; NumVGPRsForWavesPerEU: 1
; AccumOffset: 4
; Occupancy: 8
; WaveLimiterHint : 0
; COMPUTE_PGM_RSRC2:SCRATCH_EN: 0
; COMPUTE_PGM_RSRC2:USER_SGPR: 2
; COMPUTE_PGM_RSRC2:TRAP_HANDLER: 0
; COMPUTE_PGM_RSRC2:TGID_X_EN: 1
; COMPUTE_PGM_RSRC2:TGID_Y_EN: 0
; COMPUTE_PGM_RSRC2:TGID_Z_EN: 0
; COMPUTE_PGM_RSRC2:TIDIG_COMP_CNT: 0
; COMPUTE_PGM_RSRC3_GFX90A:ACCUM_OFFSET: 0
; COMPUTE_PGM_RSRC3_GFX90A:TG_SPLIT: 0
	.section	.text._ZN7rocprim17ROCPRIM_400000_NS6detail17trampoline_kernelINS0_14default_configENS1_25partition_config_selectorILNS1_17partition_subalgoE1EtNS0_10empty_typeEbEEZZNS1_14partition_implILS5_1ELb0ES3_jN6thrust23THRUST_200600_302600_NS6detail15normal_iteratorINSA_10device_ptrItEEEEPS6_NSA_18transform_iteratorI7is_evenItESF_NSA_11use_defaultESK_EENS0_5tupleIJNSA_16discard_iteratorISK_EESF_EEENSM_IJSG_SG_EEES6_PlJS6_EEE10hipError_tPvRmT3_T4_T5_T6_T7_T9_mT8_P12ihipStream_tbDpT10_ENKUlT_T0_E_clISt17integral_constantIbLb0EES1B_EEDaS16_S17_EUlS16_E_NS1_11comp_targetILNS1_3genE3ELNS1_11target_archE908ELNS1_3gpuE7ELNS1_3repE0EEENS1_30default_config_static_selectorELNS0_4arch9wavefront6targetE1EEEvT1_,"axG",@progbits,_ZN7rocprim17ROCPRIM_400000_NS6detail17trampoline_kernelINS0_14default_configENS1_25partition_config_selectorILNS1_17partition_subalgoE1EtNS0_10empty_typeEbEEZZNS1_14partition_implILS5_1ELb0ES3_jN6thrust23THRUST_200600_302600_NS6detail15normal_iteratorINSA_10device_ptrItEEEEPS6_NSA_18transform_iteratorI7is_evenItESF_NSA_11use_defaultESK_EENS0_5tupleIJNSA_16discard_iteratorISK_EESF_EEENSM_IJSG_SG_EEES6_PlJS6_EEE10hipError_tPvRmT3_T4_T5_T6_T7_T9_mT8_P12ihipStream_tbDpT10_ENKUlT_T0_E_clISt17integral_constantIbLb0EES1B_EEDaS16_S17_EUlS16_E_NS1_11comp_targetILNS1_3genE3ELNS1_11target_archE908ELNS1_3gpuE7ELNS1_3repE0EEENS1_30default_config_static_selectorELNS0_4arch9wavefront6targetE1EEEvT1_,comdat
	.protected	_ZN7rocprim17ROCPRIM_400000_NS6detail17trampoline_kernelINS0_14default_configENS1_25partition_config_selectorILNS1_17partition_subalgoE1EtNS0_10empty_typeEbEEZZNS1_14partition_implILS5_1ELb0ES3_jN6thrust23THRUST_200600_302600_NS6detail15normal_iteratorINSA_10device_ptrItEEEEPS6_NSA_18transform_iteratorI7is_evenItESF_NSA_11use_defaultESK_EENS0_5tupleIJNSA_16discard_iteratorISK_EESF_EEENSM_IJSG_SG_EEES6_PlJS6_EEE10hipError_tPvRmT3_T4_T5_T6_T7_T9_mT8_P12ihipStream_tbDpT10_ENKUlT_T0_E_clISt17integral_constantIbLb0EES1B_EEDaS16_S17_EUlS16_E_NS1_11comp_targetILNS1_3genE3ELNS1_11target_archE908ELNS1_3gpuE7ELNS1_3repE0EEENS1_30default_config_static_selectorELNS0_4arch9wavefront6targetE1EEEvT1_ ; -- Begin function _ZN7rocprim17ROCPRIM_400000_NS6detail17trampoline_kernelINS0_14default_configENS1_25partition_config_selectorILNS1_17partition_subalgoE1EtNS0_10empty_typeEbEEZZNS1_14partition_implILS5_1ELb0ES3_jN6thrust23THRUST_200600_302600_NS6detail15normal_iteratorINSA_10device_ptrItEEEEPS6_NSA_18transform_iteratorI7is_evenItESF_NSA_11use_defaultESK_EENS0_5tupleIJNSA_16discard_iteratorISK_EESF_EEENSM_IJSG_SG_EEES6_PlJS6_EEE10hipError_tPvRmT3_T4_T5_T6_T7_T9_mT8_P12ihipStream_tbDpT10_ENKUlT_T0_E_clISt17integral_constantIbLb0EES1B_EEDaS16_S17_EUlS16_E_NS1_11comp_targetILNS1_3genE3ELNS1_11target_archE908ELNS1_3gpuE7ELNS1_3repE0EEENS1_30default_config_static_selectorELNS0_4arch9wavefront6targetE1EEEvT1_
	.globl	_ZN7rocprim17ROCPRIM_400000_NS6detail17trampoline_kernelINS0_14default_configENS1_25partition_config_selectorILNS1_17partition_subalgoE1EtNS0_10empty_typeEbEEZZNS1_14partition_implILS5_1ELb0ES3_jN6thrust23THRUST_200600_302600_NS6detail15normal_iteratorINSA_10device_ptrItEEEEPS6_NSA_18transform_iteratorI7is_evenItESF_NSA_11use_defaultESK_EENS0_5tupleIJNSA_16discard_iteratorISK_EESF_EEENSM_IJSG_SG_EEES6_PlJS6_EEE10hipError_tPvRmT3_T4_T5_T6_T7_T9_mT8_P12ihipStream_tbDpT10_ENKUlT_T0_E_clISt17integral_constantIbLb0EES1B_EEDaS16_S17_EUlS16_E_NS1_11comp_targetILNS1_3genE3ELNS1_11target_archE908ELNS1_3gpuE7ELNS1_3repE0EEENS1_30default_config_static_selectorELNS0_4arch9wavefront6targetE1EEEvT1_
	.p2align	8
	.type	_ZN7rocprim17ROCPRIM_400000_NS6detail17trampoline_kernelINS0_14default_configENS1_25partition_config_selectorILNS1_17partition_subalgoE1EtNS0_10empty_typeEbEEZZNS1_14partition_implILS5_1ELb0ES3_jN6thrust23THRUST_200600_302600_NS6detail15normal_iteratorINSA_10device_ptrItEEEEPS6_NSA_18transform_iteratorI7is_evenItESF_NSA_11use_defaultESK_EENS0_5tupleIJNSA_16discard_iteratorISK_EESF_EEENSM_IJSG_SG_EEES6_PlJS6_EEE10hipError_tPvRmT3_T4_T5_T6_T7_T9_mT8_P12ihipStream_tbDpT10_ENKUlT_T0_E_clISt17integral_constantIbLb0EES1B_EEDaS16_S17_EUlS16_E_NS1_11comp_targetILNS1_3genE3ELNS1_11target_archE908ELNS1_3gpuE7ELNS1_3repE0EEENS1_30default_config_static_selectorELNS0_4arch9wavefront6targetE1EEEvT1_,@function
_ZN7rocprim17ROCPRIM_400000_NS6detail17trampoline_kernelINS0_14default_configENS1_25partition_config_selectorILNS1_17partition_subalgoE1EtNS0_10empty_typeEbEEZZNS1_14partition_implILS5_1ELb0ES3_jN6thrust23THRUST_200600_302600_NS6detail15normal_iteratorINSA_10device_ptrItEEEEPS6_NSA_18transform_iteratorI7is_evenItESF_NSA_11use_defaultESK_EENS0_5tupleIJNSA_16discard_iteratorISK_EESF_EEENSM_IJSG_SG_EEES6_PlJS6_EEE10hipError_tPvRmT3_T4_T5_T6_T7_T9_mT8_P12ihipStream_tbDpT10_ENKUlT_T0_E_clISt17integral_constantIbLb0EES1B_EEDaS16_S17_EUlS16_E_NS1_11comp_targetILNS1_3genE3ELNS1_11target_archE908ELNS1_3gpuE7ELNS1_3repE0EEENS1_30default_config_static_selectorELNS0_4arch9wavefront6targetE1EEEvT1_: ; @_ZN7rocprim17ROCPRIM_400000_NS6detail17trampoline_kernelINS0_14default_configENS1_25partition_config_selectorILNS1_17partition_subalgoE1EtNS0_10empty_typeEbEEZZNS1_14partition_implILS5_1ELb0ES3_jN6thrust23THRUST_200600_302600_NS6detail15normal_iteratorINSA_10device_ptrItEEEEPS6_NSA_18transform_iteratorI7is_evenItESF_NSA_11use_defaultESK_EENS0_5tupleIJNSA_16discard_iteratorISK_EESF_EEENSM_IJSG_SG_EEES6_PlJS6_EEE10hipError_tPvRmT3_T4_T5_T6_T7_T9_mT8_P12ihipStream_tbDpT10_ENKUlT_T0_E_clISt17integral_constantIbLb0EES1B_EEDaS16_S17_EUlS16_E_NS1_11comp_targetILNS1_3genE3ELNS1_11target_archE908ELNS1_3gpuE7ELNS1_3repE0EEENS1_30default_config_static_selectorELNS0_4arch9wavefront6targetE1EEEvT1_
; %bb.0:
	.section	.rodata,"a",@progbits
	.p2align	6, 0x0
	.amdhsa_kernel _ZN7rocprim17ROCPRIM_400000_NS6detail17trampoline_kernelINS0_14default_configENS1_25partition_config_selectorILNS1_17partition_subalgoE1EtNS0_10empty_typeEbEEZZNS1_14partition_implILS5_1ELb0ES3_jN6thrust23THRUST_200600_302600_NS6detail15normal_iteratorINSA_10device_ptrItEEEEPS6_NSA_18transform_iteratorI7is_evenItESF_NSA_11use_defaultESK_EENS0_5tupleIJNSA_16discard_iteratorISK_EESF_EEENSM_IJSG_SG_EEES6_PlJS6_EEE10hipError_tPvRmT3_T4_T5_T6_T7_T9_mT8_P12ihipStream_tbDpT10_ENKUlT_T0_E_clISt17integral_constantIbLb0EES1B_EEDaS16_S17_EUlS16_E_NS1_11comp_targetILNS1_3genE3ELNS1_11target_archE908ELNS1_3gpuE7ELNS1_3repE0EEENS1_30default_config_static_selectorELNS0_4arch9wavefront6targetE1EEEvT1_
		.amdhsa_group_segment_fixed_size 0
		.amdhsa_private_segment_fixed_size 0
		.amdhsa_kernarg_size 136
		.amdhsa_user_sgpr_count 2
		.amdhsa_user_sgpr_dispatch_ptr 0
		.amdhsa_user_sgpr_queue_ptr 0
		.amdhsa_user_sgpr_kernarg_segment_ptr 1
		.amdhsa_user_sgpr_dispatch_id 0
		.amdhsa_user_sgpr_kernarg_preload_length 0
		.amdhsa_user_sgpr_kernarg_preload_offset 0
		.amdhsa_user_sgpr_private_segment_size 0
		.amdhsa_uses_dynamic_stack 0
		.amdhsa_enable_private_segment 0
		.amdhsa_system_sgpr_workgroup_id_x 1
		.amdhsa_system_sgpr_workgroup_id_y 0
		.amdhsa_system_sgpr_workgroup_id_z 0
		.amdhsa_system_sgpr_workgroup_info 0
		.amdhsa_system_vgpr_workitem_id 0
		.amdhsa_next_free_vgpr 1
		.amdhsa_next_free_sgpr 0
		.amdhsa_accum_offset 4
		.amdhsa_reserve_vcc 0
		.amdhsa_float_round_mode_32 0
		.amdhsa_float_round_mode_16_64 0
		.amdhsa_float_denorm_mode_32 3
		.amdhsa_float_denorm_mode_16_64 3
		.amdhsa_dx10_clamp 1
		.amdhsa_ieee_mode 1
		.amdhsa_fp16_overflow 0
		.amdhsa_tg_split 0
		.amdhsa_exception_fp_ieee_invalid_op 0
		.amdhsa_exception_fp_denorm_src 0
		.amdhsa_exception_fp_ieee_div_zero 0
		.amdhsa_exception_fp_ieee_overflow 0
		.amdhsa_exception_fp_ieee_underflow 0
		.amdhsa_exception_fp_ieee_inexact 0
		.amdhsa_exception_int_div_zero 0
	.end_amdhsa_kernel
	.section	.text._ZN7rocprim17ROCPRIM_400000_NS6detail17trampoline_kernelINS0_14default_configENS1_25partition_config_selectorILNS1_17partition_subalgoE1EtNS0_10empty_typeEbEEZZNS1_14partition_implILS5_1ELb0ES3_jN6thrust23THRUST_200600_302600_NS6detail15normal_iteratorINSA_10device_ptrItEEEEPS6_NSA_18transform_iteratorI7is_evenItESF_NSA_11use_defaultESK_EENS0_5tupleIJNSA_16discard_iteratorISK_EESF_EEENSM_IJSG_SG_EEES6_PlJS6_EEE10hipError_tPvRmT3_T4_T5_T6_T7_T9_mT8_P12ihipStream_tbDpT10_ENKUlT_T0_E_clISt17integral_constantIbLb0EES1B_EEDaS16_S17_EUlS16_E_NS1_11comp_targetILNS1_3genE3ELNS1_11target_archE908ELNS1_3gpuE7ELNS1_3repE0EEENS1_30default_config_static_selectorELNS0_4arch9wavefront6targetE1EEEvT1_,"axG",@progbits,_ZN7rocprim17ROCPRIM_400000_NS6detail17trampoline_kernelINS0_14default_configENS1_25partition_config_selectorILNS1_17partition_subalgoE1EtNS0_10empty_typeEbEEZZNS1_14partition_implILS5_1ELb0ES3_jN6thrust23THRUST_200600_302600_NS6detail15normal_iteratorINSA_10device_ptrItEEEEPS6_NSA_18transform_iteratorI7is_evenItESF_NSA_11use_defaultESK_EENS0_5tupleIJNSA_16discard_iteratorISK_EESF_EEENSM_IJSG_SG_EEES6_PlJS6_EEE10hipError_tPvRmT3_T4_T5_T6_T7_T9_mT8_P12ihipStream_tbDpT10_ENKUlT_T0_E_clISt17integral_constantIbLb0EES1B_EEDaS16_S17_EUlS16_E_NS1_11comp_targetILNS1_3genE3ELNS1_11target_archE908ELNS1_3gpuE7ELNS1_3repE0EEENS1_30default_config_static_selectorELNS0_4arch9wavefront6targetE1EEEvT1_,comdat
.Lfunc_end3134:
	.size	_ZN7rocprim17ROCPRIM_400000_NS6detail17trampoline_kernelINS0_14default_configENS1_25partition_config_selectorILNS1_17partition_subalgoE1EtNS0_10empty_typeEbEEZZNS1_14partition_implILS5_1ELb0ES3_jN6thrust23THRUST_200600_302600_NS6detail15normal_iteratorINSA_10device_ptrItEEEEPS6_NSA_18transform_iteratorI7is_evenItESF_NSA_11use_defaultESK_EENS0_5tupleIJNSA_16discard_iteratorISK_EESF_EEENSM_IJSG_SG_EEES6_PlJS6_EEE10hipError_tPvRmT3_T4_T5_T6_T7_T9_mT8_P12ihipStream_tbDpT10_ENKUlT_T0_E_clISt17integral_constantIbLb0EES1B_EEDaS16_S17_EUlS16_E_NS1_11comp_targetILNS1_3genE3ELNS1_11target_archE908ELNS1_3gpuE7ELNS1_3repE0EEENS1_30default_config_static_selectorELNS0_4arch9wavefront6targetE1EEEvT1_, .Lfunc_end3134-_ZN7rocprim17ROCPRIM_400000_NS6detail17trampoline_kernelINS0_14default_configENS1_25partition_config_selectorILNS1_17partition_subalgoE1EtNS0_10empty_typeEbEEZZNS1_14partition_implILS5_1ELb0ES3_jN6thrust23THRUST_200600_302600_NS6detail15normal_iteratorINSA_10device_ptrItEEEEPS6_NSA_18transform_iteratorI7is_evenItESF_NSA_11use_defaultESK_EENS0_5tupleIJNSA_16discard_iteratorISK_EESF_EEENSM_IJSG_SG_EEES6_PlJS6_EEE10hipError_tPvRmT3_T4_T5_T6_T7_T9_mT8_P12ihipStream_tbDpT10_ENKUlT_T0_E_clISt17integral_constantIbLb0EES1B_EEDaS16_S17_EUlS16_E_NS1_11comp_targetILNS1_3genE3ELNS1_11target_archE908ELNS1_3gpuE7ELNS1_3repE0EEENS1_30default_config_static_selectorELNS0_4arch9wavefront6targetE1EEEvT1_
                                        ; -- End function
	.section	.AMDGPU.csdata,"",@progbits
; Kernel info:
; codeLenInByte = 0
; NumSgprs: 6
; NumVgprs: 0
; NumAgprs: 0
; TotalNumVgprs: 0
; ScratchSize: 0
; MemoryBound: 0
; FloatMode: 240
; IeeeMode: 1
; LDSByteSize: 0 bytes/workgroup (compile time only)
; SGPRBlocks: 0
; VGPRBlocks: 0
; NumSGPRsForWavesPerEU: 6
; NumVGPRsForWavesPerEU: 1
; AccumOffset: 4
; Occupancy: 8
; WaveLimiterHint : 0
; COMPUTE_PGM_RSRC2:SCRATCH_EN: 0
; COMPUTE_PGM_RSRC2:USER_SGPR: 2
; COMPUTE_PGM_RSRC2:TRAP_HANDLER: 0
; COMPUTE_PGM_RSRC2:TGID_X_EN: 1
; COMPUTE_PGM_RSRC2:TGID_Y_EN: 0
; COMPUTE_PGM_RSRC2:TGID_Z_EN: 0
; COMPUTE_PGM_RSRC2:TIDIG_COMP_CNT: 0
; COMPUTE_PGM_RSRC3_GFX90A:ACCUM_OFFSET: 0
; COMPUTE_PGM_RSRC3_GFX90A:TG_SPLIT: 0
	.section	.text._ZN7rocprim17ROCPRIM_400000_NS6detail17trampoline_kernelINS0_14default_configENS1_25partition_config_selectorILNS1_17partition_subalgoE1EtNS0_10empty_typeEbEEZZNS1_14partition_implILS5_1ELb0ES3_jN6thrust23THRUST_200600_302600_NS6detail15normal_iteratorINSA_10device_ptrItEEEEPS6_NSA_18transform_iteratorI7is_evenItESF_NSA_11use_defaultESK_EENS0_5tupleIJNSA_16discard_iteratorISK_EESF_EEENSM_IJSG_SG_EEES6_PlJS6_EEE10hipError_tPvRmT3_T4_T5_T6_T7_T9_mT8_P12ihipStream_tbDpT10_ENKUlT_T0_E_clISt17integral_constantIbLb0EES1B_EEDaS16_S17_EUlS16_E_NS1_11comp_targetILNS1_3genE2ELNS1_11target_archE906ELNS1_3gpuE6ELNS1_3repE0EEENS1_30default_config_static_selectorELNS0_4arch9wavefront6targetE1EEEvT1_,"axG",@progbits,_ZN7rocprim17ROCPRIM_400000_NS6detail17trampoline_kernelINS0_14default_configENS1_25partition_config_selectorILNS1_17partition_subalgoE1EtNS0_10empty_typeEbEEZZNS1_14partition_implILS5_1ELb0ES3_jN6thrust23THRUST_200600_302600_NS6detail15normal_iteratorINSA_10device_ptrItEEEEPS6_NSA_18transform_iteratorI7is_evenItESF_NSA_11use_defaultESK_EENS0_5tupleIJNSA_16discard_iteratorISK_EESF_EEENSM_IJSG_SG_EEES6_PlJS6_EEE10hipError_tPvRmT3_T4_T5_T6_T7_T9_mT8_P12ihipStream_tbDpT10_ENKUlT_T0_E_clISt17integral_constantIbLb0EES1B_EEDaS16_S17_EUlS16_E_NS1_11comp_targetILNS1_3genE2ELNS1_11target_archE906ELNS1_3gpuE6ELNS1_3repE0EEENS1_30default_config_static_selectorELNS0_4arch9wavefront6targetE1EEEvT1_,comdat
	.protected	_ZN7rocprim17ROCPRIM_400000_NS6detail17trampoline_kernelINS0_14default_configENS1_25partition_config_selectorILNS1_17partition_subalgoE1EtNS0_10empty_typeEbEEZZNS1_14partition_implILS5_1ELb0ES3_jN6thrust23THRUST_200600_302600_NS6detail15normal_iteratorINSA_10device_ptrItEEEEPS6_NSA_18transform_iteratorI7is_evenItESF_NSA_11use_defaultESK_EENS0_5tupleIJNSA_16discard_iteratorISK_EESF_EEENSM_IJSG_SG_EEES6_PlJS6_EEE10hipError_tPvRmT3_T4_T5_T6_T7_T9_mT8_P12ihipStream_tbDpT10_ENKUlT_T0_E_clISt17integral_constantIbLb0EES1B_EEDaS16_S17_EUlS16_E_NS1_11comp_targetILNS1_3genE2ELNS1_11target_archE906ELNS1_3gpuE6ELNS1_3repE0EEENS1_30default_config_static_selectorELNS0_4arch9wavefront6targetE1EEEvT1_ ; -- Begin function _ZN7rocprim17ROCPRIM_400000_NS6detail17trampoline_kernelINS0_14default_configENS1_25partition_config_selectorILNS1_17partition_subalgoE1EtNS0_10empty_typeEbEEZZNS1_14partition_implILS5_1ELb0ES3_jN6thrust23THRUST_200600_302600_NS6detail15normal_iteratorINSA_10device_ptrItEEEEPS6_NSA_18transform_iteratorI7is_evenItESF_NSA_11use_defaultESK_EENS0_5tupleIJNSA_16discard_iteratorISK_EESF_EEENSM_IJSG_SG_EEES6_PlJS6_EEE10hipError_tPvRmT3_T4_T5_T6_T7_T9_mT8_P12ihipStream_tbDpT10_ENKUlT_T0_E_clISt17integral_constantIbLb0EES1B_EEDaS16_S17_EUlS16_E_NS1_11comp_targetILNS1_3genE2ELNS1_11target_archE906ELNS1_3gpuE6ELNS1_3repE0EEENS1_30default_config_static_selectorELNS0_4arch9wavefront6targetE1EEEvT1_
	.globl	_ZN7rocprim17ROCPRIM_400000_NS6detail17trampoline_kernelINS0_14default_configENS1_25partition_config_selectorILNS1_17partition_subalgoE1EtNS0_10empty_typeEbEEZZNS1_14partition_implILS5_1ELb0ES3_jN6thrust23THRUST_200600_302600_NS6detail15normal_iteratorINSA_10device_ptrItEEEEPS6_NSA_18transform_iteratorI7is_evenItESF_NSA_11use_defaultESK_EENS0_5tupleIJNSA_16discard_iteratorISK_EESF_EEENSM_IJSG_SG_EEES6_PlJS6_EEE10hipError_tPvRmT3_T4_T5_T6_T7_T9_mT8_P12ihipStream_tbDpT10_ENKUlT_T0_E_clISt17integral_constantIbLb0EES1B_EEDaS16_S17_EUlS16_E_NS1_11comp_targetILNS1_3genE2ELNS1_11target_archE906ELNS1_3gpuE6ELNS1_3repE0EEENS1_30default_config_static_selectorELNS0_4arch9wavefront6targetE1EEEvT1_
	.p2align	8
	.type	_ZN7rocprim17ROCPRIM_400000_NS6detail17trampoline_kernelINS0_14default_configENS1_25partition_config_selectorILNS1_17partition_subalgoE1EtNS0_10empty_typeEbEEZZNS1_14partition_implILS5_1ELb0ES3_jN6thrust23THRUST_200600_302600_NS6detail15normal_iteratorINSA_10device_ptrItEEEEPS6_NSA_18transform_iteratorI7is_evenItESF_NSA_11use_defaultESK_EENS0_5tupleIJNSA_16discard_iteratorISK_EESF_EEENSM_IJSG_SG_EEES6_PlJS6_EEE10hipError_tPvRmT3_T4_T5_T6_T7_T9_mT8_P12ihipStream_tbDpT10_ENKUlT_T0_E_clISt17integral_constantIbLb0EES1B_EEDaS16_S17_EUlS16_E_NS1_11comp_targetILNS1_3genE2ELNS1_11target_archE906ELNS1_3gpuE6ELNS1_3repE0EEENS1_30default_config_static_selectorELNS0_4arch9wavefront6targetE1EEEvT1_,@function
_ZN7rocprim17ROCPRIM_400000_NS6detail17trampoline_kernelINS0_14default_configENS1_25partition_config_selectorILNS1_17partition_subalgoE1EtNS0_10empty_typeEbEEZZNS1_14partition_implILS5_1ELb0ES3_jN6thrust23THRUST_200600_302600_NS6detail15normal_iteratorINSA_10device_ptrItEEEEPS6_NSA_18transform_iteratorI7is_evenItESF_NSA_11use_defaultESK_EENS0_5tupleIJNSA_16discard_iteratorISK_EESF_EEENSM_IJSG_SG_EEES6_PlJS6_EEE10hipError_tPvRmT3_T4_T5_T6_T7_T9_mT8_P12ihipStream_tbDpT10_ENKUlT_T0_E_clISt17integral_constantIbLb0EES1B_EEDaS16_S17_EUlS16_E_NS1_11comp_targetILNS1_3genE2ELNS1_11target_archE906ELNS1_3gpuE6ELNS1_3repE0EEENS1_30default_config_static_selectorELNS0_4arch9wavefront6targetE1EEEvT1_: ; @_ZN7rocprim17ROCPRIM_400000_NS6detail17trampoline_kernelINS0_14default_configENS1_25partition_config_selectorILNS1_17partition_subalgoE1EtNS0_10empty_typeEbEEZZNS1_14partition_implILS5_1ELb0ES3_jN6thrust23THRUST_200600_302600_NS6detail15normal_iteratorINSA_10device_ptrItEEEEPS6_NSA_18transform_iteratorI7is_evenItESF_NSA_11use_defaultESK_EENS0_5tupleIJNSA_16discard_iteratorISK_EESF_EEENSM_IJSG_SG_EEES6_PlJS6_EEE10hipError_tPvRmT3_T4_T5_T6_T7_T9_mT8_P12ihipStream_tbDpT10_ENKUlT_T0_E_clISt17integral_constantIbLb0EES1B_EEDaS16_S17_EUlS16_E_NS1_11comp_targetILNS1_3genE2ELNS1_11target_archE906ELNS1_3gpuE6ELNS1_3repE0EEENS1_30default_config_static_selectorELNS0_4arch9wavefront6targetE1EEEvT1_
; %bb.0:
	.section	.rodata,"a",@progbits
	.p2align	6, 0x0
	.amdhsa_kernel _ZN7rocprim17ROCPRIM_400000_NS6detail17trampoline_kernelINS0_14default_configENS1_25partition_config_selectorILNS1_17partition_subalgoE1EtNS0_10empty_typeEbEEZZNS1_14partition_implILS5_1ELb0ES3_jN6thrust23THRUST_200600_302600_NS6detail15normal_iteratorINSA_10device_ptrItEEEEPS6_NSA_18transform_iteratorI7is_evenItESF_NSA_11use_defaultESK_EENS0_5tupleIJNSA_16discard_iteratorISK_EESF_EEENSM_IJSG_SG_EEES6_PlJS6_EEE10hipError_tPvRmT3_T4_T5_T6_T7_T9_mT8_P12ihipStream_tbDpT10_ENKUlT_T0_E_clISt17integral_constantIbLb0EES1B_EEDaS16_S17_EUlS16_E_NS1_11comp_targetILNS1_3genE2ELNS1_11target_archE906ELNS1_3gpuE6ELNS1_3repE0EEENS1_30default_config_static_selectorELNS0_4arch9wavefront6targetE1EEEvT1_
		.amdhsa_group_segment_fixed_size 0
		.amdhsa_private_segment_fixed_size 0
		.amdhsa_kernarg_size 136
		.amdhsa_user_sgpr_count 2
		.amdhsa_user_sgpr_dispatch_ptr 0
		.amdhsa_user_sgpr_queue_ptr 0
		.amdhsa_user_sgpr_kernarg_segment_ptr 1
		.amdhsa_user_sgpr_dispatch_id 0
		.amdhsa_user_sgpr_kernarg_preload_length 0
		.amdhsa_user_sgpr_kernarg_preload_offset 0
		.amdhsa_user_sgpr_private_segment_size 0
		.amdhsa_uses_dynamic_stack 0
		.amdhsa_enable_private_segment 0
		.amdhsa_system_sgpr_workgroup_id_x 1
		.amdhsa_system_sgpr_workgroup_id_y 0
		.amdhsa_system_sgpr_workgroup_id_z 0
		.amdhsa_system_sgpr_workgroup_info 0
		.amdhsa_system_vgpr_workitem_id 0
		.amdhsa_next_free_vgpr 1
		.amdhsa_next_free_sgpr 0
		.amdhsa_accum_offset 4
		.amdhsa_reserve_vcc 0
		.amdhsa_float_round_mode_32 0
		.amdhsa_float_round_mode_16_64 0
		.amdhsa_float_denorm_mode_32 3
		.amdhsa_float_denorm_mode_16_64 3
		.amdhsa_dx10_clamp 1
		.amdhsa_ieee_mode 1
		.amdhsa_fp16_overflow 0
		.amdhsa_tg_split 0
		.amdhsa_exception_fp_ieee_invalid_op 0
		.amdhsa_exception_fp_denorm_src 0
		.amdhsa_exception_fp_ieee_div_zero 0
		.amdhsa_exception_fp_ieee_overflow 0
		.amdhsa_exception_fp_ieee_underflow 0
		.amdhsa_exception_fp_ieee_inexact 0
		.amdhsa_exception_int_div_zero 0
	.end_amdhsa_kernel
	.section	.text._ZN7rocprim17ROCPRIM_400000_NS6detail17trampoline_kernelINS0_14default_configENS1_25partition_config_selectorILNS1_17partition_subalgoE1EtNS0_10empty_typeEbEEZZNS1_14partition_implILS5_1ELb0ES3_jN6thrust23THRUST_200600_302600_NS6detail15normal_iteratorINSA_10device_ptrItEEEEPS6_NSA_18transform_iteratorI7is_evenItESF_NSA_11use_defaultESK_EENS0_5tupleIJNSA_16discard_iteratorISK_EESF_EEENSM_IJSG_SG_EEES6_PlJS6_EEE10hipError_tPvRmT3_T4_T5_T6_T7_T9_mT8_P12ihipStream_tbDpT10_ENKUlT_T0_E_clISt17integral_constantIbLb0EES1B_EEDaS16_S17_EUlS16_E_NS1_11comp_targetILNS1_3genE2ELNS1_11target_archE906ELNS1_3gpuE6ELNS1_3repE0EEENS1_30default_config_static_selectorELNS0_4arch9wavefront6targetE1EEEvT1_,"axG",@progbits,_ZN7rocprim17ROCPRIM_400000_NS6detail17trampoline_kernelINS0_14default_configENS1_25partition_config_selectorILNS1_17partition_subalgoE1EtNS0_10empty_typeEbEEZZNS1_14partition_implILS5_1ELb0ES3_jN6thrust23THRUST_200600_302600_NS6detail15normal_iteratorINSA_10device_ptrItEEEEPS6_NSA_18transform_iteratorI7is_evenItESF_NSA_11use_defaultESK_EENS0_5tupleIJNSA_16discard_iteratorISK_EESF_EEENSM_IJSG_SG_EEES6_PlJS6_EEE10hipError_tPvRmT3_T4_T5_T6_T7_T9_mT8_P12ihipStream_tbDpT10_ENKUlT_T0_E_clISt17integral_constantIbLb0EES1B_EEDaS16_S17_EUlS16_E_NS1_11comp_targetILNS1_3genE2ELNS1_11target_archE906ELNS1_3gpuE6ELNS1_3repE0EEENS1_30default_config_static_selectorELNS0_4arch9wavefront6targetE1EEEvT1_,comdat
.Lfunc_end3135:
	.size	_ZN7rocprim17ROCPRIM_400000_NS6detail17trampoline_kernelINS0_14default_configENS1_25partition_config_selectorILNS1_17partition_subalgoE1EtNS0_10empty_typeEbEEZZNS1_14partition_implILS5_1ELb0ES3_jN6thrust23THRUST_200600_302600_NS6detail15normal_iteratorINSA_10device_ptrItEEEEPS6_NSA_18transform_iteratorI7is_evenItESF_NSA_11use_defaultESK_EENS0_5tupleIJNSA_16discard_iteratorISK_EESF_EEENSM_IJSG_SG_EEES6_PlJS6_EEE10hipError_tPvRmT3_T4_T5_T6_T7_T9_mT8_P12ihipStream_tbDpT10_ENKUlT_T0_E_clISt17integral_constantIbLb0EES1B_EEDaS16_S17_EUlS16_E_NS1_11comp_targetILNS1_3genE2ELNS1_11target_archE906ELNS1_3gpuE6ELNS1_3repE0EEENS1_30default_config_static_selectorELNS0_4arch9wavefront6targetE1EEEvT1_, .Lfunc_end3135-_ZN7rocprim17ROCPRIM_400000_NS6detail17trampoline_kernelINS0_14default_configENS1_25partition_config_selectorILNS1_17partition_subalgoE1EtNS0_10empty_typeEbEEZZNS1_14partition_implILS5_1ELb0ES3_jN6thrust23THRUST_200600_302600_NS6detail15normal_iteratorINSA_10device_ptrItEEEEPS6_NSA_18transform_iteratorI7is_evenItESF_NSA_11use_defaultESK_EENS0_5tupleIJNSA_16discard_iteratorISK_EESF_EEENSM_IJSG_SG_EEES6_PlJS6_EEE10hipError_tPvRmT3_T4_T5_T6_T7_T9_mT8_P12ihipStream_tbDpT10_ENKUlT_T0_E_clISt17integral_constantIbLb0EES1B_EEDaS16_S17_EUlS16_E_NS1_11comp_targetILNS1_3genE2ELNS1_11target_archE906ELNS1_3gpuE6ELNS1_3repE0EEENS1_30default_config_static_selectorELNS0_4arch9wavefront6targetE1EEEvT1_
                                        ; -- End function
	.section	.AMDGPU.csdata,"",@progbits
; Kernel info:
; codeLenInByte = 0
; NumSgprs: 6
; NumVgprs: 0
; NumAgprs: 0
; TotalNumVgprs: 0
; ScratchSize: 0
; MemoryBound: 0
; FloatMode: 240
; IeeeMode: 1
; LDSByteSize: 0 bytes/workgroup (compile time only)
; SGPRBlocks: 0
; VGPRBlocks: 0
; NumSGPRsForWavesPerEU: 6
; NumVGPRsForWavesPerEU: 1
; AccumOffset: 4
; Occupancy: 8
; WaveLimiterHint : 0
; COMPUTE_PGM_RSRC2:SCRATCH_EN: 0
; COMPUTE_PGM_RSRC2:USER_SGPR: 2
; COMPUTE_PGM_RSRC2:TRAP_HANDLER: 0
; COMPUTE_PGM_RSRC2:TGID_X_EN: 1
; COMPUTE_PGM_RSRC2:TGID_Y_EN: 0
; COMPUTE_PGM_RSRC2:TGID_Z_EN: 0
; COMPUTE_PGM_RSRC2:TIDIG_COMP_CNT: 0
; COMPUTE_PGM_RSRC3_GFX90A:ACCUM_OFFSET: 0
; COMPUTE_PGM_RSRC3_GFX90A:TG_SPLIT: 0
	.section	.text._ZN7rocprim17ROCPRIM_400000_NS6detail17trampoline_kernelINS0_14default_configENS1_25partition_config_selectorILNS1_17partition_subalgoE1EtNS0_10empty_typeEbEEZZNS1_14partition_implILS5_1ELb0ES3_jN6thrust23THRUST_200600_302600_NS6detail15normal_iteratorINSA_10device_ptrItEEEEPS6_NSA_18transform_iteratorI7is_evenItESF_NSA_11use_defaultESK_EENS0_5tupleIJNSA_16discard_iteratorISK_EESF_EEENSM_IJSG_SG_EEES6_PlJS6_EEE10hipError_tPvRmT3_T4_T5_T6_T7_T9_mT8_P12ihipStream_tbDpT10_ENKUlT_T0_E_clISt17integral_constantIbLb0EES1B_EEDaS16_S17_EUlS16_E_NS1_11comp_targetILNS1_3genE10ELNS1_11target_archE1200ELNS1_3gpuE4ELNS1_3repE0EEENS1_30default_config_static_selectorELNS0_4arch9wavefront6targetE1EEEvT1_,"axG",@progbits,_ZN7rocprim17ROCPRIM_400000_NS6detail17trampoline_kernelINS0_14default_configENS1_25partition_config_selectorILNS1_17partition_subalgoE1EtNS0_10empty_typeEbEEZZNS1_14partition_implILS5_1ELb0ES3_jN6thrust23THRUST_200600_302600_NS6detail15normal_iteratorINSA_10device_ptrItEEEEPS6_NSA_18transform_iteratorI7is_evenItESF_NSA_11use_defaultESK_EENS0_5tupleIJNSA_16discard_iteratorISK_EESF_EEENSM_IJSG_SG_EEES6_PlJS6_EEE10hipError_tPvRmT3_T4_T5_T6_T7_T9_mT8_P12ihipStream_tbDpT10_ENKUlT_T0_E_clISt17integral_constantIbLb0EES1B_EEDaS16_S17_EUlS16_E_NS1_11comp_targetILNS1_3genE10ELNS1_11target_archE1200ELNS1_3gpuE4ELNS1_3repE0EEENS1_30default_config_static_selectorELNS0_4arch9wavefront6targetE1EEEvT1_,comdat
	.protected	_ZN7rocprim17ROCPRIM_400000_NS6detail17trampoline_kernelINS0_14default_configENS1_25partition_config_selectorILNS1_17partition_subalgoE1EtNS0_10empty_typeEbEEZZNS1_14partition_implILS5_1ELb0ES3_jN6thrust23THRUST_200600_302600_NS6detail15normal_iteratorINSA_10device_ptrItEEEEPS6_NSA_18transform_iteratorI7is_evenItESF_NSA_11use_defaultESK_EENS0_5tupleIJNSA_16discard_iteratorISK_EESF_EEENSM_IJSG_SG_EEES6_PlJS6_EEE10hipError_tPvRmT3_T4_T5_T6_T7_T9_mT8_P12ihipStream_tbDpT10_ENKUlT_T0_E_clISt17integral_constantIbLb0EES1B_EEDaS16_S17_EUlS16_E_NS1_11comp_targetILNS1_3genE10ELNS1_11target_archE1200ELNS1_3gpuE4ELNS1_3repE0EEENS1_30default_config_static_selectorELNS0_4arch9wavefront6targetE1EEEvT1_ ; -- Begin function _ZN7rocprim17ROCPRIM_400000_NS6detail17trampoline_kernelINS0_14default_configENS1_25partition_config_selectorILNS1_17partition_subalgoE1EtNS0_10empty_typeEbEEZZNS1_14partition_implILS5_1ELb0ES3_jN6thrust23THRUST_200600_302600_NS6detail15normal_iteratorINSA_10device_ptrItEEEEPS6_NSA_18transform_iteratorI7is_evenItESF_NSA_11use_defaultESK_EENS0_5tupleIJNSA_16discard_iteratorISK_EESF_EEENSM_IJSG_SG_EEES6_PlJS6_EEE10hipError_tPvRmT3_T4_T5_T6_T7_T9_mT8_P12ihipStream_tbDpT10_ENKUlT_T0_E_clISt17integral_constantIbLb0EES1B_EEDaS16_S17_EUlS16_E_NS1_11comp_targetILNS1_3genE10ELNS1_11target_archE1200ELNS1_3gpuE4ELNS1_3repE0EEENS1_30default_config_static_selectorELNS0_4arch9wavefront6targetE1EEEvT1_
	.globl	_ZN7rocprim17ROCPRIM_400000_NS6detail17trampoline_kernelINS0_14default_configENS1_25partition_config_selectorILNS1_17partition_subalgoE1EtNS0_10empty_typeEbEEZZNS1_14partition_implILS5_1ELb0ES3_jN6thrust23THRUST_200600_302600_NS6detail15normal_iteratorINSA_10device_ptrItEEEEPS6_NSA_18transform_iteratorI7is_evenItESF_NSA_11use_defaultESK_EENS0_5tupleIJNSA_16discard_iteratorISK_EESF_EEENSM_IJSG_SG_EEES6_PlJS6_EEE10hipError_tPvRmT3_T4_T5_T6_T7_T9_mT8_P12ihipStream_tbDpT10_ENKUlT_T0_E_clISt17integral_constantIbLb0EES1B_EEDaS16_S17_EUlS16_E_NS1_11comp_targetILNS1_3genE10ELNS1_11target_archE1200ELNS1_3gpuE4ELNS1_3repE0EEENS1_30default_config_static_selectorELNS0_4arch9wavefront6targetE1EEEvT1_
	.p2align	8
	.type	_ZN7rocprim17ROCPRIM_400000_NS6detail17trampoline_kernelINS0_14default_configENS1_25partition_config_selectorILNS1_17partition_subalgoE1EtNS0_10empty_typeEbEEZZNS1_14partition_implILS5_1ELb0ES3_jN6thrust23THRUST_200600_302600_NS6detail15normal_iteratorINSA_10device_ptrItEEEEPS6_NSA_18transform_iteratorI7is_evenItESF_NSA_11use_defaultESK_EENS0_5tupleIJNSA_16discard_iteratorISK_EESF_EEENSM_IJSG_SG_EEES6_PlJS6_EEE10hipError_tPvRmT3_T4_T5_T6_T7_T9_mT8_P12ihipStream_tbDpT10_ENKUlT_T0_E_clISt17integral_constantIbLb0EES1B_EEDaS16_S17_EUlS16_E_NS1_11comp_targetILNS1_3genE10ELNS1_11target_archE1200ELNS1_3gpuE4ELNS1_3repE0EEENS1_30default_config_static_selectorELNS0_4arch9wavefront6targetE1EEEvT1_,@function
_ZN7rocprim17ROCPRIM_400000_NS6detail17trampoline_kernelINS0_14default_configENS1_25partition_config_selectorILNS1_17partition_subalgoE1EtNS0_10empty_typeEbEEZZNS1_14partition_implILS5_1ELb0ES3_jN6thrust23THRUST_200600_302600_NS6detail15normal_iteratorINSA_10device_ptrItEEEEPS6_NSA_18transform_iteratorI7is_evenItESF_NSA_11use_defaultESK_EENS0_5tupleIJNSA_16discard_iteratorISK_EESF_EEENSM_IJSG_SG_EEES6_PlJS6_EEE10hipError_tPvRmT3_T4_T5_T6_T7_T9_mT8_P12ihipStream_tbDpT10_ENKUlT_T0_E_clISt17integral_constantIbLb0EES1B_EEDaS16_S17_EUlS16_E_NS1_11comp_targetILNS1_3genE10ELNS1_11target_archE1200ELNS1_3gpuE4ELNS1_3repE0EEENS1_30default_config_static_selectorELNS0_4arch9wavefront6targetE1EEEvT1_: ; @_ZN7rocprim17ROCPRIM_400000_NS6detail17trampoline_kernelINS0_14default_configENS1_25partition_config_selectorILNS1_17partition_subalgoE1EtNS0_10empty_typeEbEEZZNS1_14partition_implILS5_1ELb0ES3_jN6thrust23THRUST_200600_302600_NS6detail15normal_iteratorINSA_10device_ptrItEEEEPS6_NSA_18transform_iteratorI7is_evenItESF_NSA_11use_defaultESK_EENS0_5tupleIJNSA_16discard_iteratorISK_EESF_EEENSM_IJSG_SG_EEES6_PlJS6_EEE10hipError_tPvRmT3_T4_T5_T6_T7_T9_mT8_P12ihipStream_tbDpT10_ENKUlT_T0_E_clISt17integral_constantIbLb0EES1B_EEDaS16_S17_EUlS16_E_NS1_11comp_targetILNS1_3genE10ELNS1_11target_archE1200ELNS1_3gpuE4ELNS1_3repE0EEENS1_30default_config_static_selectorELNS0_4arch9wavefront6targetE1EEEvT1_
; %bb.0:
	.section	.rodata,"a",@progbits
	.p2align	6, 0x0
	.amdhsa_kernel _ZN7rocprim17ROCPRIM_400000_NS6detail17trampoline_kernelINS0_14default_configENS1_25partition_config_selectorILNS1_17partition_subalgoE1EtNS0_10empty_typeEbEEZZNS1_14partition_implILS5_1ELb0ES3_jN6thrust23THRUST_200600_302600_NS6detail15normal_iteratorINSA_10device_ptrItEEEEPS6_NSA_18transform_iteratorI7is_evenItESF_NSA_11use_defaultESK_EENS0_5tupleIJNSA_16discard_iteratorISK_EESF_EEENSM_IJSG_SG_EEES6_PlJS6_EEE10hipError_tPvRmT3_T4_T5_T6_T7_T9_mT8_P12ihipStream_tbDpT10_ENKUlT_T0_E_clISt17integral_constantIbLb0EES1B_EEDaS16_S17_EUlS16_E_NS1_11comp_targetILNS1_3genE10ELNS1_11target_archE1200ELNS1_3gpuE4ELNS1_3repE0EEENS1_30default_config_static_selectorELNS0_4arch9wavefront6targetE1EEEvT1_
		.amdhsa_group_segment_fixed_size 0
		.amdhsa_private_segment_fixed_size 0
		.amdhsa_kernarg_size 136
		.amdhsa_user_sgpr_count 2
		.amdhsa_user_sgpr_dispatch_ptr 0
		.amdhsa_user_sgpr_queue_ptr 0
		.amdhsa_user_sgpr_kernarg_segment_ptr 1
		.amdhsa_user_sgpr_dispatch_id 0
		.amdhsa_user_sgpr_kernarg_preload_length 0
		.amdhsa_user_sgpr_kernarg_preload_offset 0
		.amdhsa_user_sgpr_private_segment_size 0
		.amdhsa_uses_dynamic_stack 0
		.amdhsa_enable_private_segment 0
		.amdhsa_system_sgpr_workgroup_id_x 1
		.amdhsa_system_sgpr_workgroup_id_y 0
		.amdhsa_system_sgpr_workgroup_id_z 0
		.amdhsa_system_sgpr_workgroup_info 0
		.amdhsa_system_vgpr_workitem_id 0
		.amdhsa_next_free_vgpr 1
		.amdhsa_next_free_sgpr 0
		.amdhsa_accum_offset 4
		.amdhsa_reserve_vcc 0
		.amdhsa_float_round_mode_32 0
		.amdhsa_float_round_mode_16_64 0
		.amdhsa_float_denorm_mode_32 3
		.amdhsa_float_denorm_mode_16_64 3
		.amdhsa_dx10_clamp 1
		.amdhsa_ieee_mode 1
		.amdhsa_fp16_overflow 0
		.amdhsa_tg_split 0
		.amdhsa_exception_fp_ieee_invalid_op 0
		.amdhsa_exception_fp_denorm_src 0
		.amdhsa_exception_fp_ieee_div_zero 0
		.amdhsa_exception_fp_ieee_overflow 0
		.amdhsa_exception_fp_ieee_underflow 0
		.amdhsa_exception_fp_ieee_inexact 0
		.amdhsa_exception_int_div_zero 0
	.end_amdhsa_kernel
	.section	.text._ZN7rocprim17ROCPRIM_400000_NS6detail17trampoline_kernelINS0_14default_configENS1_25partition_config_selectorILNS1_17partition_subalgoE1EtNS0_10empty_typeEbEEZZNS1_14partition_implILS5_1ELb0ES3_jN6thrust23THRUST_200600_302600_NS6detail15normal_iteratorINSA_10device_ptrItEEEEPS6_NSA_18transform_iteratorI7is_evenItESF_NSA_11use_defaultESK_EENS0_5tupleIJNSA_16discard_iteratorISK_EESF_EEENSM_IJSG_SG_EEES6_PlJS6_EEE10hipError_tPvRmT3_T4_T5_T6_T7_T9_mT8_P12ihipStream_tbDpT10_ENKUlT_T0_E_clISt17integral_constantIbLb0EES1B_EEDaS16_S17_EUlS16_E_NS1_11comp_targetILNS1_3genE10ELNS1_11target_archE1200ELNS1_3gpuE4ELNS1_3repE0EEENS1_30default_config_static_selectorELNS0_4arch9wavefront6targetE1EEEvT1_,"axG",@progbits,_ZN7rocprim17ROCPRIM_400000_NS6detail17trampoline_kernelINS0_14default_configENS1_25partition_config_selectorILNS1_17partition_subalgoE1EtNS0_10empty_typeEbEEZZNS1_14partition_implILS5_1ELb0ES3_jN6thrust23THRUST_200600_302600_NS6detail15normal_iteratorINSA_10device_ptrItEEEEPS6_NSA_18transform_iteratorI7is_evenItESF_NSA_11use_defaultESK_EENS0_5tupleIJNSA_16discard_iteratorISK_EESF_EEENSM_IJSG_SG_EEES6_PlJS6_EEE10hipError_tPvRmT3_T4_T5_T6_T7_T9_mT8_P12ihipStream_tbDpT10_ENKUlT_T0_E_clISt17integral_constantIbLb0EES1B_EEDaS16_S17_EUlS16_E_NS1_11comp_targetILNS1_3genE10ELNS1_11target_archE1200ELNS1_3gpuE4ELNS1_3repE0EEENS1_30default_config_static_selectorELNS0_4arch9wavefront6targetE1EEEvT1_,comdat
.Lfunc_end3136:
	.size	_ZN7rocprim17ROCPRIM_400000_NS6detail17trampoline_kernelINS0_14default_configENS1_25partition_config_selectorILNS1_17partition_subalgoE1EtNS0_10empty_typeEbEEZZNS1_14partition_implILS5_1ELb0ES3_jN6thrust23THRUST_200600_302600_NS6detail15normal_iteratorINSA_10device_ptrItEEEEPS6_NSA_18transform_iteratorI7is_evenItESF_NSA_11use_defaultESK_EENS0_5tupleIJNSA_16discard_iteratorISK_EESF_EEENSM_IJSG_SG_EEES6_PlJS6_EEE10hipError_tPvRmT3_T4_T5_T6_T7_T9_mT8_P12ihipStream_tbDpT10_ENKUlT_T0_E_clISt17integral_constantIbLb0EES1B_EEDaS16_S17_EUlS16_E_NS1_11comp_targetILNS1_3genE10ELNS1_11target_archE1200ELNS1_3gpuE4ELNS1_3repE0EEENS1_30default_config_static_selectorELNS0_4arch9wavefront6targetE1EEEvT1_, .Lfunc_end3136-_ZN7rocprim17ROCPRIM_400000_NS6detail17trampoline_kernelINS0_14default_configENS1_25partition_config_selectorILNS1_17partition_subalgoE1EtNS0_10empty_typeEbEEZZNS1_14partition_implILS5_1ELb0ES3_jN6thrust23THRUST_200600_302600_NS6detail15normal_iteratorINSA_10device_ptrItEEEEPS6_NSA_18transform_iteratorI7is_evenItESF_NSA_11use_defaultESK_EENS0_5tupleIJNSA_16discard_iteratorISK_EESF_EEENSM_IJSG_SG_EEES6_PlJS6_EEE10hipError_tPvRmT3_T4_T5_T6_T7_T9_mT8_P12ihipStream_tbDpT10_ENKUlT_T0_E_clISt17integral_constantIbLb0EES1B_EEDaS16_S17_EUlS16_E_NS1_11comp_targetILNS1_3genE10ELNS1_11target_archE1200ELNS1_3gpuE4ELNS1_3repE0EEENS1_30default_config_static_selectorELNS0_4arch9wavefront6targetE1EEEvT1_
                                        ; -- End function
	.section	.AMDGPU.csdata,"",@progbits
; Kernel info:
; codeLenInByte = 0
; NumSgprs: 6
; NumVgprs: 0
; NumAgprs: 0
; TotalNumVgprs: 0
; ScratchSize: 0
; MemoryBound: 0
; FloatMode: 240
; IeeeMode: 1
; LDSByteSize: 0 bytes/workgroup (compile time only)
; SGPRBlocks: 0
; VGPRBlocks: 0
; NumSGPRsForWavesPerEU: 6
; NumVGPRsForWavesPerEU: 1
; AccumOffset: 4
; Occupancy: 8
; WaveLimiterHint : 0
; COMPUTE_PGM_RSRC2:SCRATCH_EN: 0
; COMPUTE_PGM_RSRC2:USER_SGPR: 2
; COMPUTE_PGM_RSRC2:TRAP_HANDLER: 0
; COMPUTE_PGM_RSRC2:TGID_X_EN: 1
; COMPUTE_PGM_RSRC2:TGID_Y_EN: 0
; COMPUTE_PGM_RSRC2:TGID_Z_EN: 0
; COMPUTE_PGM_RSRC2:TIDIG_COMP_CNT: 0
; COMPUTE_PGM_RSRC3_GFX90A:ACCUM_OFFSET: 0
; COMPUTE_PGM_RSRC3_GFX90A:TG_SPLIT: 0
	.section	.text._ZN7rocprim17ROCPRIM_400000_NS6detail17trampoline_kernelINS0_14default_configENS1_25partition_config_selectorILNS1_17partition_subalgoE1EtNS0_10empty_typeEbEEZZNS1_14partition_implILS5_1ELb0ES3_jN6thrust23THRUST_200600_302600_NS6detail15normal_iteratorINSA_10device_ptrItEEEEPS6_NSA_18transform_iteratorI7is_evenItESF_NSA_11use_defaultESK_EENS0_5tupleIJNSA_16discard_iteratorISK_EESF_EEENSM_IJSG_SG_EEES6_PlJS6_EEE10hipError_tPvRmT3_T4_T5_T6_T7_T9_mT8_P12ihipStream_tbDpT10_ENKUlT_T0_E_clISt17integral_constantIbLb0EES1B_EEDaS16_S17_EUlS16_E_NS1_11comp_targetILNS1_3genE9ELNS1_11target_archE1100ELNS1_3gpuE3ELNS1_3repE0EEENS1_30default_config_static_selectorELNS0_4arch9wavefront6targetE1EEEvT1_,"axG",@progbits,_ZN7rocprim17ROCPRIM_400000_NS6detail17trampoline_kernelINS0_14default_configENS1_25partition_config_selectorILNS1_17partition_subalgoE1EtNS0_10empty_typeEbEEZZNS1_14partition_implILS5_1ELb0ES3_jN6thrust23THRUST_200600_302600_NS6detail15normal_iteratorINSA_10device_ptrItEEEEPS6_NSA_18transform_iteratorI7is_evenItESF_NSA_11use_defaultESK_EENS0_5tupleIJNSA_16discard_iteratorISK_EESF_EEENSM_IJSG_SG_EEES6_PlJS6_EEE10hipError_tPvRmT3_T4_T5_T6_T7_T9_mT8_P12ihipStream_tbDpT10_ENKUlT_T0_E_clISt17integral_constantIbLb0EES1B_EEDaS16_S17_EUlS16_E_NS1_11comp_targetILNS1_3genE9ELNS1_11target_archE1100ELNS1_3gpuE3ELNS1_3repE0EEENS1_30default_config_static_selectorELNS0_4arch9wavefront6targetE1EEEvT1_,comdat
	.protected	_ZN7rocprim17ROCPRIM_400000_NS6detail17trampoline_kernelINS0_14default_configENS1_25partition_config_selectorILNS1_17partition_subalgoE1EtNS0_10empty_typeEbEEZZNS1_14partition_implILS5_1ELb0ES3_jN6thrust23THRUST_200600_302600_NS6detail15normal_iteratorINSA_10device_ptrItEEEEPS6_NSA_18transform_iteratorI7is_evenItESF_NSA_11use_defaultESK_EENS0_5tupleIJNSA_16discard_iteratorISK_EESF_EEENSM_IJSG_SG_EEES6_PlJS6_EEE10hipError_tPvRmT3_T4_T5_T6_T7_T9_mT8_P12ihipStream_tbDpT10_ENKUlT_T0_E_clISt17integral_constantIbLb0EES1B_EEDaS16_S17_EUlS16_E_NS1_11comp_targetILNS1_3genE9ELNS1_11target_archE1100ELNS1_3gpuE3ELNS1_3repE0EEENS1_30default_config_static_selectorELNS0_4arch9wavefront6targetE1EEEvT1_ ; -- Begin function _ZN7rocprim17ROCPRIM_400000_NS6detail17trampoline_kernelINS0_14default_configENS1_25partition_config_selectorILNS1_17partition_subalgoE1EtNS0_10empty_typeEbEEZZNS1_14partition_implILS5_1ELb0ES3_jN6thrust23THRUST_200600_302600_NS6detail15normal_iteratorINSA_10device_ptrItEEEEPS6_NSA_18transform_iteratorI7is_evenItESF_NSA_11use_defaultESK_EENS0_5tupleIJNSA_16discard_iteratorISK_EESF_EEENSM_IJSG_SG_EEES6_PlJS6_EEE10hipError_tPvRmT3_T4_T5_T6_T7_T9_mT8_P12ihipStream_tbDpT10_ENKUlT_T0_E_clISt17integral_constantIbLb0EES1B_EEDaS16_S17_EUlS16_E_NS1_11comp_targetILNS1_3genE9ELNS1_11target_archE1100ELNS1_3gpuE3ELNS1_3repE0EEENS1_30default_config_static_selectorELNS0_4arch9wavefront6targetE1EEEvT1_
	.globl	_ZN7rocprim17ROCPRIM_400000_NS6detail17trampoline_kernelINS0_14default_configENS1_25partition_config_selectorILNS1_17partition_subalgoE1EtNS0_10empty_typeEbEEZZNS1_14partition_implILS5_1ELb0ES3_jN6thrust23THRUST_200600_302600_NS6detail15normal_iteratorINSA_10device_ptrItEEEEPS6_NSA_18transform_iteratorI7is_evenItESF_NSA_11use_defaultESK_EENS0_5tupleIJNSA_16discard_iteratorISK_EESF_EEENSM_IJSG_SG_EEES6_PlJS6_EEE10hipError_tPvRmT3_T4_T5_T6_T7_T9_mT8_P12ihipStream_tbDpT10_ENKUlT_T0_E_clISt17integral_constantIbLb0EES1B_EEDaS16_S17_EUlS16_E_NS1_11comp_targetILNS1_3genE9ELNS1_11target_archE1100ELNS1_3gpuE3ELNS1_3repE0EEENS1_30default_config_static_selectorELNS0_4arch9wavefront6targetE1EEEvT1_
	.p2align	8
	.type	_ZN7rocprim17ROCPRIM_400000_NS6detail17trampoline_kernelINS0_14default_configENS1_25partition_config_selectorILNS1_17partition_subalgoE1EtNS0_10empty_typeEbEEZZNS1_14partition_implILS5_1ELb0ES3_jN6thrust23THRUST_200600_302600_NS6detail15normal_iteratorINSA_10device_ptrItEEEEPS6_NSA_18transform_iteratorI7is_evenItESF_NSA_11use_defaultESK_EENS0_5tupleIJNSA_16discard_iteratorISK_EESF_EEENSM_IJSG_SG_EEES6_PlJS6_EEE10hipError_tPvRmT3_T4_T5_T6_T7_T9_mT8_P12ihipStream_tbDpT10_ENKUlT_T0_E_clISt17integral_constantIbLb0EES1B_EEDaS16_S17_EUlS16_E_NS1_11comp_targetILNS1_3genE9ELNS1_11target_archE1100ELNS1_3gpuE3ELNS1_3repE0EEENS1_30default_config_static_selectorELNS0_4arch9wavefront6targetE1EEEvT1_,@function
_ZN7rocprim17ROCPRIM_400000_NS6detail17trampoline_kernelINS0_14default_configENS1_25partition_config_selectorILNS1_17partition_subalgoE1EtNS0_10empty_typeEbEEZZNS1_14partition_implILS5_1ELb0ES3_jN6thrust23THRUST_200600_302600_NS6detail15normal_iteratorINSA_10device_ptrItEEEEPS6_NSA_18transform_iteratorI7is_evenItESF_NSA_11use_defaultESK_EENS0_5tupleIJNSA_16discard_iteratorISK_EESF_EEENSM_IJSG_SG_EEES6_PlJS6_EEE10hipError_tPvRmT3_T4_T5_T6_T7_T9_mT8_P12ihipStream_tbDpT10_ENKUlT_T0_E_clISt17integral_constantIbLb0EES1B_EEDaS16_S17_EUlS16_E_NS1_11comp_targetILNS1_3genE9ELNS1_11target_archE1100ELNS1_3gpuE3ELNS1_3repE0EEENS1_30default_config_static_selectorELNS0_4arch9wavefront6targetE1EEEvT1_: ; @_ZN7rocprim17ROCPRIM_400000_NS6detail17trampoline_kernelINS0_14default_configENS1_25partition_config_selectorILNS1_17partition_subalgoE1EtNS0_10empty_typeEbEEZZNS1_14partition_implILS5_1ELb0ES3_jN6thrust23THRUST_200600_302600_NS6detail15normal_iteratorINSA_10device_ptrItEEEEPS6_NSA_18transform_iteratorI7is_evenItESF_NSA_11use_defaultESK_EENS0_5tupleIJNSA_16discard_iteratorISK_EESF_EEENSM_IJSG_SG_EEES6_PlJS6_EEE10hipError_tPvRmT3_T4_T5_T6_T7_T9_mT8_P12ihipStream_tbDpT10_ENKUlT_T0_E_clISt17integral_constantIbLb0EES1B_EEDaS16_S17_EUlS16_E_NS1_11comp_targetILNS1_3genE9ELNS1_11target_archE1100ELNS1_3gpuE3ELNS1_3repE0EEENS1_30default_config_static_selectorELNS0_4arch9wavefront6targetE1EEEvT1_
; %bb.0:
	.section	.rodata,"a",@progbits
	.p2align	6, 0x0
	.amdhsa_kernel _ZN7rocprim17ROCPRIM_400000_NS6detail17trampoline_kernelINS0_14default_configENS1_25partition_config_selectorILNS1_17partition_subalgoE1EtNS0_10empty_typeEbEEZZNS1_14partition_implILS5_1ELb0ES3_jN6thrust23THRUST_200600_302600_NS6detail15normal_iteratorINSA_10device_ptrItEEEEPS6_NSA_18transform_iteratorI7is_evenItESF_NSA_11use_defaultESK_EENS0_5tupleIJNSA_16discard_iteratorISK_EESF_EEENSM_IJSG_SG_EEES6_PlJS6_EEE10hipError_tPvRmT3_T4_T5_T6_T7_T9_mT8_P12ihipStream_tbDpT10_ENKUlT_T0_E_clISt17integral_constantIbLb0EES1B_EEDaS16_S17_EUlS16_E_NS1_11comp_targetILNS1_3genE9ELNS1_11target_archE1100ELNS1_3gpuE3ELNS1_3repE0EEENS1_30default_config_static_selectorELNS0_4arch9wavefront6targetE1EEEvT1_
		.amdhsa_group_segment_fixed_size 0
		.amdhsa_private_segment_fixed_size 0
		.amdhsa_kernarg_size 136
		.amdhsa_user_sgpr_count 2
		.amdhsa_user_sgpr_dispatch_ptr 0
		.amdhsa_user_sgpr_queue_ptr 0
		.amdhsa_user_sgpr_kernarg_segment_ptr 1
		.amdhsa_user_sgpr_dispatch_id 0
		.amdhsa_user_sgpr_kernarg_preload_length 0
		.amdhsa_user_sgpr_kernarg_preload_offset 0
		.amdhsa_user_sgpr_private_segment_size 0
		.amdhsa_uses_dynamic_stack 0
		.amdhsa_enable_private_segment 0
		.amdhsa_system_sgpr_workgroup_id_x 1
		.amdhsa_system_sgpr_workgroup_id_y 0
		.amdhsa_system_sgpr_workgroup_id_z 0
		.amdhsa_system_sgpr_workgroup_info 0
		.amdhsa_system_vgpr_workitem_id 0
		.amdhsa_next_free_vgpr 1
		.amdhsa_next_free_sgpr 0
		.amdhsa_accum_offset 4
		.amdhsa_reserve_vcc 0
		.amdhsa_float_round_mode_32 0
		.amdhsa_float_round_mode_16_64 0
		.amdhsa_float_denorm_mode_32 3
		.amdhsa_float_denorm_mode_16_64 3
		.amdhsa_dx10_clamp 1
		.amdhsa_ieee_mode 1
		.amdhsa_fp16_overflow 0
		.amdhsa_tg_split 0
		.amdhsa_exception_fp_ieee_invalid_op 0
		.amdhsa_exception_fp_denorm_src 0
		.amdhsa_exception_fp_ieee_div_zero 0
		.amdhsa_exception_fp_ieee_overflow 0
		.amdhsa_exception_fp_ieee_underflow 0
		.amdhsa_exception_fp_ieee_inexact 0
		.amdhsa_exception_int_div_zero 0
	.end_amdhsa_kernel
	.section	.text._ZN7rocprim17ROCPRIM_400000_NS6detail17trampoline_kernelINS0_14default_configENS1_25partition_config_selectorILNS1_17partition_subalgoE1EtNS0_10empty_typeEbEEZZNS1_14partition_implILS5_1ELb0ES3_jN6thrust23THRUST_200600_302600_NS6detail15normal_iteratorINSA_10device_ptrItEEEEPS6_NSA_18transform_iteratorI7is_evenItESF_NSA_11use_defaultESK_EENS0_5tupleIJNSA_16discard_iteratorISK_EESF_EEENSM_IJSG_SG_EEES6_PlJS6_EEE10hipError_tPvRmT3_T4_T5_T6_T7_T9_mT8_P12ihipStream_tbDpT10_ENKUlT_T0_E_clISt17integral_constantIbLb0EES1B_EEDaS16_S17_EUlS16_E_NS1_11comp_targetILNS1_3genE9ELNS1_11target_archE1100ELNS1_3gpuE3ELNS1_3repE0EEENS1_30default_config_static_selectorELNS0_4arch9wavefront6targetE1EEEvT1_,"axG",@progbits,_ZN7rocprim17ROCPRIM_400000_NS6detail17trampoline_kernelINS0_14default_configENS1_25partition_config_selectorILNS1_17partition_subalgoE1EtNS0_10empty_typeEbEEZZNS1_14partition_implILS5_1ELb0ES3_jN6thrust23THRUST_200600_302600_NS6detail15normal_iteratorINSA_10device_ptrItEEEEPS6_NSA_18transform_iteratorI7is_evenItESF_NSA_11use_defaultESK_EENS0_5tupleIJNSA_16discard_iteratorISK_EESF_EEENSM_IJSG_SG_EEES6_PlJS6_EEE10hipError_tPvRmT3_T4_T5_T6_T7_T9_mT8_P12ihipStream_tbDpT10_ENKUlT_T0_E_clISt17integral_constantIbLb0EES1B_EEDaS16_S17_EUlS16_E_NS1_11comp_targetILNS1_3genE9ELNS1_11target_archE1100ELNS1_3gpuE3ELNS1_3repE0EEENS1_30default_config_static_selectorELNS0_4arch9wavefront6targetE1EEEvT1_,comdat
.Lfunc_end3137:
	.size	_ZN7rocprim17ROCPRIM_400000_NS6detail17trampoline_kernelINS0_14default_configENS1_25partition_config_selectorILNS1_17partition_subalgoE1EtNS0_10empty_typeEbEEZZNS1_14partition_implILS5_1ELb0ES3_jN6thrust23THRUST_200600_302600_NS6detail15normal_iteratorINSA_10device_ptrItEEEEPS6_NSA_18transform_iteratorI7is_evenItESF_NSA_11use_defaultESK_EENS0_5tupleIJNSA_16discard_iteratorISK_EESF_EEENSM_IJSG_SG_EEES6_PlJS6_EEE10hipError_tPvRmT3_T4_T5_T6_T7_T9_mT8_P12ihipStream_tbDpT10_ENKUlT_T0_E_clISt17integral_constantIbLb0EES1B_EEDaS16_S17_EUlS16_E_NS1_11comp_targetILNS1_3genE9ELNS1_11target_archE1100ELNS1_3gpuE3ELNS1_3repE0EEENS1_30default_config_static_selectorELNS0_4arch9wavefront6targetE1EEEvT1_, .Lfunc_end3137-_ZN7rocprim17ROCPRIM_400000_NS6detail17trampoline_kernelINS0_14default_configENS1_25partition_config_selectorILNS1_17partition_subalgoE1EtNS0_10empty_typeEbEEZZNS1_14partition_implILS5_1ELb0ES3_jN6thrust23THRUST_200600_302600_NS6detail15normal_iteratorINSA_10device_ptrItEEEEPS6_NSA_18transform_iteratorI7is_evenItESF_NSA_11use_defaultESK_EENS0_5tupleIJNSA_16discard_iteratorISK_EESF_EEENSM_IJSG_SG_EEES6_PlJS6_EEE10hipError_tPvRmT3_T4_T5_T6_T7_T9_mT8_P12ihipStream_tbDpT10_ENKUlT_T0_E_clISt17integral_constantIbLb0EES1B_EEDaS16_S17_EUlS16_E_NS1_11comp_targetILNS1_3genE9ELNS1_11target_archE1100ELNS1_3gpuE3ELNS1_3repE0EEENS1_30default_config_static_selectorELNS0_4arch9wavefront6targetE1EEEvT1_
                                        ; -- End function
	.section	.AMDGPU.csdata,"",@progbits
; Kernel info:
; codeLenInByte = 0
; NumSgprs: 6
; NumVgprs: 0
; NumAgprs: 0
; TotalNumVgprs: 0
; ScratchSize: 0
; MemoryBound: 0
; FloatMode: 240
; IeeeMode: 1
; LDSByteSize: 0 bytes/workgroup (compile time only)
; SGPRBlocks: 0
; VGPRBlocks: 0
; NumSGPRsForWavesPerEU: 6
; NumVGPRsForWavesPerEU: 1
; AccumOffset: 4
; Occupancy: 8
; WaveLimiterHint : 0
; COMPUTE_PGM_RSRC2:SCRATCH_EN: 0
; COMPUTE_PGM_RSRC2:USER_SGPR: 2
; COMPUTE_PGM_RSRC2:TRAP_HANDLER: 0
; COMPUTE_PGM_RSRC2:TGID_X_EN: 1
; COMPUTE_PGM_RSRC2:TGID_Y_EN: 0
; COMPUTE_PGM_RSRC2:TGID_Z_EN: 0
; COMPUTE_PGM_RSRC2:TIDIG_COMP_CNT: 0
; COMPUTE_PGM_RSRC3_GFX90A:ACCUM_OFFSET: 0
; COMPUTE_PGM_RSRC3_GFX90A:TG_SPLIT: 0
	.section	.text._ZN7rocprim17ROCPRIM_400000_NS6detail17trampoline_kernelINS0_14default_configENS1_25partition_config_selectorILNS1_17partition_subalgoE1EtNS0_10empty_typeEbEEZZNS1_14partition_implILS5_1ELb0ES3_jN6thrust23THRUST_200600_302600_NS6detail15normal_iteratorINSA_10device_ptrItEEEEPS6_NSA_18transform_iteratorI7is_evenItESF_NSA_11use_defaultESK_EENS0_5tupleIJNSA_16discard_iteratorISK_EESF_EEENSM_IJSG_SG_EEES6_PlJS6_EEE10hipError_tPvRmT3_T4_T5_T6_T7_T9_mT8_P12ihipStream_tbDpT10_ENKUlT_T0_E_clISt17integral_constantIbLb0EES1B_EEDaS16_S17_EUlS16_E_NS1_11comp_targetILNS1_3genE8ELNS1_11target_archE1030ELNS1_3gpuE2ELNS1_3repE0EEENS1_30default_config_static_selectorELNS0_4arch9wavefront6targetE1EEEvT1_,"axG",@progbits,_ZN7rocprim17ROCPRIM_400000_NS6detail17trampoline_kernelINS0_14default_configENS1_25partition_config_selectorILNS1_17partition_subalgoE1EtNS0_10empty_typeEbEEZZNS1_14partition_implILS5_1ELb0ES3_jN6thrust23THRUST_200600_302600_NS6detail15normal_iteratorINSA_10device_ptrItEEEEPS6_NSA_18transform_iteratorI7is_evenItESF_NSA_11use_defaultESK_EENS0_5tupleIJNSA_16discard_iteratorISK_EESF_EEENSM_IJSG_SG_EEES6_PlJS6_EEE10hipError_tPvRmT3_T4_T5_T6_T7_T9_mT8_P12ihipStream_tbDpT10_ENKUlT_T0_E_clISt17integral_constantIbLb0EES1B_EEDaS16_S17_EUlS16_E_NS1_11comp_targetILNS1_3genE8ELNS1_11target_archE1030ELNS1_3gpuE2ELNS1_3repE0EEENS1_30default_config_static_selectorELNS0_4arch9wavefront6targetE1EEEvT1_,comdat
	.protected	_ZN7rocprim17ROCPRIM_400000_NS6detail17trampoline_kernelINS0_14default_configENS1_25partition_config_selectorILNS1_17partition_subalgoE1EtNS0_10empty_typeEbEEZZNS1_14partition_implILS5_1ELb0ES3_jN6thrust23THRUST_200600_302600_NS6detail15normal_iteratorINSA_10device_ptrItEEEEPS6_NSA_18transform_iteratorI7is_evenItESF_NSA_11use_defaultESK_EENS0_5tupleIJNSA_16discard_iteratorISK_EESF_EEENSM_IJSG_SG_EEES6_PlJS6_EEE10hipError_tPvRmT3_T4_T5_T6_T7_T9_mT8_P12ihipStream_tbDpT10_ENKUlT_T0_E_clISt17integral_constantIbLb0EES1B_EEDaS16_S17_EUlS16_E_NS1_11comp_targetILNS1_3genE8ELNS1_11target_archE1030ELNS1_3gpuE2ELNS1_3repE0EEENS1_30default_config_static_selectorELNS0_4arch9wavefront6targetE1EEEvT1_ ; -- Begin function _ZN7rocprim17ROCPRIM_400000_NS6detail17trampoline_kernelINS0_14default_configENS1_25partition_config_selectorILNS1_17partition_subalgoE1EtNS0_10empty_typeEbEEZZNS1_14partition_implILS5_1ELb0ES3_jN6thrust23THRUST_200600_302600_NS6detail15normal_iteratorINSA_10device_ptrItEEEEPS6_NSA_18transform_iteratorI7is_evenItESF_NSA_11use_defaultESK_EENS0_5tupleIJNSA_16discard_iteratorISK_EESF_EEENSM_IJSG_SG_EEES6_PlJS6_EEE10hipError_tPvRmT3_T4_T5_T6_T7_T9_mT8_P12ihipStream_tbDpT10_ENKUlT_T0_E_clISt17integral_constantIbLb0EES1B_EEDaS16_S17_EUlS16_E_NS1_11comp_targetILNS1_3genE8ELNS1_11target_archE1030ELNS1_3gpuE2ELNS1_3repE0EEENS1_30default_config_static_selectorELNS0_4arch9wavefront6targetE1EEEvT1_
	.globl	_ZN7rocprim17ROCPRIM_400000_NS6detail17trampoline_kernelINS0_14default_configENS1_25partition_config_selectorILNS1_17partition_subalgoE1EtNS0_10empty_typeEbEEZZNS1_14partition_implILS5_1ELb0ES3_jN6thrust23THRUST_200600_302600_NS6detail15normal_iteratorINSA_10device_ptrItEEEEPS6_NSA_18transform_iteratorI7is_evenItESF_NSA_11use_defaultESK_EENS0_5tupleIJNSA_16discard_iteratorISK_EESF_EEENSM_IJSG_SG_EEES6_PlJS6_EEE10hipError_tPvRmT3_T4_T5_T6_T7_T9_mT8_P12ihipStream_tbDpT10_ENKUlT_T0_E_clISt17integral_constantIbLb0EES1B_EEDaS16_S17_EUlS16_E_NS1_11comp_targetILNS1_3genE8ELNS1_11target_archE1030ELNS1_3gpuE2ELNS1_3repE0EEENS1_30default_config_static_selectorELNS0_4arch9wavefront6targetE1EEEvT1_
	.p2align	8
	.type	_ZN7rocprim17ROCPRIM_400000_NS6detail17trampoline_kernelINS0_14default_configENS1_25partition_config_selectorILNS1_17partition_subalgoE1EtNS0_10empty_typeEbEEZZNS1_14partition_implILS5_1ELb0ES3_jN6thrust23THRUST_200600_302600_NS6detail15normal_iteratorINSA_10device_ptrItEEEEPS6_NSA_18transform_iteratorI7is_evenItESF_NSA_11use_defaultESK_EENS0_5tupleIJNSA_16discard_iteratorISK_EESF_EEENSM_IJSG_SG_EEES6_PlJS6_EEE10hipError_tPvRmT3_T4_T5_T6_T7_T9_mT8_P12ihipStream_tbDpT10_ENKUlT_T0_E_clISt17integral_constantIbLb0EES1B_EEDaS16_S17_EUlS16_E_NS1_11comp_targetILNS1_3genE8ELNS1_11target_archE1030ELNS1_3gpuE2ELNS1_3repE0EEENS1_30default_config_static_selectorELNS0_4arch9wavefront6targetE1EEEvT1_,@function
_ZN7rocprim17ROCPRIM_400000_NS6detail17trampoline_kernelINS0_14default_configENS1_25partition_config_selectorILNS1_17partition_subalgoE1EtNS0_10empty_typeEbEEZZNS1_14partition_implILS5_1ELb0ES3_jN6thrust23THRUST_200600_302600_NS6detail15normal_iteratorINSA_10device_ptrItEEEEPS6_NSA_18transform_iteratorI7is_evenItESF_NSA_11use_defaultESK_EENS0_5tupleIJNSA_16discard_iteratorISK_EESF_EEENSM_IJSG_SG_EEES6_PlJS6_EEE10hipError_tPvRmT3_T4_T5_T6_T7_T9_mT8_P12ihipStream_tbDpT10_ENKUlT_T0_E_clISt17integral_constantIbLb0EES1B_EEDaS16_S17_EUlS16_E_NS1_11comp_targetILNS1_3genE8ELNS1_11target_archE1030ELNS1_3gpuE2ELNS1_3repE0EEENS1_30default_config_static_selectorELNS0_4arch9wavefront6targetE1EEEvT1_: ; @_ZN7rocprim17ROCPRIM_400000_NS6detail17trampoline_kernelINS0_14default_configENS1_25partition_config_selectorILNS1_17partition_subalgoE1EtNS0_10empty_typeEbEEZZNS1_14partition_implILS5_1ELb0ES3_jN6thrust23THRUST_200600_302600_NS6detail15normal_iteratorINSA_10device_ptrItEEEEPS6_NSA_18transform_iteratorI7is_evenItESF_NSA_11use_defaultESK_EENS0_5tupleIJNSA_16discard_iteratorISK_EESF_EEENSM_IJSG_SG_EEES6_PlJS6_EEE10hipError_tPvRmT3_T4_T5_T6_T7_T9_mT8_P12ihipStream_tbDpT10_ENKUlT_T0_E_clISt17integral_constantIbLb0EES1B_EEDaS16_S17_EUlS16_E_NS1_11comp_targetILNS1_3genE8ELNS1_11target_archE1030ELNS1_3gpuE2ELNS1_3repE0EEENS1_30default_config_static_selectorELNS0_4arch9wavefront6targetE1EEEvT1_
; %bb.0:
	.section	.rodata,"a",@progbits
	.p2align	6, 0x0
	.amdhsa_kernel _ZN7rocprim17ROCPRIM_400000_NS6detail17trampoline_kernelINS0_14default_configENS1_25partition_config_selectorILNS1_17partition_subalgoE1EtNS0_10empty_typeEbEEZZNS1_14partition_implILS5_1ELb0ES3_jN6thrust23THRUST_200600_302600_NS6detail15normal_iteratorINSA_10device_ptrItEEEEPS6_NSA_18transform_iteratorI7is_evenItESF_NSA_11use_defaultESK_EENS0_5tupleIJNSA_16discard_iteratorISK_EESF_EEENSM_IJSG_SG_EEES6_PlJS6_EEE10hipError_tPvRmT3_T4_T5_T6_T7_T9_mT8_P12ihipStream_tbDpT10_ENKUlT_T0_E_clISt17integral_constantIbLb0EES1B_EEDaS16_S17_EUlS16_E_NS1_11comp_targetILNS1_3genE8ELNS1_11target_archE1030ELNS1_3gpuE2ELNS1_3repE0EEENS1_30default_config_static_selectorELNS0_4arch9wavefront6targetE1EEEvT1_
		.amdhsa_group_segment_fixed_size 0
		.amdhsa_private_segment_fixed_size 0
		.amdhsa_kernarg_size 136
		.amdhsa_user_sgpr_count 2
		.amdhsa_user_sgpr_dispatch_ptr 0
		.amdhsa_user_sgpr_queue_ptr 0
		.amdhsa_user_sgpr_kernarg_segment_ptr 1
		.amdhsa_user_sgpr_dispatch_id 0
		.amdhsa_user_sgpr_kernarg_preload_length 0
		.amdhsa_user_sgpr_kernarg_preload_offset 0
		.amdhsa_user_sgpr_private_segment_size 0
		.amdhsa_uses_dynamic_stack 0
		.amdhsa_enable_private_segment 0
		.amdhsa_system_sgpr_workgroup_id_x 1
		.amdhsa_system_sgpr_workgroup_id_y 0
		.amdhsa_system_sgpr_workgroup_id_z 0
		.amdhsa_system_sgpr_workgroup_info 0
		.amdhsa_system_vgpr_workitem_id 0
		.amdhsa_next_free_vgpr 1
		.amdhsa_next_free_sgpr 0
		.amdhsa_accum_offset 4
		.amdhsa_reserve_vcc 0
		.amdhsa_float_round_mode_32 0
		.amdhsa_float_round_mode_16_64 0
		.amdhsa_float_denorm_mode_32 3
		.amdhsa_float_denorm_mode_16_64 3
		.amdhsa_dx10_clamp 1
		.amdhsa_ieee_mode 1
		.amdhsa_fp16_overflow 0
		.amdhsa_tg_split 0
		.amdhsa_exception_fp_ieee_invalid_op 0
		.amdhsa_exception_fp_denorm_src 0
		.amdhsa_exception_fp_ieee_div_zero 0
		.amdhsa_exception_fp_ieee_overflow 0
		.amdhsa_exception_fp_ieee_underflow 0
		.amdhsa_exception_fp_ieee_inexact 0
		.amdhsa_exception_int_div_zero 0
	.end_amdhsa_kernel
	.section	.text._ZN7rocprim17ROCPRIM_400000_NS6detail17trampoline_kernelINS0_14default_configENS1_25partition_config_selectorILNS1_17partition_subalgoE1EtNS0_10empty_typeEbEEZZNS1_14partition_implILS5_1ELb0ES3_jN6thrust23THRUST_200600_302600_NS6detail15normal_iteratorINSA_10device_ptrItEEEEPS6_NSA_18transform_iteratorI7is_evenItESF_NSA_11use_defaultESK_EENS0_5tupleIJNSA_16discard_iteratorISK_EESF_EEENSM_IJSG_SG_EEES6_PlJS6_EEE10hipError_tPvRmT3_T4_T5_T6_T7_T9_mT8_P12ihipStream_tbDpT10_ENKUlT_T0_E_clISt17integral_constantIbLb0EES1B_EEDaS16_S17_EUlS16_E_NS1_11comp_targetILNS1_3genE8ELNS1_11target_archE1030ELNS1_3gpuE2ELNS1_3repE0EEENS1_30default_config_static_selectorELNS0_4arch9wavefront6targetE1EEEvT1_,"axG",@progbits,_ZN7rocprim17ROCPRIM_400000_NS6detail17trampoline_kernelINS0_14default_configENS1_25partition_config_selectorILNS1_17partition_subalgoE1EtNS0_10empty_typeEbEEZZNS1_14partition_implILS5_1ELb0ES3_jN6thrust23THRUST_200600_302600_NS6detail15normal_iteratorINSA_10device_ptrItEEEEPS6_NSA_18transform_iteratorI7is_evenItESF_NSA_11use_defaultESK_EENS0_5tupleIJNSA_16discard_iteratorISK_EESF_EEENSM_IJSG_SG_EEES6_PlJS6_EEE10hipError_tPvRmT3_T4_T5_T6_T7_T9_mT8_P12ihipStream_tbDpT10_ENKUlT_T0_E_clISt17integral_constantIbLb0EES1B_EEDaS16_S17_EUlS16_E_NS1_11comp_targetILNS1_3genE8ELNS1_11target_archE1030ELNS1_3gpuE2ELNS1_3repE0EEENS1_30default_config_static_selectorELNS0_4arch9wavefront6targetE1EEEvT1_,comdat
.Lfunc_end3138:
	.size	_ZN7rocprim17ROCPRIM_400000_NS6detail17trampoline_kernelINS0_14default_configENS1_25partition_config_selectorILNS1_17partition_subalgoE1EtNS0_10empty_typeEbEEZZNS1_14partition_implILS5_1ELb0ES3_jN6thrust23THRUST_200600_302600_NS6detail15normal_iteratorINSA_10device_ptrItEEEEPS6_NSA_18transform_iteratorI7is_evenItESF_NSA_11use_defaultESK_EENS0_5tupleIJNSA_16discard_iteratorISK_EESF_EEENSM_IJSG_SG_EEES6_PlJS6_EEE10hipError_tPvRmT3_T4_T5_T6_T7_T9_mT8_P12ihipStream_tbDpT10_ENKUlT_T0_E_clISt17integral_constantIbLb0EES1B_EEDaS16_S17_EUlS16_E_NS1_11comp_targetILNS1_3genE8ELNS1_11target_archE1030ELNS1_3gpuE2ELNS1_3repE0EEENS1_30default_config_static_selectorELNS0_4arch9wavefront6targetE1EEEvT1_, .Lfunc_end3138-_ZN7rocprim17ROCPRIM_400000_NS6detail17trampoline_kernelINS0_14default_configENS1_25partition_config_selectorILNS1_17partition_subalgoE1EtNS0_10empty_typeEbEEZZNS1_14partition_implILS5_1ELb0ES3_jN6thrust23THRUST_200600_302600_NS6detail15normal_iteratorINSA_10device_ptrItEEEEPS6_NSA_18transform_iteratorI7is_evenItESF_NSA_11use_defaultESK_EENS0_5tupleIJNSA_16discard_iteratorISK_EESF_EEENSM_IJSG_SG_EEES6_PlJS6_EEE10hipError_tPvRmT3_T4_T5_T6_T7_T9_mT8_P12ihipStream_tbDpT10_ENKUlT_T0_E_clISt17integral_constantIbLb0EES1B_EEDaS16_S17_EUlS16_E_NS1_11comp_targetILNS1_3genE8ELNS1_11target_archE1030ELNS1_3gpuE2ELNS1_3repE0EEENS1_30default_config_static_selectorELNS0_4arch9wavefront6targetE1EEEvT1_
                                        ; -- End function
	.section	.AMDGPU.csdata,"",@progbits
; Kernel info:
; codeLenInByte = 0
; NumSgprs: 6
; NumVgprs: 0
; NumAgprs: 0
; TotalNumVgprs: 0
; ScratchSize: 0
; MemoryBound: 0
; FloatMode: 240
; IeeeMode: 1
; LDSByteSize: 0 bytes/workgroup (compile time only)
; SGPRBlocks: 0
; VGPRBlocks: 0
; NumSGPRsForWavesPerEU: 6
; NumVGPRsForWavesPerEU: 1
; AccumOffset: 4
; Occupancy: 8
; WaveLimiterHint : 0
; COMPUTE_PGM_RSRC2:SCRATCH_EN: 0
; COMPUTE_PGM_RSRC2:USER_SGPR: 2
; COMPUTE_PGM_RSRC2:TRAP_HANDLER: 0
; COMPUTE_PGM_RSRC2:TGID_X_EN: 1
; COMPUTE_PGM_RSRC2:TGID_Y_EN: 0
; COMPUTE_PGM_RSRC2:TGID_Z_EN: 0
; COMPUTE_PGM_RSRC2:TIDIG_COMP_CNT: 0
; COMPUTE_PGM_RSRC3_GFX90A:ACCUM_OFFSET: 0
; COMPUTE_PGM_RSRC3_GFX90A:TG_SPLIT: 0
	.section	.text._ZN7rocprim17ROCPRIM_400000_NS6detail17trampoline_kernelINS0_14default_configENS1_25partition_config_selectorILNS1_17partition_subalgoE1EtNS0_10empty_typeEbEEZZNS1_14partition_implILS5_1ELb0ES3_jN6thrust23THRUST_200600_302600_NS6detail15normal_iteratorINSA_10device_ptrItEEEEPS6_NSA_18transform_iteratorI7is_evenItESF_NSA_11use_defaultESK_EENS0_5tupleIJNSA_16discard_iteratorISK_EESF_EEENSM_IJSG_SG_EEES6_PlJS6_EEE10hipError_tPvRmT3_T4_T5_T6_T7_T9_mT8_P12ihipStream_tbDpT10_ENKUlT_T0_E_clISt17integral_constantIbLb1EES1B_EEDaS16_S17_EUlS16_E_NS1_11comp_targetILNS1_3genE0ELNS1_11target_archE4294967295ELNS1_3gpuE0ELNS1_3repE0EEENS1_30default_config_static_selectorELNS0_4arch9wavefront6targetE1EEEvT1_,"axG",@progbits,_ZN7rocprim17ROCPRIM_400000_NS6detail17trampoline_kernelINS0_14default_configENS1_25partition_config_selectorILNS1_17partition_subalgoE1EtNS0_10empty_typeEbEEZZNS1_14partition_implILS5_1ELb0ES3_jN6thrust23THRUST_200600_302600_NS6detail15normal_iteratorINSA_10device_ptrItEEEEPS6_NSA_18transform_iteratorI7is_evenItESF_NSA_11use_defaultESK_EENS0_5tupleIJNSA_16discard_iteratorISK_EESF_EEENSM_IJSG_SG_EEES6_PlJS6_EEE10hipError_tPvRmT3_T4_T5_T6_T7_T9_mT8_P12ihipStream_tbDpT10_ENKUlT_T0_E_clISt17integral_constantIbLb1EES1B_EEDaS16_S17_EUlS16_E_NS1_11comp_targetILNS1_3genE0ELNS1_11target_archE4294967295ELNS1_3gpuE0ELNS1_3repE0EEENS1_30default_config_static_selectorELNS0_4arch9wavefront6targetE1EEEvT1_,comdat
	.protected	_ZN7rocprim17ROCPRIM_400000_NS6detail17trampoline_kernelINS0_14default_configENS1_25partition_config_selectorILNS1_17partition_subalgoE1EtNS0_10empty_typeEbEEZZNS1_14partition_implILS5_1ELb0ES3_jN6thrust23THRUST_200600_302600_NS6detail15normal_iteratorINSA_10device_ptrItEEEEPS6_NSA_18transform_iteratorI7is_evenItESF_NSA_11use_defaultESK_EENS0_5tupleIJNSA_16discard_iteratorISK_EESF_EEENSM_IJSG_SG_EEES6_PlJS6_EEE10hipError_tPvRmT3_T4_T5_T6_T7_T9_mT8_P12ihipStream_tbDpT10_ENKUlT_T0_E_clISt17integral_constantIbLb1EES1B_EEDaS16_S17_EUlS16_E_NS1_11comp_targetILNS1_3genE0ELNS1_11target_archE4294967295ELNS1_3gpuE0ELNS1_3repE0EEENS1_30default_config_static_selectorELNS0_4arch9wavefront6targetE1EEEvT1_ ; -- Begin function _ZN7rocprim17ROCPRIM_400000_NS6detail17trampoline_kernelINS0_14default_configENS1_25partition_config_selectorILNS1_17partition_subalgoE1EtNS0_10empty_typeEbEEZZNS1_14partition_implILS5_1ELb0ES3_jN6thrust23THRUST_200600_302600_NS6detail15normal_iteratorINSA_10device_ptrItEEEEPS6_NSA_18transform_iteratorI7is_evenItESF_NSA_11use_defaultESK_EENS0_5tupleIJNSA_16discard_iteratorISK_EESF_EEENSM_IJSG_SG_EEES6_PlJS6_EEE10hipError_tPvRmT3_T4_T5_T6_T7_T9_mT8_P12ihipStream_tbDpT10_ENKUlT_T0_E_clISt17integral_constantIbLb1EES1B_EEDaS16_S17_EUlS16_E_NS1_11comp_targetILNS1_3genE0ELNS1_11target_archE4294967295ELNS1_3gpuE0ELNS1_3repE0EEENS1_30default_config_static_selectorELNS0_4arch9wavefront6targetE1EEEvT1_
	.globl	_ZN7rocprim17ROCPRIM_400000_NS6detail17trampoline_kernelINS0_14default_configENS1_25partition_config_selectorILNS1_17partition_subalgoE1EtNS0_10empty_typeEbEEZZNS1_14partition_implILS5_1ELb0ES3_jN6thrust23THRUST_200600_302600_NS6detail15normal_iteratorINSA_10device_ptrItEEEEPS6_NSA_18transform_iteratorI7is_evenItESF_NSA_11use_defaultESK_EENS0_5tupleIJNSA_16discard_iteratorISK_EESF_EEENSM_IJSG_SG_EEES6_PlJS6_EEE10hipError_tPvRmT3_T4_T5_T6_T7_T9_mT8_P12ihipStream_tbDpT10_ENKUlT_T0_E_clISt17integral_constantIbLb1EES1B_EEDaS16_S17_EUlS16_E_NS1_11comp_targetILNS1_3genE0ELNS1_11target_archE4294967295ELNS1_3gpuE0ELNS1_3repE0EEENS1_30default_config_static_selectorELNS0_4arch9wavefront6targetE1EEEvT1_
	.p2align	8
	.type	_ZN7rocprim17ROCPRIM_400000_NS6detail17trampoline_kernelINS0_14default_configENS1_25partition_config_selectorILNS1_17partition_subalgoE1EtNS0_10empty_typeEbEEZZNS1_14partition_implILS5_1ELb0ES3_jN6thrust23THRUST_200600_302600_NS6detail15normal_iteratorINSA_10device_ptrItEEEEPS6_NSA_18transform_iteratorI7is_evenItESF_NSA_11use_defaultESK_EENS0_5tupleIJNSA_16discard_iteratorISK_EESF_EEENSM_IJSG_SG_EEES6_PlJS6_EEE10hipError_tPvRmT3_T4_T5_T6_T7_T9_mT8_P12ihipStream_tbDpT10_ENKUlT_T0_E_clISt17integral_constantIbLb1EES1B_EEDaS16_S17_EUlS16_E_NS1_11comp_targetILNS1_3genE0ELNS1_11target_archE4294967295ELNS1_3gpuE0ELNS1_3repE0EEENS1_30default_config_static_selectorELNS0_4arch9wavefront6targetE1EEEvT1_,@function
_ZN7rocprim17ROCPRIM_400000_NS6detail17trampoline_kernelINS0_14default_configENS1_25partition_config_selectorILNS1_17partition_subalgoE1EtNS0_10empty_typeEbEEZZNS1_14partition_implILS5_1ELb0ES3_jN6thrust23THRUST_200600_302600_NS6detail15normal_iteratorINSA_10device_ptrItEEEEPS6_NSA_18transform_iteratorI7is_evenItESF_NSA_11use_defaultESK_EENS0_5tupleIJNSA_16discard_iteratorISK_EESF_EEENSM_IJSG_SG_EEES6_PlJS6_EEE10hipError_tPvRmT3_T4_T5_T6_T7_T9_mT8_P12ihipStream_tbDpT10_ENKUlT_T0_E_clISt17integral_constantIbLb1EES1B_EEDaS16_S17_EUlS16_E_NS1_11comp_targetILNS1_3genE0ELNS1_11target_archE4294967295ELNS1_3gpuE0ELNS1_3repE0EEENS1_30default_config_static_selectorELNS0_4arch9wavefront6targetE1EEEvT1_: ; @_ZN7rocprim17ROCPRIM_400000_NS6detail17trampoline_kernelINS0_14default_configENS1_25partition_config_selectorILNS1_17partition_subalgoE1EtNS0_10empty_typeEbEEZZNS1_14partition_implILS5_1ELb0ES3_jN6thrust23THRUST_200600_302600_NS6detail15normal_iteratorINSA_10device_ptrItEEEEPS6_NSA_18transform_iteratorI7is_evenItESF_NSA_11use_defaultESK_EENS0_5tupleIJNSA_16discard_iteratorISK_EESF_EEENSM_IJSG_SG_EEES6_PlJS6_EEE10hipError_tPvRmT3_T4_T5_T6_T7_T9_mT8_P12ihipStream_tbDpT10_ENKUlT_T0_E_clISt17integral_constantIbLb1EES1B_EEDaS16_S17_EUlS16_E_NS1_11comp_targetILNS1_3genE0ELNS1_11target_archE4294967295ELNS1_3gpuE0ELNS1_3repE0EEENS1_30default_config_static_selectorELNS0_4arch9wavefront6targetE1EEEvT1_
; %bb.0:
	.section	.rodata,"a",@progbits
	.p2align	6, 0x0
	.amdhsa_kernel _ZN7rocprim17ROCPRIM_400000_NS6detail17trampoline_kernelINS0_14default_configENS1_25partition_config_selectorILNS1_17partition_subalgoE1EtNS0_10empty_typeEbEEZZNS1_14partition_implILS5_1ELb0ES3_jN6thrust23THRUST_200600_302600_NS6detail15normal_iteratorINSA_10device_ptrItEEEEPS6_NSA_18transform_iteratorI7is_evenItESF_NSA_11use_defaultESK_EENS0_5tupleIJNSA_16discard_iteratorISK_EESF_EEENSM_IJSG_SG_EEES6_PlJS6_EEE10hipError_tPvRmT3_T4_T5_T6_T7_T9_mT8_P12ihipStream_tbDpT10_ENKUlT_T0_E_clISt17integral_constantIbLb1EES1B_EEDaS16_S17_EUlS16_E_NS1_11comp_targetILNS1_3genE0ELNS1_11target_archE4294967295ELNS1_3gpuE0ELNS1_3repE0EEENS1_30default_config_static_selectorELNS0_4arch9wavefront6targetE1EEEvT1_
		.amdhsa_group_segment_fixed_size 0
		.amdhsa_private_segment_fixed_size 0
		.amdhsa_kernarg_size 152
		.amdhsa_user_sgpr_count 2
		.amdhsa_user_sgpr_dispatch_ptr 0
		.amdhsa_user_sgpr_queue_ptr 0
		.amdhsa_user_sgpr_kernarg_segment_ptr 1
		.amdhsa_user_sgpr_dispatch_id 0
		.amdhsa_user_sgpr_kernarg_preload_length 0
		.amdhsa_user_sgpr_kernarg_preload_offset 0
		.amdhsa_user_sgpr_private_segment_size 0
		.amdhsa_uses_dynamic_stack 0
		.amdhsa_enable_private_segment 0
		.amdhsa_system_sgpr_workgroup_id_x 1
		.amdhsa_system_sgpr_workgroup_id_y 0
		.amdhsa_system_sgpr_workgroup_id_z 0
		.amdhsa_system_sgpr_workgroup_info 0
		.amdhsa_system_vgpr_workitem_id 0
		.amdhsa_next_free_vgpr 1
		.amdhsa_next_free_sgpr 0
		.amdhsa_accum_offset 4
		.amdhsa_reserve_vcc 0
		.amdhsa_float_round_mode_32 0
		.amdhsa_float_round_mode_16_64 0
		.amdhsa_float_denorm_mode_32 3
		.amdhsa_float_denorm_mode_16_64 3
		.amdhsa_dx10_clamp 1
		.amdhsa_ieee_mode 1
		.amdhsa_fp16_overflow 0
		.amdhsa_tg_split 0
		.amdhsa_exception_fp_ieee_invalid_op 0
		.amdhsa_exception_fp_denorm_src 0
		.amdhsa_exception_fp_ieee_div_zero 0
		.amdhsa_exception_fp_ieee_overflow 0
		.amdhsa_exception_fp_ieee_underflow 0
		.amdhsa_exception_fp_ieee_inexact 0
		.amdhsa_exception_int_div_zero 0
	.end_amdhsa_kernel
	.section	.text._ZN7rocprim17ROCPRIM_400000_NS6detail17trampoline_kernelINS0_14default_configENS1_25partition_config_selectorILNS1_17partition_subalgoE1EtNS0_10empty_typeEbEEZZNS1_14partition_implILS5_1ELb0ES3_jN6thrust23THRUST_200600_302600_NS6detail15normal_iteratorINSA_10device_ptrItEEEEPS6_NSA_18transform_iteratorI7is_evenItESF_NSA_11use_defaultESK_EENS0_5tupleIJNSA_16discard_iteratorISK_EESF_EEENSM_IJSG_SG_EEES6_PlJS6_EEE10hipError_tPvRmT3_T4_T5_T6_T7_T9_mT8_P12ihipStream_tbDpT10_ENKUlT_T0_E_clISt17integral_constantIbLb1EES1B_EEDaS16_S17_EUlS16_E_NS1_11comp_targetILNS1_3genE0ELNS1_11target_archE4294967295ELNS1_3gpuE0ELNS1_3repE0EEENS1_30default_config_static_selectorELNS0_4arch9wavefront6targetE1EEEvT1_,"axG",@progbits,_ZN7rocprim17ROCPRIM_400000_NS6detail17trampoline_kernelINS0_14default_configENS1_25partition_config_selectorILNS1_17partition_subalgoE1EtNS0_10empty_typeEbEEZZNS1_14partition_implILS5_1ELb0ES3_jN6thrust23THRUST_200600_302600_NS6detail15normal_iteratorINSA_10device_ptrItEEEEPS6_NSA_18transform_iteratorI7is_evenItESF_NSA_11use_defaultESK_EENS0_5tupleIJNSA_16discard_iteratorISK_EESF_EEENSM_IJSG_SG_EEES6_PlJS6_EEE10hipError_tPvRmT3_T4_T5_T6_T7_T9_mT8_P12ihipStream_tbDpT10_ENKUlT_T0_E_clISt17integral_constantIbLb1EES1B_EEDaS16_S17_EUlS16_E_NS1_11comp_targetILNS1_3genE0ELNS1_11target_archE4294967295ELNS1_3gpuE0ELNS1_3repE0EEENS1_30default_config_static_selectorELNS0_4arch9wavefront6targetE1EEEvT1_,comdat
.Lfunc_end3139:
	.size	_ZN7rocprim17ROCPRIM_400000_NS6detail17trampoline_kernelINS0_14default_configENS1_25partition_config_selectorILNS1_17partition_subalgoE1EtNS0_10empty_typeEbEEZZNS1_14partition_implILS5_1ELb0ES3_jN6thrust23THRUST_200600_302600_NS6detail15normal_iteratorINSA_10device_ptrItEEEEPS6_NSA_18transform_iteratorI7is_evenItESF_NSA_11use_defaultESK_EENS0_5tupleIJNSA_16discard_iteratorISK_EESF_EEENSM_IJSG_SG_EEES6_PlJS6_EEE10hipError_tPvRmT3_T4_T5_T6_T7_T9_mT8_P12ihipStream_tbDpT10_ENKUlT_T0_E_clISt17integral_constantIbLb1EES1B_EEDaS16_S17_EUlS16_E_NS1_11comp_targetILNS1_3genE0ELNS1_11target_archE4294967295ELNS1_3gpuE0ELNS1_3repE0EEENS1_30default_config_static_selectorELNS0_4arch9wavefront6targetE1EEEvT1_, .Lfunc_end3139-_ZN7rocprim17ROCPRIM_400000_NS6detail17trampoline_kernelINS0_14default_configENS1_25partition_config_selectorILNS1_17partition_subalgoE1EtNS0_10empty_typeEbEEZZNS1_14partition_implILS5_1ELb0ES3_jN6thrust23THRUST_200600_302600_NS6detail15normal_iteratorINSA_10device_ptrItEEEEPS6_NSA_18transform_iteratorI7is_evenItESF_NSA_11use_defaultESK_EENS0_5tupleIJNSA_16discard_iteratorISK_EESF_EEENSM_IJSG_SG_EEES6_PlJS6_EEE10hipError_tPvRmT3_T4_T5_T6_T7_T9_mT8_P12ihipStream_tbDpT10_ENKUlT_T0_E_clISt17integral_constantIbLb1EES1B_EEDaS16_S17_EUlS16_E_NS1_11comp_targetILNS1_3genE0ELNS1_11target_archE4294967295ELNS1_3gpuE0ELNS1_3repE0EEENS1_30default_config_static_selectorELNS0_4arch9wavefront6targetE1EEEvT1_
                                        ; -- End function
	.section	.AMDGPU.csdata,"",@progbits
; Kernel info:
; codeLenInByte = 0
; NumSgprs: 6
; NumVgprs: 0
; NumAgprs: 0
; TotalNumVgprs: 0
; ScratchSize: 0
; MemoryBound: 0
; FloatMode: 240
; IeeeMode: 1
; LDSByteSize: 0 bytes/workgroup (compile time only)
; SGPRBlocks: 0
; VGPRBlocks: 0
; NumSGPRsForWavesPerEU: 6
; NumVGPRsForWavesPerEU: 1
; AccumOffset: 4
; Occupancy: 8
; WaveLimiterHint : 0
; COMPUTE_PGM_RSRC2:SCRATCH_EN: 0
; COMPUTE_PGM_RSRC2:USER_SGPR: 2
; COMPUTE_PGM_RSRC2:TRAP_HANDLER: 0
; COMPUTE_PGM_RSRC2:TGID_X_EN: 1
; COMPUTE_PGM_RSRC2:TGID_Y_EN: 0
; COMPUTE_PGM_RSRC2:TGID_Z_EN: 0
; COMPUTE_PGM_RSRC2:TIDIG_COMP_CNT: 0
; COMPUTE_PGM_RSRC3_GFX90A:ACCUM_OFFSET: 0
; COMPUTE_PGM_RSRC3_GFX90A:TG_SPLIT: 0
	.section	.text._ZN7rocprim17ROCPRIM_400000_NS6detail17trampoline_kernelINS0_14default_configENS1_25partition_config_selectorILNS1_17partition_subalgoE1EtNS0_10empty_typeEbEEZZNS1_14partition_implILS5_1ELb0ES3_jN6thrust23THRUST_200600_302600_NS6detail15normal_iteratorINSA_10device_ptrItEEEEPS6_NSA_18transform_iteratorI7is_evenItESF_NSA_11use_defaultESK_EENS0_5tupleIJNSA_16discard_iteratorISK_EESF_EEENSM_IJSG_SG_EEES6_PlJS6_EEE10hipError_tPvRmT3_T4_T5_T6_T7_T9_mT8_P12ihipStream_tbDpT10_ENKUlT_T0_E_clISt17integral_constantIbLb1EES1B_EEDaS16_S17_EUlS16_E_NS1_11comp_targetILNS1_3genE5ELNS1_11target_archE942ELNS1_3gpuE9ELNS1_3repE0EEENS1_30default_config_static_selectorELNS0_4arch9wavefront6targetE1EEEvT1_,"axG",@progbits,_ZN7rocprim17ROCPRIM_400000_NS6detail17trampoline_kernelINS0_14default_configENS1_25partition_config_selectorILNS1_17partition_subalgoE1EtNS0_10empty_typeEbEEZZNS1_14partition_implILS5_1ELb0ES3_jN6thrust23THRUST_200600_302600_NS6detail15normal_iteratorINSA_10device_ptrItEEEEPS6_NSA_18transform_iteratorI7is_evenItESF_NSA_11use_defaultESK_EENS0_5tupleIJNSA_16discard_iteratorISK_EESF_EEENSM_IJSG_SG_EEES6_PlJS6_EEE10hipError_tPvRmT3_T4_T5_T6_T7_T9_mT8_P12ihipStream_tbDpT10_ENKUlT_T0_E_clISt17integral_constantIbLb1EES1B_EEDaS16_S17_EUlS16_E_NS1_11comp_targetILNS1_3genE5ELNS1_11target_archE942ELNS1_3gpuE9ELNS1_3repE0EEENS1_30default_config_static_selectorELNS0_4arch9wavefront6targetE1EEEvT1_,comdat
	.protected	_ZN7rocprim17ROCPRIM_400000_NS6detail17trampoline_kernelINS0_14default_configENS1_25partition_config_selectorILNS1_17partition_subalgoE1EtNS0_10empty_typeEbEEZZNS1_14partition_implILS5_1ELb0ES3_jN6thrust23THRUST_200600_302600_NS6detail15normal_iteratorINSA_10device_ptrItEEEEPS6_NSA_18transform_iteratorI7is_evenItESF_NSA_11use_defaultESK_EENS0_5tupleIJNSA_16discard_iteratorISK_EESF_EEENSM_IJSG_SG_EEES6_PlJS6_EEE10hipError_tPvRmT3_T4_T5_T6_T7_T9_mT8_P12ihipStream_tbDpT10_ENKUlT_T0_E_clISt17integral_constantIbLb1EES1B_EEDaS16_S17_EUlS16_E_NS1_11comp_targetILNS1_3genE5ELNS1_11target_archE942ELNS1_3gpuE9ELNS1_3repE0EEENS1_30default_config_static_selectorELNS0_4arch9wavefront6targetE1EEEvT1_ ; -- Begin function _ZN7rocprim17ROCPRIM_400000_NS6detail17trampoline_kernelINS0_14default_configENS1_25partition_config_selectorILNS1_17partition_subalgoE1EtNS0_10empty_typeEbEEZZNS1_14partition_implILS5_1ELb0ES3_jN6thrust23THRUST_200600_302600_NS6detail15normal_iteratorINSA_10device_ptrItEEEEPS6_NSA_18transform_iteratorI7is_evenItESF_NSA_11use_defaultESK_EENS0_5tupleIJNSA_16discard_iteratorISK_EESF_EEENSM_IJSG_SG_EEES6_PlJS6_EEE10hipError_tPvRmT3_T4_T5_T6_T7_T9_mT8_P12ihipStream_tbDpT10_ENKUlT_T0_E_clISt17integral_constantIbLb1EES1B_EEDaS16_S17_EUlS16_E_NS1_11comp_targetILNS1_3genE5ELNS1_11target_archE942ELNS1_3gpuE9ELNS1_3repE0EEENS1_30default_config_static_selectorELNS0_4arch9wavefront6targetE1EEEvT1_
	.globl	_ZN7rocprim17ROCPRIM_400000_NS6detail17trampoline_kernelINS0_14default_configENS1_25partition_config_selectorILNS1_17partition_subalgoE1EtNS0_10empty_typeEbEEZZNS1_14partition_implILS5_1ELb0ES3_jN6thrust23THRUST_200600_302600_NS6detail15normal_iteratorINSA_10device_ptrItEEEEPS6_NSA_18transform_iteratorI7is_evenItESF_NSA_11use_defaultESK_EENS0_5tupleIJNSA_16discard_iteratorISK_EESF_EEENSM_IJSG_SG_EEES6_PlJS6_EEE10hipError_tPvRmT3_T4_T5_T6_T7_T9_mT8_P12ihipStream_tbDpT10_ENKUlT_T0_E_clISt17integral_constantIbLb1EES1B_EEDaS16_S17_EUlS16_E_NS1_11comp_targetILNS1_3genE5ELNS1_11target_archE942ELNS1_3gpuE9ELNS1_3repE0EEENS1_30default_config_static_selectorELNS0_4arch9wavefront6targetE1EEEvT1_
	.p2align	8
	.type	_ZN7rocprim17ROCPRIM_400000_NS6detail17trampoline_kernelINS0_14default_configENS1_25partition_config_selectorILNS1_17partition_subalgoE1EtNS0_10empty_typeEbEEZZNS1_14partition_implILS5_1ELb0ES3_jN6thrust23THRUST_200600_302600_NS6detail15normal_iteratorINSA_10device_ptrItEEEEPS6_NSA_18transform_iteratorI7is_evenItESF_NSA_11use_defaultESK_EENS0_5tupleIJNSA_16discard_iteratorISK_EESF_EEENSM_IJSG_SG_EEES6_PlJS6_EEE10hipError_tPvRmT3_T4_T5_T6_T7_T9_mT8_P12ihipStream_tbDpT10_ENKUlT_T0_E_clISt17integral_constantIbLb1EES1B_EEDaS16_S17_EUlS16_E_NS1_11comp_targetILNS1_3genE5ELNS1_11target_archE942ELNS1_3gpuE9ELNS1_3repE0EEENS1_30default_config_static_selectorELNS0_4arch9wavefront6targetE1EEEvT1_,@function
_ZN7rocprim17ROCPRIM_400000_NS6detail17trampoline_kernelINS0_14default_configENS1_25partition_config_selectorILNS1_17partition_subalgoE1EtNS0_10empty_typeEbEEZZNS1_14partition_implILS5_1ELb0ES3_jN6thrust23THRUST_200600_302600_NS6detail15normal_iteratorINSA_10device_ptrItEEEEPS6_NSA_18transform_iteratorI7is_evenItESF_NSA_11use_defaultESK_EENS0_5tupleIJNSA_16discard_iteratorISK_EESF_EEENSM_IJSG_SG_EEES6_PlJS6_EEE10hipError_tPvRmT3_T4_T5_T6_T7_T9_mT8_P12ihipStream_tbDpT10_ENKUlT_T0_E_clISt17integral_constantIbLb1EES1B_EEDaS16_S17_EUlS16_E_NS1_11comp_targetILNS1_3genE5ELNS1_11target_archE942ELNS1_3gpuE9ELNS1_3repE0EEENS1_30default_config_static_selectorELNS0_4arch9wavefront6targetE1EEEvT1_: ; @_ZN7rocprim17ROCPRIM_400000_NS6detail17trampoline_kernelINS0_14default_configENS1_25partition_config_selectorILNS1_17partition_subalgoE1EtNS0_10empty_typeEbEEZZNS1_14partition_implILS5_1ELb0ES3_jN6thrust23THRUST_200600_302600_NS6detail15normal_iteratorINSA_10device_ptrItEEEEPS6_NSA_18transform_iteratorI7is_evenItESF_NSA_11use_defaultESK_EENS0_5tupleIJNSA_16discard_iteratorISK_EESF_EEENSM_IJSG_SG_EEES6_PlJS6_EEE10hipError_tPvRmT3_T4_T5_T6_T7_T9_mT8_P12ihipStream_tbDpT10_ENKUlT_T0_E_clISt17integral_constantIbLb1EES1B_EEDaS16_S17_EUlS16_E_NS1_11comp_targetILNS1_3genE5ELNS1_11target_archE942ELNS1_3gpuE9ELNS1_3repE0EEENS1_30default_config_static_selectorELNS0_4arch9wavefront6targetE1EEEvT1_
; %bb.0:
	s_load_dwordx2 s[2:3], s[0:1], 0x20
	s_load_dwordx4 s[20:23], s[0:1], 0x58
	s_load_dwordx2 s[6:7], s[0:1], 0x68
	s_load_dwordx2 s[30:31], s[0:1], 0x78
	v_cmp_eq_u32_e64 s[18:19], 0, v0
	s_and_saveexec_b64 s[4:5], s[18:19]
	s_cbranch_execz .LBB3140_4
; %bb.1:
	s_mov_b64 s[10:11], exec
	v_mbcnt_lo_u32_b32 v1, s10, 0
	v_mbcnt_hi_u32_b32 v1, s11, v1
	v_cmp_eq_u32_e32 vcc, 0, v1
                                        ; implicit-def: $vgpr2
	s_and_saveexec_b64 s[8:9], vcc
	s_cbranch_execz .LBB3140_3
; %bb.2:
	s_load_dwordx2 s[12:13], s[0:1], 0x88
	s_bcnt1_i32_b64 s10, s[10:11]
	v_mov_b32_e32 v2, 0
	v_mov_b32_e32 v3, s10
	s_waitcnt lgkmcnt(0)
	global_atomic_add v2, v2, v3, s[12:13] sc0
.LBB3140_3:
	s_or_b64 exec, exec, s[8:9]
	s_waitcnt vmcnt(0)
	v_readfirstlane_b32 s8, v2
	v_mov_b32_e32 v2, 0
	s_nop 0
	v_add_u32_e32 v1, s8, v1
	ds_write_b32 v2, v1
.LBB3140_4:
	s_or_b64 exec, exec, s[4:5]
	v_mov_b32_e32 v15, 0
	s_load_dwordx4 s[24:27], s[0:1], 0x8
	s_load_dwordx2 s[28:29], s[0:1], 0x40
	s_load_dword s8, s[0:1], 0x80
	s_waitcnt lgkmcnt(0)
	s_barrier
	ds_read_b32 v1, v15
	s_waitcnt lgkmcnt(0)
	s_barrier
	global_load_dwordx2 v[16:17], v15, s[22:23]
	v_mov_b32_e32 v3, s7
	s_lshl_b64 s[4:5], s[26:27], 1
	s_movk_i32 s7, 0x3800
	s_add_u32 s0, s24, s4
	v_mul_lo_u32 v14, v1, s7
	s_mul_i32 s7, s8, 0x3800
	s_addc_u32 s1, s25, s5
	s_add_i32 s9, s8, -1
	s_add_i32 s8, s7, s26
	s_sub_i32 s33, s6, s8
	s_addk_i32 s33, 0x3800
	v_mov_b32_e32 v2, s6
	s_add_u32 s6, s26, s7
	v_readfirstlane_b32 s38, v1
	s_addc_u32 s7, s27, 0
	s_cmp_eq_u32 s38, s9
	s_cselect_b64 s[22:23], -1, 0
	s_cmp_lg_u32 s38, s9
	v_cmp_lt_u64_e32 vcc, s[6:7], v[2:3]
	s_cselect_b64 s[6:7], -1, 0
	s_or_b64 s[24:25], vcc, s[6:7]
	v_lshlrev_b64 v[18:19], 1, v[14:15]
	v_lshl_add_u64 v[2:3], s[0:1], 0, v[18:19]
	s_mov_b64 s[0:1], -1
	s_and_b64 vcc, exec, s[24:25]
	v_lshlrev_b32_e32 v14, 1, v0
	s_cbranch_vccz .LBB3140_6
; %bb.5:
	v_lshl_add_u64 v[4:5], v[2:3], 0, v[14:15]
	v_add_co_u32_e32 v6, vcc, 0x1000, v4
	s_mov_b64 s[0:1], 0
	s_nop 0
	v_addc_co_u32_e32 v7, vcc, 0, v5, vcc
	flat_load_ushort v1, v[4:5]
	flat_load_ushort v10, v[4:5] offset:1024
	flat_load_ushort v11, v[4:5] offset:2048
	;; [unrolled: 1-line block ×3, first 2 shown]
	flat_load_ushort v13, v[6:7]
	flat_load_ushort v15, v[6:7] offset:1024
	flat_load_ushort v20, v[6:7] offset:2048
	;; [unrolled: 1-line block ×3, first 2 shown]
	v_add_co_u32_e32 v6, vcc, 0x2000, v4
	s_nop 1
	v_addc_co_u32_e32 v7, vcc, 0, v5, vcc
	v_add_co_u32_e32 v8, vcc, 0x3000, v4
	s_nop 1
	v_addc_co_u32_e32 v9, vcc, 0, v5, vcc
	flat_load_ushort v22, v[6:7]
	flat_load_ushort v23, v[6:7] offset:1024
	flat_load_ushort v24, v[6:7] offset:2048
	;; [unrolled: 1-line block ×3, first 2 shown]
	flat_load_ushort v26, v[8:9]
	flat_load_ushort v27, v[8:9] offset:1024
	flat_load_ushort v28, v[8:9] offset:2048
	;; [unrolled: 1-line block ×3, first 2 shown]
	v_add_co_u32_e32 v6, vcc, 0x4000, v4
	s_nop 1
	v_addc_co_u32_e32 v7, vcc, 0, v5, vcc
	v_add_co_u32_e32 v8, vcc, 0x5000, v4
	s_nop 1
	v_addc_co_u32_e32 v9, vcc, 0, v5, vcc
	v_add_co_u32_e32 v4, vcc, 0x6000, v4
	flat_load_ushort v30, v[6:7]
	flat_load_ushort v31, v[6:7] offset:1024
	flat_load_ushort v32, v[6:7] offset:2048
	;; [unrolled: 1-line block ×3, first 2 shown]
	flat_load_ushort v34, v[8:9]
	flat_load_ushort v35, v[8:9] offset:1024
	flat_load_ushort v36, v[8:9] offset:2048
	;; [unrolled: 1-line block ×3, first 2 shown]
	v_addc_co_u32_e32 v5, vcc, 0, v5, vcc
	flat_load_ushort v6, v[4:5]
	flat_load_ushort v7, v[4:5] offset:1024
	flat_load_ushort v8, v[4:5] offset:2048
	;; [unrolled: 1-line block ×3, first 2 shown]
	s_waitcnt vmcnt(0) lgkmcnt(0)
	ds_write_b16 v14, v1
	ds_write_b16 v14, v10 offset:1024
	ds_write_b16 v14, v11 offset:2048
	;; [unrolled: 1-line block ×27, first 2 shown]
	s_waitcnt lgkmcnt(0)
	s_barrier
.LBB3140_6:
	s_andn2_b64 vcc, exec, s[0:1]
	v_cmp_gt_u32_e64 s[0:1], s33, v0
	s_cbranch_vccnz .LBB3140_64
; %bb.7:
                                        ; implicit-def: $vgpr1
	s_and_saveexec_b64 s[6:7], s[0:1]
	s_cbranch_execz .LBB3140_9
; %bb.8:
	v_mov_b32_e32 v15, 0
	v_lshl_add_u64 v[4:5], v[2:3], 0, v[14:15]
	flat_load_ushort v1, v[4:5]
.LBB3140_9:
	s_or_b64 exec, exec, s[6:7]
	v_or_b32_e32 v4, 0x200, v0
	v_cmp_gt_u32_e32 vcc, s33, v4
                                        ; implicit-def: $vgpr4
	s_and_saveexec_b64 s[0:1], vcc
	s_cbranch_execz .LBB3140_11
; %bb.10:
	v_mov_b32_e32 v15, 0
	v_lshl_add_u64 v[4:5], v[2:3], 0, v[14:15]
	flat_load_ushort v4, v[4:5] offset:1024
.LBB3140_11:
	s_or_b64 exec, exec, s[0:1]
	v_or_b32_e32 v5, 0x400, v0
	v_cmp_gt_u32_e32 vcc, s33, v5
                                        ; implicit-def: $vgpr5
	s_and_saveexec_b64 s[0:1], vcc
	s_cbranch_execz .LBB3140_13
; %bb.12:
	v_mov_b32_e32 v15, 0
	v_lshl_add_u64 v[6:7], v[2:3], 0, v[14:15]
	flat_load_ushort v5, v[6:7] offset:2048
.LBB3140_13:
	s_or_b64 exec, exec, s[0:1]
	v_or_b32_e32 v6, 0x600, v0
	v_cmp_gt_u32_e32 vcc, s33, v6
                                        ; implicit-def: $vgpr6
	s_and_saveexec_b64 s[0:1], vcc
	s_cbranch_execz .LBB3140_15
; %bb.14:
	v_mov_b32_e32 v15, 0
	v_lshl_add_u64 v[6:7], v[2:3], 0, v[14:15]
	flat_load_ushort v6, v[6:7] offset:3072
.LBB3140_15:
	s_or_b64 exec, exec, s[0:1]
	v_or_b32_e32 v8, 0x800, v0
	v_cmp_gt_u32_e32 vcc, s33, v8
                                        ; implicit-def: $vgpr7
	s_and_saveexec_b64 s[0:1], vcc
	s_cbranch_execz .LBB3140_17
; %bb.16:
	v_lshlrev_b32_e32 v8, 1, v8
	v_mov_b32_e32 v9, 0
	v_lshl_add_u64 v[8:9], v[2:3], 0, v[8:9]
	flat_load_ushort v7, v[8:9]
.LBB3140_17:
	s_or_b64 exec, exec, s[0:1]
	v_or_b32_e32 v9, 0xa00, v0
	v_cmp_gt_u32_e32 vcc, s33, v9
                                        ; implicit-def: $vgpr8
	s_and_saveexec_b64 s[0:1], vcc
	s_cbranch_execz .LBB3140_19
; %bb.18:
	v_lshlrev_b32_e32 v8, 1, v9
	v_mov_b32_e32 v9, 0
	v_lshl_add_u64 v[8:9], v[2:3], 0, v[8:9]
	flat_load_ushort v8, v[8:9]
.LBB3140_19:
	s_or_b64 exec, exec, s[0:1]
	v_or_b32_e32 v10, 0xc00, v0
	v_cmp_gt_u32_e32 vcc, s33, v10
                                        ; implicit-def: $vgpr9
	s_and_saveexec_b64 s[0:1], vcc
	s_cbranch_execz .LBB3140_21
; %bb.20:
	v_lshlrev_b32_e32 v10, 1, v10
	v_mov_b32_e32 v11, 0
	v_lshl_add_u64 v[10:11], v[2:3], 0, v[10:11]
	flat_load_ushort v9, v[10:11]
.LBB3140_21:
	s_or_b64 exec, exec, s[0:1]
	v_or_b32_e32 v11, 0xe00, v0
	v_cmp_gt_u32_e32 vcc, s33, v11
                                        ; implicit-def: $vgpr10
	s_and_saveexec_b64 s[0:1], vcc
	s_cbranch_execz .LBB3140_23
; %bb.22:
	v_lshlrev_b32_e32 v10, 1, v11
	v_mov_b32_e32 v11, 0
	v_lshl_add_u64 v[10:11], v[2:3], 0, v[10:11]
	flat_load_ushort v10, v[10:11]
.LBB3140_23:
	s_or_b64 exec, exec, s[0:1]
	v_or_b32_e32 v12, 0x1000, v0
	v_cmp_gt_u32_e32 vcc, s33, v12
                                        ; implicit-def: $vgpr11
	s_and_saveexec_b64 s[0:1], vcc
	s_cbranch_execz .LBB3140_25
; %bb.24:
	v_lshlrev_b32_e32 v12, 1, v12
	v_mov_b32_e32 v13, 0
	v_lshl_add_u64 v[12:13], v[2:3], 0, v[12:13]
	flat_load_ushort v11, v[12:13]
.LBB3140_25:
	s_or_b64 exec, exec, s[0:1]
	v_or_b32_e32 v13, 0x1200, v0
	v_cmp_gt_u32_e32 vcc, s33, v13
                                        ; implicit-def: $vgpr12
	s_and_saveexec_b64 s[0:1], vcc
	s_cbranch_execz .LBB3140_27
; %bb.26:
	v_lshlrev_b32_e32 v12, 1, v13
	v_mov_b32_e32 v13, 0
	v_lshl_add_u64 v[12:13], v[2:3], 0, v[12:13]
	flat_load_ushort v12, v[12:13]
.LBB3140_27:
	s_or_b64 exec, exec, s[0:1]
	v_or_b32_e32 v15, 0x1400, v0
	v_cmp_gt_u32_e32 vcc, s33, v15
                                        ; implicit-def: $vgpr13
	s_and_saveexec_b64 s[0:1], vcc
	s_cbranch_execz .LBB3140_29
; %bb.28:
	v_lshlrev_b32_e32 v20, 1, v15
	v_mov_b32_e32 v21, 0
	v_lshl_add_u64 v[20:21], v[2:3], 0, v[20:21]
	flat_load_ushort v13, v[20:21]
.LBB3140_29:
	s_or_b64 exec, exec, s[0:1]
	v_or_b32_e32 v20, 0x1600, v0
	v_cmp_gt_u32_e32 vcc, s33, v20
                                        ; implicit-def: $vgpr15
	s_and_saveexec_b64 s[0:1], vcc
	s_cbranch_execz .LBB3140_31
; %bb.30:
	v_lshlrev_b32_e32 v20, 1, v20
	v_mov_b32_e32 v21, 0
	v_lshl_add_u64 v[20:21], v[2:3], 0, v[20:21]
	flat_load_ushort v15, v[20:21]
.LBB3140_31:
	s_or_b64 exec, exec, s[0:1]
	v_or_b32_e32 v21, 0x1800, v0
	v_cmp_gt_u32_e32 vcc, s33, v21
                                        ; implicit-def: $vgpr20
	s_and_saveexec_b64 s[0:1], vcc
	s_cbranch_execz .LBB3140_33
; %bb.32:
	v_lshlrev_b32_e32 v20, 1, v21
	v_mov_b32_e32 v21, 0
	v_lshl_add_u64 v[20:21], v[2:3], 0, v[20:21]
	flat_load_ushort v20, v[20:21]
.LBB3140_33:
	s_or_b64 exec, exec, s[0:1]
	v_or_b32_e32 v22, 0x1a00, v0
	v_cmp_gt_u32_e32 vcc, s33, v22
                                        ; implicit-def: $vgpr21
	s_and_saveexec_b64 s[0:1], vcc
	s_cbranch_execz .LBB3140_35
; %bb.34:
	v_lshlrev_b32_e32 v22, 1, v22
	v_mov_b32_e32 v23, 0
	v_lshl_add_u64 v[22:23], v[2:3], 0, v[22:23]
	flat_load_ushort v21, v[22:23]
.LBB3140_35:
	s_or_b64 exec, exec, s[0:1]
	v_or_b32_e32 v23, 0x1c00, v0
	v_cmp_gt_u32_e32 vcc, s33, v23
                                        ; implicit-def: $vgpr22
	s_and_saveexec_b64 s[0:1], vcc
	s_cbranch_execz .LBB3140_37
; %bb.36:
	v_lshlrev_b32_e32 v22, 1, v23
	v_mov_b32_e32 v23, 0
	v_lshl_add_u64 v[22:23], v[2:3], 0, v[22:23]
	flat_load_ushort v22, v[22:23]
.LBB3140_37:
	s_or_b64 exec, exec, s[0:1]
	v_or_b32_e32 v24, 0x1e00, v0
	v_cmp_gt_u32_e32 vcc, s33, v24
                                        ; implicit-def: $vgpr23
	s_and_saveexec_b64 s[0:1], vcc
	s_cbranch_execz .LBB3140_39
; %bb.38:
	v_lshlrev_b32_e32 v24, 1, v24
	v_mov_b32_e32 v25, 0
	v_lshl_add_u64 v[24:25], v[2:3], 0, v[24:25]
	flat_load_ushort v23, v[24:25]
.LBB3140_39:
	s_or_b64 exec, exec, s[0:1]
	v_or_b32_e32 v25, 0x2000, v0
	v_cmp_gt_u32_e32 vcc, s33, v25
                                        ; implicit-def: $vgpr24
	s_and_saveexec_b64 s[0:1], vcc
	s_cbranch_execz .LBB3140_41
; %bb.40:
	v_lshlrev_b32_e32 v24, 1, v25
	v_mov_b32_e32 v25, 0
	v_lshl_add_u64 v[24:25], v[2:3], 0, v[24:25]
	flat_load_ushort v24, v[24:25]
.LBB3140_41:
	s_or_b64 exec, exec, s[0:1]
	v_or_b32_e32 v26, 0x2200, v0
	v_cmp_gt_u32_e32 vcc, s33, v26
                                        ; implicit-def: $vgpr25
	s_and_saveexec_b64 s[0:1], vcc
	s_cbranch_execz .LBB3140_43
; %bb.42:
	v_lshlrev_b32_e32 v26, 1, v26
	v_mov_b32_e32 v27, 0
	v_lshl_add_u64 v[26:27], v[2:3], 0, v[26:27]
	flat_load_ushort v25, v[26:27]
.LBB3140_43:
	s_or_b64 exec, exec, s[0:1]
	v_or_b32_e32 v27, 0x2400, v0
	v_cmp_gt_u32_e32 vcc, s33, v27
                                        ; implicit-def: $vgpr26
	s_and_saveexec_b64 s[0:1], vcc
	s_cbranch_execz .LBB3140_45
; %bb.44:
	v_lshlrev_b32_e32 v26, 1, v27
	v_mov_b32_e32 v27, 0
	v_lshl_add_u64 v[26:27], v[2:3], 0, v[26:27]
	flat_load_ushort v26, v[26:27]
.LBB3140_45:
	s_or_b64 exec, exec, s[0:1]
	v_or_b32_e32 v28, 0x2600, v0
	v_cmp_gt_u32_e32 vcc, s33, v28
                                        ; implicit-def: $vgpr27
	s_and_saveexec_b64 s[0:1], vcc
	s_cbranch_execz .LBB3140_47
; %bb.46:
	v_lshlrev_b32_e32 v28, 1, v28
	v_mov_b32_e32 v29, 0
	v_lshl_add_u64 v[28:29], v[2:3], 0, v[28:29]
	flat_load_ushort v27, v[28:29]
.LBB3140_47:
	s_or_b64 exec, exec, s[0:1]
	v_or_b32_e32 v29, 0x2800, v0
	v_cmp_gt_u32_e32 vcc, s33, v29
                                        ; implicit-def: $vgpr28
	s_and_saveexec_b64 s[0:1], vcc
	s_cbranch_execz .LBB3140_49
; %bb.48:
	v_lshlrev_b32_e32 v28, 1, v29
	v_mov_b32_e32 v29, 0
	v_lshl_add_u64 v[28:29], v[2:3], 0, v[28:29]
	flat_load_ushort v28, v[28:29]
.LBB3140_49:
	s_or_b64 exec, exec, s[0:1]
	v_or_b32_e32 v30, 0x2a00, v0
	v_cmp_gt_u32_e32 vcc, s33, v30
                                        ; implicit-def: $vgpr29
	s_and_saveexec_b64 s[0:1], vcc
	s_cbranch_execz .LBB3140_51
; %bb.50:
	v_lshlrev_b32_e32 v30, 1, v30
	v_mov_b32_e32 v31, 0
	v_lshl_add_u64 v[30:31], v[2:3], 0, v[30:31]
	flat_load_ushort v29, v[30:31]
.LBB3140_51:
	s_or_b64 exec, exec, s[0:1]
	v_or_b32_e32 v31, 0x2c00, v0
	v_cmp_gt_u32_e32 vcc, s33, v31
                                        ; implicit-def: $vgpr30
	s_and_saveexec_b64 s[0:1], vcc
	s_cbranch_execz .LBB3140_53
; %bb.52:
	v_lshlrev_b32_e32 v30, 1, v31
	v_mov_b32_e32 v31, 0
	v_lshl_add_u64 v[30:31], v[2:3], 0, v[30:31]
	flat_load_ushort v30, v[30:31]
.LBB3140_53:
	s_or_b64 exec, exec, s[0:1]
	v_or_b32_e32 v32, 0x2e00, v0
	v_cmp_gt_u32_e32 vcc, s33, v32
                                        ; implicit-def: $vgpr31
	s_and_saveexec_b64 s[0:1], vcc
	s_cbranch_execz .LBB3140_55
; %bb.54:
	v_lshlrev_b32_e32 v32, 1, v32
	v_mov_b32_e32 v33, 0
	v_lshl_add_u64 v[32:33], v[2:3], 0, v[32:33]
	flat_load_ushort v31, v[32:33]
.LBB3140_55:
	s_or_b64 exec, exec, s[0:1]
	v_or_b32_e32 v33, 0x3000, v0
	v_cmp_gt_u32_e32 vcc, s33, v33
                                        ; implicit-def: $vgpr32
	s_and_saveexec_b64 s[0:1], vcc
	s_cbranch_execz .LBB3140_57
; %bb.56:
	v_lshlrev_b32_e32 v32, 1, v33
	v_mov_b32_e32 v33, 0
	v_lshl_add_u64 v[32:33], v[2:3], 0, v[32:33]
	flat_load_ushort v32, v[32:33]
.LBB3140_57:
	s_or_b64 exec, exec, s[0:1]
	v_or_b32_e32 v34, 0x3200, v0
	v_cmp_gt_u32_e32 vcc, s33, v34
                                        ; implicit-def: $vgpr33
	s_and_saveexec_b64 s[0:1], vcc
	s_cbranch_execz .LBB3140_59
; %bb.58:
	v_lshlrev_b32_e32 v34, 1, v34
	v_mov_b32_e32 v35, 0
	v_lshl_add_u64 v[34:35], v[2:3], 0, v[34:35]
	flat_load_ushort v33, v[34:35]
.LBB3140_59:
	s_or_b64 exec, exec, s[0:1]
	v_or_b32_e32 v35, 0x3400, v0
	v_cmp_gt_u32_e32 vcc, s33, v35
                                        ; implicit-def: $vgpr34
	s_and_saveexec_b64 s[0:1], vcc
	s_cbranch_execz .LBB3140_61
; %bb.60:
	v_lshlrev_b32_e32 v34, 1, v35
	v_mov_b32_e32 v35, 0
	v_lshl_add_u64 v[34:35], v[2:3], 0, v[34:35]
	flat_load_ushort v34, v[34:35]
.LBB3140_61:
	s_or_b64 exec, exec, s[0:1]
	v_or_b32_e32 v36, 0x3600, v0
	v_cmp_gt_u32_e32 vcc, s33, v36
                                        ; implicit-def: $vgpr35
	s_and_saveexec_b64 s[0:1], vcc
	s_cbranch_execz .LBB3140_63
; %bb.62:
	v_lshlrev_b32_e32 v36, 1, v36
	v_mov_b32_e32 v37, 0
	v_lshl_add_u64 v[2:3], v[2:3], 0, v[36:37]
	flat_load_ushort v35, v[2:3]
.LBB3140_63:
	s_or_b64 exec, exec, s[0:1]
	s_waitcnt vmcnt(0) lgkmcnt(0)
	ds_write_b16 v14, v1
	ds_write_b16 v14, v4 offset:1024
	ds_write_b16 v14, v5 offset:2048
	;; [unrolled: 1-line block ×27, first 2 shown]
	s_waitcnt lgkmcnt(0)
	s_barrier
.LBB3140_64:
	v_mul_u32_u24_e32 v1, 28, v0
	v_lshlrev_b32_e32 v6, 1, v1
	ds_read_b64 v[20:21], v6 offset:48
	ds_read2_b64 v[2:5], v6 offset0:4 offset1:5
	ds_read2_b64 v[10:13], v6 offset1:1
	ds_read2_b64 v[6:9], v6 offset0:2 offset1:3
	s_add_u32 s0, s2, s4
	s_addc_u32 s1, s3, s5
	v_lshl_add_u64 v[22:23], s[0:1], 0, v[18:19]
	s_mov_b64 s[0:1], -1
	s_and_b64 vcc, exec, s[24:25]
	s_waitcnt lgkmcnt(0)
	s_barrier
	s_cbranch_vccz .LBB3140_66
; %bb.65:
	v_mov_b32_e32 v15, 0
	v_readfirstlane_b32 s0, v22
	v_readfirstlane_b32 s1, v23
	v_lshl_add_u64 v[24:25], v[22:23], 0, v[14:15]
	s_nop 3
	global_load_ubyte v15, v14, s[0:1]
	global_load_ubyte v30, v14, s[0:1] offset:1024
	global_load_ubyte v31, v14, s[0:1] offset:2048
	;; [unrolled: 1-line block ×3, first 2 shown]
	s_movk_i32 s0, 0x1000
	v_add_co_u32_e32 v26, vcc, s0, v24
	s_movk_i32 s0, 0x2000
	s_nop 0
	v_addc_co_u32_e32 v27, vcc, 0, v25, vcc
	v_add_co_u32_e32 v28, vcc, s0, v24
	s_movk_i32 s0, 0x3000
	s_nop 0
	v_addc_co_u32_e32 v29, vcc, 0, v25, vcc
	global_load_ubyte v33, v[26:27], off offset:1024
	global_load_ubyte v34, v[26:27], off offset:2048
	;; [unrolled: 1-line block ×3, first 2 shown]
	global_load_ubyte v36, v[28:29], off offset:-4096
	global_load_ubyte v37, v[28:29], off
	global_load_ubyte v38, v[28:29], off offset:1024
	global_load_ubyte v39, v[28:29], off offset:2048
	global_load_ubyte v40, v[28:29], off offset:3072
	v_add_co_u32_e32 v26, vcc, s0, v24
	s_movk_i32 s0, 0x4000
	s_nop 0
	v_addc_co_u32_e32 v27, vcc, 0, v25, vcc
	v_add_co_u32_e32 v28, vcc, s0, v24
	s_movk_i32 s1, 0x6000
	s_nop 0
	v_addc_co_u32_e32 v29, vcc, 0, v25, vcc
	global_load_ubyte v41, v[28:29], off offset:-4096
	global_load_ubyte v42, v[26:27], off offset:1024
	global_load_ubyte v43, v[26:27], off offset:2048
	;; [unrolled: 1-line block ×3, first 2 shown]
	global_load_ubyte v45, v[28:29], off
	v_add_co_u32_e32 v26, vcc, s1, v24
	s_movk_i32 s0, 0x5000
	s_nop 0
	v_addc_co_u32_e32 v27, vcc, 0, v25, vcc
	v_add_co_u32_e32 v24, vcc, s0, v24
	global_load_ubyte v46, v[28:29], off offset:1024
	global_load_ubyte v47, v[28:29], off offset:2048
	;; [unrolled: 1-line block ×3, first 2 shown]
	global_load_ubyte v49, v[26:27], off offset:-4096
	v_addc_co_u32_e32 v25, vcc, 0, v25, vcc
	global_load_ubyte v28, v[24:25], off offset:1024
	global_load_ubyte v29, v[24:25], off offset:2048
	global_load_ubyte v50, v[24:25], off offset:3072
	global_load_ubyte v51, v[26:27], off
	global_load_ubyte v52, v[26:27], off offset:1024
	global_load_ubyte v53, v[26:27], off offset:2048
	;; [unrolled: 1-line block ×3, first 2 shown]
	s_mov_b64 s[0:1], 0
	s_waitcnt vmcnt(27)
	v_xor_b32_e32 v15, -1, v15
	s_waitcnt vmcnt(26)
	v_xor_b32_e32 v24, -1, v30
	;; [unrolled: 2-line block ×4, first 2 shown]
	v_and_b32_e32 v15, 1, v15
	v_and_b32_e32 v24, 1, v24
	;; [unrolled: 1-line block ×4, first 2 shown]
	s_waitcnt vmcnt(23)
	v_xor_b32_e32 v30, -1, v33
	s_waitcnt vmcnt(22)
	v_xor_b32_e32 v31, -1, v34
	;; [unrolled: 2-line block ×8, first 2 shown]
	v_and_b32_e32 v27, 1, v27
	v_and_b32_e32 v30, 1, v30
	;; [unrolled: 1-line block ×6, first 2 shown]
	s_waitcnt vmcnt(15)
	v_xor_b32_e32 v37, -1, v41
	s_waitcnt vmcnt(14)
	v_xor_b32_e32 v38, -1, v42
	;; [unrolled: 2-line block ×5, first 2 shown]
	v_and_b32_e32 v35, 1, v35
	v_and_b32_e32 v36, 1, v36
	;; [unrolled: 1-line block ×4, first 2 shown]
	s_waitcnt vmcnt(10)
	v_xor_b32_e32 v42, -1, v46
	s_waitcnt vmcnt(9)
	v_xor_b32_e32 v43, -1, v47
	s_waitcnt vmcnt(8)
	v_xor_b32_e32 v44, -1, v48
	s_waitcnt vmcnt(7)
	v_xor_b32_e32 v45, -1, v49
	s_waitcnt vmcnt(6)
	v_xor_b32_e32 v28, -1, v28
	s_waitcnt vmcnt(5)
	v_xor_b32_e32 v29, -1, v29
	s_waitcnt vmcnt(4)
	v_xor_b32_e32 v46, -1, v50
	s_waitcnt vmcnt(3)
	v_xor_b32_e32 v47, -1, v51
	s_waitcnt vmcnt(2)
	v_xor_b32_e32 v48, -1, v52
	s_waitcnt vmcnt(1)
	v_xor_b32_e32 v49, -1, v53
	s_waitcnt vmcnt(0)
	v_xor_b32_e32 v50, -1, v54
	v_and_b32_e32 v39, 1, v39
	v_and_b32_e32 v40, 1, v40
	;; [unrolled: 1-line block ×14, first 2 shown]
	ds_write_b8 v0, v15
	ds_write_b8 v0, v24 offset:512
	ds_write_b8 v0, v25 offset:1024
	;; [unrolled: 1-line block ×27, first 2 shown]
	s_waitcnt lgkmcnt(0)
	s_barrier
.LBB3140_66:
	s_andn2_b64 vcc, exec, s[0:1]
	s_cbranch_vccnz .LBB3140_124
; %bb.67:
	v_cmp_gt_u32_e32 vcc, s33, v0
	v_mov_b32_e32 v15, 0
	v_mov_b32_e32 v24, 0
	s_and_saveexec_b64 s[0:1], vcc
	s_cbranch_execz .LBB3140_69
; %bb.68:
	v_readfirstlane_b32 s2, v22
	v_readfirstlane_b32 s3, v23
	s_nop 4
	global_load_ubyte v24, v14, s[2:3]
	s_waitcnt vmcnt(0)
	v_xor_b32_e32 v24, -1, v24
	v_and_b32_e32 v24, 1, v24
.LBB3140_69:
	s_or_b64 exec, exec, s[0:1]
	v_or_b32_e32 v25, 0x200, v0
	v_cmp_gt_u32_e32 vcc, s33, v25
	s_and_saveexec_b64 s[0:1], vcc
	s_cbranch_execz .LBB3140_71
; %bb.70:
	v_readfirstlane_b32 s2, v22
	v_readfirstlane_b32 s3, v23
	s_nop 4
	global_load_ubyte v15, v14, s[2:3] offset:1024
	s_waitcnt vmcnt(0)
	v_xor_b32_e32 v15, -1, v15
	v_and_b32_e32 v15, 1, v15
.LBB3140_71:
	s_or_b64 exec, exec, s[0:1]
	v_or_b32_e32 v25, 0x400, v0
	v_cmp_gt_u32_e32 vcc, s33, v25
	v_mov_b32_e32 v25, 0
	v_mov_b32_e32 v26, 0
	s_and_saveexec_b64 s[0:1], vcc
	s_cbranch_execz .LBB3140_73
; %bb.72:
	v_readfirstlane_b32 s2, v22
	v_readfirstlane_b32 s3, v23
	s_nop 4
	global_load_ubyte v26, v14, s[2:3] offset:2048
	s_waitcnt vmcnt(0)
	v_xor_b32_e32 v26, -1, v26
	v_and_b32_e32 v26, 1, v26
.LBB3140_73:
	s_or_b64 exec, exec, s[0:1]
	v_or_b32_e32 v27, 0x600, v0
	v_cmp_gt_u32_e32 vcc, s33, v27
	s_and_saveexec_b64 s[0:1], vcc
	s_cbranch_execz .LBB3140_75
; %bb.74:
	v_readfirstlane_b32 s2, v22
	v_readfirstlane_b32 s3, v23
	s_nop 4
	global_load_ubyte v25, v14, s[2:3] offset:3072
	s_waitcnt vmcnt(0)
	v_xor_b32_e32 v25, -1, v25
	v_and_b32_e32 v25, 1, v25
.LBB3140_75:
	s_or_b64 exec, exec, s[0:1]
	v_or_b32_e32 v29, 0x800, v0
	v_cmp_gt_u32_e32 vcc, s33, v29
	v_mov_b32_e32 v27, 0
	v_mov_b32_e32 v28, 0
	s_and_saveexec_b64 s[0:1], vcc
	s_cbranch_execz .LBB3140_77
; %bb.76:
	v_lshlrev_b32_e32 v28, 1, v29
	v_readfirstlane_b32 s2, v22
	v_readfirstlane_b32 s3, v23
	s_nop 4
	global_load_ubyte v28, v28, s[2:3]
	s_waitcnt vmcnt(0)
	v_xor_b32_e32 v28, -1, v28
	v_and_b32_e32 v28, 1, v28
.LBB3140_77:
	s_or_b64 exec, exec, s[0:1]
	v_or_b32_e32 v29, 0xa00, v0
	v_cmp_gt_u32_e32 vcc, s33, v29
	s_and_saveexec_b64 s[0:1], vcc
	s_cbranch_execz .LBB3140_79
; %bb.78:
	v_lshlrev_b32_e32 v27, 1, v29
	v_readfirstlane_b32 s2, v22
	v_readfirstlane_b32 s3, v23
	s_nop 4
	global_load_ubyte v27, v27, s[2:3]
	s_waitcnt vmcnt(0)
	v_xor_b32_e32 v27, -1, v27
	v_and_b32_e32 v27, 1, v27
.LBB3140_79:
	s_or_b64 exec, exec, s[0:1]
	v_or_b32_e32 v31, 0xc00, v0
	v_cmp_gt_u32_e32 vcc, s33, v31
	v_mov_b32_e32 v29, 0
	v_mov_b32_e32 v30, 0
	s_and_saveexec_b64 s[0:1], vcc
	s_cbranch_execz .LBB3140_81
; %bb.80:
	v_lshlrev_b32_e32 v30, 1, v31
	v_readfirstlane_b32 s2, v22
	v_readfirstlane_b32 s3, v23
	s_nop 4
	global_load_ubyte v30, v30, s[2:3]
	s_waitcnt vmcnt(0)
	v_xor_b32_e32 v30, -1, v30
	v_and_b32_e32 v30, 1, v30
.LBB3140_81:
	s_or_b64 exec, exec, s[0:1]
	v_or_b32_e32 v31, 0xe00, v0
	v_cmp_gt_u32_e32 vcc, s33, v31
	s_and_saveexec_b64 s[0:1], vcc
	s_cbranch_execz .LBB3140_83
; %bb.82:
	v_lshlrev_b32_e32 v29, 1, v31
	v_readfirstlane_b32 s2, v22
	v_readfirstlane_b32 s3, v23
	s_nop 4
	global_load_ubyte v29, v29, s[2:3]
	s_waitcnt vmcnt(0)
	v_xor_b32_e32 v29, -1, v29
	v_and_b32_e32 v29, 1, v29
.LBB3140_83:
	;; [unrolled: 32-line block ×12, first 2 shown]
	s_or_b64 exec, exec, s[0:1]
	ds_write_b8 v0, v24
	ds_write_b8 v0, v15 offset:512
	ds_write_b8 v0, v26 offset:1024
	;; [unrolled: 1-line block ×27, first 2 shown]
	s_waitcnt lgkmcnt(0)
	s_barrier
.LBB3140_124:
	ds_read2_b32 v[28:29], v1 offset1:1
	ds_read2_b32 v[26:27], v1 offset0:2 offset1:3
	ds_read2_b32 v[24:25], v1 offset0:4 offset1:5
	ds_read_b32 v38, v1 offset:24
	s_cmp_lg_u32 s38, 0
	v_lshrrev_b32_e32 v65, 6, v0
	s_waitcnt lgkmcnt(2)
	v_and_b32_e32 v57, 0xff, v26
	v_lshrrev_b32_e32 v45, 24, v28
	v_bfe_u32 v63, v28, 16, 8
	v_add_u32_sdwa v22, v28, v28 dst_sel:DWORD dst_unused:UNUSED_PAD src0_sel:BYTE_1 src1_sel:BYTE_0
	v_and_b32_e32 v60, 0xff, v29
	v_bfe_u32 v61, v29, 8, 8
	v_add3_u32 v22, v22, v63, v45
	v_lshrrev_b32_e32 v44, 24, v29
	v_bfe_u32 v62, v29, 16, 8
	v_add3_u32 v22, v22, v60, v61
	v_bfe_u32 v58, v26, 8, 8
	v_add3_u32 v22, v22, v62, v44
	v_lshrrev_b32_e32 v43, 24, v26
	v_bfe_u32 v59, v26, 16, 8
	v_add3_u32 v22, v22, v57, v58
	v_and_b32_e32 v54, 0xff, v27
	v_bfe_u32 v55, v27, 8, 8
	v_add3_u32 v22, v22, v59, v43
	v_lshrrev_b32_e32 v42, 24, v27
	v_bfe_u32 v56, v27, 16, 8
	v_add3_u32 v22, v22, v54, v55
	s_waitcnt lgkmcnt(1)
	v_and_b32_e32 v51, 0xff, v24
	v_bfe_u32 v52, v24, 8, 8
	v_add3_u32 v22, v22, v56, v42
	v_lshrrev_b32_e32 v41, 24, v24
	v_bfe_u32 v53, v24, 16, 8
	v_add3_u32 v22, v22, v51, v52
	v_and_b32_e32 v48, 0xff, v25
	v_bfe_u32 v49, v25, 8, 8
	v_add3_u32 v22, v22, v53, v41
	v_lshrrev_b32_e32 v40, 24, v25
	v_bfe_u32 v50, v25, 16, 8
	v_add3_u32 v22, v22, v48, v49
	s_waitcnt lgkmcnt(0)
	v_and_b32_e32 v46, 0xff, v38
	v_bfe_u32 v47, v38, 8, 8
	v_add3_u32 v22, v22, v50, v40
	v_lshrrev_b32_e32 v15, 24, v38
	v_bfe_u32 v39, v38, 16, 8
	v_add3_u32 v22, v22, v46, v47
	v_add3_u32 v66, v22, v39, v15
	v_mbcnt_lo_u32_b32 v22, -1, 0
	v_mbcnt_hi_u32_b32 v64, -1, v22
	v_and_b32_e32 v22, 15, v64
	v_cmp_eq_u32_e64 s[14:15], 0, v22
	v_cmp_lt_u32_e64 s[12:13], 1, v22
	v_cmp_lt_u32_e64 s[10:11], 3, v22
	;; [unrolled: 1-line block ×3, first 2 shown]
	v_and_b32_e32 v22, 16, v64
	v_cmp_eq_u32_e64 s[6:7], 0, v22
	v_or_b32_e32 v22, 63, v0
	v_cmp_lt_u32_e64 s[2:3], 31, v64
	v_cmp_eq_u32_e64 s[4:5], v22, v0
	s_barrier
	s_cbranch_scc0 .LBB3140_155
; %bb.125:
	v_mov_b32_dpp v22, v66 row_shr:1 row_mask:0xf bank_mask:0xf
	v_cndmask_b32_e64 v22, v22, 0, s[14:15]
	v_add_u32_e32 v22, v22, v66
	s_nop 1
	v_mov_b32_dpp v23, v22 row_shr:2 row_mask:0xf bank_mask:0xf
	v_cndmask_b32_e64 v23, 0, v23, s[12:13]
	v_add_u32_e32 v22, v22, v23
	s_nop 1
	;; [unrolled: 4-line block ×4, first 2 shown]
	v_mov_b32_dpp v23, v22 row_bcast:15 row_mask:0xf bank_mask:0xf
	v_cndmask_b32_e64 v23, v23, 0, s[6:7]
	v_add_u32_e32 v22, v22, v23
	s_nop 1
	v_mov_b32_dpp v23, v22 row_bcast:31 row_mask:0xf bank_mask:0xf
	v_cndmask_b32_e64 v23, 0, v23, s[2:3]
	v_add_u32_e32 v22, v22, v23
	s_and_saveexec_b64 s[0:1], s[4:5]
	s_cbranch_execz .LBB3140_127
; %bb.126:
	v_lshlrev_b32_e32 v23, 2, v65
	ds_write_b32 v23, v22
.LBB3140_127:
	s_or_b64 exec, exec, s[0:1]
	v_cmp_gt_u32_e32 vcc, 8, v0
	s_waitcnt lgkmcnt(0)
	s_barrier
	s_and_saveexec_b64 s[0:1], vcc
	s_cbranch_execz .LBB3140_129
; %bb.128:
	v_lshlrev_b32_e32 v23, 2, v0
	ds_read_b32 v30, v23
	v_and_b32_e32 v31, 7, v64
	v_cmp_ne_u32_e32 vcc, 0, v31
	s_waitcnt lgkmcnt(0)
	v_mov_b32_dpp v32, v30 row_shr:1 row_mask:0xf bank_mask:0xf
	v_cndmask_b32_e32 v32, 0, v32, vcc
	v_add_u32_e32 v30, v32, v30
	v_cmp_lt_u32_e32 vcc, 1, v31
	s_nop 0
	v_mov_b32_dpp v32, v30 row_shr:2 row_mask:0xf bank_mask:0xf
	v_cndmask_b32_e32 v32, 0, v32, vcc
	v_add_u32_e32 v30, v30, v32
	v_cmp_lt_u32_e32 vcc, 3, v31
	s_nop 0
	v_mov_b32_dpp v32, v30 row_shr:4 row_mask:0xf bank_mask:0xf
	v_cndmask_b32_e32 v31, 0, v32, vcc
	v_add_u32_e32 v30, v30, v31
	ds_write_b32 v23, v30
.LBB3140_129:
	s_or_b64 exec, exec, s[0:1]
	v_cmp_gt_u32_e32 vcc, 64, v0
	v_cmp_lt_u32_e64 s[0:1], 63, v0
	s_waitcnt lgkmcnt(0)
	s_barrier
	s_waitcnt lgkmcnt(0)
                                        ; implicit-def: $vgpr67
	s_and_saveexec_b64 s[16:17], s[0:1]
	s_cbranch_execz .LBB3140_131
; %bb.130:
	v_lshl_add_u32 v23, v65, 2, -4
	ds_read_b32 v67, v23
	s_waitcnt lgkmcnt(0)
	v_add_u32_e32 v22, v67, v22
.LBB3140_131:
	s_or_b64 exec, exec, s[16:17]
	v_add_u32_e32 v23, -1, v64
	v_and_b32_e32 v30, 64, v64
	v_cmp_lt_i32_e64 s[0:1], v23, v30
	v_cmp_eq_u32_e64 s[16:17], 0, v64
	s_nop 0
	v_cndmask_b32_e64 v23, v23, v64, s[0:1]
	v_lshlrev_b32_e32 v23, 2, v23
	ds_bpermute_b32 v68, v23, v22
	s_and_saveexec_b64 s[0:1], vcc
	s_cbranch_execz .LBB3140_154
; %bb.132:
	v_mov_b32_e32 v37, 0
	ds_read_b32 v22, v37 offset:28
	s_and_saveexec_b64 s[34:35], s[16:17]
	s_cbranch_execz .LBB3140_134
; %bb.133:
	s_add_i32 s36, s38, 64
	s_mov_b32 s37, 0
	s_lshl_b64 s[36:37], s[36:37], 3
	s_add_u32 s36, s30, s36
	v_mov_b32_e32 v23, 1
	s_addc_u32 s37, s31, s37
	s_waitcnt lgkmcnt(0)
	global_store_dwordx2 v37, v[22:23], s[36:37] sc1
.LBB3140_134:
	s_or_b64 exec, exec, s[34:35]
	v_xad_u32 v30, v64, -1, s38
	v_add_u32_e32 v36, 64, v30
	v_lshl_add_u64 v[32:33], v[36:37], 3, s[30:31]
	global_load_dwordx2 v[34:35], v[32:33], off sc1
	s_waitcnt vmcnt(0)
	v_cmp_eq_u16_sdwa s[36:37], v35, v37 src0_sel:BYTE_0 src1_sel:DWORD
	s_and_saveexec_b64 s[34:35], s[36:37]
	s_cbranch_execz .LBB3140_140
; %bb.135:
	s_mov_b32 s39, 1
	s_mov_b64 s[36:37], 0
	v_mov_b32_e32 v23, 0
.LBB3140_136:                           ; =>This Loop Header: Depth=1
                                        ;     Child Loop BB3140_137 Depth 2
	s_max_u32 s40, s39, 1
.LBB3140_137:                           ;   Parent Loop BB3140_136 Depth=1
                                        ; =>  This Inner Loop Header: Depth=2
	s_add_i32 s40, s40, -1
	s_cmp_eq_u32 s40, 0
	s_sleep 1
	s_cbranch_scc0 .LBB3140_137
; %bb.138:                              ;   in Loop: Header=BB3140_136 Depth=1
	global_load_dwordx2 v[34:35], v[32:33], off sc1
	s_cmp_lt_u32 s39, 32
	s_cselect_b64 s[40:41], -1, 0
	s_cmp_lg_u64 s[40:41], 0
	s_addc_u32 s39, s39, 0
	s_waitcnt vmcnt(0)
	v_cmp_ne_u16_sdwa s[40:41], v35, v23 src0_sel:BYTE_0 src1_sel:DWORD
	s_or_b64 s[36:37], s[40:41], s[36:37]
	s_andn2_b64 exec, exec, s[36:37]
	s_cbranch_execnz .LBB3140_136
; %bb.139:
	s_or_b64 exec, exec, s[36:37]
.LBB3140_140:
	s_or_b64 exec, exec, s[34:35]
	v_and_b32_e32 v70, 63, v64
	v_mov_b32_e32 v69, 2
	v_cmp_ne_u32_e32 vcc, 63, v70
	v_cmp_eq_u16_sdwa s[34:35], v35, v69 src0_sel:BYTE_0 src1_sel:DWORD
	v_lshlrev_b64 v[32:33], v64, -1
	v_addc_co_u32_e32 v36, vcc, 0, v64, vcc
	v_and_b32_e32 v23, s35, v33
	v_lshlrev_b32_e32 v71, 2, v36
	v_or_b32_e32 v23, 0x80000000, v23
	ds_bpermute_b32 v36, v71, v34
	v_and_b32_e32 v31, s34, v32
	v_ffbl_b32_e32 v23, v23
	v_add_u32_e32 v23, 32, v23
	v_ffbl_b32_e32 v31, v31
	v_min_u32_e32 v23, v31, v23
	v_cmp_lt_u32_e32 vcc, v70, v23
	v_add_u32_e32 v73, 2, v70
	v_add_u32_e32 v75, 4, v70
	s_waitcnt lgkmcnt(0)
	v_cndmask_b32_e32 v31, 0, v36, vcc
	v_cmp_gt_u32_e32 vcc, 62, v70
	v_add_u32_e32 v31, v31, v34
	v_add_u32_e32 v77, 8, v70
	v_cndmask_b32_e64 v34, 0, 1, vcc
	v_lshlrev_b32_e32 v34, 1, v34
	v_add_lshl_u32 v72, v34, v64, 2
	ds_bpermute_b32 v34, v72, v31
	v_cmp_le_u32_e32 vcc, v73, v23
	v_add_u32_e32 v79, 16, v70
	v_add_u32_e32 v81, 32, v70
	s_waitcnt lgkmcnt(0)
	v_cndmask_b32_e32 v34, 0, v34, vcc
	v_cmp_gt_u32_e32 vcc, 60, v70
	v_add_u32_e32 v31, v31, v34
	s_nop 0
	v_cndmask_b32_e64 v34, 0, 1, vcc
	v_lshlrev_b32_e32 v34, 2, v34
	v_add_lshl_u32 v74, v34, v64, 2
	ds_bpermute_b32 v34, v74, v31
	v_cmp_le_u32_e32 vcc, v75, v23
	s_waitcnt lgkmcnt(0)
	s_nop 0
	v_cndmask_b32_e32 v34, 0, v34, vcc
	v_cmp_gt_u32_e32 vcc, 56, v70
	v_add_u32_e32 v31, v31, v34
	s_nop 0
	v_cndmask_b32_e64 v34, 0, 1, vcc
	v_lshlrev_b32_e32 v34, 3, v34
	v_add_lshl_u32 v76, v34, v64, 2
	ds_bpermute_b32 v34, v76, v31
	v_cmp_le_u32_e32 vcc, v77, v23
	s_waitcnt lgkmcnt(0)
	s_nop 0
	;; [unrolled: 11-line block ×4, first 2 shown]
	v_cndmask_b32_e32 v23, 0, v34, vcc
	v_add_u32_e32 v34, v31, v23
	v_mov_b32_e32 v31, 0
	s_branch .LBB3140_142
.LBB3140_141:                           ;   in Loop: Header=BB3140_142 Depth=1
	s_or_b64 exec, exec, s[34:35]
	v_cmp_eq_u16_sdwa s[34:35], v35, v69 src0_sel:BYTE_0 src1_sel:DWORD
	ds_bpermute_b32 v82, v71, v34
	v_subrev_u32_e32 v30, 64, v30
	v_and_b32_e32 v36, s35, v33
	v_or_b32_e32 v36, 0x80000000, v36
	v_and_b32_e32 v37, s34, v32
	v_ffbl_b32_e32 v36, v36
	v_add_u32_e32 v36, 32, v36
	v_ffbl_b32_e32 v37, v37
	v_min_u32_e32 v36, v37, v36
	v_cmp_lt_u32_e32 vcc, v70, v36
	s_waitcnt lgkmcnt(0)
	s_nop 0
	v_cndmask_b32_e32 v37, 0, v82, vcc
	v_add_u32_e32 v34, v37, v34
	ds_bpermute_b32 v37, v72, v34
	v_cmp_le_u32_e32 vcc, v73, v36
	s_waitcnt lgkmcnt(0)
	s_nop 0
	v_cndmask_b32_e32 v37, 0, v37, vcc
	v_add_u32_e32 v34, v34, v37
	ds_bpermute_b32 v37, v74, v34
	v_cmp_le_u32_e32 vcc, v75, v36
	;; [unrolled: 6-line block ×5, first 2 shown]
	s_waitcnt lgkmcnt(0)
	s_nop 0
	v_cndmask_b32_e32 v36, 0, v37, vcc
	v_add3_u32 v34, v36, v23, v34
.LBB3140_142:                           ; =>This Loop Header: Depth=1
                                        ;     Child Loop BB3140_145 Depth 2
                                        ;       Child Loop BB3140_146 Depth 3
	v_cmp_ne_u16_sdwa s[34:35], v35, v69 src0_sel:BYTE_0 src1_sel:DWORD
	s_nop 1
	v_cndmask_b32_e64 v23, 0, 1, s[34:35]
	;;#ASMSTART
	;;#ASMEND
	s_nop 0
	v_cmp_ne_u32_e32 vcc, 0, v23
	s_cmp_lg_u64 vcc, exec
	v_mov_b32_e32 v23, v34
	s_cbranch_scc1 .LBB3140_149
; %bb.143:                              ;   in Loop: Header=BB3140_142 Depth=1
	v_lshl_add_u64 v[36:37], v[30:31], 3, s[30:31]
	global_load_dwordx2 v[34:35], v[36:37], off sc1
	s_waitcnt vmcnt(0)
	v_cmp_eq_u16_sdwa s[36:37], v35, v31 src0_sel:BYTE_0 src1_sel:DWORD
	s_and_saveexec_b64 s[34:35], s[36:37]
	s_cbranch_execz .LBB3140_141
; %bb.144:                              ;   in Loop: Header=BB3140_142 Depth=1
	s_mov_b32 s39, 1
	s_mov_b64 s[36:37], 0
.LBB3140_145:                           ;   Parent Loop BB3140_142 Depth=1
                                        ; =>  This Loop Header: Depth=2
                                        ;       Child Loop BB3140_146 Depth 3
	s_max_u32 s40, s39, 1
.LBB3140_146:                           ;   Parent Loop BB3140_142 Depth=1
                                        ;     Parent Loop BB3140_145 Depth=2
                                        ; =>    This Inner Loop Header: Depth=3
	s_add_i32 s40, s40, -1
	s_cmp_eq_u32 s40, 0
	s_sleep 1
	s_cbranch_scc0 .LBB3140_146
; %bb.147:                              ;   in Loop: Header=BB3140_145 Depth=2
	global_load_dwordx2 v[34:35], v[36:37], off sc1
	s_cmp_lt_u32 s39, 32
	s_cselect_b64 s[40:41], -1, 0
	s_cmp_lg_u64 s[40:41], 0
	s_addc_u32 s39, s39, 0
	s_waitcnt vmcnt(0)
	v_cmp_ne_u16_sdwa s[40:41], v35, v31 src0_sel:BYTE_0 src1_sel:DWORD
	s_or_b64 s[36:37], s[40:41], s[36:37]
	s_andn2_b64 exec, exec, s[36:37]
	s_cbranch_execnz .LBB3140_145
; %bb.148:                              ;   in Loop: Header=BB3140_142 Depth=1
	s_or_b64 exec, exec, s[36:37]
	s_branch .LBB3140_141
.LBB3140_149:                           ;   in Loop: Header=BB3140_142 Depth=1
                                        ; implicit-def: $vgpr34
                                        ; implicit-def: $vgpr35
	s_cbranch_execz .LBB3140_142
; %bb.150:
	s_and_saveexec_b64 s[34:35], s[16:17]
	s_cbranch_execz .LBB3140_152
; %bb.151:
	s_add_i32 s36, s38, 64
	s_mov_b32 s37, 0
	s_lshl_b64 s[36:37], s[36:37], 3
	s_add_u32 s36, s30, s36
	v_add_u32_e32 v30, v23, v22
	v_mov_b32_e32 v31, 2
	s_addc_u32 s37, s31, s37
	v_mov_b32_e32 v32, 0
	global_store_dwordx2 v32, v[30:31], s[36:37] sc1
	ds_write_b64 v32, v[22:23] offset:28672
.LBB3140_152:
	s_or_b64 exec, exec, s[34:35]
	s_and_b64 exec, exec, s[18:19]
	s_cbranch_execz .LBB3140_154
; %bb.153:
	v_mov_b32_e32 v22, 0
	ds_write_b32 v22, v23 offset:28
.LBB3140_154:
	s_or_b64 exec, exec, s[0:1]
	v_mov_b32_e32 v22, 0
	s_waitcnt lgkmcnt(0)
	s_barrier
	ds_read_b32 v30, v22 offset:28
	s_waitcnt lgkmcnt(0)
	s_barrier
	ds_read_b64 v[22:23], v22 offset:28672
	v_cndmask_b32_e64 v31, v68, v67, s[16:17]
	v_cndmask_b32_e64 v31, v31, 0, s[18:19]
	v_add_u32_e32 v36, v30, v31
	s_waitcnt lgkmcnt(0)
	v_mov_b32_e32 v30, v23
	s_branch .LBB3140_165
.LBB3140_155:
                                        ; implicit-def: $vgpr30
                                        ; implicit-def: $vgpr22
                                        ; implicit-def: $vgpr36
	s_cbranch_execz .LBB3140_165
; %bb.156:
	s_nop 0
	v_mov_b32_dpp v22, v66 row_shr:1 row_mask:0xf bank_mask:0xf
	v_cndmask_b32_e64 v22, v22, 0, s[14:15]
	v_add_u32_e32 v22, v22, v66
	s_nop 1
	v_mov_b32_dpp v23, v22 row_shr:2 row_mask:0xf bank_mask:0xf
	v_cndmask_b32_e64 v23, 0, v23, s[12:13]
	v_add_u32_e32 v22, v22, v23
	;; [unrolled: 4-line block ×4, first 2 shown]
	s_nop 1
	v_mov_b32_dpp v23, v22 row_bcast:15 row_mask:0xf bank_mask:0xf
	v_cndmask_b32_e64 v23, v23, 0, s[6:7]
	v_add_u32_e32 v22, v22, v23
	s_nop 1
	v_mov_b32_dpp v23, v22 row_bcast:31 row_mask:0xf bank_mask:0xf
	v_cndmask_b32_e64 v23, 0, v23, s[2:3]
	v_add_u32_e32 v22, v22, v23
	s_and_saveexec_b64 s[0:1], s[4:5]
	s_cbranch_execz .LBB3140_158
; %bb.157:
	v_lshlrev_b32_e32 v23, 2, v65
	ds_write_b32 v23, v22
.LBB3140_158:
	s_or_b64 exec, exec, s[0:1]
	v_cmp_gt_u32_e32 vcc, 8, v0
	s_waitcnt lgkmcnt(0)
	s_barrier
	s_and_saveexec_b64 s[0:1], vcc
	s_cbranch_execz .LBB3140_160
; %bb.159:
	v_lshlrev_b32_e32 v23, 2, v0
	ds_read_b32 v30, v23
	v_and_b32_e32 v31, 7, v64
	v_cmp_ne_u32_e32 vcc, 0, v31
	s_waitcnt lgkmcnt(0)
	v_mov_b32_dpp v32, v30 row_shr:1 row_mask:0xf bank_mask:0xf
	v_cndmask_b32_e32 v32, 0, v32, vcc
	v_add_u32_e32 v30, v32, v30
	v_cmp_lt_u32_e32 vcc, 1, v31
	s_nop 0
	v_mov_b32_dpp v32, v30 row_shr:2 row_mask:0xf bank_mask:0xf
	v_cndmask_b32_e32 v32, 0, v32, vcc
	v_add_u32_e32 v30, v30, v32
	v_cmp_lt_u32_e32 vcc, 3, v31
	s_nop 0
	v_mov_b32_dpp v32, v30 row_shr:4 row_mask:0xf bank_mask:0xf
	v_cndmask_b32_e32 v31, 0, v32, vcc
	v_add_u32_e32 v30, v30, v31
	ds_write_b32 v23, v30
.LBB3140_160:
	s_or_b64 exec, exec, s[0:1]
	v_cmp_lt_u32_e32 vcc, 63, v0
	v_mov_b32_e32 v23, 0
	v_mov_b32_e32 v30, 0
	s_waitcnt lgkmcnt(0)
	s_barrier
	s_and_saveexec_b64 s[0:1], vcc
	s_cbranch_execz .LBB3140_162
; %bb.161:
	v_lshl_add_u32 v30, v65, 2, -4
	ds_read_b32 v30, v30
.LBB3140_162:
	s_or_b64 exec, exec, s[0:1]
	v_add_u32_e32 v31, -1, v64
	v_and_b32_e32 v32, 64, v64
	v_cmp_lt_i32_e32 vcc, v31, v32
	s_waitcnt lgkmcnt(0)
	v_add_u32_e32 v22, v30, v22
	v_cndmask_b32_e32 v31, v31, v64, vcc
	v_lshlrev_b32_e32 v31, 2, v31
	ds_bpermute_b32 v31, v31, v22
	ds_read_b32 v22, v23 offset:28
	s_and_saveexec_b64 s[0:1], s[18:19]
	s_cbranch_execz .LBB3140_164
; %bb.163:
	v_mov_b32_e32 v32, 0
	v_mov_b32_e32 v23, 2
	s_waitcnt lgkmcnt(0)
	global_store_dwordx2 v32, v[22:23], s[30:31] offset:512 sc1
.LBB3140_164:
	s_or_b64 exec, exec, s[0:1]
	v_cmp_eq_u32_e32 vcc, 0, v64
	s_waitcnt lgkmcnt(0)
	s_barrier
	v_cndmask_b32_e32 v23, v31, v30, vcc
	v_mov_b32_e32 v30, 0
	v_cndmask_b32_e64 v36, v23, 0, s[18:19]
.LBB3140_165:
	v_add_u32_sdwa v64, v36, v28 dst_sel:DWORD dst_unused:UNUSED_PAD src0_sel:DWORD src1_sel:BYTE_0
	v_add_u32_e32 v1, v22, v1
	v_sub_u32_e32 v36, v36, v30
	v_and_b32_e32 v73, 1, v28
	v_sub_u32_e32 v72, v1, v36
	v_cmp_eq_u32_e32 vcc, 1, v73
	v_lshrrev_b32_e32 v37, 8, v28
	v_add_u32_sdwa v65, v64, v28 dst_sel:DWORD dst_unused:UNUSED_PAD src0_sel:DWORD src1_sel:BYTE_1
	v_cndmask_b32_e32 v36, v72, v36, vcc
	v_lshlrev_b32_e32 v36, 1, v36
	ds_write_b16 v36, v10
	v_sub_u32_e32 v36, v64, v30
	v_sub_u32_e32 v64, v1, v36
	v_and_b32_e32 v37, 1, v37
	v_add_u32_e32 v64, 1, v64
	v_cmp_eq_u32_e32 vcc, 1, v37
	v_mov_b32_e32 v37, 1
	v_and_b32_sdwa v28, v37, v28 dst_sel:DWORD dst_unused:UNUSED_PAD src0_sel:DWORD src1_sel:WORD_1
	v_cndmask_b32_e32 v36, v64, v36, vcc
	v_lshlrev_b32_e32 v36, 1, v36
	ds_write_b16_d16_hi v36, v10
	v_sub_u32_e32 v10, v65, v30
	v_sub_u32_e32 v36, v1, v10
	v_add_u32_e32 v36, 2, v36
	v_cmp_eq_u32_e32 vcc, 1, v28
	v_add_u32_e32 v63, v65, v63
	v_add_u32_e32 v66, v63, v45
	v_cndmask_b32_e32 v10, v36, v10, vcc
	v_lshlrev_b32_e32 v10, 1, v10
	ds_write_b16 v10, v11
	v_sub_u32_e32 v10, v63, v30
	v_sub_u32_e32 v28, v1, v10
	v_and_b32_e32 v36, 1, v45
	v_add_u32_e32 v28, 3, v28
	v_cmp_eq_u32_e32 vcc, 1, v36
	v_add_u32_e32 v60, v66, v60
	v_lshrrev_b32_e32 v35, 8, v29
	v_cndmask_b32_e32 v10, v28, v10, vcc
	v_lshlrev_b32_e32 v10, 1, v10
	ds_write_b16_d16_hi v10, v11
	v_sub_u32_e32 v10, v66, v30
	v_sub_u32_e32 v11, v1, v10
	v_and_b32_e32 v28, 1, v29
	v_add_u32_e32 v11, 4, v11
	v_cmp_eq_u32_e32 vcc, 1, v28
	v_and_b32_e32 v28, 1, v35
	v_add_u32_e32 v61, v60, v61
	v_cndmask_b32_e32 v10, v11, v10, vcc
	v_lshlrev_b32_e32 v10, 1, v10
	ds_write_b16 v10, v12
	v_sub_u32_e32 v10, v60, v30
	v_sub_u32_e32 v11, v1, v10
	v_add_u32_e32 v11, 5, v11
	v_cmp_eq_u32_e32 vcc, 1, v28
	v_add_u32_e32 v62, v61, v62
	v_add_u32_e32 v67, v62, v44
	v_cndmask_b32_e32 v10, v11, v10, vcc
	v_lshlrev_b32_e32 v10, 1, v10
	ds_write_b16_d16_hi v10, v12
	v_sub_u32_e32 v10, v61, v30
	v_sub_u32_e32 v11, v1, v10
	v_and_b32_sdwa v12, v37, v29 dst_sel:DWORD dst_unused:UNUSED_PAD src0_sel:DWORD src1_sel:WORD_1
	v_add_u32_e32 v11, 6, v11
	v_cmp_eq_u32_e32 vcc, 1, v12
	v_and_b32_e32 v12, 1, v44
	v_add_u32_e32 v57, v67, v57
	v_cndmask_b32_e32 v10, v11, v10, vcc
	v_lshlrev_b32_e32 v10, 1, v10
	ds_write_b16 v10, v13
	v_sub_u32_e32 v10, v62, v30
	v_sub_u32_e32 v11, v1, v10
	v_add_u32_e32 v11, 7, v11
	v_cmp_eq_u32_e32 vcc, 1, v12
	v_and_b32_e32 v12, 1, v26
	v_lshrrev_b32_e32 v34, 8, v26
	v_cndmask_b32_e32 v10, v11, v10, vcc
	v_lshlrev_b32_e32 v10, 1, v10
	ds_write_b16_d16_hi v10, v13
	v_sub_u32_e32 v10, v67, v30
	v_sub_u32_e32 v11, v1, v10
	v_add_u32_e32 v11, 8, v11
	v_cmp_eq_u32_e32 vcc, 1, v12
	v_and_b32_e32 v12, 1, v34
	v_add_u32_e32 v58, v57, v58
	v_cndmask_b32_e32 v10, v11, v10, vcc
	v_lshlrev_b32_e32 v10, 1, v10
	ds_write_b16 v10, v6
	v_sub_u32_e32 v10, v57, v30
	v_sub_u32_e32 v11, v1, v10
	v_add_u32_e32 v11, 9, v11
	v_cmp_eq_u32_e32 vcc, 1, v12
	v_add_u32_e32 v59, v58, v59
	v_add_u32_e32 v68, v59, v43
	v_cndmask_b32_e32 v10, v11, v10, vcc
	v_lshlrev_b32_e32 v10, 1, v10
	ds_write_b16_d16_hi v10, v6
	v_sub_u32_e32 v6, v58, v30
	v_sub_u32_e32 v10, v1, v6
	v_and_b32_sdwa v11, v37, v26 dst_sel:DWORD dst_unused:UNUSED_PAD src0_sel:DWORD src1_sel:WORD_1
	v_add_u32_e32 v10, 10, v10
	v_cmp_eq_u32_e32 vcc, 1, v11
	v_and_b32_e32 v11, 1, v43
	v_add_u32_e32 v54, v68, v54
	v_cndmask_b32_e32 v6, v10, v6, vcc
	v_lshlrev_b32_e32 v6, 1, v6
	ds_write_b16 v6, v7
	v_sub_u32_e32 v6, v59, v30
	v_sub_u32_e32 v10, v1, v6
	v_add_u32_e32 v10, 11, v10
	v_cmp_eq_u32_e32 vcc, 1, v11
	v_lshrrev_b32_e32 v33, 8, v27
	v_add_u32_e32 v55, v54, v55
	v_cndmask_b32_e32 v6, v10, v6, vcc
	v_lshlrev_b32_e32 v6, 1, v6
	ds_write_b16_d16_hi v6, v7
	v_sub_u32_e32 v6, v68, v30
	v_sub_u32_e32 v7, v1, v6
	v_and_b32_e32 v10, 1, v27
	v_add_u32_e32 v7, 12, v7
	v_cmp_eq_u32_e32 vcc, 1, v10
	v_and_b32_e32 v10, 1, v33
	v_add_u32_e32 v56, v55, v56
	v_cndmask_b32_e32 v6, v7, v6, vcc
	v_lshlrev_b32_e32 v6, 1, v6
	ds_write_b16 v6, v8
	v_sub_u32_e32 v6, v54, v30
	v_sub_u32_e32 v7, v1, v6
	v_add_u32_e32 v7, 13, v7
	v_cmp_eq_u32_e32 vcc, 1, v10
	v_add_u32_e32 v69, v56, v42
	v_add_u32_e32 v51, v69, v51
	v_cndmask_b32_e32 v6, v7, v6, vcc
	v_lshlrev_b32_e32 v6, 1, v6
	ds_write_b16_d16_hi v6, v8
	v_sub_u32_e32 v6, v55, v30
	v_sub_u32_e32 v7, v1, v6
	v_and_b32_sdwa v8, v37, v27 dst_sel:DWORD dst_unused:UNUSED_PAD src0_sel:DWORD src1_sel:WORD_1
	v_add_u32_e32 v7, 14, v7
	v_cmp_eq_u32_e32 vcc, 1, v8
	v_and_b32_e32 v8, 1, v42
	v_lshrrev_b32_e32 v32, 8, v24
	v_cndmask_b32_e32 v6, v7, v6, vcc
	v_lshlrev_b32_e32 v6, 1, v6
	ds_write_b16 v6, v9
	v_sub_u32_e32 v6, v56, v30
	v_sub_u32_e32 v7, v1, v6
	v_add_u32_e32 v7, 15, v7
	v_cmp_eq_u32_e32 vcc, 1, v8
	v_and_b32_e32 v8, 1, v24
	v_add_u32_e32 v52, v51, v52
	v_cndmask_b32_e32 v6, v7, v6, vcc
	v_lshlrev_b32_e32 v6, 1, v6
	ds_write_b16_d16_hi v6, v9
	v_sub_u32_e32 v6, v69, v30
	v_sub_u32_e32 v7, v1, v6
	v_add_u32_e32 v7, 16, v7
	v_cmp_eq_u32_e32 vcc, 1, v8
	v_and_b32_e32 v8, 1, v32
	v_add_u32_e32 v53, v52, v53
	v_cndmask_b32_e32 v6, v7, v6, vcc
	v_lshlrev_b32_e32 v6, 1, v6
	ds_write_b16 v6, v2
	v_sub_u32_e32 v6, v51, v30
	v_sub_u32_e32 v7, v1, v6
	v_add_u32_e32 v7, 17, v7
	v_cmp_eq_u32_e32 vcc, 1, v8
	v_add_u32_e32 v70, v53, v41
	v_add_u32_e32 v48, v70, v48
	v_cndmask_b32_e32 v6, v7, v6, vcc
	v_lshlrev_b32_e32 v6, 1, v6
	ds_write_b16_d16_hi v6, v2
	v_sub_u32_e32 v2, v52, v30
	v_sub_u32_e32 v6, v1, v2
	v_and_b32_sdwa v7, v37, v24 dst_sel:DWORD dst_unused:UNUSED_PAD src0_sel:DWORD src1_sel:WORD_1
	v_add_u32_e32 v6, 18, v6
	v_cmp_eq_u32_e32 vcc, 1, v7
	v_and_b32_e32 v7, 1, v41
	v_lshrrev_b32_e32 v31, 8, v25
	v_cndmask_b32_e32 v2, v6, v2, vcc
	v_lshlrev_b32_e32 v2, 1, v2
	ds_write_b16 v2, v3
	v_sub_u32_e32 v2, v53, v30
	v_sub_u32_e32 v6, v1, v2
	v_add_u32_e32 v6, 19, v6
	v_cmp_eq_u32_e32 vcc, 1, v7
	v_add_u32_e32 v49, v48, v49
	v_add_u32_e32 v50, v49, v50
	v_cndmask_b32_e32 v2, v6, v2, vcc
	v_lshlrev_b32_e32 v2, 1, v2
	ds_write_b16_d16_hi v2, v3
	v_sub_u32_e32 v2, v70, v30
	v_sub_u32_e32 v3, v1, v2
	v_and_b32_e32 v6, 1, v25
	v_add_u32_e32 v3, 20, v3
	v_cmp_eq_u32_e32 vcc, 1, v6
	v_and_b32_e32 v6, 1, v31
	v_add_u32_e32 v71, v50, v40
	v_cndmask_b32_e32 v2, v3, v2, vcc
	v_lshlrev_b32_e32 v2, 1, v2
	ds_write_b16 v2, v4
	v_sub_u32_e32 v2, v48, v30
	v_sub_u32_e32 v3, v1, v2
	v_add_u32_e32 v3, 21, v3
	v_cmp_eq_u32_e32 vcc, 1, v6
	v_add_u32_e32 v46, v71, v46
	v_lshrrev_b32_e32 v23, 8, v38
	v_cndmask_b32_e32 v2, v3, v2, vcc
	v_lshlrev_b32_e32 v2, 1, v2
	ds_write_b16_d16_hi v2, v4
	v_sub_u32_e32 v2, v49, v30
	v_sub_u32_e32 v3, v1, v2
	v_and_b32_sdwa v4, v37, v25 dst_sel:DWORD dst_unused:UNUSED_PAD src0_sel:DWORD src1_sel:WORD_1
	v_add_u32_e32 v3, 22, v3
	v_cmp_eq_u32_e32 vcc, 1, v4
	v_and_b32_e32 v4, 1, v40
	v_add_u32_e32 v47, v46, v47
	v_cndmask_b32_e32 v2, v3, v2, vcc
	v_lshlrev_b32_e32 v2, 1, v2
	ds_write_b16 v2, v5
	v_sub_u32_e32 v2, v50, v30
	v_sub_u32_e32 v3, v1, v2
	v_add_u32_e32 v3, 23, v3
	v_cmp_eq_u32_e32 vcc, 1, v4
	v_and_b32_e32 v4, 1, v38
	v_mov_b32_e32 v31, 0
	v_cndmask_b32_e32 v2, v3, v2, vcc
	v_lshlrev_b32_e32 v2, 1, v2
	ds_write_b16_d16_hi v2, v5
	v_sub_u32_e32 v2, v71, v30
	v_sub_u32_e32 v3, v1, v2
	v_add_u32_e32 v3, 24, v3
	v_cmp_eq_u32_e32 vcc, 1, v4
	v_and_b32_e32 v4, 1, v23
	v_mov_b32_e32 v23, v31
	v_cndmask_b32_e32 v2, v3, v2, vcc
	v_lshlrev_b32_e32 v2, 1, v2
	ds_write_b16 v2, v20
	v_sub_u32_e32 v2, v46, v30
	v_sub_u32_e32 v3, v1, v2
	v_add_u32_e32 v3, 25, v3
	v_cmp_eq_u32_e32 vcc, 1, v4
	v_and_b32_sdwa v4, v37, v38 dst_sel:DWORD dst_unused:UNUSED_PAD src0_sel:DWORD src1_sel:WORD_1
	v_mov_b32_e32 v5, s27
	v_cndmask_b32_e32 v2, v3, v2, vcc
	v_lshlrev_b32_e32 v2, 1, v2
	ds_write_b16_d16_hi v2, v20
	v_sub_u32_e32 v2, v47, v30
	v_sub_u32_e32 v3, v1, v2
	v_add_u32_e32 v3, 26, v3
	v_cmp_eq_u32_e32 vcc, 1, v4
	v_or_b32_e32 v66, 0x200, v0
	v_or_b32_e32 v64, 0x400, v0
	v_cndmask_b32_e32 v2, v3, v2, vcc
	v_lshlrev_b32_e32 v2, 1, v2
	ds_write_b16 v2, v21
	v_sub_u32_e32 v2, v39, v30
	v_add_u32_e32 v2, v47, v2
	v_sub_u32_e32 v1, v1, v2
	v_and_b32_e32 v3, 1, v15
	v_add_u32_e32 v1, 27, v1
	v_cmp_eq_u32_e32 vcc, 1, v3
	v_or_b32_e32 v62, 0x600, v0
	v_or_b32_e32 v60, 0x800, v0
	v_cndmask_b32_e32 v1, v1, v2, vcc
	v_lshlrev_b32_e32 v1, 1, v1
	ds_write_b16_d16_hi v1, v21
	s_waitcnt lgkmcnt(0)
	s_barrier
	ds_read_u16 v68, v14
	ds_read_u16 v67, v14 offset:1024
	ds_read_u16 v65, v14 offset:2048
	;; [unrolled: 1-line block ×27, first 2 shown]
	s_waitcnt vmcnt(0)
	v_lshl_add_u64 v[2:3], v[16:17], 0, v[22:23]
	v_lshl_add_u64 v[2:3], v[2:3], 0, v[30:31]
	v_sub_co_u32_e32 v4, vcc, s26, v2
	v_or_b32_e32 v58, 0xa00, v0
	s_nop 0
	v_subb_co_u32_e32 v5, vcc, v5, v3, vcc
	v_lshlrev_b64 v[4:5], 1, v[4:5]
	v_lshl_add_u64 v[4:5], s[28:29], 0, v[4:5]
	v_or_b32_e32 v56, 0xc00, v0
	v_or_b32_e32 v53, 0xe00, v0
	;; [unrolled: 1-line block ×22, first 2 shown]
	v_lshl_add_u64 v[4:5], v[4:5], 0, v[18:19]
	s_andn2_b64 vcc, exec, s[24:25]
	v_cmp_ge_u32_e64 s[0:1], v0, v22
	s_cbranch_vccnz .LBB3140_195
; %bb.166:
	s_and_saveexec_b64 s[2:3], s[0:1]
	s_cbranch_execnz .LBB3140_256
; %bb.167:
	s_or_b64 exec, exec, s[2:3]
	v_cmp_ge_u32_e32 vcc, v66, v22
	s_and_saveexec_b64 s[0:1], vcc
	s_cbranch_execnz .LBB3140_257
.LBB3140_168:
	s_or_b64 exec, exec, s[0:1]
	v_cmp_ge_u32_e32 vcc, v64, v22
	s_and_saveexec_b64 s[0:1], vcc
	s_cbranch_execnz .LBB3140_258
.LBB3140_169:
	s_or_b64 exec, exec, s[0:1]
	v_cmp_ge_u32_e32 vcc, v62, v22
	s_and_saveexec_b64 s[0:1], vcc
	s_cbranch_execnz .LBB3140_259
.LBB3140_170:
	s_or_b64 exec, exec, s[0:1]
	v_cmp_ge_u32_e32 vcc, v60, v22
	s_and_saveexec_b64 s[0:1], vcc
	s_cbranch_execnz .LBB3140_260
.LBB3140_171:
	s_or_b64 exec, exec, s[0:1]
	v_cmp_ge_u32_e32 vcc, v58, v22
	s_and_saveexec_b64 s[0:1], vcc
	s_cbranch_execnz .LBB3140_261
.LBB3140_172:
	s_or_b64 exec, exec, s[0:1]
	v_cmp_ge_u32_e32 vcc, v56, v22
	s_and_saveexec_b64 s[0:1], vcc
	s_cbranch_execnz .LBB3140_262
.LBB3140_173:
	s_or_b64 exec, exec, s[0:1]
	v_cmp_ge_u32_e32 vcc, v53, v22
	s_and_saveexec_b64 s[0:1], vcc
	s_cbranch_execnz .LBB3140_263
.LBB3140_174:
	s_or_b64 exec, exec, s[0:1]
	v_cmp_ge_u32_e32 vcc, v52, v22
	s_and_saveexec_b64 s[0:1], vcc
	s_cbranch_execnz .LBB3140_264
.LBB3140_175:
	s_or_b64 exec, exec, s[0:1]
	v_cmp_ge_u32_e32 vcc, v50, v22
	s_and_saveexec_b64 s[0:1], vcc
	s_cbranch_execnz .LBB3140_265
.LBB3140_176:
	s_or_b64 exec, exec, s[0:1]
	v_cmp_ge_u32_e32 vcc, v48, v22
	s_and_saveexec_b64 s[0:1], vcc
	s_cbranch_execnz .LBB3140_266
.LBB3140_177:
	s_or_b64 exec, exec, s[0:1]
	v_cmp_ge_u32_e32 vcc, v46, v22
	s_and_saveexec_b64 s[0:1], vcc
	s_cbranch_execnz .LBB3140_267
.LBB3140_178:
	s_or_b64 exec, exec, s[0:1]
	v_cmp_ge_u32_e32 vcc, v44, v22
	s_and_saveexec_b64 s[0:1], vcc
	s_cbranch_execnz .LBB3140_268
.LBB3140_179:
	s_or_b64 exec, exec, s[0:1]
	v_cmp_ge_u32_e32 vcc, v42, v22
	s_and_saveexec_b64 s[0:1], vcc
	s_cbranch_execnz .LBB3140_269
.LBB3140_180:
	s_or_b64 exec, exec, s[0:1]
	v_cmp_ge_u32_e32 vcc, v40, v22
	s_and_saveexec_b64 s[0:1], vcc
	s_cbranch_execnz .LBB3140_270
.LBB3140_181:
	s_or_b64 exec, exec, s[0:1]
	v_cmp_ge_u32_e32 vcc, v37, v22
	s_and_saveexec_b64 s[0:1], vcc
	s_cbranch_execnz .LBB3140_271
.LBB3140_182:
	s_or_b64 exec, exec, s[0:1]
	v_cmp_ge_u32_e32 vcc, v36, v22
	s_and_saveexec_b64 s[0:1], vcc
	s_cbranch_execnz .LBB3140_272
.LBB3140_183:
	s_or_b64 exec, exec, s[0:1]
	v_cmp_ge_u32_e32 vcc, v34, v22
	s_and_saveexec_b64 s[0:1], vcc
	s_cbranch_execnz .LBB3140_273
.LBB3140_184:
	s_or_b64 exec, exec, s[0:1]
	v_cmp_ge_u32_e32 vcc, v32, v22
	s_and_saveexec_b64 s[0:1], vcc
	s_cbranch_execnz .LBB3140_274
.LBB3140_185:
	s_or_b64 exec, exec, s[0:1]
	v_cmp_ge_u32_e32 vcc, v28, v22
	s_and_saveexec_b64 s[0:1], vcc
	s_cbranch_execnz .LBB3140_275
.LBB3140_186:
	s_or_b64 exec, exec, s[0:1]
	v_cmp_ge_u32_e32 vcc, v26, v22
	s_and_saveexec_b64 s[0:1], vcc
	s_cbranch_execnz .LBB3140_276
.LBB3140_187:
	s_or_b64 exec, exec, s[0:1]
	v_cmp_ge_u32_e32 vcc, v24, v22
	s_and_saveexec_b64 s[0:1], vcc
	s_cbranch_execnz .LBB3140_277
.LBB3140_188:
	s_or_b64 exec, exec, s[0:1]
	v_cmp_ge_u32_e32 vcc, v20, v22
	s_and_saveexec_b64 s[0:1], vcc
	s_cbranch_execnz .LBB3140_278
.LBB3140_189:
	s_or_b64 exec, exec, s[0:1]
	v_cmp_ge_u32_e32 vcc, v13, v22
	s_and_saveexec_b64 s[0:1], vcc
	s_cbranch_execnz .LBB3140_279
.LBB3140_190:
	s_or_b64 exec, exec, s[0:1]
	v_cmp_ge_u32_e32 vcc, v11, v22
	s_and_saveexec_b64 s[0:1], vcc
	s_cbranch_execnz .LBB3140_280
.LBB3140_191:
	s_or_b64 exec, exec, s[0:1]
	v_cmp_ge_u32_e32 vcc, v9, v22
	s_and_saveexec_b64 s[0:1], vcc
	s_cbranch_execnz .LBB3140_281
.LBB3140_192:
	s_or_b64 exec, exec, s[0:1]
	v_cmp_ge_u32_e32 vcc, v8, v22
	s_and_saveexec_b64 s[0:1], vcc
	s_cbranch_execz .LBB3140_194
.LBB3140_193:
	v_lshlrev_b32_e32 v16, 1, v8
	v_readfirstlane_b32 s2, v4
	v_readfirstlane_b32 s3, v5
	s_waitcnt lgkmcnt(1)
	s_nop 3
	global_store_short v16, v7, s[2:3]
.LBB3140_194:
	s_or_b64 exec, exec, s[0:1]
	v_cmp_ge_u32_e64 s[0:1], v6, v22
	s_branch .LBB3140_251
.LBB3140_195:
	s_mov_b64 s[0:1], 0
	s_cbranch_execz .LBB3140_251
; %bb.196:
	v_cmp_gt_u32_e32 vcc, s33, v0
	v_cmp_ge_u32_e64 s[0:1], v0, v22
	s_and_b64 s[2:3], vcc, s[0:1]
	s_and_saveexec_b64 s[0:1], s[2:3]
	s_cbranch_execz .LBB3140_198
; %bb.197:
	v_readfirstlane_b32 s2, v4
	v_readfirstlane_b32 s3, v5
	s_waitcnt lgkmcnt(14)
	s_nop 3
	global_store_short v14, v68, s[2:3]
.LBB3140_198:
	s_or_b64 exec, exec, s[0:1]
	v_cmp_gt_u32_e32 vcc, s33, v66
	v_cmp_ge_u32_e64 s[0:1], v66, v22
	s_and_b64 s[2:3], vcc, s[0:1]
	s_and_saveexec_b64 s[0:1], s[2:3]
	s_cbranch_execz .LBB3140_200
; %bb.199:
	v_readfirstlane_b32 s2, v4
	v_readfirstlane_b32 s3, v5
	s_waitcnt lgkmcnt(14)
	s_nop 3
	global_store_short v14, v67, s[2:3] offset:1024
.LBB3140_200:
	s_or_b64 exec, exec, s[0:1]
	v_cmp_gt_u32_e32 vcc, s33, v64
	v_cmp_ge_u32_e64 s[0:1], v64, v22
	s_and_b64 s[2:3], vcc, s[0:1]
	s_and_saveexec_b64 s[0:1], s[2:3]
	s_cbranch_execz .LBB3140_202
; %bb.201:
	v_readfirstlane_b32 s2, v4
	v_readfirstlane_b32 s3, v5
	s_waitcnt lgkmcnt(14)
	s_nop 3
	global_store_short v14, v65, s[2:3] offset:2048
.LBB3140_202:
	;; [unrolled: 13-line block ×3, first 2 shown]
	s_or_b64 exec, exec, s[0:1]
	v_cmp_gt_u32_e32 vcc, s33, v60
	v_cmp_ge_u32_e64 s[0:1], v60, v22
	s_and_b64 s[2:3], vcc, s[0:1]
	s_and_saveexec_b64 s[0:1], s[2:3]
	s_cbranch_execz .LBB3140_206
; %bb.205:
	v_lshlrev_b32_e32 v0, 1, v60
	v_readfirstlane_b32 s2, v4
	v_readfirstlane_b32 s3, v5
	s_waitcnt lgkmcnt(14)
	s_nop 3
	global_store_short v0, v61, s[2:3]
.LBB3140_206:
	s_or_b64 exec, exec, s[0:1]
	v_cmp_gt_u32_e32 vcc, s33, v58
	v_cmp_ge_u32_e64 s[0:1], v58, v22
	s_and_b64 s[2:3], vcc, s[0:1]
	s_and_saveexec_b64 s[0:1], s[2:3]
	s_cbranch_execz .LBB3140_208
; %bb.207:
	v_lshlrev_b32_e32 v0, 1, v58
	v_readfirstlane_b32 s2, v4
	v_readfirstlane_b32 s3, v5
	s_waitcnt lgkmcnt(14)
	s_nop 3
	global_store_short v0, v59, s[2:3]
.LBB3140_208:
	;; [unrolled: 14-line block ×23, first 2 shown]
	s_or_b64 exec, exec, s[0:1]
	v_cmp_gt_u32_e32 vcc, s33, v6
	v_cmp_ge_u32_e64 s[0:1], v6, v22
	s_and_b64 s[0:1], vcc, s[0:1]
.LBB3140_251:
	s_and_saveexec_b64 s[2:3], s[0:1]
	s_cbranch_execnz .LBB3140_254
; %bb.252:
	s_or_b64 exec, exec, s[2:3]
	s_and_b64 s[0:1], s[18:19], s[22:23]
	s_and_saveexec_b64 s[2:3], s[0:1]
	s_cbranch_execnz .LBB3140_255
.LBB3140_253:
	s_endpgm
.LBB3140_254:
	v_lshlrev_b32_e32 v0, 1, v6
	v_readfirstlane_b32 s0, v4
	v_readfirstlane_b32 s1, v5
	s_waitcnt lgkmcnt(0)
	s_nop 3
	global_store_short v0, v1, s[0:1]
	s_or_b64 exec, exec, s[2:3]
	s_and_b64 s[0:1], s[18:19], s[22:23]
	s_and_saveexec_b64 s[2:3], s[0:1]
	s_cbranch_execz .LBB3140_253
.LBB3140_255:
	v_mov_b32_e32 v0, 0
	global_store_dwordx2 v0, v[2:3], s[20:21]
	s_endpgm
.LBB3140_256:
	v_readfirstlane_b32 s0, v4
	v_readfirstlane_b32 s1, v5
	s_waitcnt lgkmcnt(14)
	s_nop 3
	global_store_short v14, v68, s[0:1]
	s_or_b64 exec, exec, s[2:3]
	v_cmp_ge_u32_e32 vcc, v66, v22
	s_and_saveexec_b64 s[0:1], vcc
	s_cbranch_execz .LBB3140_168
.LBB3140_257:
	v_readfirstlane_b32 s2, v4
	v_readfirstlane_b32 s3, v5
	s_waitcnt lgkmcnt(14)
	s_nop 3
	global_store_short v14, v67, s[2:3] offset:1024
	s_or_b64 exec, exec, s[0:1]
	v_cmp_ge_u32_e32 vcc, v64, v22
	s_and_saveexec_b64 s[0:1], vcc
	s_cbranch_execz .LBB3140_169
.LBB3140_258:
	v_readfirstlane_b32 s2, v4
	v_readfirstlane_b32 s3, v5
	s_waitcnt lgkmcnt(14)
	s_nop 3
	global_store_short v14, v65, s[2:3] offset:2048
	s_or_b64 exec, exec, s[0:1]
	v_cmp_ge_u32_e32 vcc, v62, v22
	s_and_saveexec_b64 s[0:1], vcc
	s_cbranch_execz .LBB3140_170
.LBB3140_259:
	v_readfirstlane_b32 s2, v4
	v_readfirstlane_b32 s3, v5
	s_waitcnt lgkmcnt(14)
	s_nop 3
	global_store_short v14, v63, s[2:3] offset:3072
	s_or_b64 exec, exec, s[0:1]
	v_cmp_ge_u32_e32 vcc, v60, v22
	s_and_saveexec_b64 s[0:1], vcc
	s_cbranch_execz .LBB3140_171
.LBB3140_260:
	v_lshlrev_b32_e32 v16, 1, v60
	v_readfirstlane_b32 s2, v4
	v_readfirstlane_b32 s3, v5
	s_waitcnt lgkmcnt(14)
	s_nop 3
	global_store_short v16, v61, s[2:3]
	s_or_b64 exec, exec, s[0:1]
	v_cmp_ge_u32_e32 vcc, v58, v22
	s_and_saveexec_b64 s[0:1], vcc
	s_cbranch_execz .LBB3140_172
.LBB3140_261:
	v_lshlrev_b32_e32 v16, 1, v58
	v_readfirstlane_b32 s2, v4
	v_readfirstlane_b32 s3, v5
	s_waitcnt lgkmcnt(14)
	s_nop 3
	global_store_short v16, v59, s[2:3]
	s_or_b64 exec, exec, s[0:1]
	v_cmp_ge_u32_e32 vcc, v56, v22
	s_and_saveexec_b64 s[0:1], vcc
	s_cbranch_execz .LBB3140_173
.LBB3140_262:
	v_lshlrev_b32_e32 v16, 1, v56
	v_readfirstlane_b32 s2, v4
	v_readfirstlane_b32 s3, v5
	s_waitcnt lgkmcnt(14)
	s_nop 3
	global_store_short v16, v57, s[2:3]
	s_or_b64 exec, exec, s[0:1]
	v_cmp_ge_u32_e32 vcc, v53, v22
	s_and_saveexec_b64 s[0:1], vcc
	s_cbranch_execz .LBB3140_174
.LBB3140_263:
	v_lshlrev_b32_e32 v16, 1, v53
	v_readfirstlane_b32 s2, v4
	v_readfirstlane_b32 s3, v5
	s_waitcnt lgkmcnt(14)
	s_nop 3
	global_store_short v16, v55, s[2:3]
	s_or_b64 exec, exec, s[0:1]
	v_cmp_ge_u32_e32 vcc, v52, v22
	s_and_saveexec_b64 s[0:1], vcc
	s_cbranch_execz .LBB3140_175
.LBB3140_264:
	v_lshlrev_b32_e32 v16, 1, v52
	v_readfirstlane_b32 s2, v4
	v_readfirstlane_b32 s3, v5
	s_waitcnt lgkmcnt(14)
	s_nop 3
	global_store_short v16, v54, s[2:3]
	s_or_b64 exec, exec, s[0:1]
	v_cmp_ge_u32_e32 vcc, v50, v22
	s_and_saveexec_b64 s[0:1], vcc
	s_cbranch_execz .LBB3140_176
.LBB3140_265:
	v_lshlrev_b32_e32 v16, 1, v50
	v_readfirstlane_b32 s2, v4
	v_readfirstlane_b32 s3, v5
	s_waitcnt lgkmcnt(14)
	s_nop 3
	global_store_short v16, v51, s[2:3]
	s_or_b64 exec, exec, s[0:1]
	v_cmp_ge_u32_e32 vcc, v48, v22
	s_and_saveexec_b64 s[0:1], vcc
	s_cbranch_execz .LBB3140_177
.LBB3140_266:
	v_lshlrev_b32_e32 v16, 1, v48
	v_readfirstlane_b32 s2, v4
	v_readfirstlane_b32 s3, v5
	s_waitcnt lgkmcnt(14)
	s_nop 3
	global_store_short v16, v49, s[2:3]
	s_or_b64 exec, exec, s[0:1]
	v_cmp_ge_u32_e32 vcc, v46, v22
	s_and_saveexec_b64 s[0:1], vcc
	s_cbranch_execz .LBB3140_178
.LBB3140_267:
	v_lshlrev_b32_e32 v16, 1, v46
	v_readfirstlane_b32 s2, v4
	v_readfirstlane_b32 s3, v5
	s_waitcnt lgkmcnt(14)
	s_nop 3
	global_store_short v16, v47, s[2:3]
	s_or_b64 exec, exec, s[0:1]
	v_cmp_ge_u32_e32 vcc, v44, v22
	s_and_saveexec_b64 s[0:1], vcc
	s_cbranch_execz .LBB3140_179
.LBB3140_268:
	v_lshlrev_b32_e32 v16, 1, v44
	v_readfirstlane_b32 s2, v4
	v_readfirstlane_b32 s3, v5
	s_waitcnt lgkmcnt(14)
	s_nop 3
	global_store_short v16, v45, s[2:3]
	s_or_b64 exec, exec, s[0:1]
	v_cmp_ge_u32_e32 vcc, v42, v22
	s_and_saveexec_b64 s[0:1], vcc
	s_cbranch_execz .LBB3140_180
.LBB3140_269:
	v_lshlrev_b32_e32 v16, 1, v42
	v_readfirstlane_b32 s2, v4
	v_readfirstlane_b32 s3, v5
	s_waitcnt lgkmcnt(14)
	s_nop 3
	global_store_short v16, v43, s[2:3]
	s_or_b64 exec, exec, s[0:1]
	v_cmp_ge_u32_e32 vcc, v40, v22
	s_and_saveexec_b64 s[0:1], vcc
	s_cbranch_execz .LBB3140_181
.LBB3140_270:
	v_lshlrev_b32_e32 v16, 1, v40
	v_readfirstlane_b32 s2, v4
	v_readfirstlane_b32 s3, v5
	s_waitcnt lgkmcnt(13)
	s_nop 3
	global_store_short v16, v41, s[2:3]
	s_or_b64 exec, exec, s[0:1]
	v_cmp_ge_u32_e32 vcc, v37, v22
	s_and_saveexec_b64 s[0:1], vcc
	s_cbranch_execz .LBB3140_182
.LBB3140_271:
	v_lshlrev_b32_e32 v16, 1, v37
	v_readfirstlane_b32 s2, v4
	v_readfirstlane_b32 s3, v5
	s_waitcnt lgkmcnt(12)
	s_nop 3
	global_store_short v16, v39, s[2:3]
	s_or_b64 exec, exec, s[0:1]
	v_cmp_ge_u32_e32 vcc, v36, v22
	s_and_saveexec_b64 s[0:1], vcc
	s_cbranch_execz .LBB3140_183
.LBB3140_272:
	v_lshlrev_b32_e32 v16, 1, v36
	v_readfirstlane_b32 s2, v4
	v_readfirstlane_b32 s3, v5
	s_waitcnt lgkmcnt(11)
	s_nop 3
	global_store_short v16, v38, s[2:3]
	s_or_b64 exec, exec, s[0:1]
	v_cmp_ge_u32_e32 vcc, v34, v22
	s_and_saveexec_b64 s[0:1], vcc
	s_cbranch_execz .LBB3140_184
.LBB3140_273:
	v_lshlrev_b32_e32 v16, 1, v34
	v_readfirstlane_b32 s2, v4
	v_readfirstlane_b32 s3, v5
	s_waitcnt lgkmcnt(10)
	s_nop 3
	global_store_short v16, v35, s[2:3]
	s_or_b64 exec, exec, s[0:1]
	v_cmp_ge_u32_e32 vcc, v32, v22
	s_and_saveexec_b64 s[0:1], vcc
	s_cbranch_execz .LBB3140_185
.LBB3140_274:
	v_lshlrev_b32_e32 v16, 1, v32
	v_readfirstlane_b32 s2, v4
	v_readfirstlane_b32 s3, v5
	s_waitcnt lgkmcnt(9)
	s_nop 3
	global_store_short v16, v33, s[2:3]
	s_or_b64 exec, exec, s[0:1]
	v_cmp_ge_u32_e32 vcc, v28, v22
	s_and_saveexec_b64 s[0:1], vcc
	s_cbranch_execz .LBB3140_186
.LBB3140_275:
	v_lshlrev_b32_e32 v16, 1, v28
	v_readfirstlane_b32 s2, v4
	v_readfirstlane_b32 s3, v5
	s_waitcnt lgkmcnt(8)
	s_nop 3
	global_store_short v16, v29, s[2:3]
	s_or_b64 exec, exec, s[0:1]
	v_cmp_ge_u32_e32 vcc, v26, v22
	s_and_saveexec_b64 s[0:1], vcc
	s_cbranch_execz .LBB3140_187
.LBB3140_276:
	v_lshlrev_b32_e32 v16, 1, v26
	v_readfirstlane_b32 s2, v4
	v_readfirstlane_b32 s3, v5
	s_waitcnt lgkmcnt(7)
	s_nop 3
	global_store_short v16, v27, s[2:3]
	s_or_b64 exec, exec, s[0:1]
	v_cmp_ge_u32_e32 vcc, v24, v22
	s_and_saveexec_b64 s[0:1], vcc
	s_cbranch_execz .LBB3140_188
.LBB3140_277:
	v_lshlrev_b32_e32 v16, 1, v24
	v_readfirstlane_b32 s2, v4
	v_readfirstlane_b32 s3, v5
	s_waitcnt lgkmcnt(6)
	s_nop 3
	global_store_short v16, v25, s[2:3]
	s_or_b64 exec, exec, s[0:1]
	v_cmp_ge_u32_e32 vcc, v20, v22
	s_and_saveexec_b64 s[0:1], vcc
	s_cbranch_execz .LBB3140_189
.LBB3140_278:
	v_lshlrev_b32_e32 v16, 1, v20
	v_readfirstlane_b32 s2, v4
	v_readfirstlane_b32 s3, v5
	s_waitcnt lgkmcnt(5)
	s_nop 3
	global_store_short v16, v21, s[2:3]
	s_or_b64 exec, exec, s[0:1]
	v_cmp_ge_u32_e32 vcc, v13, v22
	s_and_saveexec_b64 s[0:1], vcc
	s_cbranch_execz .LBB3140_190
.LBB3140_279:
	v_lshlrev_b32_e32 v16, 1, v13
	v_readfirstlane_b32 s2, v4
	v_readfirstlane_b32 s3, v5
	s_waitcnt lgkmcnt(4)
	s_nop 3
	global_store_short v16, v15, s[2:3]
	s_or_b64 exec, exec, s[0:1]
	v_cmp_ge_u32_e32 vcc, v11, v22
	s_and_saveexec_b64 s[0:1], vcc
	s_cbranch_execz .LBB3140_191
.LBB3140_280:
	v_lshlrev_b32_e32 v16, 1, v11
	v_readfirstlane_b32 s2, v4
	v_readfirstlane_b32 s3, v5
	s_waitcnt lgkmcnt(3)
	s_nop 3
	global_store_short v16, v12, s[2:3]
	s_or_b64 exec, exec, s[0:1]
	v_cmp_ge_u32_e32 vcc, v9, v22
	s_and_saveexec_b64 s[0:1], vcc
	s_cbranch_execz .LBB3140_192
.LBB3140_281:
	v_lshlrev_b32_e32 v16, 1, v9
	v_readfirstlane_b32 s2, v4
	v_readfirstlane_b32 s3, v5
	s_waitcnt lgkmcnt(2)
	s_nop 3
	global_store_short v16, v10, s[2:3]
	s_or_b64 exec, exec, s[0:1]
	v_cmp_ge_u32_e32 vcc, v8, v22
	s_and_saveexec_b64 s[0:1], vcc
	s_cbranch_execnz .LBB3140_193
	s_branch .LBB3140_194
	.section	.rodata,"a",@progbits
	.p2align	6, 0x0
	.amdhsa_kernel _ZN7rocprim17ROCPRIM_400000_NS6detail17trampoline_kernelINS0_14default_configENS1_25partition_config_selectorILNS1_17partition_subalgoE1EtNS0_10empty_typeEbEEZZNS1_14partition_implILS5_1ELb0ES3_jN6thrust23THRUST_200600_302600_NS6detail15normal_iteratorINSA_10device_ptrItEEEEPS6_NSA_18transform_iteratorI7is_evenItESF_NSA_11use_defaultESK_EENS0_5tupleIJNSA_16discard_iteratorISK_EESF_EEENSM_IJSG_SG_EEES6_PlJS6_EEE10hipError_tPvRmT3_T4_T5_T6_T7_T9_mT8_P12ihipStream_tbDpT10_ENKUlT_T0_E_clISt17integral_constantIbLb1EES1B_EEDaS16_S17_EUlS16_E_NS1_11comp_targetILNS1_3genE5ELNS1_11target_archE942ELNS1_3gpuE9ELNS1_3repE0EEENS1_30default_config_static_selectorELNS0_4arch9wavefront6targetE1EEEvT1_
		.amdhsa_group_segment_fixed_size 28680
		.amdhsa_private_segment_fixed_size 0
		.amdhsa_kernarg_size 152
		.amdhsa_user_sgpr_count 2
		.amdhsa_user_sgpr_dispatch_ptr 0
		.amdhsa_user_sgpr_queue_ptr 0
		.amdhsa_user_sgpr_kernarg_segment_ptr 1
		.amdhsa_user_sgpr_dispatch_id 0
		.amdhsa_user_sgpr_kernarg_preload_length 0
		.amdhsa_user_sgpr_kernarg_preload_offset 0
		.amdhsa_user_sgpr_private_segment_size 0
		.amdhsa_uses_dynamic_stack 0
		.amdhsa_enable_private_segment 0
		.amdhsa_system_sgpr_workgroup_id_x 1
		.amdhsa_system_sgpr_workgroup_id_y 0
		.amdhsa_system_sgpr_workgroup_id_z 0
		.amdhsa_system_sgpr_workgroup_info 0
		.amdhsa_system_vgpr_workitem_id 0
		.amdhsa_next_free_vgpr 83
		.amdhsa_next_free_sgpr 42
		.amdhsa_accum_offset 84
		.amdhsa_reserve_vcc 1
		.amdhsa_float_round_mode_32 0
		.amdhsa_float_round_mode_16_64 0
		.amdhsa_float_denorm_mode_32 3
		.amdhsa_float_denorm_mode_16_64 3
		.amdhsa_dx10_clamp 1
		.amdhsa_ieee_mode 1
		.amdhsa_fp16_overflow 0
		.amdhsa_tg_split 0
		.amdhsa_exception_fp_ieee_invalid_op 0
		.amdhsa_exception_fp_denorm_src 0
		.amdhsa_exception_fp_ieee_div_zero 0
		.amdhsa_exception_fp_ieee_overflow 0
		.amdhsa_exception_fp_ieee_underflow 0
		.amdhsa_exception_fp_ieee_inexact 0
		.amdhsa_exception_int_div_zero 0
	.end_amdhsa_kernel
	.section	.text._ZN7rocprim17ROCPRIM_400000_NS6detail17trampoline_kernelINS0_14default_configENS1_25partition_config_selectorILNS1_17partition_subalgoE1EtNS0_10empty_typeEbEEZZNS1_14partition_implILS5_1ELb0ES3_jN6thrust23THRUST_200600_302600_NS6detail15normal_iteratorINSA_10device_ptrItEEEEPS6_NSA_18transform_iteratorI7is_evenItESF_NSA_11use_defaultESK_EENS0_5tupleIJNSA_16discard_iteratorISK_EESF_EEENSM_IJSG_SG_EEES6_PlJS6_EEE10hipError_tPvRmT3_T4_T5_T6_T7_T9_mT8_P12ihipStream_tbDpT10_ENKUlT_T0_E_clISt17integral_constantIbLb1EES1B_EEDaS16_S17_EUlS16_E_NS1_11comp_targetILNS1_3genE5ELNS1_11target_archE942ELNS1_3gpuE9ELNS1_3repE0EEENS1_30default_config_static_selectorELNS0_4arch9wavefront6targetE1EEEvT1_,"axG",@progbits,_ZN7rocprim17ROCPRIM_400000_NS6detail17trampoline_kernelINS0_14default_configENS1_25partition_config_selectorILNS1_17partition_subalgoE1EtNS0_10empty_typeEbEEZZNS1_14partition_implILS5_1ELb0ES3_jN6thrust23THRUST_200600_302600_NS6detail15normal_iteratorINSA_10device_ptrItEEEEPS6_NSA_18transform_iteratorI7is_evenItESF_NSA_11use_defaultESK_EENS0_5tupleIJNSA_16discard_iteratorISK_EESF_EEENSM_IJSG_SG_EEES6_PlJS6_EEE10hipError_tPvRmT3_T4_T5_T6_T7_T9_mT8_P12ihipStream_tbDpT10_ENKUlT_T0_E_clISt17integral_constantIbLb1EES1B_EEDaS16_S17_EUlS16_E_NS1_11comp_targetILNS1_3genE5ELNS1_11target_archE942ELNS1_3gpuE9ELNS1_3repE0EEENS1_30default_config_static_selectorELNS0_4arch9wavefront6targetE1EEEvT1_,comdat
.Lfunc_end3140:
	.size	_ZN7rocprim17ROCPRIM_400000_NS6detail17trampoline_kernelINS0_14default_configENS1_25partition_config_selectorILNS1_17partition_subalgoE1EtNS0_10empty_typeEbEEZZNS1_14partition_implILS5_1ELb0ES3_jN6thrust23THRUST_200600_302600_NS6detail15normal_iteratorINSA_10device_ptrItEEEEPS6_NSA_18transform_iteratorI7is_evenItESF_NSA_11use_defaultESK_EENS0_5tupleIJNSA_16discard_iteratorISK_EESF_EEENSM_IJSG_SG_EEES6_PlJS6_EEE10hipError_tPvRmT3_T4_T5_T6_T7_T9_mT8_P12ihipStream_tbDpT10_ENKUlT_T0_E_clISt17integral_constantIbLb1EES1B_EEDaS16_S17_EUlS16_E_NS1_11comp_targetILNS1_3genE5ELNS1_11target_archE942ELNS1_3gpuE9ELNS1_3repE0EEENS1_30default_config_static_selectorELNS0_4arch9wavefront6targetE1EEEvT1_, .Lfunc_end3140-_ZN7rocprim17ROCPRIM_400000_NS6detail17trampoline_kernelINS0_14default_configENS1_25partition_config_selectorILNS1_17partition_subalgoE1EtNS0_10empty_typeEbEEZZNS1_14partition_implILS5_1ELb0ES3_jN6thrust23THRUST_200600_302600_NS6detail15normal_iteratorINSA_10device_ptrItEEEEPS6_NSA_18transform_iteratorI7is_evenItESF_NSA_11use_defaultESK_EENS0_5tupleIJNSA_16discard_iteratorISK_EESF_EEENSM_IJSG_SG_EEES6_PlJS6_EEE10hipError_tPvRmT3_T4_T5_T6_T7_T9_mT8_P12ihipStream_tbDpT10_ENKUlT_T0_E_clISt17integral_constantIbLb1EES1B_EEDaS16_S17_EUlS16_E_NS1_11comp_targetILNS1_3genE5ELNS1_11target_archE942ELNS1_3gpuE9ELNS1_3repE0EEENS1_30default_config_static_selectorELNS0_4arch9wavefront6targetE1EEEvT1_
                                        ; -- End function
	.section	.AMDGPU.csdata,"",@progbits
; Kernel info:
; codeLenInByte = 12788
; NumSgprs: 48
; NumVgprs: 83
; NumAgprs: 0
; TotalNumVgprs: 83
; ScratchSize: 0
; MemoryBound: 0
; FloatMode: 240
; IeeeMode: 1
; LDSByteSize: 28680 bytes/workgroup (compile time only)
; SGPRBlocks: 5
; VGPRBlocks: 10
; NumSGPRsForWavesPerEU: 48
; NumVGPRsForWavesPerEU: 83
; AccumOffset: 84
; Occupancy: 4
; WaveLimiterHint : 1
; COMPUTE_PGM_RSRC2:SCRATCH_EN: 0
; COMPUTE_PGM_RSRC2:USER_SGPR: 2
; COMPUTE_PGM_RSRC2:TRAP_HANDLER: 0
; COMPUTE_PGM_RSRC2:TGID_X_EN: 1
; COMPUTE_PGM_RSRC2:TGID_Y_EN: 0
; COMPUTE_PGM_RSRC2:TGID_Z_EN: 0
; COMPUTE_PGM_RSRC2:TIDIG_COMP_CNT: 0
; COMPUTE_PGM_RSRC3_GFX90A:ACCUM_OFFSET: 20
; COMPUTE_PGM_RSRC3_GFX90A:TG_SPLIT: 0
	.section	.text._ZN7rocprim17ROCPRIM_400000_NS6detail17trampoline_kernelINS0_14default_configENS1_25partition_config_selectorILNS1_17partition_subalgoE1EtNS0_10empty_typeEbEEZZNS1_14partition_implILS5_1ELb0ES3_jN6thrust23THRUST_200600_302600_NS6detail15normal_iteratorINSA_10device_ptrItEEEEPS6_NSA_18transform_iteratorI7is_evenItESF_NSA_11use_defaultESK_EENS0_5tupleIJNSA_16discard_iteratorISK_EESF_EEENSM_IJSG_SG_EEES6_PlJS6_EEE10hipError_tPvRmT3_T4_T5_T6_T7_T9_mT8_P12ihipStream_tbDpT10_ENKUlT_T0_E_clISt17integral_constantIbLb1EES1B_EEDaS16_S17_EUlS16_E_NS1_11comp_targetILNS1_3genE4ELNS1_11target_archE910ELNS1_3gpuE8ELNS1_3repE0EEENS1_30default_config_static_selectorELNS0_4arch9wavefront6targetE1EEEvT1_,"axG",@progbits,_ZN7rocprim17ROCPRIM_400000_NS6detail17trampoline_kernelINS0_14default_configENS1_25partition_config_selectorILNS1_17partition_subalgoE1EtNS0_10empty_typeEbEEZZNS1_14partition_implILS5_1ELb0ES3_jN6thrust23THRUST_200600_302600_NS6detail15normal_iteratorINSA_10device_ptrItEEEEPS6_NSA_18transform_iteratorI7is_evenItESF_NSA_11use_defaultESK_EENS0_5tupleIJNSA_16discard_iteratorISK_EESF_EEENSM_IJSG_SG_EEES6_PlJS6_EEE10hipError_tPvRmT3_T4_T5_T6_T7_T9_mT8_P12ihipStream_tbDpT10_ENKUlT_T0_E_clISt17integral_constantIbLb1EES1B_EEDaS16_S17_EUlS16_E_NS1_11comp_targetILNS1_3genE4ELNS1_11target_archE910ELNS1_3gpuE8ELNS1_3repE0EEENS1_30default_config_static_selectorELNS0_4arch9wavefront6targetE1EEEvT1_,comdat
	.protected	_ZN7rocprim17ROCPRIM_400000_NS6detail17trampoline_kernelINS0_14default_configENS1_25partition_config_selectorILNS1_17partition_subalgoE1EtNS0_10empty_typeEbEEZZNS1_14partition_implILS5_1ELb0ES3_jN6thrust23THRUST_200600_302600_NS6detail15normal_iteratorINSA_10device_ptrItEEEEPS6_NSA_18transform_iteratorI7is_evenItESF_NSA_11use_defaultESK_EENS0_5tupleIJNSA_16discard_iteratorISK_EESF_EEENSM_IJSG_SG_EEES6_PlJS6_EEE10hipError_tPvRmT3_T4_T5_T6_T7_T9_mT8_P12ihipStream_tbDpT10_ENKUlT_T0_E_clISt17integral_constantIbLb1EES1B_EEDaS16_S17_EUlS16_E_NS1_11comp_targetILNS1_3genE4ELNS1_11target_archE910ELNS1_3gpuE8ELNS1_3repE0EEENS1_30default_config_static_selectorELNS0_4arch9wavefront6targetE1EEEvT1_ ; -- Begin function _ZN7rocprim17ROCPRIM_400000_NS6detail17trampoline_kernelINS0_14default_configENS1_25partition_config_selectorILNS1_17partition_subalgoE1EtNS0_10empty_typeEbEEZZNS1_14partition_implILS5_1ELb0ES3_jN6thrust23THRUST_200600_302600_NS6detail15normal_iteratorINSA_10device_ptrItEEEEPS6_NSA_18transform_iteratorI7is_evenItESF_NSA_11use_defaultESK_EENS0_5tupleIJNSA_16discard_iteratorISK_EESF_EEENSM_IJSG_SG_EEES6_PlJS6_EEE10hipError_tPvRmT3_T4_T5_T6_T7_T9_mT8_P12ihipStream_tbDpT10_ENKUlT_T0_E_clISt17integral_constantIbLb1EES1B_EEDaS16_S17_EUlS16_E_NS1_11comp_targetILNS1_3genE4ELNS1_11target_archE910ELNS1_3gpuE8ELNS1_3repE0EEENS1_30default_config_static_selectorELNS0_4arch9wavefront6targetE1EEEvT1_
	.globl	_ZN7rocprim17ROCPRIM_400000_NS6detail17trampoline_kernelINS0_14default_configENS1_25partition_config_selectorILNS1_17partition_subalgoE1EtNS0_10empty_typeEbEEZZNS1_14partition_implILS5_1ELb0ES3_jN6thrust23THRUST_200600_302600_NS6detail15normal_iteratorINSA_10device_ptrItEEEEPS6_NSA_18transform_iteratorI7is_evenItESF_NSA_11use_defaultESK_EENS0_5tupleIJNSA_16discard_iteratorISK_EESF_EEENSM_IJSG_SG_EEES6_PlJS6_EEE10hipError_tPvRmT3_T4_T5_T6_T7_T9_mT8_P12ihipStream_tbDpT10_ENKUlT_T0_E_clISt17integral_constantIbLb1EES1B_EEDaS16_S17_EUlS16_E_NS1_11comp_targetILNS1_3genE4ELNS1_11target_archE910ELNS1_3gpuE8ELNS1_3repE0EEENS1_30default_config_static_selectorELNS0_4arch9wavefront6targetE1EEEvT1_
	.p2align	8
	.type	_ZN7rocprim17ROCPRIM_400000_NS6detail17trampoline_kernelINS0_14default_configENS1_25partition_config_selectorILNS1_17partition_subalgoE1EtNS0_10empty_typeEbEEZZNS1_14partition_implILS5_1ELb0ES3_jN6thrust23THRUST_200600_302600_NS6detail15normal_iteratorINSA_10device_ptrItEEEEPS6_NSA_18transform_iteratorI7is_evenItESF_NSA_11use_defaultESK_EENS0_5tupleIJNSA_16discard_iteratorISK_EESF_EEENSM_IJSG_SG_EEES6_PlJS6_EEE10hipError_tPvRmT3_T4_T5_T6_T7_T9_mT8_P12ihipStream_tbDpT10_ENKUlT_T0_E_clISt17integral_constantIbLb1EES1B_EEDaS16_S17_EUlS16_E_NS1_11comp_targetILNS1_3genE4ELNS1_11target_archE910ELNS1_3gpuE8ELNS1_3repE0EEENS1_30default_config_static_selectorELNS0_4arch9wavefront6targetE1EEEvT1_,@function
_ZN7rocprim17ROCPRIM_400000_NS6detail17trampoline_kernelINS0_14default_configENS1_25partition_config_selectorILNS1_17partition_subalgoE1EtNS0_10empty_typeEbEEZZNS1_14partition_implILS5_1ELb0ES3_jN6thrust23THRUST_200600_302600_NS6detail15normal_iteratorINSA_10device_ptrItEEEEPS6_NSA_18transform_iteratorI7is_evenItESF_NSA_11use_defaultESK_EENS0_5tupleIJNSA_16discard_iteratorISK_EESF_EEENSM_IJSG_SG_EEES6_PlJS6_EEE10hipError_tPvRmT3_T4_T5_T6_T7_T9_mT8_P12ihipStream_tbDpT10_ENKUlT_T0_E_clISt17integral_constantIbLb1EES1B_EEDaS16_S17_EUlS16_E_NS1_11comp_targetILNS1_3genE4ELNS1_11target_archE910ELNS1_3gpuE8ELNS1_3repE0EEENS1_30default_config_static_selectorELNS0_4arch9wavefront6targetE1EEEvT1_: ; @_ZN7rocprim17ROCPRIM_400000_NS6detail17trampoline_kernelINS0_14default_configENS1_25partition_config_selectorILNS1_17partition_subalgoE1EtNS0_10empty_typeEbEEZZNS1_14partition_implILS5_1ELb0ES3_jN6thrust23THRUST_200600_302600_NS6detail15normal_iteratorINSA_10device_ptrItEEEEPS6_NSA_18transform_iteratorI7is_evenItESF_NSA_11use_defaultESK_EENS0_5tupleIJNSA_16discard_iteratorISK_EESF_EEENSM_IJSG_SG_EEES6_PlJS6_EEE10hipError_tPvRmT3_T4_T5_T6_T7_T9_mT8_P12ihipStream_tbDpT10_ENKUlT_T0_E_clISt17integral_constantIbLb1EES1B_EEDaS16_S17_EUlS16_E_NS1_11comp_targetILNS1_3genE4ELNS1_11target_archE910ELNS1_3gpuE8ELNS1_3repE0EEENS1_30default_config_static_selectorELNS0_4arch9wavefront6targetE1EEEvT1_
; %bb.0:
	.section	.rodata,"a",@progbits
	.p2align	6, 0x0
	.amdhsa_kernel _ZN7rocprim17ROCPRIM_400000_NS6detail17trampoline_kernelINS0_14default_configENS1_25partition_config_selectorILNS1_17partition_subalgoE1EtNS0_10empty_typeEbEEZZNS1_14partition_implILS5_1ELb0ES3_jN6thrust23THRUST_200600_302600_NS6detail15normal_iteratorINSA_10device_ptrItEEEEPS6_NSA_18transform_iteratorI7is_evenItESF_NSA_11use_defaultESK_EENS0_5tupleIJNSA_16discard_iteratorISK_EESF_EEENSM_IJSG_SG_EEES6_PlJS6_EEE10hipError_tPvRmT3_T4_T5_T6_T7_T9_mT8_P12ihipStream_tbDpT10_ENKUlT_T0_E_clISt17integral_constantIbLb1EES1B_EEDaS16_S17_EUlS16_E_NS1_11comp_targetILNS1_3genE4ELNS1_11target_archE910ELNS1_3gpuE8ELNS1_3repE0EEENS1_30default_config_static_selectorELNS0_4arch9wavefront6targetE1EEEvT1_
		.amdhsa_group_segment_fixed_size 0
		.amdhsa_private_segment_fixed_size 0
		.amdhsa_kernarg_size 152
		.amdhsa_user_sgpr_count 2
		.amdhsa_user_sgpr_dispatch_ptr 0
		.amdhsa_user_sgpr_queue_ptr 0
		.amdhsa_user_sgpr_kernarg_segment_ptr 1
		.amdhsa_user_sgpr_dispatch_id 0
		.amdhsa_user_sgpr_kernarg_preload_length 0
		.amdhsa_user_sgpr_kernarg_preload_offset 0
		.amdhsa_user_sgpr_private_segment_size 0
		.amdhsa_uses_dynamic_stack 0
		.amdhsa_enable_private_segment 0
		.amdhsa_system_sgpr_workgroup_id_x 1
		.amdhsa_system_sgpr_workgroup_id_y 0
		.amdhsa_system_sgpr_workgroup_id_z 0
		.amdhsa_system_sgpr_workgroup_info 0
		.amdhsa_system_vgpr_workitem_id 0
		.amdhsa_next_free_vgpr 1
		.amdhsa_next_free_sgpr 0
		.amdhsa_accum_offset 4
		.amdhsa_reserve_vcc 0
		.amdhsa_float_round_mode_32 0
		.amdhsa_float_round_mode_16_64 0
		.amdhsa_float_denorm_mode_32 3
		.amdhsa_float_denorm_mode_16_64 3
		.amdhsa_dx10_clamp 1
		.amdhsa_ieee_mode 1
		.amdhsa_fp16_overflow 0
		.amdhsa_tg_split 0
		.amdhsa_exception_fp_ieee_invalid_op 0
		.amdhsa_exception_fp_denorm_src 0
		.amdhsa_exception_fp_ieee_div_zero 0
		.amdhsa_exception_fp_ieee_overflow 0
		.amdhsa_exception_fp_ieee_underflow 0
		.amdhsa_exception_fp_ieee_inexact 0
		.amdhsa_exception_int_div_zero 0
	.end_amdhsa_kernel
	.section	.text._ZN7rocprim17ROCPRIM_400000_NS6detail17trampoline_kernelINS0_14default_configENS1_25partition_config_selectorILNS1_17partition_subalgoE1EtNS0_10empty_typeEbEEZZNS1_14partition_implILS5_1ELb0ES3_jN6thrust23THRUST_200600_302600_NS6detail15normal_iteratorINSA_10device_ptrItEEEEPS6_NSA_18transform_iteratorI7is_evenItESF_NSA_11use_defaultESK_EENS0_5tupleIJNSA_16discard_iteratorISK_EESF_EEENSM_IJSG_SG_EEES6_PlJS6_EEE10hipError_tPvRmT3_T4_T5_T6_T7_T9_mT8_P12ihipStream_tbDpT10_ENKUlT_T0_E_clISt17integral_constantIbLb1EES1B_EEDaS16_S17_EUlS16_E_NS1_11comp_targetILNS1_3genE4ELNS1_11target_archE910ELNS1_3gpuE8ELNS1_3repE0EEENS1_30default_config_static_selectorELNS0_4arch9wavefront6targetE1EEEvT1_,"axG",@progbits,_ZN7rocprim17ROCPRIM_400000_NS6detail17trampoline_kernelINS0_14default_configENS1_25partition_config_selectorILNS1_17partition_subalgoE1EtNS0_10empty_typeEbEEZZNS1_14partition_implILS5_1ELb0ES3_jN6thrust23THRUST_200600_302600_NS6detail15normal_iteratorINSA_10device_ptrItEEEEPS6_NSA_18transform_iteratorI7is_evenItESF_NSA_11use_defaultESK_EENS0_5tupleIJNSA_16discard_iteratorISK_EESF_EEENSM_IJSG_SG_EEES6_PlJS6_EEE10hipError_tPvRmT3_T4_T5_T6_T7_T9_mT8_P12ihipStream_tbDpT10_ENKUlT_T0_E_clISt17integral_constantIbLb1EES1B_EEDaS16_S17_EUlS16_E_NS1_11comp_targetILNS1_3genE4ELNS1_11target_archE910ELNS1_3gpuE8ELNS1_3repE0EEENS1_30default_config_static_selectorELNS0_4arch9wavefront6targetE1EEEvT1_,comdat
.Lfunc_end3141:
	.size	_ZN7rocprim17ROCPRIM_400000_NS6detail17trampoline_kernelINS0_14default_configENS1_25partition_config_selectorILNS1_17partition_subalgoE1EtNS0_10empty_typeEbEEZZNS1_14partition_implILS5_1ELb0ES3_jN6thrust23THRUST_200600_302600_NS6detail15normal_iteratorINSA_10device_ptrItEEEEPS6_NSA_18transform_iteratorI7is_evenItESF_NSA_11use_defaultESK_EENS0_5tupleIJNSA_16discard_iteratorISK_EESF_EEENSM_IJSG_SG_EEES6_PlJS6_EEE10hipError_tPvRmT3_T4_T5_T6_T7_T9_mT8_P12ihipStream_tbDpT10_ENKUlT_T0_E_clISt17integral_constantIbLb1EES1B_EEDaS16_S17_EUlS16_E_NS1_11comp_targetILNS1_3genE4ELNS1_11target_archE910ELNS1_3gpuE8ELNS1_3repE0EEENS1_30default_config_static_selectorELNS0_4arch9wavefront6targetE1EEEvT1_, .Lfunc_end3141-_ZN7rocprim17ROCPRIM_400000_NS6detail17trampoline_kernelINS0_14default_configENS1_25partition_config_selectorILNS1_17partition_subalgoE1EtNS0_10empty_typeEbEEZZNS1_14partition_implILS5_1ELb0ES3_jN6thrust23THRUST_200600_302600_NS6detail15normal_iteratorINSA_10device_ptrItEEEEPS6_NSA_18transform_iteratorI7is_evenItESF_NSA_11use_defaultESK_EENS0_5tupleIJNSA_16discard_iteratorISK_EESF_EEENSM_IJSG_SG_EEES6_PlJS6_EEE10hipError_tPvRmT3_T4_T5_T6_T7_T9_mT8_P12ihipStream_tbDpT10_ENKUlT_T0_E_clISt17integral_constantIbLb1EES1B_EEDaS16_S17_EUlS16_E_NS1_11comp_targetILNS1_3genE4ELNS1_11target_archE910ELNS1_3gpuE8ELNS1_3repE0EEENS1_30default_config_static_selectorELNS0_4arch9wavefront6targetE1EEEvT1_
                                        ; -- End function
	.section	.AMDGPU.csdata,"",@progbits
; Kernel info:
; codeLenInByte = 0
; NumSgprs: 6
; NumVgprs: 0
; NumAgprs: 0
; TotalNumVgprs: 0
; ScratchSize: 0
; MemoryBound: 0
; FloatMode: 240
; IeeeMode: 1
; LDSByteSize: 0 bytes/workgroup (compile time only)
; SGPRBlocks: 0
; VGPRBlocks: 0
; NumSGPRsForWavesPerEU: 6
; NumVGPRsForWavesPerEU: 1
; AccumOffset: 4
; Occupancy: 8
; WaveLimiterHint : 0
; COMPUTE_PGM_RSRC2:SCRATCH_EN: 0
; COMPUTE_PGM_RSRC2:USER_SGPR: 2
; COMPUTE_PGM_RSRC2:TRAP_HANDLER: 0
; COMPUTE_PGM_RSRC2:TGID_X_EN: 1
; COMPUTE_PGM_RSRC2:TGID_Y_EN: 0
; COMPUTE_PGM_RSRC2:TGID_Z_EN: 0
; COMPUTE_PGM_RSRC2:TIDIG_COMP_CNT: 0
; COMPUTE_PGM_RSRC3_GFX90A:ACCUM_OFFSET: 0
; COMPUTE_PGM_RSRC3_GFX90A:TG_SPLIT: 0
	.section	.text._ZN7rocprim17ROCPRIM_400000_NS6detail17trampoline_kernelINS0_14default_configENS1_25partition_config_selectorILNS1_17partition_subalgoE1EtNS0_10empty_typeEbEEZZNS1_14partition_implILS5_1ELb0ES3_jN6thrust23THRUST_200600_302600_NS6detail15normal_iteratorINSA_10device_ptrItEEEEPS6_NSA_18transform_iteratorI7is_evenItESF_NSA_11use_defaultESK_EENS0_5tupleIJNSA_16discard_iteratorISK_EESF_EEENSM_IJSG_SG_EEES6_PlJS6_EEE10hipError_tPvRmT3_T4_T5_T6_T7_T9_mT8_P12ihipStream_tbDpT10_ENKUlT_T0_E_clISt17integral_constantIbLb1EES1B_EEDaS16_S17_EUlS16_E_NS1_11comp_targetILNS1_3genE3ELNS1_11target_archE908ELNS1_3gpuE7ELNS1_3repE0EEENS1_30default_config_static_selectorELNS0_4arch9wavefront6targetE1EEEvT1_,"axG",@progbits,_ZN7rocprim17ROCPRIM_400000_NS6detail17trampoline_kernelINS0_14default_configENS1_25partition_config_selectorILNS1_17partition_subalgoE1EtNS0_10empty_typeEbEEZZNS1_14partition_implILS5_1ELb0ES3_jN6thrust23THRUST_200600_302600_NS6detail15normal_iteratorINSA_10device_ptrItEEEEPS6_NSA_18transform_iteratorI7is_evenItESF_NSA_11use_defaultESK_EENS0_5tupleIJNSA_16discard_iteratorISK_EESF_EEENSM_IJSG_SG_EEES6_PlJS6_EEE10hipError_tPvRmT3_T4_T5_T6_T7_T9_mT8_P12ihipStream_tbDpT10_ENKUlT_T0_E_clISt17integral_constantIbLb1EES1B_EEDaS16_S17_EUlS16_E_NS1_11comp_targetILNS1_3genE3ELNS1_11target_archE908ELNS1_3gpuE7ELNS1_3repE0EEENS1_30default_config_static_selectorELNS0_4arch9wavefront6targetE1EEEvT1_,comdat
	.protected	_ZN7rocprim17ROCPRIM_400000_NS6detail17trampoline_kernelINS0_14default_configENS1_25partition_config_selectorILNS1_17partition_subalgoE1EtNS0_10empty_typeEbEEZZNS1_14partition_implILS5_1ELb0ES3_jN6thrust23THRUST_200600_302600_NS6detail15normal_iteratorINSA_10device_ptrItEEEEPS6_NSA_18transform_iteratorI7is_evenItESF_NSA_11use_defaultESK_EENS0_5tupleIJNSA_16discard_iteratorISK_EESF_EEENSM_IJSG_SG_EEES6_PlJS6_EEE10hipError_tPvRmT3_T4_T5_T6_T7_T9_mT8_P12ihipStream_tbDpT10_ENKUlT_T0_E_clISt17integral_constantIbLb1EES1B_EEDaS16_S17_EUlS16_E_NS1_11comp_targetILNS1_3genE3ELNS1_11target_archE908ELNS1_3gpuE7ELNS1_3repE0EEENS1_30default_config_static_selectorELNS0_4arch9wavefront6targetE1EEEvT1_ ; -- Begin function _ZN7rocprim17ROCPRIM_400000_NS6detail17trampoline_kernelINS0_14default_configENS1_25partition_config_selectorILNS1_17partition_subalgoE1EtNS0_10empty_typeEbEEZZNS1_14partition_implILS5_1ELb0ES3_jN6thrust23THRUST_200600_302600_NS6detail15normal_iteratorINSA_10device_ptrItEEEEPS6_NSA_18transform_iteratorI7is_evenItESF_NSA_11use_defaultESK_EENS0_5tupleIJNSA_16discard_iteratorISK_EESF_EEENSM_IJSG_SG_EEES6_PlJS6_EEE10hipError_tPvRmT3_T4_T5_T6_T7_T9_mT8_P12ihipStream_tbDpT10_ENKUlT_T0_E_clISt17integral_constantIbLb1EES1B_EEDaS16_S17_EUlS16_E_NS1_11comp_targetILNS1_3genE3ELNS1_11target_archE908ELNS1_3gpuE7ELNS1_3repE0EEENS1_30default_config_static_selectorELNS0_4arch9wavefront6targetE1EEEvT1_
	.globl	_ZN7rocprim17ROCPRIM_400000_NS6detail17trampoline_kernelINS0_14default_configENS1_25partition_config_selectorILNS1_17partition_subalgoE1EtNS0_10empty_typeEbEEZZNS1_14partition_implILS5_1ELb0ES3_jN6thrust23THRUST_200600_302600_NS6detail15normal_iteratorINSA_10device_ptrItEEEEPS6_NSA_18transform_iteratorI7is_evenItESF_NSA_11use_defaultESK_EENS0_5tupleIJNSA_16discard_iteratorISK_EESF_EEENSM_IJSG_SG_EEES6_PlJS6_EEE10hipError_tPvRmT3_T4_T5_T6_T7_T9_mT8_P12ihipStream_tbDpT10_ENKUlT_T0_E_clISt17integral_constantIbLb1EES1B_EEDaS16_S17_EUlS16_E_NS1_11comp_targetILNS1_3genE3ELNS1_11target_archE908ELNS1_3gpuE7ELNS1_3repE0EEENS1_30default_config_static_selectorELNS0_4arch9wavefront6targetE1EEEvT1_
	.p2align	8
	.type	_ZN7rocprim17ROCPRIM_400000_NS6detail17trampoline_kernelINS0_14default_configENS1_25partition_config_selectorILNS1_17partition_subalgoE1EtNS0_10empty_typeEbEEZZNS1_14partition_implILS5_1ELb0ES3_jN6thrust23THRUST_200600_302600_NS6detail15normal_iteratorINSA_10device_ptrItEEEEPS6_NSA_18transform_iteratorI7is_evenItESF_NSA_11use_defaultESK_EENS0_5tupleIJNSA_16discard_iteratorISK_EESF_EEENSM_IJSG_SG_EEES6_PlJS6_EEE10hipError_tPvRmT3_T4_T5_T6_T7_T9_mT8_P12ihipStream_tbDpT10_ENKUlT_T0_E_clISt17integral_constantIbLb1EES1B_EEDaS16_S17_EUlS16_E_NS1_11comp_targetILNS1_3genE3ELNS1_11target_archE908ELNS1_3gpuE7ELNS1_3repE0EEENS1_30default_config_static_selectorELNS0_4arch9wavefront6targetE1EEEvT1_,@function
_ZN7rocprim17ROCPRIM_400000_NS6detail17trampoline_kernelINS0_14default_configENS1_25partition_config_selectorILNS1_17partition_subalgoE1EtNS0_10empty_typeEbEEZZNS1_14partition_implILS5_1ELb0ES3_jN6thrust23THRUST_200600_302600_NS6detail15normal_iteratorINSA_10device_ptrItEEEEPS6_NSA_18transform_iteratorI7is_evenItESF_NSA_11use_defaultESK_EENS0_5tupleIJNSA_16discard_iteratorISK_EESF_EEENSM_IJSG_SG_EEES6_PlJS6_EEE10hipError_tPvRmT3_T4_T5_T6_T7_T9_mT8_P12ihipStream_tbDpT10_ENKUlT_T0_E_clISt17integral_constantIbLb1EES1B_EEDaS16_S17_EUlS16_E_NS1_11comp_targetILNS1_3genE3ELNS1_11target_archE908ELNS1_3gpuE7ELNS1_3repE0EEENS1_30default_config_static_selectorELNS0_4arch9wavefront6targetE1EEEvT1_: ; @_ZN7rocprim17ROCPRIM_400000_NS6detail17trampoline_kernelINS0_14default_configENS1_25partition_config_selectorILNS1_17partition_subalgoE1EtNS0_10empty_typeEbEEZZNS1_14partition_implILS5_1ELb0ES3_jN6thrust23THRUST_200600_302600_NS6detail15normal_iteratorINSA_10device_ptrItEEEEPS6_NSA_18transform_iteratorI7is_evenItESF_NSA_11use_defaultESK_EENS0_5tupleIJNSA_16discard_iteratorISK_EESF_EEENSM_IJSG_SG_EEES6_PlJS6_EEE10hipError_tPvRmT3_T4_T5_T6_T7_T9_mT8_P12ihipStream_tbDpT10_ENKUlT_T0_E_clISt17integral_constantIbLb1EES1B_EEDaS16_S17_EUlS16_E_NS1_11comp_targetILNS1_3genE3ELNS1_11target_archE908ELNS1_3gpuE7ELNS1_3repE0EEENS1_30default_config_static_selectorELNS0_4arch9wavefront6targetE1EEEvT1_
; %bb.0:
	.section	.rodata,"a",@progbits
	.p2align	6, 0x0
	.amdhsa_kernel _ZN7rocprim17ROCPRIM_400000_NS6detail17trampoline_kernelINS0_14default_configENS1_25partition_config_selectorILNS1_17partition_subalgoE1EtNS0_10empty_typeEbEEZZNS1_14partition_implILS5_1ELb0ES3_jN6thrust23THRUST_200600_302600_NS6detail15normal_iteratorINSA_10device_ptrItEEEEPS6_NSA_18transform_iteratorI7is_evenItESF_NSA_11use_defaultESK_EENS0_5tupleIJNSA_16discard_iteratorISK_EESF_EEENSM_IJSG_SG_EEES6_PlJS6_EEE10hipError_tPvRmT3_T4_T5_T6_T7_T9_mT8_P12ihipStream_tbDpT10_ENKUlT_T0_E_clISt17integral_constantIbLb1EES1B_EEDaS16_S17_EUlS16_E_NS1_11comp_targetILNS1_3genE3ELNS1_11target_archE908ELNS1_3gpuE7ELNS1_3repE0EEENS1_30default_config_static_selectorELNS0_4arch9wavefront6targetE1EEEvT1_
		.amdhsa_group_segment_fixed_size 0
		.amdhsa_private_segment_fixed_size 0
		.amdhsa_kernarg_size 152
		.amdhsa_user_sgpr_count 2
		.amdhsa_user_sgpr_dispatch_ptr 0
		.amdhsa_user_sgpr_queue_ptr 0
		.amdhsa_user_sgpr_kernarg_segment_ptr 1
		.amdhsa_user_sgpr_dispatch_id 0
		.amdhsa_user_sgpr_kernarg_preload_length 0
		.amdhsa_user_sgpr_kernarg_preload_offset 0
		.amdhsa_user_sgpr_private_segment_size 0
		.amdhsa_uses_dynamic_stack 0
		.amdhsa_enable_private_segment 0
		.amdhsa_system_sgpr_workgroup_id_x 1
		.amdhsa_system_sgpr_workgroup_id_y 0
		.amdhsa_system_sgpr_workgroup_id_z 0
		.amdhsa_system_sgpr_workgroup_info 0
		.amdhsa_system_vgpr_workitem_id 0
		.amdhsa_next_free_vgpr 1
		.amdhsa_next_free_sgpr 0
		.amdhsa_accum_offset 4
		.amdhsa_reserve_vcc 0
		.amdhsa_float_round_mode_32 0
		.amdhsa_float_round_mode_16_64 0
		.amdhsa_float_denorm_mode_32 3
		.amdhsa_float_denorm_mode_16_64 3
		.amdhsa_dx10_clamp 1
		.amdhsa_ieee_mode 1
		.amdhsa_fp16_overflow 0
		.amdhsa_tg_split 0
		.amdhsa_exception_fp_ieee_invalid_op 0
		.amdhsa_exception_fp_denorm_src 0
		.amdhsa_exception_fp_ieee_div_zero 0
		.amdhsa_exception_fp_ieee_overflow 0
		.amdhsa_exception_fp_ieee_underflow 0
		.amdhsa_exception_fp_ieee_inexact 0
		.amdhsa_exception_int_div_zero 0
	.end_amdhsa_kernel
	.section	.text._ZN7rocprim17ROCPRIM_400000_NS6detail17trampoline_kernelINS0_14default_configENS1_25partition_config_selectorILNS1_17partition_subalgoE1EtNS0_10empty_typeEbEEZZNS1_14partition_implILS5_1ELb0ES3_jN6thrust23THRUST_200600_302600_NS6detail15normal_iteratorINSA_10device_ptrItEEEEPS6_NSA_18transform_iteratorI7is_evenItESF_NSA_11use_defaultESK_EENS0_5tupleIJNSA_16discard_iteratorISK_EESF_EEENSM_IJSG_SG_EEES6_PlJS6_EEE10hipError_tPvRmT3_T4_T5_T6_T7_T9_mT8_P12ihipStream_tbDpT10_ENKUlT_T0_E_clISt17integral_constantIbLb1EES1B_EEDaS16_S17_EUlS16_E_NS1_11comp_targetILNS1_3genE3ELNS1_11target_archE908ELNS1_3gpuE7ELNS1_3repE0EEENS1_30default_config_static_selectorELNS0_4arch9wavefront6targetE1EEEvT1_,"axG",@progbits,_ZN7rocprim17ROCPRIM_400000_NS6detail17trampoline_kernelINS0_14default_configENS1_25partition_config_selectorILNS1_17partition_subalgoE1EtNS0_10empty_typeEbEEZZNS1_14partition_implILS5_1ELb0ES3_jN6thrust23THRUST_200600_302600_NS6detail15normal_iteratorINSA_10device_ptrItEEEEPS6_NSA_18transform_iteratorI7is_evenItESF_NSA_11use_defaultESK_EENS0_5tupleIJNSA_16discard_iteratorISK_EESF_EEENSM_IJSG_SG_EEES6_PlJS6_EEE10hipError_tPvRmT3_T4_T5_T6_T7_T9_mT8_P12ihipStream_tbDpT10_ENKUlT_T0_E_clISt17integral_constantIbLb1EES1B_EEDaS16_S17_EUlS16_E_NS1_11comp_targetILNS1_3genE3ELNS1_11target_archE908ELNS1_3gpuE7ELNS1_3repE0EEENS1_30default_config_static_selectorELNS0_4arch9wavefront6targetE1EEEvT1_,comdat
.Lfunc_end3142:
	.size	_ZN7rocprim17ROCPRIM_400000_NS6detail17trampoline_kernelINS0_14default_configENS1_25partition_config_selectorILNS1_17partition_subalgoE1EtNS0_10empty_typeEbEEZZNS1_14partition_implILS5_1ELb0ES3_jN6thrust23THRUST_200600_302600_NS6detail15normal_iteratorINSA_10device_ptrItEEEEPS6_NSA_18transform_iteratorI7is_evenItESF_NSA_11use_defaultESK_EENS0_5tupleIJNSA_16discard_iteratorISK_EESF_EEENSM_IJSG_SG_EEES6_PlJS6_EEE10hipError_tPvRmT3_T4_T5_T6_T7_T9_mT8_P12ihipStream_tbDpT10_ENKUlT_T0_E_clISt17integral_constantIbLb1EES1B_EEDaS16_S17_EUlS16_E_NS1_11comp_targetILNS1_3genE3ELNS1_11target_archE908ELNS1_3gpuE7ELNS1_3repE0EEENS1_30default_config_static_selectorELNS0_4arch9wavefront6targetE1EEEvT1_, .Lfunc_end3142-_ZN7rocprim17ROCPRIM_400000_NS6detail17trampoline_kernelINS0_14default_configENS1_25partition_config_selectorILNS1_17partition_subalgoE1EtNS0_10empty_typeEbEEZZNS1_14partition_implILS5_1ELb0ES3_jN6thrust23THRUST_200600_302600_NS6detail15normal_iteratorINSA_10device_ptrItEEEEPS6_NSA_18transform_iteratorI7is_evenItESF_NSA_11use_defaultESK_EENS0_5tupleIJNSA_16discard_iteratorISK_EESF_EEENSM_IJSG_SG_EEES6_PlJS6_EEE10hipError_tPvRmT3_T4_T5_T6_T7_T9_mT8_P12ihipStream_tbDpT10_ENKUlT_T0_E_clISt17integral_constantIbLb1EES1B_EEDaS16_S17_EUlS16_E_NS1_11comp_targetILNS1_3genE3ELNS1_11target_archE908ELNS1_3gpuE7ELNS1_3repE0EEENS1_30default_config_static_selectorELNS0_4arch9wavefront6targetE1EEEvT1_
                                        ; -- End function
	.section	.AMDGPU.csdata,"",@progbits
; Kernel info:
; codeLenInByte = 0
; NumSgprs: 6
; NumVgprs: 0
; NumAgprs: 0
; TotalNumVgprs: 0
; ScratchSize: 0
; MemoryBound: 0
; FloatMode: 240
; IeeeMode: 1
; LDSByteSize: 0 bytes/workgroup (compile time only)
; SGPRBlocks: 0
; VGPRBlocks: 0
; NumSGPRsForWavesPerEU: 6
; NumVGPRsForWavesPerEU: 1
; AccumOffset: 4
; Occupancy: 8
; WaveLimiterHint : 0
; COMPUTE_PGM_RSRC2:SCRATCH_EN: 0
; COMPUTE_PGM_RSRC2:USER_SGPR: 2
; COMPUTE_PGM_RSRC2:TRAP_HANDLER: 0
; COMPUTE_PGM_RSRC2:TGID_X_EN: 1
; COMPUTE_PGM_RSRC2:TGID_Y_EN: 0
; COMPUTE_PGM_RSRC2:TGID_Z_EN: 0
; COMPUTE_PGM_RSRC2:TIDIG_COMP_CNT: 0
; COMPUTE_PGM_RSRC3_GFX90A:ACCUM_OFFSET: 0
; COMPUTE_PGM_RSRC3_GFX90A:TG_SPLIT: 0
	.section	.text._ZN7rocprim17ROCPRIM_400000_NS6detail17trampoline_kernelINS0_14default_configENS1_25partition_config_selectorILNS1_17partition_subalgoE1EtNS0_10empty_typeEbEEZZNS1_14partition_implILS5_1ELb0ES3_jN6thrust23THRUST_200600_302600_NS6detail15normal_iteratorINSA_10device_ptrItEEEEPS6_NSA_18transform_iteratorI7is_evenItESF_NSA_11use_defaultESK_EENS0_5tupleIJNSA_16discard_iteratorISK_EESF_EEENSM_IJSG_SG_EEES6_PlJS6_EEE10hipError_tPvRmT3_T4_T5_T6_T7_T9_mT8_P12ihipStream_tbDpT10_ENKUlT_T0_E_clISt17integral_constantIbLb1EES1B_EEDaS16_S17_EUlS16_E_NS1_11comp_targetILNS1_3genE2ELNS1_11target_archE906ELNS1_3gpuE6ELNS1_3repE0EEENS1_30default_config_static_selectorELNS0_4arch9wavefront6targetE1EEEvT1_,"axG",@progbits,_ZN7rocprim17ROCPRIM_400000_NS6detail17trampoline_kernelINS0_14default_configENS1_25partition_config_selectorILNS1_17partition_subalgoE1EtNS0_10empty_typeEbEEZZNS1_14partition_implILS5_1ELb0ES3_jN6thrust23THRUST_200600_302600_NS6detail15normal_iteratorINSA_10device_ptrItEEEEPS6_NSA_18transform_iteratorI7is_evenItESF_NSA_11use_defaultESK_EENS0_5tupleIJNSA_16discard_iteratorISK_EESF_EEENSM_IJSG_SG_EEES6_PlJS6_EEE10hipError_tPvRmT3_T4_T5_T6_T7_T9_mT8_P12ihipStream_tbDpT10_ENKUlT_T0_E_clISt17integral_constantIbLb1EES1B_EEDaS16_S17_EUlS16_E_NS1_11comp_targetILNS1_3genE2ELNS1_11target_archE906ELNS1_3gpuE6ELNS1_3repE0EEENS1_30default_config_static_selectorELNS0_4arch9wavefront6targetE1EEEvT1_,comdat
	.protected	_ZN7rocprim17ROCPRIM_400000_NS6detail17trampoline_kernelINS0_14default_configENS1_25partition_config_selectorILNS1_17partition_subalgoE1EtNS0_10empty_typeEbEEZZNS1_14partition_implILS5_1ELb0ES3_jN6thrust23THRUST_200600_302600_NS6detail15normal_iteratorINSA_10device_ptrItEEEEPS6_NSA_18transform_iteratorI7is_evenItESF_NSA_11use_defaultESK_EENS0_5tupleIJNSA_16discard_iteratorISK_EESF_EEENSM_IJSG_SG_EEES6_PlJS6_EEE10hipError_tPvRmT3_T4_T5_T6_T7_T9_mT8_P12ihipStream_tbDpT10_ENKUlT_T0_E_clISt17integral_constantIbLb1EES1B_EEDaS16_S17_EUlS16_E_NS1_11comp_targetILNS1_3genE2ELNS1_11target_archE906ELNS1_3gpuE6ELNS1_3repE0EEENS1_30default_config_static_selectorELNS0_4arch9wavefront6targetE1EEEvT1_ ; -- Begin function _ZN7rocprim17ROCPRIM_400000_NS6detail17trampoline_kernelINS0_14default_configENS1_25partition_config_selectorILNS1_17partition_subalgoE1EtNS0_10empty_typeEbEEZZNS1_14partition_implILS5_1ELb0ES3_jN6thrust23THRUST_200600_302600_NS6detail15normal_iteratorINSA_10device_ptrItEEEEPS6_NSA_18transform_iteratorI7is_evenItESF_NSA_11use_defaultESK_EENS0_5tupleIJNSA_16discard_iteratorISK_EESF_EEENSM_IJSG_SG_EEES6_PlJS6_EEE10hipError_tPvRmT3_T4_T5_T6_T7_T9_mT8_P12ihipStream_tbDpT10_ENKUlT_T0_E_clISt17integral_constantIbLb1EES1B_EEDaS16_S17_EUlS16_E_NS1_11comp_targetILNS1_3genE2ELNS1_11target_archE906ELNS1_3gpuE6ELNS1_3repE0EEENS1_30default_config_static_selectorELNS0_4arch9wavefront6targetE1EEEvT1_
	.globl	_ZN7rocprim17ROCPRIM_400000_NS6detail17trampoline_kernelINS0_14default_configENS1_25partition_config_selectorILNS1_17partition_subalgoE1EtNS0_10empty_typeEbEEZZNS1_14partition_implILS5_1ELb0ES3_jN6thrust23THRUST_200600_302600_NS6detail15normal_iteratorINSA_10device_ptrItEEEEPS6_NSA_18transform_iteratorI7is_evenItESF_NSA_11use_defaultESK_EENS0_5tupleIJNSA_16discard_iteratorISK_EESF_EEENSM_IJSG_SG_EEES6_PlJS6_EEE10hipError_tPvRmT3_T4_T5_T6_T7_T9_mT8_P12ihipStream_tbDpT10_ENKUlT_T0_E_clISt17integral_constantIbLb1EES1B_EEDaS16_S17_EUlS16_E_NS1_11comp_targetILNS1_3genE2ELNS1_11target_archE906ELNS1_3gpuE6ELNS1_3repE0EEENS1_30default_config_static_selectorELNS0_4arch9wavefront6targetE1EEEvT1_
	.p2align	8
	.type	_ZN7rocprim17ROCPRIM_400000_NS6detail17trampoline_kernelINS0_14default_configENS1_25partition_config_selectorILNS1_17partition_subalgoE1EtNS0_10empty_typeEbEEZZNS1_14partition_implILS5_1ELb0ES3_jN6thrust23THRUST_200600_302600_NS6detail15normal_iteratorINSA_10device_ptrItEEEEPS6_NSA_18transform_iteratorI7is_evenItESF_NSA_11use_defaultESK_EENS0_5tupleIJNSA_16discard_iteratorISK_EESF_EEENSM_IJSG_SG_EEES6_PlJS6_EEE10hipError_tPvRmT3_T4_T5_T6_T7_T9_mT8_P12ihipStream_tbDpT10_ENKUlT_T0_E_clISt17integral_constantIbLb1EES1B_EEDaS16_S17_EUlS16_E_NS1_11comp_targetILNS1_3genE2ELNS1_11target_archE906ELNS1_3gpuE6ELNS1_3repE0EEENS1_30default_config_static_selectorELNS0_4arch9wavefront6targetE1EEEvT1_,@function
_ZN7rocprim17ROCPRIM_400000_NS6detail17trampoline_kernelINS0_14default_configENS1_25partition_config_selectorILNS1_17partition_subalgoE1EtNS0_10empty_typeEbEEZZNS1_14partition_implILS5_1ELb0ES3_jN6thrust23THRUST_200600_302600_NS6detail15normal_iteratorINSA_10device_ptrItEEEEPS6_NSA_18transform_iteratorI7is_evenItESF_NSA_11use_defaultESK_EENS0_5tupleIJNSA_16discard_iteratorISK_EESF_EEENSM_IJSG_SG_EEES6_PlJS6_EEE10hipError_tPvRmT3_T4_T5_T6_T7_T9_mT8_P12ihipStream_tbDpT10_ENKUlT_T0_E_clISt17integral_constantIbLb1EES1B_EEDaS16_S17_EUlS16_E_NS1_11comp_targetILNS1_3genE2ELNS1_11target_archE906ELNS1_3gpuE6ELNS1_3repE0EEENS1_30default_config_static_selectorELNS0_4arch9wavefront6targetE1EEEvT1_: ; @_ZN7rocprim17ROCPRIM_400000_NS6detail17trampoline_kernelINS0_14default_configENS1_25partition_config_selectorILNS1_17partition_subalgoE1EtNS0_10empty_typeEbEEZZNS1_14partition_implILS5_1ELb0ES3_jN6thrust23THRUST_200600_302600_NS6detail15normal_iteratorINSA_10device_ptrItEEEEPS6_NSA_18transform_iteratorI7is_evenItESF_NSA_11use_defaultESK_EENS0_5tupleIJNSA_16discard_iteratorISK_EESF_EEENSM_IJSG_SG_EEES6_PlJS6_EEE10hipError_tPvRmT3_T4_T5_T6_T7_T9_mT8_P12ihipStream_tbDpT10_ENKUlT_T0_E_clISt17integral_constantIbLb1EES1B_EEDaS16_S17_EUlS16_E_NS1_11comp_targetILNS1_3genE2ELNS1_11target_archE906ELNS1_3gpuE6ELNS1_3repE0EEENS1_30default_config_static_selectorELNS0_4arch9wavefront6targetE1EEEvT1_
; %bb.0:
	.section	.rodata,"a",@progbits
	.p2align	6, 0x0
	.amdhsa_kernel _ZN7rocprim17ROCPRIM_400000_NS6detail17trampoline_kernelINS0_14default_configENS1_25partition_config_selectorILNS1_17partition_subalgoE1EtNS0_10empty_typeEbEEZZNS1_14partition_implILS5_1ELb0ES3_jN6thrust23THRUST_200600_302600_NS6detail15normal_iteratorINSA_10device_ptrItEEEEPS6_NSA_18transform_iteratorI7is_evenItESF_NSA_11use_defaultESK_EENS0_5tupleIJNSA_16discard_iteratorISK_EESF_EEENSM_IJSG_SG_EEES6_PlJS6_EEE10hipError_tPvRmT3_T4_T5_T6_T7_T9_mT8_P12ihipStream_tbDpT10_ENKUlT_T0_E_clISt17integral_constantIbLb1EES1B_EEDaS16_S17_EUlS16_E_NS1_11comp_targetILNS1_3genE2ELNS1_11target_archE906ELNS1_3gpuE6ELNS1_3repE0EEENS1_30default_config_static_selectorELNS0_4arch9wavefront6targetE1EEEvT1_
		.amdhsa_group_segment_fixed_size 0
		.amdhsa_private_segment_fixed_size 0
		.amdhsa_kernarg_size 152
		.amdhsa_user_sgpr_count 2
		.amdhsa_user_sgpr_dispatch_ptr 0
		.amdhsa_user_sgpr_queue_ptr 0
		.amdhsa_user_sgpr_kernarg_segment_ptr 1
		.amdhsa_user_sgpr_dispatch_id 0
		.amdhsa_user_sgpr_kernarg_preload_length 0
		.amdhsa_user_sgpr_kernarg_preload_offset 0
		.amdhsa_user_sgpr_private_segment_size 0
		.amdhsa_uses_dynamic_stack 0
		.amdhsa_enable_private_segment 0
		.amdhsa_system_sgpr_workgroup_id_x 1
		.amdhsa_system_sgpr_workgroup_id_y 0
		.amdhsa_system_sgpr_workgroup_id_z 0
		.amdhsa_system_sgpr_workgroup_info 0
		.amdhsa_system_vgpr_workitem_id 0
		.amdhsa_next_free_vgpr 1
		.amdhsa_next_free_sgpr 0
		.amdhsa_accum_offset 4
		.amdhsa_reserve_vcc 0
		.amdhsa_float_round_mode_32 0
		.amdhsa_float_round_mode_16_64 0
		.amdhsa_float_denorm_mode_32 3
		.amdhsa_float_denorm_mode_16_64 3
		.amdhsa_dx10_clamp 1
		.amdhsa_ieee_mode 1
		.amdhsa_fp16_overflow 0
		.amdhsa_tg_split 0
		.amdhsa_exception_fp_ieee_invalid_op 0
		.amdhsa_exception_fp_denorm_src 0
		.amdhsa_exception_fp_ieee_div_zero 0
		.amdhsa_exception_fp_ieee_overflow 0
		.amdhsa_exception_fp_ieee_underflow 0
		.amdhsa_exception_fp_ieee_inexact 0
		.amdhsa_exception_int_div_zero 0
	.end_amdhsa_kernel
	.section	.text._ZN7rocprim17ROCPRIM_400000_NS6detail17trampoline_kernelINS0_14default_configENS1_25partition_config_selectorILNS1_17partition_subalgoE1EtNS0_10empty_typeEbEEZZNS1_14partition_implILS5_1ELb0ES3_jN6thrust23THRUST_200600_302600_NS6detail15normal_iteratorINSA_10device_ptrItEEEEPS6_NSA_18transform_iteratorI7is_evenItESF_NSA_11use_defaultESK_EENS0_5tupleIJNSA_16discard_iteratorISK_EESF_EEENSM_IJSG_SG_EEES6_PlJS6_EEE10hipError_tPvRmT3_T4_T5_T6_T7_T9_mT8_P12ihipStream_tbDpT10_ENKUlT_T0_E_clISt17integral_constantIbLb1EES1B_EEDaS16_S17_EUlS16_E_NS1_11comp_targetILNS1_3genE2ELNS1_11target_archE906ELNS1_3gpuE6ELNS1_3repE0EEENS1_30default_config_static_selectorELNS0_4arch9wavefront6targetE1EEEvT1_,"axG",@progbits,_ZN7rocprim17ROCPRIM_400000_NS6detail17trampoline_kernelINS0_14default_configENS1_25partition_config_selectorILNS1_17partition_subalgoE1EtNS0_10empty_typeEbEEZZNS1_14partition_implILS5_1ELb0ES3_jN6thrust23THRUST_200600_302600_NS6detail15normal_iteratorINSA_10device_ptrItEEEEPS6_NSA_18transform_iteratorI7is_evenItESF_NSA_11use_defaultESK_EENS0_5tupleIJNSA_16discard_iteratorISK_EESF_EEENSM_IJSG_SG_EEES6_PlJS6_EEE10hipError_tPvRmT3_T4_T5_T6_T7_T9_mT8_P12ihipStream_tbDpT10_ENKUlT_T0_E_clISt17integral_constantIbLb1EES1B_EEDaS16_S17_EUlS16_E_NS1_11comp_targetILNS1_3genE2ELNS1_11target_archE906ELNS1_3gpuE6ELNS1_3repE0EEENS1_30default_config_static_selectorELNS0_4arch9wavefront6targetE1EEEvT1_,comdat
.Lfunc_end3143:
	.size	_ZN7rocprim17ROCPRIM_400000_NS6detail17trampoline_kernelINS0_14default_configENS1_25partition_config_selectorILNS1_17partition_subalgoE1EtNS0_10empty_typeEbEEZZNS1_14partition_implILS5_1ELb0ES3_jN6thrust23THRUST_200600_302600_NS6detail15normal_iteratorINSA_10device_ptrItEEEEPS6_NSA_18transform_iteratorI7is_evenItESF_NSA_11use_defaultESK_EENS0_5tupleIJNSA_16discard_iteratorISK_EESF_EEENSM_IJSG_SG_EEES6_PlJS6_EEE10hipError_tPvRmT3_T4_T5_T6_T7_T9_mT8_P12ihipStream_tbDpT10_ENKUlT_T0_E_clISt17integral_constantIbLb1EES1B_EEDaS16_S17_EUlS16_E_NS1_11comp_targetILNS1_3genE2ELNS1_11target_archE906ELNS1_3gpuE6ELNS1_3repE0EEENS1_30default_config_static_selectorELNS0_4arch9wavefront6targetE1EEEvT1_, .Lfunc_end3143-_ZN7rocprim17ROCPRIM_400000_NS6detail17trampoline_kernelINS0_14default_configENS1_25partition_config_selectorILNS1_17partition_subalgoE1EtNS0_10empty_typeEbEEZZNS1_14partition_implILS5_1ELb0ES3_jN6thrust23THRUST_200600_302600_NS6detail15normal_iteratorINSA_10device_ptrItEEEEPS6_NSA_18transform_iteratorI7is_evenItESF_NSA_11use_defaultESK_EENS0_5tupleIJNSA_16discard_iteratorISK_EESF_EEENSM_IJSG_SG_EEES6_PlJS6_EEE10hipError_tPvRmT3_T4_T5_T6_T7_T9_mT8_P12ihipStream_tbDpT10_ENKUlT_T0_E_clISt17integral_constantIbLb1EES1B_EEDaS16_S17_EUlS16_E_NS1_11comp_targetILNS1_3genE2ELNS1_11target_archE906ELNS1_3gpuE6ELNS1_3repE0EEENS1_30default_config_static_selectorELNS0_4arch9wavefront6targetE1EEEvT1_
                                        ; -- End function
	.section	.AMDGPU.csdata,"",@progbits
; Kernel info:
; codeLenInByte = 0
; NumSgprs: 6
; NumVgprs: 0
; NumAgprs: 0
; TotalNumVgprs: 0
; ScratchSize: 0
; MemoryBound: 0
; FloatMode: 240
; IeeeMode: 1
; LDSByteSize: 0 bytes/workgroup (compile time only)
; SGPRBlocks: 0
; VGPRBlocks: 0
; NumSGPRsForWavesPerEU: 6
; NumVGPRsForWavesPerEU: 1
; AccumOffset: 4
; Occupancy: 8
; WaveLimiterHint : 0
; COMPUTE_PGM_RSRC2:SCRATCH_EN: 0
; COMPUTE_PGM_RSRC2:USER_SGPR: 2
; COMPUTE_PGM_RSRC2:TRAP_HANDLER: 0
; COMPUTE_PGM_RSRC2:TGID_X_EN: 1
; COMPUTE_PGM_RSRC2:TGID_Y_EN: 0
; COMPUTE_PGM_RSRC2:TGID_Z_EN: 0
; COMPUTE_PGM_RSRC2:TIDIG_COMP_CNT: 0
; COMPUTE_PGM_RSRC3_GFX90A:ACCUM_OFFSET: 0
; COMPUTE_PGM_RSRC3_GFX90A:TG_SPLIT: 0
	.section	.text._ZN7rocprim17ROCPRIM_400000_NS6detail17trampoline_kernelINS0_14default_configENS1_25partition_config_selectorILNS1_17partition_subalgoE1EtNS0_10empty_typeEbEEZZNS1_14partition_implILS5_1ELb0ES3_jN6thrust23THRUST_200600_302600_NS6detail15normal_iteratorINSA_10device_ptrItEEEEPS6_NSA_18transform_iteratorI7is_evenItESF_NSA_11use_defaultESK_EENS0_5tupleIJNSA_16discard_iteratorISK_EESF_EEENSM_IJSG_SG_EEES6_PlJS6_EEE10hipError_tPvRmT3_T4_T5_T6_T7_T9_mT8_P12ihipStream_tbDpT10_ENKUlT_T0_E_clISt17integral_constantIbLb1EES1B_EEDaS16_S17_EUlS16_E_NS1_11comp_targetILNS1_3genE10ELNS1_11target_archE1200ELNS1_3gpuE4ELNS1_3repE0EEENS1_30default_config_static_selectorELNS0_4arch9wavefront6targetE1EEEvT1_,"axG",@progbits,_ZN7rocprim17ROCPRIM_400000_NS6detail17trampoline_kernelINS0_14default_configENS1_25partition_config_selectorILNS1_17partition_subalgoE1EtNS0_10empty_typeEbEEZZNS1_14partition_implILS5_1ELb0ES3_jN6thrust23THRUST_200600_302600_NS6detail15normal_iteratorINSA_10device_ptrItEEEEPS6_NSA_18transform_iteratorI7is_evenItESF_NSA_11use_defaultESK_EENS0_5tupleIJNSA_16discard_iteratorISK_EESF_EEENSM_IJSG_SG_EEES6_PlJS6_EEE10hipError_tPvRmT3_T4_T5_T6_T7_T9_mT8_P12ihipStream_tbDpT10_ENKUlT_T0_E_clISt17integral_constantIbLb1EES1B_EEDaS16_S17_EUlS16_E_NS1_11comp_targetILNS1_3genE10ELNS1_11target_archE1200ELNS1_3gpuE4ELNS1_3repE0EEENS1_30default_config_static_selectorELNS0_4arch9wavefront6targetE1EEEvT1_,comdat
	.protected	_ZN7rocprim17ROCPRIM_400000_NS6detail17trampoline_kernelINS0_14default_configENS1_25partition_config_selectorILNS1_17partition_subalgoE1EtNS0_10empty_typeEbEEZZNS1_14partition_implILS5_1ELb0ES3_jN6thrust23THRUST_200600_302600_NS6detail15normal_iteratorINSA_10device_ptrItEEEEPS6_NSA_18transform_iteratorI7is_evenItESF_NSA_11use_defaultESK_EENS0_5tupleIJNSA_16discard_iteratorISK_EESF_EEENSM_IJSG_SG_EEES6_PlJS6_EEE10hipError_tPvRmT3_T4_T5_T6_T7_T9_mT8_P12ihipStream_tbDpT10_ENKUlT_T0_E_clISt17integral_constantIbLb1EES1B_EEDaS16_S17_EUlS16_E_NS1_11comp_targetILNS1_3genE10ELNS1_11target_archE1200ELNS1_3gpuE4ELNS1_3repE0EEENS1_30default_config_static_selectorELNS0_4arch9wavefront6targetE1EEEvT1_ ; -- Begin function _ZN7rocprim17ROCPRIM_400000_NS6detail17trampoline_kernelINS0_14default_configENS1_25partition_config_selectorILNS1_17partition_subalgoE1EtNS0_10empty_typeEbEEZZNS1_14partition_implILS5_1ELb0ES3_jN6thrust23THRUST_200600_302600_NS6detail15normal_iteratorINSA_10device_ptrItEEEEPS6_NSA_18transform_iteratorI7is_evenItESF_NSA_11use_defaultESK_EENS0_5tupleIJNSA_16discard_iteratorISK_EESF_EEENSM_IJSG_SG_EEES6_PlJS6_EEE10hipError_tPvRmT3_T4_T5_T6_T7_T9_mT8_P12ihipStream_tbDpT10_ENKUlT_T0_E_clISt17integral_constantIbLb1EES1B_EEDaS16_S17_EUlS16_E_NS1_11comp_targetILNS1_3genE10ELNS1_11target_archE1200ELNS1_3gpuE4ELNS1_3repE0EEENS1_30default_config_static_selectorELNS0_4arch9wavefront6targetE1EEEvT1_
	.globl	_ZN7rocprim17ROCPRIM_400000_NS6detail17trampoline_kernelINS0_14default_configENS1_25partition_config_selectorILNS1_17partition_subalgoE1EtNS0_10empty_typeEbEEZZNS1_14partition_implILS5_1ELb0ES3_jN6thrust23THRUST_200600_302600_NS6detail15normal_iteratorINSA_10device_ptrItEEEEPS6_NSA_18transform_iteratorI7is_evenItESF_NSA_11use_defaultESK_EENS0_5tupleIJNSA_16discard_iteratorISK_EESF_EEENSM_IJSG_SG_EEES6_PlJS6_EEE10hipError_tPvRmT3_T4_T5_T6_T7_T9_mT8_P12ihipStream_tbDpT10_ENKUlT_T0_E_clISt17integral_constantIbLb1EES1B_EEDaS16_S17_EUlS16_E_NS1_11comp_targetILNS1_3genE10ELNS1_11target_archE1200ELNS1_3gpuE4ELNS1_3repE0EEENS1_30default_config_static_selectorELNS0_4arch9wavefront6targetE1EEEvT1_
	.p2align	8
	.type	_ZN7rocprim17ROCPRIM_400000_NS6detail17trampoline_kernelINS0_14default_configENS1_25partition_config_selectorILNS1_17partition_subalgoE1EtNS0_10empty_typeEbEEZZNS1_14partition_implILS5_1ELb0ES3_jN6thrust23THRUST_200600_302600_NS6detail15normal_iteratorINSA_10device_ptrItEEEEPS6_NSA_18transform_iteratorI7is_evenItESF_NSA_11use_defaultESK_EENS0_5tupleIJNSA_16discard_iteratorISK_EESF_EEENSM_IJSG_SG_EEES6_PlJS6_EEE10hipError_tPvRmT3_T4_T5_T6_T7_T9_mT8_P12ihipStream_tbDpT10_ENKUlT_T0_E_clISt17integral_constantIbLb1EES1B_EEDaS16_S17_EUlS16_E_NS1_11comp_targetILNS1_3genE10ELNS1_11target_archE1200ELNS1_3gpuE4ELNS1_3repE0EEENS1_30default_config_static_selectorELNS0_4arch9wavefront6targetE1EEEvT1_,@function
_ZN7rocprim17ROCPRIM_400000_NS6detail17trampoline_kernelINS0_14default_configENS1_25partition_config_selectorILNS1_17partition_subalgoE1EtNS0_10empty_typeEbEEZZNS1_14partition_implILS5_1ELb0ES3_jN6thrust23THRUST_200600_302600_NS6detail15normal_iteratorINSA_10device_ptrItEEEEPS6_NSA_18transform_iteratorI7is_evenItESF_NSA_11use_defaultESK_EENS0_5tupleIJNSA_16discard_iteratorISK_EESF_EEENSM_IJSG_SG_EEES6_PlJS6_EEE10hipError_tPvRmT3_T4_T5_T6_T7_T9_mT8_P12ihipStream_tbDpT10_ENKUlT_T0_E_clISt17integral_constantIbLb1EES1B_EEDaS16_S17_EUlS16_E_NS1_11comp_targetILNS1_3genE10ELNS1_11target_archE1200ELNS1_3gpuE4ELNS1_3repE0EEENS1_30default_config_static_selectorELNS0_4arch9wavefront6targetE1EEEvT1_: ; @_ZN7rocprim17ROCPRIM_400000_NS6detail17trampoline_kernelINS0_14default_configENS1_25partition_config_selectorILNS1_17partition_subalgoE1EtNS0_10empty_typeEbEEZZNS1_14partition_implILS5_1ELb0ES3_jN6thrust23THRUST_200600_302600_NS6detail15normal_iteratorINSA_10device_ptrItEEEEPS6_NSA_18transform_iteratorI7is_evenItESF_NSA_11use_defaultESK_EENS0_5tupleIJNSA_16discard_iteratorISK_EESF_EEENSM_IJSG_SG_EEES6_PlJS6_EEE10hipError_tPvRmT3_T4_T5_T6_T7_T9_mT8_P12ihipStream_tbDpT10_ENKUlT_T0_E_clISt17integral_constantIbLb1EES1B_EEDaS16_S17_EUlS16_E_NS1_11comp_targetILNS1_3genE10ELNS1_11target_archE1200ELNS1_3gpuE4ELNS1_3repE0EEENS1_30default_config_static_selectorELNS0_4arch9wavefront6targetE1EEEvT1_
; %bb.0:
	.section	.rodata,"a",@progbits
	.p2align	6, 0x0
	.amdhsa_kernel _ZN7rocprim17ROCPRIM_400000_NS6detail17trampoline_kernelINS0_14default_configENS1_25partition_config_selectorILNS1_17partition_subalgoE1EtNS0_10empty_typeEbEEZZNS1_14partition_implILS5_1ELb0ES3_jN6thrust23THRUST_200600_302600_NS6detail15normal_iteratorINSA_10device_ptrItEEEEPS6_NSA_18transform_iteratorI7is_evenItESF_NSA_11use_defaultESK_EENS0_5tupleIJNSA_16discard_iteratorISK_EESF_EEENSM_IJSG_SG_EEES6_PlJS6_EEE10hipError_tPvRmT3_T4_T5_T6_T7_T9_mT8_P12ihipStream_tbDpT10_ENKUlT_T0_E_clISt17integral_constantIbLb1EES1B_EEDaS16_S17_EUlS16_E_NS1_11comp_targetILNS1_3genE10ELNS1_11target_archE1200ELNS1_3gpuE4ELNS1_3repE0EEENS1_30default_config_static_selectorELNS0_4arch9wavefront6targetE1EEEvT1_
		.amdhsa_group_segment_fixed_size 0
		.amdhsa_private_segment_fixed_size 0
		.amdhsa_kernarg_size 152
		.amdhsa_user_sgpr_count 2
		.amdhsa_user_sgpr_dispatch_ptr 0
		.amdhsa_user_sgpr_queue_ptr 0
		.amdhsa_user_sgpr_kernarg_segment_ptr 1
		.amdhsa_user_sgpr_dispatch_id 0
		.amdhsa_user_sgpr_kernarg_preload_length 0
		.amdhsa_user_sgpr_kernarg_preload_offset 0
		.amdhsa_user_sgpr_private_segment_size 0
		.amdhsa_uses_dynamic_stack 0
		.amdhsa_enable_private_segment 0
		.amdhsa_system_sgpr_workgroup_id_x 1
		.amdhsa_system_sgpr_workgroup_id_y 0
		.amdhsa_system_sgpr_workgroup_id_z 0
		.amdhsa_system_sgpr_workgroup_info 0
		.amdhsa_system_vgpr_workitem_id 0
		.amdhsa_next_free_vgpr 1
		.amdhsa_next_free_sgpr 0
		.amdhsa_accum_offset 4
		.amdhsa_reserve_vcc 0
		.amdhsa_float_round_mode_32 0
		.amdhsa_float_round_mode_16_64 0
		.amdhsa_float_denorm_mode_32 3
		.amdhsa_float_denorm_mode_16_64 3
		.amdhsa_dx10_clamp 1
		.amdhsa_ieee_mode 1
		.amdhsa_fp16_overflow 0
		.amdhsa_tg_split 0
		.amdhsa_exception_fp_ieee_invalid_op 0
		.amdhsa_exception_fp_denorm_src 0
		.amdhsa_exception_fp_ieee_div_zero 0
		.amdhsa_exception_fp_ieee_overflow 0
		.amdhsa_exception_fp_ieee_underflow 0
		.amdhsa_exception_fp_ieee_inexact 0
		.amdhsa_exception_int_div_zero 0
	.end_amdhsa_kernel
	.section	.text._ZN7rocprim17ROCPRIM_400000_NS6detail17trampoline_kernelINS0_14default_configENS1_25partition_config_selectorILNS1_17partition_subalgoE1EtNS0_10empty_typeEbEEZZNS1_14partition_implILS5_1ELb0ES3_jN6thrust23THRUST_200600_302600_NS6detail15normal_iteratorINSA_10device_ptrItEEEEPS6_NSA_18transform_iteratorI7is_evenItESF_NSA_11use_defaultESK_EENS0_5tupleIJNSA_16discard_iteratorISK_EESF_EEENSM_IJSG_SG_EEES6_PlJS6_EEE10hipError_tPvRmT3_T4_T5_T6_T7_T9_mT8_P12ihipStream_tbDpT10_ENKUlT_T0_E_clISt17integral_constantIbLb1EES1B_EEDaS16_S17_EUlS16_E_NS1_11comp_targetILNS1_3genE10ELNS1_11target_archE1200ELNS1_3gpuE4ELNS1_3repE0EEENS1_30default_config_static_selectorELNS0_4arch9wavefront6targetE1EEEvT1_,"axG",@progbits,_ZN7rocprim17ROCPRIM_400000_NS6detail17trampoline_kernelINS0_14default_configENS1_25partition_config_selectorILNS1_17partition_subalgoE1EtNS0_10empty_typeEbEEZZNS1_14partition_implILS5_1ELb0ES3_jN6thrust23THRUST_200600_302600_NS6detail15normal_iteratorINSA_10device_ptrItEEEEPS6_NSA_18transform_iteratorI7is_evenItESF_NSA_11use_defaultESK_EENS0_5tupleIJNSA_16discard_iteratorISK_EESF_EEENSM_IJSG_SG_EEES6_PlJS6_EEE10hipError_tPvRmT3_T4_T5_T6_T7_T9_mT8_P12ihipStream_tbDpT10_ENKUlT_T0_E_clISt17integral_constantIbLb1EES1B_EEDaS16_S17_EUlS16_E_NS1_11comp_targetILNS1_3genE10ELNS1_11target_archE1200ELNS1_3gpuE4ELNS1_3repE0EEENS1_30default_config_static_selectorELNS0_4arch9wavefront6targetE1EEEvT1_,comdat
.Lfunc_end3144:
	.size	_ZN7rocprim17ROCPRIM_400000_NS6detail17trampoline_kernelINS0_14default_configENS1_25partition_config_selectorILNS1_17partition_subalgoE1EtNS0_10empty_typeEbEEZZNS1_14partition_implILS5_1ELb0ES3_jN6thrust23THRUST_200600_302600_NS6detail15normal_iteratorINSA_10device_ptrItEEEEPS6_NSA_18transform_iteratorI7is_evenItESF_NSA_11use_defaultESK_EENS0_5tupleIJNSA_16discard_iteratorISK_EESF_EEENSM_IJSG_SG_EEES6_PlJS6_EEE10hipError_tPvRmT3_T4_T5_T6_T7_T9_mT8_P12ihipStream_tbDpT10_ENKUlT_T0_E_clISt17integral_constantIbLb1EES1B_EEDaS16_S17_EUlS16_E_NS1_11comp_targetILNS1_3genE10ELNS1_11target_archE1200ELNS1_3gpuE4ELNS1_3repE0EEENS1_30default_config_static_selectorELNS0_4arch9wavefront6targetE1EEEvT1_, .Lfunc_end3144-_ZN7rocprim17ROCPRIM_400000_NS6detail17trampoline_kernelINS0_14default_configENS1_25partition_config_selectorILNS1_17partition_subalgoE1EtNS0_10empty_typeEbEEZZNS1_14partition_implILS5_1ELb0ES3_jN6thrust23THRUST_200600_302600_NS6detail15normal_iteratorINSA_10device_ptrItEEEEPS6_NSA_18transform_iteratorI7is_evenItESF_NSA_11use_defaultESK_EENS0_5tupleIJNSA_16discard_iteratorISK_EESF_EEENSM_IJSG_SG_EEES6_PlJS6_EEE10hipError_tPvRmT3_T4_T5_T6_T7_T9_mT8_P12ihipStream_tbDpT10_ENKUlT_T0_E_clISt17integral_constantIbLb1EES1B_EEDaS16_S17_EUlS16_E_NS1_11comp_targetILNS1_3genE10ELNS1_11target_archE1200ELNS1_3gpuE4ELNS1_3repE0EEENS1_30default_config_static_selectorELNS0_4arch9wavefront6targetE1EEEvT1_
                                        ; -- End function
	.section	.AMDGPU.csdata,"",@progbits
; Kernel info:
; codeLenInByte = 0
; NumSgprs: 6
; NumVgprs: 0
; NumAgprs: 0
; TotalNumVgprs: 0
; ScratchSize: 0
; MemoryBound: 0
; FloatMode: 240
; IeeeMode: 1
; LDSByteSize: 0 bytes/workgroup (compile time only)
; SGPRBlocks: 0
; VGPRBlocks: 0
; NumSGPRsForWavesPerEU: 6
; NumVGPRsForWavesPerEU: 1
; AccumOffset: 4
; Occupancy: 8
; WaveLimiterHint : 0
; COMPUTE_PGM_RSRC2:SCRATCH_EN: 0
; COMPUTE_PGM_RSRC2:USER_SGPR: 2
; COMPUTE_PGM_RSRC2:TRAP_HANDLER: 0
; COMPUTE_PGM_RSRC2:TGID_X_EN: 1
; COMPUTE_PGM_RSRC2:TGID_Y_EN: 0
; COMPUTE_PGM_RSRC2:TGID_Z_EN: 0
; COMPUTE_PGM_RSRC2:TIDIG_COMP_CNT: 0
; COMPUTE_PGM_RSRC3_GFX90A:ACCUM_OFFSET: 0
; COMPUTE_PGM_RSRC3_GFX90A:TG_SPLIT: 0
	.section	.text._ZN7rocprim17ROCPRIM_400000_NS6detail17trampoline_kernelINS0_14default_configENS1_25partition_config_selectorILNS1_17partition_subalgoE1EtNS0_10empty_typeEbEEZZNS1_14partition_implILS5_1ELb0ES3_jN6thrust23THRUST_200600_302600_NS6detail15normal_iteratorINSA_10device_ptrItEEEEPS6_NSA_18transform_iteratorI7is_evenItESF_NSA_11use_defaultESK_EENS0_5tupleIJNSA_16discard_iteratorISK_EESF_EEENSM_IJSG_SG_EEES6_PlJS6_EEE10hipError_tPvRmT3_T4_T5_T6_T7_T9_mT8_P12ihipStream_tbDpT10_ENKUlT_T0_E_clISt17integral_constantIbLb1EES1B_EEDaS16_S17_EUlS16_E_NS1_11comp_targetILNS1_3genE9ELNS1_11target_archE1100ELNS1_3gpuE3ELNS1_3repE0EEENS1_30default_config_static_selectorELNS0_4arch9wavefront6targetE1EEEvT1_,"axG",@progbits,_ZN7rocprim17ROCPRIM_400000_NS6detail17trampoline_kernelINS0_14default_configENS1_25partition_config_selectorILNS1_17partition_subalgoE1EtNS0_10empty_typeEbEEZZNS1_14partition_implILS5_1ELb0ES3_jN6thrust23THRUST_200600_302600_NS6detail15normal_iteratorINSA_10device_ptrItEEEEPS6_NSA_18transform_iteratorI7is_evenItESF_NSA_11use_defaultESK_EENS0_5tupleIJNSA_16discard_iteratorISK_EESF_EEENSM_IJSG_SG_EEES6_PlJS6_EEE10hipError_tPvRmT3_T4_T5_T6_T7_T9_mT8_P12ihipStream_tbDpT10_ENKUlT_T0_E_clISt17integral_constantIbLb1EES1B_EEDaS16_S17_EUlS16_E_NS1_11comp_targetILNS1_3genE9ELNS1_11target_archE1100ELNS1_3gpuE3ELNS1_3repE0EEENS1_30default_config_static_selectorELNS0_4arch9wavefront6targetE1EEEvT1_,comdat
	.protected	_ZN7rocprim17ROCPRIM_400000_NS6detail17trampoline_kernelINS0_14default_configENS1_25partition_config_selectorILNS1_17partition_subalgoE1EtNS0_10empty_typeEbEEZZNS1_14partition_implILS5_1ELb0ES3_jN6thrust23THRUST_200600_302600_NS6detail15normal_iteratorINSA_10device_ptrItEEEEPS6_NSA_18transform_iteratorI7is_evenItESF_NSA_11use_defaultESK_EENS0_5tupleIJNSA_16discard_iteratorISK_EESF_EEENSM_IJSG_SG_EEES6_PlJS6_EEE10hipError_tPvRmT3_T4_T5_T6_T7_T9_mT8_P12ihipStream_tbDpT10_ENKUlT_T0_E_clISt17integral_constantIbLb1EES1B_EEDaS16_S17_EUlS16_E_NS1_11comp_targetILNS1_3genE9ELNS1_11target_archE1100ELNS1_3gpuE3ELNS1_3repE0EEENS1_30default_config_static_selectorELNS0_4arch9wavefront6targetE1EEEvT1_ ; -- Begin function _ZN7rocprim17ROCPRIM_400000_NS6detail17trampoline_kernelINS0_14default_configENS1_25partition_config_selectorILNS1_17partition_subalgoE1EtNS0_10empty_typeEbEEZZNS1_14partition_implILS5_1ELb0ES3_jN6thrust23THRUST_200600_302600_NS6detail15normal_iteratorINSA_10device_ptrItEEEEPS6_NSA_18transform_iteratorI7is_evenItESF_NSA_11use_defaultESK_EENS0_5tupleIJNSA_16discard_iteratorISK_EESF_EEENSM_IJSG_SG_EEES6_PlJS6_EEE10hipError_tPvRmT3_T4_T5_T6_T7_T9_mT8_P12ihipStream_tbDpT10_ENKUlT_T0_E_clISt17integral_constantIbLb1EES1B_EEDaS16_S17_EUlS16_E_NS1_11comp_targetILNS1_3genE9ELNS1_11target_archE1100ELNS1_3gpuE3ELNS1_3repE0EEENS1_30default_config_static_selectorELNS0_4arch9wavefront6targetE1EEEvT1_
	.globl	_ZN7rocprim17ROCPRIM_400000_NS6detail17trampoline_kernelINS0_14default_configENS1_25partition_config_selectorILNS1_17partition_subalgoE1EtNS0_10empty_typeEbEEZZNS1_14partition_implILS5_1ELb0ES3_jN6thrust23THRUST_200600_302600_NS6detail15normal_iteratorINSA_10device_ptrItEEEEPS6_NSA_18transform_iteratorI7is_evenItESF_NSA_11use_defaultESK_EENS0_5tupleIJNSA_16discard_iteratorISK_EESF_EEENSM_IJSG_SG_EEES6_PlJS6_EEE10hipError_tPvRmT3_T4_T5_T6_T7_T9_mT8_P12ihipStream_tbDpT10_ENKUlT_T0_E_clISt17integral_constantIbLb1EES1B_EEDaS16_S17_EUlS16_E_NS1_11comp_targetILNS1_3genE9ELNS1_11target_archE1100ELNS1_3gpuE3ELNS1_3repE0EEENS1_30default_config_static_selectorELNS0_4arch9wavefront6targetE1EEEvT1_
	.p2align	8
	.type	_ZN7rocprim17ROCPRIM_400000_NS6detail17trampoline_kernelINS0_14default_configENS1_25partition_config_selectorILNS1_17partition_subalgoE1EtNS0_10empty_typeEbEEZZNS1_14partition_implILS5_1ELb0ES3_jN6thrust23THRUST_200600_302600_NS6detail15normal_iteratorINSA_10device_ptrItEEEEPS6_NSA_18transform_iteratorI7is_evenItESF_NSA_11use_defaultESK_EENS0_5tupleIJNSA_16discard_iteratorISK_EESF_EEENSM_IJSG_SG_EEES6_PlJS6_EEE10hipError_tPvRmT3_T4_T5_T6_T7_T9_mT8_P12ihipStream_tbDpT10_ENKUlT_T0_E_clISt17integral_constantIbLb1EES1B_EEDaS16_S17_EUlS16_E_NS1_11comp_targetILNS1_3genE9ELNS1_11target_archE1100ELNS1_3gpuE3ELNS1_3repE0EEENS1_30default_config_static_selectorELNS0_4arch9wavefront6targetE1EEEvT1_,@function
_ZN7rocprim17ROCPRIM_400000_NS6detail17trampoline_kernelINS0_14default_configENS1_25partition_config_selectorILNS1_17partition_subalgoE1EtNS0_10empty_typeEbEEZZNS1_14partition_implILS5_1ELb0ES3_jN6thrust23THRUST_200600_302600_NS6detail15normal_iteratorINSA_10device_ptrItEEEEPS6_NSA_18transform_iteratorI7is_evenItESF_NSA_11use_defaultESK_EENS0_5tupleIJNSA_16discard_iteratorISK_EESF_EEENSM_IJSG_SG_EEES6_PlJS6_EEE10hipError_tPvRmT3_T4_T5_T6_T7_T9_mT8_P12ihipStream_tbDpT10_ENKUlT_T0_E_clISt17integral_constantIbLb1EES1B_EEDaS16_S17_EUlS16_E_NS1_11comp_targetILNS1_3genE9ELNS1_11target_archE1100ELNS1_3gpuE3ELNS1_3repE0EEENS1_30default_config_static_selectorELNS0_4arch9wavefront6targetE1EEEvT1_: ; @_ZN7rocprim17ROCPRIM_400000_NS6detail17trampoline_kernelINS0_14default_configENS1_25partition_config_selectorILNS1_17partition_subalgoE1EtNS0_10empty_typeEbEEZZNS1_14partition_implILS5_1ELb0ES3_jN6thrust23THRUST_200600_302600_NS6detail15normal_iteratorINSA_10device_ptrItEEEEPS6_NSA_18transform_iteratorI7is_evenItESF_NSA_11use_defaultESK_EENS0_5tupleIJNSA_16discard_iteratorISK_EESF_EEENSM_IJSG_SG_EEES6_PlJS6_EEE10hipError_tPvRmT3_T4_T5_T6_T7_T9_mT8_P12ihipStream_tbDpT10_ENKUlT_T0_E_clISt17integral_constantIbLb1EES1B_EEDaS16_S17_EUlS16_E_NS1_11comp_targetILNS1_3genE9ELNS1_11target_archE1100ELNS1_3gpuE3ELNS1_3repE0EEENS1_30default_config_static_selectorELNS0_4arch9wavefront6targetE1EEEvT1_
; %bb.0:
	.section	.rodata,"a",@progbits
	.p2align	6, 0x0
	.amdhsa_kernel _ZN7rocprim17ROCPRIM_400000_NS6detail17trampoline_kernelINS0_14default_configENS1_25partition_config_selectorILNS1_17partition_subalgoE1EtNS0_10empty_typeEbEEZZNS1_14partition_implILS5_1ELb0ES3_jN6thrust23THRUST_200600_302600_NS6detail15normal_iteratorINSA_10device_ptrItEEEEPS6_NSA_18transform_iteratorI7is_evenItESF_NSA_11use_defaultESK_EENS0_5tupleIJNSA_16discard_iteratorISK_EESF_EEENSM_IJSG_SG_EEES6_PlJS6_EEE10hipError_tPvRmT3_T4_T5_T6_T7_T9_mT8_P12ihipStream_tbDpT10_ENKUlT_T0_E_clISt17integral_constantIbLb1EES1B_EEDaS16_S17_EUlS16_E_NS1_11comp_targetILNS1_3genE9ELNS1_11target_archE1100ELNS1_3gpuE3ELNS1_3repE0EEENS1_30default_config_static_selectorELNS0_4arch9wavefront6targetE1EEEvT1_
		.amdhsa_group_segment_fixed_size 0
		.amdhsa_private_segment_fixed_size 0
		.amdhsa_kernarg_size 152
		.amdhsa_user_sgpr_count 2
		.amdhsa_user_sgpr_dispatch_ptr 0
		.amdhsa_user_sgpr_queue_ptr 0
		.amdhsa_user_sgpr_kernarg_segment_ptr 1
		.amdhsa_user_sgpr_dispatch_id 0
		.amdhsa_user_sgpr_kernarg_preload_length 0
		.amdhsa_user_sgpr_kernarg_preload_offset 0
		.amdhsa_user_sgpr_private_segment_size 0
		.amdhsa_uses_dynamic_stack 0
		.amdhsa_enable_private_segment 0
		.amdhsa_system_sgpr_workgroup_id_x 1
		.amdhsa_system_sgpr_workgroup_id_y 0
		.amdhsa_system_sgpr_workgroup_id_z 0
		.amdhsa_system_sgpr_workgroup_info 0
		.amdhsa_system_vgpr_workitem_id 0
		.amdhsa_next_free_vgpr 1
		.amdhsa_next_free_sgpr 0
		.amdhsa_accum_offset 4
		.amdhsa_reserve_vcc 0
		.amdhsa_float_round_mode_32 0
		.amdhsa_float_round_mode_16_64 0
		.amdhsa_float_denorm_mode_32 3
		.amdhsa_float_denorm_mode_16_64 3
		.amdhsa_dx10_clamp 1
		.amdhsa_ieee_mode 1
		.amdhsa_fp16_overflow 0
		.amdhsa_tg_split 0
		.amdhsa_exception_fp_ieee_invalid_op 0
		.amdhsa_exception_fp_denorm_src 0
		.amdhsa_exception_fp_ieee_div_zero 0
		.amdhsa_exception_fp_ieee_overflow 0
		.amdhsa_exception_fp_ieee_underflow 0
		.amdhsa_exception_fp_ieee_inexact 0
		.amdhsa_exception_int_div_zero 0
	.end_amdhsa_kernel
	.section	.text._ZN7rocprim17ROCPRIM_400000_NS6detail17trampoline_kernelINS0_14default_configENS1_25partition_config_selectorILNS1_17partition_subalgoE1EtNS0_10empty_typeEbEEZZNS1_14partition_implILS5_1ELb0ES3_jN6thrust23THRUST_200600_302600_NS6detail15normal_iteratorINSA_10device_ptrItEEEEPS6_NSA_18transform_iteratorI7is_evenItESF_NSA_11use_defaultESK_EENS0_5tupleIJNSA_16discard_iteratorISK_EESF_EEENSM_IJSG_SG_EEES6_PlJS6_EEE10hipError_tPvRmT3_T4_T5_T6_T7_T9_mT8_P12ihipStream_tbDpT10_ENKUlT_T0_E_clISt17integral_constantIbLb1EES1B_EEDaS16_S17_EUlS16_E_NS1_11comp_targetILNS1_3genE9ELNS1_11target_archE1100ELNS1_3gpuE3ELNS1_3repE0EEENS1_30default_config_static_selectorELNS0_4arch9wavefront6targetE1EEEvT1_,"axG",@progbits,_ZN7rocprim17ROCPRIM_400000_NS6detail17trampoline_kernelINS0_14default_configENS1_25partition_config_selectorILNS1_17partition_subalgoE1EtNS0_10empty_typeEbEEZZNS1_14partition_implILS5_1ELb0ES3_jN6thrust23THRUST_200600_302600_NS6detail15normal_iteratorINSA_10device_ptrItEEEEPS6_NSA_18transform_iteratorI7is_evenItESF_NSA_11use_defaultESK_EENS0_5tupleIJNSA_16discard_iteratorISK_EESF_EEENSM_IJSG_SG_EEES6_PlJS6_EEE10hipError_tPvRmT3_T4_T5_T6_T7_T9_mT8_P12ihipStream_tbDpT10_ENKUlT_T0_E_clISt17integral_constantIbLb1EES1B_EEDaS16_S17_EUlS16_E_NS1_11comp_targetILNS1_3genE9ELNS1_11target_archE1100ELNS1_3gpuE3ELNS1_3repE0EEENS1_30default_config_static_selectorELNS0_4arch9wavefront6targetE1EEEvT1_,comdat
.Lfunc_end3145:
	.size	_ZN7rocprim17ROCPRIM_400000_NS6detail17trampoline_kernelINS0_14default_configENS1_25partition_config_selectorILNS1_17partition_subalgoE1EtNS0_10empty_typeEbEEZZNS1_14partition_implILS5_1ELb0ES3_jN6thrust23THRUST_200600_302600_NS6detail15normal_iteratorINSA_10device_ptrItEEEEPS6_NSA_18transform_iteratorI7is_evenItESF_NSA_11use_defaultESK_EENS0_5tupleIJNSA_16discard_iteratorISK_EESF_EEENSM_IJSG_SG_EEES6_PlJS6_EEE10hipError_tPvRmT3_T4_T5_T6_T7_T9_mT8_P12ihipStream_tbDpT10_ENKUlT_T0_E_clISt17integral_constantIbLb1EES1B_EEDaS16_S17_EUlS16_E_NS1_11comp_targetILNS1_3genE9ELNS1_11target_archE1100ELNS1_3gpuE3ELNS1_3repE0EEENS1_30default_config_static_selectorELNS0_4arch9wavefront6targetE1EEEvT1_, .Lfunc_end3145-_ZN7rocprim17ROCPRIM_400000_NS6detail17trampoline_kernelINS0_14default_configENS1_25partition_config_selectorILNS1_17partition_subalgoE1EtNS0_10empty_typeEbEEZZNS1_14partition_implILS5_1ELb0ES3_jN6thrust23THRUST_200600_302600_NS6detail15normal_iteratorINSA_10device_ptrItEEEEPS6_NSA_18transform_iteratorI7is_evenItESF_NSA_11use_defaultESK_EENS0_5tupleIJNSA_16discard_iteratorISK_EESF_EEENSM_IJSG_SG_EEES6_PlJS6_EEE10hipError_tPvRmT3_T4_T5_T6_T7_T9_mT8_P12ihipStream_tbDpT10_ENKUlT_T0_E_clISt17integral_constantIbLb1EES1B_EEDaS16_S17_EUlS16_E_NS1_11comp_targetILNS1_3genE9ELNS1_11target_archE1100ELNS1_3gpuE3ELNS1_3repE0EEENS1_30default_config_static_selectorELNS0_4arch9wavefront6targetE1EEEvT1_
                                        ; -- End function
	.section	.AMDGPU.csdata,"",@progbits
; Kernel info:
; codeLenInByte = 0
; NumSgprs: 6
; NumVgprs: 0
; NumAgprs: 0
; TotalNumVgprs: 0
; ScratchSize: 0
; MemoryBound: 0
; FloatMode: 240
; IeeeMode: 1
; LDSByteSize: 0 bytes/workgroup (compile time only)
; SGPRBlocks: 0
; VGPRBlocks: 0
; NumSGPRsForWavesPerEU: 6
; NumVGPRsForWavesPerEU: 1
; AccumOffset: 4
; Occupancy: 8
; WaveLimiterHint : 0
; COMPUTE_PGM_RSRC2:SCRATCH_EN: 0
; COMPUTE_PGM_RSRC2:USER_SGPR: 2
; COMPUTE_PGM_RSRC2:TRAP_HANDLER: 0
; COMPUTE_PGM_RSRC2:TGID_X_EN: 1
; COMPUTE_PGM_RSRC2:TGID_Y_EN: 0
; COMPUTE_PGM_RSRC2:TGID_Z_EN: 0
; COMPUTE_PGM_RSRC2:TIDIG_COMP_CNT: 0
; COMPUTE_PGM_RSRC3_GFX90A:ACCUM_OFFSET: 0
; COMPUTE_PGM_RSRC3_GFX90A:TG_SPLIT: 0
	.section	.text._ZN7rocprim17ROCPRIM_400000_NS6detail17trampoline_kernelINS0_14default_configENS1_25partition_config_selectorILNS1_17partition_subalgoE1EtNS0_10empty_typeEbEEZZNS1_14partition_implILS5_1ELb0ES3_jN6thrust23THRUST_200600_302600_NS6detail15normal_iteratorINSA_10device_ptrItEEEEPS6_NSA_18transform_iteratorI7is_evenItESF_NSA_11use_defaultESK_EENS0_5tupleIJNSA_16discard_iteratorISK_EESF_EEENSM_IJSG_SG_EEES6_PlJS6_EEE10hipError_tPvRmT3_T4_T5_T6_T7_T9_mT8_P12ihipStream_tbDpT10_ENKUlT_T0_E_clISt17integral_constantIbLb1EES1B_EEDaS16_S17_EUlS16_E_NS1_11comp_targetILNS1_3genE8ELNS1_11target_archE1030ELNS1_3gpuE2ELNS1_3repE0EEENS1_30default_config_static_selectorELNS0_4arch9wavefront6targetE1EEEvT1_,"axG",@progbits,_ZN7rocprim17ROCPRIM_400000_NS6detail17trampoline_kernelINS0_14default_configENS1_25partition_config_selectorILNS1_17partition_subalgoE1EtNS0_10empty_typeEbEEZZNS1_14partition_implILS5_1ELb0ES3_jN6thrust23THRUST_200600_302600_NS6detail15normal_iteratorINSA_10device_ptrItEEEEPS6_NSA_18transform_iteratorI7is_evenItESF_NSA_11use_defaultESK_EENS0_5tupleIJNSA_16discard_iteratorISK_EESF_EEENSM_IJSG_SG_EEES6_PlJS6_EEE10hipError_tPvRmT3_T4_T5_T6_T7_T9_mT8_P12ihipStream_tbDpT10_ENKUlT_T0_E_clISt17integral_constantIbLb1EES1B_EEDaS16_S17_EUlS16_E_NS1_11comp_targetILNS1_3genE8ELNS1_11target_archE1030ELNS1_3gpuE2ELNS1_3repE0EEENS1_30default_config_static_selectorELNS0_4arch9wavefront6targetE1EEEvT1_,comdat
	.protected	_ZN7rocprim17ROCPRIM_400000_NS6detail17trampoline_kernelINS0_14default_configENS1_25partition_config_selectorILNS1_17partition_subalgoE1EtNS0_10empty_typeEbEEZZNS1_14partition_implILS5_1ELb0ES3_jN6thrust23THRUST_200600_302600_NS6detail15normal_iteratorINSA_10device_ptrItEEEEPS6_NSA_18transform_iteratorI7is_evenItESF_NSA_11use_defaultESK_EENS0_5tupleIJNSA_16discard_iteratorISK_EESF_EEENSM_IJSG_SG_EEES6_PlJS6_EEE10hipError_tPvRmT3_T4_T5_T6_T7_T9_mT8_P12ihipStream_tbDpT10_ENKUlT_T0_E_clISt17integral_constantIbLb1EES1B_EEDaS16_S17_EUlS16_E_NS1_11comp_targetILNS1_3genE8ELNS1_11target_archE1030ELNS1_3gpuE2ELNS1_3repE0EEENS1_30default_config_static_selectorELNS0_4arch9wavefront6targetE1EEEvT1_ ; -- Begin function _ZN7rocprim17ROCPRIM_400000_NS6detail17trampoline_kernelINS0_14default_configENS1_25partition_config_selectorILNS1_17partition_subalgoE1EtNS0_10empty_typeEbEEZZNS1_14partition_implILS5_1ELb0ES3_jN6thrust23THRUST_200600_302600_NS6detail15normal_iteratorINSA_10device_ptrItEEEEPS6_NSA_18transform_iteratorI7is_evenItESF_NSA_11use_defaultESK_EENS0_5tupleIJNSA_16discard_iteratorISK_EESF_EEENSM_IJSG_SG_EEES6_PlJS6_EEE10hipError_tPvRmT3_T4_T5_T6_T7_T9_mT8_P12ihipStream_tbDpT10_ENKUlT_T0_E_clISt17integral_constantIbLb1EES1B_EEDaS16_S17_EUlS16_E_NS1_11comp_targetILNS1_3genE8ELNS1_11target_archE1030ELNS1_3gpuE2ELNS1_3repE0EEENS1_30default_config_static_selectorELNS0_4arch9wavefront6targetE1EEEvT1_
	.globl	_ZN7rocprim17ROCPRIM_400000_NS6detail17trampoline_kernelINS0_14default_configENS1_25partition_config_selectorILNS1_17partition_subalgoE1EtNS0_10empty_typeEbEEZZNS1_14partition_implILS5_1ELb0ES3_jN6thrust23THRUST_200600_302600_NS6detail15normal_iteratorINSA_10device_ptrItEEEEPS6_NSA_18transform_iteratorI7is_evenItESF_NSA_11use_defaultESK_EENS0_5tupleIJNSA_16discard_iteratorISK_EESF_EEENSM_IJSG_SG_EEES6_PlJS6_EEE10hipError_tPvRmT3_T4_T5_T6_T7_T9_mT8_P12ihipStream_tbDpT10_ENKUlT_T0_E_clISt17integral_constantIbLb1EES1B_EEDaS16_S17_EUlS16_E_NS1_11comp_targetILNS1_3genE8ELNS1_11target_archE1030ELNS1_3gpuE2ELNS1_3repE0EEENS1_30default_config_static_selectorELNS0_4arch9wavefront6targetE1EEEvT1_
	.p2align	8
	.type	_ZN7rocprim17ROCPRIM_400000_NS6detail17trampoline_kernelINS0_14default_configENS1_25partition_config_selectorILNS1_17partition_subalgoE1EtNS0_10empty_typeEbEEZZNS1_14partition_implILS5_1ELb0ES3_jN6thrust23THRUST_200600_302600_NS6detail15normal_iteratorINSA_10device_ptrItEEEEPS6_NSA_18transform_iteratorI7is_evenItESF_NSA_11use_defaultESK_EENS0_5tupleIJNSA_16discard_iteratorISK_EESF_EEENSM_IJSG_SG_EEES6_PlJS6_EEE10hipError_tPvRmT3_T4_T5_T6_T7_T9_mT8_P12ihipStream_tbDpT10_ENKUlT_T0_E_clISt17integral_constantIbLb1EES1B_EEDaS16_S17_EUlS16_E_NS1_11comp_targetILNS1_3genE8ELNS1_11target_archE1030ELNS1_3gpuE2ELNS1_3repE0EEENS1_30default_config_static_selectorELNS0_4arch9wavefront6targetE1EEEvT1_,@function
_ZN7rocprim17ROCPRIM_400000_NS6detail17trampoline_kernelINS0_14default_configENS1_25partition_config_selectorILNS1_17partition_subalgoE1EtNS0_10empty_typeEbEEZZNS1_14partition_implILS5_1ELb0ES3_jN6thrust23THRUST_200600_302600_NS6detail15normal_iteratorINSA_10device_ptrItEEEEPS6_NSA_18transform_iteratorI7is_evenItESF_NSA_11use_defaultESK_EENS0_5tupleIJNSA_16discard_iteratorISK_EESF_EEENSM_IJSG_SG_EEES6_PlJS6_EEE10hipError_tPvRmT3_T4_T5_T6_T7_T9_mT8_P12ihipStream_tbDpT10_ENKUlT_T0_E_clISt17integral_constantIbLb1EES1B_EEDaS16_S17_EUlS16_E_NS1_11comp_targetILNS1_3genE8ELNS1_11target_archE1030ELNS1_3gpuE2ELNS1_3repE0EEENS1_30default_config_static_selectorELNS0_4arch9wavefront6targetE1EEEvT1_: ; @_ZN7rocprim17ROCPRIM_400000_NS6detail17trampoline_kernelINS0_14default_configENS1_25partition_config_selectorILNS1_17partition_subalgoE1EtNS0_10empty_typeEbEEZZNS1_14partition_implILS5_1ELb0ES3_jN6thrust23THRUST_200600_302600_NS6detail15normal_iteratorINSA_10device_ptrItEEEEPS6_NSA_18transform_iteratorI7is_evenItESF_NSA_11use_defaultESK_EENS0_5tupleIJNSA_16discard_iteratorISK_EESF_EEENSM_IJSG_SG_EEES6_PlJS6_EEE10hipError_tPvRmT3_T4_T5_T6_T7_T9_mT8_P12ihipStream_tbDpT10_ENKUlT_T0_E_clISt17integral_constantIbLb1EES1B_EEDaS16_S17_EUlS16_E_NS1_11comp_targetILNS1_3genE8ELNS1_11target_archE1030ELNS1_3gpuE2ELNS1_3repE0EEENS1_30default_config_static_selectorELNS0_4arch9wavefront6targetE1EEEvT1_
; %bb.0:
	.section	.rodata,"a",@progbits
	.p2align	6, 0x0
	.amdhsa_kernel _ZN7rocprim17ROCPRIM_400000_NS6detail17trampoline_kernelINS0_14default_configENS1_25partition_config_selectorILNS1_17partition_subalgoE1EtNS0_10empty_typeEbEEZZNS1_14partition_implILS5_1ELb0ES3_jN6thrust23THRUST_200600_302600_NS6detail15normal_iteratorINSA_10device_ptrItEEEEPS6_NSA_18transform_iteratorI7is_evenItESF_NSA_11use_defaultESK_EENS0_5tupleIJNSA_16discard_iteratorISK_EESF_EEENSM_IJSG_SG_EEES6_PlJS6_EEE10hipError_tPvRmT3_T4_T5_T6_T7_T9_mT8_P12ihipStream_tbDpT10_ENKUlT_T0_E_clISt17integral_constantIbLb1EES1B_EEDaS16_S17_EUlS16_E_NS1_11comp_targetILNS1_3genE8ELNS1_11target_archE1030ELNS1_3gpuE2ELNS1_3repE0EEENS1_30default_config_static_selectorELNS0_4arch9wavefront6targetE1EEEvT1_
		.amdhsa_group_segment_fixed_size 0
		.amdhsa_private_segment_fixed_size 0
		.amdhsa_kernarg_size 152
		.amdhsa_user_sgpr_count 2
		.amdhsa_user_sgpr_dispatch_ptr 0
		.amdhsa_user_sgpr_queue_ptr 0
		.amdhsa_user_sgpr_kernarg_segment_ptr 1
		.amdhsa_user_sgpr_dispatch_id 0
		.amdhsa_user_sgpr_kernarg_preload_length 0
		.amdhsa_user_sgpr_kernarg_preload_offset 0
		.amdhsa_user_sgpr_private_segment_size 0
		.amdhsa_uses_dynamic_stack 0
		.amdhsa_enable_private_segment 0
		.amdhsa_system_sgpr_workgroup_id_x 1
		.amdhsa_system_sgpr_workgroup_id_y 0
		.amdhsa_system_sgpr_workgroup_id_z 0
		.amdhsa_system_sgpr_workgroup_info 0
		.amdhsa_system_vgpr_workitem_id 0
		.amdhsa_next_free_vgpr 1
		.amdhsa_next_free_sgpr 0
		.amdhsa_accum_offset 4
		.amdhsa_reserve_vcc 0
		.amdhsa_float_round_mode_32 0
		.amdhsa_float_round_mode_16_64 0
		.amdhsa_float_denorm_mode_32 3
		.amdhsa_float_denorm_mode_16_64 3
		.amdhsa_dx10_clamp 1
		.amdhsa_ieee_mode 1
		.amdhsa_fp16_overflow 0
		.amdhsa_tg_split 0
		.amdhsa_exception_fp_ieee_invalid_op 0
		.amdhsa_exception_fp_denorm_src 0
		.amdhsa_exception_fp_ieee_div_zero 0
		.amdhsa_exception_fp_ieee_overflow 0
		.amdhsa_exception_fp_ieee_underflow 0
		.amdhsa_exception_fp_ieee_inexact 0
		.amdhsa_exception_int_div_zero 0
	.end_amdhsa_kernel
	.section	.text._ZN7rocprim17ROCPRIM_400000_NS6detail17trampoline_kernelINS0_14default_configENS1_25partition_config_selectorILNS1_17partition_subalgoE1EtNS0_10empty_typeEbEEZZNS1_14partition_implILS5_1ELb0ES3_jN6thrust23THRUST_200600_302600_NS6detail15normal_iteratorINSA_10device_ptrItEEEEPS6_NSA_18transform_iteratorI7is_evenItESF_NSA_11use_defaultESK_EENS0_5tupleIJNSA_16discard_iteratorISK_EESF_EEENSM_IJSG_SG_EEES6_PlJS6_EEE10hipError_tPvRmT3_T4_T5_T6_T7_T9_mT8_P12ihipStream_tbDpT10_ENKUlT_T0_E_clISt17integral_constantIbLb1EES1B_EEDaS16_S17_EUlS16_E_NS1_11comp_targetILNS1_3genE8ELNS1_11target_archE1030ELNS1_3gpuE2ELNS1_3repE0EEENS1_30default_config_static_selectorELNS0_4arch9wavefront6targetE1EEEvT1_,"axG",@progbits,_ZN7rocprim17ROCPRIM_400000_NS6detail17trampoline_kernelINS0_14default_configENS1_25partition_config_selectorILNS1_17partition_subalgoE1EtNS0_10empty_typeEbEEZZNS1_14partition_implILS5_1ELb0ES3_jN6thrust23THRUST_200600_302600_NS6detail15normal_iteratorINSA_10device_ptrItEEEEPS6_NSA_18transform_iteratorI7is_evenItESF_NSA_11use_defaultESK_EENS0_5tupleIJNSA_16discard_iteratorISK_EESF_EEENSM_IJSG_SG_EEES6_PlJS6_EEE10hipError_tPvRmT3_T4_T5_T6_T7_T9_mT8_P12ihipStream_tbDpT10_ENKUlT_T0_E_clISt17integral_constantIbLb1EES1B_EEDaS16_S17_EUlS16_E_NS1_11comp_targetILNS1_3genE8ELNS1_11target_archE1030ELNS1_3gpuE2ELNS1_3repE0EEENS1_30default_config_static_selectorELNS0_4arch9wavefront6targetE1EEEvT1_,comdat
.Lfunc_end3146:
	.size	_ZN7rocprim17ROCPRIM_400000_NS6detail17trampoline_kernelINS0_14default_configENS1_25partition_config_selectorILNS1_17partition_subalgoE1EtNS0_10empty_typeEbEEZZNS1_14partition_implILS5_1ELb0ES3_jN6thrust23THRUST_200600_302600_NS6detail15normal_iteratorINSA_10device_ptrItEEEEPS6_NSA_18transform_iteratorI7is_evenItESF_NSA_11use_defaultESK_EENS0_5tupleIJNSA_16discard_iteratorISK_EESF_EEENSM_IJSG_SG_EEES6_PlJS6_EEE10hipError_tPvRmT3_T4_T5_T6_T7_T9_mT8_P12ihipStream_tbDpT10_ENKUlT_T0_E_clISt17integral_constantIbLb1EES1B_EEDaS16_S17_EUlS16_E_NS1_11comp_targetILNS1_3genE8ELNS1_11target_archE1030ELNS1_3gpuE2ELNS1_3repE0EEENS1_30default_config_static_selectorELNS0_4arch9wavefront6targetE1EEEvT1_, .Lfunc_end3146-_ZN7rocprim17ROCPRIM_400000_NS6detail17trampoline_kernelINS0_14default_configENS1_25partition_config_selectorILNS1_17partition_subalgoE1EtNS0_10empty_typeEbEEZZNS1_14partition_implILS5_1ELb0ES3_jN6thrust23THRUST_200600_302600_NS6detail15normal_iteratorINSA_10device_ptrItEEEEPS6_NSA_18transform_iteratorI7is_evenItESF_NSA_11use_defaultESK_EENS0_5tupleIJNSA_16discard_iteratorISK_EESF_EEENSM_IJSG_SG_EEES6_PlJS6_EEE10hipError_tPvRmT3_T4_T5_T6_T7_T9_mT8_P12ihipStream_tbDpT10_ENKUlT_T0_E_clISt17integral_constantIbLb1EES1B_EEDaS16_S17_EUlS16_E_NS1_11comp_targetILNS1_3genE8ELNS1_11target_archE1030ELNS1_3gpuE2ELNS1_3repE0EEENS1_30default_config_static_selectorELNS0_4arch9wavefront6targetE1EEEvT1_
                                        ; -- End function
	.section	.AMDGPU.csdata,"",@progbits
; Kernel info:
; codeLenInByte = 0
; NumSgprs: 6
; NumVgprs: 0
; NumAgprs: 0
; TotalNumVgprs: 0
; ScratchSize: 0
; MemoryBound: 0
; FloatMode: 240
; IeeeMode: 1
; LDSByteSize: 0 bytes/workgroup (compile time only)
; SGPRBlocks: 0
; VGPRBlocks: 0
; NumSGPRsForWavesPerEU: 6
; NumVGPRsForWavesPerEU: 1
; AccumOffset: 4
; Occupancy: 8
; WaveLimiterHint : 0
; COMPUTE_PGM_RSRC2:SCRATCH_EN: 0
; COMPUTE_PGM_RSRC2:USER_SGPR: 2
; COMPUTE_PGM_RSRC2:TRAP_HANDLER: 0
; COMPUTE_PGM_RSRC2:TGID_X_EN: 1
; COMPUTE_PGM_RSRC2:TGID_Y_EN: 0
; COMPUTE_PGM_RSRC2:TGID_Z_EN: 0
; COMPUTE_PGM_RSRC2:TIDIG_COMP_CNT: 0
; COMPUTE_PGM_RSRC3_GFX90A:ACCUM_OFFSET: 0
; COMPUTE_PGM_RSRC3_GFX90A:TG_SPLIT: 0
	.section	.text._ZN7rocprim17ROCPRIM_400000_NS6detail17trampoline_kernelINS0_14default_configENS1_25partition_config_selectorILNS1_17partition_subalgoE1EtNS0_10empty_typeEbEEZZNS1_14partition_implILS5_1ELb0ES3_jN6thrust23THRUST_200600_302600_NS6detail15normal_iteratorINSA_10device_ptrItEEEEPS6_NSA_18transform_iteratorI7is_evenItESF_NSA_11use_defaultESK_EENS0_5tupleIJNSA_16discard_iteratorISK_EESF_EEENSM_IJSG_SG_EEES6_PlJS6_EEE10hipError_tPvRmT3_T4_T5_T6_T7_T9_mT8_P12ihipStream_tbDpT10_ENKUlT_T0_E_clISt17integral_constantIbLb1EES1A_IbLb0EEEEDaS16_S17_EUlS16_E_NS1_11comp_targetILNS1_3genE0ELNS1_11target_archE4294967295ELNS1_3gpuE0ELNS1_3repE0EEENS1_30default_config_static_selectorELNS0_4arch9wavefront6targetE1EEEvT1_,"axG",@progbits,_ZN7rocprim17ROCPRIM_400000_NS6detail17trampoline_kernelINS0_14default_configENS1_25partition_config_selectorILNS1_17partition_subalgoE1EtNS0_10empty_typeEbEEZZNS1_14partition_implILS5_1ELb0ES3_jN6thrust23THRUST_200600_302600_NS6detail15normal_iteratorINSA_10device_ptrItEEEEPS6_NSA_18transform_iteratorI7is_evenItESF_NSA_11use_defaultESK_EENS0_5tupleIJNSA_16discard_iteratorISK_EESF_EEENSM_IJSG_SG_EEES6_PlJS6_EEE10hipError_tPvRmT3_T4_T5_T6_T7_T9_mT8_P12ihipStream_tbDpT10_ENKUlT_T0_E_clISt17integral_constantIbLb1EES1A_IbLb0EEEEDaS16_S17_EUlS16_E_NS1_11comp_targetILNS1_3genE0ELNS1_11target_archE4294967295ELNS1_3gpuE0ELNS1_3repE0EEENS1_30default_config_static_selectorELNS0_4arch9wavefront6targetE1EEEvT1_,comdat
	.protected	_ZN7rocprim17ROCPRIM_400000_NS6detail17trampoline_kernelINS0_14default_configENS1_25partition_config_selectorILNS1_17partition_subalgoE1EtNS0_10empty_typeEbEEZZNS1_14partition_implILS5_1ELb0ES3_jN6thrust23THRUST_200600_302600_NS6detail15normal_iteratorINSA_10device_ptrItEEEEPS6_NSA_18transform_iteratorI7is_evenItESF_NSA_11use_defaultESK_EENS0_5tupleIJNSA_16discard_iteratorISK_EESF_EEENSM_IJSG_SG_EEES6_PlJS6_EEE10hipError_tPvRmT3_T4_T5_T6_T7_T9_mT8_P12ihipStream_tbDpT10_ENKUlT_T0_E_clISt17integral_constantIbLb1EES1A_IbLb0EEEEDaS16_S17_EUlS16_E_NS1_11comp_targetILNS1_3genE0ELNS1_11target_archE4294967295ELNS1_3gpuE0ELNS1_3repE0EEENS1_30default_config_static_selectorELNS0_4arch9wavefront6targetE1EEEvT1_ ; -- Begin function _ZN7rocprim17ROCPRIM_400000_NS6detail17trampoline_kernelINS0_14default_configENS1_25partition_config_selectorILNS1_17partition_subalgoE1EtNS0_10empty_typeEbEEZZNS1_14partition_implILS5_1ELb0ES3_jN6thrust23THRUST_200600_302600_NS6detail15normal_iteratorINSA_10device_ptrItEEEEPS6_NSA_18transform_iteratorI7is_evenItESF_NSA_11use_defaultESK_EENS0_5tupleIJNSA_16discard_iteratorISK_EESF_EEENSM_IJSG_SG_EEES6_PlJS6_EEE10hipError_tPvRmT3_T4_T5_T6_T7_T9_mT8_P12ihipStream_tbDpT10_ENKUlT_T0_E_clISt17integral_constantIbLb1EES1A_IbLb0EEEEDaS16_S17_EUlS16_E_NS1_11comp_targetILNS1_3genE0ELNS1_11target_archE4294967295ELNS1_3gpuE0ELNS1_3repE0EEENS1_30default_config_static_selectorELNS0_4arch9wavefront6targetE1EEEvT1_
	.globl	_ZN7rocprim17ROCPRIM_400000_NS6detail17trampoline_kernelINS0_14default_configENS1_25partition_config_selectorILNS1_17partition_subalgoE1EtNS0_10empty_typeEbEEZZNS1_14partition_implILS5_1ELb0ES3_jN6thrust23THRUST_200600_302600_NS6detail15normal_iteratorINSA_10device_ptrItEEEEPS6_NSA_18transform_iteratorI7is_evenItESF_NSA_11use_defaultESK_EENS0_5tupleIJNSA_16discard_iteratorISK_EESF_EEENSM_IJSG_SG_EEES6_PlJS6_EEE10hipError_tPvRmT3_T4_T5_T6_T7_T9_mT8_P12ihipStream_tbDpT10_ENKUlT_T0_E_clISt17integral_constantIbLb1EES1A_IbLb0EEEEDaS16_S17_EUlS16_E_NS1_11comp_targetILNS1_3genE0ELNS1_11target_archE4294967295ELNS1_3gpuE0ELNS1_3repE0EEENS1_30default_config_static_selectorELNS0_4arch9wavefront6targetE1EEEvT1_
	.p2align	8
	.type	_ZN7rocprim17ROCPRIM_400000_NS6detail17trampoline_kernelINS0_14default_configENS1_25partition_config_selectorILNS1_17partition_subalgoE1EtNS0_10empty_typeEbEEZZNS1_14partition_implILS5_1ELb0ES3_jN6thrust23THRUST_200600_302600_NS6detail15normal_iteratorINSA_10device_ptrItEEEEPS6_NSA_18transform_iteratorI7is_evenItESF_NSA_11use_defaultESK_EENS0_5tupleIJNSA_16discard_iteratorISK_EESF_EEENSM_IJSG_SG_EEES6_PlJS6_EEE10hipError_tPvRmT3_T4_T5_T6_T7_T9_mT8_P12ihipStream_tbDpT10_ENKUlT_T0_E_clISt17integral_constantIbLb1EES1A_IbLb0EEEEDaS16_S17_EUlS16_E_NS1_11comp_targetILNS1_3genE0ELNS1_11target_archE4294967295ELNS1_3gpuE0ELNS1_3repE0EEENS1_30default_config_static_selectorELNS0_4arch9wavefront6targetE1EEEvT1_,@function
_ZN7rocprim17ROCPRIM_400000_NS6detail17trampoline_kernelINS0_14default_configENS1_25partition_config_selectorILNS1_17partition_subalgoE1EtNS0_10empty_typeEbEEZZNS1_14partition_implILS5_1ELb0ES3_jN6thrust23THRUST_200600_302600_NS6detail15normal_iteratorINSA_10device_ptrItEEEEPS6_NSA_18transform_iteratorI7is_evenItESF_NSA_11use_defaultESK_EENS0_5tupleIJNSA_16discard_iteratorISK_EESF_EEENSM_IJSG_SG_EEES6_PlJS6_EEE10hipError_tPvRmT3_T4_T5_T6_T7_T9_mT8_P12ihipStream_tbDpT10_ENKUlT_T0_E_clISt17integral_constantIbLb1EES1A_IbLb0EEEEDaS16_S17_EUlS16_E_NS1_11comp_targetILNS1_3genE0ELNS1_11target_archE4294967295ELNS1_3gpuE0ELNS1_3repE0EEENS1_30default_config_static_selectorELNS0_4arch9wavefront6targetE1EEEvT1_: ; @_ZN7rocprim17ROCPRIM_400000_NS6detail17trampoline_kernelINS0_14default_configENS1_25partition_config_selectorILNS1_17partition_subalgoE1EtNS0_10empty_typeEbEEZZNS1_14partition_implILS5_1ELb0ES3_jN6thrust23THRUST_200600_302600_NS6detail15normal_iteratorINSA_10device_ptrItEEEEPS6_NSA_18transform_iteratorI7is_evenItESF_NSA_11use_defaultESK_EENS0_5tupleIJNSA_16discard_iteratorISK_EESF_EEENSM_IJSG_SG_EEES6_PlJS6_EEE10hipError_tPvRmT3_T4_T5_T6_T7_T9_mT8_P12ihipStream_tbDpT10_ENKUlT_T0_E_clISt17integral_constantIbLb1EES1A_IbLb0EEEEDaS16_S17_EUlS16_E_NS1_11comp_targetILNS1_3genE0ELNS1_11target_archE4294967295ELNS1_3gpuE0ELNS1_3repE0EEENS1_30default_config_static_selectorELNS0_4arch9wavefront6targetE1EEEvT1_
; %bb.0:
	.section	.rodata,"a",@progbits
	.p2align	6, 0x0
	.amdhsa_kernel _ZN7rocprim17ROCPRIM_400000_NS6detail17trampoline_kernelINS0_14default_configENS1_25partition_config_selectorILNS1_17partition_subalgoE1EtNS0_10empty_typeEbEEZZNS1_14partition_implILS5_1ELb0ES3_jN6thrust23THRUST_200600_302600_NS6detail15normal_iteratorINSA_10device_ptrItEEEEPS6_NSA_18transform_iteratorI7is_evenItESF_NSA_11use_defaultESK_EENS0_5tupleIJNSA_16discard_iteratorISK_EESF_EEENSM_IJSG_SG_EEES6_PlJS6_EEE10hipError_tPvRmT3_T4_T5_T6_T7_T9_mT8_P12ihipStream_tbDpT10_ENKUlT_T0_E_clISt17integral_constantIbLb1EES1A_IbLb0EEEEDaS16_S17_EUlS16_E_NS1_11comp_targetILNS1_3genE0ELNS1_11target_archE4294967295ELNS1_3gpuE0ELNS1_3repE0EEENS1_30default_config_static_selectorELNS0_4arch9wavefront6targetE1EEEvT1_
		.amdhsa_group_segment_fixed_size 0
		.amdhsa_private_segment_fixed_size 0
		.amdhsa_kernarg_size 136
		.amdhsa_user_sgpr_count 2
		.amdhsa_user_sgpr_dispatch_ptr 0
		.amdhsa_user_sgpr_queue_ptr 0
		.amdhsa_user_sgpr_kernarg_segment_ptr 1
		.amdhsa_user_sgpr_dispatch_id 0
		.amdhsa_user_sgpr_kernarg_preload_length 0
		.amdhsa_user_sgpr_kernarg_preload_offset 0
		.amdhsa_user_sgpr_private_segment_size 0
		.amdhsa_uses_dynamic_stack 0
		.amdhsa_enable_private_segment 0
		.amdhsa_system_sgpr_workgroup_id_x 1
		.amdhsa_system_sgpr_workgroup_id_y 0
		.amdhsa_system_sgpr_workgroup_id_z 0
		.amdhsa_system_sgpr_workgroup_info 0
		.amdhsa_system_vgpr_workitem_id 0
		.amdhsa_next_free_vgpr 1
		.amdhsa_next_free_sgpr 0
		.amdhsa_accum_offset 4
		.amdhsa_reserve_vcc 0
		.amdhsa_float_round_mode_32 0
		.amdhsa_float_round_mode_16_64 0
		.amdhsa_float_denorm_mode_32 3
		.amdhsa_float_denorm_mode_16_64 3
		.amdhsa_dx10_clamp 1
		.amdhsa_ieee_mode 1
		.amdhsa_fp16_overflow 0
		.amdhsa_tg_split 0
		.amdhsa_exception_fp_ieee_invalid_op 0
		.amdhsa_exception_fp_denorm_src 0
		.amdhsa_exception_fp_ieee_div_zero 0
		.amdhsa_exception_fp_ieee_overflow 0
		.amdhsa_exception_fp_ieee_underflow 0
		.amdhsa_exception_fp_ieee_inexact 0
		.amdhsa_exception_int_div_zero 0
	.end_amdhsa_kernel
	.section	.text._ZN7rocprim17ROCPRIM_400000_NS6detail17trampoline_kernelINS0_14default_configENS1_25partition_config_selectorILNS1_17partition_subalgoE1EtNS0_10empty_typeEbEEZZNS1_14partition_implILS5_1ELb0ES3_jN6thrust23THRUST_200600_302600_NS6detail15normal_iteratorINSA_10device_ptrItEEEEPS6_NSA_18transform_iteratorI7is_evenItESF_NSA_11use_defaultESK_EENS0_5tupleIJNSA_16discard_iteratorISK_EESF_EEENSM_IJSG_SG_EEES6_PlJS6_EEE10hipError_tPvRmT3_T4_T5_T6_T7_T9_mT8_P12ihipStream_tbDpT10_ENKUlT_T0_E_clISt17integral_constantIbLb1EES1A_IbLb0EEEEDaS16_S17_EUlS16_E_NS1_11comp_targetILNS1_3genE0ELNS1_11target_archE4294967295ELNS1_3gpuE0ELNS1_3repE0EEENS1_30default_config_static_selectorELNS0_4arch9wavefront6targetE1EEEvT1_,"axG",@progbits,_ZN7rocprim17ROCPRIM_400000_NS6detail17trampoline_kernelINS0_14default_configENS1_25partition_config_selectorILNS1_17partition_subalgoE1EtNS0_10empty_typeEbEEZZNS1_14partition_implILS5_1ELb0ES3_jN6thrust23THRUST_200600_302600_NS6detail15normal_iteratorINSA_10device_ptrItEEEEPS6_NSA_18transform_iteratorI7is_evenItESF_NSA_11use_defaultESK_EENS0_5tupleIJNSA_16discard_iteratorISK_EESF_EEENSM_IJSG_SG_EEES6_PlJS6_EEE10hipError_tPvRmT3_T4_T5_T6_T7_T9_mT8_P12ihipStream_tbDpT10_ENKUlT_T0_E_clISt17integral_constantIbLb1EES1A_IbLb0EEEEDaS16_S17_EUlS16_E_NS1_11comp_targetILNS1_3genE0ELNS1_11target_archE4294967295ELNS1_3gpuE0ELNS1_3repE0EEENS1_30default_config_static_selectorELNS0_4arch9wavefront6targetE1EEEvT1_,comdat
.Lfunc_end3147:
	.size	_ZN7rocprim17ROCPRIM_400000_NS6detail17trampoline_kernelINS0_14default_configENS1_25partition_config_selectorILNS1_17partition_subalgoE1EtNS0_10empty_typeEbEEZZNS1_14partition_implILS5_1ELb0ES3_jN6thrust23THRUST_200600_302600_NS6detail15normal_iteratorINSA_10device_ptrItEEEEPS6_NSA_18transform_iteratorI7is_evenItESF_NSA_11use_defaultESK_EENS0_5tupleIJNSA_16discard_iteratorISK_EESF_EEENSM_IJSG_SG_EEES6_PlJS6_EEE10hipError_tPvRmT3_T4_T5_T6_T7_T9_mT8_P12ihipStream_tbDpT10_ENKUlT_T0_E_clISt17integral_constantIbLb1EES1A_IbLb0EEEEDaS16_S17_EUlS16_E_NS1_11comp_targetILNS1_3genE0ELNS1_11target_archE4294967295ELNS1_3gpuE0ELNS1_3repE0EEENS1_30default_config_static_selectorELNS0_4arch9wavefront6targetE1EEEvT1_, .Lfunc_end3147-_ZN7rocprim17ROCPRIM_400000_NS6detail17trampoline_kernelINS0_14default_configENS1_25partition_config_selectorILNS1_17partition_subalgoE1EtNS0_10empty_typeEbEEZZNS1_14partition_implILS5_1ELb0ES3_jN6thrust23THRUST_200600_302600_NS6detail15normal_iteratorINSA_10device_ptrItEEEEPS6_NSA_18transform_iteratorI7is_evenItESF_NSA_11use_defaultESK_EENS0_5tupleIJNSA_16discard_iteratorISK_EESF_EEENSM_IJSG_SG_EEES6_PlJS6_EEE10hipError_tPvRmT3_T4_T5_T6_T7_T9_mT8_P12ihipStream_tbDpT10_ENKUlT_T0_E_clISt17integral_constantIbLb1EES1A_IbLb0EEEEDaS16_S17_EUlS16_E_NS1_11comp_targetILNS1_3genE0ELNS1_11target_archE4294967295ELNS1_3gpuE0ELNS1_3repE0EEENS1_30default_config_static_selectorELNS0_4arch9wavefront6targetE1EEEvT1_
                                        ; -- End function
	.section	.AMDGPU.csdata,"",@progbits
; Kernel info:
; codeLenInByte = 0
; NumSgprs: 6
; NumVgprs: 0
; NumAgprs: 0
; TotalNumVgprs: 0
; ScratchSize: 0
; MemoryBound: 0
; FloatMode: 240
; IeeeMode: 1
; LDSByteSize: 0 bytes/workgroup (compile time only)
; SGPRBlocks: 0
; VGPRBlocks: 0
; NumSGPRsForWavesPerEU: 6
; NumVGPRsForWavesPerEU: 1
; AccumOffset: 4
; Occupancy: 8
; WaveLimiterHint : 0
; COMPUTE_PGM_RSRC2:SCRATCH_EN: 0
; COMPUTE_PGM_RSRC2:USER_SGPR: 2
; COMPUTE_PGM_RSRC2:TRAP_HANDLER: 0
; COMPUTE_PGM_RSRC2:TGID_X_EN: 1
; COMPUTE_PGM_RSRC2:TGID_Y_EN: 0
; COMPUTE_PGM_RSRC2:TGID_Z_EN: 0
; COMPUTE_PGM_RSRC2:TIDIG_COMP_CNT: 0
; COMPUTE_PGM_RSRC3_GFX90A:ACCUM_OFFSET: 0
; COMPUTE_PGM_RSRC3_GFX90A:TG_SPLIT: 0
	.section	.text._ZN7rocprim17ROCPRIM_400000_NS6detail17trampoline_kernelINS0_14default_configENS1_25partition_config_selectorILNS1_17partition_subalgoE1EtNS0_10empty_typeEbEEZZNS1_14partition_implILS5_1ELb0ES3_jN6thrust23THRUST_200600_302600_NS6detail15normal_iteratorINSA_10device_ptrItEEEEPS6_NSA_18transform_iteratorI7is_evenItESF_NSA_11use_defaultESK_EENS0_5tupleIJNSA_16discard_iteratorISK_EESF_EEENSM_IJSG_SG_EEES6_PlJS6_EEE10hipError_tPvRmT3_T4_T5_T6_T7_T9_mT8_P12ihipStream_tbDpT10_ENKUlT_T0_E_clISt17integral_constantIbLb1EES1A_IbLb0EEEEDaS16_S17_EUlS16_E_NS1_11comp_targetILNS1_3genE5ELNS1_11target_archE942ELNS1_3gpuE9ELNS1_3repE0EEENS1_30default_config_static_selectorELNS0_4arch9wavefront6targetE1EEEvT1_,"axG",@progbits,_ZN7rocprim17ROCPRIM_400000_NS6detail17trampoline_kernelINS0_14default_configENS1_25partition_config_selectorILNS1_17partition_subalgoE1EtNS0_10empty_typeEbEEZZNS1_14partition_implILS5_1ELb0ES3_jN6thrust23THRUST_200600_302600_NS6detail15normal_iteratorINSA_10device_ptrItEEEEPS6_NSA_18transform_iteratorI7is_evenItESF_NSA_11use_defaultESK_EENS0_5tupleIJNSA_16discard_iteratorISK_EESF_EEENSM_IJSG_SG_EEES6_PlJS6_EEE10hipError_tPvRmT3_T4_T5_T6_T7_T9_mT8_P12ihipStream_tbDpT10_ENKUlT_T0_E_clISt17integral_constantIbLb1EES1A_IbLb0EEEEDaS16_S17_EUlS16_E_NS1_11comp_targetILNS1_3genE5ELNS1_11target_archE942ELNS1_3gpuE9ELNS1_3repE0EEENS1_30default_config_static_selectorELNS0_4arch9wavefront6targetE1EEEvT1_,comdat
	.protected	_ZN7rocprim17ROCPRIM_400000_NS6detail17trampoline_kernelINS0_14default_configENS1_25partition_config_selectorILNS1_17partition_subalgoE1EtNS0_10empty_typeEbEEZZNS1_14partition_implILS5_1ELb0ES3_jN6thrust23THRUST_200600_302600_NS6detail15normal_iteratorINSA_10device_ptrItEEEEPS6_NSA_18transform_iteratorI7is_evenItESF_NSA_11use_defaultESK_EENS0_5tupleIJNSA_16discard_iteratorISK_EESF_EEENSM_IJSG_SG_EEES6_PlJS6_EEE10hipError_tPvRmT3_T4_T5_T6_T7_T9_mT8_P12ihipStream_tbDpT10_ENKUlT_T0_E_clISt17integral_constantIbLb1EES1A_IbLb0EEEEDaS16_S17_EUlS16_E_NS1_11comp_targetILNS1_3genE5ELNS1_11target_archE942ELNS1_3gpuE9ELNS1_3repE0EEENS1_30default_config_static_selectorELNS0_4arch9wavefront6targetE1EEEvT1_ ; -- Begin function _ZN7rocprim17ROCPRIM_400000_NS6detail17trampoline_kernelINS0_14default_configENS1_25partition_config_selectorILNS1_17partition_subalgoE1EtNS0_10empty_typeEbEEZZNS1_14partition_implILS5_1ELb0ES3_jN6thrust23THRUST_200600_302600_NS6detail15normal_iteratorINSA_10device_ptrItEEEEPS6_NSA_18transform_iteratorI7is_evenItESF_NSA_11use_defaultESK_EENS0_5tupleIJNSA_16discard_iteratorISK_EESF_EEENSM_IJSG_SG_EEES6_PlJS6_EEE10hipError_tPvRmT3_T4_T5_T6_T7_T9_mT8_P12ihipStream_tbDpT10_ENKUlT_T0_E_clISt17integral_constantIbLb1EES1A_IbLb0EEEEDaS16_S17_EUlS16_E_NS1_11comp_targetILNS1_3genE5ELNS1_11target_archE942ELNS1_3gpuE9ELNS1_3repE0EEENS1_30default_config_static_selectorELNS0_4arch9wavefront6targetE1EEEvT1_
	.globl	_ZN7rocprim17ROCPRIM_400000_NS6detail17trampoline_kernelINS0_14default_configENS1_25partition_config_selectorILNS1_17partition_subalgoE1EtNS0_10empty_typeEbEEZZNS1_14partition_implILS5_1ELb0ES3_jN6thrust23THRUST_200600_302600_NS6detail15normal_iteratorINSA_10device_ptrItEEEEPS6_NSA_18transform_iteratorI7is_evenItESF_NSA_11use_defaultESK_EENS0_5tupleIJNSA_16discard_iteratorISK_EESF_EEENSM_IJSG_SG_EEES6_PlJS6_EEE10hipError_tPvRmT3_T4_T5_T6_T7_T9_mT8_P12ihipStream_tbDpT10_ENKUlT_T0_E_clISt17integral_constantIbLb1EES1A_IbLb0EEEEDaS16_S17_EUlS16_E_NS1_11comp_targetILNS1_3genE5ELNS1_11target_archE942ELNS1_3gpuE9ELNS1_3repE0EEENS1_30default_config_static_selectorELNS0_4arch9wavefront6targetE1EEEvT1_
	.p2align	8
	.type	_ZN7rocprim17ROCPRIM_400000_NS6detail17trampoline_kernelINS0_14default_configENS1_25partition_config_selectorILNS1_17partition_subalgoE1EtNS0_10empty_typeEbEEZZNS1_14partition_implILS5_1ELb0ES3_jN6thrust23THRUST_200600_302600_NS6detail15normal_iteratorINSA_10device_ptrItEEEEPS6_NSA_18transform_iteratorI7is_evenItESF_NSA_11use_defaultESK_EENS0_5tupleIJNSA_16discard_iteratorISK_EESF_EEENSM_IJSG_SG_EEES6_PlJS6_EEE10hipError_tPvRmT3_T4_T5_T6_T7_T9_mT8_P12ihipStream_tbDpT10_ENKUlT_T0_E_clISt17integral_constantIbLb1EES1A_IbLb0EEEEDaS16_S17_EUlS16_E_NS1_11comp_targetILNS1_3genE5ELNS1_11target_archE942ELNS1_3gpuE9ELNS1_3repE0EEENS1_30default_config_static_selectorELNS0_4arch9wavefront6targetE1EEEvT1_,@function
_ZN7rocprim17ROCPRIM_400000_NS6detail17trampoline_kernelINS0_14default_configENS1_25partition_config_selectorILNS1_17partition_subalgoE1EtNS0_10empty_typeEbEEZZNS1_14partition_implILS5_1ELb0ES3_jN6thrust23THRUST_200600_302600_NS6detail15normal_iteratorINSA_10device_ptrItEEEEPS6_NSA_18transform_iteratorI7is_evenItESF_NSA_11use_defaultESK_EENS0_5tupleIJNSA_16discard_iteratorISK_EESF_EEENSM_IJSG_SG_EEES6_PlJS6_EEE10hipError_tPvRmT3_T4_T5_T6_T7_T9_mT8_P12ihipStream_tbDpT10_ENKUlT_T0_E_clISt17integral_constantIbLb1EES1A_IbLb0EEEEDaS16_S17_EUlS16_E_NS1_11comp_targetILNS1_3genE5ELNS1_11target_archE942ELNS1_3gpuE9ELNS1_3repE0EEENS1_30default_config_static_selectorELNS0_4arch9wavefront6targetE1EEEvT1_: ; @_ZN7rocprim17ROCPRIM_400000_NS6detail17trampoline_kernelINS0_14default_configENS1_25partition_config_selectorILNS1_17partition_subalgoE1EtNS0_10empty_typeEbEEZZNS1_14partition_implILS5_1ELb0ES3_jN6thrust23THRUST_200600_302600_NS6detail15normal_iteratorINSA_10device_ptrItEEEEPS6_NSA_18transform_iteratorI7is_evenItESF_NSA_11use_defaultESK_EENS0_5tupleIJNSA_16discard_iteratorISK_EESF_EEENSM_IJSG_SG_EEES6_PlJS6_EEE10hipError_tPvRmT3_T4_T5_T6_T7_T9_mT8_P12ihipStream_tbDpT10_ENKUlT_T0_E_clISt17integral_constantIbLb1EES1A_IbLb0EEEEDaS16_S17_EUlS16_E_NS1_11comp_targetILNS1_3genE5ELNS1_11target_archE942ELNS1_3gpuE9ELNS1_3repE0EEENS1_30default_config_static_selectorELNS0_4arch9wavefront6targetE1EEEvT1_
; %bb.0:
	s_load_dwordx2 s[4:5], s[0:1], 0x68
	s_load_dwordx4 s[24:27], s[0:1], 0x8
	s_load_dwordx2 s[6:7], s[0:1], 0x20
	s_load_dwordx4 s[20:23], s[0:1], 0x58
	s_load_dword s3, s[0:1], 0x80
	s_waitcnt lgkmcnt(0)
	v_mov_b32_e32 v3, s5
	s_lshl_b64 s[8:9], s[26:27], 1
	s_add_u32 s12, s24, s8
	s_addc_u32 s13, s25, s9
	s_add_i32 s14, s3, -1
	s_mulk_i32 s3, 0x3800
	s_add_i32 s5, s3, s26
	s_sub_i32 s33, s4, s5
	s_addk_i32 s33, 0x3800
	v_mov_b32_e32 v2, s4
	s_add_u32 s4, s26, s3
	s_addc_u32 s5, s27, 0
	s_cmp_eq_u32 s2, s14
	s_load_dwordx2 s[24:25], s[22:23], 0x0
	s_cselect_b64 s[22:23], -1, 0
	s_cmp_lg_u32 s2, s14
	s_mul_i32 s10, s2, 0x3800
	s_mov_b32 s11, 0
	v_cmp_lt_u64_e32 vcc, s[4:5], v[2:3]
	s_cselect_b64 s[4:5], -1, 0
	s_or_b64 s[28:29], s[4:5], vcc
	s_lshl_b64 s[30:31], s[10:11], 1
	s_add_u32 s10, s12, s30
	s_addc_u32 s11, s13, s31
	s_mov_b64 s[4:5], -1
	s_and_b64 vcc, exec, s[28:29]
	v_lshlrev_b32_e32 v14, 1, v0
	s_cbranch_vccz .LBB3148_2
; %bb.1:
	v_mov_b32_e32 v15, 0
	v_lshl_add_u64 v[2:3], s[10:11], 0, v[14:15]
	v_add_co_u32_e32 v4, vcc, 0x1000, v2
	s_mov_b64 s[4:5], 0
	s_nop 0
	v_addc_co_u32_e32 v5, vcc, 0, v3, vcc
	flat_load_ushort v1, v[2:3]
	flat_load_ushort v8, v[2:3] offset:1024
	flat_load_ushort v9, v[2:3] offset:2048
	;; [unrolled: 1-line block ×3, first 2 shown]
	flat_load_ushort v11, v[4:5]
	flat_load_ushort v12, v[4:5] offset:1024
	flat_load_ushort v13, v[4:5] offset:2048
	;; [unrolled: 1-line block ×3, first 2 shown]
	v_add_co_u32_e32 v4, vcc, 0x2000, v2
	s_nop 1
	v_addc_co_u32_e32 v5, vcc, 0, v3, vcc
	v_add_co_u32_e32 v6, vcc, 0x3000, v2
	s_nop 1
	v_addc_co_u32_e32 v7, vcc, 0, v3, vcc
	flat_load_ushort v16, v[4:5]
	flat_load_ushort v17, v[4:5] offset:1024
	flat_load_ushort v18, v[4:5] offset:2048
	;; [unrolled: 1-line block ×3, first 2 shown]
	flat_load_ushort v20, v[6:7]
	flat_load_ushort v21, v[6:7] offset:1024
	flat_load_ushort v22, v[6:7] offset:2048
	;; [unrolled: 1-line block ×3, first 2 shown]
	v_add_co_u32_e32 v4, vcc, 0x4000, v2
	s_nop 1
	v_addc_co_u32_e32 v5, vcc, 0, v3, vcc
	v_add_co_u32_e32 v6, vcc, 0x5000, v2
	s_nop 1
	v_addc_co_u32_e32 v7, vcc, 0, v3, vcc
	v_add_co_u32_e32 v2, vcc, 0x6000, v2
	flat_load_ushort v24, v[4:5]
	flat_load_ushort v25, v[4:5] offset:1024
	flat_load_ushort v26, v[4:5] offset:2048
	;; [unrolled: 1-line block ×3, first 2 shown]
	flat_load_ushort v28, v[6:7]
	flat_load_ushort v29, v[6:7] offset:1024
	flat_load_ushort v30, v[6:7] offset:2048
	;; [unrolled: 1-line block ×3, first 2 shown]
	v_addc_co_u32_e32 v3, vcc, 0, v3, vcc
	flat_load_ushort v4, v[2:3]
	flat_load_ushort v5, v[2:3] offset:1024
	flat_load_ushort v6, v[2:3] offset:2048
	flat_load_ushort v7, v[2:3] offset:3072
	s_waitcnt vmcnt(0) lgkmcnt(0)
	ds_write_b16 v14, v1
	ds_write_b16 v14, v8 offset:1024
	ds_write_b16 v14, v9 offset:2048
	;; [unrolled: 1-line block ×27, first 2 shown]
	s_waitcnt lgkmcnt(0)
	s_barrier
.LBB3148_2:
	s_andn2_b64 vcc, exec, s[4:5]
	v_cmp_gt_u32_e64 s[4:5], s33, v0
	s_cbranch_vccnz .LBB3148_60
; %bb.3:
                                        ; implicit-def: $vgpr1
	s_and_saveexec_b64 s[12:13], s[4:5]
	s_cbranch_execz .LBB3148_5
; %bb.4:
	v_mov_b32_e32 v15, 0
	v_lshl_add_u64 v[2:3], s[10:11], 0, v[14:15]
	flat_load_ushort v1, v[2:3]
.LBB3148_5:
	s_or_b64 exec, exec, s[12:13]
	v_or_b32_e32 v2, 0x200, v0
	v_cmp_gt_u32_e32 vcc, s33, v2
                                        ; implicit-def: $vgpr2
	s_and_saveexec_b64 s[4:5], vcc
	s_cbranch_execz .LBB3148_7
; %bb.6:
	v_mov_b32_e32 v15, 0
	v_lshl_add_u64 v[2:3], s[10:11], 0, v[14:15]
	flat_load_ushort v2, v[2:3] offset:1024
.LBB3148_7:
	s_or_b64 exec, exec, s[4:5]
	v_or_b32_e32 v3, 0x400, v0
	v_cmp_gt_u32_e32 vcc, s33, v3
                                        ; implicit-def: $vgpr3
	s_and_saveexec_b64 s[4:5], vcc
	s_cbranch_execz .LBB3148_9
; %bb.8:
	v_mov_b32_e32 v15, 0
	v_lshl_add_u64 v[4:5], s[10:11], 0, v[14:15]
	flat_load_ushort v3, v[4:5] offset:2048
.LBB3148_9:
	s_or_b64 exec, exec, s[4:5]
	v_or_b32_e32 v4, 0x600, v0
	v_cmp_gt_u32_e32 vcc, s33, v4
                                        ; implicit-def: $vgpr4
	s_and_saveexec_b64 s[4:5], vcc
	s_cbranch_execz .LBB3148_11
; %bb.10:
	v_mov_b32_e32 v15, 0
	v_lshl_add_u64 v[4:5], s[10:11], 0, v[14:15]
	flat_load_ushort v4, v[4:5] offset:3072
.LBB3148_11:
	s_or_b64 exec, exec, s[4:5]
	v_or_b32_e32 v6, 0x800, v0
	v_cmp_gt_u32_e32 vcc, s33, v6
                                        ; implicit-def: $vgpr5
	s_and_saveexec_b64 s[4:5], vcc
	s_cbranch_execz .LBB3148_13
; %bb.12:
	v_lshlrev_b32_e32 v6, 1, v6
	v_mov_b32_e32 v7, 0
	v_lshl_add_u64 v[6:7], s[10:11], 0, v[6:7]
	flat_load_ushort v5, v[6:7]
.LBB3148_13:
	s_or_b64 exec, exec, s[4:5]
	v_or_b32_e32 v7, 0xa00, v0
	v_cmp_gt_u32_e32 vcc, s33, v7
                                        ; implicit-def: $vgpr6
	s_and_saveexec_b64 s[4:5], vcc
	s_cbranch_execz .LBB3148_15
; %bb.14:
	v_lshlrev_b32_e32 v6, 1, v7
	v_mov_b32_e32 v7, 0
	v_lshl_add_u64 v[6:7], s[10:11], 0, v[6:7]
	flat_load_ushort v6, v[6:7]
.LBB3148_15:
	s_or_b64 exec, exec, s[4:5]
	v_or_b32_e32 v8, 0xc00, v0
	v_cmp_gt_u32_e32 vcc, s33, v8
                                        ; implicit-def: $vgpr7
	s_and_saveexec_b64 s[4:5], vcc
	s_cbranch_execz .LBB3148_17
; %bb.16:
	v_lshlrev_b32_e32 v8, 1, v8
	v_mov_b32_e32 v9, 0
	v_lshl_add_u64 v[8:9], s[10:11], 0, v[8:9]
	flat_load_ushort v7, v[8:9]
.LBB3148_17:
	s_or_b64 exec, exec, s[4:5]
	v_or_b32_e32 v9, 0xe00, v0
	v_cmp_gt_u32_e32 vcc, s33, v9
                                        ; implicit-def: $vgpr8
	s_and_saveexec_b64 s[4:5], vcc
	s_cbranch_execz .LBB3148_19
; %bb.18:
	v_lshlrev_b32_e32 v8, 1, v9
	v_mov_b32_e32 v9, 0
	v_lshl_add_u64 v[8:9], s[10:11], 0, v[8:9]
	flat_load_ushort v8, v[8:9]
.LBB3148_19:
	s_or_b64 exec, exec, s[4:5]
	v_or_b32_e32 v10, 0x1000, v0
	v_cmp_gt_u32_e32 vcc, s33, v10
                                        ; implicit-def: $vgpr9
	s_and_saveexec_b64 s[4:5], vcc
	s_cbranch_execz .LBB3148_21
; %bb.20:
	v_lshlrev_b32_e32 v10, 1, v10
	v_mov_b32_e32 v11, 0
	v_lshl_add_u64 v[10:11], s[10:11], 0, v[10:11]
	flat_load_ushort v9, v[10:11]
.LBB3148_21:
	s_or_b64 exec, exec, s[4:5]
	v_or_b32_e32 v11, 0x1200, v0
	v_cmp_gt_u32_e32 vcc, s33, v11
                                        ; implicit-def: $vgpr10
	s_and_saveexec_b64 s[4:5], vcc
	s_cbranch_execz .LBB3148_23
; %bb.22:
	v_lshlrev_b32_e32 v10, 1, v11
	v_mov_b32_e32 v11, 0
	v_lshl_add_u64 v[10:11], s[10:11], 0, v[10:11]
	flat_load_ushort v10, v[10:11]
.LBB3148_23:
	s_or_b64 exec, exec, s[4:5]
	v_or_b32_e32 v12, 0x1400, v0
	v_cmp_gt_u32_e32 vcc, s33, v12
                                        ; implicit-def: $vgpr11
	s_and_saveexec_b64 s[4:5], vcc
	s_cbranch_execz .LBB3148_25
; %bb.24:
	v_lshlrev_b32_e32 v12, 1, v12
	v_mov_b32_e32 v13, 0
	v_lshl_add_u64 v[12:13], s[10:11], 0, v[12:13]
	flat_load_ushort v11, v[12:13]
.LBB3148_25:
	s_or_b64 exec, exec, s[4:5]
	v_or_b32_e32 v13, 0x1600, v0
	v_cmp_gt_u32_e32 vcc, s33, v13
                                        ; implicit-def: $vgpr12
	s_and_saveexec_b64 s[4:5], vcc
	s_cbranch_execz .LBB3148_27
; %bb.26:
	v_lshlrev_b32_e32 v12, 1, v13
	v_mov_b32_e32 v13, 0
	v_lshl_add_u64 v[12:13], s[10:11], 0, v[12:13]
	flat_load_ushort v12, v[12:13]
.LBB3148_27:
	s_or_b64 exec, exec, s[4:5]
	v_or_b32_e32 v15, 0x1800, v0
	v_cmp_gt_u32_e32 vcc, s33, v15
                                        ; implicit-def: $vgpr13
	s_and_saveexec_b64 s[4:5], vcc
	s_cbranch_execz .LBB3148_29
; %bb.28:
	v_lshlrev_b32_e32 v16, 1, v15
	v_mov_b32_e32 v17, 0
	v_lshl_add_u64 v[16:17], s[10:11], 0, v[16:17]
	flat_load_ushort v13, v[16:17]
.LBB3148_29:
	s_or_b64 exec, exec, s[4:5]
	v_or_b32_e32 v16, 0x1a00, v0
	v_cmp_gt_u32_e32 vcc, s33, v16
                                        ; implicit-def: $vgpr15
	s_and_saveexec_b64 s[4:5], vcc
	s_cbranch_execz .LBB3148_31
; %bb.30:
	v_lshlrev_b32_e32 v16, 1, v16
	v_mov_b32_e32 v17, 0
	v_lshl_add_u64 v[16:17], s[10:11], 0, v[16:17]
	flat_load_ushort v15, v[16:17]
.LBB3148_31:
	s_or_b64 exec, exec, s[4:5]
	v_or_b32_e32 v17, 0x1c00, v0
	v_cmp_gt_u32_e32 vcc, s33, v17
                                        ; implicit-def: $vgpr16
	s_and_saveexec_b64 s[4:5], vcc
	s_cbranch_execz .LBB3148_33
; %bb.32:
	v_lshlrev_b32_e32 v16, 1, v17
	v_mov_b32_e32 v17, 0
	v_lshl_add_u64 v[16:17], s[10:11], 0, v[16:17]
	flat_load_ushort v16, v[16:17]
.LBB3148_33:
	s_or_b64 exec, exec, s[4:5]
	v_or_b32_e32 v18, 0x1e00, v0
	v_cmp_gt_u32_e32 vcc, s33, v18
                                        ; implicit-def: $vgpr17
	s_and_saveexec_b64 s[4:5], vcc
	s_cbranch_execz .LBB3148_35
; %bb.34:
	v_lshlrev_b32_e32 v18, 1, v18
	v_mov_b32_e32 v19, 0
	v_lshl_add_u64 v[18:19], s[10:11], 0, v[18:19]
	flat_load_ushort v17, v[18:19]
.LBB3148_35:
	s_or_b64 exec, exec, s[4:5]
	v_or_b32_e32 v19, 0x2000, v0
	v_cmp_gt_u32_e32 vcc, s33, v19
                                        ; implicit-def: $vgpr18
	s_and_saveexec_b64 s[4:5], vcc
	s_cbranch_execz .LBB3148_37
; %bb.36:
	v_lshlrev_b32_e32 v18, 1, v19
	v_mov_b32_e32 v19, 0
	v_lshl_add_u64 v[18:19], s[10:11], 0, v[18:19]
	flat_load_ushort v18, v[18:19]
.LBB3148_37:
	s_or_b64 exec, exec, s[4:5]
	v_or_b32_e32 v20, 0x2200, v0
	v_cmp_gt_u32_e32 vcc, s33, v20
                                        ; implicit-def: $vgpr19
	s_and_saveexec_b64 s[4:5], vcc
	s_cbranch_execz .LBB3148_39
; %bb.38:
	v_lshlrev_b32_e32 v20, 1, v20
	v_mov_b32_e32 v21, 0
	v_lshl_add_u64 v[20:21], s[10:11], 0, v[20:21]
	flat_load_ushort v19, v[20:21]
.LBB3148_39:
	s_or_b64 exec, exec, s[4:5]
	v_or_b32_e32 v21, 0x2400, v0
	v_cmp_gt_u32_e32 vcc, s33, v21
                                        ; implicit-def: $vgpr20
	s_and_saveexec_b64 s[4:5], vcc
	s_cbranch_execz .LBB3148_41
; %bb.40:
	v_lshlrev_b32_e32 v20, 1, v21
	v_mov_b32_e32 v21, 0
	v_lshl_add_u64 v[20:21], s[10:11], 0, v[20:21]
	flat_load_ushort v20, v[20:21]
.LBB3148_41:
	s_or_b64 exec, exec, s[4:5]
	v_or_b32_e32 v22, 0x2600, v0
	v_cmp_gt_u32_e32 vcc, s33, v22
                                        ; implicit-def: $vgpr21
	s_and_saveexec_b64 s[4:5], vcc
	s_cbranch_execz .LBB3148_43
; %bb.42:
	v_lshlrev_b32_e32 v22, 1, v22
	v_mov_b32_e32 v23, 0
	v_lshl_add_u64 v[22:23], s[10:11], 0, v[22:23]
	flat_load_ushort v21, v[22:23]
.LBB3148_43:
	s_or_b64 exec, exec, s[4:5]
	v_or_b32_e32 v23, 0x2800, v0
	v_cmp_gt_u32_e32 vcc, s33, v23
                                        ; implicit-def: $vgpr22
	s_and_saveexec_b64 s[4:5], vcc
	s_cbranch_execz .LBB3148_45
; %bb.44:
	v_lshlrev_b32_e32 v22, 1, v23
	v_mov_b32_e32 v23, 0
	v_lshl_add_u64 v[22:23], s[10:11], 0, v[22:23]
	flat_load_ushort v22, v[22:23]
.LBB3148_45:
	s_or_b64 exec, exec, s[4:5]
	v_or_b32_e32 v24, 0x2a00, v0
	v_cmp_gt_u32_e32 vcc, s33, v24
                                        ; implicit-def: $vgpr23
	s_and_saveexec_b64 s[4:5], vcc
	s_cbranch_execz .LBB3148_47
; %bb.46:
	v_lshlrev_b32_e32 v24, 1, v24
	v_mov_b32_e32 v25, 0
	v_lshl_add_u64 v[24:25], s[10:11], 0, v[24:25]
	flat_load_ushort v23, v[24:25]
.LBB3148_47:
	s_or_b64 exec, exec, s[4:5]
	v_or_b32_e32 v25, 0x2c00, v0
	v_cmp_gt_u32_e32 vcc, s33, v25
                                        ; implicit-def: $vgpr24
	s_and_saveexec_b64 s[4:5], vcc
	s_cbranch_execz .LBB3148_49
; %bb.48:
	v_lshlrev_b32_e32 v24, 1, v25
	v_mov_b32_e32 v25, 0
	v_lshl_add_u64 v[24:25], s[10:11], 0, v[24:25]
	flat_load_ushort v24, v[24:25]
.LBB3148_49:
	s_or_b64 exec, exec, s[4:5]
	v_or_b32_e32 v26, 0x2e00, v0
	v_cmp_gt_u32_e32 vcc, s33, v26
                                        ; implicit-def: $vgpr25
	s_and_saveexec_b64 s[4:5], vcc
	s_cbranch_execz .LBB3148_51
; %bb.50:
	v_lshlrev_b32_e32 v26, 1, v26
	v_mov_b32_e32 v27, 0
	v_lshl_add_u64 v[26:27], s[10:11], 0, v[26:27]
	flat_load_ushort v25, v[26:27]
.LBB3148_51:
	s_or_b64 exec, exec, s[4:5]
	v_or_b32_e32 v27, 0x3000, v0
	v_cmp_gt_u32_e32 vcc, s33, v27
                                        ; implicit-def: $vgpr26
	s_and_saveexec_b64 s[4:5], vcc
	s_cbranch_execz .LBB3148_53
; %bb.52:
	v_lshlrev_b32_e32 v26, 1, v27
	v_mov_b32_e32 v27, 0
	v_lshl_add_u64 v[26:27], s[10:11], 0, v[26:27]
	flat_load_ushort v26, v[26:27]
.LBB3148_53:
	s_or_b64 exec, exec, s[4:5]
	v_or_b32_e32 v28, 0x3200, v0
	v_cmp_gt_u32_e32 vcc, s33, v28
                                        ; implicit-def: $vgpr27
	s_and_saveexec_b64 s[4:5], vcc
	s_cbranch_execz .LBB3148_55
; %bb.54:
	v_lshlrev_b32_e32 v28, 1, v28
	v_mov_b32_e32 v29, 0
	v_lshl_add_u64 v[28:29], s[10:11], 0, v[28:29]
	flat_load_ushort v27, v[28:29]
.LBB3148_55:
	s_or_b64 exec, exec, s[4:5]
	v_or_b32_e32 v29, 0x3400, v0
	v_cmp_gt_u32_e32 vcc, s33, v29
                                        ; implicit-def: $vgpr28
	s_and_saveexec_b64 s[4:5], vcc
	s_cbranch_execz .LBB3148_57
; %bb.56:
	v_lshlrev_b32_e32 v28, 1, v29
	v_mov_b32_e32 v29, 0
	v_lshl_add_u64 v[28:29], s[10:11], 0, v[28:29]
	flat_load_ushort v28, v[28:29]
.LBB3148_57:
	s_or_b64 exec, exec, s[4:5]
	v_or_b32_e32 v30, 0x3600, v0
	v_cmp_gt_u32_e32 vcc, s33, v30
                                        ; implicit-def: $vgpr29
	s_and_saveexec_b64 s[4:5], vcc
	s_cbranch_execz .LBB3148_59
; %bb.58:
	v_lshlrev_b32_e32 v30, 1, v30
	v_mov_b32_e32 v31, 0
	v_lshl_add_u64 v[30:31], s[10:11], 0, v[30:31]
	flat_load_ushort v29, v[30:31]
.LBB3148_59:
	s_or_b64 exec, exec, s[4:5]
	s_waitcnt vmcnt(0) lgkmcnt(0)
	ds_write_b16 v14, v1
	ds_write_b16 v14, v2 offset:1024
	ds_write_b16 v14, v3 offset:2048
	;; [unrolled: 1-line block ×27, first 2 shown]
	s_waitcnt lgkmcnt(0)
	s_barrier
.LBB3148_60:
	v_mul_u32_u24_e32 v1, 28, v0
	v_lshlrev_b32_e32 v6, 1, v1
	s_waitcnt lgkmcnt(0)
	ds_read_b64 v[16:17], v6 offset:48
	ds_read2_b64 v[2:5], v6 offset0:4 offset1:5
	ds_read2_b64 v[10:13], v6 offset1:1
	ds_read2_b64 v[6:9], v6 offset0:2 offset1:3
	s_add_u32 s3, s6, s8
	s_addc_u32 s5, s7, s9
	s_add_u32 s4, s3, s30
	s_addc_u32 s5, s5, s31
	s_mov_b64 s[6:7], -1
	s_and_b64 vcc, exec, s[28:29]
	s_waitcnt lgkmcnt(0)
	s_barrier
	s_cbranch_vccz .LBB3148_62
; %bb.61:
	v_mov_b32_e32 v15, 0
	v_lshl_add_u64 v[18:19], s[4:5], 0, v[14:15]
	s_movk_i32 s3, 0x1000
	v_add_co_u32_e32 v20, vcc, s3, v18
	s_movk_i32 s3, 0x2000
	s_nop 0
	v_addc_co_u32_e32 v21, vcc, 0, v19, vcc
	v_add_co_u32_e32 v22, vcc, s3, v18
	s_movk_i32 s6, 0x4000
	s_nop 0
	v_addc_co_u32_e32 v23, vcc, 0, v19, vcc
	global_load_ubyte v15, v14, s[4:5]
	global_load_ubyte v24, v14, s[4:5] offset:1024
	global_load_ubyte v25, v14, s[4:5] offset:2048
	;; [unrolled: 1-line block ×3, first 2 shown]
	global_load_ubyte v27, v[20:21], off offset:1024
	global_load_ubyte v28, v[20:21], off offset:2048
	;; [unrolled: 1-line block ×3, first 2 shown]
	global_load_ubyte v30, v[22:23], off offset:-4096
	global_load_ubyte v31, v[22:23], off
	global_load_ubyte v32, v[22:23], off offset:1024
	v_add_co_u32_e32 v20, vcc, s6, v18
	s_movk_i32 s3, 0x3000
	s_nop 0
	v_addc_co_u32_e32 v21, vcc, 0, v19, vcc
	global_load_ubyte v33, v[22:23], off offset:2048
	global_load_ubyte v34, v[22:23], off offset:3072
	global_load_ubyte v35, v[20:21], off offset:-4096
	v_add_co_u32_e32 v22, vcc, s3, v18
	s_movk_i32 s6, 0x6000
	s_nop 0
	v_addc_co_u32_e32 v23, vcc, 0, v19, vcc
	global_load_ubyte v36, v[22:23], off offset:1024
	global_load_ubyte v37, v[22:23], off offset:2048
	;; [unrolled: 1-line block ×3, first 2 shown]
	global_load_ubyte v39, v[20:21], off
	v_add_co_u32_e32 v22, vcc, s6, v18
	s_movk_i32 s3, 0x5000
	s_nop 0
	v_addc_co_u32_e32 v23, vcc, 0, v19, vcc
	v_add_co_u32_e32 v18, vcc, s3, v18
	global_load_ubyte v40, v[20:21], off offset:1024
	global_load_ubyte v41, v[20:21], off offset:2048
	;; [unrolled: 1-line block ×3, first 2 shown]
	global_load_ubyte v43, v[22:23], off offset:-4096
	v_addc_co_u32_e32 v19, vcc, 0, v19, vcc
	global_load_ubyte v20, v[18:19], off offset:1024
	global_load_ubyte v21, v[18:19], off offset:2048
	;; [unrolled: 1-line block ×3, first 2 shown]
	global_load_ubyte v45, v[22:23], off
	global_load_ubyte v46, v[22:23], off offset:1024
	global_load_ubyte v47, v[22:23], off offset:2048
	;; [unrolled: 1-line block ×3, first 2 shown]
	s_mov_b64 s[6:7], 0
	s_waitcnt vmcnt(23)
	v_xor_b32_e32 v23, -1, v27
	v_xor_b32_e32 v15, -1, v15
	;; [unrolled: 1-line block ×5, first 2 shown]
	v_and_b32_e32 v15, 1, v15
	s_waitcnt vmcnt(22)
	v_xor_b32_e32 v24, -1, v28
	s_waitcnt vmcnt(21)
	v_xor_b32_e32 v25, -1, v29
	;; [unrolled: 2-line block ×12, first 2 shown]
	v_and_b32_e32 v18, 1, v18
	v_and_b32_e32 v19, 1, v19
	;; [unrolled: 1-line block ×4, first 2 shown]
	s_waitcnt vmcnt(10)
	v_xor_b32_e32 v36, -1, v40
	s_waitcnt vmcnt(9)
	v_xor_b32_e32 v37, -1, v41
	;; [unrolled: 2-line block ×11, first 2 shown]
	v_and_b32_e32 v24, 1, v24
	v_and_b32_e32 v25, 1, v25
	v_and_b32_e32 v26, 1, v26
	v_and_b32_e32 v27, 1, v27
	v_and_b32_e32 v28, 1, v28
	v_and_b32_e32 v29, 1, v29
	v_and_b32_e32 v30, 1, v30
	v_and_b32_e32 v31, 1, v31
	v_and_b32_e32 v32, 1, v32
	v_and_b32_e32 v33, 1, v33
	v_and_b32_e32 v34, 1, v34
	v_and_b32_e32 v35, 1, v35
	v_and_b32_e32 v36, 1, v36
	v_and_b32_e32 v37, 1, v37
	v_and_b32_e32 v38, 1, v38
	v_and_b32_e32 v39, 1, v39
	v_and_b32_e32 v20, 1, v20
	v_and_b32_e32 v21, 1, v21
	v_and_b32_e32 v40, 1, v40
	v_and_b32_e32 v41, 1, v41
	v_and_b32_e32 v42, 1, v42
	v_and_b32_e32 v43, 1, v43
	v_and_b32_e32 v44, 1, v44
	ds_write_b8 v0, v15
	ds_write_b8 v0, v18 offset:512
	ds_write_b8 v0, v19 offset:1024
	;; [unrolled: 1-line block ×27, first 2 shown]
	s_waitcnt lgkmcnt(0)
	s_barrier
.LBB3148_62:
	s_load_dwordx2 s[34:35], s[0:1], 0x78
	s_andn2_b64 vcc, exec, s[6:7]
	s_cbranch_vccnz .LBB3148_120
; %bb.63:
	v_cmp_gt_u32_e32 vcc, s33, v0
	v_mov_b32_e32 v15, 0
	v_mov_b32_e32 v18, 0
	s_and_saveexec_b64 s[6:7], vcc
	s_cbranch_execz .LBB3148_65
; %bb.64:
	global_load_ubyte v18, v14, s[4:5]
	s_waitcnt vmcnt(0)
	v_xor_b32_e32 v18, -1, v18
	v_and_b32_e32 v18, 1, v18
.LBB3148_65:
	s_or_b64 exec, exec, s[6:7]
	v_or_b32_e32 v19, 0x200, v0
	v_cmp_gt_u32_e32 vcc, s33, v19
	s_and_saveexec_b64 s[6:7], vcc
	s_cbranch_execz .LBB3148_67
; %bb.66:
	global_load_ubyte v15, v14, s[4:5] offset:1024
	s_waitcnt vmcnt(0)
	v_xor_b32_e32 v15, -1, v15
	v_and_b32_e32 v15, 1, v15
.LBB3148_67:
	s_or_b64 exec, exec, s[6:7]
	v_or_b32_e32 v19, 0x400, v0
	v_cmp_gt_u32_e32 vcc, s33, v19
	v_mov_b32_e32 v19, 0
	v_mov_b32_e32 v20, 0
	s_and_saveexec_b64 s[6:7], vcc
	s_cbranch_execz .LBB3148_69
; %bb.68:
	global_load_ubyte v20, v14, s[4:5] offset:2048
	s_waitcnt vmcnt(0)
	v_xor_b32_e32 v20, -1, v20
	v_and_b32_e32 v20, 1, v20
.LBB3148_69:
	s_or_b64 exec, exec, s[6:7]
	v_or_b32_e32 v21, 0x600, v0
	v_cmp_gt_u32_e32 vcc, s33, v21
	s_and_saveexec_b64 s[6:7], vcc
	s_cbranch_execz .LBB3148_71
; %bb.70:
	global_load_ubyte v19, v14, s[4:5] offset:3072
	s_waitcnt vmcnt(0)
	v_xor_b32_e32 v19, -1, v19
	v_and_b32_e32 v19, 1, v19
.LBB3148_71:
	s_or_b64 exec, exec, s[6:7]
	v_or_b32_e32 v23, 0x800, v0
	v_cmp_gt_u32_e32 vcc, s33, v23
	v_mov_b32_e32 v21, 0
	v_mov_b32_e32 v22, 0
	s_and_saveexec_b64 s[6:7], vcc
	s_cbranch_execz .LBB3148_73
; %bb.72:
	v_lshlrev_b32_e32 v22, 1, v23
	global_load_ubyte v22, v22, s[4:5]
	s_waitcnt vmcnt(0)
	v_xor_b32_e32 v22, -1, v22
	v_and_b32_e32 v22, 1, v22
.LBB3148_73:
	s_or_b64 exec, exec, s[6:7]
	v_or_b32_e32 v23, 0xa00, v0
	v_cmp_gt_u32_e32 vcc, s33, v23
	s_and_saveexec_b64 s[6:7], vcc
	s_cbranch_execz .LBB3148_75
; %bb.74:
	v_lshlrev_b32_e32 v21, 1, v23
	global_load_ubyte v21, v21, s[4:5]
	s_waitcnt vmcnt(0)
	v_xor_b32_e32 v21, -1, v21
	v_and_b32_e32 v21, 1, v21
.LBB3148_75:
	s_or_b64 exec, exec, s[6:7]
	v_or_b32_e32 v25, 0xc00, v0
	v_cmp_gt_u32_e32 vcc, s33, v25
	v_mov_b32_e32 v23, 0
	v_mov_b32_e32 v24, 0
	s_and_saveexec_b64 s[6:7], vcc
	s_cbranch_execz .LBB3148_77
; %bb.76:
	v_lshlrev_b32_e32 v24, 1, v25
	global_load_ubyte v24, v24, s[4:5]
	s_waitcnt vmcnt(0)
	v_xor_b32_e32 v24, -1, v24
	v_and_b32_e32 v24, 1, v24
.LBB3148_77:
	s_or_b64 exec, exec, s[6:7]
	v_or_b32_e32 v25, 0xe00, v0
	v_cmp_gt_u32_e32 vcc, s33, v25
	s_and_saveexec_b64 s[6:7], vcc
	s_cbranch_execz .LBB3148_79
; %bb.78:
	v_lshlrev_b32_e32 v23, 1, v25
	global_load_ubyte v23, v23, s[4:5]
	s_waitcnt vmcnt(0)
	v_xor_b32_e32 v23, -1, v23
	v_and_b32_e32 v23, 1, v23
.LBB3148_79:
	s_or_b64 exec, exec, s[6:7]
	v_or_b32_e32 v27, 0x1000, v0
	v_cmp_gt_u32_e32 vcc, s33, v27
	v_mov_b32_e32 v25, 0
	v_mov_b32_e32 v26, 0
	s_and_saveexec_b64 s[6:7], vcc
	s_cbranch_execz .LBB3148_81
; %bb.80:
	v_lshlrev_b32_e32 v26, 1, v27
	global_load_ubyte v26, v26, s[4:5]
	s_waitcnt vmcnt(0)
	v_xor_b32_e32 v26, -1, v26
	v_and_b32_e32 v26, 1, v26
.LBB3148_81:
	s_or_b64 exec, exec, s[6:7]
	v_or_b32_e32 v27, 0x1200, v0
	v_cmp_gt_u32_e32 vcc, s33, v27
	s_and_saveexec_b64 s[6:7], vcc
	s_cbranch_execz .LBB3148_83
; %bb.82:
	v_lshlrev_b32_e32 v25, 1, v27
	global_load_ubyte v25, v25, s[4:5]
	s_waitcnt vmcnt(0)
	v_xor_b32_e32 v25, -1, v25
	v_and_b32_e32 v25, 1, v25
.LBB3148_83:
	s_or_b64 exec, exec, s[6:7]
	v_or_b32_e32 v29, 0x1400, v0
	v_cmp_gt_u32_e32 vcc, s33, v29
	v_mov_b32_e32 v27, 0
	v_mov_b32_e32 v28, 0
	s_and_saveexec_b64 s[6:7], vcc
	s_cbranch_execz .LBB3148_85
; %bb.84:
	v_lshlrev_b32_e32 v28, 1, v29
	global_load_ubyte v28, v28, s[4:5]
	s_waitcnt vmcnt(0)
	v_xor_b32_e32 v28, -1, v28
	v_and_b32_e32 v28, 1, v28
.LBB3148_85:
	s_or_b64 exec, exec, s[6:7]
	v_or_b32_e32 v29, 0x1600, v0
	v_cmp_gt_u32_e32 vcc, s33, v29
	s_and_saveexec_b64 s[6:7], vcc
	s_cbranch_execz .LBB3148_87
; %bb.86:
	v_lshlrev_b32_e32 v27, 1, v29
	global_load_ubyte v27, v27, s[4:5]
	s_waitcnt vmcnt(0)
	v_xor_b32_e32 v27, -1, v27
	v_and_b32_e32 v27, 1, v27
.LBB3148_87:
	s_or_b64 exec, exec, s[6:7]
	v_or_b32_e32 v31, 0x1800, v0
	v_cmp_gt_u32_e32 vcc, s33, v31
	v_mov_b32_e32 v29, 0
	v_mov_b32_e32 v30, 0
	s_and_saveexec_b64 s[6:7], vcc
	s_cbranch_execz .LBB3148_89
; %bb.88:
	v_lshlrev_b32_e32 v30, 1, v31
	global_load_ubyte v30, v30, s[4:5]
	s_waitcnt vmcnt(0)
	v_xor_b32_e32 v30, -1, v30
	v_and_b32_e32 v30, 1, v30
.LBB3148_89:
	s_or_b64 exec, exec, s[6:7]
	v_or_b32_e32 v31, 0x1a00, v0
	v_cmp_gt_u32_e32 vcc, s33, v31
	s_and_saveexec_b64 s[6:7], vcc
	s_cbranch_execz .LBB3148_91
; %bb.90:
	v_lshlrev_b32_e32 v29, 1, v31
	global_load_ubyte v29, v29, s[4:5]
	s_waitcnt vmcnt(0)
	v_xor_b32_e32 v29, -1, v29
	v_and_b32_e32 v29, 1, v29
.LBB3148_91:
	s_or_b64 exec, exec, s[6:7]
	v_or_b32_e32 v33, 0x1c00, v0
	v_cmp_gt_u32_e32 vcc, s33, v33
	v_mov_b32_e32 v31, 0
	v_mov_b32_e32 v32, 0
	s_and_saveexec_b64 s[6:7], vcc
	s_cbranch_execz .LBB3148_93
; %bb.92:
	v_lshlrev_b32_e32 v32, 1, v33
	global_load_ubyte v32, v32, s[4:5]
	s_waitcnt vmcnt(0)
	v_xor_b32_e32 v32, -1, v32
	v_and_b32_e32 v32, 1, v32
.LBB3148_93:
	s_or_b64 exec, exec, s[6:7]
	v_or_b32_e32 v33, 0x1e00, v0
	v_cmp_gt_u32_e32 vcc, s33, v33
	s_and_saveexec_b64 s[6:7], vcc
	s_cbranch_execz .LBB3148_95
; %bb.94:
	v_lshlrev_b32_e32 v31, 1, v33
	global_load_ubyte v31, v31, s[4:5]
	s_waitcnt vmcnt(0)
	v_xor_b32_e32 v31, -1, v31
	v_and_b32_e32 v31, 1, v31
.LBB3148_95:
	s_or_b64 exec, exec, s[6:7]
	v_or_b32_e32 v35, 0x2000, v0
	v_cmp_gt_u32_e32 vcc, s33, v35
	v_mov_b32_e32 v33, 0
	v_mov_b32_e32 v34, 0
	s_and_saveexec_b64 s[6:7], vcc
	s_cbranch_execz .LBB3148_97
; %bb.96:
	v_lshlrev_b32_e32 v34, 1, v35
	global_load_ubyte v34, v34, s[4:5]
	s_waitcnt vmcnt(0)
	v_xor_b32_e32 v34, -1, v34
	v_and_b32_e32 v34, 1, v34
.LBB3148_97:
	s_or_b64 exec, exec, s[6:7]
	v_or_b32_e32 v35, 0x2200, v0
	v_cmp_gt_u32_e32 vcc, s33, v35
	s_and_saveexec_b64 s[6:7], vcc
	s_cbranch_execz .LBB3148_99
; %bb.98:
	v_lshlrev_b32_e32 v33, 1, v35
	global_load_ubyte v33, v33, s[4:5]
	s_waitcnt vmcnt(0)
	v_xor_b32_e32 v33, -1, v33
	v_and_b32_e32 v33, 1, v33
.LBB3148_99:
	s_or_b64 exec, exec, s[6:7]
	v_or_b32_e32 v37, 0x2400, v0
	v_cmp_gt_u32_e32 vcc, s33, v37
	v_mov_b32_e32 v35, 0
	v_mov_b32_e32 v36, 0
	s_and_saveexec_b64 s[6:7], vcc
	s_cbranch_execz .LBB3148_101
; %bb.100:
	v_lshlrev_b32_e32 v36, 1, v37
	global_load_ubyte v36, v36, s[4:5]
	s_waitcnt vmcnt(0)
	v_xor_b32_e32 v36, -1, v36
	v_and_b32_e32 v36, 1, v36
.LBB3148_101:
	s_or_b64 exec, exec, s[6:7]
	v_or_b32_e32 v37, 0x2600, v0
	v_cmp_gt_u32_e32 vcc, s33, v37
	s_and_saveexec_b64 s[6:7], vcc
	s_cbranch_execz .LBB3148_103
; %bb.102:
	v_lshlrev_b32_e32 v35, 1, v37
	global_load_ubyte v35, v35, s[4:5]
	s_waitcnt vmcnt(0)
	v_xor_b32_e32 v35, -1, v35
	v_and_b32_e32 v35, 1, v35
.LBB3148_103:
	s_or_b64 exec, exec, s[6:7]
	v_or_b32_e32 v39, 0x2800, v0
	v_cmp_gt_u32_e32 vcc, s33, v39
	v_mov_b32_e32 v37, 0
	v_mov_b32_e32 v38, 0
	s_and_saveexec_b64 s[6:7], vcc
	s_cbranch_execz .LBB3148_105
; %bb.104:
	v_lshlrev_b32_e32 v38, 1, v39
	global_load_ubyte v38, v38, s[4:5]
	s_waitcnt vmcnt(0)
	v_xor_b32_e32 v38, -1, v38
	v_and_b32_e32 v38, 1, v38
.LBB3148_105:
	s_or_b64 exec, exec, s[6:7]
	v_or_b32_e32 v39, 0x2a00, v0
	v_cmp_gt_u32_e32 vcc, s33, v39
	s_and_saveexec_b64 s[6:7], vcc
	s_cbranch_execz .LBB3148_107
; %bb.106:
	v_lshlrev_b32_e32 v37, 1, v39
	global_load_ubyte v37, v37, s[4:5]
	s_waitcnt vmcnt(0)
	v_xor_b32_e32 v37, -1, v37
	v_and_b32_e32 v37, 1, v37
.LBB3148_107:
	s_or_b64 exec, exec, s[6:7]
	v_or_b32_e32 v41, 0x2c00, v0
	v_cmp_gt_u32_e32 vcc, s33, v41
	v_mov_b32_e32 v39, 0
	v_mov_b32_e32 v40, 0
	s_and_saveexec_b64 s[6:7], vcc
	s_cbranch_execz .LBB3148_109
; %bb.108:
	v_lshlrev_b32_e32 v40, 1, v41
	global_load_ubyte v40, v40, s[4:5]
	s_waitcnt vmcnt(0)
	v_xor_b32_e32 v40, -1, v40
	v_and_b32_e32 v40, 1, v40
.LBB3148_109:
	s_or_b64 exec, exec, s[6:7]
	v_or_b32_e32 v41, 0x2e00, v0
	v_cmp_gt_u32_e32 vcc, s33, v41
	s_and_saveexec_b64 s[6:7], vcc
	s_cbranch_execz .LBB3148_111
; %bb.110:
	v_lshlrev_b32_e32 v39, 1, v41
	global_load_ubyte v39, v39, s[4:5]
	s_waitcnt vmcnt(0)
	v_xor_b32_e32 v39, -1, v39
	v_and_b32_e32 v39, 1, v39
.LBB3148_111:
	s_or_b64 exec, exec, s[6:7]
	v_or_b32_e32 v43, 0x3000, v0
	v_cmp_gt_u32_e32 vcc, s33, v43
	v_mov_b32_e32 v41, 0
	v_mov_b32_e32 v42, 0
	s_and_saveexec_b64 s[6:7], vcc
	s_cbranch_execz .LBB3148_113
; %bb.112:
	v_lshlrev_b32_e32 v42, 1, v43
	global_load_ubyte v42, v42, s[4:5]
	s_waitcnt vmcnt(0)
	v_xor_b32_e32 v42, -1, v42
	v_and_b32_e32 v42, 1, v42
.LBB3148_113:
	s_or_b64 exec, exec, s[6:7]
	v_or_b32_e32 v43, 0x3200, v0
	v_cmp_gt_u32_e32 vcc, s33, v43
	s_and_saveexec_b64 s[6:7], vcc
	s_cbranch_execz .LBB3148_115
; %bb.114:
	v_lshlrev_b32_e32 v41, 1, v43
	global_load_ubyte v41, v41, s[4:5]
	s_waitcnt vmcnt(0)
	v_xor_b32_e32 v41, -1, v41
	v_and_b32_e32 v41, 1, v41
.LBB3148_115:
	s_or_b64 exec, exec, s[6:7]
	v_or_b32_e32 v45, 0x3400, v0
	v_cmp_gt_u32_e32 vcc, s33, v45
	v_mov_b32_e32 v43, 0
	v_mov_b32_e32 v44, 0
	s_and_saveexec_b64 s[6:7], vcc
	s_cbranch_execz .LBB3148_117
; %bb.116:
	v_lshlrev_b32_e32 v44, 1, v45
	global_load_ubyte v44, v44, s[4:5]
	s_waitcnt vmcnt(0)
	v_xor_b32_e32 v44, -1, v44
	v_and_b32_e32 v44, 1, v44
.LBB3148_117:
	s_or_b64 exec, exec, s[6:7]
	v_or_b32_e32 v45, 0x3600, v0
	v_cmp_gt_u32_e32 vcc, s33, v45
	s_and_saveexec_b64 s[6:7], vcc
	s_cbranch_execz .LBB3148_119
; %bb.118:
	v_lshlrev_b32_e32 v43, 1, v45
	global_load_ubyte v43, v43, s[4:5]
	s_waitcnt vmcnt(0)
	v_xor_b32_e32 v43, -1, v43
	v_and_b32_e32 v43, 1, v43
.LBB3148_119:
	s_or_b64 exec, exec, s[6:7]
	ds_write_b8 v0, v18
	ds_write_b8 v0, v15 offset:512
	ds_write_b8 v0, v20 offset:1024
	;; [unrolled: 1-line block ×27, first 2 shown]
	s_waitcnt lgkmcnt(0)
	s_barrier
.LBB3148_120:
	s_waitcnt lgkmcnt(0)
	ds_read2_b32 v[24:25], v1 offset1:1
	ds_read2_b32 v[22:23], v1 offset0:2 offset1:3
	ds_read2_b32 v[20:21], v1 offset0:4 offset1:5
	ds_read_b32 v34, v1 offset:24
	s_cmp_lg_u32 s2, 0
	v_lshrrev_b32_e32 v61, 6, v0
	s_waitcnt lgkmcnt(2)
	v_and_b32_e32 v53, 0xff, v22
	v_lshrrev_b32_e32 v41, 24, v24
	v_bfe_u32 v59, v24, 16, 8
	v_add_u32_sdwa v18, v24, v24 dst_sel:DWORD dst_unused:UNUSED_PAD src0_sel:BYTE_1 src1_sel:BYTE_0
	v_and_b32_e32 v56, 0xff, v25
	v_bfe_u32 v57, v25, 8, 8
	v_add3_u32 v18, v18, v59, v41
	v_lshrrev_b32_e32 v40, 24, v25
	v_bfe_u32 v58, v25, 16, 8
	v_add3_u32 v18, v18, v56, v57
	v_bfe_u32 v54, v22, 8, 8
	v_add3_u32 v18, v18, v58, v40
	v_lshrrev_b32_e32 v39, 24, v22
	v_bfe_u32 v55, v22, 16, 8
	v_add3_u32 v18, v18, v53, v54
	v_and_b32_e32 v50, 0xff, v23
	v_bfe_u32 v51, v23, 8, 8
	v_add3_u32 v18, v18, v55, v39
	v_lshrrev_b32_e32 v38, 24, v23
	v_bfe_u32 v52, v23, 16, 8
	v_add3_u32 v18, v18, v50, v51
	s_waitcnt lgkmcnt(1)
	v_and_b32_e32 v47, 0xff, v20
	v_bfe_u32 v48, v20, 8, 8
	v_add3_u32 v18, v18, v52, v38
	v_lshrrev_b32_e32 v37, 24, v20
	v_bfe_u32 v49, v20, 16, 8
	v_add3_u32 v18, v18, v47, v48
	v_and_b32_e32 v44, 0xff, v21
	v_bfe_u32 v45, v21, 8, 8
	v_add3_u32 v18, v18, v49, v37
	v_lshrrev_b32_e32 v36, 24, v21
	v_bfe_u32 v46, v21, 16, 8
	v_add3_u32 v18, v18, v44, v45
	s_waitcnt lgkmcnt(0)
	v_and_b32_e32 v42, 0xff, v34
	v_bfe_u32 v43, v34, 8, 8
	v_add3_u32 v18, v18, v46, v36
	v_lshrrev_b32_e32 v15, 24, v34
	v_bfe_u32 v35, v34, 16, 8
	v_add3_u32 v18, v18, v42, v43
	v_add3_u32 v62, v18, v35, v15
	v_mbcnt_lo_u32_b32 v18, -1, 0
	v_mbcnt_hi_u32_b32 v60, -1, v18
	v_and_b32_e32 v18, 15, v60
	v_cmp_eq_u32_e64 s[14:15], 0, v18
	v_cmp_lt_u32_e64 s[12:13], 1, v18
	v_cmp_lt_u32_e64 s[10:11], 3, v18
	;; [unrolled: 1-line block ×3, first 2 shown]
	v_and_b32_e32 v18, 16, v60
	v_cmp_eq_u32_e64 s[6:7], 0, v18
	v_or_b32_e32 v18, 63, v0
	v_cmp_lt_u32_e64 s[18:19], 31, v60
	v_cmp_eq_u32_e64 s[4:5], v18, v0
	s_barrier
	s_cbranch_scc0 .LBB3148_151
; %bb.121:
	v_mov_b32_dpp v18, v62 row_shr:1 row_mask:0xf bank_mask:0xf
	v_cndmask_b32_e64 v18, v18, 0, s[14:15]
	v_add_u32_e32 v18, v18, v62
	s_nop 1
	v_mov_b32_dpp v19, v18 row_shr:2 row_mask:0xf bank_mask:0xf
	v_cndmask_b32_e64 v19, 0, v19, s[12:13]
	v_add_u32_e32 v18, v18, v19
	s_nop 1
	;; [unrolled: 4-line block ×4, first 2 shown]
	v_mov_b32_dpp v19, v18 row_bcast:15 row_mask:0xf bank_mask:0xf
	v_cndmask_b32_e64 v19, v19, 0, s[6:7]
	v_add_u32_e32 v18, v18, v19
	s_nop 1
	v_mov_b32_dpp v19, v18 row_bcast:31 row_mask:0xf bank_mask:0xf
	v_cndmask_b32_e64 v19, 0, v19, s[18:19]
	v_add_u32_e32 v18, v18, v19
	s_and_saveexec_b64 s[16:17], s[4:5]
	s_cbranch_execz .LBB3148_123
; %bb.122:
	v_lshlrev_b32_e32 v19, 2, v61
	ds_write_b32 v19, v18
.LBB3148_123:
	s_or_b64 exec, exec, s[16:17]
	v_cmp_gt_u32_e32 vcc, 8, v0
	s_waitcnt lgkmcnt(0)
	s_barrier
	s_and_saveexec_b64 s[16:17], vcc
	s_cbranch_execz .LBB3148_125
; %bb.124:
	v_lshlrev_b32_e32 v19, 2, v0
	ds_read_b32 v26, v19
	v_and_b32_e32 v27, 7, v60
	v_cmp_ne_u32_e32 vcc, 0, v27
	s_waitcnt lgkmcnt(0)
	v_mov_b32_dpp v28, v26 row_shr:1 row_mask:0xf bank_mask:0xf
	v_cndmask_b32_e32 v28, 0, v28, vcc
	v_add_u32_e32 v26, v28, v26
	v_cmp_lt_u32_e32 vcc, 1, v27
	s_nop 0
	v_mov_b32_dpp v28, v26 row_shr:2 row_mask:0xf bank_mask:0xf
	v_cndmask_b32_e32 v28, 0, v28, vcc
	v_add_u32_e32 v26, v26, v28
	v_cmp_lt_u32_e32 vcc, 3, v27
	s_nop 0
	v_mov_b32_dpp v28, v26 row_shr:4 row_mask:0xf bank_mask:0xf
	v_cndmask_b32_e32 v27, 0, v28, vcc
	v_add_u32_e32 v26, v26, v27
	ds_write_b32 v19, v26
.LBB3148_125:
	s_or_b64 exec, exec, s[16:17]
	v_cmp_gt_u32_e32 vcc, 64, v0
	v_cmp_lt_u32_e64 s[16:17], 63, v0
	s_waitcnt lgkmcnt(0)
	s_barrier
	s_waitcnt lgkmcnt(0)
                                        ; implicit-def: $vgpr63
	s_and_saveexec_b64 s[36:37], s[16:17]
	s_cbranch_execz .LBB3148_127
; %bb.126:
	v_lshl_add_u32 v19, v61, 2, -4
	ds_read_b32 v63, v19
	s_waitcnt lgkmcnt(0)
	v_add_u32_e32 v18, v63, v18
.LBB3148_127:
	s_or_b64 exec, exec, s[36:37]
	v_add_u32_e32 v19, -1, v60
	v_and_b32_e32 v26, 64, v60
	v_cmp_lt_i32_e64 s[16:17], v19, v26
	s_nop 1
	v_cndmask_b32_e64 v19, v19, v60, s[16:17]
	v_lshlrev_b32_e32 v19, 2, v19
	ds_bpermute_b32 v64, v19, v18
	v_cmp_eq_u32_e64 s[16:17], 0, v60
	s_and_saveexec_b64 s[36:37], vcc
	s_cbranch_execz .LBB3148_150
; %bb.128:
	v_mov_b32_e32 v33, 0
	ds_read_b32 v18, v33 offset:28
	s_and_saveexec_b64 s[38:39], s[16:17]
	s_cbranch_execz .LBB3148_130
; %bb.129:
	s_add_i32 s40, s2, 64
	s_mov_b32 s41, 0
	s_lshl_b64 s[40:41], s[40:41], 3
	s_add_u32 s40, s34, s40
	v_mov_b32_e32 v19, 1
	s_addc_u32 s41, s35, s41
	s_waitcnt lgkmcnt(0)
	global_store_dwordx2 v33, v[18:19], s[40:41] sc1
.LBB3148_130:
	s_or_b64 exec, exec, s[38:39]
	v_xad_u32 v26, v60, -1, s2
	v_add_u32_e32 v32, 64, v26
	v_lshl_add_u64 v[28:29], v[32:33], 3, s[34:35]
	global_load_dwordx2 v[30:31], v[28:29], off sc1
	s_waitcnt vmcnt(0)
	v_cmp_eq_u16_sdwa s[40:41], v31, v33 src0_sel:BYTE_0 src1_sel:DWORD
	s_and_saveexec_b64 s[38:39], s[40:41]
	s_cbranch_execz .LBB3148_136
; %bb.131:
	s_mov_b32 s3, 1
	s_mov_b64 s[40:41], 0
	v_mov_b32_e32 v19, 0
.LBB3148_132:                           ; =>This Loop Header: Depth=1
                                        ;     Child Loop BB3148_133 Depth 2
	s_max_u32 s42, s3, 1
.LBB3148_133:                           ;   Parent Loop BB3148_132 Depth=1
                                        ; =>  This Inner Loop Header: Depth=2
	s_add_i32 s42, s42, -1
	s_cmp_eq_u32 s42, 0
	s_sleep 1
	s_cbranch_scc0 .LBB3148_133
; %bb.134:                              ;   in Loop: Header=BB3148_132 Depth=1
	global_load_dwordx2 v[30:31], v[28:29], off sc1
	s_cmp_lt_u32 s3, 32
	s_cselect_b64 s[42:43], -1, 0
	s_cmp_lg_u64 s[42:43], 0
	s_addc_u32 s3, s3, 0
	s_waitcnt vmcnt(0)
	v_cmp_ne_u16_sdwa s[42:43], v31, v19 src0_sel:BYTE_0 src1_sel:DWORD
	s_or_b64 s[40:41], s[42:43], s[40:41]
	s_andn2_b64 exec, exec, s[40:41]
	s_cbranch_execnz .LBB3148_132
; %bb.135:
	s_or_b64 exec, exec, s[40:41]
.LBB3148_136:
	s_or_b64 exec, exec, s[38:39]
	v_and_b32_e32 v66, 63, v60
	v_mov_b32_e32 v65, 2
	v_cmp_ne_u32_e32 vcc, 63, v66
	v_cmp_eq_u16_sdwa s[38:39], v31, v65 src0_sel:BYTE_0 src1_sel:DWORD
	v_lshlrev_b64 v[28:29], v60, -1
	v_addc_co_u32_e32 v32, vcc, 0, v60, vcc
	v_and_b32_e32 v19, s39, v29
	v_lshlrev_b32_e32 v67, 2, v32
	v_or_b32_e32 v19, 0x80000000, v19
	ds_bpermute_b32 v32, v67, v30
	v_and_b32_e32 v27, s38, v28
	v_ffbl_b32_e32 v19, v19
	v_add_u32_e32 v19, 32, v19
	v_ffbl_b32_e32 v27, v27
	v_min_u32_e32 v19, v27, v19
	v_cmp_lt_u32_e32 vcc, v66, v19
	v_add_u32_e32 v69, 2, v66
	v_add_u32_e32 v71, 4, v66
	s_waitcnt lgkmcnt(0)
	v_cndmask_b32_e32 v27, 0, v32, vcc
	v_cmp_gt_u32_e32 vcc, 62, v66
	v_add_u32_e32 v27, v27, v30
	v_add_u32_e32 v73, 8, v66
	v_cndmask_b32_e64 v30, 0, 1, vcc
	v_lshlrev_b32_e32 v30, 1, v30
	v_add_lshl_u32 v68, v30, v60, 2
	ds_bpermute_b32 v30, v68, v27
	v_cmp_le_u32_e32 vcc, v69, v19
	v_add_u32_e32 v75, 16, v66
	v_add_u32_e32 v77, 32, v66
	s_waitcnt lgkmcnt(0)
	v_cndmask_b32_e32 v30, 0, v30, vcc
	v_cmp_gt_u32_e32 vcc, 60, v66
	v_add_u32_e32 v27, v27, v30
	s_nop 0
	v_cndmask_b32_e64 v30, 0, 1, vcc
	v_lshlrev_b32_e32 v30, 2, v30
	v_add_lshl_u32 v70, v30, v60, 2
	ds_bpermute_b32 v30, v70, v27
	v_cmp_le_u32_e32 vcc, v71, v19
	s_waitcnt lgkmcnt(0)
	s_nop 0
	v_cndmask_b32_e32 v30, 0, v30, vcc
	v_cmp_gt_u32_e32 vcc, 56, v66
	v_add_u32_e32 v27, v27, v30
	s_nop 0
	v_cndmask_b32_e64 v30, 0, 1, vcc
	v_lshlrev_b32_e32 v30, 3, v30
	v_add_lshl_u32 v72, v30, v60, 2
	ds_bpermute_b32 v30, v72, v27
	v_cmp_le_u32_e32 vcc, v73, v19
	s_waitcnt lgkmcnt(0)
	s_nop 0
	;; [unrolled: 11-line block ×4, first 2 shown]
	v_cndmask_b32_e32 v19, 0, v30, vcc
	v_add_u32_e32 v30, v27, v19
	v_mov_b32_e32 v27, 0
	s_branch .LBB3148_138
.LBB3148_137:                           ;   in Loop: Header=BB3148_138 Depth=1
	s_or_b64 exec, exec, s[38:39]
	v_cmp_eq_u16_sdwa s[38:39], v31, v65 src0_sel:BYTE_0 src1_sel:DWORD
	ds_bpermute_b32 v78, v67, v30
	v_subrev_u32_e32 v26, 64, v26
	v_and_b32_e32 v32, s39, v29
	v_or_b32_e32 v32, 0x80000000, v32
	v_and_b32_e32 v33, s38, v28
	v_ffbl_b32_e32 v32, v32
	v_add_u32_e32 v32, 32, v32
	v_ffbl_b32_e32 v33, v33
	v_min_u32_e32 v32, v33, v32
	v_cmp_lt_u32_e32 vcc, v66, v32
	s_waitcnt lgkmcnt(0)
	s_nop 0
	v_cndmask_b32_e32 v33, 0, v78, vcc
	v_add_u32_e32 v30, v33, v30
	ds_bpermute_b32 v33, v68, v30
	v_cmp_le_u32_e32 vcc, v69, v32
	s_waitcnt lgkmcnt(0)
	s_nop 0
	v_cndmask_b32_e32 v33, 0, v33, vcc
	v_add_u32_e32 v30, v30, v33
	ds_bpermute_b32 v33, v70, v30
	v_cmp_le_u32_e32 vcc, v71, v32
	;; [unrolled: 6-line block ×5, first 2 shown]
	s_waitcnt lgkmcnt(0)
	s_nop 0
	v_cndmask_b32_e32 v32, 0, v33, vcc
	v_add3_u32 v30, v32, v19, v30
.LBB3148_138:                           ; =>This Loop Header: Depth=1
                                        ;     Child Loop BB3148_141 Depth 2
                                        ;       Child Loop BB3148_142 Depth 3
	v_cmp_ne_u16_sdwa s[38:39], v31, v65 src0_sel:BYTE_0 src1_sel:DWORD
	s_nop 1
	v_cndmask_b32_e64 v19, 0, 1, s[38:39]
	;;#ASMSTART
	;;#ASMEND
	s_nop 0
	v_cmp_ne_u32_e32 vcc, 0, v19
	s_cmp_lg_u64 vcc, exec
	v_mov_b32_e32 v19, v30
	s_cbranch_scc1 .LBB3148_145
; %bb.139:                              ;   in Loop: Header=BB3148_138 Depth=1
	v_lshl_add_u64 v[32:33], v[26:27], 3, s[34:35]
	global_load_dwordx2 v[30:31], v[32:33], off sc1
	s_waitcnt vmcnt(0)
	v_cmp_eq_u16_sdwa s[40:41], v31, v27 src0_sel:BYTE_0 src1_sel:DWORD
	s_and_saveexec_b64 s[38:39], s[40:41]
	s_cbranch_execz .LBB3148_137
; %bb.140:                              ;   in Loop: Header=BB3148_138 Depth=1
	s_mov_b32 s3, 1
	s_mov_b64 s[40:41], 0
.LBB3148_141:                           ;   Parent Loop BB3148_138 Depth=1
                                        ; =>  This Loop Header: Depth=2
                                        ;       Child Loop BB3148_142 Depth 3
	s_max_u32 s42, s3, 1
.LBB3148_142:                           ;   Parent Loop BB3148_138 Depth=1
                                        ;     Parent Loop BB3148_141 Depth=2
                                        ; =>    This Inner Loop Header: Depth=3
	s_add_i32 s42, s42, -1
	s_cmp_eq_u32 s42, 0
	s_sleep 1
	s_cbranch_scc0 .LBB3148_142
; %bb.143:                              ;   in Loop: Header=BB3148_141 Depth=2
	global_load_dwordx2 v[30:31], v[32:33], off sc1
	s_cmp_lt_u32 s3, 32
	s_cselect_b64 s[42:43], -1, 0
	s_cmp_lg_u64 s[42:43], 0
	s_addc_u32 s3, s3, 0
	s_waitcnt vmcnt(0)
	v_cmp_ne_u16_sdwa s[42:43], v31, v27 src0_sel:BYTE_0 src1_sel:DWORD
	s_or_b64 s[40:41], s[42:43], s[40:41]
	s_andn2_b64 exec, exec, s[40:41]
	s_cbranch_execnz .LBB3148_141
; %bb.144:                              ;   in Loop: Header=BB3148_138 Depth=1
	s_or_b64 exec, exec, s[40:41]
	s_branch .LBB3148_137
.LBB3148_145:                           ;   in Loop: Header=BB3148_138 Depth=1
                                        ; implicit-def: $vgpr30
                                        ; implicit-def: $vgpr31
	s_cbranch_execz .LBB3148_138
; %bb.146:
	s_and_saveexec_b64 s[38:39], s[16:17]
	s_cbranch_execz .LBB3148_148
; %bb.147:
	s_add_i32 s2, s2, 64
	s_mov_b32 s3, 0
	s_lshl_b64 s[2:3], s[2:3], 3
	s_add_u32 s2, s34, s2
	v_add_u32_e32 v26, v19, v18
	v_mov_b32_e32 v27, 2
	s_addc_u32 s3, s35, s3
	v_mov_b32_e32 v28, 0
	global_store_dwordx2 v28, v[26:27], s[2:3] sc1
	ds_write_b64 v28, v[18:19] offset:28672
.LBB3148_148:
	s_or_b64 exec, exec, s[38:39]
	v_cmp_eq_u32_e32 vcc, 0, v0
	s_and_b64 exec, exec, vcc
	s_cbranch_execz .LBB3148_150
; %bb.149:
	v_mov_b32_e32 v18, 0
	ds_write_b32 v18, v19 offset:28
.LBB3148_150:
	s_or_b64 exec, exec, s[36:37]
	v_mov_b32_e32 v18, 0
	s_waitcnt lgkmcnt(0)
	s_barrier
	ds_read_b32 v27, v18 offset:28
	s_waitcnt lgkmcnt(0)
	s_barrier
	ds_read_b64 v[18:19], v18 offset:28672
	v_cndmask_b32_e64 v26, v64, v63, s[16:17]
	v_cmp_ne_u32_e32 vcc, 0, v0
	s_nop 1
	v_cndmask_b32_e32 v26, 0, v26, vcc
	v_add_u32_e32 v32, v27, v26
	s_waitcnt lgkmcnt(0)
	v_mov_b32_e32 v26, v19
	s_branch .LBB3148_161
.LBB3148_151:
                                        ; implicit-def: $vgpr26
                                        ; implicit-def: $vgpr18
                                        ; implicit-def: $vgpr32
	s_cbranch_execz .LBB3148_161
; %bb.152:
	s_nop 0
	v_mov_b32_dpp v18, v62 row_shr:1 row_mask:0xf bank_mask:0xf
	v_cndmask_b32_e64 v18, v18, 0, s[14:15]
	v_add_u32_e32 v18, v18, v62
	s_nop 1
	v_mov_b32_dpp v19, v18 row_shr:2 row_mask:0xf bank_mask:0xf
	v_cndmask_b32_e64 v19, 0, v19, s[12:13]
	v_add_u32_e32 v18, v18, v19
	;; [unrolled: 4-line block ×4, first 2 shown]
	s_nop 1
	v_mov_b32_dpp v19, v18 row_bcast:15 row_mask:0xf bank_mask:0xf
	v_cndmask_b32_e64 v19, v19, 0, s[6:7]
	v_add_u32_e32 v18, v18, v19
	s_nop 1
	v_mov_b32_dpp v19, v18 row_bcast:31 row_mask:0xf bank_mask:0xf
	v_cndmask_b32_e64 v19, 0, v19, s[18:19]
	v_add_u32_e32 v18, v18, v19
	s_and_saveexec_b64 s[2:3], s[4:5]
	s_cbranch_execz .LBB3148_154
; %bb.153:
	v_lshlrev_b32_e32 v19, 2, v61
	ds_write_b32 v19, v18
.LBB3148_154:
	s_or_b64 exec, exec, s[2:3]
	v_cmp_gt_u32_e32 vcc, 8, v0
	s_waitcnt lgkmcnt(0)
	s_barrier
	s_and_saveexec_b64 s[2:3], vcc
	s_cbranch_execz .LBB3148_156
; %bb.155:
	v_lshlrev_b32_e32 v19, 2, v0
	ds_read_b32 v26, v19
	v_and_b32_e32 v27, 7, v60
	v_cmp_ne_u32_e32 vcc, 0, v27
	s_waitcnt lgkmcnt(0)
	v_mov_b32_dpp v28, v26 row_shr:1 row_mask:0xf bank_mask:0xf
	v_cndmask_b32_e32 v28, 0, v28, vcc
	v_add_u32_e32 v26, v28, v26
	v_cmp_lt_u32_e32 vcc, 1, v27
	s_nop 0
	v_mov_b32_dpp v28, v26 row_shr:2 row_mask:0xf bank_mask:0xf
	v_cndmask_b32_e32 v28, 0, v28, vcc
	v_add_u32_e32 v26, v26, v28
	v_cmp_lt_u32_e32 vcc, 3, v27
	s_nop 0
	v_mov_b32_dpp v28, v26 row_shr:4 row_mask:0xf bank_mask:0xf
	v_cndmask_b32_e32 v27, 0, v28, vcc
	v_add_u32_e32 v26, v26, v27
	ds_write_b32 v19, v26
.LBB3148_156:
	s_or_b64 exec, exec, s[2:3]
	v_cmp_lt_u32_e32 vcc, 63, v0
	v_mov_b32_e32 v19, 0
	v_mov_b32_e32 v26, 0
	s_waitcnt lgkmcnt(0)
	s_barrier
	s_and_saveexec_b64 s[2:3], vcc
	s_cbranch_execz .LBB3148_158
; %bb.157:
	v_lshl_add_u32 v26, v61, 2, -4
	ds_read_b32 v26, v26
.LBB3148_158:
	s_or_b64 exec, exec, s[2:3]
	v_add_u32_e32 v27, -1, v60
	v_and_b32_e32 v28, 64, v60
	v_cmp_lt_i32_e32 vcc, v27, v28
	s_waitcnt lgkmcnt(0)
	v_add_u32_e32 v18, v26, v18
	v_cndmask_b32_e32 v27, v27, v60, vcc
	v_lshlrev_b32_e32 v27, 2, v27
	ds_bpermute_b32 v27, v27, v18
	ds_read_b32 v18, v19 offset:28
	v_cmp_eq_u32_e32 vcc, 0, v0
	s_and_saveexec_b64 s[2:3], vcc
	s_cbranch_execz .LBB3148_160
; %bb.159:
	v_mov_b32_e32 v28, 0
	v_mov_b32_e32 v19, 2
	s_waitcnt lgkmcnt(0)
	global_store_dwordx2 v28, v[18:19], s[34:35] offset:512 sc1
.LBB3148_160:
	s_or_b64 exec, exec, s[2:3]
	v_cmp_eq_u32_e64 s[2:3], 0, v60
	s_waitcnt lgkmcnt(0)
	s_barrier
	v_cndmask_b32_e64 v19, v27, v26, s[2:3]
	v_mov_b32_e32 v26, 0
	v_cndmask_b32_e64 v32, v19, 0, vcc
.LBB3148_161:
	v_add_u32_sdwa v60, v32, v24 dst_sel:DWORD dst_unused:UNUSED_PAD src0_sel:DWORD src1_sel:BYTE_0
	v_add_u32_e32 v1, v18, v1
	v_sub_u32_e32 v32, v32, v26
	v_and_b32_e32 v69, 1, v24
	v_sub_u32_e32 v68, v1, v32
	v_cmp_eq_u32_e32 vcc, 1, v69
	v_lshrrev_b32_e32 v33, 8, v24
	v_add_u32_sdwa v61, v60, v24 dst_sel:DWORD dst_unused:UNUSED_PAD src0_sel:DWORD src1_sel:BYTE_1
	v_cndmask_b32_e32 v32, v68, v32, vcc
	v_lshlrev_b32_e32 v32, 1, v32
	ds_write_b16 v32, v10
	v_sub_u32_e32 v32, v60, v26
	v_sub_u32_e32 v60, v1, v32
	v_and_b32_e32 v33, 1, v33
	v_add_u32_e32 v60, 1, v60
	v_cmp_eq_u32_e32 vcc, 1, v33
	v_mov_b32_e32 v33, 1
	v_and_b32_sdwa v24, v33, v24 dst_sel:DWORD dst_unused:UNUSED_PAD src0_sel:DWORD src1_sel:WORD_1
	v_cndmask_b32_e32 v32, v60, v32, vcc
	v_lshlrev_b32_e32 v32, 1, v32
	ds_write_b16_d16_hi v32, v10
	v_sub_u32_e32 v10, v61, v26
	v_sub_u32_e32 v32, v1, v10
	v_add_u32_e32 v32, 2, v32
	v_cmp_eq_u32_e32 vcc, 1, v24
	v_add_u32_e32 v59, v61, v59
	v_add_u32_e32 v62, v59, v41
	v_cndmask_b32_e32 v10, v32, v10, vcc
	v_lshlrev_b32_e32 v10, 1, v10
	ds_write_b16 v10, v11
	v_sub_u32_e32 v10, v59, v26
	v_sub_u32_e32 v24, v1, v10
	v_and_b32_e32 v32, 1, v41
	v_add_u32_e32 v24, 3, v24
	v_cmp_eq_u32_e32 vcc, 1, v32
	v_add_u32_e32 v56, v62, v56
	v_lshrrev_b32_e32 v31, 8, v25
	v_cndmask_b32_e32 v10, v24, v10, vcc
	v_lshlrev_b32_e32 v10, 1, v10
	ds_write_b16_d16_hi v10, v11
	v_sub_u32_e32 v10, v62, v26
	v_sub_u32_e32 v11, v1, v10
	v_and_b32_e32 v24, 1, v25
	v_add_u32_e32 v11, 4, v11
	v_cmp_eq_u32_e32 vcc, 1, v24
	v_and_b32_e32 v24, 1, v31
	v_add_u32_e32 v57, v56, v57
	v_cndmask_b32_e32 v10, v11, v10, vcc
	v_lshlrev_b32_e32 v10, 1, v10
	ds_write_b16 v10, v12
	v_sub_u32_e32 v10, v56, v26
	v_sub_u32_e32 v11, v1, v10
	v_add_u32_e32 v11, 5, v11
	v_cmp_eq_u32_e32 vcc, 1, v24
	v_add_u32_e32 v58, v57, v58
	v_add_u32_e32 v63, v58, v40
	v_cndmask_b32_e32 v10, v11, v10, vcc
	v_lshlrev_b32_e32 v10, 1, v10
	ds_write_b16_d16_hi v10, v12
	v_sub_u32_e32 v10, v57, v26
	v_sub_u32_e32 v11, v1, v10
	v_and_b32_sdwa v12, v33, v25 dst_sel:DWORD dst_unused:UNUSED_PAD src0_sel:DWORD src1_sel:WORD_1
	v_add_u32_e32 v11, 6, v11
	v_cmp_eq_u32_e32 vcc, 1, v12
	v_and_b32_e32 v12, 1, v40
	v_add_u32_e32 v53, v63, v53
	v_cndmask_b32_e32 v10, v11, v10, vcc
	v_lshlrev_b32_e32 v10, 1, v10
	ds_write_b16 v10, v13
	v_sub_u32_e32 v10, v58, v26
	v_sub_u32_e32 v11, v1, v10
	v_add_u32_e32 v11, 7, v11
	v_cmp_eq_u32_e32 vcc, 1, v12
	v_and_b32_e32 v12, 1, v22
	v_lshrrev_b32_e32 v30, 8, v22
	v_cndmask_b32_e32 v10, v11, v10, vcc
	v_lshlrev_b32_e32 v10, 1, v10
	ds_write_b16_d16_hi v10, v13
	v_sub_u32_e32 v10, v63, v26
	v_sub_u32_e32 v11, v1, v10
	v_add_u32_e32 v11, 8, v11
	v_cmp_eq_u32_e32 vcc, 1, v12
	v_and_b32_e32 v12, 1, v30
	v_add_u32_e32 v54, v53, v54
	v_cndmask_b32_e32 v10, v11, v10, vcc
	v_lshlrev_b32_e32 v10, 1, v10
	ds_write_b16 v10, v6
	v_sub_u32_e32 v10, v53, v26
	v_sub_u32_e32 v11, v1, v10
	v_add_u32_e32 v11, 9, v11
	v_cmp_eq_u32_e32 vcc, 1, v12
	v_add_u32_e32 v55, v54, v55
	v_add_u32_e32 v64, v55, v39
	v_cndmask_b32_e32 v10, v11, v10, vcc
	v_lshlrev_b32_e32 v10, 1, v10
	ds_write_b16_d16_hi v10, v6
	v_sub_u32_e32 v6, v54, v26
	v_sub_u32_e32 v10, v1, v6
	v_and_b32_sdwa v11, v33, v22 dst_sel:DWORD dst_unused:UNUSED_PAD src0_sel:DWORD src1_sel:WORD_1
	v_add_u32_e32 v10, 10, v10
	v_cmp_eq_u32_e32 vcc, 1, v11
	v_and_b32_e32 v11, 1, v39
	v_add_u32_e32 v50, v64, v50
	v_cndmask_b32_e32 v6, v10, v6, vcc
	v_lshlrev_b32_e32 v6, 1, v6
	ds_write_b16 v6, v7
	v_sub_u32_e32 v6, v55, v26
	v_sub_u32_e32 v10, v1, v6
	v_add_u32_e32 v10, 11, v10
	v_cmp_eq_u32_e32 vcc, 1, v11
	v_lshrrev_b32_e32 v29, 8, v23
	v_add_u32_e32 v51, v50, v51
	v_cndmask_b32_e32 v6, v10, v6, vcc
	v_lshlrev_b32_e32 v6, 1, v6
	ds_write_b16_d16_hi v6, v7
	v_sub_u32_e32 v6, v64, v26
	v_sub_u32_e32 v7, v1, v6
	v_and_b32_e32 v10, 1, v23
	v_add_u32_e32 v7, 12, v7
	v_cmp_eq_u32_e32 vcc, 1, v10
	v_and_b32_e32 v10, 1, v29
	v_add_u32_e32 v52, v51, v52
	v_cndmask_b32_e32 v6, v7, v6, vcc
	v_lshlrev_b32_e32 v6, 1, v6
	ds_write_b16 v6, v8
	v_sub_u32_e32 v6, v50, v26
	v_sub_u32_e32 v7, v1, v6
	v_add_u32_e32 v7, 13, v7
	v_cmp_eq_u32_e32 vcc, 1, v10
	v_add_u32_e32 v65, v52, v38
	v_add_u32_e32 v47, v65, v47
	v_cndmask_b32_e32 v6, v7, v6, vcc
	v_lshlrev_b32_e32 v6, 1, v6
	ds_write_b16_d16_hi v6, v8
	v_sub_u32_e32 v6, v51, v26
	v_sub_u32_e32 v7, v1, v6
	v_and_b32_sdwa v8, v33, v23 dst_sel:DWORD dst_unused:UNUSED_PAD src0_sel:DWORD src1_sel:WORD_1
	v_add_u32_e32 v7, 14, v7
	v_cmp_eq_u32_e32 vcc, 1, v8
	v_and_b32_e32 v8, 1, v38
	v_lshrrev_b32_e32 v28, 8, v20
	v_cndmask_b32_e32 v6, v7, v6, vcc
	v_lshlrev_b32_e32 v6, 1, v6
	ds_write_b16 v6, v9
	v_sub_u32_e32 v6, v52, v26
	v_sub_u32_e32 v7, v1, v6
	v_add_u32_e32 v7, 15, v7
	v_cmp_eq_u32_e32 vcc, 1, v8
	v_and_b32_e32 v8, 1, v20
	v_add_u32_e32 v48, v47, v48
	v_cndmask_b32_e32 v6, v7, v6, vcc
	v_lshlrev_b32_e32 v6, 1, v6
	ds_write_b16_d16_hi v6, v9
	v_sub_u32_e32 v6, v65, v26
	v_sub_u32_e32 v7, v1, v6
	v_add_u32_e32 v7, 16, v7
	v_cmp_eq_u32_e32 vcc, 1, v8
	v_and_b32_e32 v8, 1, v28
	v_add_u32_e32 v49, v48, v49
	v_cndmask_b32_e32 v6, v7, v6, vcc
	v_lshlrev_b32_e32 v6, 1, v6
	ds_write_b16 v6, v2
	v_sub_u32_e32 v6, v47, v26
	v_sub_u32_e32 v7, v1, v6
	v_add_u32_e32 v7, 17, v7
	v_cmp_eq_u32_e32 vcc, 1, v8
	v_add_u32_e32 v66, v49, v37
	v_add_u32_e32 v44, v66, v44
	v_cndmask_b32_e32 v6, v7, v6, vcc
	v_lshlrev_b32_e32 v6, 1, v6
	ds_write_b16_d16_hi v6, v2
	v_sub_u32_e32 v2, v48, v26
	v_sub_u32_e32 v6, v1, v2
	v_and_b32_sdwa v7, v33, v20 dst_sel:DWORD dst_unused:UNUSED_PAD src0_sel:DWORD src1_sel:WORD_1
	v_add_u32_e32 v6, 18, v6
	v_cmp_eq_u32_e32 vcc, 1, v7
	v_and_b32_e32 v7, 1, v37
	v_lshrrev_b32_e32 v27, 8, v21
	v_cndmask_b32_e32 v2, v6, v2, vcc
	v_lshlrev_b32_e32 v2, 1, v2
	ds_write_b16 v2, v3
	v_sub_u32_e32 v2, v49, v26
	v_sub_u32_e32 v6, v1, v2
	v_add_u32_e32 v6, 19, v6
	v_cmp_eq_u32_e32 vcc, 1, v7
	v_add_u32_e32 v45, v44, v45
	v_add_u32_e32 v46, v45, v46
	v_cndmask_b32_e32 v2, v6, v2, vcc
	v_lshlrev_b32_e32 v2, 1, v2
	ds_write_b16_d16_hi v2, v3
	v_sub_u32_e32 v2, v66, v26
	v_sub_u32_e32 v3, v1, v2
	v_and_b32_e32 v6, 1, v21
	v_add_u32_e32 v3, 20, v3
	v_cmp_eq_u32_e32 vcc, 1, v6
	v_and_b32_e32 v6, 1, v27
	v_add_u32_e32 v67, v46, v36
	v_cndmask_b32_e32 v2, v3, v2, vcc
	v_lshlrev_b32_e32 v2, 1, v2
	ds_write_b16 v2, v4
	v_sub_u32_e32 v2, v44, v26
	v_sub_u32_e32 v3, v1, v2
	v_add_u32_e32 v3, 21, v3
	v_cmp_eq_u32_e32 vcc, 1, v6
	v_add_u32_e32 v42, v67, v42
	v_lshrrev_b32_e32 v19, 8, v34
	v_cndmask_b32_e32 v2, v3, v2, vcc
	v_lshlrev_b32_e32 v2, 1, v2
	ds_write_b16_d16_hi v2, v4
	v_sub_u32_e32 v2, v45, v26
	v_sub_u32_e32 v3, v1, v2
	v_and_b32_sdwa v4, v33, v21 dst_sel:DWORD dst_unused:UNUSED_PAD src0_sel:DWORD src1_sel:WORD_1
	v_add_u32_e32 v3, 22, v3
	v_cmp_eq_u32_e32 vcc, 1, v4
	v_and_b32_e32 v4, 1, v36
	v_add_u32_e32 v43, v42, v43
	v_cndmask_b32_e32 v2, v3, v2, vcc
	v_lshlrev_b32_e32 v2, 1, v2
	ds_write_b16 v2, v5
	v_sub_u32_e32 v2, v46, v26
	v_sub_u32_e32 v3, v1, v2
	v_add_u32_e32 v3, 23, v3
	v_cmp_eq_u32_e32 vcc, 1, v4
	v_and_b32_e32 v4, 1, v34
	v_mov_b32_e32 v27, 0
	v_cndmask_b32_e32 v2, v3, v2, vcc
	v_lshlrev_b32_e32 v2, 1, v2
	ds_write_b16_d16_hi v2, v5
	v_sub_u32_e32 v2, v67, v26
	v_sub_u32_e32 v3, v1, v2
	v_add_u32_e32 v3, 24, v3
	v_cmp_eq_u32_e32 vcc, 1, v4
	v_and_b32_e32 v4, 1, v19
	v_mov_b32_e32 v19, v27
	v_cndmask_b32_e32 v2, v3, v2, vcc
	v_lshlrev_b32_e32 v2, 1, v2
	ds_write_b16 v2, v16
	v_sub_u32_e32 v2, v42, v26
	v_sub_u32_e32 v3, v1, v2
	v_add_u32_e32 v3, 25, v3
	v_cmp_eq_u32_e32 vcc, 1, v4
	v_and_b32_sdwa v4, v33, v34 dst_sel:DWORD dst_unused:UNUSED_PAD src0_sel:DWORD src1_sel:WORD_1
	s_load_dwordx2 s[0:1], s[0:1], 0x40
	v_cndmask_b32_e32 v2, v3, v2, vcc
	v_lshlrev_b32_e32 v2, 1, v2
	ds_write_b16_d16_hi v2, v16
	v_sub_u32_e32 v2, v43, v26
	v_sub_u32_e32 v3, v1, v2
	v_add_u32_e32 v3, 26, v3
	v_cmp_eq_u32_e32 vcc, 1, v4
	v_mov_b32_e32 v5, s27
	v_or_b32_e32 v62, 0x200, v0
	v_cndmask_b32_e32 v2, v3, v2, vcc
	v_lshlrev_b32_e32 v2, 1, v2
	ds_write_b16 v2, v17
	v_sub_u32_e32 v2, v35, v26
	v_add_u32_e32 v2, v43, v2
	v_sub_u32_e32 v1, v1, v2
	v_and_b32_e32 v3, 1, v15
	v_add_u32_e32 v1, 27, v1
	v_cmp_eq_u32_e32 vcc, 1, v3
	v_or_b32_e32 v60, 0x400, v0
	v_or_b32_e32 v58, 0x600, v0
	v_cndmask_b32_e32 v1, v1, v2, vcc
	v_lshlrev_b32_e32 v1, 1, v1
	ds_write_b16_d16_hi v1, v17
	s_waitcnt lgkmcnt(0)
	s_barrier
	ds_read_u16 v64, v14
	ds_read_u16 v63, v14 offset:1024
	ds_read_u16 v61, v14 offset:2048
	;; [unrolled: 1-line block ×27, first 2 shown]
	v_lshl_add_u64 v[2:3], s[24:25], 0, v[18:19]
	v_lshl_add_u64 v[2:3], v[2:3], 0, v[26:27]
	v_sub_co_u32_e32 v4, vcc, s26, v2
	v_or_b32_e32 v56, 0x800, v0
	s_nop 0
	v_subb_co_u32_e32 v5, vcc, v5, v3, vcc
	v_lshlrev_b64 v[4:5], 1, v[4:5]
	v_lshl_add_u64 v[4:5], s[0:1], 0, v[4:5]
	v_or_b32_e32 v54, 0xa00, v0
	v_or_b32_e32 v52, 0xc00, v0
	;; [unrolled: 1-line block ×23, first 2 shown]
	v_lshl_add_u64 v[4:5], v[4:5], 0, s[30:31]
	s_andn2_b64 vcc, exec, s[28:29]
	v_cmp_ge_u32_e64 s[0:1], v0, v18
	s_cbranch_vccnz .LBB3148_191
; %bb.162:
	s_and_saveexec_b64 s[2:3], s[0:1]
	s_cbranch_execnz .LBB3148_252
; %bb.163:
	s_or_b64 exec, exec, s[2:3]
	v_cmp_ge_u32_e32 vcc, v62, v18
	s_and_saveexec_b64 s[0:1], vcc
	s_cbranch_execnz .LBB3148_253
.LBB3148_164:
	s_or_b64 exec, exec, s[0:1]
	v_cmp_ge_u32_e32 vcc, v60, v18
	s_and_saveexec_b64 s[0:1], vcc
	s_cbranch_execnz .LBB3148_254
.LBB3148_165:
	s_or_b64 exec, exec, s[0:1]
	v_cmp_ge_u32_e32 vcc, v58, v18
	s_and_saveexec_b64 s[0:1], vcc
	s_cbranch_execnz .LBB3148_255
.LBB3148_166:
	s_or_b64 exec, exec, s[0:1]
	v_cmp_ge_u32_e32 vcc, v56, v18
	s_and_saveexec_b64 s[0:1], vcc
	s_cbranch_execnz .LBB3148_256
.LBB3148_167:
	s_or_b64 exec, exec, s[0:1]
	v_cmp_ge_u32_e32 vcc, v54, v18
	s_and_saveexec_b64 s[0:1], vcc
	s_cbranch_execnz .LBB3148_257
.LBB3148_168:
	s_or_b64 exec, exec, s[0:1]
	v_cmp_ge_u32_e32 vcc, v52, v18
	s_and_saveexec_b64 s[0:1], vcc
	s_cbranch_execnz .LBB3148_258
.LBB3148_169:
	s_or_b64 exec, exec, s[0:1]
	v_cmp_ge_u32_e32 vcc, v49, v18
	s_and_saveexec_b64 s[0:1], vcc
	s_cbranch_execnz .LBB3148_259
.LBB3148_170:
	s_or_b64 exec, exec, s[0:1]
	v_cmp_ge_u32_e32 vcc, v48, v18
	s_and_saveexec_b64 s[0:1], vcc
	s_cbranch_execnz .LBB3148_260
.LBB3148_171:
	s_or_b64 exec, exec, s[0:1]
	v_cmp_ge_u32_e32 vcc, v46, v18
	s_and_saveexec_b64 s[0:1], vcc
	s_cbranch_execnz .LBB3148_261
.LBB3148_172:
	s_or_b64 exec, exec, s[0:1]
	v_cmp_ge_u32_e32 vcc, v44, v18
	s_and_saveexec_b64 s[0:1], vcc
	s_cbranch_execnz .LBB3148_262
.LBB3148_173:
	s_or_b64 exec, exec, s[0:1]
	v_cmp_ge_u32_e32 vcc, v42, v18
	s_and_saveexec_b64 s[0:1], vcc
	s_cbranch_execnz .LBB3148_263
.LBB3148_174:
	s_or_b64 exec, exec, s[0:1]
	v_cmp_ge_u32_e32 vcc, v40, v18
	s_and_saveexec_b64 s[0:1], vcc
	s_cbranch_execnz .LBB3148_264
.LBB3148_175:
	s_or_b64 exec, exec, s[0:1]
	v_cmp_ge_u32_e32 vcc, v38, v18
	s_and_saveexec_b64 s[0:1], vcc
	s_cbranch_execnz .LBB3148_265
.LBB3148_176:
	s_or_b64 exec, exec, s[0:1]
	v_cmp_ge_u32_e32 vcc, v36, v18
	s_and_saveexec_b64 s[0:1], vcc
	s_cbranch_execnz .LBB3148_266
.LBB3148_177:
	s_or_b64 exec, exec, s[0:1]
	v_cmp_ge_u32_e32 vcc, v33, v18
	s_and_saveexec_b64 s[0:1], vcc
	s_cbranch_execnz .LBB3148_267
.LBB3148_178:
	s_or_b64 exec, exec, s[0:1]
	v_cmp_ge_u32_e32 vcc, v32, v18
	s_and_saveexec_b64 s[0:1], vcc
	s_cbranch_execnz .LBB3148_268
.LBB3148_179:
	s_or_b64 exec, exec, s[0:1]
	v_cmp_ge_u32_e32 vcc, v30, v18
	s_and_saveexec_b64 s[0:1], vcc
	s_cbranch_execnz .LBB3148_269
.LBB3148_180:
	s_or_b64 exec, exec, s[0:1]
	v_cmp_ge_u32_e32 vcc, v28, v18
	s_and_saveexec_b64 s[0:1], vcc
	s_cbranch_execnz .LBB3148_270
.LBB3148_181:
	s_or_b64 exec, exec, s[0:1]
	v_cmp_ge_u32_e32 vcc, v24, v18
	s_and_saveexec_b64 s[0:1], vcc
	s_cbranch_execnz .LBB3148_271
.LBB3148_182:
	s_or_b64 exec, exec, s[0:1]
	v_cmp_ge_u32_e32 vcc, v22, v18
	s_and_saveexec_b64 s[0:1], vcc
	s_cbranch_execnz .LBB3148_272
.LBB3148_183:
	s_or_b64 exec, exec, s[0:1]
	v_cmp_ge_u32_e32 vcc, v20, v18
	s_and_saveexec_b64 s[0:1], vcc
	s_cbranch_execnz .LBB3148_273
.LBB3148_184:
	s_or_b64 exec, exec, s[0:1]
	v_cmp_ge_u32_e32 vcc, v16, v18
	s_and_saveexec_b64 s[0:1], vcc
	s_cbranch_execnz .LBB3148_274
.LBB3148_185:
	s_or_b64 exec, exec, s[0:1]
	v_cmp_ge_u32_e32 vcc, v13, v18
	s_and_saveexec_b64 s[0:1], vcc
	s_cbranch_execnz .LBB3148_275
.LBB3148_186:
	s_or_b64 exec, exec, s[0:1]
	v_cmp_ge_u32_e32 vcc, v11, v18
	s_and_saveexec_b64 s[0:1], vcc
	s_cbranch_execnz .LBB3148_276
.LBB3148_187:
	s_or_b64 exec, exec, s[0:1]
	v_cmp_ge_u32_e32 vcc, v9, v18
	s_and_saveexec_b64 s[0:1], vcc
	s_cbranch_execnz .LBB3148_277
.LBB3148_188:
	s_or_b64 exec, exec, s[0:1]
	v_cmp_ge_u32_e32 vcc, v8, v18
	s_and_saveexec_b64 s[0:1], vcc
	s_cbranch_execz .LBB3148_190
.LBB3148_189:
	v_lshlrev_b32_e32 v19, 1, v8
	v_readfirstlane_b32 s2, v4
	v_readfirstlane_b32 s3, v5
	s_waitcnt lgkmcnt(1)
	s_nop 3
	global_store_short v19, v7, s[2:3]
.LBB3148_190:
	s_or_b64 exec, exec, s[0:1]
	v_cmp_ge_u32_e64 s[0:1], v6, v18
	s_branch .LBB3148_247
.LBB3148_191:
	s_mov_b64 s[0:1], 0
	s_cbranch_execz .LBB3148_247
; %bb.192:
	v_cmp_gt_u32_e32 vcc, s33, v0
	v_cmp_ge_u32_e64 s[0:1], v0, v18
	s_and_b64 s[2:3], vcc, s[0:1]
	s_and_saveexec_b64 s[0:1], s[2:3]
	s_cbranch_execz .LBB3148_194
; %bb.193:
	v_readfirstlane_b32 s2, v4
	v_readfirstlane_b32 s3, v5
	s_waitcnt lgkmcnt(14)
	s_nop 3
	global_store_short v14, v64, s[2:3]
.LBB3148_194:
	s_or_b64 exec, exec, s[0:1]
	v_cmp_gt_u32_e32 vcc, s33, v62
	v_cmp_ge_u32_e64 s[0:1], v62, v18
	s_and_b64 s[2:3], vcc, s[0:1]
	s_and_saveexec_b64 s[0:1], s[2:3]
	s_cbranch_execz .LBB3148_196
; %bb.195:
	v_readfirstlane_b32 s2, v4
	v_readfirstlane_b32 s3, v5
	s_waitcnt lgkmcnt(14)
	s_nop 3
	global_store_short v14, v63, s[2:3] offset:1024
.LBB3148_196:
	s_or_b64 exec, exec, s[0:1]
	v_cmp_gt_u32_e32 vcc, s33, v60
	v_cmp_ge_u32_e64 s[0:1], v60, v18
	s_and_b64 s[2:3], vcc, s[0:1]
	s_and_saveexec_b64 s[0:1], s[2:3]
	s_cbranch_execz .LBB3148_198
; %bb.197:
	v_readfirstlane_b32 s2, v4
	v_readfirstlane_b32 s3, v5
	s_waitcnt lgkmcnt(14)
	s_nop 3
	global_store_short v14, v61, s[2:3] offset:2048
.LBB3148_198:
	;; [unrolled: 13-line block ×3, first 2 shown]
	s_or_b64 exec, exec, s[0:1]
	v_cmp_gt_u32_e32 vcc, s33, v56
	v_cmp_ge_u32_e64 s[0:1], v56, v18
	s_and_b64 s[2:3], vcc, s[0:1]
	s_and_saveexec_b64 s[0:1], s[2:3]
	s_cbranch_execz .LBB3148_202
; %bb.201:
	v_lshlrev_b32_e32 v14, 1, v56
	v_readfirstlane_b32 s2, v4
	v_readfirstlane_b32 s3, v5
	s_waitcnt lgkmcnt(14)
	s_nop 3
	global_store_short v14, v57, s[2:3]
.LBB3148_202:
	s_or_b64 exec, exec, s[0:1]
	v_cmp_gt_u32_e32 vcc, s33, v54
	v_cmp_ge_u32_e64 s[0:1], v54, v18
	s_and_b64 s[2:3], vcc, s[0:1]
	s_and_saveexec_b64 s[0:1], s[2:3]
	s_cbranch_execz .LBB3148_204
; %bb.203:
	v_lshlrev_b32_e32 v14, 1, v54
	v_readfirstlane_b32 s2, v4
	v_readfirstlane_b32 s3, v5
	s_waitcnt lgkmcnt(14)
	s_nop 3
	global_store_short v14, v55, s[2:3]
.LBB3148_204:
	;; [unrolled: 14-line block ×23, first 2 shown]
	s_or_b64 exec, exec, s[0:1]
	v_cmp_gt_u32_e32 vcc, s33, v6
	v_cmp_ge_u32_e64 s[0:1], v6, v18
	s_and_b64 s[0:1], vcc, s[0:1]
.LBB3148_247:
	s_and_saveexec_b64 s[2:3], s[0:1]
	s_cbranch_execz .LBB3148_249
; %bb.248:
	v_lshlrev_b32_e32 v6, 1, v6
	v_readfirstlane_b32 s0, v4
	v_readfirstlane_b32 s1, v5
	s_waitcnt lgkmcnt(0)
	s_nop 3
	global_store_short v6, v1, s[0:1]
.LBB3148_249:
	s_or_b64 exec, exec, s[2:3]
	v_cmp_eq_u32_e32 vcc, 0, v0
	s_and_b64 s[0:1], vcc, s[22:23]
	s_and_saveexec_b64 s[2:3], s[0:1]
	s_cbranch_execz .LBB3148_251
; %bb.250:
	v_mov_b32_e32 v0, 0
	global_store_dwordx2 v0, v[2:3], s[20:21]
.LBB3148_251:
	s_endpgm
.LBB3148_252:
	v_readfirstlane_b32 s0, v4
	v_readfirstlane_b32 s1, v5
	s_waitcnt lgkmcnt(14)
	s_nop 3
	global_store_short v14, v64, s[0:1]
	s_or_b64 exec, exec, s[2:3]
	v_cmp_ge_u32_e32 vcc, v62, v18
	s_and_saveexec_b64 s[0:1], vcc
	s_cbranch_execz .LBB3148_164
.LBB3148_253:
	v_readfirstlane_b32 s2, v4
	v_readfirstlane_b32 s3, v5
	s_waitcnt lgkmcnt(14)
	s_nop 3
	global_store_short v14, v63, s[2:3] offset:1024
	s_or_b64 exec, exec, s[0:1]
	v_cmp_ge_u32_e32 vcc, v60, v18
	s_and_saveexec_b64 s[0:1], vcc
	s_cbranch_execz .LBB3148_165
.LBB3148_254:
	v_readfirstlane_b32 s2, v4
	v_readfirstlane_b32 s3, v5
	s_waitcnt lgkmcnt(14)
	s_nop 3
	global_store_short v14, v61, s[2:3] offset:2048
	s_or_b64 exec, exec, s[0:1]
	v_cmp_ge_u32_e32 vcc, v58, v18
	s_and_saveexec_b64 s[0:1], vcc
	s_cbranch_execz .LBB3148_166
.LBB3148_255:
	v_readfirstlane_b32 s2, v4
	v_readfirstlane_b32 s3, v5
	s_waitcnt lgkmcnt(14)
	s_nop 3
	global_store_short v14, v59, s[2:3] offset:3072
	s_or_b64 exec, exec, s[0:1]
	v_cmp_ge_u32_e32 vcc, v56, v18
	s_and_saveexec_b64 s[0:1], vcc
	s_cbranch_execz .LBB3148_167
.LBB3148_256:
	v_lshlrev_b32_e32 v19, 1, v56
	v_readfirstlane_b32 s2, v4
	v_readfirstlane_b32 s3, v5
	s_waitcnt lgkmcnt(14)
	s_nop 3
	global_store_short v19, v57, s[2:3]
	s_or_b64 exec, exec, s[0:1]
	v_cmp_ge_u32_e32 vcc, v54, v18
	s_and_saveexec_b64 s[0:1], vcc
	s_cbranch_execz .LBB3148_168
.LBB3148_257:
	v_lshlrev_b32_e32 v19, 1, v54
	v_readfirstlane_b32 s2, v4
	v_readfirstlane_b32 s3, v5
	s_waitcnt lgkmcnt(14)
	s_nop 3
	global_store_short v19, v55, s[2:3]
	s_or_b64 exec, exec, s[0:1]
	v_cmp_ge_u32_e32 vcc, v52, v18
	s_and_saveexec_b64 s[0:1], vcc
	s_cbranch_execz .LBB3148_169
.LBB3148_258:
	v_lshlrev_b32_e32 v19, 1, v52
	v_readfirstlane_b32 s2, v4
	v_readfirstlane_b32 s3, v5
	s_waitcnt lgkmcnt(14)
	s_nop 3
	global_store_short v19, v53, s[2:3]
	s_or_b64 exec, exec, s[0:1]
	v_cmp_ge_u32_e32 vcc, v49, v18
	s_and_saveexec_b64 s[0:1], vcc
	s_cbranch_execz .LBB3148_170
.LBB3148_259:
	v_lshlrev_b32_e32 v19, 1, v49
	v_readfirstlane_b32 s2, v4
	v_readfirstlane_b32 s3, v5
	s_waitcnt lgkmcnt(14)
	s_nop 3
	global_store_short v19, v51, s[2:3]
	s_or_b64 exec, exec, s[0:1]
	v_cmp_ge_u32_e32 vcc, v48, v18
	s_and_saveexec_b64 s[0:1], vcc
	s_cbranch_execz .LBB3148_171
.LBB3148_260:
	v_lshlrev_b32_e32 v19, 1, v48
	v_readfirstlane_b32 s2, v4
	v_readfirstlane_b32 s3, v5
	s_waitcnt lgkmcnt(14)
	s_nop 3
	global_store_short v19, v50, s[2:3]
	s_or_b64 exec, exec, s[0:1]
	v_cmp_ge_u32_e32 vcc, v46, v18
	s_and_saveexec_b64 s[0:1], vcc
	s_cbranch_execz .LBB3148_172
.LBB3148_261:
	v_lshlrev_b32_e32 v19, 1, v46
	v_readfirstlane_b32 s2, v4
	v_readfirstlane_b32 s3, v5
	s_waitcnt lgkmcnt(14)
	s_nop 3
	global_store_short v19, v47, s[2:3]
	s_or_b64 exec, exec, s[0:1]
	v_cmp_ge_u32_e32 vcc, v44, v18
	s_and_saveexec_b64 s[0:1], vcc
	s_cbranch_execz .LBB3148_173
.LBB3148_262:
	v_lshlrev_b32_e32 v19, 1, v44
	v_readfirstlane_b32 s2, v4
	v_readfirstlane_b32 s3, v5
	s_waitcnt lgkmcnt(14)
	s_nop 3
	global_store_short v19, v45, s[2:3]
	s_or_b64 exec, exec, s[0:1]
	v_cmp_ge_u32_e32 vcc, v42, v18
	s_and_saveexec_b64 s[0:1], vcc
	s_cbranch_execz .LBB3148_174
.LBB3148_263:
	v_lshlrev_b32_e32 v19, 1, v42
	v_readfirstlane_b32 s2, v4
	v_readfirstlane_b32 s3, v5
	s_waitcnt lgkmcnt(14)
	s_nop 3
	global_store_short v19, v43, s[2:3]
	s_or_b64 exec, exec, s[0:1]
	v_cmp_ge_u32_e32 vcc, v40, v18
	s_and_saveexec_b64 s[0:1], vcc
	s_cbranch_execz .LBB3148_175
.LBB3148_264:
	v_lshlrev_b32_e32 v19, 1, v40
	v_readfirstlane_b32 s2, v4
	v_readfirstlane_b32 s3, v5
	s_waitcnt lgkmcnt(14)
	s_nop 3
	global_store_short v19, v41, s[2:3]
	s_or_b64 exec, exec, s[0:1]
	v_cmp_ge_u32_e32 vcc, v38, v18
	s_and_saveexec_b64 s[0:1], vcc
	s_cbranch_execz .LBB3148_176
.LBB3148_265:
	v_lshlrev_b32_e32 v19, 1, v38
	v_readfirstlane_b32 s2, v4
	v_readfirstlane_b32 s3, v5
	s_waitcnt lgkmcnt(14)
	s_nop 3
	global_store_short v19, v39, s[2:3]
	s_or_b64 exec, exec, s[0:1]
	v_cmp_ge_u32_e32 vcc, v36, v18
	s_and_saveexec_b64 s[0:1], vcc
	s_cbranch_execz .LBB3148_177
.LBB3148_266:
	v_lshlrev_b32_e32 v19, 1, v36
	v_readfirstlane_b32 s2, v4
	v_readfirstlane_b32 s3, v5
	s_waitcnt lgkmcnt(13)
	s_nop 3
	global_store_short v19, v37, s[2:3]
	s_or_b64 exec, exec, s[0:1]
	v_cmp_ge_u32_e32 vcc, v33, v18
	s_and_saveexec_b64 s[0:1], vcc
	s_cbranch_execz .LBB3148_178
.LBB3148_267:
	v_lshlrev_b32_e32 v19, 1, v33
	v_readfirstlane_b32 s2, v4
	v_readfirstlane_b32 s3, v5
	s_waitcnt lgkmcnt(12)
	s_nop 3
	global_store_short v19, v35, s[2:3]
	s_or_b64 exec, exec, s[0:1]
	v_cmp_ge_u32_e32 vcc, v32, v18
	s_and_saveexec_b64 s[0:1], vcc
	s_cbranch_execz .LBB3148_179
.LBB3148_268:
	v_lshlrev_b32_e32 v19, 1, v32
	v_readfirstlane_b32 s2, v4
	v_readfirstlane_b32 s3, v5
	s_waitcnt lgkmcnt(11)
	s_nop 3
	global_store_short v19, v34, s[2:3]
	s_or_b64 exec, exec, s[0:1]
	v_cmp_ge_u32_e32 vcc, v30, v18
	s_and_saveexec_b64 s[0:1], vcc
	s_cbranch_execz .LBB3148_180
.LBB3148_269:
	v_lshlrev_b32_e32 v19, 1, v30
	v_readfirstlane_b32 s2, v4
	v_readfirstlane_b32 s3, v5
	s_waitcnt lgkmcnt(10)
	s_nop 3
	global_store_short v19, v31, s[2:3]
	s_or_b64 exec, exec, s[0:1]
	v_cmp_ge_u32_e32 vcc, v28, v18
	s_and_saveexec_b64 s[0:1], vcc
	s_cbranch_execz .LBB3148_181
.LBB3148_270:
	v_lshlrev_b32_e32 v19, 1, v28
	v_readfirstlane_b32 s2, v4
	v_readfirstlane_b32 s3, v5
	s_waitcnt lgkmcnt(9)
	s_nop 3
	global_store_short v19, v29, s[2:3]
	s_or_b64 exec, exec, s[0:1]
	v_cmp_ge_u32_e32 vcc, v24, v18
	s_and_saveexec_b64 s[0:1], vcc
	s_cbranch_execz .LBB3148_182
.LBB3148_271:
	v_lshlrev_b32_e32 v19, 1, v24
	v_readfirstlane_b32 s2, v4
	v_readfirstlane_b32 s3, v5
	s_waitcnt lgkmcnt(8)
	s_nop 3
	global_store_short v19, v25, s[2:3]
	s_or_b64 exec, exec, s[0:1]
	v_cmp_ge_u32_e32 vcc, v22, v18
	s_and_saveexec_b64 s[0:1], vcc
	s_cbranch_execz .LBB3148_183
.LBB3148_272:
	v_lshlrev_b32_e32 v19, 1, v22
	v_readfirstlane_b32 s2, v4
	v_readfirstlane_b32 s3, v5
	s_waitcnt lgkmcnt(7)
	s_nop 3
	global_store_short v19, v23, s[2:3]
	s_or_b64 exec, exec, s[0:1]
	v_cmp_ge_u32_e32 vcc, v20, v18
	s_and_saveexec_b64 s[0:1], vcc
	s_cbranch_execz .LBB3148_184
.LBB3148_273:
	v_lshlrev_b32_e32 v19, 1, v20
	v_readfirstlane_b32 s2, v4
	v_readfirstlane_b32 s3, v5
	s_waitcnt lgkmcnt(6)
	s_nop 3
	global_store_short v19, v21, s[2:3]
	s_or_b64 exec, exec, s[0:1]
	v_cmp_ge_u32_e32 vcc, v16, v18
	s_and_saveexec_b64 s[0:1], vcc
	s_cbranch_execz .LBB3148_185
.LBB3148_274:
	v_lshlrev_b32_e32 v19, 1, v16
	v_readfirstlane_b32 s2, v4
	v_readfirstlane_b32 s3, v5
	s_waitcnt lgkmcnt(5)
	s_nop 3
	global_store_short v19, v17, s[2:3]
	s_or_b64 exec, exec, s[0:1]
	v_cmp_ge_u32_e32 vcc, v13, v18
	s_and_saveexec_b64 s[0:1], vcc
	s_cbranch_execz .LBB3148_186
.LBB3148_275:
	v_lshlrev_b32_e32 v19, 1, v13
	v_readfirstlane_b32 s2, v4
	v_readfirstlane_b32 s3, v5
	s_waitcnt lgkmcnt(4)
	s_nop 3
	global_store_short v19, v15, s[2:3]
	s_or_b64 exec, exec, s[0:1]
	v_cmp_ge_u32_e32 vcc, v11, v18
	s_and_saveexec_b64 s[0:1], vcc
	s_cbranch_execz .LBB3148_187
.LBB3148_276:
	v_lshlrev_b32_e32 v19, 1, v11
	v_readfirstlane_b32 s2, v4
	v_readfirstlane_b32 s3, v5
	s_waitcnt lgkmcnt(3)
	s_nop 3
	global_store_short v19, v12, s[2:3]
	s_or_b64 exec, exec, s[0:1]
	v_cmp_ge_u32_e32 vcc, v9, v18
	s_and_saveexec_b64 s[0:1], vcc
	s_cbranch_execz .LBB3148_188
.LBB3148_277:
	v_lshlrev_b32_e32 v19, 1, v9
	v_readfirstlane_b32 s2, v4
	v_readfirstlane_b32 s3, v5
	s_waitcnt lgkmcnt(2)
	s_nop 3
	global_store_short v19, v10, s[2:3]
	s_or_b64 exec, exec, s[0:1]
	v_cmp_ge_u32_e32 vcc, v8, v18
	s_and_saveexec_b64 s[0:1], vcc
	s_cbranch_execnz .LBB3148_189
	s_branch .LBB3148_190
	.section	.rodata,"a",@progbits
	.p2align	6, 0x0
	.amdhsa_kernel _ZN7rocprim17ROCPRIM_400000_NS6detail17trampoline_kernelINS0_14default_configENS1_25partition_config_selectorILNS1_17partition_subalgoE1EtNS0_10empty_typeEbEEZZNS1_14partition_implILS5_1ELb0ES3_jN6thrust23THRUST_200600_302600_NS6detail15normal_iteratorINSA_10device_ptrItEEEEPS6_NSA_18transform_iteratorI7is_evenItESF_NSA_11use_defaultESK_EENS0_5tupleIJNSA_16discard_iteratorISK_EESF_EEENSM_IJSG_SG_EEES6_PlJS6_EEE10hipError_tPvRmT3_T4_T5_T6_T7_T9_mT8_P12ihipStream_tbDpT10_ENKUlT_T0_E_clISt17integral_constantIbLb1EES1A_IbLb0EEEEDaS16_S17_EUlS16_E_NS1_11comp_targetILNS1_3genE5ELNS1_11target_archE942ELNS1_3gpuE9ELNS1_3repE0EEENS1_30default_config_static_selectorELNS0_4arch9wavefront6targetE1EEEvT1_
		.amdhsa_group_segment_fixed_size 28680
		.amdhsa_private_segment_fixed_size 0
		.amdhsa_kernarg_size 136
		.amdhsa_user_sgpr_count 2
		.amdhsa_user_sgpr_dispatch_ptr 0
		.amdhsa_user_sgpr_queue_ptr 0
		.amdhsa_user_sgpr_kernarg_segment_ptr 1
		.amdhsa_user_sgpr_dispatch_id 0
		.amdhsa_user_sgpr_kernarg_preload_length 0
		.amdhsa_user_sgpr_kernarg_preload_offset 0
		.amdhsa_user_sgpr_private_segment_size 0
		.amdhsa_uses_dynamic_stack 0
		.amdhsa_enable_private_segment 0
		.amdhsa_system_sgpr_workgroup_id_x 1
		.amdhsa_system_sgpr_workgroup_id_y 0
		.amdhsa_system_sgpr_workgroup_id_z 0
		.amdhsa_system_sgpr_workgroup_info 0
		.amdhsa_system_vgpr_workitem_id 0
		.amdhsa_next_free_vgpr 79
		.amdhsa_next_free_sgpr 44
		.amdhsa_accum_offset 80
		.amdhsa_reserve_vcc 1
		.amdhsa_float_round_mode_32 0
		.amdhsa_float_round_mode_16_64 0
		.amdhsa_float_denorm_mode_32 3
		.amdhsa_float_denorm_mode_16_64 3
		.amdhsa_dx10_clamp 1
		.amdhsa_ieee_mode 1
		.amdhsa_fp16_overflow 0
		.amdhsa_tg_split 0
		.amdhsa_exception_fp_ieee_invalid_op 0
		.amdhsa_exception_fp_denorm_src 0
		.amdhsa_exception_fp_ieee_div_zero 0
		.amdhsa_exception_fp_ieee_overflow 0
		.amdhsa_exception_fp_ieee_underflow 0
		.amdhsa_exception_fp_ieee_inexact 0
		.amdhsa_exception_int_div_zero 0
	.end_amdhsa_kernel
	.section	.text._ZN7rocprim17ROCPRIM_400000_NS6detail17trampoline_kernelINS0_14default_configENS1_25partition_config_selectorILNS1_17partition_subalgoE1EtNS0_10empty_typeEbEEZZNS1_14partition_implILS5_1ELb0ES3_jN6thrust23THRUST_200600_302600_NS6detail15normal_iteratorINSA_10device_ptrItEEEEPS6_NSA_18transform_iteratorI7is_evenItESF_NSA_11use_defaultESK_EENS0_5tupleIJNSA_16discard_iteratorISK_EESF_EEENSM_IJSG_SG_EEES6_PlJS6_EEE10hipError_tPvRmT3_T4_T5_T6_T7_T9_mT8_P12ihipStream_tbDpT10_ENKUlT_T0_E_clISt17integral_constantIbLb1EES1A_IbLb0EEEEDaS16_S17_EUlS16_E_NS1_11comp_targetILNS1_3genE5ELNS1_11target_archE942ELNS1_3gpuE9ELNS1_3repE0EEENS1_30default_config_static_selectorELNS0_4arch9wavefront6targetE1EEEvT1_,"axG",@progbits,_ZN7rocprim17ROCPRIM_400000_NS6detail17trampoline_kernelINS0_14default_configENS1_25partition_config_selectorILNS1_17partition_subalgoE1EtNS0_10empty_typeEbEEZZNS1_14partition_implILS5_1ELb0ES3_jN6thrust23THRUST_200600_302600_NS6detail15normal_iteratorINSA_10device_ptrItEEEEPS6_NSA_18transform_iteratorI7is_evenItESF_NSA_11use_defaultESK_EENS0_5tupleIJNSA_16discard_iteratorISK_EESF_EEENSM_IJSG_SG_EEES6_PlJS6_EEE10hipError_tPvRmT3_T4_T5_T6_T7_T9_mT8_P12ihipStream_tbDpT10_ENKUlT_T0_E_clISt17integral_constantIbLb1EES1A_IbLb0EEEEDaS16_S17_EUlS16_E_NS1_11comp_targetILNS1_3genE5ELNS1_11target_archE942ELNS1_3gpuE9ELNS1_3repE0EEENS1_30default_config_static_selectorELNS0_4arch9wavefront6targetE1EEEvT1_,comdat
.Lfunc_end3148:
	.size	_ZN7rocprim17ROCPRIM_400000_NS6detail17trampoline_kernelINS0_14default_configENS1_25partition_config_selectorILNS1_17partition_subalgoE1EtNS0_10empty_typeEbEEZZNS1_14partition_implILS5_1ELb0ES3_jN6thrust23THRUST_200600_302600_NS6detail15normal_iteratorINSA_10device_ptrItEEEEPS6_NSA_18transform_iteratorI7is_evenItESF_NSA_11use_defaultESK_EENS0_5tupleIJNSA_16discard_iteratorISK_EESF_EEENSM_IJSG_SG_EEES6_PlJS6_EEE10hipError_tPvRmT3_T4_T5_T6_T7_T9_mT8_P12ihipStream_tbDpT10_ENKUlT_T0_E_clISt17integral_constantIbLb1EES1A_IbLb0EEEEDaS16_S17_EUlS16_E_NS1_11comp_targetILNS1_3genE5ELNS1_11target_archE942ELNS1_3gpuE9ELNS1_3repE0EEENS1_30default_config_static_selectorELNS0_4arch9wavefront6targetE1EEEvT1_, .Lfunc_end3148-_ZN7rocprim17ROCPRIM_400000_NS6detail17trampoline_kernelINS0_14default_configENS1_25partition_config_selectorILNS1_17partition_subalgoE1EtNS0_10empty_typeEbEEZZNS1_14partition_implILS5_1ELb0ES3_jN6thrust23THRUST_200600_302600_NS6detail15normal_iteratorINSA_10device_ptrItEEEEPS6_NSA_18transform_iteratorI7is_evenItESF_NSA_11use_defaultESK_EENS0_5tupleIJNSA_16discard_iteratorISK_EESF_EEENSM_IJSG_SG_EEES6_PlJS6_EEE10hipError_tPvRmT3_T4_T5_T6_T7_T9_mT8_P12ihipStream_tbDpT10_ENKUlT_T0_E_clISt17integral_constantIbLb1EES1A_IbLb0EEEEDaS16_S17_EUlS16_E_NS1_11comp_targetILNS1_3genE5ELNS1_11target_archE942ELNS1_3gpuE9ELNS1_3repE0EEENS1_30default_config_static_selectorELNS0_4arch9wavefront6targetE1EEEvT1_
                                        ; -- End function
	.section	.AMDGPU.csdata,"",@progbits
; Kernel info:
; codeLenInByte = 12284
; NumSgprs: 50
; NumVgprs: 79
; NumAgprs: 0
; TotalNumVgprs: 79
; ScratchSize: 0
; MemoryBound: 0
; FloatMode: 240
; IeeeMode: 1
; LDSByteSize: 28680 bytes/workgroup (compile time only)
; SGPRBlocks: 6
; VGPRBlocks: 9
; NumSGPRsForWavesPerEU: 50
; NumVGPRsForWavesPerEU: 79
; AccumOffset: 80
; Occupancy: 4
; WaveLimiterHint : 1
; COMPUTE_PGM_RSRC2:SCRATCH_EN: 0
; COMPUTE_PGM_RSRC2:USER_SGPR: 2
; COMPUTE_PGM_RSRC2:TRAP_HANDLER: 0
; COMPUTE_PGM_RSRC2:TGID_X_EN: 1
; COMPUTE_PGM_RSRC2:TGID_Y_EN: 0
; COMPUTE_PGM_RSRC2:TGID_Z_EN: 0
; COMPUTE_PGM_RSRC2:TIDIG_COMP_CNT: 0
; COMPUTE_PGM_RSRC3_GFX90A:ACCUM_OFFSET: 19
; COMPUTE_PGM_RSRC3_GFX90A:TG_SPLIT: 0
	.section	.text._ZN7rocprim17ROCPRIM_400000_NS6detail17trampoline_kernelINS0_14default_configENS1_25partition_config_selectorILNS1_17partition_subalgoE1EtNS0_10empty_typeEbEEZZNS1_14partition_implILS5_1ELb0ES3_jN6thrust23THRUST_200600_302600_NS6detail15normal_iteratorINSA_10device_ptrItEEEEPS6_NSA_18transform_iteratorI7is_evenItESF_NSA_11use_defaultESK_EENS0_5tupleIJNSA_16discard_iteratorISK_EESF_EEENSM_IJSG_SG_EEES6_PlJS6_EEE10hipError_tPvRmT3_T4_T5_T6_T7_T9_mT8_P12ihipStream_tbDpT10_ENKUlT_T0_E_clISt17integral_constantIbLb1EES1A_IbLb0EEEEDaS16_S17_EUlS16_E_NS1_11comp_targetILNS1_3genE4ELNS1_11target_archE910ELNS1_3gpuE8ELNS1_3repE0EEENS1_30default_config_static_selectorELNS0_4arch9wavefront6targetE1EEEvT1_,"axG",@progbits,_ZN7rocprim17ROCPRIM_400000_NS6detail17trampoline_kernelINS0_14default_configENS1_25partition_config_selectorILNS1_17partition_subalgoE1EtNS0_10empty_typeEbEEZZNS1_14partition_implILS5_1ELb0ES3_jN6thrust23THRUST_200600_302600_NS6detail15normal_iteratorINSA_10device_ptrItEEEEPS6_NSA_18transform_iteratorI7is_evenItESF_NSA_11use_defaultESK_EENS0_5tupleIJNSA_16discard_iteratorISK_EESF_EEENSM_IJSG_SG_EEES6_PlJS6_EEE10hipError_tPvRmT3_T4_T5_T6_T7_T9_mT8_P12ihipStream_tbDpT10_ENKUlT_T0_E_clISt17integral_constantIbLb1EES1A_IbLb0EEEEDaS16_S17_EUlS16_E_NS1_11comp_targetILNS1_3genE4ELNS1_11target_archE910ELNS1_3gpuE8ELNS1_3repE0EEENS1_30default_config_static_selectorELNS0_4arch9wavefront6targetE1EEEvT1_,comdat
	.protected	_ZN7rocprim17ROCPRIM_400000_NS6detail17trampoline_kernelINS0_14default_configENS1_25partition_config_selectorILNS1_17partition_subalgoE1EtNS0_10empty_typeEbEEZZNS1_14partition_implILS5_1ELb0ES3_jN6thrust23THRUST_200600_302600_NS6detail15normal_iteratorINSA_10device_ptrItEEEEPS6_NSA_18transform_iteratorI7is_evenItESF_NSA_11use_defaultESK_EENS0_5tupleIJNSA_16discard_iteratorISK_EESF_EEENSM_IJSG_SG_EEES6_PlJS6_EEE10hipError_tPvRmT3_T4_T5_T6_T7_T9_mT8_P12ihipStream_tbDpT10_ENKUlT_T0_E_clISt17integral_constantIbLb1EES1A_IbLb0EEEEDaS16_S17_EUlS16_E_NS1_11comp_targetILNS1_3genE4ELNS1_11target_archE910ELNS1_3gpuE8ELNS1_3repE0EEENS1_30default_config_static_selectorELNS0_4arch9wavefront6targetE1EEEvT1_ ; -- Begin function _ZN7rocprim17ROCPRIM_400000_NS6detail17trampoline_kernelINS0_14default_configENS1_25partition_config_selectorILNS1_17partition_subalgoE1EtNS0_10empty_typeEbEEZZNS1_14partition_implILS5_1ELb0ES3_jN6thrust23THRUST_200600_302600_NS6detail15normal_iteratorINSA_10device_ptrItEEEEPS6_NSA_18transform_iteratorI7is_evenItESF_NSA_11use_defaultESK_EENS0_5tupleIJNSA_16discard_iteratorISK_EESF_EEENSM_IJSG_SG_EEES6_PlJS6_EEE10hipError_tPvRmT3_T4_T5_T6_T7_T9_mT8_P12ihipStream_tbDpT10_ENKUlT_T0_E_clISt17integral_constantIbLb1EES1A_IbLb0EEEEDaS16_S17_EUlS16_E_NS1_11comp_targetILNS1_3genE4ELNS1_11target_archE910ELNS1_3gpuE8ELNS1_3repE0EEENS1_30default_config_static_selectorELNS0_4arch9wavefront6targetE1EEEvT1_
	.globl	_ZN7rocprim17ROCPRIM_400000_NS6detail17trampoline_kernelINS0_14default_configENS1_25partition_config_selectorILNS1_17partition_subalgoE1EtNS0_10empty_typeEbEEZZNS1_14partition_implILS5_1ELb0ES3_jN6thrust23THRUST_200600_302600_NS6detail15normal_iteratorINSA_10device_ptrItEEEEPS6_NSA_18transform_iteratorI7is_evenItESF_NSA_11use_defaultESK_EENS0_5tupleIJNSA_16discard_iteratorISK_EESF_EEENSM_IJSG_SG_EEES6_PlJS6_EEE10hipError_tPvRmT3_T4_T5_T6_T7_T9_mT8_P12ihipStream_tbDpT10_ENKUlT_T0_E_clISt17integral_constantIbLb1EES1A_IbLb0EEEEDaS16_S17_EUlS16_E_NS1_11comp_targetILNS1_3genE4ELNS1_11target_archE910ELNS1_3gpuE8ELNS1_3repE0EEENS1_30default_config_static_selectorELNS0_4arch9wavefront6targetE1EEEvT1_
	.p2align	8
	.type	_ZN7rocprim17ROCPRIM_400000_NS6detail17trampoline_kernelINS0_14default_configENS1_25partition_config_selectorILNS1_17partition_subalgoE1EtNS0_10empty_typeEbEEZZNS1_14partition_implILS5_1ELb0ES3_jN6thrust23THRUST_200600_302600_NS6detail15normal_iteratorINSA_10device_ptrItEEEEPS6_NSA_18transform_iteratorI7is_evenItESF_NSA_11use_defaultESK_EENS0_5tupleIJNSA_16discard_iteratorISK_EESF_EEENSM_IJSG_SG_EEES6_PlJS6_EEE10hipError_tPvRmT3_T4_T5_T6_T7_T9_mT8_P12ihipStream_tbDpT10_ENKUlT_T0_E_clISt17integral_constantIbLb1EES1A_IbLb0EEEEDaS16_S17_EUlS16_E_NS1_11comp_targetILNS1_3genE4ELNS1_11target_archE910ELNS1_3gpuE8ELNS1_3repE0EEENS1_30default_config_static_selectorELNS0_4arch9wavefront6targetE1EEEvT1_,@function
_ZN7rocprim17ROCPRIM_400000_NS6detail17trampoline_kernelINS0_14default_configENS1_25partition_config_selectorILNS1_17partition_subalgoE1EtNS0_10empty_typeEbEEZZNS1_14partition_implILS5_1ELb0ES3_jN6thrust23THRUST_200600_302600_NS6detail15normal_iteratorINSA_10device_ptrItEEEEPS6_NSA_18transform_iteratorI7is_evenItESF_NSA_11use_defaultESK_EENS0_5tupleIJNSA_16discard_iteratorISK_EESF_EEENSM_IJSG_SG_EEES6_PlJS6_EEE10hipError_tPvRmT3_T4_T5_T6_T7_T9_mT8_P12ihipStream_tbDpT10_ENKUlT_T0_E_clISt17integral_constantIbLb1EES1A_IbLb0EEEEDaS16_S17_EUlS16_E_NS1_11comp_targetILNS1_3genE4ELNS1_11target_archE910ELNS1_3gpuE8ELNS1_3repE0EEENS1_30default_config_static_selectorELNS0_4arch9wavefront6targetE1EEEvT1_: ; @_ZN7rocprim17ROCPRIM_400000_NS6detail17trampoline_kernelINS0_14default_configENS1_25partition_config_selectorILNS1_17partition_subalgoE1EtNS0_10empty_typeEbEEZZNS1_14partition_implILS5_1ELb0ES3_jN6thrust23THRUST_200600_302600_NS6detail15normal_iteratorINSA_10device_ptrItEEEEPS6_NSA_18transform_iteratorI7is_evenItESF_NSA_11use_defaultESK_EENS0_5tupleIJNSA_16discard_iteratorISK_EESF_EEENSM_IJSG_SG_EEES6_PlJS6_EEE10hipError_tPvRmT3_T4_T5_T6_T7_T9_mT8_P12ihipStream_tbDpT10_ENKUlT_T0_E_clISt17integral_constantIbLb1EES1A_IbLb0EEEEDaS16_S17_EUlS16_E_NS1_11comp_targetILNS1_3genE4ELNS1_11target_archE910ELNS1_3gpuE8ELNS1_3repE0EEENS1_30default_config_static_selectorELNS0_4arch9wavefront6targetE1EEEvT1_
; %bb.0:
	.section	.rodata,"a",@progbits
	.p2align	6, 0x0
	.amdhsa_kernel _ZN7rocprim17ROCPRIM_400000_NS6detail17trampoline_kernelINS0_14default_configENS1_25partition_config_selectorILNS1_17partition_subalgoE1EtNS0_10empty_typeEbEEZZNS1_14partition_implILS5_1ELb0ES3_jN6thrust23THRUST_200600_302600_NS6detail15normal_iteratorINSA_10device_ptrItEEEEPS6_NSA_18transform_iteratorI7is_evenItESF_NSA_11use_defaultESK_EENS0_5tupleIJNSA_16discard_iteratorISK_EESF_EEENSM_IJSG_SG_EEES6_PlJS6_EEE10hipError_tPvRmT3_T4_T5_T6_T7_T9_mT8_P12ihipStream_tbDpT10_ENKUlT_T0_E_clISt17integral_constantIbLb1EES1A_IbLb0EEEEDaS16_S17_EUlS16_E_NS1_11comp_targetILNS1_3genE4ELNS1_11target_archE910ELNS1_3gpuE8ELNS1_3repE0EEENS1_30default_config_static_selectorELNS0_4arch9wavefront6targetE1EEEvT1_
		.amdhsa_group_segment_fixed_size 0
		.amdhsa_private_segment_fixed_size 0
		.amdhsa_kernarg_size 136
		.amdhsa_user_sgpr_count 2
		.amdhsa_user_sgpr_dispatch_ptr 0
		.amdhsa_user_sgpr_queue_ptr 0
		.amdhsa_user_sgpr_kernarg_segment_ptr 1
		.amdhsa_user_sgpr_dispatch_id 0
		.amdhsa_user_sgpr_kernarg_preload_length 0
		.amdhsa_user_sgpr_kernarg_preload_offset 0
		.amdhsa_user_sgpr_private_segment_size 0
		.amdhsa_uses_dynamic_stack 0
		.amdhsa_enable_private_segment 0
		.amdhsa_system_sgpr_workgroup_id_x 1
		.amdhsa_system_sgpr_workgroup_id_y 0
		.amdhsa_system_sgpr_workgroup_id_z 0
		.amdhsa_system_sgpr_workgroup_info 0
		.amdhsa_system_vgpr_workitem_id 0
		.amdhsa_next_free_vgpr 1
		.amdhsa_next_free_sgpr 0
		.amdhsa_accum_offset 4
		.amdhsa_reserve_vcc 0
		.amdhsa_float_round_mode_32 0
		.amdhsa_float_round_mode_16_64 0
		.amdhsa_float_denorm_mode_32 3
		.amdhsa_float_denorm_mode_16_64 3
		.amdhsa_dx10_clamp 1
		.amdhsa_ieee_mode 1
		.amdhsa_fp16_overflow 0
		.amdhsa_tg_split 0
		.amdhsa_exception_fp_ieee_invalid_op 0
		.amdhsa_exception_fp_denorm_src 0
		.amdhsa_exception_fp_ieee_div_zero 0
		.amdhsa_exception_fp_ieee_overflow 0
		.amdhsa_exception_fp_ieee_underflow 0
		.amdhsa_exception_fp_ieee_inexact 0
		.amdhsa_exception_int_div_zero 0
	.end_amdhsa_kernel
	.section	.text._ZN7rocprim17ROCPRIM_400000_NS6detail17trampoline_kernelINS0_14default_configENS1_25partition_config_selectorILNS1_17partition_subalgoE1EtNS0_10empty_typeEbEEZZNS1_14partition_implILS5_1ELb0ES3_jN6thrust23THRUST_200600_302600_NS6detail15normal_iteratorINSA_10device_ptrItEEEEPS6_NSA_18transform_iteratorI7is_evenItESF_NSA_11use_defaultESK_EENS0_5tupleIJNSA_16discard_iteratorISK_EESF_EEENSM_IJSG_SG_EEES6_PlJS6_EEE10hipError_tPvRmT3_T4_T5_T6_T7_T9_mT8_P12ihipStream_tbDpT10_ENKUlT_T0_E_clISt17integral_constantIbLb1EES1A_IbLb0EEEEDaS16_S17_EUlS16_E_NS1_11comp_targetILNS1_3genE4ELNS1_11target_archE910ELNS1_3gpuE8ELNS1_3repE0EEENS1_30default_config_static_selectorELNS0_4arch9wavefront6targetE1EEEvT1_,"axG",@progbits,_ZN7rocprim17ROCPRIM_400000_NS6detail17trampoline_kernelINS0_14default_configENS1_25partition_config_selectorILNS1_17partition_subalgoE1EtNS0_10empty_typeEbEEZZNS1_14partition_implILS5_1ELb0ES3_jN6thrust23THRUST_200600_302600_NS6detail15normal_iteratorINSA_10device_ptrItEEEEPS6_NSA_18transform_iteratorI7is_evenItESF_NSA_11use_defaultESK_EENS0_5tupleIJNSA_16discard_iteratorISK_EESF_EEENSM_IJSG_SG_EEES6_PlJS6_EEE10hipError_tPvRmT3_T4_T5_T6_T7_T9_mT8_P12ihipStream_tbDpT10_ENKUlT_T0_E_clISt17integral_constantIbLb1EES1A_IbLb0EEEEDaS16_S17_EUlS16_E_NS1_11comp_targetILNS1_3genE4ELNS1_11target_archE910ELNS1_3gpuE8ELNS1_3repE0EEENS1_30default_config_static_selectorELNS0_4arch9wavefront6targetE1EEEvT1_,comdat
.Lfunc_end3149:
	.size	_ZN7rocprim17ROCPRIM_400000_NS6detail17trampoline_kernelINS0_14default_configENS1_25partition_config_selectorILNS1_17partition_subalgoE1EtNS0_10empty_typeEbEEZZNS1_14partition_implILS5_1ELb0ES3_jN6thrust23THRUST_200600_302600_NS6detail15normal_iteratorINSA_10device_ptrItEEEEPS6_NSA_18transform_iteratorI7is_evenItESF_NSA_11use_defaultESK_EENS0_5tupleIJNSA_16discard_iteratorISK_EESF_EEENSM_IJSG_SG_EEES6_PlJS6_EEE10hipError_tPvRmT3_T4_T5_T6_T7_T9_mT8_P12ihipStream_tbDpT10_ENKUlT_T0_E_clISt17integral_constantIbLb1EES1A_IbLb0EEEEDaS16_S17_EUlS16_E_NS1_11comp_targetILNS1_3genE4ELNS1_11target_archE910ELNS1_3gpuE8ELNS1_3repE0EEENS1_30default_config_static_selectorELNS0_4arch9wavefront6targetE1EEEvT1_, .Lfunc_end3149-_ZN7rocprim17ROCPRIM_400000_NS6detail17trampoline_kernelINS0_14default_configENS1_25partition_config_selectorILNS1_17partition_subalgoE1EtNS0_10empty_typeEbEEZZNS1_14partition_implILS5_1ELb0ES3_jN6thrust23THRUST_200600_302600_NS6detail15normal_iteratorINSA_10device_ptrItEEEEPS6_NSA_18transform_iteratorI7is_evenItESF_NSA_11use_defaultESK_EENS0_5tupleIJNSA_16discard_iteratorISK_EESF_EEENSM_IJSG_SG_EEES6_PlJS6_EEE10hipError_tPvRmT3_T4_T5_T6_T7_T9_mT8_P12ihipStream_tbDpT10_ENKUlT_T0_E_clISt17integral_constantIbLb1EES1A_IbLb0EEEEDaS16_S17_EUlS16_E_NS1_11comp_targetILNS1_3genE4ELNS1_11target_archE910ELNS1_3gpuE8ELNS1_3repE0EEENS1_30default_config_static_selectorELNS0_4arch9wavefront6targetE1EEEvT1_
                                        ; -- End function
	.section	.AMDGPU.csdata,"",@progbits
; Kernel info:
; codeLenInByte = 0
; NumSgprs: 6
; NumVgprs: 0
; NumAgprs: 0
; TotalNumVgprs: 0
; ScratchSize: 0
; MemoryBound: 0
; FloatMode: 240
; IeeeMode: 1
; LDSByteSize: 0 bytes/workgroup (compile time only)
; SGPRBlocks: 0
; VGPRBlocks: 0
; NumSGPRsForWavesPerEU: 6
; NumVGPRsForWavesPerEU: 1
; AccumOffset: 4
; Occupancy: 8
; WaveLimiterHint : 0
; COMPUTE_PGM_RSRC2:SCRATCH_EN: 0
; COMPUTE_PGM_RSRC2:USER_SGPR: 2
; COMPUTE_PGM_RSRC2:TRAP_HANDLER: 0
; COMPUTE_PGM_RSRC2:TGID_X_EN: 1
; COMPUTE_PGM_RSRC2:TGID_Y_EN: 0
; COMPUTE_PGM_RSRC2:TGID_Z_EN: 0
; COMPUTE_PGM_RSRC2:TIDIG_COMP_CNT: 0
; COMPUTE_PGM_RSRC3_GFX90A:ACCUM_OFFSET: 0
; COMPUTE_PGM_RSRC3_GFX90A:TG_SPLIT: 0
	.section	.text._ZN7rocprim17ROCPRIM_400000_NS6detail17trampoline_kernelINS0_14default_configENS1_25partition_config_selectorILNS1_17partition_subalgoE1EtNS0_10empty_typeEbEEZZNS1_14partition_implILS5_1ELb0ES3_jN6thrust23THRUST_200600_302600_NS6detail15normal_iteratorINSA_10device_ptrItEEEEPS6_NSA_18transform_iteratorI7is_evenItESF_NSA_11use_defaultESK_EENS0_5tupleIJNSA_16discard_iteratorISK_EESF_EEENSM_IJSG_SG_EEES6_PlJS6_EEE10hipError_tPvRmT3_T4_T5_T6_T7_T9_mT8_P12ihipStream_tbDpT10_ENKUlT_T0_E_clISt17integral_constantIbLb1EES1A_IbLb0EEEEDaS16_S17_EUlS16_E_NS1_11comp_targetILNS1_3genE3ELNS1_11target_archE908ELNS1_3gpuE7ELNS1_3repE0EEENS1_30default_config_static_selectorELNS0_4arch9wavefront6targetE1EEEvT1_,"axG",@progbits,_ZN7rocprim17ROCPRIM_400000_NS6detail17trampoline_kernelINS0_14default_configENS1_25partition_config_selectorILNS1_17partition_subalgoE1EtNS0_10empty_typeEbEEZZNS1_14partition_implILS5_1ELb0ES3_jN6thrust23THRUST_200600_302600_NS6detail15normal_iteratorINSA_10device_ptrItEEEEPS6_NSA_18transform_iteratorI7is_evenItESF_NSA_11use_defaultESK_EENS0_5tupleIJNSA_16discard_iteratorISK_EESF_EEENSM_IJSG_SG_EEES6_PlJS6_EEE10hipError_tPvRmT3_T4_T5_T6_T7_T9_mT8_P12ihipStream_tbDpT10_ENKUlT_T0_E_clISt17integral_constantIbLb1EES1A_IbLb0EEEEDaS16_S17_EUlS16_E_NS1_11comp_targetILNS1_3genE3ELNS1_11target_archE908ELNS1_3gpuE7ELNS1_3repE0EEENS1_30default_config_static_selectorELNS0_4arch9wavefront6targetE1EEEvT1_,comdat
	.protected	_ZN7rocprim17ROCPRIM_400000_NS6detail17trampoline_kernelINS0_14default_configENS1_25partition_config_selectorILNS1_17partition_subalgoE1EtNS0_10empty_typeEbEEZZNS1_14partition_implILS5_1ELb0ES3_jN6thrust23THRUST_200600_302600_NS6detail15normal_iteratorINSA_10device_ptrItEEEEPS6_NSA_18transform_iteratorI7is_evenItESF_NSA_11use_defaultESK_EENS0_5tupleIJNSA_16discard_iteratorISK_EESF_EEENSM_IJSG_SG_EEES6_PlJS6_EEE10hipError_tPvRmT3_T4_T5_T6_T7_T9_mT8_P12ihipStream_tbDpT10_ENKUlT_T0_E_clISt17integral_constantIbLb1EES1A_IbLb0EEEEDaS16_S17_EUlS16_E_NS1_11comp_targetILNS1_3genE3ELNS1_11target_archE908ELNS1_3gpuE7ELNS1_3repE0EEENS1_30default_config_static_selectorELNS0_4arch9wavefront6targetE1EEEvT1_ ; -- Begin function _ZN7rocprim17ROCPRIM_400000_NS6detail17trampoline_kernelINS0_14default_configENS1_25partition_config_selectorILNS1_17partition_subalgoE1EtNS0_10empty_typeEbEEZZNS1_14partition_implILS5_1ELb0ES3_jN6thrust23THRUST_200600_302600_NS6detail15normal_iteratorINSA_10device_ptrItEEEEPS6_NSA_18transform_iteratorI7is_evenItESF_NSA_11use_defaultESK_EENS0_5tupleIJNSA_16discard_iteratorISK_EESF_EEENSM_IJSG_SG_EEES6_PlJS6_EEE10hipError_tPvRmT3_T4_T5_T6_T7_T9_mT8_P12ihipStream_tbDpT10_ENKUlT_T0_E_clISt17integral_constantIbLb1EES1A_IbLb0EEEEDaS16_S17_EUlS16_E_NS1_11comp_targetILNS1_3genE3ELNS1_11target_archE908ELNS1_3gpuE7ELNS1_3repE0EEENS1_30default_config_static_selectorELNS0_4arch9wavefront6targetE1EEEvT1_
	.globl	_ZN7rocprim17ROCPRIM_400000_NS6detail17trampoline_kernelINS0_14default_configENS1_25partition_config_selectorILNS1_17partition_subalgoE1EtNS0_10empty_typeEbEEZZNS1_14partition_implILS5_1ELb0ES3_jN6thrust23THRUST_200600_302600_NS6detail15normal_iteratorINSA_10device_ptrItEEEEPS6_NSA_18transform_iteratorI7is_evenItESF_NSA_11use_defaultESK_EENS0_5tupleIJNSA_16discard_iteratorISK_EESF_EEENSM_IJSG_SG_EEES6_PlJS6_EEE10hipError_tPvRmT3_T4_T5_T6_T7_T9_mT8_P12ihipStream_tbDpT10_ENKUlT_T0_E_clISt17integral_constantIbLb1EES1A_IbLb0EEEEDaS16_S17_EUlS16_E_NS1_11comp_targetILNS1_3genE3ELNS1_11target_archE908ELNS1_3gpuE7ELNS1_3repE0EEENS1_30default_config_static_selectorELNS0_4arch9wavefront6targetE1EEEvT1_
	.p2align	8
	.type	_ZN7rocprim17ROCPRIM_400000_NS6detail17trampoline_kernelINS0_14default_configENS1_25partition_config_selectorILNS1_17partition_subalgoE1EtNS0_10empty_typeEbEEZZNS1_14partition_implILS5_1ELb0ES3_jN6thrust23THRUST_200600_302600_NS6detail15normal_iteratorINSA_10device_ptrItEEEEPS6_NSA_18transform_iteratorI7is_evenItESF_NSA_11use_defaultESK_EENS0_5tupleIJNSA_16discard_iteratorISK_EESF_EEENSM_IJSG_SG_EEES6_PlJS6_EEE10hipError_tPvRmT3_T4_T5_T6_T7_T9_mT8_P12ihipStream_tbDpT10_ENKUlT_T0_E_clISt17integral_constantIbLb1EES1A_IbLb0EEEEDaS16_S17_EUlS16_E_NS1_11comp_targetILNS1_3genE3ELNS1_11target_archE908ELNS1_3gpuE7ELNS1_3repE0EEENS1_30default_config_static_selectorELNS0_4arch9wavefront6targetE1EEEvT1_,@function
_ZN7rocprim17ROCPRIM_400000_NS6detail17trampoline_kernelINS0_14default_configENS1_25partition_config_selectorILNS1_17partition_subalgoE1EtNS0_10empty_typeEbEEZZNS1_14partition_implILS5_1ELb0ES3_jN6thrust23THRUST_200600_302600_NS6detail15normal_iteratorINSA_10device_ptrItEEEEPS6_NSA_18transform_iteratorI7is_evenItESF_NSA_11use_defaultESK_EENS0_5tupleIJNSA_16discard_iteratorISK_EESF_EEENSM_IJSG_SG_EEES6_PlJS6_EEE10hipError_tPvRmT3_T4_T5_T6_T7_T9_mT8_P12ihipStream_tbDpT10_ENKUlT_T0_E_clISt17integral_constantIbLb1EES1A_IbLb0EEEEDaS16_S17_EUlS16_E_NS1_11comp_targetILNS1_3genE3ELNS1_11target_archE908ELNS1_3gpuE7ELNS1_3repE0EEENS1_30default_config_static_selectorELNS0_4arch9wavefront6targetE1EEEvT1_: ; @_ZN7rocprim17ROCPRIM_400000_NS6detail17trampoline_kernelINS0_14default_configENS1_25partition_config_selectorILNS1_17partition_subalgoE1EtNS0_10empty_typeEbEEZZNS1_14partition_implILS5_1ELb0ES3_jN6thrust23THRUST_200600_302600_NS6detail15normal_iteratorINSA_10device_ptrItEEEEPS6_NSA_18transform_iteratorI7is_evenItESF_NSA_11use_defaultESK_EENS0_5tupleIJNSA_16discard_iteratorISK_EESF_EEENSM_IJSG_SG_EEES6_PlJS6_EEE10hipError_tPvRmT3_T4_T5_T6_T7_T9_mT8_P12ihipStream_tbDpT10_ENKUlT_T0_E_clISt17integral_constantIbLb1EES1A_IbLb0EEEEDaS16_S17_EUlS16_E_NS1_11comp_targetILNS1_3genE3ELNS1_11target_archE908ELNS1_3gpuE7ELNS1_3repE0EEENS1_30default_config_static_selectorELNS0_4arch9wavefront6targetE1EEEvT1_
; %bb.0:
	.section	.rodata,"a",@progbits
	.p2align	6, 0x0
	.amdhsa_kernel _ZN7rocprim17ROCPRIM_400000_NS6detail17trampoline_kernelINS0_14default_configENS1_25partition_config_selectorILNS1_17partition_subalgoE1EtNS0_10empty_typeEbEEZZNS1_14partition_implILS5_1ELb0ES3_jN6thrust23THRUST_200600_302600_NS6detail15normal_iteratorINSA_10device_ptrItEEEEPS6_NSA_18transform_iteratorI7is_evenItESF_NSA_11use_defaultESK_EENS0_5tupleIJNSA_16discard_iteratorISK_EESF_EEENSM_IJSG_SG_EEES6_PlJS6_EEE10hipError_tPvRmT3_T4_T5_T6_T7_T9_mT8_P12ihipStream_tbDpT10_ENKUlT_T0_E_clISt17integral_constantIbLb1EES1A_IbLb0EEEEDaS16_S17_EUlS16_E_NS1_11comp_targetILNS1_3genE3ELNS1_11target_archE908ELNS1_3gpuE7ELNS1_3repE0EEENS1_30default_config_static_selectorELNS0_4arch9wavefront6targetE1EEEvT1_
		.amdhsa_group_segment_fixed_size 0
		.amdhsa_private_segment_fixed_size 0
		.amdhsa_kernarg_size 136
		.amdhsa_user_sgpr_count 2
		.amdhsa_user_sgpr_dispatch_ptr 0
		.amdhsa_user_sgpr_queue_ptr 0
		.amdhsa_user_sgpr_kernarg_segment_ptr 1
		.amdhsa_user_sgpr_dispatch_id 0
		.amdhsa_user_sgpr_kernarg_preload_length 0
		.amdhsa_user_sgpr_kernarg_preload_offset 0
		.amdhsa_user_sgpr_private_segment_size 0
		.amdhsa_uses_dynamic_stack 0
		.amdhsa_enable_private_segment 0
		.amdhsa_system_sgpr_workgroup_id_x 1
		.amdhsa_system_sgpr_workgroup_id_y 0
		.amdhsa_system_sgpr_workgroup_id_z 0
		.amdhsa_system_sgpr_workgroup_info 0
		.amdhsa_system_vgpr_workitem_id 0
		.amdhsa_next_free_vgpr 1
		.amdhsa_next_free_sgpr 0
		.amdhsa_accum_offset 4
		.amdhsa_reserve_vcc 0
		.amdhsa_float_round_mode_32 0
		.amdhsa_float_round_mode_16_64 0
		.amdhsa_float_denorm_mode_32 3
		.amdhsa_float_denorm_mode_16_64 3
		.amdhsa_dx10_clamp 1
		.amdhsa_ieee_mode 1
		.amdhsa_fp16_overflow 0
		.amdhsa_tg_split 0
		.amdhsa_exception_fp_ieee_invalid_op 0
		.amdhsa_exception_fp_denorm_src 0
		.amdhsa_exception_fp_ieee_div_zero 0
		.amdhsa_exception_fp_ieee_overflow 0
		.amdhsa_exception_fp_ieee_underflow 0
		.amdhsa_exception_fp_ieee_inexact 0
		.amdhsa_exception_int_div_zero 0
	.end_amdhsa_kernel
	.section	.text._ZN7rocprim17ROCPRIM_400000_NS6detail17trampoline_kernelINS0_14default_configENS1_25partition_config_selectorILNS1_17partition_subalgoE1EtNS0_10empty_typeEbEEZZNS1_14partition_implILS5_1ELb0ES3_jN6thrust23THRUST_200600_302600_NS6detail15normal_iteratorINSA_10device_ptrItEEEEPS6_NSA_18transform_iteratorI7is_evenItESF_NSA_11use_defaultESK_EENS0_5tupleIJNSA_16discard_iteratorISK_EESF_EEENSM_IJSG_SG_EEES6_PlJS6_EEE10hipError_tPvRmT3_T4_T5_T6_T7_T9_mT8_P12ihipStream_tbDpT10_ENKUlT_T0_E_clISt17integral_constantIbLb1EES1A_IbLb0EEEEDaS16_S17_EUlS16_E_NS1_11comp_targetILNS1_3genE3ELNS1_11target_archE908ELNS1_3gpuE7ELNS1_3repE0EEENS1_30default_config_static_selectorELNS0_4arch9wavefront6targetE1EEEvT1_,"axG",@progbits,_ZN7rocprim17ROCPRIM_400000_NS6detail17trampoline_kernelINS0_14default_configENS1_25partition_config_selectorILNS1_17partition_subalgoE1EtNS0_10empty_typeEbEEZZNS1_14partition_implILS5_1ELb0ES3_jN6thrust23THRUST_200600_302600_NS6detail15normal_iteratorINSA_10device_ptrItEEEEPS6_NSA_18transform_iteratorI7is_evenItESF_NSA_11use_defaultESK_EENS0_5tupleIJNSA_16discard_iteratorISK_EESF_EEENSM_IJSG_SG_EEES6_PlJS6_EEE10hipError_tPvRmT3_T4_T5_T6_T7_T9_mT8_P12ihipStream_tbDpT10_ENKUlT_T0_E_clISt17integral_constantIbLb1EES1A_IbLb0EEEEDaS16_S17_EUlS16_E_NS1_11comp_targetILNS1_3genE3ELNS1_11target_archE908ELNS1_3gpuE7ELNS1_3repE0EEENS1_30default_config_static_selectorELNS0_4arch9wavefront6targetE1EEEvT1_,comdat
.Lfunc_end3150:
	.size	_ZN7rocprim17ROCPRIM_400000_NS6detail17trampoline_kernelINS0_14default_configENS1_25partition_config_selectorILNS1_17partition_subalgoE1EtNS0_10empty_typeEbEEZZNS1_14partition_implILS5_1ELb0ES3_jN6thrust23THRUST_200600_302600_NS6detail15normal_iteratorINSA_10device_ptrItEEEEPS6_NSA_18transform_iteratorI7is_evenItESF_NSA_11use_defaultESK_EENS0_5tupleIJNSA_16discard_iteratorISK_EESF_EEENSM_IJSG_SG_EEES6_PlJS6_EEE10hipError_tPvRmT3_T4_T5_T6_T7_T9_mT8_P12ihipStream_tbDpT10_ENKUlT_T0_E_clISt17integral_constantIbLb1EES1A_IbLb0EEEEDaS16_S17_EUlS16_E_NS1_11comp_targetILNS1_3genE3ELNS1_11target_archE908ELNS1_3gpuE7ELNS1_3repE0EEENS1_30default_config_static_selectorELNS0_4arch9wavefront6targetE1EEEvT1_, .Lfunc_end3150-_ZN7rocprim17ROCPRIM_400000_NS6detail17trampoline_kernelINS0_14default_configENS1_25partition_config_selectorILNS1_17partition_subalgoE1EtNS0_10empty_typeEbEEZZNS1_14partition_implILS5_1ELb0ES3_jN6thrust23THRUST_200600_302600_NS6detail15normal_iteratorINSA_10device_ptrItEEEEPS6_NSA_18transform_iteratorI7is_evenItESF_NSA_11use_defaultESK_EENS0_5tupleIJNSA_16discard_iteratorISK_EESF_EEENSM_IJSG_SG_EEES6_PlJS6_EEE10hipError_tPvRmT3_T4_T5_T6_T7_T9_mT8_P12ihipStream_tbDpT10_ENKUlT_T0_E_clISt17integral_constantIbLb1EES1A_IbLb0EEEEDaS16_S17_EUlS16_E_NS1_11comp_targetILNS1_3genE3ELNS1_11target_archE908ELNS1_3gpuE7ELNS1_3repE0EEENS1_30default_config_static_selectorELNS0_4arch9wavefront6targetE1EEEvT1_
                                        ; -- End function
	.section	.AMDGPU.csdata,"",@progbits
; Kernel info:
; codeLenInByte = 0
; NumSgprs: 6
; NumVgprs: 0
; NumAgprs: 0
; TotalNumVgprs: 0
; ScratchSize: 0
; MemoryBound: 0
; FloatMode: 240
; IeeeMode: 1
; LDSByteSize: 0 bytes/workgroup (compile time only)
; SGPRBlocks: 0
; VGPRBlocks: 0
; NumSGPRsForWavesPerEU: 6
; NumVGPRsForWavesPerEU: 1
; AccumOffset: 4
; Occupancy: 8
; WaveLimiterHint : 0
; COMPUTE_PGM_RSRC2:SCRATCH_EN: 0
; COMPUTE_PGM_RSRC2:USER_SGPR: 2
; COMPUTE_PGM_RSRC2:TRAP_HANDLER: 0
; COMPUTE_PGM_RSRC2:TGID_X_EN: 1
; COMPUTE_PGM_RSRC2:TGID_Y_EN: 0
; COMPUTE_PGM_RSRC2:TGID_Z_EN: 0
; COMPUTE_PGM_RSRC2:TIDIG_COMP_CNT: 0
; COMPUTE_PGM_RSRC3_GFX90A:ACCUM_OFFSET: 0
; COMPUTE_PGM_RSRC3_GFX90A:TG_SPLIT: 0
	.section	.text._ZN7rocprim17ROCPRIM_400000_NS6detail17trampoline_kernelINS0_14default_configENS1_25partition_config_selectorILNS1_17partition_subalgoE1EtNS0_10empty_typeEbEEZZNS1_14partition_implILS5_1ELb0ES3_jN6thrust23THRUST_200600_302600_NS6detail15normal_iteratorINSA_10device_ptrItEEEEPS6_NSA_18transform_iteratorI7is_evenItESF_NSA_11use_defaultESK_EENS0_5tupleIJNSA_16discard_iteratorISK_EESF_EEENSM_IJSG_SG_EEES6_PlJS6_EEE10hipError_tPvRmT3_T4_T5_T6_T7_T9_mT8_P12ihipStream_tbDpT10_ENKUlT_T0_E_clISt17integral_constantIbLb1EES1A_IbLb0EEEEDaS16_S17_EUlS16_E_NS1_11comp_targetILNS1_3genE2ELNS1_11target_archE906ELNS1_3gpuE6ELNS1_3repE0EEENS1_30default_config_static_selectorELNS0_4arch9wavefront6targetE1EEEvT1_,"axG",@progbits,_ZN7rocprim17ROCPRIM_400000_NS6detail17trampoline_kernelINS0_14default_configENS1_25partition_config_selectorILNS1_17partition_subalgoE1EtNS0_10empty_typeEbEEZZNS1_14partition_implILS5_1ELb0ES3_jN6thrust23THRUST_200600_302600_NS6detail15normal_iteratorINSA_10device_ptrItEEEEPS6_NSA_18transform_iteratorI7is_evenItESF_NSA_11use_defaultESK_EENS0_5tupleIJNSA_16discard_iteratorISK_EESF_EEENSM_IJSG_SG_EEES6_PlJS6_EEE10hipError_tPvRmT3_T4_T5_T6_T7_T9_mT8_P12ihipStream_tbDpT10_ENKUlT_T0_E_clISt17integral_constantIbLb1EES1A_IbLb0EEEEDaS16_S17_EUlS16_E_NS1_11comp_targetILNS1_3genE2ELNS1_11target_archE906ELNS1_3gpuE6ELNS1_3repE0EEENS1_30default_config_static_selectorELNS0_4arch9wavefront6targetE1EEEvT1_,comdat
	.protected	_ZN7rocprim17ROCPRIM_400000_NS6detail17trampoline_kernelINS0_14default_configENS1_25partition_config_selectorILNS1_17partition_subalgoE1EtNS0_10empty_typeEbEEZZNS1_14partition_implILS5_1ELb0ES3_jN6thrust23THRUST_200600_302600_NS6detail15normal_iteratorINSA_10device_ptrItEEEEPS6_NSA_18transform_iteratorI7is_evenItESF_NSA_11use_defaultESK_EENS0_5tupleIJNSA_16discard_iteratorISK_EESF_EEENSM_IJSG_SG_EEES6_PlJS6_EEE10hipError_tPvRmT3_T4_T5_T6_T7_T9_mT8_P12ihipStream_tbDpT10_ENKUlT_T0_E_clISt17integral_constantIbLb1EES1A_IbLb0EEEEDaS16_S17_EUlS16_E_NS1_11comp_targetILNS1_3genE2ELNS1_11target_archE906ELNS1_3gpuE6ELNS1_3repE0EEENS1_30default_config_static_selectorELNS0_4arch9wavefront6targetE1EEEvT1_ ; -- Begin function _ZN7rocprim17ROCPRIM_400000_NS6detail17trampoline_kernelINS0_14default_configENS1_25partition_config_selectorILNS1_17partition_subalgoE1EtNS0_10empty_typeEbEEZZNS1_14partition_implILS5_1ELb0ES3_jN6thrust23THRUST_200600_302600_NS6detail15normal_iteratorINSA_10device_ptrItEEEEPS6_NSA_18transform_iteratorI7is_evenItESF_NSA_11use_defaultESK_EENS0_5tupleIJNSA_16discard_iteratorISK_EESF_EEENSM_IJSG_SG_EEES6_PlJS6_EEE10hipError_tPvRmT3_T4_T5_T6_T7_T9_mT8_P12ihipStream_tbDpT10_ENKUlT_T0_E_clISt17integral_constantIbLb1EES1A_IbLb0EEEEDaS16_S17_EUlS16_E_NS1_11comp_targetILNS1_3genE2ELNS1_11target_archE906ELNS1_3gpuE6ELNS1_3repE0EEENS1_30default_config_static_selectorELNS0_4arch9wavefront6targetE1EEEvT1_
	.globl	_ZN7rocprim17ROCPRIM_400000_NS6detail17trampoline_kernelINS0_14default_configENS1_25partition_config_selectorILNS1_17partition_subalgoE1EtNS0_10empty_typeEbEEZZNS1_14partition_implILS5_1ELb0ES3_jN6thrust23THRUST_200600_302600_NS6detail15normal_iteratorINSA_10device_ptrItEEEEPS6_NSA_18transform_iteratorI7is_evenItESF_NSA_11use_defaultESK_EENS0_5tupleIJNSA_16discard_iteratorISK_EESF_EEENSM_IJSG_SG_EEES6_PlJS6_EEE10hipError_tPvRmT3_T4_T5_T6_T7_T9_mT8_P12ihipStream_tbDpT10_ENKUlT_T0_E_clISt17integral_constantIbLb1EES1A_IbLb0EEEEDaS16_S17_EUlS16_E_NS1_11comp_targetILNS1_3genE2ELNS1_11target_archE906ELNS1_3gpuE6ELNS1_3repE0EEENS1_30default_config_static_selectorELNS0_4arch9wavefront6targetE1EEEvT1_
	.p2align	8
	.type	_ZN7rocprim17ROCPRIM_400000_NS6detail17trampoline_kernelINS0_14default_configENS1_25partition_config_selectorILNS1_17partition_subalgoE1EtNS0_10empty_typeEbEEZZNS1_14partition_implILS5_1ELb0ES3_jN6thrust23THRUST_200600_302600_NS6detail15normal_iteratorINSA_10device_ptrItEEEEPS6_NSA_18transform_iteratorI7is_evenItESF_NSA_11use_defaultESK_EENS0_5tupleIJNSA_16discard_iteratorISK_EESF_EEENSM_IJSG_SG_EEES6_PlJS6_EEE10hipError_tPvRmT3_T4_T5_T6_T7_T9_mT8_P12ihipStream_tbDpT10_ENKUlT_T0_E_clISt17integral_constantIbLb1EES1A_IbLb0EEEEDaS16_S17_EUlS16_E_NS1_11comp_targetILNS1_3genE2ELNS1_11target_archE906ELNS1_3gpuE6ELNS1_3repE0EEENS1_30default_config_static_selectorELNS0_4arch9wavefront6targetE1EEEvT1_,@function
_ZN7rocprim17ROCPRIM_400000_NS6detail17trampoline_kernelINS0_14default_configENS1_25partition_config_selectorILNS1_17partition_subalgoE1EtNS0_10empty_typeEbEEZZNS1_14partition_implILS5_1ELb0ES3_jN6thrust23THRUST_200600_302600_NS6detail15normal_iteratorINSA_10device_ptrItEEEEPS6_NSA_18transform_iteratorI7is_evenItESF_NSA_11use_defaultESK_EENS0_5tupleIJNSA_16discard_iteratorISK_EESF_EEENSM_IJSG_SG_EEES6_PlJS6_EEE10hipError_tPvRmT3_T4_T5_T6_T7_T9_mT8_P12ihipStream_tbDpT10_ENKUlT_T0_E_clISt17integral_constantIbLb1EES1A_IbLb0EEEEDaS16_S17_EUlS16_E_NS1_11comp_targetILNS1_3genE2ELNS1_11target_archE906ELNS1_3gpuE6ELNS1_3repE0EEENS1_30default_config_static_selectorELNS0_4arch9wavefront6targetE1EEEvT1_: ; @_ZN7rocprim17ROCPRIM_400000_NS6detail17trampoline_kernelINS0_14default_configENS1_25partition_config_selectorILNS1_17partition_subalgoE1EtNS0_10empty_typeEbEEZZNS1_14partition_implILS5_1ELb0ES3_jN6thrust23THRUST_200600_302600_NS6detail15normal_iteratorINSA_10device_ptrItEEEEPS6_NSA_18transform_iteratorI7is_evenItESF_NSA_11use_defaultESK_EENS0_5tupleIJNSA_16discard_iteratorISK_EESF_EEENSM_IJSG_SG_EEES6_PlJS6_EEE10hipError_tPvRmT3_T4_T5_T6_T7_T9_mT8_P12ihipStream_tbDpT10_ENKUlT_T0_E_clISt17integral_constantIbLb1EES1A_IbLb0EEEEDaS16_S17_EUlS16_E_NS1_11comp_targetILNS1_3genE2ELNS1_11target_archE906ELNS1_3gpuE6ELNS1_3repE0EEENS1_30default_config_static_selectorELNS0_4arch9wavefront6targetE1EEEvT1_
; %bb.0:
	.section	.rodata,"a",@progbits
	.p2align	6, 0x0
	.amdhsa_kernel _ZN7rocprim17ROCPRIM_400000_NS6detail17trampoline_kernelINS0_14default_configENS1_25partition_config_selectorILNS1_17partition_subalgoE1EtNS0_10empty_typeEbEEZZNS1_14partition_implILS5_1ELb0ES3_jN6thrust23THRUST_200600_302600_NS6detail15normal_iteratorINSA_10device_ptrItEEEEPS6_NSA_18transform_iteratorI7is_evenItESF_NSA_11use_defaultESK_EENS0_5tupleIJNSA_16discard_iteratorISK_EESF_EEENSM_IJSG_SG_EEES6_PlJS6_EEE10hipError_tPvRmT3_T4_T5_T6_T7_T9_mT8_P12ihipStream_tbDpT10_ENKUlT_T0_E_clISt17integral_constantIbLb1EES1A_IbLb0EEEEDaS16_S17_EUlS16_E_NS1_11comp_targetILNS1_3genE2ELNS1_11target_archE906ELNS1_3gpuE6ELNS1_3repE0EEENS1_30default_config_static_selectorELNS0_4arch9wavefront6targetE1EEEvT1_
		.amdhsa_group_segment_fixed_size 0
		.amdhsa_private_segment_fixed_size 0
		.amdhsa_kernarg_size 136
		.amdhsa_user_sgpr_count 2
		.amdhsa_user_sgpr_dispatch_ptr 0
		.amdhsa_user_sgpr_queue_ptr 0
		.amdhsa_user_sgpr_kernarg_segment_ptr 1
		.amdhsa_user_sgpr_dispatch_id 0
		.amdhsa_user_sgpr_kernarg_preload_length 0
		.amdhsa_user_sgpr_kernarg_preload_offset 0
		.amdhsa_user_sgpr_private_segment_size 0
		.amdhsa_uses_dynamic_stack 0
		.amdhsa_enable_private_segment 0
		.amdhsa_system_sgpr_workgroup_id_x 1
		.amdhsa_system_sgpr_workgroup_id_y 0
		.amdhsa_system_sgpr_workgroup_id_z 0
		.amdhsa_system_sgpr_workgroup_info 0
		.amdhsa_system_vgpr_workitem_id 0
		.amdhsa_next_free_vgpr 1
		.amdhsa_next_free_sgpr 0
		.amdhsa_accum_offset 4
		.amdhsa_reserve_vcc 0
		.amdhsa_float_round_mode_32 0
		.amdhsa_float_round_mode_16_64 0
		.amdhsa_float_denorm_mode_32 3
		.amdhsa_float_denorm_mode_16_64 3
		.amdhsa_dx10_clamp 1
		.amdhsa_ieee_mode 1
		.amdhsa_fp16_overflow 0
		.amdhsa_tg_split 0
		.amdhsa_exception_fp_ieee_invalid_op 0
		.amdhsa_exception_fp_denorm_src 0
		.amdhsa_exception_fp_ieee_div_zero 0
		.amdhsa_exception_fp_ieee_overflow 0
		.amdhsa_exception_fp_ieee_underflow 0
		.amdhsa_exception_fp_ieee_inexact 0
		.amdhsa_exception_int_div_zero 0
	.end_amdhsa_kernel
	.section	.text._ZN7rocprim17ROCPRIM_400000_NS6detail17trampoline_kernelINS0_14default_configENS1_25partition_config_selectorILNS1_17partition_subalgoE1EtNS0_10empty_typeEbEEZZNS1_14partition_implILS5_1ELb0ES3_jN6thrust23THRUST_200600_302600_NS6detail15normal_iteratorINSA_10device_ptrItEEEEPS6_NSA_18transform_iteratorI7is_evenItESF_NSA_11use_defaultESK_EENS0_5tupleIJNSA_16discard_iteratorISK_EESF_EEENSM_IJSG_SG_EEES6_PlJS6_EEE10hipError_tPvRmT3_T4_T5_T6_T7_T9_mT8_P12ihipStream_tbDpT10_ENKUlT_T0_E_clISt17integral_constantIbLb1EES1A_IbLb0EEEEDaS16_S17_EUlS16_E_NS1_11comp_targetILNS1_3genE2ELNS1_11target_archE906ELNS1_3gpuE6ELNS1_3repE0EEENS1_30default_config_static_selectorELNS0_4arch9wavefront6targetE1EEEvT1_,"axG",@progbits,_ZN7rocprim17ROCPRIM_400000_NS6detail17trampoline_kernelINS0_14default_configENS1_25partition_config_selectorILNS1_17partition_subalgoE1EtNS0_10empty_typeEbEEZZNS1_14partition_implILS5_1ELb0ES3_jN6thrust23THRUST_200600_302600_NS6detail15normal_iteratorINSA_10device_ptrItEEEEPS6_NSA_18transform_iteratorI7is_evenItESF_NSA_11use_defaultESK_EENS0_5tupleIJNSA_16discard_iteratorISK_EESF_EEENSM_IJSG_SG_EEES6_PlJS6_EEE10hipError_tPvRmT3_T4_T5_T6_T7_T9_mT8_P12ihipStream_tbDpT10_ENKUlT_T0_E_clISt17integral_constantIbLb1EES1A_IbLb0EEEEDaS16_S17_EUlS16_E_NS1_11comp_targetILNS1_3genE2ELNS1_11target_archE906ELNS1_3gpuE6ELNS1_3repE0EEENS1_30default_config_static_selectorELNS0_4arch9wavefront6targetE1EEEvT1_,comdat
.Lfunc_end3151:
	.size	_ZN7rocprim17ROCPRIM_400000_NS6detail17trampoline_kernelINS0_14default_configENS1_25partition_config_selectorILNS1_17partition_subalgoE1EtNS0_10empty_typeEbEEZZNS1_14partition_implILS5_1ELb0ES3_jN6thrust23THRUST_200600_302600_NS6detail15normal_iteratorINSA_10device_ptrItEEEEPS6_NSA_18transform_iteratorI7is_evenItESF_NSA_11use_defaultESK_EENS0_5tupleIJNSA_16discard_iteratorISK_EESF_EEENSM_IJSG_SG_EEES6_PlJS6_EEE10hipError_tPvRmT3_T4_T5_T6_T7_T9_mT8_P12ihipStream_tbDpT10_ENKUlT_T0_E_clISt17integral_constantIbLb1EES1A_IbLb0EEEEDaS16_S17_EUlS16_E_NS1_11comp_targetILNS1_3genE2ELNS1_11target_archE906ELNS1_3gpuE6ELNS1_3repE0EEENS1_30default_config_static_selectorELNS0_4arch9wavefront6targetE1EEEvT1_, .Lfunc_end3151-_ZN7rocprim17ROCPRIM_400000_NS6detail17trampoline_kernelINS0_14default_configENS1_25partition_config_selectorILNS1_17partition_subalgoE1EtNS0_10empty_typeEbEEZZNS1_14partition_implILS5_1ELb0ES3_jN6thrust23THRUST_200600_302600_NS6detail15normal_iteratorINSA_10device_ptrItEEEEPS6_NSA_18transform_iteratorI7is_evenItESF_NSA_11use_defaultESK_EENS0_5tupleIJNSA_16discard_iteratorISK_EESF_EEENSM_IJSG_SG_EEES6_PlJS6_EEE10hipError_tPvRmT3_T4_T5_T6_T7_T9_mT8_P12ihipStream_tbDpT10_ENKUlT_T0_E_clISt17integral_constantIbLb1EES1A_IbLb0EEEEDaS16_S17_EUlS16_E_NS1_11comp_targetILNS1_3genE2ELNS1_11target_archE906ELNS1_3gpuE6ELNS1_3repE0EEENS1_30default_config_static_selectorELNS0_4arch9wavefront6targetE1EEEvT1_
                                        ; -- End function
	.section	.AMDGPU.csdata,"",@progbits
; Kernel info:
; codeLenInByte = 0
; NumSgprs: 6
; NumVgprs: 0
; NumAgprs: 0
; TotalNumVgprs: 0
; ScratchSize: 0
; MemoryBound: 0
; FloatMode: 240
; IeeeMode: 1
; LDSByteSize: 0 bytes/workgroup (compile time only)
; SGPRBlocks: 0
; VGPRBlocks: 0
; NumSGPRsForWavesPerEU: 6
; NumVGPRsForWavesPerEU: 1
; AccumOffset: 4
; Occupancy: 8
; WaveLimiterHint : 0
; COMPUTE_PGM_RSRC2:SCRATCH_EN: 0
; COMPUTE_PGM_RSRC2:USER_SGPR: 2
; COMPUTE_PGM_RSRC2:TRAP_HANDLER: 0
; COMPUTE_PGM_RSRC2:TGID_X_EN: 1
; COMPUTE_PGM_RSRC2:TGID_Y_EN: 0
; COMPUTE_PGM_RSRC2:TGID_Z_EN: 0
; COMPUTE_PGM_RSRC2:TIDIG_COMP_CNT: 0
; COMPUTE_PGM_RSRC3_GFX90A:ACCUM_OFFSET: 0
; COMPUTE_PGM_RSRC3_GFX90A:TG_SPLIT: 0
	.section	.text._ZN7rocprim17ROCPRIM_400000_NS6detail17trampoline_kernelINS0_14default_configENS1_25partition_config_selectorILNS1_17partition_subalgoE1EtNS0_10empty_typeEbEEZZNS1_14partition_implILS5_1ELb0ES3_jN6thrust23THRUST_200600_302600_NS6detail15normal_iteratorINSA_10device_ptrItEEEEPS6_NSA_18transform_iteratorI7is_evenItESF_NSA_11use_defaultESK_EENS0_5tupleIJNSA_16discard_iteratorISK_EESF_EEENSM_IJSG_SG_EEES6_PlJS6_EEE10hipError_tPvRmT3_T4_T5_T6_T7_T9_mT8_P12ihipStream_tbDpT10_ENKUlT_T0_E_clISt17integral_constantIbLb1EES1A_IbLb0EEEEDaS16_S17_EUlS16_E_NS1_11comp_targetILNS1_3genE10ELNS1_11target_archE1200ELNS1_3gpuE4ELNS1_3repE0EEENS1_30default_config_static_selectorELNS0_4arch9wavefront6targetE1EEEvT1_,"axG",@progbits,_ZN7rocprim17ROCPRIM_400000_NS6detail17trampoline_kernelINS0_14default_configENS1_25partition_config_selectorILNS1_17partition_subalgoE1EtNS0_10empty_typeEbEEZZNS1_14partition_implILS5_1ELb0ES3_jN6thrust23THRUST_200600_302600_NS6detail15normal_iteratorINSA_10device_ptrItEEEEPS6_NSA_18transform_iteratorI7is_evenItESF_NSA_11use_defaultESK_EENS0_5tupleIJNSA_16discard_iteratorISK_EESF_EEENSM_IJSG_SG_EEES6_PlJS6_EEE10hipError_tPvRmT3_T4_T5_T6_T7_T9_mT8_P12ihipStream_tbDpT10_ENKUlT_T0_E_clISt17integral_constantIbLb1EES1A_IbLb0EEEEDaS16_S17_EUlS16_E_NS1_11comp_targetILNS1_3genE10ELNS1_11target_archE1200ELNS1_3gpuE4ELNS1_3repE0EEENS1_30default_config_static_selectorELNS0_4arch9wavefront6targetE1EEEvT1_,comdat
	.protected	_ZN7rocprim17ROCPRIM_400000_NS6detail17trampoline_kernelINS0_14default_configENS1_25partition_config_selectorILNS1_17partition_subalgoE1EtNS0_10empty_typeEbEEZZNS1_14partition_implILS5_1ELb0ES3_jN6thrust23THRUST_200600_302600_NS6detail15normal_iteratorINSA_10device_ptrItEEEEPS6_NSA_18transform_iteratorI7is_evenItESF_NSA_11use_defaultESK_EENS0_5tupleIJNSA_16discard_iteratorISK_EESF_EEENSM_IJSG_SG_EEES6_PlJS6_EEE10hipError_tPvRmT3_T4_T5_T6_T7_T9_mT8_P12ihipStream_tbDpT10_ENKUlT_T0_E_clISt17integral_constantIbLb1EES1A_IbLb0EEEEDaS16_S17_EUlS16_E_NS1_11comp_targetILNS1_3genE10ELNS1_11target_archE1200ELNS1_3gpuE4ELNS1_3repE0EEENS1_30default_config_static_selectorELNS0_4arch9wavefront6targetE1EEEvT1_ ; -- Begin function _ZN7rocprim17ROCPRIM_400000_NS6detail17trampoline_kernelINS0_14default_configENS1_25partition_config_selectorILNS1_17partition_subalgoE1EtNS0_10empty_typeEbEEZZNS1_14partition_implILS5_1ELb0ES3_jN6thrust23THRUST_200600_302600_NS6detail15normal_iteratorINSA_10device_ptrItEEEEPS6_NSA_18transform_iteratorI7is_evenItESF_NSA_11use_defaultESK_EENS0_5tupleIJNSA_16discard_iteratorISK_EESF_EEENSM_IJSG_SG_EEES6_PlJS6_EEE10hipError_tPvRmT3_T4_T5_T6_T7_T9_mT8_P12ihipStream_tbDpT10_ENKUlT_T0_E_clISt17integral_constantIbLb1EES1A_IbLb0EEEEDaS16_S17_EUlS16_E_NS1_11comp_targetILNS1_3genE10ELNS1_11target_archE1200ELNS1_3gpuE4ELNS1_3repE0EEENS1_30default_config_static_selectorELNS0_4arch9wavefront6targetE1EEEvT1_
	.globl	_ZN7rocprim17ROCPRIM_400000_NS6detail17trampoline_kernelINS0_14default_configENS1_25partition_config_selectorILNS1_17partition_subalgoE1EtNS0_10empty_typeEbEEZZNS1_14partition_implILS5_1ELb0ES3_jN6thrust23THRUST_200600_302600_NS6detail15normal_iteratorINSA_10device_ptrItEEEEPS6_NSA_18transform_iteratorI7is_evenItESF_NSA_11use_defaultESK_EENS0_5tupleIJNSA_16discard_iteratorISK_EESF_EEENSM_IJSG_SG_EEES6_PlJS6_EEE10hipError_tPvRmT3_T4_T5_T6_T7_T9_mT8_P12ihipStream_tbDpT10_ENKUlT_T0_E_clISt17integral_constantIbLb1EES1A_IbLb0EEEEDaS16_S17_EUlS16_E_NS1_11comp_targetILNS1_3genE10ELNS1_11target_archE1200ELNS1_3gpuE4ELNS1_3repE0EEENS1_30default_config_static_selectorELNS0_4arch9wavefront6targetE1EEEvT1_
	.p2align	8
	.type	_ZN7rocprim17ROCPRIM_400000_NS6detail17trampoline_kernelINS0_14default_configENS1_25partition_config_selectorILNS1_17partition_subalgoE1EtNS0_10empty_typeEbEEZZNS1_14partition_implILS5_1ELb0ES3_jN6thrust23THRUST_200600_302600_NS6detail15normal_iteratorINSA_10device_ptrItEEEEPS6_NSA_18transform_iteratorI7is_evenItESF_NSA_11use_defaultESK_EENS0_5tupleIJNSA_16discard_iteratorISK_EESF_EEENSM_IJSG_SG_EEES6_PlJS6_EEE10hipError_tPvRmT3_T4_T5_T6_T7_T9_mT8_P12ihipStream_tbDpT10_ENKUlT_T0_E_clISt17integral_constantIbLb1EES1A_IbLb0EEEEDaS16_S17_EUlS16_E_NS1_11comp_targetILNS1_3genE10ELNS1_11target_archE1200ELNS1_3gpuE4ELNS1_3repE0EEENS1_30default_config_static_selectorELNS0_4arch9wavefront6targetE1EEEvT1_,@function
_ZN7rocprim17ROCPRIM_400000_NS6detail17trampoline_kernelINS0_14default_configENS1_25partition_config_selectorILNS1_17partition_subalgoE1EtNS0_10empty_typeEbEEZZNS1_14partition_implILS5_1ELb0ES3_jN6thrust23THRUST_200600_302600_NS6detail15normal_iteratorINSA_10device_ptrItEEEEPS6_NSA_18transform_iteratorI7is_evenItESF_NSA_11use_defaultESK_EENS0_5tupleIJNSA_16discard_iteratorISK_EESF_EEENSM_IJSG_SG_EEES6_PlJS6_EEE10hipError_tPvRmT3_T4_T5_T6_T7_T9_mT8_P12ihipStream_tbDpT10_ENKUlT_T0_E_clISt17integral_constantIbLb1EES1A_IbLb0EEEEDaS16_S17_EUlS16_E_NS1_11comp_targetILNS1_3genE10ELNS1_11target_archE1200ELNS1_3gpuE4ELNS1_3repE0EEENS1_30default_config_static_selectorELNS0_4arch9wavefront6targetE1EEEvT1_: ; @_ZN7rocprim17ROCPRIM_400000_NS6detail17trampoline_kernelINS0_14default_configENS1_25partition_config_selectorILNS1_17partition_subalgoE1EtNS0_10empty_typeEbEEZZNS1_14partition_implILS5_1ELb0ES3_jN6thrust23THRUST_200600_302600_NS6detail15normal_iteratorINSA_10device_ptrItEEEEPS6_NSA_18transform_iteratorI7is_evenItESF_NSA_11use_defaultESK_EENS0_5tupleIJNSA_16discard_iteratorISK_EESF_EEENSM_IJSG_SG_EEES6_PlJS6_EEE10hipError_tPvRmT3_T4_T5_T6_T7_T9_mT8_P12ihipStream_tbDpT10_ENKUlT_T0_E_clISt17integral_constantIbLb1EES1A_IbLb0EEEEDaS16_S17_EUlS16_E_NS1_11comp_targetILNS1_3genE10ELNS1_11target_archE1200ELNS1_3gpuE4ELNS1_3repE0EEENS1_30default_config_static_selectorELNS0_4arch9wavefront6targetE1EEEvT1_
; %bb.0:
	.section	.rodata,"a",@progbits
	.p2align	6, 0x0
	.amdhsa_kernel _ZN7rocprim17ROCPRIM_400000_NS6detail17trampoline_kernelINS0_14default_configENS1_25partition_config_selectorILNS1_17partition_subalgoE1EtNS0_10empty_typeEbEEZZNS1_14partition_implILS5_1ELb0ES3_jN6thrust23THRUST_200600_302600_NS6detail15normal_iteratorINSA_10device_ptrItEEEEPS6_NSA_18transform_iteratorI7is_evenItESF_NSA_11use_defaultESK_EENS0_5tupleIJNSA_16discard_iteratorISK_EESF_EEENSM_IJSG_SG_EEES6_PlJS6_EEE10hipError_tPvRmT3_T4_T5_T6_T7_T9_mT8_P12ihipStream_tbDpT10_ENKUlT_T0_E_clISt17integral_constantIbLb1EES1A_IbLb0EEEEDaS16_S17_EUlS16_E_NS1_11comp_targetILNS1_3genE10ELNS1_11target_archE1200ELNS1_3gpuE4ELNS1_3repE0EEENS1_30default_config_static_selectorELNS0_4arch9wavefront6targetE1EEEvT1_
		.amdhsa_group_segment_fixed_size 0
		.amdhsa_private_segment_fixed_size 0
		.amdhsa_kernarg_size 136
		.amdhsa_user_sgpr_count 2
		.amdhsa_user_sgpr_dispatch_ptr 0
		.amdhsa_user_sgpr_queue_ptr 0
		.amdhsa_user_sgpr_kernarg_segment_ptr 1
		.amdhsa_user_sgpr_dispatch_id 0
		.amdhsa_user_sgpr_kernarg_preload_length 0
		.amdhsa_user_sgpr_kernarg_preload_offset 0
		.amdhsa_user_sgpr_private_segment_size 0
		.amdhsa_uses_dynamic_stack 0
		.amdhsa_enable_private_segment 0
		.amdhsa_system_sgpr_workgroup_id_x 1
		.amdhsa_system_sgpr_workgroup_id_y 0
		.amdhsa_system_sgpr_workgroup_id_z 0
		.amdhsa_system_sgpr_workgroup_info 0
		.amdhsa_system_vgpr_workitem_id 0
		.amdhsa_next_free_vgpr 1
		.amdhsa_next_free_sgpr 0
		.amdhsa_accum_offset 4
		.amdhsa_reserve_vcc 0
		.amdhsa_float_round_mode_32 0
		.amdhsa_float_round_mode_16_64 0
		.amdhsa_float_denorm_mode_32 3
		.amdhsa_float_denorm_mode_16_64 3
		.amdhsa_dx10_clamp 1
		.amdhsa_ieee_mode 1
		.amdhsa_fp16_overflow 0
		.amdhsa_tg_split 0
		.amdhsa_exception_fp_ieee_invalid_op 0
		.amdhsa_exception_fp_denorm_src 0
		.amdhsa_exception_fp_ieee_div_zero 0
		.amdhsa_exception_fp_ieee_overflow 0
		.amdhsa_exception_fp_ieee_underflow 0
		.amdhsa_exception_fp_ieee_inexact 0
		.amdhsa_exception_int_div_zero 0
	.end_amdhsa_kernel
	.section	.text._ZN7rocprim17ROCPRIM_400000_NS6detail17trampoline_kernelINS0_14default_configENS1_25partition_config_selectorILNS1_17partition_subalgoE1EtNS0_10empty_typeEbEEZZNS1_14partition_implILS5_1ELb0ES3_jN6thrust23THRUST_200600_302600_NS6detail15normal_iteratorINSA_10device_ptrItEEEEPS6_NSA_18transform_iteratorI7is_evenItESF_NSA_11use_defaultESK_EENS0_5tupleIJNSA_16discard_iteratorISK_EESF_EEENSM_IJSG_SG_EEES6_PlJS6_EEE10hipError_tPvRmT3_T4_T5_T6_T7_T9_mT8_P12ihipStream_tbDpT10_ENKUlT_T0_E_clISt17integral_constantIbLb1EES1A_IbLb0EEEEDaS16_S17_EUlS16_E_NS1_11comp_targetILNS1_3genE10ELNS1_11target_archE1200ELNS1_3gpuE4ELNS1_3repE0EEENS1_30default_config_static_selectorELNS0_4arch9wavefront6targetE1EEEvT1_,"axG",@progbits,_ZN7rocprim17ROCPRIM_400000_NS6detail17trampoline_kernelINS0_14default_configENS1_25partition_config_selectorILNS1_17partition_subalgoE1EtNS0_10empty_typeEbEEZZNS1_14partition_implILS5_1ELb0ES3_jN6thrust23THRUST_200600_302600_NS6detail15normal_iteratorINSA_10device_ptrItEEEEPS6_NSA_18transform_iteratorI7is_evenItESF_NSA_11use_defaultESK_EENS0_5tupleIJNSA_16discard_iteratorISK_EESF_EEENSM_IJSG_SG_EEES6_PlJS6_EEE10hipError_tPvRmT3_T4_T5_T6_T7_T9_mT8_P12ihipStream_tbDpT10_ENKUlT_T0_E_clISt17integral_constantIbLb1EES1A_IbLb0EEEEDaS16_S17_EUlS16_E_NS1_11comp_targetILNS1_3genE10ELNS1_11target_archE1200ELNS1_3gpuE4ELNS1_3repE0EEENS1_30default_config_static_selectorELNS0_4arch9wavefront6targetE1EEEvT1_,comdat
.Lfunc_end3152:
	.size	_ZN7rocprim17ROCPRIM_400000_NS6detail17trampoline_kernelINS0_14default_configENS1_25partition_config_selectorILNS1_17partition_subalgoE1EtNS0_10empty_typeEbEEZZNS1_14partition_implILS5_1ELb0ES3_jN6thrust23THRUST_200600_302600_NS6detail15normal_iteratorINSA_10device_ptrItEEEEPS6_NSA_18transform_iteratorI7is_evenItESF_NSA_11use_defaultESK_EENS0_5tupleIJNSA_16discard_iteratorISK_EESF_EEENSM_IJSG_SG_EEES6_PlJS6_EEE10hipError_tPvRmT3_T4_T5_T6_T7_T9_mT8_P12ihipStream_tbDpT10_ENKUlT_T0_E_clISt17integral_constantIbLb1EES1A_IbLb0EEEEDaS16_S17_EUlS16_E_NS1_11comp_targetILNS1_3genE10ELNS1_11target_archE1200ELNS1_3gpuE4ELNS1_3repE0EEENS1_30default_config_static_selectorELNS0_4arch9wavefront6targetE1EEEvT1_, .Lfunc_end3152-_ZN7rocprim17ROCPRIM_400000_NS6detail17trampoline_kernelINS0_14default_configENS1_25partition_config_selectorILNS1_17partition_subalgoE1EtNS0_10empty_typeEbEEZZNS1_14partition_implILS5_1ELb0ES3_jN6thrust23THRUST_200600_302600_NS6detail15normal_iteratorINSA_10device_ptrItEEEEPS6_NSA_18transform_iteratorI7is_evenItESF_NSA_11use_defaultESK_EENS0_5tupleIJNSA_16discard_iteratorISK_EESF_EEENSM_IJSG_SG_EEES6_PlJS6_EEE10hipError_tPvRmT3_T4_T5_T6_T7_T9_mT8_P12ihipStream_tbDpT10_ENKUlT_T0_E_clISt17integral_constantIbLb1EES1A_IbLb0EEEEDaS16_S17_EUlS16_E_NS1_11comp_targetILNS1_3genE10ELNS1_11target_archE1200ELNS1_3gpuE4ELNS1_3repE0EEENS1_30default_config_static_selectorELNS0_4arch9wavefront6targetE1EEEvT1_
                                        ; -- End function
	.section	.AMDGPU.csdata,"",@progbits
; Kernel info:
; codeLenInByte = 0
; NumSgprs: 6
; NumVgprs: 0
; NumAgprs: 0
; TotalNumVgprs: 0
; ScratchSize: 0
; MemoryBound: 0
; FloatMode: 240
; IeeeMode: 1
; LDSByteSize: 0 bytes/workgroup (compile time only)
; SGPRBlocks: 0
; VGPRBlocks: 0
; NumSGPRsForWavesPerEU: 6
; NumVGPRsForWavesPerEU: 1
; AccumOffset: 4
; Occupancy: 8
; WaveLimiterHint : 0
; COMPUTE_PGM_RSRC2:SCRATCH_EN: 0
; COMPUTE_PGM_RSRC2:USER_SGPR: 2
; COMPUTE_PGM_RSRC2:TRAP_HANDLER: 0
; COMPUTE_PGM_RSRC2:TGID_X_EN: 1
; COMPUTE_PGM_RSRC2:TGID_Y_EN: 0
; COMPUTE_PGM_RSRC2:TGID_Z_EN: 0
; COMPUTE_PGM_RSRC2:TIDIG_COMP_CNT: 0
; COMPUTE_PGM_RSRC3_GFX90A:ACCUM_OFFSET: 0
; COMPUTE_PGM_RSRC3_GFX90A:TG_SPLIT: 0
	.section	.text._ZN7rocprim17ROCPRIM_400000_NS6detail17trampoline_kernelINS0_14default_configENS1_25partition_config_selectorILNS1_17partition_subalgoE1EtNS0_10empty_typeEbEEZZNS1_14partition_implILS5_1ELb0ES3_jN6thrust23THRUST_200600_302600_NS6detail15normal_iteratorINSA_10device_ptrItEEEEPS6_NSA_18transform_iteratorI7is_evenItESF_NSA_11use_defaultESK_EENS0_5tupleIJNSA_16discard_iteratorISK_EESF_EEENSM_IJSG_SG_EEES6_PlJS6_EEE10hipError_tPvRmT3_T4_T5_T6_T7_T9_mT8_P12ihipStream_tbDpT10_ENKUlT_T0_E_clISt17integral_constantIbLb1EES1A_IbLb0EEEEDaS16_S17_EUlS16_E_NS1_11comp_targetILNS1_3genE9ELNS1_11target_archE1100ELNS1_3gpuE3ELNS1_3repE0EEENS1_30default_config_static_selectorELNS0_4arch9wavefront6targetE1EEEvT1_,"axG",@progbits,_ZN7rocprim17ROCPRIM_400000_NS6detail17trampoline_kernelINS0_14default_configENS1_25partition_config_selectorILNS1_17partition_subalgoE1EtNS0_10empty_typeEbEEZZNS1_14partition_implILS5_1ELb0ES3_jN6thrust23THRUST_200600_302600_NS6detail15normal_iteratorINSA_10device_ptrItEEEEPS6_NSA_18transform_iteratorI7is_evenItESF_NSA_11use_defaultESK_EENS0_5tupleIJNSA_16discard_iteratorISK_EESF_EEENSM_IJSG_SG_EEES6_PlJS6_EEE10hipError_tPvRmT3_T4_T5_T6_T7_T9_mT8_P12ihipStream_tbDpT10_ENKUlT_T0_E_clISt17integral_constantIbLb1EES1A_IbLb0EEEEDaS16_S17_EUlS16_E_NS1_11comp_targetILNS1_3genE9ELNS1_11target_archE1100ELNS1_3gpuE3ELNS1_3repE0EEENS1_30default_config_static_selectorELNS0_4arch9wavefront6targetE1EEEvT1_,comdat
	.protected	_ZN7rocprim17ROCPRIM_400000_NS6detail17trampoline_kernelINS0_14default_configENS1_25partition_config_selectorILNS1_17partition_subalgoE1EtNS0_10empty_typeEbEEZZNS1_14partition_implILS5_1ELb0ES3_jN6thrust23THRUST_200600_302600_NS6detail15normal_iteratorINSA_10device_ptrItEEEEPS6_NSA_18transform_iteratorI7is_evenItESF_NSA_11use_defaultESK_EENS0_5tupleIJNSA_16discard_iteratorISK_EESF_EEENSM_IJSG_SG_EEES6_PlJS6_EEE10hipError_tPvRmT3_T4_T5_T6_T7_T9_mT8_P12ihipStream_tbDpT10_ENKUlT_T0_E_clISt17integral_constantIbLb1EES1A_IbLb0EEEEDaS16_S17_EUlS16_E_NS1_11comp_targetILNS1_3genE9ELNS1_11target_archE1100ELNS1_3gpuE3ELNS1_3repE0EEENS1_30default_config_static_selectorELNS0_4arch9wavefront6targetE1EEEvT1_ ; -- Begin function _ZN7rocprim17ROCPRIM_400000_NS6detail17trampoline_kernelINS0_14default_configENS1_25partition_config_selectorILNS1_17partition_subalgoE1EtNS0_10empty_typeEbEEZZNS1_14partition_implILS5_1ELb0ES3_jN6thrust23THRUST_200600_302600_NS6detail15normal_iteratorINSA_10device_ptrItEEEEPS6_NSA_18transform_iteratorI7is_evenItESF_NSA_11use_defaultESK_EENS0_5tupleIJNSA_16discard_iteratorISK_EESF_EEENSM_IJSG_SG_EEES6_PlJS6_EEE10hipError_tPvRmT3_T4_T5_T6_T7_T9_mT8_P12ihipStream_tbDpT10_ENKUlT_T0_E_clISt17integral_constantIbLb1EES1A_IbLb0EEEEDaS16_S17_EUlS16_E_NS1_11comp_targetILNS1_3genE9ELNS1_11target_archE1100ELNS1_3gpuE3ELNS1_3repE0EEENS1_30default_config_static_selectorELNS0_4arch9wavefront6targetE1EEEvT1_
	.globl	_ZN7rocprim17ROCPRIM_400000_NS6detail17trampoline_kernelINS0_14default_configENS1_25partition_config_selectorILNS1_17partition_subalgoE1EtNS0_10empty_typeEbEEZZNS1_14partition_implILS5_1ELb0ES3_jN6thrust23THRUST_200600_302600_NS6detail15normal_iteratorINSA_10device_ptrItEEEEPS6_NSA_18transform_iteratorI7is_evenItESF_NSA_11use_defaultESK_EENS0_5tupleIJNSA_16discard_iteratorISK_EESF_EEENSM_IJSG_SG_EEES6_PlJS6_EEE10hipError_tPvRmT3_T4_T5_T6_T7_T9_mT8_P12ihipStream_tbDpT10_ENKUlT_T0_E_clISt17integral_constantIbLb1EES1A_IbLb0EEEEDaS16_S17_EUlS16_E_NS1_11comp_targetILNS1_3genE9ELNS1_11target_archE1100ELNS1_3gpuE3ELNS1_3repE0EEENS1_30default_config_static_selectorELNS0_4arch9wavefront6targetE1EEEvT1_
	.p2align	8
	.type	_ZN7rocprim17ROCPRIM_400000_NS6detail17trampoline_kernelINS0_14default_configENS1_25partition_config_selectorILNS1_17partition_subalgoE1EtNS0_10empty_typeEbEEZZNS1_14partition_implILS5_1ELb0ES3_jN6thrust23THRUST_200600_302600_NS6detail15normal_iteratorINSA_10device_ptrItEEEEPS6_NSA_18transform_iteratorI7is_evenItESF_NSA_11use_defaultESK_EENS0_5tupleIJNSA_16discard_iteratorISK_EESF_EEENSM_IJSG_SG_EEES6_PlJS6_EEE10hipError_tPvRmT3_T4_T5_T6_T7_T9_mT8_P12ihipStream_tbDpT10_ENKUlT_T0_E_clISt17integral_constantIbLb1EES1A_IbLb0EEEEDaS16_S17_EUlS16_E_NS1_11comp_targetILNS1_3genE9ELNS1_11target_archE1100ELNS1_3gpuE3ELNS1_3repE0EEENS1_30default_config_static_selectorELNS0_4arch9wavefront6targetE1EEEvT1_,@function
_ZN7rocprim17ROCPRIM_400000_NS6detail17trampoline_kernelINS0_14default_configENS1_25partition_config_selectorILNS1_17partition_subalgoE1EtNS0_10empty_typeEbEEZZNS1_14partition_implILS5_1ELb0ES3_jN6thrust23THRUST_200600_302600_NS6detail15normal_iteratorINSA_10device_ptrItEEEEPS6_NSA_18transform_iteratorI7is_evenItESF_NSA_11use_defaultESK_EENS0_5tupleIJNSA_16discard_iteratorISK_EESF_EEENSM_IJSG_SG_EEES6_PlJS6_EEE10hipError_tPvRmT3_T4_T5_T6_T7_T9_mT8_P12ihipStream_tbDpT10_ENKUlT_T0_E_clISt17integral_constantIbLb1EES1A_IbLb0EEEEDaS16_S17_EUlS16_E_NS1_11comp_targetILNS1_3genE9ELNS1_11target_archE1100ELNS1_3gpuE3ELNS1_3repE0EEENS1_30default_config_static_selectorELNS0_4arch9wavefront6targetE1EEEvT1_: ; @_ZN7rocprim17ROCPRIM_400000_NS6detail17trampoline_kernelINS0_14default_configENS1_25partition_config_selectorILNS1_17partition_subalgoE1EtNS0_10empty_typeEbEEZZNS1_14partition_implILS5_1ELb0ES3_jN6thrust23THRUST_200600_302600_NS6detail15normal_iteratorINSA_10device_ptrItEEEEPS6_NSA_18transform_iteratorI7is_evenItESF_NSA_11use_defaultESK_EENS0_5tupleIJNSA_16discard_iteratorISK_EESF_EEENSM_IJSG_SG_EEES6_PlJS6_EEE10hipError_tPvRmT3_T4_T5_T6_T7_T9_mT8_P12ihipStream_tbDpT10_ENKUlT_T0_E_clISt17integral_constantIbLb1EES1A_IbLb0EEEEDaS16_S17_EUlS16_E_NS1_11comp_targetILNS1_3genE9ELNS1_11target_archE1100ELNS1_3gpuE3ELNS1_3repE0EEENS1_30default_config_static_selectorELNS0_4arch9wavefront6targetE1EEEvT1_
; %bb.0:
	.section	.rodata,"a",@progbits
	.p2align	6, 0x0
	.amdhsa_kernel _ZN7rocprim17ROCPRIM_400000_NS6detail17trampoline_kernelINS0_14default_configENS1_25partition_config_selectorILNS1_17partition_subalgoE1EtNS0_10empty_typeEbEEZZNS1_14partition_implILS5_1ELb0ES3_jN6thrust23THRUST_200600_302600_NS6detail15normal_iteratorINSA_10device_ptrItEEEEPS6_NSA_18transform_iteratorI7is_evenItESF_NSA_11use_defaultESK_EENS0_5tupleIJNSA_16discard_iteratorISK_EESF_EEENSM_IJSG_SG_EEES6_PlJS6_EEE10hipError_tPvRmT3_T4_T5_T6_T7_T9_mT8_P12ihipStream_tbDpT10_ENKUlT_T0_E_clISt17integral_constantIbLb1EES1A_IbLb0EEEEDaS16_S17_EUlS16_E_NS1_11comp_targetILNS1_3genE9ELNS1_11target_archE1100ELNS1_3gpuE3ELNS1_3repE0EEENS1_30default_config_static_selectorELNS0_4arch9wavefront6targetE1EEEvT1_
		.amdhsa_group_segment_fixed_size 0
		.amdhsa_private_segment_fixed_size 0
		.amdhsa_kernarg_size 136
		.amdhsa_user_sgpr_count 2
		.amdhsa_user_sgpr_dispatch_ptr 0
		.amdhsa_user_sgpr_queue_ptr 0
		.amdhsa_user_sgpr_kernarg_segment_ptr 1
		.amdhsa_user_sgpr_dispatch_id 0
		.amdhsa_user_sgpr_kernarg_preload_length 0
		.amdhsa_user_sgpr_kernarg_preload_offset 0
		.amdhsa_user_sgpr_private_segment_size 0
		.amdhsa_uses_dynamic_stack 0
		.amdhsa_enable_private_segment 0
		.amdhsa_system_sgpr_workgroup_id_x 1
		.amdhsa_system_sgpr_workgroup_id_y 0
		.amdhsa_system_sgpr_workgroup_id_z 0
		.amdhsa_system_sgpr_workgroup_info 0
		.amdhsa_system_vgpr_workitem_id 0
		.amdhsa_next_free_vgpr 1
		.amdhsa_next_free_sgpr 0
		.amdhsa_accum_offset 4
		.amdhsa_reserve_vcc 0
		.amdhsa_float_round_mode_32 0
		.amdhsa_float_round_mode_16_64 0
		.amdhsa_float_denorm_mode_32 3
		.amdhsa_float_denorm_mode_16_64 3
		.amdhsa_dx10_clamp 1
		.amdhsa_ieee_mode 1
		.amdhsa_fp16_overflow 0
		.amdhsa_tg_split 0
		.amdhsa_exception_fp_ieee_invalid_op 0
		.amdhsa_exception_fp_denorm_src 0
		.amdhsa_exception_fp_ieee_div_zero 0
		.amdhsa_exception_fp_ieee_overflow 0
		.amdhsa_exception_fp_ieee_underflow 0
		.amdhsa_exception_fp_ieee_inexact 0
		.amdhsa_exception_int_div_zero 0
	.end_amdhsa_kernel
	.section	.text._ZN7rocprim17ROCPRIM_400000_NS6detail17trampoline_kernelINS0_14default_configENS1_25partition_config_selectorILNS1_17partition_subalgoE1EtNS0_10empty_typeEbEEZZNS1_14partition_implILS5_1ELb0ES3_jN6thrust23THRUST_200600_302600_NS6detail15normal_iteratorINSA_10device_ptrItEEEEPS6_NSA_18transform_iteratorI7is_evenItESF_NSA_11use_defaultESK_EENS0_5tupleIJNSA_16discard_iteratorISK_EESF_EEENSM_IJSG_SG_EEES6_PlJS6_EEE10hipError_tPvRmT3_T4_T5_T6_T7_T9_mT8_P12ihipStream_tbDpT10_ENKUlT_T0_E_clISt17integral_constantIbLb1EES1A_IbLb0EEEEDaS16_S17_EUlS16_E_NS1_11comp_targetILNS1_3genE9ELNS1_11target_archE1100ELNS1_3gpuE3ELNS1_3repE0EEENS1_30default_config_static_selectorELNS0_4arch9wavefront6targetE1EEEvT1_,"axG",@progbits,_ZN7rocprim17ROCPRIM_400000_NS6detail17trampoline_kernelINS0_14default_configENS1_25partition_config_selectorILNS1_17partition_subalgoE1EtNS0_10empty_typeEbEEZZNS1_14partition_implILS5_1ELb0ES3_jN6thrust23THRUST_200600_302600_NS6detail15normal_iteratorINSA_10device_ptrItEEEEPS6_NSA_18transform_iteratorI7is_evenItESF_NSA_11use_defaultESK_EENS0_5tupleIJNSA_16discard_iteratorISK_EESF_EEENSM_IJSG_SG_EEES6_PlJS6_EEE10hipError_tPvRmT3_T4_T5_T6_T7_T9_mT8_P12ihipStream_tbDpT10_ENKUlT_T0_E_clISt17integral_constantIbLb1EES1A_IbLb0EEEEDaS16_S17_EUlS16_E_NS1_11comp_targetILNS1_3genE9ELNS1_11target_archE1100ELNS1_3gpuE3ELNS1_3repE0EEENS1_30default_config_static_selectorELNS0_4arch9wavefront6targetE1EEEvT1_,comdat
.Lfunc_end3153:
	.size	_ZN7rocprim17ROCPRIM_400000_NS6detail17trampoline_kernelINS0_14default_configENS1_25partition_config_selectorILNS1_17partition_subalgoE1EtNS0_10empty_typeEbEEZZNS1_14partition_implILS5_1ELb0ES3_jN6thrust23THRUST_200600_302600_NS6detail15normal_iteratorINSA_10device_ptrItEEEEPS6_NSA_18transform_iteratorI7is_evenItESF_NSA_11use_defaultESK_EENS0_5tupleIJNSA_16discard_iteratorISK_EESF_EEENSM_IJSG_SG_EEES6_PlJS6_EEE10hipError_tPvRmT3_T4_T5_T6_T7_T9_mT8_P12ihipStream_tbDpT10_ENKUlT_T0_E_clISt17integral_constantIbLb1EES1A_IbLb0EEEEDaS16_S17_EUlS16_E_NS1_11comp_targetILNS1_3genE9ELNS1_11target_archE1100ELNS1_3gpuE3ELNS1_3repE0EEENS1_30default_config_static_selectorELNS0_4arch9wavefront6targetE1EEEvT1_, .Lfunc_end3153-_ZN7rocprim17ROCPRIM_400000_NS6detail17trampoline_kernelINS0_14default_configENS1_25partition_config_selectorILNS1_17partition_subalgoE1EtNS0_10empty_typeEbEEZZNS1_14partition_implILS5_1ELb0ES3_jN6thrust23THRUST_200600_302600_NS6detail15normal_iteratorINSA_10device_ptrItEEEEPS6_NSA_18transform_iteratorI7is_evenItESF_NSA_11use_defaultESK_EENS0_5tupleIJNSA_16discard_iteratorISK_EESF_EEENSM_IJSG_SG_EEES6_PlJS6_EEE10hipError_tPvRmT3_T4_T5_T6_T7_T9_mT8_P12ihipStream_tbDpT10_ENKUlT_T0_E_clISt17integral_constantIbLb1EES1A_IbLb0EEEEDaS16_S17_EUlS16_E_NS1_11comp_targetILNS1_3genE9ELNS1_11target_archE1100ELNS1_3gpuE3ELNS1_3repE0EEENS1_30default_config_static_selectorELNS0_4arch9wavefront6targetE1EEEvT1_
                                        ; -- End function
	.section	.AMDGPU.csdata,"",@progbits
; Kernel info:
; codeLenInByte = 0
; NumSgprs: 6
; NumVgprs: 0
; NumAgprs: 0
; TotalNumVgprs: 0
; ScratchSize: 0
; MemoryBound: 0
; FloatMode: 240
; IeeeMode: 1
; LDSByteSize: 0 bytes/workgroup (compile time only)
; SGPRBlocks: 0
; VGPRBlocks: 0
; NumSGPRsForWavesPerEU: 6
; NumVGPRsForWavesPerEU: 1
; AccumOffset: 4
; Occupancy: 8
; WaveLimiterHint : 0
; COMPUTE_PGM_RSRC2:SCRATCH_EN: 0
; COMPUTE_PGM_RSRC2:USER_SGPR: 2
; COMPUTE_PGM_RSRC2:TRAP_HANDLER: 0
; COMPUTE_PGM_RSRC2:TGID_X_EN: 1
; COMPUTE_PGM_RSRC2:TGID_Y_EN: 0
; COMPUTE_PGM_RSRC2:TGID_Z_EN: 0
; COMPUTE_PGM_RSRC2:TIDIG_COMP_CNT: 0
; COMPUTE_PGM_RSRC3_GFX90A:ACCUM_OFFSET: 0
; COMPUTE_PGM_RSRC3_GFX90A:TG_SPLIT: 0
	.section	.text._ZN7rocprim17ROCPRIM_400000_NS6detail17trampoline_kernelINS0_14default_configENS1_25partition_config_selectorILNS1_17partition_subalgoE1EtNS0_10empty_typeEbEEZZNS1_14partition_implILS5_1ELb0ES3_jN6thrust23THRUST_200600_302600_NS6detail15normal_iteratorINSA_10device_ptrItEEEEPS6_NSA_18transform_iteratorI7is_evenItESF_NSA_11use_defaultESK_EENS0_5tupleIJNSA_16discard_iteratorISK_EESF_EEENSM_IJSG_SG_EEES6_PlJS6_EEE10hipError_tPvRmT3_T4_T5_T6_T7_T9_mT8_P12ihipStream_tbDpT10_ENKUlT_T0_E_clISt17integral_constantIbLb1EES1A_IbLb0EEEEDaS16_S17_EUlS16_E_NS1_11comp_targetILNS1_3genE8ELNS1_11target_archE1030ELNS1_3gpuE2ELNS1_3repE0EEENS1_30default_config_static_selectorELNS0_4arch9wavefront6targetE1EEEvT1_,"axG",@progbits,_ZN7rocprim17ROCPRIM_400000_NS6detail17trampoline_kernelINS0_14default_configENS1_25partition_config_selectorILNS1_17partition_subalgoE1EtNS0_10empty_typeEbEEZZNS1_14partition_implILS5_1ELb0ES3_jN6thrust23THRUST_200600_302600_NS6detail15normal_iteratorINSA_10device_ptrItEEEEPS6_NSA_18transform_iteratorI7is_evenItESF_NSA_11use_defaultESK_EENS0_5tupleIJNSA_16discard_iteratorISK_EESF_EEENSM_IJSG_SG_EEES6_PlJS6_EEE10hipError_tPvRmT3_T4_T5_T6_T7_T9_mT8_P12ihipStream_tbDpT10_ENKUlT_T0_E_clISt17integral_constantIbLb1EES1A_IbLb0EEEEDaS16_S17_EUlS16_E_NS1_11comp_targetILNS1_3genE8ELNS1_11target_archE1030ELNS1_3gpuE2ELNS1_3repE0EEENS1_30default_config_static_selectorELNS0_4arch9wavefront6targetE1EEEvT1_,comdat
	.protected	_ZN7rocprim17ROCPRIM_400000_NS6detail17trampoline_kernelINS0_14default_configENS1_25partition_config_selectorILNS1_17partition_subalgoE1EtNS0_10empty_typeEbEEZZNS1_14partition_implILS5_1ELb0ES3_jN6thrust23THRUST_200600_302600_NS6detail15normal_iteratorINSA_10device_ptrItEEEEPS6_NSA_18transform_iteratorI7is_evenItESF_NSA_11use_defaultESK_EENS0_5tupleIJNSA_16discard_iteratorISK_EESF_EEENSM_IJSG_SG_EEES6_PlJS6_EEE10hipError_tPvRmT3_T4_T5_T6_T7_T9_mT8_P12ihipStream_tbDpT10_ENKUlT_T0_E_clISt17integral_constantIbLb1EES1A_IbLb0EEEEDaS16_S17_EUlS16_E_NS1_11comp_targetILNS1_3genE8ELNS1_11target_archE1030ELNS1_3gpuE2ELNS1_3repE0EEENS1_30default_config_static_selectorELNS0_4arch9wavefront6targetE1EEEvT1_ ; -- Begin function _ZN7rocprim17ROCPRIM_400000_NS6detail17trampoline_kernelINS0_14default_configENS1_25partition_config_selectorILNS1_17partition_subalgoE1EtNS0_10empty_typeEbEEZZNS1_14partition_implILS5_1ELb0ES3_jN6thrust23THRUST_200600_302600_NS6detail15normal_iteratorINSA_10device_ptrItEEEEPS6_NSA_18transform_iteratorI7is_evenItESF_NSA_11use_defaultESK_EENS0_5tupleIJNSA_16discard_iteratorISK_EESF_EEENSM_IJSG_SG_EEES6_PlJS6_EEE10hipError_tPvRmT3_T4_T5_T6_T7_T9_mT8_P12ihipStream_tbDpT10_ENKUlT_T0_E_clISt17integral_constantIbLb1EES1A_IbLb0EEEEDaS16_S17_EUlS16_E_NS1_11comp_targetILNS1_3genE8ELNS1_11target_archE1030ELNS1_3gpuE2ELNS1_3repE0EEENS1_30default_config_static_selectorELNS0_4arch9wavefront6targetE1EEEvT1_
	.globl	_ZN7rocprim17ROCPRIM_400000_NS6detail17trampoline_kernelINS0_14default_configENS1_25partition_config_selectorILNS1_17partition_subalgoE1EtNS0_10empty_typeEbEEZZNS1_14partition_implILS5_1ELb0ES3_jN6thrust23THRUST_200600_302600_NS6detail15normal_iteratorINSA_10device_ptrItEEEEPS6_NSA_18transform_iteratorI7is_evenItESF_NSA_11use_defaultESK_EENS0_5tupleIJNSA_16discard_iteratorISK_EESF_EEENSM_IJSG_SG_EEES6_PlJS6_EEE10hipError_tPvRmT3_T4_T5_T6_T7_T9_mT8_P12ihipStream_tbDpT10_ENKUlT_T0_E_clISt17integral_constantIbLb1EES1A_IbLb0EEEEDaS16_S17_EUlS16_E_NS1_11comp_targetILNS1_3genE8ELNS1_11target_archE1030ELNS1_3gpuE2ELNS1_3repE0EEENS1_30default_config_static_selectorELNS0_4arch9wavefront6targetE1EEEvT1_
	.p2align	8
	.type	_ZN7rocprim17ROCPRIM_400000_NS6detail17trampoline_kernelINS0_14default_configENS1_25partition_config_selectorILNS1_17partition_subalgoE1EtNS0_10empty_typeEbEEZZNS1_14partition_implILS5_1ELb0ES3_jN6thrust23THRUST_200600_302600_NS6detail15normal_iteratorINSA_10device_ptrItEEEEPS6_NSA_18transform_iteratorI7is_evenItESF_NSA_11use_defaultESK_EENS0_5tupleIJNSA_16discard_iteratorISK_EESF_EEENSM_IJSG_SG_EEES6_PlJS6_EEE10hipError_tPvRmT3_T4_T5_T6_T7_T9_mT8_P12ihipStream_tbDpT10_ENKUlT_T0_E_clISt17integral_constantIbLb1EES1A_IbLb0EEEEDaS16_S17_EUlS16_E_NS1_11comp_targetILNS1_3genE8ELNS1_11target_archE1030ELNS1_3gpuE2ELNS1_3repE0EEENS1_30default_config_static_selectorELNS0_4arch9wavefront6targetE1EEEvT1_,@function
_ZN7rocprim17ROCPRIM_400000_NS6detail17trampoline_kernelINS0_14default_configENS1_25partition_config_selectorILNS1_17partition_subalgoE1EtNS0_10empty_typeEbEEZZNS1_14partition_implILS5_1ELb0ES3_jN6thrust23THRUST_200600_302600_NS6detail15normal_iteratorINSA_10device_ptrItEEEEPS6_NSA_18transform_iteratorI7is_evenItESF_NSA_11use_defaultESK_EENS0_5tupleIJNSA_16discard_iteratorISK_EESF_EEENSM_IJSG_SG_EEES6_PlJS6_EEE10hipError_tPvRmT3_T4_T5_T6_T7_T9_mT8_P12ihipStream_tbDpT10_ENKUlT_T0_E_clISt17integral_constantIbLb1EES1A_IbLb0EEEEDaS16_S17_EUlS16_E_NS1_11comp_targetILNS1_3genE8ELNS1_11target_archE1030ELNS1_3gpuE2ELNS1_3repE0EEENS1_30default_config_static_selectorELNS0_4arch9wavefront6targetE1EEEvT1_: ; @_ZN7rocprim17ROCPRIM_400000_NS6detail17trampoline_kernelINS0_14default_configENS1_25partition_config_selectorILNS1_17partition_subalgoE1EtNS0_10empty_typeEbEEZZNS1_14partition_implILS5_1ELb0ES3_jN6thrust23THRUST_200600_302600_NS6detail15normal_iteratorINSA_10device_ptrItEEEEPS6_NSA_18transform_iteratorI7is_evenItESF_NSA_11use_defaultESK_EENS0_5tupleIJNSA_16discard_iteratorISK_EESF_EEENSM_IJSG_SG_EEES6_PlJS6_EEE10hipError_tPvRmT3_T4_T5_T6_T7_T9_mT8_P12ihipStream_tbDpT10_ENKUlT_T0_E_clISt17integral_constantIbLb1EES1A_IbLb0EEEEDaS16_S17_EUlS16_E_NS1_11comp_targetILNS1_3genE8ELNS1_11target_archE1030ELNS1_3gpuE2ELNS1_3repE0EEENS1_30default_config_static_selectorELNS0_4arch9wavefront6targetE1EEEvT1_
; %bb.0:
	.section	.rodata,"a",@progbits
	.p2align	6, 0x0
	.amdhsa_kernel _ZN7rocprim17ROCPRIM_400000_NS6detail17trampoline_kernelINS0_14default_configENS1_25partition_config_selectorILNS1_17partition_subalgoE1EtNS0_10empty_typeEbEEZZNS1_14partition_implILS5_1ELb0ES3_jN6thrust23THRUST_200600_302600_NS6detail15normal_iteratorINSA_10device_ptrItEEEEPS6_NSA_18transform_iteratorI7is_evenItESF_NSA_11use_defaultESK_EENS0_5tupleIJNSA_16discard_iteratorISK_EESF_EEENSM_IJSG_SG_EEES6_PlJS6_EEE10hipError_tPvRmT3_T4_T5_T6_T7_T9_mT8_P12ihipStream_tbDpT10_ENKUlT_T0_E_clISt17integral_constantIbLb1EES1A_IbLb0EEEEDaS16_S17_EUlS16_E_NS1_11comp_targetILNS1_3genE8ELNS1_11target_archE1030ELNS1_3gpuE2ELNS1_3repE0EEENS1_30default_config_static_selectorELNS0_4arch9wavefront6targetE1EEEvT1_
		.amdhsa_group_segment_fixed_size 0
		.amdhsa_private_segment_fixed_size 0
		.amdhsa_kernarg_size 136
		.amdhsa_user_sgpr_count 2
		.amdhsa_user_sgpr_dispatch_ptr 0
		.amdhsa_user_sgpr_queue_ptr 0
		.amdhsa_user_sgpr_kernarg_segment_ptr 1
		.amdhsa_user_sgpr_dispatch_id 0
		.amdhsa_user_sgpr_kernarg_preload_length 0
		.amdhsa_user_sgpr_kernarg_preload_offset 0
		.amdhsa_user_sgpr_private_segment_size 0
		.amdhsa_uses_dynamic_stack 0
		.amdhsa_enable_private_segment 0
		.amdhsa_system_sgpr_workgroup_id_x 1
		.amdhsa_system_sgpr_workgroup_id_y 0
		.amdhsa_system_sgpr_workgroup_id_z 0
		.amdhsa_system_sgpr_workgroup_info 0
		.amdhsa_system_vgpr_workitem_id 0
		.amdhsa_next_free_vgpr 1
		.amdhsa_next_free_sgpr 0
		.amdhsa_accum_offset 4
		.amdhsa_reserve_vcc 0
		.amdhsa_float_round_mode_32 0
		.amdhsa_float_round_mode_16_64 0
		.amdhsa_float_denorm_mode_32 3
		.amdhsa_float_denorm_mode_16_64 3
		.amdhsa_dx10_clamp 1
		.amdhsa_ieee_mode 1
		.amdhsa_fp16_overflow 0
		.amdhsa_tg_split 0
		.amdhsa_exception_fp_ieee_invalid_op 0
		.amdhsa_exception_fp_denorm_src 0
		.amdhsa_exception_fp_ieee_div_zero 0
		.amdhsa_exception_fp_ieee_overflow 0
		.amdhsa_exception_fp_ieee_underflow 0
		.amdhsa_exception_fp_ieee_inexact 0
		.amdhsa_exception_int_div_zero 0
	.end_amdhsa_kernel
	.section	.text._ZN7rocprim17ROCPRIM_400000_NS6detail17trampoline_kernelINS0_14default_configENS1_25partition_config_selectorILNS1_17partition_subalgoE1EtNS0_10empty_typeEbEEZZNS1_14partition_implILS5_1ELb0ES3_jN6thrust23THRUST_200600_302600_NS6detail15normal_iteratorINSA_10device_ptrItEEEEPS6_NSA_18transform_iteratorI7is_evenItESF_NSA_11use_defaultESK_EENS0_5tupleIJNSA_16discard_iteratorISK_EESF_EEENSM_IJSG_SG_EEES6_PlJS6_EEE10hipError_tPvRmT3_T4_T5_T6_T7_T9_mT8_P12ihipStream_tbDpT10_ENKUlT_T0_E_clISt17integral_constantIbLb1EES1A_IbLb0EEEEDaS16_S17_EUlS16_E_NS1_11comp_targetILNS1_3genE8ELNS1_11target_archE1030ELNS1_3gpuE2ELNS1_3repE0EEENS1_30default_config_static_selectorELNS0_4arch9wavefront6targetE1EEEvT1_,"axG",@progbits,_ZN7rocprim17ROCPRIM_400000_NS6detail17trampoline_kernelINS0_14default_configENS1_25partition_config_selectorILNS1_17partition_subalgoE1EtNS0_10empty_typeEbEEZZNS1_14partition_implILS5_1ELb0ES3_jN6thrust23THRUST_200600_302600_NS6detail15normal_iteratorINSA_10device_ptrItEEEEPS6_NSA_18transform_iteratorI7is_evenItESF_NSA_11use_defaultESK_EENS0_5tupleIJNSA_16discard_iteratorISK_EESF_EEENSM_IJSG_SG_EEES6_PlJS6_EEE10hipError_tPvRmT3_T4_T5_T6_T7_T9_mT8_P12ihipStream_tbDpT10_ENKUlT_T0_E_clISt17integral_constantIbLb1EES1A_IbLb0EEEEDaS16_S17_EUlS16_E_NS1_11comp_targetILNS1_3genE8ELNS1_11target_archE1030ELNS1_3gpuE2ELNS1_3repE0EEENS1_30default_config_static_selectorELNS0_4arch9wavefront6targetE1EEEvT1_,comdat
.Lfunc_end3154:
	.size	_ZN7rocprim17ROCPRIM_400000_NS6detail17trampoline_kernelINS0_14default_configENS1_25partition_config_selectorILNS1_17partition_subalgoE1EtNS0_10empty_typeEbEEZZNS1_14partition_implILS5_1ELb0ES3_jN6thrust23THRUST_200600_302600_NS6detail15normal_iteratorINSA_10device_ptrItEEEEPS6_NSA_18transform_iteratorI7is_evenItESF_NSA_11use_defaultESK_EENS0_5tupleIJNSA_16discard_iteratorISK_EESF_EEENSM_IJSG_SG_EEES6_PlJS6_EEE10hipError_tPvRmT3_T4_T5_T6_T7_T9_mT8_P12ihipStream_tbDpT10_ENKUlT_T0_E_clISt17integral_constantIbLb1EES1A_IbLb0EEEEDaS16_S17_EUlS16_E_NS1_11comp_targetILNS1_3genE8ELNS1_11target_archE1030ELNS1_3gpuE2ELNS1_3repE0EEENS1_30default_config_static_selectorELNS0_4arch9wavefront6targetE1EEEvT1_, .Lfunc_end3154-_ZN7rocprim17ROCPRIM_400000_NS6detail17trampoline_kernelINS0_14default_configENS1_25partition_config_selectorILNS1_17partition_subalgoE1EtNS0_10empty_typeEbEEZZNS1_14partition_implILS5_1ELb0ES3_jN6thrust23THRUST_200600_302600_NS6detail15normal_iteratorINSA_10device_ptrItEEEEPS6_NSA_18transform_iteratorI7is_evenItESF_NSA_11use_defaultESK_EENS0_5tupleIJNSA_16discard_iteratorISK_EESF_EEENSM_IJSG_SG_EEES6_PlJS6_EEE10hipError_tPvRmT3_T4_T5_T6_T7_T9_mT8_P12ihipStream_tbDpT10_ENKUlT_T0_E_clISt17integral_constantIbLb1EES1A_IbLb0EEEEDaS16_S17_EUlS16_E_NS1_11comp_targetILNS1_3genE8ELNS1_11target_archE1030ELNS1_3gpuE2ELNS1_3repE0EEENS1_30default_config_static_selectorELNS0_4arch9wavefront6targetE1EEEvT1_
                                        ; -- End function
	.section	.AMDGPU.csdata,"",@progbits
; Kernel info:
; codeLenInByte = 0
; NumSgprs: 6
; NumVgprs: 0
; NumAgprs: 0
; TotalNumVgprs: 0
; ScratchSize: 0
; MemoryBound: 0
; FloatMode: 240
; IeeeMode: 1
; LDSByteSize: 0 bytes/workgroup (compile time only)
; SGPRBlocks: 0
; VGPRBlocks: 0
; NumSGPRsForWavesPerEU: 6
; NumVGPRsForWavesPerEU: 1
; AccumOffset: 4
; Occupancy: 8
; WaveLimiterHint : 0
; COMPUTE_PGM_RSRC2:SCRATCH_EN: 0
; COMPUTE_PGM_RSRC2:USER_SGPR: 2
; COMPUTE_PGM_RSRC2:TRAP_HANDLER: 0
; COMPUTE_PGM_RSRC2:TGID_X_EN: 1
; COMPUTE_PGM_RSRC2:TGID_Y_EN: 0
; COMPUTE_PGM_RSRC2:TGID_Z_EN: 0
; COMPUTE_PGM_RSRC2:TIDIG_COMP_CNT: 0
; COMPUTE_PGM_RSRC3_GFX90A:ACCUM_OFFSET: 0
; COMPUTE_PGM_RSRC3_GFX90A:TG_SPLIT: 0
	.section	.text._ZN7rocprim17ROCPRIM_400000_NS6detail17trampoline_kernelINS0_14default_configENS1_25partition_config_selectorILNS1_17partition_subalgoE1EtNS0_10empty_typeEbEEZZNS1_14partition_implILS5_1ELb0ES3_jN6thrust23THRUST_200600_302600_NS6detail15normal_iteratorINSA_10device_ptrItEEEEPS6_NSA_18transform_iteratorI7is_evenItESF_NSA_11use_defaultESK_EENS0_5tupleIJNSA_16discard_iteratorISK_EESF_EEENSM_IJSG_SG_EEES6_PlJS6_EEE10hipError_tPvRmT3_T4_T5_T6_T7_T9_mT8_P12ihipStream_tbDpT10_ENKUlT_T0_E_clISt17integral_constantIbLb0EES1A_IbLb1EEEEDaS16_S17_EUlS16_E_NS1_11comp_targetILNS1_3genE0ELNS1_11target_archE4294967295ELNS1_3gpuE0ELNS1_3repE0EEENS1_30default_config_static_selectorELNS0_4arch9wavefront6targetE1EEEvT1_,"axG",@progbits,_ZN7rocprim17ROCPRIM_400000_NS6detail17trampoline_kernelINS0_14default_configENS1_25partition_config_selectorILNS1_17partition_subalgoE1EtNS0_10empty_typeEbEEZZNS1_14partition_implILS5_1ELb0ES3_jN6thrust23THRUST_200600_302600_NS6detail15normal_iteratorINSA_10device_ptrItEEEEPS6_NSA_18transform_iteratorI7is_evenItESF_NSA_11use_defaultESK_EENS0_5tupleIJNSA_16discard_iteratorISK_EESF_EEENSM_IJSG_SG_EEES6_PlJS6_EEE10hipError_tPvRmT3_T4_T5_T6_T7_T9_mT8_P12ihipStream_tbDpT10_ENKUlT_T0_E_clISt17integral_constantIbLb0EES1A_IbLb1EEEEDaS16_S17_EUlS16_E_NS1_11comp_targetILNS1_3genE0ELNS1_11target_archE4294967295ELNS1_3gpuE0ELNS1_3repE0EEENS1_30default_config_static_selectorELNS0_4arch9wavefront6targetE1EEEvT1_,comdat
	.protected	_ZN7rocprim17ROCPRIM_400000_NS6detail17trampoline_kernelINS0_14default_configENS1_25partition_config_selectorILNS1_17partition_subalgoE1EtNS0_10empty_typeEbEEZZNS1_14partition_implILS5_1ELb0ES3_jN6thrust23THRUST_200600_302600_NS6detail15normal_iteratorINSA_10device_ptrItEEEEPS6_NSA_18transform_iteratorI7is_evenItESF_NSA_11use_defaultESK_EENS0_5tupleIJNSA_16discard_iteratorISK_EESF_EEENSM_IJSG_SG_EEES6_PlJS6_EEE10hipError_tPvRmT3_T4_T5_T6_T7_T9_mT8_P12ihipStream_tbDpT10_ENKUlT_T0_E_clISt17integral_constantIbLb0EES1A_IbLb1EEEEDaS16_S17_EUlS16_E_NS1_11comp_targetILNS1_3genE0ELNS1_11target_archE4294967295ELNS1_3gpuE0ELNS1_3repE0EEENS1_30default_config_static_selectorELNS0_4arch9wavefront6targetE1EEEvT1_ ; -- Begin function _ZN7rocprim17ROCPRIM_400000_NS6detail17trampoline_kernelINS0_14default_configENS1_25partition_config_selectorILNS1_17partition_subalgoE1EtNS0_10empty_typeEbEEZZNS1_14partition_implILS5_1ELb0ES3_jN6thrust23THRUST_200600_302600_NS6detail15normal_iteratorINSA_10device_ptrItEEEEPS6_NSA_18transform_iteratorI7is_evenItESF_NSA_11use_defaultESK_EENS0_5tupleIJNSA_16discard_iteratorISK_EESF_EEENSM_IJSG_SG_EEES6_PlJS6_EEE10hipError_tPvRmT3_T4_T5_T6_T7_T9_mT8_P12ihipStream_tbDpT10_ENKUlT_T0_E_clISt17integral_constantIbLb0EES1A_IbLb1EEEEDaS16_S17_EUlS16_E_NS1_11comp_targetILNS1_3genE0ELNS1_11target_archE4294967295ELNS1_3gpuE0ELNS1_3repE0EEENS1_30default_config_static_selectorELNS0_4arch9wavefront6targetE1EEEvT1_
	.globl	_ZN7rocprim17ROCPRIM_400000_NS6detail17trampoline_kernelINS0_14default_configENS1_25partition_config_selectorILNS1_17partition_subalgoE1EtNS0_10empty_typeEbEEZZNS1_14partition_implILS5_1ELb0ES3_jN6thrust23THRUST_200600_302600_NS6detail15normal_iteratorINSA_10device_ptrItEEEEPS6_NSA_18transform_iteratorI7is_evenItESF_NSA_11use_defaultESK_EENS0_5tupleIJNSA_16discard_iteratorISK_EESF_EEENSM_IJSG_SG_EEES6_PlJS6_EEE10hipError_tPvRmT3_T4_T5_T6_T7_T9_mT8_P12ihipStream_tbDpT10_ENKUlT_T0_E_clISt17integral_constantIbLb0EES1A_IbLb1EEEEDaS16_S17_EUlS16_E_NS1_11comp_targetILNS1_3genE0ELNS1_11target_archE4294967295ELNS1_3gpuE0ELNS1_3repE0EEENS1_30default_config_static_selectorELNS0_4arch9wavefront6targetE1EEEvT1_
	.p2align	8
	.type	_ZN7rocprim17ROCPRIM_400000_NS6detail17trampoline_kernelINS0_14default_configENS1_25partition_config_selectorILNS1_17partition_subalgoE1EtNS0_10empty_typeEbEEZZNS1_14partition_implILS5_1ELb0ES3_jN6thrust23THRUST_200600_302600_NS6detail15normal_iteratorINSA_10device_ptrItEEEEPS6_NSA_18transform_iteratorI7is_evenItESF_NSA_11use_defaultESK_EENS0_5tupleIJNSA_16discard_iteratorISK_EESF_EEENSM_IJSG_SG_EEES6_PlJS6_EEE10hipError_tPvRmT3_T4_T5_T6_T7_T9_mT8_P12ihipStream_tbDpT10_ENKUlT_T0_E_clISt17integral_constantIbLb0EES1A_IbLb1EEEEDaS16_S17_EUlS16_E_NS1_11comp_targetILNS1_3genE0ELNS1_11target_archE4294967295ELNS1_3gpuE0ELNS1_3repE0EEENS1_30default_config_static_selectorELNS0_4arch9wavefront6targetE1EEEvT1_,@function
_ZN7rocprim17ROCPRIM_400000_NS6detail17trampoline_kernelINS0_14default_configENS1_25partition_config_selectorILNS1_17partition_subalgoE1EtNS0_10empty_typeEbEEZZNS1_14partition_implILS5_1ELb0ES3_jN6thrust23THRUST_200600_302600_NS6detail15normal_iteratorINSA_10device_ptrItEEEEPS6_NSA_18transform_iteratorI7is_evenItESF_NSA_11use_defaultESK_EENS0_5tupleIJNSA_16discard_iteratorISK_EESF_EEENSM_IJSG_SG_EEES6_PlJS6_EEE10hipError_tPvRmT3_T4_T5_T6_T7_T9_mT8_P12ihipStream_tbDpT10_ENKUlT_T0_E_clISt17integral_constantIbLb0EES1A_IbLb1EEEEDaS16_S17_EUlS16_E_NS1_11comp_targetILNS1_3genE0ELNS1_11target_archE4294967295ELNS1_3gpuE0ELNS1_3repE0EEENS1_30default_config_static_selectorELNS0_4arch9wavefront6targetE1EEEvT1_: ; @_ZN7rocprim17ROCPRIM_400000_NS6detail17trampoline_kernelINS0_14default_configENS1_25partition_config_selectorILNS1_17partition_subalgoE1EtNS0_10empty_typeEbEEZZNS1_14partition_implILS5_1ELb0ES3_jN6thrust23THRUST_200600_302600_NS6detail15normal_iteratorINSA_10device_ptrItEEEEPS6_NSA_18transform_iteratorI7is_evenItESF_NSA_11use_defaultESK_EENS0_5tupleIJNSA_16discard_iteratorISK_EESF_EEENSM_IJSG_SG_EEES6_PlJS6_EEE10hipError_tPvRmT3_T4_T5_T6_T7_T9_mT8_P12ihipStream_tbDpT10_ENKUlT_T0_E_clISt17integral_constantIbLb0EES1A_IbLb1EEEEDaS16_S17_EUlS16_E_NS1_11comp_targetILNS1_3genE0ELNS1_11target_archE4294967295ELNS1_3gpuE0ELNS1_3repE0EEENS1_30default_config_static_selectorELNS0_4arch9wavefront6targetE1EEEvT1_
; %bb.0:
	.section	.rodata,"a",@progbits
	.p2align	6, 0x0
	.amdhsa_kernel _ZN7rocprim17ROCPRIM_400000_NS6detail17trampoline_kernelINS0_14default_configENS1_25partition_config_selectorILNS1_17partition_subalgoE1EtNS0_10empty_typeEbEEZZNS1_14partition_implILS5_1ELb0ES3_jN6thrust23THRUST_200600_302600_NS6detail15normal_iteratorINSA_10device_ptrItEEEEPS6_NSA_18transform_iteratorI7is_evenItESF_NSA_11use_defaultESK_EENS0_5tupleIJNSA_16discard_iteratorISK_EESF_EEENSM_IJSG_SG_EEES6_PlJS6_EEE10hipError_tPvRmT3_T4_T5_T6_T7_T9_mT8_P12ihipStream_tbDpT10_ENKUlT_T0_E_clISt17integral_constantIbLb0EES1A_IbLb1EEEEDaS16_S17_EUlS16_E_NS1_11comp_targetILNS1_3genE0ELNS1_11target_archE4294967295ELNS1_3gpuE0ELNS1_3repE0EEENS1_30default_config_static_selectorELNS0_4arch9wavefront6targetE1EEEvT1_
		.amdhsa_group_segment_fixed_size 0
		.amdhsa_private_segment_fixed_size 0
		.amdhsa_kernarg_size 152
		.amdhsa_user_sgpr_count 2
		.amdhsa_user_sgpr_dispatch_ptr 0
		.amdhsa_user_sgpr_queue_ptr 0
		.amdhsa_user_sgpr_kernarg_segment_ptr 1
		.amdhsa_user_sgpr_dispatch_id 0
		.amdhsa_user_sgpr_kernarg_preload_length 0
		.amdhsa_user_sgpr_kernarg_preload_offset 0
		.amdhsa_user_sgpr_private_segment_size 0
		.amdhsa_uses_dynamic_stack 0
		.amdhsa_enable_private_segment 0
		.amdhsa_system_sgpr_workgroup_id_x 1
		.amdhsa_system_sgpr_workgroup_id_y 0
		.amdhsa_system_sgpr_workgroup_id_z 0
		.amdhsa_system_sgpr_workgroup_info 0
		.amdhsa_system_vgpr_workitem_id 0
		.amdhsa_next_free_vgpr 1
		.amdhsa_next_free_sgpr 0
		.amdhsa_accum_offset 4
		.amdhsa_reserve_vcc 0
		.amdhsa_float_round_mode_32 0
		.amdhsa_float_round_mode_16_64 0
		.amdhsa_float_denorm_mode_32 3
		.amdhsa_float_denorm_mode_16_64 3
		.amdhsa_dx10_clamp 1
		.amdhsa_ieee_mode 1
		.amdhsa_fp16_overflow 0
		.amdhsa_tg_split 0
		.amdhsa_exception_fp_ieee_invalid_op 0
		.amdhsa_exception_fp_denorm_src 0
		.amdhsa_exception_fp_ieee_div_zero 0
		.amdhsa_exception_fp_ieee_overflow 0
		.amdhsa_exception_fp_ieee_underflow 0
		.amdhsa_exception_fp_ieee_inexact 0
		.amdhsa_exception_int_div_zero 0
	.end_amdhsa_kernel
	.section	.text._ZN7rocprim17ROCPRIM_400000_NS6detail17trampoline_kernelINS0_14default_configENS1_25partition_config_selectorILNS1_17partition_subalgoE1EtNS0_10empty_typeEbEEZZNS1_14partition_implILS5_1ELb0ES3_jN6thrust23THRUST_200600_302600_NS6detail15normal_iteratorINSA_10device_ptrItEEEEPS6_NSA_18transform_iteratorI7is_evenItESF_NSA_11use_defaultESK_EENS0_5tupleIJNSA_16discard_iteratorISK_EESF_EEENSM_IJSG_SG_EEES6_PlJS6_EEE10hipError_tPvRmT3_T4_T5_T6_T7_T9_mT8_P12ihipStream_tbDpT10_ENKUlT_T0_E_clISt17integral_constantIbLb0EES1A_IbLb1EEEEDaS16_S17_EUlS16_E_NS1_11comp_targetILNS1_3genE0ELNS1_11target_archE4294967295ELNS1_3gpuE0ELNS1_3repE0EEENS1_30default_config_static_selectorELNS0_4arch9wavefront6targetE1EEEvT1_,"axG",@progbits,_ZN7rocprim17ROCPRIM_400000_NS6detail17trampoline_kernelINS0_14default_configENS1_25partition_config_selectorILNS1_17partition_subalgoE1EtNS0_10empty_typeEbEEZZNS1_14partition_implILS5_1ELb0ES3_jN6thrust23THRUST_200600_302600_NS6detail15normal_iteratorINSA_10device_ptrItEEEEPS6_NSA_18transform_iteratorI7is_evenItESF_NSA_11use_defaultESK_EENS0_5tupleIJNSA_16discard_iteratorISK_EESF_EEENSM_IJSG_SG_EEES6_PlJS6_EEE10hipError_tPvRmT3_T4_T5_T6_T7_T9_mT8_P12ihipStream_tbDpT10_ENKUlT_T0_E_clISt17integral_constantIbLb0EES1A_IbLb1EEEEDaS16_S17_EUlS16_E_NS1_11comp_targetILNS1_3genE0ELNS1_11target_archE4294967295ELNS1_3gpuE0ELNS1_3repE0EEENS1_30default_config_static_selectorELNS0_4arch9wavefront6targetE1EEEvT1_,comdat
.Lfunc_end3155:
	.size	_ZN7rocprim17ROCPRIM_400000_NS6detail17trampoline_kernelINS0_14default_configENS1_25partition_config_selectorILNS1_17partition_subalgoE1EtNS0_10empty_typeEbEEZZNS1_14partition_implILS5_1ELb0ES3_jN6thrust23THRUST_200600_302600_NS6detail15normal_iteratorINSA_10device_ptrItEEEEPS6_NSA_18transform_iteratorI7is_evenItESF_NSA_11use_defaultESK_EENS0_5tupleIJNSA_16discard_iteratorISK_EESF_EEENSM_IJSG_SG_EEES6_PlJS6_EEE10hipError_tPvRmT3_T4_T5_T6_T7_T9_mT8_P12ihipStream_tbDpT10_ENKUlT_T0_E_clISt17integral_constantIbLb0EES1A_IbLb1EEEEDaS16_S17_EUlS16_E_NS1_11comp_targetILNS1_3genE0ELNS1_11target_archE4294967295ELNS1_3gpuE0ELNS1_3repE0EEENS1_30default_config_static_selectorELNS0_4arch9wavefront6targetE1EEEvT1_, .Lfunc_end3155-_ZN7rocprim17ROCPRIM_400000_NS6detail17trampoline_kernelINS0_14default_configENS1_25partition_config_selectorILNS1_17partition_subalgoE1EtNS0_10empty_typeEbEEZZNS1_14partition_implILS5_1ELb0ES3_jN6thrust23THRUST_200600_302600_NS6detail15normal_iteratorINSA_10device_ptrItEEEEPS6_NSA_18transform_iteratorI7is_evenItESF_NSA_11use_defaultESK_EENS0_5tupleIJNSA_16discard_iteratorISK_EESF_EEENSM_IJSG_SG_EEES6_PlJS6_EEE10hipError_tPvRmT3_T4_T5_T6_T7_T9_mT8_P12ihipStream_tbDpT10_ENKUlT_T0_E_clISt17integral_constantIbLb0EES1A_IbLb1EEEEDaS16_S17_EUlS16_E_NS1_11comp_targetILNS1_3genE0ELNS1_11target_archE4294967295ELNS1_3gpuE0ELNS1_3repE0EEENS1_30default_config_static_selectorELNS0_4arch9wavefront6targetE1EEEvT1_
                                        ; -- End function
	.section	.AMDGPU.csdata,"",@progbits
; Kernel info:
; codeLenInByte = 0
; NumSgprs: 6
; NumVgprs: 0
; NumAgprs: 0
; TotalNumVgprs: 0
; ScratchSize: 0
; MemoryBound: 0
; FloatMode: 240
; IeeeMode: 1
; LDSByteSize: 0 bytes/workgroup (compile time only)
; SGPRBlocks: 0
; VGPRBlocks: 0
; NumSGPRsForWavesPerEU: 6
; NumVGPRsForWavesPerEU: 1
; AccumOffset: 4
; Occupancy: 8
; WaveLimiterHint : 0
; COMPUTE_PGM_RSRC2:SCRATCH_EN: 0
; COMPUTE_PGM_RSRC2:USER_SGPR: 2
; COMPUTE_PGM_RSRC2:TRAP_HANDLER: 0
; COMPUTE_PGM_RSRC2:TGID_X_EN: 1
; COMPUTE_PGM_RSRC2:TGID_Y_EN: 0
; COMPUTE_PGM_RSRC2:TGID_Z_EN: 0
; COMPUTE_PGM_RSRC2:TIDIG_COMP_CNT: 0
; COMPUTE_PGM_RSRC3_GFX90A:ACCUM_OFFSET: 0
; COMPUTE_PGM_RSRC3_GFX90A:TG_SPLIT: 0
	.section	.text._ZN7rocprim17ROCPRIM_400000_NS6detail17trampoline_kernelINS0_14default_configENS1_25partition_config_selectorILNS1_17partition_subalgoE1EtNS0_10empty_typeEbEEZZNS1_14partition_implILS5_1ELb0ES3_jN6thrust23THRUST_200600_302600_NS6detail15normal_iteratorINSA_10device_ptrItEEEEPS6_NSA_18transform_iteratorI7is_evenItESF_NSA_11use_defaultESK_EENS0_5tupleIJNSA_16discard_iteratorISK_EESF_EEENSM_IJSG_SG_EEES6_PlJS6_EEE10hipError_tPvRmT3_T4_T5_T6_T7_T9_mT8_P12ihipStream_tbDpT10_ENKUlT_T0_E_clISt17integral_constantIbLb0EES1A_IbLb1EEEEDaS16_S17_EUlS16_E_NS1_11comp_targetILNS1_3genE5ELNS1_11target_archE942ELNS1_3gpuE9ELNS1_3repE0EEENS1_30default_config_static_selectorELNS0_4arch9wavefront6targetE1EEEvT1_,"axG",@progbits,_ZN7rocprim17ROCPRIM_400000_NS6detail17trampoline_kernelINS0_14default_configENS1_25partition_config_selectorILNS1_17partition_subalgoE1EtNS0_10empty_typeEbEEZZNS1_14partition_implILS5_1ELb0ES3_jN6thrust23THRUST_200600_302600_NS6detail15normal_iteratorINSA_10device_ptrItEEEEPS6_NSA_18transform_iteratorI7is_evenItESF_NSA_11use_defaultESK_EENS0_5tupleIJNSA_16discard_iteratorISK_EESF_EEENSM_IJSG_SG_EEES6_PlJS6_EEE10hipError_tPvRmT3_T4_T5_T6_T7_T9_mT8_P12ihipStream_tbDpT10_ENKUlT_T0_E_clISt17integral_constantIbLb0EES1A_IbLb1EEEEDaS16_S17_EUlS16_E_NS1_11comp_targetILNS1_3genE5ELNS1_11target_archE942ELNS1_3gpuE9ELNS1_3repE0EEENS1_30default_config_static_selectorELNS0_4arch9wavefront6targetE1EEEvT1_,comdat
	.protected	_ZN7rocprim17ROCPRIM_400000_NS6detail17trampoline_kernelINS0_14default_configENS1_25partition_config_selectorILNS1_17partition_subalgoE1EtNS0_10empty_typeEbEEZZNS1_14partition_implILS5_1ELb0ES3_jN6thrust23THRUST_200600_302600_NS6detail15normal_iteratorINSA_10device_ptrItEEEEPS6_NSA_18transform_iteratorI7is_evenItESF_NSA_11use_defaultESK_EENS0_5tupleIJNSA_16discard_iteratorISK_EESF_EEENSM_IJSG_SG_EEES6_PlJS6_EEE10hipError_tPvRmT3_T4_T5_T6_T7_T9_mT8_P12ihipStream_tbDpT10_ENKUlT_T0_E_clISt17integral_constantIbLb0EES1A_IbLb1EEEEDaS16_S17_EUlS16_E_NS1_11comp_targetILNS1_3genE5ELNS1_11target_archE942ELNS1_3gpuE9ELNS1_3repE0EEENS1_30default_config_static_selectorELNS0_4arch9wavefront6targetE1EEEvT1_ ; -- Begin function _ZN7rocprim17ROCPRIM_400000_NS6detail17trampoline_kernelINS0_14default_configENS1_25partition_config_selectorILNS1_17partition_subalgoE1EtNS0_10empty_typeEbEEZZNS1_14partition_implILS5_1ELb0ES3_jN6thrust23THRUST_200600_302600_NS6detail15normal_iteratorINSA_10device_ptrItEEEEPS6_NSA_18transform_iteratorI7is_evenItESF_NSA_11use_defaultESK_EENS0_5tupleIJNSA_16discard_iteratorISK_EESF_EEENSM_IJSG_SG_EEES6_PlJS6_EEE10hipError_tPvRmT3_T4_T5_T6_T7_T9_mT8_P12ihipStream_tbDpT10_ENKUlT_T0_E_clISt17integral_constantIbLb0EES1A_IbLb1EEEEDaS16_S17_EUlS16_E_NS1_11comp_targetILNS1_3genE5ELNS1_11target_archE942ELNS1_3gpuE9ELNS1_3repE0EEENS1_30default_config_static_selectorELNS0_4arch9wavefront6targetE1EEEvT1_
	.globl	_ZN7rocprim17ROCPRIM_400000_NS6detail17trampoline_kernelINS0_14default_configENS1_25partition_config_selectorILNS1_17partition_subalgoE1EtNS0_10empty_typeEbEEZZNS1_14partition_implILS5_1ELb0ES3_jN6thrust23THRUST_200600_302600_NS6detail15normal_iteratorINSA_10device_ptrItEEEEPS6_NSA_18transform_iteratorI7is_evenItESF_NSA_11use_defaultESK_EENS0_5tupleIJNSA_16discard_iteratorISK_EESF_EEENSM_IJSG_SG_EEES6_PlJS6_EEE10hipError_tPvRmT3_T4_T5_T6_T7_T9_mT8_P12ihipStream_tbDpT10_ENKUlT_T0_E_clISt17integral_constantIbLb0EES1A_IbLb1EEEEDaS16_S17_EUlS16_E_NS1_11comp_targetILNS1_3genE5ELNS1_11target_archE942ELNS1_3gpuE9ELNS1_3repE0EEENS1_30default_config_static_selectorELNS0_4arch9wavefront6targetE1EEEvT1_
	.p2align	8
	.type	_ZN7rocprim17ROCPRIM_400000_NS6detail17trampoline_kernelINS0_14default_configENS1_25partition_config_selectorILNS1_17partition_subalgoE1EtNS0_10empty_typeEbEEZZNS1_14partition_implILS5_1ELb0ES3_jN6thrust23THRUST_200600_302600_NS6detail15normal_iteratorINSA_10device_ptrItEEEEPS6_NSA_18transform_iteratorI7is_evenItESF_NSA_11use_defaultESK_EENS0_5tupleIJNSA_16discard_iteratorISK_EESF_EEENSM_IJSG_SG_EEES6_PlJS6_EEE10hipError_tPvRmT3_T4_T5_T6_T7_T9_mT8_P12ihipStream_tbDpT10_ENKUlT_T0_E_clISt17integral_constantIbLb0EES1A_IbLb1EEEEDaS16_S17_EUlS16_E_NS1_11comp_targetILNS1_3genE5ELNS1_11target_archE942ELNS1_3gpuE9ELNS1_3repE0EEENS1_30default_config_static_selectorELNS0_4arch9wavefront6targetE1EEEvT1_,@function
_ZN7rocprim17ROCPRIM_400000_NS6detail17trampoline_kernelINS0_14default_configENS1_25partition_config_selectorILNS1_17partition_subalgoE1EtNS0_10empty_typeEbEEZZNS1_14partition_implILS5_1ELb0ES3_jN6thrust23THRUST_200600_302600_NS6detail15normal_iteratorINSA_10device_ptrItEEEEPS6_NSA_18transform_iteratorI7is_evenItESF_NSA_11use_defaultESK_EENS0_5tupleIJNSA_16discard_iteratorISK_EESF_EEENSM_IJSG_SG_EEES6_PlJS6_EEE10hipError_tPvRmT3_T4_T5_T6_T7_T9_mT8_P12ihipStream_tbDpT10_ENKUlT_T0_E_clISt17integral_constantIbLb0EES1A_IbLb1EEEEDaS16_S17_EUlS16_E_NS1_11comp_targetILNS1_3genE5ELNS1_11target_archE942ELNS1_3gpuE9ELNS1_3repE0EEENS1_30default_config_static_selectorELNS0_4arch9wavefront6targetE1EEEvT1_: ; @_ZN7rocprim17ROCPRIM_400000_NS6detail17trampoline_kernelINS0_14default_configENS1_25partition_config_selectorILNS1_17partition_subalgoE1EtNS0_10empty_typeEbEEZZNS1_14partition_implILS5_1ELb0ES3_jN6thrust23THRUST_200600_302600_NS6detail15normal_iteratorINSA_10device_ptrItEEEEPS6_NSA_18transform_iteratorI7is_evenItESF_NSA_11use_defaultESK_EENS0_5tupleIJNSA_16discard_iteratorISK_EESF_EEENSM_IJSG_SG_EEES6_PlJS6_EEE10hipError_tPvRmT3_T4_T5_T6_T7_T9_mT8_P12ihipStream_tbDpT10_ENKUlT_T0_E_clISt17integral_constantIbLb0EES1A_IbLb1EEEEDaS16_S17_EUlS16_E_NS1_11comp_targetILNS1_3genE5ELNS1_11target_archE942ELNS1_3gpuE9ELNS1_3repE0EEENS1_30default_config_static_selectorELNS0_4arch9wavefront6targetE1EEEvT1_
; %bb.0:
	s_load_dwordx2 s[2:3], s[0:1], 0x20
	s_load_dwordx4 s[20:23], s[0:1], 0x58
	s_load_dwordx2 s[6:7], s[0:1], 0x68
	s_load_dwordx2 s[30:31], s[0:1], 0x78
	v_cmp_eq_u32_e64 s[18:19], 0, v0
	s_and_saveexec_b64 s[4:5], s[18:19]
	s_cbranch_execz .LBB3156_4
; %bb.1:
	s_mov_b64 s[10:11], exec
	v_mbcnt_lo_u32_b32 v1, s10, 0
	v_mbcnt_hi_u32_b32 v1, s11, v1
	v_cmp_eq_u32_e32 vcc, 0, v1
                                        ; implicit-def: $vgpr2
	s_and_saveexec_b64 s[8:9], vcc
	s_cbranch_execz .LBB3156_3
; %bb.2:
	s_load_dwordx2 s[12:13], s[0:1], 0x88
	s_bcnt1_i32_b64 s10, s[10:11]
	v_mov_b32_e32 v2, 0
	v_mov_b32_e32 v3, s10
	s_waitcnt lgkmcnt(0)
	global_atomic_add v2, v2, v3, s[12:13] sc0
.LBB3156_3:
	s_or_b64 exec, exec, s[8:9]
	s_waitcnt vmcnt(0)
	v_readfirstlane_b32 s8, v2
	v_mov_b32_e32 v2, 0
	s_nop 0
	v_add_u32_e32 v1, s8, v1
	ds_write_b32 v2, v1
.LBB3156_4:
	s_or_b64 exec, exec, s[4:5]
	v_mov_b32_e32 v15, 0
	s_load_dwordx4 s[24:27], s[0:1], 0x8
	s_load_dwordx2 s[28:29], s[0:1], 0x40
	s_load_dword s8, s[0:1], 0x80
	s_waitcnt lgkmcnt(0)
	s_barrier
	ds_read_b32 v1, v15
	s_waitcnt lgkmcnt(0)
	s_barrier
	global_load_dwordx2 v[16:17], v15, s[22:23]
	v_mov_b32_e32 v3, s7
	s_lshl_b64 s[4:5], s[26:27], 1
	s_movk_i32 s7, 0x3800
	s_add_u32 s0, s24, s4
	v_mul_lo_u32 v14, v1, s7
	s_mul_i32 s7, s8, 0x3800
	s_addc_u32 s1, s25, s5
	s_add_i32 s9, s8, -1
	s_add_i32 s8, s7, s26
	s_sub_i32 s33, s6, s8
	s_addk_i32 s33, 0x3800
	v_mov_b32_e32 v2, s6
	s_add_u32 s6, s26, s7
	v_readfirstlane_b32 s38, v1
	s_addc_u32 s7, s27, 0
	s_cmp_eq_u32 s38, s9
	s_cselect_b64 s[22:23], -1, 0
	s_cmp_lg_u32 s38, s9
	v_cmp_lt_u64_e32 vcc, s[6:7], v[2:3]
	s_cselect_b64 s[6:7], -1, 0
	s_or_b64 s[24:25], vcc, s[6:7]
	v_lshlrev_b64 v[18:19], 1, v[14:15]
	v_lshl_add_u64 v[2:3], s[0:1], 0, v[18:19]
	s_mov_b64 s[0:1], -1
	s_and_b64 vcc, exec, s[24:25]
	v_lshlrev_b32_e32 v14, 1, v0
	s_cbranch_vccz .LBB3156_6
; %bb.5:
	v_lshl_add_u64 v[4:5], v[2:3], 0, v[14:15]
	v_add_co_u32_e32 v6, vcc, 0x1000, v4
	s_mov_b64 s[0:1], 0
	s_nop 0
	v_addc_co_u32_e32 v7, vcc, 0, v5, vcc
	flat_load_ushort v1, v[4:5]
	flat_load_ushort v10, v[4:5] offset:1024
	flat_load_ushort v11, v[4:5] offset:2048
	;; [unrolled: 1-line block ×3, first 2 shown]
	flat_load_ushort v13, v[6:7]
	flat_load_ushort v15, v[6:7] offset:1024
	flat_load_ushort v20, v[6:7] offset:2048
	;; [unrolled: 1-line block ×3, first 2 shown]
	v_add_co_u32_e32 v6, vcc, 0x2000, v4
	s_nop 1
	v_addc_co_u32_e32 v7, vcc, 0, v5, vcc
	v_add_co_u32_e32 v8, vcc, 0x3000, v4
	s_nop 1
	v_addc_co_u32_e32 v9, vcc, 0, v5, vcc
	flat_load_ushort v22, v[6:7]
	flat_load_ushort v23, v[6:7] offset:1024
	flat_load_ushort v24, v[6:7] offset:2048
	;; [unrolled: 1-line block ×3, first 2 shown]
	flat_load_ushort v26, v[8:9]
	flat_load_ushort v27, v[8:9] offset:1024
	flat_load_ushort v28, v[8:9] offset:2048
	;; [unrolled: 1-line block ×3, first 2 shown]
	v_add_co_u32_e32 v6, vcc, 0x4000, v4
	s_nop 1
	v_addc_co_u32_e32 v7, vcc, 0, v5, vcc
	v_add_co_u32_e32 v8, vcc, 0x5000, v4
	s_nop 1
	v_addc_co_u32_e32 v9, vcc, 0, v5, vcc
	v_add_co_u32_e32 v4, vcc, 0x6000, v4
	flat_load_ushort v30, v[6:7]
	flat_load_ushort v31, v[6:7] offset:1024
	flat_load_ushort v32, v[6:7] offset:2048
	;; [unrolled: 1-line block ×3, first 2 shown]
	flat_load_ushort v34, v[8:9]
	flat_load_ushort v35, v[8:9] offset:1024
	flat_load_ushort v36, v[8:9] offset:2048
	;; [unrolled: 1-line block ×3, first 2 shown]
	v_addc_co_u32_e32 v5, vcc, 0, v5, vcc
	flat_load_ushort v6, v[4:5]
	flat_load_ushort v7, v[4:5] offset:1024
	flat_load_ushort v8, v[4:5] offset:2048
	;; [unrolled: 1-line block ×3, first 2 shown]
	s_waitcnt vmcnt(0) lgkmcnt(0)
	ds_write_b16 v14, v1
	ds_write_b16 v14, v10 offset:1024
	ds_write_b16 v14, v11 offset:2048
	;; [unrolled: 1-line block ×27, first 2 shown]
	s_waitcnt lgkmcnt(0)
	s_barrier
.LBB3156_6:
	s_andn2_b64 vcc, exec, s[0:1]
	v_cmp_gt_u32_e64 s[0:1], s33, v0
	s_cbranch_vccnz .LBB3156_64
; %bb.7:
                                        ; implicit-def: $vgpr1
	s_and_saveexec_b64 s[6:7], s[0:1]
	s_cbranch_execz .LBB3156_9
; %bb.8:
	v_mov_b32_e32 v15, 0
	v_lshl_add_u64 v[4:5], v[2:3], 0, v[14:15]
	flat_load_ushort v1, v[4:5]
.LBB3156_9:
	s_or_b64 exec, exec, s[6:7]
	v_or_b32_e32 v4, 0x200, v0
	v_cmp_gt_u32_e32 vcc, s33, v4
                                        ; implicit-def: $vgpr4
	s_and_saveexec_b64 s[0:1], vcc
	s_cbranch_execz .LBB3156_11
; %bb.10:
	v_mov_b32_e32 v15, 0
	v_lshl_add_u64 v[4:5], v[2:3], 0, v[14:15]
	flat_load_ushort v4, v[4:5] offset:1024
.LBB3156_11:
	s_or_b64 exec, exec, s[0:1]
	v_or_b32_e32 v5, 0x400, v0
	v_cmp_gt_u32_e32 vcc, s33, v5
                                        ; implicit-def: $vgpr5
	s_and_saveexec_b64 s[0:1], vcc
	s_cbranch_execz .LBB3156_13
; %bb.12:
	v_mov_b32_e32 v15, 0
	v_lshl_add_u64 v[6:7], v[2:3], 0, v[14:15]
	flat_load_ushort v5, v[6:7] offset:2048
.LBB3156_13:
	s_or_b64 exec, exec, s[0:1]
	v_or_b32_e32 v6, 0x600, v0
	v_cmp_gt_u32_e32 vcc, s33, v6
                                        ; implicit-def: $vgpr6
	s_and_saveexec_b64 s[0:1], vcc
	s_cbranch_execz .LBB3156_15
; %bb.14:
	v_mov_b32_e32 v15, 0
	v_lshl_add_u64 v[6:7], v[2:3], 0, v[14:15]
	flat_load_ushort v6, v[6:7] offset:3072
.LBB3156_15:
	s_or_b64 exec, exec, s[0:1]
	v_or_b32_e32 v8, 0x800, v0
	v_cmp_gt_u32_e32 vcc, s33, v8
                                        ; implicit-def: $vgpr7
	s_and_saveexec_b64 s[0:1], vcc
	s_cbranch_execz .LBB3156_17
; %bb.16:
	v_lshlrev_b32_e32 v8, 1, v8
	v_mov_b32_e32 v9, 0
	v_lshl_add_u64 v[8:9], v[2:3], 0, v[8:9]
	flat_load_ushort v7, v[8:9]
.LBB3156_17:
	s_or_b64 exec, exec, s[0:1]
	v_or_b32_e32 v9, 0xa00, v0
	v_cmp_gt_u32_e32 vcc, s33, v9
                                        ; implicit-def: $vgpr8
	s_and_saveexec_b64 s[0:1], vcc
	s_cbranch_execz .LBB3156_19
; %bb.18:
	v_lshlrev_b32_e32 v8, 1, v9
	v_mov_b32_e32 v9, 0
	v_lshl_add_u64 v[8:9], v[2:3], 0, v[8:9]
	flat_load_ushort v8, v[8:9]
.LBB3156_19:
	s_or_b64 exec, exec, s[0:1]
	v_or_b32_e32 v10, 0xc00, v0
	v_cmp_gt_u32_e32 vcc, s33, v10
                                        ; implicit-def: $vgpr9
	s_and_saveexec_b64 s[0:1], vcc
	s_cbranch_execz .LBB3156_21
; %bb.20:
	v_lshlrev_b32_e32 v10, 1, v10
	v_mov_b32_e32 v11, 0
	v_lshl_add_u64 v[10:11], v[2:3], 0, v[10:11]
	flat_load_ushort v9, v[10:11]
.LBB3156_21:
	s_or_b64 exec, exec, s[0:1]
	v_or_b32_e32 v11, 0xe00, v0
	v_cmp_gt_u32_e32 vcc, s33, v11
                                        ; implicit-def: $vgpr10
	s_and_saveexec_b64 s[0:1], vcc
	s_cbranch_execz .LBB3156_23
; %bb.22:
	v_lshlrev_b32_e32 v10, 1, v11
	v_mov_b32_e32 v11, 0
	v_lshl_add_u64 v[10:11], v[2:3], 0, v[10:11]
	flat_load_ushort v10, v[10:11]
.LBB3156_23:
	s_or_b64 exec, exec, s[0:1]
	v_or_b32_e32 v12, 0x1000, v0
	v_cmp_gt_u32_e32 vcc, s33, v12
                                        ; implicit-def: $vgpr11
	s_and_saveexec_b64 s[0:1], vcc
	s_cbranch_execz .LBB3156_25
; %bb.24:
	v_lshlrev_b32_e32 v12, 1, v12
	v_mov_b32_e32 v13, 0
	v_lshl_add_u64 v[12:13], v[2:3], 0, v[12:13]
	flat_load_ushort v11, v[12:13]
.LBB3156_25:
	s_or_b64 exec, exec, s[0:1]
	v_or_b32_e32 v13, 0x1200, v0
	v_cmp_gt_u32_e32 vcc, s33, v13
                                        ; implicit-def: $vgpr12
	s_and_saveexec_b64 s[0:1], vcc
	s_cbranch_execz .LBB3156_27
; %bb.26:
	v_lshlrev_b32_e32 v12, 1, v13
	v_mov_b32_e32 v13, 0
	v_lshl_add_u64 v[12:13], v[2:3], 0, v[12:13]
	flat_load_ushort v12, v[12:13]
.LBB3156_27:
	s_or_b64 exec, exec, s[0:1]
	v_or_b32_e32 v15, 0x1400, v0
	v_cmp_gt_u32_e32 vcc, s33, v15
                                        ; implicit-def: $vgpr13
	s_and_saveexec_b64 s[0:1], vcc
	s_cbranch_execz .LBB3156_29
; %bb.28:
	v_lshlrev_b32_e32 v20, 1, v15
	v_mov_b32_e32 v21, 0
	v_lshl_add_u64 v[20:21], v[2:3], 0, v[20:21]
	flat_load_ushort v13, v[20:21]
.LBB3156_29:
	s_or_b64 exec, exec, s[0:1]
	v_or_b32_e32 v20, 0x1600, v0
	v_cmp_gt_u32_e32 vcc, s33, v20
                                        ; implicit-def: $vgpr15
	s_and_saveexec_b64 s[0:1], vcc
	s_cbranch_execz .LBB3156_31
; %bb.30:
	v_lshlrev_b32_e32 v20, 1, v20
	v_mov_b32_e32 v21, 0
	v_lshl_add_u64 v[20:21], v[2:3], 0, v[20:21]
	flat_load_ushort v15, v[20:21]
.LBB3156_31:
	s_or_b64 exec, exec, s[0:1]
	v_or_b32_e32 v21, 0x1800, v0
	v_cmp_gt_u32_e32 vcc, s33, v21
                                        ; implicit-def: $vgpr20
	s_and_saveexec_b64 s[0:1], vcc
	s_cbranch_execz .LBB3156_33
; %bb.32:
	v_lshlrev_b32_e32 v20, 1, v21
	v_mov_b32_e32 v21, 0
	v_lshl_add_u64 v[20:21], v[2:3], 0, v[20:21]
	flat_load_ushort v20, v[20:21]
.LBB3156_33:
	s_or_b64 exec, exec, s[0:1]
	v_or_b32_e32 v22, 0x1a00, v0
	v_cmp_gt_u32_e32 vcc, s33, v22
                                        ; implicit-def: $vgpr21
	s_and_saveexec_b64 s[0:1], vcc
	s_cbranch_execz .LBB3156_35
; %bb.34:
	v_lshlrev_b32_e32 v22, 1, v22
	v_mov_b32_e32 v23, 0
	v_lshl_add_u64 v[22:23], v[2:3], 0, v[22:23]
	flat_load_ushort v21, v[22:23]
.LBB3156_35:
	s_or_b64 exec, exec, s[0:1]
	v_or_b32_e32 v23, 0x1c00, v0
	v_cmp_gt_u32_e32 vcc, s33, v23
                                        ; implicit-def: $vgpr22
	s_and_saveexec_b64 s[0:1], vcc
	s_cbranch_execz .LBB3156_37
; %bb.36:
	v_lshlrev_b32_e32 v22, 1, v23
	v_mov_b32_e32 v23, 0
	v_lshl_add_u64 v[22:23], v[2:3], 0, v[22:23]
	flat_load_ushort v22, v[22:23]
.LBB3156_37:
	s_or_b64 exec, exec, s[0:1]
	v_or_b32_e32 v24, 0x1e00, v0
	v_cmp_gt_u32_e32 vcc, s33, v24
                                        ; implicit-def: $vgpr23
	s_and_saveexec_b64 s[0:1], vcc
	s_cbranch_execz .LBB3156_39
; %bb.38:
	v_lshlrev_b32_e32 v24, 1, v24
	v_mov_b32_e32 v25, 0
	v_lshl_add_u64 v[24:25], v[2:3], 0, v[24:25]
	flat_load_ushort v23, v[24:25]
.LBB3156_39:
	s_or_b64 exec, exec, s[0:1]
	v_or_b32_e32 v25, 0x2000, v0
	v_cmp_gt_u32_e32 vcc, s33, v25
                                        ; implicit-def: $vgpr24
	s_and_saveexec_b64 s[0:1], vcc
	s_cbranch_execz .LBB3156_41
; %bb.40:
	v_lshlrev_b32_e32 v24, 1, v25
	v_mov_b32_e32 v25, 0
	v_lshl_add_u64 v[24:25], v[2:3], 0, v[24:25]
	flat_load_ushort v24, v[24:25]
.LBB3156_41:
	s_or_b64 exec, exec, s[0:1]
	v_or_b32_e32 v26, 0x2200, v0
	v_cmp_gt_u32_e32 vcc, s33, v26
                                        ; implicit-def: $vgpr25
	s_and_saveexec_b64 s[0:1], vcc
	s_cbranch_execz .LBB3156_43
; %bb.42:
	v_lshlrev_b32_e32 v26, 1, v26
	v_mov_b32_e32 v27, 0
	v_lshl_add_u64 v[26:27], v[2:3], 0, v[26:27]
	flat_load_ushort v25, v[26:27]
.LBB3156_43:
	s_or_b64 exec, exec, s[0:1]
	v_or_b32_e32 v27, 0x2400, v0
	v_cmp_gt_u32_e32 vcc, s33, v27
                                        ; implicit-def: $vgpr26
	s_and_saveexec_b64 s[0:1], vcc
	s_cbranch_execz .LBB3156_45
; %bb.44:
	v_lshlrev_b32_e32 v26, 1, v27
	v_mov_b32_e32 v27, 0
	v_lshl_add_u64 v[26:27], v[2:3], 0, v[26:27]
	flat_load_ushort v26, v[26:27]
.LBB3156_45:
	s_or_b64 exec, exec, s[0:1]
	v_or_b32_e32 v28, 0x2600, v0
	v_cmp_gt_u32_e32 vcc, s33, v28
                                        ; implicit-def: $vgpr27
	s_and_saveexec_b64 s[0:1], vcc
	s_cbranch_execz .LBB3156_47
; %bb.46:
	v_lshlrev_b32_e32 v28, 1, v28
	v_mov_b32_e32 v29, 0
	v_lshl_add_u64 v[28:29], v[2:3], 0, v[28:29]
	flat_load_ushort v27, v[28:29]
.LBB3156_47:
	s_or_b64 exec, exec, s[0:1]
	v_or_b32_e32 v29, 0x2800, v0
	v_cmp_gt_u32_e32 vcc, s33, v29
                                        ; implicit-def: $vgpr28
	s_and_saveexec_b64 s[0:1], vcc
	s_cbranch_execz .LBB3156_49
; %bb.48:
	v_lshlrev_b32_e32 v28, 1, v29
	v_mov_b32_e32 v29, 0
	v_lshl_add_u64 v[28:29], v[2:3], 0, v[28:29]
	flat_load_ushort v28, v[28:29]
.LBB3156_49:
	s_or_b64 exec, exec, s[0:1]
	v_or_b32_e32 v30, 0x2a00, v0
	v_cmp_gt_u32_e32 vcc, s33, v30
                                        ; implicit-def: $vgpr29
	s_and_saveexec_b64 s[0:1], vcc
	s_cbranch_execz .LBB3156_51
; %bb.50:
	v_lshlrev_b32_e32 v30, 1, v30
	v_mov_b32_e32 v31, 0
	v_lshl_add_u64 v[30:31], v[2:3], 0, v[30:31]
	flat_load_ushort v29, v[30:31]
.LBB3156_51:
	s_or_b64 exec, exec, s[0:1]
	v_or_b32_e32 v31, 0x2c00, v0
	v_cmp_gt_u32_e32 vcc, s33, v31
                                        ; implicit-def: $vgpr30
	s_and_saveexec_b64 s[0:1], vcc
	s_cbranch_execz .LBB3156_53
; %bb.52:
	v_lshlrev_b32_e32 v30, 1, v31
	v_mov_b32_e32 v31, 0
	v_lshl_add_u64 v[30:31], v[2:3], 0, v[30:31]
	flat_load_ushort v30, v[30:31]
.LBB3156_53:
	s_or_b64 exec, exec, s[0:1]
	v_or_b32_e32 v32, 0x2e00, v0
	v_cmp_gt_u32_e32 vcc, s33, v32
                                        ; implicit-def: $vgpr31
	s_and_saveexec_b64 s[0:1], vcc
	s_cbranch_execz .LBB3156_55
; %bb.54:
	v_lshlrev_b32_e32 v32, 1, v32
	v_mov_b32_e32 v33, 0
	v_lshl_add_u64 v[32:33], v[2:3], 0, v[32:33]
	flat_load_ushort v31, v[32:33]
.LBB3156_55:
	s_or_b64 exec, exec, s[0:1]
	v_or_b32_e32 v33, 0x3000, v0
	v_cmp_gt_u32_e32 vcc, s33, v33
                                        ; implicit-def: $vgpr32
	s_and_saveexec_b64 s[0:1], vcc
	s_cbranch_execz .LBB3156_57
; %bb.56:
	v_lshlrev_b32_e32 v32, 1, v33
	v_mov_b32_e32 v33, 0
	v_lshl_add_u64 v[32:33], v[2:3], 0, v[32:33]
	flat_load_ushort v32, v[32:33]
.LBB3156_57:
	s_or_b64 exec, exec, s[0:1]
	v_or_b32_e32 v34, 0x3200, v0
	v_cmp_gt_u32_e32 vcc, s33, v34
                                        ; implicit-def: $vgpr33
	s_and_saveexec_b64 s[0:1], vcc
	s_cbranch_execz .LBB3156_59
; %bb.58:
	v_lshlrev_b32_e32 v34, 1, v34
	v_mov_b32_e32 v35, 0
	v_lshl_add_u64 v[34:35], v[2:3], 0, v[34:35]
	flat_load_ushort v33, v[34:35]
.LBB3156_59:
	s_or_b64 exec, exec, s[0:1]
	v_or_b32_e32 v35, 0x3400, v0
	v_cmp_gt_u32_e32 vcc, s33, v35
                                        ; implicit-def: $vgpr34
	s_and_saveexec_b64 s[0:1], vcc
	s_cbranch_execz .LBB3156_61
; %bb.60:
	v_lshlrev_b32_e32 v34, 1, v35
	v_mov_b32_e32 v35, 0
	v_lshl_add_u64 v[34:35], v[2:3], 0, v[34:35]
	flat_load_ushort v34, v[34:35]
.LBB3156_61:
	s_or_b64 exec, exec, s[0:1]
	v_or_b32_e32 v36, 0x3600, v0
	v_cmp_gt_u32_e32 vcc, s33, v36
                                        ; implicit-def: $vgpr35
	s_and_saveexec_b64 s[0:1], vcc
	s_cbranch_execz .LBB3156_63
; %bb.62:
	v_lshlrev_b32_e32 v36, 1, v36
	v_mov_b32_e32 v37, 0
	v_lshl_add_u64 v[2:3], v[2:3], 0, v[36:37]
	flat_load_ushort v35, v[2:3]
.LBB3156_63:
	s_or_b64 exec, exec, s[0:1]
	s_waitcnt vmcnt(0) lgkmcnt(0)
	ds_write_b16 v14, v1
	ds_write_b16 v14, v4 offset:1024
	ds_write_b16 v14, v5 offset:2048
	;; [unrolled: 1-line block ×27, first 2 shown]
	s_waitcnt lgkmcnt(0)
	s_barrier
.LBB3156_64:
	v_mul_u32_u24_e32 v1, 28, v0
	v_lshlrev_b32_e32 v6, 1, v1
	ds_read_b64 v[20:21], v6 offset:48
	ds_read2_b64 v[2:5], v6 offset0:4 offset1:5
	ds_read2_b64 v[10:13], v6 offset1:1
	ds_read2_b64 v[6:9], v6 offset0:2 offset1:3
	s_add_u32 s0, s2, s4
	s_addc_u32 s1, s3, s5
	v_lshl_add_u64 v[22:23], s[0:1], 0, v[18:19]
	s_mov_b64 s[0:1], -1
	s_and_b64 vcc, exec, s[24:25]
	s_waitcnt lgkmcnt(0)
	s_barrier
	s_cbranch_vccz .LBB3156_66
; %bb.65:
	v_mov_b32_e32 v15, 0
	v_readfirstlane_b32 s0, v22
	v_readfirstlane_b32 s1, v23
	v_lshl_add_u64 v[24:25], v[22:23], 0, v[14:15]
	s_nop 3
	global_load_ubyte v15, v14, s[0:1]
	global_load_ubyte v30, v14, s[0:1] offset:1024
	global_load_ubyte v31, v14, s[0:1] offset:2048
	;; [unrolled: 1-line block ×3, first 2 shown]
	s_movk_i32 s0, 0x1000
	v_add_co_u32_e32 v26, vcc, s0, v24
	s_movk_i32 s0, 0x2000
	s_nop 0
	v_addc_co_u32_e32 v27, vcc, 0, v25, vcc
	v_add_co_u32_e32 v28, vcc, s0, v24
	s_movk_i32 s0, 0x3000
	s_nop 0
	v_addc_co_u32_e32 v29, vcc, 0, v25, vcc
	global_load_ubyte v33, v[26:27], off offset:1024
	global_load_ubyte v34, v[26:27], off offset:2048
	;; [unrolled: 1-line block ×3, first 2 shown]
	global_load_ubyte v36, v[28:29], off offset:-4096
	global_load_ubyte v37, v[28:29], off
	global_load_ubyte v38, v[28:29], off offset:1024
	global_load_ubyte v39, v[28:29], off offset:2048
	;; [unrolled: 1-line block ×3, first 2 shown]
	v_add_co_u32_e32 v26, vcc, s0, v24
	s_movk_i32 s0, 0x4000
	s_nop 0
	v_addc_co_u32_e32 v27, vcc, 0, v25, vcc
	v_add_co_u32_e32 v28, vcc, s0, v24
	s_movk_i32 s1, 0x6000
	s_nop 0
	v_addc_co_u32_e32 v29, vcc, 0, v25, vcc
	global_load_ubyte v41, v[28:29], off offset:-4096
	global_load_ubyte v42, v[26:27], off offset:1024
	global_load_ubyte v43, v[26:27], off offset:2048
	;; [unrolled: 1-line block ×3, first 2 shown]
	global_load_ubyte v45, v[28:29], off
	v_add_co_u32_e32 v26, vcc, s1, v24
	s_movk_i32 s0, 0x5000
	s_nop 0
	v_addc_co_u32_e32 v27, vcc, 0, v25, vcc
	v_add_co_u32_e32 v24, vcc, s0, v24
	global_load_ubyte v46, v[28:29], off offset:1024
	global_load_ubyte v47, v[28:29], off offset:2048
	;; [unrolled: 1-line block ×3, first 2 shown]
	global_load_ubyte v49, v[26:27], off offset:-4096
	v_addc_co_u32_e32 v25, vcc, 0, v25, vcc
	global_load_ubyte v28, v[24:25], off offset:1024
	global_load_ubyte v29, v[24:25], off offset:2048
	;; [unrolled: 1-line block ×3, first 2 shown]
	global_load_ubyte v51, v[26:27], off
	global_load_ubyte v52, v[26:27], off offset:1024
	global_load_ubyte v53, v[26:27], off offset:2048
	;; [unrolled: 1-line block ×3, first 2 shown]
	s_mov_b64 s[0:1], 0
	s_waitcnt vmcnt(27)
	v_xor_b32_e32 v15, -1, v15
	s_waitcnt vmcnt(26)
	v_xor_b32_e32 v24, -1, v30
	;; [unrolled: 2-line block ×4, first 2 shown]
	v_and_b32_e32 v15, 1, v15
	v_and_b32_e32 v24, 1, v24
	;; [unrolled: 1-line block ×4, first 2 shown]
	s_waitcnt vmcnt(23)
	v_xor_b32_e32 v30, -1, v33
	s_waitcnt vmcnt(22)
	v_xor_b32_e32 v31, -1, v34
	;; [unrolled: 2-line block ×8, first 2 shown]
	v_and_b32_e32 v27, 1, v27
	v_and_b32_e32 v30, 1, v30
	;; [unrolled: 1-line block ×6, first 2 shown]
	s_waitcnt vmcnt(15)
	v_xor_b32_e32 v37, -1, v41
	s_waitcnt vmcnt(14)
	v_xor_b32_e32 v38, -1, v42
	;; [unrolled: 2-line block ×5, first 2 shown]
	v_and_b32_e32 v35, 1, v35
	v_and_b32_e32 v36, 1, v36
	;; [unrolled: 1-line block ×4, first 2 shown]
	s_waitcnt vmcnt(10)
	v_xor_b32_e32 v42, -1, v46
	s_waitcnt vmcnt(9)
	v_xor_b32_e32 v43, -1, v47
	;; [unrolled: 2-line block ×11, first 2 shown]
	v_and_b32_e32 v39, 1, v39
	v_and_b32_e32 v40, 1, v40
	;; [unrolled: 1-line block ×14, first 2 shown]
	ds_write_b8 v0, v15
	ds_write_b8 v0, v24 offset:512
	ds_write_b8 v0, v25 offset:1024
	;; [unrolled: 1-line block ×27, first 2 shown]
	s_waitcnt lgkmcnt(0)
	s_barrier
.LBB3156_66:
	s_andn2_b64 vcc, exec, s[0:1]
	s_cbranch_vccnz .LBB3156_124
; %bb.67:
	v_cmp_gt_u32_e32 vcc, s33, v0
	v_mov_b32_e32 v15, 0
	v_mov_b32_e32 v24, 0
	s_and_saveexec_b64 s[0:1], vcc
	s_cbranch_execz .LBB3156_69
; %bb.68:
	v_readfirstlane_b32 s2, v22
	v_readfirstlane_b32 s3, v23
	s_nop 4
	global_load_ubyte v24, v14, s[2:3]
	s_waitcnt vmcnt(0)
	v_xor_b32_e32 v24, -1, v24
	v_and_b32_e32 v24, 1, v24
.LBB3156_69:
	s_or_b64 exec, exec, s[0:1]
	v_or_b32_e32 v25, 0x200, v0
	v_cmp_gt_u32_e32 vcc, s33, v25
	s_and_saveexec_b64 s[0:1], vcc
	s_cbranch_execz .LBB3156_71
; %bb.70:
	v_readfirstlane_b32 s2, v22
	v_readfirstlane_b32 s3, v23
	s_nop 4
	global_load_ubyte v15, v14, s[2:3] offset:1024
	s_waitcnt vmcnt(0)
	v_xor_b32_e32 v15, -1, v15
	v_and_b32_e32 v15, 1, v15
.LBB3156_71:
	s_or_b64 exec, exec, s[0:1]
	v_or_b32_e32 v25, 0x400, v0
	v_cmp_gt_u32_e32 vcc, s33, v25
	v_mov_b32_e32 v25, 0
	v_mov_b32_e32 v26, 0
	s_and_saveexec_b64 s[0:1], vcc
	s_cbranch_execz .LBB3156_73
; %bb.72:
	v_readfirstlane_b32 s2, v22
	v_readfirstlane_b32 s3, v23
	s_nop 4
	global_load_ubyte v26, v14, s[2:3] offset:2048
	s_waitcnt vmcnt(0)
	v_xor_b32_e32 v26, -1, v26
	v_and_b32_e32 v26, 1, v26
.LBB3156_73:
	s_or_b64 exec, exec, s[0:1]
	v_or_b32_e32 v27, 0x600, v0
	v_cmp_gt_u32_e32 vcc, s33, v27
	s_and_saveexec_b64 s[0:1], vcc
	s_cbranch_execz .LBB3156_75
; %bb.74:
	v_readfirstlane_b32 s2, v22
	v_readfirstlane_b32 s3, v23
	s_nop 4
	global_load_ubyte v25, v14, s[2:3] offset:3072
	s_waitcnt vmcnt(0)
	v_xor_b32_e32 v25, -1, v25
	v_and_b32_e32 v25, 1, v25
.LBB3156_75:
	s_or_b64 exec, exec, s[0:1]
	v_or_b32_e32 v29, 0x800, v0
	v_cmp_gt_u32_e32 vcc, s33, v29
	v_mov_b32_e32 v27, 0
	v_mov_b32_e32 v28, 0
	s_and_saveexec_b64 s[0:1], vcc
	s_cbranch_execz .LBB3156_77
; %bb.76:
	v_lshlrev_b32_e32 v28, 1, v29
	v_readfirstlane_b32 s2, v22
	v_readfirstlane_b32 s3, v23
	s_nop 4
	global_load_ubyte v28, v28, s[2:3]
	s_waitcnt vmcnt(0)
	v_xor_b32_e32 v28, -1, v28
	v_and_b32_e32 v28, 1, v28
.LBB3156_77:
	s_or_b64 exec, exec, s[0:1]
	v_or_b32_e32 v29, 0xa00, v0
	v_cmp_gt_u32_e32 vcc, s33, v29
	s_and_saveexec_b64 s[0:1], vcc
	s_cbranch_execz .LBB3156_79
; %bb.78:
	v_lshlrev_b32_e32 v27, 1, v29
	v_readfirstlane_b32 s2, v22
	v_readfirstlane_b32 s3, v23
	s_nop 4
	global_load_ubyte v27, v27, s[2:3]
	s_waitcnt vmcnt(0)
	v_xor_b32_e32 v27, -1, v27
	v_and_b32_e32 v27, 1, v27
.LBB3156_79:
	s_or_b64 exec, exec, s[0:1]
	v_or_b32_e32 v31, 0xc00, v0
	v_cmp_gt_u32_e32 vcc, s33, v31
	v_mov_b32_e32 v29, 0
	v_mov_b32_e32 v30, 0
	s_and_saveexec_b64 s[0:1], vcc
	s_cbranch_execz .LBB3156_81
; %bb.80:
	v_lshlrev_b32_e32 v30, 1, v31
	v_readfirstlane_b32 s2, v22
	v_readfirstlane_b32 s3, v23
	s_nop 4
	global_load_ubyte v30, v30, s[2:3]
	s_waitcnt vmcnt(0)
	v_xor_b32_e32 v30, -1, v30
	v_and_b32_e32 v30, 1, v30
.LBB3156_81:
	s_or_b64 exec, exec, s[0:1]
	v_or_b32_e32 v31, 0xe00, v0
	v_cmp_gt_u32_e32 vcc, s33, v31
	s_and_saveexec_b64 s[0:1], vcc
	s_cbranch_execz .LBB3156_83
; %bb.82:
	v_lshlrev_b32_e32 v29, 1, v31
	v_readfirstlane_b32 s2, v22
	v_readfirstlane_b32 s3, v23
	s_nop 4
	global_load_ubyte v29, v29, s[2:3]
	s_waitcnt vmcnt(0)
	v_xor_b32_e32 v29, -1, v29
	v_and_b32_e32 v29, 1, v29
.LBB3156_83:
	;; [unrolled: 32-line block ×12, first 2 shown]
	s_or_b64 exec, exec, s[0:1]
	ds_write_b8 v0, v24
	ds_write_b8 v0, v15 offset:512
	ds_write_b8 v0, v26 offset:1024
	;; [unrolled: 1-line block ×27, first 2 shown]
	s_waitcnt lgkmcnt(0)
	s_barrier
.LBB3156_124:
	ds_read2_b32 v[28:29], v1 offset1:1
	ds_read2_b32 v[26:27], v1 offset0:2 offset1:3
	ds_read2_b32 v[24:25], v1 offset0:4 offset1:5
	ds_read_b32 v38, v1 offset:24
	s_cmp_lg_u32 s38, 0
	v_lshrrev_b32_e32 v65, 6, v0
	s_waitcnt lgkmcnt(2)
	v_and_b32_e32 v57, 0xff, v26
	v_lshrrev_b32_e32 v45, 24, v28
	v_bfe_u32 v63, v28, 16, 8
	v_add_u32_sdwa v22, v28, v28 dst_sel:DWORD dst_unused:UNUSED_PAD src0_sel:BYTE_1 src1_sel:BYTE_0
	v_and_b32_e32 v60, 0xff, v29
	v_bfe_u32 v61, v29, 8, 8
	v_add3_u32 v22, v22, v63, v45
	v_lshrrev_b32_e32 v44, 24, v29
	v_bfe_u32 v62, v29, 16, 8
	v_add3_u32 v22, v22, v60, v61
	v_bfe_u32 v58, v26, 8, 8
	v_add3_u32 v22, v22, v62, v44
	v_lshrrev_b32_e32 v43, 24, v26
	v_bfe_u32 v59, v26, 16, 8
	v_add3_u32 v22, v22, v57, v58
	v_and_b32_e32 v54, 0xff, v27
	v_bfe_u32 v55, v27, 8, 8
	v_add3_u32 v22, v22, v59, v43
	v_lshrrev_b32_e32 v42, 24, v27
	v_bfe_u32 v56, v27, 16, 8
	v_add3_u32 v22, v22, v54, v55
	s_waitcnt lgkmcnt(1)
	v_and_b32_e32 v51, 0xff, v24
	v_bfe_u32 v52, v24, 8, 8
	v_add3_u32 v22, v22, v56, v42
	v_lshrrev_b32_e32 v41, 24, v24
	v_bfe_u32 v53, v24, 16, 8
	v_add3_u32 v22, v22, v51, v52
	v_and_b32_e32 v48, 0xff, v25
	v_bfe_u32 v49, v25, 8, 8
	v_add3_u32 v22, v22, v53, v41
	v_lshrrev_b32_e32 v40, 24, v25
	v_bfe_u32 v50, v25, 16, 8
	v_add3_u32 v22, v22, v48, v49
	s_waitcnt lgkmcnt(0)
	v_and_b32_e32 v46, 0xff, v38
	v_bfe_u32 v47, v38, 8, 8
	v_add3_u32 v22, v22, v50, v40
	v_lshrrev_b32_e32 v15, 24, v38
	v_bfe_u32 v39, v38, 16, 8
	v_add3_u32 v22, v22, v46, v47
	v_add3_u32 v66, v22, v39, v15
	v_mbcnt_lo_u32_b32 v22, -1, 0
	v_mbcnt_hi_u32_b32 v64, -1, v22
	v_and_b32_e32 v22, 15, v64
	v_cmp_eq_u32_e64 s[14:15], 0, v22
	v_cmp_lt_u32_e64 s[12:13], 1, v22
	v_cmp_lt_u32_e64 s[10:11], 3, v22
	;; [unrolled: 1-line block ×3, first 2 shown]
	v_and_b32_e32 v22, 16, v64
	v_cmp_eq_u32_e64 s[6:7], 0, v22
	v_or_b32_e32 v22, 63, v0
	v_cmp_lt_u32_e64 s[2:3], 31, v64
	v_cmp_eq_u32_e64 s[4:5], v22, v0
	s_barrier
	s_cbranch_scc0 .LBB3156_151
; %bb.125:
	v_mov_b32_dpp v22, v66 row_shr:1 row_mask:0xf bank_mask:0xf
	v_cndmask_b32_e64 v22, v22, 0, s[14:15]
	v_add_u32_e32 v22, v22, v66
	s_nop 1
	v_mov_b32_dpp v23, v22 row_shr:2 row_mask:0xf bank_mask:0xf
	v_cndmask_b32_e64 v23, 0, v23, s[12:13]
	v_add_u32_e32 v22, v22, v23
	s_nop 1
	;; [unrolled: 4-line block ×4, first 2 shown]
	v_mov_b32_dpp v23, v22 row_bcast:15 row_mask:0xf bank_mask:0xf
	v_cndmask_b32_e64 v23, v23, 0, s[6:7]
	v_add_u32_e32 v22, v22, v23
	s_nop 1
	v_mov_b32_dpp v23, v22 row_bcast:31 row_mask:0xf bank_mask:0xf
	v_cndmask_b32_e64 v23, 0, v23, s[2:3]
	v_add_u32_e32 v22, v22, v23
	s_and_saveexec_b64 s[0:1], s[4:5]
	s_cbranch_execz .LBB3156_127
; %bb.126:
	v_lshlrev_b32_e32 v23, 2, v65
	ds_write_b32 v23, v22
.LBB3156_127:
	s_or_b64 exec, exec, s[0:1]
	v_cmp_gt_u32_e32 vcc, 8, v0
	s_waitcnt lgkmcnt(0)
	s_barrier
	s_and_saveexec_b64 s[0:1], vcc
	s_cbranch_execz .LBB3156_129
; %bb.128:
	v_lshlrev_b32_e32 v23, 2, v0
	ds_read_b32 v30, v23
	v_and_b32_e32 v31, 7, v64
	v_cmp_ne_u32_e32 vcc, 0, v31
	s_waitcnt lgkmcnt(0)
	v_mov_b32_dpp v32, v30 row_shr:1 row_mask:0xf bank_mask:0xf
	v_cndmask_b32_e32 v32, 0, v32, vcc
	v_add_u32_e32 v30, v32, v30
	v_cmp_lt_u32_e32 vcc, 1, v31
	s_nop 0
	v_mov_b32_dpp v32, v30 row_shr:2 row_mask:0xf bank_mask:0xf
	v_cndmask_b32_e32 v32, 0, v32, vcc
	v_add_u32_e32 v30, v30, v32
	v_cmp_lt_u32_e32 vcc, 3, v31
	s_nop 0
	v_mov_b32_dpp v32, v30 row_shr:4 row_mask:0xf bank_mask:0xf
	v_cndmask_b32_e32 v31, 0, v32, vcc
	v_add_u32_e32 v30, v30, v31
	ds_write_b32 v23, v30
.LBB3156_129:
	s_or_b64 exec, exec, s[0:1]
	v_cmp_gt_u32_e32 vcc, 64, v0
	v_cmp_lt_u32_e64 s[0:1], 63, v0
	s_waitcnt lgkmcnt(0)
	s_barrier
	s_waitcnt lgkmcnt(0)
                                        ; implicit-def: $vgpr67
	s_and_saveexec_b64 s[16:17], s[0:1]
	s_cbranch_execz .LBB3156_131
; %bb.130:
	v_lshl_add_u32 v23, v65, 2, -4
	ds_read_b32 v67, v23
	s_waitcnt lgkmcnt(0)
	v_add_u32_e32 v22, v67, v22
.LBB3156_131:
	s_or_b64 exec, exec, s[16:17]
	v_add_u32_e32 v23, -1, v64
	v_and_b32_e32 v30, 64, v64
	v_cmp_lt_i32_e64 s[0:1], v23, v30
	v_cmp_eq_u32_e64 s[16:17], 0, v64
	s_nop 0
	v_cndmask_b32_e64 v23, v23, v64, s[0:1]
	v_lshlrev_b32_e32 v23, 2, v23
	ds_bpermute_b32 v68, v23, v22
	s_and_saveexec_b64 s[0:1], vcc
	s_cbranch_execz .LBB3156_150
; %bb.132:
	v_mov_b32_e32 v35, 0
	ds_read_b32 v22, v35 offset:28
	s_and_saveexec_b64 s[34:35], s[16:17]
	s_cbranch_execz .LBB3156_134
; %bb.133:
	s_add_i32 s36, s38, 64
	s_mov_b32 s37, 0
	s_lshl_b64 s[36:37], s[36:37], 3
	s_add_u32 s36, s30, s36
	v_mov_b32_e32 v23, 1
	s_addc_u32 s37, s31, s37
	s_waitcnt lgkmcnt(0)
	global_store_dwordx2 v35, v[22:23], s[36:37] sc1
.LBB3156_134:
	s_or_b64 exec, exec, s[34:35]
	v_xad_u32 v30, v64, -1, s38
	v_add_u32_e32 v34, 64, v30
	v_lshl_add_u64 v[36:37], v[34:35], 3, s[30:31]
	global_load_dwordx2 v[32:33], v[36:37], off sc1
	s_waitcnt vmcnt(0)
	v_cmp_eq_u16_sdwa s[36:37], v33, v35 src0_sel:BYTE_0 src1_sel:DWORD
	s_and_saveexec_b64 s[34:35], s[36:37]
	s_cbranch_execz .LBB3156_138
; %bb.135:
	s_mov_b64 s[36:37], 0
	v_mov_b32_e32 v23, 0
.LBB3156_136:                           ; =>This Inner Loop Header: Depth=1
	global_load_dwordx2 v[32:33], v[36:37], off sc1
	s_waitcnt vmcnt(0)
	v_cmp_ne_u16_sdwa s[40:41], v33, v23 src0_sel:BYTE_0 src1_sel:DWORD
	s_or_b64 s[36:37], s[40:41], s[36:37]
	s_andn2_b64 exec, exec, s[36:37]
	s_cbranch_execnz .LBB3156_136
; %bb.137:
	s_or_b64 exec, exec, s[36:37]
.LBB3156_138:
	s_or_b64 exec, exec, s[34:35]
	v_and_b32_e32 v70, 63, v64
	v_mov_b32_e32 v69, 2
	v_cmp_ne_u32_e32 vcc, 63, v70
	v_cmp_eq_u16_sdwa s[34:35], v33, v69 src0_sel:BYTE_0 src1_sel:DWORD
	v_lshlrev_b64 v[34:35], v64, -1
	v_addc_co_u32_e32 v36, vcc, 0, v64, vcc
	v_and_b32_e32 v23, s35, v35
	v_lshlrev_b32_e32 v71, 2, v36
	v_or_b32_e32 v23, 0x80000000, v23
	ds_bpermute_b32 v36, v71, v32
	v_and_b32_e32 v31, s34, v34
	v_ffbl_b32_e32 v23, v23
	v_add_u32_e32 v23, 32, v23
	v_ffbl_b32_e32 v31, v31
	v_min_u32_e32 v23, v31, v23
	v_cmp_lt_u32_e32 vcc, v70, v23
	v_add_u32_e32 v73, 2, v70
	v_add_u32_e32 v75, 4, v70
	s_waitcnt lgkmcnt(0)
	v_cndmask_b32_e32 v31, 0, v36, vcc
	v_cmp_gt_u32_e32 vcc, 62, v70
	v_add_u32_e32 v31, v31, v32
	v_add_u32_e32 v77, 8, v70
	v_cndmask_b32_e64 v32, 0, 1, vcc
	v_lshlrev_b32_e32 v32, 1, v32
	v_add_lshl_u32 v72, v32, v64, 2
	ds_bpermute_b32 v32, v72, v31
	v_cmp_le_u32_e32 vcc, v73, v23
	v_add_u32_e32 v79, 16, v70
	v_add_u32_e32 v81, 32, v70
	s_waitcnt lgkmcnt(0)
	v_cndmask_b32_e32 v32, 0, v32, vcc
	v_cmp_gt_u32_e32 vcc, 60, v70
	v_add_u32_e32 v31, v31, v32
	s_nop 0
	v_cndmask_b32_e64 v32, 0, 1, vcc
	v_lshlrev_b32_e32 v32, 2, v32
	v_add_lshl_u32 v74, v32, v64, 2
	ds_bpermute_b32 v32, v74, v31
	v_cmp_le_u32_e32 vcc, v75, v23
	s_waitcnt lgkmcnt(0)
	s_nop 0
	v_cndmask_b32_e32 v32, 0, v32, vcc
	v_cmp_gt_u32_e32 vcc, 56, v70
	v_add_u32_e32 v31, v31, v32
	s_nop 0
	v_cndmask_b32_e64 v32, 0, 1, vcc
	v_lshlrev_b32_e32 v32, 3, v32
	v_add_lshl_u32 v76, v32, v64, 2
	ds_bpermute_b32 v32, v76, v31
	v_cmp_le_u32_e32 vcc, v77, v23
	s_waitcnt lgkmcnt(0)
	s_nop 0
	;; [unrolled: 11-line block ×4, first 2 shown]
	v_cndmask_b32_e32 v23, 0, v32, vcc
	v_add_u32_e32 v32, v31, v23
	v_mov_b32_e32 v31, 0
	s_branch .LBB3156_140
.LBB3156_139:                           ;   in Loop: Header=BB3156_140 Depth=1
	s_or_b64 exec, exec, s[34:35]
	v_cmp_eq_u16_sdwa s[34:35], v33, v69 src0_sel:BYTE_0 src1_sel:DWORD
	ds_bpermute_b32 v82, v71, v32
	v_subrev_u32_e32 v30, 64, v30
	v_and_b32_e32 v36, s35, v35
	v_or_b32_e32 v36, 0x80000000, v36
	v_and_b32_e32 v37, s34, v34
	v_ffbl_b32_e32 v36, v36
	v_add_u32_e32 v36, 32, v36
	v_ffbl_b32_e32 v37, v37
	v_min_u32_e32 v36, v37, v36
	v_cmp_lt_u32_e32 vcc, v70, v36
	s_waitcnt lgkmcnt(0)
	s_nop 0
	v_cndmask_b32_e32 v37, 0, v82, vcc
	v_add_u32_e32 v32, v37, v32
	ds_bpermute_b32 v37, v72, v32
	v_cmp_le_u32_e32 vcc, v73, v36
	s_waitcnt lgkmcnt(0)
	s_nop 0
	v_cndmask_b32_e32 v37, 0, v37, vcc
	v_add_u32_e32 v32, v32, v37
	ds_bpermute_b32 v37, v74, v32
	v_cmp_le_u32_e32 vcc, v75, v36
	;; [unrolled: 6-line block ×5, first 2 shown]
	s_waitcnt lgkmcnt(0)
	s_nop 0
	v_cndmask_b32_e32 v36, 0, v37, vcc
	v_add3_u32 v32, v36, v23, v32
.LBB3156_140:                           ; =>This Loop Header: Depth=1
                                        ;     Child Loop BB3156_143 Depth 2
	v_cmp_ne_u16_sdwa s[34:35], v33, v69 src0_sel:BYTE_0 src1_sel:DWORD
	s_nop 1
	v_cndmask_b32_e64 v23, 0, 1, s[34:35]
	;;#ASMSTART
	;;#ASMEND
	s_nop 0
	v_cmp_ne_u32_e32 vcc, 0, v23
	s_cmp_lg_u64 vcc, exec
	v_mov_b32_e32 v23, v32
	s_cbranch_scc1 .LBB3156_145
; %bb.141:                              ;   in Loop: Header=BB3156_140 Depth=1
	v_lshl_add_u64 v[36:37], v[30:31], 3, s[30:31]
	global_load_dwordx2 v[32:33], v[36:37], off sc1
	s_waitcnt vmcnt(0)
	v_cmp_eq_u16_sdwa s[36:37], v33, v31 src0_sel:BYTE_0 src1_sel:DWORD
	s_and_saveexec_b64 s[34:35], s[36:37]
	s_cbranch_execz .LBB3156_139
; %bb.142:                              ;   in Loop: Header=BB3156_140 Depth=1
	s_mov_b64 s[36:37], 0
.LBB3156_143:                           ;   Parent Loop BB3156_140 Depth=1
                                        ; =>  This Inner Loop Header: Depth=2
	global_load_dwordx2 v[32:33], v[36:37], off sc1
	s_waitcnt vmcnt(0)
	v_cmp_ne_u16_sdwa s[40:41], v33, v31 src0_sel:BYTE_0 src1_sel:DWORD
	s_or_b64 s[36:37], s[40:41], s[36:37]
	s_andn2_b64 exec, exec, s[36:37]
	s_cbranch_execnz .LBB3156_143
; %bb.144:                              ;   in Loop: Header=BB3156_140 Depth=1
	s_or_b64 exec, exec, s[36:37]
	s_branch .LBB3156_139
.LBB3156_145:                           ;   in Loop: Header=BB3156_140 Depth=1
                                        ; implicit-def: $vgpr32
                                        ; implicit-def: $vgpr33
	s_cbranch_execz .LBB3156_140
; %bb.146:
	s_and_saveexec_b64 s[34:35], s[16:17]
	s_cbranch_execz .LBB3156_148
; %bb.147:
	s_add_i32 s36, s38, 64
	s_mov_b32 s37, 0
	s_lshl_b64 s[36:37], s[36:37], 3
	s_add_u32 s36, s30, s36
	v_add_u32_e32 v30, v23, v22
	v_mov_b32_e32 v31, 2
	s_addc_u32 s37, s31, s37
	v_mov_b32_e32 v32, 0
	global_store_dwordx2 v32, v[30:31], s[36:37] sc1
	ds_write_b64 v32, v[22:23] offset:28672
.LBB3156_148:
	s_or_b64 exec, exec, s[34:35]
	s_and_b64 exec, exec, s[18:19]
	s_cbranch_execz .LBB3156_150
; %bb.149:
	v_mov_b32_e32 v22, 0
	ds_write_b32 v22, v23 offset:28
.LBB3156_150:
	s_or_b64 exec, exec, s[0:1]
	v_mov_b32_e32 v22, 0
	s_waitcnt lgkmcnt(0)
	s_barrier
	ds_read_b32 v30, v22 offset:28
	s_waitcnt lgkmcnt(0)
	s_barrier
	ds_read_b64 v[22:23], v22 offset:28672
	v_cndmask_b32_e64 v31, v68, v67, s[16:17]
	v_cndmask_b32_e64 v31, v31, 0, s[18:19]
	v_add_u32_e32 v36, v30, v31
	s_waitcnt lgkmcnt(0)
	v_mov_b32_e32 v30, v23
	s_branch .LBB3156_161
.LBB3156_151:
                                        ; implicit-def: $vgpr30
                                        ; implicit-def: $vgpr22
                                        ; implicit-def: $vgpr36
	s_cbranch_execz .LBB3156_161
; %bb.152:
	s_nop 0
	v_mov_b32_dpp v22, v66 row_shr:1 row_mask:0xf bank_mask:0xf
	v_cndmask_b32_e64 v22, v22, 0, s[14:15]
	v_add_u32_e32 v22, v22, v66
	s_nop 1
	v_mov_b32_dpp v23, v22 row_shr:2 row_mask:0xf bank_mask:0xf
	v_cndmask_b32_e64 v23, 0, v23, s[12:13]
	v_add_u32_e32 v22, v22, v23
	s_nop 1
	v_mov_b32_dpp v23, v22 row_shr:4 row_mask:0xf bank_mask:0xf
	v_cndmask_b32_e64 v23, 0, v23, s[10:11]
	v_add_u32_e32 v22, v22, v23
	s_nop 1
	v_mov_b32_dpp v23, v22 row_shr:8 row_mask:0xf bank_mask:0xf
	v_cndmask_b32_e64 v23, 0, v23, s[8:9]
	v_add_u32_e32 v22, v22, v23
	s_nop 1
	v_mov_b32_dpp v23, v22 row_bcast:15 row_mask:0xf bank_mask:0xf
	v_cndmask_b32_e64 v23, v23, 0, s[6:7]
	v_add_u32_e32 v22, v22, v23
	s_nop 1
	v_mov_b32_dpp v23, v22 row_bcast:31 row_mask:0xf bank_mask:0xf
	v_cndmask_b32_e64 v23, 0, v23, s[2:3]
	v_add_u32_e32 v22, v22, v23
	s_and_saveexec_b64 s[0:1], s[4:5]
	s_cbranch_execz .LBB3156_154
; %bb.153:
	v_lshlrev_b32_e32 v23, 2, v65
	ds_write_b32 v23, v22
.LBB3156_154:
	s_or_b64 exec, exec, s[0:1]
	v_cmp_gt_u32_e32 vcc, 8, v0
	s_waitcnt lgkmcnt(0)
	s_barrier
	s_and_saveexec_b64 s[0:1], vcc
	s_cbranch_execz .LBB3156_156
; %bb.155:
	v_lshlrev_b32_e32 v23, 2, v0
	ds_read_b32 v30, v23
	v_and_b32_e32 v31, 7, v64
	v_cmp_ne_u32_e32 vcc, 0, v31
	s_waitcnt lgkmcnt(0)
	v_mov_b32_dpp v32, v30 row_shr:1 row_mask:0xf bank_mask:0xf
	v_cndmask_b32_e32 v32, 0, v32, vcc
	v_add_u32_e32 v30, v32, v30
	v_cmp_lt_u32_e32 vcc, 1, v31
	s_nop 0
	v_mov_b32_dpp v32, v30 row_shr:2 row_mask:0xf bank_mask:0xf
	v_cndmask_b32_e32 v32, 0, v32, vcc
	v_add_u32_e32 v30, v30, v32
	v_cmp_lt_u32_e32 vcc, 3, v31
	s_nop 0
	v_mov_b32_dpp v32, v30 row_shr:4 row_mask:0xf bank_mask:0xf
	v_cndmask_b32_e32 v31, 0, v32, vcc
	v_add_u32_e32 v30, v30, v31
	ds_write_b32 v23, v30
.LBB3156_156:
	s_or_b64 exec, exec, s[0:1]
	v_cmp_lt_u32_e32 vcc, 63, v0
	v_mov_b32_e32 v23, 0
	v_mov_b32_e32 v30, 0
	s_waitcnt lgkmcnt(0)
	s_barrier
	s_and_saveexec_b64 s[0:1], vcc
	s_cbranch_execz .LBB3156_158
; %bb.157:
	v_lshl_add_u32 v30, v65, 2, -4
	ds_read_b32 v30, v30
.LBB3156_158:
	s_or_b64 exec, exec, s[0:1]
	v_add_u32_e32 v31, -1, v64
	v_and_b32_e32 v32, 64, v64
	v_cmp_lt_i32_e32 vcc, v31, v32
	s_waitcnt lgkmcnt(0)
	v_add_u32_e32 v22, v30, v22
	v_cndmask_b32_e32 v31, v31, v64, vcc
	v_lshlrev_b32_e32 v31, 2, v31
	ds_bpermute_b32 v31, v31, v22
	ds_read_b32 v22, v23 offset:28
	s_and_saveexec_b64 s[0:1], s[18:19]
	s_cbranch_execz .LBB3156_160
; %bb.159:
	v_mov_b32_e32 v32, 0
	v_mov_b32_e32 v23, 2
	s_waitcnt lgkmcnt(0)
	global_store_dwordx2 v32, v[22:23], s[30:31] offset:512 sc1
.LBB3156_160:
	s_or_b64 exec, exec, s[0:1]
	v_cmp_eq_u32_e32 vcc, 0, v64
	s_waitcnt lgkmcnt(0)
	s_barrier
	v_cndmask_b32_e32 v23, v31, v30, vcc
	v_mov_b32_e32 v30, 0
	v_cndmask_b32_e64 v36, v23, 0, s[18:19]
.LBB3156_161:
	v_add_u32_sdwa v64, v36, v28 dst_sel:DWORD dst_unused:UNUSED_PAD src0_sel:DWORD src1_sel:BYTE_0
	v_add_u32_e32 v1, v22, v1
	v_sub_u32_e32 v36, v36, v30
	v_and_b32_e32 v73, 1, v28
	v_sub_u32_e32 v72, v1, v36
	v_cmp_eq_u32_e32 vcc, 1, v73
	v_lshrrev_b32_e32 v37, 8, v28
	v_add_u32_sdwa v65, v64, v28 dst_sel:DWORD dst_unused:UNUSED_PAD src0_sel:DWORD src1_sel:BYTE_1
	v_cndmask_b32_e32 v36, v72, v36, vcc
	v_lshlrev_b32_e32 v36, 1, v36
	ds_write_b16 v36, v10
	v_sub_u32_e32 v36, v64, v30
	v_sub_u32_e32 v64, v1, v36
	v_and_b32_e32 v37, 1, v37
	v_add_u32_e32 v64, 1, v64
	v_cmp_eq_u32_e32 vcc, 1, v37
	v_mov_b32_e32 v37, 1
	v_and_b32_sdwa v28, v37, v28 dst_sel:DWORD dst_unused:UNUSED_PAD src0_sel:DWORD src1_sel:WORD_1
	v_cndmask_b32_e32 v36, v64, v36, vcc
	v_lshlrev_b32_e32 v36, 1, v36
	ds_write_b16_d16_hi v36, v10
	v_sub_u32_e32 v10, v65, v30
	v_sub_u32_e32 v36, v1, v10
	v_add_u32_e32 v36, 2, v36
	v_cmp_eq_u32_e32 vcc, 1, v28
	v_add_u32_e32 v63, v65, v63
	v_add_u32_e32 v66, v63, v45
	v_cndmask_b32_e32 v10, v36, v10, vcc
	v_lshlrev_b32_e32 v10, 1, v10
	ds_write_b16 v10, v11
	v_sub_u32_e32 v10, v63, v30
	v_sub_u32_e32 v28, v1, v10
	v_and_b32_e32 v36, 1, v45
	v_add_u32_e32 v28, 3, v28
	v_cmp_eq_u32_e32 vcc, 1, v36
	v_add_u32_e32 v60, v66, v60
	v_lshrrev_b32_e32 v35, 8, v29
	v_cndmask_b32_e32 v10, v28, v10, vcc
	v_lshlrev_b32_e32 v10, 1, v10
	ds_write_b16_d16_hi v10, v11
	v_sub_u32_e32 v10, v66, v30
	v_sub_u32_e32 v11, v1, v10
	v_and_b32_e32 v28, 1, v29
	v_add_u32_e32 v11, 4, v11
	v_cmp_eq_u32_e32 vcc, 1, v28
	v_and_b32_e32 v28, 1, v35
	v_add_u32_e32 v61, v60, v61
	v_cndmask_b32_e32 v10, v11, v10, vcc
	v_lshlrev_b32_e32 v10, 1, v10
	ds_write_b16 v10, v12
	v_sub_u32_e32 v10, v60, v30
	v_sub_u32_e32 v11, v1, v10
	v_add_u32_e32 v11, 5, v11
	v_cmp_eq_u32_e32 vcc, 1, v28
	v_add_u32_e32 v62, v61, v62
	v_add_u32_e32 v67, v62, v44
	v_cndmask_b32_e32 v10, v11, v10, vcc
	v_lshlrev_b32_e32 v10, 1, v10
	ds_write_b16_d16_hi v10, v12
	v_sub_u32_e32 v10, v61, v30
	v_sub_u32_e32 v11, v1, v10
	v_and_b32_sdwa v12, v37, v29 dst_sel:DWORD dst_unused:UNUSED_PAD src0_sel:DWORD src1_sel:WORD_1
	v_add_u32_e32 v11, 6, v11
	v_cmp_eq_u32_e32 vcc, 1, v12
	v_and_b32_e32 v12, 1, v44
	v_add_u32_e32 v57, v67, v57
	v_cndmask_b32_e32 v10, v11, v10, vcc
	v_lshlrev_b32_e32 v10, 1, v10
	ds_write_b16 v10, v13
	v_sub_u32_e32 v10, v62, v30
	v_sub_u32_e32 v11, v1, v10
	v_add_u32_e32 v11, 7, v11
	v_cmp_eq_u32_e32 vcc, 1, v12
	v_and_b32_e32 v12, 1, v26
	v_lshrrev_b32_e32 v34, 8, v26
	v_cndmask_b32_e32 v10, v11, v10, vcc
	v_lshlrev_b32_e32 v10, 1, v10
	ds_write_b16_d16_hi v10, v13
	v_sub_u32_e32 v10, v67, v30
	v_sub_u32_e32 v11, v1, v10
	v_add_u32_e32 v11, 8, v11
	v_cmp_eq_u32_e32 vcc, 1, v12
	v_and_b32_e32 v12, 1, v34
	v_add_u32_e32 v58, v57, v58
	v_cndmask_b32_e32 v10, v11, v10, vcc
	v_lshlrev_b32_e32 v10, 1, v10
	ds_write_b16 v10, v6
	v_sub_u32_e32 v10, v57, v30
	v_sub_u32_e32 v11, v1, v10
	v_add_u32_e32 v11, 9, v11
	v_cmp_eq_u32_e32 vcc, 1, v12
	v_add_u32_e32 v59, v58, v59
	v_add_u32_e32 v68, v59, v43
	v_cndmask_b32_e32 v10, v11, v10, vcc
	v_lshlrev_b32_e32 v10, 1, v10
	ds_write_b16_d16_hi v10, v6
	v_sub_u32_e32 v6, v58, v30
	v_sub_u32_e32 v10, v1, v6
	v_and_b32_sdwa v11, v37, v26 dst_sel:DWORD dst_unused:UNUSED_PAD src0_sel:DWORD src1_sel:WORD_1
	v_add_u32_e32 v10, 10, v10
	v_cmp_eq_u32_e32 vcc, 1, v11
	v_and_b32_e32 v11, 1, v43
	v_add_u32_e32 v54, v68, v54
	v_cndmask_b32_e32 v6, v10, v6, vcc
	v_lshlrev_b32_e32 v6, 1, v6
	ds_write_b16 v6, v7
	v_sub_u32_e32 v6, v59, v30
	v_sub_u32_e32 v10, v1, v6
	v_add_u32_e32 v10, 11, v10
	v_cmp_eq_u32_e32 vcc, 1, v11
	v_lshrrev_b32_e32 v33, 8, v27
	v_add_u32_e32 v55, v54, v55
	v_cndmask_b32_e32 v6, v10, v6, vcc
	v_lshlrev_b32_e32 v6, 1, v6
	ds_write_b16_d16_hi v6, v7
	v_sub_u32_e32 v6, v68, v30
	v_sub_u32_e32 v7, v1, v6
	v_and_b32_e32 v10, 1, v27
	v_add_u32_e32 v7, 12, v7
	v_cmp_eq_u32_e32 vcc, 1, v10
	v_and_b32_e32 v10, 1, v33
	v_add_u32_e32 v56, v55, v56
	v_cndmask_b32_e32 v6, v7, v6, vcc
	v_lshlrev_b32_e32 v6, 1, v6
	ds_write_b16 v6, v8
	v_sub_u32_e32 v6, v54, v30
	v_sub_u32_e32 v7, v1, v6
	v_add_u32_e32 v7, 13, v7
	v_cmp_eq_u32_e32 vcc, 1, v10
	v_add_u32_e32 v69, v56, v42
	v_add_u32_e32 v51, v69, v51
	v_cndmask_b32_e32 v6, v7, v6, vcc
	v_lshlrev_b32_e32 v6, 1, v6
	ds_write_b16_d16_hi v6, v8
	v_sub_u32_e32 v6, v55, v30
	v_sub_u32_e32 v7, v1, v6
	v_and_b32_sdwa v8, v37, v27 dst_sel:DWORD dst_unused:UNUSED_PAD src0_sel:DWORD src1_sel:WORD_1
	v_add_u32_e32 v7, 14, v7
	v_cmp_eq_u32_e32 vcc, 1, v8
	v_and_b32_e32 v8, 1, v42
	v_lshrrev_b32_e32 v32, 8, v24
	v_cndmask_b32_e32 v6, v7, v6, vcc
	v_lshlrev_b32_e32 v6, 1, v6
	ds_write_b16 v6, v9
	v_sub_u32_e32 v6, v56, v30
	v_sub_u32_e32 v7, v1, v6
	v_add_u32_e32 v7, 15, v7
	v_cmp_eq_u32_e32 vcc, 1, v8
	v_and_b32_e32 v8, 1, v24
	v_add_u32_e32 v52, v51, v52
	v_cndmask_b32_e32 v6, v7, v6, vcc
	v_lshlrev_b32_e32 v6, 1, v6
	ds_write_b16_d16_hi v6, v9
	v_sub_u32_e32 v6, v69, v30
	v_sub_u32_e32 v7, v1, v6
	v_add_u32_e32 v7, 16, v7
	v_cmp_eq_u32_e32 vcc, 1, v8
	v_and_b32_e32 v8, 1, v32
	v_add_u32_e32 v53, v52, v53
	v_cndmask_b32_e32 v6, v7, v6, vcc
	v_lshlrev_b32_e32 v6, 1, v6
	ds_write_b16 v6, v2
	v_sub_u32_e32 v6, v51, v30
	v_sub_u32_e32 v7, v1, v6
	v_add_u32_e32 v7, 17, v7
	v_cmp_eq_u32_e32 vcc, 1, v8
	v_add_u32_e32 v70, v53, v41
	v_add_u32_e32 v48, v70, v48
	v_cndmask_b32_e32 v6, v7, v6, vcc
	v_lshlrev_b32_e32 v6, 1, v6
	ds_write_b16_d16_hi v6, v2
	v_sub_u32_e32 v2, v52, v30
	v_sub_u32_e32 v6, v1, v2
	v_and_b32_sdwa v7, v37, v24 dst_sel:DWORD dst_unused:UNUSED_PAD src0_sel:DWORD src1_sel:WORD_1
	v_add_u32_e32 v6, 18, v6
	v_cmp_eq_u32_e32 vcc, 1, v7
	v_and_b32_e32 v7, 1, v41
	v_lshrrev_b32_e32 v31, 8, v25
	v_cndmask_b32_e32 v2, v6, v2, vcc
	v_lshlrev_b32_e32 v2, 1, v2
	ds_write_b16 v2, v3
	v_sub_u32_e32 v2, v53, v30
	v_sub_u32_e32 v6, v1, v2
	v_add_u32_e32 v6, 19, v6
	v_cmp_eq_u32_e32 vcc, 1, v7
	v_add_u32_e32 v49, v48, v49
	v_add_u32_e32 v50, v49, v50
	v_cndmask_b32_e32 v2, v6, v2, vcc
	v_lshlrev_b32_e32 v2, 1, v2
	ds_write_b16_d16_hi v2, v3
	v_sub_u32_e32 v2, v70, v30
	v_sub_u32_e32 v3, v1, v2
	v_and_b32_e32 v6, 1, v25
	v_add_u32_e32 v3, 20, v3
	v_cmp_eq_u32_e32 vcc, 1, v6
	v_and_b32_e32 v6, 1, v31
	v_add_u32_e32 v71, v50, v40
	v_cndmask_b32_e32 v2, v3, v2, vcc
	v_lshlrev_b32_e32 v2, 1, v2
	ds_write_b16 v2, v4
	v_sub_u32_e32 v2, v48, v30
	v_sub_u32_e32 v3, v1, v2
	v_add_u32_e32 v3, 21, v3
	v_cmp_eq_u32_e32 vcc, 1, v6
	v_add_u32_e32 v46, v71, v46
	v_lshrrev_b32_e32 v23, 8, v38
	v_cndmask_b32_e32 v2, v3, v2, vcc
	v_lshlrev_b32_e32 v2, 1, v2
	ds_write_b16_d16_hi v2, v4
	v_sub_u32_e32 v2, v49, v30
	v_sub_u32_e32 v3, v1, v2
	v_and_b32_sdwa v4, v37, v25 dst_sel:DWORD dst_unused:UNUSED_PAD src0_sel:DWORD src1_sel:WORD_1
	v_add_u32_e32 v3, 22, v3
	v_cmp_eq_u32_e32 vcc, 1, v4
	v_and_b32_e32 v4, 1, v40
	v_add_u32_e32 v47, v46, v47
	v_cndmask_b32_e32 v2, v3, v2, vcc
	v_lshlrev_b32_e32 v2, 1, v2
	ds_write_b16 v2, v5
	v_sub_u32_e32 v2, v50, v30
	v_sub_u32_e32 v3, v1, v2
	v_add_u32_e32 v3, 23, v3
	v_cmp_eq_u32_e32 vcc, 1, v4
	v_and_b32_e32 v4, 1, v38
	v_mov_b32_e32 v31, 0
	v_cndmask_b32_e32 v2, v3, v2, vcc
	v_lshlrev_b32_e32 v2, 1, v2
	ds_write_b16_d16_hi v2, v5
	v_sub_u32_e32 v2, v71, v30
	v_sub_u32_e32 v3, v1, v2
	v_add_u32_e32 v3, 24, v3
	v_cmp_eq_u32_e32 vcc, 1, v4
	v_and_b32_e32 v4, 1, v23
	v_mov_b32_e32 v23, v31
	v_cndmask_b32_e32 v2, v3, v2, vcc
	v_lshlrev_b32_e32 v2, 1, v2
	ds_write_b16 v2, v20
	v_sub_u32_e32 v2, v46, v30
	v_sub_u32_e32 v3, v1, v2
	v_add_u32_e32 v3, 25, v3
	v_cmp_eq_u32_e32 vcc, 1, v4
	v_and_b32_sdwa v4, v37, v38 dst_sel:DWORD dst_unused:UNUSED_PAD src0_sel:DWORD src1_sel:WORD_1
	v_mov_b32_e32 v5, s27
	v_cndmask_b32_e32 v2, v3, v2, vcc
	v_lshlrev_b32_e32 v2, 1, v2
	ds_write_b16_d16_hi v2, v20
	v_sub_u32_e32 v2, v47, v30
	v_sub_u32_e32 v3, v1, v2
	v_add_u32_e32 v3, 26, v3
	v_cmp_eq_u32_e32 vcc, 1, v4
	v_or_b32_e32 v66, 0x200, v0
	v_or_b32_e32 v64, 0x400, v0
	v_cndmask_b32_e32 v2, v3, v2, vcc
	v_lshlrev_b32_e32 v2, 1, v2
	ds_write_b16 v2, v21
	v_sub_u32_e32 v2, v39, v30
	v_add_u32_e32 v2, v47, v2
	v_sub_u32_e32 v1, v1, v2
	v_and_b32_e32 v3, 1, v15
	v_add_u32_e32 v1, 27, v1
	v_cmp_eq_u32_e32 vcc, 1, v3
	v_or_b32_e32 v62, 0x600, v0
	v_or_b32_e32 v60, 0x800, v0
	v_cndmask_b32_e32 v1, v1, v2, vcc
	v_lshlrev_b32_e32 v1, 1, v1
	ds_write_b16_d16_hi v1, v21
	s_waitcnt lgkmcnt(0)
	s_barrier
	ds_read_u16 v68, v14
	ds_read_u16 v67, v14 offset:1024
	ds_read_u16 v65, v14 offset:2048
	;; [unrolled: 1-line block ×27, first 2 shown]
	s_waitcnt vmcnt(0)
	v_lshl_add_u64 v[2:3], v[16:17], 0, v[22:23]
	v_lshl_add_u64 v[2:3], v[2:3], 0, v[30:31]
	v_sub_co_u32_e32 v4, vcc, s26, v2
	v_or_b32_e32 v58, 0xa00, v0
	s_nop 0
	v_subb_co_u32_e32 v5, vcc, v5, v3, vcc
	v_lshlrev_b64 v[4:5], 1, v[4:5]
	v_lshl_add_u64 v[4:5], s[28:29], 0, v[4:5]
	v_or_b32_e32 v56, 0xc00, v0
	v_or_b32_e32 v53, 0xe00, v0
	;; [unrolled: 1-line block ×22, first 2 shown]
	v_lshl_add_u64 v[4:5], v[4:5], 0, v[18:19]
	s_andn2_b64 vcc, exec, s[24:25]
	v_cmp_ge_u32_e64 s[0:1], v0, v22
	s_cbranch_vccnz .LBB3156_191
; %bb.162:
	s_and_saveexec_b64 s[2:3], s[0:1]
	s_cbranch_execnz .LBB3156_252
; %bb.163:
	s_or_b64 exec, exec, s[2:3]
	v_cmp_ge_u32_e32 vcc, v66, v22
	s_and_saveexec_b64 s[0:1], vcc
	s_cbranch_execnz .LBB3156_253
.LBB3156_164:
	s_or_b64 exec, exec, s[0:1]
	v_cmp_ge_u32_e32 vcc, v64, v22
	s_and_saveexec_b64 s[0:1], vcc
	s_cbranch_execnz .LBB3156_254
.LBB3156_165:
	s_or_b64 exec, exec, s[0:1]
	v_cmp_ge_u32_e32 vcc, v62, v22
	s_and_saveexec_b64 s[0:1], vcc
	s_cbranch_execnz .LBB3156_255
.LBB3156_166:
	s_or_b64 exec, exec, s[0:1]
	v_cmp_ge_u32_e32 vcc, v60, v22
	s_and_saveexec_b64 s[0:1], vcc
	s_cbranch_execnz .LBB3156_256
.LBB3156_167:
	s_or_b64 exec, exec, s[0:1]
	v_cmp_ge_u32_e32 vcc, v58, v22
	s_and_saveexec_b64 s[0:1], vcc
	s_cbranch_execnz .LBB3156_257
.LBB3156_168:
	s_or_b64 exec, exec, s[0:1]
	v_cmp_ge_u32_e32 vcc, v56, v22
	s_and_saveexec_b64 s[0:1], vcc
	s_cbranch_execnz .LBB3156_258
.LBB3156_169:
	s_or_b64 exec, exec, s[0:1]
	v_cmp_ge_u32_e32 vcc, v53, v22
	s_and_saveexec_b64 s[0:1], vcc
	s_cbranch_execnz .LBB3156_259
.LBB3156_170:
	s_or_b64 exec, exec, s[0:1]
	v_cmp_ge_u32_e32 vcc, v52, v22
	s_and_saveexec_b64 s[0:1], vcc
	s_cbranch_execnz .LBB3156_260
.LBB3156_171:
	s_or_b64 exec, exec, s[0:1]
	v_cmp_ge_u32_e32 vcc, v50, v22
	s_and_saveexec_b64 s[0:1], vcc
	s_cbranch_execnz .LBB3156_261
.LBB3156_172:
	s_or_b64 exec, exec, s[0:1]
	v_cmp_ge_u32_e32 vcc, v48, v22
	s_and_saveexec_b64 s[0:1], vcc
	s_cbranch_execnz .LBB3156_262
.LBB3156_173:
	s_or_b64 exec, exec, s[0:1]
	v_cmp_ge_u32_e32 vcc, v46, v22
	s_and_saveexec_b64 s[0:1], vcc
	s_cbranch_execnz .LBB3156_263
.LBB3156_174:
	s_or_b64 exec, exec, s[0:1]
	v_cmp_ge_u32_e32 vcc, v44, v22
	s_and_saveexec_b64 s[0:1], vcc
	s_cbranch_execnz .LBB3156_264
.LBB3156_175:
	s_or_b64 exec, exec, s[0:1]
	v_cmp_ge_u32_e32 vcc, v42, v22
	s_and_saveexec_b64 s[0:1], vcc
	s_cbranch_execnz .LBB3156_265
.LBB3156_176:
	s_or_b64 exec, exec, s[0:1]
	v_cmp_ge_u32_e32 vcc, v40, v22
	s_and_saveexec_b64 s[0:1], vcc
	s_cbranch_execnz .LBB3156_266
.LBB3156_177:
	s_or_b64 exec, exec, s[0:1]
	v_cmp_ge_u32_e32 vcc, v37, v22
	s_and_saveexec_b64 s[0:1], vcc
	s_cbranch_execnz .LBB3156_267
.LBB3156_178:
	s_or_b64 exec, exec, s[0:1]
	v_cmp_ge_u32_e32 vcc, v36, v22
	s_and_saveexec_b64 s[0:1], vcc
	s_cbranch_execnz .LBB3156_268
.LBB3156_179:
	s_or_b64 exec, exec, s[0:1]
	v_cmp_ge_u32_e32 vcc, v34, v22
	s_and_saveexec_b64 s[0:1], vcc
	s_cbranch_execnz .LBB3156_269
.LBB3156_180:
	s_or_b64 exec, exec, s[0:1]
	v_cmp_ge_u32_e32 vcc, v32, v22
	s_and_saveexec_b64 s[0:1], vcc
	s_cbranch_execnz .LBB3156_270
.LBB3156_181:
	s_or_b64 exec, exec, s[0:1]
	v_cmp_ge_u32_e32 vcc, v28, v22
	s_and_saveexec_b64 s[0:1], vcc
	s_cbranch_execnz .LBB3156_271
.LBB3156_182:
	s_or_b64 exec, exec, s[0:1]
	v_cmp_ge_u32_e32 vcc, v26, v22
	s_and_saveexec_b64 s[0:1], vcc
	s_cbranch_execnz .LBB3156_272
.LBB3156_183:
	s_or_b64 exec, exec, s[0:1]
	v_cmp_ge_u32_e32 vcc, v24, v22
	s_and_saveexec_b64 s[0:1], vcc
	s_cbranch_execnz .LBB3156_273
.LBB3156_184:
	s_or_b64 exec, exec, s[0:1]
	v_cmp_ge_u32_e32 vcc, v20, v22
	s_and_saveexec_b64 s[0:1], vcc
	s_cbranch_execnz .LBB3156_274
.LBB3156_185:
	s_or_b64 exec, exec, s[0:1]
	v_cmp_ge_u32_e32 vcc, v13, v22
	s_and_saveexec_b64 s[0:1], vcc
	s_cbranch_execnz .LBB3156_275
.LBB3156_186:
	s_or_b64 exec, exec, s[0:1]
	v_cmp_ge_u32_e32 vcc, v11, v22
	s_and_saveexec_b64 s[0:1], vcc
	s_cbranch_execnz .LBB3156_276
.LBB3156_187:
	s_or_b64 exec, exec, s[0:1]
	v_cmp_ge_u32_e32 vcc, v9, v22
	s_and_saveexec_b64 s[0:1], vcc
	s_cbranch_execnz .LBB3156_277
.LBB3156_188:
	s_or_b64 exec, exec, s[0:1]
	v_cmp_ge_u32_e32 vcc, v8, v22
	s_and_saveexec_b64 s[0:1], vcc
	s_cbranch_execz .LBB3156_190
.LBB3156_189:
	v_lshlrev_b32_e32 v16, 1, v8
	v_readfirstlane_b32 s2, v4
	v_readfirstlane_b32 s3, v5
	s_waitcnt lgkmcnt(1)
	s_nop 3
	global_store_short v16, v7, s[2:3]
.LBB3156_190:
	s_or_b64 exec, exec, s[0:1]
	v_cmp_ge_u32_e64 s[0:1], v6, v22
	s_branch .LBB3156_247
.LBB3156_191:
	s_mov_b64 s[0:1], 0
	s_cbranch_execz .LBB3156_247
; %bb.192:
	v_cmp_gt_u32_e32 vcc, s33, v0
	v_cmp_ge_u32_e64 s[0:1], v0, v22
	s_and_b64 s[2:3], vcc, s[0:1]
	s_and_saveexec_b64 s[0:1], s[2:3]
	s_cbranch_execz .LBB3156_194
; %bb.193:
	v_readfirstlane_b32 s2, v4
	v_readfirstlane_b32 s3, v5
	s_waitcnt lgkmcnt(14)
	s_nop 3
	global_store_short v14, v68, s[2:3]
.LBB3156_194:
	s_or_b64 exec, exec, s[0:1]
	v_cmp_gt_u32_e32 vcc, s33, v66
	v_cmp_ge_u32_e64 s[0:1], v66, v22
	s_and_b64 s[2:3], vcc, s[0:1]
	s_and_saveexec_b64 s[0:1], s[2:3]
	s_cbranch_execz .LBB3156_196
; %bb.195:
	v_readfirstlane_b32 s2, v4
	v_readfirstlane_b32 s3, v5
	s_waitcnt lgkmcnt(14)
	s_nop 3
	global_store_short v14, v67, s[2:3] offset:1024
.LBB3156_196:
	s_or_b64 exec, exec, s[0:1]
	v_cmp_gt_u32_e32 vcc, s33, v64
	v_cmp_ge_u32_e64 s[0:1], v64, v22
	s_and_b64 s[2:3], vcc, s[0:1]
	s_and_saveexec_b64 s[0:1], s[2:3]
	s_cbranch_execz .LBB3156_198
; %bb.197:
	v_readfirstlane_b32 s2, v4
	v_readfirstlane_b32 s3, v5
	s_waitcnt lgkmcnt(14)
	s_nop 3
	global_store_short v14, v65, s[2:3] offset:2048
.LBB3156_198:
	;; [unrolled: 13-line block ×3, first 2 shown]
	s_or_b64 exec, exec, s[0:1]
	v_cmp_gt_u32_e32 vcc, s33, v60
	v_cmp_ge_u32_e64 s[0:1], v60, v22
	s_and_b64 s[2:3], vcc, s[0:1]
	s_and_saveexec_b64 s[0:1], s[2:3]
	s_cbranch_execz .LBB3156_202
; %bb.201:
	v_lshlrev_b32_e32 v0, 1, v60
	v_readfirstlane_b32 s2, v4
	v_readfirstlane_b32 s3, v5
	s_waitcnt lgkmcnt(14)
	s_nop 3
	global_store_short v0, v61, s[2:3]
.LBB3156_202:
	s_or_b64 exec, exec, s[0:1]
	v_cmp_gt_u32_e32 vcc, s33, v58
	v_cmp_ge_u32_e64 s[0:1], v58, v22
	s_and_b64 s[2:3], vcc, s[0:1]
	s_and_saveexec_b64 s[0:1], s[2:3]
	s_cbranch_execz .LBB3156_204
; %bb.203:
	v_lshlrev_b32_e32 v0, 1, v58
	v_readfirstlane_b32 s2, v4
	v_readfirstlane_b32 s3, v5
	s_waitcnt lgkmcnt(14)
	s_nop 3
	global_store_short v0, v59, s[2:3]
.LBB3156_204:
	;; [unrolled: 14-line block ×23, first 2 shown]
	s_or_b64 exec, exec, s[0:1]
	v_cmp_gt_u32_e32 vcc, s33, v6
	v_cmp_ge_u32_e64 s[0:1], v6, v22
	s_and_b64 s[0:1], vcc, s[0:1]
.LBB3156_247:
	s_and_saveexec_b64 s[2:3], s[0:1]
	s_cbranch_execnz .LBB3156_250
; %bb.248:
	s_or_b64 exec, exec, s[2:3]
	s_and_b64 s[0:1], s[18:19], s[22:23]
	s_and_saveexec_b64 s[2:3], s[0:1]
	s_cbranch_execnz .LBB3156_251
.LBB3156_249:
	s_endpgm
.LBB3156_250:
	v_lshlrev_b32_e32 v0, 1, v6
	v_readfirstlane_b32 s0, v4
	v_readfirstlane_b32 s1, v5
	s_waitcnt lgkmcnt(0)
	s_nop 3
	global_store_short v0, v1, s[0:1]
	s_or_b64 exec, exec, s[2:3]
	s_and_b64 s[0:1], s[18:19], s[22:23]
	s_and_saveexec_b64 s[2:3], s[0:1]
	s_cbranch_execz .LBB3156_249
.LBB3156_251:
	v_mov_b32_e32 v0, 0
	global_store_dwordx2 v0, v[2:3], s[20:21]
	s_endpgm
.LBB3156_252:
	v_readfirstlane_b32 s0, v4
	v_readfirstlane_b32 s1, v5
	s_waitcnt lgkmcnt(14)
	s_nop 3
	global_store_short v14, v68, s[0:1]
	s_or_b64 exec, exec, s[2:3]
	v_cmp_ge_u32_e32 vcc, v66, v22
	s_and_saveexec_b64 s[0:1], vcc
	s_cbranch_execz .LBB3156_164
.LBB3156_253:
	v_readfirstlane_b32 s2, v4
	v_readfirstlane_b32 s3, v5
	s_waitcnt lgkmcnt(14)
	s_nop 3
	global_store_short v14, v67, s[2:3] offset:1024
	s_or_b64 exec, exec, s[0:1]
	v_cmp_ge_u32_e32 vcc, v64, v22
	s_and_saveexec_b64 s[0:1], vcc
	s_cbranch_execz .LBB3156_165
.LBB3156_254:
	v_readfirstlane_b32 s2, v4
	v_readfirstlane_b32 s3, v5
	s_waitcnt lgkmcnt(14)
	s_nop 3
	global_store_short v14, v65, s[2:3] offset:2048
	s_or_b64 exec, exec, s[0:1]
	v_cmp_ge_u32_e32 vcc, v62, v22
	s_and_saveexec_b64 s[0:1], vcc
	s_cbranch_execz .LBB3156_166
.LBB3156_255:
	v_readfirstlane_b32 s2, v4
	v_readfirstlane_b32 s3, v5
	s_waitcnt lgkmcnt(14)
	s_nop 3
	global_store_short v14, v63, s[2:3] offset:3072
	s_or_b64 exec, exec, s[0:1]
	v_cmp_ge_u32_e32 vcc, v60, v22
	s_and_saveexec_b64 s[0:1], vcc
	s_cbranch_execz .LBB3156_167
.LBB3156_256:
	v_lshlrev_b32_e32 v16, 1, v60
	v_readfirstlane_b32 s2, v4
	v_readfirstlane_b32 s3, v5
	s_waitcnt lgkmcnt(14)
	s_nop 3
	global_store_short v16, v61, s[2:3]
	s_or_b64 exec, exec, s[0:1]
	v_cmp_ge_u32_e32 vcc, v58, v22
	s_and_saveexec_b64 s[0:1], vcc
	s_cbranch_execz .LBB3156_168
.LBB3156_257:
	v_lshlrev_b32_e32 v16, 1, v58
	v_readfirstlane_b32 s2, v4
	v_readfirstlane_b32 s3, v5
	s_waitcnt lgkmcnt(14)
	s_nop 3
	global_store_short v16, v59, s[2:3]
	s_or_b64 exec, exec, s[0:1]
	v_cmp_ge_u32_e32 vcc, v56, v22
	s_and_saveexec_b64 s[0:1], vcc
	s_cbranch_execz .LBB3156_169
.LBB3156_258:
	v_lshlrev_b32_e32 v16, 1, v56
	v_readfirstlane_b32 s2, v4
	v_readfirstlane_b32 s3, v5
	s_waitcnt lgkmcnt(14)
	s_nop 3
	global_store_short v16, v57, s[2:3]
	s_or_b64 exec, exec, s[0:1]
	v_cmp_ge_u32_e32 vcc, v53, v22
	s_and_saveexec_b64 s[0:1], vcc
	s_cbranch_execz .LBB3156_170
.LBB3156_259:
	v_lshlrev_b32_e32 v16, 1, v53
	v_readfirstlane_b32 s2, v4
	v_readfirstlane_b32 s3, v5
	s_waitcnt lgkmcnt(14)
	s_nop 3
	global_store_short v16, v55, s[2:3]
	s_or_b64 exec, exec, s[0:1]
	v_cmp_ge_u32_e32 vcc, v52, v22
	s_and_saveexec_b64 s[0:1], vcc
	s_cbranch_execz .LBB3156_171
.LBB3156_260:
	v_lshlrev_b32_e32 v16, 1, v52
	v_readfirstlane_b32 s2, v4
	v_readfirstlane_b32 s3, v5
	s_waitcnt lgkmcnt(14)
	s_nop 3
	global_store_short v16, v54, s[2:3]
	s_or_b64 exec, exec, s[0:1]
	v_cmp_ge_u32_e32 vcc, v50, v22
	s_and_saveexec_b64 s[0:1], vcc
	s_cbranch_execz .LBB3156_172
.LBB3156_261:
	v_lshlrev_b32_e32 v16, 1, v50
	v_readfirstlane_b32 s2, v4
	v_readfirstlane_b32 s3, v5
	s_waitcnt lgkmcnt(14)
	s_nop 3
	global_store_short v16, v51, s[2:3]
	s_or_b64 exec, exec, s[0:1]
	v_cmp_ge_u32_e32 vcc, v48, v22
	s_and_saveexec_b64 s[0:1], vcc
	s_cbranch_execz .LBB3156_173
.LBB3156_262:
	v_lshlrev_b32_e32 v16, 1, v48
	v_readfirstlane_b32 s2, v4
	v_readfirstlane_b32 s3, v5
	s_waitcnt lgkmcnt(14)
	s_nop 3
	global_store_short v16, v49, s[2:3]
	s_or_b64 exec, exec, s[0:1]
	v_cmp_ge_u32_e32 vcc, v46, v22
	s_and_saveexec_b64 s[0:1], vcc
	s_cbranch_execz .LBB3156_174
.LBB3156_263:
	v_lshlrev_b32_e32 v16, 1, v46
	v_readfirstlane_b32 s2, v4
	v_readfirstlane_b32 s3, v5
	s_waitcnt lgkmcnt(14)
	s_nop 3
	global_store_short v16, v47, s[2:3]
	s_or_b64 exec, exec, s[0:1]
	v_cmp_ge_u32_e32 vcc, v44, v22
	s_and_saveexec_b64 s[0:1], vcc
	s_cbranch_execz .LBB3156_175
.LBB3156_264:
	v_lshlrev_b32_e32 v16, 1, v44
	v_readfirstlane_b32 s2, v4
	v_readfirstlane_b32 s3, v5
	s_waitcnt lgkmcnt(14)
	s_nop 3
	global_store_short v16, v45, s[2:3]
	s_or_b64 exec, exec, s[0:1]
	v_cmp_ge_u32_e32 vcc, v42, v22
	s_and_saveexec_b64 s[0:1], vcc
	s_cbranch_execz .LBB3156_176
.LBB3156_265:
	v_lshlrev_b32_e32 v16, 1, v42
	v_readfirstlane_b32 s2, v4
	v_readfirstlane_b32 s3, v5
	s_waitcnt lgkmcnt(14)
	s_nop 3
	global_store_short v16, v43, s[2:3]
	s_or_b64 exec, exec, s[0:1]
	v_cmp_ge_u32_e32 vcc, v40, v22
	s_and_saveexec_b64 s[0:1], vcc
	s_cbranch_execz .LBB3156_177
.LBB3156_266:
	v_lshlrev_b32_e32 v16, 1, v40
	v_readfirstlane_b32 s2, v4
	v_readfirstlane_b32 s3, v5
	s_waitcnt lgkmcnt(13)
	s_nop 3
	global_store_short v16, v41, s[2:3]
	s_or_b64 exec, exec, s[0:1]
	v_cmp_ge_u32_e32 vcc, v37, v22
	s_and_saveexec_b64 s[0:1], vcc
	s_cbranch_execz .LBB3156_178
.LBB3156_267:
	v_lshlrev_b32_e32 v16, 1, v37
	v_readfirstlane_b32 s2, v4
	v_readfirstlane_b32 s3, v5
	s_waitcnt lgkmcnt(12)
	s_nop 3
	global_store_short v16, v39, s[2:3]
	s_or_b64 exec, exec, s[0:1]
	v_cmp_ge_u32_e32 vcc, v36, v22
	s_and_saveexec_b64 s[0:1], vcc
	s_cbranch_execz .LBB3156_179
.LBB3156_268:
	v_lshlrev_b32_e32 v16, 1, v36
	v_readfirstlane_b32 s2, v4
	v_readfirstlane_b32 s3, v5
	s_waitcnt lgkmcnt(11)
	s_nop 3
	global_store_short v16, v38, s[2:3]
	s_or_b64 exec, exec, s[0:1]
	v_cmp_ge_u32_e32 vcc, v34, v22
	s_and_saveexec_b64 s[0:1], vcc
	s_cbranch_execz .LBB3156_180
.LBB3156_269:
	v_lshlrev_b32_e32 v16, 1, v34
	v_readfirstlane_b32 s2, v4
	v_readfirstlane_b32 s3, v5
	s_waitcnt lgkmcnt(10)
	s_nop 3
	global_store_short v16, v35, s[2:3]
	s_or_b64 exec, exec, s[0:1]
	v_cmp_ge_u32_e32 vcc, v32, v22
	s_and_saveexec_b64 s[0:1], vcc
	s_cbranch_execz .LBB3156_181
.LBB3156_270:
	v_lshlrev_b32_e32 v16, 1, v32
	v_readfirstlane_b32 s2, v4
	v_readfirstlane_b32 s3, v5
	s_waitcnt lgkmcnt(9)
	s_nop 3
	global_store_short v16, v33, s[2:3]
	s_or_b64 exec, exec, s[0:1]
	v_cmp_ge_u32_e32 vcc, v28, v22
	s_and_saveexec_b64 s[0:1], vcc
	s_cbranch_execz .LBB3156_182
.LBB3156_271:
	v_lshlrev_b32_e32 v16, 1, v28
	v_readfirstlane_b32 s2, v4
	v_readfirstlane_b32 s3, v5
	s_waitcnt lgkmcnt(8)
	s_nop 3
	global_store_short v16, v29, s[2:3]
	s_or_b64 exec, exec, s[0:1]
	v_cmp_ge_u32_e32 vcc, v26, v22
	s_and_saveexec_b64 s[0:1], vcc
	s_cbranch_execz .LBB3156_183
.LBB3156_272:
	v_lshlrev_b32_e32 v16, 1, v26
	v_readfirstlane_b32 s2, v4
	v_readfirstlane_b32 s3, v5
	s_waitcnt lgkmcnt(7)
	s_nop 3
	global_store_short v16, v27, s[2:3]
	s_or_b64 exec, exec, s[0:1]
	v_cmp_ge_u32_e32 vcc, v24, v22
	s_and_saveexec_b64 s[0:1], vcc
	s_cbranch_execz .LBB3156_184
.LBB3156_273:
	v_lshlrev_b32_e32 v16, 1, v24
	v_readfirstlane_b32 s2, v4
	v_readfirstlane_b32 s3, v5
	s_waitcnt lgkmcnt(6)
	s_nop 3
	global_store_short v16, v25, s[2:3]
	s_or_b64 exec, exec, s[0:1]
	v_cmp_ge_u32_e32 vcc, v20, v22
	s_and_saveexec_b64 s[0:1], vcc
	s_cbranch_execz .LBB3156_185
.LBB3156_274:
	v_lshlrev_b32_e32 v16, 1, v20
	v_readfirstlane_b32 s2, v4
	v_readfirstlane_b32 s3, v5
	s_waitcnt lgkmcnt(5)
	s_nop 3
	global_store_short v16, v21, s[2:3]
	s_or_b64 exec, exec, s[0:1]
	v_cmp_ge_u32_e32 vcc, v13, v22
	s_and_saveexec_b64 s[0:1], vcc
	s_cbranch_execz .LBB3156_186
.LBB3156_275:
	v_lshlrev_b32_e32 v16, 1, v13
	v_readfirstlane_b32 s2, v4
	v_readfirstlane_b32 s3, v5
	s_waitcnt lgkmcnt(4)
	s_nop 3
	global_store_short v16, v15, s[2:3]
	s_or_b64 exec, exec, s[0:1]
	v_cmp_ge_u32_e32 vcc, v11, v22
	s_and_saveexec_b64 s[0:1], vcc
	s_cbranch_execz .LBB3156_187
.LBB3156_276:
	v_lshlrev_b32_e32 v16, 1, v11
	v_readfirstlane_b32 s2, v4
	v_readfirstlane_b32 s3, v5
	s_waitcnt lgkmcnt(3)
	s_nop 3
	global_store_short v16, v12, s[2:3]
	s_or_b64 exec, exec, s[0:1]
	v_cmp_ge_u32_e32 vcc, v9, v22
	s_and_saveexec_b64 s[0:1], vcc
	s_cbranch_execz .LBB3156_188
.LBB3156_277:
	v_lshlrev_b32_e32 v16, 1, v9
	v_readfirstlane_b32 s2, v4
	v_readfirstlane_b32 s3, v5
	s_waitcnt lgkmcnt(2)
	s_nop 3
	global_store_short v16, v10, s[2:3]
	s_or_b64 exec, exec, s[0:1]
	v_cmp_ge_u32_e32 vcc, v8, v22
	s_and_saveexec_b64 s[0:1], vcc
	s_cbranch_execnz .LBB3156_189
	s_branch .LBB3156_190
	.section	.rodata,"a",@progbits
	.p2align	6, 0x0
	.amdhsa_kernel _ZN7rocprim17ROCPRIM_400000_NS6detail17trampoline_kernelINS0_14default_configENS1_25partition_config_selectorILNS1_17partition_subalgoE1EtNS0_10empty_typeEbEEZZNS1_14partition_implILS5_1ELb0ES3_jN6thrust23THRUST_200600_302600_NS6detail15normal_iteratorINSA_10device_ptrItEEEEPS6_NSA_18transform_iteratorI7is_evenItESF_NSA_11use_defaultESK_EENS0_5tupleIJNSA_16discard_iteratorISK_EESF_EEENSM_IJSG_SG_EEES6_PlJS6_EEE10hipError_tPvRmT3_T4_T5_T6_T7_T9_mT8_P12ihipStream_tbDpT10_ENKUlT_T0_E_clISt17integral_constantIbLb0EES1A_IbLb1EEEEDaS16_S17_EUlS16_E_NS1_11comp_targetILNS1_3genE5ELNS1_11target_archE942ELNS1_3gpuE9ELNS1_3repE0EEENS1_30default_config_static_selectorELNS0_4arch9wavefront6targetE1EEEvT1_
		.amdhsa_group_segment_fixed_size 28680
		.amdhsa_private_segment_fixed_size 0
		.amdhsa_kernarg_size 152
		.amdhsa_user_sgpr_count 2
		.amdhsa_user_sgpr_dispatch_ptr 0
		.amdhsa_user_sgpr_queue_ptr 0
		.amdhsa_user_sgpr_kernarg_segment_ptr 1
		.amdhsa_user_sgpr_dispatch_id 0
		.amdhsa_user_sgpr_kernarg_preload_length 0
		.amdhsa_user_sgpr_kernarg_preload_offset 0
		.amdhsa_user_sgpr_private_segment_size 0
		.amdhsa_uses_dynamic_stack 0
		.amdhsa_enable_private_segment 0
		.amdhsa_system_sgpr_workgroup_id_x 1
		.amdhsa_system_sgpr_workgroup_id_y 0
		.amdhsa_system_sgpr_workgroup_id_z 0
		.amdhsa_system_sgpr_workgroup_info 0
		.amdhsa_system_vgpr_workitem_id 0
		.amdhsa_next_free_vgpr 83
		.amdhsa_next_free_sgpr 42
		.amdhsa_accum_offset 84
		.amdhsa_reserve_vcc 1
		.amdhsa_float_round_mode_32 0
		.amdhsa_float_round_mode_16_64 0
		.amdhsa_float_denorm_mode_32 3
		.amdhsa_float_denorm_mode_16_64 3
		.amdhsa_dx10_clamp 1
		.amdhsa_ieee_mode 1
		.amdhsa_fp16_overflow 0
		.amdhsa_tg_split 0
		.amdhsa_exception_fp_ieee_invalid_op 0
		.amdhsa_exception_fp_denorm_src 0
		.amdhsa_exception_fp_ieee_div_zero 0
		.amdhsa_exception_fp_ieee_overflow 0
		.amdhsa_exception_fp_ieee_underflow 0
		.amdhsa_exception_fp_ieee_inexact 0
		.amdhsa_exception_int_div_zero 0
	.end_amdhsa_kernel
	.section	.text._ZN7rocprim17ROCPRIM_400000_NS6detail17trampoline_kernelINS0_14default_configENS1_25partition_config_selectorILNS1_17partition_subalgoE1EtNS0_10empty_typeEbEEZZNS1_14partition_implILS5_1ELb0ES3_jN6thrust23THRUST_200600_302600_NS6detail15normal_iteratorINSA_10device_ptrItEEEEPS6_NSA_18transform_iteratorI7is_evenItESF_NSA_11use_defaultESK_EENS0_5tupleIJNSA_16discard_iteratorISK_EESF_EEENSM_IJSG_SG_EEES6_PlJS6_EEE10hipError_tPvRmT3_T4_T5_T6_T7_T9_mT8_P12ihipStream_tbDpT10_ENKUlT_T0_E_clISt17integral_constantIbLb0EES1A_IbLb1EEEEDaS16_S17_EUlS16_E_NS1_11comp_targetILNS1_3genE5ELNS1_11target_archE942ELNS1_3gpuE9ELNS1_3repE0EEENS1_30default_config_static_selectorELNS0_4arch9wavefront6targetE1EEEvT1_,"axG",@progbits,_ZN7rocprim17ROCPRIM_400000_NS6detail17trampoline_kernelINS0_14default_configENS1_25partition_config_selectorILNS1_17partition_subalgoE1EtNS0_10empty_typeEbEEZZNS1_14partition_implILS5_1ELb0ES3_jN6thrust23THRUST_200600_302600_NS6detail15normal_iteratorINSA_10device_ptrItEEEEPS6_NSA_18transform_iteratorI7is_evenItESF_NSA_11use_defaultESK_EENS0_5tupleIJNSA_16discard_iteratorISK_EESF_EEENSM_IJSG_SG_EEES6_PlJS6_EEE10hipError_tPvRmT3_T4_T5_T6_T7_T9_mT8_P12ihipStream_tbDpT10_ENKUlT_T0_E_clISt17integral_constantIbLb0EES1A_IbLb1EEEEDaS16_S17_EUlS16_E_NS1_11comp_targetILNS1_3genE5ELNS1_11target_archE942ELNS1_3gpuE9ELNS1_3repE0EEENS1_30default_config_static_selectorELNS0_4arch9wavefront6targetE1EEEvT1_,comdat
.Lfunc_end3156:
	.size	_ZN7rocprim17ROCPRIM_400000_NS6detail17trampoline_kernelINS0_14default_configENS1_25partition_config_selectorILNS1_17partition_subalgoE1EtNS0_10empty_typeEbEEZZNS1_14partition_implILS5_1ELb0ES3_jN6thrust23THRUST_200600_302600_NS6detail15normal_iteratorINSA_10device_ptrItEEEEPS6_NSA_18transform_iteratorI7is_evenItESF_NSA_11use_defaultESK_EENS0_5tupleIJNSA_16discard_iteratorISK_EESF_EEENSM_IJSG_SG_EEES6_PlJS6_EEE10hipError_tPvRmT3_T4_T5_T6_T7_T9_mT8_P12ihipStream_tbDpT10_ENKUlT_T0_E_clISt17integral_constantIbLb0EES1A_IbLb1EEEEDaS16_S17_EUlS16_E_NS1_11comp_targetILNS1_3genE5ELNS1_11target_archE942ELNS1_3gpuE9ELNS1_3repE0EEENS1_30default_config_static_selectorELNS0_4arch9wavefront6targetE1EEEvT1_, .Lfunc_end3156-_ZN7rocprim17ROCPRIM_400000_NS6detail17trampoline_kernelINS0_14default_configENS1_25partition_config_selectorILNS1_17partition_subalgoE1EtNS0_10empty_typeEbEEZZNS1_14partition_implILS5_1ELb0ES3_jN6thrust23THRUST_200600_302600_NS6detail15normal_iteratorINSA_10device_ptrItEEEEPS6_NSA_18transform_iteratorI7is_evenItESF_NSA_11use_defaultESK_EENS0_5tupleIJNSA_16discard_iteratorISK_EESF_EEENSM_IJSG_SG_EEES6_PlJS6_EEE10hipError_tPvRmT3_T4_T5_T6_T7_T9_mT8_P12ihipStream_tbDpT10_ENKUlT_T0_E_clISt17integral_constantIbLb0EES1A_IbLb1EEEEDaS16_S17_EUlS16_E_NS1_11comp_targetILNS1_3genE5ELNS1_11target_archE942ELNS1_3gpuE9ELNS1_3repE0EEENS1_30default_config_static_selectorELNS0_4arch9wavefront6targetE1EEEvT1_
                                        ; -- End function
	.section	.AMDGPU.csdata,"",@progbits
; Kernel info:
; codeLenInByte = 12708
; NumSgprs: 48
; NumVgprs: 83
; NumAgprs: 0
; TotalNumVgprs: 83
; ScratchSize: 0
; MemoryBound: 0
; FloatMode: 240
; IeeeMode: 1
; LDSByteSize: 28680 bytes/workgroup (compile time only)
; SGPRBlocks: 5
; VGPRBlocks: 10
; NumSGPRsForWavesPerEU: 48
; NumVGPRsForWavesPerEU: 83
; AccumOffset: 84
; Occupancy: 4
; WaveLimiterHint : 1
; COMPUTE_PGM_RSRC2:SCRATCH_EN: 0
; COMPUTE_PGM_RSRC2:USER_SGPR: 2
; COMPUTE_PGM_RSRC2:TRAP_HANDLER: 0
; COMPUTE_PGM_RSRC2:TGID_X_EN: 1
; COMPUTE_PGM_RSRC2:TGID_Y_EN: 0
; COMPUTE_PGM_RSRC2:TGID_Z_EN: 0
; COMPUTE_PGM_RSRC2:TIDIG_COMP_CNT: 0
; COMPUTE_PGM_RSRC3_GFX90A:ACCUM_OFFSET: 20
; COMPUTE_PGM_RSRC3_GFX90A:TG_SPLIT: 0
	.section	.text._ZN7rocprim17ROCPRIM_400000_NS6detail17trampoline_kernelINS0_14default_configENS1_25partition_config_selectorILNS1_17partition_subalgoE1EtNS0_10empty_typeEbEEZZNS1_14partition_implILS5_1ELb0ES3_jN6thrust23THRUST_200600_302600_NS6detail15normal_iteratorINSA_10device_ptrItEEEEPS6_NSA_18transform_iteratorI7is_evenItESF_NSA_11use_defaultESK_EENS0_5tupleIJNSA_16discard_iteratorISK_EESF_EEENSM_IJSG_SG_EEES6_PlJS6_EEE10hipError_tPvRmT3_T4_T5_T6_T7_T9_mT8_P12ihipStream_tbDpT10_ENKUlT_T0_E_clISt17integral_constantIbLb0EES1A_IbLb1EEEEDaS16_S17_EUlS16_E_NS1_11comp_targetILNS1_3genE4ELNS1_11target_archE910ELNS1_3gpuE8ELNS1_3repE0EEENS1_30default_config_static_selectorELNS0_4arch9wavefront6targetE1EEEvT1_,"axG",@progbits,_ZN7rocprim17ROCPRIM_400000_NS6detail17trampoline_kernelINS0_14default_configENS1_25partition_config_selectorILNS1_17partition_subalgoE1EtNS0_10empty_typeEbEEZZNS1_14partition_implILS5_1ELb0ES3_jN6thrust23THRUST_200600_302600_NS6detail15normal_iteratorINSA_10device_ptrItEEEEPS6_NSA_18transform_iteratorI7is_evenItESF_NSA_11use_defaultESK_EENS0_5tupleIJNSA_16discard_iteratorISK_EESF_EEENSM_IJSG_SG_EEES6_PlJS6_EEE10hipError_tPvRmT3_T4_T5_T6_T7_T9_mT8_P12ihipStream_tbDpT10_ENKUlT_T0_E_clISt17integral_constantIbLb0EES1A_IbLb1EEEEDaS16_S17_EUlS16_E_NS1_11comp_targetILNS1_3genE4ELNS1_11target_archE910ELNS1_3gpuE8ELNS1_3repE0EEENS1_30default_config_static_selectorELNS0_4arch9wavefront6targetE1EEEvT1_,comdat
	.protected	_ZN7rocprim17ROCPRIM_400000_NS6detail17trampoline_kernelINS0_14default_configENS1_25partition_config_selectorILNS1_17partition_subalgoE1EtNS0_10empty_typeEbEEZZNS1_14partition_implILS5_1ELb0ES3_jN6thrust23THRUST_200600_302600_NS6detail15normal_iteratorINSA_10device_ptrItEEEEPS6_NSA_18transform_iteratorI7is_evenItESF_NSA_11use_defaultESK_EENS0_5tupleIJNSA_16discard_iteratorISK_EESF_EEENSM_IJSG_SG_EEES6_PlJS6_EEE10hipError_tPvRmT3_T4_T5_T6_T7_T9_mT8_P12ihipStream_tbDpT10_ENKUlT_T0_E_clISt17integral_constantIbLb0EES1A_IbLb1EEEEDaS16_S17_EUlS16_E_NS1_11comp_targetILNS1_3genE4ELNS1_11target_archE910ELNS1_3gpuE8ELNS1_3repE0EEENS1_30default_config_static_selectorELNS0_4arch9wavefront6targetE1EEEvT1_ ; -- Begin function _ZN7rocprim17ROCPRIM_400000_NS6detail17trampoline_kernelINS0_14default_configENS1_25partition_config_selectorILNS1_17partition_subalgoE1EtNS0_10empty_typeEbEEZZNS1_14partition_implILS5_1ELb0ES3_jN6thrust23THRUST_200600_302600_NS6detail15normal_iteratorINSA_10device_ptrItEEEEPS6_NSA_18transform_iteratorI7is_evenItESF_NSA_11use_defaultESK_EENS0_5tupleIJNSA_16discard_iteratorISK_EESF_EEENSM_IJSG_SG_EEES6_PlJS6_EEE10hipError_tPvRmT3_T4_T5_T6_T7_T9_mT8_P12ihipStream_tbDpT10_ENKUlT_T0_E_clISt17integral_constantIbLb0EES1A_IbLb1EEEEDaS16_S17_EUlS16_E_NS1_11comp_targetILNS1_3genE4ELNS1_11target_archE910ELNS1_3gpuE8ELNS1_3repE0EEENS1_30default_config_static_selectorELNS0_4arch9wavefront6targetE1EEEvT1_
	.globl	_ZN7rocprim17ROCPRIM_400000_NS6detail17trampoline_kernelINS0_14default_configENS1_25partition_config_selectorILNS1_17partition_subalgoE1EtNS0_10empty_typeEbEEZZNS1_14partition_implILS5_1ELb0ES3_jN6thrust23THRUST_200600_302600_NS6detail15normal_iteratorINSA_10device_ptrItEEEEPS6_NSA_18transform_iteratorI7is_evenItESF_NSA_11use_defaultESK_EENS0_5tupleIJNSA_16discard_iteratorISK_EESF_EEENSM_IJSG_SG_EEES6_PlJS6_EEE10hipError_tPvRmT3_T4_T5_T6_T7_T9_mT8_P12ihipStream_tbDpT10_ENKUlT_T0_E_clISt17integral_constantIbLb0EES1A_IbLb1EEEEDaS16_S17_EUlS16_E_NS1_11comp_targetILNS1_3genE4ELNS1_11target_archE910ELNS1_3gpuE8ELNS1_3repE0EEENS1_30default_config_static_selectorELNS0_4arch9wavefront6targetE1EEEvT1_
	.p2align	8
	.type	_ZN7rocprim17ROCPRIM_400000_NS6detail17trampoline_kernelINS0_14default_configENS1_25partition_config_selectorILNS1_17partition_subalgoE1EtNS0_10empty_typeEbEEZZNS1_14partition_implILS5_1ELb0ES3_jN6thrust23THRUST_200600_302600_NS6detail15normal_iteratorINSA_10device_ptrItEEEEPS6_NSA_18transform_iteratorI7is_evenItESF_NSA_11use_defaultESK_EENS0_5tupleIJNSA_16discard_iteratorISK_EESF_EEENSM_IJSG_SG_EEES6_PlJS6_EEE10hipError_tPvRmT3_T4_T5_T6_T7_T9_mT8_P12ihipStream_tbDpT10_ENKUlT_T0_E_clISt17integral_constantIbLb0EES1A_IbLb1EEEEDaS16_S17_EUlS16_E_NS1_11comp_targetILNS1_3genE4ELNS1_11target_archE910ELNS1_3gpuE8ELNS1_3repE0EEENS1_30default_config_static_selectorELNS0_4arch9wavefront6targetE1EEEvT1_,@function
_ZN7rocprim17ROCPRIM_400000_NS6detail17trampoline_kernelINS0_14default_configENS1_25partition_config_selectorILNS1_17partition_subalgoE1EtNS0_10empty_typeEbEEZZNS1_14partition_implILS5_1ELb0ES3_jN6thrust23THRUST_200600_302600_NS6detail15normal_iteratorINSA_10device_ptrItEEEEPS6_NSA_18transform_iteratorI7is_evenItESF_NSA_11use_defaultESK_EENS0_5tupleIJNSA_16discard_iteratorISK_EESF_EEENSM_IJSG_SG_EEES6_PlJS6_EEE10hipError_tPvRmT3_T4_T5_T6_T7_T9_mT8_P12ihipStream_tbDpT10_ENKUlT_T0_E_clISt17integral_constantIbLb0EES1A_IbLb1EEEEDaS16_S17_EUlS16_E_NS1_11comp_targetILNS1_3genE4ELNS1_11target_archE910ELNS1_3gpuE8ELNS1_3repE0EEENS1_30default_config_static_selectorELNS0_4arch9wavefront6targetE1EEEvT1_: ; @_ZN7rocprim17ROCPRIM_400000_NS6detail17trampoline_kernelINS0_14default_configENS1_25partition_config_selectorILNS1_17partition_subalgoE1EtNS0_10empty_typeEbEEZZNS1_14partition_implILS5_1ELb0ES3_jN6thrust23THRUST_200600_302600_NS6detail15normal_iteratorINSA_10device_ptrItEEEEPS6_NSA_18transform_iteratorI7is_evenItESF_NSA_11use_defaultESK_EENS0_5tupleIJNSA_16discard_iteratorISK_EESF_EEENSM_IJSG_SG_EEES6_PlJS6_EEE10hipError_tPvRmT3_T4_T5_T6_T7_T9_mT8_P12ihipStream_tbDpT10_ENKUlT_T0_E_clISt17integral_constantIbLb0EES1A_IbLb1EEEEDaS16_S17_EUlS16_E_NS1_11comp_targetILNS1_3genE4ELNS1_11target_archE910ELNS1_3gpuE8ELNS1_3repE0EEENS1_30default_config_static_selectorELNS0_4arch9wavefront6targetE1EEEvT1_
; %bb.0:
	.section	.rodata,"a",@progbits
	.p2align	6, 0x0
	.amdhsa_kernel _ZN7rocprim17ROCPRIM_400000_NS6detail17trampoline_kernelINS0_14default_configENS1_25partition_config_selectorILNS1_17partition_subalgoE1EtNS0_10empty_typeEbEEZZNS1_14partition_implILS5_1ELb0ES3_jN6thrust23THRUST_200600_302600_NS6detail15normal_iteratorINSA_10device_ptrItEEEEPS6_NSA_18transform_iteratorI7is_evenItESF_NSA_11use_defaultESK_EENS0_5tupleIJNSA_16discard_iteratorISK_EESF_EEENSM_IJSG_SG_EEES6_PlJS6_EEE10hipError_tPvRmT3_T4_T5_T6_T7_T9_mT8_P12ihipStream_tbDpT10_ENKUlT_T0_E_clISt17integral_constantIbLb0EES1A_IbLb1EEEEDaS16_S17_EUlS16_E_NS1_11comp_targetILNS1_3genE4ELNS1_11target_archE910ELNS1_3gpuE8ELNS1_3repE0EEENS1_30default_config_static_selectorELNS0_4arch9wavefront6targetE1EEEvT1_
		.amdhsa_group_segment_fixed_size 0
		.amdhsa_private_segment_fixed_size 0
		.amdhsa_kernarg_size 152
		.amdhsa_user_sgpr_count 2
		.amdhsa_user_sgpr_dispatch_ptr 0
		.amdhsa_user_sgpr_queue_ptr 0
		.amdhsa_user_sgpr_kernarg_segment_ptr 1
		.amdhsa_user_sgpr_dispatch_id 0
		.amdhsa_user_sgpr_kernarg_preload_length 0
		.amdhsa_user_sgpr_kernarg_preload_offset 0
		.amdhsa_user_sgpr_private_segment_size 0
		.amdhsa_uses_dynamic_stack 0
		.amdhsa_enable_private_segment 0
		.amdhsa_system_sgpr_workgroup_id_x 1
		.amdhsa_system_sgpr_workgroup_id_y 0
		.amdhsa_system_sgpr_workgroup_id_z 0
		.amdhsa_system_sgpr_workgroup_info 0
		.amdhsa_system_vgpr_workitem_id 0
		.amdhsa_next_free_vgpr 1
		.amdhsa_next_free_sgpr 0
		.amdhsa_accum_offset 4
		.amdhsa_reserve_vcc 0
		.amdhsa_float_round_mode_32 0
		.amdhsa_float_round_mode_16_64 0
		.amdhsa_float_denorm_mode_32 3
		.amdhsa_float_denorm_mode_16_64 3
		.amdhsa_dx10_clamp 1
		.amdhsa_ieee_mode 1
		.amdhsa_fp16_overflow 0
		.amdhsa_tg_split 0
		.amdhsa_exception_fp_ieee_invalid_op 0
		.amdhsa_exception_fp_denorm_src 0
		.amdhsa_exception_fp_ieee_div_zero 0
		.amdhsa_exception_fp_ieee_overflow 0
		.amdhsa_exception_fp_ieee_underflow 0
		.amdhsa_exception_fp_ieee_inexact 0
		.amdhsa_exception_int_div_zero 0
	.end_amdhsa_kernel
	.section	.text._ZN7rocprim17ROCPRIM_400000_NS6detail17trampoline_kernelINS0_14default_configENS1_25partition_config_selectorILNS1_17partition_subalgoE1EtNS0_10empty_typeEbEEZZNS1_14partition_implILS5_1ELb0ES3_jN6thrust23THRUST_200600_302600_NS6detail15normal_iteratorINSA_10device_ptrItEEEEPS6_NSA_18transform_iteratorI7is_evenItESF_NSA_11use_defaultESK_EENS0_5tupleIJNSA_16discard_iteratorISK_EESF_EEENSM_IJSG_SG_EEES6_PlJS6_EEE10hipError_tPvRmT3_T4_T5_T6_T7_T9_mT8_P12ihipStream_tbDpT10_ENKUlT_T0_E_clISt17integral_constantIbLb0EES1A_IbLb1EEEEDaS16_S17_EUlS16_E_NS1_11comp_targetILNS1_3genE4ELNS1_11target_archE910ELNS1_3gpuE8ELNS1_3repE0EEENS1_30default_config_static_selectorELNS0_4arch9wavefront6targetE1EEEvT1_,"axG",@progbits,_ZN7rocprim17ROCPRIM_400000_NS6detail17trampoline_kernelINS0_14default_configENS1_25partition_config_selectorILNS1_17partition_subalgoE1EtNS0_10empty_typeEbEEZZNS1_14partition_implILS5_1ELb0ES3_jN6thrust23THRUST_200600_302600_NS6detail15normal_iteratorINSA_10device_ptrItEEEEPS6_NSA_18transform_iteratorI7is_evenItESF_NSA_11use_defaultESK_EENS0_5tupleIJNSA_16discard_iteratorISK_EESF_EEENSM_IJSG_SG_EEES6_PlJS6_EEE10hipError_tPvRmT3_T4_T5_T6_T7_T9_mT8_P12ihipStream_tbDpT10_ENKUlT_T0_E_clISt17integral_constantIbLb0EES1A_IbLb1EEEEDaS16_S17_EUlS16_E_NS1_11comp_targetILNS1_3genE4ELNS1_11target_archE910ELNS1_3gpuE8ELNS1_3repE0EEENS1_30default_config_static_selectorELNS0_4arch9wavefront6targetE1EEEvT1_,comdat
.Lfunc_end3157:
	.size	_ZN7rocprim17ROCPRIM_400000_NS6detail17trampoline_kernelINS0_14default_configENS1_25partition_config_selectorILNS1_17partition_subalgoE1EtNS0_10empty_typeEbEEZZNS1_14partition_implILS5_1ELb0ES3_jN6thrust23THRUST_200600_302600_NS6detail15normal_iteratorINSA_10device_ptrItEEEEPS6_NSA_18transform_iteratorI7is_evenItESF_NSA_11use_defaultESK_EENS0_5tupleIJNSA_16discard_iteratorISK_EESF_EEENSM_IJSG_SG_EEES6_PlJS6_EEE10hipError_tPvRmT3_T4_T5_T6_T7_T9_mT8_P12ihipStream_tbDpT10_ENKUlT_T0_E_clISt17integral_constantIbLb0EES1A_IbLb1EEEEDaS16_S17_EUlS16_E_NS1_11comp_targetILNS1_3genE4ELNS1_11target_archE910ELNS1_3gpuE8ELNS1_3repE0EEENS1_30default_config_static_selectorELNS0_4arch9wavefront6targetE1EEEvT1_, .Lfunc_end3157-_ZN7rocprim17ROCPRIM_400000_NS6detail17trampoline_kernelINS0_14default_configENS1_25partition_config_selectorILNS1_17partition_subalgoE1EtNS0_10empty_typeEbEEZZNS1_14partition_implILS5_1ELb0ES3_jN6thrust23THRUST_200600_302600_NS6detail15normal_iteratorINSA_10device_ptrItEEEEPS6_NSA_18transform_iteratorI7is_evenItESF_NSA_11use_defaultESK_EENS0_5tupleIJNSA_16discard_iteratorISK_EESF_EEENSM_IJSG_SG_EEES6_PlJS6_EEE10hipError_tPvRmT3_T4_T5_T6_T7_T9_mT8_P12ihipStream_tbDpT10_ENKUlT_T0_E_clISt17integral_constantIbLb0EES1A_IbLb1EEEEDaS16_S17_EUlS16_E_NS1_11comp_targetILNS1_3genE4ELNS1_11target_archE910ELNS1_3gpuE8ELNS1_3repE0EEENS1_30default_config_static_selectorELNS0_4arch9wavefront6targetE1EEEvT1_
                                        ; -- End function
	.section	.AMDGPU.csdata,"",@progbits
; Kernel info:
; codeLenInByte = 0
; NumSgprs: 6
; NumVgprs: 0
; NumAgprs: 0
; TotalNumVgprs: 0
; ScratchSize: 0
; MemoryBound: 0
; FloatMode: 240
; IeeeMode: 1
; LDSByteSize: 0 bytes/workgroup (compile time only)
; SGPRBlocks: 0
; VGPRBlocks: 0
; NumSGPRsForWavesPerEU: 6
; NumVGPRsForWavesPerEU: 1
; AccumOffset: 4
; Occupancy: 8
; WaveLimiterHint : 0
; COMPUTE_PGM_RSRC2:SCRATCH_EN: 0
; COMPUTE_PGM_RSRC2:USER_SGPR: 2
; COMPUTE_PGM_RSRC2:TRAP_HANDLER: 0
; COMPUTE_PGM_RSRC2:TGID_X_EN: 1
; COMPUTE_PGM_RSRC2:TGID_Y_EN: 0
; COMPUTE_PGM_RSRC2:TGID_Z_EN: 0
; COMPUTE_PGM_RSRC2:TIDIG_COMP_CNT: 0
; COMPUTE_PGM_RSRC3_GFX90A:ACCUM_OFFSET: 0
; COMPUTE_PGM_RSRC3_GFX90A:TG_SPLIT: 0
	.section	.text._ZN7rocprim17ROCPRIM_400000_NS6detail17trampoline_kernelINS0_14default_configENS1_25partition_config_selectorILNS1_17partition_subalgoE1EtNS0_10empty_typeEbEEZZNS1_14partition_implILS5_1ELb0ES3_jN6thrust23THRUST_200600_302600_NS6detail15normal_iteratorINSA_10device_ptrItEEEEPS6_NSA_18transform_iteratorI7is_evenItESF_NSA_11use_defaultESK_EENS0_5tupleIJNSA_16discard_iteratorISK_EESF_EEENSM_IJSG_SG_EEES6_PlJS6_EEE10hipError_tPvRmT3_T4_T5_T6_T7_T9_mT8_P12ihipStream_tbDpT10_ENKUlT_T0_E_clISt17integral_constantIbLb0EES1A_IbLb1EEEEDaS16_S17_EUlS16_E_NS1_11comp_targetILNS1_3genE3ELNS1_11target_archE908ELNS1_3gpuE7ELNS1_3repE0EEENS1_30default_config_static_selectorELNS0_4arch9wavefront6targetE1EEEvT1_,"axG",@progbits,_ZN7rocprim17ROCPRIM_400000_NS6detail17trampoline_kernelINS0_14default_configENS1_25partition_config_selectorILNS1_17partition_subalgoE1EtNS0_10empty_typeEbEEZZNS1_14partition_implILS5_1ELb0ES3_jN6thrust23THRUST_200600_302600_NS6detail15normal_iteratorINSA_10device_ptrItEEEEPS6_NSA_18transform_iteratorI7is_evenItESF_NSA_11use_defaultESK_EENS0_5tupleIJNSA_16discard_iteratorISK_EESF_EEENSM_IJSG_SG_EEES6_PlJS6_EEE10hipError_tPvRmT3_T4_T5_T6_T7_T9_mT8_P12ihipStream_tbDpT10_ENKUlT_T0_E_clISt17integral_constantIbLb0EES1A_IbLb1EEEEDaS16_S17_EUlS16_E_NS1_11comp_targetILNS1_3genE3ELNS1_11target_archE908ELNS1_3gpuE7ELNS1_3repE0EEENS1_30default_config_static_selectorELNS0_4arch9wavefront6targetE1EEEvT1_,comdat
	.protected	_ZN7rocprim17ROCPRIM_400000_NS6detail17trampoline_kernelINS0_14default_configENS1_25partition_config_selectorILNS1_17partition_subalgoE1EtNS0_10empty_typeEbEEZZNS1_14partition_implILS5_1ELb0ES3_jN6thrust23THRUST_200600_302600_NS6detail15normal_iteratorINSA_10device_ptrItEEEEPS6_NSA_18transform_iteratorI7is_evenItESF_NSA_11use_defaultESK_EENS0_5tupleIJNSA_16discard_iteratorISK_EESF_EEENSM_IJSG_SG_EEES6_PlJS6_EEE10hipError_tPvRmT3_T4_T5_T6_T7_T9_mT8_P12ihipStream_tbDpT10_ENKUlT_T0_E_clISt17integral_constantIbLb0EES1A_IbLb1EEEEDaS16_S17_EUlS16_E_NS1_11comp_targetILNS1_3genE3ELNS1_11target_archE908ELNS1_3gpuE7ELNS1_3repE0EEENS1_30default_config_static_selectorELNS0_4arch9wavefront6targetE1EEEvT1_ ; -- Begin function _ZN7rocprim17ROCPRIM_400000_NS6detail17trampoline_kernelINS0_14default_configENS1_25partition_config_selectorILNS1_17partition_subalgoE1EtNS0_10empty_typeEbEEZZNS1_14partition_implILS5_1ELb0ES3_jN6thrust23THRUST_200600_302600_NS6detail15normal_iteratorINSA_10device_ptrItEEEEPS6_NSA_18transform_iteratorI7is_evenItESF_NSA_11use_defaultESK_EENS0_5tupleIJNSA_16discard_iteratorISK_EESF_EEENSM_IJSG_SG_EEES6_PlJS6_EEE10hipError_tPvRmT3_T4_T5_T6_T7_T9_mT8_P12ihipStream_tbDpT10_ENKUlT_T0_E_clISt17integral_constantIbLb0EES1A_IbLb1EEEEDaS16_S17_EUlS16_E_NS1_11comp_targetILNS1_3genE3ELNS1_11target_archE908ELNS1_3gpuE7ELNS1_3repE0EEENS1_30default_config_static_selectorELNS0_4arch9wavefront6targetE1EEEvT1_
	.globl	_ZN7rocprim17ROCPRIM_400000_NS6detail17trampoline_kernelINS0_14default_configENS1_25partition_config_selectorILNS1_17partition_subalgoE1EtNS0_10empty_typeEbEEZZNS1_14partition_implILS5_1ELb0ES3_jN6thrust23THRUST_200600_302600_NS6detail15normal_iteratorINSA_10device_ptrItEEEEPS6_NSA_18transform_iteratorI7is_evenItESF_NSA_11use_defaultESK_EENS0_5tupleIJNSA_16discard_iteratorISK_EESF_EEENSM_IJSG_SG_EEES6_PlJS6_EEE10hipError_tPvRmT3_T4_T5_T6_T7_T9_mT8_P12ihipStream_tbDpT10_ENKUlT_T0_E_clISt17integral_constantIbLb0EES1A_IbLb1EEEEDaS16_S17_EUlS16_E_NS1_11comp_targetILNS1_3genE3ELNS1_11target_archE908ELNS1_3gpuE7ELNS1_3repE0EEENS1_30default_config_static_selectorELNS0_4arch9wavefront6targetE1EEEvT1_
	.p2align	8
	.type	_ZN7rocprim17ROCPRIM_400000_NS6detail17trampoline_kernelINS0_14default_configENS1_25partition_config_selectorILNS1_17partition_subalgoE1EtNS0_10empty_typeEbEEZZNS1_14partition_implILS5_1ELb0ES3_jN6thrust23THRUST_200600_302600_NS6detail15normal_iteratorINSA_10device_ptrItEEEEPS6_NSA_18transform_iteratorI7is_evenItESF_NSA_11use_defaultESK_EENS0_5tupleIJNSA_16discard_iteratorISK_EESF_EEENSM_IJSG_SG_EEES6_PlJS6_EEE10hipError_tPvRmT3_T4_T5_T6_T7_T9_mT8_P12ihipStream_tbDpT10_ENKUlT_T0_E_clISt17integral_constantIbLb0EES1A_IbLb1EEEEDaS16_S17_EUlS16_E_NS1_11comp_targetILNS1_3genE3ELNS1_11target_archE908ELNS1_3gpuE7ELNS1_3repE0EEENS1_30default_config_static_selectorELNS0_4arch9wavefront6targetE1EEEvT1_,@function
_ZN7rocprim17ROCPRIM_400000_NS6detail17trampoline_kernelINS0_14default_configENS1_25partition_config_selectorILNS1_17partition_subalgoE1EtNS0_10empty_typeEbEEZZNS1_14partition_implILS5_1ELb0ES3_jN6thrust23THRUST_200600_302600_NS6detail15normal_iteratorINSA_10device_ptrItEEEEPS6_NSA_18transform_iteratorI7is_evenItESF_NSA_11use_defaultESK_EENS0_5tupleIJNSA_16discard_iteratorISK_EESF_EEENSM_IJSG_SG_EEES6_PlJS6_EEE10hipError_tPvRmT3_T4_T5_T6_T7_T9_mT8_P12ihipStream_tbDpT10_ENKUlT_T0_E_clISt17integral_constantIbLb0EES1A_IbLb1EEEEDaS16_S17_EUlS16_E_NS1_11comp_targetILNS1_3genE3ELNS1_11target_archE908ELNS1_3gpuE7ELNS1_3repE0EEENS1_30default_config_static_selectorELNS0_4arch9wavefront6targetE1EEEvT1_: ; @_ZN7rocprim17ROCPRIM_400000_NS6detail17trampoline_kernelINS0_14default_configENS1_25partition_config_selectorILNS1_17partition_subalgoE1EtNS0_10empty_typeEbEEZZNS1_14partition_implILS5_1ELb0ES3_jN6thrust23THRUST_200600_302600_NS6detail15normal_iteratorINSA_10device_ptrItEEEEPS6_NSA_18transform_iteratorI7is_evenItESF_NSA_11use_defaultESK_EENS0_5tupleIJNSA_16discard_iteratorISK_EESF_EEENSM_IJSG_SG_EEES6_PlJS6_EEE10hipError_tPvRmT3_T4_T5_T6_T7_T9_mT8_P12ihipStream_tbDpT10_ENKUlT_T0_E_clISt17integral_constantIbLb0EES1A_IbLb1EEEEDaS16_S17_EUlS16_E_NS1_11comp_targetILNS1_3genE3ELNS1_11target_archE908ELNS1_3gpuE7ELNS1_3repE0EEENS1_30default_config_static_selectorELNS0_4arch9wavefront6targetE1EEEvT1_
; %bb.0:
	.section	.rodata,"a",@progbits
	.p2align	6, 0x0
	.amdhsa_kernel _ZN7rocprim17ROCPRIM_400000_NS6detail17trampoline_kernelINS0_14default_configENS1_25partition_config_selectorILNS1_17partition_subalgoE1EtNS0_10empty_typeEbEEZZNS1_14partition_implILS5_1ELb0ES3_jN6thrust23THRUST_200600_302600_NS6detail15normal_iteratorINSA_10device_ptrItEEEEPS6_NSA_18transform_iteratorI7is_evenItESF_NSA_11use_defaultESK_EENS0_5tupleIJNSA_16discard_iteratorISK_EESF_EEENSM_IJSG_SG_EEES6_PlJS6_EEE10hipError_tPvRmT3_T4_T5_T6_T7_T9_mT8_P12ihipStream_tbDpT10_ENKUlT_T0_E_clISt17integral_constantIbLb0EES1A_IbLb1EEEEDaS16_S17_EUlS16_E_NS1_11comp_targetILNS1_3genE3ELNS1_11target_archE908ELNS1_3gpuE7ELNS1_3repE0EEENS1_30default_config_static_selectorELNS0_4arch9wavefront6targetE1EEEvT1_
		.amdhsa_group_segment_fixed_size 0
		.amdhsa_private_segment_fixed_size 0
		.amdhsa_kernarg_size 152
		.amdhsa_user_sgpr_count 2
		.amdhsa_user_sgpr_dispatch_ptr 0
		.amdhsa_user_sgpr_queue_ptr 0
		.amdhsa_user_sgpr_kernarg_segment_ptr 1
		.amdhsa_user_sgpr_dispatch_id 0
		.amdhsa_user_sgpr_kernarg_preload_length 0
		.amdhsa_user_sgpr_kernarg_preload_offset 0
		.amdhsa_user_sgpr_private_segment_size 0
		.amdhsa_uses_dynamic_stack 0
		.amdhsa_enable_private_segment 0
		.amdhsa_system_sgpr_workgroup_id_x 1
		.amdhsa_system_sgpr_workgroup_id_y 0
		.amdhsa_system_sgpr_workgroup_id_z 0
		.amdhsa_system_sgpr_workgroup_info 0
		.amdhsa_system_vgpr_workitem_id 0
		.amdhsa_next_free_vgpr 1
		.amdhsa_next_free_sgpr 0
		.amdhsa_accum_offset 4
		.amdhsa_reserve_vcc 0
		.amdhsa_float_round_mode_32 0
		.amdhsa_float_round_mode_16_64 0
		.amdhsa_float_denorm_mode_32 3
		.amdhsa_float_denorm_mode_16_64 3
		.amdhsa_dx10_clamp 1
		.amdhsa_ieee_mode 1
		.amdhsa_fp16_overflow 0
		.amdhsa_tg_split 0
		.amdhsa_exception_fp_ieee_invalid_op 0
		.amdhsa_exception_fp_denorm_src 0
		.amdhsa_exception_fp_ieee_div_zero 0
		.amdhsa_exception_fp_ieee_overflow 0
		.amdhsa_exception_fp_ieee_underflow 0
		.amdhsa_exception_fp_ieee_inexact 0
		.amdhsa_exception_int_div_zero 0
	.end_amdhsa_kernel
	.section	.text._ZN7rocprim17ROCPRIM_400000_NS6detail17trampoline_kernelINS0_14default_configENS1_25partition_config_selectorILNS1_17partition_subalgoE1EtNS0_10empty_typeEbEEZZNS1_14partition_implILS5_1ELb0ES3_jN6thrust23THRUST_200600_302600_NS6detail15normal_iteratorINSA_10device_ptrItEEEEPS6_NSA_18transform_iteratorI7is_evenItESF_NSA_11use_defaultESK_EENS0_5tupleIJNSA_16discard_iteratorISK_EESF_EEENSM_IJSG_SG_EEES6_PlJS6_EEE10hipError_tPvRmT3_T4_T5_T6_T7_T9_mT8_P12ihipStream_tbDpT10_ENKUlT_T0_E_clISt17integral_constantIbLb0EES1A_IbLb1EEEEDaS16_S17_EUlS16_E_NS1_11comp_targetILNS1_3genE3ELNS1_11target_archE908ELNS1_3gpuE7ELNS1_3repE0EEENS1_30default_config_static_selectorELNS0_4arch9wavefront6targetE1EEEvT1_,"axG",@progbits,_ZN7rocprim17ROCPRIM_400000_NS6detail17trampoline_kernelINS0_14default_configENS1_25partition_config_selectorILNS1_17partition_subalgoE1EtNS0_10empty_typeEbEEZZNS1_14partition_implILS5_1ELb0ES3_jN6thrust23THRUST_200600_302600_NS6detail15normal_iteratorINSA_10device_ptrItEEEEPS6_NSA_18transform_iteratorI7is_evenItESF_NSA_11use_defaultESK_EENS0_5tupleIJNSA_16discard_iteratorISK_EESF_EEENSM_IJSG_SG_EEES6_PlJS6_EEE10hipError_tPvRmT3_T4_T5_T6_T7_T9_mT8_P12ihipStream_tbDpT10_ENKUlT_T0_E_clISt17integral_constantIbLb0EES1A_IbLb1EEEEDaS16_S17_EUlS16_E_NS1_11comp_targetILNS1_3genE3ELNS1_11target_archE908ELNS1_3gpuE7ELNS1_3repE0EEENS1_30default_config_static_selectorELNS0_4arch9wavefront6targetE1EEEvT1_,comdat
.Lfunc_end3158:
	.size	_ZN7rocprim17ROCPRIM_400000_NS6detail17trampoline_kernelINS0_14default_configENS1_25partition_config_selectorILNS1_17partition_subalgoE1EtNS0_10empty_typeEbEEZZNS1_14partition_implILS5_1ELb0ES3_jN6thrust23THRUST_200600_302600_NS6detail15normal_iteratorINSA_10device_ptrItEEEEPS6_NSA_18transform_iteratorI7is_evenItESF_NSA_11use_defaultESK_EENS0_5tupleIJNSA_16discard_iteratorISK_EESF_EEENSM_IJSG_SG_EEES6_PlJS6_EEE10hipError_tPvRmT3_T4_T5_T6_T7_T9_mT8_P12ihipStream_tbDpT10_ENKUlT_T0_E_clISt17integral_constantIbLb0EES1A_IbLb1EEEEDaS16_S17_EUlS16_E_NS1_11comp_targetILNS1_3genE3ELNS1_11target_archE908ELNS1_3gpuE7ELNS1_3repE0EEENS1_30default_config_static_selectorELNS0_4arch9wavefront6targetE1EEEvT1_, .Lfunc_end3158-_ZN7rocprim17ROCPRIM_400000_NS6detail17trampoline_kernelINS0_14default_configENS1_25partition_config_selectorILNS1_17partition_subalgoE1EtNS0_10empty_typeEbEEZZNS1_14partition_implILS5_1ELb0ES3_jN6thrust23THRUST_200600_302600_NS6detail15normal_iteratorINSA_10device_ptrItEEEEPS6_NSA_18transform_iteratorI7is_evenItESF_NSA_11use_defaultESK_EENS0_5tupleIJNSA_16discard_iteratorISK_EESF_EEENSM_IJSG_SG_EEES6_PlJS6_EEE10hipError_tPvRmT3_T4_T5_T6_T7_T9_mT8_P12ihipStream_tbDpT10_ENKUlT_T0_E_clISt17integral_constantIbLb0EES1A_IbLb1EEEEDaS16_S17_EUlS16_E_NS1_11comp_targetILNS1_3genE3ELNS1_11target_archE908ELNS1_3gpuE7ELNS1_3repE0EEENS1_30default_config_static_selectorELNS0_4arch9wavefront6targetE1EEEvT1_
                                        ; -- End function
	.section	.AMDGPU.csdata,"",@progbits
; Kernel info:
; codeLenInByte = 0
; NumSgprs: 6
; NumVgprs: 0
; NumAgprs: 0
; TotalNumVgprs: 0
; ScratchSize: 0
; MemoryBound: 0
; FloatMode: 240
; IeeeMode: 1
; LDSByteSize: 0 bytes/workgroup (compile time only)
; SGPRBlocks: 0
; VGPRBlocks: 0
; NumSGPRsForWavesPerEU: 6
; NumVGPRsForWavesPerEU: 1
; AccumOffset: 4
; Occupancy: 8
; WaveLimiterHint : 0
; COMPUTE_PGM_RSRC2:SCRATCH_EN: 0
; COMPUTE_PGM_RSRC2:USER_SGPR: 2
; COMPUTE_PGM_RSRC2:TRAP_HANDLER: 0
; COMPUTE_PGM_RSRC2:TGID_X_EN: 1
; COMPUTE_PGM_RSRC2:TGID_Y_EN: 0
; COMPUTE_PGM_RSRC2:TGID_Z_EN: 0
; COMPUTE_PGM_RSRC2:TIDIG_COMP_CNT: 0
; COMPUTE_PGM_RSRC3_GFX90A:ACCUM_OFFSET: 0
; COMPUTE_PGM_RSRC3_GFX90A:TG_SPLIT: 0
	.section	.text._ZN7rocprim17ROCPRIM_400000_NS6detail17trampoline_kernelINS0_14default_configENS1_25partition_config_selectorILNS1_17partition_subalgoE1EtNS0_10empty_typeEbEEZZNS1_14partition_implILS5_1ELb0ES3_jN6thrust23THRUST_200600_302600_NS6detail15normal_iteratorINSA_10device_ptrItEEEEPS6_NSA_18transform_iteratorI7is_evenItESF_NSA_11use_defaultESK_EENS0_5tupleIJNSA_16discard_iteratorISK_EESF_EEENSM_IJSG_SG_EEES6_PlJS6_EEE10hipError_tPvRmT3_T4_T5_T6_T7_T9_mT8_P12ihipStream_tbDpT10_ENKUlT_T0_E_clISt17integral_constantIbLb0EES1A_IbLb1EEEEDaS16_S17_EUlS16_E_NS1_11comp_targetILNS1_3genE2ELNS1_11target_archE906ELNS1_3gpuE6ELNS1_3repE0EEENS1_30default_config_static_selectorELNS0_4arch9wavefront6targetE1EEEvT1_,"axG",@progbits,_ZN7rocprim17ROCPRIM_400000_NS6detail17trampoline_kernelINS0_14default_configENS1_25partition_config_selectorILNS1_17partition_subalgoE1EtNS0_10empty_typeEbEEZZNS1_14partition_implILS5_1ELb0ES3_jN6thrust23THRUST_200600_302600_NS6detail15normal_iteratorINSA_10device_ptrItEEEEPS6_NSA_18transform_iteratorI7is_evenItESF_NSA_11use_defaultESK_EENS0_5tupleIJNSA_16discard_iteratorISK_EESF_EEENSM_IJSG_SG_EEES6_PlJS6_EEE10hipError_tPvRmT3_T4_T5_T6_T7_T9_mT8_P12ihipStream_tbDpT10_ENKUlT_T0_E_clISt17integral_constantIbLb0EES1A_IbLb1EEEEDaS16_S17_EUlS16_E_NS1_11comp_targetILNS1_3genE2ELNS1_11target_archE906ELNS1_3gpuE6ELNS1_3repE0EEENS1_30default_config_static_selectorELNS0_4arch9wavefront6targetE1EEEvT1_,comdat
	.protected	_ZN7rocprim17ROCPRIM_400000_NS6detail17trampoline_kernelINS0_14default_configENS1_25partition_config_selectorILNS1_17partition_subalgoE1EtNS0_10empty_typeEbEEZZNS1_14partition_implILS5_1ELb0ES3_jN6thrust23THRUST_200600_302600_NS6detail15normal_iteratorINSA_10device_ptrItEEEEPS6_NSA_18transform_iteratorI7is_evenItESF_NSA_11use_defaultESK_EENS0_5tupleIJNSA_16discard_iteratorISK_EESF_EEENSM_IJSG_SG_EEES6_PlJS6_EEE10hipError_tPvRmT3_T4_T5_T6_T7_T9_mT8_P12ihipStream_tbDpT10_ENKUlT_T0_E_clISt17integral_constantIbLb0EES1A_IbLb1EEEEDaS16_S17_EUlS16_E_NS1_11comp_targetILNS1_3genE2ELNS1_11target_archE906ELNS1_3gpuE6ELNS1_3repE0EEENS1_30default_config_static_selectorELNS0_4arch9wavefront6targetE1EEEvT1_ ; -- Begin function _ZN7rocprim17ROCPRIM_400000_NS6detail17trampoline_kernelINS0_14default_configENS1_25partition_config_selectorILNS1_17partition_subalgoE1EtNS0_10empty_typeEbEEZZNS1_14partition_implILS5_1ELb0ES3_jN6thrust23THRUST_200600_302600_NS6detail15normal_iteratorINSA_10device_ptrItEEEEPS6_NSA_18transform_iteratorI7is_evenItESF_NSA_11use_defaultESK_EENS0_5tupleIJNSA_16discard_iteratorISK_EESF_EEENSM_IJSG_SG_EEES6_PlJS6_EEE10hipError_tPvRmT3_T4_T5_T6_T7_T9_mT8_P12ihipStream_tbDpT10_ENKUlT_T0_E_clISt17integral_constantIbLb0EES1A_IbLb1EEEEDaS16_S17_EUlS16_E_NS1_11comp_targetILNS1_3genE2ELNS1_11target_archE906ELNS1_3gpuE6ELNS1_3repE0EEENS1_30default_config_static_selectorELNS0_4arch9wavefront6targetE1EEEvT1_
	.globl	_ZN7rocprim17ROCPRIM_400000_NS6detail17trampoline_kernelINS0_14default_configENS1_25partition_config_selectorILNS1_17partition_subalgoE1EtNS0_10empty_typeEbEEZZNS1_14partition_implILS5_1ELb0ES3_jN6thrust23THRUST_200600_302600_NS6detail15normal_iteratorINSA_10device_ptrItEEEEPS6_NSA_18transform_iteratorI7is_evenItESF_NSA_11use_defaultESK_EENS0_5tupleIJNSA_16discard_iteratorISK_EESF_EEENSM_IJSG_SG_EEES6_PlJS6_EEE10hipError_tPvRmT3_T4_T5_T6_T7_T9_mT8_P12ihipStream_tbDpT10_ENKUlT_T0_E_clISt17integral_constantIbLb0EES1A_IbLb1EEEEDaS16_S17_EUlS16_E_NS1_11comp_targetILNS1_3genE2ELNS1_11target_archE906ELNS1_3gpuE6ELNS1_3repE0EEENS1_30default_config_static_selectorELNS0_4arch9wavefront6targetE1EEEvT1_
	.p2align	8
	.type	_ZN7rocprim17ROCPRIM_400000_NS6detail17trampoline_kernelINS0_14default_configENS1_25partition_config_selectorILNS1_17partition_subalgoE1EtNS0_10empty_typeEbEEZZNS1_14partition_implILS5_1ELb0ES3_jN6thrust23THRUST_200600_302600_NS6detail15normal_iteratorINSA_10device_ptrItEEEEPS6_NSA_18transform_iteratorI7is_evenItESF_NSA_11use_defaultESK_EENS0_5tupleIJNSA_16discard_iteratorISK_EESF_EEENSM_IJSG_SG_EEES6_PlJS6_EEE10hipError_tPvRmT3_T4_T5_T6_T7_T9_mT8_P12ihipStream_tbDpT10_ENKUlT_T0_E_clISt17integral_constantIbLb0EES1A_IbLb1EEEEDaS16_S17_EUlS16_E_NS1_11comp_targetILNS1_3genE2ELNS1_11target_archE906ELNS1_3gpuE6ELNS1_3repE0EEENS1_30default_config_static_selectorELNS0_4arch9wavefront6targetE1EEEvT1_,@function
_ZN7rocprim17ROCPRIM_400000_NS6detail17trampoline_kernelINS0_14default_configENS1_25partition_config_selectorILNS1_17partition_subalgoE1EtNS0_10empty_typeEbEEZZNS1_14partition_implILS5_1ELb0ES3_jN6thrust23THRUST_200600_302600_NS6detail15normal_iteratorINSA_10device_ptrItEEEEPS6_NSA_18transform_iteratorI7is_evenItESF_NSA_11use_defaultESK_EENS0_5tupleIJNSA_16discard_iteratorISK_EESF_EEENSM_IJSG_SG_EEES6_PlJS6_EEE10hipError_tPvRmT3_T4_T5_T6_T7_T9_mT8_P12ihipStream_tbDpT10_ENKUlT_T0_E_clISt17integral_constantIbLb0EES1A_IbLb1EEEEDaS16_S17_EUlS16_E_NS1_11comp_targetILNS1_3genE2ELNS1_11target_archE906ELNS1_3gpuE6ELNS1_3repE0EEENS1_30default_config_static_selectorELNS0_4arch9wavefront6targetE1EEEvT1_: ; @_ZN7rocprim17ROCPRIM_400000_NS6detail17trampoline_kernelINS0_14default_configENS1_25partition_config_selectorILNS1_17partition_subalgoE1EtNS0_10empty_typeEbEEZZNS1_14partition_implILS5_1ELb0ES3_jN6thrust23THRUST_200600_302600_NS6detail15normal_iteratorINSA_10device_ptrItEEEEPS6_NSA_18transform_iteratorI7is_evenItESF_NSA_11use_defaultESK_EENS0_5tupleIJNSA_16discard_iteratorISK_EESF_EEENSM_IJSG_SG_EEES6_PlJS6_EEE10hipError_tPvRmT3_T4_T5_T6_T7_T9_mT8_P12ihipStream_tbDpT10_ENKUlT_T0_E_clISt17integral_constantIbLb0EES1A_IbLb1EEEEDaS16_S17_EUlS16_E_NS1_11comp_targetILNS1_3genE2ELNS1_11target_archE906ELNS1_3gpuE6ELNS1_3repE0EEENS1_30default_config_static_selectorELNS0_4arch9wavefront6targetE1EEEvT1_
; %bb.0:
	.section	.rodata,"a",@progbits
	.p2align	6, 0x0
	.amdhsa_kernel _ZN7rocprim17ROCPRIM_400000_NS6detail17trampoline_kernelINS0_14default_configENS1_25partition_config_selectorILNS1_17partition_subalgoE1EtNS0_10empty_typeEbEEZZNS1_14partition_implILS5_1ELb0ES3_jN6thrust23THRUST_200600_302600_NS6detail15normal_iteratorINSA_10device_ptrItEEEEPS6_NSA_18transform_iteratorI7is_evenItESF_NSA_11use_defaultESK_EENS0_5tupleIJNSA_16discard_iteratorISK_EESF_EEENSM_IJSG_SG_EEES6_PlJS6_EEE10hipError_tPvRmT3_T4_T5_T6_T7_T9_mT8_P12ihipStream_tbDpT10_ENKUlT_T0_E_clISt17integral_constantIbLb0EES1A_IbLb1EEEEDaS16_S17_EUlS16_E_NS1_11comp_targetILNS1_3genE2ELNS1_11target_archE906ELNS1_3gpuE6ELNS1_3repE0EEENS1_30default_config_static_selectorELNS0_4arch9wavefront6targetE1EEEvT1_
		.amdhsa_group_segment_fixed_size 0
		.amdhsa_private_segment_fixed_size 0
		.amdhsa_kernarg_size 152
		.amdhsa_user_sgpr_count 2
		.amdhsa_user_sgpr_dispatch_ptr 0
		.amdhsa_user_sgpr_queue_ptr 0
		.amdhsa_user_sgpr_kernarg_segment_ptr 1
		.amdhsa_user_sgpr_dispatch_id 0
		.amdhsa_user_sgpr_kernarg_preload_length 0
		.amdhsa_user_sgpr_kernarg_preload_offset 0
		.amdhsa_user_sgpr_private_segment_size 0
		.amdhsa_uses_dynamic_stack 0
		.amdhsa_enable_private_segment 0
		.amdhsa_system_sgpr_workgroup_id_x 1
		.amdhsa_system_sgpr_workgroup_id_y 0
		.amdhsa_system_sgpr_workgroup_id_z 0
		.amdhsa_system_sgpr_workgroup_info 0
		.amdhsa_system_vgpr_workitem_id 0
		.amdhsa_next_free_vgpr 1
		.amdhsa_next_free_sgpr 0
		.amdhsa_accum_offset 4
		.amdhsa_reserve_vcc 0
		.amdhsa_float_round_mode_32 0
		.amdhsa_float_round_mode_16_64 0
		.amdhsa_float_denorm_mode_32 3
		.amdhsa_float_denorm_mode_16_64 3
		.amdhsa_dx10_clamp 1
		.amdhsa_ieee_mode 1
		.amdhsa_fp16_overflow 0
		.amdhsa_tg_split 0
		.amdhsa_exception_fp_ieee_invalid_op 0
		.amdhsa_exception_fp_denorm_src 0
		.amdhsa_exception_fp_ieee_div_zero 0
		.amdhsa_exception_fp_ieee_overflow 0
		.amdhsa_exception_fp_ieee_underflow 0
		.amdhsa_exception_fp_ieee_inexact 0
		.amdhsa_exception_int_div_zero 0
	.end_amdhsa_kernel
	.section	.text._ZN7rocprim17ROCPRIM_400000_NS6detail17trampoline_kernelINS0_14default_configENS1_25partition_config_selectorILNS1_17partition_subalgoE1EtNS0_10empty_typeEbEEZZNS1_14partition_implILS5_1ELb0ES3_jN6thrust23THRUST_200600_302600_NS6detail15normal_iteratorINSA_10device_ptrItEEEEPS6_NSA_18transform_iteratorI7is_evenItESF_NSA_11use_defaultESK_EENS0_5tupleIJNSA_16discard_iteratorISK_EESF_EEENSM_IJSG_SG_EEES6_PlJS6_EEE10hipError_tPvRmT3_T4_T5_T6_T7_T9_mT8_P12ihipStream_tbDpT10_ENKUlT_T0_E_clISt17integral_constantIbLb0EES1A_IbLb1EEEEDaS16_S17_EUlS16_E_NS1_11comp_targetILNS1_3genE2ELNS1_11target_archE906ELNS1_3gpuE6ELNS1_3repE0EEENS1_30default_config_static_selectorELNS0_4arch9wavefront6targetE1EEEvT1_,"axG",@progbits,_ZN7rocprim17ROCPRIM_400000_NS6detail17trampoline_kernelINS0_14default_configENS1_25partition_config_selectorILNS1_17partition_subalgoE1EtNS0_10empty_typeEbEEZZNS1_14partition_implILS5_1ELb0ES3_jN6thrust23THRUST_200600_302600_NS6detail15normal_iteratorINSA_10device_ptrItEEEEPS6_NSA_18transform_iteratorI7is_evenItESF_NSA_11use_defaultESK_EENS0_5tupleIJNSA_16discard_iteratorISK_EESF_EEENSM_IJSG_SG_EEES6_PlJS6_EEE10hipError_tPvRmT3_T4_T5_T6_T7_T9_mT8_P12ihipStream_tbDpT10_ENKUlT_T0_E_clISt17integral_constantIbLb0EES1A_IbLb1EEEEDaS16_S17_EUlS16_E_NS1_11comp_targetILNS1_3genE2ELNS1_11target_archE906ELNS1_3gpuE6ELNS1_3repE0EEENS1_30default_config_static_selectorELNS0_4arch9wavefront6targetE1EEEvT1_,comdat
.Lfunc_end3159:
	.size	_ZN7rocprim17ROCPRIM_400000_NS6detail17trampoline_kernelINS0_14default_configENS1_25partition_config_selectorILNS1_17partition_subalgoE1EtNS0_10empty_typeEbEEZZNS1_14partition_implILS5_1ELb0ES3_jN6thrust23THRUST_200600_302600_NS6detail15normal_iteratorINSA_10device_ptrItEEEEPS6_NSA_18transform_iteratorI7is_evenItESF_NSA_11use_defaultESK_EENS0_5tupleIJNSA_16discard_iteratorISK_EESF_EEENSM_IJSG_SG_EEES6_PlJS6_EEE10hipError_tPvRmT3_T4_T5_T6_T7_T9_mT8_P12ihipStream_tbDpT10_ENKUlT_T0_E_clISt17integral_constantIbLb0EES1A_IbLb1EEEEDaS16_S17_EUlS16_E_NS1_11comp_targetILNS1_3genE2ELNS1_11target_archE906ELNS1_3gpuE6ELNS1_3repE0EEENS1_30default_config_static_selectorELNS0_4arch9wavefront6targetE1EEEvT1_, .Lfunc_end3159-_ZN7rocprim17ROCPRIM_400000_NS6detail17trampoline_kernelINS0_14default_configENS1_25partition_config_selectorILNS1_17partition_subalgoE1EtNS0_10empty_typeEbEEZZNS1_14partition_implILS5_1ELb0ES3_jN6thrust23THRUST_200600_302600_NS6detail15normal_iteratorINSA_10device_ptrItEEEEPS6_NSA_18transform_iteratorI7is_evenItESF_NSA_11use_defaultESK_EENS0_5tupleIJNSA_16discard_iteratorISK_EESF_EEENSM_IJSG_SG_EEES6_PlJS6_EEE10hipError_tPvRmT3_T4_T5_T6_T7_T9_mT8_P12ihipStream_tbDpT10_ENKUlT_T0_E_clISt17integral_constantIbLb0EES1A_IbLb1EEEEDaS16_S17_EUlS16_E_NS1_11comp_targetILNS1_3genE2ELNS1_11target_archE906ELNS1_3gpuE6ELNS1_3repE0EEENS1_30default_config_static_selectorELNS0_4arch9wavefront6targetE1EEEvT1_
                                        ; -- End function
	.section	.AMDGPU.csdata,"",@progbits
; Kernel info:
; codeLenInByte = 0
; NumSgprs: 6
; NumVgprs: 0
; NumAgprs: 0
; TotalNumVgprs: 0
; ScratchSize: 0
; MemoryBound: 0
; FloatMode: 240
; IeeeMode: 1
; LDSByteSize: 0 bytes/workgroup (compile time only)
; SGPRBlocks: 0
; VGPRBlocks: 0
; NumSGPRsForWavesPerEU: 6
; NumVGPRsForWavesPerEU: 1
; AccumOffset: 4
; Occupancy: 8
; WaveLimiterHint : 0
; COMPUTE_PGM_RSRC2:SCRATCH_EN: 0
; COMPUTE_PGM_RSRC2:USER_SGPR: 2
; COMPUTE_PGM_RSRC2:TRAP_HANDLER: 0
; COMPUTE_PGM_RSRC2:TGID_X_EN: 1
; COMPUTE_PGM_RSRC2:TGID_Y_EN: 0
; COMPUTE_PGM_RSRC2:TGID_Z_EN: 0
; COMPUTE_PGM_RSRC2:TIDIG_COMP_CNT: 0
; COMPUTE_PGM_RSRC3_GFX90A:ACCUM_OFFSET: 0
; COMPUTE_PGM_RSRC3_GFX90A:TG_SPLIT: 0
	.section	.text._ZN7rocprim17ROCPRIM_400000_NS6detail17trampoline_kernelINS0_14default_configENS1_25partition_config_selectorILNS1_17partition_subalgoE1EtNS0_10empty_typeEbEEZZNS1_14partition_implILS5_1ELb0ES3_jN6thrust23THRUST_200600_302600_NS6detail15normal_iteratorINSA_10device_ptrItEEEEPS6_NSA_18transform_iteratorI7is_evenItESF_NSA_11use_defaultESK_EENS0_5tupleIJNSA_16discard_iteratorISK_EESF_EEENSM_IJSG_SG_EEES6_PlJS6_EEE10hipError_tPvRmT3_T4_T5_T6_T7_T9_mT8_P12ihipStream_tbDpT10_ENKUlT_T0_E_clISt17integral_constantIbLb0EES1A_IbLb1EEEEDaS16_S17_EUlS16_E_NS1_11comp_targetILNS1_3genE10ELNS1_11target_archE1200ELNS1_3gpuE4ELNS1_3repE0EEENS1_30default_config_static_selectorELNS0_4arch9wavefront6targetE1EEEvT1_,"axG",@progbits,_ZN7rocprim17ROCPRIM_400000_NS6detail17trampoline_kernelINS0_14default_configENS1_25partition_config_selectorILNS1_17partition_subalgoE1EtNS0_10empty_typeEbEEZZNS1_14partition_implILS5_1ELb0ES3_jN6thrust23THRUST_200600_302600_NS6detail15normal_iteratorINSA_10device_ptrItEEEEPS6_NSA_18transform_iteratorI7is_evenItESF_NSA_11use_defaultESK_EENS0_5tupleIJNSA_16discard_iteratorISK_EESF_EEENSM_IJSG_SG_EEES6_PlJS6_EEE10hipError_tPvRmT3_T4_T5_T6_T7_T9_mT8_P12ihipStream_tbDpT10_ENKUlT_T0_E_clISt17integral_constantIbLb0EES1A_IbLb1EEEEDaS16_S17_EUlS16_E_NS1_11comp_targetILNS1_3genE10ELNS1_11target_archE1200ELNS1_3gpuE4ELNS1_3repE0EEENS1_30default_config_static_selectorELNS0_4arch9wavefront6targetE1EEEvT1_,comdat
	.protected	_ZN7rocprim17ROCPRIM_400000_NS6detail17trampoline_kernelINS0_14default_configENS1_25partition_config_selectorILNS1_17partition_subalgoE1EtNS0_10empty_typeEbEEZZNS1_14partition_implILS5_1ELb0ES3_jN6thrust23THRUST_200600_302600_NS6detail15normal_iteratorINSA_10device_ptrItEEEEPS6_NSA_18transform_iteratorI7is_evenItESF_NSA_11use_defaultESK_EENS0_5tupleIJNSA_16discard_iteratorISK_EESF_EEENSM_IJSG_SG_EEES6_PlJS6_EEE10hipError_tPvRmT3_T4_T5_T6_T7_T9_mT8_P12ihipStream_tbDpT10_ENKUlT_T0_E_clISt17integral_constantIbLb0EES1A_IbLb1EEEEDaS16_S17_EUlS16_E_NS1_11comp_targetILNS1_3genE10ELNS1_11target_archE1200ELNS1_3gpuE4ELNS1_3repE0EEENS1_30default_config_static_selectorELNS0_4arch9wavefront6targetE1EEEvT1_ ; -- Begin function _ZN7rocprim17ROCPRIM_400000_NS6detail17trampoline_kernelINS0_14default_configENS1_25partition_config_selectorILNS1_17partition_subalgoE1EtNS0_10empty_typeEbEEZZNS1_14partition_implILS5_1ELb0ES3_jN6thrust23THRUST_200600_302600_NS6detail15normal_iteratorINSA_10device_ptrItEEEEPS6_NSA_18transform_iteratorI7is_evenItESF_NSA_11use_defaultESK_EENS0_5tupleIJNSA_16discard_iteratorISK_EESF_EEENSM_IJSG_SG_EEES6_PlJS6_EEE10hipError_tPvRmT3_T4_T5_T6_T7_T9_mT8_P12ihipStream_tbDpT10_ENKUlT_T0_E_clISt17integral_constantIbLb0EES1A_IbLb1EEEEDaS16_S17_EUlS16_E_NS1_11comp_targetILNS1_3genE10ELNS1_11target_archE1200ELNS1_3gpuE4ELNS1_3repE0EEENS1_30default_config_static_selectorELNS0_4arch9wavefront6targetE1EEEvT1_
	.globl	_ZN7rocprim17ROCPRIM_400000_NS6detail17trampoline_kernelINS0_14default_configENS1_25partition_config_selectorILNS1_17partition_subalgoE1EtNS0_10empty_typeEbEEZZNS1_14partition_implILS5_1ELb0ES3_jN6thrust23THRUST_200600_302600_NS6detail15normal_iteratorINSA_10device_ptrItEEEEPS6_NSA_18transform_iteratorI7is_evenItESF_NSA_11use_defaultESK_EENS0_5tupleIJNSA_16discard_iteratorISK_EESF_EEENSM_IJSG_SG_EEES6_PlJS6_EEE10hipError_tPvRmT3_T4_T5_T6_T7_T9_mT8_P12ihipStream_tbDpT10_ENKUlT_T0_E_clISt17integral_constantIbLb0EES1A_IbLb1EEEEDaS16_S17_EUlS16_E_NS1_11comp_targetILNS1_3genE10ELNS1_11target_archE1200ELNS1_3gpuE4ELNS1_3repE0EEENS1_30default_config_static_selectorELNS0_4arch9wavefront6targetE1EEEvT1_
	.p2align	8
	.type	_ZN7rocprim17ROCPRIM_400000_NS6detail17trampoline_kernelINS0_14default_configENS1_25partition_config_selectorILNS1_17partition_subalgoE1EtNS0_10empty_typeEbEEZZNS1_14partition_implILS5_1ELb0ES3_jN6thrust23THRUST_200600_302600_NS6detail15normal_iteratorINSA_10device_ptrItEEEEPS6_NSA_18transform_iteratorI7is_evenItESF_NSA_11use_defaultESK_EENS0_5tupleIJNSA_16discard_iteratorISK_EESF_EEENSM_IJSG_SG_EEES6_PlJS6_EEE10hipError_tPvRmT3_T4_T5_T6_T7_T9_mT8_P12ihipStream_tbDpT10_ENKUlT_T0_E_clISt17integral_constantIbLb0EES1A_IbLb1EEEEDaS16_S17_EUlS16_E_NS1_11comp_targetILNS1_3genE10ELNS1_11target_archE1200ELNS1_3gpuE4ELNS1_3repE0EEENS1_30default_config_static_selectorELNS0_4arch9wavefront6targetE1EEEvT1_,@function
_ZN7rocprim17ROCPRIM_400000_NS6detail17trampoline_kernelINS0_14default_configENS1_25partition_config_selectorILNS1_17partition_subalgoE1EtNS0_10empty_typeEbEEZZNS1_14partition_implILS5_1ELb0ES3_jN6thrust23THRUST_200600_302600_NS6detail15normal_iteratorINSA_10device_ptrItEEEEPS6_NSA_18transform_iteratorI7is_evenItESF_NSA_11use_defaultESK_EENS0_5tupleIJNSA_16discard_iteratorISK_EESF_EEENSM_IJSG_SG_EEES6_PlJS6_EEE10hipError_tPvRmT3_T4_T5_T6_T7_T9_mT8_P12ihipStream_tbDpT10_ENKUlT_T0_E_clISt17integral_constantIbLb0EES1A_IbLb1EEEEDaS16_S17_EUlS16_E_NS1_11comp_targetILNS1_3genE10ELNS1_11target_archE1200ELNS1_3gpuE4ELNS1_3repE0EEENS1_30default_config_static_selectorELNS0_4arch9wavefront6targetE1EEEvT1_: ; @_ZN7rocprim17ROCPRIM_400000_NS6detail17trampoline_kernelINS0_14default_configENS1_25partition_config_selectorILNS1_17partition_subalgoE1EtNS0_10empty_typeEbEEZZNS1_14partition_implILS5_1ELb0ES3_jN6thrust23THRUST_200600_302600_NS6detail15normal_iteratorINSA_10device_ptrItEEEEPS6_NSA_18transform_iteratorI7is_evenItESF_NSA_11use_defaultESK_EENS0_5tupleIJNSA_16discard_iteratorISK_EESF_EEENSM_IJSG_SG_EEES6_PlJS6_EEE10hipError_tPvRmT3_T4_T5_T6_T7_T9_mT8_P12ihipStream_tbDpT10_ENKUlT_T0_E_clISt17integral_constantIbLb0EES1A_IbLb1EEEEDaS16_S17_EUlS16_E_NS1_11comp_targetILNS1_3genE10ELNS1_11target_archE1200ELNS1_3gpuE4ELNS1_3repE0EEENS1_30default_config_static_selectorELNS0_4arch9wavefront6targetE1EEEvT1_
; %bb.0:
	.section	.rodata,"a",@progbits
	.p2align	6, 0x0
	.amdhsa_kernel _ZN7rocprim17ROCPRIM_400000_NS6detail17trampoline_kernelINS0_14default_configENS1_25partition_config_selectorILNS1_17partition_subalgoE1EtNS0_10empty_typeEbEEZZNS1_14partition_implILS5_1ELb0ES3_jN6thrust23THRUST_200600_302600_NS6detail15normal_iteratorINSA_10device_ptrItEEEEPS6_NSA_18transform_iteratorI7is_evenItESF_NSA_11use_defaultESK_EENS0_5tupleIJNSA_16discard_iteratorISK_EESF_EEENSM_IJSG_SG_EEES6_PlJS6_EEE10hipError_tPvRmT3_T4_T5_T6_T7_T9_mT8_P12ihipStream_tbDpT10_ENKUlT_T0_E_clISt17integral_constantIbLb0EES1A_IbLb1EEEEDaS16_S17_EUlS16_E_NS1_11comp_targetILNS1_3genE10ELNS1_11target_archE1200ELNS1_3gpuE4ELNS1_3repE0EEENS1_30default_config_static_selectorELNS0_4arch9wavefront6targetE1EEEvT1_
		.amdhsa_group_segment_fixed_size 0
		.amdhsa_private_segment_fixed_size 0
		.amdhsa_kernarg_size 152
		.amdhsa_user_sgpr_count 2
		.amdhsa_user_sgpr_dispatch_ptr 0
		.amdhsa_user_sgpr_queue_ptr 0
		.amdhsa_user_sgpr_kernarg_segment_ptr 1
		.amdhsa_user_sgpr_dispatch_id 0
		.amdhsa_user_sgpr_kernarg_preload_length 0
		.amdhsa_user_sgpr_kernarg_preload_offset 0
		.amdhsa_user_sgpr_private_segment_size 0
		.amdhsa_uses_dynamic_stack 0
		.amdhsa_enable_private_segment 0
		.amdhsa_system_sgpr_workgroup_id_x 1
		.amdhsa_system_sgpr_workgroup_id_y 0
		.amdhsa_system_sgpr_workgroup_id_z 0
		.amdhsa_system_sgpr_workgroup_info 0
		.amdhsa_system_vgpr_workitem_id 0
		.amdhsa_next_free_vgpr 1
		.amdhsa_next_free_sgpr 0
		.amdhsa_accum_offset 4
		.amdhsa_reserve_vcc 0
		.amdhsa_float_round_mode_32 0
		.amdhsa_float_round_mode_16_64 0
		.amdhsa_float_denorm_mode_32 3
		.amdhsa_float_denorm_mode_16_64 3
		.amdhsa_dx10_clamp 1
		.amdhsa_ieee_mode 1
		.amdhsa_fp16_overflow 0
		.amdhsa_tg_split 0
		.amdhsa_exception_fp_ieee_invalid_op 0
		.amdhsa_exception_fp_denorm_src 0
		.amdhsa_exception_fp_ieee_div_zero 0
		.amdhsa_exception_fp_ieee_overflow 0
		.amdhsa_exception_fp_ieee_underflow 0
		.amdhsa_exception_fp_ieee_inexact 0
		.amdhsa_exception_int_div_zero 0
	.end_amdhsa_kernel
	.section	.text._ZN7rocprim17ROCPRIM_400000_NS6detail17trampoline_kernelINS0_14default_configENS1_25partition_config_selectorILNS1_17partition_subalgoE1EtNS0_10empty_typeEbEEZZNS1_14partition_implILS5_1ELb0ES3_jN6thrust23THRUST_200600_302600_NS6detail15normal_iteratorINSA_10device_ptrItEEEEPS6_NSA_18transform_iteratorI7is_evenItESF_NSA_11use_defaultESK_EENS0_5tupleIJNSA_16discard_iteratorISK_EESF_EEENSM_IJSG_SG_EEES6_PlJS6_EEE10hipError_tPvRmT3_T4_T5_T6_T7_T9_mT8_P12ihipStream_tbDpT10_ENKUlT_T0_E_clISt17integral_constantIbLb0EES1A_IbLb1EEEEDaS16_S17_EUlS16_E_NS1_11comp_targetILNS1_3genE10ELNS1_11target_archE1200ELNS1_3gpuE4ELNS1_3repE0EEENS1_30default_config_static_selectorELNS0_4arch9wavefront6targetE1EEEvT1_,"axG",@progbits,_ZN7rocprim17ROCPRIM_400000_NS6detail17trampoline_kernelINS0_14default_configENS1_25partition_config_selectorILNS1_17partition_subalgoE1EtNS0_10empty_typeEbEEZZNS1_14partition_implILS5_1ELb0ES3_jN6thrust23THRUST_200600_302600_NS6detail15normal_iteratorINSA_10device_ptrItEEEEPS6_NSA_18transform_iteratorI7is_evenItESF_NSA_11use_defaultESK_EENS0_5tupleIJNSA_16discard_iteratorISK_EESF_EEENSM_IJSG_SG_EEES6_PlJS6_EEE10hipError_tPvRmT3_T4_T5_T6_T7_T9_mT8_P12ihipStream_tbDpT10_ENKUlT_T0_E_clISt17integral_constantIbLb0EES1A_IbLb1EEEEDaS16_S17_EUlS16_E_NS1_11comp_targetILNS1_3genE10ELNS1_11target_archE1200ELNS1_3gpuE4ELNS1_3repE0EEENS1_30default_config_static_selectorELNS0_4arch9wavefront6targetE1EEEvT1_,comdat
.Lfunc_end3160:
	.size	_ZN7rocprim17ROCPRIM_400000_NS6detail17trampoline_kernelINS0_14default_configENS1_25partition_config_selectorILNS1_17partition_subalgoE1EtNS0_10empty_typeEbEEZZNS1_14partition_implILS5_1ELb0ES3_jN6thrust23THRUST_200600_302600_NS6detail15normal_iteratorINSA_10device_ptrItEEEEPS6_NSA_18transform_iteratorI7is_evenItESF_NSA_11use_defaultESK_EENS0_5tupleIJNSA_16discard_iteratorISK_EESF_EEENSM_IJSG_SG_EEES6_PlJS6_EEE10hipError_tPvRmT3_T4_T5_T6_T7_T9_mT8_P12ihipStream_tbDpT10_ENKUlT_T0_E_clISt17integral_constantIbLb0EES1A_IbLb1EEEEDaS16_S17_EUlS16_E_NS1_11comp_targetILNS1_3genE10ELNS1_11target_archE1200ELNS1_3gpuE4ELNS1_3repE0EEENS1_30default_config_static_selectorELNS0_4arch9wavefront6targetE1EEEvT1_, .Lfunc_end3160-_ZN7rocprim17ROCPRIM_400000_NS6detail17trampoline_kernelINS0_14default_configENS1_25partition_config_selectorILNS1_17partition_subalgoE1EtNS0_10empty_typeEbEEZZNS1_14partition_implILS5_1ELb0ES3_jN6thrust23THRUST_200600_302600_NS6detail15normal_iteratorINSA_10device_ptrItEEEEPS6_NSA_18transform_iteratorI7is_evenItESF_NSA_11use_defaultESK_EENS0_5tupleIJNSA_16discard_iteratorISK_EESF_EEENSM_IJSG_SG_EEES6_PlJS6_EEE10hipError_tPvRmT3_T4_T5_T6_T7_T9_mT8_P12ihipStream_tbDpT10_ENKUlT_T0_E_clISt17integral_constantIbLb0EES1A_IbLb1EEEEDaS16_S17_EUlS16_E_NS1_11comp_targetILNS1_3genE10ELNS1_11target_archE1200ELNS1_3gpuE4ELNS1_3repE0EEENS1_30default_config_static_selectorELNS0_4arch9wavefront6targetE1EEEvT1_
                                        ; -- End function
	.section	.AMDGPU.csdata,"",@progbits
; Kernel info:
; codeLenInByte = 0
; NumSgprs: 6
; NumVgprs: 0
; NumAgprs: 0
; TotalNumVgprs: 0
; ScratchSize: 0
; MemoryBound: 0
; FloatMode: 240
; IeeeMode: 1
; LDSByteSize: 0 bytes/workgroup (compile time only)
; SGPRBlocks: 0
; VGPRBlocks: 0
; NumSGPRsForWavesPerEU: 6
; NumVGPRsForWavesPerEU: 1
; AccumOffset: 4
; Occupancy: 8
; WaveLimiterHint : 0
; COMPUTE_PGM_RSRC2:SCRATCH_EN: 0
; COMPUTE_PGM_RSRC2:USER_SGPR: 2
; COMPUTE_PGM_RSRC2:TRAP_HANDLER: 0
; COMPUTE_PGM_RSRC2:TGID_X_EN: 1
; COMPUTE_PGM_RSRC2:TGID_Y_EN: 0
; COMPUTE_PGM_RSRC2:TGID_Z_EN: 0
; COMPUTE_PGM_RSRC2:TIDIG_COMP_CNT: 0
; COMPUTE_PGM_RSRC3_GFX90A:ACCUM_OFFSET: 0
; COMPUTE_PGM_RSRC3_GFX90A:TG_SPLIT: 0
	.section	.text._ZN7rocprim17ROCPRIM_400000_NS6detail17trampoline_kernelINS0_14default_configENS1_25partition_config_selectorILNS1_17partition_subalgoE1EtNS0_10empty_typeEbEEZZNS1_14partition_implILS5_1ELb0ES3_jN6thrust23THRUST_200600_302600_NS6detail15normal_iteratorINSA_10device_ptrItEEEEPS6_NSA_18transform_iteratorI7is_evenItESF_NSA_11use_defaultESK_EENS0_5tupleIJNSA_16discard_iteratorISK_EESF_EEENSM_IJSG_SG_EEES6_PlJS6_EEE10hipError_tPvRmT3_T4_T5_T6_T7_T9_mT8_P12ihipStream_tbDpT10_ENKUlT_T0_E_clISt17integral_constantIbLb0EES1A_IbLb1EEEEDaS16_S17_EUlS16_E_NS1_11comp_targetILNS1_3genE9ELNS1_11target_archE1100ELNS1_3gpuE3ELNS1_3repE0EEENS1_30default_config_static_selectorELNS0_4arch9wavefront6targetE1EEEvT1_,"axG",@progbits,_ZN7rocprim17ROCPRIM_400000_NS6detail17trampoline_kernelINS0_14default_configENS1_25partition_config_selectorILNS1_17partition_subalgoE1EtNS0_10empty_typeEbEEZZNS1_14partition_implILS5_1ELb0ES3_jN6thrust23THRUST_200600_302600_NS6detail15normal_iteratorINSA_10device_ptrItEEEEPS6_NSA_18transform_iteratorI7is_evenItESF_NSA_11use_defaultESK_EENS0_5tupleIJNSA_16discard_iteratorISK_EESF_EEENSM_IJSG_SG_EEES6_PlJS6_EEE10hipError_tPvRmT3_T4_T5_T6_T7_T9_mT8_P12ihipStream_tbDpT10_ENKUlT_T0_E_clISt17integral_constantIbLb0EES1A_IbLb1EEEEDaS16_S17_EUlS16_E_NS1_11comp_targetILNS1_3genE9ELNS1_11target_archE1100ELNS1_3gpuE3ELNS1_3repE0EEENS1_30default_config_static_selectorELNS0_4arch9wavefront6targetE1EEEvT1_,comdat
	.protected	_ZN7rocprim17ROCPRIM_400000_NS6detail17trampoline_kernelINS0_14default_configENS1_25partition_config_selectorILNS1_17partition_subalgoE1EtNS0_10empty_typeEbEEZZNS1_14partition_implILS5_1ELb0ES3_jN6thrust23THRUST_200600_302600_NS6detail15normal_iteratorINSA_10device_ptrItEEEEPS6_NSA_18transform_iteratorI7is_evenItESF_NSA_11use_defaultESK_EENS0_5tupleIJNSA_16discard_iteratorISK_EESF_EEENSM_IJSG_SG_EEES6_PlJS6_EEE10hipError_tPvRmT3_T4_T5_T6_T7_T9_mT8_P12ihipStream_tbDpT10_ENKUlT_T0_E_clISt17integral_constantIbLb0EES1A_IbLb1EEEEDaS16_S17_EUlS16_E_NS1_11comp_targetILNS1_3genE9ELNS1_11target_archE1100ELNS1_3gpuE3ELNS1_3repE0EEENS1_30default_config_static_selectorELNS0_4arch9wavefront6targetE1EEEvT1_ ; -- Begin function _ZN7rocprim17ROCPRIM_400000_NS6detail17trampoline_kernelINS0_14default_configENS1_25partition_config_selectorILNS1_17partition_subalgoE1EtNS0_10empty_typeEbEEZZNS1_14partition_implILS5_1ELb0ES3_jN6thrust23THRUST_200600_302600_NS6detail15normal_iteratorINSA_10device_ptrItEEEEPS6_NSA_18transform_iteratorI7is_evenItESF_NSA_11use_defaultESK_EENS0_5tupleIJNSA_16discard_iteratorISK_EESF_EEENSM_IJSG_SG_EEES6_PlJS6_EEE10hipError_tPvRmT3_T4_T5_T6_T7_T9_mT8_P12ihipStream_tbDpT10_ENKUlT_T0_E_clISt17integral_constantIbLb0EES1A_IbLb1EEEEDaS16_S17_EUlS16_E_NS1_11comp_targetILNS1_3genE9ELNS1_11target_archE1100ELNS1_3gpuE3ELNS1_3repE0EEENS1_30default_config_static_selectorELNS0_4arch9wavefront6targetE1EEEvT1_
	.globl	_ZN7rocprim17ROCPRIM_400000_NS6detail17trampoline_kernelINS0_14default_configENS1_25partition_config_selectorILNS1_17partition_subalgoE1EtNS0_10empty_typeEbEEZZNS1_14partition_implILS5_1ELb0ES3_jN6thrust23THRUST_200600_302600_NS6detail15normal_iteratorINSA_10device_ptrItEEEEPS6_NSA_18transform_iteratorI7is_evenItESF_NSA_11use_defaultESK_EENS0_5tupleIJNSA_16discard_iteratorISK_EESF_EEENSM_IJSG_SG_EEES6_PlJS6_EEE10hipError_tPvRmT3_T4_T5_T6_T7_T9_mT8_P12ihipStream_tbDpT10_ENKUlT_T0_E_clISt17integral_constantIbLb0EES1A_IbLb1EEEEDaS16_S17_EUlS16_E_NS1_11comp_targetILNS1_3genE9ELNS1_11target_archE1100ELNS1_3gpuE3ELNS1_3repE0EEENS1_30default_config_static_selectorELNS0_4arch9wavefront6targetE1EEEvT1_
	.p2align	8
	.type	_ZN7rocprim17ROCPRIM_400000_NS6detail17trampoline_kernelINS0_14default_configENS1_25partition_config_selectorILNS1_17partition_subalgoE1EtNS0_10empty_typeEbEEZZNS1_14partition_implILS5_1ELb0ES3_jN6thrust23THRUST_200600_302600_NS6detail15normal_iteratorINSA_10device_ptrItEEEEPS6_NSA_18transform_iteratorI7is_evenItESF_NSA_11use_defaultESK_EENS0_5tupleIJNSA_16discard_iteratorISK_EESF_EEENSM_IJSG_SG_EEES6_PlJS6_EEE10hipError_tPvRmT3_T4_T5_T6_T7_T9_mT8_P12ihipStream_tbDpT10_ENKUlT_T0_E_clISt17integral_constantIbLb0EES1A_IbLb1EEEEDaS16_S17_EUlS16_E_NS1_11comp_targetILNS1_3genE9ELNS1_11target_archE1100ELNS1_3gpuE3ELNS1_3repE0EEENS1_30default_config_static_selectorELNS0_4arch9wavefront6targetE1EEEvT1_,@function
_ZN7rocprim17ROCPRIM_400000_NS6detail17trampoline_kernelINS0_14default_configENS1_25partition_config_selectorILNS1_17partition_subalgoE1EtNS0_10empty_typeEbEEZZNS1_14partition_implILS5_1ELb0ES3_jN6thrust23THRUST_200600_302600_NS6detail15normal_iteratorINSA_10device_ptrItEEEEPS6_NSA_18transform_iteratorI7is_evenItESF_NSA_11use_defaultESK_EENS0_5tupleIJNSA_16discard_iteratorISK_EESF_EEENSM_IJSG_SG_EEES6_PlJS6_EEE10hipError_tPvRmT3_T4_T5_T6_T7_T9_mT8_P12ihipStream_tbDpT10_ENKUlT_T0_E_clISt17integral_constantIbLb0EES1A_IbLb1EEEEDaS16_S17_EUlS16_E_NS1_11comp_targetILNS1_3genE9ELNS1_11target_archE1100ELNS1_3gpuE3ELNS1_3repE0EEENS1_30default_config_static_selectorELNS0_4arch9wavefront6targetE1EEEvT1_: ; @_ZN7rocprim17ROCPRIM_400000_NS6detail17trampoline_kernelINS0_14default_configENS1_25partition_config_selectorILNS1_17partition_subalgoE1EtNS0_10empty_typeEbEEZZNS1_14partition_implILS5_1ELb0ES3_jN6thrust23THRUST_200600_302600_NS6detail15normal_iteratorINSA_10device_ptrItEEEEPS6_NSA_18transform_iteratorI7is_evenItESF_NSA_11use_defaultESK_EENS0_5tupleIJNSA_16discard_iteratorISK_EESF_EEENSM_IJSG_SG_EEES6_PlJS6_EEE10hipError_tPvRmT3_T4_T5_T6_T7_T9_mT8_P12ihipStream_tbDpT10_ENKUlT_T0_E_clISt17integral_constantIbLb0EES1A_IbLb1EEEEDaS16_S17_EUlS16_E_NS1_11comp_targetILNS1_3genE9ELNS1_11target_archE1100ELNS1_3gpuE3ELNS1_3repE0EEENS1_30default_config_static_selectorELNS0_4arch9wavefront6targetE1EEEvT1_
; %bb.0:
	.section	.rodata,"a",@progbits
	.p2align	6, 0x0
	.amdhsa_kernel _ZN7rocprim17ROCPRIM_400000_NS6detail17trampoline_kernelINS0_14default_configENS1_25partition_config_selectorILNS1_17partition_subalgoE1EtNS0_10empty_typeEbEEZZNS1_14partition_implILS5_1ELb0ES3_jN6thrust23THRUST_200600_302600_NS6detail15normal_iteratorINSA_10device_ptrItEEEEPS6_NSA_18transform_iteratorI7is_evenItESF_NSA_11use_defaultESK_EENS0_5tupleIJNSA_16discard_iteratorISK_EESF_EEENSM_IJSG_SG_EEES6_PlJS6_EEE10hipError_tPvRmT3_T4_T5_T6_T7_T9_mT8_P12ihipStream_tbDpT10_ENKUlT_T0_E_clISt17integral_constantIbLb0EES1A_IbLb1EEEEDaS16_S17_EUlS16_E_NS1_11comp_targetILNS1_3genE9ELNS1_11target_archE1100ELNS1_3gpuE3ELNS1_3repE0EEENS1_30default_config_static_selectorELNS0_4arch9wavefront6targetE1EEEvT1_
		.amdhsa_group_segment_fixed_size 0
		.amdhsa_private_segment_fixed_size 0
		.amdhsa_kernarg_size 152
		.amdhsa_user_sgpr_count 2
		.amdhsa_user_sgpr_dispatch_ptr 0
		.amdhsa_user_sgpr_queue_ptr 0
		.amdhsa_user_sgpr_kernarg_segment_ptr 1
		.amdhsa_user_sgpr_dispatch_id 0
		.amdhsa_user_sgpr_kernarg_preload_length 0
		.amdhsa_user_sgpr_kernarg_preload_offset 0
		.amdhsa_user_sgpr_private_segment_size 0
		.amdhsa_uses_dynamic_stack 0
		.amdhsa_enable_private_segment 0
		.amdhsa_system_sgpr_workgroup_id_x 1
		.amdhsa_system_sgpr_workgroup_id_y 0
		.amdhsa_system_sgpr_workgroup_id_z 0
		.amdhsa_system_sgpr_workgroup_info 0
		.amdhsa_system_vgpr_workitem_id 0
		.amdhsa_next_free_vgpr 1
		.amdhsa_next_free_sgpr 0
		.amdhsa_accum_offset 4
		.amdhsa_reserve_vcc 0
		.amdhsa_float_round_mode_32 0
		.amdhsa_float_round_mode_16_64 0
		.amdhsa_float_denorm_mode_32 3
		.amdhsa_float_denorm_mode_16_64 3
		.amdhsa_dx10_clamp 1
		.amdhsa_ieee_mode 1
		.amdhsa_fp16_overflow 0
		.amdhsa_tg_split 0
		.amdhsa_exception_fp_ieee_invalid_op 0
		.amdhsa_exception_fp_denorm_src 0
		.amdhsa_exception_fp_ieee_div_zero 0
		.amdhsa_exception_fp_ieee_overflow 0
		.amdhsa_exception_fp_ieee_underflow 0
		.amdhsa_exception_fp_ieee_inexact 0
		.amdhsa_exception_int_div_zero 0
	.end_amdhsa_kernel
	.section	.text._ZN7rocprim17ROCPRIM_400000_NS6detail17trampoline_kernelINS0_14default_configENS1_25partition_config_selectorILNS1_17partition_subalgoE1EtNS0_10empty_typeEbEEZZNS1_14partition_implILS5_1ELb0ES3_jN6thrust23THRUST_200600_302600_NS6detail15normal_iteratorINSA_10device_ptrItEEEEPS6_NSA_18transform_iteratorI7is_evenItESF_NSA_11use_defaultESK_EENS0_5tupleIJNSA_16discard_iteratorISK_EESF_EEENSM_IJSG_SG_EEES6_PlJS6_EEE10hipError_tPvRmT3_T4_T5_T6_T7_T9_mT8_P12ihipStream_tbDpT10_ENKUlT_T0_E_clISt17integral_constantIbLb0EES1A_IbLb1EEEEDaS16_S17_EUlS16_E_NS1_11comp_targetILNS1_3genE9ELNS1_11target_archE1100ELNS1_3gpuE3ELNS1_3repE0EEENS1_30default_config_static_selectorELNS0_4arch9wavefront6targetE1EEEvT1_,"axG",@progbits,_ZN7rocprim17ROCPRIM_400000_NS6detail17trampoline_kernelINS0_14default_configENS1_25partition_config_selectorILNS1_17partition_subalgoE1EtNS0_10empty_typeEbEEZZNS1_14partition_implILS5_1ELb0ES3_jN6thrust23THRUST_200600_302600_NS6detail15normal_iteratorINSA_10device_ptrItEEEEPS6_NSA_18transform_iteratorI7is_evenItESF_NSA_11use_defaultESK_EENS0_5tupleIJNSA_16discard_iteratorISK_EESF_EEENSM_IJSG_SG_EEES6_PlJS6_EEE10hipError_tPvRmT3_T4_T5_T6_T7_T9_mT8_P12ihipStream_tbDpT10_ENKUlT_T0_E_clISt17integral_constantIbLb0EES1A_IbLb1EEEEDaS16_S17_EUlS16_E_NS1_11comp_targetILNS1_3genE9ELNS1_11target_archE1100ELNS1_3gpuE3ELNS1_3repE0EEENS1_30default_config_static_selectorELNS0_4arch9wavefront6targetE1EEEvT1_,comdat
.Lfunc_end3161:
	.size	_ZN7rocprim17ROCPRIM_400000_NS6detail17trampoline_kernelINS0_14default_configENS1_25partition_config_selectorILNS1_17partition_subalgoE1EtNS0_10empty_typeEbEEZZNS1_14partition_implILS5_1ELb0ES3_jN6thrust23THRUST_200600_302600_NS6detail15normal_iteratorINSA_10device_ptrItEEEEPS6_NSA_18transform_iteratorI7is_evenItESF_NSA_11use_defaultESK_EENS0_5tupleIJNSA_16discard_iteratorISK_EESF_EEENSM_IJSG_SG_EEES6_PlJS6_EEE10hipError_tPvRmT3_T4_T5_T6_T7_T9_mT8_P12ihipStream_tbDpT10_ENKUlT_T0_E_clISt17integral_constantIbLb0EES1A_IbLb1EEEEDaS16_S17_EUlS16_E_NS1_11comp_targetILNS1_3genE9ELNS1_11target_archE1100ELNS1_3gpuE3ELNS1_3repE0EEENS1_30default_config_static_selectorELNS0_4arch9wavefront6targetE1EEEvT1_, .Lfunc_end3161-_ZN7rocprim17ROCPRIM_400000_NS6detail17trampoline_kernelINS0_14default_configENS1_25partition_config_selectorILNS1_17partition_subalgoE1EtNS0_10empty_typeEbEEZZNS1_14partition_implILS5_1ELb0ES3_jN6thrust23THRUST_200600_302600_NS6detail15normal_iteratorINSA_10device_ptrItEEEEPS6_NSA_18transform_iteratorI7is_evenItESF_NSA_11use_defaultESK_EENS0_5tupleIJNSA_16discard_iteratorISK_EESF_EEENSM_IJSG_SG_EEES6_PlJS6_EEE10hipError_tPvRmT3_T4_T5_T6_T7_T9_mT8_P12ihipStream_tbDpT10_ENKUlT_T0_E_clISt17integral_constantIbLb0EES1A_IbLb1EEEEDaS16_S17_EUlS16_E_NS1_11comp_targetILNS1_3genE9ELNS1_11target_archE1100ELNS1_3gpuE3ELNS1_3repE0EEENS1_30default_config_static_selectorELNS0_4arch9wavefront6targetE1EEEvT1_
                                        ; -- End function
	.section	.AMDGPU.csdata,"",@progbits
; Kernel info:
; codeLenInByte = 0
; NumSgprs: 6
; NumVgprs: 0
; NumAgprs: 0
; TotalNumVgprs: 0
; ScratchSize: 0
; MemoryBound: 0
; FloatMode: 240
; IeeeMode: 1
; LDSByteSize: 0 bytes/workgroup (compile time only)
; SGPRBlocks: 0
; VGPRBlocks: 0
; NumSGPRsForWavesPerEU: 6
; NumVGPRsForWavesPerEU: 1
; AccumOffset: 4
; Occupancy: 8
; WaveLimiterHint : 0
; COMPUTE_PGM_RSRC2:SCRATCH_EN: 0
; COMPUTE_PGM_RSRC2:USER_SGPR: 2
; COMPUTE_PGM_RSRC2:TRAP_HANDLER: 0
; COMPUTE_PGM_RSRC2:TGID_X_EN: 1
; COMPUTE_PGM_RSRC2:TGID_Y_EN: 0
; COMPUTE_PGM_RSRC2:TGID_Z_EN: 0
; COMPUTE_PGM_RSRC2:TIDIG_COMP_CNT: 0
; COMPUTE_PGM_RSRC3_GFX90A:ACCUM_OFFSET: 0
; COMPUTE_PGM_RSRC3_GFX90A:TG_SPLIT: 0
	.section	.text._ZN7rocprim17ROCPRIM_400000_NS6detail17trampoline_kernelINS0_14default_configENS1_25partition_config_selectorILNS1_17partition_subalgoE1EtNS0_10empty_typeEbEEZZNS1_14partition_implILS5_1ELb0ES3_jN6thrust23THRUST_200600_302600_NS6detail15normal_iteratorINSA_10device_ptrItEEEEPS6_NSA_18transform_iteratorI7is_evenItESF_NSA_11use_defaultESK_EENS0_5tupleIJNSA_16discard_iteratorISK_EESF_EEENSM_IJSG_SG_EEES6_PlJS6_EEE10hipError_tPvRmT3_T4_T5_T6_T7_T9_mT8_P12ihipStream_tbDpT10_ENKUlT_T0_E_clISt17integral_constantIbLb0EES1A_IbLb1EEEEDaS16_S17_EUlS16_E_NS1_11comp_targetILNS1_3genE8ELNS1_11target_archE1030ELNS1_3gpuE2ELNS1_3repE0EEENS1_30default_config_static_selectorELNS0_4arch9wavefront6targetE1EEEvT1_,"axG",@progbits,_ZN7rocprim17ROCPRIM_400000_NS6detail17trampoline_kernelINS0_14default_configENS1_25partition_config_selectorILNS1_17partition_subalgoE1EtNS0_10empty_typeEbEEZZNS1_14partition_implILS5_1ELb0ES3_jN6thrust23THRUST_200600_302600_NS6detail15normal_iteratorINSA_10device_ptrItEEEEPS6_NSA_18transform_iteratorI7is_evenItESF_NSA_11use_defaultESK_EENS0_5tupleIJNSA_16discard_iteratorISK_EESF_EEENSM_IJSG_SG_EEES6_PlJS6_EEE10hipError_tPvRmT3_T4_T5_T6_T7_T9_mT8_P12ihipStream_tbDpT10_ENKUlT_T0_E_clISt17integral_constantIbLb0EES1A_IbLb1EEEEDaS16_S17_EUlS16_E_NS1_11comp_targetILNS1_3genE8ELNS1_11target_archE1030ELNS1_3gpuE2ELNS1_3repE0EEENS1_30default_config_static_selectorELNS0_4arch9wavefront6targetE1EEEvT1_,comdat
	.protected	_ZN7rocprim17ROCPRIM_400000_NS6detail17trampoline_kernelINS0_14default_configENS1_25partition_config_selectorILNS1_17partition_subalgoE1EtNS0_10empty_typeEbEEZZNS1_14partition_implILS5_1ELb0ES3_jN6thrust23THRUST_200600_302600_NS6detail15normal_iteratorINSA_10device_ptrItEEEEPS6_NSA_18transform_iteratorI7is_evenItESF_NSA_11use_defaultESK_EENS0_5tupleIJNSA_16discard_iteratorISK_EESF_EEENSM_IJSG_SG_EEES6_PlJS6_EEE10hipError_tPvRmT3_T4_T5_T6_T7_T9_mT8_P12ihipStream_tbDpT10_ENKUlT_T0_E_clISt17integral_constantIbLb0EES1A_IbLb1EEEEDaS16_S17_EUlS16_E_NS1_11comp_targetILNS1_3genE8ELNS1_11target_archE1030ELNS1_3gpuE2ELNS1_3repE0EEENS1_30default_config_static_selectorELNS0_4arch9wavefront6targetE1EEEvT1_ ; -- Begin function _ZN7rocprim17ROCPRIM_400000_NS6detail17trampoline_kernelINS0_14default_configENS1_25partition_config_selectorILNS1_17partition_subalgoE1EtNS0_10empty_typeEbEEZZNS1_14partition_implILS5_1ELb0ES3_jN6thrust23THRUST_200600_302600_NS6detail15normal_iteratorINSA_10device_ptrItEEEEPS6_NSA_18transform_iteratorI7is_evenItESF_NSA_11use_defaultESK_EENS0_5tupleIJNSA_16discard_iteratorISK_EESF_EEENSM_IJSG_SG_EEES6_PlJS6_EEE10hipError_tPvRmT3_T4_T5_T6_T7_T9_mT8_P12ihipStream_tbDpT10_ENKUlT_T0_E_clISt17integral_constantIbLb0EES1A_IbLb1EEEEDaS16_S17_EUlS16_E_NS1_11comp_targetILNS1_3genE8ELNS1_11target_archE1030ELNS1_3gpuE2ELNS1_3repE0EEENS1_30default_config_static_selectorELNS0_4arch9wavefront6targetE1EEEvT1_
	.globl	_ZN7rocprim17ROCPRIM_400000_NS6detail17trampoline_kernelINS0_14default_configENS1_25partition_config_selectorILNS1_17partition_subalgoE1EtNS0_10empty_typeEbEEZZNS1_14partition_implILS5_1ELb0ES3_jN6thrust23THRUST_200600_302600_NS6detail15normal_iteratorINSA_10device_ptrItEEEEPS6_NSA_18transform_iteratorI7is_evenItESF_NSA_11use_defaultESK_EENS0_5tupleIJNSA_16discard_iteratorISK_EESF_EEENSM_IJSG_SG_EEES6_PlJS6_EEE10hipError_tPvRmT3_T4_T5_T6_T7_T9_mT8_P12ihipStream_tbDpT10_ENKUlT_T0_E_clISt17integral_constantIbLb0EES1A_IbLb1EEEEDaS16_S17_EUlS16_E_NS1_11comp_targetILNS1_3genE8ELNS1_11target_archE1030ELNS1_3gpuE2ELNS1_3repE0EEENS1_30default_config_static_selectorELNS0_4arch9wavefront6targetE1EEEvT1_
	.p2align	8
	.type	_ZN7rocprim17ROCPRIM_400000_NS6detail17trampoline_kernelINS0_14default_configENS1_25partition_config_selectorILNS1_17partition_subalgoE1EtNS0_10empty_typeEbEEZZNS1_14partition_implILS5_1ELb0ES3_jN6thrust23THRUST_200600_302600_NS6detail15normal_iteratorINSA_10device_ptrItEEEEPS6_NSA_18transform_iteratorI7is_evenItESF_NSA_11use_defaultESK_EENS0_5tupleIJNSA_16discard_iteratorISK_EESF_EEENSM_IJSG_SG_EEES6_PlJS6_EEE10hipError_tPvRmT3_T4_T5_T6_T7_T9_mT8_P12ihipStream_tbDpT10_ENKUlT_T0_E_clISt17integral_constantIbLb0EES1A_IbLb1EEEEDaS16_S17_EUlS16_E_NS1_11comp_targetILNS1_3genE8ELNS1_11target_archE1030ELNS1_3gpuE2ELNS1_3repE0EEENS1_30default_config_static_selectorELNS0_4arch9wavefront6targetE1EEEvT1_,@function
_ZN7rocprim17ROCPRIM_400000_NS6detail17trampoline_kernelINS0_14default_configENS1_25partition_config_selectorILNS1_17partition_subalgoE1EtNS0_10empty_typeEbEEZZNS1_14partition_implILS5_1ELb0ES3_jN6thrust23THRUST_200600_302600_NS6detail15normal_iteratorINSA_10device_ptrItEEEEPS6_NSA_18transform_iteratorI7is_evenItESF_NSA_11use_defaultESK_EENS0_5tupleIJNSA_16discard_iteratorISK_EESF_EEENSM_IJSG_SG_EEES6_PlJS6_EEE10hipError_tPvRmT3_T4_T5_T6_T7_T9_mT8_P12ihipStream_tbDpT10_ENKUlT_T0_E_clISt17integral_constantIbLb0EES1A_IbLb1EEEEDaS16_S17_EUlS16_E_NS1_11comp_targetILNS1_3genE8ELNS1_11target_archE1030ELNS1_3gpuE2ELNS1_3repE0EEENS1_30default_config_static_selectorELNS0_4arch9wavefront6targetE1EEEvT1_: ; @_ZN7rocprim17ROCPRIM_400000_NS6detail17trampoline_kernelINS0_14default_configENS1_25partition_config_selectorILNS1_17partition_subalgoE1EtNS0_10empty_typeEbEEZZNS1_14partition_implILS5_1ELb0ES3_jN6thrust23THRUST_200600_302600_NS6detail15normal_iteratorINSA_10device_ptrItEEEEPS6_NSA_18transform_iteratorI7is_evenItESF_NSA_11use_defaultESK_EENS0_5tupleIJNSA_16discard_iteratorISK_EESF_EEENSM_IJSG_SG_EEES6_PlJS6_EEE10hipError_tPvRmT3_T4_T5_T6_T7_T9_mT8_P12ihipStream_tbDpT10_ENKUlT_T0_E_clISt17integral_constantIbLb0EES1A_IbLb1EEEEDaS16_S17_EUlS16_E_NS1_11comp_targetILNS1_3genE8ELNS1_11target_archE1030ELNS1_3gpuE2ELNS1_3repE0EEENS1_30default_config_static_selectorELNS0_4arch9wavefront6targetE1EEEvT1_
; %bb.0:
	.section	.rodata,"a",@progbits
	.p2align	6, 0x0
	.amdhsa_kernel _ZN7rocprim17ROCPRIM_400000_NS6detail17trampoline_kernelINS0_14default_configENS1_25partition_config_selectorILNS1_17partition_subalgoE1EtNS0_10empty_typeEbEEZZNS1_14partition_implILS5_1ELb0ES3_jN6thrust23THRUST_200600_302600_NS6detail15normal_iteratorINSA_10device_ptrItEEEEPS6_NSA_18transform_iteratorI7is_evenItESF_NSA_11use_defaultESK_EENS0_5tupleIJNSA_16discard_iteratorISK_EESF_EEENSM_IJSG_SG_EEES6_PlJS6_EEE10hipError_tPvRmT3_T4_T5_T6_T7_T9_mT8_P12ihipStream_tbDpT10_ENKUlT_T0_E_clISt17integral_constantIbLb0EES1A_IbLb1EEEEDaS16_S17_EUlS16_E_NS1_11comp_targetILNS1_3genE8ELNS1_11target_archE1030ELNS1_3gpuE2ELNS1_3repE0EEENS1_30default_config_static_selectorELNS0_4arch9wavefront6targetE1EEEvT1_
		.amdhsa_group_segment_fixed_size 0
		.amdhsa_private_segment_fixed_size 0
		.amdhsa_kernarg_size 152
		.amdhsa_user_sgpr_count 2
		.amdhsa_user_sgpr_dispatch_ptr 0
		.amdhsa_user_sgpr_queue_ptr 0
		.amdhsa_user_sgpr_kernarg_segment_ptr 1
		.amdhsa_user_sgpr_dispatch_id 0
		.amdhsa_user_sgpr_kernarg_preload_length 0
		.amdhsa_user_sgpr_kernarg_preload_offset 0
		.amdhsa_user_sgpr_private_segment_size 0
		.amdhsa_uses_dynamic_stack 0
		.amdhsa_enable_private_segment 0
		.amdhsa_system_sgpr_workgroup_id_x 1
		.amdhsa_system_sgpr_workgroup_id_y 0
		.amdhsa_system_sgpr_workgroup_id_z 0
		.amdhsa_system_sgpr_workgroup_info 0
		.amdhsa_system_vgpr_workitem_id 0
		.amdhsa_next_free_vgpr 1
		.amdhsa_next_free_sgpr 0
		.amdhsa_accum_offset 4
		.amdhsa_reserve_vcc 0
		.amdhsa_float_round_mode_32 0
		.amdhsa_float_round_mode_16_64 0
		.amdhsa_float_denorm_mode_32 3
		.amdhsa_float_denorm_mode_16_64 3
		.amdhsa_dx10_clamp 1
		.amdhsa_ieee_mode 1
		.amdhsa_fp16_overflow 0
		.amdhsa_tg_split 0
		.amdhsa_exception_fp_ieee_invalid_op 0
		.amdhsa_exception_fp_denorm_src 0
		.amdhsa_exception_fp_ieee_div_zero 0
		.amdhsa_exception_fp_ieee_overflow 0
		.amdhsa_exception_fp_ieee_underflow 0
		.amdhsa_exception_fp_ieee_inexact 0
		.amdhsa_exception_int_div_zero 0
	.end_amdhsa_kernel
	.section	.text._ZN7rocprim17ROCPRIM_400000_NS6detail17trampoline_kernelINS0_14default_configENS1_25partition_config_selectorILNS1_17partition_subalgoE1EtNS0_10empty_typeEbEEZZNS1_14partition_implILS5_1ELb0ES3_jN6thrust23THRUST_200600_302600_NS6detail15normal_iteratorINSA_10device_ptrItEEEEPS6_NSA_18transform_iteratorI7is_evenItESF_NSA_11use_defaultESK_EENS0_5tupleIJNSA_16discard_iteratorISK_EESF_EEENSM_IJSG_SG_EEES6_PlJS6_EEE10hipError_tPvRmT3_T4_T5_T6_T7_T9_mT8_P12ihipStream_tbDpT10_ENKUlT_T0_E_clISt17integral_constantIbLb0EES1A_IbLb1EEEEDaS16_S17_EUlS16_E_NS1_11comp_targetILNS1_3genE8ELNS1_11target_archE1030ELNS1_3gpuE2ELNS1_3repE0EEENS1_30default_config_static_selectorELNS0_4arch9wavefront6targetE1EEEvT1_,"axG",@progbits,_ZN7rocprim17ROCPRIM_400000_NS6detail17trampoline_kernelINS0_14default_configENS1_25partition_config_selectorILNS1_17partition_subalgoE1EtNS0_10empty_typeEbEEZZNS1_14partition_implILS5_1ELb0ES3_jN6thrust23THRUST_200600_302600_NS6detail15normal_iteratorINSA_10device_ptrItEEEEPS6_NSA_18transform_iteratorI7is_evenItESF_NSA_11use_defaultESK_EENS0_5tupleIJNSA_16discard_iteratorISK_EESF_EEENSM_IJSG_SG_EEES6_PlJS6_EEE10hipError_tPvRmT3_T4_T5_T6_T7_T9_mT8_P12ihipStream_tbDpT10_ENKUlT_T0_E_clISt17integral_constantIbLb0EES1A_IbLb1EEEEDaS16_S17_EUlS16_E_NS1_11comp_targetILNS1_3genE8ELNS1_11target_archE1030ELNS1_3gpuE2ELNS1_3repE0EEENS1_30default_config_static_selectorELNS0_4arch9wavefront6targetE1EEEvT1_,comdat
.Lfunc_end3162:
	.size	_ZN7rocprim17ROCPRIM_400000_NS6detail17trampoline_kernelINS0_14default_configENS1_25partition_config_selectorILNS1_17partition_subalgoE1EtNS0_10empty_typeEbEEZZNS1_14partition_implILS5_1ELb0ES3_jN6thrust23THRUST_200600_302600_NS6detail15normal_iteratorINSA_10device_ptrItEEEEPS6_NSA_18transform_iteratorI7is_evenItESF_NSA_11use_defaultESK_EENS0_5tupleIJNSA_16discard_iteratorISK_EESF_EEENSM_IJSG_SG_EEES6_PlJS6_EEE10hipError_tPvRmT3_T4_T5_T6_T7_T9_mT8_P12ihipStream_tbDpT10_ENKUlT_T0_E_clISt17integral_constantIbLb0EES1A_IbLb1EEEEDaS16_S17_EUlS16_E_NS1_11comp_targetILNS1_3genE8ELNS1_11target_archE1030ELNS1_3gpuE2ELNS1_3repE0EEENS1_30default_config_static_selectorELNS0_4arch9wavefront6targetE1EEEvT1_, .Lfunc_end3162-_ZN7rocprim17ROCPRIM_400000_NS6detail17trampoline_kernelINS0_14default_configENS1_25partition_config_selectorILNS1_17partition_subalgoE1EtNS0_10empty_typeEbEEZZNS1_14partition_implILS5_1ELb0ES3_jN6thrust23THRUST_200600_302600_NS6detail15normal_iteratorINSA_10device_ptrItEEEEPS6_NSA_18transform_iteratorI7is_evenItESF_NSA_11use_defaultESK_EENS0_5tupleIJNSA_16discard_iteratorISK_EESF_EEENSM_IJSG_SG_EEES6_PlJS6_EEE10hipError_tPvRmT3_T4_T5_T6_T7_T9_mT8_P12ihipStream_tbDpT10_ENKUlT_T0_E_clISt17integral_constantIbLb0EES1A_IbLb1EEEEDaS16_S17_EUlS16_E_NS1_11comp_targetILNS1_3genE8ELNS1_11target_archE1030ELNS1_3gpuE2ELNS1_3repE0EEENS1_30default_config_static_selectorELNS0_4arch9wavefront6targetE1EEEvT1_
                                        ; -- End function
	.section	.AMDGPU.csdata,"",@progbits
; Kernel info:
; codeLenInByte = 0
; NumSgprs: 6
; NumVgprs: 0
; NumAgprs: 0
; TotalNumVgprs: 0
; ScratchSize: 0
; MemoryBound: 0
; FloatMode: 240
; IeeeMode: 1
; LDSByteSize: 0 bytes/workgroup (compile time only)
; SGPRBlocks: 0
; VGPRBlocks: 0
; NumSGPRsForWavesPerEU: 6
; NumVGPRsForWavesPerEU: 1
; AccumOffset: 4
; Occupancy: 8
; WaveLimiterHint : 0
; COMPUTE_PGM_RSRC2:SCRATCH_EN: 0
; COMPUTE_PGM_RSRC2:USER_SGPR: 2
; COMPUTE_PGM_RSRC2:TRAP_HANDLER: 0
; COMPUTE_PGM_RSRC2:TGID_X_EN: 1
; COMPUTE_PGM_RSRC2:TGID_Y_EN: 0
; COMPUTE_PGM_RSRC2:TGID_Z_EN: 0
; COMPUTE_PGM_RSRC2:TIDIG_COMP_CNT: 0
; COMPUTE_PGM_RSRC3_GFX90A:ACCUM_OFFSET: 0
; COMPUTE_PGM_RSRC3_GFX90A:TG_SPLIT: 0
	.section	.text._ZN7rocprim17ROCPRIM_400000_NS6detail17trampoline_kernelINS0_14default_configENS1_25partition_config_selectorILNS1_17partition_subalgoE1ExNS0_10empty_typeEbEEZZNS1_14partition_implILS5_1ELb0ES3_jN6thrust23THRUST_200600_302600_NS6detail15normal_iteratorINSA_10device_ptrIxEEEEPS6_NSA_18transform_iteratorI7is_evenIxESF_NSA_11use_defaultESK_EENS0_5tupleIJNSA_16discard_iteratorISK_EESO_EEENSM_IJSG_SG_EEES6_PlJS6_EEE10hipError_tPvRmT3_T4_T5_T6_T7_T9_mT8_P12ihipStream_tbDpT10_ENKUlT_T0_E_clISt17integral_constantIbLb0EES1B_EEDaS16_S17_EUlS16_E_NS1_11comp_targetILNS1_3genE0ELNS1_11target_archE4294967295ELNS1_3gpuE0ELNS1_3repE0EEENS1_30default_config_static_selectorELNS0_4arch9wavefront6targetE1EEEvT1_,"axG",@progbits,_ZN7rocprim17ROCPRIM_400000_NS6detail17trampoline_kernelINS0_14default_configENS1_25partition_config_selectorILNS1_17partition_subalgoE1ExNS0_10empty_typeEbEEZZNS1_14partition_implILS5_1ELb0ES3_jN6thrust23THRUST_200600_302600_NS6detail15normal_iteratorINSA_10device_ptrIxEEEEPS6_NSA_18transform_iteratorI7is_evenIxESF_NSA_11use_defaultESK_EENS0_5tupleIJNSA_16discard_iteratorISK_EESO_EEENSM_IJSG_SG_EEES6_PlJS6_EEE10hipError_tPvRmT3_T4_T5_T6_T7_T9_mT8_P12ihipStream_tbDpT10_ENKUlT_T0_E_clISt17integral_constantIbLb0EES1B_EEDaS16_S17_EUlS16_E_NS1_11comp_targetILNS1_3genE0ELNS1_11target_archE4294967295ELNS1_3gpuE0ELNS1_3repE0EEENS1_30default_config_static_selectorELNS0_4arch9wavefront6targetE1EEEvT1_,comdat
	.protected	_ZN7rocprim17ROCPRIM_400000_NS6detail17trampoline_kernelINS0_14default_configENS1_25partition_config_selectorILNS1_17partition_subalgoE1ExNS0_10empty_typeEbEEZZNS1_14partition_implILS5_1ELb0ES3_jN6thrust23THRUST_200600_302600_NS6detail15normal_iteratorINSA_10device_ptrIxEEEEPS6_NSA_18transform_iteratorI7is_evenIxESF_NSA_11use_defaultESK_EENS0_5tupleIJNSA_16discard_iteratorISK_EESO_EEENSM_IJSG_SG_EEES6_PlJS6_EEE10hipError_tPvRmT3_T4_T5_T6_T7_T9_mT8_P12ihipStream_tbDpT10_ENKUlT_T0_E_clISt17integral_constantIbLb0EES1B_EEDaS16_S17_EUlS16_E_NS1_11comp_targetILNS1_3genE0ELNS1_11target_archE4294967295ELNS1_3gpuE0ELNS1_3repE0EEENS1_30default_config_static_selectorELNS0_4arch9wavefront6targetE1EEEvT1_ ; -- Begin function _ZN7rocprim17ROCPRIM_400000_NS6detail17trampoline_kernelINS0_14default_configENS1_25partition_config_selectorILNS1_17partition_subalgoE1ExNS0_10empty_typeEbEEZZNS1_14partition_implILS5_1ELb0ES3_jN6thrust23THRUST_200600_302600_NS6detail15normal_iteratorINSA_10device_ptrIxEEEEPS6_NSA_18transform_iteratorI7is_evenIxESF_NSA_11use_defaultESK_EENS0_5tupleIJNSA_16discard_iteratorISK_EESO_EEENSM_IJSG_SG_EEES6_PlJS6_EEE10hipError_tPvRmT3_T4_T5_T6_T7_T9_mT8_P12ihipStream_tbDpT10_ENKUlT_T0_E_clISt17integral_constantIbLb0EES1B_EEDaS16_S17_EUlS16_E_NS1_11comp_targetILNS1_3genE0ELNS1_11target_archE4294967295ELNS1_3gpuE0ELNS1_3repE0EEENS1_30default_config_static_selectorELNS0_4arch9wavefront6targetE1EEEvT1_
	.globl	_ZN7rocprim17ROCPRIM_400000_NS6detail17trampoline_kernelINS0_14default_configENS1_25partition_config_selectorILNS1_17partition_subalgoE1ExNS0_10empty_typeEbEEZZNS1_14partition_implILS5_1ELb0ES3_jN6thrust23THRUST_200600_302600_NS6detail15normal_iteratorINSA_10device_ptrIxEEEEPS6_NSA_18transform_iteratorI7is_evenIxESF_NSA_11use_defaultESK_EENS0_5tupleIJNSA_16discard_iteratorISK_EESO_EEENSM_IJSG_SG_EEES6_PlJS6_EEE10hipError_tPvRmT3_T4_T5_T6_T7_T9_mT8_P12ihipStream_tbDpT10_ENKUlT_T0_E_clISt17integral_constantIbLb0EES1B_EEDaS16_S17_EUlS16_E_NS1_11comp_targetILNS1_3genE0ELNS1_11target_archE4294967295ELNS1_3gpuE0ELNS1_3repE0EEENS1_30default_config_static_selectorELNS0_4arch9wavefront6targetE1EEEvT1_
	.p2align	8
	.type	_ZN7rocprim17ROCPRIM_400000_NS6detail17trampoline_kernelINS0_14default_configENS1_25partition_config_selectorILNS1_17partition_subalgoE1ExNS0_10empty_typeEbEEZZNS1_14partition_implILS5_1ELb0ES3_jN6thrust23THRUST_200600_302600_NS6detail15normal_iteratorINSA_10device_ptrIxEEEEPS6_NSA_18transform_iteratorI7is_evenIxESF_NSA_11use_defaultESK_EENS0_5tupleIJNSA_16discard_iteratorISK_EESO_EEENSM_IJSG_SG_EEES6_PlJS6_EEE10hipError_tPvRmT3_T4_T5_T6_T7_T9_mT8_P12ihipStream_tbDpT10_ENKUlT_T0_E_clISt17integral_constantIbLb0EES1B_EEDaS16_S17_EUlS16_E_NS1_11comp_targetILNS1_3genE0ELNS1_11target_archE4294967295ELNS1_3gpuE0ELNS1_3repE0EEENS1_30default_config_static_selectorELNS0_4arch9wavefront6targetE1EEEvT1_,@function
_ZN7rocprim17ROCPRIM_400000_NS6detail17trampoline_kernelINS0_14default_configENS1_25partition_config_selectorILNS1_17partition_subalgoE1ExNS0_10empty_typeEbEEZZNS1_14partition_implILS5_1ELb0ES3_jN6thrust23THRUST_200600_302600_NS6detail15normal_iteratorINSA_10device_ptrIxEEEEPS6_NSA_18transform_iteratorI7is_evenIxESF_NSA_11use_defaultESK_EENS0_5tupleIJNSA_16discard_iteratorISK_EESO_EEENSM_IJSG_SG_EEES6_PlJS6_EEE10hipError_tPvRmT3_T4_T5_T6_T7_T9_mT8_P12ihipStream_tbDpT10_ENKUlT_T0_E_clISt17integral_constantIbLb0EES1B_EEDaS16_S17_EUlS16_E_NS1_11comp_targetILNS1_3genE0ELNS1_11target_archE4294967295ELNS1_3gpuE0ELNS1_3repE0EEENS1_30default_config_static_selectorELNS0_4arch9wavefront6targetE1EEEvT1_: ; @_ZN7rocprim17ROCPRIM_400000_NS6detail17trampoline_kernelINS0_14default_configENS1_25partition_config_selectorILNS1_17partition_subalgoE1ExNS0_10empty_typeEbEEZZNS1_14partition_implILS5_1ELb0ES3_jN6thrust23THRUST_200600_302600_NS6detail15normal_iteratorINSA_10device_ptrIxEEEEPS6_NSA_18transform_iteratorI7is_evenIxESF_NSA_11use_defaultESK_EENS0_5tupleIJNSA_16discard_iteratorISK_EESO_EEENSM_IJSG_SG_EEES6_PlJS6_EEE10hipError_tPvRmT3_T4_T5_T6_T7_T9_mT8_P12ihipStream_tbDpT10_ENKUlT_T0_E_clISt17integral_constantIbLb0EES1B_EEDaS16_S17_EUlS16_E_NS1_11comp_targetILNS1_3genE0ELNS1_11target_archE4294967295ELNS1_3gpuE0ELNS1_3repE0EEENS1_30default_config_static_selectorELNS0_4arch9wavefront6targetE1EEEvT1_
; %bb.0:
	.section	.rodata,"a",@progbits
	.p2align	6, 0x0
	.amdhsa_kernel _ZN7rocprim17ROCPRIM_400000_NS6detail17trampoline_kernelINS0_14default_configENS1_25partition_config_selectorILNS1_17partition_subalgoE1ExNS0_10empty_typeEbEEZZNS1_14partition_implILS5_1ELb0ES3_jN6thrust23THRUST_200600_302600_NS6detail15normal_iteratorINSA_10device_ptrIxEEEEPS6_NSA_18transform_iteratorI7is_evenIxESF_NSA_11use_defaultESK_EENS0_5tupleIJNSA_16discard_iteratorISK_EESO_EEENSM_IJSG_SG_EEES6_PlJS6_EEE10hipError_tPvRmT3_T4_T5_T6_T7_T9_mT8_P12ihipStream_tbDpT10_ENKUlT_T0_E_clISt17integral_constantIbLb0EES1B_EEDaS16_S17_EUlS16_E_NS1_11comp_targetILNS1_3genE0ELNS1_11target_archE4294967295ELNS1_3gpuE0ELNS1_3repE0EEENS1_30default_config_static_selectorELNS0_4arch9wavefront6targetE1EEEvT1_
		.amdhsa_group_segment_fixed_size 0
		.amdhsa_private_segment_fixed_size 0
		.amdhsa_kernarg_size 144
		.amdhsa_user_sgpr_count 2
		.amdhsa_user_sgpr_dispatch_ptr 0
		.amdhsa_user_sgpr_queue_ptr 0
		.amdhsa_user_sgpr_kernarg_segment_ptr 1
		.amdhsa_user_sgpr_dispatch_id 0
		.amdhsa_user_sgpr_kernarg_preload_length 0
		.amdhsa_user_sgpr_kernarg_preload_offset 0
		.amdhsa_user_sgpr_private_segment_size 0
		.amdhsa_uses_dynamic_stack 0
		.amdhsa_enable_private_segment 0
		.amdhsa_system_sgpr_workgroup_id_x 1
		.amdhsa_system_sgpr_workgroup_id_y 0
		.amdhsa_system_sgpr_workgroup_id_z 0
		.amdhsa_system_sgpr_workgroup_info 0
		.amdhsa_system_vgpr_workitem_id 0
		.amdhsa_next_free_vgpr 1
		.amdhsa_next_free_sgpr 0
		.amdhsa_accum_offset 4
		.amdhsa_reserve_vcc 0
		.amdhsa_float_round_mode_32 0
		.amdhsa_float_round_mode_16_64 0
		.amdhsa_float_denorm_mode_32 3
		.amdhsa_float_denorm_mode_16_64 3
		.amdhsa_dx10_clamp 1
		.amdhsa_ieee_mode 1
		.amdhsa_fp16_overflow 0
		.amdhsa_tg_split 0
		.amdhsa_exception_fp_ieee_invalid_op 0
		.amdhsa_exception_fp_denorm_src 0
		.amdhsa_exception_fp_ieee_div_zero 0
		.amdhsa_exception_fp_ieee_overflow 0
		.amdhsa_exception_fp_ieee_underflow 0
		.amdhsa_exception_fp_ieee_inexact 0
		.amdhsa_exception_int_div_zero 0
	.end_amdhsa_kernel
	.section	.text._ZN7rocprim17ROCPRIM_400000_NS6detail17trampoline_kernelINS0_14default_configENS1_25partition_config_selectorILNS1_17partition_subalgoE1ExNS0_10empty_typeEbEEZZNS1_14partition_implILS5_1ELb0ES3_jN6thrust23THRUST_200600_302600_NS6detail15normal_iteratorINSA_10device_ptrIxEEEEPS6_NSA_18transform_iteratorI7is_evenIxESF_NSA_11use_defaultESK_EENS0_5tupleIJNSA_16discard_iteratorISK_EESO_EEENSM_IJSG_SG_EEES6_PlJS6_EEE10hipError_tPvRmT3_T4_T5_T6_T7_T9_mT8_P12ihipStream_tbDpT10_ENKUlT_T0_E_clISt17integral_constantIbLb0EES1B_EEDaS16_S17_EUlS16_E_NS1_11comp_targetILNS1_3genE0ELNS1_11target_archE4294967295ELNS1_3gpuE0ELNS1_3repE0EEENS1_30default_config_static_selectorELNS0_4arch9wavefront6targetE1EEEvT1_,"axG",@progbits,_ZN7rocprim17ROCPRIM_400000_NS6detail17trampoline_kernelINS0_14default_configENS1_25partition_config_selectorILNS1_17partition_subalgoE1ExNS0_10empty_typeEbEEZZNS1_14partition_implILS5_1ELb0ES3_jN6thrust23THRUST_200600_302600_NS6detail15normal_iteratorINSA_10device_ptrIxEEEEPS6_NSA_18transform_iteratorI7is_evenIxESF_NSA_11use_defaultESK_EENS0_5tupleIJNSA_16discard_iteratorISK_EESO_EEENSM_IJSG_SG_EEES6_PlJS6_EEE10hipError_tPvRmT3_T4_T5_T6_T7_T9_mT8_P12ihipStream_tbDpT10_ENKUlT_T0_E_clISt17integral_constantIbLb0EES1B_EEDaS16_S17_EUlS16_E_NS1_11comp_targetILNS1_3genE0ELNS1_11target_archE4294967295ELNS1_3gpuE0ELNS1_3repE0EEENS1_30default_config_static_selectorELNS0_4arch9wavefront6targetE1EEEvT1_,comdat
.Lfunc_end3163:
	.size	_ZN7rocprim17ROCPRIM_400000_NS6detail17trampoline_kernelINS0_14default_configENS1_25partition_config_selectorILNS1_17partition_subalgoE1ExNS0_10empty_typeEbEEZZNS1_14partition_implILS5_1ELb0ES3_jN6thrust23THRUST_200600_302600_NS6detail15normal_iteratorINSA_10device_ptrIxEEEEPS6_NSA_18transform_iteratorI7is_evenIxESF_NSA_11use_defaultESK_EENS0_5tupleIJNSA_16discard_iteratorISK_EESO_EEENSM_IJSG_SG_EEES6_PlJS6_EEE10hipError_tPvRmT3_T4_T5_T6_T7_T9_mT8_P12ihipStream_tbDpT10_ENKUlT_T0_E_clISt17integral_constantIbLb0EES1B_EEDaS16_S17_EUlS16_E_NS1_11comp_targetILNS1_3genE0ELNS1_11target_archE4294967295ELNS1_3gpuE0ELNS1_3repE0EEENS1_30default_config_static_selectorELNS0_4arch9wavefront6targetE1EEEvT1_, .Lfunc_end3163-_ZN7rocprim17ROCPRIM_400000_NS6detail17trampoline_kernelINS0_14default_configENS1_25partition_config_selectorILNS1_17partition_subalgoE1ExNS0_10empty_typeEbEEZZNS1_14partition_implILS5_1ELb0ES3_jN6thrust23THRUST_200600_302600_NS6detail15normal_iteratorINSA_10device_ptrIxEEEEPS6_NSA_18transform_iteratorI7is_evenIxESF_NSA_11use_defaultESK_EENS0_5tupleIJNSA_16discard_iteratorISK_EESO_EEENSM_IJSG_SG_EEES6_PlJS6_EEE10hipError_tPvRmT3_T4_T5_T6_T7_T9_mT8_P12ihipStream_tbDpT10_ENKUlT_T0_E_clISt17integral_constantIbLb0EES1B_EEDaS16_S17_EUlS16_E_NS1_11comp_targetILNS1_3genE0ELNS1_11target_archE4294967295ELNS1_3gpuE0ELNS1_3repE0EEENS1_30default_config_static_selectorELNS0_4arch9wavefront6targetE1EEEvT1_
                                        ; -- End function
	.section	.AMDGPU.csdata,"",@progbits
; Kernel info:
; codeLenInByte = 0
; NumSgprs: 6
; NumVgprs: 0
; NumAgprs: 0
; TotalNumVgprs: 0
; ScratchSize: 0
; MemoryBound: 0
; FloatMode: 240
; IeeeMode: 1
; LDSByteSize: 0 bytes/workgroup (compile time only)
; SGPRBlocks: 0
; VGPRBlocks: 0
; NumSGPRsForWavesPerEU: 6
; NumVGPRsForWavesPerEU: 1
; AccumOffset: 4
; Occupancy: 8
; WaveLimiterHint : 0
; COMPUTE_PGM_RSRC2:SCRATCH_EN: 0
; COMPUTE_PGM_RSRC2:USER_SGPR: 2
; COMPUTE_PGM_RSRC2:TRAP_HANDLER: 0
; COMPUTE_PGM_RSRC2:TGID_X_EN: 1
; COMPUTE_PGM_RSRC2:TGID_Y_EN: 0
; COMPUTE_PGM_RSRC2:TGID_Z_EN: 0
; COMPUTE_PGM_RSRC2:TIDIG_COMP_CNT: 0
; COMPUTE_PGM_RSRC3_GFX90A:ACCUM_OFFSET: 0
; COMPUTE_PGM_RSRC3_GFX90A:TG_SPLIT: 0
	.section	.text._ZN7rocprim17ROCPRIM_400000_NS6detail17trampoline_kernelINS0_14default_configENS1_25partition_config_selectorILNS1_17partition_subalgoE1ExNS0_10empty_typeEbEEZZNS1_14partition_implILS5_1ELb0ES3_jN6thrust23THRUST_200600_302600_NS6detail15normal_iteratorINSA_10device_ptrIxEEEEPS6_NSA_18transform_iteratorI7is_evenIxESF_NSA_11use_defaultESK_EENS0_5tupleIJNSA_16discard_iteratorISK_EESO_EEENSM_IJSG_SG_EEES6_PlJS6_EEE10hipError_tPvRmT3_T4_T5_T6_T7_T9_mT8_P12ihipStream_tbDpT10_ENKUlT_T0_E_clISt17integral_constantIbLb0EES1B_EEDaS16_S17_EUlS16_E_NS1_11comp_targetILNS1_3genE5ELNS1_11target_archE942ELNS1_3gpuE9ELNS1_3repE0EEENS1_30default_config_static_selectorELNS0_4arch9wavefront6targetE1EEEvT1_,"axG",@progbits,_ZN7rocprim17ROCPRIM_400000_NS6detail17trampoline_kernelINS0_14default_configENS1_25partition_config_selectorILNS1_17partition_subalgoE1ExNS0_10empty_typeEbEEZZNS1_14partition_implILS5_1ELb0ES3_jN6thrust23THRUST_200600_302600_NS6detail15normal_iteratorINSA_10device_ptrIxEEEEPS6_NSA_18transform_iteratorI7is_evenIxESF_NSA_11use_defaultESK_EENS0_5tupleIJNSA_16discard_iteratorISK_EESO_EEENSM_IJSG_SG_EEES6_PlJS6_EEE10hipError_tPvRmT3_T4_T5_T6_T7_T9_mT8_P12ihipStream_tbDpT10_ENKUlT_T0_E_clISt17integral_constantIbLb0EES1B_EEDaS16_S17_EUlS16_E_NS1_11comp_targetILNS1_3genE5ELNS1_11target_archE942ELNS1_3gpuE9ELNS1_3repE0EEENS1_30default_config_static_selectorELNS0_4arch9wavefront6targetE1EEEvT1_,comdat
	.protected	_ZN7rocprim17ROCPRIM_400000_NS6detail17trampoline_kernelINS0_14default_configENS1_25partition_config_selectorILNS1_17partition_subalgoE1ExNS0_10empty_typeEbEEZZNS1_14partition_implILS5_1ELb0ES3_jN6thrust23THRUST_200600_302600_NS6detail15normal_iteratorINSA_10device_ptrIxEEEEPS6_NSA_18transform_iteratorI7is_evenIxESF_NSA_11use_defaultESK_EENS0_5tupleIJNSA_16discard_iteratorISK_EESO_EEENSM_IJSG_SG_EEES6_PlJS6_EEE10hipError_tPvRmT3_T4_T5_T6_T7_T9_mT8_P12ihipStream_tbDpT10_ENKUlT_T0_E_clISt17integral_constantIbLb0EES1B_EEDaS16_S17_EUlS16_E_NS1_11comp_targetILNS1_3genE5ELNS1_11target_archE942ELNS1_3gpuE9ELNS1_3repE0EEENS1_30default_config_static_selectorELNS0_4arch9wavefront6targetE1EEEvT1_ ; -- Begin function _ZN7rocprim17ROCPRIM_400000_NS6detail17trampoline_kernelINS0_14default_configENS1_25partition_config_selectorILNS1_17partition_subalgoE1ExNS0_10empty_typeEbEEZZNS1_14partition_implILS5_1ELb0ES3_jN6thrust23THRUST_200600_302600_NS6detail15normal_iteratorINSA_10device_ptrIxEEEEPS6_NSA_18transform_iteratorI7is_evenIxESF_NSA_11use_defaultESK_EENS0_5tupleIJNSA_16discard_iteratorISK_EESO_EEENSM_IJSG_SG_EEES6_PlJS6_EEE10hipError_tPvRmT3_T4_T5_T6_T7_T9_mT8_P12ihipStream_tbDpT10_ENKUlT_T0_E_clISt17integral_constantIbLb0EES1B_EEDaS16_S17_EUlS16_E_NS1_11comp_targetILNS1_3genE5ELNS1_11target_archE942ELNS1_3gpuE9ELNS1_3repE0EEENS1_30default_config_static_selectorELNS0_4arch9wavefront6targetE1EEEvT1_
	.globl	_ZN7rocprim17ROCPRIM_400000_NS6detail17trampoline_kernelINS0_14default_configENS1_25partition_config_selectorILNS1_17partition_subalgoE1ExNS0_10empty_typeEbEEZZNS1_14partition_implILS5_1ELb0ES3_jN6thrust23THRUST_200600_302600_NS6detail15normal_iteratorINSA_10device_ptrIxEEEEPS6_NSA_18transform_iteratorI7is_evenIxESF_NSA_11use_defaultESK_EENS0_5tupleIJNSA_16discard_iteratorISK_EESO_EEENSM_IJSG_SG_EEES6_PlJS6_EEE10hipError_tPvRmT3_T4_T5_T6_T7_T9_mT8_P12ihipStream_tbDpT10_ENKUlT_T0_E_clISt17integral_constantIbLb0EES1B_EEDaS16_S17_EUlS16_E_NS1_11comp_targetILNS1_3genE5ELNS1_11target_archE942ELNS1_3gpuE9ELNS1_3repE0EEENS1_30default_config_static_selectorELNS0_4arch9wavefront6targetE1EEEvT1_
	.p2align	8
	.type	_ZN7rocprim17ROCPRIM_400000_NS6detail17trampoline_kernelINS0_14default_configENS1_25partition_config_selectorILNS1_17partition_subalgoE1ExNS0_10empty_typeEbEEZZNS1_14partition_implILS5_1ELb0ES3_jN6thrust23THRUST_200600_302600_NS6detail15normal_iteratorINSA_10device_ptrIxEEEEPS6_NSA_18transform_iteratorI7is_evenIxESF_NSA_11use_defaultESK_EENS0_5tupleIJNSA_16discard_iteratorISK_EESO_EEENSM_IJSG_SG_EEES6_PlJS6_EEE10hipError_tPvRmT3_T4_T5_T6_T7_T9_mT8_P12ihipStream_tbDpT10_ENKUlT_T0_E_clISt17integral_constantIbLb0EES1B_EEDaS16_S17_EUlS16_E_NS1_11comp_targetILNS1_3genE5ELNS1_11target_archE942ELNS1_3gpuE9ELNS1_3repE0EEENS1_30default_config_static_selectorELNS0_4arch9wavefront6targetE1EEEvT1_,@function
_ZN7rocprim17ROCPRIM_400000_NS6detail17trampoline_kernelINS0_14default_configENS1_25partition_config_selectorILNS1_17partition_subalgoE1ExNS0_10empty_typeEbEEZZNS1_14partition_implILS5_1ELb0ES3_jN6thrust23THRUST_200600_302600_NS6detail15normal_iteratorINSA_10device_ptrIxEEEEPS6_NSA_18transform_iteratorI7is_evenIxESF_NSA_11use_defaultESK_EENS0_5tupleIJNSA_16discard_iteratorISK_EESO_EEENSM_IJSG_SG_EEES6_PlJS6_EEE10hipError_tPvRmT3_T4_T5_T6_T7_T9_mT8_P12ihipStream_tbDpT10_ENKUlT_T0_E_clISt17integral_constantIbLb0EES1B_EEDaS16_S17_EUlS16_E_NS1_11comp_targetILNS1_3genE5ELNS1_11target_archE942ELNS1_3gpuE9ELNS1_3repE0EEENS1_30default_config_static_selectorELNS0_4arch9wavefront6targetE1EEEvT1_: ; @_ZN7rocprim17ROCPRIM_400000_NS6detail17trampoline_kernelINS0_14default_configENS1_25partition_config_selectorILNS1_17partition_subalgoE1ExNS0_10empty_typeEbEEZZNS1_14partition_implILS5_1ELb0ES3_jN6thrust23THRUST_200600_302600_NS6detail15normal_iteratorINSA_10device_ptrIxEEEEPS6_NSA_18transform_iteratorI7is_evenIxESF_NSA_11use_defaultESK_EENS0_5tupleIJNSA_16discard_iteratorISK_EESO_EEENSM_IJSG_SG_EEES6_PlJS6_EEE10hipError_tPvRmT3_T4_T5_T6_T7_T9_mT8_P12ihipStream_tbDpT10_ENKUlT_T0_E_clISt17integral_constantIbLb0EES1B_EEDaS16_S17_EUlS16_E_NS1_11comp_targetILNS1_3genE5ELNS1_11target_archE942ELNS1_3gpuE9ELNS1_3repE0EEENS1_30default_config_static_selectorELNS0_4arch9wavefront6targetE1EEEvT1_
; %bb.0:
	s_load_dword s3, s[0:1], 0x88
	s_load_dwordx2 s[4:5], s[0:1], 0x70
	s_load_dwordx4 s[12:15], s[0:1], 0x8
	s_load_dwordx2 s[6:7], s[0:1], 0x20
	s_load_dwordx4 s[20:23], s[0:1], 0x60
	s_waitcnt lgkmcnt(0)
	v_mov_b32_e32 v3, s5
	s_lshl_b64 s[8:9], s[14:15], 3
	s_add_u32 s16, s12, s8
	s_mul_i32 s5, s3, 0xe00
	s_addc_u32 s17, s13, s9
	s_add_i32 s10, s3, -1
	s_add_i32 s3, s5, s14
	s_sub_i32 s3, s4, s3
	s_addk_i32 s3, 0xe00
	v_mov_b32_e32 v2, s4
	s_add_u32 s4, s14, s5
	s_addc_u32 s5, s15, 0
	s_cmp_eq_u32 s2, s10
	s_load_dwordx2 s[18:19], s[22:23], 0x0
	s_cselect_b64 s[22:23], -1, 0
	s_cmp_lg_u32 s2, s10
	s_mul_i32 s12, s2, 0xe00
	s_mov_b32 s13, 0
	v_cmp_lt_u64_e32 vcc, s[4:5], v[2:3]
	s_cselect_b64 s[4:5], -1, 0
	s_or_b64 s[10:11], s[4:5], vcc
	s_lshl_b64 s[12:13], s[12:13], 3
	s_add_u32 s14, s16, s12
	s_addc_u32 s15, s17, s13
	s_mov_b64 s[4:5], -1
	s_and_b64 vcc, exec, s[10:11]
	s_cbranch_vccz .LBB3164_2
; %bb.1:
	v_lshlrev_b32_e32 v2, 3, v0
	v_mov_b32_e32 v3, 0
	v_lshl_add_u64 v[4:5], s[14:15], 0, v[2:3]
	v_add_co_u32_e32 v6, vcc, 0x1000, v4
	s_mov_b64 s[4:5], 0
	s_nop 0
	v_addc_co_u32_e32 v7, vcc, 0, v5, vcc
	v_add_co_u32_e32 v8, vcc, 0x2000, v4
	s_nop 1
	v_addc_co_u32_e32 v9, vcc, 0, v5, vcc
	v_add_co_u32_e32 v10, vcc, 0x3000, v4
	s_nop 1
	v_addc_co_u32_e32 v11, vcc, 0, v5, vcc
	flat_load_dwordx2 v[12:13], v[4:5]
	flat_load_dwordx2 v[14:15], v[6:7]
	;; [unrolled: 1-line block ×4, first 2 shown]
	v_add_co_u32_e32 v6, vcc, 0x4000, v4
	s_nop 1
	v_addc_co_u32_e32 v7, vcc, 0, v5, vcc
	v_add_co_u32_e32 v8, vcc, 0x5000, v4
	s_nop 1
	v_addc_co_u32_e32 v9, vcc, 0, v5, vcc
	;; [unrolled: 3-line block ×3, first 2 shown]
	flat_load_dwordx2 v[10:11], v[6:7]
	flat_load_dwordx2 v[20:21], v[8:9]
	;; [unrolled: 1-line block ×3, first 2 shown]
	s_waitcnt vmcnt(0) lgkmcnt(0)
	ds_write2st64_b64 v2, v[12:13], v[14:15] offset1:8
	ds_write2st64_b64 v2, v[16:17], v[18:19] offset0:16 offset1:24
	ds_write2st64_b64 v2, v[10:11], v[20:21] offset0:32 offset1:40
	ds_write_b64 v2, v[22:23] offset:24576
	s_waitcnt lgkmcnt(0)
	s_barrier
.LBB3164_2:
	s_andn2_b64 vcc, exec, s[4:5]
	v_cmp_gt_u32_e64 s[4:5], s3, v0
	s_cbranch_vccnz .LBB3164_18
; %bb.3:
                                        ; implicit-def: $vgpr2_vgpr3_vgpr4_vgpr5_vgpr6_vgpr7_vgpr8_vgpr9_vgpr10_vgpr11_vgpr12_vgpr13_vgpr14_vgpr15_vgpr16_vgpr17
	s_and_saveexec_b64 s[16:17], s[4:5]
	s_cbranch_execz .LBB3164_5
; %bb.4:
	v_lshlrev_b32_e32 v2, 3, v0
	v_mov_b32_e32 v3, 0
	v_lshl_add_u64 v[2:3], s[14:15], 0, v[2:3]
	flat_load_dwordx2 v[2:3], v[2:3]
.LBB3164_5:
	s_or_b64 exec, exec, s[16:17]
	v_or_b32_e32 v1, 0x200, v0
	v_cmp_gt_u32_e32 vcc, s3, v1
	s_and_saveexec_b64 s[4:5], vcc
	s_cbranch_execz .LBB3164_7
; %bb.6:
	v_lshlrev_b32_e32 v4, 3, v1
	v_mov_b32_e32 v5, 0
	v_lshl_add_u64 v[4:5], s[14:15], 0, v[4:5]
	flat_load_dwordx2 v[4:5], v[4:5]
.LBB3164_7:
	s_or_b64 exec, exec, s[4:5]
	v_or_b32_e32 v1, 0x400, v0
	v_cmp_gt_u32_e32 vcc, s3, v1
	s_and_saveexec_b64 s[4:5], vcc
	;; [unrolled: 11-line block ×6, first 2 shown]
	s_cbranch_execz .LBB3164_17
; %bb.16:
	v_lshlrev_b32_e32 v14, 3, v1
	v_mov_b32_e32 v15, 0
	v_lshl_add_u64 v[14:15], s[14:15], 0, v[14:15]
	flat_load_dwordx2 v[14:15], v[14:15]
.LBB3164_17:
	s_or_b64 exec, exec, s[4:5]
	v_lshlrev_b32_e32 v1, 3, v0
	s_waitcnt vmcnt(0) lgkmcnt(0)
	ds_write2st64_b64 v1, v[2:3], v[4:5] offset1:8
	ds_write2st64_b64 v1, v[6:7], v[8:9] offset0:16 offset1:24
	ds_write2st64_b64 v1, v[10:11], v[12:13] offset0:32 offset1:40
	ds_write_b64 v1, v[14:15] offset:24576
	s_waitcnt lgkmcnt(0)
	s_barrier
.LBB3164_18:
	v_mul_u32_u24_e32 v1, 7, v0
	v_lshlrev_b32_e32 v16, 3, v1
	s_waitcnt lgkmcnt(0)
	ds_read2_b64 v[10:13], v16 offset1:1
	ds_read2_b64 v[6:9], v16 offset0:2 offset1:3
	ds_read2_b64 v[2:5], v16 offset0:4 offset1:5
	ds_read_b64 v[14:15], v16 offset:48
	s_add_u32 s4, s6, s8
	s_addc_u32 s5, s7, s9
	s_add_u32 s4, s4, s12
	s_addc_u32 s5, s5, s13
	s_mov_b64 s[6:7], -1
	s_and_b64 vcc, exec, s[10:11]
	s_waitcnt lgkmcnt(0)
	s_barrier
	s_cbranch_vccz .LBB3164_20
; %bb.19:
	v_lshlrev_b32_e32 v18, 3, v0
	v_mov_b32_e32 v19, 0
	v_lshl_add_u64 v[20:21], s[4:5], 0, v[18:19]
	v_add_co_u32_e32 v22, vcc, 0x1000, v20
	global_load_dwordx2 v[18:19], v18, s[4:5]
	s_nop 0
	v_addc_co_u32_e32 v23, vcc, 0, v21, vcc
	v_add_co_u32_e32 v24, vcc, 0x2000, v20
	s_mov_b64 s[6:7], 0
	s_nop 0
	v_addc_co_u32_e32 v25, vcc, 0, v21, vcc
	v_add_co_u32_e32 v26, vcc, 0x3000, v20
	s_waitcnt vmcnt(0)
	v_xor_b32_e32 v17, -1, v18
	v_addc_co_u32_e32 v27, vcc, 0, v21, vcc
	v_add_co_u32_e32 v28, vcc, 0x4000, v20
	v_and_b32_e32 v17, 1, v17
	s_nop 0
	v_addc_co_u32_e32 v29, vcc, 0, v21, vcc
	global_load_dwordx2 v[30:31], v[22:23], off
	global_load_dwordx2 v[32:33], v[24:25], off
	;; [unrolled: 1-line block ×4, first 2 shown]
	v_add_co_u32_e32 v22, vcc, 0x5000, v20
	ds_write_b8 v0, v17
	s_nop 0
	v_addc_co_u32_e32 v23, vcc, 0, v21, vcc
	v_add_co_u32_e32 v20, vcc, 0x6000, v20
	global_load_dwordx2 v[22:23], v[22:23], off
	s_nop 0
	v_addc_co_u32_e32 v21, vcc, 0, v21, vcc
	global_load_dwordx2 v[20:21], v[20:21], off
	s_waitcnt vmcnt(5)
	v_xor_b32_e32 v17, -1, v30
	v_and_b32_e32 v17, 1, v17
	s_waitcnt vmcnt(4)
	v_xor_b32_e32 v18, -1, v32
	s_waitcnt vmcnt(3)
	v_xor_b32_e32 v19, -1, v34
	v_and_b32_e32 v18, 1, v18
	ds_write_b8 v0, v17 offset:512
	v_and_b32_e32 v17, 1, v19
	s_waitcnt vmcnt(2)
	v_xor_b32_e32 v19, -1, v36
	ds_write_b8 v0, v18 offset:1024
	v_and_b32_e32 v18, 1, v19
	ds_write_b8 v0, v17 offset:1536
	s_waitcnt vmcnt(1)
	v_xor_b32_e32 v19, -1, v22
	v_and_b32_e32 v17, 1, v19
	ds_write_b8 v0, v18 offset:2048
	s_waitcnt vmcnt(0)
	v_xor_b32_e32 v19, -1, v20
	v_and_b32_e32 v18, 1, v19
	ds_write_b8 v0, v17 offset:2560
	ds_write_b8 v0, v18 offset:3072
	s_waitcnt lgkmcnt(0)
	s_barrier
.LBB3164_20:
	s_load_dwordx2 s[24:25], s[0:1], 0x80
	s_andn2_b64 vcc, exec, s[6:7]
	s_cbranch_vccnz .LBB3164_36
; %bb.21:
	v_cmp_gt_u32_e32 vcc, s3, v0
	v_mov_b32_e32 v17, 0
	v_mov_b32_e32 v18, 0
	s_and_saveexec_b64 s[0:1], vcc
	s_cbranch_execz .LBB3164_23
; %bb.22:
	v_lshlrev_b32_e32 v18, 3, v0
	global_load_dwordx2 v[18:19], v18, s[4:5]
	s_waitcnt vmcnt(0)
	v_xor_b32_e32 v18, -1, v18
	v_and_b32_e32 v18, 1, v18
.LBB3164_23:
	s_or_b64 exec, exec, s[0:1]
	v_or_b32_e32 v19, 0x200, v0
	v_cmp_gt_u32_e32 vcc, s3, v19
	s_and_saveexec_b64 s[0:1], vcc
	s_cbranch_execz .LBB3164_25
; %bb.24:
	v_lshlrev_b32_e32 v17, 3, v19
	global_load_dwordx2 v[20:21], v17, s[4:5]
	s_waitcnt vmcnt(0)
	v_xor_b32_e32 v17, -1, v20
	v_and_b32_e32 v17, 1, v17
.LBB3164_25:
	s_or_b64 exec, exec, s[0:1]
	v_or_b32_e32 v21, 0x400, v0
	v_cmp_gt_u32_e32 vcc, s3, v21
	v_mov_b32_e32 v19, 0
	v_mov_b32_e32 v20, 0
	s_and_saveexec_b64 s[0:1], vcc
	s_cbranch_execz .LBB3164_27
; %bb.26:
	v_lshlrev_b32_e32 v20, 3, v21
	global_load_dwordx2 v[20:21], v20, s[4:5]
	s_waitcnt vmcnt(0)
	v_xor_b32_e32 v20, -1, v20
	v_and_b32_e32 v20, 1, v20
.LBB3164_27:
	s_or_b64 exec, exec, s[0:1]
	v_or_b32_e32 v21, 0x600, v0
	v_cmp_gt_u32_e32 vcc, s3, v21
	s_and_saveexec_b64 s[0:1], vcc
	s_cbranch_execz .LBB3164_29
; %bb.28:
	v_lshlrev_b32_e32 v19, 3, v21
	global_load_dwordx2 v[22:23], v19, s[4:5]
	s_waitcnt vmcnt(0)
	v_xor_b32_e32 v19, -1, v22
	v_and_b32_e32 v19, 1, v19
.LBB3164_29:
	s_or_b64 exec, exec, s[0:1]
	v_or_b32_e32 v23, 0x800, v0
	;; [unrolled: 26-line block ×3, first 2 shown]
	v_cmp_gt_u32_e32 vcc, s3, v24
	v_mov_b32_e32 v23, 0
	s_and_saveexec_b64 s[0:1], vcc
	s_cbranch_execz .LBB3164_35
; %bb.34:
	v_lshlrev_b32_e32 v23, 3, v24
	global_load_dwordx2 v[24:25], v23, s[4:5]
	s_waitcnt vmcnt(0)
	v_xor_b32_e32 v23, -1, v24
	v_and_b32_e32 v23, 1, v23
.LBB3164_35:
	s_or_b64 exec, exec, s[0:1]
	ds_write_b8 v0, v18
	ds_write_b8 v0, v17 offset:512
	ds_write_b8 v0, v20 offset:1024
	;; [unrolled: 1-line block ×6, first 2 shown]
	s_waitcnt lgkmcnt(0)
	s_barrier
.LBB3164_36:
	s_movk_i32 s0, 0xffcf
	v_mad_i32_i24 v34, v0, s0, v16
	s_waitcnt lgkmcnt(0)
	ds_read_u8 v16, v34
	ds_read_u8 v17, v34 offset:1
	ds_read_u8 v18, v34 offset:2
	;; [unrolled: 1-line block ×6, first 2 shown]
	s_waitcnt lgkmcnt(6)
	v_and_b32_e32 v32, 1, v16
	s_waitcnt lgkmcnt(5)
	v_and_b32_e32 v31, 1, v17
	;; [unrolled: 2-line block ×5, first 2 shown]
	v_add3_u32 v16, v31, v32, v30
	s_waitcnt lgkmcnt(1)
	v_and_b32_e32 v27, 1, v21
	s_waitcnt lgkmcnt(0)
	v_and_b32_e32 v26, 1, v22
	v_add3_u32 v16, v16, v29, v28
	v_add3_u32 v36, v16, v27, v26
	v_mbcnt_lo_u32_b32 v16, -1, 0
	v_mbcnt_hi_u32_b32 v33, -1, v16
	v_and_b32_e32 v16, 15, v33
	v_cmp_eq_u32_e64 s[12:13], 0, v16
	v_cmp_lt_u32_e64 s[10:11], 1, v16
	v_cmp_lt_u32_e64 s[8:9], 3, v16
	v_cmp_lt_u32_e64 s[6:7], 7, v16
	v_and_b32_e32 v16, 16, v33
	v_cmp_eq_u32_e64 s[4:5], 0, v16
	v_or_b32_e32 v16, 63, v0
	s_cmp_lg_u32 s2, 0
	v_cmp_lt_u32_e64 s[0:1], 31, v33
	v_lshrrev_b32_e32 v35, 6, v0
	v_cmp_eq_u32_e64 s[16:17], v16, v0
	s_barrier
	s_cbranch_scc0 .LBB3164_63
; %bb.37:
	v_mov_b32_dpp v16, v36 row_shr:1 row_mask:0xf bank_mask:0xf
	v_cndmask_b32_e64 v16, v16, 0, s[12:13]
	v_add_u32_e32 v16, v16, v36
	s_nop 1
	v_mov_b32_dpp v17, v16 row_shr:2 row_mask:0xf bank_mask:0xf
	v_cndmask_b32_e64 v17, 0, v17, s[10:11]
	v_add_u32_e32 v16, v16, v17
	s_nop 1
	;; [unrolled: 4-line block ×4, first 2 shown]
	v_mov_b32_dpp v17, v16 row_bcast:15 row_mask:0xf bank_mask:0xf
	v_cndmask_b32_e64 v17, v17, 0, s[4:5]
	v_add_u32_e32 v16, v16, v17
	s_nop 1
	v_mov_b32_dpp v17, v16 row_bcast:31 row_mask:0xf bank_mask:0xf
	v_cndmask_b32_e64 v17, 0, v17, s[0:1]
	v_add_u32_e32 v16, v16, v17
	s_and_saveexec_b64 s[14:15], s[16:17]
	s_cbranch_execz .LBB3164_39
; %bb.38:
	v_lshlrev_b32_e32 v17, 2, v35
	ds_write_b32 v17, v16
.LBB3164_39:
	s_or_b64 exec, exec, s[14:15]
	v_cmp_gt_u32_e32 vcc, 8, v0
	s_waitcnt lgkmcnt(0)
	s_barrier
	s_and_saveexec_b64 s[14:15], vcc
	s_cbranch_execz .LBB3164_41
; %bb.40:
	v_lshlrev_b32_e32 v17, 2, v0
	ds_read_b32 v18, v17
	v_and_b32_e32 v19, 7, v33
	v_cmp_ne_u32_e32 vcc, 0, v19
	s_waitcnt lgkmcnt(0)
	v_mov_b32_dpp v20, v18 row_shr:1 row_mask:0xf bank_mask:0xf
	v_cndmask_b32_e32 v20, 0, v20, vcc
	v_add_u32_e32 v18, v20, v18
	v_cmp_lt_u32_e32 vcc, 1, v19
	s_nop 0
	v_mov_b32_dpp v20, v18 row_shr:2 row_mask:0xf bank_mask:0xf
	v_cndmask_b32_e32 v20, 0, v20, vcc
	v_add_u32_e32 v18, v18, v20
	v_cmp_lt_u32_e32 vcc, 3, v19
	s_nop 0
	v_mov_b32_dpp v20, v18 row_shr:4 row_mask:0xf bank_mask:0xf
	v_cndmask_b32_e32 v19, 0, v20, vcc
	v_add_u32_e32 v18, v18, v19
	ds_write_b32 v17, v18
.LBB3164_41:
	s_or_b64 exec, exec, s[14:15]
	v_cmp_gt_u32_e32 vcc, 64, v0
	v_cmp_lt_u32_e64 s[14:15], 63, v0
	s_waitcnt lgkmcnt(0)
	s_barrier
	s_waitcnt lgkmcnt(0)
                                        ; implicit-def: $vgpr37
	s_and_saveexec_b64 s[26:27], s[14:15]
	s_cbranch_execz .LBB3164_43
; %bb.42:
	v_lshl_add_u32 v17, v35, 2, -4
	ds_read_b32 v37, v17
	s_waitcnt lgkmcnt(0)
	v_add_u32_e32 v16, v37, v16
.LBB3164_43:
	s_or_b64 exec, exec, s[26:27]
	v_add_u32_e32 v17, -1, v33
	v_and_b32_e32 v18, 64, v33
	v_cmp_lt_i32_e64 s[14:15], v17, v18
	s_nop 1
	v_cndmask_b32_e64 v17, v17, v33, s[14:15]
	v_lshlrev_b32_e32 v17, 2, v17
	ds_bpermute_b32 v38, v17, v16
	v_cmp_eq_u32_e64 s[14:15], 0, v33
	s_and_saveexec_b64 s[26:27], vcc
	s_cbranch_execz .LBB3164_62
; %bb.44:
	v_mov_b32_e32 v23, 0
	ds_read_b32 v16, v23 offset:28
	s_and_saveexec_b64 s[28:29], s[14:15]
	s_cbranch_execz .LBB3164_46
; %bb.45:
	s_add_i32 s30, s2, 64
	s_mov_b32 s31, 0
	s_lshl_b64 s[30:31], s[30:31], 3
	s_add_u32 s30, s24, s30
	v_mov_b32_e32 v17, 1
	s_addc_u32 s31, s25, s31
	s_waitcnt lgkmcnt(0)
	global_store_dwordx2 v23, v[16:17], s[30:31] sc1
.LBB3164_46:
	s_or_b64 exec, exec, s[28:29]
	v_xad_u32 v18, v33, -1, s2
	v_add_u32_e32 v22, 64, v18
	v_lshl_add_u64 v[24:25], v[22:23], 3, s[24:25]
	global_load_dwordx2 v[20:21], v[24:25], off sc1
	s_waitcnt vmcnt(0)
	v_cmp_eq_u16_sdwa s[30:31], v21, v23 src0_sel:BYTE_0 src1_sel:DWORD
	s_and_saveexec_b64 s[28:29], s[30:31]
	s_cbranch_execz .LBB3164_50
; %bb.47:
	s_mov_b64 s[30:31], 0
	v_mov_b32_e32 v17, 0
.LBB3164_48:                            ; =>This Inner Loop Header: Depth=1
	global_load_dwordx2 v[20:21], v[24:25], off sc1
	s_waitcnt vmcnt(0)
	v_cmp_ne_u16_sdwa s[34:35], v21, v17 src0_sel:BYTE_0 src1_sel:DWORD
	s_or_b64 s[30:31], s[34:35], s[30:31]
	s_andn2_b64 exec, exec, s[30:31]
	s_cbranch_execnz .LBB3164_48
; %bb.49:
	s_or_b64 exec, exec, s[30:31]
.LBB3164_50:
	s_or_b64 exec, exec, s[28:29]
	v_and_b32_e32 v40, 63, v33
	v_mov_b32_e32 v39, 2
	v_cmp_ne_u32_e32 vcc, 63, v40
	v_cmp_eq_u16_sdwa s[28:29], v21, v39 src0_sel:BYTE_0 src1_sel:DWORD
	v_lshlrev_b64 v[22:23], v33, -1
	v_addc_co_u32_e32 v24, vcc, 0, v33, vcc
	v_and_b32_e32 v17, s29, v23
	v_lshlrev_b32_e32 v41, 2, v24
	v_or_b32_e32 v17, 0x80000000, v17
	ds_bpermute_b32 v24, v41, v20
	v_and_b32_e32 v19, s28, v22
	v_ffbl_b32_e32 v17, v17
	v_add_u32_e32 v17, 32, v17
	v_ffbl_b32_e32 v19, v19
	v_min_u32_e32 v17, v19, v17
	v_cmp_lt_u32_e32 vcc, v40, v17
	v_add_u32_e32 v43, 2, v40
	v_add_u32_e32 v45, 4, v40
	s_waitcnt lgkmcnt(0)
	v_cndmask_b32_e32 v19, 0, v24, vcc
	v_cmp_gt_u32_e32 vcc, 62, v40
	v_add_u32_e32 v19, v19, v20
	v_add_u32_e32 v47, 8, v40
	v_cndmask_b32_e64 v20, 0, 1, vcc
	v_lshlrev_b32_e32 v20, 1, v20
	v_add_lshl_u32 v42, v20, v33, 2
	ds_bpermute_b32 v20, v42, v19
	v_cmp_le_u32_e32 vcc, v43, v17
	v_add_u32_e32 v49, 16, v40
	v_add_u32_e32 v51, 32, v40
	s_waitcnt lgkmcnt(0)
	v_cndmask_b32_e32 v20, 0, v20, vcc
	v_cmp_gt_u32_e32 vcc, 60, v40
	v_add_u32_e32 v19, v19, v20
	s_nop 0
	v_cndmask_b32_e64 v20, 0, 1, vcc
	v_lshlrev_b32_e32 v20, 2, v20
	v_add_lshl_u32 v44, v20, v33, 2
	ds_bpermute_b32 v20, v44, v19
	v_cmp_le_u32_e32 vcc, v45, v17
	s_waitcnt lgkmcnt(0)
	s_nop 0
	v_cndmask_b32_e32 v20, 0, v20, vcc
	v_cmp_gt_u32_e32 vcc, 56, v40
	v_add_u32_e32 v19, v19, v20
	s_nop 0
	v_cndmask_b32_e64 v20, 0, 1, vcc
	v_lshlrev_b32_e32 v20, 3, v20
	v_add_lshl_u32 v46, v20, v33, 2
	ds_bpermute_b32 v20, v46, v19
	v_cmp_le_u32_e32 vcc, v47, v17
	s_waitcnt lgkmcnt(0)
	s_nop 0
	;; [unrolled: 11-line block ×4, first 2 shown]
	v_cndmask_b32_e32 v17, 0, v20, vcc
	v_add_u32_e32 v20, v19, v17
	v_mov_b32_e32 v19, 0
	s_branch .LBB3164_52
.LBB3164_51:                            ;   in Loop: Header=BB3164_52 Depth=1
	s_or_b64 exec, exec, s[28:29]
	v_cmp_eq_u16_sdwa s[28:29], v21, v39 src0_sel:BYTE_0 src1_sel:DWORD
	ds_bpermute_b32 v52, v41, v20
	v_subrev_u32_e32 v18, 64, v18
	v_and_b32_e32 v24, s29, v23
	v_or_b32_e32 v24, 0x80000000, v24
	v_and_b32_e32 v25, s28, v22
	v_ffbl_b32_e32 v24, v24
	v_add_u32_e32 v24, 32, v24
	v_ffbl_b32_e32 v25, v25
	v_min_u32_e32 v24, v25, v24
	v_cmp_lt_u32_e32 vcc, v40, v24
	s_waitcnt lgkmcnt(0)
	s_nop 0
	v_cndmask_b32_e32 v25, 0, v52, vcc
	v_add_u32_e32 v20, v25, v20
	ds_bpermute_b32 v25, v42, v20
	v_cmp_le_u32_e32 vcc, v43, v24
	s_waitcnt lgkmcnt(0)
	s_nop 0
	v_cndmask_b32_e32 v25, 0, v25, vcc
	v_add_u32_e32 v20, v20, v25
	ds_bpermute_b32 v25, v44, v20
	v_cmp_le_u32_e32 vcc, v45, v24
	s_waitcnt lgkmcnt(0)
	s_nop 0
	v_cndmask_b32_e32 v25, 0, v25, vcc
	v_add_u32_e32 v20, v20, v25
	ds_bpermute_b32 v25, v46, v20
	v_cmp_le_u32_e32 vcc, v47, v24
	s_waitcnt lgkmcnt(0)
	s_nop 0
	v_cndmask_b32_e32 v25, 0, v25, vcc
	v_add_u32_e32 v20, v20, v25
	ds_bpermute_b32 v25, v48, v20
	v_cmp_le_u32_e32 vcc, v49, v24
	s_waitcnt lgkmcnt(0)
	s_nop 0
	v_cndmask_b32_e32 v25, 0, v25, vcc
	v_add_u32_e32 v20, v20, v25
	ds_bpermute_b32 v25, v50, v20
	v_cmp_le_u32_e32 vcc, v51, v24
	s_waitcnt lgkmcnt(0)
	s_nop 0
	v_cndmask_b32_e32 v24, 0, v25, vcc
	v_add3_u32 v20, v24, v17, v20
.LBB3164_52:                            ; =>This Loop Header: Depth=1
                                        ;     Child Loop BB3164_55 Depth 2
	v_cmp_ne_u16_sdwa s[28:29], v21, v39 src0_sel:BYTE_0 src1_sel:DWORD
	s_nop 1
	v_cndmask_b32_e64 v17, 0, 1, s[28:29]
	;;#ASMSTART
	;;#ASMEND
	s_nop 0
	v_cmp_ne_u32_e32 vcc, 0, v17
	s_cmp_lg_u64 vcc, exec
	v_mov_b32_e32 v17, v20
	s_cbranch_scc1 .LBB3164_57
; %bb.53:                               ;   in Loop: Header=BB3164_52 Depth=1
	v_lshl_add_u64 v[24:25], v[18:19], 3, s[24:25]
	global_load_dwordx2 v[20:21], v[24:25], off sc1
	s_waitcnt vmcnt(0)
	v_cmp_eq_u16_sdwa s[30:31], v21, v19 src0_sel:BYTE_0 src1_sel:DWORD
	s_and_saveexec_b64 s[28:29], s[30:31]
	s_cbranch_execz .LBB3164_51
; %bb.54:                               ;   in Loop: Header=BB3164_52 Depth=1
	s_mov_b64 s[30:31], 0
.LBB3164_55:                            ;   Parent Loop BB3164_52 Depth=1
                                        ; =>  This Inner Loop Header: Depth=2
	global_load_dwordx2 v[20:21], v[24:25], off sc1
	s_waitcnt vmcnt(0)
	v_cmp_ne_u16_sdwa s[34:35], v21, v19 src0_sel:BYTE_0 src1_sel:DWORD
	s_or_b64 s[30:31], s[34:35], s[30:31]
	s_andn2_b64 exec, exec, s[30:31]
	s_cbranch_execnz .LBB3164_55
; %bb.56:                               ;   in Loop: Header=BB3164_52 Depth=1
	s_or_b64 exec, exec, s[30:31]
	s_branch .LBB3164_51
.LBB3164_57:                            ;   in Loop: Header=BB3164_52 Depth=1
                                        ; implicit-def: $vgpr20
                                        ; implicit-def: $vgpr21
	s_cbranch_execz .LBB3164_52
; %bb.58:
	s_and_saveexec_b64 s[28:29], s[14:15]
	s_cbranch_execz .LBB3164_60
; %bb.59:
	s_add_i32 s2, s2, 64
	s_mov_b32 s3, 0
	s_lshl_b64 s[2:3], s[2:3], 3
	s_add_u32 s2, s24, s2
	v_add_u32_e32 v18, v17, v16
	v_mov_b32_e32 v19, 2
	s_addc_u32 s3, s25, s3
	v_mov_b32_e32 v20, 0
	global_store_dwordx2 v20, v[18:19], s[2:3] sc1
	ds_write_b64 v20, v[16:17] offset:28672
.LBB3164_60:
	s_or_b64 exec, exec, s[28:29]
	v_cmp_eq_u32_e32 vcc, 0, v0
	s_and_b64 exec, exec, vcc
	s_cbranch_execz .LBB3164_62
; %bb.61:
	v_mov_b32_e32 v16, 0
	ds_write_b32 v16, v17 offset:28
.LBB3164_62:
	s_or_b64 exec, exec, s[26:27]
	v_mov_b32_e32 v16, 0
	s_waitcnt lgkmcnt(0)
	s_barrier
	ds_read_b32 v17, v16 offset:28
	v_cndmask_b32_e64 v18, v38, v37, s[14:15]
	v_cmp_ne_u32_e32 vcc, 0, v0
	s_waitcnt lgkmcnt(0)
	s_barrier
	v_cndmask_b32_e32 v18, 0, v18, vcc
	v_add_u32_e32 v24, v17, v18
	v_add_u32_e32 v23, v24, v32
	;; [unrolled: 1-line block ×3, first 2 shown]
	ds_read_b64 v[16:17], v16 offset:28672
	v_add_u32_e32 v20, v22, v30
	v_add_u32_e32 v21, v20, v29
	;; [unrolled: 1-line block ×4, first 2 shown]
	s_branch .LBB3164_73
.LBB3164_63:
                                        ; implicit-def: $vgpr17
                                        ; implicit-def: $vgpr18
                                        ; implicit-def: $vgpr19
                                        ; implicit-def: $vgpr21
                                        ; implicit-def: $vgpr20
                                        ; implicit-def: $vgpr22
                                        ; implicit-def: $vgpr23
                                        ; implicit-def: $vgpr24
	s_cbranch_execz .LBB3164_73
; %bb.64:
	s_waitcnt lgkmcnt(0)
	v_mov_b32_dpp v16, v36 row_shr:1 row_mask:0xf bank_mask:0xf
	v_cndmask_b32_e64 v16, v16, 0, s[12:13]
	v_add_u32_e32 v16, v16, v36
	s_nop 1
	v_mov_b32_dpp v17, v16 row_shr:2 row_mask:0xf bank_mask:0xf
	v_cndmask_b32_e64 v17, 0, v17, s[10:11]
	v_add_u32_e32 v16, v16, v17
	s_nop 1
	;; [unrolled: 4-line block ×4, first 2 shown]
	v_mov_b32_dpp v17, v16 row_bcast:15 row_mask:0xf bank_mask:0xf
	v_cndmask_b32_e64 v17, v17, 0, s[4:5]
	v_add_u32_e32 v16, v16, v17
	s_nop 1
	v_mov_b32_dpp v17, v16 row_bcast:31 row_mask:0xf bank_mask:0xf
	v_cndmask_b32_e64 v17, 0, v17, s[0:1]
	v_add_u32_e32 v16, v16, v17
	s_and_saveexec_b64 s[0:1], s[16:17]
	s_cbranch_execz .LBB3164_66
; %bb.65:
	v_lshlrev_b32_e32 v17, 2, v35
	ds_write_b32 v17, v16
.LBB3164_66:
	s_or_b64 exec, exec, s[0:1]
	v_cmp_gt_u32_e32 vcc, 8, v0
	s_waitcnt lgkmcnt(0)
	s_barrier
	s_and_saveexec_b64 s[0:1], vcc
	s_cbranch_execz .LBB3164_68
; %bb.67:
	v_mad_i32_i24 v17, v0, -3, v34
	ds_read_b32 v18, v17
	v_and_b32_e32 v19, 7, v33
	v_cmp_ne_u32_e32 vcc, 0, v19
	s_waitcnt lgkmcnt(0)
	v_mov_b32_dpp v20, v18 row_shr:1 row_mask:0xf bank_mask:0xf
	v_cndmask_b32_e32 v20, 0, v20, vcc
	v_add_u32_e32 v18, v20, v18
	v_cmp_lt_u32_e32 vcc, 1, v19
	s_nop 0
	v_mov_b32_dpp v20, v18 row_shr:2 row_mask:0xf bank_mask:0xf
	v_cndmask_b32_e32 v20, 0, v20, vcc
	v_add_u32_e32 v18, v18, v20
	v_cmp_lt_u32_e32 vcc, 3, v19
	s_nop 0
	v_mov_b32_dpp v20, v18 row_shr:4 row_mask:0xf bank_mask:0xf
	v_cndmask_b32_e32 v19, 0, v20, vcc
	v_add_u32_e32 v18, v18, v19
	ds_write_b32 v17, v18
.LBB3164_68:
	s_or_b64 exec, exec, s[0:1]
	v_cmp_lt_u32_e32 vcc, 63, v0
	v_mov_b32_e32 v17, 0
	v_mov_b32_e32 v18, 0
	s_waitcnt lgkmcnt(0)
	s_barrier
	s_and_saveexec_b64 s[0:1], vcc
	s_cbranch_execz .LBB3164_70
; %bb.69:
	v_lshl_add_u32 v18, v35, 2, -4
	ds_read_b32 v18, v18
.LBB3164_70:
	s_or_b64 exec, exec, s[0:1]
	v_add_u32_e32 v19, -1, v33
	v_and_b32_e32 v20, 64, v33
	v_cmp_lt_i32_e32 vcc, v19, v20
	s_waitcnt lgkmcnt(0)
	v_add_u32_e32 v16, v18, v16
	v_cndmask_b32_e32 v19, v19, v33, vcc
	v_lshlrev_b32_e32 v19, 2, v19
	ds_bpermute_b32 v19, v19, v16
	ds_read_b32 v16, v17 offset:28
	v_cmp_eq_u32_e32 vcc, 0, v0
	s_and_saveexec_b64 s[0:1], vcc
	s_cbranch_execz .LBB3164_72
; %bb.71:
	v_mov_b32_e32 v20, 0
	v_mov_b32_e32 v17, 2
	s_waitcnt lgkmcnt(0)
	global_store_dwordx2 v20, v[16:17], s[24:25] offset:512 sc1
.LBB3164_72:
	s_or_b64 exec, exec, s[0:1]
	v_cmp_eq_u32_e64 s[0:1], 0, v33
	v_mov_b32_e32 v17, 0
	s_waitcnt lgkmcnt(0)
	v_cndmask_b32_e64 v18, v19, v18, s[0:1]
	v_cndmask_b32_e64 v24, v18, 0, vcc
	v_add_u32_e32 v23, v24, v32
	v_add_u32_e32 v22, v23, v31
	;; [unrolled: 1-line block ×6, first 2 shown]
	s_barrier
.LBB3164_73:
	s_waitcnt lgkmcnt(0)
	v_add_u32_e32 v1, v16, v1
	v_sub_u32_e32 v24, v24, v17
	v_sub_u32_e32 v25, v1, v24
	v_cmp_eq_u32_e32 vcc, 1, v32
	s_nop 1
	v_cndmask_b32_e32 v24, v25, v24, vcc
	v_lshlrev_b32_e32 v24, 3, v24
	ds_write_b64 v24, v[10:11]
	v_sub_u32_e32 v10, v23, v17
	v_sub_u32_e32 v11, v1, v10
	v_add_u32_e32 v11, 1, v11
	v_cmp_eq_u32_e32 vcc, 1, v31
	s_nop 1
	v_cndmask_b32_e32 v10, v11, v10, vcc
	v_lshlrev_b32_e32 v10, 3, v10
	ds_write_b64 v10, v[12:13]
	v_sub_u32_e32 v10, v22, v17
	v_sub_u32_e32 v11, v1, v10
	v_add_u32_e32 v11, 2, v11
	;; [unrolled: 8-line block ×6, first 2 shown]
	v_cmp_eq_u32_e32 vcc, 1, v26
	s_nop 1
	v_cndmask_b32_e32 v1, v1, v2, vcc
	v_cmp_eq_u32_e32 vcc, 0, v0
	v_lshlrev_b32_e32 v1, 3, v1
	s_and_b64 s[0:1], vcc, s[22:23]
	ds_write_b64 v1, v[14:15]
	s_waitcnt lgkmcnt(0)
	s_barrier
	s_and_saveexec_b64 s[2:3], s[0:1]
	s_cbranch_execz .LBB3164_75
; %bb.74:
	v_mov_b32_e32 v1, 0
	v_mov_b32_e32 v0, v16
	v_lshl_add_u64 v[2:3], s[18:19], 0, v[0:1]
	v_mov_b32_e32 v0, v17
	v_lshl_add_u64 v[2:3], v[2:3], 0, v[0:1]
	global_store_dwordx2 v1, v[2:3], s[20:21]
.LBB3164_75:
	s_endpgm
	.section	.rodata,"a",@progbits
	.p2align	6, 0x0
	.amdhsa_kernel _ZN7rocprim17ROCPRIM_400000_NS6detail17trampoline_kernelINS0_14default_configENS1_25partition_config_selectorILNS1_17partition_subalgoE1ExNS0_10empty_typeEbEEZZNS1_14partition_implILS5_1ELb0ES3_jN6thrust23THRUST_200600_302600_NS6detail15normal_iteratorINSA_10device_ptrIxEEEEPS6_NSA_18transform_iteratorI7is_evenIxESF_NSA_11use_defaultESK_EENS0_5tupleIJNSA_16discard_iteratorISK_EESO_EEENSM_IJSG_SG_EEES6_PlJS6_EEE10hipError_tPvRmT3_T4_T5_T6_T7_T9_mT8_P12ihipStream_tbDpT10_ENKUlT_T0_E_clISt17integral_constantIbLb0EES1B_EEDaS16_S17_EUlS16_E_NS1_11comp_targetILNS1_3genE5ELNS1_11target_archE942ELNS1_3gpuE9ELNS1_3repE0EEENS1_30default_config_static_selectorELNS0_4arch9wavefront6targetE1EEEvT1_
		.amdhsa_group_segment_fixed_size 28680
		.amdhsa_private_segment_fixed_size 0
		.amdhsa_kernarg_size 144
		.amdhsa_user_sgpr_count 2
		.amdhsa_user_sgpr_dispatch_ptr 0
		.amdhsa_user_sgpr_queue_ptr 0
		.amdhsa_user_sgpr_kernarg_segment_ptr 1
		.amdhsa_user_sgpr_dispatch_id 0
		.amdhsa_user_sgpr_kernarg_preload_length 0
		.amdhsa_user_sgpr_kernarg_preload_offset 0
		.amdhsa_user_sgpr_private_segment_size 0
		.amdhsa_uses_dynamic_stack 0
		.amdhsa_enable_private_segment 0
		.amdhsa_system_sgpr_workgroup_id_x 1
		.amdhsa_system_sgpr_workgroup_id_y 0
		.amdhsa_system_sgpr_workgroup_id_z 0
		.amdhsa_system_sgpr_workgroup_info 0
		.amdhsa_system_vgpr_workitem_id 0
		.amdhsa_next_free_vgpr 53
		.amdhsa_next_free_sgpr 36
		.amdhsa_accum_offset 56
		.amdhsa_reserve_vcc 1
		.amdhsa_float_round_mode_32 0
		.amdhsa_float_round_mode_16_64 0
		.amdhsa_float_denorm_mode_32 3
		.amdhsa_float_denorm_mode_16_64 3
		.amdhsa_dx10_clamp 1
		.amdhsa_ieee_mode 1
		.amdhsa_fp16_overflow 0
		.amdhsa_tg_split 0
		.amdhsa_exception_fp_ieee_invalid_op 0
		.amdhsa_exception_fp_denorm_src 0
		.amdhsa_exception_fp_ieee_div_zero 0
		.amdhsa_exception_fp_ieee_overflow 0
		.amdhsa_exception_fp_ieee_underflow 0
		.amdhsa_exception_fp_ieee_inexact 0
		.amdhsa_exception_int_div_zero 0
	.end_amdhsa_kernel
	.section	.text._ZN7rocprim17ROCPRIM_400000_NS6detail17trampoline_kernelINS0_14default_configENS1_25partition_config_selectorILNS1_17partition_subalgoE1ExNS0_10empty_typeEbEEZZNS1_14partition_implILS5_1ELb0ES3_jN6thrust23THRUST_200600_302600_NS6detail15normal_iteratorINSA_10device_ptrIxEEEEPS6_NSA_18transform_iteratorI7is_evenIxESF_NSA_11use_defaultESK_EENS0_5tupleIJNSA_16discard_iteratorISK_EESO_EEENSM_IJSG_SG_EEES6_PlJS6_EEE10hipError_tPvRmT3_T4_T5_T6_T7_T9_mT8_P12ihipStream_tbDpT10_ENKUlT_T0_E_clISt17integral_constantIbLb0EES1B_EEDaS16_S17_EUlS16_E_NS1_11comp_targetILNS1_3genE5ELNS1_11target_archE942ELNS1_3gpuE9ELNS1_3repE0EEENS1_30default_config_static_selectorELNS0_4arch9wavefront6targetE1EEEvT1_,"axG",@progbits,_ZN7rocprim17ROCPRIM_400000_NS6detail17trampoline_kernelINS0_14default_configENS1_25partition_config_selectorILNS1_17partition_subalgoE1ExNS0_10empty_typeEbEEZZNS1_14partition_implILS5_1ELb0ES3_jN6thrust23THRUST_200600_302600_NS6detail15normal_iteratorINSA_10device_ptrIxEEEEPS6_NSA_18transform_iteratorI7is_evenIxESF_NSA_11use_defaultESK_EENS0_5tupleIJNSA_16discard_iteratorISK_EESO_EEENSM_IJSG_SG_EEES6_PlJS6_EEE10hipError_tPvRmT3_T4_T5_T6_T7_T9_mT8_P12ihipStream_tbDpT10_ENKUlT_T0_E_clISt17integral_constantIbLb0EES1B_EEDaS16_S17_EUlS16_E_NS1_11comp_targetILNS1_3genE5ELNS1_11target_archE942ELNS1_3gpuE9ELNS1_3repE0EEENS1_30default_config_static_selectorELNS0_4arch9wavefront6targetE1EEEvT1_,comdat
.Lfunc_end3164:
	.size	_ZN7rocprim17ROCPRIM_400000_NS6detail17trampoline_kernelINS0_14default_configENS1_25partition_config_selectorILNS1_17partition_subalgoE1ExNS0_10empty_typeEbEEZZNS1_14partition_implILS5_1ELb0ES3_jN6thrust23THRUST_200600_302600_NS6detail15normal_iteratorINSA_10device_ptrIxEEEEPS6_NSA_18transform_iteratorI7is_evenIxESF_NSA_11use_defaultESK_EENS0_5tupleIJNSA_16discard_iteratorISK_EESO_EEENSM_IJSG_SG_EEES6_PlJS6_EEE10hipError_tPvRmT3_T4_T5_T6_T7_T9_mT8_P12ihipStream_tbDpT10_ENKUlT_T0_E_clISt17integral_constantIbLb0EES1B_EEDaS16_S17_EUlS16_E_NS1_11comp_targetILNS1_3genE5ELNS1_11target_archE942ELNS1_3gpuE9ELNS1_3repE0EEENS1_30default_config_static_selectorELNS0_4arch9wavefront6targetE1EEEvT1_, .Lfunc_end3164-_ZN7rocprim17ROCPRIM_400000_NS6detail17trampoline_kernelINS0_14default_configENS1_25partition_config_selectorILNS1_17partition_subalgoE1ExNS0_10empty_typeEbEEZZNS1_14partition_implILS5_1ELb0ES3_jN6thrust23THRUST_200600_302600_NS6detail15normal_iteratorINSA_10device_ptrIxEEEEPS6_NSA_18transform_iteratorI7is_evenIxESF_NSA_11use_defaultESK_EENS0_5tupleIJNSA_16discard_iteratorISK_EESO_EEENSM_IJSG_SG_EEES6_PlJS6_EEE10hipError_tPvRmT3_T4_T5_T6_T7_T9_mT8_P12ihipStream_tbDpT10_ENKUlT_T0_E_clISt17integral_constantIbLb0EES1B_EEDaS16_S17_EUlS16_E_NS1_11comp_targetILNS1_3genE5ELNS1_11target_archE942ELNS1_3gpuE9ELNS1_3repE0EEENS1_30default_config_static_selectorELNS0_4arch9wavefront6targetE1EEEvT1_
                                        ; -- End function
	.section	.AMDGPU.csdata,"",@progbits
; Kernel info:
; codeLenInByte = 4120
; NumSgprs: 42
; NumVgprs: 53
; NumAgprs: 0
; TotalNumVgprs: 53
; ScratchSize: 0
; MemoryBound: 0
; FloatMode: 240
; IeeeMode: 1
; LDSByteSize: 28680 bytes/workgroup (compile time only)
; SGPRBlocks: 5
; VGPRBlocks: 6
; NumSGPRsForWavesPerEU: 42
; NumVGPRsForWavesPerEU: 53
; AccumOffset: 56
; Occupancy: 4
; WaveLimiterHint : 1
; COMPUTE_PGM_RSRC2:SCRATCH_EN: 0
; COMPUTE_PGM_RSRC2:USER_SGPR: 2
; COMPUTE_PGM_RSRC2:TRAP_HANDLER: 0
; COMPUTE_PGM_RSRC2:TGID_X_EN: 1
; COMPUTE_PGM_RSRC2:TGID_Y_EN: 0
; COMPUTE_PGM_RSRC2:TGID_Z_EN: 0
; COMPUTE_PGM_RSRC2:TIDIG_COMP_CNT: 0
; COMPUTE_PGM_RSRC3_GFX90A:ACCUM_OFFSET: 13
; COMPUTE_PGM_RSRC3_GFX90A:TG_SPLIT: 0
	.section	.text._ZN7rocprim17ROCPRIM_400000_NS6detail17trampoline_kernelINS0_14default_configENS1_25partition_config_selectorILNS1_17partition_subalgoE1ExNS0_10empty_typeEbEEZZNS1_14partition_implILS5_1ELb0ES3_jN6thrust23THRUST_200600_302600_NS6detail15normal_iteratorINSA_10device_ptrIxEEEEPS6_NSA_18transform_iteratorI7is_evenIxESF_NSA_11use_defaultESK_EENS0_5tupleIJNSA_16discard_iteratorISK_EESO_EEENSM_IJSG_SG_EEES6_PlJS6_EEE10hipError_tPvRmT3_T4_T5_T6_T7_T9_mT8_P12ihipStream_tbDpT10_ENKUlT_T0_E_clISt17integral_constantIbLb0EES1B_EEDaS16_S17_EUlS16_E_NS1_11comp_targetILNS1_3genE4ELNS1_11target_archE910ELNS1_3gpuE8ELNS1_3repE0EEENS1_30default_config_static_selectorELNS0_4arch9wavefront6targetE1EEEvT1_,"axG",@progbits,_ZN7rocprim17ROCPRIM_400000_NS6detail17trampoline_kernelINS0_14default_configENS1_25partition_config_selectorILNS1_17partition_subalgoE1ExNS0_10empty_typeEbEEZZNS1_14partition_implILS5_1ELb0ES3_jN6thrust23THRUST_200600_302600_NS6detail15normal_iteratorINSA_10device_ptrIxEEEEPS6_NSA_18transform_iteratorI7is_evenIxESF_NSA_11use_defaultESK_EENS0_5tupleIJNSA_16discard_iteratorISK_EESO_EEENSM_IJSG_SG_EEES6_PlJS6_EEE10hipError_tPvRmT3_T4_T5_T6_T7_T9_mT8_P12ihipStream_tbDpT10_ENKUlT_T0_E_clISt17integral_constantIbLb0EES1B_EEDaS16_S17_EUlS16_E_NS1_11comp_targetILNS1_3genE4ELNS1_11target_archE910ELNS1_3gpuE8ELNS1_3repE0EEENS1_30default_config_static_selectorELNS0_4arch9wavefront6targetE1EEEvT1_,comdat
	.protected	_ZN7rocprim17ROCPRIM_400000_NS6detail17trampoline_kernelINS0_14default_configENS1_25partition_config_selectorILNS1_17partition_subalgoE1ExNS0_10empty_typeEbEEZZNS1_14partition_implILS5_1ELb0ES3_jN6thrust23THRUST_200600_302600_NS6detail15normal_iteratorINSA_10device_ptrIxEEEEPS6_NSA_18transform_iteratorI7is_evenIxESF_NSA_11use_defaultESK_EENS0_5tupleIJNSA_16discard_iteratorISK_EESO_EEENSM_IJSG_SG_EEES6_PlJS6_EEE10hipError_tPvRmT3_T4_T5_T6_T7_T9_mT8_P12ihipStream_tbDpT10_ENKUlT_T0_E_clISt17integral_constantIbLb0EES1B_EEDaS16_S17_EUlS16_E_NS1_11comp_targetILNS1_3genE4ELNS1_11target_archE910ELNS1_3gpuE8ELNS1_3repE0EEENS1_30default_config_static_selectorELNS0_4arch9wavefront6targetE1EEEvT1_ ; -- Begin function _ZN7rocprim17ROCPRIM_400000_NS6detail17trampoline_kernelINS0_14default_configENS1_25partition_config_selectorILNS1_17partition_subalgoE1ExNS0_10empty_typeEbEEZZNS1_14partition_implILS5_1ELb0ES3_jN6thrust23THRUST_200600_302600_NS6detail15normal_iteratorINSA_10device_ptrIxEEEEPS6_NSA_18transform_iteratorI7is_evenIxESF_NSA_11use_defaultESK_EENS0_5tupleIJNSA_16discard_iteratorISK_EESO_EEENSM_IJSG_SG_EEES6_PlJS6_EEE10hipError_tPvRmT3_T4_T5_T6_T7_T9_mT8_P12ihipStream_tbDpT10_ENKUlT_T0_E_clISt17integral_constantIbLb0EES1B_EEDaS16_S17_EUlS16_E_NS1_11comp_targetILNS1_3genE4ELNS1_11target_archE910ELNS1_3gpuE8ELNS1_3repE0EEENS1_30default_config_static_selectorELNS0_4arch9wavefront6targetE1EEEvT1_
	.globl	_ZN7rocprim17ROCPRIM_400000_NS6detail17trampoline_kernelINS0_14default_configENS1_25partition_config_selectorILNS1_17partition_subalgoE1ExNS0_10empty_typeEbEEZZNS1_14partition_implILS5_1ELb0ES3_jN6thrust23THRUST_200600_302600_NS6detail15normal_iteratorINSA_10device_ptrIxEEEEPS6_NSA_18transform_iteratorI7is_evenIxESF_NSA_11use_defaultESK_EENS0_5tupleIJNSA_16discard_iteratorISK_EESO_EEENSM_IJSG_SG_EEES6_PlJS6_EEE10hipError_tPvRmT3_T4_T5_T6_T7_T9_mT8_P12ihipStream_tbDpT10_ENKUlT_T0_E_clISt17integral_constantIbLb0EES1B_EEDaS16_S17_EUlS16_E_NS1_11comp_targetILNS1_3genE4ELNS1_11target_archE910ELNS1_3gpuE8ELNS1_3repE0EEENS1_30default_config_static_selectorELNS0_4arch9wavefront6targetE1EEEvT1_
	.p2align	8
	.type	_ZN7rocprim17ROCPRIM_400000_NS6detail17trampoline_kernelINS0_14default_configENS1_25partition_config_selectorILNS1_17partition_subalgoE1ExNS0_10empty_typeEbEEZZNS1_14partition_implILS5_1ELb0ES3_jN6thrust23THRUST_200600_302600_NS6detail15normal_iteratorINSA_10device_ptrIxEEEEPS6_NSA_18transform_iteratorI7is_evenIxESF_NSA_11use_defaultESK_EENS0_5tupleIJNSA_16discard_iteratorISK_EESO_EEENSM_IJSG_SG_EEES6_PlJS6_EEE10hipError_tPvRmT3_T4_T5_T6_T7_T9_mT8_P12ihipStream_tbDpT10_ENKUlT_T0_E_clISt17integral_constantIbLb0EES1B_EEDaS16_S17_EUlS16_E_NS1_11comp_targetILNS1_3genE4ELNS1_11target_archE910ELNS1_3gpuE8ELNS1_3repE0EEENS1_30default_config_static_selectorELNS0_4arch9wavefront6targetE1EEEvT1_,@function
_ZN7rocprim17ROCPRIM_400000_NS6detail17trampoline_kernelINS0_14default_configENS1_25partition_config_selectorILNS1_17partition_subalgoE1ExNS0_10empty_typeEbEEZZNS1_14partition_implILS5_1ELb0ES3_jN6thrust23THRUST_200600_302600_NS6detail15normal_iteratorINSA_10device_ptrIxEEEEPS6_NSA_18transform_iteratorI7is_evenIxESF_NSA_11use_defaultESK_EENS0_5tupleIJNSA_16discard_iteratorISK_EESO_EEENSM_IJSG_SG_EEES6_PlJS6_EEE10hipError_tPvRmT3_T4_T5_T6_T7_T9_mT8_P12ihipStream_tbDpT10_ENKUlT_T0_E_clISt17integral_constantIbLb0EES1B_EEDaS16_S17_EUlS16_E_NS1_11comp_targetILNS1_3genE4ELNS1_11target_archE910ELNS1_3gpuE8ELNS1_3repE0EEENS1_30default_config_static_selectorELNS0_4arch9wavefront6targetE1EEEvT1_: ; @_ZN7rocprim17ROCPRIM_400000_NS6detail17trampoline_kernelINS0_14default_configENS1_25partition_config_selectorILNS1_17partition_subalgoE1ExNS0_10empty_typeEbEEZZNS1_14partition_implILS5_1ELb0ES3_jN6thrust23THRUST_200600_302600_NS6detail15normal_iteratorINSA_10device_ptrIxEEEEPS6_NSA_18transform_iteratorI7is_evenIxESF_NSA_11use_defaultESK_EENS0_5tupleIJNSA_16discard_iteratorISK_EESO_EEENSM_IJSG_SG_EEES6_PlJS6_EEE10hipError_tPvRmT3_T4_T5_T6_T7_T9_mT8_P12ihipStream_tbDpT10_ENKUlT_T0_E_clISt17integral_constantIbLb0EES1B_EEDaS16_S17_EUlS16_E_NS1_11comp_targetILNS1_3genE4ELNS1_11target_archE910ELNS1_3gpuE8ELNS1_3repE0EEENS1_30default_config_static_selectorELNS0_4arch9wavefront6targetE1EEEvT1_
; %bb.0:
	.section	.rodata,"a",@progbits
	.p2align	6, 0x0
	.amdhsa_kernel _ZN7rocprim17ROCPRIM_400000_NS6detail17trampoline_kernelINS0_14default_configENS1_25partition_config_selectorILNS1_17partition_subalgoE1ExNS0_10empty_typeEbEEZZNS1_14partition_implILS5_1ELb0ES3_jN6thrust23THRUST_200600_302600_NS6detail15normal_iteratorINSA_10device_ptrIxEEEEPS6_NSA_18transform_iteratorI7is_evenIxESF_NSA_11use_defaultESK_EENS0_5tupleIJNSA_16discard_iteratorISK_EESO_EEENSM_IJSG_SG_EEES6_PlJS6_EEE10hipError_tPvRmT3_T4_T5_T6_T7_T9_mT8_P12ihipStream_tbDpT10_ENKUlT_T0_E_clISt17integral_constantIbLb0EES1B_EEDaS16_S17_EUlS16_E_NS1_11comp_targetILNS1_3genE4ELNS1_11target_archE910ELNS1_3gpuE8ELNS1_3repE0EEENS1_30default_config_static_selectorELNS0_4arch9wavefront6targetE1EEEvT1_
		.amdhsa_group_segment_fixed_size 0
		.amdhsa_private_segment_fixed_size 0
		.amdhsa_kernarg_size 144
		.amdhsa_user_sgpr_count 2
		.amdhsa_user_sgpr_dispatch_ptr 0
		.amdhsa_user_sgpr_queue_ptr 0
		.amdhsa_user_sgpr_kernarg_segment_ptr 1
		.amdhsa_user_sgpr_dispatch_id 0
		.amdhsa_user_sgpr_kernarg_preload_length 0
		.amdhsa_user_sgpr_kernarg_preload_offset 0
		.amdhsa_user_sgpr_private_segment_size 0
		.amdhsa_uses_dynamic_stack 0
		.amdhsa_enable_private_segment 0
		.amdhsa_system_sgpr_workgroup_id_x 1
		.amdhsa_system_sgpr_workgroup_id_y 0
		.amdhsa_system_sgpr_workgroup_id_z 0
		.amdhsa_system_sgpr_workgroup_info 0
		.amdhsa_system_vgpr_workitem_id 0
		.amdhsa_next_free_vgpr 1
		.amdhsa_next_free_sgpr 0
		.amdhsa_accum_offset 4
		.amdhsa_reserve_vcc 0
		.amdhsa_float_round_mode_32 0
		.amdhsa_float_round_mode_16_64 0
		.amdhsa_float_denorm_mode_32 3
		.amdhsa_float_denorm_mode_16_64 3
		.amdhsa_dx10_clamp 1
		.amdhsa_ieee_mode 1
		.amdhsa_fp16_overflow 0
		.amdhsa_tg_split 0
		.amdhsa_exception_fp_ieee_invalid_op 0
		.amdhsa_exception_fp_denorm_src 0
		.amdhsa_exception_fp_ieee_div_zero 0
		.amdhsa_exception_fp_ieee_overflow 0
		.amdhsa_exception_fp_ieee_underflow 0
		.amdhsa_exception_fp_ieee_inexact 0
		.amdhsa_exception_int_div_zero 0
	.end_amdhsa_kernel
	.section	.text._ZN7rocprim17ROCPRIM_400000_NS6detail17trampoline_kernelINS0_14default_configENS1_25partition_config_selectorILNS1_17partition_subalgoE1ExNS0_10empty_typeEbEEZZNS1_14partition_implILS5_1ELb0ES3_jN6thrust23THRUST_200600_302600_NS6detail15normal_iteratorINSA_10device_ptrIxEEEEPS6_NSA_18transform_iteratorI7is_evenIxESF_NSA_11use_defaultESK_EENS0_5tupleIJNSA_16discard_iteratorISK_EESO_EEENSM_IJSG_SG_EEES6_PlJS6_EEE10hipError_tPvRmT3_T4_T5_T6_T7_T9_mT8_P12ihipStream_tbDpT10_ENKUlT_T0_E_clISt17integral_constantIbLb0EES1B_EEDaS16_S17_EUlS16_E_NS1_11comp_targetILNS1_3genE4ELNS1_11target_archE910ELNS1_3gpuE8ELNS1_3repE0EEENS1_30default_config_static_selectorELNS0_4arch9wavefront6targetE1EEEvT1_,"axG",@progbits,_ZN7rocprim17ROCPRIM_400000_NS6detail17trampoline_kernelINS0_14default_configENS1_25partition_config_selectorILNS1_17partition_subalgoE1ExNS0_10empty_typeEbEEZZNS1_14partition_implILS5_1ELb0ES3_jN6thrust23THRUST_200600_302600_NS6detail15normal_iteratorINSA_10device_ptrIxEEEEPS6_NSA_18transform_iteratorI7is_evenIxESF_NSA_11use_defaultESK_EENS0_5tupleIJNSA_16discard_iteratorISK_EESO_EEENSM_IJSG_SG_EEES6_PlJS6_EEE10hipError_tPvRmT3_T4_T5_T6_T7_T9_mT8_P12ihipStream_tbDpT10_ENKUlT_T0_E_clISt17integral_constantIbLb0EES1B_EEDaS16_S17_EUlS16_E_NS1_11comp_targetILNS1_3genE4ELNS1_11target_archE910ELNS1_3gpuE8ELNS1_3repE0EEENS1_30default_config_static_selectorELNS0_4arch9wavefront6targetE1EEEvT1_,comdat
.Lfunc_end3165:
	.size	_ZN7rocprim17ROCPRIM_400000_NS6detail17trampoline_kernelINS0_14default_configENS1_25partition_config_selectorILNS1_17partition_subalgoE1ExNS0_10empty_typeEbEEZZNS1_14partition_implILS5_1ELb0ES3_jN6thrust23THRUST_200600_302600_NS6detail15normal_iteratorINSA_10device_ptrIxEEEEPS6_NSA_18transform_iteratorI7is_evenIxESF_NSA_11use_defaultESK_EENS0_5tupleIJNSA_16discard_iteratorISK_EESO_EEENSM_IJSG_SG_EEES6_PlJS6_EEE10hipError_tPvRmT3_T4_T5_T6_T7_T9_mT8_P12ihipStream_tbDpT10_ENKUlT_T0_E_clISt17integral_constantIbLb0EES1B_EEDaS16_S17_EUlS16_E_NS1_11comp_targetILNS1_3genE4ELNS1_11target_archE910ELNS1_3gpuE8ELNS1_3repE0EEENS1_30default_config_static_selectorELNS0_4arch9wavefront6targetE1EEEvT1_, .Lfunc_end3165-_ZN7rocprim17ROCPRIM_400000_NS6detail17trampoline_kernelINS0_14default_configENS1_25partition_config_selectorILNS1_17partition_subalgoE1ExNS0_10empty_typeEbEEZZNS1_14partition_implILS5_1ELb0ES3_jN6thrust23THRUST_200600_302600_NS6detail15normal_iteratorINSA_10device_ptrIxEEEEPS6_NSA_18transform_iteratorI7is_evenIxESF_NSA_11use_defaultESK_EENS0_5tupleIJNSA_16discard_iteratorISK_EESO_EEENSM_IJSG_SG_EEES6_PlJS6_EEE10hipError_tPvRmT3_T4_T5_T6_T7_T9_mT8_P12ihipStream_tbDpT10_ENKUlT_T0_E_clISt17integral_constantIbLb0EES1B_EEDaS16_S17_EUlS16_E_NS1_11comp_targetILNS1_3genE4ELNS1_11target_archE910ELNS1_3gpuE8ELNS1_3repE0EEENS1_30default_config_static_selectorELNS0_4arch9wavefront6targetE1EEEvT1_
                                        ; -- End function
	.section	.AMDGPU.csdata,"",@progbits
; Kernel info:
; codeLenInByte = 0
; NumSgprs: 6
; NumVgprs: 0
; NumAgprs: 0
; TotalNumVgprs: 0
; ScratchSize: 0
; MemoryBound: 0
; FloatMode: 240
; IeeeMode: 1
; LDSByteSize: 0 bytes/workgroup (compile time only)
; SGPRBlocks: 0
; VGPRBlocks: 0
; NumSGPRsForWavesPerEU: 6
; NumVGPRsForWavesPerEU: 1
; AccumOffset: 4
; Occupancy: 8
; WaveLimiterHint : 0
; COMPUTE_PGM_RSRC2:SCRATCH_EN: 0
; COMPUTE_PGM_RSRC2:USER_SGPR: 2
; COMPUTE_PGM_RSRC2:TRAP_HANDLER: 0
; COMPUTE_PGM_RSRC2:TGID_X_EN: 1
; COMPUTE_PGM_RSRC2:TGID_Y_EN: 0
; COMPUTE_PGM_RSRC2:TGID_Z_EN: 0
; COMPUTE_PGM_RSRC2:TIDIG_COMP_CNT: 0
; COMPUTE_PGM_RSRC3_GFX90A:ACCUM_OFFSET: 0
; COMPUTE_PGM_RSRC3_GFX90A:TG_SPLIT: 0
	.section	.text._ZN7rocprim17ROCPRIM_400000_NS6detail17trampoline_kernelINS0_14default_configENS1_25partition_config_selectorILNS1_17partition_subalgoE1ExNS0_10empty_typeEbEEZZNS1_14partition_implILS5_1ELb0ES3_jN6thrust23THRUST_200600_302600_NS6detail15normal_iteratorINSA_10device_ptrIxEEEEPS6_NSA_18transform_iteratorI7is_evenIxESF_NSA_11use_defaultESK_EENS0_5tupleIJNSA_16discard_iteratorISK_EESO_EEENSM_IJSG_SG_EEES6_PlJS6_EEE10hipError_tPvRmT3_T4_T5_T6_T7_T9_mT8_P12ihipStream_tbDpT10_ENKUlT_T0_E_clISt17integral_constantIbLb0EES1B_EEDaS16_S17_EUlS16_E_NS1_11comp_targetILNS1_3genE3ELNS1_11target_archE908ELNS1_3gpuE7ELNS1_3repE0EEENS1_30default_config_static_selectorELNS0_4arch9wavefront6targetE1EEEvT1_,"axG",@progbits,_ZN7rocprim17ROCPRIM_400000_NS6detail17trampoline_kernelINS0_14default_configENS1_25partition_config_selectorILNS1_17partition_subalgoE1ExNS0_10empty_typeEbEEZZNS1_14partition_implILS5_1ELb0ES3_jN6thrust23THRUST_200600_302600_NS6detail15normal_iteratorINSA_10device_ptrIxEEEEPS6_NSA_18transform_iteratorI7is_evenIxESF_NSA_11use_defaultESK_EENS0_5tupleIJNSA_16discard_iteratorISK_EESO_EEENSM_IJSG_SG_EEES6_PlJS6_EEE10hipError_tPvRmT3_T4_T5_T6_T7_T9_mT8_P12ihipStream_tbDpT10_ENKUlT_T0_E_clISt17integral_constantIbLb0EES1B_EEDaS16_S17_EUlS16_E_NS1_11comp_targetILNS1_3genE3ELNS1_11target_archE908ELNS1_3gpuE7ELNS1_3repE0EEENS1_30default_config_static_selectorELNS0_4arch9wavefront6targetE1EEEvT1_,comdat
	.protected	_ZN7rocprim17ROCPRIM_400000_NS6detail17trampoline_kernelINS0_14default_configENS1_25partition_config_selectorILNS1_17partition_subalgoE1ExNS0_10empty_typeEbEEZZNS1_14partition_implILS5_1ELb0ES3_jN6thrust23THRUST_200600_302600_NS6detail15normal_iteratorINSA_10device_ptrIxEEEEPS6_NSA_18transform_iteratorI7is_evenIxESF_NSA_11use_defaultESK_EENS0_5tupleIJNSA_16discard_iteratorISK_EESO_EEENSM_IJSG_SG_EEES6_PlJS6_EEE10hipError_tPvRmT3_T4_T5_T6_T7_T9_mT8_P12ihipStream_tbDpT10_ENKUlT_T0_E_clISt17integral_constantIbLb0EES1B_EEDaS16_S17_EUlS16_E_NS1_11comp_targetILNS1_3genE3ELNS1_11target_archE908ELNS1_3gpuE7ELNS1_3repE0EEENS1_30default_config_static_selectorELNS0_4arch9wavefront6targetE1EEEvT1_ ; -- Begin function _ZN7rocprim17ROCPRIM_400000_NS6detail17trampoline_kernelINS0_14default_configENS1_25partition_config_selectorILNS1_17partition_subalgoE1ExNS0_10empty_typeEbEEZZNS1_14partition_implILS5_1ELb0ES3_jN6thrust23THRUST_200600_302600_NS6detail15normal_iteratorINSA_10device_ptrIxEEEEPS6_NSA_18transform_iteratorI7is_evenIxESF_NSA_11use_defaultESK_EENS0_5tupleIJNSA_16discard_iteratorISK_EESO_EEENSM_IJSG_SG_EEES6_PlJS6_EEE10hipError_tPvRmT3_T4_T5_T6_T7_T9_mT8_P12ihipStream_tbDpT10_ENKUlT_T0_E_clISt17integral_constantIbLb0EES1B_EEDaS16_S17_EUlS16_E_NS1_11comp_targetILNS1_3genE3ELNS1_11target_archE908ELNS1_3gpuE7ELNS1_3repE0EEENS1_30default_config_static_selectorELNS0_4arch9wavefront6targetE1EEEvT1_
	.globl	_ZN7rocprim17ROCPRIM_400000_NS6detail17trampoline_kernelINS0_14default_configENS1_25partition_config_selectorILNS1_17partition_subalgoE1ExNS0_10empty_typeEbEEZZNS1_14partition_implILS5_1ELb0ES3_jN6thrust23THRUST_200600_302600_NS6detail15normal_iteratorINSA_10device_ptrIxEEEEPS6_NSA_18transform_iteratorI7is_evenIxESF_NSA_11use_defaultESK_EENS0_5tupleIJNSA_16discard_iteratorISK_EESO_EEENSM_IJSG_SG_EEES6_PlJS6_EEE10hipError_tPvRmT3_T4_T5_T6_T7_T9_mT8_P12ihipStream_tbDpT10_ENKUlT_T0_E_clISt17integral_constantIbLb0EES1B_EEDaS16_S17_EUlS16_E_NS1_11comp_targetILNS1_3genE3ELNS1_11target_archE908ELNS1_3gpuE7ELNS1_3repE0EEENS1_30default_config_static_selectorELNS0_4arch9wavefront6targetE1EEEvT1_
	.p2align	8
	.type	_ZN7rocprim17ROCPRIM_400000_NS6detail17trampoline_kernelINS0_14default_configENS1_25partition_config_selectorILNS1_17partition_subalgoE1ExNS0_10empty_typeEbEEZZNS1_14partition_implILS5_1ELb0ES3_jN6thrust23THRUST_200600_302600_NS6detail15normal_iteratorINSA_10device_ptrIxEEEEPS6_NSA_18transform_iteratorI7is_evenIxESF_NSA_11use_defaultESK_EENS0_5tupleIJNSA_16discard_iteratorISK_EESO_EEENSM_IJSG_SG_EEES6_PlJS6_EEE10hipError_tPvRmT3_T4_T5_T6_T7_T9_mT8_P12ihipStream_tbDpT10_ENKUlT_T0_E_clISt17integral_constantIbLb0EES1B_EEDaS16_S17_EUlS16_E_NS1_11comp_targetILNS1_3genE3ELNS1_11target_archE908ELNS1_3gpuE7ELNS1_3repE0EEENS1_30default_config_static_selectorELNS0_4arch9wavefront6targetE1EEEvT1_,@function
_ZN7rocprim17ROCPRIM_400000_NS6detail17trampoline_kernelINS0_14default_configENS1_25partition_config_selectorILNS1_17partition_subalgoE1ExNS0_10empty_typeEbEEZZNS1_14partition_implILS5_1ELb0ES3_jN6thrust23THRUST_200600_302600_NS6detail15normal_iteratorINSA_10device_ptrIxEEEEPS6_NSA_18transform_iteratorI7is_evenIxESF_NSA_11use_defaultESK_EENS0_5tupleIJNSA_16discard_iteratorISK_EESO_EEENSM_IJSG_SG_EEES6_PlJS6_EEE10hipError_tPvRmT3_T4_T5_T6_T7_T9_mT8_P12ihipStream_tbDpT10_ENKUlT_T0_E_clISt17integral_constantIbLb0EES1B_EEDaS16_S17_EUlS16_E_NS1_11comp_targetILNS1_3genE3ELNS1_11target_archE908ELNS1_3gpuE7ELNS1_3repE0EEENS1_30default_config_static_selectorELNS0_4arch9wavefront6targetE1EEEvT1_: ; @_ZN7rocprim17ROCPRIM_400000_NS6detail17trampoline_kernelINS0_14default_configENS1_25partition_config_selectorILNS1_17partition_subalgoE1ExNS0_10empty_typeEbEEZZNS1_14partition_implILS5_1ELb0ES3_jN6thrust23THRUST_200600_302600_NS6detail15normal_iteratorINSA_10device_ptrIxEEEEPS6_NSA_18transform_iteratorI7is_evenIxESF_NSA_11use_defaultESK_EENS0_5tupleIJNSA_16discard_iteratorISK_EESO_EEENSM_IJSG_SG_EEES6_PlJS6_EEE10hipError_tPvRmT3_T4_T5_T6_T7_T9_mT8_P12ihipStream_tbDpT10_ENKUlT_T0_E_clISt17integral_constantIbLb0EES1B_EEDaS16_S17_EUlS16_E_NS1_11comp_targetILNS1_3genE3ELNS1_11target_archE908ELNS1_3gpuE7ELNS1_3repE0EEENS1_30default_config_static_selectorELNS0_4arch9wavefront6targetE1EEEvT1_
; %bb.0:
	.section	.rodata,"a",@progbits
	.p2align	6, 0x0
	.amdhsa_kernel _ZN7rocprim17ROCPRIM_400000_NS6detail17trampoline_kernelINS0_14default_configENS1_25partition_config_selectorILNS1_17partition_subalgoE1ExNS0_10empty_typeEbEEZZNS1_14partition_implILS5_1ELb0ES3_jN6thrust23THRUST_200600_302600_NS6detail15normal_iteratorINSA_10device_ptrIxEEEEPS6_NSA_18transform_iteratorI7is_evenIxESF_NSA_11use_defaultESK_EENS0_5tupleIJNSA_16discard_iteratorISK_EESO_EEENSM_IJSG_SG_EEES6_PlJS6_EEE10hipError_tPvRmT3_T4_T5_T6_T7_T9_mT8_P12ihipStream_tbDpT10_ENKUlT_T0_E_clISt17integral_constantIbLb0EES1B_EEDaS16_S17_EUlS16_E_NS1_11comp_targetILNS1_3genE3ELNS1_11target_archE908ELNS1_3gpuE7ELNS1_3repE0EEENS1_30default_config_static_selectorELNS0_4arch9wavefront6targetE1EEEvT1_
		.amdhsa_group_segment_fixed_size 0
		.amdhsa_private_segment_fixed_size 0
		.amdhsa_kernarg_size 144
		.amdhsa_user_sgpr_count 2
		.amdhsa_user_sgpr_dispatch_ptr 0
		.amdhsa_user_sgpr_queue_ptr 0
		.amdhsa_user_sgpr_kernarg_segment_ptr 1
		.amdhsa_user_sgpr_dispatch_id 0
		.amdhsa_user_sgpr_kernarg_preload_length 0
		.amdhsa_user_sgpr_kernarg_preload_offset 0
		.amdhsa_user_sgpr_private_segment_size 0
		.amdhsa_uses_dynamic_stack 0
		.amdhsa_enable_private_segment 0
		.amdhsa_system_sgpr_workgroup_id_x 1
		.amdhsa_system_sgpr_workgroup_id_y 0
		.amdhsa_system_sgpr_workgroup_id_z 0
		.amdhsa_system_sgpr_workgroup_info 0
		.amdhsa_system_vgpr_workitem_id 0
		.amdhsa_next_free_vgpr 1
		.amdhsa_next_free_sgpr 0
		.amdhsa_accum_offset 4
		.amdhsa_reserve_vcc 0
		.amdhsa_float_round_mode_32 0
		.amdhsa_float_round_mode_16_64 0
		.amdhsa_float_denorm_mode_32 3
		.amdhsa_float_denorm_mode_16_64 3
		.amdhsa_dx10_clamp 1
		.amdhsa_ieee_mode 1
		.amdhsa_fp16_overflow 0
		.amdhsa_tg_split 0
		.amdhsa_exception_fp_ieee_invalid_op 0
		.amdhsa_exception_fp_denorm_src 0
		.amdhsa_exception_fp_ieee_div_zero 0
		.amdhsa_exception_fp_ieee_overflow 0
		.amdhsa_exception_fp_ieee_underflow 0
		.amdhsa_exception_fp_ieee_inexact 0
		.amdhsa_exception_int_div_zero 0
	.end_amdhsa_kernel
	.section	.text._ZN7rocprim17ROCPRIM_400000_NS6detail17trampoline_kernelINS0_14default_configENS1_25partition_config_selectorILNS1_17partition_subalgoE1ExNS0_10empty_typeEbEEZZNS1_14partition_implILS5_1ELb0ES3_jN6thrust23THRUST_200600_302600_NS6detail15normal_iteratorINSA_10device_ptrIxEEEEPS6_NSA_18transform_iteratorI7is_evenIxESF_NSA_11use_defaultESK_EENS0_5tupleIJNSA_16discard_iteratorISK_EESO_EEENSM_IJSG_SG_EEES6_PlJS6_EEE10hipError_tPvRmT3_T4_T5_T6_T7_T9_mT8_P12ihipStream_tbDpT10_ENKUlT_T0_E_clISt17integral_constantIbLb0EES1B_EEDaS16_S17_EUlS16_E_NS1_11comp_targetILNS1_3genE3ELNS1_11target_archE908ELNS1_3gpuE7ELNS1_3repE0EEENS1_30default_config_static_selectorELNS0_4arch9wavefront6targetE1EEEvT1_,"axG",@progbits,_ZN7rocprim17ROCPRIM_400000_NS6detail17trampoline_kernelINS0_14default_configENS1_25partition_config_selectorILNS1_17partition_subalgoE1ExNS0_10empty_typeEbEEZZNS1_14partition_implILS5_1ELb0ES3_jN6thrust23THRUST_200600_302600_NS6detail15normal_iteratorINSA_10device_ptrIxEEEEPS6_NSA_18transform_iteratorI7is_evenIxESF_NSA_11use_defaultESK_EENS0_5tupleIJNSA_16discard_iteratorISK_EESO_EEENSM_IJSG_SG_EEES6_PlJS6_EEE10hipError_tPvRmT3_T4_T5_T6_T7_T9_mT8_P12ihipStream_tbDpT10_ENKUlT_T0_E_clISt17integral_constantIbLb0EES1B_EEDaS16_S17_EUlS16_E_NS1_11comp_targetILNS1_3genE3ELNS1_11target_archE908ELNS1_3gpuE7ELNS1_3repE0EEENS1_30default_config_static_selectorELNS0_4arch9wavefront6targetE1EEEvT1_,comdat
.Lfunc_end3166:
	.size	_ZN7rocprim17ROCPRIM_400000_NS6detail17trampoline_kernelINS0_14default_configENS1_25partition_config_selectorILNS1_17partition_subalgoE1ExNS0_10empty_typeEbEEZZNS1_14partition_implILS5_1ELb0ES3_jN6thrust23THRUST_200600_302600_NS6detail15normal_iteratorINSA_10device_ptrIxEEEEPS6_NSA_18transform_iteratorI7is_evenIxESF_NSA_11use_defaultESK_EENS0_5tupleIJNSA_16discard_iteratorISK_EESO_EEENSM_IJSG_SG_EEES6_PlJS6_EEE10hipError_tPvRmT3_T4_T5_T6_T7_T9_mT8_P12ihipStream_tbDpT10_ENKUlT_T0_E_clISt17integral_constantIbLb0EES1B_EEDaS16_S17_EUlS16_E_NS1_11comp_targetILNS1_3genE3ELNS1_11target_archE908ELNS1_3gpuE7ELNS1_3repE0EEENS1_30default_config_static_selectorELNS0_4arch9wavefront6targetE1EEEvT1_, .Lfunc_end3166-_ZN7rocprim17ROCPRIM_400000_NS6detail17trampoline_kernelINS0_14default_configENS1_25partition_config_selectorILNS1_17partition_subalgoE1ExNS0_10empty_typeEbEEZZNS1_14partition_implILS5_1ELb0ES3_jN6thrust23THRUST_200600_302600_NS6detail15normal_iteratorINSA_10device_ptrIxEEEEPS6_NSA_18transform_iteratorI7is_evenIxESF_NSA_11use_defaultESK_EENS0_5tupleIJNSA_16discard_iteratorISK_EESO_EEENSM_IJSG_SG_EEES6_PlJS6_EEE10hipError_tPvRmT3_T4_T5_T6_T7_T9_mT8_P12ihipStream_tbDpT10_ENKUlT_T0_E_clISt17integral_constantIbLb0EES1B_EEDaS16_S17_EUlS16_E_NS1_11comp_targetILNS1_3genE3ELNS1_11target_archE908ELNS1_3gpuE7ELNS1_3repE0EEENS1_30default_config_static_selectorELNS0_4arch9wavefront6targetE1EEEvT1_
                                        ; -- End function
	.section	.AMDGPU.csdata,"",@progbits
; Kernel info:
; codeLenInByte = 0
; NumSgprs: 6
; NumVgprs: 0
; NumAgprs: 0
; TotalNumVgprs: 0
; ScratchSize: 0
; MemoryBound: 0
; FloatMode: 240
; IeeeMode: 1
; LDSByteSize: 0 bytes/workgroup (compile time only)
; SGPRBlocks: 0
; VGPRBlocks: 0
; NumSGPRsForWavesPerEU: 6
; NumVGPRsForWavesPerEU: 1
; AccumOffset: 4
; Occupancy: 8
; WaveLimiterHint : 0
; COMPUTE_PGM_RSRC2:SCRATCH_EN: 0
; COMPUTE_PGM_RSRC2:USER_SGPR: 2
; COMPUTE_PGM_RSRC2:TRAP_HANDLER: 0
; COMPUTE_PGM_RSRC2:TGID_X_EN: 1
; COMPUTE_PGM_RSRC2:TGID_Y_EN: 0
; COMPUTE_PGM_RSRC2:TGID_Z_EN: 0
; COMPUTE_PGM_RSRC2:TIDIG_COMP_CNT: 0
; COMPUTE_PGM_RSRC3_GFX90A:ACCUM_OFFSET: 0
; COMPUTE_PGM_RSRC3_GFX90A:TG_SPLIT: 0
	.section	.text._ZN7rocprim17ROCPRIM_400000_NS6detail17trampoline_kernelINS0_14default_configENS1_25partition_config_selectorILNS1_17partition_subalgoE1ExNS0_10empty_typeEbEEZZNS1_14partition_implILS5_1ELb0ES3_jN6thrust23THRUST_200600_302600_NS6detail15normal_iteratorINSA_10device_ptrIxEEEEPS6_NSA_18transform_iteratorI7is_evenIxESF_NSA_11use_defaultESK_EENS0_5tupleIJNSA_16discard_iteratorISK_EESO_EEENSM_IJSG_SG_EEES6_PlJS6_EEE10hipError_tPvRmT3_T4_T5_T6_T7_T9_mT8_P12ihipStream_tbDpT10_ENKUlT_T0_E_clISt17integral_constantIbLb0EES1B_EEDaS16_S17_EUlS16_E_NS1_11comp_targetILNS1_3genE2ELNS1_11target_archE906ELNS1_3gpuE6ELNS1_3repE0EEENS1_30default_config_static_selectorELNS0_4arch9wavefront6targetE1EEEvT1_,"axG",@progbits,_ZN7rocprim17ROCPRIM_400000_NS6detail17trampoline_kernelINS0_14default_configENS1_25partition_config_selectorILNS1_17partition_subalgoE1ExNS0_10empty_typeEbEEZZNS1_14partition_implILS5_1ELb0ES3_jN6thrust23THRUST_200600_302600_NS6detail15normal_iteratorINSA_10device_ptrIxEEEEPS6_NSA_18transform_iteratorI7is_evenIxESF_NSA_11use_defaultESK_EENS0_5tupleIJNSA_16discard_iteratorISK_EESO_EEENSM_IJSG_SG_EEES6_PlJS6_EEE10hipError_tPvRmT3_T4_T5_T6_T7_T9_mT8_P12ihipStream_tbDpT10_ENKUlT_T0_E_clISt17integral_constantIbLb0EES1B_EEDaS16_S17_EUlS16_E_NS1_11comp_targetILNS1_3genE2ELNS1_11target_archE906ELNS1_3gpuE6ELNS1_3repE0EEENS1_30default_config_static_selectorELNS0_4arch9wavefront6targetE1EEEvT1_,comdat
	.protected	_ZN7rocprim17ROCPRIM_400000_NS6detail17trampoline_kernelINS0_14default_configENS1_25partition_config_selectorILNS1_17partition_subalgoE1ExNS0_10empty_typeEbEEZZNS1_14partition_implILS5_1ELb0ES3_jN6thrust23THRUST_200600_302600_NS6detail15normal_iteratorINSA_10device_ptrIxEEEEPS6_NSA_18transform_iteratorI7is_evenIxESF_NSA_11use_defaultESK_EENS0_5tupleIJNSA_16discard_iteratorISK_EESO_EEENSM_IJSG_SG_EEES6_PlJS6_EEE10hipError_tPvRmT3_T4_T5_T6_T7_T9_mT8_P12ihipStream_tbDpT10_ENKUlT_T0_E_clISt17integral_constantIbLb0EES1B_EEDaS16_S17_EUlS16_E_NS1_11comp_targetILNS1_3genE2ELNS1_11target_archE906ELNS1_3gpuE6ELNS1_3repE0EEENS1_30default_config_static_selectorELNS0_4arch9wavefront6targetE1EEEvT1_ ; -- Begin function _ZN7rocprim17ROCPRIM_400000_NS6detail17trampoline_kernelINS0_14default_configENS1_25partition_config_selectorILNS1_17partition_subalgoE1ExNS0_10empty_typeEbEEZZNS1_14partition_implILS5_1ELb0ES3_jN6thrust23THRUST_200600_302600_NS6detail15normal_iteratorINSA_10device_ptrIxEEEEPS6_NSA_18transform_iteratorI7is_evenIxESF_NSA_11use_defaultESK_EENS0_5tupleIJNSA_16discard_iteratorISK_EESO_EEENSM_IJSG_SG_EEES6_PlJS6_EEE10hipError_tPvRmT3_T4_T5_T6_T7_T9_mT8_P12ihipStream_tbDpT10_ENKUlT_T0_E_clISt17integral_constantIbLb0EES1B_EEDaS16_S17_EUlS16_E_NS1_11comp_targetILNS1_3genE2ELNS1_11target_archE906ELNS1_3gpuE6ELNS1_3repE0EEENS1_30default_config_static_selectorELNS0_4arch9wavefront6targetE1EEEvT1_
	.globl	_ZN7rocprim17ROCPRIM_400000_NS6detail17trampoline_kernelINS0_14default_configENS1_25partition_config_selectorILNS1_17partition_subalgoE1ExNS0_10empty_typeEbEEZZNS1_14partition_implILS5_1ELb0ES3_jN6thrust23THRUST_200600_302600_NS6detail15normal_iteratorINSA_10device_ptrIxEEEEPS6_NSA_18transform_iteratorI7is_evenIxESF_NSA_11use_defaultESK_EENS0_5tupleIJNSA_16discard_iteratorISK_EESO_EEENSM_IJSG_SG_EEES6_PlJS6_EEE10hipError_tPvRmT3_T4_T5_T6_T7_T9_mT8_P12ihipStream_tbDpT10_ENKUlT_T0_E_clISt17integral_constantIbLb0EES1B_EEDaS16_S17_EUlS16_E_NS1_11comp_targetILNS1_3genE2ELNS1_11target_archE906ELNS1_3gpuE6ELNS1_3repE0EEENS1_30default_config_static_selectorELNS0_4arch9wavefront6targetE1EEEvT1_
	.p2align	8
	.type	_ZN7rocprim17ROCPRIM_400000_NS6detail17trampoline_kernelINS0_14default_configENS1_25partition_config_selectorILNS1_17partition_subalgoE1ExNS0_10empty_typeEbEEZZNS1_14partition_implILS5_1ELb0ES3_jN6thrust23THRUST_200600_302600_NS6detail15normal_iteratorINSA_10device_ptrIxEEEEPS6_NSA_18transform_iteratorI7is_evenIxESF_NSA_11use_defaultESK_EENS0_5tupleIJNSA_16discard_iteratorISK_EESO_EEENSM_IJSG_SG_EEES6_PlJS6_EEE10hipError_tPvRmT3_T4_T5_T6_T7_T9_mT8_P12ihipStream_tbDpT10_ENKUlT_T0_E_clISt17integral_constantIbLb0EES1B_EEDaS16_S17_EUlS16_E_NS1_11comp_targetILNS1_3genE2ELNS1_11target_archE906ELNS1_3gpuE6ELNS1_3repE0EEENS1_30default_config_static_selectorELNS0_4arch9wavefront6targetE1EEEvT1_,@function
_ZN7rocprim17ROCPRIM_400000_NS6detail17trampoline_kernelINS0_14default_configENS1_25partition_config_selectorILNS1_17partition_subalgoE1ExNS0_10empty_typeEbEEZZNS1_14partition_implILS5_1ELb0ES3_jN6thrust23THRUST_200600_302600_NS6detail15normal_iteratorINSA_10device_ptrIxEEEEPS6_NSA_18transform_iteratorI7is_evenIxESF_NSA_11use_defaultESK_EENS0_5tupleIJNSA_16discard_iteratorISK_EESO_EEENSM_IJSG_SG_EEES6_PlJS6_EEE10hipError_tPvRmT3_T4_T5_T6_T7_T9_mT8_P12ihipStream_tbDpT10_ENKUlT_T0_E_clISt17integral_constantIbLb0EES1B_EEDaS16_S17_EUlS16_E_NS1_11comp_targetILNS1_3genE2ELNS1_11target_archE906ELNS1_3gpuE6ELNS1_3repE0EEENS1_30default_config_static_selectorELNS0_4arch9wavefront6targetE1EEEvT1_: ; @_ZN7rocprim17ROCPRIM_400000_NS6detail17trampoline_kernelINS0_14default_configENS1_25partition_config_selectorILNS1_17partition_subalgoE1ExNS0_10empty_typeEbEEZZNS1_14partition_implILS5_1ELb0ES3_jN6thrust23THRUST_200600_302600_NS6detail15normal_iteratorINSA_10device_ptrIxEEEEPS6_NSA_18transform_iteratorI7is_evenIxESF_NSA_11use_defaultESK_EENS0_5tupleIJNSA_16discard_iteratorISK_EESO_EEENSM_IJSG_SG_EEES6_PlJS6_EEE10hipError_tPvRmT3_T4_T5_T6_T7_T9_mT8_P12ihipStream_tbDpT10_ENKUlT_T0_E_clISt17integral_constantIbLb0EES1B_EEDaS16_S17_EUlS16_E_NS1_11comp_targetILNS1_3genE2ELNS1_11target_archE906ELNS1_3gpuE6ELNS1_3repE0EEENS1_30default_config_static_selectorELNS0_4arch9wavefront6targetE1EEEvT1_
; %bb.0:
	.section	.rodata,"a",@progbits
	.p2align	6, 0x0
	.amdhsa_kernel _ZN7rocprim17ROCPRIM_400000_NS6detail17trampoline_kernelINS0_14default_configENS1_25partition_config_selectorILNS1_17partition_subalgoE1ExNS0_10empty_typeEbEEZZNS1_14partition_implILS5_1ELb0ES3_jN6thrust23THRUST_200600_302600_NS6detail15normal_iteratorINSA_10device_ptrIxEEEEPS6_NSA_18transform_iteratorI7is_evenIxESF_NSA_11use_defaultESK_EENS0_5tupleIJNSA_16discard_iteratorISK_EESO_EEENSM_IJSG_SG_EEES6_PlJS6_EEE10hipError_tPvRmT3_T4_T5_T6_T7_T9_mT8_P12ihipStream_tbDpT10_ENKUlT_T0_E_clISt17integral_constantIbLb0EES1B_EEDaS16_S17_EUlS16_E_NS1_11comp_targetILNS1_3genE2ELNS1_11target_archE906ELNS1_3gpuE6ELNS1_3repE0EEENS1_30default_config_static_selectorELNS0_4arch9wavefront6targetE1EEEvT1_
		.amdhsa_group_segment_fixed_size 0
		.amdhsa_private_segment_fixed_size 0
		.amdhsa_kernarg_size 144
		.amdhsa_user_sgpr_count 2
		.amdhsa_user_sgpr_dispatch_ptr 0
		.amdhsa_user_sgpr_queue_ptr 0
		.amdhsa_user_sgpr_kernarg_segment_ptr 1
		.amdhsa_user_sgpr_dispatch_id 0
		.amdhsa_user_sgpr_kernarg_preload_length 0
		.amdhsa_user_sgpr_kernarg_preload_offset 0
		.amdhsa_user_sgpr_private_segment_size 0
		.amdhsa_uses_dynamic_stack 0
		.amdhsa_enable_private_segment 0
		.amdhsa_system_sgpr_workgroup_id_x 1
		.amdhsa_system_sgpr_workgroup_id_y 0
		.amdhsa_system_sgpr_workgroup_id_z 0
		.amdhsa_system_sgpr_workgroup_info 0
		.amdhsa_system_vgpr_workitem_id 0
		.amdhsa_next_free_vgpr 1
		.amdhsa_next_free_sgpr 0
		.amdhsa_accum_offset 4
		.amdhsa_reserve_vcc 0
		.amdhsa_float_round_mode_32 0
		.amdhsa_float_round_mode_16_64 0
		.amdhsa_float_denorm_mode_32 3
		.amdhsa_float_denorm_mode_16_64 3
		.amdhsa_dx10_clamp 1
		.amdhsa_ieee_mode 1
		.amdhsa_fp16_overflow 0
		.amdhsa_tg_split 0
		.amdhsa_exception_fp_ieee_invalid_op 0
		.amdhsa_exception_fp_denorm_src 0
		.amdhsa_exception_fp_ieee_div_zero 0
		.amdhsa_exception_fp_ieee_overflow 0
		.amdhsa_exception_fp_ieee_underflow 0
		.amdhsa_exception_fp_ieee_inexact 0
		.amdhsa_exception_int_div_zero 0
	.end_amdhsa_kernel
	.section	.text._ZN7rocprim17ROCPRIM_400000_NS6detail17trampoline_kernelINS0_14default_configENS1_25partition_config_selectorILNS1_17partition_subalgoE1ExNS0_10empty_typeEbEEZZNS1_14partition_implILS5_1ELb0ES3_jN6thrust23THRUST_200600_302600_NS6detail15normal_iteratorINSA_10device_ptrIxEEEEPS6_NSA_18transform_iteratorI7is_evenIxESF_NSA_11use_defaultESK_EENS0_5tupleIJNSA_16discard_iteratorISK_EESO_EEENSM_IJSG_SG_EEES6_PlJS6_EEE10hipError_tPvRmT3_T4_T5_T6_T7_T9_mT8_P12ihipStream_tbDpT10_ENKUlT_T0_E_clISt17integral_constantIbLb0EES1B_EEDaS16_S17_EUlS16_E_NS1_11comp_targetILNS1_3genE2ELNS1_11target_archE906ELNS1_3gpuE6ELNS1_3repE0EEENS1_30default_config_static_selectorELNS0_4arch9wavefront6targetE1EEEvT1_,"axG",@progbits,_ZN7rocprim17ROCPRIM_400000_NS6detail17trampoline_kernelINS0_14default_configENS1_25partition_config_selectorILNS1_17partition_subalgoE1ExNS0_10empty_typeEbEEZZNS1_14partition_implILS5_1ELb0ES3_jN6thrust23THRUST_200600_302600_NS6detail15normal_iteratorINSA_10device_ptrIxEEEEPS6_NSA_18transform_iteratorI7is_evenIxESF_NSA_11use_defaultESK_EENS0_5tupleIJNSA_16discard_iteratorISK_EESO_EEENSM_IJSG_SG_EEES6_PlJS6_EEE10hipError_tPvRmT3_T4_T5_T6_T7_T9_mT8_P12ihipStream_tbDpT10_ENKUlT_T0_E_clISt17integral_constantIbLb0EES1B_EEDaS16_S17_EUlS16_E_NS1_11comp_targetILNS1_3genE2ELNS1_11target_archE906ELNS1_3gpuE6ELNS1_3repE0EEENS1_30default_config_static_selectorELNS0_4arch9wavefront6targetE1EEEvT1_,comdat
.Lfunc_end3167:
	.size	_ZN7rocprim17ROCPRIM_400000_NS6detail17trampoline_kernelINS0_14default_configENS1_25partition_config_selectorILNS1_17partition_subalgoE1ExNS0_10empty_typeEbEEZZNS1_14partition_implILS5_1ELb0ES3_jN6thrust23THRUST_200600_302600_NS6detail15normal_iteratorINSA_10device_ptrIxEEEEPS6_NSA_18transform_iteratorI7is_evenIxESF_NSA_11use_defaultESK_EENS0_5tupleIJNSA_16discard_iteratorISK_EESO_EEENSM_IJSG_SG_EEES6_PlJS6_EEE10hipError_tPvRmT3_T4_T5_T6_T7_T9_mT8_P12ihipStream_tbDpT10_ENKUlT_T0_E_clISt17integral_constantIbLb0EES1B_EEDaS16_S17_EUlS16_E_NS1_11comp_targetILNS1_3genE2ELNS1_11target_archE906ELNS1_3gpuE6ELNS1_3repE0EEENS1_30default_config_static_selectorELNS0_4arch9wavefront6targetE1EEEvT1_, .Lfunc_end3167-_ZN7rocprim17ROCPRIM_400000_NS6detail17trampoline_kernelINS0_14default_configENS1_25partition_config_selectorILNS1_17partition_subalgoE1ExNS0_10empty_typeEbEEZZNS1_14partition_implILS5_1ELb0ES3_jN6thrust23THRUST_200600_302600_NS6detail15normal_iteratorINSA_10device_ptrIxEEEEPS6_NSA_18transform_iteratorI7is_evenIxESF_NSA_11use_defaultESK_EENS0_5tupleIJNSA_16discard_iteratorISK_EESO_EEENSM_IJSG_SG_EEES6_PlJS6_EEE10hipError_tPvRmT3_T4_T5_T6_T7_T9_mT8_P12ihipStream_tbDpT10_ENKUlT_T0_E_clISt17integral_constantIbLb0EES1B_EEDaS16_S17_EUlS16_E_NS1_11comp_targetILNS1_3genE2ELNS1_11target_archE906ELNS1_3gpuE6ELNS1_3repE0EEENS1_30default_config_static_selectorELNS0_4arch9wavefront6targetE1EEEvT1_
                                        ; -- End function
	.section	.AMDGPU.csdata,"",@progbits
; Kernel info:
; codeLenInByte = 0
; NumSgprs: 6
; NumVgprs: 0
; NumAgprs: 0
; TotalNumVgprs: 0
; ScratchSize: 0
; MemoryBound: 0
; FloatMode: 240
; IeeeMode: 1
; LDSByteSize: 0 bytes/workgroup (compile time only)
; SGPRBlocks: 0
; VGPRBlocks: 0
; NumSGPRsForWavesPerEU: 6
; NumVGPRsForWavesPerEU: 1
; AccumOffset: 4
; Occupancy: 8
; WaveLimiterHint : 0
; COMPUTE_PGM_RSRC2:SCRATCH_EN: 0
; COMPUTE_PGM_RSRC2:USER_SGPR: 2
; COMPUTE_PGM_RSRC2:TRAP_HANDLER: 0
; COMPUTE_PGM_RSRC2:TGID_X_EN: 1
; COMPUTE_PGM_RSRC2:TGID_Y_EN: 0
; COMPUTE_PGM_RSRC2:TGID_Z_EN: 0
; COMPUTE_PGM_RSRC2:TIDIG_COMP_CNT: 0
; COMPUTE_PGM_RSRC3_GFX90A:ACCUM_OFFSET: 0
; COMPUTE_PGM_RSRC3_GFX90A:TG_SPLIT: 0
	.section	.text._ZN7rocprim17ROCPRIM_400000_NS6detail17trampoline_kernelINS0_14default_configENS1_25partition_config_selectorILNS1_17partition_subalgoE1ExNS0_10empty_typeEbEEZZNS1_14partition_implILS5_1ELb0ES3_jN6thrust23THRUST_200600_302600_NS6detail15normal_iteratorINSA_10device_ptrIxEEEEPS6_NSA_18transform_iteratorI7is_evenIxESF_NSA_11use_defaultESK_EENS0_5tupleIJNSA_16discard_iteratorISK_EESO_EEENSM_IJSG_SG_EEES6_PlJS6_EEE10hipError_tPvRmT3_T4_T5_T6_T7_T9_mT8_P12ihipStream_tbDpT10_ENKUlT_T0_E_clISt17integral_constantIbLb0EES1B_EEDaS16_S17_EUlS16_E_NS1_11comp_targetILNS1_3genE10ELNS1_11target_archE1200ELNS1_3gpuE4ELNS1_3repE0EEENS1_30default_config_static_selectorELNS0_4arch9wavefront6targetE1EEEvT1_,"axG",@progbits,_ZN7rocprim17ROCPRIM_400000_NS6detail17trampoline_kernelINS0_14default_configENS1_25partition_config_selectorILNS1_17partition_subalgoE1ExNS0_10empty_typeEbEEZZNS1_14partition_implILS5_1ELb0ES3_jN6thrust23THRUST_200600_302600_NS6detail15normal_iteratorINSA_10device_ptrIxEEEEPS6_NSA_18transform_iteratorI7is_evenIxESF_NSA_11use_defaultESK_EENS0_5tupleIJNSA_16discard_iteratorISK_EESO_EEENSM_IJSG_SG_EEES6_PlJS6_EEE10hipError_tPvRmT3_T4_T5_T6_T7_T9_mT8_P12ihipStream_tbDpT10_ENKUlT_T0_E_clISt17integral_constantIbLb0EES1B_EEDaS16_S17_EUlS16_E_NS1_11comp_targetILNS1_3genE10ELNS1_11target_archE1200ELNS1_3gpuE4ELNS1_3repE0EEENS1_30default_config_static_selectorELNS0_4arch9wavefront6targetE1EEEvT1_,comdat
	.protected	_ZN7rocprim17ROCPRIM_400000_NS6detail17trampoline_kernelINS0_14default_configENS1_25partition_config_selectorILNS1_17partition_subalgoE1ExNS0_10empty_typeEbEEZZNS1_14partition_implILS5_1ELb0ES3_jN6thrust23THRUST_200600_302600_NS6detail15normal_iteratorINSA_10device_ptrIxEEEEPS6_NSA_18transform_iteratorI7is_evenIxESF_NSA_11use_defaultESK_EENS0_5tupleIJNSA_16discard_iteratorISK_EESO_EEENSM_IJSG_SG_EEES6_PlJS6_EEE10hipError_tPvRmT3_T4_T5_T6_T7_T9_mT8_P12ihipStream_tbDpT10_ENKUlT_T0_E_clISt17integral_constantIbLb0EES1B_EEDaS16_S17_EUlS16_E_NS1_11comp_targetILNS1_3genE10ELNS1_11target_archE1200ELNS1_3gpuE4ELNS1_3repE0EEENS1_30default_config_static_selectorELNS0_4arch9wavefront6targetE1EEEvT1_ ; -- Begin function _ZN7rocprim17ROCPRIM_400000_NS6detail17trampoline_kernelINS0_14default_configENS1_25partition_config_selectorILNS1_17partition_subalgoE1ExNS0_10empty_typeEbEEZZNS1_14partition_implILS5_1ELb0ES3_jN6thrust23THRUST_200600_302600_NS6detail15normal_iteratorINSA_10device_ptrIxEEEEPS6_NSA_18transform_iteratorI7is_evenIxESF_NSA_11use_defaultESK_EENS0_5tupleIJNSA_16discard_iteratorISK_EESO_EEENSM_IJSG_SG_EEES6_PlJS6_EEE10hipError_tPvRmT3_T4_T5_T6_T7_T9_mT8_P12ihipStream_tbDpT10_ENKUlT_T0_E_clISt17integral_constantIbLb0EES1B_EEDaS16_S17_EUlS16_E_NS1_11comp_targetILNS1_3genE10ELNS1_11target_archE1200ELNS1_3gpuE4ELNS1_3repE0EEENS1_30default_config_static_selectorELNS0_4arch9wavefront6targetE1EEEvT1_
	.globl	_ZN7rocprim17ROCPRIM_400000_NS6detail17trampoline_kernelINS0_14default_configENS1_25partition_config_selectorILNS1_17partition_subalgoE1ExNS0_10empty_typeEbEEZZNS1_14partition_implILS5_1ELb0ES3_jN6thrust23THRUST_200600_302600_NS6detail15normal_iteratorINSA_10device_ptrIxEEEEPS6_NSA_18transform_iteratorI7is_evenIxESF_NSA_11use_defaultESK_EENS0_5tupleIJNSA_16discard_iteratorISK_EESO_EEENSM_IJSG_SG_EEES6_PlJS6_EEE10hipError_tPvRmT3_T4_T5_T6_T7_T9_mT8_P12ihipStream_tbDpT10_ENKUlT_T0_E_clISt17integral_constantIbLb0EES1B_EEDaS16_S17_EUlS16_E_NS1_11comp_targetILNS1_3genE10ELNS1_11target_archE1200ELNS1_3gpuE4ELNS1_3repE0EEENS1_30default_config_static_selectorELNS0_4arch9wavefront6targetE1EEEvT1_
	.p2align	8
	.type	_ZN7rocprim17ROCPRIM_400000_NS6detail17trampoline_kernelINS0_14default_configENS1_25partition_config_selectorILNS1_17partition_subalgoE1ExNS0_10empty_typeEbEEZZNS1_14partition_implILS5_1ELb0ES3_jN6thrust23THRUST_200600_302600_NS6detail15normal_iteratorINSA_10device_ptrIxEEEEPS6_NSA_18transform_iteratorI7is_evenIxESF_NSA_11use_defaultESK_EENS0_5tupleIJNSA_16discard_iteratorISK_EESO_EEENSM_IJSG_SG_EEES6_PlJS6_EEE10hipError_tPvRmT3_T4_T5_T6_T7_T9_mT8_P12ihipStream_tbDpT10_ENKUlT_T0_E_clISt17integral_constantIbLb0EES1B_EEDaS16_S17_EUlS16_E_NS1_11comp_targetILNS1_3genE10ELNS1_11target_archE1200ELNS1_3gpuE4ELNS1_3repE0EEENS1_30default_config_static_selectorELNS0_4arch9wavefront6targetE1EEEvT1_,@function
_ZN7rocprim17ROCPRIM_400000_NS6detail17trampoline_kernelINS0_14default_configENS1_25partition_config_selectorILNS1_17partition_subalgoE1ExNS0_10empty_typeEbEEZZNS1_14partition_implILS5_1ELb0ES3_jN6thrust23THRUST_200600_302600_NS6detail15normal_iteratorINSA_10device_ptrIxEEEEPS6_NSA_18transform_iteratorI7is_evenIxESF_NSA_11use_defaultESK_EENS0_5tupleIJNSA_16discard_iteratorISK_EESO_EEENSM_IJSG_SG_EEES6_PlJS6_EEE10hipError_tPvRmT3_T4_T5_T6_T7_T9_mT8_P12ihipStream_tbDpT10_ENKUlT_T0_E_clISt17integral_constantIbLb0EES1B_EEDaS16_S17_EUlS16_E_NS1_11comp_targetILNS1_3genE10ELNS1_11target_archE1200ELNS1_3gpuE4ELNS1_3repE0EEENS1_30default_config_static_selectorELNS0_4arch9wavefront6targetE1EEEvT1_: ; @_ZN7rocprim17ROCPRIM_400000_NS6detail17trampoline_kernelINS0_14default_configENS1_25partition_config_selectorILNS1_17partition_subalgoE1ExNS0_10empty_typeEbEEZZNS1_14partition_implILS5_1ELb0ES3_jN6thrust23THRUST_200600_302600_NS6detail15normal_iteratorINSA_10device_ptrIxEEEEPS6_NSA_18transform_iteratorI7is_evenIxESF_NSA_11use_defaultESK_EENS0_5tupleIJNSA_16discard_iteratorISK_EESO_EEENSM_IJSG_SG_EEES6_PlJS6_EEE10hipError_tPvRmT3_T4_T5_T6_T7_T9_mT8_P12ihipStream_tbDpT10_ENKUlT_T0_E_clISt17integral_constantIbLb0EES1B_EEDaS16_S17_EUlS16_E_NS1_11comp_targetILNS1_3genE10ELNS1_11target_archE1200ELNS1_3gpuE4ELNS1_3repE0EEENS1_30default_config_static_selectorELNS0_4arch9wavefront6targetE1EEEvT1_
; %bb.0:
	.section	.rodata,"a",@progbits
	.p2align	6, 0x0
	.amdhsa_kernel _ZN7rocprim17ROCPRIM_400000_NS6detail17trampoline_kernelINS0_14default_configENS1_25partition_config_selectorILNS1_17partition_subalgoE1ExNS0_10empty_typeEbEEZZNS1_14partition_implILS5_1ELb0ES3_jN6thrust23THRUST_200600_302600_NS6detail15normal_iteratorINSA_10device_ptrIxEEEEPS6_NSA_18transform_iteratorI7is_evenIxESF_NSA_11use_defaultESK_EENS0_5tupleIJNSA_16discard_iteratorISK_EESO_EEENSM_IJSG_SG_EEES6_PlJS6_EEE10hipError_tPvRmT3_T4_T5_T6_T7_T9_mT8_P12ihipStream_tbDpT10_ENKUlT_T0_E_clISt17integral_constantIbLb0EES1B_EEDaS16_S17_EUlS16_E_NS1_11comp_targetILNS1_3genE10ELNS1_11target_archE1200ELNS1_3gpuE4ELNS1_3repE0EEENS1_30default_config_static_selectorELNS0_4arch9wavefront6targetE1EEEvT1_
		.amdhsa_group_segment_fixed_size 0
		.amdhsa_private_segment_fixed_size 0
		.amdhsa_kernarg_size 144
		.amdhsa_user_sgpr_count 2
		.amdhsa_user_sgpr_dispatch_ptr 0
		.amdhsa_user_sgpr_queue_ptr 0
		.amdhsa_user_sgpr_kernarg_segment_ptr 1
		.amdhsa_user_sgpr_dispatch_id 0
		.amdhsa_user_sgpr_kernarg_preload_length 0
		.amdhsa_user_sgpr_kernarg_preload_offset 0
		.amdhsa_user_sgpr_private_segment_size 0
		.amdhsa_uses_dynamic_stack 0
		.amdhsa_enable_private_segment 0
		.amdhsa_system_sgpr_workgroup_id_x 1
		.amdhsa_system_sgpr_workgroup_id_y 0
		.amdhsa_system_sgpr_workgroup_id_z 0
		.amdhsa_system_sgpr_workgroup_info 0
		.amdhsa_system_vgpr_workitem_id 0
		.amdhsa_next_free_vgpr 1
		.amdhsa_next_free_sgpr 0
		.amdhsa_accum_offset 4
		.amdhsa_reserve_vcc 0
		.amdhsa_float_round_mode_32 0
		.amdhsa_float_round_mode_16_64 0
		.amdhsa_float_denorm_mode_32 3
		.amdhsa_float_denorm_mode_16_64 3
		.amdhsa_dx10_clamp 1
		.amdhsa_ieee_mode 1
		.amdhsa_fp16_overflow 0
		.amdhsa_tg_split 0
		.amdhsa_exception_fp_ieee_invalid_op 0
		.amdhsa_exception_fp_denorm_src 0
		.amdhsa_exception_fp_ieee_div_zero 0
		.amdhsa_exception_fp_ieee_overflow 0
		.amdhsa_exception_fp_ieee_underflow 0
		.amdhsa_exception_fp_ieee_inexact 0
		.amdhsa_exception_int_div_zero 0
	.end_amdhsa_kernel
	.section	.text._ZN7rocprim17ROCPRIM_400000_NS6detail17trampoline_kernelINS0_14default_configENS1_25partition_config_selectorILNS1_17partition_subalgoE1ExNS0_10empty_typeEbEEZZNS1_14partition_implILS5_1ELb0ES3_jN6thrust23THRUST_200600_302600_NS6detail15normal_iteratorINSA_10device_ptrIxEEEEPS6_NSA_18transform_iteratorI7is_evenIxESF_NSA_11use_defaultESK_EENS0_5tupleIJNSA_16discard_iteratorISK_EESO_EEENSM_IJSG_SG_EEES6_PlJS6_EEE10hipError_tPvRmT3_T4_T5_T6_T7_T9_mT8_P12ihipStream_tbDpT10_ENKUlT_T0_E_clISt17integral_constantIbLb0EES1B_EEDaS16_S17_EUlS16_E_NS1_11comp_targetILNS1_3genE10ELNS1_11target_archE1200ELNS1_3gpuE4ELNS1_3repE0EEENS1_30default_config_static_selectorELNS0_4arch9wavefront6targetE1EEEvT1_,"axG",@progbits,_ZN7rocprim17ROCPRIM_400000_NS6detail17trampoline_kernelINS0_14default_configENS1_25partition_config_selectorILNS1_17partition_subalgoE1ExNS0_10empty_typeEbEEZZNS1_14partition_implILS5_1ELb0ES3_jN6thrust23THRUST_200600_302600_NS6detail15normal_iteratorINSA_10device_ptrIxEEEEPS6_NSA_18transform_iteratorI7is_evenIxESF_NSA_11use_defaultESK_EENS0_5tupleIJNSA_16discard_iteratorISK_EESO_EEENSM_IJSG_SG_EEES6_PlJS6_EEE10hipError_tPvRmT3_T4_T5_T6_T7_T9_mT8_P12ihipStream_tbDpT10_ENKUlT_T0_E_clISt17integral_constantIbLb0EES1B_EEDaS16_S17_EUlS16_E_NS1_11comp_targetILNS1_3genE10ELNS1_11target_archE1200ELNS1_3gpuE4ELNS1_3repE0EEENS1_30default_config_static_selectorELNS0_4arch9wavefront6targetE1EEEvT1_,comdat
.Lfunc_end3168:
	.size	_ZN7rocprim17ROCPRIM_400000_NS6detail17trampoline_kernelINS0_14default_configENS1_25partition_config_selectorILNS1_17partition_subalgoE1ExNS0_10empty_typeEbEEZZNS1_14partition_implILS5_1ELb0ES3_jN6thrust23THRUST_200600_302600_NS6detail15normal_iteratorINSA_10device_ptrIxEEEEPS6_NSA_18transform_iteratorI7is_evenIxESF_NSA_11use_defaultESK_EENS0_5tupleIJNSA_16discard_iteratorISK_EESO_EEENSM_IJSG_SG_EEES6_PlJS6_EEE10hipError_tPvRmT3_T4_T5_T6_T7_T9_mT8_P12ihipStream_tbDpT10_ENKUlT_T0_E_clISt17integral_constantIbLb0EES1B_EEDaS16_S17_EUlS16_E_NS1_11comp_targetILNS1_3genE10ELNS1_11target_archE1200ELNS1_3gpuE4ELNS1_3repE0EEENS1_30default_config_static_selectorELNS0_4arch9wavefront6targetE1EEEvT1_, .Lfunc_end3168-_ZN7rocprim17ROCPRIM_400000_NS6detail17trampoline_kernelINS0_14default_configENS1_25partition_config_selectorILNS1_17partition_subalgoE1ExNS0_10empty_typeEbEEZZNS1_14partition_implILS5_1ELb0ES3_jN6thrust23THRUST_200600_302600_NS6detail15normal_iteratorINSA_10device_ptrIxEEEEPS6_NSA_18transform_iteratorI7is_evenIxESF_NSA_11use_defaultESK_EENS0_5tupleIJNSA_16discard_iteratorISK_EESO_EEENSM_IJSG_SG_EEES6_PlJS6_EEE10hipError_tPvRmT3_T4_T5_T6_T7_T9_mT8_P12ihipStream_tbDpT10_ENKUlT_T0_E_clISt17integral_constantIbLb0EES1B_EEDaS16_S17_EUlS16_E_NS1_11comp_targetILNS1_3genE10ELNS1_11target_archE1200ELNS1_3gpuE4ELNS1_3repE0EEENS1_30default_config_static_selectorELNS0_4arch9wavefront6targetE1EEEvT1_
                                        ; -- End function
	.section	.AMDGPU.csdata,"",@progbits
; Kernel info:
; codeLenInByte = 0
; NumSgprs: 6
; NumVgprs: 0
; NumAgprs: 0
; TotalNumVgprs: 0
; ScratchSize: 0
; MemoryBound: 0
; FloatMode: 240
; IeeeMode: 1
; LDSByteSize: 0 bytes/workgroup (compile time only)
; SGPRBlocks: 0
; VGPRBlocks: 0
; NumSGPRsForWavesPerEU: 6
; NumVGPRsForWavesPerEU: 1
; AccumOffset: 4
; Occupancy: 8
; WaveLimiterHint : 0
; COMPUTE_PGM_RSRC2:SCRATCH_EN: 0
; COMPUTE_PGM_RSRC2:USER_SGPR: 2
; COMPUTE_PGM_RSRC2:TRAP_HANDLER: 0
; COMPUTE_PGM_RSRC2:TGID_X_EN: 1
; COMPUTE_PGM_RSRC2:TGID_Y_EN: 0
; COMPUTE_PGM_RSRC2:TGID_Z_EN: 0
; COMPUTE_PGM_RSRC2:TIDIG_COMP_CNT: 0
; COMPUTE_PGM_RSRC3_GFX90A:ACCUM_OFFSET: 0
; COMPUTE_PGM_RSRC3_GFX90A:TG_SPLIT: 0
	.section	.text._ZN7rocprim17ROCPRIM_400000_NS6detail17trampoline_kernelINS0_14default_configENS1_25partition_config_selectorILNS1_17partition_subalgoE1ExNS0_10empty_typeEbEEZZNS1_14partition_implILS5_1ELb0ES3_jN6thrust23THRUST_200600_302600_NS6detail15normal_iteratorINSA_10device_ptrIxEEEEPS6_NSA_18transform_iteratorI7is_evenIxESF_NSA_11use_defaultESK_EENS0_5tupleIJNSA_16discard_iteratorISK_EESO_EEENSM_IJSG_SG_EEES6_PlJS6_EEE10hipError_tPvRmT3_T4_T5_T6_T7_T9_mT8_P12ihipStream_tbDpT10_ENKUlT_T0_E_clISt17integral_constantIbLb0EES1B_EEDaS16_S17_EUlS16_E_NS1_11comp_targetILNS1_3genE9ELNS1_11target_archE1100ELNS1_3gpuE3ELNS1_3repE0EEENS1_30default_config_static_selectorELNS0_4arch9wavefront6targetE1EEEvT1_,"axG",@progbits,_ZN7rocprim17ROCPRIM_400000_NS6detail17trampoline_kernelINS0_14default_configENS1_25partition_config_selectorILNS1_17partition_subalgoE1ExNS0_10empty_typeEbEEZZNS1_14partition_implILS5_1ELb0ES3_jN6thrust23THRUST_200600_302600_NS6detail15normal_iteratorINSA_10device_ptrIxEEEEPS6_NSA_18transform_iteratorI7is_evenIxESF_NSA_11use_defaultESK_EENS0_5tupleIJNSA_16discard_iteratorISK_EESO_EEENSM_IJSG_SG_EEES6_PlJS6_EEE10hipError_tPvRmT3_T4_T5_T6_T7_T9_mT8_P12ihipStream_tbDpT10_ENKUlT_T0_E_clISt17integral_constantIbLb0EES1B_EEDaS16_S17_EUlS16_E_NS1_11comp_targetILNS1_3genE9ELNS1_11target_archE1100ELNS1_3gpuE3ELNS1_3repE0EEENS1_30default_config_static_selectorELNS0_4arch9wavefront6targetE1EEEvT1_,comdat
	.protected	_ZN7rocprim17ROCPRIM_400000_NS6detail17trampoline_kernelINS0_14default_configENS1_25partition_config_selectorILNS1_17partition_subalgoE1ExNS0_10empty_typeEbEEZZNS1_14partition_implILS5_1ELb0ES3_jN6thrust23THRUST_200600_302600_NS6detail15normal_iteratorINSA_10device_ptrIxEEEEPS6_NSA_18transform_iteratorI7is_evenIxESF_NSA_11use_defaultESK_EENS0_5tupleIJNSA_16discard_iteratorISK_EESO_EEENSM_IJSG_SG_EEES6_PlJS6_EEE10hipError_tPvRmT3_T4_T5_T6_T7_T9_mT8_P12ihipStream_tbDpT10_ENKUlT_T0_E_clISt17integral_constantIbLb0EES1B_EEDaS16_S17_EUlS16_E_NS1_11comp_targetILNS1_3genE9ELNS1_11target_archE1100ELNS1_3gpuE3ELNS1_3repE0EEENS1_30default_config_static_selectorELNS0_4arch9wavefront6targetE1EEEvT1_ ; -- Begin function _ZN7rocprim17ROCPRIM_400000_NS6detail17trampoline_kernelINS0_14default_configENS1_25partition_config_selectorILNS1_17partition_subalgoE1ExNS0_10empty_typeEbEEZZNS1_14partition_implILS5_1ELb0ES3_jN6thrust23THRUST_200600_302600_NS6detail15normal_iteratorINSA_10device_ptrIxEEEEPS6_NSA_18transform_iteratorI7is_evenIxESF_NSA_11use_defaultESK_EENS0_5tupleIJNSA_16discard_iteratorISK_EESO_EEENSM_IJSG_SG_EEES6_PlJS6_EEE10hipError_tPvRmT3_T4_T5_T6_T7_T9_mT8_P12ihipStream_tbDpT10_ENKUlT_T0_E_clISt17integral_constantIbLb0EES1B_EEDaS16_S17_EUlS16_E_NS1_11comp_targetILNS1_3genE9ELNS1_11target_archE1100ELNS1_3gpuE3ELNS1_3repE0EEENS1_30default_config_static_selectorELNS0_4arch9wavefront6targetE1EEEvT1_
	.globl	_ZN7rocprim17ROCPRIM_400000_NS6detail17trampoline_kernelINS0_14default_configENS1_25partition_config_selectorILNS1_17partition_subalgoE1ExNS0_10empty_typeEbEEZZNS1_14partition_implILS5_1ELb0ES3_jN6thrust23THRUST_200600_302600_NS6detail15normal_iteratorINSA_10device_ptrIxEEEEPS6_NSA_18transform_iteratorI7is_evenIxESF_NSA_11use_defaultESK_EENS0_5tupleIJNSA_16discard_iteratorISK_EESO_EEENSM_IJSG_SG_EEES6_PlJS6_EEE10hipError_tPvRmT3_T4_T5_T6_T7_T9_mT8_P12ihipStream_tbDpT10_ENKUlT_T0_E_clISt17integral_constantIbLb0EES1B_EEDaS16_S17_EUlS16_E_NS1_11comp_targetILNS1_3genE9ELNS1_11target_archE1100ELNS1_3gpuE3ELNS1_3repE0EEENS1_30default_config_static_selectorELNS0_4arch9wavefront6targetE1EEEvT1_
	.p2align	8
	.type	_ZN7rocprim17ROCPRIM_400000_NS6detail17trampoline_kernelINS0_14default_configENS1_25partition_config_selectorILNS1_17partition_subalgoE1ExNS0_10empty_typeEbEEZZNS1_14partition_implILS5_1ELb0ES3_jN6thrust23THRUST_200600_302600_NS6detail15normal_iteratorINSA_10device_ptrIxEEEEPS6_NSA_18transform_iteratorI7is_evenIxESF_NSA_11use_defaultESK_EENS0_5tupleIJNSA_16discard_iteratorISK_EESO_EEENSM_IJSG_SG_EEES6_PlJS6_EEE10hipError_tPvRmT3_T4_T5_T6_T7_T9_mT8_P12ihipStream_tbDpT10_ENKUlT_T0_E_clISt17integral_constantIbLb0EES1B_EEDaS16_S17_EUlS16_E_NS1_11comp_targetILNS1_3genE9ELNS1_11target_archE1100ELNS1_3gpuE3ELNS1_3repE0EEENS1_30default_config_static_selectorELNS0_4arch9wavefront6targetE1EEEvT1_,@function
_ZN7rocprim17ROCPRIM_400000_NS6detail17trampoline_kernelINS0_14default_configENS1_25partition_config_selectorILNS1_17partition_subalgoE1ExNS0_10empty_typeEbEEZZNS1_14partition_implILS5_1ELb0ES3_jN6thrust23THRUST_200600_302600_NS6detail15normal_iteratorINSA_10device_ptrIxEEEEPS6_NSA_18transform_iteratorI7is_evenIxESF_NSA_11use_defaultESK_EENS0_5tupleIJNSA_16discard_iteratorISK_EESO_EEENSM_IJSG_SG_EEES6_PlJS6_EEE10hipError_tPvRmT3_T4_T5_T6_T7_T9_mT8_P12ihipStream_tbDpT10_ENKUlT_T0_E_clISt17integral_constantIbLb0EES1B_EEDaS16_S17_EUlS16_E_NS1_11comp_targetILNS1_3genE9ELNS1_11target_archE1100ELNS1_3gpuE3ELNS1_3repE0EEENS1_30default_config_static_selectorELNS0_4arch9wavefront6targetE1EEEvT1_: ; @_ZN7rocprim17ROCPRIM_400000_NS6detail17trampoline_kernelINS0_14default_configENS1_25partition_config_selectorILNS1_17partition_subalgoE1ExNS0_10empty_typeEbEEZZNS1_14partition_implILS5_1ELb0ES3_jN6thrust23THRUST_200600_302600_NS6detail15normal_iteratorINSA_10device_ptrIxEEEEPS6_NSA_18transform_iteratorI7is_evenIxESF_NSA_11use_defaultESK_EENS0_5tupleIJNSA_16discard_iteratorISK_EESO_EEENSM_IJSG_SG_EEES6_PlJS6_EEE10hipError_tPvRmT3_T4_T5_T6_T7_T9_mT8_P12ihipStream_tbDpT10_ENKUlT_T0_E_clISt17integral_constantIbLb0EES1B_EEDaS16_S17_EUlS16_E_NS1_11comp_targetILNS1_3genE9ELNS1_11target_archE1100ELNS1_3gpuE3ELNS1_3repE0EEENS1_30default_config_static_selectorELNS0_4arch9wavefront6targetE1EEEvT1_
; %bb.0:
	.section	.rodata,"a",@progbits
	.p2align	6, 0x0
	.amdhsa_kernel _ZN7rocprim17ROCPRIM_400000_NS6detail17trampoline_kernelINS0_14default_configENS1_25partition_config_selectorILNS1_17partition_subalgoE1ExNS0_10empty_typeEbEEZZNS1_14partition_implILS5_1ELb0ES3_jN6thrust23THRUST_200600_302600_NS6detail15normal_iteratorINSA_10device_ptrIxEEEEPS6_NSA_18transform_iteratorI7is_evenIxESF_NSA_11use_defaultESK_EENS0_5tupleIJNSA_16discard_iteratorISK_EESO_EEENSM_IJSG_SG_EEES6_PlJS6_EEE10hipError_tPvRmT3_T4_T5_T6_T7_T9_mT8_P12ihipStream_tbDpT10_ENKUlT_T0_E_clISt17integral_constantIbLb0EES1B_EEDaS16_S17_EUlS16_E_NS1_11comp_targetILNS1_3genE9ELNS1_11target_archE1100ELNS1_3gpuE3ELNS1_3repE0EEENS1_30default_config_static_selectorELNS0_4arch9wavefront6targetE1EEEvT1_
		.amdhsa_group_segment_fixed_size 0
		.amdhsa_private_segment_fixed_size 0
		.amdhsa_kernarg_size 144
		.amdhsa_user_sgpr_count 2
		.amdhsa_user_sgpr_dispatch_ptr 0
		.amdhsa_user_sgpr_queue_ptr 0
		.amdhsa_user_sgpr_kernarg_segment_ptr 1
		.amdhsa_user_sgpr_dispatch_id 0
		.amdhsa_user_sgpr_kernarg_preload_length 0
		.amdhsa_user_sgpr_kernarg_preload_offset 0
		.amdhsa_user_sgpr_private_segment_size 0
		.amdhsa_uses_dynamic_stack 0
		.amdhsa_enable_private_segment 0
		.amdhsa_system_sgpr_workgroup_id_x 1
		.amdhsa_system_sgpr_workgroup_id_y 0
		.amdhsa_system_sgpr_workgroup_id_z 0
		.amdhsa_system_sgpr_workgroup_info 0
		.amdhsa_system_vgpr_workitem_id 0
		.amdhsa_next_free_vgpr 1
		.amdhsa_next_free_sgpr 0
		.amdhsa_accum_offset 4
		.amdhsa_reserve_vcc 0
		.amdhsa_float_round_mode_32 0
		.amdhsa_float_round_mode_16_64 0
		.amdhsa_float_denorm_mode_32 3
		.amdhsa_float_denorm_mode_16_64 3
		.amdhsa_dx10_clamp 1
		.amdhsa_ieee_mode 1
		.amdhsa_fp16_overflow 0
		.amdhsa_tg_split 0
		.amdhsa_exception_fp_ieee_invalid_op 0
		.amdhsa_exception_fp_denorm_src 0
		.amdhsa_exception_fp_ieee_div_zero 0
		.amdhsa_exception_fp_ieee_overflow 0
		.amdhsa_exception_fp_ieee_underflow 0
		.amdhsa_exception_fp_ieee_inexact 0
		.amdhsa_exception_int_div_zero 0
	.end_amdhsa_kernel
	.section	.text._ZN7rocprim17ROCPRIM_400000_NS6detail17trampoline_kernelINS0_14default_configENS1_25partition_config_selectorILNS1_17partition_subalgoE1ExNS0_10empty_typeEbEEZZNS1_14partition_implILS5_1ELb0ES3_jN6thrust23THRUST_200600_302600_NS6detail15normal_iteratorINSA_10device_ptrIxEEEEPS6_NSA_18transform_iteratorI7is_evenIxESF_NSA_11use_defaultESK_EENS0_5tupleIJNSA_16discard_iteratorISK_EESO_EEENSM_IJSG_SG_EEES6_PlJS6_EEE10hipError_tPvRmT3_T4_T5_T6_T7_T9_mT8_P12ihipStream_tbDpT10_ENKUlT_T0_E_clISt17integral_constantIbLb0EES1B_EEDaS16_S17_EUlS16_E_NS1_11comp_targetILNS1_3genE9ELNS1_11target_archE1100ELNS1_3gpuE3ELNS1_3repE0EEENS1_30default_config_static_selectorELNS0_4arch9wavefront6targetE1EEEvT1_,"axG",@progbits,_ZN7rocprim17ROCPRIM_400000_NS6detail17trampoline_kernelINS0_14default_configENS1_25partition_config_selectorILNS1_17partition_subalgoE1ExNS0_10empty_typeEbEEZZNS1_14partition_implILS5_1ELb0ES3_jN6thrust23THRUST_200600_302600_NS6detail15normal_iteratorINSA_10device_ptrIxEEEEPS6_NSA_18transform_iteratorI7is_evenIxESF_NSA_11use_defaultESK_EENS0_5tupleIJNSA_16discard_iteratorISK_EESO_EEENSM_IJSG_SG_EEES6_PlJS6_EEE10hipError_tPvRmT3_T4_T5_T6_T7_T9_mT8_P12ihipStream_tbDpT10_ENKUlT_T0_E_clISt17integral_constantIbLb0EES1B_EEDaS16_S17_EUlS16_E_NS1_11comp_targetILNS1_3genE9ELNS1_11target_archE1100ELNS1_3gpuE3ELNS1_3repE0EEENS1_30default_config_static_selectorELNS0_4arch9wavefront6targetE1EEEvT1_,comdat
.Lfunc_end3169:
	.size	_ZN7rocprim17ROCPRIM_400000_NS6detail17trampoline_kernelINS0_14default_configENS1_25partition_config_selectorILNS1_17partition_subalgoE1ExNS0_10empty_typeEbEEZZNS1_14partition_implILS5_1ELb0ES3_jN6thrust23THRUST_200600_302600_NS6detail15normal_iteratorINSA_10device_ptrIxEEEEPS6_NSA_18transform_iteratorI7is_evenIxESF_NSA_11use_defaultESK_EENS0_5tupleIJNSA_16discard_iteratorISK_EESO_EEENSM_IJSG_SG_EEES6_PlJS6_EEE10hipError_tPvRmT3_T4_T5_T6_T7_T9_mT8_P12ihipStream_tbDpT10_ENKUlT_T0_E_clISt17integral_constantIbLb0EES1B_EEDaS16_S17_EUlS16_E_NS1_11comp_targetILNS1_3genE9ELNS1_11target_archE1100ELNS1_3gpuE3ELNS1_3repE0EEENS1_30default_config_static_selectorELNS0_4arch9wavefront6targetE1EEEvT1_, .Lfunc_end3169-_ZN7rocprim17ROCPRIM_400000_NS6detail17trampoline_kernelINS0_14default_configENS1_25partition_config_selectorILNS1_17partition_subalgoE1ExNS0_10empty_typeEbEEZZNS1_14partition_implILS5_1ELb0ES3_jN6thrust23THRUST_200600_302600_NS6detail15normal_iteratorINSA_10device_ptrIxEEEEPS6_NSA_18transform_iteratorI7is_evenIxESF_NSA_11use_defaultESK_EENS0_5tupleIJNSA_16discard_iteratorISK_EESO_EEENSM_IJSG_SG_EEES6_PlJS6_EEE10hipError_tPvRmT3_T4_T5_T6_T7_T9_mT8_P12ihipStream_tbDpT10_ENKUlT_T0_E_clISt17integral_constantIbLb0EES1B_EEDaS16_S17_EUlS16_E_NS1_11comp_targetILNS1_3genE9ELNS1_11target_archE1100ELNS1_3gpuE3ELNS1_3repE0EEENS1_30default_config_static_selectorELNS0_4arch9wavefront6targetE1EEEvT1_
                                        ; -- End function
	.section	.AMDGPU.csdata,"",@progbits
; Kernel info:
; codeLenInByte = 0
; NumSgprs: 6
; NumVgprs: 0
; NumAgprs: 0
; TotalNumVgprs: 0
; ScratchSize: 0
; MemoryBound: 0
; FloatMode: 240
; IeeeMode: 1
; LDSByteSize: 0 bytes/workgroup (compile time only)
; SGPRBlocks: 0
; VGPRBlocks: 0
; NumSGPRsForWavesPerEU: 6
; NumVGPRsForWavesPerEU: 1
; AccumOffset: 4
; Occupancy: 8
; WaveLimiterHint : 0
; COMPUTE_PGM_RSRC2:SCRATCH_EN: 0
; COMPUTE_PGM_RSRC2:USER_SGPR: 2
; COMPUTE_PGM_RSRC2:TRAP_HANDLER: 0
; COMPUTE_PGM_RSRC2:TGID_X_EN: 1
; COMPUTE_PGM_RSRC2:TGID_Y_EN: 0
; COMPUTE_PGM_RSRC2:TGID_Z_EN: 0
; COMPUTE_PGM_RSRC2:TIDIG_COMP_CNT: 0
; COMPUTE_PGM_RSRC3_GFX90A:ACCUM_OFFSET: 0
; COMPUTE_PGM_RSRC3_GFX90A:TG_SPLIT: 0
	.section	.text._ZN7rocprim17ROCPRIM_400000_NS6detail17trampoline_kernelINS0_14default_configENS1_25partition_config_selectorILNS1_17partition_subalgoE1ExNS0_10empty_typeEbEEZZNS1_14partition_implILS5_1ELb0ES3_jN6thrust23THRUST_200600_302600_NS6detail15normal_iteratorINSA_10device_ptrIxEEEEPS6_NSA_18transform_iteratorI7is_evenIxESF_NSA_11use_defaultESK_EENS0_5tupleIJNSA_16discard_iteratorISK_EESO_EEENSM_IJSG_SG_EEES6_PlJS6_EEE10hipError_tPvRmT3_T4_T5_T6_T7_T9_mT8_P12ihipStream_tbDpT10_ENKUlT_T0_E_clISt17integral_constantIbLb0EES1B_EEDaS16_S17_EUlS16_E_NS1_11comp_targetILNS1_3genE8ELNS1_11target_archE1030ELNS1_3gpuE2ELNS1_3repE0EEENS1_30default_config_static_selectorELNS0_4arch9wavefront6targetE1EEEvT1_,"axG",@progbits,_ZN7rocprim17ROCPRIM_400000_NS6detail17trampoline_kernelINS0_14default_configENS1_25partition_config_selectorILNS1_17partition_subalgoE1ExNS0_10empty_typeEbEEZZNS1_14partition_implILS5_1ELb0ES3_jN6thrust23THRUST_200600_302600_NS6detail15normal_iteratorINSA_10device_ptrIxEEEEPS6_NSA_18transform_iteratorI7is_evenIxESF_NSA_11use_defaultESK_EENS0_5tupleIJNSA_16discard_iteratorISK_EESO_EEENSM_IJSG_SG_EEES6_PlJS6_EEE10hipError_tPvRmT3_T4_T5_T6_T7_T9_mT8_P12ihipStream_tbDpT10_ENKUlT_T0_E_clISt17integral_constantIbLb0EES1B_EEDaS16_S17_EUlS16_E_NS1_11comp_targetILNS1_3genE8ELNS1_11target_archE1030ELNS1_3gpuE2ELNS1_3repE0EEENS1_30default_config_static_selectorELNS0_4arch9wavefront6targetE1EEEvT1_,comdat
	.protected	_ZN7rocprim17ROCPRIM_400000_NS6detail17trampoline_kernelINS0_14default_configENS1_25partition_config_selectorILNS1_17partition_subalgoE1ExNS0_10empty_typeEbEEZZNS1_14partition_implILS5_1ELb0ES3_jN6thrust23THRUST_200600_302600_NS6detail15normal_iteratorINSA_10device_ptrIxEEEEPS6_NSA_18transform_iteratorI7is_evenIxESF_NSA_11use_defaultESK_EENS0_5tupleIJNSA_16discard_iteratorISK_EESO_EEENSM_IJSG_SG_EEES6_PlJS6_EEE10hipError_tPvRmT3_T4_T5_T6_T7_T9_mT8_P12ihipStream_tbDpT10_ENKUlT_T0_E_clISt17integral_constantIbLb0EES1B_EEDaS16_S17_EUlS16_E_NS1_11comp_targetILNS1_3genE8ELNS1_11target_archE1030ELNS1_3gpuE2ELNS1_3repE0EEENS1_30default_config_static_selectorELNS0_4arch9wavefront6targetE1EEEvT1_ ; -- Begin function _ZN7rocprim17ROCPRIM_400000_NS6detail17trampoline_kernelINS0_14default_configENS1_25partition_config_selectorILNS1_17partition_subalgoE1ExNS0_10empty_typeEbEEZZNS1_14partition_implILS5_1ELb0ES3_jN6thrust23THRUST_200600_302600_NS6detail15normal_iteratorINSA_10device_ptrIxEEEEPS6_NSA_18transform_iteratorI7is_evenIxESF_NSA_11use_defaultESK_EENS0_5tupleIJNSA_16discard_iteratorISK_EESO_EEENSM_IJSG_SG_EEES6_PlJS6_EEE10hipError_tPvRmT3_T4_T5_T6_T7_T9_mT8_P12ihipStream_tbDpT10_ENKUlT_T0_E_clISt17integral_constantIbLb0EES1B_EEDaS16_S17_EUlS16_E_NS1_11comp_targetILNS1_3genE8ELNS1_11target_archE1030ELNS1_3gpuE2ELNS1_3repE0EEENS1_30default_config_static_selectorELNS0_4arch9wavefront6targetE1EEEvT1_
	.globl	_ZN7rocprim17ROCPRIM_400000_NS6detail17trampoline_kernelINS0_14default_configENS1_25partition_config_selectorILNS1_17partition_subalgoE1ExNS0_10empty_typeEbEEZZNS1_14partition_implILS5_1ELb0ES3_jN6thrust23THRUST_200600_302600_NS6detail15normal_iteratorINSA_10device_ptrIxEEEEPS6_NSA_18transform_iteratorI7is_evenIxESF_NSA_11use_defaultESK_EENS0_5tupleIJNSA_16discard_iteratorISK_EESO_EEENSM_IJSG_SG_EEES6_PlJS6_EEE10hipError_tPvRmT3_T4_T5_T6_T7_T9_mT8_P12ihipStream_tbDpT10_ENKUlT_T0_E_clISt17integral_constantIbLb0EES1B_EEDaS16_S17_EUlS16_E_NS1_11comp_targetILNS1_3genE8ELNS1_11target_archE1030ELNS1_3gpuE2ELNS1_3repE0EEENS1_30default_config_static_selectorELNS0_4arch9wavefront6targetE1EEEvT1_
	.p2align	8
	.type	_ZN7rocprim17ROCPRIM_400000_NS6detail17trampoline_kernelINS0_14default_configENS1_25partition_config_selectorILNS1_17partition_subalgoE1ExNS0_10empty_typeEbEEZZNS1_14partition_implILS5_1ELb0ES3_jN6thrust23THRUST_200600_302600_NS6detail15normal_iteratorINSA_10device_ptrIxEEEEPS6_NSA_18transform_iteratorI7is_evenIxESF_NSA_11use_defaultESK_EENS0_5tupleIJNSA_16discard_iteratorISK_EESO_EEENSM_IJSG_SG_EEES6_PlJS6_EEE10hipError_tPvRmT3_T4_T5_T6_T7_T9_mT8_P12ihipStream_tbDpT10_ENKUlT_T0_E_clISt17integral_constantIbLb0EES1B_EEDaS16_S17_EUlS16_E_NS1_11comp_targetILNS1_3genE8ELNS1_11target_archE1030ELNS1_3gpuE2ELNS1_3repE0EEENS1_30default_config_static_selectorELNS0_4arch9wavefront6targetE1EEEvT1_,@function
_ZN7rocprim17ROCPRIM_400000_NS6detail17trampoline_kernelINS0_14default_configENS1_25partition_config_selectorILNS1_17partition_subalgoE1ExNS0_10empty_typeEbEEZZNS1_14partition_implILS5_1ELb0ES3_jN6thrust23THRUST_200600_302600_NS6detail15normal_iteratorINSA_10device_ptrIxEEEEPS6_NSA_18transform_iteratorI7is_evenIxESF_NSA_11use_defaultESK_EENS0_5tupleIJNSA_16discard_iteratorISK_EESO_EEENSM_IJSG_SG_EEES6_PlJS6_EEE10hipError_tPvRmT3_T4_T5_T6_T7_T9_mT8_P12ihipStream_tbDpT10_ENKUlT_T0_E_clISt17integral_constantIbLb0EES1B_EEDaS16_S17_EUlS16_E_NS1_11comp_targetILNS1_3genE8ELNS1_11target_archE1030ELNS1_3gpuE2ELNS1_3repE0EEENS1_30default_config_static_selectorELNS0_4arch9wavefront6targetE1EEEvT1_: ; @_ZN7rocprim17ROCPRIM_400000_NS6detail17trampoline_kernelINS0_14default_configENS1_25partition_config_selectorILNS1_17partition_subalgoE1ExNS0_10empty_typeEbEEZZNS1_14partition_implILS5_1ELb0ES3_jN6thrust23THRUST_200600_302600_NS6detail15normal_iteratorINSA_10device_ptrIxEEEEPS6_NSA_18transform_iteratorI7is_evenIxESF_NSA_11use_defaultESK_EENS0_5tupleIJNSA_16discard_iteratorISK_EESO_EEENSM_IJSG_SG_EEES6_PlJS6_EEE10hipError_tPvRmT3_T4_T5_T6_T7_T9_mT8_P12ihipStream_tbDpT10_ENKUlT_T0_E_clISt17integral_constantIbLb0EES1B_EEDaS16_S17_EUlS16_E_NS1_11comp_targetILNS1_3genE8ELNS1_11target_archE1030ELNS1_3gpuE2ELNS1_3repE0EEENS1_30default_config_static_selectorELNS0_4arch9wavefront6targetE1EEEvT1_
; %bb.0:
	.section	.rodata,"a",@progbits
	.p2align	6, 0x0
	.amdhsa_kernel _ZN7rocprim17ROCPRIM_400000_NS6detail17trampoline_kernelINS0_14default_configENS1_25partition_config_selectorILNS1_17partition_subalgoE1ExNS0_10empty_typeEbEEZZNS1_14partition_implILS5_1ELb0ES3_jN6thrust23THRUST_200600_302600_NS6detail15normal_iteratorINSA_10device_ptrIxEEEEPS6_NSA_18transform_iteratorI7is_evenIxESF_NSA_11use_defaultESK_EENS0_5tupleIJNSA_16discard_iteratorISK_EESO_EEENSM_IJSG_SG_EEES6_PlJS6_EEE10hipError_tPvRmT3_T4_T5_T6_T7_T9_mT8_P12ihipStream_tbDpT10_ENKUlT_T0_E_clISt17integral_constantIbLb0EES1B_EEDaS16_S17_EUlS16_E_NS1_11comp_targetILNS1_3genE8ELNS1_11target_archE1030ELNS1_3gpuE2ELNS1_3repE0EEENS1_30default_config_static_selectorELNS0_4arch9wavefront6targetE1EEEvT1_
		.amdhsa_group_segment_fixed_size 0
		.amdhsa_private_segment_fixed_size 0
		.amdhsa_kernarg_size 144
		.amdhsa_user_sgpr_count 2
		.amdhsa_user_sgpr_dispatch_ptr 0
		.amdhsa_user_sgpr_queue_ptr 0
		.amdhsa_user_sgpr_kernarg_segment_ptr 1
		.amdhsa_user_sgpr_dispatch_id 0
		.amdhsa_user_sgpr_kernarg_preload_length 0
		.amdhsa_user_sgpr_kernarg_preload_offset 0
		.amdhsa_user_sgpr_private_segment_size 0
		.amdhsa_uses_dynamic_stack 0
		.amdhsa_enable_private_segment 0
		.amdhsa_system_sgpr_workgroup_id_x 1
		.amdhsa_system_sgpr_workgroup_id_y 0
		.amdhsa_system_sgpr_workgroup_id_z 0
		.amdhsa_system_sgpr_workgroup_info 0
		.amdhsa_system_vgpr_workitem_id 0
		.amdhsa_next_free_vgpr 1
		.amdhsa_next_free_sgpr 0
		.amdhsa_accum_offset 4
		.amdhsa_reserve_vcc 0
		.amdhsa_float_round_mode_32 0
		.amdhsa_float_round_mode_16_64 0
		.amdhsa_float_denorm_mode_32 3
		.amdhsa_float_denorm_mode_16_64 3
		.amdhsa_dx10_clamp 1
		.amdhsa_ieee_mode 1
		.amdhsa_fp16_overflow 0
		.amdhsa_tg_split 0
		.amdhsa_exception_fp_ieee_invalid_op 0
		.amdhsa_exception_fp_denorm_src 0
		.amdhsa_exception_fp_ieee_div_zero 0
		.amdhsa_exception_fp_ieee_overflow 0
		.amdhsa_exception_fp_ieee_underflow 0
		.amdhsa_exception_fp_ieee_inexact 0
		.amdhsa_exception_int_div_zero 0
	.end_amdhsa_kernel
	.section	.text._ZN7rocprim17ROCPRIM_400000_NS6detail17trampoline_kernelINS0_14default_configENS1_25partition_config_selectorILNS1_17partition_subalgoE1ExNS0_10empty_typeEbEEZZNS1_14partition_implILS5_1ELb0ES3_jN6thrust23THRUST_200600_302600_NS6detail15normal_iteratorINSA_10device_ptrIxEEEEPS6_NSA_18transform_iteratorI7is_evenIxESF_NSA_11use_defaultESK_EENS0_5tupleIJNSA_16discard_iteratorISK_EESO_EEENSM_IJSG_SG_EEES6_PlJS6_EEE10hipError_tPvRmT3_T4_T5_T6_T7_T9_mT8_P12ihipStream_tbDpT10_ENKUlT_T0_E_clISt17integral_constantIbLb0EES1B_EEDaS16_S17_EUlS16_E_NS1_11comp_targetILNS1_3genE8ELNS1_11target_archE1030ELNS1_3gpuE2ELNS1_3repE0EEENS1_30default_config_static_selectorELNS0_4arch9wavefront6targetE1EEEvT1_,"axG",@progbits,_ZN7rocprim17ROCPRIM_400000_NS6detail17trampoline_kernelINS0_14default_configENS1_25partition_config_selectorILNS1_17partition_subalgoE1ExNS0_10empty_typeEbEEZZNS1_14partition_implILS5_1ELb0ES3_jN6thrust23THRUST_200600_302600_NS6detail15normal_iteratorINSA_10device_ptrIxEEEEPS6_NSA_18transform_iteratorI7is_evenIxESF_NSA_11use_defaultESK_EENS0_5tupleIJNSA_16discard_iteratorISK_EESO_EEENSM_IJSG_SG_EEES6_PlJS6_EEE10hipError_tPvRmT3_T4_T5_T6_T7_T9_mT8_P12ihipStream_tbDpT10_ENKUlT_T0_E_clISt17integral_constantIbLb0EES1B_EEDaS16_S17_EUlS16_E_NS1_11comp_targetILNS1_3genE8ELNS1_11target_archE1030ELNS1_3gpuE2ELNS1_3repE0EEENS1_30default_config_static_selectorELNS0_4arch9wavefront6targetE1EEEvT1_,comdat
.Lfunc_end3170:
	.size	_ZN7rocprim17ROCPRIM_400000_NS6detail17trampoline_kernelINS0_14default_configENS1_25partition_config_selectorILNS1_17partition_subalgoE1ExNS0_10empty_typeEbEEZZNS1_14partition_implILS5_1ELb0ES3_jN6thrust23THRUST_200600_302600_NS6detail15normal_iteratorINSA_10device_ptrIxEEEEPS6_NSA_18transform_iteratorI7is_evenIxESF_NSA_11use_defaultESK_EENS0_5tupleIJNSA_16discard_iteratorISK_EESO_EEENSM_IJSG_SG_EEES6_PlJS6_EEE10hipError_tPvRmT3_T4_T5_T6_T7_T9_mT8_P12ihipStream_tbDpT10_ENKUlT_T0_E_clISt17integral_constantIbLb0EES1B_EEDaS16_S17_EUlS16_E_NS1_11comp_targetILNS1_3genE8ELNS1_11target_archE1030ELNS1_3gpuE2ELNS1_3repE0EEENS1_30default_config_static_selectorELNS0_4arch9wavefront6targetE1EEEvT1_, .Lfunc_end3170-_ZN7rocprim17ROCPRIM_400000_NS6detail17trampoline_kernelINS0_14default_configENS1_25partition_config_selectorILNS1_17partition_subalgoE1ExNS0_10empty_typeEbEEZZNS1_14partition_implILS5_1ELb0ES3_jN6thrust23THRUST_200600_302600_NS6detail15normal_iteratorINSA_10device_ptrIxEEEEPS6_NSA_18transform_iteratorI7is_evenIxESF_NSA_11use_defaultESK_EENS0_5tupleIJNSA_16discard_iteratorISK_EESO_EEENSM_IJSG_SG_EEES6_PlJS6_EEE10hipError_tPvRmT3_T4_T5_T6_T7_T9_mT8_P12ihipStream_tbDpT10_ENKUlT_T0_E_clISt17integral_constantIbLb0EES1B_EEDaS16_S17_EUlS16_E_NS1_11comp_targetILNS1_3genE8ELNS1_11target_archE1030ELNS1_3gpuE2ELNS1_3repE0EEENS1_30default_config_static_selectorELNS0_4arch9wavefront6targetE1EEEvT1_
                                        ; -- End function
	.section	.AMDGPU.csdata,"",@progbits
; Kernel info:
; codeLenInByte = 0
; NumSgprs: 6
; NumVgprs: 0
; NumAgprs: 0
; TotalNumVgprs: 0
; ScratchSize: 0
; MemoryBound: 0
; FloatMode: 240
; IeeeMode: 1
; LDSByteSize: 0 bytes/workgroup (compile time only)
; SGPRBlocks: 0
; VGPRBlocks: 0
; NumSGPRsForWavesPerEU: 6
; NumVGPRsForWavesPerEU: 1
; AccumOffset: 4
; Occupancy: 8
; WaveLimiterHint : 0
; COMPUTE_PGM_RSRC2:SCRATCH_EN: 0
; COMPUTE_PGM_RSRC2:USER_SGPR: 2
; COMPUTE_PGM_RSRC2:TRAP_HANDLER: 0
; COMPUTE_PGM_RSRC2:TGID_X_EN: 1
; COMPUTE_PGM_RSRC2:TGID_Y_EN: 0
; COMPUTE_PGM_RSRC2:TGID_Z_EN: 0
; COMPUTE_PGM_RSRC2:TIDIG_COMP_CNT: 0
; COMPUTE_PGM_RSRC3_GFX90A:ACCUM_OFFSET: 0
; COMPUTE_PGM_RSRC3_GFX90A:TG_SPLIT: 0
	.section	.text._ZN7rocprim17ROCPRIM_400000_NS6detail17trampoline_kernelINS0_14default_configENS1_25partition_config_selectorILNS1_17partition_subalgoE1ExNS0_10empty_typeEbEEZZNS1_14partition_implILS5_1ELb0ES3_jN6thrust23THRUST_200600_302600_NS6detail15normal_iteratorINSA_10device_ptrIxEEEEPS6_NSA_18transform_iteratorI7is_evenIxESF_NSA_11use_defaultESK_EENS0_5tupleIJNSA_16discard_iteratorISK_EESO_EEENSM_IJSG_SG_EEES6_PlJS6_EEE10hipError_tPvRmT3_T4_T5_T6_T7_T9_mT8_P12ihipStream_tbDpT10_ENKUlT_T0_E_clISt17integral_constantIbLb1EES1B_EEDaS16_S17_EUlS16_E_NS1_11comp_targetILNS1_3genE0ELNS1_11target_archE4294967295ELNS1_3gpuE0ELNS1_3repE0EEENS1_30default_config_static_selectorELNS0_4arch9wavefront6targetE1EEEvT1_,"axG",@progbits,_ZN7rocprim17ROCPRIM_400000_NS6detail17trampoline_kernelINS0_14default_configENS1_25partition_config_selectorILNS1_17partition_subalgoE1ExNS0_10empty_typeEbEEZZNS1_14partition_implILS5_1ELb0ES3_jN6thrust23THRUST_200600_302600_NS6detail15normal_iteratorINSA_10device_ptrIxEEEEPS6_NSA_18transform_iteratorI7is_evenIxESF_NSA_11use_defaultESK_EENS0_5tupleIJNSA_16discard_iteratorISK_EESO_EEENSM_IJSG_SG_EEES6_PlJS6_EEE10hipError_tPvRmT3_T4_T5_T6_T7_T9_mT8_P12ihipStream_tbDpT10_ENKUlT_T0_E_clISt17integral_constantIbLb1EES1B_EEDaS16_S17_EUlS16_E_NS1_11comp_targetILNS1_3genE0ELNS1_11target_archE4294967295ELNS1_3gpuE0ELNS1_3repE0EEENS1_30default_config_static_selectorELNS0_4arch9wavefront6targetE1EEEvT1_,comdat
	.protected	_ZN7rocprim17ROCPRIM_400000_NS6detail17trampoline_kernelINS0_14default_configENS1_25partition_config_selectorILNS1_17partition_subalgoE1ExNS0_10empty_typeEbEEZZNS1_14partition_implILS5_1ELb0ES3_jN6thrust23THRUST_200600_302600_NS6detail15normal_iteratorINSA_10device_ptrIxEEEEPS6_NSA_18transform_iteratorI7is_evenIxESF_NSA_11use_defaultESK_EENS0_5tupleIJNSA_16discard_iteratorISK_EESO_EEENSM_IJSG_SG_EEES6_PlJS6_EEE10hipError_tPvRmT3_T4_T5_T6_T7_T9_mT8_P12ihipStream_tbDpT10_ENKUlT_T0_E_clISt17integral_constantIbLb1EES1B_EEDaS16_S17_EUlS16_E_NS1_11comp_targetILNS1_3genE0ELNS1_11target_archE4294967295ELNS1_3gpuE0ELNS1_3repE0EEENS1_30default_config_static_selectorELNS0_4arch9wavefront6targetE1EEEvT1_ ; -- Begin function _ZN7rocprim17ROCPRIM_400000_NS6detail17trampoline_kernelINS0_14default_configENS1_25partition_config_selectorILNS1_17partition_subalgoE1ExNS0_10empty_typeEbEEZZNS1_14partition_implILS5_1ELb0ES3_jN6thrust23THRUST_200600_302600_NS6detail15normal_iteratorINSA_10device_ptrIxEEEEPS6_NSA_18transform_iteratorI7is_evenIxESF_NSA_11use_defaultESK_EENS0_5tupleIJNSA_16discard_iteratorISK_EESO_EEENSM_IJSG_SG_EEES6_PlJS6_EEE10hipError_tPvRmT3_T4_T5_T6_T7_T9_mT8_P12ihipStream_tbDpT10_ENKUlT_T0_E_clISt17integral_constantIbLb1EES1B_EEDaS16_S17_EUlS16_E_NS1_11comp_targetILNS1_3genE0ELNS1_11target_archE4294967295ELNS1_3gpuE0ELNS1_3repE0EEENS1_30default_config_static_selectorELNS0_4arch9wavefront6targetE1EEEvT1_
	.globl	_ZN7rocprim17ROCPRIM_400000_NS6detail17trampoline_kernelINS0_14default_configENS1_25partition_config_selectorILNS1_17partition_subalgoE1ExNS0_10empty_typeEbEEZZNS1_14partition_implILS5_1ELb0ES3_jN6thrust23THRUST_200600_302600_NS6detail15normal_iteratorINSA_10device_ptrIxEEEEPS6_NSA_18transform_iteratorI7is_evenIxESF_NSA_11use_defaultESK_EENS0_5tupleIJNSA_16discard_iteratorISK_EESO_EEENSM_IJSG_SG_EEES6_PlJS6_EEE10hipError_tPvRmT3_T4_T5_T6_T7_T9_mT8_P12ihipStream_tbDpT10_ENKUlT_T0_E_clISt17integral_constantIbLb1EES1B_EEDaS16_S17_EUlS16_E_NS1_11comp_targetILNS1_3genE0ELNS1_11target_archE4294967295ELNS1_3gpuE0ELNS1_3repE0EEENS1_30default_config_static_selectorELNS0_4arch9wavefront6targetE1EEEvT1_
	.p2align	8
	.type	_ZN7rocprim17ROCPRIM_400000_NS6detail17trampoline_kernelINS0_14default_configENS1_25partition_config_selectorILNS1_17partition_subalgoE1ExNS0_10empty_typeEbEEZZNS1_14partition_implILS5_1ELb0ES3_jN6thrust23THRUST_200600_302600_NS6detail15normal_iteratorINSA_10device_ptrIxEEEEPS6_NSA_18transform_iteratorI7is_evenIxESF_NSA_11use_defaultESK_EENS0_5tupleIJNSA_16discard_iteratorISK_EESO_EEENSM_IJSG_SG_EEES6_PlJS6_EEE10hipError_tPvRmT3_T4_T5_T6_T7_T9_mT8_P12ihipStream_tbDpT10_ENKUlT_T0_E_clISt17integral_constantIbLb1EES1B_EEDaS16_S17_EUlS16_E_NS1_11comp_targetILNS1_3genE0ELNS1_11target_archE4294967295ELNS1_3gpuE0ELNS1_3repE0EEENS1_30default_config_static_selectorELNS0_4arch9wavefront6targetE1EEEvT1_,@function
_ZN7rocprim17ROCPRIM_400000_NS6detail17trampoline_kernelINS0_14default_configENS1_25partition_config_selectorILNS1_17partition_subalgoE1ExNS0_10empty_typeEbEEZZNS1_14partition_implILS5_1ELb0ES3_jN6thrust23THRUST_200600_302600_NS6detail15normal_iteratorINSA_10device_ptrIxEEEEPS6_NSA_18transform_iteratorI7is_evenIxESF_NSA_11use_defaultESK_EENS0_5tupleIJNSA_16discard_iteratorISK_EESO_EEENSM_IJSG_SG_EEES6_PlJS6_EEE10hipError_tPvRmT3_T4_T5_T6_T7_T9_mT8_P12ihipStream_tbDpT10_ENKUlT_T0_E_clISt17integral_constantIbLb1EES1B_EEDaS16_S17_EUlS16_E_NS1_11comp_targetILNS1_3genE0ELNS1_11target_archE4294967295ELNS1_3gpuE0ELNS1_3repE0EEENS1_30default_config_static_selectorELNS0_4arch9wavefront6targetE1EEEvT1_: ; @_ZN7rocprim17ROCPRIM_400000_NS6detail17trampoline_kernelINS0_14default_configENS1_25partition_config_selectorILNS1_17partition_subalgoE1ExNS0_10empty_typeEbEEZZNS1_14partition_implILS5_1ELb0ES3_jN6thrust23THRUST_200600_302600_NS6detail15normal_iteratorINSA_10device_ptrIxEEEEPS6_NSA_18transform_iteratorI7is_evenIxESF_NSA_11use_defaultESK_EENS0_5tupleIJNSA_16discard_iteratorISK_EESO_EEENSM_IJSG_SG_EEES6_PlJS6_EEE10hipError_tPvRmT3_T4_T5_T6_T7_T9_mT8_P12ihipStream_tbDpT10_ENKUlT_T0_E_clISt17integral_constantIbLb1EES1B_EEDaS16_S17_EUlS16_E_NS1_11comp_targetILNS1_3genE0ELNS1_11target_archE4294967295ELNS1_3gpuE0ELNS1_3repE0EEENS1_30default_config_static_selectorELNS0_4arch9wavefront6targetE1EEEvT1_
; %bb.0:
	.section	.rodata,"a",@progbits
	.p2align	6, 0x0
	.amdhsa_kernel _ZN7rocprim17ROCPRIM_400000_NS6detail17trampoline_kernelINS0_14default_configENS1_25partition_config_selectorILNS1_17partition_subalgoE1ExNS0_10empty_typeEbEEZZNS1_14partition_implILS5_1ELb0ES3_jN6thrust23THRUST_200600_302600_NS6detail15normal_iteratorINSA_10device_ptrIxEEEEPS6_NSA_18transform_iteratorI7is_evenIxESF_NSA_11use_defaultESK_EENS0_5tupleIJNSA_16discard_iteratorISK_EESO_EEENSM_IJSG_SG_EEES6_PlJS6_EEE10hipError_tPvRmT3_T4_T5_T6_T7_T9_mT8_P12ihipStream_tbDpT10_ENKUlT_T0_E_clISt17integral_constantIbLb1EES1B_EEDaS16_S17_EUlS16_E_NS1_11comp_targetILNS1_3genE0ELNS1_11target_archE4294967295ELNS1_3gpuE0ELNS1_3repE0EEENS1_30default_config_static_selectorELNS0_4arch9wavefront6targetE1EEEvT1_
		.amdhsa_group_segment_fixed_size 0
		.amdhsa_private_segment_fixed_size 0
		.amdhsa_kernarg_size 160
		.amdhsa_user_sgpr_count 2
		.amdhsa_user_sgpr_dispatch_ptr 0
		.amdhsa_user_sgpr_queue_ptr 0
		.amdhsa_user_sgpr_kernarg_segment_ptr 1
		.amdhsa_user_sgpr_dispatch_id 0
		.amdhsa_user_sgpr_kernarg_preload_length 0
		.amdhsa_user_sgpr_kernarg_preload_offset 0
		.amdhsa_user_sgpr_private_segment_size 0
		.amdhsa_uses_dynamic_stack 0
		.amdhsa_enable_private_segment 0
		.amdhsa_system_sgpr_workgroup_id_x 1
		.amdhsa_system_sgpr_workgroup_id_y 0
		.amdhsa_system_sgpr_workgroup_id_z 0
		.amdhsa_system_sgpr_workgroup_info 0
		.amdhsa_system_vgpr_workitem_id 0
		.amdhsa_next_free_vgpr 1
		.amdhsa_next_free_sgpr 0
		.amdhsa_accum_offset 4
		.amdhsa_reserve_vcc 0
		.amdhsa_float_round_mode_32 0
		.amdhsa_float_round_mode_16_64 0
		.amdhsa_float_denorm_mode_32 3
		.amdhsa_float_denorm_mode_16_64 3
		.amdhsa_dx10_clamp 1
		.amdhsa_ieee_mode 1
		.amdhsa_fp16_overflow 0
		.amdhsa_tg_split 0
		.amdhsa_exception_fp_ieee_invalid_op 0
		.amdhsa_exception_fp_denorm_src 0
		.amdhsa_exception_fp_ieee_div_zero 0
		.amdhsa_exception_fp_ieee_overflow 0
		.amdhsa_exception_fp_ieee_underflow 0
		.amdhsa_exception_fp_ieee_inexact 0
		.amdhsa_exception_int_div_zero 0
	.end_amdhsa_kernel
	.section	.text._ZN7rocprim17ROCPRIM_400000_NS6detail17trampoline_kernelINS0_14default_configENS1_25partition_config_selectorILNS1_17partition_subalgoE1ExNS0_10empty_typeEbEEZZNS1_14partition_implILS5_1ELb0ES3_jN6thrust23THRUST_200600_302600_NS6detail15normal_iteratorINSA_10device_ptrIxEEEEPS6_NSA_18transform_iteratorI7is_evenIxESF_NSA_11use_defaultESK_EENS0_5tupleIJNSA_16discard_iteratorISK_EESO_EEENSM_IJSG_SG_EEES6_PlJS6_EEE10hipError_tPvRmT3_T4_T5_T6_T7_T9_mT8_P12ihipStream_tbDpT10_ENKUlT_T0_E_clISt17integral_constantIbLb1EES1B_EEDaS16_S17_EUlS16_E_NS1_11comp_targetILNS1_3genE0ELNS1_11target_archE4294967295ELNS1_3gpuE0ELNS1_3repE0EEENS1_30default_config_static_selectorELNS0_4arch9wavefront6targetE1EEEvT1_,"axG",@progbits,_ZN7rocprim17ROCPRIM_400000_NS6detail17trampoline_kernelINS0_14default_configENS1_25partition_config_selectorILNS1_17partition_subalgoE1ExNS0_10empty_typeEbEEZZNS1_14partition_implILS5_1ELb0ES3_jN6thrust23THRUST_200600_302600_NS6detail15normal_iteratorINSA_10device_ptrIxEEEEPS6_NSA_18transform_iteratorI7is_evenIxESF_NSA_11use_defaultESK_EENS0_5tupleIJNSA_16discard_iteratorISK_EESO_EEENSM_IJSG_SG_EEES6_PlJS6_EEE10hipError_tPvRmT3_T4_T5_T6_T7_T9_mT8_P12ihipStream_tbDpT10_ENKUlT_T0_E_clISt17integral_constantIbLb1EES1B_EEDaS16_S17_EUlS16_E_NS1_11comp_targetILNS1_3genE0ELNS1_11target_archE4294967295ELNS1_3gpuE0ELNS1_3repE0EEENS1_30default_config_static_selectorELNS0_4arch9wavefront6targetE1EEEvT1_,comdat
.Lfunc_end3171:
	.size	_ZN7rocprim17ROCPRIM_400000_NS6detail17trampoline_kernelINS0_14default_configENS1_25partition_config_selectorILNS1_17partition_subalgoE1ExNS0_10empty_typeEbEEZZNS1_14partition_implILS5_1ELb0ES3_jN6thrust23THRUST_200600_302600_NS6detail15normal_iteratorINSA_10device_ptrIxEEEEPS6_NSA_18transform_iteratorI7is_evenIxESF_NSA_11use_defaultESK_EENS0_5tupleIJNSA_16discard_iteratorISK_EESO_EEENSM_IJSG_SG_EEES6_PlJS6_EEE10hipError_tPvRmT3_T4_T5_T6_T7_T9_mT8_P12ihipStream_tbDpT10_ENKUlT_T0_E_clISt17integral_constantIbLb1EES1B_EEDaS16_S17_EUlS16_E_NS1_11comp_targetILNS1_3genE0ELNS1_11target_archE4294967295ELNS1_3gpuE0ELNS1_3repE0EEENS1_30default_config_static_selectorELNS0_4arch9wavefront6targetE1EEEvT1_, .Lfunc_end3171-_ZN7rocprim17ROCPRIM_400000_NS6detail17trampoline_kernelINS0_14default_configENS1_25partition_config_selectorILNS1_17partition_subalgoE1ExNS0_10empty_typeEbEEZZNS1_14partition_implILS5_1ELb0ES3_jN6thrust23THRUST_200600_302600_NS6detail15normal_iteratorINSA_10device_ptrIxEEEEPS6_NSA_18transform_iteratorI7is_evenIxESF_NSA_11use_defaultESK_EENS0_5tupleIJNSA_16discard_iteratorISK_EESO_EEENSM_IJSG_SG_EEES6_PlJS6_EEE10hipError_tPvRmT3_T4_T5_T6_T7_T9_mT8_P12ihipStream_tbDpT10_ENKUlT_T0_E_clISt17integral_constantIbLb1EES1B_EEDaS16_S17_EUlS16_E_NS1_11comp_targetILNS1_3genE0ELNS1_11target_archE4294967295ELNS1_3gpuE0ELNS1_3repE0EEENS1_30default_config_static_selectorELNS0_4arch9wavefront6targetE1EEEvT1_
                                        ; -- End function
	.section	.AMDGPU.csdata,"",@progbits
; Kernel info:
; codeLenInByte = 0
; NumSgprs: 6
; NumVgprs: 0
; NumAgprs: 0
; TotalNumVgprs: 0
; ScratchSize: 0
; MemoryBound: 0
; FloatMode: 240
; IeeeMode: 1
; LDSByteSize: 0 bytes/workgroup (compile time only)
; SGPRBlocks: 0
; VGPRBlocks: 0
; NumSGPRsForWavesPerEU: 6
; NumVGPRsForWavesPerEU: 1
; AccumOffset: 4
; Occupancy: 8
; WaveLimiterHint : 0
; COMPUTE_PGM_RSRC2:SCRATCH_EN: 0
; COMPUTE_PGM_RSRC2:USER_SGPR: 2
; COMPUTE_PGM_RSRC2:TRAP_HANDLER: 0
; COMPUTE_PGM_RSRC2:TGID_X_EN: 1
; COMPUTE_PGM_RSRC2:TGID_Y_EN: 0
; COMPUTE_PGM_RSRC2:TGID_Z_EN: 0
; COMPUTE_PGM_RSRC2:TIDIG_COMP_CNT: 0
; COMPUTE_PGM_RSRC3_GFX90A:ACCUM_OFFSET: 0
; COMPUTE_PGM_RSRC3_GFX90A:TG_SPLIT: 0
	.section	.text._ZN7rocprim17ROCPRIM_400000_NS6detail17trampoline_kernelINS0_14default_configENS1_25partition_config_selectorILNS1_17partition_subalgoE1ExNS0_10empty_typeEbEEZZNS1_14partition_implILS5_1ELb0ES3_jN6thrust23THRUST_200600_302600_NS6detail15normal_iteratorINSA_10device_ptrIxEEEEPS6_NSA_18transform_iteratorI7is_evenIxESF_NSA_11use_defaultESK_EENS0_5tupleIJNSA_16discard_iteratorISK_EESO_EEENSM_IJSG_SG_EEES6_PlJS6_EEE10hipError_tPvRmT3_T4_T5_T6_T7_T9_mT8_P12ihipStream_tbDpT10_ENKUlT_T0_E_clISt17integral_constantIbLb1EES1B_EEDaS16_S17_EUlS16_E_NS1_11comp_targetILNS1_3genE5ELNS1_11target_archE942ELNS1_3gpuE9ELNS1_3repE0EEENS1_30default_config_static_selectorELNS0_4arch9wavefront6targetE1EEEvT1_,"axG",@progbits,_ZN7rocprim17ROCPRIM_400000_NS6detail17trampoline_kernelINS0_14default_configENS1_25partition_config_selectorILNS1_17partition_subalgoE1ExNS0_10empty_typeEbEEZZNS1_14partition_implILS5_1ELb0ES3_jN6thrust23THRUST_200600_302600_NS6detail15normal_iteratorINSA_10device_ptrIxEEEEPS6_NSA_18transform_iteratorI7is_evenIxESF_NSA_11use_defaultESK_EENS0_5tupleIJNSA_16discard_iteratorISK_EESO_EEENSM_IJSG_SG_EEES6_PlJS6_EEE10hipError_tPvRmT3_T4_T5_T6_T7_T9_mT8_P12ihipStream_tbDpT10_ENKUlT_T0_E_clISt17integral_constantIbLb1EES1B_EEDaS16_S17_EUlS16_E_NS1_11comp_targetILNS1_3genE5ELNS1_11target_archE942ELNS1_3gpuE9ELNS1_3repE0EEENS1_30default_config_static_selectorELNS0_4arch9wavefront6targetE1EEEvT1_,comdat
	.protected	_ZN7rocprim17ROCPRIM_400000_NS6detail17trampoline_kernelINS0_14default_configENS1_25partition_config_selectorILNS1_17partition_subalgoE1ExNS0_10empty_typeEbEEZZNS1_14partition_implILS5_1ELb0ES3_jN6thrust23THRUST_200600_302600_NS6detail15normal_iteratorINSA_10device_ptrIxEEEEPS6_NSA_18transform_iteratorI7is_evenIxESF_NSA_11use_defaultESK_EENS0_5tupleIJNSA_16discard_iteratorISK_EESO_EEENSM_IJSG_SG_EEES6_PlJS6_EEE10hipError_tPvRmT3_T4_T5_T6_T7_T9_mT8_P12ihipStream_tbDpT10_ENKUlT_T0_E_clISt17integral_constantIbLb1EES1B_EEDaS16_S17_EUlS16_E_NS1_11comp_targetILNS1_3genE5ELNS1_11target_archE942ELNS1_3gpuE9ELNS1_3repE0EEENS1_30default_config_static_selectorELNS0_4arch9wavefront6targetE1EEEvT1_ ; -- Begin function _ZN7rocprim17ROCPRIM_400000_NS6detail17trampoline_kernelINS0_14default_configENS1_25partition_config_selectorILNS1_17partition_subalgoE1ExNS0_10empty_typeEbEEZZNS1_14partition_implILS5_1ELb0ES3_jN6thrust23THRUST_200600_302600_NS6detail15normal_iteratorINSA_10device_ptrIxEEEEPS6_NSA_18transform_iteratorI7is_evenIxESF_NSA_11use_defaultESK_EENS0_5tupleIJNSA_16discard_iteratorISK_EESO_EEENSM_IJSG_SG_EEES6_PlJS6_EEE10hipError_tPvRmT3_T4_T5_T6_T7_T9_mT8_P12ihipStream_tbDpT10_ENKUlT_T0_E_clISt17integral_constantIbLb1EES1B_EEDaS16_S17_EUlS16_E_NS1_11comp_targetILNS1_3genE5ELNS1_11target_archE942ELNS1_3gpuE9ELNS1_3repE0EEENS1_30default_config_static_selectorELNS0_4arch9wavefront6targetE1EEEvT1_
	.globl	_ZN7rocprim17ROCPRIM_400000_NS6detail17trampoline_kernelINS0_14default_configENS1_25partition_config_selectorILNS1_17partition_subalgoE1ExNS0_10empty_typeEbEEZZNS1_14partition_implILS5_1ELb0ES3_jN6thrust23THRUST_200600_302600_NS6detail15normal_iteratorINSA_10device_ptrIxEEEEPS6_NSA_18transform_iteratorI7is_evenIxESF_NSA_11use_defaultESK_EENS0_5tupleIJNSA_16discard_iteratorISK_EESO_EEENSM_IJSG_SG_EEES6_PlJS6_EEE10hipError_tPvRmT3_T4_T5_T6_T7_T9_mT8_P12ihipStream_tbDpT10_ENKUlT_T0_E_clISt17integral_constantIbLb1EES1B_EEDaS16_S17_EUlS16_E_NS1_11comp_targetILNS1_3genE5ELNS1_11target_archE942ELNS1_3gpuE9ELNS1_3repE0EEENS1_30default_config_static_selectorELNS0_4arch9wavefront6targetE1EEEvT1_
	.p2align	8
	.type	_ZN7rocprim17ROCPRIM_400000_NS6detail17trampoline_kernelINS0_14default_configENS1_25partition_config_selectorILNS1_17partition_subalgoE1ExNS0_10empty_typeEbEEZZNS1_14partition_implILS5_1ELb0ES3_jN6thrust23THRUST_200600_302600_NS6detail15normal_iteratorINSA_10device_ptrIxEEEEPS6_NSA_18transform_iteratorI7is_evenIxESF_NSA_11use_defaultESK_EENS0_5tupleIJNSA_16discard_iteratorISK_EESO_EEENSM_IJSG_SG_EEES6_PlJS6_EEE10hipError_tPvRmT3_T4_T5_T6_T7_T9_mT8_P12ihipStream_tbDpT10_ENKUlT_T0_E_clISt17integral_constantIbLb1EES1B_EEDaS16_S17_EUlS16_E_NS1_11comp_targetILNS1_3genE5ELNS1_11target_archE942ELNS1_3gpuE9ELNS1_3repE0EEENS1_30default_config_static_selectorELNS0_4arch9wavefront6targetE1EEEvT1_,@function
_ZN7rocprim17ROCPRIM_400000_NS6detail17trampoline_kernelINS0_14default_configENS1_25partition_config_selectorILNS1_17partition_subalgoE1ExNS0_10empty_typeEbEEZZNS1_14partition_implILS5_1ELb0ES3_jN6thrust23THRUST_200600_302600_NS6detail15normal_iteratorINSA_10device_ptrIxEEEEPS6_NSA_18transform_iteratorI7is_evenIxESF_NSA_11use_defaultESK_EENS0_5tupleIJNSA_16discard_iteratorISK_EESO_EEENSM_IJSG_SG_EEES6_PlJS6_EEE10hipError_tPvRmT3_T4_T5_T6_T7_T9_mT8_P12ihipStream_tbDpT10_ENKUlT_T0_E_clISt17integral_constantIbLb1EES1B_EEDaS16_S17_EUlS16_E_NS1_11comp_targetILNS1_3genE5ELNS1_11target_archE942ELNS1_3gpuE9ELNS1_3repE0EEENS1_30default_config_static_selectorELNS0_4arch9wavefront6targetE1EEEvT1_: ; @_ZN7rocprim17ROCPRIM_400000_NS6detail17trampoline_kernelINS0_14default_configENS1_25partition_config_selectorILNS1_17partition_subalgoE1ExNS0_10empty_typeEbEEZZNS1_14partition_implILS5_1ELb0ES3_jN6thrust23THRUST_200600_302600_NS6detail15normal_iteratorINSA_10device_ptrIxEEEEPS6_NSA_18transform_iteratorI7is_evenIxESF_NSA_11use_defaultESK_EENS0_5tupleIJNSA_16discard_iteratorISK_EESO_EEENSM_IJSG_SG_EEES6_PlJS6_EEE10hipError_tPvRmT3_T4_T5_T6_T7_T9_mT8_P12ihipStream_tbDpT10_ENKUlT_T0_E_clISt17integral_constantIbLb1EES1B_EEDaS16_S17_EUlS16_E_NS1_11comp_targetILNS1_3genE5ELNS1_11target_archE942ELNS1_3gpuE9ELNS1_3repE0EEENS1_30default_config_static_selectorELNS0_4arch9wavefront6targetE1EEEvT1_
; %bb.0:
	s_load_dwordx2 s[2:3], s[0:1], 0x20
	s_load_dwordx4 s[20:23], s[0:1], 0x60
	s_load_dwordx2 s[10:11], s[0:1], 0x70
	s_load_dwordx2 s[24:25], s[0:1], 0x80
	v_cmp_eq_u32_e64 s[18:19], 0, v0
	s_and_saveexec_b64 s[4:5], s[18:19]
	s_cbranch_execz .LBB3172_4
; %bb.1:
	s_mov_b64 s[8:9], exec
	v_mbcnt_lo_u32_b32 v1, s8, 0
	v_mbcnt_hi_u32_b32 v1, s9, v1
	v_cmp_eq_u32_e32 vcc, 0, v1
                                        ; implicit-def: $vgpr2
	s_and_saveexec_b64 s[6:7], vcc
	s_cbranch_execz .LBB3172_3
; %bb.2:
	s_load_dwordx2 s[12:13], s[0:1], 0x90
	s_bcnt1_i32_b64 s8, s[8:9]
	v_mov_b32_e32 v2, 0
	v_mov_b32_e32 v3, s8
	s_waitcnt lgkmcnt(0)
	global_atomic_add v2, v2, v3, s[12:13] sc0
.LBB3172_3:
	s_or_b64 exec, exec, s[6:7]
	s_waitcnt vmcnt(0)
	v_readfirstlane_b32 s6, v2
	v_mov_b32_e32 v2, 0
	s_nop 0
	v_add_u32_e32 v1, s6, v1
	ds_write_b32 v2, v1
.LBB3172_4:
	s_or_b64 exec, exec, s[4:5]
	v_mov_b32_e32 v3, 0
	s_load_dwordx4 s[4:7], s[0:1], 0x8
	s_load_dword s12, s[0:1], 0x88
	s_waitcnt lgkmcnt(0)
	s_barrier
	ds_read_b32 v1, v3
	s_waitcnt lgkmcnt(0)
	s_barrier
	global_load_dwordx2 v[18:19], v3, s[22:23]
	s_lshl_b64 s[8:9], s[6:7], 3
	v_mov_b32_e32 v5, s11
	s_add_u32 s11, s4, s8
	s_mul_i32 s4, s12, 0xe00
	s_addc_u32 s13, s5, s9
	s_add_i32 s1, s4, s6
	s_sub_i32 s14, s10, s1
	s_add_i32 s15, s12, -1
	s_addk_i32 s14, 0xe00
	s_add_u32 s4, s6, s4
	v_readfirstlane_b32 s30, v1
	s_addc_u32 s5, s7, 0
	s_cmp_eq_u32 s30, s15
	v_mov_b32_e32 v4, s10
	s_cselect_b64 s[22:23], -1, 0
	s_cmp_lg_u32 s30, s15
	s_mul_i32 s0, s30, 0xe00
	s_mov_b32 s1, 0
	v_cmp_lt_u64_e32 vcc, s[4:5], v[4:5]
	s_cselect_b64 s[4:5], -1, 0
	s_or_b64 s[4:5], vcc, s[4:5]
	s_lshl_b64 s[6:7], s[0:1], 3
	s_add_u32 s10, s11, s6
	s_addc_u32 s11, s13, s7
	s_mov_b64 s[0:1], -1
	s_and_b64 vcc, exec, s[4:5]
	s_cbranch_vccz .LBB3172_6
; %bb.5:
	v_lshlrev_b32_e32 v2, 3, v0
	v_lshl_add_u64 v[4:5], s[10:11], 0, v[2:3]
	v_add_co_u32_e32 v6, vcc, 0x1000, v4
	s_mov_b64 s[0:1], 0
	s_nop 0
	v_addc_co_u32_e32 v7, vcc, 0, v5, vcc
	v_add_co_u32_e32 v8, vcc, 0x2000, v4
	s_nop 1
	v_addc_co_u32_e32 v9, vcc, 0, v5, vcc
	v_add_co_u32_e32 v10, vcc, 0x3000, v4
	s_nop 1
	v_addc_co_u32_e32 v11, vcc, 0, v5, vcc
	flat_load_dwordx2 v[12:13], v[4:5]
	flat_load_dwordx2 v[14:15], v[6:7]
	;; [unrolled: 1-line block ×4, first 2 shown]
	v_add_co_u32_e32 v6, vcc, 0x4000, v4
	s_nop 1
	v_addc_co_u32_e32 v7, vcc, 0, v5, vcc
	v_add_co_u32_e32 v8, vcc, 0x5000, v4
	s_nop 1
	v_addc_co_u32_e32 v9, vcc, 0, v5, vcc
	;; [unrolled: 3-line block ×3, first 2 shown]
	flat_load_dwordx2 v[10:11], v[6:7]
	flat_load_dwordx2 v[22:23], v[8:9]
	;; [unrolled: 1-line block ×3, first 2 shown]
	s_waitcnt vmcnt(0) lgkmcnt(0)
	ds_write2st64_b64 v2, v[12:13], v[14:15] offset1:8
	ds_write2st64_b64 v2, v[16:17], v[20:21] offset0:16 offset1:24
	ds_write2st64_b64 v2, v[10:11], v[22:23] offset0:32 offset1:40
	ds_write_b64 v2, v[24:25] offset:24576
	s_waitcnt lgkmcnt(0)
	s_barrier
.LBB3172_6:
	s_andn2_b64 vcc, exec, s[0:1]
	v_cmp_gt_u32_e64 s[0:1], s14, v0
	s_cbranch_vccnz .LBB3172_22
; %bb.7:
                                        ; implicit-def: $vgpr2_vgpr3_vgpr4_vgpr5_vgpr6_vgpr7_vgpr8_vgpr9_vgpr10_vgpr11_vgpr12_vgpr13_vgpr14_vgpr15_vgpr16_vgpr17
	s_and_saveexec_b64 s[12:13], s[0:1]
	s_cbranch_execz .LBB3172_9
; %bb.8:
	v_lshlrev_b32_e32 v2, 3, v0
	v_mov_b32_e32 v3, 0
	v_lshl_add_u64 v[2:3], s[10:11], 0, v[2:3]
	flat_load_dwordx2 v[2:3], v[2:3]
.LBB3172_9:
	s_or_b64 exec, exec, s[12:13]
	v_or_b32_e32 v1, 0x200, v0
	v_cmp_gt_u32_e32 vcc, s14, v1
	s_and_saveexec_b64 s[0:1], vcc
	s_cbranch_execz .LBB3172_11
; %bb.10:
	v_lshlrev_b32_e32 v4, 3, v1
	v_mov_b32_e32 v5, 0
	v_lshl_add_u64 v[4:5], s[10:11], 0, v[4:5]
	flat_load_dwordx2 v[4:5], v[4:5]
.LBB3172_11:
	s_or_b64 exec, exec, s[0:1]
	v_or_b32_e32 v1, 0x400, v0
	v_cmp_gt_u32_e32 vcc, s14, v1
	s_and_saveexec_b64 s[0:1], vcc
	;; [unrolled: 11-line block ×6, first 2 shown]
	s_cbranch_execz .LBB3172_21
; %bb.20:
	v_lshlrev_b32_e32 v14, 3, v1
	v_mov_b32_e32 v15, 0
	v_lshl_add_u64 v[14:15], s[10:11], 0, v[14:15]
	flat_load_dwordx2 v[14:15], v[14:15]
.LBB3172_21:
	s_or_b64 exec, exec, s[0:1]
	v_lshlrev_b32_e32 v1, 3, v0
	s_waitcnt vmcnt(0) lgkmcnt(0)
	ds_write2st64_b64 v1, v[2:3], v[4:5] offset1:8
	ds_write2st64_b64 v1, v[6:7], v[8:9] offset0:16 offset1:24
	ds_write2st64_b64 v1, v[10:11], v[12:13] offset0:32 offset1:40
	ds_write_b64 v1, v[14:15] offset:24576
	s_waitcnt lgkmcnt(0)
	s_barrier
.LBB3172_22:
	v_mul_u32_u24_e32 v1, 7, v0
	v_lshlrev_b32_e32 v16, 3, v1
	ds_read2_b64 v[10:13], v16 offset1:1
	ds_read2_b64 v[6:9], v16 offset0:2 offset1:3
	ds_read2_b64 v[2:5], v16 offset0:4 offset1:5
	ds_read_b64 v[14:15], v16 offset:48
	s_add_u32 s0, s2, s8
	s_addc_u32 s1, s3, s9
	s_add_u32 s0, s0, s6
	s_addc_u32 s1, s1, s7
	s_mov_b64 s[2:3], -1
	s_and_b64 vcc, exec, s[4:5]
	s_waitcnt lgkmcnt(0)
	s_barrier
	s_cbranch_vccz .LBB3172_24
; %bb.23:
	v_lshlrev_b32_e32 v20, 3, v0
	v_mov_b32_e32 v21, 0
	v_lshl_add_u64 v[22:23], s[0:1], 0, v[20:21]
	v_add_co_u32_e32 v24, vcc, 0x1000, v22
	global_load_dwordx2 v[20:21], v20, s[0:1]
	s_nop 0
	v_addc_co_u32_e32 v25, vcc, 0, v23, vcc
	v_add_co_u32_e32 v26, vcc, 0x2000, v22
	s_mov_b64 s[2:3], 0
	s_nop 0
	v_addc_co_u32_e32 v27, vcc, 0, v23, vcc
	v_add_co_u32_e32 v28, vcc, 0x3000, v22
	s_waitcnt vmcnt(0)
	v_xor_b32_e32 v17, -1, v20
	v_addc_co_u32_e32 v29, vcc, 0, v23, vcc
	v_add_co_u32_e32 v30, vcc, 0x4000, v22
	v_and_b32_e32 v17, 1, v17
	s_nop 0
	v_addc_co_u32_e32 v31, vcc, 0, v23, vcc
	global_load_dwordx2 v[32:33], v[24:25], off
	global_load_dwordx2 v[34:35], v[26:27], off
	;; [unrolled: 1-line block ×4, first 2 shown]
	v_add_co_u32_e32 v24, vcc, 0x5000, v22
	ds_write_b8 v0, v17
	s_nop 0
	v_addc_co_u32_e32 v25, vcc, 0, v23, vcc
	v_add_co_u32_e32 v22, vcc, 0x6000, v22
	global_load_dwordx2 v[24:25], v[24:25], off
	s_nop 0
	v_addc_co_u32_e32 v23, vcc, 0, v23, vcc
	global_load_dwordx2 v[22:23], v[22:23], off
	s_waitcnt vmcnt(5)
	v_xor_b32_e32 v17, -1, v32
	v_and_b32_e32 v17, 1, v17
	s_waitcnt vmcnt(4)
	v_xor_b32_e32 v20, -1, v34
	s_waitcnt vmcnt(3)
	v_xor_b32_e32 v21, -1, v36
	v_and_b32_e32 v20, 1, v20
	ds_write_b8 v0, v17 offset:512
	v_and_b32_e32 v17, 1, v21
	s_waitcnt vmcnt(2)
	v_xor_b32_e32 v21, -1, v38
	ds_write_b8 v0, v20 offset:1024
	v_and_b32_e32 v20, 1, v21
	ds_write_b8 v0, v17 offset:1536
	s_waitcnt vmcnt(1)
	v_xor_b32_e32 v21, -1, v24
	v_and_b32_e32 v17, 1, v21
	ds_write_b8 v0, v20 offset:2048
	s_waitcnt vmcnt(0)
	v_xor_b32_e32 v21, -1, v22
	v_and_b32_e32 v20, 1, v21
	ds_write_b8 v0, v17 offset:2560
	ds_write_b8 v0, v20 offset:3072
	s_waitcnt lgkmcnt(0)
	s_barrier
.LBB3172_24:
	s_andn2_b64 vcc, exec, s[2:3]
	s_cbranch_vccnz .LBB3172_40
; %bb.25:
	v_cmp_gt_u32_e32 vcc, s14, v0
	v_mov_b32_e32 v17, 0
	v_mov_b32_e32 v20, 0
	s_and_saveexec_b64 s[2:3], vcc
	s_cbranch_execz .LBB3172_27
; %bb.26:
	v_lshlrev_b32_e32 v20, 3, v0
	global_load_dwordx2 v[20:21], v20, s[0:1]
	s_waitcnt vmcnt(0)
	v_xor_b32_e32 v20, -1, v20
	v_and_b32_e32 v20, 1, v20
.LBB3172_27:
	s_or_b64 exec, exec, s[2:3]
	v_or_b32_e32 v21, 0x200, v0
	v_cmp_gt_u32_e32 vcc, s14, v21
	s_and_saveexec_b64 s[2:3], vcc
	s_cbranch_execz .LBB3172_29
; %bb.28:
	v_lshlrev_b32_e32 v17, 3, v21
	global_load_dwordx2 v[22:23], v17, s[0:1]
	s_waitcnt vmcnt(0)
	v_xor_b32_e32 v17, -1, v22
	v_and_b32_e32 v17, 1, v17
.LBB3172_29:
	s_or_b64 exec, exec, s[2:3]
	v_or_b32_e32 v23, 0x400, v0
	v_cmp_gt_u32_e32 vcc, s14, v23
	v_mov_b32_e32 v21, 0
	v_mov_b32_e32 v22, 0
	s_and_saveexec_b64 s[2:3], vcc
	s_cbranch_execz .LBB3172_31
; %bb.30:
	v_lshlrev_b32_e32 v22, 3, v23
	global_load_dwordx2 v[22:23], v22, s[0:1]
	s_waitcnt vmcnt(0)
	v_xor_b32_e32 v22, -1, v22
	v_and_b32_e32 v22, 1, v22
.LBB3172_31:
	s_or_b64 exec, exec, s[2:3]
	v_or_b32_e32 v23, 0x600, v0
	v_cmp_gt_u32_e32 vcc, s14, v23
	s_and_saveexec_b64 s[2:3], vcc
	s_cbranch_execz .LBB3172_33
; %bb.32:
	v_lshlrev_b32_e32 v21, 3, v23
	global_load_dwordx2 v[24:25], v21, s[0:1]
	s_waitcnt vmcnt(0)
	v_xor_b32_e32 v21, -1, v24
	v_and_b32_e32 v21, 1, v21
.LBB3172_33:
	s_or_b64 exec, exec, s[2:3]
	v_or_b32_e32 v25, 0x800, v0
	;; [unrolled: 26-line block ×3, first 2 shown]
	v_cmp_gt_u32_e32 vcc, s14, v26
	v_mov_b32_e32 v25, 0
	s_and_saveexec_b64 s[2:3], vcc
	s_cbranch_execz .LBB3172_39
; %bb.38:
	v_lshlrev_b32_e32 v25, 3, v26
	global_load_dwordx2 v[26:27], v25, s[0:1]
	s_waitcnt vmcnt(0)
	v_xor_b32_e32 v25, -1, v26
	v_and_b32_e32 v25, 1, v25
.LBB3172_39:
	s_or_b64 exec, exec, s[2:3]
	ds_write_b8 v0, v20
	ds_write_b8 v0, v17 offset:512
	ds_write_b8 v0, v22 offset:1024
	;; [unrolled: 1-line block ×6, first 2 shown]
	s_waitcnt lgkmcnt(0)
	s_barrier
.LBB3172_40:
	s_movk_i32 s0, 0xffcf
	v_mad_i32_i24 v36, v0, s0, v16
	ds_read_u8 v16, v36
	ds_read_u8 v17, v36 offset:1
	ds_read_u8 v20, v36 offset:2
	;; [unrolled: 1-line block ×6, first 2 shown]
	s_waitcnt lgkmcnt(6)
	v_and_b32_e32 v34, 1, v16
	s_waitcnt lgkmcnt(5)
	v_and_b32_e32 v33, 1, v17
	;; [unrolled: 2-line block ×5, first 2 shown]
	v_add3_u32 v16, v33, v34, v32
	s_waitcnt lgkmcnt(1)
	v_and_b32_e32 v29, 1, v23
	s_waitcnt lgkmcnt(0)
	v_and_b32_e32 v28, 1, v24
	v_add3_u32 v16, v16, v31, v30
	v_add3_u32 v38, v16, v29, v28
	v_mbcnt_lo_u32_b32 v16, -1, 0
	v_mbcnt_hi_u32_b32 v35, -1, v16
	v_and_b32_e32 v16, 15, v35
	v_cmp_eq_u32_e64 s[14:15], 0, v16
	v_cmp_lt_u32_e64 s[12:13], 1, v16
	v_cmp_lt_u32_e64 s[10:11], 3, v16
	;; [unrolled: 1-line block ×3, first 2 shown]
	v_and_b32_e32 v16, 16, v35
	v_cmp_eq_u32_e64 s[6:7], 0, v16
	v_or_b32_e32 v16, 63, v0
	s_cmp_lg_u32 s30, 0
	v_cmp_lt_u32_e64 s[2:3], 31, v35
	v_lshrrev_b32_e32 v37, 6, v0
	v_cmp_eq_u32_e64 s[4:5], v16, v0
	s_barrier
	s_cbranch_scc0 .LBB3172_71
; %bb.41:
	v_mov_b32_dpp v16, v38 row_shr:1 row_mask:0xf bank_mask:0xf
	v_cndmask_b32_e64 v16, v16, 0, s[14:15]
	v_add_u32_e32 v16, v16, v38
	s_nop 1
	v_mov_b32_dpp v17, v16 row_shr:2 row_mask:0xf bank_mask:0xf
	v_cndmask_b32_e64 v17, 0, v17, s[12:13]
	v_add_u32_e32 v16, v16, v17
	s_nop 1
	;; [unrolled: 4-line block ×4, first 2 shown]
	v_mov_b32_dpp v17, v16 row_bcast:15 row_mask:0xf bank_mask:0xf
	v_cndmask_b32_e64 v17, v17, 0, s[6:7]
	v_add_u32_e32 v16, v16, v17
	s_nop 1
	v_mov_b32_dpp v17, v16 row_bcast:31 row_mask:0xf bank_mask:0xf
	v_cndmask_b32_e64 v17, 0, v17, s[2:3]
	v_add_u32_e32 v16, v16, v17
	s_and_saveexec_b64 s[0:1], s[4:5]
	s_cbranch_execz .LBB3172_43
; %bb.42:
	v_lshlrev_b32_e32 v17, 2, v37
	ds_write_b32 v17, v16
.LBB3172_43:
	s_or_b64 exec, exec, s[0:1]
	v_cmp_gt_u32_e32 vcc, 8, v0
	s_waitcnt lgkmcnt(0)
	s_barrier
	s_and_saveexec_b64 s[0:1], vcc
	s_cbranch_execz .LBB3172_45
; %bb.44:
	v_lshlrev_b32_e32 v17, 2, v0
	ds_read_b32 v20, v17
	v_and_b32_e32 v21, 7, v35
	v_cmp_ne_u32_e32 vcc, 0, v21
	s_waitcnt lgkmcnt(0)
	v_mov_b32_dpp v22, v20 row_shr:1 row_mask:0xf bank_mask:0xf
	v_cndmask_b32_e32 v22, 0, v22, vcc
	v_add_u32_e32 v20, v22, v20
	v_cmp_lt_u32_e32 vcc, 1, v21
	s_nop 0
	v_mov_b32_dpp v22, v20 row_shr:2 row_mask:0xf bank_mask:0xf
	v_cndmask_b32_e32 v22, 0, v22, vcc
	v_add_u32_e32 v20, v20, v22
	v_cmp_lt_u32_e32 vcc, 3, v21
	s_nop 0
	v_mov_b32_dpp v22, v20 row_shr:4 row_mask:0xf bank_mask:0xf
	v_cndmask_b32_e32 v21, 0, v22, vcc
	v_add_u32_e32 v20, v20, v21
	ds_write_b32 v17, v20
.LBB3172_45:
	s_or_b64 exec, exec, s[0:1]
	v_cmp_gt_u32_e32 vcc, 64, v0
	v_cmp_lt_u32_e64 s[0:1], 63, v0
	s_waitcnt lgkmcnt(0)
	s_barrier
	s_waitcnt lgkmcnt(0)
                                        ; implicit-def: $vgpr39
	s_and_saveexec_b64 s[16:17], s[0:1]
	s_cbranch_execz .LBB3172_47
; %bb.46:
	v_lshl_add_u32 v17, v37, 2, -4
	ds_read_b32 v39, v17
	s_waitcnt lgkmcnt(0)
	v_add_u32_e32 v16, v39, v16
.LBB3172_47:
	s_or_b64 exec, exec, s[16:17]
	v_add_u32_e32 v17, -1, v35
	v_and_b32_e32 v20, 64, v35
	v_cmp_lt_i32_e64 s[0:1], v17, v20
	v_cmp_eq_u32_e64 s[16:17], 0, v35
	s_nop 0
	v_cndmask_b32_e64 v17, v17, v35, s[0:1]
	v_lshlrev_b32_e32 v17, 2, v17
	ds_bpermute_b32 v40, v17, v16
	s_and_saveexec_b64 s[0:1], vcc
	s_cbranch_execz .LBB3172_70
; %bb.48:
	v_mov_b32_e32 v27, 0
	ds_read_b32 v16, v27 offset:28
	s_and_saveexec_b64 s[26:27], s[16:17]
	s_cbranch_execz .LBB3172_50
; %bb.49:
	s_add_i32 s28, s30, 64
	s_mov_b32 s29, 0
	s_lshl_b64 s[28:29], s[28:29], 3
	s_add_u32 s28, s24, s28
	v_mov_b32_e32 v17, 1
	s_addc_u32 s29, s25, s29
	s_waitcnt lgkmcnt(0)
	global_store_dwordx2 v27, v[16:17], s[28:29] sc1
.LBB3172_50:
	s_or_b64 exec, exec, s[26:27]
	v_xad_u32 v20, v35, -1, s30
	v_add_u32_e32 v26, 64, v20
	v_lshl_add_u64 v[22:23], v[26:27], 3, s[24:25]
	global_load_dwordx2 v[24:25], v[22:23], off sc1
	s_waitcnt vmcnt(0)
	v_cmp_eq_u16_sdwa s[28:29], v25, v27 src0_sel:BYTE_0 src1_sel:DWORD
	s_and_saveexec_b64 s[26:27], s[28:29]
	s_cbranch_execz .LBB3172_56
; %bb.51:
	s_mov_b32 s31, 1
	s_mov_b64 s[28:29], 0
	v_mov_b32_e32 v17, 0
.LBB3172_52:                            ; =>This Loop Header: Depth=1
                                        ;     Child Loop BB3172_53 Depth 2
	s_max_u32 s33, s31, 1
.LBB3172_53:                            ;   Parent Loop BB3172_52 Depth=1
                                        ; =>  This Inner Loop Header: Depth=2
	s_add_i32 s33, s33, -1
	s_cmp_eq_u32 s33, 0
	s_sleep 1
	s_cbranch_scc0 .LBB3172_53
; %bb.54:                               ;   in Loop: Header=BB3172_52 Depth=1
	global_load_dwordx2 v[24:25], v[22:23], off sc1
	s_cmp_lt_u32 s31, 32
	s_cselect_b64 s[34:35], -1, 0
	s_cmp_lg_u64 s[34:35], 0
	s_addc_u32 s31, s31, 0
	s_waitcnt vmcnt(0)
	v_cmp_ne_u16_sdwa s[34:35], v25, v17 src0_sel:BYTE_0 src1_sel:DWORD
	s_or_b64 s[28:29], s[34:35], s[28:29]
	s_andn2_b64 exec, exec, s[28:29]
	s_cbranch_execnz .LBB3172_52
; %bb.55:
	s_or_b64 exec, exec, s[28:29]
.LBB3172_56:
	s_or_b64 exec, exec, s[26:27]
	v_and_b32_e32 v42, 63, v35
	v_mov_b32_e32 v41, 2
	v_cmp_ne_u32_e32 vcc, 63, v42
	v_cmp_eq_u16_sdwa s[26:27], v25, v41 src0_sel:BYTE_0 src1_sel:DWORD
	v_lshlrev_b64 v[22:23], v35, -1
	v_addc_co_u32_e32 v26, vcc, 0, v35, vcc
	v_and_b32_e32 v17, s27, v23
	v_lshlrev_b32_e32 v43, 2, v26
	v_or_b32_e32 v17, 0x80000000, v17
	ds_bpermute_b32 v26, v43, v24
	v_and_b32_e32 v21, s26, v22
	v_ffbl_b32_e32 v17, v17
	v_add_u32_e32 v17, 32, v17
	v_ffbl_b32_e32 v21, v21
	v_min_u32_e32 v17, v21, v17
	v_cmp_lt_u32_e32 vcc, v42, v17
	v_add_u32_e32 v45, 2, v42
	v_add_u32_e32 v47, 4, v42
	s_waitcnt lgkmcnt(0)
	v_cndmask_b32_e32 v21, 0, v26, vcc
	v_cmp_gt_u32_e32 vcc, 62, v42
	v_add_u32_e32 v21, v21, v24
	v_add_u32_e32 v49, 8, v42
	v_cndmask_b32_e64 v24, 0, 1, vcc
	v_lshlrev_b32_e32 v24, 1, v24
	v_add_lshl_u32 v44, v24, v35, 2
	ds_bpermute_b32 v24, v44, v21
	v_cmp_le_u32_e32 vcc, v45, v17
	v_add_u32_e32 v51, 16, v42
	v_add_u32_e32 v53, 32, v42
	s_waitcnt lgkmcnt(0)
	v_cndmask_b32_e32 v24, 0, v24, vcc
	v_cmp_gt_u32_e32 vcc, 60, v42
	v_add_u32_e32 v21, v21, v24
	s_nop 0
	v_cndmask_b32_e64 v24, 0, 1, vcc
	v_lshlrev_b32_e32 v24, 2, v24
	v_add_lshl_u32 v46, v24, v35, 2
	ds_bpermute_b32 v24, v46, v21
	v_cmp_le_u32_e32 vcc, v47, v17
	s_waitcnt lgkmcnt(0)
	s_nop 0
	v_cndmask_b32_e32 v24, 0, v24, vcc
	v_cmp_gt_u32_e32 vcc, 56, v42
	v_add_u32_e32 v21, v21, v24
	s_nop 0
	v_cndmask_b32_e64 v24, 0, 1, vcc
	v_lshlrev_b32_e32 v24, 3, v24
	v_add_lshl_u32 v48, v24, v35, 2
	ds_bpermute_b32 v24, v48, v21
	v_cmp_le_u32_e32 vcc, v49, v17
	s_waitcnt lgkmcnt(0)
	s_nop 0
	;; [unrolled: 11-line block ×4, first 2 shown]
	v_cndmask_b32_e32 v17, 0, v24, vcc
	v_add_u32_e32 v24, v21, v17
	v_mov_b32_e32 v21, 0
	s_branch .LBB3172_58
.LBB3172_57:                            ;   in Loop: Header=BB3172_58 Depth=1
	s_or_b64 exec, exec, s[26:27]
	v_cmp_eq_u16_sdwa s[26:27], v25, v41 src0_sel:BYTE_0 src1_sel:DWORD
	ds_bpermute_b32 v54, v43, v24
	v_subrev_u32_e32 v20, 64, v20
	v_and_b32_e32 v26, s27, v23
	v_or_b32_e32 v26, 0x80000000, v26
	v_and_b32_e32 v27, s26, v22
	v_ffbl_b32_e32 v26, v26
	v_add_u32_e32 v26, 32, v26
	v_ffbl_b32_e32 v27, v27
	v_min_u32_e32 v26, v27, v26
	v_cmp_lt_u32_e32 vcc, v42, v26
	s_waitcnt lgkmcnt(0)
	s_nop 0
	v_cndmask_b32_e32 v27, 0, v54, vcc
	v_add_u32_e32 v24, v27, v24
	ds_bpermute_b32 v27, v44, v24
	v_cmp_le_u32_e32 vcc, v45, v26
	s_waitcnt lgkmcnt(0)
	s_nop 0
	v_cndmask_b32_e32 v27, 0, v27, vcc
	v_add_u32_e32 v24, v24, v27
	ds_bpermute_b32 v27, v46, v24
	v_cmp_le_u32_e32 vcc, v47, v26
	;; [unrolled: 6-line block ×5, first 2 shown]
	s_waitcnt lgkmcnt(0)
	s_nop 0
	v_cndmask_b32_e32 v26, 0, v27, vcc
	v_add3_u32 v24, v26, v17, v24
.LBB3172_58:                            ; =>This Loop Header: Depth=1
                                        ;     Child Loop BB3172_61 Depth 2
                                        ;       Child Loop BB3172_62 Depth 3
	v_cmp_ne_u16_sdwa s[26:27], v25, v41 src0_sel:BYTE_0 src1_sel:DWORD
	s_nop 1
	v_cndmask_b32_e64 v17, 0, 1, s[26:27]
	;;#ASMSTART
	;;#ASMEND
	s_nop 0
	v_cmp_ne_u32_e32 vcc, 0, v17
	s_cmp_lg_u64 vcc, exec
	v_mov_b32_e32 v17, v24
	s_cbranch_scc1 .LBB3172_65
; %bb.59:                               ;   in Loop: Header=BB3172_58 Depth=1
	v_lshl_add_u64 v[26:27], v[20:21], 3, s[24:25]
	global_load_dwordx2 v[24:25], v[26:27], off sc1
	s_waitcnt vmcnt(0)
	v_cmp_eq_u16_sdwa s[28:29], v25, v21 src0_sel:BYTE_0 src1_sel:DWORD
	s_and_saveexec_b64 s[26:27], s[28:29]
	s_cbranch_execz .LBB3172_57
; %bb.60:                               ;   in Loop: Header=BB3172_58 Depth=1
	s_mov_b32 s31, 1
	s_mov_b64 s[28:29], 0
.LBB3172_61:                            ;   Parent Loop BB3172_58 Depth=1
                                        ; =>  This Loop Header: Depth=2
                                        ;       Child Loop BB3172_62 Depth 3
	s_max_u32 s33, s31, 1
.LBB3172_62:                            ;   Parent Loop BB3172_58 Depth=1
                                        ;     Parent Loop BB3172_61 Depth=2
                                        ; =>    This Inner Loop Header: Depth=3
	s_add_i32 s33, s33, -1
	s_cmp_eq_u32 s33, 0
	s_sleep 1
	s_cbranch_scc0 .LBB3172_62
; %bb.63:                               ;   in Loop: Header=BB3172_61 Depth=2
	global_load_dwordx2 v[24:25], v[26:27], off sc1
	s_cmp_lt_u32 s31, 32
	s_cselect_b64 s[34:35], -1, 0
	s_cmp_lg_u64 s[34:35], 0
	s_addc_u32 s31, s31, 0
	s_waitcnt vmcnt(0)
	v_cmp_ne_u16_sdwa s[34:35], v25, v21 src0_sel:BYTE_0 src1_sel:DWORD
	s_or_b64 s[28:29], s[34:35], s[28:29]
	s_andn2_b64 exec, exec, s[28:29]
	s_cbranch_execnz .LBB3172_61
; %bb.64:                               ;   in Loop: Header=BB3172_58 Depth=1
	s_or_b64 exec, exec, s[28:29]
	s_branch .LBB3172_57
.LBB3172_65:                            ;   in Loop: Header=BB3172_58 Depth=1
                                        ; implicit-def: $vgpr24
                                        ; implicit-def: $vgpr25
	s_cbranch_execz .LBB3172_58
; %bb.66:
	s_and_saveexec_b64 s[26:27], s[16:17]
	s_cbranch_execz .LBB3172_68
; %bb.67:
	s_add_i32 s28, s30, 64
	s_mov_b32 s29, 0
	s_lshl_b64 s[28:29], s[28:29], 3
	s_add_u32 s28, s24, s28
	v_add_u32_e32 v20, v17, v16
	v_mov_b32_e32 v21, 2
	s_addc_u32 s29, s25, s29
	v_mov_b32_e32 v22, 0
	global_store_dwordx2 v22, v[20:21], s[28:29] sc1
	ds_write_b64 v22, v[16:17] offset:28672
.LBB3172_68:
	s_or_b64 exec, exec, s[26:27]
	s_and_b64 exec, exec, s[18:19]
	s_cbranch_execz .LBB3172_70
; %bb.69:
	v_mov_b32_e32 v16, 0
	ds_write_b32 v16, v17 offset:28
.LBB3172_70:
	s_or_b64 exec, exec, s[0:1]
	v_mov_b32_e32 v16, 0
	s_waitcnt lgkmcnt(0)
	s_barrier
	ds_read_b32 v17, v16 offset:28
	v_cndmask_b32_e64 v20, v40, v39, s[16:17]
	v_cndmask_b32_e64 v20, v20, 0, s[18:19]
	s_waitcnt lgkmcnt(0)
	s_barrier
	v_add_u32_e32 v26, v17, v20
	v_add_u32_e32 v25, v26, v34
	;; [unrolled: 1-line block ×3, first 2 shown]
	ds_read_b64 v[16:17], v16 offset:28672
	v_add_u32_e32 v22, v24, v32
	v_add_u32_e32 v23, v22, v31
	;; [unrolled: 1-line block ×4, first 2 shown]
	s_branch .LBB3172_81
.LBB3172_71:
                                        ; implicit-def: $vgpr17
                                        ; implicit-def: $vgpr20
                                        ; implicit-def: $vgpr21
                                        ; implicit-def: $vgpr23
                                        ; implicit-def: $vgpr22
                                        ; implicit-def: $vgpr24
                                        ; implicit-def: $vgpr25
                                        ; implicit-def: $vgpr26
	s_cbranch_execz .LBB3172_81
; %bb.72:
	s_waitcnt lgkmcnt(0)
	v_mov_b32_dpp v16, v38 row_shr:1 row_mask:0xf bank_mask:0xf
	v_cndmask_b32_e64 v16, v16, 0, s[14:15]
	v_add_u32_e32 v16, v16, v38
	s_nop 1
	v_mov_b32_dpp v17, v16 row_shr:2 row_mask:0xf bank_mask:0xf
	v_cndmask_b32_e64 v17, 0, v17, s[12:13]
	v_add_u32_e32 v16, v16, v17
	s_nop 1
	;; [unrolled: 4-line block ×4, first 2 shown]
	v_mov_b32_dpp v17, v16 row_bcast:15 row_mask:0xf bank_mask:0xf
	v_cndmask_b32_e64 v17, v17, 0, s[6:7]
	v_add_u32_e32 v16, v16, v17
	s_nop 1
	v_mov_b32_dpp v17, v16 row_bcast:31 row_mask:0xf bank_mask:0xf
	v_cndmask_b32_e64 v17, 0, v17, s[2:3]
	v_add_u32_e32 v16, v16, v17
	s_and_saveexec_b64 s[0:1], s[4:5]
	s_cbranch_execz .LBB3172_74
; %bb.73:
	v_lshlrev_b32_e32 v17, 2, v37
	ds_write_b32 v17, v16
.LBB3172_74:
	s_or_b64 exec, exec, s[0:1]
	v_cmp_gt_u32_e32 vcc, 8, v0
	s_waitcnt lgkmcnt(0)
	s_barrier
	s_and_saveexec_b64 s[0:1], vcc
	s_cbranch_execz .LBB3172_76
; %bb.75:
	v_mad_i32_i24 v17, v0, -3, v36
	ds_read_b32 v20, v17
	v_and_b32_e32 v21, 7, v35
	v_cmp_ne_u32_e32 vcc, 0, v21
	s_waitcnt lgkmcnt(0)
	v_mov_b32_dpp v22, v20 row_shr:1 row_mask:0xf bank_mask:0xf
	v_cndmask_b32_e32 v22, 0, v22, vcc
	v_add_u32_e32 v20, v22, v20
	v_cmp_lt_u32_e32 vcc, 1, v21
	s_nop 0
	v_mov_b32_dpp v22, v20 row_shr:2 row_mask:0xf bank_mask:0xf
	v_cndmask_b32_e32 v22, 0, v22, vcc
	v_add_u32_e32 v20, v20, v22
	v_cmp_lt_u32_e32 vcc, 3, v21
	s_nop 0
	v_mov_b32_dpp v22, v20 row_shr:4 row_mask:0xf bank_mask:0xf
	v_cndmask_b32_e32 v21, 0, v22, vcc
	v_add_u32_e32 v20, v20, v21
	ds_write_b32 v17, v20
.LBB3172_76:
	s_or_b64 exec, exec, s[0:1]
	v_cmp_lt_u32_e32 vcc, 63, v0
	v_mov_b32_e32 v17, 0
	v_mov_b32_e32 v0, 0
	s_waitcnt lgkmcnt(0)
	s_barrier
	s_and_saveexec_b64 s[0:1], vcc
	s_cbranch_execz .LBB3172_78
; %bb.77:
	v_lshl_add_u32 v0, v37, 2, -4
	ds_read_b32 v0, v0
.LBB3172_78:
	s_or_b64 exec, exec, s[0:1]
	v_add_u32_e32 v20, -1, v35
	v_and_b32_e32 v21, 64, v35
	v_cmp_lt_i32_e32 vcc, v20, v21
	s_waitcnt lgkmcnt(0)
	v_add_u32_e32 v16, v0, v16
	v_cndmask_b32_e32 v20, v20, v35, vcc
	v_lshlrev_b32_e32 v20, 2, v20
	ds_bpermute_b32 v20, v20, v16
	ds_read_b32 v16, v17 offset:28
	s_and_saveexec_b64 s[0:1], s[18:19]
	s_cbranch_execz .LBB3172_80
; %bb.79:
	v_mov_b32_e32 v21, 0
	v_mov_b32_e32 v17, 2
	s_waitcnt lgkmcnt(0)
	global_store_dwordx2 v21, v[16:17], s[24:25] offset:512 sc1
.LBB3172_80:
	s_or_b64 exec, exec, s[0:1]
	v_cmp_eq_u32_e32 vcc, 0, v35
	v_mov_b32_e32 v17, 0
	s_waitcnt lgkmcnt(0)
	v_cndmask_b32_e32 v0, v20, v0, vcc
	v_cndmask_b32_e64 v26, v0, 0, s[18:19]
	v_add_u32_e32 v25, v26, v34
	v_add_u32_e32 v24, v25, v33
	;; [unrolled: 1-line block ×6, first 2 shown]
	s_barrier
.LBB3172_81:
	s_waitcnt lgkmcnt(0)
	v_add_u32_e32 v0, v16, v1
	v_sub_u32_e32 v1, v26, v17
	v_sub_u32_e32 v26, v0, v1
	v_cmp_eq_u32_e32 vcc, 1, v34
	s_and_b64 s[0:1], s[18:19], s[22:23]
	s_nop 0
	v_cndmask_b32_e32 v1, v26, v1, vcc
	v_lshlrev_b32_e32 v1, 3, v1
	ds_write_b64 v1, v[10:11]
	v_sub_u32_e32 v1, v25, v17
	v_sub_u32_e32 v10, v0, v1
	v_add_u32_e32 v10, 1, v10
	v_cmp_eq_u32_e32 vcc, 1, v33
	s_nop 1
	v_cndmask_b32_e32 v1, v10, v1, vcc
	v_lshlrev_b32_e32 v1, 3, v1
	ds_write_b64 v1, v[12:13]
	v_sub_u32_e32 v1, v24, v17
	v_sub_u32_e32 v10, v0, v1
	v_add_u32_e32 v10, 2, v10
	v_cmp_eq_u32_e32 vcc, 1, v32
	;; [unrolled: 8-line block ×6, first 2 shown]
	s_nop 1
	v_cndmask_b32_e32 v0, v0, v1, vcc
	v_lshlrev_b32_e32 v0, 3, v0
	ds_write_b64 v0, v[14:15]
	s_waitcnt lgkmcnt(0)
	s_barrier
	s_and_saveexec_b64 s[2:3], s[0:1]
	s_cbranch_execz .LBB3172_83
; %bb.82:
	v_mov_b32_e32 v1, 0
	v_mov_b32_e32 v0, v16
	s_waitcnt vmcnt(0)
	v_lshl_add_u64 v[2:3], v[18:19], 0, v[0:1]
	v_mov_b32_e32 v0, v17
	v_lshl_add_u64 v[2:3], v[2:3], 0, v[0:1]
	global_store_dwordx2 v1, v[2:3], s[20:21]
.LBB3172_83:
	s_endpgm
	.section	.rodata,"a",@progbits
	.p2align	6, 0x0
	.amdhsa_kernel _ZN7rocprim17ROCPRIM_400000_NS6detail17trampoline_kernelINS0_14default_configENS1_25partition_config_selectorILNS1_17partition_subalgoE1ExNS0_10empty_typeEbEEZZNS1_14partition_implILS5_1ELb0ES3_jN6thrust23THRUST_200600_302600_NS6detail15normal_iteratorINSA_10device_ptrIxEEEEPS6_NSA_18transform_iteratorI7is_evenIxESF_NSA_11use_defaultESK_EENS0_5tupleIJNSA_16discard_iteratorISK_EESO_EEENSM_IJSG_SG_EEES6_PlJS6_EEE10hipError_tPvRmT3_T4_T5_T6_T7_T9_mT8_P12ihipStream_tbDpT10_ENKUlT_T0_E_clISt17integral_constantIbLb1EES1B_EEDaS16_S17_EUlS16_E_NS1_11comp_targetILNS1_3genE5ELNS1_11target_archE942ELNS1_3gpuE9ELNS1_3repE0EEENS1_30default_config_static_selectorELNS0_4arch9wavefront6targetE1EEEvT1_
		.amdhsa_group_segment_fixed_size 28680
		.amdhsa_private_segment_fixed_size 0
		.amdhsa_kernarg_size 160
		.amdhsa_user_sgpr_count 2
		.amdhsa_user_sgpr_dispatch_ptr 0
		.amdhsa_user_sgpr_queue_ptr 0
		.amdhsa_user_sgpr_kernarg_segment_ptr 1
		.amdhsa_user_sgpr_dispatch_id 0
		.amdhsa_user_sgpr_kernarg_preload_length 0
		.amdhsa_user_sgpr_kernarg_preload_offset 0
		.amdhsa_user_sgpr_private_segment_size 0
		.amdhsa_uses_dynamic_stack 0
		.amdhsa_enable_private_segment 0
		.amdhsa_system_sgpr_workgroup_id_x 1
		.amdhsa_system_sgpr_workgroup_id_y 0
		.amdhsa_system_sgpr_workgroup_id_z 0
		.amdhsa_system_sgpr_workgroup_info 0
		.amdhsa_system_vgpr_workitem_id 0
		.amdhsa_next_free_vgpr 55
		.amdhsa_next_free_sgpr 36
		.amdhsa_accum_offset 56
		.amdhsa_reserve_vcc 1
		.amdhsa_float_round_mode_32 0
		.amdhsa_float_round_mode_16_64 0
		.amdhsa_float_denorm_mode_32 3
		.amdhsa_float_denorm_mode_16_64 3
		.amdhsa_dx10_clamp 1
		.amdhsa_ieee_mode 1
		.amdhsa_fp16_overflow 0
		.amdhsa_tg_split 0
		.amdhsa_exception_fp_ieee_invalid_op 0
		.amdhsa_exception_fp_denorm_src 0
		.amdhsa_exception_fp_ieee_div_zero 0
		.amdhsa_exception_fp_ieee_overflow 0
		.amdhsa_exception_fp_ieee_underflow 0
		.amdhsa_exception_fp_ieee_inexact 0
		.amdhsa_exception_int_div_zero 0
	.end_amdhsa_kernel
	.section	.text._ZN7rocprim17ROCPRIM_400000_NS6detail17trampoline_kernelINS0_14default_configENS1_25partition_config_selectorILNS1_17partition_subalgoE1ExNS0_10empty_typeEbEEZZNS1_14partition_implILS5_1ELb0ES3_jN6thrust23THRUST_200600_302600_NS6detail15normal_iteratorINSA_10device_ptrIxEEEEPS6_NSA_18transform_iteratorI7is_evenIxESF_NSA_11use_defaultESK_EENS0_5tupleIJNSA_16discard_iteratorISK_EESO_EEENSM_IJSG_SG_EEES6_PlJS6_EEE10hipError_tPvRmT3_T4_T5_T6_T7_T9_mT8_P12ihipStream_tbDpT10_ENKUlT_T0_E_clISt17integral_constantIbLb1EES1B_EEDaS16_S17_EUlS16_E_NS1_11comp_targetILNS1_3genE5ELNS1_11target_archE942ELNS1_3gpuE9ELNS1_3repE0EEENS1_30default_config_static_selectorELNS0_4arch9wavefront6targetE1EEEvT1_,"axG",@progbits,_ZN7rocprim17ROCPRIM_400000_NS6detail17trampoline_kernelINS0_14default_configENS1_25partition_config_selectorILNS1_17partition_subalgoE1ExNS0_10empty_typeEbEEZZNS1_14partition_implILS5_1ELb0ES3_jN6thrust23THRUST_200600_302600_NS6detail15normal_iteratorINSA_10device_ptrIxEEEEPS6_NSA_18transform_iteratorI7is_evenIxESF_NSA_11use_defaultESK_EENS0_5tupleIJNSA_16discard_iteratorISK_EESO_EEENSM_IJSG_SG_EEES6_PlJS6_EEE10hipError_tPvRmT3_T4_T5_T6_T7_T9_mT8_P12ihipStream_tbDpT10_ENKUlT_T0_E_clISt17integral_constantIbLb1EES1B_EEDaS16_S17_EUlS16_E_NS1_11comp_targetILNS1_3genE5ELNS1_11target_archE942ELNS1_3gpuE9ELNS1_3repE0EEENS1_30default_config_static_selectorELNS0_4arch9wavefront6targetE1EEEvT1_,comdat
.Lfunc_end3172:
	.size	_ZN7rocprim17ROCPRIM_400000_NS6detail17trampoline_kernelINS0_14default_configENS1_25partition_config_selectorILNS1_17partition_subalgoE1ExNS0_10empty_typeEbEEZZNS1_14partition_implILS5_1ELb0ES3_jN6thrust23THRUST_200600_302600_NS6detail15normal_iteratorINSA_10device_ptrIxEEEEPS6_NSA_18transform_iteratorI7is_evenIxESF_NSA_11use_defaultESK_EENS0_5tupleIJNSA_16discard_iteratorISK_EESO_EEENSM_IJSG_SG_EEES6_PlJS6_EEE10hipError_tPvRmT3_T4_T5_T6_T7_T9_mT8_P12ihipStream_tbDpT10_ENKUlT_T0_E_clISt17integral_constantIbLb1EES1B_EEDaS16_S17_EUlS16_E_NS1_11comp_targetILNS1_3genE5ELNS1_11target_archE942ELNS1_3gpuE9ELNS1_3repE0EEENS1_30default_config_static_selectorELNS0_4arch9wavefront6targetE1EEEvT1_, .Lfunc_end3172-_ZN7rocprim17ROCPRIM_400000_NS6detail17trampoline_kernelINS0_14default_configENS1_25partition_config_selectorILNS1_17partition_subalgoE1ExNS0_10empty_typeEbEEZZNS1_14partition_implILS5_1ELb0ES3_jN6thrust23THRUST_200600_302600_NS6detail15normal_iteratorINSA_10device_ptrIxEEEEPS6_NSA_18transform_iteratorI7is_evenIxESF_NSA_11use_defaultESK_EENS0_5tupleIJNSA_16discard_iteratorISK_EESO_EEENSM_IJSG_SG_EEES6_PlJS6_EEE10hipError_tPvRmT3_T4_T5_T6_T7_T9_mT8_P12ihipStream_tbDpT10_ENKUlT_T0_E_clISt17integral_constantIbLb1EES1B_EEDaS16_S17_EUlS16_E_NS1_11comp_targetILNS1_3genE5ELNS1_11target_archE942ELNS1_3gpuE9ELNS1_3repE0EEENS1_30default_config_static_selectorELNS0_4arch9wavefront6targetE1EEEvT1_
                                        ; -- End function
	.section	.AMDGPU.csdata,"",@progbits
; Kernel info:
; codeLenInByte = 4316
; NumSgprs: 42
; NumVgprs: 55
; NumAgprs: 0
; TotalNumVgprs: 55
; ScratchSize: 0
; MemoryBound: 0
; FloatMode: 240
; IeeeMode: 1
; LDSByteSize: 28680 bytes/workgroup (compile time only)
; SGPRBlocks: 5
; VGPRBlocks: 6
; NumSGPRsForWavesPerEU: 42
; NumVGPRsForWavesPerEU: 55
; AccumOffset: 56
; Occupancy: 4
; WaveLimiterHint : 1
; COMPUTE_PGM_RSRC2:SCRATCH_EN: 0
; COMPUTE_PGM_RSRC2:USER_SGPR: 2
; COMPUTE_PGM_RSRC2:TRAP_HANDLER: 0
; COMPUTE_PGM_RSRC2:TGID_X_EN: 1
; COMPUTE_PGM_RSRC2:TGID_Y_EN: 0
; COMPUTE_PGM_RSRC2:TGID_Z_EN: 0
; COMPUTE_PGM_RSRC2:TIDIG_COMP_CNT: 0
; COMPUTE_PGM_RSRC3_GFX90A:ACCUM_OFFSET: 13
; COMPUTE_PGM_RSRC3_GFX90A:TG_SPLIT: 0
	.section	.text._ZN7rocprim17ROCPRIM_400000_NS6detail17trampoline_kernelINS0_14default_configENS1_25partition_config_selectorILNS1_17partition_subalgoE1ExNS0_10empty_typeEbEEZZNS1_14partition_implILS5_1ELb0ES3_jN6thrust23THRUST_200600_302600_NS6detail15normal_iteratorINSA_10device_ptrIxEEEEPS6_NSA_18transform_iteratorI7is_evenIxESF_NSA_11use_defaultESK_EENS0_5tupleIJNSA_16discard_iteratorISK_EESO_EEENSM_IJSG_SG_EEES6_PlJS6_EEE10hipError_tPvRmT3_T4_T5_T6_T7_T9_mT8_P12ihipStream_tbDpT10_ENKUlT_T0_E_clISt17integral_constantIbLb1EES1B_EEDaS16_S17_EUlS16_E_NS1_11comp_targetILNS1_3genE4ELNS1_11target_archE910ELNS1_3gpuE8ELNS1_3repE0EEENS1_30default_config_static_selectorELNS0_4arch9wavefront6targetE1EEEvT1_,"axG",@progbits,_ZN7rocprim17ROCPRIM_400000_NS6detail17trampoline_kernelINS0_14default_configENS1_25partition_config_selectorILNS1_17partition_subalgoE1ExNS0_10empty_typeEbEEZZNS1_14partition_implILS5_1ELb0ES3_jN6thrust23THRUST_200600_302600_NS6detail15normal_iteratorINSA_10device_ptrIxEEEEPS6_NSA_18transform_iteratorI7is_evenIxESF_NSA_11use_defaultESK_EENS0_5tupleIJNSA_16discard_iteratorISK_EESO_EEENSM_IJSG_SG_EEES6_PlJS6_EEE10hipError_tPvRmT3_T4_T5_T6_T7_T9_mT8_P12ihipStream_tbDpT10_ENKUlT_T0_E_clISt17integral_constantIbLb1EES1B_EEDaS16_S17_EUlS16_E_NS1_11comp_targetILNS1_3genE4ELNS1_11target_archE910ELNS1_3gpuE8ELNS1_3repE0EEENS1_30default_config_static_selectorELNS0_4arch9wavefront6targetE1EEEvT1_,comdat
	.protected	_ZN7rocprim17ROCPRIM_400000_NS6detail17trampoline_kernelINS0_14default_configENS1_25partition_config_selectorILNS1_17partition_subalgoE1ExNS0_10empty_typeEbEEZZNS1_14partition_implILS5_1ELb0ES3_jN6thrust23THRUST_200600_302600_NS6detail15normal_iteratorINSA_10device_ptrIxEEEEPS6_NSA_18transform_iteratorI7is_evenIxESF_NSA_11use_defaultESK_EENS0_5tupleIJNSA_16discard_iteratorISK_EESO_EEENSM_IJSG_SG_EEES6_PlJS6_EEE10hipError_tPvRmT3_T4_T5_T6_T7_T9_mT8_P12ihipStream_tbDpT10_ENKUlT_T0_E_clISt17integral_constantIbLb1EES1B_EEDaS16_S17_EUlS16_E_NS1_11comp_targetILNS1_3genE4ELNS1_11target_archE910ELNS1_3gpuE8ELNS1_3repE0EEENS1_30default_config_static_selectorELNS0_4arch9wavefront6targetE1EEEvT1_ ; -- Begin function _ZN7rocprim17ROCPRIM_400000_NS6detail17trampoline_kernelINS0_14default_configENS1_25partition_config_selectorILNS1_17partition_subalgoE1ExNS0_10empty_typeEbEEZZNS1_14partition_implILS5_1ELb0ES3_jN6thrust23THRUST_200600_302600_NS6detail15normal_iteratorINSA_10device_ptrIxEEEEPS6_NSA_18transform_iteratorI7is_evenIxESF_NSA_11use_defaultESK_EENS0_5tupleIJNSA_16discard_iteratorISK_EESO_EEENSM_IJSG_SG_EEES6_PlJS6_EEE10hipError_tPvRmT3_T4_T5_T6_T7_T9_mT8_P12ihipStream_tbDpT10_ENKUlT_T0_E_clISt17integral_constantIbLb1EES1B_EEDaS16_S17_EUlS16_E_NS1_11comp_targetILNS1_3genE4ELNS1_11target_archE910ELNS1_3gpuE8ELNS1_3repE0EEENS1_30default_config_static_selectorELNS0_4arch9wavefront6targetE1EEEvT1_
	.globl	_ZN7rocprim17ROCPRIM_400000_NS6detail17trampoline_kernelINS0_14default_configENS1_25partition_config_selectorILNS1_17partition_subalgoE1ExNS0_10empty_typeEbEEZZNS1_14partition_implILS5_1ELb0ES3_jN6thrust23THRUST_200600_302600_NS6detail15normal_iteratorINSA_10device_ptrIxEEEEPS6_NSA_18transform_iteratorI7is_evenIxESF_NSA_11use_defaultESK_EENS0_5tupleIJNSA_16discard_iteratorISK_EESO_EEENSM_IJSG_SG_EEES6_PlJS6_EEE10hipError_tPvRmT3_T4_T5_T6_T7_T9_mT8_P12ihipStream_tbDpT10_ENKUlT_T0_E_clISt17integral_constantIbLb1EES1B_EEDaS16_S17_EUlS16_E_NS1_11comp_targetILNS1_3genE4ELNS1_11target_archE910ELNS1_3gpuE8ELNS1_3repE0EEENS1_30default_config_static_selectorELNS0_4arch9wavefront6targetE1EEEvT1_
	.p2align	8
	.type	_ZN7rocprim17ROCPRIM_400000_NS6detail17trampoline_kernelINS0_14default_configENS1_25partition_config_selectorILNS1_17partition_subalgoE1ExNS0_10empty_typeEbEEZZNS1_14partition_implILS5_1ELb0ES3_jN6thrust23THRUST_200600_302600_NS6detail15normal_iteratorINSA_10device_ptrIxEEEEPS6_NSA_18transform_iteratorI7is_evenIxESF_NSA_11use_defaultESK_EENS0_5tupleIJNSA_16discard_iteratorISK_EESO_EEENSM_IJSG_SG_EEES6_PlJS6_EEE10hipError_tPvRmT3_T4_T5_T6_T7_T9_mT8_P12ihipStream_tbDpT10_ENKUlT_T0_E_clISt17integral_constantIbLb1EES1B_EEDaS16_S17_EUlS16_E_NS1_11comp_targetILNS1_3genE4ELNS1_11target_archE910ELNS1_3gpuE8ELNS1_3repE0EEENS1_30default_config_static_selectorELNS0_4arch9wavefront6targetE1EEEvT1_,@function
_ZN7rocprim17ROCPRIM_400000_NS6detail17trampoline_kernelINS0_14default_configENS1_25partition_config_selectorILNS1_17partition_subalgoE1ExNS0_10empty_typeEbEEZZNS1_14partition_implILS5_1ELb0ES3_jN6thrust23THRUST_200600_302600_NS6detail15normal_iteratorINSA_10device_ptrIxEEEEPS6_NSA_18transform_iteratorI7is_evenIxESF_NSA_11use_defaultESK_EENS0_5tupleIJNSA_16discard_iteratorISK_EESO_EEENSM_IJSG_SG_EEES6_PlJS6_EEE10hipError_tPvRmT3_T4_T5_T6_T7_T9_mT8_P12ihipStream_tbDpT10_ENKUlT_T0_E_clISt17integral_constantIbLb1EES1B_EEDaS16_S17_EUlS16_E_NS1_11comp_targetILNS1_3genE4ELNS1_11target_archE910ELNS1_3gpuE8ELNS1_3repE0EEENS1_30default_config_static_selectorELNS0_4arch9wavefront6targetE1EEEvT1_: ; @_ZN7rocprim17ROCPRIM_400000_NS6detail17trampoline_kernelINS0_14default_configENS1_25partition_config_selectorILNS1_17partition_subalgoE1ExNS0_10empty_typeEbEEZZNS1_14partition_implILS5_1ELb0ES3_jN6thrust23THRUST_200600_302600_NS6detail15normal_iteratorINSA_10device_ptrIxEEEEPS6_NSA_18transform_iteratorI7is_evenIxESF_NSA_11use_defaultESK_EENS0_5tupleIJNSA_16discard_iteratorISK_EESO_EEENSM_IJSG_SG_EEES6_PlJS6_EEE10hipError_tPvRmT3_T4_T5_T6_T7_T9_mT8_P12ihipStream_tbDpT10_ENKUlT_T0_E_clISt17integral_constantIbLb1EES1B_EEDaS16_S17_EUlS16_E_NS1_11comp_targetILNS1_3genE4ELNS1_11target_archE910ELNS1_3gpuE8ELNS1_3repE0EEENS1_30default_config_static_selectorELNS0_4arch9wavefront6targetE1EEEvT1_
; %bb.0:
	.section	.rodata,"a",@progbits
	.p2align	6, 0x0
	.amdhsa_kernel _ZN7rocprim17ROCPRIM_400000_NS6detail17trampoline_kernelINS0_14default_configENS1_25partition_config_selectorILNS1_17partition_subalgoE1ExNS0_10empty_typeEbEEZZNS1_14partition_implILS5_1ELb0ES3_jN6thrust23THRUST_200600_302600_NS6detail15normal_iteratorINSA_10device_ptrIxEEEEPS6_NSA_18transform_iteratorI7is_evenIxESF_NSA_11use_defaultESK_EENS0_5tupleIJNSA_16discard_iteratorISK_EESO_EEENSM_IJSG_SG_EEES6_PlJS6_EEE10hipError_tPvRmT3_T4_T5_T6_T7_T9_mT8_P12ihipStream_tbDpT10_ENKUlT_T0_E_clISt17integral_constantIbLb1EES1B_EEDaS16_S17_EUlS16_E_NS1_11comp_targetILNS1_3genE4ELNS1_11target_archE910ELNS1_3gpuE8ELNS1_3repE0EEENS1_30default_config_static_selectorELNS0_4arch9wavefront6targetE1EEEvT1_
		.amdhsa_group_segment_fixed_size 0
		.amdhsa_private_segment_fixed_size 0
		.amdhsa_kernarg_size 160
		.amdhsa_user_sgpr_count 2
		.amdhsa_user_sgpr_dispatch_ptr 0
		.amdhsa_user_sgpr_queue_ptr 0
		.amdhsa_user_sgpr_kernarg_segment_ptr 1
		.amdhsa_user_sgpr_dispatch_id 0
		.amdhsa_user_sgpr_kernarg_preload_length 0
		.amdhsa_user_sgpr_kernarg_preload_offset 0
		.amdhsa_user_sgpr_private_segment_size 0
		.amdhsa_uses_dynamic_stack 0
		.amdhsa_enable_private_segment 0
		.amdhsa_system_sgpr_workgroup_id_x 1
		.amdhsa_system_sgpr_workgroup_id_y 0
		.amdhsa_system_sgpr_workgroup_id_z 0
		.amdhsa_system_sgpr_workgroup_info 0
		.amdhsa_system_vgpr_workitem_id 0
		.amdhsa_next_free_vgpr 1
		.amdhsa_next_free_sgpr 0
		.amdhsa_accum_offset 4
		.amdhsa_reserve_vcc 0
		.amdhsa_float_round_mode_32 0
		.amdhsa_float_round_mode_16_64 0
		.amdhsa_float_denorm_mode_32 3
		.amdhsa_float_denorm_mode_16_64 3
		.amdhsa_dx10_clamp 1
		.amdhsa_ieee_mode 1
		.amdhsa_fp16_overflow 0
		.amdhsa_tg_split 0
		.amdhsa_exception_fp_ieee_invalid_op 0
		.amdhsa_exception_fp_denorm_src 0
		.amdhsa_exception_fp_ieee_div_zero 0
		.amdhsa_exception_fp_ieee_overflow 0
		.amdhsa_exception_fp_ieee_underflow 0
		.amdhsa_exception_fp_ieee_inexact 0
		.amdhsa_exception_int_div_zero 0
	.end_amdhsa_kernel
	.section	.text._ZN7rocprim17ROCPRIM_400000_NS6detail17trampoline_kernelINS0_14default_configENS1_25partition_config_selectorILNS1_17partition_subalgoE1ExNS0_10empty_typeEbEEZZNS1_14partition_implILS5_1ELb0ES3_jN6thrust23THRUST_200600_302600_NS6detail15normal_iteratorINSA_10device_ptrIxEEEEPS6_NSA_18transform_iteratorI7is_evenIxESF_NSA_11use_defaultESK_EENS0_5tupleIJNSA_16discard_iteratorISK_EESO_EEENSM_IJSG_SG_EEES6_PlJS6_EEE10hipError_tPvRmT3_T4_T5_T6_T7_T9_mT8_P12ihipStream_tbDpT10_ENKUlT_T0_E_clISt17integral_constantIbLb1EES1B_EEDaS16_S17_EUlS16_E_NS1_11comp_targetILNS1_3genE4ELNS1_11target_archE910ELNS1_3gpuE8ELNS1_3repE0EEENS1_30default_config_static_selectorELNS0_4arch9wavefront6targetE1EEEvT1_,"axG",@progbits,_ZN7rocprim17ROCPRIM_400000_NS6detail17trampoline_kernelINS0_14default_configENS1_25partition_config_selectorILNS1_17partition_subalgoE1ExNS0_10empty_typeEbEEZZNS1_14partition_implILS5_1ELb0ES3_jN6thrust23THRUST_200600_302600_NS6detail15normal_iteratorINSA_10device_ptrIxEEEEPS6_NSA_18transform_iteratorI7is_evenIxESF_NSA_11use_defaultESK_EENS0_5tupleIJNSA_16discard_iteratorISK_EESO_EEENSM_IJSG_SG_EEES6_PlJS6_EEE10hipError_tPvRmT3_T4_T5_T6_T7_T9_mT8_P12ihipStream_tbDpT10_ENKUlT_T0_E_clISt17integral_constantIbLb1EES1B_EEDaS16_S17_EUlS16_E_NS1_11comp_targetILNS1_3genE4ELNS1_11target_archE910ELNS1_3gpuE8ELNS1_3repE0EEENS1_30default_config_static_selectorELNS0_4arch9wavefront6targetE1EEEvT1_,comdat
.Lfunc_end3173:
	.size	_ZN7rocprim17ROCPRIM_400000_NS6detail17trampoline_kernelINS0_14default_configENS1_25partition_config_selectorILNS1_17partition_subalgoE1ExNS0_10empty_typeEbEEZZNS1_14partition_implILS5_1ELb0ES3_jN6thrust23THRUST_200600_302600_NS6detail15normal_iteratorINSA_10device_ptrIxEEEEPS6_NSA_18transform_iteratorI7is_evenIxESF_NSA_11use_defaultESK_EENS0_5tupleIJNSA_16discard_iteratorISK_EESO_EEENSM_IJSG_SG_EEES6_PlJS6_EEE10hipError_tPvRmT3_T4_T5_T6_T7_T9_mT8_P12ihipStream_tbDpT10_ENKUlT_T0_E_clISt17integral_constantIbLb1EES1B_EEDaS16_S17_EUlS16_E_NS1_11comp_targetILNS1_3genE4ELNS1_11target_archE910ELNS1_3gpuE8ELNS1_3repE0EEENS1_30default_config_static_selectorELNS0_4arch9wavefront6targetE1EEEvT1_, .Lfunc_end3173-_ZN7rocprim17ROCPRIM_400000_NS6detail17trampoline_kernelINS0_14default_configENS1_25partition_config_selectorILNS1_17partition_subalgoE1ExNS0_10empty_typeEbEEZZNS1_14partition_implILS5_1ELb0ES3_jN6thrust23THRUST_200600_302600_NS6detail15normal_iteratorINSA_10device_ptrIxEEEEPS6_NSA_18transform_iteratorI7is_evenIxESF_NSA_11use_defaultESK_EENS0_5tupleIJNSA_16discard_iteratorISK_EESO_EEENSM_IJSG_SG_EEES6_PlJS6_EEE10hipError_tPvRmT3_T4_T5_T6_T7_T9_mT8_P12ihipStream_tbDpT10_ENKUlT_T0_E_clISt17integral_constantIbLb1EES1B_EEDaS16_S17_EUlS16_E_NS1_11comp_targetILNS1_3genE4ELNS1_11target_archE910ELNS1_3gpuE8ELNS1_3repE0EEENS1_30default_config_static_selectorELNS0_4arch9wavefront6targetE1EEEvT1_
                                        ; -- End function
	.section	.AMDGPU.csdata,"",@progbits
; Kernel info:
; codeLenInByte = 0
; NumSgprs: 6
; NumVgprs: 0
; NumAgprs: 0
; TotalNumVgprs: 0
; ScratchSize: 0
; MemoryBound: 0
; FloatMode: 240
; IeeeMode: 1
; LDSByteSize: 0 bytes/workgroup (compile time only)
; SGPRBlocks: 0
; VGPRBlocks: 0
; NumSGPRsForWavesPerEU: 6
; NumVGPRsForWavesPerEU: 1
; AccumOffset: 4
; Occupancy: 8
; WaveLimiterHint : 0
; COMPUTE_PGM_RSRC2:SCRATCH_EN: 0
; COMPUTE_PGM_RSRC2:USER_SGPR: 2
; COMPUTE_PGM_RSRC2:TRAP_HANDLER: 0
; COMPUTE_PGM_RSRC2:TGID_X_EN: 1
; COMPUTE_PGM_RSRC2:TGID_Y_EN: 0
; COMPUTE_PGM_RSRC2:TGID_Z_EN: 0
; COMPUTE_PGM_RSRC2:TIDIG_COMP_CNT: 0
; COMPUTE_PGM_RSRC3_GFX90A:ACCUM_OFFSET: 0
; COMPUTE_PGM_RSRC3_GFX90A:TG_SPLIT: 0
	.section	.text._ZN7rocprim17ROCPRIM_400000_NS6detail17trampoline_kernelINS0_14default_configENS1_25partition_config_selectorILNS1_17partition_subalgoE1ExNS0_10empty_typeEbEEZZNS1_14partition_implILS5_1ELb0ES3_jN6thrust23THRUST_200600_302600_NS6detail15normal_iteratorINSA_10device_ptrIxEEEEPS6_NSA_18transform_iteratorI7is_evenIxESF_NSA_11use_defaultESK_EENS0_5tupleIJNSA_16discard_iteratorISK_EESO_EEENSM_IJSG_SG_EEES6_PlJS6_EEE10hipError_tPvRmT3_T4_T5_T6_T7_T9_mT8_P12ihipStream_tbDpT10_ENKUlT_T0_E_clISt17integral_constantIbLb1EES1B_EEDaS16_S17_EUlS16_E_NS1_11comp_targetILNS1_3genE3ELNS1_11target_archE908ELNS1_3gpuE7ELNS1_3repE0EEENS1_30default_config_static_selectorELNS0_4arch9wavefront6targetE1EEEvT1_,"axG",@progbits,_ZN7rocprim17ROCPRIM_400000_NS6detail17trampoline_kernelINS0_14default_configENS1_25partition_config_selectorILNS1_17partition_subalgoE1ExNS0_10empty_typeEbEEZZNS1_14partition_implILS5_1ELb0ES3_jN6thrust23THRUST_200600_302600_NS6detail15normal_iteratorINSA_10device_ptrIxEEEEPS6_NSA_18transform_iteratorI7is_evenIxESF_NSA_11use_defaultESK_EENS0_5tupleIJNSA_16discard_iteratorISK_EESO_EEENSM_IJSG_SG_EEES6_PlJS6_EEE10hipError_tPvRmT3_T4_T5_T6_T7_T9_mT8_P12ihipStream_tbDpT10_ENKUlT_T0_E_clISt17integral_constantIbLb1EES1B_EEDaS16_S17_EUlS16_E_NS1_11comp_targetILNS1_3genE3ELNS1_11target_archE908ELNS1_3gpuE7ELNS1_3repE0EEENS1_30default_config_static_selectorELNS0_4arch9wavefront6targetE1EEEvT1_,comdat
	.protected	_ZN7rocprim17ROCPRIM_400000_NS6detail17trampoline_kernelINS0_14default_configENS1_25partition_config_selectorILNS1_17partition_subalgoE1ExNS0_10empty_typeEbEEZZNS1_14partition_implILS5_1ELb0ES3_jN6thrust23THRUST_200600_302600_NS6detail15normal_iteratorINSA_10device_ptrIxEEEEPS6_NSA_18transform_iteratorI7is_evenIxESF_NSA_11use_defaultESK_EENS0_5tupleIJNSA_16discard_iteratorISK_EESO_EEENSM_IJSG_SG_EEES6_PlJS6_EEE10hipError_tPvRmT3_T4_T5_T6_T7_T9_mT8_P12ihipStream_tbDpT10_ENKUlT_T0_E_clISt17integral_constantIbLb1EES1B_EEDaS16_S17_EUlS16_E_NS1_11comp_targetILNS1_3genE3ELNS1_11target_archE908ELNS1_3gpuE7ELNS1_3repE0EEENS1_30default_config_static_selectorELNS0_4arch9wavefront6targetE1EEEvT1_ ; -- Begin function _ZN7rocprim17ROCPRIM_400000_NS6detail17trampoline_kernelINS0_14default_configENS1_25partition_config_selectorILNS1_17partition_subalgoE1ExNS0_10empty_typeEbEEZZNS1_14partition_implILS5_1ELb0ES3_jN6thrust23THRUST_200600_302600_NS6detail15normal_iteratorINSA_10device_ptrIxEEEEPS6_NSA_18transform_iteratorI7is_evenIxESF_NSA_11use_defaultESK_EENS0_5tupleIJNSA_16discard_iteratorISK_EESO_EEENSM_IJSG_SG_EEES6_PlJS6_EEE10hipError_tPvRmT3_T4_T5_T6_T7_T9_mT8_P12ihipStream_tbDpT10_ENKUlT_T0_E_clISt17integral_constantIbLb1EES1B_EEDaS16_S17_EUlS16_E_NS1_11comp_targetILNS1_3genE3ELNS1_11target_archE908ELNS1_3gpuE7ELNS1_3repE0EEENS1_30default_config_static_selectorELNS0_4arch9wavefront6targetE1EEEvT1_
	.globl	_ZN7rocprim17ROCPRIM_400000_NS6detail17trampoline_kernelINS0_14default_configENS1_25partition_config_selectorILNS1_17partition_subalgoE1ExNS0_10empty_typeEbEEZZNS1_14partition_implILS5_1ELb0ES3_jN6thrust23THRUST_200600_302600_NS6detail15normal_iteratorINSA_10device_ptrIxEEEEPS6_NSA_18transform_iteratorI7is_evenIxESF_NSA_11use_defaultESK_EENS0_5tupleIJNSA_16discard_iteratorISK_EESO_EEENSM_IJSG_SG_EEES6_PlJS6_EEE10hipError_tPvRmT3_T4_T5_T6_T7_T9_mT8_P12ihipStream_tbDpT10_ENKUlT_T0_E_clISt17integral_constantIbLb1EES1B_EEDaS16_S17_EUlS16_E_NS1_11comp_targetILNS1_3genE3ELNS1_11target_archE908ELNS1_3gpuE7ELNS1_3repE0EEENS1_30default_config_static_selectorELNS0_4arch9wavefront6targetE1EEEvT1_
	.p2align	8
	.type	_ZN7rocprim17ROCPRIM_400000_NS6detail17trampoline_kernelINS0_14default_configENS1_25partition_config_selectorILNS1_17partition_subalgoE1ExNS0_10empty_typeEbEEZZNS1_14partition_implILS5_1ELb0ES3_jN6thrust23THRUST_200600_302600_NS6detail15normal_iteratorINSA_10device_ptrIxEEEEPS6_NSA_18transform_iteratorI7is_evenIxESF_NSA_11use_defaultESK_EENS0_5tupleIJNSA_16discard_iteratorISK_EESO_EEENSM_IJSG_SG_EEES6_PlJS6_EEE10hipError_tPvRmT3_T4_T5_T6_T7_T9_mT8_P12ihipStream_tbDpT10_ENKUlT_T0_E_clISt17integral_constantIbLb1EES1B_EEDaS16_S17_EUlS16_E_NS1_11comp_targetILNS1_3genE3ELNS1_11target_archE908ELNS1_3gpuE7ELNS1_3repE0EEENS1_30default_config_static_selectorELNS0_4arch9wavefront6targetE1EEEvT1_,@function
_ZN7rocprim17ROCPRIM_400000_NS6detail17trampoline_kernelINS0_14default_configENS1_25partition_config_selectorILNS1_17partition_subalgoE1ExNS0_10empty_typeEbEEZZNS1_14partition_implILS5_1ELb0ES3_jN6thrust23THRUST_200600_302600_NS6detail15normal_iteratorINSA_10device_ptrIxEEEEPS6_NSA_18transform_iteratorI7is_evenIxESF_NSA_11use_defaultESK_EENS0_5tupleIJNSA_16discard_iteratorISK_EESO_EEENSM_IJSG_SG_EEES6_PlJS6_EEE10hipError_tPvRmT3_T4_T5_T6_T7_T9_mT8_P12ihipStream_tbDpT10_ENKUlT_T0_E_clISt17integral_constantIbLb1EES1B_EEDaS16_S17_EUlS16_E_NS1_11comp_targetILNS1_3genE3ELNS1_11target_archE908ELNS1_3gpuE7ELNS1_3repE0EEENS1_30default_config_static_selectorELNS0_4arch9wavefront6targetE1EEEvT1_: ; @_ZN7rocprim17ROCPRIM_400000_NS6detail17trampoline_kernelINS0_14default_configENS1_25partition_config_selectorILNS1_17partition_subalgoE1ExNS0_10empty_typeEbEEZZNS1_14partition_implILS5_1ELb0ES3_jN6thrust23THRUST_200600_302600_NS6detail15normal_iteratorINSA_10device_ptrIxEEEEPS6_NSA_18transform_iteratorI7is_evenIxESF_NSA_11use_defaultESK_EENS0_5tupleIJNSA_16discard_iteratorISK_EESO_EEENSM_IJSG_SG_EEES6_PlJS6_EEE10hipError_tPvRmT3_T4_T5_T6_T7_T9_mT8_P12ihipStream_tbDpT10_ENKUlT_T0_E_clISt17integral_constantIbLb1EES1B_EEDaS16_S17_EUlS16_E_NS1_11comp_targetILNS1_3genE3ELNS1_11target_archE908ELNS1_3gpuE7ELNS1_3repE0EEENS1_30default_config_static_selectorELNS0_4arch9wavefront6targetE1EEEvT1_
; %bb.0:
	.section	.rodata,"a",@progbits
	.p2align	6, 0x0
	.amdhsa_kernel _ZN7rocprim17ROCPRIM_400000_NS6detail17trampoline_kernelINS0_14default_configENS1_25partition_config_selectorILNS1_17partition_subalgoE1ExNS0_10empty_typeEbEEZZNS1_14partition_implILS5_1ELb0ES3_jN6thrust23THRUST_200600_302600_NS6detail15normal_iteratorINSA_10device_ptrIxEEEEPS6_NSA_18transform_iteratorI7is_evenIxESF_NSA_11use_defaultESK_EENS0_5tupleIJNSA_16discard_iteratorISK_EESO_EEENSM_IJSG_SG_EEES6_PlJS6_EEE10hipError_tPvRmT3_T4_T5_T6_T7_T9_mT8_P12ihipStream_tbDpT10_ENKUlT_T0_E_clISt17integral_constantIbLb1EES1B_EEDaS16_S17_EUlS16_E_NS1_11comp_targetILNS1_3genE3ELNS1_11target_archE908ELNS1_3gpuE7ELNS1_3repE0EEENS1_30default_config_static_selectorELNS0_4arch9wavefront6targetE1EEEvT1_
		.amdhsa_group_segment_fixed_size 0
		.amdhsa_private_segment_fixed_size 0
		.amdhsa_kernarg_size 160
		.amdhsa_user_sgpr_count 2
		.amdhsa_user_sgpr_dispatch_ptr 0
		.amdhsa_user_sgpr_queue_ptr 0
		.amdhsa_user_sgpr_kernarg_segment_ptr 1
		.amdhsa_user_sgpr_dispatch_id 0
		.amdhsa_user_sgpr_kernarg_preload_length 0
		.amdhsa_user_sgpr_kernarg_preload_offset 0
		.amdhsa_user_sgpr_private_segment_size 0
		.amdhsa_uses_dynamic_stack 0
		.amdhsa_enable_private_segment 0
		.amdhsa_system_sgpr_workgroup_id_x 1
		.amdhsa_system_sgpr_workgroup_id_y 0
		.amdhsa_system_sgpr_workgroup_id_z 0
		.amdhsa_system_sgpr_workgroup_info 0
		.amdhsa_system_vgpr_workitem_id 0
		.amdhsa_next_free_vgpr 1
		.amdhsa_next_free_sgpr 0
		.amdhsa_accum_offset 4
		.amdhsa_reserve_vcc 0
		.amdhsa_float_round_mode_32 0
		.amdhsa_float_round_mode_16_64 0
		.amdhsa_float_denorm_mode_32 3
		.amdhsa_float_denorm_mode_16_64 3
		.amdhsa_dx10_clamp 1
		.amdhsa_ieee_mode 1
		.amdhsa_fp16_overflow 0
		.amdhsa_tg_split 0
		.amdhsa_exception_fp_ieee_invalid_op 0
		.amdhsa_exception_fp_denorm_src 0
		.amdhsa_exception_fp_ieee_div_zero 0
		.amdhsa_exception_fp_ieee_overflow 0
		.amdhsa_exception_fp_ieee_underflow 0
		.amdhsa_exception_fp_ieee_inexact 0
		.amdhsa_exception_int_div_zero 0
	.end_amdhsa_kernel
	.section	.text._ZN7rocprim17ROCPRIM_400000_NS6detail17trampoline_kernelINS0_14default_configENS1_25partition_config_selectorILNS1_17partition_subalgoE1ExNS0_10empty_typeEbEEZZNS1_14partition_implILS5_1ELb0ES3_jN6thrust23THRUST_200600_302600_NS6detail15normal_iteratorINSA_10device_ptrIxEEEEPS6_NSA_18transform_iteratorI7is_evenIxESF_NSA_11use_defaultESK_EENS0_5tupleIJNSA_16discard_iteratorISK_EESO_EEENSM_IJSG_SG_EEES6_PlJS6_EEE10hipError_tPvRmT3_T4_T5_T6_T7_T9_mT8_P12ihipStream_tbDpT10_ENKUlT_T0_E_clISt17integral_constantIbLb1EES1B_EEDaS16_S17_EUlS16_E_NS1_11comp_targetILNS1_3genE3ELNS1_11target_archE908ELNS1_3gpuE7ELNS1_3repE0EEENS1_30default_config_static_selectorELNS0_4arch9wavefront6targetE1EEEvT1_,"axG",@progbits,_ZN7rocprim17ROCPRIM_400000_NS6detail17trampoline_kernelINS0_14default_configENS1_25partition_config_selectorILNS1_17partition_subalgoE1ExNS0_10empty_typeEbEEZZNS1_14partition_implILS5_1ELb0ES3_jN6thrust23THRUST_200600_302600_NS6detail15normal_iteratorINSA_10device_ptrIxEEEEPS6_NSA_18transform_iteratorI7is_evenIxESF_NSA_11use_defaultESK_EENS0_5tupleIJNSA_16discard_iteratorISK_EESO_EEENSM_IJSG_SG_EEES6_PlJS6_EEE10hipError_tPvRmT3_T4_T5_T6_T7_T9_mT8_P12ihipStream_tbDpT10_ENKUlT_T0_E_clISt17integral_constantIbLb1EES1B_EEDaS16_S17_EUlS16_E_NS1_11comp_targetILNS1_3genE3ELNS1_11target_archE908ELNS1_3gpuE7ELNS1_3repE0EEENS1_30default_config_static_selectorELNS0_4arch9wavefront6targetE1EEEvT1_,comdat
.Lfunc_end3174:
	.size	_ZN7rocprim17ROCPRIM_400000_NS6detail17trampoline_kernelINS0_14default_configENS1_25partition_config_selectorILNS1_17partition_subalgoE1ExNS0_10empty_typeEbEEZZNS1_14partition_implILS5_1ELb0ES3_jN6thrust23THRUST_200600_302600_NS6detail15normal_iteratorINSA_10device_ptrIxEEEEPS6_NSA_18transform_iteratorI7is_evenIxESF_NSA_11use_defaultESK_EENS0_5tupleIJNSA_16discard_iteratorISK_EESO_EEENSM_IJSG_SG_EEES6_PlJS6_EEE10hipError_tPvRmT3_T4_T5_T6_T7_T9_mT8_P12ihipStream_tbDpT10_ENKUlT_T0_E_clISt17integral_constantIbLb1EES1B_EEDaS16_S17_EUlS16_E_NS1_11comp_targetILNS1_3genE3ELNS1_11target_archE908ELNS1_3gpuE7ELNS1_3repE0EEENS1_30default_config_static_selectorELNS0_4arch9wavefront6targetE1EEEvT1_, .Lfunc_end3174-_ZN7rocprim17ROCPRIM_400000_NS6detail17trampoline_kernelINS0_14default_configENS1_25partition_config_selectorILNS1_17partition_subalgoE1ExNS0_10empty_typeEbEEZZNS1_14partition_implILS5_1ELb0ES3_jN6thrust23THRUST_200600_302600_NS6detail15normal_iteratorINSA_10device_ptrIxEEEEPS6_NSA_18transform_iteratorI7is_evenIxESF_NSA_11use_defaultESK_EENS0_5tupleIJNSA_16discard_iteratorISK_EESO_EEENSM_IJSG_SG_EEES6_PlJS6_EEE10hipError_tPvRmT3_T4_T5_T6_T7_T9_mT8_P12ihipStream_tbDpT10_ENKUlT_T0_E_clISt17integral_constantIbLb1EES1B_EEDaS16_S17_EUlS16_E_NS1_11comp_targetILNS1_3genE3ELNS1_11target_archE908ELNS1_3gpuE7ELNS1_3repE0EEENS1_30default_config_static_selectorELNS0_4arch9wavefront6targetE1EEEvT1_
                                        ; -- End function
	.section	.AMDGPU.csdata,"",@progbits
; Kernel info:
; codeLenInByte = 0
; NumSgprs: 6
; NumVgprs: 0
; NumAgprs: 0
; TotalNumVgprs: 0
; ScratchSize: 0
; MemoryBound: 0
; FloatMode: 240
; IeeeMode: 1
; LDSByteSize: 0 bytes/workgroup (compile time only)
; SGPRBlocks: 0
; VGPRBlocks: 0
; NumSGPRsForWavesPerEU: 6
; NumVGPRsForWavesPerEU: 1
; AccumOffset: 4
; Occupancy: 8
; WaveLimiterHint : 0
; COMPUTE_PGM_RSRC2:SCRATCH_EN: 0
; COMPUTE_PGM_RSRC2:USER_SGPR: 2
; COMPUTE_PGM_RSRC2:TRAP_HANDLER: 0
; COMPUTE_PGM_RSRC2:TGID_X_EN: 1
; COMPUTE_PGM_RSRC2:TGID_Y_EN: 0
; COMPUTE_PGM_RSRC2:TGID_Z_EN: 0
; COMPUTE_PGM_RSRC2:TIDIG_COMP_CNT: 0
; COMPUTE_PGM_RSRC3_GFX90A:ACCUM_OFFSET: 0
; COMPUTE_PGM_RSRC3_GFX90A:TG_SPLIT: 0
	.section	.text._ZN7rocprim17ROCPRIM_400000_NS6detail17trampoline_kernelINS0_14default_configENS1_25partition_config_selectorILNS1_17partition_subalgoE1ExNS0_10empty_typeEbEEZZNS1_14partition_implILS5_1ELb0ES3_jN6thrust23THRUST_200600_302600_NS6detail15normal_iteratorINSA_10device_ptrIxEEEEPS6_NSA_18transform_iteratorI7is_evenIxESF_NSA_11use_defaultESK_EENS0_5tupleIJNSA_16discard_iteratorISK_EESO_EEENSM_IJSG_SG_EEES6_PlJS6_EEE10hipError_tPvRmT3_T4_T5_T6_T7_T9_mT8_P12ihipStream_tbDpT10_ENKUlT_T0_E_clISt17integral_constantIbLb1EES1B_EEDaS16_S17_EUlS16_E_NS1_11comp_targetILNS1_3genE2ELNS1_11target_archE906ELNS1_3gpuE6ELNS1_3repE0EEENS1_30default_config_static_selectorELNS0_4arch9wavefront6targetE1EEEvT1_,"axG",@progbits,_ZN7rocprim17ROCPRIM_400000_NS6detail17trampoline_kernelINS0_14default_configENS1_25partition_config_selectorILNS1_17partition_subalgoE1ExNS0_10empty_typeEbEEZZNS1_14partition_implILS5_1ELb0ES3_jN6thrust23THRUST_200600_302600_NS6detail15normal_iteratorINSA_10device_ptrIxEEEEPS6_NSA_18transform_iteratorI7is_evenIxESF_NSA_11use_defaultESK_EENS0_5tupleIJNSA_16discard_iteratorISK_EESO_EEENSM_IJSG_SG_EEES6_PlJS6_EEE10hipError_tPvRmT3_T4_T5_T6_T7_T9_mT8_P12ihipStream_tbDpT10_ENKUlT_T0_E_clISt17integral_constantIbLb1EES1B_EEDaS16_S17_EUlS16_E_NS1_11comp_targetILNS1_3genE2ELNS1_11target_archE906ELNS1_3gpuE6ELNS1_3repE0EEENS1_30default_config_static_selectorELNS0_4arch9wavefront6targetE1EEEvT1_,comdat
	.protected	_ZN7rocprim17ROCPRIM_400000_NS6detail17trampoline_kernelINS0_14default_configENS1_25partition_config_selectorILNS1_17partition_subalgoE1ExNS0_10empty_typeEbEEZZNS1_14partition_implILS5_1ELb0ES3_jN6thrust23THRUST_200600_302600_NS6detail15normal_iteratorINSA_10device_ptrIxEEEEPS6_NSA_18transform_iteratorI7is_evenIxESF_NSA_11use_defaultESK_EENS0_5tupleIJNSA_16discard_iteratorISK_EESO_EEENSM_IJSG_SG_EEES6_PlJS6_EEE10hipError_tPvRmT3_T4_T5_T6_T7_T9_mT8_P12ihipStream_tbDpT10_ENKUlT_T0_E_clISt17integral_constantIbLb1EES1B_EEDaS16_S17_EUlS16_E_NS1_11comp_targetILNS1_3genE2ELNS1_11target_archE906ELNS1_3gpuE6ELNS1_3repE0EEENS1_30default_config_static_selectorELNS0_4arch9wavefront6targetE1EEEvT1_ ; -- Begin function _ZN7rocprim17ROCPRIM_400000_NS6detail17trampoline_kernelINS0_14default_configENS1_25partition_config_selectorILNS1_17partition_subalgoE1ExNS0_10empty_typeEbEEZZNS1_14partition_implILS5_1ELb0ES3_jN6thrust23THRUST_200600_302600_NS6detail15normal_iteratorINSA_10device_ptrIxEEEEPS6_NSA_18transform_iteratorI7is_evenIxESF_NSA_11use_defaultESK_EENS0_5tupleIJNSA_16discard_iteratorISK_EESO_EEENSM_IJSG_SG_EEES6_PlJS6_EEE10hipError_tPvRmT3_T4_T5_T6_T7_T9_mT8_P12ihipStream_tbDpT10_ENKUlT_T0_E_clISt17integral_constantIbLb1EES1B_EEDaS16_S17_EUlS16_E_NS1_11comp_targetILNS1_3genE2ELNS1_11target_archE906ELNS1_3gpuE6ELNS1_3repE0EEENS1_30default_config_static_selectorELNS0_4arch9wavefront6targetE1EEEvT1_
	.globl	_ZN7rocprim17ROCPRIM_400000_NS6detail17trampoline_kernelINS0_14default_configENS1_25partition_config_selectorILNS1_17partition_subalgoE1ExNS0_10empty_typeEbEEZZNS1_14partition_implILS5_1ELb0ES3_jN6thrust23THRUST_200600_302600_NS6detail15normal_iteratorINSA_10device_ptrIxEEEEPS6_NSA_18transform_iteratorI7is_evenIxESF_NSA_11use_defaultESK_EENS0_5tupleIJNSA_16discard_iteratorISK_EESO_EEENSM_IJSG_SG_EEES6_PlJS6_EEE10hipError_tPvRmT3_T4_T5_T6_T7_T9_mT8_P12ihipStream_tbDpT10_ENKUlT_T0_E_clISt17integral_constantIbLb1EES1B_EEDaS16_S17_EUlS16_E_NS1_11comp_targetILNS1_3genE2ELNS1_11target_archE906ELNS1_3gpuE6ELNS1_3repE0EEENS1_30default_config_static_selectorELNS0_4arch9wavefront6targetE1EEEvT1_
	.p2align	8
	.type	_ZN7rocprim17ROCPRIM_400000_NS6detail17trampoline_kernelINS0_14default_configENS1_25partition_config_selectorILNS1_17partition_subalgoE1ExNS0_10empty_typeEbEEZZNS1_14partition_implILS5_1ELb0ES3_jN6thrust23THRUST_200600_302600_NS6detail15normal_iteratorINSA_10device_ptrIxEEEEPS6_NSA_18transform_iteratorI7is_evenIxESF_NSA_11use_defaultESK_EENS0_5tupleIJNSA_16discard_iteratorISK_EESO_EEENSM_IJSG_SG_EEES6_PlJS6_EEE10hipError_tPvRmT3_T4_T5_T6_T7_T9_mT8_P12ihipStream_tbDpT10_ENKUlT_T0_E_clISt17integral_constantIbLb1EES1B_EEDaS16_S17_EUlS16_E_NS1_11comp_targetILNS1_3genE2ELNS1_11target_archE906ELNS1_3gpuE6ELNS1_3repE0EEENS1_30default_config_static_selectorELNS0_4arch9wavefront6targetE1EEEvT1_,@function
_ZN7rocprim17ROCPRIM_400000_NS6detail17trampoline_kernelINS0_14default_configENS1_25partition_config_selectorILNS1_17partition_subalgoE1ExNS0_10empty_typeEbEEZZNS1_14partition_implILS5_1ELb0ES3_jN6thrust23THRUST_200600_302600_NS6detail15normal_iteratorINSA_10device_ptrIxEEEEPS6_NSA_18transform_iteratorI7is_evenIxESF_NSA_11use_defaultESK_EENS0_5tupleIJNSA_16discard_iteratorISK_EESO_EEENSM_IJSG_SG_EEES6_PlJS6_EEE10hipError_tPvRmT3_T4_T5_T6_T7_T9_mT8_P12ihipStream_tbDpT10_ENKUlT_T0_E_clISt17integral_constantIbLb1EES1B_EEDaS16_S17_EUlS16_E_NS1_11comp_targetILNS1_3genE2ELNS1_11target_archE906ELNS1_3gpuE6ELNS1_3repE0EEENS1_30default_config_static_selectorELNS0_4arch9wavefront6targetE1EEEvT1_: ; @_ZN7rocprim17ROCPRIM_400000_NS6detail17trampoline_kernelINS0_14default_configENS1_25partition_config_selectorILNS1_17partition_subalgoE1ExNS0_10empty_typeEbEEZZNS1_14partition_implILS5_1ELb0ES3_jN6thrust23THRUST_200600_302600_NS6detail15normal_iteratorINSA_10device_ptrIxEEEEPS6_NSA_18transform_iteratorI7is_evenIxESF_NSA_11use_defaultESK_EENS0_5tupleIJNSA_16discard_iteratorISK_EESO_EEENSM_IJSG_SG_EEES6_PlJS6_EEE10hipError_tPvRmT3_T4_T5_T6_T7_T9_mT8_P12ihipStream_tbDpT10_ENKUlT_T0_E_clISt17integral_constantIbLb1EES1B_EEDaS16_S17_EUlS16_E_NS1_11comp_targetILNS1_3genE2ELNS1_11target_archE906ELNS1_3gpuE6ELNS1_3repE0EEENS1_30default_config_static_selectorELNS0_4arch9wavefront6targetE1EEEvT1_
; %bb.0:
	.section	.rodata,"a",@progbits
	.p2align	6, 0x0
	.amdhsa_kernel _ZN7rocprim17ROCPRIM_400000_NS6detail17trampoline_kernelINS0_14default_configENS1_25partition_config_selectorILNS1_17partition_subalgoE1ExNS0_10empty_typeEbEEZZNS1_14partition_implILS5_1ELb0ES3_jN6thrust23THRUST_200600_302600_NS6detail15normal_iteratorINSA_10device_ptrIxEEEEPS6_NSA_18transform_iteratorI7is_evenIxESF_NSA_11use_defaultESK_EENS0_5tupleIJNSA_16discard_iteratorISK_EESO_EEENSM_IJSG_SG_EEES6_PlJS6_EEE10hipError_tPvRmT3_T4_T5_T6_T7_T9_mT8_P12ihipStream_tbDpT10_ENKUlT_T0_E_clISt17integral_constantIbLb1EES1B_EEDaS16_S17_EUlS16_E_NS1_11comp_targetILNS1_3genE2ELNS1_11target_archE906ELNS1_3gpuE6ELNS1_3repE0EEENS1_30default_config_static_selectorELNS0_4arch9wavefront6targetE1EEEvT1_
		.amdhsa_group_segment_fixed_size 0
		.amdhsa_private_segment_fixed_size 0
		.amdhsa_kernarg_size 160
		.amdhsa_user_sgpr_count 2
		.amdhsa_user_sgpr_dispatch_ptr 0
		.amdhsa_user_sgpr_queue_ptr 0
		.amdhsa_user_sgpr_kernarg_segment_ptr 1
		.amdhsa_user_sgpr_dispatch_id 0
		.amdhsa_user_sgpr_kernarg_preload_length 0
		.amdhsa_user_sgpr_kernarg_preload_offset 0
		.amdhsa_user_sgpr_private_segment_size 0
		.amdhsa_uses_dynamic_stack 0
		.amdhsa_enable_private_segment 0
		.amdhsa_system_sgpr_workgroup_id_x 1
		.amdhsa_system_sgpr_workgroup_id_y 0
		.amdhsa_system_sgpr_workgroup_id_z 0
		.amdhsa_system_sgpr_workgroup_info 0
		.amdhsa_system_vgpr_workitem_id 0
		.amdhsa_next_free_vgpr 1
		.amdhsa_next_free_sgpr 0
		.amdhsa_accum_offset 4
		.amdhsa_reserve_vcc 0
		.amdhsa_float_round_mode_32 0
		.amdhsa_float_round_mode_16_64 0
		.amdhsa_float_denorm_mode_32 3
		.amdhsa_float_denorm_mode_16_64 3
		.amdhsa_dx10_clamp 1
		.amdhsa_ieee_mode 1
		.amdhsa_fp16_overflow 0
		.amdhsa_tg_split 0
		.amdhsa_exception_fp_ieee_invalid_op 0
		.amdhsa_exception_fp_denorm_src 0
		.amdhsa_exception_fp_ieee_div_zero 0
		.amdhsa_exception_fp_ieee_overflow 0
		.amdhsa_exception_fp_ieee_underflow 0
		.amdhsa_exception_fp_ieee_inexact 0
		.amdhsa_exception_int_div_zero 0
	.end_amdhsa_kernel
	.section	.text._ZN7rocprim17ROCPRIM_400000_NS6detail17trampoline_kernelINS0_14default_configENS1_25partition_config_selectorILNS1_17partition_subalgoE1ExNS0_10empty_typeEbEEZZNS1_14partition_implILS5_1ELb0ES3_jN6thrust23THRUST_200600_302600_NS6detail15normal_iteratorINSA_10device_ptrIxEEEEPS6_NSA_18transform_iteratorI7is_evenIxESF_NSA_11use_defaultESK_EENS0_5tupleIJNSA_16discard_iteratorISK_EESO_EEENSM_IJSG_SG_EEES6_PlJS6_EEE10hipError_tPvRmT3_T4_T5_T6_T7_T9_mT8_P12ihipStream_tbDpT10_ENKUlT_T0_E_clISt17integral_constantIbLb1EES1B_EEDaS16_S17_EUlS16_E_NS1_11comp_targetILNS1_3genE2ELNS1_11target_archE906ELNS1_3gpuE6ELNS1_3repE0EEENS1_30default_config_static_selectorELNS0_4arch9wavefront6targetE1EEEvT1_,"axG",@progbits,_ZN7rocprim17ROCPRIM_400000_NS6detail17trampoline_kernelINS0_14default_configENS1_25partition_config_selectorILNS1_17partition_subalgoE1ExNS0_10empty_typeEbEEZZNS1_14partition_implILS5_1ELb0ES3_jN6thrust23THRUST_200600_302600_NS6detail15normal_iteratorINSA_10device_ptrIxEEEEPS6_NSA_18transform_iteratorI7is_evenIxESF_NSA_11use_defaultESK_EENS0_5tupleIJNSA_16discard_iteratorISK_EESO_EEENSM_IJSG_SG_EEES6_PlJS6_EEE10hipError_tPvRmT3_T4_T5_T6_T7_T9_mT8_P12ihipStream_tbDpT10_ENKUlT_T0_E_clISt17integral_constantIbLb1EES1B_EEDaS16_S17_EUlS16_E_NS1_11comp_targetILNS1_3genE2ELNS1_11target_archE906ELNS1_3gpuE6ELNS1_3repE0EEENS1_30default_config_static_selectorELNS0_4arch9wavefront6targetE1EEEvT1_,comdat
.Lfunc_end3175:
	.size	_ZN7rocprim17ROCPRIM_400000_NS6detail17trampoline_kernelINS0_14default_configENS1_25partition_config_selectorILNS1_17partition_subalgoE1ExNS0_10empty_typeEbEEZZNS1_14partition_implILS5_1ELb0ES3_jN6thrust23THRUST_200600_302600_NS6detail15normal_iteratorINSA_10device_ptrIxEEEEPS6_NSA_18transform_iteratorI7is_evenIxESF_NSA_11use_defaultESK_EENS0_5tupleIJNSA_16discard_iteratorISK_EESO_EEENSM_IJSG_SG_EEES6_PlJS6_EEE10hipError_tPvRmT3_T4_T5_T6_T7_T9_mT8_P12ihipStream_tbDpT10_ENKUlT_T0_E_clISt17integral_constantIbLb1EES1B_EEDaS16_S17_EUlS16_E_NS1_11comp_targetILNS1_3genE2ELNS1_11target_archE906ELNS1_3gpuE6ELNS1_3repE0EEENS1_30default_config_static_selectorELNS0_4arch9wavefront6targetE1EEEvT1_, .Lfunc_end3175-_ZN7rocprim17ROCPRIM_400000_NS6detail17trampoline_kernelINS0_14default_configENS1_25partition_config_selectorILNS1_17partition_subalgoE1ExNS0_10empty_typeEbEEZZNS1_14partition_implILS5_1ELb0ES3_jN6thrust23THRUST_200600_302600_NS6detail15normal_iteratorINSA_10device_ptrIxEEEEPS6_NSA_18transform_iteratorI7is_evenIxESF_NSA_11use_defaultESK_EENS0_5tupleIJNSA_16discard_iteratorISK_EESO_EEENSM_IJSG_SG_EEES6_PlJS6_EEE10hipError_tPvRmT3_T4_T5_T6_T7_T9_mT8_P12ihipStream_tbDpT10_ENKUlT_T0_E_clISt17integral_constantIbLb1EES1B_EEDaS16_S17_EUlS16_E_NS1_11comp_targetILNS1_3genE2ELNS1_11target_archE906ELNS1_3gpuE6ELNS1_3repE0EEENS1_30default_config_static_selectorELNS0_4arch9wavefront6targetE1EEEvT1_
                                        ; -- End function
	.section	.AMDGPU.csdata,"",@progbits
; Kernel info:
; codeLenInByte = 0
; NumSgprs: 6
; NumVgprs: 0
; NumAgprs: 0
; TotalNumVgprs: 0
; ScratchSize: 0
; MemoryBound: 0
; FloatMode: 240
; IeeeMode: 1
; LDSByteSize: 0 bytes/workgroup (compile time only)
; SGPRBlocks: 0
; VGPRBlocks: 0
; NumSGPRsForWavesPerEU: 6
; NumVGPRsForWavesPerEU: 1
; AccumOffset: 4
; Occupancy: 8
; WaveLimiterHint : 0
; COMPUTE_PGM_RSRC2:SCRATCH_EN: 0
; COMPUTE_PGM_RSRC2:USER_SGPR: 2
; COMPUTE_PGM_RSRC2:TRAP_HANDLER: 0
; COMPUTE_PGM_RSRC2:TGID_X_EN: 1
; COMPUTE_PGM_RSRC2:TGID_Y_EN: 0
; COMPUTE_PGM_RSRC2:TGID_Z_EN: 0
; COMPUTE_PGM_RSRC2:TIDIG_COMP_CNT: 0
; COMPUTE_PGM_RSRC3_GFX90A:ACCUM_OFFSET: 0
; COMPUTE_PGM_RSRC3_GFX90A:TG_SPLIT: 0
	.section	.text._ZN7rocprim17ROCPRIM_400000_NS6detail17trampoline_kernelINS0_14default_configENS1_25partition_config_selectorILNS1_17partition_subalgoE1ExNS0_10empty_typeEbEEZZNS1_14partition_implILS5_1ELb0ES3_jN6thrust23THRUST_200600_302600_NS6detail15normal_iteratorINSA_10device_ptrIxEEEEPS6_NSA_18transform_iteratorI7is_evenIxESF_NSA_11use_defaultESK_EENS0_5tupleIJNSA_16discard_iteratorISK_EESO_EEENSM_IJSG_SG_EEES6_PlJS6_EEE10hipError_tPvRmT3_T4_T5_T6_T7_T9_mT8_P12ihipStream_tbDpT10_ENKUlT_T0_E_clISt17integral_constantIbLb1EES1B_EEDaS16_S17_EUlS16_E_NS1_11comp_targetILNS1_3genE10ELNS1_11target_archE1200ELNS1_3gpuE4ELNS1_3repE0EEENS1_30default_config_static_selectorELNS0_4arch9wavefront6targetE1EEEvT1_,"axG",@progbits,_ZN7rocprim17ROCPRIM_400000_NS6detail17trampoline_kernelINS0_14default_configENS1_25partition_config_selectorILNS1_17partition_subalgoE1ExNS0_10empty_typeEbEEZZNS1_14partition_implILS5_1ELb0ES3_jN6thrust23THRUST_200600_302600_NS6detail15normal_iteratorINSA_10device_ptrIxEEEEPS6_NSA_18transform_iteratorI7is_evenIxESF_NSA_11use_defaultESK_EENS0_5tupleIJNSA_16discard_iteratorISK_EESO_EEENSM_IJSG_SG_EEES6_PlJS6_EEE10hipError_tPvRmT3_T4_T5_T6_T7_T9_mT8_P12ihipStream_tbDpT10_ENKUlT_T0_E_clISt17integral_constantIbLb1EES1B_EEDaS16_S17_EUlS16_E_NS1_11comp_targetILNS1_3genE10ELNS1_11target_archE1200ELNS1_3gpuE4ELNS1_3repE0EEENS1_30default_config_static_selectorELNS0_4arch9wavefront6targetE1EEEvT1_,comdat
	.protected	_ZN7rocprim17ROCPRIM_400000_NS6detail17trampoline_kernelINS0_14default_configENS1_25partition_config_selectorILNS1_17partition_subalgoE1ExNS0_10empty_typeEbEEZZNS1_14partition_implILS5_1ELb0ES3_jN6thrust23THRUST_200600_302600_NS6detail15normal_iteratorINSA_10device_ptrIxEEEEPS6_NSA_18transform_iteratorI7is_evenIxESF_NSA_11use_defaultESK_EENS0_5tupleIJNSA_16discard_iteratorISK_EESO_EEENSM_IJSG_SG_EEES6_PlJS6_EEE10hipError_tPvRmT3_T4_T5_T6_T7_T9_mT8_P12ihipStream_tbDpT10_ENKUlT_T0_E_clISt17integral_constantIbLb1EES1B_EEDaS16_S17_EUlS16_E_NS1_11comp_targetILNS1_3genE10ELNS1_11target_archE1200ELNS1_3gpuE4ELNS1_3repE0EEENS1_30default_config_static_selectorELNS0_4arch9wavefront6targetE1EEEvT1_ ; -- Begin function _ZN7rocprim17ROCPRIM_400000_NS6detail17trampoline_kernelINS0_14default_configENS1_25partition_config_selectorILNS1_17partition_subalgoE1ExNS0_10empty_typeEbEEZZNS1_14partition_implILS5_1ELb0ES3_jN6thrust23THRUST_200600_302600_NS6detail15normal_iteratorINSA_10device_ptrIxEEEEPS6_NSA_18transform_iteratorI7is_evenIxESF_NSA_11use_defaultESK_EENS0_5tupleIJNSA_16discard_iteratorISK_EESO_EEENSM_IJSG_SG_EEES6_PlJS6_EEE10hipError_tPvRmT3_T4_T5_T6_T7_T9_mT8_P12ihipStream_tbDpT10_ENKUlT_T0_E_clISt17integral_constantIbLb1EES1B_EEDaS16_S17_EUlS16_E_NS1_11comp_targetILNS1_3genE10ELNS1_11target_archE1200ELNS1_3gpuE4ELNS1_3repE0EEENS1_30default_config_static_selectorELNS0_4arch9wavefront6targetE1EEEvT1_
	.globl	_ZN7rocprim17ROCPRIM_400000_NS6detail17trampoline_kernelINS0_14default_configENS1_25partition_config_selectorILNS1_17partition_subalgoE1ExNS0_10empty_typeEbEEZZNS1_14partition_implILS5_1ELb0ES3_jN6thrust23THRUST_200600_302600_NS6detail15normal_iteratorINSA_10device_ptrIxEEEEPS6_NSA_18transform_iteratorI7is_evenIxESF_NSA_11use_defaultESK_EENS0_5tupleIJNSA_16discard_iteratorISK_EESO_EEENSM_IJSG_SG_EEES6_PlJS6_EEE10hipError_tPvRmT3_T4_T5_T6_T7_T9_mT8_P12ihipStream_tbDpT10_ENKUlT_T0_E_clISt17integral_constantIbLb1EES1B_EEDaS16_S17_EUlS16_E_NS1_11comp_targetILNS1_3genE10ELNS1_11target_archE1200ELNS1_3gpuE4ELNS1_3repE0EEENS1_30default_config_static_selectorELNS0_4arch9wavefront6targetE1EEEvT1_
	.p2align	8
	.type	_ZN7rocprim17ROCPRIM_400000_NS6detail17trampoline_kernelINS0_14default_configENS1_25partition_config_selectorILNS1_17partition_subalgoE1ExNS0_10empty_typeEbEEZZNS1_14partition_implILS5_1ELb0ES3_jN6thrust23THRUST_200600_302600_NS6detail15normal_iteratorINSA_10device_ptrIxEEEEPS6_NSA_18transform_iteratorI7is_evenIxESF_NSA_11use_defaultESK_EENS0_5tupleIJNSA_16discard_iteratorISK_EESO_EEENSM_IJSG_SG_EEES6_PlJS6_EEE10hipError_tPvRmT3_T4_T5_T6_T7_T9_mT8_P12ihipStream_tbDpT10_ENKUlT_T0_E_clISt17integral_constantIbLb1EES1B_EEDaS16_S17_EUlS16_E_NS1_11comp_targetILNS1_3genE10ELNS1_11target_archE1200ELNS1_3gpuE4ELNS1_3repE0EEENS1_30default_config_static_selectorELNS0_4arch9wavefront6targetE1EEEvT1_,@function
_ZN7rocprim17ROCPRIM_400000_NS6detail17trampoline_kernelINS0_14default_configENS1_25partition_config_selectorILNS1_17partition_subalgoE1ExNS0_10empty_typeEbEEZZNS1_14partition_implILS5_1ELb0ES3_jN6thrust23THRUST_200600_302600_NS6detail15normal_iteratorINSA_10device_ptrIxEEEEPS6_NSA_18transform_iteratorI7is_evenIxESF_NSA_11use_defaultESK_EENS0_5tupleIJNSA_16discard_iteratorISK_EESO_EEENSM_IJSG_SG_EEES6_PlJS6_EEE10hipError_tPvRmT3_T4_T5_T6_T7_T9_mT8_P12ihipStream_tbDpT10_ENKUlT_T0_E_clISt17integral_constantIbLb1EES1B_EEDaS16_S17_EUlS16_E_NS1_11comp_targetILNS1_3genE10ELNS1_11target_archE1200ELNS1_3gpuE4ELNS1_3repE0EEENS1_30default_config_static_selectorELNS0_4arch9wavefront6targetE1EEEvT1_: ; @_ZN7rocprim17ROCPRIM_400000_NS6detail17trampoline_kernelINS0_14default_configENS1_25partition_config_selectorILNS1_17partition_subalgoE1ExNS0_10empty_typeEbEEZZNS1_14partition_implILS5_1ELb0ES3_jN6thrust23THRUST_200600_302600_NS6detail15normal_iteratorINSA_10device_ptrIxEEEEPS6_NSA_18transform_iteratorI7is_evenIxESF_NSA_11use_defaultESK_EENS0_5tupleIJNSA_16discard_iteratorISK_EESO_EEENSM_IJSG_SG_EEES6_PlJS6_EEE10hipError_tPvRmT3_T4_T5_T6_T7_T9_mT8_P12ihipStream_tbDpT10_ENKUlT_T0_E_clISt17integral_constantIbLb1EES1B_EEDaS16_S17_EUlS16_E_NS1_11comp_targetILNS1_3genE10ELNS1_11target_archE1200ELNS1_3gpuE4ELNS1_3repE0EEENS1_30default_config_static_selectorELNS0_4arch9wavefront6targetE1EEEvT1_
; %bb.0:
	.section	.rodata,"a",@progbits
	.p2align	6, 0x0
	.amdhsa_kernel _ZN7rocprim17ROCPRIM_400000_NS6detail17trampoline_kernelINS0_14default_configENS1_25partition_config_selectorILNS1_17partition_subalgoE1ExNS0_10empty_typeEbEEZZNS1_14partition_implILS5_1ELb0ES3_jN6thrust23THRUST_200600_302600_NS6detail15normal_iteratorINSA_10device_ptrIxEEEEPS6_NSA_18transform_iteratorI7is_evenIxESF_NSA_11use_defaultESK_EENS0_5tupleIJNSA_16discard_iteratorISK_EESO_EEENSM_IJSG_SG_EEES6_PlJS6_EEE10hipError_tPvRmT3_T4_T5_T6_T7_T9_mT8_P12ihipStream_tbDpT10_ENKUlT_T0_E_clISt17integral_constantIbLb1EES1B_EEDaS16_S17_EUlS16_E_NS1_11comp_targetILNS1_3genE10ELNS1_11target_archE1200ELNS1_3gpuE4ELNS1_3repE0EEENS1_30default_config_static_selectorELNS0_4arch9wavefront6targetE1EEEvT1_
		.amdhsa_group_segment_fixed_size 0
		.amdhsa_private_segment_fixed_size 0
		.amdhsa_kernarg_size 160
		.amdhsa_user_sgpr_count 2
		.amdhsa_user_sgpr_dispatch_ptr 0
		.amdhsa_user_sgpr_queue_ptr 0
		.amdhsa_user_sgpr_kernarg_segment_ptr 1
		.amdhsa_user_sgpr_dispatch_id 0
		.amdhsa_user_sgpr_kernarg_preload_length 0
		.amdhsa_user_sgpr_kernarg_preload_offset 0
		.amdhsa_user_sgpr_private_segment_size 0
		.amdhsa_uses_dynamic_stack 0
		.amdhsa_enable_private_segment 0
		.amdhsa_system_sgpr_workgroup_id_x 1
		.amdhsa_system_sgpr_workgroup_id_y 0
		.amdhsa_system_sgpr_workgroup_id_z 0
		.amdhsa_system_sgpr_workgroup_info 0
		.amdhsa_system_vgpr_workitem_id 0
		.amdhsa_next_free_vgpr 1
		.amdhsa_next_free_sgpr 0
		.amdhsa_accum_offset 4
		.amdhsa_reserve_vcc 0
		.amdhsa_float_round_mode_32 0
		.amdhsa_float_round_mode_16_64 0
		.amdhsa_float_denorm_mode_32 3
		.amdhsa_float_denorm_mode_16_64 3
		.amdhsa_dx10_clamp 1
		.amdhsa_ieee_mode 1
		.amdhsa_fp16_overflow 0
		.amdhsa_tg_split 0
		.amdhsa_exception_fp_ieee_invalid_op 0
		.amdhsa_exception_fp_denorm_src 0
		.amdhsa_exception_fp_ieee_div_zero 0
		.amdhsa_exception_fp_ieee_overflow 0
		.amdhsa_exception_fp_ieee_underflow 0
		.amdhsa_exception_fp_ieee_inexact 0
		.amdhsa_exception_int_div_zero 0
	.end_amdhsa_kernel
	.section	.text._ZN7rocprim17ROCPRIM_400000_NS6detail17trampoline_kernelINS0_14default_configENS1_25partition_config_selectorILNS1_17partition_subalgoE1ExNS0_10empty_typeEbEEZZNS1_14partition_implILS5_1ELb0ES3_jN6thrust23THRUST_200600_302600_NS6detail15normal_iteratorINSA_10device_ptrIxEEEEPS6_NSA_18transform_iteratorI7is_evenIxESF_NSA_11use_defaultESK_EENS0_5tupleIJNSA_16discard_iteratorISK_EESO_EEENSM_IJSG_SG_EEES6_PlJS6_EEE10hipError_tPvRmT3_T4_T5_T6_T7_T9_mT8_P12ihipStream_tbDpT10_ENKUlT_T0_E_clISt17integral_constantIbLb1EES1B_EEDaS16_S17_EUlS16_E_NS1_11comp_targetILNS1_3genE10ELNS1_11target_archE1200ELNS1_3gpuE4ELNS1_3repE0EEENS1_30default_config_static_selectorELNS0_4arch9wavefront6targetE1EEEvT1_,"axG",@progbits,_ZN7rocprim17ROCPRIM_400000_NS6detail17trampoline_kernelINS0_14default_configENS1_25partition_config_selectorILNS1_17partition_subalgoE1ExNS0_10empty_typeEbEEZZNS1_14partition_implILS5_1ELb0ES3_jN6thrust23THRUST_200600_302600_NS6detail15normal_iteratorINSA_10device_ptrIxEEEEPS6_NSA_18transform_iteratorI7is_evenIxESF_NSA_11use_defaultESK_EENS0_5tupleIJNSA_16discard_iteratorISK_EESO_EEENSM_IJSG_SG_EEES6_PlJS6_EEE10hipError_tPvRmT3_T4_T5_T6_T7_T9_mT8_P12ihipStream_tbDpT10_ENKUlT_T0_E_clISt17integral_constantIbLb1EES1B_EEDaS16_S17_EUlS16_E_NS1_11comp_targetILNS1_3genE10ELNS1_11target_archE1200ELNS1_3gpuE4ELNS1_3repE0EEENS1_30default_config_static_selectorELNS0_4arch9wavefront6targetE1EEEvT1_,comdat
.Lfunc_end3176:
	.size	_ZN7rocprim17ROCPRIM_400000_NS6detail17trampoline_kernelINS0_14default_configENS1_25partition_config_selectorILNS1_17partition_subalgoE1ExNS0_10empty_typeEbEEZZNS1_14partition_implILS5_1ELb0ES3_jN6thrust23THRUST_200600_302600_NS6detail15normal_iteratorINSA_10device_ptrIxEEEEPS6_NSA_18transform_iteratorI7is_evenIxESF_NSA_11use_defaultESK_EENS0_5tupleIJNSA_16discard_iteratorISK_EESO_EEENSM_IJSG_SG_EEES6_PlJS6_EEE10hipError_tPvRmT3_T4_T5_T6_T7_T9_mT8_P12ihipStream_tbDpT10_ENKUlT_T0_E_clISt17integral_constantIbLb1EES1B_EEDaS16_S17_EUlS16_E_NS1_11comp_targetILNS1_3genE10ELNS1_11target_archE1200ELNS1_3gpuE4ELNS1_3repE0EEENS1_30default_config_static_selectorELNS0_4arch9wavefront6targetE1EEEvT1_, .Lfunc_end3176-_ZN7rocprim17ROCPRIM_400000_NS6detail17trampoline_kernelINS0_14default_configENS1_25partition_config_selectorILNS1_17partition_subalgoE1ExNS0_10empty_typeEbEEZZNS1_14partition_implILS5_1ELb0ES3_jN6thrust23THRUST_200600_302600_NS6detail15normal_iteratorINSA_10device_ptrIxEEEEPS6_NSA_18transform_iteratorI7is_evenIxESF_NSA_11use_defaultESK_EENS0_5tupleIJNSA_16discard_iteratorISK_EESO_EEENSM_IJSG_SG_EEES6_PlJS6_EEE10hipError_tPvRmT3_T4_T5_T6_T7_T9_mT8_P12ihipStream_tbDpT10_ENKUlT_T0_E_clISt17integral_constantIbLb1EES1B_EEDaS16_S17_EUlS16_E_NS1_11comp_targetILNS1_3genE10ELNS1_11target_archE1200ELNS1_3gpuE4ELNS1_3repE0EEENS1_30default_config_static_selectorELNS0_4arch9wavefront6targetE1EEEvT1_
                                        ; -- End function
	.section	.AMDGPU.csdata,"",@progbits
; Kernel info:
; codeLenInByte = 0
; NumSgprs: 6
; NumVgprs: 0
; NumAgprs: 0
; TotalNumVgprs: 0
; ScratchSize: 0
; MemoryBound: 0
; FloatMode: 240
; IeeeMode: 1
; LDSByteSize: 0 bytes/workgroup (compile time only)
; SGPRBlocks: 0
; VGPRBlocks: 0
; NumSGPRsForWavesPerEU: 6
; NumVGPRsForWavesPerEU: 1
; AccumOffset: 4
; Occupancy: 8
; WaveLimiterHint : 0
; COMPUTE_PGM_RSRC2:SCRATCH_EN: 0
; COMPUTE_PGM_RSRC2:USER_SGPR: 2
; COMPUTE_PGM_RSRC2:TRAP_HANDLER: 0
; COMPUTE_PGM_RSRC2:TGID_X_EN: 1
; COMPUTE_PGM_RSRC2:TGID_Y_EN: 0
; COMPUTE_PGM_RSRC2:TGID_Z_EN: 0
; COMPUTE_PGM_RSRC2:TIDIG_COMP_CNT: 0
; COMPUTE_PGM_RSRC3_GFX90A:ACCUM_OFFSET: 0
; COMPUTE_PGM_RSRC3_GFX90A:TG_SPLIT: 0
	.section	.text._ZN7rocprim17ROCPRIM_400000_NS6detail17trampoline_kernelINS0_14default_configENS1_25partition_config_selectorILNS1_17partition_subalgoE1ExNS0_10empty_typeEbEEZZNS1_14partition_implILS5_1ELb0ES3_jN6thrust23THRUST_200600_302600_NS6detail15normal_iteratorINSA_10device_ptrIxEEEEPS6_NSA_18transform_iteratorI7is_evenIxESF_NSA_11use_defaultESK_EENS0_5tupleIJNSA_16discard_iteratorISK_EESO_EEENSM_IJSG_SG_EEES6_PlJS6_EEE10hipError_tPvRmT3_T4_T5_T6_T7_T9_mT8_P12ihipStream_tbDpT10_ENKUlT_T0_E_clISt17integral_constantIbLb1EES1B_EEDaS16_S17_EUlS16_E_NS1_11comp_targetILNS1_3genE9ELNS1_11target_archE1100ELNS1_3gpuE3ELNS1_3repE0EEENS1_30default_config_static_selectorELNS0_4arch9wavefront6targetE1EEEvT1_,"axG",@progbits,_ZN7rocprim17ROCPRIM_400000_NS6detail17trampoline_kernelINS0_14default_configENS1_25partition_config_selectorILNS1_17partition_subalgoE1ExNS0_10empty_typeEbEEZZNS1_14partition_implILS5_1ELb0ES3_jN6thrust23THRUST_200600_302600_NS6detail15normal_iteratorINSA_10device_ptrIxEEEEPS6_NSA_18transform_iteratorI7is_evenIxESF_NSA_11use_defaultESK_EENS0_5tupleIJNSA_16discard_iteratorISK_EESO_EEENSM_IJSG_SG_EEES6_PlJS6_EEE10hipError_tPvRmT3_T4_T5_T6_T7_T9_mT8_P12ihipStream_tbDpT10_ENKUlT_T0_E_clISt17integral_constantIbLb1EES1B_EEDaS16_S17_EUlS16_E_NS1_11comp_targetILNS1_3genE9ELNS1_11target_archE1100ELNS1_3gpuE3ELNS1_3repE0EEENS1_30default_config_static_selectorELNS0_4arch9wavefront6targetE1EEEvT1_,comdat
	.protected	_ZN7rocprim17ROCPRIM_400000_NS6detail17trampoline_kernelINS0_14default_configENS1_25partition_config_selectorILNS1_17partition_subalgoE1ExNS0_10empty_typeEbEEZZNS1_14partition_implILS5_1ELb0ES3_jN6thrust23THRUST_200600_302600_NS6detail15normal_iteratorINSA_10device_ptrIxEEEEPS6_NSA_18transform_iteratorI7is_evenIxESF_NSA_11use_defaultESK_EENS0_5tupleIJNSA_16discard_iteratorISK_EESO_EEENSM_IJSG_SG_EEES6_PlJS6_EEE10hipError_tPvRmT3_T4_T5_T6_T7_T9_mT8_P12ihipStream_tbDpT10_ENKUlT_T0_E_clISt17integral_constantIbLb1EES1B_EEDaS16_S17_EUlS16_E_NS1_11comp_targetILNS1_3genE9ELNS1_11target_archE1100ELNS1_3gpuE3ELNS1_3repE0EEENS1_30default_config_static_selectorELNS0_4arch9wavefront6targetE1EEEvT1_ ; -- Begin function _ZN7rocprim17ROCPRIM_400000_NS6detail17trampoline_kernelINS0_14default_configENS1_25partition_config_selectorILNS1_17partition_subalgoE1ExNS0_10empty_typeEbEEZZNS1_14partition_implILS5_1ELb0ES3_jN6thrust23THRUST_200600_302600_NS6detail15normal_iteratorINSA_10device_ptrIxEEEEPS6_NSA_18transform_iteratorI7is_evenIxESF_NSA_11use_defaultESK_EENS0_5tupleIJNSA_16discard_iteratorISK_EESO_EEENSM_IJSG_SG_EEES6_PlJS6_EEE10hipError_tPvRmT3_T4_T5_T6_T7_T9_mT8_P12ihipStream_tbDpT10_ENKUlT_T0_E_clISt17integral_constantIbLb1EES1B_EEDaS16_S17_EUlS16_E_NS1_11comp_targetILNS1_3genE9ELNS1_11target_archE1100ELNS1_3gpuE3ELNS1_3repE0EEENS1_30default_config_static_selectorELNS0_4arch9wavefront6targetE1EEEvT1_
	.globl	_ZN7rocprim17ROCPRIM_400000_NS6detail17trampoline_kernelINS0_14default_configENS1_25partition_config_selectorILNS1_17partition_subalgoE1ExNS0_10empty_typeEbEEZZNS1_14partition_implILS5_1ELb0ES3_jN6thrust23THRUST_200600_302600_NS6detail15normal_iteratorINSA_10device_ptrIxEEEEPS6_NSA_18transform_iteratorI7is_evenIxESF_NSA_11use_defaultESK_EENS0_5tupleIJNSA_16discard_iteratorISK_EESO_EEENSM_IJSG_SG_EEES6_PlJS6_EEE10hipError_tPvRmT3_T4_T5_T6_T7_T9_mT8_P12ihipStream_tbDpT10_ENKUlT_T0_E_clISt17integral_constantIbLb1EES1B_EEDaS16_S17_EUlS16_E_NS1_11comp_targetILNS1_3genE9ELNS1_11target_archE1100ELNS1_3gpuE3ELNS1_3repE0EEENS1_30default_config_static_selectorELNS0_4arch9wavefront6targetE1EEEvT1_
	.p2align	8
	.type	_ZN7rocprim17ROCPRIM_400000_NS6detail17trampoline_kernelINS0_14default_configENS1_25partition_config_selectorILNS1_17partition_subalgoE1ExNS0_10empty_typeEbEEZZNS1_14partition_implILS5_1ELb0ES3_jN6thrust23THRUST_200600_302600_NS6detail15normal_iteratorINSA_10device_ptrIxEEEEPS6_NSA_18transform_iteratorI7is_evenIxESF_NSA_11use_defaultESK_EENS0_5tupleIJNSA_16discard_iteratorISK_EESO_EEENSM_IJSG_SG_EEES6_PlJS6_EEE10hipError_tPvRmT3_T4_T5_T6_T7_T9_mT8_P12ihipStream_tbDpT10_ENKUlT_T0_E_clISt17integral_constantIbLb1EES1B_EEDaS16_S17_EUlS16_E_NS1_11comp_targetILNS1_3genE9ELNS1_11target_archE1100ELNS1_3gpuE3ELNS1_3repE0EEENS1_30default_config_static_selectorELNS0_4arch9wavefront6targetE1EEEvT1_,@function
_ZN7rocprim17ROCPRIM_400000_NS6detail17trampoline_kernelINS0_14default_configENS1_25partition_config_selectorILNS1_17partition_subalgoE1ExNS0_10empty_typeEbEEZZNS1_14partition_implILS5_1ELb0ES3_jN6thrust23THRUST_200600_302600_NS6detail15normal_iteratorINSA_10device_ptrIxEEEEPS6_NSA_18transform_iteratorI7is_evenIxESF_NSA_11use_defaultESK_EENS0_5tupleIJNSA_16discard_iteratorISK_EESO_EEENSM_IJSG_SG_EEES6_PlJS6_EEE10hipError_tPvRmT3_T4_T5_T6_T7_T9_mT8_P12ihipStream_tbDpT10_ENKUlT_T0_E_clISt17integral_constantIbLb1EES1B_EEDaS16_S17_EUlS16_E_NS1_11comp_targetILNS1_3genE9ELNS1_11target_archE1100ELNS1_3gpuE3ELNS1_3repE0EEENS1_30default_config_static_selectorELNS0_4arch9wavefront6targetE1EEEvT1_: ; @_ZN7rocprim17ROCPRIM_400000_NS6detail17trampoline_kernelINS0_14default_configENS1_25partition_config_selectorILNS1_17partition_subalgoE1ExNS0_10empty_typeEbEEZZNS1_14partition_implILS5_1ELb0ES3_jN6thrust23THRUST_200600_302600_NS6detail15normal_iteratorINSA_10device_ptrIxEEEEPS6_NSA_18transform_iteratorI7is_evenIxESF_NSA_11use_defaultESK_EENS0_5tupleIJNSA_16discard_iteratorISK_EESO_EEENSM_IJSG_SG_EEES6_PlJS6_EEE10hipError_tPvRmT3_T4_T5_T6_T7_T9_mT8_P12ihipStream_tbDpT10_ENKUlT_T0_E_clISt17integral_constantIbLb1EES1B_EEDaS16_S17_EUlS16_E_NS1_11comp_targetILNS1_3genE9ELNS1_11target_archE1100ELNS1_3gpuE3ELNS1_3repE0EEENS1_30default_config_static_selectorELNS0_4arch9wavefront6targetE1EEEvT1_
; %bb.0:
	.section	.rodata,"a",@progbits
	.p2align	6, 0x0
	.amdhsa_kernel _ZN7rocprim17ROCPRIM_400000_NS6detail17trampoline_kernelINS0_14default_configENS1_25partition_config_selectorILNS1_17partition_subalgoE1ExNS0_10empty_typeEbEEZZNS1_14partition_implILS5_1ELb0ES3_jN6thrust23THRUST_200600_302600_NS6detail15normal_iteratorINSA_10device_ptrIxEEEEPS6_NSA_18transform_iteratorI7is_evenIxESF_NSA_11use_defaultESK_EENS0_5tupleIJNSA_16discard_iteratorISK_EESO_EEENSM_IJSG_SG_EEES6_PlJS6_EEE10hipError_tPvRmT3_T4_T5_T6_T7_T9_mT8_P12ihipStream_tbDpT10_ENKUlT_T0_E_clISt17integral_constantIbLb1EES1B_EEDaS16_S17_EUlS16_E_NS1_11comp_targetILNS1_3genE9ELNS1_11target_archE1100ELNS1_3gpuE3ELNS1_3repE0EEENS1_30default_config_static_selectorELNS0_4arch9wavefront6targetE1EEEvT1_
		.amdhsa_group_segment_fixed_size 0
		.amdhsa_private_segment_fixed_size 0
		.amdhsa_kernarg_size 160
		.amdhsa_user_sgpr_count 2
		.amdhsa_user_sgpr_dispatch_ptr 0
		.amdhsa_user_sgpr_queue_ptr 0
		.amdhsa_user_sgpr_kernarg_segment_ptr 1
		.amdhsa_user_sgpr_dispatch_id 0
		.amdhsa_user_sgpr_kernarg_preload_length 0
		.amdhsa_user_sgpr_kernarg_preload_offset 0
		.amdhsa_user_sgpr_private_segment_size 0
		.amdhsa_uses_dynamic_stack 0
		.amdhsa_enable_private_segment 0
		.amdhsa_system_sgpr_workgroup_id_x 1
		.amdhsa_system_sgpr_workgroup_id_y 0
		.amdhsa_system_sgpr_workgroup_id_z 0
		.amdhsa_system_sgpr_workgroup_info 0
		.amdhsa_system_vgpr_workitem_id 0
		.amdhsa_next_free_vgpr 1
		.amdhsa_next_free_sgpr 0
		.amdhsa_accum_offset 4
		.amdhsa_reserve_vcc 0
		.amdhsa_float_round_mode_32 0
		.amdhsa_float_round_mode_16_64 0
		.amdhsa_float_denorm_mode_32 3
		.amdhsa_float_denorm_mode_16_64 3
		.amdhsa_dx10_clamp 1
		.amdhsa_ieee_mode 1
		.amdhsa_fp16_overflow 0
		.amdhsa_tg_split 0
		.amdhsa_exception_fp_ieee_invalid_op 0
		.amdhsa_exception_fp_denorm_src 0
		.amdhsa_exception_fp_ieee_div_zero 0
		.amdhsa_exception_fp_ieee_overflow 0
		.amdhsa_exception_fp_ieee_underflow 0
		.amdhsa_exception_fp_ieee_inexact 0
		.amdhsa_exception_int_div_zero 0
	.end_amdhsa_kernel
	.section	.text._ZN7rocprim17ROCPRIM_400000_NS6detail17trampoline_kernelINS0_14default_configENS1_25partition_config_selectorILNS1_17partition_subalgoE1ExNS0_10empty_typeEbEEZZNS1_14partition_implILS5_1ELb0ES3_jN6thrust23THRUST_200600_302600_NS6detail15normal_iteratorINSA_10device_ptrIxEEEEPS6_NSA_18transform_iteratorI7is_evenIxESF_NSA_11use_defaultESK_EENS0_5tupleIJNSA_16discard_iteratorISK_EESO_EEENSM_IJSG_SG_EEES6_PlJS6_EEE10hipError_tPvRmT3_T4_T5_T6_T7_T9_mT8_P12ihipStream_tbDpT10_ENKUlT_T0_E_clISt17integral_constantIbLb1EES1B_EEDaS16_S17_EUlS16_E_NS1_11comp_targetILNS1_3genE9ELNS1_11target_archE1100ELNS1_3gpuE3ELNS1_3repE0EEENS1_30default_config_static_selectorELNS0_4arch9wavefront6targetE1EEEvT1_,"axG",@progbits,_ZN7rocprim17ROCPRIM_400000_NS6detail17trampoline_kernelINS0_14default_configENS1_25partition_config_selectorILNS1_17partition_subalgoE1ExNS0_10empty_typeEbEEZZNS1_14partition_implILS5_1ELb0ES3_jN6thrust23THRUST_200600_302600_NS6detail15normal_iteratorINSA_10device_ptrIxEEEEPS6_NSA_18transform_iteratorI7is_evenIxESF_NSA_11use_defaultESK_EENS0_5tupleIJNSA_16discard_iteratorISK_EESO_EEENSM_IJSG_SG_EEES6_PlJS6_EEE10hipError_tPvRmT3_T4_T5_T6_T7_T9_mT8_P12ihipStream_tbDpT10_ENKUlT_T0_E_clISt17integral_constantIbLb1EES1B_EEDaS16_S17_EUlS16_E_NS1_11comp_targetILNS1_3genE9ELNS1_11target_archE1100ELNS1_3gpuE3ELNS1_3repE0EEENS1_30default_config_static_selectorELNS0_4arch9wavefront6targetE1EEEvT1_,comdat
.Lfunc_end3177:
	.size	_ZN7rocprim17ROCPRIM_400000_NS6detail17trampoline_kernelINS0_14default_configENS1_25partition_config_selectorILNS1_17partition_subalgoE1ExNS0_10empty_typeEbEEZZNS1_14partition_implILS5_1ELb0ES3_jN6thrust23THRUST_200600_302600_NS6detail15normal_iteratorINSA_10device_ptrIxEEEEPS6_NSA_18transform_iteratorI7is_evenIxESF_NSA_11use_defaultESK_EENS0_5tupleIJNSA_16discard_iteratorISK_EESO_EEENSM_IJSG_SG_EEES6_PlJS6_EEE10hipError_tPvRmT3_T4_T5_T6_T7_T9_mT8_P12ihipStream_tbDpT10_ENKUlT_T0_E_clISt17integral_constantIbLb1EES1B_EEDaS16_S17_EUlS16_E_NS1_11comp_targetILNS1_3genE9ELNS1_11target_archE1100ELNS1_3gpuE3ELNS1_3repE0EEENS1_30default_config_static_selectorELNS0_4arch9wavefront6targetE1EEEvT1_, .Lfunc_end3177-_ZN7rocprim17ROCPRIM_400000_NS6detail17trampoline_kernelINS0_14default_configENS1_25partition_config_selectorILNS1_17partition_subalgoE1ExNS0_10empty_typeEbEEZZNS1_14partition_implILS5_1ELb0ES3_jN6thrust23THRUST_200600_302600_NS6detail15normal_iteratorINSA_10device_ptrIxEEEEPS6_NSA_18transform_iteratorI7is_evenIxESF_NSA_11use_defaultESK_EENS0_5tupleIJNSA_16discard_iteratorISK_EESO_EEENSM_IJSG_SG_EEES6_PlJS6_EEE10hipError_tPvRmT3_T4_T5_T6_T7_T9_mT8_P12ihipStream_tbDpT10_ENKUlT_T0_E_clISt17integral_constantIbLb1EES1B_EEDaS16_S17_EUlS16_E_NS1_11comp_targetILNS1_3genE9ELNS1_11target_archE1100ELNS1_3gpuE3ELNS1_3repE0EEENS1_30default_config_static_selectorELNS0_4arch9wavefront6targetE1EEEvT1_
                                        ; -- End function
	.section	.AMDGPU.csdata,"",@progbits
; Kernel info:
; codeLenInByte = 0
; NumSgprs: 6
; NumVgprs: 0
; NumAgprs: 0
; TotalNumVgprs: 0
; ScratchSize: 0
; MemoryBound: 0
; FloatMode: 240
; IeeeMode: 1
; LDSByteSize: 0 bytes/workgroup (compile time only)
; SGPRBlocks: 0
; VGPRBlocks: 0
; NumSGPRsForWavesPerEU: 6
; NumVGPRsForWavesPerEU: 1
; AccumOffset: 4
; Occupancy: 8
; WaveLimiterHint : 0
; COMPUTE_PGM_RSRC2:SCRATCH_EN: 0
; COMPUTE_PGM_RSRC2:USER_SGPR: 2
; COMPUTE_PGM_RSRC2:TRAP_HANDLER: 0
; COMPUTE_PGM_RSRC2:TGID_X_EN: 1
; COMPUTE_PGM_RSRC2:TGID_Y_EN: 0
; COMPUTE_PGM_RSRC2:TGID_Z_EN: 0
; COMPUTE_PGM_RSRC2:TIDIG_COMP_CNT: 0
; COMPUTE_PGM_RSRC3_GFX90A:ACCUM_OFFSET: 0
; COMPUTE_PGM_RSRC3_GFX90A:TG_SPLIT: 0
	.section	.text._ZN7rocprim17ROCPRIM_400000_NS6detail17trampoline_kernelINS0_14default_configENS1_25partition_config_selectorILNS1_17partition_subalgoE1ExNS0_10empty_typeEbEEZZNS1_14partition_implILS5_1ELb0ES3_jN6thrust23THRUST_200600_302600_NS6detail15normal_iteratorINSA_10device_ptrIxEEEEPS6_NSA_18transform_iteratorI7is_evenIxESF_NSA_11use_defaultESK_EENS0_5tupleIJNSA_16discard_iteratorISK_EESO_EEENSM_IJSG_SG_EEES6_PlJS6_EEE10hipError_tPvRmT3_T4_T5_T6_T7_T9_mT8_P12ihipStream_tbDpT10_ENKUlT_T0_E_clISt17integral_constantIbLb1EES1B_EEDaS16_S17_EUlS16_E_NS1_11comp_targetILNS1_3genE8ELNS1_11target_archE1030ELNS1_3gpuE2ELNS1_3repE0EEENS1_30default_config_static_selectorELNS0_4arch9wavefront6targetE1EEEvT1_,"axG",@progbits,_ZN7rocprim17ROCPRIM_400000_NS6detail17trampoline_kernelINS0_14default_configENS1_25partition_config_selectorILNS1_17partition_subalgoE1ExNS0_10empty_typeEbEEZZNS1_14partition_implILS5_1ELb0ES3_jN6thrust23THRUST_200600_302600_NS6detail15normal_iteratorINSA_10device_ptrIxEEEEPS6_NSA_18transform_iteratorI7is_evenIxESF_NSA_11use_defaultESK_EENS0_5tupleIJNSA_16discard_iteratorISK_EESO_EEENSM_IJSG_SG_EEES6_PlJS6_EEE10hipError_tPvRmT3_T4_T5_T6_T7_T9_mT8_P12ihipStream_tbDpT10_ENKUlT_T0_E_clISt17integral_constantIbLb1EES1B_EEDaS16_S17_EUlS16_E_NS1_11comp_targetILNS1_3genE8ELNS1_11target_archE1030ELNS1_3gpuE2ELNS1_3repE0EEENS1_30default_config_static_selectorELNS0_4arch9wavefront6targetE1EEEvT1_,comdat
	.protected	_ZN7rocprim17ROCPRIM_400000_NS6detail17trampoline_kernelINS0_14default_configENS1_25partition_config_selectorILNS1_17partition_subalgoE1ExNS0_10empty_typeEbEEZZNS1_14partition_implILS5_1ELb0ES3_jN6thrust23THRUST_200600_302600_NS6detail15normal_iteratorINSA_10device_ptrIxEEEEPS6_NSA_18transform_iteratorI7is_evenIxESF_NSA_11use_defaultESK_EENS0_5tupleIJNSA_16discard_iteratorISK_EESO_EEENSM_IJSG_SG_EEES6_PlJS6_EEE10hipError_tPvRmT3_T4_T5_T6_T7_T9_mT8_P12ihipStream_tbDpT10_ENKUlT_T0_E_clISt17integral_constantIbLb1EES1B_EEDaS16_S17_EUlS16_E_NS1_11comp_targetILNS1_3genE8ELNS1_11target_archE1030ELNS1_3gpuE2ELNS1_3repE0EEENS1_30default_config_static_selectorELNS0_4arch9wavefront6targetE1EEEvT1_ ; -- Begin function _ZN7rocprim17ROCPRIM_400000_NS6detail17trampoline_kernelINS0_14default_configENS1_25partition_config_selectorILNS1_17partition_subalgoE1ExNS0_10empty_typeEbEEZZNS1_14partition_implILS5_1ELb0ES3_jN6thrust23THRUST_200600_302600_NS6detail15normal_iteratorINSA_10device_ptrIxEEEEPS6_NSA_18transform_iteratorI7is_evenIxESF_NSA_11use_defaultESK_EENS0_5tupleIJNSA_16discard_iteratorISK_EESO_EEENSM_IJSG_SG_EEES6_PlJS6_EEE10hipError_tPvRmT3_T4_T5_T6_T7_T9_mT8_P12ihipStream_tbDpT10_ENKUlT_T0_E_clISt17integral_constantIbLb1EES1B_EEDaS16_S17_EUlS16_E_NS1_11comp_targetILNS1_3genE8ELNS1_11target_archE1030ELNS1_3gpuE2ELNS1_3repE0EEENS1_30default_config_static_selectorELNS0_4arch9wavefront6targetE1EEEvT1_
	.globl	_ZN7rocprim17ROCPRIM_400000_NS6detail17trampoline_kernelINS0_14default_configENS1_25partition_config_selectorILNS1_17partition_subalgoE1ExNS0_10empty_typeEbEEZZNS1_14partition_implILS5_1ELb0ES3_jN6thrust23THRUST_200600_302600_NS6detail15normal_iteratorINSA_10device_ptrIxEEEEPS6_NSA_18transform_iteratorI7is_evenIxESF_NSA_11use_defaultESK_EENS0_5tupleIJNSA_16discard_iteratorISK_EESO_EEENSM_IJSG_SG_EEES6_PlJS6_EEE10hipError_tPvRmT3_T4_T5_T6_T7_T9_mT8_P12ihipStream_tbDpT10_ENKUlT_T0_E_clISt17integral_constantIbLb1EES1B_EEDaS16_S17_EUlS16_E_NS1_11comp_targetILNS1_3genE8ELNS1_11target_archE1030ELNS1_3gpuE2ELNS1_3repE0EEENS1_30default_config_static_selectorELNS0_4arch9wavefront6targetE1EEEvT1_
	.p2align	8
	.type	_ZN7rocprim17ROCPRIM_400000_NS6detail17trampoline_kernelINS0_14default_configENS1_25partition_config_selectorILNS1_17partition_subalgoE1ExNS0_10empty_typeEbEEZZNS1_14partition_implILS5_1ELb0ES3_jN6thrust23THRUST_200600_302600_NS6detail15normal_iteratorINSA_10device_ptrIxEEEEPS6_NSA_18transform_iteratorI7is_evenIxESF_NSA_11use_defaultESK_EENS0_5tupleIJNSA_16discard_iteratorISK_EESO_EEENSM_IJSG_SG_EEES6_PlJS6_EEE10hipError_tPvRmT3_T4_T5_T6_T7_T9_mT8_P12ihipStream_tbDpT10_ENKUlT_T0_E_clISt17integral_constantIbLb1EES1B_EEDaS16_S17_EUlS16_E_NS1_11comp_targetILNS1_3genE8ELNS1_11target_archE1030ELNS1_3gpuE2ELNS1_3repE0EEENS1_30default_config_static_selectorELNS0_4arch9wavefront6targetE1EEEvT1_,@function
_ZN7rocprim17ROCPRIM_400000_NS6detail17trampoline_kernelINS0_14default_configENS1_25partition_config_selectorILNS1_17partition_subalgoE1ExNS0_10empty_typeEbEEZZNS1_14partition_implILS5_1ELb0ES3_jN6thrust23THRUST_200600_302600_NS6detail15normal_iteratorINSA_10device_ptrIxEEEEPS6_NSA_18transform_iteratorI7is_evenIxESF_NSA_11use_defaultESK_EENS0_5tupleIJNSA_16discard_iteratorISK_EESO_EEENSM_IJSG_SG_EEES6_PlJS6_EEE10hipError_tPvRmT3_T4_T5_T6_T7_T9_mT8_P12ihipStream_tbDpT10_ENKUlT_T0_E_clISt17integral_constantIbLb1EES1B_EEDaS16_S17_EUlS16_E_NS1_11comp_targetILNS1_3genE8ELNS1_11target_archE1030ELNS1_3gpuE2ELNS1_3repE0EEENS1_30default_config_static_selectorELNS0_4arch9wavefront6targetE1EEEvT1_: ; @_ZN7rocprim17ROCPRIM_400000_NS6detail17trampoline_kernelINS0_14default_configENS1_25partition_config_selectorILNS1_17partition_subalgoE1ExNS0_10empty_typeEbEEZZNS1_14partition_implILS5_1ELb0ES3_jN6thrust23THRUST_200600_302600_NS6detail15normal_iteratorINSA_10device_ptrIxEEEEPS6_NSA_18transform_iteratorI7is_evenIxESF_NSA_11use_defaultESK_EENS0_5tupleIJNSA_16discard_iteratorISK_EESO_EEENSM_IJSG_SG_EEES6_PlJS6_EEE10hipError_tPvRmT3_T4_T5_T6_T7_T9_mT8_P12ihipStream_tbDpT10_ENKUlT_T0_E_clISt17integral_constantIbLb1EES1B_EEDaS16_S17_EUlS16_E_NS1_11comp_targetILNS1_3genE8ELNS1_11target_archE1030ELNS1_3gpuE2ELNS1_3repE0EEENS1_30default_config_static_selectorELNS0_4arch9wavefront6targetE1EEEvT1_
; %bb.0:
	.section	.rodata,"a",@progbits
	.p2align	6, 0x0
	.amdhsa_kernel _ZN7rocprim17ROCPRIM_400000_NS6detail17trampoline_kernelINS0_14default_configENS1_25partition_config_selectorILNS1_17partition_subalgoE1ExNS0_10empty_typeEbEEZZNS1_14partition_implILS5_1ELb0ES3_jN6thrust23THRUST_200600_302600_NS6detail15normal_iteratorINSA_10device_ptrIxEEEEPS6_NSA_18transform_iteratorI7is_evenIxESF_NSA_11use_defaultESK_EENS0_5tupleIJNSA_16discard_iteratorISK_EESO_EEENSM_IJSG_SG_EEES6_PlJS6_EEE10hipError_tPvRmT3_T4_T5_T6_T7_T9_mT8_P12ihipStream_tbDpT10_ENKUlT_T0_E_clISt17integral_constantIbLb1EES1B_EEDaS16_S17_EUlS16_E_NS1_11comp_targetILNS1_3genE8ELNS1_11target_archE1030ELNS1_3gpuE2ELNS1_3repE0EEENS1_30default_config_static_selectorELNS0_4arch9wavefront6targetE1EEEvT1_
		.amdhsa_group_segment_fixed_size 0
		.amdhsa_private_segment_fixed_size 0
		.amdhsa_kernarg_size 160
		.amdhsa_user_sgpr_count 2
		.amdhsa_user_sgpr_dispatch_ptr 0
		.amdhsa_user_sgpr_queue_ptr 0
		.amdhsa_user_sgpr_kernarg_segment_ptr 1
		.amdhsa_user_sgpr_dispatch_id 0
		.amdhsa_user_sgpr_kernarg_preload_length 0
		.amdhsa_user_sgpr_kernarg_preload_offset 0
		.amdhsa_user_sgpr_private_segment_size 0
		.amdhsa_uses_dynamic_stack 0
		.amdhsa_enable_private_segment 0
		.amdhsa_system_sgpr_workgroup_id_x 1
		.amdhsa_system_sgpr_workgroup_id_y 0
		.amdhsa_system_sgpr_workgroup_id_z 0
		.amdhsa_system_sgpr_workgroup_info 0
		.amdhsa_system_vgpr_workitem_id 0
		.amdhsa_next_free_vgpr 1
		.amdhsa_next_free_sgpr 0
		.amdhsa_accum_offset 4
		.amdhsa_reserve_vcc 0
		.amdhsa_float_round_mode_32 0
		.amdhsa_float_round_mode_16_64 0
		.amdhsa_float_denorm_mode_32 3
		.amdhsa_float_denorm_mode_16_64 3
		.amdhsa_dx10_clamp 1
		.amdhsa_ieee_mode 1
		.amdhsa_fp16_overflow 0
		.amdhsa_tg_split 0
		.amdhsa_exception_fp_ieee_invalid_op 0
		.amdhsa_exception_fp_denorm_src 0
		.amdhsa_exception_fp_ieee_div_zero 0
		.amdhsa_exception_fp_ieee_overflow 0
		.amdhsa_exception_fp_ieee_underflow 0
		.amdhsa_exception_fp_ieee_inexact 0
		.amdhsa_exception_int_div_zero 0
	.end_amdhsa_kernel
	.section	.text._ZN7rocprim17ROCPRIM_400000_NS6detail17trampoline_kernelINS0_14default_configENS1_25partition_config_selectorILNS1_17partition_subalgoE1ExNS0_10empty_typeEbEEZZNS1_14partition_implILS5_1ELb0ES3_jN6thrust23THRUST_200600_302600_NS6detail15normal_iteratorINSA_10device_ptrIxEEEEPS6_NSA_18transform_iteratorI7is_evenIxESF_NSA_11use_defaultESK_EENS0_5tupleIJNSA_16discard_iteratorISK_EESO_EEENSM_IJSG_SG_EEES6_PlJS6_EEE10hipError_tPvRmT3_T4_T5_T6_T7_T9_mT8_P12ihipStream_tbDpT10_ENKUlT_T0_E_clISt17integral_constantIbLb1EES1B_EEDaS16_S17_EUlS16_E_NS1_11comp_targetILNS1_3genE8ELNS1_11target_archE1030ELNS1_3gpuE2ELNS1_3repE0EEENS1_30default_config_static_selectorELNS0_4arch9wavefront6targetE1EEEvT1_,"axG",@progbits,_ZN7rocprim17ROCPRIM_400000_NS6detail17trampoline_kernelINS0_14default_configENS1_25partition_config_selectorILNS1_17partition_subalgoE1ExNS0_10empty_typeEbEEZZNS1_14partition_implILS5_1ELb0ES3_jN6thrust23THRUST_200600_302600_NS6detail15normal_iteratorINSA_10device_ptrIxEEEEPS6_NSA_18transform_iteratorI7is_evenIxESF_NSA_11use_defaultESK_EENS0_5tupleIJNSA_16discard_iteratorISK_EESO_EEENSM_IJSG_SG_EEES6_PlJS6_EEE10hipError_tPvRmT3_T4_T5_T6_T7_T9_mT8_P12ihipStream_tbDpT10_ENKUlT_T0_E_clISt17integral_constantIbLb1EES1B_EEDaS16_S17_EUlS16_E_NS1_11comp_targetILNS1_3genE8ELNS1_11target_archE1030ELNS1_3gpuE2ELNS1_3repE0EEENS1_30default_config_static_selectorELNS0_4arch9wavefront6targetE1EEEvT1_,comdat
.Lfunc_end3178:
	.size	_ZN7rocprim17ROCPRIM_400000_NS6detail17trampoline_kernelINS0_14default_configENS1_25partition_config_selectorILNS1_17partition_subalgoE1ExNS0_10empty_typeEbEEZZNS1_14partition_implILS5_1ELb0ES3_jN6thrust23THRUST_200600_302600_NS6detail15normal_iteratorINSA_10device_ptrIxEEEEPS6_NSA_18transform_iteratorI7is_evenIxESF_NSA_11use_defaultESK_EENS0_5tupleIJNSA_16discard_iteratorISK_EESO_EEENSM_IJSG_SG_EEES6_PlJS6_EEE10hipError_tPvRmT3_T4_T5_T6_T7_T9_mT8_P12ihipStream_tbDpT10_ENKUlT_T0_E_clISt17integral_constantIbLb1EES1B_EEDaS16_S17_EUlS16_E_NS1_11comp_targetILNS1_3genE8ELNS1_11target_archE1030ELNS1_3gpuE2ELNS1_3repE0EEENS1_30default_config_static_selectorELNS0_4arch9wavefront6targetE1EEEvT1_, .Lfunc_end3178-_ZN7rocprim17ROCPRIM_400000_NS6detail17trampoline_kernelINS0_14default_configENS1_25partition_config_selectorILNS1_17partition_subalgoE1ExNS0_10empty_typeEbEEZZNS1_14partition_implILS5_1ELb0ES3_jN6thrust23THRUST_200600_302600_NS6detail15normal_iteratorINSA_10device_ptrIxEEEEPS6_NSA_18transform_iteratorI7is_evenIxESF_NSA_11use_defaultESK_EENS0_5tupleIJNSA_16discard_iteratorISK_EESO_EEENSM_IJSG_SG_EEES6_PlJS6_EEE10hipError_tPvRmT3_T4_T5_T6_T7_T9_mT8_P12ihipStream_tbDpT10_ENKUlT_T0_E_clISt17integral_constantIbLb1EES1B_EEDaS16_S17_EUlS16_E_NS1_11comp_targetILNS1_3genE8ELNS1_11target_archE1030ELNS1_3gpuE2ELNS1_3repE0EEENS1_30default_config_static_selectorELNS0_4arch9wavefront6targetE1EEEvT1_
                                        ; -- End function
	.section	.AMDGPU.csdata,"",@progbits
; Kernel info:
; codeLenInByte = 0
; NumSgprs: 6
; NumVgprs: 0
; NumAgprs: 0
; TotalNumVgprs: 0
; ScratchSize: 0
; MemoryBound: 0
; FloatMode: 240
; IeeeMode: 1
; LDSByteSize: 0 bytes/workgroup (compile time only)
; SGPRBlocks: 0
; VGPRBlocks: 0
; NumSGPRsForWavesPerEU: 6
; NumVGPRsForWavesPerEU: 1
; AccumOffset: 4
; Occupancy: 8
; WaveLimiterHint : 0
; COMPUTE_PGM_RSRC2:SCRATCH_EN: 0
; COMPUTE_PGM_RSRC2:USER_SGPR: 2
; COMPUTE_PGM_RSRC2:TRAP_HANDLER: 0
; COMPUTE_PGM_RSRC2:TGID_X_EN: 1
; COMPUTE_PGM_RSRC2:TGID_Y_EN: 0
; COMPUTE_PGM_RSRC2:TGID_Z_EN: 0
; COMPUTE_PGM_RSRC2:TIDIG_COMP_CNT: 0
; COMPUTE_PGM_RSRC3_GFX90A:ACCUM_OFFSET: 0
; COMPUTE_PGM_RSRC3_GFX90A:TG_SPLIT: 0
	.section	.text._ZN7rocprim17ROCPRIM_400000_NS6detail17trampoline_kernelINS0_14default_configENS1_25partition_config_selectorILNS1_17partition_subalgoE1ExNS0_10empty_typeEbEEZZNS1_14partition_implILS5_1ELb0ES3_jN6thrust23THRUST_200600_302600_NS6detail15normal_iteratorINSA_10device_ptrIxEEEEPS6_NSA_18transform_iteratorI7is_evenIxESF_NSA_11use_defaultESK_EENS0_5tupleIJNSA_16discard_iteratorISK_EESO_EEENSM_IJSG_SG_EEES6_PlJS6_EEE10hipError_tPvRmT3_T4_T5_T6_T7_T9_mT8_P12ihipStream_tbDpT10_ENKUlT_T0_E_clISt17integral_constantIbLb1EES1A_IbLb0EEEEDaS16_S17_EUlS16_E_NS1_11comp_targetILNS1_3genE0ELNS1_11target_archE4294967295ELNS1_3gpuE0ELNS1_3repE0EEENS1_30default_config_static_selectorELNS0_4arch9wavefront6targetE1EEEvT1_,"axG",@progbits,_ZN7rocprim17ROCPRIM_400000_NS6detail17trampoline_kernelINS0_14default_configENS1_25partition_config_selectorILNS1_17partition_subalgoE1ExNS0_10empty_typeEbEEZZNS1_14partition_implILS5_1ELb0ES3_jN6thrust23THRUST_200600_302600_NS6detail15normal_iteratorINSA_10device_ptrIxEEEEPS6_NSA_18transform_iteratorI7is_evenIxESF_NSA_11use_defaultESK_EENS0_5tupleIJNSA_16discard_iteratorISK_EESO_EEENSM_IJSG_SG_EEES6_PlJS6_EEE10hipError_tPvRmT3_T4_T5_T6_T7_T9_mT8_P12ihipStream_tbDpT10_ENKUlT_T0_E_clISt17integral_constantIbLb1EES1A_IbLb0EEEEDaS16_S17_EUlS16_E_NS1_11comp_targetILNS1_3genE0ELNS1_11target_archE4294967295ELNS1_3gpuE0ELNS1_3repE0EEENS1_30default_config_static_selectorELNS0_4arch9wavefront6targetE1EEEvT1_,comdat
	.protected	_ZN7rocprim17ROCPRIM_400000_NS6detail17trampoline_kernelINS0_14default_configENS1_25partition_config_selectorILNS1_17partition_subalgoE1ExNS0_10empty_typeEbEEZZNS1_14partition_implILS5_1ELb0ES3_jN6thrust23THRUST_200600_302600_NS6detail15normal_iteratorINSA_10device_ptrIxEEEEPS6_NSA_18transform_iteratorI7is_evenIxESF_NSA_11use_defaultESK_EENS0_5tupleIJNSA_16discard_iteratorISK_EESO_EEENSM_IJSG_SG_EEES6_PlJS6_EEE10hipError_tPvRmT3_T4_T5_T6_T7_T9_mT8_P12ihipStream_tbDpT10_ENKUlT_T0_E_clISt17integral_constantIbLb1EES1A_IbLb0EEEEDaS16_S17_EUlS16_E_NS1_11comp_targetILNS1_3genE0ELNS1_11target_archE4294967295ELNS1_3gpuE0ELNS1_3repE0EEENS1_30default_config_static_selectorELNS0_4arch9wavefront6targetE1EEEvT1_ ; -- Begin function _ZN7rocprim17ROCPRIM_400000_NS6detail17trampoline_kernelINS0_14default_configENS1_25partition_config_selectorILNS1_17partition_subalgoE1ExNS0_10empty_typeEbEEZZNS1_14partition_implILS5_1ELb0ES3_jN6thrust23THRUST_200600_302600_NS6detail15normal_iteratorINSA_10device_ptrIxEEEEPS6_NSA_18transform_iteratorI7is_evenIxESF_NSA_11use_defaultESK_EENS0_5tupleIJNSA_16discard_iteratorISK_EESO_EEENSM_IJSG_SG_EEES6_PlJS6_EEE10hipError_tPvRmT3_T4_T5_T6_T7_T9_mT8_P12ihipStream_tbDpT10_ENKUlT_T0_E_clISt17integral_constantIbLb1EES1A_IbLb0EEEEDaS16_S17_EUlS16_E_NS1_11comp_targetILNS1_3genE0ELNS1_11target_archE4294967295ELNS1_3gpuE0ELNS1_3repE0EEENS1_30default_config_static_selectorELNS0_4arch9wavefront6targetE1EEEvT1_
	.globl	_ZN7rocprim17ROCPRIM_400000_NS6detail17trampoline_kernelINS0_14default_configENS1_25partition_config_selectorILNS1_17partition_subalgoE1ExNS0_10empty_typeEbEEZZNS1_14partition_implILS5_1ELb0ES3_jN6thrust23THRUST_200600_302600_NS6detail15normal_iteratorINSA_10device_ptrIxEEEEPS6_NSA_18transform_iteratorI7is_evenIxESF_NSA_11use_defaultESK_EENS0_5tupleIJNSA_16discard_iteratorISK_EESO_EEENSM_IJSG_SG_EEES6_PlJS6_EEE10hipError_tPvRmT3_T4_T5_T6_T7_T9_mT8_P12ihipStream_tbDpT10_ENKUlT_T0_E_clISt17integral_constantIbLb1EES1A_IbLb0EEEEDaS16_S17_EUlS16_E_NS1_11comp_targetILNS1_3genE0ELNS1_11target_archE4294967295ELNS1_3gpuE0ELNS1_3repE0EEENS1_30default_config_static_selectorELNS0_4arch9wavefront6targetE1EEEvT1_
	.p2align	8
	.type	_ZN7rocprim17ROCPRIM_400000_NS6detail17trampoline_kernelINS0_14default_configENS1_25partition_config_selectorILNS1_17partition_subalgoE1ExNS0_10empty_typeEbEEZZNS1_14partition_implILS5_1ELb0ES3_jN6thrust23THRUST_200600_302600_NS6detail15normal_iteratorINSA_10device_ptrIxEEEEPS6_NSA_18transform_iteratorI7is_evenIxESF_NSA_11use_defaultESK_EENS0_5tupleIJNSA_16discard_iteratorISK_EESO_EEENSM_IJSG_SG_EEES6_PlJS6_EEE10hipError_tPvRmT3_T4_T5_T6_T7_T9_mT8_P12ihipStream_tbDpT10_ENKUlT_T0_E_clISt17integral_constantIbLb1EES1A_IbLb0EEEEDaS16_S17_EUlS16_E_NS1_11comp_targetILNS1_3genE0ELNS1_11target_archE4294967295ELNS1_3gpuE0ELNS1_3repE0EEENS1_30default_config_static_selectorELNS0_4arch9wavefront6targetE1EEEvT1_,@function
_ZN7rocprim17ROCPRIM_400000_NS6detail17trampoline_kernelINS0_14default_configENS1_25partition_config_selectorILNS1_17partition_subalgoE1ExNS0_10empty_typeEbEEZZNS1_14partition_implILS5_1ELb0ES3_jN6thrust23THRUST_200600_302600_NS6detail15normal_iteratorINSA_10device_ptrIxEEEEPS6_NSA_18transform_iteratorI7is_evenIxESF_NSA_11use_defaultESK_EENS0_5tupleIJNSA_16discard_iteratorISK_EESO_EEENSM_IJSG_SG_EEES6_PlJS6_EEE10hipError_tPvRmT3_T4_T5_T6_T7_T9_mT8_P12ihipStream_tbDpT10_ENKUlT_T0_E_clISt17integral_constantIbLb1EES1A_IbLb0EEEEDaS16_S17_EUlS16_E_NS1_11comp_targetILNS1_3genE0ELNS1_11target_archE4294967295ELNS1_3gpuE0ELNS1_3repE0EEENS1_30default_config_static_selectorELNS0_4arch9wavefront6targetE1EEEvT1_: ; @_ZN7rocprim17ROCPRIM_400000_NS6detail17trampoline_kernelINS0_14default_configENS1_25partition_config_selectorILNS1_17partition_subalgoE1ExNS0_10empty_typeEbEEZZNS1_14partition_implILS5_1ELb0ES3_jN6thrust23THRUST_200600_302600_NS6detail15normal_iteratorINSA_10device_ptrIxEEEEPS6_NSA_18transform_iteratorI7is_evenIxESF_NSA_11use_defaultESK_EENS0_5tupleIJNSA_16discard_iteratorISK_EESO_EEENSM_IJSG_SG_EEES6_PlJS6_EEE10hipError_tPvRmT3_T4_T5_T6_T7_T9_mT8_P12ihipStream_tbDpT10_ENKUlT_T0_E_clISt17integral_constantIbLb1EES1A_IbLb0EEEEDaS16_S17_EUlS16_E_NS1_11comp_targetILNS1_3genE0ELNS1_11target_archE4294967295ELNS1_3gpuE0ELNS1_3repE0EEENS1_30default_config_static_selectorELNS0_4arch9wavefront6targetE1EEEvT1_
; %bb.0:
	.section	.rodata,"a",@progbits
	.p2align	6, 0x0
	.amdhsa_kernel _ZN7rocprim17ROCPRIM_400000_NS6detail17trampoline_kernelINS0_14default_configENS1_25partition_config_selectorILNS1_17partition_subalgoE1ExNS0_10empty_typeEbEEZZNS1_14partition_implILS5_1ELb0ES3_jN6thrust23THRUST_200600_302600_NS6detail15normal_iteratorINSA_10device_ptrIxEEEEPS6_NSA_18transform_iteratorI7is_evenIxESF_NSA_11use_defaultESK_EENS0_5tupleIJNSA_16discard_iteratorISK_EESO_EEENSM_IJSG_SG_EEES6_PlJS6_EEE10hipError_tPvRmT3_T4_T5_T6_T7_T9_mT8_P12ihipStream_tbDpT10_ENKUlT_T0_E_clISt17integral_constantIbLb1EES1A_IbLb0EEEEDaS16_S17_EUlS16_E_NS1_11comp_targetILNS1_3genE0ELNS1_11target_archE4294967295ELNS1_3gpuE0ELNS1_3repE0EEENS1_30default_config_static_selectorELNS0_4arch9wavefront6targetE1EEEvT1_
		.amdhsa_group_segment_fixed_size 0
		.amdhsa_private_segment_fixed_size 0
		.amdhsa_kernarg_size 144
		.amdhsa_user_sgpr_count 2
		.amdhsa_user_sgpr_dispatch_ptr 0
		.amdhsa_user_sgpr_queue_ptr 0
		.amdhsa_user_sgpr_kernarg_segment_ptr 1
		.amdhsa_user_sgpr_dispatch_id 0
		.amdhsa_user_sgpr_kernarg_preload_length 0
		.amdhsa_user_sgpr_kernarg_preload_offset 0
		.amdhsa_user_sgpr_private_segment_size 0
		.amdhsa_uses_dynamic_stack 0
		.amdhsa_enable_private_segment 0
		.amdhsa_system_sgpr_workgroup_id_x 1
		.amdhsa_system_sgpr_workgroup_id_y 0
		.amdhsa_system_sgpr_workgroup_id_z 0
		.amdhsa_system_sgpr_workgroup_info 0
		.amdhsa_system_vgpr_workitem_id 0
		.amdhsa_next_free_vgpr 1
		.amdhsa_next_free_sgpr 0
		.amdhsa_accum_offset 4
		.amdhsa_reserve_vcc 0
		.amdhsa_float_round_mode_32 0
		.amdhsa_float_round_mode_16_64 0
		.amdhsa_float_denorm_mode_32 3
		.amdhsa_float_denorm_mode_16_64 3
		.amdhsa_dx10_clamp 1
		.amdhsa_ieee_mode 1
		.amdhsa_fp16_overflow 0
		.amdhsa_tg_split 0
		.amdhsa_exception_fp_ieee_invalid_op 0
		.amdhsa_exception_fp_denorm_src 0
		.amdhsa_exception_fp_ieee_div_zero 0
		.amdhsa_exception_fp_ieee_overflow 0
		.amdhsa_exception_fp_ieee_underflow 0
		.amdhsa_exception_fp_ieee_inexact 0
		.amdhsa_exception_int_div_zero 0
	.end_amdhsa_kernel
	.section	.text._ZN7rocprim17ROCPRIM_400000_NS6detail17trampoline_kernelINS0_14default_configENS1_25partition_config_selectorILNS1_17partition_subalgoE1ExNS0_10empty_typeEbEEZZNS1_14partition_implILS5_1ELb0ES3_jN6thrust23THRUST_200600_302600_NS6detail15normal_iteratorINSA_10device_ptrIxEEEEPS6_NSA_18transform_iteratorI7is_evenIxESF_NSA_11use_defaultESK_EENS0_5tupleIJNSA_16discard_iteratorISK_EESO_EEENSM_IJSG_SG_EEES6_PlJS6_EEE10hipError_tPvRmT3_T4_T5_T6_T7_T9_mT8_P12ihipStream_tbDpT10_ENKUlT_T0_E_clISt17integral_constantIbLb1EES1A_IbLb0EEEEDaS16_S17_EUlS16_E_NS1_11comp_targetILNS1_3genE0ELNS1_11target_archE4294967295ELNS1_3gpuE0ELNS1_3repE0EEENS1_30default_config_static_selectorELNS0_4arch9wavefront6targetE1EEEvT1_,"axG",@progbits,_ZN7rocprim17ROCPRIM_400000_NS6detail17trampoline_kernelINS0_14default_configENS1_25partition_config_selectorILNS1_17partition_subalgoE1ExNS0_10empty_typeEbEEZZNS1_14partition_implILS5_1ELb0ES3_jN6thrust23THRUST_200600_302600_NS6detail15normal_iteratorINSA_10device_ptrIxEEEEPS6_NSA_18transform_iteratorI7is_evenIxESF_NSA_11use_defaultESK_EENS0_5tupleIJNSA_16discard_iteratorISK_EESO_EEENSM_IJSG_SG_EEES6_PlJS6_EEE10hipError_tPvRmT3_T4_T5_T6_T7_T9_mT8_P12ihipStream_tbDpT10_ENKUlT_T0_E_clISt17integral_constantIbLb1EES1A_IbLb0EEEEDaS16_S17_EUlS16_E_NS1_11comp_targetILNS1_3genE0ELNS1_11target_archE4294967295ELNS1_3gpuE0ELNS1_3repE0EEENS1_30default_config_static_selectorELNS0_4arch9wavefront6targetE1EEEvT1_,comdat
.Lfunc_end3179:
	.size	_ZN7rocprim17ROCPRIM_400000_NS6detail17trampoline_kernelINS0_14default_configENS1_25partition_config_selectorILNS1_17partition_subalgoE1ExNS0_10empty_typeEbEEZZNS1_14partition_implILS5_1ELb0ES3_jN6thrust23THRUST_200600_302600_NS6detail15normal_iteratorINSA_10device_ptrIxEEEEPS6_NSA_18transform_iteratorI7is_evenIxESF_NSA_11use_defaultESK_EENS0_5tupleIJNSA_16discard_iteratorISK_EESO_EEENSM_IJSG_SG_EEES6_PlJS6_EEE10hipError_tPvRmT3_T4_T5_T6_T7_T9_mT8_P12ihipStream_tbDpT10_ENKUlT_T0_E_clISt17integral_constantIbLb1EES1A_IbLb0EEEEDaS16_S17_EUlS16_E_NS1_11comp_targetILNS1_3genE0ELNS1_11target_archE4294967295ELNS1_3gpuE0ELNS1_3repE0EEENS1_30default_config_static_selectorELNS0_4arch9wavefront6targetE1EEEvT1_, .Lfunc_end3179-_ZN7rocprim17ROCPRIM_400000_NS6detail17trampoline_kernelINS0_14default_configENS1_25partition_config_selectorILNS1_17partition_subalgoE1ExNS0_10empty_typeEbEEZZNS1_14partition_implILS5_1ELb0ES3_jN6thrust23THRUST_200600_302600_NS6detail15normal_iteratorINSA_10device_ptrIxEEEEPS6_NSA_18transform_iteratorI7is_evenIxESF_NSA_11use_defaultESK_EENS0_5tupleIJNSA_16discard_iteratorISK_EESO_EEENSM_IJSG_SG_EEES6_PlJS6_EEE10hipError_tPvRmT3_T4_T5_T6_T7_T9_mT8_P12ihipStream_tbDpT10_ENKUlT_T0_E_clISt17integral_constantIbLb1EES1A_IbLb0EEEEDaS16_S17_EUlS16_E_NS1_11comp_targetILNS1_3genE0ELNS1_11target_archE4294967295ELNS1_3gpuE0ELNS1_3repE0EEENS1_30default_config_static_selectorELNS0_4arch9wavefront6targetE1EEEvT1_
                                        ; -- End function
	.section	.AMDGPU.csdata,"",@progbits
; Kernel info:
; codeLenInByte = 0
; NumSgprs: 6
; NumVgprs: 0
; NumAgprs: 0
; TotalNumVgprs: 0
; ScratchSize: 0
; MemoryBound: 0
; FloatMode: 240
; IeeeMode: 1
; LDSByteSize: 0 bytes/workgroup (compile time only)
; SGPRBlocks: 0
; VGPRBlocks: 0
; NumSGPRsForWavesPerEU: 6
; NumVGPRsForWavesPerEU: 1
; AccumOffset: 4
; Occupancy: 8
; WaveLimiterHint : 0
; COMPUTE_PGM_RSRC2:SCRATCH_EN: 0
; COMPUTE_PGM_RSRC2:USER_SGPR: 2
; COMPUTE_PGM_RSRC2:TRAP_HANDLER: 0
; COMPUTE_PGM_RSRC2:TGID_X_EN: 1
; COMPUTE_PGM_RSRC2:TGID_Y_EN: 0
; COMPUTE_PGM_RSRC2:TGID_Z_EN: 0
; COMPUTE_PGM_RSRC2:TIDIG_COMP_CNT: 0
; COMPUTE_PGM_RSRC3_GFX90A:ACCUM_OFFSET: 0
; COMPUTE_PGM_RSRC3_GFX90A:TG_SPLIT: 0
	.section	.text._ZN7rocprim17ROCPRIM_400000_NS6detail17trampoline_kernelINS0_14default_configENS1_25partition_config_selectorILNS1_17partition_subalgoE1ExNS0_10empty_typeEbEEZZNS1_14partition_implILS5_1ELb0ES3_jN6thrust23THRUST_200600_302600_NS6detail15normal_iteratorINSA_10device_ptrIxEEEEPS6_NSA_18transform_iteratorI7is_evenIxESF_NSA_11use_defaultESK_EENS0_5tupleIJNSA_16discard_iteratorISK_EESO_EEENSM_IJSG_SG_EEES6_PlJS6_EEE10hipError_tPvRmT3_T4_T5_T6_T7_T9_mT8_P12ihipStream_tbDpT10_ENKUlT_T0_E_clISt17integral_constantIbLb1EES1A_IbLb0EEEEDaS16_S17_EUlS16_E_NS1_11comp_targetILNS1_3genE5ELNS1_11target_archE942ELNS1_3gpuE9ELNS1_3repE0EEENS1_30default_config_static_selectorELNS0_4arch9wavefront6targetE1EEEvT1_,"axG",@progbits,_ZN7rocprim17ROCPRIM_400000_NS6detail17trampoline_kernelINS0_14default_configENS1_25partition_config_selectorILNS1_17partition_subalgoE1ExNS0_10empty_typeEbEEZZNS1_14partition_implILS5_1ELb0ES3_jN6thrust23THRUST_200600_302600_NS6detail15normal_iteratorINSA_10device_ptrIxEEEEPS6_NSA_18transform_iteratorI7is_evenIxESF_NSA_11use_defaultESK_EENS0_5tupleIJNSA_16discard_iteratorISK_EESO_EEENSM_IJSG_SG_EEES6_PlJS6_EEE10hipError_tPvRmT3_T4_T5_T6_T7_T9_mT8_P12ihipStream_tbDpT10_ENKUlT_T0_E_clISt17integral_constantIbLb1EES1A_IbLb0EEEEDaS16_S17_EUlS16_E_NS1_11comp_targetILNS1_3genE5ELNS1_11target_archE942ELNS1_3gpuE9ELNS1_3repE0EEENS1_30default_config_static_selectorELNS0_4arch9wavefront6targetE1EEEvT1_,comdat
	.protected	_ZN7rocprim17ROCPRIM_400000_NS6detail17trampoline_kernelINS0_14default_configENS1_25partition_config_selectorILNS1_17partition_subalgoE1ExNS0_10empty_typeEbEEZZNS1_14partition_implILS5_1ELb0ES3_jN6thrust23THRUST_200600_302600_NS6detail15normal_iteratorINSA_10device_ptrIxEEEEPS6_NSA_18transform_iteratorI7is_evenIxESF_NSA_11use_defaultESK_EENS0_5tupleIJNSA_16discard_iteratorISK_EESO_EEENSM_IJSG_SG_EEES6_PlJS6_EEE10hipError_tPvRmT3_T4_T5_T6_T7_T9_mT8_P12ihipStream_tbDpT10_ENKUlT_T0_E_clISt17integral_constantIbLb1EES1A_IbLb0EEEEDaS16_S17_EUlS16_E_NS1_11comp_targetILNS1_3genE5ELNS1_11target_archE942ELNS1_3gpuE9ELNS1_3repE0EEENS1_30default_config_static_selectorELNS0_4arch9wavefront6targetE1EEEvT1_ ; -- Begin function _ZN7rocprim17ROCPRIM_400000_NS6detail17trampoline_kernelINS0_14default_configENS1_25partition_config_selectorILNS1_17partition_subalgoE1ExNS0_10empty_typeEbEEZZNS1_14partition_implILS5_1ELb0ES3_jN6thrust23THRUST_200600_302600_NS6detail15normal_iteratorINSA_10device_ptrIxEEEEPS6_NSA_18transform_iteratorI7is_evenIxESF_NSA_11use_defaultESK_EENS0_5tupleIJNSA_16discard_iteratorISK_EESO_EEENSM_IJSG_SG_EEES6_PlJS6_EEE10hipError_tPvRmT3_T4_T5_T6_T7_T9_mT8_P12ihipStream_tbDpT10_ENKUlT_T0_E_clISt17integral_constantIbLb1EES1A_IbLb0EEEEDaS16_S17_EUlS16_E_NS1_11comp_targetILNS1_3genE5ELNS1_11target_archE942ELNS1_3gpuE9ELNS1_3repE0EEENS1_30default_config_static_selectorELNS0_4arch9wavefront6targetE1EEEvT1_
	.globl	_ZN7rocprim17ROCPRIM_400000_NS6detail17trampoline_kernelINS0_14default_configENS1_25partition_config_selectorILNS1_17partition_subalgoE1ExNS0_10empty_typeEbEEZZNS1_14partition_implILS5_1ELb0ES3_jN6thrust23THRUST_200600_302600_NS6detail15normal_iteratorINSA_10device_ptrIxEEEEPS6_NSA_18transform_iteratorI7is_evenIxESF_NSA_11use_defaultESK_EENS0_5tupleIJNSA_16discard_iteratorISK_EESO_EEENSM_IJSG_SG_EEES6_PlJS6_EEE10hipError_tPvRmT3_T4_T5_T6_T7_T9_mT8_P12ihipStream_tbDpT10_ENKUlT_T0_E_clISt17integral_constantIbLb1EES1A_IbLb0EEEEDaS16_S17_EUlS16_E_NS1_11comp_targetILNS1_3genE5ELNS1_11target_archE942ELNS1_3gpuE9ELNS1_3repE0EEENS1_30default_config_static_selectorELNS0_4arch9wavefront6targetE1EEEvT1_
	.p2align	8
	.type	_ZN7rocprim17ROCPRIM_400000_NS6detail17trampoline_kernelINS0_14default_configENS1_25partition_config_selectorILNS1_17partition_subalgoE1ExNS0_10empty_typeEbEEZZNS1_14partition_implILS5_1ELb0ES3_jN6thrust23THRUST_200600_302600_NS6detail15normal_iteratorINSA_10device_ptrIxEEEEPS6_NSA_18transform_iteratorI7is_evenIxESF_NSA_11use_defaultESK_EENS0_5tupleIJNSA_16discard_iteratorISK_EESO_EEENSM_IJSG_SG_EEES6_PlJS6_EEE10hipError_tPvRmT3_T4_T5_T6_T7_T9_mT8_P12ihipStream_tbDpT10_ENKUlT_T0_E_clISt17integral_constantIbLb1EES1A_IbLb0EEEEDaS16_S17_EUlS16_E_NS1_11comp_targetILNS1_3genE5ELNS1_11target_archE942ELNS1_3gpuE9ELNS1_3repE0EEENS1_30default_config_static_selectorELNS0_4arch9wavefront6targetE1EEEvT1_,@function
_ZN7rocprim17ROCPRIM_400000_NS6detail17trampoline_kernelINS0_14default_configENS1_25partition_config_selectorILNS1_17partition_subalgoE1ExNS0_10empty_typeEbEEZZNS1_14partition_implILS5_1ELb0ES3_jN6thrust23THRUST_200600_302600_NS6detail15normal_iteratorINSA_10device_ptrIxEEEEPS6_NSA_18transform_iteratorI7is_evenIxESF_NSA_11use_defaultESK_EENS0_5tupleIJNSA_16discard_iteratorISK_EESO_EEENSM_IJSG_SG_EEES6_PlJS6_EEE10hipError_tPvRmT3_T4_T5_T6_T7_T9_mT8_P12ihipStream_tbDpT10_ENKUlT_T0_E_clISt17integral_constantIbLb1EES1A_IbLb0EEEEDaS16_S17_EUlS16_E_NS1_11comp_targetILNS1_3genE5ELNS1_11target_archE942ELNS1_3gpuE9ELNS1_3repE0EEENS1_30default_config_static_selectorELNS0_4arch9wavefront6targetE1EEEvT1_: ; @_ZN7rocprim17ROCPRIM_400000_NS6detail17trampoline_kernelINS0_14default_configENS1_25partition_config_selectorILNS1_17partition_subalgoE1ExNS0_10empty_typeEbEEZZNS1_14partition_implILS5_1ELb0ES3_jN6thrust23THRUST_200600_302600_NS6detail15normal_iteratorINSA_10device_ptrIxEEEEPS6_NSA_18transform_iteratorI7is_evenIxESF_NSA_11use_defaultESK_EENS0_5tupleIJNSA_16discard_iteratorISK_EESO_EEENSM_IJSG_SG_EEES6_PlJS6_EEE10hipError_tPvRmT3_T4_T5_T6_T7_T9_mT8_P12ihipStream_tbDpT10_ENKUlT_T0_E_clISt17integral_constantIbLb1EES1A_IbLb0EEEEDaS16_S17_EUlS16_E_NS1_11comp_targetILNS1_3genE5ELNS1_11target_archE942ELNS1_3gpuE9ELNS1_3repE0EEENS1_30default_config_static_selectorELNS0_4arch9wavefront6targetE1EEEvT1_
; %bb.0:
	s_load_dword s3, s[0:1], 0x88
	s_load_dwordx2 s[4:5], s[0:1], 0x70
	s_load_dwordx4 s[12:15], s[0:1], 0x8
	s_load_dwordx2 s[6:7], s[0:1], 0x20
	s_load_dwordx4 s[20:23], s[0:1], 0x60
	s_waitcnt lgkmcnt(0)
	v_mov_b32_e32 v3, s5
	s_lshl_b64 s[8:9], s[14:15], 3
	s_add_u32 s16, s12, s8
	s_mul_i32 s5, s3, 0xe00
	s_addc_u32 s17, s13, s9
	s_add_i32 s10, s3, -1
	s_add_i32 s3, s5, s14
	s_sub_i32 s3, s4, s3
	s_addk_i32 s3, 0xe00
	v_mov_b32_e32 v2, s4
	s_add_u32 s4, s14, s5
	s_addc_u32 s5, s15, 0
	s_cmp_eq_u32 s2, s10
	s_load_dwordx2 s[18:19], s[22:23], 0x0
	s_cselect_b64 s[22:23], -1, 0
	s_cmp_lg_u32 s2, s10
	s_mul_i32 s12, s2, 0xe00
	s_mov_b32 s13, 0
	v_cmp_lt_u64_e32 vcc, s[4:5], v[2:3]
	s_cselect_b64 s[4:5], -1, 0
	s_or_b64 s[10:11], s[4:5], vcc
	s_lshl_b64 s[12:13], s[12:13], 3
	s_add_u32 s14, s16, s12
	s_addc_u32 s15, s17, s13
	s_mov_b64 s[4:5], -1
	s_and_b64 vcc, exec, s[10:11]
	s_cbranch_vccz .LBB3180_2
; %bb.1:
	v_lshlrev_b32_e32 v2, 3, v0
	v_mov_b32_e32 v3, 0
	v_lshl_add_u64 v[4:5], s[14:15], 0, v[2:3]
	v_add_co_u32_e32 v6, vcc, 0x1000, v4
	s_mov_b64 s[4:5], 0
	s_nop 0
	v_addc_co_u32_e32 v7, vcc, 0, v5, vcc
	v_add_co_u32_e32 v8, vcc, 0x2000, v4
	s_nop 1
	v_addc_co_u32_e32 v9, vcc, 0, v5, vcc
	v_add_co_u32_e32 v10, vcc, 0x3000, v4
	s_nop 1
	v_addc_co_u32_e32 v11, vcc, 0, v5, vcc
	flat_load_dwordx2 v[12:13], v[4:5]
	flat_load_dwordx2 v[14:15], v[6:7]
	;; [unrolled: 1-line block ×4, first 2 shown]
	v_add_co_u32_e32 v6, vcc, 0x4000, v4
	s_nop 1
	v_addc_co_u32_e32 v7, vcc, 0, v5, vcc
	v_add_co_u32_e32 v8, vcc, 0x5000, v4
	s_nop 1
	v_addc_co_u32_e32 v9, vcc, 0, v5, vcc
	;; [unrolled: 3-line block ×3, first 2 shown]
	flat_load_dwordx2 v[10:11], v[6:7]
	flat_load_dwordx2 v[20:21], v[8:9]
	;; [unrolled: 1-line block ×3, first 2 shown]
	s_waitcnt vmcnt(0) lgkmcnt(0)
	ds_write2st64_b64 v2, v[12:13], v[14:15] offset1:8
	ds_write2st64_b64 v2, v[16:17], v[18:19] offset0:16 offset1:24
	ds_write2st64_b64 v2, v[10:11], v[20:21] offset0:32 offset1:40
	ds_write_b64 v2, v[22:23] offset:24576
	s_waitcnt lgkmcnt(0)
	s_barrier
.LBB3180_2:
	s_andn2_b64 vcc, exec, s[4:5]
	v_cmp_gt_u32_e64 s[4:5], s3, v0
	s_cbranch_vccnz .LBB3180_18
; %bb.3:
                                        ; implicit-def: $vgpr2_vgpr3_vgpr4_vgpr5_vgpr6_vgpr7_vgpr8_vgpr9_vgpr10_vgpr11_vgpr12_vgpr13_vgpr14_vgpr15_vgpr16_vgpr17
	s_and_saveexec_b64 s[16:17], s[4:5]
	s_cbranch_execz .LBB3180_5
; %bb.4:
	v_lshlrev_b32_e32 v2, 3, v0
	v_mov_b32_e32 v3, 0
	v_lshl_add_u64 v[2:3], s[14:15], 0, v[2:3]
	flat_load_dwordx2 v[2:3], v[2:3]
.LBB3180_5:
	s_or_b64 exec, exec, s[16:17]
	v_or_b32_e32 v1, 0x200, v0
	v_cmp_gt_u32_e32 vcc, s3, v1
	s_and_saveexec_b64 s[4:5], vcc
	s_cbranch_execz .LBB3180_7
; %bb.6:
	v_lshlrev_b32_e32 v4, 3, v1
	v_mov_b32_e32 v5, 0
	v_lshl_add_u64 v[4:5], s[14:15], 0, v[4:5]
	flat_load_dwordx2 v[4:5], v[4:5]
.LBB3180_7:
	s_or_b64 exec, exec, s[4:5]
	v_or_b32_e32 v1, 0x400, v0
	v_cmp_gt_u32_e32 vcc, s3, v1
	s_and_saveexec_b64 s[4:5], vcc
	;; [unrolled: 11-line block ×6, first 2 shown]
	s_cbranch_execz .LBB3180_17
; %bb.16:
	v_lshlrev_b32_e32 v14, 3, v1
	v_mov_b32_e32 v15, 0
	v_lshl_add_u64 v[14:15], s[14:15], 0, v[14:15]
	flat_load_dwordx2 v[14:15], v[14:15]
.LBB3180_17:
	s_or_b64 exec, exec, s[4:5]
	v_lshlrev_b32_e32 v1, 3, v0
	s_waitcnt vmcnt(0) lgkmcnt(0)
	ds_write2st64_b64 v1, v[2:3], v[4:5] offset1:8
	ds_write2st64_b64 v1, v[6:7], v[8:9] offset0:16 offset1:24
	ds_write2st64_b64 v1, v[10:11], v[12:13] offset0:32 offset1:40
	ds_write_b64 v1, v[14:15] offset:24576
	s_waitcnt lgkmcnt(0)
	s_barrier
.LBB3180_18:
	v_mul_u32_u24_e32 v1, 7, v0
	v_lshlrev_b32_e32 v16, 3, v1
	s_waitcnt lgkmcnt(0)
	ds_read2_b64 v[10:13], v16 offset1:1
	ds_read2_b64 v[6:9], v16 offset0:2 offset1:3
	ds_read2_b64 v[2:5], v16 offset0:4 offset1:5
	ds_read_b64 v[14:15], v16 offset:48
	s_add_u32 s4, s6, s8
	s_addc_u32 s5, s7, s9
	s_add_u32 s4, s4, s12
	s_addc_u32 s5, s5, s13
	s_mov_b64 s[6:7], -1
	s_and_b64 vcc, exec, s[10:11]
	s_waitcnt lgkmcnt(0)
	s_barrier
	s_cbranch_vccz .LBB3180_20
; %bb.19:
	v_lshlrev_b32_e32 v18, 3, v0
	v_mov_b32_e32 v19, 0
	v_lshl_add_u64 v[20:21], s[4:5], 0, v[18:19]
	v_add_co_u32_e32 v22, vcc, 0x1000, v20
	global_load_dwordx2 v[18:19], v18, s[4:5]
	s_nop 0
	v_addc_co_u32_e32 v23, vcc, 0, v21, vcc
	v_add_co_u32_e32 v24, vcc, 0x2000, v20
	s_mov_b64 s[6:7], 0
	s_nop 0
	v_addc_co_u32_e32 v25, vcc, 0, v21, vcc
	v_add_co_u32_e32 v26, vcc, 0x3000, v20
	s_waitcnt vmcnt(0)
	v_xor_b32_e32 v17, -1, v18
	v_addc_co_u32_e32 v27, vcc, 0, v21, vcc
	v_add_co_u32_e32 v28, vcc, 0x4000, v20
	v_and_b32_e32 v17, 1, v17
	s_nop 0
	v_addc_co_u32_e32 v29, vcc, 0, v21, vcc
	global_load_dwordx2 v[30:31], v[22:23], off
	global_load_dwordx2 v[32:33], v[24:25], off
	;; [unrolled: 1-line block ×4, first 2 shown]
	v_add_co_u32_e32 v22, vcc, 0x5000, v20
	ds_write_b8 v0, v17
	s_nop 0
	v_addc_co_u32_e32 v23, vcc, 0, v21, vcc
	v_add_co_u32_e32 v20, vcc, 0x6000, v20
	global_load_dwordx2 v[22:23], v[22:23], off
	s_nop 0
	v_addc_co_u32_e32 v21, vcc, 0, v21, vcc
	global_load_dwordx2 v[20:21], v[20:21], off
	s_waitcnt vmcnt(5)
	v_xor_b32_e32 v17, -1, v30
	v_and_b32_e32 v17, 1, v17
	s_waitcnt vmcnt(4)
	v_xor_b32_e32 v18, -1, v32
	s_waitcnt vmcnt(3)
	v_xor_b32_e32 v19, -1, v34
	v_and_b32_e32 v18, 1, v18
	ds_write_b8 v0, v17 offset:512
	v_and_b32_e32 v17, 1, v19
	s_waitcnt vmcnt(2)
	v_xor_b32_e32 v19, -1, v36
	ds_write_b8 v0, v18 offset:1024
	v_and_b32_e32 v18, 1, v19
	ds_write_b8 v0, v17 offset:1536
	s_waitcnt vmcnt(1)
	v_xor_b32_e32 v19, -1, v22
	v_and_b32_e32 v17, 1, v19
	ds_write_b8 v0, v18 offset:2048
	s_waitcnt vmcnt(0)
	v_xor_b32_e32 v19, -1, v20
	v_and_b32_e32 v18, 1, v19
	ds_write_b8 v0, v17 offset:2560
	ds_write_b8 v0, v18 offset:3072
	s_waitcnt lgkmcnt(0)
	s_barrier
.LBB3180_20:
	s_load_dwordx2 s[24:25], s[0:1], 0x80
	s_andn2_b64 vcc, exec, s[6:7]
	s_cbranch_vccnz .LBB3180_36
; %bb.21:
	v_cmp_gt_u32_e32 vcc, s3, v0
	v_mov_b32_e32 v17, 0
	v_mov_b32_e32 v18, 0
	s_and_saveexec_b64 s[0:1], vcc
	s_cbranch_execz .LBB3180_23
; %bb.22:
	v_lshlrev_b32_e32 v18, 3, v0
	global_load_dwordx2 v[18:19], v18, s[4:5]
	s_waitcnt vmcnt(0)
	v_xor_b32_e32 v18, -1, v18
	v_and_b32_e32 v18, 1, v18
.LBB3180_23:
	s_or_b64 exec, exec, s[0:1]
	v_or_b32_e32 v19, 0x200, v0
	v_cmp_gt_u32_e32 vcc, s3, v19
	s_and_saveexec_b64 s[0:1], vcc
	s_cbranch_execz .LBB3180_25
; %bb.24:
	v_lshlrev_b32_e32 v17, 3, v19
	global_load_dwordx2 v[20:21], v17, s[4:5]
	s_waitcnt vmcnt(0)
	v_xor_b32_e32 v17, -1, v20
	v_and_b32_e32 v17, 1, v17
.LBB3180_25:
	s_or_b64 exec, exec, s[0:1]
	v_or_b32_e32 v21, 0x400, v0
	v_cmp_gt_u32_e32 vcc, s3, v21
	v_mov_b32_e32 v19, 0
	v_mov_b32_e32 v20, 0
	s_and_saveexec_b64 s[0:1], vcc
	s_cbranch_execz .LBB3180_27
; %bb.26:
	v_lshlrev_b32_e32 v20, 3, v21
	global_load_dwordx2 v[20:21], v20, s[4:5]
	s_waitcnt vmcnt(0)
	v_xor_b32_e32 v20, -1, v20
	v_and_b32_e32 v20, 1, v20
.LBB3180_27:
	s_or_b64 exec, exec, s[0:1]
	v_or_b32_e32 v21, 0x600, v0
	v_cmp_gt_u32_e32 vcc, s3, v21
	s_and_saveexec_b64 s[0:1], vcc
	s_cbranch_execz .LBB3180_29
; %bb.28:
	v_lshlrev_b32_e32 v19, 3, v21
	global_load_dwordx2 v[22:23], v19, s[4:5]
	s_waitcnt vmcnt(0)
	v_xor_b32_e32 v19, -1, v22
	v_and_b32_e32 v19, 1, v19
.LBB3180_29:
	s_or_b64 exec, exec, s[0:1]
	v_or_b32_e32 v23, 0x800, v0
	;; [unrolled: 26-line block ×3, first 2 shown]
	v_cmp_gt_u32_e32 vcc, s3, v24
	v_mov_b32_e32 v23, 0
	s_and_saveexec_b64 s[0:1], vcc
	s_cbranch_execz .LBB3180_35
; %bb.34:
	v_lshlrev_b32_e32 v23, 3, v24
	global_load_dwordx2 v[24:25], v23, s[4:5]
	s_waitcnt vmcnt(0)
	v_xor_b32_e32 v23, -1, v24
	v_and_b32_e32 v23, 1, v23
.LBB3180_35:
	s_or_b64 exec, exec, s[0:1]
	ds_write_b8 v0, v18
	ds_write_b8 v0, v17 offset:512
	ds_write_b8 v0, v20 offset:1024
	;; [unrolled: 1-line block ×6, first 2 shown]
	s_waitcnt lgkmcnt(0)
	s_barrier
.LBB3180_36:
	s_movk_i32 s0, 0xffcf
	v_mad_i32_i24 v34, v0, s0, v16
	s_waitcnt lgkmcnt(0)
	ds_read_u8 v16, v34
	ds_read_u8 v17, v34 offset:1
	ds_read_u8 v18, v34 offset:2
	;; [unrolled: 1-line block ×6, first 2 shown]
	s_waitcnt lgkmcnt(6)
	v_and_b32_e32 v32, 1, v16
	s_waitcnt lgkmcnt(5)
	v_and_b32_e32 v31, 1, v17
	;; [unrolled: 2-line block ×5, first 2 shown]
	v_add3_u32 v16, v31, v32, v30
	s_waitcnt lgkmcnt(1)
	v_and_b32_e32 v27, 1, v21
	s_waitcnt lgkmcnt(0)
	v_and_b32_e32 v26, 1, v22
	v_add3_u32 v16, v16, v29, v28
	v_add3_u32 v36, v16, v27, v26
	v_mbcnt_lo_u32_b32 v16, -1, 0
	v_mbcnt_hi_u32_b32 v33, -1, v16
	v_and_b32_e32 v16, 15, v33
	v_cmp_eq_u32_e64 s[12:13], 0, v16
	v_cmp_lt_u32_e64 s[10:11], 1, v16
	v_cmp_lt_u32_e64 s[8:9], 3, v16
	v_cmp_lt_u32_e64 s[6:7], 7, v16
	v_and_b32_e32 v16, 16, v33
	v_cmp_eq_u32_e64 s[4:5], 0, v16
	v_or_b32_e32 v16, 63, v0
	s_cmp_lg_u32 s2, 0
	v_cmp_lt_u32_e64 s[0:1], 31, v33
	v_lshrrev_b32_e32 v35, 6, v0
	v_cmp_eq_u32_e64 s[16:17], v16, v0
	s_barrier
	s_cbranch_scc0 .LBB3180_67
; %bb.37:
	v_mov_b32_dpp v16, v36 row_shr:1 row_mask:0xf bank_mask:0xf
	v_cndmask_b32_e64 v16, v16, 0, s[12:13]
	v_add_u32_e32 v16, v16, v36
	s_nop 1
	v_mov_b32_dpp v17, v16 row_shr:2 row_mask:0xf bank_mask:0xf
	v_cndmask_b32_e64 v17, 0, v17, s[10:11]
	v_add_u32_e32 v16, v16, v17
	s_nop 1
	;; [unrolled: 4-line block ×4, first 2 shown]
	v_mov_b32_dpp v17, v16 row_bcast:15 row_mask:0xf bank_mask:0xf
	v_cndmask_b32_e64 v17, v17, 0, s[4:5]
	v_add_u32_e32 v16, v16, v17
	s_nop 1
	v_mov_b32_dpp v17, v16 row_bcast:31 row_mask:0xf bank_mask:0xf
	v_cndmask_b32_e64 v17, 0, v17, s[0:1]
	v_add_u32_e32 v16, v16, v17
	s_and_saveexec_b64 s[14:15], s[16:17]
	s_cbranch_execz .LBB3180_39
; %bb.38:
	v_lshlrev_b32_e32 v17, 2, v35
	ds_write_b32 v17, v16
.LBB3180_39:
	s_or_b64 exec, exec, s[14:15]
	v_cmp_gt_u32_e32 vcc, 8, v0
	s_waitcnt lgkmcnt(0)
	s_barrier
	s_and_saveexec_b64 s[14:15], vcc
	s_cbranch_execz .LBB3180_41
; %bb.40:
	v_lshlrev_b32_e32 v17, 2, v0
	ds_read_b32 v18, v17
	v_and_b32_e32 v19, 7, v33
	v_cmp_ne_u32_e32 vcc, 0, v19
	s_waitcnt lgkmcnt(0)
	v_mov_b32_dpp v20, v18 row_shr:1 row_mask:0xf bank_mask:0xf
	v_cndmask_b32_e32 v20, 0, v20, vcc
	v_add_u32_e32 v18, v20, v18
	v_cmp_lt_u32_e32 vcc, 1, v19
	s_nop 0
	v_mov_b32_dpp v20, v18 row_shr:2 row_mask:0xf bank_mask:0xf
	v_cndmask_b32_e32 v20, 0, v20, vcc
	v_add_u32_e32 v18, v18, v20
	v_cmp_lt_u32_e32 vcc, 3, v19
	s_nop 0
	v_mov_b32_dpp v20, v18 row_shr:4 row_mask:0xf bank_mask:0xf
	v_cndmask_b32_e32 v19, 0, v20, vcc
	v_add_u32_e32 v18, v18, v19
	ds_write_b32 v17, v18
.LBB3180_41:
	s_or_b64 exec, exec, s[14:15]
	v_cmp_gt_u32_e32 vcc, 64, v0
	v_cmp_lt_u32_e64 s[14:15], 63, v0
	s_waitcnt lgkmcnt(0)
	s_barrier
	s_waitcnt lgkmcnt(0)
                                        ; implicit-def: $vgpr37
	s_and_saveexec_b64 s[26:27], s[14:15]
	s_cbranch_execz .LBB3180_43
; %bb.42:
	v_lshl_add_u32 v17, v35, 2, -4
	ds_read_b32 v37, v17
	s_waitcnt lgkmcnt(0)
	v_add_u32_e32 v16, v37, v16
.LBB3180_43:
	s_or_b64 exec, exec, s[26:27]
	v_add_u32_e32 v17, -1, v33
	v_and_b32_e32 v18, 64, v33
	v_cmp_lt_i32_e64 s[14:15], v17, v18
	s_nop 1
	v_cndmask_b32_e64 v17, v17, v33, s[14:15]
	v_lshlrev_b32_e32 v17, 2, v17
	ds_bpermute_b32 v38, v17, v16
	v_cmp_eq_u32_e64 s[14:15], 0, v33
	s_and_saveexec_b64 s[26:27], vcc
	s_cbranch_execz .LBB3180_66
; %bb.44:
	v_mov_b32_e32 v25, 0
	ds_read_b32 v16, v25 offset:28
	s_and_saveexec_b64 s[28:29], s[14:15]
	s_cbranch_execz .LBB3180_46
; %bb.45:
	s_add_i32 s30, s2, 64
	s_mov_b32 s31, 0
	s_lshl_b64 s[30:31], s[30:31], 3
	s_add_u32 s30, s24, s30
	v_mov_b32_e32 v17, 1
	s_addc_u32 s31, s25, s31
	s_waitcnt lgkmcnt(0)
	global_store_dwordx2 v25, v[16:17], s[30:31] sc1
.LBB3180_46:
	s_or_b64 exec, exec, s[28:29]
	v_xad_u32 v18, v33, -1, s2
	v_add_u32_e32 v24, 64, v18
	v_lshl_add_u64 v[20:21], v[24:25], 3, s[24:25]
	global_load_dwordx2 v[22:23], v[20:21], off sc1
	s_waitcnt vmcnt(0)
	v_cmp_eq_u16_sdwa s[30:31], v23, v25 src0_sel:BYTE_0 src1_sel:DWORD
	s_and_saveexec_b64 s[28:29], s[30:31]
	s_cbranch_execz .LBB3180_52
; %bb.47:
	s_mov_b32 s3, 1
	s_mov_b64 s[30:31], 0
	v_mov_b32_e32 v17, 0
.LBB3180_48:                            ; =>This Loop Header: Depth=1
                                        ;     Child Loop BB3180_49 Depth 2
	s_max_u32 s33, s3, 1
.LBB3180_49:                            ;   Parent Loop BB3180_48 Depth=1
                                        ; =>  This Inner Loop Header: Depth=2
	s_add_i32 s33, s33, -1
	s_cmp_eq_u32 s33, 0
	s_sleep 1
	s_cbranch_scc0 .LBB3180_49
; %bb.50:                               ;   in Loop: Header=BB3180_48 Depth=1
	global_load_dwordx2 v[22:23], v[20:21], off sc1
	s_cmp_lt_u32 s3, 32
	s_cselect_b64 s[34:35], -1, 0
	s_cmp_lg_u64 s[34:35], 0
	s_addc_u32 s3, s3, 0
	s_waitcnt vmcnt(0)
	v_cmp_ne_u16_sdwa s[34:35], v23, v17 src0_sel:BYTE_0 src1_sel:DWORD
	s_or_b64 s[30:31], s[34:35], s[30:31]
	s_andn2_b64 exec, exec, s[30:31]
	s_cbranch_execnz .LBB3180_48
; %bb.51:
	s_or_b64 exec, exec, s[30:31]
.LBB3180_52:
	s_or_b64 exec, exec, s[28:29]
	v_and_b32_e32 v40, 63, v33
	v_mov_b32_e32 v39, 2
	v_cmp_ne_u32_e32 vcc, 63, v40
	v_cmp_eq_u16_sdwa s[28:29], v23, v39 src0_sel:BYTE_0 src1_sel:DWORD
	v_lshlrev_b64 v[20:21], v33, -1
	v_addc_co_u32_e32 v24, vcc, 0, v33, vcc
	v_and_b32_e32 v17, s29, v21
	v_lshlrev_b32_e32 v41, 2, v24
	v_or_b32_e32 v17, 0x80000000, v17
	ds_bpermute_b32 v24, v41, v22
	v_and_b32_e32 v19, s28, v20
	v_ffbl_b32_e32 v17, v17
	v_add_u32_e32 v17, 32, v17
	v_ffbl_b32_e32 v19, v19
	v_min_u32_e32 v17, v19, v17
	v_cmp_lt_u32_e32 vcc, v40, v17
	v_add_u32_e32 v43, 2, v40
	v_add_u32_e32 v45, 4, v40
	s_waitcnt lgkmcnt(0)
	v_cndmask_b32_e32 v19, 0, v24, vcc
	v_cmp_gt_u32_e32 vcc, 62, v40
	v_add_u32_e32 v19, v19, v22
	v_add_u32_e32 v47, 8, v40
	v_cndmask_b32_e64 v22, 0, 1, vcc
	v_lshlrev_b32_e32 v22, 1, v22
	v_add_lshl_u32 v42, v22, v33, 2
	ds_bpermute_b32 v22, v42, v19
	v_cmp_le_u32_e32 vcc, v43, v17
	v_add_u32_e32 v49, 16, v40
	v_add_u32_e32 v51, 32, v40
	s_waitcnt lgkmcnt(0)
	v_cndmask_b32_e32 v22, 0, v22, vcc
	v_cmp_gt_u32_e32 vcc, 60, v40
	v_add_u32_e32 v19, v19, v22
	s_nop 0
	v_cndmask_b32_e64 v22, 0, 1, vcc
	v_lshlrev_b32_e32 v22, 2, v22
	v_add_lshl_u32 v44, v22, v33, 2
	ds_bpermute_b32 v22, v44, v19
	v_cmp_le_u32_e32 vcc, v45, v17
	s_waitcnt lgkmcnt(0)
	s_nop 0
	v_cndmask_b32_e32 v22, 0, v22, vcc
	v_cmp_gt_u32_e32 vcc, 56, v40
	v_add_u32_e32 v19, v19, v22
	s_nop 0
	v_cndmask_b32_e64 v22, 0, 1, vcc
	v_lshlrev_b32_e32 v22, 3, v22
	v_add_lshl_u32 v46, v22, v33, 2
	ds_bpermute_b32 v22, v46, v19
	v_cmp_le_u32_e32 vcc, v47, v17
	s_waitcnt lgkmcnt(0)
	s_nop 0
	;; [unrolled: 11-line block ×4, first 2 shown]
	v_cndmask_b32_e32 v17, 0, v22, vcc
	v_add_u32_e32 v22, v19, v17
	v_mov_b32_e32 v19, 0
	s_branch .LBB3180_54
.LBB3180_53:                            ;   in Loop: Header=BB3180_54 Depth=1
	s_or_b64 exec, exec, s[28:29]
	v_cmp_eq_u16_sdwa s[28:29], v23, v39 src0_sel:BYTE_0 src1_sel:DWORD
	ds_bpermute_b32 v52, v41, v22
	v_subrev_u32_e32 v18, 64, v18
	v_and_b32_e32 v24, s29, v21
	v_or_b32_e32 v24, 0x80000000, v24
	v_and_b32_e32 v25, s28, v20
	v_ffbl_b32_e32 v24, v24
	v_add_u32_e32 v24, 32, v24
	v_ffbl_b32_e32 v25, v25
	v_min_u32_e32 v24, v25, v24
	v_cmp_lt_u32_e32 vcc, v40, v24
	s_waitcnt lgkmcnt(0)
	s_nop 0
	v_cndmask_b32_e32 v25, 0, v52, vcc
	v_add_u32_e32 v22, v25, v22
	ds_bpermute_b32 v25, v42, v22
	v_cmp_le_u32_e32 vcc, v43, v24
	s_waitcnt lgkmcnt(0)
	s_nop 0
	v_cndmask_b32_e32 v25, 0, v25, vcc
	v_add_u32_e32 v22, v22, v25
	ds_bpermute_b32 v25, v44, v22
	v_cmp_le_u32_e32 vcc, v45, v24
	;; [unrolled: 6-line block ×5, first 2 shown]
	s_waitcnt lgkmcnt(0)
	s_nop 0
	v_cndmask_b32_e32 v24, 0, v25, vcc
	v_add3_u32 v22, v24, v17, v22
.LBB3180_54:                            ; =>This Loop Header: Depth=1
                                        ;     Child Loop BB3180_57 Depth 2
                                        ;       Child Loop BB3180_58 Depth 3
	v_cmp_ne_u16_sdwa s[28:29], v23, v39 src0_sel:BYTE_0 src1_sel:DWORD
	s_nop 1
	v_cndmask_b32_e64 v17, 0, 1, s[28:29]
	;;#ASMSTART
	;;#ASMEND
	s_nop 0
	v_cmp_ne_u32_e32 vcc, 0, v17
	s_cmp_lg_u64 vcc, exec
	v_mov_b32_e32 v17, v22
	s_cbranch_scc1 .LBB3180_61
; %bb.55:                               ;   in Loop: Header=BB3180_54 Depth=1
	v_lshl_add_u64 v[24:25], v[18:19], 3, s[24:25]
	global_load_dwordx2 v[22:23], v[24:25], off sc1
	s_waitcnt vmcnt(0)
	v_cmp_eq_u16_sdwa s[30:31], v23, v19 src0_sel:BYTE_0 src1_sel:DWORD
	s_and_saveexec_b64 s[28:29], s[30:31]
	s_cbranch_execz .LBB3180_53
; %bb.56:                               ;   in Loop: Header=BB3180_54 Depth=1
	s_mov_b32 s3, 1
	s_mov_b64 s[30:31], 0
.LBB3180_57:                            ;   Parent Loop BB3180_54 Depth=1
                                        ; =>  This Loop Header: Depth=2
                                        ;       Child Loop BB3180_58 Depth 3
	s_max_u32 s33, s3, 1
.LBB3180_58:                            ;   Parent Loop BB3180_54 Depth=1
                                        ;     Parent Loop BB3180_57 Depth=2
                                        ; =>    This Inner Loop Header: Depth=3
	s_add_i32 s33, s33, -1
	s_cmp_eq_u32 s33, 0
	s_sleep 1
	s_cbranch_scc0 .LBB3180_58
; %bb.59:                               ;   in Loop: Header=BB3180_57 Depth=2
	global_load_dwordx2 v[22:23], v[24:25], off sc1
	s_cmp_lt_u32 s3, 32
	s_cselect_b64 s[34:35], -1, 0
	s_cmp_lg_u64 s[34:35], 0
	s_addc_u32 s3, s3, 0
	s_waitcnt vmcnt(0)
	v_cmp_ne_u16_sdwa s[34:35], v23, v19 src0_sel:BYTE_0 src1_sel:DWORD
	s_or_b64 s[30:31], s[34:35], s[30:31]
	s_andn2_b64 exec, exec, s[30:31]
	s_cbranch_execnz .LBB3180_57
; %bb.60:                               ;   in Loop: Header=BB3180_54 Depth=1
	s_or_b64 exec, exec, s[30:31]
	s_branch .LBB3180_53
.LBB3180_61:                            ;   in Loop: Header=BB3180_54 Depth=1
                                        ; implicit-def: $vgpr22
                                        ; implicit-def: $vgpr23
	s_cbranch_execz .LBB3180_54
; %bb.62:
	s_and_saveexec_b64 s[28:29], s[14:15]
	s_cbranch_execz .LBB3180_64
; %bb.63:
	s_add_i32 s2, s2, 64
	s_mov_b32 s3, 0
	s_lshl_b64 s[2:3], s[2:3], 3
	s_add_u32 s2, s24, s2
	v_add_u32_e32 v18, v17, v16
	v_mov_b32_e32 v19, 2
	s_addc_u32 s3, s25, s3
	v_mov_b32_e32 v20, 0
	global_store_dwordx2 v20, v[18:19], s[2:3] sc1
	ds_write_b64 v20, v[16:17] offset:28672
.LBB3180_64:
	s_or_b64 exec, exec, s[28:29]
	v_cmp_eq_u32_e32 vcc, 0, v0
	s_and_b64 exec, exec, vcc
	s_cbranch_execz .LBB3180_66
; %bb.65:
	v_mov_b32_e32 v16, 0
	ds_write_b32 v16, v17 offset:28
.LBB3180_66:
	s_or_b64 exec, exec, s[26:27]
	v_mov_b32_e32 v16, 0
	s_waitcnt lgkmcnt(0)
	s_barrier
	ds_read_b32 v17, v16 offset:28
	v_cndmask_b32_e64 v18, v38, v37, s[14:15]
	v_cmp_ne_u32_e32 vcc, 0, v0
	s_waitcnt lgkmcnt(0)
	s_barrier
	v_cndmask_b32_e32 v18, 0, v18, vcc
	v_add_u32_e32 v24, v17, v18
	v_add_u32_e32 v23, v24, v32
	;; [unrolled: 1-line block ×3, first 2 shown]
	ds_read_b64 v[16:17], v16 offset:28672
	v_add_u32_e32 v20, v22, v30
	v_add_u32_e32 v21, v20, v29
	;; [unrolled: 1-line block ×4, first 2 shown]
	s_branch .LBB3180_77
.LBB3180_67:
                                        ; implicit-def: $vgpr17
                                        ; implicit-def: $vgpr18
                                        ; implicit-def: $vgpr19
                                        ; implicit-def: $vgpr21
                                        ; implicit-def: $vgpr20
                                        ; implicit-def: $vgpr22
                                        ; implicit-def: $vgpr23
                                        ; implicit-def: $vgpr24
	s_cbranch_execz .LBB3180_77
; %bb.68:
	s_waitcnt lgkmcnt(0)
	v_mov_b32_dpp v16, v36 row_shr:1 row_mask:0xf bank_mask:0xf
	v_cndmask_b32_e64 v16, v16, 0, s[12:13]
	v_add_u32_e32 v16, v16, v36
	s_nop 1
	v_mov_b32_dpp v17, v16 row_shr:2 row_mask:0xf bank_mask:0xf
	v_cndmask_b32_e64 v17, 0, v17, s[10:11]
	v_add_u32_e32 v16, v16, v17
	s_nop 1
	;; [unrolled: 4-line block ×4, first 2 shown]
	v_mov_b32_dpp v17, v16 row_bcast:15 row_mask:0xf bank_mask:0xf
	v_cndmask_b32_e64 v17, v17, 0, s[4:5]
	v_add_u32_e32 v16, v16, v17
	s_nop 1
	v_mov_b32_dpp v17, v16 row_bcast:31 row_mask:0xf bank_mask:0xf
	v_cndmask_b32_e64 v17, 0, v17, s[0:1]
	v_add_u32_e32 v16, v16, v17
	s_and_saveexec_b64 s[0:1], s[16:17]
	s_cbranch_execz .LBB3180_70
; %bb.69:
	v_lshlrev_b32_e32 v17, 2, v35
	ds_write_b32 v17, v16
.LBB3180_70:
	s_or_b64 exec, exec, s[0:1]
	v_cmp_gt_u32_e32 vcc, 8, v0
	s_waitcnt lgkmcnt(0)
	s_barrier
	s_and_saveexec_b64 s[0:1], vcc
	s_cbranch_execz .LBB3180_72
; %bb.71:
	v_mad_i32_i24 v17, v0, -3, v34
	ds_read_b32 v18, v17
	v_and_b32_e32 v19, 7, v33
	v_cmp_ne_u32_e32 vcc, 0, v19
	s_waitcnt lgkmcnt(0)
	v_mov_b32_dpp v20, v18 row_shr:1 row_mask:0xf bank_mask:0xf
	v_cndmask_b32_e32 v20, 0, v20, vcc
	v_add_u32_e32 v18, v20, v18
	v_cmp_lt_u32_e32 vcc, 1, v19
	s_nop 0
	v_mov_b32_dpp v20, v18 row_shr:2 row_mask:0xf bank_mask:0xf
	v_cndmask_b32_e32 v20, 0, v20, vcc
	v_add_u32_e32 v18, v18, v20
	v_cmp_lt_u32_e32 vcc, 3, v19
	s_nop 0
	v_mov_b32_dpp v20, v18 row_shr:4 row_mask:0xf bank_mask:0xf
	v_cndmask_b32_e32 v19, 0, v20, vcc
	v_add_u32_e32 v18, v18, v19
	ds_write_b32 v17, v18
.LBB3180_72:
	s_or_b64 exec, exec, s[0:1]
	v_cmp_lt_u32_e32 vcc, 63, v0
	v_mov_b32_e32 v17, 0
	v_mov_b32_e32 v18, 0
	s_waitcnt lgkmcnt(0)
	s_barrier
	s_and_saveexec_b64 s[0:1], vcc
	s_cbranch_execz .LBB3180_74
; %bb.73:
	v_lshl_add_u32 v18, v35, 2, -4
	ds_read_b32 v18, v18
.LBB3180_74:
	s_or_b64 exec, exec, s[0:1]
	v_add_u32_e32 v19, -1, v33
	v_and_b32_e32 v20, 64, v33
	v_cmp_lt_i32_e32 vcc, v19, v20
	s_waitcnt lgkmcnt(0)
	v_add_u32_e32 v16, v18, v16
	v_cndmask_b32_e32 v19, v19, v33, vcc
	v_lshlrev_b32_e32 v19, 2, v19
	ds_bpermute_b32 v19, v19, v16
	ds_read_b32 v16, v17 offset:28
	v_cmp_eq_u32_e32 vcc, 0, v0
	s_and_saveexec_b64 s[0:1], vcc
	s_cbranch_execz .LBB3180_76
; %bb.75:
	v_mov_b32_e32 v20, 0
	v_mov_b32_e32 v17, 2
	s_waitcnt lgkmcnt(0)
	global_store_dwordx2 v20, v[16:17], s[24:25] offset:512 sc1
.LBB3180_76:
	s_or_b64 exec, exec, s[0:1]
	v_cmp_eq_u32_e64 s[0:1], 0, v33
	v_mov_b32_e32 v17, 0
	s_waitcnt lgkmcnt(0)
	v_cndmask_b32_e64 v18, v19, v18, s[0:1]
	v_cndmask_b32_e64 v24, v18, 0, vcc
	v_add_u32_e32 v23, v24, v32
	v_add_u32_e32 v22, v23, v31
	;; [unrolled: 1-line block ×6, first 2 shown]
	s_barrier
.LBB3180_77:
	s_waitcnt lgkmcnt(0)
	v_add_u32_e32 v1, v16, v1
	v_sub_u32_e32 v24, v24, v17
	v_sub_u32_e32 v25, v1, v24
	v_cmp_eq_u32_e32 vcc, 1, v32
	s_nop 1
	v_cndmask_b32_e32 v24, v25, v24, vcc
	v_lshlrev_b32_e32 v24, 3, v24
	ds_write_b64 v24, v[10:11]
	v_sub_u32_e32 v10, v23, v17
	v_sub_u32_e32 v11, v1, v10
	v_add_u32_e32 v11, 1, v11
	v_cmp_eq_u32_e32 vcc, 1, v31
	s_nop 1
	v_cndmask_b32_e32 v10, v11, v10, vcc
	v_lshlrev_b32_e32 v10, 3, v10
	ds_write_b64 v10, v[12:13]
	v_sub_u32_e32 v10, v22, v17
	v_sub_u32_e32 v11, v1, v10
	v_add_u32_e32 v11, 2, v11
	;; [unrolled: 8-line block ×6, first 2 shown]
	v_cmp_eq_u32_e32 vcc, 1, v26
	s_nop 1
	v_cndmask_b32_e32 v1, v1, v2, vcc
	v_cmp_eq_u32_e32 vcc, 0, v0
	v_lshlrev_b32_e32 v1, 3, v1
	s_and_b64 s[0:1], vcc, s[22:23]
	ds_write_b64 v1, v[14:15]
	s_waitcnt lgkmcnt(0)
	s_barrier
	s_and_saveexec_b64 s[2:3], s[0:1]
	s_cbranch_execz .LBB3180_79
; %bb.78:
	v_mov_b32_e32 v1, 0
	v_mov_b32_e32 v0, v16
	v_lshl_add_u64 v[2:3], s[18:19], 0, v[0:1]
	v_mov_b32_e32 v0, v17
	v_lshl_add_u64 v[2:3], v[2:3], 0, v[0:1]
	global_store_dwordx2 v1, v[2:3], s[20:21]
.LBB3180_79:
	s_endpgm
	.section	.rodata,"a",@progbits
	.p2align	6, 0x0
	.amdhsa_kernel _ZN7rocprim17ROCPRIM_400000_NS6detail17trampoline_kernelINS0_14default_configENS1_25partition_config_selectorILNS1_17partition_subalgoE1ExNS0_10empty_typeEbEEZZNS1_14partition_implILS5_1ELb0ES3_jN6thrust23THRUST_200600_302600_NS6detail15normal_iteratorINSA_10device_ptrIxEEEEPS6_NSA_18transform_iteratorI7is_evenIxESF_NSA_11use_defaultESK_EENS0_5tupleIJNSA_16discard_iteratorISK_EESO_EEENSM_IJSG_SG_EEES6_PlJS6_EEE10hipError_tPvRmT3_T4_T5_T6_T7_T9_mT8_P12ihipStream_tbDpT10_ENKUlT_T0_E_clISt17integral_constantIbLb1EES1A_IbLb0EEEEDaS16_S17_EUlS16_E_NS1_11comp_targetILNS1_3genE5ELNS1_11target_archE942ELNS1_3gpuE9ELNS1_3repE0EEENS1_30default_config_static_selectorELNS0_4arch9wavefront6targetE1EEEvT1_
		.amdhsa_group_segment_fixed_size 28680
		.amdhsa_private_segment_fixed_size 0
		.amdhsa_kernarg_size 144
		.amdhsa_user_sgpr_count 2
		.amdhsa_user_sgpr_dispatch_ptr 0
		.amdhsa_user_sgpr_queue_ptr 0
		.amdhsa_user_sgpr_kernarg_segment_ptr 1
		.amdhsa_user_sgpr_dispatch_id 0
		.amdhsa_user_sgpr_kernarg_preload_length 0
		.amdhsa_user_sgpr_kernarg_preload_offset 0
		.amdhsa_user_sgpr_private_segment_size 0
		.amdhsa_uses_dynamic_stack 0
		.amdhsa_enable_private_segment 0
		.amdhsa_system_sgpr_workgroup_id_x 1
		.amdhsa_system_sgpr_workgroup_id_y 0
		.amdhsa_system_sgpr_workgroup_id_z 0
		.amdhsa_system_sgpr_workgroup_info 0
		.amdhsa_system_vgpr_workitem_id 0
		.amdhsa_next_free_vgpr 53
		.amdhsa_next_free_sgpr 36
		.amdhsa_accum_offset 56
		.amdhsa_reserve_vcc 1
		.amdhsa_float_round_mode_32 0
		.amdhsa_float_round_mode_16_64 0
		.amdhsa_float_denorm_mode_32 3
		.amdhsa_float_denorm_mode_16_64 3
		.amdhsa_dx10_clamp 1
		.amdhsa_ieee_mode 1
		.amdhsa_fp16_overflow 0
		.amdhsa_tg_split 0
		.amdhsa_exception_fp_ieee_invalid_op 0
		.amdhsa_exception_fp_denorm_src 0
		.amdhsa_exception_fp_ieee_div_zero 0
		.amdhsa_exception_fp_ieee_overflow 0
		.amdhsa_exception_fp_ieee_underflow 0
		.amdhsa_exception_fp_ieee_inexact 0
		.amdhsa_exception_int_div_zero 0
	.end_amdhsa_kernel
	.section	.text._ZN7rocprim17ROCPRIM_400000_NS6detail17trampoline_kernelINS0_14default_configENS1_25partition_config_selectorILNS1_17partition_subalgoE1ExNS0_10empty_typeEbEEZZNS1_14partition_implILS5_1ELb0ES3_jN6thrust23THRUST_200600_302600_NS6detail15normal_iteratorINSA_10device_ptrIxEEEEPS6_NSA_18transform_iteratorI7is_evenIxESF_NSA_11use_defaultESK_EENS0_5tupleIJNSA_16discard_iteratorISK_EESO_EEENSM_IJSG_SG_EEES6_PlJS6_EEE10hipError_tPvRmT3_T4_T5_T6_T7_T9_mT8_P12ihipStream_tbDpT10_ENKUlT_T0_E_clISt17integral_constantIbLb1EES1A_IbLb0EEEEDaS16_S17_EUlS16_E_NS1_11comp_targetILNS1_3genE5ELNS1_11target_archE942ELNS1_3gpuE9ELNS1_3repE0EEENS1_30default_config_static_selectorELNS0_4arch9wavefront6targetE1EEEvT1_,"axG",@progbits,_ZN7rocprim17ROCPRIM_400000_NS6detail17trampoline_kernelINS0_14default_configENS1_25partition_config_selectorILNS1_17partition_subalgoE1ExNS0_10empty_typeEbEEZZNS1_14partition_implILS5_1ELb0ES3_jN6thrust23THRUST_200600_302600_NS6detail15normal_iteratorINSA_10device_ptrIxEEEEPS6_NSA_18transform_iteratorI7is_evenIxESF_NSA_11use_defaultESK_EENS0_5tupleIJNSA_16discard_iteratorISK_EESO_EEENSM_IJSG_SG_EEES6_PlJS6_EEE10hipError_tPvRmT3_T4_T5_T6_T7_T9_mT8_P12ihipStream_tbDpT10_ENKUlT_T0_E_clISt17integral_constantIbLb1EES1A_IbLb0EEEEDaS16_S17_EUlS16_E_NS1_11comp_targetILNS1_3genE5ELNS1_11target_archE942ELNS1_3gpuE9ELNS1_3repE0EEENS1_30default_config_static_selectorELNS0_4arch9wavefront6targetE1EEEvT1_,comdat
.Lfunc_end3180:
	.size	_ZN7rocprim17ROCPRIM_400000_NS6detail17trampoline_kernelINS0_14default_configENS1_25partition_config_selectorILNS1_17partition_subalgoE1ExNS0_10empty_typeEbEEZZNS1_14partition_implILS5_1ELb0ES3_jN6thrust23THRUST_200600_302600_NS6detail15normal_iteratorINSA_10device_ptrIxEEEEPS6_NSA_18transform_iteratorI7is_evenIxESF_NSA_11use_defaultESK_EENS0_5tupleIJNSA_16discard_iteratorISK_EESO_EEENSM_IJSG_SG_EEES6_PlJS6_EEE10hipError_tPvRmT3_T4_T5_T6_T7_T9_mT8_P12ihipStream_tbDpT10_ENKUlT_T0_E_clISt17integral_constantIbLb1EES1A_IbLb0EEEEDaS16_S17_EUlS16_E_NS1_11comp_targetILNS1_3genE5ELNS1_11target_archE942ELNS1_3gpuE9ELNS1_3repE0EEENS1_30default_config_static_selectorELNS0_4arch9wavefront6targetE1EEEvT1_, .Lfunc_end3180-_ZN7rocprim17ROCPRIM_400000_NS6detail17trampoline_kernelINS0_14default_configENS1_25partition_config_selectorILNS1_17partition_subalgoE1ExNS0_10empty_typeEbEEZZNS1_14partition_implILS5_1ELb0ES3_jN6thrust23THRUST_200600_302600_NS6detail15normal_iteratorINSA_10device_ptrIxEEEEPS6_NSA_18transform_iteratorI7is_evenIxESF_NSA_11use_defaultESK_EENS0_5tupleIJNSA_16discard_iteratorISK_EESO_EEENSM_IJSG_SG_EEES6_PlJS6_EEE10hipError_tPvRmT3_T4_T5_T6_T7_T9_mT8_P12ihipStream_tbDpT10_ENKUlT_T0_E_clISt17integral_constantIbLb1EES1A_IbLb0EEEEDaS16_S17_EUlS16_E_NS1_11comp_targetILNS1_3genE5ELNS1_11target_archE942ELNS1_3gpuE9ELNS1_3repE0EEENS1_30default_config_static_selectorELNS0_4arch9wavefront6targetE1EEEvT1_
                                        ; -- End function
	.section	.AMDGPU.csdata,"",@progbits
; Kernel info:
; codeLenInByte = 4200
; NumSgprs: 42
; NumVgprs: 53
; NumAgprs: 0
; TotalNumVgprs: 53
; ScratchSize: 0
; MemoryBound: 0
; FloatMode: 240
; IeeeMode: 1
; LDSByteSize: 28680 bytes/workgroup (compile time only)
; SGPRBlocks: 5
; VGPRBlocks: 6
; NumSGPRsForWavesPerEU: 42
; NumVGPRsForWavesPerEU: 53
; AccumOffset: 56
; Occupancy: 4
; WaveLimiterHint : 1
; COMPUTE_PGM_RSRC2:SCRATCH_EN: 0
; COMPUTE_PGM_RSRC2:USER_SGPR: 2
; COMPUTE_PGM_RSRC2:TRAP_HANDLER: 0
; COMPUTE_PGM_RSRC2:TGID_X_EN: 1
; COMPUTE_PGM_RSRC2:TGID_Y_EN: 0
; COMPUTE_PGM_RSRC2:TGID_Z_EN: 0
; COMPUTE_PGM_RSRC2:TIDIG_COMP_CNT: 0
; COMPUTE_PGM_RSRC3_GFX90A:ACCUM_OFFSET: 13
; COMPUTE_PGM_RSRC3_GFX90A:TG_SPLIT: 0
	.section	.text._ZN7rocprim17ROCPRIM_400000_NS6detail17trampoline_kernelINS0_14default_configENS1_25partition_config_selectorILNS1_17partition_subalgoE1ExNS0_10empty_typeEbEEZZNS1_14partition_implILS5_1ELb0ES3_jN6thrust23THRUST_200600_302600_NS6detail15normal_iteratorINSA_10device_ptrIxEEEEPS6_NSA_18transform_iteratorI7is_evenIxESF_NSA_11use_defaultESK_EENS0_5tupleIJNSA_16discard_iteratorISK_EESO_EEENSM_IJSG_SG_EEES6_PlJS6_EEE10hipError_tPvRmT3_T4_T5_T6_T7_T9_mT8_P12ihipStream_tbDpT10_ENKUlT_T0_E_clISt17integral_constantIbLb1EES1A_IbLb0EEEEDaS16_S17_EUlS16_E_NS1_11comp_targetILNS1_3genE4ELNS1_11target_archE910ELNS1_3gpuE8ELNS1_3repE0EEENS1_30default_config_static_selectorELNS0_4arch9wavefront6targetE1EEEvT1_,"axG",@progbits,_ZN7rocprim17ROCPRIM_400000_NS6detail17trampoline_kernelINS0_14default_configENS1_25partition_config_selectorILNS1_17partition_subalgoE1ExNS0_10empty_typeEbEEZZNS1_14partition_implILS5_1ELb0ES3_jN6thrust23THRUST_200600_302600_NS6detail15normal_iteratorINSA_10device_ptrIxEEEEPS6_NSA_18transform_iteratorI7is_evenIxESF_NSA_11use_defaultESK_EENS0_5tupleIJNSA_16discard_iteratorISK_EESO_EEENSM_IJSG_SG_EEES6_PlJS6_EEE10hipError_tPvRmT3_T4_T5_T6_T7_T9_mT8_P12ihipStream_tbDpT10_ENKUlT_T0_E_clISt17integral_constantIbLb1EES1A_IbLb0EEEEDaS16_S17_EUlS16_E_NS1_11comp_targetILNS1_3genE4ELNS1_11target_archE910ELNS1_3gpuE8ELNS1_3repE0EEENS1_30default_config_static_selectorELNS0_4arch9wavefront6targetE1EEEvT1_,comdat
	.protected	_ZN7rocprim17ROCPRIM_400000_NS6detail17trampoline_kernelINS0_14default_configENS1_25partition_config_selectorILNS1_17partition_subalgoE1ExNS0_10empty_typeEbEEZZNS1_14partition_implILS5_1ELb0ES3_jN6thrust23THRUST_200600_302600_NS6detail15normal_iteratorINSA_10device_ptrIxEEEEPS6_NSA_18transform_iteratorI7is_evenIxESF_NSA_11use_defaultESK_EENS0_5tupleIJNSA_16discard_iteratorISK_EESO_EEENSM_IJSG_SG_EEES6_PlJS6_EEE10hipError_tPvRmT3_T4_T5_T6_T7_T9_mT8_P12ihipStream_tbDpT10_ENKUlT_T0_E_clISt17integral_constantIbLb1EES1A_IbLb0EEEEDaS16_S17_EUlS16_E_NS1_11comp_targetILNS1_3genE4ELNS1_11target_archE910ELNS1_3gpuE8ELNS1_3repE0EEENS1_30default_config_static_selectorELNS0_4arch9wavefront6targetE1EEEvT1_ ; -- Begin function _ZN7rocprim17ROCPRIM_400000_NS6detail17trampoline_kernelINS0_14default_configENS1_25partition_config_selectorILNS1_17partition_subalgoE1ExNS0_10empty_typeEbEEZZNS1_14partition_implILS5_1ELb0ES3_jN6thrust23THRUST_200600_302600_NS6detail15normal_iteratorINSA_10device_ptrIxEEEEPS6_NSA_18transform_iteratorI7is_evenIxESF_NSA_11use_defaultESK_EENS0_5tupleIJNSA_16discard_iteratorISK_EESO_EEENSM_IJSG_SG_EEES6_PlJS6_EEE10hipError_tPvRmT3_T4_T5_T6_T7_T9_mT8_P12ihipStream_tbDpT10_ENKUlT_T0_E_clISt17integral_constantIbLb1EES1A_IbLb0EEEEDaS16_S17_EUlS16_E_NS1_11comp_targetILNS1_3genE4ELNS1_11target_archE910ELNS1_3gpuE8ELNS1_3repE0EEENS1_30default_config_static_selectorELNS0_4arch9wavefront6targetE1EEEvT1_
	.globl	_ZN7rocprim17ROCPRIM_400000_NS6detail17trampoline_kernelINS0_14default_configENS1_25partition_config_selectorILNS1_17partition_subalgoE1ExNS0_10empty_typeEbEEZZNS1_14partition_implILS5_1ELb0ES3_jN6thrust23THRUST_200600_302600_NS6detail15normal_iteratorINSA_10device_ptrIxEEEEPS6_NSA_18transform_iteratorI7is_evenIxESF_NSA_11use_defaultESK_EENS0_5tupleIJNSA_16discard_iteratorISK_EESO_EEENSM_IJSG_SG_EEES6_PlJS6_EEE10hipError_tPvRmT3_T4_T5_T6_T7_T9_mT8_P12ihipStream_tbDpT10_ENKUlT_T0_E_clISt17integral_constantIbLb1EES1A_IbLb0EEEEDaS16_S17_EUlS16_E_NS1_11comp_targetILNS1_3genE4ELNS1_11target_archE910ELNS1_3gpuE8ELNS1_3repE0EEENS1_30default_config_static_selectorELNS0_4arch9wavefront6targetE1EEEvT1_
	.p2align	8
	.type	_ZN7rocprim17ROCPRIM_400000_NS6detail17trampoline_kernelINS0_14default_configENS1_25partition_config_selectorILNS1_17partition_subalgoE1ExNS0_10empty_typeEbEEZZNS1_14partition_implILS5_1ELb0ES3_jN6thrust23THRUST_200600_302600_NS6detail15normal_iteratorINSA_10device_ptrIxEEEEPS6_NSA_18transform_iteratorI7is_evenIxESF_NSA_11use_defaultESK_EENS0_5tupleIJNSA_16discard_iteratorISK_EESO_EEENSM_IJSG_SG_EEES6_PlJS6_EEE10hipError_tPvRmT3_T4_T5_T6_T7_T9_mT8_P12ihipStream_tbDpT10_ENKUlT_T0_E_clISt17integral_constantIbLb1EES1A_IbLb0EEEEDaS16_S17_EUlS16_E_NS1_11comp_targetILNS1_3genE4ELNS1_11target_archE910ELNS1_3gpuE8ELNS1_3repE0EEENS1_30default_config_static_selectorELNS0_4arch9wavefront6targetE1EEEvT1_,@function
_ZN7rocprim17ROCPRIM_400000_NS6detail17trampoline_kernelINS0_14default_configENS1_25partition_config_selectorILNS1_17partition_subalgoE1ExNS0_10empty_typeEbEEZZNS1_14partition_implILS5_1ELb0ES3_jN6thrust23THRUST_200600_302600_NS6detail15normal_iteratorINSA_10device_ptrIxEEEEPS6_NSA_18transform_iteratorI7is_evenIxESF_NSA_11use_defaultESK_EENS0_5tupleIJNSA_16discard_iteratorISK_EESO_EEENSM_IJSG_SG_EEES6_PlJS6_EEE10hipError_tPvRmT3_T4_T5_T6_T7_T9_mT8_P12ihipStream_tbDpT10_ENKUlT_T0_E_clISt17integral_constantIbLb1EES1A_IbLb0EEEEDaS16_S17_EUlS16_E_NS1_11comp_targetILNS1_3genE4ELNS1_11target_archE910ELNS1_3gpuE8ELNS1_3repE0EEENS1_30default_config_static_selectorELNS0_4arch9wavefront6targetE1EEEvT1_: ; @_ZN7rocprim17ROCPRIM_400000_NS6detail17trampoline_kernelINS0_14default_configENS1_25partition_config_selectorILNS1_17partition_subalgoE1ExNS0_10empty_typeEbEEZZNS1_14partition_implILS5_1ELb0ES3_jN6thrust23THRUST_200600_302600_NS6detail15normal_iteratorINSA_10device_ptrIxEEEEPS6_NSA_18transform_iteratorI7is_evenIxESF_NSA_11use_defaultESK_EENS0_5tupleIJNSA_16discard_iteratorISK_EESO_EEENSM_IJSG_SG_EEES6_PlJS6_EEE10hipError_tPvRmT3_T4_T5_T6_T7_T9_mT8_P12ihipStream_tbDpT10_ENKUlT_T0_E_clISt17integral_constantIbLb1EES1A_IbLb0EEEEDaS16_S17_EUlS16_E_NS1_11comp_targetILNS1_3genE4ELNS1_11target_archE910ELNS1_3gpuE8ELNS1_3repE0EEENS1_30default_config_static_selectorELNS0_4arch9wavefront6targetE1EEEvT1_
; %bb.0:
	.section	.rodata,"a",@progbits
	.p2align	6, 0x0
	.amdhsa_kernel _ZN7rocprim17ROCPRIM_400000_NS6detail17trampoline_kernelINS0_14default_configENS1_25partition_config_selectorILNS1_17partition_subalgoE1ExNS0_10empty_typeEbEEZZNS1_14partition_implILS5_1ELb0ES3_jN6thrust23THRUST_200600_302600_NS6detail15normal_iteratorINSA_10device_ptrIxEEEEPS6_NSA_18transform_iteratorI7is_evenIxESF_NSA_11use_defaultESK_EENS0_5tupleIJNSA_16discard_iteratorISK_EESO_EEENSM_IJSG_SG_EEES6_PlJS6_EEE10hipError_tPvRmT3_T4_T5_T6_T7_T9_mT8_P12ihipStream_tbDpT10_ENKUlT_T0_E_clISt17integral_constantIbLb1EES1A_IbLb0EEEEDaS16_S17_EUlS16_E_NS1_11comp_targetILNS1_3genE4ELNS1_11target_archE910ELNS1_3gpuE8ELNS1_3repE0EEENS1_30default_config_static_selectorELNS0_4arch9wavefront6targetE1EEEvT1_
		.amdhsa_group_segment_fixed_size 0
		.amdhsa_private_segment_fixed_size 0
		.amdhsa_kernarg_size 144
		.amdhsa_user_sgpr_count 2
		.amdhsa_user_sgpr_dispatch_ptr 0
		.amdhsa_user_sgpr_queue_ptr 0
		.amdhsa_user_sgpr_kernarg_segment_ptr 1
		.amdhsa_user_sgpr_dispatch_id 0
		.amdhsa_user_sgpr_kernarg_preload_length 0
		.amdhsa_user_sgpr_kernarg_preload_offset 0
		.amdhsa_user_sgpr_private_segment_size 0
		.amdhsa_uses_dynamic_stack 0
		.amdhsa_enable_private_segment 0
		.amdhsa_system_sgpr_workgroup_id_x 1
		.amdhsa_system_sgpr_workgroup_id_y 0
		.amdhsa_system_sgpr_workgroup_id_z 0
		.amdhsa_system_sgpr_workgroup_info 0
		.amdhsa_system_vgpr_workitem_id 0
		.amdhsa_next_free_vgpr 1
		.amdhsa_next_free_sgpr 0
		.amdhsa_accum_offset 4
		.amdhsa_reserve_vcc 0
		.amdhsa_float_round_mode_32 0
		.amdhsa_float_round_mode_16_64 0
		.amdhsa_float_denorm_mode_32 3
		.amdhsa_float_denorm_mode_16_64 3
		.amdhsa_dx10_clamp 1
		.amdhsa_ieee_mode 1
		.amdhsa_fp16_overflow 0
		.amdhsa_tg_split 0
		.amdhsa_exception_fp_ieee_invalid_op 0
		.amdhsa_exception_fp_denorm_src 0
		.amdhsa_exception_fp_ieee_div_zero 0
		.amdhsa_exception_fp_ieee_overflow 0
		.amdhsa_exception_fp_ieee_underflow 0
		.amdhsa_exception_fp_ieee_inexact 0
		.amdhsa_exception_int_div_zero 0
	.end_amdhsa_kernel
	.section	.text._ZN7rocprim17ROCPRIM_400000_NS6detail17trampoline_kernelINS0_14default_configENS1_25partition_config_selectorILNS1_17partition_subalgoE1ExNS0_10empty_typeEbEEZZNS1_14partition_implILS5_1ELb0ES3_jN6thrust23THRUST_200600_302600_NS6detail15normal_iteratorINSA_10device_ptrIxEEEEPS6_NSA_18transform_iteratorI7is_evenIxESF_NSA_11use_defaultESK_EENS0_5tupleIJNSA_16discard_iteratorISK_EESO_EEENSM_IJSG_SG_EEES6_PlJS6_EEE10hipError_tPvRmT3_T4_T5_T6_T7_T9_mT8_P12ihipStream_tbDpT10_ENKUlT_T0_E_clISt17integral_constantIbLb1EES1A_IbLb0EEEEDaS16_S17_EUlS16_E_NS1_11comp_targetILNS1_3genE4ELNS1_11target_archE910ELNS1_3gpuE8ELNS1_3repE0EEENS1_30default_config_static_selectorELNS0_4arch9wavefront6targetE1EEEvT1_,"axG",@progbits,_ZN7rocprim17ROCPRIM_400000_NS6detail17trampoline_kernelINS0_14default_configENS1_25partition_config_selectorILNS1_17partition_subalgoE1ExNS0_10empty_typeEbEEZZNS1_14partition_implILS5_1ELb0ES3_jN6thrust23THRUST_200600_302600_NS6detail15normal_iteratorINSA_10device_ptrIxEEEEPS6_NSA_18transform_iteratorI7is_evenIxESF_NSA_11use_defaultESK_EENS0_5tupleIJNSA_16discard_iteratorISK_EESO_EEENSM_IJSG_SG_EEES6_PlJS6_EEE10hipError_tPvRmT3_T4_T5_T6_T7_T9_mT8_P12ihipStream_tbDpT10_ENKUlT_T0_E_clISt17integral_constantIbLb1EES1A_IbLb0EEEEDaS16_S17_EUlS16_E_NS1_11comp_targetILNS1_3genE4ELNS1_11target_archE910ELNS1_3gpuE8ELNS1_3repE0EEENS1_30default_config_static_selectorELNS0_4arch9wavefront6targetE1EEEvT1_,comdat
.Lfunc_end3181:
	.size	_ZN7rocprim17ROCPRIM_400000_NS6detail17trampoline_kernelINS0_14default_configENS1_25partition_config_selectorILNS1_17partition_subalgoE1ExNS0_10empty_typeEbEEZZNS1_14partition_implILS5_1ELb0ES3_jN6thrust23THRUST_200600_302600_NS6detail15normal_iteratorINSA_10device_ptrIxEEEEPS6_NSA_18transform_iteratorI7is_evenIxESF_NSA_11use_defaultESK_EENS0_5tupleIJNSA_16discard_iteratorISK_EESO_EEENSM_IJSG_SG_EEES6_PlJS6_EEE10hipError_tPvRmT3_T4_T5_T6_T7_T9_mT8_P12ihipStream_tbDpT10_ENKUlT_T0_E_clISt17integral_constantIbLb1EES1A_IbLb0EEEEDaS16_S17_EUlS16_E_NS1_11comp_targetILNS1_3genE4ELNS1_11target_archE910ELNS1_3gpuE8ELNS1_3repE0EEENS1_30default_config_static_selectorELNS0_4arch9wavefront6targetE1EEEvT1_, .Lfunc_end3181-_ZN7rocprim17ROCPRIM_400000_NS6detail17trampoline_kernelINS0_14default_configENS1_25partition_config_selectorILNS1_17partition_subalgoE1ExNS0_10empty_typeEbEEZZNS1_14partition_implILS5_1ELb0ES3_jN6thrust23THRUST_200600_302600_NS6detail15normal_iteratorINSA_10device_ptrIxEEEEPS6_NSA_18transform_iteratorI7is_evenIxESF_NSA_11use_defaultESK_EENS0_5tupleIJNSA_16discard_iteratorISK_EESO_EEENSM_IJSG_SG_EEES6_PlJS6_EEE10hipError_tPvRmT3_T4_T5_T6_T7_T9_mT8_P12ihipStream_tbDpT10_ENKUlT_T0_E_clISt17integral_constantIbLb1EES1A_IbLb0EEEEDaS16_S17_EUlS16_E_NS1_11comp_targetILNS1_3genE4ELNS1_11target_archE910ELNS1_3gpuE8ELNS1_3repE0EEENS1_30default_config_static_selectorELNS0_4arch9wavefront6targetE1EEEvT1_
                                        ; -- End function
	.section	.AMDGPU.csdata,"",@progbits
; Kernel info:
; codeLenInByte = 0
; NumSgprs: 6
; NumVgprs: 0
; NumAgprs: 0
; TotalNumVgprs: 0
; ScratchSize: 0
; MemoryBound: 0
; FloatMode: 240
; IeeeMode: 1
; LDSByteSize: 0 bytes/workgroup (compile time only)
; SGPRBlocks: 0
; VGPRBlocks: 0
; NumSGPRsForWavesPerEU: 6
; NumVGPRsForWavesPerEU: 1
; AccumOffset: 4
; Occupancy: 8
; WaveLimiterHint : 0
; COMPUTE_PGM_RSRC2:SCRATCH_EN: 0
; COMPUTE_PGM_RSRC2:USER_SGPR: 2
; COMPUTE_PGM_RSRC2:TRAP_HANDLER: 0
; COMPUTE_PGM_RSRC2:TGID_X_EN: 1
; COMPUTE_PGM_RSRC2:TGID_Y_EN: 0
; COMPUTE_PGM_RSRC2:TGID_Z_EN: 0
; COMPUTE_PGM_RSRC2:TIDIG_COMP_CNT: 0
; COMPUTE_PGM_RSRC3_GFX90A:ACCUM_OFFSET: 0
; COMPUTE_PGM_RSRC3_GFX90A:TG_SPLIT: 0
	.section	.text._ZN7rocprim17ROCPRIM_400000_NS6detail17trampoline_kernelINS0_14default_configENS1_25partition_config_selectorILNS1_17partition_subalgoE1ExNS0_10empty_typeEbEEZZNS1_14partition_implILS5_1ELb0ES3_jN6thrust23THRUST_200600_302600_NS6detail15normal_iteratorINSA_10device_ptrIxEEEEPS6_NSA_18transform_iteratorI7is_evenIxESF_NSA_11use_defaultESK_EENS0_5tupleIJNSA_16discard_iteratorISK_EESO_EEENSM_IJSG_SG_EEES6_PlJS6_EEE10hipError_tPvRmT3_T4_T5_T6_T7_T9_mT8_P12ihipStream_tbDpT10_ENKUlT_T0_E_clISt17integral_constantIbLb1EES1A_IbLb0EEEEDaS16_S17_EUlS16_E_NS1_11comp_targetILNS1_3genE3ELNS1_11target_archE908ELNS1_3gpuE7ELNS1_3repE0EEENS1_30default_config_static_selectorELNS0_4arch9wavefront6targetE1EEEvT1_,"axG",@progbits,_ZN7rocprim17ROCPRIM_400000_NS6detail17trampoline_kernelINS0_14default_configENS1_25partition_config_selectorILNS1_17partition_subalgoE1ExNS0_10empty_typeEbEEZZNS1_14partition_implILS5_1ELb0ES3_jN6thrust23THRUST_200600_302600_NS6detail15normal_iteratorINSA_10device_ptrIxEEEEPS6_NSA_18transform_iteratorI7is_evenIxESF_NSA_11use_defaultESK_EENS0_5tupleIJNSA_16discard_iteratorISK_EESO_EEENSM_IJSG_SG_EEES6_PlJS6_EEE10hipError_tPvRmT3_T4_T5_T6_T7_T9_mT8_P12ihipStream_tbDpT10_ENKUlT_T0_E_clISt17integral_constantIbLb1EES1A_IbLb0EEEEDaS16_S17_EUlS16_E_NS1_11comp_targetILNS1_3genE3ELNS1_11target_archE908ELNS1_3gpuE7ELNS1_3repE0EEENS1_30default_config_static_selectorELNS0_4arch9wavefront6targetE1EEEvT1_,comdat
	.protected	_ZN7rocprim17ROCPRIM_400000_NS6detail17trampoline_kernelINS0_14default_configENS1_25partition_config_selectorILNS1_17partition_subalgoE1ExNS0_10empty_typeEbEEZZNS1_14partition_implILS5_1ELb0ES3_jN6thrust23THRUST_200600_302600_NS6detail15normal_iteratorINSA_10device_ptrIxEEEEPS6_NSA_18transform_iteratorI7is_evenIxESF_NSA_11use_defaultESK_EENS0_5tupleIJNSA_16discard_iteratorISK_EESO_EEENSM_IJSG_SG_EEES6_PlJS6_EEE10hipError_tPvRmT3_T4_T5_T6_T7_T9_mT8_P12ihipStream_tbDpT10_ENKUlT_T0_E_clISt17integral_constantIbLb1EES1A_IbLb0EEEEDaS16_S17_EUlS16_E_NS1_11comp_targetILNS1_3genE3ELNS1_11target_archE908ELNS1_3gpuE7ELNS1_3repE0EEENS1_30default_config_static_selectorELNS0_4arch9wavefront6targetE1EEEvT1_ ; -- Begin function _ZN7rocprim17ROCPRIM_400000_NS6detail17trampoline_kernelINS0_14default_configENS1_25partition_config_selectorILNS1_17partition_subalgoE1ExNS0_10empty_typeEbEEZZNS1_14partition_implILS5_1ELb0ES3_jN6thrust23THRUST_200600_302600_NS6detail15normal_iteratorINSA_10device_ptrIxEEEEPS6_NSA_18transform_iteratorI7is_evenIxESF_NSA_11use_defaultESK_EENS0_5tupleIJNSA_16discard_iteratorISK_EESO_EEENSM_IJSG_SG_EEES6_PlJS6_EEE10hipError_tPvRmT3_T4_T5_T6_T7_T9_mT8_P12ihipStream_tbDpT10_ENKUlT_T0_E_clISt17integral_constantIbLb1EES1A_IbLb0EEEEDaS16_S17_EUlS16_E_NS1_11comp_targetILNS1_3genE3ELNS1_11target_archE908ELNS1_3gpuE7ELNS1_3repE0EEENS1_30default_config_static_selectorELNS0_4arch9wavefront6targetE1EEEvT1_
	.globl	_ZN7rocprim17ROCPRIM_400000_NS6detail17trampoline_kernelINS0_14default_configENS1_25partition_config_selectorILNS1_17partition_subalgoE1ExNS0_10empty_typeEbEEZZNS1_14partition_implILS5_1ELb0ES3_jN6thrust23THRUST_200600_302600_NS6detail15normal_iteratorINSA_10device_ptrIxEEEEPS6_NSA_18transform_iteratorI7is_evenIxESF_NSA_11use_defaultESK_EENS0_5tupleIJNSA_16discard_iteratorISK_EESO_EEENSM_IJSG_SG_EEES6_PlJS6_EEE10hipError_tPvRmT3_T4_T5_T6_T7_T9_mT8_P12ihipStream_tbDpT10_ENKUlT_T0_E_clISt17integral_constantIbLb1EES1A_IbLb0EEEEDaS16_S17_EUlS16_E_NS1_11comp_targetILNS1_3genE3ELNS1_11target_archE908ELNS1_3gpuE7ELNS1_3repE0EEENS1_30default_config_static_selectorELNS0_4arch9wavefront6targetE1EEEvT1_
	.p2align	8
	.type	_ZN7rocprim17ROCPRIM_400000_NS6detail17trampoline_kernelINS0_14default_configENS1_25partition_config_selectorILNS1_17partition_subalgoE1ExNS0_10empty_typeEbEEZZNS1_14partition_implILS5_1ELb0ES3_jN6thrust23THRUST_200600_302600_NS6detail15normal_iteratorINSA_10device_ptrIxEEEEPS6_NSA_18transform_iteratorI7is_evenIxESF_NSA_11use_defaultESK_EENS0_5tupleIJNSA_16discard_iteratorISK_EESO_EEENSM_IJSG_SG_EEES6_PlJS6_EEE10hipError_tPvRmT3_T4_T5_T6_T7_T9_mT8_P12ihipStream_tbDpT10_ENKUlT_T0_E_clISt17integral_constantIbLb1EES1A_IbLb0EEEEDaS16_S17_EUlS16_E_NS1_11comp_targetILNS1_3genE3ELNS1_11target_archE908ELNS1_3gpuE7ELNS1_3repE0EEENS1_30default_config_static_selectorELNS0_4arch9wavefront6targetE1EEEvT1_,@function
_ZN7rocprim17ROCPRIM_400000_NS6detail17trampoline_kernelINS0_14default_configENS1_25partition_config_selectorILNS1_17partition_subalgoE1ExNS0_10empty_typeEbEEZZNS1_14partition_implILS5_1ELb0ES3_jN6thrust23THRUST_200600_302600_NS6detail15normal_iteratorINSA_10device_ptrIxEEEEPS6_NSA_18transform_iteratorI7is_evenIxESF_NSA_11use_defaultESK_EENS0_5tupleIJNSA_16discard_iteratorISK_EESO_EEENSM_IJSG_SG_EEES6_PlJS6_EEE10hipError_tPvRmT3_T4_T5_T6_T7_T9_mT8_P12ihipStream_tbDpT10_ENKUlT_T0_E_clISt17integral_constantIbLb1EES1A_IbLb0EEEEDaS16_S17_EUlS16_E_NS1_11comp_targetILNS1_3genE3ELNS1_11target_archE908ELNS1_3gpuE7ELNS1_3repE0EEENS1_30default_config_static_selectorELNS0_4arch9wavefront6targetE1EEEvT1_: ; @_ZN7rocprim17ROCPRIM_400000_NS6detail17trampoline_kernelINS0_14default_configENS1_25partition_config_selectorILNS1_17partition_subalgoE1ExNS0_10empty_typeEbEEZZNS1_14partition_implILS5_1ELb0ES3_jN6thrust23THRUST_200600_302600_NS6detail15normal_iteratorINSA_10device_ptrIxEEEEPS6_NSA_18transform_iteratorI7is_evenIxESF_NSA_11use_defaultESK_EENS0_5tupleIJNSA_16discard_iteratorISK_EESO_EEENSM_IJSG_SG_EEES6_PlJS6_EEE10hipError_tPvRmT3_T4_T5_T6_T7_T9_mT8_P12ihipStream_tbDpT10_ENKUlT_T0_E_clISt17integral_constantIbLb1EES1A_IbLb0EEEEDaS16_S17_EUlS16_E_NS1_11comp_targetILNS1_3genE3ELNS1_11target_archE908ELNS1_3gpuE7ELNS1_3repE0EEENS1_30default_config_static_selectorELNS0_4arch9wavefront6targetE1EEEvT1_
; %bb.0:
	.section	.rodata,"a",@progbits
	.p2align	6, 0x0
	.amdhsa_kernel _ZN7rocprim17ROCPRIM_400000_NS6detail17trampoline_kernelINS0_14default_configENS1_25partition_config_selectorILNS1_17partition_subalgoE1ExNS0_10empty_typeEbEEZZNS1_14partition_implILS5_1ELb0ES3_jN6thrust23THRUST_200600_302600_NS6detail15normal_iteratorINSA_10device_ptrIxEEEEPS6_NSA_18transform_iteratorI7is_evenIxESF_NSA_11use_defaultESK_EENS0_5tupleIJNSA_16discard_iteratorISK_EESO_EEENSM_IJSG_SG_EEES6_PlJS6_EEE10hipError_tPvRmT3_T4_T5_T6_T7_T9_mT8_P12ihipStream_tbDpT10_ENKUlT_T0_E_clISt17integral_constantIbLb1EES1A_IbLb0EEEEDaS16_S17_EUlS16_E_NS1_11comp_targetILNS1_3genE3ELNS1_11target_archE908ELNS1_3gpuE7ELNS1_3repE0EEENS1_30default_config_static_selectorELNS0_4arch9wavefront6targetE1EEEvT1_
		.amdhsa_group_segment_fixed_size 0
		.amdhsa_private_segment_fixed_size 0
		.amdhsa_kernarg_size 144
		.amdhsa_user_sgpr_count 2
		.amdhsa_user_sgpr_dispatch_ptr 0
		.amdhsa_user_sgpr_queue_ptr 0
		.amdhsa_user_sgpr_kernarg_segment_ptr 1
		.amdhsa_user_sgpr_dispatch_id 0
		.amdhsa_user_sgpr_kernarg_preload_length 0
		.amdhsa_user_sgpr_kernarg_preload_offset 0
		.amdhsa_user_sgpr_private_segment_size 0
		.amdhsa_uses_dynamic_stack 0
		.amdhsa_enable_private_segment 0
		.amdhsa_system_sgpr_workgroup_id_x 1
		.amdhsa_system_sgpr_workgroup_id_y 0
		.amdhsa_system_sgpr_workgroup_id_z 0
		.amdhsa_system_sgpr_workgroup_info 0
		.amdhsa_system_vgpr_workitem_id 0
		.amdhsa_next_free_vgpr 1
		.amdhsa_next_free_sgpr 0
		.amdhsa_accum_offset 4
		.amdhsa_reserve_vcc 0
		.amdhsa_float_round_mode_32 0
		.amdhsa_float_round_mode_16_64 0
		.amdhsa_float_denorm_mode_32 3
		.amdhsa_float_denorm_mode_16_64 3
		.amdhsa_dx10_clamp 1
		.amdhsa_ieee_mode 1
		.amdhsa_fp16_overflow 0
		.amdhsa_tg_split 0
		.amdhsa_exception_fp_ieee_invalid_op 0
		.amdhsa_exception_fp_denorm_src 0
		.amdhsa_exception_fp_ieee_div_zero 0
		.amdhsa_exception_fp_ieee_overflow 0
		.amdhsa_exception_fp_ieee_underflow 0
		.amdhsa_exception_fp_ieee_inexact 0
		.amdhsa_exception_int_div_zero 0
	.end_amdhsa_kernel
	.section	.text._ZN7rocprim17ROCPRIM_400000_NS6detail17trampoline_kernelINS0_14default_configENS1_25partition_config_selectorILNS1_17partition_subalgoE1ExNS0_10empty_typeEbEEZZNS1_14partition_implILS5_1ELb0ES3_jN6thrust23THRUST_200600_302600_NS6detail15normal_iteratorINSA_10device_ptrIxEEEEPS6_NSA_18transform_iteratorI7is_evenIxESF_NSA_11use_defaultESK_EENS0_5tupleIJNSA_16discard_iteratorISK_EESO_EEENSM_IJSG_SG_EEES6_PlJS6_EEE10hipError_tPvRmT3_T4_T5_T6_T7_T9_mT8_P12ihipStream_tbDpT10_ENKUlT_T0_E_clISt17integral_constantIbLb1EES1A_IbLb0EEEEDaS16_S17_EUlS16_E_NS1_11comp_targetILNS1_3genE3ELNS1_11target_archE908ELNS1_3gpuE7ELNS1_3repE0EEENS1_30default_config_static_selectorELNS0_4arch9wavefront6targetE1EEEvT1_,"axG",@progbits,_ZN7rocprim17ROCPRIM_400000_NS6detail17trampoline_kernelINS0_14default_configENS1_25partition_config_selectorILNS1_17partition_subalgoE1ExNS0_10empty_typeEbEEZZNS1_14partition_implILS5_1ELb0ES3_jN6thrust23THRUST_200600_302600_NS6detail15normal_iteratorINSA_10device_ptrIxEEEEPS6_NSA_18transform_iteratorI7is_evenIxESF_NSA_11use_defaultESK_EENS0_5tupleIJNSA_16discard_iteratorISK_EESO_EEENSM_IJSG_SG_EEES6_PlJS6_EEE10hipError_tPvRmT3_T4_T5_T6_T7_T9_mT8_P12ihipStream_tbDpT10_ENKUlT_T0_E_clISt17integral_constantIbLb1EES1A_IbLb0EEEEDaS16_S17_EUlS16_E_NS1_11comp_targetILNS1_3genE3ELNS1_11target_archE908ELNS1_3gpuE7ELNS1_3repE0EEENS1_30default_config_static_selectorELNS0_4arch9wavefront6targetE1EEEvT1_,comdat
.Lfunc_end3182:
	.size	_ZN7rocprim17ROCPRIM_400000_NS6detail17trampoline_kernelINS0_14default_configENS1_25partition_config_selectorILNS1_17partition_subalgoE1ExNS0_10empty_typeEbEEZZNS1_14partition_implILS5_1ELb0ES3_jN6thrust23THRUST_200600_302600_NS6detail15normal_iteratorINSA_10device_ptrIxEEEEPS6_NSA_18transform_iteratorI7is_evenIxESF_NSA_11use_defaultESK_EENS0_5tupleIJNSA_16discard_iteratorISK_EESO_EEENSM_IJSG_SG_EEES6_PlJS6_EEE10hipError_tPvRmT3_T4_T5_T6_T7_T9_mT8_P12ihipStream_tbDpT10_ENKUlT_T0_E_clISt17integral_constantIbLb1EES1A_IbLb0EEEEDaS16_S17_EUlS16_E_NS1_11comp_targetILNS1_3genE3ELNS1_11target_archE908ELNS1_3gpuE7ELNS1_3repE0EEENS1_30default_config_static_selectorELNS0_4arch9wavefront6targetE1EEEvT1_, .Lfunc_end3182-_ZN7rocprim17ROCPRIM_400000_NS6detail17trampoline_kernelINS0_14default_configENS1_25partition_config_selectorILNS1_17partition_subalgoE1ExNS0_10empty_typeEbEEZZNS1_14partition_implILS5_1ELb0ES3_jN6thrust23THRUST_200600_302600_NS6detail15normal_iteratorINSA_10device_ptrIxEEEEPS6_NSA_18transform_iteratorI7is_evenIxESF_NSA_11use_defaultESK_EENS0_5tupleIJNSA_16discard_iteratorISK_EESO_EEENSM_IJSG_SG_EEES6_PlJS6_EEE10hipError_tPvRmT3_T4_T5_T6_T7_T9_mT8_P12ihipStream_tbDpT10_ENKUlT_T0_E_clISt17integral_constantIbLb1EES1A_IbLb0EEEEDaS16_S17_EUlS16_E_NS1_11comp_targetILNS1_3genE3ELNS1_11target_archE908ELNS1_3gpuE7ELNS1_3repE0EEENS1_30default_config_static_selectorELNS0_4arch9wavefront6targetE1EEEvT1_
                                        ; -- End function
	.section	.AMDGPU.csdata,"",@progbits
; Kernel info:
; codeLenInByte = 0
; NumSgprs: 6
; NumVgprs: 0
; NumAgprs: 0
; TotalNumVgprs: 0
; ScratchSize: 0
; MemoryBound: 0
; FloatMode: 240
; IeeeMode: 1
; LDSByteSize: 0 bytes/workgroup (compile time only)
; SGPRBlocks: 0
; VGPRBlocks: 0
; NumSGPRsForWavesPerEU: 6
; NumVGPRsForWavesPerEU: 1
; AccumOffset: 4
; Occupancy: 8
; WaveLimiterHint : 0
; COMPUTE_PGM_RSRC2:SCRATCH_EN: 0
; COMPUTE_PGM_RSRC2:USER_SGPR: 2
; COMPUTE_PGM_RSRC2:TRAP_HANDLER: 0
; COMPUTE_PGM_RSRC2:TGID_X_EN: 1
; COMPUTE_PGM_RSRC2:TGID_Y_EN: 0
; COMPUTE_PGM_RSRC2:TGID_Z_EN: 0
; COMPUTE_PGM_RSRC2:TIDIG_COMP_CNT: 0
; COMPUTE_PGM_RSRC3_GFX90A:ACCUM_OFFSET: 0
; COMPUTE_PGM_RSRC3_GFX90A:TG_SPLIT: 0
	.section	.text._ZN7rocprim17ROCPRIM_400000_NS6detail17trampoline_kernelINS0_14default_configENS1_25partition_config_selectorILNS1_17partition_subalgoE1ExNS0_10empty_typeEbEEZZNS1_14partition_implILS5_1ELb0ES3_jN6thrust23THRUST_200600_302600_NS6detail15normal_iteratorINSA_10device_ptrIxEEEEPS6_NSA_18transform_iteratorI7is_evenIxESF_NSA_11use_defaultESK_EENS0_5tupleIJNSA_16discard_iteratorISK_EESO_EEENSM_IJSG_SG_EEES6_PlJS6_EEE10hipError_tPvRmT3_T4_T5_T6_T7_T9_mT8_P12ihipStream_tbDpT10_ENKUlT_T0_E_clISt17integral_constantIbLb1EES1A_IbLb0EEEEDaS16_S17_EUlS16_E_NS1_11comp_targetILNS1_3genE2ELNS1_11target_archE906ELNS1_3gpuE6ELNS1_3repE0EEENS1_30default_config_static_selectorELNS0_4arch9wavefront6targetE1EEEvT1_,"axG",@progbits,_ZN7rocprim17ROCPRIM_400000_NS6detail17trampoline_kernelINS0_14default_configENS1_25partition_config_selectorILNS1_17partition_subalgoE1ExNS0_10empty_typeEbEEZZNS1_14partition_implILS5_1ELb0ES3_jN6thrust23THRUST_200600_302600_NS6detail15normal_iteratorINSA_10device_ptrIxEEEEPS6_NSA_18transform_iteratorI7is_evenIxESF_NSA_11use_defaultESK_EENS0_5tupleIJNSA_16discard_iteratorISK_EESO_EEENSM_IJSG_SG_EEES6_PlJS6_EEE10hipError_tPvRmT3_T4_T5_T6_T7_T9_mT8_P12ihipStream_tbDpT10_ENKUlT_T0_E_clISt17integral_constantIbLb1EES1A_IbLb0EEEEDaS16_S17_EUlS16_E_NS1_11comp_targetILNS1_3genE2ELNS1_11target_archE906ELNS1_3gpuE6ELNS1_3repE0EEENS1_30default_config_static_selectorELNS0_4arch9wavefront6targetE1EEEvT1_,comdat
	.protected	_ZN7rocprim17ROCPRIM_400000_NS6detail17trampoline_kernelINS0_14default_configENS1_25partition_config_selectorILNS1_17partition_subalgoE1ExNS0_10empty_typeEbEEZZNS1_14partition_implILS5_1ELb0ES3_jN6thrust23THRUST_200600_302600_NS6detail15normal_iteratorINSA_10device_ptrIxEEEEPS6_NSA_18transform_iteratorI7is_evenIxESF_NSA_11use_defaultESK_EENS0_5tupleIJNSA_16discard_iteratorISK_EESO_EEENSM_IJSG_SG_EEES6_PlJS6_EEE10hipError_tPvRmT3_T4_T5_T6_T7_T9_mT8_P12ihipStream_tbDpT10_ENKUlT_T0_E_clISt17integral_constantIbLb1EES1A_IbLb0EEEEDaS16_S17_EUlS16_E_NS1_11comp_targetILNS1_3genE2ELNS1_11target_archE906ELNS1_3gpuE6ELNS1_3repE0EEENS1_30default_config_static_selectorELNS0_4arch9wavefront6targetE1EEEvT1_ ; -- Begin function _ZN7rocprim17ROCPRIM_400000_NS6detail17trampoline_kernelINS0_14default_configENS1_25partition_config_selectorILNS1_17partition_subalgoE1ExNS0_10empty_typeEbEEZZNS1_14partition_implILS5_1ELb0ES3_jN6thrust23THRUST_200600_302600_NS6detail15normal_iteratorINSA_10device_ptrIxEEEEPS6_NSA_18transform_iteratorI7is_evenIxESF_NSA_11use_defaultESK_EENS0_5tupleIJNSA_16discard_iteratorISK_EESO_EEENSM_IJSG_SG_EEES6_PlJS6_EEE10hipError_tPvRmT3_T4_T5_T6_T7_T9_mT8_P12ihipStream_tbDpT10_ENKUlT_T0_E_clISt17integral_constantIbLb1EES1A_IbLb0EEEEDaS16_S17_EUlS16_E_NS1_11comp_targetILNS1_3genE2ELNS1_11target_archE906ELNS1_3gpuE6ELNS1_3repE0EEENS1_30default_config_static_selectorELNS0_4arch9wavefront6targetE1EEEvT1_
	.globl	_ZN7rocprim17ROCPRIM_400000_NS6detail17trampoline_kernelINS0_14default_configENS1_25partition_config_selectorILNS1_17partition_subalgoE1ExNS0_10empty_typeEbEEZZNS1_14partition_implILS5_1ELb0ES3_jN6thrust23THRUST_200600_302600_NS6detail15normal_iteratorINSA_10device_ptrIxEEEEPS6_NSA_18transform_iteratorI7is_evenIxESF_NSA_11use_defaultESK_EENS0_5tupleIJNSA_16discard_iteratorISK_EESO_EEENSM_IJSG_SG_EEES6_PlJS6_EEE10hipError_tPvRmT3_T4_T5_T6_T7_T9_mT8_P12ihipStream_tbDpT10_ENKUlT_T0_E_clISt17integral_constantIbLb1EES1A_IbLb0EEEEDaS16_S17_EUlS16_E_NS1_11comp_targetILNS1_3genE2ELNS1_11target_archE906ELNS1_3gpuE6ELNS1_3repE0EEENS1_30default_config_static_selectorELNS0_4arch9wavefront6targetE1EEEvT1_
	.p2align	8
	.type	_ZN7rocprim17ROCPRIM_400000_NS6detail17trampoline_kernelINS0_14default_configENS1_25partition_config_selectorILNS1_17partition_subalgoE1ExNS0_10empty_typeEbEEZZNS1_14partition_implILS5_1ELb0ES3_jN6thrust23THRUST_200600_302600_NS6detail15normal_iteratorINSA_10device_ptrIxEEEEPS6_NSA_18transform_iteratorI7is_evenIxESF_NSA_11use_defaultESK_EENS0_5tupleIJNSA_16discard_iteratorISK_EESO_EEENSM_IJSG_SG_EEES6_PlJS6_EEE10hipError_tPvRmT3_T4_T5_T6_T7_T9_mT8_P12ihipStream_tbDpT10_ENKUlT_T0_E_clISt17integral_constantIbLb1EES1A_IbLb0EEEEDaS16_S17_EUlS16_E_NS1_11comp_targetILNS1_3genE2ELNS1_11target_archE906ELNS1_3gpuE6ELNS1_3repE0EEENS1_30default_config_static_selectorELNS0_4arch9wavefront6targetE1EEEvT1_,@function
_ZN7rocprim17ROCPRIM_400000_NS6detail17trampoline_kernelINS0_14default_configENS1_25partition_config_selectorILNS1_17partition_subalgoE1ExNS0_10empty_typeEbEEZZNS1_14partition_implILS5_1ELb0ES3_jN6thrust23THRUST_200600_302600_NS6detail15normal_iteratorINSA_10device_ptrIxEEEEPS6_NSA_18transform_iteratorI7is_evenIxESF_NSA_11use_defaultESK_EENS0_5tupleIJNSA_16discard_iteratorISK_EESO_EEENSM_IJSG_SG_EEES6_PlJS6_EEE10hipError_tPvRmT3_T4_T5_T6_T7_T9_mT8_P12ihipStream_tbDpT10_ENKUlT_T0_E_clISt17integral_constantIbLb1EES1A_IbLb0EEEEDaS16_S17_EUlS16_E_NS1_11comp_targetILNS1_3genE2ELNS1_11target_archE906ELNS1_3gpuE6ELNS1_3repE0EEENS1_30default_config_static_selectorELNS0_4arch9wavefront6targetE1EEEvT1_: ; @_ZN7rocprim17ROCPRIM_400000_NS6detail17trampoline_kernelINS0_14default_configENS1_25partition_config_selectorILNS1_17partition_subalgoE1ExNS0_10empty_typeEbEEZZNS1_14partition_implILS5_1ELb0ES3_jN6thrust23THRUST_200600_302600_NS6detail15normal_iteratorINSA_10device_ptrIxEEEEPS6_NSA_18transform_iteratorI7is_evenIxESF_NSA_11use_defaultESK_EENS0_5tupleIJNSA_16discard_iteratorISK_EESO_EEENSM_IJSG_SG_EEES6_PlJS6_EEE10hipError_tPvRmT3_T4_T5_T6_T7_T9_mT8_P12ihipStream_tbDpT10_ENKUlT_T0_E_clISt17integral_constantIbLb1EES1A_IbLb0EEEEDaS16_S17_EUlS16_E_NS1_11comp_targetILNS1_3genE2ELNS1_11target_archE906ELNS1_3gpuE6ELNS1_3repE0EEENS1_30default_config_static_selectorELNS0_4arch9wavefront6targetE1EEEvT1_
; %bb.0:
	.section	.rodata,"a",@progbits
	.p2align	6, 0x0
	.amdhsa_kernel _ZN7rocprim17ROCPRIM_400000_NS6detail17trampoline_kernelINS0_14default_configENS1_25partition_config_selectorILNS1_17partition_subalgoE1ExNS0_10empty_typeEbEEZZNS1_14partition_implILS5_1ELb0ES3_jN6thrust23THRUST_200600_302600_NS6detail15normal_iteratorINSA_10device_ptrIxEEEEPS6_NSA_18transform_iteratorI7is_evenIxESF_NSA_11use_defaultESK_EENS0_5tupleIJNSA_16discard_iteratorISK_EESO_EEENSM_IJSG_SG_EEES6_PlJS6_EEE10hipError_tPvRmT3_T4_T5_T6_T7_T9_mT8_P12ihipStream_tbDpT10_ENKUlT_T0_E_clISt17integral_constantIbLb1EES1A_IbLb0EEEEDaS16_S17_EUlS16_E_NS1_11comp_targetILNS1_3genE2ELNS1_11target_archE906ELNS1_3gpuE6ELNS1_3repE0EEENS1_30default_config_static_selectorELNS0_4arch9wavefront6targetE1EEEvT1_
		.amdhsa_group_segment_fixed_size 0
		.amdhsa_private_segment_fixed_size 0
		.amdhsa_kernarg_size 144
		.amdhsa_user_sgpr_count 2
		.amdhsa_user_sgpr_dispatch_ptr 0
		.amdhsa_user_sgpr_queue_ptr 0
		.amdhsa_user_sgpr_kernarg_segment_ptr 1
		.amdhsa_user_sgpr_dispatch_id 0
		.amdhsa_user_sgpr_kernarg_preload_length 0
		.amdhsa_user_sgpr_kernarg_preload_offset 0
		.amdhsa_user_sgpr_private_segment_size 0
		.amdhsa_uses_dynamic_stack 0
		.amdhsa_enable_private_segment 0
		.amdhsa_system_sgpr_workgroup_id_x 1
		.amdhsa_system_sgpr_workgroup_id_y 0
		.amdhsa_system_sgpr_workgroup_id_z 0
		.amdhsa_system_sgpr_workgroup_info 0
		.amdhsa_system_vgpr_workitem_id 0
		.amdhsa_next_free_vgpr 1
		.amdhsa_next_free_sgpr 0
		.amdhsa_accum_offset 4
		.amdhsa_reserve_vcc 0
		.amdhsa_float_round_mode_32 0
		.amdhsa_float_round_mode_16_64 0
		.amdhsa_float_denorm_mode_32 3
		.amdhsa_float_denorm_mode_16_64 3
		.amdhsa_dx10_clamp 1
		.amdhsa_ieee_mode 1
		.amdhsa_fp16_overflow 0
		.amdhsa_tg_split 0
		.amdhsa_exception_fp_ieee_invalid_op 0
		.amdhsa_exception_fp_denorm_src 0
		.amdhsa_exception_fp_ieee_div_zero 0
		.amdhsa_exception_fp_ieee_overflow 0
		.amdhsa_exception_fp_ieee_underflow 0
		.amdhsa_exception_fp_ieee_inexact 0
		.amdhsa_exception_int_div_zero 0
	.end_amdhsa_kernel
	.section	.text._ZN7rocprim17ROCPRIM_400000_NS6detail17trampoline_kernelINS0_14default_configENS1_25partition_config_selectorILNS1_17partition_subalgoE1ExNS0_10empty_typeEbEEZZNS1_14partition_implILS5_1ELb0ES3_jN6thrust23THRUST_200600_302600_NS6detail15normal_iteratorINSA_10device_ptrIxEEEEPS6_NSA_18transform_iteratorI7is_evenIxESF_NSA_11use_defaultESK_EENS0_5tupleIJNSA_16discard_iteratorISK_EESO_EEENSM_IJSG_SG_EEES6_PlJS6_EEE10hipError_tPvRmT3_T4_T5_T6_T7_T9_mT8_P12ihipStream_tbDpT10_ENKUlT_T0_E_clISt17integral_constantIbLb1EES1A_IbLb0EEEEDaS16_S17_EUlS16_E_NS1_11comp_targetILNS1_3genE2ELNS1_11target_archE906ELNS1_3gpuE6ELNS1_3repE0EEENS1_30default_config_static_selectorELNS0_4arch9wavefront6targetE1EEEvT1_,"axG",@progbits,_ZN7rocprim17ROCPRIM_400000_NS6detail17trampoline_kernelINS0_14default_configENS1_25partition_config_selectorILNS1_17partition_subalgoE1ExNS0_10empty_typeEbEEZZNS1_14partition_implILS5_1ELb0ES3_jN6thrust23THRUST_200600_302600_NS6detail15normal_iteratorINSA_10device_ptrIxEEEEPS6_NSA_18transform_iteratorI7is_evenIxESF_NSA_11use_defaultESK_EENS0_5tupleIJNSA_16discard_iteratorISK_EESO_EEENSM_IJSG_SG_EEES6_PlJS6_EEE10hipError_tPvRmT3_T4_T5_T6_T7_T9_mT8_P12ihipStream_tbDpT10_ENKUlT_T0_E_clISt17integral_constantIbLb1EES1A_IbLb0EEEEDaS16_S17_EUlS16_E_NS1_11comp_targetILNS1_3genE2ELNS1_11target_archE906ELNS1_3gpuE6ELNS1_3repE0EEENS1_30default_config_static_selectorELNS0_4arch9wavefront6targetE1EEEvT1_,comdat
.Lfunc_end3183:
	.size	_ZN7rocprim17ROCPRIM_400000_NS6detail17trampoline_kernelINS0_14default_configENS1_25partition_config_selectorILNS1_17partition_subalgoE1ExNS0_10empty_typeEbEEZZNS1_14partition_implILS5_1ELb0ES3_jN6thrust23THRUST_200600_302600_NS6detail15normal_iteratorINSA_10device_ptrIxEEEEPS6_NSA_18transform_iteratorI7is_evenIxESF_NSA_11use_defaultESK_EENS0_5tupleIJNSA_16discard_iteratorISK_EESO_EEENSM_IJSG_SG_EEES6_PlJS6_EEE10hipError_tPvRmT3_T4_T5_T6_T7_T9_mT8_P12ihipStream_tbDpT10_ENKUlT_T0_E_clISt17integral_constantIbLb1EES1A_IbLb0EEEEDaS16_S17_EUlS16_E_NS1_11comp_targetILNS1_3genE2ELNS1_11target_archE906ELNS1_3gpuE6ELNS1_3repE0EEENS1_30default_config_static_selectorELNS0_4arch9wavefront6targetE1EEEvT1_, .Lfunc_end3183-_ZN7rocprim17ROCPRIM_400000_NS6detail17trampoline_kernelINS0_14default_configENS1_25partition_config_selectorILNS1_17partition_subalgoE1ExNS0_10empty_typeEbEEZZNS1_14partition_implILS5_1ELb0ES3_jN6thrust23THRUST_200600_302600_NS6detail15normal_iteratorINSA_10device_ptrIxEEEEPS6_NSA_18transform_iteratorI7is_evenIxESF_NSA_11use_defaultESK_EENS0_5tupleIJNSA_16discard_iteratorISK_EESO_EEENSM_IJSG_SG_EEES6_PlJS6_EEE10hipError_tPvRmT3_T4_T5_T6_T7_T9_mT8_P12ihipStream_tbDpT10_ENKUlT_T0_E_clISt17integral_constantIbLb1EES1A_IbLb0EEEEDaS16_S17_EUlS16_E_NS1_11comp_targetILNS1_3genE2ELNS1_11target_archE906ELNS1_3gpuE6ELNS1_3repE0EEENS1_30default_config_static_selectorELNS0_4arch9wavefront6targetE1EEEvT1_
                                        ; -- End function
	.section	.AMDGPU.csdata,"",@progbits
; Kernel info:
; codeLenInByte = 0
; NumSgprs: 6
; NumVgprs: 0
; NumAgprs: 0
; TotalNumVgprs: 0
; ScratchSize: 0
; MemoryBound: 0
; FloatMode: 240
; IeeeMode: 1
; LDSByteSize: 0 bytes/workgroup (compile time only)
; SGPRBlocks: 0
; VGPRBlocks: 0
; NumSGPRsForWavesPerEU: 6
; NumVGPRsForWavesPerEU: 1
; AccumOffset: 4
; Occupancy: 8
; WaveLimiterHint : 0
; COMPUTE_PGM_RSRC2:SCRATCH_EN: 0
; COMPUTE_PGM_RSRC2:USER_SGPR: 2
; COMPUTE_PGM_RSRC2:TRAP_HANDLER: 0
; COMPUTE_PGM_RSRC2:TGID_X_EN: 1
; COMPUTE_PGM_RSRC2:TGID_Y_EN: 0
; COMPUTE_PGM_RSRC2:TGID_Z_EN: 0
; COMPUTE_PGM_RSRC2:TIDIG_COMP_CNT: 0
; COMPUTE_PGM_RSRC3_GFX90A:ACCUM_OFFSET: 0
; COMPUTE_PGM_RSRC3_GFX90A:TG_SPLIT: 0
	.section	.text._ZN7rocprim17ROCPRIM_400000_NS6detail17trampoline_kernelINS0_14default_configENS1_25partition_config_selectorILNS1_17partition_subalgoE1ExNS0_10empty_typeEbEEZZNS1_14partition_implILS5_1ELb0ES3_jN6thrust23THRUST_200600_302600_NS6detail15normal_iteratorINSA_10device_ptrIxEEEEPS6_NSA_18transform_iteratorI7is_evenIxESF_NSA_11use_defaultESK_EENS0_5tupleIJNSA_16discard_iteratorISK_EESO_EEENSM_IJSG_SG_EEES6_PlJS6_EEE10hipError_tPvRmT3_T4_T5_T6_T7_T9_mT8_P12ihipStream_tbDpT10_ENKUlT_T0_E_clISt17integral_constantIbLb1EES1A_IbLb0EEEEDaS16_S17_EUlS16_E_NS1_11comp_targetILNS1_3genE10ELNS1_11target_archE1200ELNS1_3gpuE4ELNS1_3repE0EEENS1_30default_config_static_selectorELNS0_4arch9wavefront6targetE1EEEvT1_,"axG",@progbits,_ZN7rocprim17ROCPRIM_400000_NS6detail17trampoline_kernelINS0_14default_configENS1_25partition_config_selectorILNS1_17partition_subalgoE1ExNS0_10empty_typeEbEEZZNS1_14partition_implILS5_1ELb0ES3_jN6thrust23THRUST_200600_302600_NS6detail15normal_iteratorINSA_10device_ptrIxEEEEPS6_NSA_18transform_iteratorI7is_evenIxESF_NSA_11use_defaultESK_EENS0_5tupleIJNSA_16discard_iteratorISK_EESO_EEENSM_IJSG_SG_EEES6_PlJS6_EEE10hipError_tPvRmT3_T4_T5_T6_T7_T9_mT8_P12ihipStream_tbDpT10_ENKUlT_T0_E_clISt17integral_constantIbLb1EES1A_IbLb0EEEEDaS16_S17_EUlS16_E_NS1_11comp_targetILNS1_3genE10ELNS1_11target_archE1200ELNS1_3gpuE4ELNS1_3repE0EEENS1_30default_config_static_selectorELNS0_4arch9wavefront6targetE1EEEvT1_,comdat
	.protected	_ZN7rocprim17ROCPRIM_400000_NS6detail17trampoline_kernelINS0_14default_configENS1_25partition_config_selectorILNS1_17partition_subalgoE1ExNS0_10empty_typeEbEEZZNS1_14partition_implILS5_1ELb0ES3_jN6thrust23THRUST_200600_302600_NS6detail15normal_iteratorINSA_10device_ptrIxEEEEPS6_NSA_18transform_iteratorI7is_evenIxESF_NSA_11use_defaultESK_EENS0_5tupleIJNSA_16discard_iteratorISK_EESO_EEENSM_IJSG_SG_EEES6_PlJS6_EEE10hipError_tPvRmT3_T4_T5_T6_T7_T9_mT8_P12ihipStream_tbDpT10_ENKUlT_T0_E_clISt17integral_constantIbLb1EES1A_IbLb0EEEEDaS16_S17_EUlS16_E_NS1_11comp_targetILNS1_3genE10ELNS1_11target_archE1200ELNS1_3gpuE4ELNS1_3repE0EEENS1_30default_config_static_selectorELNS0_4arch9wavefront6targetE1EEEvT1_ ; -- Begin function _ZN7rocprim17ROCPRIM_400000_NS6detail17trampoline_kernelINS0_14default_configENS1_25partition_config_selectorILNS1_17partition_subalgoE1ExNS0_10empty_typeEbEEZZNS1_14partition_implILS5_1ELb0ES3_jN6thrust23THRUST_200600_302600_NS6detail15normal_iteratorINSA_10device_ptrIxEEEEPS6_NSA_18transform_iteratorI7is_evenIxESF_NSA_11use_defaultESK_EENS0_5tupleIJNSA_16discard_iteratorISK_EESO_EEENSM_IJSG_SG_EEES6_PlJS6_EEE10hipError_tPvRmT3_T4_T5_T6_T7_T9_mT8_P12ihipStream_tbDpT10_ENKUlT_T0_E_clISt17integral_constantIbLb1EES1A_IbLb0EEEEDaS16_S17_EUlS16_E_NS1_11comp_targetILNS1_3genE10ELNS1_11target_archE1200ELNS1_3gpuE4ELNS1_3repE0EEENS1_30default_config_static_selectorELNS0_4arch9wavefront6targetE1EEEvT1_
	.globl	_ZN7rocprim17ROCPRIM_400000_NS6detail17trampoline_kernelINS0_14default_configENS1_25partition_config_selectorILNS1_17partition_subalgoE1ExNS0_10empty_typeEbEEZZNS1_14partition_implILS5_1ELb0ES3_jN6thrust23THRUST_200600_302600_NS6detail15normal_iteratorINSA_10device_ptrIxEEEEPS6_NSA_18transform_iteratorI7is_evenIxESF_NSA_11use_defaultESK_EENS0_5tupleIJNSA_16discard_iteratorISK_EESO_EEENSM_IJSG_SG_EEES6_PlJS6_EEE10hipError_tPvRmT3_T4_T5_T6_T7_T9_mT8_P12ihipStream_tbDpT10_ENKUlT_T0_E_clISt17integral_constantIbLb1EES1A_IbLb0EEEEDaS16_S17_EUlS16_E_NS1_11comp_targetILNS1_3genE10ELNS1_11target_archE1200ELNS1_3gpuE4ELNS1_3repE0EEENS1_30default_config_static_selectorELNS0_4arch9wavefront6targetE1EEEvT1_
	.p2align	8
	.type	_ZN7rocprim17ROCPRIM_400000_NS6detail17trampoline_kernelINS0_14default_configENS1_25partition_config_selectorILNS1_17partition_subalgoE1ExNS0_10empty_typeEbEEZZNS1_14partition_implILS5_1ELb0ES3_jN6thrust23THRUST_200600_302600_NS6detail15normal_iteratorINSA_10device_ptrIxEEEEPS6_NSA_18transform_iteratorI7is_evenIxESF_NSA_11use_defaultESK_EENS0_5tupleIJNSA_16discard_iteratorISK_EESO_EEENSM_IJSG_SG_EEES6_PlJS6_EEE10hipError_tPvRmT3_T4_T5_T6_T7_T9_mT8_P12ihipStream_tbDpT10_ENKUlT_T0_E_clISt17integral_constantIbLb1EES1A_IbLb0EEEEDaS16_S17_EUlS16_E_NS1_11comp_targetILNS1_3genE10ELNS1_11target_archE1200ELNS1_3gpuE4ELNS1_3repE0EEENS1_30default_config_static_selectorELNS0_4arch9wavefront6targetE1EEEvT1_,@function
_ZN7rocprim17ROCPRIM_400000_NS6detail17trampoline_kernelINS0_14default_configENS1_25partition_config_selectorILNS1_17partition_subalgoE1ExNS0_10empty_typeEbEEZZNS1_14partition_implILS5_1ELb0ES3_jN6thrust23THRUST_200600_302600_NS6detail15normal_iteratorINSA_10device_ptrIxEEEEPS6_NSA_18transform_iteratorI7is_evenIxESF_NSA_11use_defaultESK_EENS0_5tupleIJNSA_16discard_iteratorISK_EESO_EEENSM_IJSG_SG_EEES6_PlJS6_EEE10hipError_tPvRmT3_T4_T5_T6_T7_T9_mT8_P12ihipStream_tbDpT10_ENKUlT_T0_E_clISt17integral_constantIbLb1EES1A_IbLb0EEEEDaS16_S17_EUlS16_E_NS1_11comp_targetILNS1_3genE10ELNS1_11target_archE1200ELNS1_3gpuE4ELNS1_3repE0EEENS1_30default_config_static_selectorELNS0_4arch9wavefront6targetE1EEEvT1_: ; @_ZN7rocprim17ROCPRIM_400000_NS6detail17trampoline_kernelINS0_14default_configENS1_25partition_config_selectorILNS1_17partition_subalgoE1ExNS0_10empty_typeEbEEZZNS1_14partition_implILS5_1ELb0ES3_jN6thrust23THRUST_200600_302600_NS6detail15normal_iteratorINSA_10device_ptrIxEEEEPS6_NSA_18transform_iteratorI7is_evenIxESF_NSA_11use_defaultESK_EENS0_5tupleIJNSA_16discard_iteratorISK_EESO_EEENSM_IJSG_SG_EEES6_PlJS6_EEE10hipError_tPvRmT3_T4_T5_T6_T7_T9_mT8_P12ihipStream_tbDpT10_ENKUlT_T0_E_clISt17integral_constantIbLb1EES1A_IbLb0EEEEDaS16_S17_EUlS16_E_NS1_11comp_targetILNS1_3genE10ELNS1_11target_archE1200ELNS1_3gpuE4ELNS1_3repE0EEENS1_30default_config_static_selectorELNS0_4arch9wavefront6targetE1EEEvT1_
; %bb.0:
	.section	.rodata,"a",@progbits
	.p2align	6, 0x0
	.amdhsa_kernel _ZN7rocprim17ROCPRIM_400000_NS6detail17trampoline_kernelINS0_14default_configENS1_25partition_config_selectorILNS1_17partition_subalgoE1ExNS0_10empty_typeEbEEZZNS1_14partition_implILS5_1ELb0ES3_jN6thrust23THRUST_200600_302600_NS6detail15normal_iteratorINSA_10device_ptrIxEEEEPS6_NSA_18transform_iteratorI7is_evenIxESF_NSA_11use_defaultESK_EENS0_5tupleIJNSA_16discard_iteratorISK_EESO_EEENSM_IJSG_SG_EEES6_PlJS6_EEE10hipError_tPvRmT3_T4_T5_T6_T7_T9_mT8_P12ihipStream_tbDpT10_ENKUlT_T0_E_clISt17integral_constantIbLb1EES1A_IbLb0EEEEDaS16_S17_EUlS16_E_NS1_11comp_targetILNS1_3genE10ELNS1_11target_archE1200ELNS1_3gpuE4ELNS1_3repE0EEENS1_30default_config_static_selectorELNS0_4arch9wavefront6targetE1EEEvT1_
		.amdhsa_group_segment_fixed_size 0
		.amdhsa_private_segment_fixed_size 0
		.amdhsa_kernarg_size 144
		.amdhsa_user_sgpr_count 2
		.amdhsa_user_sgpr_dispatch_ptr 0
		.amdhsa_user_sgpr_queue_ptr 0
		.amdhsa_user_sgpr_kernarg_segment_ptr 1
		.amdhsa_user_sgpr_dispatch_id 0
		.amdhsa_user_sgpr_kernarg_preload_length 0
		.amdhsa_user_sgpr_kernarg_preload_offset 0
		.amdhsa_user_sgpr_private_segment_size 0
		.amdhsa_uses_dynamic_stack 0
		.amdhsa_enable_private_segment 0
		.amdhsa_system_sgpr_workgroup_id_x 1
		.amdhsa_system_sgpr_workgroup_id_y 0
		.amdhsa_system_sgpr_workgroup_id_z 0
		.amdhsa_system_sgpr_workgroup_info 0
		.amdhsa_system_vgpr_workitem_id 0
		.amdhsa_next_free_vgpr 1
		.amdhsa_next_free_sgpr 0
		.amdhsa_accum_offset 4
		.amdhsa_reserve_vcc 0
		.amdhsa_float_round_mode_32 0
		.amdhsa_float_round_mode_16_64 0
		.amdhsa_float_denorm_mode_32 3
		.amdhsa_float_denorm_mode_16_64 3
		.amdhsa_dx10_clamp 1
		.amdhsa_ieee_mode 1
		.amdhsa_fp16_overflow 0
		.amdhsa_tg_split 0
		.amdhsa_exception_fp_ieee_invalid_op 0
		.amdhsa_exception_fp_denorm_src 0
		.amdhsa_exception_fp_ieee_div_zero 0
		.amdhsa_exception_fp_ieee_overflow 0
		.amdhsa_exception_fp_ieee_underflow 0
		.amdhsa_exception_fp_ieee_inexact 0
		.amdhsa_exception_int_div_zero 0
	.end_amdhsa_kernel
	.section	.text._ZN7rocprim17ROCPRIM_400000_NS6detail17trampoline_kernelINS0_14default_configENS1_25partition_config_selectorILNS1_17partition_subalgoE1ExNS0_10empty_typeEbEEZZNS1_14partition_implILS5_1ELb0ES3_jN6thrust23THRUST_200600_302600_NS6detail15normal_iteratorINSA_10device_ptrIxEEEEPS6_NSA_18transform_iteratorI7is_evenIxESF_NSA_11use_defaultESK_EENS0_5tupleIJNSA_16discard_iteratorISK_EESO_EEENSM_IJSG_SG_EEES6_PlJS6_EEE10hipError_tPvRmT3_T4_T5_T6_T7_T9_mT8_P12ihipStream_tbDpT10_ENKUlT_T0_E_clISt17integral_constantIbLb1EES1A_IbLb0EEEEDaS16_S17_EUlS16_E_NS1_11comp_targetILNS1_3genE10ELNS1_11target_archE1200ELNS1_3gpuE4ELNS1_3repE0EEENS1_30default_config_static_selectorELNS0_4arch9wavefront6targetE1EEEvT1_,"axG",@progbits,_ZN7rocprim17ROCPRIM_400000_NS6detail17trampoline_kernelINS0_14default_configENS1_25partition_config_selectorILNS1_17partition_subalgoE1ExNS0_10empty_typeEbEEZZNS1_14partition_implILS5_1ELb0ES3_jN6thrust23THRUST_200600_302600_NS6detail15normal_iteratorINSA_10device_ptrIxEEEEPS6_NSA_18transform_iteratorI7is_evenIxESF_NSA_11use_defaultESK_EENS0_5tupleIJNSA_16discard_iteratorISK_EESO_EEENSM_IJSG_SG_EEES6_PlJS6_EEE10hipError_tPvRmT3_T4_T5_T6_T7_T9_mT8_P12ihipStream_tbDpT10_ENKUlT_T0_E_clISt17integral_constantIbLb1EES1A_IbLb0EEEEDaS16_S17_EUlS16_E_NS1_11comp_targetILNS1_3genE10ELNS1_11target_archE1200ELNS1_3gpuE4ELNS1_3repE0EEENS1_30default_config_static_selectorELNS0_4arch9wavefront6targetE1EEEvT1_,comdat
.Lfunc_end3184:
	.size	_ZN7rocprim17ROCPRIM_400000_NS6detail17trampoline_kernelINS0_14default_configENS1_25partition_config_selectorILNS1_17partition_subalgoE1ExNS0_10empty_typeEbEEZZNS1_14partition_implILS5_1ELb0ES3_jN6thrust23THRUST_200600_302600_NS6detail15normal_iteratorINSA_10device_ptrIxEEEEPS6_NSA_18transform_iteratorI7is_evenIxESF_NSA_11use_defaultESK_EENS0_5tupleIJNSA_16discard_iteratorISK_EESO_EEENSM_IJSG_SG_EEES6_PlJS6_EEE10hipError_tPvRmT3_T4_T5_T6_T7_T9_mT8_P12ihipStream_tbDpT10_ENKUlT_T0_E_clISt17integral_constantIbLb1EES1A_IbLb0EEEEDaS16_S17_EUlS16_E_NS1_11comp_targetILNS1_3genE10ELNS1_11target_archE1200ELNS1_3gpuE4ELNS1_3repE0EEENS1_30default_config_static_selectorELNS0_4arch9wavefront6targetE1EEEvT1_, .Lfunc_end3184-_ZN7rocprim17ROCPRIM_400000_NS6detail17trampoline_kernelINS0_14default_configENS1_25partition_config_selectorILNS1_17partition_subalgoE1ExNS0_10empty_typeEbEEZZNS1_14partition_implILS5_1ELb0ES3_jN6thrust23THRUST_200600_302600_NS6detail15normal_iteratorINSA_10device_ptrIxEEEEPS6_NSA_18transform_iteratorI7is_evenIxESF_NSA_11use_defaultESK_EENS0_5tupleIJNSA_16discard_iteratorISK_EESO_EEENSM_IJSG_SG_EEES6_PlJS6_EEE10hipError_tPvRmT3_T4_T5_T6_T7_T9_mT8_P12ihipStream_tbDpT10_ENKUlT_T0_E_clISt17integral_constantIbLb1EES1A_IbLb0EEEEDaS16_S17_EUlS16_E_NS1_11comp_targetILNS1_3genE10ELNS1_11target_archE1200ELNS1_3gpuE4ELNS1_3repE0EEENS1_30default_config_static_selectorELNS0_4arch9wavefront6targetE1EEEvT1_
                                        ; -- End function
	.section	.AMDGPU.csdata,"",@progbits
; Kernel info:
; codeLenInByte = 0
; NumSgprs: 6
; NumVgprs: 0
; NumAgprs: 0
; TotalNumVgprs: 0
; ScratchSize: 0
; MemoryBound: 0
; FloatMode: 240
; IeeeMode: 1
; LDSByteSize: 0 bytes/workgroup (compile time only)
; SGPRBlocks: 0
; VGPRBlocks: 0
; NumSGPRsForWavesPerEU: 6
; NumVGPRsForWavesPerEU: 1
; AccumOffset: 4
; Occupancy: 8
; WaveLimiterHint : 0
; COMPUTE_PGM_RSRC2:SCRATCH_EN: 0
; COMPUTE_PGM_RSRC2:USER_SGPR: 2
; COMPUTE_PGM_RSRC2:TRAP_HANDLER: 0
; COMPUTE_PGM_RSRC2:TGID_X_EN: 1
; COMPUTE_PGM_RSRC2:TGID_Y_EN: 0
; COMPUTE_PGM_RSRC2:TGID_Z_EN: 0
; COMPUTE_PGM_RSRC2:TIDIG_COMP_CNT: 0
; COMPUTE_PGM_RSRC3_GFX90A:ACCUM_OFFSET: 0
; COMPUTE_PGM_RSRC3_GFX90A:TG_SPLIT: 0
	.section	.text._ZN7rocprim17ROCPRIM_400000_NS6detail17trampoline_kernelINS0_14default_configENS1_25partition_config_selectorILNS1_17partition_subalgoE1ExNS0_10empty_typeEbEEZZNS1_14partition_implILS5_1ELb0ES3_jN6thrust23THRUST_200600_302600_NS6detail15normal_iteratorINSA_10device_ptrIxEEEEPS6_NSA_18transform_iteratorI7is_evenIxESF_NSA_11use_defaultESK_EENS0_5tupleIJNSA_16discard_iteratorISK_EESO_EEENSM_IJSG_SG_EEES6_PlJS6_EEE10hipError_tPvRmT3_T4_T5_T6_T7_T9_mT8_P12ihipStream_tbDpT10_ENKUlT_T0_E_clISt17integral_constantIbLb1EES1A_IbLb0EEEEDaS16_S17_EUlS16_E_NS1_11comp_targetILNS1_3genE9ELNS1_11target_archE1100ELNS1_3gpuE3ELNS1_3repE0EEENS1_30default_config_static_selectorELNS0_4arch9wavefront6targetE1EEEvT1_,"axG",@progbits,_ZN7rocprim17ROCPRIM_400000_NS6detail17trampoline_kernelINS0_14default_configENS1_25partition_config_selectorILNS1_17partition_subalgoE1ExNS0_10empty_typeEbEEZZNS1_14partition_implILS5_1ELb0ES3_jN6thrust23THRUST_200600_302600_NS6detail15normal_iteratorINSA_10device_ptrIxEEEEPS6_NSA_18transform_iteratorI7is_evenIxESF_NSA_11use_defaultESK_EENS0_5tupleIJNSA_16discard_iteratorISK_EESO_EEENSM_IJSG_SG_EEES6_PlJS6_EEE10hipError_tPvRmT3_T4_T5_T6_T7_T9_mT8_P12ihipStream_tbDpT10_ENKUlT_T0_E_clISt17integral_constantIbLb1EES1A_IbLb0EEEEDaS16_S17_EUlS16_E_NS1_11comp_targetILNS1_3genE9ELNS1_11target_archE1100ELNS1_3gpuE3ELNS1_3repE0EEENS1_30default_config_static_selectorELNS0_4arch9wavefront6targetE1EEEvT1_,comdat
	.protected	_ZN7rocprim17ROCPRIM_400000_NS6detail17trampoline_kernelINS0_14default_configENS1_25partition_config_selectorILNS1_17partition_subalgoE1ExNS0_10empty_typeEbEEZZNS1_14partition_implILS5_1ELb0ES3_jN6thrust23THRUST_200600_302600_NS6detail15normal_iteratorINSA_10device_ptrIxEEEEPS6_NSA_18transform_iteratorI7is_evenIxESF_NSA_11use_defaultESK_EENS0_5tupleIJNSA_16discard_iteratorISK_EESO_EEENSM_IJSG_SG_EEES6_PlJS6_EEE10hipError_tPvRmT3_T4_T5_T6_T7_T9_mT8_P12ihipStream_tbDpT10_ENKUlT_T0_E_clISt17integral_constantIbLb1EES1A_IbLb0EEEEDaS16_S17_EUlS16_E_NS1_11comp_targetILNS1_3genE9ELNS1_11target_archE1100ELNS1_3gpuE3ELNS1_3repE0EEENS1_30default_config_static_selectorELNS0_4arch9wavefront6targetE1EEEvT1_ ; -- Begin function _ZN7rocprim17ROCPRIM_400000_NS6detail17trampoline_kernelINS0_14default_configENS1_25partition_config_selectorILNS1_17partition_subalgoE1ExNS0_10empty_typeEbEEZZNS1_14partition_implILS5_1ELb0ES3_jN6thrust23THRUST_200600_302600_NS6detail15normal_iteratorINSA_10device_ptrIxEEEEPS6_NSA_18transform_iteratorI7is_evenIxESF_NSA_11use_defaultESK_EENS0_5tupleIJNSA_16discard_iteratorISK_EESO_EEENSM_IJSG_SG_EEES6_PlJS6_EEE10hipError_tPvRmT3_T4_T5_T6_T7_T9_mT8_P12ihipStream_tbDpT10_ENKUlT_T0_E_clISt17integral_constantIbLb1EES1A_IbLb0EEEEDaS16_S17_EUlS16_E_NS1_11comp_targetILNS1_3genE9ELNS1_11target_archE1100ELNS1_3gpuE3ELNS1_3repE0EEENS1_30default_config_static_selectorELNS0_4arch9wavefront6targetE1EEEvT1_
	.globl	_ZN7rocprim17ROCPRIM_400000_NS6detail17trampoline_kernelINS0_14default_configENS1_25partition_config_selectorILNS1_17partition_subalgoE1ExNS0_10empty_typeEbEEZZNS1_14partition_implILS5_1ELb0ES3_jN6thrust23THRUST_200600_302600_NS6detail15normal_iteratorINSA_10device_ptrIxEEEEPS6_NSA_18transform_iteratorI7is_evenIxESF_NSA_11use_defaultESK_EENS0_5tupleIJNSA_16discard_iteratorISK_EESO_EEENSM_IJSG_SG_EEES6_PlJS6_EEE10hipError_tPvRmT3_T4_T5_T6_T7_T9_mT8_P12ihipStream_tbDpT10_ENKUlT_T0_E_clISt17integral_constantIbLb1EES1A_IbLb0EEEEDaS16_S17_EUlS16_E_NS1_11comp_targetILNS1_3genE9ELNS1_11target_archE1100ELNS1_3gpuE3ELNS1_3repE0EEENS1_30default_config_static_selectorELNS0_4arch9wavefront6targetE1EEEvT1_
	.p2align	8
	.type	_ZN7rocprim17ROCPRIM_400000_NS6detail17trampoline_kernelINS0_14default_configENS1_25partition_config_selectorILNS1_17partition_subalgoE1ExNS0_10empty_typeEbEEZZNS1_14partition_implILS5_1ELb0ES3_jN6thrust23THRUST_200600_302600_NS6detail15normal_iteratorINSA_10device_ptrIxEEEEPS6_NSA_18transform_iteratorI7is_evenIxESF_NSA_11use_defaultESK_EENS0_5tupleIJNSA_16discard_iteratorISK_EESO_EEENSM_IJSG_SG_EEES6_PlJS6_EEE10hipError_tPvRmT3_T4_T5_T6_T7_T9_mT8_P12ihipStream_tbDpT10_ENKUlT_T0_E_clISt17integral_constantIbLb1EES1A_IbLb0EEEEDaS16_S17_EUlS16_E_NS1_11comp_targetILNS1_3genE9ELNS1_11target_archE1100ELNS1_3gpuE3ELNS1_3repE0EEENS1_30default_config_static_selectorELNS0_4arch9wavefront6targetE1EEEvT1_,@function
_ZN7rocprim17ROCPRIM_400000_NS6detail17trampoline_kernelINS0_14default_configENS1_25partition_config_selectorILNS1_17partition_subalgoE1ExNS0_10empty_typeEbEEZZNS1_14partition_implILS5_1ELb0ES3_jN6thrust23THRUST_200600_302600_NS6detail15normal_iteratorINSA_10device_ptrIxEEEEPS6_NSA_18transform_iteratorI7is_evenIxESF_NSA_11use_defaultESK_EENS0_5tupleIJNSA_16discard_iteratorISK_EESO_EEENSM_IJSG_SG_EEES6_PlJS6_EEE10hipError_tPvRmT3_T4_T5_T6_T7_T9_mT8_P12ihipStream_tbDpT10_ENKUlT_T0_E_clISt17integral_constantIbLb1EES1A_IbLb0EEEEDaS16_S17_EUlS16_E_NS1_11comp_targetILNS1_3genE9ELNS1_11target_archE1100ELNS1_3gpuE3ELNS1_3repE0EEENS1_30default_config_static_selectorELNS0_4arch9wavefront6targetE1EEEvT1_: ; @_ZN7rocprim17ROCPRIM_400000_NS6detail17trampoline_kernelINS0_14default_configENS1_25partition_config_selectorILNS1_17partition_subalgoE1ExNS0_10empty_typeEbEEZZNS1_14partition_implILS5_1ELb0ES3_jN6thrust23THRUST_200600_302600_NS6detail15normal_iteratorINSA_10device_ptrIxEEEEPS6_NSA_18transform_iteratorI7is_evenIxESF_NSA_11use_defaultESK_EENS0_5tupleIJNSA_16discard_iteratorISK_EESO_EEENSM_IJSG_SG_EEES6_PlJS6_EEE10hipError_tPvRmT3_T4_T5_T6_T7_T9_mT8_P12ihipStream_tbDpT10_ENKUlT_T0_E_clISt17integral_constantIbLb1EES1A_IbLb0EEEEDaS16_S17_EUlS16_E_NS1_11comp_targetILNS1_3genE9ELNS1_11target_archE1100ELNS1_3gpuE3ELNS1_3repE0EEENS1_30default_config_static_selectorELNS0_4arch9wavefront6targetE1EEEvT1_
; %bb.0:
	.section	.rodata,"a",@progbits
	.p2align	6, 0x0
	.amdhsa_kernel _ZN7rocprim17ROCPRIM_400000_NS6detail17trampoline_kernelINS0_14default_configENS1_25partition_config_selectorILNS1_17partition_subalgoE1ExNS0_10empty_typeEbEEZZNS1_14partition_implILS5_1ELb0ES3_jN6thrust23THRUST_200600_302600_NS6detail15normal_iteratorINSA_10device_ptrIxEEEEPS6_NSA_18transform_iteratorI7is_evenIxESF_NSA_11use_defaultESK_EENS0_5tupleIJNSA_16discard_iteratorISK_EESO_EEENSM_IJSG_SG_EEES6_PlJS6_EEE10hipError_tPvRmT3_T4_T5_T6_T7_T9_mT8_P12ihipStream_tbDpT10_ENKUlT_T0_E_clISt17integral_constantIbLb1EES1A_IbLb0EEEEDaS16_S17_EUlS16_E_NS1_11comp_targetILNS1_3genE9ELNS1_11target_archE1100ELNS1_3gpuE3ELNS1_3repE0EEENS1_30default_config_static_selectorELNS0_4arch9wavefront6targetE1EEEvT1_
		.amdhsa_group_segment_fixed_size 0
		.amdhsa_private_segment_fixed_size 0
		.amdhsa_kernarg_size 144
		.amdhsa_user_sgpr_count 2
		.amdhsa_user_sgpr_dispatch_ptr 0
		.amdhsa_user_sgpr_queue_ptr 0
		.amdhsa_user_sgpr_kernarg_segment_ptr 1
		.amdhsa_user_sgpr_dispatch_id 0
		.amdhsa_user_sgpr_kernarg_preload_length 0
		.amdhsa_user_sgpr_kernarg_preload_offset 0
		.amdhsa_user_sgpr_private_segment_size 0
		.amdhsa_uses_dynamic_stack 0
		.amdhsa_enable_private_segment 0
		.amdhsa_system_sgpr_workgroup_id_x 1
		.amdhsa_system_sgpr_workgroup_id_y 0
		.amdhsa_system_sgpr_workgroup_id_z 0
		.amdhsa_system_sgpr_workgroup_info 0
		.amdhsa_system_vgpr_workitem_id 0
		.amdhsa_next_free_vgpr 1
		.amdhsa_next_free_sgpr 0
		.amdhsa_accum_offset 4
		.amdhsa_reserve_vcc 0
		.amdhsa_float_round_mode_32 0
		.amdhsa_float_round_mode_16_64 0
		.amdhsa_float_denorm_mode_32 3
		.amdhsa_float_denorm_mode_16_64 3
		.amdhsa_dx10_clamp 1
		.amdhsa_ieee_mode 1
		.amdhsa_fp16_overflow 0
		.amdhsa_tg_split 0
		.amdhsa_exception_fp_ieee_invalid_op 0
		.amdhsa_exception_fp_denorm_src 0
		.amdhsa_exception_fp_ieee_div_zero 0
		.amdhsa_exception_fp_ieee_overflow 0
		.amdhsa_exception_fp_ieee_underflow 0
		.amdhsa_exception_fp_ieee_inexact 0
		.amdhsa_exception_int_div_zero 0
	.end_amdhsa_kernel
	.section	.text._ZN7rocprim17ROCPRIM_400000_NS6detail17trampoline_kernelINS0_14default_configENS1_25partition_config_selectorILNS1_17partition_subalgoE1ExNS0_10empty_typeEbEEZZNS1_14partition_implILS5_1ELb0ES3_jN6thrust23THRUST_200600_302600_NS6detail15normal_iteratorINSA_10device_ptrIxEEEEPS6_NSA_18transform_iteratorI7is_evenIxESF_NSA_11use_defaultESK_EENS0_5tupleIJNSA_16discard_iteratorISK_EESO_EEENSM_IJSG_SG_EEES6_PlJS6_EEE10hipError_tPvRmT3_T4_T5_T6_T7_T9_mT8_P12ihipStream_tbDpT10_ENKUlT_T0_E_clISt17integral_constantIbLb1EES1A_IbLb0EEEEDaS16_S17_EUlS16_E_NS1_11comp_targetILNS1_3genE9ELNS1_11target_archE1100ELNS1_3gpuE3ELNS1_3repE0EEENS1_30default_config_static_selectorELNS0_4arch9wavefront6targetE1EEEvT1_,"axG",@progbits,_ZN7rocprim17ROCPRIM_400000_NS6detail17trampoline_kernelINS0_14default_configENS1_25partition_config_selectorILNS1_17partition_subalgoE1ExNS0_10empty_typeEbEEZZNS1_14partition_implILS5_1ELb0ES3_jN6thrust23THRUST_200600_302600_NS6detail15normal_iteratorINSA_10device_ptrIxEEEEPS6_NSA_18transform_iteratorI7is_evenIxESF_NSA_11use_defaultESK_EENS0_5tupleIJNSA_16discard_iteratorISK_EESO_EEENSM_IJSG_SG_EEES6_PlJS6_EEE10hipError_tPvRmT3_T4_T5_T6_T7_T9_mT8_P12ihipStream_tbDpT10_ENKUlT_T0_E_clISt17integral_constantIbLb1EES1A_IbLb0EEEEDaS16_S17_EUlS16_E_NS1_11comp_targetILNS1_3genE9ELNS1_11target_archE1100ELNS1_3gpuE3ELNS1_3repE0EEENS1_30default_config_static_selectorELNS0_4arch9wavefront6targetE1EEEvT1_,comdat
.Lfunc_end3185:
	.size	_ZN7rocprim17ROCPRIM_400000_NS6detail17trampoline_kernelINS0_14default_configENS1_25partition_config_selectorILNS1_17partition_subalgoE1ExNS0_10empty_typeEbEEZZNS1_14partition_implILS5_1ELb0ES3_jN6thrust23THRUST_200600_302600_NS6detail15normal_iteratorINSA_10device_ptrIxEEEEPS6_NSA_18transform_iteratorI7is_evenIxESF_NSA_11use_defaultESK_EENS0_5tupleIJNSA_16discard_iteratorISK_EESO_EEENSM_IJSG_SG_EEES6_PlJS6_EEE10hipError_tPvRmT3_T4_T5_T6_T7_T9_mT8_P12ihipStream_tbDpT10_ENKUlT_T0_E_clISt17integral_constantIbLb1EES1A_IbLb0EEEEDaS16_S17_EUlS16_E_NS1_11comp_targetILNS1_3genE9ELNS1_11target_archE1100ELNS1_3gpuE3ELNS1_3repE0EEENS1_30default_config_static_selectorELNS0_4arch9wavefront6targetE1EEEvT1_, .Lfunc_end3185-_ZN7rocprim17ROCPRIM_400000_NS6detail17trampoline_kernelINS0_14default_configENS1_25partition_config_selectorILNS1_17partition_subalgoE1ExNS0_10empty_typeEbEEZZNS1_14partition_implILS5_1ELb0ES3_jN6thrust23THRUST_200600_302600_NS6detail15normal_iteratorINSA_10device_ptrIxEEEEPS6_NSA_18transform_iteratorI7is_evenIxESF_NSA_11use_defaultESK_EENS0_5tupleIJNSA_16discard_iteratorISK_EESO_EEENSM_IJSG_SG_EEES6_PlJS6_EEE10hipError_tPvRmT3_T4_T5_T6_T7_T9_mT8_P12ihipStream_tbDpT10_ENKUlT_T0_E_clISt17integral_constantIbLb1EES1A_IbLb0EEEEDaS16_S17_EUlS16_E_NS1_11comp_targetILNS1_3genE9ELNS1_11target_archE1100ELNS1_3gpuE3ELNS1_3repE0EEENS1_30default_config_static_selectorELNS0_4arch9wavefront6targetE1EEEvT1_
                                        ; -- End function
	.section	.AMDGPU.csdata,"",@progbits
; Kernel info:
; codeLenInByte = 0
; NumSgprs: 6
; NumVgprs: 0
; NumAgprs: 0
; TotalNumVgprs: 0
; ScratchSize: 0
; MemoryBound: 0
; FloatMode: 240
; IeeeMode: 1
; LDSByteSize: 0 bytes/workgroup (compile time only)
; SGPRBlocks: 0
; VGPRBlocks: 0
; NumSGPRsForWavesPerEU: 6
; NumVGPRsForWavesPerEU: 1
; AccumOffset: 4
; Occupancy: 8
; WaveLimiterHint : 0
; COMPUTE_PGM_RSRC2:SCRATCH_EN: 0
; COMPUTE_PGM_RSRC2:USER_SGPR: 2
; COMPUTE_PGM_RSRC2:TRAP_HANDLER: 0
; COMPUTE_PGM_RSRC2:TGID_X_EN: 1
; COMPUTE_PGM_RSRC2:TGID_Y_EN: 0
; COMPUTE_PGM_RSRC2:TGID_Z_EN: 0
; COMPUTE_PGM_RSRC2:TIDIG_COMP_CNT: 0
; COMPUTE_PGM_RSRC3_GFX90A:ACCUM_OFFSET: 0
; COMPUTE_PGM_RSRC3_GFX90A:TG_SPLIT: 0
	.section	.text._ZN7rocprim17ROCPRIM_400000_NS6detail17trampoline_kernelINS0_14default_configENS1_25partition_config_selectorILNS1_17partition_subalgoE1ExNS0_10empty_typeEbEEZZNS1_14partition_implILS5_1ELb0ES3_jN6thrust23THRUST_200600_302600_NS6detail15normal_iteratorINSA_10device_ptrIxEEEEPS6_NSA_18transform_iteratorI7is_evenIxESF_NSA_11use_defaultESK_EENS0_5tupleIJNSA_16discard_iteratorISK_EESO_EEENSM_IJSG_SG_EEES6_PlJS6_EEE10hipError_tPvRmT3_T4_T5_T6_T7_T9_mT8_P12ihipStream_tbDpT10_ENKUlT_T0_E_clISt17integral_constantIbLb1EES1A_IbLb0EEEEDaS16_S17_EUlS16_E_NS1_11comp_targetILNS1_3genE8ELNS1_11target_archE1030ELNS1_3gpuE2ELNS1_3repE0EEENS1_30default_config_static_selectorELNS0_4arch9wavefront6targetE1EEEvT1_,"axG",@progbits,_ZN7rocprim17ROCPRIM_400000_NS6detail17trampoline_kernelINS0_14default_configENS1_25partition_config_selectorILNS1_17partition_subalgoE1ExNS0_10empty_typeEbEEZZNS1_14partition_implILS5_1ELb0ES3_jN6thrust23THRUST_200600_302600_NS6detail15normal_iteratorINSA_10device_ptrIxEEEEPS6_NSA_18transform_iteratorI7is_evenIxESF_NSA_11use_defaultESK_EENS0_5tupleIJNSA_16discard_iteratorISK_EESO_EEENSM_IJSG_SG_EEES6_PlJS6_EEE10hipError_tPvRmT3_T4_T5_T6_T7_T9_mT8_P12ihipStream_tbDpT10_ENKUlT_T0_E_clISt17integral_constantIbLb1EES1A_IbLb0EEEEDaS16_S17_EUlS16_E_NS1_11comp_targetILNS1_3genE8ELNS1_11target_archE1030ELNS1_3gpuE2ELNS1_3repE0EEENS1_30default_config_static_selectorELNS0_4arch9wavefront6targetE1EEEvT1_,comdat
	.protected	_ZN7rocprim17ROCPRIM_400000_NS6detail17trampoline_kernelINS0_14default_configENS1_25partition_config_selectorILNS1_17partition_subalgoE1ExNS0_10empty_typeEbEEZZNS1_14partition_implILS5_1ELb0ES3_jN6thrust23THRUST_200600_302600_NS6detail15normal_iteratorINSA_10device_ptrIxEEEEPS6_NSA_18transform_iteratorI7is_evenIxESF_NSA_11use_defaultESK_EENS0_5tupleIJNSA_16discard_iteratorISK_EESO_EEENSM_IJSG_SG_EEES6_PlJS6_EEE10hipError_tPvRmT3_T4_T5_T6_T7_T9_mT8_P12ihipStream_tbDpT10_ENKUlT_T0_E_clISt17integral_constantIbLb1EES1A_IbLb0EEEEDaS16_S17_EUlS16_E_NS1_11comp_targetILNS1_3genE8ELNS1_11target_archE1030ELNS1_3gpuE2ELNS1_3repE0EEENS1_30default_config_static_selectorELNS0_4arch9wavefront6targetE1EEEvT1_ ; -- Begin function _ZN7rocprim17ROCPRIM_400000_NS6detail17trampoline_kernelINS0_14default_configENS1_25partition_config_selectorILNS1_17partition_subalgoE1ExNS0_10empty_typeEbEEZZNS1_14partition_implILS5_1ELb0ES3_jN6thrust23THRUST_200600_302600_NS6detail15normal_iteratorINSA_10device_ptrIxEEEEPS6_NSA_18transform_iteratorI7is_evenIxESF_NSA_11use_defaultESK_EENS0_5tupleIJNSA_16discard_iteratorISK_EESO_EEENSM_IJSG_SG_EEES6_PlJS6_EEE10hipError_tPvRmT3_T4_T5_T6_T7_T9_mT8_P12ihipStream_tbDpT10_ENKUlT_T0_E_clISt17integral_constantIbLb1EES1A_IbLb0EEEEDaS16_S17_EUlS16_E_NS1_11comp_targetILNS1_3genE8ELNS1_11target_archE1030ELNS1_3gpuE2ELNS1_3repE0EEENS1_30default_config_static_selectorELNS0_4arch9wavefront6targetE1EEEvT1_
	.globl	_ZN7rocprim17ROCPRIM_400000_NS6detail17trampoline_kernelINS0_14default_configENS1_25partition_config_selectorILNS1_17partition_subalgoE1ExNS0_10empty_typeEbEEZZNS1_14partition_implILS5_1ELb0ES3_jN6thrust23THRUST_200600_302600_NS6detail15normal_iteratorINSA_10device_ptrIxEEEEPS6_NSA_18transform_iteratorI7is_evenIxESF_NSA_11use_defaultESK_EENS0_5tupleIJNSA_16discard_iteratorISK_EESO_EEENSM_IJSG_SG_EEES6_PlJS6_EEE10hipError_tPvRmT3_T4_T5_T6_T7_T9_mT8_P12ihipStream_tbDpT10_ENKUlT_T0_E_clISt17integral_constantIbLb1EES1A_IbLb0EEEEDaS16_S17_EUlS16_E_NS1_11comp_targetILNS1_3genE8ELNS1_11target_archE1030ELNS1_3gpuE2ELNS1_3repE0EEENS1_30default_config_static_selectorELNS0_4arch9wavefront6targetE1EEEvT1_
	.p2align	8
	.type	_ZN7rocprim17ROCPRIM_400000_NS6detail17trampoline_kernelINS0_14default_configENS1_25partition_config_selectorILNS1_17partition_subalgoE1ExNS0_10empty_typeEbEEZZNS1_14partition_implILS5_1ELb0ES3_jN6thrust23THRUST_200600_302600_NS6detail15normal_iteratorINSA_10device_ptrIxEEEEPS6_NSA_18transform_iteratorI7is_evenIxESF_NSA_11use_defaultESK_EENS0_5tupleIJNSA_16discard_iteratorISK_EESO_EEENSM_IJSG_SG_EEES6_PlJS6_EEE10hipError_tPvRmT3_T4_T5_T6_T7_T9_mT8_P12ihipStream_tbDpT10_ENKUlT_T0_E_clISt17integral_constantIbLb1EES1A_IbLb0EEEEDaS16_S17_EUlS16_E_NS1_11comp_targetILNS1_3genE8ELNS1_11target_archE1030ELNS1_3gpuE2ELNS1_3repE0EEENS1_30default_config_static_selectorELNS0_4arch9wavefront6targetE1EEEvT1_,@function
_ZN7rocprim17ROCPRIM_400000_NS6detail17trampoline_kernelINS0_14default_configENS1_25partition_config_selectorILNS1_17partition_subalgoE1ExNS0_10empty_typeEbEEZZNS1_14partition_implILS5_1ELb0ES3_jN6thrust23THRUST_200600_302600_NS6detail15normal_iteratorINSA_10device_ptrIxEEEEPS6_NSA_18transform_iteratorI7is_evenIxESF_NSA_11use_defaultESK_EENS0_5tupleIJNSA_16discard_iteratorISK_EESO_EEENSM_IJSG_SG_EEES6_PlJS6_EEE10hipError_tPvRmT3_T4_T5_T6_T7_T9_mT8_P12ihipStream_tbDpT10_ENKUlT_T0_E_clISt17integral_constantIbLb1EES1A_IbLb0EEEEDaS16_S17_EUlS16_E_NS1_11comp_targetILNS1_3genE8ELNS1_11target_archE1030ELNS1_3gpuE2ELNS1_3repE0EEENS1_30default_config_static_selectorELNS0_4arch9wavefront6targetE1EEEvT1_: ; @_ZN7rocprim17ROCPRIM_400000_NS6detail17trampoline_kernelINS0_14default_configENS1_25partition_config_selectorILNS1_17partition_subalgoE1ExNS0_10empty_typeEbEEZZNS1_14partition_implILS5_1ELb0ES3_jN6thrust23THRUST_200600_302600_NS6detail15normal_iteratorINSA_10device_ptrIxEEEEPS6_NSA_18transform_iteratorI7is_evenIxESF_NSA_11use_defaultESK_EENS0_5tupleIJNSA_16discard_iteratorISK_EESO_EEENSM_IJSG_SG_EEES6_PlJS6_EEE10hipError_tPvRmT3_T4_T5_T6_T7_T9_mT8_P12ihipStream_tbDpT10_ENKUlT_T0_E_clISt17integral_constantIbLb1EES1A_IbLb0EEEEDaS16_S17_EUlS16_E_NS1_11comp_targetILNS1_3genE8ELNS1_11target_archE1030ELNS1_3gpuE2ELNS1_3repE0EEENS1_30default_config_static_selectorELNS0_4arch9wavefront6targetE1EEEvT1_
; %bb.0:
	.section	.rodata,"a",@progbits
	.p2align	6, 0x0
	.amdhsa_kernel _ZN7rocprim17ROCPRIM_400000_NS6detail17trampoline_kernelINS0_14default_configENS1_25partition_config_selectorILNS1_17partition_subalgoE1ExNS0_10empty_typeEbEEZZNS1_14partition_implILS5_1ELb0ES3_jN6thrust23THRUST_200600_302600_NS6detail15normal_iteratorINSA_10device_ptrIxEEEEPS6_NSA_18transform_iteratorI7is_evenIxESF_NSA_11use_defaultESK_EENS0_5tupleIJNSA_16discard_iteratorISK_EESO_EEENSM_IJSG_SG_EEES6_PlJS6_EEE10hipError_tPvRmT3_T4_T5_T6_T7_T9_mT8_P12ihipStream_tbDpT10_ENKUlT_T0_E_clISt17integral_constantIbLb1EES1A_IbLb0EEEEDaS16_S17_EUlS16_E_NS1_11comp_targetILNS1_3genE8ELNS1_11target_archE1030ELNS1_3gpuE2ELNS1_3repE0EEENS1_30default_config_static_selectorELNS0_4arch9wavefront6targetE1EEEvT1_
		.amdhsa_group_segment_fixed_size 0
		.amdhsa_private_segment_fixed_size 0
		.amdhsa_kernarg_size 144
		.amdhsa_user_sgpr_count 2
		.amdhsa_user_sgpr_dispatch_ptr 0
		.amdhsa_user_sgpr_queue_ptr 0
		.amdhsa_user_sgpr_kernarg_segment_ptr 1
		.amdhsa_user_sgpr_dispatch_id 0
		.amdhsa_user_sgpr_kernarg_preload_length 0
		.amdhsa_user_sgpr_kernarg_preload_offset 0
		.amdhsa_user_sgpr_private_segment_size 0
		.amdhsa_uses_dynamic_stack 0
		.amdhsa_enable_private_segment 0
		.amdhsa_system_sgpr_workgroup_id_x 1
		.amdhsa_system_sgpr_workgroup_id_y 0
		.amdhsa_system_sgpr_workgroup_id_z 0
		.amdhsa_system_sgpr_workgroup_info 0
		.amdhsa_system_vgpr_workitem_id 0
		.amdhsa_next_free_vgpr 1
		.amdhsa_next_free_sgpr 0
		.amdhsa_accum_offset 4
		.amdhsa_reserve_vcc 0
		.amdhsa_float_round_mode_32 0
		.amdhsa_float_round_mode_16_64 0
		.amdhsa_float_denorm_mode_32 3
		.amdhsa_float_denorm_mode_16_64 3
		.amdhsa_dx10_clamp 1
		.amdhsa_ieee_mode 1
		.amdhsa_fp16_overflow 0
		.amdhsa_tg_split 0
		.amdhsa_exception_fp_ieee_invalid_op 0
		.amdhsa_exception_fp_denorm_src 0
		.amdhsa_exception_fp_ieee_div_zero 0
		.amdhsa_exception_fp_ieee_overflow 0
		.amdhsa_exception_fp_ieee_underflow 0
		.amdhsa_exception_fp_ieee_inexact 0
		.amdhsa_exception_int_div_zero 0
	.end_amdhsa_kernel
	.section	.text._ZN7rocprim17ROCPRIM_400000_NS6detail17trampoline_kernelINS0_14default_configENS1_25partition_config_selectorILNS1_17partition_subalgoE1ExNS0_10empty_typeEbEEZZNS1_14partition_implILS5_1ELb0ES3_jN6thrust23THRUST_200600_302600_NS6detail15normal_iteratorINSA_10device_ptrIxEEEEPS6_NSA_18transform_iteratorI7is_evenIxESF_NSA_11use_defaultESK_EENS0_5tupleIJNSA_16discard_iteratorISK_EESO_EEENSM_IJSG_SG_EEES6_PlJS6_EEE10hipError_tPvRmT3_T4_T5_T6_T7_T9_mT8_P12ihipStream_tbDpT10_ENKUlT_T0_E_clISt17integral_constantIbLb1EES1A_IbLb0EEEEDaS16_S17_EUlS16_E_NS1_11comp_targetILNS1_3genE8ELNS1_11target_archE1030ELNS1_3gpuE2ELNS1_3repE0EEENS1_30default_config_static_selectorELNS0_4arch9wavefront6targetE1EEEvT1_,"axG",@progbits,_ZN7rocprim17ROCPRIM_400000_NS6detail17trampoline_kernelINS0_14default_configENS1_25partition_config_selectorILNS1_17partition_subalgoE1ExNS0_10empty_typeEbEEZZNS1_14partition_implILS5_1ELb0ES3_jN6thrust23THRUST_200600_302600_NS6detail15normal_iteratorINSA_10device_ptrIxEEEEPS6_NSA_18transform_iteratorI7is_evenIxESF_NSA_11use_defaultESK_EENS0_5tupleIJNSA_16discard_iteratorISK_EESO_EEENSM_IJSG_SG_EEES6_PlJS6_EEE10hipError_tPvRmT3_T4_T5_T6_T7_T9_mT8_P12ihipStream_tbDpT10_ENKUlT_T0_E_clISt17integral_constantIbLb1EES1A_IbLb0EEEEDaS16_S17_EUlS16_E_NS1_11comp_targetILNS1_3genE8ELNS1_11target_archE1030ELNS1_3gpuE2ELNS1_3repE0EEENS1_30default_config_static_selectorELNS0_4arch9wavefront6targetE1EEEvT1_,comdat
.Lfunc_end3186:
	.size	_ZN7rocprim17ROCPRIM_400000_NS6detail17trampoline_kernelINS0_14default_configENS1_25partition_config_selectorILNS1_17partition_subalgoE1ExNS0_10empty_typeEbEEZZNS1_14partition_implILS5_1ELb0ES3_jN6thrust23THRUST_200600_302600_NS6detail15normal_iteratorINSA_10device_ptrIxEEEEPS6_NSA_18transform_iteratorI7is_evenIxESF_NSA_11use_defaultESK_EENS0_5tupleIJNSA_16discard_iteratorISK_EESO_EEENSM_IJSG_SG_EEES6_PlJS6_EEE10hipError_tPvRmT3_T4_T5_T6_T7_T9_mT8_P12ihipStream_tbDpT10_ENKUlT_T0_E_clISt17integral_constantIbLb1EES1A_IbLb0EEEEDaS16_S17_EUlS16_E_NS1_11comp_targetILNS1_3genE8ELNS1_11target_archE1030ELNS1_3gpuE2ELNS1_3repE0EEENS1_30default_config_static_selectorELNS0_4arch9wavefront6targetE1EEEvT1_, .Lfunc_end3186-_ZN7rocprim17ROCPRIM_400000_NS6detail17trampoline_kernelINS0_14default_configENS1_25partition_config_selectorILNS1_17partition_subalgoE1ExNS0_10empty_typeEbEEZZNS1_14partition_implILS5_1ELb0ES3_jN6thrust23THRUST_200600_302600_NS6detail15normal_iteratorINSA_10device_ptrIxEEEEPS6_NSA_18transform_iteratorI7is_evenIxESF_NSA_11use_defaultESK_EENS0_5tupleIJNSA_16discard_iteratorISK_EESO_EEENSM_IJSG_SG_EEES6_PlJS6_EEE10hipError_tPvRmT3_T4_T5_T6_T7_T9_mT8_P12ihipStream_tbDpT10_ENKUlT_T0_E_clISt17integral_constantIbLb1EES1A_IbLb0EEEEDaS16_S17_EUlS16_E_NS1_11comp_targetILNS1_3genE8ELNS1_11target_archE1030ELNS1_3gpuE2ELNS1_3repE0EEENS1_30default_config_static_selectorELNS0_4arch9wavefront6targetE1EEEvT1_
                                        ; -- End function
	.section	.AMDGPU.csdata,"",@progbits
; Kernel info:
; codeLenInByte = 0
; NumSgprs: 6
; NumVgprs: 0
; NumAgprs: 0
; TotalNumVgprs: 0
; ScratchSize: 0
; MemoryBound: 0
; FloatMode: 240
; IeeeMode: 1
; LDSByteSize: 0 bytes/workgroup (compile time only)
; SGPRBlocks: 0
; VGPRBlocks: 0
; NumSGPRsForWavesPerEU: 6
; NumVGPRsForWavesPerEU: 1
; AccumOffset: 4
; Occupancy: 8
; WaveLimiterHint : 0
; COMPUTE_PGM_RSRC2:SCRATCH_EN: 0
; COMPUTE_PGM_RSRC2:USER_SGPR: 2
; COMPUTE_PGM_RSRC2:TRAP_HANDLER: 0
; COMPUTE_PGM_RSRC2:TGID_X_EN: 1
; COMPUTE_PGM_RSRC2:TGID_Y_EN: 0
; COMPUTE_PGM_RSRC2:TGID_Z_EN: 0
; COMPUTE_PGM_RSRC2:TIDIG_COMP_CNT: 0
; COMPUTE_PGM_RSRC3_GFX90A:ACCUM_OFFSET: 0
; COMPUTE_PGM_RSRC3_GFX90A:TG_SPLIT: 0
	.section	.text._ZN7rocprim17ROCPRIM_400000_NS6detail17trampoline_kernelINS0_14default_configENS1_25partition_config_selectorILNS1_17partition_subalgoE1ExNS0_10empty_typeEbEEZZNS1_14partition_implILS5_1ELb0ES3_jN6thrust23THRUST_200600_302600_NS6detail15normal_iteratorINSA_10device_ptrIxEEEEPS6_NSA_18transform_iteratorI7is_evenIxESF_NSA_11use_defaultESK_EENS0_5tupleIJNSA_16discard_iteratorISK_EESO_EEENSM_IJSG_SG_EEES6_PlJS6_EEE10hipError_tPvRmT3_T4_T5_T6_T7_T9_mT8_P12ihipStream_tbDpT10_ENKUlT_T0_E_clISt17integral_constantIbLb0EES1A_IbLb1EEEEDaS16_S17_EUlS16_E_NS1_11comp_targetILNS1_3genE0ELNS1_11target_archE4294967295ELNS1_3gpuE0ELNS1_3repE0EEENS1_30default_config_static_selectorELNS0_4arch9wavefront6targetE1EEEvT1_,"axG",@progbits,_ZN7rocprim17ROCPRIM_400000_NS6detail17trampoline_kernelINS0_14default_configENS1_25partition_config_selectorILNS1_17partition_subalgoE1ExNS0_10empty_typeEbEEZZNS1_14partition_implILS5_1ELb0ES3_jN6thrust23THRUST_200600_302600_NS6detail15normal_iteratorINSA_10device_ptrIxEEEEPS6_NSA_18transform_iteratorI7is_evenIxESF_NSA_11use_defaultESK_EENS0_5tupleIJNSA_16discard_iteratorISK_EESO_EEENSM_IJSG_SG_EEES6_PlJS6_EEE10hipError_tPvRmT3_T4_T5_T6_T7_T9_mT8_P12ihipStream_tbDpT10_ENKUlT_T0_E_clISt17integral_constantIbLb0EES1A_IbLb1EEEEDaS16_S17_EUlS16_E_NS1_11comp_targetILNS1_3genE0ELNS1_11target_archE4294967295ELNS1_3gpuE0ELNS1_3repE0EEENS1_30default_config_static_selectorELNS0_4arch9wavefront6targetE1EEEvT1_,comdat
	.protected	_ZN7rocprim17ROCPRIM_400000_NS6detail17trampoline_kernelINS0_14default_configENS1_25partition_config_selectorILNS1_17partition_subalgoE1ExNS0_10empty_typeEbEEZZNS1_14partition_implILS5_1ELb0ES3_jN6thrust23THRUST_200600_302600_NS6detail15normal_iteratorINSA_10device_ptrIxEEEEPS6_NSA_18transform_iteratorI7is_evenIxESF_NSA_11use_defaultESK_EENS0_5tupleIJNSA_16discard_iteratorISK_EESO_EEENSM_IJSG_SG_EEES6_PlJS6_EEE10hipError_tPvRmT3_T4_T5_T6_T7_T9_mT8_P12ihipStream_tbDpT10_ENKUlT_T0_E_clISt17integral_constantIbLb0EES1A_IbLb1EEEEDaS16_S17_EUlS16_E_NS1_11comp_targetILNS1_3genE0ELNS1_11target_archE4294967295ELNS1_3gpuE0ELNS1_3repE0EEENS1_30default_config_static_selectorELNS0_4arch9wavefront6targetE1EEEvT1_ ; -- Begin function _ZN7rocprim17ROCPRIM_400000_NS6detail17trampoline_kernelINS0_14default_configENS1_25partition_config_selectorILNS1_17partition_subalgoE1ExNS0_10empty_typeEbEEZZNS1_14partition_implILS5_1ELb0ES3_jN6thrust23THRUST_200600_302600_NS6detail15normal_iteratorINSA_10device_ptrIxEEEEPS6_NSA_18transform_iteratorI7is_evenIxESF_NSA_11use_defaultESK_EENS0_5tupleIJNSA_16discard_iteratorISK_EESO_EEENSM_IJSG_SG_EEES6_PlJS6_EEE10hipError_tPvRmT3_T4_T5_T6_T7_T9_mT8_P12ihipStream_tbDpT10_ENKUlT_T0_E_clISt17integral_constantIbLb0EES1A_IbLb1EEEEDaS16_S17_EUlS16_E_NS1_11comp_targetILNS1_3genE0ELNS1_11target_archE4294967295ELNS1_3gpuE0ELNS1_3repE0EEENS1_30default_config_static_selectorELNS0_4arch9wavefront6targetE1EEEvT1_
	.globl	_ZN7rocprim17ROCPRIM_400000_NS6detail17trampoline_kernelINS0_14default_configENS1_25partition_config_selectorILNS1_17partition_subalgoE1ExNS0_10empty_typeEbEEZZNS1_14partition_implILS5_1ELb0ES3_jN6thrust23THRUST_200600_302600_NS6detail15normal_iteratorINSA_10device_ptrIxEEEEPS6_NSA_18transform_iteratorI7is_evenIxESF_NSA_11use_defaultESK_EENS0_5tupleIJNSA_16discard_iteratorISK_EESO_EEENSM_IJSG_SG_EEES6_PlJS6_EEE10hipError_tPvRmT3_T4_T5_T6_T7_T9_mT8_P12ihipStream_tbDpT10_ENKUlT_T0_E_clISt17integral_constantIbLb0EES1A_IbLb1EEEEDaS16_S17_EUlS16_E_NS1_11comp_targetILNS1_3genE0ELNS1_11target_archE4294967295ELNS1_3gpuE0ELNS1_3repE0EEENS1_30default_config_static_selectorELNS0_4arch9wavefront6targetE1EEEvT1_
	.p2align	8
	.type	_ZN7rocprim17ROCPRIM_400000_NS6detail17trampoline_kernelINS0_14default_configENS1_25partition_config_selectorILNS1_17partition_subalgoE1ExNS0_10empty_typeEbEEZZNS1_14partition_implILS5_1ELb0ES3_jN6thrust23THRUST_200600_302600_NS6detail15normal_iteratorINSA_10device_ptrIxEEEEPS6_NSA_18transform_iteratorI7is_evenIxESF_NSA_11use_defaultESK_EENS0_5tupleIJNSA_16discard_iteratorISK_EESO_EEENSM_IJSG_SG_EEES6_PlJS6_EEE10hipError_tPvRmT3_T4_T5_T6_T7_T9_mT8_P12ihipStream_tbDpT10_ENKUlT_T0_E_clISt17integral_constantIbLb0EES1A_IbLb1EEEEDaS16_S17_EUlS16_E_NS1_11comp_targetILNS1_3genE0ELNS1_11target_archE4294967295ELNS1_3gpuE0ELNS1_3repE0EEENS1_30default_config_static_selectorELNS0_4arch9wavefront6targetE1EEEvT1_,@function
_ZN7rocprim17ROCPRIM_400000_NS6detail17trampoline_kernelINS0_14default_configENS1_25partition_config_selectorILNS1_17partition_subalgoE1ExNS0_10empty_typeEbEEZZNS1_14partition_implILS5_1ELb0ES3_jN6thrust23THRUST_200600_302600_NS6detail15normal_iteratorINSA_10device_ptrIxEEEEPS6_NSA_18transform_iteratorI7is_evenIxESF_NSA_11use_defaultESK_EENS0_5tupleIJNSA_16discard_iteratorISK_EESO_EEENSM_IJSG_SG_EEES6_PlJS6_EEE10hipError_tPvRmT3_T4_T5_T6_T7_T9_mT8_P12ihipStream_tbDpT10_ENKUlT_T0_E_clISt17integral_constantIbLb0EES1A_IbLb1EEEEDaS16_S17_EUlS16_E_NS1_11comp_targetILNS1_3genE0ELNS1_11target_archE4294967295ELNS1_3gpuE0ELNS1_3repE0EEENS1_30default_config_static_selectorELNS0_4arch9wavefront6targetE1EEEvT1_: ; @_ZN7rocprim17ROCPRIM_400000_NS6detail17trampoline_kernelINS0_14default_configENS1_25partition_config_selectorILNS1_17partition_subalgoE1ExNS0_10empty_typeEbEEZZNS1_14partition_implILS5_1ELb0ES3_jN6thrust23THRUST_200600_302600_NS6detail15normal_iteratorINSA_10device_ptrIxEEEEPS6_NSA_18transform_iteratorI7is_evenIxESF_NSA_11use_defaultESK_EENS0_5tupleIJNSA_16discard_iteratorISK_EESO_EEENSM_IJSG_SG_EEES6_PlJS6_EEE10hipError_tPvRmT3_T4_T5_T6_T7_T9_mT8_P12ihipStream_tbDpT10_ENKUlT_T0_E_clISt17integral_constantIbLb0EES1A_IbLb1EEEEDaS16_S17_EUlS16_E_NS1_11comp_targetILNS1_3genE0ELNS1_11target_archE4294967295ELNS1_3gpuE0ELNS1_3repE0EEENS1_30default_config_static_selectorELNS0_4arch9wavefront6targetE1EEEvT1_
; %bb.0:
	.section	.rodata,"a",@progbits
	.p2align	6, 0x0
	.amdhsa_kernel _ZN7rocprim17ROCPRIM_400000_NS6detail17trampoline_kernelINS0_14default_configENS1_25partition_config_selectorILNS1_17partition_subalgoE1ExNS0_10empty_typeEbEEZZNS1_14partition_implILS5_1ELb0ES3_jN6thrust23THRUST_200600_302600_NS6detail15normal_iteratorINSA_10device_ptrIxEEEEPS6_NSA_18transform_iteratorI7is_evenIxESF_NSA_11use_defaultESK_EENS0_5tupleIJNSA_16discard_iteratorISK_EESO_EEENSM_IJSG_SG_EEES6_PlJS6_EEE10hipError_tPvRmT3_T4_T5_T6_T7_T9_mT8_P12ihipStream_tbDpT10_ENKUlT_T0_E_clISt17integral_constantIbLb0EES1A_IbLb1EEEEDaS16_S17_EUlS16_E_NS1_11comp_targetILNS1_3genE0ELNS1_11target_archE4294967295ELNS1_3gpuE0ELNS1_3repE0EEENS1_30default_config_static_selectorELNS0_4arch9wavefront6targetE1EEEvT1_
		.amdhsa_group_segment_fixed_size 0
		.amdhsa_private_segment_fixed_size 0
		.amdhsa_kernarg_size 160
		.amdhsa_user_sgpr_count 2
		.amdhsa_user_sgpr_dispatch_ptr 0
		.amdhsa_user_sgpr_queue_ptr 0
		.amdhsa_user_sgpr_kernarg_segment_ptr 1
		.amdhsa_user_sgpr_dispatch_id 0
		.amdhsa_user_sgpr_kernarg_preload_length 0
		.amdhsa_user_sgpr_kernarg_preload_offset 0
		.amdhsa_user_sgpr_private_segment_size 0
		.amdhsa_uses_dynamic_stack 0
		.amdhsa_enable_private_segment 0
		.amdhsa_system_sgpr_workgroup_id_x 1
		.amdhsa_system_sgpr_workgroup_id_y 0
		.amdhsa_system_sgpr_workgroup_id_z 0
		.amdhsa_system_sgpr_workgroup_info 0
		.amdhsa_system_vgpr_workitem_id 0
		.amdhsa_next_free_vgpr 1
		.amdhsa_next_free_sgpr 0
		.amdhsa_accum_offset 4
		.amdhsa_reserve_vcc 0
		.amdhsa_float_round_mode_32 0
		.amdhsa_float_round_mode_16_64 0
		.amdhsa_float_denorm_mode_32 3
		.amdhsa_float_denorm_mode_16_64 3
		.amdhsa_dx10_clamp 1
		.amdhsa_ieee_mode 1
		.amdhsa_fp16_overflow 0
		.amdhsa_tg_split 0
		.amdhsa_exception_fp_ieee_invalid_op 0
		.amdhsa_exception_fp_denorm_src 0
		.amdhsa_exception_fp_ieee_div_zero 0
		.amdhsa_exception_fp_ieee_overflow 0
		.amdhsa_exception_fp_ieee_underflow 0
		.amdhsa_exception_fp_ieee_inexact 0
		.amdhsa_exception_int_div_zero 0
	.end_amdhsa_kernel
	.section	.text._ZN7rocprim17ROCPRIM_400000_NS6detail17trampoline_kernelINS0_14default_configENS1_25partition_config_selectorILNS1_17partition_subalgoE1ExNS0_10empty_typeEbEEZZNS1_14partition_implILS5_1ELb0ES3_jN6thrust23THRUST_200600_302600_NS6detail15normal_iteratorINSA_10device_ptrIxEEEEPS6_NSA_18transform_iteratorI7is_evenIxESF_NSA_11use_defaultESK_EENS0_5tupleIJNSA_16discard_iteratorISK_EESO_EEENSM_IJSG_SG_EEES6_PlJS6_EEE10hipError_tPvRmT3_T4_T5_T6_T7_T9_mT8_P12ihipStream_tbDpT10_ENKUlT_T0_E_clISt17integral_constantIbLb0EES1A_IbLb1EEEEDaS16_S17_EUlS16_E_NS1_11comp_targetILNS1_3genE0ELNS1_11target_archE4294967295ELNS1_3gpuE0ELNS1_3repE0EEENS1_30default_config_static_selectorELNS0_4arch9wavefront6targetE1EEEvT1_,"axG",@progbits,_ZN7rocprim17ROCPRIM_400000_NS6detail17trampoline_kernelINS0_14default_configENS1_25partition_config_selectorILNS1_17partition_subalgoE1ExNS0_10empty_typeEbEEZZNS1_14partition_implILS5_1ELb0ES3_jN6thrust23THRUST_200600_302600_NS6detail15normal_iteratorINSA_10device_ptrIxEEEEPS6_NSA_18transform_iteratorI7is_evenIxESF_NSA_11use_defaultESK_EENS0_5tupleIJNSA_16discard_iteratorISK_EESO_EEENSM_IJSG_SG_EEES6_PlJS6_EEE10hipError_tPvRmT3_T4_T5_T6_T7_T9_mT8_P12ihipStream_tbDpT10_ENKUlT_T0_E_clISt17integral_constantIbLb0EES1A_IbLb1EEEEDaS16_S17_EUlS16_E_NS1_11comp_targetILNS1_3genE0ELNS1_11target_archE4294967295ELNS1_3gpuE0ELNS1_3repE0EEENS1_30default_config_static_selectorELNS0_4arch9wavefront6targetE1EEEvT1_,comdat
.Lfunc_end3187:
	.size	_ZN7rocprim17ROCPRIM_400000_NS6detail17trampoline_kernelINS0_14default_configENS1_25partition_config_selectorILNS1_17partition_subalgoE1ExNS0_10empty_typeEbEEZZNS1_14partition_implILS5_1ELb0ES3_jN6thrust23THRUST_200600_302600_NS6detail15normal_iteratorINSA_10device_ptrIxEEEEPS6_NSA_18transform_iteratorI7is_evenIxESF_NSA_11use_defaultESK_EENS0_5tupleIJNSA_16discard_iteratorISK_EESO_EEENSM_IJSG_SG_EEES6_PlJS6_EEE10hipError_tPvRmT3_T4_T5_T6_T7_T9_mT8_P12ihipStream_tbDpT10_ENKUlT_T0_E_clISt17integral_constantIbLb0EES1A_IbLb1EEEEDaS16_S17_EUlS16_E_NS1_11comp_targetILNS1_3genE0ELNS1_11target_archE4294967295ELNS1_3gpuE0ELNS1_3repE0EEENS1_30default_config_static_selectorELNS0_4arch9wavefront6targetE1EEEvT1_, .Lfunc_end3187-_ZN7rocprim17ROCPRIM_400000_NS6detail17trampoline_kernelINS0_14default_configENS1_25partition_config_selectorILNS1_17partition_subalgoE1ExNS0_10empty_typeEbEEZZNS1_14partition_implILS5_1ELb0ES3_jN6thrust23THRUST_200600_302600_NS6detail15normal_iteratorINSA_10device_ptrIxEEEEPS6_NSA_18transform_iteratorI7is_evenIxESF_NSA_11use_defaultESK_EENS0_5tupleIJNSA_16discard_iteratorISK_EESO_EEENSM_IJSG_SG_EEES6_PlJS6_EEE10hipError_tPvRmT3_T4_T5_T6_T7_T9_mT8_P12ihipStream_tbDpT10_ENKUlT_T0_E_clISt17integral_constantIbLb0EES1A_IbLb1EEEEDaS16_S17_EUlS16_E_NS1_11comp_targetILNS1_3genE0ELNS1_11target_archE4294967295ELNS1_3gpuE0ELNS1_3repE0EEENS1_30default_config_static_selectorELNS0_4arch9wavefront6targetE1EEEvT1_
                                        ; -- End function
	.section	.AMDGPU.csdata,"",@progbits
; Kernel info:
; codeLenInByte = 0
; NumSgprs: 6
; NumVgprs: 0
; NumAgprs: 0
; TotalNumVgprs: 0
; ScratchSize: 0
; MemoryBound: 0
; FloatMode: 240
; IeeeMode: 1
; LDSByteSize: 0 bytes/workgroup (compile time only)
; SGPRBlocks: 0
; VGPRBlocks: 0
; NumSGPRsForWavesPerEU: 6
; NumVGPRsForWavesPerEU: 1
; AccumOffset: 4
; Occupancy: 8
; WaveLimiterHint : 0
; COMPUTE_PGM_RSRC2:SCRATCH_EN: 0
; COMPUTE_PGM_RSRC2:USER_SGPR: 2
; COMPUTE_PGM_RSRC2:TRAP_HANDLER: 0
; COMPUTE_PGM_RSRC2:TGID_X_EN: 1
; COMPUTE_PGM_RSRC2:TGID_Y_EN: 0
; COMPUTE_PGM_RSRC2:TGID_Z_EN: 0
; COMPUTE_PGM_RSRC2:TIDIG_COMP_CNT: 0
; COMPUTE_PGM_RSRC3_GFX90A:ACCUM_OFFSET: 0
; COMPUTE_PGM_RSRC3_GFX90A:TG_SPLIT: 0
	.section	.text._ZN7rocprim17ROCPRIM_400000_NS6detail17trampoline_kernelINS0_14default_configENS1_25partition_config_selectorILNS1_17partition_subalgoE1ExNS0_10empty_typeEbEEZZNS1_14partition_implILS5_1ELb0ES3_jN6thrust23THRUST_200600_302600_NS6detail15normal_iteratorINSA_10device_ptrIxEEEEPS6_NSA_18transform_iteratorI7is_evenIxESF_NSA_11use_defaultESK_EENS0_5tupleIJNSA_16discard_iteratorISK_EESO_EEENSM_IJSG_SG_EEES6_PlJS6_EEE10hipError_tPvRmT3_T4_T5_T6_T7_T9_mT8_P12ihipStream_tbDpT10_ENKUlT_T0_E_clISt17integral_constantIbLb0EES1A_IbLb1EEEEDaS16_S17_EUlS16_E_NS1_11comp_targetILNS1_3genE5ELNS1_11target_archE942ELNS1_3gpuE9ELNS1_3repE0EEENS1_30default_config_static_selectorELNS0_4arch9wavefront6targetE1EEEvT1_,"axG",@progbits,_ZN7rocprim17ROCPRIM_400000_NS6detail17trampoline_kernelINS0_14default_configENS1_25partition_config_selectorILNS1_17partition_subalgoE1ExNS0_10empty_typeEbEEZZNS1_14partition_implILS5_1ELb0ES3_jN6thrust23THRUST_200600_302600_NS6detail15normal_iteratorINSA_10device_ptrIxEEEEPS6_NSA_18transform_iteratorI7is_evenIxESF_NSA_11use_defaultESK_EENS0_5tupleIJNSA_16discard_iteratorISK_EESO_EEENSM_IJSG_SG_EEES6_PlJS6_EEE10hipError_tPvRmT3_T4_T5_T6_T7_T9_mT8_P12ihipStream_tbDpT10_ENKUlT_T0_E_clISt17integral_constantIbLb0EES1A_IbLb1EEEEDaS16_S17_EUlS16_E_NS1_11comp_targetILNS1_3genE5ELNS1_11target_archE942ELNS1_3gpuE9ELNS1_3repE0EEENS1_30default_config_static_selectorELNS0_4arch9wavefront6targetE1EEEvT1_,comdat
	.protected	_ZN7rocprim17ROCPRIM_400000_NS6detail17trampoline_kernelINS0_14default_configENS1_25partition_config_selectorILNS1_17partition_subalgoE1ExNS0_10empty_typeEbEEZZNS1_14partition_implILS5_1ELb0ES3_jN6thrust23THRUST_200600_302600_NS6detail15normal_iteratorINSA_10device_ptrIxEEEEPS6_NSA_18transform_iteratorI7is_evenIxESF_NSA_11use_defaultESK_EENS0_5tupleIJNSA_16discard_iteratorISK_EESO_EEENSM_IJSG_SG_EEES6_PlJS6_EEE10hipError_tPvRmT3_T4_T5_T6_T7_T9_mT8_P12ihipStream_tbDpT10_ENKUlT_T0_E_clISt17integral_constantIbLb0EES1A_IbLb1EEEEDaS16_S17_EUlS16_E_NS1_11comp_targetILNS1_3genE5ELNS1_11target_archE942ELNS1_3gpuE9ELNS1_3repE0EEENS1_30default_config_static_selectorELNS0_4arch9wavefront6targetE1EEEvT1_ ; -- Begin function _ZN7rocprim17ROCPRIM_400000_NS6detail17trampoline_kernelINS0_14default_configENS1_25partition_config_selectorILNS1_17partition_subalgoE1ExNS0_10empty_typeEbEEZZNS1_14partition_implILS5_1ELb0ES3_jN6thrust23THRUST_200600_302600_NS6detail15normal_iteratorINSA_10device_ptrIxEEEEPS6_NSA_18transform_iteratorI7is_evenIxESF_NSA_11use_defaultESK_EENS0_5tupleIJNSA_16discard_iteratorISK_EESO_EEENSM_IJSG_SG_EEES6_PlJS6_EEE10hipError_tPvRmT3_T4_T5_T6_T7_T9_mT8_P12ihipStream_tbDpT10_ENKUlT_T0_E_clISt17integral_constantIbLb0EES1A_IbLb1EEEEDaS16_S17_EUlS16_E_NS1_11comp_targetILNS1_3genE5ELNS1_11target_archE942ELNS1_3gpuE9ELNS1_3repE0EEENS1_30default_config_static_selectorELNS0_4arch9wavefront6targetE1EEEvT1_
	.globl	_ZN7rocprim17ROCPRIM_400000_NS6detail17trampoline_kernelINS0_14default_configENS1_25partition_config_selectorILNS1_17partition_subalgoE1ExNS0_10empty_typeEbEEZZNS1_14partition_implILS5_1ELb0ES3_jN6thrust23THRUST_200600_302600_NS6detail15normal_iteratorINSA_10device_ptrIxEEEEPS6_NSA_18transform_iteratorI7is_evenIxESF_NSA_11use_defaultESK_EENS0_5tupleIJNSA_16discard_iteratorISK_EESO_EEENSM_IJSG_SG_EEES6_PlJS6_EEE10hipError_tPvRmT3_T4_T5_T6_T7_T9_mT8_P12ihipStream_tbDpT10_ENKUlT_T0_E_clISt17integral_constantIbLb0EES1A_IbLb1EEEEDaS16_S17_EUlS16_E_NS1_11comp_targetILNS1_3genE5ELNS1_11target_archE942ELNS1_3gpuE9ELNS1_3repE0EEENS1_30default_config_static_selectorELNS0_4arch9wavefront6targetE1EEEvT1_
	.p2align	8
	.type	_ZN7rocprim17ROCPRIM_400000_NS6detail17trampoline_kernelINS0_14default_configENS1_25partition_config_selectorILNS1_17partition_subalgoE1ExNS0_10empty_typeEbEEZZNS1_14partition_implILS5_1ELb0ES3_jN6thrust23THRUST_200600_302600_NS6detail15normal_iteratorINSA_10device_ptrIxEEEEPS6_NSA_18transform_iteratorI7is_evenIxESF_NSA_11use_defaultESK_EENS0_5tupleIJNSA_16discard_iteratorISK_EESO_EEENSM_IJSG_SG_EEES6_PlJS6_EEE10hipError_tPvRmT3_T4_T5_T6_T7_T9_mT8_P12ihipStream_tbDpT10_ENKUlT_T0_E_clISt17integral_constantIbLb0EES1A_IbLb1EEEEDaS16_S17_EUlS16_E_NS1_11comp_targetILNS1_3genE5ELNS1_11target_archE942ELNS1_3gpuE9ELNS1_3repE0EEENS1_30default_config_static_selectorELNS0_4arch9wavefront6targetE1EEEvT1_,@function
_ZN7rocprim17ROCPRIM_400000_NS6detail17trampoline_kernelINS0_14default_configENS1_25partition_config_selectorILNS1_17partition_subalgoE1ExNS0_10empty_typeEbEEZZNS1_14partition_implILS5_1ELb0ES3_jN6thrust23THRUST_200600_302600_NS6detail15normal_iteratorINSA_10device_ptrIxEEEEPS6_NSA_18transform_iteratorI7is_evenIxESF_NSA_11use_defaultESK_EENS0_5tupleIJNSA_16discard_iteratorISK_EESO_EEENSM_IJSG_SG_EEES6_PlJS6_EEE10hipError_tPvRmT3_T4_T5_T6_T7_T9_mT8_P12ihipStream_tbDpT10_ENKUlT_T0_E_clISt17integral_constantIbLb0EES1A_IbLb1EEEEDaS16_S17_EUlS16_E_NS1_11comp_targetILNS1_3genE5ELNS1_11target_archE942ELNS1_3gpuE9ELNS1_3repE0EEENS1_30default_config_static_selectorELNS0_4arch9wavefront6targetE1EEEvT1_: ; @_ZN7rocprim17ROCPRIM_400000_NS6detail17trampoline_kernelINS0_14default_configENS1_25partition_config_selectorILNS1_17partition_subalgoE1ExNS0_10empty_typeEbEEZZNS1_14partition_implILS5_1ELb0ES3_jN6thrust23THRUST_200600_302600_NS6detail15normal_iteratorINSA_10device_ptrIxEEEEPS6_NSA_18transform_iteratorI7is_evenIxESF_NSA_11use_defaultESK_EENS0_5tupleIJNSA_16discard_iteratorISK_EESO_EEENSM_IJSG_SG_EEES6_PlJS6_EEE10hipError_tPvRmT3_T4_T5_T6_T7_T9_mT8_P12ihipStream_tbDpT10_ENKUlT_T0_E_clISt17integral_constantIbLb0EES1A_IbLb1EEEEDaS16_S17_EUlS16_E_NS1_11comp_targetILNS1_3genE5ELNS1_11target_archE942ELNS1_3gpuE9ELNS1_3repE0EEENS1_30default_config_static_selectorELNS0_4arch9wavefront6targetE1EEEvT1_
; %bb.0:
	s_load_dwordx2 s[2:3], s[0:1], 0x20
	s_load_dwordx4 s[20:23], s[0:1], 0x60
	s_load_dwordx2 s[10:11], s[0:1], 0x70
	s_load_dwordx2 s[24:25], s[0:1], 0x80
	v_cmp_eq_u32_e64 s[18:19], 0, v0
	s_and_saveexec_b64 s[4:5], s[18:19]
	s_cbranch_execz .LBB3188_4
; %bb.1:
	s_mov_b64 s[8:9], exec
	v_mbcnt_lo_u32_b32 v1, s8, 0
	v_mbcnt_hi_u32_b32 v1, s9, v1
	v_cmp_eq_u32_e32 vcc, 0, v1
                                        ; implicit-def: $vgpr2
	s_and_saveexec_b64 s[6:7], vcc
	s_cbranch_execz .LBB3188_3
; %bb.2:
	s_load_dwordx2 s[12:13], s[0:1], 0x90
	s_bcnt1_i32_b64 s8, s[8:9]
	v_mov_b32_e32 v2, 0
	v_mov_b32_e32 v3, s8
	s_waitcnt lgkmcnt(0)
	global_atomic_add v2, v2, v3, s[12:13] sc0
.LBB3188_3:
	s_or_b64 exec, exec, s[6:7]
	s_waitcnt vmcnt(0)
	v_readfirstlane_b32 s6, v2
	v_mov_b32_e32 v2, 0
	s_nop 0
	v_add_u32_e32 v1, s6, v1
	ds_write_b32 v2, v1
.LBB3188_4:
	s_or_b64 exec, exec, s[4:5]
	v_mov_b32_e32 v3, 0
	s_load_dwordx4 s[4:7], s[0:1], 0x8
	s_load_dword s12, s[0:1], 0x88
	s_waitcnt lgkmcnt(0)
	s_barrier
	ds_read_b32 v1, v3
	s_waitcnt lgkmcnt(0)
	s_barrier
	global_load_dwordx2 v[18:19], v3, s[22:23]
	s_lshl_b64 s[8:9], s[6:7], 3
	v_mov_b32_e32 v5, s11
	s_add_u32 s11, s4, s8
	s_mul_i32 s4, s12, 0xe00
	s_addc_u32 s13, s5, s9
	s_add_i32 s1, s4, s6
	s_sub_i32 s14, s10, s1
	s_add_i32 s15, s12, -1
	s_addk_i32 s14, 0xe00
	s_add_u32 s4, s6, s4
	v_readfirstlane_b32 s30, v1
	s_addc_u32 s5, s7, 0
	s_cmp_eq_u32 s30, s15
	v_mov_b32_e32 v4, s10
	s_cselect_b64 s[22:23], -1, 0
	s_cmp_lg_u32 s30, s15
	s_mul_i32 s0, s30, 0xe00
	s_mov_b32 s1, 0
	v_cmp_lt_u64_e32 vcc, s[4:5], v[4:5]
	s_cselect_b64 s[4:5], -1, 0
	s_or_b64 s[4:5], vcc, s[4:5]
	s_lshl_b64 s[6:7], s[0:1], 3
	s_add_u32 s10, s11, s6
	s_addc_u32 s11, s13, s7
	s_mov_b64 s[0:1], -1
	s_and_b64 vcc, exec, s[4:5]
	s_cbranch_vccz .LBB3188_6
; %bb.5:
	v_lshlrev_b32_e32 v2, 3, v0
	v_lshl_add_u64 v[4:5], s[10:11], 0, v[2:3]
	v_add_co_u32_e32 v6, vcc, 0x1000, v4
	s_mov_b64 s[0:1], 0
	s_nop 0
	v_addc_co_u32_e32 v7, vcc, 0, v5, vcc
	v_add_co_u32_e32 v8, vcc, 0x2000, v4
	s_nop 1
	v_addc_co_u32_e32 v9, vcc, 0, v5, vcc
	v_add_co_u32_e32 v10, vcc, 0x3000, v4
	s_nop 1
	v_addc_co_u32_e32 v11, vcc, 0, v5, vcc
	flat_load_dwordx2 v[12:13], v[4:5]
	flat_load_dwordx2 v[14:15], v[6:7]
	;; [unrolled: 1-line block ×4, first 2 shown]
	v_add_co_u32_e32 v6, vcc, 0x4000, v4
	s_nop 1
	v_addc_co_u32_e32 v7, vcc, 0, v5, vcc
	v_add_co_u32_e32 v8, vcc, 0x5000, v4
	s_nop 1
	v_addc_co_u32_e32 v9, vcc, 0, v5, vcc
	;; [unrolled: 3-line block ×3, first 2 shown]
	flat_load_dwordx2 v[10:11], v[6:7]
	flat_load_dwordx2 v[22:23], v[8:9]
	;; [unrolled: 1-line block ×3, first 2 shown]
	s_waitcnt vmcnt(0) lgkmcnt(0)
	ds_write2st64_b64 v2, v[12:13], v[14:15] offset1:8
	ds_write2st64_b64 v2, v[16:17], v[20:21] offset0:16 offset1:24
	ds_write2st64_b64 v2, v[10:11], v[22:23] offset0:32 offset1:40
	ds_write_b64 v2, v[24:25] offset:24576
	s_waitcnt lgkmcnt(0)
	s_barrier
.LBB3188_6:
	s_andn2_b64 vcc, exec, s[0:1]
	v_cmp_gt_u32_e64 s[0:1], s14, v0
	s_cbranch_vccnz .LBB3188_22
; %bb.7:
                                        ; implicit-def: $vgpr2_vgpr3_vgpr4_vgpr5_vgpr6_vgpr7_vgpr8_vgpr9_vgpr10_vgpr11_vgpr12_vgpr13_vgpr14_vgpr15_vgpr16_vgpr17
	s_and_saveexec_b64 s[12:13], s[0:1]
	s_cbranch_execz .LBB3188_9
; %bb.8:
	v_lshlrev_b32_e32 v2, 3, v0
	v_mov_b32_e32 v3, 0
	v_lshl_add_u64 v[2:3], s[10:11], 0, v[2:3]
	flat_load_dwordx2 v[2:3], v[2:3]
.LBB3188_9:
	s_or_b64 exec, exec, s[12:13]
	v_or_b32_e32 v1, 0x200, v0
	v_cmp_gt_u32_e32 vcc, s14, v1
	s_and_saveexec_b64 s[0:1], vcc
	s_cbranch_execz .LBB3188_11
; %bb.10:
	v_lshlrev_b32_e32 v4, 3, v1
	v_mov_b32_e32 v5, 0
	v_lshl_add_u64 v[4:5], s[10:11], 0, v[4:5]
	flat_load_dwordx2 v[4:5], v[4:5]
.LBB3188_11:
	s_or_b64 exec, exec, s[0:1]
	v_or_b32_e32 v1, 0x400, v0
	v_cmp_gt_u32_e32 vcc, s14, v1
	s_and_saveexec_b64 s[0:1], vcc
	;; [unrolled: 11-line block ×6, first 2 shown]
	s_cbranch_execz .LBB3188_21
; %bb.20:
	v_lshlrev_b32_e32 v14, 3, v1
	v_mov_b32_e32 v15, 0
	v_lshl_add_u64 v[14:15], s[10:11], 0, v[14:15]
	flat_load_dwordx2 v[14:15], v[14:15]
.LBB3188_21:
	s_or_b64 exec, exec, s[0:1]
	v_lshlrev_b32_e32 v1, 3, v0
	s_waitcnt vmcnt(0) lgkmcnt(0)
	ds_write2st64_b64 v1, v[2:3], v[4:5] offset1:8
	ds_write2st64_b64 v1, v[6:7], v[8:9] offset0:16 offset1:24
	ds_write2st64_b64 v1, v[10:11], v[12:13] offset0:32 offset1:40
	ds_write_b64 v1, v[14:15] offset:24576
	s_waitcnt lgkmcnt(0)
	s_barrier
.LBB3188_22:
	v_mul_u32_u24_e32 v1, 7, v0
	v_lshlrev_b32_e32 v16, 3, v1
	ds_read2_b64 v[10:13], v16 offset1:1
	ds_read2_b64 v[6:9], v16 offset0:2 offset1:3
	ds_read2_b64 v[2:5], v16 offset0:4 offset1:5
	ds_read_b64 v[14:15], v16 offset:48
	s_add_u32 s0, s2, s8
	s_addc_u32 s1, s3, s9
	s_add_u32 s0, s0, s6
	s_addc_u32 s1, s1, s7
	s_mov_b64 s[2:3], -1
	s_and_b64 vcc, exec, s[4:5]
	s_waitcnt lgkmcnt(0)
	s_barrier
	s_cbranch_vccz .LBB3188_24
; %bb.23:
	v_lshlrev_b32_e32 v20, 3, v0
	v_mov_b32_e32 v21, 0
	v_lshl_add_u64 v[22:23], s[0:1], 0, v[20:21]
	v_add_co_u32_e32 v24, vcc, 0x1000, v22
	global_load_dwordx2 v[20:21], v20, s[0:1]
	s_nop 0
	v_addc_co_u32_e32 v25, vcc, 0, v23, vcc
	v_add_co_u32_e32 v26, vcc, 0x2000, v22
	s_mov_b64 s[2:3], 0
	s_nop 0
	v_addc_co_u32_e32 v27, vcc, 0, v23, vcc
	v_add_co_u32_e32 v28, vcc, 0x3000, v22
	s_waitcnt vmcnt(0)
	v_xor_b32_e32 v17, -1, v20
	v_addc_co_u32_e32 v29, vcc, 0, v23, vcc
	v_add_co_u32_e32 v30, vcc, 0x4000, v22
	v_and_b32_e32 v17, 1, v17
	s_nop 0
	v_addc_co_u32_e32 v31, vcc, 0, v23, vcc
	global_load_dwordx2 v[32:33], v[24:25], off
	global_load_dwordx2 v[34:35], v[26:27], off
	global_load_dwordx2 v[36:37], v[28:29], off
	global_load_dwordx2 v[38:39], v[30:31], off
	v_add_co_u32_e32 v24, vcc, 0x5000, v22
	ds_write_b8 v0, v17
	s_nop 0
	v_addc_co_u32_e32 v25, vcc, 0, v23, vcc
	v_add_co_u32_e32 v22, vcc, 0x6000, v22
	global_load_dwordx2 v[24:25], v[24:25], off
	s_nop 0
	v_addc_co_u32_e32 v23, vcc, 0, v23, vcc
	global_load_dwordx2 v[22:23], v[22:23], off
	s_waitcnt vmcnt(5)
	v_xor_b32_e32 v17, -1, v32
	v_and_b32_e32 v17, 1, v17
	s_waitcnt vmcnt(4)
	v_xor_b32_e32 v20, -1, v34
	s_waitcnt vmcnt(3)
	v_xor_b32_e32 v21, -1, v36
	v_and_b32_e32 v20, 1, v20
	ds_write_b8 v0, v17 offset:512
	v_and_b32_e32 v17, 1, v21
	s_waitcnt vmcnt(2)
	v_xor_b32_e32 v21, -1, v38
	ds_write_b8 v0, v20 offset:1024
	v_and_b32_e32 v20, 1, v21
	ds_write_b8 v0, v17 offset:1536
	s_waitcnt vmcnt(1)
	v_xor_b32_e32 v21, -1, v24
	v_and_b32_e32 v17, 1, v21
	ds_write_b8 v0, v20 offset:2048
	s_waitcnt vmcnt(0)
	v_xor_b32_e32 v21, -1, v22
	v_and_b32_e32 v20, 1, v21
	ds_write_b8 v0, v17 offset:2560
	ds_write_b8 v0, v20 offset:3072
	s_waitcnt lgkmcnt(0)
	s_barrier
.LBB3188_24:
	s_andn2_b64 vcc, exec, s[2:3]
	s_cbranch_vccnz .LBB3188_40
; %bb.25:
	v_cmp_gt_u32_e32 vcc, s14, v0
	v_mov_b32_e32 v17, 0
	v_mov_b32_e32 v20, 0
	s_and_saveexec_b64 s[2:3], vcc
	s_cbranch_execz .LBB3188_27
; %bb.26:
	v_lshlrev_b32_e32 v20, 3, v0
	global_load_dwordx2 v[20:21], v20, s[0:1]
	s_waitcnt vmcnt(0)
	v_xor_b32_e32 v20, -1, v20
	v_and_b32_e32 v20, 1, v20
.LBB3188_27:
	s_or_b64 exec, exec, s[2:3]
	v_or_b32_e32 v21, 0x200, v0
	v_cmp_gt_u32_e32 vcc, s14, v21
	s_and_saveexec_b64 s[2:3], vcc
	s_cbranch_execz .LBB3188_29
; %bb.28:
	v_lshlrev_b32_e32 v17, 3, v21
	global_load_dwordx2 v[22:23], v17, s[0:1]
	s_waitcnt vmcnt(0)
	v_xor_b32_e32 v17, -1, v22
	v_and_b32_e32 v17, 1, v17
.LBB3188_29:
	s_or_b64 exec, exec, s[2:3]
	v_or_b32_e32 v23, 0x400, v0
	v_cmp_gt_u32_e32 vcc, s14, v23
	v_mov_b32_e32 v21, 0
	v_mov_b32_e32 v22, 0
	s_and_saveexec_b64 s[2:3], vcc
	s_cbranch_execz .LBB3188_31
; %bb.30:
	v_lshlrev_b32_e32 v22, 3, v23
	global_load_dwordx2 v[22:23], v22, s[0:1]
	s_waitcnt vmcnt(0)
	v_xor_b32_e32 v22, -1, v22
	v_and_b32_e32 v22, 1, v22
.LBB3188_31:
	s_or_b64 exec, exec, s[2:3]
	v_or_b32_e32 v23, 0x600, v0
	v_cmp_gt_u32_e32 vcc, s14, v23
	s_and_saveexec_b64 s[2:3], vcc
	s_cbranch_execz .LBB3188_33
; %bb.32:
	v_lshlrev_b32_e32 v21, 3, v23
	global_load_dwordx2 v[24:25], v21, s[0:1]
	s_waitcnt vmcnt(0)
	v_xor_b32_e32 v21, -1, v24
	v_and_b32_e32 v21, 1, v21
.LBB3188_33:
	s_or_b64 exec, exec, s[2:3]
	v_or_b32_e32 v25, 0x800, v0
	;; [unrolled: 26-line block ×3, first 2 shown]
	v_cmp_gt_u32_e32 vcc, s14, v26
	v_mov_b32_e32 v25, 0
	s_and_saveexec_b64 s[2:3], vcc
	s_cbranch_execz .LBB3188_39
; %bb.38:
	v_lshlrev_b32_e32 v25, 3, v26
	global_load_dwordx2 v[26:27], v25, s[0:1]
	s_waitcnt vmcnt(0)
	v_xor_b32_e32 v25, -1, v26
	v_and_b32_e32 v25, 1, v25
.LBB3188_39:
	s_or_b64 exec, exec, s[2:3]
	ds_write_b8 v0, v20
	ds_write_b8 v0, v17 offset:512
	ds_write_b8 v0, v22 offset:1024
	;; [unrolled: 1-line block ×6, first 2 shown]
	s_waitcnt lgkmcnt(0)
	s_barrier
.LBB3188_40:
	s_movk_i32 s0, 0xffcf
	v_mad_i32_i24 v36, v0, s0, v16
	ds_read_u8 v16, v36
	ds_read_u8 v17, v36 offset:1
	ds_read_u8 v20, v36 offset:2
	;; [unrolled: 1-line block ×6, first 2 shown]
	s_waitcnt lgkmcnt(6)
	v_and_b32_e32 v34, 1, v16
	s_waitcnt lgkmcnt(5)
	v_and_b32_e32 v33, 1, v17
	;; [unrolled: 2-line block ×5, first 2 shown]
	v_add3_u32 v16, v33, v34, v32
	s_waitcnt lgkmcnt(1)
	v_and_b32_e32 v29, 1, v23
	s_waitcnt lgkmcnt(0)
	v_and_b32_e32 v28, 1, v24
	v_add3_u32 v16, v16, v31, v30
	v_add3_u32 v38, v16, v29, v28
	v_mbcnt_lo_u32_b32 v16, -1, 0
	v_mbcnt_hi_u32_b32 v35, -1, v16
	v_and_b32_e32 v16, 15, v35
	v_cmp_eq_u32_e64 s[14:15], 0, v16
	v_cmp_lt_u32_e64 s[12:13], 1, v16
	v_cmp_lt_u32_e64 s[10:11], 3, v16
	;; [unrolled: 1-line block ×3, first 2 shown]
	v_and_b32_e32 v16, 16, v35
	v_cmp_eq_u32_e64 s[6:7], 0, v16
	v_or_b32_e32 v16, 63, v0
	s_cmp_lg_u32 s30, 0
	v_cmp_lt_u32_e64 s[2:3], 31, v35
	v_lshrrev_b32_e32 v37, 6, v0
	v_cmp_eq_u32_e64 s[4:5], v16, v0
	s_barrier
	s_cbranch_scc0 .LBB3188_67
; %bb.41:
	v_mov_b32_dpp v16, v38 row_shr:1 row_mask:0xf bank_mask:0xf
	v_cndmask_b32_e64 v16, v16, 0, s[14:15]
	v_add_u32_e32 v16, v16, v38
	s_nop 1
	v_mov_b32_dpp v17, v16 row_shr:2 row_mask:0xf bank_mask:0xf
	v_cndmask_b32_e64 v17, 0, v17, s[12:13]
	v_add_u32_e32 v16, v16, v17
	s_nop 1
	;; [unrolled: 4-line block ×4, first 2 shown]
	v_mov_b32_dpp v17, v16 row_bcast:15 row_mask:0xf bank_mask:0xf
	v_cndmask_b32_e64 v17, v17, 0, s[6:7]
	v_add_u32_e32 v16, v16, v17
	s_nop 1
	v_mov_b32_dpp v17, v16 row_bcast:31 row_mask:0xf bank_mask:0xf
	v_cndmask_b32_e64 v17, 0, v17, s[2:3]
	v_add_u32_e32 v16, v16, v17
	s_and_saveexec_b64 s[0:1], s[4:5]
	s_cbranch_execz .LBB3188_43
; %bb.42:
	v_lshlrev_b32_e32 v17, 2, v37
	ds_write_b32 v17, v16
.LBB3188_43:
	s_or_b64 exec, exec, s[0:1]
	v_cmp_gt_u32_e32 vcc, 8, v0
	s_waitcnt lgkmcnt(0)
	s_barrier
	s_and_saveexec_b64 s[0:1], vcc
	s_cbranch_execz .LBB3188_45
; %bb.44:
	v_lshlrev_b32_e32 v17, 2, v0
	ds_read_b32 v20, v17
	v_and_b32_e32 v21, 7, v35
	v_cmp_ne_u32_e32 vcc, 0, v21
	s_waitcnt lgkmcnt(0)
	v_mov_b32_dpp v22, v20 row_shr:1 row_mask:0xf bank_mask:0xf
	v_cndmask_b32_e32 v22, 0, v22, vcc
	v_add_u32_e32 v20, v22, v20
	v_cmp_lt_u32_e32 vcc, 1, v21
	s_nop 0
	v_mov_b32_dpp v22, v20 row_shr:2 row_mask:0xf bank_mask:0xf
	v_cndmask_b32_e32 v22, 0, v22, vcc
	v_add_u32_e32 v20, v20, v22
	v_cmp_lt_u32_e32 vcc, 3, v21
	s_nop 0
	v_mov_b32_dpp v22, v20 row_shr:4 row_mask:0xf bank_mask:0xf
	v_cndmask_b32_e32 v21, 0, v22, vcc
	v_add_u32_e32 v20, v20, v21
	ds_write_b32 v17, v20
.LBB3188_45:
	s_or_b64 exec, exec, s[0:1]
	v_cmp_gt_u32_e32 vcc, 64, v0
	v_cmp_lt_u32_e64 s[0:1], 63, v0
	s_waitcnt lgkmcnt(0)
	s_barrier
	s_waitcnt lgkmcnt(0)
                                        ; implicit-def: $vgpr39
	s_and_saveexec_b64 s[16:17], s[0:1]
	s_cbranch_execz .LBB3188_47
; %bb.46:
	v_lshl_add_u32 v17, v37, 2, -4
	ds_read_b32 v39, v17
	s_waitcnt lgkmcnt(0)
	v_add_u32_e32 v16, v39, v16
.LBB3188_47:
	s_or_b64 exec, exec, s[16:17]
	v_add_u32_e32 v17, -1, v35
	v_and_b32_e32 v20, 64, v35
	v_cmp_lt_i32_e64 s[0:1], v17, v20
	v_cmp_eq_u32_e64 s[16:17], 0, v35
	s_nop 0
	v_cndmask_b32_e64 v17, v17, v35, s[0:1]
	v_lshlrev_b32_e32 v17, 2, v17
	ds_bpermute_b32 v40, v17, v16
	s_and_saveexec_b64 s[0:1], vcc
	s_cbranch_execz .LBB3188_66
; %bb.48:
	v_mov_b32_e32 v25, 0
	ds_read_b32 v16, v25 offset:28
	s_and_saveexec_b64 s[26:27], s[16:17]
	s_cbranch_execz .LBB3188_50
; %bb.49:
	s_add_i32 s28, s30, 64
	s_mov_b32 s29, 0
	s_lshl_b64 s[28:29], s[28:29], 3
	s_add_u32 s28, s24, s28
	v_mov_b32_e32 v17, 1
	s_addc_u32 s29, s25, s29
	s_waitcnt lgkmcnt(0)
	global_store_dwordx2 v25, v[16:17], s[28:29] sc1
.LBB3188_50:
	s_or_b64 exec, exec, s[26:27]
	v_xad_u32 v20, v35, -1, s30
	v_add_u32_e32 v24, 64, v20
	v_lshl_add_u64 v[26:27], v[24:25], 3, s[24:25]
	global_load_dwordx2 v[22:23], v[26:27], off sc1
	s_waitcnt vmcnt(0)
	v_cmp_eq_u16_sdwa s[28:29], v23, v25 src0_sel:BYTE_0 src1_sel:DWORD
	s_and_saveexec_b64 s[26:27], s[28:29]
	s_cbranch_execz .LBB3188_54
; %bb.51:
	s_mov_b64 s[28:29], 0
	v_mov_b32_e32 v17, 0
.LBB3188_52:                            ; =>This Inner Loop Header: Depth=1
	global_load_dwordx2 v[22:23], v[26:27], off sc1
	s_waitcnt vmcnt(0)
	v_cmp_ne_u16_sdwa s[34:35], v23, v17 src0_sel:BYTE_0 src1_sel:DWORD
	s_or_b64 s[28:29], s[34:35], s[28:29]
	s_andn2_b64 exec, exec, s[28:29]
	s_cbranch_execnz .LBB3188_52
; %bb.53:
	s_or_b64 exec, exec, s[28:29]
.LBB3188_54:
	s_or_b64 exec, exec, s[26:27]
	v_and_b32_e32 v42, 63, v35
	v_mov_b32_e32 v41, 2
	v_cmp_ne_u32_e32 vcc, 63, v42
	v_cmp_eq_u16_sdwa s[26:27], v23, v41 src0_sel:BYTE_0 src1_sel:DWORD
	v_lshlrev_b64 v[24:25], v35, -1
	v_addc_co_u32_e32 v26, vcc, 0, v35, vcc
	v_and_b32_e32 v17, s27, v25
	v_lshlrev_b32_e32 v43, 2, v26
	v_or_b32_e32 v17, 0x80000000, v17
	ds_bpermute_b32 v26, v43, v22
	v_and_b32_e32 v21, s26, v24
	v_ffbl_b32_e32 v17, v17
	v_add_u32_e32 v17, 32, v17
	v_ffbl_b32_e32 v21, v21
	v_min_u32_e32 v17, v21, v17
	v_cmp_lt_u32_e32 vcc, v42, v17
	v_add_u32_e32 v45, 2, v42
	v_add_u32_e32 v47, 4, v42
	s_waitcnt lgkmcnt(0)
	v_cndmask_b32_e32 v21, 0, v26, vcc
	v_cmp_gt_u32_e32 vcc, 62, v42
	v_add_u32_e32 v21, v21, v22
	v_add_u32_e32 v49, 8, v42
	v_cndmask_b32_e64 v22, 0, 1, vcc
	v_lshlrev_b32_e32 v22, 1, v22
	v_add_lshl_u32 v44, v22, v35, 2
	ds_bpermute_b32 v22, v44, v21
	v_cmp_le_u32_e32 vcc, v45, v17
	v_add_u32_e32 v51, 16, v42
	v_add_u32_e32 v53, 32, v42
	s_waitcnt lgkmcnt(0)
	v_cndmask_b32_e32 v22, 0, v22, vcc
	v_cmp_gt_u32_e32 vcc, 60, v42
	v_add_u32_e32 v21, v21, v22
	s_nop 0
	v_cndmask_b32_e64 v22, 0, 1, vcc
	v_lshlrev_b32_e32 v22, 2, v22
	v_add_lshl_u32 v46, v22, v35, 2
	ds_bpermute_b32 v22, v46, v21
	v_cmp_le_u32_e32 vcc, v47, v17
	s_waitcnt lgkmcnt(0)
	s_nop 0
	v_cndmask_b32_e32 v22, 0, v22, vcc
	v_cmp_gt_u32_e32 vcc, 56, v42
	v_add_u32_e32 v21, v21, v22
	s_nop 0
	v_cndmask_b32_e64 v22, 0, 1, vcc
	v_lshlrev_b32_e32 v22, 3, v22
	v_add_lshl_u32 v48, v22, v35, 2
	ds_bpermute_b32 v22, v48, v21
	v_cmp_le_u32_e32 vcc, v49, v17
	s_waitcnt lgkmcnt(0)
	s_nop 0
	;; [unrolled: 11-line block ×4, first 2 shown]
	v_cndmask_b32_e32 v17, 0, v22, vcc
	v_add_u32_e32 v22, v21, v17
	v_mov_b32_e32 v21, 0
	s_branch .LBB3188_56
.LBB3188_55:                            ;   in Loop: Header=BB3188_56 Depth=1
	s_or_b64 exec, exec, s[26:27]
	v_cmp_eq_u16_sdwa s[26:27], v23, v41 src0_sel:BYTE_0 src1_sel:DWORD
	ds_bpermute_b32 v54, v43, v22
	v_subrev_u32_e32 v20, 64, v20
	v_and_b32_e32 v26, s27, v25
	v_or_b32_e32 v26, 0x80000000, v26
	v_and_b32_e32 v27, s26, v24
	v_ffbl_b32_e32 v26, v26
	v_add_u32_e32 v26, 32, v26
	v_ffbl_b32_e32 v27, v27
	v_min_u32_e32 v26, v27, v26
	v_cmp_lt_u32_e32 vcc, v42, v26
	s_waitcnt lgkmcnt(0)
	s_nop 0
	v_cndmask_b32_e32 v27, 0, v54, vcc
	v_add_u32_e32 v22, v27, v22
	ds_bpermute_b32 v27, v44, v22
	v_cmp_le_u32_e32 vcc, v45, v26
	s_waitcnt lgkmcnt(0)
	s_nop 0
	v_cndmask_b32_e32 v27, 0, v27, vcc
	v_add_u32_e32 v22, v22, v27
	ds_bpermute_b32 v27, v46, v22
	v_cmp_le_u32_e32 vcc, v47, v26
	;; [unrolled: 6-line block ×5, first 2 shown]
	s_waitcnt lgkmcnt(0)
	s_nop 0
	v_cndmask_b32_e32 v26, 0, v27, vcc
	v_add3_u32 v22, v26, v17, v22
.LBB3188_56:                            ; =>This Loop Header: Depth=1
                                        ;     Child Loop BB3188_59 Depth 2
	v_cmp_ne_u16_sdwa s[26:27], v23, v41 src0_sel:BYTE_0 src1_sel:DWORD
	s_nop 1
	v_cndmask_b32_e64 v17, 0, 1, s[26:27]
	;;#ASMSTART
	;;#ASMEND
	s_nop 0
	v_cmp_ne_u32_e32 vcc, 0, v17
	s_cmp_lg_u64 vcc, exec
	v_mov_b32_e32 v17, v22
	s_cbranch_scc1 .LBB3188_61
; %bb.57:                               ;   in Loop: Header=BB3188_56 Depth=1
	v_lshl_add_u64 v[26:27], v[20:21], 3, s[24:25]
	global_load_dwordx2 v[22:23], v[26:27], off sc1
	s_waitcnt vmcnt(0)
	v_cmp_eq_u16_sdwa s[28:29], v23, v21 src0_sel:BYTE_0 src1_sel:DWORD
	s_and_saveexec_b64 s[26:27], s[28:29]
	s_cbranch_execz .LBB3188_55
; %bb.58:                               ;   in Loop: Header=BB3188_56 Depth=1
	s_mov_b64 s[28:29], 0
.LBB3188_59:                            ;   Parent Loop BB3188_56 Depth=1
                                        ; =>  This Inner Loop Header: Depth=2
	global_load_dwordx2 v[22:23], v[26:27], off sc1
	s_waitcnt vmcnt(0)
	v_cmp_ne_u16_sdwa s[34:35], v23, v21 src0_sel:BYTE_0 src1_sel:DWORD
	s_or_b64 s[28:29], s[34:35], s[28:29]
	s_andn2_b64 exec, exec, s[28:29]
	s_cbranch_execnz .LBB3188_59
; %bb.60:                               ;   in Loop: Header=BB3188_56 Depth=1
	s_or_b64 exec, exec, s[28:29]
	s_branch .LBB3188_55
.LBB3188_61:                            ;   in Loop: Header=BB3188_56 Depth=1
                                        ; implicit-def: $vgpr22
                                        ; implicit-def: $vgpr23
	s_cbranch_execz .LBB3188_56
; %bb.62:
	s_and_saveexec_b64 s[26:27], s[16:17]
	s_cbranch_execz .LBB3188_64
; %bb.63:
	s_add_i32 s28, s30, 64
	s_mov_b32 s29, 0
	s_lshl_b64 s[28:29], s[28:29], 3
	s_add_u32 s28, s24, s28
	v_add_u32_e32 v20, v17, v16
	v_mov_b32_e32 v21, 2
	s_addc_u32 s29, s25, s29
	v_mov_b32_e32 v22, 0
	global_store_dwordx2 v22, v[20:21], s[28:29] sc1
	ds_write_b64 v22, v[16:17] offset:28672
.LBB3188_64:
	s_or_b64 exec, exec, s[26:27]
	s_and_b64 exec, exec, s[18:19]
	s_cbranch_execz .LBB3188_66
; %bb.65:
	v_mov_b32_e32 v16, 0
	ds_write_b32 v16, v17 offset:28
.LBB3188_66:
	s_or_b64 exec, exec, s[0:1]
	v_mov_b32_e32 v16, 0
	s_waitcnt lgkmcnt(0)
	s_barrier
	ds_read_b32 v17, v16 offset:28
	v_cndmask_b32_e64 v20, v40, v39, s[16:17]
	v_cndmask_b32_e64 v20, v20, 0, s[18:19]
	s_waitcnt lgkmcnt(0)
	s_barrier
	v_add_u32_e32 v26, v17, v20
	v_add_u32_e32 v25, v26, v34
	;; [unrolled: 1-line block ×3, first 2 shown]
	ds_read_b64 v[16:17], v16 offset:28672
	v_add_u32_e32 v22, v24, v32
	v_add_u32_e32 v23, v22, v31
	;; [unrolled: 1-line block ×4, first 2 shown]
	s_branch .LBB3188_77
.LBB3188_67:
                                        ; implicit-def: $vgpr17
                                        ; implicit-def: $vgpr20
                                        ; implicit-def: $vgpr21
                                        ; implicit-def: $vgpr23
                                        ; implicit-def: $vgpr22
                                        ; implicit-def: $vgpr24
                                        ; implicit-def: $vgpr25
                                        ; implicit-def: $vgpr26
	s_cbranch_execz .LBB3188_77
; %bb.68:
	s_waitcnt lgkmcnt(0)
	v_mov_b32_dpp v16, v38 row_shr:1 row_mask:0xf bank_mask:0xf
	v_cndmask_b32_e64 v16, v16, 0, s[14:15]
	v_add_u32_e32 v16, v16, v38
	s_nop 1
	v_mov_b32_dpp v17, v16 row_shr:2 row_mask:0xf bank_mask:0xf
	v_cndmask_b32_e64 v17, 0, v17, s[12:13]
	v_add_u32_e32 v16, v16, v17
	s_nop 1
	;; [unrolled: 4-line block ×4, first 2 shown]
	v_mov_b32_dpp v17, v16 row_bcast:15 row_mask:0xf bank_mask:0xf
	v_cndmask_b32_e64 v17, v17, 0, s[6:7]
	v_add_u32_e32 v16, v16, v17
	s_nop 1
	v_mov_b32_dpp v17, v16 row_bcast:31 row_mask:0xf bank_mask:0xf
	v_cndmask_b32_e64 v17, 0, v17, s[2:3]
	v_add_u32_e32 v16, v16, v17
	s_and_saveexec_b64 s[0:1], s[4:5]
	s_cbranch_execz .LBB3188_70
; %bb.69:
	v_lshlrev_b32_e32 v17, 2, v37
	ds_write_b32 v17, v16
.LBB3188_70:
	s_or_b64 exec, exec, s[0:1]
	v_cmp_gt_u32_e32 vcc, 8, v0
	s_waitcnt lgkmcnt(0)
	s_barrier
	s_and_saveexec_b64 s[0:1], vcc
	s_cbranch_execz .LBB3188_72
; %bb.71:
	v_mad_i32_i24 v17, v0, -3, v36
	ds_read_b32 v20, v17
	v_and_b32_e32 v21, 7, v35
	v_cmp_ne_u32_e32 vcc, 0, v21
	s_waitcnt lgkmcnt(0)
	v_mov_b32_dpp v22, v20 row_shr:1 row_mask:0xf bank_mask:0xf
	v_cndmask_b32_e32 v22, 0, v22, vcc
	v_add_u32_e32 v20, v22, v20
	v_cmp_lt_u32_e32 vcc, 1, v21
	s_nop 0
	v_mov_b32_dpp v22, v20 row_shr:2 row_mask:0xf bank_mask:0xf
	v_cndmask_b32_e32 v22, 0, v22, vcc
	v_add_u32_e32 v20, v20, v22
	v_cmp_lt_u32_e32 vcc, 3, v21
	s_nop 0
	v_mov_b32_dpp v22, v20 row_shr:4 row_mask:0xf bank_mask:0xf
	v_cndmask_b32_e32 v21, 0, v22, vcc
	v_add_u32_e32 v20, v20, v21
	ds_write_b32 v17, v20
.LBB3188_72:
	s_or_b64 exec, exec, s[0:1]
	v_cmp_lt_u32_e32 vcc, 63, v0
	v_mov_b32_e32 v17, 0
	v_mov_b32_e32 v0, 0
	s_waitcnt lgkmcnt(0)
	s_barrier
	s_and_saveexec_b64 s[0:1], vcc
	s_cbranch_execz .LBB3188_74
; %bb.73:
	v_lshl_add_u32 v0, v37, 2, -4
	ds_read_b32 v0, v0
.LBB3188_74:
	s_or_b64 exec, exec, s[0:1]
	v_add_u32_e32 v20, -1, v35
	v_and_b32_e32 v21, 64, v35
	v_cmp_lt_i32_e32 vcc, v20, v21
	s_waitcnt lgkmcnt(0)
	v_add_u32_e32 v16, v0, v16
	v_cndmask_b32_e32 v20, v20, v35, vcc
	v_lshlrev_b32_e32 v20, 2, v20
	ds_bpermute_b32 v20, v20, v16
	ds_read_b32 v16, v17 offset:28
	s_and_saveexec_b64 s[0:1], s[18:19]
	s_cbranch_execz .LBB3188_76
; %bb.75:
	v_mov_b32_e32 v21, 0
	v_mov_b32_e32 v17, 2
	s_waitcnt lgkmcnt(0)
	global_store_dwordx2 v21, v[16:17], s[24:25] offset:512 sc1
.LBB3188_76:
	s_or_b64 exec, exec, s[0:1]
	v_cmp_eq_u32_e32 vcc, 0, v35
	v_mov_b32_e32 v17, 0
	s_waitcnt lgkmcnt(0)
	v_cndmask_b32_e32 v0, v20, v0, vcc
	v_cndmask_b32_e64 v26, v0, 0, s[18:19]
	v_add_u32_e32 v25, v26, v34
	v_add_u32_e32 v24, v25, v33
	;; [unrolled: 1-line block ×6, first 2 shown]
	s_barrier
.LBB3188_77:
	s_waitcnt lgkmcnt(0)
	v_add_u32_e32 v0, v16, v1
	v_sub_u32_e32 v1, v26, v17
	v_sub_u32_e32 v26, v0, v1
	v_cmp_eq_u32_e32 vcc, 1, v34
	s_and_b64 s[0:1], s[18:19], s[22:23]
	s_nop 0
	v_cndmask_b32_e32 v1, v26, v1, vcc
	v_lshlrev_b32_e32 v1, 3, v1
	ds_write_b64 v1, v[10:11]
	v_sub_u32_e32 v1, v25, v17
	v_sub_u32_e32 v10, v0, v1
	v_add_u32_e32 v10, 1, v10
	v_cmp_eq_u32_e32 vcc, 1, v33
	s_nop 1
	v_cndmask_b32_e32 v1, v10, v1, vcc
	v_lshlrev_b32_e32 v1, 3, v1
	ds_write_b64 v1, v[12:13]
	v_sub_u32_e32 v1, v24, v17
	v_sub_u32_e32 v10, v0, v1
	v_add_u32_e32 v10, 2, v10
	v_cmp_eq_u32_e32 vcc, 1, v32
	s_nop 1
	v_cndmask_b32_e32 v1, v10, v1, vcc
	v_lshlrev_b32_e32 v1, 3, v1
	ds_write_b64 v1, v[6:7]
	v_sub_u32_e32 v1, v22, v17
	v_sub_u32_e32 v6, v0, v1
	v_add_u32_e32 v6, 3, v6
	v_cmp_eq_u32_e32 vcc, 1, v31
	s_nop 1
	v_cndmask_b32_e32 v1, v6, v1, vcc
	v_lshlrev_b32_e32 v1, 3, v1
	ds_write_b64 v1, v[8:9]
	v_sub_u32_e32 v1, v23, v17
	v_sub_u32_e32 v6, v0, v1
	v_add_u32_e32 v6, 4, v6
	v_cmp_eq_u32_e32 vcc, 1, v30
	s_nop 1
	v_cndmask_b32_e32 v1, v6, v1, vcc
	v_lshlrev_b32_e32 v1, 3, v1
	ds_write_b64 v1, v[2:3]
	v_sub_u32_e32 v1, v21, v17
	v_sub_u32_e32 v2, v0, v1
	v_add_u32_e32 v2, 5, v2
	v_cmp_eq_u32_e32 vcc, 1, v29
	s_nop 1
	v_cndmask_b32_e32 v1, v2, v1, vcc
	v_lshlrev_b32_e32 v1, 3, v1
	ds_write_b64 v1, v[4:5]
	v_sub_u32_e32 v1, v20, v17
	v_sub_u32_e32 v0, v0, v1
	v_add_u32_e32 v0, 6, v0
	v_cmp_eq_u32_e32 vcc, 1, v28
	s_nop 1
	v_cndmask_b32_e32 v0, v0, v1, vcc
	v_lshlrev_b32_e32 v0, 3, v0
	ds_write_b64 v0, v[14:15]
	s_waitcnt lgkmcnt(0)
	s_barrier
	s_and_saveexec_b64 s[2:3], s[0:1]
	s_cbranch_execz .LBB3188_79
; %bb.78:
	v_mov_b32_e32 v1, 0
	v_mov_b32_e32 v0, v16
	s_waitcnt vmcnt(0)
	v_lshl_add_u64 v[2:3], v[18:19], 0, v[0:1]
	v_mov_b32_e32 v0, v17
	v_lshl_add_u64 v[2:3], v[2:3], 0, v[0:1]
	global_store_dwordx2 v1, v[2:3], s[20:21]
.LBB3188_79:
	s_endpgm
	.section	.rodata,"a",@progbits
	.p2align	6, 0x0
	.amdhsa_kernel _ZN7rocprim17ROCPRIM_400000_NS6detail17trampoline_kernelINS0_14default_configENS1_25partition_config_selectorILNS1_17partition_subalgoE1ExNS0_10empty_typeEbEEZZNS1_14partition_implILS5_1ELb0ES3_jN6thrust23THRUST_200600_302600_NS6detail15normal_iteratorINSA_10device_ptrIxEEEEPS6_NSA_18transform_iteratorI7is_evenIxESF_NSA_11use_defaultESK_EENS0_5tupleIJNSA_16discard_iteratorISK_EESO_EEENSM_IJSG_SG_EEES6_PlJS6_EEE10hipError_tPvRmT3_T4_T5_T6_T7_T9_mT8_P12ihipStream_tbDpT10_ENKUlT_T0_E_clISt17integral_constantIbLb0EES1A_IbLb1EEEEDaS16_S17_EUlS16_E_NS1_11comp_targetILNS1_3genE5ELNS1_11target_archE942ELNS1_3gpuE9ELNS1_3repE0EEENS1_30default_config_static_selectorELNS0_4arch9wavefront6targetE1EEEvT1_
		.amdhsa_group_segment_fixed_size 28680
		.amdhsa_private_segment_fixed_size 0
		.amdhsa_kernarg_size 160
		.amdhsa_user_sgpr_count 2
		.amdhsa_user_sgpr_dispatch_ptr 0
		.amdhsa_user_sgpr_queue_ptr 0
		.amdhsa_user_sgpr_kernarg_segment_ptr 1
		.amdhsa_user_sgpr_dispatch_id 0
		.amdhsa_user_sgpr_kernarg_preload_length 0
		.amdhsa_user_sgpr_kernarg_preload_offset 0
		.amdhsa_user_sgpr_private_segment_size 0
		.amdhsa_uses_dynamic_stack 0
		.amdhsa_enable_private_segment 0
		.amdhsa_system_sgpr_workgroup_id_x 1
		.amdhsa_system_sgpr_workgroup_id_y 0
		.amdhsa_system_sgpr_workgroup_id_z 0
		.amdhsa_system_sgpr_workgroup_info 0
		.amdhsa_system_vgpr_workitem_id 0
		.amdhsa_next_free_vgpr 55
		.amdhsa_next_free_sgpr 36
		.amdhsa_accum_offset 56
		.amdhsa_reserve_vcc 1
		.amdhsa_float_round_mode_32 0
		.amdhsa_float_round_mode_16_64 0
		.amdhsa_float_denorm_mode_32 3
		.amdhsa_float_denorm_mode_16_64 3
		.amdhsa_dx10_clamp 1
		.amdhsa_ieee_mode 1
		.amdhsa_fp16_overflow 0
		.amdhsa_tg_split 0
		.amdhsa_exception_fp_ieee_invalid_op 0
		.amdhsa_exception_fp_denorm_src 0
		.amdhsa_exception_fp_ieee_div_zero 0
		.amdhsa_exception_fp_ieee_overflow 0
		.amdhsa_exception_fp_ieee_underflow 0
		.amdhsa_exception_fp_ieee_inexact 0
		.amdhsa_exception_int_div_zero 0
	.end_amdhsa_kernel
	.section	.text._ZN7rocprim17ROCPRIM_400000_NS6detail17trampoline_kernelINS0_14default_configENS1_25partition_config_selectorILNS1_17partition_subalgoE1ExNS0_10empty_typeEbEEZZNS1_14partition_implILS5_1ELb0ES3_jN6thrust23THRUST_200600_302600_NS6detail15normal_iteratorINSA_10device_ptrIxEEEEPS6_NSA_18transform_iteratorI7is_evenIxESF_NSA_11use_defaultESK_EENS0_5tupleIJNSA_16discard_iteratorISK_EESO_EEENSM_IJSG_SG_EEES6_PlJS6_EEE10hipError_tPvRmT3_T4_T5_T6_T7_T9_mT8_P12ihipStream_tbDpT10_ENKUlT_T0_E_clISt17integral_constantIbLb0EES1A_IbLb1EEEEDaS16_S17_EUlS16_E_NS1_11comp_targetILNS1_3genE5ELNS1_11target_archE942ELNS1_3gpuE9ELNS1_3repE0EEENS1_30default_config_static_selectorELNS0_4arch9wavefront6targetE1EEEvT1_,"axG",@progbits,_ZN7rocprim17ROCPRIM_400000_NS6detail17trampoline_kernelINS0_14default_configENS1_25partition_config_selectorILNS1_17partition_subalgoE1ExNS0_10empty_typeEbEEZZNS1_14partition_implILS5_1ELb0ES3_jN6thrust23THRUST_200600_302600_NS6detail15normal_iteratorINSA_10device_ptrIxEEEEPS6_NSA_18transform_iteratorI7is_evenIxESF_NSA_11use_defaultESK_EENS0_5tupleIJNSA_16discard_iteratorISK_EESO_EEENSM_IJSG_SG_EEES6_PlJS6_EEE10hipError_tPvRmT3_T4_T5_T6_T7_T9_mT8_P12ihipStream_tbDpT10_ENKUlT_T0_E_clISt17integral_constantIbLb0EES1A_IbLb1EEEEDaS16_S17_EUlS16_E_NS1_11comp_targetILNS1_3genE5ELNS1_11target_archE942ELNS1_3gpuE9ELNS1_3repE0EEENS1_30default_config_static_selectorELNS0_4arch9wavefront6targetE1EEEvT1_,comdat
.Lfunc_end3188:
	.size	_ZN7rocprim17ROCPRIM_400000_NS6detail17trampoline_kernelINS0_14default_configENS1_25partition_config_selectorILNS1_17partition_subalgoE1ExNS0_10empty_typeEbEEZZNS1_14partition_implILS5_1ELb0ES3_jN6thrust23THRUST_200600_302600_NS6detail15normal_iteratorINSA_10device_ptrIxEEEEPS6_NSA_18transform_iteratorI7is_evenIxESF_NSA_11use_defaultESK_EENS0_5tupleIJNSA_16discard_iteratorISK_EESO_EEENSM_IJSG_SG_EEES6_PlJS6_EEE10hipError_tPvRmT3_T4_T5_T6_T7_T9_mT8_P12ihipStream_tbDpT10_ENKUlT_T0_E_clISt17integral_constantIbLb0EES1A_IbLb1EEEEDaS16_S17_EUlS16_E_NS1_11comp_targetILNS1_3genE5ELNS1_11target_archE942ELNS1_3gpuE9ELNS1_3repE0EEENS1_30default_config_static_selectorELNS0_4arch9wavefront6targetE1EEEvT1_, .Lfunc_end3188-_ZN7rocprim17ROCPRIM_400000_NS6detail17trampoline_kernelINS0_14default_configENS1_25partition_config_selectorILNS1_17partition_subalgoE1ExNS0_10empty_typeEbEEZZNS1_14partition_implILS5_1ELb0ES3_jN6thrust23THRUST_200600_302600_NS6detail15normal_iteratorINSA_10device_ptrIxEEEEPS6_NSA_18transform_iteratorI7is_evenIxESF_NSA_11use_defaultESK_EENS0_5tupleIJNSA_16discard_iteratorISK_EESO_EEENSM_IJSG_SG_EEES6_PlJS6_EEE10hipError_tPvRmT3_T4_T5_T6_T7_T9_mT8_P12ihipStream_tbDpT10_ENKUlT_T0_E_clISt17integral_constantIbLb0EES1A_IbLb1EEEEDaS16_S17_EUlS16_E_NS1_11comp_targetILNS1_3genE5ELNS1_11target_archE942ELNS1_3gpuE9ELNS1_3repE0EEENS1_30default_config_static_selectorELNS0_4arch9wavefront6targetE1EEEvT1_
                                        ; -- End function
	.section	.AMDGPU.csdata,"",@progbits
; Kernel info:
; codeLenInByte = 4236
; NumSgprs: 42
; NumVgprs: 55
; NumAgprs: 0
; TotalNumVgprs: 55
; ScratchSize: 0
; MemoryBound: 0
; FloatMode: 240
; IeeeMode: 1
; LDSByteSize: 28680 bytes/workgroup (compile time only)
; SGPRBlocks: 5
; VGPRBlocks: 6
; NumSGPRsForWavesPerEU: 42
; NumVGPRsForWavesPerEU: 55
; AccumOffset: 56
; Occupancy: 4
; WaveLimiterHint : 1
; COMPUTE_PGM_RSRC2:SCRATCH_EN: 0
; COMPUTE_PGM_RSRC2:USER_SGPR: 2
; COMPUTE_PGM_RSRC2:TRAP_HANDLER: 0
; COMPUTE_PGM_RSRC2:TGID_X_EN: 1
; COMPUTE_PGM_RSRC2:TGID_Y_EN: 0
; COMPUTE_PGM_RSRC2:TGID_Z_EN: 0
; COMPUTE_PGM_RSRC2:TIDIG_COMP_CNT: 0
; COMPUTE_PGM_RSRC3_GFX90A:ACCUM_OFFSET: 13
; COMPUTE_PGM_RSRC3_GFX90A:TG_SPLIT: 0
	.section	.text._ZN7rocprim17ROCPRIM_400000_NS6detail17trampoline_kernelINS0_14default_configENS1_25partition_config_selectorILNS1_17partition_subalgoE1ExNS0_10empty_typeEbEEZZNS1_14partition_implILS5_1ELb0ES3_jN6thrust23THRUST_200600_302600_NS6detail15normal_iteratorINSA_10device_ptrIxEEEEPS6_NSA_18transform_iteratorI7is_evenIxESF_NSA_11use_defaultESK_EENS0_5tupleIJNSA_16discard_iteratorISK_EESO_EEENSM_IJSG_SG_EEES6_PlJS6_EEE10hipError_tPvRmT3_T4_T5_T6_T7_T9_mT8_P12ihipStream_tbDpT10_ENKUlT_T0_E_clISt17integral_constantIbLb0EES1A_IbLb1EEEEDaS16_S17_EUlS16_E_NS1_11comp_targetILNS1_3genE4ELNS1_11target_archE910ELNS1_3gpuE8ELNS1_3repE0EEENS1_30default_config_static_selectorELNS0_4arch9wavefront6targetE1EEEvT1_,"axG",@progbits,_ZN7rocprim17ROCPRIM_400000_NS6detail17trampoline_kernelINS0_14default_configENS1_25partition_config_selectorILNS1_17partition_subalgoE1ExNS0_10empty_typeEbEEZZNS1_14partition_implILS5_1ELb0ES3_jN6thrust23THRUST_200600_302600_NS6detail15normal_iteratorINSA_10device_ptrIxEEEEPS6_NSA_18transform_iteratorI7is_evenIxESF_NSA_11use_defaultESK_EENS0_5tupleIJNSA_16discard_iteratorISK_EESO_EEENSM_IJSG_SG_EEES6_PlJS6_EEE10hipError_tPvRmT3_T4_T5_T6_T7_T9_mT8_P12ihipStream_tbDpT10_ENKUlT_T0_E_clISt17integral_constantIbLb0EES1A_IbLb1EEEEDaS16_S17_EUlS16_E_NS1_11comp_targetILNS1_3genE4ELNS1_11target_archE910ELNS1_3gpuE8ELNS1_3repE0EEENS1_30default_config_static_selectorELNS0_4arch9wavefront6targetE1EEEvT1_,comdat
	.protected	_ZN7rocprim17ROCPRIM_400000_NS6detail17trampoline_kernelINS0_14default_configENS1_25partition_config_selectorILNS1_17partition_subalgoE1ExNS0_10empty_typeEbEEZZNS1_14partition_implILS5_1ELb0ES3_jN6thrust23THRUST_200600_302600_NS6detail15normal_iteratorINSA_10device_ptrIxEEEEPS6_NSA_18transform_iteratorI7is_evenIxESF_NSA_11use_defaultESK_EENS0_5tupleIJNSA_16discard_iteratorISK_EESO_EEENSM_IJSG_SG_EEES6_PlJS6_EEE10hipError_tPvRmT3_T4_T5_T6_T7_T9_mT8_P12ihipStream_tbDpT10_ENKUlT_T0_E_clISt17integral_constantIbLb0EES1A_IbLb1EEEEDaS16_S17_EUlS16_E_NS1_11comp_targetILNS1_3genE4ELNS1_11target_archE910ELNS1_3gpuE8ELNS1_3repE0EEENS1_30default_config_static_selectorELNS0_4arch9wavefront6targetE1EEEvT1_ ; -- Begin function _ZN7rocprim17ROCPRIM_400000_NS6detail17trampoline_kernelINS0_14default_configENS1_25partition_config_selectorILNS1_17partition_subalgoE1ExNS0_10empty_typeEbEEZZNS1_14partition_implILS5_1ELb0ES3_jN6thrust23THRUST_200600_302600_NS6detail15normal_iteratorINSA_10device_ptrIxEEEEPS6_NSA_18transform_iteratorI7is_evenIxESF_NSA_11use_defaultESK_EENS0_5tupleIJNSA_16discard_iteratorISK_EESO_EEENSM_IJSG_SG_EEES6_PlJS6_EEE10hipError_tPvRmT3_T4_T5_T6_T7_T9_mT8_P12ihipStream_tbDpT10_ENKUlT_T0_E_clISt17integral_constantIbLb0EES1A_IbLb1EEEEDaS16_S17_EUlS16_E_NS1_11comp_targetILNS1_3genE4ELNS1_11target_archE910ELNS1_3gpuE8ELNS1_3repE0EEENS1_30default_config_static_selectorELNS0_4arch9wavefront6targetE1EEEvT1_
	.globl	_ZN7rocprim17ROCPRIM_400000_NS6detail17trampoline_kernelINS0_14default_configENS1_25partition_config_selectorILNS1_17partition_subalgoE1ExNS0_10empty_typeEbEEZZNS1_14partition_implILS5_1ELb0ES3_jN6thrust23THRUST_200600_302600_NS6detail15normal_iteratorINSA_10device_ptrIxEEEEPS6_NSA_18transform_iteratorI7is_evenIxESF_NSA_11use_defaultESK_EENS0_5tupleIJNSA_16discard_iteratorISK_EESO_EEENSM_IJSG_SG_EEES6_PlJS6_EEE10hipError_tPvRmT3_T4_T5_T6_T7_T9_mT8_P12ihipStream_tbDpT10_ENKUlT_T0_E_clISt17integral_constantIbLb0EES1A_IbLb1EEEEDaS16_S17_EUlS16_E_NS1_11comp_targetILNS1_3genE4ELNS1_11target_archE910ELNS1_3gpuE8ELNS1_3repE0EEENS1_30default_config_static_selectorELNS0_4arch9wavefront6targetE1EEEvT1_
	.p2align	8
	.type	_ZN7rocprim17ROCPRIM_400000_NS6detail17trampoline_kernelINS0_14default_configENS1_25partition_config_selectorILNS1_17partition_subalgoE1ExNS0_10empty_typeEbEEZZNS1_14partition_implILS5_1ELb0ES3_jN6thrust23THRUST_200600_302600_NS6detail15normal_iteratorINSA_10device_ptrIxEEEEPS6_NSA_18transform_iteratorI7is_evenIxESF_NSA_11use_defaultESK_EENS0_5tupleIJNSA_16discard_iteratorISK_EESO_EEENSM_IJSG_SG_EEES6_PlJS6_EEE10hipError_tPvRmT3_T4_T5_T6_T7_T9_mT8_P12ihipStream_tbDpT10_ENKUlT_T0_E_clISt17integral_constantIbLb0EES1A_IbLb1EEEEDaS16_S17_EUlS16_E_NS1_11comp_targetILNS1_3genE4ELNS1_11target_archE910ELNS1_3gpuE8ELNS1_3repE0EEENS1_30default_config_static_selectorELNS0_4arch9wavefront6targetE1EEEvT1_,@function
_ZN7rocprim17ROCPRIM_400000_NS6detail17trampoline_kernelINS0_14default_configENS1_25partition_config_selectorILNS1_17partition_subalgoE1ExNS0_10empty_typeEbEEZZNS1_14partition_implILS5_1ELb0ES3_jN6thrust23THRUST_200600_302600_NS6detail15normal_iteratorINSA_10device_ptrIxEEEEPS6_NSA_18transform_iteratorI7is_evenIxESF_NSA_11use_defaultESK_EENS0_5tupleIJNSA_16discard_iteratorISK_EESO_EEENSM_IJSG_SG_EEES6_PlJS6_EEE10hipError_tPvRmT3_T4_T5_T6_T7_T9_mT8_P12ihipStream_tbDpT10_ENKUlT_T0_E_clISt17integral_constantIbLb0EES1A_IbLb1EEEEDaS16_S17_EUlS16_E_NS1_11comp_targetILNS1_3genE4ELNS1_11target_archE910ELNS1_3gpuE8ELNS1_3repE0EEENS1_30default_config_static_selectorELNS0_4arch9wavefront6targetE1EEEvT1_: ; @_ZN7rocprim17ROCPRIM_400000_NS6detail17trampoline_kernelINS0_14default_configENS1_25partition_config_selectorILNS1_17partition_subalgoE1ExNS0_10empty_typeEbEEZZNS1_14partition_implILS5_1ELb0ES3_jN6thrust23THRUST_200600_302600_NS6detail15normal_iteratorINSA_10device_ptrIxEEEEPS6_NSA_18transform_iteratorI7is_evenIxESF_NSA_11use_defaultESK_EENS0_5tupleIJNSA_16discard_iteratorISK_EESO_EEENSM_IJSG_SG_EEES6_PlJS6_EEE10hipError_tPvRmT3_T4_T5_T6_T7_T9_mT8_P12ihipStream_tbDpT10_ENKUlT_T0_E_clISt17integral_constantIbLb0EES1A_IbLb1EEEEDaS16_S17_EUlS16_E_NS1_11comp_targetILNS1_3genE4ELNS1_11target_archE910ELNS1_3gpuE8ELNS1_3repE0EEENS1_30default_config_static_selectorELNS0_4arch9wavefront6targetE1EEEvT1_
; %bb.0:
	.section	.rodata,"a",@progbits
	.p2align	6, 0x0
	.amdhsa_kernel _ZN7rocprim17ROCPRIM_400000_NS6detail17trampoline_kernelINS0_14default_configENS1_25partition_config_selectorILNS1_17partition_subalgoE1ExNS0_10empty_typeEbEEZZNS1_14partition_implILS5_1ELb0ES3_jN6thrust23THRUST_200600_302600_NS6detail15normal_iteratorINSA_10device_ptrIxEEEEPS6_NSA_18transform_iteratorI7is_evenIxESF_NSA_11use_defaultESK_EENS0_5tupleIJNSA_16discard_iteratorISK_EESO_EEENSM_IJSG_SG_EEES6_PlJS6_EEE10hipError_tPvRmT3_T4_T5_T6_T7_T9_mT8_P12ihipStream_tbDpT10_ENKUlT_T0_E_clISt17integral_constantIbLb0EES1A_IbLb1EEEEDaS16_S17_EUlS16_E_NS1_11comp_targetILNS1_3genE4ELNS1_11target_archE910ELNS1_3gpuE8ELNS1_3repE0EEENS1_30default_config_static_selectorELNS0_4arch9wavefront6targetE1EEEvT1_
		.amdhsa_group_segment_fixed_size 0
		.amdhsa_private_segment_fixed_size 0
		.amdhsa_kernarg_size 160
		.amdhsa_user_sgpr_count 2
		.amdhsa_user_sgpr_dispatch_ptr 0
		.amdhsa_user_sgpr_queue_ptr 0
		.amdhsa_user_sgpr_kernarg_segment_ptr 1
		.amdhsa_user_sgpr_dispatch_id 0
		.amdhsa_user_sgpr_kernarg_preload_length 0
		.amdhsa_user_sgpr_kernarg_preload_offset 0
		.amdhsa_user_sgpr_private_segment_size 0
		.amdhsa_uses_dynamic_stack 0
		.amdhsa_enable_private_segment 0
		.amdhsa_system_sgpr_workgroup_id_x 1
		.amdhsa_system_sgpr_workgroup_id_y 0
		.amdhsa_system_sgpr_workgroup_id_z 0
		.amdhsa_system_sgpr_workgroup_info 0
		.amdhsa_system_vgpr_workitem_id 0
		.amdhsa_next_free_vgpr 1
		.amdhsa_next_free_sgpr 0
		.amdhsa_accum_offset 4
		.amdhsa_reserve_vcc 0
		.amdhsa_float_round_mode_32 0
		.amdhsa_float_round_mode_16_64 0
		.amdhsa_float_denorm_mode_32 3
		.amdhsa_float_denorm_mode_16_64 3
		.amdhsa_dx10_clamp 1
		.amdhsa_ieee_mode 1
		.amdhsa_fp16_overflow 0
		.amdhsa_tg_split 0
		.amdhsa_exception_fp_ieee_invalid_op 0
		.amdhsa_exception_fp_denorm_src 0
		.amdhsa_exception_fp_ieee_div_zero 0
		.amdhsa_exception_fp_ieee_overflow 0
		.amdhsa_exception_fp_ieee_underflow 0
		.amdhsa_exception_fp_ieee_inexact 0
		.amdhsa_exception_int_div_zero 0
	.end_amdhsa_kernel
	.section	.text._ZN7rocprim17ROCPRIM_400000_NS6detail17trampoline_kernelINS0_14default_configENS1_25partition_config_selectorILNS1_17partition_subalgoE1ExNS0_10empty_typeEbEEZZNS1_14partition_implILS5_1ELb0ES3_jN6thrust23THRUST_200600_302600_NS6detail15normal_iteratorINSA_10device_ptrIxEEEEPS6_NSA_18transform_iteratorI7is_evenIxESF_NSA_11use_defaultESK_EENS0_5tupleIJNSA_16discard_iteratorISK_EESO_EEENSM_IJSG_SG_EEES6_PlJS6_EEE10hipError_tPvRmT3_T4_T5_T6_T7_T9_mT8_P12ihipStream_tbDpT10_ENKUlT_T0_E_clISt17integral_constantIbLb0EES1A_IbLb1EEEEDaS16_S17_EUlS16_E_NS1_11comp_targetILNS1_3genE4ELNS1_11target_archE910ELNS1_3gpuE8ELNS1_3repE0EEENS1_30default_config_static_selectorELNS0_4arch9wavefront6targetE1EEEvT1_,"axG",@progbits,_ZN7rocprim17ROCPRIM_400000_NS6detail17trampoline_kernelINS0_14default_configENS1_25partition_config_selectorILNS1_17partition_subalgoE1ExNS0_10empty_typeEbEEZZNS1_14partition_implILS5_1ELb0ES3_jN6thrust23THRUST_200600_302600_NS6detail15normal_iteratorINSA_10device_ptrIxEEEEPS6_NSA_18transform_iteratorI7is_evenIxESF_NSA_11use_defaultESK_EENS0_5tupleIJNSA_16discard_iteratorISK_EESO_EEENSM_IJSG_SG_EEES6_PlJS6_EEE10hipError_tPvRmT3_T4_T5_T6_T7_T9_mT8_P12ihipStream_tbDpT10_ENKUlT_T0_E_clISt17integral_constantIbLb0EES1A_IbLb1EEEEDaS16_S17_EUlS16_E_NS1_11comp_targetILNS1_3genE4ELNS1_11target_archE910ELNS1_3gpuE8ELNS1_3repE0EEENS1_30default_config_static_selectorELNS0_4arch9wavefront6targetE1EEEvT1_,comdat
.Lfunc_end3189:
	.size	_ZN7rocprim17ROCPRIM_400000_NS6detail17trampoline_kernelINS0_14default_configENS1_25partition_config_selectorILNS1_17partition_subalgoE1ExNS0_10empty_typeEbEEZZNS1_14partition_implILS5_1ELb0ES3_jN6thrust23THRUST_200600_302600_NS6detail15normal_iteratorINSA_10device_ptrIxEEEEPS6_NSA_18transform_iteratorI7is_evenIxESF_NSA_11use_defaultESK_EENS0_5tupleIJNSA_16discard_iteratorISK_EESO_EEENSM_IJSG_SG_EEES6_PlJS6_EEE10hipError_tPvRmT3_T4_T5_T6_T7_T9_mT8_P12ihipStream_tbDpT10_ENKUlT_T0_E_clISt17integral_constantIbLb0EES1A_IbLb1EEEEDaS16_S17_EUlS16_E_NS1_11comp_targetILNS1_3genE4ELNS1_11target_archE910ELNS1_3gpuE8ELNS1_3repE0EEENS1_30default_config_static_selectorELNS0_4arch9wavefront6targetE1EEEvT1_, .Lfunc_end3189-_ZN7rocprim17ROCPRIM_400000_NS6detail17trampoline_kernelINS0_14default_configENS1_25partition_config_selectorILNS1_17partition_subalgoE1ExNS0_10empty_typeEbEEZZNS1_14partition_implILS5_1ELb0ES3_jN6thrust23THRUST_200600_302600_NS6detail15normal_iteratorINSA_10device_ptrIxEEEEPS6_NSA_18transform_iteratorI7is_evenIxESF_NSA_11use_defaultESK_EENS0_5tupleIJNSA_16discard_iteratorISK_EESO_EEENSM_IJSG_SG_EEES6_PlJS6_EEE10hipError_tPvRmT3_T4_T5_T6_T7_T9_mT8_P12ihipStream_tbDpT10_ENKUlT_T0_E_clISt17integral_constantIbLb0EES1A_IbLb1EEEEDaS16_S17_EUlS16_E_NS1_11comp_targetILNS1_3genE4ELNS1_11target_archE910ELNS1_3gpuE8ELNS1_3repE0EEENS1_30default_config_static_selectorELNS0_4arch9wavefront6targetE1EEEvT1_
                                        ; -- End function
	.section	.AMDGPU.csdata,"",@progbits
; Kernel info:
; codeLenInByte = 0
; NumSgprs: 6
; NumVgprs: 0
; NumAgprs: 0
; TotalNumVgprs: 0
; ScratchSize: 0
; MemoryBound: 0
; FloatMode: 240
; IeeeMode: 1
; LDSByteSize: 0 bytes/workgroup (compile time only)
; SGPRBlocks: 0
; VGPRBlocks: 0
; NumSGPRsForWavesPerEU: 6
; NumVGPRsForWavesPerEU: 1
; AccumOffset: 4
; Occupancy: 8
; WaveLimiterHint : 0
; COMPUTE_PGM_RSRC2:SCRATCH_EN: 0
; COMPUTE_PGM_RSRC2:USER_SGPR: 2
; COMPUTE_PGM_RSRC2:TRAP_HANDLER: 0
; COMPUTE_PGM_RSRC2:TGID_X_EN: 1
; COMPUTE_PGM_RSRC2:TGID_Y_EN: 0
; COMPUTE_PGM_RSRC2:TGID_Z_EN: 0
; COMPUTE_PGM_RSRC2:TIDIG_COMP_CNT: 0
; COMPUTE_PGM_RSRC3_GFX90A:ACCUM_OFFSET: 0
; COMPUTE_PGM_RSRC3_GFX90A:TG_SPLIT: 0
	.section	.text._ZN7rocprim17ROCPRIM_400000_NS6detail17trampoline_kernelINS0_14default_configENS1_25partition_config_selectorILNS1_17partition_subalgoE1ExNS0_10empty_typeEbEEZZNS1_14partition_implILS5_1ELb0ES3_jN6thrust23THRUST_200600_302600_NS6detail15normal_iteratorINSA_10device_ptrIxEEEEPS6_NSA_18transform_iteratorI7is_evenIxESF_NSA_11use_defaultESK_EENS0_5tupleIJNSA_16discard_iteratorISK_EESO_EEENSM_IJSG_SG_EEES6_PlJS6_EEE10hipError_tPvRmT3_T4_T5_T6_T7_T9_mT8_P12ihipStream_tbDpT10_ENKUlT_T0_E_clISt17integral_constantIbLb0EES1A_IbLb1EEEEDaS16_S17_EUlS16_E_NS1_11comp_targetILNS1_3genE3ELNS1_11target_archE908ELNS1_3gpuE7ELNS1_3repE0EEENS1_30default_config_static_selectorELNS0_4arch9wavefront6targetE1EEEvT1_,"axG",@progbits,_ZN7rocprim17ROCPRIM_400000_NS6detail17trampoline_kernelINS0_14default_configENS1_25partition_config_selectorILNS1_17partition_subalgoE1ExNS0_10empty_typeEbEEZZNS1_14partition_implILS5_1ELb0ES3_jN6thrust23THRUST_200600_302600_NS6detail15normal_iteratorINSA_10device_ptrIxEEEEPS6_NSA_18transform_iteratorI7is_evenIxESF_NSA_11use_defaultESK_EENS0_5tupleIJNSA_16discard_iteratorISK_EESO_EEENSM_IJSG_SG_EEES6_PlJS6_EEE10hipError_tPvRmT3_T4_T5_T6_T7_T9_mT8_P12ihipStream_tbDpT10_ENKUlT_T0_E_clISt17integral_constantIbLb0EES1A_IbLb1EEEEDaS16_S17_EUlS16_E_NS1_11comp_targetILNS1_3genE3ELNS1_11target_archE908ELNS1_3gpuE7ELNS1_3repE0EEENS1_30default_config_static_selectorELNS0_4arch9wavefront6targetE1EEEvT1_,comdat
	.protected	_ZN7rocprim17ROCPRIM_400000_NS6detail17trampoline_kernelINS0_14default_configENS1_25partition_config_selectorILNS1_17partition_subalgoE1ExNS0_10empty_typeEbEEZZNS1_14partition_implILS5_1ELb0ES3_jN6thrust23THRUST_200600_302600_NS6detail15normal_iteratorINSA_10device_ptrIxEEEEPS6_NSA_18transform_iteratorI7is_evenIxESF_NSA_11use_defaultESK_EENS0_5tupleIJNSA_16discard_iteratorISK_EESO_EEENSM_IJSG_SG_EEES6_PlJS6_EEE10hipError_tPvRmT3_T4_T5_T6_T7_T9_mT8_P12ihipStream_tbDpT10_ENKUlT_T0_E_clISt17integral_constantIbLb0EES1A_IbLb1EEEEDaS16_S17_EUlS16_E_NS1_11comp_targetILNS1_3genE3ELNS1_11target_archE908ELNS1_3gpuE7ELNS1_3repE0EEENS1_30default_config_static_selectorELNS0_4arch9wavefront6targetE1EEEvT1_ ; -- Begin function _ZN7rocprim17ROCPRIM_400000_NS6detail17trampoline_kernelINS0_14default_configENS1_25partition_config_selectorILNS1_17partition_subalgoE1ExNS0_10empty_typeEbEEZZNS1_14partition_implILS5_1ELb0ES3_jN6thrust23THRUST_200600_302600_NS6detail15normal_iteratorINSA_10device_ptrIxEEEEPS6_NSA_18transform_iteratorI7is_evenIxESF_NSA_11use_defaultESK_EENS0_5tupleIJNSA_16discard_iteratorISK_EESO_EEENSM_IJSG_SG_EEES6_PlJS6_EEE10hipError_tPvRmT3_T4_T5_T6_T7_T9_mT8_P12ihipStream_tbDpT10_ENKUlT_T0_E_clISt17integral_constantIbLb0EES1A_IbLb1EEEEDaS16_S17_EUlS16_E_NS1_11comp_targetILNS1_3genE3ELNS1_11target_archE908ELNS1_3gpuE7ELNS1_3repE0EEENS1_30default_config_static_selectorELNS0_4arch9wavefront6targetE1EEEvT1_
	.globl	_ZN7rocprim17ROCPRIM_400000_NS6detail17trampoline_kernelINS0_14default_configENS1_25partition_config_selectorILNS1_17partition_subalgoE1ExNS0_10empty_typeEbEEZZNS1_14partition_implILS5_1ELb0ES3_jN6thrust23THRUST_200600_302600_NS6detail15normal_iteratorINSA_10device_ptrIxEEEEPS6_NSA_18transform_iteratorI7is_evenIxESF_NSA_11use_defaultESK_EENS0_5tupleIJNSA_16discard_iteratorISK_EESO_EEENSM_IJSG_SG_EEES6_PlJS6_EEE10hipError_tPvRmT3_T4_T5_T6_T7_T9_mT8_P12ihipStream_tbDpT10_ENKUlT_T0_E_clISt17integral_constantIbLb0EES1A_IbLb1EEEEDaS16_S17_EUlS16_E_NS1_11comp_targetILNS1_3genE3ELNS1_11target_archE908ELNS1_3gpuE7ELNS1_3repE0EEENS1_30default_config_static_selectorELNS0_4arch9wavefront6targetE1EEEvT1_
	.p2align	8
	.type	_ZN7rocprim17ROCPRIM_400000_NS6detail17trampoline_kernelINS0_14default_configENS1_25partition_config_selectorILNS1_17partition_subalgoE1ExNS0_10empty_typeEbEEZZNS1_14partition_implILS5_1ELb0ES3_jN6thrust23THRUST_200600_302600_NS6detail15normal_iteratorINSA_10device_ptrIxEEEEPS6_NSA_18transform_iteratorI7is_evenIxESF_NSA_11use_defaultESK_EENS0_5tupleIJNSA_16discard_iteratorISK_EESO_EEENSM_IJSG_SG_EEES6_PlJS6_EEE10hipError_tPvRmT3_T4_T5_T6_T7_T9_mT8_P12ihipStream_tbDpT10_ENKUlT_T0_E_clISt17integral_constantIbLb0EES1A_IbLb1EEEEDaS16_S17_EUlS16_E_NS1_11comp_targetILNS1_3genE3ELNS1_11target_archE908ELNS1_3gpuE7ELNS1_3repE0EEENS1_30default_config_static_selectorELNS0_4arch9wavefront6targetE1EEEvT1_,@function
_ZN7rocprim17ROCPRIM_400000_NS6detail17trampoline_kernelINS0_14default_configENS1_25partition_config_selectorILNS1_17partition_subalgoE1ExNS0_10empty_typeEbEEZZNS1_14partition_implILS5_1ELb0ES3_jN6thrust23THRUST_200600_302600_NS6detail15normal_iteratorINSA_10device_ptrIxEEEEPS6_NSA_18transform_iteratorI7is_evenIxESF_NSA_11use_defaultESK_EENS0_5tupleIJNSA_16discard_iteratorISK_EESO_EEENSM_IJSG_SG_EEES6_PlJS6_EEE10hipError_tPvRmT3_T4_T5_T6_T7_T9_mT8_P12ihipStream_tbDpT10_ENKUlT_T0_E_clISt17integral_constantIbLb0EES1A_IbLb1EEEEDaS16_S17_EUlS16_E_NS1_11comp_targetILNS1_3genE3ELNS1_11target_archE908ELNS1_3gpuE7ELNS1_3repE0EEENS1_30default_config_static_selectorELNS0_4arch9wavefront6targetE1EEEvT1_: ; @_ZN7rocprim17ROCPRIM_400000_NS6detail17trampoline_kernelINS0_14default_configENS1_25partition_config_selectorILNS1_17partition_subalgoE1ExNS0_10empty_typeEbEEZZNS1_14partition_implILS5_1ELb0ES3_jN6thrust23THRUST_200600_302600_NS6detail15normal_iteratorINSA_10device_ptrIxEEEEPS6_NSA_18transform_iteratorI7is_evenIxESF_NSA_11use_defaultESK_EENS0_5tupleIJNSA_16discard_iteratorISK_EESO_EEENSM_IJSG_SG_EEES6_PlJS6_EEE10hipError_tPvRmT3_T4_T5_T6_T7_T9_mT8_P12ihipStream_tbDpT10_ENKUlT_T0_E_clISt17integral_constantIbLb0EES1A_IbLb1EEEEDaS16_S17_EUlS16_E_NS1_11comp_targetILNS1_3genE3ELNS1_11target_archE908ELNS1_3gpuE7ELNS1_3repE0EEENS1_30default_config_static_selectorELNS0_4arch9wavefront6targetE1EEEvT1_
; %bb.0:
	.section	.rodata,"a",@progbits
	.p2align	6, 0x0
	.amdhsa_kernel _ZN7rocprim17ROCPRIM_400000_NS6detail17trampoline_kernelINS0_14default_configENS1_25partition_config_selectorILNS1_17partition_subalgoE1ExNS0_10empty_typeEbEEZZNS1_14partition_implILS5_1ELb0ES3_jN6thrust23THRUST_200600_302600_NS6detail15normal_iteratorINSA_10device_ptrIxEEEEPS6_NSA_18transform_iteratorI7is_evenIxESF_NSA_11use_defaultESK_EENS0_5tupleIJNSA_16discard_iteratorISK_EESO_EEENSM_IJSG_SG_EEES6_PlJS6_EEE10hipError_tPvRmT3_T4_T5_T6_T7_T9_mT8_P12ihipStream_tbDpT10_ENKUlT_T0_E_clISt17integral_constantIbLb0EES1A_IbLb1EEEEDaS16_S17_EUlS16_E_NS1_11comp_targetILNS1_3genE3ELNS1_11target_archE908ELNS1_3gpuE7ELNS1_3repE0EEENS1_30default_config_static_selectorELNS0_4arch9wavefront6targetE1EEEvT1_
		.amdhsa_group_segment_fixed_size 0
		.amdhsa_private_segment_fixed_size 0
		.amdhsa_kernarg_size 160
		.amdhsa_user_sgpr_count 2
		.amdhsa_user_sgpr_dispatch_ptr 0
		.amdhsa_user_sgpr_queue_ptr 0
		.amdhsa_user_sgpr_kernarg_segment_ptr 1
		.amdhsa_user_sgpr_dispatch_id 0
		.amdhsa_user_sgpr_kernarg_preload_length 0
		.amdhsa_user_sgpr_kernarg_preload_offset 0
		.amdhsa_user_sgpr_private_segment_size 0
		.amdhsa_uses_dynamic_stack 0
		.amdhsa_enable_private_segment 0
		.amdhsa_system_sgpr_workgroup_id_x 1
		.amdhsa_system_sgpr_workgroup_id_y 0
		.amdhsa_system_sgpr_workgroup_id_z 0
		.amdhsa_system_sgpr_workgroup_info 0
		.amdhsa_system_vgpr_workitem_id 0
		.amdhsa_next_free_vgpr 1
		.amdhsa_next_free_sgpr 0
		.amdhsa_accum_offset 4
		.amdhsa_reserve_vcc 0
		.amdhsa_float_round_mode_32 0
		.amdhsa_float_round_mode_16_64 0
		.amdhsa_float_denorm_mode_32 3
		.amdhsa_float_denorm_mode_16_64 3
		.amdhsa_dx10_clamp 1
		.amdhsa_ieee_mode 1
		.amdhsa_fp16_overflow 0
		.amdhsa_tg_split 0
		.amdhsa_exception_fp_ieee_invalid_op 0
		.amdhsa_exception_fp_denorm_src 0
		.amdhsa_exception_fp_ieee_div_zero 0
		.amdhsa_exception_fp_ieee_overflow 0
		.amdhsa_exception_fp_ieee_underflow 0
		.amdhsa_exception_fp_ieee_inexact 0
		.amdhsa_exception_int_div_zero 0
	.end_amdhsa_kernel
	.section	.text._ZN7rocprim17ROCPRIM_400000_NS6detail17trampoline_kernelINS0_14default_configENS1_25partition_config_selectorILNS1_17partition_subalgoE1ExNS0_10empty_typeEbEEZZNS1_14partition_implILS5_1ELb0ES3_jN6thrust23THRUST_200600_302600_NS6detail15normal_iteratorINSA_10device_ptrIxEEEEPS6_NSA_18transform_iteratorI7is_evenIxESF_NSA_11use_defaultESK_EENS0_5tupleIJNSA_16discard_iteratorISK_EESO_EEENSM_IJSG_SG_EEES6_PlJS6_EEE10hipError_tPvRmT3_T4_T5_T6_T7_T9_mT8_P12ihipStream_tbDpT10_ENKUlT_T0_E_clISt17integral_constantIbLb0EES1A_IbLb1EEEEDaS16_S17_EUlS16_E_NS1_11comp_targetILNS1_3genE3ELNS1_11target_archE908ELNS1_3gpuE7ELNS1_3repE0EEENS1_30default_config_static_selectorELNS0_4arch9wavefront6targetE1EEEvT1_,"axG",@progbits,_ZN7rocprim17ROCPRIM_400000_NS6detail17trampoline_kernelINS0_14default_configENS1_25partition_config_selectorILNS1_17partition_subalgoE1ExNS0_10empty_typeEbEEZZNS1_14partition_implILS5_1ELb0ES3_jN6thrust23THRUST_200600_302600_NS6detail15normal_iteratorINSA_10device_ptrIxEEEEPS6_NSA_18transform_iteratorI7is_evenIxESF_NSA_11use_defaultESK_EENS0_5tupleIJNSA_16discard_iteratorISK_EESO_EEENSM_IJSG_SG_EEES6_PlJS6_EEE10hipError_tPvRmT3_T4_T5_T6_T7_T9_mT8_P12ihipStream_tbDpT10_ENKUlT_T0_E_clISt17integral_constantIbLb0EES1A_IbLb1EEEEDaS16_S17_EUlS16_E_NS1_11comp_targetILNS1_3genE3ELNS1_11target_archE908ELNS1_3gpuE7ELNS1_3repE0EEENS1_30default_config_static_selectorELNS0_4arch9wavefront6targetE1EEEvT1_,comdat
.Lfunc_end3190:
	.size	_ZN7rocprim17ROCPRIM_400000_NS6detail17trampoline_kernelINS0_14default_configENS1_25partition_config_selectorILNS1_17partition_subalgoE1ExNS0_10empty_typeEbEEZZNS1_14partition_implILS5_1ELb0ES3_jN6thrust23THRUST_200600_302600_NS6detail15normal_iteratorINSA_10device_ptrIxEEEEPS6_NSA_18transform_iteratorI7is_evenIxESF_NSA_11use_defaultESK_EENS0_5tupleIJNSA_16discard_iteratorISK_EESO_EEENSM_IJSG_SG_EEES6_PlJS6_EEE10hipError_tPvRmT3_T4_T5_T6_T7_T9_mT8_P12ihipStream_tbDpT10_ENKUlT_T0_E_clISt17integral_constantIbLb0EES1A_IbLb1EEEEDaS16_S17_EUlS16_E_NS1_11comp_targetILNS1_3genE3ELNS1_11target_archE908ELNS1_3gpuE7ELNS1_3repE0EEENS1_30default_config_static_selectorELNS0_4arch9wavefront6targetE1EEEvT1_, .Lfunc_end3190-_ZN7rocprim17ROCPRIM_400000_NS6detail17trampoline_kernelINS0_14default_configENS1_25partition_config_selectorILNS1_17partition_subalgoE1ExNS0_10empty_typeEbEEZZNS1_14partition_implILS5_1ELb0ES3_jN6thrust23THRUST_200600_302600_NS6detail15normal_iteratorINSA_10device_ptrIxEEEEPS6_NSA_18transform_iteratorI7is_evenIxESF_NSA_11use_defaultESK_EENS0_5tupleIJNSA_16discard_iteratorISK_EESO_EEENSM_IJSG_SG_EEES6_PlJS6_EEE10hipError_tPvRmT3_T4_T5_T6_T7_T9_mT8_P12ihipStream_tbDpT10_ENKUlT_T0_E_clISt17integral_constantIbLb0EES1A_IbLb1EEEEDaS16_S17_EUlS16_E_NS1_11comp_targetILNS1_3genE3ELNS1_11target_archE908ELNS1_3gpuE7ELNS1_3repE0EEENS1_30default_config_static_selectorELNS0_4arch9wavefront6targetE1EEEvT1_
                                        ; -- End function
	.section	.AMDGPU.csdata,"",@progbits
; Kernel info:
; codeLenInByte = 0
; NumSgprs: 6
; NumVgprs: 0
; NumAgprs: 0
; TotalNumVgprs: 0
; ScratchSize: 0
; MemoryBound: 0
; FloatMode: 240
; IeeeMode: 1
; LDSByteSize: 0 bytes/workgroup (compile time only)
; SGPRBlocks: 0
; VGPRBlocks: 0
; NumSGPRsForWavesPerEU: 6
; NumVGPRsForWavesPerEU: 1
; AccumOffset: 4
; Occupancy: 8
; WaveLimiterHint : 0
; COMPUTE_PGM_RSRC2:SCRATCH_EN: 0
; COMPUTE_PGM_RSRC2:USER_SGPR: 2
; COMPUTE_PGM_RSRC2:TRAP_HANDLER: 0
; COMPUTE_PGM_RSRC2:TGID_X_EN: 1
; COMPUTE_PGM_RSRC2:TGID_Y_EN: 0
; COMPUTE_PGM_RSRC2:TGID_Z_EN: 0
; COMPUTE_PGM_RSRC2:TIDIG_COMP_CNT: 0
; COMPUTE_PGM_RSRC3_GFX90A:ACCUM_OFFSET: 0
; COMPUTE_PGM_RSRC3_GFX90A:TG_SPLIT: 0
	.section	.text._ZN7rocprim17ROCPRIM_400000_NS6detail17trampoline_kernelINS0_14default_configENS1_25partition_config_selectorILNS1_17partition_subalgoE1ExNS0_10empty_typeEbEEZZNS1_14partition_implILS5_1ELb0ES3_jN6thrust23THRUST_200600_302600_NS6detail15normal_iteratorINSA_10device_ptrIxEEEEPS6_NSA_18transform_iteratorI7is_evenIxESF_NSA_11use_defaultESK_EENS0_5tupleIJNSA_16discard_iteratorISK_EESO_EEENSM_IJSG_SG_EEES6_PlJS6_EEE10hipError_tPvRmT3_T4_T5_T6_T7_T9_mT8_P12ihipStream_tbDpT10_ENKUlT_T0_E_clISt17integral_constantIbLb0EES1A_IbLb1EEEEDaS16_S17_EUlS16_E_NS1_11comp_targetILNS1_3genE2ELNS1_11target_archE906ELNS1_3gpuE6ELNS1_3repE0EEENS1_30default_config_static_selectorELNS0_4arch9wavefront6targetE1EEEvT1_,"axG",@progbits,_ZN7rocprim17ROCPRIM_400000_NS6detail17trampoline_kernelINS0_14default_configENS1_25partition_config_selectorILNS1_17partition_subalgoE1ExNS0_10empty_typeEbEEZZNS1_14partition_implILS5_1ELb0ES3_jN6thrust23THRUST_200600_302600_NS6detail15normal_iteratorINSA_10device_ptrIxEEEEPS6_NSA_18transform_iteratorI7is_evenIxESF_NSA_11use_defaultESK_EENS0_5tupleIJNSA_16discard_iteratorISK_EESO_EEENSM_IJSG_SG_EEES6_PlJS6_EEE10hipError_tPvRmT3_T4_T5_T6_T7_T9_mT8_P12ihipStream_tbDpT10_ENKUlT_T0_E_clISt17integral_constantIbLb0EES1A_IbLb1EEEEDaS16_S17_EUlS16_E_NS1_11comp_targetILNS1_3genE2ELNS1_11target_archE906ELNS1_3gpuE6ELNS1_3repE0EEENS1_30default_config_static_selectorELNS0_4arch9wavefront6targetE1EEEvT1_,comdat
	.protected	_ZN7rocprim17ROCPRIM_400000_NS6detail17trampoline_kernelINS0_14default_configENS1_25partition_config_selectorILNS1_17partition_subalgoE1ExNS0_10empty_typeEbEEZZNS1_14partition_implILS5_1ELb0ES3_jN6thrust23THRUST_200600_302600_NS6detail15normal_iteratorINSA_10device_ptrIxEEEEPS6_NSA_18transform_iteratorI7is_evenIxESF_NSA_11use_defaultESK_EENS0_5tupleIJNSA_16discard_iteratorISK_EESO_EEENSM_IJSG_SG_EEES6_PlJS6_EEE10hipError_tPvRmT3_T4_T5_T6_T7_T9_mT8_P12ihipStream_tbDpT10_ENKUlT_T0_E_clISt17integral_constantIbLb0EES1A_IbLb1EEEEDaS16_S17_EUlS16_E_NS1_11comp_targetILNS1_3genE2ELNS1_11target_archE906ELNS1_3gpuE6ELNS1_3repE0EEENS1_30default_config_static_selectorELNS0_4arch9wavefront6targetE1EEEvT1_ ; -- Begin function _ZN7rocprim17ROCPRIM_400000_NS6detail17trampoline_kernelINS0_14default_configENS1_25partition_config_selectorILNS1_17partition_subalgoE1ExNS0_10empty_typeEbEEZZNS1_14partition_implILS5_1ELb0ES3_jN6thrust23THRUST_200600_302600_NS6detail15normal_iteratorINSA_10device_ptrIxEEEEPS6_NSA_18transform_iteratorI7is_evenIxESF_NSA_11use_defaultESK_EENS0_5tupleIJNSA_16discard_iteratorISK_EESO_EEENSM_IJSG_SG_EEES6_PlJS6_EEE10hipError_tPvRmT3_T4_T5_T6_T7_T9_mT8_P12ihipStream_tbDpT10_ENKUlT_T0_E_clISt17integral_constantIbLb0EES1A_IbLb1EEEEDaS16_S17_EUlS16_E_NS1_11comp_targetILNS1_3genE2ELNS1_11target_archE906ELNS1_3gpuE6ELNS1_3repE0EEENS1_30default_config_static_selectorELNS0_4arch9wavefront6targetE1EEEvT1_
	.globl	_ZN7rocprim17ROCPRIM_400000_NS6detail17trampoline_kernelINS0_14default_configENS1_25partition_config_selectorILNS1_17partition_subalgoE1ExNS0_10empty_typeEbEEZZNS1_14partition_implILS5_1ELb0ES3_jN6thrust23THRUST_200600_302600_NS6detail15normal_iteratorINSA_10device_ptrIxEEEEPS6_NSA_18transform_iteratorI7is_evenIxESF_NSA_11use_defaultESK_EENS0_5tupleIJNSA_16discard_iteratorISK_EESO_EEENSM_IJSG_SG_EEES6_PlJS6_EEE10hipError_tPvRmT3_T4_T5_T6_T7_T9_mT8_P12ihipStream_tbDpT10_ENKUlT_T0_E_clISt17integral_constantIbLb0EES1A_IbLb1EEEEDaS16_S17_EUlS16_E_NS1_11comp_targetILNS1_3genE2ELNS1_11target_archE906ELNS1_3gpuE6ELNS1_3repE0EEENS1_30default_config_static_selectorELNS0_4arch9wavefront6targetE1EEEvT1_
	.p2align	8
	.type	_ZN7rocprim17ROCPRIM_400000_NS6detail17trampoline_kernelINS0_14default_configENS1_25partition_config_selectorILNS1_17partition_subalgoE1ExNS0_10empty_typeEbEEZZNS1_14partition_implILS5_1ELb0ES3_jN6thrust23THRUST_200600_302600_NS6detail15normal_iteratorINSA_10device_ptrIxEEEEPS6_NSA_18transform_iteratorI7is_evenIxESF_NSA_11use_defaultESK_EENS0_5tupleIJNSA_16discard_iteratorISK_EESO_EEENSM_IJSG_SG_EEES6_PlJS6_EEE10hipError_tPvRmT3_T4_T5_T6_T7_T9_mT8_P12ihipStream_tbDpT10_ENKUlT_T0_E_clISt17integral_constantIbLb0EES1A_IbLb1EEEEDaS16_S17_EUlS16_E_NS1_11comp_targetILNS1_3genE2ELNS1_11target_archE906ELNS1_3gpuE6ELNS1_3repE0EEENS1_30default_config_static_selectorELNS0_4arch9wavefront6targetE1EEEvT1_,@function
_ZN7rocprim17ROCPRIM_400000_NS6detail17trampoline_kernelINS0_14default_configENS1_25partition_config_selectorILNS1_17partition_subalgoE1ExNS0_10empty_typeEbEEZZNS1_14partition_implILS5_1ELb0ES3_jN6thrust23THRUST_200600_302600_NS6detail15normal_iteratorINSA_10device_ptrIxEEEEPS6_NSA_18transform_iteratorI7is_evenIxESF_NSA_11use_defaultESK_EENS0_5tupleIJNSA_16discard_iteratorISK_EESO_EEENSM_IJSG_SG_EEES6_PlJS6_EEE10hipError_tPvRmT3_T4_T5_T6_T7_T9_mT8_P12ihipStream_tbDpT10_ENKUlT_T0_E_clISt17integral_constantIbLb0EES1A_IbLb1EEEEDaS16_S17_EUlS16_E_NS1_11comp_targetILNS1_3genE2ELNS1_11target_archE906ELNS1_3gpuE6ELNS1_3repE0EEENS1_30default_config_static_selectorELNS0_4arch9wavefront6targetE1EEEvT1_: ; @_ZN7rocprim17ROCPRIM_400000_NS6detail17trampoline_kernelINS0_14default_configENS1_25partition_config_selectorILNS1_17partition_subalgoE1ExNS0_10empty_typeEbEEZZNS1_14partition_implILS5_1ELb0ES3_jN6thrust23THRUST_200600_302600_NS6detail15normal_iteratorINSA_10device_ptrIxEEEEPS6_NSA_18transform_iteratorI7is_evenIxESF_NSA_11use_defaultESK_EENS0_5tupleIJNSA_16discard_iteratorISK_EESO_EEENSM_IJSG_SG_EEES6_PlJS6_EEE10hipError_tPvRmT3_T4_T5_T6_T7_T9_mT8_P12ihipStream_tbDpT10_ENKUlT_T0_E_clISt17integral_constantIbLb0EES1A_IbLb1EEEEDaS16_S17_EUlS16_E_NS1_11comp_targetILNS1_3genE2ELNS1_11target_archE906ELNS1_3gpuE6ELNS1_3repE0EEENS1_30default_config_static_selectorELNS0_4arch9wavefront6targetE1EEEvT1_
; %bb.0:
	.section	.rodata,"a",@progbits
	.p2align	6, 0x0
	.amdhsa_kernel _ZN7rocprim17ROCPRIM_400000_NS6detail17trampoline_kernelINS0_14default_configENS1_25partition_config_selectorILNS1_17partition_subalgoE1ExNS0_10empty_typeEbEEZZNS1_14partition_implILS5_1ELb0ES3_jN6thrust23THRUST_200600_302600_NS6detail15normal_iteratorINSA_10device_ptrIxEEEEPS6_NSA_18transform_iteratorI7is_evenIxESF_NSA_11use_defaultESK_EENS0_5tupleIJNSA_16discard_iteratorISK_EESO_EEENSM_IJSG_SG_EEES6_PlJS6_EEE10hipError_tPvRmT3_T4_T5_T6_T7_T9_mT8_P12ihipStream_tbDpT10_ENKUlT_T0_E_clISt17integral_constantIbLb0EES1A_IbLb1EEEEDaS16_S17_EUlS16_E_NS1_11comp_targetILNS1_3genE2ELNS1_11target_archE906ELNS1_3gpuE6ELNS1_3repE0EEENS1_30default_config_static_selectorELNS0_4arch9wavefront6targetE1EEEvT1_
		.amdhsa_group_segment_fixed_size 0
		.amdhsa_private_segment_fixed_size 0
		.amdhsa_kernarg_size 160
		.amdhsa_user_sgpr_count 2
		.amdhsa_user_sgpr_dispatch_ptr 0
		.amdhsa_user_sgpr_queue_ptr 0
		.amdhsa_user_sgpr_kernarg_segment_ptr 1
		.amdhsa_user_sgpr_dispatch_id 0
		.amdhsa_user_sgpr_kernarg_preload_length 0
		.amdhsa_user_sgpr_kernarg_preload_offset 0
		.amdhsa_user_sgpr_private_segment_size 0
		.amdhsa_uses_dynamic_stack 0
		.amdhsa_enable_private_segment 0
		.amdhsa_system_sgpr_workgroup_id_x 1
		.amdhsa_system_sgpr_workgroup_id_y 0
		.amdhsa_system_sgpr_workgroup_id_z 0
		.amdhsa_system_sgpr_workgroup_info 0
		.amdhsa_system_vgpr_workitem_id 0
		.amdhsa_next_free_vgpr 1
		.amdhsa_next_free_sgpr 0
		.amdhsa_accum_offset 4
		.amdhsa_reserve_vcc 0
		.amdhsa_float_round_mode_32 0
		.amdhsa_float_round_mode_16_64 0
		.amdhsa_float_denorm_mode_32 3
		.amdhsa_float_denorm_mode_16_64 3
		.amdhsa_dx10_clamp 1
		.amdhsa_ieee_mode 1
		.amdhsa_fp16_overflow 0
		.amdhsa_tg_split 0
		.amdhsa_exception_fp_ieee_invalid_op 0
		.amdhsa_exception_fp_denorm_src 0
		.amdhsa_exception_fp_ieee_div_zero 0
		.amdhsa_exception_fp_ieee_overflow 0
		.amdhsa_exception_fp_ieee_underflow 0
		.amdhsa_exception_fp_ieee_inexact 0
		.amdhsa_exception_int_div_zero 0
	.end_amdhsa_kernel
	.section	.text._ZN7rocprim17ROCPRIM_400000_NS6detail17trampoline_kernelINS0_14default_configENS1_25partition_config_selectorILNS1_17partition_subalgoE1ExNS0_10empty_typeEbEEZZNS1_14partition_implILS5_1ELb0ES3_jN6thrust23THRUST_200600_302600_NS6detail15normal_iteratorINSA_10device_ptrIxEEEEPS6_NSA_18transform_iteratorI7is_evenIxESF_NSA_11use_defaultESK_EENS0_5tupleIJNSA_16discard_iteratorISK_EESO_EEENSM_IJSG_SG_EEES6_PlJS6_EEE10hipError_tPvRmT3_T4_T5_T6_T7_T9_mT8_P12ihipStream_tbDpT10_ENKUlT_T0_E_clISt17integral_constantIbLb0EES1A_IbLb1EEEEDaS16_S17_EUlS16_E_NS1_11comp_targetILNS1_3genE2ELNS1_11target_archE906ELNS1_3gpuE6ELNS1_3repE0EEENS1_30default_config_static_selectorELNS0_4arch9wavefront6targetE1EEEvT1_,"axG",@progbits,_ZN7rocprim17ROCPRIM_400000_NS6detail17trampoline_kernelINS0_14default_configENS1_25partition_config_selectorILNS1_17partition_subalgoE1ExNS0_10empty_typeEbEEZZNS1_14partition_implILS5_1ELb0ES3_jN6thrust23THRUST_200600_302600_NS6detail15normal_iteratorINSA_10device_ptrIxEEEEPS6_NSA_18transform_iteratorI7is_evenIxESF_NSA_11use_defaultESK_EENS0_5tupleIJNSA_16discard_iteratorISK_EESO_EEENSM_IJSG_SG_EEES6_PlJS6_EEE10hipError_tPvRmT3_T4_T5_T6_T7_T9_mT8_P12ihipStream_tbDpT10_ENKUlT_T0_E_clISt17integral_constantIbLb0EES1A_IbLb1EEEEDaS16_S17_EUlS16_E_NS1_11comp_targetILNS1_3genE2ELNS1_11target_archE906ELNS1_3gpuE6ELNS1_3repE0EEENS1_30default_config_static_selectorELNS0_4arch9wavefront6targetE1EEEvT1_,comdat
.Lfunc_end3191:
	.size	_ZN7rocprim17ROCPRIM_400000_NS6detail17trampoline_kernelINS0_14default_configENS1_25partition_config_selectorILNS1_17partition_subalgoE1ExNS0_10empty_typeEbEEZZNS1_14partition_implILS5_1ELb0ES3_jN6thrust23THRUST_200600_302600_NS6detail15normal_iteratorINSA_10device_ptrIxEEEEPS6_NSA_18transform_iteratorI7is_evenIxESF_NSA_11use_defaultESK_EENS0_5tupleIJNSA_16discard_iteratorISK_EESO_EEENSM_IJSG_SG_EEES6_PlJS6_EEE10hipError_tPvRmT3_T4_T5_T6_T7_T9_mT8_P12ihipStream_tbDpT10_ENKUlT_T0_E_clISt17integral_constantIbLb0EES1A_IbLb1EEEEDaS16_S17_EUlS16_E_NS1_11comp_targetILNS1_3genE2ELNS1_11target_archE906ELNS1_3gpuE6ELNS1_3repE0EEENS1_30default_config_static_selectorELNS0_4arch9wavefront6targetE1EEEvT1_, .Lfunc_end3191-_ZN7rocprim17ROCPRIM_400000_NS6detail17trampoline_kernelINS0_14default_configENS1_25partition_config_selectorILNS1_17partition_subalgoE1ExNS0_10empty_typeEbEEZZNS1_14partition_implILS5_1ELb0ES3_jN6thrust23THRUST_200600_302600_NS6detail15normal_iteratorINSA_10device_ptrIxEEEEPS6_NSA_18transform_iteratorI7is_evenIxESF_NSA_11use_defaultESK_EENS0_5tupleIJNSA_16discard_iteratorISK_EESO_EEENSM_IJSG_SG_EEES6_PlJS6_EEE10hipError_tPvRmT3_T4_T5_T6_T7_T9_mT8_P12ihipStream_tbDpT10_ENKUlT_T0_E_clISt17integral_constantIbLb0EES1A_IbLb1EEEEDaS16_S17_EUlS16_E_NS1_11comp_targetILNS1_3genE2ELNS1_11target_archE906ELNS1_3gpuE6ELNS1_3repE0EEENS1_30default_config_static_selectorELNS0_4arch9wavefront6targetE1EEEvT1_
                                        ; -- End function
	.section	.AMDGPU.csdata,"",@progbits
; Kernel info:
; codeLenInByte = 0
; NumSgprs: 6
; NumVgprs: 0
; NumAgprs: 0
; TotalNumVgprs: 0
; ScratchSize: 0
; MemoryBound: 0
; FloatMode: 240
; IeeeMode: 1
; LDSByteSize: 0 bytes/workgroup (compile time only)
; SGPRBlocks: 0
; VGPRBlocks: 0
; NumSGPRsForWavesPerEU: 6
; NumVGPRsForWavesPerEU: 1
; AccumOffset: 4
; Occupancy: 8
; WaveLimiterHint : 0
; COMPUTE_PGM_RSRC2:SCRATCH_EN: 0
; COMPUTE_PGM_RSRC2:USER_SGPR: 2
; COMPUTE_PGM_RSRC2:TRAP_HANDLER: 0
; COMPUTE_PGM_RSRC2:TGID_X_EN: 1
; COMPUTE_PGM_RSRC2:TGID_Y_EN: 0
; COMPUTE_PGM_RSRC2:TGID_Z_EN: 0
; COMPUTE_PGM_RSRC2:TIDIG_COMP_CNT: 0
; COMPUTE_PGM_RSRC3_GFX90A:ACCUM_OFFSET: 0
; COMPUTE_PGM_RSRC3_GFX90A:TG_SPLIT: 0
	.section	.text._ZN7rocprim17ROCPRIM_400000_NS6detail17trampoline_kernelINS0_14default_configENS1_25partition_config_selectorILNS1_17partition_subalgoE1ExNS0_10empty_typeEbEEZZNS1_14partition_implILS5_1ELb0ES3_jN6thrust23THRUST_200600_302600_NS6detail15normal_iteratorINSA_10device_ptrIxEEEEPS6_NSA_18transform_iteratorI7is_evenIxESF_NSA_11use_defaultESK_EENS0_5tupleIJNSA_16discard_iteratorISK_EESO_EEENSM_IJSG_SG_EEES6_PlJS6_EEE10hipError_tPvRmT3_T4_T5_T6_T7_T9_mT8_P12ihipStream_tbDpT10_ENKUlT_T0_E_clISt17integral_constantIbLb0EES1A_IbLb1EEEEDaS16_S17_EUlS16_E_NS1_11comp_targetILNS1_3genE10ELNS1_11target_archE1200ELNS1_3gpuE4ELNS1_3repE0EEENS1_30default_config_static_selectorELNS0_4arch9wavefront6targetE1EEEvT1_,"axG",@progbits,_ZN7rocprim17ROCPRIM_400000_NS6detail17trampoline_kernelINS0_14default_configENS1_25partition_config_selectorILNS1_17partition_subalgoE1ExNS0_10empty_typeEbEEZZNS1_14partition_implILS5_1ELb0ES3_jN6thrust23THRUST_200600_302600_NS6detail15normal_iteratorINSA_10device_ptrIxEEEEPS6_NSA_18transform_iteratorI7is_evenIxESF_NSA_11use_defaultESK_EENS0_5tupleIJNSA_16discard_iteratorISK_EESO_EEENSM_IJSG_SG_EEES6_PlJS6_EEE10hipError_tPvRmT3_T4_T5_T6_T7_T9_mT8_P12ihipStream_tbDpT10_ENKUlT_T0_E_clISt17integral_constantIbLb0EES1A_IbLb1EEEEDaS16_S17_EUlS16_E_NS1_11comp_targetILNS1_3genE10ELNS1_11target_archE1200ELNS1_3gpuE4ELNS1_3repE0EEENS1_30default_config_static_selectorELNS0_4arch9wavefront6targetE1EEEvT1_,comdat
	.protected	_ZN7rocprim17ROCPRIM_400000_NS6detail17trampoline_kernelINS0_14default_configENS1_25partition_config_selectorILNS1_17partition_subalgoE1ExNS0_10empty_typeEbEEZZNS1_14partition_implILS5_1ELb0ES3_jN6thrust23THRUST_200600_302600_NS6detail15normal_iteratorINSA_10device_ptrIxEEEEPS6_NSA_18transform_iteratorI7is_evenIxESF_NSA_11use_defaultESK_EENS0_5tupleIJNSA_16discard_iteratorISK_EESO_EEENSM_IJSG_SG_EEES6_PlJS6_EEE10hipError_tPvRmT3_T4_T5_T6_T7_T9_mT8_P12ihipStream_tbDpT10_ENKUlT_T0_E_clISt17integral_constantIbLb0EES1A_IbLb1EEEEDaS16_S17_EUlS16_E_NS1_11comp_targetILNS1_3genE10ELNS1_11target_archE1200ELNS1_3gpuE4ELNS1_3repE0EEENS1_30default_config_static_selectorELNS0_4arch9wavefront6targetE1EEEvT1_ ; -- Begin function _ZN7rocprim17ROCPRIM_400000_NS6detail17trampoline_kernelINS0_14default_configENS1_25partition_config_selectorILNS1_17partition_subalgoE1ExNS0_10empty_typeEbEEZZNS1_14partition_implILS5_1ELb0ES3_jN6thrust23THRUST_200600_302600_NS6detail15normal_iteratorINSA_10device_ptrIxEEEEPS6_NSA_18transform_iteratorI7is_evenIxESF_NSA_11use_defaultESK_EENS0_5tupleIJNSA_16discard_iteratorISK_EESO_EEENSM_IJSG_SG_EEES6_PlJS6_EEE10hipError_tPvRmT3_T4_T5_T6_T7_T9_mT8_P12ihipStream_tbDpT10_ENKUlT_T0_E_clISt17integral_constantIbLb0EES1A_IbLb1EEEEDaS16_S17_EUlS16_E_NS1_11comp_targetILNS1_3genE10ELNS1_11target_archE1200ELNS1_3gpuE4ELNS1_3repE0EEENS1_30default_config_static_selectorELNS0_4arch9wavefront6targetE1EEEvT1_
	.globl	_ZN7rocprim17ROCPRIM_400000_NS6detail17trampoline_kernelINS0_14default_configENS1_25partition_config_selectorILNS1_17partition_subalgoE1ExNS0_10empty_typeEbEEZZNS1_14partition_implILS5_1ELb0ES3_jN6thrust23THRUST_200600_302600_NS6detail15normal_iteratorINSA_10device_ptrIxEEEEPS6_NSA_18transform_iteratorI7is_evenIxESF_NSA_11use_defaultESK_EENS0_5tupleIJNSA_16discard_iteratorISK_EESO_EEENSM_IJSG_SG_EEES6_PlJS6_EEE10hipError_tPvRmT3_T4_T5_T6_T7_T9_mT8_P12ihipStream_tbDpT10_ENKUlT_T0_E_clISt17integral_constantIbLb0EES1A_IbLb1EEEEDaS16_S17_EUlS16_E_NS1_11comp_targetILNS1_3genE10ELNS1_11target_archE1200ELNS1_3gpuE4ELNS1_3repE0EEENS1_30default_config_static_selectorELNS0_4arch9wavefront6targetE1EEEvT1_
	.p2align	8
	.type	_ZN7rocprim17ROCPRIM_400000_NS6detail17trampoline_kernelINS0_14default_configENS1_25partition_config_selectorILNS1_17partition_subalgoE1ExNS0_10empty_typeEbEEZZNS1_14partition_implILS5_1ELb0ES3_jN6thrust23THRUST_200600_302600_NS6detail15normal_iteratorINSA_10device_ptrIxEEEEPS6_NSA_18transform_iteratorI7is_evenIxESF_NSA_11use_defaultESK_EENS0_5tupleIJNSA_16discard_iteratorISK_EESO_EEENSM_IJSG_SG_EEES6_PlJS6_EEE10hipError_tPvRmT3_T4_T5_T6_T7_T9_mT8_P12ihipStream_tbDpT10_ENKUlT_T0_E_clISt17integral_constantIbLb0EES1A_IbLb1EEEEDaS16_S17_EUlS16_E_NS1_11comp_targetILNS1_3genE10ELNS1_11target_archE1200ELNS1_3gpuE4ELNS1_3repE0EEENS1_30default_config_static_selectorELNS0_4arch9wavefront6targetE1EEEvT1_,@function
_ZN7rocprim17ROCPRIM_400000_NS6detail17trampoline_kernelINS0_14default_configENS1_25partition_config_selectorILNS1_17partition_subalgoE1ExNS0_10empty_typeEbEEZZNS1_14partition_implILS5_1ELb0ES3_jN6thrust23THRUST_200600_302600_NS6detail15normal_iteratorINSA_10device_ptrIxEEEEPS6_NSA_18transform_iteratorI7is_evenIxESF_NSA_11use_defaultESK_EENS0_5tupleIJNSA_16discard_iteratorISK_EESO_EEENSM_IJSG_SG_EEES6_PlJS6_EEE10hipError_tPvRmT3_T4_T5_T6_T7_T9_mT8_P12ihipStream_tbDpT10_ENKUlT_T0_E_clISt17integral_constantIbLb0EES1A_IbLb1EEEEDaS16_S17_EUlS16_E_NS1_11comp_targetILNS1_3genE10ELNS1_11target_archE1200ELNS1_3gpuE4ELNS1_3repE0EEENS1_30default_config_static_selectorELNS0_4arch9wavefront6targetE1EEEvT1_: ; @_ZN7rocprim17ROCPRIM_400000_NS6detail17trampoline_kernelINS0_14default_configENS1_25partition_config_selectorILNS1_17partition_subalgoE1ExNS0_10empty_typeEbEEZZNS1_14partition_implILS5_1ELb0ES3_jN6thrust23THRUST_200600_302600_NS6detail15normal_iteratorINSA_10device_ptrIxEEEEPS6_NSA_18transform_iteratorI7is_evenIxESF_NSA_11use_defaultESK_EENS0_5tupleIJNSA_16discard_iteratorISK_EESO_EEENSM_IJSG_SG_EEES6_PlJS6_EEE10hipError_tPvRmT3_T4_T5_T6_T7_T9_mT8_P12ihipStream_tbDpT10_ENKUlT_T0_E_clISt17integral_constantIbLb0EES1A_IbLb1EEEEDaS16_S17_EUlS16_E_NS1_11comp_targetILNS1_3genE10ELNS1_11target_archE1200ELNS1_3gpuE4ELNS1_3repE0EEENS1_30default_config_static_selectorELNS0_4arch9wavefront6targetE1EEEvT1_
; %bb.0:
	.section	.rodata,"a",@progbits
	.p2align	6, 0x0
	.amdhsa_kernel _ZN7rocprim17ROCPRIM_400000_NS6detail17trampoline_kernelINS0_14default_configENS1_25partition_config_selectorILNS1_17partition_subalgoE1ExNS0_10empty_typeEbEEZZNS1_14partition_implILS5_1ELb0ES3_jN6thrust23THRUST_200600_302600_NS6detail15normal_iteratorINSA_10device_ptrIxEEEEPS6_NSA_18transform_iteratorI7is_evenIxESF_NSA_11use_defaultESK_EENS0_5tupleIJNSA_16discard_iteratorISK_EESO_EEENSM_IJSG_SG_EEES6_PlJS6_EEE10hipError_tPvRmT3_T4_T5_T6_T7_T9_mT8_P12ihipStream_tbDpT10_ENKUlT_T0_E_clISt17integral_constantIbLb0EES1A_IbLb1EEEEDaS16_S17_EUlS16_E_NS1_11comp_targetILNS1_3genE10ELNS1_11target_archE1200ELNS1_3gpuE4ELNS1_3repE0EEENS1_30default_config_static_selectorELNS0_4arch9wavefront6targetE1EEEvT1_
		.amdhsa_group_segment_fixed_size 0
		.amdhsa_private_segment_fixed_size 0
		.amdhsa_kernarg_size 160
		.amdhsa_user_sgpr_count 2
		.amdhsa_user_sgpr_dispatch_ptr 0
		.amdhsa_user_sgpr_queue_ptr 0
		.amdhsa_user_sgpr_kernarg_segment_ptr 1
		.amdhsa_user_sgpr_dispatch_id 0
		.amdhsa_user_sgpr_kernarg_preload_length 0
		.amdhsa_user_sgpr_kernarg_preload_offset 0
		.amdhsa_user_sgpr_private_segment_size 0
		.amdhsa_uses_dynamic_stack 0
		.amdhsa_enable_private_segment 0
		.amdhsa_system_sgpr_workgroup_id_x 1
		.amdhsa_system_sgpr_workgroup_id_y 0
		.amdhsa_system_sgpr_workgroup_id_z 0
		.amdhsa_system_sgpr_workgroup_info 0
		.amdhsa_system_vgpr_workitem_id 0
		.amdhsa_next_free_vgpr 1
		.amdhsa_next_free_sgpr 0
		.amdhsa_accum_offset 4
		.amdhsa_reserve_vcc 0
		.amdhsa_float_round_mode_32 0
		.amdhsa_float_round_mode_16_64 0
		.amdhsa_float_denorm_mode_32 3
		.amdhsa_float_denorm_mode_16_64 3
		.amdhsa_dx10_clamp 1
		.amdhsa_ieee_mode 1
		.amdhsa_fp16_overflow 0
		.amdhsa_tg_split 0
		.amdhsa_exception_fp_ieee_invalid_op 0
		.amdhsa_exception_fp_denorm_src 0
		.amdhsa_exception_fp_ieee_div_zero 0
		.amdhsa_exception_fp_ieee_overflow 0
		.amdhsa_exception_fp_ieee_underflow 0
		.amdhsa_exception_fp_ieee_inexact 0
		.amdhsa_exception_int_div_zero 0
	.end_amdhsa_kernel
	.section	.text._ZN7rocprim17ROCPRIM_400000_NS6detail17trampoline_kernelINS0_14default_configENS1_25partition_config_selectorILNS1_17partition_subalgoE1ExNS0_10empty_typeEbEEZZNS1_14partition_implILS5_1ELb0ES3_jN6thrust23THRUST_200600_302600_NS6detail15normal_iteratorINSA_10device_ptrIxEEEEPS6_NSA_18transform_iteratorI7is_evenIxESF_NSA_11use_defaultESK_EENS0_5tupleIJNSA_16discard_iteratorISK_EESO_EEENSM_IJSG_SG_EEES6_PlJS6_EEE10hipError_tPvRmT3_T4_T5_T6_T7_T9_mT8_P12ihipStream_tbDpT10_ENKUlT_T0_E_clISt17integral_constantIbLb0EES1A_IbLb1EEEEDaS16_S17_EUlS16_E_NS1_11comp_targetILNS1_3genE10ELNS1_11target_archE1200ELNS1_3gpuE4ELNS1_3repE0EEENS1_30default_config_static_selectorELNS0_4arch9wavefront6targetE1EEEvT1_,"axG",@progbits,_ZN7rocprim17ROCPRIM_400000_NS6detail17trampoline_kernelINS0_14default_configENS1_25partition_config_selectorILNS1_17partition_subalgoE1ExNS0_10empty_typeEbEEZZNS1_14partition_implILS5_1ELb0ES3_jN6thrust23THRUST_200600_302600_NS6detail15normal_iteratorINSA_10device_ptrIxEEEEPS6_NSA_18transform_iteratorI7is_evenIxESF_NSA_11use_defaultESK_EENS0_5tupleIJNSA_16discard_iteratorISK_EESO_EEENSM_IJSG_SG_EEES6_PlJS6_EEE10hipError_tPvRmT3_T4_T5_T6_T7_T9_mT8_P12ihipStream_tbDpT10_ENKUlT_T0_E_clISt17integral_constantIbLb0EES1A_IbLb1EEEEDaS16_S17_EUlS16_E_NS1_11comp_targetILNS1_3genE10ELNS1_11target_archE1200ELNS1_3gpuE4ELNS1_3repE0EEENS1_30default_config_static_selectorELNS0_4arch9wavefront6targetE1EEEvT1_,comdat
.Lfunc_end3192:
	.size	_ZN7rocprim17ROCPRIM_400000_NS6detail17trampoline_kernelINS0_14default_configENS1_25partition_config_selectorILNS1_17partition_subalgoE1ExNS0_10empty_typeEbEEZZNS1_14partition_implILS5_1ELb0ES3_jN6thrust23THRUST_200600_302600_NS6detail15normal_iteratorINSA_10device_ptrIxEEEEPS6_NSA_18transform_iteratorI7is_evenIxESF_NSA_11use_defaultESK_EENS0_5tupleIJNSA_16discard_iteratorISK_EESO_EEENSM_IJSG_SG_EEES6_PlJS6_EEE10hipError_tPvRmT3_T4_T5_T6_T7_T9_mT8_P12ihipStream_tbDpT10_ENKUlT_T0_E_clISt17integral_constantIbLb0EES1A_IbLb1EEEEDaS16_S17_EUlS16_E_NS1_11comp_targetILNS1_3genE10ELNS1_11target_archE1200ELNS1_3gpuE4ELNS1_3repE0EEENS1_30default_config_static_selectorELNS0_4arch9wavefront6targetE1EEEvT1_, .Lfunc_end3192-_ZN7rocprim17ROCPRIM_400000_NS6detail17trampoline_kernelINS0_14default_configENS1_25partition_config_selectorILNS1_17partition_subalgoE1ExNS0_10empty_typeEbEEZZNS1_14partition_implILS5_1ELb0ES3_jN6thrust23THRUST_200600_302600_NS6detail15normal_iteratorINSA_10device_ptrIxEEEEPS6_NSA_18transform_iteratorI7is_evenIxESF_NSA_11use_defaultESK_EENS0_5tupleIJNSA_16discard_iteratorISK_EESO_EEENSM_IJSG_SG_EEES6_PlJS6_EEE10hipError_tPvRmT3_T4_T5_T6_T7_T9_mT8_P12ihipStream_tbDpT10_ENKUlT_T0_E_clISt17integral_constantIbLb0EES1A_IbLb1EEEEDaS16_S17_EUlS16_E_NS1_11comp_targetILNS1_3genE10ELNS1_11target_archE1200ELNS1_3gpuE4ELNS1_3repE0EEENS1_30default_config_static_selectorELNS0_4arch9wavefront6targetE1EEEvT1_
                                        ; -- End function
	.section	.AMDGPU.csdata,"",@progbits
; Kernel info:
; codeLenInByte = 0
; NumSgprs: 6
; NumVgprs: 0
; NumAgprs: 0
; TotalNumVgprs: 0
; ScratchSize: 0
; MemoryBound: 0
; FloatMode: 240
; IeeeMode: 1
; LDSByteSize: 0 bytes/workgroup (compile time only)
; SGPRBlocks: 0
; VGPRBlocks: 0
; NumSGPRsForWavesPerEU: 6
; NumVGPRsForWavesPerEU: 1
; AccumOffset: 4
; Occupancy: 8
; WaveLimiterHint : 0
; COMPUTE_PGM_RSRC2:SCRATCH_EN: 0
; COMPUTE_PGM_RSRC2:USER_SGPR: 2
; COMPUTE_PGM_RSRC2:TRAP_HANDLER: 0
; COMPUTE_PGM_RSRC2:TGID_X_EN: 1
; COMPUTE_PGM_RSRC2:TGID_Y_EN: 0
; COMPUTE_PGM_RSRC2:TGID_Z_EN: 0
; COMPUTE_PGM_RSRC2:TIDIG_COMP_CNT: 0
; COMPUTE_PGM_RSRC3_GFX90A:ACCUM_OFFSET: 0
; COMPUTE_PGM_RSRC3_GFX90A:TG_SPLIT: 0
	.section	.text._ZN7rocprim17ROCPRIM_400000_NS6detail17trampoline_kernelINS0_14default_configENS1_25partition_config_selectorILNS1_17partition_subalgoE1ExNS0_10empty_typeEbEEZZNS1_14partition_implILS5_1ELb0ES3_jN6thrust23THRUST_200600_302600_NS6detail15normal_iteratorINSA_10device_ptrIxEEEEPS6_NSA_18transform_iteratorI7is_evenIxESF_NSA_11use_defaultESK_EENS0_5tupleIJNSA_16discard_iteratorISK_EESO_EEENSM_IJSG_SG_EEES6_PlJS6_EEE10hipError_tPvRmT3_T4_T5_T6_T7_T9_mT8_P12ihipStream_tbDpT10_ENKUlT_T0_E_clISt17integral_constantIbLb0EES1A_IbLb1EEEEDaS16_S17_EUlS16_E_NS1_11comp_targetILNS1_3genE9ELNS1_11target_archE1100ELNS1_3gpuE3ELNS1_3repE0EEENS1_30default_config_static_selectorELNS0_4arch9wavefront6targetE1EEEvT1_,"axG",@progbits,_ZN7rocprim17ROCPRIM_400000_NS6detail17trampoline_kernelINS0_14default_configENS1_25partition_config_selectorILNS1_17partition_subalgoE1ExNS0_10empty_typeEbEEZZNS1_14partition_implILS5_1ELb0ES3_jN6thrust23THRUST_200600_302600_NS6detail15normal_iteratorINSA_10device_ptrIxEEEEPS6_NSA_18transform_iteratorI7is_evenIxESF_NSA_11use_defaultESK_EENS0_5tupleIJNSA_16discard_iteratorISK_EESO_EEENSM_IJSG_SG_EEES6_PlJS6_EEE10hipError_tPvRmT3_T4_T5_T6_T7_T9_mT8_P12ihipStream_tbDpT10_ENKUlT_T0_E_clISt17integral_constantIbLb0EES1A_IbLb1EEEEDaS16_S17_EUlS16_E_NS1_11comp_targetILNS1_3genE9ELNS1_11target_archE1100ELNS1_3gpuE3ELNS1_3repE0EEENS1_30default_config_static_selectorELNS0_4arch9wavefront6targetE1EEEvT1_,comdat
	.protected	_ZN7rocprim17ROCPRIM_400000_NS6detail17trampoline_kernelINS0_14default_configENS1_25partition_config_selectorILNS1_17partition_subalgoE1ExNS0_10empty_typeEbEEZZNS1_14partition_implILS5_1ELb0ES3_jN6thrust23THRUST_200600_302600_NS6detail15normal_iteratorINSA_10device_ptrIxEEEEPS6_NSA_18transform_iteratorI7is_evenIxESF_NSA_11use_defaultESK_EENS0_5tupleIJNSA_16discard_iteratorISK_EESO_EEENSM_IJSG_SG_EEES6_PlJS6_EEE10hipError_tPvRmT3_T4_T5_T6_T7_T9_mT8_P12ihipStream_tbDpT10_ENKUlT_T0_E_clISt17integral_constantIbLb0EES1A_IbLb1EEEEDaS16_S17_EUlS16_E_NS1_11comp_targetILNS1_3genE9ELNS1_11target_archE1100ELNS1_3gpuE3ELNS1_3repE0EEENS1_30default_config_static_selectorELNS0_4arch9wavefront6targetE1EEEvT1_ ; -- Begin function _ZN7rocprim17ROCPRIM_400000_NS6detail17trampoline_kernelINS0_14default_configENS1_25partition_config_selectorILNS1_17partition_subalgoE1ExNS0_10empty_typeEbEEZZNS1_14partition_implILS5_1ELb0ES3_jN6thrust23THRUST_200600_302600_NS6detail15normal_iteratorINSA_10device_ptrIxEEEEPS6_NSA_18transform_iteratorI7is_evenIxESF_NSA_11use_defaultESK_EENS0_5tupleIJNSA_16discard_iteratorISK_EESO_EEENSM_IJSG_SG_EEES6_PlJS6_EEE10hipError_tPvRmT3_T4_T5_T6_T7_T9_mT8_P12ihipStream_tbDpT10_ENKUlT_T0_E_clISt17integral_constantIbLb0EES1A_IbLb1EEEEDaS16_S17_EUlS16_E_NS1_11comp_targetILNS1_3genE9ELNS1_11target_archE1100ELNS1_3gpuE3ELNS1_3repE0EEENS1_30default_config_static_selectorELNS0_4arch9wavefront6targetE1EEEvT1_
	.globl	_ZN7rocprim17ROCPRIM_400000_NS6detail17trampoline_kernelINS0_14default_configENS1_25partition_config_selectorILNS1_17partition_subalgoE1ExNS0_10empty_typeEbEEZZNS1_14partition_implILS5_1ELb0ES3_jN6thrust23THRUST_200600_302600_NS6detail15normal_iteratorINSA_10device_ptrIxEEEEPS6_NSA_18transform_iteratorI7is_evenIxESF_NSA_11use_defaultESK_EENS0_5tupleIJNSA_16discard_iteratorISK_EESO_EEENSM_IJSG_SG_EEES6_PlJS6_EEE10hipError_tPvRmT3_T4_T5_T6_T7_T9_mT8_P12ihipStream_tbDpT10_ENKUlT_T0_E_clISt17integral_constantIbLb0EES1A_IbLb1EEEEDaS16_S17_EUlS16_E_NS1_11comp_targetILNS1_3genE9ELNS1_11target_archE1100ELNS1_3gpuE3ELNS1_3repE0EEENS1_30default_config_static_selectorELNS0_4arch9wavefront6targetE1EEEvT1_
	.p2align	8
	.type	_ZN7rocprim17ROCPRIM_400000_NS6detail17trampoline_kernelINS0_14default_configENS1_25partition_config_selectorILNS1_17partition_subalgoE1ExNS0_10empty_typeEbEEZZNS1_14partition_implILS5_1ELb0ES3_jN6thrust23THRUST_200600_302600_NS6detail15normal_iteratorINSA_10device_ptrIxEEEEPS6_NSA_18transform_iteratorI7is_evenIxESF_NSA_11use_defaultESK_EENS0_5tupleIJNSA_16discard_iteratorISK_EESO_EEENSM_IJSG_SG_EEES6_PlJS6_EEE10hipError_tPvRmT3_T4_T5_T6_T7_T9_mT8_P12ihipStream_tbDpT10_ENKUlT_T0_E_clISt17integral_constantIbLb0EES1A_IbLb1EEEEDaS16_S17_EUlS16_E_NS1_11comp_targetILNS1_3genE9ELNS1_11target_archE1100ELNS1_3gpuE3ELNS1_3repE0EEENS1_30default_config_static_selectorELNS0_4arch9wavefront6targetE1EEEvT1_,@function
_ZN7rocprim17ROCPRIM_400000_NS6detail17trampoline_kernelINS0_14default_configENS1_25partition_config_selectorILNS1_17partition_subalgoE1ExNS0_10empty_typeEbEEZZNS1_14partition_implILS5_1ELb0ES3_jN6thrust23THRUST_200600_302600_NS6detail15normal_iteratorINSA_10device_ptrIxEEEEPS6_NSA_18transform_iteratorI7is_evenIxESF_NSA_11use_defaultESK_EENS0_5tupleIJNSA_16discard_iteratorISK_EESO_EEENSM_IJSG_SG_EEES6_PlJS6_EEE10hipError_tPvRmT3_T4_T5_T6_T7_T9_mT8_P12ihipStream_tbDpT10_ENKUlT_T0_E_clISt17integral_constantIbLb0EES1A_IbLb1EEEEDaS16_S17_EUlS16_E_NS1_11comp_targetILNS1_3genE9ELNS1_11target_archE1100ELNS1_3gpuE3ELNS1_3repE0EEENS1_30default_config_static_selectorELNS0_4arch9wavefront6targetE1EEEvT1_: ; @_ZN7rocprim17ROCPRIM_400000_NS6detail17trampoline_kernelINS0_14default_configENS1_25partition_config_selectorILNS1_17partition_subalgoE1ExNS0_10empty_typeEbEEZZNS1_14partition_implILS5_1ELb0ES3_jN6thrust23THRUST_200600_302600_NS6detail15normal_iteratorINSA_10device_ptrIxEEEEPS6_NSA_18transform_iteratorI7is_evenIxESF_NSA_11use_defaultESK_EENS0_5tupleIJNSA_16discard_iteratorISK_EESO_EEENSM_IJSG_SG_EEES6_PlJS6_EEE10hipError_tPvRmT3_T4_T5_T6_T7_T9_mT8_P12ihipStream_tbDpT10_ENKUlT_T0_E_clISt17integral_constantIbLb0EES1A_IbLb1EEEEDaS16_S17_EUlS16_E_NS1_11comp_targetILNS1_3genE9ELNS1_11target_archE1100ELNS1_3gpuE3ELNS1_3repE0EEENS1_30default_config_static_selectorELNS0_4arch9wavefront6targetE1EEEvT1_
; %bb.0:
	.section	.rodata,"a",@progbits
	.p2align	6, 0x0
	.amdhsa_kernel _ZN7rocprim17ROCPRIM_400000_NS6detail17trampoline_kernelINS0_14default_configENS1_25partition_config_selectorILNS1_17partition_subalgoE1ExNS0_10empty_typeEbEEZZNS1_14partition_implILS5_1ELb0ES3_jN6thrust23THRUST_200600_302600_NS6detail15normal_iteratorINSA_10device_ptrIxEEEEPS6_NSA_18transform_iteratorI7is_evenIxESF_NSA_11use_defaultESK_EENS0_5tupleIJNSA_16discard_iteratorISK_EESO_EEENSM_IJSG_SG_EEES6_PlJS6_EEE10hipError_tPvRmT3_T4_T5_T6_T7_T9_mT8_P12ihipStream_tbDpT10_ENKUlT_T0_E_clISt17integral_constantIbLb0EES1A_IbLb1EEEEDaS16_S17_EUlS16_E_NS1_11comp_targetILNS1_3genE9ELNS1_11target_archE1100ELNS1_3gpuE3ELNS1_3repE0EEENS1_30default_config_static_selectorELNS0_4arch9wavefront6targetE1EEEvT1_
		.amdhsa_group_segment_fixed_size 0
		.amdhsa_private_segment_fixed_size 0
		.amdhsa_kernarg_size 160
		.amdhsa_user_sgpr_count 2
		.amdhsa_user_sgpr_dispatch_ptr 0
		.amdhsa_user_sgpr_queue_ptr 0
		.amdhsa_user_sgpr_kernarg_segment_ptr 1
		.amdhsa_user_sgpr_dispatch_id 0
		.amdhsa_user_sgpr_kernarg_preload_length 0
		.amdhsa_user_sgpr_kernarg_preload_offset 0
		.amdhsa_user_sgpr_private_segment_size 0
		.amdhsa_uses_dynamic_stack 0
		.amdhsa_enable_private_segment 0
		.amdhsa_system_sgpr_workgroup_id_x 1
		.amdhsa_system_sgpr_workgroup_id_y 0
		.amdhsa_system_sgpr_workgroup_id_z 0
		.amdhsa_system_sgpr_workgroup_info 0
		.amdhsa_system_vgpr_workitem_id 0
		.amdhsa_next_free_vgpr 1
		.amdhsa_next_free_sgpr 0
		.amdhsa_accum_offset 4
		.amdhsa_reserve_vcc 0
		.amdhsa_float_round_mode_32 0
		.amdhsa_float_round_mode_16_64 0
		.amdhsa_float_denorm_mode_32 3
		.amdhsa_float_denorm_mode_16_64 3
		.amdhsa_dx10_clamp 1
		.amdhsa_ieee_mode 1
		.amdhsa_fp16_overflow 0
		.amdhsa_tg_split 0
		.amdhsa_exception_fp_ieee_invalid_op 0
		.amdhsa_exception_fp_denorm_src 0
		.amdhsa_exception_fp_ieee_div_zero 0
		.amdhsa_exception_fp_ieee_overflow 0
		.amdhsa_exception_fp_ieee_underflow 0
		.amdhsa_exception_fp_ieee_inexact 0
		.amdhsa_exception_int_div_zero 0
	.end_amdhsa_kernel
	.section	.text._ZN7rocprim17ROCPRIM_400000_NS6detail17trampoline_kernelINS0_14default_configENS1_25partition_config_selectorILNS1_17partition_subalgoE1ExNS0_10empty_typeEbEEZZNS1_14partition_implILS5_1ELb0ES3_jN6thrust23THRUST_200600_302600_NS6detail15normal_iteratorINSA_10device_ptrIxEEEEPS6_NSA_18transform_iteratorI7is_evenIxESF_NSA_11use_defaultESK_EENS0_5tupleIJNSA_16discard_iteratorISK_EESO_EEENSM_IJSG_SG_EEES6_PlJS6_EEE10hipError_tPvRmT3_T4_T5_T6_T7_T9_mT8_P12ihipStream_tbDpT10_ENKUlT_T0_E_clISt17integral_constantIbLb0EES1A_IbLb1EEEEDaS16_S17_EUlS16_E_NS1_11comp_targetILNS1_3genE9ELNS1_11target_archE1100ELNS1_3gpuE3ELNS1_3repE0EEENS1_30default_config_static_selectorELNS0_4arch9wavefront6targetE1EEEvT1_,"axG",@progbits,_ZN7rocprim17ROCPRIM_400000_NS6detail17trampoline_kernelINS0_14default_configENS1_25partition_config_selectorILNS1_17partition_subalgoE1ExNS0_10empty_typeEbEEZZNS1_14partition_implILS5_1ELb0ES3_jN6thrust23THRUST_200600_302600_NS6detail15normal_iteratorINSA_10device_ptrIxEEEEPS6_NSA_18transform_iteratorI7is_evenIxESF_NSA_11use_defaultESK_EENS0_5tupleIJNSA_16discard_iteratorISK_EESO_EEENSM_IJSG_SG_EEES6_PlJS6_EEE10hipError_tPvRmT3_T4_T5_T6_T7_T9_mT8_P12ihipStream_tbDpT10_ENKUlT_T0_E_clISt17integral_constantIbLb0EES1A_IbLb1EEEEDaS16_S17_EUlS16_E_NS1_11comp_targetILNS1_3genE9ELNS1_11target_archE1100ELNS1_3gpuE3ELNS1_3repE0EEENS1_30default_config_static_selectorELNS0_4arch9wavefront6targetE1EEEvT1_,comdat
.Lfunc_end3193:
	.size	_ZN7rocprim17ROCPRIM_400000_NS6detail17trampoline_kernelINS0_14default_configENS1_25partition_config_selectorILNS1_17partition_subalgoE1ExNS0_10empty_typeEbEEZZNS1_14partition_implILS5_1ELb0ES3_jN6thrust23THRUST_200600_302600_NS6detail15normal_iteratorINSA_10device_ptrIxEEEEPS6_NSA_18transform_iteratorI7is_evenIxESF_NSA_11use_defaultESK_EENS0_5tupleIJNSA_16discard_iteratorISK_EESO_EEENSM_IJSG_SG_EEES6_PlJS6_EEE10hipError_tPvRmT3_T4_T5_T6_T7_T9_mT8_P12ihipStream_tbDpT10_ENKUlT_T0_E_clISt17integral_constantIbLb0EES1A_IbLb1EEEEDaS16_S17_EUlS16_E_NS1_11comp_targetILNS1_3genE9ELNS1_11target_archE1100ELNS1_3gpuE3ELNS1_3repE0EEENS1_30default_config_static_selectorELNS0_4arch9wavefront6targetE1EEEvT1_, .Lfunc_end3193-_ZN7rocprim17ROCPRIM_400000_NS6detail17trampoline_kernelINS0_14default_configENS1_25partition_config_selectorILNS1_17partition_subalgoE1ExNS0_10empty_typeEbEEZZNS1_14partition_implILS5_1ELb0ES3_jN6thrust23THRUST_200600_302600_NS6detail15normal_iteratorINSA_10device_ptrIxEEEEPS6_NSA_18transform_iteratorI7is_evenIxESF_NSA_11use_defaultESK_EENS0_5tupleIJNSA_16discard_iteratorISK_EESO_EEENSM_IJSG_SG_EEES6_PlJS6_EEE10hipError_tPvRmT3_T4_T5_T6_T7_T9_mT8_P12ihipStream_tbDpT10_ENKUlT_T0_E_clISt17integral_constantIbLb0EES1A_IbLb1EEEEDaS16_S17_EUlS16_E_NS1_11comp_targetILNS1_3genE9ELNS1_11target_archE1100ELNS1_3gpuE3ELNS1_3repE0EEENS1_30default_config_static_selectorELNS0_4arch9wavefront6targetE1EEEvT1_
                                        ; -- End function
	.section	.AMDGPU.csdata,"",@progbits
; Kernel info:
; codeLenInByte = 0
; NumSgprs: 6
; NumVgprs: 0
; NumAgprs: 0
; TotalNumVgprs: 0
; ScratchSize: 0
; MemoryBound: 0
; FloatMode: 240
; IeeeMode: 1
; LDSByteSize: 0 bytes/workgroup (compile time only)
; SGPRBlocks: 0
; VGPRBlocks: 0
; NumSGPRsForWavesPerEU: 6
; NumVGPRsForWavesPerEU: 1
; AccumOffset: 4
; Occupancy: 8
; WaveLimiterHint : 0
; COMPUTE_PGM_RSRC2:SCRATCH_EN: 0
; COMPUTE_PGM_RSRC2:USER_SGPR: 2
; COMPUTE_PGM_RSRC2:TRAP_HANDLER: 0
; COMPUTE_PGM_RSRC2:TGID_X_EN: 1
; COMPUTE_PGM_RSRC2:TGID_Y_EN: 0
; COMPUTE_PGM_RSRC2:TGID_Z_EN: 0
; COMPUTE_PGM_RSRC2:TIDIG_COMP_CNT: 0
; COMPUTE_PGM_RSRC3_GFX90A:ACCUM_OFFSET: 0
; COMPUTE_PGM_RSRC3_GFX90A:TG_SPLIT: 0
	.section	.text._ZN7rocprim17ROCPRIM_400000_NS6detail17trampoline_kernelINS0_14default_configENS1_25partition_config_selectorILNS1_17partition_subalgoE1ExNS0_10empty_typeEbEEZZNS1_14partition_implILS5_1ELb0ES3_jN6thrust23THRUST_200600_302600_NS6detail15normal_iteratorINSA_10device_ptrIxEEEEPS6_NSA_18transform_iteratorI7is_evenIxESF_NSA_11use_defaultESK_EENS0_5tupleIJNSA_16discard_iteratorISK_EESO_EEENSM_IJSG_SG_EEES6_PlJS6_EEE10hipError_tPvRmT3_T4_T5_T6_T7_T9_mT8_P12ihipStream_tbDpT10_ENKUlT_T0_E_clISt17integral_constantIbLb0EES1A_IbLb1EEEEDaS16_S17_EUlS16_E_NS1_11comp_targetILNS1_3genE8ELNS1_11target_archE1030ELNS1_3gpuE2ELNS1_3repE0EEENS1_30default_config_static_selectorELNS0_4arch9wavefront6targetE1EEEvT1_,"axG",@progbits,_ZN7rocprim17ROCPRIM_400000_NS6detail17trampoline_kernelINS0_14default_configENS1_25partition_config_selectorILNS1_17partition_subalgoE1ExNS0_10empty_typeEbEEZZNS1_14partition_implILS5_1ELb0ES3_jN6thrust23THRUST_200600_302600_NS6detail15normal_iteratorINSA_10device_ptrIxEEEEPS6_NSA_18transform_iteratorI7is_evenIxESF_NSA_11use_defaultESK_EENS0_5tupleIJNSA_16discard_iteratorISK_EESO_EEENSM_IJSG_SG_EEES6_PlJS6_EEE10hipError_tPvRmT3_T4_T5_T6_T7_T9_mT8_P12ihipStream_tbDpT10_ENKUlT_T0_E_clISt17integral_constantIbLb0EES1A_IbLb1EEEEDaS16_S17_EUlS16_E_NS1_11comp_targetILNS1_3genE8ELNS1_11target_archE1030ELNS1_3gpuE2ELNS1_3repE0EEENS1_30default_config_static_selectorELNS0_4arch9wavefront6targetE1EEEvT1_,comdat
	.protected	_ZN7rocprim17ROCPRIM_400000_NS6detail17trampoline_kernelINS0_14default_configENS1_25partition_config_selectorILNS1_17partition_subalgoE1ExNS0_10empty_typeEbEEZZNS1_14partition_implILS5_1ELb0ES3_jN6thrust23THRUST_200600_302600_NS6detail15normal_iteratorINSA_10device_ptrIxEEEEPS6_NSA_18transform_iteratorI7is_evenIxESF_NSA_11use_defaultESK_EENS0_5tupleIJNSA_16discard_iteratorISK_EESO_EEENSM_IJSG_SG_EEES6_PlJS6_EEE10hipError_tPvRmT3_T4_T5_T6_T7_T9_mT8_P12ihipStream_tbDpT10_ENKUlT_T0_E_clISt17integral_constantIbLb0EES1A_IbLb1EEEEDaS16_S17_EUlS16_E_NS1_11comp_targetILNS1_3genE8ELNS1_11target_archE1030ELNS1_3gpuE2ELNS1_3repE0EEENS1_30default_config_static_selectorELNS0_4arch9wavefront6targetE1EEEvT1_ ; -- Begin function _ZN7rocprim17ROCPRIM_400000_NS6detail17trampoline_kernelINS0_14default_configENS1_25partition_config_selectorILNS1_17partition_subalgoE1ExNS0_10empty_typeEbEEZZNS1_14partition_implILS5_1ELb0ES3_jN6thrust23THRUST_200600_302600_NS6detail15normal_iteratorINSA_10device_ptrIxEEEEPS6_NSA_18transform_iteratorI7is_evenIxESF_NSA_11use_defaultESK_EENS0_5tupleIJNSA_16discard_iteratorISK_EESO_EEENSM_IJSG_SG_EEES6_PlJS6_EEE10hipError_tPvRmT3_T4_T5_T6_T7_T9_mT8_P12ihipStream_tbDpT10_ENKUlT_T0_E_clISt17integral_constantIbLb0EES1A_IbLb1EEEEDaS16_S17_EUlS16_E_NS1_11comp_targetILNS1_3genE8ELNS1_11target_archE1030ELNS1_3gpuE2ELNS1_3repE0EEENS1_30default_config_static_selectorELNS0_4arch9wavefront6targetE1EEEvT1_
	.globl	_ZN7rocprim17ROCPRIM_400000_NS6detail17trampoline_kernelINS0_14default_configENS1_25partition_config_selectorILNS1_17partition_subalgoE1ExNS0_10empty_typeEbEEZZNS1_14partition_implILS5_1ELb0ES3_jN6thrust23THRUST_200600_302600_NS6detail15normal_iteratorINSA_10device_ptrIxEEEEPS6_NSA_18transform_iteratorI7is_evenIxESF_NSA_11use_defaultESK_EENS0_5tupleIJNSA_16discard_iteratorISK_EESO_EEENSM_IJSG_SG_EEES6_PlJS6_EEE10hipError_tPvRmT3_T4_T5_T6_T7_T9_mT8_P12ihipStream_tbDpT10_ENKUlT_T0_E_clISt17integral_constantIbLb0EES1A_IbLb1EEEEDaS16_S17_EUlS16_E_NS1_11comp_targetILNS1_3genE8ELNS1_11target_archE1030ELNS1_3gpuE2ELNS1_3repE0EEENS1_30default_config_static_selectorELNS0_4arch9wavefront6targetE1EEEvT1_
	.p2align	8
	.type	_ZN7rocprim17ROCPRIM_400000_NS6detail17trampoline_kernelINS0_14default_configENS1_25partition_config_selectorILNS1_17partition_subalgoE1ExNS0_10empty_typeEbEEZZNS1_14partition_implILS5_1ELb0ES3_jN6thrust23THRUST_200600_302600_NS6detail15normal_iteratorINSA_10device_ptrIxEEEEPS6_NSA_18transform_iteratorI7is_evenIxESF_NSA_11use_defaultESK_EENS0_5tupleIJNSA_16discard_iteratorISK_EESO_EEENSM_IJSG_SG_EEES6_PlJS6_EEE10hipError_tPvRmT3_T4_T5_T6_T7_T9_mT8_P12ihipStream_tbDpT10_ENKUlT_T0_E_clISt17integral_constantIbLb0EES1A_IbLb1EEEEDaS16_S17_EUlS16_E_NS1_11comp_targetILNS1_3genE8ELNS1_11target_archE1030ELNS1_3gpuE2ELNS1_3repE0EEENS1_30default_config_static_selectorELNS0_4arch9wavefront6targetE1EEEvT1_,@function
_ZN7rocprim17ROCPRIM_400000_NS6detail17trampoline_kernelINS0_14default_configENS1_25partition_config_selectorILNS1_17partition_subalgoE1ExNS0_10empty_typeEbEEZZNS1_14partition_implILS5_1ELb0ES3_jN6thrust23THRUST_200600_302600_NS6detail15normal_iteratorINSA_10device_ptrIxEEEEPS6_NSA_18transform_iteratorI7is_evenIxESF_NSA_11use_defaultESK_EENS0_5tupleIJNSA_16discard_iteratorISK_EESO_EEENSM_IJSG_SG_EEES6_PlJS6_EEE10hipError_tPvRmT3_T4_T5_T6_T7_T9_mT8_P12ihipStream_tbDpT10_ENKUlT_T0_E_clISt17integral_constantIbLb0EES1A_IbLb1EEEEDaS16_S17_EUlS16_E_NS1_11comp_targetILNS1_3genE8ELNS1_11target_archE1030ELNS1_3gpuE2ELNS1_3repE0EEENS1_30default_config_static_selectorELNS0_4arch9wavefront6targetE1EEEvT1_: ; @_ZN7rocprim17ROCPRIM_400000_NS6detail17trampoline_kernelINS0_14default_configENS1_25partition_config_selectorILNS1_17partition_subalgoE1ExNS0_10empty_typeEbEEZZNS1_14partition_implILS5_1ELb0ES3_jN6thrust23THRUST_200600_302600_NS6detail15normal_iteratorINSA_10device_ptrIxEEEEPS6_NSA_18transform_iteratorI7is_evenIxESF_NSA_11use_defaultESK_EENS0_5tupleIJNSA_16discard_iteratorISK_EESO_EEENSM_IJSG_SG_EEES6_PlJS6_EEE10hipError_tPvRmT3_T4_T5_T6_T7_T9_mT8_P12ihipStream_tbDpT10_ENKUlT_T0_E_clISt17integral_constantIbLb0EES1A_IbLb1EEEEDaS16_S17_EUlS16_E_NS1_11comp_targetILNS1_3genE8ELNS1_11target_archE1030ELNS1_3gpuE2ELNS1_3repE0EEENS1_30default_config_static_selectorELNS0_4arch9wavefront6targetE1EEEvT1_
; %bb.0:
	.section	.rodata,"a",@progbits
	.p2align	6, 0x0
	.amdhsa_kernel _ZN7rocprim17ROCPRIM_400000_NS6detail17trampoline_kernelINS0_14default_configENS1_25partition_config_selectorILNS1_17partition_subalgoE1ExNS0_10empty_typeEbEEZZNS1_14partition_implILS5_1ELb0ES3_jN6thrust23THRUST_200600_302600_NS6detail15normal_iteratorINSA_10device_ptrIxEEEEPS6_NSA_18transform_iteratorI7is_evenIxESF_NSA_11use_defaultESK_EENS0_5tupleIJNSA_16discard_iteratorISK_EESO_EEENSM_IJSG_SG_EEES6_PlJS6_EEE10hipError_tPvRmT3_T4_T5_T6_T7_T9_mT8_P12ihipStream_tbDpT10_ENKUlT_T0_E_clISt17integral_constantIbLb0EES1A_IbLb1EEEEDaS16_S17_EUlS16_E_NS1_11comp_targetILNS1_3genE8ELNS1_11target_archE1030ELNS1_3gpuE2ELNS1_3repE0EEENS1_30default_config_static_selectorELNS0_4arch9wavefront6targetE1EEEvT1_
		.amdhsa_group_segment_fixed_size 0
		.amdhsa_private_segment_fixed_size 0
		.amdhsa_kernarg_size 160
		.amdhsa_user_sgpr_count 2
		.amdhsa_user_sgpr_dispatch_ptr 0
		.amdhsa_user_sgpr_queue_ptr 0
		.amdhsa_user_sgpr_kernarg_segment_ptr 1
		.amdhsa_user_sgpr_dispatch_id 0
		.amdhsa_user_sgpr_kernarg_preload_length 0
		.amdhsa_user_sgpr_kernarg_preload_offset 0
		.amdhsa_user_sgpr_private_segment_size 0
		.amdhsa_uses_dynamic_stack 0
		.amdhsa_enable_private_segment 0
		.amdhsa_system_sgpr_workgroup_id_x 1
		.amdhsa_system_sgpr_workgroup_id_y 0
		.amdhsa_system_sgpr_workgroup_id_z 0
		.amdhsa_system_sgpr_workgroup_info 0
		.amdhsa_system_vgpr_workitem_id 0
		.amdhsa_next_free_vgpr 1
		.amdhsa_next_free_sgpr 0
		.amdhsa_accum_offset 4
		.amdhsa_reserve_vcc 0
		.amdhsa_float_round_mode_32 0
		.amdhsa_float_round_mode_16_64 0
		.amdhsa_float_denorm_mode_32 3
		.amdhsa_float_denorm_mode_16_64 3
		.amdhsa_dx10_clamp 1
		.amdhsa_ieee_mode 1
		.amdhsa_fp16_overflow 0
		.amdhsa_tg_split 0
		.amdhsa_exception_fp_ieee_invalid_op 0
		.amdhsa_exception_fp_denorm_src 0
		.amdhsa_exception_fp_ieee_div_zero 0
		.amdhsa_exception_fp_ieee_overflow 0
		.amdhsa_exception_fp_ieee_underflow 0
		.amdhsa_exception_fp_ieee_inexact 0
		.amdhsa_exception_int_div_zero 0
	.end_amdhsa_kernel
	.section	.text._ZN7rocprim17ROCPRIM_400000_NS6detail17trampoline_kernelINS0_14default_configENS1_25partition_config_selectorILNS1_17partition_subalgoE1ExNS0_10empty_typeEbEEZZNS1_14partition_implILS5_1ELb0ES3_jN6thrust23THRUST_200600_302600_NS6detail15normal_iteratorINSA_10device_ptrIxEEEEPS6_NSA_18transform_iteratorI7is_evenIxESF_NSA_11use_defaultESK_EENS0_5tupleIJNSA_16discard_iteratorISK_EESO_EEENSM_IJSG_SG_EEES6_PlJS6_EEE10hipError_tPvRmT3_T4_T5_T6_T7_T9_mT8_P12ihipStream_tbDpT10_ENKUlT_T0_E_clISt17integral_constantIbLb0EES1A_IbLb1EEEEDaS16_S17_EUlS16_E_NS1_11comp_targetILNS1_3genE8ELNS1_11target_archE1030ELNS1_3gpuE2ELNS1_3repE0EEENS1_30default_config_static_selectorELNS0_4arch9wavefront6targetE1EEEvT1_,"axG",@progbits,_ZN7rocprim17ROCPRIM_400000_NS6detail17trampoline_kernelINS0_14default_configENS1_25partition_config_selectorILNS1_17partition_subalgoE1ExNS0_10empty_typeEbEEZZNS1_14partition_implILS5_1ELb0ES3_jN6thrust23THRUST_200600_302600_NS6detail15normal_iteratorINSA_10device_ptrIxEEEEPS6_NSA_18transform_iteratorI7is_evenIxESF_NSA_11use_defaultESK_EENS0_5tupleIJNSA_16discard_iteratorISK_EESO_EEENSM_IJSG_SG_EEES6_PlJS6_EEE10hipError_tPvRmT3_T4_T5_T6_T7_T9_mT8_P12ihipStream_tbDpT10_ENKUlT_T0_E_clISt17integral_constantIbLb0EES1A_IbLb1EEEEDaS16_S17_EUlS16_E_NS1_11comp_targetILNS1_3genE8ELNS1_11target_archE1030ELNS1_3gpuE2ELNS1_3repE0EEENS1_30default_config_static_selectorELNS0_4arch9wavefront6targetE1EEEvT1_,comdat
.Lfunc_end3194:
	.size	_ZN7rocprim17ROCPRIM_400000_NS6detail17trampoline_kernelINS0_14default_configENS1_25partition_config_selectorILNS1_17partition_subalgoE1ExNS0_10empty_typeEbEEZZNS1_14partition_implILS5_1ELb0ES3_jN6thrust23THRUST_200600_302600_NS6detail15normal_iteratorINSA_10device_ptrIxEEEEPS6_NSA_18transform_iteratorI7is_evenIxESF_NSA_11use_defaultESK_EENS0_5tupleIJNSA_16discard_iteratorISK_EESO_EEENSM_IJSG_SG_EEES6_PlJS6_EEE10hipError_tPvRmT3_T4_T5_T6_T7_T9_mT8_P12ihipStream_tbDpT10_ENKUlT_T0_E_clISt17integral_constantIbLb0EES1A_IbLb1EEEEDaS16_S17_EUlS16_E_NS1_11comp_targetILNS1_3genE8ELNS1_11target_archE1030ELNS1_3gpuE2ELNS1_3repE0EEENS1_30default_config_static_selectorELNS0_4arch9wavefront6targetE1EEEvT1_, .Lfunc_end3194-_ZN7rocprim17ROCPRIM_400000_NS6detail17trampoline_kernelINS0_14default_configENS1_25partition_config_selectorILNS1_17partition_subalgoE1ExNS0_10empty_typeEbEEZZNS1_14partition_implILS5_1ELb0ES3_jN6thrust23THRUST_200600_302600_NS6detail15normal_iteratorINSA_10device_ptrIxEEEEPS6_NSA_18transform_iteratorI7is_evenIxESF_NSA_11use_defaultESK_EENS0_5tupleIJNSA_16discard_iteratorISK_EESO_EEENSM_IJSG_SG_EEES6_PlJS6_EEE10hipError_tPvRmT3_T4_T5_T6_T7_T9_mT8_P12ihipStream_tbDpT10_ENKUlT_T0_E_clISt17integral_constantIbLb0EES1A_IbLb1EEEEDaS16_S17_EUlS16_E_NS1_11comp_targetILNS1_3genE8ELNS1_11target_archE1030ELNS1_3gpuE2ELNS1_3repE0EEENS1_30default_config_static_selectorELNS0_4arch9wavefront6targetE1EEEvT1_
                                        ; -- End function
	.section	.AMDGPU.csdata,"",@progbits
; Kernel info:
; codeLenInByte = 0
; NumSgprs: 6
; NumVgprs: 0
; NumAgprs: 0
; TotalNumVgprs: 0
; ScratchSize: 0
; MemoryBound: 0
; FloatMode: 240
; IeeeMode: 1
; LDSByteSize: 0 bytes/workgroup (compile time only)
; SGPRBlocks: 0
; VGPRBlocks: 0
; NumSGPRsForWavesPerEU: 6
; NumVGPRsForWavesPerEU: 1
; AccumOffset: 4
; Occupancy: 8
; WaveLimiterHint : 0
; COMPUTE_PGM_RSRC2:SCRATCH_EN: 0
; COMPUTE_PGM_RSRC2:USER_SGPR: 2
; COMPUTE_PGM_RSRC2:TRAP_HANDLER: 0
; COMPUTE_PGM_RSRC2:TGID_X_EN: 1
; COMPUTE_PGM_RSRC2:TGID_Y_EN: 0
; COMPUTE_PGM_RSRC2:TGID_Z_EN: 0
; COMPUTE_PGM_RSRC2:TIDIG_COMP_CNT: 0
; COMPUTE_PGM_RSRC3_GFX90A:ACCUM_OFFSET: 0
; COMPUTE_PGM_RSRC3_GFX90A:TG_SPLIT: 0
	.section	.text._ZN7rocprim17ROCPRIM_400000_NS6detail17trampoline_kernelINS0_14default_configENS1_25partition_config_selectorILNS1_17partition_subalgoE1ExNS0_10empty_typeEbEEZZNS1_14partition_implILS5_1ELb0ES3_jN6thrust23THRUST_200600_302600_NS6detail15normal_iteratorINSA_10device_ptrIxEEEEPS6_NSA_18transform_iteratorI7is_evenIxESF_NSA_11use_defaultESK_EENS0_5tupleIJSF_NSA_16discard_iteratorISK_EEEEENSM_IJSG_SG_EEES6_PlJS6_EEE10hipError_tPvRmT3_T4_T5_T6_T7_T9_mT8_P12ihipStream_tbDpT10_ENKUlT_T0_E_clISt17integral_constantIbLb0EES1B_EEDaS16_S17_EUlS16_E_NS1_11comp_targetILNS1_3genE0ELNS1_11target_archE4294967295ELNS1_3gpuE0ELNS1_3repE0EEENS1_30default_config_static_selectorELNS0_4arch9wavefront6targetE1EEEvT1_,"axG",@progbits,_ZN7rocprim17ROCPRIM_400000_NS6detail17trampoline_kernelINS0_14default_configENS1_25partition_config_selectorILNS1_17partition_subalgoE1ExNS0_10empty_typeEbEEZZNS1_14partition_implILS5_1ELb0ES3_jN6thrust23THRUST_200600_302600_NS6detail15normal_iteratorINSA_10device_ptrIxEEEEPS6_NSA_18transform_iteratorI7is_evenIxESF_NSA_11use_defaultESK_EENS0_5tupleIJSF_NSA_16discard_iteratorISK_EEEEENSM_IJSG_SG_EEES6_PlJS6_EEE10hipError_tPvRmT3_T4_T5_T6_T7_T9_mT8_P12ihipStream_tbDpT10_ENKUlT_T0_E_clISt17integral_constantIbLb0EES1B_EEDaS16_S17_EUlS16_E_NS1_11comp_targetILNS1_3genE0ELNS1_11target_archE4294967295ELNS1_3gpuE0ELNS1_3repE0EEENS1_30default_config_static_selectorELNS0_4arch9wavefront6targetE1EEEvT1_,comdat
	.protected	_ZN7rocprim17ROCPRIM_400000_NS6detail17trampoline_kernelINS0_14default_configENS1_25partition_config_selectorILNS1_17partition_subalgoE1ExNS0_10empty_typeEbEEZZNS1_14partition_implILS5_1ELb0ES3_jN6thrust23THRUST_200600_302600_NS6detail15normal_iteratorINSA_10device_ptrIxEEEEPS6_NSA_18transform_iteratorI7is_evenIxESF_NSA_11use_defaultESK_EENS0_5tupleIJSF_NSA_16discard_iteratorISK_EEEEENSM_IJSG_SG_EEES6_PlJS6_EEE10hipError_tPvRmT3_T4_T5_T6_T7_T9_mT8_P12ihipStream_tbDpT10_ENKUlT_T0_E_clISt17integral_constantIbLb0EES1B_EEDaS16_S17_EUlS16_E_NS1_11comp_targetILNS1_3genE0ELNS1_11target_archE4294967295ELNS1_3gpuE0ELNS1_3repE0EEENS1_30default_config_static_selectorELNS0_4arch9wavefront6targetE1EEEvT1_ ; -- Begin function _ZN7rocprim17ROCPRIM_400000_NS6detail17trampoline_kernelINS0_14default_configENS1_25partition_config_selectorILNS1_17partition_subalgoE1ExNS0_10empty_typeEbEEZZNS1_14partition_implILS5_1ELb0ES3_jN6thrust23THRUST_200600_302600_NS6detail15normal_iteratorINSA_10device_ptrIxEEEEPS6_NSA_18transform_iteratorI7is_evenIxESF_NSA_11use_defaultESK_EENS0_5tupleIJSF_NSA_16discard_iteratorISK_EEEEENSM_IJSG_SG_EEES6_PlJS6_EEE10hipError_tPvRmT3_T4_T5_T6_T7_T9_mT8_P12ihipStream_tbDpT10_ENKUlT_T0_E_clISt17integral_constantIbLb0EES1B_EEDaS16_S17_EUlS16_E_NS1_11comp_targetILNS1_3genE0ELNS1_11target_archE4294967295ELNS1_3gpuE0ELNS1_3repE0EEENS1_30default_config_static_selectorELNS0_4arch9wavefront6targetE1EEEvT1_
	.globl	_ZN7rocprim17ROCPRIM_400000_NS6detail17trampoline_kernelINS0_14default_configENS1_25partition_config_selectorILNS1_17partition_subalgoE1ExNS0_10empty_typeEbEEZZNS1_14partition_implILS5_1ELb0ES3_jN6thrust23THRUST_200600_302600_NS6detail15normal_iteratorINSA_10device_ptrIxEEEEPS6_NSA_18transform_iteratorI7is_evenIxESF_NSA_11use_defaultESK_EENS0_5tupleIJSF_NSA_16discard_iteratorISK_EEEEENSM_IJSG_SG_EEES6_PlJS6_EEE10hipError_tPvRmT3_T4_T5_T6_T7_T9_mT8_P12ihipStream_tbDpT10_ENKUlT_T0_E_clISt17integral_constantIbLb0EES1B_EEDaS16_S17_EUlS16_E_NS1_11comp_targetILNS1_3genE0ELNS1_11target_archE4294967295ELNS1_3gpuE0ELNS1_3repE0EEENS1_30default_config_static_selectorELNS0_4arch9wavefront6targetE1EEEvT1_
	.p2align	8
	.type	_ZN7rocprim17ROCPRIM_400000_NS6detail17trampoline_kernelINS0_14default_configENS1_25partition_config_selectorILNS1_17partition_subalgoE1ExNS0_10empty_typeEbEEZZNS1_14partition_implILS5_1ELb0ES3_jN6thrust23THRUST_200600_302600_NS6detail15normal_iteratorINSA_10device_ptrIxEEEEPS6_NSA_18transform_iteratorI7is_evenIxESF_NSA_11use_defaultESK_EENS0_5tupleIJSF_NSA_16discard_iteratorISK_EEEEENSM_IJSG_SG_EEES6_PlJS6_EEE10hipError_tPvRmT3_T4_T5_T6_T7_T9_mT8_P12ihipStream_tbDpT10_ENKUlT_T0_E_clISt17integral_constantIbLb0EES1B_EEDaS16_S17_EUlS16_E_NS1_11comp_targetILNS1_3genE0ELNS1_11target_archE4294967295ELNS1_3gpuE0ELNS1_3repE0EEENS1_30default_config_static_selectorELNS0_4arch9wavefront6targetE1EEEvT1_,@function
_ZN7rocprim17ROCPRIM_400000_NS6detail17trampoline_kernelINS0_14default_configENS1_25partition_config_selectorILNS1_17partition_subalgoE1ExNS0_10empty_typeEbEEZZNS1_14partition_implILS5_1ELb0ES3_jN6thrust23THRUST_200600_302600_NS6detail15normal_iteratorINSA_10device_ptrIxEEEEPS6_NSA_18transform_iteratorI7is_evenIxESF_NSA_11use_defaultESK_EENS0_5tupleIJSF_NSA_16discard_iteratorISK_EEEEENSM_IJSG_SG_EEES6_PlJS6_EEE10hipError_tPvRmT3_T4_T5_T6_T7_T9_mT8_P12ihipStream_tbDpT10_ENKUlT_T0_E_clISt17integral_constantIbLb0EES1B_EEDaS16_S17_EUlS16_E_NS1_11comp_targetILNS1_3genE0ELNS1_11target_archE4294967295ELNS1_3gpuE0ELNS1_3repE0EEENS1_30default_config_static_selectorELNS0_4arch9wavefront6targetE1EEEvT1_: ; @_ZN7rocprim17ROCPRIM_400000_NS6detail17trampoline_kernelINS0_14default_configENS1_25partition_config_selectorILNS1_17partition_subalgoE1ExNS0_10empty_typeEbEEZZNS1_14partition_implILS5_1ELb0ES3_jN6thrust23THRUST_200600_302600_NS6detail15normal_iteratorINSA_10device_ptrIxEEEEPS6_NSA_18transform_iteratorI7is_evenIxESF_NSA_11use_defaultESK_EENS0_5tupleIJSF_NSA_16discard_iteratorISK_EEEEENSM_IJSG_SG_EEES6_PlJS6_EEE10hipError_tPvRmT3_T4_T5_T6_T7_T9_mT8_P12ihipStream_tbDpT10_ENKUlT_T0_E_clISt17integral_constantIbLb0EES1B_EEDaS16_S17_EUlS16_E_NS1_11comp_targetILNS1_3genE0ELNS1_11target_archE4294967295ELNS1_3gpuE0ELNS1_3repE0EEENS1_30default_config_static_selectorELNS0_4arch9wavefront6targetE1EEEvT1_
; %bb.0:
	.section	.rodata,"a",@progbits
	.p2align	6, 0x0
	.amdhsa_kernel _ZN7rocprim17ROCPRIM_400000_NS6detail17trampoline_kernelINS0_14default_configENS1_25partition_config_selectorILNS1_17partition_subalgoE1ExNS0_10empty_typeEbEEZZNS1_14partition_implILS5_1ELb0ES3_jN6thrust23THRUST_200600_302600_NS6detail15normal_iteratorINSA_10device_ptrIxEEEEPS6_NSA_18transform_iteratorI7is_evenIxESF_NSA_11use_defaultESK_EENS0_5tupleIJSF_NSA_16discard_iteratorISK_EEEEENSM_IJSG_SG_EEES6_PlJS6_EEE10hipError_tPvRmT3_T4_T5_T6_T7_T9_mT8_P12ihipStream_tbDpT10_ENKUlT_T0_E_clISt17integral_constantIbLb0EES1B_EEDaS16_S17_EUlS16_E_NS1_11comp_targetILNS1_3genE0ELNS1_11target_archE4294967295ELNS1_3gpuE0ELNS1_3repE0EEENS1_30default_config_static_selectorELNS0_4arch9wavefront6targetE1EEEvT1_
		.amdhsa_group_segment_fixed_size 0
		.amdhsa_private_segment_fixed_size 0
		.amdhsa_kernarg_size 136
		.amdhsa_user_sgpr_count 2
		.amdhsa_user_sgpr_dispatch_ptr 0
		.amdhsa_user_sgpr_queue_ptr 0
		.amdhsa_user_sgpr_kernarg_segment_ptr 1
		.amdhsa_user_sgpr_dispatch_id 0
		.amdhsa_user_sgpr_kernarg_preload_length 0
		.amdhsa_user_sgpr_kernarg_preload_offset 0
		.amdhsa_user_sgpr_private_segment_size 0
		.amdhsa_uses_dynamic_stack 0
		.amdhsa_enable_private_segment 0
		.amdhsa_system_sgpr_workgroup_id_x 1
		.amdhsa_system_sgpr_workgroup_id_y 0
		.amdhsa_system_sgpr_workgroup_id_z 0
		.amdhsa_system_sgpr_workgroup_info 0
		.amdhsa_system_vgpr_workitem_id 0
		.amdhsa_next_free_vgpr 1
		.amdhsa_next_free_sgpr 0
		.amdhsa_accum_offset 4
		.amdhsa_reserve_vcc 0
		.amdhsa_float_round_mode_32 0
		.amdhsa_float_round_mode_16_64 0
		.amdhsa_float_denorm_mode_32 3
		.amdhsa_float_denorm_mode_16_64 3
		.amdhsa_dx10_clamp 1
		.amdhsa_ieee_mode 1
		.amdhsa_fp16_overflow 0
		.amdhsa_tg_split 0
		.amdhsa_exception_fp_ieee_invalid_op 0
		.amdhsa_exception_fp_denorm_src 0
		.amdhsa_exception_fp_ieee_div_zero 0
		.amdhsa_exception_fp_ieee_overflow 0
		.amdhsa_exception_fp_ieee_underflow 0
		.amdhsa_exception_fp_ieee_inexact 0
		.amdhsa_exception_int_div_zero 0
	.end_amdhsa_kernel
	.section	.text._ZN7rocprim17ROCPRIM_400000_NS6detail17trampoline_kernelINS0_14default_configENS1_25partition_config_selectorILNS1_17partition_subalgoE1ExNS0_10empty_typeEbEEZZNS1_14partition_implILS5_1ELb0ES3_jN6thrust23THRUST_200600_302600_NS6detail15normal_iteratorINSA_10device_ptrIxEEEEPS6_NSA_18transform_iteratorI7is_evenIxESF_NSA_11use_defaultESK_EENS0_5tupleIJSF_NSA_16discard_iteratorISK_EEEEENSM_IJSG_SG_EEES6_PlJS6_EEE10hipError_tPvRmT3_T4_T5_T6_T7_T9_mT8_P12ihipStream_tbDpT10_ENKUlT_T0_E_clISt17integral_constantIbLb0EES1B_EEDaS16_S17_EUlS16_E_NS1_11comp_targetILNS1_3genE0ELNS1_11target_archE4294967295ELNS1_3gpuE0ELNS1_3repE0EEENS1_30default_config_static_selectorELNS0_4arch9wavefront6targetE1EEEvT1_,"axG",@progbits,_ZN7rocprim17ROCPRIM_400000_NS6detail17trampoline_kernelINS0_14default_configENS1_25partition_config_selectorILNS1_17partition_subalgoE1ExNS0_10empty_typeEbEEZZNS1_14partition_implILS5_1ELb0ES3_jN6thrust23THRUST_200600_302600_NS6detail15normal_iteratorINSA_10device_ptrIxEEEEPS6_NSA_18transform_iteratorI7is_evenIxESF_NSA_11use_defaultESK_EENS0_5tupleIJSF_NSA_16discard_iteratorISK_EEEEENSM_IJSG_SG_EEES6_PlJS6_EEE10hipError_tPvRmT3_T4_T5_T6_T7_T9_mT8_P12ihipStream_tbDpT10_ENKUlT_T0_E_clISt17integral_constantIbLb0EES1B_EEDaS16_S17_EUlS16_E_NS1_11comp_targetILNS1_3genE0ELNS1_11target_archE4294967295ELNS1_3gpuE0ELNS1_3repE0EEENS1_30default_config_static_selectorELNS0_4arch9wavefront6targetE1EEEvT1_,comdat
.Lfunc_end3195:
	.size	_ZN7rocprim17ROCPRIM_400000_NS6detail17trampoline_kernelINS0_14default_configENS1_25partition_config_selectorILNS1_17partition_subalgoE1ExNS0_10empty_typeEbEEZZNS1_14partition_implILS5_1ELb0ES3_jN6thrust23THRUST_200600_302600_NS6detail15normal_iteratorINSA_10device_ptrIxEEEEPS6_NSA_18transform_iteratorI7is_evenIxESF_NSA_11use_defaultESK_EENS0_5tupleIJSF_NSA_16discard_iteratorISK_EEEEENSM_IJSG_SG_EEES6_PlJS6_EEE10hipError_tPvRmT3_T4_T5_T6_T7_T9_mT8_P12ihipStream_tbDpT10_ENKUlT_T0_E_clISt17integral_constantIbLb0EES1B_EEDaS16_S17_EUlS16_E_NS1_11comp_targetILNS1_3genE0ELNS1_11target_archE4294967295ELNS1_3gpuE0ELNS1_3repE0EEENS1_30default_config_static_selectorELNS0_4arch9wavefront6targetE1EEEvT1_, .Lfunc_end3195-_ZN7rocprim17ROCPRIM_400000_NS6detail17trampoline_kernelINS0_14default_configENS1_25partition_config_selectorILNS1_17partition_subalgoE1ExNS0_10empty_typeEbEEZZNS1_14partition_implILS5_1ELb0ES3_jN6thrust23THRUST_200600_302600_NS6detail15normal_iteratorINSA_10device_ptrIxEEEEPS6_NSA_18transform_iteratorI7is_evenIxESF_NSA_11use_defaultESK_EENS0_5tupleIJSF_NSA_16discard_iteratorISK_EEEEENSM_IJSG_SG_EEES6_PlJS6_EEE10hipError_tPvRmT3_T4_T5_T6_T7_T9_mT8_P12ihipStream_tbDpT10_ENKUlT_T0_E_clISt17integral_constantIbLb0EES1B_EEDaS16_S17_EUlS16_E_NS1_11comp_targetILNS1_3genE0ELNS1_11target_archE4294967295ELNS1_3gpuE0ELNS1_3repE0EEENS1_30default_config_static_selectorELNS0_4arch9wavefront6targetE1EEEvT1_
                                        ; -- End function
	.section	.AMDGPU.csdata,"",@progbits
; Kernel info:
; codeLenInByte = 0
; NumSgprs: 6
; NumVgprs: 0
; NumAgprs: 0
; TotalNumVgprs: 0
; ScratchSize: 0
; MemoryBound: 0
; FloatMode: 240
; IeeeMode: 1
; LDSByteSize: 0 bytes/workgroup (compile time only)
; SGPRBlocks: 0
; VGPRBlocks: 0
; NumSGPRsForWavesPerEU: 6
; NumVGPRsForWavesPerEU: 1
; AccumOffset: 4
; Occupancy: 8
; WaveLimiterHint : 0
; COMPUTE_PGM_RSRC2:SCRATCH_EN: 0
; COMPUTE_PGM_RSRC2:USER_SGPR: 2
; COMPUTE_PGM_RSRC2:TRAP_HANDLER: 0
; COMPUTE_PGM_RSRC2:TGID_X_EN: 1
; COMPUTE_PGM_RSRC2:TGID_Y_EN: 0
; COMPUTE_PGM_RSRC2:TGID_Z_EN: 0
; COMPUTE_PGM_RSRC2:TIDIG_COMP_CNT: 0
; COMPUTE_PGM_RSRC3_GFX90A:ACCUM_OFFSET: 0
; COMPUTE_PGM_RSRC3_GFX90A:TG_SPLIT: 0
	.section	.text._ZN7rocprim17ROCPRIM_400000_NS6detail17trampoline_kernelINS0_14default_configENS1_25partition_config_selectorILNS1_17partition_subalgoE1ExNS0_10empty_typeEbEEZZNS1_14partition_implILS5_1ELb0ES3_jN6thrust23THRUST_200600_302600_NS6detail15normal_iteratorINSA_10device_ptrIxEEEEPS6_NSA_18transform_iteratorI7is_evenIxESF_NSA_11use_defaultESK_EENS0_5tupleIJSF_NSA_16discard_iteratorISK_EEEEENSM_IJSG_SG_EEES6_PlJS6_EEE10hipError_tPvRmT3_T4_T5_T6_T7_T9_mT8_P12ihipStream_tbDpT10_ENKUlT_T0_E_clISt17integral_constantIbLb0EES1B_EEDaS16_S17_EUlS16_E_NS1_11comp_targetILNS1_3genE5ELNS1_11target_archE942ELNS1_3gpuE9ELNS1_3repE0EEENS1_30default_config_static_selectorELNS0_4arch9wavefront6targetE1EEEvT1_,"axG",@progbits,_ZN7rocprim17ROCPRIM_400000_NS6detail17trampoline_kernelINS0_14default_configENS1_25partition_config_selectorILNS1_17partition_subalgoE1ExNS0_10empty_typeEbEEZZNS1_14partition_implILS5_1ELb0ES3_jN6thrust23THRUST_200600_302600_NS6detail15normal_iteratorINSA_10device_ptrIxEEEEPS6_NSA_18transform_iteratorI7is_evenIxESF_NSA_11use_defaultESK_EENS0_5tupleIJSF_NSA_16discard_iteratorISK_EEEEENSM_IJSG_SG_EEES6_PlJS6_EEE10hipError_tPvRmT3_T4_T5_T6_T7_T9_mT8_P12ihipStream_tbDpT10_ENKUlT_T0_E_clISt17integral_constantIbLb0EES1B_EEDaS16_S17_EUlS16_E_NS1_11comp_targetILNS1_3genE5ELNS1_11target_archE942ELNS1_3gpuE9ELNS1_3repE0EEENS1_30default_config_static_selectorELNS0_4arch9wavefront6targetE1EEEvT1_,comdat
	.protected	_ZN7rocprim17ROCPRIM_400000_NS6detail17trampoline_kernelINS0_14default_configENS1_25partition_config_selectorILNS1_17partition_subalgoE1ExNS0_10empty_typeEbEEZZNS1_14partition_implILS5_1ELb0ES3_jN6thrust23THRUST_200600_302600_NS6detail15normal_iteratorINSA_10device_ptrIxEEEEPS6_NSA_18transform_iteratorI7is_evenIxESF_NSA_11use_defaultESK_EENS0_5tupleIJSF_NSA_16discard_iteratorISK_EEEEENSM_IJSG_SG_EEES6_PlJS6_EEE10hipError_tPvRmT3_T4_T5_T6_T7_T9_mT8_P12ihipStream_tbDpT10_ENKUlT_T0_E_clISt17integral_constantIbLb0EES1B_EEDaS16_S17_EUlS16_E_NS1_11comp_targetILNS1_3genE5ELNS1_11target_archE942ELNS1_3gpuE9ELNS1_3repE0EEENS1_30default_config_static_selectorELNS0_4arch9wavefront6targetE1EEEvT1_ ; -- Begin function _ZN7rocprim17ROCPRIM_400000_NS6detail17trampoline_kernelINS0_14default_configENS1_25partition_config_selectorILNS1_17partition_subalgoE1ExNS0_10empty_typeEbEEZZNS1_14partition_implILS5_1ELb0ES3_jN6thrust23THRUST_200600_302600_NS6detail15normal_iteratorINSA_10device_ptrIxEEEEPS6_NSA_18transform_iteratorI7is_evenIxESF_NSA_11use_defaultESK_EENS0_5tupleIJSF_NSA_16discard_iteratorISK_EEEEENSM_IJSG_SG_EEES6_PlJS6_EEE10hipError_tPvRmT3_T4_T5_T6_T7_T9_mT8_P12ihipStream_tbDpT10_ENKUlT_T0_E_clISt17integral_constantIbLb0EES1B_EEDaS16_S17_EUlS16_E_NS1_11comp_targetILNS1_3genE5ELNS1_11target_archE942ELNS1_3gpuE9ELNS1_3repE0EEENS1_30default_config_static_selectorELNS0_4arch9wavefront6targetE1EEEvT1_
	.globl	_ZN7rocprim17ROCPRIM_400000_NS6detail17trampoline_kernelINS0_14default_configENS1_25partition_config_selectorILNS1_17partition_subalgoE1ExNS0_10empty_typeEbEEZZNS1_14partition_implILS5_1ELb0ES3_jN6thrust23THRUST_200600_302600_NS6detail15normal_iteratorINSA_10device_ptrIxEEEEPS6_NSA_18transform_iteratorI7is_evenIxESF_NSA_11use_defaultESK_EENS0_5tupleIJSF_NSA_16discard_iteratorISK_EEEEENSM_IJSG_SG_EEES6_PlJS6_EEE10hipError_tPvRmT3_T4_T5_T6_T7_T9_mT8_P12ihipStream_tbDpT10_ENKUlT_T0_E_clISt17integral_constantIbLb0EES1B_EEDaS16_S17_EUlS16_E_NS1_11comp_targetILNS1_3genE5ELNS1_11target_archE942ELNS1_3gpuE9ELNS1_3repE0EEENS1_30default_config_static_selectorELNS0_4arch9wavefront6targetE1EEEvT1_
	.p2align	8
	.type	_ZN7rocprim17ROCPRIM_400000_NS6detail17trampoline_kernelINS0_14default_configENS1_25partition_config_selectorILNS1_17partition_subalgoE1ExNS0_10empty_typeEbEEZZNS1_14partition_implILS5_1ELb0ES3_jN6thrust23THRUST_200600_302600_NS6detail15normal_iteratorINSA_10device_ptrIxEEEEPS6_NSA_18transform_iteratorI7is_evenIxESF_NSA_11use_defaultESK_EENS0_5tupleIJSF_NSA_16discard_iteratorISK_EEEEENSM_IJSG_SG_EEES6_PlJS6_EEE10hipError_tPvRmT3_T4_T5_T6_T7_T9_mT8_P12ihipStream_tbDpT10_ENKUlT_T0_E_clISt17integral_constantIbLb0EES1B_EEDaS16_S17_EUlS16_E_NS1_11comp_targetILNS1_3genE5ELNS1_11target_archE942ELNS1_3gpuE9ELNS1_3repE0EEENS1_30default_config_static_selectorELNS0_4arch9wavefront6targetE1EEEvT1_,@function
_ZN7rocprim17ROCPRIM_400000_NS6detail17trampoline_kernelINS0_14default_configENS1_25partition_config_selectorILNS1_17partition_subalgoE1ExNS0_10empty_typeEbEEZZNS1_14partition_implILS5_1ELb0ES3_jN6thrust23THRUST_200600_302600_NS6detail15normal_iteratorINSA_10device_ptrIxEEEEPS6_NSA_18transform_iteratorI7is_evenIxESF_NSA_11use_defaultESK_EENS0_5tupleIJSF_NSA_16discard_iteratorISK_EEEEENSM_IJSG_SG_EEES6_PlJS6_EEE10hipError_tPvRmT3_T4_T5_T6_T7_T9_mT8_P12ihipStream_tbDpT10_ENKUlT_T0_E_clISt17integral_constantIbLb0EES1B_EEDaS16_S17_EUlS16_E_NS1_11comp_targetILNS1_3genE5ELNS1_11target_archE942ELNS1_3gpuE9ELNS1_3repE0EEENS1_30default_config_static_selectorELNS0_4arch9wavefront6targetE1EEEvT1_: ; @_ZN7rocprim17ROCPRIM_400000_NS6detail17trampoline_kernelINS0_14default_configENS1_25partition_config_selectorILNS1_17partition_subalgoE1ExNS0_10empty_typeEbEEZZNS1_14partition_implILS5_1ELb0ES3_jN6thrust23THRUST_200600_302600_NS6detail15normal_iteratorINSA_10device_ptrIxEEEEPS6_NSA_18transform_iteratorI7is_evenIxESF_NSA_11use_defaultESK_EENS0_5tupleIJSF_NSA_16discard_iteratorISK_EEEEENSM_IJSG_SG_EEES6_PlJS6_EEE10hipError_tPvRmT3_T4_T5_T6_T7_T9_mT8_P12ihipStream_tbDpT10_ENKUlT_T0_E_clISt17integral_constantIbLb0EES1B_EEDaS16_S17_EUlS16_E_NS1_11comp_targetILNS1_3genE5ELNS1_11target_archE942ELNS1_3gpuE9ELNS1_3repE0EEENS1_30default_config_static_selectorELNS0_4arch9wavefront6targetE1EEEvT1_
; %bb.0:
	s_load_dwordx2 s[4:5], s[0:1], 0x68
	s_load_dwordx4 s[12:15], s[0:1], 0x8
	s_load_dwordx2 s[6:7], s[0:1], 0x20
	s_load_dwordx4 s[20:23], s[0:1], 0x58
	s_load_dword s3, s[0:1], 0x80
	s_waitcnt lgkmcnt(0)
	v_mov_b32_e32 v3, s5
	s_lshl_b64 s[8:9], s[14:15], 3
	s_add_u32 s12, s12, s8
	s_addc_u32 s13, s13, s9
	s_add_i32 s16, s3, -1
	s_mulk_i32 s3, 0xe00
	s_add_i32 s5, s3, s14
	s_sub_i32 s33, s4, s5
	s_addk_i32 s33, 0xe00
	v_mov_b32_e32 v2, s4
	s_add_u32 s4, s14, s3
	s_addc_u32 s5, s15, 0
	s_cmp_eq_u32 s2, s16
	s_load_dwordx2 s[22:23], s[22:23], 0x0
	s_cselect_b64 s[24:25], -1, 0
	s_cmp_lg_u32 s2, s16
	s_mul_i32 s10, s2, 0xe00
	s_mov_b32 s11, 0
	v_cmp_lt_u64_e32 vcc, s[4:5], v[2:3]
	s_cselect_b64 s[4:5], -1, 0
	s_or_b64 s[26:27], s[4:5], vcc
	s_lshl_b64 s[10:11], s[10:11], 3
	s_add_u32 s12, s12, s10
	s_addc_u32 s13, s13, s11
	s_mov_b64 s[4:5], -1
	s_and_b64 vcc, exec, s[26:27]
	v_lshlrev_b32_e32 v18, 3, v0
	s_cbranch_vccz .LBB3196_2
; %bb.1:
	v_mov_b32_e32 v19, 0
	v_lshl_add_u64 v[2:3], s[12:13], 0, v[18:19]
	v_add_co_u32_e32 v4, vcc, 0x1000, v2
	s_mov_b64 s[4:5], 0
	s_nop 0
	v_addc_co_u32_e32 v5, vcc, 0, v3, vcc
	v_add_co_u32_e32 v6, vcc, 0x2000, v2
	s_nop 1
	v_addc_co_u32_e32 v7, vcc, 0, v3, vcc
	v_add_co_u32_e32 v8, vcc, 0x3000, v2
	s_nop 1
	v_addc_co_u32_e32 v9, vcc, 0, v3, vcc
	flat_load_dwordx2 v[10:11], v[2:3]
	flat_load_dwordx2 v[12:13], v[4:5]
	;; [unrolled: 1-line block ×4, first 2 shown]
	v_add_co_u32_e32 v4, vcc, 0x4000, v2
	s_nop 1
	v_addc_co_u32_e32 v5, vcc, 0, v3, vcc
	v_add_co_u32_e32 v6, vcc, 0x5000, v2
	s_nop 1
	v_addc_co_u32_e32 v7, vcc, 0, v3, vcc
	;; [unrolled: 3-line block ×3, first 2 shown]
	flat_load_dwordx2 v[8:9], v[4:5]
	flat_load_dwordx2 v[20:21], v[6:7]
	;; [unrolled: 1-line block ×3, first 2 shown]
	s_waitcnt vmcnt(0) lgkmcnt(0)
	ds_write2st64_b64 v18, v[10:11], v[12:13] offset1:8
	ds_write2st64_b64 v18, v[14:15], v[16:17] offset0:16 offset1:24
	ds_write2st64_b64 v18, v[8:9], v[20:21] offset0:32 offset1:40
	ds_write_b64 v18, v[22:23] offset:24576
	s_waitcnt lgkmcnt(0)
	s_barrier
.LBB3196_2:
	s_andn2_b64 vcc, exec, s[4:5]
	v_cmp_gt_u32_e64 s[4:5], s33, v0
	s_cbranch_vccnz .LBB3196_18
; %bb.3:
                                        ; implicit-def: $vgpr2_vgpr3_vgpr4_vgpr5_vgpr6_vgpr7_vgpr8_vgpr9_vgpr10_vgpr11_vgpr12_vgpr13_vgpr14_vgpr15_vgpr16_vgpr17
	s_and_saveexec_b64 s[14:15], s[4:5]
	s_cbranch_execz .LBB3196_5
; %bb.4:
	v_mov_b32_e32 v19, 0
	v_lshl_add_u64 v[2:3], s[12:13], 0, v[18:19]
	flat_load_dwordx2 v[2:3], v[2:3]
.LBB3196_5:
	s_or_b64 exec, exec, s[14:15]
	v_or_b32_e32 v1, 0x200, v0
	v_cmp_gt_u32_e32 vcc, s33, v1
	s_and_saveexec_b64 s[4:5], vcc
	s_cbranch_execz .LBB3196_7
; %bb.6:
	v_lshlrev_b32_e32 v4, 3, v1
	v_mov_b32_e32 v5, 0
	v_lshl_add_u64 v[4:5], s[12:13], 0, v[4:5]
	flat_load_dwordx2 v[4:5], v[4:5]
.LBB3196_7:
	s_or_b64 exec, exec, s[4:5]
	v_or_b32_e32 v1, 0x400, v0
	v_cmp_gt_u32_e32 vcc, s33, v1
	s_and_saveexec_b64 s[4:5], vcc
	s_cbranch_execz .LBB3196_9
; %bb.8:
	v_lshlrev_b32_e32 v6, 3, v1
	v_mov_b32_e32 v7, 0
	v_lshl_add_u64 v[6:7], s[12:13], 0, v[6:7]
	flat_load_dwordx2 v[6:7], v[6:7]
.LBB3196_9:
	;; [unrolled: 11-line block ×6, first 2 shown]
	s_or_b64 exec, exec, s[4:5]
	s_waitcnt vmcnt(0) lgkmcnt(0)
	ds_write2st64_b64 v18, v[2:3], v[4:5] offset1:8
	ds_write2st64_b64 v18, v[6:7], v[8:9] offset0:16 offset1:24
	ds_write2st64_b64 v18, v[10:11], v[12:13] offset0:32 offset1:40
	ds_write_b64 v18, v[14:15] offset:24576
	s_waitcnt lgkmcnt(0)
	s_barrier
.LBB3196_18:
	v_mul_u32_u24_e32 v1, 7, v0
	v_lshlrev_b32_e32 v16, 3, v1
	s_waitcnt lgkmcnt(0)
	ds_read2_b64 v[10:13], v16 offset1:1
	ds_read2_b64 v[6:9], v16 offset0:2 offset1:3
	ds_read2_b64 v[2:5], v16 offset0:4 offset1:5
	ds_read_b64 v[14:15], v16 offset:48
	s_add_u32 s3, s6, s8
	s_addc_u32 s5, s7, s9
	s_add_u32 s4, s3, s10
	s_addc_u32 s5, s5, s11
	s_mov_b64 s[6:7], -1
	s_and_b64 vcc, exec, s[26:27]
	s_waitcnt lgkmcnt(0)
	s_barrier
	s_cbranch_vccz .LBB3196_20
; %bb.19:
	v_mov_b32_e32 v19, 0
	v_lshl_add_u64 v[20:21], s[4:5], 0, v[18:19]
	v_add_co_u32_e32 v24, vcc, 0x1000, v20
	global_load_dwordx2 v[22:23], v18, s[4:5]
	s_nop 0
	v_addc_co_u32_e32 v25, vcc, 0, v21, vcc
	v_add_co_u32_e32 v26, vcc, 0x2000, v20
	s_mov_b64 s[6:7], 0
	s_nop 0
	v_addc_co_u32_e32 v27, vcc, 0, v21, vcc
	v_add_co_u32_e32 v28, vcc, 0x3000, v20
	s_waitcnt vmcnt(0)
	v_xor_b32_e32 v17, -1, v22
	v_addc_co_u32_e32 v29, vcc, 0, v21, vcc
	v_add_co_u32_e32 v30, vcc, 0x4000, v20
	v_and_b32_e32 v17, 1, v17
	s_nop 0
	v_addc_co_u32_e32 v31, vcc, 0, v21, vcc
	global_load_dwordx2 v[32:33], v[24:25], off
	global_load_dwordx2 v[34:35], v[26:27], off
	;; [unrolled: 1-line block ×4, first 2 shown]
	v_add_co_u32_e32 v24, vcc, 0x5000, v20
	ds_write_b8 v0, v17
	s_nop 0
	v_addc_co_u32_e32 v25, vcc, 0, v21, vcc
	v_add_co_u32_e32 v20, vcc, 0x6000, v20
	global_load_dwordx2 v[24:25], v[24:25], off
	s_nop 0
	v_addc_co_u32_e32 v21, vcc, 0, v21, vcc
	global_load_dwordx2 v[20:21], v[20:21], off
	s_waitcnt vmcnt(5)
	v_xor_b32_e32 v17, -1, v32
	v_and_b32_e32 v17, 1, v17
	s_waitcnt vmcnt(4)
	v_xor_b32_e32 v19, -1, v34
	s_waitcnt vmcnt(0)
	v_xor_b32_e32 v21, -1, v36
	v_and_b32_e32 v19, 1, v19
	ds_write_b8 v0, v17 offset:512
	v_and_b32_e32 v17, 1, v21
	v_xor_b32_e32 v21, -1, v38
	ds_write_b8 v0, v19 offset:1024
	v_and_b32_e32 v19, 1, v21
	ds_write_b8 v0, v17 offset:1536
	v_xor_b32_e32 v21, -1, v24
	v_and_b32_e32 v17, 1, v21
	ds_write_b8 v0, v19 offset:2048
	v_xor_b32_e32 v20, -1, v20
	v_and_b32_e32 v19, 1, v20
	ds_write_b8 v0, v17 offset:2560
	ds_write_b8 v0, v19 offset:3072
	s_waitcnt lgkmcnt(0)
	s_barrier
.LBB3196_20:
	s_load_dwordx2 s[28:29], s[0:1], 0x78
	s_andn2_b64 vcc, exec, s[6:7]
	s_cbranch_vccnz .LBB3196_36
; %bb.21:
	v_cmp_gt_u32_e32 vcc, s33, v0
	v_mov_b32_e32 v17, 0
	v_mov_b32_e32 v19, 0
	s_and_saveexec_b64 s[6:7], vcc
	s_cbranch_execz .LBB3196_23
; %bb.22:
	global_load_dwordx2 v[20:21], v18, s[4:5]
	s_waitcnt vmcnt(0)
	v_xor_b32_e32 v19, -1, v20
	v_and_b32_e32 v19, 1, v19
.LBB3196_23:
	s_or_b64 exec, exec, s[6:7]
	v_or_b32_e32 v20, 0x200, v0
	v_cmp_gt_u32_e32 vcc, s33, v20
	s_and_saveexec_b64 s[6:7], vcc
	s_cbranch_execz .LBB3196_25
; %bb.24:
	v_lshlrev_b32_e32 v17, 3, v20
	global_load_dwordx2 v[20:21], v17, s[4:5]
	s_waitcnt vmcnt(0)
	v_xor_b32_e32 v17, -1, v20
	v_and_b32_e32 v17, 1, v17
.LBB3196_25:
	s_or_b64 exec, exec, s[6:7]
	v_or_b32_e32 v22, 0x400, v0
	v_cmp_gt_u32_e32 vcc, s33, v22
	v_mov_b32_e32 v20, 0
	v_mov_b32_e32 v21, 0
	s_and_saveexec_b64 s[6:7], vcc
	s_cbranch_execz .LBB3196_27
; %bb.26:
	v_lshlrev_b32_e32 v21, 3, v22
	global_load_dwordx2 v[22:23], v21, s[4:5]
	s_waitcnt vmcnt(0)
	v_xor_b32_e32 v21, -1, v22
	v_and_b32_e32 v21, 1, v21
.LBB3196_27:
	s_or_b64 exec, exec, s[6:7]
	v_or_b32_e32 v22, 0x600, v0
	v_cmp_gt_u32_e32 vcc, s33, v22
	s_and_saveexec_b64 s[6:7], vcc
	s_cbranch_execz .LBB3196_29
; %bb.28:
	v_lshlrev_b32_e32 v20, 3, v22
	global_load_dwordx2 v[22:23], v20, s[4:5]
	s_waitcnt vmcnt(0)
	v_xor_b32_e32 v20, -1, v22
	v_and_b32_e32 v20, 1, v20
.LBB3196_29:
	s_or_b64 exec, exec, s[6:7]
	v_or_b32_e32 v24, 0x800, v0
	v_cmp_gt_u32_e32 vcc, s33, v24
	v_mov_b32_e32 v22, 0
	v_mov_b32_e32 v23, 0
	s_and_saveexec_b64 s[6:7], vcc
	s_cbranch_execz .LBB3196_31
; %bb.30:
	v_lshlrev_b32_e32 v23, 3, v24
	global_load_dwordx2 v[24:25], v23, s[4:5]
	s_waitcnt vmcnt(0)
	v_xor_b32_e32 v23, -1, v24
	v_and_b32_e32 v23, 1, v23
.LBB3196_31:
	s_or_b64 exec, exec, s[6:7]
	v_or_b32_e32 v24, 0xa00, v0
	v_cmp_gt_u32_e32 vcc, s33, v24
	s_and_saveexec_b64 s[6:7], vcc
	s_cbranch_execz .LBB3196_33
; %bb.32:
	v_lshlrev_b32_e32 v22, 3, v24
	global_load_dwordx2 v[24:25], v22, s[4:5]
	s_waitcnt vmcnt(0)
	v_xor_b32_e32 v22, -1, v24
	v_and_b32_e32 v22, 1, v22
.LBB3196_33:
	s_or_b64 exec, exec, s[6:7]
	v_or_b32_e32 v25, 0xc00, v0
	v_cmp_gt_u32_e32 vcc, s33, v25
	v_mov_b32_e32 v24, 0
	s_and_saveexec_b64 s[6:7], vcc
	s_cbranch_execz .LBB3196_35
; %bb.34:
	v_lshlrev_b32_e32 v24, 3, v25
	global_load_dwordx2 v[24:25], v24, s[4:5]
	s_waitcnt vmcnt(0)
	v_xor_b32_e32 v24, -1, v24
	v_and_b32_e32 v24, 1, v24
.LBB3196_35:
	s_or_b64 exec, exec, s[6:7]
	ds_write_b8 v0, v19
	ds_write_b8 v0, v17 offset:512
	ds_write_b8 v0, v21 offset:1024
	;; [unrolled: 1-line block ×6, first 2 shown]
	s_waitcnt lgkmcnt(0)
	s_barrier
.LBB3196_36:
	s_movk_i32 s3, 0xffcf
	v_mad_i32_i24 v35, v0, s3, v16
	s_waitcnt lgkmcnt(0)
	ds_read_u8 v16, v35
	ds_read_u8 v17, v35 offset:1
	ds_read_u8 v19, v35 offset:2
	;; [unrolled: 1-line block ×6, first 2 shown]
	s_waitcnt lgkmcnt(6)
	v_and_b32_e32 v33, 1, v16
	s_waitcnt lgkmcnt(5)
	v_and_b32_e32 v32, 1, v17
	;; [unrolled: 2-line block ×5, first 2 shown]
	v_add3_u32 v16, v32, v33, v31
	s_waitcnt lgkmcnt(1)
	v_and_b32_e32 v28, 1, v22
	s_waitcnt lgkmcnt(0)
	v_and_b32_e32 v19, 1, v23
	v_add3_u32 v16, v16, v30, v29
	v_add3_u32 v37, v16, v28, v19
	v_mbcnt_lo_u32_b32 v16, -1, 0
	v_mbcnt_hi_u32_b32 v34, -1, v16
	v_and_b32_e32 v16, 15, v34
	v_cmp_eq_u32_e64 s[14:15], 0, v16
	v_cmp_lt_u32_e64 s[12:13], 1, v16
	v_cmp_lt_u32_e64 s[10:11], 3, v16
	;; [unrolled: 1-line block ×3, first 2 shown]
	v_and_b32_e32 v16, 16, v34
	v_cmp_eq_u32_e64 s[6:7], 0, v16
	v_or_b32_e32 v16, 63, v0
	s_cmp_lg_u32 s2, 0
	v_cmp_lt_u32_e64 s[18:19], 31, v34
	v_lshrrev_b32_e32 v36, 6, v0
	v_cmp_eq_u32_e64 s[4:5], v16, v0
	s_barrier
	s_cbranch_scc0 .LBB3196_63
; %bb.37:
	v_mov_b32_dpp v16, v37 row_shr:1 row_mask:0xf bank_mask:0xf
	v_cndmask_b32_e64 v16, v16, 0, s[14:15]
	v_add_u32_e32 v16, v16, v37
	s_nop 1
	v_mov_b32_dpp v17, v16 row_shr:2 row_mask:0xf bank_mask:0xf
	v_cndmask_b32_e64 v17, 0, v17, s[12:13]
	v_add_u32_e32 v16, v16, v17
	s_nop 1
	;; [unrolled: 4-line block ×4, first 2 shown]
	v_mov_b32_dpp v17, v16 row_bcast:15 row_mask:0xf bank_mask:0xf
	v_cndmask_b32_e64 v17, v17, 0, s[6:7]
	v_add_u32_e32 v16, v16, v17
	s_nop 1
	v_mov_b32_dpp v17, v16 row_bcast:31 row_mask:0xf bank_mask:0xf
	v_cndmask_b32_e64 v17, 0, v17, s[18:19]
	v_add_u32_e32 v16, v16, v17
	s_and_saveexec_b64 s[16:17], s[4:5]
	s_cbranch_execz .LBB3196_39
; %bb.38:
	v_lshlrev_b32_e32 v17, 2, v36
	ds_write_b32 v17, v16
.LBB3196_39:
	s_or_b64 exec, exec, s[16:17]
	v_cmp_gt_u32_e32 vcc, 8, v0
	s_waitcnt lgkmcnt(0)
	s_barrier
	s_and_saveexec_b64 s[16:17], vcc
	s_cbranch_execz .LBB3196_41
; %bb.40:
	v_lshlrev_b32_e32 v17, 2, v0
	ds_read_b32 v20, v17
	v_and_b32_e32 v21, 7, v34
	v_cmp_ne_u32_e32 vcc, 0, v21
	s_waitcnt lgkmcnt(0)
	v_mov_b32_dpp v22, v20 row_shr:1 row_mask:0xf bank_mask:0xf
	v_cndmask_b32_e32 v22, 0, v22, vcc
	v_add_u32_e32 v20, v22, v20
	v_cmp_lt_u32_e32 vcc, 1, v21
	s_nop 0
	v_mov_b32_dpp v22, v20 row_shr:2 row_mask:0xf bank_mask:0xf
	v_cndmask_b32_e32 v22, 0, v22, vcc
	v_add_u32_e32 v20, v20, v22
	v_cmp_lt_u32_e32 vcc, 3, v21
	s_nop 0
	v_mov_b32_dpp v22, v20 row_shr:4 row_mask:0xf bank_mask:0xf
	v_cndmask_b32_e32 v21, 0, v22, vcc
	v_add_u32_e32 v20, v20, v21
	ds_write_b32 v17, v20
.LBB3196_41:
	s_or_b64 exec, exec, s[16:17]
	v_cmp_gt_u32_e32 vcc, 64, v0
	v_cmp_lt_u32_e64 s[16:17], 63, v0
	s_waitcnt lgkmcnt(0)
	s_barrier
	s_waitcnt lgkmcnt(0)
                                        ; implicit-def: $vgpr38
	s_and_saveexec_b64 s[30:31], s[16:17]
	s_cbranch_execz .LBB3196_43
; %bb.42:
	v_lshl_add_u32 v17, v36, 2, -4
	ds_read_b32 v38, v17
	s_waitcnt lgkmcnt(0)
	v_add_u32_e32 v16, v38, v16
.LBB3196_43:
	s_or_b64 exec, exec, s[30:31]
	v_add_u32_e32 v17, -1, v34
	v_and_b32_e32 v20, 64, v34
	v_cmp_lt_i32_e64 s[16:17], v17, v20
	s_nop 1
	v_cndmask_b32_e64 v17, v17, v34, s[16:17]
	v_lshlrev_b32_e32 v17, 2, v17
	ds_bpermute_b32 v39, v17, v16
	v_cmp_eq_u32_e64 s[16:17], 0, v34
	s_and_saveexec_b64 s[30:31], vcc
	s_cbranch_execz .LBB3196_62
; %bb.44:
	v_mov_b32_e32 v25, 0
	ds_read_b32 v16, v25 offset:28
	s_and_saveexec_b64 s[34:35], s[16:17]
	s_cbranch_execz .LBB3196_46
; %bb.45:
	s_add_i32 s36, s2, 64
	s_mov_b32 s37, 0
	s_lshl_b64 s[36:37], s[36:37], 3
	s_add_u32 s36, s28, s36
	v_mov_b32_e32 v17, 1
	s_addc_u32 s37, s29, s37
	s_waitcnt lgkmcnt(0)
	global_store_dwordx2 v25, v[16:17], s[36:37] sc1
.LBB3196_46:
	s_or_b64 exec, exec, s[34:35]
	v_xad_u32 v20, v34, -1, s2
	v_add_u32_e32 v24, 64, v20
	v_lshl_add_u64 v[26:27], v[24:25], 3, s[28:29]
	global_load_dwordx2 v[22:23], v[26:27], off sc1
	s_waitcnt vmcnt(0)
	v_cmp_eq_u16_sdwa s[36:37], v23, v25 src0_sel:BYTE_0 src1_sel:DWORD
	s_and_saveexec_b64 s[34:35], s[36:37]
	s_cbranch_execz .LBB3196_50
; %bb.47:
	s_mov_b64 s[36:37], 0
	v_mov_b32_e32 v17, 0
.LBB3196_48:                            ; =>This Inner Loop Header: Depth=1
	global_load_dwordx2 v[22:23], v[26:27], off sc1
	s_waitcnt vmcnt(0)
	v_cmp_ne_u16_sdwa s[38:39], v23, v17 src0_sel:BYTE_0 src1_sel:DWORD
	s_or_b64 s[36:37], s[38:39], s[36:37]
	s_andn2_b64 exec, exec, s[36:37]
	s_cbranch_execnz .LBB3196_48
; %bb.49:
	s_or_b64 exec, exec, s[36:37]
.LBB3196_50:
	s_or_b64 exec, exec, s[34:35]
	v_and_b32_e32 v41, 63, v34
	v_mov_b32_e32 v40, 2
	v_cmp_ne_u32_e32 vcc, 63, v41
	v_cmp_eq_u16_sdwa s[34:35], v23, v40 src0_sel:BYTE_0 src1_sel:DWORD
	v_lshlrev_b64 v[24:25], v34, -1
	v_addc_co_u32_e32 v26, vcc, 0, v34, vcc
	v_and_b32_e32 v17, s35, v25
	v_lshlrev_b32_e32 v42, 2, v26
	v_or_b32_e32 v17, 0x80000000, v17
	ds_bpermute_b32 v26, v42, v22
	v_and_b32_e32 v21, s34, v24
	v_ffbl_b32_e32 v17, v17
	v_add_u32_e32 v17, 32, v17
	v_ffbl_b32_e32 v21, v21
	v_min_u32_e32 v17, v21, v17
	v_cmp_lt_u32_e32 vcc, v41, v17
	v_add_u32_e32 v44, 2, v41
	v_add_u32_e32 v46, 4, v41
	s_waitcnt lgkmcnt(0)
	v_cndmask_b32_e32 v21, 0, v26, vcc
	v_cmp_gt_u32_e32 vcc, 62, v41
	v_add_u32_e32 v21, v21, v22
	v_add_u32_e32 v48, 8, v41
	v_cndmask_b32_e64 v22, 0, 1, vcc
	v_lshlrev_b32_e32 v22, 1, v22
	v_add_lshl_u32 v43, v22, v34, 2
	ds_bpermute_b32 v22, v43, v21
	v_cmp_le_u32_e32 vcc, v44, v17
	v_add_u32_e32 v50, 16, v41
	v_add_u32_e32 v52, 32, v41
	s_waitcnt lgkmcnt(0)
	v_cndmask_b32_e32 v22, 0, v22, vcc
	v_cmp_gt_u32_e32 vcc, 60, v41
	v_add_u32_e32 v21, v21, v22
	s_nop 0
	v_cndmask_b32_e64 v22, 0, 1, vcc
	v_lshlrev_b32_e32 v22, 2, v22
	v_add_lshl_u32 v45, v22, v34, 2
	ds_bpermute_b32 v22, v45, v21
	v_cmp_le_u32_e32 vcc, v46, v17
	s_waitcnt lgkmcnt(0)
	s_nop 0
	v_cndmask_b32_e32 v22, 0, v22, vcc
	v_cmp_gt_u32_e32 vcc, 56, v41
	v_add_u32_e32 v21, v21, v22
	s_nop 0
	v_cndmask_b32_e64 v22, 0, 1, vcc
	v_lshlrev_b32_e32 v22, 3, v22
	v_add_lshl_u32 v47, v22, v34, 2
	ds_bpermute_b32 v22, v47, v21
	v_cmp_le_u32_e32 vcc, v48, v17
	s_waitcnt lgkmcnt(0)
	s_nop 0
	;; [unrolled: 11-line block ×4, first 2 shown]
	v_cndmask_b32_e32 v17, 0, v22, vcc
	v_add_u32_e32 v22, v21, v17
	v_mov_b32_e32 v21, 0
	s_branch .LBB3196_52
.LBB3196_51:                            ;   in Loop: Header=BB3196_52 Depth=1
	s_or_b64 exec, exec, s[34:35]
	v_cmp_eq_u16_sdwa s[34:35], v23, v40 src0_sel:BYTE_0 src1_sel:DWORD
	ds_bpermute_b32 v53, v42, v22
	v_subrev_u32_e32 v20, 64, v20
	v_and_b32_e32 v26, s35, v25
	v_or_b32_e32 v26, 0x80000000, v26
	v_and_b32_e32 v27, s34, v24
	v_ffbl_b32_e32 v26, v26
	v_add_u32_e32 v26, 32, v26
	v_ffbl_b32_e32 v27, v27
	v_min_u32_e32 v26, v27, v26
	v_cmp_lt_u32_e32 vcc, v41, v26
	s_waitcnt lgkmcnt(0)
	s_nop 0
	v_cndmask_b32_e32 v27, 0, v53, vcc
	v_add_u32_e32 v22, v27, v22
	ds_bpermute_b32 v27, v43, v22
	v_cmp_le_u32_e32 vcc, v44, v26
	s_waitcnt lgkmcnt(0)
	s_nop 0
	v_cndmask_b32_e32 v27, 0, v27, vcc
	v_add_u32_e32 v22, v22, v27
	ds_bpermute_b32 v27, v45, v22
	v_cmp_le_u32_e32 vcc, v46, v26
	;; [unrolled: 6-line block ×5, first 2 shown]
	s_waitcnt lgkmcnt(0)
	s_nop 0
	v_cndmask_b32_e32 v26, 0, v27, vcc
	v_add3_u32 v22, v26, v17, v22
.LBB3196_52:                            ; =>This Loop Header: Depth=1
                                        ;     Child Loop BB3196_55 Depth 2
	v_cmp_ne_u16_sdwa s[34:35], v23, v40 src0_sel:BYTE_0 src1_sel:DWORD
	s_nop 1
	v_cndmask_b32_e64 v17, 0, 1, s[34:35]
	;;#ASMSTART
	;;#ASMEND
	s_nop 0
	v_cmp_ne_u32_e32 vcc, 0, v17
	s_cmp_lg_u64 vcc, exec
	v_mov_b32_e32 v17, v22
	s_cbranch_scc1 .LBB3196_57
; %bb.53:                               ;   in Loop: Header=BB3196_52 Depth=1
	v_lshl_add_u64 v[26:27], v[20:21], 3, s[28:29]
	global_load_dwordx2 v[22:23], v[26:27], off sc1
	s_waitcnt vmcnt(0)
	v_cmp_eq_u16_sdwa s[36:37], v23, v21 src0_sel:BYTE_0 src1_sel:DWORD
	s_and_saveexec_b64 s[34:35], s[36:37]
	s_cbranch_execz .LBB3196_51
; %bb.54:                               ;   in Loop: Header=BB3196_52 Depth=1
	s_mov_b64 s[36:37], 0
.LBB3196_55:                            ;   Parent Loop BB3196_52 Depth=1
                                        ; =>  This Inner Loop Header: Depth=2
	global_load_dwordx2 v[22:23], v[26:27], off sc1
	s_waitcnt vmcnt(0)
	v_cmp_ne_u16_sdwa s[38:39], v23, v21 src0_sel:BYTE_0 src1_sel:DWORD
	s_or_b64 s[36:37], s[38:39], s[36:37]
	s_andn2_b64 exec, exec, s[36:37]
	s_cbranch_execnz .LBB3196_55
; %bb.56:                               ;   in Loop: Header=BB3196_52 Depth=1
	s_or_b64 exec, exec, s[36:37]
	s_branch .LBB3196_51
.LBB3196_57:                            ;   in Loop: Header=BB3196_52 Depth=1
                                        ; implicit-def: $vgpr22
                                        ; implicit-def: $vgpr23
	s_cbranch_execz .LBB3196_52
; %bb.58:
	s_and_saveexec_b64 s[34:35], s[16:17]
	s_cbranch_execz .LBB3196_60
; %bb.59:
	s_add_i32 s2, s2, 64
	s_mov_b32 s3, 0
	s_lshl_b64 s[2:3], s[2:3], 3
	s_add_u32 s2, s28, s2
	v_add_u32_e32 v20, v17, v16
	v_mov_b32_e32 v21, 2
	s_addc_u32 s3, s29, s3
	v_mov_b32_e32 v22, 0
	global_store_dwordx2 v22, v[20:21], s[2:3] sc1
	ds_write_b64 v22, v[16:17] offset:28672
.LBB3196_60:
	s_or_b64 exec, exec, s[34:35]
	v_cmp_eq_u32_e32 vcc, 0, v0
	s_and_b64 exec, exec, vcc
	s_cbranch_execz .LBB3196_62
; %bb.61:
	v_mov_b32_e32 v16, 0
	ds_write_b32 v16, v17 offset:28
.LBB3196_62:
	s_or_b64 exec, exec, s[30:31]
	v_mov_b32_e32 v16, 0
	s_waitcnt lgkmcnt(0)
	s_barrier
	ds_read_b32 v17, v16 offset:28
	v_cndmask_b32_e64 v20, v39, v38, s[16:17]
	v_cmp_ne_u32_e32 vcc, 0, v0
	s_waitcnt lgkmcnt(0)
	s_barrier
	v_cndmask_b32_e32 v20, 0, v20, vcc
	v_add_u32_e32 v27, v17, v20
	v_add_u32_e32 v26, v27, v33
	ds_read_b64 v[16:17], v16 offset:28672
	v_add_u32_e32 v25, v26, v32
	v_add_u32_e32 v23, v25, v31
	;; [unrolled: 1-line block ×5, first 2 shown]
	s_waitcnt lgkmcnt(0)
	v_mov_b32_e32 v20, v17
	s_load_dwordx2 s[2:3], s[0:1], 0x30
	s_branch .LBB3196_73
.LBB3196_63:
                                        ; implicit-def: $vgpr20
                                        ; implicit-def: $vgpr16
                                        ; implicit-def: $vgpr21
                                        ; implicit-def: $vgpr22
                                        ; implicit-def: $vgpr24
                                        ; implicit-def: $vgpr23
                                        ; implicit-def: $vgpr25
                                        ; implicit-def: $vgpr26
                                        ; implicit-def: $vgpr27
	s_load_dwordx2 s[2:3], s[0:1], 0x30
	s_cbranch_execz .LBB3196_73
; %bb.64:
	v_mov_b32_dpp v16, v37 row_shr:1 row_mask:0xf bank_mask:0xf
	v_cndmask_b32_e64 v16, v16, 0, s[14:15]
	v_add_u32_e32 v16, v16, v37
	s_nop 1
	v_mov_b32_dpp v17, v16 row_shr:2 row_mask:0xf bank_mask:0xf
	v_cndmask_b32_e64 v17, 0, v17, s[12:13]
	v_add_u32_e32 v16, v16, v17
	s_nop 1
	;; [unrolled: 4-line block ×4, first 2 shown]
	v_mov_b32_dpp v17, v16 row_bcast:15 row_mask:0xf bank_mask:0xf
	v_cndmask_b32_e64 v17, v17, 0, s[6:7]
	v_add_u32_e32 v16, v16, v17
	s_nop 1
	v_mov_b32_dpp v17, v16 row_bcast:31 row_mask:0xf bank_mask:0xf
	v_cndmask_b32_e64 v17, 0, v17, s[18:19]
	v_add_u32_e32 v16, v16, v17
	s_and_saveexec_b64 s[0:1], s[4:5]
	s_cbranch_execz .LBB3196_66
; %bb.65:
	v_lshlrev_b32_e32 v17, 2, v36
	ds_write_b32 v17, v16
.LBB3196_66:
	s_or_b64 exec, exec, s[0:1]
	v_cmp_gt_u32_e32 vcc, 8, v0
	s_waitcnt lgkmcnt(0)
	s_barrier
	s_and_saveexec_b64 s[0:1], vcc
	s_cbranch_execz .LBB3196_68
; %bb.67:
	v_mad_i32_i24 v17, v0, -3, v35
	ds_read_b32 v20, v17
	v_and_b32_e32 v21, 7, v34
	v_cmp_ne_u32_e32 vcc, 0, v21
	s_waitcnt lgkmcnt(0)
	v_mov_b32_dpp v22, v20 row_shr:1 row_mask:0xf bank_mask:0xf
	v_cndmask_b32_e32 v22, 0, v22, vcc
	v_add_u32_e32 v20, v22, v20
	v_cmp_lt_u32_e32 vcc, 1, v21
	s_nop 0
	v_mov_b32_dpp v22, v20 row_shr:2 row_mask:0xf bank_mask:0xf
	v_cndmask_b32_e32 v22, 0, v22, vcc
	v_add_u32_e32 v20, v20, v22
	v_cmp_lt_u32_e32 vcc, 3, v21
	s_nop 0
	v_mov_b32_dpp v22, v20 row_shr:4 row_mask:0xf bank_mask:0xf
	v_cndmask_b32_e32 v21, 0, v22, vcc
	v_add_u32_e32 v20, v20, v21
	ds_write_b32 v17, v20
.LBB3196_68:
	s_or_b64 exec, exec, s[0:1]
	v_cmp_lt_u32_e32 vcc, 63, v0
	v_mov_b32_e32 v17, 0
	v_mov_b32_e32 v20, 0
	s_waitcnt lgkmcnt(0)
	s_barrier
	s_and_saveexec_b64 s[0:1], vcc
	s_cbranch_execz .LBB3196_70
; %bb.69:
	v_lshl_add_u32 v20, v36, 2, -4
	ds_read_b32 v20, v20
.LBB3196_70:
	s_or_b64 exec, exec, s[0:1]
	v_add_u32_e32 v21, -1, v34
	v_and_b32_e32 v22, 64, v34
	v_cmp_lt_i32_e32 vcc, v21, v22
	s_waitcnt lgkmcnt(0)
	v_add_u32_e32 v16, v20, v16
	v_cndmask_b32_e32 v21, v21, v34, vcc
	v_lshlrev_b32_e32 v21, 2, v21
	ds_bpermute_b32 v21, v21, v16
	ds_read_b32 v16, v17 offset:28
	v_cmp_eq_u32_e32 vcc, 0, v0
	s_and_saveexec_b64 s[0:1], vcc
	s_cbranch_execz .LBB3196_72
; %bb.71:
	v_mov_b32_e32 v22, 0
	v_mov_b32_e32 v17, 2
	s_waitcnt lgkmcnt(0)
	global_store_dwordx2 v22, v[16:17], s[28:29] offset:512 sc1
.LBB3196_72:
	s_or_b64 exec, exec, s[0:1]
	v_cmp_eq_u32_e64 s[0:1], 0, v34
	s_waitcnt lgkmcnt(0)
	s_barrier
	v_cndmask_b32_e64 v17, v21, v20, s[0:1]
	v_cndmask_b32_e64 v27, v17, 0, vcc
	v_add_u32_e32 v26, v27, v33
	v_add_u32_e32 v25, v26, v32
	;; [unrolled: 1-line block ×5, first 2 shown]
	v_mov_b32_e32 v20, 0
	v_add_u32_e32 v21, v22, v28
.LBB3196_73:
	v_add_u32_e32 v1, v16, v1
	v_sub_u32_e32 v17, v27, v20
	v_sub_u32_e32 v27, v1, v17
	v_cmp_eq_u32_e32 vcc, 1, v33
	s_nop 1
	v_cndmask_b32_e32 v17, v27, v17, vcc
	v_lshlrev_b32_e32 v17, 3, v17
	ds_write_b64 v17, v[10:11]
	v_sub_u32_e32 v10, v26, v20
	v_sub_u32_e32 v11, v1, v10
	v_add_u32_e32 v11, 1, v11
	v_cmp_eq_u32_e32 vcc, 1, v32
	v_or_b32_e32 v26, 0x200, v0
	v_or_b32_e32 v17, 0xa00, v0
	v_cndmask_b32_e32 v10, v11, v10, vcc
	v_lshlrev_b32_e32 v10, 3, v10
	ds_write_b64 v10, v[12:13]
	v_sub_u32_e32 v10, v25, v20
	v_sub_u32_e32 v11, v1, v10
	v_add_u32_e32 v11, 2, v11
	v_cmp_eq_u32_e32 vcc, 1, v31
	v_or_b32_e32 v25, 0x400, v0
	s_nop 0
	v_cndmask_b32_e32 v10, v11, v10, vcc
	v_lshlrev_b32_e32 v10, 3, v10
	ds_write_b64 v10, v[6:7]
	v_sub_u32_e32 v6, v23, v20
	v_sub_u32_e32 v7, v1, v6
	v_add_u32_e32 v7, 3, v7
	v_cmp_eq_u32_e32 vcc, 1, v30
	s_nop 1
	v_cndmask_b32_e32 v6, v7, v6, vcc
	v_lshlrev_b32_e32 v6, 3, v6
	ds_write_b64 v6, v[8:9]
	v_sub_u32_e32 v6, v24, v20
	v_sub_u32_e32 v7, v1, v6
	v_add_u32_e32 v7, 4, v7
	v_cmp_eq_u32_e32 vcc, 1, v29
	v_or_b32_e32 v24, 0x600, v0
	s_nop 0
	v_cndmask_b32_e32 v6, v7, v6, vcc
	v_lshlrev_b32_e32 v6, 3, v6
	ds_write_b64 v6, v[2:3]
	v_sub_u32_e32 v2, v22, v20
	v_sub_u32_e32 v3, v1, v2
	v_add_u32_e32 v3, 5, v3
	v_cmp_eq_u32_e32 vcc, 1, v28
	s_nop 1
	v_cndmask_b32_e32 v2, v3, v2, vcc
	v_lshlrev_b32_e32 v2, 3, v2
	ds_write_b64 v2, v[4:5]
	v_sub_u32_e32 v2, v21, v20
	v_sub_u32_e32 v1, v1, v2
	v_add_u32_e32 v1, 6, v1
	v_cmp_eq_u32_e32 vcc, 1, v19
	v_or_b32_e32 v19, 0x800, v0
	s_nop 0
	v_cndmask_b32_e32 v1, v1, v2, vcc
	v_lshlrev_b32_e32 v1, 3, v1
	ds_write_b64 v1, v[14:15]
	s_waitcnt lgkmcnt(0)
	s_barrier
	ds_read2st64_b64 v[10:13], v18 offset1:8
	ds_read2st64_b64 v[6:9], v18 offset0:16 offset1:24
	ds_read2st64_b64 v[2:5], v18 offset0:32 offset1:40
	ds_read_b64 v[14:15], v18 offset:24576
	s_andn2_b64 vcc, exec, s[26:27]
	v_or_b32_e32 v1, 0xc00, v0
	s_cbranch_vccnz .LBB3196_82
; %bb.74:
	s_lshl_b64 s[0:1], s[22:23], 3
	v_mov_b32_e32 v21, 0
	s_add_u32 s0, s2, s0
	s_addc_u32 s1, s3, s1
	v_lshlrev_b64 v[22:23], 3, v[20:21]
	v_lshl_add_u64 v[22:23], s[0:1], 0, v[22:23]
	v_cmp_lt_u32_e32 vcc, v0, v16
	s_and_saveexec_b64 s[0:1], vcc
	s_cbranch_execnz .LBB3196_96
; %bb.75:
	s_or_b64 exec, exec, s[0:1]
	v_cmp_lt_u32_e32 vcc, v26, v16
	s_and_saveexec_b64 s[0:1], vcc
	s_cbranch_execnz .LBB3196_97
.LBB3196_76:
	s_or_b64 exec, exec, s[0:1]
	v_cmp_lt_u32_e32 vcc, v25, v16
	s_and_saveexec_b64 s[0:1], vcc
	s_cbranch_execnz .LBB3196_98
.LBB3196_77:
	s_or_b64 exec, exec, s[0:1]
	v_cmp_lt_u32_e32 vcc, v24, v16
	s_and_saveexec_b64 s[0:1], vcc
	s_cbranch_execnz .LBB3196_99
.LBB3196_78:
	s_or_b64 exec, exec, s[0:1]
	v_cmp_lt_u32_e32 vcc, v19, v16
	s_and_saveexec_b64 s[0:1], vcc
	s_cbranch_execnz .LBB3196_100
.LBB3196_79:
	s_or_b64 exec, exec, s[0:1]
	v_cmp_lt_u32_e32 vcc, v17, v16
	s_and_saveexec_b64 s[0:1], vcc
	s_cbranch_execz .LBB3196_81
.LBB3196_80:
	v_lshlrev_b32_e32 v21, 3, v17
	v_readfirstlane_b32 s4, v22
	v_readfirstlane_b32 s5, v23
	s_waitcnt lgkmcnt(1)
	s_nop 3
	global_store_dwordx2 v21, v[4:5], s[4:5]
.LBB3196_81:
	s_or_b64 exec, exec, s[0:1]
	v_cmp_lt_u32_e64 s[0:1], v1, v16
	s_branch .LBB3196_91
.LBB3196_82:
	s_mov_b64 s[0:1], 0
                                        ; implicit-def: $vgpr22_vgpr23
	s_cbranch_execz .LBB3196_91
; %bb.83:
	s_lshl_b64 s[0:1], s[22:23], 3
	v_mov_b32_e32 v21, 0
	s_add_u32 s0, s2, s0
	v_min_u32_e32 v27, s33, v16
	s_addc_u32 s1, s3, s1
	v_lshlrev_b64 v[22:23], 3, v[20:21]
	v_lshl_add_u64 v[22:23], s[0:1], 0, v[22:23]
	v_cmp_gt_u32_e32 vcc, v27, v0
	s_and_saveexec_b64 s[0:1], vcc
	s_cbranch_execnz .LBB3196_101
; %bb.84:
	s_or_b64 exec, exec, s[0:1]
	v_cmp_lt_u32_e32 vcc, v26, v27
	s_and_saveexec_b64 s[0:1], vcc
	s_cbranch_execnz .LBB3196_102
.LBB3196_85:
	s_or_b64 exec, exec, s[0:1]
	v_cmp_lt_u32_e32 vcc, v25, v27
	s_and_saveexec_b64 s[0:1], vcc
	s_cbranch_execnz .LBB3196_103
.LBB3196_86:
	s_or_b64 exec, exec, s[0:1]
	v_cmp_lt_u32_e32 vcc, v24, v27
	s_and_saveexec_b64 s[0:1], vcc
	s_cbranch_execnz .LBB3196_104
.LBB3196_87:
	s_or_b64 exec, exec, s[0:1]
	v_cmp_lt_u32_e32 vcc, v19, v27
	s_and_saveexec_b64 s[0:1], vcc
	s_cbranch_execnz .LBB3196_105
.LBB3196_88:
	s_or_b64 exec, exec, s[0:1]
	v_cmp_lt_u32_e32 vcc, v17, v27
	s_and_saveexec_b64 s[0:1], vcc
	s_cbranch_execz .LBB3196_90
.LBB3196_89:
	s_waitcnt lgkmcnt(1)
	v_lshlrev_b32_e32 v2, 3, v17
	v_readfirstlane_b32 s2, v22
	v_readfirstlane_b32 s3, v23
	s_nop 4
	global_store_dwordx2 v2, v[4:5], s[2:3]
.LBB3196_90:
	s_or_b64 exec, exec, s[0:1]
	v_cmp_lt_u32_e64 s[0:1], v1, v27
.LBB3196_91:
	s_and_saveexec_b64 s[2:3], s[0:1]
	s_cbranch_execz .LBB3196_93
; %bb.92:
	v_lshlrev_b32_e32 v1, 3, v1
	v_readfirstlane_b32 s0, v22
	v_readfirstlane_b32 s1, v23
	s_waitcnt lgkmcnt(0)
	s_nop 3
	global_store_dwordx2 v1, v[14:15], s[0:1]
.LBB3196_93:
	s_or_b64 exec, exec, s[2:3]
	v_cmp_eq_u32_e32 vcc, 0, v0
	s_and_b64 s[0:1], vcc, s[24:25]
	s_and_saveexec_b64 s[2:3], s[0:1]
	s_cbranch_execz .LBB3196_95
; %bb.94:
	v_mov_b32_e32 v17, 0
	v_lshl_add_u64 v[0:1], s[22:23], 0, v[16:17]
	v_mov_b32_e32 v21, v17
	v_lshl_add_u64 v[0:1], v[0:1], 0, v[20:21]
	global_store_dwordx2 v17, v[0:1], s[20:21]
.LBB3196_95:
	s_endpgm
.LBB3196_96:
	v_readfirstlane_b32 s4, v22
	v_readfirstlane_b32 s5, v23
	s_waitcnt lgkmcnt(3)
	s_nop 3
	global_store_dwordx2 v18, v[10:11], s[4:5]
	s_or_b64 exec, exec, s[0:1]
	v_cmp_lt_u32_e32 vcc, v26, v16
	s_and_saveexec_b64 s[0:1], vcc
	s_cbranch_execz .LBB3196_76
.LBB3196_97:
	v_lshlrev_b32_e32 v21, 3, v26
	v_readfirstlane_b32 s4, v22
	v_readfirstlane_b32 s5, v23
	s_waitcnt lgkmcnt(3)
	s_nop 3
	global_store_dwordx2 v21, v[12:13], s[4:5]
	s_or_b64 exec, exec, s[0:1]
	v_cmp_lt_u32_e32 vcc, v25, v16
	s_and_saveexec_b64 s[0:1], vcc
	s_cbranch_execz .LBB3196_77
.LBB3196_98:
	v_lshlrev_b32_e32 v21, 3, v25
	v_readfirstlane_b32 s4, v22
	v_readfirstlane_b32 s5, v23
	s_waitcnt lgkmcnt(2)
	s_nop 3
	global_store_dwordx2 v21, v[6:7], s[4:5]
	s_or_b64 exec, exec, s[0:1]
	v_cmp_lt_u32_e32 vcc, v24, v16
	s_and_saveexec_b64 s[0:1], vcc
	s_cbranch_execz .LBB3196_78
.LBB3196_99:
	v_lshlrev_b32_e32 v21, 3, v24
	v_readfirstlane_b32 s4, v22
	v_readfirstlane_b32 s5, v23
	s_waitcnt lgkmcnt(2)
	s_nop 3
	global_store_dwordx2 v21, v[8:9], s[4:5]
	s_or_b64 exec, exec, s[0:1]
	v_cmp_lt_u32_e32 vcc, v19, v16
	s_and_saveexec_b64 s[0:1], vcc
	s_cbranch_execz .LBB3196_79
.LBB3196_100:
	v_lshlrev_b32_e32 v21, 3, v19
	v_readfirstlane_b32 s4, v22
	v_readfirstlane_b32 s5, v23
	s_waitcnt lgkmcnt(1)
	s_nop 3
	global_store_dwordx2 v21, v[2:3], s[4:5]
	s_or_b64 exec, exec, s[0:1]
	v_cmp_lt_u32_e32 vcc, v17, v16
	s_and_saveexec_b64 s[0:1], vcc
	s_cbranch_execnz .LBB3196_80
	s_branch .LBB3196_81
.LBB3196_101:
	v_readfirstlane_b32 s2, v22
	v_readfirstlane_b32 s3, v23
	s_waitcnt lgkmcnt(3)
	s_nop 3
	global_store_dwordx2 v18, v[10:11], s[2:3]
	s_or_b64 exec, exec, s[0:1]
	v_cmp_lt_u32_e32 vcc, v26, v27
	s_and_saveexec_b64 s[0:1], vcc
	s_cbranch_execz .LBB3196_85
.LBB3196_102:
	s_waitcnt lgkmcnt(3)
	v_lshlrev_b32_e32 v10, 3, v26
	v_readfirstlane_b32 s2, v22
	v_readfirstlane_b32 s3, v23
	s_nop 4
	global_store_dwordx2 v10, v[12:13], s[2:3]
	s_or_b64 exec, exec, s[0:1]
	v_cmp_lt_u32_e32 vcc, v25, v27
	s_and_saveexec_b64 s[0:1], vcc
	s_cbranch_execz .LBB3196_86
.LBB3196_103:
	s_waitcnt lgkmcnt(3)
	v_lshlrev_b32_e32 v10, 3, v25
	v_readfirstlane_b32 s2, v22
	v_readfirstlane_b32 s3, v23
	s_waitcnt lgkmcnt(2)
	s_nop 3
	global_store_dwordx2 v10, v[6:7], s[2:3]
	s_or_b64 exec, exec, s[0:1]
	v_cmp_lt_u32_e32 vcc, v24, v27
	s_and_saveexec_b64 s[0:1], vcc
	s_cbranch_execz .LBB3196_87
.LBB3196_104:
	s_waitcnt lgkmcnt(2)
	v_lshlrev_b32_e32 v6, 3, v24
	v_readfirstlane_b32 s2, v22
	v_readfirstlane_b32 s3, v23
	s_nop 4
	global_store_dwordx2 v6, v[8:9], s[2:3]
	s_or_b64 exec, exec, s[0:1]
	v_cmp_lt_u32_e32 vcc, v19, v27
	s_and_saveexec_b64 s[0:1], vcc
	s_cbranch_execz .LBB3196_88
.LBB3196_105:
	s_waitcnt lgkmcnt(2)
	v_lshlrev_b32_e32 v6, 3, v19
	v_readfirstlane_b32 s2, v22
	v_readfirstlane_b32 s3, v23
	s_waitcnt lgkmcnt(1)
	s_nop 3
	global_store_dwordx2 v6, v[2:3], s[2:3]
	s_or_b64 exec, exec, s[0:1]
	v_cmp_lt_u32_e32 vcc, v17, v27
	s_and_saveexec_b64 s[0:1], vcc
	s_cbranch_execnz .LBB3196_89
	s_branch .LBB3196_90
	.section	.rodata,"a",@progbits
	.p2align	6, 0x0
	.amdhsa_kernel _ZN7rocprim17ROCPRIM_400000_NS6detail17trampoline_kernelINS0_14default_configENS1_25partition_config_selectorILNS1_17partition_subalgoE1ExNS0_10empty_typeEbEEZZNS1_14partition_implILS5_1ELb0ES3_jN6thrust23THRUST_200600_302600_NS6detail15normal_iteratorINSA_10device_ptrIxEEEEPS6_NSA_18transform_iteratorI7is_evenIxESF_NSA_11use_defaultESK_EENS0_5tupleIJSF_NSA_16discard_iteratorISK_EEEEENSM_IJSG_SG_EEES6_PlJS6_EEE10hipError_tPvRmT3_T4_T5_T6_T7_T9_mT8_P12ihipStream_tbDpT10_ENKUlT_T0_E_clISt17integral_constantIbLb0EES1B_EEDaS16_S17_EUlS16_E_NS1_11comp_targetILNS1_3genE5ELNS1_11target_archE942ELNS1_3gpuE9ELNS1_3repE0EEENS1_30default_config_static_selectorELNS0_4arch9wavefront6targetE1EEEvT1_
		.amdhsa_group_segment_fixed_size 28680
		.amdhsa_private_segment_fixed_size 0
		.amdhsa_kernarg_size 136
		.amdhsa_user_sgpr_count 2
		.amdhsa_user_sgpr_dispatch_ptr 0
		.amdhsa_user_sgpr_queue_ptr 0
		.amdhsa_user_sgpr_kernarg_segment_ptr 1
		.amdhsa_user_sgpr_dispatch_id 0
		.amdhsa_user_sgpr_kernarg_preload_length 0
		.amdhsa_user_sgpr_kernarg_preload_offset 0
		.amdhsa_user_sgpr_private_segment_size 0
		.amdhsa_uses_dynamic_stack 0
		.amdhsa_enable_private_segment 0
		.amdhsa_system_sgpr_workgroup_id_x 1
		.amdhsa_system_sgpr_workgroup_id_y 0
		.amdhsa_system_sgpr_workgroup_id_z 0
		.amdhsa_system_sgpr_workgroup_info 0
		.amdhsa_system_vgpr_workitem_id 0
		.amdhsa_next_free_vgpr 54
		.amdhsa_next_free_sgpr 40
		.amdhsa_accum_offset 56
		.amdhsa_reserve_vcc 1
		.amdhsa_float_round_mode_32 0
		.amdhsa_float_round_mode_16_64 0
		.amdhsa_float_denorm_mode_32 3
		.amdhsa_float_denorm_mode_16_64 3
		.amdhsa_dx10_clamp 1
		.amdhsa_ieee_mode 1
		.amdhsa_fp16_overflow 0
		.amdhsa_tg_split 0
		.amdhsa_exception_fp_ieee_invalid_op 0
		.amdhsa_exception_fp_denorm_src 0
		.amdhsa_exception_fp_ieee_div_zero 0
		.amdhsa_exception_fp_ieee_overflow 0
		.amdhsa_exception_fp_ieee_underflow 0
		.amdhsa_exception_fp_ieee_inexact 0
		.amdhsa_exception_int_div_zero 0
	.end_amdhsa_kernel
	.section	.text._ZN7rocprim17ROCPRIM_400000_NS6detail17trampoline_kernelINS0_14default_configENS1_25partition_config_selectorILNS1_17partition_subalgoE1ExNS0_10empty_typeEbEEZZNS1_14partition_implILS5_1ELb0ES3_jN6thrust23THRUST_200600_302600_NS6detail15normal_iteratorINSA_10device_ptrIxEEEEPS6_NSA_18transform_iteratorI7is_evenIxESF_NSA_11use_defaultESK_EENS0_5tupleIJSF_NSA_16discard_iteratorISK_EEEEENSM_IJSG_SG_EEES6_PlJS6_EEE10hipError_tPvRmT3_T4_T5_T6_T7_T9_mT8_P12ihipStream_tbDpT10_ENKUlT_T0_E_clISt17integral_constantIbLb0EES1B_EEDaS16_S17_EUlS16_E_NS1_11comp_targetILNS1_3genE5ELNS1_11target_archE942ELNS1_3gpuE9ELNS1_3repE0EEENS1_30default_config_static_selectorELNS0_4arch9wavefront6targetE1EEEvT1_,"axG",@progbits,_ZN7rocprim17ROCPRIM_400000_NS6detail17trampoline_kernelINS0_14default_configENS1_25partition_config_selectorILNS1_17partition_subalgoE1ExNS0_10empty_typeEbEEZZNS1_14partition_implILS5_1ELb0ES3_jN6thrust23THRUST_200600_302600_NS6detail15normal_iteratorINSA_10device_ptrIxEEEEPS6_NSA_18transform_iteratorI7is_evenIxESF_NSA_11use_defaultESK_EENS0_5tupleIJSF_NSA_16discard_iteratorISK_EEEEENSM_IJSG_SG_EEES6_PlJS6_EEE10hipError_tPvRmT3_T4_T5_T6_T7_T9_mT8_P12ihipStream_tbDpT10_ENKUlT_T0_E_clISt17integral_constantIbLb0EES1B_EEDaS16_S17_EUlS16_E_NS1_11comp_targetILNS1_3genE5ELNS1_11target_archE942ELNS1_3gpuE9ELNS1_3repE0EEENS1_30default_config_static_selectorELNS0_4arch9wavefront6targetE1EEEvT1_,comdat
.Lfunc_end3196:
	.size	_ZN7rocprim17ROCPRIM_400000_NS6detail17trampoline_kernelINS0_14default_configENS1_25partition_config_selectorILNS1_17partition_subalgoE1ExNS0_10empty_typeEbEEZZNS1_14partition_implILS5_1ELb0ES3_jN6thrust23THRUST_200600_302600_NS6detail15normal_iteratorINSA_10device_ptrIxEEEEPS6_NSA_18transform_iteratorI7is_evenIxESF_NSA_11use_defaultESK_EENS0_5tupleIJSF_NSA_16discard_iteratorISK_EEEEENSM_IJSG_SG_EEES6_PlJS6_EEE10hipError_tPvRmT3_T4_T5_T6_T7_T9_mT8_P12ihipStream_tbDpT10_ENKUlT_T0_E_clISt17integral_constantIbLb0EES1B_EEDaS16_S17_EUlS16_E_NS1_11comp_targetILNS1_3genE5ELNS1_11target_archE942ELNS1_3gpuE9ELNS1_3repE0EEENS1_30default_config_static_selectorELNS0_4arch9wavefront6targetE1EEEvT1_, .Lfunc_end3196-_ZN7rocprim17ROCPRIM_400000_NS6detail17trampoline_kernelINS0_14default_configENS1_25partition_config_selectorILNS1_17partition_subalgoE1ExNS0_10empty_typeEbEEZZNS1_14partition_implILS5_1ELb0ES3_jN6thrust23THRUST_200600_302600_NS6detail15normal_iteratorINSA_10device_ptrIxEEEEPS6_NSA_18transform_iteratorI7is_evenIxESF_NSA_11use_defaultESK_EENS0_5tupleIJSF_NSA_16discard_iteratorISK_EEEEENSM_IJSG_SG_EEES6_PlJS6_EEE10hipError_tPvRmT3_T4_T5_T6_T7_T9_mT8_P12ihipStream_tbDpT10_ENKUlT_T0_E_clISt17integral_constantIbLb0EES1B_EEDaS16_S17_EUlS16_E_NS1_11comp_targetILNS1_3genE5ELNS1_11target_archE942ELNS1_3gpuE9ELNS1_3repE0EEENS1_30default_config_static_selectorELNS0_4arch9wavefront6targetE1EEEvT1_
                                        ; -- End function
	.section	.AMDGPU.csdata,"",@progbits
; Kernel info:
; codeLenInByte = 5016
; NumSgprs: 46
; NumVgprs: 54
; NumAgprs: 0
; TotalNumVgprs: 54
; ScratchSize: 0
; MemoryBound: 0
; FloatMode: 240
; IeeeMode: 1
; LDSByteSize: 28680 bytes/workgroup (compile time only)
; SGPRBlocks: 5
; VGPRBlocks: 6
; NumSGPRsForWavesPerEU: 46
; NumVGPRsForWavesPerEU: 54
; AccumOffset: 56
; Occupancy: 4
; WaveLimiterHint : 1
; COMPUTE_PGM_RSRC2:SCRATCH_EN: 0
; COMPUTE_PGM_RSRC2:USER_SGPR: 2
; COMPUTE_PGM_RSRC2:TRAP_HANDLER: 0
; COMPUTE_PGM_RSRC2:TGID_X_EN: 1
; COMPUTE_PGM_RSRC2:TGID_Y_EN: 0
; COMPUTE_PGM_RSRC2:TGID_Z_EN: 0
; COMPUTE_PGM_RSRC2:TIDIG_COMP_CNT: 0
; COMPUTE_PGM_RSRC3_GFX90A:ACCUM_OFFSET: 13
; COMPUTE_PGM_RSRC3_GFX90A:TG_SPLIT: 0
	.section	.text._ZN7rocprim17ROCPRIM_400000_NS6detail17trampoline_kernelINS0_14default_configENS1_25partition_config_selectorILNS1_17partition_subalgoE1ExNS0_10empty_typeEbEEZZNS1_14partition_implILS5_1ELb0ES3_jN6thrust23THRUST_200600_302600_NS6detail15normal_iteratorINSA_10device_ptrIxEEEEPS6_NSA_18transform_iteratorI7is_evenIxESF_NSA_11use_defaultESK_EENS0_5tupleIJSF_NSA_16discard_iteratorISK_EEEEENSM_IJSG_SG_EEES6_PlJS6_EEE10hipError_tPvRmT3_T4_T5_T6_T7_T9_mT8_P12ihipStream_tbDpT10_ENKUlT_T0_E_clISt17integral_constantIbLb0EES1B_EEDaS16_S17_EUlS16_E_NS1_11comp_targetILNS1_3genE4ELNS1_11target_archE910ELNS1_3gpuE8ELNS1_3repE0EEENS1_30default_config_static_selectorELNS0_4arch9wavefront6targetE1EEEvT1_,"axG",@progbits,_ZN7rocprim17ROCPRIM_400000_NS6detail17trampoline_kernelINS0_14default_configENS1_25partition_config_selectorILNS1_17partition_subalgoE1ExNS0_10empty_typeEbEEZZNS1_14partition_implILS5_1ELb0ES3_jN6thrust23THRUST_200600_302600_NS6detail15normal_iteratorINSA_10device_ptrIxEEEEPS6_NSA_18transform_iteratorI7is_evenIxESF_NSA_11use_defaultESK_EENS0_5tupleIJSF_NSA_16discard_iteratorISK_EEEEENSM_IJSG_SG_EEES6_PlJS6_EEE10hipError_tPvRmT3_T4_T5_T6_T7_T9_mT8_P12ihipStream_tbDpT10_ENKUlT_T0_E_clISt17integral_constantIbLb0EES1B_EEDaS16_S17_EUlS16_E_NS1_11comp_targetILNS1_3genE4ELNS1_11target_archE910ELNS1_3gpuE8ELNS1_3repE0EEENS1_30default_config_static_selectorELNS0_4arch9wavefront6targetE1EEEvT1_,comdat
	.protected	_ZN7rocprim17ROCPRIM_400000_NS6detail17trampoline_kernelINS0_14default_configENS1_25partition_config_selectorILNS1_17partition_subalgoE1ExNS0_10empty_typeEbEEZZNS1_14partition_implILS5_1ELb0ES3_jN6thrust23THRUST_200600_302600_NS6detail15normal_iteratorINSA_10device_ptrIxEEEEPS6_NSA_18transform_iteratorI7is_evenIxESF_NSA_11use_defaultESK_EENS0_5tupleIJSF_NSA_16discard_iteratorISK_EEEEENSM_IJSG_SG_EEES6_PlJS6_EEE10hipError_tPvRmT3_T4_T5_T6_T7_T9_mT8_P12ihipStream_tbDpT10_ENKUlT_T0_E_clISt17integral_constantIbLb0EES1B_EEDaS16_S17_EUlS16_E_NS1_11comp_targetILNS1_3genE4ELNS1_11target_archE910ELNS1_3gpuE8ELNS1_3repE0EEENS1_30default_config_static_selectorELNS0_4arch9wavefront6targetE1EEEvT1_ ; -- Begin function _ZN7rocprim17ROCPRIM_400000_NS6detail17trampoline_kernelINS0_14default_configENS1_25partition_config_selectorILNS1_17partition_subalgoE1ExNS0_10empty_typeEbEEZZNS1_14partition_implILS5_1ELb0ES3_jN6thrust23THRUST_200600_302600_NS6detail15normal_iteratorINSA_10device_ptrIxEEEEPS6_NSA_18transform_iteratorI7is_evenIxESF_NSA_11use_defaultESK_EENS0_5tupleIJSF_NSA_16discard_iteratorISK_EEEEENSM_IJSG_SG_EEES6_PlJS6_EEE10hipError_tPvRmT3_T4_T5_T6_T7_T9_mT8_P12ihipStream_tbDpT10_ENKUlT_T0_E_clISt17integral_constantIbLb0EES1B_EEDaS16_S17_EUlS16_E_NS1_11comp_targetILNS1_3genE4ELNS1_11target_archE910ELNS1_3gpuE8ELNS1_3repE0EEENS1_30default_config_static_selectorELNS0_4arch9wavefront6targetE1EEEvT1_
	.globl	_ZN7rocprim17ROCPRIM_400000_NS6detail17trampoline_kernelINS0_14default_configENS1_25partition_config_selectorILNS1_17partition_subalgoE1ExNS0_10empty_typeEbEEZZNS1_14partition_implILS5_1ELb0ES3_jN6thrust23THRUST_200600_302600_NS6detail15normal_iteratorINSA_10device_ptrIxEEEEPS6_NSA_18transform_iteratorI7is_evenIxESF_NSA_11use_defaultESK_EENS0_5tupleIJSF_NSA_16discard_iteratorISK_EEEEENSM_IJSG_SG_EEES6_PlJS6_EEE10hipError_tPvRmT3_T4_T5_T6_T7_T9_mT8_P12ihipStream_tbDpT10_ENKUlT_T0_E_clISt17integral_constantIbLb0EES1B_EEDaS16_S17_EUlS16_E_NS1_11comp_targetILNS1_3genE4ELNS1_11target_archE910ELNS1_3gpuE8ELNS1_3repE0EEENS1_30default_config_static_selectorELNS0_4arch9wavefront6targetE1EEEvT1_
	.p2align	8
	.type	_ZN7rocprim17ROCPRIM_400000_NS6detail17trampoline_kernelINS0_14default_configENS1_25partition_config_selectorILNS1_17partition_subalgoE1ExNS0_10empty_typeEbEEZZNS1_14partition_implILS5_1ELb0ES3_jN6thrust23THRUST_200600_302600_NS6detail15normal_iteratorINSA_10device_ptrIxEEEEPS6_NSA_18transform_iteratorI7is_evenIxESF_NSA_11use_defaultESK_EENS0_5tupleIJSF_NSA_16discard_iteratorISK_EEEEENSM_IJSG_SG_EEES6_PlJS6_EEE10hipError_tPvRmT3_T4_T5_T6_T7_T9_mT8_P12ihipStream_tbDpT10_ENKUlT_T0_E_clISt17integral_constantIbLb0EES1B_EEDaS16_S17_EUlS16_E_NS1_11comp_targetILNS1_3genE4ELNS1_11target_archE910ELNS1_3gpuE8ELNS1_3repE0EEENS1_30default_config_static_selectorELNS0_4arch9wavefront6targetE1EEEvT1_,@function
_ZN7rocprim17ROCPRIM_400000_NS6detail17trampoline_kernelINS0_14default_configENS1_25partition_config_selectorILNS1_17partition_subalgoE1ExNS0_10empty_typeEbEEZZNS1_14partition_implILS5_1ELb0ES3_jN6thrust23THRUST_200600_302600_NS6detail15normal_iteratorINSA_10device_ptrIxEEEEPS6_NSA_18transform_iteratorI7is_evenIxESF_NSA_11use_defaultESK_EENS0_5tupleIJSF_NSA_16discard_iteratorISK_EEEEENSM_IJSG_SG_EEES6_PlJS6_EEE10hipError_tPvRmT3_T4_T5_T6_T7_T9_mT8_P12ihipStream_tbDpT10_ENKUlT_T0_E_clISt17integral_constantIbLb0EES1B_EEDaS16_S17_EUlS16_E_NS1_11comp_targetILNS1_3genE4ELNS1_11target_archE910ELNS1_3gpuE8ELNS1_3repE0EEENS1_30default_config_static_selectorELNS0_4arch9wavefront6targetE1EEEvT1_: ; @_ZN7rocprim17ROCPRIM_400000_NS6detail17trampoline_kernelINS0_14default_configENS1_25partition_config_selectorILNS1_17partition_subalgoE1ExNS0_10empty_typeEbEEZZNS1_14partition_implILS5_1ELb0ES3_jN6thrust23THRUST_200600_302600_NS6detail15normal_iteratorINSA_10device_ptrIxEEEEPS6_NSA_18transform_iteratorI7is_evenIxESF_NSA_11use_defaultESK_EENS0_5tupleIJSF_NSA_16discard_iteratorISK_EEEEENSM_IJSG_SG_EEES6_PlJS6_EEE10hipError_tPvRmT3_T4_T5_T6_T7_T9_mT8_P12ihipStream_tbDpT10_ENKUlT_T0_E_clISt17integral_constantIbLb0EES1B_EEDaS16_S17_EUlS16_E_NS1_11comp_targetILNS1_3genE4ELNS1_11target_archE910ELNS1_3gpuE8ELNS1_3repE0EEENS1_30default_config_static_selectorELNS0_4arch9wavefront6targetE1EEEvT1_
; %bb.0:
	.section	.rodata,"a",@progbits
	.p2align	6, 0x0
	.amdhsa_kernel _ZN7rocprim17ROCPRIM_400000_NS6detail17trampoline_kernelINS0_14default_configENS1_25partition_config_selectorILNS1_17partition_subalgoE1ExNS0_10empty_typeEbEEZZNS1_14partition_implILS5_1ELb0ES3_jN6thrust23THRUST_200600_302600_NS6detail15normal_iteratorINSA_10device_ptrIxEEEEPS6_NSA_18transform_iteratorI7is_evenIxESF_NSA_11use_defaultESK_EENS0_5tupleIJSF_NSA_16discard_iteratorISK_EEEEENSM_IJSG_SG_EEES6_PlJS6_EEE10hipError_tPvRmT3_T4_T5_T6_T7_T9_mT8_P12ihipStream_tbDpT10_ENKUlT_T0_E_clISt17integral_constantIbLb0EES1B_EEDaS16_S17_EUlS16_E_NS1_11comp_targetILNS1_3genE4ELNS1_11target_archE910ELNS1_3gpuE8ELNS1_3repE0EEENS1_30default_config_static_selectorELNS0_4arch9wavefront6targetE1EEEvT1_
		.amdhsa_group_segment_fixed_size 0
		.amdhsa_private_segment_fixed_size 0
		.amdhsa_kernarg_size 136
		.amdhsa_user_sgpr_count 2
		.amdhsa_user_sgpr_dispatch_ptr 0
		.amdhsa_user_sgpr_queue_ptr 0
		.amdhsa_user_sgpr_kernarg_segment_ptr 1
		.amdhsa_user_sgpr_dispatch_id 0
		.amdhsa_user_sgpr_kernarg_preload_length 0
		.amdhsa_user_sgpr_kernarg_preload_offset 0
		.amdhsa_user_sgpr_private_segment_size 0
		.amdhsa_uses_dynamic_stack 0
		.amdhsa_enable_private_segment 0
		.amdhsa_system_sgpr_workgroup_id_x 1
		.amdhsa_system_sgpr_workgroup_id_y 0
		.amdhsa_system_sgpr_workgroup_id_z 0
		.amdhsa_system_sgpr_workgroup_info 0
		.amdhsa_system_vgpr_workitem_id 0
		.amdhsa_next_free_vgpr 1
		.amdhsa_next_free_sgpr 0
		.amdhsa_accum_offset 4
		.amdhsa_reserve_vcc 0
		.amdhsa_float_round_mode_32 0
		.amdhsa_float_round_mode_16_64 0
		.amdhsa_float_denorm_mode_32 3
		.amdhsa_float_denorm_mode_16_64 3
		.amdhsa_dx10_clamp 1
		.amdhsa_ieee_mode 1
		.amdhsa_fp16_overflow 0
		.amdhsa_tg_split 0
		.amdhsa_exception_fp_ieee_invalid_op 0
		.amdhsa_exception_fp_denorm_src 0
		.amdhsa_exception_fp_ieee_div_zero 0
		.amdhsa_exception_fp_ieee_overflow 0
		.amdhsa_exception_fp_ieee_underflow 0
		.amdhsa_exception_fp_ieee_inexact 0
		.amdhsa_exception_int_div_zero 0
	.end_amdhsa_kernel
	.section	.text._ZN7rocprim17ROCPRIM_400000_NS6detail17trampoline_kernelINS0_14default_configENS1_25partition_config_selectorILNS1_17partition_subalgoE1ExNS0_10empty_typeEbEEZZNS1_14partition_implILS5_1ELb0ES3_jN6thrust23THRUST_200600_302600_NS6detail15normal_iteratorINSA_10device_ptrIxEEEEPS6_NSA_18transform_iteratorI7is_evenIxESF_NSA_11use_defaultESK_EENS0_5tupleIJSF_NSA_16discard_iteratorISK_EEEEENSM_IJSG_SG_EEES6_PlJS6_EEE10hipError_tPvRmT3_T4_T5_T6_T7_T9_mT8_P12ihipStream_tbDpT10_ENKUlT_T0_E_clISt17integral_constantIbLb0EES1B_EEDaS16_S17_EUlS16_E_NS1_11comp_targetILNS1_3genE4ELNS1_11target_archE910ELNS1_3gpuE8ELNS1_3repE0EEENS1_30default_config_static_selectorELNS0_4arch9wavefront6targetE1EEEvT1_,"axG",@progbits,_ZN7rocprim17ROCPRIM_400000_NS6detail17trampoline_kernelINS0_14default_configENS1_25partition_config_selectorILNS1_17partition_subalgoE1ExNS0_10empty_typeEbEEZZNS1_14partition_implILS5_1ELb0ES3_jN6thrust23THRUST_200600_302600_NS6detail15normal_iteratorINSA_10device_ptrIxEEEEPS6_NSA_18transform_iteratorI7is_evenIxESF_NSA_11use_defaultESK_EENS0_5tupleIJSF_NSA_16discard_iteratorISK_EEEEENSM_IJSG_SG_EEES6_PlJS6_EEE10hipError_tPvRmT3_T4_T5_T6_T7_T9_mT8_P12ihipStream_tbDpT10_ENKUlT_T0_E_clISt17integral_constantIbLb0EES1B_EEDaS16_S17_EUlS16_E_NS1_11comp_targetILNS1_3genE4ELNS1_11target_archE910ELNS1_3gpuE8ELNS1_3repE0EEENS1_30default_config_static_selectorELNS0_4arch9wavefront6targetE1EEEvT1_,comdat
.Lfunc_end3197:
	.size	_ZN7rocprim17ROCPRIM_400000_NS6detail17trampoline_kernelINS0_14default_configENS1_25partition_config_selectorILNS1_17partition_subalgoE1ExNS0_10empty_typeEbEEZZNS1_14partition_implILS5_1ELb0ES3_jN6thrust23THRUST_200600_302600_NS6detail15normal_iteratorINSA_10device_ptrIxEEEEPS6_NSA_18transform_iteratorI7is_evenIxESF_NSA_11use_defaultESK_EENS0_5tupleIJSF_NSA_16discard_iteratorISK_EEEEENSM_IJSG_SG_EEES6_PlJS6_EEE10hipError_tPvRmT3_T4_T5_T6_T7_T9_mT8_P12ihipStream_tbDpT10_ENKUlT_T0_E_clISt17integral_constantIbLb0EES1B_EEDaS16_S17_EUlS16_E_NS1_11comp_targetILNS1_3genE4ELNS1_11target_archE910ELNS1_3gpuE8ELNS1_3repE0EEENS1_30default_config_static_selectorELNS0_4arch9wavefront6targetE1EEEvT1_, .Lfunc_end3197-_ZN7rocprim17ROCPRIM_400000_NS6detail17trampoline_kernelINS0_14default_configENS1_25partition_config_selectorILNS1_17partition_subalgoE1ExNS0_10empty_typeEbEEZZNS1_14partition_implILS5_1ELb0ES3_jN6thrust23THRUST_200600_302600_NS6detail15normal_iteratorINSA_10device_ptrIxEEEEPS6_NSA_18transform_iteratorI7is_evenIxESF_NSA_11use_defaultESK_EENS0_5tupleIJSF_NSA_16discard_iteratorISK_EEEEENSM_IJSG_SG_EEES6_PlJS6_EEE10hipError_tPvRmT3_T4_T5_T6_T7_T9_mT8_P12ihipStream_tbDpT10_ENKUlT_T0_E_clISt17integral_constantIbLb0EES1B_EEDaS16_S17_EUlS16_E_NS1_11comp_targetILNS1_3genE4ELNS1_11target_archE910ELNS1_3gpuE8ELNS1_3repE0EEENS1_30default_config_static_selectorELNS0_4arch9wavefront6targetE1EEEvT1_
                                        ; -- End function
	.section	.AMDGPU.csdata,"",@progbits
; Kernel info:
; codeLenInByte = 0
; NumSgprs: 6
; NumVgprs: 0
; NumAgprs: 0
; TotalNumVgprs: 0
; ScratchSize: 0
; MemoryBound: 0
; FloatMode: 240
; IeeeMode: 1
; LDSByteSize: 0 bytes/workgroup (compile time only)
; SGPRBlocks: 0
; VGPRBlocks: 0
; NumSGPRsForWavesPerEU: 6
; NumVGPRsForWavesPerEU: 1
; AccumOffset: 4
; Occupancy: 8
; WaveLimiterHint : 0
; COMPUTE_PGM_RSRC2:SCRATCH_EN: 0
; COMPUTE_PGM_RSRC2:USER_SGPR: 2
; COMPUTE_PGM_RSRC2:TRAP_HANDLER: 0
; COMPUTE_PGM_RSRC2:TGID_X_EN: 1
; COMPUTE_PGM_RSRC2:TGID_Y_EN: 0
; COMPUTE_PGM_RSRC2:TGID_Z_EN: 0
; COMPUTE_PGM_RSRC2:TIDIG_COMP_CNT: 0
; COMPUTE_PGM_RSRC3_GFX90A:ACCUM_OFFSET: 0
; COMPUTE_PGM_RSRC3_GFX90A:TG_SPLIT: 0
	.section	.text._ZN7rocprim17ROCPRIM_400000_NS6detail17trampoline_kernelINS0_14default_configENS1_25partition_config_selectorILNS1_17partition_subalgoE1ExNS0_10empty_typeEbEEZZNS1_14partition_implILS5_1ELb0ES3_jN6thrust23THRUST_200600_302600_NS6detail15normal_iteratorINSA_10device_ptrIxEEEEPS6_NSA_18transform_iteratorI7is_evenIxESF_NSA_11use_defaultESK_EENS0_5tupleIJSF_NSA_16discard_iteratorISK_EEEEENSM_IJSG_SG_EEES6_PlJS6_EEE10hipError_tPvRmT3_T4_T5_T6_T7_T9_mT8_P12ihipStream_tbDpT10_ENKUlT_T0_E_clISt17integral_constantIbLb0EES1B_EEDaS16_S17_EUlS16_E_NS1_11comp_targetILNS1_3genE3ELNS1_11target_archE908ELNS1_3gpuE7ELNS1_3repE0EEENS1_30default_config_static_selectorELNS0_4arch9wavefront6targetE1EEEvT1_,"axG",@progbits,_ZN7rocprim17ROCPRIM_400000_NS6detail17trampoline_kernelINS0_14default_configENS1_25partition_config_selectorILNS1_17partition_subalgoE1ExNS0_10empty_typeEbEEZZNS1_14partition_implILS5_1ELb0ES3_jN6thrust23THRUST_200600_302600_NS6detail15normal_iteratorINSA_10device_ptrIxEEEEPS6_NSA_18transform_iteratorI7is_evenIxESF_NSA_11use_defaultESK_EENS0_5tupleIJSF_NSA_16discard_iteratorISK_EEEEENSM_IJSG_SG_EEES6_PlJS6_EEE10hipError_tPvRmT3_T4_T5_T6_T7_T9_mT8_P12ihipStream_tbDpT10_ENKUlT_T0_E_clISt17integral_constantIbLb0EES1B_EEDaS16_S17_EUlS16_E_NS1_11comp_targetILNS1_3genE3ELNS1_11target_archE908ELNS1_3gpuE7ELNS1_3repE0EEENS1_30default_config_static_selectorELNS0_4arch9wavefront6targetE1EEEvT1_,comdat
	.protected	_ZN7rocprim17ROCPRIM_400000_NS6detail17trampoline_kernelINS0_14default_configENS1_25partition_config_selectorILNS1_17partition_subalgoE1ExNS0_10empty_typeEbEEZZNS1_14partition_implILS5_1ELb0ES3_jN6thrust23THRUST_200600_302600_NS6detail15normal_iteratorINSA_10device_ptrIxEEEEPS6_NSA_18transform_iteratorI7is_evenIxESF_NSA_11use_defaultESK_EENS0_5tupleIJSF_NSA_16discard_iteratorISK_EEEEENSM_IJSG_SG_EEES6_PlJS6_EEE10hipError_tPvRmT3_T4_T5_T6_T7_T9_mT8_P12ihipStream_tbDpT10_ENKUlT_T0_E_clISt17integral_constantIbLb0EES1B_EEDaS16_S17_EUlS16_E_NS1_11comp_targetILNS1_3genE3ELNS1_11target_archE908ELNS1_3gpuE7ELNS1_3repE0EEENS1_30default_config_static_selectorELNS0_4arch9wavefront6targetE1EEEvT1_ ; -- Begin function _ZN7rocprim17ROCPRIM_400000_NS6detail17trampoline_kernelINS0_14default_configENS1_25partition_config_selectorILNS1_17partition_subalgoE1ExNS0_10empty_typeEbEEZZNS1_14partition_implILS5_1ELb0ES3_jN6thrust23THRUST_200600_302600_NS6detail15normal_iteratorINSA_10device_ptrIxEEEEPS6_NSA_18transform_iteratorI7is_evenIxESF_NSA_11use_defaultESK_EENS0_5tupleIJSF_NSA_16discard_iteratorISK_EEEEENSM_IJSG_SG_EEES6_PlJS6_EEE10hipError_tPvRmT3_T4_T5_T6_T7_T9_mT8_P12ihipStream_tbDpT10_ENKUlT_T0_E_clISt17integral_constantIbLb0EES1B_EEDaS16_S17_EUlS16_E_NS1_11comp_targetILNS1_3genE3ELNS1_11target_archE908ELNS1_3gpuE7ELNS1_3repE0EEENS1_30default_config_static_selectorELNS0_4arch9wavefront6targetE1EEEvT1_
	.globl	_ZN7rocprim17ROCPRIM_400000_NS6detail17trampoline_kernelINS0_14default_configENS1_25partition_config_selectorILNS1_17partition_subalgoE1ExNS0_10empty_typeEbEEZZNS1_14partition_implILS5_1ELb0ES3_jN6thrust23THRUST_200600_302600_NS6detail15normal_iteratorINSA_10device_ptrIxEEEEPS6_NSA_18transform_iteratorI7is_evenIxESF_NSA_11use_defaultESK_EENS0_5tupleIJSF_NSA_16discard_iteratorISK_EEEEENSM_IJSG_SG_EEES6_PlJS6_EEE10hipError_tPvRmT3_T4_T5_T6_T7_T9_mT8_P12ihipStream_tbDpT10_ENKUlT_T0_E_clISt17integral_constantIbLb0EES1B_EEDaS16_S17_EUlS16_E_NS1_11comp_targetILNS1_3genE3ELNS1_11target_archE908ELNS1_3gpuE7ELNS1_3repE0EEENS1_30default_config_static_selectorELNS0_4arch9wavefront6targetE1EEEvT1_
	.p2align	8
	.type	_ZN7rocprim17ROCPRIM_400000_NS6detail17trampoline_kernelINS0_14default_configENS1_25partition_config_selectorILNS1_17partition_subalgoE1ExNS0_10empty_typeEbEEZZNS1_14partition_implILS5_1ELb0ES3_jN6thrust23THRUST_200600_302600_NS6detail15normal_iteratorINSA_10device_ptrIxEEEEPS6_NSA_18transform_iteratorI7is_evenIxESF_NSA_11use_defaultESK_EENS0_5tupleIJSF_NSA_16discard_iteratorISK_EEEEENSM_IJSG_SG_EEES6_PlJS6_EEE10hipError_tPvRmT3_T4_T5_T6_T7_T9_mT8_P12ihipStream_tbDpT10_ENKUlT_T0_E_clISt17integral_constantIbLb0EES1B_EEDaS16_S17_EUlS16_E_NS1_11comp_targetILNS1_3genE3ELNS1_11target_archE908ELNS1_3gpuE7ELNS1_3repE0EEENS1_30default_config_static_selectorELNS0_4arch9wavefront6targetE1EEEvT1_,@function
_ZN7rocprim17ROCPRIM_400000_NS6detail17trampoline_kernelINS0_14default_configENS1_25partition_config_selectorILNS1_17partition_subalgoE1ExNS0_10empty_typeEbEEZZNS1_14partition_implILS5_1ELb0ES3_jN6thrust23THRUST_200600_302600_NS6detail15normal_iteratorINSA_10device_ptrIxEEEEPS6_NSA_18transform_iteratorI7is_evenIxESF_NSA_11use_defaultESK_EENS0_5tupleIJSF_NSA_16discard_iteratorISK_EEEEENSM_IJSG_SG_EEES6_PlJS6_EEE10hipError_tPvRmT3_T4_T5_T6_T7_T9_mT8_P12ihipStream_tbDpT10_ENKUlT_T0_E_clISt17integral_constantIbLb0EES1B_EEDaS16_S17_EUlS16_E_NS1_11comp_targetILNS1_3genE3ELNS1_11target_archE908ELNS1_3gpuE7ELNS1_3repE0EEENS1_30default_config_static_selectorELNS0_4arch9wavefront6targetE1EEEvT1_: ; @_ZN7rocprim17ROCPRIM_400000_NS6detail17trampoline_kernelINS0_14default_configENS1_25partition_config_selectorILNS1_17partition_subalgoE1ExNS0_10empty_typeEbEEZZNS1_14partition_implILS5_1ELb0ES3_jN6thrust23THRUST_200600_302600_NS6detail15normal_iteratorINSA_10device_ptrIxEEEEPS6_NSA_18transform_iteratorI7is_evenIxESF_NSA_11use_defaultESK_EENS0_5tupleIJSF_NSA_16discard_iteratorISK_EEEEENSM_IJSG_SG_EEES6_PlJS6_EEE10hipError_tPvRmT3_T4_T5_T6_T7_T9_mT8_P12ihipStream_tbDpT10_ENKUlT_T0_E_clISt17integral_constantIbLb0EES1B_EEDaS16_S17_EUlS16_E_NS1_11comp_targetILNS1_3genE3ELNS1_11target_archE908ELNS1_3gpuE7ELNS1_3repE0EEENS1_30default_config_static_selectorELNS0_4arch9wavefront6targetE1EEEvT1_
; %bb.0:
	.section	.rodata,"a",@progbits
	.p2align	6, 0x0
	.amdhsa_kernel _ZN7rocprim17ROCPRIM_400000_NS6detail17trampoline_kernelINS0_14default_configENS1_25partition_config_selectorILNS1_17partition_subalgoE1ExNS0_10empty_typeEbEEZZNS1_14partition_implILS5_1ELb0ES3_jN6thrust23THRUST_200600_302600_NS6detail15normal_iteratorINSA_10device_ptrIxEEEEPS6_NSA_18transform_iteratorI7is_evenIxESF_NSA_11use_defaultESK_EENS0_5tupleIJSF_NSA_16discard_iteratorISK_EEEEENSM_IJSG_SG_EEES6_PlJS6_EEE10hipError_tPvRmT3_T4_T5_T6_T7_T9_mT8_P12ihipStream_tbDpT10_ENKUlT_T0_E_clISt17integral_constantIbLb0EES1B_EEDaS16_S17_EUlS16_E_NS1_11comp_targetILNS1_3genE3ELNS1_11target_archE908ELNS1_3gpuE7ELNS1_3repE0EEENS1_30default_config_static_selectorELNS0_4arch9wavefront6targetE1EEEvT1_
		.amdhsa_group_segment_fixed_size 0
		.amdhsa_private_segment_fixed_size 0
		.amdhsa_kernarg_size 136
		.amdhsa_user_sgpr_count 2
		.amdhsa_user_sgpr_dispatch_ptr 0
		.amdhsa_user_sgpr_queue_ptr 0
		.amdhsa_user_sgpr_kernarg_segment_ptr 1
		.amdhsa_user_sgpr_dispatch_id 0
		.amdhsa_user_sgpr_kernarg_preload_length 0
		.amdhsa_user_sgpr_kernarg_preload_offset 0
		.amdhsa_user_sgpr_private_segment_size 0
		.amdhsa_uses_dynamic_stack 0
		.amdhsa_enable_private_segment 0
		.amdhsa_system_sgpr_workgroup_id_x 1
		.amdhsa_system_sgpr_workgroup_id_y 0
		.amdhsa_system_sgpr_workgroup_id_z 0
		.amdhsa_system_sgpr_workgroup_info 0
		.amdhsa_system_vgpr_workitem_id 0
		.amdhsa_next_free_vgpr 1
		.amdhsa_next_free_sgpr 0
		.amdhsa_accum_offset 4
		.amdhsa_reserve_vcc 0
		.amdhsa_float_round_mode_32 0
		.amdhsa_float_round_mode_16_64 0
		.amdhsa_float_denorm_mode_32 3
		.amdhsa_float_denorm_mode_16_64 3
		.amdhsa_dx10_clamp 1
		.amdhsa_ieee_mode 1
		.amdhsa_fp16_overflow 0
		.amdhsa_tg_split 0
		.amdhsa_exception_fp_ieee_invalid_op 0
		.amdhsa_exception_fp_denorm_src 0
		.amdhsa_exception_fp_ieee_div_zero 0
		.amdhsa_exception_fp_ieee_overflow 0
		.amdhsa_exception_fp_ieee_underflow 0
		.amdhsa_exception_fp_ieee_inexact 0
		.amdhsa_exception_int_div_zero 0
	.end_amdhsa_kernel
	.section	.text._ZN7rocprim17ROCPRIM_400000_NS6detail17trampoline_kernelINS0_14default_configENS1_25partition_config_selectorILNS1_17partition_subalgoE1ExNS0_10empty_typeEbEEZZNS1_14partition_implILS5_1ELb0ES3_jN6thrust23THRUST_200600_302600_NS6detail15normal_iteratorINSA_10device_ptrIxEEEEPS6_NSA_18transform_iteratorI7is_evenIxESF_NSA_11use_defaultESK_EENS0_5tupleIJSF_NSA_16discard_iteratorISK_EEEEENSM_IJSG_SG_EEES6_PlJS6_EEE10hipError_tPvRmT3_T4_T5_T6_T7_T9_mT8_P12ihipStream_tbDpT10_ENKUlT_T0_E_clISt17integral_constantIbLb0EES1B_EEDaS16_S17_EUlS16_E_NS1_11comp_targetILNS1_3genE3ELNS1_11target_archE908ELNS1_3gpuE7ELNS1_3repE0EEENS1_30default_config_static_selectorELNS0_4arch9wavefront6targetE1EEEvT1_,"axG",@progbits,_ZN7rocprim17ROCPRIM_400000_NS6detail17trampoline_kernelINS0_14default_configENS1_25partition_config_selectorILNS1_17partition_subalgoE1ExNS0_10empty_typeEbEEZZNS1_14partition_implILS5_1ELb0ES3_jN6thrust23THRUST_200600_302600_NS6detail15normal_iteratorINSA_10device_ptrIxEEEEPS6_NSA_18transform_iteratorI7is_evenIxESF_NSA_11use_defaultESK_EENS0_5tupleIJSF_NSA_16discard_iteratorISK_EEEEENSM_IJSG_SG_EEES6_PlJS6_EEE10hipError_tPvRmT3_T4_T5_T6_T7_T9_mT8_P12ihipStream_tbDpT10_ENKUlT_T0_E_clISt17integral_constantIbLb0EES1B_EEDaS16_S17_EUlS16_E_NS1_11comp_targetILNS1_3genE3ELNS1_11target_archE908ELNS1_3gpuE7ELNS1_3repE0EEENS1_30default_config_static_selectorELNS0_4arch9wavefront6targetE1EEEvT1_,comdat
.Lfunc_end3198:
	.size	_ZN7rocprim17ROCPRIM_400000_NS6detail17trampoline_kernelINS0_14default_configENS1_25partition_config_selectorILNS1_17partition_subalgoE1ExNS0_10empty_typeEbEEZZNS1_14partition_implILS5_1ELb0ES3_jN6thrust23THRUST_200600_302600_NS6detail15normal_iteratorINSA_10device_ptrIxEEEEPS6_NSA_18transform_iteratorI7is_evenIxESF_NSA_11use_defaultESK_EENS0_5tupleIJSF_NSA_16discard_iteratorISK_EEEEENSM_IJSG_SG_EEES6_PlJS6_EEE10hipError_tPvRmT3_T4_T5_T6_T7_T9_mT8_P12ihipStream_tbDpT10_ENKUlT_T0_E_clISt17integral_constantIbLb0EES1B_EEDaS16_S17_EUlS16_E_NS1_11comp_targetILNS1_3genE3ELNS1_11target_archE908ELNS1_3gpuE7ELNS1_3repE0EEENS1_30default_config_static_selectorELNS0_4arch9wavefront6targetE1EEEvT1_, .Lfunc_end3198-_ZN7rocprim17ROCPRIM_400000_NS6detail17trampoline_kernelINS0_14default_configENS1_25partition_config_selectorILNS1_17partition_subalgoE1ExNS0_10empty_typeEbEEZZNS1_14partition_implILS5_1ELb0ES3_jN6thrust23THRUST_200600_302600_NS6detail15normal_iteratorINSA_10device_ptrIxEEEEPS6_NSA_18transform_iteratorI7is_evenIxESF_NSA_11use_defaultESK_EENS0_5tupleIJSF_NSA_16discard_iteratorISK_EEEEENSM_IJSG_SG_EEES6_PlJS6_EEE10hipError_tPvRmT3_T4_T5_T6_T7_T9_mT8_P12ihipStream_tbDpT10_ENKUlT_T0_E_clISt17integral_constantIbLb0EES1B_EEDaS16_S17_EUlS16_E_NS1_11comp_targetILNS1_3genE3ELNS1_11target_archE908ELNS1_3gpuE7ELNS1_3repE0EEENS1_30default_config_static_selectorELNS0_4arch9wavefront6targetE1EEEvT1_
                                        ; -- End function
	.section	.AMDGPU.csdata,"",@progbits
; Kernel info:
; codeLenInByte = 0
; NumSgprs: 6
; NumVgprs: 0
; NumAgprs: 0
; TotalNumVgprs: 0
; ScratchSize: 0
; MemoryBound: 0
; FloatMode: 240
; IeeeMode: 1
; LDSByteSize: 0 bytes/workgroup (compile time only)
; SGPRBlocks: 0
; VGPRBlocks: 0
; NumSGPRsForWavesPerEU: 6
; NumVGPRsForWavesPerEU: 1
; AccumOffset: 4
; Occupancy: 8
; WaveLimiterHint : 0
; COMPUTE_PGM_RSRC2:SCRATCH_EN: 0
; COMPUTE_PGM_RSRC2:USER_SGPR: 2
; COMPUTE_PGM_RSRC2:TRAP_HANDLER: 0
; COMPUTE_PGM_RSRC2:TGID_X_EN: 1
; COMPUTE_PGM_RSRC2:TGID_Y_EN: 0
; COMPUTE_PGM_RSRC2:TGID_Z_EN: 0
; COMPUTE_PGM_RSRC2:TIDIG_COMP_CNT: 0
; COMPUTE_PGM_RSRC3_GFX90A:ACCUM_OFFSET: 0
; COMPUTE_PGM_RSRC3_GFX90A:TG_SPLIT: 0
	.section	.text._ZN7rocprim17ROCPRIM_400000_NS6detail17trampoline_kernelINS0_14default_configENS1_25partition_config_selectorILNS1_17partition_subalgoE1ExNS0_10empty_typeEbEEZZNS1_14partition_implILS5_1ELb0ES3_jN6thrust23THRUST_200600_302600_NS6detail15normal_iteratorINSA_10device_ptrIxEEEEPS6_NSA_18transform_iteratorI7is_evenIxESF_NSA_11use_defaultESK_EENS0_5tupleIJSF_NSA_16discard_iteratorISK_EEEEENSM_IJSG_SG_EEES6_PlJS6_EEE10hipError_tPvRmT3_T4_T5_T6_T7_T9_mT8_P12ihipStream_tbDpT10_ENKUlT_T0_E_clISt17integral_constantIbLb0EES1B_EEDaS16_S17_EUlS16_E_NS1_11comp_targetILNS1_3genE2ELNS1_11target_archE906ELNS1_3gpuE6ELNS1_3repE0EEENS1_30default_config_static_selectorELNS0_4arch9wavefront6targetE1EEEvT1_,"axG",@progbits,_ZN7rocprim17ROCPRIM_400000_NS6detail17trampoline_kernelINS0_14default_configENS1_25partition_config_selectorILNS1_17partition_subalgoE1ExNS0_10empty_typeEbEEZZNS1_14partition_implILS5_1ELb0ES3_jN6thrust23THRUST_200600_302600_NS6detail15normal_iteratorINSA_10device_ptrIxEEEEPS6_NSA_18transform_iteratorI7is_evenIxESF_NSA_11use_defaultESK_EENS0_5tupleIJSF_NSA_16discard_iteratorISK_EEEEENSM_IJSG_SG_EEES6_PlJS6_EEE10hipError_tPvRmT3_T4_T5_T6_T7_T9_mT8_P12ihipStream_tbDpT10_ENKUlT_T0_E_clISt17integral_constantIbLb0EES1B_EEDaS16_S17_EUlS16_E_NS1_11comp_targetILNS1_3genE2ELNS1_11target_archE906ELNS1_3gpuE6ELNS1_3repE0EEENS1_30default_config_static_selectorELNS0_4arch9wavefront6targetE1EEEvT1_,comdat
	.protected	_ZN7rocprim17ROCPRIM_400000_NS6detail17trampoline_kernelINS0_14default_configENS1_25partition_config_selectorILNS1_17partition_subalgoE1ExNS0_10empty_typeEbEEZZNS1_14partition_implILS5_1ELb0ES3_jN6thrust23THRUST_200600_302600_NS6detail15normal_iteratorINSA_10device_ptrIxEEEEPS6_NSA_18transform_iteratorI7is_evenIxESF_NSA_11use_defaultESK_EENS0_5tupleIJSF_NSA_16discard_iteratorISK_EEEEENSM_IJSG_SG_EEES6_PlJS6_EEE10hipError_tPvRmT3_T4_T5_T6_T7_T9_mT8_P12ihipStream_tbDpT10_ENKUlT_T0_E_clISt17integral_constantIbLb0EES1B_EEDaS16_S17_EUlS16_E_NS1_11comp_targetILNS1_3genE2ELNS1_11target_archE906ELNS1_3gpuE6ELNS1_3repE0EEENS1_30default_config_static_selectorELNS0_4arch9wavefront6targetE1EEEvT1_ ; -- Begin function _ZN7rocprim17ROCPRIM_400000_NS6detail17trampoline_kernelINS0_14default_configENS1_25partition_config_selectorILNS1_17partition_subalgoE1ExNS0_10empty_typeEbEEZZNS1_14partition_implILS5_1ELb0ES3_jN6thrust23THRUST_200600_302600_NS6detail15normal_iteratorINSA_10device_ptrIxEEEEPS6_NSA_18transform_iteratorI7is_evenIxESF_NSA_11use_defaultESK_EENS0_5tupleIJSF_NSA_16discard_iteratorISK_EEEEENSM_IJSG_SG_EEES6_PlJS6_EEE10hipError_tPvRmT3_T4_T5_T6_T7_T9_mT8_P12ihipStream_tbDpT10_ENKUlT_T0_E_clISt17integral_constantIbLb0EES1B_EEDaS16_S17_EUlS16_E_NS1_11comp_targetILNS1_3genE2ELNS1_11target_archE906ELNS1_3gpuE6ELNS1_3repE0EEENS1_30default_config_static_selectorELNS0_4arch9wavefront6targetE1EEEvT1_
	.globl	_ZN7rocprim17ROCPRIM_400000_NS6detail17trampoline_kernelINS0_14default_configENS1_25partition_config_selectorILNS1_17partition_subalgoE1ExNS0_10empty_typeEbEEZZNS1_14partition_implILS5_1ELb0ES3_jN6thrust23THRUST_200600_302600_NS6detail15normal_iteratorINSA_10device_ptrIxEEEEPS6_NSA_18transform_iteratorI7is_evenIxESF_NSA_11use_defaultESK_EENS0_5tupleIJSF_NSA_16discard_iteratorISK_EEEEENSM_IJSG_SG_EEES6_PlJS6_EEE10hipError_tPvRmT3_T4_T5_T6_T7_T9_mT8_P12ihipStream_tbDpT10_ENKUlT_T0_E_clISt17integral_constantIbLb0EES1B_EEDaS16_S17_EUlS16_E_NS1_11comp_targetILNS1_3genE2ELNS1_11target_archE906ELNS1_3gpuE6ELNS1_3repE0EEENS1_30default_config_static_selectorELNS0_4arch9wavefront6targetE1EEEvT1_
	.p2align	8
	.type	_ZN7rocprim17ROCPRIM_400000_NS6detail17trampoline_kernelINS0_14default_configENS1_25partition_config_selectorILNS1_17partition_subalgoE1ExNS0_10empty_typeEbEEZZNS1_14partition_implILS5_1ELb0ES3_jN6thrust23THRUST_200600_302600_NS6detail15normal_iteratorINSA_10device_ptrIxEEEEPS6_NSA_18transform_iteratorI7is_evenIxESF_NSA_11use_defaultESK_EENS0_5tupleIJSF_NSA_16discard_iteratorISK_EEEEENSM_IJSG_SG_EEES6_PlJS6_EEE10hipError_tPvRmT3_T4_T5_T6_T7_T9_mT8_P12ihipStream_tbDpT10_ENKUlT_T0_E_clISt17integral_constantIbLb0EES1B_EEDaS16_S17_EUlS16_E_NS1_11comp_targetILNS1_3genE2ELNS1_11target_archE906ELNS1_3gpuE6ELNS1_3repE0EEENS1_30default_config_static_selectorELNS0_4arch9wavefront6targetE1EEEvT1_,@function
_ZN7rocprim17ROCPRIM_400000_NS6detail17trampoline_kernelINS0_14default_configENS1_25partition_config_selectorILNS1_17partition_subalgoE1ExNS0_10empty_typeEbEEZZNS1_14partition_implILS5_1ELb0ES3_jN6thrust23THRUST_200600_302600_NS6detail15normal_iteratorINSA_10device_ptrIxEEEEPS6_NSA_18transform_iteratorI7is_evenIxESF_NSA_11use_defaultESK_EENS0_5tupleIJSF_NSA_16discard_iteratorISK_EEEEENSM_IJSG_SG_EEES6_PlJS6_EEE10hipError_tPvRmT3_T4_T5_T6_T7_T9_mT8_P12ihipStream_tbDpT10_ENKUlT_T0_E_clISt17integral_constantIbLb0EES1B_EEDaS16_S17_EUlS16_E_NS1_11comp_targetILNS1_3genE2ELNS1_11target_archE906ELNS1_3gpuE6ELNS1_3repE0EEENS1_30default_config_static_selectorELNS0_4arch9wavefront6targetE1EEEvT1_: ; @_ZN7rocprim17ROCPRIM_400000_NS6detail17trampoline_kernelINS0_14default_configENS1_25partition_config_selectorILNS1_17partition_subalgoE1ExNS0_10empty_typeEbEEZZNS1_14partition_implILS5_1ELb0ES3_jN6thrust23THRUST_200600_302600_NS6detail15normal_iteratorINSA_10device_ptrIxEEEEPS6_NSA_18transform_iteratorI7is_evenIxESF_NSA_11use_defaultESK_EENS0_5tupleIJSF_NSA_16discard_iteratorISK_EEEEENSM_IJSG_SG_EEES6_PlJS6_EEE10hipError_tPvRmT3_T4_T5_T6_T7_T9_mT8_P12ihipStream_tbDpT10_ENKUlT_T0_E_clISt17integral_constantIbLb0EES1B_EEDaS16_S17_EUlS16_E_NS1_11comp_targetILNS1_3genE2ELNS1_11target_archE906ELNS1_3gpuE6ELNS1_3repE0EEENS1_30default_config_static_selectorELNS0_4arch9wavefront6targetE1EEEvT1_
; %bb.0:
	.section	.rodata,"a",@progbits
	.p2align	6, 0x0
	.amdhsa_kernel _ZN7rocprim17ROCPRIM_400000_NS6detail17trampoline_kernelINS0_14default_configENS1_25partition_config_selectorILNS1_17partition_subalgoE1ExNS0_10empty_typeEbEEZZNS1_14partition_implILS5_1ELb0ES3_jN6thrust23THRUST_200600_302600_NS6detail15normal_iteratorINSA_10device_ptrIxEEEEPS6_NSA_18transform_iteratorI7is_evenIxESF_NSA_11use_defaultESK_EENS0_5tupleIJSF_NSA_16discard_iteratorISK_EEEEENSM_IJSG_SG_EEES6_PlJS6_EEE10hipError_tPvRmT3_T4_T5_T6_T7_T9_mT8_P12ihipStream_tbDpT10_ENKUlT_T0_E_clISt17integral_constantIbLb0EES1B_EEDaS16_S17_EUlS16_E_NS1_11comp_targetILNS1_3genE2ELNS1_11target_archE906ELNS1_3gpuE6ELNS1_3repE0EEENS1_30default_config_static_selectorELNS0_4arch9wavefront6targetE1EEEvT1_
		.amdhsa_group_segment_fixed_size 0
		.amdhsa_private_segment_fixed_size 0
		.amdhsa_kernarg_size 136
		.amdhsa_user_sgpr_count 2
		.amdhsa_user_sgpr_dispatch_ptr 0
		.amdhsa_user_sgpr_queue_ptr 0
		.amdhsa_user_sgpr_kernarg_segment_ptr 1
		.amdhsa_user_sgpr_dispatch_id 0
		.amdhsa_user_sgpr_kernarg_preload_length 0
		.amdhsa_user_sgpr_kernarg_preload_offset 0
		.amdhsa_user_sgpr_private_segment_size 0
		.amdhsa_uses_dynamic_stack 0
		.amdhsa_enable_private_segment 0
		.amdhsa_system_sgpr_workgroup_id_x 1
		.amdhsa_system_sgpr_workgroup_id_y 0
		.amdhsa_system_sgpr_workgroup_id_z 0
		.amdhsa_system_sgpr_workgroup_info 0
		.amdhsa_system_vgpr_workitem_id 0
		.amdhsa_next_free_vgpr 1
		.amdhsa_next_free_sgpr 0
		.amdhsa_accum_offset 4
		.amdhsa_reserve_vcc 0
		.amdhsa_float_round_mode_32 0
		.amdhsa_float_round_mode_16_64 0
		.amdhsa_float_denorm_mode_32 3
		.amdhsa_float_denorm_mode_16_64 3
		.amdhsa_dx10_clamp 1
		.amdhsa_ieee_mode 1
		.amdhsa_fp16_overflow 0
		.amdhsa_tg_split 0
		.amdhsa_exception_fp_ieee_invalid_op 0
		.amdhsa_exception_fp_denorm_src 0
		.amdhsa_exception_fp_ieee_div_zero 0
		.amdhsa_exception_fp_ieee_overflow 0
		.amdhsa_exception_fp_ieee_underflow 0
		.amdhsa_exception_fp_ieee_inexact 0
		.amdhsa_exception_int_div_zero 0
	.end_amdhsa_kernel
	.section	.text._ZN7rocprim17ROCPRIM_400000_NS6detail17trampoline_kernelINS0_14default_configENS1_25partition_config_selectorILNS1_17partition_subalgoE1ExNS0_10empty_typeEbEEZZNS1_14partition_implILS5_1ELb0ES3_jN6thrust23THRUST_200600_302600_NS6detail15normal_iteratorINSA_10device_ptrIxEEEEPS6_NSA_18transform_iteratorI7is_evenIxESF_NSA_11use_defaultESK_EENS0_5tupleIJSF_NSA_16discard_iteratorISK_EEEEENSM_IJSG_SG_EEES6_PlJS6_EEE10hipError_tPvRmT3_T4_T5_T6_T7_T9_mT8_P12ihipStream_tbDpT10_ENKUlT_T0_E_clISt17integral_constantIbLb0EES1B_EEDaS16_S17_EUlS16_E_NS1_11comp_targetILNS1_3genE2ELNS1_11target_archE906ELNS1_3gpuE6ELNS1_3repE0EEENS1_30default_config_static_selectorELNS0_4arch9wavefront6targetE1EEEvT1_,"axG",@progbits,_ZN7rocprim17ROCPRIM_400000_NS6detail17trampoline_kernelINS0_14default_configENS1_25partition_config_selectorILNS1_17partition_subalgoE1ExNS0_10empty_typeEbEEZZNS1_14partition_implILS5_1ELb0ES3_jN6thrust23THRUST_200600_302600_NS6detail15normal_iteratorINSA_10device_ptrIxEEEEPS6_NSA_18transform_iteratorI7is_evenIxESF_NSA_11use_defaultESK_EENS0_5tupleIJSF_NSA_16discard_iteratorISK_EEEEENSM_IJSG_SG_EEES6_PlJS6_EEE10hipError_tPvRmT3_T4_T5_T6_T7_T9_mT8_P12ihipStream_tbDpT10_ENKUlT_T0_E_clISt17integral_constantIbLb0EES1B_EEDaS16_S17_EUlS16_E_NS1_11comp_targetILNS1_3genE2ELNS1_11target_archE906ELNS1_3gpuE6ELNS1_3repE0EEENS1_30default_config_static_selectorELNS0_4arch9wavefront6targetE1EEEvT1_,comdat
.Lfunc_end3199:
	.size	_ZN7rocprim17ROCPRIM_400000_NS6detail17trampoline_kernelINS0_14default_configENS1_25partition_config_selectorILNS1_17partition_subalgoE1ExNS0_10empty_typeEbEEZZNS1_14partition_implILS5_1ELb0ES3_jN6thrust23THRUST_200600_302600_NS6detail15normal_iteratorINSA_10device_ptrIxEEEEPS6_NSA_18transform_iteratorI7is_evenIxESF_NSA_11use_defaultESK_EENS0_5tupleIJSF_NSA_16discard_iteratorISK_EEEEENSM_IJSG_SG_EEES6_PlJS6_EEE10hipError_tPvRmT3_T4_T5_T6_T7_T9_mT8_P12ihipStream_tbDpT10_ENKUlT_T0_E_clISt17integral_constantIbLb0EES1B_EEDaS16_S17_EUlS16_E_NS1_11comp_targetILNS1_3genE2ELNS1_11target_archE906ELNS1_3gpuE6ELNS1_3repE0EEENS1_30default_config_static_selectorELNS0_4arch9wavefront6targetE1EEEvT1_, .Lfunc_end3199-_ZN7rocprim17ROCPRIM_400000_NS6detail17trampoline_kernelINS0_14default_configENS1_25partition_config_selectorILNS1_17partition_subalgoE1ExNS0_10empty_typeEbEEZZNS1_14partition_implILS5_1ELb0ES3_jN6thrust23THRUST_200600_302600_NS6detail15normal_iteratorINSA_10device_ptrIxEEEEPS6_NSA_18transform_iteratorI7is_evenIxESF_NSA_11use_defaultESK_EENS0_5tupleIJSF_NSA_16discard_iteratorISK_EEEEENSM_IJSG_SG_EEES6_PlJS6_EEE10hipError_tPvRmT3_T4_T5_T6_T7_T9_mT8_P12ihipStream_tbDpT10_ENKUlT_T0_E_clISt17integral_constantIbLb0EES1B_EEDaS16_S17_EUlS16_E_NS1_11comp_targetILNS1_3genE2ELNS1_11target_archE906ELNS1_3gpuE6ELNS1_3repE0EEENS1_30default_config_static_selectorELNS0_4arch9wavefront6targetE1EEEvT1_
                                        ; -- End function
	.section	.AMDGPU.csdata,"",@progbits
; Kernel info:
; codeLenInByte = 0
; NumSgprs: 6
; NumVgprs: 0
; NumAgprs: 0
; TotalNumVgprs: 0
; ScratchSize: 0
; MemoryBound: 0
; FloatMode: 240
; IeeeMode: 1
; LDSByteSize: 0 bytes/workgroup (compile time only)
; SGPRBlocks: 0
; VGPRBlocks: 0
; NumSGPRsForWavesPerEU: 6
; NumVGPRsForWavesPerEU: 1
; AccumOffset: 4
; Occupancy: 8
; WaveLimiterHint : 0
; COMPUTE_PGM_RSRC2:SCRATCH_EN: 0
; COMPUTE_PGM_RSRC2:USER_SGPR: 2
; COMPUTE_PGM_RSRC2:TRAP_HANDLER: 0
; COMPUTE_PGM_RSRC2:TGID_X_EN: 1
; COMPUTE_PGM_RSRC2:TGID_Y_EN: 0
; COMPUTE_PGM_RSRC2:TGID_Z_EN: 0
; COMPUTE_PGM_RSRC2:TIDIG_COMP_CNT: 0
; COMPUTE_PGM_RSRC3_GFX90A:ACCUM_OFFSET: 0
; COMPUTE_PGM_RSRC3_GFX90A:TG_SPLIT: 0
	.section	.text._ZN7rocprim17ROCPRIM_400000_NS6detail17trampoline_kernelINS0_14default_configENS1_25partition_config_selectorILNS1_17partition_subalgoE1ExNS0_10empty_typeEbEEZZNS1_14partition_implILS5_1ELb0ES3_jN6thrust23THRUST_200600_302600_NS6detail15normal_iteratorINSA_10device_ptrIxEEEEPS6_NSA_18transform_iteratorI7is_evenIxESF_NSA_11use_defaultESK_EENS0_5tupleIJSF_NSA_16discard_iteratorISK_EEEEENSM_IJSG_SG_EEES6_PlJS6_EEE10hipError_tPvRmT3_T4_T5_T6_T7_T9_mT8_P12ihipStream_tbDpT10_ENKUlT_T0_E_clISt17integral_constantIbLb0EES1B_EEDaS16_S17_EUlS16_E_NS1_11comp_targetILNS1_3genE10ELNS1_11target_archE1200ELNS1_3gpuE4ELNS1_3repE0EEENS1_30default_config_static_selectorELNS0_4arch9wavefront6targetE1EEEvT1_,"axG",@progbits,_ZN7rocprim17ROCPRIM_400000_NS6detail17trampoline_kernelINS0_14default_configENS1_25partition_config_selectorILNS1_17partition_subalgoE1ExNS0_10empty_typeEbEEZZNS1_14partition_implILS5_1ELb0ES3_jN6thrust23THRUST_200600_302600_NS6detail15normal_iteratorINSA_10device_ptrIxEEEEPS6_NSA_18transform_iteratorI7is_evenIxESF_NSA_11use_defaultESK_EENS0_5tupleIJSF_NSA_16discard_iteratorISK_EEEEENSM_IJSG_SG_EEES6_PlJS6_EEE10hipError_tPvRmT3_T4_T5_T6_T7_T9_mT8_P12ihipStream_tbDpT10_ENKUlT_T0_E_clISt17integral_constantIbLb0EES1B_EEDaS16_S17_EUlS16_E_NS1_11comp_targetILNS1_3genE10ELNS1_11target_archE1200ELNS1_3gpuE4ELNS1_3repE0EEENS1_30default_config_static_selectorELNS0_4arch9wavefront6targetE1EEEvT1_,comdat
	.protected	_ZN7rocprim17ROCPRIM_400000_NS6detail17trampoline_kernelINS0_14default_configENS1_25partition_config_selectorILNS1_17partition_subalgoE1ExNS0_10empty_typeEbEEZZNS1_14partition_implILS5_1ELb0ES3_jN6thrust23THRUST_200600_302600_NS6detail15normal_iteratorINSA_10device_ptrIxEEEEPS6_NSA_18transform_iteratorI7is_evenIxESF_NSA_11use_defaultESK_EENS0_5tupleIJSF_NSA_16discard_iteratorISK_EEEEENSM_IJSG_SG_EEES6_PlJS6_EEE10hipError_tPvRmT3_T4_T5_T6_T7_T9_mT8_P12ihipStream_tbDpT10_ENKUlT_T0_E_clISt17integral_constantIbLb0EES1B_EEDaS16_S17_EUlS16_E_NS1_11comp_targetILNS1_3genE10ELNS1_11target_archE1200ELNS1_3gpuE4ELNS1_3repE0EEENS1_30default_config_static_selectorELNS0_4arch9wavefront6targetE1EEEvT1_ ; -- Begin function _ZN7rocprim17ROCPRIM_400000_NS6detail17trampoline_kernelINS0_14default_configENS1_25partition_config_selectorILNS1_17partition_subalgoE1ExNS0_10empty_typeEbEEZZNS1_14partition_implILS5_1ELb0ES3_jN6thrust23THRUST_200600_302600_NS6detail15normal_iteratorINSA_10device_ptrIxEEEEPS6_NSA_18transform_iteratorI7is_evenIxESF_NSA_11use_defaultESK_EENS0_5tupleIJSF_NSA_16discard_iteratorISK_EEEEENSM_IJSG_SG_EEES6_PlJS6_EEE10hipError_tPvRmT3_T4_T5_T6_T7_T9_mT8_P12ihipStream_tbDpT10_ENKUlT_T0_E_clISt17integral_constantIbLb0EES1B_EEDaS16_S17_EUlS16_E_NS1_11comp_targetILNS1_3genE10ELNS1_11target_archE1200ELNS1_3gpuE4ELNS1_3repE0EEENS1_30default_config_static_selectorELNS0_4arch9wavefront6targetE1EEEvT1_
	.globl	_ZN7rocprim17ROCPRIM_400000_NS6detail17trampoline_kernelINS0_14default_configENS1_25partition_config_selectorILNS1_17partition_subalgoE1ExNS0_10empty_typeEbEEZZNS1_14partition_implILS5_1ELb0ES3_jN6thrust23THRUST_200600_302600_NS6detail15normal_iteratorINSA_10device_ptrIxEEEEPS6_NSA_18transform_iteratorI7is_evenIxESF_NSA_11use_defaultESK_EENS0_5tupleIJSF_NSA_16discard_iteratorISK_EEEEENSM_IJSG_SG_EEES6_PlJS6_EEE10hipError_tPvRmT3_T4_T5_T6_T7_T9_mT8_P12ihipStream_tbDpT10_ENKUlT_T0_E_clISt17integral_constantIbLb0EES1B_EEDaS16_S17_EUlS16_E_NS1_11comp_targetILNS1_3genE10ELNS1_11target_archE1200ELNS1_3gpuE4ELNS1_3repE0EEENS1_30default_config_static_selectorELNS0_4arch9wavefront6targetE1EEEvT1_
	.p2align	8
	.type	_ZN7rocprim17ROCPRIM_400000_NS6detail17trampoline_kernelINS0_14default_configENS1_25partition_config_selectorILNS1_17partition_subalgoE1ExNS0_10empty_typeEbEEZZNS1_14partition_implILS5_1ELb0ES3_jN6thrust23THRUST_200600_302600_NS6detail15normal_iteratorINSA_10device_ptrIxEEEEPS6_NSA_18transform_iteratorI7is_evenIxESF_NSA_11use_defaultESK_EENS0_5tupleIJSF_NSA_16discard_iteratorISK_EEEEENSM_IJSG_SG_EEES6_PlJS6_EEE10hipError_tPvRmT3_T4_T5_T6_T7_T9_mT8_P12ihipStream_tbDpT10_ENKUlT_T0_E_clISt17integral_constantIbLb0EES1B_EEDaS16_S17_EUlS16_E_NS1_11comp_targetILNS1_3genE10ELNS1_11target_archE1200ELNS1_3gpuE4ELNS1_3repE0EEENS1_30default_config_static_selectorELNS0_4arch9wavefront6targetE1EEEvT1_,@function
_ZN7rocprim17ROCPRIM_400000_NS6detail17trampoline_kernelINS0_14default_configENS1_25partition_config_selectorILNS1_17partition_subalgoE1ExNS0_10empty_typeEbEEZZNS1_14partition_implILS5_1ELb0ES3_jN6thrust23THRUST_200600_302600_NS6detail15normal_iteratorINSA_10device_ptrIxEEEEPS6_NSA_18transform_iteratorI7is_evenIxESF_NSA_11use_defaultESK_EENS0_5tupleIJSF_NSA_16discard_iteratorISK_EEEEENSM_IJSG_SG_EEES6_PlJS6_EEE10hipError_tPvRmT3_T4_T5_T6_T7_T9_mT8_P12ihipStream_tbDpT10_ENKUlT_T0_E_clISt17integral_constantIbLb0EES1B_EEDaS16_S17_EUlS16_E_NS1_11comp_targetILNS1_3genE10ELNS1_11target_archE1200ELNS1_3gpuE4ELNS1_3repE0EEENS1_30default_config_static_selectorELNS0_4arch9wavefront6targetE1EEEvT1_: ; @_ZN7rocprim17ROCPRIM_400000_NS6detail17trampoline_kernelINS0_14default_configENS1_25partition_config_selectorILNS1_17partition_subalgoE1ExNS0_10empty_typeEbEEZZNS1_14partition_implILS5_1ELb0ES3_jN6thrust23THRUST_200600_302600_NS6detail15normal_iteratorINSA_10device_ptrIxEEEEPS6_NSA_18transform_iteratorI7is_evenIxESF_NSA_11use_defaultESK_EENS0_5tupleIJSF_NSA_16discard_iteratorISK_EEEEENSM_IJSG_SG_EEES6_PlJS6_EEE10hipError_tPvRmT3_T4_T5_T6_T7_T9_mT8_P12ihipStream_tbDpT10_ENKUlT_T0_E_clISt17integral_constantIbLb0EES1B_EEDaS16_S17_EUlS16_E_NS1_11comp_targetILNS1_3genE10ELNS1_11target_archE1200ELNS1_3gpuE4ELNS1_3repE0EEENS1_30default_config_static_selectorELNS0_4arch9wavefront6targetE1EEEvT1_
; %bb.0:
	.section	.rodata,"a",@progbits
	.p2align	6, 0x0
	.amdhsa_kernel _ZN7rocprim17ROCPRIM_400000_NS6detail17trampoline_kernelINS0_14default_configENS1_25partition_config_selectorILNS1_17partition_subalgoE1ExNS0_10empty_typeEbEEZZNS1_14partition_implILS5_1ELb0ES3_jN6thrust23THRUST_200600_302600_NS6detail15normal_iteratorINSA_10device_ptrIxEEEEPS6_NSA_18transform_iteratorI7is_evenIxESF_NSA_11use_defaultESK_EENS0_5tupleIJSF_NSA_16discard_iteratorISK_EEEEENSM_IJSG_SG_EEES6_PlJS6_EEE10hipError_tPvRmT3_T4_T5_T6_T7_T9_mT8_P12ihipStream_tbDpT10_ENKUlT_T0_E_clISt17integral_constantIbLb0EES1B_EEDaS16_S17_EUlS16_E_NS1_11comp_targetILNS1_3genE10ELNS1_11target_archE1200ELNS1_3gpuE4ELNS1_3repE0EEENS1_30default_config_static_selectorELNS0_4arch9wavefront6targetE1EEEvT1_
		.amdhsa_group_segment_fixed_size 0
		.amdhsa_private_segment_fixed_size 0
		.amdhsa_kernarg_size 136
		.amdhsa_user_sgpr_count 2
		.amdhsa_user_sgpr_dispatch_ptr 0
		.amdhsa_user_sgpr_queue_ptr 0
		.amdhsa_user_sgpr_kernarg_segment_ptr 1
		.amdhsa_user_sgpr_dispatch_id 0
		.amdhsa_user_sgpr_kernarg_preload_length 0
		.amdhsa_user_sgpr_kernarg_preload_offset 0
		.amdhsa_user_sgpr_private_segment_size 0
		.amdhsa_uses_dynamic_stack 0
		.amdhsa_enable_private_segment 0
		.amdhsa_system_sgpr_workgroup_id_x 1
		.amdhsa_system_sgpr_workgroup_id_y 0
		.amdhsa_system_sgpr_workgroup_id_z 0
		.amdhsa_system_sgpr_workgroup_info 0
		.amdhsa_system_vgpr_workitem_id 0
		.amdhsa_next_free_vgpr 1
		.amdhsa_next_free_sgpr 0
		.amdhsa_accum_offset 4
		.amdhsa_reserve_vcc 0
		.amdhsa_float_round_mode_32 0
		.amdhsa_float_round_mode_16_64 0
		.amdhsa_float_denorm_mode_32 3
		.amdhsa_float_denorm_mode_16_64 3
		.amdhsa_dx10_clamp 1
		.amdhsa_ieee_mode 1
		.amdhsa_fp16_overflow 0
		.amdhsa_tg_split 0
		.amdhsa_exception_fp_ieee_invalid_op 0
		.amdhsa_exception_fp_denorm_src 0
		.amdhsa_exception_fp_ieee_div_zero 0
		.amdhsa_exception_fp_ieee_overflow 0
		.amdhsa_exception_fp_ieee_underflow 0
		.amdhsa_exception_fp_ieee_inexact 0
		.amdhsa_exception_int_div_zero 0
	.end_amdhsa_kernel
	.section	.text._ZN7rocprim17ROCPRIM_400000_NS6detail17trampoline_kernelINS0_14default_configENS1_25partition_config_selectorILNS1_17partition_subalgoE1ExNS0_10empty_typeEbEEZZNS1_14partition_implILS5_1ELb0ES3_jN6thrust23THRUST_200600_302600_NS6detail15normal_iteratorINSA_10device_ptrIxEEEEPS6_NSA_18transform_iteratorI7is_evenIxESF_NSA_11use_defaultESK_EENS0_5tupleIJSF_NSA_16discard_iteratorISK_EEEEENSM_IJSG_SG_EEES6_PlJS6_EEE10hipError_tPvRmT3_T4_T5_T6_T7_T9_mT8_P12ihipStream_tbDpT10_ENKUlT_T0_E_clISt17integral_constantIbLb0EES1B_EEDaS16_S17_EUlS16_E_NS1_11comp_targetILNS1_3genE10ELNS1_11target_archE1200ELNS1_3gpuE4ELNS1_3repE0EEENS1_30default_config_static_selectorELNS0_4arch9wavefront6targetE1EEEvT1_,"axG",@progbits,_ZN7rocprim17ROCPRIM_400000_NS6detail17trampoline_kernelINS0_14default_configENS1_25partition_config_selectorILNS1_17partition_subalgoE1ExNS0_10empty_typeEbEEZZNS1_14partition_implILS5_1ELb0ES3_jN6thrust23THRUST_200600_302600_NS6detail15normal_iteratorINSA_10device_ptrIxEEEEPS6_NSA_18transform_iteratorI7is_evenIxESF_NSA_11use_defaultESK_EENS0_5tupleIJSF_NSA_16discard_iteratorISK_EEEEENSM_IJSG_SG_EEES6_PlJS6_EEE10hipError_tPvRmT3_T4_T5_T6_T7_T9_mT8_P12ihipStream_tbDpT10_ENKUlT_T0_E_clISt17integral_constantIbLb0EES1B_EEDaS16_S17_EUlS16_E_NS1_11comp_targetILNS1_3genE10ELNS1_11target_archE1200ELNS1_3gpuE4ELNS1_3repE0EEENS1_30default_config_static_selectorELNS0_4arch9wavefront6targetE1EEEvT1_,comdat
.Lfunc_end3200:
	.size	_ZN7rocprim17ROCPRIM_400000_NS6detail17trampoline_kernelINS0_14default_configENS1_25partition_config_selectorILNS1_17partition_subalgoE1ExNS0_10empty_typeEbEEZZNS1_14partition_implILS5_1ELb0ES3_jN6thrust23THRUST_200600_302600_NS6detail15normal_iteratorINSA_10device_ptrIxEEEEPS6_NSA_18transform_iteratorI7is_evenIxESF_NSA_11use_defaultESK_EENS0_5tupleIJSF_NSA_16discard_iteratorISK_EEEEENSM_IJSG_SG_EEES6_PlJS6_EEE10hipError_tPvRmT3_T4_T5_T6_T7_T9_mT8_P12ihipStream_tbDpT10_ENKUlT_T0_E_clISt17integral_constantIbLb0EES1B_EEDaS16_S17_EUlS16_E_NS1_11comp_targetILNS1_3genE10ELNS1_11target_archE1200ELNS1_3gpuE4ELNS1_3repE0EEENS1_30default_config_static_selectorELNS0_4arch9wavefront6targetE1EEEvT1_, .Lfunc_end3200-_ZN7rocprim17ROCPRIM_400000_NS6detail17trampoline_kernelINS0_14default_configENS1_25partition_config_selectorILNS1_17partition_subalgoE1ExNS0_10empty_typeEbEEZZNS1_14partition_implILS5_1ELb0ES3_jN6thrust23THRUST_200600_302600_NS6detail15normal_iteratorINSA_10device_ptrIxEEEEPS6_NSA_18transform_iteratorI7is_evenIxESF_NSA_11use_defaultESK_EENS0_5tupleIJSF_NSA_16discard_iteratorISK_EEEEENSM_IJSG_SG_EEES6_PlJS6_EEE10hipError_tPvRmT3_T4_T5_T6_T7_T9_mT8_P12ihipStream_tbDpT10_ENKUlT_T0_E_clISt17integral_constantIbLb0EES1B_EEDaS16_S17_EUlS16_E_NS1_11comp_targetILNS1_3genE10ELNS1_11target_archE1200ELNS1_3gpuE4ELNS1_3repE0EEENS1_30default_config_static_selectorELNS0_4arch9wavefront6targetE1EEEvT1_
                                        ; -- End function
	.section	.AMDGPU.csdata,"",@progbits
; Kernel info:
; codeLenInByte = 0
; NumSgprs: 6
; NumVgprs: 0
; NumAgprs: 0
; TotalNumVgprs: 0
; ScratchSize: 0
; MemoryBound: 0
; FloatMode: 240
; IeeeMode: 1
; LDSByteSize: 0 bytes/workgroup (compile time only)
; SGPRBlocks: 0
; VGPRBlocks: 0
; NumSGPRsForWavesPerEU: 6
; NumVGPRsForWavesPerEU: 1
; AccumOffset: 4
; Occupancy: 8
; WaveLimiterHint : 0
; COMPUTE_PGM_RSRC2:SCRATCH_EN: 0
; COMPUTE_PGM_RSRC2:USER_SGPR: 2
; COMPUTE_PGM_RSRC2:TRAP_HANDLER: 0
; COMPUTE_PGM_RSRC2:TGID_X_EN: 1
; COMPUTE_PGM_RSRC2:TGID_Y_EN: 0
; COMPUTE_PGM_RSRC2:TGID_Z_EN: 0
; COMPUTE_PGM_RSRC2:TIDIG_COMP_CNT: 0
; COMPUTE_PGM_RSRC3_GFX90A:ACCUM_OFFSET: 0
; COMPUTE_PGM_RSRC3_GFX90A:TG_SPLIT: 0
	.section	.text._ZN7rocprim17ROCPRIM_400000_NS6detail17trampoline_kernelINS0_14default_configENS1_25partition_config_selectorILNS1_17partition_subalgoE1ExNS0_10empty_typeEbEEZZNS1_14partition_implILS5_1ELb0ES3_jN6thrust23THRUST_200600_302600_NS6detail15normal_iteratorINSA_10device_ptrIxEEEEPS6_NSA_18transform_iteratorI7is_evenIxESF_NSA_11use_defaultESK_EENS0_5tupleIJSF_NSA_16discard_iteratorISK_EEEEENSM_IJSG_SG_EEES6_PlJS6_EEE10hipError_tPvRmT3_T4_T5_T6_T7_T9_mT8_P12ihipStream_tbDpT10_ENKUlT_T0_E_clISt17integral_constantIbLb0EES1B_EEDaS16_S17_EUlS16_E_NS1_11comp_targetILNS1_3genE9ELNS1_11target_archE1100ELNS1_3gpuE3ELNS1_3repE0EEENS1_30default_config_static_selectorELNS0_4arch9wavefront6targetE1EEEvT1_,"axG",@progbits,_ZN7rocprim17ROCPRIM_400000_NS6detail17trampoline_kernelINS0_14default_configENS1_25partition_config_selectorILNS1_17partition_subalgoE1ExNS0_10empty_typeEbEEZZNS1_14partition_implILS5_1ELb0ES3_jN6thrust23THRUST_200600_302600_NS6detail15normal_iteratorINSA_10device_ptrIxEEEEPS6_NSA_18transform_iteratorI7is_evenIxESF_NSA_11use_defaultESK_EENS0_5tupleIJSF_NSA_16discard_iteratorISK_EEEEENSM_IJSG_SG_EEES6_PlJS6_EEE10hipError_tPvRmT3_T4_T5_T6_T7_T9_mT8_P12ihipStream_tbDpT10_ENKUlT_T0_E_clISt17integral_constantIbLb0EES1B_EEDaS16_S17_EUlS16_E_NS1_11comp_targetILNS1_3genE9ELNS1_11target_archE1100ELNS1_3gpuE3ELNS1_3repE0EEENS1_30default_config_static_selectorELNS0_4arch9wavefront6targetE1EEEvT1_,comdat
	.protected	_ZN7rocprim17ROCPRIM_400000_NS6detail17trampoline_kernelINS0_14default_configENS1_25partition_config_selectorILNS1_17partition_subalgoE1ExNS0_10empty_typeEbEEZZNS1_14partition_implILS5_1ELb0ES3_jN6thrust23THRUST_200600_302600_NS6detail15normal_iteratorINSA_10device_ptrIxEEEEPS6_NSA_18transform_iteratorI7is_evenIxESF_NSA_11use_defaultESK_EENS0_5tupleIJSF_NSA_16discard_iteratorISK_EEEEENSM_IJSG_SG_EEES6_PlJS6_EEE10hipError_tPvRmT3_T4_T5_T6_T7_T9_mT8_P12ihipStream_tbDpT10_ENKUlT_T0_E_clISt17integral_constantIbLb0EES1B_EEDaS16_S17_EUlS16_E_NS1_11comp_targetILNS1_3genE9ELNS1_11target_archE1100ELNS1_3gpuE3ELNS1_3repE0EEENS1_30default_config_static_selectorELNS0_4arch9wavefront6targetE1EEEvT1_ ; -- Begin function _ZN7rocprim17ROCPRIM_400000_NS6detail17trampoline_kernelINS0_14default_configENS1_25partition_config_selectorILNS1_17partition_subalgoE1ExNS0_10empty_typeEbEEZZNS1_14partition_implILS5_1ELb0ES3_jN6thrust23THRUST_200600_302600_NS6detail15normal_iteratorINSA_10device_ptrIxEEEEPS6_NSA_18transform_iteratorI7is_evenIxESF_NSA_11use_defaultESK_EENS0_5tupleIJSF_NSA_16discard_iteratorISK_EEEEENSM_IJSG_SG_EEES6_PlJS6_EEE10hipError_tPvRmT3_T4_T5_T6_T7_T9_mT8_P12ihipStream_tbDpT10_ENKUlT_T0_E_clISt17integral_constantIbLb0EES1B_EEDaS16_S17_EUlS16_E_NS1_11comp_targetILNS1_3genE9ELNS1_11target_archE1100ELNS1_3gpuE3ELNS1_3repE0EEENS1_30default_config_static_selectorELNS0_4arch9wavefront6targetE1EEEvT1_
	.globl	_ZN7rocprim17ROCPRIM_400000_NS6detail17trampoline_kernelINS0_14default_configENS1_25partition_config_selectorILNS1_17partition_subalgoE1ExNS0_10empty_typeEbEEZZNS1_14partition_implILS5_1ELb0ES3_jN6thrust23THRUST_200600_302600_NS6detail15normal_iteratorINSA_10device_ptrIxEEEEPS6_NSA_18transform_iteratorI7is_evenIxESF_NSA_11use_defaultESK_EENS0_5tupleIJSF_NSA_16discard_iteratorISK_EEEEENSM_IJSG_SG_EEES6_PlJS6_EEE10hipError_tPvRmT3_T4_T5_T6_T7_T9_mT8_P12ihipStream_tbDpT10_ENKUlT_T0_E_clISt17integral_constantIbLb0EES1B_EEDaS16_S17_EUlS16_E_NS1_11comp_targetILNS1_3genE9ELNS1_11target_archE1100ELNS1_3gpuE3ELNS1_3repE0EEENS1_30default_config_static_selectorELNS0_4arch9wavefront6targetE1EEEvT1_
	.p2align	8
	.type	_ZN7rocprim17ROCPRIM_400000_NS6detail17trampoline_kernelINS0_14default_configENS1_25partition_config_selectorILNS1_17partition_subalgoE1ExNS0_10empty_typeEbEEZZNS1_14partition_implILS5_1ELb0ES3_jN6thrust23THRUST_200600_302600_NS6detail15normal_iteratorINSA_10device_ptrIxEEEEPS6_NSA_18transform_iteratorI7is_evenIxESF_NSA_11use_defaultESK_EENS0_5tupleIJSF_NSA_16discard_iteratorISK_EEEEENSM_IJSG_SG_EEES6_PlJS6_EEE10hipError_tPvRmT3_T4_T5_T6_T7_T9_mT8_P12ihipStream_tbDpT10_ENKUlT_T0_E_clISt17integral_constantIbLb0EES1B_EEDaS16_S17_EUlS16_E_NS1_11comp_targetILNS1_3genE9ELNS1_11target_archE1100ELNS1_3gpuE3ELNS1_3repE0EEENS1_30default_config_static_selectorELNS0_4arch9wavefront6targetE1EEEvT1_,@function
_ZN7rocprim17ROCPRIM_400000_NS6detail17trampoline_kernelINS0_14default_configENS1_25partition_config_selectorILNS1_17partition_subalgoE1ExNS0_10empty_typeEbEEZZNS1_14partition_implILS5_1ELb0ES3_jN6thrust23THRUST_200600_302600_NS6detail15normal_iteratorINSA_10device_ptrIxEEEEPS6_NSA_18transform_iteratorI7is_evenIxESF_NSA_11use_defaultESK_EENS0_5tupleIJSF_NSA_16discard_iteratorISK_EEEEENSM_IJSG_SG_EEES6_PlJS6_EEE10hipError_tPvRmT3_T4_T5_T6_T7_T9_mT8_P12ihipStream_tbDpT10_ENKUlT_T0_E_clISt17integral_constantIbLb0EES1B_EEDaS16_S17_EUlS16_E_NS1_11comp_targetILNS1_3genE9ELNS1_11target_archE1100ELNS1_3gpuE3ELNS1_3repE0EEENS1_30default_config_static_selectorELNS0_4arch9wavefront6targetE1EEEvT1_: ; @_ZN7rocprim17ROCPRIM_400000_NS6detail17trampoline_kernelINS0_14default_configENS1_25partition_config_selectorILNS1_17partition_subalgoE1ExNS0_10empty_typeEbEEZZNS1_14partition_implILS5_1ELb0ES3_jN6thrust23THRUST_200600_302600_NS6detail15normal_iteratorINSA_10device_ptrIxEEEEPS6_NSA_18transform_iteratorI7is_evenIxESF_NSA_11use_defaultESK_EENS0_5tupleIJSF_NSA_16discard_iteratorISK_EEEEENSM_IJSG_SG_EEES6_PlJS6_EEE10hipError_tPvRmT3_T4_T5_T6_T7_T9_mT8_P12ihipStream_tbDpT10_ENKUlT_T0_E_clISt17integral_constantIbLb0EES1B_EEDaS16_S17_EUlS16_E_NS1_11comp_targetILNS1_3genE9ELNS1_11target_archE1100ELNS1_3gpuE3ELNS1_3repE0EEENS1_30default_config_static_selectorELNS0_4arch9wavefront6targetE1EEEvT1_
; %bb.0:
	.section	.rodata,"a",@progbits
	.p2align	6, 0x0
	.amdhsa_kernel _ZN7rocprim17ROCPRIM_400000_NS6detail17trampoline_kernelINS0_14default_configENS1_25partition_config_selectorILNS1_17partition_subalgoE1ExNS0_10empty_typeEbEEZZNS1_14partition_implILS5_1ELb0ES3_jN6thrust23THRUST_200600_302600_NS6detail15normal_iteratorINSA_10device_ptrIxEEEEPS6_NSA_18transform_iteratorI7is_evenIxESF_NSA_11use_defaultESK_EENS0_5tupleIJSF_NSA_16discard_iteratorISK_EEEEENSM_IJSG_SG_EEES6_PlJS6_EEE10hipError_tPvRmT3_T4_T5_T6_T7_T9_mT8_P12ihipStream_tbDpT10_ENKUlT_T0_E_clISt17integral_constantIbLb0EES1B_EEDaS16_S17_EUlS16_E_NS1_11comp_targetILNS1_3genE9ELNS1_11target_archE1100ELNS1_3gpuE3ELNS1_3repE0EEENS1_30default_config_static_selectorELNS0_4arch9wavefront6targetE1EEEvT1_
		.amdhsa_group_segment_fixed_size 0
		.amdhsa_private_segment_fixed_size 0
		.amdhsa_kernarg_size 136
		.amdhsa_user_sgpr_count 2
		.amdhsa_user_sgpr_dispatch_ptr 0
		.amdhsa_user_sgpr_queue_ptr 0
		.amdhsa_user_sgpr_kernarg_segment_ptr 1
		.amdhsa_user_sgpr_dispatch_id 0
		.amdhsa_user_sgpr_kernarg_preload_length 0
		.amdhsa_user_sgpr_kernarg_preload_offset 0
		.amdhsa_user_sgpr_private_segment_size 0
		.amdhsa_uses_dynamic_stack 0
		.amdhsa_enable_private_segment 0
		.amdhsa_system_sgpr_workgroup_id_x 1
		.amdhsa_system_sgpr_workgroup_id_y 0
		.amdhsa_system_sgpr_workgroup_id_z 0
		.amdhsa_system_sgpr_workgroup_info 0
		.amdhsa_system_vgpr_workitem_id 0
		.amdhsa_next_free_vgpr 1
		.amdhsa_next_free_sgpr 0
		.amdhsa_accum_offset 4
		.amdhsa_reserve_vcc 0
		.amdhsa_float_round_mode_32 0
		.amdhsa_float_round_mode_16_64 0
		.amdhsa_float_denorm_mode_32 3
		.amdhsa_float_denorm_mode_16_64 3
		.amdhsa_dx10_clamp 1
		.amdhsa_ieee_mode 1
		.amdhsa_fp16_overflow 0
		.amdhsa_tg_split 0
		.amdhsa_exception_fp_ieee_invalid_op 0
		.amdhsa_exception_fp_denorm_src 0
		.amdhsa_exception_fp_ieee_div_zero 0
		.amdhsa_exception_fp_ieee_overflow 0
		.amdhsa_exception_fp_ieee_underflow 0
		.amdhsa_exception_fp_ieee_inexact 0
		.amdhsa_exception_int_div_zero 0
	.end_amdhsa_kernel
	.section	.text._ZN7rocprim17ROCPRIM_400000_NS6detail17trampoline_kernelINS0_14default_configENS1_25partition_config_selectorILNS1_17partition_subalgoE1ExNS0_10empty_typeEbEEZZNS1_14partition_implILS5_1ELb0ES3_jN6thrust23THRUST_200600_302600_NS6detail15normal_iteratorINSA_10device_ptrIxEEEEPS6_NSA_18transform_iteratorI7is_evenIxESF_NSA_11use_defaultESK_EENS0_5tupleIJSF_NSA_16discard_iteratorISK_EEEEENSM_IJSG_SG_EEES6_PlJS6_EEE10hipError_tPvRmT3_T4_T5_T6_T7_T9_mT8_P12ihipStream_tbDpT10_ENKUlT_T0_E_clISt17integral_constantIbLb0EES1B_EEDaS16_S17_EUlS16_E_NS1_11comp_targetILNS1_3genE9ELNS1_11target_archE1100ELNS1_3gpuE3ELNS1_3repE0EEENS1_30default_config_static_selectorELNS0_4arch9wavefront6targetE1EEEvT1_,"axG",@progbits,_ZN7rocprim17ROCPRIM_400000_NS6detail17trampoline_kernelINS0_14default_configENS1_25partition_config_selectorILNS1_17partition_subalgoE1ExNS0_10empty_typeEbEEZZNS1_14partition_implILS5_1ELb0ES3_jN6thrust23THRUST_200600_302600_NS6detail15normal_iteratorINSA_10device_ptrIxEEEEPS6_NSA_18transform_iteratorI7is_evenIxESF_NSA_11use_defaultESK_EENS0_5tupleIJSF_NSA_16discard_iteratorISK_EEEEENSM_IJSG_SG_EEES6_PlJS6_EEE10hipError_tPvRmT3_T4_T5_T6_T7_T9_mT8_P12ihipStream_tbDpT10_ENKUlT_T0_E_clISt17integral_constantIbLb0EES1B_EEDaS16_S17_EUlS16_E_NS1_11comp_targetILNS1_3genE9ELNS1_11target_archE1100ELNS1_3gpuE3ELNS1_3repE0EEENS1_30default_config_static_selectorELNS0_4arch9wavefront6targetE1EEEvT1_,comdat
.Lfunc_end3201:
	.size	_ZN7rocprim17ROCPRIM_400000_NS6detail17trampoline_kernelINS0_14default_configENS1_25partition_config_selectorILNS1_17partition_subalgoE1ExNS0_10empty_typeEbEEZZNS1_14partition_implILS5_1ELb0ES3_jN6thrust23THRUST_200600_302600_NS6detail15normal_iteratorINSA_10device_ptrIxEEEEPS6_NSA_18transform_iteratorI7is_evenIxESF_NSA_11use_defaultESK_EENS0_5tupleIJSF_NSA_16discard_iteratorISK_EEEEENSM_IJSG_SG_EEES6_PlJS6_EEE10hipError_tPvRmT3_T4_T5_T6_T7_T9_mT8_P12ihipStream_tbDpT10_ENKUlT_T0_E_clISt17integral_constantIbLb0EES1B_EEDaS16_S17_EUlS16_E_NS1_11comp_targetILNS1_3genE9ELNS1_11target_archE1100ELNS1_3gpuE3ELNS1_3repE0EEENS1_30default_config_static_selectorELNS0_4arch9wavefront6targetE1EEEvT1_, .Lfunc_end3201-_ZN7rocprim17ROCPRIM_400000_NS6detail17trampoline_kernelINS0_14default_configENS1_25partition_config_selectorILNS1_17partition_subalgoE1ExNS0_10empty_typeEbEEZZNS1_14partition_implILS5_1ELb0ES3_jN6thrust23THRUST_200600_302600_NS6detail15normal_iteratorINSA_10device_ptrIxEEEEPS6_NSA_18transform_iteratorI7is_evenIxESF_NSA_11use_defaultESK_EENS0_5tupleIJSF_NSA_16discard_iteratorISK_EEEEENSM_IJSG_SG_EEES6_PlJS6_EEE10hipError_tPvRmT3_T4_T5_T6_T7_T9_mT8_P12ihipStream_tbDpT10_ENKUlT_T0_E_clISt17integral_constantIbLb0EES1B_EEDaS16_S17_EUlS16_E_NS1_11comp_targetILNS1_3genE9ELNS1_11target_archE1100ELNS1_3gpuE3ELNS1_3repE0EEENS1_30default_config_static_selectorELNS0_4arch9wavefront6targetE1EEEvT1_
                                        ; -- End function
	.section	.AMDGPU.csdata,"",@progbits
; Kernel info:
; codeLenInByte = 0
; NumSgprs: 6
; NumVgprs: 0
; NumAgprs: 0
; TotalNumVgprs: 0
; ScratchSize: 0
; MemoryBound: 0
; FloatMode: 240
; IeeeMode: 1
; LDSByteSize: 0 bytes/workgroup (compile time only)
; SGPRBlocks: 0
; VGPRBlocks: 0
; NumSGPRsForWavesPerEU: 6
; NumVGPRsForWavesPerEU: 1
; AccumOffset: 4
; Occupancy: 8
; WaveLimiterHint : 0
; COMPUTE_PGM_RSRC2:SCRATCH_EN: 0
; COMPUTE_PGM_RSRC2:USER_SGPR: 2
; COMPUTE_PGM_RSRC2:TRAP_HANDLER: 0
; COMPUTE_PGM_RSRC2:TGID_X_EN: 1
; COMPUTE_PGM_RSRC2:TGID_Y_EN: 0
; COMPUTE_PGM_RSRC2:TGID_Z_EN: 0
; COMPUTE_PGM_RSRC2:TIDIG_COMP_CNT: 0
; COMPUTE_PGM_RSRC3_GFX90A:ACCUM_OFFSET: 0
; COMPUTE_PGM_RSRC3_GFX90A:TG_SPLIT: 0
	.section	.text._ZN7rocprim17ROCPRIM_400000_NS6detail17trampoline_kernelINS0_14default_configENS1_25partition_config_selectorILNS1_17partition_subalgoE1ExNS0_10empty_typeEbEEZZNS1_14partition_implILS5_1ELb0ES3_jN6thrust23THRUST_200600_302600_NS6detail15normal_iteratorINSA_10device_ptrIxEEEEPS6_NSA_18transform_iteratorI7is_evenIxESF_NSA_11use_defaultESK_EENS0_5tupleIJSF_NSA_16discard_iteratorISK_EEEEENSM_IJSG_SG_EEES6_PlJS6_EEE10hipError_tPvRmT3_T4_T5_T6_T7_T9_mT8_P12ihipStream_tbDpT10_ENKUlT_T0_E_clISt17integral_constantIbLb0EES1B_EEDaS16_S17_EUlS16_E_NS1_11comp_targetILNS1_3genE8ELNS1_11target_archE1030ELNS1_3gpuE2ELNS1_3repE0EEENS1_30default_config_static_selectorELNS0_4arch9wavefront6targetE1EEEvT1_,"axG",@progbits,_ZN7rocprim17ROCPRIM_400000_NS6detail17trampoline_kernelINS0_14default_configENS1_25partition_config_selectorILNS1_17partition_subalgoE1ExNS0_10empty_typeEbEEZZNS1_14partition_implILS5_1ELb0ES3_jN6thrust23THRUST_200600_302600_NS6detail15normal_iteratorINSA_10device_ptrIxEEEEPS6_NSA_18transform_iteratorI7is_evenIxESF_NSA_11use_defaultESK_EENS0_5tupleIJSF_NSA_16discard_iteratorISK_EEEEENSM_IJSG_SG_EEES6_PlJS6_EEE10hipError_tPvRmT3_T4_T5_T6_T7_T9_mT8_P12ihipStream_tbDpT10_ENKUlT_T0_E_clISt17integral_constantIbLb0EES1B_EEDaS16_S17_EUlS16_E_NS1_11comp_targetILNS1_3genE8ELNS1_11target_archE1030ELNS1_3gpuE2ELNS1_3repE0EEENS1_30default_config_static_selectorELNS0_4arch9wavefront6targetE1EEEvT1_,comdat
	.protected	_ZN7rocprim17ROCPRIM_400000_NS6detail17trampoline_kernelINS0_14default_configENS1_25partition_config_selectorILNS1_17partition_subalgoE1ExNS0_10empty_typeEbEEZZNS1_14partition_implILS5_1ELb0ES3_jN6thrust23THRUST_200600_302600_NS6detail15normal_iteratorINSA_10device_ptrIxEEEEPS6_NSA_18transform_iteratorI7is_evenIxESF_NSA_11use_defaultESK_EENS0_5tupleIJSF_NSA_16discard_iteratorISK_EEEEENSM_IJSG_SG_EEES6_PlJS6_EEE10hipError_tPvRmT3_T4_T5_T6_T7_T9_mT8_P12ihipStream_tbDpT10_ENKUlT_T0_E_clISt17integral_constantIbLb0EES1B_EEDaS16_S17_EUlS16_E_NS1_11comp_targetILNS1_3genE8ELNS1_11target_archE1030ELNS1_3gpuE2ELNS1_3repE0EEENS1_30default_config_static_selectorELNS0_4arch9wavefront6targetE1EEEvT1_ ; -- Begin function _ZN7rocprim17ROCPRIM_400000_NS6detail17trampoline_kernelINS0_14default_configENS1_25partition_config_selectorILNS1_17partition_subalgoE1ExNS0_10empty_typeEbEEZZNS1_14partition_implILS5_1ELb0ES3_jN6thrust23THRUST_200600_302600_NS6detail15normal_iteratorINSA_10device_ptrIxEEEEPS6_NSA_18transform_iteratorI7is_evenIxESF_NSA_11use_defaultESK_EENS0_5tupleIJSF_NSA_16discard_iteratorISK_EEEEENSM_IJSG_SG_EEES6_PlJS6_EEE10hipError_tPvRmT3_T4_T5_T6_T7_T9_mT8_P12ihipStream_tbDpT10_ENKUlT_T0_E_clISt17integral_constantIbLb0EES1B_EEDaS16_S17_EUlS16_E_NS1_11comp_targetILNS1_3genE8ELNS1_11target_archE1030ELNS1_3gpuE2ELNS1_3repE0EEENS1_30default_config_static_selectorELNS0_4arch9wavefront6targetE1EEEvT1_
	.globl	_ZN7rocprim17ROCPRIM_400000_NS6detail17trampoline_kernelINS0_14default_configENS1_25partition_config_selectorILNS1_17partition_subalgoE1ExNS0_10empty_typeEbEEZZNS1_14partition_implILS5_1ELb0ES3_jN6thrust23THRUST_200600_302600_NS6detail15normal_iteratorINSA_10device_ptrIxEEEEPS6_NSA_18transform_iteratorI7is_evenIxESF_NSA_11use_defaultESK_EENS0_5tupleIJSF_NSA_16discard_iteratorISK_EEEEENSM_IJSG_SG_EEES6_PlJS6_EEE10hipError_tPvRmT3_T4_T5_T6_T7_T9_mT8_P12ihipStream_tbDpT10_ENKUlT_T0_E_clISt17integral_constantIbLb0EES1B_EEDaS16_S17_EUlS16_E_NS1_11comp_targetILNS1_3genE8ELNS1_11target_archE1030ELNS1_3gpuE2ELNS1_3repE0EEENS1_30default_config_static_selectorELNS0_4arch9wavefront6targetE1EEEvT1_
	.p2align	8
	.type	_ZN7rocprim17ROCPRIM_400000_NS6detail17trampoline_kernelINS0_14default_configENS1_25partition_config_selectorILNS1_17partition_subalgoE1ExNS0_10empty_typeEbEEZZNS1_14partition_implILS5_1ELb0ES3_jN6thrust23THRUST_200600_302600_NS6detail15normal_iteratorINSA_10device_ptrIxEEEEPS6_NSA_18transform_iteratorI7is_evenIxESF_NSA_11use_defaultESK_EENS0_5tupleIJSF_NSA_16discard_iteratorISK_EEEEENSM_IJSG_SG_EEES6_PlJS6_EEE10hipError_tPvRmT3_T4_T5_T6_T7_T9_mT8_P12ihipStream_tbDpT10_ENKUlT_T0_E_clISt17integral_constantIbLb0EES1B_EEDaS16_S17_EUlS16_E_NS1_11comp_targetILNS1_3genE8ELNS1_11target_archE1030ELNS1_3gpuE2ELNS1_3repE0EEENS1_30default_config_static_selectorELNS0_4arch9wavefront6targetE1EEEvT1_,@function
_ZN7rocprim17ROCPRIM_400000_NS6detail17trampoline_kernelINS0_14default_configENS1_25partition_config_selectorILNS1_17partition_subalgoE1ExNS0_10empty_typeEbEEZZNS1_14partition_implILS5_1ELb0ES3_jN6thrust23THRUST_200600_302600_NS6detail15normal_iteratorINSA_10device_ptrIxEEEEPS6_NSA_18transform_iteratorI7is_evenIxESF_NSA_11use_defaultESK_EENS0_5tupleIJSF_NSA_16discard_iteratorISK_EEEEENSM_IJSG_SG_EEES6_PlJS6_EEE10hipError_tPvRmT3_T4_T5_T6_T7_T9_mT8_P12ihipStream_tbDpT10_ENKUlT_T0_E_clISt17integral_constantIbLb0EES1B_EEDaS16_S17_EUlS16_E_NS1_11comp_targetILNS1_3genE8ELNS1_11target_archE1030ELNS1_3gpuE2ELNS1_3repE0EEENS1_30default_config_static_selectorELNS0_4arch9wavefront6targetE1EEEvT1_: ; @_ZN7rocprim17ROCPRIM_400000_NS6detail17trampoline_kernelINS0_14default_configENS1_25partition_config_selectorILNS1_17partition_subalgoE1ExNS0_10empty_typeEbEEZZNS1_14partition_implILS5_1ELb0ES3_jN6thrust23THRUST_200600_302600_NS6detail15normal_iteratorINSA_10device_ptrIxEEEEPS6_NSA_18transform_iteratorI7is_evenIxESF_NSA_11use_defaultESK_EENS0_5tupleIJSF_NSA_16discard_iteratorISK_EEEEENSM_IJSG_SG_EEES6_PlJS6_EEE10hipError_tPvRmT3_T4_T5_T6_T7_T9_mT8_P12ihipStream_tbDpT10_ENKUlT_T0_E_clISt17integral_constantIbLb0EES1B_EEDaS16_S17_EUlS16_E_NS1_11comp_targetILNS1_3genE8ELNS1_11target_archE1030ELNS1_3gpuE2ELNS1_3repE0EEENS1_30default_config_static_selectorELNS0_4arch9wavefront6targetE1EEEvT1_
; %bb.0:
	.section	.rodata,"a",@progbits
	.p2align	6, 0x0
	.amdhsa_kernel _ZN7rocprim17ROCPRIM_400000_NS6detail17trampoline_kernelINS0_14default_configENS1_25partition_config_selectorILNS1_17partition_subalgoE1ExNS0_10empty_typeEbEEZZNS1_14partition_implILS5_1ELb0ES3_jN6thrust23THRUST_200600_302600_NS6detail15normal_iteratorINSA_10device_ptrIxEEEEPS6_NSA_18transform_iteratorI7is_evenIxESF_NSA_11use_defaultESK_EENS0_5tupleIJSF_NSA_16discard_iteratorISK_EEEEENSM_IJSG_SG_EEES6_PlJS6_EEE10hipError_tPvRmT3_T4_T5_T6_T7_T9_mT8_P12ihipStream_tbDpT10_ENKUlT_T0_E_clISt17integral_constantIbLb0EES1B_EEDaS16_S17_EUlS16_E_NS1_11comp_targetILNS1_3genE8ELNS1_11target_archE1030ELNS1_3gpuE2ELNS1_3repE0EEENS1_30default_config_static_selectorELNS0_4arch9wavefront6targetE1EEEvT1_
		.amdhsa_group_segment_fixed_size 0
		.amdhsa_private_segment_fixed_size 0
		.amdhsa_kernarg_size 136
		.amdhsa_user_sgpr_count 2
		.amdhsa_user_sgpr_dispatch_ptr 0
		.amdhsa_user_sgpr_queue_ptr 0
		.amdhsa_user_sgpr_kernarg_segment_ptr 1
		.amdhsa_user_sgpr_dispatch_id 0
		.amdhsa_user_sgpr_kernarg_preload_length 0
		.amdhsa_user_sgpr_kernarg_preload_offset 0
		.amdhsa_user_sgpr_private_segment_size 0
		.amdhsa_uses_dynamic_stack 0
		.amdhsa_enable_private_segment 0
		.amdhsa_system_sgpr_workgroup_id_x 1
		.amdhsa_system_sgpr_workgroup_id_y 0
		.amdhsa_system_sgpr_workgroup_id_z 0
		.amdhsa_system_sgpr_workgroup_info 0
		.amdhsa_system_vgpr_workitem_id 0
		.amdhsa_next_free_vgpr 1
		.amdhsa_next_free_sgpr 0
		.amdhsa_accum_offset 4
		.amdhsa_reserve_vcc 0
		.amdhsa_float_round_mode_32 0
		.amdhsa_float_round_mode_16_64 0
		.amdhsa_float_denorm_mode_32 3
		.amdhsa_float_denorm_mode_16_64 3
		.amdhsa_dx10_clamp 1
		.amdhsa_ieee_mode 1
		.amdhsa_fp16_overflow 0
		.amdhsa_tg_split 0
		.amdhsa_exception_fp_ieee_invalid_op 0
		.amdhsa_exception_fp_denorm_src 0
		.amdhsa_exception_fp_ieee_div_zero 0
		.amdhsa_exception_fp_ieee_overflow 0
		.amdhsa_exception_fp_ieee_underflow 0
		.amdhsa_exception_fp_ieee_inexact 0
		.amdhsa_exception_int_div_zero 0
	.end_amdhsa_kernel
	.section	.text._ZN7rocprim17ROCPRIM_400000_NS6detail17trampoline_kernelINS0_14default_configENS1_25partition_config_selectorILNS1_17partition_subalgoE1ExNS0_10empty_typeEbEEZZNS1_14partition_implILS5_1ELb0ES3_jN6thrust23THRUST_200600_302600_NS6detail15normal_iteratorINSA_10device_ptrIxEEEEPS6_NSA_18transform_iteratorI7is_evenIxESF_NSA_11use_defaultESK_EENS0_5tupleIJSF_NSA_16discard_iteratorISK_EEEEENSM_IJSG_SG_EEES6_PlJS6_EEE10hipError_tPvRmT3_T4_T5_T6_T7_T9_mT8_P12ihipStream_tbDpT10_ENKUlT_T0_E_clISt17integral_constantIbLb0EES1B_EEDaS16_S17_EUlS16_E_NS1_11comp_targetILNS1_3genE8ELNS1_11target_archE1030ELNS1_3gpuE2ELNS1_3repE0EEENS1_30default_config_static_selectorELNS0_4arch9wavefront6targetE1EEEvT1_,"axG",@progbits,_ZN7rocprim17ROCPRIM_400000_NS6detail17trampoline_kernelINS0_14default_configENS1_25partition_config_selectorILNS1_17partition_subalgoE1ExNS0_10empty_typeEbEEZZNS1_14partition_implILS5_1ELb0ES3_jN6thrust23THRUST_200600_302600_NS6detail15normal_iteratorINSA_10device_ptrIxEEEEPS6_NSA_18transform_iteratorI7is_evenIxESF_NSA_11use_defaultESK_EENS0_5tupleIJSF_NSA_16discard_iteratorISK_EEEEENSM_IJSG_SG_EEES6_PlJS6_EEE10hipError_tPvRmT3_T4_T5_T6_T7_T9_mT8_P12ihipStream_tbDpT10_ENKUlT_T0_E_clISt17integral_constantIbLb0EES1B_EEDaS16_S17_EUlS16_E_NS1_11comp_targetILNS1_3genE8ELNS1_11target_archE1030ELNS1_3gpuE2ELNS1_3repE0EEENS1_30default_config_static_selectorELNS0_4arch9wavefront6targetE1EEEvT1_,comdat
.Lfunc_end3202:
	.size	_ZN7rocprim17ROCPRIM_400000_NS6detail17trampoline_kernelINS0_14default_configENS1_25partition_config_selectorILNS1_17partition_subalgoE1ExNS0_10empty_typeEbEEZZNS1_14partition_implILS5_1ELb0ES3_jN6thrust23THRUST_200600_302600_NS6detail15normal_iteratorINSA_10device_ptrIxEEEEPS6_NSA_18transform_iteratorI7is_evenIxESF_NSA_11use_defaultESK_EENS0_5tupleIJSF_NSA_16discard_iteratorISK_EEEEENSM_IJSG_SG_EEES6_PlJS6_EEE10hipError_tPvRmT3_T4_T5_T6_T7_T9_mT8_P12ihipStream_tbDpT10_ENKUlT_T0_E_clISt17integral_constantIbLb0EES1B_EEDaS16_S17_EUlS16_E_NS1_11comp_targetILNS1_3genE8ELNS1_11target_archE1030ELNS1_3gpuE2ELNS1_3repE0EEENS1_30default_config_static_selectorELNS0_4arch9wavefront6targetE1EEEvT1_, .Lfunc_end3202-_ZN7rocprim17ROCPRIM_400000_NS6detail17trampoline_kernelINS0_14default_configENS1_25partition_config_selectorILNS1_17partition_subalgoE1ExNS0_10empty_typeEbEEZZNS1_14partition_implILS5_1ELb0ES3_jN6thrust23THRUST_200600_302600_NS6detail15normal_iteratorINSA_10device_ptrIxEEEEPS6_NSA_18transform_iteratorI7is_evenIxESF_NSA_11use_defaultESK_EENS0_5tupleIJSF_NSA_16discard_iteratorISK_EEEEENSM_IJSG_SG_EEES6_PlJS6_EEE10hipError_tPvRmT3_T4_T5_T6_T7_T9_mT8_P12ihipStream_tbDpT10_ENKUlT_T0_E_clISt17integral_constantIbLb0EES1B_EEDaS16_S17_EUlS16_E_NS1_11comp_targetILNS1_3genE8ELNS1_11target_archE1030ELNS1_3gpuE2ELNS1_3repE0EEENS1_30default_config_static_selectorELNS0_4arch9wavefront6targetE1EEEvT1_
                                        ; -- End function
	.section	.AMDGPU.csdata,"",@progbits
; Kernel info:
; codeLenInByte = 0
; NumSgprs: 6
; NumVgprs: 0
; NumAgprs: 0
; TotalNumVgprs: 0
; ScratchSize: 0
; MemoryBound: 0
; FloatMode: 240
; IeeeMode: 1
; LDSByteSize: 0 bytes/workgroup (compile time only)
; SGPRBlocks: 0
; VGPRBlocks: 0
; NumSGPRsForWavesPerEU: 6
; NumVGPRsForWavesPerEU: 1
; AccumOffset: 4
; Occupancy: 8
; WaveLimiterHint : 0
; COMPUTE_PGM_RSRC2:SCRATCH_EN: 0
; COMPUTE_PGM_RSRC2:USER_SGPR: 2
; COMPUTE_PGM_RSRC2:TRAP_HANDLER: 0
; COMPUTE_PGM_RSRC2:TGID_X_EN: 1
; COMPUTE_PGM_RSRC2:TGID_Y_EN: 0
; COMPUTE_PGM_RSRC2:TGID_Z_EN: 0
; COMPUTE_PGM_RSRC2:TIDIG_COMP_CNT: 0
; COMPUTE_PGM_RSRC3_GFX90A:ACCUM_OFFSET: 0
; COMPUTE_PGM_RSRC3_GFX90A:TG_SPLIT: 0
	.section	.text._ZN7rocprim17ROCPRIM_400000_NS6detail17trampoline_kernelINS0_14default_configENS1_25partition_config_selectorILNS1_17partition_subalgoE1ExNS0_10empty_typeEbEEZZNS1_14partition_implILS5_1ELb0ES3_jN6thrust23THRUST_200600_302600_NS6detail15normal_iteratorINSA_10device_ptrIxEEEEPS6_NSA_18transform_iteratorI7is_evenIxESF_NSA_11use_defaultESK_EENS0_5tupleIJSF_NSA_16discard_iteratorISK_EEEEENSM_IJSG_SG_EEES6_PlJS6_EEE10hipError_tPvRmT3_T4_T5_T6_T7_T9_mT8_P12ihipStream_tbDpT10_ENKUlT_T0_E_clISt17integral_constantIbLb1EES1B_EEDaS16_S17_EUlS16_E_NS1_11comp_targetILNS1_3genE0ELNS1_11target_archE4294967295ELNS1_3gpuE0ELNS1_3repE0EEENS1_30default_config_static_selectorELNS0_4arch9wavefront6targetE1EEEvT1_,"axG",@progbits,_ZN7rocprim17ROCPRIM_400000_NS6detail17trampoline_kernelINS0_14default_configENS1_25partition_config_selectorILNS1_17partition_subalgoE1ExNS0_10empty_typeEbEEZZNS1_14partition_implILS5_1ELb0ES3_jN6thrust23THRUST_200600_302600_NS6detail15normal_iteratorINSA_10device_ptrIxEEEEPS6_NSA_18transform_iteratorI7is_evenIxESF_NSA_11use_defaultESK_EENS0_5tupleIJSF_NSA_16discard_iteratorISK_EEEEENSM_IJSG_SG_EEES6_PlJS6_EEE10hipError_tPvRmT3_T4_T5_T6_T7_T9_mT8_P12ihipStream_tbDpT10_ENKUlT_T0_E_clISt17integral_constantIbLb1EES1B_EEDaS16_S17_EUlS16_E_NS1_11comp_targetILNS1_3genE0ELNS1_11target_archE4294967295ELNS1_3gpuE0ELNS1_3repE0EEENS1_30default_config_static_selectorELNS0_4arch9wavefront6targetE1EEEvT1_,comdat
	.protected	_ZN7rocprim17ROCPRIM_400000_NS6detail17trampoline_kernelINS0_14default_configENS1_25partition_config_selectorILNS1_17partition_subalgoE1ExNS0_10empty_typeEbEEZZNS1_14partition_implILS5_1ELb0ES3_jN6thrust23THRUST_200600_302600_NS6detail15normal_iteratorINSA_10device_ptrIxEEEEPS6_NSA_18transform_iteratorI7is_evenIxESF_NSA_11use_defaultESK_EENS0_5tupleIJSF_NSA_16discard_iteratorISK_EEEEENSM_IJSG_SG_EEES6_PlJS6_EEE10hipError_tPvRmT3_T4_T5_T6_T7_T9_mT8_P12ihipStream_tbDpT10_ENKUlT_T0_E_clISt17integral_constantIbLb1EES1B_EEDaS16_S17_EUlS16_E_NS1_11comp_targetILNS1_3genE0ELNS1_11target_archE4294967295ELNS1_3gpuE0ELNS1_3repE0EEENS1_30default_config_static_selectorELNS0_4arch9wavefront6targetE1EEEvT1_ ; -- Begin function _ZN7rocprim17ROCPRIM_400000_NS6detail17trampoline_kernelINS0_14default_configENS1_25partition_config_selectorILNS1_17partition_subalgoE1ExNS0_10empty_typeEbEEZZNS1_14partition_implILS5_1ELb0ES3_jN6thrust23THRUST_200600_302600_NS6detail15normal_iteratorINSA_10device_ptrIxEEEEPS6_NSA_18transform_iteratorI7is_evenIxESF_NSA_11use_defaultESK_EENS0_5tupleIJSF_NSA_16discard_iteratorISK_EEEEENSM_IJSG_SG_EEES6_PlJS6_EEE10hipError_tPvRmT3_T4_T5_T6_T7_T9_mT8_P12ihipStream_tbDpT10_ENKUlT_T0_E_clISt17integral_constantIbLb1EES1B_EEDaS16_S17_EUlS16_E_NS1_11comp_targetILNS1_3genE0ELNS1_11target_archE4294967295ELNS1_3gpuE0ELNS1_3repE0EEENS1_30default_config_static_selectorELNS0_4arch9wavefront6targetE1EEEvT1_
	.globl	_ZN7rocprim17ROCPRIM_400000_NS6detail17trampoline_kernelINS0_14default_configENS1_25partition_config_selectorILNS1_17partition_subalgoE1ExNS0_10empty_typeEbEEZZNS1_14partition_implILS5_1ELb0ES3_jN6thrust23THRUST_200600_302600_NS6detail15normal_iteratorINSA_10device_ptrIxEEEEPS6_NSA_18transform_iteratorI7is_evenIxESF_NSA_11use_defaultESK_EENS0_5tupleIJSF_NSA_16discard_iteratorISK_EEEEENSM_IJSG_SG_EEES6_PlJS6_EEE10hipError_tPvRmT3_T4_T5_T6_T7_T9_mT8_P12ihipStream_tbDpT10_ENKUlT_T0_E_clISt17integral_constantIbLb1EES1B_EEDaS16_S17_EUlS16_E_NS1_11comp_targetILNS1_3genE0ELNS1_11target_archE4294967295ELNS1_3gpuE0ELNS1_3repE0EEENS1_30default_config_static_selectorELNS0_4arch9wavefront6targetE1EEEvT1_
	.p2align	8
	.type	_ZN7rocprim17ROCPRIM_400000_NS6detail17trampoline_kernelINS0_14default_configENS1_25partition_config_selectorILNS1_17partition_subalgoE1ExNS0_10empty_typeEbEEZZNS1_14partition_implILS5_1ELb0ES3_jN6thrust23THRUST_200600_302600_NS6detail15normal_iteratorINSA_10device_ptrIxEEEEPS6_NSA_18transform_iteratorI7is_evenIxESF_NSA_11use_defaultESK_EENS0_5tupleIJSF_NSA_16discard_iteratorISK_EEEEENSM_IJSG_SG_EEES6_PlJS6_EEE10hipError_tPvRmT3_T4_T5_T6_T7_T9_mT8_P12ihipStream_tbDpT10_ENKUlT_T0_E_clISt17integral_constantIbLb1EES1B_EEDaS16_S17_EUlS16_E_NS1_11comp_targetILNS1_3genE0ELNS1_11target_archE4294967295ELNS1_3gpuE0ELNS1_3repE0EEENS1_30default_config_static_selectorELNS0_4arch9wavefront6targetE1EEEvT1_,@function
_ZN7rocprim17ROCPRIM_400000_NS6detail17trampoline_kernelINS0_14default_configENS1_25partition_config_selectorILNS1_17partition_subalgoE1ExNS0_10empty_typeEbEEZZNS1_14partition_implILS5_1ELb0ES3_jN6thrust23THRUST_200600_302600_NS6detail15normal_iteratorINSA_10device_ptrIxEEEEPS6_NSA_18transform_iteratorI7is_evenIxESF_NSA_11use_defaultESK_EENS0_5tupleIJSF_NSA_16discard_iteratorISK_EEEEENSM_IJSG_SG_EEES6_PlJS6_EEE10hipError_tPvRmT3_T4_T5_T6_T7_T9_mT8_P12ihipStream_tbDpT10_ENKUlT_T0_E_clISt17integral_constantIbLb1EES1B_EEDaS16_S17_EUlS16_E_NS1_11comp_targetILNS1_3genE0ELNS1_11target_archE4294967295ELNS1_3gpuE0ELNS1_3repE0EEENS1_30default_config_static_selectorELNS0_4arch9wavefront6targetE1EEEvT1_: ; @_ZN7rocprim17ROCPRIM_400000_NS6detail17trampoline_kernelINS0_14default_configENS1_25partition_config_selectorILNS1_17partition_subalgoE1ExNS0_10empty_typeEbEEZZNS1_14partition_implILS5_1ELb0ES3_jN6thrust23THRUST_200600_302600_NS6detail15normal_iteratorINSA_10device_ptrIxEEEEPS6_NSA_18transform_iteratorI7is_evenIxESF_NSA_11use_defaultESK_EENS0_5tupleIJSF_NSA_16discard_iteratorISK_EEEEENSM_IJSG_SG_EEES6_PlJS6_EEE10hipError_tPvRmT3_T4_T5_T6_T7_T9_mT8_P12ihipStream_tbDpT10_ENKUlT_T0_E_clISt17integral_constantIbLb1EES1B_EEDaS16_S17_EUlS16_E_NS1_11comp_targetILNS1_3genE0ELNS1_11target_archE4294967295ELNS1_3gpuE0ELNS1_3repE0EEENS1_30default_config_static_selectorELNS0_4arch9wavefront6targetE1EEEvT1_
; %bb.0:
	.section	.rodata,"a",@progbits
	.p2align	6, 0x0
	.amdhsa_kernel _ZN7rocprim17ROCPRIM_400000_NS6detail17trampoline_kernelINS0_14default_configENS1_25partition_config_selectorILNS1_17partition_subalgoE1ExNS0_10empty_typeEbEEZZNS1_14partition_implILS5_1ELb0ES3_jN6thrust23THRUST_200600_302600_NS6detail15normal_iteratorINSA_10device_ptrIxEEEEPS6_NSA_18transform_iteratorI7is_evenIxESF_NSA_11use_defaultESK_EENS0_5tupleIJSF_NSA_16discard_iteratorISK_EEEEENSM_IJSG_SG_EEES6_PlJS6_EEE10hipError_tPvRmT3_T4_T5_T6_T7_T9_mT8_P12ihipStream_tbDpT10_ENKUlT_T0_E_clISt17integral_constantIbLb1EES1B_EEDaS16_S17_EUlS16_E_NS1_11comp_targetILNS1_3genE0ELNS1_11target_archE4294967295ELNS1_3gpuE0ELNS1_3repE0EEENS1_30default_config_static_selectorELNS0_4arch9wavefront6targetE1EEEvT1_
		.amdhsa_group_segment_fixed_size 0
		.amdhsa_private_segment_fixed_size 0
		.amdhsa_kernarg_size 152
		.amdhsa_user_sgpr_count 2
		.amdhsa_user_sgpr_dispatch_ptr 0
		.amdhsa_user_sgpr_queue_ptr 0
		.amdhsa_user_sgpr_kernarg_segment_ptr 1
		.amdhsa_user_sgpr_dispatch_id 0
		.amdhsa_user_sgpr_kernarg_preload_length 0
		.amdhsa_user_sgpr_kernarg_preload_offset 0
		.amdhsa_user_sgpr_private_segment_size 0
		.amdhsa_uses_dynamic_stack 0
		.amdhsa_enable_private_segment 0
		.amdhsa_system_sgpr_workgroup_id_x 1
		.amdhsa_system_sgpr_workgroup_id_y 0
		.amdhsa_system_sgpr_workgroup_id_z 0
		.amdhsa_system_sgpr_workgroup_info 0
		.amdhsa_system_vgpr_workitem_id 0
		.amdhsa_next_free_vgpr 1
		.amdhsa_next_free_sgpr 0
		.amdhsa_accum_offset 4
		.amdhsa_reserve_vcc 0
		.amdhsa_float_round_mode_32 0
		.amdhsa_float_round_mode_16_64 0
		.amdhsa_float_denorm_mode_32 3
		.amdhsa_float_denorm_mode_16_64 3
		.amdhsa_dx10_clamp 1
		.amdhsa_ieee_mode 1
		.amdhsa_fp16_overflow 0
		.amdhsa_tg_split 0
		.amdhsa_exception_fp_ieee_invalid_op 0
		.amdhsa_exception_fp_denorm_src 0
		.amdhsa_exception_fp_ieee_div_zero 0
		.amdhsa_exception_fp_ieee_overflow 0
		.amdhsa_exception_fp_ieee_underflow 0
		.amdhsa_exception_fp_ieee_inexact 0
		.amdhsa_exception_int_div_zero 0
	.end_amdhsa_kernel
	.section	.text._ZN7rocprim17ROCPRIM_400000_NS6detail17trampoline_kernelINS0_14default_configENS1_25partition_config_selectorILNS1_17partition_subalgoE1ExNS0_10empty_typeEbEEZZNS1_14partition_implILS5_1ELb0ES3_jN6thrust23THRUST_200600_302600_NS6detail15normal_iteratorINSA_10device_ptrIxEEEEPS6_NSA_18transform_iteratorI7is_evenIxESF_NSA_11use_defaultESK_EENS0_5tupleIJSF_NSA_16discard_iteratorISK_EEEEENSM_IJSG_SG_EEES6_PlJS6_EEE10hipError_tPvRmT3_T4_T5_T6_T7_T9_mT8_P12ihipStream_tbDpT10_ENKUlT_T0_E_clISt17integral_constantIbLb1EES1B_EEDaS16_S17_EUlS16_E_NS1_11comp_targetILNS1_3genE0ELNS1_11target_archE4294967295ELNS1_3gpuE0ELNS1_3repE0EEENS1_30default_config_static_selectorELNS0_4arch9wavefront6targetE1EEEvT1_,"axG",@progbits,_ZN7rocprim17ROCPRIM_400000_NS6detail17trampoline_kernelINS0_14default_configENS1_25partition_config_selectorILNS1_17partition_subalgoE1ExNS0_10empty_typeEbEEZZNS1_14partition_implILS5_1ELb0ES3_jN6thrust23THRUST_200600_302600_NS6detail15normal_iteratorINSA_10device_ptrIxEEEEPS6_NSA_18transform_iteratorI7is_evenIxESF_NSA_11use_defaultESK_EENS0_5tupleIJSF_NSA_16discard_iteratorISK_EEEEENSM_IJSG_SG_EEES6_PlJS6_EEE10hipError_tPvRmT3_T4_T5_T6_T7_T9_mT8_P12ihipStream_tbDpT10_ENKUlT_T0_E_clISt17integral_constantIbLb1EES1B_EEDaS16_S17_EUlS16_E_NS1_11comp_targetILNS1_3genE0ELNS1_11target_archE4294967295ELNS1_3gpuE0ELNS1_3repE0EEENS1_30default_config_static_selectorELNS0_4arch9wavefront6targetE1EEEvT1_,comdat
.Lfunc_end3203:
	.size	_ZN7rocprim17ROCPRIM_400000_NS6detail17trampoline_kernelINS0_14default_configENS1_25partition_config_selectorILNS1_17partition_subalgoE1ExNS0_10empty_typeEbEEZZNS1_14partition_implILS5_1ELb0ES3_jN6thrust23THRUST_200600_302600_NS6detail15normal_iteratorINSA_10device_ptrIxEEEEPS6_NSA_18transform_iteratorI7is_evenIxESF_NSA_11use_defaultESK_EENS0_5tupleIJSF_NSA_16discard_iteratorISK_EEEEENSM_IJSG_SG_EEES6_PlJS6_EEE10hipError_tPvRmT3_T4_T5_T6_T7_T9_mT8_P12ihipStream_tbDpT10_ENKUlT_T0_E_clISt17integral_constantIbLb1EES1B_EEDaS16_S17_EUlS16_E_NS1_11comp_targetILNS1_3genE0ELNS1_11target_archE4294967295ELNS1_3gpuE0ELNS1_3repE0EEENS1_30default_config_static_selectorELNS0_4arch9wavefront6targetE1EEEvT1_, .Lfunc_end3203-_ZN7rocprim17ROCPRIM_400000_NS6detail17trampoline_kernelINS0_14default_configENS1_25partition_config_selectorILNS1_17partition_subalgoE1ExNS0_10empty_typeEbEEZZNS1_14partition_implILS5_1ELb0ES3_jN6thrust23THRUST_200600_302600_NS6detail15normal_iteratorINSA_10device_ptrIxEEEEPS6_NSA_18transform_iteratorI7is_evenIxESF_NSA_11use_defaultESK_EENS0_5tupleIJSF_NSA_16discard_iteratorISK_EEEEENSM_IJSG_SG_EEES6_PlJS6_EEE10hipError_tPvRmT3_T4_T5_T6_T7_T9_mT8_P12ihipStream_tbDpT10_ENKUlT_T0_E_clISt17integral_constantIbLb1EES1B_EEDaS16_S17_EUlS16_E_NS1_11comp_targetILNS1_3genE0ELNS1_11target_archE4294967295ELNS1_3gpuE0ELNS1_3repE0EEENS1_30default_config_static_selectorELNS0_4arch9wavefront6targetE1EEEvT1_
                                        ; -- End function
	.section	.AMDGPU.csdata,"",@progbits
; Kernel info:
; codeLenInByte = 0
; NumSgprs: 6
; NumVgprs: 0
; NumAgprs: 0
; TotalNumVgprs: 0
; ScratchSize: 0
; MemoryBound: 0
; FloatMode: 240
; IeeeMode: 1
; LDSByteSize: 0 bytes/workgroup (compile time only)
; SGPRBlocks: 0
; VGPRBlocks: 0
; NumSGPRsForWavesPerEU: 6
; NumVGPRsForWavesPerEU: 1
; AccumOffset: 4
; Occupancy: 8
; WaveLimiterHint : 0
; COMPUTE_PGM_RSRC2:SCRATCH_EN: 0
; COMPUTE_PGM_RSRC2:USER_SGPR: 2
; COMPUTE_PGM_RSRC2:TRAP_HANDLER: 0
; COMPUTE_PGM_RSRC2:TGID_X_EN: 1
; COMPUTE_PGM_RSRC2:TGID_Y_EN: 0
; COMPUTE_PGM_RSRC2:TGID_Z_EN: 0
; COMPUTE_PGM_RSRC2:TIDIG_COMP_CNT: 0
; COMPUTE_PGM_RSRC3_GFX90A:ACCUM_OFFSET: 0
; COMPUTE_PGM_RSRC3_GFX90A:TG_SPLIT: 0
	.section	.text._ZN7rocprim17ROCPRIM_400000_NS6detail17trampoline_kernelINS0_14default_configENS1_25partition_config_selectorILNS1_17partition_subalgoE1ExNS0_10empty_typeEbEEZZNS1_14partition_implILS5_1ELb0ES3_jN6thrust23THRUST_200600_302600_NS6detail15normal_iteratorINSA_10device_ptrIxEEEEPS6_NSA_18transform_iteratorI7is_evenIxESF_NSA_11use_defaultESK_EENS0_5tupleIJSF_NSA_16discard_iteratorISK_EEEEENSM_IJSG_SG_EEES6_PlJS6_EEE10hipError_tPvRmT3_T4_T5_T6_T7_T9_mT8_P12ihipStream_tbDpT10_ENKUlT_T0_E_clISt17integral_constantIbLb1EES1B_EEDaS16_S17_EUlS16_E_NS1_11comp_targetILNS1_3genE5ELNS1_11target_archE942ELNS1_3gpuE9ELNS1_3repE0EEENS1_30default_config_static_selectorELNS0_4arch9wavefront6targetE1EEEvT1_,"axG",@progbits,_ZN7rocprim17ROCPRIM_400000_NS6detail17trampoline_kernelINS0_14default_configENS1_25partition_config_selectorILNS1_17partition_subalgoE1ExNS0_10empty_typeEbEEZZNS1_14partition_implILS5_1ELb0ES3_jN6thrust23THRUST_200600_302600_NS6detail15normal_iteratorINSA_10device_ptrIxEEEEPS6_NSA_18transform_iteratorI7is_evenIxESF_NSA_11use_defaultESK_EENS0_5tupleIJSF_NSA_16discard_iteratorISK_EEEEENSM_IJSG_SG_EEES6_PlJS6_EEE10hipError_tPvRmT3_T4_T5_T6_T7_T9_mT8_P12ihipStream_tbDpT10_ENKUlT_T0_E_clISt17integral_constantIbLb1EES1B_EEDaS16_S17_EUlS16_E_NS1_11comp_targetILNS1_3genE5ELNS1_11target_archE942ELNS1_3gpuE9ELNS1_3repE0EEENS1_30default_config_static_selectorELNS0_4arch9wavefront6targetE1EEEvT1_,comdat
	.protected	_ZN7rocprim17ROCPRIM_400000_NS6detail17trampoline_kernelINS0_14default_configENS1_25partition_config_selectorILNS1_17partition_subalgoE1ExNS0_10empty_typeEbEEZZNS1_14partition_implILS5_1ELb0ES3_jN6thrust23THRUST_200600_302600_NS6detail15normal_iteratorINSA_10device_ptrIxEEEEPS6_NSA_18transform_iteratorI7is_evenIxESF_NSA_11use_defaultESK_EENS0_5tupleIJSF_NSA_16discard_iteratorISK_EEEEENSM_IJSG_SG_EEES6_PlJS6_EEE10hipError_tPvRmT3_T4_T5_T6_T7_T9_mT8_P12ihipStream_tbDpT10_ENKUlT_T0_E_clISt17integral_constantIbLb1EES1B_EEDaS16_S17_EUlS16_E_NS1_11comp_targetILNS1_3genE5ELNS1_11target_archE942ELNS1_3gpuE9ELNS1_3repE0EEENS1_30default_config_static_selectorELNS0_4arch9wavefront6targetE1EEEvT1_ ; -- Begin function _ZN7rocprim17ROCPRIM_400000_NS6detail17trampoline_kernelINS0_14default_configENS1_25partition_config_selectorILNS1_17partition_subalgoE1ExNS0_10empty_typeEbEEZZNS1_14partition_implILS5_1ELb0ES3_jN6thrust23THRUST_200600_302600_NS6detail15normal_iteratorINSA_10device_ptrIxEEEEPS6_NSA_18transform_iteratorI7is_evenIxESF_NSA_11use_defaultESK_EENS0_5tupleIJSF_NSA_16discard_iteratorISK_EEEEENSM_IJSG_SG_EEES6_PlJS6_EEE10hipError_tPvRmT3_T4_T5_T6_T7_T9_mT8_P12ihipStream_tbDpT10_ENKUlT_T0_E_clISt17integral_constantIbLb1EES1B_EEDaS16_S17_EUlS16_E_NS1_11comp_targetILNS1_3genE5ELNS1_11target_archE942ELNS1_3gpuE9ELNS1_3repE0EEENS1_30default_config_static_selectorELNS0_4arch9wavefront6targetE1EEEvT1_
	.globl	_ZN7rocprim17ROCPRIM_400000_NS6detail17trampoline_kernelINS0_14default_configENS1_25partition_config_selectorILNS1_17partition_subalgoE1ExNS0_10empty_typeEbEEZZNS1_14partition_implILS5_1ELb0ES3_jN6thrust23THRUST_200600_302600_NS6detail15normal_iteratorINSA_10device_ptrIxEEEEPS6_NSA_18transform_iteratorI7is_evenIxESF_NSA_11use_defaultESK_EENS0_5tupleIJSF_NSA_16discard_iteratorISK_EEEEENSM_IJSG_SG_EEES6_PlJS6_EEE10hipError_tPvRmT3_T4_T5_T6_T7_T9_mT8_P12ihipStream_tbDpT10_ENKUlT_T0_E_clISt17integral_constantIbLb1EES1B_EEDaS16_S17_EUlS16_E_NS1_11comp_targetILNS1_3genE5ELNS1_11target_archE942ELNS1_3gpuE9ELNS1_3repE0EEENS1_30default_config_static_selectorELNS0_4arch9wavefront6targetE1EEEvT1_
	.p2align	8
	.type	_ZN7rocprim17ROCPRIM_400000_NS6detail17trampoline_kernelINS0_14default_configENS1_25partition_config_selectorILNS1_17partition_subalgoE1ExNS0_10empty_typeEbEEZZNS1_14partition_implILS5_1ELb0ES3_jN6thrust23THRUST_200600_302600_NS6detail15normal_iteratorINSA_10device_ptrIxEEEEPS6_NSA_18transform_iteratorI7is_evenIxESF_NSA_11use_defaultESK_EENS0_5tupleIJSF_NSA_16discard_iteratorISK_EEEEENSM_IJSG_SG_EEES6_PlJS6_EEE10hipError_tPvRmT3_T4_T5_T6_T7_T9_mT8_P12ihipStream_tbDpT10_ENKUlT_T0_E_clISt17integral_constantIbLb1EES1B_EEDaS16_S17_EUlS16_E_NS1_11comp_targetILNS1_3genE5ELNS1_11target_archE942ELNS1_3gpuE9ELNS1_3repE0EEENS1_30default_config_static_selectorELNS0_4arch9wavefront6targetE1EEEvT1_,@function
_ZN7rocprim17ROCPRIM_400000_NS6detail17trampoline_kernelINS0_14default_configENS1_25partition_config_selectorILNS1_17partition_subalgoE1ExNS0_10empty_typeEbEEZZNS1_14partition_implILS5_1ELb0ES3_jN6thrust23THRUST_200600_302600_NS6detail15normal_iteratorINSA_10device_ptrIxEEEEPS6_NSA_18transform_iteratorI7is_evenIxESF_NSA_11use_defaultESK_EENS0_5tupleIJSF_NSA_16discard_iteratorISK_EEEEENSM_IJSG_SG_EEES6_PlJS6_EEE10hipError_tPvRmT3_T4_T5_T6_T7_T9_mT8_P12ihipStream_tbDpT10_ENKUlT_T0_E_clISt17integral_constantIbLb1EES1B_EEDaS16_S17_EUlS16_E_NS1_11comp_targetILNS1_3genE5ELNS1_11target_archE942ELNS1_3gpuE9ELNS1_3repE0EEENS1_30default_config_static_selectorELNS0_4arch9wavefront6targetE1EEEvT1_: ; @_ZN7rocprim17ROCPRIM_400000_NS6detail17trampoline_kernelINS0_14default_configENS1_25partition_config_selectorILNS1_17partition_subalgoE1ExNS0_10empty_typeEbEEZZNS1_14partition_implILS5_1ELb0ES3_jN6thrust23THRUST_200600_302600_NS6detail15normal_iteratorINSA_10device_ptrIxEEEEPS6_NSA_18transform_iteratorI7is_evenIxESF_NSA_11use_defaultESK_EENS0_5tupleIJSF_NSA_16discard_iteratorISK_EEEEENSM_IJSG_SG_EEES6_PlJS6_EEE10hipError_tPvRmT3_T4_T5_T6_T7_T9_mT8_P12ihipStream_tbDpT10_ENKUlT_T0_E_clISt17integral_constantIbLb1EES1B_EEDaS16_S17_EUlS16_E_NS1_11comp_targetILNS1_3genE5ELNS1_11target_archE942ELNS1_3gpuE9ELNS1_3repE0EEENS1_30default_config_static_selectorELNS0_4arch9wavefront6targetE1EEEvT1_
; %bb.0:
	s_load_dwordx2 s[2:3], s[0:1], 0x20
	s_load_dwordx4 s[20:23], s[0:1], 0x58
	s_load_dwordx2 s[10:11], s[0:1], 0x68
	s_load_dwordx2 s[28:29], s[0:1], 0x78
	v_cmp_eq_u32_e64 s[18:19], 0, v0
	s_and_saveexec_b64 s[4:5], s[18:19]
	s_cbranch_execz .LBB3204_4
; %bb.1:
	s_mov_b64 s[8:9], exec
	v_mbcnt_lo_u32_b32 v1, s8, 0
	v_mbcnt_hi_u32_b32 v1, s9, v1
	v_cmp_eq_u32_e32 vcc, 0, v1
                                        ; implicit-def: $vgpr2
	s_and_saveexec_b64 s[6:7], vcc
	s_cbranch_execz .LBB3204_3
; %bb.2:
	s_load_dwordx2 s[12:13], s[0:1], 0x88
	s_bcnt1_i32_b64 s8, s[8:9]
	v_mov_b32_e32 v2, 0
	v_mov_b32_e32 v3, s8
	s_waitcnt lgkmcnt(0)
	global_atomic_add v2, v2, v3, s[12:13] sc0
.LBB3204_3:
	s_or_b64 exec, exec, s[6:7]
	s_waitcnt vmcnt(0)
	v_readfirstlane_b32 s6, v2
	v_mov_b32_e32 v2, 0
	s_nop 0
	v_add_u32_e32 v1, s6, v1
	ds_write_b32 v2, v1
.LBB3204_4:
	s_or_b64 exec, exec, s[4:5]
	v_mov_b32_e32 v21, 0
	s_load_dwordx4 s[4:7], s[0:1], 0x8
	s_load_dwordx2 s[24:25], s[0:1], 0x30
	s_load_dword s12, s[0:1], 0x80
	s_waitcnt lgkmcnt(0)
	s_barrier
	ds_read_b32 v1, v21
	s_waitcnt lgkmcnt(0)
	s_barrier
	global_load_dwordx2 v[18:19], v21, s[22:23]
	s_lshl_b64 s[8:9], s[6:7], 3
	v_mov_b32_e32 v3, s11
	s_add_u32 s11, s4, s8
	s_mul_i32 s4, s12, 0xe00
	s_addc_u32 s13, s5, s9
	s_add_i32 s1, s4, s6
	s_sub_i32 s33, s10, s1
	s_add_i32 s14, s12, -1
	s_addk_i32 s33, 0xe00
	s_add_u32 s4, s6, s4
	v_readfirstlane_b32 s36, v1
	s_addc_u32 s5, s7, 0
	s_cmp_eq_u32 s36, s14
	v_mov_b32_e32 v2, s10
	s_cselect_b64 s[22:23], -1, 0
	s_cmp_lg_u32 s36, s14
	s_mul_i32 s0, s36, 0xe00
	s_mov_b32 s1, 0
	v_cmp_lt_u64_e32 vcc, s[4:5], v[2:3]
	s_cselect_b64 s[4:5], -1, 0
	s_or_b64 s[26:27], vcc, s[4:5]
	s_lshl_b64 s[4:5], s[0:1], 3
	s_add_u32 s6, s11, s4
	s_addc_u32 s7, s13, s5
	s_mov_b64 s[0:1], -1
	s_and_b64 vcc, exec, s[26:27]
	v_lshlrev_b32_e32 v20, 3, v0
	s_cbranch_vccz .LBB3204_6
; %bb.5:
	v_lshl_add_u64 v[2:3], s[6:7], 0, v[20:21]
	v_add_co_u32_e32 v4, vcc, 0x1000, v2
	s_mov_b64 s[0:1], 0
	s_nop 0
	v_addc_co_u32_e32 v5, vcc, 0, v3, vcc
	v_add_co_u32_e32 v6, vcc, 0x2000, v2
	s_nop 1
	v_addc_co_u32_e32 v7, vcc, 0, v3, vcc
	v_add_co_u32_e32 v8, vcc, 0x3000, v2
	s_nop 1
	v_addc_co_u32_e32 v9, vcc, 0, v3, vcc
	flat_load_dwordx2 v[10:11], v[2:3]
	flat_load_dwordx2 v[12:13], v[4:5]
	;; [unrolled: 1-line block ×4, first 2 shown]
	v_add_co_u32_e32 v4, vcc, 0x4000, v2
	s_nop 1
	v_addc_co_u32_e32 v5, vcc, 0, v3, vcc
	v_add_co_u32_e32 v6, vcc, 0x5000, v2
	s_nop 1
	v_addc_co_u32_e32 v7, vcc, 0, v3, vcc
	;; [unrolled: 3-line block ×3, first 2 shown]
	flat_load_dwordx2 v[8:9], v[4:5]
	flat_load_dwordx2 v[22:23], v[6:7]
	;; [unrolled: 1-line block ×3, first 2 shown]
	s_waitcnt vmcnt(0) lgkmcnt(0)
	ds_write2st64_b64 v20, v[10:11], v[12:13] offset1:8
	ds_write2st64_b64 v20, v[14:15], v[16:17] offset0:16 offset1:24
	ds_write2st64_b64 v20, v[8:9], v[22:23] offset0:32 offset1:40
	ds_write_b64 v20, v[24:25] offset:24576
	s_waitcnt lgkmcnt(0)
	s_barrier
.LBB3204_6:
	s_andn2_b64 vcc, exec, s[0:1]
	v_cmp_gt_u32_e64 s[0:1], s33, v0
	s_cbranch_vccnz .LBB3204_22
; %bb.7:
                                        ; implicit-def: $vgpr2_vgpr3_vgpr4_vgpr5_vgpr6_vgpr7_vgpr8_vgpr9_vgpr10_vgpr11_vgpr12_vgpr13_vgpr14_vgpr15_vgpr16_vgpr17
	s_and_saveexec_b64 s[10:11], s[0:1]
	s_cbranch_execz .LBB3204_9
; %bb.8:
	v_mov_b32_e32 v21, 0
	v_lshl_add_u64 v[2:3], s[6:7], 0, v[20:21]
	flat_load_dwordx2 v[2:3], v[2:3]
.LBB3204_9:
	s_or_b64 exec, exec, s[10:11]
	v_or_b32_e32 v1, 0x200, v0
	v_cmp_gt_u32_e32 vcc, s33, v1
	s_and_saveexec_b64 s[0:1], vcc
	s_cbranch_execz .LBB3204_11
; %bb.10:
	v_lshlrev_b32_e32 v4, 3, v1
	v_mov_b32_e32 v5, 0
	v_lshl_add_u64 v[4:5], s[6:7], 0, v[4:5]
	flat_load_dwordx2 v[4:5], v[4:5]
.LBB3204_11:
	s_or_b64 exec, exec, s[0:1]
	v_or_b32_e32 v1, 0x400, v0
	v_cmp_gt_u32_e32 vcc, s33, v1
	s_and_saveexec_b64 s[0:1], vcc
	s_cbranch_execz .LBB3204_13
; %bb.12:
	v_lshlrev_b32_e32 v6, 3, v1
	v_mov_b32_e32 v7, 0
	v_lshl_add_u64 v[6:7], s[6:7], 0, v[6:7]
	flat_load_dwordx2 v[6:7], v[6:7]
.LBB3204_13:
	;; [unrolled: 11-line block ×6, first 2 shown]
	s_or_b64 exec, exec, s[0:1]
	s_waitcnt vmcnt(0) lgkmcnt(0)
	ds_write2st64_b64 v20, v[2:3], v[4:5] offset1:8
	ds_write2st64_b64 v20, v[6:7], v[8:9] offset0:16 offset1:24
	ds_write2st64_b64 v20, v[10:11], v[12:13] offset0:32 offset1:40
	ds_write_b64 v20, v[14:15] offset:24576
	s_waitcnt lgkmcnt(0)
	s_barrier
.LBB3204_22:
	v_mul_u32_u24_e32 v1, 7, v0
	v_lshlrev_b32_e32 v16, 3, v1
	ds_read2_b64 v[10:13], v16 offset1:1
	ds_read2_b64 v[6:9], v16 offset0:2 offset1:3
	ds_read2_b64 v[2:5], v16 offset0:4 offset1:5
	ds_read_b64 v[14:15], v16 offset:48
	s_add_u32 s0, s2, s8
	s_addc_u32 s1, s3, s9
	s_add_u32 s0, s0, s4
	s_addc_u32 s1, s1, s5
	s_mov_b64 s[2:3], -1
	s_and_b64 vcc, exec, s[26:27]
	s_waitcnt lgkmcnt(0)
	s_barrier
	s_cbranch_vccz .LBB3204_24
; %bb.23:
	v_mov_b32_e32 v21, 0
	v_lshl_add_u64 v[22:23], s[0:1], 0, v[20:21]
	v_add_co_u32_e32 v26, vcc, 0x1000, v22
	global_load_dwordx2 v[24:25], v20, s[0:1]
	s_nop 0
	v_addc_co_u32_e32 v27, vcc, 0, v23, vcc
	v_add_co_u32_e32 v28, vcc, 0x2000, v22
	s_mov_b64 s[2:3], 0
	s_nop 0
	v_addc_co_u32_e32 v29, vcc, 0, v23, vcc
	v_add_co_u32_e32 v30, vcc, 0x3000, v22
	s_waitcnt vmcnt(0)
	v_xor_b32_e32 v17, -1, v24
	v_addc_co_u32_e32 v31, vcc, 0, v23, vcc
	v_add_co_u32_e32 v32, vcc, 0x4000, v22
	v_and_b32_e32 v17, 1, v17
	s_nop 0
	v_addc_co_u32_e32 v33, vcc, 0, v23, vcc
	global_load_dwordx2 v[34:35], v[26:27], off
	global_load_dwordx2 v[36:37], v[28:29], off
	;; [unrolled: 1-line block ×4, first 2 shown]
	v_add_co_u32_e32 v26, vcc, 0x5000, v22
	ds_write_b8 v0, v17
	s_nop 0
	v_addc_co_u32_e32 v27, vcc, 0, v23, vcc
	v_add_co_u32_e32 v22, vcc, 0x6000, v22
	global_load_dwordx2 v[26:27], v[26:27], off
	s_nop 0
	v_addc_co_u32_e32 v23, vcc, 0, v23, vcc
	global_load_dwordx2 v[22:23], v[22:23], off
	s_waitcnt vmcnt(5)
	v_xor_b32_e32 v17, -1, v34
	v_and_b32_e32 v17, 1, v17
	s_waitcnt vmcnt(4)
	v_xor_b32_e32 v21, -1, v36
	s_waitcnt vmcnt(0)
	v_xor_b32_e32 v23, -1, v38
	v_and_b32_e32 v21, 1, v21
	ds_write_b8 v0, v17 offset:512
	v_and_b32_e32 v17, 1, v23
	v_xor_b32_e32 v23, -1, v40
	ds_write_b8 v0, v21 offset:1024
	v_and_b32_e32 v21, 1, v23
	ds_write_b8 v0, v17 offset:1536
	v_xor_b32_e32 v23, -1, v26
	v_and_b32_e32 v17, 1, v23
	ds_write_b8 v0, v21 offset:2048
	v_xor_b32_e32 v22, -1, v22
	v_and_b32_e32 v21, 1, v22
	ds_write_b8 v0, v17 offset:2560
	ds_write_b8 v0, v21 offset:3072
	s_waitcnt lgkmcnt(0)
	s_barrier
.LBB3204_24:
	s_andn2_b64 vcc, exec, s[2:3]
	s_cbranch_vccnz .LBB3204_40
; %bb.25:
	v_cmp_gt_u32_e32 vcc, s33, v0
	v_mov_b32_e32 v17, 0
	v_mov_b32_e32 v21, 0
	s_and_saveexec_b64 s[2:3], vcc
	s_cbranch_execz .LBB3204_27
; %bb.26:
	global_load_dwordx2 v[22:23], v20, s[0:1]
	s_waitcnt vmcnt(0)
	v_xor_b32_e32 v21, -1, v22
	v_and_b32_e32 v21, 1, v21
.LBB3204_27:
	s_or_b64 exec, exec, s[2:3]
	v_or_b32_e32 v22, 0x200, v0
	v_cmp_gt_u32_e32 vcc, s33, v22
	s_and_saveexec_b64 s[2:3], vcc
	s_cbranch_execz .LBB3204_29
; %bb.28:
	v_lshlrev_b32_e32 v17, 3, v22
	global_load_dwordx2 v[22:23], v17, s[0:1]
	s_waitcnt vmcnt(0)
	v_xor_b32_e32 v17, -1, v22
	v_and_b32_e32 v17, 1, v17
.LBB3204_29:
	s_or_b64 exec, exec, s[2:3]
	v_or_b32_e32 v24, 0x400, v0
	v_cmp_gt_u32_e32 vcc, s33, v24
	v_mov_b32_e32 v22, 0
	v_mov_b32_e32 v23, 0
	s_and_saveexec_b64 s[2:3], vcc
	s_cbranch_execz .LBB3204_31
; %bb.30:
	v_lshlrev_b32_e32 v23, 3, v24
	global_load_dwordx2 v[24:25], v23, s[0:1]
	s_waitcnt vmcnt(0)
	v_xor_b32_e32 v23, -1, v24
	v_and_b32_e32 v23, 1, v23
.LBB3204_31:
	s_or_b64 exec, exec, s[2:3]
	v_or_b32_e32 v24, 0x600, v0
	v_cmp_gt_u32_e32 vcc, s33, v24
	s_and_saveexec_b64 s[2:3], vcc
	s_cbranch_execz .LBB3204_33
; %bb.32:
	v_lshlrev_b32_e32 v22, 3, v24
	global_load_dwordx2 v[24:25], v22, s[0:1]
	s_waitcnt vmcnt(0)
	v_xor_b32_e32 v22, -1, v24
	v_and_b32_e32 v22, 1, v22
.LBB3204_33:
	s_or_b64 exec, exec, s[2:3]
	v_or_b32_e32 v26, 0x800, v0
	v_cmp_gt_u32_e32 vcc, s33, v26
	v_mov_b32_e32 v24, 0
	v_mov_b32_e32 v25, 0
	s_and_saveexec_b64 s[2:3], vcc
	s_cbranch_execz .LBB3204_35
; %bb.34:
	v_lshlrev_b32_e32 v25, 3, v26
	global_load_dwordx2 v[26:27], v25, s[0:1]
	s_waitcnt vmcnt(0)
	v_xor_b32_e32 v25, -1, v26
	v_and_b32_e32 v25, 1, v25
.LBB3204_35:
	s_or_b64 exec, exec, s[2:3]
	v_or_b32_e32 v26, 0xa00, v0
	v_cmp_gt_u32_e32 vcc, s33, v26
	s_and_saveexec_b64 s[2:3], vcc
	s_cbranch_execz .LBB3204_37
; %bb.36:
	v_lshlrev_b32_e32 v24, 3, v26
	global_load_dwordx2 v[26:27], v24, s[0:1]
	s_waitcnt vmcnt(0)
	v_xor_b32_e32 v24, -1, v26
	v_and_b32_e32 v24, 1, v24
.LBB3204_37:
	s_or_b64 exec, exec, s[2:3]
	v_or_b32_e32 v27, 0xc00, v0
	v_cmp_gt_u32_e32 vcc, s33, v27
	v_mov_b32_e32 v26, 0
	s_and_saveexec_b64 s[2:3], vcc
	s_cbranch_execz .LBB3204_39
; %bb.38:
	v_lshlrev_b32_e32 v26, 3, v27
	global_load_dwordx2 v[26:27], v26, s[0:1]
	s_waitcnt vmcnt(0)
	v_xor_b32_e32 v26, -1, v26
	v_and_b32_e32 v26, 1, v26
.LBB3204_39:
	s_or_b64 exec, exec, s[2:3]
	ds_write_b8 v0, v21
	ds_write_b8 v0, v17 offset:512
	ds_write_b8 v0, v23 offset:1024
	;; [unrolled: 1-line block ×6, first 2 shown]
	s_waitcnt lgkmcnt(0)
	s_barrier
.LBB3204_40:
	s_movk_i32 s0, 0xffcf
	v_mad_i32_i24 v37, v0, s0, v16
	ds_read_u8 v16, v37
	ds_read_u8 v17, v37 offset:1
	ds_read_u8 v21, v37 offset:2
	;; [unrolled: 1-line block ×6, first 2 shown]
	s_waitcnt lgkmcnt(6)
	v_and_b32_e32 v35, 1, v16
	s_waitcnt lgkmcnt(5)
	v_and_b32_e32 v34, 1, v17
	;; [unrolled: 2-line block ×5, first 2 shown]
	v_add3_u32 v16, v34, v35, v33
	s_waitcnt lgkmcnt(1)
	v_and_b32_e32 v30, 1, v24
	s_waitcnt lgkmcnt(0)
	v_and_b32_e32 v21, 1, v25
	v_add3_u32 v16, v16, v32, v31
	v_add3_u32 v39, v16, v30, v21
	v_mbcnt_lo_u32_b32 v16, -1, 0
	v_mbcnt_hi_u32_b32 v36, -1, v16
	v_and_b32_e32 v16, 15, v36
	v_cmp_eq_u32_e64 s[14:15], 0, v16
	v_cmp_lt_u32_e64 s[12:13], 1, v16
	v_cmp_lt_u32_e64 s[10:11], 3, v16
	;; [unrolled: 1-line block ×3, first 2 shown]
	v_and_b32_e32 v16, 16, v36
	v_cmp_eq_u32_e64 s[6:7], 0, v16
	v_or_b32_e32 v16, 63, v0
	s_cmp_lg_u32 s36, 0
	v_cmp_lt_u32_e64 s[2:3], 31, v36
	v_lshrrev_b32_e32 v38, 6, v0
	v_cmp_eq_u32_e64 s[4:5], v16, v0
	s_barrier
	s_cbranch_scc0 .LBB3204_71
; %bb.41:
	v_mov_b32_dpp v16, v39 row_shr:1 row_mask:0xf bank_mask:0xf
	v_cndmask_b32_e64 v16, v16, 0, s[14:15]
	v_add_u32_e32 v16, v16, v39
	s_nop 1
	v_mov_b32_dpp v17, v16 row_shr:2 row_mask:0xf bank_mask:0xf
	v_cndmask_b32_e64 v17, 0, v17, s[12:13]
	v_add_u32_e32 v16, v16, v17
	s_nop 1
	;; [unrolled: 4-line block ×4, first 2 shown]
	v_mov_b32_dpp v17, v16 row_bcast:15 row_mask:0xf bank_mask:0xf
	v_cndmask_b32_e64 v17, v17, 0, s[6:7]
	v_add_u32_e32 v16, v16, v17
	s_nop 1
	v_mov_b32_dpp v17, v16 row_bcast:31 row_mask:0xf bank_mask:0xf
	v_cndmask_b32_e64 v17, 0, v17, s[2:3]
	v_add_u32_e32 v16, v16, v17
	s_and_saveexec_b64 s[0:1], s[4:5]
	s_cbranch_execz .LBB3204_43
; %bb.42:
	v_lshlrev_b32_e32 v17, 2, v38
	ds_write_b32 v17, v16
.LBB3204_43:
	s_or_b64 exec, exec, s[0:1]
	v_cmp_gt_u32_e32 vcc, 8, v0
	s_waitcnt lgkmcnt(0)
	s_barrier
	s_and_saveexec_b64 s[0:1], vcc
	s_cbranch_execz .LBB3204_45
; %bb.44:
	v_lshlrev_b32_e32 v17, 2, v0
	ds_read_b32 v22, v17
	v_and_b32_e32 v23, 7, v36
	v_cmp_ne_u32_e32 vcc, 0, v23
	s_waitcnt lgkmcnt(0)
	v_mov_b32_dpp v24, v22 row_shr:1 row_mask:0xf bank_mask:0xf
	v_cndmask_b32_e32 v24, 0, v24, vcc
	v_add_u32_e32 v22, v24, v22
	v_cmp_lt_u32_e32 vcc, 1, v23
	s_nop 0
	v_mov_b32_dpp v24, v22 row_shr:2 row_mask:0xf bank_mask:0xf
	v_cndmask_b32_e32 v24, 0, v24, vcc
	v_add_u32_e32 v22, v22, v24
	v_cmp_lt_u32_e32 vcc, 3, v23
	s_nop 0
	v_mov_b32_dpp v24, v22 row_shr:4 row_mask:0xf bank_mask:0xf
	v_cndmask_b32_e32 v23, 0, v24, vcc
	v_add_u32_e32 v22, v22, v23
	ds_write_b32 v17, v22
.LBB3204_45:
	s_or_b64 exec, exec, s[0:1]
	v_cmp_gt_u32_e32 vcc, 64, v0
	v_cmp_lt_u32_e64 s[0:1], 63, v0
	s_waitcnt lgkmcnt(0)
	s_barrier
	s_waitcnt lgkmcnt(0)
                                        ; implicit-def: $vgpr40
	s_and_saveexec_b64 s[16:17], s[0:1]
	s_cbranch_execz .LBB3204_47
; %bb.46:
	v_lshl_add_u32 v17, v38, 2, -4
	ds_read_b32 v40, v17
	s_waitcnt lgkmcnt(0)
	v_add_u32_e32 v16, v40, v16
.LBB3204_47:
	s_or_b64 exec, exec, s[16:17]
	v_add_u32_e32 v17, -1, v36
	v_and_b32_e32 v22, 64, v36
	v_cmp_lt_i32_e64 s[0:1], v17, v22
	v_cmp_eq_u32_e64 s[16:17], 0, v36
	s_nop 0
	v_cndmask_b32_e64 v17, v17, v36, s[0:1]
	v_lshlrev_b32_e32 v17, 2, v17
	ds_bpermute_b32 v41, v17, v16
	s_and_saveexec_b64 s[0:1], vcc
	s_cbranch_execz .LBB3204_70
; %bb.48:
	v_mov_b32_e32 v29, 0
	ds_read_b32 v16, v29 offset:28
	s_and_saveexec_b64 s[30:31], s[16:17]
	s_cbranch_execz .LBB3204_50
; %bb.49:
	s_add_i32 s34, s36, 64
	s_mov_b32 s35, 0
	s_lshl_b64 s[34:35], s[34:35], 3
	s_add_u32 s34, s28, s34
	v_mov_b32_e32 v17, 1
	s_addc_u32 s35, s29, s35
	s_waitcnt lgkmcnt(0)
	global_store_dwordx2 v29, v[16:17], s[34:35] sc1
.LBB3204_50:
	s_or_b64 exec, exec, s[30:31]
	v_xad_u32 v22, v36, -1, s36
	v_add_u32_e32 v28, 64, v22
	v_lshl_add_u64 v[24:25], v[28:29], 3, s[28:29]
	global_load_dwordx2 v[26:27], v[24:25], off sc1
	s_waitcnt vmcnt(0)
	v_cmp_eq_u16_sdwa s[34:35], v27, v29 src0_sel:BYTE_0 src1_sel:DWORD
	s_and_saveexec_b64 s[30:31], s[34:35]
	s_cbranch_execz .LBB3204_56
; %bb.51:
	s_mov_b32 s37, 1
	s_mov_b64 s[34:35], 0
	v_mov_b32_e32 v17, 0
.LBB3204_52:                            ; =>This Loop Header: Depth=1
                                        ;     Child Loop BB3204_53 Depth 2
	s_max_u32 s38, s37, 1
.LBB3204_53:                            ;   Parent Loop BB3204_52 Depth=1
                                        ; =>  This Inner Loop Header: Depth=2
	s_add_i32 s38, s38, -1
	s_cmp_eq_u32 s38, 0
	s_sleep 1
	s_cbranch_scc0 .LBB3204_53
; %bb.54:                               ;   in Loop: Header=BB3204_52 Depth=1
	global_load_dwordx2 v[26:27], v[24:25], off sc1
	s_cmp_lt_u32 s37, 32
	s_cselect_b64 s[38:39], -1, 0
	s_cmp_lg_u64 s[38:39], 0
	s_addc_u32 s37, s37, 0
	s_waitcnt vmcnt(0)
	v_cmp_ne_u16_sdwa s[38:39], v27, v17 src0_sel:BYTE_0 src1_sel:DWORD
	s_or_b64 s[34:35], s[38:39], s[34:35]
	s_andn2_b64 exec, exec, s[34:35]
	s_cbranch_execnz .LBB3204_52
; %bb.55:
	s_or_b64 exec, exec, s[34:35]
.LBB3204_56:
	s_or_b64 exec, exec, s[30:31]
	v_and_b32_e32 v43, 63, v36
	v_mov_b32_e32 v42, 2
	v_cmp_ne_u32_e32 vcc, 63, v43
	v_cmp_eq_u16_sdwa s[30:31], v27, v42 src0_sel:BYTE_0 src1_sel:DWORD
	v_lshlrev_b64 v[24:25], v36, -1
	v_addc_co_u32_e32 v28, vcc, 0, v36, vcc
	v_and_b32_e32 v17, s31, v25
	v_lshlrev_b32_e32 v44, 2, v28
	v_or_b32_e32 v17, 0x80000000, v17
	ds_bpermute_b32 v28, v44, v26
	v_and_b32_e32 v23, s30, v24
	v_ffbl_b32_e32 v17, v17
	v_add_u32_e32 v17, 32, v17
	v_ffbl_b32_e32 v23, v23
	v_min_u32_e32 v17, v23, v17
	v_cmp_lt_u32_e32 vcc, v43, v17
	v_add_u32_e32 v46, 2, v43
	v_add_u32_e32 v48, 4, v43
	s_waitcnt lgkmcnt(0)
	v_cndmask_b32_e32 v23, 0, v28, vcc
	v_cmp_gt_u32_e32 vcc, 62, v43
	v_add_u32_e32 v23, v23, v26
	v_add_u32_e32 v50, 8, v43
	v_cndmask_b32_e64 v26, 0, 1, vcc
	v_lshlrev_b32_e32 v26, 1, v26
	v_add_lshl_u32 v45, v26, v36, 2
	ds_bpermute_b32 v26, v45, v23
	v_cmp_le_u32_e32 vcc, v46, v17
	v_add_u32_e32 v52, 16, v43
	v_add_u32_e32 v54, 32, v43
	s_waitcnt lgkmcnt(0)
	v_cndmask_b32_e32 v26, 0, v26, vcc
	v_cmp_gt_u32_e32 vcc, 60, v43
	v_add_u32_e32 v23, v23, v26
	s_nop 0
	v_cndmask_b32_e64 v26, 0, 1, vcc
	v_lshlrev_b32_e32 v26, 2, v26
	v_add_lshl_u32 v47, v26, v36, 2
	ds_bpermute_b32 v26, v47, v23
	v_cmp_le_u32_e32 vcc, v48, v17
	s_waitcnt lgkmcnt(0)
	s_nop 0
	v_cndmask_b32_e32 v26, 0, v26, vcc
	v_cmp_gt_u32_e32 vcc, 56, v43
	v_add_u32_e32 v23, v23, v26
	s_nop 0
	v_cndmask_b32_e64 v26, 0, 1, vcc
	v_lshlrev_b32_e32 v26, 3, v26
	v_add_lshl_u32 v49, v26, v36, 2
	ds_bpermute_b32 v26, v49, v23
	v_cmp_le_u32_e32 vcc, v50, v17
	s_waitcnt lgkmcnt(0)
	s_nop 0
	;; [unrolled: 11-line block ×4, first 2 shown]
	v_cndmask_b32_e32 v17, 0, v26, vcc
	v_add_u32_e32 v26, v23, v17
	v_mov_b32_e32 v23, 0
	s_branch .LBB3204_58
.LBB3204_57:                            ;   in Loop: Header=BB3204_58 Depth=1
	s_or_b64 exec, exec, s[30:31]
	v_cmp_eq_u16_sdwa s[30:31], v27, v42 src0_sel:BYTE_0 src1_sel:DWORD
	ds_bpermute_b32 v55, v44, v26
	v_subrev_u32_e32 v22, 64, v22
	v_and_b32_e32 v28, s31, v25
	v_or_b32_e32 v28, 0x80000000, v28
	v_and_b32_e32 v29, s30, v24
	v_ffbl_b32_e32 v28, v28
	v_add_u32_e32 v28, 32, v28
	v_ffbl_b32_e32 v29, v29
	v_min_u32_e32 v28, v29, v28
	v_cmp_lt_u32_e32 vcc, v43, v28
	s_waitcnt lgkmcnt(0)
	s_nop 0
	v_cndmask_b32_e32 v29, 0, v55, vcc
	v_add_u32_e32 v26, v29, v26
	ds_bpermute_b32 v29, v45, v26
	v_cmp_le_u32_e32 vcc, v46, v28
	s_waitcnt lgkmcnt(0)
	s_nop 0
	v_cndmask_b32_e32 v29, 0, v29, vcc
	v_add_u32_e32 v26, v26, v29
	ds_bpermute_b32 v29, v47, v26
	v_cmp_le_u32_e32 vcc, v48, v28
	;; [unrolled: 6-line block ×5, first 2 shown]
	s_waitcnt lgkmcnt(0)
	s_nop 0
	v_cndmask_b32_e32 v28, 0, v29, vcc
	v_add3_u32 v26, v28, v17, v26
.LBB3204_58:                            ; =>This Loop Header: Depth=1
                                        ;     Child Loop BB3204_61 Depth 2
                                        ;       Child Loop BB3204_62 Depth 3
	v_cmp_ne_u16_sdwa s[30:31], v27, v42 src0_sel:BYTE_0 src1_sel:DWORD
	s_nop 1
	v_cndmask_b32_e64 v17, 0, 1, s[30:31]
	;;#ASMSTART
	;;#ASMEND
	s_nop 0
	v_cmp_ne_u32_e32 vcc, 0, v17
	s_cmp_lg_u64 vcc, exec
	v_mov_b32_e32 v17, v26
	s_cbranch_scc1 .LBB3204_65
; %bb.59:                               ;   in Loop: Header=BB3204_58 Depth=1
	v_lshl_add_u64 v[28:29], v[22:23], 3, s[28:29]
	global_load_dwordx2 v[26:27], v[28:29], off sc1
	s_waitcnt vmcnt(0)
	v_cmp_eq_u16_sdwa s[34:35], v27, v23 src0_sel:BYTE_0 src1_sel:DWORD
	s_and_saveexec_b64 s[30:31], s[34:35]
	s_cbranch_execz .LBB3204_57
; %bb.60:                               ;   in Loop: Header=BB3204_58 Depth=1
	s_mov_b32 s37, 1
	s_mov_b64 s[34:35], 0
.LBB3204_61:                            ;   Parent Loop BB3204_58 Depth=1
                                        ; =>  This Loop Header: Depth=2
                                        ;       Child Loop BB3204_62 Depth 3
	s_max_u32 s38, s37, 1
.LBB3204_62:                            ;   Parent Loop BB3204_58 Depth=1
                                        ;     Parent Loop BB3204_61 Depth=2
                                        ; =>    This Inner Loop Header: Depth=3
	s_add_i32 s38, s38, -1
	s_cmp_eq_u32 s38, 0
	s_sleep 1
	s_cbranch_scc0 .LBB3204_62
; %bb.63:                               ;   in Loop: Header=BB3204_61 Depth=2
	global_load_dwordx2 v[26:27], v[28:29], off sc1
	s_cmp_lt_u32 s37, 32
	s_cselect_b64 s[38:39], -1, 0
	s_cmp_lg_u64 s[38:39], 0
	s_addc_u32 s37, s37, 0
	s_waitcnt vmcnt(0)
	v_cmp_ne_u16_sdwa s[38:39], v27, v23 src0_sel:BYTE_0 src1_sel:DWORD
	s_or_b64 s[34:35], s[38:39], s[34:35]
	s_andn2_b64 exec, exec, s[34:35]
	s_cbranch_execnz .LBB3204_61
; %bb.64:                               ;   in Loop: Header=BB3204_58 Depth=1
	s_or_b64 exec, exec, s[34:35]
	s_branch .LBB3204_57
.LBB3204_65:                            ;   in Loop: Header=BB3204_58 Depth=1
                                        ; implicit-def: $vgpr26
                                        ; implicit-def: $vgpr27
	s_cbranch_execz .LBB3204_58
; %bb.66:
	s_and_saveexec_b64 s[30:31], s[16:17]
	s_cbranch_execz .LBB3204_68
; %bb.67:
	s_add_i32 s34, s36, 64
	s_mov_b32 s35, 0
	s_lshl_b64 s[34:35], s[34:35], 3
	s_add_u32 s34, s28, s34
	v_add_u32_e32 v22, v17, v16
	v_mov_b32_e32 v23, 2
	s_addc_u32 s35, s29, s35
	v_mov_b32_e32 v24, 0
	global_store_dwordx2 v24, v[22:23], s[34:35] sc1
	ds_write_b64 v24, v[16:17] offset:28672
.LBB3204_68:
	s_or_b64 exec, exec, s[30:31]
	s_and_b64 exec, exec, s[18:19]
	s_cbranch_execz .LBB3204_70
; %bb.69:
	v_mov_b32_e32 v16, 0
	ds_write_b32 v16, v17 offset:28
.LBB3204_70:
	s_or_b64 exec, exec, s[0:1]
	v_mov_b32_e32 v16, 0
	s_waitcnt lgkmcnt(0)
	s_barrier
	ds_read_b32 v17, v16 offset:28
	v_cndmask_b32_e64 v22, v41, v40, s[16:17]
	v_cndmask_b32_e64 v22, v22, 0, s[18:19]
	s_waitcnt lgkmcnt(0)
	s_barrier
	v_add_u32_e32 v29, v17, v22
	v_add_u32_e32 v28, v29, v35
	ds_read_b64 v[16:17], v16 offset:28672
	v_add_u32_e32 v27, v28, v34
	v_add_u32_e32 v25, v27, v33
	;; [unrolled: 1-line block ×5, first 2 shown]
	s_waitcnt lgkmcnt(0)
	v_mov_b32_e32 v22, v17
	s_branch .LBB3204_81
.LBB3204_71:
                                        ; implicit-def: $vgpr22
                                        ; implicit-def: $vgpr16
                                        ; implicit-def: $vgpr23
                                        ; implicit-def: $vgpr24
                                        ; implicit-def: $vgpr26
                                        ; implicit-def: $vgpr25
                                        ; implicit-def: $vgpr27
                                        ; implicit-def: $vgpr28
                                        ; implicit-def: $vgpr29
	s_cbranch_execz .LBB3204_81
; %bb.72:
	s_nop 0
	v_mov_b32_dpp v16, v39 row_shr:1 row_mask:0xf bank_mask:0xf
	v_cndmask_b32_e64 v16, v16, 0, s[14:15]
	v_add_u32_e32 v16, v16, v39
	s_nop 1
	v_mov_b32_dpp v17, v16 row_shr:2 row_mask:0xf bank_mask:0xf
	v_cndmask_b32_e64 v17, 0, v17, s[12:13]
	v_add_u32_e32 v16, v16, v17
	;; [unrolled: 4-line block ×4, first 2 shown]
	s_nop 1
	v_mov_b32_dpp v17, v16 row_bcast:15 row_mask:0xf bank_mask:0xf
	v_cndmask_b32_e64 v17, v17, 0, s[6:7]
	v_add_u32_e32 v16, v16, v17
	s_nop 1
	v_mov_b32_dpp v17, v16 row_bcast:31 row_mask:0xf bank_mask:0xf
	v_cndmask_b32_e64 v17, 0, v17, s[2:3]
	v_add_u32_e32 v16, v16, v17
	s_and_saveexec_b64 s[0:1], s[4:5]
	s_cbranch_execz .LBB3204_74
; %bb.73:
	v_lshlrev_b32_e32 v17, 2, v38
	ds_write_b32 v17, v16
.LBB3204_74:
	s_or_b64 exec, exec, s[0:1]
	v_cmp_gt_u32_e32 vcc, 8, v0
	s_waitcnt lgkmcnt(0)
	s_barrier
	s_and_saveexec_b64 s[0:1], vcc
	s_cbranch_execz .LBB3204_76
; %bb.75:
	v_mad_i32_i24 v17, v0, -3, v37
	ds_read_b32 v22, v17
	v_and_b32_e32 v23, 7, v36
	v_cmp_ne_u32_e32 vcc, 0, v23
	s_waitcnt lgkmcnt(0)
	v_mov_b32_dpp v24, v22 row_shr:1 row_mask:0xf bank_mask:0xf
	v_cndmask_b32_e32 v24, 0, v24, vcc
	v_add_u32_e32 v22, v24, v22
	v_cmp_lt_u32_e32 vcc, 1, v23
	s_nop 0
	v_mov_b32_dpp v24, v22 row_shr:2 row_mask:0xf bank_mask:0xf
	v_cndmask_b32_e32 v24, 0, v24, vcc
	v_add_u32_e32 v22, v22, v24
	v_cmp_lt_u32_e32 vcc, 3, v23
	s_nop 0
	v_mov_b32_dpp v24, v22 row_shr:4 row_mask:0xf bank_mask:0xf
	v_cndmask_b32_e32 v23, 0, v24, vcc
	v_add_u32_e32 v22, v22, v23
	ds_write_b32 v17, v22
.LBB3204_76:
	s_or_b64 exec, exec, s[0:1]
	v_cmp_lt_u32_e32 vcc, 63, v0
	v_mov_b32_e32 v17, 0
	v_mov_b32_e32 v22, 0
	s_waitcnt lgkmcnt(0)
	s_barrier
	s_and_saveexec_b64 s[0:1], vcc
	s_cbranch_execz .LBB3204_78
; %bb.77:
	v_lshl_add_u32 v22, v38, 2, -4
	ds_read_b32 v22, v22
.LBB3204_78:
	s_or_b64 exec, exec, s[0:1]
	v_add_u32_e32 v23, -1, v36
	v_and_b32_e32 v24, 64, v36
	v_cmp_lt_i32_e32 vcc, v23, v24
	s_waitcnt lgkmcnt(0)
	v_add_u32_e32 v16, v22, v16
	v_cndmask_b32_e32 v23, v23, v36, vcc
	v_lshlrev_b32_e32 v23, 2, v23
	ds_bpermute_b32 v23, v23, v16
	ds_read_b32 v16, v17 offset:28
	s_and_saveexec_b64 s[0:1], s[18:19]
	s_cbranch_execz .LBB3204_80
; %bb.79:
	v_mov_b32_e32 v24, 0
	v_mov_b32_e32 v17, 2
	s_waitcnt lgkmcnt(0)
	global_store_dwordx2 v24, v[16:17], s[28:29] offset:512 sc1
.LBB3204_80:
	s_or_b64 exec, exec, s[0:1]
	v_cmp_eq_u32_e32 vcc, 0, v36
	s_waitcnt lgkmcnt(0)
	s_barrier
	v_cndmask_b32_e32 v17, v23, v22, vcc
	v_cndmask_b32_e64 v29, v17, 0, s[18:19]
	v_add_u32_e32 v28, v29, v35
	v_add_u32_e32 v27, v28, v34
	;; [unrolled: 1-line block ×5, first 2 shown]
	v_mov_b32_e32 v22, 0
	v_add_u32_e32 v23, v24, v30
.LBB3204_81:
	v_add_u32_e32 v1, v16, v1
	v_sub_u32_e32 v17, v29, v22
	v_sub_u32_e32 v29, v1, v17
	v_cmp_eq_u32_e32 vcc, 1, v35
	s_nop 1
	v_cndmask_b32_e32 v17, v29, v17, vcc
	v_lshlrev_b32_e32 v17, 3, v17
	ds_write_b64 v17, v[10:11]
	v_sub_u32_e32 v10, v28, v22
	v_sub_u32_e32 v11, v1, v10
	v_add_u32_e32 v11, 1, v11
	v_cmp_eq_u32_e32 vcc, 1, v34
	v_or_b32_e32 v29, 0x400, v0
	v_or_b32_e32 v28, 0x600, v0
	v_cndmask_b32_e32 v10, v11, v10, vcc
	v_lshlrev_b32_e32 v10, 3, v10
	ds_write_b64 v10, v[12:13]
	v_sub_u32_e32 v10, v27, v22
	v_sub_u32_e32 v11, v1, v10
	v_add_u32_e32 v11, 2, v11
	v_cmp_eq_u32_e32 vcc, 1, v33
	v_or_b32_e32 v17, 0xa00, v0
	s_nop 0
	v_cndmask_b32_e32 v10, v11, v10, vcc
	v_lshlrev_b32_e32 v10, 3, v10
	ds_write_b64 v10, v[6:7]
	v_sub_u32_e32 v6, v25, v22
	v_sub_u32_e32 v7, v1, v6
	v_add_u32_e32 v7, 3, v7
	v_cmp_eq_u32_e32 vcc, 1, v32
	s_nop 1
	v_cndmask_b32_e32 v6, v7, v6, vcc
	v_lshlrev_b32_e32 v6, 3, v6
	ds_write_b64 v6, v[8:9]
	v_sub_u32_e32 v6, v26, v22
	v_sub_u32_e32 v7, v1, v6
	v_add_u32_e32 v7, 4, v7
	v_cmp_eq_u32_e32 vcc, 1, v31
	s_waitcnt vmcnt(0)
	v_lshlrev_b64 v[26:27], 3, v[18:19]
	v_cndmask_b32_e32 v6, v7, v6, vcc
	v_lshlrev_b32_e32 v6, 3, v6
	ds_write_b64 v6, v[2:3]
	v_sub_u32_e32 v2, v24, v22
	v_sub_u32_e32 v3, v1, v2
	v_add_u32_e32 v3, 5, v3
	v_cmp_eq_u32_e32 vcc, 1, v30
	v_or_b32_e32 v30, 0x200, v0
	s_nop 0
	v_cndmask_b32_e32 v2, v3, v2, vcc
	v_lshlrev_b32_e32 v2, 3, v2
	ds_write_b64 v2, v[4:5]
	v_sub_u32_e32 v2, v23, v22
	v_sub_u32_e32 v1, v1, v2
	v_add_u32_e32 v1, 6, v1
	v_cmp_eq_u32_e32 vcc, 1, v21
	v_or_b32_e32 v21, 0x800, v0
	s_nop 0
	v_cndmask_b32_e32 v1, v1, v2, vcc
	v_lshlrev_b32_e32 v1, 3, v1
	ds_write_b64 v1, v[14:15]
	s_waitcnt lgkmcnt(0)
	s_barrier
	ds_read2st64_b64 v[10:13], v20 offset1:8
	ds_read2st64_b64 v[6:9], v20 offset0:16 offset1:24
	ds_read2st64_b64 v[2:5], v20 offset0:32 offset1:40
	ds_read_b64 v[14:15], v20 offset:24576
	v_or_b32_e32 v1, 0xc00, v0
	s_andn2_b64 vcc, exec, s[26:27]
	s_cbranch_vccnz .LBB3204_90
; %bb.82:
	v_mov_b32_e32 v23, 0
	v_lshl_add_u64 v[24:25], s[24:25], 0, v[26:27]
	v_lshlrev_b64 v[32:33], 3, v[22:23]
	v_lshl_add_u64 v[24:25], v[24:25], 0, v[32:33]
	v_cmp_lt_u32_e32 vcc, v0, v16
	s_and_saveexec_b64 s[0:1], vcc
	s_cbranch_execnz .LBB3204_104
; %bb.83:
	s_or_b64 exec, exec, s[0:1]
	v_cmp_lt_u32_e32 vcc, v30, v16
	s_and_saveexec_b64 s[0:1], vcc
	s_cbranch_execnz .LBB3204_105
.LBB3204_84:
	s_or_b64 exec, exec, s[0:1]
	v_cmp_lt_u32_e32 vcc, v29, v16
	s_and_saveexec_b64 s[0:1], vcc
	s_cbranch_execnz .LBB3204_106
.LBB3204_85:
	s_or_b64 exec, exec, s[0:1]
	v_cmp_lt_u32_e32 vcc, v28, v16
	s_and_saveexec_b64 s[0:1], vcc
	s_cbranch_execnz .LBB3204_107
.LBB3204_86:
	s_or_b64 exec, exec, s[0:1]
	v_cmp_lt_u32_e32 vcc, v21, v16
	s_and_saveexec_b64 s[0:1], vcc
	s_cbranch_execnz .LBB3204_108
.LBB3204_87:
	s_or_b64 exec, exec, s[0:1]
	v_cmp_lt_u32_e32 vcc, v17, v16
	s_and_saveexec_b64 s[0:1], vcc
	s_cbranch_execz .LBB3204_89
.LBB3204_88:
	v_lshlrev_b32_e32 v23, 3, v17
	v_readfirstlane_b32 s2, v24
	v_readfirstlane_b32 s3, v25
	s_waitcnt lgkmcnt(1)
	s_nop 3
	global_store_dwordx2 v23, v[4:5], s[2:3]
.LBB3204_89:
	s_or_b64 exec, exec, s[0:1]
	v_cmp_lt_u32_e64 s[0:1], v1, v16
	s_branch .LBB3204_99
.LBB3204_90:
	s_mov_b64 s[0:1], 0
                                        ; implicit-def: $vgpr24_vgpr25
	s_cbranch_execz .LBB3204_99
; %bb.91:
	v_mov_b32_e32 v23, 0
	v_min_u32_e32 v31, s33, v16
	v_lshl_add_u64 v[24:25], s[24:25], 0, v[26:27]
	v_lshlrev_b64 v[26:27], 3, v[22:23]
	v_lshl_add_u64 v[24:25], v[24:25], 0, v[26:27]
	v_cmp_gt_u32_e32 vcc, v31, v0
	s_and_saveexec_b64 s[0:1], vcc
	s_cbranch_execnz .LBB3204_109
; %bb.92:
	s_or_b64 exec, exec, s[0:1]
	v_cmp_lt_u32_e32 vcc, v30, v31
	s_and_saveexec_b64 s[0:1], vcc
	s_cbranch_execnz .LBB3204_110
.LBB3204_93:
	s_or_b64 exec, exec, s[0:1]
	v_cmp_lt_u32_e32 vcc, v29, v31
	s_and_saveexec_b64 s[0:1], vcc
	s_cbranch_execnz .LBB3204_111
.LBB3204_94:
	s_or_b64 exec, exec, s[0:1]
	v_cmp_lt_u32_e32 vcc, v28, v31
	s_and_saveexec_b64 s[0:1], vcc
	s_cbranch_execnz .LBB3204_112
.LBB3204_95:
	s_or_b64 exec, exec, s[0:1]
	v_cmp_lt_u32_e32 vcc, v21, v31
	s_and_saveexec_b64 s[0:1], vcc
	s_cbranch_execnz .LBB3204_113
.LBB3204_96:
	s_or_b64 exec, exec, s[0:1]
	v_cmp_lt_u32_e32 vcc, v17, v31
	s_and_saveexec_b64 s[0:1], vcc
	s_cbranch_execz .LBB3204_98
.LBB3204_97:
	v_lshlrev_b32_e32 v0, 3, v17
	v_readfirstlane_b32 s2, v24
	v_readfirstlane_b32 s3, v25
	s_waitcnt lgkmcnt(1)
	s_nop 3
	global_store_dwordx2 v0, v[4:5], s[2:3]
.LBB3204_98:
	s_or_b64 exec, exec, s[0:1]
	v_cmp_lt_u32_e64 s[0:1], v1, v31
.LBB3204_99:
	s_and_saveexec_b64 s[2:3], s[0:1]
	s_cbranch_execnz .LBB3204_102
; %bb.100:
	s_or_b64 exec, exec, s[2:3]
	s_and_b64 s[0:1], s[18:19], s[22:23]
	s_and_saveexec_b64 s[2:3], s[0:1]
	s_cbranch_execnz .LBB3204_103
.LBB3204_101:
	s_endpgm
.LBB3204_102:
	v_lshlrev_b32_e32 v0, 3, v1
	v_readfirstlane_b32 s0, v24
	v_readfirstlane_b32 s1, v25
	s_waitcnt lgkmcnt(0)
	s_nop 3
	global_store_dwordx2 v0, v[14:15], s[0:1]
	s_or_b64 exec, exec, s[2:3]
	s_and_b64 s[0:1], s[18:19], s[22:23]
	s_and_saveexec_b64 s[2:3], s[0:1]
	s_cbranch_execz .LBB3204_101
.LBB3204_103:
	v_mov_b32_e32 v17, 0
	v_lshl_add_u64 v[0:1], v[18:19], 0, v[16:17]
	v_mov_b32_e32 v23, v17
	v_lshl_add_u64 v[0:1], v[0:1], 0, v[22:23]
	global_store_dwordx2 v17, v[0:1], s[20:21]
	s_endpgm
.LBB3204_104:
	v_readfirstlane_b32 s2, v24
	v_readfirstlane_b32 s3, v25
	s_waitcnt lgkmcnt(3)
	s_nop 3
	global_store_dwordx2 v20, v[10:11], s[2:3]
	s_or_b64 exec, exec, s[0:1]
	v_cmp_lt_u32_e32 vcc, v30, v16
	s_and_saveexec_b64 s[0:1], vcc
	s_cbranch_execz .LBB3204_84
.LBB3204_105:
	v_lshlrev_b32_e32 v23, 3, v30
	v_readfirstlane_b32 s2, v24
	v_readfirstlane_b32 s3, v25
	s_waitcnt lgkmcnt(3)
	s_nop 3
	global_store_dwordx2 v23, v[12:13], s[2:3]
	s_or_b64 exec, exec, s[0:1]
	v_cmp_lt_u32_e32 vcc, v29, v16
	s_and_saveexec_b64 s[0:1], vcc
	s_cbranch_execz .LBB3204_85
.LBB3204_106:
	v_lshlrev_b32_e32 v23, 3, v29
	v_readfirstlane_b32 s2, v24
	v_readfirstlane_b32 s3, v25
	s_waitcnt lgkmcnt(2)
	s_nop 3
	global_store_dwordx2 v23, v[6:7], s[2:3]
	s_or_b64 exec, exec, s[0:1]
	v_cmp_lt_u32_e32 vcc, v28, v16
	s_and_saveexec_b64 s[0:1], vcc
	s_cbranch_execz .LBB3204_86
.LBB3204_107:
	v_lshlrev_b32_e32 v23, 3, v28
	v_readfirstlane_b32 s2, v24
	v_readfirstlane_b32 s3, v25
	s_waitcnt lgkmcnt(2)
	s_nop 3
	global_store_dwordx2 v23, v[8:9], s[2:3]
	s_or_b64 exec, exec, s[0:1]
	v_cmp_lt_u32_e32 vcc, v21, v16
	s_and_saveexec_b64 s[0:1], vcc
	s_cbranch_execz .LBB3204_87
.LBB3204_108:
	v_lshlrev_b32_e32 v23, 3, v21
	v_readfirstlane_b32 s2, v24
	v_readfirstlane_b32 s3, v25
	s_waitcnt lgkmcnt(1)
	s_nop 3
	global_store_dwordx2 v23, v[2:3], s[2:3]
	s_or_b64 exec, exec, s[0:1]
	v_cmp_lt_u32_e32 vcc, v17, v16
	s_and_saveexec_b64 s[0:1], vcc
	s_cbranch_execnz .LBB3204_88
	s_branch .LBB3204_89
.LBB3204_109:
	v_readfirstlane_b32 s2, v24
	v_readfirstlane_b32 s3, v25
	s_waitcnt lgkmcnt(3)
	s_nop 3
	global_store_dwordx2 v20, v[10:11], s[2:3]
	s_or_b64 exec, exec, s[0:1]
	v_cmp_lt_u32_e32 vcc, v30, v31
	s_and_saveexec_b64 s[0:1], vcc
	s_cbranch_execz .LBB3204_93
.LBB3204_110:
	v_lshlrev_b32_e32 v0, 3, v30
	v_readfirstlane_b32 s2, v24
	v_readfirstlane_b32 s3, v25
	s_waitcnt lgkmcnt(3)
	s_nop 3
	global_store_dwordx2 v0, v[12:13], s[2:3]
	s_or_b64 exec, exec, s[0:1]
	v_cmp_lt_u32_e32 vcc, v29, v31
	s_and_saveexec_b64 s[0:1], vcc
	s_cbranch_execz .LBB3204_94
.LBB3204_111:
	v_lshlrev_b32_e32 v0, 3, v29
	v_readfirstlane_b32 s2, v24
	v_readfirstlane_b32 s3, v25
	s_waitcnt lgkmcnt(2)
	s_nop 3
	global_store_dwordx2 v0, v[6:7], s[2:3]
	s_or_b64 exec, exec, s[0:1]
	v_cmp_lt_u32_e32 vcc, v28, v31
	s_and_saveexec_b64 s[0:1], vcc
	s_cbranch_execz .LBB3204_95
.LBB3204_112:
	v_lshlrev_b32_e32 v0, 3, v28
	v_readfirstlane_b32 s2, v24
	v_readfirstlane_b32 s3, v25
	s_waitcnt lgkmcnt(2)
	s_nop 3
	global_store_dwordx2 v0, v[8:9], s[2:3]
	s_or_b64 exec, exec, s[0:1]
	v_cmp_lt_u32_e32 vcc, v21, v31
	s_and_saveexec_b64 s[0:1], vcc
	s_cbranch_execz .LBB3204_96
.LBB3204_113:
	v_lshlrev_b32_e32 v0, 3, v21
	v_readfirstlane_b32 s2, v24
	v_readfirstlane_b32 s3, v25
	s_waitcnt lgkmcnt(1)
	s_nop 3
	global_store_dwordx2 v0, v[2:3], s[2:3]
	s_or_b64 exec, exec, s[0:1]
	v_cmp_lt_u32_e32 vcc, v17, v31
	s_and_saveexec_b64 s[0:1], vcc
	s_cbranch_execnz .LBB3204_97
	s_branch .LBB3204_98
	.section	.rodata,"a",@progbits
	.p2align	6, 0x0
	.amdhsa_kernel _ZN7rocprim17ROCPRIM_400000_NS6detail17trampoline_kernelINS0_14default_configENS1_25partition_config_selectorILNS1_17partition_subalgoE1ExNS0_10empty_typeEbEEZZNS1_14partition_implILS5_1ELb0ES3_jN6thrust23THRUST_200600_302600_NS6detail15normal_iteratorINSA_10device_ptrIxEEEEPS6_NSA_18transform_iteratorI7is_evenIxESF_NSA_11use_defaultESK_EENS0_5tupleIJSF_NSA_16discard_iteratorISK_EEEEENSM_IJSG_SG_EEES6_PlJS6_EEE10hipError_tPvRmT3_T4_T5_T6_T7_T9_mT8_P12ihipStream_tbDpT10_ENKUlT_T0_E_clISt17integral_constantIbLb1EES1B_EEDaS16_S17_EUlS16_E_NS1_11comp_targetILNS1_3genE5ELNS1_11target_archE942ELNS1_3gpuE9ELNS1_3repE0EEENS1_30default_config_static_selectorELNS0_4arch9wavefront6targetE1EEEvT1_
		.amdhsa_group_segment_fixed_size 28680
		.amdhsa_private_segment_fixed_size 0
		.amdhsa_kernarg_size 152
		.amdhsa_user_sgpr_count 2
		.amdhsa_user_sgpr_dispatch_ptr 0
		.amdhsa_user_sgpr_queue_ptr 0
		.amdhsa_user_sgpr_kernarg_segment_ptr 1
		.amdhsa_user_sgpr_dispatch_id 0
		.amdhsa_user_sgpr_kernarg_preload_length 0
		.amdhsa_user_sgpr_kernarg_preload_offset 0
		.amdhsa_user_sgpr_private_segment_size 0
		.amdhsa_uses_dynamic_stack 0
		.amdhsa_enable_private_segment 0
		.amdhsa_system_sgpr_workgroup_id_x 1
		.amdhsa_system_sgpr_workgroup_id_y 0
		.amdhsa_system_sgpr_workgroup_id_z 0
		.amdhsa_system_sgpr_workgroup_info 0
		.amdhsa_system_vgpr_workitem_id 0
		.amdhsa_next_free_vgpr 56
		.amdhsa_next_free_sgpr 40
		.amdhsa_accum_offset 56
		.amdhsa_reserve_vcc 1
		.amdhsa_float_round_mode_32 0
		.amdhsa_float_round_mode_16_64 0
		.amdhsa_float_denorm_mode_32 3
		.amdhsa_float_denorm_mode_16_64 3
		.amdhsa_dx10_clamp 1
		.amdhsa_ieee_mode 1
		.amdhsa_fp16_overflow 0
		.amdhsa_tg_split 0
		.amdhsa_exception_fp_ieee_invalid_op 0
		.amdhsa_exception_fp_denorm_src 0
		.amdhsa_exception_fp_ieee_div_zero 0
		.amdhsa_exception_fp_ieee_overflow 0
		.amdhsa_exception_fp_ieee_underflow 0
		.amdhsa_exception_fp_ieee_inexact 0
		.amdhsa_exception_int_div_zero 0
	.end_amdhsa_kernel
	.section	.text._ZN7rocprim17ROCPRIM_400000_NS6detail17trampoline_kernelINS0_14default_configENS1_25partition_config_selectorILNS1_17partition_subalgoE1ExNS0_10empty_typeEbEEZZNS1_14partition_implILS5_1ELb0ES3_jN6thrust23THRUST_200600_302600_NS6detail15normal_iteratorINSA_10device_ptrIxEEEEPS6_NSA_18transform_iteratorI7is_evenIxESF_NSA_11use_defaultESK_EENS0_5tupleIJSF_NSA_16discard_iteratorISK_EEEEENSM_IJSG_SG_EEES6_PlJS6_EEE10hipError_tPvRmT3_T4_T5_T6_T7_T9_mT8_P12ihipStream_tbDpT10_ENKUlT_T0_E_clISt17integral_constantIbLb1EES1B_EEDaS16_S17_EUlS16_E_NS1_11comp_targetILNS1_3genE5ELNS1_11target_archE942ELNS1_3gpuE9ELNS1_3repE0EEENS1_30default_config_static_selectorELNS0_4arch9wavefront6targetE1EEEvT1_,"axG",@progbits,_ZN7rocprim17ROCPRIM_400000_NS6detail17trampoline_kernelINS0_14default_configENS1_25partition_config_selectorILNS1_17partition_subalgoE1ExNS0_10empty_typeEbEEZZNS1_14partition_implILS5_1ELb0ES3_jN6thrust23THRUST_200600_302600_NS6detail15normal_iteratorINSA_10device_ptrIxEEEEPS6_NSA_18transform_iteratorI7is_evenIxESF_NSA_11use_defaultESK_EENS0_5tupleIJSF_NSA_16discard_iteratorISK_EEEEENSM_IJSG_SG_EEES6_PlJS6_EEE10hipError_tPvRmT3_T4_T5_T6_T7_T9_mT8_P12ihipStream_tbDpT10_ENKUlT_T0_E_clISt17integral_constantIbLb1EES1B_EEDaS16_S17_EUlS16_E_NS1_11comp_targetILNS1_3genE5ELNS1_11target_archE942ELNS1_3gpuE9ELNS1_3repE0EEENS1_30default_config_static_selectorELNS0_4arch9wavefront6targetE1EEEvT1_,comdat
.Lfunc_end3204:
	.size	_ZN7rocprim17ROCPRIM_400000_NS6detail17trampoline_kernelINS0_14default_configENS1_25partition_config_selectorILNS1_17partition_subalgoE1ExNS0_10empty_typeEbEEZZNS1_14partition_implILS5_1ELb0ES3_jN6thrust23THRUST_200600_302600_NS6detail15normal_iteratorINSA_10device_ptrIxEEEEPS6_NSA_18transform_iteratorI7is_evenIxESF_NSA_11use_defaultESK_EENS0_5tupleIJSF_NSA_16discard_iteratorISK_EEEEENSM_IJSG_SG_EEES6_PlJS6_EEE10hipError_tPvRmT3_T4_T5_T6_T7_T9_mT8_P12ihipStream_tbDpT10_ENKUlT_T0_E_clISt17integral_constantIbLb1EES1B_EEDaS16_S17_EUlS16_E_NS1_11comp_targetILNS1_3genE5ELNS1_11target_archE942ELNS1_3gpuE9ELNS1_3repE0EEENS1_30default_config_static_selectorELNS0_4arch9wavefront6targetE1EEEvT1_, .Lfunc_end3204-_ZN7rocprim17ROCPRIM_400000_NS6detail17trampoline_kernelINS0_14default_configENS1_25partition_config_selectorILNS1_17partition_subalgoE1ExNS0_10empty_typeEbEEZZNS1_14partition_implILS5_1ELb0ES3_jN6thrust23THRUST_200600_302600_NS6detail15normal_iteratorINSA_10device_ptrIxEEEEPS6_NSA_18transform_iteratorI7is_evenIxESF_NSA_11use_defaultESK_EENS0_5tupleIJSF_NSA_16discard_iteratorISK_EEEEENSM_IJSG_SG_EEES6_PlJS6_EEE10hipError_tPvRmT3_T4_T5_T6_T7_T9_mT8_P12ihipStream_tbDpT10_ENKUlT_T0_E_clISt17integral_constantIbLb1EES1B_EEDaS16_S17_EUlS16_E_NS1_11comp_targetILNS1_3genE5ELNS1_11target_archE942ELNS1_3gpuE9ELNS1_3repE0EEENS1_30default_config_static_selectorELNS0_4arch9wavefront6targetE1EEEvT1_
                                        ; -- End function
	.section	.AMDGPU.csdata,"",@progbits
; Kernel info:
; codeLenInByte = 5220
; NumSgprs: 46
; NumVgprs: 56
; NumAgprs: 0
; TotalNumVgprs: 56
; ScratchSize: 0
; MemoryBound: 0
; FloatMode: 240
; IeeeMode: 1
; LDSByteSize: 28680 bytes/workgroup (compile time only)
; SGPRBlocks: 5
; VGPRBlocks: 6
; NumSGPRsForWavesPerEU: 46
; NumVGPRsForWavesPerEU: 56
; AccumOffset: 56
; Occupancy: 4
; WaveLimiterHint : 1
; COMPUTE_PGM_RSRC2:SCRATCH_EN: 0
; COMPUTE_PGM_RSRC2:USER_SGPR: 2
; COMPUTE_PGM_RSRC2:TRAP_HANDLER: 0
; COMPUTE_PGM_RSRC2:TGID_X_EN: 1
; COMPUTE_PGM_RSRC2:TGID_Y_EN: 0
; COMPUTE_PGM_RSRC2:TGID_Z_EN: 0
; COMPUTE_PGM_RSRC2:TIDIG_COMP_CNT: 0
; COMPUTE_PGM_RSRC3_GFX90A:ACCUM_OFFSET: 13
; COMPUTE_PGM_RSRC3_GFX90A:TG_SPLIT: 0
	.section	.text._ZN7rocprim17ROCPRIM_400000_NS6detail17trampoline_kernelINS0_14default_configENS1_25partition_config_selectorILNS1_17partition_subalgoE1ExNS0_10empty_typeEbEEZZNS1_14partition_implILS5_1ELb0ES3_jN6thrust23THRUST_200600_302600_NS6detail15normal_iteratorINSA_10device_ptrIxEEEEPS6_NSA_18transform_iteratorI7is_evenIxESF_NSA_11use_defaultESK_EENS0_5tupleIJSF_NSA_16discard_iteratorISK_EEEEENSM_IJSG_SG_EEES6_PlJS6_EEE10hipError_tPvRmT3_T4_T5_T6_T7_T9_mT8_P12ihipStream_tbDpT10_ENKUlT_T0_E_clISt17integral_constantIbLb1EES1B_EEDaS16_S17_EUlS16_E_NS1_11comp_targetILNS1_3genE4ELNS1_11target_archE910ELNS1_3gpuE8ELNS1_3repE0EEENS1_30default_config_static_selectorELNS0_4arch9wavefront6targetE1EEEvT1_,"axG",@progbits,_ZN7rocprim17ROCPRIM_400000_NS6detail17trampoline_kernelINS0_14default_configENS1_25partition_config_selectorILNS1_17partition_subalgoE1ExNS0_10empty_typeEbEEZZNS1_14partition_implILS5_1ELb0ES3_jN6thrust23THRUST_200600_302600_NS6detail15normal_iteratorINSA_10device_ptrIxEEEEPS6_NSA_18transform_iteratorI7is_evenIxESF_NSA_11use_defaultESK_EENS0_5tupleIJSF_NSA_16discard_iteratorISK_EEEEENSM_IJSG_SG_EEES6_PlJS6_EEE10hipError_tPvRmT3_T4_T5_T6_T7_T9_mT8_P12ihipStream_tbDpT10_ENKUlT_T0_E_clISt17integral_constantIbLb1EES1B_EEDaS16_S17_EUlS16_E_NS1_11comp_targetILNS1_3genE4ELNS1_11target_archE910ELNS1_3gpuE8ELNS1_3repE0EEENS1_30default_config_static_selectorELNS0_4arch9wavefront6targetE1EEEvT1_,comdat
	.protected	_ZN7rocprim17ROCPRIM_400000_NS6detail17trampoline_kernelINS0_14default_configENS1_25partition_config_selectorILNS1_17partition_subalgoE1ExNS0_10empty_typeEbEEZZNS1_14partition_implILS5_1ELb0ES3_jN6thrust23THRUST_200600_302600_NS6detail15normal_iteratorINSA_10device_ptrIxEEEEPS6_NSA_18transform_iteratorI7is_evenIxESF_NSA_11use_defaultESK_EENS0_5tupleIJSF_NSA_16discard_iteratorISK_EEEEENSM_IJSG_SG_EEES6_PlJS6_EEE10hipError_tPvRmT3_T4_T5_T6_T7_T9_mT8_P12ihipStream_tbDpT10_ENKUlT_T0_E_clISt17integral_constantIbLb1EES1B_EEDaS16_S17_EUlS16_E_NS1_11comp_targetILNS1_3genE4ELNS1_11target_archE910ELNS1_3gpuE8ELNS1_3repE0EEENS1_30default_config_static_selectorELNS0_4arch9wavefront6targetE1EEEvT1_ ; -- Begin function _ZN7rocprim17ROCPRIM_400000_NS6detail17trampoline_kernelINS0_14default_configENS1_25partition_config_selectorILNS1_17partition_subalgoE1ExNS0_10empty_typeEbEEZZNS1_14partition_implILS5_1ELb0ES3_jN6thrust23THRUST_200600_302600_NS6detail15normal_iteratorINSA_10device_ptrIxEEEEPS6_NSA_18transform_iteratorI7is_evenIxESF_NSA_11use_defaultESK_EENS0_5tupleIJSF_NSA_16discard_iteratorISK_EEEEENSM_IJSG_SG_EEES6_PlJS6_EEE10hipError_tPvRmT3_T4_T5_T6_T7_T9_mT8_P12ihipStream_tbDpT10_ENKUlT_T0_E_clISt17integral_constantIbLb1EES1B_EEDaS16_S17_EUlS16_E_NS1_11comp_targetILNS1_3genE4ELNS1_11target_archE910ELNS1_3gpuE8ELNS1_3repE0EEENS1_30default_config_static_selectorELNS0_4arch9wavefront6targetE1EEEvT1_
	.globl	_ZN7rocprim17ROCPRIM_400000_NS6detail17trampoline_kernelINS0_14default_configENS1_25partition_config_selectorILNS1_17partition_subalgoE1ExNS0_10empty_typeEbEEZZNS1_14partition_implILS5_1ELb0ES3_jN6thrust23THRUST_200600_302600_NS6detail15normal_iteratorINSA_10device_ptrIxEEEEPS6_NSA_18transform_iteratorI7is_evenIxESF_NSA_11use_defaultESK_EENS0_5tupleIJSF_NSA_16discard_iteratorISK_EEEEENSM_IJSG_SG_EEES6_PlJS6_EEE10hipError_tPvRmT3_T4_T5_T6_T7_T9_mT8_P12ihipStream_tbDpT10_ENKUlT_T0_E_clISt17integral_constantIbLb1EES1B_EEDaS16_S17_EUlS16_E_NS1_11comp_targetILNS1_3genE4ELNS1_11target_archE910ELNS1_3gpuE8ELNS1_3repE0EEENS1_30default_config_static_selectorELNS0_4arch9wavefront6targetE1EEEvT1_
	.p2align	8
	.type	_ZN7rocprim17ROCPRIM_400000_NS6detail17trampoline_kernelINS0_14default_configENS1_25partition_config_selectorILNS1_17partition_subalgoE1ExNS0_10empty_typeEbEEZZNS1_14partition_implILS5_1ELb0ES3_jN6thrust23THRUST_200600_302600_NS6detail15normal_iteratorINSA_10device_ptrIxEEEEPS6_NSA_18transform_iteratorI7is_evenIxESF_NSA_11use_defaultESK_EENS0_5tupleIJSF_NSA_16discard_iteratorISK_EEEEENSM_IJSG_SG_EEES6_PlJS6_EEE10hipError_tPvRmT3_T4_T5_T6_T7_T9_mT8_P12ihipStream_tbDpT10_ENKUlT_T0_E_clISt17integral_constantIbLb1EES1B_EEDaS16_S17_EUlS16_E_NS1_11comp_targetILNS1_3genE4ELNS1_11target_archE910ELNS1_3gpuE8ELNS1_3repE0EEENS1_30default_config_static_selectorELNS0_4arch9wavefront6targetE1EEEvT1_,@function
_ZN7rocprim17ROCPRIM_400000_NS6detail17trampoline_kernelINS0_14default_configENS1_25partition_config_selectorILNS1_17partition_subalgoE1ExNS0_10empty_typeEbEEZZNS1_14partition_implILS5_1ELb0ES3_jN6thrust23THRUST_200600_302600_NS6detail15normal_iteratorINSA_10device_ptrIxEEEEPS6_NSA_18transform_iteratorI7is_evenIxESF_NSA_11use_defaultESK_EENS0_5tupleIJSF_NSA_16discard_iteratorISK_EEEEENSM_IJSG_SG_EEES6_PlJS6_EEE10hipError_tPvRmT3_T4_T5_T6_T7_T9_mT8_P12ihipStream_tbDpT10_ENKUlT_T0_E_clISt17integral_constantIbLb1EES1B_EEDaS16_S17_EUlS16_E_NS1_11comp_targetILNS1_3genE4ELNS1_11target_archE910ELNS1_3gpuE8ELNS1_3repE0EEENS1_30default_config_static_selectorELNS0_4arch9wavefront6targetE1EEEvT1_: ; @_ZN7rocprim17ROCPRIM_400000_NS6detail17trampoline_kernelINS0_14default_configENS1_25partition_config_selectorILNS1_17partition_subalgoE1ExNS0_10empty_typeEbEEZZNS1_14partition_implILS5_1ELb0ES3_jN6thrust23THRUST_200600_302600_NS6detail15normal_iteratorINSA_10device_ptrIxEEEEPS6_NSA_18transform_iteratorI7is_evenIxESF_NSA_11use_defaultESK_EENS0_5tupleIJSF_NSA_16discard_iteratorISK_EEEEENSM_IJSG_SG_EEES6_PlJS6_EEE10hipError_tPvRmT3_T4_T5_T6_T7_T9_mT8_P12ihipStream_tbDpT10_ENKUlT_T0_E_clISt17integral_constantIbLb1EES1B_EEDaS16_S17_EUlS16_E_NS1_11comp_targetILNS1_3genE4ELNS1_11target_archE910ELNS1_3gpuE8ELNS1_3repE0EEENS1_30default_config_static_selectorELNS0_4arch9wavefront6targetE1EEEvT1_
; %bb.0:
	.section	.rodata,"a",@progbits
	.p2align	6, 0x0
	.amdhsa_kernel _ZN7rocprim17ROCPRIM_400000_NS6detail17trampoline_kernelINS0_14default_configENS1_25partition_config_selectorILNS1_17partition_subalgoE1ExNS0_10empty_typeEbEEZZNS1_14partition_implILS5_1ELb0ES3_jN6thrust23THRUST_200600_302600_NS6detail15normal_iteratorINSA_10device_ptrIxEEEEPS6_NSA_18transform_iteratorI7is_evenIxESF_NSA_11use_defaultESK_EENS0_5tupleIJSF_NSA_16discard_iteratorISK_EEEEENSM_IJSG_SG_EEES6_PlJS6_EEE10hipError_tPvRmT3_T4_T5_T6_T7_T9_mT8_P12ihipStream_tbDpT10_ENKUlT_T0_E_clISt17integral_constantIbLb1EES1B_EEDaS16_S17_EUlS16_E_NS1_11comp_targetILNS1_3genE4ELNS1_11target_archE910ELNS1_3gpuE8ELNS1_3repE0EEENS1_30default_config_static_selectorELNS0_4arch9wavefront6targetE1EEEvT1_
		.amdhsa_group_segment_fixed_size 0
		.amdhsa_private_segment_fixed_size 0
		.amdhsa_kernarg_size 152
		.amdhsa_user_sgpr_count 2
		.amdhsa_user_sgpr_dispatch_ptr 0
		.amdhsa_user_sgpr_queue_ptr 0
		.amdhsa_user_sgpr_kernarg_segment_ptr 1
		.amdhsa_user_sgpr_dispatch_id 0
		.amdhsa_user_sgpr_kernarg_preload_length 0
		.amdhsa_user_sgpr_kernarg_preload_offset 0
		.amdhsa_user_sgpr_private_segment_size 0
		.amdhsa_uses_dynamic_stack 0
		.amdhsa_enable_private_segment 0
		.amdhsa_system_sgpr_workgroup_id_x 1
		.amdhsa_system_sgpr_workgroup_id_y 0
		.amdhsa_system_sgpr_workgroup_id_z 0
		.amdhsa_system_sgpr_workgroup_info 0
		.amdhsa_system_vgpr_workitem_id 0
		.amdhsa_next_free_vgpr 1
		.amdhsa_next_free_sgpr 0
		.amdhsa_accum_offset 4
		.amdhsa_reserve_vcc 0
		.amdhsa_float_round_mode_32 0
		.amdhsa_float_round_mode_16_64 0
		.amdhsa_float_denorm_mode_32 3
		.amdhsa_float_denorm_mode_16_64 3
		.amdhsa_dx10_clamp 1
		.amdhsa_ieee_mode 1
		.amdhsa_fp16_overflow 0
		.amdhsa_tg_split 0
		.amdhsa_exception_fp_ieee_invalid_op 0
		.amdhsa_exception_fp_denorm_src 0
		.amdhsa_exception_fp_ieee_div_zero 0
		.amdhsa_exception_fp_ieee_overflow 0
		.amdhsa_exception_fp_ieee_underflow 0
		.amdhsa_exception_fp_ieee_inexact 0
		.amdhsa_exception_int_div_zero 0
	.end_amdhsa_kernel
	.section	.text._ZN7rocprim17ROCPRIM_400000_NS6detail17trampoline_kernelINS0_14default_configENS1_25partition_config_selectorILNS1_17partition_subalgoE1ExNS0_10empty_typeEbEEZZNS1_14partition_implILS5_1ELb0ES3_jN6thrust23THRUST_200600_302600_NS6detail15normal_iteratorINSA_10device_ptrIxEEEEPS6_NSA_18transform_iteratorI7is_evenIxESF_NSA_11use_defaultESK_EENS0_5tupleIJSF_NSA_16discard_iteratorISK_EEEEENSM_IJSG_SG_EEES6_PlJS6_EEE10hipError_tPvRmT3_T4_T5_T6_T7_T9_mT8_P12ihipStream_tbDpT10_ENKUlT_T0_E_clISt17integral_constantIbLb1EES1B_EEDaS16_S17_EUlS16_E_NS1_11comp_targetILNS1_3genE4ELNS1_11target_archE910ELNS1_3gpuE8ELNS1_3repE0EEENS1_30default_config_static_selectorELNS0_4arch9wavefront6targetE1EEEvT1_,"axG",@progbits,_ZN7rocprim17ROCPRIM_400000_NS6detail17trampoline_kernelINS0_14default_configENS1_25partition_config_selectorILNS1_17partition_subalgoE1ExNS0_10empty_typeEbEEZZNS1_14partition_implILS5_1ELb0ES3_jN6thrust23THRUST_200600_302600_NS6detail15normal_iteratorINSA_10device_ptrIxEEEEPS6_NSA_18transform_iteratorI7is_evenIxESF_NSA_11use_defaultESK_EENS0_5tupleIJSF_NSA_16discard_iteratorISK_EEEEENSM_IJSG_SG_EEES6_PlJS6_EEE10hipError_tPvRmT3_T4_T5_T6_T7_T9_mT8_P12ihipStream_tbDpT10_ENKUlT_T0_E_clISt17integral_constantIbLb1EES1B_EEDaS16_S17_EUlS16_E_NS1_11comp_targetILNS1_3genE4ELNS1_11target_archE910ELNS1_3gpuE8ELNS1_3repE0EEENS1_30default_config_static_selectorELNS0_4arch9wavefront6targetE1EEEvT1_,comdat
.Lfunc_end3205:
	.size	_ZN7rocprim17ROCPRIM_400000_NS6detail17trampoline_kernelINS0_14default_configENS1_25partition_config_selectorILNS1_17partition_subalgoE1ExNS0_10empty_typeEbEEZZNS1_14partition_implILS5_1ELb0ES3_jN6thrust23THRUST_200600_302600_NS6detail15normal_iteratorINSA_10device_ptrIxEEEEPS6_NSA_18transform_iteratorI7is_evenIxESF_NSA_11use_defaultESK_EENS0_5tupleIJSF_NSA_16discard_iteratorISK_EEEEENSM_IJSG_SG_EEES6_PlJS6_EEE10hipError_tPvRmT3_T4_T5_T6_T7_T9_mT8_P12ihipStream_tbDpT10_ENKUlT_T0_E_clISt17integral_constantIbLb1EES1B_EEDaS16_S17_EUlS16_E_NS1_11comp_targetILNS1_3genE4ELNS1_11target_archE910ELNS1_3gpuE8ELNS1_3repE0EEENS1_30default_config_static_selectorELNS0_4arch9wavefront6targetE1EEEvT1_, .Lfunc_end3205-_ZN7rocprim17ROCPRIM_400000_NS6detail17trampoline_kernelINS0_14default_configENS1_25partition_config_selectorILNS1_17partition_subalgoE1ExNS0_10empty_typeEbEEZZNS1_14partition_implILS5_1ELb0ES3_jN6thrust23THRUST_200600_302600_NS6detail15normal_iteratorINSA_10device_ptrIxEEEEPS6_NSA_18transform_iteratorI7is_evenIxESF_NSA_11use_defaultESK_EENS0_5tupleIJSF_NSA_16discard_iteratorISK_EEEEENSM_IJSG_SG_EEES6_PlJS6_EEE10hipError_tPvRmT3_T4_T5_T6_T7_T9_mT8_P12ihipStream_tbDpT10_ENKUlT_T0_E_clISt17integral_constantIbLb1EES1B_EEDaS16_S17_EUlS16_E_NS1_11comp_targetILNS1_3genE4ELNS1_11target_archE910ELNS1_3gpuE8ELNS1_3repE0EEENS1_30default_config_static_selectorELNS0_4arch9wavefront6targetE1EEEvT1_
                                        ; -- End function
	.section	.AMDGPU.csdata,"",@progbits
; Kernel info:
; codeLenInByte = 0
; NumSgprs: 6
; NumVgprs: 0
; NumAgprs: 0
; TotalNumVgprs: 0
; ScratchSize: 0
; MemoryBound: 0
; FloatMode: 240
; IeeeMode: 1
; LDSByteSize: 0 bytes/workgroup (compile time only)
; SGPRBlocks: 0
; VGPRBlocks: 0
; NumSGPRsForWavesPerEU: 6
; NumVGPRsForWavesPerEU: 1
; AccumOffset: 4
; Occupancy: 8
; WaveLimiterHint : 0
; COMPUTE_PGM_RSRC2:SCRATCH_EN: 0
; COMPUTE_PGM_RSRC2:USER_SGPR: 2
; COMPUTE_PGM_RSRC2:TRAP_HANDLER: 0
; COMPUTE_PGM_RSRC2:TGID_X_EN: 1
; COMPUTE_PGM_RSRC2:TGID_Y_EN: 0
; COMPUTE_PGM_RSRC2:TGID_Z_EN: 0
; COMPUTE_PGM_RSRC2:TIDIG_COMP_CNT: 0
; COMPUTE_PGM_RSRC3_GFX90A:ACCUM_OFFSET: 0
; COMPUTE_PGM_RSRC3_GFX90A:TG_SPLIT: 0
	.section	.text._ZN7rocprim17ROCPRIM_400000_NS6detail17trampoline_kernelINS0_14default_configENS1_25partition_config_selectorILNS1_17partition_subalgoE1ExNS0_10empty_typeEbEEZZNS1_14partition_implILS5_1ELb0ES3_jN6thrust23THRUST_200600_302600_NS6detail15normal_iteratorINSA_10device_ptrIxEEEEPS6_NSA_18transform_iteratorI7is_evenIxESF_NSA_11use_defaultESK_EENS0_5tupleIJSF_NSA_16discard_iteratorISK_EEEEENSM_IJSG_SG_EEES6_PlJS6_EEE10hipError_tPvRmT3_T4_T5_T6_T7_T9_mT8_P12ihipStream_tbDpT10_ENKUlT_T0_E_clISt17integral_constantIbLb1EES1B_EEDaS16_S17_EUlS16_E_NS1_11comp_targetILNS1_3genE3ELNS1_11target_archE908ELNS1_3gpuE7ELNS1_3repE0EEENS1_30default_config_static_selectorELNS0_4arch9wavefront6targetE1EEEvT1_,"axG",@progbits,_ZN7rocprim17ROCPRIM_400000_NS6detail17trampoline_kernelINS0_14default_configENS1_25partition_config_selectorILNS1_17partition_subalgoE1ExNS0_10empty_typeEbEEZZNS1_14partition_implILS5_1ELb0ES3_jN6thrust23THRUST_200600_302600_NS6detail15normal_iteratorINSA_10device_ptrIxEEEEPS6_NSA_18transform_iteratorI7is_evenIxESF_NSA_11use_defaultESK_EENS0_5tupleIJSF_NSA_16discard_iteratorISK_EEEEENSM_IJSG_SG_EEES6_PlJS6_EEE10hipError_tPvRmT3_T4_T5_T6_T7_T9_mT8_P12ihipStream_tbDpT10_ENKUlT_T0_E_clISt17integral_constantIbLb1EES1B_EEDaS16_S17_EUlS16_E_NS1_11comp_targetILNS1_3genE3ELNS1_11target_archE908ELNS1_3gpuE7ELNS1_3repE0EEENS1_30default_config_static_selectorELNS0_4arch9wavefront6targetE1EEEvT1_,comdat
	.protected	_ZN7rocprim17ROCPRIM_400000_NS6detail17trampoline_kernelINS0_14default_configENS1_25partition_config_selectorILNS1_17partition_subalgoE1ExNS0_10empty_typeEbEEZZNS1_14partition_implILS5_1ELb0ES3_jN6thrust23THRUST_200600_302600_NS6detail15normal_iteratorINSA_10device_ptrIxEEEEPS6_NSA_18transform_iteratorI7is_evenIxESF_NSA_11use_defaultESK_EENS0_5tupleIJSF_NSA_16discard_iteratorISK_EEEEENSM_IJSG_SG_EEES6_PlJS6_EEE10hipError_tPvRmT3_T4_T5_T6_T7_T9_mT8_P12ihipStream_tbDpT10_ENKUlT_T0_E_clISt17integral_constantIbLb1EES1B_EEDaS16_S17_EUlS16_E_NS1_11comp_targetILNS1_3genE3ELNS1_11target_archE908ELNS1_3gpuE7ELNS1_3repE0EEENS1_30default_config_static_selectorELNS0_4arch9wavefront6targetE1EEEvT1_ ; -- Begin function _ZN7rocprim17ROCPRIM_400000_NS6detail17trampoline_kernelINS0_14default_configENS1_25partition_config_selectorILNS1_17partition_subalgoE1ExNS0_10empty_typeEbEEZZNS1_14partition_implILS5_1ELb0ES3_jN6thrust23THRUST_200600_302600_NS6detail15normal_iteratorINSA_10device_ptrIxEEEEPS6_NSA_18transform_iteratorI7is_evenIxESF_NSA_11use_defaultESK_EENS0_5tupleIJSF_NSA_16discard_iteratorISK_EEEEENSM_IJSG_SG_EEES6_PlJS6_EEE10hipError_tPvRmT3_T4_T5_T6_T7_T9_mT8_P12ihipStream_tbDpT10_ENKUlT_T0_E_clISt17integral_constantIbLb1EES1B_EEDaS16_S17_EUlS16_E_NS1_11comp_targetILNS1_3genE3ELNS1_11target_archE908ELNS1_3gpuE7ELNS1_3repE0EEENS1_30default_config_static_selectorELNS0_4arch9wavefront6targetE1EEEvT1_
	.globl	_ZN7rocprim17ROCPRIM_400000_NS6detail17trampoline_kernelINS0_14default_configENS1_25partition_config_selectorILNS1_17partition_subalgoE1ExNS0_10empty_typeEbEEZZNS1_14partition_implILS5_1ELb0ES3_jN6thrust23THRUST_200600_302600_NS6detail15normal_iteratorINSA_10device_ptrIxEEEEPS6_NSA_18transform_iteratorI7is_evenIxESF_NSA_11use_defaultESK_EENS0_5tupleIJSF_NSA_16discard_iteratorISK_EEEEENSM_IJSG_SG_EEES6_PlJS6_EEE10hipError_tPvRmT3_T4_T5_T6_T7_T9_mT8_P12ihipStream_tbDpT10_ENKUlT_T0_E_clISt17integral_constantIbLb1EES1B_EEDaS16_S17_EUlS16_E_NS1_11comp_targetILNS1_3genE3ELNS1_11target_archE908ELNS1_3gpuE7ELNS1_3repE0EEENS1_30default_config_static_selectorELNS0_4arch9wavefront6targetE1EEEvT1_
	.p2align	8
	.type	_ZN7rocprim17ROCPRIM_400000_NS6detail17trampoline_kernelINS0_14default_configENS1_25partition_config_selectorILNS1_17partition_subalgoE1ExNS0_10empty_typeEbEEZZNS1_14partition_implILS5_1ELb0ES3_jN6thrust23THRUST_200600_302600_NS6detail15normal_iteratorINSA_10device_ptrIxEEEEPS6_NSA_18transform_iteratorI7is_evenIxESF_NSA_11use_defaultESK_EENS0_5tupleIJSF_NSA_16discard_iteratorISK_EEEEENSM_IJSG_SG_EEES6_PlJS6_EEE10hipError_tPvRmT3_T4_T5_T6_T7_T9_mT8_P12ihipStream_tbDpT10_ENKUlT_T0_E_clISt17integral_constantIbLb1EES1B_EEDaS16_S17_EUlS16_E_NS1_11comp_targetILNS1_3genE3ELNS1_11target_archE908ELNS1_3gpuE7ELNS1_3repE0EEENS1_30default_config_static_selectorELNS0_4arch9wavefront6targetE1EEEvT1_,@function
_ZN7rocprim17ROCPRIM_400000_NS6detail17trampoline_kernelINS0_14default_configENS1_25partition_config_selectorILNS1_17partition_subalgoE1ExNS0_10empty_typeEbEEZZNS1_14partition_implILS5_1ELb0ES3_jN6thrust23THRUST_200600_302600_NS6detail15normal_iteratorINSA_10device_ptrIxEEEEPS6_NSA_18transform_iteratorI7is_evenIxESF_NSA_11use_defaultESK_EENS0_5tupleIJSF_NSA_16discard_iteratorISK_EEEEENSM_IJSG_SG_EEES6_PlJS6_EEE10hipError_tPvRmT3_T4_T5_T6_T7_T9_mT8_P12ihipStream_tbDpT10_ENKUlT_T0_E_clISt17integral_constantIbLb1EES1B_EEDaS16_S17_EUlS16_E_NS1_11comp_targetILNS1_3genE3ELNS1_11target_archE908ELNS1_3gpuE7ELNS1_3repE0EEENS1_30default_config_static_selectorELNS0_4arch9wavefront6targetE1EEEvT1_: ; @_ZN7rocprim17ROCPRIM_400000_NS6detail17trampoline_kernelINS0_14default_configENS1_25partition_config_selectorILNS1_17partition_subalgoE1ExNS0_10empty_typeEbEEZZNS1_14partition_implILS5_1ELb0ES3_jN6thrust23THRUST_200600_302600_NS6detail15normal_iteratorINSA_10device_ptrIxEEEEPS6_NSA_18transform_iteratorI7is_evenIxESF_NSA_11use_defaultESK_EENS0_5tupleIJSF_NSA_16discard_iteratorISK_EEEEENSM_IJSG_SG_EEES6_PlJS6_EEE10hipError_tPvRmT3_T4_T5_T6_T7_T9_mT8_P12ihipStream_tbDpT10_ENKUlT_T0_E_clISt17integral_constantIbLb1EES1B_EEDaS16_S17_EUlS16_E_NS1_11comp_targetILNS1_3genE3ELNS1_11target_archE908ELNS1_3gpuE7ELNS1_3repE0EEENS1_30default_config_static_selectorELNS0_4arch9wavefront6targetE1EEEvT1_
; %bb.0:
	.section	.rodata,"a",@progbits
	.p2align	6, 0x0
	.amdhsa_kernel _ZN7rocprim17ROCPRIM_400000_NS6detail17trampoline_kernelINS0_14default_configENS1_25partition_config_selectorILNS1_17partition_subalgoE1ExNS0_10empty_typeEbEEZZNS1_14partition_implILS5_1ELb0ES3_jN6thrust23THRUST_200600_302600_NS6detail15normal_iteratorINSA_10device_ptrIxEEEEPS6_NSA_18transform_iteratorI7is_evenIxESF_NSA_11use_defaultESK_EENS0_5tupleIJSF_NSA_16discard_iteratorISK_EEEEENSM_IJSG_SG_EEES6_PlJS6_EEE10hipError_tPvRmT3_T4_T5_T6_T7_T9_mT8_P12ihipStream_tbDpT10_ENKUlT_T0_E_clISt17integral_constantIbLb1EES1B_EEDaS16_S17_EUlS16_E_NS1_11comp_targetILNS1_3genE3ELNS1_11target_archE908ELNS1_3gpuE7ELNS1_3repE0EEENS1_30default_config_static_selectorELNS0_4arch9wavefront6targetE1EEEvT1_
		.amdhsa_group_segment_fixed_size 0
		.amdhsa_private_segment_fixed_size 0
		.amdhsa_kernarg_size 152
		.amdhsa_user_sgpr_count 2
		.amdhsa_user_sgpr_dispatch_ptr 0
		.amdhsa_user_sgpr_queue_ptr 0
		.amdhsa_user_sgpr_kernarg_segment_ptr 1
		.amdhsa_user_sgpr_dispatch_id 0
		.amdhsa_user_sgpr_kernarg_preload_length 0
		.amdhsa_user_sgpr_kernarg_preload_offset 0
		.amdhsa_user_sgpr_private_segment_size 0
		.amdhsa_uses_dynamic_stack 0
		.amdhsa_enable_private_segment 0
		.amdhsa_system_sgpr_workgroup_id_x 1
		.amdhsa_system_sgpr_workgroup_id_y 0
		.amdhsa_system_sgpr_workgroup_id_z 0
		.amdhsa_system_sgpr_workgroup_info 0
		.amdhsa_system_vgpr_workitem_id 0
		.amdhsa_next_free_vgpr 1
		.amdhsa_next_free_sgpr 0
		.amdhsa_accum_offset 4
		.amdhsa_reserve_vcc 0
		.amdhsa_float_round_mode_32 0
		.amdhsa_float_round_mode_16_64 0
		.amdhsa_float_denorm_mode_32 3
		.amdhsa_float_denorm_mode_16_64 3
		.amdhsa_dx10_clamp 1
		.amdhsa_ieee_mode 1
		.amdhsa_fp16_overflow 0
		.amdhsa_tg_split 0
		.amdhsa_exception_fp_ieee_invalid_op 0
		.amdhsa_exception_fp_denorm_src 0
		.amdhsa_exception_fp_ieee_div_zero 0
		.amdhsa_exception_fp_ieee_overflow 0
		.amdhsa_exception_fp_ieee_underflow 0
		.amdhsa_exception_fp_ieee_inexact 0
		.amdhsa_exception_int_div_zero 0
	.end_amdhsa_kernel
	.section	.text._ZN7rocprim17ROCPRIM_400000_NS6detail17trampoline_kernelINS0_14default_configENS1_25partition_config_selectorILNS1_17partition_subalgoE1ExNS0_10empty_typeEbEEZZNS1_14partition_implILS5_1ELb0ES3_jN6thrust23THRUST_200600_302600_NS6detail15normal_iteratorINSA_10device_ptrIxEEEEPS6_NSA_18transform_iteratorI7is_evenIxESF_NSA_11use_defaultESK_EENS0_5tupleIJSF_NSA_16discard_iteratorISK_EEEEENSM_IJSG_SG_EEES6_PlJS6_EEE10hipError_tPvRmT3_T4_T5_T6_T7_T9_mT8_P12ihipStream_tbDpT10_ENKUlT_T0_E_clISt17integral_constantIbLb1EES1B_EEDaS16_S17_EUlS16_E_NS1_11comp_targetILNS1_3genE3ELNS1_11target_archE908ELNS1_3gpuE7ELNS1_3repE0EEENS1_30default_config_static_selectorELNS0_4arch9wavefront6targetE1EEEvT1_,"axG",@progbits,_ZN7rocprim17ROCPRIM_400000_NS6detail17trampoline_kernelINS0_14default_configENS1_25partition_config_selectorILNS1_17partition_subalgoE1ExNS0_10empty_typeEbEEZZNS1_14partition_implILS5_1ELb0ES3_jN6thrust23THRUST_200600_302600_NS6detail15normal_iteratorINSA_10device_ptrIxEEEEPS6_NSA_18transform_iteratorI7is_evenIxESF_NSA_11use_defaultESK_EENS0_5tupleIJSF_NSA_16discard_iteratorISK_EEEEENSM_IJSG_SG_EEES6_PlJS6_EEE10hipError_tPvRmT3_T4_T5_T6_T7_T9_mT8_P12ihipStream_tbDpT10_ENKUlT_T0_E_clISt17integral_constantIbLb1EES1B_EEDaS16_S17_EUlS16_E_NS1_11comp_targetILNS1_3genE3ELNS1_11target_archE908ELNS1_3gpuE7ELNS1_3repE0EEENS1_30default_config_static_selectorELNS0_4arch9wavefront6targetE1EEEvT1_,comdat
.Lfunc_end3206:
	.size	_ZN7rocprim17ROCPRIM_400000_NS6detail17trampoline_kernelINS0_14default_configENS1_25partition_config_selectorILNS1_17partition_subalgoE1ExNS0_10empty_typeEbEEZZNS1_14partition_implILS5_1ELb0ES3_jN6thrust23THRUST_200600_302600_NS6detail15normal_iteratorINSA_10device_ptrIxEEEEPS6_NSA_18transform_iteratorI7is_evenIxESF_NSA_11use_defaultESK_EENS0_5tupleIJSF_NSA_16discard_iteratorISK_EEEEENSM_IJSG_SG_EEES6_PlJS6_EEE10hipError_tPvRmT3_T4_T5_T6_T7_T9_mT8_P12ihipStream_tbDpT10_ENKUlT_T0_E_clISt17integral_constantIbLb1EES1B_EEDaS16_S17_EUlS16_E_NS1_11comp_targetILNS1_3genE3ELNS1_11target_archE908ELNS1_3gpuE7ELNS1_3repE0EEENS1_30default_config_static_selectorELNS0_4arch9wavefront6targetE1EEEvT1_, .Lfunc_end3206-_ZN7rocprim17ROCPRIM_400000_NS6detail17trampoline_kernelINS0_14default_configENS1_25partition_config_selectorILNS1_17partition_subalgoE1ExNS0_10empty_typeEbEEZZNS1_14partition_implILS5_1ELb0ES3_jN6thrust23THRUST_200600_302600_NS6detail15normal_iteratorINSA_10device_ptrIxEEEEPS6_NSA_18transform_iteratorI7is_evenIxESF_NSA_11use_defaultESK_EENS0_5tupleIJSF_NSA_16discard_iteratorISK_EEEEENSM_IJSG_SG_EEES6_PlJS6_EEE10hipError_tPvRmT3_T4_T5_T6_T7_T9_mT8_P12ihipStream_tbDpT10_ENKUlT_T0_E_clISt17integral_constantIbLb1EES1B_EEDaS16_S17_EUlS16_E_NS1_11comp_targetILNS1_3genE3ELNS1_11target_archE908ELNS1_3gpuE7ELNS1_3repE0EEENS1_30default_config_static_selectorELNS0_4arch9wavefront6targetE1EEEvT1_
                                        ; -- End function
	.section	.AMDGPU.csdata,"",@progbits
; Kernel info:
; codeLenInByte = 0
; NumSgprs: 6
; NumVgprs: 0
; NumAgprs: 0
; TotalNumVgprs: 0
; ScratchSize: 0
; MemoryBound: 0
; FloatMode: 240
; IeeeMode: 1
; LDSByteSize: 0 bytes/workgroup (compile time only)
; SGPRBlocks: 0
; VGPRBlocks: 0
; NumSGPRsForWavesPerEU: 6
; NumVGPRsForWavesPerEU: 1
; AccumOffset: 4
; Occupancy: 8
; WaveLimiterHint : 0
; COMPUTE_PGM_RSRC2:SCRATCH_EN: 0
; COMPUTE_PGM_RSRC2:USER_SGPR: 2
; COMPUTE_PGM_RSRC2:TRAP_HANDLER: 0
; COMPUTE_PGM_RSRC2:TGID_X_EN: 1
; COMPUTE_PGM_RSRC2:TGID_Y_EN: 0
; COMPUTE_PGM_RSRC2:TGID_Z_EN: 0
; COMPUTE_PGM_RSRC2:TIDIG_COMP_CNT: 0
; COMPUTE_PGM_RSRC3_GFX90A:ACCUM_OFFSET: 0
; COMPUTE_PGM_RSRC3_GFX90A:TG_SPLIT: 0
	.section	.text._ZN7rocprim17ROCPRIM_400000_NS6detail17trampoline_kernelINS0_14default_configENS1_25partition_config_selectorILNS1_17partition_subalgoE1ExNS0_10empty_typeEbEEZZNS1_14partition_implILS5_1ELb0ES3_jN6thrust23THRUST_200600_302600_NS6detail15normal_iteratorINSA_10device_ptrIxEEEEPS6_NSA_18transform_iteratorI7is_evenIxESF_NSA_11use_defaultESK_EENS0_5tupleIJSF_NSA_16discard_iteratorISK_EEEEENSM_IJSG_SG_EEES6_PlJS6_EEE10hipError_tPvRmT3_T4_T5_T6_T7_T9_mT8_P12ihipStream_tbDpT10_ENKUlT_T0_E_clISt17integral_constantIbLb1EES1B_EEDaS16_S17_EUlS16_E_NS1_11comp_targetILNS1_3genE2ELNS1_11target_archE906ELNS1_3gpuE6ELNS1_3repE0EEENS1_30default_config_static_selectorELNS0_4arch9wavefront6targetE1EEEvT1_,"axG",@progbits,_ZN7rocprim17ROCPRIM_400000_NS6detail17trampoline_kernelINS0_14default_configENS1_25partition_config_selectorILNS1_17partition_subalgoE1ExNS0_10empty_typeEbEEZZNS1_14partition_implILS5_1ELb0ES3_jN6thrust23THRUST_200600_302600_NS6detail15normal_iteratorINSA_10device_ptrIxEEEEPS6_NSA_18transform_iteratorI7is_evenIxESF_NSA_11use_defaultESK_EENS0_5tupleIJSF_NSA_16discard_iteratorISK_EEEEENSM_IJSG_SG_EEES6_PlJS6_EEE10hipError_tPvRmT3_T4_T5_T6_T7_T9_mT8_P12ihipStream_tbDpT10_ENKUlT_T0_E_clISt17integral_constantIbLb1EES1B_EEDaS16_S17_EUlS16_E_NS1_11comp_targetILNS1_3genE2ELNS1_11target_archE906ELNS1_3gpuE6ELNS1_3repE0EEENS1_30default_config_static_selectorELNS0_4arch9wavefront6targetE1EEEvT1_,comdat
	.protected	_ZN7rocprim17ROCPRIM_400000_NS6detail17trampoline_kernelINS0_14default_configENS1_25partition_config_selectorILNS1_17partition_subalgoE1ExNS0_10empty_typeEbEEZZNS1_14partition_implILS5_1ELb0ES3_jN6thrust23THRUST_200600_302600_NS6detail15normal_iteratorINSA_10device_ptrIxEEEEPS6_NSA_18transform_iteratorI7is_evenIxESF_NSA_11use_defaultESK_EENS0_5tupleIJSF_NSA_16discard_iteratorISK_EEEEENSM_IJSG_SG_EEES6_PlJS6_EEE10hipError_tPvRmT3_T4_T5_T6_T7_T9_mT8_P12ihipStream_tbDpT10_ENKUlT_T0_E_clISt17integral_constantIbLb1EES1B_EEDaS16_S17_EUlS16_E_NS1_11comp_targetILNS1_3genE2ELNS1_11target_archE906ELNS1_3gpuE6ELNS1_3repE0EEENS1_30default_config_static_selectorELNS0_4arch9wavefront6targetE1EEEvT1_ ; -- Begin function _ZN7rocprim17ROCPRIM_400000_NS6detail17trampoline_kernelINS0_14default_configENS1_25partition_config_selectorILNS1_17partition_subalgoE1ExNS0_10empty_typeEbEEZZNS1_14partition_implILS5_1ELb0ES3_jN6thrust23THRUST_200600_302600_NS6detail15normal_iteratorINSA_10device_ptrIxEEEEPS6_NSA_18transform_iteratorI7is_evenIxESF_NSA_11use_defaultESK_EENS0_5tupleIJSF_NSA_16discard_iteratorISK_EEEEENSM_IJSG_SG_EEES6_PlJS6_EEE10hipError_tPvRmT3_T4_T5_T6_T7_T9_mT8_P12ihipStream_tbDpT10_ENKUlT_T0_E_clISt17integral_constantIbLb1EES1B_EEDaS16_S17_EUlS16_E_NS1_11comp_targetILNS1_3genE2ELNS1_11target_archE906ELNS1_3gpuE6ELNS1_3repE0EEENS1_30default_config_static_selectorELNS0_4arch9wavefront6targetE1EEEvT1_
	.globl	_ZN7rocprim17ROCPRIM_400000_NS6detail17trampoline_kernelINS0_14default_configENS1_25partition_config_selectorILNS1_17partition_subalgoE1ExNS0_10empty_typeEbEEZZNS1_14partition_implILS5_1ELb0ES3_jN6thrust23THRUST_200600_302600_NS6detail15normal_iteratorINSA_10device_ptrIxEEEEPS6_NSA_18transform_iteratorI7is_evenIxESF_NSA_11use_defaultESK_EENS0_5tupleIJSF_NSA_16discard_iteratorISK_EEEEENSM_IJSG_SG_EEES6_PlJS6_EEE10hipError_tPvRmT3_T4_T5_T6_T7_T9_mT8_P12ihipStream_tbDpT10_ENKUlT_T0_E_clISt17integral_constantIbLb1EES1B_EEDaS16_S17_EUlS16_E_NS1_11comp_targetILNS1_3genE2ELNS1_11target_archE906ELNS1_3gpuE6ELNS1_3repE0EEENS1_30default_config_static_selectorELNS0_4arch9wavefront6targetE1EEEvT1_
	.p2align	8
	.type	_ZN7rocprim17ROCPRIM_400000_NS6detail17trampoline_kernelINS0_14default_configENS1_25partition_config_selectorILNS1_17partition_subalgoE1ExNS0_10empty_typeEbEEZZNS1_14partition_implILS5_1ELb0ES3_jN6thrust23THRUST_200600_302600_NS6detail15normal_iteratorINSA_10device_ptrIxEEEEPS6_NSA_18transform_iteratorI7is_evenIxESF_NSA_11use_defaultESK_EENS0_5tupleIJSF_NSA_16discard_iteratorISK_EEEEENSM_IJSG_SG_EEES6_PlJS6_EEE10hipError_tPvRmT3_T4_T5_T6_T7_T9_mT8_P12ihipStream_tbDpT10_ENKUlT_T0_E_clISt17integral_constantIbLb1EES1B_EEDaS16_S17_EUlS16_E_NS1_11comp_targetILNS1_3genE2ELNS1_11target_archE906ELNS1_3gpuE6ELNS1_3repE0EEENS1_30default_config_static_selectorELNS0_4arch9wavefront6targetE1EEEvT1_,@function
_ZN7rocprim17ROCPRIM_400000_NS6detail17trampoline_kernelINS0_14default_configENS1_25partition_config_selectorILNS1_17partition_subalgoE1ExNS0_10empty_typeEbEEZZNS1_14partition_implILS5_1ELb0ES3_jN6thrust23THRUST_200600_302600_NS6detail15normal_iteratorINSA_10device_ptrIxEEEEPS6_NSA_18transform_iteratorI7is_evenIxESF_NSA_11use_defaultESK_EENS0_5tupleIJSF_NSA_16discard_iteratorISK_EEEEENSM_IJSG_SG_EEES6_PlJS6_EEE10hipError_tPvRmT3_T4_T5_T6_T7_T9_mT8_P12ihipStream_tbDpT10_ENKUlT_T0_E_clISt17integral_constantIbLb1EES1B_EEDaS16_S17_EUlS16_E_NS1_11comp_targetILNS1_3genE2ELNS1_11target_archE906ELNS1_3gpuE6ELNS1_3repE0EEENS1_30default_config_static_selectorELNS0_4arch9wavefront6targetE1EEEvT1_: ; @_ZN7rocprim17ROCPRIM_400000_NS6detail17trampoline_kernelINS0_14default_configENS1_25partition_config_selectorILNS1_17partition_subalgoE1ExNS0_10empty_typeEbEEZZNS1_14partition_implILS5_1ELb0ES3_jN6thrust23THRUST_200600_302600_NS6detail15normal_iteratorINSA_10device_ptrIxEEEEPS6_NSA_18transform_iteratorI7is_evenIxESF_NSA_11use_defaultESK_EENS0_5tupleIJSF_NSA_16discard_iteratorISK_EEEEENSM_IJSG_SG_EEES6_PlJS6_EEE10hipError_tPvRmT3_T4_T5_T6_T7_T9_mT8_P12ihipStream_tbDpT10_ENKUlT_T0_E_clISt17integral_constantIbLb1EES1B_EEDaS16_S17_EUlS16_E_NS1_11comp_targetILNS1_3genE2ELNS1_11target_archE906ELNS1_3gpuE6ELNS1_3repE0EEENS1_30default_config_static_selectorELNS0_4arch9wavefront6targetE1EEEvT1_
; %bb.0:
	.section	.rodata,"a",@progbits
	.p2align	6, 0x0
	.amdhsa_kernel _ZN7rocprim17ROCPRIM_400000_NS6detail17trampoline_kernelINS0_14default_configENS1_25partition_config_selectorILNS1_17partition_subalgoE1ExNS0_10empty_typeEbEEZZNS1_14partition_implILS5_1ELb0ES3_jN6thrust23THRUST_200600_302600_NS6detail15normal_iteratorINSA_10device_ptrIxEEEEPS6_NSA_18transform_iteratorI7is_evenIxESF_NSA_11use_defaultESK_EENS0_5tupleIJSF_NSA_16discard_iteratorISK_EEEEENSM_IJSG_SG_EEES6_PlJS6_EEE10hipError_tPvRmT3_T4_T5_T6_T7_T9_mT8_P12ihipStream_tbDpT10_ENKUlT_T0_E_clISt17integral_constantIbLb1EES1B_EEDaS16_S17_EUlS16_E_NS1_11comp_targetILNS1_3genE2ELNS1_11target_archE906ELNS1_3gpuE6ELNS1_3repE0EEENS1_30default_config_static_selectorELNS0_4arch9wavefront6targetE1EEEvT1_
		.amdhsa_group_segment_fixed_size 0
		.amdhsa_private_segment_fixed_size 0
		.amdhsa_kernarg_size 152
		.amdhsa_user_sgpr_count 2
		.amdhsa_user_sgpr_dispatch_ptr 0
		.amdhsa_user_sgpr_queue_ptr 0
		.amdhsa_user_sgpr_kernarg_segment_ptr 1
		.amdhsa_user_sgpr_dispatch_id 0
		.amdhsa_user_sgpr_kernarg_preload_length 0
		.amdhsa_user_sgpr_kernarg_preload_offset 0
		.amdhsa_user_sgpr_private_segment_size 0
		.amdhsa_uses_dynamic_stack 0
		.amdhsa_enable_private_segment 0
		.amdhsa_system_sgpr_workgroup_id_x 1
		.amdhsa_system_sgpr_workgroup_id_y 0
		.amdhsa_system_sgpr_workgroup_id_z 0
		.amdhsa_system_sgpr_workgroup_info 0
		.amdhsa_system_vgpr_workitem_id 0
		.amdhsa_next_free_vgpr 1
		.amdhsa_next_free_sgpr 0
		.amdhsa_accum_offset 4
		.amdhsa_reserve_vcc 0
		.amdhsa_float_round_mode_32 0
		.amdhsa_float_round_mode_16_64 0
		.amdhsa_float_denorm_mode_32 3
		.amdhsa_float_denorm_mode_16_64 3
		.amdhsa_dx10_clamp 1
		.amdhsa_ieee_mode 1
		.amdhsa_fp16_overflow 0
		.amdhsa_tg_split 0
		.amdhsa_exception_fp_ieee_invalid_op 0
		.amdhsa_exception_fp_denorm_src 0
		.amdhsa_exception_fp_ieee_div_zero 0
		.amdhsa_exception_fp_ieee_overflow 0
		.amdhsa_exception_fp_ieee_underflow 0
		.amdhsa_exception_fp_ieee_inexact 0
		.amdhsa_exception_int_div_zero 0
	.end_amdhsa_kernel
	.section	.text._ZN7rocprim17ROCPRIM_400000_NS6detail17trampoline_kernelINS0_14default_configENS1_25partition_config_selectorILNS1_17partition_subalgoE1ExNS0_10empty_typeEbEEZZNS1_14partition_implILS5_1ELb0ES3_jN6thrust23THRUST_200600_302600_NS6detail15normal_iteratorINSA_10device_ptrIxEEEEPS6_NSA_18transform_iteratorI7is_evenIxESF_NSA_11use_defaultESK_EENS0_5tupleIJSF_NSA_16discard_iteratorISK_EEEEENSM_IJSG_SG_EEES6_PlJS6_EEE10hipError_tPvRmT3_T4_T5_T6_T7_T9_mT8_P12ihipStream_tbDpT10_ENKUlT_T0_E_clISt17integral_constantIbLb1EES1B_EEDaS16_S17_EUlS16_E_NS1_11comp_targetILNS1_3genE2ELNS1_11target_archE906ELNS1_3gpuE6ELNS1_3repE0EEENS1_30default_config_static_selectorELNS0_4arch9wavefront6targetE1EEEvT1_,"axG",@progbits,_ZN7rocprim17ROCPRIM_400000_NS6detail17trampoline_kernelINS0_14default_configENS1_25partition_config_selectorILNS1_17partition_subalgoE1ExNS0_10empty_typeEbEEZZNS1_14partition_implILS5_1ELb0ES3_jN6thrust23THRUST_200600_302600_NS6detail15normal_iteratorINSA_10device_ptrIxEEEEPS6_NSA_18transform_iteratorI7is_evenIxESF_NSA_11use_defaultESK_EENS0_5tupleIJSF_NSA_16discard_iteratorISK_EEEEENSM_IJSG_SG_EEES6_PlJS6_EEE10hipError_tPvRmT3_T4_T5_T6_T7_T9_mT8_P12ihipStream_tbDpT10_ENKUlT_T0_E_clISt17integral_constantIbLb1EES1B_EEDaS16_S17_EUlS16_E_NS1_11comp_targetILNS1_3genE2ELNS1_11target_archE906ELNS1_3gpuE6ELNS1_3repE0EEENS1_30default_config_static_selectorELNS0_4arch9wavefront6targetE1EEEvT1_,comdat
.Lfunc_end3207:
	.size	_ZN7rocprim17ROCPRIM_400000_NS6detail17trampoline_kernelINS0_14default_configENS1_25partition_config_selectorILNS1_17partition_subalgoE1ExNS0_10empty_typeEbEEZZNS1_14partition_implILS5_1ELb0ES3_jN6thrust23THRUST_200600_302600_NS6detail15normal_iteratorINSA_10device_ptrIxEEEEPS6_NSA_18transform_iteratorI7is_evenIxESF_NSA_11use_defaultESK_EENS0_5tupleIJSF_NSA_16discard_iteratorISK_EEEEENSM_IJSG_SG_EEES6_PlJS6_EEE10hipError_tPvRmT3_T4_T5_T6_T7_T9_mT8_P12ihipStream_tbDpT10_ENKUlT_T0_E_clISt17integral_constantIbLb1EES1B_EEDaS16_S17_EUlS16_E_NS1_11comp_targetILNS1_3genE2ELNS1_11target_archE906ELNS1_3gpuE6ELNS1_3repE0EEENS1_30default_config_static_selectorELNS0_4arch9wavefront6targetE1EEEvT1_, .Lfunc_end3207-_ZN7rocprim17ROCPRIM_400000_NS6detail17trampoline_kernelINS0_14default_configENS1_25partition_config_selectorILNS1_17partition_subalgoE1ExNS0_10empty_typeEbEEZZNS1_14partition_implILS5_1ELb0ES3_jN6thrust23THRUST_200600_302600_NS6detail15normal_iteratorINSA_10device_ptrIxEEEEPS6_NSA_18transform_iteratorI7is_evenIxESF_NSA_11use_defaultESK_EENS0_5tupleIJSF_NSA_16discard_iteratorISK_EEEEENSM_IJSG_SG_EEES6_PlJS6_EEE10hipError_tPvRmT3_T4_T5_T6_T7_T9_mT8_P12ihipStream_tbDpT10_ENKUlT_T0_E_clISt17integral_constantIbLb1EES1B_EEDaS16_S17_EUlS16_E_NS1_11comp_targetILNS1_3genE2ELNS1_11target_archE906ELNS1_3gpuE6ELNS1_3repE0EEENS1_30default_config_static_selectorELNS0_4arch9wavefront6targetE1EEEvT1_
                                        ; -- End function
	.section	.AMDGPU.csdata,"",@progbits
; Kernel info:
; codeLenInByte = 0
; NumSgprs: 6
; NumVgprs: 0
; NumAgprs: 0
; TotalNumVgprs: 0
; ScratchSize: 0
; MemoryBound: 0
; FloatMode: 240
; IeeeMode: 1
; LDSByteSize: 0 bytes/workgroup (compile time only)
; SGPRBlocks: 0
; VGPRBlocks: 0
; NumSGPRsForWavesPerEU: 6
; NumVGPRsForWavesPerEU: 1
; AccumOffset: 4
; Occupancy: 8
; WaveLimiterHint : 0
; COMPUTE_PGM_RSRC2:SCRATCH_EN: 0
; COMPUTE_PGM_RSRC2:USER_SGPR: 2
; COMPUTE_PGM_RSRC2:TRAP_HANDLER: 0
; COMPUTE_PGM_RSRC2:TGID_X_EN: 1
; COMPUTE_PGM_RSRC2:TGID_Y_EN: 0
; COMPUTE_PGM_RSRC2:TGID_Z_EN: 0
; COMPUTE_PGM_RSRC2:TIDIG_COMP_CNT: 0
; COMPUTE_PGM_RSRC3_GFX90A:ACCUM_OFFSET: 0
; COMPUTE_PGM_RSRC3_GFX90A:TG_SPLIT: 0
	.section	.text._ZN7rocprim17ROCPRIM_400000_NS6detail17trampoline_kernelINS0_14default_configENS1_25partition_config_selectorILNS1_17partition_subalgoE1ExNS0_10empty_typeEbEEZZNS1_14partition_implILS5_1ELb0ES3_jN6thrust23THRUST_200600_302600_NS6detail15normal_iteratorINSA_10device_ptrIxEEEEPS6_NSA_18transform_iteratorI7is_evenIxESF_NSA_11use_defaultESK_EENS0_5tupleIJSF_NSA_16discard_iteratorISK_EEEEENSM_IJSG_SG_EEES6_PlJS6_EEE10hipError_tPvRmT3_T4_T5_T6_T7_T9_mT8_P12ihipStream_tbDpT10_ENKUlT_T0_E_clISt17integral_constantIbLb1EES1B_EEDaS16_S17_EUlS16_E_NS1_11comp_targetILNS1_3genE10ELNS1_11target_archE1200ELNS1_3gpuE4ELNS1_3repE0EEENS1_30default_config_static_selectorELNS0_4arch9wavefront6targetE1EEEvT1_,"axG",@progbits,_ZN7rocprim17ROCPRIM_400000_NS6detail17trampoline_kernelINS0_14default_configENS1_25partition_config_selectorILNS1_17partition_subalgoE1ExNS0_10empty_typeEbEEZZNS1_14partition_implILS5_1ELb0ES3_jN6thrust23THRUST_200600_302600_NS6detail15normal_iteratorINSA_10device_ptrIxEEEEPS6_NSA_18transform_iteratorI7is_evenIxESF_NSA_11use_defaultESK_EENS0_5tupleIJSF_NSA_16discard_iteratorISK_EEEEENSM_IJSG_SG_EEES6_PlJS6_EEE10hipError_tPvRmT3_T4_T5_T6_T7_T9_mT8_P12ihipStream_tbDpT10_ENKUlT_T0_E_clISt17integral_constantIbLb1EES1B_EEDaS16_S17_EUlS16_E_NS1_11comp_targetILNS1_3genE10ELNS1_11target_archE1200ELNS1_3gpuE4ELNS1_3repE0EEENS1_30default_config_static_selectorELNS0_4arch9wavefront6targetE1EEEvT1_,comdat
	.protected	_ZN7rocprim17ROCPRIM_400000_NS6detail17trampoline_kernelINS0_14default_configENS1_25partition_config_selectorILNS1_17partition_subalgoE1ExNS0_10empty_typeEbEEZZNS1_14partition_implILS5_1ELb0ES3_jN6thrust23THRUST_200600_302600_NS6detail15normal_iteratorINSA_10device_ptrIxEEEEPS6_NSA_18transform_iteratorI7is_evenIxESF_NSA_11use_defaultESK_EENS0_5tupleIJSF_NSA_16discard_iteratorISK_EEEEENSM_IJSG_SG_EEES6_PlJS6_EEE10hipError_tPvRmT3_T4_T5_T6_T7_T9_mT8_P12ihipStream_tbDpT10_ENKUlT_T0_E_clISt17integral_constantIbLb1EES1B_EEDaS16_S17_EUlS16_E_NS1_11comp_targetILNS1_3genE10ELNS1_11target_archE1200ELNS1_3gpuE4ELNS1_3repE0EEENS1_30default_config_static_selectorELNS0_4arch9wavefront6targetE1EEEvT1_ ; -- Begin function _ZN7rocprim17ROCPRIM_400000_NS6detail17trampoline_kernelINS0_14default_configENS1_25partition_config_selectorILNS1_17partition_subalgoE1ExNS0_10empty_typeEbEEZZNS1_14partition_implILS5_1ELb0ES3_jN6thrust23THRUST_200600_302600_NS6detail15normal_iteratorINSA_10device_ptrIxEEEEPS6_NSA_18transform_iteratorI7is_evenIxESF_NSA_11use_defaultESK_EENS0_5tupleIJSF_NSA_16discard_iteratorISK_EEEEENSM_IJSG_SG_EEES6_PlJS6_EEE10hipError_tPvRmT3_T4_T5_T6_T7_T9_mT8_P12ihipStream_tbDpT10_ENKUlT_T0_E_clISt17integral_constantIbLb1EES1B_EEDaS16_S17_EUlS16_E_NS1_11comp_targetILNS1_3genE10ELNS1_11target_archE1200ELNS1_3gpuE4ELNS1_3repE0EEENS1_30default_config_static_selectorELNS0_4arch9wavefront6targetE1EEEvT1_
	.globl	_ZN7rocprim17ROCPRIM_400000_NS6detail17trampoline_kernelINS0_14default_configENS1_25partition_config_selectorILNS1_17partition_subalgoE1ExNS0_10empty_typeEbEEZZNS1_14partition_implILS5_1ELb0ES3_jN6thrust23THRUST_200600_302600_NS6detail15normal_iteratorINSA_10device_ptrIxEEEEPS6_NSA_18transform_iteratorI7is_evenIxESF_NSA_11use_defaultESK_EENS0_5tupleIJSF_NSA_16discard_iteratorISK_EEEEENSM_IJSG_SG_EEES6_PlJS6_EEE10hipError_tPvRmT3_T4_T5_T6_T7_T9_mT8_P12ihipStream_tbDpT10_ENKUlT_T0_E_clISt17integral_constantIbLb1EES1B_EEDaS16_S17_EUlS16_E_NS1_11comp_targetILNS1_3genE10ELNS1_11target_archE1200ELNS1_3gpuE4ELNS1_3repE0EEENS1_30default_config_static_selectorELNS0_4arch9wavefront6targetE1EEEvT1_
	.p2align	8
	.type	_ZN7rocprim17ROCPRIM_400000_NS6detail17trampoline_kernelINS0_14default_configENS1_25partition_config_selectorILNS1_17partition_subalgoE1ExNS0_10empty_typeEbEEZZNS1_14partition_implILS5_1ELb0ES3_jN6thrust23THRUST_200600_302600_NS6detail15normal_iteratorINSA_10device_ptrIxEEEEPS6_NSA_18transform_iteratorI7is_evenIxESF_NSA_11use_defaultESK_EENS0_5tupleIJSF_NSA_16discard_iteratorISK_EEEEENSM_IJSG_SG_EEES6_PlJS6_EEE10hipError_tPvRmT3_T4_T5_T6_T7_T9_mT8_P12ihipStream_tbDpT10_ENKUlT_T0_E_clISt17integral_constantIbLb1EES1B_EEDaS16_S17_EUlS16_E_NS1_11comp_targetILNS1_3genE10ELNS1_11target_archE1200ELNS1_3gpuE4ELNS1_3repE0EEENS1_30default_config_static_selectorELNS0_4arch9wavefront6targetE1EEEvT1_,@function
_ZN7rocprim17ROCPRIM_400000_NS6detail17trampoline_kernelINS0_14default_configENS1_25partition_config_selectorILNS1_17partition_subalgoE1ExNS0_10empty_typeEbEEZZNS1_14partition_implILS5_1ELb0ES3_jN6thrust23THRUST_200600_302600_NS6detail15normal_iteratorINSA_10device_ptrIxEEEEPS6_NSA_18transform_iteratorI7is_evenIxESF_NSA_11use_defaultESK_EENS0_5tupleIJSF_NSA_16discard_iteratorISK_EEEEENSM_IJSG_SG_EEES6_PlJS6_EEE10hipError_tPvRmT3_T4_T5_T6_T7_T9_mT8_P12ihipStream_tbDpT10_ENKUlT_T0_E_clISt17integral_constantIbLb1EES1B_EEDaS16_S17_EUlS16_E_NS1_11comp_targetILNS1_3genE10ELNS1_11target_archE1200ELNS1_3gpuE4ELNS1_3repE0EEENS1_30default_config_static_selectorELNS0_4arch9wavefront6targetE1EEEvT1_: ; @_ZN7rocprim17ROCPRIM_400000_NS6detail17trampoline_kernelINS0_14default_configENS1_25partition_config_selectorILNS1_17partition_subalgoE1ExNS0_10empty_typeEbEEZZNS1_14partition_implILS5_1ELb0ES3_jN6thrust23THRUST_200600_302600_NS6detail15normal_iteratorINSA_10device_ptrIxEEEEPS6_NSA_18transform_iteratorI7is_evenIxESF_NSA_11use_defaultESK_EENS0_5tupleIJSF_NSA_16discard_iteratorISK_EEEEENSM_IJSG_SG_EEES6_PlJS6_EEE10hipError_tPvRmT3_T4_T5_T6_T7_T9_mT8_P12ihipStream_tbDpT10_ENKUlT_T0_E_clISt17integral_constantIbLb1EES1B_EEDaS16_S17_EUlS16_E_NS1_11comp_targetILNS1_3genE10ELNS1_11target_archE1200ELNS1_3gpuE4ELNS1_3repE0EEENS1_30default_config_static_selectorELNS0_4arch9wavefront6targetE1EEEvT1_
; %bb.0:
	.section	.rodata,"a",@progbits
	.p2align	6, 0x0
	.amdhsa_kernel _ZN7rocprim17ROCPRIM_400000_NS6detail17trampoline_kernelINS0_14default_configENS1_25partition_config_selectorILNS1_17partition_subalgoE1ExNS0_10empty_typeEbEEZZNS1_14partition_implILS5_1ELb0ES3_jN6thrust23THRUST_200600_302600_NS6detail15normal_iteratorINSA_10device_ptrIxEEEEPS6_NSA_18transform_iteratorI7is_evenIxESF_NSA_11use_defaultESK_EENS0_5tupleIJSF_NSA_16discard_iteratorISK_EEEEENSM_IJSG_SG_EEES6_PlJS6_EEE10hipError_tPvRmT3_T4_T5_T6_T7_T9_mT8_P12ihipStream_tbDpT10_ENKUlT_T0_E_clISt17integral_constantIbLb1EES1B_EEDaS16_S17_EUlS16_E_NS1_11comp_targetILNS1_3genE10ELNS1_11target_archE1200ELNS1_3gpuE4ELNS1_3repE0EEENS1_30default_config_static_selectorELNS0_4arch9wavefront6targetE1EEEvT1_
		.amdhsa_group_segment_fixed_size 0
		.amdhsa_private_segment_fixed_size 0
		.amdhsa_kernarg_size 152
		.amdhsa_user_sgpr_count 2
		.amdhsa_user_sgpr_dispatch_ptr 0
		.amdhsa_user_sgpr_queue_ptr 0
		.amdhsa_user_sgpr_kernarg_segment_ptr 1
		.amdhsa_user_sgpr_dispatch_id 0
		.amdhsa_user_sgpr_kernarg_preload_length 0
		.amdhsa_user_sgpr_kernarg_preload_offset 0
		.amdhsa_user_sgpr_private_segment_size 0
		.amdhsa_uses_dynamic_stack 0
		.amdhsa_enable_private_segment 0
		.amdhsa_system_sgpr_workgroup_id_x 1
		.amdhsa_system_sgpr_workgroup_id_y 0
		.amdhsa_system_sgpr_workgroup_id_z 0
		.amdhsa_system_sgpr_workgroup_info 0
		.amdhsa_system_vgpr_workitem_id 0
		.amdhsa_next_free_vgpr 1
		.amdhsa_next_free_sgpr 0
		.amdhsa_accum_offset 4
		.amdhsa_reserve_vcc 0
		.amdhsa_float_round_mode_32 0
		.amdhsa_float_round_mode_16_64 0
		.amdhsa_float_denorm_mode_32 3
		.amdhsa_float_denorm_mode_16_64 3
		.amdhsa_dx10_clamp 1
		.amdhsa_ieee_mode 1
		.amdhsa_fp16_overflow 0
		.amdhsa_tg_split 0
		.amdhsa_exception_fp_ieee_invalid_op 0
		.amdhsa_exception_fp_denorm_src 0
		.amdhsa_exception_fp_ieee_div_zero 0
		.amdhsa_exception_fp_ieee_overflow 0
		.amdhsa_exception_fp_ieee_underflow 0
		.amdhsa_exception_fp_ieee_inexact 0
		.amdhsa_exception_int_div_zero 0
	.end_amdhsa_kernel
	.section	.text._ZN7rocprim17ROCPRIM_400000_NS6detail17trampoline_kernelINS0_14default_configENS1_25partition_config_selectorILNS1_17partition_subalgoE1ExNS0_10empty_typeEbEEZZNS1_14partition_implILS5_1ELb0ES3_jN6thrust23THRUST_200600_302600_NS6detail15normal_iteratorINSA_10device_ptrIxEEEEPS6_NSA_18transform_iteratorI7is_evenIxESF_NSA_11use_defaultESK_EENS0_5tupleIJSF_NSA_16discard_iteratorISK_EEEEENSM_IJSG_SG_EEES6_PlJS6_EEE10hipError_tPvRmT3_T4_T5_T6_T7_T9_mT8_P12ihipStream_tbDpT10_ENKUlT_T0_E_clISt17integral_constantIbLb1EES1B_EEDaS16_S17_EUlS16_E_NS1_11comp_targetILNS1_3genE10ELNS1_11target_archE1200ELNS1_3gpuE4ELNS1_3repE0EEENS1_30default_config_static_selectorELNS0_4arch9wavefront6targetE1EEEvT1_,"axG",@progbits,_ZN7rocprim17ROCPRIM_400000_NS6detail17trampoline_kernelINS0_14default_configENS1_25partition_config_selectorILNS1_17partition_subalgoE1ExNS0_10empty_typeEbEEZZNS1_14partition_implILS5_1ELb0ES3_jN6thrust23THRUST_200600_302600_NS6detail15normal_iteratorINSA_10device_ptrIxEEEEPS6_NSA_18transform_iteratorI7is_evenIxESF_NSA_11use_defaultESK_EENS0_5tupleIJSF_NSA_16discard_iteratorISK_EEEEENSM_IJSG_SG_EEES6_PlJS6_EEE10hipError_tPvRmT3_T4_T5_T6_T7_T9_mT8_P12ihipStream_tbDpT10_ENKUlT_T0_E_clISt17integral_constantIbLb1EES1B_EEDaS16_S17_EUlS16_E_NS1_11comp_targetILNS1_3genE10ELNS1_11target_archE1200ELNS1_3gpuE4ELNS1_3repE0EEENS1_30default_config_static_selectorELNS0_4arch9wavefront6targetE1EEEvT1_,comdat
.Lfunc_end3208:
	.size	_ZN7rocprim17ROCPRIM_400000_NS6detail17trampoline_kernelINS0_14default_configENS1_25partition_config_selectorILNS1_17partition_subalgoE1ExNS0_10empty_typeEbEEZZNS1_14partition_implILS5_1ELb0ES3_jN6thrust23THRUST_200600_302600_NS6detail15normal_iteratorINSA_10device_ptrIxEEEEPS6_NSA_18transform_iteratorI7is_evenIxESF_NSA_11use_defaultESK_EENS0_5tupleIJSF_NSA_16discard_iteratorISK_EEEEENSM_IJSG_SG_EEES6_PlJS6_EEE10hipError_tPvRmT3_T4_T5_T6_T7_T9_mT8_P12ihipStream_tbDpT10_ENKUlT_T0_E_clISt17integral_constantIbLb1EES1B_EEDaS16_S17_EUlS16_E_NS1_11comp_targetILNS1_3genE10ELNS1_11target_archE1200ELNS1_3gpuE4ELNS1_3repE0EEENS1_30default_config_static_selectorELNS0_4arch9wavefront6targetE1EEEvT1_, .Lfunc_end3208-_ZN7rocprim17ROCPRIM_400000_NS6detail17trampoline_kernelINS0_14default_configENS1_25partition_config_selectorILNS1_17partition_subalgoE1ExNS0_10empty_typeEbEEZZNS1_14partition_implILS5_1ELb0ES3_jN6thrust23THRUST_200600_302600_NS6detail15normal_iteratorINSA_10device_ptrIxEEEEPS6_NSA_18transform_iteratorI7is_evenIxESF_NSA_11use_defaultESK_EENS0_5tupleIJSF_NSA_16discard_iteratorISK_EEEEENSM_IJSG_SG_EEES6_PlJS6_EEE10hipError_tPvRmT3_T4_T5_T6_T7_T9_mT8_P12ihipStream_tbDpT10_ENKUlT_T0_E_clISt17integral_constantIbLb1EES1B_EEDaS16_S17_EUlS16_E_NS1_11comp_targetILNS1_3genE10ELNS1_11target_archE1200ELNS1_3gpuE4ELNS1_3repE0EEENS1_30default_config_static_selectorELNS0_4arch9wavefront6targetE1EEEvT1_
                                        ; -- End function
	.section	.AMDGPU.csdata,"",@progbits
; Kernel info:
; codeLenInByte = 0
; NumSgprs: 6
; NumVgprs: 0
; NumAgprs: 0
; TotalNumVgprs: 0
; ScratchSize: 0
; MemoryBound: 0
; FloatMode: 240
; IeeeMode: 1
; LDSByteSize: 0 bytes/workgroup (compile time only)
; SGPRBlocks: 0
; VGPRBlocks: 0
; NumSGPRsForWavesPerEU: 6
; NumVGPRsForWavesPerEU: 1
; AccumOffset: 4
; Occupancy: 8
; WaveLimiterHint : 0
; COMPUTE_PGM_RSRC2:SCRATCH_EN: 0
; COMPUTE_PGM_RSRC2:USER_SGPR: 2
; COMPUTE_PGM_RSRC2:TRAP_HANDLER: 0
; COMPUTE_PGM_RSRC2:TGID_X_EN: 1
; COMPUTE_PGM_RSRC2:TGID_Y_EN: 0
; COMPUTE_PGM_RSRC2:TGID_Z_EN: 0
; COMPUTE_PGM_RSRC2:TIDIG_COMP_CNT: 0
; COMPUTE_PGM_RSRC3_GFX90A:ACCUM_OFFSET: 0
; COMPUTE_PGM_RSRC3_GFX90A:TG_SPLIT: 0
	.section	.text._ZN7rocprim17ROCPRIM_400000_NS6detail17trampoline_kernelINS0_14default_configENS1_25partition_config_selectorILNS1_17partition_subalgoE1ExNS0_10empty_typeEbEEZZNS1_14partition_implILS5_1ELb0ES3_jN6thrust23THRUST_200600_302600_NS6detail15normal_iteratorINSA_10device_ptrIxEEEEPS6_NSA_18transform_iteratorI7is_evenIxESF_NSA_11use_defaultESK_EENS0_5tupleIJSF_NSA_16discard_iteratorISK_EEEEENSM_IJSG_SG_EEES6_PlJS6_EEE10hipError_tPvRmT3_T4_T5_T6_T7_T9_mT8_P12ihipStream_tbDpT10_ENKUlT_T0_E_clISt17integral_constantIbLb1EES1B_EEDaS16_S17_EUlS16_E_NS1_11comp_targetILNS1_3genE9ELNS1_11target_archE1100ELNS1_3gpuE3ELNS1_3repE0EEENS1_30default_config_static_selectorELNS0_4arch9wavefront6targetE1EEEvT1_,"axG",@progbits,_ZN7rocprim17ROCPRIM_400000_NS6detail17trampoline_kernelINS0_14default_configENS1_25partition_config_selectorILNS1_17partition_subalgoE1ExNS0_10empty_typeEbEEZZNS1_14partition_implILS5_1ELb0ES3_jN6thrust23THRUST_200600_302600_NS6detail15normal_iteratorINSA_10device_ptrIxEEEEPS6_NSA_18transform_iteratorI7is_evenIxESF_NSA_11use_defaultESK_EENS0_5tupleIJSF_NSA_16discard_iteratorISK_EEEEENSM_IJSG_SG_EEES6_PlJS6_EEE10hipError_tPvRmT3_T4_T5_T6_T7_T9_mT8_P12ihipStream_tbDpT10_ENKUlT_T0_E_clISt17integral_constantIbLb1EES1B_EEDaS16_S17_EUlS16_E_NS1_11comp_targetILNS1_3genE9ELNS1_11target_archE1100ELNS1_3gpuE3ELNS1_3repE0EEENS1_30default_config_static_selectorELNS0_4arch9wavefront6targetE1EEEvT1_,comdat
	.protected	_ZN7rocprim17ROCPRIM_400000_NS6detail17trampoline_kernelINS0_14default_configENS1_25partition_config_selectorILNS1_17partition_subalgoE1ExNS0_10empty_typeEbEEZZNS1_14partition_implILS5_1ELb0ES3_jN6thrust23THRUST_200600_302600_NS6detail15normal_iteratorINSA_10device_ptrIxEEEEPS6_NSA_18transform_iteratorI7is_evenIxESF_NSA_11use_defaultESK_EENS0_5tupleIJSF_NSA_16discard_iteratorISK_EEEEENSM_IJSG_SG_EEES6_PlJS6_EEE10hipError_tPvRmT3_T4_T5_T6_T7_T9_mT8_P12ihipStream_tbDpT10_ENKUlT_T0_E_clISt17integral_constantIbLb1EES1B_EEDaS16_S17_EUlS16_E_NS1_11comp_targetILNS1_3genE9ELNS1_11target_archE1100ELNS1_3gpuE3ELNS1_3repE0EEENS1_30default_config_static_selectorELNS0_4arch9wavefront6targetE1EEEvT1_ ; -- Begin function _ZN7rocprim17ROCPRIM_400000_NS6detail17trampoline_kernelINS0_14default_configENS1_25partition_config_selectorILNS1_17partition_subalgoE1ExNS0_10empty_typeEbEEZZNS1_14partition_implILS5_1ELb0ES3_jN6thrust23THRUST_200600_302600_NS6detail15normal_iteratorINSA_10device_ptrIxEEEEPS6_NSA_18transform_iteratorI7is_evenIxESF_NSA_11use_defaultESK_EENS0_5tupleIJSF_NSA_16discard_iteratorISK_EEEEENSM_IJSG_SG_EEES6_PlJS6_EEE10hipError_tPvRmT3_T4_T5_T6_T7_T9_mT8_P12ihipStream_tbDpT10_ENKUlT_T0_E_clISt17integral_constantIbLb1EES1B_EEDaS16_S17_EUlS16_E_NS1_11comp_targetILNS1_3genE9ELNS1_11target_archE1100ELNS1_3gpuE3ELNS1_3repE0EEENS1_30default_config_static_selectorELNS0_4arch9wavefront6targetE1EEEvT1_
	.globl	_ZN7rocprim17ROCPRIM_400000_NS6detail17trampoline_kernelINS0_14default_configENS1_25partition_config_selectorILNS1_17partition_subalgoE1ExNS0_10empty_typeEbEEZZNS1_14partition_implILS5_1ELb0ES3_jN6thrust23THRUST_200600_302600_NS6detail15normal_iteratorINSA_10device_ptrIxEEEEPS6_NSA_18transform_iteratorI7is_evenIxESF_NSA_11use_defaultESK_EENS0_5tupleIJSF_NSA_16discard_iteratorISK_EEEEENSM_IJSG_SG_EEES6_PlJS6_EEE10hipError_tPvRmT3_T4_T5_T6_T7_T9_mT8_P12ihipStream_tbDpT10_ENKUlT_T0_E_clISt17integral_constantIbLb1EES1B_EEDaS16_S17_EUlS16_E_NS1_11comp_targetILNS1_3genE9ELNS1_11target_archE1100ELNS1_3gpuE3ELNS1_3repE0EEENS1_30default_config_static_selectorELNS0_4arch9wavefront6targetE1EEEvT1_
	.p2align	8
	.type	_ZN7rocprim17ROCPRIM_400000_NS6detail17trampoline_kernelINS0_14default_configENS1_25partition_config_selectorILNS1_17partition_subalgoE1ExNS0_10empty_typeEbEEZZNS1_14partition_implILS5_1ELb0ES3_jN6thrust23THRUST_200600_302600_NS6detail15normal_iteratorINSA_10device_ptrIxEEEEPS6_NSA_18transform_iteratorI7is_evenIxESF_NSA_11use_defaultESK_EENS0_5tupleIJSF_NSA_16discard_iteratorISK_EEEEENSM_IJSG_SG_EEES6_PlJS6_EEE10hipError_tPvRmT3_T4_T5_T6_T7_T9_mT8_P12ihipStream_tbDpT10_ENKUlT_T0_E_clISt17integral_constantIbLb1EES1B_EEDaS16_S17_EUlS16_E_NS1_11comp_targetILNS1_3genE9ELNS1_11target_archE1100ELNS1_3gpuE3ELNS1_3repE0EEENS1_30default_config_static_selectorELNS0_4arch9wavefront6targetE1EEEvT1_,@function
_ZN7rocprim17ROCPRIM_400000_NS6detail17trampoline_kernelINS0_14default_configENS1_25partition_config_selectorILNS1_17partition_subalgoE1ExNS0_10empty_typeEbEEZZNS1_14partition_implILS5_1ELb0ES3_jN6thrust23THRUST_200600_302600_NS6detail15normal_iteratorINSA_10device_ptrIxEEEEPS6_NSA_18transform_iteratorI7is_evenIxESF_NSA_11use_defaultESK_EENS0_5tupleIJSF_NSA_16discard_iteratorISK_EEEEENSM_IJSG_SG_EEES6_PlJS6_EEE10hipError_tPvRmT3_T4_T5_T6_T7_T9_mT8_P12ihipStream_tbDpT10_ENKUlT_T0_E_clISt17integral_constantIbLb1EES1B_EEDaS16_S17_EUlS16_E_NS1_11comp_targetILNS1_3genE9ELNS1_11target_archE1100ELNS1_3gpuE3ELNS1_3repE0EEENS1_30default_config_static_selectorELNS0_4arch9wavefront6targetE1EEEvT1_: ; @_ZN7rocprim17ROCPRIM_400000_NS6detail17trampoline_kernelINS0_14default_configENS1_25partition_config_selectorILNS1_17partition_subalgoE1ExNS0_10empty_typeEbEEZZNS1_14partition_implILS5_1ELb0ES3_jN6thrust23THRUST_200600_302600_NS6detail15normal_iteratorINSA_10device_ptrIxEEEEPS6_NSA_18transform_iteratorI7is_evenIxESF_NSA_11use_defaultESK_EENS0_5tupleIJSF_NSA_16discard_iteratorISK_EEEEENSM_IJSG_SG_EEES6_PlJS6_EEE10hipError_tPvRmT3_T4_T5_T6_T7_T9_mT8_P12ihipStream_tbDpT10_ENKUlT_T0_E_clISt17integral_constantIbLb1EES1B_EEDaS16_S17_EUlS16_E_NS1_11comp_targetILNS1_3genE9ELNS1_11target_archE1100ELNS1_3gpuE3ELNS1_3repE0EEENS1_30default_config_static_selectorELNS0_4arch9wavefront6targetE1EEEvT1_
; %bb.0:
	.section	.rodata,"a",@progbits
	.p2align	6, 0x0
	.amdhsa_kernel _ZN7rocprim17ROCPRIM_400000_NS6detail17trampoline_kernelINS0_14default_configENS1_25partition_config_selectorILNS1_17partition_subalgoE1ExNS0_10empty_typeEbEEZZNS1_14partition_implILS5_1ELb0ES3_jN6thrust23THRUST_200600_302600_NS6detail15normal_iteratorINSA_10device_ptrIxEEEEPS6_NSA_18transform_iteratorI7is_evenIxESF_NSA_11use_defaultESK_EENS0_5tupleIJSF_NSA_16discard_iteratorISK_EEEEENSM_IJSG_SG_EEES6_PlJS6_EEE10hipError_tPvRmT3_T4_T5_T6_T7_T9_mT8_P12ihipStream_tbDpT10_ENKUlT_T0_E_clISt17integral_constantIbLb1EES1B_EEDaS16_S17_EUlS16_E_NS1_11comp_targetILNS1_3genE9ELNS1_11target_archE1100ELNS1_3gpuE3ELNS1_3repE0EEENS1_30default_config_static_selectorELNS0_4arch9wavefront6targetE1EEEvT1_
		.amdhsa_group_segment_fixed_size 0
		.amdhsa_private_segment_fixed_size 0
		.amdhsa_kernarg_size 152
		.amdhsa_user_sgpr_count 2
		.amdhsa_user_sgpr_dispatch_ptr 0
		.amdhsa_user_sgpr_queue_ptr 0
		.amdhsa_user_sgpr_kernarg_segment_ptr 1
		.amdhsa_user_sgpr_dispatch_id 0
		.amdhsa_user_sgpr_kernarg_preload_length 0
		.amdhsa_user_sgpr_kernarg_preload_offset 0
		.amdhsa_user_sgpr_private_segment_size 0
		.amdhsa_uses_dynamic_stack 0
		.amdhsa_enable_private_segment 0
		.amdhsa_system_sgpr_workgroup_id_x 1
		.amdhsa_system_sgpr_workgroup_id_y 0
		.amdhsa_system_sgpr_workgroup_id_z 0
		.amdhsa_system_sgpr_workgroup_info 0
		.amdhsa_system_vgpr_workitem_id 0
		.amdhsa_next_free_vgpr 1
		.amdhsa_next_free_sgpr 0
		.amdhsa_accum_offset 4
		.amdhsa_reserve_vcc 0
		.amdhsa_float_round_mode_32 0
		.amdhsa_float_round_mode_16_64 0
		.amdhsa_float_denorm_mode_32 3
		.amdhsa_float_denorm_mode_16_64 3
		.amdhsa_dx10_clamp 1
		.amdhsa_ieee_mode 1
		.amdhsa_fp16_overflow 0
		.amdhsa_tg_split 0
		.amdhsa_exception_fp_ieee_invalid_op 0
		.amdhsa_exception_fp_denorm_src 0
		.amdhsa_exception_fp_ieee_div_zero 0
		.amdhsa_exception_fp_ieee_overflow 0
		.amdhsa_exception_fp_ieee_underflow 0
		.amdhsa_exception_fp_ieee_inexact 0
		.amdhsa_exception_int_div_zero 0
	.end_amdhsa_kernel
	.section	.text._ZN7rocprim17ROCPRIM_400000_NS6detail17trampoline_kernelINS0_14default_configENS1_25partition_config_selectorILNS1_17partition_subalgoE1ExNS0_10empty_typeEbEEZZNS1_14partition_implILS5_1ELb0ES3_jN6thrust23THRUST_200600_302600_NS6detail15normal_iteratorINSA_10device_ptrIxEEEEPS6_NSA_18transform_iteratorI7is_evenIxESF_NSA_11use_defaultESK_EENS0_5tupleIJSF_NSA_16discard_iteratorISK_EEEEENSM_IJSG_SG_EEES6_PlJS6_EEE10hipError_tPvRmT3_T4_T5_T6_T7_T9_mT8_P12ihipStream_tbDpT10_ENKUlT_T0_E_clISt17integral_constantIbLb1EES1B_EEDaS16_S17_EUlS16_E_NS1_11comp_targetILNS1_3genE9ELNS1_11target_archE1100ELNS1_3gpuE3ELNS1_3repE0EEENS1_30default_config_static_selectorELNS0_4arch9wavefront6targetE1EEEvT1_,"axG",@progbits,_ZN7rocprim17ROCPRIM_400000_NS6detail17trampoline_kernelINS0_14default_configENS1_25partition_config_selectorILNS1_17partition_subalgoE1ExNS0_10empty_typeEbEEZZNS1_14partition_implILS5_1ELb0ES3_jN6thrust23THRUST_200600_302600_NS6detail15normal_iteratorINSA_10device_ptrIxEEEEPS6_NSA_18transform_iteratorI7is_evenIxESF_NSA_11use_defaultESK_EENS0_5tupleIJSF_NSA_16discard_iteratorISK_EEEEENSM_IJSG_SG_EEES6_PlJS6_EEE10hipError_tPvRmT3_T4_T5_T6_T7_T9_mT8_P12ihipStream_tbDpT10_ENKUlT_T0_E_clISt17integral_constantIbLb1EES1B_EEDaS16_S17_EUlS16_E_NS1_11comp_targetILNS1_3genE9ELNS1_11target_archE1100ELNS1_3gpuE3ELNS1_3repE0EEENS1_30default_config_static_selectorELNS0_4arch9wavefront6targetE1EEEvT1_,comdat
.Lfunc_end3209:
	.size	_ZN7rocprim17ROCPRIM_400000_NS6detail17trampoline_kernelINS0_14default_configENS1_25partition_config_selectorILNS1_17partition_subalgoE1ExNS0_10empty_typeEbEEZZNS1_14partition_implILS5_1ELb0ES3_jN6thrust23THRUST_200600_302600_NS6detail15normal_iteratorINSA_10device_ptrIxEEEEPS6_NSA_18transform_iteratorI7is_evenIxESF_NSA_11use_defaultESK_EENS0_5tupleIJSF_NSA_16discard_iteratorISK_EEEEENSM_IJSG_SG_EEES6_PlJS6_EEE10hipError_tPvRmT3_T4_T5_T6_T7_T9_mT8_P12ihipStream_tbDpT10_ENKUlT_T0_E_clISt17integral_constantIbLb1EES1B_EEDaS16_S17_EUlS16_E_NS1_11comp_targetILNS1_3genE9ELNS1_11target_archE1100ELNS1_3gpuE3ELNS1_3repE0EEENS1_30default_config_static_selectorELNS0_4arch9wavefront6targetE1EEEvT1_, .Lfunc_end3209-_ZN7rocprim17ROCPRIM_400000_NS6detail17trampoline_kernelINS0_14default_configENS1_25partition_config_selectorILNS1_17partition_subalgoE1ExNS0_10empty_typeEbEEZZNS1_14partition_implILS5_1ELb0ES3_jN6thrust23THRUST_200600_302600_NS6detail15normal_iteratorINSA_10device_ptrIxEEEEPS6_NSA_18transform_iteratorI7is_evenIxESF_NSA_11use_defaultESK_EENS0_5tupleIJSF_NSA_16discard_iteratorISK_EEEEENSM_IJSG_SG_EEES6_PlJS6_EEE10hipError_tPvRmT3_T4_T5_T6_T7_T9_mT8_P12ihipStream_tbDpT10_ENKUlT_T0_E_clISt17integral_constantIbLb1EES1B_EEDaS16_S17_EUlS16_E_NS1_11comp_targetILNS1_3genE9ELNS1_11target_archE1100ELNS1_3gpuE3ELNS1_3repE0EEENS1_30default_config_static_selectorELNS0_4arch9wavefront6targetE1EEEvT1_
                                        ; -- End function
	.section	.AMDGPU.csdata,"",@progbits
; Kernel info:
; codeLenInByte = 0
; NumSgprs: 6
; NumVgprs: 0
; NumAgprs: 0
; TotalNumVgprs: 0
; ScratchSize: 0
; MemoryBound: 0
; FloatMode: 240
; IeeeMode: 1
; LDSByteSize: 0 bytes/workgroup (compile time only)
; SGPRBlocks: 0
; VGPRBlocks: 0
; NumSGPRsForWavesPerEU: 6
; NumVGPRsForWavesPerEU: 1
; AccumOffset: 4
; Occupancy: 8
; WaveLimiterHint : 0
; COMPUTE_PGM_RSRC2:SCRATCH_EN: 0
; COMPUTE_PGM_RSRC2:USER_SGPR: 2
; COMPUTE_PGM_RSRC2:TRAP_HANDLER: 0
; COMPUTE_PGM_RSRC2:TGID_X_EN: 1
; COMPUTE_PGM_RSRC2:TGID_Y_EN: 0
; COMPUTE_PGM_RSRC2:TGID_Z_EN: 0
; COMPUTE_PGM_RSRC2:TIDIG_COMP_CNT: 0
; COMPUTE_PGM_RSRC3_GFX90A:ACCUM_OFFSET: 0
; COMPUTE_PGM_RSRC3_GFX90A:TG_SPLIT: 0
	.section	.text._ZN7rocprim17ROCPRIM_400000_NS6detail17trampoline_kernelINS0_14default_configENS1_25partition_config_selectorILNS1_17partition_subalgoE1ExNS0_10empty_typeEbEEZZNS1_14partition_implILS5_1ELb0ES3_jN6thrust23THRUST_200600_302600_NS6detail15normal_iteratorINSA_10device_ptrIxEEEEPS6_NSA_18transform_iteratorI7is_evenIxESF_NSA_11use_defaultESK_EENS0_5tupleIJSF_NSA_16discard_iteratorISK_EEEEENSM_IJSG_SG_EEES6_PlJS6_EEE10hipError_tPvRmT3_T4_T5_T6_T7_T9_mT8_P12ihipStream_tbDpT10_ENKUlT_T0_E_clISt17integral_constantIbLb1EES1B_EEDaS16_S17_EUlS16_E_NS1_11comp_targetILNS1_3genE8ELNS1_11target_archE1030ELNS1_3gpuE2ELNS1_3repE0EEENS1_30default_config_static_selectorELNS0_4arch9wavefront6targetE1EEEvT1_,"axG",@progbits,_ZN7rocprim17ROCPRIM_400000_NS6detail17trampoline_kernelINS0_14default_configENS1_25partition_config_selectorILNS1_17partition_subalgoE1ExNS0_10empty_typeEbEEZZNS1_14partition_implILS5_1ELb0ES3_jN6thrust23THRUST_200600_302600_NS6detail15normal_iteratorINSA_10device_ptrIxEEEEPS6_NSA_18transform_iteratorI7is_evenIxESF_NSA_11use_defaultESK_EENS0_5tupleIJSF_NSA_16discard_iteratorISK_EEEEENSM_IJSG_SG_EEES6_PlJS6_EEE10hipError_tPvRmT3_T4_T5_T6_T7_T9_mT8_P12ihipStream_tbDpT10_ENKUlT_T0_E_clISt17integral_constantIbLb1EES1B_EEDaS16_S17_EUlS16_E_NS1_11comp_targetILNS1_3genE8ELNS1_11target_archE1030ELNS1_3gpuE2ELNS1_3repE0EEENS1_30default_config_static_selectorELNS0_4arch9wavefront6targetE1EEEvT1_,comdat
	.protected	_ZN7rocprim17ROCPRIM_400000_NS6detail17trampoline_kernelINS0_14default_configENS1_25partition_config_selectorILNS1_17partition_subalgoE1ExNS0_10empty_typeEbEEZZNS1_14partition_implILS5_1ELb0ES3_jN6thrust23THRUST_200600_302600_NS6detail15normal_iteratorINSA_10device_ptrIxEEEEPS6_NSA_18transform_iteratorI7is_evenIxESF_NSA_11use_defaultESK_EENS0_5tupleIJSF_NSA_16discard_iteratorISK_EEEEENSM_IJSG_SG_EEES6_PlJS6_EEE10hipError_tPvRmT3_T4_T5_T6_T7_T9_mT8_P12ihipStream_tbDpT10_ENKUlT_T0_E_clISt17integral_constantIbLb1EES1B_EEDaS16_S17_EUlS16_E_NS1_11comp_targetILNS1_3genE8ELNS1_11target_archE1030ELNS1_3gpuE2ELNS1_3repE0EEENS1_30default_config_static_selectorELNS0_4arch9wavefront6targetE1EEEvT1_ ; -- Begin function _ZN7rocprim17ROCPRIM_400000_NS6detail17trampoline_kernelINS0_14default_configENS1_25partition_config_selectorILNS1_17partition_subalgoE1ExNS0_10empty_typeEbEEZZNS1_14partition_implILS5_1ELb0ES3_jN6thrust23THRUST_200600_302600_NS6detail15normal_iteratorINSA_10device_ptrIxEEEEPS6_NSA_18transform_iteratorI7is_evenIxESF_NSA_11use_defaultESK_EENS0_5tupleIJSF_NSA_16discard_iteratorISK_EEEEENSM_IJSG_SG_EEES6_PlJS6_EEE10hipError_tPvRmT3_T4_T5_T6_T7_T9_mT8_P12ihipStream_tbDpT10_ENKUlT_T0_E_clISt17integral_constantIbLb1EES1B_EEDaS16_S17_EUlS16_E_NS1_11comp_targetILNS1_3genE8ELNS1_11target_archE1030ELNS1_3gpuE2ELNS1_3repE0EEENS1_30default_config_static_selectorELNS0_4arch9wavefront6targetE1EEEvT1_
	.globl	_ZN7rocprim17ROCPRIM_400000_NS6detail17trampoline_kernelINS0_14default_configENS1_25partition_config_selectorILNS1_17partition_subalgoE1ExNS0_10empty_typeEbEEZZNS1_14partition_implILS5_1ELb0ES3_jN6thrust23THRUST_200600_302600_NS6detail15normal_iteratorINSA_10device_ptrIxEEEEPS6_NSA_18transform_iteratorI7is_evenIxESF_NSA_11use_defaultESK_EENS0_5tupleIJSF_NSA_16discard_iteratorISK_EEEEENSM_IJSG_SG_EEES6_PlJS6_EEE10hipError_tPvRmT3_T4_T5_T6_T7_T9_mT8_P12ihipStream_tbDpT10_ENKUlT_T0_E_clISt17integral_constantIbLb1EES1B_EEDaS16_S17_EUlS16_E_NS1_11comp_targetILNS1_3genE8ELNS1_11target_archE1030ELNS1_3gpuE2ELNS1_3repE0EEENS1_30default_config_static_selectorELNS0_4arch9wavefront6targetE1EEEvT1_
	.p2align	8
	.type	_ZN7rocprim17ROCPRIM_400000_NS6detail17trampoline_kernelINS0_14default_configENS1_25partition_config_selectorILNS1_17partition_subalgoE1ExNS0_10empty_typeEbEEZZNS1_14partition_implILS5_1ELb0ES3_jN6thrust23THRUST_200600_302600_NS6detail15normal_iteratorINSA_10device_ptrIxEEEEPS6_NSA_18transform_iteratorI7is_evenIxESF_NSA_11use_defaultESK_EENS0_5tupleIJSF_NSA_16discard_iteratorISK_EEEEENSM_IJSG_SG_EEES6_PlJS6_EEE10hipError_tPvRmT3_T4_T5_T6_T7_T9_mT8_P12ihipStream_tbDpT10_ENKUlT_T0_E_clISt17integral_constantIbLb1EES1B_EEDaS16_S17_EUlS16_E_NS1_11comp_targetILNS1_3genE8ELNS1_11target_archE1030ELNS1_3gpuE2ELNS1_3repE0EEENS1_30default_config_static_selectorELNS0_4arch9wavefront6targetE1EEEvT1_,@function
_ZN7rocprim17ROCPRIM_400000_NS6detail17trampoline_kernelINS0_14default_configENS1_25partition_config_selectorILNS1_17partition_subalgoE1ExNS0_10empty_typeEbEEZZNS1_14partition_implILS5_1ELb0ES3_jN6thrust23THRUST_200600_302600_NS6detail15normal_iteratorINSA_10device_ptrIxEEEEPS6_NSA_18transform_iteratorI7is_evenIxESF_NSA_11use_defaultESK_EENS0_5tupleIJSF_NSA_16discard_iteratorISK_EEEEENSM_IJSG_SG_EEES6_PlJS6_EEE10hipError_tPvRmT3_T4_T5_T6_T7_T9_mT8_P12ihipStream_tbDpT10_ENKUlT_T0_E_clISt17integral_constantIbLb1EES1B_EEDaS16_S17_EUlS16_E_NS1_11comp_targetILNS1_3genE8ELNS1_11target_archE1030ELNS1_3gpuE2ELNS1_3repE0EEENS1_30default_config_static_selectorELNS0_4arch9wavefront6targetE1EEEvT1_: ; @_ZN7rocprim17ROCPRIM_400000_NS6detail17trampoline_kernelINS0_14default_configENS1_25partition_config_selectorILNS1_17partition_subalgoE1ExNS0_10empty_typeEbEEZZNS1_14partition_implILS5_1ELb0ES3_jN6thrust23THRUST_200600_302600_NS6detail15normal_iteratorINSA_10device_ptrIxEEEEPS6_NSA_18transform_iteratorI7is_evenIxESF_NSA_11use_defaultESK_EENS0_5tupleIJSF_NSA_16discard_iteratorISK_EEEEENSM_IJSG_SG_EEES6_PlJS6_EEE10hipError_tPvRmT3_T4_T5_T6_T7_T9_mT8_P12ihipStream_tbDpT10_ENKUlT_T0_E_clISt17integral_constantIbLb1EES1B_EEDaS16_S17_EUlS16_E_NS1_11comp_targetILNS1_3genE8ELNS1_11target_archE1030ELNS1_3gpuE2ELNS1_3repE0EEENS1_30default_config_static_selectorELNS0_4arch9wavefront6targetE1EEEvT1_
; %bb.0:
	.section	.rodata,"a",@progbits
	.p2align	6, 0x0
	.amdhsa_kernel _ZN7rocprim17ROCPRIM_400000_NS6detail17trampoline_kernelINS0_14default_configENS1_25partition_config_selectorILNS1_17partition_subalgoE1ExNS0_10empty_typeEbEEZZNS1_14partition_implILS5_1ELb0ES3_jN6thrust23THRUST_200600_302600_NS6detail15normal_iteratorINSA_10device_ptrIxEEEEPS6_NSA_18transform_iteratorI7is_evenIxESF_NSA_11use_defaultESK_EENS0_5tupleIJSF_NSA_16discard_iteratorISK_EEEEENSM_IJSG_SG_EEES6_PlJS6_EEE10hipError_tPvRmT3_T4_T5_T6_T7_T9_mT8_P12ihipStream_tbDpT10_ENKUlT_T0_E_clISt17integral_constantIbLb1EES1B_EEDaS16_S17_EUlS16_E_NS1_11comp_targetILNS1_3genE8ELNS1_11target_archE1030ELNS1_3gpuE2ELNS1_3repE0EEENS1_30default_config_static_selectorELNS0_4arch9wavefront6targetE1EEEvT1_
		.amdhsa_group_segment_fixed_size 0
		.amdhsa_private_segment_fixed_size 0
		.amdhsa_kernarg_size 152
		.amdhsa_user_sgpr_count 2
		.amdhsa_user_sgpr_dispatch_ptr 0
		.amdhsa_user_sgpr_queue_ptr 0
		.amdhsa_user_sgpr_kernarg_segment_ptr 1
		.amdhsa_user_sgpr_dispatch_id 0
		.amdhsa_user_sgpr_kernarg_preload_length 0
		.amdhsa_user_sgpr_kernarg_preload_offset 0
		.amdhsa_user_sgpr_private_segment_size 0
		.amdhsa_uses_dynamic_stack 0
		.amdhsa_enable_private_segment 0
		.amdhsa_system_sgpr_workgroup_id_x 1
		.amdhsa_system_sgpr_workgroup_id_y 0
		.amdhsa_system_sgpr_workgroup_id_z 0
		.amdhsa_system_sgpr_workgroup_info 0
		.amdhsa_system_vgpr_workitem_id 0
		.amdhsa_next_free_vgpr 1
		.amdhsa_next_free_sgpr 0
		.amdhsa_accum_offset 4
		.amdhsa_reserve_vcc 0
		.amdhsa_float_round_mode_32 0
		.amdhsa_float_round_mode_16_64 0
		.amdhsa_float_denorm_mode_32 3
		.amdhsa_float_denorm_mode_16_64 3
		.amdhsa_dx10_clamp 1
		.amdhsa_ieee_mode 1
		.amdhsa_fp16_overflow 0
		.amdhsa_tg_split 0
		.amdhsa_exception_fp_ieee_invalid_op 0
		.amdhsa_exception_fp_denorm_src 0
		.amdhsa_exception_fp_ieee_div_zero 0
		.amdhsa_exception_fp_ieee_overflow 0
		.amdhsa_exception_fp_ieee_underflow 0
		.amdhsa_exception_fp_ieee_inexact 0
		.amdhsa_exception_int_div_zero 0
	.end_amdhsa_kernel
	.section	.text._ZN7rocprim17ROCPRIM_400000_NS6detail17trampoline_kernelINS0_14default_configENS1_25partition_config_selectorILNS1_17partition_subalgoE1ExNS0_10empty_typeEbEEZZNS1_14partition_implILS5_1ELb0ES3_jN6thrust23THRUST_200600_302600_NS6detail15normal_iteratorINSA_10device_ptrIxEEEEPS6_NSA_18transform_iteratorI7is_evenIxESF_NSA_11use_defaultESK_EENS0_5tupleIJSF_NSA_16discard_iteratorISK_EEEEENSM_IJSG_SG_EEES6_PlJS6_EEE10hipError_tPvRmT3_T4_T5_T6_T7_T9_mT8_P12ihipStream_tbDpT10_ENKUlT_T0_E_clISt17integral_constantIbLb1EES1B_EEDaS16_S17_EUlS16_E_NS1_11comp_targetILNS1_3genE8ELNS1_11target_archE1030ELNS1_3gpuE2ELNS1_3repE0EEENS1_30default_config_static_selectorELNS0_4arch9wavefront6targetE1EEEvT1_,"axG",@progbits,_ZN7rocprim17ROCPRIM_400000_NS6detail17trampoline_kernelINS0_14default_configENS1_25partition_config_selectorILNS1_17partition_subalgoE1ExNS0_10empty_typeEbEEZZNS1_14partition_implILS5_1ELb0ES3_jN6thrust23THRUST_200600_302600_NS6detail15normal_iteratorINSA_10device_ptrIxEEEEPS6_NSA_18transform_iteratorI7is_evenIxESF_NSA_11use_defaultESK_EENS0_5tupleIJSF_NSA_16discard_iteratorISK_EEEEENSM_IJSG_SG_EEES6_PlJS6_EEE10hipError_tPvRmT3_T4_T5_T6_T7_T9_mT8_P12ihipStream_tbDpT10_ENKUlT_T0_E_clISt17integral_constantIbLb1EES1B_EEDaS16_S17_EUlS16_E_NS1_11comp_targetILNS1_3genE8ELNS1_11target_archE1030ELNS1_3gpuE2ELNS1_3repE0EEENS1_30default_config_static_selectorELNS0_4arch9wavefront6targetE1EEEvT1_,comdat
.Lfunc_end3210:
	.size	_ZN7rocprim17ROCPRIM_400000_NS6detail17trampoline_kernelINS0_14default_configENS1_25partition_config_selectorILNS1_17partition_subalgoE1ExNS0_10empty_typeEbEEZZNS1_14partition_implILS5_1ELb0ES3_jN6thrust23THRUST_200600_302600_NS6detail15normal_iteratorINSA_10device_ptrIxEEEEPS6_NSA_18transform_iteratorI7is_evenIxESF_NSA_11use_defaultESK_EENS0_5tupleIJSF_NSA_16discard_iteratorISK_EEEEENSM_IJSG_SG_EEES6_PlJS6_EEE10hipError_tPvRmT3_T4_T5_T6_T7_T9_mT8_P12ihipStream_tbDpT10_ENKUlT_T0_E_clISt17integral_constantIbLb1EES1B_EEDaS16_S17_EUlS16_E_NS1_11comp_targetILNS1_3genE8ELNS1_11target_archE1030ELNS1_3gpuE2ELNS1_3repE0EEENS1_30default_config_static_selectorELNS0_4arch9wavefront6targetE1EEEvT1_, .Lfunc_end3210-_ZN7rocprim17ROCPRIM_400000_NS6detail17trampoline_kernelINS0_14default_configENS1_25partition_config_selectorILNS1_17partition_subalgoE1ExNS0_10empty_typeEbEEZZNS1_14partition_implILS5_1ELb0ES3_jN6thrust23THRUST_200600_302600_NS6detail15normal_iteratorINSA_10device_ptrIxEEEEPS6_NSA_18transform_iteratorI7is_evenIxESF_NSA_11use_defaultESK_EENS0_5tupleIJSF_NSA_16discard_iteratorISK_EEEEENSM_IJSG_SG_EEES6_PlJS6_EEE10hipError_tPvRmT3_T4_T5_T6_T7_T9_mT8_P12ihipStream_tbDpT10_ENKUlT_T0_E_clISt17integral_constantIbLb1EES1B_EEDaS16_S17_EUlS16_E_NS1_11comp_targetILNS1_3genE8ELNS1_11target_archE1030ELNS1_3gpuE2ELNS1_3repE0EEENS1_30default_config_static_selectorELNS0_4arch9wavefront6targetE1EEEvT1_
                                        ; -- End function
	.section	.AMDGPU.csdata,"",@progbits
; Kernel info:
; codeLenInByte = 0
; NumSgprs: 6
; NumVgprs: 0
; NumAgprs: 0
; TotalNumVgprs: 0
; ScratchSize: 0
; MemoryBound: 0
; FloatMode: 240
; IeeeMode: 1
; LDSByteSize: 0 bytes/workgroup (compile time only)
; SGPRBlocks: 0
; VGPRBlocks: 0
; NumSGPRsForWavesPerEU: 6
; NumVGPRsForWavesPerEU: 1
; AccumOffset: 4
; Occupancy: 8
; WaveLimiterHint : 0
; COMPUTE_PGM_RSRC2:SCRATCH_EN: 0
; COMPUTE_PGM_RSRC2:USER_SGPR: 2
; COMPUTE_PGM_RSRC2:TRAP_HANDLER: 0
; COMPUTE_PGM_RSRC2:TGID_X_EN: 1
; COMPUTE_PGM_RSRC2:TGID_Y_EN: 0
; COMPUTE_PGM_RSRC2:TGID_Z_EN: 0
; COMPUTE_PGM_RSRC2:TIDIG_COMP_CNT: 0
; COMPUTE_PGM_RSRC3_GFX90A:ACCUM_OFFSET: 0
; COMPUTE_PGM_RSRC3_GFX90A:TG_SPLIT: 0
	.section	.text._ZN7rocprim17ROCPRIM_400000_NS6detail17trampoline_kernelINS0_14default_configENS1_25partition_config_selectorILNS1_17partition_subalgoE1ExNS0_10empty_typeEbEEZZNS1_14partition_implILS5_1ELb0ES3_jN6thrust23THRUST_200600_302600_NS6detail15normal_iteratorINSA_10device_ptrIxEEEEPS6_NSA_18transform_iteratorI7is_evenIxESF_NSA_11use_defaultESK_EENS0_5tupleIJSF_NSA_16discard_iteratorISK_EEEEENSM_IJSG_SG_EEES6_PlJS6_EEE10hipError_tPvRmT3_T4_T5_T6_T7_T9_mT8_P12ihipStream_tbDpT10_ENKUlT_T0_E_clISt17integral_constantIbLb1EES1A_IbLb0EEEEDaS16_S17_EUlS16_E_NS1_11comp_targetILNS1_3genE0ELNS1_11target_archE4294967295ELNS1_3gpuE0ELNS1_3repE0EEENS1_30default_config_static_selectorELNS0_4arch9wavefront6targetE1EEEvT1_,"axG",@progbits,_ZN7rocprim17ROCPRIM_400000_NS6detail17trampoline_kernelINS0_14default_configENS1_25partition_config_selectorILNS1_17partition_subalgoE1ExNS0_10empty_typeEbEEZZNS1_14partition_implILS5_1ELb0ES3_jN6thrust23THRUST_200600_302600_NS6detail15normal_iteratorINSA_10device_ptrIxEEEEPS6_NSA_18transform_iteratorI7is_evenIxESF_NSA_11use_defaultESK_EENS0_5tupleIJSF_NSA_16discard_iteratorISK_EEEEENSM_IJSG_SG_EEES6_PlJS6_EEE10hipError_tPvRmT3_T4_T5_T6_T7_T9_mT8_P12ihipStream_tbDpT10_ENKUlT_T0_E_clISt17integral_constantIbLb1EES1A_IbLb0EEEEDaS16_S17_EUlS16_E_NS1_11comp_targetILNS1_3genE0ELNS1_11target_archE4294967295ELNS1_3gpuE0ELNS1_3repE0EEENS1_30default_config_static_selectorELNS0_4arch9wavefront6targetE1EEEvT1_,comdat
	.protected	_ZN7rocprim17ROCPRIM_400000_NS6detail17trampoline_kernelINS0_14default_configENS1_25partition_config_selectorILNS1_17partition_subalgoE1ExNS0_10empty_typeEbEEZZNS1_14partition_implILS5_1ELb0ES3_jN6thrust23THRUST_200600_302600_NS6detail15normal_iteratorINSA_10device_ptrIxEEEEPS6_NSA_18transform_iteratorI7is_evenIxESF_NSA_11use_defaultESK_EENS0_5tupleIJSF_NSA_16discard_iteratorISK_EEEEENSM_IJSG_SG_EEES6_PlJS6_EEE10hipError_tPvRmT3_T4_T5_T6_T7_T9_mT8_P12ihipStream_tbDpT10_ENKUlT_T0_E_clISt17integral_constantIbLb1EES1A_IbLb0EEEEDaS16_S17_EUlS16_E_NS1_11comp_targetILNS1_3genE0ELNS1_11target_archE4294967295ELNS1_3gpuE0ELNS1_3repE0EEENS1_30default_config_static_selectorELNS0_4arch9wavefront6targetE1EEEvT1_ ; -- Begin function _ZN7rocprim17ROCPRIM_400000_NS6detail17trampoline_kernelINS0_14default_configENS1_25partition_config_selectorILNS1_17partition_subalgoE1ExNS0_10empty_typeEbEEZZNS1_14partition_implILS5_1ELb0ES3_jN6thrust23THRUST_200600_302600_NS6detail15normal_iteratorINSA_10device_ptrIxEEEEPS6_NSA_18transform_iteratorI7is_evenIxESF_NSA_11use_defaultESK_EENS0_5tupleIJSF_NSA_16discard_iteratorISK_EEEEENSM_IJSG_SG_EEES6_PlJS6_EEE10hipError_tPvRmT3_T4_T5_T6_T7_T9_mT8_P12ihipStream_tbDpT10_ENKUlT_T0_E_clISt17integral_constantIbLb1EES1A_IbLb0EEEEDaS16_S17_EUlS16_E_NS1_11comp_targetILNS1_3genE0ELNS1_11target_archE4294967295ELNS1_3gpuE0ELNS1_3repE0EEENS1_30default_config_static_selectorELNS0_4arch9wavefront6targetE1EEEvT1_
	.globl	_ZN7rocprim17ROCPRIM_400000_NS6detail17trampoline_kernelINS0_14default_configENS1_25partition_config_selectorILNS1_17partition_subalgoE1ExNS0_10empty_typeEbEEZZNS1_14partition_implILS5_1ELb0ES3_jN6thrust23THRUST_200600_302600_NS6detail15normal_iteratorINSA_10device_ptrIxEEEEPS6_NSA_18transform_iteratorI7is_evenIxESF_NSA_11use_defaultESK_EENS0_5tupleIJSF_NSA_16discard_iteratorISK_EEEEENSM_IJSG_SG_EEES6_PlJS6_EEE10hipError_tPvRmT3_T4_T5_T6_T7_T9_mT8_P12ihipStream_tbDpT10_ENKUlT_T0_E_clISt17integral_constantIbLb1EES1A_IbLb0EEEEDaS16_S17_EUlS16_E_NS1_11comp_targetILNS1_3genE0ELNS1_11target_archE4294967295ELNS1_3gpuE0ELNS1_3repE0EEENS1_30default_config_static_selectorELNS0_4arch9wavefront6targetE1EEEvT1_
	.p2align	8
	.type	_ZN7rocprim17ROCPRIM_400000_NS6detail17trampoline_kernelINS0_14default_configENS1_25partition_config_selectorILNS1_17partition_subalgoE1ExNS0_10empty_typeEbEEZZNS1_14partition_implILS5_1ELb0ES3_jN6thrust23THRUST_200600_302600_NS6detail15normal_iteratorINSA_10device_ptrIxEEEEPS6_NSA_18transform_iteratorI7is_evenIxESF_NSA_11use_defaultESK_EENS0_5tupleIJSF_NSA_16discard_iteratorISK_EEEEENSM_IJSG_SG_EEES6_PlJS6_EEE10hipError_tPvRmT3_T4_T5_T6_T7_T9_mT8_P12ihipStream_tbDpT10_ENKUlT_T0_E_clISt17integral_constantIbLb1EES1A_IbLb0EEEEDaS16_S17_EUlS16_E_NS1_11comp_targetILNS1_3genE0ELNS1_11target_archE4294967295ELNS1_3gpuE0ELNS1_3repE0EEENS1_30default_config_static_selectorELNS0_4arch9wavefront6targetE1EEEvT1_,@function
_ZN7rocprim17ROCPRIM_400000_NS6detail17trampoline_kernelINS0_14default_configENS1_25partition_config_selectorILNS1_17partition_subalgoE1ExNS0_10empty_typeEbEEZZNS1_14partition_implILS5_1ELb0ES3_jN6thrust23THRUST_200600_302600_NS6detail15normal_iteratorINSA_10device_ptrIxEEEEPS6_NSA_18transform_iteratorI7is_evenIxESF_NSA_11use_defaultESK_EENS0_5tupleIJSF_NSA_16discard_iteratorISK_EEEEENSM_IJSG_SG_EEES6_PlJS6_EEE10hipError_tPvRmT3_T4_T5_T6_T7_T9_mT8_P12ihipStream_tbDpT10_ENKUlT_T0_E_clISt17integral_constantIbLb1EES1A_IbLb0EEEEDaS16_S17_EUlS16_E_NS1_11comp_targetILNS1_3genE0ELNS1_11target_archE4294967295ELNS1_3gpuE0ELNS1_3repE0EEENS1_30default_config_static_selectorELNS0_4arch9wavefront6targetE1EEEvT1_: ; @_ZN7rocprim17ROCPRIM_400000_NS6detail17trampoline_kernelINS0_14default_configENS1_25partition_config_selectorILNS1_17partition_subalgoE1ExNS0_10empty_typeEbEEZZNS1_14partition_implILS5_1ELb0ES3_jN6thrust23THRUST_200600_302600_NS6detail15normal_iteratorINSA_10device_ptrIxEEEEPS6_NSA_18transform_iteratorI7is_evenIxESF_NSA_11use_defaultESK_EENS0_5tupleIJSF_NSA_16discard_iteratorISK_EEEEENSM_IJSG_SG_EEES6_PlJS6_EEE10hipError_tPvRmT3_T4_T5_T6_T7_T9_mT8_P12ihipStream_tbDpT10_ENKUlT_T0_E_clISt17integral_constantIbLb1EES1A_IbLb0EEEEDaS16_S17_EUlS16_E_NS1_11comp_targetILNS1_3genE0ELNS1_11target_archE4294967295ELNS1_3gpuE0ELNS1_3repE0EEENS1_30default_config_static_selectorELNS0_4arch9wavefront6targetE1EEEvT1_
; %bb.0:
	.section	.rodata,"a",@progbits
	.p2align	6, 0x0
	.amdhsa_kernel _ZN7rocprim17ROCPRIM_400000_NS6detail17trampoline_kernelINS0_14default_configENS1_25partition_config_selectorILNS1_17partition_subalgoE1ExNS0_10empty_typeEbEEZZNS1_14partition_implILS5_1ELb0ES3_jN6thrust23THRUST_200600_302600_NS6detail15normal_iteratorINSA_10device_ptrIxEEEEPS6_NSA_18transform_iteratorI7is_evenIxESF_NSA_11use_defaultESK_EENS0_5tupleIJSF_NSA_16discard_iteratorISK_EEEEENSM_IJSG_SG_EEES6_PlJS6_EEE10hipError_tPvRmT3_T4_T5_T6_T7_T9_mT8_P12ihipStream_tbDpT10_ENKUlT_T0_E_clISt17integral_constantIbLb1EES1A_IbLb0EEEEDaS16_S17_EUlS16_E_NS1_11comp_targetILNS1_3genE0ELNS1_11target_archE4294967295ELNS1_3gpuE0ELNS1_3repE0EEENS1_30default_config_static_selectorELNS0_4arch9wavefront6targetE1EEEvT1_
		.amdhsa_group_segment_fixed_size 0
		.amdhsa_private_segment_fixed_size 0
		.amdhsa_kernarg_size 136
		.amdhsa_user_sgpr_count 2
		.amdhsa_user_sgpr_dispatch_ptr 0
		.amdhsa_user_sgpr_queue_ptr 0
		.amdhsa_user_sgpr_kernarg_segment_ptr 1
		.amdhsa_user_sgpr_dispatch_id 0
		.amdhsa_user_sgpr_kernarg_preload_length 0
		.amdhsa_user_sgpr_kernarg_preload_offset 0
		.amdhsa_user_sgpr_private_segment_size 0
		.amdhsa_uses_dynamic_stack 0
		.amdhsa_enable_private_segment 0
		.amdhsa_system_sgpr_workgroup_id_x 1
		.amdhsa_system_sgpr_workgroup_id_y 0
		.amdhsa_system_sgpr_workgroup_id_z 0
		.amdhsa_system_sgpr_workgroup_info 0
		.amdhsa_system_vgpr_workitem_id 0
		.amdhsa_next_free_vgpr 1
		.amdhsa_next_free_sgpr 0
		.amdhsa_accum_offset 4
		.amdhsa_reserve_vcc 0
		.amdhsa_float_round_mode_32 0
		.amdhsa_float_round_mode_16_64 0
		.amdhsa_float_denorm_mode_32 3
		.amdhsa_float_denorm_mode_16_64 3
		.amdhsa_dx10_clamp 1
		.amdhsa_ieee_mode 1
		.amdhsa_fp16_overflow 0
		.amdhsa_tg_split 0
		.amdhsa_exception_fp_ieee_invalid_op 0
		.amdhsa_exception_fp_denorm_src 0
		.amdhsa_exception_fp_ieee_div_zero 0
		.amdhsa_exception_fp_ieee_overflow 0
		.amdhsa_exception_fp_ieee_underflow 0
		.amdhsa_exception_fp_ieee_inexact 0
		.amdhsa_exception_int_div_zero 0
	.end_amdhsa_kernel
	.section	.text._ZN7rocprim17ROCPRIM_400000_NS6detail17trampoline_kernelINS0_14default_configENS1_25partition_config_selectorILNS1_17partition_subalgoE1ExNS0_10empty_typeEbEEZZNS1_14partition_implILS5_1ELb0ES3_jN6thrust23THRUST_200600_302600_NS6detail15normal_iteratorINSA_10device_ptrIxEEEEPS6_NSA_18transform_iteratorI7is_evenIxESF_NSA_11use_defaultESK_EENS0_5tupleIJSF_NSA_16discard_iteratorISK_EEEEENSM_IJSG_SG_EEES6_PlJS6_EEE10hipError_tPvRmT3_T4_T5_T6_T7_T9_mT8_P12ihipStream_tbDpT10_ENKUlT_T0_E_clISt17integral_constantIbLb1EES1A_IbLb0EEEEDaS16_S17_EUlS16_E_NS1_11comp_targetILNS1_3genE0ELNS1_11target_archE4294967295ELNS1_3gpuE0ELNS1_3repE0EEENS1_30default_config_static_selectorELNS0_4arch9wavefront6targetE1EEEvT1_,"axG",@progbits,_ZN7rocprim17ROCPRIM_400000_NS6detail17trampoline_kernelINS0_14default_configENS1_25partition_config_selectorILNS1_17partition_subalgoE1ExNS0_10empty_typeEbEEZZNS1_14partition_implILS5_1ELb0ES3_jN6thrust23THRUST_200600_302600_NS6detail15normal_iteratorINSA_10device_ptrIxEEEEPS6_NSA_18transform_iteratorI7is_evenIxESF_NSA_11use_defaultESK_EENS0_5tupleIJSF_NSA_16discard_iteratorISK_EEEEENSM_IJSG_SG_EEES6_PlJS6_EEE10hipError_tPvRmT3_T4_T5_T6_T7_T9_mT8_P12ihipStream_tbDpT10_ENKUlT_T0_E_clISt17integral_constantIbLb1EES1A_IbLb0EEEEDaS16_S17_EUlS16_E_NS1_11comp_targetILNS1_3genE0ELNS1_11target_archE4294967295ELNS1_3gpuE0ELNS1_3repE0EEENS1_30default_config_static_selectorELNS0_4arch9wavefront6targetE1EEEvT1_,comdat
.Lfunc_end3211:
	.size	_ZN7rocprim17ROCPRIM_400000_NS6detail17trampoline_kernelINS0_14default_configENS1_25partition_config_selectorILNS1_17partition_subalgoE1ExNS0_10empty_typeEbEEZZNS1_14partition_implILS5_1ELb0ES3_jN6thrust23THRUST_200600_302600_NS6detail15normal_iteratorINSA_10device_ptrIxEEEEPS6_NSA_18transform_iteratorI7is_evenIxESF_NSA_11use_defaultESK_EENS0_5tupleIJSF_NSA_16discard_iteratorISK_EEEEENSM_IJSG_SG_EEES6_PlJS6_EEE10hipError_tPvRmT3_T4_T5_T6_T7_T9_mT8_P12ihipStream_tbDpT10_ENKUlT_T0_E_clISt17integral_constantIbLb1EES1A_IbLb0EEEEDaS16_S17_EUlS16_E_NS1_11comp_targetILNS1_3genE0ELNS1_11target_archE4294967295ELNS1_3gpuE0ELNS1_3repE0EEENS1_30default_config_static_selectorELNS0_4arch9wavefront6targetE1EEEvT1_, .Lfunc_end3211-_ZN7rocprim17ROCPRIM_400000_NS6detail17trampoline_kernelINS0_14default_configENS1_25partition_config_selectorILNS1_17partition_subalgoE1ExNS0_10empty_typeEbEEZZNS1_14partition_implILS5_1ELb0ES3_jN6thrust23THRUST_200600_302600_NS6detail15normal_iteratorINSA_10device_ptrIxEEEEPS6_NSA_18transform_iteratorI7is_evenIxESF_NSA_11use_defaultESK_EENS0_5tupleIJSF_NSA_16discard_iteratorISK_EEEEENSM_IJSG_SG_EEES6_PlJS6_EEE10hipError_tPvRmT3_T4_T5_T6_T7_T9_mT8_P12ihipStream_tbDpT10_ENKUlT_T0_E_clISt17integral_constantIbLb1EES1A_IbLb0EEEEDaS16_S17_EUlS16_E_NS1_11comp_targetILNS1_3genE0ELNS1_11target_archE4294967295ELNS1_3gpuE0ELNS1_3repE0EEENS1_30default_config_static_selectorELNS0_4arch9wavefront6targetE1EEEvT1_
                                        ; -- End function
	.section	.AMDGPU.csdata,"",@progbits
; Kernel info:
; codeLenInByte = 0
; NumSgprs: 6
; NumVgprs: 0
; NumAgprs: 0
; TotalNumVgprs: 0
; ScratchSize: 0
; MemoryBound: 0
; FloatMode: 240
; IeeeMode: 1
; LDSByteSize: 0 bytes/workgroup (compile time only)
; SGPRBlocks: 0
; VGPRBlocks: 0
; NumSGPRsForWavesPerEU: 6
; NumVGPRsForWavesPerEU: 1
; AccumOffset: 4
; Occupancy: 8
; WaveLimiterHint : 0
; COMPUTE_PGM_RSRC2:SCRATCH_EN: 0
; COMPUTE_PGM_RSRC2:USER_SGPR: 2
; COMPUTE_PGM_RSRC2:TRAP_HANDLER: 0
; COMPUTE_PGM_RSRC2:TGID_X_EN: 1
; COMPUTE_PGM_RSRC2:TGID_Y_EN: 0
; COMPUTE_PGM_RSRC2:TGID_Z_EN: 0
; COMPUTE_PGM_RSRC2:TIDIG_COMP_CNT: 0
; COMPUTE_PGM_RSRC3_GFX90A:ACCUM_OFFSET: 0
; COMPUTE_PGM_RSRC3_GFX90A:TG_SPLIT: 0
	.section	.text._ZN7rocprim17ROCPRIM_400000_NS6detail17trampoline_kernelINS0_14default_configENS1_25partition_config_selectorILNS1_17partition_subalgoE1ExNS0_10empty_typeEbEEZZNS1_14partition_implILS5_1ELb0ES3_jN6thrust23THRUST_200600_302600_NS6detail15normal_iteratorINSA_10device_ptrIxEEEEPS6_NSA_18transform_iteratorI7is_evenIxESF_NSA_11use_defaultESK_EENS0_5tupleIJSF_NSA_16discard_iteratorISK_EEEEENSM_IJSG_SG_EEES6_PlJS6_EEE10hipError_tPvRmT3_T4_T5_T6_T7_T9_mT8_P12ihipStream_tbDpT10_ENKUlT_T0_E_clISt17integral_constantIbLb1EES1A_IbLb0EEEEDaS16_S17_EUlS16_E_NS1_11comp_targetILNS1_3genE5ELNS1_11target_archE942ELNS1_3gpuE9ELNS1_3repE0EEENS1_30default_config_static_selectorELNS0_4arch9wavefront6targetE1EEEvT1_,"axG",@progbits,_ZN7rocprim17ROCPRIM_400000_NS6detail17trampoline_kernelINS0_14default_configENS1_25partition_config_selectorILNS1_17partition_subalgoE1ExNS0_10empty_typeEbEEZZNS1_14partition_implILS5_1ELb0ES3_jN6thrust23THRUST_200600_302600_NS6detail15normal_iteratorINSA_10device_ptrIxEEEEPS6_NSA_18transform_iteratorI7is_evenIxESF_NSA_11use_defaultESK_EENS0_5tupleIJSF_NSA_16discard_iteratorISK_EEEEENSM_IJSG_SG_EEES6_PlJS6_EEE10hipError_tPvRmT3_T4_T5_T6_T7_T9_mT8_P12ihipStream_tbDpT10_ENKUlT_T0_E_clISt17integral_constantIbLb1EES1A_IbLb0EEEEDaS16_S17_EUlS16_E_NS1_11comp_targetILNS1_3genE5ELNS1_11target_archE942ELNS1_3gpuE9ELNS1_3repE0EEENS1_30default_config_static_selectorELNS0_4arch9wavefront6targetE1EEEvT1_,comdat
	.protected	_ZN7rocprim17ROCPRIM_400000_NS6detail17trampoline_kernelINS0_14default_configENS1_25partition_config_selectorILNS1_17partition_subalgoE1ExNS0_10empty_typeEbEEZZNS1_14partition_implILS5_1ELb0ES3_jN6thrust23THRUST_200600_302600_NS6detail15normal_iteratorINSA_10device_ptrIxEEEEPS6_NSA_18transform_iteratorI7is_evenIxESF_NSA_11use_defaultESK_EENS0_5tupleIJSF_NSA_16discard_iteratorISK_EEEEENSM_IJSG_SG_EEES6_PlJS6_EEE10hipError_tPvRmT3_T4_T5_T6_T7_T9_mT8_P12ihipStream_tbDpT10_ENKUlT_T0_E_clISt17integral_constantIbLb1EES1A_IbLb0EEEEDaS16_S17_EUlS16_E_NS1_11comp_targetILNS1_3genE5ELNS1_11target_archE942ELNS1_3gpuE9ELNS1_3repE0EEENS1_30default_config_static_selectorELNS0_4arch9wavefront6targetE1EEEvT1_ ; -- Begin function _ZN7rocprim17ROCPRIM_400000_NS6detail17trampoline_kernelINS0_14default_configENS1_25partition_config_selectorILNS1_17partition_subalgoE1ExNS0_10empty_typeEbEEZZNS1_14partition_implILS5_1ELb0ES3_jN6thrust23THRUST_200600_302600_NS6detail15normal_iteratorINSA_10device_ptrIxEEEEPS6_NSA_18transform_iteratorI7is_evenIxESF_NSA_11use_defaultESK_EENS0_5tupleIJSF_NSA_16discard_iteratorISK_EEEEENSM_IJSG_SG_EEES6_PlJS6_EEE10hipError_tPvRmT3_T4_T5_T6_T7_T9_mT8_P12ihipStream_tbDpT10_ENKUlT_T0_E_clISt17integral_constantIbLb1EES1A_IbLb0EEEEDaS16_S17_EUlS16_E_NS1_11comp_targetILNS1_3genE5ELNS1_11target_archE942ELNS1_3gpuE9ELNS1_3repE0EEENS1_30default_config_static_selectorELNS0_4arch9wavefront6targetE1EEEvT1_
	.globl	_ZN7rocprim17ROCPRIM_400000_NS6detail17trampoline_kernelINS0_14default_configENS1_25partition_config_selectorILNS1_17partition_subalgoE1ExNS0_10empty_typeEbEEZZNS1_14partition_implILS5_1ELb0ES3_jN6thrust23THRUST_200600_302600_NS6detail15normal_iteratorINSA_10device_ptrIxEEEEPS6_NSA_18transform_iteratorI7is_evenIxESF_NSA_11use_defaultESK_EENS0_5tupleIJSF_NSA_16discard_iteratorISK_EEEEENSM_IJSG_SG_EEES6_PlJS6_EEE10hipError_tPvRmT3_T4_T5_T6_T7_T9_mT8_P12ihipStream_tbDpT10_ENKUlT_T0_E_clISt17integral_constantIbLb1EES1A_IbLb0EEEEDaS16_S17_EUlS16_E_NS1_11comp_targetILNS1_3genE5ELNS1_11target_archE942ELNS1_3gpuE9ELNS1_3repE0EEENS1_30default_config_static_selectorELNS0_4arch9wavefront6targetE1EEEvT1_
	.p2align	8
	.type	_ZN7rocprim17ROCPRIM_400000_NS6detail17trampoline_kernelINS0_14default_configENS1_25partition_config_selectorILNS1_17partition_subalgoE1ExNS0_10empty_typeEbEEZZNS1_14partition_implILS5_1ELb0ES3_jN6thrust23THRUST_200600_302600_NS6detail15normal_iteratorINSA_10device_ptrIxEEEEPS6_NSA_18transform_iteratorI7is_evenIxESF_NSA_11use_defaultESK_EENS0_5tupleIJSF_NSA_16discard_iteratorISK_EEEEENSM_IJSG_SG_EEES6_PlJS6_EEE10hipError_tPvRmT3_T4_T5_T6_T7_T9_mT8_P12ihipStream_tbDpT10_ENKUlT_T0_E_clISt17integral_constantIbLb1EES1A_IbLb0EEEEDaS16_S17_EUlS16_E_NS1_11comp_targetILNS1_3genE5ELNS1_11target_archE942ELNS1_3gpuE9ELNS1_3repE0EEENS1_30default_config_static_selectorELNS0_4arch9wavefront6targetE1EEEvT1_,@function
_ZN7rocprim17ROCPRIM_400000_NS6detail17trampoline_kernelINS0_14default_configENS1_25partition_config_selectorILNS1_17partition_subalgoE1ExNS0_10empty_typeEbEEZZNS1_14partition_implILS5_1ELb0ES3_jN6thrust23THRUST_200600_302600_NS6detail15normal_iteratorINSA_10device_ptrIxEEEEPS6_NSA_18transform_iteratorI7is_evenIxESF_NSA_11use_defaultESK_EENS0_5tupleIJSF_NSA_16discard_iteratorISK_EEEEENSM_IJSG_SG_EEES6_PlJS6_EEE10hipError_tPvRmT3_T4_T5_T6_T7_T9_mT8_P12ihipStream_tbDpT10_ENKUlT_T0_E_clISt17integral_constantIbLb1EES1A_IbLb0EEEEDaS16_S17_EUlS16_E_NS1_11comp_targetILNS1_3genE5ELNS1_11target_archE942ELNS1_3gpuE9ELNS1_3repE0EEENS1_30default_config_static_selectorELNS0_4arch9wavefront6targetE1EEEvT1_: ; @_ZN7rocprim17ROCPRIM_400000_NS6detail17trampoline_kernelINS0_14default_configENS1_25partition_config_selectorILNS1_17partition_subalgoE1ExNS0_10empty_typeEbEEZZNS1_14partition_implILS5_1ELb0ES3_jN6thrust23THRUST_200600_302600_NS6detail15normal_iteratorINSA_10device_ptrIxEEEEPS6_NSA_18transform_iteratorI7is_evenIxESF_NSA_11use_defaultESK_EENS0_5tupleIJSF_NSA_16discard_iteratorISK_EEEEENSM_IJSG_SG_EEES6_PlJS6_EEE10hipError_tPvRmT3_T4_T5_T6_T7_T9_mT8_P12ihipStream_tbDpT10_ENKUlT_T0_E_clISt17integral_constantIbLb1EES1A_IbLb0EEEEDaS16_S17_EUlS16_E_NS1_11comp_targetILNS1_3genE5ELNS1_11target_archE942ELNS1_3gpuE9ELNS1_3repE0EEENS1_30default_config_static_selectorELNS0_4arch9wavefront6targetE1EEEvT1_
; %bb.0:
	s_load_dwordx2 s[4:5], s[0:1], 0x68
	s_load_dwordx4 s[12:15], s[0:1], 0x8
	s_load_dwordx2 s[6:7], s[0:1], 0x20
	s_load_dwordx4 s[20:23], s[0:1], 0x58
	s_load_dword s3, s[0:1], 0x80
	s_waitcnt lgkmcnt(0)
	v_mov_b32_e32 v3, s5
	s_lshl_b64 s[8:9], s[14:15], 3
	s_add_u32 s12, s12, s8
	s_addc_u32 s13, s13, s9
	s_add_i32 s16, s3, -1
	s_mulk_i32 s3, 0xe00
	s_add_i32 s5, s3, s14
	s_sub_i32 s33, s4, s5
	s_addk_i32 s33, 0xe00
	v_mov_b32_e32 v2, s4
	s_add_u32 s4, s14, s3
	s_addc_u32 s5, s15, 0
	s_cmp_eq_u32 s2, s16
	s_load_dwordx2 s[22:23], s[22:23], 0x0
	s_cselect_b64 s[24:25], -1, 0
	s_cmp_lg_u32 s2, s16
	s_mul_i32 s10, s2, 0xe00
	s_mov_b32 s11, 0
	v_cmp_lt_u64_e32 vcc, s[4:5], v[2:3]
	s_cselect_b64 s[4:5], -1, 0
	s_or_b64 s[26:27], s[4:5], vcc
	s_lshl_b64 s[10:11], s[10:11], 3
	s_add_u32 s12, s12, s10
	s_addc_u32 s13, s13, s11
	s_mov_b64 s[4:5], -1
	s_and_b64 vcc, exec, s[26:27]
	v_lshlrev_b32_e32 v18, 3, v0
	s_cbranch_vccz .LBB3212_2
; %bb.1:
	v_mov_b32_e32 v19, 0
	v_lshl_add_u64 v[2:3], s[12:13], 0, v[18:19]
	v_add_co_u32_e32 v4, vcc, 0x1000, v2
	s_mov_b64 s[4:5], 0
	s_nop 0
	v_addc_co_u32_e32 v5, vcc, 0, v3, vcc
	v_add_co_u32_e32 v6, vcc, 0x2000, v2
	s_nop 1
	v_addc_co_u32_e32 v7, vcc, 0, v3, vcc
	v_add_co_u32_e32 v8, vcc, 0x3000, v2
	s_nop 1
	v_addc_co_u32_e32 v9, vcc, 0, v3, vcc
	flat_load_dwordx2 v[10:11], v[2:3]
	flat_load_dwordx2 v[12:13], v[4:5]
	;; [unrolled: 1-line block ×4, first 2 shown]
	v_add_co_u32_e32 v4, vcc, 0x4000, v2
	s_nop 1
	v_addc_co_u32_e32 v5, vcc, 0, v3, vcc
	v_add_co_u32_e32 v6, vcc, 0x5000, v2
	s_nop 1
	v_addc_co_u32_e32 v7, vcc, 0, v3, vcc
	;; [unrolled: 3-line block ×3, first 2 shown]
	flat_load_dwordx2 v[8:9], v[4:5]
	flat_load_dwordx2 v[20:21], v[6:7]
	;; [unrolled: 1-line block ×3, first 2 shown]
	s_waitcnt vmcnt(0) lgkmcnt(0)
	ds_write2st64_b64 v18, v[10:11], v[12:13] offset1:8
	ds_write2st64_b64 v18, v[14:15], v[16:17] offset0:16 offset1:24
	ds_write2st64_b64 v18, v[8:9], v[20:21] offset0:32 offset1:40
	ds_write_b64 v18, v[22:23] offset:24576
	s_waitcnt lgkmcnt(0)
	s_barrier
.LBB3212_2:
	s_andn2_b64 vcc, exec, s[4:5]
	v_cmp_gt_u32_e64 s[4:5], s33, v0
	s_cbranch_vccnz .LBB3212_18
; %bb.3:
                                        ; implicit-def: $vgpr2_vgpr3_vgpr4_vgpr5_vgpr6_vgpr7_vgpr8_vgpr9_vgpr10_vgpr11_vgpr12_vgpr13_vgpr14_vgpr15_vgpr16_vgpr17
	s_and_saveexec_b64 s[14:15], s[4:5]
	s_cbranch_execz .LBB3212_5
; %bb.4:
	v_mov_b32_e32 v19, 0
	v_lshl_add_u64 v[2:3], s[12:13], 0, v[18:19]
	flat_load_dwordx2 v[2:3], v[2:3]
.LBB3212_5:
	s_or_b64 exec, exec, s[14:15]
	v_or_b32_e32 v1, 0x200, v0
	v_cmp_gt_u32_e32 vcc, s33, v1
	s_and_saveexec_b64 s[4:5], vcc
	s_cbranch_execz .LBB3212_7
; %bb.6:
	v_lshlrev_b32_e32 v4, 3, v1
	v_mov_b32_e32 v5, 0
	v_lshl_add_u64 v[4:5], s[12:13], 0, v[4:5]
	flat_load_dwordx2 v[4:5], v[4:5]
.LBB3212_7:
	s_or_b64 exec, exec, s[4:5]
	v_or_b32_e32 v1, 0x400, v0
	v_cmp_gt_u32_e32 vcc, s33, v1
	s_and_saveexec_b64 s[4:5], vcc
	s_cbranch_execz .LBB3212_9
; %bb.8:
	v_lshlrev_b32_e32 v6, 3, v1
	v_mov_b32_e32 v7, 0
	v_lshl_add_u64 v[6:7], s[12:13], 0, v[6:7]
	flat_load_dwordx2 v[6:7], v[6:7]
.LBB3212_9:
	;; [unrolled: 11-line block ×6, first 2 shown]
	s_or_b64 exec, exec, s[4:5]
	s_waitcnt vmcnt(0) lgkmcnt(0)
	ds_write2st64_b64 v18, v[2:3], v[4:5] offset1:8
	ds_write2st64_b64 v18, v[6:7], v[8:9] offset0:16 offset1:24
	ds_write2st64_b64 v18, v[10:11], v[12:13] offset0:32 offset1:40
	ds_write_b64 v18, v[14:15] offset:24576
	s_waitcnt lgkmcnt(0)
	s_barrier
.LBB3212_18:
	v_mul_u32_u24_e32 v1, 7, v0
	v_lshlrev_b32_e32 v16, 3, v1
	s_waitcnt lgkmcnt(0)
	ds_read2_b64 v[10:13], v16 offset1:1
	ds_read2_b64 v[6:9], v16 offset0:2 offset1:3
	ds_read2_b64 v[2:5], v16 offset0:4 offset1:5
	ds_read_b64 v[14:15], v16 offset:48
	s_add_u32 s3, s6, s8
	s_addc_u32 s5, s7, s9
	s_add_u32 s4, s3, s10
	s_addc_u32 s5, s5, s11
	s_mov_b64 s[6:7], -1
	s_and_b64 vcc, exec, s[26:27]
	s_waitcnt lgkmcnt(0)
	s_barrier
	s_cbranch_vccz .LBB3212_20
; %bb.19:
	v_mov_b32_e32 v19, 0
	v_lshl_add_u64 v[20:21], s[4:5], 0, v[18:19]
	v_add_co_u32_e32 v24, vcc, 0x1000, v20
	global_load_dwordx2 v[22:23], v18, s[4:5]
	s_nop 0
	v_addc_co_u32_e32 v25, vcc, 0, v21, vcc
	v_add_co_u32_e32 v26, vcc, 0x2000, v20
	s_mov_b64 s[6:7], 0
	s_nop 0
	v_addc_co_u32_e32 v27, vcc, 0, v21, vcc
	v_add_co_u32_e32 v28, vcc, 0x3000, v20
	s_waitcnt vmcnt(0)
	v_xor_b32_e32 v17, -1, v22
	v_addc_co_u32_e32 v29, vcc, 0, v21, vcc
	v_add_co_u32_e32 v30, vcc, 0x4000, v20
	v_and_b32_e32 v17, 1, v17
	s_nop 0
	v_addc_co_u32_e32 v31, vcc, 0, v21, vcc
	global_load_dwordx2 v[32:33], v[24:25], off
	global_load_dwordx2 v[34:35], v[26:27], off
	;; [unrolled: 1-line block ×4, first 2 shown]
	v_add_co_u32_e32 v24, vcc, 0x5000, v20
	ds_write_b8 v0, v17
	s_nop 0
	v_addc_co_u32_e32 v25, vcc, 0, v21, vcc
	v_add_co_u32_e32 v20, vcc, 0x6000, v20
	global_load_dwordx2 v[24:25], v[24:25], off
	s_nop 0
	v_addc_co_u32_e32 v21, vcc, 0, v21, vcc
	global_load_dwordx2 v[20:21], v[20:21], off
	s_waitcnt vmcnt(5)
	v_xor_b32_e32 v17, -1, v32
	v_and_b32_e32 v17, 1, v17
	s_waitcnt vmcnt(4)
	v_xor_b32_e32 v19, -1, v34
	s_waitcnt vmcnt(0)
	v_xor_b32_e32 v21, -1, v36
	v_and_b32_e32 v19, 1, v19
	ds_write_b8 v0, v17 offset:512
	v_and_b32_e32 v17, 1, v21
	v_xor_b32_e32 v21, -1, v38
	ds_write_b8 v0, v19 offset:1024
	v_and_b32_e32 v19, 1, v21
	ds_write_b8 v0, v17 offset:1536
	v_xor_b32_e32 v21, -1, v24
	v_and_b32_e32 v17, 1, v21
	ds_write_b8 v0, v19 offset:2048
	v_xor_b32_e32 v20, -1, v20
	v_and_b32_e32 v19, 1, v20
	ds_write_b8 v0, v17 offset:2560
	ds_write_b8 v0, v19 offset:3072
	s_waitcnt lgkmcnt(0)
	s_barrier
.LBB3212_20:
	s_load_dwordx2 s[28:29], s[0:1], 0x78
	s_andn2_b64 vcc, exec, s[6:7]
	s_cbranch_vccnz .LBB3212_36
; %bb.21:
	v_cmp_gt_u32_e32 vcc, s33, v0
	v_mov_b32_e32 v17, 0
	v_mov_b32_e32 v19, 0
	s_and_saveexec_b64 s[6:7], vcc
	s_cbranch_execz .LBB3212_23
; %bb.22:
	global_load_dwordx2 v[20:21], v18, s[4:5]
	s_waitcnt vmcnt(0)
	v_xor_b32_e32 v19, -1, v20
	v_and_b32_e32 v19, 1, v19
.LBB3212_23:
	s_or_b64 exec, exec, s[6:7]
	v_or_b32_e32 v20, 0x200, v0
	v_cmp_gt_u32_e32 vcc, s33, v20
	s_and_saveexec_b64 s[6:7], vcc
	s_cbranch_execz .LBB3212_25
; %bb.24:
	v_lshlrev_b32_e32 v17, 3, v20
	global_load_dwordx2 v[20:21], v17, s[4:5]
	s_waitcnt vmcnt(0)
	v_xor_b32_e32 v17, -1, v20
	v_and_b32_e32 v17, 1, v17
.LBB3212_25:
	s_or_b64 exec, exec, s[6:7]
	v_or_b32_e32 v22, 0x400, v0
	v_cmp_gt_u32_e32 vcc, s33, v22
	v_mov_b32_e32 v20, 0
	v_mov_b32_e32 v21, 0
	s_and_saveexec_b64 s[6:7], vcc
	s_cbranch_execz .LBB3212_27
; %bb.26:
	v_lshlrev_b32_e32 v21, 3, v22
	global_load_dwordx2 v[22:23], v21, s[4:5]
	s_waitcnt vmcnt(0)
	v_xor_b32_e32 v21, -1, v22
	v_and_b32_e32 v21, 1, v21
.LBB3212_27:
	s_or_b64 exec, exec, s[6:7]
	v_or_b32_e32 v22, 0x600, v0
	v_cmp_gt_u32_e32 vcc, s33, v22
	s_and_saveexec_b64 s[6:7], vcc
	s_cbranch_execz .LBB3212_29
; %bb.28:
	v_lshlrev_b32_e32 v20, 3, v22
	global_load_dwordx2 v[22:23], v20, s[4:5]
	s_waitcnt vmcnt(0)
	v_xor_b32_e32 v20, -1, v22
	v_and_b32_e32 v20, 1, v20
.LBB3212_29:
	s_or_b64 exec, exec, s[6:7]
	v_or_b32_e32 v24, 0x800, v0
	v_cmp_gt_u32_e32 vcc, s33, v24
	v_mov_b32_e32 v22, 0
	v_mov_b32_e32 v23, 0
	s_and_saveexec_b64 s[6:7], vcc
	s_cbranch_execz .LBB3212_31
; %bb.30:
	v_lshlrev_b32_e32 v23, 3, v24
	global_load_dwordx2 v[24:25], v23, s[4:5]
	s_waitcnt vmcnt(0)
	v_xor_b32_e32 v23, -1, v24
	v_and_b32_e32 v23, 1, v23
.LBB3212_31:
	s_or_b64 exec, exec, s[6:7]
	v_or_b32_e32 v24, 0xa00, v0
	v_cmp_gt_u32_e32 vcc, s33, v24
	s_and_saveexec_b64 s[6:7], vcc
	s_cbranch_execz .LBB3212_33
; %bb.32:
	v_lshlrev_b32_e32 v22, 3, v24
	global_load_dwordx2 v[24:25], v22, s[4:5]
	s_waitcnt vmcnt(0)
	v_xor_b32_e32 v22, -1, v24
	v_and_b32_e32 v22, 1, v22
.LBB3212_33:
	s_or_b64 exec, exec, s[6:7]
	v_or_b32_e32 v25, 0xc00, v0
	v_cmp_gt_u32_e32 vcc, s33, v25
	v_mov_b32_e32 v24, 0
	s_and_saveexec_b64 s[6:7], vcc
	s_cbranch_execz .LBB3212_35
; %bb.34:
	v_lshlrev_b32_e32 v24, 3, v25
	global_load_dwordx2 v[24:25], v24, s[4:5]
	s_waitcnt vmcnt(0)
	v_xor_b32_e32 v24, -1, v24
	v_and_b32_e32 v24, 1, v24
.LBB3212_35:
	s_or_b64 exec, exec, s[6:7]
	ds_write_b8 v0, v19
	ds_write_b8 v0, v17 offset:512
	ds_write_b8 v0, v21 offset:1024
	;; [unrolled: 1-line block ×6, first 2 shown]
	s_waitcnt lgkmcnt(0)
	s_barrier
.LBB3212_36:
	s_movk_i32 s3, 0xffcf
	v_mad_i32_i24 v35, v0, s3, v16
	s_waitcnt lgkmcnt(0)
	ds_read_u8 v16, v35
	ds_read_u8 v17, v35 offset:1
	ds_read_u8 v19, v35 offset:2
	;; [unrolled: 1-line block ×6, first 2 shown]
	s_waitcnt lgkmcnt(6)
	v_and_b32_e32 v33, 1, v16
	s_waitcnt lgkmcnt(5)
	v_and_b32_e32 v32, 1, v17
	;; [unrolled: 2-line block ×5, first 2 shown]
	v_add3_u32 v16, v32, v33, v31
	s_waitcnt lgkmcnt(1)
	v_and_b32_e32 v28, 1, v22
	s_waitcnt lgkmcnt(0)
	v_and_b32_e32 v19, 1, v23
	v_add3_u32 v16, v16, v30, v29
	v_add3_u32 v37, v16, v28, v19
	v_mbcnt_lo_u32_b32 v16, -1, 0
	v_mbcnt_hi_u32_b32 v34, -1, v16
	v_and_b32_e32 v16, 15, v34
	v_cmp_eq_u32_e64 s[14:15], 0, v16
	v_cmp_lt_u32_e64 s[12:13], 1, v16
	v_cmp_lt_u32_e64 s[10:11], 3, v16
	;; [unrolled: 1-line block ×3, first 2 shown]
	v_and_b32_e32 v16, 16, v34
	v_cmp_eq_u32_e64 s[6:7], 0, v16
	v_or_b32_e32 v16, 63, v0
	s_cmp_lg_u32 s2, 0
	v_cmp_lt_u32_e64 s[18:19], 31, v34
	v_lshrrev_b32_e32 v36, 6, v0
	v_cmp_eq_u32_e64 s[4:5], v16, v0
	s_barrier
	s_cbranch_scc0 .LBB3212_67
; %bb.37:
	v_mov_b32_dpp v16, v37 row_shr:1 row_mask:0xf bank_mask:0xf
	v_cndmask_b32_e64 v16, v16, 0, s[14:15]
	v_add_u32_e32 v16, v16, v37
	s_nop 1
	v_mov_b32_dpp v17, v16 row_shr:2 row_mask:0xf bank_mask:0xf
	v_cndmask_b32_e64 v17, 0, v17, s[12:13]
	v_add_u32_e32 v16, v16, v17
	s_nop 1
	;; [unrolled: 4-line block ×4, first 2 shown]
	v_mov_b32_dpp v17, v16 row_bcast:15 row_mask:0xf bank_mask:0xf
	v_cndmask_b32_e64 v17, v17, 0, s[6:7]
	v_add_u32_e32 v16, v16, v17
	s_nop 1
	v_mov_b32_dpp v17, v16 row_bcast:31 row_mask:0xf bank_mask:0xf
	v_cndmask_b32_e64 v17, 0, v17, s[18:19]
	v_add_u32_e32 v16, v16, v17
	s_and_saveexec_b64 s[16:17], s[4:5]
	s_cbranch_execz .LBB3212_39
; %bb.38:
	v_lshlrev_b32_e32 v17, 2, v36
	ds_write_b32 v17, v16
.LBB3212_39:
	s_or_b64 exec, exec, s[16:17]
	v_cmp_gt_u32_e32 vcc, 8, v0
	s_waitcnt lgkmcnt(0)
	s_barrier
	s_and_saveexec_b64 s[16:17], vcc
	s_cbranch_execz .LBB3212_41
; %bb.40:
	v_lshlrev_b32_e32 v17, 2, v0
	ds_read_b32 v20, v17
	v_and_b32_e32 v21, 7, v34
	v_cmp_ne_u32_e32 vcc, 0, v21
	s_waitcnt lgkmcnt(0)
	v_mov_b32_dpp v22, v20 row_shr:1 row_mask:0xf bank_mask:0xf
	v_cndmask_b32_e32 v22, 0, v22, vcc
	v_add_u32_e32 v20, v22, v20
	v_cmp_lt_u32_e32 vcc, 1, v21
	s_nop 0
	v_mov_b32_dpp v22, v20 row_shr:2 row_mask:0xf bank_mask:0xf
	v_cndmask_b32_e32 v22, 0, v22, vcc
	v_add_u32_e32 v20, v20, v22
	v_cmp_lt_u32_e32 vcc, 3, v21
	s_nop 0
	v_mov_b32_dpp v22, v20 row_shr:4 row_mask:0xf bank_mask:0xf
	v_cndmask_b32_e32 v21, 0, v22, vcc
	v_add_u32_e32 v20, v20, v21
	ds_write_b32 v17, v20
.LBB3212_41:
	s_or_b64 exec, exec, s[16:17]
	v_cmp_gt_u32_e32 vcc, 64, v0
	v_cmp_lt_u32_e64 s[16:17], 63, v0
	s_waitcnt lgkmcnt(0)
	s_barrier
	s_waitcnt lgkmcnt(0)
                                        ; implicit-def: $vgpr38
	s_and_saveexec_b64 s[30:31], s[16:17]
	s_cbranch_execz .LBB3212_43
; %bb.42:
	v_lshl_add_u32 v17, v36, 2, -4
	ds_read_b32 v38, v17
	s_waitcnt lgkmcnt(0)
	v_add_u32_e32 v16, v38, v16
.LBB3212_43:
	s_or_b64 exec, exec, s[30:31]
	v_add_u32_e32 v17, -1, v34
	v_and_b32_e32 v20, 64, v34
	v_cmp_lt_i32_e64 s[16:17], v17, v20
	s_nop 1
	v_cndmask_b32_e64 v17, v17, v34, s[16:17]
	v_lshlrev_b32_e32 v17, 2, v17
	ds_bpermute_b32 v39, v17, v16
	v_cmp_eq_u32_e64 s[16:17], 0, v34
	s_and_saveexec_b64 s[30:31], vcc
	s_cbranch_execz .LBB3212_66
; %bb.44:
	v_mov_b32_e32 v27, 0
	ds_read_b32 v16, v27 offset:28
	s_and_saveexec_b64 s[34:35], s[16:17]
	s_cbranch_execz .LBB3212_46
; %bb.45:
	s_add_i32 s36, s2, 64
	s_mov_b32 s37, 0
	s_lshl_b64 s[36:37], s[36:37], 3
	s_add_u32 s36, s28, s36
	v_mov_b32_e32 v17, 1
	s_addc_u32 s37, s29, s37
	s_waitcnt lgkmcnt(0)
	global_store_dwordx2 v27, v[16:17], s[36:37] sc1
.LBB3212_46:
	s_or_b64 exec, exec, s[34:35]
	v_xad_u32 v20, v34, -1, s2
	v_add_u32_e32 v26, 64, v20
	v_lshl_add_u64 v[22:23], v[26:27], 3, s[28:29]
	global_load_dwordx2 v[24:25], v[22:23], off sc1
	s_waitcnt vmcnt(0)
	v_cmp_eq_u16_sdwa s[36:37], v25, v27 src0_sel:BYTE_0 src1_sel:DWORD
	s_and_saveexec_b64 s[34:35], s[36:37]
	s_cbranch_execz .LBB3212_52
; %bb.47:
	s_mov_b32 s3, 1
	s_mov_b64 s[36:37], 0
	v_mov_b32_e32 v17, 0
.LBB3212_48:                            ; =>This Loop Header: Depth=1
                                        ;     Child Loop BB3212_49 Depth 2
	s_max_u32 s38, s3, 1
.LBB3212_49:                            ;   Parent Loop BB3212_48 Depth=1
                                        ; =>  This Inner Loop Header: Depth=2
	s_add_i32 s38, s38, -1
	s_cmp_eq_u32 s38, 0
	s_sleep 1
	s_cbranch_scc0 .LBB3212_49
; %bb.50:                               ;   in Loop: Header=BB3212_48 Depth=1
	global_load_dwordx2 v[24:25], v[22:23], off sc1
	s_cmp_lt_u32 s3, 32
	s_cselect_b64 s[38:39], -1, 0
	s_cmp_lg_u64 s[38:39], 0
	s_addc_u32 s3, s3, 0
	s_waitcnt vmcnt(0)
	v_cmp_ne_u16_sdwa s[38:39], v25, v17 src0_sel:BYTE_0 src1_sel:DWORD
	s_or_b64 s[36:37], s[38:39], s[36:37]
	s_andn2_b64 exec, exec, s[36:37]
	s_cbranch_execnz .LBB3212_48
; %bb.51:
	s_or_b64 exec, exec, s[36:37]
.LBB3212_52:
	s_or_b64 exec, exec, s[34:35]
	v_and_b32_e32 v41, 63, v34
	v_mov_b32_e32 v40, 2
	v_cmp_ne_u32_e32 vcc, 63, v41
	v_cmp_eq_u16_sdwa s[34:35], v25, v40 src0_sel:BYTE_0 src1_sel:DWORD
	v_lshlrev_b64 v[22:23], v34, -1
	v_addc_co_u32_e32 v26, vcc, 0, v34, vcc
	v_and_b32_e32 v17, s35, v23
	v_lshlrev_b32_e32 v42, 2, v26
	v_or_b32_e32 v17, 0x80000000, v17
	ds_bpermute_b32 v26, v42, v24
	v_and_b32_e32 v21, s34, v22
	v_ffbl_b32_e32 v17, v17
	v_add_u32_e32 v17, 32, v17
	v_ffbl_b32_e32 v21, v21
	v_min_u32_e32 v17, v21, v17
	v_cmp_lt_u32_e32 vcc, v41, v17
	v_add_u32_e32 v44, 2, v41
	v_add_u32_e32 v46, 4, v41
	s_waitcnt lgkmcnt(0)
	v_cndmask_b32_e32 v21, 0, v26, vcc
	v_cmp_gt_u32_e32 vcc, 62, v41
	v_add_u32_e32 v21, v21, v24
	v_add_u32_e32 v48, 8, v41
	v_cndmask_b32_e64 v24, 0, 1, vcc
	v_lshlrev_b32_e32 v24, 1, v24
	v_add_lshl_u32 v43, v24, v34, 2
	ds_bpermute_b32 v24, v43, v21
	v_cmp_le_u32_e32 vcc, v44, v17
	v_add_u32_e32 v50, 16, v41
	v_add_u32_e32 v52, 32, v41
	s_waitcnt lgkmcnt(0)
	v_cndmask_b32_e32 v24, 0, v24, vcc
	v_cmp_gt_u32_e32 vcc, 60, v41
	v_add_u32_e32 v21, v21, v24
	s_nop 0
	v_cndmask_b32_e64 v24, 0, 1, vcc
	v_lshlrev_b32_e32 v24, 2, v24
	v_add_lshl_u32 v45, v24, v34, 2
	ds_bpermute_b32 v24, v45, v21
	v_cmp_le_u32_e32 vcc, v46, v17
	s_waitcnt lgkmcnt(0)
	s_nop 0
	v_cndmask_b32_e32 v24, 0, v24, vcc
	v_cmp_gt_u32_e32 vcc, 56, v41
	v_add_u32_e32 v21, v21, v24
	s_nop 0
	v_cndmask_b32_e64 v24, 0, 1, vcc
	v_lshlrev_b32_e32 v24, 3, v24
	v_add_lshl_u32 v47, v24, v34, 2
	ds_bpermute_b32 v24, v47, v21
	v_cmp_le_u32_e32 vcc, v48, v17
	s_waitcnt lgkmcnt(0)
	s_nop 0
	;; [unrolled: 11-line block ×4, first 2 shown]
	v_cndmask_b32_e32 v17, 0, v24, vcc
	v_add_u32_e32 v24, v21, v17
	v_mov_b32_e32 v21, 0
	s_branch .LBB3212_54
.LBB3212_53:                            ;   in Loop: Header=BB3212_54 Depth=1
	s_or_b64 exec, exec, s[34:35]
	v_cmp_eq_u16_sdwa s[34:35], v25, v40 src0_sel:BYTE_0 src1_sel:DWORD
	ds_bpermute_b32 v53, v42, v24
	v_subrev_u32_e32 v20, 64, v20
	v_and_b32_e32 v26, s35, v23
	v_or_b32_e32 v26, 0x80000000, v26
	v_and_b32_e32 v27, s34, v22
	v_ffbl_b32_e32 v26, v26
	v_add_u32_e32 v26, 32, v26
	v_ffbl_b32_e32 v27, v27
	v_min_u32_e32 v26, v27, v26
	v_cmp_lt_u32_e32 vcc, v41, v26
	s_waitcnt lgkmcnt(0)
	s_nop 0
	v_cndmask_b32_e32 v27, 0, v53, vcc
	v_add_u32_e32 v24, v27, v24
	ds_bpermute_b32 v27, v43, v24
	v_cmp_le_u32_e32 vcc, v44, v26
	s_waitcnt lgkmcnt(0)
	s_nop 0
	v_cndmask_b32_e32 v27, 0, v27, vcc
	v_add_u32_e32 v24, v24, v27
	ds_bpermute_b32 v27, v45, v24
	v_cmp_le_u32_e32 vcc, v46, v26
	;; [unrolled: 6-line block ×5, first 2 shown]
	s_waitcnt lgkmcnt(0)
	s_nop 0
	v_cndmask_b32_e32 v26, 0, v27, vcc
	v_add3_u32 v24, v26, v17, v24
.LBB3212_54:                            ; =>This Loop Header: Depth=1
                                        ;     Child Loop BB3212_57 Depth 2
                                        ;       Child Loop BB3212_58 Depth 3
	v_cmp_ne_u16_sdwa s[34:35], v25, v40 src0_sel:BYTE_0 src1_sel:DWORD
	s_nop 1
	v_cndmask_b32_e64 v17, 0, 1, s[34:35]
	;;#ASMSTART
	;;#ASMEND
	s_nop 0
	v_cmp_ne_u32_e32 vcc, 0, v17
	s_cmp_lg_u64 vcc, exec
	v_mov_b32_e32 v17, v24
	s_cbranch_scc1 .LBB3212_61
; %bb.55:                               ;   in Loop: Header=BB3212_54 Depth=1
	v_lshl_add_u64 v[26:27], v[20:21], 3, s[28:29]
	global_load_dwordx2 v[24:25], v[26:27], off sc1
	s_waitcnt vmcnt(0)
	v_cmp_eq_u16_sdwa s[36:37], v25, v21 src0_sel:BYTE_0 src1_sel:DWORD
	s_and_saveexec_b64 s[34:35], s[36:37]
	s_cbranch_execz .LBB3212_53
; %bb.56:                               ;   in Loop: Header=BB3212_54 Depth=1
	s_mov_b32 s3, 1
	s_mov_b64 s[36:37], 0
.LBB3212_57:                            ;   Parent Loop BB3212_54 Depth=1
                                        ; =>  This Loop Header: Depth=2
                                        ;       Child Loop BB3212_58 Depth 3
	s_max_u32 s38, s3, 1
.LBB3212_58:                            ;   Parent Loop BB3212_54 Depth=1
                                        ;     Parent Loop BB3212_57 Depth=2
                                        ; =>    This Inner Loop Header: Depth=3
	s_add_i32 s38, s38, -1
	s_cmp_eq_u32 s38, 0
	s_sleep 1
	s_cbranch_scc0 .LBB3212_58
; %bb.59:                               ;   in Loop: Header=BB3212_57 Depth=2
	global_load_dwordx2 v[24:25], v[26:27], off sc1
	s_cmp_lt_u32 s3, 32
	s_cselect_b64 s[38:39], -1, 0
	s_cmp_lg_u64 s[38:39], 0
	s_addc_u32 s3, s3, 0
	s_waitcnt vmcnt(0)
	v_cmp_ne_u16_sdwa s[38:39], v25, v21 src0_sel:BYTE_0 src1_sel:DWORD
	s_or_b64 s[36:37], s[38:39], s[36:37]
	s_andn2_b64 exec, exec, s[36:37]
	s_cbranch_execnz .LBB3212_57
; %bb.60:                               ;   in Loop: Header=BB3212_54 Depth=1
	s_or_b64 exec, exec, s[36:37]
	s_branch .LBB3212_53
.LBB3212_61:                            ;   in Loop: Header=BB3212_54 Depth=1
                                        ; implicit-def: $vgpr24
                                        ; implicit-def: $vgpr25
	s_cbranch_execz .LBB3212_54
; %bb.62:
	s_and_saveexec_b64 s[34:35], s[16:17]
	s_cbranch_execz .LBB3212_64
; %bb.63:
	s_add_i32 s2, s2, 64
	s_mov_b32 s3, 0
	s_lshl_b64 s[2:3], s[2:3], 3
	s_add_u32 s2, s28, s2
	v_add_u32_e32 v20, v17, v16
	v_mov_b32_e32 v21, 2
	s_addc_u32 s3, s29, s3
	v_mov_b32_e32 v22, 0
	global_store_dwordx2 v22, v[20:21], s[2:3] sc1
	ds_write_b64 v22, v[16:17] offset:28672
.LBB3212_64:
	s_or_b64 exec, exec, s[34:35]
	v_cmp_eq_u32_e32 vcc, 0, v0
	s_and_b64 exec, exec, vcc
	s_cbranch_execz .LBB3212_66
; %bb.65:
	v_mov_b32_e32 v16, 0
	ds_write_b32 v16, v17 offset:28
.LBB3212_66:
	s_or_b64 exec, exec, s[30:31]
	v_mov_b32_e32 v16, 0
	s_waitcnt lgkmcnt(0)
	s_barrier
	ds_read_b32 v17, v16 offset:28
	v_cndmask_b32_e64 v20, v39, v38, s[16:17]
	v_cmp_ne_u32_e32 vcc, 0, v0
	s_waitcnt lgkmcnt(0)
	s_barrier
	v_cndmask_b32_e32 v20, 0, v20, vcc
	v_add_u32_e32 v27, v17, v20
	v_add_u32_e32 v26, v27, v33
	ds_read_b64 v[16:17], v16 offset:28672
	v_add_u32_e32 v25, v26, v32
	v_add_u32_e32 v23, v25, v31
	v_add_u32_e32 v24, v23, v30
	v_add_u32_e32 v22, v24, v29
	v_add_u32_e32 v21, v22, v28
	s_waitcnt lgkmcnt(0)
	v_mov_b32_e32 v20, v17
	s_load_dwordx2 s[2:3], s[0:1], 0x30
	s_branch .LBB3212_77
.LBB3212_67:
                                        ; implicit-def: $vgpr20
                                        ; implicit-def: $vgpr16
                                        ; implicit-def: $vgpr21
                                        ; implicit-def: $vgpr22
                                        ; implicit-def: $vgpr24
                                        ; implicit-def: $vgpr23
                                        ; implicit-def: $vgpr25
                                        ; implicit-def: $vgpr26
                                        ; implicit-def: $vgpr27
	s_load_dwordx2 s[2:3], s[0:1], 0x30
	s_cbranch_execz .LBB3212_77
; %bb.68:
	v_mov_b32_dpp v16, v37 row_shr:1 row_mask:0xf bank_mask:0xf
	v_cndmask_b32_e64 v16, v16, 0, s[14:15]
	v_add_u32_e32 v16, v16, v37
	s_nop 1
	v_mov_b32_dpp v17, v16 row_shr:2 row_mask:0xf bank_mask:0xf
	v_cndmask_b32_e64 v17, 0, v17, s[12:13]
	v_add_u32_e32 v16, v16, v17
	s_nop 1
	;; [unrolled: 4-line block ×4, first 2 shown]
	v_mov_b32_dpp v17, v16 row_bcast:15 row_mask:0xf bank_mask:0xf
	v_cndmask_b32_e64 v17, v17, 0, s[6:7]
	v_add_u32_e32 v16, v16, v17
	s_nop 1
	v_mov_b32_dpp v17, v16 row_bcast:31 row_mask:0xf bank_mask:0xf
	v_cndmask_b32_e64 v17, 0, v17, s[18:19]
	v_add_u32_e32 v16, v16, v17
	s_and_saveexec_b64 s[0:1], s[4:5]
	s_cbranch_execz .LBB3212_70
; %bb.69:
	v_lshlrev_b32_e32 v17, 2, v36
	ds_write_b32 v17, v16
.LBB3212_70:
	s_or_b64 exec, exec, s[0:1]
	v_cmp_gt_u32_e32 vcc, 8, v0
	s_waitcnt lgkmcnt(0)
	s_barrier
	s_and_saveexec_b64 s[0:1], vcc
	s_cbranch_execz .LBB3212_72
; %bb.71:
	v_mad_i32_i24 v17, v0, -3, v35
	ds_read_b32 v20, v17
	v_and_b32_e32 v21, 7, v34
	v_cmp_ne_u32_e32 vcc, 0, v21
	s_waitcnt lgkmcnt(0)
	v_mov_b32_dpp v22, v20 row_shr:1 row_mask:0xf bank_mask:0xf
	v_cndmask_b32_e32 v22, 0, v22, vcc
	v_add_u32_e32 v20, v22, v20
	v_cmp_lt_u32_e32 vcc, 1, v21
	s_nop 0
	v_mov_b32_dpp v22, v20 row_shr:2 row_mask:0xf bank_mask:0xf
	v_cndmask_b32_e32 v22, 0, v22, vcc
	v_add_u32_e32 v20, v20, v22
	v_cmp_lt_u32_e32 vcc, 3, v21
	s_nop 0
	v_mov_b32_dpp v22, v20 row_shr:4 row_mask:0xf bank_mask:0xf
	v_cndmask_b32_e32 v21, 0, v22, vcc
	v_add_u32_e32 v20, v20, v21
	ds_write_b32 v17, v20
.LBB3212_72:
	s_or_b64 exec, exec, s[0:1]
	v_cmp_lt_u32_e32 vcc, 63, v0
	v_mov_b32_e32 v17, 0
	v_mov_b32_e32 v20, 0
	s_waitcnt lgkmcnt(0)
	s_barrier
	s_and_saveexec_b64 s[0:1], vcc
	s_cbranch_execz .LBB3212_74
; %bb.73:
	v_lshl_add_u32 v20, v36, 2, -4
	ds_read_b32 v20, v20
.LBB3212_74:
	s_or_b64 exec, exec, s[0:1]
	v_add_u32_e32 v21, -1, v34
	v_and_b32_e32 v22, 64, v34
	v_cmp_lt_i32_e32 vcc, v21, v22
	s_waitcnt lgkmcnt(0)
	v_add_u32_e32 v16, v20, v16
	v_cndmask_b32_e32 v21, v21, v34, vcc
	v_lshlrev_b32_e32 v21, 2, v21
	ds_bpermute_b32 v21, v21, v16
	ds_read_b32 v16, v17 offset:28
	v_cmp_eq_u32_e32 vcc, 0, v0
	s_and_saveexec_b64 s[0:1], vcc
	s_cbranch_execz .LBB3212_76
; %bb.75:
	v_mov_b32_e32 v22, 0
	v_mov_b32_e32 v17, 2
	s_waitcnt lgkmcnt(0)
	global_store_dwordx2 v22, v[16:17], s[28:29] offset:512 sc1
.LBB3212_76:
	s_or_b64 exec, exec, s[0:1]
	v_cmp_eq_u32_e64 s[0:1], 0, v34
	s_waitcnt lgkmcnt(0)
	s_barrier
	v_cndmask_b32_e64 v17, v21, v20, s[0:1]
	v_cndmask_b32_e64 v27, v17, 0, vcc
	v_add_u32_e32 v26, v27, v33
	v_add_u32_e32 v25, v26, v32
	;; [unrolled: 1-line block ×5, first 2 shown]
	v_mov_b32_e32 v20, 0
	v_add_u32_e32 v21, v22, v28
.LBB3212_77:
	v_add_u32_e32 v1, v16, v1
	v_sub_u32_e32 v17, v27, v20
	v_sub_u32_e32 v27, v1, v17
	v_cmp_eq_u32_e32 vcc, 1, v33
	s_nop 1
	v_cndmask_b32_e32 v17, v27, v17, vcc
	v_lshlrev_b32_e32 v17, 3, v17
	ds_write_b64 v17, v[10:11]
	v_sub_u32_e32 v10, v26, v20
	v_sub_u32_e32 v11, v1, v10
	v_add_u32_e32 v11, 1, v11
	v_cmp_eq_u32_e32 vcc, 1, v32
	v_or_b32_e32 v26, 0x200, v0
	v_or_b32_e32 v17, 0xa00, v0
	v_cndmask_b32_e32 v10, v11, v10, vcc
	v_lshlrev_b32_e32 v10, 3, v10
	ds_write_b64 v10, v[12:13]
	v_sub_u32_e32 v10, v25, v20
	v_sub_u32_e32 v11, v1, v10
	v_add_u32_e32 v11, 2, v11
	v_cmp_eq_u32_e32 vcc, 1, v31
	v_or_b32_e32 v25, 0x400, v0
	s_nop 0
	v_cndmask_b32_e32 v10, v11, v10, vcc
	v_lshlrev_b32_e32 v10, 3, v10
	ds_write_b64 v10, v[6:7]
	v_sub_u32_e32 v6, v23, v20
	v_sub_u32_e32 v7, v1, v6
	v_add_u32_e32 v7, 3, v7
	v_cmp_eq_u32_e32 vcc, 1, v30
	s_nop 1
	v_cndmask_b32_e32 v6, v7, v6, vcc
	v_lshlrev_b32_e32 v6, 3, v6
	ds_write_b64 v6, v[8:9]
	v_sub_u32_e32 v6, v24, v20
	v_sub_u32_e32 v7, v1, v6
	v_add_u32_e32 v7, 4, v7
	v_cmp_eq_u32_e32 vcc, 1, v29
	v_or_b32_e32 v24, 0x600, v0
	s_nop 0
	v_cndmask_b32_e32 v6, v7, v6, vcc
	v_lshlrev_b32_e32 v6, 3, v6
	ds_write_b64 v6, v[2:3]
	v_sub_u32_e32 v2, v22, v20
	v_sub_u32_e32 v3, v1, v2
	v_add_u32_e32 v3, 5, v3
	v_cmp_eq_u32_e32 vcc, 1, v28
	s_nop 1
	v_cndmask_b32_e32 v2, v3, v2, vcc
	v_lshlrev_b32_e32 v2, 3, v2
	ds_write_b64 v2, v[4:5]
	v_sub_u32_e32 v2, v21, v20
	v_sub_u32_e32 v1, v1, v2
	v_add_u32_e32 v1, 6, v1
	v_cmp_eq_u32_e32 vcc, 1, v19
	v_or_b32_e32 v19, 0x800, v0
	s_nop 0
	v_cndmask_b32_e32 v1, v1, v2, vcc
	v_lshlrev_b32_e32 v1, 3, v1
	ds_write_b64 v1, v[14:15]
	s_waitcnt lgkmcnt(0)
	s_barrier
	ds_read2st64_b64 v[10:13], v18 offset1:8
	ds_read2st64_b64 v[6:9], v18 offset0:16 offset1:24
	ds_read2st64_b64 v[2:5], v18 offset0:32 offset1:40
	ds_read_b64 v[14:15], v18 offset:24576
	s_andn2_b64 vcc, exec, s[26:27]
	v_or_b32_e32 v1, 0xc00, v0
	s_cbranch_vccnz .LBB3212_86
; %bb.78:
	s_lshl_b64 s[0:1], s[22:23], 3
	v_mov_b32_e32 v21, 0
	s_add_u32 s0, s2, s0
	s_addc_u32 s1, s3, s1
	v_lshlrev_b64 v[22:23], 3, v[20:21]
	v_lshl_add_u64 v[22:23], s[0:1], 0, v[22:23]
	v_cmp_lt_u32_e32 vcc, v0, v16
	s_and_saveexec_b64 s[0:1], vcc
	s_cbranch_execnz .LBB3212_100
; %bb.79:
	s_or_b64 exec, exec, s[0:1]
	v_cmp_lt_u32_e32 vcc, v26, v16
	s_and_saveexec_b64 s[0:1], vcc
	s_cbranch_execnz .LBB3212_101
.LBB3212_80:
	s_or_b64 exec, exec, s[0:1]
	v_cmp_lt_u32_e32 vcc, v25, v16
	s_and_saveexec_b64 s[0:1], vcc
	s_cbranch_execnz .LBB3212_102
.LBB3212_81:
	s_or_b64 exec, exec, s[0:1]
	v_cmp_lt_u32_e32 vcc, v24, v16
	s_and_saveexec_b64 s[0:1], vcc
	s_cbranch_execnz .LBB3212_103
.LBB3212_82:
	s_or_b64 exec, exec, s[0:1]
	v_cmp_lt_u32_e32 vcc, v19, v16
	s_and_saveexec_b64 s[0:1], vcc
	s_cbranch_execnz .LBB3212_104
.LBB3212_83:
	s_or_b64 exec, exec, s[0:1]
	v_cmp_lt_u32_e32 vcc, v17, v16
	s_and_saveexec_b64 s[0:1], vcc
	s_cbranch_execz .LBB3212_85
.LBB3212_84:
	v_lshlrev_b32_e32 v21, 3, v17
	v_readfirstlane_b32 s4, v22
	v_readfirstlane_b32 s5, v23
	s_waitcnt lgkmcnt(1)
	s_nop 3
	global_store_dwordx2 v21, v[4:5], s[4:5]
.LBB3212_85:
	s_or_b64 exec, exec, s[0:1]
	v_cmp_lt_u32_e64 s[0:1], v1, v16
	s_branch .LBB3212_95
.LBB3212_86:
	s_mov_b64 s[0:1], 0
                                        ; implicit-def: $vgpr22_vgpr23
	s_cbranch_execz .LBB3212_95
; %bb.87:
	s_lshl_b64 s[0:1], s[22:23], 3
	v_mov_b32_e32 v21, 0
	s_add_u32 s0, s2, s0
	v_min_u32_e32 v27, s33, v16
	s_addc_u32 s1, s3, s1
	v_lshlrev_b64 v[22:23], 3, v[20:21]
	v_lshl_add_u64 v[22:23], s[0:1], 0, v[22:23]
	v_cmp_gt_u32_e32 vcc, v27, v0
	s_and_saveexec_b64 s[0:1], vcc
	s_cbranch_execnz .LBB3212_105
; %bb.88:
	s_or_b64 exec, exec, s[0:1]
	v_cmp_lt_u32_e32 vcc, v26, v27
	s_and_saveexec_b64 s[0:1], vcc
	s_cbranch_execnz .LBB3212_106
.LBB3212_89:
	s_or_b64 exec, exec, s[0:1]
	v_cmp_lt_u32_e32 vcc, v25, v27
	s_and_saveexec_b64 s[0:1], vcc
	s_cbranch_execnz .LBB3212_107
.LBB3212_90:
	s_or_b64 exec, exec, s[0:1]
	v_cmp_lt_u32_e32 vcc, v24, v27
	s_and_saveexec_b64 s[0:1], vcc
	s_cbranch_execnz .LBB3212_108
.LBB3212_91:
	s_or_b64 exec, exec, s[0:1]
	v_cmp_lt_u32_e32 vcc, v19, v27
	s_and_saveexec_b64 s[0:1], vcc
	s_cbranch_execnz .LBB3212_109
.LBB3212_92:
	s_or_b64 exec, exec, s[0:1]
	v_cmp_lt_u32_e32 vcc, v17, v27
	s_and_saveexec_b64 s[0:1], vcc
	s_cbranch_execz .LBB3212_94
.LBB3212_93:
	s_waitcnt lgkmcnt(1)
	v_lshlrev_b32_e32 v2, 3, v17
	v_readfirstlane_b32 s2, v22
	v_readfirstlane_b32 s3, v23
	s_nop 4
	global_store_dwordx2 v2, v[4:5], s[2:3]
.LBB3212_94:
	s_or_b64 exec, exec, s[0:1]
	v_cmp_lt_u32_e64 s[0:1], v1, v27
.LBB3212_95:
	s_and_saveexec_b64 s[2:3], s[0:1]
	s_cbranch_execz .LBB3212_97
; %bb.96:
	v_lshlrev_b32_e32 v1, 3, v1
	v_readfirstlane_b32 s0, v22
	v_readfirstlane_b32 s1, v23
	s_waitcnt lgkmcnt(0)
	s_nop 3
	global_store_dwordx2 v1, v[14:15], s[0:1]
.LBB3212_97:
	s_or_b64 exec, exec, s[2:3]
	v_cmp_eq_u32_e32 vcc, 0, v0
	s_and_b64 s[0:1], vcc, s[24:25]
	s_and_saveexec_b64 s[2:3], s[0:1]
	s_cbranch_execz .LBB3212_99
; %bb.98:
	v_mov_b32_e32 v17, 0
	v_lshl_add_u64 v[0:1], s[22:23], 0, v[16:17]
	v_mov_b32_e32 v21, v17
	v_lshl_add_u64 v[0:1], v[0:1], 0, v[20:21]
	global_store_dwordx2 v17, v[0:1], s[20:21]
.LBB3212_99:
	s_endpgm
.LBB3212_100:
	v_readfirstlane_b32 s4, v22
	v_readfirstlane_b32 s5, v23
	s_waitcnt lgkmcnt(3)
	s_nop 3
	global_store_dwordx2 v18, v[10:11], s[4:5]
	s_or_b64 exec, exec, s[0:1]
	v_cmp_lt_u32_e32 vcc, v26, v16
	s_and_saveexec_b64 s[0:1], vcc
	s_cbranch_execz .LBB3212_80
.LBB3212_101:
	v_lshlrev_b32_e32 v21, 3, v26
	v_readfirstlane_b32 s4, v22
	v_readfirstlane_b32 s5, v23
	s_waitcnt lgkmcnt(3)
	s_nop 3
	global_store_dwordx2 v21, v[12:13], s[4:5]
	s_or_b64 exec, exec, s[0:1]
	v_cmp_lt_u32_e32 vcc, v25, v16
	s_and_saveexec_b64 s[0:1], vcc
	s_cbranch_execz .LBB3212_81
.LBB3212_102:
	v_lshlrev_b32_e32 v21, 3, v25
	v_readfirstlane_b32 s4, v22
	v_readfirstlane_b32 s5, v23
	s_waitcnt lgkmcnt(2)
	s_nop 3
	global_store_dwordx2 v21, v[6:7], s[4:5]
	s_or_b64 exec, exec, s[0:1]
	v_cmp_lt_u32_e32 vcc, v24, v16
	s_and_saveexec_b64 s[0:1], vcc
	s_cbranch_execz .LBB3212_82
.LBB3212_103:
	v_lshlrev_b32_e32 v21, 3, v24
	v_readfirstlane_b32 s4, v22
	v_readfirstlane_b32 s5, v23
	s_waitcnt lgkmcnt(2)
	s_nop 3
	global_store_dwordx2 v21, v[8:9], s[4:5]
	s_or_b64 exec, exec, s[0:1]
	v_cmp_lt_u32_e32 vcc, v19, v16
	s_and_saveexec_b64 s[0:1], vcc
	s_cbranch_execz .LBB3212_83
.LBB3212_104:
	v_lshlrev_b32_e32 v21, 3, v19
	v_readfirstlane_b32 s4, v22
	v_readfirstlane_b32 s5, v23
	s_waitcnt lgkmcnt(1)
	s_nop 3
	global_store_dwordx2 v21, v[2:3], s[4:5]
	s_or_b64 exec, exec, s[0:1]
	v_cmp_lt_u32_e32 vcc, v17, v16
	s_and_saveexec_b64 s[0:1], vcc
	s_cbranch_execnz .LBB3212_84
	s_branch .LBB3212_85
.LBB3212_105:
	v_readfirstlane_b32 s2, v22
	v_readfirstlane_b32 s3, v23
	s_waitcnt lgkmcnt(3)
	s_nop 3
	global_store_dwordx2 v18, v[10:11], s[2:3]
	s_or_b64 exec, exec, s[0:1]
	v_cmp_lt_u32_e32 vcc, v26, v27
	s_and_saveexec_b64 s[0:1], vcc
	s_cbranch_execz .LBB3212_89
.LBB3212_106:
	s_waitcnt lgkmcnt(3)
	v_lshlrev_b32_e32 v10, 3, v26
	v_readfirstlane_b32 s2, v22
	v_readfirstlane_b32 s3, v23
	s_nop 4
	global_store_dwordx2 v10, v[12:13], s[2:3]
	s_or_b64 exec, exec, s[0:1]
	v_cmp_lt_u32_e32 vcc, v25, v27
	s_and_saveexec_b64 s[0:1], vcc
	s_cbranch_execz .LBB3212_90
.LBB3212_107:
	s_waitcnt lgkmcnt(3)
	v_lshlrev_b32_e32 v10, 3, v25
	v_readfirstlane_b32 s2, v22
	v_readfirstlane_b32 s3, v23
	s_waitcnt lgkmcnt(2)
	s_nop 3
	global_store_dwordx2 v10, v[6:7], s[2:3]
	s_or_b64 exec, exec, s[0:1]
	v_cmp_lt_u32_e32 vcc, v24, v27
	s_and_saveexec_b64 s[0:1], vcc
	s_cbranch_execz .LBB3212_91
.LBB3212_108:
	s_waitcnt lgkmcnt(2)
	v_lshlrev_b32_e32 v6, 3, v24
	v_readfirstlane_b32 s2, v22
	v_readfirstlane_b32 s3, v23
	s_nop 4
	global_store_dwordx2 v6, v[8:9], s[2:3]
	s_or_b64 exec, exec, s[0:1]
	v_cmp_lt_u32_e32 vcc, v19, v27
	s_and_saveexec_b64 s[0:1], vcc
	s_cbranch_execz .LBB3212_92
.LBB3212_109:
	s_waitcnt lgkmcnt(2)
	v_lshlrev_b32_e32 v6, 3, v19
	v_readfirstlane_b32 s2, v22
	v_readfirstlane_b32 s3, v23
	s_waitcnt lgkmcnt(1)
	s_nop 3
	global_store_dwordx2 v6, v[2:3], s[2:3]
	s_or_b64 exec, exec, s[0:1]
	v_cmp_lt_u32_e32 vcc, v17, v27
	s_and_saveexec_b64 s[0:1], vcc
	s_cbranch_execnz .LBB3212_93
	s_branch .LBB3212_94
	.section	.rodata,"a",@progbits
	.p2align	6, 0x0
	.amdhsa_kernel _ZN7rocprim17ROCPRIM_400000_NS6detail17trampoline_kernelINS0_14default_configENS1_25partition_config_selectorILNS1_17partition_subalgoE1ExNS0_10empty_typeEbEEZZNS1_14partition_implILS5_1ELb0ES3_jN6thrust23THRUST_200600_302600_NS6detail15normal_iteratorINSA_10device_ptrIxEEEEPS6_NSA_18transform_iteratorI7is_evenIxESF_NSA_11use_defaultESK_EENS0_5tupleIJSF_NSA_16discard_iteratorISK_EEEEENSM_IJSG_SG_EEES6_PlJS6_EEE10hipError_tPvRmT3_T4_T5_T6_T7_T9_mT8_P12ihipStream_tbDpT10_ENKUlT_T0_E_clISt17integral_constantIbLb1EES1A_IbLb0EEEEDaS16_S17_EUlS16_E_NS1_11comp_targetILNS1_3genE5ELNS1_11target_archE942ELNS1_3gpuE9ELNS1_3repE0EEENS1_30default_config_static_selectorELNS0_4arch9wavefront6targetE1EEEvT1_
		.amdhsa_group_segment_fixed_size 28680
		.amdhsa_private_segment_fixed_size 0
		.amdhsa_kernarg_size 136
		.amdhsa_user_sgpr_count 2
		.amdhsa_user_sgpr_dispatch_ptr 0
		.amdhsa_user_sgpr_queue_ptr 0
		.amdhsa_user_sgpr_kernarg_segment_ptr 1
		.amdhsa_user_sgpr_dispatch_id 0
		.amdhsa_user_sgpr_kernarg_preload_length 0
		.amdhsa_user_sgpr_kernarg_preload_offset 0
		.amdhsa_user_sgpr_private_segment_size 0
		.amdhsa_uses_dynamic_stack 0
		.amdhsa_enable_private_segment 0
		.amdhsa_system_sgpr_workgroup_id_x 1
		.amdhsa_system_sgpr_workgroup_id_y 0
		.amdhsa_system_sgpr_workgroup_id_z 0
		.amdhsa_system_sgpr_workgroup_info 0
		.amdhsa_system_vgpr_workitem_id 0
		.amdhsa_next_free_vgpr 54
		.amdhsa_next_free_sgpr 40
		.amdhsa_accum_offset 56
		.amdhsa_reserve_vcc 1
		.amdhsa_float_round_mode_32 0
		.amdhsa_float_round_mode_16_64 0
		.amdhsa_float_denorm_mode_32 3
		.amdhsa_float_denorm_mode_16_64 3
		.amdhsa_dx10_clamp 1
		.amdhsa_ieee_mode 1
		.amdhsa_fp16_overflow 0
		.amdhsa_tg_split 0
		.amdhsa_exception_fp_ieee_invalid_op 0
		.amdhsa_exception_fp_denorm_src 0
		.amdhsa_exception_fp_ieee_div_zero 0
		.amdhsa_exception_fp_ieee_overflow 0
		.amdhsa_exception_fp_ieee_underflow 0
		.amdhsa_exception_fp_ieee_inexact 0
		.amdhsa_exception_int_div_zero 0
	.end_amdhsa_kernel
	.section	.text._ZN7rocprim17ROCPRIM_400000_NS6detail17trampoline_kernelINS0_14default_configENS1_25partition_config_selectorILNS1_17partition_subalgoE1ExNS0_10empty_typeEbEEZZNS1_14partition_implILS5_1ELb0ES3_jN6thrust23THRUST_200600_302600_NS6detail15normal_iteratorINSA_10device_ptrIxEEEEPS6_NSA_18transform_iteratorI7is_evenIxESF_NSA_11use_defaultESK_EENS0_5tupleIJSF_NSA_16discard_iteratorISK_EEEEENSM_IJSG_SG_EEES6_PlJS6_EEE10hipError_tPvRmT3_T4_T5_T6_T7_T9_mT8_P12ihipStream_tbDpT10_ENKUlT_T0_E_clISt17integral_constantIbLb1EES1A_IbLb0EEEEDaS16_S17_EUlS16_E_NS1_11comp_targetILNS1_3genE5ELNS1_11target_archE942ELNS1_3gpuE9ELNS1_3repE0EEENS1_30default_config_static_selectorELNS0_4arch9wavefront6targetE1EEEvT1_,"axG",@progbits,_ZN7rocprim17ROCPRIM_400000_NS6detail17trampoline_kernelINS0_14default_configENS1_25partition_config_selectorILNS1_17partition_subalgoE1ExNS0_10empty_typeEbEEZZNS1_14partition_implILS5_1ELb0ES3_jN6thrust23THRUST_200600_302600_NS6detail15normal_iteratorINSA_10device_ptrIxEEEEPS6_NSA_18transform_iteratorI7is_evenIxESF_NSA_11use_defaultESK_EENS0_5tupleIJSF_NSA_16discard_iteratorISK_EEEEENSM_IJSG_SG_EEES6_PlJS6_EEE10hipError_tPvRmT3_T4_T5_T6_T7_T9_mT8_P12ihipStream_tbDpT10_ENKUlT_T0_E_clISt17integral_constantIbLb1EES1A_IbLb0EEEEDaS16_S17_EUlS16_E_NS1_11comp_targetILNS1_3genE5ELNS1_11target_archE942ELNS1_3gpuE9ELNS1_3repE0EEENS1_30default_config_static_selectorELNS0_4arch9wavefront6targetE1EEEvT1_,comdat
.Lfunc_end3212:
	.size	_ZN7rocprim17ROCPRIM_400000_NS6detail17trampoline_kernelINS0_14default_configENS1_25partition_config_selectorILNS1_17partition_subalgoE1ExNS0_10empty_typeEbEEZZNS1_14partition_implILS5_1ELb0ES3_jN6thrust23THRUST_200600_302600_NS6detail15normal_iteratorINSA_10device_ptrIxEEEEPS6_NSA_18transform_iteratorI7is_evenIxESF_NSA_11use_defaultESK_EENS0_5tupleIJSF_NSA_16discard_iteratorISK_EEEEENSM_IJSG_SG_EEES6_PlJS6_EEE10hipError_tPvRmT3_T4_T5_T6_T7_T9_mT8_P12ihipStream_tbDpT10_ENKUlT_T0_E_clISt17integral_constantIbLb1EES1A_IbLb0EEEEDaS16_S17_EUlS16_E_NS1_11comp_targetILNS1_3genE5ELNS1_11target_archE942ELNS1_3gpuE9ELNS1_3repE0EEENS1_30default_config_static_selectorELNS0_4arch9wavefront6targetE1EEEvT1_, .Lfunc_end3212-_ZN7rocprim17ROCPRIM_400000_NS6detail17trampoline_kernelINS0_14default_configENS1_25partition_config_selectorILNS1_17partition_subalgoE1ExNS0_10empty_typeEbEEZZNS1_14partition_implILS5_1ELb0ES3_jN6thrust23THRUST_200600_302600_NS6detail15normal_iteratorINSA_10device_ptrIxEEEEPS6_NSA_18transform_iteratorI7is_evenIxESF_NSA_11use_defaultESK_EENS0_5tupleIJSF_NSA_16discard_iteratorISK_EEEEENSM_IJSG_SG_EEES6_PlJS6_EEE10hipError_tPvRmT3_T4_T5_T6_T7_T9_mT8_P12ihipStream_tbDpT10_ENKUlT_T0_E_clISt17integral_constantIbLb1EES1A_IbLb0EEEEDaS16_S17_EUlS16_E_NS1_11comp_targetILNS1_3genE5ELNS1_11target_archE942ELNS1_3gpuE9ELNS1_3repE0EEENS1_30default_config_static_selectorELNS0_4arch9wavefront6targetE1EEEvT1_
                                        ; -- End function
	.section	.AMDGPU.csdata,"",@progbits
; Kernel info:
; codeLenInByte = 5096
; NumSgprs: 46
; NumVgprs: 54
; NumAgprs: 0
; TotalNumVgprs: 54
; ScratchSize: 0
; MemoryBound: 0
; FloatMode: 240
; IeeeMode: 1
; LDSByteSize: 28680 bytes/workgroup (compile time only)
; SGPRBlocks: 5
; VGPRBlocks: 6
; NumSGPRsForWavesPerEU: 46
; NumVGPRsForWavesPerEU: 54
; AccumOffset: 56
; Occupancy: 4
; WaveLimiterHint : 1
; COMPUTE_PGM_RSRC2:SCRATCH_EN: 0
; COMPUTE_PGM_RSRC2:USER_SGPR: 2
; COMPUTE_PGM_RSRC2:TRAP_HANDLER: 0
; COMPUTE_PGM_RSRC2:TGID_X_EN: 1
; COMPUTE_PGM_RSRC2:TGID_Y_EN: 0
; COMPUTE_PGM_RSRC2:TGID_Z_EN: 0
; COMPUTE_PGM_RSRC2:TIDIG_COMP_CNT: 0
; COMPUTE_PGM_RSRC3_GFX90A:ACCUM_OFFSET: 13
; COMPUTE_PGM_RSRC3_GFX90A:TG_SPLIT: 0
	.section	.text._ZN7rocprim17ROCPRIM_400000_NS6detail17trampoline_kernelINS0_14default_configENS1_25partition_config_selectorILNS1_17partition_subalgoE1ExNS0_10empty_typeEbEEZZNS1_14partition_implILS5_1ELb0ES3_jN6thrust23THRUST_200600_302600_NS6detail15normal_iteratorINSA_10device_ptrIxEEEEPS6_NSA_18transform_iteratorI7is_evenIxESF_NSA_11use_defaultESK_EENS0_5tupleIJSF_NSA_16discard_iteratorISK_EEEEENSM_IJSG_SG_EEES6_PlJS6_EEE10hipError_tPvRmT3_T4_T5_T6_T7_T9_mT8_P12ihipStream_tbDpT10_ENKUlT_T0_E_clISt17integral_constantIbLb1EES1A_IbLb0EEEEDaS16_S17_EUlS16_E_NS1_11comp_targetILNS1_3genE4ELNS1_11target_archE910ELNS1_3gpuE8ELNS1_3repE0EEENS1_30default_config_static_selectorELNS0_4arch9wavefront6targetE1EEEvT1_,"axG",@progbits,_ZN7rocprim17ROCPRIM_400000_NS6detail17trampoline_kernelINS0_14default_configENS1_25partition_config_selectorILNS1_17partition_subalgoE1ExNS0_10empty_typeEbEEZZNS1_14partition_implILS5_1ELb0ES3_jN6thrust23THRUST_200600_302600_NS6detail15normal_iteratorINSA_10device_ptrIxEEEEPS6_NSA_18transform_iteratorI7is_evenIxESF_NSA_11use_defaultESK_EENS0_5tupleIJSF_NSA_16discard_iteratorISK_EEEEENSM_IJSG_SG_EEES6_PlJS6_EEE10hipError_tPvRmT3_T4_T5_T6_T7_T9_mT8_P12ihipStream_tbDpT10_ENKUlT_T0_E_clISt17integral_constantIbLb1EES1A_IbLb0EEEEDaS16_S17_EUlS16_E_NS1_11comp_targetILNS1_3genE4ELNS1_11target_archE910ELNS1_3gpuE8ELNS1_3repE0EEENS1_30default_config_static_selectorELNS0_4arch9wavefront6targetE1EEEvT1_,comdat
	.protected	_ZN7rocprim17ROCPRIM_400000_NS6detail17trampoline_kernelINS0_14default_configENS1_25partition_config_selectorILNS1_17partition_subalgoE1ExNS0_10empty_typeEbEEZZNS1_14partition_implILS5_1ELb0ES3_jN6thrust23THRUST_200600_302600_NS6detail15normal_iteratorINSA_10device_ptrIxEEEEPS6_NSA_18transform_iteratorI7is_evenIxESF_NSA_11use_defaultESK_EENS0_5tupleIJSF_NSA_16discard_iteratorISK_EEEEENSM_IJSG_SG_EEES6_PlJS6_EEE10hipError_tPvRmT3_T4_T5_T6_T7_T9_mT8_P12ihipStream_tbDpT10_ENKUlT_T0_E_clISt17integral_constantIbLb1EES1A_IbLb0EEEEDaS16_S17_EUlS16_E_NS1_11comp_targetILNS1_3genE4ELNS1_11target_archE910ELNS1_3gpuE8ELNS1_3repE0EEENS1_30default_config_static_selectorELNS0_4arch9wavefront6targetE1EEEvT1_ ; -- Begin function _ZN7rocprim17ROCPRIM_400000_NS6detail17trampoline_kernelINS0_14default_configENS1_25partition_config_selectorILNS1_17partition_subalgoE1ExNS0_10empty_typeEbEEZZNS1_14partition_implILS5_1ELb0ES3_jN6thrust23THRUST_200600_302600_NS6detail15normal_iteratorINSA_10device_ptrIxEEEEPS6_NSA_18transform_iteratorI7is_evenIxESF_NSA_11use_defaultESK_EENS0_5tupleIJSF_NSA_16discard_iteratorISK_EEEEENSM_IJSG_SG_EEES6_PlJS6_EEE10hipError_tPvRmT3_T4_T5_T6_T7_T9_mT8_P12ihipStream_tbDpT10_ENKUlT_T0_E_clISt17integral_constantIbLb1EES1A_IbLb0EEEEDaS16_S17_EUlS16_E_NS1_11comp_targetILNS1_3genE4ELNS1_11target_archE910ELNS1_3gpuE8ELNS1_3repE0EEENS1_30default_config_static_selectorELNS0_4arch9wavefront6targetE1EEEvT1_
	.globl	_ZN7rocprim17ROCPRIM_400000_NS6detail17trampoline_kernelINS0_14default_configENS1_25partition_config_selectorILNS1_17partition_subalgoE1ExNS0_10empty_typeEbEEZZNS1_14partition_implILS5_1ELb0ES3_jN6thrust23THRUST_200600_302600_NS6detail15normal_iteratorINSA_10device_ptrIxEEEEPS6_NSA_18transform_iteratorI7is_evenIxESF_NSA_11use_defaultESK_EENS0_5tupleIJSF_NSA_16discard_iteratorISK_EEEEENSM_IJSG_SG_EEES6_PlJS6_EEE10hipError_tPvRmT3_T4_T5_T6_T7_T9_mT8_P12ihipStream_tbDpT10_ENKUlT_T0_E_clISt17integral_constantIbLb1EES1A_IbLb0EEEEDaS16_S17_EUlS16_E_NS1_11comp_targetILNS1_3genE4ELNS1_11target_archE910ELNS1_3gpuE8ELNS1_3repE0EEENS1_30default_config_static_selectorELNS0_4arch9wavefront6targetE1EEEvT1_
	.p2align	8
	.type	_ZN7rocprim17ROCPRIM_400000_NS6detail17trampoline_kernelINS0_14default_configENS1_25partition_config_selectorILNS1_17partition_subalgoE1ExNS0_10empty_typeEbEEZZNS1_14partition_implILS5_1ELb0ES3_jN6thrust23THRUST_200600_302600_NS6detail15normal_iteratorINSA_10device_ptrIxEEEEPS6_NSA_18transform_iteratorI7is_evenIxESF_NSA_11use_defaultESK_EENS0_5tupleIJSF_NSA_16discard_iteratorISK_EEEEENSM_IJSG_SG_EEES6_PlJS6_EEE10hipError_tPvRmT3_T4_T5_T6_T7_T9_mT8_P12ihipStream_tbDpT10_ENKUlT_T0_E_clISt17integral_constantIbLb1EES1A_IbLb0EEEEDaS16_S17_EUlS16_E_NS1_11comp_targetILNS1_3genE4ELNS1_11target_archE910ELNS1_3gpuE8ELNS1_3repE0EEENS1_30default_config_static_selectorELNS0_4arch9wavefront6targetE1EEEvT1_,@function
_ZN7rocprim17ROCPRIM_400000_NS6detail17trampoline_kernelINS0_14default_configENS1_25partition_config_selectorILNS1_17partition_subalgoE1ExNS0_10empty_typeEbEEZZNS1_14partition_implILS5_1ELb0ES3_jN6thrust23THRUST_200600_302600_NS6detail15normal_iteratorINSA_10device_ptrIxEEEEPS6_NSA_18transform_iteratorI7is_evenIxESF_NSA_11use_defaultESK_EENS0_5tupleIJSF_NSA_16discard_iteratorISK_EEEEENSM_IJSG_SG_EEES6_PlJS6_EEE10hipError_tPvRmT3_T4_T5_T6_T7_T9_mT8_P12ihipStream_tbDpT10_ENKUlT_T0_E_clISt17integral_constantIbLb1EES1A_IbLb0EEEEDaS16_S17_EUlS16_E_NS1_11comp_targetILNS1_3genE4ELNS1_11target_archE910ELNS1_3gpuE8ELNS1_3repE0EEENS1_30default_config_static_selectorELNS0_4arch9wavefront6targetE1EEEvT1_: ; @_ZN7rocprim17ROCPRIM_400000_NS6detail17trampoline_kernelINS0_14default_configENS1_25partition_config_selectorILNS1_17partition_subalgoE1ExNS0_10empty_typeEbEEZZNS1_14partition_implILS5_1ELb0ES3_jN6thrust23THRUST_200600_302600_NS6detail15normal_iteratorINSA_10device_ptrIxEEEEPS6_NSA_18transform_iteratorI7is_evenIxESF_NSA_11use_defaultESK_EENS0_5tupleIJSF_NSA_16discard_iteratorISK_EEEEENSM_IJSG_SG_EEES6_PlJS6_EEE10hipError_tPvRmT3_T4_T5_T6_T7_T9_mT8_P12ihipStream_tbDpT10_ENKUlT_T0_E_clISt17integral_constantIbLb1EES1A_IbLb0EEEEDaS16_S17_EUlS16_E_NS1_11comp_targetILNS1_3genE4ELNS1_11target_archE910ELNS1_3gpuE8ELNS1_3repE0EEENS1_30default_config_static_selectorELNS0_4arch9wavefront6targetE1EEEvT1_
; %bb.0:
	.section	.rodata,"a",@progbits
	.p2align	6, 0x0
	.amdhsa_kernel _ZN7rocprim17ROCPRIM_400000_NS6detail17trampoline_kernelINS0_14default_configENS1_25partition_config_selectorILNS1_17partition_subalgoE1ExNS0_10empty_typeEbEEZZNS1_14partition_implILS5_1ELb0ES3_jN6thrust23THRUST_200600_302600_NS6detail15normal_iteratorINSA_10device_ptrIxEEEEPS6_NSA_18transform_iteratorI7is_evenIxESF_NSA_11use_defaultESK_EENS0_5tupleIJSF_NSA_16discard_iteratorISK_EEEEENSM_IJSG_SG_EEES6_PlJS6_EEE10hipError_tPvRmT3_T4_T5_T6_T7_T9_mT8_P12ihipStream_tbDpT10_ENKUlT_T0_E_clISt17integral_constantIbLb1EES1A_IbLb0EEEEDaS16_S17_EUlS16_E_NS1_11comp_targetILNS1_3genE4ELNS1_11target_archE910ELNS1_3gpuE8ELNS1_3repE0EEENS1_30default_config_static_selectorELNS0_4arch9wavefront6targetE1EEEvT1_
		.amdhsa_group_segment_fixed_size 0
		.amdhsa_private_segment_fixed_size 0
		.amdhsa_kernarg_size 136
		.amdhsa_user_sgpr_count 2
		.amdhsa_user_sgpr_dispatch_ptr 0
		.amdhsa_user_sgpr_queue_ptr 0
		.amdhsa_user_sgpr_kernarg_segment_ptr 1
		.amdhsa_user_sgpr_dispatch_id 0
		.amdhsa_user_sgpr_kernarg_preload_length 0
		.amdhsa_user_sgpr_kernarg_preload_offset 0
		.amdhsa_user_sgpr_private_segment_size 0
		.amdhsa_uses_dynamic_stack 0
		.amdhsa_enable_private_segment 0
		.amdhsa_system_sgpr_workgroup_id_x 1
		.amdhsa_system_sgpr_workgroup_id_y 0
		.amdhsa_system_sgpr_workgroup_id_z 0
		.amdhsa_system_sgpr_workgroup_info 0
		.amdhsa_system_vgpr_workitem_id 0
		.amdhsa_next_free_vgpr 1
		.amdhsa_next_free_sgpr 0
		.amdhsa_accum_offset 4
		.amdhsa_reserve_vcc 0
		.amdhsa_float_round_mode_32 0
		.amdhsa_float_round_mode_16_64 0
		.amdhsa_float_denorm_mode_32 3
		.amdhsa_float_denorm_mode_16_64 3
		.amdhsa_dx10_clamp 1
		.amdhsa_ieee_mode 1
		.amdhsa_fp16_overflow 0
		.amdhsa_tg_split 0
		.amdhsa_exception_fp_ieee_invalid_op 0
		.amdhsa_exception_fp_denorm_src 0
		.amdhsa_exception_fp_ieee_div_zero 0
		.amdhsa_exception_fp_ieee_overflow 0
		.amdhsa_exception_fp_ieee_underflow 0
		.amdhsa_exception_fp_ieee_inexact 0
		.amdhsa_exception_int_div_zero 0
	.end_amdhsa_kernel
	.section	.text._ZN7rocprim17ROCPRIM_400000_NS6detail17trampoline_kernelINS0_14default_configENS1_25partition_config_selectorILNS1_17partition_subalgoE1ExNS0_10empty_typeEbEEZZNS1_14partition_implILS5_1ELb0ES3_jN6thrust23THRUST_200600_302600_NS6detail15normal_iteratorINSA_10device_ptrIxEEEEPS6_NSA_18transform_iteratorI7is_evenIxESF_NSA_11use_defaultESK_EENS0_5tupleIJSF_NSA_16discard_iteratorISK_EEEEENSM_IJSG_SG_EEES6_PlJS6_EEE10hipError_tPvRmT3_T4_T5_T6_T7_T9_mT8_P12ihipStream_tbDpT10_ENKUlT_T0_E_clISt17integral_constantIbLb1EES1A_IbLb0EEEEDaS16_S17_EUlS16_E_NS1_11comp_targetILNS1_3genE4ELNS1_11target_archE910ELNS1_3gpuE8ELNS1_3repE0EEENS1_30default_config_static_selectorELNS0_4arch9wavefront6targetE1EEEvT1_,"axG",@progbits,_ZN7rocprim17ROCPRIM_400000_NS6detail17trampoline_kernelINS0_14default_configENS1_25partition_config_selectorILNS1_17partition_subalgoE1ExNS0_10empty_typeEbEEZZNS1_14partition_implILS5_1ELb0ES3_jN6thrust23THRUST_200600_302600_NS6detail15normal_iteratorINSA_10device_ptrIxEEEEPS6_NSA_18transform_iteratorI7is_evenIxESF_NSA_11use_defaultESK_EENS0_5tupleIJSF_NSA_16discard_iteratorISK_EEEEENSM_IJSG_SG_EEES6_PlJS6_EEE10hipError_tPvRmT3_T4_T5_T6_T7_T9_mT8_P12ihipStream_tbDpT10_ENKUlT_T0_E_clISt17integral_constantIbLb1EES1A_IbLb0EEEEDaS16_S17_EUlS16_E_NS1_11comp_targetILNS1_3genE4ELNS1_11target_archE910ELNS1_3gpuE8ELNS1_3repE0EEENS1_30default_config_static_selectorELNS0_4arch9wavefront6targetE1EEEvT1_,comdat
.Lfunc_end3213:
	.size	_ZN7rocprim17ROCPRIM_400000_NS6detail17trampoline_kernelINS0_14default_configENS1_25partition_config_selectorILNS1_17partition_subalgoE1ExNS0_10empty_typeEbEEZZNS1_14partition_implILS5_1ELb0ES3_jN6thrust23THRUST_200600_302600_NS6detail15normal_iteratorINSA_10device_ptrIxEEEEPS6_NSA_18transform_iteratorI7is_evenIxESF_NSA_11use_defaultESK_EENS0_5tupleIJSF_NSA_16discard_iteratorISK_EEEEENSM_IJSG_SG_EEES6_PlJS6_EEE10hipError_tPvRmT3_T4_T5_T6_T7_T9_mT8_P12ihipStream_tbDpT10_ENKUlT_T0_E_clISt17integral_constantIbLb1EES1A_IbLb0EEEEDaS16_S17_EUlS16_E_NS1_11comp_targetILNS1_3genE4ELNS1_11target_archE910ELNS1_3gpuE8ELNS1_3repE0EEENS1_30default_config_static_selectorELNS0_4arch9wavefront6targetE1EEEvT1_, .Lfunc_end3213-_ZN7rocprim17ROCPRIM_400000_NS6detail17trampoline_kernelINS0_14default_configENS1_25partition_config_selectorILNS1_17partition_subalgoE1ExNS0_10empty_typeEbEEZZNS1_14partition_implILS5_1ELb0ES3_jN6thrust23THRUST_200600_302600_NS6detail15normal_iteratorINSA_10device_ptrIxEEEEPS6_NSA_18transform_iteratorI7is_evenIxESF_NSA_11use_defaultESK_EENS0_5tupleIJSF_NSA_16discard_iteratorISK_EEEEENSM_IJSG_SG_EEES6_PlJS6_EEE10hipError_tPvRmT3_T4_T5_T6_T7_T9_mT8_P12ihipStream_tbDpT10_ENKUlT_T0_E_clISt17integral_constantIbLb1EES1A_IbLb0EEEEDaS16_S17_EUlS16_E_NS1_11comp_targetILNS1_3genE4ELNS1_11target_archE910ELNS1_3gpuE8ELNS1_3repE0EEENS1_30default_config_static_selectorELNS0_4arch9wavefront6targetE1EEEvT1_
                                        ; -- End function
	.section	.AMDGPU.csdata,"",@progbits
; Kernel info:
; codeLenInByte = 0
; NumSgprs: 6
; NumVgprs: 0
; NumAgprs: 0
; TotalNumVgprs: 0
; ScratchSize: 0
; MemoryBound: 0
; FloatMode: 240
; IeeeMode: 1
; LDSByteSize: 0 bytes/workgroup (compile time only)
; SGPRBlocks: 0
; VGPRBlocks: 0
; NumSGPRsForWavesPerEU: 6
; NumVGPRsForWavesPerEU: 1
; AccumOffset: 4
; Occupancy: 8
; WaveLimiterHint : 0
; COMPUTE_PGM_RSRC2:SCRATCH_EN: 0
; COMPUTE_PGM_RSRC2:USER_SGPR: 2
; COMPUTE_PGM_RSRC2:TRAP_HANDLER: 0
; COMPUTE_PGM_RSRC2:TGID_X_EN: 1
; COMPUTE_PGM_RSRC2:TGID_Y_EN: 0
; COMPUTE_PGM_RSRC2:TGID_Z_EN: 0
; COMPUTE_PGM_RSRC2:TIDIG_COMP_CNT: 0
; COMPUTE_PGM_RSRC3_GFX90A:ACCUM_OFFSET: 0
; COMPUTE_PGM_RSRC3_GFX90A:TG_SPLIT: 0
	.section	.text._ZN7rocprim17ROCPRIM_400000_NS6detail17trampoline_kernelINS0_14default_configENS1_25partition_config_selectorILNS1_17partition_subalgoE1ExNS0_10empty_typeEbEEZZNS1_14partition_implILS5_1ELb0ES3_jN6thrust23THRUST_200600_302600_NS6detail15normal_iteratorINSA_10device_ptrIxEEEEPS6_NSA_18transform_iteratorI7is_evenIxESF_NSA_11use_defaultESK_EENS0_5tupleIJSF_NSA_16discard_iteratorISK_EEEEENSM_IJSG_SG_EEES6_PlJS6_EEE10hipError_tPvRmT3_T4_T5_T6_T7_T9_mT8_P12ihipStream_tbDpT10_ENKUlT_T0_E_clISt17integral_constantIbLb1EES1A_IbLb0EEEEDaS16_S17_EUlS16_E_NS1_11comp_targetILNS1_3genE3ELNS1_11target_archE908ELNS1_3gpuE7ELNS1_3repE0EEENS1_30default_config_static_selectorELNS0_4arch9wavefront6targetE1EEEvT1_,"axG",@progbits,_ZN7rocprim17ROCPRIM_400000_NS6detail17trampoline_kernelINS0_14default_configENS1_25partition_config_selectorILNS1_17partition_subalgoE1ExNS0_10empty_typeEbEEZZNS1_14partition_implILS5_1ELb0ES3_jN6thrust23THRUST_200600_302600_NS6detail15normal_iteratorINSA_10device_ptrIxEEEEPS6_NSA_18transform_iteratorI7is_evenIxESF_NSA_11use_defaultESK_EENS0_5tupleIJSF_NSA_16discard_iteratorISK_EEEEENSM_IJSG_SG_EEES6_PlJS6_EEE10hipError_tPvRmT3_T4_T5_T6_T7_T9_mT8_P12ihipStream_tbDpT10_ENKUlT_T0_E_clISt17integral_constantIbLb1EES1A_IbLb0EEEEDaS16_S17_EUlS16_E_NS1_11comp_targetILNS1_3genE3ELNS1_11target_archE908ELNS1_3gpuE7ELNS1_3repE0EEENS1_30default_config_static_selectorELNS0_4arch9wavefront6targetE1EEEvT1_,comdat
	.protected	_ZN7rocprim17ROCPRIM_400000_NS6detail17trampoline_kernelINS0_14default_configENS1_25partition_config_selectorILNS1_17partition_subalgoE1ExNS0_10empty_typeEbEEZZNS1_14partition_implILS5_1ELb0ES3_jN6thrust23THRUST_200600_302600_NS6detail15normal_iteratorINSA_10device_ptrIxEEEEPS6_NSA_18transform_iteratorI7is_evenIxESF_NSA_11use_defaultESK_EENS0_5tupleIJSF_NSA_16discard_iteratorISK_EEEEENSM_IJSG_SG_EEES6_PlJS6_EEE10hipError_tPvRmT3_T4_T5_T6_T7_T9_mT8_P12ihipStream_tbDpT10_ENKUlT_T0_E_clISt17integral_constantIbLb1EES1A_IbLb0EEEEDaS16_S17_EUlS16_E_NS1_11comp_targetILNS1_3genE3ELNS1_11target_archE908ELNS1_3gpuE7ELNS1_3repE0EEENS1_30default_config_static_selectorELNS0_4arch9wavefront6targetE1EEEvT1_ ; -- Begin function _ZN7rocprim17ROCPRIM_400000_NS6detail17trampoline_kernelINS0_14default_configENS1_25partition_config_selectorILNS1_17partition_subalgoE1ExNS0_10empty_typeEbEEZZNS1_14partition_implILS5_1ELb0ES3_jN6thrust23THRUST_200600_302600_NS6detail15normal_iteratorINSA_10device_ptrIxEEEEPS6_NSA_18transform_iteratorI7is_evenIxESF_NSA_11use_defaultESK_EENS0_5tupleIJSF_NSA_16discard_iteratorISK_EEEEENSM_IJSG_SG_EEES6_PlJS6_EEE10hipError_tPvRmT3_T4_T5_T6_T7_T9_mT8_P12ihipStream_tbDpT10_ENKUlT_T0_E_clISt17integral_constantIbLb1EES1A_IbLb0EEEEDaS16_S17_EUlS16_E_NS1_11comp_targetILNS1_3genE3ELNS1_11target_archE908ELNS1_3gpuE7ELNS1_3repE0EEENS1_30default_config_static_selectorELNS0_4arch9wavefront6targetE1EEEvT1_
	.globl	_ZN7rocprim17ROCPRIM_400000_NS6detail17trampoline_kernelINS0_14default_configENS1_25partition_config_selectorILNS1_17partition_subalgoE1ExNS0_10empty_typeEbEEZZNS1_14partition_implILS5_1ELb0ES3_jN6thrust23THRUST_200600_302600_NS6detail15normal_iteratorINSA_10device_ptrIxEEEEPS6_NSA_18transform_iteratorI7is_evenIxESF_NSA_11use_defaultESK_EENS0_5tupleIJSF_NSA_16discard_iteratorISK_EEEEENSM_IJSG_SG_EEES6_PlJS6_EEE10hipError_tPvRmT3_T4_T5_T6_T7_T9_mT8_P12ihipStream_tbDpT10_ENKUlT_T0_E_clISt17integral_constantIbLb1EES1A_IbLb0EEEEDaS16_S17_EUlS16_E_NS1_11comp_targetILNS1_3genE3ELNS1_11target_archE908ELNS1_3gpuE7ELNS1_3repE0EEENS1_30default_config_static_selectorELNS0_4arch9wavefront6targetE1EEEvT1_
	.p2align	8
	.type	_ZN7rocprim17ROCPRIM_400000_NS6detail17trampoline_kernelINS0_14default_configENS1_25partition_config_selectorILNS1_17partition_subalgoE1ExNS0_10empty_typeEbEEZZNS1_14partition_implILS5_1ELb0ES3_jN6thrust23THRUST_200600_302600_NS6detail15normal_iteratorINSA_10device_ptrIxEEEEPS6_NSA_18transform_iteratorI7is_evenIxESF_NSA_11use_defaultESK_EENS0_5tupleIJSF_NSA_16discard_iteratorISK_EEEEENSM_IJSG_SG_EEES6_PlJS6_EEE10hipError_tPvRmT3_T4_T5_T6_T7_T9_mT8_P12ihipStream_tbDpT10_ENKUlT_T0_E_clISt17integral_constantIbLb1EES1A_IbLb0EEEEDaS16_S17_EUlS16_E_NS1_11comp_targetILNS1_3genE3ELNS1_11target_archE908ELNS1_3gpuE7ELNS1_3repE0EEENS1_30default_config_static_selectorELNS0_4arch9wavefront6targetE1EEEvT1_,@function
_ZN7rocprim17ROCPRIM_400000_NS6detail17trampoline_kernelINS0_14default_configENS1_25partition_config_selectorILNS1_17partition_subalgoE1ExNS0_10empty_typeEbEEZZNS1_14partition_implILS5_1ELb0ES3_jN6thrust23THRUST_200600_302600_NS6detail15normal_iteratorINSA_10device_ptrIxEEEEPS6_NSA_18transform_iteratorI7is_evenIxESF_NSA_11use_defaultESK_EENS0_5tupleIJSF_NSA_16discard_iteratorISK_EEEEENSM_IJSG_SG_EEES6_PlJS6_EEE10hipError_tPvRmT3_T4_T5_T6_T7_T9_mT8_P12ihipStream_tbDpT10_ENKUlT_T0_E_clISt17integral_constantIbLb1EES1A_IbLb0EEEEDaS16_S17_EUlS16_E_NS1_11comp_targetILNS1_3genE3ELNS1_11target_archE908ELNS1_3gpuE7ELNS1_3repE0EEENS1_30default_config_static_selectorELNS0_4arch9wavefront6targetE1EEEvT1_: ; @_ZN7rocprim17ROCPRIM_400000_NS6detail17trampoline_kernelINS0_14default_configENS1_25partition_config_selectorILNS1_17partition_subalgoE1ExNS0_10empty_typeEbEEZZNS1_14partition_implILS5_1ELb0ES3_jN6thrust23THRUST_200600_302600_NS6detail15normal_iteratorINSA_10device_ptrIxEEEEPS6_NSA_18transform_iteratorI7is_evenIxESF_NSA_11use_defaultESK_EENS0_5tupleIJSF_NSA_16discard_iteratorISK_EEEEENSM_IJSG_SG_EEES6_PlJS6_EEE10hipError_tPvRmT3_T4_T5_T6_T7_T9_mT8_P12ihipStream_tbDpT10_ENKUlT_T0_E_clISt17integral_constantIbLb1EES1A_IbLb0EEEEDaS16_S17_EUlS16_E_NS1_11comp_targetILNS1_3genE3ELNS1_11target_archE908ELNS1_3gpuE7ELNS1_3repE0EEENS1_30default_config_static_selectorELNS0_4arch9wavefront6targetE1EEEvT1_
; %bb.0:
	.section	.rodata,"a",@progbits
	.p2align	6, 0x0
	.amdhsa_kernel _ZN7rocprim17ROCPRIM_400000_NS6detail17trampoline_kernelINS0_14default_configENS1_25partition_config_selectorILNS1_17partition_subalgoE1ExNS0_10empty_typeEbEEZZNS1_14partition_implILS5_1ELb0ES3_jN6thrust23THRUST_200600_302600_NS6detail15normal_iteratorINSA_10device_ptrIxEEEEPS6_NSA_18transform_iteratorI7is_evenIxESF_NSA_11use_defaultESK_EENS0_5tupleIJSF_NSA_16discard_iteratorISK_EEEEENSM_IJSG_SG_EEES6_PlJS6_EEE10hipError_tPvRmT3_T4_T5_T6_T7_T9_mT8_P12ihipStream_tbDpT10_ENKUlT_T0_E_clISt17integral_constantIbLb1EES1A_IbLb0EEEEDaS16_S17_EUlS16_E_NS1_11comp_targetILNS1_3genE3ELNS1_11target_archE908ELNS1_3gpuE7ELNS1_3repE0EEENS1_30default_config_static_selectorELNS0_4arch9wavefront6targetE1EEEvT1_
		.amdhsa_group_segment_fixed_size 0
		.amdhsa_private_segment_fixed_size 0
		.amdhsa_kernarg_size 136
		.amdhsa_user_sgpr_count 2
		.amdhsa_user_sgpr_dispatch_ptr 0
		.amdhsa_user_sgpr_queue_ptr 0
		.amdhsa_user_sgpr_kernarg_segment_ptr 1
		.amdhsa_user_sgpr_dispatch_id 0
		.amdhsa_user_sgpr_kernarg_preload_length 0
		.amdhsa_user_sgpr_kernarg_preload_offset 0
		.amdhsa_user_sgpr_private_segment_size 0
		.amdhsa_uses_dynamic_stack 0
		.amdhsa_enable_private_segment 0
		.amdhsa_system_sgpr_workgroup_id_x 1
		.amdhsa_system_sgpr_workgroup_id_y 0
		.amdhsa_system_sgpr_workgroup_id_z 0
		.amdhsa_system_sgpr_workgroup_info 0
		.amdhsa_system_vgpr_workitem_id 0
		.amdhsa_next_free_vgpr 1
		.amdhsa_next_free_sgpr 0
		.amdhsa_accum_offset 4
		.amdhsa_reserve_vcc 0
		.amdhsa_float_round_mode_32 0
		.amdhsa_float_round_mode_16_64 0
		.amdhsa_float_denorm_mode_32 3
		.amdhsa_float_denorm_mode_16_64 3
		.amdhsa_dx10_clamp 1
		.amdhsa_ieee_mode 1
		.amdhsa_fp16_overflow 0
		.amdhsa_tg_split 0
		.amdhsa_exception_fp_ieee_invalid_op 0
		.amdhsa_exception_fp_denorm_src 0
		.amdhsa_exception_fp_ieee_div_zero 0
		.amdhsa_exception_fp_ieee_overflow 0
		.amdhsa_exception_fp_ieee_underflow 0
		.amdhsa_exception_fp_ieee_inexact 0
		.amdhsa_exception_int_div_zero 0
	.end_amdhsa_kernel
	.section	.text._ZN7rocprim17ROCPRIM_400000_NS6detail17trampoline_kernelINS0_14default_configENS1_25partition_config_selectorILNS1_17partition_subalgoE1ExNS0_10empty_typeEbEEZZNS1_14partition_implILS5_1ELb0ES3_jN6thrust23THRUST_200600_302600_NS6detail15normal_iteratorINSA_10device_ptrIxEEEEPS6_NSA_18transform_iteratorI7is_evenIxESF_NSA_11use_defaultESK_EENS0_5tupleIJSF_NSA_16discard_iteratorISK_EEEEENSM_IJSG_SG_EEES6_PlJS6_EEE10hipError_tPvRmT3_T4_T5_T6_T7_T9_mT8_P12ihipStream_tbDpT10_ENKUlT_T0_E_clISt17integral_constantIbLb1EES1A_IbLb0EEEEDaS16_S17_EUlS16_E_NS1_11comp_targetILNS1_3genE3ELNS1_11target_archE908ELNS1_3gpuE7ELNS1_3repE0EEENS1_30default_config_static_selectorELNS0_4arch9wavefront6targetE1EEEvT1_,"axG",@progbits,_ZN7rocprim17ROCPRIM_400000_NS6detail17trampoline_kernelINS0_14default_configENS1_25partition_config_selectorILNS1_17partition_subalgoE1ExNS0_10empty_typeEbEEZZNS1_14partition_implILS5_1ELb0ES3_jN6thrust23THRUST_200600_302600_NS6detail15normal_iteratorINSA_10device_ptrIxEEEEPS6_NSA_18transform_iteratorI7is_evenIxESF_NSA_11use_defaultESK_EENS0_5tupleIJSF_NSA_16discard_iteratorISK_EEEEENSM_IJSG_SG_EEES6_PlJS6_EEE10hipError_tPvRmT3_T4_T5_T6_T7_T9_mT8_P12ihipStream_tbDpT10_ENKUlT_T0_E_clISt17integral_constantIbLb1EES1A_IbLb0EEEEDaS16_S17_EUlS16_E_NS1_11comp_targetILNS1_3genE3ELNS1_11target_archE908ELNS1_3gpuE7ELNS1_3repE0EEENS1_30default_config_static_selectorELNS0_4arch9wavefront6targetE1EEEvT1_,comdat
.Lfunc_end3214:
	.size	_ZN7rocprim17ROCPRIM_400000_NS6detail17trampoline_kernelINS0_14default_configENS1_25partition_config_selectorILNS1_17partition_subalgoE1ExNS0_10empty_typeEbEEZZNS1_14partition_implILS5_1ELb0ES3_jN6thrust23THRUST_200600_302600_NS6detail15normal_iteratorINSA_10device_ptrIxEEEEPS6_NSA_18transform_iteratorI7is_evenIxESF_NSA_11use_defaultESK_EENS0_5tupleIJSF_NSA_16discard_iteratorISK_EEEEENSM_IJSG_SG_EEES6_PlJS6_EEE10hipError_tPvRmT3_T4_T5_T6_T7_T9_mT8_P12ihipStream_tbDpT10_ENKUlT_T0_E_clISt17integral_constantIbLb1EES1A_IbLb0EEEEDaS16_S17_EUlS16_E_NS1_11comp_targetILNS1_3genE3ELNS1_11target_archE908ELNS1_3gpuE7ELNS1_3repE0EEENS1_30default_config_static_selectorELNS0_4arch9wavefront6targetE1EEEvT1_, .Lfunc_end3214-_ZN7rocprim17ROCPRIM_400000_NS6detail17trampoline_kernelINS0_14default_configENS1_25partition_config_selectorILNS1_17partition_subalgoE1ExNS0_10empty_typeEbEEZZNS1_14partition_implILS5_1ELb0ES3_jN6thrust23THRUST_200600_302600_NS6detail15normal_iteratorINSA_10device_ptrIxEEEEPS6_NSA_18transform_iteratorI7is_evenIxESF_NSA_11use_defaultESK_EENS0_5tupleIJSF_NSA_16discard_iteratorISK_EEEEENSM_IJSG_SG_EEES6_PlJS6_EEE10hipError_tPvRmT3_T4_T5_T6_T7_T9_mT8_P12ihipStream_tbDpT10_ENKUlT_T0_E_clISt17integral_constantIbLb1EES1A_IbLb0EEEEDaS16_S17_EUlS16_E_NS1_11comp_targetILNS1_3genE3ELNS1_11target_archE908ELNS1_3gpuE7ELNS1_3repE0EEENS1_30default_config_static_selectorELNS0_4arch9wavefront6targetE1EEEvT1_
                                        ; -- End function
	.section	.AMDGPU.csdata,"",@progbits
; Kernel info:
; codeLenInByte = 0
; NumSgprs: 6
; NumVgprs: 0
; NumAgprs: 0
; TotalNumVgprs: 0
; ScratchSize: 0
; MemoryBound: 0
; FloatMode: 240
; IeeeMode: 1
; LDSByteSize: 0 bytes/workgroup (compile time only)
; SGPRBlocks: 0
; VGPRBlocks: 0
; NumSGPRsForWavesPerEU: 6
; NumVGPRsForWavesPerEU: 1
; AccumOffset: 4
; Occupancy: 8
; WaveLimiterHint : 0
; COMPUTE_PGM_RSRC2:SCRATCH_EN: 0
; COMPUTE_PGM_RSRC2:USER_SGPR: 2
; COMPUTE_PGM_RSRC2:TRAP_HANDLER: 0
; COMPUTE_PGM_RSRC2:TGID_X_EN: 1
; COMPUTE_PGM_RSRC2:TGID_Y_EN: 0
; COMPUTE_PGM_RSRC2:TGID_Z_EN: 0
; COMPUTE_PGM_RSRC2:TIDIG_COMP_CNT: 0
; COMPUTE_PGM_RSRC3_GFX90A:ACCUM_OFFSET: 0
; COMPUTE_PGM_RSRC3_GFX90A:TG_SPLIT: 0
	.section	.text._ZN7rocprim17ROCPRIM_400000_NS6detail17trampoline_kernelINS0_14default_configENS1_25partition_config_selectorILNS1_17partition_subalgoE1ExNS0_10empty_typeEbEEZZNS1_14partition_implILS5_1ELb0ES3_jN6thrust23THRUST_200600_302600_NS6detail15normal_iteratorINSA_10device_ptrIxEEEEPS6_NSA_18transform_iteratorI7is_evenIxESF_NSA_11use_defaultESK_EENS0_5tupleIJSF_NSA_16discard_iteratorISK_EEEEENSM_IJSG_SG_EEES6_PlJS6_EEE10hipError_tPvRmT3_T4_T5_T6_T7_T9_mT8_P12ihipStream_tbDpT10_ENKUlT_T0_E_clISt17integral_constantIbLb1EES1A_IbLb0EEEEDaS16_S17_EUlS16_E_NS1_11comp_targetILNS1_3genE2ELNS1_11target_archE906ELNS1_3gpuE6ELNS1_3repE0EEENS1_30default_config_static_selectorELNS0_4arch9wavefront6targetE1EEEvT1_,"axG",@progbits,_ZN7rocprim17ROCPRIM_400000_NS6detail17trampoline_kernelINS0_14default_configENS1_25partition_config_selectorILNS1_17partition_subalgoE1ExNS0_10empty_typeEbEEZZNS1_14partition_implILS5_1ELb0ES3_jN6thrust23THRUST_200600_302600_NS6detail15normal_iteratorINSA_10device_ptrIxEEEEPS6_NSA_18transform_iteratorI7is_evenIxESF_NSA_11use_defaultESK_EENS0_5tupleIJSF_NSA_16discard_iteratorISK_EEEEENSM_IJSG_SG_EEES6_PlJS6_EEE10hipError_tPvRmT3_T4_T5_T6_T7_T9_mT8_P12ihipStream_tbDpT10_ENKUlT_T0_E_clISt17integral_constantIbLb1EES1A_IbLb0EEEEDaS16_S17_EUlS16_E_NS1_11comp_targetILNS1_3genE2ELNS1_11target_archE906ELNS1_3gpuE6ELNS1_3repE0EEENS1_30default_config_static_selectorELNS0_4arch9wavefront6targetE1EEEvT1_,comdat
	.protected	_ZN7rocprim17ROCPRIM_400000_NS6detail17trampoline_kernelINS0_14default_configENS1_25partition_config_selectorILNS1_17partition_subalgoE1ExNS0_10empty_typeEbEEZZNS1_14partition_implILS5_1ELb0ES3_jN6thrust23THRUST_200600_302600_NS6detail15normal_iteratorINSA_10device_ptrIxEEEEPS6_NSA_18transform_iteratorI7is_evenIxESF_NSA_11use_defaultESK_EENS0_5tupleIJSF_NSA_16discard_iteratorISK_EEEEENSM_IJSG_SG_EEES6_PlJS6_EEE10hipError_tPvRmT3_T4_T5_T6_T7_T9_mT8_P12ihipStream_tbDpT10_ENKUlT_T0_E_clISt17integral_constantIbLb1EES1A_IbLb0EEEEDaS16_S17_EUlS16_E_NS1_11comp_targetILNS1_3genE2ELNS1_11target_archE906ELNS1_3gpuE6ELNS1_3repE0EEENS1_30default_config_static_selectorELNS0_4arch9wavefront6targetE1EEEvT1_ ; -- Begin function _ZN7rocprim17ROCPRIM_400000_NS6detail17trampoline_kernelINS0_14default_configENS1_25partition_config_selectorILNS1_17partition_subalgoE1ExNS0_10empty_typeEbEEZZNS1_14partition_implILS5_1ELb0ES3_jN6thrust23THRUST_200600_302600_NS6detail15normal_iteratorINSA_10device_ptrIxEEEEPS6_NSA_18transform_iteratorI7is_evenIxESF_NSA_11use_defaultESK_EENS0_5tupleIJSF_NSA_16discard_iteratorISK_EEEEENSM_IJSG_SG_EEES6_PlJS6_EEE10hipError_tPvRmT3_T4_T5_T6_T7_T9_mT8_P12ihipStream_tbDpT10_ENKUlT_T0_E_clISt17integral_constantIbLb1EES1A_IbLb0EEEEDaS16_S17_EUlS16_E_NS1_11comp_targetILNS1_3genE2ELNS1_11target_archE906ELNS1_3gpuE6ELNS1_3repE0EEENS1_30default_config_static_selectorELNS0_4arch9wavefront6targetE1EEEvT1_
	.globl	_ZN7rocprim17ROCPRIM_400000_NS6detail17trampoline_kernelINS0_14default_configENS1_25partition_config_selectorILNS1_17partition_subalgoE1ExNS0_10empty_typeEbEEZZNS1_14partition_implILS5_1ELb0ES3_jN6thrust23THRUST_200600_302600_NS6detail15normal_iteratorINSA_10device_ptrIxEEEEPS6_NSA_18transform_iteratorI7is_evenIxESF_NSA_11use_defaultESK_EENS0_5tupleIJSF_NSA_16discard_iteratorISK_EEEEENSM_IJSG_SG_EEES6_PlJS6_EEE10hipError_tPvRmT3_T4_T5_T6_T7_T9_mT8_P12ihipStream_tbDpT10_ENKUlT_T0_E_clISt17integral_constantIbLb1EES1A_IbLb0EEEEDaS16_S17_EUlS16_E_NS1_11comp_targetILNS1_3genE2ELNS1_11target_archE906ELNS1_3gpuE6ELNS1_3repE0EEENS1_30default_config_static_selectorELNS0_4arch9wavefront6targetE1EEEvT1_
	.p2align	8
	.type	_ZN7rocprim17ROCPRIM_400000_NS6detail17trampoline_kernelINS0_14default_configENS1_25partition_config_selectorILNS1_17partition_subalgoE1ExNS0_10empty_typeEbEEZZNS1_14partition_implILS5_1ELb0ES3_jN6thrust23THRUST_200600_302600_NS6detail15normal_iteratorINSA_10device_ptrIxEEEEPS6_NSA_18transform_iteratorI7is_evenIxESF_NSA_11use_defaultESK_EENS0_5tupleIJSF_NSA_16discard_iteratorISK_EEEEENSM_IJSG_SG_EEES6_PlJS6_EEE10hipError_tPvRmT3_T4_T5_T6_T7_T9_mT8_P12ihipStream_tbDpT10_ENKUlT_T0_E_clISt17integral_constantIbLb1EES1A_IbLb0EEEEDaS16_S17_EUlS16_E_NS1_11comp_targetILNS1_3genE2ELNS1_11target_archE906ELNS1_3gpuE6ELNS1_3repE0EEENS1_30default_config_static_selectorELNS0_4arch9wavefront6targetE1EEEvT1_,@function
_ZN7rocprim17ROCPRIM_400000_NS6detail17trampoline_kernelINS0_14default_configENS1_25partition_config_selectorILNS1_17partition_subalgoE1ExNS0_10empty_typeEbEEZZNS1_14partition_implILS5_1ELb0ES3_jN6thrust23THRUST_200600_302600_NS6detail15normal_iteratorINSA_10device_ptrIxEEEEPS6_NSA_18transform_iteratorI7is_evenIxESF_NSA_11use_defaultESK_EENS0_5tupleIJSF_NSA_16discard_iteratorISK_EEEEENSM_IJSG_SG_EEES6_PlJS6_EEE10hipError_tPvRmT3_T4_T5_T6_T7_T9_mT8_P12ihipStream_tbDpT10_ENKUlT_T0_E_clISt17integral_constantIbLb1EES1A_IbLb0EEEEDaS16_S17_EUlS16_E_NS1_11comp_targetILNS1_3genE2ELNS1_11target_archE906ELNS1_3gpuE6ELNS1_3repE0EEENS1_30default_config_static_selectorELNS0_4arch9wavefront6targetE1EEEvT1_: ; @_ZN7rocprim17ROCPRIM_400000_NS6detail17trampoline_kernelINS0_14default_configENS1_25partition_config_selectorILNS1_17partition_subalgoE1ExNS0_10empty_typeEbEEZZNS1_14partition_implILS5_1ELb0ES3_jN6thrust23THRUST_200600_302600_NS6detail15normal_iteratorINSA_10device_ptrIxEEEEPS6_NSA_18transform_iteratorI7is_evenIxESF_NSA_11use_defaultESK_EENS0_5tupleIJSF_NSA_16discard_iteratorISK_EEEEENSM_IJSG_SG_EEES6_PlJS6_EEE10hipError_tPvRmT3_T4_T5_T6_T7_T9_mT8_P12ihipStream_tbDpT10_ENKUlT_T0_E_clISt17integral_constantIbLb1EES1A_IbLb0EEEEDaS16_S17_EUlS16_E_NS1_11comp_targetILNS1_3genE2ELNS1_11target_archE906ELNS1_3gpuE6ELNS1_3repE0EEENS1_30default_config_static_selectorELNS0_4arch9wavefront6targetE1EEEvT1_
; %bb.0:
	.section	.rodata,"a",@progbits
	.p2align	6, 0x0
	.amdhsa_kernel _ZN7rocprim17ROCPRIM_400000_NS6detail17trampoline_kernelINS0_14default_configENS1_25partition_config_selectorILNS1_17partition_subalgoE1ExNS0_10empty_typeEbEEZZNS1_14partition_implILS5_1ELb0ES3_jN6thrust23THRUST_200600_302600_NS6detail15normal_iteratorINSA_10device_ptrIxEEEEPS6_NSA_18transform_iteratorI7is_evenIxESF_NSA_11use_defaultESK_EENS0_5tupleIJSF_NSA_16discard_iteratorISK_EEEEENSM_IJSG_SG_EEES6_PlJS6_EEE10hipError_tPvRmT3_T4_T5_T6_T7_T9_mT8_P12ihipStream_tbDpT10_ENKUlT_T0_E_clISt17integral_constantIbLb1EES1A_IbLb0EEEEDaS16_S17_EUlS16_E_NS1_11comp_targetILNS1_3genE2ELNS1_11target_archE906ELNS1_3gpuE6ELNS1_3repE0EEENS1_30default_config_static_selectorELNS0_4arch9wavefront6targetE1EEEvT1_
		.amdhsa_group_segment_fixed_size 0
		.amdhsa_private_segment_fixed_size 0
		.amdhsa_kernarg_size 136
		.amdhsa_user_sgpr_count 2
		.amdhsa_user_sgpr_dispatch_ptr 0
		.amdhsa_user_sgpr_queue_ptr 0
		.amdhsa_user_sgpr_kernarg_segment_ptr 1
		.amdhsa_user_sgpr_dispatch_id 0
		.amdhsa_user_sgpr_kernarg_preload_length 0
		.amdhsa_user_sgpr_kernarg_preload_offset 0
		.amdhsa_user_sgpr_private_segment_size 0
		.amdhsa_uses_dynamic_stack 0
		.amdhsa_enable_private_segment 0
		.amdhsa_system_sgpr_workgroup_id_x 1
		.amdhsa_system_sgpr_workgroup_id_y 0
		.amdhsa_system_sgpr_workgroup_id_z 0
		.amdhsa_system_sgpr_workgroup_info 0
		.amdhsa_system_vgpr_workitem_id 0
		.amdhsa_next_free_vgpr 1
		.amdhsa_next_free_sgpr 0
		.amdhsa_accum_offset 4
		.amdhsa_reserve_vcc 0
		.amdhsa_float_round_mode_32 0
		.amdhsa_float_round_mode_16_64 0
		.amdhsa_float_denorm_mode_32 3
		.amdhsa_float_denorm_mode_16_64 3
		.amdhsa_dx10_clamp 1
		.amdhsa_ieee_mode 1
		.amdhsa_fp16_overflow 0
		.amdhsa_tg_split 0
		.amdhsa_exception_fp_ieee_invalid_op 0
		.amdhsa_exception_fp_denorm_src 0
		.amdhsa_exception_fp_ieee_div_zero 0
		.amdhsa_exception_fp_ieee_overflow 0
		.amdhsa_exception_fp_ieee_underflow 0
		.amdhsa_exception_fp_ieee_inexact 0
		.amdhsa_exception_int_div_zero 0
	.end_amdhsa_kernel
	.section	.text._ZN7rocprim17ROCPRIM_400000_NS6detail17trampoline_kernelINS0_14default_configENS1_25partition_config_selectorILNS1_17partition_subalgoE1ExNS0_10empty_typeEbEEZZNS1_14partition_implILS5_1ELb0ES3_jN6thrust23THRUST_200600_302600_NS6detail15normal_iteratorINSA_10device_ptrIxEEEEPS6_NSA_18transform_iteratorI7is_evenIxESF_NSA_11use_defaultESK_EENS0_5tupleIJSF_NSA_16discard_iteratorISK_EEEEENSM_IJSG_SG_EEES6_PlJS6_EEE10hipError_tPvRmT3_T4_T5_T6_T7_T9_mT8_P12ihipStream_tbDpT10_ENKUlT_T0_E_clISt17integral_constantIbLb1EES1A_IbLb0EEEEDaS16_S17_EUlS16_E_NS1_11comp_targetILNS1_3genE2ELNS1_11target_archE906ELNS1_3gpuE6ELNS1_3repE0EEENS1_30default_config_static_selectorELNS0_4arch9wavefront6targetE1EEEvT1_,"axG",@progbits,_ZN7rocprim17ROCPRIM_400000_NS6detail17trampoline_kernelINS0_14default_configENS1_25partition_config_selectorILNS1_17partition_subalgoE1ExNS0_10empty_typeEbEEZZNS1_14partition_implILS5_1ELb0ES3_jN6thrust23THRUST_200600_302600_NS6detail15normal_iteratorINSA_10device_ptrIxEEEEPS6_NSA_18transform_iteratorI7is_evenIxESF_NSA_11use_defaultESK_EENS0_5tupleIJSF_NSA_16discard_iteratorISK_EEEEENSM_IJSG_SG_EEES6_PlJS6_EEE10hipError_tPvRmT3_T4_T5_T6_T7_T9_mT8_P12ihipStream_tbDpT10_ENKUlT_T0_E_clISt17integral_constantIbLb1EES1A_IbLb0EEEEDaS16_S17_EUlS16_E_NS1_11comp_targetILNS1_3genE2ELNS1_11target_archE906ELNS1_3gpuE6ELNS1_3repE0EEENS1_30default_config_static_selectorELNS0_4arch9wavefront6targetE1EEEvT1_,comdat
.Lfunc_end3215:
	.size	_ZN7rocprim17ROCPRIM_400000_NS6detail17trampoline_kernelINS0_14default_configENS1_25partition_config_selectorILNS1_17partition_subalgoE1ExNS0_10empty_typeEbEEZZNS1_14partition_implILS5_1ELb0ES3_jN6thrust23THRUST_200600_302600_NS6detail15normal_iteratorINSA_10device_ptrIxEEEEPS6_NSA_18transform_iteratorI7is_evenIxESF_NSA_11use_defaultESK_EENS0_5tupleIJSF_NSA_16discard_iteratorISK_EEEEENSM_IJSG_SG_EEES6_PlJS6_EEE10hipError_tPvRmT3_T4_T5_T6_T7_T9_mT8_P12ihipStream_tbDpT10_ENKUlT_T0_E_clISt17integral_constantIbLb1EES1A_IbLb0EEEEDaS16_S17_EUlS16_E_NS1_11comp_targetILNS1_3genE2ELNS1_11target_archE906ELNS1_3gpuE6ELNS1_3repE0EEENS1_30default_config_static_selectorELNS0_4arch9wavefront6targetE1EEEvT1_, .Lfunc_end3215-_ZN7rocprim17ROCPRIM_400000_NS6detail17trampoline_kernelINS0_14default_configENS1_25partition_config_selectorILNS1_17partition_subalgoE1ExNS0_10empty_typeEbEEZZNS1_14partition_implILS5_1ELb0ES3_jN6thrust23THRUST_200600_302600_NS6detail15normal_iteratorINSA_10device_ptrIxEEEEPS6_NSA_18transform_iteratorI7is_evenIxESF_NSA_11use_defaultESK_EENS0_5tupleIJSF_NSA_16discard_iteratorISK_EEEEENSM_IJSG_SG_EEES6_PlJS6_EEE10hipError_tPvRmT3_T4_T5_T6_T7_T9_mT8_P12ihipStream_tbDpT10_ENKUlT_T0_E_clISt17integral_constantIbLb1EES1A_IbLb0EEEEDaS16_S17_EUlS16_E_NS1_11comp_targetILNS1_3genE2ELNS1_11target_archE906ELNS1_3gpuE6ELNS1_3repE0EEENS1_30default_config_static_selectorELNS0_4arch9wavefront6targetE1EEEvT1_
                                        ; -- End function
	.section	.AMDGPU.csdata,"",@progbits
; Kernel info:
; codeLenInByte = 0
; NumSgprs: 6
; NumVgprs: 0
; NumAgprs: 0
; TotalNumVgprs: 0
; ScratchSize: 0
; MemoryBound: 0
; FloatMode: 240
; IeeeMode: 1
; LDSByteSize: 0 bytes/workgroup (compile time only)
; SGPRBlocks: 0
; VGPRBlocks: 0
; NumSGPRsForWavesPerEU: 6
; NumVGPRsForWavesPerEU: 1
; AccumOffset: 4
; Occupancy: 8
; WaveLimiterHint : 0
; COMPUTE_PGM_RSRC2:SCRATCH_EN: 0
; COMPUTE_PGM_RSRC2:USER_SGPR: 2
; COMPUTE_PGM_RSRC2:TRAP_HANDLER: 0
; COMPUTE_PGM_RSRC2:TGID_X_EN: 1
; COMPUTE_PGM_RSRC2:TGID_Y_EN: 0
; COMPUTE_PGM_RSRC2:TGID_Z_EN: 0
; COMPUTE_PGM_RSRC2:TIDIG_COMP_CNT: 0
; COMPUTE_PGM_RSRC3_GFX90A:ACCUM_OFFSET: 0
; COMPUTE_PGM_RSRC3_GFX90A:TG_SPLIT: 0
	.section	.text._ZN7rocprim17ROCPRIM_400000_NS6detail17trampoline_kernelINS0_14default_configENS1_25partition_config_selectorILNS1_17partition_subalgoE1ExNS0_10empty_typeEbEEZZNS1_14partition_implILS5_1ELb0ES3_jN6thrust23THRUST_200600_302600_NS6detail15normal_iteratorINSA_10device_ptrIxEEEEPS6_NSA_18transform_iteratorI7is_evenIxESF_NSA_11use_defaultESK_EENS0_5tupleIJSF_NSA_16discard_iteratorISK_EEEEENSM_IJSG_SG_EEES6_PlJS6_EEE10hipError_tPvRmT3_T4_T5_T6_T7_T9_mT8_P12ihipStream_tbDpT10_ENKUlT_T0_E_clISt17integral_constantIbLb1EES1A_IbLb0EEEEDaS16_S17_EUlS16_E_NS1_11comp_targetILNS1_3genE10ELNS1_11target_archE1200ELNS1_3gpuE4ELNS1_3repE0EEENS1_30default_config_static_selectorELNS0_4arch9wavefront6targetE1EEEvT1_,"axG",@progbits,_ZN7rocprim17ROCPRIM_400000_NS6detail17trampoline_kernelINS0_14default_configENS1_25partition_config_selectorILNS1_17partition_subalgoE1ExNS0_10empty_typeEbEEZZNS1_14partition_implILS5_1ELb0ES3_jN6thrust23THRUST_200600_302600_NS6detail15normal_iteratorINSA_10device_ptrIxEEEEPS6_NSA_18transform_iteratorI7is_evenIxESF_NSA_11use_defaultESK_EENS0_5tupleIJSF_NSA_16discard_iteratorISK_EEEEENSM_IJSG_SG_EEES6_PlJS6_EEE10hipError_tPvRmT3_T4_T5_T6_T7_T9_mT8_P12ihipStream_tbDpT10_ENKUlT_T0_E_clISt17integral_constantIbLb1EES1A_IbLb0EEEEDaS16_S17_EUlS16_E_NS1_11comp_targetILNS1_3genE10ELNS1_11target_archE1200ELNS1_3gpuE4ELNS1_3repE0EEENS1_30default_config_static_selectorELNS0_4arch9wavefront6targetE1EEEvT1_,comdat
	.protected	_ZN7rocprim17ROCPRIM_400000_NS6detail17trampoline_kernelINS0_14default_configENS1_25partition_config_selectorILNS1_17partition_subalgoE1ExNS0_10empty_typeEbEEZZNS1_14partition_implILS5_1ELb0ES3_jN6thrust23THRUST_200600_302600_NS6detail15normal_iteratorINSA_10device_ptrIxEEEEPS6_NSA_18transform_iteratorI7is_evenIxESF_NSA_11use_defaultESK_EENS0_5tupleIJSF_NSA_16discard_iteratorISK_EEEEENSM_IJSG_SG_EEES6_PlJS6_EEE10hipError_tPvRmT3_T4_T5_T6_T7_T9_mT8_P12ihipStream_tbDpT10_ENKUlT_T0_E_clISt17integral_constantIbLb1EES1A_IbLb0EEEEDaS16_S17_EUlS16_E_NS1_11comp_targetILNS1_3genE10ELNS1_11target_archE1200ELNS1_3gpuE4ELNS1_3repE0EEENS1_30default_config_static_selectorELNS0_4arch9wavefront6targetE1EEEvT1_ ; -- Begin function _ZN7rocprim17ROCPRIM_400000_NS6detail17trampoline_kernelINS0_14default_configENS1_25partition_config_selectorILNS1_17partition_subalgoE1ExNS0_10empty_typeEbEEZZNS1_14partition_implILS5_1ELb0ES3_jN6thrust23THRUST_200600_302600_NS6detail15normal_iteratorINSA_10device_ptrIxEEEEPS6_NSA_18transform_iteratorI7is_evenIxESF_NSA_11use_defaultESK_EENS0_5tupleIJSF_NSA_16discard_iteratorISK_EEEEENSM_IJSG_SG_EEES6_PlJS6_EEE10hipError_tPvRmT3_T4_T5_T6_T7_T9_mT8_P12ihipStream_tbDpT10_ENKUlT_T0_E_clISt17integral_constantIbLb1EES1A_IbLb0EEEEDaS16_S17_EUlS16_E_NS1_11comp_targetILNS1_3genE10ELNS1_11target_archE1200ELNS1_3gpuE4ELNS1_3repE0EEENS1_30default_config_static_selectorELNS0_4arch9wavefront6targetE1EEEvT1_
	.globl	_ZN7rocprim17ROCPRIM_400000_NS6detail17trampoline_kernelINS0_14default_configENS1_25partition_config_selectorILNS1_17partition_subalgoE1ExNS0_10empty_typeEbEEZZNS1_14partition_implILS5_1ELb0ES3_jN6thrust23THRUST_200600_302600_NS6detail15normal_iteratorINSA_10device_ptrIxEEEEPS6_NSA_18transform_iteratorI7is_evenIxESF_NSA_11use_defaultESK_EENS0_5tupleIJSF_NSA_16discard_iteratorISK_EEEEENSM_IJSG_SG_EEES6_PlJS6_EEE10hipError_tPvRmT3_T4_T5_T6_T7_T9_mT8_P12ihipStream_tbDpT10_ENKUlT_T0_E_clISt17integral_constantIbLb1EES1A_IbLb0EEEEDaS16_S17_EUlS16_E_NS1_11comp_targetILNS1_3genE10ELNS1_11target_archE1200ELNS1_3gpuE4ELNS1_3repE0EEENS1_30default_config_static_selectorELNS0_4arch9wavefront6targetE1EEEvT1_
	.p2align	8
	.type	_ZN7rocprim17ROCPRIM_400000_NS6detail17trampoline_kernelINS0_14default_configENS1_25partition_config_selectorILNS1_17partition_subalgoE1ExNS0_10empty_typeEbEEZZNS1_14partition_implILS5_1ELb0ES3_jN6thrust23THRUST_200600_302600_NS6detail15normal_iteratorINSA_10device_ptrIxEEEEPS6_NSA_18transform_iteratorI7is_evenIxESF_NSA_11use_defaultESK_EENS0_5tupleIJSF_NSA_16discard_iteratorISK_EEEEENSM_IJSG_SG_EEES6_PlJS6_EEE10hipError_tPvRmT3_T4_T5_T6_T7_T9_mT8_P12ihipStream_tbDpT10_ENKUlT_T0_E_clISt17integral_constantIbLb1EES1A_IbLb0EEEEDaS16_S17_EUlS16_E_NS1_11comp_targetILNS1_3genE10ELNS1_11target_archE1200ELNS1_3gpuE4ELNS1_3repE0EEENS1_30default_config_static_selectorELNS0_4arch9wavefront6targetE1EEEvT1_,@function
_ZN7rocprim17ROCPRIM_400000_NS6detail17trampoline_kernelINS0_14default_configENS1_25partition_config_selectorILNS1_17partition_subalgoE1ExNS0_10empty_typeEbEEZZNS1_14partition_implILS5_1ELb0ES3_jN6thrust23THRUST_200600_302600_NS6detail15normal_iteratorINSA_10device_ptrIxEEEEPS6_NSA_18transform_iteratorI7is_evenIxESF_NSA_11use_defaultESK_EENS0_5tupleIJSF_NSA_16discard_iteratorISK_EEEEENSM_IJSG_SG_EEES6_PlJS6_EEE10hipError_tPvRmT3_T4_T5_T6_T7_T9_mT8_P12ihipStream_tbDpT10_ENKUlT_T0_E_clISt17integral_constantIbLb1EES1A_IbLb0EEEEDaS16_S17_EUlS16_E_NS1_11comp_targetILNS1_3genE10ELNS1_11target_archE1200ELNS1_3gpuE4ELNS1_3repE0EEENS1_30default_config_static_selectorELNS0_4arch9wavefront6targetE1EEEvT1_: ; @_ZN7rocprim17ROCPRIM_400000_NS6detail17trampoline_kernelINS0_14default_configENS1_25partition_config_selectorILNS1_17partition_subalgoE1ExNS0_10empty_typeEbEEZZNS1_14partition_implILS5_1ELb0ES3_jN6thrust23THRUST_200600_302600_NS6detail15normal_iteratorINSA_10device_ptrIxEEEEPS6_NSA_18transform_iteratorI7is_evenIxESF_NSA_11use_defaultESK_EENS0_5tupleIJSF_NSA_16discard_iteratorISK_EEEEENSM_IJSG_SG_EEES6_PlJS6_EEE10hipError_tPvRmT3_T4_T5_T6_T7_T9_mT8_P12ihipStream_tbDpT10_ENKUlT_T0_E_clISt17integral_constantIbLb1EES1A_IbLb0EEEEDaS16_S17_EUlS16_E_NS1_11comp_targetILNS1_3genE10ELNS1_11target_archE1200ELNS1_3gpuE4ELNS1_3repE0EEENS1_30default_config_static_selectorELNS0_4arch9wavefront6targetE1EEEvT1_
; %bb.0:
	.section	.rodata,"a",@progbits
	.p2align	6, 0x0
	.amdhsa_kernel _ZN7rocprim17ROCPRIM_400000_NS6detail17trampoline_kernelINS0_14default_configENS1_25partition_config_selectorILNS1_17partition_subalgoE1ExNS0_10empty_typeEbEEZZNS1_14partition_implILS5_1ELb0ES3_jN6thrust23THRUST_200600_302600_NS6detail15normal_iteratorINSA_10device_ptrIxEEEEPS6_NSA_18transform_iteratorI7is_evenIxESF_NSA_11use_defaultESK_EENS0_5tupleIJSF_NSA_16discard_iteratorISK_EEEEENSM_IJSG_SG_EEES6_PlJS6_EEE10hipError_tPvRmT3_T4_T5_T6_T7_T9_mT8_P12ihipStream_tbDpT10_ENKUlT_T0_E_clISt17integral_constantIbLb1EES1A_IbLb0EEEEDaS16_S17_EUlS16_E_NS1_11comp_targetILNS1_3genE10ELNS1_11target_archE1200ELNS1_3gpuE4ELNS1_3repE0EEENS1_30default_config_static_selectorELNS0_4arch9wavefront6targetE1EEEvT1_
		.amdhsa_group_segment_fixed_size 0
		.amdhsa_private_segment_fixed_size 0
		.amdhsa_kernarg_size 136
		.amdhsa_user_sgpr_count 2
		.amdhsa_user_sgpr_dispatch_ptr 0
		.amdhsa_user_sgpr_queue_ptr 0
		.amdhsa_user_sgpr_kernarg_segment_ptr 1
		.amdhsa_user_sgpr_dispatch_id 0
		.amdhsa_user_sgpr_kernarg_preload_length 0
		.amdhsa_user_sgpr_kernarg_preload_offset 0
		.amdhsa_user_sgpr_private_segment_size 0
		.amdhsa_uses_dynamic_stack 0
		.amdhsa_enable_private_segment 0
		.amdhsa_system_sgpr_workgroup_id_x 1
		.amdhsa_system_sgpr_workgroup_id_y 0
		.amdhsa_system_sgpr_workgroup_id_z 0
		.amdhsa_system_sgpr_workgroup_info 0
		.amdhsa_system_vgpr_workitem_id 0
		.amdhsa_next_free_vgpr 1
		.amdhsa_next_free_sgpr 0
		.amdhsa_accum_offset 4
		.amdhsa_reserve_vcc 0
		.amdhsa_float_round_mode_32 0
		.amdhsa_float_round_mode_16_64 0
		.amdhsa_float_denorm_mode_32 3
		.amdhsa_float_denorm_mode_16_64 3
		.amdhsa_dx10_clamp 1
		.amdhsa_ieee_mode 1
		.amdhsa_fp16_overflow 0
		.amdhsa_tg_split 0
		.amdhsa_exception_fp_ieee_invalid_op 0
		.amdhsa_exception_fp_denorm_src 0
		.amdhsa_exception_fp_ieee_div_zero 0
		.amdhsa_exception_fp_ieee_overflow 0
		.amdhsa_exception_fp_ieee_underflow 0
		.amdhsa_exception_fp_ieee_inexact 0
		.amdhsa_exception_int_div_zero 0
	.end_amdhsa_kernel
	.section	.text._ZN7rocprim17ROCPRIM_400000_NS6detail17trampoline_kernelINS0_14default_configENS1_25partition_config_selectorILNS1_17partition_subalgoE1ExNS0_10empty_typeEbEEZZNS1_14partition_implILS5_1ELb0ES3_jN6thrust23THRUST_200600_302600_NS6detail15normal_iteratorINSA_10device_ptrIxEEEEPS6_NSA_18transform_iteratorI7is_evenIxESF_NSA_11use_defaultESK_EENS0_5tupleIJSF_NSA_16discard_iteratorISK_EEEEENSM_IJSG_SG_EEES6_PlJS6_EEE10hipError_tPvRmT3_T4_T5_T6_T7_T9_mT8_P12ihipStream_tbDpT10_ENKUlT_T0_E_clISt17integral_constantIbLb1EES1A_IbLb0EEEEDaS16_S17_EUlS16_E_NS1_11comp_targetILNS1_3genE10ELNS1_11target_archE1200ELNS1_3gpuE4ELNS1_3repE0EEENS1_30default_config_static_selectorELNS0_4arch9wavefront6targetE1EEEvT1_,"axG",@progbits,_ZN7rocprim17ROCPRIM_400000_NS6detail17trampoline_kernelINS0_14default_configENS1_25partition_config_selectorILNS1_17partition_subalgoE1ExNS0_10empty_typeEbEEZZNS1_14partition_implILS5_1ELb0ES3_jN6thrust23THRUST_200600_302600_NS6detail15normal_iteratorINSA_10device_ptrIxEEEEPS6_NSA_18transform_iteratorI7is_evenIxESF_NSA_11use_defaultESK_EENS0_5tupleIJSF_NSA_16discard_iteratorISK_EEEEENSM_IJSG_SG_EEES6_PlJS6_EEE10hipError_tPvRmT3_T4_T5_T6_T7_T9_mT8_P12ihipStream_tbDpT10_ENKUlT_T0_E_clISt17integral_constantIbLb1EES1A_IbLb0EEEEDaS16_S17_EUlS16_E_NS1_11comp_targetILNS1_3genE10ELNS1_11target_archE1200ELNS1_3gpuE4ELNS1_3repE0EEENS1_30default_config_static_selectorELNS0_4arch9wavefront6targetE1EEEvT1_,comdat
.Lfunc_end3216:
	.size	_ZN7rocprim17ROCPRIM_400000_NS6detail17trampoline_kernelINS0_14default_configENS1_25partition_config_selectorILNS1_17partition_subalgoE1ExNS0_10empty_typeEbEEZZNS1_14partition_implILS5_1ELb0ES3_jN6thrust23THRUST_200600_302600_NS6detail15normal_iteratorINSA_10device_ptrIxEEEEPS6_NSA_18transform_iteratorI7is_evenIxESF_NSA_11use_defaultESK_EENS0_5tupleIJSF_NSA_16discard_iteratorISK_EEEEENSM_IJSG_SG_EEES6_PlJS6_EEE10hipError_tPvRmT3_T4_T5_T6_T7_T9_mT8_P12ihipStream_tbDpT10_ENKUlT_T0_E_clISt17integral_constantIbLb1EES1A_IbLb0EEEEDaS16_S17_EUlS16_E_NS1_11comp_targetILNS1_3genE10ELNS1_11target_archE1200ELNS1_3gpuE4ELNS1_3repE0EEENS1_30default_config_static_selectorELNS0_4arch9wavefront6targetE1EEEvT1_, .Lfunc_end3216-_ZN7rocprim17ROCPRIM_400000_NS6detail17trampoline_kernelINS0_14default_configENS1_25partition_config_selectorILNS1_17partition_subalgoE1ExNS0_10empty_typeEbEEZZNS1_14partition_implILS5_1ELb0ES3_jN6thrust23THRUST_200600_302600_NS6detail15normal_iteratorINSA_10device_ptrIxEEEEPS6_NSA_18transform_iteratorI7is_evenIxESF_NSA_11use_defaultESK_EENS0_5tupleIJSF_NSA_16discard_iteratorISK_EEEEENSM_IJSG_SG_EEES6_PlJS6_EEE10hipError_tPvRmT3_T4_T5_T6_T7_T9_mT8_P12ihipStream_tbDpT10_ENKUlT_T0_E_clISt17integral_constantIbLb1EES1A_IbLb0EEEEDaS16_S17_EUlS16_E_NS1_11comp_targetILNS1_3genE10ELNS1_11target_archE1200ELNS1_3gpuE4ELNS1_3repE0EEENS1_30default_config_static_selectorELNS0_4arch9wavefront6targetE1EEEvT1_
                                        ; -- End function
	.section	.AMDGPU.csdata,"",@progbits
; Kernel info:
; codeLenInByte = 0
; NumSgprs: 6
; NumVgprs: 0
; NumAgprs: 0
; TotalNumVgprs: 0
; ScratchSize: 0
; MemoryBound: 0
; FloatMode: 240
; IeeeMode: 1
; LDSByteSize: 0 bytes/workgroup (compile time only)
; SGPRBlocks: 0
; VGPRBlocks: 0
; NumSGPRsForWavesPerEU: 6
; NumVGPRsForWavesPerEU: 1
; AccumOffset: 4
; Occupancy: 8
; WaveLimiterHint : 0
; COMPUTE_PGM_RSRC2:SCRATCH_EN: 0
; COMPUTE_PGM_RSRC2:USER_SGPR: 2
; COMPUTE_PGM_RSRC2:TRAP_HANDLER: 0
; COMPUTE_PGM_RSRC2:TGID_X_EN: 1
; COMPUTE_PGM_RSRC2:TGID_Y_EN: 0
; COMPUTE_PGM_RSRC2:TGID_Z_EN: 0
; COMPUTE_PGM_RSRC2:TIDIG_COMP_CNT: 0
; COMPUTE_PGM_RSRC3_GFX90A:ACCUM_OFFSET: 0
; COMPUTE_PGM_RSRC3_GFX90A:TG_SPLIT: 0
	.section	.text._ZN7rocprim17ROCPRIM_400000_NS6detail17trampoline_kernelINS0_14default_configENS1_25partition_config_selectorILNS1_17partition_subalgoE1ExNS0_10empty_typeEbEEZZNS1_14partition_implILS5_1ELb0ES3_jN6thrust23THRUST_200600_302600_NS6detail15normal_iteratorINSA_10device_ptrIxEEEEPS6_NSA_18transform_iteratorI7is_evenIxESF_NSA_11use_defaultESK_EENS0_5tupleIJSF_NSA_16discard_iteratorISK_EEEEENSM_IJSG_SG_EEES6_PlJS6_EEE10hipError_tPvRmT3_T4_T5_T6_T7_T9_mT8_P12ihipStream_tbDpT10_ENKUlT_T0_E_clISt17integral_constantIbLb1EES1A_IbLb0EEEEDaS16_S17_EUlS16_E_NS1_11comp_targetILNS1_3genE9ELNS1_11target_archE1100ELNS1_3gpuE3ELNS1_3repE0EEENS1_30default_config_static_selectorELNS0_4arch9wavefront6targetE1EEEvT1_,"axG",@progbits,_ZN7rocprim17ROCPRIM_400000_NS6detail17trampoline_kernelINS0_14default_configENS1_25partition_config_selectorILNS1_17partition_subalgoE1ExNS0_10empty_typeEbEEZZNS1_14partition_implILS5_1ELb0ES3_jN6thrust23THRUST_200600_302600_NS6detail15normal_iteratorINSA_10device_ptrIxEEEEPS6_NSA_18transform_iteratorI7is_evenIxESF_NSA_11use_defaultESK_EENS0_5tupleIJSF_NSA_16discard_iteratorISK_EEEEENSM_IJSG_SG_EEES6_PlJS6_EEE10hipError_tPvRmT3_T4_T5_T6_T7_T9_mT8_P12ihipStream_tbDpT10_ENKUlT_T0_E_clISt17integral_constantIbLb1EES1A_IbLb0EEEEDaS16_S17_EUlS16_E_NS1_11comp_targetILNS1_3genE9ELNS1_11target_archE1100ELNS1_3gpuE3ELNS1_3repE0EEENS1_30default_config_static_selectorELNS0_4arch9wavefront6targetE1EEEvT1_,comdat
	.protected	_ZN7rocprim17ROCPRIM_400000_NS6detail17trampoline_kernelINS0_14default_configENS1_25partition_config_selectorILNS1_17partition_subalgoE1ExNS0_10empty_typeEbEEZZNS1_14partition_implILS5_1ELb0ES3_jN6thrust23THRUST_200600_302600_NS6detail15normal_iteratorINSA_10device_ptrIxEEEEPS6_NSA_18transform_iteratorI7is_evenIxESF_NSA_11use_defaultESK_EENS0_5tupleIJSF_NSA_16discard_iteratorISK_EEEEENSM_IJSG_SG_EEES6_PlJS6_EEE10hipError_tPvRmT3_T4_T5_T6_T7_T9_mT8_P12ihipStream_tbDpT10_ENKUlT_T0_E_clISt17integral_constantIbLb1EES1A_IbLb0EEEEDaS16_S17_EUlS16_E_NS1_11comp_targetILNS1_3genE9ELNS1_11target_archE1100ELNS1_3gpuE3ELNS1_3repE0EEENS1_30default_config_static_selectorELNS0_4arch9wavefront6targetE1EEEvT1_ ; -- Begin function _ZN7rocprim17ROCPRIM_400000_NS6detail17trampoline_kernelINS0_14default_configENS1_25partition_config_selectorILNS1_17partition_subalgoE1ExNS0_10empty_typeEbEEZZNS1_14partition_implILS5_1ELb0ES3_jN6thrust23THRUST_200600_302600_NS6detail15normal_iteratorINSA_10device_ptrIxEEEEPS6_NSA_18transform_iteratorI7is_evenIxESF_NSA_11use_defaultESK_EENS0_5tupleIJSF_NSA_16discard_iteratorISK_EEEEENSM_IJSG_SG_EEES6_PlJS6_EEE10hipError_tPvRmT3_T4_T5_T6_T7_T9_mT8_P12ihipStream_tbDpT10_ENKUlT_T0_E_clISt17integral_constantIbLb1EES1A_IbLb0EEEEDaS16_S17_EUlS16_E_NS1_11comp_targetILNS1_3genE9ELNS1_11target_archE1100ELNS1_3gpuE3ELNS1_3repE0EEENS1_30default_config_static_selectorELNS0_4arch9wavefront6targetE1EEEvT1_
	.globl	_ZN7rocprim17ROCPRIM_400000_NS6detail17trampoline_kernelINS0_14default_configENS1_25partition_config_selectorILNS1_17partition_subalgoE1ExNS0_10empty_typeEbEEZZNS1_14partition_implILS5_1ELb0ES3_jN6thrust23THRUST_200600_302600_NS6detail15normal_iteratorINSA_10device_ptrIxEEEEPS6_NSA_18transform_iteratorI7is_evenIxESF_NSA_11use_defaultESK_EENS0_5tupleIJSF_NSA_16discard_iteratorISK_EEEEENSM_IJSG_SG_EEES6_PlJS6_EEE10hipError_tPvRmT3_T4_T5_T6_T7_T9_mT8_P12ihipStream_tbDpT10_ENKUlT_T0_E_clISt17integral_constantIbLb1EES1A_IbLb0EEEEDaS16_S17_EUlS16_E_NS1_11comp_targetILNS1_3genE9ELNS1_11target_archE1100ELNS1_3gpuE3ELNS1_3repE0EEENS1_30default_config_static_selectorELNS0_4arch9wavefront6targetE1EEEvT1_
	.p2align	8
	.type	_ZN7rocprim17ROCPRIM_400000_NS6detail17trampoline_kernelINS0_14default_configENS1_25partition_config_selectorILNS1_17partition_subalgoE1ExNS0_10empty_typeEbEEZZNS1_14partition_implILS5_1ELb0ES3_jN6thrust23THRUST_200600_302600_NS6detail15normal_iteratorINSA_10device_ptrIxEEEEPS6_NSA_18transform_iteratorI7is_evenIxESF_NSA_11use_defaultESK_EENS0_5tupleIJSF_NSA_16discard_iteratorISK_EEEEENSM_IJSG_SG_EEES6_PlJS6_EEE10hipError_tPvRmT3_T4_T5_T6_T7_T9_mT8_P12ihipStream_tbDpT10_ENKUlT_T0_E_clISt17integral_constantIbLb1EES1A_IbLb0EEEEDaS16_S17_EUlS16_E_NS1_11comp_targetILNS1_3genE9ELNS1_11target_archE1100ELNS1_3gpuE3ELNS1_3repE0EEENS1_30default_config_static_selectorELNS0_4arch9wavefront6targetE1EEEvT1_,@function
_ZN7rocprim17ROCPRIM_400000_NS6detail17trampoline_kernelINS0_14default_configENS1_25partition_config_selectorILNS1_17partition_subalgoE1ExNS0_10empty_typeEbEEZZNS1_14partition_implILS5_1ELb0ES3_jN6thrust23THRUST_200600_302600_NS6detail15normal_iteratorINSA_10device_ptrIxEEEEPS6_NSA_18transform_iteratorI7is_evenIxESF_NSA_11use_defaultESK_EENS0_5tupleIJSF_NSA_16discard_iteratorISK_EEEEENSM_IJSG_SG_EEES6_PlJS6_EEE10hipError_tPvRmT3_T4_T5_T6_T7_T9_mT8_P12ihipStream_tbDpT10_ENKUlT_T0_E_clISt17integral_constantIbLb1EES1A_IbLb0EEEEDaS16_S17_EUlS16_E_NS1_11comp_targetILNS1_3genE9ELNS1_11target_archE1100ELNS1_3gpuE3ELNS1_3repE0EEENS1_30default_config_static_selectorELNS0_4arch9wavefront6targetE1EEEvT1_: ; @_ZN7rocprim17ROCPRIM_400000_NS6detail17trampoline_kernelINS0_14default_configENS1_25partition_config_selectorILNS1_17partition_subalgoE1ExNS0_10empty_typeEbEEZZNS1_14partition_implILS5_1ELb0ES3_jN6thrust23THRUST_200600_302600_NS6detail15normal_iteratorINSA_10device_ptrIxEEEEPS6_NSA_18transform_iteratorI7is_evenIxESF_NSA_11use_defaultESK_EENS0_5tupleIJSF_NSA_16discard_iteratorISK_EEEEENSM_IJSG_SG_EEES6_PlJS6_EEE10hipError_tPvRmT3_T4_T5_T6_T7_T9_mT8_P12ihipStream_tbDpT10_ENKUlT_T0_E_clISt17integral_constantIbLb1EES1A_IbLb0EEEEDaS16_S17_EUlS16_E_NS1_11comp_targetILNS1_3genE9ELNS1_11target_archE1100ELNS1_3gpuE3ELNS1_3repE0EEENS1_30default_config_static_selectorELNS0_4arch9wavefront6targetE1EEEvT1_
; %bb.0:
	.section	.rodata,"a",@progbits
	.p2align	6, 0x0
	.amdhsa_kernel _ZN7rocprim17ROCPRIM_400000_NS6detail17trampoline_kernelINS0_14default_configENS1_25partition_config_selectorILNS1_17partition_subalgoE1ExNS0_10empty_typeEbEEZZNS1_14partition_implILS5_1ELb0ES3_jN6thrust23THRUST_200600_302600_NS6detail15normal_iteratorINSA_10device_ptrIxEEEEPS6_NSA_18transform_iteratorI7is_evenIxESF_NSA_11use_defaultESK_EENS0_5tupleIJSF_NSA_16discard_iteratorISK_EEEEENSM_IJSG_SG_EEES6_PlJS6_EEE10hipError_tPvRmT3_T4_T5_T6_T7_T9_mT8_P12ihipStream_tbDpT10_ENKUlT_T0_E_clISt17integral_constantIbLb1EES1A_IbLb0EEEEDaS16_S17_EUlS16_E_NS1_11comp_targetILNS1_3genE9ELNS1_11target_archE1100ELNS1_3gpuE3ELNS1_3repE0EEENS1_30default_config_static_selectorELNS0_4arch9wavefront6targetE1EEEvT1_
		.amdhsa_group_segment_fixed_size 0
		.amdhsa_private_segment_fixed_size 0
		.amdhsa_kernarg_size 136
		.amdhsa_user_sgpr_count 2
		.amdhsa_user_sgpr_dispatch_ptr 0
		.amdhsa_user_sgpr_queue_ptr 0
		.amdhsa_user_sgpr_kernarg_segment_ptr 1
		.amdhsa_user_sgpr_dispatch_id 0
		.amdhsa_user_sgpr_kernarg_preload_length 0
		.amdhsa_user_sgpr_kernarg_preload_offset 0
		.amdhsa_user_sgpr_private_segment_size 0
		.amdhsa_uses_dynamic_stack 0
		.amdhsa_enable_private_segment 0
		.amdhsa_system_sgpr_workgroup_id_x 1
		.amdhsa_system_sgpr_workgroup_id_y 0
		.amdhsa_system_sgpr_workgroup_id_z 0
		.amdhsa_system_sgpr_workgroup_info 0
		.amdhsa_system_vgpr_workitem_id 0
		.amdhsa_next_free_vgpr 1
		.amdhsa_next_free_sgpr 0
		.amdhsa_accum_offset 4
		.amdhsa_reserve_vcc 0
		.amdhsa_float_round_mode_32 0
		.amdhsa_float_round_mode_16_64 0
		.amdhsa_float_denorm_mode_32 3
		.amdhsa_float_denorm_mode_16_64 3
		.amdhsa_dx10_clamp 1
		.amdhsa_ieee_mode 1
		.amdhsa_fp16_overflow 0
		.amdhsa_tg_split 0
		.amdhsa_exception_fp_ieee_invalid_op 0
		.amdhsa_exception_fp_denorm_src 0
		.amdhsa_exception_fp_ieee_div_zero 0
		.amdhsa_exception_fp_ieee_overflow 0
		.amdhsa_exception_fp_ieee_underflow 0
		.amdhsa_exception_fp_ieee_inexact 0
		.amdhsa_exception_int_div_zero 0
	.end_amdhsa_kernel
	.section	.text._ZN7rocprim17ROCPRIM_400000_NS6detail17trampoline_kernelINS0_14default_configENS1_25partition_config_selectorILNS1_17partition_subalgoE1ExNS0_10empty_typeEbEEZZNS1_14partition_implILS5_1ELb0ES3_jN6thrust23THRUST_200600_302600_NS6detail15normal_iteratorINSA_10device_ptrIxEEEEPS6_NSA_18transform_iteratorI7is_evenIxESF_NSA_11use_defaultESK_EENS0_5tupleIJSF_NSA_16discard_iteratorISK_EEEEENSM_IJSG_SG_EEES6_PlJS6_EEE10hipError_tPvRmT3_T4_T5_T6_T7_T9_mT8_P12ihipStream_tbDpT10_ENKUlT_T0_E_clISt17integral_constantIbLb1EES1A_IbLb0EEEEDaS16_S17_EUlS16_E_NS1_11comp_targetILNS1_3genE9ELNS1_11target_archE1100ELNS1_3gpuE3ELNS1_3repE0EEENS1_30default_config_static_selectorELNS0_4arch9wavefront6targetE1EEEvT1_,"axG",@progbits,_ZN7rocprim17ROCPRIM_400000_NS6detail17trampoline_kernelINS0_14default_configENS1_25partition_config_selectorILNS1_17partition_subalgoE1ExNS0_10empty_typeEbEEZZNS1_14partition_implILS5_1ELb0ES3_jN6thrust23THRUST_200600_302600_NS6detail15normal_iteratorINSA_10device_ptrIxEEEEPS6_NSA_18transform_iteratorI7is_evenIxESF_NSA_11use_defaultESK_EENS0_5tupleIJSF_NSA_16discard_iteratorISK_EEEEENSM_IJSG_SG_EEES6_PlJS6_EEE10hipError_tPvRmT3_T4_T5_T6_T7_T9_mT8_P12ihipStream_tbDpT10_ENKUlT_T0_E_clISt17integral_constantIbLb1EES1A_IbLb0EEEEDaS16_S17_EUlS16_E_NS1_11comp_targetILNS1_3genE9ELNS1_11target_archE1100ELNS1_3gpuE3ELNS1_3repE0EEENS1_30default_config_static_selectorELNS0_4arch9wavefront6targetE1EEEvT1_,comdat
.Lfunc_end3217:
	.size	_ZN7rocprim17ROCPRIM_400000_NS6detail17trampoline_kernelINS0_14default_configENS1_25partition_config_selectorILNS1_17partition_subalgoE1ExNS0_10empty_typeEbEEZZNS1_14partition_implILS5_1ELb0ES3_jN6thrust23THRUST_200600_302600_NS6detail15normal_iteratorINSA_10device_ptrIxEEEEPS6_NSA_18transform_iteratorI7is_evenIxESF_NSA_11use_defaultESK_EENS0_5tupleIJSF_NSA_16discard_iteratorISK_EEEEENSM_IJSG_SG_EEES6_PlJS6_EEE10hipError_tPvRmT3_T4_T5_T6_T7_T9_mT8_P12ihipStream_tbDpT10_ENKUlT_T0_E_clISt17integral_constantIbLb1EES1A_IbLb0EEEEDaS16_S17_EUlS16_E_NS1_11comp_targetILNS1_3genE9ELNS1_11target_archE1100ELNS1_3gpuE3ELNS1_3repE0EEENS1_30default_config_static_selectorELNS0_4arch9wavefront6targetE1EEEvT1_, .Lfunc_end3217-_ZN7rocprim17ROCPRIM_400000_NS6detail17trampoline_kernelINS0_14default_configENS1_25partition_config_selectorILNS1_17partition_subalgoE1ExNS0_10empty_typeEbEEZZNS1_14partition_implILS5_1ELb0ES3_jN6thrust23THRUST_200600_302600_NS6detail15normal_iteratorINSA_10device_ptrIxEEEEPS6_NSA_18transform_iteratorI7is_evenIxESF_NSA_11use_defaultESK_EENS0_5tupleIJSF_NSA_16discard_iteratorISK_EEEEENSM_IJSG_SG_EEES6_PlJS6_EEE10hipError_tPvRmT3_T4_T5_T6_T7_T9_mT8_P12ihipStream_tbDpT10_ENKUlT_T0_E_clISt17integral_constantIbLb1EES1A_IbLb0EEEEDaS16_S17_EUlS16_E_NS1_11comp_targetILNS1_3genE9ELNS1_11target_archE1100ELNS1_3gpuE3ELNS1_3repE0EEENS1_30default_config_static_selectorELNS0_4arch9wavefront6targetE1EEEvT1_
                                        ; -- End function
	.section	.AMDGPU.csdata,"",@progbits
; Kernel info:
; codeLenInByte = 0
; NumSgprs: 6
; NumVgprs: 0
; NumAgprs: 0
; TotalNumVgprs: 0
; ScratchSize: 0
; MemoryBound: 0
; FloatMode: 240
; IeeeMode: 1
; LDSByteSize: 0 bytes/workgroup (compile time only)
; SGPRBlocks: 0
; VGPRBlocks: 0
; NumSGPRsForWavesPerEU: 6
; NumVGPRsForWavesPerEU: 1
; AccumOffset: 4
; Occupancy: 8
; WaveLimiterHint : 0
; COMPUTE_PGM_RSRC2:SCRATCH_EN: 0
; COMPUTE_PGM_RSRC2:USER_SGPR: 2
; COMPUTE_PGM_RSRC2:TRAP_HANDLER: 0
; COMPUTE_PGM_RSRC2:TGID_X_EN: 1
; COMPUTE_PGM_RSRC2:TGID_Y_EN: 0
; COMPUTE_PGM_RSRC2:TGID_Z_EN: 0
; COMPUTE_PGM_RSRC2:TIDIG_COMP_CNT: 0
; COMPUTE_PGM_RSRC3_GFX90A:ACCUM_OFFSET: 0
; COMPUTE_PGM_RSRC3_GFX90A:TG_SPLIT: 0
	.section	.text._ZN7rocprim17ROCPRIM_400000_NS6detail17trampoline_kernelINS0_14default_configENS1_25partition_config_selectorILNS1_17partition_subalgoE1ExNS0_10empty_typeEbEEZZNS1_14partition_implILS5_1ELb0ES3_jN6thrust23THRUST_200600_302600_NS6detail15normal_iteratorINSA_10device_ptrIxEEEEPS6_NSA_18transform_iteratorI7is_evenIxESF_NSA_11use_defaultESK_EENS0_5tupleIJSF_NSA_16discard_iteratorISK_EEEEENSM_IJSG_SG_EEES6_PlJS6_EEE10hipError_tPvRmT3_T4_T5_T6_T7_T9_mT8_P12ihipStream_tbDpT10_ENKUlT_T0_E_clISt17integral_constantIbLb1EES1A_IbLb0EEEEDaS16_S17_EUlS16_E_NS1_11comp_targetILNS1_3genE8ELNS1_11target_archE1030ELNS1_3gpuE2ELNS1_3repE0EEENS1_30default_config_static_selectorELNS0_4arch9wavefront6targetE1EEEvT1_,"axG",@progbits,_ZN7rocprim17ROCPRIM_400000_NS6detail17trampoline_kernelINS0_14default_configENS1_25partition_config_selectorILNS1_17partition_subalgoE1ExNS0_10empty_typeEbEEZZNS1_14partition_implILS5_1ELb0ES3_jN6thrust23THRUST_200600_302600_NS6detail15normal_iteratorINSA_10device_ptrIxEEEEPS6_NSA_18transform_iteratorI7is_evenIxESF_NSA_11use_defaultESK_EENS0_5tupleIJSF_NSA_16discard_iteratorISK_EEEEENSM_IJSG_SG_EEES6_PlJS6_EEE10hipError_tPvRmT3_T4_T5_T6_T7_T9_mT8_P12ihipStream_tbDpT10_ENKUlT_T0_E_clISt17integral_constantIbLb1EES1A_IbLb0EEEEDaS16_S17_EUlS16_E_NS1_11comp_targetILNS1_3genE8ELNS1_11target_archE1030ELNS1_3gpuE2ELNS1_3repE0EEENS1_30default_config_static_selectorELNS0_4arch9wavefront6targetE1EEEvT1_,comdat
	.protected	_ZN7rocprim17ROCPRIM_400000_NS6detail17trampoline_kernelINS0_14default_configENS1_25partition_config_selectorILNS1_17partition_subalgoE1ExNS0_10empty_typeEbEEZZNS1_14partition_implILS5_1ELb0ES3_jN6thrust23THRUST_200600_302600_NS6detail15normal_iteratorINSA_10device_ptrIxEEEEPS6_NSA_18transform_iteratorI7is_evenIxESF_NSA_11use_defaultESK_EENS0_5tupleIJSF_NSA_16discard_iteratorISK_EEEEENSM_IJSG_SG_EEES6_PlJS6_EEE10hipError_tPvRmT3_T4_T5_T6_T7_T9_mT8_P12ihipStream_tbDpT10_ENKUlT_T0_E_clISt17integral_constantIbLb1EES1A_IbLb0EEEEDaS16_S17_EUlS16_E_NS1_11comp_targetILNS1_3genE8ELNS1_11target_archE1030ELNS1_3gpuE2ELNS1_3repE0EEENS1_30default_config_static_selectorELNS0_4arch9wavefront6targetE1EEEvT1_ ; -- Begin function _ZN7rocprim17ROCPRIM_400000_NS6detail17trampoline_kernelINS0_14default_configENS1_25partition_config_selectorILNS1_17partition_subalgoE1ExNS0_10empty_typeEbEEZZNS1_14partition_implILS5_1ELb0ES3_jN6thrust23THRUST_200600_302600_NS6detail15normal_iteratorINSA_10device_ptrIxEEEEPS6_NSA_18transform_iteratorI7is_evenIxESF_NSA_11use_defaultESK_EENS0_5tupleIJSF_NSA_16discard_iteratorISK_EEEEENSM_IJSG_SG_EEES6_PlJS6_EEE10hipError_tPvRmT3_T4_T5_T6_T7_T9_mT8_P12ihipStream_tbDpT10_ENKUlT_T0_E_clISt17integral_constantIbLb1EES1A_IbLb0EEEEDaS16_S17_EUlS16_E_NS1_11comp_targetILNS1_3genE8ELNS1_11target_archE1030ELNS1_3gpuE2ELNS1_3repE0EEENS1_30default_config_static_selectorELNS0_4arch9wavefront6targetE1EEEvT1_
	.globl	_ZN7rocprim17ROCPRIM_400000_NS6detail17trampoline_kernelINS0_14default_configENS1_25partition_config_selectorILNS1_17partition_subalgoE1ExNS0_10empty_typeEbEEZZNS1_14partition_implILS5_1ELb0ES3_jN6thrust23THRUST_200600_302600_NS6detail15normal_iteratorINSA_10device_ptrIxEEEEPS6_NSA_18transform_iteratorI7is_evenIxESF_NSA_11use_defaultESK_EENS0_5tupleIJSF_NSA_16discard_iteratorISK_EEEEENSM_IJSG_SG_EEES6_PlJS6_EEE10hipError_tPvRmT3_T4_T5_T6_T7_T9_mT8_P12ihipStream_tbDpT10_ENKUlT_T0_E_clISt17integral_constantIbLb1EES1A_IbLb0EEEEDaS16_S17_EUlS16_E_NS1_11comp_targetILNS1_3genE8ELNS1_11target_archE1030ELNS1_3gpuE2ELNS1_3repE0EEENS1_30default_config_static_selectorELNS0_4arch9wavefront6targetE1EEEvT1_
	.p2align	8
	.type	_ZN7rocprim17ROCPRIM_400000_NS6detail17trampoline_kernelINS0_14default_configENS1_25partition_config_selectorILNS1_17partition_subalgoE1ExNS0_10empty_typeEbEEZZNS1_14partition_implILS5_1ELb0ES3_jN6thrust23THRUST_200600_302600_NS6detail15normal_iteratorINSA_10device_ptrIxEEEEPS6_NSA_18transform_iteratorI7is_evenIxESF_NSA_11use_defaultESK_EENS0_5tupleIJSF_NSA_16discard_iteratorISK_EEEEENSM_IJSG_SG_EEES6_PlJS6_EEE10hipError_tPvRmT3_T4_T5_T6_T7_T9_mT8_P12ihipStream_tbDpT10_ENKUlT_T0_E_clISt17integral_constantIbLb1EES1A_IbLb0EEEEDaS16_S17_EUlS16_E_NS1_11comp_targetILNS1_3genE8ELNS1_11target_archE1030ELNS1_3gpuE2ELNS1_3repE0EEENS1_30default_config_static_selectorELNS0_4arch9wavefront6targetE1EEEvT1_,@function
_ZN7rocprim17ROCPRIM_400000_NS6detail17trampoline_kernelINS0_14default_configENS1_25partition_config_selectorILNS1_17partition_subalgoE1ExNS0_10empty_typeEbEEZZNS1_14partition_implILS5_1ELb0ES3_jN6thrust23THRUST_200600_302600_NS6detail15normal_iteratorINSA_10device_ptrIxEEEEPS6_NSA_18transform_iteratorI7is_evenIxESF_NSA_11use_defaultESK_EENS0_5tupleIJSF_NSA_16discard_iteratorISK_EEEEENSM_IJSG_SG_EEES6_PlJS6_EEE10hipError_tPvRmT3_T4_T5_T6_T7_T9_mT8_P12ihipStream_tbDpT10_ENKUlT_T0_E_clISt17integral_constantIbLb1EES1A_IbLb0EEEEDaS16_S17_EUlS16_E_NS1_11comp_targetILNS1_3genE8ELNS1_11target_archE1030ELNS1_3gpuE2ELNS1_3repE0EEENS1_30default_config_static_selectorELNS0_4arch9wavefront6targetE1EEEvT1_: ; @_ZN7rocprim17ROCPRIM_400000_NS6detail17trampoline_kernelINS0_14default_configENS1_25partition_config_selectorILNS1_17partition_subalgoE1ExNS0_10empty_typeEbEEZZNS1_14partition_implILS5_1ELb0ES3_jN6thrust23THRUST_200600_302600_NS6detail15normal_iteratorINSA_10device_ptrIxEEEEPS6_NSA_18transform_iteratorI7is_evenIxESF_NSA_11use_defaultESK_EENS0_5tupleIJSF_NSA_16discard_iteratorISK_EEEEENSM_IJSG_SG_EEES6_PlJS6_EEE10hipError_tPvRmT3_T4_T5_T6_T7_T9_mT8_P12ihipStream_tbDpT10_ENKUlT_T0_E_clISt17integral_constantIbLb1EES1A_IbLb0EEEEDaS16_S17_EUlS16_E_NS1_11comp_targetILNS1_3genE8ELNS1_11target_archE1030ELNS1_3gpuE2ELNS1_3repE0EEENS1_30default_config_static_selectorELNS0_4arch9wavefront6targetE1EEEvT1_
; %bb.0:
	.section	.rodata,"a",@progbits
	.p2align	6, 0x0
	.amdhsa_kernel _ZN7rocprim17ROCPRIM_400000_NS6detail17trampoline_kernelINS0_14default_configENS1_25partition_config_selectorILNS1_17partition_subalgoE1ExNS0_10empty_typeEbEEZZNS1_14partition_implILS5_1ELb0ES3_jN6thrust23THRUST_200600_302600_NS6detail15normal_iteratorINSA_10device_ptrIxEEEEPS6_NSA_18transform_iteratorI7is_evenIxESF_NSA_11use_defaultESK_EENS0_5tupleIJSF_NSA_16discard_iteratorISK_EEEEENSM_IJSG_SG_EEES6_PlJS6_EEE10hipError_tPvRmT3_T4_T5_T6_T7_T9_mT8_P12ihipStream_tbDpT10_ENKUlT_T0_E_clISt17integral_constantIbLb1EES1A_IbLb0EEEEDaS16_S17_EUlS16_E_NS1_11comp_targetILNS1_3genE8ELNS1_11target_archE1030ELNS1_3gpuE2ELNS1_3repE0EEENS1_30default_config_static_selectorELNS0_4arch9wavefront6targetE1EEEvT1_
		.amdhsa_group_segment_fixed_size 0
		.amdhsa_private_segment_fixed_size 0
		.amdhsa_kernarg_size 136
		.amdhsa_user_sgpr_count 2
		.amdhsa_user_sgpr_dispatch_ptr 0
		.amdhsa_user_sgpr_queue_ptr 0
		.amdhsa_user_sgpr_kernarg_segment_ptr 1
		.amdhsa_user_sgpr_dispatch_id 0
		.amdhsa_user_sgpr_kernarg_preload_length 0
		.amdhsa_user_sgpr_kernarg_preload_offset 0
		.amdhsa_user_sgpr_private_segment_size 0
		.amdhsa_uses_dynamic_stack 0
		.amdhsa_enable_private_segment 0
		.amdhsa_system_sgpr_workgroup_id_x 1
		.amdhsa_system_sgpr_workgroup_id_y 0
		.amdhsa_system_sgpr_workgroup_id_z 0
		.amdhsa_system_sgpr_workgroup_info 0
		.amdhsa_system_vgpr_workitem_id 0
		.amdhsa_next_free_vgpr 1
		.amdhsa_next_free_sgpr 0
		.amdhsa_accum_offset 4
		.amdhsa_reserve_vcc 0
		.amdhsa_float_round_mode_32 0
		.amdhsa_float_round_mode_16_64 0
		.amdhsa_float_denorm_mode_32 3
		.amdhsa_float_denorm_mode_16_64 3
		.amdhsa_dx10_clamp 1
		.amdhsa_ieee_mode 1
		.amdhsa_fp16_overflow 0
		.amdhsa_tg_split 0
		.amdhsa_exception_fp_ieee_invalid_op 0
		.amdhsa_exception_fp_denorm_src 0
		.amdhsa_exception_fp_ieee_div_zero 0
		.amdhsa_exception_fp_ieee_overflow 0
		.amdhsa_exception_fp_ieee_underflow 0
		.amdhsa_exception_fp_ieee_inexact 0
		.amdhsa_exception_int_div_zero 0
	.end_amdhsa_kernel
	.section	.text._ZN7rocprim17ROCPRIM_400000_NS6detail17trampoline_kernelINS0_14default_configENS1_25partition_config_selectorILNS1_17partition_subalgoE1ExNS0_10empty_typeEbEEZZNS1_14partition_implILS5_1ELb0ES3_jN6thrust23THRUST_200600_302600_NS6detail15normal_iteratorINSA_10device_ptrIxEEEEPS6_NSA_18transform_iteratorI7is_evenIxESF_NSA_11use_defaultESK_EENS0_5tupleIJSF_NSA_16discard_iteratorISK_EEEEENSM_IJSG_SG_EEES6_PlJS6_EEE10hipError_tPvRmT3_T4_T5_T6_T7_T9_mT8_P12ihipStream_tbDpT10_ENKUlT_T0_E_clISt17integral_constantIbLb1EES1A_IbLb0EEEEDaS16_S17_EUlS16_E_NS1_11comp_targetILNS1_3genE8ELNS1_11target_archE1030ELNS1_3gpuE2ELNS1_3repE0EEENS1_30default_config_static_selectorELNS0_4arch9wavefront6targetE1EEEvT1_,"axG",@progbits,_ZN7rocprim17ROCPRIM_400000_NS6detail17trampoline_kernelINS0_14default_configENS1_25partition_config_selectorILNS1_17partition_subalgoE1ExNS0_10empty_typeEbEEZZNS1_14partition_implILS5_1ELb0ES3_jN6thrust23THRUST_200600_302600_NS6detail15normal_iteratorINSA_10device_ptrIxEEEEPS6_NSA_18transform_iteratorI7is_evenIxESF_NSA_11use_defaultESK_EENS0_5tupleIJSF_NSA_16discard_iteratorISK_EEEEENSM_IJSG_SG_EEES6_PlJS6_EEE10hipError_tPvRmT3_T4_T5_T6_T7_T9_mT8_P12ihipStream_tbDpT10_ENKUlT_T0_E_clISt17integral_constantIbLb1EES1A_IbLb0EEEEDaS16_S17_EUlS16_E_NS1_11comp_targetILNS1_3genE8ELNS1_11target_archE1030ELNS1_3gpuE2ELNS1_3repE0EEENS1_30default_config_static_selectorELNS0_4arch9wavefront6targetE1EEEvT1_,comdat
.Lfunc_end3218:
	.size	_ZN7rocprim17ROCPRIM_400000_NS6detail17trampoline_kernelINS0_14default_configENS1_25partition_config_selectorILNS1_17partition_subalgoE1ExNS0_10empty_typeEbEEZZNS1_14partition_implILS5_1ELb0ES3_jN6thrust23THRUST_200600_302600_NS6detail15normal_iteratorINSA_10device_ptrIxEEEEPS6_NSA_18transform_iteratorI7is_evenIxESF_NSA_11use_defaultESK_EENS0_5tupleIJSF_NSA_16discard_iteratorISK_EEEEENSM_IJSG_SG_EEES6_PlJS6_EEE10hipError_tPvRmT3_T4_T5_T6_T7_T9_mT8_P12ihipStream_tbDpT10_ENKUlT_T0_E_clISt17integral_constantIbLb1EES1A_IbLb0EEEEDaS16_S17_EUlS16_E_NS1_11comp_targetILNS1_3genE8ELNS1_11target_archE1030ELNS1_3gpuE2ELNS1_3repE0EEENS1_30default_config_static_selectorELNS0_4arch9wavefront6targetE1EEEvT1_, .Lfunc_end3218-_ZN7rocprim17ROCPRIM_400000_NS6detail17trampoline_kernelINS0_14default_configENS1_25partition_config_selectorILNS1_17partition_subalgoE1ExNS0_10empty_typeEbEEZZNS1_14partition_implILS5_1ELb0ES3_jN6thrust23THRUST_200600_302600_NS6detail15normal_iteratorINSA_10device_ptrIxEEEEPS6_NSA_18transform_iteratorI7is_evenIxESF_NSA_11use_defaultESK_EENS0_5tupleIJSF_NSA_16discard_iteratorISK_EEEEENSM_IJSG_SG_EEES6_PlJS6_EEE10hipError_tPvRmT3_T4_T5_T6_T7_T9_mT8_P12ihipStream_tbDpT10_ENKUlT_T0_E_clISt17integral_constantIbLb1EES1A_IbLb0EEEEDaS16_S17_EUlS16_E_NS1_11comp_targetILNS1_3genE8ELNS1_11target_archE1030ELNS1_3gpuE2ELNS1_3repE0EEENS1_30default_config_static_selectorELNS0_4arch9wavefront6targetE1EEEvT1_
                                        ; -- End function
	.section	.AMDGPU.csdata,"",@progbits
; Kernel info:
; codeLenInByte = 0
; NumSgprs: 6
; NumVgprs: 0
; NumAgprs: 0
; TotalNumVgprs: 0
; ScratchSize: 0
; MemoryBound: 0
; FloatMode: 240
; IeeeMode: 1
; LDSByteSize: 0 bytes/workgroup (compile time only)
; SGPRBlocks: 0
; VGPRBlocks: 0
; NumSGPRsForWavesPerEU: 6
; NumVGPRsForWavesPerEU: 1
; AccumOffset: 4
; Occupancy: 8
; WaveLimiterHint : 0
; COMPUTE_PGM_RSRC2:SCRATCH_EN: 0
; COMPUTE_PGM_RSRC2:USER_SGPR: 2
; COMPUTE_PGM_RSRC2:TRAP_HANDLER: 0
; COMPUTE_PGM_RSRC2:TGID_X_EN: 1
; COMPUTE_PGM_RSRC2:TGID_Y_EN: 0
; COMPUTE_PGM_RSRC2:TGID_Z_EN: 0
; COMPUTE_PGM_RSRC2:TIDIG_COMP_CNT: 0
; COMPUTE_PGM_RSRC3_GFX90A:ACCUM_OFFSET: 0
; COMPUTE_PGM_RSRC3_GFX90A:TG_SPLIT: 0
	.section	.text._ZN7rocprim17ROCPRIM_400000_NS6detail17trampoline_kernelINS0_14default_configENS1_25partition_config_selectorILNS1_17partition_subalgoE1ExNS0_10empty_typeEbEEZZNS1_14partition_implILS5_1ELb0ES3_jN6thrust23THRUST_200600_302600_NS6detail15normal_iteratorINSA_10device_ptrIxEEEEPS6_NSA_18transform_iteratorI7is_evenIxESF_NSA_11use_defaultESK_EENS0_5tupleIJSF_NSA_16discard_iteratorISK_EEEEENSM_IJSG_SG_EEES6_PlJS6_EEE10hipError_tPvRmT3_T4_T5_T6_T7_T9_mT8_P12ihipStream_tbDpT10_ENKUlT_T0_E_clISt17integral_constantIbLb0EES1A_IbLb1EEEEDaS16_S17_EUlS16_E_NS1_11comp_targetILNS1_3genE0ELNS1_11target_archE4294967295ELNS1_3gpuE0ELNS1_3repE0EEENS1_30default_config_static_selectorELNS0_4arch9wavefront6targetE1EEEvT1_,"axG",@progbits,_ZN7rocprim17ROCPRIM_400000_NS6detail17trampoline_kernelINS0_14default_configENS1_25partition_config_selectorILNS1_17partition_subalgoE1ExNS0_10empty_typeEbEEZZNS1_14partition_implILS5_1ELb0ES3_jN6thrust23THRUST_200600_302600_NS6detail15normal_iteratorINSA_10device_ptrIxEEEEPS6_NSA_18transform_iteratorI7is_evenIxESF_NSA_11use_defaultESK_EENS0_5tupleIJSF_NSA_16discard_iteratorISK_EEEEENSM_IJSG_SG_EEES6_PlJS6_EEE10hipError_tPvRmT3_T4_T5_T6_T7_T9_mT8_P12ihipStream_tbDpT10_ENKUlT_T0_E_clISt17integral_constantIbLb0EES1A_IbLb1EEEEDaS16_S17_EUlS16_E_NS1_11comp_targetILNS1_3genE0ELNS1_11target_archE4294967295ELNS1_3gpuE0ELNS1_3repE0EEENS1_30default_config_static_selectorELNS0_4arch9wavefront6targetE1EEEvT1_,comdat
	.protected	_ZN7rocprim17ROCPRIM_400000_NS6detail17trampoline_kernelINS0_14default_configENS1_25partition_config_selectorILNS1_17partition_subalgoE1ExNS0_10empty_typeEbEEZZNS1_14partition_implILS5_1ELb0ES3_jN6thrust23THRUST_200600_302600_NS6detail15normal_iteratorINSA_10device_ptrIxEEEEPS6_NSA_18transform_iteratorI7is_evenIxESF_NSA_11use_defaultESK_EENS0_5tupleIJSF_NSA_16discard_iteratorISK_EEEEENSM_IJSG_SG_EEES6_PlJS6_EEE10hipError_tPvRmT3_T4_T5_T6_T7_T9_mT8_P12ihipStream_tbDpT10_ENKUlT_T0_E_clISt17integral_constantIbLb0EES1A_IbLb1EEEEDaS16_S17_EUlS16_E_NS1_11comp_targetILNS1_3genE0ELNS1_11target_archE4294967295ELNS1_3gpuE0ELNS1_3repE0EEENS1_30default_config_static_selectorELNS0_4arch9wavefront6targetE1EEEvT1_ ; -- Begin function _ZN7rocprim17ROCPRIM_400000_NS6detail17trampoline_kernelINS0_14default_configENS1_25partition_config_selectorILNS1_17partition_subalgoE1ExNS0_10empty_typeEbEEZZNS1_14partition_implILS5_1ELb0ES3_jN6thrust23THRUST_200600_302600_NS6detail15normal_iteratorINSA_10device_ptrIxEEEEPS6_NSA_18transform_iteratorI7is_evenIxESF_NSA_11use_defaultESK_EENS0_5tupleIJSF_NSA_16discard_iteratorISK_EEEEENSM_IJSG_SG_EEES6_PlJS6_EEE10hipError_tPvRmT3_T4_T5_T6_T7_T9_mT8_P12ihipStream_tbDpT10_ENKUlT_T0_E_clISt17integral_constantIbLb0EES1A_IbLb1EEEEDaS16_S17_EUlS16_E_NS1_11comp_targetILNS1_3genE0ELNS1_11target_archE4294967295ELNS1_3gpuE0ELNS1_3repE0EEENS1_30default_config_static_selectorELNS0_4arch9wavefront6targetE1EEEvT1_
	.globl	_ZN7rocprim17ROCPRIM_400000_NS6detail17trampoline_kernelINS0_14default_configENS1_25partition_config_selectorILNS1_17partition_subalgoE1ExNS0_10empty_typeEbEEZZNS1_14partition_implILS5_1ELb0ES3_jN6thrust23THRUST_200600_302600_NS6detail15normal_iteratorINSA_10device_ptrIxEEEEPS6_NSA_18transform_iteratorI7is_evenIxESF_NSA_11use_defaultESK_EENS0_5tupleIJSF_NSA_16discard_iteratorISK_EEEEENSM_IJSG_SG_EEES6_PlJS6_EEE10hipError_tPvRmT3_T4_T5_T6_T7_T9_mT8_P12ihipStream_tbDpT10_ENKUlT_T0_E_clISt17integral_constantIbLb0EES1A_IbLb1EEEEDaS16_S17_EUlS16_E_NS1_11comp_targetILNS1_3genE0ELNS1_11target_archE4294967295ELNS1_3gpuE0ELNS1_3repE0EEENS1_30default_config_static_selectorELNS0_4arch9wavefront6targetE1EEEvT1_
	.p2align	8
	.type	_ZN7rocprim17ROCPRIM_400000_NS6detail17trampoline_kernelINS0_14default_configENS1_25partition_config_selectorILNS1_17partition_subalgoE1ExNS0_10empty_typeEbEEZZNS1_14partition_implILS5_1ELb0ES3_jN6thrust23THRUST_200600_302600_NS6detail15normal_iteratorINSA_10device_ptrIxEEEEPS6_NSA_18transform_iteratorI7is_evenIxESF_NSA_11use_defaultESK_EENS0_5tupleIJSF_NSA_16discard_iteratorISK_EEEEENSM_IJSG_SG_EEES6_PlJS6_EEE10hipError_tPvRmT3_T4_T5_T6_T7_T9_mT8_P12ihipStream_tbDpT10_ENKUlT_T0_E_clISt17integral_constantIbLb0EES1A_IbLb1EEEEDaS16_S17_EUlS16_E_NS1_11comp_targetILNS1_3genE0ELNS1_11target_archE4294967295ELNS1_3gpuE0ELNS1_3repE0EEENS1_30default_config_static_selectorELNS0_4arch9wavefront6targetE1EEEvT1_,@function
_ZN7rocprim17ROCPRIM_400000_NS6detail17trampoline_kernelINS0_14default_configENS1_25partition_config_selectorILNS1_17partition_subalgoE1ExNS0_10empty_typeEbEEZZNS1_14partition_implILS5_1ELb0ES3_jN6thrust23THRUST_200600_302600_NS6detail15normal_iteratorINSA_10device_ptrIxEEEEPS6_NSA_18transform_iteratorI7is_evenIxESF_NSA_11use_defaultESK_EENS0_5tupleIJSF_NSA_16discard_iteratorISK_EEEEENSM_IJSG_SG_EEES6_PlJS6_EEE10hipError_tPvRmT3_T4_T5_T6_T7_T9_mT8_P12ihipStream_tbDpT10_ENKUlT_T0_E_clISt17integral_constantIbLb0EES1A_IbLb1EEEEDaS16_S17_EUlS16_E_NS1_11comp_targetILNS1_3genE0ELNS1_11target_archE4294967295ELNS1_3gpuE0ELNS1_3repE0EEENS1_30default_config_static_selectorELNS0_4arch9wavefront6targetE1EEEvT1_: ; @_ZN7rocprim17ROCPRIM_400000_NS6detail17trampoline_kernelINS0_14default_configENS1_25partition_config_selectorILNS1_17partition_subalgoE1ExNS0_10empty_typeEbEEZZNS1_14partition_implILS5_1ELb0ES3_jN6thrust23THRUST_200600_302600_NS6detail15normal_iteratorINSA_10device_ptrIxEEEEPS6_NSA_18transform_iteratorI7is_evenIxESF_NSA_11use_defaultESK_EENS0_5tupleIJSF_NSA_16discard_iteratorISK_EEEEENSM_IJSG_SG_EEES6_PlJS6_EEE10hipError_tPvRmT3_T4_T5_T6_T7_T9_mT8_P12ihipStream_tbDpT10_ENKUlT_T0_E_clISt17integral_constantIbLb0EES1A_IbLb1EEEEDaS16_S17_EUlS16_E_NS1_11comp_targetILNS1_3genE0ELNS1_11target_archE4294967295ELNS1_3gpuE0ELNS1_3repE0EEENS1_30default_config_static_selectorELNS0_4arch9wavefront6targetE1EEEvT1_
; %bb.0:
	.section	.rodata,"a",@progbits
	.p2align	6, 0x0
	.amdhsa_kernel _ZN7rocprim17ROCPRIM_400000_NS6detail17trampoline_kernelINS0_14default_configENS1_25partition_config_selectorILNS1_17partition_subalgoE1ExNS0_10empty_typeEbEEZZNS1_14partition_implILS5_1ELb0ES3_jN6thrust23THRUST_200600_302600_NS6detail15normal_iteratorINSA_10device_ptrIxEEEEPS6_NSA_18transform_iteratorI7is_evenIxESF_NSA_11use_defaultESK_EENS0_5tupleIJSF_NSA_16discard_iteratorISK_EEEEENSM_IJSG_SG_EEES6_PlJS6_EEE10hipError_tPvRmT3_T4_T5_T6_T7_T9_mT8_P12ihipStream_tbDpT10_ENKUlT_T0_E_clISt17integral_constantIbLb0EES1A_IbLb1EEEEDaS16_S17_EUlS16_E_NS1_11comp_targetILNS1_3genE0ELNS1_11target_archE4294967295ELNS1_3gpuE0ELNS1_3repE0EEENS1_30default_config_static_selectorELNS0_4arch9wavefront6targetE1EEEvT1_
		.amdhsa_group_segment_fixed_size 0
		.amdhsa_private_segment_fixed_size 0
		.amdhsa_kernarg_size 152
		.amdhsa_user_sgpr_count 2
		.amdhsa_user_sgpr_dispatch_ptr 0
		.amdhsa_user_sgpr_queue_ptr 0
		.amdhsa_user_sgpr_kernarg_segment_ptr 1
		.amdhsa_user_sgpr_dispatch_id 0
		.amdhsa_user_sgpr_kernarg_preload_length 0
		.amdhsa_user_sgpr_kernarg_preload_offset 0
		.amdhsa_user_sgpr_private_segment_size 0
		.amdhsa_uses_dynamic_stack 0
		.amdhsa_enable_private_segment 0
		.amdhsa_system_sgpr_workgroup_id_x 1
		.amdhsa_system_sgpr_workgroup_id_y 0
		.amdhsa_system_sgpr_workgroup_id_z 0
		.amdhsa_system_sgpr_workgroup_info 0
		.amdhsa_system_vgpr_workitem_id 0
		.amdhsa_next_free_vgpr 1
		.amdhsa_next_free_sgpr 0
		.amdhsa_accum_offset 4
		.amdhsa_reserve_vcc 0
		.amdhsa_float_round_mode_32 0
		.amdhsa_float_round_mode_16_64 0
		.amdhsa_float_denorm_mode_32 3
		.amdhsa_float_denorm_mode_16_64 3
		.amdhsa_dx10_clamp 1
		.amdhsa_ieee_mode 1
		.amdhsa_fp16_overflow 0
		.amdhsa_tg_split 0
		.amdhsa_exception_fp_ieee_invalid_op 0
		.amdhsa_exception_fp_denorm_src 0
		.amdhsa_exception_fp_ieee_div_zero 0
		.amdhsa_exception_fp_ieee_overflow 0
		.amdhsa_exception_fp_ieee_underflow 0
		.amdhsa_exception_fp_ieee_inexact 0
		.amdhsa_exception_int_div_zero 0
	.end_amdhsa_kernel
	.section	.text._ZN7rocprim17ROCPRIM_400000_NS6detail17trampoline_kernelINS0_14default_configENS1_25partition_config_selectorILNS1_17partition_subalgoE1ExNS0_10empty_typeEbEEZZNS1_14partition_implILS5_1ELb0ES3_jN6thrust23THRUST_200600_302600_NS6detail15normal_iteratorINSA_10device_ptrIxEEEEPS6_NSA_18transform_iteratorI7is_evenIxESF_NSA_11use_defaultESK_EENS0_5tupleIJSF_NSA_16discard_iteratorISK_EEEEENSM_IJSG_SG_EEES6_PlJS6_EEE10hipError_tPvRmT3_T4_T5_T6_T7_T9_mT8_P12ihipStream_tbDpT10_ENKUlT_T0_E_clISt17integral_constantIbLb0EES1A_IbLb1EEEEDaS16_S17_EUlS16_E_NS1_11comp_targetILNS1_3genE0ELNS1_11target_archE4294967295ELNS1_3gpuE0ELNS1_3repE0EEENS1_30default_config_static_selectorELNS0_4arch9wavefront6targetE1EEEvT1_,"axG",@progbits,_ZN7rocprim17ROCPRIM_400000_NS6detail17trampoline_kernelINS0_14default_configENS1_25partition_config_selectorILNS1_17partition_subalgoE1ExNS0_10empty_typeEbEEZZNS1_14partition_implILS5_1ELb0ES3_jN6thrust23THRUST_200600_302600_NS6detail15normal_iteratorINSA_10device_ptrIxEEEEPS6_NSA_18transform_iteratorI7is_evenIxESF_NSA_11use_defaultESK_EENS0_5tupleIJSF_NSA_16discard_iteratorISK_EEEEENSM_IJSG_SG_EEES6_PlJS6_EEE10hipError_tPvRmT3_T4_T5_T6_T7_T9_mT8_P12ihipStream_tbDpT10_ENKUlT_T0_E_clISt17integral_constantIbLb0EES1A_IbLb1EEEEDaS16_S17_EUlS16_E_NS1_11comp_targetILNS1_3genE0ELNS1_11target_archE4294967295ELNS1_3gpuE0ELNS1_3repE0EEENS1_30default_config_static_selectorELNS0_4arch9wavefront6targetE1EEEvT1_,comdat
.Lfunc_end3219:
	.size	_ZN7rocprim17ROCPRIM_400000_NS6detail17trampoline_kernelINS0_14default_configENS1_25partition_config_selectorILNS1_17partition_subalgoE1ExNS0_10empty_typeEbEEZZNS1_14partition_implILS5_1ELb0ES3_jN6thrust23THRUST_200600_302600_NS6detail15normal_iteratorINSA_10device_ptrIxEEEEPS6_NSA_18transform_iteratorI7is_evenIxESF_NSA_11use_defaultESK_EENS0_5tupleIJSF_NSA_16discard_iteratorISK_EEEEENSM_IJSG_SG_EEES6_PlJS6_EEE10hipError_tPvRmT3_T4_T5_T6_T7_T9_mT8_P12ihipStream_tbDpT10_ENKUlT_T0_E_clISt17integral_constantIbLb0EES1A_IbLb1EEEEDaS16_S17_EUlS16_E_NS1_11comp_targetILNS1_3genE0ELNS1_11target_archE4294967295ELNS1_3gpuE0ELNS1_3repE0EEENS1_30default_config_static_selectorELNS0_4arch9wavefront6targetE1EEEvT1_, .Lfunc_end3219-_ZN7rocprim17ROCPRIM_400000_NS6detail17trampoline_kernelINS0_14default_configENS1_25partition_config_selectorILNS1_17partition_subalgoE1ExNS0_10empty_typeEbEEZZNS1_14partition_implILS5_1ELb0ES3_jN6thrust23THRUST_200600_302600_NS6detail15normal_iteratorINSA_10device_ptrIxEEEEPS6_NSA_18transform_iteratorI7is_evenIxESF_NSA_11use_defaultESK_EENS0_5tupleIJSF_NSA_16discard_iteratorISK_EEEEENSM_IJSG_SG_EEES6_PlJS6_EEE10hipError_tPvRmT3_T4_T5_T6_T7_T9_mT8_P12ihipStream_tbDpT10_ENKUlT_T0_E_clISt17integral_constantIbLb0EES1A_IbLb1EEEEDaS16_S17_EUlS16_E_NS1_11comp_targetILNS1_3genE0ELNS1_11target_archE4294967295ELNS1_3gpuE0ELNS1_3repE0EEENS1_30default_config_static_selectorELNS0_4arch9wavefront6targetE1EEEvT1_
                                        ; -- End function
	.section	.AMDGPU.csdata,"",@progbits
; Kernel info:
; codeLenInByte = 0
; NumSgprs: 6
; NumVgprs: 0
; NumAgprs: 0
; TotalNumVgprs: 0
; ScratchSize: 0
; MemoryBound: 0
; FloatMode: 240
; IeeeMode: 1
; LDSByteSize: 0 bytes/workgroup (compile time only)
; SGPRBlocks: 0
; VGPRBlocks: 0
; NumSGPRsForWavesPerEU: 6
; NumVGPRsForWavesPerEU: 1
; AccumOffset: 4
; Occupancy: 8
; WaveLimiterHint : 0
; COMPUTE_PGM_RSRC2:SCRATCH_EN: 0
; COMPUTE_PGM_RSRC2:USER_SGPR: 2
; COMPUTE_PGM_RSRC2:TRAP_HANDLER: 0
; COMPUTE_PGM_RSRC2:TGID_X_EN: 1
; COMPUTE_PGM_RSRC2:TGID_Y_EN: 0
; COMPUTE_PGM_RSRC2:TGID_Z_EN: 0
; COMPUTE_PGM_RSRC2:TIDIG_COMP_CNT: 0
; COMPUTE_PGM_RSRC3_GFX90A:ACCUM_OFFSET: 0
; COMPUTE_PGM_RSRC3_GFX90A:TG_SPLIT: 0
	.section	.text._ZN7rocprim17ROCPRIM_400000_NS6detail17trampoline_kernelINS0_14default_configENS1_25partition_config_selectorILNS1_17partition_subalgoE1ExNS0_10empty_typeEbEEZZNS1_14partition_implILS5_1ELb0ES3_jN6thrust23THRUST_200600_302600_NS6detail15normal_iteratorINSA_10device_ptrIxEEEEPS6_NSA_18transform_iteratorI7is_evenIxESF_NSA_11use_defaultESK_EENS0_5tupleIJSF_NSA_16discard_iteratorISK_EEEEENSM_IJSG_SG_EEES6_PlJS6_EEE10hipError_tPvRmT3_T4_T5_T6_T7_T9_mT8_P12ihipStream_tbDpT10_ENKUlT_T0_E_clISt17integral_constantIbLb0EES1A_IbLb1EEEEDaS16_S17_EUlS16_E_NS1_11comp_targetILNS1_3genE5ELNS1_11target_archE942ELNS1_3gpuE9ELNS1_3repE0EEENS1_30default_config_static_selectorELNS0_4arch9wavefront6targetE1EEEvT1_,"axG",@progbits,_ZN7rocprim17ROCPRIM_400000_NS6detail17trampoline_kernelINS0_14default_configENS1_25partition_config_selectorILNS1_17partition_subalgoE1ExNS0_10empty_typeEbEEZZNS1_14partition_implILS5_1ELb0ES3_jN6thrust23THRUST_200600_302600_NS6detail15normal_iteratorINSA_10device_ptrIxEEEEPS6_NSA_18transform_iteratorI7is_evenIxESF_NSA_11use_defaultESK_EENS0_5tupleIJSF_NSA_16discard_iteratorISK_EEEEENSM_IJSG_SG_EEES6_PlJS6_EEE10hipError_tPvRmT3_T4_T5_T6_T7_T9_mT8_P12ihipStream_tbDpT10_ENKUlT_T0_E_clISt17integral_constantIbLb0EES1A_IbLb1EEEEDaS16_S17_EUlS16_E_NS1_11comp_targetILNS1_3genE5ELNS1_11target_archE942ELNS1_3gpuE9ELNS1_3repE0EEENS1_30default_config_static_selectorELNS0_4arch9wavefront6targetE1EEEvT1_,comdat
	.protected	_ZN7rocprim17ROCPRIM_400000_NS6detail17trampoline_kernelINS0_14default_configENS1_25partition_config_selectorILNS1_17partition_subalgoE1ExNS0_10empty_typeEbEEZZNS1_14partition_implILS5_1ELb0ES3_jN6thrust23THRUST_200600_302600_NS6detail15normal_iteratorINSA_10device_ptrIxEEEEPS6_NSA_18transform_iteratorI7is_evenIxESF_NSA_11use_defaultESK_EENS0_5tupleIJSF_NSA_16discard_iteratorISK_EEEEENSM_IJSG_SG_EEES6_PlJS6_EEE10hipError_tPvRmT3_T4_T5_T6_T7_T9_mT8_P12ihipStream_tbDpT10_ENKUlT_T0_E_clISt17integral_constantIbLb0EES1A_IbLb1EEEEDaS16_S17_EUlS16_E_NS1_11comp_targetILNS1_3genE5ELNS1_11target_archE942ELNS1_3gpuE9ELNS1_3repE0EEENS1_30default_config_static_selectorELNS0_4arch9wavefront6targetE1EEEvT1_ ; -- Begin function _ZN7rocprim17ROCPRIM_400000_NS6detail17trampoline_kernelINS0_14default_configENS1_25partition_config_selectorILNS1_17partition_subalgoE1ExNS0_10empty_typeEbEEZZNS1_14partition_implILS5_1ELb0ES3_jN6thrust23THRUST_200600_302600_NS6detail15normal_iteratorINSA_10device_ptrIxEEEEPS6_NSA_18transform_iteratorI7is_evenIxESF_NSA_11use_defaultESK_EENS0_5tupleIJSF_NSA_16discard_iteratorISK_EEEEENSM_IJSG_SG_EEES6_PlJS6_EEE10hipError_tPvRmT3_T4_T5_T6_T7_T9_mT8_P12ihipStream_tbDpT10_ENKUlT_T0_E_clISt17integral_constantIbLb0EES1A_IbLb1EEEEDaS16_S17_EUlS16_E_NS1_11comp_targetILNS1_3genE5ELNS1_11target_archE942ELNS1_3gpuE9ELNS1_3repE0EEENS1_30default_config_static_selectorELNS0_4arch9wavefront6targetE1EEEvT1_
	.globl	_ZN7rocprim17ROCPRIM_400000_NS6detail17trampoline_kernelINS0_14default_configENS1_25partition_config_selectorILNS1_17partition_subalgoE1ExNS0_10empty_typeEbEEZZNS1_14partition_implILS5_1ELb0ES3_jN6thrust23THRUST_200600_302600_NS6detail15normal_iteratorINSA_10device_ptrIxEEEEPS6_NSA_18transform_iteratorI7is_evenIxESF_NSA_11use_defaultESK_EENS0_5tupleIJSF_NSA_16discard_iteratorISK_EEEEENSM_IJSG_SG_EEES6_PlJS6_EEE10hipError_tPvRmT3_T4_T5_T6_T7_T9_mT8_P12ihipStream_tbDpT10_ENKUlT_T0_E_clISt17integral_constantIbLb0EES1A_IbLb1EEEEDaS16_S17_EUlS16_E_NS1_11comp_targetILNS1_3genE5ELNS1_11target_archE942ELNS1_3gpuE9ELNS1_3repE0EEENS1_30default_config_static_selectorELNS0_4arch9wavefront6targetE1EEEvT1_
	.p2align	8
	.type	_ZN7rocprim17ROCPRIM_400000_NS6detail17trampoline_kernelINS0_14default_configENS1_25partition_config_selectorILNS1_17partition_subalgoE1ExNS0_10empty_typeEbEEZZNS1_14partition_implILS5_1ELb0ES3_jN6thrust23THRUST_200600_302600_NS6detail15normal_iteratorINSA_10device_ptrIxEEEEPS6_NSA_18transform_iteratorI7is_evenIxESF_NSA_11use_defaultESK_EENS0_5tupleIJSF_NSA_16discard_iteratorISK_EEEEENSM_IJSG_SG_EEES6_PlJS6_EEE10hipError_tPvRmT3_T4_T5_T6_T7_T9_mT8_P12ihipStream_tbDpT10_ENKUlT_T0_E_clISt17integral_constantIbLb0EES1A_IbLb1EEEEDaS16_S17_EUlS16_E_NS1_11comp_targetILNS1_3genE5ELNS1_11target_archE942ELNS1_3gpuE9ELNS1_3repE0EEENS1_30default_config_static_selectorELNS0_4arch9wavefront6targetE1EEEvT1_,@function
_ZN7rocprim17ROCPRIM_400000_NS6detail17trampoline_kernelINS0_14default_configENS1_25partition_config_selectorILNS1_17partition_subalgoE1ExNS0_10empty_typeEbEEZZNS1_14partition_implILS5_1ELb0ES3_jN6thrust23THRUST_200600_302600_NS6detail15normal_iteratorINSA_10device_ptrIxEEEEPS6_NSA_18transform_iteratorI7is_evenIxESF_NSA_11use_defaultESK_EENS0_5tupleIJSF_NSA_16discard_iteratorISK_EEEEENSM_IJSG_SG_EEES6_PlJS6_EEE10hipError_tPvRmT3_T4_T5_T6_T7_T9_mT8_P12ihipStream_tbDpT10_ENKUlT_T0_E_clISt17integral_constantIbLb0EES1A_IbLb1EEEEDaS16_S17_EUlS16_E_NS1_11comp_targetILNS1_3genE5ELNS1_11target_archE942ELNS1_3gpuE9ELNS1_3repE0EEENS1_30default_config_static_selectorELNS0_4arch9wavefront6targetE1EEEvT1_: ; @_ZN7rocprim17ROCPRIM_400000_NS6detail17trampoline_kernelINS0_14default_configENS1_25partition_config_selectorILNS1_17partition_subalgoE1ExNS0_10empty_typeEbEEZZNS1_14partition_implILS5_1ELb0ES3_jN6thrust23THRUST_200600_302600_NS6detail15normal_iteratorINSA_10device_ptrIxEEEEPS6_NSA_18transform_iteratorI7is_evenIxESF_NSA_11use_defaultESK_EENS0_5tupleIJSF_NSA_16discard_iteratorISK_EEEEENSM_IJSG_SG_EEES6_PlJS6_EEE10hipError_tPvRmT3_T4_T5_T6_T7_T9_mT8_P12ihipStream_tbDpT10_ENKUlT_T0_E_clISt17integral_constantIbLb0EES1A_IbLb1EEEEDaS16_S17_EUlS16_E_NS1_11comp_targetILNS1_3genE5ELNS1_11target_archE942ELNS1_3gpuE9ELNS1_3repE0EEENS1_30default_config_static_selectorELNS0_4arch9wavefront6targetE1EEEvT1_
; %bb.0:
	s_load_dwordx2 s[2:3], s[0:1], 0x20
	s_load_dwordx4 s[20:23], s[0:1], 0x58
	s_load_dwordx2 s[10:11], s[0:1], 0x68
	s_load_dwordx2 s[28:29], s[0:1], 0x78
	v_cmp_eq_u32_e64 s[18:19], 0, v0
	s_and_saveexec_b64 s[4:5], s[18:19]
	s_cbranch_execz .LBB3220_4
; %bb.1:
	s_mov_b64 s[8:9], exec
	v_mbcnt_lo_u32_b32 v1, s8, 0
	v_mbcnt_hi_u32_b32 v1, s9, v1
	v_cmp_eq_u32_e32 vcc, 0, v1
                                        ; implicit-def: $vgpr2
	s_and_saveexec_b64 s[6:7], vcc
	s_cbranch_execz .LBB3220_3
; %bb.2:
	s_load_dwordx2 s[12:13], s[0:1], 0x88
	s_bcnt1_i32_b64 s8, s[8:9]
	v_mov_b32_e32 v2, 0
	v_mov_b32_e32 v3, s8
	s_waitcnt lgkmcnt(0)
	global_atomic_add v2, v2, v3, s[12:13] sc0
.LBB3220_3:
	s_or_b64 exec, exec, s[6:7]
	s_waitcnt vmcnt(0)
	v_readfirstlane_b32 s6, v2
	v_mov_b32_e32 v2, 0
	s_nop 0
	v_add_u32_e32 v1, s6, v1
	ds_write_b32 v2, v1
.LBB3220_4:
	s_or_b64 exec, exec, s[4:5]
	v_mov_b32_e32 v21, 0
	s_load_dwordx4 s[4:7], s[0:1], 0x8
	s_load_dwordx2 s[24:25], s[0:1], 0x30
	s_load_dword s12, s[0:1], 0x80
	s_waitcnt lgkmcnt(0)
	s_barrier
	ds_read_b32 v1, v21
	s_waitcnt lgkmcnt(0)
	s_barrier
	global_load_dwordx2 v[18:19], v21, s[22:23]
	s_lshl_b64 s[8:9], s[6:7], 3
	v_mov_b32_e32 v3, s11
	s_add_u32 s11, s4, s8
	s_mul_i32 s4, s12, 0xe00
	s_addc_u32 s13, s5, s9
	s_add_i32 s1, s4, s6
	s_sub_i32 s33, s10, s1
	s_add_i32 s14, s12, -1
	s_addk_i32 s33, 0xe00
	s_add_u32 s4, s6, s4
	v_readfirstlane_b32 s36, v1
	s_addc_u32 s5, s7, 0
	s_cmp_eq_u32 s36, s14
	v_mov_b32_e32 v2, s10
	s_cselect_b64 s[22:23], -1, 0
	s_cmp_lg_u32 s36, s14
	s_mul_i32 s0, s36, 0xe00
	s_mov_b32 s1, 0
	v_cmp_lt_u64_e32 vcc, s[4:5], v[2:3]
	s_cselect_b64 s[4:5], -1, 0
	s_or_b64 s[26:27], vcc, s[4:5]
	s_lshl_b64 s[4:5], s[0:1], 3
	s_add_u32 s6, s11, s4
	s_addc_u32 s7, s13, s5
	s_mov_b64 s[0:1], -1
	s_and_b64 vcc, exec, s[26:27]
	v_lshlrev_b32_e32 v20, 3, v0
	s_cbranch_vccz .LBB3220_6
; %bb.5:
	v_lshl_add_u64 v[2:3], s[6:7], 0, v[20:21]
	v_add_co_u32_e32 v4, vcc, 0x1000, v2
	s_mov_b64 s[0:1], 0
	s_nop 0
	v_addc_co_u32_e32 v5, vcc, 0, v3, vcc
	v_add_co_u32_e32 v6, vcc, 0x2000, v2
	s_nop 1
	v_addc_co_u32_e32 v7, vcc, 0, v3, vcc
	v_add_co_u32_e32 v8, vcc, 0x3000, v2
	s_nop 1
	v_addc_co_u32_e32 v9, vcc, 0, v3, vcc
	flat_load_dwordx2 v[10:11], v[2:3]
	flat_load_dwordx2 v[12:13], v[4:5]
	;; [unrolled: 1-line block ×4, first 2 shown]
	v_add_co_u32_e32 v4, vcc, 0x4000, v2
	s_nop 1
	v_addc_co_u32_e32 v5, vcc, 0, v3, vcc
	v_add_co_u32_e32 v6, vcc, 0x5000, v2
	s_nop 1
	v_addc_co_u32_e32 v7, vcc, 0, v3, vcc
	;; [unrolled: 3-line block ×3, first 2 shown]
	flat_load_dwordx2 v[8:9], v[4:5]
	flat_load_dwordx2 v[22:23], v[6:7]
	flat_load_dwordx2 v[24:25], v[2:3]
	s_waitcnt vmcnt(0) lgkmcnt(0)
	ds_write2st64_b64 v20, v[10:11], v[12:13] offset1:8
	ds_write2st64_b64 v20, v[14:15], v[16:17] offset0:16 offset1:24
	ds_write2st64_b64 v20, v[8:9], v[22:23] offset0:32 offset1:40
	ds_write_b64 v20, v[24:25] offset:24576
	s_waitcnt lgkmcnt(0)
	s_barrier
.LBB3220_6:
	s_andn2_b64 vcc, exec, s[0:1]
	v_cmp_gt_u32_e64 s[0:1], s33, v0
	s_cbranch_vccnz .LBB3220_22
; %bb.7:
                                        ; implicit-def: $vgpr2_vgpr3_vgpr4_vgpr5_vgpr6_vgpr7_vgpr8_vgpr9_vgpr10_vgpr11_vgpr12_vgpr13_vgpr14_vgpr15_vgpr16_vgpr17
	s_and_saveexec_b64 s[10:11], s[0:1]
	s_cbranch_execz .LBB3220_9
; %bb.8:
	v_mov_b32_e32 v21, 0
	v_lshl_add_u64 v[2:3], s[6:7], 0, v[20:21]
	flat_load_dwordx2 v[2:3], v[2:3]
.LBB3220_9:
	s_or_b64 exec, exec, s[10:11]
	v_or_b32_e32 v1, 0x200, v0
	v_cmp_gt_u32_e32 vcc, s33, v1
	s_and_saveexec_b64 s[0:1], vcc
	s_cbranch_execz .LBB3220_11
; %bb.10:
	v_lshlrev_b32_e32 v4, 3, v1
	v_mov_b32_e32 v5, 0
	v_lshl_add_u64 v[4:5], s[6:7], 0, v[4:5]
	flat_load_dwordx2 v[4:5], v[4:5]
.LBB3220_11:
	s_or_b64 exec, exec, s[0:1]
	v_or_b32_e32 v1, 0x400, v0
	v_cmp_gt_u32_e32 vcc, s33, v1
	s_and_saveexec_b64 s[0:1], vcc
	s_cbranch_execz .LBB3220_13
; %bb.12:
	v_lshlrev_b32_e32 v6, 3, v1
	v_mov_b32_e32 v7, 0
	v_lshl_add_u64 v[6:7], s[6:7], 0, v[6:7]
	flat_load_dwordx2 v[6:7], v[6:7]
.LBB3220_13:
	;; [unrolled: 11-line block ×6, first 2 shown]
	s_or_b64 exec, exec, s[0:1]
	s_waitcnt vmcnt(0) lgkmcnt(0)
	ds_write2st64_b64 v20, v[2:3], v[4:5] offset1:8
	ds_write2st64_b64 v20, v[6:7], v[8:9] offset0:16 offset1:24
	ds_write2st64_b64 v20, v[10:11], v[12:13] offset0:32 offset1:40
	ds_write_b64 v20, v[14:15] offset:24576
	s_waitcnt lgkmcnt(0)
	s_barrier
.LBB3220_22:
	v_mul_u32_u24_e32 v1, 7, v0
	v_lshlrev_b32_e32 v16, 3, v1
	ds_read2_b64 v[10:13], v16 offset1:1
	ds_read2_b64 v[6:9], v16 offset0:2 offset1:3
	ds_read2_b64 v[2:5], v16 offset0:4 offset1:5
	ds_read_b64 v[14:15], v16 offset:48
	s_add_u32 s0, s2, s8
	s_addc_u32 s1, s3, s9
	s_add_u32 s0, s0, s4
	s_addc_u32 s1, s1, s5
	s_mov_b64 s[2:3], -1
	s_and_b64 vcc, exec, s[26:27]
	s_waitcnt lgkmcnt(0)
	s_barrier
	s_cbranch_vccz .LBB3220_24
; %bb.23:
	v_mov_b32_e32 v21, 0
	v_lshl_add_u64 v[22:23], s[0:1], 0, v[20:21]
	v_add_co_u32_e32 v26, vcc, 0x1000, v22
	global_load_dwordx2 v[24:25], v20, s[0:1]
	s_nop 0
	v_addc_co_u32_e32 v27, vcc, 0, v23, vcc
	v_add_co_u32_e32 v28, vcc, 0x2000, v22
	s_mov_b64 s[2:3], 0
	s_nop 0
	v_addc_co_u32_e32 v29, vcc, 0, v23, vcc
	v_add_co_u32_e32 v30, vcc, 0x3000, v22
	s_waitcnt vmcnt(0)
	v_xor_b32_e32 v17, -1, v24
	v_addc_co_u32_e32 v31, vcc, 0, v23, vcc
	v_add_co_u32_e32 v32, vcc, 0x4000, v22
	v_and_b32_e32 v17, 1, v17
	s_nop 0
	v_addc_co_u32_e32 v33, vcc, 0, v23, vcc
	global_load_dwordx2 v[34:35], v[26:27], off
	global_load_dwordx2 v[36:37], v[28:29], off
	;; [unrolled: 1-line block ×4, first 2 shown]
	v_add_co_u32_e32 v26, vcc, 0x5000, v22
	ds_write_b8 v0, v17
	s_nop 0
	v_addc_co_u32_e32 v27, vcc, 0, v23, vcc
	v_add_co_u32_e32 v22, vcc, 0x6000, v22
	global_load_dwordx2 v[26:27], v[26:27], off
	s_nop 0
	v_addc_co_u32_e32 v23, vcc, 0, v23, vcc
	global_load_dwordx2 v[22:23], v[22:23], off
	s_waitcnt vmcnt(5)
	v_xor_b32_e32 v17, -1, v34
	v_and_b32_e32 v17, 1, v17
	s_waitcnt vmcnt(4)
	v_xor_b32_e32 v21, -1, v36
	s_waitcnt vmcnt(0)
	v_xor_b32_e32 v23, -1, v38
	v_and_b32_e32 v21, 1, v21
	ds_write_b8 v0, v17 offset:512
	v_and_b32_e32 v17, 1, v23
	v_xor_b32_e32 v23, -1, v40
	ds_write_b8 v0, v21 offset:1024
	v_and_b32_e32 v21, 1, v23
	ds_write_b8 v0, v17 offset:1536
	v_xor_b32_e32 v23, -1, v26
	v_and_b32_e32 v17, 1, v23
	ds_write_b8 v0, v21 offset:2048
	v_xor_b32_e32 v22, -1, v22
	v_and_b32_e32 v21, 1, v22
	ds_write_b8 v0, v17 offset:2560
	ds_write_b8 v0, v21 offset:3072
	s_waitcnt lgkmcnt(0)
	s_barrier
.LBB3220_24:
	s_andn2_b64 vcc, exec, s[2:3]
	s_cbranch_vccnz .LBB3220_40
; %bb.25:
	v_cmp_gt_u32_e32 vcc, s33, v0
	v_mov_b32_e32 v17, 0
	v_mov_b32_e32 v21, 0
	s_and_saveexec_b64 s[2:3], vcc
	s_cbranch_execz .LBB3220_27
; %bb.26:
	global_load_dwordx2 v[22:23], v20, s[0:1]
	s_waitcnt vmcnt(0)
	v_xor_b32_e32 v21, -1, v22
	v_and_b32_e32 v21, 1, v21
.LBB3220_27:
	s_or_b64 exec, exec, s[2:3]
	v_or_b32_e32 v22, 0x200, v0
	v_cmp_gt_u32_e32 vcc, s33, v22
	s_and_saveexec_b64 s[2:3], vcc
	s_cbranch_execz .LBB3220_29
; %bb.28:
	v_lshlrev_b32_e32 v17, 3, v22
	global_load_dwordx2 v[22:23], v17, s[0:1]
	s_waitcnt vmcnt(0)
	v_xor_b32_e32 v17, -1, v22
	v_and_b32_e32 v17, 1, v17
.LBB3220_29:
	s_or_b64 exec, exec, s[2:3]
	v_or_b32_e32 v24, 0x400, v0
	v_cmp_gt_u32_e32 vcc, s33, v24
	v_mov_b32_e32 v22, 0
	v_mov_b32_e32 v23, 0
	s_and_saveexec_b64 s[2:3], vcc
	s_cbranch_execz .LBB3220_31
; %bb.30:
	v_lshlrev_b32_e32 v23, 3, v24
	global_load_dwordx2 v[24:25], v23, s[0:1]
	s_waitcnt vmcnt(0)
	v_xor_b32_e32 v23, -1, v24
	v_and_b32_e32 v23, 1, v23
.LBB3220_31:
	s_or_b64 exec, exec, s[2:3]
	v_or_b32_e32 v24, 0x600, v0
	v_cmp_gt_u32_e32 vcc, s33, v24
	s_and_saveexec_b64 s[2:3], vcc
	s_cbranch_execz .LBB3220_33
; %bb.32:
	v_lshlrev_b32_e32 v22, 3, v24
	global_load_dwordx2 v[24:25], v22, s[0:1]
	s_waitcnt vmcnt(0)
	v_xor_b32_e32 v22, -1, v24
	v_and_b32_e32 v22, 1, v22
.LBB3220_33:
	s_or_b64 exec, exec, s[2:3]
	v_or_b32_e32 v26, 0x800, v0
	v_cmp_gt_u32_e32 vcc, s33, v26
	v_mov_b32_e32 v24, 0
	v_mov_b32_e32 v25, 0
	s_and_saveexec_b64 s[2:3], vcc
	s_cbranch_execz .LBB3220_35
; %bb.34:
	v_lshlrev_b32_e32 v25, 3, v26
	global_load_dwordx2 v[26:27], v25, s[0:1]
	s_waitcnt vmcnt(0)
	v_xor_b32_e32 v25, -1, v26
	v_and_b32_e32 v25, 1, v25
.LBB3220_35:
	s_or_b64 exec, exec, s[2:3]
	v_or_b32_e32 v26, 0xa00, v0
	v_cmp_gt_u32_e32 vcc, s33, v26
	s_and_saveexec_b64 s[2:3], vcc
	s_cbranch_execz .LBB3220_37
; %bb.36:
	v_lshlrev_b32_e32 v24, 3, v26
	global_load_dwordx2 v[26:27], v24, s[0:1]
	s_waitcnt vmcnt(0)
	v_xor_b32_e32 v24, -1, v26
	v_and_b32_e32 v24, 1, v24
.LBB3220_37:
	s_or_b64 exec, exec, s[2:3]
	v_or_b32_e32 v27, 0xc00, v0
	v_cmp_gt_u32_e32 vcc, s33, v27
	v_mov_b32_e32 v26, 0
	s_and_saveexec_b64 s[2:3], vcc
	s_cbranch_execz .LBB3220_39
; %bb.38:
	v_lshlrev_b32_e32 v26, 3, v27
	global_load_dwordx2 v[26:27], v26, s[0:1]
	s_waitcnt vmcnt(0)
	v_xor_b32_e32 v26, -1, v26
	v_and_b32_e32 v26, 1, v26
.LBB3220_39:
	s_or_b64 exec, exec, s[2:3]
	ds_write_b8 v0, v21
	ds_write_b8 v0, v17 offset:512
	ds_write_b8 v0, v23 offset:1024
	;; [unrolled: 1-line block ×6, first 2 shown]
	s_waitcnt lgkmcnt(0)
	s_barrier
.LBB3220_40:
	s_movk_i32 s0, 0xffcf
	v_mad_i32_i24 v37, v0, s0, v16
	ds_read_u8 v16, v37
	ds_read_u8 v17, v37 offset:1
	ds_read_u8 v21, v37 offset:2
	;; [unrolled: 1-line block ×6, first 2 shown]
	s_waitcnt lgkmcnt(6)
	v_and_b32_e32 v35, 1, v16
	s_waitcnt lgkmcnt(5)
	v_and_b32_e32 v34, 1, v17
	;; [unrolled: 2-line block ×5, first 2 shown]
	v_add3_u32 v16, v34, v35, v33
	s_waitcnt lgkmcnt(1)
	v_and_b32_e32 v30, 1, v24
	s_waitcnt lgkmcnt(0)
	v_and_b32_e32 v21, 1, v25
	v_add3_u32 v16, v16, v32, v31
	v_add3_u32 v39, v16, v30, v21
	v_mbcnt_lo_u32_b32 v16, -1, 0
	v_mbcnt_hi_u32_b32 v36, -1, v16
	v_and_b32_e32 v16, 15, v36
	v_cmp_eq_u32_e64 s[14:15], 0, v16
	v_cmp_lt_u32_e64 s[12:13], 1, v16
	v_cmp_lt_u32_e64 s[10:11], 3, v16
	;; [unrolled: 1-line block ×3, first 2 shown]
	v_and_b32_e32 v16, 16, v36
	v_cmp_eq_u32_e64 s[6:7], 0, v16
	v_or_b32_e32 v16, 63, v0
	s_cmp_lg_u32 s36, 0
	v_cmp_lt_u32_e64 s[2:3], 31, v36
	v_lshrrev_b32_e32 v38, 6, v0
	v_cmp_eq_u32_e64 s[4:5], v16, v0
	s_barrier
	s_cbranch_scc0 .LBB3220_67
; %bb.41:
	v_mov_b32_dpp v16, v39 row_shr:1 row_mask:0xf bank_mask:0xf
	v_cndmask_b32_e64 v16, v16, 0, s[14:15]
	v_add_u32_e32 v16, v16, v39
	s_nop 1
	v_mov_b32_dpp v17, v16 row_shr:2 row_mask:0xf bank_mask:0xf
	v_cndmask_b32_e64 v17, 0, v17, s[12:13]
	v_add_u32_e32 v16, v16, v17
	s_nop 1
	;; [unrolled: 4-line block ×4, first 2 shown]
	v_mov_b32_dpp v17, v16 row_bcast:15 row_mask:0xf bank_mask:0xf
	v_cndmask_b32_e64 v17, v17, 0, s[6:7]
	v_add_u32_e32 v16, v16, v17
	s_nop 1
	v_mov_b32_dpp v17, v16 row_bcast:31 row_mask:0xf bank_mask:0xf
	v_cndmask_b32_e64 v17, 0, v17, s[2:3]
	v_add_u32_e32 v16, v16, v17
	s_and_saveexec_b64 s[0:1], s[4:5]
	s_cbranch_execz .LBB3220_43
; %bb.42:
	v_lshlrev_b32_e32 v17, 2, v38
	ds_write_b32 v17, v16
.LBB3220_43:
	s_or_b64 exec, exec, s[0:1]
	v_cmp_gt_u32_e32 vcc, 8, v0
	s_waitcnt lgkmcnt(0)
	s_barrier
	s_and_saveexec_b64 s[0:1], vcc
	s_cbranch_execz .LBB3220_45
; %bb.44:
	v_lshlrev_b32_e32 v17, 2, v0
	ds_read_b32 v22, v17
	v_and_b32_e32 v23, 7, v36
	v_cmp_ne_u32_e32 vcc, 0, v23
	s_waitcnt lgkmcnt(0)
	v_mov_b32_dpp v24, v22 row_shr:1 row_mask:0xf bank_mask:0xf
	v_cndmask_b32_e32 v24, 0, v24, vcc
	v_add_u32_e32 v22, v24, v22
	v_cmp_lt_u32_e32 vcc, 1, v23
	s_nop 0
	v_mov_b32_dpp v24, v22 row_shr:2 row_mask:0xf bank_mask:0xf
	v_cndmask_b32_e32 v24, 0, v24, vcc
	v_add_u32_e32 v22, v22, v24
	v_cmp_lt_u32_e32 vcc, 3, v23
	s_nop 0
	v_mov_b32_dpp v24, v22 row_shr:4 row_mask:0xf bank_mask:0xf
	v_cndmask_b32_e32 v23, 0, v24, vcc
	v_add_u32_e32 v22, v22, v23
	ds_write_b32 v17, v22
.LBB3220_45:
	s_or_b64 exec, exec, s[0:1]
	v_cmp_gt_u32_e32 vcc, 64, v0
	v_cmp_lt_u32_e64 s[0:1], 63, v0
	s_waitcnt lgkmcnt(0)
	s_barrier
	s_waitcnt lgkmcnt(0)
                                        ; implicit-def: $vgpr40
	s_and_saveexec_b64 s[16:17], s[0:1]
	s_cbranch_execz .LBB3220_47
; %bb.46:
	v_lshl_add_u32 v17, v38, 2, -4
	ds_read_b32 v40, v17
	s_waitcnt lgkmcnt(0)
	v_add_u32_e32 v16, v40, v16
.LBB3220_47:
	s_or_b64 exec, exec, s[16:17]
	v_add_u32_e32 v17, -1, v36
	v_and_b32_e32 v22, 64, v36
	v_cmp_lt_i32_e64 s[0:1], v17, v22
	v_cmp_eq_u32_e64 s[16:17], 0, v36
	s_nop 0
	v_cndmask_b32_e64 v17, v17, v36, s[0:1]
	v_lshlrev_b32_e32 v17, 2, v17
	ds_bpermute_b32 v41, v17, v16
	s_and_saveexec_b64 s[0:1], vcc
	s_cbranch_execz .LBB3220_66
; %bb.48:
	v_mov_b32_e32 v27, 0
	ds_read_b32 v16, v27 offset:28
	s_and_saveexec_b64 s[30:31], s[16:17]
	s_cbranch_execz .LBB3220_50
; %bb.49:
	s_add_i32 s34, s36, 64
	s_mov_b32 s35, 0
	s_lshl_b64 s[34:35], s[34:35], 3
	s_add_u32 s34, s28, s34
	v_mov_b32_e32 v17, 1
	s_addc_u32 s35, s29, s35
	s_waitcnt lgkmcnt(0)
	global_store_dwordx2 v27, v[16:17], s[34:35] sc1
.LBB3220_50:
	s_or_b64 exec, exec, s[30:31]
	v_xad_u32 v22, v36, -1, s36
	v_add_u32_e32 v26, 64, v22
	v_lshl_add_u64 v[28:29], v[26:27], 3, s[28:29]
	global_load_dwordx2 v[24:25], v[28:29], off sc1
	s_waitcnt vmcnt(0)
	v_cmp_eq_u16_sdwa s[34:35], v25, v27 src0_sel:BYTE_0 src1_sel:DWORD
	s_and_saveexec_b64 s[30:31], s[34:35]
	s_cbranch_execz .LBB3220_54
; %bb.51:
	s_mov_b64 s[34:35], 0
	v_mov_b32_e32 v17, 0
.LBB3220_52:                            ; =>This Inner Loop Header: Depth=1
	global_load_dwordx2 v[24:25], v[28:29], off sc1
	s_waitcnt vmcnt(0)
	v_cmp_ne_u16_sdwa s[38:39], v25, v17 src0_sel:BYTE_0 src1_sel:DWORD
	s_or_b64 s[34:35], s[38:39], s[34:35]
	s_andn2_b64 exec, exec, s[34:35]
	s_cbranch_execnz .LBB3220_52
; %bb.53:
	s_or_b64 exec, exec, s[34:35]
.LBB3220_54:
	s_or_b64 exec, exec, s[30:31]
	v_and_b32_e32 v43, 63, v36
	v_mov_b32_e32 v42, 2
	v_cmp_ne_u32_e32 vcc, 63, v43
	v_cmp_eq_u16_sdwa s[30:31], v25, v42 src0_sel:BYTE_0 src1_sel:DWORD
	v_lshlrev_b64 v[26:27], v36, -1
	v_addc_co_u32_e32 v28, vcc, 0, v36, vcc
	v_and_b32_e32 v17, s31, v27
	v_lshlrev_b32_e32 v44, 2, v28
	v_or_b32_e32 v17, 0x80000000, v17
	ds_bpermute_b32 v28, v44, v24
	v_and_b32_e32 v23, s30, v26
	v_ffbl_b32_e32 v17, v17
	v_add_u32_e32 v17, 32, v17
	v_ffbl_b32_e32 v23, v23
	v_min_u32_e32 v17, v23, v17
	v_cmp_lt_u32_e32 vcc, v43, v17
	v_add_u32_e32 v46, 2, v43
	v_add_u32_e32 v48, 4, v43
	s_waitcnt lgkmcnt(0)
	v_cndmask_b32_e32 v23, 0, v28, vcc
	v_cmp_gt_u32_e32 vcc, 62, v43
	v_add_u32_e32 v23, v23, v24
	v_add_u32_e32 v50, 8, v43
	v_cndmask_b32_e64 v24, 0, 1, vcc
	v_lshlrev_b32_e32 v24, 1, v24
	v_add_lshl_u32 v45, v24, v36, 2
	ds_bpermute_b32 v24, v45, v23
	v_cmp_le_u32_e32 vcc, v46, v17
	v_add_u32_e32 v52, 16, v43
	v_add_u32_e32 v54, 32, v43
	s_waitcnt lgkmcnt(0)
	v_cndmask_b32_e32 v24, 0, v24, vcc
	v_cmp_gt_u32_e32 vcc, 60, v43
	v_add_u32_e32 v23, v23, v24
	s_nop 0
	v_cndmask_b32_e64 v24, 0, 1, vcc
	v_lshlrev_b32_e32 v24, 2, v24
	v_add_lshl_u32 v47, v24, v36, 2
	ds_bpermute_b32 v24, v47, v23
	v_cmp_le_u32_e32 vcc, v48, v17
	s_waitcnt lgkmcnt(0)
	s_nop 0
	v_cndmask_b32_e32 v24, 0, v24, vcc
	v_cmp_gt_u32_e32 vcc, 56, v43
	v_add_u32_e32 v23, v23, v24
	s_nop 0
	v_cndmask_b32_e64 v24, 0, 1, vcc
	v_lshlrev_b32_e32 v24, 3, v24
	v_add_lshl_u32 v49, v24, v36, 2
	ds_bpermute_b32 v24, v49, v23
	v_cmp_le_u32_e32 vcc, v50, v17
	s_waitcnt lgkmcnt(0)
	s_nop 0
	;; [unrolled: 11-line block ×4, first 2 shown]
	v_cndmask_b32_e32 v17, 0, v24, vcc
	v_add_u32_e32 v24, v23, v17
	v_mov_b32_e32 v23, 0
	s_branch .LBB3220_56
.LBB3220_55:                            ;   in Loop: Header=BB3220_56 Depth=1
	s_or_b64 exec, exec, s[30:31]
	v_cmp_eq_u16_sdwa s[30:31], v25, v42 src0_sel:BYTE_0 src1_sel:DWORD
	ds_bpermute_b32 v55, v44, v24
	v_subrev_u32_e32 v22, 64, v22
	v_and_b32_e32 v28, s31, v27
	v_or_b32_e32 v28, 0x80000000, v28
	v_and_b32_e32 v29, s30, v26
	v_ffbl_b32_e32 v28, v28
	v_add_u32_e32 v28, 32, v28
	v_ffbl_b32_e32 v29, v29
	v_min_u32_e32 v28, v29, v28
	v_cmp_lt_u32_e32 vcc, v43, v28
	s_waitcnt lgkmcnt(0)
	s_nop 0
	v_cndmask_b32_e32 v29, 0, v55, vcc
	v_add_u32_e32 v24, v29, v24
	ds_bpermute_b32 v29, v45, v24
	v_cmp_le_u32_e32 vcc, v46, v28
	s_waitcnt lgkmcnt(0)
	s_nop 0
	v_cndmask_b32_e32 v29, 0, v29, vcc
	v_add_u32_e32 v24, v24, v29
	ds_bpermute_b32 v29, v47, v24
	v_cmp_le_u32_e32 vcc, v48, v28
	;; [unrolled: 6-line block ×5, first 2 shown]
	s_waitcnt lgkmcnt(0)
	s_nop 0
	v_cndmask_b32_e32 v28, 0, v29, vcc
	v_add3_u32 v24, v28, v17, v24
.LBB3220_56:                            ; =>This Loop Header: Depth=1
                                        ;     Child Loop BB3220_59 Depth 2
	v_cmp_ne_u16_sdwa s[30:31], v25, v42 src0_sel:BYTE_0 src1_sel:DWORD
	s_nop 1
	v_cndmask_b32_e64 v17, 0, 1, s[30:31]
	;;#ASMSTART
	;;#ASMEND
	s_nop 0
	v_cmp_ne_u32_e32 vcc, 0, v17
	s_cmp_lg_u64 vcc, exec
	v_mov_b32_e32 v17, v24
	s_cbranch_scc1 .LBB3220_61
; %bb.57:                               ;   in Loop: Header=BB3220_56 Depth=1
	v_lshl_add_u64 v[28:29], v[22:23], 3, s[28:29]
	global_load_dwordx2 v[24:25], v[28:29], off sc1
	s_waitcnt vmcnt(0)
	v_cmp_eq_u16_sdwa s[34:35], v25, v23 src0_sel:BYTE_0 src1_sel:DWORD
	s_and_saveexec_b64 s[30:31], s[34:35]
	s_cbranch_execz .LBB3220_55
; %bb.58:                               ;   in Loop: Header=BB3220_56 Depth=1
	s_mov_b64 s[34:35], 0
.LBB3220_59:                            ;   Parent Loop BB3220_56 Depth=1
                                        ; =>  This Inner Loop Header: Depth=2
	global_load_dwordx2 v[24:25], v[28:29], off sc1
	s_waitcnt vmcnt(0)
	v_cmp_ne_u16_sdwa s[38:39], v25, v23 src0_sel:BYTE_0 src1_sel:DWORD
	s_or_b64 s[34:35], s[38:39], s[34:35]
	s_andn2_b64 exec, exec, s[34:35]
	s_cbranch_execnz .LBB3220_59
; %bb.60:                               ;   in Loop: Header=BB3220_56 Depth=1
	s_or_b64 exec, exec, s[34:35]
	s_branch .LBB3220_55
.LBB3220_61:                            ;   in Loop: Header=BB3220_56 Depth=1
                                        ; implicit-def: $vgpr24
                                        ; implicit-def: $vgpr25
	s_cbranch_execz .LBB3220_56
; %bb.62:
	s_and_saveexec_b64 s[30:31], s[16:17]
	s_cbranch_execz .LBB3220_64
; %bb.63:
	s_add_i32 s34, s36, 64
	s_mov_b32 s35, 0
	s_lshl_b64 s[34:35], s[34:35], 3
	s_add_u32 s34, s28, s34
	v_add_u32_e32 v22, v17, v16
	v_mov_b32_e32 v23, 2
	s_addc_u32 s35, s29, s35
	v_mov_b32_e32 v24, 0
	global_store_dwordx2 v24, v[22:23], s[34:35] sc1
	ds_write_b64 v24, v[16:17] offset:28672
.LBB3220_64:
	s_or_b64 exec, exec, s[30:31]
	s_and_b64 exec, exec, s[18:19]
	s_cbranch_execz .LBB3220_66
; %bb.65:
	v_mov_b32_e32 v16, 0
	ds_write_b32 v16, v17 offset:28
.LBB3220_66:
	s_or_b64 exec, exec, s[0:1]
	v_mov_b32_e32 v16, 0
	s_waitcnt lgkmcnt(0)
	s_barrier
	ds_read_b32 v17, v16 offset:28
	v_cndmask_b32_e64 v22, v41, v40, s[16:17]
	v_cndmask_b32_e64 v22, v22, 0, s[18:19]
	s_waitcnt lgkmcnt(0)
	s_barrier
	v_add_u32_e32 v29, v17, v22
	v_add_u32_e32 v28, v29, v35
	ds_read_b64 v[16:17], v16 offset:28672
	v_add_u32_e32 v27, v28, v34
	v_add_u32_e32 v25, v27, v33
	;; [unrolled: 1-line block ×5, first 2 shown]
	s_waitcnt lgkmcnt(0)
	v_mov_b32_e32 v22, v17
	s_branch .LBB3220_77
.LBB3220_67:
                                        ; implicit-def: $vgpr22
                                        ; implicit-def: $vgpr16
                                        ; implicit-def: $vgpr23
                                        ; implicit-def: $vgpr24
                                        ; implicit-def: $vgpr26
                                        ; implicit-def: $vgpr25
                                        ; implicit-def: $vgpr27
                                        ; implicit-def: $vgpr28
                                        ; implicit-def: $vgpr29
	s_cbranch_execz .LBB3220_77
; %bb.68:
	s_nop 0
	v_mov_b32_dpp v16, v39 row_shr:1 row_mask:0xf bank_mask:0xf
	v_cndmask_b32_e64 v16, v16, 0, s[14:15]
	v_add_u32_e32 v16, v16, v39
	s_nop 1
	v_mov_b32_dpp v17, v16 row_shr:2 row_mask:0xf bank_mask:0xf
	v_cndmask_b32_e64 v17, 0, v17, s[12:13]
	v_add_u32_e32 v16, v16, v17
	;; [unrolled: 4-line block ×4, first 2 shown]
	s_nop 1
	v_mov_b32_dpp v17, v16 row_bcast:15 row_mask:0xf bank_mask:0xf
	v_cndmask_b32_e64 v17, v17, 0, s[6:7]
	v_add_u32_e32 v16, v16, v17
	s_nop 1
	v_mov_b32_dpp v17, v16 row_bcast:31 row_mask:0xf bank_mask:0xf
	v_cndmask_b32_e64 v17, 0, v17, s[2:3]
	v_add_u32_e32 v16, v16, v17
	s_and_saveexec_b64 s[0:1], s[4:5]
	s_cbranch_execz .LBB3220_70
; %bb.69:
	v_lshlrev_b32_e32 v17, 2, v38
	ds_write_b32 v17, v16
.LBB3220_70:
	s_or_b64 exec, exec, s[0:1]
	v_cmp_gt_u32_e32 vcc, 8, v0
	s_waitcnt lgkmcnt(0)
	s_barrier
	s_and_saveexec_b64 s[0:1], vcc
	s_cbranch_execz .LBB3220_72
; %bb.71:
	v_mad_i32_i24 v17, v0, -3, v37
	ds_read_b32 v22, v17
	v_and_b32_e32 v23, 7, v36
	v_cmp_ne_u32_e32 vcc, 0, v23
	s_waitcnt lgkmcnt(0)
	v_mov_b32_dpp v24, v22 row_shr:1 row_mask:0xf bank_mask:0xf
	v_cndmask_b32_e32 v24, 0, v24, vcc
	v_add_u32_e32 v22, v24, v22
	v_cmp_lt_u32_e32 vcc, 1, v23
	s_nop 0
	v_mov_b32_dpp v24, v22 row_shr:2 row_mask:0xf bank_mask:0xf
	v_cndmask_b32_e32 v24, 0, v24, vcc
	v_add_u32_e32 v22, v22, v24
	v_cmp_lt_u32_e32 vcc, 3, v23
	s_nop 0
	v_mov_b32_dpp v24, v22 row_shr:4 row_mask:0xf bank_mask:0xf
	v_cndmask_b32_e32 v23, 0, v24, vcc
	v_add_u32_e32 v22, v22, v23
	ds_write_b32 v17, v22
.LBB3220_72:
	s_or_b64 exec, exec, s[0:1]
	v_cmp_lt_u32_e32 vcc, 63, v0
	v_mov_b32_e32 v17, 0
	v_mov_b32_e32 v22, 0
	s_waitcnt lgkmcnt(0)
	s_barrier
	s_and_saveexec_b64 s[0:1], vcc
	s_cbranch_execz .LBB3220_74
; %bb.73:
	v_lshl_add_u32 v22, v38, 2, -4
	ds_read_b32 v22, v22
.LBB3220_74:
	s_or_b64 exec, exec, s[0:1]
	v_add_u32_e32 v23, -1, v36
	v_and_b32_e32 v24, 64, v36
	v_cmp_lt_i32_e32 vcc, v23, v24
	s_waitcnt lgkmcnt(0)
	v_add_u32_e32 v16, v22, v16
	v_cndmask_b32_e32 v23, v23, v36, vcc
	v_lshlrev_b32_e32 v23, 2, v23
	ds_bpermute_b32 v23, v23, v16
	ds_read_b32 v16, v17 offset:28
	s_and_saveexec_b64 s[0:1], s[18:19]
	s_cbranch_execz .LBB3220_76
; %bb.75:
	v_mov_b32_e32 v24, 0
	v_mov_b32_e32 v17, 2
	s_waitcnt lgkmcnt(0)
	global_store_dwordx2 v24, v[16:17], s[28:29] offset:512 sc1
.LBB3220_76:
	s_or_b64 exec, exec, s[0:1]
	v_cmp_eq_u32_e32 vcc, 0, v36
	s_waitcnt lgkmcnt(0)
	s_barrier
	v_cndmask_b32_e32 v17, v23, v22, vcc
	v_cndmask_b32_e64 v29, v17, 0, s[18:19]
	v_add_u32_e32 v28, v29, v35
	v_add_u32_e32 v27, v28, v34
	v_add_u32_e32 v25, v27, v33
	v_add_u32_e32 v26, v25, v32
	v_add_u32_e32 v24, v26, v31
	v_mov_b32_e32 v22, 0
	v_add_u32_e32 v23, v24, v30
.LBB3220_77:
	v_add_u32_e32 v1, v16, v1
	v_sub_u32_e32 v17, v29, v22
	v_sub_u32_e32 v29, v1, v17
	v_cmp_eq_u32_e32 vcc, 1, v35
	s_nop 1
	v_cndmask_b32_e32 v17, v29, v17, vcc
	v_lshlrev_b32_e32 v17, 3, v17
	ds_write_b64 v17, v[10:11]
	v_sub_u32_e32 v10, v28, v22
	v_sub_u32_e32 v11, v1, v10
	v_add_u32_e32 v11, 1, v11
	v_cmp_eq_u32_e32 vcc, 1, v34
	v_or_b32_e32 v29, 0x400, v0
	v_or_b32_e32 v28, 0x600, v0
	v_cndmask_b32_e32 v10, v11, v10, vcc
	v_lshlrev_b32_e32 v10, 3, v10
	ds_write_b64 v10, v[12:13]
	v_sub_u32_e32 v10, v27, v22
	v_sub_u32_e32 v11, v1, v10
	v_add_u32_e32 v11, 2, v11
	v_cmp_eq_u32_e32 vcc, 1, v33
	v_or_b32_e32 v17, 0xa00, v0
	s_nop 0
	v_cndmask_b32_e32 v10, v11, v10, vcc
	v_lshlrev_b32_e32 v10, 3, v10
	ds_write_b64 v10, v[6:7]
	v_sub_u32_e32 v6, v25, v22
	v_sub_u32_e32 v7, v1, v6
	v_add_u32_e32 v7, 3, v7
	v_cmp_eq_u32_e32 vcc, 1, v32
	s_nop 1
	v_cndmask_b32_e32 v6, v7, v6, vcc
	v_lshlrev_b32_e32 v6, 3, v6
	ds_write_b64 v6, v[8:9]
	v_sub_u32_e32 v6, v26, v22
	v_sub_u32_e32 v7, v1, v6
	v_add_u32_e32 v7, 4, v7
	v_cmp_eq_u32_e32 vcc, 1, v31
	s_waitcnt vmcnt(0)
	v_lshlrev_b64 v[26:27], 3, v[18:19]
	v_cndmask_b32_e32 v6, v7, v6, vcc
	v_lshlrev_b32_e32 v6, 3, v6
	ds_write_b64 v6, v[2:3]
	v_sub_u32_e32 v2, v24, v22
	v_sub_u32_e32 v3, v1, v2
	v_add_u32_e32 v3, 5, v3
	v_cmp_eq_u32_e32 vcc, 1, v30
	v_or_b32_e32 v30, 0x200, v0
	s_nop 0
	v_cndmask_b32_e32 v2, v3, v2, vcc
	v_lshlrev_b32_e32 v2, 3, v2
	ds_write_b64 v2, v[4:5]
	v_sub_u32_e32 v2, v23, v22
	v_sub_u32_e32 v1, v1, v2
	v_add_u32_e32 v1, 6, v1
	v_cmp_eq_u32_e32 vcc, 1, v21
	v_or_b32_e32 v21, 0x800, v0
	s_nop 0
	v_cndmask_b32_e32 v1, v1, v2, vcc
	v_lshlrev_b32_e32 v1, 3, v1
	ds_write_b64 v1, v[14:15]
	s_waitcnt lgkmcnt(0)
	s_barrier
	ds_read2st64_b64 v[10:13], v20 offset1:8
	ds_read2st64_b64 v[6:9], v20 offset0:16 offset1:24
	ds_read2st64_b64 v[2:5], v20 offset0:32 offset1:40
	ds_read_b64 v[14:15], v20 offset:24576
	v_or_b32_e32 v1, 0xc00, v0
	s_andn2_b64 vcc, exec, s[26:27]
	s_cbranch_vccnz .LBB3220_86
; %bb.78:
	v_mov_b32_e32 v23, 0
	v_lshl_add_u64 v[24:25], s[24:25], 0, v[26:27]
	v_lshlrev_b64 v[32:33], 3, v[22:23]
	v_lshl_add_u64 v[24:25], v[24:25], 0, v[32:33]
	v_cmp_lt_u32_e32 vcc, v0, v16
	s_and_saveexec_b64 s[0:1], vcc
	s_cbranch_execnz .LBB3220_100
; %bb.79:
	s_or_b64 exec, exec, s[0:1]
	v_cmp_lt_u32_e32 vcc, v30, v16
	s_and_saveexec_b64 s[0:1], vcc
	s_cbranch_execnz .LBB3220_101
.LBB3220_80:
	s_or_b64 exec, exec, s[0:1]
	v_cmp_lt_u32_e32 vcc, v29, v16
	s_and_saveexec_b64 s[0:1], vcc
	s_cbranch_execnz .LBB3220_102
.LBB3220_81:
	s_or_b64 exec, exec, s[0:1]
	v_cmp_lt_u32_e32 vcc, v28, v16
	s_and_saveexec_b64 s[0:1], vcc
	s_cbranch_execnz .LBB3220_103
.LBB3220_82:
	s_or_b64 exec, exec, s[0:1]
	v_cmp_lt_u32_e32 vcc, v21, v16
	s_and_saveexec_b64 s[0:1], vcc
	s_cbranch_execnz .LBB3220_104
.LBB3220_83:
	s_or_b64 exec, exec, s[0:1]
	v_cmp_lt_u32_e32 vcc, v17, v16
	s_and_saveexec_b64 s[0:1], vcc
	s_cbranch_execz .LBB3220_85
.LBB3220_84:
	v_lshlrev_b32_e32 v23, 3, v17
	v_readfirstlane_b32 s2, v24
	v_readfirstlane_b32 s3, v25
	s_waitcnt lgkmcnt(1)
	s_nop 3
	global_store_dwordx2 v23, v[4:5], s[2:3]
.LBB3220_85:
	s_or_b64 exec, exec, s[0:1]
	v_cmp_lt_u32_e64 s[0:1], v1, v16
	s_branch .LBB3220_95
.LBB3220_86:
	s_mov_b64 s[0:1], 0
                                        ; implicit-def: $vgpr24_vgpr25
	s_cbranch_execz .LBB3220_95
; %bb.87:
	v_mov_b32_e32 v23, 0
	v_min_u32_e32 v31, s33, v16
	v_lshl_add_u64 v[24:25], s[24:25], 0, v[26:27]
	v_lshlrev_b64 v[26:27], 3, v[22:23]
	v_lshl_add_u64 v[24:25], v[24:25], 0, v[26:27]
	v_cmp_gt_u32_e32 vcc, v31, v0
	s_and_saveexec_b64 s[0:1], vcc
	s_cbranch_execnz .LBB3220_105
; %bb.88:
	s_or_b64 exec, exec, s[0:1]
	v_cmp_lt_u32_e32 vcc, v30, v31
	s_and_saveexec_b64 s[0:1], vcc
	s_cbranch_execnz .LBB3220_106
.LBB3220_89:
	s_or_b64 exec, exec, s[0:1]
	v_cmp_lt_u32_e32 vcc, v29, v31
	s_and_saveexec_b64 s[0:1], vcc
	s_cbranch_execnz .LBB3220_107
.LBB3220_90:
	s_or_b64 exec, exec, s[0:1]
	v_cmp_lt_u32_e32 vcc, v28, v31
	s_and_saveexec_b64 s[0:1], vcc
	s_cbranch_execnz .LBB3220_108
.LBB3220_91:
	s_or_b64 exec, exec, s[0:1]
	v_cmp_lt_u32_e32 vcc, v21, v31
	s_and_saveexec_b64 s[0:1], vcc
	s_cbranch_execnz .LBB3220_109
.LBB3220_92:
	s_or_b64 exec, exec, s[0:1]
	v_cmp_lt_u32_e32 vcc, v17, v31
	s_and_saveexec_b64 s[0:1], vcc
	s_cbranch_execz .LBB3220_94
.LBB3220_93:
	v_lshlrev_b32_e32 v0, 3, v17
	v_readfirstlane_b32 s2, v24
	v_readfirstlane_b32 s3, v25
	s_waitcnt lgkmcnt(1)
	s_nop 3
	global_store_dwordx2 v0, v[4:5], s[2:3]
.LBB3220_94:
	s_or_b64 exec, exec, s[0:1]
	v_cmp_lt_u32_e64 s[0:1], v1, v31
.LBB3220_95:
	s_and_saveexec_b64 s[2:3], s[0:1]
	s_cbranch_execnz .LBB3220_98
; %bb.96:
	s_or_b64 exec, exec, s[2:3]
	s_and_b64 s[0:1], s[18:19], s[22:23]
	s_and_saveexec_b64 s[2:3], s[0:1]
	s_cbranch_execnz .LBB3220_99
.LBB3220_97:
	s_endpgm
.LBB3220_98:
	v_lshlrev_b32_e32 v0, 3, v1
	v_readfirstlane_b32 s0, v24
	v_readfirstlane_b32 s1, v25
	s_waitcnt lgkmcnt(0)
	s_nop 3
	global_store_dwordx2 v0, v[14:15], s[0:1]
	s_or_b64 exec, exec, s[2:3]
	s_and_b64 s[0:1], s[18:19], s[22:23]
	s_and_saveexec_b64 s[2:3], s[0:1]
	s_cbranch_execz .LBB3220_97
.LBB3220_99:
	v_mov_b32_e32 v17, 0
	v_lshl_add_u64 v[0:1], v[18:19], 0, v[16:17]
	v_mov_b32_e32 v23, v17
	v_lshl_add_u64 v[0:1], v[0:1], 0, v[22:23]
	global_store_dwordx2 v17, v[0:1], s[20:21]
	s_endpgm
.LBB3220_100:
	v_readfirstlane_b32 s2, v24
	v_readfirstlane_b32 s3, v25
	s_waitcnt lgkmcnt(3)
	s_nop 3
	global_store_dwordx2 v20, v[10:11], s[2:3]
	s_or_b64 exec, exec, s[0:1]
	v_cmp_lt_u32_e32 vcc, v30, v16
	s_and_saveexec_b64 s[0:1], vcc
	s_cbranch_execz .LBB3220_80
.LBB3220_101:
	v_lshlrev_b32_e32 v23, 3, v30
	v_readfirstlane_b32 s2, v24
	v_readfirstlane_b32 s3, v25
	s_waitcnt lgkmcnt(3)
	s_nop 3
	global_store_dwordx2 v23, v[12:13], s[2:3]
	s_or_b64 exec, exec, s[0:1]
	v_cmp_lt_u32_e32 vcc, v29, v16
	s_and_saveexec_b64 s[0:1], vcc
	s_cbranch_execz .LBB3220_81
.LBB3220_102:
	v_lshlrev_b32_e32 v23, 3, v29
	v_readfirstlane_b32 s2, v24
	v_readfirstlane_b32 s3, v25
	s_waitcnt lgkmcnt(2)
	s_nop 3
	global_store_dwordx2 v23, v[6:7], s[2:3]
	s_or_b64 exec, exec, s[0:1]
	v_cmp_lt_u32_e32 vcc, v28, v16
	s_and_saveexec_b64 s[0:1], vcc
	s_cbranch_execz .LBB3220_82
.LBB3220_103:
	v_lshlrev_b32_e32 v23, 3, v28
	v_readfirstlane_b32 s2, v24
	v_readfirstlane_b32 s3, v25
	s_waitcnt lgkmcnt(2)
	s_nop 3
	global_store_dwordx2 v23, v[8:9], s[2:3]
	s_or_b64 exec, exec, s[0:1]
	v_cmp_lt_u32_e32 vcc, v21, v16
	s_and_saveexec_b64 s[0:1], vcc
	s_cbranch_execz .LBB3220_83
.LBB3220_104:
	v_lshlrev_b32_e32 v23, 3, v21
	v_readfirstlane_b32 s2, v24
	v_readfirstlane_b32 s3, v25
	s_waitcnt lgkmcnt(1)
	s_nop 3
	global_store_dwordx2 v23, v[2:3], s[2:3]
	s_or_b64 exec, exec, s[0:1]
	v_cmp_lt_u32_e32 vcc, v17, v16
	s_and_saveexec_b64 s[0:1], vcc
	s_cbranch_execnz .LBB3220_84
	s_branch .LBB3220_85
.LBB3220_105:
	v_readfirstlane_b32 s2, v24
	v_readfirstlane_b32 s3, v25
	s_waitcnt lgkmcnt(3)
	s_nop 3
	global_store_dwordx2 v20, v[10:11], s[2:3]
	s_or_b64 exec, exec, s[0:1]
	v_cmp_lt_u32_e32 vcc, v30, v31
	s_and_saveexec_b64 s[0:1], vcc
	s_cbranch_execz .LBB3220_89
.LBB3220_106:
	v_lshlrev_b32_e32 v0, 3, v30
	v_readfirstlane_b32 s2, v24
	v_readfirstlane_b32 s3, v25
	s_waitcnt lgkmcnt(3)
	s_nop 3
	global_store_dwordx2 v0, v[12:13], s[2:3]
	s_or_b64 exec, exec, s[0:1]
	v_cmp_lt_u32_e32 vcc, v29, v31
	s_and_saveexec_b64 s[0:1], vcc
	s_cbranch_execz .LBB3220_90
.LBB3220_107:
	v_lshlrev_b32_e32 v0, 3, v29
	v_readfirstlane_b32 s2, v24
	v_readfirstlane_b32 s3, v25
	s_waitcnt lgkmcnt(2)
	s_nop 3
	global_store_dwordx2 v0, v[6:7], s[2:3]
	s_or_b64 exec, exec, s[0:1]
	v_cmp_lt_u32_e32 vcc, v28, v31
	s_and_saveexec_b64 s[0:1], vcc
	s_cbranch_execz .LBB3220_91
.LBB3220_108:
	v_lshlrev_b32_e32 v0, 3, v28
	v_readfirstlane_b32 s2, v24
	v_readfirstlane_b32 s3, v25
	s_waitcnt lgkmcnt(2)
	s_nop 3
	global_store_dwordx2 v0, v[8:9], s[2:3]
	s_or_b64 exec, exec, s[0:1]
	v_cmp_lt_u32_e32 vcc, v21, v31
	s_and_saveexec_b64 s[0:1], vcc
	s_cbranch_execz .LBB3220_92
.LBB3220_109:
	v_lshlrev_b32_e32 v0, 3, v21
	v_readfirstlane_b32 s2, v24
	v_readfirstlane_b32 s3, v25
	s_waitcnt lgkmcnt(1)
	s_nop 3
	global_store_dwordx2 v0, v[2:3], s[2:3]
	s_or_b64 exec, exec, s[0:1]
	v_cmp_lt_u32_e32 vcc, v17, v31
	s_and_saveexec_b64 s[0:1], vcc
	s_cbranch_execnz .LBB3220_93
	s_branch .LBB3220_94
	.section	.rodata,"a",@progbits
	.p2align	6, 0x0
	.amdhsa_kernel _ZN7rocprim17ROCPRIM_400000_NS6detail17trampoline_kernelINS0_14default_configENS1_25partition_config_selectorILNS1_17partition_subalgoE1ExNS0_10empty_typeEbEEZZNS1_14partition_implILS5_1ELb0ES3_jN6thrust23THRUST_200600_302600_NS6detail15normal_iteratorINSA_10device_ptrIxEEEEPS6_NSA_18transform_iteratorI7is_evenIxESF_NSA_11use_defaultESK_EENS0_5tupleIJSF_NSA_16discard_iteratorISK_EEEEENSM_IJSG_SG_EEES6_PlJS6_EEE10hipError_tPvRmT3_T4_T5_T6_T7_T9_mT8_P12ihipStream_tbDpT10_ENKUlT_T0_E_clISt17integral_constantIbLb0EES1A_IbLb1EEEEDaS16_S17_EUlS16_E_NS1_11comp_targetILNS1_3genE5ELNS1_11target_archE942ELNS1_3gpuE9ELNS1_3repE0EEENS1_30default_config_static_selectorELNS0_4arch9wavefront6targetE1EEEvT1_
		.amdhsa_group_segment_fixed_size 28680
		.amdhsa_private_segment_fixed_size 0
		.amdhsa_kernarg_size 152
		.amdhsa_user_sgpr_count 2
		.amdhsa_user_sgpr_dispatch_ptr 0
		.amdhsa_user_sgpr_queue_ptr 0
		.amdhsa_user_sgpr_kernarg_segment_ptr 1
		.amdhsa_user_sgpr_dispatch_id 0
		.amdhsa_user_sgpr_kernarg_preload_length 0
		.amdhsa_user_sgpr_kernarg_preload_offset 0
		.amdhsa_user_sgpr_private_segment_size 0
		.amdhsa_uses_dynamic_stack 0
		.amdhsa_enable_private_segment 0
		.amdhsa_system_sgpr_workgroup_id_x 1
		.amdhsa_system_sgpr_workgroup_id_y 0
		.amdhsa_system_sgpr_workgroup_id_z 0
		.amdhsa_system_sgpr_workgroup_info 0
		.amdhsa_system_vgpr_workitem_id 0
		.amdhsa_next_free_vgpr 56
		.amdhsa_next_free_sgpr 40
		.amdhsa_accum_offset 56
		.amdhsa_reserve_vcc 1
		.amdhsa_float_round_mode_32 0
		.amdhsa_float_round_mode_16_64 0
		.amdhsa_float_denorm_mode_32 3
		.amdhsa_float_denorm_mode_16_64 3
		.amdhsa_dx10_clamp 1
		.amdhsa_ieee_mode 1
		.amdhsa_fp16_overflow 0
		.amdhsa_tg_split 0
		.amdhsa_exception_fp_ieee_invalid_op 0
		.amdhsa_exception_fp_denorm_src 0
		.amdhsa_exception_fp_ieee_div_zero 0
		.amdhsa_exception_fp_ieee_overflow 0
		.amdhsa_exception_fp_ieee_underflow 0
		.amdhsa_exception_fp_ieee_inexact 0
		.amdhsa_exception_int_div_zero 0
	.end_amdhsa_kernel
	.section	.text._ZN7rocprim17ROCPRIM_400000_NS6detail17trampoline_kernelINS0_14default_configENS1_25partition_config_selectorILNS1_17partition_subalgoE1ExNS0_10empty_typeEbEEZZNS1_14partition_implILS5_1ELb0ES3_jN6thrust23THRUST_200600_302600_NS6detail15normal_iteratorINSA_10device_ptrIxEEEEPS6_NSA_18transform_iteratorI7is_evenIxESF_NSA_11use_defaultESK_EENS0_5tupleIJSF_NSA_16discard_iteratorISK_EEEEENSM_IJSG_SG_EEES6_PlJS6_EEE10hipError_tPvRmT3_T4_T5_T6_T7_T9_mT8_P12ihipStream_tbDpT10_ENKUlT_T0_E_clISt17integral_constantIbLb0EES1A_IbLb1EEEEDaS16_S17_EUlS16_E_NS1_11comp_targetILNS1_3genE5ELNS1_11target_archE942ELNS1_3gpuE9ELNS1_3repE0EEENS1_30default_config_static_selectorELNS0_4arch9wavefront6targetE1EEEvT1_,"axG",@progbits,_ZN7rocprim17ROCPRIM_400000_NS6detail17trampoline_kernelINS0_14default_configENS1_25partition_config_selectorILNS1_17partition_subalgoE1ExNS0_10empty_typeEbEEZZNS1_14partition_implILS5_1ELb0ES3_jN6thrust23THRUST_200600_302600_NS6detail15normal_iteratorINSA_10device_ptrIxEEEEPS6_NSA_18transform_iteratorI7is_evenIxESF_NSA_11use_defaultESK_EENS0_5tupleIJSF_NSA_16discard_iteratorISK_EEEEENSM_IJSG_SG_EEES6_PlJS6_EEE10hipError_tPvRmT3_T4_T5_T6_T7_T9_mT8_P12ihipStream_tbDpT10_ENKUlT_T0_E_clISt17integral_constantIbLb0EES1A_IbLb1EEEEDaS16_S17_EUlS16_E_NS1_11comp_targetILNS1_3genE5ELNS1_11target_archE942ELNS1_3gpuE9ELNS1_3repE0EEENS1_30default_config_static_selectorELNS0_4arch9wavefront6targetE1EEEvT1_,comdat
.Lfunc_end3220:
	.size	_ZN7rocprim17ROCPRIM_400000_NS6detail17trampoline_kernelINS0_14default_configENS1_25partition_config_selectorILNS1_17partition_subalgoE1ExNS0_10empty_typeEbEEZZNS1_14partition_implILS5_1ELb0ES3_jN6thrust23THRUST_200600_302600_NS6detail15normal_iteratorINSA_10device_ptrIxEEEEPS6_NSA_18transform_iteratorI7is_evenIxESF_NSA_11use_defaultESK_EENS0_5tupleIJSF_NSA_16discard_iteratorISK_EEEEENSM_IJSG_SG_EEES6_PlJS6_EEE10hipError_tPvRmT3_T4_T5_T6_T7_T9_mT8_P12ihipStream_tbDpT10_ENKUlT_T0_E_clISt17integral_constantIbLb0EES1A_IbLb1EEEEDaS16_S17_EUlS16_E_NS1_11comp_targetILNS1_3genE5ELNS1_11target_archE942ELNS1_3gpuE9ELNS1_3repE0EEENS1_30default_config_static_selectorELNS0_4arch9wavefront6targetE1EEEvT1_, .Lfunc_end3220-_ZN7rocprim17ROCPRIM_400000_NS6detail17trampoline_kernelINS0_14default_configENS1_25partition_config_selectorILNS1_17partition_subalgoE1ExNS0_10empty_typeEbEEZZNS1_14partition_implILS5_1ELb0ES3_jN6thrust23THRUST_200600_302600_NS6detail15normal_iteratorINSA_10device_ptrIxEEEEPS6_NSA_18transform_iteratorI7is_evenIxESF_NSA_11use_defaultESK_EENS0_5tupleIJSF_NSA_16discard_iteratorISK_EEEEENSM_IJSG_SG_EEES6_PlJS6_EEE10hipError_tPvRmT3_T4_T5_T6_T7_T9_mT8_P12ihipStream_tbDpT10_ENKUlT_T0_E_clISt17integral_constantIbLb0EES1A_IbLb1EEEEDaS16_S17_EUlS16_E_NS1_11comp_targetILNS1_3genE5ELNS1_11target_archE942ELNS1_3gpuE9ELNS1_3repE0EEENS1_30default_config_static_selectorELNS0_4arch9wavefront6targetE1EEEvT1_
                                        ; -- End function
	.section	.AMDGPU.csdata,"",@progbits
; Kernel info:
; codeLenInByte = 5140
; NumSgprs: 46
; NumVgprs: 56
; NumAgprs: 0
; TotalNumVgprs: 56
; ScratchSize: 0
; MemoryBound: 0
; FloatMode: 240
; IeeeMode: 1
; LDSByteSize: 28680 bytes/workgroup (compile time only)
; SGPRBlocks: 5
; VGPRBlocks: 6
; NumSGPRsForWavesPerEU: 46
; NumVGPRsForWavesPerEU: 56
; AccumOffset: 56
; Occupancy: 4
; WaveLimiterHint : 1
; COMPUTE_PGM_RSRC2:SCRATCH_EN: 0
; COMPUTE_PGM_RSRC2:USER_SGPR: 2
; COMPUTE_PGM_RSRC2:TRAP_HANDLER: 0
; COMPUTE_PGM_RSRC2:TGID_X_EN: 1
; COMPUTE_PGM_RSRC2:TGID_Y_EN: 0
; COMPUTE_PGM_RSRC2:TGID_Z_EN: 0
; COMPUTE_PGM_RSRC2:TIDIG_COMP_CNT: 0
; COMPUTE_PGM_RSRC3_GFX90A:ACCUM_OFFSET: 13
; COMPUTE_PGM_RSRC3_GFX90A:TG_SPLIT: 0
	.section	.text._ZN7rocprim17ROCPRIM_400000_NS6detail17trampoline_kernelINS0_14default_configENS1_25partition_config_selectorILNS1_17partition_subalgoE1ExNS0_10empty_typeEbEEZZNS1_14partition_implILS5_1ELb0ES3_jN6thrust23THRUST_200600_302600_NS6detail15normal_iteratorINSA_10device_ptrIxEEEEPS6_NSA_18transform_iteratorI7is_evenIxESF_NSA_11use_defaultESK_EENS0_5tupleIJSF_NSA_16discard_iteratorISK_EEEEENSM_IJSG_SG_EEES6_PlJS6_EEE10hipError_tPvRmT3_T4_T5_T6_T7_T9_mT8_P12ihipStream_tbDpT10_ENKUlT_T0_E_clISt17integral_constantIbLb0EES1A_IbLb1EEEEDaS16_S17_EUlS16_E_NS1_11comp_targetILNS1_3genE4ELNS1_11target_archE910ELNS1_3gpuE8ELNS1_3repE0EEENS1_30default_config_static_selectorELNS0_4arch9wavefront6targetE1EEEvT1_,"axG",@progbits,_ZN7rocprim17ROCPRIM_400000_NS6detail17trampoline_kernelINS0_14default_configENS1_25partition_config_selectorILNS1_17partition_subalgoE1ExNS0_10empty_typeEbEEZZNS1_14partition_implILS5_1ELb0ES3_jN6thrust23THRUST_200600_302600_NS6detail15normal_iteratorINSA_10device_ptrIxEEEEPS6_NSA_18transform_iteratorI7is_evenIxESF_NSA_11use_defaultESK_EENS0_5tupleIJSF_NSA_16discard_iteratorISK_EEEEENSM_IJSG_SG_EEES6_PlJS6_EEE10hipError_tPvRmT3_T4_T5_T6_T7_T9_mT8_P12ihipStream_tbDpT10_ENKUlT_T0_E_clISt17integral_constantIbLb0EES1A_IbLb1EEEEDaS16_S17_EUlS16_E_NS1_11comp_targetILNS1_3genE4ELNS1_11target_archE910ELNS1_3gpuE8ELNS1_3repE0EEENS1_30default_config_static_selectorELNS0_4arch9wavefront6targetE1EEEvT1_,comdat
	.protected	_ZN7rocprim17ROCPRIM_400000_NS6detail17trampoline_kernelINS0_14default_configENS1_25partition_config_selectorILNS1_17partition_subalgoE1ExNS0_10empty_typeEbEEZZNS1_14partition_implILS5_1ELb0ES3_jN6thrust23THRUST_200600_302600_NS6detail15normal_iteratorINSA_10device_ptrIxEEEEPS6_NSA_18transform_iteratorI7is_evenIxESF_NSA_11use_defaultESK_EENS0_5tupleIJSF_NSA_16discard_iteratorISK_EEEEENSM_IJSG_SG_EEES6_PlJS6_EEE10hipError_tPvRmT3_T4_T5_T6_T7_T9_mT8_P12ihipStream_tbDpT10_ENKUlT_T0_E_clISt17integral_constantIbLb0EES1A_IbLb1EEEEDaS16_S17_EUlS16_E_NS1_11comp_targetILNS1_3genE4ELNS1_11target_archE910ELNS1_3gpuE8ELNS1_3repE0EEENS1_30default_config_static_selectorELNS0_4arch9wavefront6targetE1EEEvT1_ ; -- Begin function _ZN7rocprim17ROCPRIM_400000_NS6detail17trampoline_kernelINS0_14default_configENS1_25partition_config_selectorILNS1_17partition_subalgoE1ExNS0_10empty_typeEbEEZZNS1_14partition_implILS5_1ELb0ES3_jN6thrust23THRUST_200600_302600_NS6detail15normal_iteratorINSA_10device_ptrIxEEEEPS6_NSA_18transform_iteratorI7is_evenIxESF_NSA_11use_defaultESK_EENS0_5tupleIJSF_NSA_16discard_iteratorISK_EEEEENSM_IJSG_SG_EEES6_PlJS6_EEE10hipError_tPvRmT3_T4_T5_T6_T7_T9_mT8_P12ihipStream_tbDpT10_ENKUlT_T0_E_clISt17integral_constantIbLb0EES1A_IbLb1EEEEDaS16_S17_EUlS16_E_NS1_11comp_targetILNS1_3genE4ELNS1_11target_archE910ELNS1_3gpuE8ELNS1_3repE0EEENS1_30default_config_static_selectorELNS0_4arch9wavefront6targetE1EEEvT1_
	.globl	_ZN7rocprim17ROCPRIM_400000_NS6detail17trampoline_kernelINS0_14default_configENS1_25partition_config_selectorILNS1_17partition_subalgoE1ExNS0_10empty_typeEbEEZZNS1_14partition_implILS5_1ELb0ES3_jN6thrust23THRUST_200600_302600_NS6detail15normal_iteratorINSA_10device_ptrIxEEEEPS6_NSA_18transform_iteratorI7is_evenIxESF_NSA_11use_defaultESK_EENS0_5tupleIJSF_NSA_16discard_iteratorISK_EEEEENSM_IJSG_SG_EEES6_PlJS6_EEE10hipError_tPvRmT3_T4_T5_T6_T7_T9_mT8_P12ihipStream_tbDpT10_ENKUlT_T0_E_clISt17integral_constantIbLb0EES1A_IbLb1EEEEDaS16_S17_EUlS16_E_NS1_11comp_targetILNS1_3genE4ELNS1_11target_archE910ELNS1_3gpuE8ELNS1_3repE0EEENS1_30default_config_static_selectorELNS0_4arch9wavefront6targetE1EEEvT1_
	.p2align	8
	.type	_ZN7rocprim17ROCPRIM_400000_NS6detail17trampoline_kernelINS0_14default_configENS1_25partition_config_selectorILNS1_17partition_subalgoE1ExNS0_10empty_typeEbEEZZNS1_14partition_implILS5_1ELb0ES3_jN6thrust23THRUST_200600_302600_NS6detail15normal_iteratorINSA_10device_ptrIxEEEEPS6_NSA_18transform_iteratorI7is_evenIxESF_NSA_11use_defaultESK_EENS0_5tupleIJSF_NSA_16discard_iteratorISK_EEEEENSM_IJSG_SG_EEES6_PlJS6_EEE10hipError_tPvRmT3_T4_T5_T6_T7_T9_mT8_P12ihipStream_tbDpT10_ENKUlT_T0_E_clISt17integral_constantIbLb0EES1A_IbLb1EEEEDaS16_S17_EUlS16_E_NS1_11comp_targetILNS1_3genE4ELNS1_11target_archE910ELNS1_3gpuE8ELNS1_3repE0EEENS1_30default_config_static_selectorELNS0_4arch9wavefront6targetE1EEEvT1_,@function
_ZN7rocprim17ROCPRIM_400000_NS6detail17trampoline_kernelINS0_14default_configENS1_25partition_config_selectorILNS1_17partition_subalgoE1ExNS0_10empty_typeEbEEZZNS1_14partition_implILS5_1ELb0ES3_jN6thrust23THRUST_200600_302600_NS6detail15normal_iteratorINSA_10device_ptrIxEEEEPS6_NSA_18transform_iteratorI7is_evenIxESF_NSA_11use_defaultESK_EENS0_5tupleIJSF_NSA_16discard_iteratorISK_EEEEENSM_IJSG_SG_EEES6_PlJS6_EEE10hipError_tPvRmT3_T4_T5_T6_T7_T9_mT8_P12ihipStream_tbDpT10_ENKUlT_T0_E_clISt17integral_constantIbLb0EES1A_IbLb1EEEEDaS16_S17_EUlS16_E_NS1_11comp_targetILNS1_3genE4ELNS1_11target_archE910ELNS1_3gpuE8ELNS1_3repE0EEENS1_30default_config_static_selectorELNS0_4arch9wavefront6targetE1EEEvT1_: ; @_ZN7rocprim17ROCPRIM_400000_NS6detail17trampoline_kernelINS0_14default_configENS1_25partition_config_selectorILNS1_17partition_subalgoE1ExNS0_10empty_typeEbEEZZNS1_14partition_implILS5_1ELb0ES3_jN6thrust23THRUST_200600_302600_NS6detail15normal_iteratorINSA_10device_ptrIxEEEEPS6_NSA_18transform_iteratorI7is_evenIxESF_NSA_11use_defaultESK_EENS0_5tupleIJSF_NSA_16discard_iteratorISK_EEEEENSM_IJSG_SG_EEES6_PlJS6_EEE10hipError_tPvRmT3_T4_T5_T6_T7_T9_mT8_P12ihipStream_tbDpT10_ENKUlT_T0_E_clISt17integral_constantIbLb0EES1A_IbLb1EEEEDaS16_S17_EUlS16_E_NS1_11comp_targetILNS1_3genE4ELNS1_11target_archE910ELNS1_3gpuE8ELNS1_3repE0EEENS1_30default_config_static_selectorELNS0_4arch9wavefront6targetE1EEEvT1_
; %bb.0:
	.section	.rodata,"a",@progbits
	.p2align	6, 0x0
	.amdhsa_kernel _ZN7rocprim17ROCPRIM_400000_NS6detail17trampoline_kernelINS0_14default_configENS1_25partition_config_selectorILNS1_17partition_subalgoE1ExNS0_10empty_typeEbEEZZNS1_14partition_implILS5_1ELb0ES3_jN6thrust23THRUST_200600_302600_NS6detail15normal_iteratorINSA_10device_ptrIxEEEEPS6_NSA_18transform_iteratorI7is_evenIxESF_NSA_11use_defaultESK_EENS0_5tupleIJSF_NSA_16discard_iteratorISK_EEEEENSM_IJSG_SG_EEES6_PlJS6_EEE10hipError_tPvRmT3_T4_T5_T6_T7_T9_mT8_P12ihipStream_tbDpT10_ENKUlT_T0_E_clISt17integral_constantIbLb0EES1A_IbLb1EEEEDaS16_S17_EUlS16_E_NS1_11comp_targetILNS1_3genE4ELNS1_11target_archE910ELNS1_3gpuE8ELNS1_3repE0EEENS1_30default_config_static_selectorELNS0_4arch9wavefront6targetE1EEEvT1_
		.amdhsa_group_segment_fixed_size 0
		.amdhsa_private_segment_fixed_size 0
		.amdhsa_kernarg_size 152
		.amdhsa_user_sgpr_count 2
		.amdhsa_user_sgpr_dispatch_ptr 0
		.amdhsa_user_sgpr_queue_ptr 0
		.amdhsa_user_sgpr_kernarg_segment_ptr 1
		.amdhsa_user_sgpr_dispatch_id 0
		.amdhsa_user_sgpr_kernarg_preload_length 0
		.amdhsa_user_sgpr_kernarg_preload_offset 0
		.amdhsa_user_sgpr_private_segment_size 0
		.amdhsa_uses_dynamic_stack 0
		.amdhsa_enable_private_segment 0
		.amdhsa_system_sgpr_workgroup_id_x 1
		.amdhsa_system_sgpr_workgroup_id_y 0
		.amdhsa_system_sgpr_workgroup_id_z 0
		.amdhsa_system_sgpr_workgroup_info 0
		.amdhsa_system_vgpr_workitem_id 0
		.amdhsa_next_free_vgpr 1
		.amdhsa_next_free_sgpr 0
		.amdhsa_accum_offset 4
		.amdhsa_reserve_vcc 0
		.amdhsa_float_round_mode_32 0
		.amdhsa_float_round_mode_16_64 0
		.amdhsa_float_denorm_mode_32 3
		.amdhsa_float_denorm_mode_16_64 3
		.amdhsa_dx10_clamp 1
		.amdhsa_ieee_mode 1
		.amdhsa_fp16_overflow 0
		.amdhsa_tg_split 0
		.amdhsa_exception_fp_ieee_invalid_op 0
		.amdhsa_exception_fp_denorm_src 0
		.amdhsa_exception_fp_ieee_div_zero 0
		.amdhsa_exception_fp_ieee_overflow 0
		.amdhsa_exception_fp_ieee_underflow 0
		.amdhsa_exception_fp_ieee_inexact 0
		.amdhsa_exception_int_div_zero 0
	.end_amdhsa_kernel
	.section	.text._ZN7rocprim17ROCPRIM_400000_NS6detail17trampoline_kernelINS0_14default_configENS1_25partition_config_selectorILNS1_17partition_subalgoE1ExNS0_10empty_typeEbEEZZNS1_14partition_implILS5_1ELb0ES3_jN6thrust23THRUST_200600_302600_NS6detail15normal_iteratorINSA_10device_ptrIxEEEEPS6_NSA_18transform_iteratorI7is_evenIxESF_NSA_11use_defaultESK_EENS0_5tupleIJSF_NSA_16discard_iteratorISK_EEEEENSM_IJSG_SG_EEES6_PlJS6_EEE10hipError_tPvRmT3_T4_T5_T6_T7_T9_mT8_P12ihipStream_tbDpT10_ENKUlT_T0_E_clISt17integral_constantIbLb0EES1A_IbLb1EEEEDaS16_S17_EUlS16_E_NS1_11comp_targetILNS1_3genE4ELNS1_11target_archE910ELNS1_3gpuE8ELNS1_3repE0EEENS1_30default_config_static_selectorELNS0_4arch9wavefront6targetE1EEEvT1_,"axG",@progbits,_ZN7rocprim17ROCPRIM_400000_NS6detail17trampoline_kernelINS0_14default_configENS1_25partition_config_selectorILNS1_17partition_subalgoE1ExNS0_10empty_typeEbEEZZNS1_14partition_implILS5_1ELb0ES3_jN6thrust23THRUST_200600_302600_NS6detail15normal_iteratorINSA_10device_ptrIxEEEEPS6_NSA_18transform_iteratorI7is_evenIxESF_NSA_11use_defaultESK_EENS0_5tupleIJSF_NSA_16discard_iteratorISK_EEEEENSM_IJSG_SG_EEES6_PlJS6_EEE10hipError_tPvRmT3_T4_T5_T6_T7_T9_mT8_P12ihipStream_tbDpT10_ENKUlT_T0_E_clISt17integral_constantIbLb0EES1A_IbLb1EEEEDaS16_S17_EUlS16_E_NS1_11comp_targetILNS1_3genE4ELNS1_11target_archE910ELNS1_3gpuE8ELNS1_3repE0EEENS1_30default_config_static_selectorELNS0_4arch9wavefront6targetE1EEEvT1_,comdat
.Lfunc_end3221:
	.size	_ZN7rocprim17ROCPRIM_400000_NS6detail17trampoline_kernelINS0_14default_configENS1_25partition_config_selectorILNS1_17partition_subalgoE1ExNS0_10empty_typeEbEEZZNS1_14partition_implILS5_1ELb0ES3_jN6thrust23THRUST_200600_302600_NS6detail15normal_iteratorINSA_10device_ptrIxEEEEPS6_NSA_18transform_iteratorI7is_evenIxESF_NSA_11use_defaultESK_EENS0_5tupleIJSF_NSA_16discard_iteratorISK_EEEEENSM_IJSG_SG_EEES6_PlJS6_EEE10hipError_tPvRmT3_T4_T5_T6_T7_T9_mT8_P12ihipStream_tbDpT10_ENKUlT_T0_E_clISt17integral_constantIbLb0EES1A_IbLb1EEEEDaS16_S17_EUlS16_E_NS1_11comp_targetILNS1_3genE4ELNS1_11target_archE910ELNS1_3gpuE8ELNS1_3repE0EEENS1_30default_config_static_selectorELNS0_4arch9wavefront6targetE1EEEvT1_, .Lfunc_end3221-_ZN7rocprim17ROCPRIM_400000_NS6detail17trampoline_kernelINS0_14default_configENS1_25partition_config_selectorILNS1_17partition_subalgoE1ExNS0_10empty_typeEbEEZZNS1_14partition_implILS5_1ELb0ES3_jN6thrust23THRUST_200600_302600_NS6detail15normal_iteratorINSA_10device_ptrIxEEEEPS6_NSA_18transform_iteratorI7is_evenIxESF_NSA_11use_defaultESK_EENS0_5tupleIJSF_NSA_16discard_iteratorISK_EEEEENSM_IJSG_SG_EEES6_PlJS6_EEE10hipError_tPvRmT3_T4_T5_T6_T7_T9_mT8_P12ihipStream_tbDpT10_ENKUlT_T0_E_clISt17integral_constantIbLb0EES1A_IbLb1EEEEDaS16_S17_EUlS16_E_NS1_11comp_targetILNS1_3genE4ELNS1_11target_archE910ELNS1_3gpuE8ELNS1_3repE0EEENS1_30default_config_static_selectorELNS0_4arch9wavefront6targetE1EEEvT1_
                                        ; -- End function
	.section	.AMDGPU.csdata,"",@progbits
; Kernel info:
; codeLenInByte = 0
; NumSgprs: 6
; NumVgprs: 0
; NumAgprs: 0
; TotalNumVgprs: 0
; ScratchSize: 0
; MemoryBound: 0
; FloatMode: 240
; IeeeMode: 1
; LDSByteSize: 0 bytes/workgroup (compile time only)
; SGPRBlocks: 0
; VGPRBlocks: 0
; NumSGPRsForWavesPerEU: 6
; NumVGPRsForWavesPerEU: 1
; AccumOffset: 4
; Occupancy: 8
; WaveLimiterHint : 0
; COMPUTE_PGM_RSRC2:SCRATCH_EN: 0
; COMPUTE_PGM_RSRC2:USER_SGPR: 2
; COMPUTE_PGM_RSRC2:TRAP_HANDLER: 0
; COMPUTE_PGM_RSRC2:TGID_X_EN: 1
; COMPUTE_PGM_RSRC2:TGID_Y_EN: 0
; COMPUTE_PGM_RSRC2:TGID_Z_EN: 0
; COMPUTE_PGM_RSRC2:TIDIG_COMP_CNT: 0
; COMPUTE_PGM_RSRC3_GFX90A:ACCUM_OFFSET: 0
; COMPUTE_PGM_RSRC3_GFX90A:TG_SPLIT: 0
	.section	.text._ZN7rocprim17ROCPRIM_400000_NS6detail17trampoline_kernelINS0_14default_configENS1_25partition_config_selectorILNS1_17partition_subalgoE1ExNS0_10empty_typeEbEEZZNS1_14partition_implILS5_1ELb0ES3_jN6thrust23THRUST_200600_302600_NS6detail15normal_iteratorINSA_10device_ptrIxEEEEPS6_NSA_18transform_iteratorI7is_evenIxESF_NSA_11use_defaultESK_EENS0_5tupleIJSF_NSA_16discard_iteratorISK_EEEEENSM_IJSG_SG_EEES6_PlJS6_EEE10hipError_tPvRmT3_T4_T5_T6_T7_T9_mT8_P12ihipStream_tbDpT10_ENKUlT_T0_E_clISt17integral_constantIbLb0EES1A_IbLb1EEEEDaS16_S17_EUlS16_E_NS1_11comp_targetILNS1_3genE3ELNS1_11target_archE908ELNS1_3gpuE7ELNS1_3repE0EEENS1_30default_config_static_selectorELNS0_4arch9wavefront6targetE1EEEvT1_,"axG",@progbits,_ZN7rocprim17ROCPRIM_400000_NS6detail17trampoline_kernelINS0_14default_configENS1_25partition_config_selectorILNS1_17partition_subalgoE1ExNS0_10empty_typeEbEEZZNS1_14partition_implILS5_1ELb0ES3_jN6thrust23THRUST_200600_302600_NS6detail15normal_iteratorINSA_10device_ptrIxEEEEPS6_NSA_18transform_iteratorI7is_evenIxESF_NSA_11use_defaultESK_EENS0_5tupleIJSF_NSA_16discard_iteratorISK_EEEEENSM_IJSG_SG_EEES6_PlJS6_EEE10hipError_tPvRmT3_T4_T5_T6_T7_T9_mT8_P12ihipStream_tbDpT10_ENKUlT_T0_E_clISt17integral_constantIbLb0EES1A_IbLb1EEEEDaS16_S17_EUlS16_E_NS1_11comp_targetILNS1_3genE3ELNS1_11target_archE908ELNS1_3gpuE7ELNS1_3repE0EEENS1_30default_config_static_selectorELNS0_4arch9wavefront6targetE1EEEvT1_,comdat
	.protected	_ZN7rocprim17ROCPRIM_400000_NS6detail17trampoline_kernelINS0_14default_configENS1_25partition_config_selectorILNS1_17partition_subalgoE1ExNS0_10empty_typeEbEEZZNS1_14partition_implILS5_1ELb0ES3_jN6thrust23THRUST_200600_302600_NS6detail15normal_iteratorINSA_10device_ptrIxEEEEPS6_NSA_18transform_iteratorI7is_evenIxESF_NSA_11use_defaultESK_EENS0_5tupleIJSF_NSA_16discard_iteratorISK_EEEEENSM_IJSG_SG_EEES6_PlJS6_EEE10hipError_tPvRmT3_T4_T5_T6_T7_T9_mT8_P12ihipStream_tbDpT10_ENKUlT_T0_E_clISt17integral_constantIbLb0EES1A_IbLb1EEEEDaS16_S17_EUlS16_E_NS1_11comp_targetILNS1_3genE3ELNS1_11target_archE908ELNS1_3gpuE7ELNS1_3repE0EEENS1_30default_config_static_selectorELNS0_4arch9wavefront6targetE1EEEvT1_ ; -- Begin function _ZN7rocprim17ROCPRIM_400000_NS6detail17trampoline_kernelINS0_14default_configENS1_25partition_config_selectorILNS1_17partition_subalgoE1ExNS0_10empty_typeEbEEZZNS1_14partition_implILS5_1ELb0ES3_jN6thrust23THRUST_200600_302600_NS6detail15normal_iteratorINSA_10device_ptrIxEEEEPS6_NSA_18transform_iteratorI7is_evenIxESF_NSA_11use_defaultESK_EENS0_5tupleIJSF_NSA_16discard_iteratorISK_EEEEENSM_IJSG_SG_EEES6_PlJS6_EEE10hipError_tPvRmT3_T4_T5_T6_T7_T9_mT8_P12ihipStream_tbDpT10_ENKUlT_T0_E_clISt17integral_constantIbLb0EES1A_IbLb1EEEEDaS16_S17_EUlS16_E_NS1_11comp_targetILNS1_3genE3ELNS1_11target_archE908ELNS1_3gpuE7ELNS1_3repE0EEENS1_30default_config_static_selectorELNS0_4arch9wavefront6targetE1EEEvT1_
	.globl	_ZN7rocprim17ROCPRIM_400000_NS6detail17trampoline_kernelINS0_14default_configENS1_25partition_config_selectorILNS1_17partition_subalgoE1ExNS0_10empty_typeEbEEZZNS1_14partition_implILS5_1ELb0ES3_jN6thrust23THRUST_200600_302600_NS6detail15normal_iteratorINSA_10device_ptrIxEEEEPS6_NSA_18transform_iteratorI7is_evenIxESF_NSA_11use_defaultESK_EENS0_5tupleIJSF_NSA_16discard_iteratorISK_EEEEENSM_IJSG_SG_EEES6_PlJS6_EEE10hipError_tPvRmT3_T4_T5_T6_T7_T9_mT8_P12ihipStream_tbDpT10_ENKUlT_T0_E_clISt17integral_constantIbLb0EES1A_IbLb1EEEEDaS16_S17_EUlS16_E_NS1_11comp_targetILNS1_3genE3ELNS1_11target_archE908ELNS1_3gpuE7ELNS1_3repE0EEENS1_30default_config_static_selectorELNS0_4arch9wavefront6targetE1EEEvT1_
	.p2align	8
	.type	_ZN7rocprim17ROCPRIM_400000_NS6detail17trampoline_kernelINS0_14default_configENS1_25partition_config_selectorILNS1_17partition_subalgoE1ExNS0_10empty_typeEbEEZZNS1_14partition_implILS5_1ELb0ES3_jN6thrust23THRUST_200600_302600_NS6detail15normal_iteratorINSA_10device_ptrIxEEEEPS6_NSA_18transform_iteratorI7is_evenIxESF_NSA_11use_defaultESK_EENS0_5tupleIJSF_NSA_16discard_iteratorISK_EEEEENSM_IJSG_SG_EEES6_PlJS6_EEE10hipError_tPvRmT3_T4_T5_T6_T7_T9_mT8_P12ihipStream_tbDpT10_ENKUlT_T0_E_clISt17integral_constantIbLb0EES1A_IbLb1EEEEDaS16_S17_EUlS16_E_NS1_11comp_targetILNS1_3genE3ELNS1_11target_archE908ELNS1_3gpuE7ELNS1_3repE0EEENS1_30default_config_static_selectorELNS0_4arch9wavefront6targetE1EEEvT1_,@function
_ZN7rocprim17ROCPRIM_400000_NS6detail17trampoline_kernelINS0_14default_configENS1_25partition_config_selectorILNS1_17partition_subalgoE1ExNS0_10empty_typeEbEEZZNS1_14partition_implILS5_1ELb0ES3_jN6thrust23THRUST_200600_302600_NS6detail15normal_iteratorINSA_10device_ptrIxEEEEPS6_NSA_18transform_iteratorI7is_evenIxESF_NSA_11use_defaultESK_EENS0_5tupleIJSF_NSA_16discard_iteratorISK_EEEEENSM_IJSG_SG_EEES6_PlJS6_EEE10hipError_tPvRmT3_T4_T5_T6_T7_T9_mT8_P12ihipStream_tbDpT10_ENKUlT_T0_E_clISt17integral_constantIbLb0EES1A_IbLb1EEEEDaS16_S17_EUlS16_E_NS1_11comp_targetILNS1_3genE3ELNS1_11target_archE908ELNS1_3gpuE7ELNS1_3repE0EEENS1_30default_config_static_selectorELNS0_4arch9wavefront6targetE1EEEvT1_: ; @_ZN7rocprim17ROCPRIM_400000_NS6detail17trampoline_kernelINS0_14default_configENS1_25partition_config_selectorILNS1_17partition_subalgoE1ExNS0_10empty_typeEbEEZZNS1_14partition_implILS5_1ELb0ES3_jN6thrust23THRUST_200600_302600_NS6detail15normal_iteratorINSA_10device_ptrIxEEEEPS6_NSA_18transform_iteratorI7is_evenIxESF_NSA_11use_defaultESK_EENS0_5tupleIJSF_NSA_16discard_iteratorISK_EEEEENSM_IJSG_SG_EEES6_PlJS6_EEE10hipError_tPvRmT3_T4_T5_T6_T7_T9_mT8_P12ihipStream_tbDpT10_ENKUlT_T0_E_clISt17integral_constantIbLb0EES1A_IbLb1EEEEDaS16_S17_EUlS16_E_NS1_11comp_targetILNS1_3genE3ELNS1_11target_archE908ELNS1_3gpuE7ELNS1_3repE0EEENS1_30default_config_static_selectorELNS0_4arch9wavefront6targetE1EEEvT1_
; %bb.0:
	.section	.rodata,"a",@progbits
	.p2align	6, 0x0
	.amdhsa_kernel _ZN7rocprim17ROCPRIM_400000_NS6detail17trampoline_kernelINS0_14default_configENS1_25partition_config_selectorILNS1_17partition_subalgoE1ExNS0_10empty_typeEbEEZZNS1_14partition_implILS5_1ELb0ES3_jN6thrust23THRUST_200600_302600_NS6detail15normal_iteratorINSA_10device_ptrIxEEEEPS6_NSA_18transform_iteratorI7is_evenIxESF_NSA_11use_defaultESK_EENS0_5tupleIJSF_NSA_16discard_iteratorISK_EEEEENSM_IJSG_SG_EEES6_PlJS6_EEE10hipError_tPvRmT3_T4_T5_T6_T7_T9_mT8_P12ihipStream_tbDpT10_ENKUlT_T0_E_clISt17integral_constantIbLb0EES1A_IbLb1EEEEDaS16_S17_EUlS16_E_NS1_11comp_targetILNS1_3genE3ELNS1_11target_archE908ELNS1_3gpuE7ELNS1_3repE0EEENS1_30default_config_static_selectorELNS0_4arch9wavefront6targetE1EEEvT1_
		.amdhsa_group_segment_fixed_size 0
		.amdhsa_private_segment_fixed_size 0
		.amdhsa_kernarg_size 152
		.amdhsa_user_sgpr_count 2
		.amdhsa_user_sgpr_dispatch_ptr 0
		.amdhsa_user_sgpr_queue_ptr 0
		.amdhsa_user_sgpr_kernarg_segment_ptr 1
		.amdhsa_user_sgpr_dispatch_id 0
		.amdhsa_user_sgpr_kernarg_preload_length 0
		.amdhsa_user_sgpr_kernarg_preload_offset 0
		.amdhsa_user_sgpr_private_segment_size 0
		.amdhsa_uses_dynamic_stack 0
		.amdhsa_enable_private_segment 0
		.amdhsa_system_sgpr_workgroup_id_x 1
		.amdhsa_system_sgpr_workgroup_id_y 0
		.amdhsa_system_sgpr_workgroup_id_z 0
		.amdhsa_system_sgpr_workgroup_info 0
		.amdhsa_system_vgpr_workitem_id 0
		.amdhsa_next_free_vgpr 1
		.amdhsa_next_free_sgpr 0
		.amdhsa_accum_offset 4
		.amdhsa_reserve_vcc 0
		.amdhsa_float_round_mode_32 0
		.amdhsa_float_round_mode_16_64 0
		.amdhsa_float_denorm_mode_32 3
		.amdhsa_float_denorm_mode_16_64 3
		.amdhsa_dx10_clamp 1
		.amdhsa_ieee_mode 1
		.amdhsa_fp16_overflow 0
		.amdhsa_tg_split 0
		.amdhsa_exception_fp_ieee_invalid_op 0
		.amdhsa_exception_fp_denorm_src 0
		.amdhsa_exception_fp_ieee_div_zero 0
		.amdhsa_exception_fp_ieee_overflow 0
		.amdhsa_exception_fp_ieee_underflow 0
		.amdhsa_exception_fp_ieee_inexact 0
		.amdhsa_exception_int_div_zero 0
	.end_amdhsa_kernel
	.section	.text._ZN7rocprim17ROCPRIM_400000_NS6detail17trampoline_kernelINS0_14default_configENS1_25partition_config_selectorILNS1_17partition_subalgoE1ExNS0_10empty_typeEbEEZZNS1_14partition_implILS5_1ELb0ES3_jN6thrust23THRUST_200600_302600_NS6detail15normal_iteratorINSA_10device_ptrIxEEEEPS6_NSA_18transform_iteratorI7is_evenIxESF_NSA_11use_defaultESK_EENS0_5tupleIJSF_NSA_16discard_iteratorISK_EEEEENSM_IJSG_SG_EEES6_PlJS6_EEE10hipError_tPvRmT3_T4_T5_T6_T7_T9_mT8_P12ihipStream_tbDpT10_ENKUlT_T0_E_clISt17integral_constantIbLb0EES1A_IbLb1EEEEDaS16_S17_EUlS16_E_NS1_11comp_targetILNS1_3genE3ELNS1_11target_archE908ELNS1_3gpuE7ELNS1_3repE0EEENS1_30default_config_static_selectorELNS0_4arch9wavefront6targetE1EEEvT1_,"axG",@progbits,_ZN7rocprim17ROCPRIM_400000_NS6detail17trampoline_kernelINS0_14default_configENS1_25partition_config_selectorILNS1_17partition_subalgoE1ExNS0_10empty_typeEbEEZZNS1_14partition_implILS5_1ELb0ES3_jN6thrust23THRUST_200600_302600_NS6detail15normal_iteratorINSA_10device_ptrIxEEEEPS6_NSA_18transform_iteratorI7is_evenIxESF_NSA_11use_defaultESK_EENS0_5tupleIJSF_NSA_16discard_iteratorISK_EEEEENSM_IJSG_SG_EEES6_PlJS6_EEE10hipError_tPvRmT3_T4_T5_T6_T7_T9_mT8_P12ihipStream_tbDpT10_ENKUlT_T0_E_clISt17integral_constantIbLb0EES1A_IbLb1EEEEDaS16_S17_EUlS16_E_NS1_11comp_targetILNS1_3genE3ELNS1_11target_archE908ELNS1_3gpuE7ELNS1_3repE0EEENS1_30default_config_static_selectorELNS0_4arch9wavefront6targetE1EEEvT1_,comdat
.Lfunc_end3222:
	.size	_ZN7rocprim17ROCPRIM_400000_NS6detail17trampoline_kernelINS0_14default_configENS1_25partition_config_selectorILNS1_17partition_subalgoE1ExNS0_10empty_typeEbEEZZNS1_14partition_implILS5_1ELb0ES3_jN6thrust23THRUST_200600_302600_NS6detail15normal_iteratorINSA_10device_ptrIxEEEEPS6_NSA_18transform_iteratorI7is_evenIxESF_NSA_11use_defaultESK_EENS0_5tupleIJSF_NSA_16discard_iteratorISK_EEEEENSM_IJSG_SG_EEES6_PlJS6_EEE10hipError_tPvRmT3_T4_T5_T6_T7_T9_mT8_P12ihipStream_tbDpT10_ENKUlT_T0_E_clISt17integral_constantIbLb0EES1A_IbLb1EEEEDaS16_S17_EUlS16_E_NS1_11comp_targetILNS1_3genE3ELNS1_11target_archE908ELNS1_3gpuE7ELNS1_3repE0EEENS1_30default_config_static_selectorELNS0_4arch9wavefront6targetE1EEEvT1_, .Lfunc_end3222-_ZN7rocprim17ROCPRIM_400000_NS6detail17trampoline_kernelINS0_14default_configENS1_25partition_config_selectorILNS1_17partition_subalgoE1ExNS0_10empty_typeEbEEZZNS1_14partition_implILS5_1ELb0ES3_jN6thrust23THRUST_200600_302600_NS6detail15normal_iteratorINSA_10device_ptrIxEEEEPS6_NSA_18transform_iteratorI7is_evenIxESF_NSA_11use_defaultESK_EENS0_5tupleIJSF_NSA_16discard_iteratorISK_EEEEENSM_IJSG_SG_EEES6_PlJS6_EEE10hipError_tPvRmT3_T4_T5_T6_T7_T9_mT8_P12ihipStream_tbDpT10_ENKUlT_T0_E_clISt17integral_constantIbLb0EES1A_IbLb1EEEEDaS16_S17_EUlS16_E_NS1_11comp_targetILNS1_3genE3ELNS1_11target_archE908ELNS1_3gpuE7ELNS1_3repE0EEENS1_30default_config_static_selectorELNS0_4arch9wavefront6targetE1EEEvT1_
                                        ; -- End function
	.section	.AMDGPU.csdata,"",@progbits
; Kernel info:
; codeLenInByte = 0
; NumSgprs: 6
; NumVgprs: 0
; NumAgprs: 0
; TotalNumVgprs: 0
; ScratchSize: 0
; MemoryBound: 0
; FloatMode: 240
; IeeeMode: 1
; LDSByteSize: 0 bytes/workgroup (compile time only)
; SGPRBlocks: 0
; VGPRBlocks: 0
; NumSGPRsForWavesPerEU: 6
; NumVGPRsForWavesPerEU: 1
; AccumOffset: 4
; Occupancy: 8
; WaveLimiterHint : 0
; COMPUTE_PGM_RSRC2:SCRATCH_EN: 0
; COMPUTE_PGM_RSRC2:USER_SGPR: 2
; COMPUTE_PGM_RSRC2:TRAP_HANDLER: 0
; COMPUTE_PGM_RSRC2:TGID_X_EN: 1
; COMPUTE_PGM_RSRC2:TGID_Y_EN: 0
; COMPUTE_PGM_RSRC2:TGID_Z_EN: 0
; COMPUTE_PGM_RSRC2:TIDIG_COMP_CNT: 0
; COMPUTE_PGM_RSRC3_GFX90A:ACCUM_OFFSET: 0
; COMPUTE_PGM_RSRC3_GFX90A:TG_SPLIT: 0
	.section	.text._ZN7rocprim17ROCPRIM_400000_NS6detail17trampoline_kernelINS0_14default_configENS1_25partition_config_selectorILNS1_17partition_subalgoE1ExNS0_10empty_typeEbEEZZNS1_14partition_implILS5_1ELb0ES3_jN6thrust23THRUST_200600_302600_NS6detail15normal_iteratorINSA_10device_ptrIxEEEEPS6_NSA_18transform_iteratorI7is_evenIxESF_NSA_11use_defaultESK_EENS0_5tupleIJSF_NSA_16discard_iteratorISK_EEEEENSM_IJSG_SG_EEES6_PlJS6_EEE10hipError_tPvRmT3_T4_T5_T6_T7_T9_mT8_P12ihipStream_tbDpT10_ENKUlT_T0_E_clISt17integral_constantIbLb0EES1A_IbLb1EEEEDaS16_S17_EUlS16_E_NS1_11comp_targetILNS1_3genE2ELNS1_11target_archE906ELNS1_3gpuE6ELNS1_3repE0EEENS1_30default_config_static_selectorELNS0_4arch9wavefront6targetE1EEEvT1_,"axG",@progbits,_ZN7rocprim17ROCPRIM_400000_NS6detail17trampoline_kernelINS0_14default_configENS1_25partition_config_selectorILNS1_17partition_subalgoE1ExNS0_10empty_typeEbEEZZNS1_14partition_implILS5_1ELb0ES3_jN6thrust23THRUST_200600_302600_NS6detail15normal_iteratorINSA_10device_ptrIxEEEEPS6_NSA_18transform_iteratorI7is_evenIxESF_NSA_11use_defaultESK_EENS0_5tupleIJSF_NSA_16discard_iteratorISK_EEEEENSM_IJSG_SG_EEES6_PlJS6_EEE10hipError_tPvRmT3_T4_T5_T6_T7_T9_mT8_P12ihipStream_tbDpT10_ENKUlT_T0_E_clISt17integral_constantIbLb0EES1A_IbLb1EEEEDaS16_S17_EUlS16_E_NS1_11comp_targetILNS1_3genE2ELNS1_11target_archE906ELNS1_3gpuE6ELNS1_3repE0EEENS1_30default_config_static_selectorELNS0_4arch9wavefront6targetE1EEEvT1_,comdat
	.protected	_ZN7rocprim17ROCPRIM_400000_NS6detail17trampoline_kernelINS0_14default_configENS1_25partition_config_selectorILNS1_17partition_subalgoE1ExNS0_10empty_typeEbEEZZNS1_14partition_implILS5_1ELb0ES3_jN6thrust23THRUST_200600_302600_NS6detail15normal_iteratorINSA_10device_ptrIxEEEEPS6_NSA_18transform_iteratorI7is_evenIxESF_NSA_11use_defaultESK_EENS0_5tupleIJSF_NSA_16discard_iteratorISK_EEEEENSM_IJSG_SG_EEES6_PlJS6_EEE10hipError_tPvRmT3_T4_T5_T6_T7_T9_mT8_P12ihipStream_tbDpT10_ENKUlT_T0_E_clISt17integral_constantIbLb0EES1A_IbLb1EEEEDaS16_S17_EUlS16_E_NS1_11comp_targetILNS1_3genE2ELNS1_11target_archE906ELNS1_3gpuE6ELNS1_3repE0EEENS1_30default_config_static_selectorELNS0_4arch9wavefront6targetE1EEEvT1_ ; -- Begin function _ZN7rocprim17ROCPRIM_400000_NS6detail17trampoline_kernelINS0_14default_configENS1_25partition_config_selectorILNS1_17partition_subalgoE1ExNS0_10empty_typeEbEEZZNS1_14partition_implILS5_1ELb0ES3_jN6thrust23THRUST_200600_302600_NS6detail15normal_iteratorINSA_10device_ptrIxEEEEPS6_NSA_18transform_iteratorI7is_evenIxESF_NSA_11use_defaultESK_EENS0_5tupleIJSF_NSA_16discard_iteratorISK_EEEEENSM_IJSG_SG_EEES6_PlJS6_EEE10hipError_tPvRmT3_T4_T5_T6_T7_T9_mT8_P12ihipStream_tbDpT10_ENKUlT_T0_E_clISt17integral_constantIbLb0EES1A_IbLb1EEEEDaS16_S17_EUlS16_E_NS1_11comp_targetILNS1_3genE2ELNS1_11target_archE906ELNS1_3gpuE6ELNS1_3repE0EEENS1_30default_config_static_selectorELNS0_4arch9wavefront6targetE1EEEvT1_
	.globl	_ZN7rocprim17ROCPRIM_400000_NS6detail17trampoline_kernelINS0_14default_configENS1_25partition_config_selectorILNS1_17partition_subalgoE1ExNS0_10empty_typeEbEEZZNS1_14partition_implILS5_1ELb0ES3_jN6thrust23THRUST_200600_302600_NS6detail15normal_iteratorINSA_10device_ptrIxEEEEPS6_NSA_18transform_iteratorI7is_evenIxESF_NSA_11use_defaultESK_EENS0_5tupleIJSF_NSA_16discard_iteratorISK_EEEEENSM_IJSG_SG_EEES6_PlJS6_EEE10hipError_tPvRmT3_T4_T5_T6_T7_T9_mT8_P12ihipStream_tbDpT10_ENKUlT_T0_E_clISt17integral_constantIbLb0EES1A_IbLb1EEEEDaS16_S17_EUlS16_E_NS1_11comp_targetILNS1_3genE2ELNS1_11target_archE906ELNS1_3gpuE6ELNS1_3repE0EEENS1_30default_config_static_selectorELNS0_4arch9wavefront6targetE1EEEvT1_
	.p2align	8
	.type	_ZN7rocprim17ROCPRIM_400000_NS6detail17trampoline_kernelINS0_14default_configENS1_25partition_config_selectorILNS1_17partition_subalgoE1ExNS0_10empty_typeEbEEZZNS1_14partition_implILS5_1ELb0ES3_jN6thrust23THRUST_200600_302600_NS6detail15normal_iteratorINSA_10device_ptrIxEEEEPS6_NSA_18transform_iteratorI7is_evenIxESF_NSA_11use_defaultESK_EENS0_5tupleIJSF_NSA_16discard_iteratorISK_EEEEENSM_IJSG_SG_EEES6_PlJS6_EEE10hipError_tPvRmT3_T4_T5_T6_T7_T9_mT8_P12ihipStream_tbDpT10_ENKUlT_T0_E_clISt17integral_constantIbLb0EES1A_IbLb1EEEEDaS16_S17_EUlS16_E_NS1_11comp_targetILNS1_3genE2ELNS1_11target_archE906ELNS1_3gpuE6ELNS1_3repE0EEENS1_30default_config_static_selectorELNS0_4arch9wavefront6targetE1EEEvT1_,@function
_ZN7rocprim17ROCPRIM_400000_NS6detail17trampoline_kernelINS0_14default_configENS1_25partition_config_selectorILNS1_17partition_subalgoE1ExNS0_10empty_typeEbEEZZNS1_14partition_implILS5_1ELb0ES3_jN6thrust23THRUST_200600_302600_NS6detail15normal_iteratorINSA_10device_ptrIxEEEEPS6_NSA_18transform_iteratorI7is_evenIxESF_NSA_11use_defaultESK_EENS0_5tupleIJSF_NSA_16discard_iteratorISK_EEEEENSM_IJSG_SG_EEES6_PlJS6_EEE10hipError_tPvRmT3_T4_T5_T6_T7_T9_mT8_P12ihipStream_tbDpT10_ENKUlT_T0_E_clISt17integral_constantIbLb0EES1A_IbLb1EEEEDaS16_S17_EUlS16_E_NS1_11comp_targetILNS1_3genE2ELNS1_11target_archE906ELNS1_3gpuE6ELNS1_3repE0EEENS1_30default_config_static_selectorELNS0_4arch9wavefront6targetE1EEEvT1_: ; @_ZN7rocprim17ROCPRIM_400000_NS6detail17trampoline_kernelINS0_14default_configENS1_25partition_config_selectorILNS1_17partition_subalgoE1ExNS0_10empty_typeEbEEZZNS1_14partition_implILS5_1ELb0ES3_jN6thrust23THRUST_200600_302600_NS6detail15normal_iteratorINSA_10device_ptrIxEEEEPS6_NSA_18transform_iteratorI7is_evenIxESF_NSA_11use_defaultESK_EENS0_5tupleIJSF_NSA_16discard_iteratorISK_EEEEENSM_IJSG_SG_EEES6_PlJS6_EEE10hipError_tPvRmT3_T4_T5_T6_T7_T9_mT8_P12ihipStream_tbDpT10_ENKUlT_T0_E_clISt17integral_constantIbLb0EES1A_IbLb1EEEEDaS16_S17_EUlS16_E_NS1_11comp_targetILNS1_3genE2ELNS1_11target_archE906ELNS1_3gpuE6ELNS1_3repE0EEENS1_30default_config_static_selectorELNS0_4arch9wavefront6targetE1EEEvT1_
; %bb.0:
	.section	.rodata,"a",@progbits
	.p2align	6, 0x0
	.amdhsa_kernel _ZN7rocprim17ROCPRIM_400000_NS6detail17trampoline_kernelINS0_14default_configENS1_25partition_config_selectorILNS1_17partition_subalgoE1ExNS0_10empty_typeEbEEZZNS1_14partition_implILS5_1ELb0ES3_jN6thrust23THRUST_200600_302600_NS6detail15normal_iteratorINSA_10device_ptrIxEEEEPS6_NSA_18transform_iteratorI7is_evenIxESF_NSA_11use_defaultESK_EENS0_5tupleIJSF_NSA_16discard_iteratorISK_EEEEENSM_IJSG_SG_EEES6_PlJS6_EEE10hipError_tPvRmT3_T4_T5_T6_T7_T9_mT8_P12ihipStream_tbDpT10_ENKUlT_T0_E_clISt17integral_constantIbLb0EES1A_IbLb1EEEEDaS16_S17_EUlS16_E_NS1_11comp_targetILNS1_3genE2ELNS1_11target_archE906ELNS1_3gpuE6ELNS1_3repE0EEENS1_30default_config_static_selectorELNS0_4arch9wavefront6targetE1EEEvT1_
		.amdhsa_group_segment_fixed_size 0
		.amdhsa_private_segment_fixed_size 0
		.amdhsa_kernarg_size 152
		.amdhsa_user_sgpr_count 2
		.amdhsa_user_sgpr_dispatch_ptr 0
		.amdhsa_user_sgpr_queue_ptr 0
		.amdhsa_user_sgpr_kernarg_segment_ptr 1
		.amdhsa_user_sgpr_dispatch_id 0
		.amdhsa_user_sgpr_kernarg_preload_length 0
		.amdhsa_user_sgpr_kernarg_preload_offset 0
		.amdhsa_user_sgpr_private_segment_size 0
		.amdhsa_uses_dynamic_stack 0
		.amdhsa_enable_private_segment 0
		.amdhsa_system_sgpr_workgroup_id_x 1
		.amdhsa_system_sgpr_workgroup_id_y 0
		.amdhsa_system_sgpr_workgroup_id_z 0
		.amdhsa_system_sgpr_workgroup_info 0
		.amdhsa_system_vgpr_workitem_id 0
		.amdhsa_next_free_vgpr 1
		.amdhsa_next_free_sgpr 0
		.amdhsa_accum_offset 4
		.amdhsa_reserve_vcc 0
		.amdhsa_float_round_mode_32 0
		.amdhsa_float_round_mode_16_64 0
		.amdhsa_float_denorm_mode_32 3
		.amdhsa_float_denorm_mode_16_64 3
		.amdhsa_dx10_clamp 1
		.amdhsa_ieee_mode 1
		.amdhsa_fp16_overflow 0
		.amdhsa_tg_split 0
		.amdhsa_exception_fp_ieee_invalid_op 0
		.amdhsa_exception_fp_denorm_src 0
		.amdhsa_exception_fp_ieee_div_zero 0
		.amdhsa_exception_fp_ieee_overflow 0
		.amdhsa_exception_fp_ieee_underflow 0
		.amdhsa_exception_fp_ieee_inexact 0
		.amdhsa_exception_int_div_zero 0
	.end_amdhsa_kernel
	.section	.text._ZN7rocprim17ROCPRIM_400000_NS6detail17trampoline_kernelINS0_14default_configENS1_25partition_config_selectorILNS1_17partition_subalgoE1ExNS0_10empty_typeEbEEZZNS1_14partition_implILS5_1ELb0ES3_jN6thrust23THRUST_200600_302600_NS6detail15normal_iteratorINSA_10device_ptrIxEEEEPS6_NSA_18transform_iteratorI7is_evenIxESF_NSA_11use_defaultESK_EENS0_5tupleIJSF_NSA_16discard_iteratorISK_EEEEENSM_IJSG_SG_EEES6_PlJS6_EEE10hipError_tPvRmT3_T4_T5_T6_T7_T9_mT8_P12ihipStream_tbDpT10_ENKUlT_T0_E_clISt17integral_constantIbLb0EES1A_IbLb1EEEEDaS16_S17_EUlS16_E_NS1_11comp_targetILNS1_3genE2ELNS1_11target_archE906ELNS1_3gpuE6ELNS1_3repE0EEENS1_30default_config_static_selectorELNS0_4arch9wavefront6targetE1EEEvT1_,"axG",@progbits,_ZN7rocprim17ROCPRIM_400000_NS6detail17trampoline_kernelINS0_14default_configENS1_25partition_config_selectorILNS1_17partition_subalgoE1ExNS0_10empty_typeEbEEZZNS1_14partition_implILS5_1ELb0ES3_jN6thrust23THRUST_200600_302600_NS6detail15normal_iteratorINSA_10device_ptrIxEEEEPS6_NSA_18transform_iteratorI7is_evenIxESF_NSA_11use_defaultESK_EENS0_5tupleIJSF_NSA_16discard_iteratorISK_EEEEENSM_IJSG_SG_EEES6_PlJS6_EEE10hipError_tPvRmT3_T4_T5_T6_T7_T9_mT8_P12ihipStream_tbDpT10_ENKUlT_T0_E_clISt17integral_constantIbLb0EES1A_IbLb1EEEEDaS16_S17_EUlS16_E_NS1_11comp_targetILNS1_3genE2ELNS1_11target_archE906ELNS1_3gpuE6ELNS1_3repE0EEENS1_30default_config_static_selectorELNS0_4arch9wavefront6targetE1EEEvT1_,comdat
.Lfunc_end3223:
	.size	_ZN7rocprim17ROCPRIM_400000_NS6detail17trampoline_kernelINS0_14default_configENS1_25partition_config_selectorILNS1_17partition_subalgoE1ExNS0_10empty_typeEbEEZZNS1_14partition_implILS5_1ELb0ES3_jN6thrust23THRUST_200600_302600_NS6detail15normal_iteratorINSA_10device_ptrIxEEEEPS6_NSA_18transform_iteratorI7is_evenIxESF_NSA_11use_defaultESK_EENS0_5tupleIJSF_NSA_16discard_iteratorISK_EEEEENSM_IJSG_SG_EEES6_PlJS6_EEE10hipError_tPvRmT3_T4_T5_T6_T7_T9_mT8_P12ihipStream_tbDpT10_ENKUlT_T0_E_clISt17integral_constantIbLb0EES1A_IbLb1EEEEDaS16_S17_EUlS16_E_NS1_11comp_targetILNS1_3genE2ELNS1_11target_archE906ELNS1_3gpuE6ELNS1_3repE0EEENS1_30default_config_static_selectorELNS0_4arch9wavefront6targetE1EEEvT1_, .Lfunc_end3223-_ZN7rocprim17ROCPRIM_400000_NS6detail17trampoline_kernelINS0_14default_configENS1_25partition_config_selectorILNS1_17partition_subalgoE1ExNS0_10empty_typeEbEEZZNS1_14partition_implILS5_1ELb0ES3_jN6thrust23THRUST_200600_302600_NS6detail15normal_iteratorINSA_10device_ptrIxEEEEPS6_NSA_18transform_iteratorI7is_evenIxESF_NSA_11use_defaultESK_EENS0_5tupleIJSF_NSA_16discard_iteratorISK_EEEEENSM_IJSG_SG_EEES6_PlJS6_EEE10hipError_tPvRmT3_T4_T5_T6_T7_T9_mT8_P12ihipStream_tbDpT10_ENKUlT_T0_E_clISt17integral_constantIbLb0EES1A_IbLb1EEEEDaS16_S17_EUlS16_E_NS1_11comp_targetILNS1_3genE2ELNS1_11target_archE906ELNS1_3gpuE6ELNS1_3repE0EEENS1_30default_config_static_selectorELNS0_4arch9wavefront6targetE1EEEvT1_
                                        ; -- End function
	.section	.AMDGPU.csdata,"",@progbits
; Kernel info:
; codeLenInByte = 0
; NumSgprs: 6
; NumVgprs: 0
; NumAgprs: 0
; TotalNumVgprs: 0
; ScratchSize: 0
; MemoryBound: 0
; FloatMode: 240
; IeeeMode: 1
; LDSByteSize: 0 bytes/workgroup (compile time only)
; SGPRBlocks: 0
; VGPRBlocks: 0
; NumSGPRsForWavesPerEU: 6
; NumVGPRsForWavesPerEU: 1
; AccumOffset: 4
; Occupancy: 8
; WaveLimiterHint : 0
; COMPUTE_PGM_RSRC2:SCRATCH_EN: 0
; COMPUTE_PGM_RSRC2:USER_SGPR: 2
; COMPUTE_PGM_RSRC2:TRAP_HANDLER: 0
; COMPUTE_PGM_RSRC2:TGID_X_EN: 1
; COMPUTE_PGM_RSRC2:TGID_Y_EN: 0
; COMPUTE_PGM_RSRC2:TGID_Z_EN: 0
; COMPUTE_PGM_RSRC2:TIDIG_COMP_CNT: 0
; COMPUTE_PGM_RSRC3_GFX90A:ACCUM_OFFSET: 0
; COMPUTE_PGM_RSRC3_GFX90A:TG_SPLIT: 0
	.section	.text._ZN7rocprim17ROCPRIM_400000_NS6detail17trampoline_kernelINS0_14default_configENS1_25partition_config_selectorILNS1_17partition_subalgoE1ExNS0_10empty_typeEbEEZZNS1_14partition_implILS5_1ELb0ES3_jN6thrust23THRUST_200600_302600_NS6detail15normal_iteratorINSA_10device_ptrIxEEEEPS6_NSA_18transform_iteratorI7is_evenIxESF_NSA_11use_defaultESK_EENS0_5tupleIJSF_NSA_16discard_iteratorISK_EEEEENSM_IJSG_SG_EEES6_PlJS6_EEE10hipError_tPvRmT3_T4_T5_T6_T7_T9_mT8_P12ihipStream_tbDpT10_ENKUlT_T0_E_clISt17integral_constantIbLb0EES1A_IbLb1EEEEDaS16_S17_EUlS16_E_NS1_11comp_targetILNS1_3genE10ELNS1_11target_archE1200ELNS1_3gpuE4ELNS1_3repE0EEENS1_30default_config_static_selectorELNS0_4arch9wavefront6targetE1EEEvT1_,"axG",@progbits,_ZN7rocprim17ROCPRIM_400000_NS6detail17trampoline_kernelINS0_14default_configENS1_25partition_config_selectorILNS1_17partition_subalgoE1ExNS0_10empty_typeEbEEZZNS1_14partition_implILS5_1ELb0ES3_jN6thrust23THRUST_200600_302600_NS6detail15normal_iteratorINSA_10device_ptrIxEEEEPS6_NSA_18transform_iteratorI7is_evenIxESF_NSA_11use_defaultESK_EENS0_5tupleIJSF_NSA_16discard_iteratorISK_EEEEENSM_IJSG_SG_EEES6_PlJS6_EEE10hipError_tPvRmT3_T4_T5_T6_T7_T9_mT8_P12ihipStream_tbDpT10_ENKUlT_T0_E_clISt17integral_constantIbLb0EES1A_IbLb1EEEEDaS16_S17_EUlS16_E_NS1_11comp_targetILNS1_3genE10ELNS1_11target_archE1200ELNS1_3gpuE4ELNS1_3repE0EEENS1_30default_config_static_selectorELNS0_4arch9wavefront6targetE1EEEvT1_,comdat
	.protected	_ZN7rocprim17ROCPRIM_400000_NS6detail17trampoline_kernelINS0_14default_configENS1_25partition_config_selectorILNS1_17partition_subalgoE1ExNS0_10empty_typeEbEEZZNS1_14partition_implILS5_1ELb0ES3_jN6thrust23THRUST_200600_302600_NS6detail15normal_iteratorINSA_10device_ptrIxEEEEPS6_NSA_18transform_iteratorI7is_evenIxESF_NSA_11use_defaultESK_EENS0_5tupleIJSF_NSA_16discard_iteratorISK_EEEEENSM_IJSG_SG_EEES6_PlJS6_EEE10hipError_tPvRmT3_T4_T5_T6_T7_T9_mT8_P12ihipStream_tbDpT10_ENKUlT_T0_E_clISt17integral_constantIbLb0EES1A_IbLb1EEEEDaS16_S17_EUlS16_E_NS1_11comp_targetILNS1_3genE10ELNS1_11target_archE1200ELNS1_3gpuE4ELNS1_3repE0EEENS1_30default_config_static_selectorELNS0_4arch9wavefront6targetE1EEEvT1_ ; -- Begin function _ZN7rocprim17ROCPRIM_400000_NS6detail17trampoline_kernelINS0_14default_configENS1_25partition_config_selectorILNS1_17partition_subalgoE1ExNS0_10empty_typeEbEEZZNS1_14partition_implILS5_1ELb0ES3_jN6thrust23THRUST_200600_302600_NS6detail15normal_iteratorINSA_10device_ptrIxEEEEPS6_NSA_18transform_iteratorI7is_evenIxESF_NSA_11use_defaultESK_EENS0_5tupleIJSF_NSA_16discard_iteratorISK_EEEEENSM_IJSG_SG_EEES6_PlJS6_EEE10hipError_tPvRmT3_T4_T5_T6_T7_T9_mT8_P12ihipStream_tbDpT10_ENKUlT_T0_E_clISt17integral_constantIbLb0EES1A_IbLb1EEEEDaS16_S17_EUlS16_E_NS1_11comp_targetILNS1_3genE10ELNS1_11target_archE1200ELNS1_3gpuE4ELNS1_3repE0EEENS1_30default_config_static_selectorELNS0_4arch9wavefront6targetE1EEEvT1_
	.globl	_ZN7rocprim17ROCPRIM_400000_NS6detail17trampoline_kernelINS0_14default_configENS1_25partition_config_selectorILNS1_17partition_subalgoE1ExNS0_10empty_typeEbEEZZNS1_14partition_implILS5_1ELb0ES3_jN6thrust23THRUST_200600_302600_NS6detail15normal_iteratorINSA_10device_ptrIxEEEEPS6_NSA_18transform_iteratorI7is_evenIxESF_NSA_11use_defaultESK_EENS0_5tupleIJSF_NSA_16discard_iteratorISK_EEEEENSM_IJSG_SG_EEES6_PlJS6_EEE10hipError_tPvRmT3_T4_T5_T6_T7_T9_mT8_P12ihipStream_tbDpT10_ENKUlT_T0_E_clISt17integral_constantIbLb0EES1A_IbLb1EEEEDaS16_S17_EUlS16_E_NS1_11comp_targetILNS1_3genE10ELNS1_11target_archE1200ELNS1_3gpuE4ELNS1_3repE0EEENS1_30default_config_static_selectorELNS0_4arch9wavefront6targetE1EEEvT1_
	.p2align	8
	.type	_ZN7rocprim17ROCPRIM_400000_NS6detail17trampoline_kernelINS0_14default_configENS1_25partition_config_selectorILNS1_17partition_subalgoE1ExNS0_10empty_typeEbEEZZNS1_14partition_implILS5_1ELb0ES3_jN6thrust23THRUST_200600_302600_NS6detail15normal_iteratorINSA_10device_ptrIxEEEEPS6_NSA_18transform_iteratorI7is_evenIxESF_NSA_11use_defaultESK_EENS0_5tupleIJSF_NSA_16discard_iteratorISK_EEEEENSM_IJSG_SG_EEES6_PlJS6_EEE10hipError_tPvRmT3_T4_T5_T6_T7_T9_mT8_P12ihipStream_tbDpT10_ENKUlT_T0_E_clISt17integral_constantIbLb0EES1A_IbLb1EEEEDaS16_S17_EUlS16_E_NS1_11comp_targetILNS1_3genE10ELNS1_11target_archE1200ELNS1_3gpuE4ELNS1_3repE0EEENS1_30default_config_static_selectorELNS0_4arch9wavefront6targetE1EEEvT1_,@function
_ZN7rocprim17ROCPRIM_400000_NS6detail17trampoline_kernelINS0_14default_configENS1_25partition_config_selectorILNS1_17partition_subalgoE1ExNS0_10empty_typeEbEEZZNS1_14partition_implILS5_1ELb0ES3_jN6thrust23THRUST_200600_302600_NS6detail15normal_iteratorINSA_10device_ptrIxEEEEPS6_NSA_18transform_iteratorI7is_evenIxESF_NSA_11use_defaultESK_EENS0_5tupleIJSF_NSA_16discard_iteratorISK_EEEEENSM_IJSG_SG_EEES6_PlJS6_EEE10hipError_tPvRmT3_T4_T5_T6_T7_T9_mT8_P12ihipStream_tbDpT10_ENKUlT_T0_E_clISt17integral_constantIbLb0EES1A_IbLb1EEEEDaS16_S17_EUlS16_E_NS1_11comp_targetILNS1_3genE10ELNS1_11target_archE1200ELNS1_3gpuE4ELNS1_3repE0EEENS1_30default_config_static_selectorELNS0_4arch9wavefront6targetE1EEEvT1_: ; @_ZN7rocprim17ROCPRIM_400000_NS6detail17trampoline_kernelINS0_14default_configENS1_25partition_config_selectorILNS1_17partition_subalgoE1ExNS0_10empty_typeEbEEZZNS1_14partition_implILS5_1ELb0ES3_jN6thrust23THRUST_200600_302600_NS6detail15normal_iteratorINSA_10device_ptrIxEEEEPS6_NSA_18transform_iteratorI7is_evenIxESF_NSA_11use_defaultESK_EENS0_5tupleIJSF_NSA_16discard_iteratorISK_EEEEENSM_IJSG_SG_EEES6_PlJS6_EEE10hipError_tPvRmT3_T4_T5_T6_T7_T9_mT8_P12ihipStream_tbDpT10_ENKUlT_T0_E_clISt17integral_constantIbLb0EES1A_IbLb1EEEEDaS16_S17_EUlS16_E_NS1_11comp_targetILNS1_3genE10ELNS1_11target_archE1200ELNS1_3gpuE4ELNS1_3repE0EEENS1_30default_config_static_selectorELNS0_4arch9wavefront6targetE1EEEvT1_
; %bb.0:
	.section	.rodata,"a",@progbits
	.p2align	6, 0x0
	.amdhsa_kernel _ZN7rocprim17ROCPRIM_400000_NS6detail17trampoline_kernelINS0_14default_configENS1_25partition_config_selectorILNS1_17partition_subalgoE1ExNS0_10empty_typeEbEEZZNS1_14partition_implILS5_1ELb0ES3_jN6thrust23THRUST_200600_302600_NS6detail15normal_iteratorINSA_10device_ptrIxEEEEPS6_NSA_18transform_iteratorI7is_evenIxESF_NSA_11use_defaultESK_EENS0_5tupleIJSF_NSA_16discard_iteratorISK_EEEEENSM_IJSG_SG_EEES6_PlJS6_EEE10hipError_tPvRmT3_T4_T5_T6_T7_T9_mT8_P12ihipStream_tbDpT10_ENKUlT_T0_E_clISt17integral_constantIbLb0EES1A_IbLb1EEEEDaS16_S17_EUlS16_E_NS1_11comp_targetILNS1_3genE10ELNS1_11target_archE1200ELNS1_3gpuE4ELNS1_3repE0EEENS1_30default_config_static_selectorELNS0_4arch9wavefront6targetE1EEEvT1_
		.amdhsa_group_segment_fixed_size 0
		.amdhsa_private_segment_fixed_size 0
		.amdhsa_kernarg_size 152
		.amdhsa_user_sgpr_count 2
		.amdhsa_user_sgpr_dispatch_ptr 0
		.amdhsa_user_sgpr_queue_ptr 0
		.amdhsa_user_sgpr_kernarg_segment_ptr 1
		.amdhsa_user_sgpr_dispatch_id 0
		.amdhsa_user_sgpr_kernarg_preload_length 0
		.amdhsa_user_sgpr_kernarg_preload_offset 0
		.amdhsa_user_sgpr_private_segment_size 0
		.amdhsa_uses_dynamic_stack 0
		.amdhsa_enable_private_segment 0
		.amdhsa_system_sgpr_workgroup_id_x 1
		.amdhsa_system_sgpr_workgroup_id_y 0
		.amdhsa_system_sgpr_workgroup_id_z 0
		.amdhsa_system_sgpr_workgroup_info 0
		.amdhsa_system_vgpr_workitem_id 0
		.amdhsa_next_free_vgpr 1
		.amdhsa_next_free_sgpr 0
		.amdhsa_accum_offset 4
		.amdhsa_reserve_vcc 0
		.amdhsa_float_round_mode_32 0
		.amdhsa_float_round_mode_16_64 0
		.amdhsa_float_denorm_mode_32 3
		.amdhsa_float_denorm_mode_16_64 3
		.amdhsa_dx10_clamp 1
		.amdhsa_ieee_mode 1
		.amdhsa_fp16_overflow 0
		.amdhsa_tg_split 0
		.amdhsa_exception_fp_ieee_invalid_op 0
		.amdhsa_exception_fp_denorm_src 0
		.amdhsa_exception_fp_ieee_div_zero 0
		.amdhsa_exception_fp_ieee_overflow 0
		.amdhsa_exception_fp_ieee_underflow 0
		.amdhsa_exception_fp_ieee_inexact 0
		.amdhsa_exception_int_div_zero 0
	.end_amdhsa_kernel
	.section	.text._ZN7rocprim17ROCPRIM_400000_NS6detail17trampoline_kernelINS0_14default_configENS1_25partition_config_selectorILNS1_17partition_subalgoE1ExNS0_10empty_typeEbEEZZNS1_14partition_implILS5_1ELb0ES3_jN6thrust23THRUST_200600_302600_NS6detail15normal_iteratorINSA_10device_ptrIxEEEEPS6_NSA_18transform_iteratorI7is_evenIxESF_NSA_11use_defaultESK_EENS0_5tupleIJSF_NSA_16discard_iteratorISK_EEEEENSM_IJSG_SG_EEES6_PlJS6_EEE10hipError_tPvRmT3_T4_T5_T6_T7_T9_mT8_P12ihipStream_tbDpT10_ENKUlT_T0_E_clISt17integral_constantIbLb0EES1A_IbLb1EEEEDaS16_S17_EUlS16_E_NS1_11comp_targetILNS1_3genE10ELNS1_11target_archE1200ELNS1_3gpuE4ELNS1_3repE0EEENS1_30default_config_static_selectorELNS0_4arch9wavefront6targetE1EEEvT1_,"axG",@progbits,_ZN7rocprim17ROCPRIM_400000_NS6detail17trampoline_kernelINS0_14default_configENS1_25partition_config_selectorILNS1_17partition_subalgoE1ExNS0_10empty_typeEbEEZZNS1_14partition_implILS5_1ELb0ES3_jN6thrust23THRUST_200600_302600_NS6detail15normal_iteratorINSA_10device_ptrIxEEEEPS6_NSA_18transform_iteratorI7is_evenIxESF_NSA_11use_defaultESK_EENS0_5tupleIJSF_NSA_16discard_iteratorISK_EEEEENSM_IJSG_SG_EEES6_PlJS6_EEE10hipError_tPvRmT3_T4_T5_T6_T7_T9_mT8_P12ihipStream_tbDpT10_ENKUlT_T0_E_clISt17integral_constantIbLb0EES1A_IbLb1EEEEDaS16_S17_EUlS16_E_NS1_11comp_targetILNS1_3genE10ELNS1_11target_archE1200ELNS1_3gpuE4ELNS1_3repE0EEENS1_30default_config_static_selectorELNS0_4arch9wavefront6targetE1EEEvT1_,comdat
.Lfunc_end3224:
	.size	_ZN7rocprim17ROCPRIM_400000_NS6detail17trampoline_kernelINS0_14default_configENS1_25partition_config_selectorILNS1_17partition_subalgoE1ExNS0_10empty_typeEbEEZZNS1_14partition_implILS5_1ELb0ES3_jN6thrust23THRUST_200600_302600_NS6detail15normal_iteratorINSA_10device_ptrIxEEEEPS6_NSA_18transform_iteratorI7is_evenIxESF_NSA_11use_defaultESK_EENS0_5tupleIJSF_NSA_16discard_iteratorISK_EEEEENSM_IJSG_SG_EEES6_PlJS6_EEE10hipError_tPvRmT3_T4_T5_T6_T7_T9_mT8_P12ihipStream_tbDpT10_ENKUlT_T0_E_clISt17integral_constantIbLb0EES1A_IbLb1EEEEDaS16_S17_EUlS16_E_NS1_11comp_targetILNS1_3genE10ELNS1_11target_archE1200ELNS1_3gpuE4ELNS1_3repE0EEENS1_30default_config_static_selectorELNS0_4arch9wavefront6targetE1EEEvT1_, .Lfunc_end3224-_ZN7rocprim17ROCPRIM_400000_NS6detail17trampoline_kernelINS0_14default_configENS1_25partition_config_selectorILNS1_17partition_subalgoE1ExNS0_10empty_typeEbEEZZNS1_14partition_implILS5_1ELb0ES3_jN6thrust23THRUST_200600_302600_NS6detail15normal_iteratorINSA_10device_ptrIxEEEEPS6_NSA_18transform_iteratorI7is_evenIxESF_NSA_11use_defaultESK_EENS0_5tupleIJSF_NSA_16discard_iteratorISK_EEEEENSM_IJSG_SG_EEES6_PlJS6_EEE10hipError_tPvRmT3_T4_T5_T6_T7_T9_mT8_P12ihipStream_tbDpT10_ENKUlT_T0_E_clISt17integral_constantIbLb0EES1A_IbLb1EEEEDaS16_S17_EUlS16_E_NS1_11comp_targetILNS1_3genE10ELNS1_11target_archE1200ELNS1_3gpuE4ELNS1_3repE0EEENS1_30default_config_static_selectorELNS0_4arch9wavefront6targetE1EEEvT1_
                                        ; -- End function
	.section	.AMDGPU.csdata,"",@progbits
; Kernel info:
; codeLenInByte = 0
; NumSgprs: 6
; NumVgprs: 0
; NumAgprs: 0
; TotalNumVgprs: 0
; ScratchSize: 0
; MemoryBound: 0
; FloatMode: 240
; IeeeMode: 1
; LDSByteSize: 0 bytes/workgroup (compile time only)
; SGPRBlocks: 0
; VGPRBlocks: 0
; NumSGPRsForWavesPerEU: 6
; NumVGPRsForWavesPerEU: 1
; AccumOffset: 4
; Occupancy: 8
; WaveLimiterHint : 0
; COMPUTE_PGM_RSRC2:SCRATCH_EN: 0
; COMPUTE_PGM_RSRC2:USER_SGPR: 2
; COMPUTE_PGM_RSRC2:TRAP_HANDLER: 0
; COMPUTE_PGM_RSRC2:TGID_X_EN: 1
; COMPUTE_PGM_RSRC2:TGID_Y_EN: 0
; COMPUTE_PGM_RSRC2:TGID_Z_EN: 0
; COMPUTE_PGM_RSRC2:TIDIG_COMP_CNT: 0
; COMPUTE_PGM_RSRC3_GFX90A:ACCUM_OFFSET: 0
; COMPUTE_PGM_RSRC3_GFX90A:TG_SPLIT: 0
	.section	.text._ZN7rocprim17ROCPRIM_400000_NS6detail17trampoline_kernelINS0_14default_configENS1_25partition_config_selectorILNS1_17partition_subalgoE1ExNS0_10empty_typeEbEEZZNS1_14partition_implILS5_1ELb0ES3_jN6thrust23THRUST_200600_302600_NS6detail15normal_iteratorINSA_10device_ptrIxEEEEPS6_NSA_18transform_iteratorI7is_evenIxESF_NSA_11use_defaultESK_EENS0_5tupleIJSF_NSA_16discard_iteratorISK_EEEEENSM_IJSG_SG_EEES6_PlJS6_EEE10hipError_tPvRmT3_T4_T5_T6_T7_T9_mT8_P12ihipStream_tbDpT10_ENKUlT_T0_E_clISt17integral_constantIbLb0EES1A_IbLb1EEEEDaS16_S17_EUlS16_E_NS1_11comp_targetILNS1_3genE9ELNS1_11target_archE1100ELNS1_3gpuE3ELNS1_3repE0EEENS1_30default_config_static_selectorELNS0_4arch9wavefront6targetE1EEEvT1_,"axG",@progbits,_ZN7rocprim17ROCPRIM_400000_NS6detail17trampoline_kernelINS0_14default_configENS1_25partition_config_selectorILNS1_17partition_subalgoE1ExNS0_10empty_typeEbEEZZNS1_14partition_implILS5_1ELb0ES3_jN6thrust23THRUST_200600_302600_NS6detail15normal_iteratorINSA_10device_ptrIxEEEEPS6_NSA_18transform_iteratorI7is_evenIxESF_NSA_11use_defaultESK_EENS0_5tupleIJSF_NSA_16discard_iteratorISK_EEEEENSM_IJSG_SG_EEES6_PlJS6_EEE10hipError_tPvRmT3_T4_T5_T6_T7_T9_mT8_P12ihipStream_tbDpT10_ENKUlT_T0_E_clISt17integral_constantIbLb0EES1A_IbLb1EEEEDaS16_S17_EUlS16_E_NS1_11comp_targetILNS1_3genE9ELNS1_11target_archE1100ELNS1_3gpuE3ELNS1_3repE0EEENS1_30default_config_static_selectorELNS0_4arch9wavefront6targetE1EEEvT1_,comdat
	.protected	_ZN7rocprim17ROCPRIM_400000_NS6detail17trampoline_kernelINS0_14default_configENS1_25partition_config_selectorILNS1_17partition_subalgoE1ExNS0_10empty_typeEbEEZZNS1_14partition_implILS5_1ELb0ES3_jN6thrust23THRUST_200600_302600_NS6detail15normal_iteratorINSA_10device_ptrIxEEEEPS6_NSA_18transform_iteratorI7is_evenIxESF_NSA_11use_defaultESK_EENS0_5tupleIJSF_NSA_16discard_iteratorISK_EEEEENSM_IJSG_SG_EEES6_PlJS6_EEE10hipError_tPvRmT3_T4_T5_T6_T7_T9_mT8_P12ihipStream_tbDpT10_ENKUlT_T0_E_clISt17integral_constantIbLb0EES1A_IbLb1EEEEDaS16_S17_EUlS16_E_NS1_11comp_targetILNS1_3genE9ELNS1_11target_archE1100ELNS1_3gpuE3ELNS1_3repE0EEENS1_30default_config_static_selectorELNS0_4arch9wavefront6targetE1EEEvT1_ ; -- Begin function _ZN7rocprim17ROCPRIM_400000_NS6detail17trampoline_kernelINS0_14default_configENS1_25partition_config_selectorILNS1_17partition_subalgoE1ExNS0_10empty_typeEbEEZZNS1_14partition_implILS5_1ELb0ES3_jN6thrust23THRUST_200600_302600_NS6detail15normal_iteratorINSA_10device_ptrIxEEEEPS6_NSA_18transform_iteratorI7is_evenIxESF_NSA_11use_defaultESK_EENS0_5tupleIJSF_NSA_16discard_iteratorISK_EEEEENSM_IJSG_SG_EEES6_PlJS6_EEE10hipError_tPvRmT3_T4_T5_T6_T7_T9_mT8_P12ihipStream_tbDpT10_ENKUlT_T0_E_clISt17integral_constantIbLb0EES1A_IbLb1EEEEDaS16_S17_EUlS16_E_NS1_11comp_targetILNS1_3genE9ELNS1_11target_archE1100ELNS1_3gpuE3ELNS1_3repE0EEENS1_30default_config_static_selectorELNS0_4arch9wavefront6targetE1EEEvT1_
	.globl	_ZN7rocprim17ROCPRIM_400000_NS6detail17trampoline_kernelINS0_14default_configENS1_25partition_config_selectorILNS1_17partition_subalgoE1ExNS0_10empty_typeEbEEZZNS1_14partition_implILS5_1ELb0ES3_jN6thrust23THRUST_200600_302600_NS6detail15normal_iteratorINSA_10device_ptrIxEEEEPS6_NSA_18transform_iteratorI7is_evenIxESF_NSA_11use_defaultESK_EENS0_5tupleIJSF_NSA_16discard_iteratorISK_EEEEENSM_IJSG_SG_EEES6_PlJS6_EEE10hipError_tPvRmT3_T4_T5_T6_T7_T9_mT8_P12ihipStream_tbDpT10_ENKUlT_T0_E_clISt17integral_constantIbLb0EES1A_IbLb1EEEEDaS16_S17_EUlS16_E_NS1_11comp_targetILNS1_3genE9ELNS1_11target_archE1100ELNS1_3gpuE3ELNS1_3repE0EEENS1_30default_config_static_selectorELNS0_4arch9wavefront6targetE1EEEvT1_
	.p2align	8
	.type	_ZN7rocprim17ROCPRIM_400000_NS6detail17trampoline_kernelINS0_14default_configENS1_25partition_config_selectorILNS1_17partition_subalgoE1ExNS0_10empty_typeEbEEZZNS1_14partition_implILS5_1ELb0ES3_jN6thrust23THRUST_200600_302600_NS6detail15normal_iteratorINSA_10device_ptrIxEEEEPS6_NSA_18transform_iteratorI7is_evenIxESF_NSA_11use_defaultESK_EENS0_5tupleIJSF_NSA_16discard_iteratorISK_EEEEENSM_IJSG_SG_EEES6_PlJS6_EEE10hipError_tPvRmT3_T4_T5_T6_T7_T9_mT8_P12ihipStream_tbDpT10_ENKUlT_T0_E_clISt17integral_constantIbLb0EES1A_IbLb1EEEEDaS16_S17_EUlS16_E_NS1_11comp_targetILNS1_3genE9ELNS1_11target_archE1100ELNS1_3gpuE3ELNS1_3repE0EEENS1_30default_config_static_selectorELNS0_4arch9wavefront6targetE1EEEvT1_,@function
_ZN7rocprim17ROCPRIM_400000_NS6detail17trampoline_kernelINS0_14default_configENS1_25partition_config_selectorILNS1_17partition_subalgoE1ExNS0_10empty_typeEbEEZZNS1_14partition_implILS5_1ELb0ES3_jN6thrust23THRUST_200600_302600_NS6detail15normal_iteratorINSA_10device_ptrIxEEEEPS6_NSA_18transform_iteratorI7is_evenIxESF_NSA_11use_defaultESK_EENS0_5tupleIJSF_NSA_16discard_iteratorISK_EEEEENSM_IJSG_SG_EEES6_PlJS6_EEE10hipError_tPvRmT3_T4_T5_T6_T7_T9_mT8_P12ihipStream_tbDpT10_ENKUlT_T0_E_clISt17integral_constantIbLb0EES1A_IbLb1EEEEDaS16_S17_EUlS16_E_NS1_11comp_targetILNS1_3genE9ELNS1_11target_archE1100ELNS1_3gpuE3ELNS1_3repE0EEENS1_30default_config_static_selectorELNS0_4arch9wavefront6targetE1EEEvT1_: ; @_ZN7rocprim17ROCPRIM_400000_NS6detail17trampoline_kernelINS0_14default_configENS1_25partition_config_selectorILNS1_17partition_subalgoE1ExNS0_10empty_typeEbEEZZNS1_14partition_implILS5_1ELb0ES3_jN6thrust23THRUST_200600_302600_NS6detail15normal_iteratorINSA_10device_ptrIxEEEEPS6_NSA_18transform_iteratorI7is_evenIxESF_NSA_11use_defaultESK_EENS0_5tupleIJSF_NSA_16discard_iteratorISK_EEEEENSM_IJSG_SG_EEES6_PlJS6_EEE10hipError_tPvRmT3_T4_T5_T6_T7_T9_mT8_P12ihipStream_tbDpT10_ENKUlT_T0_E_clISt17integral_constantIbLb0EES1A_IbLb1EEEEDaS16_S17_EUlS16_E_NS1_11comp_targetILNS1_3genE9ELNS1_11target_archE1100ELNS1_3gpuE3ELNS1_3repE0EEENS1_30default_config_static_selectorELNS0_4arch9wavefront6targetE1EEEvT1_
; %bb.0:
	.section	.rodata,"a",@progbits
	.p2align	6, 0x0
	.amdhsa_kernel _ZN7rocprim17ROCPRIM_400000_NS6detail17trampoline_kernelINS0_14default_configENS1_25partition_config_selectorILNS1_17partition_subalgoE1ExNS0_10empty_typeEbEEZZNS1_14partition_implILS5_1ELb0ES3_jN6thrust23THRUST_200600_302600_NS6detail15normal_iteratorINSA_10device_ptrIxEEEEPS6_NSA_18transform_iteratorI7is_evenIxESF_NSA_11use_defaultESK_EENS0_5tupleIJSF_NSA_16discard_iteratorISK_EEEEENSM_IJSG_SG_EEES6_PlJS6_EEE10hipError_tPvRmT3_T4_T5_T6_T7_T9_mT8_P12ihipStream_tbDpT10_ENKUlT_T0_E_clISt17integral_constantIbLb0EES1A_IbLb1EEEEDaS16_S17_EUlS16_E_NS1_11comp_targetILNS1_3genE9ELNS1_11target_archE1100ELNS1_3gpuE3ELNS1_3repE0EEENS1_30default_config_static_selectorELNS0_4arch9wavefront6targetE1EEEvT1_
		.amdhsa_group_segment_fixed_size 0
		.amdhsa_private_segment_fixed_size 0
		.amdhsa_kernarg_size 152
		.amdhsa_user_sgpr_count 2
		.amdhsa_user_sgpr_dispatch_ptr 0
		.amdhsa_user_sgpr_queue_ptr 0
		.amdhsa_user_sgpr_kernarg_segment_ptr 1
		.amdhsa_user_sgpr_dispatch_id 0
		.amdhsa_user_sgpr_kernarg_preload_length 0
		.amdhsa_user_sgpr_kernarg_preload_offset 0
		.amdhsa_user_sgpr_private_segment_size 0
		.amdhsa_uses_dynamic_stack 0
		.amdhsa_enable_private_segment 0
		.amdhsa_system_sgpr_workgroup_id_x 1
		.amdhsa_system_sgpr_workgroup_id_y 0
		.amdhsa_system_sgpr_workgroup_id_z 0
		.amdhsa_system_sgpr_workgroup_info 0
		.amdhsa_system_vgpr_workitem_id 0
		.amdhsa_next_free_vgpr 1
		.amdhsa_next_free_sgpr 0
		.amdhsa_accum_offset 4
		.amdhsa_reserve_vcc 0
		.amdhsa_float_round_mode_32 0
		.amdhsa_float_round_mode_16_64 0
		.amdhsa_float_denorm_mode_32 3
		.amdhsa_float_denorm_mode_16_64 3
		.amdhsa_dx10_clamp 1
		.amdhsa_ieee_mode 1
		.amdhsa_fp16_overflow 0
		.amdhsa_tg_split 0
		.amdhsa_exception_fp_ieee_invalid_op 0
		.amdhsa_exception_fp_denorm_src 0
		.amdhsa_exception_fp_ieee_div_zero 0
		.amdhsa_exception_fp_ieee_overflow 0
		.amdhsa_exception_fp_ieee_underflow 0
		.amdhsa_exception_fp_ieee_inexact 0
		.amdhsa_exception_int_div_zero 0
	.end_amdhsa_kernel
	.section	.text._ZN7rocprim17ROCPRIM_400000_NS6detail17trampoline_kernelINS0_14default_configENS1_25partition_config_selectorILNS1_17partition_subalgoE1ExNS0_10empty_typeEbEEZZNS1_14partition_implILS5_1ELb0ES3_jN6thrust23THRUST_200600_302600_NS6detail15normal_iteratorINSA_10device_ptrIxEEEEPS6_NSA_18transform_iteratorI7is_evenIxESF_NSA_11use_defaultESK_EENS0_5tupleIJSF_NSA_16discard_iteratorISK_EEEEENSM_IJSG_SG_EEES6_PlJS6_EEE10hipError_tPvRmT3_T4_T5_T6_T7_T9_mT8_P12ihipStream_tbDpT10_ENKUlT_T0_E_clISt17integral_constantIbLb0EES1A_IbLb1EEEEDaS16_S17_EUlS16_E_NS1_11comp_targetILNS1_3genE9ELNS1_11target_archE1100ELNS1_3gpuE3ELNS1_3repE0EEENS1_30default_config_static_selectorELNS0_4arch9wavefront6targetE1EEEvT1_,"axG",@progbits,_ZN7rocprim17ROCPRIM_400000_NS6detail17trampoline_kernelINS0_14default_configENS1_25partition_config_selectorILNS1_17partition_subalgoE1ExNS0_10empty_typeEbEEZZNS1_14partition_implILS5_1ELb0ES3_jN6thrust23THRUST_200600_302600_NS6detail15normal_iteratorINSA_10device_ptrIxEEEEPS6_NSA_18transform_iteratorI7is_evenIxESF_NSA_11use_defaultESK_EENS0_5tupleIJSF_NSA_16discard_iteratorISK_EEEEENSM_IJSG_SG_EEES6_PlJS6_EEE10hipError_tPvRmT3_T4_T5_T6_T7_T9_mT8_P12ihipStream_tbDpT10_ENKUlT_T0_E_clISt17integral_constantIbLb0EES1A_IbLb1EEEEDaS16_S17_EUlS16_E_NS1_11comp_targetILNS1_3genE9ELNS1_11target_archE1100ELNS1_3gpuE3ELNS1_3repE0EEENS1_30default_config_static_selectorELNS0_4arch9wavefront6targetE1EEEvT1_,comdat
.Lfunc_end3225:
	.size	_ZN7rocprim17ROCPRIM_400000_NS6detail17trampoline_kernelINS0_14default_configENS1_25partition_config_selectorILNS1_17partition_subalgoE1ExNS0_10empty_typeEbEEZZNS1_14partition_implILS5_1ELb0ES3_jN6thrust23THRUST_200600_302600_NS6detail15normal_iteratorINSA_10device_ptrIxEEEEPS6_NSA_18transform_iteratorI7is_evenIxESF_NSA_11use_defaultESK_EENS0_5tupleIJSF_NSA_16discard_iteratorISK_EEEEENSM_IJSG_SG_EEES6_PlJS6_EEE10hipError_tPvRmT3_T4_T5_T6_T7_T9_mT8_P12ihipStream_tbDpT10_ENKUlT_T0_E_clISt17integral_constantIbLb0EES1A_IbLb1EEEEDaS16_S17_EUlS16_E_NS1_11comp_targetILNS1_3genE9ELNS1_11target_archE1100ELNS1_3gpuE3ELNS1_3repE0EEENS1_30default_config_static_selectorELNS0_4arch9wavefront6targetE1EEEvT1_, .Lfunc_end3225-_ZN7rocprim17ROCPRIM_400000_NS6detail17trampoline_kernelINS0_14default_configENS1_25partition_config_selectorILNS1_17partition_subalgoE1ExNS0_10empty_typeEbEEZZNS1_14partition_implILS5_1ELb0ES3_jN6thrust23THRUST_200600_302600_NS6detail15normal_iteratorINSA_10device_ptrIxEEEEPS6_NSA_18transform_iteratorI7is_evenIxESF_NSA_11use_defaultESK_EENS0_5tupleIJSF_NSA_16discard_iteratorISK_EEEEENSM_IJSG_SG_EEES6_PlJS6_EEE10hipError_tPvRmT3_T4_T5_T6_T7_T9_mT8_P12ihipStream_tbDpT10_ENKUlT_T0_E_clISt17integral_constantIbLb0EES1A_IbLb1EEEEDaS16_S17_EUlS16_E_NS1_11comp_targetILNS1_3genE9ELNS1_11target_archE1100ELNS1_3gpuE3ELNS1_3repE0EEENS1_30default_config_static_selectorELNS0_4arch9wavefront6targetE1EEEvT1_
                                        ; -- End function
	.section	.AMDGPU.csdata,"",@progbits
; Kernel info:
; codeLenInByte = 0
; NumSgprs: 6
; NumVgprs: 0
; NumAgprs: 0
; TotalNumVgprs: 0
; ScratchSize: 0
; MemoryBound: 0
; FloatMode: 240
; IeeeMode: 1
; LDSByteSize: 0 bytes/workgroup (compile time only)
; SGPRBlocks: 0
; VGPRBlocks: 0
; NumSGPRsForWavesPerEU: 6
; NumVGPRsForWavesPerEU: 1
; AccumOffset: 4
; Occupancy: 8
; WaveLimiterHint : 0
; COMPUTE_PGM_RSRC2:SCRATCH_EN: 0
; COMPUTE_PGM_RSRC2:USER_SGPR: 2
; COMPUTE_PGM_RSRC2:TRAP_HANDLER: 0
; COMPUTE_PGM_RSRC2:TGID_X_EN: 1
; COMPUTE_PGM_RSRC2:TGID_Y_EN: 0
; COMPUTE_PGM_RSRC2:TGID_Z_EN: 0
; COMPUTE_PGM_RSRC2:TIDIG_COMP_CNT: 0
; COMPUTE_PGM_RSRC3_GFX90A:ACCUM_OFFSET: 0
; COMPUTE_PGM_RSRC3_GFX90A:TG_SPLIT: 0
	.section	.text._ZN7rocprim17ROCPRIM_400000_NS6detail17trampoline_kernelINS0_14default_configENS1_25partition_config_selectorILNS1_17partition_subalgoE1ExNS0_10empty_typeEbEEZZNS1_14partition_implILS5_1ELb0ES3_jN6thrust23THRUST_200600_302600_NS6detail15normal_iteratorINSA_10device_ptrIxEEEEPS6_NSA_18transform_iteratorI7is_evenIxESF_NSA_11use_defaultESK_EENS0_5tupleIJSF_NSA_16discard_iteratorISK_EEEEENSM_IJSG_SG_EEES6_PlJS6_EEE10hipError_tPvRmT3_T4_T5_T6_T7_T9_mT8_P12ihipStream_tbDpT10_ENKUlT_T0_E_clISt17integral_constantIbLb0EES1A_IbLb1EEEEDaS16_S17_EUlS16_E_NS1_11comp_targetILNS1_3genE8ELNS1_11target_archE1030ELNS1_3gpuE2ELNS1_3repE0EEENS1_30default_config_static_selectorELNS0_4arch9wavefront6targetE1EEEvT1_,"axG",@progbits,_ZN7rocprim17ROCPRIM_400000_NS6detail17trampoline_kernelINS0_14default_configENS1_25partition_config_selectorILNS1_17partition_subalgoE1ExNS0_10empty_typeEbEEZZNS1_14partition_implILS5_1ELb0ES3_jN6thrust23THRUST_200600_302600_NS6detail15normal_iteratorINSA_10device_ptrIxEEEEPS6_NSA_18transform_iteratorI7is_evenIxESF_NSA_11use_defaultESK_EENS0_5tupleIJSF_NSA_16discard_iteratorISK_EEEEENSM_IJSG_SG_EEES6_PlJS6_EEE10hipError_tPvRmT3_T4_T5_T6_T7_T9_mT8_P12ihipStream_tbDpT10_ENKUlT_T0_E_clISt17integral_constantIbLb0EES1A_IbLb1EEEEDaS16_S17_EUlS16_E_NS1_11comp_targetILNS1_3genE8ELNS1_11target_archE1030ELNS1_3gpuE2ELNS1_3repE0EEENS1_30default_config_static_selectorELNS0_4arch9wavefront6targetE1EEEvT1_,comdat
	.protected	_ZN7rocprim17ROCPRIM_400000_NS6detail17trampoline_kernelINS0_14default_configENS1_25partition_config_selectorILNS1_17partition_subalgoE1ExNS0_10empty_typeEbEEZZNS1_14partition_implILS5_1ELb0ES3_jN6thrust23THRUST_200600_302600_NS6detail15normal_iteratorINSA_10device_ptrIxEEEEPS6_NSA_18transform_iteratorI7is_evenIxESF_NSA_11use_defaultESK_EENS0_5tupleIJSF_NSA_16discard_iteratorISK_EEEEENSM_IJSG_SG_EEES6_PlJS6_EEE10hipError_tPvRmT3_T4_T5_T6_T7_T9_mT8_P12ihipStream_tbDpT10_ENKUlT_T0_E_clISt17integral_constantIbLb0EES1A_IbLb1EEEEDaS16_S17_EUlS16_E_NS1_11comp_targetILNS1_3genE8ELNS1_11target_archE1030ELNS1_3gpuE2ELNS1_3repE0EEENS1_30default_config_static_selectorELNS0_4arch9wavefront6targetE1EEEvT1_ ; -- Begin function _ZN7rocprim17ROCPRIM_400000_NS6detail17trampoline_kernelINS0_14default_configENS1_25partition_config_selectorILNS1_17partition_subalgoE1ExNS0_10empty_typeEbEEZZNS1_14partition_implILS5_1ELb0ES3_jN6thrust23THRUST_200600_302600_NS6detail15normal_iteratorINSA_10device_ptrIxEEEEPS6_NSA_18transform_iteratorI7is_evenIxESF_NSA_11use_defaultESK_EENS0_5tupleIJSF_NSA_16discard_iteratorISK_EEEEENSM_IJSG_SG_EEES6_PlJS6_EEE10hipError_tPvRmT3_T4_T5_T6_T7_T9_mT8_P12ihipStream_tbDpT10_ENKUlT_T0_E_clISt17integral_constantIbLb0EES1A_IbLb1EEEEDaS16_S17_EUlS16_E_NS1_11comp_targetILNS1_3genE8ELNS1_11target_archE1030ELNS1_3gpuE2ELNS1_3repE0EEENS1_30default_config_static_selectorELNS0_4arch9wavefront6targetE1EEEvT1_
	.globl	_ZN7rocprim17ROCPRIM_400000_NS6detail17trampoline_kernelINS0_14default_configENS1_25partition_config_selectorILNS1_17partition_subalgoE1ExNS0_10empty_typeEbEEZZNS1_14partition_implILS5_1ELb0ES3_jN6thrust23THRUST_200600_302600_NS6detail15normal_iteratorINSA_10device_ptrIxEEEEPS6_NSA_18transform_iteratorI7is_evenIxESF_NSA_11use_defaultESK_EENS0_5tupleIJSF_NSA_16discard_iteratorISK_EEEEENSM_IJSG_SG_EEES6_PlJS6_EEE10hipError_tPvRmT3_T4_T5_T6_T7_T9_mT8_P12ihipStream_tbDpT10_ENKUlT_T0_E_clISt17integral_constantIbLb0EES1A_IbLb1EEEEDaS16_S17_EUlS16_E_NS1_11comp_targetILNS1_3genE8ELNS1_11target_archE1030ELNS1_3gpuE2ELNS1_3repE0EEENS1_30default_config_static_selectorELNS0_4arch9wavefront6targetE1EEEvT1_
	.p2align	8
	.type	_ZN7rocprim17ROCPRIM_400000_NS6detail17trampoline_kernelINS0_14default_configENS1_25partition_config_selectorILNS1_17partition_subalgoE1ExNS0_10empty_typeEbEEZZNS1_14partition_implILS5_1ELb0ES3_jN6thrust23THRUST_200600_302600_NS6detail15normal_iteratorINSA_10device_ptrIxEEEEPS6_NSA_18transform_iteratorI7is_evenIxESF_NSA_11use_defaultESK_EENS0_5tupleIJSF_NSA_16discard_iteratorISK_EEEEENSM_IJSG_SG_EEES6_PlJS6_EEE10hipError_tPvRmT3_T4_T5_T6_T7_T9_mT8_P12ihipStream_tbDpT10_ENKUlT_T0_E_clISt17integral_constantIbLb0EES1A_IbLb1EEEEDaS16_S17_EUlS16_E_NS1_11comp_targetILNS1_3genE8ELNS1_11target_archE1030ELNS1_3gpuE2ELNS1_3repE0EEENS1_30default_config_static_selectorELNS0_4arch9wavefront6targetE1EEEvT1_,@function
_ZN7rocprim17ROCPRIM_400000_NS6detail17trampoline_kernelINS0_14default_configENS1_25partition_config_selectorILNS1_17partition_subalgoE1ExNS0_10empty_typeEbEEZZNS1_14partition_implILS5_1ELb0ES3_jN6thrust23THRUST_200600_302600_NS6detail15normal_iteratorINSA_10device_ptrIxEEEEPS6_NSA_18transform_iteratorI7is_evenIxESF_NSA_11use_defaultESK_EENS0_5tupleIJSF_NSA_16discard_iteratorISK_EEEEENSM_IJSG_SG_EEES6_PlJS6_EEE10hipError_tPvRmT3_T4_T5_T6_T7_T9_mT8_P12ihipStream_tbDpT10_ENKUlT_T0_E_clISt17integral_constantIbLb0EES1A_IbLb1EEEEDaS16_S17_EUlS16_E_NS1_11comp_targetILNS1_3genE8ELNS1_11target_archE1030ELNS1_3gpuE2ELNS1_3repE0EEENS1_30default_config_static_selectorELNS0_4arch9wavefront6targetE1EEEvT1_: ; @_ZN7rocprim17ROCPRIM_400000_NS6detail17trampoline_kernelINS0_14default_configENS1_25partition_config_selectorILNS1_17partition_subalgoE1ExNS0_10empty_typeEbEEZZNS1_14partition_implILS5_1ELb0ES3_jN6thrust23THRUST_200600_302600_NS6detail15normal_iteratorINSA_10device_ptrIxEEEEPS6_NSA_18transform_iteratorI7is_evenIxESF_NSA_11use_defaultESK_EENS0_5tupleIJSF_NSA_16discard_iteratorISK_EEEEENSM_IJSG_SG_EEES6_PlJS6_EEE10hipError_tPvRmT3_T4_T5_T6_T7_T9_mT8_P12ihipStream_tbDpT10_ENKUlT_T0_E_clISt17integral_constantIbLb0EES1A_IbLb1EEEEDaS16_S17_EUlS16_E_NS1_11comp_targetILNS1_3genE8ELNS1_11target_archE1030ELNS1_3gpuE2ELNS1_3repE0EEENS1_30default_config_static_selectorELNS0_4arch9wavefront6targetE1EEEvT1_
; %bb.0:
	.section	.rodata,"a",@progbits
	.p2align	6, 0x0
	.amdhsa_kernel _ZN7rocprim17ROCPRIM_400000_NS6detail17trampoline_kernelINS0_14default_configENS1_25partition_config_selectorILNS1_17partition_subalgoE1ExNS0_10empty_typeEbEEZZNS1_14partition_implILS5_1ELb0ES3_jN6thrust23THRUST_200600_302600_NS6detail15normal_iteratorINSA_10device_ptrIxEEEEPS6_NSA_18transform_iteratorI7is_evenIxESF_NSA_11use_defaultESK_EENS0_5tupleIJSF_NSA_16discard_iteratorISK_EEEEENSM_IJSG_SG_EEES6_PlJS6_EEE10hipError_tPvRmT3_T4_T5_T6_T7_T9_mT8_P12ihipStream_tbDpT10_ENKUlT_T0_E_clISt17integral_constantIbLb0EES1A_IbLb1EEEEDaS16_S17_EUlS16_E_NS1_11comp_targetILNS1_3genE8ELNS1_11target_archE1030ELNS1_3gpuE2ELNS1_3repE0EEENS1_30default_config_static_selectorELNS0_4arch9wavefront6targetE1EEEvT1_
		.amdhsa_group_segment_fixed_size 0
		.amdhsa_private_segment_fixed_size 0
		.amdhsa_kernarg_size 152
		.amdhsa_user_sgpr_count 2
		.amdhsa_user_sgpr_dispatch_ptr 0
		.amdhsa_user_sgpr_queue_ptr 0
		.amdhsa_user_sgpr_kernarg_segment_ptr 1
		.amdhsa_user_sgpr_dispatch_id 0
		.amdhsa_user_sgpr_kernarg_preload_length 0
		.amdhsa_user_sgpr_kernarg_preload_offset 0
		.amdhsa_user_sgpr_private_segment_size 0
		.amdhsa_uses_dynamic_stack 0
		.amdhsa_enable_private_segment 0
		.amdhsa_system_sgpr_workgroup_id_x 1
		.amdhsa_system_sgpr_workgroup_id_y 0
		.amdhsa_system_sgpr_workgroup_id_z 0
		.amdhsa_system_sgpr_workgroup_info 0
		.amdhsa_system_vgpr_workitem_id 0
		.amdhsa_next_free_vgpr 1
		.amdhsa_next_free_sgpr 0
		.amdhsa_accum_offset 4
		.amdhsa_reserve_vcc 0
		.amdhsa_float_round_mode_32 0
		.amdhsa_float_round_mode_16_64 0
		.amdhsa_float_denorm_mode_32 3
		.amdhsa_float_denorm_mode_16_64 3
		.amdhsa_dx10_clamp 1
		.amdhsa_ieee_mode 1
		.amdhsa_fp16_overflow 0
		.amdhsa_tg_split 0
		.amdhsa_exception_fp_ieee_invalid_op 0
		.amdhsa_exception_fp_denorm_src 0
		.amdhsa_exception_fp_ieee_div_zero 0
		.amdhsa_exception_fp_ieee_overflow 0
		.amdhsa_exception_fp_ieee_underflow 0
		.amdhsa_exception_fp_ieee_inexact 0
		.amdhsa_exception_int_div_zero 0
	.end_amdhsa_kernel
	.section	.text._ZN7rocprim17ROCPRIM_400000_NS6detail17trampoline_kernelINS0_14default_configENS1_25partition_config_selectorILNS1_17partition_subalgoE1ExNS0_10empty_typeEbEEZZNS1_14partition_implILS5_1ELb0ES3_jN6thrust23THRUST_200600_302600_NS6detail15normal_iteratorINSA_10device_ptrIxEEEEPS6_NSA_18transform_iteratorI7is_evenIxESF_NSA_11use_defaultESK_EENS0_5tupleIJSF_NSA_16discard_iteratorISK_EEEEENSM_IJSG_SG_EEES6_PlJS6_EEE10hipError_tPvRmT3_T4_T5_T6_T7_T9_mT8_P12ihipStream_tbDpT10_ENKUlT_T0_E_clISt17integral_constantIbLb0EES1A_IbLb1EEEEDaS16_S17_EUlS16_E_NS1_11comp_targetILNS1_3genE8ELNS1_11target_archE1030ELNS1_3gpuE2ELNS1_3repE0EEENS1_30default_config_static_selectorELNS0_4arch9wavefront6targetE1EEEvT1_,"axG",@progbits,_ZN7rocprim17ROCPRIM_400000_NS6detail17trampoline_kernelINS0_14default_configENS1_25partition_config_selectorILNS1_17partition_subalgoE1ExNS0_10empty_typeEbEEZZNS1_14partition_implILS5_1ELb0ES3_jN6thrust23THRUST_200600_302600_NS6detail15normal_iteratorINSA_10device_ptrIxEEEEPS6_NSA_18transform_iteratorI7is_evenIxESF_NSA_11use_defaultESK_EENS0_5tupleIJSF_NSA_16discard_iteratorISK_EEEEENSM_IJSG_SG_EEES6_PlJS6_EEE10hipError_tPvRmT3_T4_T5_T6_T7_T9_mT8_P12ihipStream_tbDpT10_ENKUlT_T0_E_clISt17integral_constantIbLb0EES1A_IbLb1EEEEDaS16_S17_EUlS16_E_NS1_11comp_targetILNS1_3genE8ELNS1_11target_archE1030ELNS1_3gpuE2ELNS1_3repE0EEENS1_30default_config_static_selectorELNS0_4arch9wavefront6targetE1EEEvT1_,comdat
.Lfunc_end3226:
	.size	_ZN7rocprim17ROCPRIM_400000_NS6detail17trampoline_kernelINS0_14default_configENS1_25partition_config_selectorILNS1_17partition_subalgoE1ExNS0_10empty_typeEbEEZZNS1_14partition_implILS5_1ELb0ES3_jN6thrust23THRUST_200600_302600_NS6detail15normal_iteratorINSA_10device_ptrIxEEEEPS6_NSA_18transform_iteratorI7is_evenIxESF_NSA_11use_defaultESK_EENS0_5tupleIJSF_NSA_16discard_iteratorISK_EEEEENSM_IJSG_SG_EEES6_PlJS6_EEE10hipError_tPvRmT3_T4_T5_T6_T7_T9_mT8_P12ihipStream_tbDpT10_ENKUlT_T0_E_clISt17integral_constantIbLb0EES1A_IbLb1EEEEDaS16_S17_EUlS16_E_NS1_11comp_targetILNS1_3genE8ELNS1_11target_archE1030ELNS1_3gpuE2ELNS1_3repE0EEENS1_30default_config_static_selectorELNS0_4arch9wavefront6targetE1EEEvT1_, .Lfunc_end3226-_ZN7rocprim17ROCPRIM_400000_NS6detail17trampoline_kernelINS0_14default_configENS1_25partition_config_selectorILNS1_17partition_subalgoE1ExNS0_10empty_typeEbEEZZNS1_14partition_implILS5_1ELb0ES3_jN6thrust23THRUST_200600_302600_NS6detail15normal_iteratorINSA_10device_ptrIxEEEEPS6_NSA_18transform_iteratorI7is_evenIxESF_NSA_11use_defaultESK_EENS0_5tupleIJSF_NSA_16discard_iteratorISK_EEEEENSM_IJSG_SG_EEES6_PlJS6_EEE10hipError_tPvRmT3_T4_T5_T6_T7_T9_mT8_P12ihipStream_tbDpT10_ENKUlT_T0_E_clISt17integral_constantIbLb0EES1A_IbLb1EEEEDaS16_S17_EUlS16_E_NS1_11comp_targetILNS1_3genE8ELNS1_11target_archE1030ELNS1_3gpuE2ELNS1_3repE0EEENS1_30default_config_static_selectorELNS0_4arch9wavefront6targetE1EEEvT1_
                                        ; -- End function
	.section	.AMDGPU.csdata,"",@progbits
; Kernel info:
; codeLenInByte = 0
; NumSgprs: 6
; NumVgprs: 0
; NumAgprs: 0
; TotalNumVgprs: 0
; ScratchSize: 0
; MemoryBound: 0
; FloatMode: 240
; IeeeMode: 1
; LDSByteSize: 0 bytes/workgroup (compile time only)
; SGPRBlocks: 0
; VGPRBlocks: 0
; NumSGPRsForWavesPerEU: 6
; NumVGPRsForWavesPerEU: 1
; AccumOffset: 4
; Occupancy: 8
; WaveLimiterHint : 0
; COMPUTE_PGM_RSRC2:SCRATCH_EN: 0
; COMPUTE_PGM_RSRC2:USER_SGPR: 2
; COMPUTE_PGM_RSRC2:TRAP_HANDLER: 0
; COMPUTE_PGM_RSRC2:TGID_X_EN: 1
; COMPUTE_PGM_RSRC2:TGID_Y_EN: 0
; COMPUTE_PGM_RSRC2:TGID_Z_EN: 0
; COMPUTE_PGM_RSRC2:TIDIG_COMP_CNT: 0
; COMPUTE_PGM_RSRC3_GFX90A:ACCUM_OFFSET: 0
; COMPUTE_PGM_RSRC3_GFX90A:TG_SPLIT: 0
	.section	.text._ZN7rocprim17ROCPRIM_400000_NS6detail17trampoline_kernelINS0_14default_configENS1_25partition_config_selectorILNS1_17partition_subalgoE1ExNS0_10empty_typeEbEEZZNS1_14partition_implILS5_1ELb0ES3_jN6thrust23THRUST_200600_302600_NS6detail15normal_iteratorINSA_10device_ptrIxEEEEPS6_NSA_18transform_iteratorI7is_evenIxESF_NSA_11use_defaultESK_EENS0_5tupleIJNSA_16discard_iteratorISK_EESF_EEENSM_IJSG_SG_EEES6_PlJS6_EEE10hipError_tPvRmT3_T4_T5_T6_T7_T9_mT8_P12ihipStream_tbDpT10_ENKUlT_T0_E_clISt17integral_constantIbLb0EES1B_EEDaS16_S17_EUlS16_E_NS1_11comp_targetILNS1_3genE0ELNS1_11target_archE4294967295ELNS1_3gpuE0ELNS1_3repE0EEENS1_30default_config_static_selectorELNS0_4arch9wavefront6targetE1EEEvT1_,"axG",@progbits,_ZN7rocprim17ROCPRIM_400000_NS6detail17trampoline_kernelINS0_14default_configENS1_25partition_config_selectorILNS1_17partition_subalgoE1ExNS0_10empty_typeEbEEZZNS1_14partition_implILS5_1ELb0ES3_jN6thrust23THRUST_200600_302600_NS6detail15normal_iteratorINSA_10device_ptrIxEEEEPS6_NSA_18transform_iteratorI7is_evenIxESF_NSA_11use_defaultESK_EENS0_5tupleIJNSA_16discard_iteratorISK_EESF_EEENSM_IJSG_SG_EEES6_PlJS6_EEE10hipError_tPvRmT3_T4_T5_T6_T7_T9_mT8_P12ihipStream_tbDpT10_ENKUlT_T0_E_clISt17integral_constantIbLb0EES1B_EEDaS16_S17_EUlS16_E_NS1_11comp_targetILNS1_3genE0ELNS1_11target_archE4294967295ELNS1_3gpuE0ELNS1_3repE0EEENS1_30default_config_static_selectorELNS0_4arch9wavefront6targetE1EEEvT1_,comdat
	.protected	_ZN7rocprim17ROCPRIM_400000_NS6detail17trampoline_kernelINS0_14default_configENS1_25partition_config_selectorILNS1_17partition_subalgoE1ExNS0_10empty_typeEbEEZZNS1_14partition_implILS5_1ELb0ES3_jN6thrust23THRUST_200600_302600_NS6detail15normal_iteratorINSA_10device_ptrIxEEEEPS6_NSA_18transform_iteratorI7is_evenIxESF_NSA_11use_defaultESK_EENS0_5tupleIJNSA_16discard_iteratorISK_EESF_EEENSM_IJSG_SG_EEES6_PlJS6_EEE10hipError_tPvRmT3_T4_T5_T6_T7_T9_mT8_P12ihipStream_tbDpT10_ENKUlT_T0_E_clISt17integral_constantIbLb0EES1B_EEDaS16_S17_EUlS16_E_NS1_11comp_targetILNS1_3genE0ELNS1_11target_archE4294967295ELNS1_3gpuE0ELNS1_3repE0EEENS1_30default_config_static_selectorELNS0_4arch9wavefront6targetE1EEEvT1_ ; -- Begin function _ZN7rocprim17ROCPRIM_400000_NS6detail17trampoline_kernelINS0_14default_configENS1_25partition_config_selectorILNS1_17partition_subalgoE1ExNS0_10empty_typeEbEEZZNS1_14partition_implILS5_1ELb0ES3_jN6thrust23THRUST_200600_302600_NS6detail15normal_iteratorINSA_10device_ptrIxEEEEPS6_NSA_18transform_iteratorI7is_evenIxESF_NSA_11use_defaultESK_EENS0_5tupleIJNSA_16discard_iteratorISK_EESF_EEENSM_IJSG_SG_EEES6_PlJS6_EEE10hipError_tPvRmT3_T4_T5_T6_T7_T9_mT8_P12ihipStream_tbDpT10_ENKUlT_T0_E_clISt17integral_constantIbLb0EES1B_EEDaS16_S17_EUlS16_E_NS1_11comp_targetILNS1_3genE0ELNS1_11target_archE4294967295ELNS1_3gpuE0ELNS1_3repE0EEENS1_30default_config_static_selectorELNS0_4arch9wavefront6targetE1EEEvT1_
	.globl	_ZN7rocprim17ROCPRIM_400000_NS6detail17trampoline_kernelINS0_14default_configENS1_25partition_config_selectorILNS1_17partition_subalgoE1ExNS0_10empty_typeEbEEZZNS1_14partition_implILS5_1ELb0ES3_jN6thrust23THRUST_200600_302600_NS6detail15normal_iteratorINSA_10device_ptrIxEEEEPS6_NSA_18transform_iteratorI7is_evenIxESF_NSA_11use_defaultESK_EENS0_5tupleIJNSA_16discard_iteratorISK_EESF_EEENSM_IJSG_SG_EEES6_PlJS6_EEE10hipError_tPvRmT3_T4_T5_T6_T7_T9_mT8_P12ihipStream_tbDpT10_ENKUlT_T0_E_clISt17integral_constantIbLb0EES1B_EEDaS16_S17_EUlS16_E_NS1_11comp_targetILNS1_3genE0ELNS1_11target_archE4294967295ELNS1_3gpuE0ELNS1_3repE0EEENS1_30default_config_static_selectorELNS0_4arch9wavefront6targetE1EEEvT1_
	.p2align	8
	.type	_ZN7rocprim17ROCPRIM_400000_NS6detail17trampoline_kernelINS0_14default_configENS1_25partition_config_selectorILNS1_17partition_subalgoE1ExNS0_10empty_typeEbEEZZNS1_14partition_implILS5_1ELb0ES3_jN6thrust23THRUST_200600_302600_NS6detail15normal_iteratorINSA_10device_ptrIxEEEEPS6_NSA_18transform_iteratorI7is_evenIxESF_NSA_11use_defaultESK_EENS0_5tupleIJNSA_16discard_iteratorISK_EESF_EEENSM_IJSG_SG_EEES6_PlJS6_EEE10hipError_tPvRmT3_T4_T5_T6_T7_T9_mT8_P12ihipStream_tbDpT10_ENKUlT_T0_E_clISt17integral_constantIbLb0EES1B_EEDaS16_S17_EUlS16_E_NS1_11comp_targetILNS1_3genE0ELNS1_11target_archE4294967295ELNS1_3gpuE0ELNS1_3repE0EEENS1_30default_config_static_selectorELNS0_4arch9wavefront6targetE1EEEvT1_,@function
_ZN7rocprim17ROCPRIM_400000_NS6detail17trampoline_kernelINS0_14default_configENS1_25partition_config_selectorILNS1_17partition_subalgoE1ExNS0_10empty_typeEbEEZZNS1_14partition_implILS5_1ELb0ES3_jN6thrust23THRUST_200600_302600_NS6detail15normal_iteratorINSA_10device_ptrIxEEEEPS6_NSA_18transform_iteratorI7is_evenIxESF_NSA_11use_defaultESK_EENS0_5tupleIJNSA_16discard_iteratorISK_EESF_EEENSM_IJSG_SG_EEES6_PlJS6_EEE10hipError_tPvRmT3_T4_T5_T6_T7_T9_mT8_P12ihipStream_tbDpT10_ENKUlT_T0_E_clISt17integral_constantIbLb0EES1B_EEDaS16_S17_EUlS16_E_NS1_11comp_targetILNS1_3genE0ELNS1_11target_archE4294967295ELNS1_3gpuE0ELNS1_3repE0EEENS1_30default_config_static_selectorELNS0_4arch9wavefront6targetE1EEEvT1_: ; @_ZN7rocprim17ROCPRIM_400000_NS6detail17trampoline_kernelINS0_14default_configENS1_25partition_config_selectorILNS1_17partition_subalgoE1ExNS0_10empty_typeEbEEZZNS1_14partition_implILS5_1ELb0ES3_jN6thrust23THRUST_200600_302600_NS6detail15normal_iteratorINSA_10device_ptrIxEEEEPS6_NSA_18transform_iteratorI7is_evenIxESF_NSA_11use_defaultESK_EENS0_5tupleIJNSA_16discard_iteratorISK_EESF_EEENSM_IJSG_SG_EEES6_PlJS6_EEE10hipError_tPvRmT3_T4_T5_T6_T7_T9_mT8_P12ihipStream_tbDpT10_ENKUlT_T0_E_clISt17integral_constantIbLb0EES1B_EEDaS16_S17_EUlS16_E_NS1_11comp_targetILNS1_3genE0ELNS1_11target_archE4294967295ELNS1_3gpuE0ELNS1_3repE0EEENS1_30default_config_static_selectorELNS0_4arch9wavefront6targetE1EEEvT1_
; %bb.0:
	.section	.rodata,"a",@progbits
	.p2align	6, 0x0
	.amdhsa_kernel _ZN7rocprim17ROCPRIM_400000_NS6detail17trampoline_kernelINS0_14default_configENS1_25partition_config_selectorILNS1_17partition_subalgoE1ExNS0_10empty_typeEbEEZZNS1_14partition_implILS5_1ELb0ES3_jN6thrust23THRUST_200600_302600_NS6detail15normal_iteratorINSA_10device_ptrIxEEEEPS6_NSA_18transform_iteratorI7is_evenIxESF_NSA_11use_defaultESK_EENS0_5tupleIJNSA_16discard_iteratorISK_EESF_EEENSM_IJSG_SG_EEES6_PlJS6_EEE10hipError_tPvRmT3_T4_T5_T6_T7_T9_mT8_P12ihipStream_tbDpT10_ENKUlT_T0_E_clISt17integral_constantIbLb0EES1B_EEDaS16_S17_EUlS16_E_NS1_11comp_targetILNS1_3genE0ELNS1_11target_archE4294967295ELNS1_3gpuE0ELNS1_3repE0EEENS1_30default_config_static_selectorELNS0_4arch9wavefront6targetE1EEEvT1_
		.amdhsa_group_segment_fixed_size 0
		.amdhsa_private_segment_fixed_size 0
		.amdhsa_kernarg_size 136
		.amdhsa_user_sgpr_count 2
		.amdhsa_user_sgpr_dispatch_ptr 0
		.amdhsa_user_sgpr_queue_ptr 0
		.amdhsa_user_sgpr_kernarg_segment_ptr 1
		.amdhsa_user_sgpr_dispatch_id 0
		.amdhsa_user_sgpr_kernarg_preload_length 0
		.amdhsa_user_sgpr_kernarg_preload_offset 0
		.amdhsa_user_sgpr_private_segment_size 0
		.amdhsa_uses_dynamic_stack 0
		.amdhsa_enable_private_segment 0
		.amdhsa_system_sgpr_workgroup_id_x 1
		.amdhsa_system_sgpr_workgroup_id_y 0
		.amdhsa_system_sgpr_workgroup_id_z 0
		.amdhsa_system_sgpr_workgroup_info 0
		.amdhsa_system_vgpr_workitem_id 0
		.amdhsa_next_free_vgpr 1
		.amdhsa_next_free_sgpr 0
		.amdhsa_accum_offset 4
		.amdhsa_reserve_vcc 0
		.amdhsa_float_round_mode_32 0
		.amdhsa_float_round_mode_16_64 0
		.amdhsa_float_denorm_mode_32 3
		.amdhsa_float_denorm_mode_16_64 3
		.amdhsa_dx10_clamp 1
		.amdhsa_ieee_mode 1
		.amdhsa_fp16_overflow 0
		.amdhsa_tg_split 0
		.amdhsa_exception_fp_ieee_invalid_op 0
		.amdhsa_exception_fp_denorm_src 0
		.amdhsa_exception_fp_ieee_div_zero 0
		.amdhsa_exception_fp_ieee_overflow 0
		.amdhsa_exception_fp_ieee_underflow 0
		.amdhsa_exception_fp_ieee_inexact 0
		.amdhsa_exception_int_div_zero 0
	.end_amdhsa_kernel
	.section	.text._ZN7rocprim17ROCPRIM_400000_NS6detail17trampoline_kernelINS0_14default_configENS1_25partition_config_selectorILNS1_17partition_subalgoE1ExNS0_10empty_typeEbEEZZNS1_14partition_implILS5_1ELb0ES3_jN6thrust23THRUST_200600_302600_NS6detail15normal_iteratorINSA_10device_ptrIxEEEEPS6_NSA_18transform_iteratorI7is_evenIxESF_NSA_11use_defaultESK_EENS0_5tupleIJNSA_16discard_iteratorISK_EESF_EEENSM_IJSG_SG_EEES6_PlJS6_EEE10hipError_tPvRmT3_T4_T5_T6_T7_T9_mT8_P12ihipStream_tbDpT10_ENKUlT_T0_E_clISt17integral_constantIbLb0EES1B_EEDaS16_S17_EUlS16_E_NS1_11comp_targetILNS1_3genE0ELNS1_11target_archE4294967295ELNS1_3gpuE0ELNS1_3repE0EEENS1_30default_config_static_selectorELNS0_4arch9wavefront6targetE1EEEvT1_,"axG",@progbits,_ZN7rocprim17ROCPRIM_400000_NS6detail17trampoline_kernelINS0_14default_configENS1_25partition_config_selectorILNS1_17partition_subalgoE1ExNS0_10empty_typeEbEEZZNS1_14partition_implILS5_1ELb0ES3_jN6thrust23THRUST_200600_302600_NS6detail15normal_iteratorINSA_10device_ptrIxEEEEPS6_NSA_18transform_iteratorI7is_evenIxESF_NSA_11use_defaultESK_EENS0_5tupleIJNSA_16discard_iteratorISK_EESF_EEENSM_IJSG_SG_EEES6_PlJS6_EEE10hipError_tPvRmT3_T4_T5_T6_T7_T9_mT8_P12ihipStream_tbDpT10_ENKUlT_T0_E_clISt17integral_constantIbLb0EES1B_EEDaS16_S17_EUlS16_E_NS1_11comp_targetILNS1_3genE0ELNS1_11target_archE4294967295ELNS1_3gpuE0ELNS1_3repE0EEENS1_30default_config_static_selectorELNS0_4arch9wavefront6targetE1EEEvT1_,comdat
.Lfunc_end3227:
	.size	_ZN7rocprim17ROCPRIM_400000_NS6detail17trampoline_kernelINS0_14default_configENS1_25partition_config_selectorILNS1_17partition_subalgoE1ExNS0_10empty_typeEbEEZZNS1_14partition_implILS5_1ELb0ES3_jN6thrust23THRUST_200600_302600_NS6detail15normal_iteratorINSA_10device_ptrIxEEEEPS6_NSA_18transform_iteratorI7is_evenIxESF_NSA_11use_defaultESK_EENS0_5tupleIJNSA_16discard_iteratorISK_EESF_EEENSM_IJSG_SG_EEES6_PlJS6_EEE10hipError_tPvRmT3_T4_T5_T6_T7_T9_mT8_P12ihipStream_tbDpT10_ENKUlT_T0_E_clISt17integral_constantIbLb0EES1B_EEDaS16_S17_EUlS16_E_NS1_11comp_targetILNS1_3genE0ELNS1_11target_archE4294967295ELNS1_3gpuE0ELNS1_3repE0EEENS1_30default_config_static_selectorELNS0_4arch9wavefront6targetE1EEEvT1_, .Lfunc_end3227-_ZN7rocprim17ROCPRIM_400000_NS6detail17trampoline_kernelINS0_14default_configENS1_25partition_config_selectorILNS1_17partition_subalgoE1ExNS0_10empty_typeEbEEZZNS1_14partition_implILS5_1ELb0ES3_jN6thrust23THRUST_200600_302600_NS6detail15normal_iteratorINSA_10device_ptrIxEEEEPS6_NSA_18transform_iteratorI7is_evenIxESF_NSA_11use_defaultESK_EENS0_5tupleIJNSA_16discard_iteratorISK_EESF_EEENSM_IJSG_SG_EEES6_PlJS6_EEE10hipError_tPvRmT3_T4_T5_T6_T7_T9_mT8_P12ihipStream_tbDpT10_ENKUlT_T0_E_clISt17integral_constantIbLb0EES1B_EEDaS16_S17_EUlS16_E_NS1_11comp_targetILNS1_3genE0ELNS1_11target_archE4294967295ELNS1_3gpuE0ELNS1_3repE0EEENS1_30default_config_static_selectorELNS0_4arch9wavefront6targetE1EEEvT1_
                                        ; -- End function
	.section	.AMDGPU.csdata,"",@progbits
; Kernel info:
; codeLenInByte = 0
; NumSgprs: 6
; NumVgprs: 0
; NumAgprs: 0
; TotalNumVgprs: 0
; ScratchSize: 0
; MemoryBound: 0
; FloatMode: 240
; IeeeMode: 1
; LDSByteSize: 0 bytes/workgroup (compile time only)
; SGPRBlocks: 0
; VGPRBlocks: 0
; NumSGPRsForWavesPerEU: 6
; NumVGPRsForWavesPerEU: 1
; AccumOffset: 4
; Occupancy: 8
; WaveLimiterHint : 0
; COMPUTE_PGM_RSRC2:SCRATCH_EN: 0
; COMPUTE_PGM_RSRC2:USER_SGPR: 2
; COMPUTE_PGM_RSRC2:TRAP_HANDLER: 0
; COMPUTE_PGM_RSRC2:TGID_X_EN: 1
; COMPUTE_PGM_RSRC2:TGID_Y_EN: 0
; COMPUTE_PGM_RSRC2:TGID_Z_EN: 0
; COMPUTE_PGM_RSRC2:TIDIG_COMP_CNT: 0
; COMPUTE_PGM_RSRC3_GFX90A:ACCUM_OFFSET: 0
; COMPUTE_PGM_RSRC3_GFX90A:TG_SPLIT: 0
	.section	.text._ZN7rocprim17ROCPRIM_400000_NS6detail17trampoline_kernelINS0_14default_configENS1_25partition_config_selectorILNS1_17partition_subalgoE1ExNS0_10empty_typeEbEEZZNS1_14partition_implILS5_1ELb0ES3_jN6thrust23THRUST_200600_302600_NS6detail15normal_iteratorINSA_10device_ptrIxEEEEPS6_NSA_18transform_iteratorI7is_evenIxESF_NSA_11use_defaultESK_EENS0_5tupleIJNSA_16discard_iteratorISK_EESF_EEENSM_IJSG_SG_EEES6_PlJS6_EEE10hipError_tPvRmT3_T4_T5_T6_T7_T9_mT8_P12ihipStream_tbDpT10_ENKUlT_T0_E_clISt17integral_constantIbLb0EES1B_EEDaS16_S17_EUlS16_E_NS1_11comp_targetILNS1_3genE5ELNS1_11target_archE942ELNS1_3gpuE9ELNS1_3repE0EEENS1_30default_config_static_selectorELNS0_4arch9wavefront6targetE1EEEvT1_,"axG",@progbits,_ZN7rocprim17ROCPRIM_400000_NS6detail17trampoline_kernelINS0_14default_configENS1_25partition_config_selectorILNS1_17partition_subalgoE1ExNS0_10empty_typeEbEEZZNS1_14partition_implILS5_1ELb0ES3_jN6thrust23THRUST_200600_302600_NS6detail15normal_iteratorINSA_10device_ptrIxEEEEPS6_NSA_18transform_iteratorI7is_evenIxESF_NSA_11use_defaultESK_EENS0_5tupleIJNSA_16discard_iteratorISK_EESF_EEENSM_IJSG_SG_EEES6_PlJS6_EEE10hipError_tPvRmT3_T4_T5_T6_T7_T9_mT8_P12ihipStream_tbDpT10_ENKUlT_T0_E_clISt17integral_constantIbLb0EES1B_EEDaS16_S17_EUlS16_E_NS1_11comp_targetILNS1_3genE5ELNS1_11target_archE942ELNS1_3gpuE9ELNS1_3repE0EEENS1_30default_config_static_selectorELNS0_4arch9wavefront6targetE1EEEvT1_,comdat
	.protected	_ZN7rocprim17ROCPRIM_400000_NS6detail17trampoline_kernelINS0_14default_configENS1_25partition_config_selectorILNS1_17partition_subalgoE1ExNS0_10empty_typeEbEEZZNS1_14partition_implILS5_1ELb0ES3_jN6thrust23THRUST_200600_302600_NS6detail15normal_iteratorINSA_10device_ptrIxEEEEPS6_NSA_18transform_iteratorI7is_evenIxESF_NSA_11use_defaultESK_EENS0_5tupleIJNSA_16discard_iteratorISK_EESF_EEENSM_IJSG_SG_EEES6_PlJS6_EEE10hipError_tPvRmT3_T4_T5_T6_T7_T9_mT8_P12ihipStream_tbDpT10_ENKUlT_T0_E_clISt17integral_constantIbLb0EES1B_EEDaS16_S17_EUlS16_E_NS1_11comp_targetILNS1_3genE5ELNS1_11target_archE942ELNS1_3gpuE9ELNS1_3repE0EEENS1_30default_config_static_selectorELNS0_4arch9wavefront6targetE1EEEvT1_ ; -- Begin function _ZN7rocprim17ROCPRIM_400000_NS6detail17trampoline_kernelINS0_14default_configENS1_25partition_config_selectorILNS1_17partition_subalgoE1ExNS0_10empty_typeEbEEZZNS1_14partition_implILS5_1ELb0ES3_jN6thrust23THRUST_200600_302600_NS6detail15normal_iteratorINSA_10device_ptrIxEEEEPS6_NSA_18transform_iteratorI7is_evenIxESF_NSA_11use_defaultESK_EENS0_5tupleIJNSA_16discard_iteratorISK_EESF_EEENSM_IJSG_SG_EEES6_PlJS6_EEE10hipError_tPvRmT3_T4_T5_T6_T7_T9_mT8_P12ihipStream_tbDpT10_ENKUlT_T0_E_clISt17integral_constantIbLb0EES1B_EEDaS16_S17_EUlS16_E_NS1_11comp_targetILNS1_3genE5ELNS1_11target_archE942ELNS1_3gpuE9ELNS1_3repE0EEENS1_30default_config_static_selectorELNS0_4arch9wavefront6targetE1EEEvT1_
	.globl	_ZN7rocprim17ROCPRIM_400000_NS6detail17trampoline_kernelINS0_14default_configENS1_25partition_config_selectorILNS1_17partition_subalgoE1ExNS0_10empty_typeEbEEZZNS1_14partition_implILS5_1ELb0ES3_jN6thrust23THRUST_200600_302600_NS6detail15normal_iteratorINSA_10device_ptrIxEEEEPS6_NSA_18transform_iteratorI7is_evenIxESF_NSA_11use_defaultESK_EENS0_5tupleIJNSA_16discard_iteratorISK_EESF_EEENSM_IJSG_SG_EEES6_PlJS6_EEE10hipError_tPvRmT3_T4_T5_T6_T7_T9_mT8_P12ihipStream_tbDpT10_ENKUlT_T0_E_clISt17integral_constantIbLb0EES1B_EEDaS16_S17_EUlS16_E_NS1_11comp_targetILNS1_3genE5ELNS1_11target_archE942ELNS1_3gpuE9ELNS1_3repE0EEENS1_30default_config_static_selectorELNS0_4arch9wavefront6targetE1EEEvT1_
	.p2align	8
	.type	_ZN7rocprim17ROCPRIM_400000_NS6detail17trampoline_kernelINS0_14default_configENS1_25partition_config_selectorILNS1_17partition_subalgoE1ExNS0_10empty_typeEbEEZZNS1_14partition_implILS5_1ELb0ES3_jN6thrust23THRUST_200600_302600_NS6detail15normal_iteratorINSA_10device_ptrIxEEEEPS6_NSA_18transform_iteratorI7is_evenIxESF_NSA_11use_defaultESK_EENS0_5tupleIJNSA_16discard_iteratorISK_EESF_EEENSM_IJSG_SG_EEES6_PlJS6_EEE10hipError_tPvRmT3_T4_T5_T6_T7_T9_mT8_P12ihipStream_tbDpT10_ENKUlT_T0_E_clISt17integral_constantIbLb0EES1B_EEDaS16_S17_EUlS16_E_NS1_11comp_targetILNS1_3genE5ELNS1_11target_archE942ELNS1_3gpuE9ELNS1_3repE0EEENS1_30default_config_static_selectorELNS0_4arch9wavefront6targetE1EEEvT1_,@function
_ZN7rocprim17ROCPRIM_400000_NS6detail17trampoline_kernelINS0_14default_configENS1_25partition_config_selectorILNS1_17partition_subalgoE1ExNS0_10empty_typeEbEEZZNS1_14partition_implILS5_1ELb0ES3_jN6thrust23THRUST_200600_302600_NS6detail15normal_iteratorINSA_10device_ptrIxEEEEPS6_NSA_18transform_iteratorI7is_evenIxESF_NSA_11use_defaultESK_EENS0_5tupleIJNSA_16discard_iteratorISK_EESF_EEENSM_IJSG_SG_EEES6_PlJS6_EEE10hipError_tPvRmT3_T4_T5_T6_T7_T9_mT8_P12ihipStream_tbDpT10_ENKUlT_T0_E_clISt17integral_constantIbLb0EES1B_EEDaS16_S17_EUlS16_E_NS1_11comp_targetILNS1_3genE5ELNS1_11target_archE942ELNS1_3gpuE9ELNS1_3repE0EEENS1_30default_config_static_selectorELNS0_4arch9wavefront6targetE1EEEvT1_: ; @_ZN7rocprim17ROCPRIM_400000_NS6detail17trampoline_kernelINS0_14default_configENS1_25partition_config_selectorILNS1_17partition_subalgoE1ExNS0_10empty_typeEbEEZZNS1_14partition_implILS5_1ELb0ES3_jN6thrust23THRUST_200600_302600_NS6detail15normal_iteratorINSA_10device_ptrIxEEEEPS6_NSA_18transform_iteratorI7is_evenIxESF_NSA_11use_defaultESK_EENS0_5tupleIJNSA_16discard_iteratorISK_EESF_EEENSM_IJSG_SG_EEES6_PlJS6_EEE10hipError_tPvRmT3_T4_T5_T6_T7_T9_mT8_P12ihipStream_tbDpT10_ENKUlT_T0_E_clISt17integral_constantIbLb0EES1B_EEDaS16_S17_EUlS16_E_NS1_11comp_targetILNS1_3genE5ELNS1_11target_archE942ELNS1_3gpuE9ELNS1_3repE0EEENS1_30default_config_static_selectorELNS0_4arch9wavefront6targetE1EEEvT1_
; %bb.0:
	s_load_dwordx2 s[4:5], s[0:1], 0x68
	s_load_dwordx4 s[24:27], s[0:1], 0x8
	s_load_dwordx2 s[6:7], s[0:1], 0x20
	s_load_dwordx4 s[20:23], s[0:1], 0x58
	s_load_dword s3, s[0:1], 0x80
	s_waitcnt lgkmcnt(0)
	v_mov_b32_e32 v3, s5
	s_lshl_b64 s[8:9], s[26:27], 3
	s_add_u32 s12, s24, s8
	s_addc_u32 s13, s25, s9
	s_add_i32 s14, s3, -1
	s_mulk_i32 s3, 0xe00
	s_add_i32 s5, s3, s26
	s_sub_i32 s33, s4, s5
	s_addk_i32 s33, 0xe00
	v_mov_b32_e32 v2, s4
	s_add_u32 s4, s26, s3
	s_addc_u32 s5, s27, 0
	s_cmp_eq_u32 s2, s14
	s_load_dwordx2 s[24:25], s[22:23], 0x0
	s_cselect_b64 s[22:23], -1, 0
	s_cmp_lg_u32 s2, s14
	s_mul_i32 s10, s2, 0xe00
	s_mov_b32 s11, 0
	v_cmp_lt_u64_e32 vcc, s[4:5], v[2:3]
	s_cselect_b64 s[4:5], -1, 0
	s_or_b64 s[28:29], s[4:5], vcc
	s_lshl_b64 s[30:31], s[10:11], 3
	s_add_u32 s10, s12, s30
	s_addc_u32 s11, s13, s31
	s_mov_b64 s[4:5], -1
	s_and_b64 vcc, exec, s[28:29]
	v_lshlrev_b32_e32 v18, 3, v0
	s_cbranch_vccz .LBB3228_2
; %bb.1:
	v_mov_b32_e32 v19, 0
	v_lshl_add_u64 v[2:3], s[10:11], 0, v[18:19]
	v_add_co_u32_e32 v4, vcc, 0x1000, v2
	s_mov_b64 s[4:5], 0
	s_nop 0
	v_addc_co_u32_e32 v5, vcc, 0, v3, vcc
	v_add_co_u32_e32 v6, vcc, 0x2000, v2
	s_nop 1
	v_addc_co_u32_e32 v7, vcc, 0, v3, vcc
	v_add_co_u32_e32 v8, vcc, 0x3000, v2
	s_nop 1
	v_addc_co_u32_e32 v9, vcc, 0, v3, vcc
	flat_load_dwordx2 v[10:11], v[2:3]
	flat_load_dwordx2 v[12:13], v[4:5]
	;; [unrolled: 1-line block ×4, first 2 shown]
	v_add_co_u32_e32 v4, vcc, 0x4000, v2
	s_nop 1
	v_addc_co_u32_e32 v5, vcc, 0, v3, vcc
	v_add_co_u32_e32 v6, vcc, 0x5000, v2
	s_nop 1
	v_addc_co_u32_e32 v7, vcc, 0, v3, vcc
	;; [unrolled: 3-line block ×3, first 2 shown]
	flat_load_dwordx2 v[8:9], v[4:5]
	flat_load_dwordx2 v[20:21], v[6:7]
	;; [unrolled: 1-line block ×3, first 2 shown]
	s_waitcnt vmcnt(0) lgkmcnt(0)
	ds_write2st64_b64 v18, v[10:11], v[12:13] offset1:8
	ds_write2st64_b64 v18, v[14:15], v[16:17] offset0:16 offset1:24
	ds_write2st64_b64 v18, v[8:9], v[20:21] offset0:32 offset1:40
	ds_write_b64 v18, v[22:23] offset:24576
	s_waitcnt lgkmcnt(0)
	s_barrier
.LBB3228_2:
	s_andn2_b64 vcc, exec, s[4:5]
	v_cmp_gt_u32_e64 s[4:5], s33, v0
	s_cbranch_vccnz .LBB3228_18
; %bb.3:
                                        ; implicit-def: $vgpr2_vgpr3_vgpr4_vgpr5_vgpr6_vgpr7_vgpr8_vgpr9_vgpr10_vgpr11_vgpr12_vgpr13_vgpr14_vgpr15_vgpr16_vgpr17
	s_and_saveexec_b64 s[12:13], s[4:5]
	s_cbranch_execz .LBB3228_5
; %bb.4:
	v_mov_b32_e32 v19, 0
	v_lshl_add_u64 v[2:3], s[10:11], 0, v[18:19]
	flat_load_dwordx2 v[2:3], v[2:3]
.LBB3228_5:
	s_or_b64 exec, exec, s[12:13]
	v_or_b32_e32 v1, 0x200, v0
	v_cmp_gt_u32_e32 vcc, s33, v1
	s_and_saveexec_b64 s[4:5], vcc
	s_cbranch_execz .LBB3228_7
; %bb.6:
	v_lshlrev_b32_e32 v4, 3, v1
	v_mov_b32_e32 v5, 0
	v_lshl_add_u64 v[4:5], s[10:11], 0, v[4:5]
	flat_load_dwordx2 v[4:5], v[4:5]
.LBB3228_7:
	s_or_b64 exec, exec, s[4:5]
	v_or_b32_e32 v1, 0x400, v0
	v_cmp_gt_u32_e32 vcc, s33, v1
	s_and_saveexec_b64 s[4:5], vcc
	s_cbranch_execz .LBB3228_9
; %bb.8:
	v_lshlrev_b32_e32 v6, 3, v1
	v_mov_b32_e32 v7, 0
	v_lshl_add_u64 v[6:7], s[10:11], 0, v[6:7]
	flat_load_dwordx2 v[6:7], v[6:7]
.LBB3228_9:
	;; [unrolled: 11-line block ×6, first 2 shown]
	s_or_b64 exec, exec, s[4:5]
	s_waitcnt vmcnt(0) lgkmcnt(0)
	ds_write2st64_b64 v18, v[2:3], v[4:5] offset1:8
	ds_write2st64_b64 v18, v[6:7], v[8:9] offset0:16 offset1:24
	ds_write2st64_b64 v18, v[10:11], v[12:13] offset0:32 offset1:40
	ds_write_b64 v18, v[14:15] offset:24576
	s_waitcnt lgkmcnt(0)
	s_barrier
.LBB3228_18:
	v_mul_u32_u24_e32 v1, 7, v0
	v_lshlrev_b32_e32 v16, 3, v1
	s_waitcnt lgkmcnt(0)
	ds_read2_b64 v[10:13], v16 offset1:1
	ds_read2_b64 v[6:9], v16 offset0:2 offset1:3
	ds_read2_b64 v[2:5], v16 offset0:4 offset1:5
	ds_read_b64 v[14:15], v16 offset:48
	s_add_u32 s3, s6, s8
	s_addc_u32 s5, s7, s9
	s_add_u32 s4, s3, s30
	s_addc_u32 s5, s5, s31
	s_mov_b64 s[6:7], -1
	s_and_b64 vcc, exec, s[28:29]
	s_waitcnt lgkmcnt(0)
	s_barrier
	s_cbranch_vccz .LBB3228_20
; %bb.19:
	v_mov_b32_e32 v19, 0
	v_lshl_add_u64 v[20:21], s[4:5], 0, v[18:19]
	v_add_co_u32_e32 v24, vcc, 0x1000, v20
	global_load_dwordx2 v[22:23], v18, s[4:5]
	s_nop 0
	v_addc_co_u32_e32 v25, vcc, 0, v21, vcc
	v_add_co_u32_e32 v26, vcc, 0x2000, v20
	s_mov_b64 s[6:7], 0
	s_nop 0
	v_addc_co_u32_e32 v27, vcc, 0, v21, vcc
	v_add_co_u32_e32 v28, vcc, 0x3000, v20
	s_waitcnt vmcnt(0)
	v_xor_b32_e32 v17, -1, v22
	v_addc_co_u32_e32 v29, vcc, 0, v21, vcc
	v_add_co_u32_e32 v30, vcc, 0x4000, v20
	v_and_b32_e32 v17, 1, v17
	s_nop 0
	v_addc_co_u32_e32 v31, vcc, 0, v21, vcc
	global_load_dwordx2 v[32:33], v[24:25], off
	global_load_dwordx2 v[34:35], v[26:27], off
	;; [unrolled: 1-line block ×4, first 2 shown]
	v_add_co_u32_e32 v24, vcc, 0x5000, v20
	ds_write_b8 v0, v17
	s_nop 0
	v_addc_co_u32_e32 v25, vcc, 0, v21, vcc
	v_add_co_u32_e32 v20, vcc, 0x6000, v20
	global_load_dwordx2 v[24:25], v[24:25], off
	s_nop 0
	v_addc_co_u32_e32 v21, vcc, 0, v21, vcc
	global_load_dwordx2 v[20:21], v[20:21], off
	s_waitcnt vmcnt(5)
	v_xor_b32_e32 v17, -1, v32
	v_and_b32_e32 v17, 1, v17
	s_waitcnt vmcnt(4)
	v_xor_b32_e32 v19, -1, v34
	s_waitcnt vmcnt(0)
	v_xor_b32_e32 v21, -1, v36
	v_and_b32_e32 v19, 1, v19
	ds_write_b8 v0, v17 offset:512
	v_and_b32_e32 v17, 1, v21
	v_xor_b32_e32 v21, -1, v38
	ds_write_b8 v0, v19 offset:1024
	v_and_b32_e32 v19, 1, v21
	ds_write_b8 v0, v17 offset:1536
	v_xor_b32_e32 v21, -1, v24
	v_and_b32_e32 v17, 1, v21
	ds_write_b8 v0, v19 offset:2048
	v_xor_b32_e32 v20, -1, v20
	v_and_b32_e32 v19, 1, v20
	ds_write_b8 v0, v17 offset:2560
	ds_write_b8 v0, v19 offset:3072
	s_waitcnt lgkmcnt(0)
	s_barrier
.LBB3228_20:
	s_load_dwordx2 s[34:35], s[0:1], 0x78
	s_andn2_b64 vcc, exec, s[6:7]
	s_cbranch_vccnz .LBB3228_36
; %bb.21:
	v_cmp_gt_u32_e32 vcc, s33, v0
	v_mov_b32_e32 v17, 0
	v_mov_b32_e32 v19, 0
	s_and_saveexec_b64 s[6:7], vcc
	s_cbranch_execz .LBB3228_23
; %bb.22:
	global_load_dwordx2 v[20:21], v18, s[4:5]
	s_waitcnt vmcnt(0)
	v_xor_b32_e32 v19, -1, v20
	v_and_b32_e32 v19, 1, v19
.LBB3228_23:
	s_or_b64 exec, exec, s[6:7]
	v_or_b32_e32 v20, 0x200, v0
	v_cmp_gt_u32_e32 vcc, s33, v20
	s_and_saveexec_b64 s[6:7], vcc
	s_cbranch_execz .LBB3228_25
; %bb.24:
	v_lshlrev_b32_e32 v17, 3, v20
	global_load_dwordx2 v[20:21], v17, s[4:5]
	s_waitcnt vmcnt(0)
	v_xor_b32_e32 v17, -1, v20
	v_and_b32_e32 v17, 1, v17
.LBB3228_25:
	s_or_b64 exec, exec, s[6:7]
	v_or_b32_e32 v22, 0x400, v0
	v_cmp_gt_u32_e32 vcc, s33, v22
	v_mov_b32_e32 v20, 0
	v_mov_b32_e32 v21, 0
	s_and_saveexec_b64 s[6:7], vcc
	s_cbranch_execz .LBB3228_27
; %bb.26:
	v_lshlrev_b32_e32 v21, 3, v22
	global_load_dwordx2 v[22:23], v21, s[4:5]
	s_waitcnt vmcnt(0)
	v_xor_b32_e32 v21, -1, v22
	v_and_b32_e32 v21, 1, v21
.LBB3228_27:
	s_or_b64 exec, exec, s[6:7]
	v_or_b32_e32 v22, 0x600, v0
	v_cmp_gt_u32_e32 vcc, s33, v22
	s_and_saveexec_b64 s[6:7], vcc
	s_cbranch_execz .LBB3228_29
; %bb.28:
	v_lshlrev_b32_e32 v20, 3, v22
	global_load_dwordx2 v[22:23], v20, s[4:5]
	s_waitcnt vmcnt(0)
	v_xor_b32_e32 v20, -1, v22
	v_and_b32_e32 v20, 1, v20
.LBB3228_29:
	s_or_b64 exec, exec, s[6:7]
	v_or_b32_e32 v24, 0x800, v0
	v_cmp_gt_u32_e32 vcc, s33, v24
	v_mov_b32_e32 v22, 0
	v_mov_b32_e32 v23, 0
	s_and_saveexec_b64 s[6:7], vcc
	s_cbranch_execz .LBB3228_31
; %bb.30:
	v_lshlrev_b32_e32 v23, 3, v24
	global_load_dwordx2 v[24:25], v23, s[4:5]
	s_waitcnt vmcnt(0)
	v_xor_b32_e32 v23, -1, v24
	v_and_b32_e32 v23, 1, v23
.LBB3228_31:
	s_or_b64 exec, exec, s[6:7]
	v_or_b32_e32 v24, 0xa00, v0
	v_cmp_gt_u32_e32 vcc, s33, v24
	s_and_saveexec_b64 s[6:7], vcc
	s_cbranch_execz .LBB3228_33
; %bb.32:
	v_lshlrev_b32_e32 v22, 3, v24
	global_load_dwordx2 v[24:25], v22, s[4:5]
	s_waitcnt vmcnt(0)
	v_xor_b32_e32 v22, -1, v24
	v_and_b32_e32 v22, 1, v22
.LBB3228_33:
	s_or_b64 exec, exec, s[6:7]
	v_or_b32_e32 v25, 0xc00, v0
	v_cmp_gt_u32_e32 vcc, s33, v25
	v_mov_b32_e32 v24, 0
	s_and_saveexec_b64 s[6:7], vcc
	s_cbranch_execz .LBB3228_35
; %bb.34:
	v_lshlrev_b32_e32 v24, 3, v25
	global_load_dwordx2 v[24:25], v24, s[4:5]
	s_waitcnt vmcnt(0)
	v_xor_b32_e32 v24, -1, v24
	v_and_b32_e32 v24, 1, v24
.LBB3228_35:
	s_or_b64 exec, exec, s[6:7]
	ds_write_b8 v0, v19
	ds_write_b8 v0, v17 offset:512
	ds_write_b8 v0, v21 offset:1024
	;; [unrolled: 1-line block ×6, first 2 shown]
	s_waitcnt lgkmcnt(0)
	s_barrier
.LBB3228_36:
	s_movk_i32 s3, 0xffcf
	v_mad_i32_i24 v35, v0, s3, v16
	s_waitcnt lgkmcnt(0)
	ds_read_u8 v16, v35
	ds_read_u8 v17, v35 offset:1
	ds_read_u8 v19, v35 offset:2
	;; [unrolled: 1-line block ×6, first 2 shown]
	s_waitcnt lgkmcnt(6)
	v_and_b32_e32 v33, 1, v16
	s_waitcnt lgkmcnt(5)
	v_and_b32_e32 v32, 1, v17
	;; [unrolled: 2-line block ×5, first 2 shown]
	v_add3_u32 v16, v32, v33, v31
	s_waitcnt lgkmcnt(1)
	v_and_b32_e32 v28, 1, v22
	s_waitcnt lgkmcnt(0)
	v_and_b32_e32 v19, 1, v23
	v_add3_u32 v16, v16, v30, v29
	v_add3_u32 v37, v16, v28, v19
	v_mbcnt_lo_u32_b32 v16, -1, 0
	v_mbcnt_hi_u32_b32 v34, -1, v16
	v_and_b32_e32 v16, 15, v34
	v_cmp_eq_u32_e64 s[14:15], 0, v16
	v_cmp_lt_u32_e64 s[12:13], 1, v16
	v_cmp_lt_u32_e64 s[10:11], 3, v16
	;; [unrolled: 1-line block ×3, first 2 shown]
	v_and_b32_e32 v16, 16, v34
	v_cmp_eq_u32_e64 s[6:7], 0, v16
	v_or_b32_e32 v16, 63, v0
	s_cmp_lg_u32 s2, 0
	v_cmp_lt_u32_e64 s[18:19], 31, v34
	v_lshrrev_b32_e32 v36, 6, v0
	v_cmp_eq_u32_e64 s[4:5], v16, v0
	s_barrier
	s_cbranch_scc0 .LBB3228_63
; %bb.37:
	v_mov_b32_dpp v16, v37 row_shr:1 row_mask:0xf bank_mask:0xf
	v_cndmask_b32_e64 v16, v16, 0, s[14:15]
	v_add_u32_e32 v16, v16, v37
	s_nop 1
	v_mov_b32_dpp v17, v16 row_shr:2 row_mask:0xf bank_mask:0xf
	v_cndmask_b32_e64 v17, 0, v17, s[12:13]
	v_add_u32_e32 v16, v16, v17
	s_nop 1
	;; [unrolled: 4-line block ×4, first 2 shown]
	v_mov_b32_dpp v17, v16 row_bcast:15 row_mask:0xf bank_mask:0xf
	v_cndmask_b32_e64 v17, v17, 0, s[6:7]
	v_add_u32_e32 v16, v16, v17
	s_nop 1
	v_mov_b32_dpp v17, v16 row_bcast:31 row_mask:0xf bank_mask:0xf
	v_cndmask_b32_e64 v17, 0, v17, s[18:19]
	v_add_u32_e32 v16, v16, v17
	s_and_saveexec_b64 s[16:17], s[4:5]
	s_cbranch_execz .LBB3228_39
; %bb.38:
	v_lshlrev_b32_e32 v17, 2, v36
	ds_write_b32 v17, v16
.LBB3228_39:
	s_or_b64 exec, exec, s[16:17]
	v_cmp_gt_u32_e32 vcc, 8, v0
	s_waitcnt lgkmcnt(0)
	s_barrier
	s_and_saveexec_b64 s[16:17], vcc
	s_cbranch_execz .LBB3228_41
; %bb.40:
	v_lshlrev_b32_e32 v17, 2, v0
	ds_read_b32 v20, v17
	v_and_b32_e32 v21, 7, v34
	v_cmp_ne_u32_e32 vcc, 0, v21
	s_waitcnt lgkmcnt(0)
	v_mov_b32_dpp v22, v20 row_shr:1 row_mask:0xf bank_mask:0xf
	v_cndmask_b32_e32 v22, 0, v22, vcc
	v_add_u32_e32 v20, v22, v20
	v_cmp_lt_u32_e32 vcc, 1, v21
	s_nop 0
	v_mov_b32_dpp v22, v20 row_shr:2 row_mask:0xf bank_mask:0xf
	v_cndmask_b32_e32 v22, 0, v22, vcc
	v_add_u32_e32 v20, v20, v22
	v_cmp_lt_u32_e32 vcc, 3, v21
	s_nop 0
	v_mov_b32_dpp v22, v20 row_shr:4 row_mask:0xf bank_mask:0xf
	v_cndmask_b32_e32 v21, 0, v22, vcc
	v_add_u32_e32 v20, v20, v21
	ds_write_b32 v17, v20
.LBB3228_41:
	s_or_b64 exec, exec, s[16:17]
	v_cmp_gt_u32_e32 vcc, 64, v0
	v_cmp_lt_u32_e64 s[16:17], 63, v0
	s_waitcnt lgkmcnt(0)
	s_barrier
	s_waitcnt lgkmcnt(0)
                                        ; implicit-def: $vgpr38
	s_and_saveexec_b64 s[36:37], s[16:17]
	s_cbranch_execz .LBB3228_43
; %bb.42:
	v_lshl_add_u32 v17, v36, 2, -4
	ds_read_b32 v38, v17
	s_waitcnt lgkmcnt(0)
	v_add_u32_e32 v16, v38, v16
.LBB3228_43:
	s_or_b64 exec, exec, s[36:37]
	v_add_u32_e32 v17, -1, v34
	v_and_b32_e32 v20, 64, v34
	v_cmp_lt_i32_e64 s[16:17], v17, v20
	s_nop 1
	v_cndmask_b32_e64 v17, v17, v34, s[16:17]
	v_lshlrev_b32_e32 v17, 2, v17
	ds_bpermute_b32 v39, v17, v16
	v_cmp_eq_u32_e64 s[16:17], 0, v34
	s_and_saveexec_b64 s[36:37], vcc
	s_cbranch_execz .LBB3228_62
; %bb.44:
	v_mov_b32_e32 v25, 0
	ds_read_b32 v16, v25 offset:28
	s_and_saveexec_b64 s[38:39], s[16:17]
	s_cbranch_execz .LBB3228_46
; %bb.45:
	s_add_i32 s40, s2, 64
	s_mov_b32 s41, 0
	s_lshl_b64 s[40:41], s[40:41], 3
	s_add_u32 s40, s34, s40
	v_mov_b32_e32 v17, 1
	s_addc_u32 s41, s35, s41
	s_waitcnt lgkmcnt(0)
	global_store_dwordx2 v25, v[16:17], s[40:41] sc1
.LBB3228_46:
	s_or_b64 exec, exec, s[38:39]
	v_xad_u32 v20, v34, -1, s2
	v_add_u32_e32 v24, 64, v20
	v_lshl_add_u64 v[26:27], v[24:25], 3, s[34:35]
	global_load_dwordx2 v[22:23], v[26:27], off sc1
	s_waitcnt vmcnt(0)
	v_cmp_eq_u16_sdwa s[40:41], v23, v25 src0_sel:BYTE_0 src1_sel:DWORD
	s_and_saveexec_b64 s[38:39], s[40:41]
	s_cbranch_execz .LBB3228_50
; %bb.47:
	s_mov_b64 s[40:41], 0
	v_mov_b32_e32 v17, 0
.LBB3228_48:                            ; =>This Inner Loop Header: Depth=1
	global_load_dwordx2 v[22:23], v[26:27], off sc1
	s_waitcnt vmcnt(0)
	v_cmp_ne_u16_sdwa s[42:43], v23, v17 src0_sel:BYTE_0 src1_sel:DWORD
	s_or_b64 s[40:41], s[42:43], s[40:41]
	s_andn2_b64 exec, exec, s[40:41]
	s_cbranch_execnz .LBB3228_48
; %bb.49:
	s_or_b64 exec, exec, s[40:41]
.LBB3228_50:
	s_or_b64 exec, exec, s[38:39]
	v_and_b32_e32 v41, 63, v34
	v_mov_b32_e32 v40, 2
	v_cmp_ne_u32_e32 vcc, 63, v41
	v_cmp_eq_u16_sdwa s[38:39], v23, v40 src0_sel:BYTE_0 src1_sel:DWORD
	v_lshlrev_b64 v[24:25], v34, -1
	v_addc_co_u32_e32 v26, vcc, 0, v34, vcc
	v_and_b32_e32 v17, s39, v25
	v_lshlrev_b32_e32 v42, 2, v26
	v_or_b32_e32 v17, 0x80000000, v17
	ds_bpermute_b32 v26, v42, v22
	v_and_b32_e32 v21, s38, v24
	v_ffbl_b32_e32 v17, v17
	v_add_u32_e32 v17, 32, v17
	v_ffbl_b32_e32 v21, v21
	v_min_u32_e32 v17, v21, v17
	v_cmp_lt_u32_e32 vcc, v41, v17
	v_add_u32_e32 v44, 2, v41
	v_add_u32_e32 v46, 4, v41
	s_waitcnt lgkmcnt(0)
	v_cndmask_b32_e32 v21, 0, v26, vcc
	v_cmp_gt_u32_e32 vcc, 62, v41
	v_add_u32_e32 v21, v21, v22
	v_add_u32_e32 v48, 8, v41
	v_cndmask_b32_e64 v22, 0, 1, vcc
	v_lshlrev_b32_e32 v22, 1, v22
	v_add_lshl_u32 v43, v22, v34, 2
	ds_bpermute_b32 v22, v43, v21
	v_cmp_le_u32_e32 vcc, v44, v17
	v_add_u32_e32 v50, 16, v41
	v_add_u32_e32 v52, 32, v41
	s_waitcnt lgkmcnt(0)
	v_cndmask_b32_e32 v22, 0, v22, vcc
	v_cmp_gt_u32_e32 vcc, 60, v41
	v_add_u32_e32 v21, v21, v22
	s_nop 0
	v_cndmask_b32_e64 v22, 0, 1, vcc
	v_lshlrev_b32_e32 v22, 2, v22
	v_add_lshl_u32 v45, v22, v34, 2
	ds_bpermute_b32 v22, v45, v21
	v_cmp_le_u32_e32 vcc, v46, v17
	s_waitcnt lgkmcnt(0)
	s_nop 0
	v_cndmask_b32_e32 v22, 0, v22, vcc
	v_cmp_gt_u32_e32 vcc, 56, v41
	v_add_u32_e32 v21, v21, v22
	s_nop 0
	v_cndmask_b32_e64 v22, 0, 1, vcc
	v_lshlrev_b32_e32 v22, 3, v22
	v_add_lshl_u32 v47, v22, v34, 2
	ds_bpermute_b32 v22, v47, v21
	v_cmp_le_u32_e32 vcc, v48, v17
	s_waitcnt lgkmcnt(0)
	s_nop 0
	;; [unrolled: 11-line block ×4, first 2 shown]
	v_cndmask_b32_e32 v17, 0, v22, vcc
	v_add_u32_e32 v22, v21, v17
	v_mov_b32_e32 v21, 0
	s_branch .LBB3228_52
.LBB3228_51:                            ;   in Loop: Header=BB3228_52 Depth=1
	s_or_b64 exec, exec, s[38:39]
	v_cmp_eq_u16_sdwa s[38:39], v23, v40 src0_sel:BYTE_0 src1_sel:DWORD
	ds_bpermute_b32 v53, v42, v22
	v_subrev_u32_e32 v20, 64, v20
	v_and_b32_e32 v26, s39, v25
	v_or_b32_e32 v26, 0x80000000, v26
	v_and_b32_e32 v27, s38, v24
	v_ffbl_b32_e32 v26, v26
	v_add_u32_e32 v26, 32, v26
	v_ffbl_b32_e32 v27, v27
	v_min_u32_e32 v26, v27, v26
	v_cmp_lt_u32_e32 vcc, v41, v26
	s_waitcnt lgkmcnt(0)
	s_nop 0
	v_cndmask_b32_e32 v27, 0, v53, vcc
	v_add_u32_e32 v22, v27, v22
	ds_bpermute_b32 v27, v43, v22
	v_cmp_le_u32_e32 vcc, v44, v26
	s_waitcnt lgkmcnt(0)
	s_nop 0
	v_cndmask_b32_e32 v27, 0, v27, vcc
	v_add_u32_e32 v22, v22, v27
	ds_bpermute_b32 v27, v45, v22
	v_cmp_le_u32_e32 vcc, v46, v26
	;; [unrolled: 6-line block ×5, first 2 shown]
	s_waitcnt lgkmcnt(0)
	s_nop 0
	v_cndmask_b32_e32 v26, 0, v27, vcc
	v_add3_u32 v22, v26, v17, v22
.LBB3228_52:                            ; =>This Loop Header: Depth=1
                                        ;     Child Loop BB3228_55 Depth 2
	v_cmp_ne_u16_sdwa s[38:39], v23, v40 src0_sel:BYTE_0 src1_sel:DWORD
	s_nop 1
	v_cndmask_b32_e64 v17, 0, 1, s[38:39]
	;;#ASMSTART
	;;#ASMEND
	s_nop 0
	v_cmp_ne_u32_e32 vcc, 0, v17
	s_cmp_lg_u64 vcc, exec
	v_mov_b32_e32 v17, v22
	s_cbranch_scc1 .LBB3228_57
; %bb.53:                               ;   in Loop: Header=BB3228_52 Depth=1
	v_lshl_add_u64 v[26:27], v[20:21], 3, s[34:35]
	global_load_dwordx2 v[22:23], v[26:27], off sc1
	s_waitcnt vmcnt(0)
	v_cmp_eq_u16_sdwa s[40:41], v23, v21 src0_sel:BYTE_0 src1_sel:DWORD
	s_and_saveexec_b64 s[38:39], s[40:41]
	s_cbranch_execz .LBB3228_51
; %bb.54:                               ;   in Loop: Header=BB3228_52 Depth=1
	s_mov_b64 s[40:41], 0
.LBB3228_55:                            ;   Parent Loop BB3228_52 Depth=1
                                        ; =>  This Inner Loop Header: Depth=2
	global_load_dwordx2 v[22:23], v[26:27], off sc1
	s_waitcnt vmcnt(0)
	v_cmp_ne_u16_sdwa s[42:43], v23, v21 src0_sel:BYTE_0 src1_sel:DWORD
	s_or_b64 s[40:41], s[42:43], s[40:41]
	s_andn2_b64 exec, exec, s[40:41]
	s_cbranch_execnz .LBB3228_55
; %bb.56:                               ;   in Loop: Header=BB3228_52 Depth=1
	s_or_b64 exec, exec, s[40:41]
	s_branch .LBB3228_51
.LBB3228_57:                            ;   in Loop: Header=BB3228_52 Depth=1
                                        ; implicit-def: $vgpr22
                                        ; implicit-def: $vgpr23
	s_cbranch_execz .LBB3228_52
; %bb.58:
	s_and_saveexec_b64 s[38:39], s[16:17]
	s_cbranch_execz .LBB3228_60
; %bb.59:
	s_add_i32 s2, s2, 64
	s_mov_b32 s3, 0
	s_lshl_b64 s[2:3], s[2:3], 3
	s_add_u32 s2, s34, s2
	v_add_u32_e32 v20, v17, v16
	v_mov_b32_e32 v21, 2
	s_addc_u32 s3, s35, s3
	v_mov_b32_e32 v22, 0
	global_store_dwordx2 v22, v[20:21], s[2:3] sc1
	ds_write_b64 v22, v[16:17] offset:28672
.LBB3228_60:
	s_or_b64 exec, exec, s[38:39]
	v_cmp_eq_u32_e32 vcc, 0, v0
	s_and_b64 exec, exec, vcc
	s_cbranch_execz .LBB3228_62
; %bb.61:
	v_mov_b32_e32 v16, 0
	ds_write_b32 v16, v17 offset:28
.LBB3228_62:
	s_or_b64 exec, exec, s[36:37]
	v_mov_b32_e32 v16, 0
	s_waitcnt lgkmcnt(0)
	s_barrier
	ds_read_b32 v17, v16 offset:28
	v_cndmask_b32_e64 v20, v39, v38, s[16:17]
	v_cmp_ne_u32_e32 vcc, 0, v0
	s_waitcnt lgkmcnt(0)
	s_barrier
	v_cndmask_b32_e32 v20, 0, v20, vcc
	v_add_u32_e32 v27, v17, v20
	v_add_u32_e32 v26, v27, v33
	ds_read_b64 v[16:17], v16 offset:28672
	v_add_u32_e32 v25, v26, v32
	v_add_u32_e32 v23, v25, v31
	;; [unrolled: 1-line block ×5, first 2 shown]
	s_waitcnt lgkmcnt(0)
	v_mov_b32_e32 v22, v17
	s_branch .LBB3228_73
.LBB3228_63:
                                        ; implicit-def: $vgpr22
                                        ; implicit-def: $vgpr16
                                        ; implicit-def: $vgpr20
                                        ; implicit-def: $vgpr21
                                        ; implicit-def: $vgpr24
                                        ; implicit-def: $vgpr23
                                        ; implicit-def: $vgpr25
                                        ; implicit-def: $vgpr26
                                        ; implicit-def: $vgpr27
	s_cbranch_execz .LBB3228_73
; %bb.64:
	s_nop 0
	v_mov_b32_dpp v16, v37 row_shr:1 row_mask:0xf bank_mask:0xf
	v_cndmask_b32_e64 v16, v16, 0, s[14:15]
	v_add_u32_e32 v16, v16, v37
	s_nop 1
	v_mov_b32_dpp v17, v16 row_shr:2 row_mask:0xf bank_mask:0xf
	v_cndmask_b32_e64 v17, 0, v17, s[12:13]
	v_add_u32_e32 v16, v16, v17
	;; [unrolled: 4-line block ×4, first 2 shown]
	s_nop 1
	v_mov_b32_dpp v17, v16 row_bcast:15 row_mask:0xf bank_mask:0xf
	v_cndmask_b32_e64 v17, v17, 0, s[6:7]
	v_add_u32_e32 v16, v16, v17
	s_nop 1
	v_mov_b32_dpp v17, v16 row_bcast:31 row_mask:0xf bank_mask:0xf
	v_cndmask_b32_e64 v17, 0, v17, s[18:19]
	v_add_u32_e32 v16, v16, v17
	s_and_saveexec_b64 s[2:3], s[4:5]
	s_cbranch_execz .LBB3228_66
; %bb.65:
	v_lshlrev_b32_e32 v17, 2, v36
	ds_write_b32 v17, v16
.LBB3228_66:
	s_or_b64 exec, exec, s[2:3]
	v_cmp_gt_u32_e32 vcc, 8, v0
	s_waitcnt lgkmcnt(0)
	s_barrier
	s_and_saveexec_b64 s[2:3], vcc
	s_cbranch_execz .LBB3228_68
; %bb.67:
	v_mad_i32_i24 v17, v0, -3, v35
	ds_read_b32 v20, v17
	v_and_b32_e32 v21, 7, v34
	v_cmp_ne_u32_e32 vcc, 0, v21
	s_waitcnt lgkmcnt(0)
	v_mov_b32_dpp v22, v20 row_shr:1 row_mask:0xf bank_mask:0xf
	v_cndmask_b32_e32 v22, 0, v22, vcc
	v_add_u32_e32 v20, v22, v20
	v_cmp_lt_u32_e32 vcc, 1, v21
	s_nop 0
	v_mov_b32_dpp v22, v20 row_shr:2 row_mask:0xf bank_mask:0xf
	v_cndmask_b32_e32 v22, 0, v22, vcc
	v_add_u32_e32 v20, v20, v22
	v_cmp_lt_u32_e32 vcc, 3, v21
	s_nop 0
	v_mov_b32_dpp v22, v20 row_shr:4 row_mask:0xf bank_mask:0xf
	v_cndmask_b32_e32 v21, 0, v22, vcc
	v_add_u32_e32 v20, v20, v21
	ds_write_b32 v17, v20
.LBB3228_68:
	s_or_b64 exec, exec, s[2:3]
	v_cmp_lt_u32_e32 vcc, 63, v0
	v_mov_b32_e32 v17, 0
	v_mov_b32_e32 v20, 0
	s_waitcnt lgkmcnt(0)
	s_barrier
	s_and_saveexec_b64 s[2:3], vcc
	s_cbranch_execz .LBB3228_70
; %bb.69:
	v_lshl_add_u32 v20, v36, 2, -4
	ds_read_b32 v20, v20
.LBB3228_70:
	s_or_b64 exec, exec, s[2:3]
	v_add_u32_e32 v21, -1, v34
	v_and_b32_e32 v22, 64, v34
	v_cmp_lt_i32_e32 vcc, v21, v22
	s_waitcnt lgkmcnt(0)
	v_add_u32_e32 v16, v20, v16
	v_cndmask_b32_e32 v21, v21, v34, vcc
	v_lshlrev_b32_e32 v21, 2, v21
	ds_bpermute_b32 v21, v21, v16
	ds_read_b32 v16, v17 offset:28
	v_cmp_eq_u32_e32 vcc, 0, v0
	s_and_saveexec_b64 s[2:3], vcc
	s_cbranch_execz .LBB3228_72
; %bb.71:
	v_mov_b32_e32 v22, 0
	v_mov_b32_e32 v17, 2
	s_waitcnt lgkmcnt(0)
	global_store_dwordx2 v22, v[16:17], s[34:35] offset:512 sc1
.LBB3228_72:
	s_or_b64 exec, exec, s[2:3]
	v_cmp_eq_u32_e64 s[2:3], 0, v34
	v_mov_b32_e32 v22, 0
	s_waitcnt lgkmcnt(0)
	v_cndmask_b32_e64 v17, v21, v20, s[2:3]
	v_cndmask_b32_e64 v27, v17, 0, vcc
	v_add_u32_e32 v26, v27, v33
	v_add_u32_e32 v25, v26, v32
	;; [unrolled: 1-line block ×6, first 2 shown]
	s_barrier
.LBB3228_73:
	v_add_u32_e32 v1, v16, v1
	v_sub_u32_e32 v17, v27, v22
	v_sub_u32_e32 v27, v1, v17
	v_cmp_eq_u32_e32 vcc, 1, v33
	s_load_dwordx2 s[0:1], s[0:1], 0x40
	s_nop 0
	v_cndmask_b32_e32 v17, v27, v17, vcc
	v_lshlrev_b32_e32 v17, 3, v17
	ds_write_b64 v17, v[10:11]
	v_sub_u32_e32 v10, v26, v22
	v_sub_u32_e32 v11, v1, v10
	v_add_u32_e32 v11, 1, v11
	v_cmp_eq_u32_e32 vcc, 1, v32
	v_or_b32_e32 v27, 0x200, v0
	v_or_b32_e32 v26, 0x400, v0
	v_cndmask_b32_e32 v10, v11, v10, vcc
	v_lshlrev_b32_e32 v10, 3, v10
	ds_write_b64 v10, v[12:13]
	v_sub_u32_e32 v10, v25, v22
	v_sub_u32_e32 v11, v1, v10
	v_add_u32_e32 v11, 2, v11
	v_cmp_eq_u32_e32 vcc, 1, v31
	v_or_b32_e32 v25, 0x600, v0
	s_nop 0
	v_cndmask_b32_e32 v10, v11, v10, vcc
	v_lshlrev_b32_e32 v10, 3, v10
	ds_write_b64 v10, v[6:7]
	v_sub_u32_e32 v6, v23, v22
	v_sub_u32_e32 v7, v1, v6
	v_add_u32_e32 v7, 3, v7
	v_cmp_eq_u32_e32 vcc, 1, v30
	v_mov_b32_e32 v23, 0
	v_mov_b32_e32 v17, v23
	v_cndmask_b32_e32 v6, v7, v6, vcc
	v_lshlrev_b32_e32 v6, 3, v6
	ds_write_b64 v6, v[8:9]
	v_sub_u32_e32 v6, v24, v22
	v_sub_u32_e32 v7, v1, v6
	v_add_u32_e32 v7, 4, v7
	v_cmp_eq_u32_e32 vcc, 1, v29
	v_or_b32_e32 v24, 0x800, v0
	s_nop 0
	v_cndmask_b32_e32 v6, v7, v6, vcc
	v_lshlrev_b32_e32 v6, 3, v6
	ds_write_b64 v6, v[2:3]
	v_sub_u32_e32 v2, v21, v22
	v_sub_u32_e32 v3, v1, v2
	v_add_u32_e32 v3, 5, v3
	v_cmp_eq_u32_e32 vcc, 1, v28
	s_nop 1
	v_cndmask_b32_e32 v2, v3, v2, vcc
	v_lshlrev_b32_e32 v2, 3, v2
	ds_write_b64 v2, v[4:5]
	v_sub_u32_e32 v2, v20, v22
	v_sub_u32_e32 v1, v1, v2
	v_add_u32_e32 v1, 6, v1
	v_cmp_eq_u32_e32 vcc, 1, v19
	v_or_b32_e32 v19, 0xa00, v0
	s_nop 0
	v_cndmask_b32_e32 v1, v1, v2, vcc
	v_lshlrev_b32_e32 v1, 3, v1
	ds_write_b64 v1, v[14:15]
	v_lshl_add_u64 v[14:15], s[24:25], 0, v[16:17]
	v_lshl_add_u64 v[14:15], v[14:15], 0, v[22:23]
	s_waitcnt lgkmcnt(0)
	s_barrier
	ds_read2st64_b64 v[10:13], v18 offset1:8
	ds_read2st64_b64 v[6:9], v18 offset0:16 offset1:24
	ds_read2st64_b64 v[2:5], v18 offset0:32 offset1:40
	ds_read_b64 v[20:21], v18 offset:24576
	v_mov_b32_e32 v17, s27
	v_sub_co_u32_e32 v22, vcc, s26, v14
	v_or_b32_e32 v1, 0xc00, v0
	s_nop 0
	v_subb_co_u32_e32 v23, vcc, v17, v15, vcc
	v_lshlrev_b64 v[22:23], 3, v[22:23]
	v_lshl_add_u64 v[22:23], s[0:1], 0, v[22:23]
	v_lshl_add_u64 v[22:23], v[22:23], 0, s[30:31]
	s_andn2_b64 vcc, exec, s[28:29]
	v_cmp_ge_u32_e64 s[0:1], v0, v16
	s_cbranch_vccnz .LBB3228_82
; %bb.74:
	s_and_saveexec_b64 s[2:3], s[0:1]
	s_cbranch_execnz .LBB3228_101
; %bb.75:
	s_or_b64 exec, exec, s[2:3]
	v_cmp_ge_u32_e32 vcc, v27, v16
	s_and_saveexec_b64 s[0:1], vcc
	s_cbranch_execnz .LBB3228_102
.LBB3228_76:
	s_or_b64 exec, exec, s[0:1]
	v_cmp_ge_u32_e32 vcc, v26, v16
	s_and_saveexec_b64 s[0:1], vcc
	s_cbranch_execnz .LBB3228_103
.LBB3228_77:
	s_or_b64 exec, exec, s[0:1]
	v_cmp_ge_u32_e32 vcc, v25, v16
	s_and_saveexec_b64 s[0:1], vcc
	s_cbranch_execnz .LBB3228_104
.LBB3228_78:
	s_or_b64 exec, exec, s[0:1]
	v_cmp_ge_u32_e32 vcc, v24, v16
	s_and_saveexec_b64 s[0:1], vcc
	s_cbranch_execnz .LBB3228_105
.LBB3228_79:
	s_or_b64 exec, exec, s[0:1]
	v_cmp_ge_u32_e32 vcc, v19, v16
	s_and_saveexec_b64 s[0:1], vcc
	s_cbranch_execz .LBB3228_81
.LBB3228_80:
	v_lshlrev_b32_e32 v17, 3, v19
	v_readfirstlane_b32 s2, v22
	v_readfirstlane_b32 s3, v23
	s_waitcnt lgkmcnt(1)
	s_nop 3
	global_store_dwordx2 v17, v[4:5], s[2:3]
.LBB3228_81:
	s_or_b64 exec, exec, s[0:1]
	v_cmp_ge_u32_e64 s[0:1], v1, v16
	s_branch .LBB3228_96
.LBB3228_82:
	s_mov_b64 s[0:1], 0
	s_cbranch_execz .LBB3228_96
; %bb.83:
	v_cmp_gt_u32_e32 vcc, s33, v0
	v_cmp_ge_u32_e64 s[0:1], v0, v16
	s_and_b64 s[2:3], vcc, s[0:1]
	s_and_saveexec_b64 s[0:1], s[2:3]
	s_cbranch_execz .LBB3228_85
; %bb.84:
	v_readfirstlane_b32 s2, v22
	v_readfirstlane_b32 s3, v23
	s_waitcnt lgkmcnt(3)
	s_nop 3
	global_store_dwordx2 v18, v[10:11], s[2:3]
.LBB3228_85:
	s_or_b64 exec, exec, s[0:1]
	v_cmp_gt_u32_e32 vcc, s33, v27
	v_cmp_ge_u32_e64 s[0:1], v27, v16
	s_and_b64 s[2:3], vcc, s[0:1]
	s_and_saveexec_b64 s[0:1], s[2:3]
	s_cbranch_execz .LBB3228_87
; %bb.86:
	s_waitcnt lgkmcnt(3)
	v_lshlrev_b32_e32 v10, 3, v27
	v_readfirstlane_b32 s2, v22
	v_readfirstlane_b32 s3, v23
	s_nop 4
	global_store_dwordx2 v10, v[12:13], s[2:3]
.LBB3228_87:
	s_or_b64 exec, exec, s[0:1]
	v_cmp_gt_u32_e32 vcc, s33, v26
	v_cmp_ge_u32_e64 s[0:1], v26, v16
	s_and_b64 s[2:3], vcc, s[0:1]
	s_and_saveexec_b64 s[0:1], s[2:3]
	s_cbranch_execz .LBB3228_89
; %bb.88:
	s_waitcnt lgkmcnt(3)
	v_lshlrev_b32_e32 v10, 3, v26
	v_readfirstlane_b32 s2, v22
	v_readfirstlane_b32 s3, v23
	s_waitcnt lgkmcnt(2)
	s_nop 3
	global_store_dwordx2 v10, v[6:7], s[2:3]
.LBB3228_89:
	s_or_b64 exec, exec, s[0:1]
	v_cmp_gt_u32_e32 vcc, s33, v25
	v_cmp_ge_u32_e64 s[0:1], v25, v16
	s_and_b64 s[2:3], vcc, s[0:1]
	s_and_saveexec_b64 s[0:1], s[2:3]
	s_cbranch_execz .LBB3228_91
; %bb.90:
	s_waitcnt lgkmcnt(2)
	v_lshlrev_b32_e32 v6, 3, v25
	v_readfirstlane_b32 s2, v22
	v_readfirstlane_b32 s3, v23
	s_nop 4
	global_store_dwordx2 v6, v[8:9], s[2:3]
.LBB3228_91:
	s_or_b64 exec, exec, s[0:1]
	v_cmp_gt_u32_e32 vcc, s33, v24
	v_cmp_ge_u32_e64 s[0:1], v24, v16
	s_and_b64 s[2:3], vcc, s[0:1]
	s_and_saveexec_b64 s[0:1], s[2:3]
	s_cbranch_execz .LBB3228_93
; %bb.92:
	s_waitcnt lgkmcnt(2)
	v_lshlrev_b32_e32 v6, 3, v24
	v_readfirstlane_b32 s2, v22
	v_readfirstlane_b32 s3, v23
	s_waitcnt lgkmcnt(1)
	s_nop 3
	global_store_dwordx2 v6, v[2:3], s[2:3]
.LBB3228_93:
	s_or_b64 exec, exec, s[0:1]
	v_cmp_gt_u32_e32 vcc, s33, v19
	v_cmp_ge_u32_e64 s[0:1], v19, v16
	s_and_b64 s[2:3], vcc, s[0:1]
	s_and_saveexec_b64 s[0:1], s[2:3]
	s_cbranch_execz .LBB3228_95
; %bb.94:
	s_waitcnt lgkmcnt(1)
	v_lshlrev_b32_e32 v2, 3, v19
	v_readfirstlane_b32 s2, v22
	v_readfirstlane_b32 s3, v23
	s_nop 4
	global_store_dwordx2 v2, v[4:5], s[2:3]
.LBB3228_95:
	s_or_b64 exec, exec, s[0:1]
	v_cmp_gt_u32_e32 vcc, s33, v1
	v_cmp_ge_u32_e64 s[0:1], v1, v16
	s_and_b64 s[0:1], vcc, s[0:1]
.LBB3228_96:
	s_and_saveexec_b64 s[2:3], s[0:1]
	s_cbranch_execz .LBB3228_98
; %bb.97:
	v_lshlrev_b32_e32 v1, 3, v1
	v_readfirstlane_b32 s0, v22
	v_readfirstlane_b32 s1, v23
	s_waitcnt lgkmcnt(0)
	s_nop 3
	global_store_dwordx2 v1, v[20:21], s[0:1]
.LBB3228_98:
	s_or_b64 exec, exec, s[2:3]
	v_cmp_eq_u32_e32 vcc, 0, v0
	s_and_b64 s[0:1], vcc, s[22:23]
	s_and_saveexec_b64 s[2:3], s[0:1]
	s_cbranch_execz .LBB3228_100
; %bb.99:
	v_mov_b32_e32 v0, 0
	global_store_dwordx2 v0, v[14:15], s[20:21]
.LBB3228_100:
	s_endpgm
.LBB3228_101:
	v_readfirstlane_b32 s0, v22
	v_readfirstlane_b32 s1, v23
	s_waitcnt lgkmcnt(3)
	s_nop 3
	global_store_dwordx2 v18, v[10:11], s[0:1]
	s_or_b64 exec, exec, s[2:3]
	v_cmp_ge_u32_e32 vcc, v27, v16
	s_and_saveexec_b64 s[0:1], vcc
	s_cbranch_execz .LBB3228_76
.LBB3228_102:
	v_lshlrev_b32_e32 v17, 3, v27
	v_readfirstlane_b32 s2, v22
	v_readfirstlane_b32 s3, v23
	s_waitcnt lgkmcnt(3)
	s_nop 3
	global_store_dwordx2 v17, v[12:13], s[2:3]
	s_or_b64 exec, exec, s[0:1]
	v_cmp_ge_u32_e32 vcc, v26, v16
	s_and_saveexec_b64 s[0:1], vcc
	s_cbranch_execz .LBB3228_77
.LBB3228_103:
	v_lshlrev_b32_e32 v17, 3, v26
	v_readfirstlane_b32 s2, v22
	v_readfirstlane_b32 s3, v23
	s_waitcnt lgkmcnt(2)
	s_nop 3
	global_store_dwordx2 v17, v[6:7], s[2:3]
	s_or_b64 exec, exec, s[0:1]
	v_cmp_ge_u32_e32 vcc, v25, v16
	s_and_saveexec_b64 s[0:1], vcc
	s_cbranch_execz .LBB3228_78
.LBB3228_104:
	v_lshlrev_b32_e32 v17, 3, v25
	v_readfirstlane_b32 s2, v22
	v_readfirstlane_b32 s3, v23
	s_waitcnt lgkmcnt(2)
	s_nop 3
	global_store_dwordx2 v17, v[8:9], s[2:3]
	s_or_b64 exec, exec, s[0:1]
	v_cmp_ge_u32_e32 vcc, v24, v16
	s_and_saveexec_b64 s[0:1], vcc
	s_cbranch_execz .LBB3228_79
.LBB3228_105:
	v_lshlrev_b32_e32 v17, 3, v24
	v_readfirstlane_b32 s2, v22
	v_readfirstlane_b32 s3, v23
	s_waitcnt lgkmcnt(1)
	s_nop 3
	global_store_dwordx2 v17, v[2:3], s[2:3]
	s_or_b64 exec, exec, s[0:1]
	v_cmp_ge_u32_e32 vcc, v19, v16
	s_and_saveexec_b64 s[0:1], vcc
	s_cbranch_execnz .LBB3228_80
	s_branch .LBB3228_81
	.section	.rodata,"a",@progbits
	.p2align	6, 0x0
	.amdhsa_kernel _ZN7rocprim17ROCPRIM_400000_NS6detail17trampoline_kernelINS0_14default_configENS1_25partition_config_selectorILNS1_17partition_subalgoE1ExNS0_10empty_typeEbEEZZNS1_14partition_implILS5_1ELb0ES3_jN6thrust23THRUST_200600_302600_NS6detail15normal_iteratorINSA_10device_ptrIxEEEEPS6_NSA_18transform_iteratorI7is_evenIxESF_NSA_11use_defaultESK_EENS0_5tupleIJNSA_16discard_iteratorISK_EESF_EEENSM_IJSG_SG_EEES6_PlJS6_EEE10hipError_tPvRmT3_T4_T5_T6_T7_T9_mT8_P12ihipStream_tbDpT10_ENKUlT_T0_E_clISt17integral_constantIbLb0EES1B_EEDaS16_S17_EUlS16_E_NS1_11comp_targetILNS1_3genE5ELNS1_11target_archE942ELNS1_3gpuE9ELNS1_3repE0EEENS1_30default_config_static_selectorELNS0_4arch9wavefront6targetE1EEEvT1_
		.amdhsa_group_segment_fixed_size 28680
		.amdhsa_private_segment_fixed_size 0
		.amdhsa_kernarg_size 136
		.amdhsa_user_sgpr_count 2
		.amdhsa_user_sgpr_dispatch_ptr 0
		.amdhsa_user_sgpr_queue_ptr 0
		.amdhsa_user_sgpr_kernarg_segment_ptr 1
		.amdhsa_user_sgpr_dispatch_id 0
		.amdhsa_user_sgpr_kernarg_preload_length 0
		.amdhsa_user_sgpr_kernarg_preload_offset 0
		.amdhsa_user_sgpr_private_segment_size 0
		.amdhsa_uses_dynamic_stack 0
		.amdhsa_enable_private_segment 0
		.amdhsa_system_sgpr_workgroup_id_x 1
		.amdhsa_system_sgpr_workgroup_id_y 0
		.amdhsa_system_sgpr_workgroup_id_z 0
		.amdhsa_system_sgpr_workgroup_info 0
		.amdhsa_system_vgpr_workitem_id 0
		.amdhsa_next_free_vgpr 54
		.amdhsa_next_free_sgpr 44
		.amdhsa_accum_offset 56
		.amdhsa_reserve_vcc 1
		.amdhsa_float_round_mode_32 0
		.amdhsa_float_round_mode_16_64 0
		.amdhsa_float_denorm_mode_32 3
		.amdhsa_float_denorm_mode_16_64 3
		.amdhsa_dx10_clamp 1
		.amdhsa_ieee_mode 1
		.amdhsa_fp16_overflow 0
		.amdhsa_tg_split 0
		.amdhsa_exception_fp_ieee_invalid_op 0
		.amdhsa_exception_fp_denorm_src 0
		.amdhsa_exception_fp_ieee_div_zero 0
		.amdhsa_exception_fp_ieee_overflow 0
		.amdhsa_exception_fp_ieee_underflow 0
		.amdhsa_exception_fp_ieee_inexact 0
		.amdhsa_exception_int_div_zero 0
	.end_amdhsa_kernel
	.section	.text._ZN7rocprim17ROCPRIM_400000_NS6detail17trampoline_kernelINS0_14default_configENS1_25partition_config_selectorILNS1_17partition_subalgoE1ExNS0_10empty_typeEbEEZZNS1_14partition_implILS5_1ELb0ES3_jN6thrust23THRUST_200600_302600_NS6detail15normal_iteratorINSA_10device_ptrIxEEEEPS6_NSA_18transform_iteratorI7is_evenIxESF_NSA_11use_defaultESK_EENS0_5tupleIJNSA_16discard_iteratorISK_EESF_EEENSM_IJSG_SG_EEES6_PlJS6_EEE10hipError_tPvRmT3_T4_T5_T6_T7_T9_mT8_P12ihipStream_tbDpT10_ENKUlT_T0_E_clISt17integral_constantIbLb0EES1B_EEDaS16_S17_EUlS16_E_NS1_11comp_targetILNS1_3genE5ELNS1_11target_archE942ELNS1_3gpuE9ELNS1_3repE0EEENS1_30default_config_static_selectorELNS0_4arch9wavefront6targetE1EEEvT1_,"axG",@progbits,_ZN7rocprim17ROCPRIM_400000_NS6detail17trampoline_kernelINS0_14default_configENS1_25partition_config_selectorILNS1_17partition_subalgoE1ExNS0_10empty_typeEbEEZZNS1_14partition_implILS5_1ELb0ES3_jN6thrust23THRUST_200600_302600_NS6detail15normal_iteratorINSA_10device_ptrIxEEEEPS6_NSA_18transform_iteratorI7is_evenIxESF_NSA_11use_defaultESK_EENS0_5tupleIJNSA_16discard_iteratorISK_EESF_EEENSM_IJSG_SG_EEES6_PlJS6_EEE10hipError_tPvRmT3_T4_T5_T6_T7_T9_mT8_P12ihipStream_tbDpT10_ENKUlT_T0_E_clISt17integral_constantIbLb0EES1B_EEDaS16_S17_EUlS16_E_NS1_11comp_targetILNS1_3genE5ELNS1_11target_archE942ELNS1_3gpuE9ELNS1_3repE0EEENS1_30default_config_static_selectorELNS0_4arch9wavefront6targetE1EEEvT1_,comdat
.Lfunc_end3228:
	.size	_ZN7rocprim17ROCPRIM_400000_NS6detail17trampoline_kernelINS0_14default_configENS1_25partition_config_selectorILNS1_17partition_subalgoE1ExNS0_10empty_typeEbEEZZNS1_14partition_implILS5_1ELb0ES3_jN6thrust23THRUST_200600_302600_NS6detail15normal_iteratorINSA_10device_ptrIxEEEEPS6_NSA_18transform_iteratorI7is_evenIxESF_NSA_11use_defaultESK_EENS0_5tupleIJNSA_16discard_iteratorISK_EESF_EEENSM_IJSG_SG_EEES6_PlJS6_EEE10hipError_tPvRmT3_T4_T5_T6_T7_T9_mT8_P12ihipStream_tbDpT10_ENKUlT_T0_E_clISt17integral_constantIbLb0EES1B_EEDaS16_S17_EUlS16_E_NS1_11comp_targetILNS1_3genE5ELNS1_11target_archE942ELNS1_3gpuE9ELNS1_3repE0EEENS1_30default_config_static_selectorELNS0_4arch9wavefront6targetE1EEEvT1_, .Lfunc_end3228-_ZN7rocprim17ROCPRIM_400000_NS6detail17trampoline_kernelINS0_14default_configENS1_25partition_config_selectorILNS1_17partition_subalgoE1ExNS0_10empty_typeEbEEZZNS1_14partition_implILS5_1ELb0ES3_jN6thrust23THRUST_200600_302600_NS6detail15normal_iteratorINSA_10device_ptrIxEEEEPS6_NSA_18transform_iteratorI7is_evenIxESF_NSA_11use_defaultESK_EENS0_5tupleIJNSA_16discard_iteratorISK_EESF_EEENSM_IJSG_SG_EEES6_PlJS6_EEE10hipError_tPvRmT3_T4_T5_T6_T7_T9_mT8_P12ihipStream_tbDpT10_ENKUlT_T0_E_clISt17integral_constantIbLb0EES1B_EEDaS16_S17_EUlS16_E_NS1_11comp_targetILNS1_3genE5ELNS1_11target_archE942ELNS1_3gpuE9ELNS1_3repE0EEENS1_30default_config_static_selectorELNS0_4arch9wavefront6targetE1EEEvT1_
                                        ; -- End function
	.section	.AMDGPU.csdata,"",@progbits
; Kernel info:
; codeLenInByte = 4984
; NumSgprs: 50
; NumVgprs: 54
; NumAgprs: 0
; TotalNumVgprs: 54
; ScratchSize: 0
; MemoryBound: 0
; FloatMode: 240
; IeeeMode: 1
; LDSByteSize: 28680 bytes/workgroup (compile time only)
; SGPRBlocks: 6
; VGPRBlocks: 6
; NumSGPRsForWavesPerEU: 50
; NumVGPRsForWavesPerEU: 54
; AccumOffset: 56
; Occupancy: 4
; WaveLimiterHint : 1
; COMPUTE_PGM_RSRC2:SCRATCH_EN: 0
; COMPUTE_PGM_RSRC2:USER_SGPR: 2
; COMPUTE_PGM_RSRC2:TRAP_HANDLER: 0
; COMPUTE_PGM_RSRC2:TGID_X_EN: 1
; COMPUTE_PGM_RSRC2:TGID_Y_EN: 0
; COMPUTE_PGM_RSRC2:TGID_Z_EN: 0
; COMPUTE_PGM_RSRC2:TIDIG_COMP_CNT: 0
; COMPUTE_PGM_RSRC3_GFX90A:ACCUM_OFFSET: 13
; COMPUTE_PGM_RSRC3_GFX90A:TG_SPLIT: 0
	.section	.text._ZN7rocprim17ROCPRIM_400000_NS6detail17trampoline_kernelINS0_14default_configENS1_25partition_config_selectorILNS1_17partition_subalgoE1ExNS0_10empty_typeEbEEZZNS1_14partition_implILS5_1ELb0ES3_jN6thrust23THRUST_200600_302600_NS6detail15normal_iteratorINSA_10device_ptrIxEEEEPS6_NSA_18transform_iteratorI7is_evenIxESF_NSA_11use_defaultESK_EENS0_5tupleIJNSA_16discard_iteratorISK_EESF_EEENSM_IJSG_SG_EEES6_PlJS6_EEE10hipError_tPvRmT3_T4_T5_T6_T7_T9_mT8_P12ihipStream_tbDpT10_ENKUlT_T0_E_clISt17integral_constantIbLb0EES1B_EEDaS16_S17_EUlS16_E_NS1_11comp_targetILNS1_3genE4ELNS1_11target_archE910ELNS1_3gpuE8ELNS1_3repE0EEENS1_30default_config_static_selectorELNS0_4arch9wavefront6targetE1EEEvT1_,"axG",@progbits,_ZN7rocprim17ROCPRIM_400000_NS6detail17trampoline_kernelINS0_14default_configENS1_25partition_config_selectorILNS1_17partition_subalgoE1ExNS0_10empty_typeEbEEZZNS1_14partition_implILS5_1ELb0ES3_jN6thrust23THRUST_200600_302600_NS6detail15normal_iteratorINSA_10device_ptrIxEEEEPS6_NSA_18transform_iteratorI7is_evenIxESF_NSA_11use_defaultESK_EENS0_5tupleIJNSA_16discard_iteratorISK_EESF_EEENSM_IJSG_SG_EEES6_PlJS6_EEE10hipError_tPvRmT3_T4_T5_T6_T7_T9_mT8_P12ihipStream_tbDpT10_ENKUlT_T0_E_clISt17integral_constantIbLb0EES1B_EEDaS16_S17_EUlS16_E_NS1_11comp_targetILNS1_3genE4ELNS1_11target_archE910ELNS1_3gpuE8ELNS1_3repE0EEENS1_30default_config_static_selectorELNS0_4arch9wavefront6targetE1EEEvT1_,comdat
	.protected	_ZN7rocprim17ROCPRIM_400000_NS6detail17trampoline_kernelINS0_14default_configENS1_25partition_config_selectorILNS1_17partition_subalgoE1ExNS0_10empty_typeEbEEZZNS1_14partition_implILS5_1ELb0ES3_jN6thrust23THRUST_200600_302600_NS6detail15normal_iteratorINSA_10device_ptrIxEEEEPS6_NSA_18transform_iteratorI7is_evenIxESF_NSA_11use_defaultESK_EENS0_5tupleIJNSA_16discard_iteratorISK_EESF_EEENSM_IJSG_SG_EEES6_PlJS6_EEE10hipError_tPvRmT3_T4_T5_T6_T7_T9_mT8_P12ihipStream_tbDpT10_ENKUlT_T0_E_clISt17integral_constantIbLb0EES1B_EEDaS16_S17_EUlS16_E_NS1_11comp_targetILNS1_3genE4ELNS1_11target_archE910ELNS1_3gpuE8ELNS1_3repE0EEENS1_30default_config_static_selectorELNS0_4arch9wavefront6targetE1EEEvT1_ ; -- Begin function _ZN7rocprim17ROCPRIM_400000_NS6detail17trampoline_kernelINS0_14default_configENS1_25partition_config_selectorILNS1_17partition_subalgoE1ExNS0_10empty_typeEbEEZZNS1_14partition_implILS5_1ELb0ES3_jN6thrust23THRUST_200600_302600_NS6detail15normal_iteratorINSA_10device_ptrIxEEEEPS6_NSA_18transform_iteratorI7is_evenIxESF_NSA_11use_defaultESK_EENS0_5tupleIJNSA_16discard_iteratorISK_EESF_EEENSM_IJSG_SG_EEES6_PlJS6_EEE10hipError_tPvRmT3_T4_T5_T6_T7_T9_mT8_P12ihipStream_tbDpT10_ENKUlT_T0_E_clISt17integral_constantIbLb0EES1B_EEDaS16_S17_EUlS16_E_NS1_11comp_targetILNS1_3genE4ELNS1_11target_archE910ELNS1_3gpuE8ELNS1_3repE0EEENS1_30default_config_static_selectorELNS0_4arch9wavefront6targetE1EEEvT1_
	.globl	_ZN7rocprim17ROCPRIM_400000_NS6detail17trampoline_kernelINS0_14default_configENS1_25partition_config_selectorILNS1_17partition_subalgoE1ExNS0_10empty_typeEbEEZZNS1_14partition_implILS5_1ELb0ES3_jN6thrust23THRUST_200600_302600_NS6detail15normal_iteratorINSA_10device_ptrIxEEEEPS6_NSA_18transform_iteratorI7is_evenIxESF_NSA_11use_defaultESK_EENS0_5tupleIJNSA_16discard_iteratorISK_EESF_EEENSM_IJSG_SG_EEES6_PlJS6_EEE10hipError_tPvRmT3_T4_T5_T6_T7_T9_mT8_P12ihipStream_tbDpT10_ENKUlT_T0_E_clISt17integral_constantIbLb0EES1B_EEDaS16_S17_EUlS16_E_NS1_11comp_targetILNS1_3genE4ELNS1_11target_archE910ELNS1_3gpuE8ELNS1_3repE0EEENS1_30default_config_static_selectorELNS0_4arch9wavefront6targetE1EEEvT1_
	.p2align	8
	.type	_ZN7rocprim17ROCPRIM_400000_NS6detail17trampoline_kernelINS0_14default_configENS1_25partition_config_selectorILNS1_17partition_subalgoE1ExNS0_10empty_typeEbEEZZNS1_14partition_implILS5_1ELb0ES3_jN6thrust23THRUST_200600_302600_NS6detail15normal_iteratorINSA_10device_ptrIxEEEEPS6_NSA_18transform_iteratorI7is_evenIxESF_NSA_11use_defaultESK_EENS0_5tupleIJNSA_16discard_iteratorISK_EESF_EEENSM_IJSG_SG_EEES6_PlJS6_EEE10hipError_tPvRmT3_T4_T5_T6_T7_T9_mT8_P12ihipStream_tbDpT10_ENKUlT_T0_E_clISt17integral_constantIbLb0EES1B_EEDaS16_S17_EUlS16_E_NS1_11comp_targetILNS1_3genE4ELNS1_11target_archE910ELNS1_3gpuE8ELNS1_3repE0EEENS1_30default_config_static_selectorELNS0_4arch9wavefront6targetE1EEEvT1_,@function
_ZN7rocprim17ROCPRIM_400000_NS6detail17trampoline_kernelINS0_14default_configENS1_25partition_config_selectorILNS1_17partition_subalgoE1ExNS0_10empty_typeEbEEZZNS1_14partition_implILS5_1ELb0ES3_jN6thrust23THRUST_200600_302600_NS6detail15normal_iteratorINSA_10device_ptrIxEEEEPS6_NSA_18transform_iteratorI7is_evenIxESF_NSA_11use_defaultESK_EENS0_5tupleIJNSA_16discard_iteratorISK_EESF_EEENSM_IJSG_SG_EEES6_PlJS6_EEE10hipError_tPvRmT3_T4_T5_T6_T7_T9_mT8_P12ihipStream_tbDpT10_ENKUlT_T0_E_clISt17integral_constantIbLb0EES1B_EEDaS16_S17_EUlS16_E_NS1_11comp_targetILNS1_3genE4ELNS1_11target_archE910ELNS1_3gpuE8ELNS1_3repE0EEENS1_30default_config_static_selectorELNS0_4arch9wavefront6targetE1EEEvT1_: ; @_ZN7rocprim17ROCPRIM_400000_NS6detail17trampoline_kernelINS0_14default_configENS1_25partition_config_selectorILNS1_17partition_subalgoE1ExNS0_10empty_typeEbEEZZNS1_14partition_implILS5_1ELb0ES3_jN6thrust23THRUST_200600_302600_NS6detail15normal_iteratorINSA_10device_ptrIxEEEEPS6_NSA_18transform_iteratorI7is_evenIxESF_NSA_11use_defaultESK_EENS0_5tupleIJNSA_16discard_iteratorISK_EESF_EEENSM_IJSG_SG_EEES6_PlJS6_EEE10hipError_tPvRmT3_T4_T5_T6_T7_T9_mT8_P12ihipStream_tbDpT10_ENKUlT_T0_E_clISt17integral_constantIbLb0EES1B_EEDaS16_S17_EUlS16_E_NS1_11comp_targetILNS1_3genE4ELNS1_11target_archE910ELNS1_3gpuE8ELNS1_3repE0EEENS1_30default_config_static_selectorELNS0_4arch9wavefront6targetE1EEEvT1_
; %bb.0:
	.section	.rodata,"a",@progbits
	.p2align	6, 0x0
	.amdhsa_kernel _ZN7rocprim17ROCPRIM_400000_NS6detail17trampoline_kernelINS0_14default_configENS1_25partition_config_selectorILNS1_17partition_subalgoE1ExNS0_10empty_typeEbEEZZNS1_14partition_implILS5_1ELb0ES3_jN6thrust23THRUST_200600_302600_NS6detail15normal_iteratorINSA_10device_ptrIxEEEEPS6_NSA_18transform_iteratorI7is_evenIxESF_NSA_11use_defaultESK_EENS0_5tupleIJNSA_16discard_iteratorISK_EESF_EEENSM_IJSG_SG_EEES6_PlJS6_EEE10hipError_tPvRmT3_T4_T5_T6_T7_T9_mT8_P12ihipStream_tbDpT10_ENKUlT_T0_E_clISt17integral_constantIbLb0EES1B_EEDaS16_S17_EUlS16_E_NS1_11comp_targetILNS1_3genE4ELNS1_11target_archE910ELNS1_3gpuE8ELNS1_3repE0EEENS1_30default_config_static_selectorELNS0_4arch9wavefront6targetE1EEEvT1_
		.amdhsa_group_segment_fixed_size 0
		.amdhsa_private_segment_fixed_size 0
		.amdhsa_kernarg_size 136
		.amdhsa_user_sgpr_count 2
		.amdhsa_user_sgpr_dispatch_ptr 0
		.amdhsa_user_sgpr_queue_ptr 0
		.amdhsa_user_sgpr_kernarg_segment_ptr 1
		.amdhsa_user_sgpr_dispatch_id 0
		.amdhsa_user_sgpr_kernarg_preload_length 0
		.amdhsa_user_sgpr_kernarg_preload_offset 0
		.amdhsa_user_sgpr_private_segment_size 0
		.amdhsa_uses_dynamic_stack 0
		.amdhsa_enable_private_segment 0
		.amdhsa_system_sgpr_workgroup_id_x 1
		.amdhsa_system_sgpr_workgroup_id_y 0
		.amdhsa_system_sgpr_workgroup_id_z 0
		.amdhsa_system_sgpr_workgroup_info 0
		.amdhsa_system_vgpr_workitem_id 0
		.amdhsa_next_free_vgpr 1
		.amdhsa_next_free_sgpr 0
		.amdhsa_accum_offset 4
		.amdhsa_reserve_vcc 0
		.amdhsa_float_round_mode_32 0
		.amdhsa_float_round_mode_16_64 0
		.amdhsa_float_denorm_mode_32 3
		.amdhsa_float_denorm_mode_16_64 3
		.amdhsa_dx10_clamp 1
		.amdhsa_ieee_mode 1
		.amdhsa_fp16_overflow 0
		.amdhsa_tg_split 0
		.amdhsa_exception_fp_ieee_invalid_op 0
		.amdhsa_exception_fp_denorm_src 0
		.amdhsa_exception_fp_ieee_div_zero 0
		.amdhsa_exception_fp_ieee_overflow 0
		.amdhsa_exception_fp_ieee_underflow 0
		.amdhsa_exception_fp_ieee_inexact 0
		.amdhsa_exception_int_div_zero 0
	.end_amdhsa_kernel
	.section	.text._ZN7rocprim17ROCPRIM_400000_NS6detail17trampoline_kernelINS0_14default_configENS1_25partition_config_selectorILNS1_17partition_subalgoE1ExNS0_10empty_typeEbEEZZNS1_14partition_implILS5_1ELb0ES3_jN6thrust23THRUST_200600_302600_NS6detail15normal_iteratorINSA_10device_ptrIxEEEEPS6_NSA_18transform_iteratorI7is_evenIxESF_NSA_11use_defaultESK_EENS0_5tupleIJNSA_16discard_iteratorISK_EESF_EEENSM_IJSG_SG_EEES6_PlJS6_EEE10hipError_tPvRmT3_T4_T5_T6_T7_T9_mT8_P12ihipStream_tbDpT10_ENKUlT_T0_E_clISt17integral_constantIbLb0EES1B_EEDaS16_S17_EUlS16_E_NS1_11comp_targetILNS1_3genE4ELNS1_11target_archE910ELNS1_3gpuE8ELNS1_3repE0EEENS1_30default_config_static_selectorELNS0_4arch9wavefront6targetE1EEEvT1_,"axG",@progbits,_ZN7rocprim17ROCPRIM_400000_NS6detail17trampoline_kernelINS0_14default_configENS1_25partition_config_selectorILNS1_17partition_subalgoE1ExNS0_10empty_typeEbEEZZNS1_14partition_implILS5_1ELb0ES3_jN6thrust23THRUST_200600_302600_NS6detail15normal_iteratorINSA_10device_ptrIxEEEEPS6_NSA_18transform_iteratorI7is_evenIxESF_NSA_11use_defaultESK_EENS0_5tupleIJNSA_16discard_iteratorISK_EESF_EEENSM_IJSG_SG_EEES6_PlJS6_EEE10hipError_tPvRmT3_T4_T5_T6_T7_T9_mT8_P12ihipStream_tbDpT10_ENKUlT_T0_E_clISt17integral_constantIbLb0EES1B_EEDaS16_S17_EUlS16_E_NS1_11comp_targetILNS1_3genE4ELNS1_11target_archE910ELNS1_3gpuE8ELNS1_3repE0EEENS1_30default_config_static_selectorELNS0_4arch9wavefront6targetE1EEEvT1_,comdat
.Lfunc_end3229:
	.size	_ZN7rocprim17ROCPRIM_400000_NS6detail17trampoline_kernelINS0_14default_configENS1_25partition_config_selectorILNS1_17partition_subalgoE1ExNS0_10empty_typeEbEEZZNS1_14partition_implILS5_1ELb0ES3_jN6thrust23THRUST_200600_302600_NS6detail15normal_iteratorINSA_10device_ptrIxEEEEPS6_NSA_18transform_iteratorI7is_evenIxESF_NSA_11use_defaultESK_EENS0_5tupleIJNSA_16discard_iteratorISK_EESF_EEENSM_IJSG_SG_EEES6_PlJS6_EEE10hipError_tPvRmT3_T4_T5_T6_T7_T9_mT8_P12ihipStream_tbDpT10_ENKUlT_T0_E_clISt17integral_constantIbLb0EES1B_EEDaS16_S17_EUlS16_E_NS1_11comp_targetILNS1_3genE4ELNS1_11target_archE910ELNS1_3gpuE8ELNS1_3repE0EEENS1_30default_config_static_selectorELNS0_4arch9wavefront6targetE1EEEvT1_, .Lfunc_end3229-_ZN7rocprim17ROCPRIM_400000_NS6detail17trampoline_kernelINS0_14default_configENS1_25partition_config_selectorILNS1_17partition_subalgoE1ExNS0_10empty_typeEbEEZZNS1_14partition_implILS5_1ELb0ES3_jN6thrust23THRUST_200600_302600_NS6detail15normal_iteratorINSA_10device_ptrIxEEEEPS6_NSA_18transform_iteratorI7is_evenIxESF_NSA_11use_defaultESK_EENS0_5tupleIJNSA_16discard_iteratorISK_EESF_EEENSM_IJSG_SG_EEES6_PlJS6_EEE10hipError_tPvRmT3_T4_T5_T6_T7_T9_mT8_P12ihipStream_tbDpT10_ENKUlT_T0_E_clISt17integral_constantIbLb0EES1B_EEDaS16_S17_EUlS16_E_NS1_11comp_targetILNS1_3genE4ELNS1_11target_archE910ELNS1_3gpuE8ELNS1_3repE0EEENS1_30default_config_static_selectorELNS0_4arch9wavefront6targetE1EEEvT1_
                                        ; -- End function
	.section	.AMDGPU.csdata,"",@progbits
; Kernel info:
; codeLenInByte = 0
; NumSgprs: 6
; NumVgprs: 0
; NumAgprs: 0
; TotalNumVgprs: 0
; ScratchSize: 0
; MemoryBound: 0
; FloatMode: 240
; IeeeMode: 1
; LDSByteSize: 0 bytes/workgroup (compile time only)
; SGPRBlocks: 0
; VGPRBlocks: 0
; NumSGPRsForWavesPerEU: 6
; NumVGPRsForWavesPerEU: 1
; AccumOffset: 4
; Occupancy: 8
; WaveLimiterHint : 0
; COMPUTE_PGM_RSRC2:SCRATCH_EN: 0
; COMPUTE_PGM_RSRC2:USER_SGPR: 2
; COMPUTE_PGM_RSRC2:TRAP_HANDLER: 0
; COMPUTE_PGM_RSRC2:TGID_X_EN: 1
; COMPUTE_PGM_RSRC2:TGID_Y_EN: 0
; COMPUTE_PGM_RSRC2:TGID_Z_EN: 0
; COMPUTE_PGM_RSRC2:TIDIG_COMP_CNT: 0
; COMPUTE_PGM_RSRC3_GFX90A:ACCUM_OFFSET: 0
; COMPUTE_PGM_RSRC3_GFX90A:TG_SPLIT: 0
	.section	.text._ZN7rocprim17ROCPRIM_400000_NS6detail17trampoline_kernelINS0_14default_configENS1_25partition_config_selectorILNS1_17partition_subalgoE1ExNS0_10empty_typeEbEEZZNS1_14partition_implILS5_1ELb0ES3_jN6thrust23THRUST_200600_302600_NS6detail15normal_iteratorINSA_10device_ptrIxEEEEPS6_NSA_18transform_iteratorI7is_evenIxESF_NSA_11use_defaultESK_EENS0_5tupleIJNSA_16discard_iteratorISK_EESF_EEENSM_IJSG_SG_EEES6_PlJS6_EEE10hipError_tPvRmT3_T4_T5_T6_T7_T9_mT8_P12ihipStream_tbDpT10_ENKUlT_T0_E_clISt17integral_constantIbLb0EES1B_EEDaS16_S17_EUlS16_E_NS1_11comp_targetILNS1_3genE3ELNS1_11target_archE908ELNS1_3gpuE7ELNS1_3repE0EEENS1_30default_config_static_selectorELNS0_4arch9wavefront6targetE1EEEvT1_,"axG",@progbits,_ZN7rocprim17ROCPRIM_400000_NS6detail17trampoline_kernelINS0_14default_configENS1_25partition_config_selectorILNS1_17partition_subalgoE1ExNS0_10empty_typeEbEEZZNS1_14partition_implILS5_1ELb0ES3_jN6thrust23THRUST_200600_302600_NS6detail15normal_iteratorINSA_10device_ptrIxEEEEPS6_NSA_18transform_iteratorI7is_evenIxESF_NSA_11use_defaultESK_EENS0_5tupleIJNSA_16discard_iteratorISK_EESF_EEENSM_IJSG_SG_EEES6_PlJS6_EEE10hipError_tPvRmT3_T4_T5_T6_T7_T9_mT8_P12ihipStream_tbDpT10_ENKUlT_T0_E_clISt17integral_constantIbLb0EES1B_EEDaS16_S17_EUlS16_E_NS1_11comp_targetILNS1_3genE3ELNS1_11target_archE908ELNS1_3gpuE7ELNS1_3repE0EEENS1_30default_config_static_selectorELNS0_4arch9wavefront6targetE1EEEvT1_,comdat
	.protected	_ZN7rocprim17ROCPRIM_400000_NS6detail17trampoline_kernelINS0_14default_configENS1_25partition_config_selectorILNS1_17partition_subalgoE1ExNS0_10empty_typeEbEEZZNS1_14partition_implILS5_1ELb0ES3_jN6thrust23THRUST_200600_302600_NS6detail15normal_iteratorINSA_10device_ptrIxEEEEPS6_NSA_18transform_iteratorI7is_evenIxESF_NSA_11use_defaultESK_EENS0_5tupleIJNSA_16discard_iteratorISK_EESF_EEENSM_IJSG_SG_EEES6_PlJS6_EEE10hipError_tPvRmT3_T4_T5_T6_T7_T9_mT8_P12ihipStream_tbDpT10_ENKUlT_T0_E_clISt17integral_constantIbLb0EES1B_EEDaS16_S17_EUlS16_E_NS1_11comp_targetILNS1_3genE3ELNS1_11target_archE908ELNS1_3gpuE7ELNS1_3repE0EEENS1_30default_config_static_selectorELNS0_4arch9wavefront6targetE1EEEvT1_ ; -- Begin function _ZN7rocprim17ROCPRIM_400000_NS6detail17trampoline_kernelINS0_14default_configENS1_25partition_config_selectorILNS1_17partition_subalgoE1ExNS0_10empty_typeEbEEZZNS1_14partition_implILS5_1ELb0ES3_jN6thrust23THRUST_200600_302600_NS6detail15normal_iteratorINSA_10device_ptrIxEEEEPS6_NSA_18transform_iteratorI7is_evenIxESF_NSA_11use_defaultESK_EENS0_5tupleIJNSA_16discard_iteratorISK_EESF_EEENSM_IJSG_SG_EEES6_PlJS6_EEE10hipError_tPvRmT3_T4_T5_T6_T7_T9_mT8_P12ihipStream_tbDpT10_ENKUlT_T0_E_clISt17integral_constantIbLb0EES1B_EEDaS16_S17_EUlS16_E_NS1_11comp_targetILNS1_3genE3ELNS1_11target_archE908ELNS1_3gpuE7ELNS1_3repE0EEENS1_30default_config_static_selectorELNS0_4arch9wavefront6targetE1EEEvT1_
	.globl	_ZN7rocprim17ROCPRIM_400000_NS6detail17trampoline_kernelINS0_14default_configENS1_25partition_config_selectorILNS1_17partition_subalgoE1ExNS0_10empty_typeEbEEZZNS1_14partition_implILS5_1ELb0ES3_jN6thrust23THRUST_200600_302600_NS6detail15normal_iteratorINSA_10device_ptrIxEEEEPS6_NSA_18transform_iteratorI7is_evenIxESF_NSA_11use_defaultESK_EENS0_5tupleIJNSA_16discard_iteratorISK_EESF_EEENSM_IJSG_SG_EEES6_PlJS6_EEE10hipError_tPvRmT3_T4_T5_T6_T7_T9_mT8_P12ihipStream_tbDpT10_ENKUlT_T0_E_clISt17integral_constantIbLb0EES1B_EEDaS16_S17_EUlS16_E_NS1_11comp_targetILNS1_3genE3ELNS1_11target_archE908ELNS1_3gpuE7ELNS1_3repE0EEENS1_30default_config_static_selectorELNS0_4arch9wavefront6targetE1EEEvT1_
	.p2align	8
	.type	_ZN7rocprim17ROCPRIM_400000_NS6detail17trampoline_kernelINS0_14default_configENS1_25partition_config_selectorILNS1_17partition_subalgoE1ExNS0_10empty_typeEbEEZZNS1_14partition_implILS5_1ELb0ES3_jN6thrust23THRUST_200600_302600_NS6detail15normal_iteratorINSA_10device_ptrIxEEEEPS6_NSA_18transform_iteratorI7is_evenIxESF_NSA_11use_defaultESK_EENS0_5tupleIJNSA_16discard_iteratorISK_EESF_EEENSM_IJSG_SG_EEES6_PlJS6_EEE10hipError_tPvRmT3_T4_T5_T6_T7_T9_mT8_P12ihipStream_tbDpT10_ENKUlT_T0_E_clISt17integral_constantIbLb0EES1B_EEDaS16_S17_EUlS16_E_NS1_11comp_targetILNS1_3genE3ELNS1_11target_archE908ELNS1_3gpuE7ELNS1_3repE0EEENS1_30default_config_static_selectorELNS0_4arch9wavefront6targetE1EEEvT1_,@function
_ZN7rocprim17ROCPRIM_400000_NS6detail17trampoline_kernelINS0_14default_configENS1_25partition_config_selectorILNS1_17partition_subalgoE1ExNS0_10empty_typeEbEEZZNS1_14partition_implILS5_1ELb0ES3_jN6thrust23THRUST_200600_302600_NS6detail15normal_iteratorINSA_10device_ptrIxEEEEPS6_NSA_18transform_iteratorI7is_evenIxESF_NSA_11use_defaultESK_EENS0_5tupleIJNSA_16discard_iteratorISK_EESF_EEENSM_IJSG_SG_EEES6_PlJS6_EEE10hipError_tPvRmT3_T4_T5_T6_T7_T9_mT8_P12ihipStream_tbDpT10_ENKUlT_T0_E_clISt17integral_constantIbLb0EES1B_EEDaS16_S17_EUlS16_E_NS1_11comp_targetILNS1_3genE3ELNS1_11target_archE908ELNS1_3gpuE7ELNS1_3repE0EEENS1_30default_config_static_selectorELNS0_4arch9wavefront6targetE1EEEvT1_: ; @_ZN7rocprim17ROCPRIM_400000_NS6detail17trampoline_kernelINS0_14default_configENS1_25partition_config_selectorILNS1_17partition_subalgoE1ExNS0_10empty_typeEbEEZZNS1_14partition_implILS5_1ELb0ES3_jN6thrust23THRUST_200600_302600_NS6detail15normal_iteratorINSA_10device_ptrIxEEEEPS6_NSA_18transform_iteratorI7is_evenIxESF_NSA_11use_defaultESK_EENS0_5tupleIJNSA_16discard_iteratorISK_EESF_EEENSM_IJSG_SG_EEES6_PlJS6_EEE10hipError_tPvRmT3_T4_T5_T6_T7_T9_mT8_P12ihipStream_tbDpT10_ENKUlT_T0_E_clISt17integral_constantIbLb0EES1B_EEDaS16_S17_EUlS16_E_NS1_11comp_targetILNS1_3genE3ELNS1_11target_archE908ELNS1_3gpuE7ELNS1_3repE0EEENS1_30default_config_static_selectorELNS0_4arch9wavefront6targetE1EEEvT1_
; %bb.0:
	.section	.rodata,"a",@progbits
	.p2align	6, 0x0
	.amdhsa_kernel _ZN7rocprim17ROCPRIM_400000_NS6detail17trampoline_kernelINS0_14default_configENS1_25partition_config_selectorILNS1_17partition_subalgoE1ExNS0_10empty_typeEbEEZZNS1_14partition_implILS5_1ELb0ES3_jN6thrust23THRUST_200600_302600_NS6detail15normal_iteratorINSA_10device_ptrIxEEEEPS6_NSA_18transform_iteratorI7is_evenIxESF_NSA_11use_defaultESK_EENS0_5tupleIJNSA_16discard_iteratorISK_EESF_EEENSM_IJSG_SG_EEES6_PlJS6_EEE10hipError_tPvRmT3_T4_T5_T6_T7_T9_mT8_P12ihipStream_tbDpT10_ENKUlT_T0_E_clISt17integral_constantIbLb0EES1B_EEDaS16_S17_EUlS16_E_NS1_11comp_targetILNS1_3genE3ELNS1_11target_archE908ELNS1_3gpuE7ELNS1_3repE0EEENS1_30default_config_static_selectorELNS0_4arch9wavefront6targetE1EEEvT1_
		.amdhsa_group_segment_fixed_size 0
		.amdhsa_private_segment_fixed_size 0
		.amdhsa_kernarg_size 136
		.amdhsa_user_sgpr_count 2
		.amdhsa_user_sgpr_dispatch_ptr 0
		.amdhsa_user_sgpr_queue_ptr 0
		.amdhsa_user_sgpr_kernarg_segment_ptr 1
		.amdhsa_user_sgpr_dispatch_id 0
		.amdhsa_user_sgpr_kernarg_preload_length 0
		.amdhsa_user_sgpr_kernarg_preload_offset 0
		.amdhsa_user_sgpr_private_segment_size 0
		.amdhsa_uses_dynamic_stack 0
		.amdhsa_enable_private_segment 0
		.amdhsa_system_sgpr_workgroup_id_x 1
		.amdhsa_system_sgpr_workgroup_id_y 0
		.amdhsa_system_sgpr_workgroup_id_z 0
		.amdhsa_system_sgpr_workgroup_info 0
		.amdhsa_system_vgpr_workitem_id 0
		.amdhsa_next_free_vgpr 1
		.amdhsa_next_free_sgpr 0
		.amdhsa_accum_offset 4
		.amdhsa_reserve_vcc 0
		.amdhsa_float_round_mode_32 0
		.amdhsa_float_round_mode_16_64 0
		.amdhsa_float_denorm_mode_32 3
		.amdhsa_float_denorm_mode_16_64 3
		.amdhsa_dx10_clamp 1
		.amdhsa_ieee_mode 1
		.amdhsa_fp16_overflow 0
		.amdhsa_tg_split 0
		.amdhsa_exception_fp_ieee_invalid_op 0
		.amdhsa_exception_fp_denorm_src 0
		.amdhsa_exception_fp_ieee_div_zero 0
		.amdhsa_exception_fp_ieee_overflow 0
		.amdhsa_exception_fp_ieee_underflow 0
		.amdhsa_exception_fp_ieee_inexact 0
		.amdhsa_exception_int_div_zero 0
	.end_amdhsa_kernel
	.section	.text._ZN7rocprim17ROCPRIM_400000_NS6detail17trampoline_kernelINS0_14default_configENS1_25partition_config_selectorILNS1_17partition_subalgoE1ExNS0_10empty_typeEbEEZZNS1_14partition_implILS5_1ELb0ES3_jN6thrust23THRUST_200600_302600_NS6detail15normal_iteratorINSA_10device_ptrIxEEEEPS6_NSA_18transform_iteratorI7is_evenIxESF_NSA_11use_defaultESK_EENS0_5tupleIJNSA_16discard_iteratorISK_EESF_EEENSM_IJSG_SG_EEES6_PlJS6_EEE10hipError_tPvRmT3_T4_T5_T6_T7_T9_mT8_P12ihipStream_tbDpT10_ENKUlT_T0_E_clISt17integral_constantIbLb0EES1B_EEDaS16_S17_EUlS16_E_NS1_11comp_targetILNS1_3genE3ELNS1_11target_archE908ELNS1_3gpuE7ELNS1_3repE0EEENS1_30default_config_static_selectorELNS0_4arch9wavefront6targetE1EEEvT1_,"axG",@progbits,_ZN7rocprim17ROCPRIM_400000_NS6detail17trampoline_kernelINS0_14default_configENS1_25partition_config_selectorILNS1_17partition_subalgoE1ExNS0_10empty_typeEbEEZZNS1_14partition_implILS5_1ELb0ES3_jN6thrust23THRUST_200600_302600_NS6detail15normal_iteratorINSA_10device_ptrIxEEEEPS6_NSA_18transform_iteratorI7is_evenIxESF_NSA_11use_defaultESK_EENS0_5tupleIJNSA_16discard_iteratorISK_EESF_EEENSM_IJSG_SG_EEES6_PlJS6_EEE10hipError_tPvRmT3_T4_T5_T6_T7_T9_mT8_P12ihipStream_tbDpT10_ENKUlT_T0_E_clISt17integral_constantIbLb0EES1B_EEDaS16_S17_EUlS16_E_NS1_11comp_targetILNS1_3genE3ELNS1_11target_archE908ELNS1_3gpuE7ELNS1_3repE0EEENS1_30default_config_static_selectorELNS0_4arch9wavefront6targetE1EEEvT1_,comdat
.Lfunc_end3230:
	.size	_ZN7rocprim17ROCPRIM_400000_NS6detail17trampoline_kernelINS0_14default_configENS1_25partition_config_selectorILNS1_17partition_subalgoE1ExNS0_10empty_typeEbEEZZNS1_14partition_implILS5_1ELb0ES3_jN6thrust23THRUST_200600_302600_NS6detail15normal_iteratorINSA_10device_ptrIxEEEEPS6_NSA_18transform_iteratorI7is_evenIxESF_NSA_11use_defaultESK_EENS0_5tupleIJNSA_16discard_iteratorISK_EESF_EEENSM_IJSG_SG_EEES6_PlJS6_EEE10hipError_tPvRmT3_T4_T5_T6_T7_T9_mT8_P12ihipStream_tbDpT10_ENKUlT_T0_E_clISt17integral_constantIbLb0EES1B_EEDaS16_S17_EUlS16_E_NS1_11comp_targetILNS1_3genE3ELNS1_11target_archE908ELNS1_3gpuE7ELNS1_3repE0EEENS1_30default_config_static_selectorELNS0_4arch9wavefront6targetE1EEEvT1_, .Lfunc_end3230-_ZN7rocprim17ROCPRIM_400000_NS6detail17trampoline_kernelINS0_14default_configENS1_25partition_config_selectorILNS1_17partition_subalgoE1ExNS0_10empty_typeEbEEZZNS1_14partition_implILS5_1ELb0ES3_jN6thrust23THRUST_200600_302600_NS6detail15normal_iteratorINSA_10device_ptrIxEEEEPS6_NSA_18transform_iteratorI7is_evenIxESF_NSA_11use_defaultESK_EENS0_5tupleIJNSA_16discard_iteratorISK_EESF_EEENSM_IJSG_SG_EEES6_PlJS6_EEE10hipError_tPvRmT3_T4_T5_T6_T7_T9_mT8_P12ihipStream_tbDpT10_ENKUlT_T0_E_clISt17integral_constantIbLb0EES1B_EEDaS16_S17_EUlS16_E_NS1_11comp_targetILNS1_3genE3ELNS1_11target_archE908ELNS1_3gpuE7ELNS1_3repE0EEENS1_30default_config_static_selectorELNS0_4arch9wavefront6targetE1EEEvT1_
                                        ; -- End function
	.section	.AMDGPU.csdata,"",@progbits
; Kernel info:
; codeLenInByte = 0
; NumSgprs: 6
; NumVgprs: 0
; NumAgprs: 0
; TotalNumVgprs: 0
; ScratchSize: 0
; MemoryBound: 0
; FloatMode: 240
; IeeeMode: 1
; LDSByteSize: 0 bytes/workgroup (compile time only)
; SGPRBlocks: 0
; VGPRBlocks: 0
; NumSGPRsForWavesPerEU: 6
; NumVGPRsForWavesPerEU: 1
; AccumOffset: 4
; Occupancy: 8
; WaveLimiterHint : 0
; COMPUTE_PGM_RSRC2:SCRATCH_EN: 0
; COMPUTE_PGM_RSRC2:USER_SGPR: 2
; COMPUTE_PGM_RSRC2:TRAP_HANDLER: 0
; COMPUTE_PGM_RSRC2:TGID_X_EN: 1
; COMPUTE_PGM_RSRC2:TGID_Y_EN: 0
; COMPUTE_PGM_RSRC2:TGID_Z_EN: 0
; COMPUTE_PGM_RSRC2:TIDIG_COMP_CNT: 0
; COMPUTE_PGM_RSRC3_GFX90A:ACCUM_OFFSET: 0
; COMPUTE_PGM_RSRC3_GFX90A:TG_SPLIT: 0
	.section	.text._ZN7rocprim17ROCPRIM_400000_NS6detail17trampoline_kernelINS0_14default_configENS1_25partition_config_selectorILNS1_17partition_subalgoE1ExNS0_10empty_typeEbEEZZNS1_14partition_implILS5_1ELb0ES3_jN6thrust23THRUST_200600_302600_NS6detail15normal_iteratorINSA_10device_ptrIxEEEEPS6_NSA_18transform_iteratorI7is_evenIxESF_NSA_11use_defaultESK_EENS0_5tupleIJNSA_16discard_iteratorISK_EESF_EEENSM_IJSG_SG_EEES6_PlJS6_EEE10hipError_tPvRmT3_T4_T5_T6_T7_T9_mT8_P12ihipStream_tbDpT10_ENKUlT_T0_E_clISt17integral_constantIbLb0EES1B_EEDaS16_S17_EUlS16_E_NS1_11comp_targetILNS1_3genE2ELNS1_11target_archE906ELNS1_3gpuE6ELNS1_3repE0EEENS1_30default_config_static_selectorELNS0_4arch9wavefront6targetE1EEEvT1_,"axG",@progbits,_ZN7rocprim17ROCPRIM_400000_NS6detail17trampoline_kernelINS0_14default_configENS1_25partition_config_selectorILNS1_17partition_subalgoE1ExNS0_10empty_typeEbEEZZNS1_14partition_implILS5_1ELb0ES3_jN6thrust23THRUST_200600_302600_NS6detail15normal_iteratorINSA_10device_ptrIxEEEEPS6_NSA_18transform_iteratorI7is_evenIxESF_NSA_11use_defaultESK_EENS0_5tupleIJNSA_16discard_iteratorISK_EESF_EEENSM_IJSG_SG_EEES6_PlJS6_EEE10hipError_tPvRmT3_T4_T5_T6_T7_T9_mT8_P12ihipStream_tbDpT10_ENKUlT_T0_E_clISt17integral_constantIbLb0EES1B_EEDaS16_S17_EUlS16_E_NS1_11comp_targetILNS1_3genE2ELNS1_11target_archE906ELNS1_3gpuE6ELNS1_3repE0EEENS1_30default_config_static_selectorELNS0_4arch9wavefront6targetE1EEEvT1_,comdat
	.protected	_ZN7rocprim17ROCPRIM_400000_NS6detail17trampoline_kernelINS0_14default_configENS1_25partition_config_selectorILNS1_17partition_subalgoE1ExNS0_10empty_typeEbEEZZNS1_14partition_implILS5_1ELb0ES3_jN6thrust23THRUST_200600_302600_NS6detail15normal_iteratorINSA_10device_ptrIxEEEEPS6_NSA_18transform_iteratorI7is_evenIxESF_NSA_11use_defaultESK_EENS0_5tupleIJNSA_16discard_iteratorISK_EESF_EEENSM_IJSG_SG_EEES6_PlJS6_EEE10hipError_tPvRmT3_T4_T5_T6_T7_T9_mT8_P12ihipStream_tbDpT10_ENKUlT_T0_E_clISt17integral_constantIbLb0EES1B_EEDaS16_S17_EUlS16_E_NS1_11comp_targetILNS1_3genE2ELNS1_11target_archE906ELNS1_3gpuE6ELNS1_3repE0EEENS1_30default_config_static_selectorELNS0_4arch9wavefront6targetE1EEEvT1_ ; -- Begin function _ZN7rocprim17ROCPRIM_400000_NS6detail17trampoline_kernelINS0_14default_configENS1_25partition_config_selectorILNS1_17partition_subalgoE1ExNS0_10empty_typeEbEEZZNS1_14partition_implILS5_1ELb0ES3_jN6thrust23THRUST_200600_302600_NS6detail15normal_iteratorINSA_10device_ptrIxEEEEPS6_NSA_18transform_iteratorI7is_evenIxESF_NSA_11use_defaultESK_EENS0_5tupleIJNSA_16discard_iteratorISK_EESF_EEENSM_IJSG_SG_EEES6_PlJS6_EEE10hipError_tPvRmT3_T4_T5_T6_T7_T9_mT8_P12ihipStream_tbDpT10_ENKUlT_T0_E_clISt17integral_constantIbLb0EES1B_EEDaS16_S17_EUlS16_E_NS1_11comp_targetILNS1_3genE2ELNS1_11target_archE906ELNS1_3gpuE6ELNS1_3repE0EEENS1_30default_config_static_selectorELNS0_4arch9wavefront6targetE1EEEvT1_
	.globl	_ZN7rocprim17ROCPRIM_400000_NS6detail17trampoline_kernelINS0_14default_configENS1_25partition_config_selectorILNS1_17partition_subalgoE1ExNS0_10empty_typeEbEEZZNS1_14partition_implILS5_1ELb0ES3_jN6thrust23THRUST_200600_302600_NS6detail15normal_iteratorINSA_10device_ptrIxEEEEPS6_NSA_18transform_iteratorI7is_evenIxESF_NSA_11use_defaultESK_EENS0_5tupleIJNSA_16discard_iteratorISK_EESF_EEENSM_IJSG_SG_EEES6_PlJS6_EEE10hipError_tPvRmT3_T4_T5_T6_T7_T9_mT8_P12ihipStream_tbDpT10_ENKUlT_T0_E_clISt17integral_constantIbLb0EES1B_EEDaS16_S17_EUlS16_E_NS1_11comp_targetILNS1_3genE2ELNS1_11target_archE906ELNS1_3gpuE6ELNS1_3repE0EEENS1_30default_config_static_selectorELNS0_4arch9wavefront6targetE1EEEvT1_
	.p2align	8
	.type	_ZN7rocprim17ROCPRIM_400000_NS6detail17trampoline_kernelINS0_14default_configENS1_25partition_config_selectorILNS1_17partition_subalgoE1ExNS0_10empty_typeEbEEZZNS1_14partition_implILS5_1ELb0ES3_jN6thrust23THRUST_200600_302600_NS6detail15normal_iteratorINSA_10device_ptrIxEEEEPS6_NSA_18transform_iteratorI7is_evenIxESF_NSA_11use_defaultESK_EENS0_5tupleIJNSA_16discard_iteratorISK_EESF_EEENSM_IJSG_SG_EEES6_PlJS6_EEE10hipError_tPvRmT3_T4_T5_T6_T7_T9_mT8_P12ihipStream_tbDpT10_ENKUlT_T0_E_clISt17integral_constantIbLb0EES1B_EEDaS16_S17_EUlS16_E_NS1_11comp_targetILNS1_3genE2ELNS1_11target_archE906ELNS1_3gpuE6ELNS1_3repE0EEENS1_30default_config_static_selectorELNS0_4arch9wavefront6targetE1EEEvT1_,@function
_ZN7rocprim17ROCPRIM_400000_NS6detail17trampoline_kernelINS0_14default_configENS1_25partition_config_selectorILNS1_17partition_subalgoE1ExNS0_10empty_typeEbEEZZNS1_14partition_implILS5_1ELb0ES3_jN6thrust23THRUST_200600_302600_NS6detail15normal_iteratorINSA_10device_ptrIxEEEEPS6_NSA_18transform_iteratorI7is_evenIxESF_NSA_11use_defaultESK_EENS0_5tupleIJNSA_16discard_iteratorISK_EESF_EEENSM_IJSG_SG_EEES6_PlJS6_EEE10hipError_tPvRmT3_T4_T5_T6_T7_T9_mT8_P12ihipStream_tbDpT10_ENKUlT_T0_E_clISt17integral_constantIbLb0EES1B_EEDaS16_S17_EUlS16_E_NS1_11comp_targetILNS1_3genE2ELNS1_11target_archE906ELNS1_3gpuE6ELNS1_3repE0EEENS1_30default_config_static_selectorELNS0_4arch9wavefront6targetE1EEEvT1_: ; @_ZN7rocprim17ROCPRIM_400000_NS6detail17trampoline_kernelINS0_14default_configENS1_25partition_config_selectorILNS1_17partition_subalgoE1ExNS0_10empty_typeEbEEZZNS1_14partition_implILS5_1ELb0ES3_jN6thrust23THRUST_200600_302600_NS6detail15normal_iteratorINSA_10device_ptrIxEEEEPS6_NSA_18transform_iteratorI7is_evenIxESF_NSA_11use_defaultESK_EENS0_5tupleIJNSA_16discard_iteratorISK_EESF_EEENSM_IJSG_SG_EEES6_PlJS6_EEE10hipError_tPvRmT3_T4_T5_T6_T7_T9_mT8_P12ihipStream_tbDpT10_ENKUlT_T0_E_clISt17integral_constantIbLb0EES1B_EEDaS16_S17_EUlS16_E_NS1_11comp_targetILNS1_3genE2ELNS1_11target_archE906ELNS1_3gpuE6ELNS1_3repE0EEENS1_30default_config_static_selectorELNS0_4arch9wavefront6targetE1EEEvT1_
; %bb.0:
	.section	.rodata,"a",@progbits
	.p2align	6, 0x0
	.amdhsa_kernel _ZN7rocprim17ROCPRIM_400000_NS6detail17trampoline_kernelINS0_14default_configENS1_25partition_config_selectorILNS1_17partition_subalgoE1ExNS0_10empty_typeEbEEZZNS1_14partition_implILS5_1ELb0ES3_jN6thrust23THRUST_200600_302600_NS6detail15normal_iteratorINSA_10device_ptrIxEEEEPS6_NSA_18transform_iteratorI7is_evenIxESF_NSA_11use_defaultESK_EENS0_5tupleIJNSA_16discard_iteratorISK_EESF_EEENSM_IJSG_SG_EEES6_PlJS6_EEE10hipError_tPvRmT3_T4_T5_T6_T7_T9_mT8_P12ihipStream_tbDpT10_ENKUlT_T0_E_clISt17integral_constantIbLb0EES1B_EEDaS16_S17_EUlS16_E_NS1_11comp_targetILNS1_3genE2ELNS1_11target_archE906ELNS1_3gpuE6ELNS1_3repE0EEENS1_30default_config_static_selectorELNS0_4arch9wavefront6targetE1EEEvT1_
		.amdhsa_group_segment_fixed_size 0
		.amdhsa_private_segment_fixed_size 0
		.amdhsa_kernarg_size 136
		.amdhsa_user_sgpr_count 2
		.amdhsa_user_sgpr_dispatch_ptr 0
		.amdhsa_user_sgpr_queue_ptr 0
		.amdhsa_user_sgpr_kernarg_segment_ptr 1
		.amdhsa_user_sgpr_dispatch_id 0
		.amdhsa_user_sgpr_kernarg_preload_length 0
		.amdhsa_user_sgpr_kernarg_preload_offset 0
		.amdhsa_user_sgpr_private_segment_size 0
		.amdhsa_uses_dynamic_stack 0
		.amdhsa_enable_private_segment 0
		.amdhsa_system_sgpr_workgroup_id_x 1
		.amdhsa_system_sgpr_workgroup_id_y 0
		.amdhsa_system_sgpr_workgroup_id_z 0
		.amdhsa_system_sgpr_workgroup_info 0
		.amdhsa_system_vgpr_workitem_id 0
		.amdhsa_next_free_vgpr 1
		.amdhsa_next_free_sgpr 0
		.amdhsa_accum_offset 4
		.amdhsa_reserve_vcc 0
		.amdhsa_float_round_mode_32 0
		.amdhsa_float_round_mode_16_64 0
		.amdhsa_float_denorm_mode_32 3
		.amdhsa_float_denorm_mode_16_64 3
		.amdhsa_dx10_clamp 1
		.amdhsa_ieee_mode 1
		.amdhsa_fp16_overflow 0
		.amdhsa_tg_split 0
		.amdhsa_exception_fp_ieee_invalid_op 0
		.amdhsa_exception_fp_denorm_src 0
		.amdhsa_exception_fp_ieee_div_zero 0
		.amdhsa_exception_fp_ieee_overflow 0
		.amdhsa_exception_fp_ieee_underflow 0
		.amdhsa_exception_fp_ieee_inexact 0
		.amdhsa_exception_int_div_zero 0
	.end_amdhsa_kernel
	.section	.text._ZN7rocprim17ROCPRIM_400000_NS6detail17trampoline_kernelINS0_14default_configENS1_25partition_config_selectorILNS1_17partition_subalgoE1ExNS0_10empty_typeEbEEZZNS1_14partition_implILS5_1ELb0ES3_jN6thrust23THRUST_200600_302600_NS6detail15normal_iteratorINSA_10device_ptrIxEEEEPS6_NSA_18transform_iteratorI7is_evenIxESF_NSA_11use_defaultESK_EENS0_5tupleIJNSA_16discard_iteratorISK_EESF_EEENSM_IJSG_SG_EEES6_PlJS6_EEE10hipError_tPvRmT3_T4_T5_T6_T7_T9_mT8_P12ihipStream_tbDpT10_ENKUlT_T0_E_clISt17integral_constantIbLb0EES1B_EEDaS16_S17_EUlS16_E_NS1_11comp_targetILNS1_3genE2ELNS1_11target_archE906ELNS1_3gpuE6ELNS1_3repE0EEENS1_30default_config_static_selectorELNS0_4arch9wavefront6targetE1EEEvT1_,"axG",@progbits,_ZN7rocprim17ROCPRIM_400000_NS6detail17trampoline_kernelINS0_14default_configENS1_25partition_config_selectorILNS1_17partition_subalgoE1ExNS0_10empty_typeEbEEZZNS1_14partition_implILS5_1ELb0ES3_jN6thrust23THRUST_200600_302600_NS6detail15normal_iteratorINSA_10device_ptrIxEEEEPS6_NSA_18transform_iteratorI7is_evenIxESF_NSA_11use_defaultESK_EENS0_5tupleIJNSA_16discard_iteratorISK_EESF_EEENSM_IJSG_SG_EEES6_PlJS6_EEE10hipError_tPvRmT3_T4_T5_T6_T7_T9_mT8_P12ihipStream_tbDpT10_ENKUlT_T0_E_clISt17integral_constantIbLb0EES1B_EEDaS16_S17_EUlS16_E_NS1_11comp_targetILNS1_3genE2ELNS1_11target_archE906ELNS1_3gpuE6ELNS1_3repE0EEENS1_30default_config_static_selectorELNS0_4arch9wavefront6targetE1EEEvT1_,comdat
.Lfunc_end3231:
	.size	_ZN7rocprim17ROCPRIM_400000_NS6detail17trampoline_kernelINS0_14default_configENS1_25partition_config_selectorILNS1_17partition_subalgoE1ExNS0_10empty_typeEbEEZZNS1_14partition_implILS5_1ELb0ES3_jN6thrust23THRUST_200600_302600_NS6detail15normal_iteratorINSA_10device_ptrIxEEEEPS6_NSA_18transform_iteratorI7is_evenIxESF_NSA_11use_defaultESK_EENS0_5tupleIJNSA_16discard_iteratorISK_EESF_EEENSM_IJSG_SG_EEES6_PlJS6_EEE10hipError_tPvRmT3_T4_T5_T6_T7_T9_mT8_P12ihipStream_tbDpT10_ENKUlT_T0_E_clISt17integral_constantIbLb0EES1B_EEDaS16_S17_EUlS16_E_NS1_11comp_targetILNS1_3genE2ELNS1_11target_archE906ELNS1_3gpuE6ELNS1_3repE0EEENS1_30default_config_static_selectorELNS0_4arch9wavefront6targetE1EEEvT1_, .Lfunc_end3231-_ZN7rocprim17ROCPRIM_400000_NS6detail17trampoline_kernelINS0_14default_configENS1_25partition_config_selectorILNS1_17partition_subalgoE1ExNS0_10empty_typeEbEEZZNS1_14partition_implILS5_1ELb0ES3_jN6thrust23THRUST_200600_302600_NS6detail15normal_iteratorINSA_10device_ptrIxEEEEPS6_NSA_18transform_iteratorI7is_evenIxESF_NSA_11use_defaultESK_EENS0_5tupleIJNSA_16discard_iteratorISK_EESF_EEENSM_IJSG_SG_EEES6_PlJS6_EEE10hipError_tPvRmT3_T4_T5_T6_T7_T9_mT8_P12ihipStream_tbDpT10_ENKUlT_T0_E_clISt17integral_constantIbLb0EES1B_EEDaS16_S17_EUlS16_E_NS1_11comp_targetILNS1_3genE2ELNS1_11target_archE906ELNS1_3gpuE6ELNS1_3repE0EEENS1_30default_config_static_selectorELNS0_4arch9wavefront6targetE1EEEvT1_
                                        ; -- End function
	.section	.AMDGPU.csdata,"",@progbits
; Kernel info:
; codeLenInByte = 0
; NumSgprs: 6
; NumVgprs: 0
; NumAgprs: 0
; TotalNumVgprs: 0
; ScratchSize: 0
; MemoryBound: 0
; FloatMode: 240
; IeeeMode: 1
; LDSByteSize: 0 bytes/workgroup (compile time only)
; SGPRBlocks: 0
; VGPRBlocks: 0
; NumSGPRsForWavesPerEU: 6
; NumVGPRsForWavesPerEU: 1
; AccumOffset: 4
; Occupancy: 8
; WaveLimiterHint : 0
; COMPUTE_PGM_RSRC2:SCRATCH_EN: 0
; COMPUTE_PGM_RSRC2:USER_SGPR: 2
; COMPUTE_PGM_RSRC2:TRAP_HANDLER: 0
; COMPUTE_PGM_RSRC2:TGID_X_EN: 1
; COMPUTE_PGM_RSRC2:TGID_Y_EN: 0
; COMPUTE_PGM_RSRC2:TGID_Z_EN: 0
; COMPUTE_PGM_RSRC2:TIDIG_COMP_CNT: 0
; COMPUTE_PGM_RSRC3_GFX90A:ACCUM_OFFSET: 0
; COMPUTE_PGM_RSRC3_GFX90A:TG_SPLIT: 0
	.section	.text._ZN7rocprim17ROCPRIM_400000_NS6detail17trampoline_kernelINS0_14default_configENS1_25partition_config_selectorILNS1_17partition_subalgoE1ExNS0_10empty_typeEbEEZZNS1_14partition_implILS5_1ELb0ES3_jN6thrust23THRUST_200600_302600_NS6detail15normal_iteratorINSA_10device_ptrIxEEEEPS6_NSA_18transform_iteratorI7is_evenIxESF_NSA_11use_defaultESK_EENS0_5tupleIJNSA_16discard_iteratorISK_EESF_EEENSM_IJSG_SG_EEES6_PlJS6_EEE10hipError_tPvRmT3_T4_T5_T6_T7_T9_mT8_P12ihipStream_tbDpT10_ENKUlT_T0_E_clISt17integral_constantIbLb0EES1B_EEDaS16_S17_EUlS16_E_NS1_11comp_targetILNS1_3genE10ELNS1_11target_archE1200ELNS1_3gpuE4ELNS1_3repE0EEENS1_30default_config_static_selectorELNS0_4arch9wavefront6targetE1EEEvT1_,"axG",@progbits,_ZN7rocprim17ROCPRIM_400000_NS6detail17trampoline_kernelINS0_14default_configENS1_25partition_config_selectorILNS1_17partition_subalgoE1ExNS0_10empty_typeEbEEZZNS1_14partition_implILS5_1ELb0ES3_jN6thrust23THRUST_200600_302600_NS6detail15normal_iteratorINSA_10device_ptrIxEEEEPS6_NSA_18transform_iteratorI7is_evenIxESF_NSA_11use_defaultESK_EENS0_5tupleIJNSA_16discard_iteratorISK_EESF_EEENSM_IJSG_SG_EEES6_PlJS6_EEE10hipError_tPvRmT3_T4_T5_T6_T7_T9_mT8_P12ihipStream_tbDpT10_ENKUlT_T0_E_clISt17integral_constantIbLb0EES1B_EEDaS16_S17_EUlS16_E_NS1_11comp_targetILNS1_3genE10ELNS1_11target_archE1200ELNS1_3gpuE4ELNS1_3repE0EEENS1_30default_config_static_selectorELNS0_4arch9wavefront6targetE1EEEvT1_,comdat
	.protected	_ZN7rocprim17ROCPRIM_400000_NS6detail17trampoline_kernelINS0_14default_configENS1_25partition_config_selectorILNS1_17partition_subalgoE1ExNS0_10empty_typeEbEEZZNS1_14partition_implILS5_1ELb0ES3_jN6thrust23THRUST_200600_302600_NS6detail15normal_iteratorINSA_10device_ptrIxEEEEPS6_NSA_18transform_iteratorI7is_evenIxESF_NSA_11use_defaultESK_EENS0_5tupleIJNSA_16discard_iteratorISK_EESF_EEENSM_IJSG_SG_EEES6_PlJS6_EEE10hipError_tPvRmT3_T4_T5_T6_T7_T9_mT8_P12ihipStream_tbDpT10_ENKUlT_T0_E_clISt17integral_constantIbLb0EES1B_EEDaS16_S17_EUlS16_E_NS1_11comp_targetILNS1_3genE10ELNS1_11target_archE1200ELNS1_3gpuE4ELNS1_3repE0EEENS1_30default_config_static_selectorELNS0_4arch9wavefront6targetE1EEEvT1_ ; -- Begin function _ZN7rocprim17ROCPRIM_400000_NS6detail17trampoline_kernelINS0_14default_configENS1_25partition_config_selectorILNS1_17partition_subalgoE1ExNS0_10empty_typeEbEEZZNS1_14partition_implILS5_1ELb0ES3_jN6thrust23THRUST_200600_302600_NS6detail15normal_iteratorINSA_10device_ptrIxEEEEPS6_NSA_18transform_iteratorI7is_evenIxESF_NSA_11use_defaultESK_EENS0_5tupleIJNSA_16discard_iteratorISK_EESF_EEENSM_IJSG_SG_EEES6_PlJS6_EEE10hipError_tPvRmT3_T4_T5_T6_T7_T9_mT8_P12ihipStream_tbDpT10_ENKUlT_T0_E_clISt17integral_constantIbLb0EES1B_EEDaS16_S17_EUlS16_E_NS1_11comp_targetILNS1_3genE10ELNS1_11target_archE1200ELNS1_3gpuE4ELNS1_3repE0EEENS1_30default_config_static_selectorELNS0_4arch9wavefront6targetE1EEEvT1_
	.globl	_ZN7rocprim17ROCPRIM_400000_NS6detail17trampoline_kernelINS0_14default_configENS1_25partition_config_selectorILNS1_17partition_subalgoE1ExNS0_10empty_typeEbEEZZNS1_14partition_implILS5_1ELb0ES3_jN6thrust23THRUST_200600_302600_NS6detail15normal_iteratorINSA_10device_ptrIxEEEEPS6_NSA_18transform_iteratorI7is_evenIxESF_NSA_11use_defaultESK_EENS0_5tupleIJNSA_16discard_iteratorISK_EESF_EEENSM_IJSG_SG_EEES6_PlJS6_EEE10hipError_tPvRmT3_T4_T5_T6_T7_T9_mT8_P12ihipStream_tbDpT10_ENKUlT_T0_E_clISt17integral_constantIbLb0EES1B_EEDaS16_S17_EUlS16_E_NS1_11comp_targetILNS1_3genE10ELNS1_11target_archE1200ELNS1_3gpuE4ELNS1_3repE0EEENS1_30default_config_static_selectorELNS0_4arch9wavefront6targetE1EEEvT1_
	.p2align	8
	.type	_ZN7rocprim17ROCPRIM_400000_NS6detail17trampoline_kernelINS0_14default_configENS1_25partition_config_selectorILNS1_17partition_subalgoE1ExNS0_10empty_typeEbEEZZNS1_14partition_implILS5_1ELb0ES3_jN6thrust23THRUST_200600_302600_NS6detail15normal_iteratorINSA_10device_ptrIxEEEEPS6_NSA_18transform_iteratorI7is_evenIxESF_NSA_11use_defaultESK_EENS0_5tupleIJNSA_16discard_iteratorISK_EESF_EEENSM_IJSG_SG_EEES6_PlJS6_EEE10hipError_tPvRmT3_T4_T5_T6_T7_T9_mT8_P12ihipStream_tbDpT10_ENKUlT_T0_E_clISt17integral_constantIbLb0EES1B_EEDaS16_S17_EUlS16_E_NS1_11comp_targetILNS1_3genE10ELNS1_11target_archE1200ELNS1_3gpuE4ELNS1_3repE0EEENS1_30default_config_static_selectorELNS0_4arch9wavefront6targetE1EEEvT1_,@function
_ZN7rocprim17ROCPRIM_400000_NS6detail17trampoline_kernelINS0_14default_configENS1_25partition_config_selectorILNS1_17partition_subalgoE1ExNS0_10empty_typeEbEEZZNS1_14partition_implILS5_1ELb0ES3_jN6thrust23THRUST_200600_302600_NS6detail15normal_iteratorINSA_10device_ptrIxEEEEPS6_NSA_18transform_iteratorI7is_evenIxESF_NSA_11use_defaultESK_EENS0_5tupleIJNSA_16discard_iteratorISK_EESF_EEENSM_IJSG_SG_EEES6_PlJS6_EEE10hipError_tPvRmT3_T4_T5_T6_T7_T9_mT8_P12ihipStream_tbDpT10_ENKUlT_T0_E_clISt17integral_constantIbLb0EES1B_EEDaS16_S17_EUlS16_E_NS1_11comp_targetILNS1_3genE10ELNS1_11target_archE1200ELNS1_3gpuE4ELNS1_3repE0EEENS1_30default_config_static_selectorELNS0_4arch9wavefront6targetE1EEEvT1_: ; @_ZN7rocprim17ROCPRIM_400000_NS6detail17trampoline_kernelINS0_14default_configENS1_25partition_config_selectorILNS1_17partition_subalgoE1ExNS0_10empty_typeEbEEZZNS1_14partition_implILS5_1ELb0ES3_jN6thrust23THRUST_200600_302600_NS6detail15normal_iteratorINSA_10device_ptrIxEEEEPS6_NSA_18transform_iteratorI7is_evenIxESF_NSA_11use_defaultESK_EENS0_5tupleIJNSA_16discard_iteratorISK_EESF_EEENSM_IJSG_SG_EEES6_PlJS6_EEE10hipError_tPvRmT3_T4_T5_T6_T7_T9_mT8_P12ihipStream_tbDpT10_ENKUlT_T0_E_clISt17integral_constantIbLb0EES1B_EEDaS16_S17_EUlS16_E_NS1_11comp_targetILNS1_3genE10ELNS1_11target_archE1200ELNS1_3gpuE4ELNS1_3repE0EEENS1_30default_config_static_selectorELNS0_4arch9wavefront6targetE1EEEvT1_
; %bb.0:
	.section	.rodata,"a",@progbits
	.p2align	6, 0x0
	.amdhsa_kernel _ZN7rocprim17ROCPRIM_400000_NS6detail17trampoline_kernelINS0_14default_configENS1_25partition_config_selectorILNS1_17partition_subalgoE1ExNS0_10empty_typeEbEEZZNS1_14partition_implILS5_1ELb0ES3_jN6thrust23THRUST_200600_302600_NS6detail15normal_iteratorINSA_10device_ptrIxEEEEPS6_NSA_18transform_iteratorI7is_evenIxESF_NSA_11use_defaultESK_EENS0_5tupleIJNSA_16discard_iteratorISK_EESF_EEENSM_IJSG_SG_EEES6_PlJS6_EEE10hipError_tPvRmT3_T4_T5_T6_T7_T9_mT8_P12ihipStream_tbDpT10_ENKUlT_T0_E_clISt17integral_constantIbLb0EES1B_EEDaS16_S17_EUlS16_E_NS1_11comp_targetILNS1_3genE10ELNS1_11target_archE1200ELNS1_3gpuE4ELNS1_3repE0EEENS1_30default_config_static_selectorELNS0_4arch9wavefront6targetE1EEEvT1_
		.amdhsa_group_segment_fixed_size 0
		.amdhsa_private_segment_fixed_size 0
		.amdhsa_kernarg_size 136
		.amdhsa_user_sgpr_count 2
		.amdhsa_user_sgpr_dispatch_ptr 0
		.amdhsa_user_sgpr_queue_ptr 0
		.amdhsa_user_sgpr_kernarg_segment_ptr 1
		.amdhsa_user_sgpr_dispatch_id 0
		.amdhsa_user_sgpr_kernarg_preload_length 0
		.amdhsa_user_sgpr_kernarg_preload_offset 0
		.amdhsa_user_sgpr_private_segment_size 0
		.amdhsa_uses_dynamic_stack 0
		.amdhsa_enable_private_segment 0
		.amdhsa_system_sgpr_workgroup_id_x 1
		.amdhsa_system_sgpr_workgroup_id_y 0
		.amdhsa_system_sgpr_workgroup_id_z 0
		.amdhsa_system_sgpr_workgroup_info 0
		.amdhsa_system_vgpr_workitem_id 0
		.amdhsa_next_free_vgpr 1
		.amdhsa_next_free_sgpr 0
		.amdhsa_accum_offset 4
		.amdhsa_reserve_vcc 0
		.amdhsa_float_round_mode_32 0
		.amdhsa_float_round_mode_16_64 0
		.amdhsa_float_denorm_mode_32 3
		.amdhsa_float_denorm_mode_16_64 3
		.amdhsa_dx10_clamp 1
		.amdhsa_ieee_mode 1
		.amdhsa_fp16_overflow 0
		.amdhsa_tg_split 0
		.amdhsa_exception_fp_ieee_invalid_op 0
		.amdhsa_exception_fp_denorm_src 0
		.amdhsa_exception_fp_ieee_div_zero 0
		.amdhsa_exception_fp_ieee_overflow 0
		.amdhsa_exception_fp_ieee_underflow 0
		.amdhsa_exception_fp_ieee_inexact 0
		.amdhsa_exception_int_div_zero 0
	.end_amdhsa_kernel
	.section	.text._ZN7rocprim17ROCPRIM_400000_NS6detail17trampoline_kernelINS0_14default_configENS1_25partition_config_selectorILNS1_17partition_subalgoE1ExNS0_10empty_typeEbEEZZNS1_14partition_implILS5_1ELb0ES3_jN6thrust23THRUST_200600_302600_NS6detail15normal_iteratorINSA_10device_ptrIxEEEEPS6_NSA_18transform_iteratorI7is_evenIxESF_NSA_11use_defaultESK_EENS0_5tupleIJNSA_16discard_iteratorISK_EESF_EEENSM_IJSG_SG_EEES6_PlJS6_EEE10hipError_tPvRmT3_T4_T5_T6_T7_T9_mT8_P12ihipStream_tbDpT10_ENKUlT_T0_E_clISt17integral_constantIbLb0EES1B_EEDaS16_S17_EUlS16_E_NS1_11comp_targetILNS1_3genE10ELNS1_11target_archE1200ELNS1_3gpuE4ELNS1_3repE0EEENS1_30default_config_static_selectorELNS0_4arch9wavefront6targetE1EEEvT1_,"axG",@progbits,_ZN7rocprim17ROCPRIM_400000_NS6detail17trampoline_kernelINS0_14default_configENS1_25partition_config_selectorILNS1_17partition_subalgoE1ExNS0_10empty_typeEbEEZZNS1_14partition_implILS5_1ELb0ES3_jN6thrust23THRUST_200600_302600_NS6detail15normal_iteratorINSA_10device_ptrIxEEEEPS6_NSA_18transform_iteratorI7is_evenIxESF_NSA_11use_defaultESK_EENS0_5tupleIJNSA_16discard_iteratorISK_EESF_EEENSM_IJSG_SG_EEES6_PlJS6_EEE10hipError_tPvRmT3_T4_T5_T6_T7_T9_mT8_P12ihipStream_tbDpT10_ENKUlT_T0_E_clISt17integral_constantIbLb0EES1B_EEDaS16_S17_EUlS16_E_NS1_11comp_targetILNS1_3genE10ELNS1_11target_archE1200ELNS1_3gpuE4ELNS1_3repE0EEENS1_30default_config_static_selectorELNS0_4arch9wavefront6targetE1EEEvT1_,comdat
.Lfunc_end3232:
	.size	_ZN7rocprim17ROCPRIM_400000_NS6detail17trampoline_kernelINS0_14default_configENS1_25partition_config_selectorILNS1_17partition_subalgoE1ExNS0_10empty_typeEbEEZZNS1_14partition_implILS5_1ELb0ES3_jN6thrust23THRUST_200600_302600_NS6detail15normal_iteratorINSA_10device_ptrIxEEEEPS6_NSA_18transform_iteratorI7is_evenIxESF_NSA_11use_defaultESK_EENS0_5tupleIJNSA_16discard_iteratorISK_EESF_EEENSM_IJSG_SG_EEES6_PlJS6_EEE10hipError_tPvRmT3_T4_T5_T6_T7_T9_mT8_P12ihipStream_tbDpT10_ENKUlT_T0_E_clISt17integral_constantIbLb0EES1B_EEDaS16_S17_EUlS16_E_NS1_11comp_targetILNS1_3genE10ELNS1_11target_archE1200ELNS1_3gpuE4ELNS1_3repE0EEENS1_30default_config_static_selectorELNS0_4arch9wavefront6targetE1EEEvT1_, .Lfunc_end3232-_ZN7rocprim17ROCPRIM_400000_NS6detail17trampoline_kernelINS0_14default_configENS1_25partition_config_selectorILNS1_17partition_subalgoE1ExNS0_10empty_typeEbEEZZNS1_14partition_implILS5_1ELb0ES3_jN6thrust23THRUST_200600_302600_NS6detail15normal_iteratorINSA_10device_ptrIxEEEEPS6_NSA_18transform_iteratorI7is_evenIxESF_NSA_11use_defaultESK_EENS0_5tupleIJNSA_16discard_iteratorISK_EESF_EEENSM_IJSG_SG_EEES6_PlJS6_EEE10hipError_tPvRmT3_T4_T5_T6_T7_T9_mT8_P12ihipStream_tbDpT10_ENKUlT_T0_E_clISt17integral_constantIbLb0EES1B_EEDaS16_S17_EUlS16_E_NS1_11comp_targetILNS1_3genE10ELNS1_11target_archE1200ELNS1_3gpuE4ELNS1_3repE0EEENS1_30default_config_static_selectorELNS0_4arch9wavefront6targetE1EEEvT1_
                                        ; -- End function
	.section	.AMDGPU.csdata,"",@progbits
; Kernel info:
; codeLenInByte = 0
; NumSgprs: 6
; NumVgprs: 0
; NumAgprs: 0
; TotalNumVgprs: 0
; ScratchSize: 0
; MemoryBound: 0
; FloatMode: 240
; IeeeMode: 1
; LDSByteSize: 0 bytes/workgroup (compile time only)
; SGPRBlocks: 0
; VGPRBlocks: 0
; NumSGPRsForWavesPerEU: 6
; NumVGPRsForWavesPerEU: 1
; AccumOffset: 4
; Occupancy: 8
; WaveLimiterHint : 0
; COMPUTE_PGM_RSRC2:SCRATCH_EN: 0
; COMPUTE_PGM_RSRC2:USER_SGPR: 2
; COMPUTE_PGM_RSRC2:TRAP_HANDLER: 0
; COMPUTE_PGM_RSRC2:TGID_X_EN: 1
; COMPUTE_PGM_RSRC2:TGID_Y_EN: 0
; COMPUTE_PGM_RSRC2:TGID_Z_EN: 0
; COMPUTE_PGM_RSRC2:TIDIG_COMP_CNT: 0
; COMPUTE_PGM_RSRC3_GFX90A:ACCUM_OFFSET: 0
; COMPUTE_PGM_RSRC3_GFX90A:TG_SPLIT: 0
	.section	.text._ZN7rocprim17ROCPRIM_400000_NS6detail17trampoline_kernelINS0_14default_configENS1_25partition_config_selectorILNS1_17partition_subalgoE1ExNS0_10empty_typeEbEEZZNS1_14partition_implILS5_1ELb0ES3_jN6thrust23THRUST_200600_302600_NS6detail15normal_iteratorINSA_10device_ptrIxEEEEPS6_NSA_18transform_iteratorI7is_evenIxESF_NSA_11use_defaultESK_EENS0_5tupleIJNSA_16discard_iteratorISK_EESF_EEENSM_IJSG_SG_EEES6_PlJS6_EEE10hipError_tPvRmT3_T4_T5_T6_T7_T9_mT8_P12ihipStream_tbDpT10_ENKUlT_T0_E_clISt17integral_constantIbLb0EES1B_EEDaS16_S17_EUlS16_E_NS1_11comp_targetILNS1_3genE9ELNS1_11target_archE1100ELNS1_3gpuE3ELNS1_3repE0EEENS1_30default_config_static_selectorELNS0_4arch9wavefront6targetE1EEEvT1_,"axG",@progbits,_ZN7rocprim17ROCPRIM_400000_NS6detail17trampoline_kernelINS0_14default_configENS1_25partition_config_selectorILNS1_17partition_subalgoE1ExNS0_10empty_typeEbEEZZNS1_14partition_implILS5_1ELb0ES3_jN6thrust23THRUST_200600_302600_NS6detail15normal_iteratorINSA_10device_ptrIxEEEEPS6_NSA_18transform_iteratorI7is_evenIxESF_NSA_11use_defaultESK_EENS0_5tupleIJNSA_16discard_iteratorISK_EESF_EEENSM_IJSG_SG_EEES6_PlJS6_EEE10hipError_tPvRmT3_T4_T5_T6_T7_T9_mT8_P12ihipStream_tbDpT10_ENKUlT_T0_E_clISt17integral_constantIbLb0EES1B_EEDaS16_S17_EUlS16_E_NS1_11comp_targetILNS1_3genE9ELNS1_11target_archE1100ELNS1_3gpuE3ELNS1_3repE0EEENS1_30default_config_static_selectorELNS0_4arch9wavefront6targetE1EEEvT1_,comdat
	.protected	_ZN7rocprim17ROCPRIM_400000_NS6detail17trampoline_kernelINS0_14default_configENS1_25partition_config_selectorILNS1_17partition_subalgoE1ExNS0_10empty_typeEbEEZZNS1_14partition_implILS5_1ELb0ES3_jN6thrust23THRUST_200600_302600_NS6detail15normal_iteratorINSA_10device_ptrIxEEEEPS6_NSA_18transform_iteratorI7is_evenIxESF_NSA_11use_defaultESK_EENS0_5tupleIJNSA_16discard_iteratorISK_EESF_EEENSM_IJSG_SG_EEES6_PlJS6_EEE10hipError_tPvRmT3_T4_T5_T6_T7_T9_mT8_P12ihipStream_tbDpT10_ENKUlT_T0_E_clISt17integral_constantIbLb0EES1B_EEDaS16_S17_EUlS16_E_NS1_11comp_targetILNS1_3genE9ELNS1_11target_archE1100ELNS1_3gpuE3ELNS1_3repE0EEENS1_30default_config_static_selectorELNS0_4arch9wavefront6targetE1EEEvT1_ ; -- Begin function _ZN7rocprim17ROCPRIM_400000_NS6detail17trampoline_kernelINS0_14default_configENS1_25partition_config_selectorILNS1_17partition_subalgoE1ExNS0_10empty_typeEbEEZZNS1_14partition_implILS5_1ELb0ES3_jN6thrust23THRUST_200600_302600_NS6detail15normal_iteratorINSA_10device_ptrIxEEEEPS6_NSA_18transform_iteratorI7is_evenIxESF_NSA_11use_defaultESK_EENS0_5tupleIJNSA_16discard_iteratorISK_EESF_EEENSM_IJSG_SG_EEES6_PlJS6_EEE10hipError_tPvRmT3_T4_T5_T6_T7_T9_mT8_P12ihipStream_tbDpT10_ENKUlT_T0_E_clISt17integral_constantIbLb0EES1B_EEDaS16_S17_EUlS16_E_NS1_11comp_targetILNS1_3genE9ELNS1_11target_archE1100ELNS1_3gpuE3ELNS1_3repE0EEENS1_30default_config_static_selectorELNS0_4arch9wavefront6targetE1EEEvT1_
	.globl	_ZN7rocprim17ROCPRIM_400000_NS6detail17trampoline_kernelINS0_14default_configENS1_25partition_config_selectorILNS1_17partition_subalgoE1ExNS0_10empty_typeEbEEZZNS1_14partition_implILS5_1ELb0ES3_jN6thrust23THRUST_200600_302600_NS6detail15normal_iteratorINSA_10device_ptrIxEEEEPS6_NSA_18transform_iteratorI7is_evenIxESF_NSA_11use_defaultESK_EENS0_5tupleIJNSA_16discard_iteratorISK_EESF_EEENSM_IJSG_SG_EEES6_PlJS6_EEE10hipError_tPvRmT3_T4_T5_T6_T7_T9_mT8_P12ihipStream_tbDpT10_ENKUlT_T0_E_clISt17integral_constantIbLb0EES1B_EEDaS16_S17_EUlS16_E_NS1_11comp_targetILNS1_3genE9ELNS1_11target_archE1100ELNS1_3gpuE3ELNS1_3repE0EEENS1_30default_config_static_selectorELNS0_4arch9wavefront6targetE1EEEvT1_
	.p2align	8
	.type	_ZN7rocprim17ROCPRIM_400000_NS6detail17trampoline_kernelINS0_14default_configENS1_25partition_config_selectorILNS1_17partition_subalgoE1ExNS0_10empty_typeEbEEZZNS1_14partition_implILS5_1ELb0ES3_jN6thrust23THRUST_200600_302600_NS6detail15normal_iteratorINSA_10device_ptrIxEEEEPS6_NSA_18transform_iteratorI7is_evenIxESF_NSA_11use_defaultESK_EENS0_5tupleIJNSA_16discard_iteratorISK_EESF_EEENSM_IJSG_SG_EEES6_PlJS6_EEE10hipError_tPvRmT3_T4_T5_T6_T7_T9_mT8_P12ihipStream_tbDpT10_ENKUlT_T0_E_clISt17integral_constantIbLb0EES1B_EEDaS16_S17_EUlS16_E_NS1_11comp_targetILNS1_3genE9ELNS1_11target_archE1100ELNS1_3gpuE3ELNS1_3repE0EEENS1_30default_config_static_selectorELNS0_4arch9wavefront6targetE1EEEvT1_,@function
_ZN7rocprim17ROCPRIM_400000_NS6detail17trampoline_kernelINS0_14default_configENS1_25partition_config_selectorILNS1_17partition_subalgoE1ExNS0_10empty_typeEbEEZZNS1_14partition_implILS5_1ELb0ES3_jN6thrust23THRUST_200600_302600_NS6detail15normal_iteratorINSA_10device_ptrIxEEEEPS6_NSA_18transform_iteratorI7is_evenIxESF_NSA_11use_defaultESK_EENS0_5tupleIJNSA_16discard_iteratorISK_EESF_EEENSM_IJSG_SG_EEES6_PlJS6_EEE10hipError_tPvRmT3_T4_T5_T6_T7_T9_mT8_P12ihipStream_tbDpT10_ENKUlT_T0_E_clISt17integral_constantIbLb0EES1B_EEDaS16_S17_EUlS16_E_NS1_11comp_targetILNS1_3genE9ELNS1_11target_archE1100ELNS1_3gpuE3ELNS1_3repE0EEENS1_30default_config_static_selectorELNS0_4arch9wavefront6targetE1EEEvT1_: ; @_ZN7rocprim17ROCPRIM_400000_NS6detail17trampoline_kernelINS0_14default_configENS1_25partition_config_selectorILNS1_17partition_subalgoE1ExNS0_10empty_typeEbEEZZNS1_14partition_implILS5_1ELb0ES3_jN6thrust23THRUST_200600_302600_NS6detail15normal_iteratorINSA_10device_ptrIxEEEEPS6_NSA_18transform_iteratorI7is_evenIxESF_NSA_11use_defaultESK_EENS0_5tupleIJNSA_16discard_iteratorISK_EESF_EEENSM_IJSG_SG_EEES6_PlJS6_EEE10hipError_tPvRmT3_T4_T5_T6_T7_T9_mT8_P12ihipStream_tbDpT10_ENKUlT_T0_E_clISt17integral_constantIbLb0EES1B_EEDaS16_S17_EUlS16_E_NS1_11comp_targetILNS1_3genE9ELNS1_11target_archE1100ELNS1_3gpuE3ELNS1_3repE0EEENS1_30default_config_static_selectorELNS0_4arch9wavefront6targetE1EEEvT1_
; %bb.0:
	.section	.rodata,"a",@progbits
	.p2align	6, 0x0
	.amdhsa_kernel _ZN7rocprim17ROCPRIM_400000_NS6detail17trampoline_kernelINS0_14default_configENS1_25partition_config_selectorILNS1_17partition_subalgoE1ExNS0_10empty_typeEbEEZZNS1_14partition_implILS5_1ELb0ES3_jN6thrust23THRUST_200600_302600_NS6detail15normal_iteratorINSA_10device_ptrIxEEEEPS6_NSA_18transform_iteratorI7is_evenIxESF_NSA_11use_defaultESK_EENS0_5tupleIJNSA_16discard_iteratorISK_EESF_EEENSM_IJSG_SG_EEES6_PlJS6_EEE10hipError_tPvRmT3_T4_T5_T6_T7_T9_mT8_P12ihipStream_tbDpT10_ENKUlT_T0_E_clISt17integral_constantIbLb0EES1B_EEDaS16_S17_EUlS16_E_NS1_11comp_targetILNS1_3genE9ELNS1_11target_archE1100ELNS1_3gpuE3ELNS1_3repE0EEENS1_30default_config_static_selectorELNS0_4arch9wavefront6targetE1EEEvT1_
		.amdhsa_group_segment_fixed_size 0
		.amdhsa_private_segment_fixed_size 0
		.amdhsa_kernarg_size 136
		.amdhsa_user_sgpr_count 2
		.amdhsa_user_sgpr_dispatch_ptr 0
		.amdhsa_user_sgpr_queue_ptr 0
		.amdhsa_user_sgpr_kernarg_segment_ptr 1
		.amdhsa_user_sgpr_dispatch_id 0
		.amdhsa_user_sgpr_kernarg_preload_length 0
		.amdhsa_user_sgpr_kernarg_preload_offset 0
		.amdhsa_user_sgpr_private_segment_size 0
		.amdhsa_uses_dynamic_stack 0
		.amdhsa_enable_private_segment 0
		.amdhsa_system_sgpr_workgroup_id_x 1
		.amdhsa_system_sgpr_workgroup_id_y 0
		.amdhsa_system_sgpr_workgroup_id_z 0
		.amdhsa_system_sgpr_workgroup_info 0
		.amdhsa_system_vgpr_workitem_id 0
		.amdhsa_next_free_vgpr 1
		.amdhsa_next_free_sgpr 0
		.amdhsa_accum_offset 4
		.amdhsa_reserve_vcc 0
		.amdhsa_float_round_mode_32 0
		.amdhsa_float_round_mode_16_64 0
		.amdhsa_float_denorm_mode_32 3
		.amdhsa_float_denorm_mode_16_64 3
		.amdhsa_dx10_clamp 1
		.amdhsa_ieee_mode 1
		.amdhsa_fp16_overflow 0
		.amdhsa_tg_split 0
		.amdhsa_exception_fp_ieee_invalid_op 0
		.amdhsa_exception_fp_denorm_src 0
		.amdhsa_exception_fp_ieee_div_zero 0
		.amdhsa_exception_fp_ieee_overflow 0
		.amdhsa_exception_fp_ieee_underflow 0
		.amdhsa_exception_fp_ieee_inexact 0
		.amdhsa_exception_int_div_zero 0
	.end_amdhsa_kernel
	.section	.text._ZN7rocprim17ROCPRIM_400000_NS6detail17trampoline_kernelINS0_14default_configENS1_25partition_config_selectorILNS1_17partition_subalgoE1ExNS0_10empty_typeEbEEZZNS1_14partition_implILS5_1ELb0ES3_jN6thrust23THRUST_200600_302600_NS6detail15normal_iteratorINSA_10device_ptrIxEEEEPS6_NSA_18transform_iteratorI7is_evenIxESF_NSA_11use_defaultESK_EENS0_5tupleIJNSA_16discard_iteratorISK_EESF_EEENSM_IJSG_SG_EEES6_PlJS6_EEE10hipError_tPvRmT3_T4_T5_T6_T7_T9_mT8_P12ihipStream_tbDpT10_ENKUlT_T0_E_clISt17integral_constantIbLb0EES1B_EEDaS16_S17_EUlS16_E_NS1_11comp_targetILNS1_3genE9ELNS1_11target_archE1100ELNS1_3gpuE3ELNS1_3repE0EEENS1_30default_config_static_selectorELNS0_4arch9wavefront6targetE1EEEvT1_,"axG",@progbits,_ZN7rocprim17ROCPRIM_400000_NS6detail17trampoline_kernelINS0_14default_configENS1_25partition_config_selectorILNS1_17partition_subalgoE1ExNS0_10empty_typeEbEEZZNS1_14partition_implILS5_1ELb0ES3_jN6thrust23THRUST_200600_302600_NS6detail15normal_iteratorINSA_10device_ptrIxEEEEPS6_NSA_18transform_iteratorI7is_evenIxESF_NSA_11use_defaultESK_EENS0_5tupleIJNSA_16discard_iteratorISK_EESF_EEENSM_IJSG_SG_EEES6_PlJS6_EEE10hipError_tPvRmT3_T4_T5_T6_T7_T9_mT8_P12ihipStream_tbDpT10_ENKUlT_T0_E_clISt17integral_constantIbLb0EES1B_EEDaS16_S17_EUlS16_E_NS1_11comp_targetILNS1_3genE9ELNS1_11target_archE1100ELNS1_3gpuE3ELNS1_3repE0EEENS1_30default_config_static_selectorELNS0_4arch9wavefront6targetE1EEEvT1_,comdat
.Lfunc_end3233:
	.size	_ZN7rocprim17ROCPRIM_400000_NS6detail17trampoline_kernelINS0_14default_configENS1_25partition_config_selectorILNS1_17partition_subalgoE1ExNS0_10empty_typeEbEEZZNS1_14partition_implILS5_1ELb0ES3_jN6thrust23THRUST_200600_302600_NS6detail15normal_iteratorINSA_10device_ptrIxEEEEPS6_NSA_18transform_iteratorI7is_evenIxESF_NSA_11use_defaultESK_EENS0_5tupleIJNSA_16discard_iteratorISK_EESF_EEENSM_IJSG_SG_EEES6_PlJS6_EEE10hipError_tPvRmT3_T4_T5_T6_T7_T9_mT8_P12ihipStream_tbDpT10_ENKUlT_T0_E_clISt17integral_constantIbLb0EES1B_EEDaS16_S17_EUlS16_E_NS1_11comp_targetILNS1_3genE9ELNS1_11target_archE1100ELNS1_3gpuE3ELNS1_3repE0EEENS1_30default_config_static_selectorELNS0_4arch9wavefront6targetE1EEEvT1_, .Lfunc_end3233-_ZN7rocprim17ROCPRIM_400000_NS6detail17trampoline_kernelINS0_14default_configENS1_25partition_config_selectorILNS1_17partition_subalgoE1ExNS0_10empty_typeEbEEZZNS1_14partition_implILS5_1ELb0ES3_jN6thrust23THRUST_200600_302600_NS6detail15normal_iteratorINSA_10device_ptrIxEEEEPS6_NSA_18transform_iteratorI7is_evenIxESF_NSA_11use_defaultESK_EENS0_5tupleIJNSA_16discard_iteratorISK_EESF_EEENSM_IJSG_SG_EEES6_PlJS6_EEE10hipError_tPvRmT3_T4_T5_T6_T7_T9_mT8_P12ihipStream_tbDpT10_ENKUlT_T0_E_clISt17integral_constantIbLb0EES1B_EEDaS16_S17_EUlS16_E_NS1_11comp_targetILNS1_3genE9ELNS1_11target_archE1100ELNS1_3gpuE3ELNS1_3repE0EEENS1_30default_config_static_selectorELNS0_4arch9wavefront6targetE1EEEvT1_
                                        ; -- End function
	.section	.AMDGPU.csdata,"",@progbits
; Kernel info:
; codeLenInByte = 0
; NumSgprs: 6
; NumVgprs: 0
; NumAgprs: 0
; TotalNumVgprs: 0
; ScratchSize: 0
; MemoryBound: 0
; FloatMode: 240
; IeeeMode: 1
; LDSByteSize: 0 bytes/workgroup (compile time only)
; SGPRBlocks: 0
; VGPRBlocks: 0
; NumSGPRsForWavesPerEU: 6
; NumVGPRsForWavesPerEU: 1
; AccumOffset: 4
; Occupancy: 8
; WaveLimiterHint : 0
; COMPUTE_PGM_RSRC2:SCRATCH_EN: 0
; COMPUTE_PGM_RSRC2:USER_SGPR: 2
; COMPUTE_PGM_RSRC2:TRAP_HANDLER: 0
; COMPUTE_PGM_RSRC2:TGID_X_EN: 1
; COMPUTE_PGM_RSRC2:TGID_Y_EN: 0
; COMPUTE_PGM_RSRC2:TGID_Z_EN: 0
; COMPUTE_PGM_RSRC2:TIDIG_COMP_CNT: 0
; COMPUTE_PGM_RSRC3_GFX90A:ACCUM_OFFSET: 0
; COMPUTE_PGM_RSRC3_GFX90A:TG_SPLIT: 0
	.section	.text._ZN7rocprim17ROCPRIM_400000_NS6detail17trampoline_kernelINS0_14default_configENS1_25partition_config_selectorILNS1_17partition_subalgoE1ExNS0_10empty_typeEbEEZZNS1_14partition_implILS5_1ELb0ES3_jN6thrust23THRUST_200600_302600_NS6detail15normal_iteratorINSA_10device_ptrIxEEEEPS6_NSA_18transform_iteratorI7is_evenIxESF_NSA_11use_defaultESK_EENS0_5tupleIJNSA_16discard_iteratorISK_EESF_EEENSM_IJSG_SG_EEES6_PlJS6_EEE10hipError_tPvRmT3_T4_T5_T6_T7_T9_mT8_P12ihipStream_tbDpT10_ENKUlT_T0_E_clISt17integral_constantIbLb0EES1B_EEDaS16_S17_EUlS16_E_NS1_11comp_targetILNS1_3genE8ELNS1_11target_archE1030ELNS1_3gpuE2ELNS1_3repE0EEENS1_30default_config_static_selectorELNS0_4arch9wavefront6targetE1EEEvT1_,"axG",@progbits,_ZN7rocprim17ROCPRIM_400000_NS6detail17trampoline_kernelINS0_14default_configENS1_25partition_config_selectorILNS1_17partition_subalgoE1ExNS0_10empty_typeEbEEZZNS1_14partition_implILS5_1ELb0ES3_jN6thrust23THRUST_200600_302600_NS6detail15normal_iteratorINSA_10device_ptrIxEEEEPS6_NSA_18transform_iteratorI7is_evenIxESF_NSA_11use_defaultESK_EENS0_5tupleIJNSA_16discard_iteratorISK_EESF_EEENSM_IJSG_SG_EEES6_PlJS6_EEE10hipError_tPvRmT3_T4_T5_T6_T7_T9_mT8_P12ihipStream_tbDpT10_ENKUlT_T0_E_clISt17integral_constantIbLb0EES1B_EEDaS16_S17_EUlS16_E_NS1_11comp_targetILNS1_3genE8ELNS1_11target_archE1030ELNS1_3gpuE2ELNS1_3repE0EEENS1_30default_config_static_selectorELNS0_4arch9wavefront6targetE1EEEvT1_,comdat
	.protected	_ZN7rocprim17ROCPRIM_400000_NS6detail17trampoline_kernelINS0_14default_configENS1_25partition_config_selectorILNS1_17partition_subalgoE1ExNS0_10empty_typeEbEEZZNS1_14partition_implILS5_1ELb0ES3_jN6thrust23THRUST_200600_302600_NS6detail15normal_iteratorINSA_10device_ptrIxEEEEPS6_NSA_18transform_iteratorI7is_evenIxESF_NSA_11use_defaultESK_EENS0_5tupleIJNSA_16discard_iteratorISK_EESF_EEENSM_IJSG_SG_EEES6_PlJS6_EEE10hipError_tPvRmT3_T4_T5_T6_T7_T9_mT8_P12ihipStream_tbDpT10_ENKUlT_T0_E_clISt17integral_constantIbLb0EES1B_EEDaS16_S17_EUlS16_E_NS1_11comp_targetILNS1_3genE8ELNS1_11target_archE1030ELNS1_3gpuE2ELNS1_3repE0EEENS1_30default_config_static_selectorELNS0_4arch9wavefront6targetE1EEEvT1_ ; -- Begin function _ZN7rocprim17ROCPRIM_400000_NS6detail17trampoline_kernelINS0_14default_configENS1_25partition_config_selectorILNS1_17partition_subalgoE1ExNS0_10empty_typeEbEEZZNS1_14partition_implILS5_1ELb0ES3_jN6thrust23THRUST_200600_302600_NS6detail15normal_iteratorINSA_10device_ptrIxEEEEPS6_NSA_18transform_iteratorI7is_evenIxESF_NSA_11use_defaultESK_EENS0_5tupleIJNSA_16discard_iteratorISK_EESF_EEENSM_IJSG_SG_EEES6_PlJS6_EEE10hipError_tPvRmT3_T4_T5_T6_T7_T9_mT8_P12ihipStream_tbDpT10_ENKUlT_T0_E_clISt17integral_constantIbLb0EES1B_EEDaS16_S17_EUlS16_E_NS1_11comp_targetILNS1_3genE8ELNS1_11target_archE1030ELNS1_3gpuE2ELNS1_3repE0EEENS1_30default_config_static_selectorELNS0_4arch9wavefront6targetE1EEEvT1_
	.globl	_ZN7rocprim17ROCPRIM_400000_NS6detail17trampoline_kernelINS0_14default_configENS1_25partition_config_selectorILNS1_17partition_subalgoE1ExNS0_10empty_typeEbEEZZNS1_14partition_implILS5_1ELb0ES3_jN6thrust23THRUST_200600_302600_NS6detail15normal_iteratorINSA_10device_ptrIxEEEEPS6_NSA_18transform_iteratorI7is_evenIxESF_NSA_11use_defaultESK_EENS0_5tupleIJNSA_16discard_iteratorISK_EESF_EEENSM_IJSG_SG_EEES6_PlJS6_EEE10hipError_tPvRmT3_T4_T5_T6_T7_T9_mT8_P12ihipStream_tbDpT10_ENKUlT_T0_E_clISt17integral_constantIbLb0EES1B_EEDaS16_S17_EUlS16_E_NS1_11comp_targetILNS1_3genE8ELNS1_11target_archE1030ELNS1_3gpuE2ELNS1_3repE0EEENS1_30default_config_static_selectorELNS0_4arch9wavefront6targetE1EEEvT1_
	.p2align	8
	.type	_ZN7rocprim17ROCPRIM_400000_NS6detail17trampoline_kernelINS0_14default_configENS1_25partition_config_selectorILNS1_17partition_subalgoE1ExNS0_10empty_typeEbEEZZNS1_14partition_implILS5_1ELb0ES3_jN6thrust23THRUST_200600_302600_NS6detail15normal_iteratorINSA_10device_ptrIxEEEEPS6_NSA_18transform_iteratorI7is_evenIxESF_NSA_11use_defaultESK_EENS0_5tupleIJNSA_16discard_iteratorISK_EESF_EEENSM_IJSG_SG_EEES6_PlJS6_EEE10hipError_tPvRmT3_T4_T5_T6_T7_T9_mT8_P12ihipStream_tbDpT10_ENKUlT_T0_E_clISt17integral_constantIbLb0EES1B_EEDaS16_S17_EUlS16_E_NS1_11comp_targetILNS1_3genE8ELNS1_11target_archE1030ELNS1_3gpuE2ELNS1_3repE0EEENS1_30default_config_static_selectorELNS0_4arch9wavefront6targetE1EEEvT1_,@function
_ZN7rocprim17ROCPRIM_400000_NS6detail17trampoline_kernelINS0_14default_configENS1_25partition_config_selectorILNS1_17partition_subalgoE1ExNS0_10empty_typeEbEEZZNS1_14partition_implILS5_1ELb0ES3_jN6thrust23THRUST_200600_302600_NS6detail15normal_iteratorINSA_10device_ptrIxEEEEPS6_NSA_18transform_iteratorI7is_evenIxESF_NSA_11use_defaultESK_EENS0_5tupleIJNSA_16discard_iteratorISK_EESF_EEENSM_IJSG_SG_EEES6_PlJS6_EEE10hipError_tPvRmT3_T4_T5_T6_T7_T9_mT8_P12ihipStream_tbDpT10_ENKUlT_T0_E_clISt17integral_constantIbLb0EES1B_EEDaS16_S17_EUlS16_E_NS1_11comp_targetILNS1_3genE8ELNS1_11target_archE1030ELNS1_3gpuE2ELNS1_3repE0EEENS1_30default_config_static_selectorELNS0_4arch9wavefront6targetE1EEEvT1_: ; @_ZN7rocprim17ROCPRIM_400000_NS6detail17trampoline_kernelINS0_14default_configENS1_25partition_config_selectorILNS1_17partition_subalgoE1ExNS0_10empty_typeEbEEZZNS1_14partition_implILS5_1ELb0ES3_jN6thrust23THRUST_200600_302600_NS6detail15normal_iteratorINSA_10device_ptrIxEEEEPS6_NSA_18transform_iteratorI7is_evenIxESF_NSA_11use_defaultESK_EENS0_5tupleIJNSA_16discard_iteratorISK_EESF_EEENSM_IJSG_SG_EEES6_PlJS6_EEE10hipError_tPvRmT3_T4_T5_T6_T7_T9_mT8_P12ihipStream_tbDpT10_ENKUlT_T0_E_clISt17integral_constantIbLb0EES1B_EEDaS16_S17_EUlS16_E_NS1_11comp_targetILNS1_3genE8ELNS1_11target_archE1030ELNS1_3gpuE2ELNS1_3repE0EEENS1_30default_config_static_selectorELNS0_4arch9wavefront6targetE1EEEvT1_
; %bb.0:
	.section	.rodata,"a",@progbits
	.p2align	6, 0x0
	.amdhsa_kernel _ZN7rocprim17ROCPRIM_400000_NS6detail17trampoline_kernelINS0_14default_configENS1_25partition_config_selectorILNS1_17partition_subalgoE1ExNS0_10empty_typeEbEEZZNS1_14partition_implILS5_1ELb0ES3_jN6thrust23THRUST_200600_302600_NS6detail15normal_iteratorINSA_10device_ptrIxEEEEPS6_NSA_18transform_iteratorI7is_evenIxESF_NSA_11use_defaultESK_EENS0_5tupleIJNSA_16discard_iteratorISK_EESF_EEENSM_IJSG_SG_EEES6_PlJS6_EEE10hipError_tPvRmT3_T4_T5_T6_T7_T9_mT8_P12ihipStream_tbDpT10_ENKUlT_T0_E_clISt17integral_constantIbLb0EES1B_EEDaS16_S17_EUlS16_E_NS1_11comp_targetILNS1_3genE8ELNS1_11target_archE1030ELNS1_3gpuE2ELNS1_3repE0EEENS1_30default_config_static_selectorELNS0_4arch9wavefront6targetE1EEEvT1_
		.amdhsa_group_segment_fixed_size 0
		.amdhsa_private_segment_fixed_size 0
		.amdhsa_kernarg_size 136
		.amdhsa_user_sgpr_count 2
		.amdhsa_user_sgpr_dispatch_ptr 0
		.amdhsa_user_sgpr_queue_ptr 0
		.amdhsa_user_sgpr_kernarg_segment_ptr 1
		.amdhsa_user_sgpr_dispatch_id 0
		.amdhsa_user_sgpr_kernarg_preload_length 0
		.amdhsa_user_sgpr_kernarg_preload_offset 0
		.amdhsa_user_sgpr_private_segment_size 0
		.amdhsa_uses_dynamic_stack 0
		.amdhsa_enable_private_segment 0
		.amdhsa_system_sgpr_workgroup_id_x 1
		.amdhsa_system_sgpr_workgroup_id_y 0
		.amdhsa_system_sgpr_workgroup_id_z 0
		.amdhsa_system_sgpr_workgroup_info 0
		.amdhsa_system_vgpr_workitem_id 0
		.amdhsa_next_free_vgpr 1
		.amdhsa_next_free_sgpr 0
		.amdhsa_accum_offset 4
		.amdhsa_reserve_vcc 0
		.amdhsa_float_round_mode_32 0
		.amdhsa_float_round_mode_16_64 0
		.amdhsa_float_denorm_mode_32 3
		.amdhsa_float_denorm_mode_16_64 3
		.amdhsa_dx10_clamp 1
		.amdhsa_ieee_mode 1
		.amdhsa_fp16_overflow 0
		.amdhsa_tg_split 0
		.amdhsa_exception_fp_ieee_invalid_op 0
		.amdhsa_exception_fp_denorm_src 0
		.amdhsa_exception_fp_ieee_div_zero 0
		.amdhsa_exception_fp_ieee_overflow 0
		.amdhsa_exception_fp_ieee_underflow 0
		.amdhsa_exception_fp_ieee_inexact 0
		.amdhsa_exception_int_div_zero 0
	.end_amdhsa_kernel
	.section	.text._ZN7rocprim17ROCPRIM_400000_NS6detail17trampoline_kernelINS0_14default_configENS1_25partition_config_selectorILNS1_17partition_subalgoE1ExNS0_10empty_typeEbEEZZNS1_14partition_implILS5_1ELb0ES3_jN6thrust23THRUST_200600_302600_NS6detail15normal_iteratorINSA_10device_ptrIxEEEEPS6_NSA_18transform_iteratorI7is_evenIxESF_NSA_11use_defaultESK_EENS0_5tupleIJNSA_16discard_iteratorISK_EESF_EEENSM_IJSG_SG_EEES6_PlJS6_EEE10hipError_tPvRmT3_T4_T5_T6_T7_T9_mT8_P12ihipStream_tbDpT10_ENKUlT_T0_E_clISt17integral_constantIbLb0EES1B_EEDaS16_S17_EUlS16_E_NS1_11comp_targetILNS1_3genE8ELNS1_11target_archE1030ELNS1_3gpuE2ELNS1_3repE0EEENS1_30default_config_static_selectorELNS0_4arch9wavefront6targetE1EEEvT1_,"axG",@progbits,_ZN7rocprim17ROCPRIM_400000_NS6detail17trampoline_kernelINS0_14default_configENS1_25partition_config_selectorILNS1_17partition_subalgoE1ExNS0_10empty_typeEbEEZZNS1_14partition_implILS5_1ELb0ES3_jN6thrust23THRUST_200600_302600_NS6detail15normal_iteratorINSA_10device_ptrIxEEEEPS6_NSA_18transform_iteratorI7is_evenIxESF_NSA_11use_defaultESK_EENS0_5tupleIJNSA_16discard_iteratorISK_EESF_EEENSM_IJSG_SG_EEES6_PlJS6_EEE10hipError_tPvRmT3_T4_T5_T6_T7_T9_mT8_P12ihipStream_tbDpT10_ENKUlT_T0_E_clISt17integral_constantIbLb0EES1B_EEDaS16_S17_EUlS16_E_NS1_11comp_targetILNS1_3genE8ELNS1_11target_archE1030ELNS1_3gpuE2ELNS1_3repE0EEENS1_30default_config_static_selectorELNS0_4arch9wavefront6targetE1EEEvT1_,comdat
.Lfunc_end3234:
	.size	_ZN7rocprim17ROCPRIM_400000_NS6detail17trampoline_kernelINS0_14default_configENS1_25partition_config_selectorILNS1_17partition_subalgoE1ExNS0_10empty_typeEbEEZZNS1_14partition_implILS5_1ELb0ES3_jN6thrust23THRUST_200600_302600_NS6detail15normal_iteratorINSA_10device_ptrIxEEEEPS6_NSA_18transform_iteratorI7is_evenIxESF_NSA_11use_defaultESK_EENS0_5tupleIJNSA_16discard_iteratorISK_EESF_EEENSM_IJSG_SG_EEES6_PlJS6_EEE10hipError_tPvRmT3_T4_T5_T6_T7_T9_mT8_P12ihipStream_tbDpT10_ENKUlT_T0_E_clISt17integral_constantIbLb0EES1B_EEDaS16_S17_EUlS16_E_NS1_11comp_targetILNS1_3genE8ELNS1_11target_archE1030ELNS1_3gpuE2ELNS1_3repE0EEENS1_30default_config_static_selectorELNS0_4arch9wavefront6targetE1EEEvT1_, .Lfunc_end3234-_ZN7rocprim17ROCPRIM_400000_NS6detail17trampoline_kernelINS0_14default_configENS1_25partition_config_selectorILNS1_17partition_subalgoE1ExNS0_10empty_typeEbEEZZNS1_14partition_implILS5_1ELb0ES3_jN6thrust23THRUST_200600_302600_NS6detail15normal_iteratorINSA_10device_ptrIxEEEEPS6_NSA_18transform_iteratorI7is_evenIxESF_NSA_11use_defaultESK_EENS0_5tupleIJNSA_16discard_iteratorISK_EESF_EEENSM_IJSG_SG_EEES6_PlJS6_EEE10hipError_tPvRmT3_T4_T5_T6_T7_T9_mT8_P12ihipStream_tbDpT10_ENKUlT_T0_E_clISt17integral_constantIbLb0EES1B_EEDaS16_S17_EUlS16_E_NS1_11comp_targetILNS1_3genE8ELNS1_11target_archE1030ELNS1_3gpuE2ELNS1_3repE0EEENS1_30default_config_static_selectorELNS0_4arch9wavefront6targetE1EEEvT1_
                                        ; -- End function
	.section	.AMDGPU.csdata,"",@progbits
; Kernel info:
; codeLenInByte = 0
; NumSgprs: 6
; NumVgprs: 0
; NumAgprs: 0
; TotalNumVgprs: 0
; ScratchSize: 0
; MemoryBound: 0
; FloatMode: 240
; IeeeMode: 1
; LDSByteSize: 0 bytes/workgroup (compile time only)
; SGPRBlocks: 0
; VGPRBlocks: 0
; NumSGPRsForWavesPerEU: 6
; NumVGPRsForWavesPerEU: 1
; AccumOffset: 4
; Occupancy: 8
; WaveLimiterHint : 0
; COMPUTE_PGM_RSRC2:SCRATCH_EN: 0
; COMPUTE_PGM_RSRC2:USER_SGPR: 2
; COMPUTE_PGM_RSRC2:TRAP_HANDLER: 0
; COMPUTE_PGM_RSRC2:TGID_X_EN: 1
; COMPUTE_PGM_RSRC2:TGID_Y_EN: 0
; COMPUTE_PGM_RSRC2:TGID_Z_EN: 0
; COMPUTE_PGM_RSRC2:TIDIG_COMP_CNT: 0
; COMPUTE_PGM_RSRC3_GFX90A:ACCUM_OFFSET: 0
; COMPUTE_PGM_RSRC3_GFX90A:TG_SPLIT: 0
	.section	.text._ZN7rocprim17ROCPRIM_400000_NS6detail17trampoline_kernelINS0_14default_configENS1_25partition_config_selectorILNS1_17partition_subalgoE1ExNS0_10empty_typeEbEEZZNS1_14partition_implILS5_1ELb0ES3_jN6thrust23THRUST_200600_302600_NS6detail15normal_iteratorINSA_10device_ptrIxEEEEPS6_NSA_18transform_iteratorI7is_evenIxESF_NSA_11use_defaultESK_EENS0_5tupleIJNSA_16discard_iteratorISK_EESF_EEENSM_IJSG_SG_EEES6_PlJS6_EEE10hipError_tPvRmT3_T4_T5_T6_T7_T9_mT8_P12ihipStream_tbDpT10_ENKUlT_T0_E_clISt17integral_constantIbLb1EES1B_EEDaS16_S17_EUlS16_E_NS1_11comp_targetILNS1_3genE0ELNS1_11target_archE4294967295ELNS1_3gpuE0ELNS1_3repE0EEENS1_30default_config_static_selectorELNS0_4arch9wavefront6targetE1EEEvT1_,"axG",@progbits,_ZN7rocprim17ROCPRIM_400000_NS6detail17trampoline_kernelINS0_14default_configENS1_25partition_config_selectorILNS1_17partition_subalgoE1ExNS0_10empty_typeEbEEZZNS1_14partition_implILS5_1ELb0ES3_jN6thrust23THRUST_200600_302600_NS6detail15normal_iteratorINSA_10device_ptrIxEEEEPS6_NSA_18transform_iteratorI7is_evenIxESF_NSA_11use_defaultESK_EENS0_5tupleIJNSA_16discard_iteratorISK_EESF_EEENSM_IJSG_SG_EEES6_PlJS6_EEE10hipError_tPvRmT3_T4_T5_T6_T7_T9_mT8_P12ihipStream_tbDpT10_ENKUlT_T0_E_clISt17integral_constantIbLb1EES1B_EEDaS16_S17_EUlS16_E_NS1_11comp_targetILNS1_3genE0ELNS1_11target_archE4294967295ELNS1_3gpuE0ELNS1_3repE0EEENS1_30default_config_static_selectorELNS0_4arch9wavefront6targetE1EEEvT1_,comdat
	.protected	_ZN7rocprim17ROCPRIM_400000_NS6detail17trampoline_kernelINS0_14default_configENS1_25partition_config_selectorILNS1_17partition_subalgoE1ExNS0_10empty_typeEbEEZZNS1_14partition_implILS5_1ELb0ES3_jN6thrust23THRUST_200600_302600_NS6detail15normal_iteratorINSA_10device_ptrIxEEEEPS6_NSA_18transform_iteratorI7is_evenIxESF_NSA_11use_defaultESK_EENS0_5tupleIJNSA_16discard_iteratorISK_EESF_EEENSM_IJSG_SG_EEES6_PlJS6_EEE10hipError_tPvRmT3_T4_T5_T6_T7_T9_mT8_P12ihipStream_tbDpT10_ENKUlT_T0_E_clISt17integral_constantIbLb1EES1B_EEDaS16_S17_EUlS16_E_NS1_11comp_targetILNS1_3genE0ELNS1_11target_archE4294967295ELNS1_3gpuE0ELNS1_3repE0EEENS1_30default_config_static_selectorELNS0_4arch9wavefront6targetE1EEEvT1_ ; -- Begin function _ZN7rocprim17ROCPRIM_400000_NS6detail17trampoline_kernelINS0_14default_configENS1_25partition_config_selectorILNS1_17partition_subalgoE1ExNS0_10empty_typeEbEEZZNS1_14partition_implILS5_1ELb0ES3_jN6thrust23THRUST_200600_302600_NS6detail15normal_iteratorINSA_10device_ptrIxEEEEPS6_NSA_18transform_iteratorI7is_evenIxESF_NSA_11use_defaultESK_EENS0_5tupleIJNSA_16discard_iteratorISK_EESF_EEENSM_IJSG_SG_EEES6_PlJS6_EEE10hipError_tPvRmT3_T4_T5_T6_T7_T9_mT8_P12ihipStream_tbDpT10_ENKUlT_T0_E_clISt17integral_constantIbLb1EES1B_EEDaS16_S17_EUlS16_E_NS1_11comp_targetILNS1_3genE0ELNS1_11target_archE4294967295ELNS1_3gpuE0ELNS1_3repE0EEENS1_30default_config_static_selectorELNS0_4arch9wavefront6targetE1EEEvT1_
	.globl	_ZN7rocprim17ROCPRIM_400000_NS6detail17trampoline_kernelINS0_14default_configENS1_25partition_config_selectorILNS1_17partition_subalgoE1ExNS0_10empty_typeEbEEZZNS1_14partition_implILS5_1ELb0ES3_jN6thrust23THRUST_200600_302600_NS6detail15normal_iteratorINSA_10device_ptrIxEEEEPS6_NSA_18transform_iteratorI7is_evenIxESF_NSA_11use_defaultESK_EENS0_5tupleIJNSA_16discard_iteratorISK_EESF_EEENSM_IJSG_SG_EEES6_PlJS6_EEE10hipError_tPvRmT3_T4_T5_T6_T7_T9_mT8_P12ihipStream_tbDpT10_ENKUlT_T0_E_clISt17integral_constantIbLb1EES1B_EEDaS16_S17_EUlS16_E_NS1_11comp_targetILNS1_3genE0ELNS1_11target_archE4294967295ELNS1_3gpuE0ELNS1_3repE0EEENS1_30default_config_static_selectorELNS0_4arch9wavefront6targetE1EEEvT1_
	.p2align	8
	.type	_ZN7rocprim17ROCPRIM_400000_NS6detail17trampoline_kernelINS0_14default_configENS1_25partition_config_selectorILNS1_17partition_subalgoE1ExNS0_10empty_typeEbEEZZNS1_14partition_implILS5_1ELb0ES3_jN6thrust23THRUST_200600_302600_NS6detail15normal_iteratorINSA_10device_ptrIxEEEEPS6_NSA_18transform_iteratorI7is_evenIxESF_NSA_11use_defaultESK_EENS0_5tupleIJNSA_16discard_iteratorISK_EESF_EEENSM_IJSG_SG_EEES6_PlJS6_EEE10hipError_tPvRmT3_T4_T5_T6_T7_T9_mT8_P12ihipStream_tbDpT10_ENKUlT_T0_E_clISt17integral_constantIbLb1EES1B_EEDaS16_S17_EUlS16_E_NS1_11comp_targetILNS1_3genE0ELNS1_11target_archE4294967295ELNS1_3gpuE0ELNS1_3repE0EEENS1_30default_config_static_selectorELNS0_4arch9wavefront6targetE1EEEvT1_,@function
_ZN7rocprim17ROCPRIM_400000_NS6detail17trampoline_kernelINS0_14default_configENS1_25partition_config_selectorILNS1_17partition_subalgoE1ExNS0_10empty_typeEbEEZZNS1_14partition_implILS5_1ELb0ES3_jN6thrust23THRUST_200600_302600_NS6detail15normal_iteratorINSA_10device_ptrIxEEEEPS6_NSA_18transform_iteratorI7is_evenIxESF_NSA_11use_defaultESK_EENS0_5tupleIJNSA_16discard_iteratorISK_EESF_EEENSM_IJSG_SG_EEES6_PlJS6_EEE10hipError_tPvRmT3_T4_T5_T6_T7_T9_mT8_P12ihipStream_tbDpT10_ENKUlT_T0_E_clISt17integral_constantIbLb1EES1B_EEDaS16_S17_EUlS16_E_NS1_11comp_targetILNS1_3genE0ELNS1_11target_archE4294967295ELNS1_3gpuE0ELNS1_3repE0EEENS1_30default_config_static_selectorELNS0_4arch9wavefront6targetE1EEEvT1_: ; @_ZN7rocprim17ROCPRIM_400000_NS6detail17trampoline_kernelINS0_14default_configENS1_25partition_config_selectorILNS1_17partition_subalgoE1ExNS0_10empty_typeEbEEZZNS1_14partition_implILS5_1ELb0ES3_jN6thrust23THRUST_200600_302600_NS6detail15normal_iteratorINSA_10device_ptrIxEEEEPS6_NSA_18transform_iteratorI7is_evenIxESF_NSA_11use_defaultESK_EENS0_5tupleIJNSA_16discard_iteratorISK_EESF_EEENSM_IJSG_SG_EEES6_PlJS6_EEE10hipError_tPvRmT3_T4_T5_T6_T7_T9_mT8_P12ihipStream_tbDpT10_ENKUlT_T0_E_clISt17integral_constantIbLb1EES1B_EEDaS16_S17_EUlS16_E_NS1_11comp_targetILNS1_3genE0ELNS1_11target_archE4294967295ELNS1_3gpuE0ELNS1_3repE0EEENS1_30default_config_static_selectorELNS0_4arch9wavefront6targetE1EEEvT1_
; %bb.0:
	.section	.rodata,"a",@progbits
	.p2align	6, 0x0
	.amdhsa_kernel _ZN7rocprim17ROCPRIM_400000_NS6detail17trampoline_kernelINS0_14default_configENS1_25partition_config_selectorILNS1_17partition_subalgoE1ExNS0_10empty_typeEbEEZZNS1_14partition_implILS5_1ELb0ES3_jN6thrust23THRUST_200600_302600_NS6detail15normal_iteratorINSA_10device_ptrIxEEEEPS6_NSA_18transform_iteratorI7is_evenIxESF_NSA_11use_defaultESK_EENS0_5tupleIJNSA_16discard_iteratorISK_EESF_EEENSM_IJSG_SG_EEES6_PlJS6_EEE10hipError_tPvRmT3_T4_T5_T6_T7_T9_mT8_P12ihipStream_tbDpT10_ENKUlT_T0_E_clISt17integral_constantIbLb1EES1B_EEDaS16_S17_EUlS16_E_NS1_11comp_targetILNS1_3genE0ELNS1_11target_archE4294967295ELNS1_3gpuE0ELNS1_3repE0EEENS1_30default_config_static_selectorELNS0_4arch9wavefront6targetE1EEEvT1_
		.amdhsa_group_segment_fixed_size 0
		.amdhsa_private_segment_fixed_size 0
		.amdhsa_kernarg_size 152
		.amdhsa_user_sgpr_count 2
		.amdhsa_user_sgpr_dispatch_ptr 0
		.amdhsa_user_sgpr_queue_ptr 0
		.amdhsa_user_sgpr_kernarg_segment_ptr 1
		.amdhsa_user_sgpr_dispatch_id 0
		.amdhsa_user_sgpr_kernarg_preload_length 0
		.amdhsa_user_sgpr_kernarg_preload_offset 0
		.amdhsa_user_sgpr_private_segment_size 0
		.amdhsa_uses_dynamic_stack 0
		.amdhsa_enable_private_segment 0
		.amdhsa_system_sgpr_workgroup_id_x 1
		.amdhsa_system_sgpr_workgroup_id_y 0
		.amdhsa_system_sgpr_workgroup_id_z 0
		.amdhsa_system_sgpr_workgroup_info 0
		.amdhsa_system_vgpr_workitem_id 0
		.amdhsa_next_free_vgpr 1
		.amdhsa_next_free_sgpr 0
		.amdhsa_accum_offset 4
		.amdhsa_reserve_vcc 0
		.amdhsa_float_round_mode_32 0
		.amdhsa_float_round_mode_16_64 0
		.amdhsa_float_denorm_mode_32 3
		.amdhsa_float_denorm_mode_16_64 3
		.amdhsa_dx10_clamp 1
		.amdhsa_ieee_mode 1
		.amdhsa_fp16_overflow 0
		.amdhsa_tg_split 0
		.amdhsa_exception_fp_ieee_invalid_op 0
		.amdhsa_exception_fp_denorm_src 0
		.amdhsa_exception_fp_ieee_div_zero 0
		.amdhsa_exception_fp_ieee_overflow 0
		.amdhsa_exception_fp_ieee_underflow 0
		.amdhsa_exception_fp_ieee_inexact 0
		.amdhsa_exception_int_div_zero 0
	.end_amdhsa_kernel
	.section	.text._ZN7rocprim17ROCPRIM_400000_NS6detail17trampoline_kernelINS0_14default_configENS1_25partition_config_selectorILNS1_17partition_subalgoE1ExNS0_10empty_typeEbEEZZNS1_14partition_implILS5_1ELb0ES3_jN6thrust23THRUST_200600_302600_NS6detail15normal_iteratorINSA_10device_ptrIxEEEEPS6_NSA_18transform_iteratorI7is_evenIxESF_NSA_11use_defaultESK_EENS0_5tupleIJNSA_16discard_iteratorISK_EESF_EEENSM_IJSG_SG_EEES6_PlJS6_EEE10hipError_tPvRmT3_T4_T5_T6_T7_T9_mT8_P12ihipStream_tbDpT10_ENKUlT_T0_E_clISt17integral_constantIbLb1EES1B_EEDaS16_S17_EUlS16_E_NS1_11comp_targetILNS1_3genE0ELNS1_11target_archE4294967295ELNS1_3gpuE0ELNS1_3repE0EEENS1_30default_config_static_selectorELNS0_4arch9wavefront6targetE1EEEvT1_,"axG",@progbits,_ZN7rocprim17ROCPRIM_400000_NS6detail17trampoline_kernelINS0_14default_configENS1_25partition_config_selectorILNS1_17partition_subalgoE1ExNS0_10empty_typeEbEEZZNS1_14partition_implILS5_1ELb0ES3_jN6thrust23THRUST_200600_302600_NS6detail15normal_iteratorINSA_10device_ptrIxEEEEPS6_NSA_18transform_iteratorI7is_evenIxESF_NSA_11use_defaultESK_EENS0_5tupleIJNSA_16discard_iteratorISK_EESF_EEENSM_IJSG_SG_EEES6_PlJS6_EEE10hipError_tPvRmT3_T4_T5_T6_T7_T9_mT8_P12ihipStream_tbDpT10_ENKUlT_T0_E_clISt17integral_constantIbLb1EES1B_EEDaS16_S17_EUlS16_E_NS1_11comp_targetILNS1_3genE0ELNS1_11target_archE4294967295ELNS1_3gpuE0ELNS1_3repE0EEENS1_30default_config_static_selectorELNS0_4arch9wavefront6targetE1EEEvT1_,comdat
.Lfunc_end3235:
	.size	_ZN7rocprim17ROCPRIM_400000_NS6detail17trampoline_kernelINS0_14default_configENS1_25partition_config_selectorILNS1_17partition_subalgoE1ExNS0_10empty_typeEbEEZZNS1_14partition_implILS5_1ELb0ES3_jN6thrust23THRUST_200600_302600_NS6detail15normal_iteratorINSA_10device_ptrIxEEEEPS6_NSA_18transform_iteratorI7is_evenIxESF_NSA_11use_defaultESK_EENS0_5tupleIJNSA_16discard_iteratorISK_EESF_EEENSM_IJSG_SG_EEES6_PlJS6_EEE10hipError_tPvRmT3_T4_T5_T6_T7_T9_mT8_P12ihipStream_tbDpT10_ENKUlT_T0_E_clISt17integral_constantIbLb1EES1B_EEDaS16_S17_EUlS16_E_NS1_11comp_targetILNS1_3genE0ELNS1_11target_archE4294967295ELNS1_3gpuE0ELNS1_3repE0EEENS1_30default_config_static_selectorELNS0_4arch9wavefront6targetE1EEEvT1_, .Lfunc_end3235-_ZN7rocprim17ROCPRIM_400000_NS6detail17trampoline_kernelINS0_14default_configENS1_25partition_config_selectorILNS1_17partition_subalgoE1ExNS0_10empty_typeEbEEZZNS1_14partition_implILS5_1ELb0ES3_jN6thrust23THRUST_200600_302600_NS6detail15normal_iteratorINSA_10device_ptrIxEEEEPS6_NSA_18transform_iteratorI7is_evenIxESF_NSA_11use_defaultESK_EENS0_5tupleIJNSA_16discard_iteratorISK_EESF_EEENSM_IJSG_SG_EEES6_PlJS6_EEE10hipError_tPvRmT3_T4_T5_T6_T7_T9_mT8_P12ihipStream_tbDpT10_ENKUlT_T0_E_clISt17integral_constantIbLb1EES1B_EEDaS16_S17_EUlS16_E_NS1_11comp_targetILNS1_3genE0ELNS1_11target_archE4294967295ELNS1_3gpuE0ELNS1_3repE0EEENS1_30default_config_static_selectorELNS0_4arch9wavefront6targetE1EEEvT1_
                                        ; -- End function
	.section	.AMDGPU.csdata,"",@progbits
; Kernel info:
; codeLenInByte = 0
; NumSgprs: 6
; NumVgprs: 0
; NumAgprs: 0
; TotalNumVgprs: 0
; ScratchSize: 0
; MemoryBound: 0
; FloatMode: 240
; IeeeMode: 1
; LDSByteSize: 0 bytes/workgroup (compile time only)
; SGPRBlocks: 0
; VGPRBlocks: 0
; NumSGPRsForWavesPerEU: 6
; NumVGPRsForWavesPerEU: 1
; AccumOffset: 4
; Occupancy: 8
; WaveLimiterHint : 0
; COMPUTE_PGM_RSRC2:SCRATCH_EN: 0
; COMPUTE_PGM_RSRC2:USER_SGPR: 2
; COMPUTE_PGM_RSRC2:TRAP_HANDLER: 0
; COMPUTE_PGM_RSRC2:TGID_X_EN: 1
; COMPUTE_PGM_RSRC2:TGID_Y_EN: 0
; COMPUTE_PGM_RSRC2:TGID_Z_EN: 0
; COMPUTE_PGM_RSRC2:TIDIG_COMP_CNT: 0
; COMPUTE_PGM_RSRC3_GFX90A:ACCUM_OFFSET: 0
; COMPUTE_PGM_RSRC3_GFX90A:TG_SPLIT: 0
	.section	.text._ZN7rocprim17ROCPRIM_400000_NS6detail17trampoline_kernelINS0_14default_configENS1_25partition_config_selectorILNS1_17partition_subalgoE1ExNS0_10empty_typeEbEEZZNS1_14partition_implILS5_1ELb0ES3_jN6thrust23THRUST_200600_302600_NS6detail15normal_iteratorINSA_10device_ptrIxEEEEPS6_NSA_18transform_iteratorI7is_evenIxESF_NSA_11use_defaultESK_EENS0_5tupleIJNSA_16discard_iteratorISK_EESF_EEENSM_IJSG_SG_EEES6_PlJS6_EEE10hipError_tPvRmT3_T4_T5_T6_T7_T9_mT8_P12ihipStream_tbDpT10_ENKUlT_T0_E_clISt17integral_constantIbLb1EES1B_EEDaS16_S17_EUlS16_E_NS1_11comp_targetILNS1_3genE5ELNS1_11target_archE942ELNS1_3gpuE9ELNS1_3repE0EEENS1_30default_config_static_selectorELNS0_4arch9wavefront6targetE1EEEvT1_,"axG",@progbits,_ZN7rocprim17ROCPRIM_400000_NS6detail17trampoline_kernelINS0_14default_configENS1_25partition_config_selectorILNS1_17partition_subalgoE1ExNS0_10empty_typeEbEEZZNS1_14partition_implILS5_1ELb0ES3_jN6thrust23THRUST_200600_302600_NS6detail15normal_iteratorINSA_10device_ptrIxEEEEPS6_NSA_18transform_iteratorI7is_evenIxESF_NSA_11use_defaultESK_EENS0_5tupleIJNSA_16discard_iteratorISK_EESF_EEENSM_IJSG_SG_EEES6_PlJS6_EEE10hipError_tPvRmT3_T4_T5_T6_T7_T9_mT8_P12ihipStream_tbDpT10_ENKUlT_T0_E_clISt17integral_constantIbLb1EES1B_EEDaS16_S17_EUlS16_E_NS1_11comp_targetILNS1_3genE5ELNS1_11target_archE942ELNS1_3gpuE9ELNS1_3repE0EEENS1_30default_config_static_selectorELNS0_4arch9wavefront6targetE1EEEvT1_,comdat
	.protected	_ZN7rocprim17ROCPRIM_400000_NS6detail17trampoline_kernelINS0_14default_configENS1_25partition_config_selectorILNS1_17partition_subalgoE1ExNS0_10empty_typeEbEEZZNS1_14partition_implILS5_1ELb0ES3_jN6thrust23THRUST_200600_302600_NS6detail15normal_iteratorINSA_10device_ptrIxEEEEPS6_NSA_18transform_iteratorI7is_evenIxESF_NSA_11use_defaultESK_EENS0_5tupleIJNSA_16discard_iteratorISK_EESF_EEENSM_IJSG_SG_EEES6_PlJS6_EEE10hipError_tPvRmT3_T4_T5_T6_T7_T9_mT8_P12ihipStream_tbDpT10_ENKUlT_T0_E_clISt17integral_constantIbLb1EES1B_EEDaS16_S17_EUlS16_E_NS1_11comp_targetILNS1_3genE5ELNS1_11target_archE942ELNS1_3gpuE9ELNS1_3repE0EEENS1_30default_config_static_selectorELNS0_4arch9wavefront6targetE1EEEvT1_ ; -- Begin function _ZN7rocprim17ROCPRIM_400000_NS6detail17trampoline_kernelINS0_14default_configENS1_25partition_config_selectorILNS1_17partition_subalgoE1ExNS0_10empty_typeEbEEZZNS1_14partition_implILS5_1ELb0ES3_jN6thrust23THRUST_200600_302600_NS6detail15normal_iteratorINSA_10device_ptrIxEEEEPS6_NSA_18transform_iteratorI7is_evenIxESF_NSA_11use_defaultESK_EENS0_5tupleIJNSA_16discard_iteratorISK_EESF_EEENSM_IJSG_SG_EEES6_PlJS6_EEE10hipError_tPvRmT3_T4_T5_T6_T7_T9_mT8_P12ihipStream_tbDpT10_ENKUlT_T0_E_clISt17integral_constantIbLb1EES1B_EEDaS16_S17_EUlS16_E_NS1_11comp_targetILNS1_3genE5ELNS1_11target_archE942ELNS1_3gpuE9ELNS1_3repE0EEENS1_30default_config_static_selectorELNS0_4arch9wavefront6targetE1EEEvT1_
	.globl	_ZN7rocprim17ROCPRIM_400000_NS6detail17trampoline_kernelINS0_14default_configENS1_25partition_config_selectorILNS1_17partition_subalgoE1ExNS0_10empty_typeEbEEZZNS1_14partition_implILS5_1ELb0ES3_jN6thrust23THRUST_200600_302600_NS6detail15normal_iteratorINSA_10device_ptrIxEEEEPS6_NSA_18transform_iteratorI7is_evenIxESF_NSA_11use_defaultESK_EENS0_5tupleIJNSA_16discard_iteratorISK_EESF_EEENSM_IJSG_SG_EEES6_PlJS6_EEE10hipError_tPvRmT3_T4_T5_T6_T7_T9_mT8_P12ihipStream_tbDpT10_ENKUlT_T0_E_clISt17integral_constantIbLb1EES1B_EEDaS16_S17_EUlS16_E_NS1_11comp_targetILNS1_3genE5ELNS1_11target_archE942ELNS1_3gpuE9ELNS1_3repE0EEENS1_30default_config_static_selectorELNS0_4arch9wavefront6targetE1EEEvT1_
	.p2align	8
	.type	_ZN7rocprim17ROCPRIM_400000_NS6detail17trampoline_kernelINS0_14default_configENS1_25partition_config_selectorILNS1_17partition_subalgoE1ExNS0_10empty_typeEbEEZZNS1_14partition_implILS5_1ELb0ES3_jN6thrust23THRUST_200600_302600_NS6detail15normal_iteratorINSA_10device_ptrIxEEEEPS6_NSA_18transform_iteratorI7is_evenIxESF_NSA_11use_defaultESK_EENS0_5tupleIJNSA_16discard_iteratorISK_EESF_EEENSM_IJSG_SG_EEES6_PlJS6_EEE10hipError_tPvRmT3_T4_T5_T6_T7_T9_mT8_P12ihipStream_tbDpT10_ENKUlT_T0_E_clISt17integral_constantIbLb1EES1B_EEDaS16_S17_EUlS16_E_NS1_11comp_targetILNS1_3genE5ELNS1_11target_archE942ELNS1_3gpuE9ELNS1_3repE0EEENS1_30default_config_static_selectorELNS0_4arch9wavefront6targetE1EEEvT1_,@function
_ZN7rocprim17ROCPRIM_400000_NS6detail17trampoline_kernelINS0_14default_configENS1_25partition_config_selectorILNS1_17partition_subalgoE1ExNS0_10empty_typeEbEEZZNS1_14partition_implILS5_1ELb0ES3_jN6thrust23THRUST_200600_302600_NS6detail15normal_iteratorINSA_10device_ptrIxEEEEPS6_NSA_18transform_iteratorI7is_evenIxESF_NSA_11use_defaultESK_EENS0_5tupleIJNSA_16discard_iteratorISK_EESF_EEENSM_IJSG_SG_EEES6_PlJS6_EEE10hipError_tPvRmT3_T4_T5_T6_T7_T9_mT8_P12ihipStream_tbDpT10_ENKUlT_T0_E_clISt17integral_constantIbLb1EES1B_EEDaS16_S17_EUlS16_E_NS1_11comp_targetILNS1_3genE5ELNS1_11target_archE942ELNS1_3gpuE9ELNS1_3repE0EEENS1_30default_config_static_selectorELNS0_4arch9wavefront6targetE1EEEvT1_: ; @_ZN7rocprim17ROCPRIM_400000_NS6detail17trampoline_kernelINS0_14default_configENS1_25partition_config_selectorILNS1_17partition_subalgoE1ExNS0_10empty_typeEbEEZZNS1_14partition_implILS5_1ELb0ES3_jN6thrust23THRUST_200600_302600_NS6detail15normal_iteratorINSA_10device_ptrIxEEEEPS6_NSA_18transform_iteratorI7is_evenIxESF_NSA_11use_defaultESK_EENS0_5tupleIJNSA_16discard_iteratorISK_EESF_EEENSM_IJSG_SG_EEES6_PlJS6_EEE10hipError_tPvRmT3_T4_T5_T6_T7_T9_mT8_P12ihipStream_tbDpT10_ENKUlT_T0_E_clISt17integral_constantIbLb1EES1B_EEDaS16_S17_EUlS16_E_NS1_11comp_targetILNS1_3genE5ELNS1_11target_archE942ELNS1_3gpuE9ELNS1_3repE0EEENS1_30default_config_static_selectorELNS0_4arch9wavefront6targetE1EEEvT1_
; %bb.0:
	s_load_dwordx2 s[2:3], s[0:1], 0x20
	s_load_dwordx4 s[20:23], s[0:1], 0x58
	s_load_dwordx2 s[6:7], s[0:1], 0x68
	s_load_dwordx2 s[30:31], s[0:1], 0x78
	v_cmp_eq_u32_e64 s[18:19], 0, v0
	s_and_saveexec_b64 s[4:5], s[18:19]
	s_cbranch_execz .LBB3236_4
; %bb.1:
	s_mov_b64 s[10:11], exec
	v_mbcnt_lo_u32_b32 v1, s10, 0
	v_mbcnt_hi_u32_b32 v1, s11, v1
	v_cmp_eq_u32_e32 vcc, 0, v1
                                        ; implicit-def: $vgpr2
	s_and_saveexec_b64 s[8:9], vcc
	s_cbranch_execz .LBB3236_3
; %bb.2:
	s_load_dwordx2 s[12:13], s[0:1], 0x88
	s_bcnt1_i32_b64 s10, s[10:11]
	v_mov_b32_e32 v2, 0
	v_mov_b32_e32 v3, s10
	s_waitcnt lgkmcnt(0)
	global_atomic_add v2, v2, v3, s[12:13] sc0
.LBB3236_3:
	s_or_b64 exec, exec, s[8:9]
	s_waitcnt vmcnt(0)
	v_readfirstlane_b32 s8, v2
	v_mov_b32_e32 v2, 0
	s_nop 0
	v_add_u32_e32 v1, s8, v1
	ds_write_b32 v2, v1
.LBB3236_4:
	s_or_b64 exec, exec, s[4:5]
	v_mov_b32_e32 v19, 0
	s_load_dwordx4 s[24:27], s[0:1], 0x8
	s_load_dwordx2 s[28:29], s[0:1], 0x40
	s_load_dword s8, s[0:1], 0x80
	s_waitcnt lgkmcnt(0)
	s_barrier
	ds_read_b32 v1, v19
	s_waitcnt lgkmcnt(0)
	s_barrier
	global_load_dwordx2 v[20:21], v19, s[22:23]
	v_mov_b32_e32 v3, s7
	s_lshl_b64 s[4:5], s[26:27], 3
	s_movk_i32 s7, 0xe00
	s_add_u32 s0, s24, s4
	v_mul_lo_u32 v18, v1, s7
	s_mul_i32 s7, s8, 0xe00
	s_addc_u32 s1, s25, s5
	s_add_i32 s9, s8, -1
	s_add_i32 s8, s7, s26
	s_sub_i32 s33, s6, s8
	s_addk_i32 s33, 0xe00
	v_mov_b32_e32 v2, s6
	s_add_u32 s6, s26, s7
	v_readfirstlane_b32 s38, v1
	s_addc_u32 s7, s27, 0
	s_cmp_eq_u32 s38, s9
	s_cselect_b64 s[22:23], -1, 0
	s_cmp_lg_u32 s38, s9
	v_cmp_lt_u64_e32 vcc, s[6:7], v[2:3]
	s_cselect_b64 s[6:7], -1, 0
	s_or_b64 s[24:25], vcc, s[6:7]
	v_lshlrev_b64 v[22:23], 3, v[18:19]
	v_lshl_add_u64 v[24:25], s[0:1], 0, v[22:23]
	s_mov_b64 s[0:1], -1
	s_and_b64 vcc, exec, s[24:25]
	v_lshlrev_b32_e32 v18, 3, v0
	s_cbranch_vccz .LBB3236_6
; %bb.5:
	v_lshl_add_u64 v[2:3], v[24:25], 0, v[18:19]
	v_add_co_u32_e32 v4, vcc, 0x1000, v2
	s_mov_b64 s[0:1], 0
	s_nop 0
	v_addc_co_u32_e32 v5, vcc, 0, v3, vcc
	v_add_co_u32_e32 v6, vcc, 0x2000, v2
	s_nop 1
	v_addc_co_u32_e32 v7, vcc, 0, v3, vcc
	v_add_co_u32_e32 v8, vcc, 0x3000, v2
	s_nop 1
	v_addc_co_u32_e32 v9, vcc, 0, v3, vcc
	flat_load_dwordx2 v[10:11], v[2:3]
	flat_load_dwordx2 v[12:13], v[4:5]
	;; [unrolled: 1-line block ×4, first 2 shown]
	v_add_co_u32_e32 v4, vcc, 0x4000, v2
	s_nop 1
	v_addc_co_u32_e32 v5, vcc, 0, v3, vcc
	v_add_co_u32_e32 v6, vcc, 0x5000, v2
	s_nop 1
	v_addc_co_u32_e32 v7, vcc, 0, v3, vcc
	;; [unrolled: 3-line block ×3, first 2 shown]
	flat_load_dwordx2 v[8:9], v[4:5]
	flat_load_dwordx2 v[26:27], v[6:7]
	;; [unrolled: 1-line block ×3, first 2 shown]
	s_waitcnt vmcnt(0) lgkmcnt(0)
	ds_write2st64_b64 v18, v[10:11], v[12:13] offset1:8
	ds_write2st64_b64 v18, v[14:15], v[16:17] offset0:16 offset1:24
	ds_write2st64_b64 v18, v[8:9], v[26:27] offset0:32 offset1:40
	ds_write_b64 v18, v[28:29] offset:24576
	s_waitcnt lgkmcnt(0)
	s_barrier
.LBB3236_6:
	s_andn2_b64 vcc, exec, s[0:1]
	v_cmp_gt_u32_e64 s[0:1], s33, v0
	s_cbranch_vccnz .LBB3236_22
; %bb.7:
                                        ; implicit-def: $vgpr2_vgpr3_vgpr4_vgpr5_vgpr6_vgpr7_vgpr8_vgpr9_vgpr10_vgpr11_vgpr12_vgpr13_vgpr14_vgpr15_vgpr16_vgpr17
	s_and_saveexec_b64 s[6:7], s[0:1]
	s_cbranch_execz .LBB3236_9
; %bb.8:
	v_mov_b32_e32 v19, 0
	v_lshl_add_u64 v[2:3], v[24:25], 0, v[18:19]
	flat_load_dwordx2 v[2:3], v[2:3]
.LBB3236_9:
	s_or_b64 exec, exec, s[6:7]
	v_or_b32_e32 v1, 0x200, v0
	v_cmp_gt_u32_e32 vcc, s33, v1
	s_and_saveexec_b64 s[0:1], vcc
	s_cbranch_execz .LBB3236_11
; %bb.10:
	v_lshlrev_b32_e32 v4, 3, v1
	v_mov_b32_e32 v5, 0
	v_lshl_add_u64 v[4:5], v[24:25], 0, v[4:5]
	flat_load_dwordx2 v[4:5], v[4:5]
.LBB3236_11:
	s_or_b64 exec, exec, s[0:1]
	v_or_b32_e32 v1, 0x400, v0
	v_cmp_gt_u32_e32 vcc, s33, v1
	s_and_saveexec_b64 s[0:1], vcc
	s_cbranch_execz .LBB3236_13
; %bb.12:
	v_lshlrev_b32_e32 v6, 3, v1
	v_mov_b32_e32 v7, 0
	v_lshl_add_u64 v[6:7], v[24:25], 0, v[6:7]
	flat_load_dwordx2 v[6:7], v[6:7]
.LBB3236_13:
	;; [unrolled: 11-line block ×6, first 2 shown]
	s_or_b64 exec, exec, s[0:1]
	s_waitcnt vmcnt(0) lgkmcnt(0)
	ds_write2st64_b64 v18, v[2:3], v[4:5] offset1:8
	ds_write2st64_b64 v18, v[6:7], v[8:9] offset0:16 offset1:24
	ds_write2st64_b64 v18, v[10:11], v[12:13] offset0:32 offset1:40
	ds_write_b64 v18, v[14:15] offset:24576
	s_waitcnt lgkmcnt(0)
	s_barrier
.LBB3236_22:
	v_mul_u32_u24_e32 v1, 7, v0
	v_lshlrev_b32_e32 v24, 3, v1
	ds_read2_b64 v[10:13], v24 offset1:1
	ds_read2_b64 v[6:9], v24 offset0:2 offset1:3
	ds_read2_b64 v[2:5], v24 offset0:4 offset1:5
	ds_read_b64 v[14:15], v24 offset:48
	s_add_u32 s0, s2, s4
	s_addc_u32 s1, s3, s5
	v_lshl_add_u64 v[16:17], s[0:1], 0, v[22:23]
	s_mov_b64 s[0:1], -1
	s_and_b64 vcc, exec, s[24:25]
	s_waitcnt lgkmcnt(0)
	s_barrier
	s_cbranch_vccz .LBB3236_24
; %bb.23:
	v_mov_b32_e32 v19, 0
	v_lshl_add_u64 v[26:27], v[16:17], 0, v[18:19]
	v_add_co_u32_e32 v30, vcc, 0x1000, v26
	v_readfirstlane_b32 s0, v16
	s_nop 0
	v_addc_co_u32_e32 v31, vcc, 0, v27, vcc
	v_add_co_u32_e32 v32, vcc, 0x2000, v26
	v_readfirstlane_b32 s1, v17
	s_nop 0
	v_addc_co_u32_e32 v33, vcc, 0, v27, vcc
	v_add_co_u32_e32 v34, vcc, 0x3000, v26
	s_nop 1
	v_addc_co_u32_e32 v35, vcc, 0, v27, vcc
	global_load_dwordx2 v[28:29], v18, s[0:1]
	v_add_co_u32_e32 v36, vcc, 0x4000, v26
	s_mov_b64 s[0:1], 0
	s_nop 0
	v_addc_co_u32_e32 v37, vcc, 0, v27, vcc
	global_load_dwordx2 v[38:39], v[30:31], off
	global_load_dwordx2 v[40:41], v[32:33], off
	;; [unrolled: 1-line block ×4, first 2 shown]
	v_add_co_u32_e32 v30, vcc, 0x5000, v26
	s_waitcnt vmcnt(4)
	v_xor_b32_e32 v19, -1, v28
	v_addc_co_u32_e32 v31, vcc, 0, v27, vcc
	v_add_co_u32_e32 v26, vcc, 0x6000, v26
	global_load_dwordx2 v[30:31], v[30:31], off
	s_nop 0
	v_addc_co_u32_e32 v27, vcc, 0, v27, vcc
	global_load_dwordx2 v[26:27], v[26:27], off
	v_and_b32_e32 v19, 1, v19
	ds_write_b8 v0, v19
	s_waitcnt vmcnt(5)
	v_xor_b32_e32 v19, -1, v38
	v_and_b32_e32 v19, 1, v19
	s_waitcnt vmcnt(4)
	v_xor_b32_e32 v25, -1, v40
	s_waitcnt vmcnt(0)
	v_xor_b32_e32 v27, -1, v42
	v_and_b32_e32 v25, 1, v25
	ds_write_b8 v0, v19 offset:512
	v_and_b32_e32 v19, 1, v27
	v_xor_b32_e32 v27, -1, v44
	ds_write_b8 v0, v25 offset:1024
	v_and_b32_e32 v25, 1, v27
	ds_write_b8 v0, v19 offset:1536
	ds_write_b8 v0, v25 offset:2048
	v_xor_b32_e32 v27, -1, v30
	v_and_b32_e32 v19, 1, v27
	v_xor_b32_e32 v26, -1, v26
	v_and_b32_e32 v25, 1, v26
	ds_write_b8 v0, v19 offset:2560
	ds_write_b8 v0, v25 offset:3072
	s_waitcnt lgkmcnt(0)
	s_barrier
.LBB3236_24:
	s_andn2_b64 vcc, exec, s[0:1]
	s_cbranch_vccnz .LBB3236_40
; %bb.25:
	v_cmp_gt_u32_e32 vcc, s33, v0
	v_mov_b32_e32 v19, 0
	v_mov_b32_e32 v25, 0
	s_and_saveexec_b64 s[0:1], vcc
	s_cbranch_execz .LBB3236_27
; %bb.26:
	v_readfirstlane_b32 s2, v16
	v_readfirstlane_b32 s3, v17
	s_nop 4
	global_load_dwordx2 v[26:27], v18, s[2:3]
	s_waitcnt vmcnt(0)
	v_xor_b32_e32 v25, -1, v26
	v_and_b32_e32 v25, 1, v25
.LBB3236_27:
	s_or_b64 exec, exec, s[0:1]
	v_or_b32_e32 v26, 0x200, v0
	v_cmp_gt_u32_e32 vcc, s33, v26
	s_and_saveexec_b64 s[0:1], vcc
	s_cbranch_execz .LBB3236_29
; %bb.28:
	v_lshlrev_b32_e32 v19, 3, v26
	v_readfirstlane_b32 s2, v16
	v_readfirstlane_b32 s3, v17
	s_nop 4
	global_load_dwordx2 v[26:27], v19, s[2:3]
	s_waitcnt vmcnt(0)
	v_xor_b32_e32 v19, -1, v26
	v_and_b32_e32 v19, 1, v19
.LBB3236_29:
	s_or_b64 exec, exec, s[0:1]
	v_or_b32_e32 v28, 0x400, v0
	v_cmp_gt_u32_e32 vcc, s33, v28
	v_mov_b32_e32 v26, 0
	v_mov_b32_e32 v27, 0
	s_and_saveexec_b64 s[0:1], vcc
	s_cbranch_execz .LBB3236_31
; %bb.30:
	v_lshlrev_b32_e32 v27, 3, v28
	v_readfirstlane_b32 s2, v16
	v_readfirstlane_b32 s3, v17
	s_nop 4
	global_load_dwordx2 v[28:29], v27, s[2:3]
	s_waitcnt vmcnt(0)
	v_xor_b32_e32 v27, -1, v28
	v_and_b32_e32 v27, 1, v27
.LBB3236_31:
	s_or_b64 exec, exec, s[0:1]
	v_or_b32_e32 v28, 0x600, v0
	v_cmp_gt_u32_e32 vcc, s33, v28
	s_and_saveexec_b64 s[0:1], vcc
	s_cbranch_execz .LBB3236_33
; %bb.32:
	v_lshlrev_b32_e32 v26, 3, v28
	v_readfirstlane_b32 s2, v16
	v_readfirstlane_b32 s3, v17
	s_nop 4
	global_load_dwordx2 v[28:29], v26, s[2:3]
	s_waitcnt vmcnt(0)
	v_xor_b32_e32 v26, -1, v28
	v_and_b32_e32 v26, 1, v26
.LBB3236_33:
	s_or_b64 exec, exec, s[0:1]
	v_or_b32_e32 v30, 0x800, v0
	v_cmp_gt_u32_e32 vcc, s33, v30
	v_mov_b32_e32 v28, 0
	v_mov_b32_e32 v29, 0
	s_and_saveexec_b64 s[0:1], vcc
	s_cbranch_execz .LBB3236_35
; %bb.34:
	v_lshlrev_b32_e32 v29, 3, v30
	v_readfirstlane_b32 s2, v16
	v_readfirstlane_b32 s3, v17
	s_nop 4
	global_load_dwordx2 v[30:31], v29, s[2:3]
	s_waitcnt vmcnt(0)
	v_xor_b32_e32 v29, -1, v30
	v_and_b32_e32 v29, 1, v29
.LBB3236_35:
	s_or_b64 exec, exec, s[0:1]
	v_or_b32_e32 v30, 0xa00, v0
	v_cmp_gt_u32_e32 vcc, s33, v30
	s_and_saveexec_b64 s[0:1], vcc
	s_cbranch_execz .LBB3236_37
; %bb.36:
	v_lshlrev_b32_e32 v28, 3, v30
	v_readfirstlane_b32 s2, v16
	v_readfirstlane_b32 s3, v17
	s_nop 4
	global_load_dwordx2 v[30:31], v28, s[2:3]
	s_waitcnt vmcnt(0)
	v_xor_b32_e32 v28, -1, v30
	v_and_b32_e32 v28, 1, v28
.LBB3236_37:
	s_or_b64 exec, exec, s[0:1]
	v_or_b32_e32 v31, 0xc00, v0
	v_cmp_gt_u32_e32 vcc, s33, v31
	v_mov_b32_e32 v30, 0
	s_and_saveexec_b64 s[0:1], vcc
	s_cbranch_execz .LBB3236_39
; %bb.38:
	v_lshlrev_b32_e32 v30, 3, v31
	v_readfirstlane_b32 s2, v16
	v_readfirstlane_b32 s3, v17
	s_nop 4
	global_load_dwordx2 v[16:17], v30, s[2:3]
	s_waitcnt vmcnt(0)
	v_xor_b32_e32 v16, -1, v16
	v_and_b32_e32 v30, 1, v16
.LBB3236_39:
	s_or_b64 exec, exec, s[0:1]
	ds_write_b8 v0, v25
	ds_write_b8 v0, v19 offset:512
	ds_write_b8 v0, v27 offset:1024
	;; [unrolled: 1-line block ×6, first 2 shown]
	s_waitcnt lgkmcnt(0)
	s_barrier
.LBB3236_40:
	s_movk_i32 s0, 0xffcf
	v_mad_i32_i24 v39, v0, s0, v24
	ds_read_u8 v16, v39
	ds_read_u8 v17, v39 offset:1
	ds_read_u8 v19, v39 offset:2
	;; [unrolled: 1-line block ×6, first 2 shown]
	s_waitcnt lgkmcnt(6)
	v_and_b32_e32 v37, 1, v16
	s_waitcnt lgkmcnt(5)
	v_and_b32_e32 v36, 1, v17
	;; [unrolled: 2-line block ×5, first 2 shown]
	v_add3_u32 v16, v36, v37, v35
	s_waitcnt lgkmcnt(1)
	v_and_b32_e32 v32, 1, v26
	s_waitcnt lgkmcnt(0)
	v_and_b32_e32 v19, 1, v27
	v_add3_u32 v16, v16, v34, v33
	v_add3_u32 v41, v16, v32, v19
	v_mbcnt_lo_u32_b32 v16, -1, 0
	v_mbcnt_hi_u32_b32 v38, -1, v16
	v_and_b32_e32 v16, 15, v38
	v_cmp_eq_u32_e64 s[14:15], 0, v16
	v_cmp_lt_u32_e64 s[12:13], 1, v16
	v_cmp_lt_u32_e64 s[10:11], 3, v16
	;; [unrolled: 1-line block ×3, first 2 shown]
	v_and_b32_e32 v16, 16, v38
	v_cmp_eq_u32_e64 s[6:7], 0, v16
	v_or_b32_e32 v16, 63, v0
	s_cmp_lg_u32 s38, 0
	v_cmp_lt_u32_e64 s[2:3], 31, v38
	v_lshrrev_b32_e32 v40, 6, v0
	v_cmp_eq_u32_e64 s[4:5], v16, v0
	s_barrier
	s_cbranch_scc0 .LBB3236_71
; %bb.41:
	v_mov_b32_dpp v16, v41 row_shr:1 row_mask:0xf bank_mask:0xf
	v_cndmask_b32_e64 v16, v16, 0, s[14:15]
	v_add_u32_e32 v16, v16, v41
	s_nop 1
	v_mov_b32_dpp v17, v16 row_shr:2 row_mask:0xf bank_mask:0xf
	v_cndmask_b32_e64 v17, 0, v17, s[12:13]
	v_add_u32_e32 v16, v16, v17
	s_nop 1
	v_mov_b32_dpp v17, v16 row_shr:4 row_mask:0xf bank_mask:0xf
	v_cndmask_b32_e64 v17, 0, v17, s[10:11]
	v_add_u32_e32 v16, v16, v17
	s_nop 1
	v_mov_b32_dpp v17, v16 row_shr:8 row_mask:0xf bank_mask:0xf
	v_cndmask_b32_e64 v17, 0, v17, s[8:9]
	v_add_u32_e32 v16, v16, v17
	s_nop 1
	v_mov_b32_dpp v17, v16 row_bcast:15 row_mask:0xf bank_mask:0xf
	v_cndmask_b32_e64 v17, v17, 0, s[6:7]
	v_add_u32_e32 v16, v16, v17
	s_nop 1
	v_mov_b32_dpp v17, v16 row_bcast:31 row_mask:0xf bank_mask:0xf
	v_cndmask_b32_e64 v17, 0, v17, s[2:3]
	v_add_u32_e32 v16, v16, v17
	s_and_saveexec_b64 s[0:1], s[4:5]
	s_cbranch_execz .LBB3236_43
; %bb.42:
	v_lshlrev_b32_e32 v17, 2, v40
	ds_write_b32 v17, v16
.LBB3236_43:
	s_or_b64 exec, exec, s[0:1]
	v_cmp_gt_u32_e32 vcc, 8, v0
	s_waitcnt lgkmcnt(0)
	s_barrier
	s_and_saveexec_b64 s[0:1], vcc
	s_cbranch_execz .LBB3236_45
; %bb.44:
	v_lshlrev_b32_e32 v17, 2, v0
	ds_read_b32 v24, v17
	v_and_b32_e32 v25, 7, v38
	v_cmp_ne_u32_e32 vcc, 0, v25
	s_waitcnt lgkmcnt(0)
	v_mov_b32_dpp v26, v24 row_shr:1 row_mask:0xf bank_mask:0xf
	v_cndmask_b32_e32 v26, 0, v26, vcc
	v_add_u32_e32 v24, v26, v24
	v_cmp_lt_u32_e32 vcc, 1, v25
	s_nop 0
	v_mov_b32_dpp v26, v24 row_shr:2 row_mask:0xf bank_mask:0xf
	v_cndmask_b32_e32 v26, 0, v26, vcc
	v_add_u32_e32 v24, v24, v26
	v_cmp_lt_u32_e32 vcc, 3, v25
	s_nop 0
	v_mov_b32_dpp v26, v24 row_shr:4 row_mask:0xf bank_mask:0xf
	v_cndmask_b32_e32 v25, 0, v26, vcc
	v_add_u32_e32 v24, v24, v25
	ds_write_b32 v17, v24
.LBB3236_45:
	s_or_b64 exec, exec, s[0:1]
	v_cmp_gt_u32_e32 vcc, 64, v0
	v_cmp_lt_u32_e64 s[0:1], 63, v0
	s_waitcnt lgkmcnt(0)
	s_barrier
	s_waitcnt lgkmcnt(0)
                                        ; implicit-def: $vgpr42
	s_and_saveexec_b64 s[16:17], s[0:1]
	s_cbranch_execz .LBB3236_47
; %bb.46:
	v_lshl_add_u32 v17, v40, 2, -4
	ds_read_b32 v42, v17
	s_waitcnt lgkmcnt(0)
	v_add_u32_e32 v16, v42, v16
.LBB3236_47:
	s_or_b64 exec, exec, s[16:17]
	v_add_u32_e32 v17, -1, v38
	v_and_b32_e32 v24, 64, v38
	v_cmp_lt_i32_e64 s[0:1], v17, v24
	v_cmp_eq_u32_e64 s[16:17], 0, v38
	s_nop 0
	v_cndmask_b32_e64 v17, v17, v38, s[0:1]
	v_lshlrev_b32_e32 v17, 2, v17
	ds_bpermute_b32 v43, v17, v16
	s_and_saveexec_b64 s[0:1], vcc
	s_cbranch_execz .LBB3236_70
; %bb.48:
	v_mov_b32_e32 v31, 0
	ds_read_b32 v16, v31 offset:28
	s_and_saveexec_b64 s[34:35], s[16:17]
	s_cbranch_execz .LBB3236_50
; %bb.49:
	s_add_i32 s36, s38, 64
	s_mov_b32 s37, 0
	s_lshl_b64 s[36:37], s[36:37], 3
	s_add_u32 s36, s30, s36
	v_mov_b32_e32 v17, 1
	s_addc_u32 s37, s31, s37
	s_waitcnt lgkmcnt(0)
	global_store_dwordx2 v31, v[16:17], s[36:37] sc1
.LBB3236_50:
	s_or_b64 exec, exec, s[34:35]
	v_xad_u32 v24, v38, -1, s38
	v_add_u32_e32 v30, 64, v24
	v_lshl_add_u64 v[26:27], v[30:31], 3, s[30:31]
	global_load_dwordx2 v[28:29], v[26:27], off sc1
	s_waitcnt vmcnt(0)
	v_cmp_eq_u16_sdwa s[36:37], v29, v31 src0_sel:BYTE_0 src1_sel:DWORD
	s_and_saveexec_b64 s[34:35], s[36:37]
	s_cbranch_execz .LBB3236_56
; %bb.51:
	s_mov_b32 s39, 1
	s_mov_b64 s[36:37], 0
	v_mov_b32_e32 v17, 0
.LBB3236_52:                            ; =>This Loop Header: Depth=1
                                        ;     Child Loop BB3236_53 Depth 2
	s_max_u32 s40, s39, 1
.LBB3236_53:                            ;   Parent Loop BB3236_52 Depth=1
                                        ; =>  This Inner Loop Header: Depth=2
	s_add_i32 s40, s40, -1
	s_cmp_eq_u32 s40, 0
	s_sleep 1
	s_cbranch_scc0 .LBB3236_53
; %bb.54:                               ;   in Loop: Header=BB3236_52 Depth=1
	global_load_dwordx2 v[28:29], v[26:27], off sc1
	s_cmp_lt_u32 s39, 32
	s_cselect_b64 s[40:41], -1, 0
	s_cmp_lg_u64 s[40:41], 0
	s_addc_u32 s39, s39, 0
	s_waitcnt vmcnt(0)
	v_cmp_ne_u16_sdwa s[40:41], v29, v17 src0_sel:BYTE_0 src1_sel:DWORD
	s_or_b64 s[36:37], s[40:41], s[36:37]
	s_andn2_b64 exec, exec, s[36:37]
	s_cbranch_execnz .LBB3236_52
; %bb.55:
	s_or_b64 exec, exec, s[36:37]
.LBB3236_56:
	s_or_b64 exec, exec, s[34:35]
	v_and_b32_e32 v45, 63, v38
	v_mov_b32_e32 v44, 2
	v_cmp_ne_u32_e32 vcc, 63, v45
	v_cmp_eq_u16_sdwa s[34:35], v29, v44 src0_sel:BYTE_0 src1_sel:DWORD
	v_lshlrev_b64 v[26:27], v38, -1
	v_addc_co_u32_e32 v30, vcc, 0, v38, vcc
	v_and_b32_e32 v17, s35, v27
	v_lshlrev_b32_e32 v46, 2, v30
	v_or_b32_e32 v17, 0x80000000, v17
	ds_bpermute_b32 v30, v46, v28
	v_and_b32_e32 v25, s34, v26
	v_ffbl_b32_e32 v17, v17
	v_add_u32_e32 v17, 32, v17
	v_ffbl_b32_e32 v25, v25
	v_min_u32_e32 v17, v25, v17
	v_cmp_lt_u32_e32 vcc, v45, v17
	v_add_u32_e32 v48, 2, v45
	v_add_u32_e32 v50, 4, v45
	s_waitcnt lgkmcnt(0)
	v_cndmask_b32_e32 v25, 0, v30, vcc
	v_cmp_gt_u32_e32 vcc, 62, v45
	v_add_u32_e32 v25, v25, v28
	v_add_u32_e32 v52, 8, v45
	v_cndmask_b32_e64 v28, 0, 1, vcc
	v_lshlrev_b32_e32 v28, 1, v28
	v_add_lshl_u32 v47, v28, v38, 2
	ds_bpermute_b32 v28, v47, v25
	v_cmp_le_u32_e32 vcc, v48, v17
	v_add_u32_e32 v54, 16, v45
	v_add_u32_e32 v56, 32, v45
	s_waitcnt lgkmcnt(0)
	v_cndmask_b32_e32 v28, 0, v28, vcc
	v_cmp_gt_u32_e32 vcc, 60, v45
	v_add_u32_e32 v25, v25, v28
	s_nop 0
	v_cndmask_b32_e64 v28, 0, 1, vcc
	v_lshlrev_b32_e32 v28, 2, v28
	v_add_lshl_u32 v49, v28, v38, 2
	ds_bpermute_b32 v28, v49, v25
	v_cmp_le_u32_e32 vcc, v50, v17
	s_waitcnt lgkmcnt(0)
	s_nop 0
	v_cndmask_b32_e32 v28, 0, v28, vcc
	v_cmp_gt_u32_e32 vcc, 56, v45
	v_add_u32_e32 v25, v25, v28
	s_nop 0
	v_cndmask_b32_e64 v28, 0, 1, vcc
	v_lshlrev_b32_e32 v28, 3, v28
	v_add_lshl_u32 v51, v28, v38, 2
	ds_bpermute_b32 v28, v51, v25
	v_cmp_le_u32_e32 vcc, v52, v17
	s_waitcnt lgkmcnt(0)
	s_nop 0
	;; [unrolled: 11-line block ×4, first 2 shown]
	v_cndmask_b32_e32 v17, 0, v28, vcc
	v_add_u32_e32 v28, v25, v17
	v_mov_b32_e32 v25, 0
	s_branch .LBB3236_58
.LBB3236_57:                            ;   in Loop: Header=BB3236_58 Depth=1
	s_or_b64 exec, exec, s[34:35]
	v_cmp_eq_u16_sdwa s[34:35], v29, v44 src0_sel:BYTE_0 src1_sel:DWORD
	ds_bpermute_b32 v57, v46, v28
	v_subrev_u32_e32 v24, 64, v24
	v_and_b32_e32 v30, s35, v27
	v_or_b32_e32 v30, 0x80000000, v30
	v_and_b32_e32 v31, s34, v26
	v_ffbl_b32_e32 v30, v30
	v_add_u32_e32 v30, 32, v30
	v_ffbl_b32_e32 v31, v31
	v_min_u32_e32 v30, v31, v30
	v_cmp_lt_u32_e32 vcc, v45, v30
	s_waitcnt lgkmcnt(0)
	s_nop 0
	v_cndmask_b32_e32 v31, 0, v57, vcc
	v_add_u32_e32 v28, v31, v28
	ds_bpermute_b32 v31, v47, v28
	v_cmp_le_u32_e32 vcc, v48, v30
	s_waitcnt lgkmcnt(0)
	s_nop 0
	v_cndmask_b32_e32 v31, 0, v31, vcc
	v_add_u32_e32 v28, v28, v31
	ds_bpermute_b32 v31, v49, v28
	v_cmp_le_u32_e32 vcc, v50, v30
	;; [unrolled: 6-line block ×5, first 2 shown]
	s_waitcnt lgkmcnt(0)
	s_nop 0
	v_cndmask_b32_e32 v30, 0, v31, vcc
	v_add3_u32 v28, v30, v17, v28
.LBB3236_58:                            ; =>This Loop Header: Depth=1
                                        ;     Child Loop BB3236_61 Depth 2
                                        ;       Child Loop BB3236_62 Depth 3
	v_cmp_ne_u16_sdwa s[34:35], v29, v44 src0_sel:BYTE_0 src1_sel:DWORD
	s_nop 1
	v_cndmask_b32_e64 v17, 0, 1, s[34:35]
	;;#ASMSTART
	;;#ASMEND
	s_nop 0
	v_cmp_ne_u32_e32 vcc, 0, v17
	s_cmp_lg_u64 vcc, exec
	v_mov_b32_e32 v17, v28
	s_cbranch_scc1 .LBB3236_65
; %bb.59:                               ;   in Loop: Header=BB3236_58 Depth=1
	v_lshl_add_u64 v[30:31], v[24:25], 3, s[30:31]
	global_load_dwordx2 v[28:29], v[30:31], off sc1
	s_waitcnt vmcnt(0)
	v_cmp_eq_u16_sdwa s[36:37], v29, v25 src0_sel:BYTE_0 src1_sel:DWORD
	s_and_saveexec_b64 s[34:35], s[36:37]
	s_cbranch_execz .LBB3236_57
; %bb.60:                               ;   in Loop: Header=BB3236_58 Depth=1
	s_mov_b32 s39, 1
	s_mov_b64 s[36:37], 0
.LBB3236_61:                            ;   Parent Loop BB3236_58 Depth=1
                                        ; =>  This Loop Header: Depth=2
                                        ;       Child Loop BB3236_62 Depth 3
	s_max_u32 s40, s39, 1
.LBB3236_62:                            ;   Parent Loop BB3236_58 Depth=1
                                        ;     Parent Loop BB3236_61 Depth=2
                                        ; =>    This Inner Loop Header: Depth=3
	s_add_i32 s40, s40, -1
	s_cmp_eq_u32 s40, 0
	s_sleep 1
	s_cbranch_scc0 .LBB3236_62
; %bb.63:                               ;   in Loop: Header=BB3236_61 Depth=2
	global_load_dwordx2 v[28:29], v[30:31], off sc1
	s_cmp_lt_u32 s39, 32
	s_cselect_b64 s[40:41], -1, 0
	s_cmp_lg_u64 s[40:41], 0
	s_addc_u32 s39, s39, 0
	s_waitcnt vmcnt(0)
	v_cmp_ne_u16_sdwa s[40:41], v29, v25 src0_sel:BYTE_0 src1_sel:DWORD
	s_or_b64 s[36:37], s[40:41], s[36:37]
	s_andn2_b64 exec, exec, s[36:37]
	s_cbranch_execnz .LBB3236_61
; %bb.64:                               ;   in Loop: Header=BB3236_58 Depth=1
	s_or_b64 exec, exec, s[36:37]
	s_branch .LBB3236_57
.LBB3236_65:                            ;   in Loop: Header=BB3236_58 Depth=1
                                        ; implicit-def: $vgpr28
                                        ; implicit-def: $vgpr29
	s_cbranch_execz .LBB3236_58
; %bb.66:
	s_and_saveexec_b64 s[34:35], s[16:17]
	s_cbranch_execz .LBB3236_68
; %bb.67:
	s_add_i32 s36, s38, 64
	s_mov_b32 s37, 0
	s_lshl_b64 s[36:37], s[36:37], 3
	s_add_u32 s36, s30, s36
	v_add_u32_e32 v24, v17, v16
	v_mov_b32_e32 v25, 2
	s_addc_u32 s37, s31, s37
	v_mov_b32_e32 v26, 0
	global_store_dwordx2 v26, v[24:25], s[36:37] sc1
	ds_write_b64 v26, v[16:17] offset:28672
.LBB3236_68:
	s_or_b64 exec, exec, s[34:35]
	s_and_b64 exec, exec, s[18:19]
	s_cbranch_execz .LBB3236_70
; %bb.69:
	v_mov_b32_e32 v16, 0
	ds_write_b32 v16, v17 offset:28
.LBB3236_70:
	s_or_b64 exec, exec, s[0:1]
	v_mov_b32_e32 v16, 0
	s_waitcnt lgkmcnt(0)
	s_barrier
	ds_read_b32 v17, v16 offset:28
	v_cndmask_b32_e64 v24, v43, v42, s[16:17]
	v_cndmask_b32_e64 v24, v24, 0, s[18:19]
	s_waitcnt lgkmcnt(0)
	s_barrier
	v_add_u32_e32 v31, v17, v24
	v_add_u32_e32 v30, v31, v37
	ds_read_b64 v[16:17], v16 offset:28672
	v_add_u32_e32 v29, v30, v36
	v_add_u32_e32 v27, v29, v35
	;; [unrolled: 1-line block ×5, first 2 shown]
	s_waitcnt lgkmcnt(0)
	v_mov_b32_e32 v26, v17
	s_branch .LBB3236_81
.LBB3236_71:
                                        ; implicit-def: $vgpr26
                                        ; implicit-def: $vgpr16
                                        ; implicit-def: $vgpr24
                                        ; implicit-def: $vgpr25
                                        ; implicit-def: $vgpr28
                                        ; implicit-def: $vgpr27
                                        ; implicit-def: $vgpr29
                                        ; implicit-def: $vgpr30
                                        ; implicit-def: $vgpr31
	s_cbranch_execz .LBB3236_81
; %bb.72:
	s_nop 0
	v_mov_b32_dpp v16, v41 row_shr:1 row_mask:0xf bank_mask:0xf
	v_cndmask_b32_e64 v16, v16, 0, s[14:15]
	v_add_u32_e32 v16, v16, v41
	s_nop 1
	v_mov_b32_dpp v17, v16 row_shr:2 row_mask:0xf bank_mask:0xf
	v_cndmask_b32_e64 v17, 0, v17, s[12:13]
	v_add_u32_e32 v16, v16, v17
	s_nop 1
	v_mov_b32_dpp v17, v16 row_shr:4 row_mask:0xf bank_mask:0xf
	v_cndmask_b32_e64 v17, 0, v17, s[10:11]
	v_add_u32_e32 v16, v16, v17
	s_nop 1
	v_mov_b32_dpp v17, v16 row_shr:8 row_mask:0xf bank_mask:0xf
	v_cndmask_b32_e64 v17, 0, v17, s[8:9]
	v_add_u32_e32 v16, v16, v17
	s_nop 1
	v_mov_b32_dpp v17, v16 row_bcast:15 row_mask:0xf bank_mask:0xf
	v_cndmask_b32_e64 v17, v17, 0, s[6:7]
	v_add_u32_e32 v16, v16, v17
	s_nop 1
	v_mov_b32_dpp v17, v16 row_bcast:31 row_mask:0xf bank_mask:0xf
	v_cndmask_b32_e64 v17, 0, v17, s[2:3]
	v_add_u32_e32 v16, v16, v17
	s_and_saveexec_b64 s[0:1], s[4:5]
	s_cbranch_execz .LBB3236_74
; %bb.73:
	v_lshlrev_b32_e32 v17, 2, v40
	ds_write_b32 v17, v16
.LBB3236_74:
	s_or_b64 exec, exec, s[0:1]
	v_cmp_gt_u32_e32 vcc, 8, v0
	s_waitcnt lgkmcnt(0)
	s_barrier
	s_and_saveexec_b64 s[0:1], vcc
	s_cbranch_execz .LBB3236_76
; %bb.75:
	v_mad_i32_i24 v17, v0, -3, v39
	ds_read_b32 v24, v17
	v_and_b32_e32 v25, 7, v38
	v_cmp_ne_u32_e32 vcc, 0, v25
	s_waitcnt lgkmcnt(0)
	v_mov_b32_dpp v26, v24 row_shr:1 row_mask:0xf bank_mask:0xf
	v_cndmask_b32_e32 v26, 0, v26, vcc
	v_add_u32_e32 v24, v26, v24
	v_cmp_lt_u32_e32 vcc, 1, v25
	s_nop 0
	v_mov_b32_dpp v26, v24 row_shr:2 row_mask:0xf bank_mask:0xf
	v_cndmask_b32_e32 v26, 0, v26, vcc
	v_add_u32_e32 v24, v24, v26
	v_cmp_lt_u32_e32 vcc, 3, v25
	s_nop 0
	v_mov_b32_dpp v26, v24 row_shr:4 row_mask:0xf bank_mask:0xf
	v_cndmask_b32_e32 v25, 0, v26, vcc
	v_add_u32_e32 v24, v24, v25
	ds_write_b32 v17, v24
.LBB3236_76:
	s_or_b64 exec, exec, s[0:1]
	v_cmp_lt_u32_e32 vcc, 63, v0
	v_mov_b32_e32 v17, 0
	v_mov_b32_e32 v24, 0
	s_waitcnt lgkmcnt(0)
	s_barrier
	s_and_saveexec_b64 s[0:1], vcc
	s_cbranch_execz .LBB3236_78
; %bb.77:
	v_lshl_add_u32 v24, v40, 2, -4
	ds_read_b32 v24, v24
.LBB3236_78:
	s_or_b64 exec, exec, s[0:1]
	v_add_u32_e32 v25, -1, v38
	v_and_b32_e32 v26, 64, v38
	v_cmp_lt_i32_e32 vcc, v25, v26
	s_waitcnt lgkmcnt(0)
	v_add_u32_e32 v16, v24, v16
	v_cndmask_b32_e32 v25, v25, v38, vcc
	v_lshlrev_b32_e32 v25, 2, v25
	ds_bpermute_b32 v25, v25, v16
	ds_read_b32 v16, v17 offset:28
	s_and_saveexec_b64 s[0:1], s[18:19]
	s_cbranch_execz .LBB3236_80
; %bb.79:
	v_mov_b32_e32 v26, 0
	v_mov_b32_e32 v17, 2
	s_waitcnt lgkmcnt(0)
	global_store_dwordx2 v26, v[16:17], s[30:31] offset:512 sc1
.LBB3236_80:
	s_or_b64 exec, exec, s[0:1]
	v_cmp_eq_u32_e32 vcc, 0, v38
	v_mov_b32_e32 v26, 0
	s_waitcnt lgkmcnt(0)
	v_cndmask_b32_e32 v17, v25, v24, vcc
	v_cndmask_b32_e64 v31, v17, 0, s[18:19]
	v_add_u32_e32 v30, v31, v37
	v_add_u32_e32 v29, v30, v36
	;; [unrolled: 1-line block ×6, first 2 shown]
	s_barrier
.LBB3236_81:
	v_add_u32_e32 v1, v16, v1
	v_sub_u32_e32 v17, v31, v26
	v_sub_u32_e32 v31, v1, v17
	v_cmp_eq_u32_e32 vcc, 1, v37
	v_cmp_ge_u32_e64 s[0:1], v0, v16
	s_nop 0
	v_cndmask_b32_e32 v17, v31, v17, vcc
	v_lshlrev_b32_e32 v17, 3, v17
	ds_write_b64 v17, v[10:11]
	v_sub_u32_e32 v10, v30, v26
	v_sub_u32_e32 v11, v1, v10
	v_add_u32_e32 v11, 1, v11
	v_cmp_eq_u32_e32 vcc, 1, v36
	v_or_b32_e32 v31, 0x200, v0
	v_or_b32_e32 v30, 0x400, v0
	v_cndmask_b32_e32 v10, v11, v10, vcc
	v_lshlrev_b32_e32 v10, 3, v10
	ds_write_b64 v10, v[12:13]
	v_sub_u32_e32 v10, v29, v26
	v_sub_u32_e32 v11, v1, v10
	v_add_u32_e32 v11, 2, v11
	v_cmp_eq_u32_e32 vcc, 1, v35
	v_or_b32_e32 v29, 0x600, v0
	s_nop 0
	v_cndmask_b32_e32 v10, v11, v10, vcc
	v_lshlrev_b32_e32 v10, 3, v10
	ds_write_b64 v10, v[6:7]
	v_sub_u32_e32 v6, v27, v26
	v_sub_u32_e32 v7, v1, v6
	v_add_u32_e32 v7, 3, v7
	v_cmp_eq_u32_e32 vcc, 1, v34
	v_mov_b32_e32 v27, 0
	v_mov_b32_e32 v17, v27
	v_cndmask_b32_e32 v6, v7, v6, vcc
	v_lshlrev_b32_e32 v6, 3, v6
	ds_write_b64 v6, v[8:9]
	v_sub_u32_e32 v6, v28, v26
	v_sub_u32_e32 v7, v1, v6
	v_add_u32_e32 v7, 4, v7
	v_cmp_eq_u32_e32 vcc, 1, v33
	v_or_b32_e32 v28, 0x800, v0
	s_nop 0
	v_cndmask_b32_e32 v6, v7, v6, vcc
	v_lshlrev_b32_e32 v6, 3, v6
	ds_write_b64 v6, v[2:3]
	v_sub_u32_e32 v2, v25, v26
	v_sub_u32_e32 v3, v1, v2
	v_add_u32_e32 v3, 5, v3
	v_cmp_eq_u32_e32 vcc, 1, v32
	s_nop 1
	v_cndmask_b32_e32 v2, v3, v2, vcc
	v_lshlrev_b32_e32 v2, 3, v2
	ds_write_b64 v2, v[4:5]
	v_sub_u32_e32 v2, v24, v26
	v_sub_u32_e32 v1, v1, v2
	v_add_u32_e32 v1, 6, v1
	v_cmp_eq_u32_e32 vcc, 1, v19
	v_or_b32_e32 v19, 0xa00, v0
	s_nop 0
	v_cndmask_b32_e32 v1, v1, v2, vcc
	v_lshlrev_b32_e32 v1, 3, v1
	ds_write_b64 v1, v[14:15]
	s_waitcnt vmcnt(0)
	v_lshl_add_u64 v[14:15], v[20:21], 0, v[16:17]
	v_lshl_add_u64 v[14:15], v[14:15], 0, v[26:27]
	s_waitcnt lgkmcnt(0)
	s_barrier
	ds_read2st64_b64 v[10:13], v18 offset1:8
	ds_read2st64_b64 v[6:9], v18 offset0:16 offset1:24
	ds_read2st64_b64 v[2:5], v18 offset0:32 offset1:40
	ds_read_b64 v[24:25], v18 offset:24576
	v_mov_b32_e32 v17, s27
	v_sub_co_u32_e32 v20, vcc, s26, v14
	v_or_b32_e32 v1, 0xc00, v0
	s_nop 0
	v_subb_co_u32_e32 v21, vcc, v17, v15, vcc
	v_lshlrev_b64 v[20:21], 3, v[20:21]
	v_lshl_add_u64 v[20:21], s[28:29], 0, v[20:21]
	v_lshl_add_u64 v[20:21], v[20:21], 0, v[22:23]
	s_andn2_b64 vcc, exec, s[24:25]
	s_cbranch_vccnz .LBB3236_90
; %bb.82:
	s_and_saveexec_b64 s[2:3], s[0:1]
	s_cbranch_execnz .LBB3236_109
; %bb.83:
	s_or_b64 exec, exec, s[2:3]
	v_cmp_ge_u32_e32 vcc, v31, v16
	s_and_saveexec_b64 s[0:1], vcc
	s_cbranch_execnz .LBB3236_110
.LBB3236_84:
	s_or_b64 exec, exec, s[0:1]
	v_cmp_ge_u32_e32 vcc, v30, v16
	s_and_saveexec_b64 s[0:1], vcc
	s_cbranch_execnz .LBB3236_111
.LBB3236_85:
	s_or_b64 exec, exec, s[0:1]
	v_cmp_ge_u32_e32 vcc, v29, v16
	s_and_saveexec_b64 s[0:1], vcc
	s_cbranch_execnz .LBB3236_112
.LBB3236_86:
	s_or_b64 exec, exec, s[0:1]
	v_cmp_ge_u32_e32 vcc, v28, v16
	s_and_saveexec_b64 s[0:1], vcc
	s_cbranch_execnz .LBB3236_113
.LBB3236_87:
	s_or_b64 exec, exec, s[0:1]
	v_cmp_ge_u32_e32 vcc, v19, v16
	s_and_saveexec_b64 s[0:1], vcc
	s_cbranch_execz .LBB3236_89
.LBB3236_88:
	v_lshlrev_b32_e32 v17, 3, v19
	v_readfirstlane_b32 s2, v20
	v_readfirstlane_b32 s3, v21
	s_waitcnt lgkmcnt(1)
	s_nop 3
	global_store_dwordx2 v17, v[4:5], s[2:3]
.LBB3236_89:
	s_or_b64 exec, exec, s[0:1]
	v_cmp_ge_u32_e64 s[0:1], v1, v16
	s_branch .LBB3236_104
.LBB3236_90:
	s_mov_b64 s[0:1], 0
	s_cbranch_execz .LBB3236_104
; %bb.91:
	v_cmp_gt_u32_e32 vcc, s33, v0
	v_cmp_ge_u32_e64 s[0:1], v0, v16
	s_and_b64 s[2:3], vcc, s[0:1]
	s_and_saveexec_b64 s[0:1], s[2:3]
	s_cbranch_execz .LBB3236_93
; %bb.92:
	v_readfirstlane_b32 s2, v20
	v_readfirstlane_b32 s3, v21
	s_waitcnt lgkmcnt(3)
	s_nop 3
	global_store_dwordx2 v18, v[10:11], s[2:3]
.LBB3236_93:
	s_or_b64 exec, exec, s[0:1]
	v_cmp_gt_u32_e32 vcc, s33, v31
	v_cmp_ge_u32_e64 s[0:1], v31, v16
	s_and_b64 s[2:3], vcc, s[0:1]
	s_and_saveexec_b64 s[0:1], s[2:3]
	s_cbranch_execz .LBB3236_95
; %bb.94:
	v_lshlrev_b32_e32 v0, 3, v31
	v_readfirstlane_b32 s2, v20
	v_readfirstlane_b32 s3, v21
	s_waitcnt lgkmcnt(3)
	s_nop 3
	global_store_dwordx2 v0, v[12:13], s[2:3]
.LBB3236_95:
	s_or_b64 exec, exec, s[0:1]
	v_cmp_gt_u32_e32 vcc, s33, v30
	v_cmp_ge_u32_e64 s[0:1], v30, v16
	s_and_b64 s[2:3], vcc, s[0:1]
	s_and_saveexec_b64 s[0:1], s[2:3]
	s_cbranch_execz .LBB3236_97
; %bb.96:
	v_lshlrev_b32_e32 v0, 3, v30
	v_readfirstlane_b32 s2, v20
	v_readfirstlane_b32 s3, v21
	s_waitcnt lgkmcnt(2)
	s_nop 3
	global_store_dwordx2 v0, v[6:7], s[2:3]
.LBB3236_97:
	;; [unrolled: 14-line block ×5, first 2 shown]
	s_or_b64 exec, exec, s[0:1]
	v_cmp_gt_u32_e32 vcc, s33, v1
	v_cmp_ge_u32_e64 s[0:1], v1, v16
	s_and_b64 s[0:1], vcc, s[0:1]
.LBB3236_104:
	s_and_saveexec_b64 s[2:3], s[0:1]
	s_cbranch_execnz .LBB3236_107
; %bb.105:
	s_or_b64 exec, exec, s[2:3]
	s_and_b64 s[0:1], s[18:19], s[22:23]
	s_and_saveexec_b64 s[2:3], s[0:1]
	s_cbranch_execnz .LBB3236_108
.LBB3236_106:
	s_endpgm
.LBB3236_107:
	v_lshlrev_b32_e32 v0, 3, v1
	v_readfirstlane_b32 s0, v20
	v_readfirstlane_b32 s1, v21
	s_waitcnt lgkmcnt(0)
	s_nop 3
	global_store_dwordx2 v0, v[24:25], s[0:1]
	s_or_b64 exec, exec, s[2:3]
	s_and_b64 s[0:1], s[18:19], s[22:23]
	s_and_saveexec_b64 s[2:3], s[0:1]
	s_cbranch_execz .LBB3236_106
.LBB3236_108:
	v_mov_b32_e32 v0, 0
	global_store_dwordx2 v0, v[14:15], s[20:21]
	s_endpgm
.LBB3236_109:
	v_readfirstlane_b32 s0, v20
	v_readfirstlane_b32 s1, v21
	s_waitcnt lgkmcnt(3)
	s_nop 3
	global_store_dwordx2 v18, v[10:11], s[0:1]
	s_or_b64 exec, exec, s[2:3]
	v_cmp_ge_u32_e32 vcc, v31, v16
	s_and_saveexec_b64 s[0:1], vcc
	s_cbranch_execz .LBB3236_84
.LBB3236_110:
	v_lshlrev_b32_e32 v17, 3, v31
	v_readfirstlane_b32 s2, v20
	v_readfirstlane_b32 s3, v21
	s_waitcnt lgkmcnt(3)
	s_nop 3
	global_store_dwordx2 v17, v[12:13], s[2:3]
	s_or_b64 exec, exec, s[0:1]
	v_cmp_ge_u32_e32 vcc, v30, v16
	s_and_saveexec_b64 s[0:1], vcc
	s_cbranch_execz .LBB3236_85
.LBB3236_111:
	v_lshlrev_b32_e32 v17, 3, v30
	v_readfirstlane_b32 s2, v20
	v_readfirstlane_b32 s3, v21
	s_waitcnt lgkmcnt(2)
	s_nop 3
	global_store_dwordx2 v17, v[6:7], s[2:3]
	s_or_b64 exec, exec, s[0:1]
	v_cmp_ge_u32_e32 vcc, v29, v16
	s_and_saveexec_b64 s[0:1], vcc
	s_cbranch_execz .LBB3236_86
.LBB3236_112:
	v_lshlrev_b32_e32 v17, 3, v29
	v_readfirstlane_b32 s2, v20
	v_readfirstlane_b32 s3, v21
	s_waitcnt lgkmcnt(2)
	s_nop 3
	global_store_dwordx2 v17, v[8:9], s[2:3]
	s_or_b64 exec, exec, s[0:1]
	v_cmp_ge_u32_e32 vcc, v28, v16
	s_and_saveexec_b64 s[0:1], vcc
	s_cbranch_execz .LBB3236_87
.LBB3236_113:
	v_lshlrev_b32_e32 v17, 3, v28
	v_readfirstlane_b32 s2, v20
	v_readfirstlane_b32 s3, v21
	s_waitcnt lgkmcnt(1)
	s_nop 3
	global_store_dwordx2 v17, v[2:3], s[2:3]
	s_or_b64 exec, exec, s[0:1]
	v_cmp_ge_u32_e32 vcc, v19, v16
	s_and_saveexec_b64 s[0:1], vcc
	s_cbranch_execnz .LBB3236_88
	s_branch .LBB3236_89
	.section	.rodata,"a",@progbits
	.p2align	6, 0x0
	.amdhsa_kernel _ZN7rocprim17ROCPRIM_400000_NS6detail17trampoline_kernelINS0_14default_configENS1_25partition_config_selectorILNS1_17partition_subalgoE1ExNS0_10empty_typeEbEEZZNS1_14partition_implILS5_1ELb0ES3_jN6thrust23THRUST_200600_302600_NS6detail15normal_iteratorINSA_10device_ptrIxEEEEPS6_NSA_18transform_iteratorI7is_evenIxESF_NSA_11use_defaultESK_EENS0_5tupleIJNSA_16discard_iteratorISK_EESF_EEENSM_IJSG_SG_EEES6_PlJS6_EEE10hipError_tPvRmT3_T4_T5_T6_T7_T9_mT8_P12ihipStream_tbDpT10_ENKUlT_T0_E_clISt17integral_constantIbLb1EES1B_EEDaS16_S17_EUlS16_E_NS1_11comp_targetILNS1_3genE5ELNS1_11target_archE942ELNS1_3gpuE9ELNS1_3repE0EEENS1_30default_config_static_selectorELNS0_4arch9wavefront6targetE1EEEvT1_
		.amdhsa_group_segment_fixed_size 28680
		.amdhsa_private_segment_fixed_size 0
		.amdhsa_kernarg_size 152
		.amdhsa_user_sgpr_count 2
		.amdhsa_user_sgpr_dispatch_ptr 0
		.amdhsa_user_sgpr_queue_ptr 0
		.amdhsa_user_sgpr_kernarg_segment_ptr 1
		.amdhsa_user_sgpr_dispatch_id 0
		.amdhsa_user_sgpr_kernarg_preload_length 0
		.amdhsa_user_sgpr_kernarg_preload_offset 0
		.amdhsa_user_sgpr_private_segment_size 0
		.amdhsa_uses_dynamic_stack 0
		.amdhsa_enable_private_segment 0
		.amdhsa_system_sgpr_workgroup_id_x 1
		.amdhsa_system_sgpr_workgroup_id_y 0
		.amdhsa_system_sgpr_workgroup_id_z 0
		.amdhsa_system_sgpr_workgroup_info 0
		.amdhsa_system_vgpr_workitem_id 0
		.amdhsa_next_free_vgpr 58
		.amdhsa_next_free_sgpr 42
		.amdhsa_accum_offset 60
		.amdhsa_reserve_vcc 1
		.amdhsa_float_round_mode_32 0
		.amdhsa_float_round_mode_16_64 0
		.amdhsa_float_denorm_mode_32 3
		.amdhsa_float_denorm_mode_16_64 3
		.amdhsa_dx10_clamp 1
		.amdhsa_ieee_mode 1
		.amdhsa_fp16_overflow 0
		.amdhsa_tg_split 0
		.amdhsa_exception_fp_ieee_invalid_op 0
		.amdhsa_exception_fp_denorm_src 0
		.amdhsa_exception_fp_ieee_div_zero 0
		.amdhsa_exception_fp_ieee_overflow 0
		.amdhsa_exception_fp_ieee_underflow 0
		.amdhsa_exception_fp_ieee_inexact 0
		.amdhsa_exception_int_div_zero 0
	.end_amdhsa_kernel
	.section	.text._ZN7rocprim17ROCPRIM_400000_NS6detail17trampoline_kernelINS0_14default_configENS1_25partition_config_selectorILNS1_17partition_subalgoE1ExNS0_10empty_typeEbEEZZNS1_14partition_implILS5_1ELb0ES3_jN6thrust23THRUST_200600_302600_NS6detail15normal_iteratorINSA_10device_ptrIxEEEEPS6_NSA_18transform_iteratorI7is_evenIxESF_NSA_11use_defaultESK_EENS0_5tupleIJNSA_16discard_iteratorISK_EESF_EEENSM_IJSG_SG_EEES6_PlJS6_EEE10hipError_tPvRmT3_T4_T5_T6_T7_T9_mT8_P12ihipStream_tbDpT10_ENKUlT_T0_E_clISt17integral_constantIbLb1EES1B_EEDaS16_S17_EUlS16_E_NS1_11comp_targetILNS1_3genE5ELNS1_11target_archE942ELNS1_3gpuE9ELNS1_3repE0EEENS1_30default_config_static_selectorELNS0_4arch9wavefront6targetE1EEEvT1_,"axG",@progbits,_ZN7rocprim17ROCPRIM_400000_NS6detail17trampoline_kernelINS0_14default_configENS1_25partition_config_selectorILNS1_17partition_subalgoE1ExNS0_10empty_typeEbEEZZNS1_14partition_implILS5_1ELb0ES3_jN6thrust23THRUST_200600_302600_NS6detail15normal_iteratorINSA_10device_ptrIxEEEEPS6_NSA_18transform_iteratorI7is_evenIxESF_NSA_11use_defaultESK_EENS0_5tupleIJNSA_16discard_iteratorISK_EESF_EEENSM_IJSG_SG_EEES6_PlJS6_EEE10hipError_tPvRmT3_T4_T5_T6_T7_T9_mT8_P12ihipStream_tbDpT10_ENKUlT_T0_E_clISt17integral_constantIbLb1EES1B_EEDaS16_S17_EUlS16_E_NS1_11comp_targetILNS1_3genE5ELNS1_11target_archE942ELNS1_3gpuE9ELNS1_3repE0EEENS1_30default_config_static_selectorELNS0_4arch9wavefront6targetE1EEEvT1_,comdat
.Lfunc_end3236:
	.size	_ZN7rocprim17ROCPRIM_400000_NS6detail17trampoline_kernelINS0_14default_configENS1_25partition_config_selectorILNS1_17partition_subalgoE1ExNS0_10empty_typeEbEEZZNS1_14partition_implILS5_1ELb0ES3_jN6thrust23THRUST_200600_302600_NS6detail15normal_iteratorINSA_10device_ptrIxEEEEPS6_NSA_18transform_iteratorI7is_evenIxESF_NSA_11use_defaultESK_EENS0_5tupleIJNSA_16discard_iteratorISK_EESF_EEENSM_IJSG_SG_EEES6_PlJS6_EEE10hipError_tPvRmT3_T4_T5_T6_T7_T9_mT8_P12ihipStream_tbDpT10_ENKUlT_T0_E_clISt17integral_constantIbLb1EES1B_EEDaS16_S17_EUlS16_E_NS1_11comp_targetILNS1_3genE5ELNS1_11target_archE942ELNS1_3gpuE9ELNS1_3repE0EEENS1_30default_config_static_selectorELNS0_4arch9wavefront6targetE1EEEvT1_, .Lfunc_end3236-_ZN7rocprim17ROCPRIM_400000_NS6detail17trampoline_kernelINS0_14default_configENS1_25partition_config_selectorILNS1_17partition_subalgoE1ExNS0_10empty_typeEbEEZZNS1_14partition_implILS5_1ELb0ES3_jN6thrust23THRUST_200600_302600_NS6detail15normal_iteratorINSA_10device_ptrIxEEEEPS6_NSA_18transform_iteratorI7is_evenIxESF_NSA_11use_defaultESK_EENS0_5tupleIJNSA_16discard_iteratorISK_EESF_EEENSM_IJSG_SG_EEES6_PlJS6_EEE10hipError_tPvRmT3_T4_T5_T6_T7_T9_mT8_P12ihipStream_tbDpT10_ENKUlT_T0_E_clISt17integral_constantIbLb1EES1B_EEDaS16_S17_EUlS16_E_NS1_11comp_targetILNS1_3genE5ELNS1_11target_archE942ELNS1_3gpuE9ELNS1_3repE0EEENS1_30default_config_static_selectorELNS0_4arch9wavefront6targetE1EEEvT1_
                                        ; -- End function
	.section	.AMDGPU.csdata,"",@progbits
; Kernel info:
; codeLenInByte = 5292
; NumSgprs: 48
; NumVgprs: 58
; NumAgprs: 0
; TotalNumVgprs: 58
; ScratchSize: 0
; MemoryBound: 0
; FloatMode: 240
; IeeeMode: 1
; LDSByteSize: 28680 bytes/workgroup (compile time only)
; SGPRBlocks: 5
; VGPRBlocks: 7
; NumSGPRsForWavesPerEU: 48
; NumVGPRsForWavesPerEU: 58
; AccumOffset: 60
; Occupancy: 4
; WaveLimiterHint : 1
; COMPUTE_PGM_RSRC2:SCRATCH_EN: 0
; COMPUTE_PGM_RSRC2:USER_SGPR: 2
; COMPUTE_PGM_RSRC2:TRAP_HANDLER: 0
; COMPUTE_PGM_RSRC2:TGID_X_EN: 1
; COMPUTE_PGM_RSRC2:TGID_Y_EN: 0
; COMPUTE_PGM_RSRC2:TGID_Z_EN: 0
; COMPUTE_PGM_RSRC2:TIDIG_COMP_CNT: 0
; COMPUTE_PGM_RSRC3_GFX90A:ACCUM_OFFSET: 14
; COMPUTE_PGM_RSRC3_GFX90A:TG_SPLIT: 0
	.section	.text._ZN7rocprim17ROCPRIM_400000_NS6detail17trampoline_kernelINS0_14default_configENS1_25partition_config_selectorILNS1_17partition_subalgoE1ExNS0_10empty_typeEbEEZZNS1_14partition_implILS5_1ELb0ES3_jN6thrust23THRUST_200600_302600_NS6detail15normal_iteratorINSA_10device_ptrIxEEEEPS6_NSA_18transform_iteratorI7is_evenIxESF_NSA_11use_defaultESK_EENS0_5tupleIJNSA_16discard_iteratorISK_EESF_EEENSM_IJSG_SG_EEES6_PlJS6_EEE10hipError_tPvRmT3_T4_T5_T6_T7_T9_mT8_P12ihipStream_tbDpT10_ENKUlT_T0_E_clISt17integral_constantIbLb1EES1B_EEDaS16_S17_EUlS16_E_NS1_11comp_targetILNS1_3genE4ELNS1_11target_archE910ELNS1_3gpuE8ELNS1_3repE0EEENS1_30default_config_static_selectorELNS0_4arch9wavefront6targetE1EEEvT1_,"axG",@progbits,_ZN7rocprim17ROCPRIM_400000_NS6detail17trampoline_kernelINS0_14default_configENS1_25partition_config_selectorILNS1_17partition_subalgoE1ExNS0_10empty_typeEbEEZZNS1_14partition_implILS5_1ELb0ES3_jN6thrust23THRUST_200600_302600_NS6detail15normal_iteratorINSA_10device_ptrIxEEEEPS6_NSA_18transform_iteratorI7is_evenIxESF_NSA_11use_defaultESK_EENS0_5tupleIJNSA_16discard_iteratorISK_EESF_EEENSM_IJSG_SG_EEES6_PlJS6_EEE10hipError_tPvRmT3_T4_T5_T6_T7_T9_mT8_P12ihipStream_tbDpT10_ENKUlT_T0_E_clISt17integral_constantIbLb1EES1B_EEDaS16_S17_EUlS16_E_NS1_11comp_targetILNS1_3genE4ELNS1_11target_archE910ELNS1_3gpuE8ELNS1_3repE0EEENS1_30default_config_static_selectorELNS0_4arch9wavefront6targetE1EEEvT1_,comdat
	.protected	_ZN7rocprim17ROCPRIM_400000_NS6detail17trampoline_kernelINS0_14default_configENS1_25partition_config_selectorILNS1_17partition_subalgoE1ExNS0_10empty_typeEbEEZZNS1_14partition_implILS5_1ELb0ES3_jN6thrust23THRUST_200600_302600_NS6detail15normal_iteratorINSA_10device_ptrIxEEEEPS6_NSA_18transform_iteratorI7is_evenIxESF_NSA_11use_defaultESK_EENS0_5tupleIJNSA_16discard_iteratorISK_EESF_EEENSM_IJSG_SG_EEES6_PlJS6_EEE10hipError_tPvRmT3_T4_T5_T6_T7_T9_mT8_P12ihipStream_tbDpT10_ENKUlT_T0_E_clISt17integral_constantIbLb1EES1B_EEDaS16_S17_EUlS16_E_NS1_11comp_targetILNS1_3genE4ELNS1_11target_archE910ELNS1_3gpuE8ELNS1_3repE0EEENS1_30default_config_static_selectorELNS0_4arch9wavefront6targetE1EEEvT1_ ; -- Begin function _ZN7rocprim17ROCPRIM_400000_NS6detail17trampoline_kernelINS0_14default_configENS1_25partition_config_selectorILNS1_17partition_subalgoE1ExNS0_10empty_typeEbEEZZNS1_14partition_implILS5_1ELb0ES3_jN6thrust23THRUST_200600_302600_NS6detail15normal_iteratorINSA_10device_ptrIxEEEEPS6_NSA_18transform_iteratorI7is_evenIxESF_NSA_11use_defaultESK_EENS0_5tupleIJNSA_16discard_iteratorISK_EESF_EEENSM_IJSG_SG_EEES6_PlJS6_EEE10hipError_tPvRmT3_T4_T5_T6_T7_T9_mT8_P12ihipStream_tbDpT10_ENKUlT_T0_E_clISt17integral_constantIbLb1EES1B_EEDaS16_S17_EUlS16_E_NS1_11comp_targetILNS1_3genE4ELNS1_11target_archE910ELNS1_3gpuE8ELNS1_3repE0EEENS1_30default_config_static_selectorELNS0_4arch9wavefront6targetE1EEEvT1_
	.globl	_ZN7rocprim17ROCPRIM_400000_NS6detail17trampoline_kernelINS0_14default_configENS1_25partition_config_selectorILNS1_17partition_subalgoE1ExNS0_10empty_typeEbEEZZNS1_14partition_implILS5_1ELb0ES3_jN6thrust23THRUST_200600_302600_NS6detail15normal_iteratorINSA_10device_ptrIxEEEEPS6_NSA_18transform_iteratorI7is_evenIxESF_NSA_11use_defaultESK_EENS0_5tupleIJNSA_16discard_iteratorISK_EESF_EEENSM_IJSG_SG_EEES6_PlJS6_EEE10hipError_tPvRmT3_T4_T5_T6_T7_T9_mT8_P12ihipStream_tbDpT10_ENKUlT_T0_E_clISt17integral_constantIbLb1EES1B_EEDaS16_S17_EUlS16_E_NS1_11comp_targetILNS1_3genE4ELNS1_11target_archE910ELNS1_3gpuE8ELNS1_3repE0EEENS1_30default_config_static_selectorELNS0_4arch9wavefront6targetE1EEEvT1_
	.p2align	8
	.type	_ZN7rocprim17ROCPRIM_400000_NS6detail17trampoline_kernelINS0_14default_configENS1_25partition_config_selectorILNS1_17partition_subalgoE1ExNS0_10empty_typeEbEEZZNS1_14partition_implILS5_1ELb0ES3_jN6thrust23THRUST_200600_302600_NS6detail15normal_iteratorINSA_10device_ptrIxEEEEPS6_NSA_18transform_iteratorI7is_evenIxESF_NSA_11use_defaultESK_EENS0_5tupleIJNSA_16discard_iteratorISK_EESF_EEENSM_IJSG_SG_EEES6_PlJS6_EEE10hipError_tPvRmT3_T4_T5_T6_T7_T9_mT8_P12ihipStream_tbDpT10_ENKUlT_T0_E_clISt17integral_constantIbLb1EES1B_EEDaS16_S17_EUlS16_E_NS1_11comp_targetILNS1_3genE4ELNS1_11target_archE910ELNS1_3gpuE8ELNS1_3repE0EEENS1_30default_config_static_selectorELNS0_4arch9wavefront6targetE1EEEvT1_,@function
_ZN7rocprim17ROCPRIM_400000_NS6detail17trampoline_kernelINS0_14default_configENS1_25partition_config_selectorILNS1_17partition_subalgoE1ExNS0_10empty_typeEbEEZZNS1_14partition_implILS5_1ELb0ES3_jN6thrust23THRUST_200600_302600_NS6detail15normal_iteratorINSA_10device_ptrIxEEEEPS6_NSA_18transform_iteratorI7is_evenIxESF_NSA_11use_defaultESK_EENS0_5tupleIJNSA_16discard_iteratorISK_EESF_EEENSM_IJSG_SG_EEES6_PlJS6_EEE10hipError_tPvRmT3_T4_T5_T6_T7_T9_mT8_P12ihipStream_tbDpT10_ENKUlT_T0_E_clISt17integral_constantIbLb1EES1B_EEDaS16_S17_EUlS16_E_NS1_11comp_targetILNS1_3genE4ELNS1_11target_archE910ELNS1_3gpuE8ELNS1_3repE0EEENS1_30default_config_static_selectorELNS0_4arch9wavefront6targetE1EEEvT1_: ; @_ZN7rocprim17ROCPRIM_400000_NS6detail17trampoline_kernelINS0_14default_configENS1_25partition_config_selectorILNS1_17partition_subalgoE1ExNS0_10empty_typeEbEEZZNS1_14partition_implILS5_1ELb0ES3_jN6thrust23THRUST_200600_302600_NS6detail15normal_iteratorINSA_10device_ptrIxEEEEPS6_NSA_18transform_iteratorI7is_evenIxESF_NSA_11use_defaultESK_EENS0_5tupleIJNSA_16discard_iteratorISK_EESF_EEENSM_IJSG_SG_EEES6_PlJS6_EEE10hipError_tPvRmT3_T4_T5_T6_T7_T9_mT8_P12ihipStream_tbDpT10_ENKUlT_T0_E_clISt17integral_constantIbLb1EES1B_EEDaS16_S17_EUlS16_E_NS1_11comp_targetILNS1_3genE4ELNS1_11target_archE910ELNS1_3gpuE8ELNS1_3repE0EEENS1_30default_config_static_selectorELNS0_4arch9wavefront6targetE1EEEvT1_
; %bb.0:
	.section	.rodata,"a",@progbits
	.p2align	6, 0x0
	.amdhsa_kernel _ZN7rocprim17ROCPRIM_400000_NS6detail17trampoline_kernelINS0_14default_configENS1_25partition_config_selectorILNS1_17partition_subalgoE1ExNS0_10empty_typeEbEEZZNS1_14partition_implILS5_1ELb0ES3_jN6thrust23THRUST_200600_302600_NS6detail15normal_iteratorINSA_10device_ptrIxEEEEPS6_NSA_18transform_iteratorI7is_evenIxESF_NSA_11use_defaultESK_EENS0_5tupleIJNSA_16discard_iteratorISK_EESF_EEENSM_IJSG_SG_EEES6_PlJS6_EEE10hipError_tPvRmT3_T4_T5_T6_T7_T9_mT8_P12ihipStream_tbDpT10_ENKUlT_T0_E_clISt17integral_constantIbLb1EES1B_EEDaS16_S17_EUlS16_E_NS1_11comp_targetILNS1_3genE4ELNS1_11target_archE910ELNS1_3gpuE8ELNS1_3repE0EEENS1_30default_config_static_selectorELNS0_4arch9wavefront6targetE1EEEvT1_
		.amdhsa_group_segment_fixed_size 0
		.amdhsa_private_segment_fixed_size 0
		.amdhsa_kernarg_size 152
		.amdhsa_user_sgpr_count 2
		.amdhsa_user_sgpr_dispatch_ptr 0
		.amdhsa_user_sgpr_queue_ptr 0
		.amdhsa_user_sgpr_kernarg_segment_ptr 1
		.amdhsa_user_sgpr_dispatch_id 0
		.amdhsa_user_sgpr_kernarg_preload_length 0
		.amdhsa_user_sgpr_kernarg_preload_offset 0
		.amdhsa_user_sgpr_private_segment_size 0
		.amdhsa_uses_dynamic_stack 0
		.amdhsa_enable_private_segment 0
		.amdhsa_system_sgpr_workgroup_id_x 1
		.amdhsa_system_sgpr_workgroup_id_y 0
		.amdhsa_system_sgpr_workgroup_id_z 0
		.amdhsa_system_sgpr_workgroup_info 0
		.amdhsa_system_vgpr_workitem_id 0
		.amdhsa_next_free_vgpr 1
		.amdhsa_next_free_sgpr 0
		.amdhsa_accum_offset 4
		.amdhsa_reserve_vcc 0
		.amdhsa_float_round_mode_32 0
		.amdhsa_float_round_mode_16_64 0
		.amdhsa_float_denorm_mode_32 3
		.amdhsa_float_denorm_mode_16_64 3
		.amdhsa_dx10_clamp 1
		.amdhsa_ieee_mode 1
		.amdhsa_fp16_overflow 0
		.amdhsa_tg_split 0
		.amdhsa_exception_fp_ieee_invalid_op 0
		.amdhsa_exception_fp_denorm_src 0
		.amdhsa_exception_fp_ieee_div_zero 0
		.amdhsa_exception_fp_ieee_overflow 0
		.amdhsa_exception_fp_ieee_underflow 0
		.amdhsa_exception_fp_ieee_inexact 0
		.amdhsa_exception_int_div_zero 0
	.end_amdhsa_kernel
	.section	.text._ZN7rocprim17ROCPRIM_400000_NS6detail17trampoline_kernelINS0_14default_configENS1_25partition_config_selectorILNS1_17partition_subalgoE1ExNS0_10empty_typeEbEEZZNS1_14partition_implILS5_1ELb0ES3_jN6thrust23THRUST_200600_302600_NS6detail15normal_iteratorINSA_10device_ptrIxEEEEPS6_NSA_18transform_iteratorI7is_evenIxESF_NSA_11use_defaultESK_EENS0_5tupleIJNSA_16discard_iteratorISK_EESF_EEENSM_IJSG_SG_EEES6_PlJS6_EEE10hipError_tPvRmT3_T4_T5_T6_T7_T9_mT8_P12ihipStream_tbDpT10_ENKUlT_T0_E_clISt17integral_constantIbLb1EES1B_EEDaS16_S17_EUlS16_E_NS1_11comp_targetILNS1_3genE4ELNS1_11target_archE910ELNS1_3gpuE8ELNS1_3repE0EEENS1_30default_config_static_selectorELNS0_4arch9wavefront6targetE1EEEvT1_,"axG",@progbits,_ZN7rocprim17ROCPRIM_400000_NS6detail17trampoline_kernelINS0_14default_configENS1_25partition_config_selectorILNS1_17partition_subalgoE1ExNS0_10empty_typeEbEEZZNS1_14partition_implILS5_1ELb0ES3_jN6thrust23THRUST_200600_302600_NS6detail15normal_iteratorINSA_10device_ptrIxEEEEPS6_NSA_18transform_iteratorI7is_evenIxESF_NSA_11use_defaultESK_EENS0_5tupleIJNSA_16discard_iteratorISK_EESF_EEENSM_IJSG_SG_EEES6_PlJS6_EEE10hipError_tPvRmT3_T4_T5_T6_T7_T9_mT8_P12ihipStream_tbDpT10_ENKUlT_T0_E_clISt17integral_constantIbLb1EES1B_EEDaS16_S17_EUlS16_E_NS1_11comp_targetILNS1_3genE4ELNS1_11target_archE910ELNS1_3gpuE8ELNS1_3repE0EEENS1_30default_config_static_selectorELNS0_4arch9wavefront6targetE1EEEvT1_,comdat
.Lfunc_end3237:
	.size	_ZN7rocprim17ROCPRIM_400000_NS6detail17trampoline_kernelINS0_14default_configENS1_25partition_config_selectorILNS1_17partition_subalgoE1ExNS0_10empty_typeEbEEZZNS1_14partition_implILS5_1ELb0ES3_jN6thrust23THRUST_200600_302600_NS6detail15normal_iteratorINSA_10device_ptrIxEEEEPS6_NSA_18transform_iteratorI7is_evenIxESF_NSA_11use_defaultESK_EENS0_5tupleIJNSA_16discard_iteratorISK_EESF_EEENSM_IJSG_SG_EEES6_PlJS6_EEE10hipError_tPvRmT3_T4_T5_T6_T7_T9_mT8_P12ihipStream_tbDpT10_ENKUlT_T0_E_clISt17integral_constantIbLb1EES1B_EEDaS16_S17_EUlS16_E_NS1_11comp_targetILNS1_3genE4ELNS1_11target_archE910ELNS1_3gpuE8ELNS1_3repE0EEENS1_30default_config_static_selectorELNS0_4arch9wavefront6targetE1EEEvT1_, .Lfunc_end3237-_ZN7rocprim17ROCPRIM_400000_NS6detail17trampoline_kernelINS0_14default_configENS1_25partition_config_selectorILNS1_17partition_subalgoE1ExNS0_10empty_typeEbEEZZNS1_14partition_implILS5_1ELb0ES3_jN6thrust23THRUST_200600_302600_NS6detail15normal_iteratorINSA_10device_ptrIxEEEEPS6_NSA_18transform_iteratorI7is_evenIxESF_NSA_11use_defaultESK_EENS0_5tupleIJNSA_16discard_iteratorISK_EESF_EEENSM_IJSG_SG_EEES6_PlJS6_EEE10hipError_tPvRmT3_T4_T5_T6_T7_T9_mT8_P12ihipStream_tbDpT10_ENKUlT_T0_E_clISt17integral_constantIbLb1EES1B_EEDaS16_S17_EUlS16_E_NS1_11comp_targetILNS1_3genE4ELNS1_11target_archE910ELNS1_3gpuE8ELNS1_3repE0EEENS1_30default_config_static_selectorELNS0_4arch9wavefront6targetE1EEEvT1_
                                        ; -- End function
	.section	.AMDGPU.csdata,"",@progbits
; Kernel info:
; codeLenInByte = 0
; NumSgprs: 6
; NumVgprs: 0
; NumAgprs: 0
; TotalNumVgprs: 0
; ScratchSize: 0
; MemoryBound: 0
; FloatMode: 240
; IeeeMode: 1
; LDSByteSize: 0 bytes/workgroup (compile time only)
; SGPRBlocks: 0
; VGPRBlocks: 0
; NumSGPRsForWavesPerEU: 6
; NumVGPRsForWavesPerEU: 1
; AccumOffset: 4
; Occupancy: 8
; WaveLimiterHint : 0
; COMPUTE_PGM_RSRC2:SCRATCH_EN: 0
; COMPUTE_PGM_RSRC2:USER_SGPR: 2
; COMPUTE_PGM_RSRC2:TRAP_HANDLER: 0
; COMPUTE_PGM_RSRC2:TGID_X_EN: 1
; COMPUTE_PGM_RSRC2:TGID_Y_EN: 0
; COMPUTE_PGM_RSRC2:TGID_Z_EN: 0
; COMPUTE_PGM_RSRC2:TIDIG_COMP_CNT: 0
; COMPUTE_PGM_RSRC3_GFX90A:ACCUM_OFFSET: 0
; COMPUTE_PGM_RSRC3_GFX90A:TG_SPLIT: 0
	.section	.text._ZN7rocprim17ROCPRIM_400000_NS6detail17trampoline_kernelINS0_14default_configENS1_25partition_config_selectorILNS1_17partition_subalgoE1ExNS0_10empty_typeEbEEZZNS1_14partition_implILS5_1ELb0ES3_jN6thrust23THRUST_200600_302600_NS6detail15normal_iteratorINSA_10device_ptrIxEEEEPS6_NSA_18transform_iteratorI7is_evenIxESF_NSA_11use_defaultESK_EENS0_5tupleIJNSA_16discard_iteratorISK_EESF_EEENSM_IJSG_SG_EEES6_PlJS6_EEE10hipError_tPvRmT3_T4_T5_T6_T7_T9_mT8_P12ihipStream_tbDpT10_ENKUlT_T0_E_clISt17integral_constantIbLb1EES1B_EEDaS16_S17_EUlS16_E_NS1_11comp_targetILNS1_3genE3ELNS1_11target_archE908ELNS1_3gpuE7ELNS1_3repE0EEENS1_30default_config_static_selectorELNS0_4arch9wavefront6targetE1EEEvT1_,"axG",@progbits,_ZN7rocprim17ROCPRIM_400000_NS6detail17trampoline_kernelINS0_14default_configENS1_25partition_config_selectorILNS1_17partition_subalgoE1ExNS0_10empty_typeEbEEZZNS1_14partition_implILS5_1ELb0ES3_jN6thrust23THRUST_200600_302600_NS6detail15normal_iteratorINSA_10device_ptrIxEEEEPS6_NSA_18transform_iteratorI7is_evenIxESF_NSA_11use_defaultESK_EENS0_5tupleIJNSA_16discard_iteratorISK_EESF_EEENSM_IJSG_SG_EEES6_PlJS6_EEE10hipError_tPvRmT3_T4_T5_T6_T7_T9_mT8_P12ihipStream_tbDpT10_ENKUlT_T0_E_clISt17integral_constantIbLb1EES1B_EEDaS16_S17_EUlS16_E_NS1_11comp_targetILNS1_3genE3ELNS1_11target_archE908ELNS1_3gpuE7ELNS1_3repE0EEENS1_30default_config_static_selectorELNS0_4arch9wavefront6targetE1EEEvT1_,comdat
	.protected	_ZN7rocprim17ROCPRIM_400000_NS6detail17trampoline_kernelINS0_14default_configENS1_25partition_config_selectorILNS1_17partition_subalgoE1ExNS0_10empty_typeEbEEZZNS1_14partition_implILS5_1ELb0ES3_jN6thrust23THRUST_200600_302600_NS6detail15normal_iteratorINSA_10device_ptrIxEEEEPS6_NSA_18transform_iteratorI7is_evenIxESF_NSA_11use_defaultESK_EENS0_5tupleIJNSA_16discard_iteratorISK_EESF_EEENSM_IJSG_SG_EEES6_PlJS6_EEE10hipError_tPvRmT3_T4_T5_T6_T7_T9_mT8_P12ihipStream_tbDpT10_ENKUlT_T0_E_clISt17integral_constantIbLb1EES1B_EEDaS16_S17_EUlS16_E_NS1_11comp_targetILNS1_3genE3ELNS1_11target_archE908ELNS1_3gpuE7ELNS1_3repE0EEENS1_30default_config_static_selectorELNS0_4arch9wavefront6targetE1EEEvT1_ ; -- Begin function _ZN7rocprim17ROCPRIM_400000_NS6detail17trampoline_kernelINS0_14default_configENS1_25partition_config_selectorILNS1_17partition_subalgoE1ExNS0_10empty_typeEbEEZZNS1_14partition_implILS5_1ELb0ES3_jN6thrust23THRUST_200600_302600_NS6detail15normal_iteratorINSA_10device_ptrIxEEEEPS6_NSA_18transform_iteratorI7is_evenIxESF_NSA_11use_defaultESK_EENS0_5tupleIJNSA_16discard_iteratorISK_EESF_EEENSM_IJSG_SG_EEES6_PlJS6_EEE10hipError_tPvRmT3_T4_T5_T6_T7_T9_mT8_P12ihipStream_tbDpT10_ENKUlT_T0_E_clISt17integral_constantIbLb1EES1B_EEDaS16_S17_EUlS16_E_NS1_11comp_targetILNS1_3genE3ELNS1_11target_archE908ELNS1_3gpuE7ELNS1_3repE0EEENS1_30default_config_static_selectorELNS0_4arch9wavefront6targetE1EEEvT1_
	.globl	_ZN7rocprim17ROCPRIM_400000_NS6detail17trampoline_kernelINS0_14default_configENS1_25partition_config_selectorILNS1_17partition_subalgoE1ExNS0_10empty_typeEbEEZZNS1_14partition_implILS5_1ELb0ES3_jN6thrust23THRUST_200600_302600_NS6detail15normal_iteratorINSA_10device_ptrIxEEEEPS6_NSA_18transform_iteratorI7is_evenIxESF_NSA_11use_defaultESK_EENS0_5tupleIJNSA_16discard_iteratorISK_EESF_EEENSM_IJSG_SG_EEES6_PlJS6_EEE10hipError_tPvRmT3_T4_T5_T6_T7_T9_mT8_P12ihipStream_tbDpT10_ENKUlT_T0_E_clISt17integral_constantIbLb1EES1B_EEDaS16_S17_EUlS16_E_NS1_11comp_targetILNS1_3genE3ELNS1_11target_archE908ELNS1_3gpuE7ELNS1_3repE0EEENS1_30default_config_static_selectorELNS0_4arch9wavefront6targetE1EEEvT1_
	.p2align	8
	.type	_ZN7rocprim17ROCPRIM_400000_NS6detail17trampoline_kernelINS0_14default_configENS1_25partition_config_selectorILNS1_17partition_subalgoE1ExNS0_10empty_typeEbEEZZNS1_14partition_implILS5_1ELb0ES3_jN6thrust23THRUST_200600_302600_NS6detail15normal_iteratorINSA_10device_ptrIxEEEEPS6_NSA_18transform_iteratorI7is_evenIxESF_NSA_11use_defaultESK_EENS0_5tupleIJNSA_16discard_iteratorISK_EESF_EEENSM_IJSG_SG_EEES6_PlJS6_EEE10hipError_tPvRmT3_T4_T5_T6_T7_T9_mT8_P12ihipStream_tbDpT10_ENKUlT_T0_E_clISt17integral_constantIbLb1EES1B_EEDaS16_S17_EUlS16_E_NS1_11comp_targetILNS1_3genE3ELNS1_11target_archE908ELNS1_3gpuE7ELNS1_3repE0EEENS1_30default_config_static_selectorELNS0_4arch9wavefront6targetE1EEEvT1_,@function
_ZN7rocprim17ROCPRIM_400000_NS6detail17trampoline_kernelINS0_14default_configENS1_25partition_config_selectorILNS1_17partition_subalgoE1ExNS0_10empty_typeEbEEZZNS1_14partition_implILS5_1ELb0ES3_jN6thrust23THRUST_200600_302600_NS6detail15normal_iteratorINSA_10device_ptrIxEEEEPS6_NSA_18transform_iteratorI7is_evenIxESF_NSA_11use_defaultESK_EENS0_5tupleIJNSA_16discard_iteratorISK_EESF_EEENSM_IJSG_SG_EEES6_PlJS6_EEE10hipError_tPvRmT3_T4_T5_T6_T7_T9_mT8_P12ihipStream_tbDpT10_ENKUlT_T0_E_clISt17integral_constantIbLb1EES1B_EEDaS16_S17_EUlS16_E_NS1_11comp_targetILNS1_3genE3ELNS1_11target_archE908ELNS1_3gpuE7ELNS1_3repE0EEENS1_30default_config_static_selectorELNS0_4arch9wavefront6targetE1EEEvT1_: ; @_ZN7rocprim17ROCPRIM_400000_NS6detail17trampoline_kernelINS0_14default_configENS1_25partition_config_selectorILNS1_17partition_subalgoE1ExNS0_10empty_typeEbEEZZNS1_14partition_implILS5_1ELb0ES3_jN6thrust23THRUST_200600_302600_NS6detail15normal_iteratorINSA_10device_ptrIxEEEEPS6_NSA_18transform_iteratorI7is_evenIxESF_NSA_11use_defaultESK_EENS0_5tupleIJNSA_16discard_iteratorISK_EESF_EEENSM_IJSG_SG_EEES6_PlJS6_EEE10hipError_tPvRmT3_T4_T5_T6_T7_T9_mT8_P12ihipStream_tbDpT10_ENKUlT_T0_E_clISt17integral_constantIbLb1EES1B_EEDaS16_S17_EUlS16_E_NS1_11comp_targetILNS1_3genE3ELNS1_11target_archE908ELNS1_3gpuE7ELNS1_3repE0EEENS1_30default_config_static_selectorELNS0_4arch9wavefront6targetE1EEEvT1_
; %bb.0:
	.section	.rodata,"a",@progbits
	.p2align	6, 0x0
	.amdhsa_kernel _ZN7rocprim17ROCPRIM_400000_NS6detail17trampoline_kernelINS0_14default_configENS1_25partition_config_selectorILNS1_17partition_subalgoE1ExNS0_10empty_typeEbEEZZNS1_14partition_implILS5_1ELb0ES3_jN6thrust23THRUST_200600_302600_NS6detail15normal_iteratorINSA_10device_ptrIxEEEEPS6_NSA_18transform_iteratorI7is_evenIxESF_NSA_11use_defaultESK_EENS0_5tupleIJNSA_16discard_iteratorISK_EESF_EEENSM_IJSG_SG_EEES6_PlJS6_EEE10hipError_tPvRmT3_T4_T5_T6_T7_T9_mT8_P12ihipStream_tbDpT10_ENKUlT_T0_E_clISt17integral_constantIbLb1EES1B_EEDaS16_S17_EUlS16_E_NS1_11comp_targetILNS1_3genE3ELNS1_11target_archE908ELNS1_3gpuE7ELNS1_3repE0EEENS1_30default_config_static_selectorELNS0_4arch9wavefront6targetE1EEEvT1_
		.amdhsa_group_segment_fixed_size 0
		.amdhsa_private_segment_fixed_size 0
		.amdhsa_kernarg_size 152
		.amdhsa_user_sgpr_count 2
		.amdhsa_user_sgpr_dispatch_ptr 0
		.amdhsa_user_sgpr_queue_ptr 0
		.amdhsa_user_sgpr_kernarg_segment_ptr 1
		.amdhsa_user_sgpr_dispatch_id 0
		.amdhsa_user_sgpr_kernarg_preload_length 0
		.amdhsa_user_sgpr_kernarg_preload_offset 0
		.amdhsa_user_sgpr_private_segment_size 0
		.amdhsa_uses_dynamic_stack 0
		.amdhsa_enable_private_segment 0
		.amdhsa_system_sgpr_workgroup_id_x 1
		.amdhsa_system_sgpr_workgroup_id_y 0
		.amdhsa_system_sgpr_workgroup_id_z 0
		.amdhsa_system_sgpr_workgroup_info 0
		.amdhsa_system_vgpr_workitem_id 0
		.amdhsa_next_free_vgpr 1
		.amdhsa_next_free_sgpr 0
		.amdhsa_accum_offset 4
		.amdhsa_reserve_vcc 0
		.amdhsa_float_round_mode_32 0
		.amdhsa_float_round_mode_16_64 0
		.amdhsa_float_denorm_mode_32 3
		.amdhsa_float_denorm_mode_16_64 3
		.amdhsa_dx10_clamp 1
		.amdhsa_ieee_mode 1
		.amdhsa_fp16_overflow 0
		.amdhsa_tg_split 0
		.amdhsa_exception_fp_ieee_invalid_op 0
		.amdhsa_exception_fp_denorm_src 0
		.amdhsa_exception_fp_ieee_div_zero 0
		.amdhsa_exception_fp_ieee_overflow 0
		.amdhsa_exception_fp_ieee_underflow 0
		.amdhsa_exception_fp_ieee_inexact 0
		.amdhsa_exception_int_div_zero 0
	.end_amdhsa_kernel
	.section	.text._ZN7rocprim17ROCPRIM_400000_NS6detail17trampoline_kernelINS0_14default_configENS1_25partition_config_selectorILNS1_17partition_subalgoE1ExNS0_10empty_typeEbEEZZNS1_14partition_implILS5_1ELb0ES3_jN6thrust23THRUST_200600_302600_NS6detail15normal_iteratorINSA_10device_ptrIxEEEEPS6_NSA_18transform_iteratorI7is_evenIxESF_NSA_11use_defaultESK_EENS0_5tupleIJNSA_16discard_iteratorISK_EESF_EEENSM_IJSG_SG_EEES6_PlJS6_EEE10hipError_tPvRmT3_T4_T5_T6_T7_T9_mT8_P12ihipStream_tbDpT10_ENKUlT_T0_E_clISt17integral_constantIbLb1EES1B_EEDaS16_S17_EUlS16_E_NS1_11comp_targetILNS1_3genE3ELNS1_11target_archE908ELNS1_3gpuE7ELNS1_3repE0EEENS1_30default_config_static_selectorELNS0_4arch9wavefront6targetE1EEEvT1_,"axG",@progbits,_ZN7rocprim17ROCPRIM_400000_NS6detail17trampoline_kernelINS0_14default_configENS1_25partition_config_selectorILNS1_17partition_subalgoE1ExNS0_10empty_typeEbEEZZNS1_14partition_implILS5_1ELb0ES3_jN6thrust23THRUST_200600_302600_NS6detail15normal_iteratorINSA_10device_ptrIxEEEEPS6_NSA_18transform_iteratorI7is_evenIxESF_NSA_11use_defaultESK_EENS0_5tupleIJNSA_16discard_iteratorISK_EESF_EEENSM_IJSG_SG_EEES6_PlJS6_EEE10hipError_tPvRmT3_T4_T5_T6_T7_T9_mT8_P12ihipStream_tbDpT10_ENKUlT_T0_E_clISt17integral_constantIbLb1EES1B_EEDaS16_S17_EUlS16_E_NS1_11comp_targetILNS1_3genE3ELNS1_11target_archE908ELNS1_3gpuE7ELNS1_3repE0EEENS1_30default_config_static_selectorELNS0_4arch9wavefront6targetE1EEEvT1_,comdat
.Lfunc_end3238:
	.size	_ZN7rocprim17ROCPRIM_400000_NS6detail17trampoline_kernelINS0_14default_configENS1_25partition_config_selectorILNS1_17partition_subalgoE1ExNS0_10empty_typeEbEEZZNS1_14partition_implILS5_1ELb0ES3_jN6thrust23THRUST_200600_302600_NS6detail15normal_iteratorINSA_10device_ptrIxEEEEPS6_NSA_18transform_iteratorI7is_evenIxESF_NSA_11use_defaultESK_EENS0_5tupleIJNSA_16discard_iteratorISK_EESF_EEENSM_IJSG_SG_EEES6_PlJS6_EEE10hipError_tPvRmT3_T4_T5_T6_T7_T9_mT8_P12ihipStream_tbDpT10_ENKUlT_T0_E_clISt17integral_constantIbLb1EES1B_EEDaS16_S17_EUlS16_E_NS1_11comp_targetILNS1_3genE3ELNS1_11target_archE908ELNS1_3gpuE7ELNS1_3repE0EEENS1_30default_config_static_selectorELNS0_4arch9wavefront6targetE1EEEvT1_, .Lfunc_end3238-_ZN7rocprim17ROCPRIM_400000_NS6detail17trampoline_kernelINS0_14default_configENS1_25partition_config_selectorILNS1_17partition_subalgoE1ExNS0_10empty_typeEbEEZZNS1_14partition_implILS5_1ELb0ES3_jN6thrust23THRUST_200600_302600_NS6detail15normal_iteratorINSA_10device_ptrIxEEEEPS6_NSA_18transform_iteratorI7is_evenIxESF_NSA_11use_defaultESK_EENS0_5tupleIJNSA_16discard_iteratorISK_EESF_EEENSM_IJSG_SG_EEES6_PlJS6_EEE10hipError_tPvRmT3_T4_T5_T6_T7_T9_mT8_P12ihipStream_tbDpT10_ENKUlT_T0_E_clISt17integral_constantIbLb1EES1B_EEDaS16_S17_EUlS16_E_NS1_11comp_targetILNS1_3genE3ELNS1_11target_archE908ELNS1_3gpuE7ELNS1_3repE0EEENS1_30default_config_static_selectorELNS0_4arch9wavefront6targetE1EEEvT1_
                                        ; -- End function
	.section	.AMDGPU.csdata,"",@progbits
; Kernel info:
; codeLenInByte = 0
; NumSgprs: 6
; NumVgprs: 0
; NumAgprs: 0
; TotalNumVgprs: 0
; ScratchSize: 0
; MemoryBound: 0
; FloatMode: 240
; IeeeMode: 1
; LDSByteSize: 0 bytes/workgroup (compile time only)
; SGPRBlocks: 0
; VGPRBlocks: 0
; NumSGPRsForWavesPerEU: 6
; NumVGPRsForWavesPerEU: 1
; AccumOffset: 4
; Occupancy: 8
; WaveLimiterHint : 0
; COMPUTE_PGM_RSRC2:SCRATCH_EN: 0
; COMPUTE_PGM_RSRC2:USER_SGPR: 2
; COMPUTE_PGM_RSRC2:TRAP_HANDLER: 0
; COMPUTE_PGM_RSRC2:TGID_X_EN: 1
; COMPUTE_PGM_RSRC2:TGID_Y_EN: 0
; COMPUTE_PGM_RSRC2:TGID_Z_EN: 0
; COMPUTE_PGM_RSRC2:TIDIG_COMP_CNT: 0
; COMPUTE_PGM_RSRC3_GFX90A:ACCUM_OFFSET: 0
; COMPUTE_PGM_RSRC3_GFX90A:TG_SPLIT: 0
	.section	.text._ZN7rocprim17ROCPRIM_400000_NS6detail17trampoline_kernelINS0_14default_configENS1_25partition_config_selectorILNS1_17partition_subalgoE1ExNS0_10empty_typeEbEEZZNS1_14partition_implILS5_1ELb0ES3_jN6thrust23THRUST_200600_302600_NS6detail15normal_iteratorINSA_10device_ptrIxEEEEPS6_NSA_18transform_iteratorI7is_evenIxESF_NSA_11use_defaultESK_EENS0_5tupleIJNSA_16discard_iteratorISK_EESF_EEENSM_IJSG_SG_EEES6_PlJS6_EEE10hipError_tPvRmT3_T4_T5_T6_T7_T9_mT8_P12ihipStream_tbDpT10_ENKUlT_T0_E_clISt17integral_constantIbLb1EES1B_EEDaS16_S17_EUlS16_E_NS1_11comp_targetILNS1_3genE2ELNS1_11target_archE906ELNS1_3gpuE6ELNS1_3repE0EEENS1_30default_config_static_selectorELNS0_4arch9wavefront6targetE1EEEvT1_,"axG",@progbits,_ZN7rocprim17ROCPRIM_400000_NS6detail17trampoline_kernelINS0_14default_configENS1_25partition_config_selectorILNS1_17partition_subalgoE1ExNS0_10empty_typeEbEEZZNS1_14partition_implILS5_1ELb0ES3_jN6thrust23THRUST_200600_302600_NS6detail15normal_iteratorINSA_10device_ptrIxEEEEPS6_NSA_18transform_iteratorI7is_evenIxESF_NSA_11use_defaultESK_EENS0_5tupleIJNSA_16discard_iteratorISK_EESF_EEENSM_IJSG_SG_EEES6_PlJS6_EEE10hipError_tPvRmT3_T4_T5_T6_T7_T9_mT8_P12ihipStream_tbDpT10_ENKUlT_T0_E_clISt17integral_constantIbLb1EES1B_EEDaS16_S17_EUlS16_E_NS1_11comp_targetILNS1_3genE2ELNS1_11target_archE906ELNS1_3gpuE6ELNS1_3repE0EEENS1_30default_config_static_selectorELNS0_4arch9wavefront6targetE1EEEvT1_,comdat
	.protected	_ZN7rocprim17ROCPRIM_400000_NS6detail17trampoline_kernelINS0_14default_configENS1_25partition_config_selectorILNS1_17partition_subalgoE1ExNS0_10empty_typeEbEEZZNS1_14partition_implILS5_1ELb0ES3_jN6thrust23THRUST_200600_302600_NS6detail15normal_iteratorINSA_10device_ptrIxEEEEPS6_NSA_18transform_iteratorI7is_evenIxESF_NSA_11use_defaultESK_EENS0_5tupleIJNSA_16discard_iteratorISK_EESF_EEENSM_IJSG_SG_EEES6_PlJS6_EEE10hipError_tPvRmT3_T4_T5_T6_T7_T9_mT8_P12ihipStream_tbDpT10_ENKUlT_T0_E_clISt17integral_constantIbLb1EES1B_EEDaS16_S17_EUlS16_E_NS1_11comp_targetILNS1_3genE2ELNS1_11target_archE906ELNS1_3gpuE6ELNS1_3repE0EEENS1_30default_config_static_selectorELNS0_4arch9wavefront6targetE1EEEvT1_ ; -- Begin function _ZN7rocprim17ROCPRIM_400000_NS6detail17trampoline_kernelINS0_14default_configENS1_25partition_config_selectorILNS1_17partition_subalgoE1ExNS0_10empty_typeEbEEZZNS1_14partition_implILS5_1ELb0ES3_jN6thrust23THRUST_200600_302600_NS6detail15normal_iteratorINSA_10device_ptrIxEEEEPS6_NSA_18transform_iteratorI7is_evenIxESF_NSA_11use_defaultESK_EENS0_5tupleIJNSA_16discard_iteratorISK_EESF_EEENSM_IJSG_SG_EEES6_PlJS6_EEE10hipError_tPvRmT3_T4_T5_T6_T7_T9_mT8_P12ihipStream_tbDpT10_ENKUlT_T0_E_clISt17integral_constantIbLb1EES1B_EEDaS16_S17_EUlS16_E_NS1_11comp_targetILNS1_3genE2ELNS1_11target_archE906ELNS1_3gpuE6ELNS1_3repE0EEENS1_30default_config_static_selectorELNS0_4arch9wavefront6targetE1EEEvT1_
	.globl	_ZN7rocprim17ROCPRIM_400000_NS6detail17trampoline_kernelINS0_14default_configENS1_25partition_config_selectorILNS1_17partition_subalgoE1ExNS0_10empty_typeEbEEZZNS1_14partition_implILS5_1ELb0ES3_jN6thrust23THRUST_200600_302600_NS6detail15normal_iteratorINSA_10device_ptrIxEEEEPS6_NSA_18transform_iteratorI7is_evenIxESF_NSA_11use_defaultESK_EENS0_5tupleIJNSA_16discard_iteratorISK_EESF_EEENSM_IJSG_SG_EEES6_PlJS6_EEE10hipError_tPvRmT3_T4_T5_T6_T7_T9_mT8_P12ihipStream_tbDpT10_ENKUlT_T0_E_clISt17integral_constantIbLb1EES1B_EEDaS16_S17_EUlS16_E_NS1_11comp_targetILNS1_3genE2ELNS1_11target_archE906ELNS1_3gpuE6ELNS1_3repE0EEENS1_30default_config_static_selectorELNS0_4arch9wavefront6targetE1EEEvT1_
	.p2align	8
	.type	_ZN7rocprim17ROCPRIM_400000_NS6detail17trampoline_kernelINS0_14default_configENS1_25partition_config_selectorILNS1_17partition_subalgoE1ExNS0_10empty_typeEbEEZZNS1_14partition_implILS5_1ELb0ES3_jN6thrust23THRUST_200600_302600_NS6detail15normal_iteratorINSA_10device_ptrIxEEEEPS6_NSA_18transform_iteratorI7is_evenIxESF_NSA_11use_defaultESK_EENS0_5tupleIJNSA_16discard_iteratorISK_EESF_EEENSM_IJSG_SG_EEES6_PlJS6_EEE10hipError_tPvRmT3_T4_T5_T6_T7_T9_mT8_P12ihipStream_tbDpT10_ENKUlT_T0_E_clISt17integral_constantIbLb1EES1B_EEDaS16_S17_EUlS16_E_NS1_11comp_targetILNS1_3genE2ELNS1_11target_archE906ELNS1_3gpuE6ELNS1_3repE0EEENS1_30default_config_static_selectorELNS0_4arch9wavefront6targetE1EEEvT1_,@function
_ZN7rocprim17ROCPRIM_400000_NS6detail17trampoline_kernelINS0_14default_configENS1_25partition_config_selectorILNS1_17partition_subalgoE1ExNS0_10empty_typeEbEEZZNS1_14partition_implILS5_1ELb0ES3_jN6thrust23THRUST_200600_302600_NS6detail15normal_iteratorINSA_10device_ptrIxEEEEPS6_NSA_18transform_iteratorI7is_evenIxESF_NSA_11use_defaultESK_EENS0_5tupleIJNSA_16discard_iteratorISK_EESF_EEENSM_IJSG_SG_EEES6_PlJS6_EEE10hipError_tPvRmT3_T4_T5_T6_T7_T9_mT8_P12ihipStream_tbDpT10_ENKUlT_T0_E_clISt17integral_constantIbLb1EES1B_EEDaS16_S17_EUlS16_E_NS1_11comp_targetILNS1_3genE2ELNS1_11target_archE906ELNS1_3gpuE6ELNS1_3repE0EEENS1_30default_config_static_selectorELNS0_4arch9wavefront6targetE1EEEvT1_: ; @_ZN7rocprim17ROCPRIM_400000_NS6detail17trampoline_kernelINS0_14default_configENS1_25partition_config_selectorILNS1_17partition_subalgoE1ExNS0_10empty_typeEbEEZZNS1_14partition_implILS5_1ELb0ES3_jN6thrust23THRUST_200600_302600_NS6detail15normal_iteratorINSA_10device_ptrIxEEEEPS6_NSA_18transform_iteratorI7is_evenIxESF_NSA_11use_defaultESK_EENS0_5tupleIJNSA_16discard_iteratorISK_EESF_EEENSM_IJSG_SG_EEES6_PlJS6_EEE10hipError_tPvRmT3_T4_T5_T6_T7_T9_mT8_P12ihipStream_tbDpT10_ENKUlT_T0_E_clISt17integral_constantIbLb1EES1B_EEDaS16_S17_EUlS16_E_NS1_11comp_targetILNS1_3genE2ELNS1_11target_archE906ELNS1_3gpuE6ELNS1_3repE0EEENS1_30default_config_static_selectorELNS0_4arch9wavefront6targetE1EEEvT1_
; %bb.0:
	.section	.rodata,"a",@progbits
	.p2align	6, 0x0
	.amdhsa_kernel _ZN7rocprim17ROCPRIM_400000_NS6detail17trampoline_kernelINS0_14default_configENS1_25partition_config_selectorILNS1_17partition_subalgoE1ExNS0_10empty_typeEbEEZZNS1_14partition_implILS5_1ELb0ES3_jN6thrust23THRUST_200600_302600_NS6detail15normal_iteratorINSA_10device_ptrIxEEEEPS6_NSA_18transform_iteratorI7is_evenIxESF_NSA_11use_defaultESK_EENS0_5tupleIJNSA_16discard_iteratorISK_EESF_EEENSM_IJSG_SG_EEES6_PlJS6_EEE10hipError_tPvRmT3_T4_T5_T6_T7_T9_mT8_P12ihipStream_tbDpT10_ENKUlT_T0_E_clISt17integral_constantIbLb1EES1B_EEDaS16_S17_EUlS16_E_NS1_11comp_targetILNS1_3genE2ELNS1_11target_archE906ELNS1_3gpuE6ELNS1_3repE0EEENS1_30default_config_static_selectorELNS0_4arch9wavefront6targetE1EEEvT1_
		.amdhsa_group_segment_fixed_size 0
		.amdhsa_private_segment_fixed_size 0
		.amdhsa_kernarg_size 152
		.amdhsa_user_sgpr_count 2
		.amdhsa_user_sgpr_dispatch_ptr 0
		.amdhsa_user_sgpr_queue_ptr 0
		.amdhsa_user_sgpr_kernarg_segment_ptr 1
		.amdhsa_user_sgpr_dispatch_id 0
		.amdhsa_user_sgpr_kernarg_preload_length 0
		.amdhsa_user_sgpr_kernarg_preload_offset 0
		.amdhsa_user_sgpr_private_segment_size 0
		.amdhsa_uses_dynamic_stack 0
		.amdhsa_enable_private_segment 0
		.amdhsa_system_sgpr_workgroup_id_x 1
		.amdhsa_system_sgpr_workgroup_id_y 0
		.amdhsa_system_sgpr_workgroup_id_z 0
		.amdhsa_system_sgpr_workgroup_info 0
		.amdhsa_system_vgpr_workitem_id 0
		.amdhsa_next_free_vgpr 1
		.amdhsa_next_free_sgpr 0
		.amdhsa_accum_offset 4
		.amdhsa_reserve_vcc 0
		.amdhsa_float_round_mode_32 0
		.amdhsa_float_round_mode_16_64 0
		.amdhsa_float_denorm_mode_32 3
		.amdhsa_float_denorm_mode_16_64 3
		.amdhsa_dx10_clamp 1
		.amdhsa_ieee_mode 1
		.amdhsa_fp16_overflow 0
		.amdhsa_tg_split 0
		.amdhsa_exception_fp_ieee_invalid_op 0
		.amdhsa_exception_fp_denorm_src 0
		.amdhsa_exception_fp_ieee_div_zero 0
		.amdhsa_exception_fp_ieee_overflow 0
		.amdhsa_exception_fp_ieee_underflow 0
		.amdhsa_exception_fp_ieee_inexact 0
		.amdhsa_exception_int_div_zero 0
	.end_amdhsa_kernel
	.section	.text._ZN7rocprim17ROCPRIM_400000_NS6detail17trampoline_kernelINS0_14default_configENS1_25partition_config_selectorILNS1_17partition_subalgoE1ExNS0_10empty_typeEbEEZZNS1_14partition_implILS5_1ELb0ES3_jN6thrust23THRUST_200600_302600_NS6detail15normal_iteratorINSA_10device_ptrIxEEEEPS6_NSA_18transform_iteratorI7is_evenIxESF_NSA_11use_defaultESK_EENS0_5tupleIJNSA_16discard_iteratorISK_EESF_EEENSM_IJSG_SG_EEES6_PlJS6_EEE10hipError_tPvRmT3_T4_T5_T6_T7_T9_mT8_P12ihipStream_tbDpT10_ENKUlT_T0_E_clISt17integral_constantIbLb1EES1B_EEDaS16_S17_EUlS16_E_NS1_11comp_targetILNS1_3genE2ELNS1_11target_archE906ELNS1_3gpuE6ELNS1_3repE0EEENS1_30default_config_static_selectorELNS0_4arch9wavefront6targetE1EEEvT1_,"axG",@progbits,_ZN7rocprim17ROCPRIM_400000_NS6detail17trampoline_kernelINS0_14default_configENS1_25partition_config_selectorILNS1_17partition_subalgoE1ExNS0_10empty_typeEbEEZZNS1_14partition_implILS5_1ELb0ES3_jN6thrust23THRUST_200600_302600_NS6detail15normal_iteratorINSA_10device_ptrIxEEEEPS6_NSA_18transform_iteratorI7is_evenIxESF_NSA_11use_defaultESK_EENS0_5tupleIJNSA_16discard_iteratorISK_EESF_EEENSM_IJSG_SG_EEES6_PlJS6_EEE10hipError_tPvRmT3_T4_T5_T6_T7_T9_mT8_P12ihipStream_tbDpT10_ENKUlT_T0_E_clISt17integral_constantIbLb1EES1B_EEDaS16_S17_EUlS16_E_NS1_11comp_targetILNS1_3genE2ELNS1_11target_archE906ELNS1_3gpuE6ELNS1_3repE0EEENS1_30default_config_static_selectorELNS0_4arch9wavefront6targetE1EEEvT1_,comdat
.Lfunc_end3239:
	.size	_ZN7rocprim17ROCPRIM_400000_NS6detail17trampoline_kernelINS0_14default_configENS1_25partition_config_selectorILNS1_17partition_subalgoE1ExNS0_10empty_typeEbEEZZNS1_14partition_implILS5_1ELb0ES3_jN6thrust23THRUST_200600_302600_NS6detail15normal_iteratorINSA_10device_ptrIxEEEEPS6_NSA_18transform_iteratorI7is_evenIxESF_NSA_11use_defaultESK_EENS0_5tupleIJNSA_16discard_iteratorISK_EESF_EEENSM_IJSG_SG_EEES6_PlJS6_EEE10hipError_tPvRmT3_T4_T5_T6_T7_T9_mT8_P12ihipStream_tbDpT10_ENKUlT_T0_E_clISt17integral_constantIbLb1EES1B_EEDaS16_S17_EUlS16_E_NS1_11comp_targetILNS1_3genE2ELNS1_11target_archE906ELNS1_3gpuE6ELNS1_3repE0EEENS1_30default_config_static_selectorELNS0_4arch9wavefront6targetE1EEEvT1_, .Lfunc_end3239-_ZN7rocprim17ROCPRIM_400000_NS6detail17trampoline_kernelINS0_14default_configENS1_25partition_config_selectorILNS1_17partition_subalgoE1ExNS0_10empty_typeEbEEZZNS1_14partition_implILS5_1ELb0ES3_jN6thrust23THRUST_200600_302600_NS6detail15normal_iteratorINSA_10device_ptrIxEEEEPS6_NSA_18transform_iteratorI7is_evenIxESF_NSA_11use_defaultESK_EENS0_5tupleIJNSA_16discard_iteratorISK_EESF_EEENSM_IJSG_SG_EEES6_PlJS6_EEE10hipError_tPvRmT3_T4_T5_T6_T7_T9_mT8_P12ihipStream_tbDpT10_ENKUlT_T0_E_clISt17integral_constantIbLb1EES1B_EEDaS16_S17_EUlS16_E_NS1_11comp_targetILNS1_3genE2ELNS1_11target_archE906ELNS1_3gpuE6ELNS1_3repE0EEENS1_30default_config_static_selectorELNS0_4arch9wavefront6targetE1EEEvT1_
                                        ; -- End function
	.section	.AMDGPU.csdata,"",@progbits
; Kernel info:
; codeLenInByte = 0
; NumSgprs: 6
; NumVgprs: 0
; NumAgprs: 0
; TotalNumVgprs: 0
; ScratchSize: 0
; MemoryBound: 0
; FloatMode: 240
; IeeeMode: 1
; LDSByteSize: 0 bytes/workgroup (compile time only)
; SGPRBlocks: 0
; VGPRBlocks: 0
; NumSGPRsForWavesPerEU: 6
; NumVGPRsForWavesPerEU: 1
; AccumOffset: 4
; Occupancy: 8
; WaveLimiterHint : 0
; COMPUTE_PGM_RSRC2:SCRATCH_EN: 0
; COMPUTE_PGM_RSRC2:USER_SGPR: 2
; COMPUTE_PGM_RSRC2:TRAP_HANDLER: 0
; COMPUTE_PGM_RSRC2:TGID_X_EN: 1
; COMPUTE_PGM_RSRC2:TGID_Y_EN: 0
; COMPUTE_PGM_RSRC2:TGID_Z_EN: 0
; COMPUTE_PGM_RSRC2:TIDIG_COMP_CNT: 0
; COMPUTE_PGM_RSRC3_GFX90A:ACCUM_OFFSET: 0
; COMPUTE_PGM_RSRC3_GFX90A:TG_SPLIT: 0
	.section	.text._ZN7rocprim17ROCPRIM_400000_NS6detail17trampoline_kernelINS0_14default_configENS1_25partition_config_selectorILNS1_17partition_subalgoE1ExNS0_10empty_typeEbEEZZNS1_14partition_implILS5_1ELb0ES3_jN6thrust23THRUST_200600_302600_NS6detail15normal_iteratorINSA_10device_ptrIxEEEEPS6_NSA_18transform_iteratorI7is_evenIxESF_NSA_11use_defaultESK_EENS0_5tupleIJNSA_16discard_iteratorISK_EESF_EEENSM_IJSG_SG_EEES6_PlJS6_EEE10hipError_tPvRmT3_T4_T5_T6_T7_T9_mT8_P12ihipStream_tbDpT10_ENKUlT_T0_E_clISt17integral_constantIbLb1EES1B_EEDaS16_S17_EUlS16_E_NS1_11comp_targetILNS1_3genE10ELNS1_11target_archE1200ELNS1_3gpuE4ELNS1_3repE0EEENS1_30default_config_static_selectorELNS0_4arch9wavefront6targetE1EEEvT1_,"axG",@progbits,_ZN7rocprim17ROCPRIM_400000_NS6detail17trampoline_kernelINS0_14default_configENS1_25partition_config_selectorILNS1_17partition_subalgoE1ExNS0_10empty_typeEbEEZZNS1_14partition_implILS5_1ELb0ES3_jN6thrust23THRUST_200600_302600_NS6detail15normal_iteratorINSA_10device_ptrIxEEEEPS6_NSA_18transform_iteratorI7is_evenIxESF_NSA_11use_defaultESK_EENS0_5tupleIJNSA_16discard_iteratorISK_EESF_EEENSM_IJSG_SG_EEES6_PlJS6_EEE10hipError_tPvRmT3_T4_T5_T6_T7_T9_mT8_P12ihipStream_tbDpT10_ENKUlT_T0_E_clISt17integral_constantIbLb1EES1B_EEDaS16_S17_EUlS16_E_NS1_11comp_targetILNS1_3genE10ELNS1_11target_archE1200ELNS1_3gpuE4ELNS1_3repE0EEENS1_30default_config_static_selectorELNS0_4arch9wavefront6targetE1EEEvT1_,comdat
	.protected	_ZN7rocprim17ROCPRIM_400000_NS6detail17trampoline_kernelINS0_14default_configENS1_25partition_config_selectorILNS1_17partition_subalgoE1ExNS0_10empty_typeEbEEZZNS1_14partition_implILS5_1ELb0ES3_jN6thrust23THRUST_200600_302600_NS6detail15normal_iteratorINSA_10device_ptrIxEEEEPS6_NSA_18transform_iteratorI7is_evenIxESF_NSA_11use_defaultESK_EENS0_5tupleIJNSA_16discard_iteratorISK_EESF_EEENSM_IJSG_SG_EEES6_PlJS6_EEE10hipError_tPvRmT3_T4_T5_T6_T7_T9_mT8_P12ihipStream_tbDpT10_ENKUlT_T0_E_clISt17integral_constantIbLb1EES1B_EEDaS16_S17_EUlS16_E_NS1_11comp_targetILNS1_3genE10ELNS1_11target_archE1200ELNS1_3gpuE4ELNS1_3repE0EEENS1_30default_config_static_selectorELNS0_4arch9wavefront6targetE1EEEvT1_ ; -- Begin function _ZN7rocprim17ROCPRIM_400000_NS6detail17trampoline_kernelINS0_14default_configENS1_25partition_config_selectorILNS1_17partition_subalgoE1ExNS0_10empty_typeEbEEZZNS1_14partition_implILS5_1ELb0ES3_jN6thrust23THRUST_200600_302600_NS6detail15normal_iteratorINSA_10device_ptrIxEEEEPS6_NSA_18transform_iteratorI7is_evenIxESF_NSA_11use_defaultESK_EENS0_5tupleIJNSA_16discard_iteratorISK_EESF_EEENSM_IJSG_SG_EEES6_PlJS6_EEE10hipError_tPvRmT3_T4_T5_T6_T7_T9_mT8_P12ihipStream_tbDpT10_ENKUlT_T0_E_clISt17integral_constantIbLb1EES1B_EEDaS16_S17_EUlS16_E_NS1_11comp_targetILNS1_3genE10ELNS1_11target_archE1200ELNS1_3gpuE4ELNS1_3repE0EEENS1_30default_config_static_selectorELNS0_4arch9wavefront6targetE1EEEvT1_
	.globl	_ZN7rocprim17ROCPRIM_400000_NS6detail17trampoline_kernelINS0_14default_configENS1_25partition_config_selectorILNS1_17partition_subalgoE1ExNS0_10empty_typeEbEEZZNS1_14partition_implILS5_1ELb0ES3_jN6thrust23THRUST_200600_302600_NS6detail15normal_iteratorINSA_10device_ptrIxEEEEPS6_NSA_18transform_iteratorI7is_evenIxESF_NSA_11use_defaultESK_EENS0_5tupleIJNSA_16discard_iteratorISK_EESF_EEENSM_IJSG_SG_EEES6_PlJS6_EEE10hipError_tPvRmT3_T4_T5_T6_T7_T9_mT8_P12ihipStream_tbDpT10_ENKUlT_T0_E_clISt17integral_constantIbLb1EES1B_EEDaS16_S17_EUlS16_E_NS1_11comp_targetILNS1_3genE10ELNS1_11target_archE1200ELNS1_3gpuE4ELNS1_3repE0EEENS1_30default_config_static_selectorELNS0_4arch9wavefront6targetE1EEEvT1_
	.p2align	8
	.type	_ZN7rocprim17ROCPRIM_400000_NS6detail17trampoline_kernelINS0_14default_configENS1_25partition_config_selectorILNS1_17partition_subalgoE1ExNS0_10empty_typeEbEEZZNS1_14partition_implILS5_1ELb0ES3_jN6thrust23THRUST_200600_302600_NS6detail15normal_iteratorINSA_10device_ptrIxEEEEPS6_NSA_18transform_iteratorI7is_evenIxESF_NSA_11use_defaultESK_EENS0_5tupleIJNSA_16discard_iteratorISK_EESF_EEENSM_IJSG_SG_EEES6_PlJS6_EEE10hipError_tPvRmT3_T4_T5_T6_T7_T9_mT8_P12ihipStream_tbDpT10_ENKUlT_T0_E_clISt17integral_constantIbLb1EES1B_EEDaS16_S17_EUlS16_E_NS1_11comp_targetILNS1_3genE10ELNS1_11target_archE1200ELNS1_3gpuE4ELNS1_3repE0EEENS1_30default_config_static_selectorELNS0_4arch9wavefront6targetE1EEEvT1_,@function
_ZN7rocprim17ROCPRIM_400000_NS6detail17trampoline_kernelINS0_14default_configENS1_25partition_config_selectorILNS1_17partition_subalgoE1ExNS0_10empty_typeEbEEZZNS1_14partition_implILS5_1ELb0ES3_jN6thrust23THRUST_200600_302600_NS6detail15normal_iteratorINSA_10device_ptrIxEEEEPS6_NSA_18transform_iteratorI7is_evenIxESF_NSA_11use_defaultESK_EENS0_5tupleIJNSA_16discard_iteratorISK_EESF_EEENSM_IJSG_SG_EEES6_PlJS6_EEE10hipError_tPvRmT3_T4_T5_T6_T7_T9_mT8_P12ihipStream_tbDpT10_ENKUlT_T0_E_clISt17integral_constantIbLb1EES1B_EEDaS16_S17_EUlS16_E_NS1_11comp_targetILNS1_3genE10ELNS1_11target_archE1200ELNS1_3gpuE4ELNS1_3repE0EEENS1_30default_config_static_selectorELNS0_4arch9wavefront6targetE1EEEvT1_: ; @_ZN7rocprim17ROCPRIM_400000_NS6detail17trampoline_kernelINS0_14default_configENS1_25partition_config_selectorILNS1_17partition_subalgoE1ExNS0_10empty_typeEbEEZZNS1_14partition_implILS5_1ELb0ES3_jN6thrust23THRUST_200600_302600_NS6detail15normal_iteratorINSA_10device_ptrIxEEEEPS6_NSA_18transform_iteratorI7is_evenIxESF_NSA_11use_defaultESK_EENS0_5tupleIJNSA_16discard_iteratorISK_EESF_EEENSM_IJSG_SG_EEES6_PlJS6_EEE10hipError_tPvRmT3_T4_T5_T6_T7_T9_mT8_P12ihipStream_tbDpT10_ENKUlT_T0_E_clISt17integral_constantIbLb1EES1B_EEDaS16_S17_EUlS16_E_NS1_11comp_targetILNS1_3genE10ELNS1_11target_archE1200ELNS1_3gpuE4ELNS1_3repE0EEENS1_30default_config_static_selectorELNS0_4arch9wavefront6targetE1EEEvT1_
; %bb.0:
	.section	.rodata,"a",@progbits
	.p2align	6, 0x0
	.amdhsa_kernel _ZN7rocprim17ROCPRIM_400000_NS6detail17trampoline_kernelINS0_14default_configENS1_25partition_config_selectorILNS1_17partition_subalgoE1ExNS0_10empty_typeEbEEZZNS1_14partition_implILS5_1ELb0ES3_jN6thrust23THRUST_200600_302600_NS6detail15normal_iteratorINSA_10device_ptrIxEEEEPS6_NSA_18transform_iteratorI7is_evenIxESF_NSA_11use_defaultESK_EENS0_5tupleIJNSA_16discard_iteratorISK_EESF_EEENSM_IJSG_SG_EEES6_PlJS6_EEE10hipError_tPvRmT3_T4_T5_T6_T7_T9_mT8_P12ihipStream_tbDpT10_ENKUlT_T0_E_clISt17integral_constantIbLb1EES1B_EEDaS16_S17_EUlS16_E_NS1_11comp_targetILNS1_3genE10ELNS1_11target_archE1200ELNS1_3gpuE4ELNS1_3repE0EEENS1_30default_config_static_selectorELNS0_4arch9wavefront6targetE1EEEvT1_
		.amdhsa_group_segment_fixed_size 0
		.amdhsa_private_segment_fixed_size 0
		.amdhsa_kernarg_size 152
		.amdhsa_user_sgpr_count 2
		.amdhsa_user_sgpr_dispatch_ptr 0
		.amdhsa_user_sgpr_queue_ptr 0
		.amdhsa_user_sgpr_kernarg_segment_ptr 1
		.amdhsa_user_sgpr_dispatch_id 0
		.amdhsa_user_sgpr_kernarg_preload_length 0
		.amdhsa_user_sgpr_kernarg_preload_offset 0
		.amdhsa_user_sgpr_private_segment_size 0
		.amdhsa_uses_dynamic_stack 0
		.amdhsa_enable_private_segment 0
		.amdhsa_system_sgpr_workgroup_id_x 1
		.amdhsa_system_sgpr_workgroup_id_y 0
		.amdhsa_system_sgpr_workgroup_id_z 0
		.amdhsa_system_sgpr_workgroup_info 0
		.amdhsa_system_vgpr_workitem_id 0
		.amdhsa_next_free_vgpr 1
		.amdhsa_next_free_sgpr 0
		.amdhsa_accum_offset 4
		.amdhsa_reserve_vcc 0
		.amdhsa_float_round_mode_32 0
		.amdhsa_float_round_mode_16_64 0
		.amdhsa_float_denorm_mode_32 3
		.amdhsa_float_denorm_mode_16_64 3
		.amdhsa_dx10_clamp 1
		.amdhsa_ieee_mode 1
		.amdhsa_fp16_overflow 0
		.amdhsa_tg_split 0
		.amdhsa_exception_fp_ieee_invalid_op 0
		.amdhsa_exception_fp_denorm_src 0
		.amdhsa_exception_fp_ieee_div_zero 0
		.amdhsa_exception_fp_ieee_overflow 0
		.amdhsa_exception_fp_ieee_underflow 0
		.amdhsa_exception_fp_ieee_inexact 0
		.amdhsa_exception_int_div_zero 0
	.end_amdhsa_kernel
	.section	.text._ZN7rocprim17ROCPRIM_400000_NS6detail17trampoline_kernelINS0_14default_configENS1_25partition_config_selectorILNS1_17partition_subalgoE1ExNS0_10empty_typeEbEEZZNS1_14partition_implILS5_1ELb0ES3_jN6thrust23THRUST_200600_302600_NS6detail15normal_iteratorINSA_10device_ptrIxEEEEPS6_NSA_18transform_iteratorI7is_evenIxESF_NSA_11use_defaultESK_EENS0_5tupleIJNSA_16discard_iteratorISK_EESF_EEENSM_IJSG_SG_EEES6_PlJS6_EEE10hipError_tPvRmT3_T4_T5_T6_T7_T9_mT8_P12ihipStream_tbDpT10_ENKUlT_T0_E_clISt17integral_constantIbLb1EES1B_EEDaS16_S17_EUlS16_E_NS1_11comp_targetILNS1_3genE10ELNS1_11target_archE1200ELNS1_3gpuE4ELNS1_3repE0EEENS1_30default_config_static_selectorELNS0_4arch9wavefront6targetE1EEEvT1_,"axG",@progbits,_ZN7rocprim17ROCPRIM_400000_NS6detail17trampoline_kernelINS0_14default_configENS1_25partition_config_selectorILNS1_17partition_subalgoE1ExNS0_10empty_typeEbEEZZNS1_14partition_implILS5_1ELb0ES3_jN6thrust23THRUST_200600_302600_NS6detail15normal_iteratorINSA_10device_ptrIxEEEEPS6_NSA_18transform_iteratorI7is_evenIxESF_NSA_11use_defaultESK_EENS0_5tupleIJNSA_16discard_iteratorISK_EESF_EEENSM_IJSG_SG_EEES6_PlJS6_EEE10hipError_tPvRmT3_T4_T5_T6_T7_T9_mT8_P12ihipStream_tbDpT10_ENKUlT_T0_E_clISt17integral_constantIbLb1EES1B_EEDaS16_S17_EUlS16_E_NS1_11comp_targetILNS1_3genE10ELNS1_11target_archE1200ELNS1_3gpuE4ELNS1_3repE0EEENS1_30default_config_static_selectorELNS0_4arch9wavefront6targetE1EEEvT1_,comdat
.Lfunc_end3240:
	.size	_ZN7rocprim17ROCPRIM_400000_NS6detail17trampoline_kernelINS0_14default_configENS1_25partition_config_selectorILNS1_17partition_subalgoE1ExNS0_10empty_typeEbEEZZNS1_14partition_implILS5_1ELb0ES3_jN6thrust23THRUST_200600_302600_NS6detail15normal_iteratorINSA_10device_ptrIxEEEEPS6_NSA_18transform_iteratorI7is_evenIxESF_NSA_11use_defaultESK_EENS0_5tupleIJNSA_16discard_iteratorISK_EESF_EEENSM_IJSG_SG_EEES6_PlJS6_EEE10hipError_tPvRmT3_T4_T5_T6_T7_T9_mT8_P12ihipStream_tbDpT10_ENKUlT_T0_E_clISt17integral_constantIbLb1EES1B_EEDaS16_S17_EUlS16_E_NS1_11comp_targetILNS1_3genE10ELNS1_11target_archE1200ELNS1_3gpuE4ELNS1_3repE0EEENS1_30default_config_static_selectorELNS0_4arch9wavefront6targetE1EEEvT1_, .Lfunc_end3240-_ZN7rocprim17ROCPRIM_400000_NS6detail17trampoline_kernelINS0_14default_configENS1_25partition_config_selectorILNS1_17partition_subalgoE1ExNS0_10empty_typeEbEEZZNS1_14partition_implILS5_1ELb0ES3_jN6thrust23THRUST_200600_302600_NS6detail15normal_iteratorINSA_10device_ptrIxEEEEPS6_NSA_18transform_iteratorI7is_evenIxESF_NSA_11use_defaultESK_EENS0_5tupleIJNSA_16discard_iteratorISK_EESF_EEENSM_IJSG_SG_EEES6_PlJS6_EEE10hipError_tPvRmT3_T4_T5_T6_T7_T9_mT8_P12ihipStream_tbDpT10_ENKUlT_T0_E_clISt17integral_constantIbLb1EES1B_EEDaS16_S17_EUlS16_E_NS1_11comp_targetILNS1_3genE10ELNS1_11target_archE1200ELNS1_3gpuE4ELNS1_3repE0EEENS1_30default_config_static_selectorELNS0_4arch9wavefront6targetE1EEEvT1_
                                        ; -- End function
	.section	.AMDGPU.csdata,"",@progbits
; Kernel info:
; codeLenInByte = 0
; NumSgprs: 6
; NumVgprs: 0
; NumAgprs: 0
; TotalNumVgprs: 0
; ScratchSize: 0
; MemoryBound: 0
; FloatMode: 240
; IeeeMode: 1
; LDSByteSize: 0 bytes/workgroup (compile time only)
; SGPRBlocks: 0
; VGPRBlocks: 0
; NumSGPRsForWavesPerEU: 6
; NumVGPRsForWavesPerEU: 1
; AccumOffset: 4
; Occupancy: 8
; WaveLimiterHint : 0
; COMPUTE_PGM_RSRC2:SCRATCH_EN: 0
; COMPUTE_PGM_RSRC2:USER_SGPR: 2
; COMPUTE_PGM_RSRC2:TRAP_HANDLER: 0
; COMPUTE_PGM_RSRC2:TGID_X_EN: 1
; COMPUTE_PGM_RSRC2:TGID_Y_EN: 0
; COMPUTE_PGM_RSRC2:TGID_Z_EN: 0
; COMPUTE_PGM_RSRC2:TIDIG_COMP_CNT: 0
; COMPUTE_PGM_RSRC3_GFX90A:ACCUM_OFFSET: 0
; COMPUTE_PGM_RSRC3_GFX90A:TG_SPLIT: 0
	.section	.text._ZN7rocprim17ROCPRIM_400000_NS6detail17trampoline_kernelINS0_14default_configENS1_25partition_config_selectorILNS1_17partition_subalgoE1ExNS0_10empty_typeEbEEZZNS1_14partition_implILS5_1ELb0ES3_jN6thrust23THRUST_200600_302600_NS6detail15normal_iteratorINSA_10device_ptrIxEEEEPS6_NSA_18transform_iteratorI7is_evenIxESF_NSA_11use_defaultESK_EENS0_5tupleIJNSA_16discard_iteratorISK_EESF_EEENSM_IJSG_SG_EEES6_PlJS6_EEE10hipError_tPvRmT3_T4_T5_T6_T7_T9_mT8_P12ihipStream_tbDpT10_ENKUlT_T0_E_clISt17integral_constantIbLb1EES1B_EEDaS16_S17_EUlS16_E_NS1_11comp_targetILNS1_3genE9ELNS1_11target_archE1100ELNS1_3gpuE3ELNS1_3repE0EEENS1_30default_config_static_selectorELNS0_4arch9wavefront6targetE1EEEvT1_,"axG",@progbits,_ZN7rocprim17ROCPRIM_400000_NS6detail17trampoline_kernelINS0_14default_configENS1_25partition_config_selectorILNS1_17partition_subalgoE1ExNS0_10empty_typeEbEEZZNS1_14partition_implILS5_1ELb0ES3_jN6thrust23THRUST_200600_302600_NS6detail15normal_iteratorINSA_10device_ptrIxEEEEPS6_NSA_18transform_iteratorI7is_evenIxESF_NSA_11use_defaultESK_EENS0_5tupleIJNSA_16discard_iteratorISK_EESF_EEENSM_IJSG_SG_EEES6_PlJS6_EEE10hipError_tPvRmT3_T4_T5_T6_T7_T9_mT8_P12ihipStream_tbDpT10_ENKUlT_T0_E_clISt17integral_constantIbLb1EES1B_EEDaS16_S17_EUlS16_E_NS1_11comp_targetILNS1_3genE9ELNS1_11target_archE1100ELNS1_3gpuE3ELNS1_3repE0EEENS1_30default_config_static_selectorELNS0_4arch9wavefront6targetE1EEEvT1_,comdat
	.protected	_ZN7rocprim17ROCPRIM_400000_NS6detail17trampoline_kernelINS0_14default_configENS1_25partition_config_selectorILNS1_17partition_subalgoE1ExNS0_10empty_typeEbEEZZNS1_14partition_implILS5_1ELb0ES3_jN6thrust23THRUST_200600_302600_NS6detail15normal_iteratorINSA_10device_ptrIxEEEEPS6_NSA_18transform_iteratorI7is_evenIxESF_NSA_11use_defaultESK_EENS0_5tupleIJNSA_16discard_iteratorISK_EESF_EEENSM_IJSG_SG_EEES6_PlJS6_EEE10hipError_tPvRmT3_T4_T5_T6_T7_T9_mT8_P12ihipStream_tbDpT10_ENKUlT_T0_E_clISt17integral_constantIbLb1EES1B_EEDaS16_S17_EUlS16_E_NS1_11comp_targetILNS1_3genE9ELNS1_11target_archE1100ELNS1_3gpuE3ELNS1_3repE0EEENS1_30default_config_static_selectorELNS0_4arch9wavefront6targetE1EEEvT1_ ; -- Begin function _ZN7rocprim17ROCPRIM_400000_NS6detail17trampoline_kernelINS0_14default_configENS1_25partition_config_selectorILNS1_17partition_subalgoE1ExNS0_10empty_typeEbEEZZNS1_14partition_implILS5_1ELb0ES3_jN6thrust23THRUST_200600_302600_NS6detail15normal_iteratorINSA_10device_ptrIxEEEEPS6_NSA_18transform_iteratorI7is_evenIxESF_NSA_11use_defaultESK_EENS0_5tupleIJNSA_16discard_iteratorISK_EESF_EEENSM_IJSG_SG_EEES6_PlJS6_EEE10hipError_tPvRmT3_T4_T5_T6_T7_T9_mT8_P12ihipStream_tbDpT10_ENKUlT_T0_E_clISt17integral_constantIbLb1EES1B_EEDaS16_S17_EUlS16_E_NS1_11comp_targetILNS1_3genE9ELNS1_11target_archE1100ELNS1_3gpuE3ELNS1_3repE0EEENS1_30default_config_static_selectorELNS0_4arch9wavefront6targetE1EEEvT1_
	.globl	_ZN7rocprim17ROCPRIM_400000_NS6detail17trampoline_kernelINS0_14default_configENS1_25partition_config_selectorILNS1_17partition_subalgoE1ExNS0_10empty_typeEbEEZZNS1_14partition_implILS5_1ELb0ES3_jN6thrust23THRUST_200600_302600_NS6detail15normal_iteratorINSA_10device_ptrIxEEEEPS6_NSA_18transform_iteratorI7is_evenIxESF_NSA_11use_defaultESK_EENS0_5tupleIJNSA_16discard_iteratorISK_EESF_EEENSM_IJSG_SG_EEES6_PlJS6_EEE10hipError_tPvRmT3_T4_T5_T6_T7_T9_mT8_P12ihipStream_tbDpT10_ENKUlT_T0_E_clISt17integral_constantIbLb1EES1B_EEDaS16_S17_EUlS16_E_NS1_11comp_targetILNS1_3genE9ELNS1_11target_archE1100ELNS1_3gpuE3ELNS1_3repE0EEENS1_30default_config_static_selectorELNS0_4arch9wavefront6targetE1EEEvT1_
	.p2align	8
	.type	_ZN7rocprim17ROCPRIM_400000_NS6detail17trampoline_kernelINS0_14default_configENS1_25partition_config_selectorILNS1_17partition_subalgoE1ExNS0_10empty_typeEbEEZZNS1_14partition_implILS5_1ELb0ES3_jN6thrust23THRUST_200600_302600_NS6detail15normal_iteratorINSA_10device_ptrIxEEEEPS6_NSA_18transform_iteratorI7is_evenIxESF_NSA_11use_defaultESK_EENS0_5tupleIJNSA_16discard_iteratorISK_EESF_EEENSM_IJSG_SG_EEES6_PlJS6_EEE10hipError_tPvRmT3_T4_T5_T6_T7_T9_mT8_P12ihipStream_tbDpT10_ENKUlT_T0_E_clISt17integral_constantIbLb1EES1B_EEDaS16_S17_EUlS16_E_NS1_11comp_targetILNS1_3genE9ELNS1_11target_archE1100ELNS1_3gpuE3ELNS1_3repE0EEENS1_30default_config_static_selectorELNS0_4arch9wavefront6targetE1EEEvT1_,@function
_ZN7rocprim17ROCPRIM_400000_NS6detail17trampoline_kernelINS0_14default_configENS1_25partition_config_selectorILNS1_17partition_subalgoE1ExNS0_10empty_typeEbEEZZNS1_14partition_implILS5_1ELb0ES3_jN6thrust23THRUST_200600_302600_NS6detail15normal_iteratorINSA_10device_ptrIxEEEEPS6_NSA_18transform_iteratorI7is_evenIxESF_NSA_11use_defaultESK_EENS0_5tupleIJNSA_16discard_iteratorISK_EESF_EEENSM_IJSG_SG_EEES6_PlJS6_EEE10hipError_tPvRmT3_T4_T5_T6_T7_T9_mT8_P12ihipStream_tbDpT10_ENKUlT_T0_E_clISt17integral_constantIbLb1EES1B_EEDaS16_S17_EUlS16_E_NS1_11comp_targetILNS1_3genE9ELNS1_11target_archE1100ELNS1_3gpuE3ELNS1_3repE0EEENS1_30default_config_static_selectorELNS0_4arch9wavefront6targetE1EEEvT1_: ; @_ZN7rocprim17ROCPRIM_400000_NS6detail17trampoline_kernelINS0_14default_configENS1_25partition_config_selectorILNS1_17partition_subalgoE1ExNS0_10empty_typeEbEEZZNS1_14partition_implILS5_1ELb0ES3_jN6thrust23THRUST_200600_302600_NS6detail15normal_iteratorINSA_10device_ptrIxEEEEPS6_NSA_18transform_iteratorI7is_evenIxESF_NSA_11use_defaultESK_EENS0_5tupleIJNSA_16discard_iteratorISK_EESF_EEENSM_IJSG_SG_EEES6_PlJS6_EEE10hipError_tPvRmT3_T4_T5_T6_T7_T9_mT8_P12ihipStream_tbDpT10_ENKUlT_T0_E_clISt17integral_constantIbLb1EES1B_EEDaS16_S17_EUlS16_E_NS1_11comp_targetILNS1_3genE9ELNS1_11target_archE1100ELNS1_3gpuE3ELNS1_3repE0EEENS1_30default_config_static_selectorELNS0_4arch9wavefront6targetE1EEEvT1_
; %bb.0:
	.section	.rodata,"a",@progbits
	.p2align	6, 0x0
	.amdhsa_kernel _ZN7rocprim17ROCPRIM_400000_NS6detail17trampoline_kernelINS0_14default_configENS1_25partition_config_selectorILNS1_17partition_subalgoE1ExNS0_10empty_typeEbEEZZNS1_14partition_implILS5_1ELb0ES3_jN6thrust23THRUST_200600_302600_NS6detail15normal_iteratorINSA_10device_ptrIxEEEEPS6_NSA_18transform_iteratorI7is_evenIxESF_NSA_11use_defaultESK_EENS0_5tupleIJNSA_16discard_iteratorISK_EESF_EEENSM_IJSG_SG_EEES6_PlJS6_EEE10hipError_tPvRmT3_T4_T5_T6_T7_T9_mT8_P12ihipStream_tbDpT10_ENKUlT_T0_E_clISt17integral_constantIbLb1EES1B_EEDaS16_S17_EUlS16_E_NS1_11comp_targetILNS1_3genE9ELNS1_11target_archE1100ELNS1_3gpuE3ELNS1_3repE0EEENS1_30default_config_static_selectorELNS0_4arch9wavefront6targetE1EEEvT1_
		.amdhsa_group_segment_fixed_size 0
		.amdhsa_private_segment_fixed_size 0
		.amdhsa_kernarg_size 152
		.amdhsa_user_sgpr_count 2
		.amdhsa_user_sgpr_dispatch_ptr 0
		.amdhsa_user_sgpr_queue_ptr 0
		.amdhsa_user_sgpr_kernarg_segment_ptr 1
		.amdhsa_user_sgpr_dispatch_id 0
		.amdhsa_user_sgpr_kernarg_preload_length 0
		.amdhsa_user_sgpr_kernarg_preload_offset 0
		.amdhsa_user_sgpr_private_segment_size 0
		.amdhsa_uses_dynamic_stack 0
		.amdhsa_enable_private_segment 0
		.amdhsa_system_sgpr_workgroup_id_x 1
		.amdhsa_system_sgpr_workgroup_id_y 0
		.amdhsa_system_sgpr_workgroup_id_z 0
		.amdhsa_system_sgpr_workgroup_info 0
		.amdhsa_system_vgpr_workitem_id 0
		.amdhsa_next_free_vgpr 1
		.amdhsa_next_free_sgpr 0
		.amdhsa_accum_offset 4
		.amdhsa_reserve_vcc 0
		.amdhsa_float_round_mode_32 0
		.amdhsa_float_round_mode_16_64 0
		.amdhsa_float_denorm_mode_32 3
		.amdhsa_float_denorm_mode_16_64 3
		.amdhsa_dx10_clamp 1
		.amdhsa_ieee_mode 1
		.amdhsa_fp16_overflow 0
		.amdhsa_tg_split 0
		.amdhsa_exception_fp_ieee_invalid_op 0
		.amdhsa_exception_fp_denorm_src 0
		.amdhsa_exception_fp_ieee_div_zero 0
		.amdhsa_exception_fp_ieee_overflow 0
		.amdhsa_exception_fp_ieee_underflow 0
		.amdhsa_exception_fp_ieee_inexact 0
		.amdhsa_exception_int_div_zero 0
	.end_amdhsa_kernel
	.section	.text._ZN7rocprim17ROCPRIM_400000_NS6detail17trampoline_kernelINS0_14default_configENS1_25partition_config_selectorILNS1_17partition_subalgoE1ExNS0_10empty_typeEbEEZZNS1_14partition_implILS5_1ELb0ES3_jN6thrust23THRUST_200600_302600_NS6detail15normal_iteratorINSA_10device_ptrIxEEEEPS6_NSA_18transform_iteratorI7is_evenIxESF_NSA_11use_defaultESK_EENS0_5tupleIJNSA_16discard_iteratorISK_EESF_EEENSM_IJSG_SG_EEES6_PlJS6_EEE10hipError_tPvRmT3_T4_T5_T6_T7_T9_mT8_P12ihipStream_tbDpT10_ENKUlT_T0_E_clISt17integral_constantIbLb1EES1B_EEDaS16_S17_EUlS16_E_NS1_11comp_targetILNS1_3genE9ELNS1_11target_archE1100ELNS1_3gpuE3ELNS1_3repE0EEENS1_30default_config_static_selectorELNS0_4arch9wavefront6targetE1EEEvT1_,"axG",@progbits,_ZN7rocprim17ROCPRIM_400000_NS6detail17trampoline_kernelINS0_14default_configENS1_25partition_config_selectorILNS1_17partition_subalgoE1ExNS0_10empty_typeEbEEZZNS1_14partition_implILS5_1ELb0ES3_jN6thrust23THRUST_200600_302600_NS6detail15normal_iteratorINSA_10device_ptrIxEEEEPS6_NSA_18transform_iteratorI7is_evenIxESF_NSA_11use_defaultESK_EENS0_5tupleIJNSA_16discard_iteratorISK_EESF_EEENSM_IJSG_SG_EEES6_PlJS6_EEE10hipError_tPvRmT3_T4_T5_T6_T7_T9_mT8_P12ihipStream_tbDpT10_ENKUlT_T0_E_clISt17integral_constantIbLb1EES1B_EEDaS16_S17_EUlS16_E_NS1_11comp_targetILNS1_3genE9ELNS1_11target_archE1100ELNS1_3gpuE3ELNS1_3repE0EEENS1_30default_config_static_selectorELNS0_4arch9wavefront6targetE1EEEvT1_,comdat
.Lfunc_end3241:
	.size	_ZN7rocprim17ROCPRIM_400000_NS6detail17trampoline_kernelINS0_14default_configENS1_25partition_config_selectorILNS1_17partition_subalgoE1ExNS0_10empty_typeEbEEZZNS1_14partition_implILS5_1ELb0ES3_jN6thrust23THRUST_200600_302600_NS6detail15normal_iteratorINSA_10device_ptrIxEEEEPS6_NSA_18transform_iteratorI7is_evenIxESF_NSA_11use_defaultESK_EENS0_5tupleIJNSA_16discard_iteratorISK_EESF_EEENSM_IJSG_SG_EEES6_PlJS6_EEE10hipError_tPvRmT3_T4_T5_T6_T7_T9_mT8_P12ihipStream_tbDpT10_ENKUlT_T0_E_clISt17integral_constantIbLb1EES1B_EEDaS16_S17_EUlS16_E_NS1_11comp_targetILNS1_3genE9ELNS1_11target_archE1100ELNS1_3gpuE3ELNS1_3repE0EEENS1_30default_config_static_selectorELNS0_4arch9wavefront6targetE1EEEvT1_, .Lfunc_end3241-_ZN7rocprim17ROCPRIM_400000_NS6detail17trampoline_kernelINS0_14default_configENS1_25partition_config_selectorILNS1_17partition_subalgoE1ExNS0_10empty_typeEbEEZZNS1_14partition_implILS5_1ELb0ES3_jN6thrust23THRUST_200600_302600_NS6detail15normal_iteratorINSA_10device_ptrIxEEEEPS6_NSA_18transform_iteratorI7is_evenIxESF_NSA_11use_defaultESK_EENS0_5tupleIJNSA_16discard_iteratorISK_EESF_EEENSM_IJSG_SG_EEES6_PlJS6_EEE10hipError_tPvRmT3_T4_T5_T6_T7_T9_mT8_P12ihipStream_tbDpT10_ENKUlT_T0_E_clISt17integral_constantIbLb1EES1B_EEDaS16_S17_EUlS16_E_NS1_11comp_targetILNS1_3genE9ELNS1_11target_archE1100ELNS1_3gpuE3ELNS1_3repE0EEENS1_30default_config_static_selectorELNS0_4arch9wavefront6targetE1EEEvT1_
                                        ; -- End function
	.section	.AMDGPU.csdata,"",@progbits
; Kernel info:
; codeLenInByte = 0
; NumSgprs: 6
; NumVgprs: 0
; NumAgprs: 0
; TotalNumVgprs: 0
; ScratchSize: 0
; MemoryBound: 0
; FloatMode: 240
; IeeeMode: 1
; LDSByteSize: 0 bytes/workgroup (compile time only)
; SGPRBlocks: 0
; VGPRBlocks: 0
; NumSGPRsForWavesPerEU: 6
; NumVGPRsForWavesPerEU: 1
; AccumOffset: 4
; Occupancy: 8
; WaveLimiterHint : 0
; COMPUTE_PGM_RSRC2:SCRATCH_EN: 0
; COMPUTE_PGM_RSRC2:USER_SGPR: 2
; COMPUTE_PGM_RSRC2:TRAP_HANDLER: 0
; COMPUTE_PGM_RSRC2:TGID_X_EN: 1
; COMPUTE_PGM_RSRC2:TGID_Y_EN: 0
; COMPUTE_PGM_RSRC2:TGID_Z_EN: 0
; COMPUTE_PGM_RSRC2:TIDIG_COMP_CNT: 0
; COMPUTE_PGM_RSRC3_GFX90A:ACCUM_OFFSET: 0
; COMPUTE_PGM_RSRC3_GFX90A:TG_SPLIT: 0
	.section	.text._ZN7rocprim17ROCPRIM_400000_NS6detail17trampoline_kernelINS0_14default_configENS1_25partition_config_selectorILNS1_17partition_subalgoE1ExNS0_10empty_typeEbEEZZNS1_14partition_implILS5_1ELb0ES3_jN6thrust23THRUST_200600_302600_NS6detail15normal_iteratorINSA_10device_ptrIxEEEEPS6_NSA_18transform_iteratorI7is_evenIxESF_NSA_11use_defaultESK_EENS0_5tupleIJNSA_16discard_iteratorISK_EESF_EEENSM_IJSG_SG_EEES6_PlJS6_EEE10hipError_tPvRmT3_T4_T5_T6_T7_T9_mT8_P12ihipStream_tbDpT10_ENKUlT_T0_E_clISt17integral_constantIbLb1EES1B_EEDaS16_S17_EUlS16_E_NS1_11comp_targetILNS1_3genE8ELNS1_11target_archE1030ELNS1_3gpuE2ELNS1_3repE0EEENS1_30default_config_static_selectorELNS0_4arch9wavefront6targetE1EEEvT1_,"axG",@progbits,_ZN7rocprim17ROCPRIM_400000_NS6detail17trampoline_kernelINS0_14default_configENS1_25partition_config_selectorILNS1_17partition_subalgoE1ExNS0_10empty_typeEbEEZZNS1_14partition_implILS5_1ELb0ES3_jN6thrust23THRUST_200600_302600_NS6detail15normal_iteratorINSA_10device_ptrIxEEEEPS6_NSA_18transform_iteratorI7is_evenIxESF_NSA_11use_defaultESK_EENS0_5tupleIJNSA_16discard_iteratorISK_EESF_EEENSM_IJSG_SG_EEES6_PlJS6_EEE10hipError_tPvRmT3_T4_T5_T6_T7_T9_mT8_P12ihipStream_tbDpT10_ENKUlT_T0_E_clISt17integral_constantIbLb1EES1B_EEDaS16_S17_EUlS16_E_NS1_11comp_targetILNS1_3genE8ELNS1_11target_archE1030ELNS1_3gpuE2ELNS1_3repE0EEENS1_30default_config_static_selectorELNS0_4arch9wavefront6targetE1EEEvT1_,comdat
	.protected	_ZN7rocprim17ROCPRIM_400000_NS6detail17trampoline_kernelINS0_14default_configENS1_25partition_config_selectorILNS1_17partition_subalgoE1ExNS0_10empty_typeEbEEZZNS1_14partition_implILS5_1ELb0ES3_jN6thrust23THRUST_200600_302600_NS6detail15normal_iteratorINSA_10device_ptrIxEEEEPS6_NSA_18transform_iteratorI7is_evenIxESF_NSA_11use_defaultESK_EENS0_5tupleIJNSA_16discard_iteratorISK_EESF_EEENSM_IJSG_SG_EEES6_PlJS6_EEE10hipError_tPvRmT3_T4_T5_T6_T7_T9_mT8_P12ihipStream_tbDpT10_ENKUlT_T0_E_clISt17integral_constantIbLb1EES1B_EEDaS16_S17_EUlS16_E_NS1_11comp_targetILNS1_3genE8ELNS1_11target_archE1030ELNS1_3gpuE2ELNS1_3repE0EEENS1_30default_config_static_selectorELNS0_4arch9wavefront6targetE1EEEvT1_ ; -- Begin function _ZN7rocprim17ROCPRIM_400000_NS6detail17trampoline_kernelINS0_14default_configENS1_25partition_config_selectorILNS1_17partition_subalgoE1ExNS0_10empty_typeEbEEZZNS1_14partition_implILS5_1ELb0ES3_jN6thrust23THRUST_200600_302600_NS6detail15normal_iteratorINSA_10device_ptrIxEEEEPS6_NSA_18transform_iteratorI7is_evenIxESF_NSA_11use_defaultESK_EENS0_5tupleIJNSA_16discard_iteratorISK_EESF_EEENSM_IJSG_SG_EEES6_PlJS6_EEE10hipError_tPvRmT3_T4_T5_T6_T7_T9_mT8_P12ihipStream_tbDpT10_ENKUlT_T0_E_clISt17integral_constantIbLb1EES1B_EEDaS16_S17_EUlS16_E_NS1_11comp_targetILNS1_3genE8ELNS1_11target_archE1030ELNS1_3gpuE2ELNS1_3repE0EEENS1_30default_config_static_selectorELNS0_4arch9wavefront6targetE1EEEvT1_
	.globl	_ZN7rocprim17ROCPRIM_400000_NS6detail17trampoline_kernelINS0_14default_configENS1_25partition_config_selectorILNS1_17partition_subalgoE1ExNS0_10empty_typeEbEEZZNS1_14partition_implILS5_1ELb0ES3_jN6thrust23THRUST_200600_302600_NS6detail15normal_iteratorINSA_10device_ptrIxEEEEPS6_NSA_18transform_iteratorI7is_evenIxESF_NSA_11use_defaultESK_EENS0_5tupleIJNSA_16discard_iteratorISK_EESF_EEENSM_IJSG_SG_EEES6_PlJS6_EEE10hipError_tPvRmT3_T4_T5_T6_T7_T9_mT8_P12ihipStream_tbDpT10_ENKUlT_T0_E_clISt17integral_constantIbLb1EES1B_EEDaS16_S17_EUlS16_E_NS1_11comp_targetILNS1_3genE8ELNS1_11target_archE1030ELNS1_3gpuE2ELNS1_3repE0EEENS1_30default_config_static_selectorELNS0_4arch9wavefront6targetE1EEEvT1_
	.p2align	8
	.type	_ZN7rocprim17ROCPRIM_400000_NS6detail17trampoline_kernelINS0_14default_configENS1_25partition_config_selectorILNS1_17partition_subalgoE1ExNS0_10empty_typeEbEEZZNS1_14partition_implILS5_1ELb0ES3_jN6thrust23THRUST_200600_302600_NS6detail15normal_iteratorINSA_10device_ptrIxEEEEPS6_NSA_18transform_iteratorI7is_evenIxESF_NSA_11use_defaultESK_EENS0_5tupleIJNSA_16discard_iteratorISK_EESF_EEENSM_IJSG_SG_EEES6_PlJS6_EEE10hipError_tPvRmT3_T4_T5_T6_T7_T9_mT8_P12ihipStream_tbDpT10_ENKUlT_T0_E_clISt17integral_constantIbLb1EES1B_EEDaS16_S17_EUlS16_E_NS1_11comp_targetILNS1_3genE8ELNS1_11target_archE1030ELNS1_3gpuE2ELNS1_3repE0EEENS1_30default_config_static_selectorELNS0_4arch9wavefront6targetE1EEEvT1_,@function
_ZN7rocprim17ROCPRIM_400000_NS6detail17trampoline_kernelINS0_14default_configENS1_25partition_config_selectorILNS1_17partition_subalgoE1ExNS0_10empty_typeEbEEZZNS1_14partition_implILS5_1ELb0ES3_jN6thrust23THRUST_200600_302600_NS6detail15normal_iteratorINSA_10device_ptrIxEEEEPS6_NSA_18transform_iteratorI7is_evenIxESF_NSA_11use_defaultESK_EENS0_5tupleIJNSA_16discard_iteratorISK_EESF_EEENSM_IJSG_SG_EEES6_PlJS6_EEE10hipError_tPvRmT3_T4_T5_T6_T7_T9_mT8_P12ihipStream_tbDpT10_ENKUlT_T0_E_clISt17integral_constantIbLb1EES1B_EEDaS16_S17_EUlS16_E_NS1_11comp_targetILNS1_3genE8ELNS1_11target_archE1030ELNS1_3gpuE2ELNS1_3repE0EEENS1_30default_config_static_selectorELNS0_4arch9wavefront6targetE1EEEvT1_: ; @_ZN7rocprim17ROCPRIM_400000_NS6detail17trampoline_kernelINS0_14default_configENS1_25partition_config_selectorILNS1_17partition_subalgoE1ExNS0_10empty_typeEbEEZZNS1_14partition_implILS5_1ELb0ES3_jN6thrust23THRUST_200600_302600_NS6detail15normal_iteratorINSA_10device_ptrIxEEEEPS6_NSA_18transform_iteratorI7is_evenIxESF_NSA_11use_defaultESK_EENS0_5tupleIJNSA_16discard_iteratorISK_EESF_EEENSM_IJSG_SG_EEES6_PlJS6_EEE10hipError_tPvRmT3_T4_T5_T6_T7_T9_mT8_P12ihipStream_tbDpT10_ENKUlT_T0_E_clISt17integral_constantIbLb1EES1B_EEDaS16_S17_EUlS16_E_NS1_11comp_targetILNS1_3genE8ELNS1_11target_archE1030ELNS1_3gpuE2ELNS1_3repE0EEENS1_30default_config_static_selectorELNS0_4arch9wavefront6targetE1EEEvT1_
; %bb.0:
	.section	.rodata,"a",@progbits
	.p2align	6, 0x0
	.amdhsa_kernel _ZN7rocprim17ROCPRIM_400000_NS6detail17trampoline_kernelINS0_14default_configENS1_25partition_config_selectorILNS1_17partition_subalgoE1ExNS0_10empty_typeEbEEZZNS1_14partition_implILS5_1ELb0ES3_jN6thrust23THRUST_200600_302600_NS6detail15normal_iteratorINSA_10device_ptrIxEEEEPS6_NSA_18transform_iteratorI7is_evenIxESF_NSA_11use_defaultESK_EENS0_5tupleIJNSA_16discard_iteratorISK_EESF_EEENSM_IJSG_SG_EEES6_PlJS6_EEE10hipError_tPvRmT3_T4_T5_T6_T7_T9_mT8_P12ihipStream_tbDpT10_ENKUlT_T0_E_clISt17integral_constantIbLb1EES1B_EEDaS16_S17_EUlS16_E_NS1_11comp_targetILNS1_3genE8ELNS1_11target_archE1030ELNS1_3gpuE2ELNS1_3repE0EEENS1_30default_config_static_selectorELNS0_4arch9wavefront6targetE1EEEvT1_
		.amdhsa_group_segment_fixed_size 0
		.amdhsa_private_segment_fixed_size 0
		.amdhsa_kernarg_size 152
		.amdhsa_user_sgpr_count 2
		.amdhsa_user_sgpr_dispatch_ptr 0
		.amdhsa_user_sgpr_queue_ptr 0
		.amdhsa_user_sgpr_kernarg_segment_ptr 1
		.amdhsa_user_sgpr_dispatch_id 0
		.amdhsa_user_sgpr_kernarg_preload_length 0
		.amdhsa_user_sgpr_kernarg_preload_offset 0
		.amdhsa_user_sgpr_private_segment_size 0
		.amdhsa_uses_dynamic_stack 0
		.amdhsa_enable_private_segment 0
		.amdhsa_system_sgpr_workgroup_id_x 1
		.amdhsa_system_sgpr_workgroup_id_y 0
		.amdhsa_system_sgpr_workgroup_id_z 0
		.amdhsa_system_sgpr_workgroup_info 0
		.amdhsa_system_vgpr_workitem_id 0
		.amdhsa_next_free_vgpr 1
		.amdhsa_next_free_sgpr 0
		.amdhsa_accum_offset 4
		.amdhsa_reserve_vcc 0
		.amdhsa_float_round_mode_32 0
		.amdhsa_float_round_mode_16_64 0
		.amdhsa_float_denorm_mode_32 3
		.amdhsa_float_denorm_mode_16_64 3
		.amdhsa_dx10_clamp 1
		.amdhsa_ieee_mode 1
		.amdhsa_fp16_overflow 0
		.amdhsa_tg_split 0
		.amdhsa_exception_fp_ieee_invalid_op 0
		.amdhsa_exception_fp_denorm_src 0
		.amdhsa_exception_fp_ieee_div_zero 0
		.amdhsa_exception_fp_ieee_overflow 0
		.amdhsa_exception_fp_ieee_underflow 0
		.amdhsa_exception_fp_ieee_inexact 0
		.amdhsa_exception_int_div_zero 0
	.end_amdhsa_kernel
	.section	.text._ZN7rocprim17ROCPRIM_400000_NS6detail17trampoline_kernelINS0_14default_configENS1_25partition_config_selectorILNS1_17partition_subalgoE1ExNS0_10empty_typeEbEEZZNS1_14partition_implILS5_1ELb0ES3_jN6thrust23THRUST_200600_302600_NS6detail15normal_iteratorINSA_10device_ptrIxEEEEPS6_NSA_18transform_iteratorI7is_evenIxESF_NSA_11use_defaultESK_EENS0_5tupleIJNSA_16discard_iteratorISK_EESF_EEENSM_IJSG_SG_EEES6_PlJS6_EEE10hipError_tPvRmT3_T4_T5_T6_T7_T9_mT8_P12ihipStream_tbDpT10_ENKUlT_T0_E_clISt17integral_constantIbLb1EES1B_EEDaS16_S17_EUlS16_E_NS1_11comp_targetILNS1_3genE8ELNS1_11target_archE1030ELNS1_3gpuE2ELNS1_3repE0EEENS1_30default_config_static_selectorELNS0_4arch9wavefront6targetE1EEEvT1_,"axG",@progbits,_ZN7rocprim17ROCPRIM_400000_NS6detail17trampoline_kernelINS0_14default_configENS1_25partition_config_selectorILNS1_17partition_subalgoE1ExNS0_10empty_typeEbEEZZNS1_14partition_implILS5_1ELb0ES3_jN6thrust23THRUST_200600_302600_NS6detail15normal_iteratorINSA_10device_ptrIxEEEEPS6_NSA_18transform_iteratorI7is_evenIxESF_NSA_11use_defaultESK_EENS0_5tupleIJNSA_16discard_iteratorISK_EESF_EEENSM_IJSG_SG_EEES6_PlJS6_EEE10hipError_tPvRmT3_T4_T5_T6_T7_T9_mT8_P12ihipStream_tbDpT10_ENKUlT_T0_E_clISt17integral_constantIbLb1EES1B_EEDaS16_S17_EUlS16_E_NS1_11comp_targetILNS1_3genE8ELNS1_11target_archE1030ELNS1_3gpuE2ELNS1_3repE0EEENS1_30default_config_static_selectorELNS0_4arch9wavefront6targetE1EEEvT1_,comdat
.Lfunc_end3242:
	.size	_ZN7rocprim17ROCPRIM_400000_NS6detail17trampoline_kernelINS0_14default_configENS1_25partition_config_selectorILNS1_17partition_subalgoE1ExNS0_10empty_typeEbEEZZNS1_14partition_implILS5_1ELb0ES3_jN6thrust23THRUST_200600_302600_NS6detail15normal_iteratorINSA_10device_ptrIxEEEEPS6_NSA_18transform_iteratorI7is_evenIxESF_NSA_11use_defaultESK_EENS0_5tupleIJNSA_16discard_iteratorISK_EESF_EEENSM_IJSG_SG_EEES6_PlJS6_EEE10hipError_tPvRmT3_T4_T5_T6_T7_T9_mT8_P12ihipStream_tbDpT10_ENKUlT_T0_E_clISt17integral_constantIbLb1EES1B_EEDaS16_S17_EUlS16_E_NS1_11comp_targetILNS1_3genE8ELNS1_11target_archE1030ELNS1_3gpuE2ELNS1_3repE0EEENS1_30default_config_static_selectorELNS0_4arch9wavefront6targetE1EEEvT1_, .Lfunc_end3242-_ZN7rocprim17ROCPRIM_400000_NS6detail17trampoline_kernelINS0_14default_configENS1_25partition_config_selectorILNS1_17partition_subalgoE1ExNS0_10empty_typeEbEEZZNS1_14partition_implILS5_1ELb0ES3_jN6thrust23THRUST_200600_302600_NS6detail15normal_iteratorINSA_10device_ptrIxEEEEPS6_NSA_18transform_iteratorI7is_evenIxESF_NSA_11use_defaultESK_EENS0_5tupleIJNSA_16discard_iteratorISK_EESF_EEENSM_IJSG_SG_EEES6_PlJS6_EEE10hipError_tPvRmT3_T4_T5_T6_T7_T9_mT8_P12ihipStream_tbDpT10_ENKUlT_T0_E_clISt17integral_constantIbLb1EES1B_EEDaS16_S17_EUlS16_E_NS1_11comp_targetILNS1_3genE8ELNS1_11target_archE1030ELNS1_3gpuE2ELNS1_3repE0EEENS1_30default_config_static_selectorELNS0_4arch9wavefront6targetE1EEEvT1_
                                        ; -- End function
	.section	.AMDGPU.csdata,"",@progbits
; Kernel info:
; codeLenInByte = 0
; NumSgprs: 6
; NumVgprs: 0
; NumAgprs: 0
; TotalNumVgprs: 0
; ScratchSize: 0
; MemoryBound: 0
; FloatMode: 240
; IeeeMode: 1
; LDSByteSize: 0 bytes/workgroup (compile time only)
; SGPRBlocks: 0
; VGPRBlocks: 0
; NumSGPRsForWavesPerEU: 6
; NumVGPRsForWavesPerEU: 1
; AccumOffset: 4
; Occupancy: 8
; WaveLimiterHint : 0
; COMPUTE_PGM_RSRC2:SCRATCH_EN: 0
; COMPUTE_PGM_RSRC2:USER_SGPR: 2
; COMPUTE_PGM_RSRC2:TRAP_HANDLER: 0
; COMPUTE_PGM_RSRC2:TGID_X_EN: 1
; COMPUTE_PGM_RSRC2:TGID_Y_EN: 0
; COMPUTE_PGM_RSRC2:TGID_Z_EN: 0
; COMPUTE_PGM_RSRC2:TIDIG_COMP_CNT: 0
; COMPUTE_PGM_RSRC3_GFX90A:ACCUM_OFFSET: 0
; COMPUTE_PGM_RSRC3_GFX90A:TG_SPLIT: 0
	.section	.text._ZN7rocprim17ROCPRIM_400000_NS6detail17trampoline_kernelINS0_14default_configENS1_25partition_config_selectorILNS1_17partition_subalgoE1ExNS0_10empty_typeEbEEZZNS1_14partition_implILS5_1ELb0ES3_jN6thrust23THRUST_200600_302600_NS6detail15normal_iteratorINSA_10device_ptrIxEEEEPS6_NSA_18transform_iteratorI7is_evenIxESF_NSA_11use_defaultESK_EENS0_5tupleIJNSA_16discard_iteratorISK_EESF_EEENSM_IJSG_SG_EEES6_PlJS6_EEE10hipError_tPvRmT3_T4_T5_T6_T7_T9_mT8_P12ihipStream_tbDpT10_ENKUlT_T0_E_clISt17integral_constantIbLb1EES1A_IbLb0EEEEDaS16_S17_EUlS16_E_NS1_11comp_targetILNS1_3genE0ELNS1_11target_archE4294967295ELNS1_3gpuE0ELNS1_3repE0EEENS1_30default_config_static_selectorELNS0_4arch9wavefront6targetE1EEEvT1_,"axG",@progbits,_ZN7rocprim17ROCPRIM_400000_NS6detail17trampoline_kernelINS0_14default_configENS1_25partition_config_selectorILNS1_17partition_subalgoE1ExNS0_10empty_typeEbEEZZNS1_14partition_implILS5_1ELb0ES3_jN6thrust23THRUST_200600_302600_NS6detail15normal_iteratorINSA_10device_ptrIxEEEEPS6_NSA_18transform_iteratorI7is_evenIxESF_NSA_11use_defaultESK_EENS0_5tupleIJNSA_16discard_iteratorISK_EESF_EEENSM_IJSG_SG_EEES6_PlJS6_EEE10hipError_tPvRmT3_T4_T5_T6_T7_T9_mT8_P12ihipStream_tbDpT10_ENKUlT_T0_E_clISt17integral_constantIbLb1EES1A_IbLb0EEEEDaS16_S17_EUlS16_E_NS1_11comp_targetILNS1_3genE0ELNS1_11target_archE4294967295ELNS1_3gpuE0ELNS1_3repE0EEENS1_30default_config_static_selectorELNS0_4arch9wavefront6targetE1EEEvT1_,comdat
	.protected	_ZN7rocprim17ROCPRIM_400000_NS6detail17trampoline_kernelINS0_14default_configENS1_25partition_config_selectorILNS1_17partition_subalgoE1ExNS0_10empty_typeEbEEZZNS1_14partition_implILS5_1ELb0ES3_jN6thrust23THRUST_200600_302600_NS6detail15normal_iteratorINSA_10device_ptrIxEEEEPS6_NSA_18transform_iteratorI7is_evenIxESF_NSA_11use_defaultESK_EENS0_5tupleIJNSA_16discard_iteratorISK_EESF_EEENSM_IJSG_SG_EEES6_PlJS6_EEE10hipError_tPvRmT3_T4_T5_T6_T7_T9_mT8_P12ihipStream_tbDpT10_ENKUlT_T0_E_clISt17integral_constantIbLb1EES1A_IbLb0EEEEDaS16_S17_EUlS16_E_NS1_11comp_targetILNS1_3genE0ELNS1_11target_archE4294967295ELNS1_3gpuE0ELNS1_3repE0EEENS1_30default_config_static_selectorELNS0_4arch9wavefront6targetE1EEEvT1_ ; -- Begin function _ZN7rocprim17ROCPRIM_400000_NS6detail17trampoline_kernelINS0_14default_configENS1_25partition_config_selectorILNS1_17partition_subalgoE1ExNS0_10empty_typeEbEEZZNS1_14partition_implILS5_1ELb0ES3_jN6thrust23THRUST_200600_302600_NS6detail15normal_iteratorINSA_10device_ptrIxEEEEPS6_NSA_18transform_iteratorI7is_evenIxESF_NSA_11use_defaultESK_EENS0_5tupleIJNSA_16discard_iteratorISK_EESF_EEENSM_IJSG_SG_EEES6_PlJS6_EEE10hipError_tPvRmT3_T4_T5_T6_T7_T9_mT8_P12ihipStream_tbDpT10_ENKUlT_T0_E_clISt17integral_constantIbLb1EES1A_IbLb0EEEEDaS16_S17_EUlS16_E_NS1_11comp_targetILNS1_3genE0ELNS1_11target_archE4294967295ELNS1_3gpuE0ELNS1_3repE0EEENS1_30default_config_static_selectorELNS0_4arch9wavefront6targetE1EEEvT1_
	.globl	_ZN7rocprim17ROCPRIM_400000_NS6detail17trampoline_kernelINS0_14default_configENS1_25partition_config_selectorILNS1_17partition_subalgoE1ExNS0_10empty_typeEbEEZZNS1_14partition_implILS5_1ELb0ES3_jN6thrust23THRUST_200600_302600_NS6detail15normal_iteratorINSA_10device_ptrIxEEEEPS6_NSA_18transform_iteratorI7is_evenIxESF_NSA_11use_defaultESK_EENS0_5tupleIJNSA_16discard_iteratorISK_EESF_EEENSM_IJSG_SG_EEES6_PlJS6_EEE10hipError_tPvRmT3_T4_T5_T6_T7_T9_mT8_P12ihipStream_tbDpT10_ENKUlT_T0_E_clISt17integral_constantIbLb1EES1A_IbLb0EEEEDaS16_S17_EUlS16_E_NS1_11comp_targetILNS1_3genE0ELNS1_11target_archE4294967295ELNS1_3gpuE0ELNS1_3repE0EEENS1_30default_config_static_selectorELNS0_4arch9wavefront6targetE1EEEvT1_
	.p2align	8
	.type	_ZN7rocprim17ROCPRIM_400000_NS6detail17trampoline_kernelINS0_14default_configENS1_25partition_config_selectorILNS1_17partition_subalgoE1ExNS0_10empty_typeEbEEZZNS1_14partition_implILS5_1ELb0ES3_jN6thrust23THRUST_200600_302600_NS6detail15normal_iteratorINSA_10device_ptrIxEEEEPS6_NSA_18transform_iteratorI7is_evenIxESF_NSA_11use_defaultESK_EENS0_5tupleIJNSA_16discard_iteratorISK_EESF_EEENSM_IJSG_SG_EEES6_PlJS6_EEE10hipError_tPvRmT3_T4_T5_T6_T7_T9_mT8_P12ihipStream_tbDpT10_ENKUlT_T0_E_clISt17integral_constantIbLb1EES1A_IbLb0EEEEDaS16_S17_EUlS16_E_NS1_11comp_targetILNS1_3genE0ELNS1_11target_archE4294967295ELNS1_3gpuE0ELNS1_3repE0EEENS1_30default_config_static_selectorELNS0_4arch9wavefront6targetE1EEEvT1_,@function
_ZN7rocprim17ROCPRIM_400000_NS6detail17trampoline_kernelINS0_14default_configENS1_25partition_config_selectorILNS1_17partition_subalgoE1ExNS0_10empty_typeEbEEZZNS1_14partition_implILS5_1ELb0ES3_jN6thrust23THRUST_200600_302600_NS6detail15normal_iteratorINSA_10device_ptrIxEEEEPS6_NSA_18transform_iteratorI7is_evenIxESF_NSA_11use_defaultESK_EENS0_5tupleIJNSA_16discard_iteratorISK_EESF_EEENSM_IJSG_SG_EEES6_PlJS6_EEE10hipError_tPvRmT3_T4_T5_T6_T7_T9_mT8_P12ihipStream_tbDpT10_ENKUlT_T0_E_clISt17integral_constantIbLb1EES1A_IbLb0EEEEDaS16_S17_EUlS16_E_NS1_11comp_targetILNS1_3genE0ELNS1_11target_archE4294967295ELNS1_3gpuE0ELNS1_3repE0EEENS1_30default_config_static_selectorELNS0_4arch9wavefront6targetE1EEEvT1_: ; @_ZN7rocprim17ROCPRIM_400000_NS6detail17trampoline_kernelINS0_14default_configENS1_25partition_config_selectorILNS1_17partition_subalgoE1ExNS0_10empty_typeEbEEZZNS1_14partition_implILS5_1ELb0ES3_jN6thrust23THRUST_200600_302600_NS6detail15normal_iteratorINSA_10device_ptrIxEEEEPS6_NSA_18transform_iteratorI7is_evenIxESF_NSA_11use_defaultESK_EENS0_5tupleIJNSA_16discard_iteratorISK_EESF_EEENSM_IJSG_SG_EEES6_PlJS6_EEE10hipError_tPvRmT3_T4_T5_T6_T7_T9_mT8_P12ihipStream_tbDpT10_ENKUlT_T0_E_clISt17integral_constantIbLb1EES1A_IbLb0EEEEDaS16_S17_EUlS16_E_NS1_11comp_targetILNS1_3genE0ELNS1_11target_archE4294967295ELNS1_3gpuE0ELNS1_3repE0EEENS1_30default_config_static_selectorELNS0_4arch9wavefront6targetE1EEEvT1_
; %bb.0:
	.section	.rodata,"a",@progbits
	.p2align	6, 0x0
	.amdhsa_kernel _ZN7rocprim17ROCPRIM_400000_NS6detail17trampoline_kernelINS0_14default_configENS1_25partition_config_selectorILNS1_17partition_subalgoE1ExNS0_10empty_typeEbEEZZNS1_14partition_implILS5_1ELb0ES3_jN6thrust23THRUST_200600_302600_NS6detail15normal_iteratorINSA_10device_ptrIxEEEEPS6_NSA_18transform_iteratorI7is_evenIxESF_NSA_11use_defaultESK_EENS0_5tupleIJNSA_16discard_iteratorISK_EESF_EEENSM_IJSG_SG_EEES6_PlJS6_EEE10hipError_tPvRmT3_T4_T5_T6_T7_T9_mT8_P12ihipStream_tbDpT10_ENKUlT_T0_E_clISt17integral_constantIbLb1EES1A_IbLb0EEEEDaS16_S17_EUlS16_E_NS1_11comp_targetILNS1_3genE0ELNS1_11target_archE4294967295ELNS1_3gpuE0ELNS1_3repE0EEENS1_30default_config_static_selectorELNS0_4arch9wavefront6targetE1EEEvT1_
		.amdhsa_group_segment_fixed_size 0
		.amdhsa_private_segment_fixed_size 0
		.amdhsa_kernarg_size 136
		.amdhsa_user_sgpr_count 2
		.amdhsa_user_sgpr_dispatch_ptr 0
		.amdhsa_user_sgpr_queue_ptr 0
		.amdhsa_user_sgpr_kernarg_segment_ptr 1
		.amdhsa_user_sgpr_dispatch_id 0
		.amdhsa_user_sgpr_kernarg_preload_length 0
		.amdhsa_user_sgpr_kernarg_preload_offset 0
		.amdhsa_user_sgpr_private_segment_size 0
		.amdhsa_uses_dynamic_stack 0
		.amdhsa_enable_private_segment 0
		.amdhsa_system_sgpr_workgroup_id_x 1
		.amdhsa_system_sgpr_workgroup_id_y 0
		.amdhsa_system_sgpr_workgroup_id_z 0
		.amdhsa_system_sgpr_workgroup_info 0
		.amdhsa_system_vgpr_workitem_id 0
		.amdhsa_next_free_vgpr 1
		.amdhsa_next_free_sgpr 0
		.amdhsa_accum_offset 4
		.amdhsa_reserve_vcc 0
		.amdhsa_float_round_mode_32 0
		.amdhsa_float_round_mode_16_64 0
		.amdhsa_float_denorm_mode_32 3
		.amdhsa_float_denorm_mode_16_64 3
		.amdhsa_dx10_clamp 1
		.amdhsa_ieee_mode 1
		.amdhsa_fp16_overflow 0
		.amdhsa_tg_split 0
		.amdhsa_exception_fp_ieee_invalid_op 0
		.amdhsa_exception_fp_denorm_src 0
		.amdhsa_exception_fp_ieee_div_zero 0
		.amdhsa_exception_fp_ieee_overflow 0
		.amdhsa_exception_fp_ieee_underflow 0
		.amdhsa_exception_fp_ieee_inexact 0
		.amdhsa_exception_int_div_zero 0
	.end_amdhsa_kernel
	.section	.text._ZN7rocprim17ROCPRIM_400000_NS6detail17trampoline_kernelINS0_14default_configENS1_25partition_config_selectorILNS1_17partition_subalgoE1ExNS0_10empty_typeEbEEZZNS1_14partition_implILS5_1ELb0ES3_jN6thrust23THRUST_200600_302600_NS6detail15normal_iteratorINSA_10device_ptrIxEEEEPS6_NSA_18transform_iteratorI7is_evenIxESF_NSA_11use_defaultESK_EENS0_5tupleIJNSA_16discard_iteratorISK_EESF_EEENSM_IJSG_SG_EEES6_PlJS6_EEE10hipError_tPvRmT3_T4_T5_T6_T7_T9_mT8_P12ihipStream_tbDpT10_ENKUlT_T0_E_clISt17integral_constantIbLb1EES1A_IbLb0EEEEDaS16_S17_EUlS16_E_NS1_11comp_targetILNS1_3genE0ELNS1_11target_archE4294967295ELNS1_3gpuE0ELNS1_3repE0EEENS1_30default_config_static_selectorELNS0_4arch9wavefront6targetE1EEEvT1_,"axG",@progbits,_ZN7rocprim17ROCPRIM_400000_NS6detail17trampoline_kernelINS0_14default_configENS1_25partition_config_selectorILNS1_17partition_subalgoE1ExNS0_10empty_typeEbEEZZNS1_14partition_implILS5_1ELb0ES3_jN6thrust23THRUST_200600_302600_NS6detail15normal_iteratorINSA_10device_ptrIxEEEEPS6_NSA_18transform_iteratorI7is_evenIxESF_NSA_11use_defaultESK_EENS0_5tupleIJNSA_16discard_iteratorISK_EESF_EEENSM_IJSG_SG_EEES6_PlJS6_EEE10hipError_tPvRmT3_T4_T5_T6_T7_T9_mT8_P12ihipStream_tbDpT10_ENKUlT_T0_E_clISt17integral_constantIbLb1EES1A_IbLb0EEEEDaS16_S17_EUlS16_E_NS1_11comp_targetILNS1_3genE0ELNS1_11target_archE4294967295ELNS1_3gpuE0ELNS1_3repE0EEENS1_30default_config_static_selectorELNS0_4arch9wavefront6targetE1EEEvT1_,comdat
.Lfunc_end3243:
	.size	_ZN7rocprim17ROCPRIM_400000_NS6detail17trampoline_kernelINS0_14default_configENS1_25partition_config_selectorILNS1_17partition_subalgoE1ExNS0_10empty_typeEbEEZZNS1_14partition_implILS5_1ELb0ES3_jN6thrust23THRUST_200600_302600_NS6detail15normal_iteratorINSA_10device_ptrIxEEEEPS6_NSA_18transform_iteratorI7is_evenIxESF_NSA_11use_defaultESK_EENS0_5tupleIJNSA_16discard_iteratorISK_EESF_EEENSM_IJSG_SG_EEES6_PlJS6_EEE10hipError_tPvRmT3_T4_T5_T6_T7_T9_mT8_P12ihipStream_tbDpT10_ENKUlT_T0_E_clISt17integral_constantIbLb1EES1A_IbLb0EEEEDaS16_S17_EUlS16_E_NS1_11comp_targetILNS1_3genE0ELNS1_11target_archE4294967295ELNS1_3gpuE0ELNS1_3repE0EEENS1_30default_config_static_selectorELNS0_4arch9wavefront6targetE1EEEvT1_, .Lfunc_end3243-_ZN7rocprim17ROCPRIM_400000_NS6detail17trampoline_kernelINS0_14default_configENS1_25partition_config_selectorILNS1_17partition_subalgoE1ExNS0_10empty_typeEbEEZZNS1_14partition_implILS5_1ELb0ES3_jN6thrust23THRUST_200600_302600_NS6detail15normal_iteratorINSA_10device_ptrIxEEEEPS6_NSA_18transform_iteratorI7is_evenIxESF_NSA_11use_defaultESK_EENS0_5tupleIJNSA_16discard_iteratorISK_EESF_EEENSM_IJSG_SG_EEES6_PlJS6_EEE10hipError_tPvRmT3_T4_T5_T6_T7_T9_mT8_P12ihipStream_tbDpT10_ENKUlT_T0_E_clISt17integral_constantIbLb1EES1A_IbLb0EEEEDaS16_S17_EUlS16_E_NS1_11comp_targetILNS1_3genE0ELNS1_11target_archE4294967295ELNS1_3gpuE0ELNS1_3repE0EEENS1_30default_config_static_selectorELNS0_4arch9wavefront6targetE1EEEvT1_
                                        ; -- End function
	.section	.AMDGPU.csdata,"",@progbits
; Kernel info:
; codeLenInByte = 0
; NumSgprs: 6
; NumVgprs: 0
; NumAgprs: 0
; TotalNumVgprs: 0
; ScratchSize: 0
; MemoryBound: 0
; FloatMode: 240
; IeeeMode: 1
; LDSByteSize: 0 bytes/workgroup (compile time only)
; SGPRBlocks: 0
; VGPRBlocks: 0
; NumSGPRsForWavesPerEU: 6
; NumVGPRsForWavesPerEU: 1
; AccumOffset: 4
; Occupancy: 8
; WaveLimiterHint : 0
; COMPUTE_PGM_RSRC2:SCRATCH_EN: 0
; COMPUTE_PGM_RSRC2:USER_SGPR: 2
; COMPUTE_PGM_RSRC2:TRAP_HANDLER: 0
; COMPUTE_PGM_RSRC2:TGID_X_EN: 1
; COMPUTE_PGM_RSRC2:TGID_Y_EN: 0
; COMPUTE_PGM_RSRC2:TGID_Z_EN: 0
; COMPUTE_PGM_RSRC2:TIDIG_COMP_CNT: 0
; COMPUTE_PGM_RSRC3_GFX90A:ACCUM_OFFSET: 0
; COMPUTE_PGM_RSRC3_GFX90A:TG_SPLIT: 0
	.section	.text._ZN7rocprim17ROCPRIM_400000_NS6detail17trampoline_kernelINS0_14default_configENS1_25partition_config_selectorILNS1_17partition_subalgoE1ExNS0_10empty_typeEbEEZZNS1_14partition_implILS5_1ELb0ES3_jN6thrust23THRUST_200600_302600_NS6detail15normal_iteratorINSA_10device_ptrIxEEEEPS6_NSA_18transform_iteratorI7is_evenIxESF_NSA_11use_defaultESK_EENS0_5tupleIJNSA_16discard_iteratorISK_EESF_EEENSM_IJSG_SG_EEES6_PlJS6_EEE10hipError_tPvRmT3_T4_T5_T6_T7_T9_mT8_P12ihipStream_tbDpT10_ENKUlT_T0_E_clISt17integral_constantIbLb1EES1A_IbLb0EEEEDaS16_S17_EUlS16_E_NS1_11comp_targetILNS1_3genE5ELNS1_11target_archE942ELNS1_3gpuE9ELNS1_3repE0EEENS1_30default_config_static_selectorELNS0_4arch9wavefront6targetE1EEEvT1_,"axG",@progbits,_ZN7rocprim17ROCPRIM_400000_NS6detail17trampoline_kernelINS0_14default_configENS1_25partition_config_selectorILNS1_17partition_subalgoE1ExNS0_10empty_typeEbEEZZNS1_14partition_implILS5_1ELb0ES3_jN6thrust23THRUST_200600_302600_NS6detail15normal_iteratorINSA_10device_ptrIxEEEEPS6_NSA_18transform_iteratorI7is_evenIxESF_NSA_11use_defaultESK_EENS0_5tupleIJNSA_16discard_iteratorISK_EESF_EEENSM_IJSG_SG_EEES6_PlJS6_EEE10hipError_tPvRmT3_T4_T5_T6_T7_T9_mT8_P12ihipStream_tbDpT10_ENKUlT_T0_E_clISt17integral_constantIbLb1EES1A_IbLb0EEEEDaS16_S17_EUlS16_E_NS1_11comp_targetILNS1_3genE5ELNS1_11target_archE942ELNS1_3gpuE9ELNS1_3repE0EEENS1_30default_config_static_selectorELNS0_4arch9wavefront6targetE1EEEvT1_,comdat
	.protected	_ZN7rocprim17ROCPRIM_400000_NS6detail17trampoline_kernelINS0_14default_configENS1_25partition_config_selectorILNS1_17partition_subalgoE1ExNS0_10empty_typeEbEEZZNS1_14partition_implILS5_1ELb0ES3_jN6thrust23THRUST_200600_302600_NS6detail15normal_iteratorINSA_10device_ptrIxEEEEPS6_NSA_18transform_iteratorI7is_evenIxESF_NSA_11use_defaultESK_EENS0_5tupleIJNSA_16discard_iteratorISK_EESF_EEENSM_IJSG_SG_EEES6_PlJS6_EEE10hipError_tPvRmT3_T4_T5_T6_T7_T9_mT8_P12ihipStream_tbDpT10_ENKUlT_T0_E_clISt17integral_constantIbLb1EES1A_IbLb0EEEEDaS16_S17_EUlS16_E_NS1_11comp_targetILNS1_3genE5ELNS1_11target_archE942ELNS1_3gpuE9ELNS1_3repE0EEENS1_30default_config_static_selectorELNS0_4arch9wavefront6targetE1EEEvT1_ ; -- Begin function _ZN7rocprim17ROCPRIM_400000_NS6detail17trampoline_kernelINS0_14default_configENS1_25partition_config_selectorILNS1_17partition_subalgoE1ExNS0_10empty_typeEbEEZZNS1_14partition_implILS5_1ELb0ES3_jN6thrust23THRUST_200600_302600_NS6detail15normal_iteratorINSA_10device_ptrIxEEEEPS6_NSA_18transform_iteratorI7is_evenIxESF_NSA_11use_defaultESK_EENS0_5tupleIJNSA_16discard_iteratorISK_EESF_EEENSM_IJSG_SG_EEES6_PlJS6_EEE10hipError_tPvRmT3_T4_T5_T6_T7_T9_mT8_P12ihipStream_tbDpT10_ENKUlT_T0_E_clISt17integral_constantIbLb1EES1A_IbLb0EEEEDaS16_S17_EUlS16_E_NS1_11comp_targetILNS1_3genE5ELNS1_11target_archE942ELNS1_3gpuE9ELNS1_3repE0EEENS1_30default_config_static_selectorELNS0_4arch9wavefront6targetE1EEEvT1_
	.globl	_ZN7rocprim17ROCPRIM_400000_NS6detail17trampoline_kernelINS0_14default_configENS1_25partition_config_selectorILNS1_17partition_subalgoE1ExNS0_10empty_typeEbEEZZNS1_14partition_implILS5_1ELb0ES3_jN6thrust23THRUST_200600_302600_NS6detail15normal_iteratorINSA_10device_ptrIxEEEEPS6_NSA_18transform_iteratorI7is_evenIxESF_NSA_11use_defaultESK_EENS0_5tupleIJNSA_16discard_iteratorISK_EESF_EEENSM_IJSG_SG_EEES6_PlJS6_EEE10hipError_tPvRmT3_T4_T5_T6_T7_T9_mT8_P12ihipStream_tbDpT10_ENKUlT_T0_E_clISt17integral_constantIbLb1EES1A_IbLb0EEEEDaS16_S17_EUlS16_E_NS1_11comp_targetILNS1_3genE5ELNS1_11target_archE942ELNS1_3gpuE9ELNS1_3repE0EEENS1_30default_config_static_selectorELNS0_4arch9wavefront6targetE1EEEvT1_
	.p2align	8
	.type	_ZN7rocprim17ROCPRIM_400000_NS6detail17trampoline_kernelINS0_14default_configENS1_25partition_config_selectorILNS1_17partition_subalgoE1ExNS0_10empty_typeEbEEZZNS1_14partition_implILS5_1ELb0ES3_jN6thrust23THRUST_200600_302600_NS6detail15normal_iteratorINSA_10device_ptrIxEEEEPS6_NSA_18transform_iteratorI7is_evenIxESF_NSA_11use_defaultESK_EENS0_5tupleIJNSA_16discard_iteratorISK_EESF_EEENSM_IJSG_SG_EEES6_PlJS6_EEE10hipError_tPvRmT3_T4_T5_T6_T7_T9_mT8_P12ihipStream_tbDpT10_ENKUlT_T0_E_clISt17integral_constantIbLb1EES1A_IbLb0EEEEDaS16_S17_EUlS16_E_NS1_11comp_targetILNS1_3genE5ELNS1_11target_archE942ELNS1_3gpuE9ELNS1_3repE0EEENS1_30default_config_static_selectorELNS0_4arch9wavefront6targetE1EEEvT1_,@function
_ZN7rocprim17ROCPRIM_400000_NS6detail17trampoline_kernelINS0_14default_configENS1_25partition_config_selectorILNS1_17partition_subalgoE1ExNS0_10empty_typeEbEEZZNS1_14partition_implILS5_1ELb0ES3_jN6thrust23THRUST_200600_302600_NS6detail15normal_iteratorINSA_10device_ptrIxEEEEPS6_NSA_18transform_iteratorI7is_evenIxESF_NSA_11use_defaultESK_EENS0_5tupleIJNSA_16discard_iteratorISK_EESF_EEENSM_IJSG_SG_EEES6_PlJS6_EEE10hipError_tPvRmT3_T4_T5_T6_T7_T9_mT8_P12ihipStream_tbDpT10_ENKUlT_T0_E_clISt17integral_constantIbLb1EES1A_IbLb0EEEEDaS16_S17_EUlS16_E_NS1_11comp_targetILNS1_3genE5ELNS1_11target_archE942ELNS1_3gpuE9ELNS1_3repE0EEENS1_30default_config_static_selectorELNS0_4arch9wavefront6targetE1EEEvT1_: ; @_ZN7rocprim17ROCPRIM_400000_NS6detail17trampoline_kernelINS0_14default_configENS1_25partition_config_selectorILNS1_17partition_subalgoE1ExNS0_10empty_typeEbEEZZNS1_14partition_implILS5_1ELb0ES3_jN6thrust23THRUST_200600_302600_NS6detail15normal_iteratorINSA_10device_ptrIxEEEEPS6_NSA_18transform_iteratorI7is_evenIxESF_NSA_11use_defaultESK_EENS0_5tupleIJNSA_16discard_iteratorISK_EESF_EEENSM_IJSG_SG_EEES6_PlJS6_EEE10hipError_tPvRmT3_T4_T5_T6_T7_T9_mT8_P12ihipStream_tbDpT10_ENKUlT_T0_E_clISt17integral_constantIbLb1EES1A_IbLb0EEEEDaS16_S17_EUlS16_E_NS1_11comp_targetILNS1_3genE5ELNS1_11target_archE942ELNS1_3gpuE9ELNS1_3repE0EEENS1_30default_config_static_selectorELNS0_4arch9wavefront6targetE1EEEvT1_
; %bb.0:
	s_load_dwordx2 s[4:5], s[0:1], 0x68
	s_load_dwordx4 s[24:27], s[0:1], 0x8
	s_load_dwordx2 s[6:7], s[0:1], 0x20
	s_load_dwordx4 s[20:23], s[0:1], 0x58
	s_load_dword s3, s[0:1], 0x80
	s_waitcnt lgkmcnt(0)
	v_mov_b32_e32 v3, s5
	s_lshl_b64 s[8:9], s[26:27], 3
	s_add_u32 s12, s24, s8
	s_addc_u32 s13, s25, s9
	s_add_i32 s14, s3, -1
	s_mulk_i32 s3, 0xe00
	s_add_i32 s5, s3, s26
	s_sub_i32 s33, s4, s5
	s_addk_i32 s33, 0xe00
	v_mov_b32_e32 v2, s4
	s_add_u32 s4, s26, s3
	s_addc_u32 s5, s27, 0
	s_cmp_eq_u32 s2, s14
	s_load_dwordx2 s[24:25], s[22:23], 0x0
	s_cselect_b64 s[22:23], -1, 0
	s_cmp_lg_u32 s2, s14
	s_mul_i32 s10, s2, 0xe00
	s_mov_b32 s11, 0
	v_cmp_lt_u64_e32 vcc, s[4:5], v[2:3]
	s_cselect_b64 s[4:5], -1, 0
	s_or_b64 s[28:29], s[4:5], vcc
	s_lshl_b64 s[30:31], s[10:11], 3
	s_add_u32 s10, s12, s30
	s_addc_u32 s11, s13, s31
	s_mov_b64 s[4:5], -1
	s_and_b64 vcc, exec, s[28:29]
	v_lshlrev_b32_e32 v18, 3, v0
	s_cbranch_vccz .LBB3244_2
; %bb.1:
	v_mov_b32_e32 v19, 0
	v_lshl_add_u64 v[2:3], s[10:11], 0, v[18:19]
	v_add_co_u32_e32 v4, vcc, 0x1000, v2
	s_mov_b64 s[4:5], 0
	s_nop 0
	v_addc_co_u32_e32 v5, vcc, 0, v3, vcc
	v_add_co_u32_e32 v6, vcc, 0x2000, v2
	s_nop 1
	v_addc_co_u32_e32 v7, vcc, 0, v3, vcc
	v_add_co_u32_e32 v8, vcc, 0x3000, v2
	s_nop 1
	v_addc_co_u32_e32 v9, vcc, 0, v3, vcc
	flat_load_dwordx2 v[10:11], v[2:3]
	flat_load_dwordx2 v[12:13], v[4:5]
	;; [unrolled: 1-line block ×4, first 2 shown]
	v_add_co_u32_e32 v4, vcc, 0x4000, v2
	s_nop 1
	v_addc_co_u32_e32 v5, vcc, 0, v3, vcc
	v_add_co_u32_e32 v6, vcc, 0x5000, v2
	s_nop 1
	v_addc_co_u32_e32 v7, vcc, 0, v3, vcc
	;; [unrolled: 3-line block ×3, first 2 shown]
	flat_load_dwordx2 v[8:9], v[4:5]
	flat_load_dwordx2 v[20:21], v[6:7]
	;; [unrolled: 1-line block ×3, first 2 shown]
	s_waitcnt vmcnt(0) lgkmcnt(0)
	ds_write2st64_b64 v18, v[10:11], v[12:13] offset1:8
	ds_write2st64_b64 v18, v[14:15], v[16:17] offset0:16 offset1:24
	ds_write2st64_b64 v18, v[8:9], v[20:21] offset0:32 offset1:40
	ds_write_b64 v18, v[22:23] offset:24576
	s_waitcnt lgkmcnt(0)
	s_barrier
.LBB3244_2:
	s_andn2_b64 vcc, exec, s[4:5]
	v_cmp_gt_u32_e64 s[4:5], s33, v0
	s_cbranch_vccnz .LBB3244_18
; %bb.3:
                                        ; implicit-def: $vgpr2_vgpr3_vgpr4_vgpr5_vgpr6_vgpr7_vgpr8_vgpr9_vgpr10_vgpr11_vgpr12_vgpr13_vgpr14_vgpr15_vgpr16_vgpr17
	s_and_saveexec_b64 s[12:13], s[4:5]
	s_cbranch_execz .LBB3244_5
; %bb.4:
	v_mov_b32_e32 v19, 0
	v_lshl_add_u64 v[2:3], s[10:11], 0, v[18:19]
	flat_load_dwordx2 v[2:3], v[2:3]
.LBB3244_5:
	s_or_b64 exec, exec, s[12:13]
	v_or_b32_e32 v1, 0x200, v0
	v_cmp_gt_u32_e32 vcc, s33, v1
	s_and_saveexec_b64 s[4:5], vcc
	s_cbranch_execz .LBB3244_7
; %bb.6:
	v_lshlrev_b32_e32 v4, 3, v1
	v_mov_b32_e32 v5, 0
	v_lshl_add_u64 v[4:5], s[10:11], 0, v[4:5]
	flat_load_dwordx2 v[4:5], v[4:5]
.LBB3244_7:
	s_or_b64 exec, exec, s[4:5]
	v_or_b32_e32 v1, 0x400, v0
	v_cmp_gt_u32_e32 vcc, s33, v1
	s_and_saveexec_b64 s[4:5], vcc
	s_cbranch_execz .LBB3244_9
; %bb.8:
	v_lshlrev_b32_e32 v6, 3, v1
	v_mov_b32_e32 v7, 0
	v_lshl_add_u64 v[6:7], s[10:11], 0, v[6:7]
	flat_load_dwordx2 v[6:7], v[6:7]
.LBB3244_9:
	;; [unrolled: 11-line block ×6, first 2 shown]
	s_or_b64 exec, exec, s[4:5]
	s_waitcnt vmcnt(0) lgkmcnt(0)
	ds_write2st64_b64 v18, v[2:3], v[4:5] offset1:8
	ds_write2st64_b64 v18, v[6:7], v[8:9] offset0:16 offset1:24
	ds_write2st64_b64 v18, v[10:11], v[12:13] offset0:32 offset1:40
	ds_write_b64 v18, v[14:15] offset:24576
	s_waitcnt lgkmcnt(0)
	s_barrier
.LBB3244_18:
	v_mul_u32_u24_e32 v1, 7, v0
	v_lshlrev_b32_e32 v16, 3, v1
	s_waitcnt lgkmcnt(0)
	ds_read2_b64 v[10:13], v16 offset1:1
	ds_read2_b64 v[6:9], v16 offset0:2 offset1:3
	ds_read2_b64 v[2:5], v16 offset0:4 offset1:5
	ds_read_b64 v[14:15], v16 offset:48
	s_add_u32 s3, s6, s8
	s_addc_u32 s5, s7, s9
	s_add_u32 s4, s3, s30
	s_addc_u32 s5, s5, s31
	s_mov_b64 s[6:7], -1
	s_and_b64 vcc, exec, s[28:29]
	s_waitcnt lgkmcnt(0)
	s_barrier
	s_cbranch_vccz .LBB3244_20
; %bb.19:
	v_mov_b32_e32 v19, 0
	v_lshl_add_u64 v[20:21], s[4:5], 0, v[18:19]
	v_add_co_u32_e32 v24, vcc, 0x1000, v20
	global_load_dwordx2 v[22:23], v18, s[4:5]
	s_nop 0
	v_addc_co_u32_e32 v25, vcc, 0, v21, vcc
	v_add_co_u32_e32 v26, vcc, 0x2000, v20
	s_mov_b64 s[6:7], 0
	s_nop 0
	v_addc_co_u32_e32 v27, vcc, 0, v21, vcc
	v_add_co_u32_e32 v28, vcc, 0x3000, v20
	s_waitcnt vmcnt(0)
	v_xor_b32_e32 v17, -1, v22
	v_addc_co_u32_e32 v29, vcc, 0, v21, vcc
	v_add_co_u32_e32 v30, vcc, 0x4000, v20
	v_and_b32_e32 v17, 1, v17
	s_nop 0
	v_addc_co_u32_e32 v31, vcc, 0, v21, vcc
	global_load_dwordx2 v[32:33], v[24:25], off
	global_load_dwordx2 v[34:35], v[26:27], off
	;; [unrolled: 1-line block ×4, first 2 shown]
	v_add_co_u32_e32 v24, vcc, 0x5000, v20
	ds_write_b8 v0, v17
	s_nop 0
	v_addc_co_u32_e32 v25, vcc, 0, v21, vcc
	v_add_co_u32_e32 v20, vcc, 0x6000, v20
	global_load_dwordx2 v[24:25], v[24:25], off
	s_nop 0
	v_addc_co_u32_e32 v21, vcc, 0, v21, vcc
	global_load_dwordx2 v[20:21], v[20:21], off
	s_waitcnt vmcnt(5)
	v_xor_b32_e32 v17, -1, v32
	v_and_b32_e32 v17, 1, v17
	s_waitcnt vmcnt(4)
	v_xor_b32_e32 v19, -1, v34
	s_waitcnt vmcnt(0)
	v_xor_b32_e32 v21, -1, v36
	v_and_b32_e32 v19, 1, v19
	ds_write_b8 v0, v17 offset:512
	v_and_b32_e32 v17, 1, v21
	v_xor_b32_e32 v21, -1, v38
	ds_write_b8 v0, v19 offset:1024
	v_and_b32_e32 v19, 1, v21
	ds_write_b8 v0, v17 offset:1536
	v_xor_b32_e32 v21, -1, v24
	v_and_b32_e32 v17, 1, v21
	ds_write_b8 v0, v19 offset:2048
	v_xor_b32_e32 v20, -1, v20
	v_and_b32_e32 v19, 1, v20
	ds_write_b8 v0, v17 offset:2560
	ds_write_b8 v0, v19 offset:3072
	s_waitcnt lgkmcnt(0)
	s_barrier
.LBB3244_20:
	s_load_dwordx2 s[34:35], s[0:1], 0x78
	s_andn2_b64 vcc, exec, s[6:7]
	s_cbranch_vccnz .LBB3244_36
; %bb.21:
	v_cmp_gt_u32_e32 vcc, s33, v0
	v_mov_b32_e32 v17, 0
	v_mov_b32_e32 v19, 0
	s_and_saveexec_b64 s[6:7], vcc
	s_cbranch_execz .LBB3244_23
; %bb.22:
	global_load_dwordx2 v[20:21], v18, s[4:5]
	s_waitcnt vmcnt(0)
	v_xor_b32_e32 v19, -1, v20
	v_and_b32_e32 v19, 1, v19
.LBB3244_23:
	s_or_b64 exec, exec, s[6:7]
	v_or_b32_e32 v20, 0x200, v0
	v_cmp_gt_u32_e32 vcc, s33, v20
	s_and_saveexec_b64 s[6:7], vcc
	s_cbranch_execz .LBB3244_25
; %bb.24:
	v_lshlrev_b32_e32 v17, 3, v20
	global_load_dwordx2 v[20:21], v17, s[4:5]
	s_waitcnt vmcnt(0)
	v_xor_b32_e32 v17, -1, v20
	v_and_b32_e32 v17, 1, v17
.LBB3244_25:
	s_or_b64 exec, exec, s[6:7]
	v_or_b32_e32 v22, 0x400, v0
	v_cmp_gt_u32_e32 vcc, s33, v22
	v_mov_b32_e32 v20, 0
	v_mov_b32_e32 v21, 0
	s_and_saveexec_b64 s[6:7], vcc
	s_cbranch_execz .LBB3244_27
; %bb.26:
	v_lshlrev_b32_e32 v21, 3, v22
	global_load_dwordx2 v[22:23], v21, s[4:5]
	s_waitcnt vmcnt(0)
	v_xor_b32_e32 v21, -1, v22
	v_and_b32_e32 v21, 1, v21
.LBB3244_27:
	s_or_b64 exec, exec, s[6:7]
	v_or_b32_e32 v22, 0x600, v0
	v_cmp_gt_u32_e32 vcc, s33, v22
	s_and_saveexec_b64 s[6:7], vcc
	s_cbranch_execz .LBB3244_29
; %bb.28:
	v_lshlrev_b32_e32 v20, 3, v22
	global_load_dwordx2 v[22:23], v20, s[4:5]
	s_waitcnt vmcnt(0)
	v_xor_b32_e32 v20, -1, v22
	v_and_b32_e32 v20, 1, v20
.LBB3244_29:
	s_or_b64 exec, exec, s[6:7]
	v_or_b32_e32 v24, 0x800, v0
	v_cmp_gt_u32_e32 vcc, s33, v24
	v_mov_b32_e32 v22, 0
	v_mov_b32_e32 v23, 0
	s_and_saveexec_b64 s[6:7], vcc
	s_cbranch_execz .LBB3244_31
; %bb.30:
	v_lshlrev_b32_e32 v23, 3, v24
	global_load_dwordx2 v[24:25], v23, s[4:5]
	s_waitcnt vmcnt(0)
	v_xor_b32_e32 v23, -1, v24
	v_and_b32_e32 v23, 1, v23
.LBB3244_31:
	s_or_b64 exec, exec, s[6:7]
	v_or_b32_e32 v24, 0xa00, v0
	v_cmp_gt_u32_e32 vcc, s33, v24
	s_and_saveexec_b64 s[6:7], vcc
	s_cbranch_execz .LBB3244_33
; %bb.32:
	v_lshlrev_b32_e32 v22, 3, v24
	global_load_dwordx2 v[24:25], v22, s[4:5]
	s_waitcnt vmcnt(0)
	v_xor_b32_e32 v22, -1, v24
	v_and_b32_e32 v22, 1, v22
.LBB3244_33:
	s_or_b64 exec, exec, s[6:7]
	v_or_b32_e32 v25, 0xc00, v0
	v_cmp_gt_u32_e32 vcc, s33, v25
	v_mov_b32_e32 v24, 0
	s_and_saveexec_b64 s[6:7], vcc
	s_cbranch_execz .LBB3244_35
; %bb.34:
	v_lshlrev_b32_e32 v24, 3, v25
	global_load_dwordx2 v[24:25], v24, s[4:5]
	s_waitcnt vmcnt(0)
	v_xor_b32_e32 v24, -1, v24
	v_and_b32_e32 v24, 1, v24
.LBB3244_35:
	s_or_b64 exec, exec, s[6:7]
	ds_write_b8 v0, v19
	ds_write_b8 v0, v17 offset:512
	ds_write_b8 v0, v21 offset:1024
	;; [unrolled: 1-line block ×6, first 2 shown]
	s_waitcnt lgkmcnt(0)
	s_barrier
.LBB3244_36:
	s_movk_i32 s3, 0xffcf
	v_mad_i32_i24 v35, v0, s3, v16
	s_waitcnt lgkmcnt(0)
	ds_read_u8 v16, v35
	ds_read_u8 v17, v35 offset:1
	ds_read_u8 v19, v35 offset:2
	;; [unrolled: 1-line block ×6, first 2 shown]
	s_waitcnt lgkmcnt(6)
	v_and_b32_e32 v33, 1, v16
	s_waitcnt lgkmcnt(5)
	v_and_b32_e32 v32, 1, v17
	s_waitcnt lgkmcnt(4)
	v_and_b32_e32 v31, 1, v19
	s_waitcnt lgkmcnt(3)
	v_and_b32_e32 v30, 1, v20
	s_waitcnt lgkmcnt(2)
	v_and_b32_e32 v29, 1, v21
	v_add3_u32 v16, v32, v33, v31
	s_waitcnt lgkmcnt(1)
	v_and_b32_e32 v28, 1, v22
	s_waitcnt lgkmcnt(0)
	v_and_b32_e32 v19, 1, v23
	v_add3_u32 v16, v16, v30, v29
	v_add3_u32 v37, v16, v28, v19
	v_mbcnt_lo_u32_b32 v16, -1, 0
	v_mbcnt_hi_u32_b32 v34, -1, v16
	v_and_b32_e32 v16, 15, v34
	v_cmp_eq_u32_e64 s[14:15], 0, v16
	v_cmp_lt_u32_e64 s[12:13], 1, v16
	v_cmp_lt_u32_e64 s[10:11], 3, v16
	;; [unrolled: 1-line block ×3, first 2 shown]
	v_and_b32_e32 v16, 16, v34
	v_cmp_eq_u32_e64 s[6:7], 0, v16
	v_or_b32_e32 v16, 63, v0
	s_cmp_lg_u32 s2, 0
	v_cmp_lt_u32_e64 s[18:19], 31, v34
	v_lshrrev_b32_e32 v36, 6, v0
	v_cmp_eq_u32_e64 s[4:5], v16, v0
	s_barrier
	s_cbranch_scc0 .LBB3244_67
; %bb.37:
	v_mov_b32_dpp v16, v37 row_shr:1 row_mask:0xf bank_mask:0xf
	v_cndmask_b32_e64 v16, v16, 0, s[14:15]
	v_add_u32_e32 v16, v16, v37
	s_nop 1
	v_mov_b32_dpp v17, v16 row_shr:2 row_mask:0xf bank_mask:0xf
	v_cndmask_b32_e64 v17, 0, v17, s[12:13]
	v_add_u32_e32 v16, v16, v17
	s_nop 1
	;; [unrolled: 4-line block ×4, first 2 shown]
	v_mov_b32_dpp v17, v16 row_bcast:15 row_mask:0xf bank_mask:0xf
	v_cndmask_b32_e64 v17, v17, 0, s[6:7]
	v_add_u32_e32 v16, v16, v17
	s_nop 1
	v_mov_b32_dpp v17, v16 row_bcast:31 row_mask:0xf bank_mask:0xf
	v_cndmask_b32_e64 v17, 0, v17, s[18:19]
	v_add_u32_e32 v16, v16, v17
	s_and_saveexec_b64 s[16:17], s[4:5]
	s_cbranch_execz .LBB3244_39
; %bb.38:
	v_lshlrev_b32_e32 v17, 2, v36
	ds_write_b32 v17, v16
.LBB3244_39:
	s_or_b64 exec, exec, s[16:17]
	v_cmp_gt_u32_e32 vcc, 8, v0
	s_waitcnt lgkmcnt(0)
	s_barrier
	s_and_saveexec_b64 s[16:17], vcc
	s_cbranch_execz .LBB3244_41
; %bb.40:
	v_lshlrev_b32_e32 v17, 2, v0
	ds_read_b32 v20, v17
	v_and_b32_e32 v21, 7, v34
	v_cmp_ne_u32_e32 vcc, 0, v21
	s_waitcnt lgkmcnt(0)
	v_mov_b32_dpp v22, v20 row_shr:1 row_mask:0xf bank_mask:0xf
	v_cndmask_b32_e32 v22, 0, v22, vcc
	v_add_u32_e32 v20, v22, v20
	v_cmp_lt_u32_e32 vcc, 1, v21
	s_nop 0
	v_mov_b32_dpp v22, v20 row_shr:2 row_mask:0xf bank_mask:0xf
	v_cndmask_b32_e32 v22, 0, v22, vcc
	v_add_u32_e32 v20, v20, v22
	v_cmp_lt_u32_e32 vcc, 3, v21
	s_nop 0
	v_mov_b32_dpp v22, v20 row_shr:4 row_mask:0xf bank_mask:0xf
	v_cndmask_b32_e32 v21, 0, v22, vcc
	v_add_u32_e32 v20, v20, v21
	ds_write_b32 v17, v20
.LBB3244_41:
	s_or_b64 exec, exec, s[16:17]
	v_cmp_gt_u32_e32 vcc, 64, v0
	v_cmp_lt_u32_e64 s[16:17], 63, v0
	s_waitcnt lgkmcnt(0)
	s_barrier
	s_waitcnt lgkmcnt(0)
                                        ; implicit-def: $vgpr38
	s_and_saveexec_b64 s[36:37], s[16:17]
	s_cbranch_execz .LBB3244_43
; %bb.42:
	v_lshl_add_u32 v17, v36, 2, -4
	ds_read_b32 v38, v17
	s_waitcnt lgkmcnt(0)
	v_add_u32_e32 v16, v38, v16
.LBB3244_43:
	s_or_b64 exec, exec, s[36:37]
	v_add_u32_e32 v17, -1, v34
	v_and_b32_e32 v20, 64, v34
	v_cmp_lt_i32_e64 s[16:17], v17, v20
	s_nop 1
	v_cndmask_b32_e64 v17, v17, v34, s[16:17]
	v_lshlrev_b32_e32 v17, 2, v17
	ds_bpermute_b32 v39, v17, v16
	v_cmp_eq_u32_e64 s[16:17], 0, v34
	s_and_saveexec_b64 s[36:37], vcc
	s_cbranch_execz .LBB3244_66
; %bb.44:
	v_mov_b32_e32 v27, 0
	ds_read_b32 v16, v27 offset:28
	s_and_saveexec_b64 s[38:39], s[16:17]
	s_cbranch_execz .LBB3244_46
; %bb.45:
	s_add_i32 s40, s2, 64
	s_mov_b32 s41, 0
	s_lshl_b64 s[40:41], s[40:41], 3
	s_add_u32 s40, s34, s40
	v_mov_b32_e32 v17, 1
	s_addc_u32 s41, s35, s41
	s_waitcnt lgkmcnt(0)
	global_store_dwordx2 v27, v[16:17], s[40:41] sc1
.LBB3244_46:
	s_or_b64 exec, exec, s[38:39]
	v_xad_u32 v20, v34, -1, s2
	v_add_u32_e32 v26, 64, v20
	v_lshl_add_u64 v[22:23], v[26:27], 3, s[34:35]
	global_load_dwordx2 v[24:25], v[22:23], off sc1
	s_waitcnt vmcnt(0)
	v_cmp_eq_u16_sdwa s[40:41], v25, v27 src0_sel:BYTE_0 src1_sel:DWORD
	s_and_saveexec_b64 s[38:39], s[40:41]
	s_cbranch_execz .LBB3244_52
; %bb.47:
	s_mov_b32 s3, 1
	s_mov_b64 s[40:41], 0
	v_mov_b32_e32 v17, 0
.LBB3244_48:                            ; =>This Loop Header: Depth=1
                                        ;     Child Loop BB3244_49 Depth 2
	s_max_u32 s42, s3, 1
.LBB3244_49:                            ;   Parent Loop BB3244_48 Depth=1
                                        ; =>  This Inner Loop Header: Depth=2
	s_add_i32 s42, s42, -1
	s_cmp_eq_u32 s42, 0
	s_sleep 1
	s_cbranch_scc0 .LBB3244_49
; %bb.50:                               ;   in Loop: Header=BB3244_48 Depth=1
	global_load_dwordx2 v[24:25], v[22:23], off sc1
	s_cmp_lt_u32 s3, 32
	s_cselect_b64 s[42:43], -1, 0
	s_cmp_lg_u64 s[42:43], 0
	s_addc_u32 s3, s3, 0
	s_waitcnt vmcnt(0)
	v_cmp_ne_u16_sdwa s[42:43], v25, v17 src0_sel:BYTE_0 src1_sel:DWORD
	s_or_b64 s[40:41], s[42:43], s[40:41]
	s_andn2_b64 exec, exec, s[40:41]
	s_cbranch_execnz .LBB3244_48
; %bb.51:
	s_or_b64 exec, exec, s[40:41]
.LBB3244_52:
	s_or_b64 exec, exec, s[38:39]
	v_and_b32_e32 v41, 63, v34
	v_mov_b32_e32 v40, 2
	v_cmp_ne_u32_e32 vcc, 63, v41
	v_cmp_eq_u16_sdwa s[38:39], v25, v40 src0_sel:BYTE_0 src1_sel:DWORD
	v_lshlrev_b64 v[22:23], v34, -1
	v_addc_co_u32_e32 v26, vcc, 0, v34, vcc
	v_and_b32_e32 v17, s39, v23
	v_lshlrev_b32_e32 v42, 2, v26
	v_or_b32_e32 v17, 0x80000000, v17
	ds_bpermute_b32 v26, v42, v24
	v_and_b32_e32 v21, s38, v22
	v_ffbl_b32_e32 v17, v17
	v_add_u32_e32 v17, 32, v17
	v_ffbl_b32_e32 v21, v21
	v_min_u32_e32 v17, v21, v17
	v_cmp_lt_u32_e32 vcc, v41, v17
	v_add_u32_e32 v44, 2, v41
	v_add_u32_e32 v46, 4, v41
	s_waitcnt lgkmcnt(0)
	v_cndmask_b32_e32 v21, 0, v26, vcc
	v_cmp_gt_u32_e32 vcc, 62, v41
	v_add_u32_e32 v21, v21, v24
	v_add_u32_e32 v48, 8, v41
	v_cndmask_b32_e64 v24, 0, 1, vcc
	v_lshlrev_b32_e32 v24, 1, v24
	v_add_lshl_u32 v43, v24, v34, 2
	ds_bpermute_b32 v24, v43, v21
	v_cmp_le_u32_e32 vcc, v44, v17
	v_add_u32_e32 v50, 16, v41
	v_add_u32_e32 v52, 32, v41
	s_waitcnt lgkmcnt(0)
	v_cndmask_b32_e32 v24, 0, v24, vcc
	v_cmp_gt_u32_e32 vcc, 60, v41
	v_add_u32_e32 v21, v21, v24
	s_nop 0
	v_cndmask_b32_e64 v24, 0, 1, vcc
	v_lshlrev_b32_e32 v24, 2, v24
	v_add_lshl_u32 v45, v24, v34, 2
	ds_bpermute_b32 v24, v45, v21
	v_cmp_le_u32_e32 vcc, v46, v17
	s_waitcnt lgkmcnt(0)
	s_nop 0
	v_cndmask_b32_e32 v24, 0, v24, vcc
	v_cmp_gt_u32_e32 vcc, 56, v41
	v_add_u32_e32 v21, v21, v24
	s_nop 0
	v_cndmask_b32_e64 v24, 0, 1, vcc
	v_lshlrev_b32_e32 v24, 3, v24
	v_add_lshl_u32 v47, v24, v34, 2
	ds_bpermute_b32 v24, v47, v21
	v_cmp_le_u32_e32 vcc, v48, v17
	s_waitcnt lgkmcnt(0)
	s_nop 0
	;; [unrolled: 11-line block ×4, first 2 shown]
	v_cndmask_b32_e32 v17, 0, v24, vcc
	v_add_u32_e32 v24, v21, v17
	v_mov_b32_e32 v21, 0
	s_branch .LBB3244_54
.LBB3244_53:                            ;   in Loop: Header=BB3244_54 Depth=1
	s_or_b64 exec, exec, s[38:39]
	v_cmp_eq_u16_sdwa s[38:39], v25, v40 src0_sel:BYTE_0 src1_sel:DWORD
	ds_bpermute_b32 v53, v42, v24
	v_subrev_u32_e32 v20, 64, v20
	v_and_b32_e32 v26, s39, v23
	v_or_b32_e32 v26, 0x80000000, v26
	v_and_b32_e32 v27, s38, v22
	v_ffbl_b32_e32 v26, v26
	v_add_u32_e32 v26, 32, v26
	v_ffbl_b32_e32 v27, v27
	v_min_u32_e32 v26, v27, v26
	v_cmp_lt_u32_e32 vcc, v41, v26
	s_waitcnt lgkmcnt(0)
	s_nop 0
	v_cndmask_b32_e32 v27, 0, v53, vcc
	v_add_u32_e32 v24, v27, v24
	ds_bpermute_b32 v27, v43, v24
	v_cmp_le_u32_e32 vcc, v44, v26
	s_waitcnt lgkmcnt(0)
	s_nop 0
	v_cndmask_b32_e32 v27, 0, v27, vcc
	v_add_u32_e32 v24, v24, v27
	ds_bpermute_b32 v27, v45, v24
	v_cmp_le_u32_e32 vcc, v46, v26
	;; [unrolled: 6-line block ×5, first 2 shown]
	s_waitcnt lgkmcnt(0)
	s_nop 0
	v_cndmask_b32_e32 v26, 0, v27, vcc
	v_add3_u32 v24, v26, v17, v24
.LBB3244_54:                            ; =>This Loop Header: Depth=1
                                        ;     Child Loop BB3244_57 Depth 2
                                        ;       Child Loop BB3244_58 Depth 3
	v_cmp_ne_u16_sdwa s[38:39], v25, v40 src0_sel:BYTE_0 src1_sel:DWORD
	s_nop 1
	v_cndmask_b32_e64 v17, 0, 1, s[38:39]
	;;#ASMSTART
	;;#ASMEND
	s_nop 0
	v_cmp_ne_u32_e32 vcc, 0, v17
	s_cmp_lg_u64 vcc, exec
	v_mov_b32_e32 v17, v24
	s_cbranch_scc1 .LBB3244_61
; %bb.55:                               ;   in Loop: Header=BB3244_54 Depth=1
	v_lshl_add_u64 v[26:27], v[20:21], 3, s[34:35]
	global_load_dwordx2 v[24:25], v[26:27], off sc1
	s_waitcnt vmcnt(0)
	v_cmp_eq_u16_sdwa s[40:41], v25, v21 src0_sel:BYTE_0 src1_sel:DWORD
	s_and_saveexec_b64 s[38:39], s[40:41]
	s_cbranch_execz .LBB3244_53
; %bb.56:                               ;   in Loop: Header=BB3244_54 Depth=1
	s_mov_b32 s3, 1
	s_mov_b64 s[40:41], 0
.LBB3244_57:                            ;   Parent Loop BB3244_54 Depth=1
                                        ; =>  This Loop Header: Depth=2
                                        ;       Child Loop BB3244_58 Depth 3
	s_max_u32 s42, s3, 1
.LBB3244_58:                            ;   Parent Loop BB3244_54 Depth=1
                                        ;     Parent Loop BB3244_57 Depth=2
                                        ; =>    This Inner Loop Header: Depth=3
	s_add_i32 s42, s42, -1
	s_cmp_eq_u32 s42, 0
	s_sleep 1
	s_cbranch_scc0 .LBB3244_58
; %bb.59:                               ;   in Loop: Header=BB3244_57 Depth=2
	global_load_dwordx2 v[24:25], v[26:27], off sc1
	s_cmp_lt_u32 s3, 32
	s_cselect_b64 s[42:43], -1, 0
	s_cmp_lg_u64 s[42:43], 0
	s_addc_u32 s3, s3, 0
	s_waitcnt vmcnt(0)
	v_cmp_ne_u16_sdwa s[42:43], v25, v21 src0_sel:BYTE_0 src1_sel:DWORD
	s_or_b64 s[40:41], s[42:43], s[40:41]
	s_andn2_b64 exec, exec, s[40:41]
	s_cbranch_execnz .LBB3244_57
; %bb.60:                               ;   in Loop: Header=BB3244_54 Depth=1
	s_or_b64 exec, exec, s[40:41]
	s_branch .LBB3244_53
.LBB3244_61:                            ;   in Loop: Header=BB3244_54 Depth=1
                                        ; implicit-def: $vgpr24
                                        ; implicit-def: $vgpr25
	s_cbranch_execz .LBB3244_54
; %bb.62:
	s_and_saveexec_b64 s[38:39], s[16:17]
	s_cbranch_execz .LBB3244_64
; %bb.63:
	s_add_i32 s2, s2, 64
	s_mov_b32 s3, 0
	s_lshl_b64 s[2:3], s[2:3], 3
	s_add_u32 s2, s34, s2
	v_add_u32_e32 v20, v17, v16
	v_mov_b32_e32 v21, 2
	s_addc_u32 s3, s35, s3
	v_mov_b32_e32 v22, 0
	global_store_dwordx2 v22, v[20:21], s[2:3] sc1
	ds_write_b64 v22, v[16:17] offset:28672
.LBB3244_64:
	s_or_b64 exec, exec, s[38:39]
	v_cmp_eq_u32_e32 vcc, 0, v0
	s_and_b64 exec, exec, vcc
	s_cbranch_execz .LBB3244_66
; %bb.65:
	v_mov_b32_e32 v16, 0
	ds_write_b32 v16, v17 offset:28
.LBB3244_66:
	s_or_b64 exec, exec, s[36:37]
	v_mov_b32_e32 v16, 0
	s_waitcnt lgkmcnt(0)
	s_barrier
	ds_read_b32 v17, v16 offset:28
	v_cndmask_b32_e64 v20, v39, v38, s[16:17]
	v_cmp_ne_u32_e32 vcc, 0, v0
	s_waitcnt lgkmcnt(0)
	s_barrier
	v_cndmask_b32_e32 v20, 0, v20, vcc
	v_add_u32_e32 v27, v17, v20
	v_add_u32_e32 v26, v27, v33
	ds_read_b64 v[16:17], v16 offset:28672
	v_add_u32_e32 v25, v26, v32
	v_add_u32_e32 v23, v25, v31
	v_add_u32_e32 v24, v23, v30
	v_add_u32_e32 v21, v24, v29
	v_add_u32_e32 v20, v21, v28
	s_waitcnt lgkmcnt(0)
	v_mov_b32_e32 v22, v17
	s_branch .LBB3244_77
.LBB3244_67:
                                        ; implicit-def: $vgpr22
                                        ; implicit-def: $vgpr16
                                        ; implicit-def: $vgpr20
                                        ; implicit-def: $vgpr21
                                        ; implicit-def: $vgpr24
                                        ; implicit-def: $vgpr23
                                        ; implicit-def: $vgpr25
                                        ; implicit-def: $vgpr26
                                        ; implicit-def: $vgpr27
	s_cbranch_execz .LBB3244_77
; %bb.68:
	s_nop 0
	v_mov_b32_dpp v16, v37 row_shr:1 row_mask:0xf bank_mask:0xf
	v_cndmask_b32_e64 v16, v16, 0, s[14:15]
	v_add_u32_e32 v16, v16, v37
	s_nop 1
	v_mov_b32_dpp v17, v16 row_shr:2 row_mask:0xf bank_mask:0xf
	v_cndmask_b32_e64 v17, 0, v17, s[12:13]
	v_add_u32_e32 v16, v16, v17
	;; [unrolled: 4-line block ×4, first 2 shown]
	s_nop 1
	v_mov_b32_dpp v17, v16 row_bcast:15 row_mask:0xf bank_mask:0xf
	v_cndmask_b32_e64 v17, v17, 0, s[6:7]
	v_add_u32_e32 v16, v16, v17
	s_nop 1
	v_mov_b32_dpp v17, v16 row_bcast:31 row_mask:0xf bank_mask:0xf
	v_cndmask_b32_e64 v17, 0, v17, s[18:19]
	v_add_u32_e32 v16, v16, v17
	s_and_saveexec_b64 s[2:3], s[4:5]
	s_cbranch_execz .LBB3244_70
; %bb.69:
	v_lshlrev_b32_e32 v17, 2, v36
	ds_write_b32 v17, v16
.LBB3244_70:
	s_or_b64 exec, exec, s[2:3]
	v_cmp_gt_u32_e32 vcc, 8, v0
	s_waitcnt lgkmcnt(0)
	s_barrier
	s_and_saveexec_b64 s[2:3], vcc
	s_cbranch_execz .LBB3244_72
; %bb.71:
	v_mad_i32_i24 v17, v0, -3, v35
	ds_read_b32 v20, v17
	v_and_b32_e32 v21, 7, v34
	v_cmp_ne_u32_e32 vcc, 0, v21
	s_waitcnt lgkmcnt(0)
	v_mov_b32_dpp v22, v20 row_shr:1 row_mask:0xf bank_mask:0xf
	v_cndmask_b32_e32 v22, 0, v22, vcc
	v_add_u32_e32 v20, v22, v20
	v_cmp_lt_u32_e32 vcc, 1, v21
	s_nop 0
	v_mov_b32_dpp v22, v20 row_shr:2 row_mask:0xf bank_mask:0xf
	v_cndmask_b32_e32 v22, 0, v22, vcc
	v_add_u32_e32 v20, v20, v22
	v_cmp_lt_u32_e32 vcc, 3, v21
	s_nop 0
	v_mov_b32_dpp v22, v20 row_shr:4 row_mask:0xf bank_mask:0xf
	v_cndmask_b32_e32 v21, 0, v22, vcc
	v_add_u32_e32 v20, v20, v21
	ds_write_b32 v17, v20
.LBB3244_72:
	s_or_b64 exec, exec, s[2:3]
	v_cmp_lt_u32_e32 vcc, 63, v0
	v_mov_b32_e32 v17, 0
	v_mov_b32_e32 v20, 0
	s_waitcnt lgkmcnt(0)
	s_barrier
	s_and_saveexec_b64 s[2:3], vcc
	s_cbranch_execz .LBB3244_74
; %bb.73:
	v_lshl_add_u32 v20, v36, 2, -4
	ds_read_b32 v20, v20
.LBB3244_74:
	s_or_b64 exec, exec, s[2:3]
	v_add_u32_e32 v21, -1, v34
	v_and_b32_e32 v22, 64, v34
	v_cmp_lt_i32_e32 vcc, v21, v22
	s_waitcnt lgkmcnt(0)
	v_add_u32_e32 v16, v20, v16
	v_cndmask_b32_e32 v21, v21, v34, vcc
	v_lshlrev_b32_e32 v21, 2, v21
	ds_bpermute_b32 v21, v21, v16
	ds_read_b32 v16, v17 offset:28
	v_cmp_eq_u32_e32 vcc, 0, v0
	s_and_saveexec_b64 s[2:3], vcc
	s_cbranch_execz .LBB3244_76
; %bb.75:
	v_mov_b32_e32 v22, 0
	v_mov_b32_e32 v17, 2
	s_waitcnt lgkmcnt(0)
	global_store_dwordx2 v22, v[16:17], s[34:35] offset:512 sc1
.LBB3244_76:
	s_or_b64 exec, exec, s[2:3]
	v_cmp_eq_u32_e64 s[2:3], 0, v34
	v_mov_b32_e32 v22, 0
	s_waitcnt lgkmcnt(0)
	v_cndmask_b32_e64 v17, v21, v20, s[2:3]
	v_cndmask_b32_e64 v27, v17, 0, vcc
	v_add_u32_e32 v26, v27, v33
	v_add_u32_e32 v25, v26, v32
	;; [unrolled: 1-line block ×6, first 2 shown]
	s_barrier
.LBB3244_77:
	v_add_u32_e32 v1, v16, v1
	v_sub_u32_e32 v17, v27, v22
	v_sub_u32_e32 v27, v1, v17
	v_cmp_eq_u32_e32 vcc, 1, v33
	s_load_dwordx2 s[0:1], s[0:1], 0x40
	s_nop 0
	v_cndmask_b32_e32 v17, v27, v17, vcc
	v_lshlrev_b32_e32 v17, 3, v17
	ds_write_b64 v17, v[10:11]
	v_sub_u32_e32 v10, v26, v22
	v_sub_u32_e32 v11, v1, v10
	v_add_u32_e32 v11, 1, v11
	v_cmp_eq_u32_e32 vcc, 1, v32
	v_or_b32_e32 v27, 0x200, v0
	v_or_b32_e32 v26, 0x400, v0
	v_cndmask_b32_e32 v10, v11, v10, vcc
	v_lshlrev_b32_e32 v10, 3, v10
	ds_write_b64 v10, v[12:13]
	v_sub_u32_e32 v10, v25, v22
	v_sub_u32_e32 v11, v1, v10
	v_add_u32_e32 v11, 2, v11
	v_cmp_eq_u32_e32 vcc, 1, v31
	v_or_b32_e32 v25, 0x600, v0
	s_nop 0
	v_cndmask_b32_e32 v10, v11, v10, vcc
	v_lshlrev_b32_e32 v10, 3, v10
	ds_write_b64 v10, v[6:7]
	v_sub_u32_e32 v6, v23, v22
	v_sub_u32_e32 v7, v1, v6
	v_add_u32_e32 v7, 3, v7
	v_cmp_eq_u32_e32 vcc, 1, v30
	v_mov_b32_e32 v23, 0
	v_mov_b32_e32 v17, v23
	v_cndmask_b32_e32 v6, v7, v6, vcc
	v_lshlrev_b32_e32 v6, 3, v6
	ds_write_b64 v6, v[8:9]
	v_sub_u32_e32 v6, v24, v22
	v_sub_u32_e32 v7, v1, v6
	v_add_u32_e32 v7, 4, v7
	v_cmp_eq_u32_e32 vcc, 1, v29
	v_or_b32_e32 v24, 0x800, v0
	s_nop 0
	v_cndmask_b32_e32 v6, v7, v6, vcc
	v_lshlrev_b32_e32 v6, 3, v6
	ds_write_b64 v6, v[2:3]
	v_sub_u32_e32 v2, v21, v22
	v_sub_u32_e32 v3, v1, v2
	v_add_u32_e32 v3, 5, v3
	v_cmp_eq_u32_e32 vcc, 1, v28
	s_nop 1
	v_cndmask_b32_e32 v2, v3, v2, vcc
	v_lshlrev_b32_e32 v2, 3, v2
	ds_write_b64 v2, v[4:5]
	v_sub_u32_e32 v2, v20, v22
	v_sub_u32_e32 v1, v1, v2
	v_add_u32_e32 v1, 6, v1
	v_cmp_eq_u32_e32 vcc, 1, v19
	v_or_b32_e32 v19, 0xa00, v0
	s_nop 0
	v_cndmask_b32_e32 v1, v1, v2, vcc
	v_lshlrev_b32_e32 v1, 3, v1
	ds_write_b64 v1, v[14:15]
	v_lshl_add_u64 v[14:15], s[24:25], 0, v[16:17]
	v_lshl_add_u64 v[14:15], v[14:15], 0, v[22:23]
	s_waitcnt lgkmcnt(0)
	s_barrier
	ds_read2st64_b64 v[10:13], v18 offset1:8
	ds_read2st64_b64 v[6:9], v18 offset0:16 offset1:24
	ds_read2st64_b64 v[2:5], v18 offset0:32 offset1:40
	ds_read_b64 v[20:21], v18 offset:24576
	v_mov_b32_e32 v17, s27
	v_sub_co_u32_e32 v22, vcc, s26, v14
	v_or_b32_e32 v1, 0xc00, v0
	s_nop 0
	v_subb_co_u32_e32 v23, vcc, v17, v15, vcc
	v_lshlrev_b64 v[22:23], 3, v[22:23]
	v_lshl_add_u64 v[22:23], s[0:1], 0, v[22:23]
	v_lshl_add_u64 v[22:23], v[22:23], 0, s[30:31]
	s_andn2_b64 vcc, exec, s[28:29]
	v_cmp_ge_u32_e64 s[0:1], v0, v16
	s_cbranch_vccnz .LBB3244_86
; %bb.78:
	s_and_saveexec_b64 s[2:3], s[0:1]
	s_cbranch_execnz .LBB3244_105
; %bb.79:
	s_or_b64 exec, exec, s[2:3]
	v_cmp_ge_u32_e32 vcc, v27, v16
	s_and_saveexec_b64 s[0:1], vcc
	s_cbranch_execnz .LBB3244_106
.LBB3244_80:
	s_or_b64 exec, exec, s[0:1]
	v_cmp_ge_u32_e32 vcc, v26, v16
	s_and_saveexec_b64 s[0:1], vcc
	s_cbranch_execnz .LBB3244_107
.LBB3244_81:
	s_or_b64 exec, exec, s[0:1]
	v_cmp_ge_u32_e32 vcc, v25, v16
	s_and_saveexec_b64 s[0:1], vcc
	s_cbranch_execnz .LBB3244_108
.LBB3244_82:
	s_or_b64 exec, exec, s[0:1]
	v_cmp_ge_u32_e32 vcc, v24, v16
	s_and_saveexec_b64 s[0:1], vcc
	s_cbranch_execnz .LBB3244_109
.LBB3244_83:
	s_or_b64 exec, exec, s[0:1]
	v_cmp_ge_u32_e32 vcc, v19, v16
	s_and_saveexec_b64 s[0:1], vcc
	s_cbranch_execz .LBB3244_85
.LBB3244_84:
	v_lshlrev_b32_e32 v17, 3, v19
	v_readfirstlane_b32 s2, v22
	v_readfirstlane_b32 s3, v23
	s_waitcnt lgkmcnt(1)
	s_nop 3
	global_store_dwordx2 v17, v[4:5], s[2:3]
.LBB3244_85:
	s_or_b64 exec, exec, s[0:1]
	v_cmp_ge_u32_e64 s[0:1], v1, v16
	s_branch .LBB3244_100
.LBB3244_86:
	s_mov_b64 s[0:1], 0
	s_cbranch_execz .LBB3244_100
; %bb.87:
	v_cmp_gt_u32_e32 vcc, s33, v0
	v_cmp_ge_u32_e64 s[0:1], v0, v16
	s_and_b64 s[2:3], vcc, s[0:1]
	s_and_saveexec_b64 s[0:1], s[2:3]
	s_cbranch_execz .LBB3244_89
; %bb.88:
	v_readfirstlane_b32 s2, v22
	v_readfirstlane_b32 s3, v23
	s_waitcnt lgkmcnt(3)
	s_nop 3
	global_store_dwordx2 v18, v[10:11], s[2:3]
.LBB3244_89:
	s_or_b64 exec, exec, s[0:1]
	v_cmp_gt_u32_e32 vcc, s33, v27
	v_cmp_ge_u32_e64 s[0:1], v27, v16
	s_and_b64 s[2:3], vcc, s[0:1]
	s_and_saveexec_b64 s[0:1], s[2:3]
	s_cbranch_execz .LBB3244_91
; %bb.90:
	s_waitcnt lgkmcnt(3)
	v_lshlrev_b32_e32 v10, 3, v27
	v_readfirstlane_b32 s2, v22
	v_readfirstlane_b32 s3, v23
	s_nop 4
	global_store_dwordx2 v10, v[12:13], s[2:3]
.LBB3244_91:
	s_or_b64 exec, exec, s[0:1]
	v_cmp_gt_u32_e32 vcc, s33, v26
	v_cmp_ge_u32_e64 s[0:1], v26, v16
	s_and_b64 s[2:3], vcc, s[0:1]
	s_and_saveexec_b64 s[0:1], s[2:3]
	s_cbranch_execz .LBB3244_93
; %bb.92:
	s_waitcnt lgkmcnt(3)
	v_lshlrev_b32_e32 v10, 3, v26
	v_readfirstlane_b32 s2, v22
	v_readfirstlane_b32 s3, v23
	s_waitcnt lgkmcnt(2)
	s_nop 3
	global_store_dwordx2 v10, v[6:7], s[2:3]
.LBB3244_93:
	s_or_b64 exec, exec, s[0:1]
	v_cmp_gt_u32_e32 vcc, s33, v25
	v_cmp_ge_u32_e64 s[0:1], v25, v16
	s_and_b64 s[2:3], vcc, s[0:1]
	s_and_saveexec_b64 s[0:1], s[2:3]
	s_cbranch_execz .LBB3244_95
; %bb.94:
	s_waitcnt lgkmcnt(2)
	v_lshlrev_b32_e32 v6, 3, v25
	v_readfirstlane_b32 s2, v22
	v_readfirstlane_b32 s3, v23
	s_nop 4
	global_store_dwordx2 v6, v[8:9], s[2:3]
.LBB3244_95:
	s_or_b64 exec, exec, s[0:1]
	v_cmp_gt_u32_e32 vcc, s33, v24
	v_cmp_ge_u32_e64 s[0:1], v24, v16
	s_and_b64 s[2:3], vcc, s[0:1]
	s_and_saveexec_b64 s[0:1], s[2:3]
	s_cbranch_execz .LBB3244_97
; %bb.96:
	s_waitcnt lgkmcnt(2)
	v_lshlrev_b32_e32 v6, 3, v24
	v_readfirstlane_b32 s2, v22
	v_readfirstlane_b32 s3, v23
	s_waitcnt lgkmcnt(1)
	s_nop 3
	global_store_dwordx2 v6, v[2:3], s[2:3]
.LBB3244_97:
	s_or_b64 exec, exec, s[0:1]
	v_cmp_gt_u32_e32 vcc, s33, v19
	v_cmp_ge_u32_e64 s[0:1], v19, v16
	s_and_b64 s[2:3], vcc, s[0:1]
	s_and_saveexec_b64 s[0:1], s[2:3]
	s_cbranch_execz .LBB3244_99
; %bb.98:
	s_waitcnt lgkmcnt(1)
	v_lshlrev_b32_e32 v2, 3, v19
	v_readfirstlane_b32 s2, v22
	v_readfirstlane_b32 s3, v23
	s_nop 4
	global_store_dwordx2 v2, v[4:5], s[2:3]
.LBB3244_99:
	s_or_b64 exec, exec, s[0:1]
	v_cmp_gt_u32_e32 vcc, s33, v1
	v_cmp_ge_u32_e64 s[0:1], v1, v16
	s_and_b64 s[0:1], vcc, s[0:1]
.LBB3244_100:
	s_and_saveexec_b64 s[2:3], s[0:1]
	s_cbranch_execz .LBB3244_102
; %bb.101:
	v_lshlrev_b32_e32 v1, 3, v1
	v_readfirstlane_b32 s0, v22
	v_readfirstlane_b32 s1, v23
	s_waitcnt lgkmcnt(0)
	s_nop 3
	global_store_dwordx2 v1, v[20:21], s[0:1]
.LBB3244_102:
	s_or_b64 exec, exec, s[2:3]
	v_cmp_eq_u32_e32 vcc, 0, v0
	s_and_b64 s[0:1], vcc, s[22:23]
	s_and_saveexec_b64 s[2:3], s[0:1]
	s_cbranch_execz .LBB3244_104
; %bb.103:
	v_mov_b32_e32 v0, 0
	global_store_dwordx2 v0, v[14:15], s[20:21]
.LBB3244_104:
	s_endpgm
.LBB3244_105:
	v_readfirstlane_b32 s0, v22
	v_readfirstlane_b32 s1, v23
	s_waitcnt lgkmcnt(3)
	s_nop 3
	global_store_dwordx2 v18, v[10:11], s[0:1]
	s_or_b64 exec, exec, s[2:3]
	v_cmp_ge_u32_e32 vcc, v27, v16
	s_and_saveexec_b64 s[0:1], vcc
	s_cbranch_execz .LBB3244_80
.LBB3244_106:
	v_lshlrev_b32_e32 v17, 3, v27
	v_readfirstlane_b32 s2, v22
	v_readfirstlane_b32 s3, v23
	s_waitcnt lgkmcnt(3)
	s_nop 3
	global_store_dwordx2 v17, v[12:13], s[2:3]
	s_or_b64 exec, exec, s[0:1]
	v_cmp_ge_u32_e32 vcc, v26, v16
	s_and_saveexec_b64 s[0:1], vcc
	s_cbranch_execz .LBB3244_81
.LBB3244_107:
	v_lshlrev_b32_e32 v17, 3, v26
	v_readfirstlane_b32 s2, v22
	v_readfirstlane_b32 s3, v23
	s_waitcnt lgkmcnt(2)
	s_nop 3
	global_store_dwordx2 v17, v[6:7], s[2:3]
	s_or_b64 exec, exec, s[0:1]
	v_cmp_ge_u32_e32 vcc, v25, v16
	s_and_saveexec_b64 s[0:1], vcc
	s_cbranch_execz .LBB3244_82
.LBB3244_108:
	v_lshlrev_b32_e32 v17, 3, v25
	v_readfirstlane_b32 s2, v22
	v_readfirstlane_b32 s3, v23
	s_waitcnt lgkmcnt(2)
	s_nop 3
	global_store_dwordx2 v17, v[8:9], s[2:3]
	s_or_b64 exec, exec, s[0:1]
	v_cmp_ge_u32_e32 vcc, v24, v16
	s_and_saveexec_b64 s[0:1], vcc
	s_cbranch_execz .LBB3244_83
.LBB3244_109:
	v_lshlrev_b32_e32 v17, 3, v24
	v_readfirstlane_b32 s2, v22
	v_readfirstlane_b32 s3, v23
	s_waitcnt lgkmcnt(1)
	s_nop 3
	global_store_dwordx2 v17, v[2:3], s[2:3]
	s_or_b64 exec, exec, s[0:1]
	v_cmp_ge_u32_e32 vcc, v19, v16
	s_and_saveexec_b64 s[0:1], vcc
	s_cbranch_execnz .LBB3244_84
	s_branch .LBB3244_85
	.section	.rodata,"a",@progbits
	.p2align	6, 0x0
	.amdhsa_kernel _ZN7rocprim17ROCPRIM_400000_NS6detail17trampoline_kernelINS0_14default_configENS1_25partition_config_selectorILNS1_17partition_subalgoE1ExNS0_10empty_typeEbEEZZNS1_14partition_implILS5_1ELb0ES3_jN6thrust23THRUST_200600_302600_NS6detail15normal_iteratorINSA_10device_ptrIxEEEEPS6_NSA_18transform_iteratorI7is_evenIxESF_NSA_11use_defaultESK_EENS0_5tupleIJNSA_16discard_iteratorISK_EESF_EEENSM_IJSG_SG_EEES6_PlJS6_EEE10hipError_tPvRmT3_T4_T5_T6_T7_T9_mT8_P12ihipStream_tbDpT10_ENKUlT_T0_E_clISt17integral_constantIbLb1EES1A_IbLb0EEEEDaS16_S17_EUlS16_E_NS1_11comp_targetILNS1_3genE5ELNS1_11target_archE942ELNS1_3gpuE9ELNS1_3repE0EEENS1_30default_config_static_selectorELNS0_4arch9wavefront6targetE1EEEvT1_
		.amdhsa_group_segment_fixed_size 28680
		.amdhsa_private_segment_fixed_size 0
		.amdhsa_kernarg_size 136
		.amdhsa_user_sgpr_count 2
		.amdhsa_user_sgpr_dispatch_ptr 0
		.amdhsa_user_sgpr_queue_ptr 0
		.amdhsa_user_sgpr_kernarg_segment_ptr 1
		.amdhsa_user_sgpr_dispatch_id 0
		.amdhsa_user_sgpr_kernarg_preload_length 0
		.amdhsa_user_sgpr_kernarg_preload_offset 0
		.amdhsa_user_sgpr_private_segment_size 0
		.amdhsa_uses_dynamic_stack 0
		.amdhsa_enable_private_segment 0
		.amdhsa_system_sgpr_workgroup_id_x 1
		.amdhsa_system_sgpr_workgroup_id_y 0
		.amdhsa_system_sgpr_workgroup_id_z 0
		.amdhsa_system_sgpr_workgroup_info 0
		.amdhsa_system_vgpr_workitem_id 0
		.amdhsa_next_free_vgpr 54
		.amdhsa_next_free_sgpr 44
		.amdhsa_accum_offset 56
		.amdhsa_reserve_vcc 1
		.amdhsa_float_round_mode_32 0
		.amdhsa_float_round_mode_16_64 0
		.amdhsa_float_denorm_mode_32 3
		.amdhsa_float_denorm_mode_16_64 3
		.amdhsa_dx10_clamp 1
		.amdhsa_ieee_mode 1
		.amdhsa_fp16_overflow 0
		.amdhsa_tg_split 0
		.amdhsa_exception_fp_ieee_invalid_op 0
		.amdhsa_exception_fp_denorm_src 0
		.amdhsa_exception_fp_ieee_div_zero 0
		.amdhsa_exception_fp_ieee_overflow 0
		.amdhsa_exception_fp_ieee_underflow 0
		.amdhsa_exception_fp_ieee_inexact 0
		.amdhsa_exception_int_div_zero 0
	.end_amdhsa_kernel
	.section	.text._ZN7rocprim17ROCPRIM_400000_NS6detail17trampoline_kernelINS0_14default_configENS1_25partition_config_selectorILNS1_17partition_subalgoE1ExNS0_10empty_typeEbEEZZNS1_14partition_implILS5_1ELb0ES3_jN6thrust23THRUST_200600_302600_NS6detail15normal_iteratorINSA_10device_ptrIxEEEEPS6_NSA_18transform_iteratorI7is_evenIxESF_NSA_11use_defaultESK_EENS0_5tupleIJNSA_16discard_iteratorISK_EESF_EEENSM_IJSG_SG_EEES6_PlJS6_EEE10hipError_tPvRmT3_T4_T5_T6_T7_T9_mT8_P12ihipStream_tbDpT10_ENKUlT_T0_E_clISt17integral_constantIbLb1EES1A_IbLb0EEEEDaS16_S17_EUlS16_E_NS1_11comp_targetILNS1_3genE5ELNS1_11target_archE942ELNS1_3gpuE9ELNS1_3repE0EEENS1_30default_config_static_selectorELNS0_4arch9wavefront6targetE1EEEvT1_,"axG",@progbits,_ZN7rocprim17ROCPRIM_400000_NS6detail17trampoline_kernelINS0_14default_configENS1_25partition_config_selectorILNS1_17partition_subalgoE1ExNS0_10empty_typeEbEEZZNS1_14partition_implILS5_1ELb0ES3_jN6thrust23THRUST_200600_302600_NS6detail15normal_iteratorINSA_10device_ptrIxEEEEPS6_NSA_18transform_iteratorI7is_evenIxESF_NSA_11use_defaultESK_EENS0_5tupleIJNSA_16discard_iteratorISK_EESF_EEENSM_IJSG_SG_EEES6_PlJS6_EEE10hipError_tPvRmT3_T4_T5_T6_T7_T9_mT8_P12ihipStream_tbDpT10_ENKUlT_T0_E_clISt17integral_constantIbLb1EES1A_IbLb0EEEEDaS16_S17_EUlS16_E_NS1_11comp_targetILNS1_3genE5ELNS1_11target_archE942ELNS1_3gpuE9ELNS1_3repE0EEENS1_30default_config_static_selectorELNS0_4arch9wavefront6targetE1EEEvT1_,comdat
.Lfunc_end3244:
	.size	_ZN7rocprim17ROCPRIM_400000_NS6detail17trampoline_kernelINS0_14default_configENS1_25partition_config_selectorILNS1_17partition_subalgoE1ExNS0_10empty_typeEbEEZZNS1_14partition_implILS5_1ELb0ES3_jN6thrust23THRUST_200600_302600_NS6detail15normal_iteratorINSA_10device_ptrIxEEEEPS6_NSA_18transform_iteratorI7is_evenIxESF_NSA_11use_defaultESK_EENS0_5tupleIJNSA_16discard_iteratorISK_EESF_EEENSM_IJSG_SG_EEES6_PlJS6_EEE10hipError_tPvRmT3_T4_T5_T6_T7_T9_mT8_P12ihipStream_tbDpT10_ENKUlT_T0_E_clISt17integral_constantIbLb1EES1A_IbLb0EEEEDaS16_S17_EUlS16_E_NS1_11comp_targetILNS1_3genE5ELNS1_11target_archE942ELNS1_3gpuE9ELNS1_3repE0EEENS1_30default_config_static_selectorELNS0_4arch9wavefront6targetE1EEEvT1_, .Lfunc_end3244-_ZN7rocprim17ROCPRIM_400000_NS6detail17trampoline_kernelINS0_14default_configENS1_25partition_config_selectorILNS1_17partition_subalgoE1ExNS0_10empty_typeEbEEZZNS1_14partition_implILS5_1ELb0ES3_jN6thrust23THRUST_200600_302600_NS6detail15normal_iteratorINSA_10device_ptrIxEEEEPS6_NSA_18transform_iteratorI7is_evenIxESF_NSA_11use_defaultESK_EENS0_5tupleIJNSA_16discard_iteratorISK_EESF_EEENSM_IJSG_SG_EEES6_PlJS6_EEE10hipError_tPvRmT3_T4_T5_T6_T7_T9_mT8_P12ihipStream_tbDpT10_ENKUlT_T0_E_clISt17integral_constantIbLb1EES1A_IbLb0EEEEDaS16_S17_EUlS16_E_NS1_11comp_targetILNS1_3genE5ELNS1_11target_archE942ELNS1_3gpuE9ELNS1_3repE0EEENS1_30default_config_static_selectorELNS0_4arch9wavefront6targetE1EEEvT1_
                                        ; -- End function
	.section	.AMDGPU.csdata,"",@progbits
; Kernel info:
; codeLenInByte = 5064
; NumSgprs: 50
; NumVgprs: 54
; NumAgprs: 0
; TotalNumVgprs: 54
; ScratchSize: 0
; MemoryBound: 0
; FloatMode: 240
; IeeeMode: 1
; LDSByteSize: 28680 bytes/workgroup (compile time only)
; SGPRBlocks: 6
; VGPRBlocks: 6
; NumSGPRsForWavesPerEU: 50
; NumVGPRsForWavesPerEU: 54
; AccumOffset: 56
; Occupancy: 4
; WaveLimiterHint : 1
; COMPUTE_PGM_RSRC2:SCRATCH_EN: 0
; COMPUTE_PGM_RSRC2:USER_SGPR: 2
; COMPUTE_PGM_RSRC2:TRAP_HANDLER: 0
; COMPUTE_PGM_RSRC2:TGID_X_EN: 1
; COMPUTE_PGM_RSRC2:TGID_Y_EN: 0
; COMPUTE_PGM_RSRC2:TGID_Z_EN: 0
; COMPUTE_PGM_RSRC2:TIDIG_COMP_CNT: 0
; COMPUTE_PGM_RSRC3_GFX90A:ACCUM_OFFSET: 13
; COMPUTE_PGM_RSRC3_GFX90A:TG_SPLIT: 0
	.section	.text._ZN7rocprim17ROCPRIM_400000_NS6detail17trampoline_kernelINS0_14default_configENS1_25partition_config_selectorILNS1_17partition_subalgoE1ExNS0_10empty_typeEbEEZZNS1_14partition_implILS5_1ELb0ES3_jN6thrust23THRUST_200600_302600_NS6detail15normal_iteratorINSA_10device_ptrIxEEEEPS6_NSA_18transform_iteratorI7is_evenIxESF_NSA_11use_defaultESK_EENS0_5tupleIJNSA_16discard_iteratorISK_EESF_EEENSM_IJSG_SG_EEES6_PlJS6_EEE10hipError_tPvRmT3_T4_T5_T6_T7_T9_mT8_P12ihipStream_tbDpT10_ENKUlT_T0_E_clISt17integral_constantIbLb1EES1A_IbLb0EEEEDaS16_S17_EUlS16_E_NS1_11comp_targetILNS1_3genE4ELNS1_11target_archE910ELNS1_3gpuE8ELNS1_3repE0EEENS1_30default_config_static_selectorELNS0_4arch9wavefront6targetE1EEEvT1_,"axG",@progbits,_ZN7rocprim17ROCPRIM_400000_NS6detail17trampoline_kernelINS0_14default_configENS1_25partition_config_selectorILNS1_17partition_subalgoE1ExNS0_10empty_typeEbEEZZNS1_14partition_implILS5_1ELb0ES3_jN6thrust23THRUST_200600_302600_NS6detail15normal_iteratorINSA_10device_ptrIxEEEEPS6_NSA_18transform_iteratorI7is_evenIxESF_NSA_11use_defaultESK_EENS0_5tupleIJNSA_16discard_iteratorISK_EESF_EEENSM_IJSG_SG_EEES6_PlJS6_EEE10hipError_tPvRmT3_T4_T5_T6_T7_T9_mT8_P12ihipStream_tbDpT10_ENKUlT_T0_E_clISt17integral_constantIbLb1EES1A_IbLb0EEEEDaS16_S17_EUlS16_E_NS1_11comp_targetILNS1_3genE4ELNS1_11target_archE910ELNS1_3gpuE8ELNS1_3repE0EEENS1_30default_config_static_selectorELNS0_4arch9wavefront6targetE1EEEvT1_,comdat
	.protected	_ZN7rocprim17ROCPRIM_400000_NS6detail17trampoline_kernelINS0_14default_configENS1_25partition_config_selectorILNS1_17partition_subalgoE1ExNS0_10empty_typeEbEEZZNS1_14partition_implILS5_1ELb0ES3_jN6thrust23THRUST_200600_302600_NS6detail15normal_iteratorINSA_10device_ptrIxEEEEPS6_NSA_18transform_iteratorI7is_evenIxESF_NSA_11use_defaultESK_EENS0_5tupleIJNSA_16discard_iteratorISK_EESF_EEENSM_IJSG_SG_EEES6_PlJS6_EEE10hipError_tPvRmT3_T4_T5_T6_T7_T9_mT8_P12ihipStream_tbDpT10_ENKUlT_T0_E_clISt17integral_constantIbLb1EES1A_IbLb0EEEEDaS16_S17_EUlS16_E_NS1_11comp_targetILNS1_3genE4ELNS1_11target_archE910ELNS1_3gpuE8ELNS1_3repE0EEENS1_30default_config_static_selectorELNS0_4arch9wavefront6targetE1EEEvT1_ ; -- Begin function _ZN7rocprim17ROCPRIM_400000_NS6detail17trampoline_kernelINS0_14default_configENS1_25partition_config_selectorILNS1_17partition_subalgoE1ExNS0_10empty_typeEbEEZZNS1_14partition_implILS5_1ELb0ES3_jN6thrust23THRUST_200600_302600_NS6detail15normal_iteratorINSA_10device_ptrIxEEEEPS6_NSA_18transform_iteratorI7is_evenIxESF_NSA_11use_defaultESK_EENS0_5tupleIJNSA_16discard_iteratorISK_EESF_EEENSM_IJSG_SG_EEES6_PlJS6_EEE10hipError_tPvRmT3_T4_T5_T6_T7_T9_mT8_P12ihipStream_tbDpT10_ENKUlT_T0_E_clISt17integral_constantIbLb1EES1A_IbLb0EEEEDaS16_S17_EUlS16_E_NS1_11comp_targetILNS1_3genE4ELNS1_11target_archE910ELNS1_3gpuE8ELNS1_3repE0EEENS1_30default_config_static_selectorELNS0_4arch9wavefront6targetE1EEEvT1_
	.globl	_ZN7rocprim17ROCPRIM_400000_NS6detail17trampoline_kernelINS0_14default_configENS1_25partition_config_selectorILNS1_17partition_subalgoE1ExNS0_10empty_typeEbEEZZNS1_14partition_implILS5_1ELb0ES3_jN6thrust23THRUST_200600_302600_NS6detail15normal_iteratorINSA_10device_ptrIxEEEEPS6_NSA_18transform_iteratorI7is_evenIxESF_NSA_11use_defaultESK_EENS0_5tupleIJNSA_16discard_iteratorISK_EESF_EEENSM_IJSG_SG_EEES6_PlJS6_EEE10hipError_tPvRmT3_T4_T5_T6_T7_T9_mT8_P12ihipStream_tbDpT10_ENKUlT_T0_E_clISt17integral_constantIbLb1EES1A_IbLb0EEEEDaS16_S17_EUlS16_E_NS1_11comp_targetILNS1_3genE4ELNS1_11target_archE910ELNS1_3gpuE8ELNS1_3repE0EEENS1_30default_config_static_selectorELNS0_4arch9wavefront6targetE1EEEvT1_
	.p2align	8
	.type	_ZN7rocprim17ROCPRIM_400000_NS6detail17trampoline_kernelINS0_14default_configENS1_25partition_config_selectorILNS1_17partition_subalgoE1ExNS0_10empty_typeEbEEZZNS1_14partition_implILS5_1ELb0ES3_jN6thrust23THRUST_200600_302600_NS6detail15normal_iteratorINSA_10device_ptrIxEEEEPS6_NSA_18transform_iteratorI7is_evenIxESF_NSA_11use_defaultESK_EENS0_5tupleIJNSA_16discard_iteratorISK_EESF_EEENSM_IJSG_SG_EEES6_PlJS6_EEE10hipError_tPvRmT3_T4_T5_T6_T7_T9_mT8_P12ihipStream_tbDpT10_ENKUlT_T0_E_clISt17integral_constantIbLb1EES1A_IbLb0EEEEDaS16_S17_EUlS16_E_NS1_11comp_targetILNS1_3genE4ELNS1_11target_archE910ELNS1_3gpuE8ELNS1_3repE0EEENS1_30default_config_static_selectorELNS0_4arch9wavefront6targetE1EEEvT1_,@function
_ZN7rocprim17ROCPRIM_400000_NS6detail17trampoline_kernelINS0_14default_configENS1_25partition_config_selectorILNS1_17partition_subalgoE1ExNS0_10empty_typeEbEEZZNS1_14partition_implILS5_1ELb0ES3_jN6thrust23THRUST_200600_302600_NS6detail15normal_iteratorINSA_10device_ptrIxEEEEPS6_NSA_18transform_iteratorI7is_evenIxESF_NSA_11use_defaultESK_EENS0_5tupleIJNSA_16discard_iteratorISK_EESF_EEENSM_IJSG_SG_EEES6_PlJS6_EEE10hipError_tPvRmT3_T4_T5_T6_T7_T9_mT8_P12ihipStream_tbDpT10_ENKUlT_T0_E_clISt17integral_constantIbLb1EES1A_IbLb0EEEEDaS16_S17_EUlS16_E_NS1_11comp_targetILNS1_3genE4ELNS1_11target_archE910ELNS1_3gpuE8ELNS1_3repE0EEENS1_30default_config_static_selectorELNS0_4arch9wavefront6targetE1EEEvT1_: ; @_ZN7rocprim17ROCPRIM_400000_NS6detail17trampoline_kernelINS0_14default_configENS1_25partition_config_selectorILNS1_17partition_subalgoE1ExNS0_10empty_typeEbEEZZNS1_14partition_implILS5_1ELb0ES3_jN6thrust23THRUST_200600_302600_NS6detail15normal_iteratorINSA_10device_ptrIxEEEEPS6_NSA_18transform_iteratorI7is_evenIxESF_NSA_11use_defaultESK_EENS0_5tupleIJNSA_16discard_iteratorISK_EESF_EEENSM_IJSG_SG_EEES6_PlJS6_EEE10hipError_tPvRmT3_T4_T5_T6_T7_T9_mT8_P12ihipStream_tbDpT10_ENKUlT_T0_E_clISt17integral_constantIbLb1EES1A_IbLb0EEEEDaS16_S17_EUlS16_E_NS1_11comp_targetILNS1_3genE4ELNS1_11target_archE910ELNS1_3gpuE8ELNS1_3repE0EEENS1_30default_config_static_selectorELNS0_4arch9wavefront6targetE1EEEvT1_
; %bb.0:
	.section	.rodata,"a",@progbits
	.p2align	6, 0x0
	.amdhsa_kernel _ZN7rocprim17ROCPRIM_400000_NS6detail17trampoline_kernelINS0_14default_configENS1_25partition_config_selectorILNS1_17partition_subalgoE1ExNS0_10empty_typeEbEEZZNS1_14partition_implILS5_1ELb0ES3_jN6thrust23THRUST_200600_302600_NS6detail15normal_iteratorINSA_10device_ptrIxEEEEPS6_NSA_18transform_iteratorI7is_evenIxESF_NSA_11use_defaultESK_EENS0_5tupleIJNSA_16discard_iteratorISK_EESF_EEENSM_IJSG_SG_EEES6_PlJS6_EEE10hipError_tPvRmT3_T4_T5_T6_T7_T9_mT8_P12ihipStream_tbDpT10_ENKUlT_T0_E_clISt17integral_constantIbLb1EES1A_IbLb0EEEEDaS16_S17_EUlS16_E_NS1_11comp_targetILNS1_3genE4ELNS1_11target_archE910ELNS1_3gpuE8ELNS1_3repE0EEENS1_30default_config_static_selectorELNS0_4arch9wavefront6targetE1EEEvT1_
		.amdhsa_group_segment_fixed_size 0
		.amdhsa_private_segment_fixed_size 0
		.amdhsa_kernarg_size 136
		.amdhsa_user_sgpr_count 2
		.amdhsa_user_sgpr_dispatch_ptr 0
		.amdhsa_user_sgpr_queue_ptr 0
		.amdhsa_user_sgpr_kernarg_segment_ptr 1
		.amdhsa_user_sgpr_dispatch_id 0
		.amdhsa_user_sgpr_kernarg_preload_length 0
		.amdhsa_user_sgpr_kernarg_preload_offset 0
		.amdhsa_user_sgpr_private_segment_size 0
		.amdhsa_uses_dynamic_stack 0
		.amdhsa_enable_private_segment 0
		.amdhsa_system_sgpr_workgroup_id_x 1
		.amdhsa_system_sgpr_workgroup_id_y 0
		.amdhsa_system_sgpr_workgroup_id_z 0
		.amdhsa_system_sgpr_workgroup_info 0
		.amdhsa_system_vgpr_workitem_id 0
		.amdhsa_next_free_vgpr 1
		.amdhsa_next_free_sgpr 0
		.amdhsa_accum_offset 4
		.amdhsa_reserve_vcc 0
		.amdhsa_float_round_mode_32 0
		.amdhsa_float_round_mode_16_64 0
		.amdhsa_float_denorm_mode_32 3
		.amdhsa_float_denorm_mode_16_64 3
		.amdhsa_dx10_clamp 1
		.amdhsa_ieee_mode 1
		.amdhsa_fp16_overflow 0
		.amdhsa_tg_split 0
		.amdhsa_exception_fp_ieee_invalid_op 0
		.amdhsa_exception_fp_denorm_src 0
		.amdhsa_exception_fp_ieee_div_zero 0
		.amdhsa_exception_fp_ieee_overflow 0
		.amdhsa_exception_fp_ieee_underflow 0
		.amdhsa_exception_fp_ieee_inexact 0
		.amdhsa_exception_int_div_zero 0
	.end_amdhsa_kernel
	.section	.text._ZN7rocprim17ROCPRIM_400000_NS6detail17trampoline_kernelINS0_14default_configENS1_25partition_config_selectorILNS1_17partition_subalgoE1ExNS0_10empty_typeEbEEZZNS1_14partition_implILS5_1ELb0ES3_jN6thrust23THRUST_200600_302600_NS6detail15normal_iteratorINSA_10device_ptrIxEEEEPS6_NSA_18transform_iteratorI7is_evenIxESF_NSA_11use_defaultESK_EENS0_5tupleIJNSA_16discard_iteratorISK_EESF_EEENSM_IJSG_SG_EEES6_PlJS6_EEE10hipError_tPvRmT3_T4_T5_T6_T7_T9_mT8_P12ihipStream_tbDpT10_ENKUlT_T0_E_clISt17integral_constantIbLb1EES1A_IbLb0EEEEDaS16_S17_EUlS16_E_NS1_11comp_targetILNS1_3genE4ELNS1_11target_archE910ELNS1_3gpuE8ELNS1_3repE0EEENS1_30default_config_static_selectorELNS0_4arch9wavefront6targetE1EEEvT1_,"axG",@progbits,_ZN7rocprim17ROCPRIM_400000_NS6detail17trampoline_kernelINS0_14default_configENS1_25partition_config_selectorILNS1_17partition_subalgoE1ExNS0_10empty_typeEbEEZZNS1_14partition_implILS5_1ELb0ES3_jN6thrust23THRUST_200600_302600_NS6detail15normal_iteratorINSA_10device_ptrIxEEEEPS6_NSA_18transform_iteratorI7is_evenIxESF_NSA_11use_defaultESK_EENS0_5tupleIJNSA_16discard_iteratorISK_EESF_EEENSM_IJSG_SG_EEES6_PlJS6_EEE10hipError_tPvRmT3_T4_T5_T6_T7_T9_mT8_P12ihipStream_tbDpT10_ENKUlT_T0_E_clISt17integral_constantIbLb1EES1A_IbLb0EEEEDaS16_S17_EUlS16_E_NS1_11comp_targetILNS1_3genE4ELNS1_11target_archE910ELNS1_3gpuE8ELNS1_3repE0EEENS1_30default_config_static_selectorELNS0_4arch9wavefront6targetE1EEEvT1_,comdat
.Lfunc_end3245:
	.size	_ZN7rocprim17ROCPRIM_400000_NS6detail17trampoline_kernelINS0_14default_configENS1_25partition_config_selectorILNS1_17partition_subalgoE1ExNS0_10empty_typeEbEEZZNS1_14partition_implILS5_1ELb0ES3_jN6thrust23THRUST_200600_302600_NS6detail15normal_iteratorINSA_10device_ptrIxEEEEPS6_NSA_18transform_iteratorI7is_evenIxESF_NSA_11use_defaultESK_EENS0_5tupleIJNSA_16discard_iteratorISK_EESF_EEENSM_IJSG_SG_EEES6_PlJS6_EEE10hipError_tPvRmT3_T4_T5_T6_T7_T9_mT8_P12ihipStream_tbDpT10_ENKUlT_T0_E_clISt17integral_constantIbLb1EES1A_IbLb0EEEEDaS16_S17_EUlS16_E_NS1_11comp_targetILNS1_3genE4ELNS1_11target_archE910ELNS1_3gpuE8ELNS1_3repE0EEENS1_30default_config_static_selectorELNS0_4arch9wavefront6targetE1EEEvT1_, .Lfunc_end3245-_ZN7rocprim17ROCPRIM_400000_NS6detail17trampoline_kernelINS0_14default_configENS1_25partition_config_selectorILNS1_17partition_subalgoE1ExNS0_10empty_typeEbEEZZNS1_14partition_implILS5_1ELb0ES3_jN6thrust23THRUST_200600_302600_NS6detail15normal_iteratorINSA_10device_ptrIxEEEEPS6_NSA_18transform_iteratorI7is_evenIxESF_NSA_11use_defaultESK_EENS0_5tupleIJNSA_16discard_iteratorISK_EESF_EEENSM_IJSG_SG_EEES6_PlJS6_EEE10hipError_tPvRmT3_T4_T5_T6_T7_T9_mT8_P12ihipStream_tbDpT10_ENKUlT_T0_E_clISt17integral_constantIbLb1EES1A_IbLb0EEEEDaS16_S17_EUlS16_E_NS1_11comp_targetILNS1_3genE4ELNS1_11target_archE910ELNS1_3gpuE8ELNS1_3repE0EEENS1_30default_config_static_selectorELNS0_4arch9wavefront6targetE1EEEvT1_
                                        ; -- End function
	.section	.AMDGPU.csdata,"",@progbits
; Kernel info:
; codeLenInByte = 0
; NumSgprs: 6
; NumVgprs: 0
; NumAgprs: 0
; TotalNumVgprs: 0
; ScratchSize: 0
; MemoryBound: 0
; FloatMode: 240
; IeeeMode: 1
; LDSByteSize: 0 bytes/workgroup (compile time only)
; SGPRBlocks: 0
; VGPRBlocks: 0
; NumSGPRsForWavesPerEU: 6
; NumVGPRsForWavesPerEU: 1
; AccumOffset: 4
; Occupancy: 8
; WaveLimiterHint : 0
; COMPUTE_PGM_RSRC2:SCRATCH_EN: 0
; COMPUTE_PGM_RSRC2:USER_SGPR: 2
; COMPUTE_PGM_RSRC2:TRAP_HANDLER: 0
; COMPUTE_PGM_RSRC2:TGID_X_EN: 1
; COMPUTE_PGM_RSRC2:TGID_Y_EN: 0
; COMPUTE_PGM_RSRC2:TGID_Z_EN: 0
; COMPUTE_PGM_RSRC2:TIDIG_COMP_CNT: 0
; COMPUTE_PGM_RSRC3_GFX90A:ACCUM_OFFSET: 0
; COMPUTE_PGM_RSRC3_GFX90A:TG_SPLIT: 0
	.section	.text._ZN7rocprim17ROCPRIM_400000_NS6detail17trampoline_kernelINS0_14default_configENS1_25partition_config_selectorILNS1_17partition_subalgoE1ExNS0_10empty_typeEbEEZZNS1_14partition_implILS5_1ELb0ES3_jN6thrust23THRUST_200600_302600_NS6detail15normal_iteratorINSA_10device_ptrIxEEEEPS6_NSA_18transform_iteratorI7is_evenIxESF_NSA_11use_defaultESK_EENS0_5tupleIJNSA_16discard_iteratorISK_EESF_EEENSM_IJSG_SG_EEES6_PlJS6_EEE10hipError_tPvRmT3_T4_T5_T6_T7_T9_mT8_P12ihipStream_tbDpT10_ENKUlT_T0_E_clISt17integral_constantIbLb1EES1A_IbLb0EEEEDaS16_S17_EUlS16_E_NS1_11comp_targetILNS1_3genE3ELNS1_11target_archE908ELNS1_3gpuE7ELNS1_3repE0EEENS1_30default_config_static_selectorELNS0_4arch9wavefront6targetE1EEEvT1_,"axG",@progbits,_ZN7rocprim17ROCPRIM_400000_NS6detail17trampoline_kernelINS0_14default_configENS1_25partition_config_selectorILNS1_17partition_subalgoE1ExNS0_10empty_typeEbEEZZNS1_14partition_implILS5_1ELb0ES3_jN6thrust23THRUST_200600_302600_NS6detail15normal_iteratorINSA_10device_ptrIxEEEEPS6_NSA_18transform_iteratorI7is_evenIxESF_NSA_11use_defaultESK_EENS0_5tupleIJNSA_16discard_iteratorISK_EESF_EEENSM_IJSG_SG_EEES6_PlJS6_EEE10hipError_tPvRmT3_T4_T5_T6_T7_T9_mT8_P12ihipStream_tbDpT10_ENKUlT_T0_E_clISt17integral_constantIbLb1EES1A_IbLb0EEEEDaS16_S17_EUlS16_E_NS1_11comp_targetILNS1_3genE3ELNS1_11target_archE908ELNS1_3gpuE7ELNS1_3repE0EEENS1_30default_config_static_selectorELNS0_4arch9wavefront6targetE1EEEvT1_,comdat
	.protected	_ZN7rocprim17ROCPRIM_400000_NS6detail17trampoline_kernelINS0_14default_configENS1_25partition_config_selectorILNS1_17partition_subalgoE1ExNS0_10empty_typeEbEEZZNS1_14partition_implILS5_1ELb0ES3_jN6thrust23THRUST_200600_302600_NS6detail15normal_iteratorINSA_10device_ptrIxEEEEPS6_NSA_18transform_iteratorI7is_evenIxESF_NSA_11use_defaultESK_EENS0_5tupleIJNSA_16discard_iteratorISK_EESF_EEENSM_IJSG_SG_EEES6_PlJS6_EEE10hipError_tPvRmT3_T4_T5_T6_T7_T9_mT8_P12ihipStream_tbDpT10_ENKUlT_T0_E_clISt17integral_constantIbLb1EES1A_IbLb0EEEEDaS16_S17_EUlS16_E_NS1_11comp_targetILNS1_3genE3ELNS1_11target_archE908ELNS1_3gpuE7ELNS1_3repE0EEENS1_30default_config_static_selectorELNS0_4arch9wavefront6targetE1EEEvT1_ ; -- Begin function _ZN7rocprim17ROCPRIM_400000_NS6detail17trampoline_kernelINS0_14default_configENS1_25partition_config_selectorILNS1_17partition_subalgoE1ExNS0_10empty_typeEbEEZZNS1_14partition_implILS5_1ELb0ES3_jN6thrust23THRUST_200600_302600_NS6detail15normal_iteratorINSA_10device_ptrIxEEEEPS6_NSA_18transform_iteratorI7is_evenIxESF_NSA_11use_defaultESK_EENS0_5tupleIJNSA_16discard_iteratorISK_EESF_EEENSM_IJSG_SG_EEES6_PlJS6_EEE10hipError_tPvRmT3_T4_T5_T6_T7_T9_mT8_P12ihipStream_tbDpT10_ENKUlT_T0_E_clISt17integral_constantIbLb1EES1A_IbLb0EEEEDaS16_S17_EUlS16_E_NS1_11comp_targetILNS1_3genE3ELNS1_11target_archE908ELNS1_3gpuE7ELNS1_3repE0EEENS1_30default_config_static_selectorELNS0_4arch9wavefront6targetE1EEEvT1_
	.globl	_ZN7rocprim17ROCPRIM_400000_NS6detail17trampoline_kernelINS0_14default_configENS1_25partition_config_selectorILNS1_17partition_subalgoE1ExNS0_10empty_typeEbEEZZNS1_14partition_implILS5_1ELb0ES3_jN6thrust23THRUST_200600_302600_NS6detail15normal_iteratorINSA_10device_ptrIxEEEEPS6_NSA_18transform_iteratorI7is_evenIxESF_NSA_11use_defaultESK_EENS0_5tupleIJNSA_16discard_iteratorISK_EESF_EEENSM_IJSG_SG_EEES6_PlJS6_EEE10hipError_tPvRmT3_T4_T5_T6_T7_T9_mT8_P12ihipStream_tbDpT10_ENKUlT_T0_E_clISt17integral_constantIbLb1EES1A_IbLb0EEEEDaS16_S17_EUlS16_E_NS1_11comp_targetILNS1_3genE3ELNS1_11target_archE908ELNS1_3gpuE7ELNS1_3repE0EEENS1_30default_config_static_selectorELNS0_4arch9wavefront6targetE1EEEvT1_
	.p2align	8
	.type	_ZN7rocprim17ROCPRIM_400000_NS6detail17trampoline_kernelINS0_14default_configENS1_25partition_config_selectorILNS1_17partition_subalgoE1ExNS0_10empty_typeEbEEZZNS1_14partition_implILS5_1ELb0ES3_jN6thrust23THRUST_200600_302600_NS6detail15normal_iteratorINSA_10device_ptrIxEEEEPS6_NSA_18transform_iteratorI7is_evenIxESF_NSA_11use_defaultESK_EENS0_5tupleIJNSA_16discard_iteratorISK_EESF_EEENSM_IJSG_SG_EEES6_PlJS6_EEE10hipError_tPvRmT3_T4_T5_T6_T7_T9_mT8_P12ihipStream_tbDpT10_ENKUlT_T0_E_clISt17integral_constantIbLb1EES1A_IbLb0EEEEDaS16_S17_EUlS16_E_NS1_11comp_targetILNS1_3genE3ELNS1_11target_archE908ELNS1_3gpuE7ELNS1_3repE0EEENS1_30default_config_static_selectorELNS0_4arch9wavefront6targetE1EEEvT1_,@function
_ZN7rocprim17ROCPRIM_400000_NS6detail17trampoline_kernelINS0_14default_configENS1_25partition_config_selectorILNS1_17partition_subalgoE1ExNS0_10empty_typeEbEEZZNS1_14partition_implILS5_1ELb0ES3_jN6thrust23THRUST_200600_302600_NS6detail15normal_iteratorINSA_10device_ptrIxEEEEPS6_NSA_18transform_iteratorI7is_evenIxESF_NSA_11use_defaultESK_EENS0_5tupleIJNSA_16discard_iteratorISK_EESF_EEENSM_IJSG_SG_EEES6_PlJS6_EEE10hipError_tPvRmT3_T4_T5_T6_T7_T9_mT8_P12ihipStream_tbDpT10_ENKUlT_T0_E_clISt17integral_constantIbLb1EES1A_IbLb0EEEEDaS16_S17_EUlS16_E_NS1_11comp_targetILNS1_3genE3ELNS1_11target_archE908ELNS1_3gpuE7ELNS1_3repE0EEENS1_30default_config_static_selectorELNS0_4arch9wavefront6targetE1EEEvT1_: ; @_ZN7rocprim17ROCPRIM_400000_NS6detail17trampoline_kernelINS0_14default_configENS1_25partition_config_selectorILNS1_17partition_subalgoE1ExNS0_10empty_typeEbEEZZNS1_14partition_implILS5_1ELb0ES3_jN6thrust23THRUST_200600_302600_NS6detail15normal_iteratorINSA_10device_ptrIxEEEEPS6_NSA_18transform_iteratorI7is_evenIxESF_NSA_11use_defaultESK_EENS0_5tupleIJNSA_16discard_iteratorISK_EESF_EEENSM_IJSG_SG_EEES6_PlJS6_EEE10hipError_tPvRmT3_T4_T5_T6_T7_T9_mT8_P12ihipStream_tbDpT10_ENKUlT_T0_E_clISt17integral_constantIbLb1EES1A_IbLb0EEEEDaS16_S17_EUlS16_E_NS1_11comp_targetILNS1_3genE3ELNS1_11target_archE908ELNS1_3gpuE7ELNS1_3repE0EEENS1_30default_config_static_selectorELNS0_4arch9wavefront6targetE1EEEvT1_
; %bb.0:
	.section	.rodata,"a",@progbits
	.p2align	6, 0x0
	.amdhsa_kernel _ZN7rocprim17ROCPRIM_400000_NS6detail17trampoline_kernelINS0_14default_configENS1_25partition_config_selectorILNS1_17partition_subalgoE1ExNS0_10empty_typeEbEEZZNS1_14partition_implILS5_1ELb0ES3_jN6thrust23THRUST_200600_302600_NS6detail15normal_iteratorINSA_10device_ptrIxEEEEPS6_NSA_18transform_iteratorI7is_evenIxESF_NSA_11use_defaultESK_EENS0_5tupleIJNSA_16discard_iteratorISK_EESF_EEENSM_IJSG_SG_EEES6_PlJS6_EEE10hipError_tPvRmT3_T4_T5_T6_T7_T9_mT8_P12ihipStream_tbDpT10_ENKUlT_T0_E_clISt17integral_constantIbLb1EES1A_IbLb0EEEEDaS16_S17_EUlS16_E_NS1_11comp_targetILNS1_3genE3ELNS1_11target_archE908ELNS1_3gpuE7ELNS1_3repE0EEENS1_30default_config_static_selectorELNS0_4arch9wavefront6targetE1EEEvT1_
		.amdhsa_group_segment_fixed_size 0
		.amdhsa_private_segment_fixed_size 0
		.amdhsa_kernarg_size 136
		.amdhsa_user_sgpr_count 2
		.amdhsa_user_sgpr_dispatch_ptr 0
		.amdhsa_user_sgpr_queue_ptr 0
		.amdhsa_user_sgpr_kernarg_segment_ptr 1
		.amdhsa_user_sgpr_dispatch_id 0
		.amdhsa_user_sgpr_kernarg_preload_length 0
		.amdhsa_user_sgpr_kernarg_preload_offset 0
		.amdhsa_user_sgpr_private_segment_size 0
		.amdhsa_uses_dynamic_stack 0
		.amdhsa_enable_private_segment 0
		.amdhsa_system_sgpr_workgroup_id_x 1
		.amdhsa_system_sgpr_workgroup_id_y 0
		.amdhsa_system_sgpr_workgroup_id_z 0
		.amdhsa_system_sgpr_workgroup_info 0
		.amdhsa_system_vgpr_workitem_id 0
		.amdhsa_next_free_vgpr 1
		.amdhsa_next_free_sgpr 0
		.amdhsa_accum_offset 4
		.amdhsa_reserve_vcc 0
		.amdhsa_float_round_mode_32 0
		.amdhsa_float_round_mode_16_64 0
		.amdhsa_float_denorm_mode_32 3
		.amdhsa_float_denorm_mode_16_64 3
		.amdhsa_dx10_clamp 1
		.amdhsa_ieee_mode 1
		.amdhsa_fp16_overflow 0
		.amdhsa_tg_split 0
		.amdhsa_exception_fp_ieee_invalid_op 0
		.amdhsa_exception_fp_denorm_src 0
		.amdhsa_exception_fp_ieee_div_zero 0
		.amdhsa_exception_fp_ieee_overflow 0
		.amdhsa_exception_fp_ieee_underflow 0
		.amdhsa_exception_fp_ieee_inexact 0
		.amdhsa_exception_int_div_zero 0
	.end_amdhsa_kernel
	.section	.text._ZN7rocprim17ROCPRIM_400000_NS6detail17trampoline_kernelINS0_14default_configENS1_25partition_config_selectorILNS1_17partition_subalgoE1ExNS0_10empty_typeEbEEZZNS1_14partition_implILS5_1ELb0ES3_jN6thrust23THRUST_200600_302600_NS6detail15normal_iteratorINSA_10device_ptrIxEEEEPS6_NSA_18transform_iteratorI7is_evenIxESF_NSA_11use_defaultESK_EENS0_5tupleIJNSA_16discard_iteratorISK_EESF_EEENSM_IJSG_SG_EEES6_PlJS6_EEE10hipError_tPvRmT3_T4_T5_T6_T7_T9_mT8_P12ihipStream_tbDpT10_ENKUlT_T0_E_clISt17integral_constantIbLb1EES1A_IbLb0EEEEDaS16_S17_EUlS16_E_NS1_11comp_targetILNS1_3genE3ELNS1_11target_archE908ELNS1_3gpuE7ELNS1_3repE0EEENS1_30default_config_static_selectorELNS0_4arch9wavefront6targetE1EEEvT1_,"axG",@progbits,_ZN7rocprim17ROCPRIM_400000_NS6detail17trampoline_kernelINS0_14default_configENS1_25partition_config_selectorILNS1_17partition_subalgoE1ExNS0_10empty_typeEbEEZZNS1_14partition_implILS5_1ELb0ES3_jN6thrust23THRUST_200600_302600_NS6detail15normal_iteratorINSA_10device_ptrIxEEEEPS6_NSA_18transform_iteratorI7is_evenIxESF_NSA_11use_defaultESK_EENS0_5tupleIJNSA_16discard_iteratorISK_EESF_EEENSM_IJSG_SG_EEES6_PlJS6_EEE10hipError_tPvRmT3_T4_T5_T6_T7_T9_mT8_P12ihipStream_tbDpT10_ENKUlT_T0_E_clISt17integral_constantIbLb1EES1A_IbLb0EEEEDaS16_S17_EUlS16_E_NS1_11comp_targetILNS1_3genE3ELNS1_11target_archE908ELNS1_3gpuE7ELNS1_3repE0EEENS1_30default_config_static_selectorELNS0_4arch9wavefront6targetE1EEEvT1_,comdat
.Lfunc_end3246:
	.size	_ZN7rocprim17ROCPRIM_400000_NS6detail17trampoline_kernelINS0_14default_configENS1_25partition_config_selectorILNS1_17partition_subalgoE1ExNS0_10empty_typeEbEEZZNS1_14partition_implILS5_1ELb0ES3_jN6thrust23THRUST_200600_302600_NS6detail15normal_iteratorINSA_10device_ptrIxEEEEPS6_NSA_18transform_iteratorI7is_evenIxESF_NSA_11use_defaultESK_EENS0_5tupleIJNSA_16discard_iteratorISK_EESF_EEENSM_IJSG_SG_EEES6_PlJS6_EEE10hipError_tPvRmT3_T4_T5_T6_T7_T9_mT8_P12ihipStream_tbDpT10_ENKUlT_T0_E_clISt17integral_constantIbLb1EES1A_IbLb0EEEEDaS16_S17_EUlS16_E_NS1_11comp_targetILNS1_3genE3ELNS1_11target_archE908ELNS1_3gpuE7ELNS1_3repE0EEENS1_30default_config_static_selectorELNS0_4arch9wavefront6targetE1EEEvT1_, .Lfunc_end3246-_ZN7rocprim17ROCPRIM_400000_NS6detail17trampoline_kernelINS0_14default_configENS1_25partition_config_selectorILNS1_17partition_subalgoE1ExNS0_10empty_typeEbEEZZNS1_14partition_implILS5_1ELb0ES3_jN6thrust23THRUST_200600_302600_NS6detail15normal_iteratorINSA_10device_ptrIxEEEEPS6_NSA_18transform_iteratorI7is_evenIxESF_NSA_11use_defaultESK_EENS0_5tupleIJNSA_16discard_iteratorISK_EESF_EEENSM_IJSG_SG_EEES6_PlJS6_EEE10hipError_tPvRmT3_T4_T5_T6_T7_T9_mT8_P12ihipStream_tbDpT10_ENKUlT_T0_E_clISt17integral_constantIbLb1EES1A_IbLb0EEEEDaS16_S17_EUlS16_E_NS1_11comp_targetILNS1_3genE3ELNS1_11target_archE908ELNS1_3gpuE7ELNS1_3repE0EEENS1_30default_config_static_selectorELNS0_4arch9wavefront6targetE1EEEvT1_
                                        ; -- End function
	.section	.AMDGPU.csdata,"",@progbits
; Kernel info:
; codeLenInByte = 0
; NumSgprs: 6
; NumVgprs: 0
; NumAgprs: 0
; TotalNumVgprs: 0
; ScratchSize: 0
; MemoryBound: 0
; FloatMode: 240
; IeeeMode: 1
; LDSByteSize: 0 bytes/workgroup (compile time only)
; SGPRBlocks: 0
; VGPRBlocks: 0
; NumSGPRsForWavesPerEU: 6
; NumVGPRsForWavesPerEU: 1
; AccumOffset: 4
; Occupancy: 8
; WaveLimiterHint : 0
; COMPUTE_PGM_RSRC2:SCRATCH_EN: 0
; COMPUTE_PGM_RSRC2:USER_SGPR: 2
; COMPUTE_PGM_RSRC2:TRAP_HANDLER: 0
; COMPUTE_PGM_RSRC2:TGID_X_EN: 1
; COMPUTE_PGM_RSRC2:TGID_Y_EN: 0
; COMPUTE_PGM_RSRC2:TGID_Z_EN: 0
; COMPUTE_PGM_RSRC2:TIDIG_COMP_CNT: 0
; COMPUTE_PGM_RSRC3_GFX90A:ACCUM_OFFSET: 0
; COMPUTE_PGM_RSRC3_GFX90A:TG_SPLIT: 0
	.section	.text._ZN7rocprim17ROCPRIM_400000_NS6detail17trampoline_kernelINS0_14default_configENS1_25partition_config_selectorILNS1_17partition_subalgoE1ExNS0_10empty_typeEbEEZZNS1_14partition_implILS5_1ELb0ES3_jN6thrust23THRUST_200600_302600_NS6detail15normal_iteratorINSA_10device_ptrIxEEEEPS6_NSA_18transform_iteratorI7is_evenIxESF_NSA_11use_defaultESK_EENS0_5tupleIJNSA_16discard_iteratorISK_EESF_EEENSM_IJSG_SG_EEES6_PlJS6_EEE10hipError_tPvRmT3_T4_T5_T6_T7_T9_mT8_P12ihipStream_tbDpT10_ENKUlT_T0_E_clISt17integral_constantIbLb1EES1A_IbLb0EEEEDaS16_S17_EUlS16_E_NS1_11comp_targetILNS1_3genE2ELNS1_11target_archE906ELNS1_3gpuE6ELNS1_3repE0EEENS1_30default_config_static_selectorELNS0_4arch9wavefront6targetE1EEEvT1_,"axG",@progbits,_ZN7rocprim17ROCPRIM_400000_NS6detail17trampoline_kernelINS0_14default_configENS1_25partition_config_selectorILNS1_17partition_subalgoE1ExNS0_10empty_typeEbEEZZNS1_14partition_implILS5_1ELb0ES3_jN6thrust23THRUST_200600_302600_NS6detail15normal_iteratorINSA_10device_ptrIxEEEEPS6_NSA_18transform_iteratorI7is_evenIxESF_NSA_11use_defaultESK_EENS0_5tupleIJNSA_16discard_iteratorISK_EESF_EEENSM_IJSG_SG_EEES6_PlJS6_EEE10hipError_tPvRmT3_T4_T5_T6_T7_T9_mT8_P12ihipStream_tbDpT10_ENKUlT_T0_E_clISt17integral_constantIbLb1EES1A_IbLb0EEEEDaS16_S17_EUlS16_E_NS1_11comp_targetILNS1_3genE2ELNS1_11target_archE906ELNS1_3gpuE6ELNS1_3repE0EEENS1_30default_config_static_selectorELNS0_4arch9wavefront6targetE1EEEvT1_,comdat
	.protected	_ZN7rocprim17ROCPRIM_400000_NS6detail17trampoline_kernelINS0_14default_configENS1_25partition_config_selectorILNS1_17partition_subalgoE1ExNS0_10empty_typeEbEEZZNS1_14partition_implILS5_1ELb0ES3_jN6thrust23THRUST_200600_302600_NS6detail15normal_iteratorINSA_10device_ptrIxEEEEPS6_NSA_18transform_iteratorI7is_evenIxESF_NSA_11use_defaultESK_EENS0_5tupleIJNSA_16discard_iteratorISK_EESF_EEENSM_IJSG_SG_EEES6_PlJS6_EEE10hipError_tPvRmT3_T4_T5_T6_T7_T9_mT8_P12ihipStream_tbDpT10_ENKUlT_T0_E_clISt17integral_constantIbLb1EES1A_IbLb0EEEEDaS16_S17_EUlS16_E_NS1_11comp_targetILNS1_3genE2ELNS1_11target_archE906ELNS1_3gpuE6ELNS1_3repE0EEENS1_30default_config_static_selectorELNS0_4arch9wavefront6targetE1EEEvT1_ ; -- Begin function _ZN7rocprim17ROCPRIM_400000_NS6detail17trampoline_kernelINS0_14default_configENS1_25partition_config_selectorILNS1_17partition_subalgoE1ExNS0_10empty_typeEbEEZZNS1_14partition_implILS5_1ELb0ES3_jN6thrust23THRUST_200600_302600_NS6detail15normal_iteratorINSA_10device_ptrIxEEEEPS6_NSA_18transform_iteratorI7is_evenIxESF_NSA_11use_defaultESK_EENS0_5tupleIJNSA_16discard_iteratorISK_EESF_EEENSM_IJSG_SG_EEES6_PlJS6_EEE10hipError_tPvRmT3_T4_T5_T6_T7_T9_mT8_P12ihipStream_tbDpT10_ENKUlT_T0_E_clISt17integral_constantIbLb1EES1A_IbLb0EEEEDaS16_S17_EUlS16_E_NS1_11comp_targetILNS1_3genE2ELNS1_11target_archE906ELNS1_3gpuE6ELNS1_3repE0EEENS1_30default_config_static_selectorELNS0_4arch9wavefront6targetE1EEEvT1_
	.globl	_ZN7rocprim17ROCPRIM_400000_NS6detail17trampoline_kernelINS0_14default_configENS1_25partition_config_selectorILNS1_17partition_subalgoE1ExNS0_10empty_typeEbEEZZNS1_14partition_implILS5_1ELb0ES3_jN6thrust23THRUST_200600_302600_NS6detail15normal_iteratorINSA_10device_ptrIxEEEEPS6_NSA_18transform_iteratorI7is_evenIxESF_NSA_11use_defaultESK_EENS0_5tupleIJNSA_16discard_iteratorISK_EESF_EEENSM_IJSG_SG_EEES6_PlJS6_EEE10hipError_tPvRmT3_T4_T5_T6_T7_T9_mT8_P12ihipStream_tbDpT10_ENKUlT_T0_E_clISt17integral_constantIbLb1EES1A_IbLb0EEEEDaS16_S17_EUlS16_E_NS1_11comp_targetILNS1_3genE2ELNS1_11target_archE906ELNS1_3gpuE6ELNS1_3repE0EEENS1_30default_config_static_selectorELNS0_4arch9wavefront6targetE1EEEvT1_
	.p2align	8
	.type	_ZN7rocprim17ROCPRIM_400000_NS6detail17trampoline_kernelINS0_14default_configENS1_25partition_config_selectorILNS1_17partition_subalgoE1ExNS0_10empty_typeEbEEZZNS1_14partition_implILS5_1ELb0ES3_jN6thrust23THRUST_200600_302600_NS6detail15normal_iteratorINSA_10device_ptrIxEEEEPS6_NSA_18transform_iteratorI7is_evenIxESF_NSA_11use_defaultESK_EENS0_5tupleIJNSA_16discard_iteratorISK_EESF_EEENSM_IJSG_SG_EEES6_PlJS6_EEE10hipError_tPvRmT3_T4_T5_T6_T7_T9_mT8_P12ihipStream_tbDpT10_ENKUlT_T0_E_clISt17integral_constantIbLb1EES1A_IbLb0EEEEDaS16_S17_EUlS16_E_NS1_11comp_targetILNS1_3genE2ELNS1_11target_archE906ELNS1_3gpuE6ELNS1_3repE0EEENS1_30default_config_static_selectorELNS0_4arch9wavefront6targetE1EEEvT1_,@function
_ZN7rocprim17ROCPRIM_400000_NS6detail17trampoline_kernelINS0_14default_configENS1_25partition_config_selectorILNS1_17partition_subalgoE1ExNS0_10empty_typeEbEEZZNS1_14partition_implILS5_1ELb0ES3_jN6thrust23THRUST_200600_302600_NS6detail15normal_iteratorINSA_10device_ptrIxEEEEPS6_NSA_18transform_iteratorI7is_evenIxESF_NSA_11use_defaultESK_EENS0_5tupleIJNSA_16discard_iteratorISK_EESF_EEENSM_IJSG_SG_EEES6_PlJS6_EEE10hipError_tPvRmT3_T4_T5_T6_T7_T9_mT8_P12ihipStream_tbDpT10_ENKUlT_T0_E_clISt17integral_constantIbLb1EES1A_IbLb0EEEEDaS16_S17_EUlS16_E_NS1_11comp_targetILNS1_3genE2ELNS1_11target_archE906ELNS1_3gpuE6ELNS1_3repE0EEENS1_30default_config_static_selectorELNS0_4arch9wavefront6targetE1EEEvT1_: ; @_ZN7rocprim17ROCPRIM_400000_NS6detail17trampoline_kernelINS0_14default_configENS1_25partition_config_selectorILNS1_17partition_subalgoE1ExNS0_10empty_typeEbEEZZNS1_14partition_implILS5_1ELb0ES3_jN6thrust23THRUST_200600_302600_NS6detail15normal_iteratorINSA_10device_ptrIxEEEEPS6_NSA_18transform_iteratorI7is_evenIxESF_NSA_11use_defaultESK_EENS0_5tupleIJNSA_16discard_iteratorISK_EESF_EEENSM_IJSG_SG_EEES6_PlJS6_EEE10hipError_tPvRmT3_T4_T5_T6_T7_T9_mT8_P12ihipStream_tbDpT10_ENKUlT_T0_E_clISt17integral_constantIbLb1EES1A_IbLb0EEEEDaS16_S17_EUlS16_E_NS1_11comp_targetILNS1_3genE2ELNS1_11target_archE906ELNS1_3gpuE6ELNS1_3repE0EEENS1_30default_config_static_selectorELNS0_4arch9wavefront6targetE1EEEvT1_
; %bb.0:
	.section	.rodata,"a",@progbits
	.p2align	6, 0x0
	.amdhsa_kernel _ZN7rocprim17ROCPRIM_400000_NS6detail17trampoline_kernelINS0_14default_configENS1_25partition_config_selectorILNS1_17partition_subalgoE1ExNS0_10empty_typeEbEEZZNS1_14partition_implILS5_1ELb0ES3_jN6thrust23THRUST_200600_302600_NS6detail15normal_iteratorINSA_10device_ptrIxEEEEPS6_NSA_18transform_iteratorI7is_evenIxESF_NSA_11use_defaultESK_EENS0_5tupleIJNSA_16discard_iteratorISK_EESF_EEENSM_IJSG_SG_EEES6_PlJS6_EEE10hipError_tPvRmT3_T4_T5_T6_T7_T9_mT8_P12ihipStream_tbDpT10_ENKUlT_T0_E_clISt17integral_constantIbLb1EES1A_IbLb0EEEEDaS16_S17_EUlS16_E_NS1_11comp_targetILNS1_3genE2ELNS1_11target_archE906ELNS1_3gpuE6ELNS1_3repE0EEENS1_30default_config_static_selectorELNS0_4arch9wavefront6targetE1EEEvT1_
		.amdhsa_group_segment_fixed_size 0
		.amdhsa_private_segment_fixed_size 0
		.amdhsa_kernarg_size 136
		.amdhsa_user_sgpr_count 2
		.amdhsa_user_sgpr_dispatch_ptr 0
		.amdhsa_user_sgpr_queue_ptr 0
		.amdhsa_user_sgpr_kernarg_segment_ptr 1
		.amdhsa_user_sgpr_dispatch_id 0
		.amdhsa_user_sgpr_kernarg_preload_length 0
		.amdhsa_user_sgpr_kernarg_preload_offset 0
		.amdhsa_user_sgpr_private_segment_size 0
		.amdhsa_uses_dynamic_stack 0
		.amdhsa_enable_private_segment 0
		.amdhsa_system_sgpr_workgroup_id_x 1
		.amdhsa_system_sgpr_workgroup_id_y 0
		.amdhsa_system_sgpr_workgroup_id_z 0
		.amdhsa_system_sgpr_workgroup_info 0
		.amdhsa_system_vgpr_workitem_id 0
		.amdhsa_next_free_vgpr 1
		.amdhsa_next_free_sgpr 0
		.amdhsa_accum_offset 4
		.amdhsa_reserve_vcc 0
		.amdhsa_float_round_mode_32 0
		.amdhsa_float_round_mode_16_64 0
		.amdhsa_float_denorm_mode_32 3
		.amdhsa_float_denorm_mode_16_64 3
		.amdhsa_dx10_clamp 1
		.amdhsa_ieee_mode 1
		.amdhsa_fp16_overflow 0
		.amdhsa_tg_split 0
		.amdhsa_exception_fp_ieee_invalid_op 0
		.amdhsa_exception_fp_denorm_src 0
		.amdhsa_exception_fp_ieee_div_zero 0
		.amdhsa_exception_fp_ieee_overflow 0
		.amdhsa_exception_fp_ieee_underflow 0
		.amdhsa_exception_fp_ieee_inexact 0
		.amdhsa_exception_int_div_zero 0
	.end_amdhsa_kernel
	.section	.text._ZN7rocprim17ROCPRIM_400000_NS6detail17trampoline_kernelINS0_14default_configENS1_25partition_config_selectorILNS1_17partition_subalgoE1ExNS0_10empty_typeEbEEZZNS1_14partition_implILS5_1ELb0ES3_jN6thrust23THRUST_200600_302600_NS6detail15normal_iteratorINSA_10device_ptrIxEEEEPS6_NSA_18transform_iteratorI7is_evenIxESF_NSA_11use_defaultESK_EENS0_5tupleIJNSA_16discard_iteratorISK_EESF_EEENSM_IJSG_SG_EEES6_PlJS6_EEE10hipError_tPvRmT3_T4_T5_T6_T7_T9_mT8_P12ihipStream_tbDpT10_ENKUlT_T0_E_clISt17integral_constantIbLb1EES1A_IbLb0EEEEDaS16_S17_EUlS16_E_NS1_11comp_targetILNS1_3genE2ELNS1_11target_archE906ELNS1_3gpuE6ELNS1_3repE0EEENS1_30default_config_static_selectorELNS0_4arch9wavefront6targetE1EEEvT1_,"axG",@progbits,_ZN7rocprim17ROCPRIM_400000_NS6detail17trampoline_kernelINS0_14default_configENS1_25partition_config_selectorILNS1_17partition_subalgoE1ExNS0_10empty_typeEbEEZZNS1_14partition_implILS5_1ELb0ES3_jN6thrust23THRUST_200600_302600_NS6detail15normal_iteratorINSA_10device_ptrIxEEEEPS6_NSA_18transform_iteratorI7is_evenIxESF_NSA_11use_defaultESK_EENS0_5tupleIJNSA_16discard_iteratorISK_EESF_EEENSM_IJSG_SG_EEES6_PlJS6_EEE10hipError_tPvRmT3_T4_T5_T6_T7_T9_mT8_P12ihipStream_tbDpT10_ENKUlT_T0_E_clISt17integral_constantIbLb1EES1A_IbLb0EEEEDaS16_S17_EUlS16_E_NS1_11comp_targetILNS1_3genE2ELNS1_11target_archE906ELNS1_3gpuE6ELNS1_3repE0EEENS1_30default_config_static_selectorELNS0_4arch9wavefront6targetE1EEEvT1_,comdat
.Lfunc_end3247:
	.size	_ZN7rocprim17ROCPRIM_400000_NS6detail17trampoline_kernelINS0_14default_configENS1_25partition_config_selectorILNS1_17partition_subalgoE1ExNS0_10empty_typeEbEEZZNS1_14partition_implILS5_1ELb0ES3_jN6thrust23THRUST_200600_302600_NS6detail15normal_iteratorINSA_10device_ptrIxEEEEPS6_NSA_18transform_iteratorI7is_evenIxESF_NSA_11use_defaultESK_EENS0_5tupleIJNSA_16discard_iteratorISK_EESF_EEENSM_IJSG_SG_EEES6_PlJS6_EEE10hipError_tPvRmT3_T4_T5_T6_T7_T9_mT8_P12ihipStream_tbDpT10_ENKUlT_T0_E_clISt17integral_constantIbLb1EES1A_IbLb0EEEEDaS16_S17_EUlS16_E_NS1_11comp_targetILNS1_3genE2ELNS1_11target_archE906ELNS1_3gpuE6ELNS1_3repE0EEENS1_30default_config_static_selectorELNS0_4arch9wavefront6targetE1EEEvT1_, .Lfunc_end3247-_ZN7rocprim17ROCPRIM_400000_NS6detail17trampoline_kernelINS0_14default_configENS1_25partition_config_selectorILNS1_17partition_subalgoE1ExNS0_10empty_typeEbEEZZNS1_14partition_implILS5_1ELb0ES3_jN6thrust23THRUST_200600_302600_NS6detail15normal_iteratorINSA_10device_ptrIxEEEEPS6_NSA_18transform_iteratorI7is_evenIxESF_NSA_11use_defaultESK_EENS0_5tupleIJNSA_16discard_iteratorISK_EESF_EEENSM_IJSG_SG_EEES6_PlJS6_EEE10hipError_tPvRmT3_T4_T5_T6_T7_T9_mT8_P12ihipStream_tbDpT10_ENKUlT_T0_E_clISt17integral_constantIbLb1EES1A_IbLb0EEEEDaS16_S17_EUlS16_E_NS1_11comp_targetILNS1_3genE2ELNS1_11target_archE906ELNS1_3gpuE6ELNS1_3repE0EEENS1_30default_config_static_selectorELNS0_4arch9wavefront6targetE1EEEvT1_
                                        ; -- End function
	.section	.AMDGPU.csdata,"",@progbits
; Kernel info:
; codeLenInByte = 0
; NumSgprs: 6
; NumVgprs: 0
; NumAgprs: 0
; TotalNumVgprs: 0
; ScratchSize: 0
; MemoryBound: 0
; FloatMode: 240
; IeeeMode: 1
; LDSByteSize: 0 bytes/workgroup (compile time only)
; SGPRBlocks: 0
; VGPRBlocks: 0
; NumSGPRsForWavesPerEU: 6
; NumVGPRsForWavesPerEU: 1
; AccumOffset: 4
; Occupancy: 8
; WaveLimiterHint : 0
; COMPUTE_PGM_RSRC2:SCRATCH_EN: 0
; COMPUTE_PGM_RSRC2:USER_SGPR: 2
; COMPUTE_PGM_RSRC2:TRAP_HANDLER: 0
; COMPUTE_PGM_RSRC2:TGID_X_EN: 1
; COMPUTE_PGM_RSRC2:TGID_Y_EN: 0
; COMPUTE_PGM_RSRC2:TGID_Z_EN: 0
; COMPUTE_PGM_RSRC2:TIDIG_COMP_CNT: 0
; COMPUTE_PGM_RSRC3_GFX90A:ACCUM_OFFSET: 0
; COMPUTE_PGM_RSRC3_GFX90A:TG_SPLIT: 0
	.section	.text._ZN7rocprim17ROCPRIM_400000_NS6detail17trampoline_kernelINS0_14default_configENS1_25partition_config_selectorILNS1_17partition_subalgoE1ExNS0_10empty_typeEbEEZZNS1_14partition_implILS5_1ELb0ES3_jN6thrust23THRUST_200600_302600_NS6detail15normal_iteratorINSA_10device_ptrIxEEEEPS6_NSA_18transform_iteratorI7is_evenIxESF_NSA_11use_defaultESK_EENS0_5tupleIJNSA_16discard_iteratorISK_EESF_EEENSM_IJSG_SG_EEES6_PlJS6_EEE10hipError_tPvRmT3_T4_T5_T6_T7_T9_mT8_P12ihipStream_tbDpT10_ENKUlT_T0_E_clISt17integral_constantIbLb1EES1A_IbLb0EEEEDaS16_S17_EUlS16_E_NS1_11comp_targetILNS1_3genE10ELNS1_11target_archE1200ELNS1_3gpuE4ELNS1_3repE0EEENS1_30default_config_static_selectorELNS0_4arch9wavefront6targetE1EEEvT1_,"axG",@progbits,_ZN7rocprim17ROCPRIM_400000_NS6detail17trampoline_kernelINS0_14default_configENS1_25partition_config_selectorILNS1_17partition_subalgoE1ExNS0_10empty_typeEbEEZZNS1_14partition_implILS5_1ELb0ES3_jN6thrust23THRUST_200600_302600_NS6detail15normal_iteratorINSA_10device_ptrIxEEEEPS6_NSA_18transform_iteratorI7is_evenIxESF_NSA_11use_defaultESK_EENS0_5tupleIJNSA_16discard_iteratorISK_EESF_EEENSM_IJSG_SG_EEES6_PlJS6_EEE10hipError_tPvRmT3_T4_T5_T6_T7_T9_mT8_P12ihipStream_tbDpT10_ENKUlT_T0_E_clISt17integral_constantIbLb1EES1A_IbLb0EEEEDaS16_S17_EUlS16_E_NS1_11comp_targetILNS1_3genE10ELNS1_11target_archE1200ELNS1_3gpuE4ELNS1_3repE0EEENS1_30default_config_static_selectorELNS0_4arch9wavefront6targetE1EEEvT1_,comdat
	.protected	_ZN7rocprim17ROCPRIM_400000_NS6detail17trampoline_kernelINS0_14default_configENS1_25partition_config_selectorILNS1_17partition_subalgoE1ExNS0_10empty_typeEbEEZZNS1_14partition_implILS5_1ELb0ES3_jN6thrust23THRUST_200600_302600_NS6detail15normal_iteratorINSA_10device_ptrIxEEEEPS6_NSA_18transform_iteratorI7is_evenIxESF_NSA_11use_defaultESK_EENS0_5tupleIJNSA_16discard_iteratorISK_EESF_EEENSM_IJSG_SG_EEES6_PlJS6_EEE10hipError_tPvRmT3_T4_T5_T6_T7_T9_mT8_P12ihipStream_tbDpT10_ENKUlT_T0_E_clISt17integral_constantIbLb1EES1A_IbLb0EEEEDaS16_S17_EUlS16_E_NS1_11comp_targetILNS1_3genE10ELNS1_11target_archE1200ELNS1_3gpuE4ELNS1_3repE0EEENS1_30default_config_static_selectorELNS0_4arch9wavefront6targetE1EEEvT1_ ; -- Begin function _ZN7rocprim17ROCPRIM_400000_NS6detail17trampoline_kernelINS0_14default_configENS1_25partition_config_selectorILNS1_17partition_subalgoE1ExNS0_10empty_typeEbEEZZNS1_14partition_implILS5_1ELb0ES3_jN6thrust23THRUST_200600_302600_NS6detail15normal_iteratorINSA_10device_ptrIxEEEEPS6_NSA_18transform_iteratorI7is_evenIxESF_NSA_11use_defaultESK_EENS0_5tupleIJNSA_16discard_iteratorISK_EESF_EEENSM_IJSG_SG_EEES6_PlJS6_EEE10hipError_tPvRmT3_T4_T5_T6_T7_T9_mT8_P12ihipStream_tbDpT10_ENKUlT_T0_E_clISt17integral_constantIbLb1EES1A_IbLb0EEEEDaS16_S17_EUlS16_E_NS1_11comp_targetILNS1_3genE10ELNS1_11target_archE1200ELNS1_3gpuE4ELNS1_3repE0EEENS1_30default_config_static_selectorELNS0_4arch9wavefront6targetE1EEEvT1_
	.globl	_ZN7rocprim17ROCPRIM_400000_NS6detail17trampoline_kernelINS0_14default_configENS1_25partition_config_selectorILNS1_17partition_subalgoE1ExNS0_10empty_typeEbEEZZNS1_14partition_implILS5_1ELb0ES3_jN6thrust23THRUST_200600_302600_NS6detail15normal_iteratorINSA_10device_ptrIxEEEEPS6_NSA_18transform_iteratorI7is_evenIxESF_NSA_11use_defaultESK_EENS0_5tupleIJNSA_16discard_iteratorISK_EESF_EEENSM_IJSG_SG_EEES6_PlJS6_EEE10hipError_tPvRmT3_T4_T5_T6_T7_T9_mT8_P12ihipStream_tbDpT10_ENKUlT_T0_E_clISt17integral_constantIbLb1EES1A_IbLb0EEEEDaS16_S17_EUlS16_E_NS1_11comp_targetILNS1_3genE10ELNS1_11target_archE1200ELNS1_3gpuE4ELNS1_3repE0EEENS1_30default_config_static_selectorELNS0_4arch9wavefront6targetE1EEEvT1_
	.p2align	8
	.type	_ZN7rocprim17ROCPRIM_400000_NS6detail17trampoline_kernelINS0_14default_configENS1_25partition_config_selectorILNS1_17partition_subalgoE1ExNS0_10empty_typeEbEEZZNS1_14partition_implILS5_1ELb0ES3_jN6thrust23THRUST_200600_302600_NS6detail15normal_iteratorINSA_10device_ptrIxEEEEPS6_NSA_18transform_iteratorI7is_evenIxESF_NSA_11use_defaultESK_EENS0_5tupleIJNSA_16discard_iteratorISK_EESF_EEENSM_IJSG_SG_EEES6_PlJS6_EEE10hipError_tPvRmT3_T4_T5_T6_T7_T9_mT8_P12ihipStream_tbDpT10_ENKUlT_T0_E_clISt17integral_constantIbLb1EES1A_IbLb0EEEEDaS16_S17_EUlS16_E_NS1_11comp_targetILNS1_3genE10ELNS1_11target_archE1200ELNS1_3gpuE4ELNS1_3repE0EEENS1_30default_config_static_selectorELNS0_4arch9wavefront6targetE1EEEvT1_,@function
_ZN7rocprim17ROCPRIM_400000_NS6detail17trampoline_kernelINS0_14default_configENS1_25partition_config_selectorILNS1_17partition_subalgoE1ExNS0_10empty_typeEbEEZZNS1_14partition_implILS5_1ELb0ES3_jN6thrust23THRUST_200600_302600_NS6detail15normal_iteratorINSA_10device_ptrIxEEEEPS6_NSA_18transform_iteratorI7is_evenIxESF_NSA_11use_defaultESK_EENS0_5tupleIJNSA_16discard_iteratorISK_EESF_EEENSM_IJSG_SG_EEES6_PlJS6_EEE10hipError_tPvRmT3_T4_T5_T6_T7_T9_mT8_P12ihipStream_tbDpT10_ENKUlT_T0_E_clISt17integral_constantIbLb1EES1A_IbLb0EEEEDaS16_S17_EUlS16_E_NS1_11comp_targetILNS1_3genE10ELNS1_11target_archE1200ELNS1_3gpuE4ELNS1_3repE0EEENS1_30default_config_static_selectorELNS0_4arch9wavefront6targetE1EEEvT1_: ; @_ZN7rocprim17ROCPRIM_400000_NS6detail17trampoline_kernelINS0_14default_configENS1_25partition_config_selectorILNS1_17partition_subalgoE1ExNS0_10empty_typeEbEEZZNS1_14partition_implILS5_1ELb0ES3_jN6thrust23THRUST_200600_302600_NS6detail15normal_iteratorINSA_10device_ptrIxEEEEPS6_NSA_18transform_iteratorI7is_evenIxESF_NSA_11use_defaultESK_EENS0_5tupleIJNSA_16discard_iteratorISK_EESF_EEENSM_IJSG_SG_EEES6_PlJS6_EEE10hipError_tPvRmT3_T4_T5_T6_T7_T9_mT8_P12ihipStream_tbDpT10_ENKUlT_T0_E_clISt17integral_constantIbLb1EES1A_IbLb0EEEEDaS16_S17_EUlS16_E_NS1_11comp_targetILNS1_3genE10ELNS1_11target_archE1200ELNS1_3gpuE4ELNS1_3repE0EEENS1_30default_config_static_selectorELNS0_4arch9wavefront6targetE1EEEvT1_
; %bb.0:
	.section	.rodata,"a",@progbits
	.p2align	6, 0x0
	.amdhsa_kernel _ZN7rocprim17ROCPRIM_400000_NS6detail17trampoline_kernelINS0_14default_configENS1_25partition_config_selectorILNS1_17partition_subalgoE1ExNS0_10empty_typeEbEEZZNS1_14partition_implILS5_1ELb0ES3_jN6thrust23THRUST_200600_302600_NS6detail15normal_iteratorINSA_10device_ptrIxEEEEPS6_NSA_18transform_iteratorI7is_evenIxESF_NSA_11use_defaultESK_EENS0_5tupleIJNSA_16discard_iteratorISK_EESF_EEENSM_IJSG_SG_EEES6_PlJS6_EEE10hipError_tPvRmT3_T4_T5_T6_T7_T9_mT8_P12ihipStream_tbDpT10_ENKUlT_T0_E_clISt17integral_constantIbLb1EES1A_IbLb0EEEEDaS16_S17_EUlS16_E_NS1_11comp_targetILNS1_3genE10ELNS1_11target_archE1200ELNS1_3gpuE4ELNS1_3repE0EEENS1_30default_config_static_selectorELNS0_4arch9wavefront6targetE1EEEvT1_
		.amdhsa_group_segment_fixed_size 0
		.amdhsa_private_segment_fixed_size 0
		.amdhsa_kernarg_size 136
		.amdhsa_user_sgpr_count 2
		.amdhsa_user_sgpr_dispatch_ptr 0
		.amdhsa_user_sgpr_queue_ptr 0
		.amdhsa_user_sgpr_kernarg_segment_ptr 1
		.amdhsa_user_sgpr_dispatch_id 0
		.amdhsa_user_sgpr_kernarg_preload_length 0
		.amdhsa_user_sgpr_kernarg_preload_offset 0
		.amdhsa_user_sgpr_private_segment_size 0
		.amdhsa_uses_dynamic_stack 0
		.amdhsa_enable_private_segment 0
		.amdhsa_system_sgpr_workgroup_id_x 1
		.amdhsa_system_sgpr_workgroup_id_y 0
		.amdhsa_system_sgpr_workgroup_id_z 0
		.amdhsa_system_sgpr_workgroup_info 0
		.amdhsa_system_vgpr_workitem_id 0
		.amdhsa_next_free_vgpr 1
		.amdhsa_next_free_sgpr 0
		.amdhsa_accum_offset 4
		.amdhsa_reserve_vcc 0
		.amdhsa_float_round_mode_32 0
		.amdhsa_float_round_mode_16_64 0
		.amdhsa_float_denorm_mode_32 3
		.amdhsa_float_denorm_mode_16_64 3
		.amdhsa_dx10_clamp 1
		.amdhsa_ieee_mode 1
		.amdhsa_fp16_overflow 0
		.amdhsa_tg_split 0
		.amdhsa_exception_fp_ieee_invalid_op 0
		.amdhsa_exception_fp_denorm_src 0
		.amdhsa_exception_fp_ieee_div_zero 0
		.amdhsa_exception_fp_ieee_overflow 0
		.amdhsa_exception_fp_ieee_underflow 0
		.amdhsa_exception_fp_ieee_inexact 0
		.amdhsa_exception_int_div_zero 0
	.end_amdhsa_kernel
	.section	.text._ZN7rocprim17ROCPRIM_400000_NS6detail17trampoline_kernelINS0_14default_configENS1_25partition_config_selectorILNS1_17partition_subalgoE1ExNS0_10empty_typeEbEEZZNS1_14partition_implILS5_1ELb0ES3_jN6thrust23THRUST_200600_302600_NS6detail15normal_iteratorINSA_10device_ptrIxEEEEPS6_NSA_18transform_iteratorI7is_evenIxESF_NSA_11use_defaultESK_EENS0_5tupleIJNSA_16discard_iteratorISK_EESF_EEENSM_IJSG_SG_EEES6_PlJS6_EEE10hipError_tPvRmT3_T4_T5_T6_T7_T9_mT8_P12ihipStream_tbDpT10_ENKUlT_T0_E_clISt17integral_constantIbLb1EES1A_IbLb0EEEEDaS16_S17_EUlS16_E_NS1_11comp_targetILNS1_3genE10ELNS1_11target_archE1200ELNS1_3gpuE4ELNS1_3repE0EEENS1_30default_config_static_selectorELNS0_4arch9wavefront6targetE1EEEvT1_,"axG",@progbits,_ZN7rocprim17ROCPRIM_400000_NS6detail17trampoline_kernelINS0_14default_configENS1_25partition_config_selectorILNS1_17partition_subalgoE1ExNS0_10empty_typeEbEEZZNS1_14partition_implILS5_1ELb0ES3_jN6thrust23THRUST_200600_302600_NS6detail15normal_iteratorINSA_10device_ptrIxEEEEPS6_NSA_18transform_iteratorI7is_evenIxESF_NSA_11use_defaultESK_EENS0_5tupleIJNSA_16discard_iteratorISK_EESF_EEENSM_IJSG_SG_EEES6_PlJS6_EEE10hipError_tPvRmT3_T4_T5_T6_T7_T9_mT8_P12ihipStream_tbDpT10_ENKUlT_T0_E_clISt17integral_constantIbLb1EES1A_IbLb0EEEEDaS16_S17_EUlS16_E_NS1_11comp_targetILNS1_3genE10ELNS1_11target_archE1200ELNS1_3gpuE4ELNS1_3repE0EEENS1_30default_config_static_selectorELNS0_4arch9wavefront6targetE1EEEvT1_,comdat
.Lfunc_end3248:
	.size	_ZN7rocprim17ROCPRIM_400000_NS6detail17trampoline_kernelINS0_14default_configENS1_25partition_config_selectorILNS1_17partition_subalgoE1ExNS0_10empty_typeEbEEZZNS1_14partition_implILS5_1ELb0ES3_jN6thrust23THRUST_200600_302600_NS6detail15normal_iteratorINSA_10device_ptrIxEEEEPS6_NSA_18transform_iteratorI7is_evenIxESF_NSA_11use_defaultESK_EENS0_5tupleIJNSA_16discard_iteratorISK_EESF_EEENSM_IJSG_SG_EEES6_PlJS6_EEE10hipError_tPvRmT3_T4_T5_T6_T7_T9_mT8_P12ihipStream_tbDpT10_ENKUlT_T0_E_clISt17integral_constantIbLb1EES1A_IbLb0EEEEDaS16_S17_EUlS16_E_NS1_11comp_targetILNS1_3genE10ELNS1_11target_archE1200ELNS1_3gpuE4ELNS1_3repE0EEENS1_30default_config_static_selectorELNS0_4arch9wavefront6targetE1EEEvT1_, .Lfunc_end3248-_ZN7rocprim17ROCPRIM_400000_NS6detail17trampoline_kernelINS0_14default_configENS1_25partition_config_selectorILNS1_17partition_subalgoE1ExNS0_10empty_typeEbEEZZNS1_14partition_implILS5_1ELb0ES3_jN6thrust23THRUST_200600_302600_NS6detail15normal_iteratorINSA_10device_ptrIxEEEEPS6_NSA_18transform_iteratorI7is_evenIxESF_NSA_11use_defaultESK_EENS0_5tupleIJNSA_16discard_iteratorISK_EESF_EEENSM_IJSG_SG_EEES6_PlJS6_EEE10hipError_tPvRmT3_T4_T5_T6_T7_T9_mT8_P12ihipStream_tbDpT10_ENKUlT_T0_E_clISt17integral_constantIbLb1EES1A_IbLb0EEEEDaS16_S17_EUlS16_E_NS1_11comp_targetILNS1_3genE10ELNS1_11target_archE1200ELNS1_3gpuE4ELNS1_3repE0EEENS1_30default_config_static_selectorELNS0_4arch9wavefront6targetE1EEEvT1_
                                        ; -- End function
	.section	.AMDGPU.csdata,"",@progbits
; Kernel info:
; codeLenInByte = 0
; NumSgprs: 6
; NumVgprs: 0
; NumAgprs: 0
; TotalNumVgprs: 0
; ScratchSize: 0
; MemoryBound: 0
; FloatMode: 240
; IeeeMode: 1
; LDSByteSize: 0 bytes/workgroup (compile time only)
; SGPRBlocks: 0
; VGPRBlocks: 0
; NumSGPRsForWavesPerEU: 6
; NumVGPRsForWavesPerEU: 1
; AccumOffset: 4
; Occupancy: 8
; WaveLimiterHint : 0
; COMPUTE_PGM_RSRC2:SCRATCH_EN: 0
; COMPUTE_PGM_RSRC2:USER_SGPR: 2
; COMPUTE_PGM_RSRC2:TRAP_HANDLER: 0
; COMPUTE_PGM_RSRC2:TGID_X_EN: 1
; COMPUTE_PGM_RSRC2:TGID_Y_EN: 0
; COMPUTE_PGM_RSRC2:TGID_Z_EN: 0
; COMPUTE_PGM_RSRC2:TIDIG_COMP_CNT: 0
; COMPUTE_PGM_RSRC3_GFX90A:ACCUM_OFFSET: 0
; COMPUTE_PGM_RSRC3_GFX90A:TG_SPLIT: 0
	.section	.text._ZN7rocprim17ROCPRIM_400000_NS6detail17trampoline_kernelINS0_14default_configENS1_25partition_config_selectorILNS1_17partition_subalgoE1ExNS0_10empty_typeEbEEZZNS1_14partition_implILS5_1ELb0ES3_jN6thrust23THRUST_200600_302600_NS6detail15normal_iteratorINSA_10device_ptrIxEEEEPS6_NSA_18transform_iteratorI7is_evenIxESF_NSA_11use_defaultESK_EENS0_5tupleIJNSA_16discard_iteratorISK_EESF_EEENSM_IJSG_SG_EEES6_PlJS6_EEE10hipError_tPvRmT3_T4_T5_T6_T7_T9_mT8_P12ihipStream_tbDpT10_ENKUlT_T0_E_clISt17integral_constantIbLb1EES1A_IbLb0EEEEDaS16_S17_EUlS16_E_NS1_11comp_targetILNS1_3genE9ELNS1_11target_archE1100ELNS1_3gpuE3ELNS1_3repE0EEENS1_30default_config_static_selectorELNS0_4arch9wavefront6targetE1EEEvT1_,"axG",@progbits,_ZN7rocprim17ROCPRIM_400000_NS6detail17trampoline_kernelINS0_14default_configENS1_25partition_config_selectorILNS1_17partition_subalgoE1ExNS0_10empty_typeEbEEZZNS1_14partition_implILS5_1ELb0ES3_jN6thrust23THRUST_200600_302600_NS6detail15normal_iteratorINSA_10device_ptrIxEEEEPS6_NSA_18transform_iteratorI7is_evenIxESF_NSA_11use_defaultESK_EENS0_5tupleIJNSA_16discard_iteratorISK_EESF_EEENSM_IJSG_SG_EEES6_PlJS6_EEE10hipError_tPvRmT3_T4_T5_T6_T7_T9_mT8_P12ihipStream_tbDpT10_ENKUlT_T0_E_clISt17integral_constantIbLb1EES1A_IbLb0EEEEDaS16_S17_EUlS16_E_NS1_11comp_targetILNS1_3genE9ELNS1_11target_archE1100ELNS1_3gpuE3ELNS1_3repE0EEENS1_30default_config_static_selectorELNS0_4arch9wavefront6targetE1EEEvT1_,comdat
	.protected	_ZN7rocprim17ROCPRIM_400000_NS6detail17trampoline_kernelINS0_14default_configENS1_25partition_config_selectorILNS1_17partition_subalgoE1ExNS0_10empty_typeEbEEZZNS1_14partition_implILS5_1ELb0ES3_jN6thrust23THRUST_200600_302600_NS6detail15normal_iteratorINSA_10device_ptrIxEEEEPS6_NSA_18transform_iteratorI7is_evenIxESF_NSA_11use_defaultESK_EENS0_5tupleIJNSA_16discard_iteratorISK_EESF_EEENSM_IJSG_SG_EEES6_PlJS6_EEE10hipError_tPvRmT3_T4_T5_T6_T7_T9_mT8_P12ihipStream_tbDpT10_ENKUlT_T0_E_clISt17integral_constantIbLb1EES1A_IbLb0EEEEDaS16_S17_EUlS16_E_NS1_11comp_targetILNS1_3genE9ELNS1_11target_archE1100ELNS1_3gpuE3ELNS1_3repE0EEENS1_30default_config_static_selectorELNS0_4arch9wavefront6targetE1EEEvT1_ ; -- Begin function _ZN7rocprim17ROCPRIM_400000_NS6detail17trampoline_kernelINS0_14default_configENS1_25partition_config_selectorILNS1_17partition_subalgoE1ExNS0_10empty_typeEbEEZZNS1_14partition_implILS5_1ELb0ES3_jN6thrust23THRUST_200600_302600_NS6detail15normal_iteratorINSA_10device_ptrIxEEEEPS6_NSA_18transform_iteratorI7is_evenIxESF_NSA_11use_defaultESK_EENS0_5tupleIJNSA_16discard_iteratorISK_EESF_EEENSM_IJSG_SG_EEES6_PlJS6_EEE10hipError_tPvRmT3_T4_T5_T6_T7_T9_mT8_P12ihipStream_tbDpT10_ENKUlT_T0_E_clISt17integral_constantIbLb1EES1A_IbLb0EEEEDaS16_S17_EUlS16_E_NS1_11comp_targetILNS1_3genE9ELNS1_11target_archE1100ELNS1_3gpuE3ELNS1_3repE0EEENS1_30default_config_static_selectorELNS0_4arch9wavefront6targetE1EEEvT1_
	.globl	_ZN7rocprim17ROCPRIM_400000_NS6detail17trampoline_kernelINS0_14default_configENS1_25partition_config_selectorILNS1_17partition_subalgoE1ExNS0_10empty_typeEbEEZZNS1_14partition_implILS5_1ELb0ES3_jN6thrust23THRUST_200600_302600_NS6detail15normal_iteratorINSA_10device_ptrIxEEEEPS6_NSA_18transform_iteratorI7is_evenIxESF_NSA_11use_defaultESK_EENS0_5tupleIJNSA_16discard_iteratorISK_EESF_EEENSM_IJSG_SG_EEES6_PlJS6_EEE10hipError_tPvRmT3_T4_T5_T6_T7_T9_mT8_P12ihipStream_tbDpT10_ENKUlT_T0_E_clISt17integral_constantIbLb1EES1A_IbLb0EEEEDaS16_S17_EUlS16_E_NS1_11comp_targetILNS1_3genE9ELNS1_11target_archE1100ELNS1_3gpuE3ELNS1_3repE0EEENS1_30default_config_static_selectorELNS0_4arch9wavefront6targetE1EEEvT1_
	.p2align	8
	.type	_ZN7rocprim17ROCPRIM_400000_NS6detail17trampoline_kernelINS0_14default_configENS1_25partition_config_selectorILNS1_17partition_subalgoE1ExNS0_10empty_typeEbEEZZNS1_14partition_implILS5_1ELb0ES3_jN6thrust23THRUST_200600_302600_NS6detail15normal_iteratorINSA_10device_ptrIxEEEEPS6_NSA_18transform_iteratorI7is_evenIxESF_NSA_11use_defaultESK_EENS0_5tupleIJNSA_16discard_iteratorISK_EESF_EEENSM_IJSG_SG_EEES6_PlJS6_EEE10hipError_tPvRmT3_T4_T5_T6_T7_T9_mT8_P12ihipStream_tbDpT10_ENKUlT_T0_E_clISt17integral_constantIbLb1EES1A_IbLb0EEEEDaS16_S17_EUlS16_E_NS1_11comp_targetILNS1_3genE9ELNS1_11target_archE1100ELNS1_3gpuE3ELNS1_3repE0EEENS1_30default_config_static_selectorELNS0_4arch9wavefront6targetE1EEEvT1_,@function
_ZN7rocprim17ROCPRIM_400000_NS6detail17trampoline_kernelINS0_14default_configENS1_25partition_config_selectorILNS1_17partition_subalgoE1ExNS0_10empty_typeEbEEZZNS1_14partition_implILS5_1ELb0ES3_jN6thrust23THRUST_200600_302600_NS6detail15normal_iteratorINSA_10device_ptrIxEEEEPS6_NSA_18transform_iteratorI7is_evenIxESF_NSA_11use_defaultESK_EENS0_5tupleIJNSA_16discard_iteratorISK_EESF_EEENSM_IJSG_SG_EEES6_PlJS6_EEE10hipError_tPvRmT3_T4_T5_T6_T7_T9_mT8_P12ihipStream_tbDpT10_ENKUlT_T0_E_clISt17integral_constantIbLb1EES1A_IbLb0EEEEDaS16_S17_EUlS16_E_NS1_11comp_targetILNS1_3genE9ELNS1_11target_archE1100ELNS1_3gpuE3ELNS1_3repE0EEENS1_30default_config_static_selectorELNS0_4arch9wavefront6targetE1EEEvT1_: ; @_ZN7rocprim17ROCPRIM_400000_NS6detail17trampoline_kernelINS0_14default_configENS1_25partition_config_selectorILNS1_17partition_subalgoE1ExNS0_10empty_typeEbEEZZNS1_14partition_implILS5_1ELb0ES3_jN6thrust23THRUST_200600_302600_NS6detail15normal_iteratorINSA_10device_ptrIxEEEEPS6_NSA_18transform_iteratorI7is_evenIxESF_NSA_11use_defaultESK_EENS0_5tupleIJNSA_16discard_iteratorISK_EESF_EEENSM_IJSG_SG_EEES6_PlJS6_EEE10hipError_tPvRmT3_T4_T5_T6_T7_T9_mT8_P12ihipStream_tbDpT10_ENKUlT_T0_E_clISt17integral_constantIbLb1EES1A_IbLb0EEEEDaS16_S17_EUlS16_E_NS1_11comp_targetILNS1_3genE9ELNS1_11target_archE1100ELNS1_3gpuE3ELNS1_3repE0EEENS1_30default_config_static_selectorELNS0_4arch9wavefront6targetE1EEEvT1_
; %bb.0:
	.section	.rodata,"a",@progbits
	.p2align	6, 0x0
	.amdhsa_kernel _ZN7rocprim17ROCPRIM_400000_NS6detail17trampoline_kernelINS0_14default_configENS1_25partition_config_selectorILNS1_17partition_subalgoE1ExNS0_10empty_typeEbEEZZNS1_14partition_implILS5_1ELb0ES3_jN6thrust23THRUST_200600_302600_NS6detail15normal_iteratorINSA_10device_ptrIxEEEEPS6_NSA_18transform_iteratorI7is_evenIxESF_NSA_11use_defaultESK_EENS0_5tupleIJNSA_16discard_iteratorISK_EESF_EEENSM_IJSG_SG_EEES6_PlJS6_EEE10hipError_tPvRmT3_T4_T5_T6_T7_T9_mT8_P12ihipStream_tbDpT10_ENKUlT_T0_E_clISt17integral_constantIbLb1EES1A_IbLb0EEEEDaS16_S17_EUlS16_E_NS1_11comp_targetILNS1_3genE9ELNS1_11target_archE1100ELNS1_3gpuE3ELNS1_3repE0EEENS1_30default_config_static_selectorELNS0_4arch9wavefront6targetE1EEEvT1_
		.amdhsa_group_segment_fixed_size 0
		.amdhsa_private_segment_fixed_size 0
		.amdhsa_kernarg_size 136
		.amdhsa_user_sgpr_count 2
		.amdhsa_user_sgpr_dispatch_ptr 0
		.amdhsa_user_sgpr_queue_ptr 0
		.amdhsa_user_sgpr_kernarg_segment_ptr 1
		.amdhsa_user_sgpr_dispatch_id 0
		.amdhsa_user_sgpr_kernarg_preload_length 0
		.amdhsa_user_sgpr_kernarg_preload_offset 0
		.amdhsa_user_sgpr_private_segment_size 0
		.amdhsa_uses_dynamic_stack 0
		.amdhsa_enable_private_segment 0
		.amdhsa_system_sgpr_workgroup_id_x 1
		.amdhsa_system_sgpr_workgroup_id_y 0
		.amdhsa_system_sgpr_workgroup_id_z 0
		.amdhsa_system_sgpr_workgroup_info 0
		.amdhsa_system_vgpr_workitem_id 0
		.amdhsa_next_free_vgpr 1
		.amdhsa_next_free_sgpr 0
		.amdhsa_accum_offset 4
		.amdhsa_reserve_vcc 0
		.amdhsa_float_round_mode_32 0
		.amdhsa_float_round_mode_16_64 0
		.amdhsa_float_denorm_mode_32 3
		.amdhsa_float_denorm_mode_16_64 3
		.amdhsa_dx10_clamp 1
		.amdhsa_ieee_mode 1
		.amdhsa_fp16_overflow 0
		.amdhsa_tg_split 0
		.amdhsa_exception_fp_ieee_invalid_op 0
		.amdhsa_exception_fp_denorm_src 0
		.amdhsa_exception_fp_ieee_div_zero 0
		.amdhsa_exception_fp_ieee_overflow 0
		.amdhsa_exception_fp_ieee_underflow 0
		.amdhsa_exception_fp_ieee_inexact 0
		.amdhsa_exception_int_div_zero 0
	.end_amdhsa_kernel
	.section	.text._ZN7rocprim17ROCPRIM_400000_NS6detail17trampoline_kernelINS0_14default_configENS1_25partition_config_selectorILNS1_17partition_subalgoE1ExNS0_10empty_typeEbEEZZNS1_14partition_implILS5_1ELb0ES3_jN6thrust23THRUST_200600_302600_NS6detail15normal_iteratorINSA_10device_ptrIxEEEEPS6_NSA_18transform_iteratorI7is_evenIxESF_NSA_11use_defaultESK_EENS0_5tupleIJNSA_16discard_iteratorISK_EESF_EEENSM_IJSG_SG_EEES6_PlJS6_EEE10hipError_tPvRmT3_T4_T5_T6_T7_T9_mT8_P12ihipStream_tbDpT10_ENKUlT_T0_E_clISt17integral_constantIbLb1EES1A_IbLb0EEEEDaS16_S17_EUlS16_E_NS1_11comp_targetILNS1_3genE9ELNS1_11target_archE1100ELNS1_3gpuE3ELNS1_3repE0EEENS1_30default_config_static_selectorELNS0_4arch9wavefront6targetE1EEEvT1_,"axG",@progbits,_ZN7rocprim17ROCPRIM_400000_NS6detail17trampoline_kernelINS0_14default_configENS1_25partition_config_selectorILNS1_17partition_subalgoE1ExNS0_10empty_typeEbEEZZNS1_14partition_implILS5_1ELb0ES3_jN6thrust23THRUST_200600_302600_NS6detail15normal_iteratorINSA_10device_ptrIxEEEEPS6_NSA_18transform_iteratorI7is_evenIxESF_NSA_11use_defaultESK_EENS0_5tupleIJNSA_16discard_iteratorISK_EESF_EEENSM_IJSG_SG_EEES6_PlJS6_EEE10hipError_tPvRmT3_T4_T5_T6_T7_T9_mT8_P12ihipStream_tbDpT10_ENKUlT_T0_E_clISt17integral_constantIbLb1EES1A_IbLb0EEEEDaS16_S17_EUlS16_E_NS1_11comp_targetILNS1_3genE9ELNS1_11target_archE1100ELNS1_3gpuE3ELNS1_3repE0EEENS1_30default_config_static_selectorELNS0_4arch9wavefront6targetE1EEEvT1_,comdat
.Lfunc_end3249:
	.size	_ZN7rocprim17ROCPRIM_400000_NS6detail17trampoline_kernelINS0_14default_configENS1_25partition_config_selectorILNS1_17partition_subalgoE1ExNS0_10empty_typeEbEEZZNS1_14partition_implILS5_1ELb0ES3_jN6thrust23THRUST_200600_302600_NS6detail15normal_iteratorINSA_10device_ptrIxEEEEPS6_NSA_18transform_iteratorI7is_evenIxESF_NSA_11use_defaultESK_EENS0_5tupleIJNSA_16discard_iteratorISK_EESF_EEENSM_IJSG_SG_EEES6_PlJS6_EEE10hipError_tPvRmT3_T4_T5_T6_T7_T9_mT8_P12ihipStream_tbDpT10_ENKUlT_T0_E_clISt17integral_constantIbLb1EES1A_IbLb0EEEEDaS16_S17_EUlS16_E_NS1_11comp_targetILNS1_3genE9ELNS1_11target_archE1100ELNS1_3gpuE3ELNS1_3repE0EEENS1_30default_config_static_selectorELNS0_4arch9wavefront6targetE1EEEvT1_, .Lfunc_end3249-_ZN7rocprim17ROCPRIM_400000_NS6detail17trampoline_kernelINS0_14default_configENS1_25partition_config_selectorILNS1_17partition_subalgoE1ExNS0_10empty_typeEbEEZZNS1_14partition_implILS5_1ELb0ES3_jN6thrust23THRUST_200600_302600_NS6detail15normal_iteratorINSA_10device_ptrIxEEEEPS6_NSA_18transform_iteratorI7is_evenIxESF_NSA_11use_defaultESK_EENS0_5tupleIJNSA_16discard_iteratorISK_EESF_EEENSM_IJSG_SG_EEES6_PlJS6_EEE10hipError_tPvRmT3_T4_T5_T6_T7_T9_mT8_P12ihipStream_tbDpT10_ENKUlT_T0_E_clISt17integral_constantIbLb1EES1A_IbLb0EEEEDaS16_S17_EUlS16_E_NS1_11comp_targetILNS1_3genE9ELNS1_11target_archE1100ELNS1_3gpuE3ELNS1_3repE0EEENS1_30default_config_static_selectorELNS0_4arch9wavefront6targetE1EEEvT1_
                                        ; -- End function
	.section	.AMDGPU.csdata,"",@progbits
; Kernel info:
; codeLenInByte = 0
; NumSgprs: 6
; NumVgprs: 0
; NumAgprs: 0
; TotalNumVgprs: 0
; ScratchSize: 0
; MemoryBound: 0
; FloatMode: 240
; IeeeMode: 1
; LDSByteSize: 0 bytes/workgroup (compile time only)
; SGPRBlocks: 0
; VGPRBlocks: 0
; NumSGPRsForWavesPerEU: 6
; NumVGPRsForWavesPerEU: 1
; AccumOffset: 4
; Occupancy: 8
; WaveLimiterHint : 0
; COMPUTE_PGM_RSRC2:SCRATCH_EN: 0
; COMPUTE_PGM_RSRC2:USER_SGPR: 2
; COMPUTE_PGM_RSRC2:TRAP_HANDLER: 0
; COMPUTE_PGM_RSRC2:TGID_X_EN: 1
; COMPUTE_PGM_RSRC2:TGID_Y_EN: 0
; COMPUTE_PGM_RSRC2:TGID_Z_EN: 0
; COMPUTE_PGM_RSRC2:TIDIG_COMP_CNT: 0
; COMPUTE_PGM_RSRC3_GFX90A:ACCUM_OFFSET: 0
; COMPUTE_PGM_RSRC3_GFX90A:TG_SPLIT: 0
	.section	.text._ZN7rocprim17ROCPRIM_400000_NS6detail17trampoline_kernelINS0_14default_configENS1_25partition_config_selectorILNS1_17partition_subalgoE1ExNS0_10empty_typeEbEEZZNS1_14partition_implILS5_1ELb0ES3_jN6thrust23THRUST_200600_302600_NS6detail15normal_iteratorINSA_10device_ptrIxEEEEPS6_NSA_18transform_iteratorI7is_evenIxESF_NSA_11use_defaultESK_EENS0_5tupleIJNSA_16discard_iteratorISK_EESF_EEENSM_IJSG_SG_EEES6_PlJS6_EEE10hipError_tPvRmT3_T4_T5_T6_T7_T9_mT8_P12ihipStream_tbDpT10_ENKUlT_T0_E_clISt17integral_constantIbLb1EES1A_IbLb0EEEEDaS16_S17_EUlS16_E_NS1_11comp_targetILNS1_3genE8ELNS1_11target_archE1030ELNS1_3gpuE2ELNS1_3repE0EEENS1_30default_config_static_selectorELNS0_4arch9wavefront6targetE1EEEvT1_,"axG",@progbits,_ZN7rocprim17ROCPRIM_400000_NS6detail17trampoline_kernelINS0_14default_configENS1_25partition_config_selectorILNS1_17partition_subalgoE1ExNS0_10empty_typeEbEEZZNS1_14partition_implILS5_1ELb0ES3_jN6thrust23THRUST_200600_302600_NS6detail15normal_iteratorINSA_10device_ptrIxEEEEPS6_NSA_18transform_iteratorI7is_evenIxESF_NSA_11use_defaultESK_EENS0_5tupleIJNSA_16discard_iteratorISK_EESF_EEENSM_IJSG_SG_EEES6_PlJS6_EEE10hipError_tPvRmT3_T4_T5_T6_T7_T9_mT8_P12ihipStream_tbDpT10_ENKUlT_T0_E_clISt17integral_constantIbLb1EES1A_IbLb0EEEEDaS16_S17_EUlS16_E_NS1_11comp_targetILNS1_3genE8ELNS1_11target_archE1030ELNS1_3gpuE2ELNS1_3repE0EEENS1_30default_config_static_selectorELNS0_4arch9wavefront6targetE1EEEvT1_,comdat
	.protected	_ZN7rocprim17ROCPRIM_400000_NS6detail17trampoline_kernelINS0_14default_configENS1_25partition_config_selectorILNS1_17partition_subalgoE1ExNS0_10empty_typeEbEEZZNS1_14partition_implILS5_1ELb0ES3_jN6thrust23THRUST_200600_302600_NS6detail15normal_iteratorINSA_10device_ptrIxEEEEPS6_NSA_18transform_iteratorI7is_evenIxESF_NSA_11use_defaultESK_EENS0_5tupleIJNSA_16discard_iteratorISK_EESF_EEENSM_IJSG_SG_EEES6_PlJS6_EEE10hipError_tPvRmT3_T4_T5_T6_T7_T9_mT8_P12ihipStream_tbDpT10_ENKUlT_T0_E_clISt17integral_constantIbLb1EES1A_IbLb0EEEEDaS16_S17_EUlS16_E_NS1_11comp_targetILNS1_3genE8ELNS1_11target_archE1030ELNS1_3gpuE2ELNS1_3repE0EEENS1_30default_config_static_selectorELNS0_4arch9wavefront6targetE1EEEvT1_ ; -- Begin function _ZN7rocprim17ROCPRIM_400000_NS6detail17trampoline_kernelINS0_14default_configENS1_25partition_config_selectorILNS1_17partition_subalgoE1ExNS0_10empty_typeEbEEZZNS1_14partition_implILS5_1ELb0ES3_jN6thrust23THRUST_200600_302600_NS6detail15normal_iteratorINSA_10device_ptrIxEEEEPS6_NSA_18transform_iteratorI7is_evenIxESF_NSA_11use_defaultESK_EENS0_5tupleIJNSA_16discard_iteratorISK_EESF_EEENSM_IJSG_SG_EEES6_PlJS6_EEE10hipError_tPvRmT3_T4_T5_T6_T7_T9_mT8_P12ihipStream_tbDpT10_ENKUlT_T0_E_clISt17integral_constantIbLb1EES1A_IbLb0EEEEDaS16_S17_EUlS16_E_NS1_11comp_targetILNS1_3genE8ELNS1_11target_archE1030ELNS1_3gpuE2ELNS1_3repE0EEENS1_30default_config_static_selectorELNS0_4arch9wavefront6targetE1EEEvT1_
	.globl	_ZN7rocprim17ROCPRIM_400000_NS6detail17trampoline_kernelINS0_14default_configENS1_25partition_config_selectorILNS1_17partition_subalgoE1ExNS0_10empty_typeEbEEZZNS1_14partition_implILS5_1ELb0ES3_jN6thrust23THRUST_200600_302600_NS6detail15normal_iteratorINSA_10device_ptrIxEEEEPS6_NSA_18transform_iteratorI7is_evenIxESF_NSA_11use_defaultESK_EENS0_5tupleIJNSA_16discard_iteratorISK_EESF_EEENSM_IJSG_SG_EEES6_PlJS6_EEE10hipError_tPvRmT3_T4_T5_T6_T7_T9_mT8_P12ihipStream_tbDpT10_ENKUlT_T0_E_clISt17integral_constantIbLb1EES1A_IbLb0EEEEDaS16_S17_EUlS16_E_NS1_11comp_targetILNS1_3genE8ELNS1_11target_archE1030ELNS1_3gpuE2ELNS1_3repE0EEENS1_30default_config_static_selectorELNS0_4arch9wavefront6targetE1EEEvT1_
	.p2align	8
	.type	_ZN7rocprim17ROCPRIM_400000_NS6detail17trampoline_kernelINS0_14default_configENS1_25partition_config_selectorILNS1_17partition_subalgoE1ExNS0_10empty_typeEbEEZZNS1_14partition_implILS5_1ELb0ES3_jN6thrust23THRUST_200600_302600_NS6detail15normal_iteratorINSA_10device_ptrIxEEEEPS6_NSA_18transform_iteratorI7is_evenIxESF_NSA_11use_defaultESK_EENS0_5tupleIJNSA_16discard_iteratorISK_EESF_EEENSM_IJSG_SG_EEES6_PlJS6_EEE10hipError_tPvRmT3_T4_T5_T6_T7_T9_mT8_P12ihipStream_tbDpT10_ENKUlT_T0_E_clISt17integral_constantIbLb1EES1A_IbLb0EEEEDaS16_S17_EUlS16_E_NS1_11comp_targetILNS1_3genE8ELNS1_11target_archE1030ELNS1_3gpuE2ELNS1_3repE0EEENS1_30default_config_static_selectorELNS0_4arch9wavefront6targetE1EEEvT1_,@function
_ZN7rocprim17ROCPRIM_400000_NS6detail17trampoline_kernelINS0_14default_configENS1_25partition_config_selectorILNS1_17partition_subalgoE1ExNS0_10empty_typeEbEEZZNS1_14partition_implILS5_1ELb0ES3_jN6thrust23THRUST_200600_302600_NS6detail15normal_iteratorINSA_10device_ptrIxEEEEPS6_NSA_18transform_iteratorI7is_evenIxESF_NSA_11use_defaultESK_EENS0_5tupleIJNSA_16discard_iteratorISK_EESF_EEENSM_IJSG_SG_EEES6_PlJS6_EEE10hipError_tPvRmT3_T4_T5_T6_T7_T9_mT8_P12ihipStream_tbDpT10_ENKUlT_T0_E_clISt17integral_constantIbLb1EES1A_IbLb0EEEEDaS16_S17_EUlS16_E_NS1_11comp_targetILNS1_3genE8ELNS1_11target_archE1030ELNS1_3gpuE2ELNS1_3repE0EEENS1_30default_config_static_selectorELNS0_4arch9wavefront6targetE1EEEvT1_: ; @_ZN7rocprim17ROCPRIM_400000_NS6detail17trampoline_kernelINS0_14default_configENS1_25partition_config_selectorILNS1_17partition_subalgoE1ExNS0_10empty_typeEbEEZZNS1_14partition_implILS5_1ELb0ES3_jN6thrust23THRUST_200600_302600_NS6detail15normal_iteratorINSA_10device_ptrIxEEEEPS6_NSA_18transform_iteratorI7is_evenIxESF_NSA_11use_defaultESK_EENS0_5tupleIJNSA_16discard_iteratorISK_EESF_EEENSM_IJSG_SG_EEES6_PlJS6_EEE10hipError_tPvRmT3_T4_T5_T6_T7_T9_mT8_P12ihipStream_tbDpT10_ENKUlT_T0_E_clISt17integral_constantIbLb1EES1A_IbLb0EEEEDaS16_S17_EUlS16_E_NS1_11comp_targetILNS1_3genE8ELNS1_11target_archE1030ELNS1_3gpuE2ELNS1_3repE0EEENS1_30default_config_static_selectorELNS0_4arch9wavefront6targetE1EEEvT1_
; %bb.0:
	.section	.rodata,"a",@progbits
	.p2align	6, 0x0
	.amdhsa_kernel _ZN7rocprim17ROCPRIM_400000_NS6detail17trampoline_kernelINS0_14default_configENS1_25partition_config_selectorILNS1_17partition_subalgoE1ExNS0_10empty_typeEbEEZZNS1_14partition_implILS5_1ELb0ES3_jN6thrust23THRUST_200600_302600_NS6detail15normal_iteratorINSA_10device_ptrIxEEEEPS6_NSA_18transform_iteratorI7is_evenIxESF_NSA_11use_defaultESK_EENS0_5tupleIJNSA_16discard_iteratorISK_EESF_EEENSM_IJSG_SG_EEES6_PlJS6_EEE10hipError_tPvRmT3_T4_T5_T6_T7_T9_mT8_P12ihipStream_tbDpT10_ENKUlT_T0_E_clISt17integral_constantIbLb1EES1A_IbLb0EEEEDaS16_S17_EUlS16_E_NS1_11comp_targetILNS1_3genE8ELNS1_11target_archE1030ELNS1_3gpuE2ELNS1_3repE0EEENS1_30default_config_static_selectorELNS0_4arch9wavefront6targetE1EEEvT1_
		.amdhsa_group_segment_fixed_size 0
		.amdhsa_private_segment_fixed_size 0
		.amdhsa_kernarg_size 136
		.amdhsa_user_sgpr_count 2
		.amdhsa_user_sgpr_dispatch_ptr 0
		.amdhsa_user_sgpr_queue_ptr 0
		.amdhsa_user_sgpr_kernarg_segment_ptr 1
		.amdhsa_user_sgpr_dispatch_id 0
		.amdhsa_user_sgpr_kernarg_preload_length 0
		.amdhsa_user_sgpr_kernarg_preload_offset 0
		.amdhsa_user_sgpr_private_segment_size 0
		.amdhsa_uses_dynamic_stack 0
		.amdhsa_enable_private_segment 0
		.amdhsa_system_sgpr_workgroup_id_x 1
		.amdhsa_system_sgpr_workgroup_id_y 0
		.amdhsa_system_sgpr_workgroup_id_z 0
		.amdhsa_system_sgpr_workgroup_info 0
		.amdhsa_system_vgpr_workitem_id 0
		.amdhsa_next_free_vgpr 1
		.amdhsa_next_free_sgpr 0
		.amdhsa_accum_offset 4
		.amdhsa_reserve_vcc 0
		.amdhsa_float_round_mode_32 0
		.amdhsa_float_round_mode_16_64 0
		.amdhsa_float_denorm_mode_32 3
		.amdhsa_float_denorm_mode_16_64 3
		.amdhsa_dx10_clamp 1
		.amdhsa_ieee_mode 1
		.amdhsa_fp16_overflow 0
		.amdhsa_tg_split 0
		.amdhsa_exception_fp_ieee_invalid_op 0
		.amdhsa_exception_fp_denorm_src 0
		.amdhsa_exception_fp_ieee_div_zero 0
		.amdhsa_exception_fp_ieee_overflow 0
		.amdhsa_exception_fp_ieee_underflow 0
		.amdhsa_exception_fp_ieee_inexact 0
		.amdhsa_exception_int_div_zero 0
	.end_amdhsa_kernel
	.section	.text._ZN7rocprim17ROCPRIM_400000_NS6detail17trampoline_kernelINS0_14default_configENS1_25partition_config_selectorILNS1_17partition_subalgoE1ExNS0_10empty_typeEbEEZZNS1_14partition_implILS5_1ELb0ES3_jN6thrust23THRUST_200600_302600_NS6detail15normal_iteratorINSA_10device_ptrIxEEEEPS6_NSA_18transform_iteratorI7is_evenIxESF_NSA_11use_defaultESK_EENS0_5tupleIJNSA_16discard_iteratorISK_EESF_EEENSM_IJSG_SG_EEES6_PlJS6_EEE10hipError_tPvRmT3_T4_T5_T6_T7_T9_mT8_P12ihipStream_tbDpT10_ENKUlT_T0_E_clISt17integral_constantIbLb1EES1A_IbLb0EEEEDaS16_S17_EUlS16_E_NS1_11comp_targetILNS1_3genE8ELNS1_11target_archE1030ELNS1_3gpuE2ELNS1_3repE0EEENS1_30default_config_static_selectorELNS0_4arch9wavefront6targetE1EEEvT1_,"axG",@progbits,_ZN7rocprim17ROCPRIM_400000_NS6detail17trampoline_kernelINS0_14default_configENS1_25partition_config_selectorILNS1_17partition_subalgoE1ExNS0_10empty_typeEbEEZZNS1_14partition_implILS5_1ELb0ES3_jN6thrust23THRUST_200600_302600_NS6detail15normal_iteratorINSA_10device_ptrIxEEEEPS6_NSA_18transform_iteratorI7is_evenIxESF_NSA_11use_defaultESK_EENS0_5tupleIJNSA_16discard_iteratorISK_EESF_EEENSM_IJSG_SG_EEES6_PlJS6_EEE10hipError_tPvRmT3_T4_T5_T6_T7_T9_mT8_P12ihipStream_tbDpT10_ENKUlT_T0_E_clISt17integral_constantIbLb1EES1A_IbLb0EEEEDaS16_S17_EUlS16_E_NS1_11comp_targetILNS1_3genE8ELNS1_11target_archE1030ELNS1_3gpuE2ELNS1_3repE0EEENS1_30default_config_static_selectorELNS0_4arch9wavefront6targetE1EEEvT1_,comdat
.Lfunc_end3250:
	.size	_ZN7rocprim17ROCPRIM_400000_NS6detail17trampoline_kernelINS0_14default_configENS1_25partition_config_selectorILNS1_17partition_subalgoE1ExNS0_10empty_typeEbEEZZNS1_14partition_implILS5_1ELb0ES3_jN6thrust23THRUST_200600_302600_NS6detail15normal_iteratorINSA_10device_ptrIxEEEEPS6_NSA_18transform_iteratorI7is_evenIxESF_NSA_11use_defaultESK_EENS0_5tupleIJNSA_16discard_iteratorISK_EESF_EEENSM_IJSG_SG_EEES6_PlJS6_EEE10hipError_tPvRmT3_T4_T5_T6_T7_T9_mT8_P12ihipStream_tbDpT10_ENKUlT_T0_E_clISt17integral_constantIbLb1EES1A_IbLb0EEEEDaS16_S17_EUlS16_E_NS1_11comp_targetILNS1_3genE8ELNS1_11target_archE1030ELNS1_3gpuE2ELNS1_3repE0EEENS1_30default_config_static_selectorELNS0_4arch9wavefront6targetE1EEEvT1_, .Lfunc_end3250-_ZN7rocprim17ROCPRIM_400000_NS6detail17trampoline_kernelINS0_14default_configENS1_25partition_config_selectorILNS1_17partition_subalgoE1ExNS0_10empty_typeEbEEZZNS1_14partition_implILS5_1ELb0ES3_jN6thrust23THRUST_200600_302600_NS6detail15normal_iteratorINSA_10device_ptrIxEEEEPS6_NSA_18transform_iteratorI7is_evenIxESF_NSA_11use_defaultESK_EENS0_5tupleIJNSA_16discard_iteratorISK_EESF_EEENSM_IJSG_SG_EEES6_PlJS6_EEE10hipError_tPvRmT3_T4_T5_T6_T7_T9_mT8_P12ihipStream_tbDpT10_ENKUlT_T0_E_clISt17integral_constantIbLb1EES1A_IbLb0EEEEDaS16_S17_EUlS16_E_NS1_11comp_targetILNS1_3genE8ELNS1_11target_archE1030ELNS1_3gpuE2ELNS1_3repE0EEENS1_30default_config_static_selectorELNS0_4arch9wavefront6targetE1EEEvT1_
                                        ; -- End function
	.section	.AMDGPU.csdata,"",@progbits
; Kernel info:
; codeLenInByte = 0
; NumSgprs: 6
; NumVgprs: 0
; NumAgprs: 0
; TotalNumVgprs: 0
; ScratchSize: 0
; MemoryBound: 0
; FloatMode: 240
; IeeeMode: 1
; LDSByteSize: 0 bytes/workgroup (compile time only)
; SGPRBlocks: 0
; VGPRBlocks: 0
; NumSGPRsForWavesPerEU: 6
; NumVGPRsForWavesPerEU: 1
; AccumOffset: 4
; Occupancy: 8
; WaveLimiterHint : 0
; COMPUTE_PGM_RSRC2:SCRATCH_EN: 0
; COMPUTE_PGM_RSRC2:USER_SGPR: 2
; COMPUTE_PGM_RSRC2:TRAP_HANDLER: 0
; COMPUTE_PGM_RSRC2:TGID_X_EN: 1
; COMPUTE_PGM_RSRC2:TGID_Y_EN: 0
; COMPUTE_PGM_RSRC2:TGID_Z_EN: 0
; COMPUTE_PGM_RSRC2:TIDIG_COMP_CNT: 0
; COMPUTE_PGM_RSRC3_GFX90A:ACCUM_OFFSET: 0
; COMPUTE_PGM_RSRC3_GFX90A:TG_SPLIT: 0
	.section	.text._ZN7rocprim17ROCPRIM_400000_NS6detail17trampoline_kernelINS0_14default_configENS1_25partition_config_selectorILNS1_17partition_subalgoE1ExNS0_10empty_typeEbEEZZNS1_14partition_implILS5_1ELb0ES3_jN6thrust23THRUST_200600_302600_NS6detail15normal_iteratorINSA_10device_ptrIxEEEEPS6_NSA_18transform_iteratorI7is_evenIxESF_NSA_11use_defaultESK_EENS0_5tupleIJNSA_16discard_iteratorISK_EESF_EEENSM_IJSG_SG_EEES6_PlJS6_EEE10hipError_tPvRmT3_T4_T5_T6_T7_T9_mT8_P12ihipStream_tbDpT10_ENKUlT_T0_E_clISt17integral_constantIbLb0EES1A_IbLb1EEEEDaS16_S17_EUlS16_E_NS1_11comp_targetILNS1_3genE0ELNS1_11target_archE4294967295ELNS1_3gpuE0ELNS1_3repE0EEENS1_30default_config_static_selectorELNS0_4arch9wavefront6targetE1EEEvT1_,"axG",@progbits,_ZN7rocprim17ROCPRIM_400000_NS6detail17trampoline_kernelINS0_14default_configENS1_25partition_config_selectorILNS1_17partition_subalgoE1ExNS0_10empty_typeEbEEZZNS1_14partition_implILS5_1ELb0ES3_jN6thrust23THRUST_200600_302600_NS6detail15normal_iteratorINSA_10device_ptrIxEEEEPS6_NSA_18transform_iteratorI7is_evenIxESF_NSA_11use_defaultESK_EENS0_5tupleIJNSA_16discard_iteratorISK_EESF_EEENSM_IJSG_SG_EEES6_PlJS6_EEE10hipError_tPvRmT3_T4_T5_T6_T7_T9_mT8_P12ihipStream_tbDpT10_ENKUlT_T0_E_clISt17integral_constantIbLb0EES1A_IbLb1EEEEDaS16_S17_EUlS16_E_NS1_11comp_targetILNS1_3genE0ELNS1_11target_archE4294967295ELNS1_3gpuE0ELNS1_3repE0EEENS1_30default_config_static_selectorELNS0_4arch9wavefront6targetE1EEEvT1_,comdat
	.protected	_ZN7rocprim17ROCPRIM_400000_NS6detail17trampoline_kernelINS0_14default_configENS1_25partition_config_selectorILNS1_17partition_subalgoE1ExNS0_10empty_typeEbEEZZNS1_14partition_implILS5_1ELb0ES3_jN6thrust23THRUST_200600_302600_NS6detail15normal_iteratorINSA_10device_ptrIxEEEEPS6_NSA_18transform_iteratorI7is_evenIxESF_NSA_11use_defaultESK_EENS0_5tupleIJNSA_16discard_iteratorISK_EESF_EEENSM_IJSG_SG_EEES6_PlJS6_EEE10hipError_tPvRmT3_T4_T5_T6_T7_T9_mT8_P12ihipStream_tbDpT10_ENKUlT_T0_E_clISt17integral_constantIbLb0EES1A_IbLb1EEEEDaS16_S17_EUlS16_E_NS1_11comp_targetILNS1_3genE0ELNS1_11target_archE4294967295ELNS1_3gpuE0ELNS1_3repE0EEENS1_30default_config_static_selectorELNS0_4arch9wavefront6targetE1EEEvT1_ ; -- Begin function _ZN7rocprim17ROCPRIM_400000_NS6detail17trampoline_kernelINS0_14default_configENS1_25partition_config_selectorILNS1_17partition_subalgoE1ExNS0_10empty_typeEbEEZZNS1_14partition_implILS5_1ELb0ES3_jN6thrust23THRUST_200600_302600_NS6detail15normal_iteratorINSA_10device_ptrIxEEEEPS6_NSA_18transform_iteratorI7is_evenIxESF_NSA_11use_defaultESK_EENS0_5tupleIJNSA_16discard_iteratorISK_EESF_EEENSM_IJSG_SG_EEES6_PlJS6_EEE10hipError_tPvRmT3_T4_T5_T6_T7_T9_mT8_P12ihipStream_tbDpT10_ENKUlT_T0_E_clISt17integral_constantIbLb0EES1A_IbLb1EEEEDaS16_S17_EUlS16_E_NS1_11comp_targetILNS1_3genE0ELNS1_11target_archE4294967295ELNS1_3gpuE0ELNS1_3repE0EEENS1_30default_config_static_selectorELNS0_4arch9wavefront6targetE1EEEvT1_
	.globl	_ZN7rocprim17ROCPRIM_400000_NS6detail17trampoline_kernelINS0_14default_configENS1_25partition_config_selectorILNS1_17partition_subalgoE1ExNS0_10empty_typeEbEEZZNS1_14partition_implILS5_1ELb0ES3_jN6thrust23THRUST_200600_302600_NS6detail15normal_iteratorINSA_10device_ptrIxEEEEPS6_NSA_18transform_iteratorI7is_evenIxESF_NSA_11use_defaultESK_EENS0_5tupleIJNSA_16discard_iteratorISK_EESF_EEENSM_IJSG_SG_EEES6_PlJS6_EEE10hipError_tPvRmT3_T4_T5_T6_T7_T9_mT8_P12ihipStream_tbDpT10_ENKUlT_T0_E_clISt17integral_constantIbLb0EES1A_IbLb1EEEEDaS16_S17_EUlS16_E_NS1_11comp_targetILNS1_3genE0ELNS1_11target_archE4294967295ELNS1_3gpuE0ELNS1_3repE0EEENS1_30default_config_static_selectorELNS0_4arch9wavefront6targetE1EEEvT1_
	.p2align	8
	.type	_ZN7rocprim17ROCPRIM_400000_NS6detail17trampoline_kernelINS0_14default_configENS1_25partition_config_selectorILNS1_17partition_subalgoE1ExNS0_10empty_typeEbEEZZNS1_14partition_implILS5_1ELb0ES3_jN6thrust23THRUST_200600_302600_NS6detail15normal_iteratorINSA_10device_ptrIxEEEEPS6_NSA_18transform_iteratorI7is_evenIxESF_NSA_11use_defaultESK_EENS0_5tupleIJNSA_16discard_iteratorISK_EESF_EEENSM_IJSG_SG_EEES6_PlJS6_EEE10hipError_tPvRmT3_T4_T5_T6_T7_T9_mT8_P12ihipStream_tbDpT10_ENKUlT_T0_E_clISt17integral_constantIbLb0EES1A_IbLb1EEEEDaS16_S17_EUlS16_E_NS1_11comp_targetILNS1_3genE0ELNS1_11target_archE4294967295ELNS1_3gpuE0ELNS1_3repE0EEENS1_30default_config_static_selectorELNS0_4arch9wavefront6targetE1EEEvT1_,@function
_ZN7rocprim17ROCPRIM_400000_NS6detail17trampoline_kernelINS0_14default_configENS1_25partition_config_selectorILNS1_17partition_subalgoE1ExNS0_10empty_typeEbEEZZNS1_14partition_implILS5_1ELb0ES3_jN6thrust23THRUST_200600_302600_NS6detail15normal_iteratorINSA_10device_ptrIxEEEEPS6_NSA_18transform_iteratorI7is_evenIxESF_NSA_11use_defaultESK_EENS0_5tupleIJNSA_16discard_iteratorISK_EESF_EEENSM_IJSG_SG_EEES6_PlJS6_EEE10hipError_tPvRmT3_T4_T5_T6_T7_T9_mT8_P12ihipStream_tbDpT10_ENKUlT_T0_E_clISt17integral_constantIbLb0EES1A_IbLb1EEEEDaS16_S17_EUlS16_E_NS1_11comp_targetILNS1_3genE0ELNS1_11target_archE4294967295ELNS1_3gpuE0ELNS1_3repE0EEENS1_30default_config_static_selectorELNS0_4arch9wavefront6targetE1EEEvT1_: ; @_ZN7rocprim17ROCPRIM_400000_NS6detail17trampoline_kernelINS0_14default_configENS1_25partition_config_selectorILNS1_17partition_subalgoE1ExNS0_10empty_typeEbEEZZNS1_14partition_implILS5_1ELb0ES3_jN6thrust23THRUST_200600_302600_NS6detail15normal_iteratorINSA_10device_ptrIxEEEEPS6_NSA_18transform_iteratorI7is_evenIxESF_NSA_11use_defaultESK_EENS0_5tupleIJNSA_16discard_iteratorISK_EESF_EEENSM_IJSG_SG_EEES6_PlJS6_EEE10hipError_tPvRmT3_T4_T5_T6_T7_T9_mT8_P12ihipStream_tbDpT10_ENKUlT_T0_E_clISt17integral_constantIbLb0EES1A_IbLb1EEEEDaS16_S17_EUlS16_E_NS1_11comp_targetILNS1_3genE0ELNS1_11target_archE4294967295ELNS1_3gpuE0ELNS1_3repE0EEENS1_30default_config_static_selectorELNS0_4arch9wavefront6targetE1EEEvT1_
; %bb.0:
	.section	.rodata,"a",@progbits
	.p2align	6, 0x0
	.amdhsa_kernel _ZN7rocprim17ROCPRIM_400000_NS6detail17trampoline_kernelINS0_14default_configENS1_25partition_config_selectorILNS1_17partition_subalgoE1ExNS0_10empty_typeEbEEZZNS1_14partition_implILS5_1ELb0ES3_jN6thrust23THRUST_200600_302600_NS6detail15normal_iteratorINSA_10device_ptrIxEEEEPS6_NSA_18transform_iteratorI7is_evenIxESF_NSA_11use_defaultESK_EENS0_5tupleIJNSA_16discard_iteratorISK_EESF_EEENSM_IJSG_SG_EEES6_PlJS6_EEE10hipError_tPvRmT3_T4_T5_T6_T7_T9_mT8_P12ihipStream_tbDpT10_ENKUlT_T0_E_clISt17integral_constantIbLb0EES1A_IbLb1EEEEDaS16_S17_EUlS16_E_NS1_11comp_targetILNS1_3genE0ELNS1_11target_archE4294967295ELNS1_3gpuE0ELNS1_3repE0EEENS1_30default_config_static_selectorELNS0_4arch9wavefront6targetE1EEEvT1_
		.amdhsa_group_segment_fixed_size 0
		.amdhsa_private_segment_fixed_size 0
		.amdhsa_kernarg_size 152
		.amdhsa_user_sgpr_count 2
		.amdhsa_user_sgpr_dispatch_ptr 0
		.amdhsa_user_sgpr_queue_ptr 0
		.amdhsa_user_sgpr_kernarg_segment_ptr 1
		.amdhsa_user_sgpr_dispatch_id 0
		.amdhsa_user_sgpr_kernarg_preload_length 0
		.amdhsa_user_sgpr_kernarg_preload_offset 0
		.amdhsa_user_sgpr_private_segment_size 0
		.amdhsa_uses_dynamic_stack 0
		.amdhsa_enable_private_segment 0
		.amdhsa_system_sgpr_workgroup_id_x 1
		.amdhsa_system_sgpr_workgroup_id_y 0
		.amdhsa_system_sgpr_workgroup_id_z 0
		.amdhsa_system_sgpr_workgroup_info 0
		.amdhsa_system_vgpr_workitem_id 0
		.amdhsa_next_free_vgpr 1
		.amdhsa_next_free_sgpr 0
		.amdhsa_accum_offset 4
		.amdhsa_reserve_vcc 0
		.amdhsa_float_round_mode_32 0
		.amdhsa_float_round_mode_16_64 0
		.amdhsa_float_denorm_mode_32 3
		.amdhsa_float_denorm_mode_16_64 3
		.amdhsa_dx10_clamp 1
		.amdhsa_ieee_mode 1
		.amdhsa_fp16_overflow 0
		.amdhsa_tg_split 0
		.amdhsa_exception_fp_ieee_invalid_op 0
		.amdhsa_exception_fp_denorm_src 0
		.amdhsa_exception_fp_ieee_div_zero 0
		.amdhsa_exception_fp_ieee_overflow 0
		.amdhsa_exception_fp_ieee_underflow 0
		.amdhsa_exception_fp_ieee_inexact 0
		.amdhsa_exception_int_div_zero 0
	.end_amdhsa_kernel
	.section	.text._ZN7rocprim17ROCPRIM_400000_NS6detail17trampoline_kernelINS0_14default_configENS1_25partition_config_selectorILNS1_17partition_subalgoE1ExNS0_10empty_typeEbEEZZNS1_14partition_implILS5_1ELb0ES3_jN6thrust23THRUST_200600_302600_NS6detail15normal_iteratorINSA_10device_ptrIxEEEEPS6_NSA_18transform_iteratorI7is_evenIxESF_NSA_11use_defaultESK_EENS0_5tupleIJNSA_16discard_iteratorISK_EESF_EEENSM_IJSG_SG_EEES6_PlJS6_EEE10hipError_tPvRmT3_T4_T5_T6_T7_T9_mT8_P12ihipStream_tbDpT10_ENKUlT_T0_E_clISt17integral_constantIbLb0EES1A_IbLb1EEEEDaS16_S17_EUlS16_E_NS1_11comp_targetILNS1_3genE0ELNS1_11target_archE4294967295ELNS1_3gpuE0ELNS1_3repE0EEENS1_30default_config_static_selectorELNS0_4arch9wavefront6targetE1EEEvT1_,"axG",@progbits,_ZN7rocprim17ROCPRIM_400000_NS6detail17trampoline_kernelINS0_14default_configENS1_25partition_config_selectorILNS1_17partition_subalgoE1ExNS0_10empty_typeEbEEZZNS1_14partition_implILS5_1ELb0ES3_jN6thrust23THRUST_200600_302600_NS6detail15normal_iteratorINSA_10device_ptrIxEEEEPS6_NSA_18transform_iteratorI7is_evenIxESF_NSA_11use_defaultESK_EENS0_5tupleIJNSA_16discard_iteratorISK_EESF_EEENSM_IJSG_SG_EEES6_PlJS6_EEE10hipError_tPvRmT3_T4_T5_T6_T7_T9_mT8_P12ihipStream_tbDpT10_ENKUlT_T0_E_clISt17integral_constantIbLb0EES1A_IbLb1EEEEDaS16_S17_EUlS16_E_NS1_11comp_targetILNS1_3genE0ELNS1_11target_archE4294967295ELNS1_3gpuE0ELNS1_3repE0EEENS1_30default_config_static_selectorELNS0_4arch9wavefront6targetE1EEEvT1_,comdat
.Lfunc_end3251:
	.size	_ZN7rocprim17ROCPRIM_400000_NS6detail17trampoline_kernelINS0_14default_configENS1_25partition_config_selectorILNS1_17partition_subalgoE1ExNS0_10empty_typeEbEEZZNS1_14partition_implILS5_1ELb0ES3_jN6thrust23THRUST_200600_302600_NS6detail15normal_iteratorINSA_10device_ptrIxEEEEPS6_NSA_18transform_iteratorI7is_evenIxESF_NSA_11use_defaultESK_EENS0_5tupleIJNSA_16discard_iteratorISK_EESF_EEENSM_IJSG_SG_EEES6_PlJS6_EEE10hipError_tPvRmT3_T4_T5_T6_T7_T9_mT8_P12ihipStream_tbDpT10_ENKUlT_T0_E_clISt17integral_constantIbLb0EES1A_IbLb1EEEEDaS16_S17_EUlS16_E_NS1_11comp_targetILNS1_3genE0ELNS1_11target_archE4294967295ELNS1_3gpuE0ELNS1_3repE0EEENS1_30default_config_static_selectorELNS0_4arch9wavefront6targetE1EEEvT1_, .Lfunc_end3251-_ZN7rocprim17ROCPRIM_400000_NS6detail17trampoline_kernelINS0_14default_configENS1_25partition_config_selectorILNS1_17partition_subalgoE1ExNS0_10empty_typeEbEEZZNS1_14partition_implILS5_1ELb0ES3_jN6thrust23THRUST_200600_302600_NS6detail15normal_iteratorINSA_10device_ptrIxEEEEPS6_NSA_18transform_iteratorI7is_evenIxESF_NSA_11use_defaultESK_EENS0_5tupleIJNSA_16discard_iteratorISK_EESF_EEENSM_IJSG_SG_EEES6_PlJS6_EEE10hipError_tPvRmT3_T4_T5_T6_T7_T9_mT8_P12ihipStream_tbDpT10_ENKUlT_T0_E_clISt17integral_constantIbLb0EES1A_IbLb1EEEEDaS16_S17_EUlS16_E_NS1_11comp_targetILNS1_3genE0ELNS1_11target_archE4294967295ELNS1_3gpuE0ELNS1_3repE0EEENS1_30default_config_static_selectorELNS0_4arch9wavefront6targetE1EEEvT1_
                                        ; -- End function
	.section	.AMDGPU.csdata,"",@progbits
; Kernel info:
; codeLenInByte = 0
; NumSgprs: 6
; NumVgprs: 0
; NumAgprs: 0
; TotalNumVgprs: 0
; ScratchSize: 0
; MemoryBound: 0
; FloatMode: 240
; IeeeMode: 1
; LDSByteSize: 0 bytes/workgroup (compile time only)
; SGPRBlocks: 0
; VGPRBlocks: 0
; NumSGPRsForWavesPerEU: 6
; NumVGPRsForWavesPerEU: 1
; AccumOffset: 4
; Occupancy: 8
; WaveLimiterHint : 0
; COMPUTE_PGM_RSRC2:SCRATCH_EN: 0
; COMPUTE_PGM_RSRC2:USER_SGPR: 2
; COMPUTE_PGM_RSRC2:TRAP_HANDLER: 0
; COMPUTE_PGM_RSRC2:TGID_X_EN: 1
; COMPUTE_PGM_RSRC2:TGID_Y_EN: 0
; COMPUTE_PGM_RSRC2:TGID_Z_EN: 0
; COMPUTE_PGM_RSRC2:TIDIG_COMP_CNT: 0
; COMPUTE_PGM_RSRC3_GFX90A:ACCUM_OFFSET: 0
; COMPUTE_PGM_RSRC3_GFX90A:TG_SPLIT: 0
	.section	.text._ZN7rocprim17ROCPRIM_400000_NS6detail17trampoline_kernelINS0_14default_configENS1_25partition_config_selectorILNS1_17partition_subalgoE1ExNS0_10empty_typeEbEEZZNS1_14partition_implILS5_1ELb0ES3_jN6thrust23THRUST_200600_302600_NS6detail15normal_iteratorINSA_10device_ptrIxEEEEPS6_NSA_18transform_iteratorI7is_evenIxESF_NSA_11use_defaultESK_EENS0_5tupleIJNSA_16discard_iteratorISK_EESF_EEENSM_IJSG_SG_EEES6_PlJS6_EEE10hipError_tPvRmT3_T4_T5_T6_T7_T9_mT8_P12ihipStream_tbDpT10_ENKUlT_T0_E_clISt17integral_constantIbLb0EES1A_IbLb1EEEEDaS16_S17_EUlS16_E_NS1_11comp_targetILNS1_3genE5ELNS1_11target_archE942ELNS1_3gpuE9ELNS1_3repE0EEENS1_30default_config_static_selectorELNS0_4arch9wavefront6targetE1EEEvT1_,"axG",@progbits,_ZN7rocprim17ROCPRIM_400000_NS6detail17trampoline_kernelINS0_14default_configENS1_25partition_config_selectorILNS1_17partition_subalgoE1ExNS0_10empty_typeEbEEZZNS1_14partition_implILS5_1ELb0ES3_jN6thrust23THRUST_200600_302600_NS6detail15normal_iteratorINSA_10device_ptrIxEEEEPS6_NSA_18transform_iteratorI7is_evenIxESF_NSA_11use_defaultESK_EENS0_5tupleIJNSA_16discard_iteratorISK_EESF_EEENSM_IJSG_SG_EEES6_PlJS6_EEE10hipError_tPvRmT3_T4_T5_T6_T7_T9_mT8_P12ihipStream_tbDpT10_ENKUlT_T0_E_clISt17integral_constantIbLb0EES1A_IbLb1EEEEDaS16_S17_EUlS16_E_NS1_11comp_targetILNS1_3genE5ELNS1_11target_archE942ELNS1_3gpuE9ELNS1_3repE0EEENS1_30default_config_static_selectorELNS0_4arch9wavefront6targetE1EEEvT1_,comdat
	.protected	_ZN7rocprim17ROCPRIM_400000_NS6detail17trampoline_kernelINS0_14default_configENS1_25partition_config_selectorILNS1_17partition_subalgoE1ExNS0_10empty_typeEbEEZZNS1_14partition_implILS5_1ELb0ES3_jN6thrust23THRUST_200600_302600_NS6detail15normal_iteratorINSA_10device_ptrIxEEEEPS6_NSA_18transform_iteratorI7is_evenIxESF_NSA_11use_defaultESK_EENS0_5tupleIJNSA_16discard_iteratorISK_EESF_EEENSM_IJSG_SG_EEES6_PlJS6_EEE10hipError_tPvRmT3_T4_T5_T6_T7_T9_mT8_P12ihipStream_tbDpT10_ENKUlT_T0_E_clISt17integral_constantIbLb0EES1A_IbLb1EEEEDaS16_S17_EUlS16_E_NS1_11comp_targetILNS1_3genE5ELNS1_11target_archE942ELNS1_3gpuE9ELNS1_3repE0EEENS1_30default_config_static_selectorELNS0_4arch9wavefront6targetE1EEEvT1_ ; -- Begin function _ZN7rocprim17ROCPRIM_400000_NS6detail17trampoline_kernelINS0_14default_configENS1_25partition_config_selectorILNS1_17partition_subalgoE1ExNS0_10empty_typeEbEEZZNS1_14partition_implILS5_1ELb0ES3_jN6thrust23THRUST_200600_302600_NS6detail15normal_iteratorINSA_10device_ptrIxEEEEPS6_NSA_18transform_iteratorI7is_evenIxESF_NSA_11use_defaultESK_EENS0_5tupleIJNSA_16discard_iteratorISK_EESF_EEENSM_IJSG_SG_EEES6_PlJS6_EEE10hipError_tPvRmT3_T4_T5_T6_T7_T9_mT8_P12ihipStream_tbDpT10_ENKUlT_T0_E_clISt17integral_constantIbLb0EES1A_IbLb1EEEEDaS16_S17_EUlS16_E_NS1_11comp_targetILNS1_3genE5ELNS1_11target_archE942ELNS1_3gpuE9ELNS1_3repE0EEENS1_30default_config_static_selectorELNS0_4arch9wavefront6targetE1EEEvT1_
	.globl	_ZN7rocprim17ROCPRIM_400000_NS6detail17trampoline_kernelINS0_14default_configENS1_25partition_config_selectorILNS1_17partition_subalgoE1ExNS0_10empty_typeEbEEZZNS1_14partition_implILS5_1ELb0ES3_jN6thrust23THRUST_200600_302600_NS6detail15normal_iteratorINSA_10device_ptrIxEEEEPS6_NSA_18transform_iteratorI7is_evenIxESF_NSA_11use_defaultESK_EENS0_5tupleIJNSA_16discard_iteratorISK_EESF_EEENSM_IJSG_SG_EEES6_PlJS6_EEE10hipError_tPvRmT3_T4_T5_T6_T7_T9_mT8_P12ihipStream_tbDpT10_ENKUlT_T0_E_clISt17integral_constantIbLb0EES1A_IbLb1EEEEDaS16_S17_EUlS16_E_NS1_11comp_targetILNS1_3genE5ELNS1_11target_archE942ELNS1_3gpuE9ELNS1_3repE0EEENS1_30default_config_static_selectorELNS0_4arch9wavefront6targetE1EEEvT1_
	.p2align	8
	.type	_ZN7rocprim17ROCPRIM_400000_NS6detail17trampoline_kernelINS0_14default_configENS1_25partition_config_selectorILNS1_17partition_subalgoE1ExNS0_10empty_typeEbEEZZNS1_14partition_implILS5_1ELb0ES3_jN6thrust23THRUST_200600_302600_NS6detail15normal_iteratorINSA_10device_ptrIxEEEEPS6_NSA_18transform_iteratorI7is_evenIxESF_NSA_11use_defaultESK_EENS0_5tupleIJNSA_16discard_iteratorISK_EESF_EEENSM_IJSG_SG_EEES6_PlJS6_EEE10hipError_tPvRmT3_T4_T5_T6_T7_T9_mT8_P12ihipStream_tbDpT10_ENKUlT_T0_E_clISt17integral_constantIbLb0EES1A_IbLb1EEEEDaS16_S17_EUlS16_E_NS1_11comp_targetILNS1_3genE5ELNS1_11target_archE942ELNS1_3gpuE9ELNS1_3repE0EEENS1_30default_config_static_selectorELNS0_4arch9wavefront6targetE1EEEvT1_,@function
_ZN7rocprim17ROCPRIM_400000_NS6detail17trampoline_kernelINS0_14default_configENS1_25partition_config_selectorILNS1_17partition_subalgoE1ExNS0_10empty_typeEbEEZZNS1_14partition_implILS5_1ELb0ES3_jN6thrust23THRUST_200600_302600_NS6detail15normal_iteratorINSA_10device_ptrIxEEEEPS6_NSA_18transform_iteratorI7is_evenIxESF_NSA_11use_defaultESK_EENS0_5tupleIJNSA_16discard_iteratorISK_EESF_EEENSM_IJSG_SG_EEES6_PlJS6_EEE10hipError_tPvRmT3_T4_T5_T6_T7_T9_mT8_P12ihipStream_tbDpT10_ENKUlT_T0_E_clISt17integral_constantIbLb0EES1A_IbLb1EEEEDaS16_S17_EUlS16_E_NS1_11comp_targetILNS1_3genE5ELNS1_11target_archE942ELNS1_3gpuE9ELNS1_3repE0EEENS1_30default_config_static_selectorELNS0_4arch9wavefront6targetE1EEEvT1_: ; @_ZN7rocprim17ROCPRIM_400000_NS6detail17trampoline_kernelINS0_14default_configENS1_25partition_config_selectorILNS1_17partition_subalgoE1ExNS0_10empty_typeEbEEZZNS1_14partition_implILS5_1ELb0ES3_jN6thrust23THRUST_200600_302600_NS6detail15normal_iteratorINSA_10device_ptrIxEEEEPS6_NSA_18transform_iteratorI7is_evenIxESF_NSA_11use_defaultESK_EENS0_5tupleIJNSA_16discard_iteratorISK_EESF_EEENSM_IJSG_SG_EEES6_PlJS6_EEE10hipError_tPvRmT3_T4_T5_T6_T7_T9_mT8_P12ihipStream_tbDpT10_ENKUlT_T0_E_clISt17integral_constantIbLb0EES1A_IbLb1EEEEDaS16_S17_EUlS16_E_NS1_11comp_targetILNS1_3genE5ELNS1_11target_archE942ELNS1_3gpuE9ELNS1_3repE0EEENS1_30default_config_static_selectorELNS0_4arch9wavefront6targetE1EEEvT1_
; %bb.0:
	s_load_dwordx2 s[2:3], s[0:1], 0x20
	s_load_dwordx4 s[20:23], s[0:1], 0x58
	s_load_dwordx2 s[6:7], s[0:1], 0x68
	s_load_dwordx2 s[30:31], s[0:1], 0x78
	v_cmp_eq_u32_e64 s[18:19], 0, v0
	s_and_saveexec_b64 s[4:5], s[18:19]
	s_cbranch_execz .LBB3252_4
; %bb.1:
	s_mov_b64 s[10:11], exec
	v_mbcnt_lo_u32_b32 v1, s10, 0
	v_mbcnt_hi_u32_b32 v1, s11, v1
	v_cmp_eq_u32_e32 vcc, 0, v1
                                        ; implicit-def: $vgpr2
	s_and_saveexec_b64 s[8:9], vcc
	s_cbranch_execz .LBB3252_3
; %bb.2:
	s_load_dwordx2 s[12:13], s[0:1], 0x88
	s_bcnt1_i32_b64 s10, s[10:11]
	v_mov_b32_e32 v2, 0
	v_mov_b32_e32 v3, s10
	s_waitcnt lgkmcnt(0)
	global_atomic_add v2, v2, v3, s[12:13] sc0
.LBB3252_3:
	s_or_b64 exec, exec, s[8:9]
	s_waitcnt vmcnt(0)
	v_readfirstlane_b32 s8, v2
	v_mov_b32_e32 v2, 0
	s_nop 0
	v_add_u32_e32 v1, s8, v1
	ds_write_b32 v2, v1
.LBB3252_4:
	s_or_b64 exec, exec, s[4:5]
	v_mov_b32_e32 v19, 0
	s_load_dwordx4 s[24:27], s[0:1], 0x8
	s_load_dwordx2 s[28:29], s[0:1], 0x40
	s_load_dword s8, s[0:1], 0x80
	s_waitcnt lgkmcnt(0)
	s_barrier
	ds_read_b32 v1, v19
	s_waitcnt lgkmcnt(0)
	s_barrier
	global_load_dwordx2 v[20:21], v19, s[22:23]
	v_mov_b32_e32 v3, s7
	s_lshl_b64 s[4:5], s[26:27], 3
	s_movk_i32 s7, 0xe00
	s_add_u32 s0, s24, s4
	v_mul_lo_u32 v18, v1, s7
	s_mul_i32 s7, s8, 0xe00
	s_addc_u32 s1, s25, s5
	s_add_i32 s9, s8, -1
	s_add_i32 s8, s7, s26
	s_sub_i32 s33, s6, s8
	s_addk_i32 s33, 0xe00
	v_mov_b32_e32 v2, s6
	s_add_u32 s6, s26, s7
	v_readfirstlane_b32 s38, v1
	s_addc_u32 s7, s27, 0
	s_cmp_eq_u32 s38, s9
	s_cselect_b64 s[22:23], -1, 0
	s_cmp_lg_u32 s38, s9
	v_cmp_lt_u64_e32 vcc, s[6:7], v[2:3]
	s_cselect_b64 s[6:7], -1, 0
	s_or_b64 s[24:25], vcc, s[6:7]
	v_lshlrev_b64 v[22:23], 3, v[18:19]
	v_lshl_add_u64 v[24:25], s[0:1], 0, v[22:23]
	s_mov_b64 s[0:1], -1
	s_and_b64 vcc, exec, s[24:25]
	v_lshlrev_b32_e32 v18, 3, v0
	s_cbranch_vccz .LBB3252_6
; %bb.5:
	v_lshl_add_u64 v[2:3], v[24:25], 0, v[18:19]
	v_add_co_u32_e32 v4, vcc, 0x1000, v2
	s_mov_b64 s[0:1], 0
	s_nop 0
	v_addc_co_u32_e32 v5, vcc, 0, v3, vcc
	v_add_co_u32_e32 v6, vcc, 0x2000, v2
	s_nop 1
	v_addc_co_u32_e32 v7, vcc, 0, v3, vcc
	v_add_co_u32_e32 v8, vcc, 0x3000, v2
	s_nop 1
	v_addc_co_u32_e32 v9, vcc, 0, v3, vcc
	flat_load_dwordx2 v[10:11], v[2:3]
	flat_load_dwordx2 v[12:13], v[4:5]
	;; [unrolled: 1-line block ×4, first 2 shown]
	v_add_co_u32_e32 v4, vcc, 0x4000, v2
	s_nop 1
	v_addc_co_u32_e32 v5, vcc, 0, v3, vcc
	v_add_co_u32_e32 v6, vcc, 0x5000, v2
	s_nop 1
	v_addc_co_u32_e32 v7, vcc, 0, v3, vcc
	;; [unrolled: 3-line block ×3, first 2 shown]
	flat_load_dwordx2 v[8:9], v[4:5]
	flat_load_dwordx2 v[26:27], v[6:7]
	;; [unrolled: 1-line block ×3, first 2 shown]
	s_waitcnt vmcnt(0) lgkmcnt(0)
	ds_write2st64_b64 v18, v[10:11], v[12:13] offset1:8
	ds_write2st64_b64 v18, v[14:15], v[16:17] offset0:16 offset1:24
	ds_write2st64_b64 v18, v[8:9], v[26:27] offset0:32 offset1:40
	ds_write_b64 v18, v[28:29] offset:24576
	s_waitcnt lgkmcnt(0)
	s_barrier
.LBB3252_6:
	s_andn2_b64 vcc, exec, s[0:1]
	v_cmp_gt_u32_e64 s[0:1], s33, v0
	s_cbranch_vccnz .LBB3252_22
; %bb.7:
                                        ; implicit-def: $vgpr2_vgpr3_vgpr4_vgpr5_vgpr6_vgpr7_vgpr8_vgpr9_vgpr10_vgpr11_vgpr12_vgpr13_vgpr14_vgpr15_vgpr16_vgpr17
	s_and_saveexec_b64 s[6:7], s[0:1]
	s_cbranch_execz .LBB3252_9
; %bb.8:
	v_mov_b32_e32 v19, 0
	v_lshl_add_u64 v[2:3], v[24:25], 0, v[18:19]
	flat_load_dwordx2 v[2:3], v[2:3]
.LBB3252_9:
	s_or_b64 exec, exec, s[6:7]
	v_or_b32_e32 v1, 0x200, v0
	v_cmp_gt_u32_e32 vcc, s33, v1
	s_and_saveexec_b64 s[0:1], vcc
	s_cbranch_execz .LBB3252_11
; %bb.10:
	v_lshlrev_b32_e32 v4, 3, v1
	v_mov_b32_e32 v5, 0
	v_lshl_add_u64 v[4:5], v[24:25], 0, v[4:5]
	flat_load_dwordx2 v[4:5], v[4:5]
.LBB3252_11:
	s_or_b64 exec, exec, s[0:1]
	v_or_b32_e32 v1, 0x400, v0
	v_cmp_gt_u32_e32 vcc, s33, v1
	s_and_saveexec_b64 s[0:1], vcc
	s_cbranch_execz .LBB3252_13
; %bb.12:
	v_lshlrev_b32_e32 v6, 3, v1
	v_mov_b32_e32 v7, 0
	v_lshl_add_u64 v[6:7], v[24:25], 0, v[6:7]
	flat_load_dwordx2 v[6:7], v[6:7]
.LBB3252_13:
	;; [unrolled: 11-line block ×6, first 2 shown]
	s_or_b64 exec, exec, s[0:1]
	s_waitcnt vmcnt(0) lgkmcnt(0)
	ds_write2st64_b64 v18, v[2:3], v[4:5] offset1:8
	ds_write2st64_b64 v18, v[6:7], v[8:9] offset0:16 offset1:24
	ds_write2st64_b64 v18, v[10:11], v[12:13] offset0:32 offset1:40
	ds_write_b64 v18, v[14:15] offset:24576
	s_waitcnt lgkmcnt(0)
	s_barrier
.LBB3252_22:
	v_mul_u32_u24_e32 v1, 7, v0
	v_lshlrev_b32_e32 v24, 3, v1
	ds_read2_b64 v[10:13], v24 offset1:1
	ds_read2_b64 v[6:9], v24 offset0:2 offset1:3
	ds_read2_b64 v[2:5], v24 offset0:4 offset1:5
	ds_read_b64 v[14:15], v24 offset:48
	s_add_u32 s0, s2, s4
	s_addc_u32 s1, s3, s5
	v_lshl_add_u64 v[16:17], s[0:1], 0, v[22:23]
	s_mov_b64 s[0:1], -1
	s_and_b64 vcc, exec, s[24:25]
	s_waitcnt lgkmcnt(0)
	s_barrier
	s_cbranch_vccz .LBB3252_24
; %bb.23:
	v_mov_b32_e32 v19, 0
	v_lshl_add_u64 v[26:27], v[16:17], 0, v[18:19]
	v_add_co_u32_e32 v30, vcc, 0x1000, v26
	v_readfirstlane_b32 s0, v16
	s_nop 0
	v_addc_co_u32_e32 v31, vcc, 0, v27, vcc
	v_add_co_u32_e32 v32, vcc, 0x2000, v26
	v_readfirstlane_b32 s1, v17
	s_nop 0
	v_addc_co_u32_e32 v33, vcc, 0, v27, vcc
	v_add_co_u32_e32 v34, vcc, 0x3000, v26
	s_nop 1
	v_addc_co_u32_e32 v35, vcc, 0, v27, vcc
	global_load_dwordx2 v[28:29], v18, s[0:1]
	v_add_co_u32_e32 v36, vcc, 0x4000, v26
	s_mov_b64 s[0:1], 0
	s_nop 0
	v_addc_co_u32_e32 v37, vcc, 0, v27, vcc
	global_load_dwordx2 v[38:39], v[30:31], off
	global_load_dwordx2 v[40:41], v[32:33], off
	;; [unrolled: 1-line block ×4, first 2 shown]
	v_add_co_u32_e32 v30, vcc, 0x5000, v26
	s_waitcnt vmcnt(4)
	v_xor_b32_e32 v19, -1, v28
	v_addc_co_u32_e32 v31, vcc, 0, v27, vcc
	v_add_co_u32_e32 v26, vcc, 0x6000, v26
	global_load_dwordx2 v[30:31], v[30:31], off
	s_nop 0
	v_addc_co_u32_e32 v27, vcc, 0, v27, vcc
	global_load_dwordx2 v[26:27], v[26:27], off
	v_and_b32_e32 v19, 1, v19
	ds_write_b8 v0, v19
	s_waitcnt vmcnt(5)
	v_xor_b32_e32 v19, -1, v38
	v_and_b32_e32 v19, 1, v19
	s_waitcnt vmcnt(4)
	v_xor_b32_e32 v25, -1, v40
	s_waitcnt vmcnt(0)
	v_xor_b32_e32 v27, -1, v42
	v_and_b32_e32 v25, 1, v25
	ds_write_b8 v0, v19 offset:512
	v_and_b32_e32 v19, 1, v27
	v_xor_b32_e32 v27, -1, v44
	ds_write_b8 v0, v25 offset:1024
	v_and_b32_e32 v25, 1, v27
	ds_write_b8 v0, v19 offset:1536
	ds_write_b8 v0, v25 offset:2048
	v_xor_b32_e32 v27, -1, v30
	v_and_b32_e32 v19, 1, v27
	v_xor_b32_e32 v26, -1, v26
	v_and_b32_e32 v25, 1, v26
	ds_write_b8 v0, v19 offset:2560
	ds_write_b8 v0, v25 offset:3072
	s_waitcnt lgkmcnt(0)
	s_barrier
.LBB3252_24:
	s_andn2_b64 vcc, exec, s[0:1]
	s_cbranch_vccnz .LBB3252_40
; %bb.25:
	v_cmp_gt_u32_e32 vcc, s33, v0
	v_mov_b32_e32 v19, 0
	v_mov_b32_e32 v25, 0
	s_and_saveexec_b64 s[0:1], vcc
	s_cbranch_execz .LBB3252_27
; %bb.26:
	v_readfirstlane_b32 s2, v16
	v_readfirstlane_b32 s3, v17
	s_nop 4
	global_load_dwordx2 v[26:27], v18, s[2:3]
	s_waitcnt vmcnt(0)
	v_xor_b32_e32 v25, -1, v26
	v_and_b32_e32 v25, 1, v25
.LBB3252_27:
	s_or_b64 exec, exec, s[0:1]
	v_or_b32_e32 v26, 0x200, v0
	v_cmp_gt_u32_e32 vcc, s33, v26
	s_and_saveexec_b64 s[0:1], vcc
	s_cbranch_execz .LBB3252_29
; %bb.28:
	v_lshlrev_b32_e32 v19, 3, v26
	v_readfirstlane_b32 s2, v16
	v_readfirstlane_b32 s3, v17
	s_nop 4
	global_load_dwordx2 v[26:27], v19, s[2:3]
	s_waitcnt vmcnt(0)
	v_xor_b32_e32 v19, -1, v26
	v_and_b32_e32 v19, 1, v19
.LBB3252_29:
	s_or_b64 exec, exec, s[0:1]
	v_or_b32_e32 v28, 0x400, v0
	v_cmp_gt_u32_e32 vcc, s33, v28
	v_mov_b32_e32 v26, 0
	v_mov_b32_e32 v27, 0
	s_and_saveexec_b64 s[0:1], vcc
	s_cbranch_execz .LBB3252_31
; %bb.30:
	v_lshlrev_b32_e32 v27, 3, v28
	v_readfirstlane_b32 s2, v16
	v_readfirstlane_b32 s3, v17
	s_nop 4
	global_load_dwordx2 v[28:29], v27, s[2:3]
	s_waitcnt vmcnt(0)
	v_xor_b32_e32 v27, -1, v28
	v_and_b32_e32 v27, 1, v27
.LBB3252_31:
	s_or_b64 exec, exec, s[0:1]
	v_or_b32_e32 v28, 0x600, v0
	v_cmp_gt_u32_e32 vcc, s33, v28
	s_and_saveexec_b64 s[0:1], vcc
	s_cbranch_execz .LBB3252_33
; %bb.32:
	v_lshlrev_b32_e32 v26, 3, v28
	v_readfirstlane_b32 s2, v16
	v_readfirstlane_b32 s3, v17
	s_nop 4
	global_load_dwordx2 v[28:29], v26, s[2:3]
	s_waitcnt vmcnt(0)
	v_xor_b32_e32 v26, -1, v28
	v_and_b32_e32 v26, 1, v26
.LBB3252_33:
	s_or_b64 exec, exec, s[0:1]
	v_or_b32_e32 v30, 0x800, v0
	v_cmp_gt_u32_e32 vcc, s33, v30
	v_mov_b32_e32 v28, 0
	v_mov_b32_e32 v29, 0
	s_and_saveexec_b64 s[0:1], vcc
	s_cbranch_execz .LBB3252_35
; %bb.34:
	v_lshlrev_b32_e32 v29, 3, v30
	v_readfirstlane_b32 s2, v16
	v_readfirstlane_b32 s3, v17
	s_nop 4
	global_load_dwordx2 v[30:31], v29, s[2:3]
	s_waitcnt vmcnt(0)
	v_xor_b32_e32 v29, -1, v30
	v_and_b32_e32 v29, 1, v29
.LBB3252_35:
	s_or_b64 exec, exec, s[0:1]
	v_or_b32_e32 v30, 0xa00, v0
	v_cmp_gt_u32_e32 vcc, s33, v30
	s_and_saveexec_b64 s[0:1], vcc
	s_cbranch_execz .LBB3252_37
; %bb.36:
	v_lshlrev_b32_e32 v28, 3, v30
	v_readfirstlane_b32 s2, v16
	v_readfirstlane_b32 s3, v17
	s_nop 4
	global_load_dwordx2 v[30:31], v28, s[2:3]
	s_waitcnt vmcnt(0)
	v_xor_b32_e32 v28, -1, v30
	v_and_b32_e32 v28, 1, v28
.LBB3252_37:
	s_or_b64 exec, exec, s[0:1]
	v_or_b32_e32 v31, 0xc00, v0
	v_cmp_gt_u32_e32 vcc, s33, v31
	v_mov_b32_e32 v30, 0
	s_and_saveexec_b64 s[0:1], vcc
	s_cbranch_execz .LBB3252_39
; %bb.38:
	v_lshlrev_b32_e32 v30, 3, v31
	v_readfirstlane_b32 s2, v16
	v_readfirstlane_b32 s3, v17
	s_nop 4
	global_load_dwordx2 v[16:17], v30, s[2:3]
	s_waitcnt vmcnt(0)
	v_xor_b32_e32 v16, -1, v16
	v_and_b32_e32 v30, 1, v16
.LBB3252_39:
	s_or_b64 exec, exec, s[0:1]
	ds_write_b8 v0, v25
	ds_write_b8 v0, v19 offset:512
	ds_write_b8 v0, v27 offset:1024
	;; [unrolled: 1-line block ×6, first 2 shown]
	s_waitcnt lgkmcnt(0)
	s_barrier
.LBB3252_40:
	s_movk_i32 s0, 0xffcf
	v_mad_i32_i24 v39, v0, s0, v24
	ds_read_u8 v16, v39
	ds_read_u8 v17, v39 offset:1
	ds_read_u8 v19, v39 offset:2
	;; [unrolled: 1-line block ×6, first 2 shown]
	s_waitcnt lgkmcnt(6)
	v_and_b32_e32 v37, 1, v16
	s_waitcnt lgkmcnt(5)
	v_and_b32_e32 v36, 1, v17
	;; [unrolled: 2-line block ×5, first 2 shown]
	v_add3_u32 v16, v36, v37, v35
	s_waitcnt lgkmcnt(1)
	v_and_b32_e32 v32, 1, v26
	s_waitcnt lgkmcnt(0)
	v_and_b32_e32 v19, 1, v27
	v_add3_u32 v16, v16, v34, v33
	v_add3_u32 v41, v16, v32, v19
	v_mbcnt_lo_u32_b32 v16, -1, 0
	v_mbcnt_hi_u32_b32 v38, -1, v16
	v_and_b32_e32 v16, 15, v38
	v_cmp_eq_u32_e64 s[14:15], 0, v16
	v_cmp_lt_u32_e64 s[12:13], 1, v16
	v_cmp_lt_u32_e64 s[10:11], 3, v16
	;; [unrolled: 1-line block ×3, first 2 shown]
	v_and_b32_e32 v16, 16, v38
	v_cmp_eq_u32_e64 s[6:7], 0, v16
	v_or_b32_e32 v16, 63, v0
	s_cmp_lg_u32 s38, 0
	v_cmp_lt_u32_e64 s[2:3], 31, v38
	v_lshrrev_b32_e32 v40, 6, v0
	v_cmp_eq_u32_e64 s[4:5], v16, v0
	s_barrier
	s_cbranch_scc0 .LBB3252_67
; %bb.41:
	v_mov_b32_dpp v16, v41 row_shr:1 row_mask:0xf bank_mask:0xf
	v_cndmask_b32_e64 v16, v16, 0, s[14:15]
	v_add_u32_e32 v16, v16, v41
	s_nop 1
	v_mov_b32_dpp v17, v16 row_shr:2 row_mask:0xf bank_mask:0xf
	v_cndmask_b32_e64 v17, 0, v17, s[12:13]
	v_add_u32_e32 v16, v16, v17
	s_nop 1
	;; [unrolled: 4-line block ×4, first 2 shown]
	v_mov_b32_dpp v17, v16 row_bcast:15 row_mask:0xf bank_mask:0xf
	v_cndmask_b32_e64 v17, v17, 0, s[6:7]
	v_add_u32_e32 v16, v16, v17
	s_nop 1
	v_mov_b32_dpp v17, v16 row_bcast:31 row_mask:0xf bank_mask:0xf
	v_cndmask_b32_e64 v17, 0, v17, s[2:3]
	v_add_u32_e32 v16, v16, v17
	s_and_saveexec_b64 s[0:1], s[4:5]
	s_cbranch_execz .LBB3252_43
; %bb.42:
	v_lshlrev_b32_e32 v17, 2, v40
	ds_write_b32 v17, v16
.LBB3252_43:
	s_or_b64 exec, exec, s[0:1]
	v_cmp_gt_u32_e32 vcc, 8, v0
	s_waitcnt lgkmcnt(0)
	s_barrier
	s_and_saveexec_b64 s[0:1], vcc
	s_cbranch_execz .LBB3252_45
; %bb.44:
	v_lshlrev_b32_e32 v17, 2, v0
	ds_read_b32 v24, v17
	v_and_b32_e32 v25, 7, v38
	v_cmp_ne_u32_e32 vcc, 0, v25
	s_waitcnt lgkmcnt(0)
	v_mov_b32_dpp v26, v24 row_shr:1 row_mask:0xf bank_mask:0xf
	v_cndmask_b32_e32 v26, 0, v26, vcc
	v_add_u32_e32 v24, v26, v24
	v_cmp_lt_u32_e32 vcc, 1, v25
	s_nop 0
	v_mov_b32_dpp v26, v24 row_shr:2 row_mask:0xf bank_mask:0xf
	v_cndmask_b32_e32 v26, 0, v26, vcc
	v_add_u32_e32 v24, v24, v26
	v_cmp_lt_u32_e32 vcc, 3, v25
	s_nop 0
	v_mov_b32_dpp v26, v24 row_shr:4 row_mask:0xf bank_mask:0xf
	v_cndmask_b32_e32 v25, 0, v26, vcc
	v_add_u32_e32 v24, v24, v25
	ds_write_b32 v17, v24
.LBB3252_45:
	s_or_b64 exec, exec, s[0:1]
	v_cmp_gt_u32_e32 vcc, 64, v0
	v_cmp_lt_u32_e64 s[0:1], 63, v0
	s_waitcnt lgkmcnt(0)
	s_barrier
	s_waitcnt lgkmcnt(0)
                                        ; implicit-def: $vgpr42
	s_and_saveexec_b64 s[16:17], s[0:1]
	s_cbranch_execz .LBB3252_47
; %bb.46:
	v_lshl_add_u32 v17, v40, 2, -4
	ds_read_b32 v42, v17
	s_waitcnt lgkmcnt(0)
	v_add_u32_e32 v16, v42, v16
.LBB3252_47:
	s_or_b64 exec, exec, s[16:17]
	v_add_u32_e32 v17, -1, v38
	v_and_b32_e32 v24, 64, v38
	v_cmp_lt_i32_e64 s[0:1], v17, v24
	v_cmp_eq_u32_e64 s[16:17], 0, v38
	s_nop 0
	v_cndmask_b32_e64 v17, v17, v38, s[0:1]
	v_lshlrev_b32_e32 v17, 2, v17
	ds_bpermute_b32 v43, v17, v16
	s_and_saveexec_b64 s[0:1], vcc
	s_cbranch_execz .LBB3252_66
; %bb.48:
	v_mov_b32_e32 v29, 0
	ds_read_b32 v16, v29 offset:28
	s_and_saveexec_b64 s[34:35], s[16:17]
	s_cbranch_execz .LBB3252_50
; %bb.49:
	s_add_i32 s36, s38, 64
	s_mov_b32 s37, 0
	s_lshl_b64 s[36:37], s[36:37], 3
	s_add_u32 s36, s30, s36
	v_mov_b32_e32 v17, 1
	s_addc_u32 s37, s31, s37
	s_waitcnt lgkmcnt(0)
	global_store_dwordx2 v29, v[16:17], s[36:37] sc1
.LBB3252_50:
	s_or_b64 exec, exec, s[34:35]
	v_xad_u32 v24, v38, -1, s38
	v_add_u32_e32 v28, 64, v24
	v_lshl_add_u64 v[30:31], v[28:29], 3, s[30:31]
	global_load_dwordx2 v[26:27], v[30:31], off sc1
	s_waitcnt vmcnt(0)
	v_cmp_eq_u16_sdwa s[36:37], v27, v29 src0_sel:BYTE_0 src1_sel:DWORD
	s_and_saveexec_b64 s[34:35], s[36:37]
	s_cbranch_execz .LBB3252_54
; %bb.51:
	s_mov_b64 s[36:37], 0
	v_mov_b32_e32 v17, 0
.LBB3252_52:                            ; =>This Inner Loop Header: Depth=1
	global_load_dwordx2 v[26:27], v[30:31], off sc1
	s_waitcnt vmcnt(0)
	v_cmp_ne_u16_sdwa s[40:41], v27, v17 src0_sel:BYTE_0 src1_sel:DWORD
	s_or_b64 s[36:37], s[40:41], s[36:37]
	s_andn2_b64 exec, exec, s[36:37]
	s_cbranch_execnz .LBB3252_52
; %bb.53:
	s_or_b64 exec, exec, s[36:37]
.LBB3252_54:
	s_or_b64 exec, exec, s[34:35]
	v_and_b32_e32 v45, 63, v38
	v_mov_b32_e32 v44, 2
	v_cmp_ne_u32_e32 vcc, 63, v45
	v_cmp_eq_u16_sdwa s[34:35], v27, v44 src0_sel:BYTE_0 src1_sel:DWORD
	v_lshlrev_b64 v[28:29], v38, -1
	v_addc_co_u32_e32 v30, vcc, 0, v38, vcc
	v_and_b32_e32 v17, s35, v29
	v_lshlrev_b32_e32 v46, 2, v30
	v_or_b32_e32 v17, 0x80000000, v17
	ds_bpermute_b32 v30, v46, v26
	v_and_b32_e32 v25, s34, v28
	v_ffbl_b32_e32 v17, v17
	v_add_u32_e32 v17, 32, v17
	v_ffbl_b32_e32 v25, v25
	v_min_u32_e32 v17, v25, v17
	v_cmp_lt_u32_e32 vcc, v45, v17
	v_add_u32_e32 v48, 2, v45
	v_add_u32_e32 v50, 4, v45
	s_waitcnt lgkmcnt(0)
	v_cndmask_b32_e32 v25, 0, v30, vcc
	v_cmp_gt_u32_e32 vcc, 62, v45
	v_add_u32_e32 v25, v25, v26
	v_add_u32_e32 v52, 8, v45
	v_cndmask_b32_e64 v26, 0, 1, vcc
	v_lshlrev_b32_e32 v26, 1, v26
	v_add_lshl_u32 v47, v26, v38, 2
	ds_bpermute_b32 v26, v47, v25
	v_cmp_le_u32_e32 vcc, v48, v17
	v_add_u32_e32 v54, 16, v45
	v_add_u32_e32 v56, 32, v45
	s_waitcnt lgkmcnt(0)
	v_cndmask_b32_e32 v26, 0, v26, vcc
	v_cmp_gt_u32_e32 vcc, 60, v45
	v_add_u32_e32 v25, v25, v26
	s_nop 0
	v_cndmask_b32_e64 v26, 0, 1, vcc
	v_lshlrev_b32_e32 v26, 2, v26
	v_add_lshl_u32 v49, v26, v38, 2
	ds_bpermute_b32 v26, v49, v25
	v_cmp_le_u32_e32 vcc, v50, v17
	s_waitcnt lgkmcnt(0)
	s_nop 0
	v_cndmask_b32_e32 v26, 0, v26, vcc
	v_cmp_gt_u32_e32 vcc, 56, v45
	v_add_u32_e32 v25, v25, v26
	s_nop 0
	v_cndmask_b32_e64 v26, 0, 1, vcc
	v_lshlrev_b32_e32 v26, 3, v26
	v_add_lshl_u32 v51, v26, v38, 2
	ds_bpermute_b32 v26, v51, v25
	v_cmp_le_u32_e32 vcc, v52, v17
	s_waitcnt lgkmcnt(0)
	s_nop 0
	;; [unrolled: 11-line block ×4, first 2 shown]
	v_cndmask_b32_e32 v17, 0, v26, vcc
	v_add_u32_e32 v26, v25, v17
	v_mov_b32_e32 v25, 0
	s_branch .LBB3252_56
.LBB3252_55:                            ;   in Loop: Header=BB3252_56 Depth=1
	s_or_b64 exec, exec, s[34:35]
	v_cmp_eq_u16_sdwa s[34:35], v27, v44 src0_sel:BYTE_0 src1_sel:DWORD
	ds_bpermute_b32 v57, v46, v26
	v_subrev_u32_e32 v24, 64, v24
	v_and_b32_e32 v30, s35, v29
	v_or_b32_e32 v30, 0x80000000, v30
	v_and_b32_e32 v31, s34, v28
	v_ffbl_b32_e32 v30, v30
	v_add_u32_e32 v30, 32, v30
	v_ffbl_b32_e32 v31, v31
	v_min_u32_e32 v30, v31, v30
	v_cmp_lt_u32_e32 vcc, v45, v30
	s_waitcnt lgkmcnt(0)
	s_nop 0
	v_cndmask_b32_e32 v31, 0, v57, vcc
	v_add_u32_e32 v26, v31, v26
	ds_bpermute_b32 v31, v47, v26
	v_cmp_le_u32_e32 vcc, v48, v30
	s_waitcnt lgkmcnt(0)
	s_nop 0
	v_cndmask_b32_e32 v31, 0, v31, vcc
	v_add_u32_e32 v26, v26, v31
	ds_bpermute_b32 v31, v49, v26
	v_cmp_le_u32_e32 vcc, v50, v30
	;; [unrolled: 6-line block ×5, first 2 shown]
	s_waitcnt lgkmcnt(0)
	s_nop 0
	v_cndmask_b32_e32 v30, 0, v31, vcc
	v_add3_u32 v26, v30, v17, v26
.LBB3252_56:                            ; =>This Loop Header: Depth=1
                                        ;     Child Loop BB3252_59 Depth 2
	v_cmp_ne_u16_sdwa s[34:35], v27, v44 src0_sel:BYTE_0 src1_sel:DWORD
	s_nop 1
	v_cndmask_b32_e64 v17, 0, 1, s[34:35]
	;;#ASMSTART
	;;#ASMEND
	s_nop 0
	v_cmp_ne_u32_e32 vcc, 0, v17
	s_cmp_lg_u64 vcc, exec
	v_mov_b32_e32 v17, v26
	s_cbranch_scc1 .LBB3252_61
; %bb.57:                               ;   in Loop: Header=BB3252_56 Depth=1
	v_lshl_add_u64 v[30:31], v[24:25], 3, s[30:31]
	global_load_dwordx2 v[26:27], v[30:31], off sc1
	s_waitcnt vmcnt(0)
	v_cmp_eq_u16_sdwa s[36:37], v27, v25 src0_sel:BYTE_0 src1_sel:DWORD
	s_and_saveexec_b64 s[34:35], s[36:37]
	s_cbranch_execz .LBB3252_55
; %bb.58:                               ;   in Loop: Header=BB3252_56 Depth=1
	s_mov_b64 s[36:37], 0
.LBB3252_59:                            ;   Parent Loop BB3252_56 Depth=1
                                        ; =>  This Inner Loop Header: Depth=2
	global_load_dwordx2 v[26:27], v[30:31], off sc1
	s_waitcnt vmcnt(0)
	v_cmp_ne_u16_sdwa s[40:41], v27, v25 src0_sel:BYTE_0 src1_sel:DWORD
	s_or_b64 s[36:37], s[40:41], s[36:37]
	s_andn2_b64 exec, exec, s[36:37]
	s_cbranch_execnz .LBB3252_59
; %bb.60:                               ;   in Loop: Header=BB3252_56 Depth=1
	s_or_b64 exec, exec, s[36:37]
	s_branch .LBB3252_55
.LBB3252_61:                            ;   in Loop: Header=BB3252_56 Depth=1
                                        ; implicit-def: $vgpr26
                                        ; implicit-def: $vgpr27
	s_cbranch_execz .LBB3252_56
; %bb.62:
	s_and_saveexec_b64 s[34:35], s[16:17]
	s_cbranch_execz .LBB3252_64
; %bb.63:
	s_add_i32 s36, s38, 64
	s_mov_b32 s37, 0
	s_lshl_b64 s[36:37], s[36:37], 3
	s_add_u32 s36, s30, s36
	v_add_u32_e32 v24, v17, v16
	v_mov_b32_e32 v25, 2
	s_addc_u32 s37, s31, s37
	v_mov_b32_e32 v26, 0
	global_store_dwordx2 v26, v[24:25], s[36:37] sc1
	ds_write_b64 v26, v[16:17] offset:28672
.LBB3252_64:
	s_or_b64 exec, exec, s[34:35]
	s_and_b64 exec, exec, s[18:19]
	s_cbranch_execz .LBB3252_66
; %bb.65:
	v_mov_b32_e32 v16, 0
	ds_write_b32 v16, v17 offset:28
.LBB3252_66:
	s_or_b64 exec, exec, s[0:1]
	v_mov_b32_e32 v16, 0
	s_waitcnt lgkmcnt(0)
	s_barrier
	ds_read_b32 v17, v16 offset:28
	v_cndmask_b32_e64 v24, v43, v42, s[16:17]
	v_cndmask_b32_e64 v24, v24, 0, s[18:19]
	s_waitcnt lgkmcnt(0)
	s_barrier
	v_add_u32_e32 v31, v17, v24
	v_add_u32_e32 v30, v31, v37
	ds_read_b64 v[16:17], v16 offset:28672
	v_add_u32_e32 v29, v30, v36
	v_add_u32_e32 v27, v29, v35
	;; [unrolled: 1-line block ×5, first 2 shown]
	s_waitcnt lgkmcnt(0)
	v_mov_b32_e32 v26, v17
	s_branch .LBB3252_77
.LBB3252_67:
                                        ; implicit-def: $vgpr26
                                        ; implicit-def: $vgpr16
                                        ; implicit-def: $vgpr24
                                        ; implicit-def: $vgpr25
                                        ; implicit-def: $vgpr28
                                        ; implicit-def: $vgpr27
                                        ; implicit-def: $vgpr29
                                        ; implicit-def: $vgpr30
                                        ; implicit-def: $vgpr31
	s_cbranch_execz .LBB3252_77
; %bb.68:
	s_nop 0
	v_mov_b32_dpp v16, v41 row_shr:1 row_mask:0xf bank_mask:0xf
	v_cndmask_b32_e64 v16, v16, 0, s[14:15]
	v_add_u32_e32 v16, v16, v41
	s_nop 1
	v_mov_b32_dpp v17, v16 row_shr:2 row_mask:0xf bank_mask:0xf
	v_cndmask_b32_e64 v17, 0, v17, s[12:13]
	v_add_u32_e32 v16, v16, v17
	;; [unrolled: 4-line block ×4, first 2 shown]
	s_nop 1
	v_mov_b32_dpp v17, v16 row_bcast:15 row_mask:0xf bank_mask:0xf
	v_cndmask_b32_e64 v17, v17, 0, s[6:7]
	v_add_u32_e32 v16, v16, v17
	s_nop 1
	v_mov_b32_dpp v17, v16 row_bcast:31 row_mask:0xf bank_mask:0xf
	v_cndmask_b32_e64 v17, 0, v17, s[2:3]
	v_add_u32_e32 v16, v16, v17
	s_and_saveexec_b64 s[0:1], s[4:5]
	s_cbranch_execz .LBB3252_70
; %bb.69:
	v_lshlrev_b32_e32 v17, 2, v40
	ds_write_b32 v17, v16
.LBB3252_70:
	s_or_b64 exec, exec, s[0:1]
	v_cmp_gt_u32_e32 vcc, 8, v0
	s_waitcnt lgkmcnt(0)
	s_barrier
	s_and_saveexec_b64 s[0:1], vcc
	s_cbranch_execz .LBB3252_72
; %bb.71:
	v_mad_i32_i24 v17, v0, -3, v39
	ds_read_b32 v24, v17
	v_and_b32_e32 v25, 7, v38
	v_cmp_ne_u32_e32 vcc, 0, v25
	s_waitcnt lgkmcnt(0)
	v_mov_b32_dpp v26, v24 row_shr:1 row_mask:0xf bank_mask:0xf
	v_cndmask_b32_e32 v26, 0, v26, vcc
	v_add_u32_e32 v24, v26, v24
	v_cmp_lt_u32_e32 vcc, 1, v25
	s_nop 0
	v_mov_b32_dpp v26, v24 row_shr:2 row_mask:0xf bank_mask:0xf
	v_cndmask_b32_e32 v26, 0, v26, vcc
	v_add_u32_e32 v24, v24, v26
	v_cmp_lt_u32_e32 vcc, 3, v25
	s_nop 0
	v_mov_b32_dpp v26, v24 row_shr:4 row_mask:0xf bank_mask:0xf
	v_cndmask_b32_e32 v25, 0, v26, vcc
	v_add_u32_e32 v24, v24, v25
	ds_write_b32 v17, v24
.LBB3252_72:
	s_or_b64 exec, exec, s[0:1]
	v_cmp_lt_u32_e32 vcc, 63, v0
	v_mov_b32_e32 v17, 0
	v_mov_b32_e32 v24, 0
	s_waitcnt lgkmcnt(0)
	s_barrier
	s_and_saveexec_b64 s[0:1], vcc
	s_cbranch_execz .LBB3252_74
; %bb.73:
	v_lshl_add_u32 v24, v40, 2, -4
	ds_read_b32 v24, v24
.LBB3252_74:
	s_or_b64 exec, exec, s[0:1]
	v_add_u32_e32 v25, -1, v38
	v_and_b32_e32 v26, 64, v38
	v_cmp_lt_i32_e32 vcc, v25, v26
	s_waitcnt lgkmcnt(0)
	v_add_u32_e32 v16, v24, v16
	v_cndmask_b32_e32 v25, v25, v38, vcc
	v_lshlrev_b32_e32 v25, 2, v25
	ds_bpermute_b32 v25, v25, v16
	ds_read_b32 v16, v17 offset:28
	s_and_saveexec_b64 s[0:1], s[18:19]
	s_cbranch_execz .LBB3252_76
; %bb.75:
	v_mov_b32_e32 v26, 0
	v_mov_b32_e32 v17, 2
	s_waitcnt lgkmcnt(0)
	global_store_dwordx2 v26, v[16:17], s[30:31] offset:512 sc1
.LBB3252_76:
	s_or_b64 exec, exec, s[0:1]
	v_cmp_eq_u32_e32 vcc, 0, v38
	v_mov_b32_e32 v26, 0
	s_waitcnt lgkmcnt(0)
	v_cndmask_b32_e32 v17, v25, v24, vcc
	v_cndmask_b32_e64 v31, v17, 0, s[18:19]
	v_add_u32_e32 v30, v31, v37
	v_add_u32_e32 v29, v30, v36
	;; [unrolled: 1-line block ×6, first 2 shown]
	s_barrier
.LBB3252_77:
	v_add_u32_e32 v1, v16, v1
	v_sub_u32_e32 v17, v31, v26
	v_sub_u32_e32 v31, v1, v17
	v_cmp_eq_u32_e32 vcc, 1, v37
	v_cmp_ge_u32_e64 s[0:1], v0, v16
	s_nop 0
	v_cndmask_b32_e32 v17, v31, v17, vcc
	v_lshlrev_b32_e32 v17, 3, v17
	ds_write_b64 v17, v[10:11]
	v_sub_u32_e32 v10, v30, v26
	v_sub_u32_e32 v11, v1, v10
	v_add_u32_e32 v11, 1, v11
	v_cmp_eq_u32_e32 vcc, 1, v36
	v_or_b32_e32 v31, 0x200, v0
	v_or_b32_e32 v30, 0x400, v0
	v_cndmask_b32_e32 v10, v11, v10, vcc
	v_lshlrev_b32_e32 v10, 3, v10
	ds_write_b64 v10, v[12:13]
	v_sub_u32_e32 v10, v29, v26
	v_sub_u32_e32 v11, v1, v10
	v_add_u32_e32 v11, 2, v11
	v_cmp_eq_u32_e32 vcc, 1, v35
	v_or_b32_e32 v29, 0x600, v0
	s_nop 0
	v_cndmask_b32_e32 v10, v11, v10, vcc
	v_lshlrev_b32_e32 v10, 3, v10
	ds_write_b64 v10, v[6:7]
	v_sub_u32_e32 v6, v27, v26
	v_sub_u32_e32 v7, v1, v6
	v_add_u32_e32 v7, 3, v7
	v_cmp_eq_u32_e32 vcc, 1, v34
	v_mov_b32_e32 v27, 0
	v_mov_b32_e32 v17, v27
	v_cndmask_b32_e32 v6, v7, v6, vcc
	v_lshlrev_b32_e32 v6, 3, v6
	ds_write_b64 v6, v[8:9]
	v_sub_u32_e32 v6, v28, v26
	v_sub_u32_e32 v7, v1, v6
	v_add_u32_e32 v7, 4, v7
	v_cmp_eq_u32_e32 vcc, 1, v33
	v_or_b32_e32 v28, 0x800, v0
	s_nop 0
	v_cndmask_b32_e32 v6, v7, v6, vcc
	v_lshlrev_b32_e32 v6, 3, v6
	ds_write_b64 v6, v[2:3]
	v_sub_u32_e32 v2, v25, v26
	v_sub_u32_e32 v3, v1, v2
	v_add_u32_e32 v3, 5, v3
	v_cmp_eq_u32_e32 vcc, 1, v32
	s_nop 1
	v_cndmask_b32_e32 v2, v3, v2, vcc
	v_lshlrev_b32_e32 v2, 3, v2
	ds_write_b64 v2, v[4:5]
	v_sub_u32_e32 v2, v24, v26
	v_sub_u32_e32 v1, v1, v2
	v_add_u32_e32 v1, 6, v1
	v_cmp_eq_u32_e32 vcc, 1, v19
	v_or_b32_e32 v19, 0xa00, v0
	s_nop 0
	v_cndmask_b32_e32 v1, v1, v2, vcc
	v_lshlrev_b32_e32 v1, 3, v1
	ds_write_b64 v1, v[14:15]
	s_waitcnt vmcnt(0)
	v_lshl_add_u64 v[14:15], v[20:21], 0, v[16:17]
	v_lshl_add_u64 v[14:15], v[14:15], 0, v[26:27]
	s_waitcnt lgkmcnt(0)
	s_barrier
	ds_read2st64_b64 v[10:13], v18 offset1:8
	ds_read2st64_b64 v[6:9], v18 offset0:16 offset1:24
	ds_read2st64_b64 v[2:5], v18 offset0:32 offset1:40
	ds_read_b64 v[24:25], v18 offset:24576
	v_mov_b32_e32 v17, s27
	v_sub_co_u32_e32 v20, vcc, s26, v14
	v_or_b32_e32 v1, 0xc00, v0
	s_nop 0
	v_subb_co_u32_e32 v21, vcc, v17, v15, vcc
	v_lshlrev_b64 v[20:21], 3, v[20:21]
	v_lshl_add_u64 v[20:21], s[28:29], 0, v[20:21]
	v_lshl_add_u64 v[20:21], v[20:21], 0, v[22:23]
	s_andn2_b64 vcc, exec, s[24:25]
	s_cbranch_vccnz .LBB3252_86
; %bb.78:
	s_and_saveexec_b64 s[2:3], s[0:1]
	s_cbranch_execnz .LBB3252_105
; %bb.79:
	s_or_b64 exec, exec, s[2:3]
	v_cmp_ge_u32_e32 vcc, v31, v16
	s_and_saveexec_b64 s[0:1], vcc
	s_cbranch_execnz .LBB3252_106
.LBB3252_80:
	s_or_b64 exec, exec, s[0:1]
	v_cmp_ge_u32_e32 vcc, v30, v16
	s_and_saveexec_b64 s[0:1], vcc
	s_cbranch_execnz .LBB3252_107
.LBB3252_81:
	s_or_b64 exec, exec, s[0:1]
	v_cmp_ge_u32_e32 vcc, v29, v16
	s_and_saveexec_b64 s[0:1], vcc
	s_cbranch_execnz .LBB3252_108
.LBB3252_82:
	s_or_b64 exec, exec, s[0:1]
	v_cmp_ge_u32_e32 vcc, v28, v16
	s_and_saveexec_b64 s[0:1], vcc
	s_cbranch_execnz .LBB3252_109
.LBB3252_83:
	s_or_b64 exec, exec, s[0:1]
	v_cmp_ge_u32_e32 vcc, v19, v16
	s_and_saveexec_b64 s[0:1], vcc
	s_cbranch_execz .LBB3252_85
.LBB3252_84:
	v_lshlrev_b32_e32 v17, 3, v19
	v_readfirstlane_b32 s2, v20
	v_readfirstlane_b32 s3, v21
	s_waitcnt lgkmcnt(1)
	s_nop 3
	global_store_dwordx2 v17, v[4:5], s[2:3]
.LBB3252_85:
	s_or_b64 exec, exec, s[0:1]
	v_cmp_ge_u32_e64 s[0:1], v1, v16
	s_branch .LBB3252_100
.LBB3252_86:
	s_mov_b64 s[0:1], 0
	s_cbranch_execz .LBB3252_100
; %bb.87:
	v_cmp_gt_u32_e32 vcc, s33, v0
	v_cmp_ge_u32_e64 s[0:1], v0, v16
	s_and_b64 s[2:3], vcc, s[0:1]
	s_and_saveexec_b64 s[0:1], s[2:3]
	s_cbranch_execz .LBB3252_89
; %bb.88:
	v_readfirstlane_b32 s2, v20
	v_readfirstlane_b32 s3, v21
	s_waitcnt lgkmcnt(3)
	s_nop 3
	global_store_dwordx2 v18, v[10:11], s[2:3]
.LBB3252_89:
	s_or_b64 exec, exec, s[0:1]
	v_cmp_gt_u32_e32 vcc, s33, v31
	v_cmp_ge_u32_e64 s[0:1], v31, v16
	s_and_b64 s[2:3], vcc, s[0:1]
	s_and_saveexec_b64 s[0:1], s[2:3]
	s_cbranch_execz .LBB3252_91
; %bb.90:
	v_lshlrev_b32_e32 v0, 3, v31
	v_readfirstlane_b32 s2, v20
	v_readfirstlane_b32 s3, v21
	s_waitcnt lgkmcnt(3)
	s_nop 3
	global_store_dwordx2 v0, v[12:13], s[2:3]
.LBB3252_91:
	s_or_b64 exec, exec, s[0:1]
	v_cmp_gt_u32_e32 vcc, s33, v30
	v_cmp_ge_u32_e64 s[0:1], v30, v16
	s_and_b64 s[2:3], vcc, s[0:1]
	s_and_saveexec_b64 s[0:1], s[2:3]
	s_cbranch_execz .LBB3252_93
; %bb.92:
	v_lshlrev_b32_e32 v0, 3, v30
	v_readfirstlane_b32 s2, v20
	v_readfirstlane_b32 s3, v21
	s_waitcnt lgkmcnt(2)
	s_nop 3
	global_store_dwordx2 v0, v[6:7], s[2:3]
.LBB3252_93:
	;; [unrolled: 14-line block ×5, first 2 shown]
	s_or_b64 exec, exec, s[0:1]
	v_cmp_gt_u32_e32 vcc, s33, v1
	v_cmp_ge_u32_e64 s[0:1], v1, v16
	s_and_b64 s[0:1], vcc, s[0:1]
.LBB3252_100:
	s_and_saveexec_b64 s[2:3], s[0:1]
	s_cbranch_execnz .LBB3252_103
; %bb.101:
	s_or_b64 exec, exec, s[2:3]
	s_and_b64 s[0:1], s[18:19], s[22:23]
	s_and_saveexec_b64 s[2:3], s[0:1]
	s_cbranch_execnz .LBB3252_104
.LBB3252_102:
	s_endpgm
.LBB3252_103:
	v_lshlrev_b32_e32 v0, 3, v1
	v_readfirstlane_b32 s0, v20
	v_readfirstlane_b32 s1, v21
	s_waitcnt lgkmcnt(0)
	s_nop 3
	global_store_dwordx2 v0, v[24:25], s[0:1]
	s_or_b64 exec, exec, s[2:3]
	s_and_b64 s[0:1], s[18:19], s[22:23]
	s_and_saveexec_b64 s[2:3], s[0:1]
	s_cbranch_execz .LBB3252_102
.LBB3252_104:
	v_mov_b32_e32 v0, 0
	global_store_dwordx2 v0, v[14:15], s[20:21]
	s_endpgm
.LBB3252_105:
	v_readfirstlane_b32 s0, v20
	v_readfirstlane_b32 s1, v21
	s_waitcnt lgkmcnt(3)
	s_nop 3
	global_store_dwordx2 v18, v[10:11], s[0:1]
	s_or_b64 exec, exec, s[2:3]
	v_cmp_ge_u32_e32 vcc, v31, v16
	s_and_saveexec_b64 s[0:1], vcc
	s_cbranch_execz .LBB3252_80
.LBB3252_106:
	v_lshlrev_b32_e32 v17, 3, v31
	v_readfirstlane_b32 s2, v20
	v_readfirstlane_b32 s3, v21
	s_waitcnt lgkmcnt(3)
	s_nop 3
	global_store_dwordx2 v17, v[12:13], s[2:3]
	s_or_b64 exec, exec, s[0:1]
	v_cmp_ge_u32_e32 vcc, v30, v16
	s_and_saveexec_b64 s[0:1], vcc
	s_cbranch_execz .LBB3252_81
.LBB3252_107:
	v_lshlrev_b32_e32 v17, 3, v30
	v_readfirstlane_b32 s2, v20
	v_readfirstlane_b32 s3, v21
	s_waitcnt lgkmcnt(2)
	s_nop 3
	global_store_dwordx2 v17, v[6:7], s[2:3]
	s_or_b64 exec, exec, s[0:1]
	v_cmp_ge_u32_e32 vcc, v29, v16
	s_and_saveexec_b64 s[0:1], vcc
	s_cbranch_execz .LBB3252_82
.LBB3252_108:
	v_lshlrev_b32_e32 v17, 3, v29
	v_readfirstlane_b32 s2, v20
	v_readfirstlane_b32 s3, v21
	s_waitcnt lgkmcnt(2)
	s_nop 3
	global_store_dwordx2 v17, v[8:9], s[2:3]
	s_or_b64 exec, exec, s[0:1]
	v_cmp_ge_u32_e32 vcc, v28, v16
	s_and_saveexec_b64 s[0:1], vcc
	s_cbranch_execz .LBB3252_83
.LBB3252_109:
	v_lshlrev_b32_e32 v17, 3, v28
	v_readfirstlane_b32 s2, v20
	v_readfirstlane_b32 s3, v21
	s_waitcnt lgkmcnt(1)
	s_nop 3
	global_store_dwordx2 v17, v[2:3], s[2:3]
	s_or_b64 exec, exec, s[0:1]
	v_cmp_ge_u32_e32 vcc, v19, v16
	s_and_saveexec_b64 s[0:1], vcc
	s_cbranch_execnz .LBB3252_84
	s_branch .LBB3252_85
	.section	.rodata,"a",@progbits
	.p2align	6, 0x0
	.amdhsa_kernel _ZN7rocprim17ROCPRIM_400000_NS6detail17trampoline_kernelINS0_14default_configENS1_25partition_config_selectorILNS1_17partition_subalgoE1ExNS0_10empty_typeEbEEZZNS1_14partition_implILS5_1ELb0ES3_jN6thrust23THRUST_200600_302600_NS6detail15normal_iteratorINSA_10device_ptrIxEEEEPS6_NSA_18transform_iteratorI7is_evenIxESF_NSA_11use_defaultESK_EENS0_5tupleIJNSA_16discard_iteratorISK_EESF_EEENSM_IJSG_SG_EEES6_PlJS6_EEE10hipError_tPvRmT3_T4_T5_T6_T7_T9_mT8_P12ihipStream_tbDpT10_ENKUlT_T0_E_clISt17integral_constantIbLb0EES1A_IbLb1EEEEDaS16_S17_EUlS16_E_NS1_11comp_targetILNS1_3genE5ELNS1_11target_archE942ELNS1_3gpuE9ELNS1_3repE0EEENS1_30default_config_static_selectorELNS0_4arch9wavefront6targetE1EEEvT1_
		.amdhsa_group_segment_fixed_size 28680
		.amdhsa_private_segment_fixed_size 0
		.amdhsa_kernarg_size 152
		.amdhsa_user_sgpr_count 2
		.amdhsa_user_sgpr_dispatch_ptr 0
		.amdhsa_user_sgpr_queue_ptr 0
		.amdhsa_user_sgpr_kernarg_segment_ptr 1
		.amdhsa_user_sgpr_dispatch_id 0
		.amdhsa_user_sgpr_kernarg_preload_length 0
		.amdhsa_user_sgpr_kernarg_preload_offset 0
		.amdhsa_user_sgpr_private_segment_size 0
		.amdhsa_uses_dynamic_stack 0
		.amdhsa_enable_private_segment 0
		.amdhsa_system_sgpr_workgroup_id_x 1
		.amdhsa_system_sgpr_workgroup_id_y 0
		.amdhsa_system_sgpr_workgroup_id_z 0
		.amdhsa_system_sgpr_workgroup_info 0
		.amdhsa_system_vgpr_workitem_id 0
		.amdhsa_next_free_vgpr 58
		.amdhsa_next_free_sgpr 42
		.amdhsa_accum_offset 60
		.amdhsa_reserve_vcc 1
		.amdhsa_float_round_mode_32 0
		.amdhsa_float_round_mode_16_64 0
		.amdhsa_float_denorm_mode_32 3
		.amdhsa_float_denorm_mode_16_64 3
		.amdhsa_dx10_clamp 1
		.amdhsa_ieee_mode 1
		.amdhsa_fp16_overflow 0
		.amdhsa_tg_split 0
		.amdhsa_exception_fp_ieee_invalid_op 0
		.amdhsa_exception_fp_denorm_src 0
		.amdhsa_exception_fp_ieee_div_zero 0
		.amdhsa_exception_fp_ieee_overflow 0
		.amdhsa_exception_fp_ieee_underflow 0
		.amdhsa_exception_fp_ieee_inexact 0
		.amdhsa_exception_int_div_zero 0
	.end_amdhsa_kernel
	.section	.text._ZN7rocprim17ROCPRIM_400000_NS6detail17trampoline_kernelINS0_14default_configENS1_25partition_config_selectorILNS1_17partition_subalgoE1ExNS0_10empty_typeEbEEZZNS1_14partition_implILS5_1ELb0ES3_jN6thrust23THRUST_200600_302600_NS6detail15normal_iteratorINSA_10device_ptrIxEEEEPS6_NSA_18transform_iteratorI7is_evenIxESF_NSA_11use_defaultESK_EENS0_5tupleIJNSA_16discard_iteratorISK_EESF_EEENSM_IJSG_SG_EEES6_PlJS6_EEE10hipError_tPvRmT3_T4_T5_T6_T7_T9_mT8_P12ihipStream_tbDpT10_ENKUlT_T0_E_clISt17integral_constantIbLb0EES1A_IbLb1EEEEDaS16_S17_EUlS16_E_NS1_11comp_targetILNS1_3genE5ELNS1_11target_archE942ELNS1_3gpuE9ELNS1_3repE0EEENS1_30default_config_static_selectorELNS0_4arch9wavefront6targetE1EEEvT1_,"axG",@progbits,_ZN7rocprim17ROCPRIM_400000_NS6detail17trampoline_kernelINS0_14default_configENS1_25partition_config_selectorILNS1_17partition_subalgoE1ExNS0_10empty_typeEbEEZZNS1_14partition_implILS5_1ELb0ES3_jN6thrust23THRUST_200600_302600_NS6detail15normal_iteratorINSA_10device_ptrIxEEEEPS6_NSA_18transform_iteratorI7is_evenIxESF_NSA_11use_defaultESK_EENS0_5tupleIJNSA_16discard_iteratorISK_EESF_EEENSM_IJSG_SG_EEES6_PlJS6_EEE10hipError_tPvRmT3_T4_T5_T6_T7_T9_mT8_P12ihipStream_tbDpT10_ENKUlT_T0_E_clISt17integral_constantIbLb0EES1A_IbLb1EEEEDaS16_S17_EUlS16_E_NS1_11comp_targetILNS1_3genE5ELNS1_11target_archE942ELNS1_3gpuE9ELNS1_3repE0EEENS1_30default_config_static_selectorELNS0_4arch9wavefront6targetE1EEEvT1_,comdat
.Lfunc_end3252:
	.size	_ZN7rocprim17ROCPRIM_400000_NS6detail17trampoline_kernelINS0_14default_configENS1_25partition_config_selectorILNS1_17partition_subalgoE1ExNS0_10empty_typeEbEEZZNS1_14partition_implILS5_1ELb0ES3_jN6thrust23THRUST_200600_302600_NS6detail15normal_iteratorINSA_10device_ptrIxEEEEPS6_NSA_18transform_iteratorI7is_evenIxESF_NSA_11use_defaultESK_EENS0_5tupleIJNSA_16discard_iteratorISK_EESF_EEENSM_IJSG_SG_EEES6_PlJS6_EEE10hipError_tPvRmT3_T4_T5_T6_T7_T9_mT8_P12ihipStream_tbDpT10_ENKUlT_T0_E_clISt17integral_constantIbLb0EES1A_IbLb1EEEEDaS16_S17_EUlS16_E_NS1_11comp_targetILNS1_3genE5ELNS1_11target_archE942ELNS1_3gpuE9ELNS1_3repE0EEENS1_30default_config_static_selectorELNS0_4arch9wavefront6targetE1EEEvT1_, .Lfunc_end3252-_ZN7rocprim17ROCPRIM_400000_NS6detail17trampoline_kernelINS0_14default_configENS1_25partition_config_selectorILNS1_17partition_subalgoE1ExNS0_10empty_typeEbEEZZNS1_14partition_implILS5_1ELb0ES3_jN6thrust23THRUST_200600_302600_NS6detail15normal_iteratorINSA_10device_ptrIxEEEEPS6_NSA_18transform_iteratorI7is_evenIxESF_NSA_11use_defaultESK_EENS0_5tupleIJNSA_16discard_iteratorISK_EESF_EEENSM_IJSG_SG_EEES6_PlJS6_EEE10hipError_tPvRmT3_T4_T5_T6_T7_T9_mT8_P12ihipStream_tbDpT10_ENKUlT_T0_E_clISt17integral_constantIbLb0EES1A_IbLb1EEEEDaS16_S17_EUlS16_E_NS1_11comp_targetILNS1_3genE5ELNS1_11target_archE942ELNS1_3gpuE9ELNS1_3repE0EEENS1_30default_config_static_selectorELNS0_4arch9wavefront6targetE1EEEvT1_
                                        ; -- End function
	.section	.AMDGPU.csdata,"",@progbits
; Kernel info:
; codeLenInByte = 5212
; NumSgprs: 48
; NumVgprs: 58
; NumAgprs: 0
; TotalNumVgprs: 58
; ScratchSize: 0
; MemoryBound: 0
; FloatMode: 240
; IeeeMode: 1
; LDSByteSize: 28680 bytes/workgroup (compile time only)
; SGPRBlocks: 5
; VGPRBlocks: 7
; NumSGPRsForWavesPerEU: 48
; NumVGPRsForWavesPerEU: 58
; AccumOffset: 60
; Occupancy: 4
; WaveLimiterHint : 1
; COMPUTE_PGM_RSRC2:SCRATCH_EN: 0
; COMPUTE_PGM_RSRC2:USER_SGPR: 2
; COMPUTE_PGM_RSRC2:TRAP_HANDLER: 0
; COMPUTE_PGM_RSRC2:TGID_X_EN: 1
; COMPUTE_PGM_RSRC2:TGID_Y_EN: 0
; COMPUTE_PGM_RSRC2:TGID_Z_EN: 0
; COMPUTE_PGM_RSRC2:TIDIG_COMP_CNT: 0
; COMPUTE_PGM_RSRC3_GFX90A:ACCUM_OFFSET: 14
; COMPUTE_PGM_RSRC3_GFX90A:TG_SPLIT: 0
	.section	.text._ZN7rocprim17ROCPRIM_400000_NS6detail17trampoline_kernelINS0_14default_configENS1_25partition_config_selectorILNS1_17partition_subalgoE1ExNS0_10empty_typeEbEEZZNS1_14partition_implILS5_1ELb0ES3_jN6thrust23THRUST_200600_302600_NS6detail15normal_iteratorINSA_10device_ptrIxEEEEPS6_NSA_18transform_iteratorI7is_evenIxESF_NSA_11use_defaultESK_EENS0_5tupleIJNSA_16discard_iteratorISK_EESF_EEENSM_IJSG_SG_EEES6_PlJS6_EEE10hipError_tPvRmT3_T4_T5_T6_T7_T9_mT8_P12ihipStream_tbDpT10_ENKUlT_T0_E_clISt17integral_constantIbLb0EES1A_IbLb1EEEEDaS16_S17_EUlS16_E_NS1_11comp_targetILNS1_3genE4ELNS1_11target_archE910ELNS1_3gpuE8ELNS1_3repE0EEENS1_30default_config_static_selectorELNS0_4arch9wavefront6targetE1EEEvT1_,"axG",@progbits,_ZN7rocprim17ROCPRIM_400000_NS6detail17trampoline_kernelINS0_14default_configENS1_25partition_config_selectorILNS1_17partition_subalgoE1ExNS0_10empty_typeEbEEZZNS1_14partition_implILS5_1ELb0ES3_jN6thrust23THRUST_200600_302600_NS6detail15normal_iteratorINSA_10device_ptrIxEEEEPS6_NSA_18transform_iteratorI7is_evenIxESF_NSA_11use_defaultESK_EENS0_5tupleIJNSA_16discard_iteratorISK_EESF_EEENSM_IJSG_SG_EEES6_PlJS6_EEE10hipError_tPvRmT3_T4_T5_T6_T7_T9_mT8_P12ihipStream_tbDpT10_ENKUlT_T0_E_clISt17integral_constantIbLb0EES1A_IbLb1EEEEDaS16_S17_EUlS16_E_NS1_11comp_targetILNS1_3genE4ELNS1_11target_archE910ELNS1_3gpuE8ELNS1_3repE0EEENS1_30default_config_static_selectorELNS0_4arch9wavefront6targetE1EEEvT1_,comdat
	.protected	_ZN7rocprim17ROCPRIM_400000_NS6detail17trampoline_kernelINS0_14default_configENS1_25partition_config_selectorILNS1_17partition_subalgoE1ExNS0_10empty_typeEbEEZZNS1_14partition_implILS5_1ELb0ES3_jN6thrust23THRUST_200600_302600_NS6detail15normal_iteratorINSA_10device_ptrIxEEEEPS6_NSA_18transform_iteratorI7is_evenIxESF_NSA_11use_defaultESK_EENS0_5tupleIJNSA_16discard_iteratorISK_EESF_EEENSM_IJSG_SG_EEES6_PlJS6_EEE10hipError_tPvRmT3_T4_T5_T6_T7_T9_mT8_P12ihipStream_tbDpT10_ENKUlT_T0_E_clISt17integral_constantIbLb0EES1A_IbLb1EEEEDaS16_S17_EUlS16_E_NS1_11comp_targetILNS1_3genE4ELNS1_11target_archE910ELNS1_3gpuE8ELNS1_3repE0EEENS1_30default_config_static_selectorELNS0_4arch9wavefront6targetE1EEEvT1_ ; -- Begin function _ZN7rocprim17ROCPRIM_400000_NS6detail17trampoline_kernelINS0_14default_configENS1_25partition_config_selectorILNS1_17partition_subalgoE1ExNS0_10empty_typeEbEEZZNS1_14partition_implILS5_1ELb0ES3_jN6thrust23THRUST_200600_302600_NS6detail15normal_iteratorINSA_10device_ptrIxEEEEPS6_NSA_18transform_iteratorI7is_evenIxESF_NSA_11use_defaultESK_EENS0_5tupleIJNSA_16discard_iteratorISK_EESF_EEENSM_IJSG_SG_EEES6_PlJS6_EEE10hipError_tPvRmT3_T4_T5_T6_T7_T9_mT8_P12ihipStream_tbDpT10_ENKUlT_T0_E_clISt17integral_constantIbLb0EES1A_IbLb1EEEEDaS16_S17_EUlS16_E_NS1_11comp_targetILNS1_3genE4ELNS1_11target_archE910ELNS1_3gpuE8ELNS1_3repE0EEENS1_30default_config_static_selectorELNS0_4arch9wavefront6targetE1EEEvT1_
	.globl	_ZN7rocprim17ROCPRIM_400000_NS6detail17trampoline_kernelINS0_14default_configENS1_25partition_config_selectorILNS1_17partition_subalgoE1ExNS0_10empty_typeEbEEZZNS1_14partition_implILS5_1ELb0ES3_jN6thrust23THRUST_200600_302600_NS6detail15normal_iteratorINSA_10device_ptrIxEEEEPS6_NSA_18transform_iteratorI7is_evenIxESF_NSA_11use_defaultESK_EENS0_5tupleIJNSA_16discard_iteratorISK_EESF_EEENSM_IJSG_SG_EEES6_PlJS6_EEE10hipError_tPvRmT3_T4_T5_T6_T7_T9_mT8_P12ihipStream_tbDpT10_ENKUlT_T0_E_clISt17integral_constantIbLb0EES1A_IbLb1EEEEDaS16_S17_EUlS16_E_NS1_11comp_targetILNS1_3genE4ELNS1_11target_archE910ELNS1_3gpuE8ELNS1_3repE0EEENS1_30default_config_static_selectorELNS0_4arch9wavefront6targetE1EEEvT1_
	.p2align	8
	.type	_ZN7rocprim17ROCPRIM_400000_NS6detail17trampoline_kernelINS0_14default_configENS1_25partition_config_selectorILNS1_17partition_subalgoE1ExNS0_10empty_typeEbEEZZNS1_14partition_implILS5_1ELb0ES3_jN6thrust23THRUST_200600_302600_NS6detail15normal_iteratorINSA_10device_ptrIxEEEEPS6_NSA_18transform_iteratorI7is_evenIxESF_NSA_11use_defaultESK_EENS0_5tupleIJNSA_16discard_iteratorISK_EESF_EEENSM_IJSG_SG_EEES6_PlJS6_EEE10hipError_tPvRmT3_T4_T5_T6_T7_T9_mT8_P12ihipStream_tbDpT10_ENKUlT_T0_E_clISt17integral_constantIbLb0EES1A_IbLb1EEEEDaS16_S17_EUlS16_E_NS1_11comp_targetILNS1_3genE4ELNS1_11target_archE910ELNS1_3gpuE8ELNS1_3repE0EEENS1_30default_config_static_selectorELNS0_4arch9wavefront6targetE1EEEvT1_,@function
_ZN7rocprim17ROCPRIM_400000_NS6detail17trampoline_kernelINS0_14default_configENS1_25partition_config_selectorILNS1_17partition_subalgoE1ExNS0_10empty_typeEbEEZZNS1_14partition_implILS5_1ELb0ES3_jN6thrust23THRUST_200600_302600_NS6detail15normal_iteratorINSA_10device_ptrIxEEEEPS6_NSA_18transform_iteratorI7is_evenIxESF_NSA_11use_defaultESK_EENS0_5tupleIJNSA_16discard_iteratorISK_EESF_EEENSM_IJSG_SG_EEES6_PlJS6_EEE10hipError_tPvRmT3_T4_T5_T6_T7_T9_mT8_P12ihipStream_tbDpT10_ENKUlT_T0_E_clISt17integral_constantIbLb0EES1A_IbLb1EEEEDaS16_S17_EUlS16_E_NS1_11comp_targetILNS1_3genE4ELNS1_11target_archE910ELNS1_3gpuE8ELNS1_3repE0EEENS1_30default_config_static_selectorELNS0_4arch9wavefront6targetE1EEEvT1_: ; @_ZN7rocprim17ROCPRIM_400000_NS6detail17trampoline_kernelINS0_14default_configENS1_25partition_config_selectorILNS1_17partition_subalgoE1ExNS0_10empty_typeEbEEZZNS1_14partition_implILS5_1ELb0ES3_jN6thrust23THRUST_200600_302600_NS6detail15normal_iteratorINSA_10device_ptrIxEEEEPS6_NSA_18transform_iteratorI7is_evenIxESF_NSA_11use_defaultESK_EENS0_5tupleIJNSA_16discard_iteratorISK_EESF_EEENSM_IJSG_SG_EEES6_PlJS6_EEE10hipError_tPvRmT3_T4_T5_T6_T7_T9_mT8_P12ihipStream_tbDpT10_ENKUlT_T0_E_clISt17integral_constantIbLb0EES1A_IbLb1EEEEDaS16_S17_EUlS16_E_NS1_11comp_targetILNS1_3genE4ELNS1_11target_archE910ELNS1_3gpuE8ELNS1_3repE0EEENS1_30default_config_static_selectorELNS0_4arch9wavefront6targetE1EEEvT1_
; %bb.0:
	.section	.rodata,"a",@progbits
	.p2align	6, 0x0
	.amdhsa_kernel _ZN7rocprim17ROCPRIM_400000_NS6detail17trampoline_kernelINS0_14default_configENS1_25partition_config_selectorILNS1_17partition_subalgoE1ExNS0_10empty_typeEbEEZZNS1_14partition_implILS5_1ELb0ES3_jN6thrust23THRUST_200600_302600_NS6detail15normal_iteratorINSA_10device_ptrIxEEEEPS6_NSA_18transform_iteratorI7is_evenIxESF_NSA_11use_defaultESK_EENS0_5tupleIJNSA_16discard_iteratorISK_EESF_EEENSM_IJSG_SG_EEES6_PlJS6_EEE10hipError_tPvRmT3_T4_T5_T6_T7_T9_mT8_P12ihipStream_tbDpT10_ENKUlT_T0_E_clISt17integral_constantIbLb0EES1A_IbLb1EEEEDaS16_S17_EUlS16_E_NS1_11comp_targetILNS1_3genE4ELNS1_11target_archE910ELNS1_3gpuE8ELNS1_3repE0EEENS1_30default_config_static_selectorELNS0_4arch9wavefront6targetE1EEEvT1_
		.amdhsa_group_segment_fixed_size 0
		.amdhsa_private_segment_fixed_size 0
		.amdhsa_kernarg_size 152
		.amdhsa_user_sgpr_count 2
		.amdhsa_user_sgpr_dispatch_ptr 0
		.amdhsa_user_sgpr_queue_ptr 0
		.amdhsa_user_sgpr_kernarg_segment_ptr 1
		.amdhsa_user_sgpr_dispatch_id 0
		.amdhsa_user_sgpr_kernarg_preload_length 0
		.amdhsa_user_sgpr_kernarg_preload_offset 0
		.amdhsa_user_sgpr_private_segment_size 0
		.amdhsa_uses_dynamic_stack 0
		.amdhsa_enable_private_segment 0
		.amdhsa_system_sgpr_workgroup_id_x 1
		.amdhsa_system_sgpr_workgroup_id_y 0
		.amdhsa_system_sgpr_workgroup_id_z 0
		.amdhsa_system_sgpr_workgroup_info 0
		.amdhsa_system_vgpr_workitem_id 0
		.amdhsa_next_free_vgpr 1
		.amdhsa_next_free_sgpr 0
		.amdhsa_accum_offset 4
		.amdhsa_reserve_vcc 0
		.amdhsa_float_round_mode_32 0
		.amdhsa_float_round_mode_16_64 0
		.amdhsa_float_denorm_mode_32 3
		.amdhsa_float_denorm_mode_16_64 3
		.amdhsa_dx10_clamp 1
		.amdhsa_ieee_mode 1
		.amdhsa_fp16_overflow 0
		.amdhsa_tg_split 0
		.amdhsa_exception_fp_ieee_invalid_op 0
		.amdhsa_exception_fp_denorm_src 0
		.amdhsa_exception_fp_ieee_div_zero 0
		.amdhsa_exception_fp_ieee_overflow 0
		.amdhsa_exception_fp_ieee_underflow 0
		.amdhsa_exception_fp_ieee_inexact 0
		.amdhsa_exception_int_div_zero 0
	.end_amdhsa_kernel
	.section	.text._ZN7rocprim17ROCPRIM_400000_NS6detail17trampoline_kernelINS0_14default_configENS1_25partition_config_selectorILNS1_17partition_subalgoE1ExNS0_10empty_typeEbEEZZNS1_14partition_implILS5_1ELb0ES3_jN6thrust23THRUST_200600_302600_NS6detail15normal_iteratorINSA_10device_ptrIxEEEEPS6_NSA_18transform_iteratorI7is_evenIxESF_NSA_11use_defaultESK_EENS0_5tupleIJNSA_16discard_iteratorISK_EESF_EEENSM_IJSG_SG_EEES6_PlJS6_EEE10hipError_tPvRmT3_T4_T5_T6_T7_T9_mT8_P12ihipStream_tbDpT10_ENKUlT_T0_E_clISt17integral_constantIbLb0EES1A_IbLb1EEEEDaS16_S17_EUlS16_E_NS1_11comp_targetILNS1_3genE4ELNS1_11target_archE910ELNS1_3gpuE8ELNS1_3repE0EEENS1_30default_config_static_selectorELNS0_4arch9wavefront6targetE1EEEvT1_,"axG",@progbits,_ZN7rocprim17ROCPRIM_400000_NS6detail17trampoline_kernelINS0_14default_configENS1_25partition_config_selectorILNS1_17partition_subalgoE1ExNS0_10empty_typeEbEEZZNS1_14partition_implILS5_1ELb0ES3_jN6thrust23THRUST_200600_302600_NS6detail15normal_iteratorINSA_10device_ptrIxEEEEPS6_NSA_18transform_iteratorI7is_evenIxESF_NSA_11use_defaultESK_EENS0_5tupleIJNSA_16discard_iteratorISK_EESF_EEENSM_IJSG_SG_EEES6_PlJS6_EEE10hipError_tPvRmT3_T4_T5_T6_T7_T9_mT8_P12ihipStream_tbDpT10_ENKUlT_T0_E_clISt17integral_constantIbLb0EES1A_IbLb1EEEEDaS16_S17_EUlS16_E_NS1_11comp_targetILNS1_3genE4ELNS1_11target_archE910ELNS1_3gpuE8ELNS1_3repE0EEENS1_30default_config_static_selectorELNS0_4arch9wavefront6targetE1EEEvT1_,comdat
.Lfunc_end3253:
	.size	_ZN7rocprim17ROCPRIM_400000_NS6detail17trampoline_kernelINS0_14default_configENS1_25partition_config_selectorILNS1_17partition_subalgoE1ExNS0_10empty_typeEbEEZZNS1_14partition_implILS5_1ELb0ES3_jN6thrust23THRUST_200600_302600_NS6detail15normal_iteratorINSA_10device_ptrIxEEEEPS6_NSA_18transform_iteratorI7is_evenIxESF_NSA_11use_defaultESK_EENS0_5tupleIJNSA_16discard_iteratorISK_EESF_EEENSM_IJSG_SG_EEES6_PlJS6_EEE10hipError_tPvRmT3_T4_T5_T6_T7_T9_mT8_P12ihipStream_tbDpT10_ENKUlT_T0_E_clISt17integral_constantIbLb0EES1A_IbLb1EEEEDaS16_S17_EUlS16_E_NS1_11comp_targetILNS1_3genE4ELNS1_11target_archE910ELNS1_3gpuE8ELNS1_3repE0EEENS1_30default_config_static_selectorELNS0_4arch9wavefront6targetE1EEEvT1_, .Lfunc_end3253-_ZN7rocprim17ROCPRIM_400000_NS6detail17trampoline_kernelINS0_14default_configENS1_25partition_config_selectorILNS1_17partition_subalgoE1ExNS0_10empty_typeEbEEZZNS1_14partition_implILS5_1ELb0ES3_jN6thrust23THRUST_200600_302600_NS6detail15normal_iteratorINSA_10device_ptrIxEEEEPS6_NSA_18transform_iteratorI7is_evenIxESF_NSA_11use_defaultESK_EENS0_5tupleIJNSA_16discard_iteratorISK_EESF_EEENSM_IJSG_SG_EEES6_PlJS6_EEE10hipError_tPvRmT3_T4_T5_T6_T7_T9_mT8_P12ihipStream_tbDpT10_ENKUlT_T0_E_clISt17integral_constantIbLb0EES1A_IbLb1EEEEDaS16_S17_EUlS16_E_NS1_11comp_targetILNS1_3genE4ELNS1_11target_archE910ELNS1_3gpuE8ELNS1_3repE0EEENS1_30default_config_static_selectorELNS0_4arch9wavefront6targetE1EEEvT1_
                                        ; -- End function
	.section	.AMDGPU.csdata,"",@progbits
; Kernel info:
; codeLenInByte = 0
; NumSgprs: 6
; NumVgprs: 0
; NumAgprs: 0
; TotalNumVgprs: 0
; ScratchSize: 0
; MemoryBound: 0
; FloatMode: 240
; IeeeMode: 1
; LDSByteSize: 0 bytes/workgroup (compile time only)
; SGPRBlocks: 0
; VGPRBlocks: 0
; NumSGPRsForWavesPerEU: 6
; NumVGPRsForWavesPerEU: 1
; AccumOffset: 4
; Occupancy: 8
; WaveLimiterHint : 0
; COMPUTE_PGM_RSRC2:SCRATCH_EN: 0
; COMPUTE_PGM_RSRC2:USER_SGPR: 2
; COMPUTE_PGM_RSRC2:TRAP_HANDLER: 0
; COMPUTE_PGM_RSRC2:TGID_X_EN: 1
; COMPUTE_PGM_RSRC2:TGID_Y_EN: 0
; COMPUTE_PGM_RSRC2:TGID_Z_EN: 0
; COMPUTE_PGM_RSRC2:TIDIG_COMP_CNT: 0
; COMPUTE_PGM_RSRC3_GFX90A:ACCUM_OFFSET: 0
; COMPUTE_PGM_RSRC3_GFX90A:TG_SPLIT: 0
	.section	.text._ZN7rocprim17ROCPRIM_400000_NS6detail17trampoline_kernelINS0_14default_configENS1_25partition_config_selectorILNS1_17partition_subalgoE1ExNS0_10empty_typeEbEEZZNS1_14partition_implILS5_1ELb0ES3_jN6thrust23THRUST_200600_302600_NS6detail15normal_iteratorINSA_10device_ptrIxEEEEPS6_NSA_18transform_iteratorI7is_evenIxESF_NSA_11use_defaultESK_EENS0_5tupleIJNSA_16discard_iteratorISK_EESF_EEENSM_IJSG_SG_EEES6_PlJS6_EEE10hipError_tPvRmT3_T4_T5_T6_T7_T9_mT8_P12ihipStream_tbDpT10_ENKUlT_T0_E_clISt17integral_constantIbLb0EES1A_IbLb1EEEEDaS16_S17_EUlS16_E_NS1_11comp_targetILNS1_3genE3ELNS1_11target_archE908ELNS1_3gpuE7ELNS1_3repE0EEENS1_30default_config_static_selectorELNS0_4arch9wavefront6targetE1EEEvT1_,"axG",@progbits,_ZN7rocprim17ROCPRIM_400000_NS6detail17trampoline_kernelINS0_14default_configENS1_25partition_config_selectorILNS1_17partition_subalgoE1ExNS0_10empty_typeEbEEZZNS1_14partition_implILS5_1ELb0ES3_jN6thrust23THRUST_200600_302600_NS6detail15normal_iteratorINSA_10device_ptrIxEEEEPS6_NSA_18transform_iteratorI7is_evenIxESF_NSA_11use_defaultESK_EENS0_5tupleIJNSA_16discard_iteratorISK_EESF_EEENSM_IJSG_SG_EEES6_PlJS6_EEE10hipError_tPvRmT3_T4_T5_T6_T7_T9_mT8_P12ihipStream_tbDpT10_ENKUlT_T0_E_clISt17integral_constantIbLb0EES1A_IbLb1EEEEDaS16_S17_EUlS16_E_NS1_11comp_targetILNS1_3genE3ELNS1_11target_archE908ELNS1_3gpuE7ELNS1_3repE0EEENS1_30default_config_static_selectorELNS0_4arch9wavefront6targetE1EEEvT1_,comdat
	.protected	_ZN7rocprim17ROCPRIM_400000_NS6detail17trampoline_kernelINS0_14default_configENS1_25partition_config_selectorILNS1_17partition_subalgoE1ExNS0_10empty_typeEbEEZZNS1_14partition_implILS5_1ELb0ES3_jN6thrust23THRUST_200600_302600_NS6detail15normal_iteratorINSA_10device_ptrIxEEEEPS6_NSA_18transform_iteratorI7is_evenIxESF_NSA_11use_defaultESK_EENS0_5tupleIJNSA_16discard_iteratorISK_EESF_EEENSM_IJSG_SG_EEES6_PlJS6_EEE10hipError_tPvRmT3_T4_T5_T6_T7_T9_mT8_P12ihipStream_tbDpT10_ENKUlT_T0_E_clISt17integral_constantIbLb0EES1A_IbLb1EEEEDaS16_S17_EUlS16_E_NS1_11comp_targetILNS1_3genE3ELNS1_11target_archE908ELNS1_3gpuE7ELNS1_3repE0EEENS1_30default_config_static_selectorELNS0_4arch9wavefront6targetE1EEEvT1_ ; -- Begin function _ZN7rocprim17ROCPRIM_400000_NS6detail17trampoline_kernelINS0_14default_configENS1_25partition_config_selectorILNS1_17partition_subalgoE1ExNS0_10empty_typeEbEEZZNS1_14partition_implILS5_1ELb0ES3_jN6thrust23THRUST_200600_302600_NS6detail15normal_iteratorINSA_10device_ptrIxEEEEPS6_NSA_18transform_iteratorI7is_evenIxESF_NSA_11use_defaultESK_EENS0_5tupleIJNSA_16discard_iteratorISK_EESF_EEENSM_IJSG_SG_EEES6_PlJS6_EEE10hipError_tPvRmT3_T4_T5_T6_T7_T9_mT8_P12ihipStream_tbDpT10_ENKUlT_T0_E_clISt17integral_constantIbLb0EES1A_IbLb1EEEEDaS16_S17_EUlS16_E_NS1_11comp_targetILNS1_3genE3ELNS1_11target_archE908ELNS1_3gpuE7ELNS1_3repE0EEENS1_30default_config_static_selectorELNS0_4arch9wavefront6targetE1EEEvT1_
	.globl	_ZN7rocprim17ROCPRIM_400000_NS6detail17trampoline_kernelINS0_14default_configENS1_25partition_config_selectorILNS1_17partition_subalgoE1ExNS0_10empty_typeEbEEZZNS1_14partition_implILS5_1ELb0ES3_jN6thrust23THRUST_200600_302600_NS6detail15normal_iteratorINSA_10device_ptrIxEEEEPS6_NSA_18transform_iteratorI7is_evenIxESF_NSA_11use_defaultESK_EENS0_5tupleIJNSA_16discard_iteratorISK_EESF_EEENSM_IJSG_SG_EEES6_PlJS6_EEE10hipError_tPvRmT3_T4_T5_T6_T7_T9_mT8_P12ihipStream_tbDpT10_ENKUlT_T0_E_clISt17integral_constantIbLb0EES1A_IbLb1EEEEDaS16_S17_EUlS16_E_NS1_11comp_targetILNS1_3genE3ELNS1_11target_archE908ELNS1_3gpuE7ELNS1_3repE0EEENS1_30default_config_static_selectorELNS0_4arch9wavefront6targetE1EEEvT1_
	.p2align	8
	.type	_ZN7rocprim17ROCPRIM_400000_NS6detail17trampoline_kernelINS0_14default_configENS1_25partition_config_selectorILNS1_17partition_subalgoE1ExNS0_10empty_typeEbEEZZNS1_14partition_implILS5_1ELb0ES3_jN6thrust23THRUST_200600_302600_NS6detail15normal_iteratorINSA_10device_ptrIxEEEEPS6_NSA_18transform_iteratorI7is_evenIxESF_NSA_11use_defaultESK_EENS0_5tupleIJNSA_16discard_iteratorISK_EESF_EEENSM_IJSG_SG_EEES6_PlJS6_EEE10hipError_tPvRmT3_T4_T5_T6_T7_T9_mT8_P12ihipStream_tbDpT10_ENKUlT_T0_E_clISt17integral_constantIbLb0EES1A_IbLb1EEEEDaS16_S17_EUlS16_E_NS1_11comp_targetILNS1_3genE3ELNS1_11target_archE908ELNS1_3gpuE7ELNS1_3repE0EEENS1_30default_config_static_selectorELNS0_4arch9wavefront6targetE1EEEvT1_,@function
_ZN7rocprim17ROCPRIM_400000_NS6detail17trampoline_kernelINS0_14default_configENS1_25partition_config_selectorILNS1_17partition_subalgoE1ExNS0_10empty_typeEbEEZZNS1_14partition_implILS5_1ELb0ES3_jN6thrust23THRUST_200600_302600_NS6detail15normal_iteratorINSA_10device_ptrIxEEEEPS6_NSA_18transform_iteratorI7is_evenIxESF_NSA_11use_defaultESK_EENS0_5tupleIJNSA_16discard_iteratorISK_EESF_EEENSM_IJSG_SG_EEES6_PlJS6_EEE10hipError_tPvRmT3_T4_T5_T6_T7_T9_mT8_P12ihipStream_tbDpT10_ENKUlT_T0_E_clISt17integral_constantIbLb0EES1A_IbLb1EEEEDaS16_S17_EUlS16_E_NS1_11comp_targetILNS1_3genE3ELNS1_11target_archE908ELNS1_3gpuE7ELNS1_3repE0EEENS1_30default_config_static_selectorELNS0_4arch9wavefront6targetE1EEEvT1_: ; @_ZN7rocprim17ROCPRIM_400000_NS6detail17trampoline_kernelINS0_14default_configENS1_25partition_config_selectorILNS1_17partition_subalgoE1ExNS0_10empty_typeEbEEZZNS1_14partition_implILS5_1ELb0ES3_jN6thrust23THRUST_200600_302600_NS6detail15normal_iteratorINSA_10device_ptrIxEEEEPS6_NSA_18transform_iteratorI7is_evenIxESF_NSA_11use_defaultESK_EENS0_5tupleIJNSA_16discard_iteratorISK_EESF_EEENSM_IJSG_SG_EEES6_PlJS6_EEE10hipError_tPvRmT3_T4_T5_T6_T7_T9_mT8_P12ihipStream_tbDpT10_ENKUlT_T0_E_clISt17integral_constantIbLb0EES1A_IbLb1EEEEDaS16_S17_EUlS16_E_NS1_11comp_targetILNS1_3genE3ELNS1_11target_archE908ELNS1_3gpuE7ELNS1_3repE0EEENS1_30default_config_static_selectorELNS0_4arch9wavefront6targetE1EEEvT1_
; %bb.0:
	.section	.rodata,"a",@progbits
	.p2align	6, 0x0
	.amdhsa_kernel _ZN7rocprim17ROCPRIM_400000_NS6detail17trampoline_kernelINS0_14default_configENS1_25partition_config_selectorILNS1_17partition_subalgoE1ExNS0_10empty_typeEbEEZZNS1_14partition_implILS5_1ELb0ES3_jN6thrust23THRUST_200600_302600_NS6detail15normal_iteratorINSA_10device_ptrIxEEEEPS6_NSA_18transform_iteratorI7is_evenIxESF_NSA_11use_defaultESK_EENS0_5tupleIJNSA_16discard_iteratorISK_EESF_EEENSM_IJSG_SG_EEES6_PlJS6_EEE10hipError_tPvRmT3_T4_T5_T6_T7_T9_mT8_P12ihipStream_tbDpT10_ENKUlT_T0_E_clISt17integral_constantIbLb0EES1A_IbLb1EEEEDaS16_S17_EUlS16_E_NS1_11comp_targetILNS1_3genE3ELNS1_11target_archE908ELNS1_3gpuE7ELNS1_3repE0EEENS1_30default_config_static_selectorELNS0_4arch9wavefront6targetE1EEEvT1_
		.amdhsa_group_segment_fixed_size 0
		.amdhsa_private_segment_fixed_size 0
		.amdhsa_kernarg_size 152
		.amdhsa_user_sgpr_count 2
		.amdhsa_user_sgpr_dispatch_ptr 0
		.amdhsa_user_sgpr_queue_ptr 0
		.amdhsa_user_sgpr_kernarg_segment_ptr 1
		.amdhsa_user_sgpr_dispatch_id 0
		.amdhsa_user_sgpr_kernarg_preload_length 0
		.amdhsa_user_sgpr_kernarg_preload_offset 0
		.amdhsa_user_sgpr_private_segment_size 0
		.amdhsa_uses_dynamic_stack 0
		.amdhsa_enable_private_segment 0
		.amdhsa_system_sgpr_workgroup_id_x 1
		.amdhsa_system_sgpr_workgroup_id_y 0
		.amdhsa_system_sgpr_workgroup_id_z 0
		.amdhsa_system_sgpr_workgroup_info 0
		.amdhsa_system_vgpr_workitem_id 0
		.amdhsa_next_free_vgpr 1
		.amdhsa_next_free_sgpr 0
		.amdhsa_accum_offset 4
		.amdhsa_reserve_vcc 0
		.amdhsa_float_round_mode_32 0
		.amdhsa_float_round_mode_16_64 0
		.amdhsa_float_denorm_mode_32 3
		.amdhsa_float_denorm_mode_16_64 3
		.amdhsa_dx10_clamp 1
		.amdhsa_ieee_mode 1
		.amdhsa_fp16_overflow 0
		.amdhsa_tg_split 0
		.amdhsa_exception_fp_ieee_invalid_op 0
		.amdhsa_exception_fp_denorm_src 0
		.amdhsa_exception_fp_ieee_div_zero 0
		.amdhsa_exception_fp_ieee_overflow 0
		.amdhsa_exception_fp_ieee_underflow 0
		.amdhsa_exception_fp_ieee_inexact 0
		.amdhsa_exception_int_div_zero 0
	.end_amdhsa_kernel
	.section	.text._ZN7rocprim17ROCPRIM_400000_NS6detail17trampoline_kernelINS0_14default_configENS1_25partition_config_selectorILNS1_17partition_subalgoE1ExNS0_10empty_typeEbEEZZNS1_14partition_implILS5_1ELb0ES3_jN6thrust23THRUST_200600_302600_NS6detail15normal_iteratorINSA_10device_ptrIxEEEEPS6_NSA_18transform_iteratorI7is_evenIxESF_NSA_11use_defaultESK_EENS0_5tupleIJNSA_16discard_iteratorISK_EESF_EEENSM_IJSG_SG_EEES6_PlJS6_EEE10hipError_tPvRmT3_T4_T5_T6_T7_T9_mT8_P12ihipStream_tbDpT10_ENKUlT_T0_E_clISt17integral_constantIbLb0EES1A_IbLb1EEEEDaS16_S17_EUlS16_E_NS1_11comp_targetILNS1_3genE3ELNS1_11target_archE908ELNS1_3gpuE7ELNS1_3repE0EEENS1_30default_config_static_selectorELNS0_4arch9wavefront6targetE1EEEvT1_,"axG",@progbits,_ZN7rocprim17ROCPRIM_400000_NS6detail17trampoline_kernelINS0_14default_configENS1_25partition_config_selectorILNS1_17partition_subalgoE1ExNS0_10empty_typeEbEEZZNS1_14partition_implILS5_1ELb0ES3_jN6thrust23THRUST_200600_302600_NS6detail15normal_iteratorINSA_10device_ptrIxEEEEPS6_NSA_18transform_iteratorI7is_evenIxESF_NSA_11use_defaultESK_EENS0_5tupleIJNSA_16discard_iteratorISK_EESF_EEENSM_IJSG_SG_EEES6_PlJS6_EEE10hipError_tPvRmT3_T4_T5_T6_T7_T9_mT8_P12ihipStream_tbDpT10_ENKUlT_T0_E_clISt17integral_constantIbLb0EES1A_IbLb1EEEEDaS16_S17_EUlS16_E_NS1_11comp_targetILNS1_3genE3ELNS1_11target_archE908ELNS1_3gpuE7ELNS1_3repE0EEENS1_30default_config_static_selectorELNS0_4arch9wavefront6targetE1EEEvT1_,comdat
.Lfunc_end3254:
	.size	_ZN7rocprim17ROCPRIM_400000_NS6detail17trampoline_kernelINS0_14default_configENS1_25partition_config_selectorILNS1_17partition_subalgoE1ExNS0_10empty_typeEbEEZZNS1_14partition_implILS5_1ELb0ES3_jN6thrust23THRUST_200600_302600_NS6detail15normal_iteratorINSA_10device_ptrIxEEEEPS6_NSA_18transform_iteratorI7is_evenIxESF_NSA_11use_defaultESK_EENS0_5tupleIJNSA_16discard_iteratorISK_EESF_EEENSM_IJSG_SG_EEES6_PlJS6_EEE10hipError_tPvRmT3_T4_T5_T6_T7_T9_mT8_P12ihipStream_tbDpT10_ENKUlT_T0_E_clISt17integral_constantIbLb0EES1A_IbLb1EEEEDaS16_S17_EUlS16_E_NS1_11comp_targetILNS1_3genE3ELNS1_11target_archE908ELNS1_3gpuE7ELNS1_3repE0EEENS1_30default_config_static_selectorELNS0_4arch9wavefront6targetE1EEEvT1_, .Lfunc_end3254-_ZN7rocprim17ROCPRIM_400000_NS6detail17trampoline_kernelINS0_14default_configENS1_25partition_config_selectorILNS1_17partition_subalgoE1ExNS0_10empty_typeEbEEZZNS1_14partition_implILS5_1ELb0ES3_jN6thrust23THRUST_200600_302600_NS6detail15normal_iteratorINSA_10device_ptrIxEEEEPS6_NSA_18transform_iteratorI7is_evenIxESF_NSA_11use_defaultESK_EENS0_5tupleIJNSA_16discard_iteratorISK_EESF_EEENSM_IJSG_SG_EEES6_PlJS6_EEE10hipError_tPvRmT3_T4_T5_T6_T7_T9_mT8_P12ihipStream_tbDpT10_ENKUlT_T0_E_clISt17integral_constantIbLb0EES1A_IbLb1EEEEDaS16_S17_EUlS16_E_NS1_11comp_targetILNS1_3genE3ELNS1_11target_archE908ELNS1_3gpuE7ELNS1_3repE0EEENS1_30default_config_static_selectorELNS0_4arch9wavefront6targetE1EEEvT1_
                                        ; -- End function
	.section	.AMDGPU.csdata,"",@progbits
; Kernel info:
; codeLenInByte = 0
; NumSgprs: 6
; NumVgprs: 0
; NumAgprs: 0
; TotalNumVgprs: 0
; ScratchSize: 0
; MemoryBound: 0
; FloatMode: 240
; IeeeMode: 1
; LDSByteSize: 0 bytes/workgroup (compile time only)
; SGPRBlocks: 0
; VGPRBlocks: 0
; NumSGPRsForWavesPerEU: 6
; NumVGPRsForWavesPerEU: 1
; AccumOffset: 4
; Occupancy: 8
; WaveLimiterHint : 0
; COMPUTE_PGM_RSRC2:SCRATCH_EN: 0
; COMPUTE_PGM_RSRC2:USER_SGPR: 2
; COMPUTE_PGM_RSRC2:TRAP_HANDLER: 0
; COMPUTE_PGM_RSRC2:TGID_X_EN: 1
; COMPUTE_PGM_RSRC2:TGID_Y_EN: 0
; COMPUTE_PGM_RSRC2:TGID_Z_EN: 0
; COMPUTE_PGM_RSRC2:TIDIG_COMP_CNT: 0
; COMPUTE_PGM_RSRC3_GFX90A:ACCUM_OFFSET: 0
; COMPUTE_PGM_RSRC3_GFX90A:TG_SPLIT: 0
	.section	.text._ZN7rocprim17ROCPRIM_400000_NS6detail17trampoline_kernelINS0_14default_configENS1_25partition_config_selectorILNS1_17partition_subalgoE1ExNS0_10empty_typeEbEEZZNS1_14partition_implILS5_1ELb0ES3_jN6thrust23THRUST_200600_302600_NS6detail15normal_iteratorINSA_10device_ptrIxEEEEPS6_NSA_18transform_iteratorI7is_evenIxESF_NSA_11use_defaultESK_EENS0_5tupleIJNSA_16discard_iteratorISK_EESF_EEENSM_IJSG_SG_EEES6_PlJS6_EEE10hipError_tPvRmT3_T4_T5_T6_T7_T9_mT8_P12ihipStream_tbDpT10_ENKUlT_T0_E_clISt17integral_constantIbLb0EES1A_IbLb1EEEEDaS16_S17_EUlS16_E_NS1_11comp_targetILNS1_3genE2ELNS1_11target_archE906ELNS1_3gpuE6ELNS1_3repE0EEENS1_30default_config_static_selectorELNS0_4arch9wavefront6targetE1EEEvT1_,"axG",@progbits,_ZN7rocprim17ROCPRIM_400000_NS6detail17trampoline_kernelINS0_14default_configENS1_25partition_config_selectorILNS1_17partition_subalgoE1ExNS0_10empty_typeEbEEZZNS1_14partition_implILS5_1ELb0ES3_jN6thrust23THRUST_200600_302600_NS6detail15normal_iteratorINSA_10device_ptrIxEEEEPS6_NSA_18transform_iteratorI7is_evenIxESF_NSA_11use_defaultESK_EENS0_5tupleIJNSA_16discard_iteratorISK_EESF_EEENSM_IJSG_SG_EEES6_PlJS6_EEE10hipError_tPvRmT3_T4_T5_T6_T7_T9_mT8_P12ihipStream_tbDpT10_ENKUlT_T0_E_clISt17integral_constantIbLb0EES1A_IbLb1EEEEDaS16_S17_EUlS16_E_NS1_11comp_targetILNS1_3genE2ELNS1_11target_archE906ELNS1_3gpuE6ELNS1_3repE0EEENS1_30default_config_static_selectorELNS0_4arch9wavefront6targetE1EEEvT1_,comdat
	.protected	_ZN7rocprim17ROCPRIM_400000_NS6detail17trampoline_kernelINS0_14default_configENS1_25partition_config_selectorILNS1_17partition_subalgoE1ExNS0_10empty_typeEbEEZZNS1_14partition_implILS5_1ELb0ES3_jN6thrust23THRUST_200600_302600_NS6detail15normal_iteratorINSA_10device_ptrIxEEEEPS6_NSA_18transform_iteratorI7is_evenIxESF_NSA_11use_defaultESK_EENS0_5tupleIJNSA_16discard_iteratorISK_EESF_EEENSM_IJSG_SG_EEES6_PlJS6_EEE10hipError_tPvRmT3_T4_T5_T6_T7_T9_mT8_P12ihipStream_tbDpT10_ENKUlT_T0_E_clISt17integral_constantIbLb0EES1A_IbLb1EEEEDaS16_S17_EUlS16_E_NS1_11comp_targetILNS1_3genE2ELNS1_11target_archE906ELNS1_3gpuE6ELNS1_3repE0EEENS1_30default_config_static_selectorELNS0_4arch9wavefront6targetE1EEEvT1_ ; -- Begin function _ZN7rocprim17ROCPRIM_400000_NS6detail17trampoline_kernelINS0_14default_configENS1_25partition_config_selectorILNS1_17partition_subalgoE1ExNS0_10empty_typeEbEEZZNS1_14partition_implILS5_1ELb0ES3_jN6thrust23THRUST_200600_302600_NS6detail15normal_iteratorINSA_10device_ptrIxEEEEPS6_NSA_18transform_iteratorI7is_evenIxESF_NSA_11use_defaultESK_EENS0_5tupleIJNSA_16discard_iteratorISK_EESF_EEENSM_IJSG_SG_EEES6_PlJS6_EEE10hipError_tPvRmT3_T4_T5_T6_T7_T9_mT8_P12ihipStream_tbDpT10_ENKUlT_T0_E_clISt17integral_constantIbLb0EES1A_IbLb1EEEEDaS16_S17_EUlS16_E_NS1_11comp_targetILNS1_3genE2ELNS1_11target_archE906ELNS1_3gpuE6ELNS1_3repE0EEENS1_30default_config_static_selectorELNS0_4arch9wavefront6targetE1EEEvT1_
	.globl	_ZN7rocprim17ROCPRIM_400000_NS6detail17trampoline_kernelINS0_14default_configENS1_25partition_config_selectorILNS1_17partition_subalgoE1ExNS0_10empty_typeEbEEZZNS1_14partition_implILS5_1ELb0ES3_jN6thrust23THRUST_200600_302600_NS6detail15normal_iteratorINSA_10device_ptrIxEEEEPS6_NSA_18transform_iteratorI7is_evenIxESF_NSA_11use_defaultESK_EENS0_5tupleIJNSA_16discard_iteratorISK_EESF_EEENSM_IJSG_SG_EEES6_PlJS6_EEE10hipError_tPvRmT3_T4_T5_T6_T7_T9_mT8_P12ihipStream_tbDpT10_ENKUlT_T0_E_clISt17integral_constantIbLb0EES1A_IbLb1EEEEDaS16_S17_EUlS16_E_NS1_11comp_targetILNS1_3genE2ELNS1_11target_archE906ELNS1_3gpuE6ELNS1_3repE0EEENS1_30default_config_static_selectorELNS0_4arch9wavefront6targetE1EEEvT1_
	.p2align	8
	.type	_ZN7rocprim17ROCPRIM_400000_NS6detail17trampoline_kernelINS0_14default_configENS1_25partition_config_selectorILNS1_17partition_subalgoE1ExNS0_10empty_typeEbEEZZNS1_14partition_implILS5_1ELb0ES3_jN6thrust23THRUST_200600_302600_NS6detail15normal_iteratorINSA_10device_ptrIxEEEEPS6_NSA_18transform_iteratorI7is_evenIxESF_NSA_11use_defaultESK_EENS0_5tupleIJNSA_16discard_iteratorISK_EESF_EEENSM_IJSG_SG_EEES6_PlJS6_EEE10hipError_tPvRmT3_T4_T5_T6_T7_T9_mT8_P12ihipStream_tbDpT10_ENKUlT_T0_E_clISt17integral_constantIbLb0EES1A_IbLb1EEEEDaS16_S17_EUlS16_E_NS1_11comp_targetILNS1_3genE2ELNS1_11target_archE906ELNS1_3gpuE6ELNS1_3repE0EEENS1_30default_config_static_selectorELNS0_4arch9wavefront6targetE1EEEvT1_,@function
_ZN7rocprim17ROCPRIM_400000_NS6detail17trampoline_kernelINS0_14default_configENS1_25partition_config_selectorILNS1_17partition_subalgoE1ExNS0_10empty_typeEbEEZZNS1_14partition_implILS5_1ELb0ES3_jN6thrust23THRUST_200600_302600_NS6detail15normal_iteratorINSA_10device_ptrIxEEEEPS6_NSA_18transform_iteratorI7is_evenIxESF_NSA_11use_defaultESK_EENS0_5tupleIJNSA_16discard_iteratorISK_EESF_EEENSM_IJSG_SG_EEES6_PlJS6_EEE10hipError_tPvRmT3_T4_T5_T6_T7_T9_mT8_P12ihipStream_tbDpT10_ENKUlT_T0_E_clISt17integral_constantIbLb0EES1A_IbLb1EEEEDaS16_S17_EUlS16_E_NS1_11comp_targetILNS1_3genE2ELNS1_11target_archE906ELNS1_3gpuE6ELNS1_3repE0EEENS1_30default_config_static_selectorELNS0_4arch9wavefront6targetE1EEEvT1_: ; @_ZN7rocprim17ROCPRIM_400000_NS6detail17trampoline_kernelINS0_14default_configENS1_25partition_config_selectorILNS1_17partition_subalgoE1ExNS0_10empty_typeEbEEZZNS1_14partition_implILS5_1ELb0ES3_jN6thrust23THRUST_200600_302600_NS6detail15normal_iteratorINSA_10device_ptrIxEEEEPS6_NSA_18transform_iteratorI7is_evenIxESF_NSA_11use_defaultESK_EENS0_5tupleIJNSA_16discard_iteratorISK_EESF_EEENSM_IJSG_SG_EEES6_PlJS6_EEE10hipError_tPvRmT3_T4_T5_T6_T7_T9_mT8_P12ihipStream_tbDpT10_ENKUlT_T0_E_clISt17integral_constantIbLb0EES1A_IbLb1EEEEDaS16_S17_EUlS16_E_NS1_11comp_targetILNS1_3genE2ELNS1_11target_archE906ELNS1_3gpuE6ELNS1_3repE0EEENS1_30default_config_static_selectorELNS0_4arch9wavefront6targetE1EEEvT1_
; %bb.0:
	.section	.rodata,"a",@progbits
	.p2align	6, 0x0
	.amdhsa_kernel _ZN7rocprim17ROCPRIM_400000_NS6detail17trampoline_kernelINS0_14default_configENS1_25partition_config_selectorILNS1_17partition_subalgoE1ExNS0_10empty_typeEbEEZZNS1_14partition_implILS5_1ELb0ES3_jN6thrust23THRUST_200600_302600_NS6detail15normal_iteratorINSA_10device_ptrIxEEEEPS6_NSA_18transform_iteratorI7is_evenIxESF_NSA_11use_defaultESK_EENS0_5tupleIJNSA_16discard_iteratorISK_EESF_EEENSM_IJSG_SG_EEES6_PlJS6_EEE10hipError_tPvRmT3_T4_T5_T6_T7_T9_mT8_P12ihipStream_tbDpT10_ENKUlT_T0_E_clISt17integral_constantIbLb0EES1A_IbLb1EEEEDaS16_S17_EUlS16_E_NS1_11comp_targetILNS1_3genE2ELNS1_11target_archE906ELNS1_3gpuE6ELNS1_3repE0EEENS1_30default_config_static_selectorELNS0_4arch9wavefront6targetE1EEEvT1_
		.amdhsa_group_segment_fixed_size 0
		.amdhsa_private_segment_fixed_size 0
		.amdhsa_kernarg_size 152
		.amdhsa_user_sgpr_count 2
		.amdhsa_user_sgpr_dispatch_ptr 0
		.amdhsa_user_sgpr_queue_ptr 0
		.amdhsa_user_sgpr_kernarg_segment_ptr 1
		.amdhsa_user_sgpr_dispatch_id 0
		.amdhsa_user_sgpr_kernarg_preload_length 0
		.amdhsa_user_sgpr_kernarg_preload_offset 0
		.amdhsa_user_sgpr_private_segment_size 0
		.amdhsa_uses_dynamic_stack 0
		.amdhsa_enable_private_segment 0
		.amdhsa_system_sgpr_workgroup_id_x 1
		.amdhsa_system_sgpr_workgroup_id_y 0
		.amdhsa_system_sgpr_workgroup_id_z 0
		.amdhsa_system_sgpr_workgroup_info 0
		.amdhsa_system_vgpr_workitem_id 0
		.amdhsa_next_free_vgpr 1
		.amdhsa_next_free_sgpr 0
		.amdhsa_accum_offset 4
		.amdhsa_reserve_vcc 0
		.amdhsa_float_round_mode_32 0
		.amdhsa_float_round_mode_16_64 0
		.amdhsa_float_denorm_mode_32 3
		.amdhsa_float_denorm_mode_16_64 3
		.amdhsa_dx10_clamp 1
		.amdhsa_ieee_mode 1
		.amdhsa_fp16_overflow 0
		.amdhsa_tg_split 0
		.amdhsa_exception_fp_ieee_invalid_op 0
		.amdhsa_exception_fp_denorm_src 0
		.amdhsa_exception_fp_ieee_div_zero 0
		.amdhsa_exception_fp_ieee_overflow 0
		.amdhsa_exception_fp_ieee_underflow 0
		.amdhsa_exception_fp_ieee_inexact 0
		.amdhsa_exception_int_div_zero 0
	.end_amdhsa_kernel
	.section	.text._ZN7rocprim17ROCPRIM_400000_NS6detail17trampoline_kernelINS0_14default_configENS1_25partition_config_selectorILNS1_17partition_subalgoE1ExNS0_10empty_typeEbEEZZNS1_14partition_implILS5_1ELb0ES3_jN6thrust23THRUST_200600_302600_NS6detail15normal_iteratorINSA_10device_ptrIxEEEEPS6_NSA_18transform_iteratorI7is_evenIxESF_NSA_11use_defaultESK_EENS0_5tupleIJNSA_16discard_iteratorISK_EESF_EEENSM_IJSG_SG_EEES6_PlJS6_EEE10hipError_tPvRmT3_T4_T5_T6_T7_T9_mT8_P12ihipStream_tbDpT10_ENKUlT_T0_E_clISt17integral_constantIbLb0EES1A_IbLb1EEEEDaS16_S17_EUlS16_E_NS1_11comp_targetILNS1_3genE2ELNS1_11target_archE906ELNS1_3gpuE6ELNS1_3repE0EEENS1_30default_config_static_selectorELNS0_4arch9wavefront6targetE1EEEvT1_,"axG",@progbits,_ZN7rocprim17ROCPRIM_400000_NS6detail17trampoline_kernelINS0_14default_configENS1_25partition_config_selectorILNS1_17partition_subalgoE1ExNS0_10empty_typeEbEEZZNS1_14partition_implILS5_1ELb0ES3_jN6thrust23THRUST_200600_302600_NS6detail15normal_iteratorINSA_10device_ptrIxEEEEPS6_NSA_18transform_iteratorI7is_evenIxESF_NSA_11use_defaultESK_EENS0_5tupleIJNSA_16discard_iteratorISK_EESF_EEENSM_IJSG_SG_EEES6_PlJS6_EEE10hipError_tPvRmT3_T4_T5_T6_T7_T9_mT8_P12ihipStream_tbDpT10_ENKUlT_T0_E_clISt17integral_constantIbLb0EES1A_IbLb1EEEEDaS16_S17_EUlS16_E_NS1_11comp_targetILNS1_3genE2ELNS1_11target_archE906ELNS1_3gpuE6ELNS1_3repE0EEENS1_30default_config_static_selectorELNS0_4arch9wavefront6targetE1EEEvT1_,comdat
.Lfunc_end3255:
	.size	_ZN7rocprim17ROCPRIM_400000_NS6detail17trampoline_kernelINS0_14default_configENS1_25partition_config_selectorILNS1_17partition_subalgoE1ExNS0_10empty_typeEbEEZZNS1_14partition_implILS5_1ELb0ES3_jN6thrust23THRUST_200600_302600_NS6detail15normal_iteratorINSA_10device_ptrIxEEEEPS6_NSA_18transform_iteratorI7is_evenIxESF_NSA_11use_defaultESK_EENS0_5tupleIJNSA_16discard_iteratorISK_EESF_EEENSM_IJSG_SG_EEES6_PlJS6_EEE10hipError_tPvRmT3_T4_T5_T6_T7_T9_mT8_P12ihipStream_tbDpT10_ENKUlT_T0_E_clISt17integral_constantIbLb0EES1A_IbLb1EEEEDaS16_S17_EUlS16_E_NS1_11comp_targetILNS1_3genE2ELNS1_11target_archE906ELNS1_3gpuE6ELNS1_3repE0EEENS1_30default_config_static_selectorELNS0_4arch9wavefront6targetE1EEEvT1_, .Lfunc_end3255-_ZN7rocprim17ROCPRIM_400000_NS6detail17trampoline_kernelINS0_14default_configENS1_25partition_config_selectorILNS1_17partition_subalgoE1ExNS0_10empty_typeEbEEZZNS1_14partition_implILS5_1ELb0ES3_jN6thrust23THRUST_200600_302600_NS6detail15normal_iteratorINSA_10device_ptrIxEEEEPS6_NSA_18transform_iteratorI7is_evenIxESF_NSA_11use_defaultESK_EENS0_5tupleIJNSA_16discard_iteratorISK_EESF_EEENSM_IJSG_SG_EEES6_PlJS6_EEE10hipError_tPvRmT3_T4_T5_T6_T7_T9_mT8_P12ihipStream_tbDpT10_ENKUlT_T0_E_clISt17integral_constantIbLb0EES1A_IbLb1EEEEDaS16_S17_EUlS16_E_NS1_11comp_targetILNS1_3genE2ELNS1_11target_archE906ELNS1_3gpuE6ELNS1_3repE0EEENS1_30default_config_static_selectorELNS0_4arch9wavefront6targetE1EEEvT1_
                                        ; -- End function
	.section	.AMDGPU.csdata,"",@progbits
; Kernel info:
; codeLenInByte = 0
; NumSgprs: 6
; NumVgprs: 0
; NumAgprs: 0
; TotalNumVgprs: 0
; ScratchSize: 0
; MemoryBound: 0
; FloatMode: 240
; IeeeMode: 1
; LDSByteSize: 0 bytes/workgroup (compile time only)
; SGPRBlocks: 0
; VGPRBlocks: 0
; NumSGPRsForWavesPerEU: 6
; NumVGPRsForWavesPerEU: 1
; AccumOffset: 4
; Occupancy: 8
; WaveLimiterHint : 0
; COMPUTE_PGM_RSRC2:SCRATCH_EN: 0
; COMPUTE_PGM_RSRC2:USER_SGPR: 2
; COMPUTE_PGM_RSRC2:TRAP_HANDLER: 0
; COMPUTE_PGM_RSRC2:TGID_X_EN: 1
; COMPUTE_PGM_RSRC2:TGID_Y_EN: 0
; COMPUTE_PGM_RSRC2:TGID_Z_EN: 0
; COMPUTE_PGM_RSRC2:TIDIG_COMP_CNT: 0
; COMPUTE_PGM_RSRC3_GFX90A:ACCUM_OFFSET: 0
; COMPUTE_PGM_RSRC3_GFX90A:TG_SPLIT: 0
	.section	.text._ZN7rocprim17ROCPRIM_400000_NS6detail17trampoline_kernelINS0_14default_configENS1_25partition_config_selectorILNS1_17partition_subalgoE1ExNS0_10empty_typeEbEEZZNS1_14partition_implILS5_1ELb0ES3_jN6thrust23THRUST_200600_302600_NS6detail15normal_iteratorINSA_10device_ptrIxEEEEPS6_NSA_18transform_iteratorI7is_evenIxESF_NSA_11use_defaultESK_EENS0_5tupleIJNSA_16discard_iteratorISK_EESF_EEENSM_IJSG_SG_EEES6_PlJS6_EEE10hipError_tPvRmT3_T4_T5_T6_T7_T9_mT8_P12ihipStream_tbDpT10_ENKUlT_T0_E_clISt17integral_constantIbLb0EES1A_IbLb1EEEEDaS16_S17_EUlS16_E_NS1_11comp_targetILNS1_3genE10ELNS1_11target_archE1200ELNS1_3gpuE4ELNS1_3repE0EEENS1_30default_config_static_selectorELNS0_4arch9wavefront6targetE1EEEvT1_,"axG",@progbits,_ZN7rocprim17ROCPRIM_400000_NS6detail17trampoline_kernelINS0_14default_configENS1_25partition_config_selectorILNS1_17partition_subalgoE1ExNS0_10empty_typeEbEEZZNS1_14partition_implILS5_1ELb0ES3_jN6thrust23THRUST_200600_302600_NS6detail15normal_iteratorINSA_10device_ptrIxEEEEPS6_NSA_18transform_iteratorI7is_evenIxESF_NSA_11use_defaultESK_EENS0_5tupleIJNSA_16discard_iteratorISK_EESF_EEENSM_IJSG_SG_EEES6_PlJS6_EEE10hipError_tPvRmT3_T4_T5_T6_T7_T9_mT8_P12ihipStream_tbDpT10_ENKUlT_T0_E_clISt17integral_constantIbLb0EES1A_IbLb1EEEEDaS16_S17_EUlS16_E_NS1_11comp_targetILNS1_3genE10ELNS1_11target_archE1200ELNS1_3gpuE4ELNS1_3repE0EEENS1_30default_config_static_selectorELNS0_4arch9wavefront6targetE1EEEvT1_,comdat
	.protected	_ZN7rocprim17ROCPRIM_400000_NS6detail17trampoline_kernelINS0_14default_configENS1_25partition_config_selectorILNS1_17partition_subalgoE1ExNS0_10empty_typeEbEEZZNS1_14partition_implILS5_1ELb0ES3_jN6thrust23THRUST_200600_302600_NS6detail15normal_iteratorINSA_10device_ptrIxEEEEPS6_NSA_18transform_iteratorI7is_evenIxESF_NSA_11use_defaultESK_EENS0_5tupleIJNSA_16discard_iteratorISK_EESF_EEENSM_IJSG_SG_EEES6_PlJS6_EEE10hipError_tPvRmT3_T4_T5_T6_T7_T9_mT8_P12ihipStream_tbDpT10_ENKUlT_T0_E_clISt17integral_constantIbLb0EES1A_IbLb1EEEEDaS16_S17_EUlS16_E_NS1_11comp_targetILNS1_3genE10ELNS1_11target_archE1200ELNS1_3gpuE4ELNS1_3repE0EEENS1_30default_config_static_selectorELNS0_4arch9wavefront6targetE1EEEvT1_ ; -- Begin function _ZN7rocprim17ROCPRIM_400000_NS6detail17trampoline_kernelINS0_14default_configENS1_25partition_config_selectorILNS1_17partition_subalgoE1ExNS0_10empty_typeEbEEZZNS1_14partition_implILS5_1ELb0ES3_jN6thrust23THRUST_200600_302600_NS6detail15normal_iteratorINSA_10device_ptrIxEEEEPS6_NSA_18transform_iteratorI7is_evenIxESF_NSA_11use_defaultESK_EENS0_5tupleIJNSA_16discard_iteratorISK_EESF_EEENSM_IJSG_SG_EEES6_PlJS6_EEE10hipError_tPvRmT3_T4_T5_T6_T7_T9_mT8_P12ihipStream_tbDpT10_ENKUlT_T0_E_clISt17integral_constantIbLb0EES1A_IbLb1EEEEDaS16_S17_EUlS16_E_NS1_11comp_targetILNS1_3genE10ELNS1_11target_archE1200ELNS1_3gpuE4ELNS1_3repE0EEENS1_30default_config_static_selectorELNS0_4arch9wavefront6targetE1EEEvT1_
	.globl	_ZN7rocprim17ROCPRIM_400000_NS6detail17trampoline_kernelINS0_14default_configENS1_25partition_config_selectorILNS1_17partition_subalgoE1ExNS0_10empty_typeEbEEZZNS1_14partition_implILS5_1ELb0ES3_jN6thrust23THRUST_200600_302600_NS6detail15normal_iteratorINSA_10device_ptrIxEEEEPS6_NSA_18transform_iteratorI7is_evenIxESF_NSA_11use_defaultESK_EENS0_5tupleIJNSA_16discard_iteratorISK_EESF_EEENSM_IJSG_SG_EEES6_PlJS6_EEE10hipError_tPvRmT3_T4_T5_T6_T7_T9_mT8_P12ihipStream_tbDpT10_ENKUlT_T0_E_clISt17integral_constantIbLb0EES1A_IbLb1EEEEDaS16_S17_EUlS16_E_NS1_11comp_targetILNS1_3genE10ELNS1_11target_archE1200ELNS1_3gpuE4ELNS1_3repE0EEENS1_30default_config_static_selectorELNS0_4arch9wavefront6targetE1EEEvT1_
	.p2align	8
	.type	_ZN7rocprim17ROCPRIM_400000_NS6detail17trampoline_kernelINS0_14default_configENS1_25partition_config_selectorILNS1_17partition_subalgoE1ExNS0_10empty_typeEbEEZZNS1_14partition_implILS5_1ELb0ES3_jN6thrust23THRUST_200600_302600_NS6detail15normal_iteratorINSA_10device_ptrIxEEEEPS6_NSA_18transform_iteratorI7is_evenIxESF_NSA_11use_defaultESK_EENS0_5tupleIJNSA_16discard_iteratorISK_EESF_EEENSM_IJSG_SG_EEES6_PlJS6_EEE10hipError_tPvRmT3_T4_T5_T6_T7_T9_mT8_P12ihipStream_tbDpT10_ENKUlT_T0_E_clISt17integral_constantIbLb0EES1A_IbLb1EEEEDaS16_S17_EUlS16_E_NS1_11comp_targetILNS1_3genE10ELNS1_11target_archE1200ELNS1_3gpuE4ELNS1_3repE0EEENS1_30default_config_static_selectorELNS0_4arch9wavefront6targetE1EEEvT1_,@function
_ZN7rocprim17ROCPRIM_400000_NS6detail17trampoline_kernelINS0_14default_configENS1_25partition_config_selectorILNS1_17partition_subalgoE1ExNS0_10empty_typeEbEEZZNS1_14partition_implILS5_1ELb0ES3_jN6thrust23THRUST_200600_302600_NS6detail15normal_iteratorINSA_10device_ptrIxEEEEPS6_NSA_18transform_iteratorI7is_evenIxESF_NSA_11use_defaultESK_EENS0_5tupleIJNSA_16discard_iteratorISK_EESF_EEENSM_IJSG_SG_EEES6_PlJS6_EEE10hipError_tPvRmT3_T4_T5_T6_T7_T9_mT8_P12ihipStream_tbDpT10_ENKUlT_T0_E_clISt17integral_constantIbLb0EES1A_IbLb1EEEEDaS16_S17_EUlS16_E_NS1_11comp_targetILNS1_3genE10ELNS1_11target_archE1200ELNS1_3gpuE4ELNS1_3repE0EEENS1_30default_config_static_selectorELNS0_4arch9wavefront6targetE1EEEvT1_: ; @_ZN7rocprim17ROCPRIM_400000_NS6detail17trampoline_kernelINS0_14default_configENS1_25partition_config_selectorILNS1_17partition_subalgoE1ExNS0_10empty_typeEbEEZZNS1_14partition_implILS5_1ELb0ES3_jN6thrust23THRUST_200600_302600_NS6detail15normal_iteratorINSA_10device_ptrIxEEEEPS6_NSA_18transform_iteratorI7is_evenIxESF_NSA_11use_defaultESK_EENS0_5tupleIJNSA_16discard_iteratorISK_EESF_EEENSM_IJSG_SG_EEES6_PlJS6_EEE10hipError_tPvRmT3_T4_T5_T6_T7_T9_mT8_P12ihipStream_tbDpT10_ENKUlT_T0_E_clISt17integral_constantIbLb0EES1A_IbLb1EEEEDaS16_S17_EUlS16_E_NS1_11comp_targetILNS1_3genE10ELNS1_11target_archE1200ELNS1_3gpuE4ELNS1_3repE0EEENS1_30default_config_static_selectorELNS0_4arch9wavefront6targetE1EEEvT1_
; %bb.0:
	.section	.rodata,"a",@progbits
	.p2align	6, 0x0
	.amdhsa_kernel _ZN7rocprim17ROCPRIM_400000_NS6detail17trampoline_kernelINS0_14default_configENS1_25partition_config_selectorILNS1_17partition_subalgoE1ExNS0_10empty_typeEbEEZZNS1_14partition_implILS5_1ELb0ES3_jN6thrust23THRUST_200600_302600_NS6detail15normal_iteratorINSA_10device_ptrIxEEEEPS6_NSA_18transform_iteratorI7is_evenIxESF_NSA_11use_defaultESK_EENS0_5tupleIJNSA_16discard_iteratorISK_EESF_EEENSM_IJSG_SG_EEES6_PlJS6_EEE10hipError_tPvRmT3_T4_T5_T6_T7_T9_mT8_P12ihipStream_tbDpT10_ENKUlT_T0_E_clISt17integral_constantIbLb0EES1A_IbLb1EEEEDaS16_S17_EUlS16_E_NS1_11comp_targetILNS1_3genE10ELNS1_11target_archE1200ELNS1_3gpuE4ELNS1_3repE0EEENS1_30default_config_static_selectorELNS0_4arch9wavefront6targetE1EEEvT1_
		.amdhsa_group_segment_fixed_size 0
		.amdhsa_private_segment_fixed_size 0
		.amdhsa_kernarg_size 152
		.amdhsa_user_sgpr_count 2
		.amdhsa_user_sgpr_dispatch_ptr 0
		.amdhsa_user_sgpr_queue_ptr 0
		.amdhsa_user_sgpr_kernarg_segment_ptr 1
		.amdhsa_user_sgpr_dispatch_id 0
		.amdhsa_user_sgpr_kernarg_preload_length 0
		.amdhsa_user_sgpr_kernarg_preload_offset 0
		.amdhsa_user_sgpr_private_segment_size 0
		.amdhsa_uses_dynamic_stack 0
		.amdhsa_enable_private_segment 0
		.amdhsa_system_sgpr_workgroup_id_x 1
		.amdhsa_system_sgpr_workgroup_id_y 0
		.amdhsa_system_sgpr_workgroup_id_z 0
		.amdhsa_system_sgpr_workgroup_info 0
		.amdhsa_system_vgpr_workitem_id 0
		.amdhsa_next_free_vgpr 1
		.amdhsa_next_free_sgpr 0
		.amdhsa_accum_offset 4
		.amdhsa_reserve_vcc 0
		.amdhsa_float_round_mode_32 0
		.amdhsa_float_round_mode_16_64 0
		.amdhsa_float_denorm_mode_32 3
		.amdhsa_float_denorm_mode_16_64 3
		.amdhsa_dx10_clamp 1
		.amdhsa_ieee_mode 1
		.amdhsa_fp16_overflow 0
		.amdhsa_tg_split 0
		.amdhsa_exception_fp_ieee_invalid_op 0
		.amdhsa_exception_fp_denorm_src 0
		.amdhsa_exception_fp_ieee_div_zero 0
		.amdhsa_exception_fp_ieee_overflow 0
		.amdhsa_exception_fp_ieee_underflow 0
		.amdhsa_exception_fp_ieee_inexact 0
		.amdhsa_exception_int_div_zero 0
	.end_amdhsa_kernel
	.section	.text._ZN7rocprim17ROCPRIM_400000_NS6detail17trampoline_kernelINS0_14default_configENS1_25partition_config_selectorILNS1_17partition_subalgoE1ExNS0_10empty_typeEbEEZZNS1_14partition_implILS5_1ELb0ES3_jN6thrust23THRUST_200600_302600_NS6detail15normal_iteratorINSA_10device_ptrIxEEEEPS6_NSA_18transform_iteratorI7is_evenIxESF_NSA_11use_defaultESK_EENS0_5tupleIJNSA_16discard_iteratorISK_EESF_EEENSM_IJSG_SG_EEES6_PlJS6_EEE10hipError_tPvRmT3_T4_T5_T6_T7_T9_mT8_P12ihipStream_tbDpT10_ENKUlT_T0_E_clISt17integral_constantIbLb0EES1A_IbLb1EEEEDaS16_S17_EUlS16_E_NS1_11comp_targetILNS1_3genE10ELNS1_11target_archE1200ELNS1_3gpuE4ELNS1_3repE0EEENS1_30default_config_static_selectorELNS0_4arch9wavefront6targetE1EEEvT1_,"axG",@progbits,_ZN7rocprim17ROCPRIM_400000_NS6detail17trampoline_kernelINS0_14default_configENS1_25partition_config_selectorILNS1_17partition_subalgoE1ExNS0_10empty_typeEbEEZZNS1_14partition_implILS5_1ELb0ES3_jN6thrust23THRUST_200600_302600_NS6detail15normal_iteratorINSA_10device_ptrIxEEEEPS6_NSA_18transform_iteratorI7is_evenIxESF_NSA_11use_defaultESK_EENS0_5tupleIJNSA_16discard_iteratorISK_EESF_EEENSM_IJSG_SG_EEES6_PlJS6_EEE10hipError_tPvRmT3_T4_T5_T6_T7_T9_mT8_P12ihipStream_tbDpT10_ENKUlT_T0_E_clISt17integral_constantIbLb0EES1A_IbLb1EEEEDaS16_S17_EUlS16_E_NS1_11comp_targetILNS1_3genE10ELNS1_11target_archE1200ELNS1_3gpuE4ELNS1_3repE0EEENS1_30default_config_static_selectorELNS0_4arch9wavefront6targetE1EEEvT1_,comdat
.Lfunc_end3256:
	.size	_ZN7rocprim17ROCPRIM_400000_NS6detail17trampoline_kernelINS0_14default_configENS1_25partition_config_selectorILNS1_17partition_subalgoE1ExNS0_10empty_typeEbEEZZNS1_14partition_implILS5_1ELb0ES3_jN6thrust23THRUST_200600_302600_NS6detail15normal_iteratorINSA_10device_ptrIxEEEEPS6_NSA_18transform_iteratorI7is_evenIxESF_NSA_11use_defaultESK_EENS0_5tupleIJNSA_16discard_iteratorISK_EESF_EEENSM_IJSG_SG_EEES6_PlJS6_EEE10hipError_tPvRmT3_T4_T5_T6_T7_T9_mT8_P12ihipStream_tbDpT10_ENKUlT_T0_E_clISt17integral_constantIbLb0EES1A_IbLb1EEEEDaS16_S17_EUlS16_E_NS1_11comp_targetILNS1_3genE10ELNS1_11target_archE1200ELNS1_3gpuE4ELNS1_3repE0EEENS1_30default_config_static_selectorELNS0_4arch9wavefront6targetE1EEEvT1_, .Lfunc_end3256-_ZN7rocprim17ROCPRIM_400000_NS6detail17trampoline_kernelINS0_14default_configENS1_25partition_config_selectorILNS1_17partition_subalgoE1ExNS0_10empty_typeEbEEZZNS1_14partition_implILS5_1ELb0ES3_jN6thrust23THRUST_200600_302600_NS6detail15normal_iteratorINSA_10device_ptrIxEEEEPS6_NSA_18transform_iteratorI7is_evenIxESF_NSA_11use_defaultESK_EENS0_5tupleIJNSA_16discard_iteratorISK_EESF_EEENSM_IJSG_SG_EEES6_PlJS6_EEE10hipError_tPvRmT3_T4_T5_T6_T7_T9_mT8_P12ihipStream_tbDpT10_ENKUlT_T0_E_clISt17integral_constantIbLb0EES1A_IbLb1EEEEDaS16_S17_EUlS16_E_NS1_11comp_targetILNS1_3genE10ELNS1_11target_archE1200ELNS1_3gpuE4ELNS1_3repE0EEENS1_30default_config_static_selectorELNS0_4arch9wavefront6targetE1EEEvT1_
                                        ; -- End function
	.section	.AMDGPU.csdata,"",@progbits
; Kernel info:
; codeLenInByte = 0
; NumSgprs: 6
; NumVgprs: 0
; NumAgprs: 0
; TotalNumVgprs: 0
; ScratchSize: 0
; MemoryBound: 0
; FloatMode: 240
; IeeeMode: 1
; LDSByteSize: 0 bytes/workgroup (compile time only)
; SGPRBlocks: 0
; VGPRBlocks: 0
; NumSGPRsForWavesPerEU: 6
; NumVGPRsForWavesPerEU: 1
; AccumOffset: 4
; Occupancy: 8
; WaveLimiterHint : 0
; COMPUTE_PGM_RSRC2:SCRATCH_EN: 0
; COMPUTE_PGM_RSRC2:USER_SGPR: 2
; COMPUTE_PGM_RSRC2:TRAP_HANDLER: 0
; COMPUTE_PGM_RSRC2:TGID_X_EN: 1
; COMPUTE_PGM_RSRC2:TGID_Y_EN: 0
; COMPUTE_PGM_RSRC2:TGID_Z_EN: 0
; COMPUTE_PGM_RSRC2:TIDIG_COMP_CNT: 0
; COMPUTE_PGM_RSRC3_GFX90A:ACCUM_OFFSET: 0
; COMPUTE_PGM_RSRC3_GFX90A:TG_SPLIT: 0
	.section	.text._ZN7rocprim17ROCPRIM_400000_NS6detail17trampoline_kernelINS0_14default_configENS1_25partition_config_selectorILNS1_17partition_subalgoE1ExNS0_10empty_typeEbEEZZNS1_14partition_implILS5_1ELb0ES3_jN6thrust23THRUST_200600_302600_NS6detail15normal_iteratorINSA_10device_ptrIxEEEEPS6_NSA_18transform_iteratorI7is_evenIxESF_NSA_11use_defaultESK_EENS0_5tupleIJNSA_16discard_iteratorISK_EESF_EEENSM_IJSG_SG_EEES6_PlJS6_EEE10hipError_tPvRmT3_T4_T5_T6_T7_T9_mT8_P12ihipStream_tbDpT10_ENKUlT_T0_E_clISt17integral_constantIbLb0EES1A_IbLb1EEEEDaS16_S17_EUlS16_E_NS1_11comp_targetILNS1_3genE9ELNS1_11target_archE1100ELNS1_3gpuE3ELNS1_3repE0EEENS1_30default_config_static_selectorELNS0_4arch9wavefront6targetE1EEEvT1_,"axG",@progbits,_ZN7rocprim17ROCPRIM_400000_NS6detail17trampoline_kernelINS0_14default_configENS1_25partition_config_selectorILNS1_17partition_subalgoE1ExNS0_10empty_typeEbEEZZNS1_14partition_implILS5_1ELb0ES3_jN6thrust23THRUST_200600_302600_NS6detail15normal_iteratorINSA_10device_ptrIxEEEEPS6_NSA_18transform_iteratorI7is_evenIxESF_NSA_11use_defaultESK_EENS0_5tupleIJNSA_16discard_iteratorISK_EESF_EEENSM_IJSG_SG_EEES6_PlJS6_EEE10hipError_tPvRmT3_T4_T5_T6_T7_T9_mT8_P12ihipStream_tbDpT10_ENKUlT_T0_E_clISt17integral_constantIbLb0EES1A_IbLb1EEEEDaS16_S17_EUlS16_E_NS1_11comp_targetILNS1_3genE9ELNS1_11target_archE1100ELNS1_3gpuE3ELNS1_3repE0EEENS1_30default_config_static_selectorELNS0_4arch9wavefront6targetE1EEEvT1_,comdat
	.protected	_ZN7rocprim17ROCPRIM_400000_NS6detail17trampoline_kernelINS0_14default_configENS1_25partition_config_selectorILNS1_17partition_subalgoE1ExNS0_10empty_typeEbEEZZNS1_14partition_implILS5_1ELb0ES3_jN6thrust23THRUST_200600_302600_NS6detail15normal_iteratorINSA_10device_ptrIxEEEEPS6_NSA_18transform_iteratorI7is_evenIxESF_NSA_11use_defaultESK_EENS0_5tupleIJNSA_16discard_iteratorISK_EESF_EEENSM_IJSG_SG_EEES6_PlJS6_EEE10hipError_tPvRmT3_T4_T5_T6_T7_T9_mT8_P12ihipStream_tbDpT10_ENKUlT_T0_E_clISt17integral_constantIbLb0EES1A_IbLb1EEEEDaS16_S17_EUlS16_E_NS1_11comp_targetILNS1_3genE9ELNS1_11target_archE1100ELNS1_3gpuE3ELNS1_3repE0EEENS1_30default_config_static_selectorELNS0_4arch9wavefront6targetE1EEEvT1_ ; -- Begin function _ZN7rocprim17ROCPRIM_400000_NS6detail17trampoline_kernelINS0_14default_configENS1_25partition_config_selectorILNS1_17partition_subalgoE1ExNS0_10empty_typeEbEEZZNS1_14partition_implILS5_1ELb0ES3_jN6thrust23THRUST_200600_302600_NS6detail15normal_iteratorINSA_10device_ptrIxEEEEPS6_NSA_18transform_iteratorI7is_evenIxESF_NSA_11use_defaultESK_EENS0_5tupleIJNSA_16discard_iteratorISK_EESF_EEENSM_IJSG_SG_EEES6_PlJS6_EEE10hipError_tPvRmT3_T4_T5_T6_T7_T9_mT8_P12ihipStream_tbDpT10_ENKUlT_T0_E_clISt17integral_constantIbLb0EES1A_IbLb1EEEEDaS16_S17_EUlS16_E_NS1_11comp_targetILNS1_3genE9ELNS1_11target_archE1100ELNS1_3gpuE3ELNS1_3repE0EEENS1_30default_config_static_selectorELNS0_4arch9wavefront6targetE1EEEvT1_
	.globl	_ZN7rocprim17ROCPRIM_400000_NS6detail17trampoline_kernelINS0_14default_configENS1_25partition_config_selectorILNS1_17partition_subalgoE1ExNS0_10empty_typeEbEEZZNS1_14partition_implILS5_1ELb0ES3_jN6thrust23THRUST_200600_302600_NS6detail15normal_iteratorINSA_10device_ptrIxEEEEPS6_NSA_18transform_iteratorI7is_evenIxESF_NSA_11use_defaultESK_EENS0_5tupleIJNSA_16discard_iteratorISK_EESF_EEENSM_IJSG_SG_EEES6_PlJS6_EEE10hipError_tPvRmT3_T4_T5_T6_T7_T9_mT8_P12ihipStream_tbDpT10_ENKUlT_T0_E_clISt17integral_constantIbLb0EES1A_IbLb1EEEEDaS16_S17_EUlS16_E_NS1_11comp_targetILNS1_3genE9ELNS1_11target_archE1100ELNS1_3gpuE3ELNS1_3repE0EEENS1_30default_config_static_selectorELNS0_4arch9wavefront6targetE1EEEvT1_
	.p2align	8
	.type	_ZN7rocprim17ROCPRIM_400000_NS6detail17trampoline_kernelINS0_14default_configENS1_25partition_config_selectorILNS1_17partition_subalgoE1ExNS0_10empty_typeEbEEZZNS1_14partition_implILS5_1ELb0ES3_jN6thrust23THRUST_200600_302600_NS6detail15normal_iteratorINSA_10device_ptrIxEEEEPS6_NSA_18transform_iteratorI7is_evenIxESF_NSA_11use_defaultESK_EENS0_5tupleIJNSA_16discard_iteratorISK_EESF_EEENSM_IJSG_SG_EEES6_PlJS6_EEE10hipError_tPvRmT3_T4_T5_T6_T7_T9_mT8_P12ihipStream_tbDpT10_ENKUlT_T0_E_clISt17integral_constantIbLb0EES1A_IbLb1EEEEDaS16_S17_EUlS16_E_NS1_11comp_targetILNS1_3genE9ELNS1_11target_archE1100ELNS1_3gpuE3ELNS1_3repE0EEENS1_30default_config_static_selectorELNS0_4arch9wavefront6targetE1EEEvT1_,@function
_ZN7rocprim17ROCPRIM_400000_NS6detail17trampoline_kernelINS0_14default_configENS1_25partition_config_selectorILNS1_17partition_subalgoE1ExNS0_10empty_typeEbEEZZNS1_14partition_implILS5_1ELb0ES3_jN6thrust23THRUST_200600_302600_NS6detail15normal_iteratorINSA_10device_ptrIxEEEEPS6_NSA_18transform_iteratorI7is_evenIxESF_NSA_11use_defaultESK_EENS0_5tupleIJNSA_16discard_iteratorISK_EESF_EEENSM_IJSG_SG_EEES6_PlJS6_EEE10hipError_tPvRmT3_T4_T5_T6_T7_T9_mT8_P12ihipStream_tbDpT10_ENKUlT_T0_E_clISt17integral_constantIbLb0EES1A_IbLb1EEEEDaS16_S17_EUlS16_E_NS1_11comp_targetILNS1_3genE9ELNS1_11target_archE1100ELNS1_3gpuE3ELNS1_3repE0EEENS1_30default_config_static_selectorELNS0_4arch9wavefront6targetE1EEEvT1_: ; @_ZN7rocprim17ROCPRIM_400000_NS6detail17trampoline_kernelINS0_14default_configENS1_25partition_config_selectorILNS1_17partition_subalgoE1ExNS0_10empty_typeEbEEZZNS1_14partition_implILS5_1ELb0ES3_jN6thrust23THRUST_200600_302600_NS6detail15normal_iteratorINSA_10device_ptrIxEEEEPS6_NSA_18transform_iteratorI7is_evenIxESF_NSA_11use_defaultESK_EENS0_5tupleIJNSA_16discard_iteratorISK_EESF_EEENSM_IJSG_SG_EEES6_PlJS6_EEE10hipError_tPvRmT3_T4_T5_T6_T7_T9_mT8_P12ihipStream_tbDpT10_ENKUlT_T0_E_clISt17integral_constantIbLb0EES1A_IbLb1EEEEDaS16_S17_EUlS16_E_NS1_11comp_targetILNS1_3genE9ELNS1_11target_archE1100ELNS1_3gpuE3ELNS1_3repE0EEENS1_30default_config_static_selectorELNS0_4arch9wavefront6targetE1EEEvT1_
; %bb.0:
	.section	.rodata,"a",@progbits
	.p2align	6, 0x0
	.amdhsa_kernel _ZN7rocprim17ROCPRIM_400000_NS6detail17trampoline_kernelINS0_14default_configENS1_25partition_config_selectorILNS1_17partition_subalgoE1ExNS0_10empty_typeEbEEZZNS1_14partition_implILS5_1ELb0ES3_jN6thrust23THRUST_200600_302600_NS6detail15normal_iteratorINSA_10device_ptrIxEEEEPS6_NSA_18transform_iteratorI7is_evenIxESF_NSA_11use_defaultESK_EENS0_5tupleIJNSA_16discard_iteratorISK_EESF_EEENSM_IJSG_SG_EEES6_PlJS6_EEE10hipError_tPvRmT3_T4_T5_T6_T7_T9_mT8_P12ihipStream_tbDpT10_ENKUlT_T0_E_clISt17integral_constantIbLb0EES1A_IbLb1EEEEDaS16_S17_EUlS16_E_NS1_11comp_targetILNS1_3genE9ELNS1_11target_archE1100ELNS1_3gpuE3ELNS1_3repE0EEENS1_30default_config_static_selectorELNS0_4arch9wavefront6targetE1EEEvT1_
		.amdhsa_group_segment_fixed_size 0
		.amdhsa_private_segment_fixed_size 0
		.amdhsa_kernarg_size 152
		.amdhsa_user_sgpr_count 2
		.amdhsa_user_sgpr_dispatch_ptr 0
		.amdhsa_user_sgpr_queue_ptr 0
		.amdhsa_user_sgpr_kernarg_segment_ptr 1
		.amdhsa_user_sgpr_dispatch_id 0
		.amdhsa_user_sgpr_kernarg_preload_length 0
		.amdhsa_user_sgpr_kernarg_preload_offset 0
		.amdhsa_user_sgpr_private_segment_size 0
		.amdhsa_uses_dynamic_stack 0
		.amdhsa_enable_private_segment 0
		.amdhsa_system_sgpr_workgroup_id_x 1
		.amdhsa_system_sgpr_workgroup_id_y 0
		.amdhsa_system_sgpr_workgroup_id_z 0
		.amdhsa_system_sgpr_workgroup_info 0
		.amdhsa_system_vgpr_workitem_id 0
		.amdhsa_next_free_vgpr 1
		.amdhsa_next_free_sgpr 0
		.amdhsa_accum_offset 4
		.amdhsa_reserve_vcc 0
		.amdhsa_float_round_mode_32 0
		.amdhsa_float_round_mode_16_64 0
		.amdhsa_float_denorm_mode_32 3
		.amdhsa_float_denorm_mode_16_64 3
		.amdhsa_dx10_clamp 1
		.amdhsa_ieee_mode 1
		.amdhsa_fp16_overflow 0
		.amdhsa_tg_split 0
		.amdhsa_exception_fp_ieee_invalid_op 0
		.amdhsa_exception_fp_denorm_src 0
		.amdhsa_exception_fp_ieee_div_zero 0
		.amdhsa_exception_fp_ieee_overflow 0
		.amdhsa_exception_fp_ieee_underflow 0
		.amdhsa_exception_fp_ieee_inexact 0
		.amdhsa_exception_int_div_zero 0
	.end_amdhsa_kernel
	.section	.text._ZN7rocprim17ROCPRIM_400000_NS6detail17trampoline_kernelINS0_14default_configENS1_25partition_config_selectorILNS1_17partition_subalgoE1ExNS0_10empty_typeEbEEZZNS1_14partition_implILS5_1ELb0ES3_jN6thrust23THRUST_200600_302600_NS6detail15normal_iteratorINSA_10device_ptrIxEEEEPS6_NSA_18transform_iteratorI7is_evenIxESF_NSA_11use_defaultESK_EENS0_5tupleIJNSA_16discard_iteratorISK_EESF_EEENSM_IJSG_SG_EEES6_PlJS6_EEE10hipError_tPvRmT3_T4_T5_T6_T7_T9_mT8_P12ihipStream_tbDpT10_ENKUlT_T0_E_clISt17integral_constantIbLb0EES1A_IbLb1EEEEDaS16_S17_EUlS16_E_NS1_11comp_targetILNS1_3genE9ELNS1_11target_archE1100ELNS1_3gpuE3ELNS1_3repE0EEENS1_30default_config_static_selectorELNS0_4arch9wavefront6targetE1EEEvT1_,"axG",@progbits,_ZN7rocprim17ROCPRIM_400000_NS6detail17trampoline_kernelINS0_14default_configENS1_25partition_config_selectorILNS1_17partition_subalgoE1ExNS0_10empty_typeEbEEZZNS1_14partition_implILS5_1ELb0ES3_jN6thrust23THRUST_200600_302600_NS6detail15normal_iteratorINSA_10device_ptrIxEEEEPS6_NSA_18transform_iteratorI7is_evenIxESF_NSA_11use_defaultESK_EENS0_5tupleIJNSA_16discard_iteratorISK_EESF_EEENSM_IJSG_SG_EEES6_PlJS6_EEE10hipError_tPvRmT3_T4_T5_T6_T7_T9_mT8_P12ihipStream_tbDpT10_ENKUlT_T0_E_clISt17integral_constantIbLb0EES1A_IbLb1EEEEDaS16_S17_EUlS16_E_NS1_11comp_targetILNS1_3genE9ELNS1_11target_archE1100ELNS1_3gpuE3ELNS1_3repE0EEENS1_30default_config_static_selectorELNS0_4arch9wavefront6targetE1EEEvT1_,comdat
.Lfunc_end3257:
	.size	_ZN7rocprim17ROCPRIM_400000_NS6detail17trampoline_kernelINS0_14default_configENS1_25partition_config_selectorILNS1_17partition_subalgoE1ExNS0_10empty_typeEbEEZZNS1_14partition_implILS5_1ELb0ES3_jN6thrust23THRUST_200600_302600_NS6detail15normal_iteratorINSA_10device_ptrIxEEEEPS6_NSA_18transform_iteratorI7is_evenIxESF_NSA_11use_defaultESK_EENS0_5tupleIJNSA_16discard_iteratorISK_EESF_EEENSM_IJSG_SG_EEES6_PlJS6_EEE10hipError_tPvRmT3_T4_T5_T6_T7_T9_mT8_P12ihipStream_tbDpT10_ENKUlT_T0_E_clISt17integral_constantIbLb0EES1A_IbLb1EEEEDaS16_S17_EUlS16_E_NS1_11comp_targetILNS1_3genE9ELNS1_11target_archE1100ELNS1_3gpuE3ELNS1_3repE0EEENS1_30default_config_static_selectorELNS0_4arch9wavefront6targetE1EEEvT1_, .Lfunc_end3257-_ZN7rocprim17ROCPRIM_400000_NS6detail17trampoline_kernelINS0_14default_configENS1_25partition_config_selectorILNS1_17partition_subalgoE1ExNS0_10empty_typeEbEEZZNS1_14partition_implILS5_1ELb0ES3_jN6thrust23THRUST_200600_302600_NS6detail15normal_iteratorINSA_10device_ptrIxEEEEPS6_NSA_18transform_iteratorI7is_evenIxESF_NSA_11use_defaultESK_EENS0_5tupleIJNSA_16discard_iteratorISK_EESF_EEENSM_IJSG_SG_EEES6_PlJS6_EEE10hipError_tPvRmT3_T4_T5_T6_T7_T9_mT8_P12ihipStream_tbDpT10_ENKUlT_T0_E_clISt17integral_constantIbLb0EES1A_IbLb1EEEEDaS16_S17_EUlS16_E_NS1_11comp_targetILNS1_3genE9ELNS1_11target_archE1100ELNS1_3gpuE3ELNS1_3repE0EEENS1_30default_config_static_selectorELNS0_4arch9wavefront6targetE1EEEvT1_
                                        ; -- End function
	.section	.AMDGPU.csdata,"",@progbits
; Kernel info:
; codeLenInByte = 0
; NumSgprs: 6
; NumVgprs: 0
; NumAgprs: 0
; TotalNumVgprs: 0
; ScratchSize: 0
; MemoryBound: 0
; FloatMode: 240
; IeeeMode: 1
; LDSByteSize: 0 bytes/workgroup (compile time only)
; SGPRBlocks: 0
; VGPRBlocks: 0
; NumSGPRsForWavesPerEU: 6
; NumVGPRsForWavesPerEU: 1
; AccumOffset: 4
; Occupancy: 8
; WaveLimiterHint : 0
; COMPUTE_PGM_RSRC2:SCRATCH_EN: 0
; COMPUTE_PGM_RSRC2:USER_SGPR: 2
; COMPUTE_PGM_RSRC2:TRAP_HANDLER: 0
; COMPUTE_PGM_RSRC2:TGID_X_EN: 1
; COMPUTE_PGM_RSRC2:TGID_Y_EN: 0
; COMPUTE_PGM_RSRC2:TGID_Z_EN: 0
; COMPUTE_PGM_RSRC2:TIDIG_COMP_CNT: 0
; COMPUTE_PGM_RSRC3_GFX90A:ACCUM_OFFSET: 0
; COMPUTE_PGM_RSRC3_GFX90A:TG_SPLIT: 0
	.section	.text._ZN7rocprim17ROCPRIM_400000_NS6detail17trampoline_kernelINS0_14default_configENS1_25partition_config_selectorILNS1_17partition_subalgoE1ExNS0_10empty_typeEbEEZZNS1_14partition_implILS5_1ELb0ES3_jN6thrust23THRUST_200600_302600_NS6detail15normal_iteratorINSA_10device_ptrIxEEEEPS6_NSA_18transform_iteratorI7is_evenIxESF_NSA_11use_defaultESK_EENS0_5tupleIJNSA_16discard_iteratorISK_EESF_EEENSM_IJSG_SG_EEES6_PlJS6_EEE10hipError_tPvRmT3_T4_T5_T6_T7_T9_mT8_P12ihipStream_tbDpT10_ENKUlT_T0_E_clISt17integral_constantIbLb0EES1A_IbLb1EEEEDaS16_S17_EUlS16_E_NS1_11comp_targetILNS1_3genE8ELNS1_11target_archE1030ELNS1_3gpuE2ELNS1_3repE0EEENS1_30default_config_static_selectorELNS0_4arch9wavefront6targetE1EEEvT1_,"axG",@progbits,_ZN7rocprim17ROCPRIM_400000_NS6detail17trampoline_kernelINS0_14default_configENS1_25partition_config_selectorILNS1_17partition_subalgoE1ExNS0_10empty_typeEbEEZZNS1_14partition_implILS5_1ELb0ES3_jN6thrust23THRUST_200600_302600_NS6detail15normal_iteratorINSA_10device_ptrIxEEEEPS6_NSA_18transform_iteratorI7is_evenIxESF_NSA_11use_defaultESK_EENS0_5tupleIJNSA_16discard_iteratorISK_EESF_EEENSM_IJSG_SG_EEES6_PlJS6_EEE10hipError_tPvRmT3_T4_T5_T6_T7_T9_mT8_P12ihipStream_tbDpT10_ENKUlT_T0_E_clISt17integral_constantIbLb0EES1A_IbLb1EEEEDaS16_S17_EUlS16_E_NS1_11comp_targetILNS1_3genE8ELNS1_11target_archE1030ELNS1_3gpuE2ELNS1_3repE0EEENS1_30default_config_static_selectorELNS0_4arch9wavefront6targetE1EEEvT1_,comdat
	.protected	_ZN7rocprim17ROCPRIM_400000_NS6detail17trampoline_kernelINS0_14default_configENS1_25partition_config_selectorILNS1_17partition_subalgoE1ExNS0_10empty_typeEbEEZZNS1_14partition_implILS5_1ELb0ES3_jN6thrust23THRUST_200600_302600_NS6detail15normal_iteratorINSA_10device_ptrIxEEEEPS6_NSA_18transform_iteratorI7is_evenIxESF_NSA_11use_defaultESK_EENS0_5tupleIJNSA_16discard_iteratorISK_EESF_EEENSM_IJSG_SG_EEES6_PlJS6_EEE10hipError_tPvRmT3_T4_T5_T6_T7_T9_mT8_P12ihipStream_tbDpT10_ENKUlT_T0_E_clISt17integral_constantIbLb0EES1A_IbLb1EEEEDaS16_S17_EUlS16_E_NS1_11comp_targetILNS1_3genE8ELNS1_11target_archE1030ELNS1_3gpuE2ELNS1_3repE0EEENS1_30default_config_static_selectorELNS0_4arch9wavefront6targetE1EEEvT1_ ; -- Begin function _ZN7rocprim17ROCPRIM_400000_NS6detail17trampoline_kernelINS0_14default_configENS1_25partition_config_selectorILNS1_17partition_subalgoE1ExNS0_10empty_typeEbEEZZNS1_14partition_implILS5_1ELb0ES3_jN6thrust23THRUST_200600_302600_NS6detail15normal_iteratorINSA_10device_ptrIxEEEEPS6_NSA_18transform_iteratorI7is_evenIxESF_NSA_11use_defaultESK_EENS0_5tupleIJNSA_16discard_iteratorISK_EESF_EEENSM_IJSG_SG_EEES6_PlJS6_EEE10hipError_tPvRmT3_T4_T5_T6_T7_T9_mT8_P12ihipStream_tbDpT10_ENKUlT_T0_E_clISt17integral_constantIbLb0EES1A_IbLb1EEEEDaS16_S17_EUlS16_E_NS1_11comp_targetILNS1_3genE8ELNS1_11target_archE1030ELNS1_3gpuE2ELNS1_3repE0EEENS1_30default_config_static_selectorELNS0_4arch9wavefront6targetE1EEEvT1_
	.globl	_ZN7rocprim17ROCPRIM_400000_NS6detail17trampoline_kernelINS0_14default_configENS1_25partition_config_selectorILNS1_17partition_subalgoE1ExNS0_10empty_typeEbEEZZNS1_14partition_implILS5_1ELb0ES3_jN6thrust23THRUST_200600_302600_NS6detail15normal_iteratorINSA_10device_ptrIxEEEEPS6_NSA_18transform_iteratorI7is_evenIxESF_NSA_11use_defaultESK_EENS0_5tupleIJNSA_16discard_iteratorISK_EESF_EEENSM_IJSG_SG_EEES6_PlJS6_EEE10hipError_tPvRmT3_T4_T5_T6_T7_T9_mT8_P12ihipStream_tbDpT10_ENKUlT_T0_E_clISt17integral_constantIbLb0EES1A_IbLb1EEEEDaS16_S17_EUlS16_E_NS1_11comp_targetILNS1_3genE8ELNS1_11target_archE1030ELNS1_3gpuE2ELNS1_3repE0EEENS1_30default_config_static_selectorELNS0_4arch9wavefront6targetE1EEEvT1_
	.p2align	8
	.type	_ZN7rocprim17ROCPRIM_400000_NS6detail17trampoline_kernelINS0_14default_configENS1_25partition_config_selectorILNS1_17partition_subalgoE1ExNS0_10empty_typeEbEEZZNS1_14partition_implILS5_1ELb0ES3_jN6thrust23THRUST_200600_302600_NS6detail15normal_iteratorINSA_10device_ptrIxEEEEPS6_NSA_18transform_iteratorI7is_evenIxESF_NSA_11use_defaultESK_EENS0_5tupleIJNSA_16discard_iteratorISK_EESF_EEENSM_IJSG_SG_EEES6_PlJS6_EEE10hipError_tPvRmT3_T4_T5_T6_T7_T9_mT8_P12ihipStream_tbDpT10_ENKUlT_T0_E_clISt17integral_constantIbLb0EES1A_IbLb1EEEEDaS16_S17_EUlS16_E_NS1_11comp_targetILNS1_3genE8ELNS1_11target_archE1030ELNS1_3gpuE2ELNS1_3repE0EEENS1_30default_config_static_selectorELNS0_4arch9wavefront6targetE1EEEvT1_,@function
_ZN7rocprim17ROCPRIM_400000_NS6detail17trampoline_kernelINS0_14default_configENS1_25partition_config_selectorILNS1_17partition_subalgoE1ExNS0_10empty_typeEbEEZZNS1_14partition_implILS5_1ELb0ES3_jN6thrust23THRUST_200600_302600_NS6detail15normal_iteratorINSA_10device_ptrIxEEEEPS6_NSA_18transform_iteratorI7is_evenIxESF_NSA_11use_defaultESK_EENS0_5tupleIJNSA_16discard_iteratorISK_EESF_EEENSM_IJSG_SG_EEES6_PlJS6_EEE10hipError_tPvRmT3_T4_T5_T6_T7_T9_mT8_P12ihipStream_tbDpT10_ENKUlT_T0_E_clISt17integral_constantIbLb0EES1A_IbLb1EEEEDaS16_S17_EUlS16_E_NS1_11comp_targetILNS1_3genE8ELNS1_11target_archE1030ELNS1_3gpuE2ELNS1_3repE0EEENS1_30default_config_static_selectorELNS0_4arch9wavefront6targetE1EEEvT1_: ; @_ZN7rocprim17ROCPRIM_400000_NS6detail17trampoline_kernelINS0_14default_configENS1_25partition_config_selectorILNS1_17partition_subalgoE1ExNS0_10empty_typeEbEEZZNS1_14partition_implILS5_1ELb0ES3_jN6thrust23THRUST_200600_302600_NS6detail15normal_iteratorINSA_10device_ptrIxEEEEPS6_NSA_18transform_iteratorI7is_evenIxESF_NSA_11use_defaultESK_EENS0_5tupleIJNSA_16discard_iteratorISK_EESF_EEENSM_IJSG_SG_EEES6_PlJS6_EEE10hipError_tPvRmT3_T4_T5_T6_T7_T9_mT8_P12ihipStream_tbDpT10_ENKUlT_T0_E_clISt17integral_constantIbLb0EES1A_IbLb1EEEEDaS16_S17_EUlS16_E_NS1_11comp_targetILNS1_3genE8ELNS1_11target_archE1030ELNS1_3gpuE2ELNS1_3repE0EEENS1_30default_config_static_selectorELNS0_4arch9wavefront6targetE1EEEvT1_
; %bb.0:
	.section	.rodata,"a",@progbits
	.p2align	6, 0x0
	.amdhsa_kernel _ZN7rocprim17ROCPRIM_400000_NS6detail17trampoline_kernelINS0_14default_configENS1_25partition_config_selectorILNS1_17partition_subalgoE1ExNS0_10empty_typeEbEEZZNS1_14partition_implILS5_1ELb0ES3_jN6thrust23THRUST_200600_302600_NS6detail15normal_iteratorINSA_10device_ptrIxEEEEPS6_NSA_18transform_iteratorI7is_evenIxESF_NSA_11use_defaultESK_EENS0_5tupleIJNSA_16discard_iteratorISK_EESF_EEENSM_IJSG_SG_EEES6_PlJS6_EEE10hipError_tPvRmT3_T4_T5_T6_T7_T9_mT8_P12ihipStream_tbDpT10_ENKUlT_T0_E_clISt17integral_constantIbLb0EES1A_IbLb1EEEEDaS16_S17_EUlS16_E_NS1_11comp_targetILNS1_3genE8ELNS1_11target_archE1030ELNS1_3gpuE2ELNS1_3repE0EEENS1_30default_config_static_selectorELNS0_4arch9wavefront6targetE1EEEvT1_
		.amdhsa_group_segment_fixed_size 0
		.amdhsa_private_segment_fixed_size 0
		.amdhsa_kernarg_size 152
		.amdhsa_user_sgpr_count 2
		.amdhsa_user_sgpr_dispatch_ptr 0
		.amdhsa_user_sgpr_queue_ptr 0
		.amdhsa_user_sgpr_kernarg_segment_ptr 1
		.amdhsa_user_sgpr_dispatch_id 0
		.amdhsa_user_sgpr_kernarg_preload_length 0
		.amdhsa_user_sgpr_kernarg_preload_offset 0
		.amdhsa_user_sgpr_private_segment_size 0
		.amdhsa_uses_dynamic_stack 0
		.amdhsa_enable_private_segment 0
		.amdhsa_system_sgpr_workgroup_id_x 1
		.amdhsa_system_sgpr_workgroup_id_y 0
		.amdhsa_system_sgpr_workgroup_id_z 0
		.amdhsa_system_sgpr_workgroup_info 0
		.amdhsa_system_vgpr_workitem_id 0
		.amdhsa_next_free_vgpr 1
		.amdhsa_next_free_sgpr 0
		.amdhsa_accum_offset 4
		.amdhsa_reserve_vcc 0
		.amdhsa_float_round_mode_32 0
		.amdhsa_float_round_mode_16_64 0
		.amdhsa_float_denorm_mode_32 3
		.amdhsa_float_denorm_mode_16_64 3
		.amdhsa_dx10_clamp 1
		.amdhsa_ieee_mode 1
		.amdhsa_fp16_overflow 0
		.amdhsa_tg_split 0
		.amdhsa_exception_fp_ieee_invalid_op 0
		.amdhsa_exception_fp_denorm_src 0
		.amdhsa_exception_fp_ieee_div_zero 0
		.amdhsa_exception_fp_ieee_overflow 0
		.amdhsa_exception_fp_ieee_underflow 0
		.amdhsa_exception_fp_ieee_inexact 0
		.amdhsa_exception_int_div_zero 0
	.end_amdhsa_kernel
	.section	.text._ZN7rocprim17ROCPRIM_400000_NS6detail17trampoline_kernelINS0_14default_configENS1_25partition_config_selectorILNS1_17partition_subalgoE1ExNS0_10empty_typeEbEEZZNS1_14partition_implILS5_1ELb0ES3_jN6thrust23THRUST_200600_302600_NS6detail15normal_iteratorINSA_10device_ptrIxEEEEPS6_NSA_18transform_iteratorI7is_evenIxESF_NSA_11use_defaultESK_EENS0_5tupleIJNSA_16discard_iteratorISK_EESF_EEENSM_IJSG_SG_EEES6_PlJS6_EEE10hipError_tPvRmT3_T4_T5_T6_T7_T9_mT8_P12ihipStream_tbDpT10_ENKUlT_T0_E_clISt17integral_constantIbLb0EES1A_IbLb1EEEEDaS16_S17_EUlS16_E_NS1_11comp_targetILNS1_3genE8ELNS1_11target_archE1030ELNS1_3gpuE2ELNS1_3repE0EEENS1_30default_config_static_selectorELNS0_4arch9wavefront6targetE1EEEvT1_,"axG",@progbits,_ZN7rocprim17ROCPRIM_400000_NS6detail17trampoline_kernelINS0_14default_configENS1_25partition_config_selectorILNS1_17partition_subalgoE1ExNS0_10empty_typeEbEEZZNS1_14partition_implILS5_1ELb0ES3_jN6thrust23THRUST_200600_302600_NS6detail15normal_iteratorINSA_10device_ptrIxEEEEPS6_NSA_18transform_iteratorI7is_evenIxESF_NSA_11use_defaultESK_EENS0_5tupleIJNSA_16discard_iteratorISK_EESF_EEENSM_IJSG_SG_EEES6_PlJS6_EEE10hipError_tPvRmT3_T4_T5_T6_T7_T9_mT8_P12ihipStream_tbDpT10_ENKUlT_T0_E_clISt17integral_constantIbLb0EES1A_IbLb1EEEEDaS16_S17_EUlS16_E_NS1_11comp_targetILNS1_3genE8ELNS1_11target_archE1030ELNS1_3gpuE2ELNS1_3repE0EEENS1_30default_config_static_selectorELNS0_4arch9wavefront6targetE1EEEvT1_,comdat
.Lfunc_end3258:
	.size	_ZN7rocprim17ROCPRIM_400000_NS6detail17trampoline_kernelINS0_14default_configENS1_25partition_config_selectorILNS1_17partition_subalgoE1ExNS0_10empty_typeEbEEZZNS1_14partition_implILS5_1ELb0ES3_jN6thrust23THRUST_200600_302600_NS6detail15normal_iteratorINSA_10device_ptrIxEEEEPS6_NSA_18transform_iteratorI7is_evenIxESF_NSA_11use_defaultESK_EENS0_5tupleIJNSA_16discard_iteratorISK_EESF_EEENSM_IJSG_SG_EEES6_PlJS6_EEE10hipError_tPvRmT3_T4_T5_T6_T7_T9_mT8_P12ihipStream_tbDpT10_ENKUlT_T0_E_clISt17integral_constantIbLb0EES1A_IbLb1EEEEDaS16_S17_EUlS16_E_NS1_11comp_targetILNS1_3genE8ELNS1_11target_archE1030ELNS1_3gpuE2ELNS1_3repE0EEENS1_30default_config_static_selectorELNS0_4arch9wavefront6targetE1EEEvT1_, .Lfunc_end3258-_ZN7rocprim17ROCPRIM_400000_NS6detail17trampoline_kernelINS0_14default_configENS1_25partition_config_selectorILNS1_17partition_subalgoE1ExNS0_10empty_typeEbEEZZNS1_14partition_implILS5_1ELb0ES3_jN6thrust23THRUST_200600_302600_NS6detail15normal_iteratorINSA_10device_ptrIxEEEEPS6_NSA_18transform_iteratorI7is_evenIxESF_NSA_11use_defaultESK_EENS0_5tupleIJNSA_16discard_iteratorISK_EESF_EEENSM_IJSG_SG_EEES6_PlJS6_EEE10hipError_tPvRmT3_T4_T5_T6_T7_T9_mT8_P12ihipStream_tbDpT10_ENKUlT_T0_E_clISt17integral_constantIbLb0EES1A_IbLb1EEEEDaS16_S17_EUlS16_E_NS1_11comp_targetILNS1_3genE8ELNS1_11target_archE1030ELNS1_3gpuE2ELNS1_3repE0EEENS1_30default_config_static_selectorELNS0_4arch9wavefront6targetE1EEEvT1_
                                        ; -- End function
	.section	.AMDGPU.csdata,"",@progbits
; Kernel info:
; codeLenInByte = 0
; NumSgprs: 6
; NumVgprs: 0
; NumAgprs: 0
; TotalNumVgprs: 0
; ScratchSize: 0
; MemoryBound: 0
; FloatMode: 240
; IeeeMode: 1
; LDSByteSize: 0 bytes/workgroup (compile time only)
; SGPRBlocks: 0
; VGPRBlocks: 0
; NumSGPRsForWavesPerEU: 6
; NumVGPRsForWavesPerEU: 1
; AccumOffset: 4
; Occupancy: 8
; WaveLimiterHint : 0
; COMPUTE_PGM_RSRC2:SCRATCH_EN: 0
; COMPUTE_PGM_RSRC2:USER_SGPR: 2
; COMPUTE_PGM_RSRC2:TRAP_HANDLER: 0
; COMPUTE_PGM_RSRC2:TGID_X_EN: 1
; COMPUTE_PGM_RSRC2:TGID_Y_EN: 0
; COMPUTE_PGM_RSRC2:TGID_Z_EN: 0
; COMPUTE_PGM_RSRC2:TIDIG_COMP_CNT: 0
; COMPUTE_PGM_RSRC3_GFX90A:ACCUM_OFFSET: 0
; COMPUTE_PGM_RSRC3_GFX90A:TG_SPLIT: 0
	.section	.text._ZN7rocprim17ROCPRIM_400000_NS6detail17trampoline_kernelINS0_14default_configENS1_25partition_config_selectorILNS1_17partition_subalgoE1EiNS0_10empty_typeEbEEZZNS1_14partition_implILS5_1ELb0ES3_jN6thrust23THRUST_200600_302600_NS6detail15normal_iteratorINSA_10device_ptrIiEEEEPS6_NSA_18transform_iteratorI7is_evenIiESF_NSA_11use_defaultESK_EENS0_5tupleIJNSA_16discard_iteratorISK_EESO_EEENSM_IJSG_SG_EEES6_PlJS6_EEE10hipError_tPvRmT3_T4_T5_T6_T7_T9_mT8_P12ihipStream_tbDpT10_ENKUlT_T0_E_clISt17integral_constantIbLb0EES1B_EEDaS16_S17_EUlS16_E_NS1_11comp_targetILNS1_3genE0ELNS1_11target_archE4294967295ELNS1_3gpuE0ELNS1_3repE0EEENS1_30default_config_static_selectorELNS0_4arch9wavefront6targetE1EEEvT1_,"axG",@progbits,_ZN7rocprim17ROCPRIM_400000_NS6detail17trampoline_kernelINS0_14default_configENS1_25partition_config_selectorILNS1_17partition_subalgoE1EiNS0_10empty_typeEbEEZZNS1_14partition_implILS5_1ELb0ES3_jN6thrust23THRUST_200600_302600_NS6detail15normal_iteratorINSA_10device_ptrIiEEEEPS6_NSA_18transform_iteratorI7is_evenIiESF_NSA_11use_defaultESK_EENS0_5tupleIJNSA_16discard_iteratorISK_EESO_EEENSM_IJSG_SG_EEES6_PlJS6_EEE10hipError_tPvRmT3_T4_T5_T6_T7_T9_mT8_P12ihipStream_tbDpT10_ENKUlT_T0_E_clISt17integral_constantIbLb0EES1B_EEDaS16_S17_EUlS16_E_NS1_11comp_targetILNS1_3genE0ELNS1_11target_archE4294967295ELNS1_3gpuE0ELNS1_3repE0EEENS1_30default_config_static_selectorELNS0_4arch9wavefront6targetE1EEEvT1_,comdat
	.protected	_ZN7rocprim17ROCPRIM_400000_NS6detail17trampoline_kernelINS0_14default_configENS1_25partition_config_selectorILNS1_17partition_subalgoE1EiNS0_10empty_typeEbEEZZNS1_14partition_implILS5_1ELb0ES3_jN6thrust23THRUST_200600_302600_NS6detail15normal_iteratorINSA_10device_ptrIiEEEEPS6_NSA_18transform_iteratorI7is_evenIiESF_NSA_11use_defaultESK_EENS0_5tupleIJNSA_16discard_iteratorISK_EESO_EEENSM_IJSG_SG_EEES6_PlJS6_EEE10hipError_tPvRmT3_T4_T5_T6_T7_T9_mT8_P12ihipStream_tbDpT10_ENKUlT_T0_E_clISt17integral_constantIbLb0EES1B_EEDaS16_S17_EUlS16_E_NS1_11comp_targetILNS1_3genE0ELNS1_11target_archE4294967295ELNS1_3gpuE0ELNS1_3repE0EEENS1_30default_config_static_selectorELNS0_4arch9wavefront6targetE1EEEvT1_ ; -- Begin function _ZN7rocprim17ROCPRIM_400000_NS6detail17trampoline_kernelINS0_14default_configENS1_25partition_config_selectorILNS1_17partition_subalgoE1EiNS0_10empty_typeEbEEZZNS1_14partition_implILS5_1ELb0ES3_jN6thrust23THRUST_200600_302600_NS6detail15normal_iteratorINSA_10device_ptrIiEEEEPS6_NSA_18transform_iteratorI7is_evenIiESF_NSA_11use_defaultESK_EENS0_5tupleIJNSA_16discard_iteratorISK_EESO_EEENSM_IJSG_SG_EEES6_PlJS6_EEE10hipError_tPvRmT3_T4_T5_T6_T7_T9_mT8_P12ihipStream_tbDpT10_ENKUlT_T0_E_clISt17integral_constantIbLb0EES1B_EEDaS16_S17_EUlS16_E_NS1_11comp_targetILNS1_3genE0ELNS1_11target_archE4294967295ELNS1_3gpuE0ELNS1_3repE0EEENS1_30default_config_static_selectorELNS0_4arch9wavefront6targetE1EEEvT1_
	.globl	_ZN7rocprim17ROCPRIM_400000_NS6detail17trampoline_kernelINS0_14default_configENS1_25partition_config_selectorILNS1_17partition_subalgoE1EiNS0_10empty_typeEbEEZZNS1_14partition_implILS5_1ELb0ES3_jN6thrust23THRUST_200600_302600_NS6detail15normal_iteratorINSA_10device_ptrIiEEEEPS6_NSA_18transform_iteratorI7is_evenIiESF_NSA_11use_defaultESK_EENS0_5tupleIJNSA_16discard_iteratorISK_EESO_EEENSM_IJSG_SG_EEES6_PlJS6_EEE10hipError_tPvRmT3_T4_T5_T6_T7_T9_mT8_P12ihipStream_tbDpT10_ENKUlT_T0_E_clISt17integral_constantIbLb0EES1B_EEDaS16_S17_EUlS16_E_NS1_11comp_targetILNS1_3genE0ELNS1_11target_archE4294967295ELNS1_3gpuE0ELNS1_3repE0EEENS1_30default_config_static_selectorELNS0_4arch9wavefront6targetE1EEEvT1_
	.p2align	8
	.type	_ZN7rocprim17ROCPRIM_400000_NS6detail17trampoline_kernelINS0_14default_configENS1_25partition_config_selectorILNS1_17partition_subalgoE1EiNS0_10empty_typeEbEEZZNS1_14partition_implILS5_1ELb0ES3_jN6thrust23THRUST_200600_302600_NS6detail15normal_iteratorINSA_10device_ptrIiEEEEPS6_NSA_18transform_iteratorI7is_evenIiESF_NSA_11use_defaultESK_EENS0_5tupleIJNSA_16discard_iteratorISK_EESO_EEENSM_IJSG_SG_EEES6_PlJS6_EEE10hipError_tPvRmT3_T4_T5_T6_T7_T9_mT8_P12ihipStream_tbDpT10_ENKUlT_T0_E_clISt17integral_constantIbLb0EES1B_EEDaS16_S17_EUlS16_E_NS1_11comp_targetILNS1_3genE0ELNS1_11target_archE4294967295ELNS1_3gpuE0ELNS1_3repE0EEENS1_30default_config_static_selectorELNS0_4arch9wavefront6targetE1EEEvT1_,@function
_ZN7rocprim17ROCPRIM_400000_NS6detail17trampoline_kernelINS0_14default_configENS1_25partition_config_selectorILNS1_17partition_subalgoE1EiNS0_10empty_typeEbEEZZNS1_14partition_implILS5_1ELb0ES3_jN6thrust23THRUST_200600_302600_NS6detail15normal_iteratorINSA_10device_ptrIiEEEEPS6_NSA_18transform_iteratorI7is_evenIiESF_NSA_11use_defaultESK_EENS0_5tupleIJNSA_16discard_iteratorISK_EESO_EEENSM_IJSG_SG_EEES6_PlJS6_EEE10hipError_tPvRmT3_T4_T5_T6_T7_T9_mT8_P12ihipStream_tbDpT10_ENKUlT_T0_E_clISt17integral_constantIbLb0EES1B_EEDaS16_S17_EUlS16_E_NS1_11comp_targetILNS1_3genE0ELNS1_11target_archE4294967295ELNS1_3gpuE0ELNS1_3repE0EEENS1_30default_config_static_selectorELNS0_4arch9wavefront6targetE1EEEvT1_: ; @_ZN7rocprim17ROCPRIM_400000_NS6detail17trampoline_kernelINS0_14default_configENS1_25partition_config_selectorILNS1_17partition_subalgoE1EiNS0_10empty_typeEbEEZZNS1_14partition_implILS5_1ELb0ES3_jN6thrust23THRUST_200600_302600_NS6detail15normal_iteratorINSA_10device_ptrIiEEEEPS6_NSA_18transform_iteratorI7is_evenIiESF_NSA_11use_defaultESK_EENS0_5tupleIJNSA_16discard_iteratorISK_EESO_EEENSM_IJSG_SG_EEES6_PlJS6_EEE10hipError_tPvRmT3_T4_T5_T6_T7_T9_mT8_P12ihipStream_tbDpT10_ENKUlT_T0_E_clISt17integral_constantIbLb0EES1B_EEDaS16_S17_EUlS16_E_NS1_11comp_targetILNS1_3genE0ELNS1_11target_archE4294967295ELNS1_3gpuE0ELNS1_3repE0EEENS1_30default_config_static_selectorELNS0_4arch9wavefront6targetE1EEEvT1_
; %bb.0:
	.section	.rodata,"a",@progbits
	.p2align	6, 0x0
	.amdhsa_kernel _ZN7rocprim17ROCPRIM_400000_NS6detail17trampoline_kernelINS0_14default_configENS1_25partition_config_selectorILNS1_17partition_subalgoE1EiNS0_10empty_typeEbEEZZNS1_14partition_implILS5_1ELb0ES3_jN6thrust23THRUST_200600_302600_NS6detail15normal_iteratorINSA_10device_ptrIiEEEEPS6_NSA_18transform_iteratorI7is_evenIiESF_NSA_11use_defaultESK_EENS0_5tupleIJNSA_16discard_iteratorISK_EESO_EEENSM_IJSG_SG_EEES6_PlJS6_EEE10hipError_tPvRmT3_T4_T5_T6_T7_T9_mT8_P12ihipStream_tbDpT10_ENKUlT_T0_E_clISt17integral_constantIbLb0EES1B_EEDaS16_S17_EUlS16_E_NS1_11comp_targetILNS1_3genE0ELNS1_11target_archE4294967295ELNS1_3gpuE0ELNS1_3repE0EEENS1_30default_config_static_selectorELNS0_4arch9wavefront6targetE1EEEvT1_
		.amdhsa_group_segment_fixed_size 0
		.amdhsa_private_segment_fixed_size 0
		.amdhsa_kernarg_size 144
		.amdhsa_user_sgpr_count 2
		.amdhsa_user_sgpr_dispatch_ptr 0
		.amdhsa_user_sgpr_queue_ptr 0
		.amdhsa_user_sgpr_kernarg_segment_ptr 1
		.amdhsa_user_sgpr_dispatch_id 0
		.amdhsa_user_sgpr_kernarg_preload_length 0
		.amdhsa_user_sgpr_kernarg_preload_offset 0
		.amdhsa_user_sgpr_private_segment_size 0
		.amdhsa_uses_dynamic_stack 0
		.amdhsa_enable_private_segment 0
		.amdhsa_system_sgpr_workgroup_id_x 1
		.amdhsa_system_sgpr_workgroup_id_y 0
		.amdhsa_system_sgpr_workgroup_id_z 0
		.amdhsa_system_sgpr_workgroup_info 0
		.amdhsa_system_vgpr_workitem_id 0
		.amdhsa_next_free_vgpr 1
		.amdhsa_next_free_sgpr 0
		.amdhsa_accum_offset 4
		.amdhsa_reserve_vcc 0
		.amdhsa_float_round_mode_32 0
		.amdhsa_float_round_mode_16_64 0
		.amdhsa_float_denorm_mode_32 3
		.amdhsa_float_denorm_mode_16_64 3
		.amdhsa_dx10_clamp 1
		.amdhsa_ieee_mode 1
		.amdhsa_fp16_overflow 0
		.amdhsa_tg_split 0
		.amdhsa_exception_fp_ieee_invalid_op 0
		.amdhsa_exception_fp_denorm_src 0
		.amdhsa_exception_fp_ieee_div_zero 0
		.amdhsa_exception_fp_ieee_overflow 0
		.amdhsa_exception_fp_ieee_underflow 0
		.amdhsa_exception_fp_ieee_inexact 0
		.amdhsa_exception_int_div_zero 0
	.end_amdhsa_kernel
	.section	.text._ZN7rocprim17ROCPRIM_400000_NS6detail17trampoline_kernelINS0_14default_configENS1_25partition_config_selectorILNS1_17partition_subalgoE1EiNS0_10empty_typeEbEEZZNS1_14partition_implILS5_1ELb0ES3_jN6thrust23THRUST_200600_302600_NS6detail15normal_iteratorINSA_10device_ptrIiEEEEPS6_NSA_18transform_iteratorI7is_evenIiESF_NSA_11use_defaultESK_EENS0_5tupleIJNSA_16discard_iteratorISK_EESO_EEENSM_IJSG_SG_EEES6_PlJS6_EEE10hipError_tPvRmT3_T4_T5_T6_T7_T9_mT8_P12ihipStream_tbDpT10_ENKUlT_T0_E_clISt17integral_constantIbLb0EES1B_EEDaS16_S17_EUlS16_E_NS1_11comp_targetILNS1_3genE0ELNS1_11target_archE4294967295ELNS1_3gpuE0ELNS1_3repE0EEENS1_30default_config_static_selectorELNS0_4arch9wavefront6targetE1EEEvT1_,"axG",@progbits,_ZN7rocprim17ROCPRIM_400000_NS6detail17trampoline_kernelINS0_14default_configENS1_25partition_config_selectorILNS1_17partition_subalgoE1EiNS0_10empty_typeEbEEZZNS1_14partition_implILS5_1ELb0ES3_jN6thrust23THRUST_200600_302600_NS6detail15normal_iteratorINSA_10device_ptrIiEEEEPS6_NSA_18transform_iteratorI7is_evenIiESF_NSA_11use_defaultESK_EENS0_5tupleIJNSA_16discard_iteratorISK_EESO_EEENSM_IJSG_SG_EEES6_PlJS6_EEE10hipError_tPvRmT3_T4_T5_T6_T7_T9_mT8_P12ihipStream_tbDpT10_ENKUlT_T0_E_clISt17integral_constantIbLb0EES1B_EEDaS16_S17_EUlS16_E_NS1_11comp_targetILNS1_3genE0ELNS1_11target_archE4294967295ELNS1_3gpuE0ELNS1_3repE0EEENS1_30default_config_static_selectorELNS0_4arch9wavefront6targetE1EEEvT1_,comdat
.Lfunc_end3259:
	.size	_ZN7rocprim17ROCPRIM_400000_NS6detail17trampoline_kernelINS0_14default_configENS1_25partition_config_selectorILNS1_17partition_subalgoE1EiNS0_10empty_typeEbEEZZNS1_14partition_implILS5_1ELb0ES3_jN6thrust23THRUST_200600_302600_NS6detail15normal_iteratorINSA_10device_ptrIiEEEEPS6_NSA_18transform_iteratorI7is_evenIiESF_NSA_11use_defaultESK_EENS0_5tupleIJNSA_16discard_iteratorISK_EESO_EEENSM_IJSG_SG_EEES6_PlJS6_EEE10hipError_tPvRmT3_T4_T5_T6_T7_T9_mT8_P12ihipStream_tbDpT10_ENKUlT_T0_E_clISt17integral_constantIbLb0EES1B_EEDaS16_S17_EUlS16_E_NS1_11comp_targetILNS1_3genE0ELNS1_11target_archE4294967295ELNS1_3gpuE0ELNS1_3repE0EEENS1_30default_config_static_selectorELNS0_4arch9wavefront6targetE1EEEvT1_, .Lfunc_end3259-_ZN7rocprim17ROCPRIM_400000_NS6detail17trampoline_kernelINS0_14default_configENS1_25partition_config_selectorILNS1_17partition_subalgoE1EiNS0_10empty_typeEbEEZZNS1_14partition_implILS5_1ELb0ES3_jN6thrust23THRUST_200600_302600_NS6detail15normal_iteratorINSA_10device_ptrIiEEEEPS6_NSA_18transform_iteratorI7is_evenIiESF_NSA_11use_defaultESK_EENS0_5tupleIJNSA_16discard_iteratorISK_EESO_EEENSM_IJSG_SG_EEES6_PlJS6_EEE10hipError_tPvRmT3_T4_T5_T6_T7_T9_mT8_P12ihipStream_tbDpT10_ENKUlT_T0_E_clISt17integral_constantIbLb0EES1B_EEDaS16_S17_EUlS16_E_NS1_11comp_targetILNS1_3genE0ELNS1_11target_archE4294967295ELNS1_3gpuE0ELNS1_3repE0EEENS1_30default_config_static_selectorELNS0_4arch9wavefront6targetE1EEEvT1_
                                        ; -- End function
	.section	.AMDGPU.csdata,"",@progbits
; Kernel info:
; codeLenInByte = 0
; NumSgprs: 6
; NumVgprs: 0
; NumAgprs: 0
; TotalNumVgprs: 0
; ScratchSize: 0
; MemoryBound: 0
; FloatMode: 240
; IeeeMode: 1
; LDSByteSize: 0 bytes/workgroup (compile time only)
; SGPRBlocks: 0
; VGPRBlocks: 0
; NumSGPRsForWavesPerEU: 6
; NumVGPRsForWavesPerEU: 1
; AccumOffset: 4
; Occupancy: 8
; WaveLimiterHint : 0
; COMPUTE_PGM_RSRC2:SCRATCH_EN: 0
; COMPUTE_PGM_RSRC2:USER_SGPR: 2
; COMPUTE_PGM_RSRC2:TRAP_HANDLER: 0
; COMPUTE_PGM_RSRC2:TGID_X_EN: 1
; COMPUTE_PGM_RSRC2:TGID_Y_EN: 0
; COMPUTE_PGM_RSRC2:TGID_Z_EN: 0
; COMPUTE_PGM_RSRC2:TIDIG_COMP_CNT: 0
; COMPUTE_PGM_RSRC3_GFX90A:ACCUM_OFFSET: 0
; COMPUTE_PGM_RSRC3_GFX90A:TG_SPLIT: 0
	.section	.text._ZN7rocprim17ROCPRIM_400000_NS6detail17trampoline_kernelINS0_14default_configENS1_25partition_config_selectorILNS1_17partition_subalgoE1EiNS0_10empty_typeEbEEZZNS1_14partition_implILS5_1ELb0ES3_jN6thrust23THRUST_200600_302600_NS6detail15normal_iteratorINSA_10device_ptrIiEEEEPS6_NSA_18transform_iteratorI7is_evenIiESF_NSA_11use_defaultESK_EENS0_5tupleIJNSA_16discard_iteratorISK_EESO_EEENSM_IJSG_SG_EEES6_PlJS6_EEE10hipError_tPvRmT3_T4_T5_T6_T7_T9_mT8_P12ihipStream_tbDpT10_ENKUlT_T0_E_clISt17integral_constantIbLb0EES1B_EEDaS16_S17_EUlS16_E_NS1_11comp_targetILNS1_3genE5ELNS1_11target_archE942ELNS1_3gpuE9ELNS1_3repE0EEENS1_30default_config_static_selectorELNS0_4arch9wavefront6targetE1EEEvT1_,"axG",@progbits,_ZN7rocprim17ROCPRIM_400000_NS6detail17trampoline_kernelINS0_14default_configENS1_25partition_config_selectorILNS1_17partition_subalgoE1EiNS0_10empty_typeEbEEZZNS1_14partition_implILS5_1ELb0ES3_jN6thrust23THRUST_200600_302600_NS6detail15normal_iteratorINSA_10device_ptrIiEEEEPS6_NSA_18transform_iteratorI7is_evenIiESF_NSA_11use_defaultESK_EENS0_5tupleIJNSA_16discard_iteratorISK_EESO_EEENSM_IJSG_SG_EEES6_PlJS6_EEE10hipError_tPvRmT3_T4_T5_T6_T7_T9_mT8_P12ihipStream_tbDpT10_ENKUlT_T0_E_clISt17integral_constantIbLb0EES1B_EEDaS16_S17_EUlS16_E_NS1_11comp_targetILNS1_3genE5ELNS1_11target_archE942ELNS1_3gpuE9ELNS1_3repE0EEENS1_30default_config_static_selectorELNS0_4arch9wavefront6targetE1EEEvT1_,comdat
	.protected	_ZN7rocprim17ROCPRIM_400000_NS6detail17trampoline_kernelINS0_14default_configENS1_25partition_config_selectorILNS1_17partition_subalgoE1EiNS0_10empty_typeEbEEZZNS1_14partition_implILS5_1ELb0ES3_jN6thrust23THRUST_200600_302600_NS6detail15normal_iteratorINSA_10device_ptrIiEEEEPS6_NSA_18transform_iteratorI7is_evenIiESF_NSA_11use_defaultESK_EENS0_5tupleIJNSA_16discard_iteratorISK_EESO_EEENSM_IJSG_SG_EEES6_PlJS6_EEE10hipError_tPvRmT3_T4_T5_T6_T7_T9_mT8_P12ihipStream_tbDpT10_ENKUlT_T0_E_clISt17integral_constantIbLb0EES1B_EEDaS16_S17_EUlS16_E_NS1_11comp_targetILNS1_3genE5ELNS1_11target_archE942ELNS1_3gpuE9ELNS1_3repE0EEENS1_30default_config_static_selectorELNS0_4arch9wavefront6targetE1EEEvT1_ ; -- Begin function _ZN7rocprim17ROCPRIM_400000_NS6detail17trampoline_kernelINS0_14default_configENS1_25partition_config_selectorILNS1_17partition_subalgoE1EiNS0_10empty_typeEbEEZZNS1_14partition_implILS5_1ELb0ES3_jN6thrust23THRUST_200600_302600_NS6detail15normal_iteratorINSA_10device_ptrIiEEEEPS6_NSA_18transform_iteratorI7is_evenIiESF_NSA_11use_defaultESK_EENS0_5tupleIJNSA_16discard_iteratorISK_EESO_EEENSM_IJSG_SG_EEES6_PlJS6_EEE10hipError_tPvRmT3_T4_T5_T6_T7_T9_mT8_P12ihipStream_tbDpT10_ENKUlT_T0_E_clISt17integral_constantIbLb0EES1B_EEDaS16_S17_EUlS16_E_NS1_11comp_targetILNS1_3genE5ELNS1_11target_archE942ELNS1_3gpuE9ELNS1_3repE0EEENS1_30default_config_static_selectorELNS0_4arch9wavefront6targetE1EEEvT1_
	.globl	_ZN7rocprim17ROCPRIM_400000_NS6detail17trampoline_kernelINS0_14default_configENS1_25partition_config_selectorILNS1_17partition_subalgoE1EiNS0_10empty_typeEbEEZZNS1_14partition_implILS5_1ELb0ES3_jN6thrust23THRUST_200600_302600_NS6detail15normal_iteratorINSA_10device_ptrIiEEEEPS6_NSA_18transform_iteratorI7is_evenIiESF_NSA_11use_defaultESK_EENS0_5tupleIJNSA_16discard_iteratorISK_EESO_EEENSM_IJSG_SG_EEES6_PlJS6_EEE10hipError_tPvRmT3_T4_T5_T6_T7_T9_mT8_P12ihipStream_tbDpT10_ENKUlT_T0_E_clISt17integral_constantIbLb0EES1B_EEDaS16_S17_EUlS16_E_NS1_11comp_targetILNS1_3genE5ELNS1_11target_archE942ELNS1_3gpuE9ELNS1_3repE0EEENS1_30default_config_static_selectorELNS0_4arch9wavefront6targetE1EEEvT1_
	.p2align	8
	.type	_ZN7rocprim17ROCPRIM_400000_NS6detail17trampoline_kernelINS0_14default_configENS1_25partition_config_selectorILNS1_17partition_subalgoE1EiNS0_10empty_typeEbEEZZNS1_14partition_implILS5_1ELb0ES3_jN6thrust23THRUST_200600_302600_NS6detail15normal_iteratorINSA_10device_ptrIiEEEEPS6_NSA_18transform_iteratorI7is_evenIiESF_NSA_11use_defaultESK_EENS0_5tupleIJNSA_16discard_iteratorISK_EESO_EEENSM_IJSG_SG_EEES6_PlJS6_EEE10hipError_tPvRmT3_T4_T5_T6_T7_T9_mT8_P12ihipStream_tbDpT10_ENKUlT_T0_E_clISt17integral_constantIbLb0EES1B_EEDaS16_S17_EUlS16_E_NS1_11comp_targetILNS1_3genE5ELNS1_11target_archE942ELNS1_3gpuE9ELNS1_3repE0EEENS1_30default_config_static_selectorELNS0_4arch9wavefront6targetE1EEEvT1_,@function
_ZN7rocprim17ROCPRIM_400000_NS6detail17trampoline_kernelINS0_14default_configENS1_25partition_config_selectorILNS1_17partition_subalgoE1EiNS0_10empty_typeEbEEZZNS1_14partition_implILS5_1ELb0ES3_jN6thrust23THRUST_200600_302600_NS6detail15normal_iteratorINSA_10device_ptrIiEEEEPS6_NSA_18transform_iteratorI7is_evenIiESF_NSA_11use_defaultESK_EENS0_5tupleIJNSA_16discard_iteratorISK_EESO_EEENSM_IJSG_SG_EEES6_PlJS6_EEE10hipError_tPvRmT3_T4_T5_T6_T7_T9_mT8_P12ihipStream_tbDpT10_ENKUlT_T0_E_clISt17integral_constantIbLb0EES1B_EEDaS16_S17_EUlS16_E_NS1_11comp_targetILNS1_3genE5ELNS1_11target_archE942ELNS1_3gpuE9ELNS1_3repE0EEENS1_30default_config_static_selectorELNS0_4arch9wavefront6targetE1EEEvT1_: ; @_ZN7rocprim17ROCPRIM_400000_NS6detail17trampoline_kernelINS0_14default_configENS1_25partition_config_selectorILNS1_17partition_subalgoE1EiNS0_10empty_typeEbEEZZNS1_14partition_implILS5_1ELb0ES3_jN6thrust23THRUST_200600_302600_NS6detail15normal_iteratorINSA_10device_ptrIiEEEEPS6_NSA_18transform_iteratorI7is_evenIiESF_NSA_11use_defaultESK_EENS0_5tupleIJNSA_16discard_iteratorISK_EESO_EEENSM_IJSG_SG_EEES6_PlJS6_EEE10hipError_tPvRmT3_T4_T5_T6_T7_T9_mT8_P12ihipStream_tbDpT10_ENKUlT_T0_E_clISt17integral_constantIbLb0EES1B_EEDaS16_S17_EUlS16_E_NS1_11comp_targetILNS1_3genE5ELNS1_11target_archE942ELNS1_3gpuE9ELNS1_3repE0EEENS1_30default_config_static_selectorELNS0_4arch9wavefront6targetE1EEEvT1_
; %bb.0:
	s_load_dword s3, s[0:1], 0x88
	s_load_dwordx2 s[4:5], s[0:1], 0x70
	s_load_dwordx4 s[12:15], s[0:1], 0x8
	s_load_dwordx2 s[6:7], s[0:1], 0x20
	s_load_dwordx4 s[20:23], s[0:1], 0x60
	s_waitcnt lgkmcnt(0)
	v_mov_b32_e32 v3, s5
	s_lshl_b64 s[10:11], s[14:15], 2
	s_add_u32 s16, s12, s10
	s_mul_i32 s5, s3, 0x1e00
	s_addc_u32 s17, s13, s11
	s_add_i32 s8, s3, -1
	s_add_i32 s3, s5, s14
	s_sub_i32 s3, s4, s3
	s_addk_i32 s3, 0x1e00
	v_mov_b32_e32 v2, s4
	s_add_u32 s4, s14, s5
	s_addc_u32 s5, s15, 0
	s_cmp_eq_u32 s2, s8
	s_load_dwordx2 s[18:19], s[22:23], 0x0
	s_cselect_b64 s[22:23], -1, 0
	s_cmp_lg_u32 s2, s8
	s_mul_i32 s12, s2, 0x1e00
	s_mov_b32 s13, 0
	v_cmp_lt_u64_e32 vcc, s[4:5], v[2:3]
	s_cselect_b64 s[4:5], -1, 0
	s_or_b64 s[8:9], s[4:5], vcc
	s_lshl_b64 s[12:13], s[12:13], 2
	s_add_u32 s14, s16, s12
	s_addc_u32 s15, s17, s13
	s_mov_b64 s[4:5], -1
	s_and_b64 vcc, exec, s[8:9]
	s_cbranch_vccz .LBB3260_2
; %bb.1:
	v_lshlrev_b32_e32 v2, 2, v0
	v_mov_b32_e32 v3, 0
	v_lshl_add_u64 v[4:5], s[14:15], 0, v[2:3]
	v_add_co_u32_e32 v6, vcc, 0x1000, v4
	s_mov_b64 s[4:5], 0
	s_nop 0
	v_addc_co_u32_e32 v7, vcc, 0, v5, vcc
	v_add_co_u32_e32 v8, vcc, 0x2000, v4
	s_nop 1
	v_addc_co_u32_e32 v9, vcc, 0, v5, vcc
	v_add_co_u32_e32 v10, vcc, 0x3000, v4
	s_nop 1
	v_addc_co_u32_e32 v11, vcc, 0, v5, vcc
	flat_load_dword v1, v[4:5]
	flat_load_dword v3, v[4:5] offset:2048
	flat_load_dword v12, v[6:7]
	flat_load_dword v13, v[6:7] offset:2048
	;; [unrolled: 2-line block ×4, first 2 shown]
	v_add_co_u32_e32 v6, vcc, 0x4000, v4
	s_nop 1
	v_addc_co_u32_e32 v7, vcc, 0, v5, vcc
	v_add_co_u32_e32 v8, vcc, 0x5000, v4
	s_nop 1
	v_addc_co_u32_e32 v9, vcc, 0, v5, vcc
	;; [unrolled: 3-line block ×4, first 2 shown]
	flat_load_dword v18, v[6:7]
	flat_load_dword v19, v[6:7] offset:2048
	flat_load_dword v20, v[8:9]
	flat_load_dword v21, v[8:9] offset:2048
	;; [unrolled: 2-line block ×3, first 2 shown]
	flat_load_dword v24, v[4:5]
	s_waitcnt vmcnt(0) lgkmcnt(0)
	ds_write2st64_b32 v2, v1, v3 offset1:8
	ds_write2st64_b32 v2, v12, v13 offset0:16 offset1:24
	ds_write2st64_b32 v2, v14, v15 offset0:32 offset1:40
	;; [unrolled: 1-line block ×6, first 2 shown]
	ds_write_b32 v2, v24 offset:28672
	s_waitcnt lgkmcnt(0)
	s_barrier
.LBB3260_2:
	s_andn2_b64 vcc, exec, s[4:5]
	v_cmp_gt_u32_e64 s[4:5], s3, v0
	s_cbranch_vccnz .LBB3260_34
; %bb.3:
                                        ; implicit-def: $vgpr2_vgpr3_vgpr4_vgpr5_vgpr6_vgpr7_vgpr8_vgpr9_vgpr10_vgpr11_vgpr12_vgpr13_vgpr14_vgpr15_vgpr16_vgpr17
	s_and_saveexec_b64 s[16:17], s[4:5]
	s_cbranch_execz .LBB3260_5
; %bb.4:
	v_lshlrev_b32_e32 v2, 2, v0
	v_mov_b32_e32 v3, 0
	v_lshl_add_u64 v[2:3], s[14:15], 0, v[2:3]
	flat_load_dword v2, v[2:3]
.LBB3260_5:
	s_or_b64 exec, exec, s[16:17]
	v_or_b32_e32 v1, 0x200, v0
	v_cmp_gt_u32_e32 vcc, s3, v1
	s_and_saveexec_b64 s[4:5], vcc
	s_cbranch_execz .LBB3260_7
; %bb.6:
	v_lshlrev_b32_e32 v18, 2, v0
	v_mov_b32_e32 v19, 0
	v_lshl_add_u64 v[18:19], s[14:15], 0, v[18:19]
	flat_load_dword v3, v[18:19] offset:2048
.LBB3260_7:
	s_or_b64 exec, exec, s[4:5]
	v_or_b32_e32 v1, 0x400, v0
	v_cmp_gt_u32_e32 vcc, s3, v1
	s_and_saveexec_b64 s[4:5], vcc
	s_cbranch_execz .LBB3260_9
; %bb.8:
	v_lshlrev_b32_e32 v18, 2, v1
	v_mov_b32_e32 v19, 0
	v_lshl_add_u64 v[18:19], s[14:15], 0, v[18:19]
	flat_load_dword v4, v[18:19]
.LBB3260_9:
	s_or_b64 exec, exec, s[4:5]
	v_or_b32_e32 v1, 0x600, v0
	v_cmp_gt_u32_e32 vcc, s3, v1
	s_and_saveexec_b64 s[4:5], vcc
	s_cbranch_execz .LBB3260_11
; %bb.10:
	v_lshlrev_b32_e32 v18, 2, v1
	v_mov_b32_e32 v19, 0
	v_lshl_add_u64 v[18:19], s[14:15], 0, v[18:19]
	flat_load_dword v5, v[18:19]
.LBB3260_11:
	;; [unrolled: 11-line block ×13, first 2 shown]
	s_or_b64 exec, exec, s[4:5]
	v_lshlrev_b32_e32 v1, 2, v0
	s_waitcnt vmcnt(0) lgkmcnt(0)
	ds_write2st64_b32 v1, v2, v3 offset1:8
	ds_write2st64_b32 v1, v4, v5 offset0:16 offset1:24
	ds_write2st64_b32 v1, v6, v7 offset0:32 offset1:40
	;; [unrolled: 1-line block ×6, first 2 shown]
	ds_write_b32 v1, v16 offset:28672
	s_waitcnt lgkmcnt(0)
	s_barrier
.LBB3260_34:
	v_mul_u32_u24_e32 v21, 15, v0
	v_lshlrev_b32_e32 v1, 2, v21
	s_waitcnt lgkmcnt(0)
	ds_read2_b32 v[34:35], v1 offset1:1
	ds_read2_b32 v[32:33], v1 offset0:2 offset1:3
	ds_read2_b32 v[30:31], v1 offset0:4 offset1:5
	;; [unrolled: 1-line block ×6, first 2 shown]
	ds_read_b32 v1, v1 offset:56
	s_add_u32 s4, s6, s10
	s_addc_u32 s5, s7, s11
	s_add_u32 s4, s4, s12
	s_addc_u32 s5, s5, s13
	s_mov_b64 s[6:7], -1
	s_and_b64 vcc, exec, s[8:9]
	s_waitcnt lgkmcnt(0)
	s_barrier
	s_cbranch_vccz .LBB3260_36
; %bb.35:
	v_lshlrev_b32_e32 v2, 2, v0
	v_mov_b32_e32 v3, 0
	v_lshl_add_u64 v[4:5], s[4:5], 0, v[2:3]
	global_load_dword v8, v2, s[4:5]
	global_load_dword v9, v2, s[4:5] offset:2048
	v_add_co_u32_e32 v2, vcc, 0x1000, v4
	s_mov_b64 s[6:7], 0
	s_nop 0
	v_addc_co_u32_e32 v3, vcc, 0, v5, vcc
	v_add_co_u32_e32 v6, vcc, 0x2000, v4
	s_nop 1
	v_addc_co_u32_e32 v7, vcc, 0, v5, vcc
	global_load_dword v10, v[2:3], off
	global_load_dword v11, v[2:3], off offset:2048
	global_load_dword v12, v[6:7], off
	global_load_dword v13, v[6:7], off offset:2048
	v_add_co_u32_e32 v2, vcc, 0x3000, v4
	s_nop 1
	v_addc_co_u32_e32 v3, vcc, 0, v5, vcc
	v_add_co_u32_e32 v6, vcc, 0x4000, v4
	s_nop 1
	v_addc_co_u32_e32 v7, vcc, 0, v5, vcc
	global_load_dword v14, v[2:3], off
	global_load_dword v15, v[2:3], off offset:2048
	global_load_dword v16, v[6:7], off
	global_load_dword v17, v[6:7], off offset:2048
	v_add_co_u32_e32 v2, vcc, 0x5000, v4
	s_nop 1
	v_addc_co_u32_e32 v3, vcc, 0, v5, vcc
	global_load_dword v6, v[2:3], off
	global_load_dword v7, v[2:3], off offset:2048
	v_add_co_u32_e32 v2, vcc, 0x6000, v4
	s_waitcnt vmcnt(1)
	v_xor_b32_e32 v6, -1, v6
	v_addc_co_u32_e32 v3, vcc, 0, v5, vcc
	global_load_dword v18, v[2:3], off
	global_load_dword v19, v[2:3], off offset:2048
	v_add_co_u32_e32 v2, vcc, 0x7000, v4
	v_xor_b32_e32 v4, -1, v9
	s_nop 0
	v_addc_co_u32_e32 v3, vcc, 0, v5, vcc
	global_load_dword v2, v[2:3], off
	v_xor_b32_e32 v3, -1, v8
	v_and_b32_e32 v3, 1, v3
	v_and_b32_e32 v4, 1, v4
	ds_write_b8 v0, v3
	ds_write_b8 v0, v4 offset:512
	v_xor_b32_e32 v3, -1, v10
	v_xor_b32_e32 v4, -1, v11
	v_and_b32_e32 v3, 1, v3
	v_and_b32_e32 v4, 1, v4
	v_xor_b32_e32 v5, -1, v12
	v_xor_b32_e32 v8, -1, v13
	;; [unrolled: 1-line block ×4, first 2 shown]
	v_and_b32_e32 v5, 1, v5
	v_and_b32_e32 v8, 1, v8
	ds_write_b8 v0, v3 offset:1024
	ds_write_b8 v0, v4 offset:1536
	v_and_b32_e32 v3, 1, v9
	v_and_b32_e32 v4, 1, v10
	v_xor_b32_e32 v9, -1, v16
	v_xor_b32_e32 v10, -1, v17
	s_waitcnt vmcnt(3)
	v_xor_b32_e32 v7, -1, v7
	ds_write_b8 v0, v5 offset:2048
	ds_write_b8 v0, v8 offset:2560
	v_and_b32_e32 v5, 1, v9
	v_and_b32_e32 v8, 1, v10
	ds_write_b8 v0, v3 offset:3072
	ds_write_b8 v0, v4 offset:3584
	v_and_b32_e32 v3, 1, v6
	v_and_b32_e32 v4, 1, v7
	ds_write_b8 v0, v5 offset:4096
	s_waitcnt vmcnt(2)
	v_xor_b32_e32 v6, -1, v18
	s_waitcnt vmcnt(1)
	v_xor_b32_e32 v7, -1, v19
	v_and_b32_e32 v5, 1, v6
	v_and_b32_e32 v6, 1, v7
	s_waitcnt vmcnt(0)
	v_xor_b32_e32 v2, -1, v2
	v_and_b32_e32 v2, 1, v2
	ds_write_b8 v0, v8 offset:4608
	ds_write_b8 v0, v3 offset:5120
	ds_write_b8 v0, v4 offset:5632
	ds_write_b8 v0, v5 offset:6144
	ds_write_b8 v0, v6 offset:6656
	ds_write_b8 v0, v2 offset:7168
	s_waitcnt lgkmcnt(0)
	s_barrier
.LBB3260_36:
	s_load_dwordx2 s[24:25], s[0:1], 0x80
	s_andn2_b64 vcc, exec, s[6:7]
	s_cbranch_vccnz .LBB3260_68
; %bb.37:
	v_cmp_gt_u32_e32 vcc, s3, v0
	v_mov_b32_e32 v2, 0
	v_mov_b32_e32 v3, 0
	s_and_saveexec_b64 s[0:1], vcc
	s_cbranch_execz .LBB3260_39
; %bb.38:
	v_lshlrev_b32_e32 v3, 2, v0
	global_load_dword v3, v3, s[4:5]
	s_waitcnt vmcnt(0)
	v_xor_b32_e32 v3, -1, v3
	v_and_b32_e32 v3, 1, v3
.LBB3260_39:
	s_or_b64 exec, exec, s[0:1]
	v_or_b32_e32 v4, 0x200, v0
	v_cmp_gt_u32_e32 vcc, s3, v4
	s_and_saveexec_b64 s[0:1], vcc
	s_cbranch_execz .LBB3260_41
; %bb.40:
	v_lshlrev_b32_e32 v2, 2, v0
	global_load_dword v2, v2, s[4:5] offset:2048
	s_waitcnt vmcnt(0)
	v_xor_b32_e32 v2, -1, v2
	v_and_b32_e32 v2, 1, v2
.LBB3260_41:
	s_or_b64 exec, exec, s[0:1]
	v_or_b32_e32 v6, 0x400, v0
	v_cmp_gt_u32_e32 vcc, s3, v6
	v_mov_b32_e32 v4, 0
	v_mov_b32_e32 v5, 0
	s_and_saveexec_b64 s[0:1], vcc
	s_cbranch_execz .LBB3260_43
; %bb.42:
	v_lshlrev_b32_e32 v5, 2, v6
	global_load_dword v5, v5, s[4:5]
	s_waitcnt vmcnt(0)
	v_xor_b32_e32 v5, -1, v5
	v_and_b32_e32 v5, 1, v5
.LBB3260_43:
	s_or_b64 exec, exec, s[0:1]
	v_or_b32_e32 v6, 0x600, v0
	v_cmp_gt_u32_e32 vcc, s3, v6
	s_and_saveexec_b64 s[0:1], vcc
	s_cbranch_execz .LBB3260_45
; %bb.44:
	v_lshlrev_b32_e32 v4, 2, v6
	global_load_dword v4, v4, s[4:5]
	s_waitcnt vmcnt(0)
	v_xor_b32_e32 v4, -1, v4
	v_and_b32_e32 v4, 1, v4
.LBB3260_45:
	s_or_b64 exec, exec, s[0:1]
	v_or_b32_e32 v8, 0x800, v0
	v_cmp_gt_u32_e32 vcc, s3, v8
	v_mov_b32_e32 v6, 0
	v_mov_b32_e32 v7, 0
	s_and_saveexec_b64 s[0:1], vcc
	s_cbranch_execz .LBB3260_47
; %bb.46:
	v_lshlrev_b32_e32 v7, 2, v8
	global_load_dword v7, v7, s[4:5]
	s_waitcnt vmcnt(0)
	v_xor_b32_e32 v7, -1, v7
	v_and_b32_e32 v7, 1, v7
.LBB3260_47:
	s_or_b64 exec, exec, s[0:1]
	v_or_b32_e32 v8, 0xa00, v0
	v_cmp_gt_u32_e32 vcc, s3, v8
	s_and_saveexec_b64 s[0:1], vcc
	s_cbranch_execz .LBB3260_49
; %bb.48:
	v_lshlrev_b32_e32 v6, 2, v8
	global_load_dword v6, v6, s[4:5]
	s_waitcnt vmcnt(0)
	v_xor_b32_e32 v6, -1, v6
	v_and_b32_e32 v6, 1, v6
.LBB3260_49:
	;; [unrolled: 26-line block ×6, first 2 shown]
	s_or_b64 exec, exec, s[0:1]
	v_or_b32_e32 v17, 0x1c00, v0
	v_cmp_gt_u32_e32 vcc, s3, v17
	v_mov_b32_e32 v16, 0
	s_and_saveexec_b64 s[0:1], vcc
	s_cbranch_execz .LBB3260_67
; %bb.66:
	v_lshlrev_b32_e32 v16, 2, v17
	global_load_dword v16, v16, s[4:5]
	s_waitcnt vmcnt(0)
	v_xor_b32_e32 v16, -1, v16
	v_and_b32_e32 v16, 1, v16
.LBB3260_67:
	s_or_b64 exec, exec, s[0:1]
	ds_write_b8 v0, v3
	ds_write_b8 v0, v2 offset:512
	ds_write_b8 v0, v5 offset:1024
	ds_write_b8 v0, v4 offset:1536
	ds_write_b8 v0, v7 offset:2048
	ds_write_b8 v0, v6 offset:2560
	ds_write_b8 v0, v9 offset:3072
	ds_write_b8 v0, v8 offset:3584
	ds_write_b8 v0, v11 offset:4096
	ds_write_b8 v0, v10 offset:4608
	ds_write_b8 v0, v13 offset:5120
	ds_write_b8 v0, v12 offset:5632
	ds_write_b8 v0, v15 offset:6144
	ds_write_b8 v0, v14 offset:6656
	ds_write_b8 v0, v16 offset:7168
	s_waitcnt lgkmcnt(0)
	s_barrier
.LBB3260_68:
	s_waitcnt lgkmcnt(0)
	ds_read_b96 v[18:20], v21
	ds_read_u8 v2, v21 offset:12
	ds_read_u8 v3, v21 offset:13
	;; [unrolled: 1-line block ×3, first 2 shown]
	s_cmp_lg_u32 s2, 0
	v_lshrrev_b32_e32 v54, 6, v0
	s_waitcnt lgkmcnt(2)
	v_and_b32_e32 v41, 1, v2
	v_and_b32_e32 v50, 0xff, v18
	v_bfe_u32 v51, v18, 8, 8
	v_bfe_u32 v52, v18, 16, 8
	v_lshrrev_b32_e32 v43, 24, v18
	v_and_b32_e32 v47, 0xff, v19
	v_add3_u32 v2, v51, v50, v52
	v_bfe_u32 v48, v19, 8, 8
	v_bfe_u32 v49, v19, 16, 8
	v_add3_u32 v2, v2, v43, v47
	v_lshrrev_b32_e32 v42, 24, v19
	v_and_b32_e32 v44, 0xff, v20
	v_add3_u32 v2, v2, v48, v49
	v_bfe_u32 v45, v20, 8, 8
	v_bfe_u32 v46, v20, 16, 8
	v_add3_u32 v2, v2, v42, v44
	v_lshrrev_b32_e32 v40, 24, v20
	v_add3_u32 v2, v2, v45, v46
	s_waitcnt lgkmcnt(1)
	v_and_b32_e32 v39, 1, v3
	s_waitcnt lgkmcnt(0)
	v_and_b32_e32 v38, 1, v4
	v_add3_u32 v2, v2, v40, v41
	v_add3_u32 v55, v2, v39, v38
	v_mbcnt_lo_u32_b32 v2, -1, 0
	v_mbcnt_hi_u32_b32 v53, -1, v2
	v_and_b32_e32 v2, 15, v53
	v_cmp_eq_u32_e64 s[12:13], 0, v2
	v_cmp_lt_u32_e64 s[10:11], 1, v2
	v_cmp_lt_u32_e64 s[8:9], 3, v2
	;; [unrolled: 1-line block ×3, first 2 shown]
	v_and_b32_e32 v2, 16, v53
	v_cmp_eq_u32_e64 s[4:5], 0, v2
	v_or_b32_e32 v2, 63, v0
	v_cmp_lt_u32_e64 s[0:1], 31, v53
	v_cmp_eq_u32_e64 s[16:17], v2, v0
	s_barrier
	s_cbranch_scc0 .LBB3260_95
; %bb.69:
	v_mov_b32_dpp v2, v55 row_shr:1 row_mask:0xf bank_mask:0xf
	v_cndmask_b32_e64 v2, v2, 0, s[12:13]
	v_add_u32_e32 v2, v2, v55
	s_nop 1
	v_mov_b32_dpp v3, v2 row_shr:2 row_mask:0xf bank_mask:0xf
	v_cndmask_b32_e64 v3, 0, v3, s[10:11]
	v_add_u32_e32 v2, v2, v3
	s_nop 1
	;; [unrolled: 4-line block ×4, first 2 shown]
	v_mov_b32_dpp v3, v2 row_bcast:15 row_mask:0xf bank_mask:0xf
	v_cndmask_b32_e64 v3, v3, 0, s[4:5]
	v_add_u32_e32 v2, v2, v3
	s_nop 1
	v_mov_b32_dpp v3, v2 row_bcast:31 row_mask:0xf bank_mask:0xf
	v_cndmask_b32_e64 v3, 0, v3, s[0:1]
	v_add_u32_e32 v2, v2, v3
	s_and_saveexec_b64 s[14:15], s[16:17]
	s_cbranch_execz .LBB3260_71
; %bb.70:
	v_lshlrev_b32_e32 v3, 2, v54
	ds_write_b32 v3, v2
.LBB3260_71:
	s_or_b64 exec, exec, s[14:15]
	v_cmp_gt_u32_e32 vcc, 8, v0
	s_waitcnt lgkmcnt(0)
	s_barrier
	s_and_saveexec_b64 s[14:15], vcc
	s_cbranch_execz .LBB3260_73
; %bb.72:
	v_lshlrev_b32_e32 v3, 2, v0
	ds_read_b32 v4, v3
	v_and_b32_e32 v5, 7, v53
	v_cmp_ne_u32_e32 vcc, 0, v5
	s_waitcnt lgkmcnt(0)
	v_mov_b32_dpp v6, v4 row_shr:1 row_mask:0xf bank_mask:0xf
	v_cndmask_b32_e32 v6, 0, v6, vcc
	v_add_u32_e32 v4, v6, v4
	v_cmp_lt_u32_e32 vcc, 1, v5
	s_nop 0
	v_mov_b32_dpp v6, v4 row_shr:2 row_mask:0xf bank_mask:0xf
	v_cndmask_b32_e32 v6, 0, v6, vcc
	v_add_u32_e32 v4, v4, v6
	v_cmp_lt_u32_e32 vcc, 3, v5
	s_nop 0
	v_mov_b32_dpp v6, v4 row_shr:4 row_mask:0xf bank_mask:0xf
	v_cndmask_b32_e32 v5, 0, v6, vcc
	v_add_u32_e32 v4, v4, v5
	ds_write_b32 v3, v4
.LBB3260_73:
	s_or_b64 exec, exec, s[14:15]
	v_cmp_gt_u32_e32 vcc, 64, v0
	v_cmp_lt_u32_e64 s[14:15], 63, v0
	s_waitcnt lgkmcnt(0)
	s_barrier
	s_waitcnt lgkmcnt(0)
                                        ; implicit-def: $vgpr12
	s_and_saveexec_b64 s[26:27], s[14:15]
	s_cbranch_execz .LBB3260_75
; %bb.74:
	v_lshl_add_u32 v3, v54, 2, -4
	ds_read_b32 v12, v3
	s_waitcnt lgkmcnt(0)
	v_add_u32_e32 v2, v12, v2
.LBB3260_75:
	s_or_b64 exec, exec, s[26:27]
	v_add_u32_e32 v3, -1, v53
	v_and_b32_e32 v4, 64, v53
	v_cmp_lt_i32_e64 s[14:15], v3, v4
	s_nop 1
	v_cndmask_b32_e64 v3, v3, v53, s[14:15]
	v_lshlrev_b32_e32 v3, 2, v3
	ds_bpermute_b32 v13, v3, v2
	v_cmp_eq_u32_e64 s[14:15], 0, v53
	s_and_saveexec_b64 s[26:27], vcc
	s_cbranch_execz .LBB3260_94
; %bb.76:
	v_mov_b32_e32 v9, 0
	ds_read_b32 v2, v9 offset:28
	s_and_saveexec_b64 s[28:29], s[14:15]
	s_cbranch_execz .LBB3260_78
; %bb.77:
	s_add_i32 s30, s2, 64
	s_mov_b32 s31, 0
	s_lshl_b64 s[30:31], s[30:31], 3
	s_add_u32 s30, s24, s30
	v_mov_b32_e32 v3, 1
	s_addc_u32 s31, s25, s31
	s_waitcnt lgkmcnt(0)
	global_store_dwordx2 v9, v[2:3], s[30:31] sc1
.LBB3260_78:
	s_or_b64 exec, exec, s[28:29]
	v_xad_u32 v4, v53, -1, s2
	v_add_u32_e32 v8, 64, v4
	v_lshl_add_u64 v[10:11], v[8:9], 3, s[24:25]
	global_load_dwordx2 v[6:7], v[10:11], off sc1
	s_waitcnt vmcnt(0)
	v_cmp_eq_u16_sdwa s[30:31], v7, v9 src0_sel:BYTE_0 src1_sel:DWORD
	s_and_saveexec_b64 s[28:29], s[30:31]
	s_cbranch_execz .LBB3260_82
; %bb.79:
	s_mov_b64 s[30:31], 0
	v_mov_b32_e32 v3, 0
.LBB3260_80:                            ; =>This Inner Loop Header: Depth=1
	global_load_dwordx2 v[6:7], v[10:11], off sc1
	s_waitcnt vmcnt(0)
	v_cmp_ne_u16_sdwa s[34:35], v7, v3 src0_sel:BYTE_0 src1_sel:DWORD
	s_or_b64 s[30:31], s[34:35], s[30:31]
	s_andn2_b64 exec, exec, s[30:31]
	s_cbranch_execnz .LBB3260_80
; %bb.81:
	s_or_b64 exec, exec, s[30:31]
.LBB3260_82:
	s_or_b64 exec, exec, s[28:29]
	v_and_b32_e32 v15, 63, v53
	v_mov_b32_e32 v14, 2
	v_cmp_ne_u32_e32 vcc, 63, v15
	v_cmp_eq_u16_sdwa s[28:29], v7, v14 src0_sel:BYTE_0 src1_sel:DWORD
	v_lshlrev_b64 v[8:9], v53, -1
	v_addc_co_u32_e32 v10, vcc, 0, v53, vcc
	v_and_b32_e32 v3, s29, v9
	v_lshlrev_b32_e32 v16, 2, v10
	v_or_b32_e32 v3, 0x80000000, v3
	ds_bpermute_b32 v10, v16, v6
	v_and_b32_e32 v5, s28, v8
	v_ffbl_b32_e32 v3, v3
	v_add_u32_e32 v3, 32, v3
	v_ffbl_b32_e32 v5, v5
	v_min_u32_e32 v3, v5, v3
	v_cmp_lt_u32_e32 vcc, v15, v3
	v_add_u32_e32 v36, 2, v15
	v_add_u32_e32 v56, 4, v15
	s_waitcnt lgkmcnt(0)
	v_cndmask_b32_e32 v5, 0, v10, vcc
	v_cmp_gt_u32_e32 vcc, 62, v15
	v_add_u32_e32 v5, v5, v6
	v_add_u32_e32 v58, 8, v15
	v_cndmask_b32_e64 v6, 0, 1, vcc
	v_lshlrev_b32_e32 v6, 1, v6
	v_add_lshl_u32 v17, v6, v53, 2
	ds_bpermute_b32 v6, v17, v5
	v_cmp_le_u32_e32 vcc, v36, v3
	v_add_u32_e32 v60, 16, v15
	v_add_u32_e32 v62, 32, v15
	s_waitcnt lgkmcnt(0)
	v_cndmask_b32_e32 v6, 0, v6, vcc
	v_cmp_gt_u32_e32 vcc, 60, v15
	v_add_u32_e32 v5, v5, v6
	s_nop 0
	v_cndmask_b32_e64 v6, 0, 1, vcc
	v_lshlrev_b32_e32 v6, 2, v6
	v_add_lshl_u32 v37, v6, v53, 2
	ds_bpermute_b32 v6, v37, v5
	v_cmp_le_u32_e32 vcc, v56, v3
	s_waitcnt lgkmcnt(0)
	s_nop 0
	v_cndmask_b32_e32 v6, 0, v6, vcc
	v_cmp_gt_u32_e32 vcc, 56, v15
	v_add_u32_e32 v5, v5, v6
	s_nop 0
	v_cndmask_b32_e64 v6, 0, 1, vcc
	v_lshlrev_b32_e32 v6, 3, v6
	v_add_lshl_u32 v57, v6, v53, 2
	ds_bpermute_b32 v6, v57, v5
	v_cmp_le_u32_e32 vcc, v58, v3
	s_waitcnt lgkmcnt(0)
	s_nop 0
	v_cndmask_b32_e32 v6, 0, v6, vcc
	v_cmp_gt_u32_e32 vcc, 48, v15
	v_add_u32_e32 v5, v5, v6
	s_nop 0
	v_cndmask_b32_e64 v6, 0, 1, vcc
	v_lshlrev_b32_e32 v6, 4, v6
	v_add_lshl_u32 v59, v6, v53, 2
	ds_bpermute_b32 v6, v59, v5
	v_cmp_le_u32_e32 vcc, v60, v3
	s_waitcnt lgkmcnt(0)
	s_nop 0
	v_cndmask_b32_e32 v6, 0, v6, vcc
	v_cmp_gt_u32_e32 vcc, 32, v15
	v_add_u32_e32 v5, v5, v6
	s_nop 0
	v_cndmask_b32_e64 v6, 0, 1, vcc
	v_lshlrev_b32_e32 v6, 5, v6
	v_add_lshl_u32 v61, v6, v53, 2
	ds_bpermute_b32 v6, v61, v5
	v_cmp_le_u32_e32 vcc, v62, v3
	s_waitcnt lgkmcnt(0)
	s_nop 0
	v_cndmask_b32_e32 v3, 0, v6, vcc
	v_add_u32_e32 v6, v5, v3
	v_mov_b32_e32 v5, 0
	s_branch .LBB3260_84
.LBB3260_83:                            ;   in Loop: Header=BB3260_84 Depth=1
	s_or_b64 exec, exec, s[28:29]
	v_cmp_eq_u16_sdwa s[28:29], v7, v14 src0_sel:BYTE_0 src1_sel:DWORD
	ds_bpermute_b32 v63, v16, v6
	v_subrev_u32_e32 v4, 64, v4
	v_and_b32_e32 v10, s29, v9
	v_or_b32_e32 v10, 0x80000000, v10
	v_and_b32_e32 v11, s28, v8
	v_ffbl_b32_e32 v10, v10
	v_add_u32_e32 v10, 32, v10
	v_ffbl_b32_e32 v11, v11
	v_min_u32_e32 v10, v11, v10
	v_cmp_lt_u32_e32 vcc, v15, v10
	s_waitcnt lgkmcnt(0)
	s_nop 0
	v_cndmask_b32_e32 v11, 0, v63, vcc
	v_add_u32_e32 v6, v11, v6
	ds_bpermute_b32 v11, v17, v6
	v_cmp_le_u32_e32 vcc, v36, v10
	s_waitcnt lgkmcnt(0)
	s_nop 0
	v_cndmask_b32_e32 v11, 0, v11, vcc
	v_add_u32_e32 v6, v6, v11
	ds_bpermute_b32 v11, v37, v6
	v_cmp_le_u32_e32 vcc, v56, v10
	;; [unrolled: 6-line block ×5, first 2 shown]
	s_waitcnt lgkmcnt(0)
	s_nop 0
	v_cndmask_b32_e32 v10, 0, v11, vcc
	v_add3_u32 v6, v10, v3, v6
.LBB3260_84:                            ; =>This Loop Header: Depth=1
                                        ;     Child Loop BB3260_87 Depth 2
	v_cmp_ne_u16_sdwa s[28:29], v7, v14 src0_sel:BYTE_0 src1_sel:DWORD
	s_nop 1
	v_cndmask_b32_e64 v3, 0, 1, s[28:29]
	;;#ASMSTART
	;;#ASMEND
	s_nop 0
	v_cmp_ne_u32_e32 vcc, 0, v3
	s_cmp_lg_u64 vcc, exec
	v_mov_b32_e32 v3, v6
	s_cbranch_scc1 .LBB3260_89
; %bb.85:                               ;   in Loop: Header=BB3260_84 Depth=1
	v_lshl_add_u64 v[10:11], v[4:5], 3, s[24:25]
	global_load_dwordx2 v[6:7], v[10:11], off sc1
	s_waitcnt vmcnt(0)
	v_cmp_eq_u16_sdwa s[30:31], v7, v5 src0_sel:BYTE_0 src1_sel:DWORD
	s_and_saveexec_b64 s[28:29], s[30:31]
	s_cbranch_execz .LBB3260_83
; %bb.86:                               ;   in Loop: Header=BB3260_84 Depth=1
	s_mov_b64 s[30:31], 0
.LBB3260_87:                            ;   Parent Loop BB3260_84 Depth=1
                                        ; =>  This Inner Loop Header: Depth=2
	global_load_dwordx2 v[6:7], v[10:11], off sc1
	s_waitcnt vmcnt(0)
	v_cmp_ne_u16_sdwa s[34:35], v7, v5 src0_sel:BYTE_0 src1_sel:DWORD
	s_or_b64 s[30:31], s[34:35], s[30:31]
	s_andn2_b64 exec, exec, s[30:31]
	s_cbranch_execnz .LBB3260_87
; %bb.88:                               ;   in Loop: Header=BB3260_84 Depth=1
	s_or_b64 exec, exec, s[30:31]
	s_branch .LBB3260_83
.LBB3260_89:                            ;   in Loop: Header=BB3260_84 Depth=1
                                        ; implicit-def: $vgpr6
                                        ; implicit-def: $vgpr7
	s_cbranch_execz .LBB3260_84
; %bb.90:
	s_and_saveexec_b64 s[28:29], s[14:15]
	s_cbranch_execz .LBB3260_92
; %bb.91:
	s_add_i32 s2, s2, 64
	s_mov_b32 s3, 0
	s_lshl_b64 s[2:3], s[2:3], 3
	s_add_u32 s2, s24, s2
	v_add_u32_e32 v4, v3, v2
	v_mov_b32_e32 v5, 2
	s_addc_u32 s3, s25, s3
	v_mov_b32_e32 v6, 0
	global_store_dwordx2 v6, v[4:5], s[2:3] sc1
	ds_write_b64 v6, v[2:3] offset:30720
.LBB3260_92:
	s_or_b64 exec, exec, s[28:29]
	v_cmp_eq_u32_e32 vcc, 0, v0
	s_and_b64 exec, exec, vcc
	s_cbranch_execz .LBB3260_94
; %bb.93:
	v_mov_b32_e32 v2, 0
	ds_write_b32 v2, v3 offset:28
.LBB3260_94:
	s_or_b64 exec, exec, s[26:27]
	v_mov_b32_e32 v14, 0
	s_waitcnt lgkmcnt(0)
	s_barrier
	ds_read_b32 v2, v14 offset:28
	v_cndmask_b32_e64 v3, v13, v12, s[14:15]
	v_cmp_ne_u32_e32 vcc, 0, v0
	s_waitcnt lgkmcnt(0)
	s_barrier
	v_cndmask_b32_e32 v3, 0, v3, vcc
	v_add_u32_e32 v2, v2, v3
	v_add_u32_e32 v3, v2, v50
	;; [unrolled: 1-line block ×11, first 2 shown]
	ds_read_b64 v[36:37], v14 offset:30720
	v_add_u32_e32 v13, v12, v46
	v_add_u32_e32 v14, v13, v40
	;; [unrolled: 1-line block ×4, first 2 shown]
	s_branch .LBB3260_105
.LBB3260_95:
                                        ; implicit-def: $vgpr37
                                        ; implicit-def: $vgpr2_vgpr3_vgpr4_vgpr5_vgpr6_vgpr7_vgpr8_vgpr9_vgpr10_vgpr11_vgpr12_vgpr13_vgpr14_vgpr15_vgpr16_vgpr17
	s_cbranch_execz .LBB3260_105
; %bb.96:
	s_nop 0
	v_mov_b32_dpp v2, v55 row_shr:1 row_mask:0xf bank_mask:0xf
	v_cndmask_b32_e64 v2, v2, 0, s[12:13]
	v_add_u32_e32 v2, v2, v55
	s_nop 1
	v_mov_b32_dpp v3, v2 row_shr:2 row_mask:0xf bank_mask:0xf
	v_cndmask_b32_e64 v3, 0, v3, s[10:11]
	v_add_u32_e32 v2, v2, v3
	;; [unrolled: 4-line block ×4, first 2 shown]
	s_nop 1
	v_mov_b32_dpp v3, v2 row_bcast:15 row_mask:0xf bank_mask:0xf
	v_cndmask_b32_e64 v3, v3, 0, s[4:5]
	v_add_u32_e32 v2, v2, v3
	s_nop 1
	v_mov_b32_dpp v3, v2 row_bcast:31 row_mask:0xf bank_mask:0xf
	v_cndmask_b32_e64 v3, 0, v3, s[0:1]
	v_add_u32_e32 v2, v2, v3
	s_and_saveexec_b64 s[0:1], s[16:17]
	s_cbranch_execz .LBB3260_98
; %bb.97:
	v_lshlrev_b32_e32 v3, 2, v54
	ds_write_b32 v3, v2
.LBB3260_98:
	s_or_b64 exec, exec, s[0:1]
	v_cmp_gt_u32_e32 vcc, 8, v0
	s_waitcnt lgkmcnt(0)
	s_barrier
	s_and_saveexec_b64 s[0:1], vcc
	s_cbranch_execz .LBB3260_100
; %bb.99:
	v_mad_i32_i24 v3, v0, -11, v21
	ds_read_b32 v4, v3
	v_and_b32_e32 v5, 7, v53
	v_cmp_ne_u32_e32 vcc, 0, v5
	s_waitcnt lgkmcnt(0)
	v_mov_b32_dpp v6, v4 row_shr:1 row_mask:0xf bank_mask:0xf
	v_cndmask_b32_e32 v6, 0, v6, vcc
	v_add_u32_e32 v4, v6, v4
	v_cmp_lt_u32_e32 vcc, 1, v5
	s_nop 0
	v_mov_b32_dpp v6, v4 row_shr:2 row_mask:0xf bank_mask:0xf
	v_cndmask_b32_e32 v6, 0, v6, vcc
	v_add_u32_e32 v4, v4, v6
	v_cmp_lt_u32_e32 vcc, 3, v5
	s_nop 0
	v_mov_b32_dpp v6, v4 row_shr:4 row_mask:0xf bank_mask:0xf
	v_cndmask_b32_e32 v5, 0, v6, vcc
	v_add_u32_e32 v4, v4, v5
	ds_write_b32 v3, v4
.LBB3260_100:
	s_or_b64 exec, exec, s[0:1]
	v_cmp_lt_u32_e32 vcc, 63, v0
	v_mov_b32_e32 v4, 0
	v_mov_b32_e32 v3, 0
	s_waitcnt lgkmcnt(0)
	s_barrier
	s_and_saveexec_b64 s[0:1], vcc
	s_cbranch_execz .LBB3260_102
; %bb.101:
	v_lshl_add_u32 v3, v54, 2, -4
	ds_read_b32 v3, v3
.LBB3260_102:
	s_or_b64 exec, exec, s[0:1]
	v_add_u32_e32 v5, -1, v53
	v_and_b32_e32 v6, 64, v53
	v_cmp_lt_i32_e32 vcc, v5, v6
	s_waitcnt lgkmcnt(0)
	v_add_u32_e32 v2, v3, v2
	ds_read_b32 v36, v4 offset:28
	v_cndmask_b32_e32 v5, v5, v53, vcc
	v_lshlrev_b32_e32 v5, 2, v5
	ds_bpermute_b32 v2, v5, v2
	v_cmp_eq_u32_e32 vcc, 0, v0
	s_and_saveexec_b64 s[0:1], vcc
	s_cbranch_execz .LBB3260_104
; %bb.103:
	v_mov_b32_e32 v4, 0
	v_mov_b32_e32 v37, 2
	s_waitcnt lgkmcnt(1)
	global_store_dwordx2 v4, v[36:37], s[24:25] offset:512 sc1
.LBB3260_104:
	s_or_b64 exec, exec, s[0:1]
	v_cmp_eq_u32_e64 s[0:1], 0, v53
	v_mov_b32_e32 v37, 0
	s_waitcnt lgkmcnt(0)
	v_cndmask_b32_e64 v2, v2, v3, s[0:1]
	v_cndmask_b32_e64 v2, v2, 0, vcc
	v_add_u32_e32 v3, v2, v50
	v_add_u32_e32 v4, v3, v51
	;; [unrolled: 1-line block ×14, first 2 shown]
	s_barrier
.LBB3260_105:
	s_waitcnt lgkmcnt(0)
	v_add_u32_e32 v21, v36, v21
	v_sub_u32_e32 v2, v2, v37
	v_and_b32_e32 v47, 1, v18
	v_sub_u32_e32 v46, v21, v2
	v_cmp_eq_u32_e32 vcc, 1, v47
	v_lshrrev_b32_e32 v45, 8, v18
	v_lshrrev_b32_e32 v44, 8, v19
	v_cndmask_b32_e32 v2, v46, v2, vcc
	v_lshlrev_b32_e32 v2, 2, v2
	ds_write_b32 v2, v34
	v_sub_u32_e32 v2, v3, v37
	v_sub_u32_e32 v3, v21, v2
	v_and_b32_e32 v34, 1, v45
	v_add_u32_e32 v3, 1, v3
	v_cmp_eq_u32_e32 vcc, 1, v34
	v_lshrrev_b32_e32 v17, 8, v20
	s_nop 0
	v_cndmask_b32_e32 v2, v3, v2, vcc
	v_lshlrev_b32_e32 v2, 2, v2
	ds_write_b32 v2, v35
	v_sub_u32_e32 v2, v4, v37
	v_mov_b32_e32 v4, 1
	v_sub_u32_e32 v3, v21, v2
	v_and_b32_sdwa v18, v4, v18 dst_sel:DWORD dst_unused:UNUSED_PAD src0_sel:DWORD src1_sel:WORD_1
	v_add_u32_e32 v3, 2, v3
	v_cmp_eq_u32_e32 vcc, 1, v18
	s_nop 1
	v_cndmask_b32_e32 v2, v3, v2, vcc
	v_lshlrev_b32_e32 v2, 2, v2
	ds_write_b32 v2, v32
	v_sub_u32_e32 v2, v5, v37
	v_sub_u32_e32 v3, v21, v2
	v_and_b32_e32 v5, 1, v43
	v_add_u32_e32 v3, 3, v3
	v_cmp_eq_u32_e32 vcc, 1, v5
	v_and_b32_e32 v5, 1, v19
	s_nop 0
	v_cndmask_b32_e32 v2, v3, v2, vcc
	v_lshlrev_b32_e32 v2, 2, v2
	ds_write_b32 v2, v33
	v_sub_u32_e32 v2, v6, v37
	v_sub_u32_e32 v3, v21, v2
	v_add_u32_e32 v3, 4, v3
	v_cmp_eq_u32_e32 vcc, 1, v5
	v_and_b32_e32 v5, 1, v44
	s_nop 0
	v_cndmask_b32_e32 v2, v3, v2, vcc
	v_lshlrev_b32_e32 v2, 2, v2
	ds_write_b32 v2, v30
	v_sub_u32_e32 v2, v7, v37
	v_sub_u32_e32 v3, v21, v2
	v_add_u32_e32 v3, 5, v3
	v_cmp_eq_u32_e32 vcc, 1, v5
	v_and_b32_sdwa v5, v4, v19 dst_sel:DWORD dst_unused:UNUSED_PAD src0_sel:DWORD src1_sel:WORD_1
	v_and_b32_sdwa v4, v4, v20 dst_sel:DWORD dst_unused:UNUSED_PAD src0_sel:DWORD src1_sel:WORD_1
	v_cndmask_b32_e32 v2, v3, v2, vcc
	v_lshlrev_b32_e32 v2, 2, v2
	ds_write_b32 v2, v31
	v_sub_u32_e32 v2, v8, v37
	v_sub_u32_e32 v3, v21, v2
	v_add_u32_e32 v3, 6, v3
	v_cmp_eq_u32_e32 vcc, 1, v5
	v_and_b32_e32 v5, 1, v42
	s_nop 0
	v_cndmask_b32_e32 v2, v3, v2, vcc
	v_lshlrev_b32_e32 v2, 2, v2
	ds_write_b32 v2, v28
	v_sub_u32_e32 v2, v9, v37
	v_sub_u32_e32 v3, v21, v2
	v_add_u32_e32 v3, 7, v3
	v_cmp_eq_u32_e32 vcc, 1, v5
	v_and_b32_e32 v5, 1, v20
	s_nop 0
	;; [unrolled: 9-line block ×3, first 2 shown]
	v_cndmask_b32_e32 v2, v3, v2, vcc
	v_lshlrev_b32_e32 v2, 2, v2
	ds_write_b32 v2, v26
	v_sub_u32_e32 v2, v11, v37
	v_sub_u32_e32 v3, v21, v2
	v_add_u32_e32 v3, 9, v3
	v_cmp_eq_u32_e32 vcc, 1, v5
	s_nop 1
	v_cndmask_b32_e32 v2, v3, v2, vcc
	v_lshlrev_b32_e32 v2, 2, v2
	ds_write_b32 v2, v27
	v_sub_u32_e32 v2, v12, v37
	v_sub_u32_e32 v3, v21, v2
	v_add_u32_e32 v3, 10, v3
	v_cmp_eq_u32_e32 vcc, 1, v4
	v_and_b32_e32 v4, 1, v40
	s_nop 0
	v_cndmask_b32_e32 v2, v3, v2, vcc
	v_lshlrev_b32_e32 v2, 2, v2
	ds_write_b32 v2, v24
	v_sub_u32_e32 v2, v13, v37
	v_sub_u32_e32 v3, v21, v2
	v_add_u32_e32 v3, 11, v3
	v_cmp_eq_u32_e32 vcc, 1, v4
	s_nop 1
	v_cndmask_b32_e32 v2, v3, v2, vcc
	v_lshlrev_b32_e32 v2, 2, v2
	ds_write_b32 v2, v25
	v_sub_u32_e32 v2, v14, v37
	v_sub_u32_e32 v3, v21, v2
	v_add_u32_e32 v3, 12, v3
	v_cmp_eq_u32_e32 vcc, 1, v41
	s_nop 1
	v_cndmask_b32_e32 v2, v3, v2, vcc
	v_lshlrev_b32_e32 v2, 2, v2
	ds_write_b32 v2, v22
	v_sub_u32_e32 v2, v15, v37
	v_sub_u32_e32 v3, v21, v2
	v_add_u32_e32 v3, 13, v3
	v_cmp_eq_u32_e32 vcc, 1, v39
	s_nop 1
	v_cndmask_b32_e32 v2, v3, v2, vcc
	v_lshlrev_b32_e32 v2, 2, v2
	ds_write_b32 v2, v23
	v_sub_u32_e32 v2, v16, v37
	v_sub_u32_e32 v3, v21, v2
	v_add_u32_e32 v3, 14, v3
	v_cmp_eq_u32_e32 vcc, 1, v38
	s_nop 1
	v_cndmask_b32_e32 v2, v3, v2, vcc
	v_cmp_eq_u32_e32 vcc, 0, v0
	v_lshlrev_b32_e32 v2, 2, v2
	s_and_b64 s[0:1], vcc, s[22:23]
	ds_write_b32 v2, v1
	s_waitcnt lgkmcnt(0)
	s_barrier
	s_and_saveexec_b64 s[2:3], s[0:1]
	s_cbranch_execz .LBB3260_107
; %bb.106:
	v_mov_b32_e32 v1, 0
	v_mov_b32_e32 v0, v36
	v_lshl_add_u64 v[2:3], s[18:19], 0, v[0:1]
	v_mov_b32_e32 v0, v37
	v_lshl_add_u64 v[2:3], v[2:3], 0, v[0:1]
	global_store_dwordx2 v1, v[2:3], s[20:21]
.LBB3260_107:
	s_endpgm
	.section	.rodata,"a",@progbits
	.p2align	6, 0x0
	.amdhsa_kernel _ZN7rocprim17ROCPRIM_400000_NS6detail17trampoline_kernelINS0_14default_configENS1_25partition_config_selectorILNS1_17partition_subalgoE1EiNS0_10empty_typeEbEEZZNS1_14partition_implILS5_1ELb0ES3_jN6thrust23THRUST_200600_302600_NS6detail15normal_iteratorINSA_10device_ptrIiEEEEPS6_NSA_18transform_iteratorI7is_evenIiESF_NSA_11use_defaultESK_EENS0_5tupleIJNSA_16discard_iteratorISK_EESO_EEENSM_IJSG_SG_EEES6_PlJS6_EEE10hipError_tPvRmT3_T4_T5_T6_T7_T9_mT8_P12ihipStream_tbDpT10_ENKUlT_T0_E_clISt17integral_constantIbLb0EES1B_EEDaS16_S17_EUlS16_E_NS1_11comp_targetILNS1_3genE5ELNS1_11target_archE942ELNS1_3gpuE9ELNS1_3repE0EEENS1_30default_config_static_selectorELNS0_4arch9wavefront6targetE1EEEvT1_
		.amdhsa_group_segment_fixed_size 30728
		.amdhsa_private_segment_fixed_size 0
		.amdhsa_kernarg_size 144
		.amdhsa_user_sgpr_count 2
		.amdhsa_user_sgpr_dispatch_ptr 0
		.amdhsa_user_sgpr_queue_ptr 0
		.amdhsa_user_sgpr_kernarg_segment_ptr 1
		.amdhsa_user_sgpr_dispatch_id 0
		.amdhsa_user_sgpr_kernarg_preload_length 0
		.amdhsa_user_sgpr_kernarg_preload_offset 0
		.amdhsa_user_sgpr_private_segment_size 0
		.amdhsa_uses_dynamic_stack 0
		.amdhsa_enable_private_segment 0
		.amdhsa_system_sgpr_workgroup_id_x 1
		.amdhsa_system_sgpr_workgroup_id_y 0
		.amdhsa_system_sgpr_workgroup_id_z 0
		.amdhsa_system_sgpr_workgroup_info 0
		.amdhsa_system_vgpr_workitem_id 0
		.amdhsa_next_free_vgpr 64
		.amdhsa_next_free_sgpr 36
		.amdhsa_accum_offset 64
		.amdhsa_reserve_vcc 1
		.amdhsa_float_round_mode_32 0
		.amdhsa_float_round_mode_16_64 0
		.amdhsa_float_denorm_mode_32 3
		.amdhsa_float_denorm_mode_16_64 3
		.amdhsa_dx10_clamp 1
		.amdhsa_ieee_mode 1
		.amdhsa_fp16_overflow 0
		.amdhsa_tg_split 0
		.amdhsa_exception_fp_ieee_invalid_op 0
		.amdhsa_exception_fp_denorm_src 0
		.amdhsa_exception_fp_ieee_div_zero 0
		.amdhsa_exception_fp_ieee_overflow 0
		.amdhsa_exception_fp_ieee_underflow 0
		.amdhsa_exception_fp_ieee_inexact 0
		.amdhsa_exception_int_div_zero 0
	.end_amdhsa_kernel
	.section	.text._ZN7rocprim17ROCPRIM_400000_NS6detail17trampoline_kernelINS0_14default_configENS1_25partition_config_selectorILNS1_17partition_subalgoE1EiNS0_10empty_typeEbEEZZNS1_14partition_implILS5_1ELb0ES3_jN6thrust23THRUST_200600_302600_NS6detail15normal_iteratorINSA_10device_ptrIiEEEEPS6_NSA_18transform_iteratorI7is_evenIiESF_NSA_11use_defaultESK_EENS0_5tupleIJNSA_16discard_iteratorISK_EESO_EEENSM_IJSG_SG_EEES6_PlJS6_EEE10hipError_tPvRmT3_T4_T5_T6_T7_T9_mT8_P12ihipStream_tbDpT10_ENKUlT_T0_E_clISt17integral_constantIbLb0EES1B_EEDaS16_S17_EUlS16_E_NS1_11comp_targetILNS1_3genE5ELNS1_11target_archE942ELNS1_3gpuE9ELNS1_3repE0EEENS1_30default_config_static_selectorELNS0_4arch9wavefront6targetE1EEEvT1_,"axG",@progbits,_ZN7rocprim17ROCPRIM_400000_NS6detail17trampoline_kernelINS0_14default_configENS1_25partition_config_selectorILNS1_17partition_subalgoE1EiNS0_10empty_typeEbEEZZNS1_14partition_implILS5_1ELb0ES3_jN6thrust23THRUST_200600_302600_NS6detail15normal_iteratorINSA_10device_ptrIiEEEEPS6_NSA_18transform_iteratorI7is_evenIiESF_NSA_11use_defaultESK_EENS0_5tupleIJNSA_16discard_iteratorISK_EESO_EEENSM_IJSG_SG_EEES6_PlJS6_EEE10hipError_tPvRmT3_T4_T5_T6_T7_T9_mT8_P12ihipStream_tbDpT10_ENKUlT_T0_E_clISt17integral_constantIbLb0EES1B_EEDaS16_S17_EUlS16_E_NS1_11comp_targetILNS1_3genE5ELNS1_11target_archE942ELNS1_3gpuE9ELNS1_3repE0EEENS1_30default_config_static_selectorELNS0_4arch9wavefront6targetE1EEEvT1_,comdat
.Lfunc_end3260:
	.size	_ZN7rocprim17ROCPRIM_400000_NS6detail17trampoline_kernelINS0_14default_configENS1_25partition_config_selectorILNS1_17partition_subalgoE1EiNS0_10empty_typeEbEEZZNS1_14partition_implILS5_1ELb0ES3_jN6thrust23THRUST_200600_302600_NS6detail15normal_iteratorINSA_10device_ptrIiEEEEPS6_NSA_18transform_iteratorI7is_evenIiESF_NSA_11use_defaultESK_EENS0_5tupleIJNSA_16discard_iteratorISK_EESO_EEENSM_IJSG_SG_EEES6_PlJS6_EEE10hipError_tPvRmT3_T4_T5_T6_T7_T9_mT8_P12ihipStream_tbDpT10_ENKUlT_T0_E_clISt17integral_constantIbLb0EES1B_EEDaS16_S17_EUlS16_E_NS1_11comp_targetILNS1_3genE5ELNS1_11target_archE942ELNS1_3gpuE9ELNS1_3repE0EEENS1_30default_config_static_selectorELNS0_4arch9wavefront6targetE1EEEvT1_, .Lfunc_end3260-_ZN7rocprim17ROCPRIM_400000_NS6detail17trampoline_kernelINS0_14default_configENS1_25partition_config_selectorILNS1_17partition_subalgoE1EiNS0_10empty_typeEbEEZZNS1_14partition_implILS5_1ELb0ES3_jN6thrust23THRUST_200600_302600_NS6detail15normal_iteratorINSA_10device_ptrIiEEEEPS6_NSA_18transform_iteratorI7is_evenIiESF_NSA_11use_defaultESK_EENS0_5tupleIJNSA_16discard_iteratorISK_EESO_EEENSM_IJSG_SG_EEES6_PlJS6_EEE10hipError_tPvRmT3_T4_T5_T6_T7_T9_mT8_P12ihipStream_tbDpT10_ENKUlT_T0_E_clISt17integral_constantIbLb0EES1B_EEDaS16_S17_EUlS16_E_NS1_11comp_targetILNS1_3genE5ELNS1_11target_archE942ELNS1_3gpuE9ELNS1_3repE0EEENS1_30default_config_static_selectorELNS0_4arch9wavefront6targetE1EEEvT1_
                                        ; -- End function
	.section	.AMDGPU.csdata,"",@progbits
; Kernel info:
; codeLenInByte = 5828
; NumSgprs: 42
; NumVgprs: 64
; NumAgprs: 0
; TotalNumVgprs: 64
; ScratchSize: 0
; MemoryBound: 0
; FloatMode: 240
; IeeeMode: 1
; LDSByteSize: 30728 bytes/workgroup (compile time only)
; SGPRBlocks: 5
; VGPRBlocks: 7
; NumSGPRsForWavesPerEU: 42
; NumVGPRsForWavesPerEU: 64
; AccumOffset: 64
; Occupancy: 4
; WaveLimiterHint : 1
; COMPUTE_PGM_RSRC2:SCRATCH_EN: 0
; COMPUTE_PGM_RSRC2:USER_SGPR: 2
; COMPUTE_PGM_RSRC2:TRAP_HANDLER: 0
; COMPUTE_PGM_RSRC2:TGID_X_EN: 1
; COMPUTE_PGM_RSRC2:TGID_Y_EN: 0
; COMPUTE_PGM_RSRC2:TGID_Z_EN: 0
; COMPUTE_PGM_RSRC2:TIDIG_COMP_CNT: 0
; COMPUTE_PGM_RSRC3_GFX90A:ACCUM_OFFSET: 15
; COMPUTE_PGM_RSRC3_GFX90A:TG_SPLIT: 0
	.section	.text._ZN7rocprim17ROCPRIM_400000_NS6detail17trampoline_kernelINS0_14default_configENS1_25partition_config_selectorILNS1_17partition_subalgoE1EiNS0_10empty_typeEbEEZZNS1_14partition_implILS5_1ELb0ES3_jN6thrust23THRUST_200600_302600_NS6detail15normal_iteratorINSA_10device_ptrIiEEEEPS6_NSA_18transform_iteratorI7is_evenIiESF_NSA_11use_defaultESK_EENS0_5tupleIJNSA_16discard_iteratorISK_EESO_EEENSM_IJSG_SG_EEES6_PlJS6_EEE10hipError_tPvRmT3_T4_T5_T6_T7_T9_mT8_P12ihipStream_tbDpT10_ENKUlT_T0_E_clISt17integral_constantIbLb0EES1B_EEDaS16_S17_EUlS16_E_NS1_11comp_targetILNS1_3genE4ELNS1_11target_archE910ELNS1_3gpuE8ELNS1_3repE0EEENS1_30default_config_static_selectorELNS0_4arch9wavefront6targetE1EEEvT1_,"axG",@progbits,_ZN7rocprim17ROCPRIM_400000_NS6detail17trampoline_kernelINS0_14default_configENS1_25partition_config_selectorILNS1_17partition_subalgoE1EiNS0_10empty_typeEbEEZZNS1_14partition_implILS5_1ELb0ES3_jN6thrust23THRUST_200600_302600_NS6detail15normal_iteratorINSA_10device_ptrIiEEEEPS6_NSA_18transform_iteratorI7is_evenIiESF_NSA_11use_defaultESK_EENS0_5tupleIJNSA_16discard_iteratorISK_EESO_EEENSM_IJSG_SG_EEES6_PlJS6_EEE10hipError_tPvRmT3_T4_T5_T6_T7_T9_mT8_P12ihipStream_tbDpT10_ENKUlT_T0_E_clISt17integral_constantIbLb0EES1B_EEDaS16_S17_EUlS16_E_NS1_11comp_targetILNS1_3genE4ELNS1_11target_archE910ELNS1_3gpuE8ELNS1_3repE0EEENS1_30default_config_static_selectorELNS0_4arch9wavefront6targetE1EEEvT1_,comdat
	.protected	_ZN7rocprim17ROCPRIM_400000_NS6detail17trampoline_kernelINS0_14default_configENS1_25partition_config_selectorILNS1_17partition_subalgoE1EiNS0_10empty_typeEbEEZZNS1_14partition_implILS5_1ELb0ES3_jN6thrust23THRUST_200600_302600_NS6detail15normal_iteratorINSA_10device_ptrIiEEEEPS6_NSA_18transform_iteratorI7is_evenIiESF_NSA_11use_defaultESK_EENS0_5tupleIJNSA_16discard_iteratorISK_EESO_EEENSM_IJSG_SG_EEES6_PlJS6_EEE10hipError_tPvRmT3_T4_T5_T6_T7_T9_mT8_P12ihipStream_tbDpT10_ENKUlT_T0_E_clISt17integral_constantIbLb0EES1B_EEDaS16_S17_EUlS16_E_NS1_11comp_targetILNS1_3genE4ELNS1_11target_archE910ELNS1_3gpuE8ELNS1_3repE0EEENS1_30default_config_static_selectorELNS0_4arch9wavefront6targetE1EEEvT1_ ; -- Begin function _ZN7rocprim17ROCPRIM_400000_NS6detail17trampoline_kernelINS0_14default_configENS1_25partition_config_selectorILNS1_17partition_subalgoE1EiNS0_10empty_typeEbEEZZNS1_14partition_implILS5_1ELb0ES3_jN6thrust23THRUST_200600_302600_NS6detail15normal_iteratorINSA_10device_ptrIiEEEEPS6_NSA_18transform_iteratorI7is_evenIiESF_NSA_11use_defaultESK_EENS0_5tupleIJNSA_16discard_iteratorISK_EESO_EEENSM_IJSG_SG_EEES6_PlJS6_EEE10hipError_tPvRmT3_T4_T5_T6_T7_T9_mT8_P12ihipStream_tbDpT10_ENKUlT_T0_E_clISt17integral_constantIbLb0EES1B_EEDaS16_S17_EUlS16_E_NS1_11comp_targetILNS1_3genE4ELNS1_11target_archE910ELNS1_3gpuE8ELNS1_3repE0EEENS1_30default_config_static_selectorELNS0_4arch9wavefront6targetE1EEEvT1_
	.globl	_ZN7rocprim17ROCPRIM_400000_NS6detail17trampoline_kernelINS0_14default_configENS1_25partition_config_selectorILNS1_17partition_subalgoE1EiNS0_10empty_typeEbEEZZNS1_14partition_implILS5_1ELb0ES3_jN6thrust23THRUST_200600_302600_NS6detail15normal_iteratorINSA_10device_ptrIiEEEEPS6_NSA_18transform_iteratorI7is_evenIiESF_NSA_11use_defaultESK_EENS0_5tupleIJNSA_16discard_iteratorISK_EESO_EEENSM_IJSG_SG_EEES6_PlJS6_EEE10hipError_tPvRmT3_T4_T5_T6_T7_T9_mT8_P12ihipStream_tbDpT10_ENKUlT_T0_E_clISt17integral_constantIbLb0EES1B_EEDaS16_S17_EUlS16_E_NS1_11comp_targetILNS1_3genE4ELNS1_11target_archE910ELNS1_3gpuE8ELNS1_3repE0EEENS1_30default_config_static_selectorELNS0_4arch9wavefront6targetE1EEEvT1_
	.p2align	8
	.type	_ZN7rocprim17ROCPRIM_400000_NS6detail17trampoline_kernelINS0_14default_configENS1_25partition_config_selectorILNS1_17partition_subalgoE1EiNS0_10empty_typeEbEEZZNS1_14partition_implILS5_1ELb0ES3_jN6thrust23THRUST_200600_302600_NS6detail15normal_iteratorINSA_10device_ptrIiEEEEPS6_NSA_18transform_iteratorI7is_evenIiESF_NSA_11use_defaultESK_EENS0_5tupleIJNSA_16discard_iteratorISK_EESO_EEENSM_IJSG_SG_EEES6_PlJS6_EEE10hipError_tPvRmT3_T4_T5_T6_T7_T9_mT8_P12ihipStream_tbDpT10_ENKUlT_T0_E_clISt17integral_constantIbLb0EES1B_EEDaS16_S17_EUlS16_E_NS1_11comp_targetILNS1_3genE4ELNS1_11target_archE910ELNS1_3gpuE8ELNS1_3repE0EEENS1_30default_config_static_selectorELNS0_4arch9wavefront6targetE1EEEvT1_,@function
_ZN7rocprim17ROCPRIM_400000_NS6detail17trampoline_kernelINS0_14default_configENS1_25partition_config_selectorILNS1_17partition_subalgoE1EiNS0_10empty_typeEbEEZZNS1_14partition_implILS5_1ELb0ES3_jN6thrust23THRUST_200600_302600_NS6detail15normal_iteratorINSA_10device_ptrIiEEEEPS6_NSA_18transform_iteratorI7is_evenIiESF_NSA_11use_defaultESK_EENS0_5tupleIJNSA_16discard_iteratorISK_EESO_EEENSM_IJSG_SG_EEES6_PlJS6_EEE10hipError_tPvRmT3_T4_T5_T6_T7_T9_mT8_P12ihipStream_tbDpT10_ENKUlT_T0_E_clISt17integral_constantIbLb0EES1B_EEDaS16_S17_EUlS16_E_NS1_11comp_targetILNS1_3genE4ELNS1_11target_archE910ELNS1_3gpuE8ELNS1_3repE0EEENS1_30default_config_static_selectorELNS0_4arch9wavefront6targetE1EEEvT1_: ; @_ZN7rocprim17ROCPRIM_400000_NS6detail17trampoline_kernelINS0_14default_configENS1_25partition_config_selectorILNS1_17partition_subalgoE1EiNS0_10empty_typeEbEEZZNS1_14partition_implILS5_1ELb0ES3_jN6thrust23THRUST_200600_302600_NS6detail15normal_iteratorINSA_10device_ptrIiEEEEPS6_NSA_18transform_iteratorI7is_evenIiESF_NSA_11use_defaultESK_EENS0_5tupleIJNSA_16discard_iteratorISK_EESO_EEENSM_IJSG_SG_EEES6_PlJS6_EEE10hipError_tPvRmT3_T4_T5_T6_T7_T9_mT8_P12ihipStream_tbDpT10_ENKUlT_T0_E_clISt17integral_constantIbLb0EES1B_EEDaS16_S17_EUlS16_E_NS1_11comp_targetILNS1_3genE4ELNS1_11target_archE910ELNS1_3gpuE8ELNS1_3repE0EEENS1_30default_config_static_selectorELNS0_4arch9wavefront6targetE1EEEvT1_
; %bb.0:
	.section	.rodata,"a",@progbits
	.p2align	6, 0x0
	.amdhsa_kernel _ZN7rocprim17ROCPRIM_400000_NS6detail17trampoline_kernelINS0_14default_configENS1_25partition_config_selectorILNS1_17partition_subalgoE1EiNS0_10empty_typeEbEEZZNS1_14partition_implILS5_1ELb0ES3_jN6thrust23THRUST_200600_302600_NS6detail15normal_iteratorINSA_10device_ptrIiEEEEPS6_NSA_18transform_iteratorI7is_evenIiESF_NSA_11use_defaultESK_EENS0_5tupleIJNSA_16discard_iteratorISK_EESO_EEENSM_IJSG_SG_EEES6_PlJS6_EEE10hipError_tPvRmT3_T4_T5_T6_T7_T9_mT8_P12ihipStream_tbDpT10_ENKUlT_T0_E_clISt17integral_constantIbLb0EES1B_EEDaS16_S17_EUlS16_E_NS1_11comp_targetILNS1_3genE4ELNS1_11target_archE910ELNS1_3gpuE8ELNS1_3repE0EEENS1_30default_config_static_selectorELNS0_4arch9wavefront6targetE1EEEvT1_
		.amdhsa_group_segment_fixed_size 0
		.amdhsa_private_segment_fixed_size 0
		.amdhsa_kernarg_size 144
		.amdhsa_user_sgpr_count 2
		.amdhsa_user_sgpr_dispatch_ptr 0
		.amdhsa_user_sgpr_queue_ptr 0
		.amdhsa_user_sgpr_kernarg_segment_ptr 1
		.amdhsa_user_sgpr_dispatch_id 0
		.amdhsa_user_sgpr_kernarg_preload_length 0
		.amdhsa_user_sgpr_kernarg_preload_offset 0
		.amdhsa_user_sgpr_private_segment_size 0
		.amdhsa_uses_dynamic_stack 0
		.amdhsa_enable_private_segment 0
		.amdhsa_system_sgpr_workgroup_id_x 1
		.amdhsa_system_sgpr_workgroup_id_y 0
		.amdhsa_system_sgpr_workgroup_id_z 0
		.amdhsa_system_sgpr_workgroup_info 0
		.amdhsa_system_vgpr_workitem_id 0
		.amdhsa_next_free_vgpr 1
		.amdhsa_next_free_sgpr 0
		.amdhsa_accum_offset 4
		.amdhsa_reserve_vcc 0
		.amdhsa_float_round_mode_32 0
		.amdhsa_float_round_mode_16_64 0
		.amdhsa_float_denorm_mode_32 3
		.amdhsa_float_denorm_mode_16_64 3
		.amdhsa_dx10_clamp 1
		.amdhsa_ieee_mode 1
		.amdhsa_fp16_overflow 0
		.amdhsa_tg_split 0
		.amdhsa_exception_fp_ieee_invalid_op 0
		.amdhsa_exception_fp_denorm_src 0
		.amdhsa_exception_fp_ieee_div_zero 0
		.amdhsa_exception_fp_ieee_overflow 0
		.amdhsa_exception_fp_ieee_underflow 0
		.amdhsa_exception_fp_ieee_inexact 0
		.amdhsa_exception_int_div_zero 0
	.end_amdhsa_kernel
	.section	.text._ZN7rocprim17ROCPRIM_400000_NS6detail17trampoline_kernelINS0_14default_configENS1_25partition_config_selectorILNS1_17partition_subalgoE1EiNS0_10empty_typeEbEEZZNS1_14partition_implILS5_1ELb0ES3_jN6thrust23THRUST_200600_302600_NS6detail15normal_iteratorINSA_10device_ptrIiEEEEPS6_NSA_18transform_iteratorI7is_evenIiESF_NSA_11use_defaultESK_EENS0_5tupleIJNSA_16discard_iteratorISK_EESO_EEENSM_IJSG_SG_EEES6_PlJS6_EEE10hipError_tPvRmT3_T4_T5_T6_T7_T9_mT8_P12ihipStream_tbDpT10_ENKUlT_T0_E_clISt17integral_constantIbLb0EES1B_EEDaS16_S17_EUlS16_E_NS1_11comp_targetILNS1_3genE4ELNS1_11target_archE910ELNS1_3gpuE8ELNS1_3repE0EEENS1_30default_config_static_selectorELNS0_4arch9wavefront6targetE1EEEvT1_,"axG",@progbits,_ZN7rocprim17ROCPRIM_400000_NS6detail17trampoline_kernelINS0_14default_configENS1_25partition_config_selectorILNS1_17partition_subalgoE1EiNS0_10empty_typeEbEEZZNS1_14partition_implILS5_1ELb0ES3_jN6thrust23THRUST_200600_302600_NS6detail15normal_iteratorINSA_10device_ptrIiEEEEPS6_NSA_18transform_iteratorI7is_evenIiESF_NSA_11use_defaultESK_EENS0_5tupleIJNSA_16discard_iteratorISK_EESO_EEENSM_IJSG_SG_EEES6_PlJS6_EEE10hipError_tPvRmT3_T4_T5_T6_T7_T9_mT8_P12ihipStream_tbDpT10_ENKUlT_T0_E_clISt17integral_constantIbLb0EES1B_EEDaS16_S17_EUlS16_E_NS1_11comp_targetILNS1_3genE4ELNS1_11target_archE910ELNS1_3gpuE8ELNS1_3repE0EEENS1_30default_config_static_selectorELNS0_4arch9wavefront6targetE1EEEvT1_,comdat
.Lfunc_end3261:
	.size	_ZN7rocprim17ROCPRIM_400000_NS6detail17trampoline_kernelINS0_14default_configENS1_25partition_config_selectorILNS1_17partition_subalgoE1EiNS0_10empty_typeEbEEZZNS1_14partition_implILS5_1ELb0ES3_jN6thrust23THRUST_200600_302600_NS6detail15normal_iteratorINSA_10device_ptrIiEEEEPS6_NSA_18transform_iteratorI7is_evenIiESF_NSA_11use_defaultESK_EENS0_5tupleIJNSA_16discard_iteratorISK_EESO_EEENSM_IJSG_SG_EEES6_PlJS6_EEE10hipError_tPvRmT3_T4_T5_T6_T7_T9_mT8_P12ihipStream_tbDpT10_ENKUlT_T0_E_clISt17integral_constantIbLb0EES1B_EEDaS16_S17_EUlS16_E_NS1_11comp_targetILNS1_3genE4ELNS1_11target_archE910ELNS1_3gpuE8ELNS1_3repE0EEENS1_30default_config_static_selectorELNS0_4arch9wavefront6targetE1EEEvT1_, .Lfunc_end3261-_ZN7rocprim17ROCPRIM_400000_NS6detail17trampoline_kernelINS0_14default_configENS1_25partition_config_selectorILNS1_17partition_subalgoE1EiNS0_10empty_typeEbEEZZNS1_14partition_implILS5_1ELb0ES3_jN6thrust23THRUST_200600_302600_NS6detail15normal_iteratorINSA_10device_ptrIiEEEEPS6_NSA_18transform_iteratorI7is_evenIiESF_NSA_11use_defaultESK_EENS0_5tupleIJNSA_16discard_iteratorISK_EESO_EEENSM_IJSG_SG_EEES6_PlJS6_EEE10hipError_tPvRmT3_T4_T5_T6_T7_T9_mT8_P12ihipStream_tbDpT10_ENKUlT_T0_E_clISt17integral_constantIbLb0EES1B_EEDaS16_S17_EUlS16_E_NS1_11comp_targetILNS1_3genE4ELNS1_11target_archE910ELNS1_3gpuE8ELNS1_3repE0EEENS1_30default_config_static_selectorELNS0_4arch9wavefront6targetE1EEEvT1_
                                        ; -- End function
	.section	.AMDGPU.csdata,"",@progbits
; Kernel info:
; codeLenInByte = 0
; NumSgprs: 6
; NumVgprs: 0
; NumAgprs: 0
; TotalNumVgprs: 0
; ScratchSize: 0
; MemoryBound: 0
; FloatMode: 240
; IeeeMode: 1
; LDSByteSize: 0 bytes/workgroup (compile time only)
; SGPRBlocks: 0
; VGPRBlocks: 0
; NumSGPRsForWavesPerEU: 6
; NumVGPRsForWavesPerEU: 1
; AccumOffset: 4
; Occupancy: 8
; WaveLimiterHint : 0
; COMPUTE_PGM_RSRC2:SCRATCH_EN: 0
; COMPUTE_PGM_RSRC2:USER_SGPR: 2
; COMPUTE_PGM_RSRC2:TRAP_HANDLER: 0
; COMPUTE_PGM_RSRC2:TGID_X_EN: 1
; COMPUTE_PGM_RSRC2:TGID_Y_EN: 0
; COMPUTE_PGM_RSRC2:TGID_Z_EN: 0
; COMPUTE_PGM_RSRC2:TIDIG_COMP_CNT: 0
; COMPUTE_PGM_RSRC3_GFX90A:ACCUM_OFFSET: 0
; COMPUTE_PGM_RSRC3_GFX90A:TG_SPLIT: 0
	.section	.text._ZN7rocprim17ROCPRIM_400000_NS6detail17trampoline_kernelINS0_14default_configENS1_25partition_config_selectorILNS1_17partition_subalgoE1EiNS0_10empty_typeEbEEZZNS1_14partition_implILS5_1ELb0ES3_jN6thrust23THRUST_200600_302600_NS6detail15normal_iteratorINSA_10device_ptrIiEEEEPS6_NSA_18transform_iteratorI7is_evenIiESF_NSA_11use_defaultESK_EENS0_5tupleIJNSA_16discard_iteratorISK_EESO_EEENSM_IJSG_SG_EEES6_PlJS6_EEE10hipError_tPvRmT3_T4_T5_T6_T7_T9_mT8_P12ihipStream_tbDpT10_ENKUlT_T0_E_clISt17integral_constantIbLb0EES1B_EEDaS16_S17_EUlS16_E_NS1_11comp_targetILNS1_3genE3ELNS1_11target_archE908ELNS1_3gpuE7ELNS1_3repE0EEENS1_30default_config_static_selectorELNS0_4arch9wavefront6targetE1EEEvT1_,"axG",@progbits,_ZN7rocprim17ROCPRIM_400000_NS6detail17trampoline_kernelINS0_14default_configENS1_25partition_config_selectorILNS1_17partition_subalgoE1EiNS0_10empty_typeEbEEZZNS1_14partition_implILS5_1ELb0ES3_jN6thrust23THRUST_200600_302600_NS6detail15normal_iteratorINSA_10device_ptrIiEEEEPS6_NSA_18transform_iteratorI7is_evenIiESF_NSA_11use_defaultESK_EENS0_5tupleIJNSA_16discard_iteratorISK_EESO_EEENSM_IJSG_SG_EEES6_PlJS6_EEE10hipError_tPvRmT3_T4_T5_T6_T7_T9_mT8_P12ihipStream_tbDpT10_ENKUlT_T0_E_clISt17integral_constantIbLb0EES1B_EEDaS16_S17_EUlS16_E_NS1_11comp_targetILNS1_3genE3ELNS1_11target_archE908ELNS1_3gpuE7ELNS1_3repE0EEENS1_30default_config_static_selectorELNS0_4arch9wavefront6targetE1EEEvT1_,comdat
	.protected	_ZN7rocprim17ROCPRIM_400000_NS6detail17trampoline_kernelINS0_14default_configENS1_25partition_config_selectorILNS1_17partition_subalgoE1EiNS0_10empty_typeEbEEZZNS1_14partition_implILS5_1ELb0ES3_jN6thrust23THRUST_200600_302600_NS6detail15normal_iteratorINSA_10device_ptrIiEEEEPS6_NSA_18transform_iteratorI7is_evenIiESF_NSA_11use_defaultESK_EENS0_5tupleIJNSA_16discard_iteratorISK_EESO_EEENSM_IJSG_SG_EEES6_PlJS6_EEE10hipError_tPvRmT3_T4_T5_T6_T7_T9_mT8_P12ihipStream_tbDpT10_ENKUlT_T0_E_clISt17integral_constantIbLb0EES1B_EEDaS16_S17_EUlS16_E_NS1_11comp_targetILNS1_3genE3ELNS1_11target_archE908ELNS1_3gpuE7ELNS1_3repE0EEENS1_30default_config_static_selectorELNS0_4arch9wavefront6targetE1EEEvT1_ ; -- Begin function _ZN7rocprim17ROCPRIM_400000_NS6detail17trampoline_kernelINS0_14default_configENS1_25partition_config_selectorILNS1_17partition_subalgoE1EiNS0_10empty_typeEbEEZZNS1_14partition_implILS5_1ELb0ES3_jN6thrust23THRUST_200600_302600_NS6detail15normal_iteratorINSA_10device_ptrIiEEEEPS6_NSA_18transform_iteratorI7is_evenIiESF_NSA_11use_defaultESK_EENS0_5tupleIJNSA_16discard_iteratorISK_EESO_EEENSM_IJSG_SG_EEES6_PlJS6_EEE10hipError_tPvRmT3_T4_T5_T6_T7_T9_mT8_P12ihipStream_tbDpT10_ENKUlT_T0_E_clISt17integral_constantIbLb0EES1B_EEDaS16_S17_EUlS16_E_NS1_11comp_targetILNS1_3genE3ELNS1_11target_archE908ELNS1_3gpuE7ELNS1_3repE0EEENS1_30default_config_static_selectorELNS0_4arch9wavefront6targetE1EEEvT1_
	.globl	_ZN7rocprim17ROCPRIM_400000_NS6detail17trampoline_kernelINS0_14default_configENS1_25partition_config_selectorILNS1_17partition_subalgoE1EiNS0_10empty_typeEbEEZZNS1_14partition_implILS5_1ELb0ES3_jN6thrust23THRUST_200600_302600_NS6detail15normal_iteratorINSA_10device_ptrIiEEEEPS6_NSA_18transform_iteratorI7is_evenIiESF_NSA_11use_defaultESK_EENS0_5tupleIJNSA_16discard_iteratorISK_EESO_EEENSM_IJSG_SG_EEES6_PlJS6_EEE10hipError_tPvRmT3_T4_T5_T6_T7_T9_mT8_P12ihipStream_tbDpT10_ENKUlT_T0_E_clISt17integral_constantIbLb0EES1B_EEDaS16_S17_EUlS16_E_NS1_11comp_targetILNS1_3genE3ELNS1_11target_archE908ELNS1_3gpuE7ELNS1_3repE0EEENS1_30default_config_static_selectorELNS0_4arch9wavefront6targetE1EEEvT1_
	.p2align	8
	.type	_ZN7rocprim17ROCPRIM_400000_NS6detail17trampoline_kernelINS0_14default_configENS1_25partition_config_selectorILNS1_17partition_subalgoE1EiNS0_10empty_typeEbEEZZNS1_14partition_implILS5_1ELb0ES3_jN6thrust23THRUST_200600_302600_NS6detail15normal_iteratorINSA_10device_ptrIiEEEEPS6_NSA_18transform_iteratorI7is_evenIiESF_NSA_11use_defaultESK_EENS0_5tupleIJNSA_16discard_iteratorISK_EESO_EEENSM_IJSG_SG_EEES6_PlJS6_EEE10hipError_tPvRmT3_T4_T5_T6_T7_T9_mT8_P12ihipStream_tbDpT10_ENKUlT_T0_E_clISt17integral_constantIbLb0EES1B_EEDaS16_S17_EUlS16_E_NS1_11comp_targetILNS1_3genE3ELNS1_11target_archE908ELNS1_3gpuE7ELNS1_3repE0EEENS1_30default_config_static_selectorELNS0_4arch9wavefront6targetE1EEEvT1_,@function
_ZN7rocprim17ROCPRIM_400000_NS6detail17trampoline_kernelINS0_14default_configENS1_25partition_config_selectorILNS1_17partition_subalgoE1EiNS0_10empty_typeEbEEZZNS1_14partition_implILS5_1ELb0ES3_jN6thrust23THRUST_200600_302600_NS6detail15normal_iteratorINSA_10device_ptrIiEEEEPS6_NSA_18transform_iteratorI7is_evenIiESF_NSA_11use_defaultESK_EENS0_5tupleIJNSA_16discard_iteratorISK_EESO_EEENSM_IJSG_SG_EEES6_PlJS6_EEE10hipError_tPvRmT3_T4_T5_T6_T7_T9_mT8_P12ihipStream_tbDpT10_ENKUlT_T0_E_clISt17integral_constantIbLb0EES1B_EEDaS16_S17_EUlS16_E_NS1_11comp_targetILNS1_3genE3ELNS1_11target_archE908ELNS1_3gpuE7ELNS1_3repE0EEENS1_30default_config_static_selectorELNS0_4arch9wavefront6targetE1EEEvT1_: ; @_ZN7rocprim17ROCPRIM_400000_NS6detail17trampoline_kernelINS0_14default_configENS1_25partition_config_selectorILNS1_17partition_subalgoE1EiNS0_10empty_typeEbEEZZNS1_14partition_implILS5_1ELb0ES3_jN6thrust23THRUST_200600_302600_NS6detail15normal_iteratorINSA_10device_ptrIiEEEEPS6_NSA_18transform_iteratorI7is_evenIiESF_NSA_11use_defaultESK_EENS0_5tupleIJNSA_16discard_iteratorISK_EESO_EEENSM_IJSG_SG_EEES6_PlJS6_EEE10hipError_tPvRmT3_T4_T5_T6_T7_T9_mT8_P12ihipStream_tbDpT10_ENKUlT_T0_E_clISt17integral_constantIbLb0EES1B_EEDaS16_S17_EUlS16_E_NS1_11comp_targetILNS1_3genE3ELNS1_11target_archE908ELNS1_3gpuE7ELNS1_3repE0EEENS1_30default_config_static_selectorELNS0_4arch9wavefront6targetE1EEEvT1_
; %bb.0:
	.section	.rodata,"a",@progbits
	.p2align	6, 0x0
	.amdhsa_kernel _ZN7rocprim17ROCPRIM_400000_NS6detail17trampoline_kernelINS0_14default_configENS1_25partition_config_selectorILNS1_17partition_subalgoE1EiNS0_10empty_typeEbEEZZNS1_14partition_implILS5_1ELb0ES3_jN6thrust23THRUST_200600_302600_NS6detail15normal_iteratorINSA_10device_ptrIiEEEEPS6_NSA_18transform_iteratorI7is_evenIiESF_NSA_11use_defaultESK_EENS0_5tupleIJNSA_16discard_iteratorISK_EESO_EEENSM_IJSG_SG_EEES6_PlJS6_EEE10hipError_tPvRmT3_T4_T5_T6_T7_T9_mT8_P12ihipStream_tbDpT10_ENKUlT_T0_E_clISt17integral_constantIbLb0EES1B_EEDaS16_S17_EUlS16_E_NS1_11comp_targetILNS1_3genE3ELNS1_11target_archE908ELNS1_3gpuE7ELNS1_3repE0EEENS1_30default_config_static_selectorELNS0_4arch9wavefront6targetE1EEEvT1_
		.amdhsa_group_segment_fixed_size 0
		.amdhsa_private_segment_fixed_size 0
		.amdhsa_kernarg_size 144
		.amdhsa_user_sgpr_count 2
		.amdhsa_user_sgpr_dispatch_ptr 0
		.amdhsa_user_sgpr_queue_ptr 0
		.amdhsa_user_sgpr_kernarg_segment_ptr 1
		.amdhsa_user_sgpr_dispatch_id 0
		.amdhsa_user_sgpr_kernarg_preload_length 0
		.amdhsa_user_sgpr_kernarg_preload_offset 0
		.amdhsa_user_sgpr_private_segment_size 0
		.amdhsa_uses_dynamic_stack 0
		.amdhsa_enable_private_segment 0
		.amdhsa_system_sgpr_workgroup_id_x 1
		.amdhsa_system_sgpr_workgroup_id_y 0
		.amdhsa_system_sgpr_workgroup_id_z 0
		.amdhsa_system_sgpr_workgroup_info 0
		.amdhsa_system_vgpr_workitem_id 0
		.amdhsa_next_free_vgpr 1
		.amdhsa_next_free_sgpr 0
		.amdhsa_accum_offset 4
		.amdhsa_reserve_vcc 0
		.amdhsa_float_round_mode_32 0
		.amdhsa_float_round_mode_16_64 0
		.amdhsa_float_denorm_mode_32 3
		.amdhsa_float_denorm_mode_16_64 3
		.amdhsa_dx10_clamp 1
		.amdhsa_ieee_mode 1
		.amdhsa_fp16_overflow 0
		.amdhsa_tg_split 0
		.amdhsa_exception_fp_ieee_invalid_op 0
		.amdhsa_exception_fp_denorm_src 0
		.amdhsa_exception_fp_ieee_div_zero 0
		.amdhsa_exception_fp_ieee_overflow 0
		.amdhsa_exception_fp_ieee_underflow 0
		.amdhsa_exception_fp_ieee_inexact 0
		.amdhsa_exception_int_div_zero 0
	.end_amdhsa_kernel
	.section	.text._ZN7rocprim17ROCPRIM_400000_NS6detail17trampoline_kernelINS0_14default_configENS1_25partition_config_selectorILNS1_17partition_subalgoE1EiNS0_10empty_typeEbEEZZNS1_14partition_implILS5_1ELb0ES3_jN6thrust23THRUST_200600_302600_NS6detail15normal_iteratorINSA_10device_ptrIiEEEEPS6_NSA_18transform_iteratorI7is_evenIiESF_NSA_11use_defaultESK_EENS0_5tupleIJNSA_16discard_iteratorISK_EESO_EEENSM_IJSG_SG_EEES6_PlJS6_EEE10hipError_tPvRmT3_T4_T5_T6_T7_T9_mT8_P12ihipStream_tbDpT10_ENKUlT_T0_E_clISt17integral_constantIbLb0EES1B_EEDaS16_S17_EUlS16_E_NS1_11comp_targetILNS1_3genE3ELNS1_11target_archE908ELNS1_3gpuE7ELNS1_3repE0EEENS1_30default_config_static_selectorELNS0_4arch9wavefront6targetE1EEEvT1_,"axG",@progbits,_ZN7rocprim17ROCPRIM_400000_NS6detail17trampoline_kernelINS0_14default_configENS1_25partition_config_selectorILNS1_17partition_subalgoE1EiNS0_10empty_typeEbEEZZNS1_14partition_implILS5_1ELb0ES3_jN6thrust23THRUST_200600_302600_NS6detail15normal_iteratorINSA_10device_ptrIiEEEEPS6_NSA_18transform_iteratorI7is_evenIiESF_NSA_11use_defaultESK_EENS0_5tupleIJNSA_16discard_iteratorISK_EESO_EEENSM_IJSG_SG_EEES6_PlJS6_EEE10hipError_tPvRmT3_T4_T5_T6_T7_T9_mT8_P12ihipStream_tbDpT10_ENKUlT_T0_E_clISt17integral_constantIbLb0EES1B_EEDaS16_S17_EUlS16_E_NS1_11comp_targetILNS1_3genE3ELNS1_11target_archE908ELNS1_3gpuE7ELNS1_3repE0EEENS1_30default_config_static_selectorELNS0_4arch9wavefront6targetE1EEEvT1_,comdat
.Lfunc_end3262:
	.size	_ZN7rocprim17ROCPRIM_400000_NS6detail17trampoline_kernelINS0_14default_configENS1_25partition_config_selectorILNS1_17partition_subalgoE1EiNS0_10empty_typeEbEEZZNS1_14partition_implILS5_1ELb0ES3_jN6thrust23THRUST_200600_302600_NS6detail15normal_iteratorINSA_10device_ptrIiEEEEPS6_NSA_18transform_iteratorI7is_evenIiESF_NSA_11use_defaultESK_EENS0_5tupleIJNSA_16discard_iteratorISK_EESO_EEENSM_IJSG_SG_EEES6_PlJS6_EEE10hipError_tPvRmT3_T4_T5_T6_T7_T9_mT8_P12ihipStream_tbDpT10_ENKUlT_T0_E_clISt17integral_constantIbLb0EES1B_EEDaS16_S17_EUlS16_E_NS1_11comp_targetILNS1_3genE3ELNS1_11target_archE908ELNS1_3gpuE7ELNS1_3repE0EEENS1_30default_config_static_selectorELNS0_4arch9wavefront6targetE1EEEvT1_, .Lfunc_end3262-_ZN7rocprim17ROCPRIM_400000_NS6detail17trampoline_kernelINS0_14default_configENS1_25partition_config_selectorILNS1_17partition_subalgoE1EiNS0_10empty_typeEbEEZZNS1_14partition_implILS5_1ELb0ES3_jN6thrust23THRUST_200600_302600_NS6detail15normal_iteratorINSA_10device_ptrIiEEEEPS6_NSA_18transform_iteratorI7is_evenIiESF_NSA_11use_defaultESK_EENS0_5tupleIJNSA_16discard_iteratorISK_EESO_EEENSM_IJSG_SG_EEES6_PlJS6_EEE10hipError_tPvRmT3_T4_T5_T6_T7_T9_mT8_P12ihipStream_tbDpT10_ENKUlT_T0_E_clISt17integral_constantIbLb0EES1B_EEDaS16_S17_EUlS16_E_NS1_11comp_targetILNS1_3genE3ELNS1_11target_archE908ELNS1_3gpuE7ELNS1_3repE0EEENS1_30default_config_static_selectorELNS0_4arch9wavefront6targetE1EEEvT1_
                                        ; -- End function
	.section	.AMDGPU.csdata,"",@progbits
; Kernel info:
; codeLenInByte = 0
; NumSgprs: 6
; NumVgprs: 0
; NumAgprs: 0
; TotalNumVgprs: 0
; ScratchSize: 0
; MemoryBound: 0
; FloatMode: 240
; IeeeMode: 1
; LDSByteSize: 0 bytes/workgroup (compile time only)
; SGPRBlocks: 0
; VGPRBlocks: 0
; NumSGPRsForWavesPerEU: 6
; NumVGPRsForWavesPerEU: 1
; AccumOffset: 4
; Occupancy: 8
; WaveLimiterHint : 0
; COMPUTE_PGM_RSRC2:SCRATCH_EN: 0
; COMPUTE_PGM_RSRC2:USER_SGPR: 2
; COMPUTE_PGM_RSRC2:TRAP_HANDLER: 0
; COMPUTE_PGM_RSRC2:TGID_X_EN: 1
; COMPUTE_PGM_RSRC2:TGID_Y_EN: 0
; COMPUTE_PGM_RSRC2:TGID_Z_EN: 0
; COMPUTE_PGM_RSRC2:TIDIG_COMP_CNT: 0
; COMPUTE_PGM_RSRC3_GFX90A:ACCUM_OFFSET: 0
; COMPUTE_PGM_RSRC3_GFX90A:TG_SPLIT: 0
	.section	.text._ZN7rocprim17ROCPRIM_400000_NS6detail17trampoline_kernelINS0_14default_configENS1_25partition_config_selectorILNS1_17partition_subalgoE1EiNS0_10empty_typeEbEEZZNS1_14partition_implILS5_1ELb0ES3_jN6thrust23THRUST_200600_302600_NS6detail15normal_iteratorINSA_10device_ptrIiEEEEPS6_NSA_18transform_iteratorI7is_evenIiESF_NSA_11use_defaultESK_EENS0_5tupleIJNSA_16discard_iteratorISK_EESO_EEENSM_IJSG_SG_EEES6_PlJS6_EEE10hipError_tPvRmT3_T4_T5_T6_T7_T9_mT8_P12ihipStream_tbDpT10_ENKUlT_T0_E_clISt17integral_constantIbLb0EES1B_EEDaS16_S17_EUlS16_E_NS1_11comp_targetILNS1_3genE2ELNS1_11target_archE906ELNS1_3gpuE6ELNS1_3repE0EEENS1_30default_config_static_selectorELNS0_4arch9wavefront6targetE1EEEvT1_,"axG",@progbits,_ZN7rocprim17ROCPRIM_400000_NS6detail17trampoline_kernelINS0_14default_configENS1_25partition_config_selectorILNS1_17partition_subalgoE1EiNS0_10empty_typeEbEEZZNS1_14partition_implILS5_1ELb0ES3_jN6thrust23THRUST_200600_302600_NS6detail15normal_iteratorINSA_10device_ptrIiEEEEPS6_NSA_18transform_iteratorI7is_evenIiESF_NSA_11use_defaultESK_EENS0_5tupleIJNSA_16discard_iteratorISK_EESO_EEENSM_IJSG_SG_EEES6_PlJS6_EEE10hipError_tPvRmT3_T4_T5_T6_T7_T9_mT8_P12ihipStream_tbDpT10_ENKUlT_T0_E_clISt17integral_constantIbLb0EES1B_EEDaS16_S17_EUlS16_E_NS1_11comp_targetILNS1_3genE2ELNS1_11target_archE906ELNS1_3gpuE6ELNS1_3repE0EEENS1_30default_config_static_selectorELNS0_4arch9wavefront6targetE1EEEvT1_,comdat
	.protected	_ZN7rocprim17ROCPRIM_400000_NS6detail17trampoline_kernelINS0_14default_configENS1_25partition_config_selectorILNS1_17partition_subalgoE1EiNS0_10empty_typeEbEEZZNS1_14partition_implILS5_1ELb0ES3_jN6thrust23THRUST_200600_302600_NS6detail15normal_iteratorINSA_10device_ptrIiEEEEPS6_NSA_18transform_iteratorI7is_evenIiESF_NSA_11use_defaultESK_EENS0_5tupleIJNSA_16discard_iteratorISK_EESO_EEENSM_IJSG_SG_EEES6_PlJS6_EEE10hipError_tPvRmT3_T4_T5_T6_T7_T9_mT8_P12ihipStream_tbDpT10_ENKUlT_T0_E_clISt17integral_constantIbLb0EES1B_EEDaS16_S17_EUlS16_E_NS1_11comp_targetILNS1_3genE2ELNS1_11target_archE906ELNS1_3gpuE6ELNS1_3repE0EEENS1_30default_config_static_selectorELNS0_4arch9wavefront6targetE1EEEvT1_ ; -- Begin function _ZN7rocprim17ROCPRIM_400000_NS6detail17trampoline_kernelINS0_14default_configENS1_25partition_config_selectorILNS1_17partition_subalgoE1EiNS0_10empty_typeEbEEZZNS1_14partition_implILS5_1ELb0ES3_jN6thrust23THRUST_200600_302600_NS6detail15normal_iteratorINSA_10device_ptrIiEEEEPS6_NSA_18transform_iteratorI7is_evenIiESF_NSA_11use_defaultESK_EENS0_5tupleIJNSA_16discard_iteratorISK_EESO_EEENSM_IJSG_SG_EEES6_PlJS6_EEE10hipError_tPvRmT3_T4_T5_T6_T7_T9_mT8_P12ihipStream_tbDpT10_ENKUlT_T0_E_clISt17integral_constantIbLb0EES1B_EEDaS16_S17_EUlS16_E_NS1_11comp_targetILNS1_3genE2ELNS1_11target_archE906ELNS1_3gpuE6ELNS1_3repE0EEENS1_30default_config_static_selectorELNS0_4arch9wavefront6targetE1EEEvT1_
	.globl	_ZN7rocprim17ROCPRIM_400000_NS6detail17trampoline_kernelINS0_14default_configENS1_25partition_config_selectorILNS1_17partition_subalgoE1EiNS0_10empty_typeEbEEZZNS1_14partition_implILS5_1ELb0ES3_jN6thrust23THRUST_200600_302600_NS6detail15normal_iteratorINSA_10device_ptrIiEEEEPS6_NSA_18transform_iteratorI7is_evenIiESF_NSA_11use_defaultESK_EENS0_5tupleIJNSA_16discard_iteratorISK_EESO_EEENSM_IJSG_SG_EEES6_PlJS6_EEE10hipError_tPvRmT3_T4_T5_T6_T7_T9_mT8_P12ihipStream_tbDpT10_ENKUlT_T0_E_clISt17integral_constantIbLb0EES1B_EEDaS16_S17_EUlS16_E_NS1_11comp_targetILNS1_3genE2ELNS1_11target_archE906ELNS1_3gpuE6ELNS1_3repE0EEENS1_30default_config_static_selectorELNS0_4arch9wavefront6targetE1EEEvT1_
	.p2align	8
	.type	_ZN7rocprim17ROCPRIM_400000_NS6detail17trampoline_kernelINS0_14default_configENS1_25partition_config_selectorILNS1_17partition_subalgoE1EiNS0_10empty_typeEbEEZZNS1_14partition_implILS5_1ELb0ES3_jN6thrust23THRUST_200600_302600_NS6detail15normal_iteratorINSA_10device_ptrIiEEEEPS6_NSA_18transform_iteratorI7is_evenIiESF_NSA_11use_defaultESK_EENS0_5tupleIJNSA_16discard_iteratorISK_EESO_EEENSM_IJSG_SG_EEES6_PlJS6_EEE10hipError_tPvRmT3_T4_T5_T6_T7_T9_mT8_P12ihipStream_tbDpT10_ENKUlT_T0_E_clISt17integral_constantIbLb0EES1B_EEDaS16_S17_EUlS16_E_NS1_11comp_targetILNS1_3genE2ELNS1_11target_archE906ELNS1_3gpuE6ELNS1_3repE0EEENS1_30default_config_static_selectorELNS0_4arch9wavefront6targetE1EEEvT1_,@function
_ZN7rocprim17ROCPRIM_400000_NS6detail17trampoline_kernelINS0_14default_configENS1_25partition_config_selectorILNS1_17partition_subalgoE1EiNS0_10empty_typeEbEEZZNS1_14partition_implILS5_1ELb0ES3_jN6thrust23THRUST_200600_302600_NS6detail15normal_iteratorINSA_10device_ptrIiEEEEPS6_NSA_18transform_iteratorI7is_evenIiESF_NSA_11use_defaultESK_EENS0_5tupleIJNSA_16discard_iteratorISK_EESO_EEENSM_IJSG_SG_EEES6_PlJS6_EEE10hipError_tPvRmT3_T4_T5_T6_T7_T9_mT8_P12ihipStream_tbDpT10_ENKUlT_T0_E_clISt17integral_constantIbLb0EES1B_EEDaS16_S17_EUlS16_E_NS1_11comp_targetILNS1_3genE2ELNS1_11target_archE906ELNS1_3gpuE6ELNS1_3repE0EEENS1_30default_config_static_selectorELNS0_4arch9wavefront6targetE1EEEvT1_: ; @_ZN7rocprim17ROCPRIM_400000_NS6detail17trampoline_kernelINS0_14default_configENS1_25partition_config_selectorILNS1_17partition_subalgoE1EiNS0_10empty_typeEbEEZZNS1_14partition_implILS5_1ELb0ES3_jN6thrust23THRUST_200600_302600_NS6detail15normal_iteratorINSA_10device_ptrIiEEEEPS6_NSA_18transform_iteratorI7is_evenIiESF_NSA_11use_defaultESK_EENS0_5tupleIJNSA_16discard_iteratorISK_EESO_EEENSM_IJSG_SG_EEES6_PlJS6_EEE10hipError_tPvRmT3_T4_T5_T6_T7_T9_mT8_P12ihipStream_tbDpT10_ENKUlT_T0_E_clISt17integral_constantIbLb0EES1B_EEDaS16_S17_EUlS16_E_NS1_11comp_targetILNS1_3genE2ELNS1_11target_archE906ELNS1_3gpuE6ELNS1_3repE0EEENS1_30default_config_static_selectorELNS0_4arch9wavefront6targetE1EEEvT1_
; %bb.0:
	.section	.rodata,"a",@progbits
	.p2align	6, 0x0
	.amdhsa_kernel _ZN7rocprim17ROCPRIM_400000_NS6detail17trampoline_kernelINS0_14default_configENS1_25partition_config_selectorILNS1_17partition_subalgoE1EiNS0_10empty_typeEbEEZZNS1_14partition_implILS5_1ELb0ES3_jN6thrust23THRUST_200600_302600_NS6detail15normal_iteratorINSA_10device_ptrIiEEEEPS6_NSA_18transform_iteratorI7is_evenIiESF_NSA_11use_defaultESK_EENS0_5tupleIJNSA_16discard_iteratorISK_EESO_EEENSM_IJSG_SG_EEES6_PlJS6_EEE10hipError_tPvRmT3_T4_T5_T6_T7_T9_mT8_P12ihipStream_tbDpT10_ENKUlT_T0_E_clISt17integral_constantIbLb0EES1B_EEDaS16_S17_EUlS16_E_NS1_11comp_targetILNS1_3genE2ELNS1_11target_archE906ELNS1_3gpuE6ELNS1_3repE0EEENS1_30default_config_static_selectorELNS0_4arch9wavefront6targetE1EEEvT1_
		.amdhsa_group_segment_fixed_size 0
		.amdhsa_private_segment_fixed_size 0
		.amdhsa_kernarg_size 144
		.amdhsa_user_sgpr_count 2
		.amdhsa_user_sgpr_dispatch_ptr 0
		.amdhsa_user_sgpr_queue_ptr 0
		.amdhsa_user_sgpr_kernarg_segment_ptr 1
		.amdhsa_user_sgpr_dispatch_id 0
		.amdhsa_user_sgpr_kernarg_preload_length 0
		.amdhsa_user_sgpr_kernarg_preload_offset 0
		.amdhsa_user_sgpr_private_segment_size 0
		.amdhsa_uses_dynamic_stack 0
		.amdhsa_enable_private_segment 0
		.amdhsa_system_sgpr_workgroup_id_x 1
		.amdhsa_system_sgpr_workgroup_id_y 0
		.amdhsa_system_sgpr_workgroup_id_z 0
		.amdhsa_system_sgpr_workgroup_info 0
		.amdhsa_system_vgpr_workitem_id 0
		.amdhsa_next_free_vgpr 1
		.amdhsa_next_free_sgpr 0
		.amdhsa_accum_offset 4
		.amdhsa_reserve_vcc 0
		.amdhsa_float_round_mode_32 0
		.amdhsa_float_round_mode_16_64 0
		.amdhsa_float_denorm_mode_32 3
		.amdhsa_float_denorm_mode_16_64 3
		.amdhsa_dx10_clamp 1
		.amdhsa_ieee_mode 1
		.amdhsa_fp16_overflow 0
		.amdhsa_tg_split 0
		.amdhsa_exception_fp_ieee_invalid_op 0
		.amdhsa_exception_fp_denorm_src 0
		.amdhsa_exception_fp_ieee_div_zero 0
		.amdhsa_exception_fp_ieee_overflow 0
		.amdhsa_exception_fp_ieee_underflow 0
		.amdhsa_exception_fp_ieee_inexact 0
		.amdhsa_exception_int_div_zero 0
	.end_amdhsa_kernel
	.section	.text._ZN7rocprim17ROCPRIM_400000_NS6detail17trampoline_kernelINS0_14default_configENS1_25partition_config_selectorILNS1_17partition_subalgoE1EiNS0_10empty_typeEbEEZZNS1_14partition_implILS5_1ELb0ES3_jN6thrust23THRUST_200600_302600_NS6detail15normal_iteratorINSA_10device_ptrIiEEEEPS6_NSA_18transform_iteratorI7is_evenIiESF_NSA_11use_defaultESK_EENS0_5tupleIJNSA_16discard_iteratorISK_EESO_EEENSM_IJSG_SG_EEES6_PlJS6_EEE10hipError_tPvRmT3_T4_T5_T6_T7_T9_mT8_P12ihipStream_tbDpT10_ENKUlT_T0_E_clISt17integral_constantIbLb0EES1B_EEDaS16_S17_EUlS16_E_NS1_11comp_targetILNS1_3genE2ELNS1_11target_archE906ELNS1_3gpuE6ELNS1_3repE0EEENS1_30default_config_static_selectorELNS0_4arch9wavefront6targetE1EEEvT1_,"axG",@progbits,_ZN7rocprim17ROCPRIM_400000_NS6detail17trampoline_kernelINS0_14default_configENS1_25partition_config_selectorILNS1_17partition_subalgoE1EiNS0_10empty_typeEbEEZZNS1_14partition_implILS5_1ELb0ES3_jN6thrust23THRUST_200600_302600_NS6detail15normal_iteratorINSA_10device_ptrIiEEEEPS6_NSA_18transform_iteratorI7is_evenIiESF_NSA_11use_defaultESK_EENS0_5tupleIJNSA_16discard_iteratorISK_EESO_EEENSM_IJSG_SG_EEES6_PlJS6_EEE10hipError_tPvRmT3_T4_T5_T6_T7_T9_mT8_P12ihipStream_tbDpT10_ENKUlT_T0_E_clISt17integral_constantIbLb0EES1B_EEDaS16_S17_EUlS16_E_NS1_11comp_targetILNS1_3genE2ELNS1_11target_archE906ELNS1_3gpuE6ELNS1_3repE0EEENS1_30default_config_static_selectorELNS0_4arch9wavefront6targetE1EEEvT1_,comdat
.Lfunc_end3263:
	.size	_ZN7rocprim17ROCPRIM_400000_NS6detail17trampoline_kernelINS0_14default_configENS1_25partition_config_selectorILNS1_17partition_subalgoE1EiNS0_10empty_typeEbEEZZNS1_14partition_implILS5_1ELb0ES3_jN6thrust23THRUST_200600_302600_NS6detail15normal_iteratorINSA_10device_ptrIiEEEEPS6_NSA_18transform_iteratorI7is_evenIiESF_NSA_11use_defaultESK_EENS0_5tupleIJNSA_16discard_iteratorISK_EESO_EEENSM_IJSG_SG_EEES6_PlJS6_EEE10hipError_tPvRmT3_T4_T5_T6_T7_T9_mT8_P12ihipStream_tbDpT10_ENKUlT_T0_E_clISt17integral_constantIbLb0EES1B_EEDaS16_S17_EUlS16_E_NS1_11comp_targetILNS1_3genE2ELNS1_11target_archE906ELNS1_3gpuE6ELNS1_3repE0EEENS1_30default_config_static_selectorELNS0_4arch9wavefront6targetE1EEEvT1_, .Lfunc_end3263-_ZN7rocprim17ROCPRIM_400000_NS6detail17trampoline_kernelINS0_14default_configENS1_25partition_config_selectorILNS1_17partition_subalgoE1EiNS0_10empty_typeEbEEZZNS1_14partition_implILS5_1ELb0ES3_jN6thrust23THRUST_200600_302600_NS6detail15normal_iteratorINSA_10device_ptrIiEEEEPS6_NSA_18transform_iteratorI7is_evenIiESF_NSA_11use_defaultESK_EENS0_5tupleIJNSA_16discard_iteratorISK_EESO_EEENSM_IJSG_SG_EEES6_PlJS6_EEE10hipError_tPvRmT3_T4_T5_T6_T7_T9_mT8_P12ihipStream_tbDpT10_ENKUlT_T0_E_clISt17integral_constantIbLb0EES1B_EEDaS16_S17_EUlS16_E_NS1_11comp_targetILNS1_3genE2ELNS1_11target_archE906ELNS1_3gpuE6ELNS1_3repE0EEENS1_30default_config_static_selectorELNS0_4arch9wavefront6targetE1EEEvT1_
                                        ; -- End function
	.section	.AMDGPU.csdata,"",@progbits
; Kernel info:
; codeLenInByte = 0
; NumSgprs: 6
; NumVgprs: 0
; NumAgprs: 0
; TotalNumVgprs: 0
; ScratchSize: 0
; MemoryBound: 0
; FloatMode: 240
; IeeeMode: 1
; LDSByteSize: 0 bytes/workgroup (compile time only)
; SGPRBlocks: 0
; VGPRBlocks: 0
; NumSGPRsForWavesPerEU: 6
; NumVGPRsForWavesPerEU: 1
; AccumOffset: 4
; Occupancy: 8
; WaveLimiterHint : 0
; COMPUTE_PGM_RSRC2:SCRATCH_EN: 0
; COMPUTE_PGM_RSRC2:USER_SGPR: 2
; COMPUTE_PGM_RSRC2:TRAP_HANDLER: 0
; COMPUTE_PGM_RSRC2:TGID_X_EN: 1
; COMPUTE_PGM_RSRC2:TGID_Y_EN: 0
; COMPUTE_PGM_RSRC2:TGID_Z_EN: 0
; COMPUTE_PGM_RSRC2:TIDIG_COMP_CNT: 0
; COMPUTE_PGM_RSRC3_GFX90A:ACCUM_OFFSET: 0
; COMPUTE_PGM_RSRC3_GFX90A:TG_SPLIT: 0
	.section	.text._ZN7rocprim17ROCPRIM_400000_NS6detail17trampoline_kernelINS0_14default_configENS1_25partition_config_selectorILNS1_17partition_subalgoE1EiNS0_10empty_typeEbEEZZNS1_14partition_implILS5_1ELb0ES3_jN6thrust23THRUST_200600_302600_NS6detail15normal_iteratorINSA_10device_ptrIiEEEEPS6_NSA_18transform_iteratorI7is_evenIiESF_NSA_11use_defaultESK_EENS0_5tupleIJNSA_16discard_iteratorISK_EESO_EEENSM_IJSG_SG_EEES6_PlJS6_EEE10hipError_tPvRmT3_T4_T5_T6_T7_T9_mT8_P12ihipStream_tbDpT10_ENKUlT_T0_E_clISt17integral_constantIbLb0EES1B_EEDaS16_S17_EUlS16_E_NS1_11comp_targetILNS1_3genE10ELNS1_11target_archE1200ELNS1_3gpuE4ELNS1_3repE0EEENS1_30default_config_static_selectorELNS0_4arch9wavefront6targetE1EEEvT1_,"axG",@progbits,_ZN7rocprim17ROCPRIM_400000_NS6detail17trampoline_kernelINS0_14default_configENS1_25partition_config_selectorILNS1_17partition_subalgoE1EiNS0_10empty_typeEbEEZZNS1_14partition_implILS5_1ELb0ES3_jN6thrust23THRUST_200600_302600_NS6detail15normal_iteratorINSA_10device_ptrIiEEEEPS6_NSA_18transform_iteratorI7is_evenIiESF_NSA_11use_defaultESK_EENS0_5tupleIJNSA_16discard_iteratorISK_EESO_EEENSM_IJSG_SG_EEES6_PlJS6_EEE10hipError_tPvRmT3_T4_T5_T6_T7_T9_mT8_P12ihipStream_tbDpT10_ENKUlT_T0_E_clISt17integral_constantIbLb0EES1B_EEDaS16_S17_EUlS16_E_NS1_11comp_targetILNS1_3genE10ELNS1_11target_archE1200ELNS1_3gpuE4ELNS1_3repE0EEENS1_30default_config_static_selectorELNS0_4arch9wavefront6targetE1EEEvT1_,comdat
	.protected	_ZN7rocprim17ROCPRIM_400000_NS6detail17trampoline_kernelINS0_14default_configENS1_25partition_config_selectorILNS1_17partition_subalgoE1EiNS0_10empty_typeEbEEZZNS1_14partition_implILS5_1ELb0ES3_jN6thrust23THRUST_200600_302600_NS6detail15normal_iteratorINSA_10device_ptrIiEEEEPS6_NSA_18transform_iteratorI7is_evenIiESF_NSA_11use_defaultESK_EENS0_5tupleIJNSA_16discard_iteratorISK_EESO_EEENSM_IJSG_SG_EEES6_PlJS6_EEE10hipError_tPvRmT3_T4_T5_T6_T7_T9_mT8_P12ihipStream_tbDpT10_ENKUlT_T0_E_clISt17integral_constantIbLb0EES1B_EEDaS16_S17_EUlS16_E_NS1_11comp_targetILNS1_3genE10ELNS1_11target_archE1200ELNS1_3gpuE4ELNS1_3repE0EEENS1_30default_config_static_selectorELNS0_4arch9wavefront6targetE1EEEvT1_ ; -- Begin function _ZN7rocprim17ROCPRIM_400000_NS6detail17trampoline_kernelINS0_14default_configENS1_25partition_config_selectorILNS1_17partition_subalgoE1EiNS0_10empty_typeEbEEZZNS1_14partition_implILS5_1ELb0ES3_jN6thrust23THRUST_200600_302600_NS6detail15normal_iteratorINSA_10device_ptrIiEEEEPS6_NSA_18transform_iteratorI7is_evenIiESF_NSA_11use_defaultESK_EENS0_5tupleIJNSA_16discard_iteratorISK_EESO_EEENSM_IJSG_SG_EEES6_PlJS6_EEE10hipError_tPvRmT3_T4_T5_T6_T7_T9_mT8_P12ihipStream_tbDpT10_ENKUlT_T0_E_clISt17integral_constantIbLb0EES1B_EEDaS16_S17_EUlS16_E_NS1_11comp_targetILNS1_3genE10ELNS1_11target_archE1200ELNS1_3gpuE4ELNS1_3repE0EEENS1_30default_config_static_selectorELNS0_4arch9wavefront6targetE1EEEvT1_
	.globl	_ZN7rocprim17ROCPRIM_400000_NS6detail17trampoline_kernelINS0_14default_configENS1_25partition_config_selectorILNS1_17partition_subalgoE1EiNS0_10empty_typeEbEEZZNS1_14partition_implILS5_1ELb0ES3_jN6thrust23THRUST_200600_302600_NS6detail15normal_iteratorINSA_10device_ptrIiEEEEPS6_NSA_18transform_iteratorI7is_evenIiESF_NSA_11use_defaultESK_EENS0_5tupleIJNSA_16discard_iteratorISK_EESO_EEENSM_IJSG_SG_EEES6_PlJS6_EEE10hipError_tPvRmT3_T4_T5_T6_T7_T9_mT8_P12ihipStream_tbDpT10_ENKUlT_T0_E_clISt17integral_constantIbLb0EES1B_EEDaS16_S17_EUlS16_E_NS1_11comp_targetILNS1_3genE10ELNS1_11target_archE1200ELNS1_3gpuE4ELNS1_3repE0EEENS1_30default_config_static_selectorELNS0_4arch9wavefront6targetE1EEEvT1_
	.p2align	8
	.type	_ZN7rocprim17ROCPRIM_400000_NS6detail17trampoline_kernelINS0_14default_configENS1_25partition_config_selectorILNS1_17partition_subalgoE1EiNS0_10empty_typeEbEEZZNS1_14partition_implILS5_1ELb0ES3_jN6thrust23THRUST_200600_302600_NS6detail15normal_iteratorINSA_10device_ptrIiEEEEPS6_NSA_18transform_iteratorI7is_evenIiESF_NSA_11use_defaultESK_EENS0_5tupleIJNSA_16discard_iteratorISK_EESO_EEENSM_IJSG_SG_EEES6_PlJS6_EEE10hipError_tPvRmT3_T4_T5_T6_T7_T9_mT8_P12ihipStream_tbDpT10_ENKUlT_T0_E_clISt17integral_constantIbLb0EES1B_EEDaS16_S17_EUlS16_E_NS1_11comp_targetILNS1_3genE10ELNS1_11target_archE1200ELNS1_3gpuE4ELNS1_3repE0EEENS1_30default_config_static_selectorELNS0_4arch9wavefront6targetE1EEEvT1_,@function
_ZN7rocprim17ROCPRIM_400000_NS6detail17trampoline_kernelINS0_14default_configENS1_25partition_config_selectorILNS1_17partition_subalgoE1EiNS0_10empty_typeEbEEZZNS1_14partition_implILS5_1ELb0ES3_jN6thrust23THRUST_200600_302600_NS6detail15normal_iteratorINSA_10device_ptrIiEEEEPS6_NSA_18transform_iteratorI7is_evenIiESF_NSA_11use_defaultESK_EENS0_5tupleIJNSA_16discard_iteratorISK_EESO_EEENSM_IJSG_SG_EEES6_PlJS6_EEE10hipError_tPvRmT3_T4_T5_T6_T7_T9_mT8_P12ihipStream_tbDpT10_ENKUlT_T0_E_clISt17integral_constantIbLb0EES1B_EEDaS16_S17_EUlS16_E_NS1_11comp_targetILNS1_3genE10ELNS1_11target_archE1200ELNS1_3gpuE4ELNS1_3repE0EEENS1_30default_config_static_selectorELNS0_4arch9wavefront6targetE1EEEvT1_: ; @_ZN7rocprim17ROCPRIM_400000_NS6detail17trampoline_kernelINS0_14default_configENS1_25partition_config_selectorILNS1_17partition_subalgoE1EiNS0_10empty_typeEbEEZZNS1_14partition_implILS5_1ELb0ES3_jN6thrust23THRUST_200600_302600_NS6detail15normal_iteratorINSA_10device_ptrIiEEEEPS6_NSA_18transform_iteratorI7is_evenIiESF_NSA_11use_defaultESK_EENS0_5tupleIJNSA_16discard_iteratorISK_EESO_EEENSM_IJSG_SG_EEES6_PlJS6_EEE10hipError_tPvRmT3_T4_T5_T6_T7_T9_mT8_P12ihipStream_tbDpT10_ENKUlT_T0_E_clISt17integral_constantIbLb0EES1B_EEDaS16_S17_EUlS16_E_NS1_11comp_targetILNS1_3genE10ELNS1_11target_archE1200ELNS1_3gpuE4ELNS1_3repE0EEENS1_30default_config_static_selectorELNS0_4arch9wavefront6targetE1EEEvT1_
; %bb.0:
	.section	.rodata,"a",@progbits
	.p2align	6, 0x0
	.amdhsa_kernel _ZN7rocprim17ROCPRIM_400000_NS6detail17trampoline_kernelINS0_14default_configENS1_25partition_config_selectorILNS1_17partition_subalgoE1EiNS0_10empty_typeEbEEZZNS1_14partition_implILS5_1ELb0ES3_jN6thrust23THRUST_200600_302600_NS6detail15normal_iteratorINSA_10device_ptrIiEEEEPS6_NSA_18transform_iteratorI7is_evenIiESF_NSA_11use_defaultESK_EENS0_5tupleIJNSA_16discard_iteratorISK_EESO_EEENSM_IJSG_SG_EEES6_PlJS6_EEE10hipError_tPvRmT3_T4_T5_T6_T7_T9_mT8_P12ihipStream_tbDpT10_ENKUlT_T0_E_clISt17integral_constantIbLb0EES1B_EEDaS16_S17_EUlS16_E_NS1_11comp_targetILNS1_3genE10ELNS1_11target_archE1200ELNS1_3gpuE4ELNS1_3repE0EEENS1_30default_config_static_selectorELNS0_4arch9wavefront6targetE1EEEvT1_
		.amdhsa_group_segment_fixed_size 0
		.amdhsa_private_segment_fixed_size 0
		.amdhsa_kernarg_size 144
		.amdhsa_user_sgpr_count 2
		.amdhsa_user_sgpr_dispatch_ptr 0
		.amdhsa_user_sgpr_queue_ptr 0
		.amdhsa_user_sgpr_kernarg_segment_ptr 1
		.amdhsa_user_sgpr_dispatch_id 0
		.amdhsa_user_sgpr_kernarg_preload_length 0
		.amdhsa_user_sgpr_kernarg_preload_offset 0
		.amdhsa_user_sgpr_private_segment_size 0
		.amdhsa_uses_dynamic_stack 0
		.amdhsa_enable_private_segment 0
		.amdhsa_system_sgpr_workgroup_id_x 1
		.amdhsa_system_sgpr_workgroup_id_y 0
		.amdhsa_system_sgpr_workgroup_id_z 0
		.amdhsa_system_sgpr_workgroup_info 0
		.amdhsa_system_vgpr_workitem_id 0
		.amdhsa_next_free_vgpr 1
		.amdhsa_next_free_sgpr 0
		.amdhsa_accum_offset 4
		.amdhsa_reserve_vcc 0
		.amdhsa_float_round_mode_32 0
		.amdhsa_float_round_mode_16_64 0
		.amdhsa_float_denorm_mode_32 3
		.amdhsa_float_denorm_mode_16_64 3
		.amdhsa_dx10_clamp 1
		.amdhsa_ieee_mode 1
		.amdhsa_fp16_overflow 0
		.amdhsa_tg_split 0
		.amdhsa_exception_fp_ieee_invalid_op 0
		.amdhsa_exception_fp_denorm_src 0
		.amdhsa_exception_fp_ieee_div_zero 0
		.amdhsa_exception_fp_ieee_overflow 0
		.amdhsa_exception_fp_ieee_underflow 0
		.amdhsa_exception_fp_ieee_inexact 0
		.amdhsa_exception_int_div_zero 0
	.end_amdhsa_kernel
	.section	.text._ZN7rocprim17ROCPRIM_400000_NS6detail17trampoline_kernelINS0_14default_configENS1_25partition_config_selectorILNS1_17partition_subalgoE1EiNS0_10empty_typeEbEEZZNS1_14partition_implILS5_1ELb0ES3_jN6thrust23THRUST_200600_302600_NS6detail15normal_iteratorINSA_10device_ptrIiEEEEPS6_NSA_18transform_iteratorI7is_evenIiESF_NSA_11use_defaultESK_EENS0_5tupleIJNSA_16discard_iteratorISK_EESO_EEENSM_IJSG_SG_EEES6_PlJS6_EEE10hipError_tPvRmT3_T4_T5_T6_T7_T9_mT8_P12ihipStream_tbDpT10_ENKUlT_T0_E_clISt17integral_constantIbLb0EES1B_EEDaS16_S17_EUlS16_E_NS1_11comp_targetILNS1_3genE10ELNS1_11target_archE1200ELNS1_3gpuE4ELNS1_3repE0EEENS1_30default_config_static_selectorELNS0_4arch9wavefront6targetE1EEEvT1_,"axG",@progbits,_ZN7rocprim17ROCPRIM_400000_NS6detail17trampoline_kernelINS0_14default_configENS1_25partition_config_selectorILNS1_17partition_subalgoE1EiNS0_10empty_typeEbEEZZNS1_14partition_implILS5_1ELb0ES3_jN6thrust23THRUST_200600_302600_NS6detail15normal_iteratorINSA_10device_ptrIiEEEEPS6_NSA_18transform_iteratorI7is_evenIiESF_NSA_11use_defaultESK_EENS0_5tupleIJNSA_16discard_iteratorISK_EESO_EEENSM_IJSG_SG_EEES6_PlJS6_EEE10hipError_tPvRmT3_T4_T5_T6_T7_T9_mT8_P12ihipStream_tbDpT10_ENKUlT_T0_E_clISt17integral_constantIbLb0EES1B_EEDaS16_S17_EUlS16_E_NS1_11comp_targetILNS1_3genE10ELNS1_11target_archE1200ELNS1_3gpuE4ELNS1_3repE0EEENS1_30default_config_static_selectorELNS0_4arch9wavefront6targetE1EEEvT1_,comdat
.Lfunc_end3264:
	.size	_ZN7rocprim17ROCPRIM_400000_NS6detail17trampoline_kernelINS0_14default_configENS1_25partition_config_selectorILNS1_17partition_subalgoE1EiNS0_10empty_typeEbEEZZNS1_14partition_implILS5_1ELb0ES3_jN6thrust23THRUST_200600_302600_NS6detail15normal_iteratorINSA_10device_ptrIiEEEEPS6_NSA_18transform_iteratorI7is_evenIiESF_NSA_11use_defaultESK_EENS0_5tupleIJNSA_16discard_iteratorISK_EESO_EEENSM_IJSG_SG_EEES6_PlJS6_EEE10hipError_tPvRmT3_T4_T5_T6_T7_T9_mT8_P12ihipStream_tbDpT10_ENKUlT_T0_E_clISt17integral_constantIbLb0EES1B_EEDaS16_S17_EUlS16_E_NS1_11comp_targetILNS1_3genE10ELNS1_11target_archE1200ELNS1_3gpuE4ELNS1_3repE0EEENS1_30default_config_static_selectorELNS0_4arch9wavefront6targetE1EEEvT1_, .Lfunc_end3264-_ZN7rocprim17ROCPRIM_400000_NS6detail17trampoline_kernelINS0_14default_configENS1_25partition_config_selectorILNS1_17partition_subalgoE1EiNS0_10empty_typeEbEEZZNS1_14partition_implILS5_1ELb0ES3_jN6thrust23THRUST_200600_302600_NS6detail15normal_iteratorINSA_10device_ptrIiEEEEPS6_NSA_18transform_iteratorI7is_evenIiESF_NSA_11use_defaultESK_EENS0_5tupleIJNSA_16discard_iteratorISK_EESO_EEENSM_IJSG_SG_EEES6_PlJS6_EEE10hipError_tPvRmT3_T4_T5_T6_T7_T9_mT8_P12ihipStream_tbDpT10_ENKUlT_T0_E_clISt17integral_constantIbLb0EES1B_EEDaS16_S17_EUlS16_E_NS1_11comp_targetILNS1_3genE10ELNS1_11target_archE1200ELNS1_3gpuE4ELNS1_3repE0EEENS1_30default_config_static_selectorELNS0_4arch9wavefront6targetE1EEEvT1_
                                        ; -- End function
	.section	.AMDGPU.csdata,"",@progbits
; Kernel info:
; codeLenInByte = 0
; NumSgprs: 6
; NumVgprs: 0
; NumAgprs: 0
; TotalNumVgprs: 0
; ScratchSize: 0
; MemoryBound: 0
; FloatMode: 240
; IeeeMode: 1
; LDSByteSize: 0 bytes/workgroup (compile time only)
; SGPRBlocks: 0
; VGPRBlocks: 0
; NumSGPRsForWavesPerEU: 6
; NumVGPRsForWavesPerEU: 1
; AccumOffset: 4
; Occupancy: 8
; WaveLimiterHint : 0
; COMPUTE_PGM_RSRC2:SCRATCH_EN: 0
; COMPUTE_PGM_RSRC2:USER_SGPR: 2
; COMPUTE_PGM_RSRC2:TRAP_HANDLER: 0
; COMPUTE_PGM_RSRC2:TGID_X_EN: 1
; COMPUTE_PGM_RSRC2:TGID_Y_EN: 0
; COMPUTE_PGM_RSRC2:TGID_Z_EN: 0
; COMPUTE_PGM_RSRC2:TIDIG_COMP_CNT: 0
; COMPUTE_PGM_RSRC3_GFX90A:ACCUM_OFFSET: 0
; COMPUTE_PGM_RSRC3_GFX90A:TG_SPLIT: 0
	.section	.text._ZN7rocprim17ROCPRIM_400000_NS6detail17trampoline_kernelINS0_14default_configENS1_25partition_config_selectorILNS1_17partition_subalgoE1EiNS0_10empty_typeEbEEZZNS1_14partition_implILS5_1ELb0ES3_jN6thrust23THRUST_200600_302600_NS6detail15normal_iteratorINSA_10device_ptrIiEEEEPS6_NSA_18transform_iteratorI7is_evenIiESF_NSA_11use_defaultESK_EENS0_5tupleIJNSA_16discard_iteratorISK_EESO_EEENSM_IJSG_SG_EEES6_PlJS6_EEE10hipError_tPvRmT3_T4_T5_T6_T7_T9_mT8_P12ihipStream_tbDpT10_ENKUlT_T0_E_clISt17integral_constantIbLb0EES1B_EEDaS16_S17_EUlS16_E_NS1_11comp_targetILNS1_3genE9ELNS1_11target_archE1100ELNS1_3gpuE3ELNS1_3repE0EEENS1_30default_config_static_selectorELNS0_4arch9wavefront6targetE1EEEvT1_,"axG",@progbits,_ZN7rocprim17ROCPRIM_400000_NS6detail17trampoline_kernelINS0_14default_configENS1_25partition_config_selectorILNS1_17partition_subalgoE1EiNS0_10empty_typeEbEEZZNS1_14partition_implILS5_1ELb0ES3_jN6thrust23THRUST_200600_302600_NS6detail15normal_iteratorINSA_10device_ptrIiEEEEPS6_NSA_18transform_iteratorI7is_evenIiESF_NSA_11use_defaultESK_EENS0_5tupleIJNSA_16discard_iteratorISK_EESO_EEENSM_IJSG_SG_EEES6_PlJS6_EEE10hipError_tPvRmT3_T4_T5_T6_T7_T9_mT8_P12ihipStream_tbDpT10_ENKUlT_T0_E_clISt17integral_constantIbLb0EES1B_EEDaS16_S17_EUlS16_E_NS1_11comp_targetILNS1_3genE9ELNS1_11target_archE1100ELNS1_3gpuE3ELNS1_3repE0EEENS1_30default_config_static_selectorELNS0_4arch9wavefront6targetE1EEEvT1_,comdat
	.protected	_ZN7rocprim17ROCPRIM_400000_NS6detail17trampoline_kernelINS0_14default_configENS1_25partition_config_selectorILNS1_17partition_subalgoE1EiNS0_10empty_typeEbEEZZNS1_14partition_implILS5_1ELb0ES3_jN6thrust23THRUST_200600_302600_NS6detail15normal_iteratorINSA_10device_ptrIiEEEEPS6_NSA_18transform_iteratorI7is_evenIiESF_NSA_11use_defaultESK_EENS0_5tupleIJNSA_16discard_iteratorISK_EESO_EEENSM_IJSG_SG_EEES6_PlJS6_EEE10hipError_tPvRmT3_T4_T5_T6_T7_T9_mT8_P12ihipStream_tbDpT10_ENKUlT_T0_E_clISt17integral_constantIbLb0EES1B_EEDaS16_S17_EUlS16_E_NS1_11comp_targetILNS1_3genE9ELNS1_11target_archE1100ELNS1_3gpuE3ELNS1_3repE0EEENS1_30default_config_static_selectorELNS0_4arch9wavefront6targetE1EEEvT1_ ; -- Begin function _ZN7rocprim17ROCPRIM_400000_NS6detail17trampoline_kernelINS0_14default_configENS1_25partition_config_selectorILNS1_17partition_subalgoE1EiNS0_10empty_typeEbEEZZNS1_14partition_implILS5_1ELb0ES3_jN6thrust23THRUST_200600_302600_NS6detail15normal_iteratorINSA_10device_ptrIiEEEEPS6_NSA_18transform_iteratorI7is_evenIiESF_NSA_11use_defaultESK_EENS0_5tupleIJNSA_16discard_iteratorISK_EESO_EEENSM_IJSG_SG_EEES6_PlJS6_EEE10hipError_tPvRmT3_T4_T5_T6_T7_T9_mT8_P12ihipStream_tbDpT10_ENKUlT_T0_E_clISt17integral_constantIbLb0EES1B_EEDaS16_S17_EUlS16_E_NS1_11comp_targetILNS1_3genE9ELNS1_11target_archE1100ELNS1_3gpuE3ELNS1_3repE0EEENS1_30default_config_static_selectorELNS0_4arch9wavefront6targetE1EEEvT1_
	.globl	_ZN7rocprim17ROCPRIM_400000_NS6detail17trampoline_kernelINS0_14default_configENS1_25partition_config_selectorILNS1_17partition_subalgoE1EiNS0_10empty_typeEbEEZZNS1_14partition_implILS5_1ELb0ES3_jN6thrust23THRUST_200600_302600_NS6detail15normal_iteratorINSA_10device_ptrIiEEEEPS6_NSA_18transform_iteratorI7is_evenIiESF_NSA_11use_defaultESK_EENS0_5tupleIJNSA_16discard_iteratorISK_EESO_EEENSM_IJSG_SG_EEES6_PlJS6_EEE10hipError_tPvRmT3_T4_T5_T6_T7_T9_mT8_P12ihipStream_tbDpT10_ENKUlT_T0_E_clISt17integral_constantIbLb0EES1B_EEDaS16_S17_EUlS16_E_NS1_11comp_targetILNS1_3genE9ELNS1_11target_archE1100ELNS1_3gpuE3ELNS1_3repE0EEENS1_30default_config_static_selectorELNS0_4arch9wavefront6targetE1EEEvT1_
	.p2align	8
	.type	_ZN7rocprim17ROCPRIM_400000_NS6detail17trampoline_kernelINS0_14default_configENS1_25partition_config_selectorILNS1_17partition_subalgoE1EiNS0_10empty_typeEbEEZZNS1_14partition_implILS5_1ELb0ES3_jN6thrust23THRUST_200600_302600_NS6detail15normal_iteratorINSA_10device_ptrIiEEEEPS6_NSA_18transform_iteratorI7is_evenIiESF_NSA_11use_defaultESK_EENS0_5tupleIJNSA_16discard_iteratorISK_EESO_EEENSM_IJSG_SG_EEES6_PlJS6_EEE10hipError_tPvRmT3_T4_T5_T6_T7_T9_mT8_P12ihipStream_tbDpT10_ENKUlT_T0_E_clISt17integral_constantIbLb0EES1B_EEDaS16_S17_EUlS16_E_NS1_11comp_targetILNS1_3genE9ELNS1_11target_archE1100ELNS1_3gpuE3ELNS1_3repE0EEENS1_30default_config_static_selectorELNS0_4arch9wavefront6targetE1EEEvT1_,@function
_ZN7rocprim17ROCPRIM_400000_NS6detail17trampoline_kernelINS0_14default_configENS1_25partition_config_selectorILNS1_17partition_subalgoE1EiNS0_10empty_typeEbEEZZNS1_14partition_implILS5_1ELb0ES3_jN6thrust23THRUST_200600_302600_NS6detail15normal_iteratorINSA_10device_ptrIiEEEEPS6_NSA_18transform_iteratorI7is_evenIiESF_NSA_11use_defaultESK_EENS0_5tupleIJNSA_16discard_iteratorISK_EESO_EEENSM_IJSG_SG_EEES6_PlJS6_EEE10hipError_tPvRmT3_T4_T5_T6_T7_T9_mT8_P12ihipStream_tbDpT10_ENKUlT_T0_E_clISt17integral_constantIbLb0EES1B_EEDaS16_S17_EUlS16_E_NS1_11comp_targetILNS1_3genE9ELNS1_11target_archE1100ELNS1_3gpuE3ELNS1_3repE0EEENS1_30default_config_static_selectorELNS0_4arch9wavefront6targetE1EEEvT1_: ; @_ZN7rocprim17ROCPRIM_400000_NS6detail17trampoline_kernelINS0_14default_configENS1_25partition_config_selectorILNS1_17partition_subalgoE1EiNS0_10empty_typeEbEEZZNS1_14partition_implILS5_1ELb0ES3_jN6thrust23THRUST_200600_302600_NS6detail15normal_iteratorINSA_10device_ptrIiEEEEPS6_NSA_18transform_iteratorI7is_evenIiESF_NSA_11use_defaultESK_EENS0_5tupleIJNSA_16discard_iteratorISK_EESO_EEENSM_IJSG_SG_EEES6_PlJS6_EEE10hipError_tPvRmT3_T4_T5_T6_T7_T9_mT8_P12ihipStream_tbDpT10_ENKUlT_T0_E_clISt17integral_constantIbLb0EES1B_EEDaS16_S17_EUlS16_E_NS1_11comp_targetILNS1_3genE9ELNS1_11target_archE1100ELNS1_3gpuE3ELNS1_3repE0EEENS1_30default_config_static_selectorELNS0_4arch9wavefront6targetE1EEEvT1_
; %bb.0:
	.section	.rodata,"a",@progbits
	.p2align	6, 0x0
	.amdhsa_kernel _ZN7rocprim17ROCPRIM_400000_NS6detail17trampoline_kernelINS0_14default_configENS1_25partition_config_selectorILNS1_17partition_subalgoE1EiNS0_10empty_typeEbEEZZNS1_14partition_implILS5_1ELb0ES3_jN6thrust23THRUST_200600_302600_NS6detail15normal_iteratorINSA_10device_ptrIiEEEEPS6_NSA_18transform_iteratorI7is_evenIiESF_NSA_11use_defaultESK_EENS0_5tupleIJNSA_16discard_iteratorISK_EESO_EEENSM_IJSG_SG_EEES6_PlJS6_EEE10hipError_tPvRmT3_T4_T5_T6_T7_T9_mT8_P12ihipStream_tbDpT10_ENKUlT_T0_E_clISt17integral_constantIbLb0EES1B_EEDaS16_S17_EUlS16_E_NS1_11comp_targetILNS1_3genE9ELNS1_11target_archE1100ELNS1_3gpuE3ELNS1_3repE0EEENS1_30default_config_static_selectorELNS0_4arch9wavefront6targetE1EEEvT1_
		.amdhsa_group_segment_fixed_size 0
		.amdhsa_private_segment_fixed_size 0
		.amdhsa_kernarg_size 144
		.amdhsa_user_sgpr_count 2
		.amdhsa_user_sgpr_dispatch_ptr 0
		.amdhsa_user_sgpr_queue_ptr 0
		.amdhsa_user_sgpr_kernarg_segment_ptr 1
		.amdhsa_user_sgpr_dispatch_id 0
		.amdhsa_user_sgpr_kernarg_preload_length 0
		.amdhsa_user_sgpr_kernarg_preload_offset 0
		.amdhsa_user_sgpr_private_segment_size 0
		.amdhsa_uses_dynamic_stack 0
		.amdhsa_enable_private_segment 0
		.amdhsa_system_sgpr_workgroup_id_x 1
		.amdhsa_system_sgpr_workgroup_id_y 0
		.amdhsa_system_sgpr_workgroup_id_z 0
		.amdhsa_system_sgpr_workgroup_info 0
		.amdhsa_system_vgpr_workitem_id 0
		.amdhsa_next_free_vgpr 1
		.amdhsa_next_free_sgpr 0
		.amdhsa_accum_offset 4
		.amdhsa_reserve_vcc 0
		.amdhsa_float_round_mode_32 0
		.amdhsa_float_round_mode_16_64 0
		.amdhsa_float_denorm_mode_32 3
		.amdhsa_float_denorm_mode_16_64 3
		.amdhsa_dx10_clamp 1
		.amdhsa_ieee_mode 1
		.amdhsa_fp16_overflow 0
		.amdhsa_tg_split 0
		.amdhsa_exception_fp_ieee_invalid_op 0
		.amdhsa_exception_fp_denorm_src 0
		.amdhsa_exception_fp_ieee_div_zero 0
		.amdhsa_exception_fp_ieee_overflow 0
		.amdhsa_exception_fp_ieee_underflow 0
		.amdhsa_exception_fp_ieee_inexact 0
		.amdhsa_exception_int_div_zero 0
	.end_amdhsa_kernel
	.section	.text._ZN7rocprim17ROCPRIM_400000_NS6detail17trampoline_kernelINS0_14default_configENS1_25partition_config_selectorILNS1_17partition_subalgoE1EiNS0_10empty_typeEbEEZZNS1_14partition_implILS5_1ELb0ES3_jN6thrust23THRUST_200600_302600_NS6detail15normal_iteratorINSA_10device_ptrIiEEEEPS6_NSA_18transform_iteratorI7is_evenIiESF_NSA_11use_defaultESK_EENS0_5tupleIJNSA_16discard_iteratorISK_EESO_EEENSM_IJSG_SG_EEES6_PlJS6_EEE10hipError_tPvRmT3_T4_T5_T6_T7_T9_mT8_P12ihipStream_tbDpT10_ENKUlT_T0_E_clISt17integral_constantIbLb0EES1B_EEDaS16_S17_EUlS16_E_NS1_11comp_targetILNS1_3genE9ELNS1_11target_archE1100ELNS1_3gpuE3ELNS1_3repE0EEENS1_30default_config_static_selectorELNS0_4arch9wavefront6targetE1EEEvT1_,"axG",@progbits,_ZN7rocprim17ROCPRIM_400000_NS6detail17trampoline_kernelINS0_14default_configENS1_25partition_config_selectorILNS1_17partition_subalgoE1EiNS0_10empty_typeEbEEZZNS1_14partition_implILS5_1ELb0ES3_jN6thrust23THRUST_200600_302600_NS6detail15normal_iteratorINSA_10device_ptrIiEEEEPS6_NSA_18transform_iteratorI7is_evenIiESF_NSA_11use_defaultESK_EENS0_5tupleIJNSA_16discard_iteratorISK_EESO_EEENSM_IJSG_SG_EEES6_PlJS6_EEE10hipError_tPvRmT3_T4_T5_T6_T7_T9_mT8_P12ihipStream_tbDpT10_ENKUlT_T0_E_clISt17integral_constantIbLb0EES1B_EEDaS16_S17_EUlS16_E_NS1_11comp_targetILNS1_3genE9ELNS1_11target_archE1100ELNS1_3gpuE3ELNS1_3repE0EEENS1_30default_config_static_selectorELNS0_4arch9wavefront6targetE1EEEvT1_,comdat
.Lfunc_end3265:
	.size	_ZN7rocprim17ROCPRIM_400000_NS6detail17trampoline_kernelINS0_14default_configENS1_25partition_config_selectorILNS1_17partition_subalgoE1EiNS0_10empty_typeEbEEZZNS1_14partition_implILS5_1ELb0ES3_jN6thrust23THRUST_200600_302600_NS6detail15normal_iteratorINSA_10device_ptrIiEEEEPS6_NSA_18transform_iteratorI7is_evenIiESF_NSA_11use_defaultESK_EENS0_5tupleIJNSA_16discard_iteratorISK_EESO_EEENSM_IJSG_SG_EEES6_PlJS6_EEE10hipError_tPvRmT3_T4_T5_T6_T7_T9_mT8_P12ihipStream_tbDpT10_ENKUlT_T0_E_clISt17integral_constantIbLb0EES1B_EEDaS16_S17_EUlS16_E_NS1_11comp_targetILNS1_3genE9ELNS1_11target_archE1100ELNS1_3gpuE3ELNS1_3repE0EEENS1_30default_config_static_selectorELNS0_4arch9wavefront6targetE1EEEvT1_, .Lfunc_end3265-_ZN7rocprim17ROCPRIM_400000_NS6detail17trampoline_kernelINS0_14default_configENS1_25partition_config_selectorILNS1_17partition_subalgoE1EiNS0_10empty_typeEbEEZZNS1_14partition_implILS5_1ELb0ES3_jN6thrust23THRUST_200600_302600_NS6detail15normal_iteratorINSA_10device_ptrIiEEEEPS6_NSA_18transform_iteratorI7is_evenIiESF_NSA_11use_defaultESK_EENS0_5tupleIJNSA_16discard_iteratorISK_EESO_EEENSM_IJSG_SG_EEES6_PlJS6_EEE10hipError_tPvRmT3_T4_T5_T6_T7_T9_mT8_P12ihipStream_tbDpT10_ENKUlT_T0_E_clISt17integral_constantIbLb0EES1B_EEDaS16_S17_EUlS16_E_NS1_11comp_targetILNS1_3genE9ELNS1_11target_archE1100ELNS1_3gpuE3ELNS1_3repE0EEENS1_30default_config_static_selectorELNS0_4arch9wavefront6targetE1EEEvT1_
                                        ; -- End function
	.section	.AMDGPU.csdata,"",@progbits
; Kernel info:
; codeLenInByte = 0
; NumSgprs: 6
; NumVgprs: 0
; NumAgprs: 0
; TotalNumVgprs: 0
; ScratchSize: 0
; MemoryBound: 0
; FloatMode: 240
; IeeeMode: 1
; LDSByteSize: 0 bytes/workgroup (compile time only)
; SGPRBlocks: 0
; VGPRBlocks: 0
; NumSGPRsForWavesPerEU: 6
; NumVGPRsForWavesPerEU: 1
; AccumOffset: 4
; Occupancy: 8
; WaveLimiterHint : 0
; COMPUTE_PGM_RSRC2:SCRATCH_EN: 0
; COMPUTE_PGM_RSRC2:USER_SGPR: 2
; COMPUTE_PGM_RSRC2:TRAP_HANDLER: 0
; COMPUTE_PGM_RSRC2:TGID_X_EN: 1
; COMPUTE_PGM_RSRC2:TGID_Y_EN: 0
; COMPUTE_PGM_RSRC2:TGID_Z_EN: 0
; COMPUTE_PGM_RSRC2:TIDIG_COMP_CNT: 0
; COMPUTE_PGM_RSRC3_GFX90A:ACCUM_OFFSET: 0
; COMPUTE_PGM_RSRC3_GFX90A:TG_SPLIT: 0
	.section	.text._ZN7rocprim17ROCPRIM_400000_NS6detail17trampoline_kernelINS0_14default_configENS1_25partition_config_selectorILNS1_17partition_subalgoE1EiNS0_10empty_typeEbEEZZNS1_14partition_implILS5_1ELb0ES3_jN6thrust23THRUST_200600_302600_NS6detail15normal_iteratorINSA_10device_ptrIiEEEEPS6_NSA_18transform_iteratorI7is_evenIiESF_NSA_11use_defaultESK_EENS0_5tupleIJNSA_16discard_iteratorISK_EESO_EEENSM_IJSG_SG_EEES6_PlJS6_EEE10hipError_tPvRmT3_T4_T5_T6_T7_T9_mT8_P12ihipStream_tbDpT10_ENKUlT_T0_E_clISt17integral_constantIbLb0EES1B_EEDaS16_S17_EUlS16_E_NS1_11comp_targetILNS1_3genE8ELNS1_11target_archE1030ELNS1_3gpuE2ELNS1_3repE0EEENS1_30default_config_static_selectorELNS0_4arch9wavefront6targetE1EEEvT1_,"axG",@progbits,_ZN7rocprim17ROCPRIM_400000_NS6detail17trampoline_kernelINS0_14default_configENS1_25partition_config_selectorILNS1_17partition_subalgoE1EiNS0_10empty_typeEbEEZZNS1_14partition_implILS5_1ELb0ES3_jN6thrust23THRUST_200600_302600_NS6detail15normal_iteratorINSA_10device_ptrIiEEEEPS6_NSA_18transform_iteratorI7is_evenIiESF_NSA_11use_defaultESK_EENS0_5tupleIJNSA_16discard_iteratorISK_EESO_EEENSM_IJSG_SG_EEES6_PlJS6_EEE10hipError_tPvRmT3_T4_T5_T6_T7_T9_mT8_P12ihipStream_tbDpT10_ENKUlT_T0_E_clISt17integral_constantIbLb0EES1B_EEDaS16_S17_EUlS16_E_NS1_11comp_targetILNS1_3genE8ELNS1_11target_archE1030ELNS1_3gpuE2ELNS1_3repE0EEENS1_30default_config_static_selectorELNS0_4arch9wavefront6targetE1EEEvT1_,comdat
	.protected	_ZN7rocprim17ROCPRIM_400000_NS6detail17trampoline_kernelINS0_14default_configENS1_25partition_config_selectorILNS1_17partition_subalgoE1EiNS0_10empty_typeEbEEZZNS1_14partition_implILS5_1ELb0ES3_jN6thrust23THRUST_200600_302600_NS6detail15normal_iteratorINSA_10device_ptrIiEEEEPS6_NSA_18transform_iteratorI7is_evenIiESF_NSA_11use_defaultESK_EENS0_5tupleIJNSA_16discard_iteratorISK_EESO_EEENSM_IJSG_SG_EEES6_PlJS6_EEE10hipError_tPvRmT3_T4_T5_T6_T7_T9_mT8_P12ihipStream_tbDpT10_ENKUlT_T0_E_clISt17integral_constantIbLb0EES1B_EEDaS16_S17_EUlS16_E_NS1_11comp_targetILNS1_3genE8ELNS1_11target_archE1030ELNS1_3gpuE2ELNS1_3repE0EEENS1_30default_config_static_selectorELNS0_4arch9wavefront6targetE1EEEvT1_ ; -- Begin function _ZN7rocprim17ROCPRIM_400000_NS6detail17trampoline_kernelINS0_14default_configENS1_25partition_config_selectorILNS1_17partition_subalgoE1EiNS0_10empty_typeEbEEZZNS1_14partition_implILS5_1ELb0ES3_jN6thrust23THRUST_200600_302600_NS6detail15normal_iteratorINSA_10device_ptrIiEEEEPS6_NSA_18transform_iteratorI7is_evenIiESF_NSA_11use_defaultESK_EENS0_5tupleIJNSA_16discard_iteratorISK_EESO_EEENSM_IJSG_SG_EEES6_PlJS6_EEE10hipError_tPvRmT3_T4_T5_T6_T7_T9_mT8_P12ihipStream_tbDpT10_ENKUlT_T0_E_clISt17integral_constantIbLb0EES1B_EEDaS16_S17_EUlS16_E_NS1_11comp_targetILNS1_3genE8ELNS1_11target_archE1030ELNS1_3gpuE2ELNS1_3repE0EEENS1_30default_config_static_selectorELNS0_4arch9wavefront6targetE1EEEvT1_
	.globl	_ZN7rocprim17ROCPRIM_400000_NS6detail17trampoline_kernelINS0_14default_configENS1_25partition_config_selectorILNS1_17partition_subalgoE1EiNS0_10empty_typeEbEEZZNS1_14partition_implILS5_1ELb0ES3_jN6thrust23THRUST_200600_302600_NS6detail15normal_iteratorINSA_10device_ptrIiEEEEPS6_NSA_18transform_iteratorI7is_evenIiESF_NSA_11use_defaultESK_EENS0_5tupleIJNSA_16discard_iteratorISK_EESO_EEENSM_IJSG_SG_EEES6_PlJS6_EEE10hipError_tPvRmT3_T4_T5_T6_T7_T9_mT8_P12ihipStream_tbDpT10_ENKUlT_T0_E_clISt17integral_constantIbLb0EES1B_EEDaS16_S17_EUlS16_E_NS1_11comp_targetILNS1_3genE8ELNS1_11target_archE1030ELNS1_3gpuE2ELNS1_3repE0EEENS1_30default_config_static_selectorELNS0_4arch9wavefront6targetE1EEEvT1_
	.p2align	8
	.type	_ZN7rocprim17ROCPRIM_400000_NS6detail17trampoline_kernelINS0_14default_configENS1_25partition_config_selectorILNS1_17partition_subalgoE1EiNS0_10empty_typeEbEEZZNS1_14partition_implILS5_1ELb0ES3_jN6thrust23THRUST_200600_302600_NS6detail15normal_iteratorINSA_10device_ptrIiEEEEPS6_NSA_18transform_iteratorI7is_evenIiESF_NSA_11use_defaultESK_EENS0_5tupleIJNSA_16discard_iteratorISK_EESO_EEENSM_IJSG_SG_EEES6_PlJS6_EEE10hipError_tPvRmT3_T4_T5_T6_T7_T9_mT8_P12ihipStream_tbDpT10_ENKUlT_T0_E_clISt17integral_constantIbLb0EES1B_EEDaS16_S17_EUlS16_E_NS1_11comp_targetILNS1_3genE8ELNS1_11target_archE1030ELNS1_3gpuE2ELNS1_3repE0EEENS1_30default_config_static_selectorELNS0_4arch9wavefront6targetE1EEEvT1_,@function
_ZN7rocprim17ROCPRIM_400000_NS6detail17trampoline_kernelINS0_14default_configENS1_25partition_config_selectorILNS1_17partition_subalgoE1EiNS0_10empty_typeEbEEZZNS1_14partition_implILS5_1ELb0ES3_jN6thrust23THRUST_200600_302600_NS6detail15normal_iteratorINSA_10device_ptrIiEEEEPS6_NSA_18transform_iteratorI7is_evenIiESF_NSA_11use_defaultESK_EENS0_5tupleIJNSA_16discard_iteratorISK_EESO_EEENSM_IJSG_SG_EEES6_PlJS6_EEE10hipError_tPvRmT3_T4_T5_T6_T7_T9_mT8_P12ihipStream_tbDpT10_ENKUlT_T0_E_clISt17integral_constantIbLb0EES1B_EEDaS16_S17_EUlS16_E_NS1_11comp_targetILNS1_3genE8ELNS1_11target_archE1030ELNS1_3gpuE2ELNS1_3repE0EEENS1_30default_config_static_selectorELNS0_4arch9wavefront6targetE1EEEvT1_: ; @_ZN7rocprim17ROCPRIM_400000_NS6detail17trampoline_kernelINS0_14default_configENS1_25partition_config_selectorILNS1_17partition_subalgoE1EiNS0_10empty_typeEbEEZZNS1_14partition_implILS5_1ELb0ES3_jN6thrust23THRUST_200600_302600_NS6detail15normal_iteratorINSA_10device_ptrIiEEEEPS6_NSA_18transform_iteratorI7is_evenIiESF_NSA_11use_defaultESK_EENS0_5tupleIJNSA_16discard_iteratorISK_EESO_EEENSM_IJSG_SG_EEES6_PlJS6_EEE10hipError_tPvRmT3_T4_T5_T6_T7_T9_mT8_P12ihipStream_tbDpT10_ENKUlT_T0_E_clISt17integral_constantIbLb0EES1B_EEDaS16_S17_EUlS16_E_NS1_11comp_targetILNS1_3genE8ELNS1_11target_archE1030ELNS1_3gpuE2ELNS1_3repE0EEENS1_30default_config_static_selectorELNS0_4arch9wavefront6targetE1EEEvT1_
; %bb.0:
	.section	.rodata,"a",@progbits
	.p2align	6, 0x0
	.amdhsa_kernel _ZN7rocprim17ROCPRIM_400000_NS6detail17trampoline_kernelINS0_14default_configENS1_25partition_config_selectorILNS1_17partition_subalgoE1EiNS0_10empty_typeEbEEZZNS1_14partition_implILS5_1ELb0ES3_jN6thrust23THRUST_200600_302600_NS6detail15normal_iteratorINSA_10device_ptrIiEEEEPS6_NSA_18transform_iteratorI7is_evenIiESF_NSA_11use_defaultESK_EENS0_5tupleIJNSA_16discard_iteratorISK_EESO_EEENSM_IJSG_SG_EEES6_PlJS6_EEE10hipError_tPvRmT3_T4_T5_T6_T7_T9_mT8_P12ihipStream_tbDpT10_ENKUlT_T0_E_clISt17integral_constantIbLb0EES1B_EEDaS16_S17_EUlS16_E_NS1_11comp_targetILNS1_3genE8ELNS1_11target_archE1030ELNS1_3gpuE2ELNS1_3repE0EEENS1_30default_config_static_selectorELNS0_4arch9wavefront6targetE1EEEvT1_
		.amdhsa_group_segment_fixed_size 0
		.amdhsa_private_segment_fixed_size 0
		.amdhsa_kernarg_size 144
		.amdhsa_user_sgpr_count 2
		.amdhsa_user_sgpr_dispatch_ptr 0
		.amdhsa_user_sgpr_queue_ptr 0
		.amdhsa_user_sgpr_kernarg_segment_ptr 1
		.amdhsa_user_sgpr_dispatch_id 0
		.amdhsa_user_sgpr_kernarg_preload_length 0
		.amdhsa_user_sgpr_kernarg_preload_offset 0
		.amdhsa_user_sgpr_private_segment_size 0
		.amdhsa_uses_dynamic_stack 0
		.amdhsa_enable_private_segment 0
		.amdhsa_system_sgpr_workgroup_id_x 1
		.amdhsa_system_sgpr_workgroup_id_y 0
		.amdhsa_system_sgpr_workgroup_id_z 0
		.amdhsa_system_sgpr_workgroup_info 0
		.amdhsa_system_vgpr_workitem_id 0
		.amdhsa_next_free_vgpr 1
		.amdhsa_next_free_sgpr 0
		.amdhsa_accum_offset 4
		.amdhsa_reserve_vcc 0
		.amdhsa_float_round_mode_32 0
		.amdhsa_float_round_mode_16_64 0
		.amdhsa_float_denorm_mode_32 3
		.amdhsa_float_denorm_mode_16_64 3
		.amdhsa_dx10_clamp 1
		.amdhsa_ieee_mode 1
		.amdhsa_fp16_overflow 0
		.amdhsa_tg_split 0
		.amdhsa_exception_fp_ieee_invalid_op 0
		.amdhsa_exception_fp_denorm_src 0
		.amdhsa_exception_fp_ieee_div_zero 0
		.amdhsa_exception_fp_ieee_overflow 0
		.amdhsa_exception_fp_ieee_underflow 0
		.amdhsa_exception_fp_ieee_inexact 0
		.amdhsa_exception_int_div_zero 0
	.end_amdhsa_kernel
	.section	.text._ZN7rocprim17ROCPRIM_400000_NS6detail17trampoline_kernelINS0_14default_configENS1_25partition_config_selectorILNS1_17partition_subalgoE1EiNS0_10empty_typeEbEEZZNS1_14partition_implILS5_1ELb0ES3_jN6thrust23THRUST_200600_302600_NS6detail15normal_iteratorINSA_10device_ptrIiEEEEPS6_NSA_18transform_iteratorI7is_evenIiESF_NSA_11use_defaultESK_EENS0_5tupleIJNSA_16discard_iteratorISK_EESO_EEENSM_IJSG_SG_EEES6_PlJS6_EEE10hipError_tPvRmT3_T4_T5_T6_T7_T9_mT8_P12ihipStream_tbDpT10_ENKUlT_T0_E_clISt17integral_constantIbLb0EES1B_EEDaS16_S17_EUlS16_E_NS1_11comp_targetILNS1_3genE8ELNS1_11target_archE1030ELNS1_3gpuE2ELNS1_3repE0EEENS1_30default_config_static_selectorELNS0_4arch9wavefront6targetE1EEEvT1_,"axG",@progbits,_ZN7rocprim17ROCPRIM_400000_NS6detail17trampoline_kernelINS0_14default_configENS1_25partition_config_selectorILNS1_17partition_subalgoE1EiNS0_10empty_typeEbEEZZNS1_14partition_implILS5_1ELb0ES3_jN6thrust23THRUST_200600_302600_NS6detail15normal_iteratorINSA_10device_ptrIiEEEEPS6_NSA_18transform_iteratorI7is_evenIiESF_NSA_11use_defaultESK_EENS0_5tupleIJNSA_16discard_iteratorISK_EESO_EEENSM_IJSG_SG_EEES6_PlJS6_EEE10hipError_tPvRmT3_T4_T5_T6_T7_T9_mT8_P12ihipStream_tbDpT10_ENKUlT_T0_E_clISt17integral_constantIbLb0EES1B_EEDaS16_S17_EUlS16_E_NS1_11comp_targetILNS1_3genE8ELNS1_11target_archE1030ELNS1_3gpuE2ELNS1_3repE0EEENS1_30default_config_static_selectorELNS0_4arch9wavefront6targetE1EEEvT1_,comdat
.Lfunc_end3266:
	.size	_ZN7rocprim17ROCPRIM_400000_NS6detail17trampoline_kernelINS0_14default_configENS1_25partition_config_selectorILNS1_17partition_subalgoE1EiNS0_10empty_typeEbEEZZNS1_14partition_implILS5_1ELb0ES3_jN6thrust23THRUST_200600_302600_NS6detail15normal_iteratorINSA_10device_ptrIiEEEEPS6_NSA_18transform_iteratorI7is_evenIiESF_NSA_11use_defaultESK_EENS0_5tupleIJNSA_16discard_iteratorISK_EESO_EEENSM_IJSG_SG_EEES6_PlJS6_EEE10hipError_tPvRmT3_T4_T5_T6_T7_T9_mT8_P12ihipStream_tbDpT10_ENKUlT_T0_E_clISt17integral_constantIbLb0EES1B_EEDaS16_S17_EUlS16_E_NS1_11comp_targetILNS1_3genE8ELNS1_11target_archE1030ELNS1_3gpuE2ELNS1_3repE0EEENS1_30default_config_static_selectorELNS0_4arch9wavefront6targetE1EEEvT1_, .Lfunc_end3266-_ZN7rocprim17ROCPRIM_400000_NS6detail17trampoline_kernelINS0_14default_configENS1_25partition_config_selectorILNS1_17partition_subalgoE1EiNS0_10empty_typeEbEEZZNS1_14partition_implILS5_1ELb0ES3_jN6thrust23THRUST_200600_302600_NS6detail15normal_iteratorINSA_10device_ptrIiEEEEPS6_NSA_18transform_iteratorI7is_evenIiESF_NSA_11use_defaultESK_EENS0_5tupleIJNSA_16discard_iteratorISK_EESO_EEENSM_IJSG_SG_EEES6_PlJS6_EEE10hipError_tPvRmT3_T4_T5_T6_T7_T9_mT8_P12ihipStream_tbDpT10_ENKUlT_T0_E_clISt17integral_constantIbLb0EES1B_EEDaS16_S17_EUlS16_E_NS1_11comp_targetILNS1_3genE8ELNS1_11target_archE1030ELNS1_3gpuE2ELNS1_3repE0EEENS1_30default_config_static_selectorELNS0_4arch9wavefront6targetE1EEEvT1_
                                        ; -- End function
	.section	.AMDGPU.csdata,"",@progbits
; Kernel info:
; codeLenInByte = 0
; NumSgprs: 6
; NumVgprs: 0
; NumAgprs: 0
; TotalNumVgprs: 0
; ScratchSize: 0
; MemoryBound: 0
; FloatMode: 240
; IeeeMode: 1
; LDSByteSize: 0 bytes/workgroup (compile time only)
; SGPRBlocks: 0
; VGPRBlocks: 0
; NumSGPRsForWavesPerEU: 6
; NumVGPRsForWavesPerEU: 1
; AccumOffset: 4
; Occupancy: 8
; WaveLimiterHint : 0
; COMPUTE_PGM_RSRC2:SCRATCH_EN: 0
; COMPUTE_PGM_RSRC2:USER_SGPR: 2
; COMPUTE_PGM_RSRC2:TRAP_HANDLER: 0
; COMPUTE_PGM_RSRC2:TGID_X_EN: 1
; COMPUTE_PGM_RSRC2:TGID_Y_EN: 0
; COMPUTE_PGM_RSRC2:TGID_Z_EN: 0
; COMPUTE_PGM_RSRC2:TIDIG_COMP_CNT: 0
; COMPUTE_PGM_RSRC3_GFX90A:ACCUM_OFFSET: 0
; COMPUTE_PGM_RSRC3_GFX90A:TG_SPLIT: 0
	.section	.text._ZN7rocprim17ROCPRIM_400000_NS6detail17trampoline_kernelINS0_14default_configENS1_25partition_config_selectorILNS1_17partition_subalgoE1EiNS0_10empty_typeEbEEZZNS1_14partition_implILS5_1ELb0ES3_jN6thrust23THRUST_200600_302600_NS6detail15normal_iteratorINSA_10device_ptrIiEEEEPS6_NSA_18transform_iteratorI7is_evenIiESF_NSA_11use_defaultESK_EENS0_5tupleIJNSA_16discard_iteratorISK_EESO_EEENSM_IJSG_SG_EEES6_PlJS6_EEE10hipError_tPvRmT3_T4_T5_T6_T7_T9_mT8_P12ihipStream_tbDpT10_ENKUlT_T0_E_clISt17integral_constantIbLb1EES1B_EEDaS16_S17_EUlS16_E_NS1_11comp_targetILNS1_3genE0ELNS1_11target_archE4294967295ELNS1_3gpuE0ELNS1_3repE0EEENS1_30default_config_static_selectorELNS0_4arch9wavefront6targetE1EEEvT1_,"axG",@progbits,_ZN7rocprim17ROCPRIM_400000_NS6detail17trampoline_kernelINS0_14default_configENS1_25partition_config_selectorILNS1_17partition_subalgoE1EiNS0_10empty_typeEbEEZZNS1_14partition_implILS5_1ELb0ES3_jN6thrust23THRUST_200600_302600_NS6detail15normal_iteratorINSA_10device_ptrIiEEEEPS6_NSA_18transform_iteratorI7is_evenIiESF_NSA_11use_defaultESK_EENS0_5tupleIJNSA_16discard_iteratorISK_EESO_EEENSM_IJSG_SG_EEES6_PlJS6_EEE10hipError_tPvRmT3_T4_T5_T6_T7_T9_mT8_P12ihipStream_tbDpT10_ENKUlT_T0_E_clISt17integral_constantIbLb1EES1B_EEDaS16_S17_EUlS16_E_NS1_11comp_targetILNS1_3genE0ELNS1_11target_archE4294967295ELNS1_3gpuE0ELNS1_3repE0EEENS1_30default_config_static_selectorELNS0_4arch9wavefront6targetE1EEEvT1_,comdat
	.protected	_ZN7rocprim17ROCPRIM_400000_NS6detail17trampoline_kernelINS0_14default_configENS1_25partition_config_selectorILNS1_17partition_subalgoE1EiNS0_10empty_typeEbEEZZNS1_14partition_implILS5_1ELb0ES3_jN6thrust23THRUST_200600_302600_NS6detail15normal_iteratorINSA_10device_ptrIiEEEEPS6_NSA_18transform_iteratorI7is_evenIiESF_NSA_11use_defaultESK_EENS0_5tupleIJNSA_16discard_iteratorISK_EESO_EEENSM_IJSG_SG_EEES6_PlJS6_EEE10hipError_tPvRmT3_T4_T5_T6_T7_T9_mT8_P12ihipStream_tbDpT10_ENKUlT_T0_E_clISt17integral_constantIbLb1EES1B_EEDaS16_S17_EUlS16_E_NS1_11comp_targetILNS1_3genE0ELNS1_11target_archE4294967295ELNS1_3gpuE0ELNS1_3repE0EEENS1_30default_config_static_selectorELNS0_4arch9wavefront6targetE1EEEvT1_ ; -- Begin function _ZN7rocprim17ROCPRIM_400000_NS6detail17trampoline_kernelINS0_14default_configENS1_25partition_config_selectorILNS1_17partition_subalgoE1EiNS0_10empty_typeEbEEZZNS1_14partition_implILS5_1ELb0ES3_jN6thrust23THRUST_200600_302600_NS6detail15normal_iteratorINSA_10device_ptrIiEEEEPS6_NSA_18transform_iteratorI7is_evenIiESF_NSA_11use_defaultESK_EENS0_5tupleIJNSA_16discard_iteratorISK_EESO_EEENSM_IJSG_SG_EEES6_PlJS6_EEE10hipError_tPvRmT3_T4_T5_T6_T7_T9_mT8_P12ihipStream_tbDpT10_ENKUlT_T0_E_clISt17integral_constantIbLb1EES1B_EEDaS16_S17_EUlS16_E_NS1_11comp_targetILNS1_3genE0ELNS1_11target_archE4294967295ELNS1_3gpuE0ELNS1_3repE0EEENS1_30default_config_static_selectorELNS0_4arch9wavefront6targetE1EEEvT1_
	.globl	_ZN7rocprim17ROCPRIM_400000_NS6detail17trampoline_kernelINS0_14default_configENS1_25partition_config_selectorILNS1_17partition_subalgoE1EiNS0_10empty_typeEbEEZZNS1_14partition_implILS5_1ELb0ES3_jN6thrust23THRUST_200600_302600_NS6detail15normal_iteratorINSA_10device_ptrIiEEEEPS6_NSA_18transform_iteratorI7is_evenIiESF_NSA_11use_defaultESK_EENS0_5tupleIJNSA_16discard_iteratorISK_EESO_EEENSM_IJSG_SG_EEES6_PlJS6_EEE10hipError_tPvRmT3_T4_T5_T6_T7_T9_mT8_P12ihipStream_tbDpT10_ENKUlT_T0_E_clISt17integral_constantIbLb1EES1B_EEDaS16_S17_EUlS16_E_NS1_11comp_targetILNS1_3genE0ELNS1_11target_archE4294967295ELNS1_3gpuE0ELNS1_3repE0EEENS1_30default_config_static_selectorELNS0_4arch9wavefront6targetE1EEEvT1_
	.p2align	8
	.type	_ZN7rocprim17ROCPRIM_400000_NS6detail17trampoline_kernelINS0_14default_configENS1_25partition_config_selectorILNS1_17partition_subalgoE1EiNS0_10empty_typeEbEEZZNS1_14partition_implILS5_1ELb0ES3_jN6thrust23THRUST_200600_302600_NS6detail15normal_iteratorINSA_10device_ptrIiEEEEPS6_NSA_18transform_iteratorI7is_evenIiESF_NSA_11use_defaultESK_EENS0_5tupleIJNSA_16discard_iteratorISK_EESO_EEENSM_IJSG_SG_EEES6_PlJS6_EEE10hipError_tPvRmT3_T4_T5_T6_T7_T9_mT8_P12ihipStream_tbDpT10_ENKUlT_T0_E_clISt17integral_constantIbLb1EES1B_EEDaS16_S17_EUlS16_E_NS1_11comp_targetILNS1_3genE0ELNS1_11target_archE4294967295ELNS1_3gpuE0ELNS1_3repE0EEENS1_30default_config_static_selectorELNS0_4arch9wavefront6targetE1EEEvT1_,@function
_ZN7rocprim17ROCPRIM_400000_NS6detail17trampoline_kernelINS0_14default_configENS1_25partition_config_selectorILNS1_17partition_subalgoE1EiNS0_10empty_typeEbEEZZNS1_14partition_implILS5_1ELb0ES3_jN6thrust23THRUST_200600_302600_NS6detail15normal_iteratorINSA_10device_ptrIiEEEEPS6_NSA_18transform_iteratorI7is_evenIiESF_NSA_11use_defaultESK_EENS0_5tupleIJNSA_16discard_iteratorISK_EESO_EEENSM_IJSG_SG_EEES6_PlJS6_EEE10hipError_tPvRmT3_T4_T5_T6_T7_T9_mT8_P12ihipStream_tbDpT10_ENKUlT_T0_E_clISt17integral_constantIbLb1EES1B_EEDaS16_S17_EUlS16_E_NS1_11comp_targetILNS1_3genE0ELNS1_11target_archE4294967295ELNS1_3gpuE0ELNS1_3repE0EEENS1_30default_config_static_selectorELNS0_4arch9wavefront6targetE1EEEvT1_: ; @_ZN7rocprim17ROCPRIM_400000_NS6detail17trampoline_kernelINS0_14default_configENS1_25partition_config_selectorILNS1_17partition_subalgoE1EiNS0_10empty_typeEbEEZZNS1_14partition_implILS5_1ELb0ES3_jN6thrust23THRUST_200600_302600_NS6detail15normal_iteratorINSA_10device_ptrIiEEEEPS6_NSA_18transform_iteratorI7is_evenIiESF_NSA_11use_defaultESK_EENS0_5tupleIJNSA_16discard_iteratorISK_EESO_EEENSM_IJSG_SG_EEES6_PlJS6_EEE10hipError_tPvRmT3_T4_T5_T6_T7_T9_mT8_P12ihipStream_tbDpT10_ENKUlT_T0_E_clISt17integral_constantIbLb1EES1B_EEDaS16_S17_EUlS16_E_NS1_11comp_targetILNS1_3genE0ELNS1_11target_archE4294967295ELNS1_3gpuE0ELNS1_3repE0EEENS1_30default_config_static_selectorELNS0_4arch9wavefront6targetE1EEEvT1_
; %bb.0:
	.section	.rodata,"a",@progbits
	.p2align	6, 0x0
	.amdhsa_kernel _ZN7rocprim17ROCPRIM_400000_NS6detail17trampoline_kernelINS0_14default_configENS1_25partition_config_selectorILNS1_17partition_subalgoE1EiNS0_10empty_typeEbEEZZNS1_14partition_implILS5_1ELb0ES3_jN6thrust23THRUST_200600_302600_NS6detail15normal_iteratorINSA_10device_ptrIiEEEEPS6_NSA_18transform_iteratorI7is_evenIiESF_NSA_11use_defaultESK_EENS0_5tupleIJNSA_16discard_iteratorISK_EESO_EEENSM_IJSG_SG_EEES6_PlJS6_EEE10hipError_tPvRmT3_T4_T5_T6_T7_T9_mT8_P12ihipStream_tbDpT10_ENKUlT_T0_E_clISt17integral_constantIbLb1EES1B_EEDaS16_S17_EUlS16_E_NS1_11comp_targetILNS1_3genE0ELNS1_11target_archE4294967295ELNS1_3gpuE0ELNS1_3repE0EEENS1_30default_config_static_selectorELNS0_4arch9wavefront6targetE1EEEvT1_
		.amdhsa_group_segment_fixed_size 0
		.amdhsa_private_segment_fixed_size 0
		.amdhsa_kernarg_size 160
		.amdhsa_user_sgpr_count 2
		.amdhsa_user_sgpr_dispatch_ptr 0
		.amdhsa_user_sgpr_queue_ptr 0
		.amdhsa_user_sgpr_kernarg_segment_ptr 1
		.amdhsa_user_sgpr_dispatch_id 0
		.amdhsa_user_sgpr_kernarg_preload_length 0
		.amdhsa_user_sgpr_kernarg_preload_offset 0
		.amdhsa_user_sgpr_private_segment_size 0
		.amdhsa_uses_dynamic_stack 0
		.amdhsa_enable_private_segment 0
		.amdhsa_system_sgpr_workgroup_id_x 1
		.amdhsa_system_sgpr_workgroup_id_y 0
		.amdhsa_system_sgpr_workgroup_id_z 0
		.amdhsa_system_sgpr_workgroup_info 0
		.amdhsa_system_vgpr_workitem_id 0
		.amdhsa_next_free_vgpr 1
		.amdhsa_next_free_sgpr 0
		.amdhsa_accum_offset 4
		.amdhsa_reserve_vcc 0
		.amdhsa_float_round_mode_32 0
		.amdhsa_float_round_mode_16_64 0
		.amdhsa_float_denorm_mode_32 3
		.amdhsa_float_denorm_mode_16_64 3
		.amdhsa_dx10_clamp 1
		.amdhsa_ieee_mode 1
		.amdhsa_fp16_overflow 0
		.amdhsa_tg_split 0
		.amdhsa_exception_fp_ieee_invalid_op 0
		.amdhsa_exception_fp_denorm_src 0
		.amdhsa_exception_fp_ieee_div_zero 0
		.amdhsa_exception_fp_ieee_overflow 0
		.amdhsa_exception_fp_ieee_underflow 0
		.amdhsa_exception_fp_ieee_inexact 0
		.amdhsa_exception_int_div_zero 0
	.end_amdhsa_kernel
	.section	.text._ZN7rocprim17ROCPRIM_400000_NS6detail17trampoline_kernelINS0_14default_configENS1_25partition_config_selectorILNS1_17partition_subalgoE1EiNS0_10empty_typeEbEEZZNS1_14partition_implILS5_1ELb0ES3_jN6thrust23THRUST_200600_302600_NS6detail15normal_iteratorINSA_10device_ptrIiEEEEPS6_NSA_18transform_iteratorI7is_evenIiESF_NSA_11use_defaultESK_EENS0_5tupleIJNSA_16discard_iteratorISK_EESO_EEENSM_IJSG_SG_EEES6_PlJS6_EEE10hipError_tPvRmT3_T4_T5_T6_T7_T9_mT8_P12ihipStream_tbDpT10_ENKUlT_T0_E_clISt17integral_constantIbLb1EES1B_EEDaS16_S17_EUlS16_E_NS1_11comp_targetILNS1_3genE0ELNS1_11target_archE4294967295ELNS1_3gpuE0ELNS1_3repE0EEENS1_30default_config_static_selectorELNS0_4arch9wavefront6targetE1EEEvT1_,"axG",@progbits,_ZN7rocprim17ROCPRIM_400000_NS6detail17trampoline_kernelINS0_14default_configENS1_25partition_config_selectorILNS1_17partition_subalgoE1EiNS0_10empty_typeEbEEZZNS1_14partition_implILS5_1ELb0ES3_jN6thrust23THRUST_200600_302600_NS6detail15normal_iteratorINSA_10device_ptrIiEEEEPS6_NSA_18transform_iteratorI7is_evenIiESF_NSA_11use_defaultESK_EENS0_5tupleIJNSA_16discard_iteratorISK_EESO_EEENSM_IJSG_SG_EEES6_PlJS6_EEE10hipError_tPvRmT3_T4_T5_T6_T7_T9_mT8_P12ihipStream_tbDpT10_ENKUlT_T0_E_clISt17integral_constantIbLb1EES1B_EEDaS16_S17_EUlS16_E_NS1_11comp_targetILNS1_3genE0ELNS1_11target_archE4294967295ELNS1_3gpuE0ELNS1_3repE0EEENS1_30default_config_static_selectorELNS0_4arch9wavefront6targetE1EEEvT1_,comdat
.Lfunc_end3267:
	.size	_ZN7rocprim17ROCPRIM_400000_NS6detail17trampoline_kernelINS0_14default_configENS1_25partition_config_selectorILNS1_17partition_subalgoE1EiNS0_10empty_typeEbEEZZNS1_14partition_implILS5_1ELb0ES3_jN6thrust23THRUST_200600_302600_NS6detail15normal_iteratorINSA_10device_ptrIiEEEEPS6_NSA_18transform_iteratorI7is_evenIiESF_NSA_11use_defaultESK_EENS0_5tupleIJNSA_16discard_iteratorISK_EESO_EEENSM_IJSG_SG_EEES6_PlJS6_EEE10hipError_tPvRmT3_T4_T5_T6_T7_T9_mT8_P12ihipStream_tbDpT10_ENKUlT_T0_E_clISt17integral_constantIbLb1EES1B_EEDaS16_S17_EUlS16_E_NS1_11comp_targetILNS1_3genE0ELNS1_11target_archE4294967295ELNS1_3gpuE0ELNS1_3repE0EEENS1_30default_config_static_selectorELNS0_4arch9wavefront6targetE1EEEvT1_, .Lfunc_end3267-_ZN7rocprim17ROCPRIM_400000_NS6detail17trampoline_kernelINS0_14default_configENS1_25partition_config_selectorILNS1_17partition_subalgoE1EiNS0_10empty_typeEbEEZZNS1_14partition_implILS5_1ELb0ES3_jN6thrust23THRUST_200600_302600_NS6detail15normal_iteratorINSA_10device_ptrIiEEEEPS6_NSA_18transform_iteratorI7is_evenIiESF_NSA_11use_defaultESK_EENS0_5tupleIJNSA_16discard_iteratorISK_EESO_EEENSM_IJSG_SG_EEES6_PlJS6_EEE10hipError_tPvRmT3_T4_T5_T6_T7_T9_mT8_P12ihipStream_tbDpT10_ENKUlT_T0_E_clISt17integral_constantIbLb1EES1B_EEDaS16_S17_EUlS16_E_NS1_11comp_targetILNS1_3genE0ELNS1_11target_archE4294967295ELNS1_3gpuE0ELNS1_3repE0EEENS1_30default_config_static_selectorELNS0_4arch9wavefront6targetE1EEEvT1_
                                        ; -- End function
	.section	.AMDGPU.csdata,"",@progbits
; Kernel info:
; codeLenInByte = 0
; NumSgprs: 6
; NumVgprs: 0
; NumAgprs: 0
; TotalNumVgprs: 0
; ScratchSize: 0
; MemoryBound: 0
; FloatMode: 240
; IeeeMode: 1
; LDSByteSize: 0 bytes/workgroup (compile time only)
; SGPRBlocks: 0
; VGPRBlocks: 0
; NumSGPRsForWavesPerEU: 6
; NumVGPRsForWavesPerEU: 1
; AccumOffset: 4
; Occupancy: 8
; WaveLimiterHint : 0
; COMPUTE_PGM_RSRC2:SCRATCH_EN: 0
; COMPUTE_PGM_RSRC2:USER_SGPR: 2
; COMPUTE_PGM_RSRC2:TRAP_HANDLER: 0
; COMPUTE_PGM_RSRC2:TGID_X_EN: 1
; COMPUTE_PGM_RSRC2:TGID_Y_EN: 0
; COMPUTE_PGM_RSRC2:TGID_Z_EN: 0
; COMPUTE_PGM_RSRC2:TIDIG_COMP_CNT: 0
; COMPUTE_PGM_RSRC3_GFX90A:ACCUM_OFFSET: 0
; COMPUTE_PGM_RSRC3_GFX90A:TG_SPLIT: 0
	.section	.text._ZN7rocprim17ROCPRIM_400000_NS6detail17trampoline_kernelINS0_14default_configENS1_25partition_config_selectorILNS1_17partition_subalgoE1EiNS0_10empty_typeEbEEZZNS1_14partition_implILS5_1ELb0ES3_jN6thrust23THRUST_200600_302600_NS6detail15normal_iteratorINSA_10device_ptrIiEEEEPS6_NSA_18transform_iteratorI7is_evenIiESF_NSA_11use_defaultESK_EENS0_5tupleIJNSA_16discard_iteratorISK_EESO_EEENSM_IJSG_SG_EEES6_PlJS6_EEE10hipError_tPvRmT3_T4_T5_T6_T7_T9_mT8_P12ihipStream_tbDpT10_ENKUlT_T0_E_clISt17integral_constantIbLb1EES1B_EEDaS16_S17_EUlS16_E_NS1_11comp_targetILNS1_3genE5ELNS1_11target_archE942ELNS1_3gpuE9ELNS1_3repE0EEENS1_30default_config_static_selectorELNS0_4arch9wavefront6targetE1EEEvT1_,"axG",@progbits,_ZN7rocprim17ROCPRIM_400000_NS6detail17trampoline_kernelINS0_14default_configENS1_25partition_config_selectorILNS1_17partition_subalgoE1EiNS0_10empty_typeEbEEZZNS1_14partition_implILS5_1ELb0ES3_jN6thrust23THRUST_200600_302600_NS6detail15normal_iteratorINSA_10device_ptrIiEEEEPS6_NSA_18transform_iteratorI7is_evenIiESF_NSA_11use_defaultESK_EENS0_5tupleIJNSA_16discard_iteratorISK_EESO_EEENSM_IJSG_SG_EEES6_PlJS6_EEE10hipError_tPvRmT3_T4_T5_T6_T7_T9_mT8_P12ihipStream_tbDpT10_ENKUlT_T0_E_clISt17integral_constantIbLb1EES1B_EEDaS16_S17_EUlS16_E_NS1_11comp_targetILNS1_3genE5ELNS1_11target_archE942ELNS1_3gpuE9ELNS1_3repE0EEENS1_30default_config_static_selectorELNS0_4arch9wavefront6targetE1EEEvT1_,comdat
	.protected	_ZN7rocprim17ROCPRIM_400000_NS6detail17trampoline_kernelINS0_14default_configENS1_25partition_config_selectorILNS1_17partition_subalgoE1EiNS0_10empty_typeEbEEZZNS1_14partition_implILS5_1ELb0ES3_jN6thrust23THRUST_200600_302600_NS6detail15normal_iteratorINSA_10device_ptrIiEEEEPS6_NSA_18transform_iteratorI7is_evenIiESF_NSA_11use_defaultESK_EENS0_5tupleIJNSA_16discard_iteratorISK_EESO_EEENSM_IJSG_SG_EEES6_PlJS6_EEE10hipError_tPvRmT3_T4_T5_T6_T7_T9_mT8_P12ihipStream_tbDpT10_ENKUlT_T0_E_clISt17integral_constantIbLb1EES1B_EEDaS16_S17_EUlS16_E_NS1_11comp_targetILNS1_3genE5ELNS1_11target_archE942ELNS1_3gpuE9ELNS1_3repE0EEENS1_30default_config_static_selectorELNS0_4arch9wavefront6targetE1EEEvT1_ ; -- Begin function _ZN7rocprim17ROCPRIM_400000_NS6detail17trampoline_kernelINS0_14default_configENS1_25partition_config_selectorILNS1_17partition_subalgoE1EiNS0_10empty_typeEbEEZZNS1_14partition_implILS5_1ELb0ES3_jN6thrust23THRUST_200600_302600_NS6detail15normal_iteratorINSA_10device_ptrIiEEEEPS6_NSA_18transform_iteratorI7is_evenIiESF_NSA_11use_defaultESK_EENS0_5tupleIJNSA_16discard_iteratorISK_EESO_EEENSM_IJSG_SG_EEES6_PlJS6_EEE10hipError_tPvRmT3_T4_T5_T6_T7_T9_mT8_P12ihipStream_tbDpT10_ENKUlT_T0_E_clISt17integral_constantIbLb1EES1B_EEDaS16_S17_EUlS16_E_NS1_11comp_targetILNS1_3genE5ELNS1_11target_archE942ELNS1_3gpuE9ELNS1_3repE0EEENS1_30default_config_static_selectorELNS0_4arch9wavefront6targetE1EEEvT1_
	.globl	_ZN7rocprim17ROCPRIM_400000_NS6detail17trampoline_kernelINS0_14default_configENS1_25partition_config_selectorILNS1_17partition_subalgoE1EiNS0_10empty_typeEbEEZZNS1_14partition_implILS5_1ELb0ES3_jN6thrust23THRUST_200600_302600_NS6detail15normal_iteratorINSA_10device_ptrIiEEEEPS6_NSA_18transform_iteratorI7is_evenIiESF_NSA_11use_defaultESK_EENS0_5tupleIJNSA_16discard_iteratorISK_EESO_EEENSM_IJSG_SG_EEES6_PlJS6_EEE10hipError_tPvRmT3_T4_T5_T6_T7_T9_mT8_P12ihipStream_tbDpT10_ENKUlT_T0_E_clISt17integral_constantIbLb1EES1B_EEDaS16_S17_EUlS16_E_NS1_11comp_targetILNS1_3genE5ELNS1_11target_archE942ELNS1_3gpuE9ELNS1_3repE0EEENS1_30default_config_static_selectorELNS0_4arch9wavefront6targetE1EEEvT1_
	.p2align	8
	.type	_ZN7rocprim17ROCPRIM_400000_NS6detail17trampoline_kernelINS0_14default_configENS1_25partition_config_selectorILNS1_17partition_subalgoE1EiNS0_10empty_typeEbEEZZNS1_14partition_implILS5_1ELb0ES3_jN6thrust23THRUST_200600_302600_NS6detail15normal_iteratorINSA_10device_ptrIiEEEEPS6_NSA_18transform_iteratorI7is_evenIiESF_NSA_11use_defaultESK_EENS0_5tupleIJNSA_16discard_iteratorISK_EESO_EEENSM_IJSG_SG_EEES6_PlJS6_EEE10hipError_tPvRmT3_T4_T5_T6_T7_T9_mT8_P12ihipStream_tbDpT10_ENKUlT_T0_E_clISt17integral_constantIbLb1EES1B_EEDaS16_S17_EUlS16_E_NS1_11comp_targetILNS1_3genE5ELNS1_11target_archE942ELNS1_3gpuE9ELNS1_3repE0EEENS1_30default_config_static_selectorELNS0_4arch9wavefront6targetE1EEEvT1_,@function
_ZN7rocprim17ROCPRIM_400000_NS6detail17trampoline_kernelINS0_14default_configENS1_25partition_config_selectorILNS1_17partition_subalgoE1EiNS0_10empty_typeEbEEZZNS1_14partition_implILS5_1ELb0ES3_jN6thrust23THRUST_200600_302600_NS6detail15normal_iteratorINSA_10device_ptrIiEEEEPS6_NSA_18transform_iteratorI7is_evenIiESF_NSA_11use_defaultESK_EENS0_5tupleIJNSA_16discard_iteratorISK_EESO_EEENSM_IJSG_SG_EEES6_PlJS6_EEE10hipError_tPvRmT3_T4_T5_T6_T7_T9_mT8_P12ihipStream_tbDpT10_ENKUlT_T0_E_clISt17integral_constantIbLb1EES1B_EEDaS16_S17_EUlS16_E_NS1_11comp_targetILNS1_3genE5ELNS1_11target_archE942ELNS1_3gpuE9ELNS1_3repE0EEENS1_30default_config_static_selectorELNS0_4arch9wavefront6targetE1EEEvT1_: ; @_ZN7rocprim17ROCPRIM_400000_NS6detail17trampoline_kernelINS0_14default_configENS1_25partition_config_selectorILNS1_17partition_subalgoE1EiNS0_10empty_typeEbEEZZNS1_14partition_implILS5_1ELb0ES3_jN6thrust23THRUST_200600_302600_NS6detail15normal_iteratorINSA_10device_ptrIiEEEEPS6_NSA_18transform_iteratorI7is_evenIiESF_NSA_11use_defaultESK_EENS0_5tupleIJNSA_16discard_iteratorISK_EESO_EEENSM_IJSG_SG_EEES6_PlJS6_EEE10hipError_tPvRmT3_T4_T5_T6_T7_T9_mT8_P12ihipStream_tbDpT10_ENKUlT_T0_E_clISt17integral_constantIbLb1EES1B_EEDaS16_S17_EUlS16_E_NS1_11comp_targetILNS1_3genE5ELNS1_11target_archE942ELNS1_3gpuE9ELNS1_3repE0EEENS1_30default_config_static_selectorELNS0_4arch9wavefront6targetE1EEEvT1_
; %bb.0:
	s_load_dwordx2 s[2:3], s[0:1], 0x20
	s_load_dwordx4 s[20:23], s[0:1], 0x60
	s_load_dwordx2 s[10:11], s[0:1], 0x70
	s_load_dwordx2 s[24:25], s[0:1], 0x80
	v_cmp_eq_u32_e64 s[18:19], 0, v0
	s_and_saveexec_b64 s[4:5], s[18:19]
	s_cbranch_execz .LBB3268_4
; %bb.1:
	s_mov_b64 s[8:9], exec
	v_mbcnt_lo_u32_b32 v1, s8, 0
	v_mbcnt_hi_u32_b32 v1, s9, v1
	v_cmp_eq_u32_e32 vcc, 0, v1
                                        ; implicit-def: $vgpr2
	s_and_saveexec_b64 s[6:7], vcc
	s_cbranch_execz .LBB3268_3
; %bb.2:
	s_load_dwordx2 s[12:13], s[0:1], 0x90
	s_bcnt1_i32_b64 s8, s[8:9]
	v_mov_b32_e32 v2, 0
	v_mov_b32_e32 v3, s8
	s_waitcnt lgkmcnt(0)
	global_atomic_add v2, v2, v3, s[12:13] sc0
.LBB3268_3:
	s_or_b64 exec, exec, s[6:7]
	s_waitcnt vmcnt(0)
	v_readfirstlane_b32 s6, v2
	v_mov_b32_e32 v2, 0
	s_nop 0
	v_add_u32_e32 v1, s6, v1
	ds_write_b32 v2, v1
.LBB3268_4:
	s_or_b64 exec, exec, s[4:5]
	v_mov_b32_e32 v3, 0
	s_load_dwordx4 s[4:7], s[0:1], 0x8
	s_load_dword s12, s[0:1], 0x88
	s_waitcnt lgkmcnt(0)
	s_barrier
	ds_read_b32 v1, v3
	s_waitcnt lgkmcnt(0)
	s_barrier
	global_load_dwordx2 v[22:23], v3, s[22:23]
	s_lshl_b64 s[8:9], s[6:7], 2
	v_mov_b32_e32 v5, s11
	s_add_u32 s11, s4, s8
	s_mul_i32 s4, s12, 0x1e00
	s_addc_u32 s13, s5, s9
	s_add_i32 s1, s4, s6
	s_sub_i32 s14, s10, s1
	s_add_i32 s15, s12, -1
	s_addk_i32 s14, 0x1e00
	s_add_u32 s4, s6, s4
	v_readfirstlane_b32 s30, v1
	s_addc_u32 s5, s7, 0
	s_cmp_eq_u32 s30, s15
	v_mov_b32_e32 v4, s10
	s_cselect_b64 s[22:23], -1, 0
	s_cmp_lg_u32 s30, s15
	s_mul_i32 s0, s30, 0x1e00
	s_mov_b32 s1, 0
	v_cmp_lt_u64_e32 vcc, s[4:5], v[4:5]
	s_cselect_b64 s[4:5], -1, 0
	s_or_b64 s[4:5], vcc, s[4:5]
	s_lshl_b64 s[6:7], s[0:1], 2
	s_add_u32 s10, s11, s6
	s_addc_u32 s11, s13, s7
	s_mov_b64 s[0:1], -1
	s_and_b64 vcc, exec, s[4:5]
	s_cbranch_vccz .LBB3268_6
; %bb.5:
	v_lshlrev_b32_e32 v2, 2, v0
	v_lshl_add_u64 v[4:5], s[10:11], 0, v[2:3]
	v_add_co_u32_e32 v6, vcc, 0x1000, v4
	s_mov_b64 s[0:1], 0
	s_nop 0
	v_addc_co_u32_e32 v7, vcc, 0, v5, vcc
	v_add_co_u32_e32 v8, vcc, 0x2000, v4
	s_nop 1
	v_addc_co_u32_e32 v9, vcc, 0, v5, vcc
	v_add_co_u32_e32 v10, vcc, 0x3000, v4
	s_nop 1
	v_addc_co_u32_e32 v11, vcc, 0, v5, vcc
	flat_load_dword v1, v[4:5]
	flat_load_dword v3, v[4:5] offset:2048
	flat_load_dword v12, v[6:7]
	flat_load_dword v13, v[6:7] offset:2048
	;; [unrolled: 2-line block ×4, first 2 shown]
	v_add_co_u32_e32 v6, vcc, 0x4000, v4
	s_nop 1
	v_addc_co_u32_e32 v7, vcc, 0, v5, vcc
	v_add_co_u32_e32 v8, vcc, 0x5000, v4
	s_nop 1
	v_addc_co_u32_e32 v9, vcc, 0, v5, vcc
	;; [unrolled: 3-line block ×4, first 2 shown]
	flat_load_dword v18, v[6:7]
	flat_load_dword v19, v[6:7] offset:2048
	flat_load_dword v20, v[8:9]
	flat_load_dword v21, v[8:9] offset:2048
	;; [unrolled: 2-line block ×3, first 2 shown]
	flat_load_dword v26, v[4:5]
	s_waitcnt vmcnt(0) lgkmcnt(0)
	ds_write2st64_b32 v2, v1, v3 offset1:8
	ds_write2st64_b32 v2, v12, v13 offset0:16 offset1:24
	ds_write2st64_b32 v2, v14, v15 offset0:32 offset1:40
	;; [unrolled: 1-line block ×6, first 2 shown]
	ds_write_b32 v2, v26 offset:28672
	s_waitcnt lgkmcnt(0)
	s_barrier
.LBB3268_6:
	s_andn2_b64 vcc, exec, s[0:1]
	v_cmp_gt_u32_e64 s[0:1], s14, v0
	s_cbranch_vccnz .LBB3268_38
; %bb.7:
                                        ; implicit-def: $vgpr2_vgpr3_vgpr4_vgpr5_vgpr6_vgpr7_vgpr8_vgpr9_vgpr10_vgpr11_vgpr12_vgpr13_vgpr14_vgpr15_vgpr16_vgpr17
	s_and_saveexec_b64 s[12:13], s[0:1]
	s_cbranch_execz .LBB3268_9
; %bb.8:
	v_lshlrev_b32_e32 v2, 2, v0
	v_mov_b32_e32 v3, 0
	v_lshl_add_u64 v[2:3], s[10:11], 0, v[2:3]
	flat_load_dword v2, v[2:3]
.LBB3268_9:
	s_or_b64 exec, exec, s[12:13]
	v_or_b32_e32 v1, 0x200, v0
	v_cmp_gt_u32_e32 vcc, s14, v1
	s_and_saveexec_b64 s[0:1], vcc
	s_cbranch_execz .LBB3268_11
; %bb.10:
	v_lshlrev_b32_e32 v18, 2, v0
	v_mov_b32_e32 v19, 0
	v_lshl_add_u64 v[18:19], s[10:11], 0, v[18:19]
	flat_load_dword v3, v[18:19] offset:2048
.LBB3268_11:
	s_or_b64 exec, exec, s[0:1]
	v_or_b32_e32 v1, 0x400, v0
	v_cmp_gt_u32_e32 vcc, s14, v1
	s_and_saveexec_b64 s[0:1], vcc
	s_cbranch_execz .LBB3268_13
; %bb.12:
	v_lshlrev_b32_e32 v18, 2, v1
	v_mov_b32_e32 v19, 0
	v_lshl_add_u64 v[18:19], s[10:11], 0, v[18:19]
	flat_load_dword v4, v[18:19]
.LBB3268_13:
	s_or_b64 exec, exec, s[0:1]
	v_or_b32_e32 v1, 0x600, v0
	v_cmp_gt_u32_e32 vcc, s14, v1
	s_and_saveexec_b64 s[0:1], vcc
	s_cbranch_execz .LBB3268_15
; %bb.14:
	v_lshlrev_b32_e32 v18, 2, v1
	v_mov_b32_e32 v19, 0
	v_lshl_add_u64 v[18:19], s[10:11], 0, v[18:19]
	flat_load_dword v5, v[18:19]
.LBB3268_15:
	;; [unrolled: 11-line block ×13, first 2 shown]
	s_or_b64 exec, exec, s[0:1]
	v_lshlrev_b32_e32 v1, 2, v0
	s_waitcnt vmcnt(0) lgkmcnt(0)
	ds_write2st64_b32 v1, v2, v3 offset1:8
	ds_write2st64_b32 v1, v4, v5 offset0:16 offset1:24
	ds_write2st64_b32 v1, v6, v7 offset0:32 offset1:40
	;; [unrolled: 1-line block ×6, first 2 shown]
	ds_write_b32 v1, v16 offset:28672
	s_waitcnt lgkmcnt(0)
	s_barrier
.LBB3268_38:
	v_mul_u32_u24_e32 v21, 15, v0
	v_lshlrev_b32_e32 v1, 2, v21
	ds_read2_b32 v[36:37], v1 offset1:1
	ds_read2_b32 v[34:35], v1 offset0:2 offset1:3
	ds_read2_b32 v[32:33], v1 offset0:4 offset1:5
	;; [unrolled: 1-line block ×6, first 2 shown]
	ds_read_b32 v1, v1 offset:56
	s_add_u32 s0, s2, s8
	s_addc_u32 s1, s3, s9
	s_add_u32 s0, s0, s6
	s_addc_u32 s1, s1, s7
	s_mov_b64 s[2:3], -1
	s_and_b64 vcc, exec, s[4:5]
	s_waitcnt lgkmcnt(0)
	s_barrier
	s_cbranch_vccz .LBB3268_40
; %bb.39:
	v_lshlrev_b32_e32 v2, 2, v0
	v_mov_b32_e32 v3, 0
	v_lshl_add_u64 v[4:5], s[0:1], 0, v[2:3]
	global_load_dword v8, v2, s[0:1]
	global_load_dword v9, v2, s[0:1] offset:2048
	v_add_co_u32_e32 v2, vcc, 0x1000, v4
	s_mov_b64 s[2:3], 0
	s_nop 0
	v_addc_co_u32_e32 v3, vcc, 0, v5, vcc
	v_add_co_u32_e32 v6, vcc, 0x2000, v4
	s_nop 1
	v_addc_co_u32_e32 v7, vcc, 0, v5, vcc
	global_load_dword v10, v[2:3], off
	global_load_dword v11, v[2:3], off offset:2048
	global_load_dword v12, v[6:7], off
	global_load_dword v13, v[6:7], off offset:2048
	v_add_co_u32_e32 v2, vcc, 0x3000, v4
	s_nop 1
	v_addc_co_u32_e32 v3, vcc, 0, v5, vcc
	v_add_co_u32_e32 v6, vcc, 0x4000, v4
	s_nop 1
	v_addc_co_u32_e32 v7, vcc, 0, v5, vcc
	global_load_dword v14, v[2:3], off
	global_load_dword v15, v[2:3], off offset:2048
	global_load_dword v16, v[6:7], off
	global_load_dword v17, v[6:7], off offset:2048
	v_add_co_u32_e32 v2, vcc, 0x5000, v4
	s_nop 1
	v_addc_co_u32_e32 v3, vcc, 0, v5, vcc
	global_load_dword v6, v[2:3], off
	global_load_dword v7, v[2:3], off offset:2048
	v_add_co_u32_e32 v2, vcc, 0x6000, v4
	s_waitcnt vmcnt(1)
	v_xor_b32_e32 v6, -1, v6
	v_addc_co_u32_e32 v3, vcc, 0, v5, vcc
	global_load_dword v18, v[2:3], off
	global_load_dword v19, v[2:3], off offset:2048
	v_add_co_u32_e32 v2, vcc, 0x7000, v4
	v_xor_b32_e32 v4, -1, v9
	s_nop 0
	v_addc_co_u32_e32 v3, vcc, 0, v5, vcc
	global_load_dword v2, v[2:3], off
	v_xor_b32_e32 v3, -1, v8
	v_and_b32_e32 v3, 1, v3
	v_and_b32_e32 v4, 1, v4
	ds_write_b8 v0, v3
	ds_write_b8 v0, v4 offset:512
	v_xor_b32_e32 v3, -1, v10
	v_xor_b32_e32 v4, -1, v11
	v_and_b32_e32 v3, 1, v3
	v_and_b32_e32 v4, 1, v4
	v_xor_b32_e32 v5, -1, v12
	v_xor_b32_e32 v8, -1, v13
	;; [unrolled: 1-line block ×4, first 2 shown]
	v_and_b32_e32 v5, 1, v5
	v_and_b32_e32 v8, 1, v8
	ds_write_b8 v0, v3 offset:1024
	ds_write_b8 v0, v4 offset:1536
	v_and_b32_e32 v3, 1, v9
	v_and_b32_e32 v4, 1, v10
	v_xor_b32_e32 v9, -1, v16
	v_xor_b32_e32 v10, -1, v17
	s_waitcnt vmcnt(3)
	v_xor_b32_e32 v7, -1, v7
	ds_write_b8 v0, v5 offset:2048
	ds_write_b8 v0, v8 offset:2560
	v_and_b32_e32 v5, 1, v9
	v_and_b32_e32 v8, 1, v10
	ds_write_b8 v0, v3 offset:3072
	ds_write_b8 v0, v4 offset:3584
	v_and_b32_e32 v3, 1, v6
	v_and_b32_e32 v4, 1, v7
	ds_write_b8 v0, v5 offset:4096
	s_waitcnt vmcnt(2)
	v_xor_b32_e32 v6, -1, v18
	s_waitcnt vmcnt(1)
	v_xor_b32_e32 v7, -1, v19
	v_and_b32_e32 v5, 1, v6
	v_and_b32_e32 v6, 1, v7
	s_waitcnt vmcnt(0)
	v_xor_b32_e32 v2, -1, v2
	v_and_b32_e32 v2, 1, v2
	ds_write_b8 v0, v8 offset:4608
	ds_write_b8 v0, v3 offset:5120
	;; [unrolled: 1-line block ×6, first 2 shown]
	s_waitcnt lgkmcnt(0)
	s_barrier
.LBB3268_40:
	s_andn2_b64 vcc, exec, s[2:3]
	s_cbranch_vccnz .LBB3268_72
; %bb.41:
	v_cmp_gt_u32_e32 vcc, s14, v0
	v_mov_b32_e32 v2, 0
	v_mov_b32_e32 v3, 0
	s_and_saveexec_b64 s[2:3], vcc
	s_cbranch_execz .LBB3268_43
; %bb.42:
	v_lshlrev_b32_e32 v3, 2, v0
	global_load_dword v3, v3, s[0:1]
	s_waitcnt vmcnt(0)
	v_xor_b32_e32 v3, -1, v3
	v_and_b32_e32 v3, 1, v3
.LBB3268_43:
	s_or_b64 exec, exec, s[2:3]
	v_or_b32_e32 v4, 0x200, v0
	v_cmp_gt_u32_e32 vcc, s14, v4
	s_and_saveexec_b64 s[2:3], vcc
	s_cbranch_execz .LBB3268_45
; %bb.44:
	v_lshlrev_b32_e32 v2, 2, v0
	global_load_dword v2, v2, s[0:1] offset:2048
	s_waitcnt vmcnt(0)
	v_xor_b32_e32 v2, -1, v2
	v_and_b32_e32 v2, 1, v2
.LBB3268_45:
	s_or_b64 exec, exec, s[2:3]
	v_or_b32_e32 v6, 0x400, v0
	v_cmp_gt_u32_e32 vcc, s14, v6
	v_mov_b32_e32 v4, 0
	v_mov_b32_e32 v5, 0
	s_and_saveexec_b64 s[2:3], vcc
	s_cbranch_execz .LBB3268_47
; %bb.46:
	v_lshlrev_b32_e32 v5, 2, v6
	global_load_dword v5, v5, s[0:1]
	s_waitcnt vmcnt(0)
	v_xor_b32_e32 v5, -1, v5
	v_and_b32_e32 v5, 1, v5
.LBB3268_47:
	s_or_b64 exec, exec, s[2:3]
	v_or_b32_e32 v6, 0x600, v0
	v_cmp_gt_u32_e32 vcc, s14, v6
	s_and_saveexec_b64 s[2:3], vcc
	s_cbranch_execz .LBB3268_49
; %bb.48:
	v_lshlrev_b32_e32 v4, 2, v6
	global_load_dword v4, v4, s[0:1]
	s_waitcnt vmcnt(0)
	v_xor_b32_e32 v4, -1, v4
	v_and_b32_e32 v4, 1, v4
.LBB3268_49:
	s_or_b64 exec, exec, s[2:3]
	v_or_b32_e32 v8, 0x800, v0
	v_cmp_gt_u32_e32 vcc, s14, v8
	v_mov_b32_e32 v6, 0
	v_mov_b32_e32 v7, 0
	s_and_saveexec_b64 s[2:3], vcc
	s_cbranch_execz .LBB3268_51
; %bb.50:
	v_lshlrev_b32_e32 v7, 2, v8
	global_load_dword v7, v7, s[0:1]
	s_waitcnt vmcnt(0)
	v_xor_b32_e32 v7, -1, v7
	v_and_b32_e32 v7, 1, v7
.LBB3268_51:
	s_or_b64 exec, exec, s[2:3]
	v_or_b32_e32 v8, 0xa00, v0
	v_cmp_gt_u32_e32 vcc, s14, v8
	s_and_saveexec_b64 s[2:3], vcc
	s_cbranch_execz .LBB3268_53
; %bb.52:
	v_lshlrev_b32_e32 v6, 2, v8
	global_load_dword v6, v6, s[0:1]
	s_waitcnt vmcnt(0)
	v_xor_b32_e32 v6, -1, v6
	v_and_b32_e32 v6, 1, v6
.LBB3268_53:
	;; [unrolled: 26-line block ×6, first 2 shown]
	s_or_b64 exec, exec, s[2:3]
	v_or_b32_e32 v17, 0x1c00, v0
	v_cmp_gt_u32_e32 vcc, s14, v17
	v_mov_b32_e32 v16, 0
	s_and_saveexec_b64 s[2:3], vcc
	s_cbranch_execz .LBB3268_71
; %bb.70:
	v_lshlrev_b32_e32 v16, 2, v17
	global_load_dword v16, v16, s[0:1]
	s_waitcnt vmcnt(0)
	v_xor_b32_e32 v16, -1, v16
	v_and_b32_e32 v16, 1, v16
.LBB3268_71:
	s_or_b64 exec, exec, s[2:3]
	ds_write_b8 v0, v3
	ds_write_b8 v0, v2 offset:512
	ds_write_b8 v0, v5 offset:1024
	;; [unrolled: 1-line block ×14, first 2 shown]
	s_waitcnt lgkmcnt(0)
	s_barrier
.LBB3268_72:
	ds_read_b96 v[18:20], v21
	ds_read_u8 v2, v21 offset:12
	ds_read_u8 v3, v21 offset:13
	ds_read_u8 v4, v21 offset:14
	s_cmp_lg_u32 s30, 0
	v_lshrrev_b32_e32 v56, 6, v0
	s_waitcnt lgkmcnt(2)
	v_and_b32_e32 v43, 1, v2
	v_and_b32_e32 v52, 0xff, v18
	v_bfe_u32 v53, v18, 8, 8
	v_bfe_u32 v54, v18, 16, 8
	v_lshrrev_b32_e32 v45, 24, v18
	v_and_b32_e32 v49, 0xff, v19
	v_add3_u32 v2, v53, v52, v54
	v_bfe_u32 v50, v19, 8, 8
	v_bfe_u32 v51, v19, 16, 8
	v_add3_u32 v2, v2, v45, v49
	v_lshrrev_b32_e32 v44, 24, v19
	v_and_b32_e32 v46, 0xff, v20
	v_add3_u32 v2, v2, v50, v51
	v_bfe_u32 v47, v20, 8, 8
	v_bfe_u32 v48, v20, 16, 8
	v_add3_u32 v2, v2, v44, v46
	v_lshrrev_b32_e32 v42, 24, v20
	v_add3_u32 v2, v2, v47, v48
	s_waitcnt lgkmcnt(1)
	v_and_b32_e32 v41, 1, v3
	s_waitcnt lgkmcnt(0)
	v_and_b32_e32 v40, 1, v4
	v_add3_u32 v2, v2, v42, v43
	v_add3_u32 v57, v2, v41, v40
	v_mbcnt_lo_u32_b32 v2, -1, 0
	v_mbcnt_hi_u32_b32 v55, -1, v2
	v_and_b32_e32 v2, 15, v55
	v_cmp_eq_u32_e64 s[14:15], 0, v2
	v_cmp_lt_u32_e64 s[12:13], 1, v2
	v_cmp_lt_u32_e64 s[10:11], 3, v2
	;; [unrolled: 1-line block ×3, first 2 shown]
	v_and_b32_e32 v2, 16, v55
	v_cmp_eq_u32_e64 s[6:7], 0, v2
	v_or_b32_e32 v2, 63, v0
	v_cmp_lt_u32_e64 s[2:3], 31, v55
	v_cmp_eq_u32_e64 s[4:5], v2, v0
	s_barrier
	s_cbranch_scc0 .LBB3268_103
; %bb.73:
	v_mov_b32_dpp v2, v57 row_shr:1 row_mask:0xf bank_mask:0xf
	v_cndmask_b32_e64 v2, v2, 0, s[14:15]
	v_add_u32_e32 v2, v2, v57
	s_nop 1
	v_mov_b32_dpp v3, v2 row_shr:2 row_mask:0xf bank_mask:0xf
	v_cndmask_b32_e64 v3, 0, v3, s[12:13]
	v_add_u32_e32 v2, v2, v3
	s_nop 1
	;; [unrolled: 4-line block ×4, first 2 shown]
	v_mov_b32_dpp v3, v2 row_bcast:15 row_mask:0xf bank_mask:0xf
	v_cndmask_b32_e64 v3, v3, 0, s[6:7]
	v_add_u32_e32 v2, v2, v3
	s_nop 1
	v_mov_b32_dpp v3, v2 row_bcast:31 row_mask:0xf bank_mask:0xf
	v_cndmask_b32_e64 v3, 0, v3, s[2:3]
	v_add_u32_e32 v2, v2, v3
	s_and_saveexec_b64 s[0:1], s[4:5]
	s_cbranch_execz .LBB3268_75
; %bb.74:
	v_lshlrev_b32_e32 v3, 2, v56
	ds_write_b32 v3, v2
.LBB3268_75:
	s_or_b64 exec, exec, s[0:1]
	v_cmp_gt_u32_e32 vcc, 8, v0
	s_waitcnt lgkmcnt(0)
	s_barrier
	s_and_saveexec_b64 s[0:1], vcc
	s_cbranch_execz .LBB3268_77
; %bb.76:
	v_lshlrev_b32_e32 v3, 2, v0
	ds_read_b32 v4, v3
	v_and_b32_e32 v5, 7, v55
	v_cmp_ne_u32_e32 vcc, 0, v5
	s_waitcnt lgkmcnt(0)
	v_mov_b32_dpp v6, v4 row_shr:1 row_mask:0xf bank_mask:0xf
	v_cndmask_b32_e32 v6, 0, v6, vcc
	v_add_u32_e32 v4, v6, v4
	v_cmp_lt_u32_e32 vcc, 1, v5
	s_nop 0
	v_mov_b32_dpp v6, v4 row_shr:2 row_mask:0xf bank_mask:0xf
	v_cndmask_b32_e32 v6, 0, v6, vcc
	v_add_u32_e32 v4, v4, v6
	v_cmp_lt_u32_e32 vcc, 3, v5
	s_nop 0
	v_mov_b32_dpp v6, v4 row_shr:4 row_mask:0xf bank_mask:0xf
	v_cndmask_b32_e32 v5, 0, v6, vcc
	v_add_u32_e32 v4, v4, v5
	ds_write_b32 v3, v4
.LBB3268_77:
	s_or_b64 exec, exec, s[0:1]
	v_cmp_gt_u32_e32 vcc, 64, v0
	v_cmp_lt_u32_e64 s[0:1], 63, v0
	s_waitcnt lgkmcnt(0)
	s_barrier
	s_waitcnt lgkmcnt(0)
                                        ; implicit-def: $vgpr12
	s_and_saveexec_b64 s[16:17], s[0:1]
	s_cbranch_execz .LBB3268_79
; %bb.78:
	v_lshl_add_u32 v3, v56, 2, -4
	ds_read_b32 v12, v3
	s_waitcnt lgkmcnt(0)
	v_add_u32_e32 v2, v12, v2
.LBB3268_79:
	s_or_b64 exec, exec, s[16:17]
	v_add_u32_e32 v3, -1, v55
	v_and_b32_e32 v4, 64, v55
	v_cmp_lt_i32_e64 s[0:1], v3, v4
	v_cmp_eq_u32_e64 s[16:17], 0, v55
	s_nop 0
	v_cndmask_b32_e64 v3, v3, v55, s[0:1]
	v_lshlrev_b32_e32 v3, 2, v3
	ds_bpermute_b32 v13, v3, v2
	s_and_saveexec_b64 s[0:1], vcc
	s_cbranch_execz .LBB3268_102
; %bb.80:
	v_mov_b32_e32 v11, 0
	ds_read_b32 v2, v11 offset:28
	s_and_saveexec_b64 s[26:27], s[16:17]
	s_cbranch_execz .LBB3268_82
; %bb.81:
	s_add_i32 s28, s30, 64
	s_mov_b32 s29, 0
	s_lshl_b64 s[28:29], s[28:29], 3
	s_add_u32 s28, s24, s28
	v_mov_b32_e32 v3, 1
	s_addc_u32 s29, s25, s29
	s_waitcnt lgkmcnt(0)
	global_store_dwordx2 v11, v[2:3], s[28:29] sc1
.LBB3268_82:
	s_or_b64 exec, exec, s[26:27]
	v_xad_u32 v4, v55, -1, s30
	v_add_u32_e32 v10, 64, v4
	v_lshl_add_u64 v[6:7], v[10:11], 3, s[24:25]
	global_load_dwordx2 v[8:9], v[6:7], off sc1
	s_waitcnt vmcnt(0)
	v_cmp_eq_u16_sdwa s[28:29], v9, v11 src0_sel:BYTE_0 src1_sel:DWORD
	s_and_saveexec_b64 s[26:27], s[28:29]
	s_cbranch_execz .LBB3268_88
; %bb.83:
	s_mov_b32 s31, 1
	s_mov_b64 s[28:29], 0
	v_mov_b32_e32 v3, 0
.LBB3268_84:                            ; =>This Loop Header: Depth=1
                                        ;     Child Loop BB3268_85 Depth 2
	s_max_u32 s33, s31, 1
.LBB3268_85:                            ;   Parent Loop BB3268_84 Depth=1
                                        ; =>  This Inner Loop Header: Depth=2
	s_add_i32 s33, s33, -1
	s_cmp_eq_u32 s33, 0
	s_sleep 1
	s_cbranch_scc0 .LBB3268_85
; %bb.86:                               ;   in Loop: Header=BB3268_84 Depth=1
	global_load_dwordx2 v[8:9], v[6:7], off sc1
	s_cmp_lt_u32 s31, 32
	s_cselect_b64 s[34:35], -1, 0
	s_cmp_lg_u64 s[34:35], 0
	s_addc_u32 s31, s31, 0
	s_waitcnt vmcnt(0)
	v_cmp_ne_u16_sdwa s[34:35], v9, v3 src0_sel:BYTE_0 src1_sel:DWORD
	s_or_b64 s[28:29], s[34:35], s[28:29]
	s_andn2_b64 exec, exec, s[28:29]
	s_cbranch_execnz .LBB3268_84
; %bb.87:
	s_or_b64 exec, exec, s[28:29]
.LBB3268_88:
	s_or_b64 exec, exec, s[26:27]
	v_and_b32_e32 v15, 63, v55
	v_mov_b32_e32 v14, 2
	v_cmp_ne_u32_e32 vcc, 63, v15
	v_cmp_eq_u16_sdwa s[26:27], v9, v14 src0_sel:BYTE_0 src1_sel:DWORD
	v_lshlrev_b64 v[6:7], v55, -1
	v_addc_co_u32_e32 v10, vcc, 0, v55, vcc
	v_and_b32_e32 v3, s27, v7
	v_lshlrev_b32_e32 v16, 2, v10
	v_or_b32_e32 v3, 0x80000000, v3
	ds_bpermute_b32 v10, v16, v8
	v_and_b32_e32 v5, s26, v6
	v_ffbl_b32_e32 v3, v3
	v_add_u32_e32 v3, 32, v3
	v_ffbl_b32_e32 v5, v5
	v_min_u32_e32 v3, v5, v3
	v_cmp_lt_u32_e32 vcc, v15, v3
	v_add_u32_e32 v38, 2, v15
	v_add_u32_e32 v58, 4, v15
	s_waitcnt lgkmcnt(0)
	v_cndmask_b32_e32 v5, 0, v10, vcc
	v_cmp_gt_u32_e32 vcc, 62, v15
	v_add_u32_e32 v5, v5, v8
	v_add_u32_e32 v60, 8, v15
	v_cndmask_b32_e64 v8, 0, 1, vcc
	v_lshlrev_b32_e32 v8, 1, v8
	v_add_lshl_u32 v17, v8, v55, 2
	ds_bpermute_b32 v8, v17, v5
	v_cmp_le_u32_e32 vcc, v38, v3
	v_add_u32_e32 v62, 16, v15
	v_add_u32_e32 v64, 32, v15
	s_waitcnt lgkmcnt(0)
	v_cndmask_b32_e32 v8, 0, v8, vcc
	v_cmp_gt_u32_e32 vcc, 60, v15
	v_add_u32_e32 v5, v5, v8
	s_nop 0
	v_cndmask_b32_e64 v8, 0, 1, vcc
	v_lshlrev_b32_e32 v8, 2, v8
	v_add_lshl_u32 v39, v8, v55, 2
	ds_bpermute_b32 v8, v39, v5
	v_cmp_le_u32_e32 vcc, v58, v3
	s_waitcnt lgkmcnt(0)
	s_nop 0
	v_cndmask_b32_e32 v8, 0, v8, vcc
	v_cmp_gt_u32_e32 vcc, 56, v15
	v_add_u32_e32 v5, v5, v8
	s_nop 0
	v_cndmask_b32_e64 v8, 0, 1, vcc
	v_lshlrev_b32_e32 v8, 3, v8
	v_add_lshl_u32 v59, v8, v55, 2
	ds_bpermute_b32 v8, v59, v5
	v_cmp_le_u32_e32 vcc, v60, v3
	s_waitcnt lgkmcnt(0)
	s_nop 0
	;; [unrolled: 11-line block ×4, first 2 shown]
	v_cndmask_b32_e32 v3, 0, v8, vcc
	v_add_u32_e32 v8, v5, v3
	v_mov_b32_e32 v5, 0
	s_branch .LBB3268_90
.LBB3268_89:                            ;   in Loop: Header=BB3268_90 Depth=1
	s_or_b64 exec, exec, s[26:27]
	v_cmp_eq_u16_sdwa s[26:27], v9, v14 src0_sel:BYTE_0 src1_sel:DWORD
	ds_bpermute_b32 v65, v16, v8
	v_subrev_u32_e32 v4, 64, v4
	v_and_b32_e32 v10, s27, v7
	v_or_b32_e32 v10, 0x80000000, v10
	v_and_b32_e32 v11, s26, v6
	v_ffbl_b32_e32 v10, v10
	v_add_u32_e32 v10, 32, v10
	v_ffbl_b32_e32 v11, v11
	v_min_u32_e32 v10, v11, v10
	v_cmp_lt_u32_e32 vcc, v15, v10
	s_waitcnt lgkmcnt(0)
	s_nop 0
	v_cndmask_b32_e32 v11, 0, v65, vcc
	v_add_u32_e32 v8, v11, v8
	ds_bpermute_b32 v11, v17, v8
	v_cmp_le_u32_e32 vcc, v38, v10
	s_waitcnt lgkmcnt(0)
	s_nop 0
	v_cndmask_b32_e32 v11, 0, v11, vcc
	v_add_u32_e32 v8, v8, v11
	ds_bpermute_b32 v11, v39, v8
	v_cmp_le_u32_e32 vcc, v58, v10
	;; [unrolled: 6-line block ×5, first 2 shown]
	s_waitcnt lgkmcnt(0)
	s_nop 0
	v_cndmask_b32_e32 v10, 0, v11, vcc
	v_add3_u32 v8, v10, v3, v8
.LBB3268_90:                            ; =>This Loop Header: Depth=1
                                        ;     Child Loop BB3268_93 Depth 2
                                        ;       Child Loop BB3268_94 Depth 3
	v_cmp_ne_u16_sdwa s[26:27], v9, v14 src0_sel:BYTE_0 src1_sel:DWORD
	s_nop 1
	v_cndmask_b32_e64 v3, 0, 1, s[26:27]
	;;#ASMSTART
	;;#ASMEND
	s_nop 0
	v_cmp_ne_u32_e32 vcc, 0, v3
	s_cmp_lg_u64 vcc, exec
	v_mov_b32_e32 v3, v8
	s_cbranch_scc1 .LBB3268_97
; %bb.91:                               ;   in Loop: Header=BB3268_90 Depth=1
	v_lshl_add_u64 v[10:11], v[4:5], 3, s[24:25]
	global_load_dwordx2 v[8:9], v[10:11], off sc1
	s_waitcnt vmcnt(0)
	v_cmp_eq_u16_sdwa s[28:29], v9, v5 src0_sel:BYTE_0 src1_sel:DWORD
	s_and_saveexec_b64 s[26:27], s[28:29]
	s_cbranch_execz .LBB3268_89
; %bb.92:                               ;   in Loop: Header=BB3268_90 Depth=1
	s_mov_b32 s31, 1
	s_mov_b64 s[28:29], 0
.LBB3268_93:                            ;   Parent Loop BB3268_90 Depth=1
                                        ; =>  This Loop Header: Depth=2
                                        ;       Child Loop BB3268_94 Depth 3
	s_max_u32 s33, s31, 1
.LBB3268_94:                            ;   Parent Loop BB3268_90 Depth=1
                                        ;     Parent Loop BB3268_93 Depth=2
                                        ; =>    This Inner Loop Header: Depth=3
	s_add_i32 s33, s33, -1
	s_cmp_eq_u32 s33, 0
	s_sleep 1
	s_cbranch_scc0 .LBB3268_94
; %bb.95:                               ;   in Loop: Header=BB3268_93 Depth=2
	global_load_dwordx2 v[8:9], v[10:11], off sc1
	s_cmp_lt_u32 s31, 32
	s_cselect_b64 s[34:35], -1, 0
	s_cmp_lg_u64 s[34:35], 0
	s_addc_u32 s31, s31, 0
	s_waitcnt vmcnt(0)
	v_cmp_ne_u16_sdwa s[34:35], v9, v5 src0_sel:BYTE_0 src1_sel:DWORD
	s_or_b64 s[28:29], s[34:35], s[28:29]
	s_andn2_b64 exec, exec, s[28:29]
	s_cbranch_execnz .LBB3268_93
; %bb.96:                               ;   in Loop: Header=BB3268_90 Depth=1
	s_or_b64 exec, exec, s[28:29]
	s_branch .LBB3268_89
.LBB3268_97:                            ;   in Loop: Header=BB3268_90 Depth=1
                                        ; implicit-def: $vgpr8
                                        ; implicit-def: $vgpr9
	s_cbranch_execz .LBB3268_90
; %bb.98:
	s_and_saveexec_b64 s[26:27], s[16:17]
	s_cbranch_execz .LBB3268_100
; %bb.99:
	s_add_i32 s28, s30, 64
	s_mov_b32 s29, 0
	s_lshl_b64 s[28:29], s[28:29], 3
	s_add_u32 s28, s24, s28
	v_add_u32_e32 v4, v3, v2
	v_mov_b32_e32 v5, 2
	s_addc_u32 s29, s25, s29
	v_mov_b32_e32 v6, 0
	global_store_dwordx2 v6, v[4:5], s[28:29] sc1
	ds_write_b64 v6, v[2:3] offset:30720
.LBB3268_100:
	s_or_b64 exec, exec, s[26:27]
	s_and_b64 exec, exec, s[18:19]
	s_cbranch_execz .LBB3268_102
; %bb.101:
	v_mov_b32_e32 v2, 0
	ds_write_b32 v2, v3 offset:28
.LBB3268_102:
	s_or_b64 exec, exec, s[0:1]
	v_mov_b32_e32 v14, 0
	s_waitcnt lgkmcnt(0)
	s_barrier
	ds_read_b32 v2, v14 offset:28
	v_cndmask_b32_e64 v3, v13, v12, s[16:17]
	v_cndmask_b32_e64 v3, v3, 0, s[18:19]
	s_waitcnt lgkmcnt(0)
	s_barrier
	v_add_u32_e32 v2, v2, v3
	v_add_u32_e32 v3, v2, v52
	;; [unrolled: 1-line block ×11, first 2 shown]
	ds_read_b64 v[38:39], v14 offset:30720
	v_add_u32_e32 v13, v12, v48
	v_add_u32_e32 v14, v13, v42
	;; [unrolled: 1-line block ×4, first 2 shown]
	s_branch .LBB3268_113
.LBB3268_103:
                                        ; implicit-def: $vgpr39
                                        ; implicit-def: $vgpr2_vgpr3_vgpr4_vgpr5_vgpr6_vgpr7_vgpr8_vgpr9_vgpr10_vgpr11_vgpr12_vgpr13_vgpr14_vgpr15_vgpr16_vgpr17
	s_cbranch_execz .LBB3268_113
; %bb.104:
	s_nop 0
	v_mov_b32_dpp v2, v57 row_shr:1 row_mask:0xf bank_mask:0xf
	v_cndmask_b32_e64 v2, v2, 0, s[14:15]
	v_add_u32_e32 v2, v2, v57
	s_nop 1
	v_mov_b32_dpp v3, v2 row_shr:2 row_mask:0xf bank_mask:0xf
	v_cndmask_b32_e64 v3, 0, v3, s[12:13]
	v_add_u32_e32 v2, v2, v3
	;; [unrolled: 4-line block ×4, first 2 shown]
	s_nop 1
	v_mov_b32_dpp v3, v2 row_bcast:15 row_mask:0xf bank_mask:0xf
	v_cndmask_b32_e64 v3, v3, 0, s[6:7]
	v_add_u32_e32 v2, v2, v3
	s_nop 1
	v_mov_b32_dpp v3, v2 row_bcast:31 row_mask:0xf bank_mask:0xf
	v_cndmask_b32_e64 v3, 0, v3, s[2:3]
	v_add_u32_e32 v2, v2, v3
	s_and_saveexec_b64 s[0:1], s[4:5]
	s_cbranch_execz .LBB3268_106
; %bb.105:
	v_lshlrev_b32_e32 v3, 2, v56
	ds_write_b32 v3, v2
.LBB3268_106:
	s_or_b64 exec, exec, s[0:1]
	v_cmp_gt_u32_e32 vcc, 8, v0
	s_waitcnt lgkmcnt(0)
	s_barrier
	s_and_saveexec_b64 s[0:1], vcc
	s_cbranch_execz .LBB3268_108
; %bb.107:
	v_mad_i32_i24 v3, v0, -11, v21
	ds_read_b32 v4, v3
	v_and_b32_e32 v5, 7, v55
	v_cmp_ne_u32_e32 vcc, 0, v5
	s_waitcnt lgkmcnt(0)
	v_mov_b32_dpp v6, v4 row_shr:1 row_mask:0xf bank_mask:0xf
	v_cndmask_b32_e32 v6, 0, v6, vcc
	v_add_u32_e32 v4, v6, v4
	v_cmp_lt_u32_e32 vcc, 1, v5
	s_nop 0
	v_mov_b32_dpp v6, v4 row_shr:2 row_mask:0xf bank_mask:0xf
	v_cndmask_b32_e32 v6, 0, v6, vcc
	v_add_u32_e32 v4, v4, v6
	v_cmp_lt_u32_e32 vcc, 3, v5
	s_nop 0
	v_mov_b32_dpp v6, v4 row_shr:4 row_mask:0xf bank_mask:0xf
	v_cndmask_b32_e32 v5, 0, v6, vcc
	v_add_u32_e32 v4, v4, v5
	ds_write_b32 v3, v4
.LBB3268_108:
	s_or_b64 exec, exec, s[0:1]
	v_cmp_lt_u32_e32 vcc, 63, v0
	v_mov_b32_e32 v3, 0
	v_mov_b32_e32 v0, 0
	s_waitcnt lgkmcnt(0)
	s_barrier
	s_and_saveexec_b64 s[0:1], vcc
	s_cbranch_execz .LBB3268_110
; %bb.109:
	v_lshl_add_u32 v0, v56, 2, -4
	ds_read_b32 v0, v0
.LBB3268_110:
	s_or_b64 exec, exec, s[0:1]
	v_add_u32_e32 v4, -1, v55
	v_and_b32_e32 v5, 64, v55
	v_cmp_lt_i32_e32 vcc, v4, v5
	s_waitcnt lgkmcnt(0)
	v_add_u32_e32 v2, v0, v2
	ds_read_b32 v38, v3 offset:28
	v_cndmask_b32_e32 v4, v4, v55, vcc
	v_lshlrev_b32_e32 v4, 2, v4
	ds_bpermute_b32 v2, v4, v2
	s_and_saveexec_b64 s[0:1], s[18:19]
	s_cbranch_execz .LBB3268_112
; %bb.111:
	v_mov_b32_e32 v3, 0
	v_mov_b32_e32 v39, 2
	s_waitcnt lgkmcnt(1)
	global_store_dwordx2 v3, v[38:39], s[24:25] offset:512 sc1
.LBB3268_112:
	s_or_b64 exec, exec, s[0:1]
	v_cmp_eq_u32_e32 vcc, 0, v55
	v_mov_b32_e32 v39, 0
	s_waitcnt lgkmcnt(0)
	v_cndmask_b32_e32 v0, v2, v0, vcc
	v_cndmask_b32_e64 v2, v0, 0, s[18:19]
	v_add_u32_e32 v3, v2, v52
	v_add_u32_e32 v4, v3, v53
	;; [unrolled: 1-line block ×14, first 2 shown]
	s_barrier
.LBB3268_113:
	s_waitcnt lgkmcnt(0)
	v_add_u32_e32 v21, v38, v21
	v_sub_u32_e32 v2, v2, v39
	v_and_b32_e32 v48, 1, v18
	v_sub_u32_e32 v47, v21, v2
	v_cmp_eq_u32_e32 vcc, 1, v48
	v_lshrrev_b32_e32 v46, 8, v18
	v_lshrrev_b32_e32 v17, 8, v19
	v_cndmask_b32_e32 v2, v47, v2, vcc
	v_lshlrev_b32_e32 v2, 2, v2
	ds_write_b32 v2, v36
	v_sub_u32_e32 v2, v3, v39
	v_sub_u32_e32 v3, v21, v2
	v_and_b32_e32 v36, 1, v46
	v_add_u32_e32 v3, 1, v3
	v_cmp_eq_u32_e32 vcc, 1, v36
	v_lshrrev_b32_e32 v0, 8, v20
	v_and_b32_e32 v0, 1, v0
	v_cndmask_b32_e32 v2, v3, v2, vcc
	v_lshlrev_b32_e32 v2, 2, v2
	ds_write_b32 v2, v37
	v_sub_u32_e32 v2, v4, v39
	v_mov_b32_e32 v4, 1
	v_sub_u32_e32 v3, v21, v2
	v_and_b32_sdwa v18, v4, v18 dst_sel:DWORD dst_unused:UNUSED_PAD src0_sel:DWORD src1_sel:WORD_1
	v_add_u32_e32 v3, 2, v3
	v_cmp_eq_u32_e32 vcc, 1, v18
	s_and_b64 s[0:1], s[18:19], s[22:23]
	s_nop 0
	v_cndmask_b32_e32 v2, v3, v2, vcc
	v_lshlrev_b32_e32 v2, 2, v2
	ds_write_b32 v2, v34
	v_sub_u32_e32 v2, v5, v39
	v_sub_u32_e32 v3, v21, v2
	v_and_b32_e32 v5, 1, v45
	v_add_u32_e32 v3, 3, v3
	v_cmp_eq_u32_e32 vcc, 1, v5
	v_and_b32_e32 v5, 1, v19
	s_nop 0
	v_cndmask_b32_e32 v2, v3, v2, vcc
	v_lshlrev_b32_e32 v2, 2, v2
	ds_write_b32 v2, v35
	v_sub_u32_e32 v2, v6, v39
	v_sub_u32_e32 v3, v21, v2
	v_add_u32_e32 v3, 4, v3
	v_cmp_eq_u32_e32 vcc, 1, v5
	v_and_b32_e32 v5, 1, v17
	s_nop 0
	v_cndmask_b32_e32 v2, v3, v2, vcc
	v_lshlrev_b32_e32 v2, 2, v2
	ds_write_b32 v2, v32
	v_sub_u32_e32 v2, v7, v39
	v_sub_u32_e32 v3, v21, v2
	v_add_u32_e32 v3, 5, v3
	v_cmp_eq_u32_e32 vcc, 1, v5
	v_and_b32_sdwa v5, v4, v19 dst_sel:DWORD dst_unused:UNUSED_PAD src0_sel:DWORD src1_sel:WORD_1
	s_nop 0
	v_cndmask_b32_e32 v2, v3, v2, vcc
	v_lshlrev_b32_e32 v2, 2, v2
	ds_write_b32 v2, v33
	v_sub_u32_e32 v2, v8, v39
	v_sub_u32_e32 v3, v21, v2
	v_add_u32_e32 v3, 6, v3
	v_cmp_eq_u32_e32 vcc, 1, v5
	v_and_b32_e32 v5, 1, v44
	s_nop 0
	v_cndmask_b32_e32 v2, v3, v2, vcc
	v_lshlrev_b32_e32 v2, 2, v2
	ds_write_b32 v2, v30
	v_sub_u32_e32 v2, v9, v39
	v_sub_u32_e32 v3, v21, v2
	v_add_u32_e32 v3, 7, v3
	v_cmp_eq_u32_e32 vcc, 1, v5
	v_and_b32_e32 v5, 1, v20
	s_nop 0
	v_cndmask_b32_e32 v2, v3, v2, vcc
	v_lshlrev_b32_e32 v2, 2, v2
	ds_write_b32 v2, v31
	v_sub_u32_e32 v2, v10, v39
	v_sub_u32_e32 v3, v21, v2
	v_add_u32_e32 v3, 8, v3
	v_cmp_eq_u32_e32 vcc, 1, v5
	s_nop 1
	v_cndmask_b32_e32 v2, v3, v2, vcc
	v_lshlrev_b32_e32 v2, 2, v2
	ds_write_b32 v2, v28
	v_sub_u32_e32 v2, v11, v39
	v_sub_u32_e32 v3, v21, v2
	v_add_u32_e32 v3, 9, v3
	v_cmp_eq_u32_e32 vcc, 1, v0
	s_nop 1
	v_cndmask_b32_e32 v0, v3, v2, vcc
	v_lshlrev_b32_e32 v0, 2, v0
	ds_write_b32 v0, v29
	v_sub_u32_e32 v0, v12, v39
	v_sub_u32_e32 v2, v21, v0
	v_and_b32_sdwa v3, v4, v20 dst_sel:DWORD dst_unused:UNUSED_PAD src0_sel:DWORD src1_sel:WORD_1
	v_add_u32_e32 v2, 10, v2
	v_cmp_eq_u32_e32 vcc, 1, v3
	v_and_b32_e32 v3, 1, v42
	s_nop 0
	v_cndmask_b32_e32 v0, v2, v0, vcc
	v_lshlrev_b32_e32 v0, 2, v0
	ds_write_b32 v0, v26
	v_sub_u32_e32 v0, v13, v39
	v_sub_u32_e32 v2, v21, v0
	v_add_u32_e32 v2, 11, v2
	v_cmp_eq_u32_e32 vcc, 1, v3
	s_nop 1
	v_cndmask_b32_e32 v0, v2, v0, vcc
	v_lshlrev_b32_e32 v0, 2, v0
	ds_write_b32 v0, v27
	v_sub_u32_e32 v0, v14, v39
	v_sub_u32_e32 v2, v21, v0
	v_add_u32_e32 v2, 12, v2
	v_cmp_eq_u32_e32 vcc, 1, v43
	;; [unrolled: 8-line block ×4, first 2 shown]
	s_nop 1
	v_cndmask_b32_e32 v0, v2, v0, vcc
	v_lshlrev_b32_e32 v0, 2, v0
	ds_write_b32 v0, v1
	s_waitcnt lgkmcnt(0)
	s_barrier
	s_and_saveexec_b64 s[2:3], s[0:1]
	s_cbranch_execz .LBB3268_115
; %bb.114:
	v_mov_b32_e32 v1, 0
	v_mov_b32_e32 v0, v38
	s_waitcnt vmcnt(0)
	v_lshl_add_u64 v[2:3], v[22:23], 0, v[0:1]
	v_mov_b32_e32 v0, v39
	v_lshl_add_u64 v[2:3], v[2:3], 0, v[0:1]
	global_store_dwordx2 v1, v[2:3], s[20:21]
.LBB3268_115:
	s_endpgm
	.section	.rodata,"a",@progbits
	.p2align	6, 0x0
	.amdhsa_kernel _ZN7rocprim17ROCPRIM_400000_NS6detail17trampoline_kernelINS0_14default_configENS1_25partition_config_selectorILNS1_17partition_subalgoE1EiNS0_10empty_typeEbEEZZNS1_14partition_implILS5_1ELb0ES3_jN6thrust23THRUST_200600_302600_NS6detail15normal_iteratorINSA_10device_ptrIiEEEEPS6_NSA_18transform_iteratorI7is_evenIiESF_NSA_11use_defaultESK_EENS0_5tupleIJNSA_16discard_iteratorISK_EESO_EEENSM_IJSG_SG_EEES6_PlJS6_EEE10hipError_tPvRmT3_T4_T5_T6_T7_T9_mT8_P12ihipStream_tbDpT10_ENKUlT_T0_E_clISt17integral_constantIbLb1EES1B_EEDaS16_S17_EUlS16_E_NS1_11comp_targetILNS1_3genE5ELNS1_11target_archE942ELNS1_3gpuE9ELNS1_3repE0EEENS1_30default_config_static_selectorELNS0_4arch9wavefront6targetE1EEEvT1_
		.amdhsa_group_segment_fixed_size 30728
		.amdhsa_private_segment_fixed_size 0
		.amdhsa_kernarg_size 160
		.amdhsa_user_sgpr_count 2
		.amdhsa_user_sgpr_dispatch_ptr 0
		.amdhsa_user_sgpr_queue_ptr 0
		.amdhsa_user_sgpr_kernarg_segment_ptr 1
		.amdhsa_user_sgpr_dispatch_id 0
		.amdhsa_user_sgpr_kernarg_preload_length 0
		.amdhsa_user_sgpr_kernarg_preload_offset 0
		.amdhsa_user_sgpr_private_segment_size 0
		.amdhsa_uses_dynamic_stack 0
		.amdhsa_enable_private_segment 0
		.amdhsa_system_sgpr_workgroup_id_x 1
		.amdhsa_system_sgpr_workgroup_id_y 0
		.amdhsa_system_sgpr_workgroup_id_z 0
		.amdhsa_system_sgpr_workgroup_info 0
		.amdhsa_system_vgpr_workitem_id 0
		.amdhsa_next_free_vgpr 66
		.amdhsa_next_free_sgpr 36
		.amdhsa_accum_offset 68
		.amdhsa_reserve_vcc 1
		.amdhsa_float_round_mode_32 0
		.amdhsa_float_round_mode_16_64 0
		.amdhsa_float_denorm_mode_32 3
		.amdhsa_float_denorm_mode_16_64 3
		.amdhsa_dx10_clamp 1
		.amdhsa_ieee_mode 1
		.amdhsa_fp16_overflow 0
		.amdhsa_tg_split 0
		.amdhsa_exception_fp_ieee_invalid_op 0
		.amdhsa_exception_fp_denorm_src 0
		.amdhsa_exception_fp_ieee_div_zero 0
		.amdhsa_exception_fp_ieee_overflow 0
		.amdhsa_exception_fp_ieee_underflow 0
		.amdhsa_exception_fp_ieee_inexact 0
		.amdhsa_exception_int_div_zero 0
	.end_amdhsa_kernel
	.section	.text._ZN7rocprim17ROCPRIM_400000_NS6detail17trampoline_kernelINS0_14default_configENS1_25partition_config_selectorILNS1_17partition_subalgoE1EiNS0_10empty_typeEbEEZZNS1_14partition_implILS5_1ELb0ES3_jN6thrust23THRUST_200600_302600_NS6detail15normal_iteratorINSA_10device_ptrIiEEEEPS6_NSA_18transform_iteratorI7is_evenIiESF_NSA_11use_defaultESK_EENS0_5tupleIJNSA_16discard_iteratorISK_EESO_EEENSM_IJSG_SG_EEES6_PlJS6_EEE10hipError_tPvRmT3_T4_T5_T6_T7_T9_mT8_P12ihipStream_tbDpT10_ENKUlT_T0_E_clISt17integral_constantIbLb1EES1B_EEDaS16_S17_EUlS16_E_NS1_11comp_targetILNS1_3genE5ELNS1_11target_archE942ELNS1_3gpuE9ELNS1_3repE0EEENS1_30default_config_static_selectorELNS0_4arch9wavefront6targetE1EEEvT1_,"axG",@progbits,_ZN7rocprim17ROCPRIM_400000_NS6detail17trampoline_kernelINS0_14default_configENS1_25partition_config_selectorILNS1_17partition_subalgoE1EiNS0_10empty_typeEbEEZZNS1_14partition_implILS5_1ELb0ES3_jN6thrust23THRUST_200600_302600_NS6detail15normal_iteratorINSA_10device_ptrIiEEEEPS6_NSA_18transform_iteratorI7is_evenIiESF_NSA_11use_defaultESK_EENS0_5tupleIJNSA_16discard_iteratorISK_EESO_EEENSM_IJSG_SG_EEES6_PlJS6_EEE10hipError_tPvRmT3_T4_T5_T6_T7_T9_mT8_P12ihipStream_tbDpT10_ENKUlT_T0_E_clISt17integral_constantIbLb1EES1B_EEDaS16_S17_EUlS16_E_NS1_11comp_targetILNS1_3genE5ELNS1_11target_archE942ELNS1_3gpuE9ELNS1_3repE0EEENS1_30default_config_static_selectorELNS0_4arch9wavefront6targetE1EEEvT1_,comdat
.Lfunc_end3268:
	.size	_ZN7rocprim17ROCPRIM_400000_NS6detail17trampoline_kernelINS0_14default_configENS1_25partition_config_selectorILNS1_17partition_subalgoE1EiNS0_10empty_typeEbEEZZNS1_14partition_implILS5_1ELb0ES3_jN6thrust23THRUST_200600_302600_NS6detail15normal_iteratorINSA_10device_ptrIiEEEEPS6_NSA_18transform_iteratorI7is_evenIiESF_NSA_11use_defaultESK_EENS0_5tupleIJNSA_16discard_iteratorISK_EESO_EEENSM_IJSG_SG_EEES6_PlJS6_EEE10hipError_tPvRmT3_T4_T5_T6_T7_T9_mT8_P12ihipStream_tbDpT10_ENKUlT_T0_E_clISt17integral_constantIbLb1EES1B_EEDaS16_S17_EUlS16_E_NS1_11comp_targetILNS1_3genE5ELNS1_11target_archE942ELNS1_3gpuE9ELNS1_3repE0EEENS1_30default_config_static_selectorELNS0_4arch9wavefront6targetE1EEEvT1_, .Lfunc_end3268-_ZN7rocprim17ROCPRIM_400000_NS6detail17trampoline_kernelINS0_14default_configENS1_25partition_config_selectorILNS1_17partition_subalgoE1EiNS0_10empty_typeEbEEZZNS1_14partition_implILS5_1ELb0ES3_jN6thrust23THRUST_200600_302600_NS6detail15normal_iteratorINSA_10device_ptrIiEEEEPS6_NSA_18transform_iteratorI7is_evenIiESF_NSA_11use_defaultESK_EENS0_5tupleIJNSA_16discard_iteratorISK_EESO_EEENSM_IJSG_SG_EEES6_PlJS6_EEE10hipError_tPvRmT3_T4_T5_T6_T7_T9_mT8_P12ihipStream_tbDpT10_ENKUlT_T0_E_clISt17integral_constantIbLb1EES1B_EEDaS16_S17_EUlS16_E_NS1_11comp_targetILNS1_3genE5ELNS1_11target_archE942ELNS1_3gpuE9ELNS1_3repE0EEENS1_30default_config_static_selectorELNS0_4arch9wavefront6targetE1EEEvT1_
                                        ; -- End function
	.section	.AMDGPU.csdata,"",@progbits
; Kernel info:
; codeLenInByte = 6024
; NumSgprs: 42
; NumVgprs: 66
; NumAgprs: 0
; TotalNumVgprs: 66
; ScratchSize: 0
; MemoryBound: 0
; FloatMode: 240
; IeeeMode: 1
; LDSByteSize: 30728 bytes/workgroup (compile time only)
; SGPRBlocks: 5
; VGPRBlocks: 8
; NumSGPRsForWavesPerEU: 42
; NumVGPRsForWavesPerEU: 66
; AccumOffset: 68
; Occupancy: 4
; WaveLimiterHint : 1
; COMPUTE_PGM_RSRC2:SCRATCH_EN: 0
; COMPUTE_PGM_RSRC2:USER_SGPR: 2
; COMPUTE_PGM_RSRC2:TRAP_HANDLER: 0
; COMPUTE_PGM_RSRC2:TGID_X_EN: 1
; COMPUTE_PGM_RSRC2:TGID_Y_EN: 0
; COMPUTE_PGM_RSRC2:TGID_Z_EN: 0
; COMPUTE_PGM_RSRC2:TIDIG_COMP_CNT: 0
; COMPUTE_PGM_RSRC3_GFX90A:ACCUM_OFFSET: 16
; COMPUTE_PGM_RSRC3_GFX90A:TG_SPLIT: 0
	.section	.text._ZN7rocprim17ROCPRIM_400000_NS6detail17trampoline_kernelINS0_14default_configENS1_25partition_config_selectorILNS1_17partition_subalgoE1EiNS0_10empty_typeEbEEZZNS1_14partition_implILS5_1ELb0ES3_jN6thrust23THRUST_200600_302600_NS6detail15normal_iteratorINSA_10device_ptrIiEEEEPS6_NSA_18transform_iteratorI7is_evenIiESF_NSA_11use_defaultESK_EENS0_5tupleIJNSA_16discard_iteratorISK_EESO_EEENSM_IJSG_SG_EEES6_PlJS6_EEE10hipError_tPvRmT3_T4_T5_T6_T7_T9_mT8_P12ihipStream_tbDpT10_ENKUlT_T0_E_clISt17integral_constantIbLb1EES1B_EEDaS16_S17_EUlS16_E_NS1_11comp_targetILNS1_3genE4ELNS1_11target_archE910ELNS1_3gpuE8ELNS1_3repE0EEENS1_30default_config_static_selectorELNS0_4arch9wavefront6targetE1EEEvT1_,"axG",@progbits,_ZN7rocprim17ROCPRIM_400000_NS6detail17trampoline_kernelINS0_14default_configENS1_25partition_config_selectorILNS1_17partition_subalgoE1EiNS0_10empty_typeEbEEZZNS1_14partition_implILS5_1ELb0ES3_jN6thrust23THRUST_200600_302600_NS6detail15normal_iteratorINSA_10device_ptrIiEEEEPS6_NSA_18transform_iteratorI7is_evenIiESF_NSA_11use_defaultESK_EENS0_5tupleIJNSA_16discard_iteratorISK_EESO_EEENSM_IJSG_SG_EEES6_PlJS6_EEE10hipError_tPvRmT3_T4_T5_T6_T7_T9_mT8_P12ihipStream_tbDpT10_ENKUlT_T0_E_clISt17integral_constantIbLb1EES1B_EEDaS16_S17_EUlS16_E_NS1_11comp_targetILNS1_3genE4ELNS1_11target_archE910ELNS1_3gpuE8ELNS1_3repE0EEENS1_30default_config_static_selectorELNS0_4arch9wavefront6targetE1EEEvT1_,comdat
	.protected	_ZN7rocprim17ROCPRIM_400000_NS6detail17trampoline_kernelINS0_14default_configENS1_25partition_config_selectorILNS1_17partition_subalgoE1EiNS0_10empty_typeEbEEZZNS1_14partition_implILS5_1ELb0ES3_jN6thrust23THRUST_200600_302600_NS6detail15normal_iteratorINSA_10device_ptrIiEEEEPS6_NSA_18transform_iteratorI7is_evenIiESF_NSA_11use_defaultESK_EENS0_5tupleIJNSA_16discard_iteratorISK_EESO_EEENSM_IJSG_SG_EEES6_PlJS6_EEE10hipError_tPvRmT3_T4_T5_T6_T7_T9_mT8_P12ihipStream_tbDpT10_ENKUlT_T0_E_clISt17integral_constantIbLb1EES1B_EEDaS16_S17_EUlS16_E_NS1_11comp_targetILNS1_3genE4ELNS1_11target_archE910ELNS1_3gpuE8ELNS1_3repE0EEENS1_30default_config_static_selectorELNS0_4arch9wavefront6targetE1EEEvT1_ ; -- Begin function _ZN7rocprim17ROCPRIM_400000_NS6detail17trampoline_kernelINS0_14default_configENS1_25partition_config_selectorILNS1_17partition_subalgoE1EiNS0_10empty_typeEbEEZZNS1_14partition_implILS5_1ELb0ES3_jN6thrust23THRUST_200600_302600_NS6detail15normal_iteratorINSA_10device_ptrIiEEEEPS6_NSA_18transform_iteratorI7is_evenIiESF_NSA_11use_defaultESK_EENS0_5tupleIJNSA_16discard_iteratorISK_EESO_EEENSM_IJSG_SG_EEES6_PlJS6_EEE10hipError_tPvRmT3_T4_T5_T6_T7_T9_mT8_P12ihipStream_tbDpT10_ENKUlT_T0_E_clISt17integral_constantIbLb1EES1B_EEDaS16_S17_EUlS16_E_NS1_11comp_targetILNS1_3genE4ELNS1_11target_archE910ELNS1_3gpuE8ELNS1_3repE0EEENS1_30default_config_static_selectorELNS0_4arch9wavefront6targetE1EEEvT1_
	.globl	_ZN7rocprim17ROCPRIM_400000_NS6detail17trampoline_kernelINS0_14default_configENS1_25partition_config_selectorILNS1_17partition_subalgoE1EiNS0_10empty_typeEbEEZZNS1_14partition_implILS5_1ELb0ES3_jN6thrust23THRUST_200600_302600_NS6detail15normal_iteratorINSA_10device_ptrIiEEEEPS6_NSA_18transform_iteratorI7is_evenIiESF_NSA_11use_defaultESK_EENS0_5tupleIJNSA_16discard_iteratorISK_EESO_EEENSM_IJSG_SG_EEES6_PlJS6_EEE10hipError_tPvRmT3_T4_T5_T6_T7_T9_mT8_P12ihipStream_tbDpT10_ENKUlT_T0_E_clISt17integral_constantIbLb1EES1B_EEDaS16_S17_EUlS16_E_NS1_11comp_targetILNS1_3genE4ELNS1_11target_archE910ELNS1_3gpuE8ELNS1_3repE0EEENS1_30default_config_static_selectorELNS0_4arch9wavefront6targetE1EEEvT1_
	.p2align	8
	.type	_ZN7rocprim17ROCPRIM_400000_NS6detail17trampoline_kernelINS0_14default_configENS1_25partition_config_selectorILNS1_17partition_subalgoE1EiNS0_10empty_typeEbEEZZNS1_14partition_implILS5_1ELb0ES3_jN6thrust23THRUST_200600_302600_NS6detail15normal_iteratorINSA_10device_ptrIiEEEEPS6_NSA_18transform_iteratorI7is_evenIiESF_NSA_11use_defaultESK_EENS0_5tupleIJNSA_16discard_iteratorISK_EESO_EEENSM_IJSG_SG_EEES6_PlJS6_EEE10hipError_tPvRmT3_T4_T5_T6_T7_T9_mT8_P12ihipStream_tbDpT10_ENKUlT_T0_E_clISt17integral_constantIbLb1EES1B_EEDaS16_S17_EUlS16_E_NS1_11comp_targetILNS1_3genE4ELNS1_11target_archE910ELNS1_3gpuE8ELNS1_3repE0EEENS1_30default_config_static_selectorELNS0_4arch9wavefront6targetE1EEEvT1_,@function
_ZN7rocprim17ROCPRIM_400000_NS6detail17trampoline_kernelINS0_14default_configENS1_25partition_config_selectorILNS1_17partition_subalgoE1EiNS0_10empty_typeEbEEZZNS1_14partition_implILS5_1ELb0ES3_jN6thrust23THRUST_200600_302600_NS6detail15normal_iteratorINSA_10device_ptrIiEEEEPS6_NSA_18transform_iteratorI7is_evenIiESF_NSA_11use_defaultESK_EENS0_5tupleIJNSA_16discard_iteratorISK_EESO_EEENSM_IJSG_SG_EEES6_PlJS6_EEE10hipError_tPvRmT3_T4_T5_T6_T7_T9_mT8_P12ihipStream_tbDpT10_ENKUlT_T0_E_clISt17integral_constantIbLb1EES1B_EEDaS16_S17_EUlS16_E_NS1_11comp_targetILNS1_3genE4ELNS1_11target_archE910ELNS1_3gpuE8ELNS1_3repE0EEENS1_30default_config_static_selectorELNS0_4arch9wavefront6targetE1EEEvT1_: ; @_ZN7rocprim17ROCPRIM_400000_NS6detail17trampoline_kernelINS0_14default_configENS1_25partition_config_selectorILNS1_17partition_subalgoE1EiNS0_10empty_typeEbEEZZNS1_14partition_implILS5_1ELb0ES3_jN6thrust23THRUST_200600_302600_NS6detail15normal_iteratorINSA_10device_ptrIiEEEEPS6_NSA_18transform_iteratorI7is_evenIiESF_NSA_11use_defaultESK_EENS0_5tupleIJNSA_16discard_iteratorISK_EESO_EEENSM_IJSG_SG_EEES6_PlJS6_EEE10hipError_tPvRmT3_T4_T5_T6_T7_T9_mT8_P12ihipStream_tbDpT10_ENKUlT_T0_E_clISt17integral_constantIbLb1EES1B_EEDaS16_S17_EUlS16_E_NS1_11comp_targetILNS1_3genE4ELNS1_11target_archE910ELNS1_3gpuE8ELNS1_3repE0EEENS1_30default_config_static_selectorELNS0_4arch9wavefront6targetE1EEEvT1_
; %bb.0:
	.section	.rodata,"a",@progbits
	.p2align	6, 0x0
	.amdhsa_kernel _ZN7rocprim17ROCPRIM_400000_NS6detail17trampoline_kernelINS0_14default_configENS1_25partition_config_selectorILNS1_17partition_subalgoE1EiNS0_10empty_typeEbEEZZNS1_14partition_implILS5_1ELb0ES3_jN6thrust23THRUST_200600_302600_NS6detail15normal_iteratorINSA_10device_ptrIiEEEEPS6_NSA_18transform_iteratorI7is_evenIiESF_NSA_11use_defaultESK_EENS0_5tupleIJNSA_16discard_iteratorISK_EESO_EEENSM_IJSG_SG_EEES6_PlJS6_EEE10hipError_tPvRmT3_T4_T5_T6_T7_T9_mT8_P12ihipStream_tbDpT10_ENKUlT_T0_E_clISt17integral_constantIbLb1EES1B_EEDaS16_S17_EUlS16_E_NS1_11comp_targetILNS1_3genE4ELNS1_11target_archE910ELNS1_3gpuE8ELNS1_3repE0EEENS1_30default_config_static_selectorELNS0_4arch9wavefront6targetE1EEEvT1_
		.amdhsa_group_segment_fixed_size 0
		.amdhsa_private_segment_fixed_size 0
		.amdhsa_kernarg_size 160
		.amdhsa_user_sgpr_count 2
		.amdhsa_user_sgpr_dispatch_ptr 0
		.amdhsa_user_sgpr_queue_ptr 0
		.amdhsa_user_sgpr_kernarg_segment_ptr 1
		.amdhsa_user_sgpr_dispatch_id 0
		.amdhsa_user_sgpr_kernarg_preload_length 0
		.amdhsa_user_sgpr_kernarg_preload_offset 0
		.amdhsa_user_sgpr_private_segment_size 0
		.amdhsa_uses_dynamic_stack 0
		.amdhsa_enable_private_segment 0
		.amdhsa_system_sgpr_workgroup_id_x 1
		.amdhsa_system_sgpr_workgroup_id_y 0
		.amdhsa_system_sgpr_workgroup_id_z 0
		.amdhsa_system_sgpr_workgroup_info 0
		.amdhsa_system_vgpr_workitem_id 0
		.amdhsa_next_free_vgpr 1
		.amdhsa_next_free_sgpr 0
		.amdhsa_accum_offset 4
		.amdhsa_reserve_vcc 0
		.amdhsa_float_round_mode_32 0
		.amdhsa_float_round_mode_16_64 0
		.amdhsa_float_denorm_mode_32 3
		.amdhsa_float_denorm_mode_16_64 3
		.amdhsa_dx10_clamp 1
		.amdhsa_ieee_mode 1
		.amdhsa_fp16_overflow 0
		.amdhsa_tg_split 0
		.amdhsa_exception_fp_ieee_invalid_op 0
		.amdhsa_exception_fp_denorm_src 0
		.amdhsa_exception_fp_ieee_div_zero 0
		.amdhsa_exception_fp_ieee_overflow 0
		.amdhsa_exception_fp_ieee_underflow 0
		.amdhsa_exception_fp_ieee_inexact 0
		.amdhsa_exception_int_div_zero 0
	.end_amdhsa_kernel
	.section	.text._ZN7rocprim17ROCPRIM_400000_NS6detail17trampoline_kernelINS0_14default_configENS1_25partition_config_selectorILNS1_17partition_subalgoE1EiNS0_10empty_typeEbEEZZNS1_14partition_implILS5_1ELb0ES3_jN6thrust23THRUST_200600_302600_NS6detail15normal_iteratorINSA_10device_ptrIiEEEEPS6_NSA_18transform_iteratorI7is_evenIiESF_NSA_11use_defaultESK_EENS0_5tupleIJNSA_16discard_iteratorISK_EESO_EEENSM_IJSG_SG_EEES6_PlJS6_EEE10hipError_tPvRmT3_T4_T5_T6_T7_T9_mT8_P12ihipStream_tbDpT10_ENKUlT_T0_E_clISt17integral_constantIbLb1EES1B_EEDaS16_S17_EUlS16_E_NS1_11comp_targetILNS1_3genE4ELNS1_11target_archE910ELNS1_3gpuE8ELNS1_3repE0EEENS1_30default_config_static_selectorELNS0_4arch9wavefront6targetE1EEEvT1_,"axG",@progbits,_ZN7rocprim17ROCPRIM_400000_NS6detail17trampoline_kernelINS0_14default_configENS1_25partition_config_selectorILNS1_17partition_subalgoE1EiNS0_10empty_typeEbEEZZNS1_14partition_implILS5_1ELb0ES3_jN6thrust23THRUST_200600_302600_NS6detail15normal_iteratorINSA_10device_ptrIiEEEEPS6_NSA_18transform_iteratorI7is_evenIiESF_NSA_11use_defaultESK_EENS0_5tupleIJNSA_16discard_iteratorISK_EESO_EEENSM_IJSG_SG_EEES6_PlJS6_EEE10hipError_tPvRmT3_T4_T5_T6_T7_T9_mT8_P12ihipStream_tbDpT10_ENKUlT_T0_E_clISt17integral_constantIbLb1EES1B_EEDaS16_S17_EUlS16_E_NS1_11comp_targetILNS1_3genE4ELNS1_11target_archE910ELNS1_3gpuE8ELNS1_3repE0EEENS1_30default_config_static_selectorELNS0_4arch9wavefront6targetE1EEEvT1_,comdat
.Lfunc_end3269:
	.size	_ZN7rocprim17ROCPRIM_400000_NS6detail17trampoline_kernelINS0_14default_configENS1_25partition_config_selectorILNS1_17partition_subalgoE1EiNS0_10empty_typeEbEEZZNS1_14partition_implILS5_1ELb0ES3_jN6thrust23THRUST_200600_302600_NS6detail15normal_iteratorINSA_10device_ptrIiEEEEPS6_NSA_18transform_iteratorI7is_evenIiESF_NSA_11use_defaultESK_EENS0_5tupleIJNSA_16discard_iteratorISK_EESO_EEENSM_IJSG_SG_EEES6_PlJS6_EEE10hipError_tPvRmT3_T4_T5_T6_T7_T9_mT8_P12ihipStream_tbDpT10_ENKUlT_T0_E_clISt17integral_constantIbLb1EES1B_EEDaS16_S17_EUlS16_E_NS1_11comp_targetILNS1_3genE4ELNS1_11target_archE910ELNS1_3gpuE8ELNS1_3repE0EEENS1_30default_config_static_selectorELNS0_4arch9wavefront6targetE1EEEvT1_, .Lfunc_end3269-_ZN7rocprim17ROCPRIM_400000_NS6detail17trampoline_kernelINS0_14default_configENS1_25partition_config_selectorILNS1_17partition_subalgoE1EiNS0_10empty_typeEbEEZZNS1_14partition_implILS5_1ELb0ES3_jN6thrust23THRUST_200600_302600_NS6detail15normal_iteratorINSA_10device_ptrIiEEEEPS6_NSA_18transform_iteratorI7is_evenIiESF_NSA_11use_defaultESK_EENS0_5tupleIJNSA_16discard_iteratorISK_EESO_EEENSM_IJSG_SG_EEES6_PlJS6_EEE10hipError_tPvRmT3_T4_T5_T6_T7_T9_mT8_P12ihipStream_tbDpT10_ENKUlT_T0_E_clISt17integral_constantIbLb1EES1B_EEDaS16_S17_EUlS16_E_NS1_11comp_targetILNS1_3genE4ELNS1_11target_archE910ELNS1_3gpuE8ELNS1_3repE0EEENS1_30default_config_static_selectorELNS0_4arch9wavefront6targetE1EEEvT1_
                                        ; -- End function
	.section	.AMDGPU.csdata,"",@progbits
; Kernel info:
; codeLenInByte = 0
; NumSgprs: 6
; NumVgprs: 0
; NumAgprs: 0
; TotalNumVgprs: 0
; ScratchSize: 0
; MemoryBound: 0
; FloatMode: 240
; IeeeMode: 1
; LDSByteSize: 0 bytes/workgroup (compile time only)
; SGPRBlocks: 0
; VGPRBlocks: 0
; NumSGPRsForWavesPerEU: 6
; NumVGPRsForWavesPerEU: 1
; AccumOffset: 4
; Occupancy: 8
; WaveLimiterHint : 0
; COMPUTE_PGM_RSRC2:SCRATCH_EN: 0
; COMPUTE_PGM_RSRC2:USER_SGPR: 2
; COMPUTE_PGM_RSRC2:TRAP_HANDLER: 0
; COMPUTE_PGM_RSRC2:TGID_X_EN: 1
; COMPUTE_PGM_RSRC2:TGID_Y_EN: 0
; COMPUTE_PGM_RSRC2:TGID_Z_EN: 0
; COMPUTE_PGM_RSRC2:TIDIG_COMP_CNT: 0
; COMPUTE_PGM_RSRC3_GFX90A:ACCUM_OFFSET: 0
; COMPUTE_PGM_RSRC3_GFX90A:TG_SPLIT: 0
	.section	.text._ZN7rocprim17ROCPRIM_400000_NS6detail17trampoline_kernelINS0_14default_configENS1_25partition_config_selectorILNS1_17partition_subalgoE1EiNS0_10empty_typeEbEEZZNS1_14partition_implILS5_1ELb0ES3_jN6thrust23THRUST_200600_302600_NS6detail15normal_iteratorINSA_10device_ptrIiEEEEPS6_NSA_18transform_iteratorI7is_evenIiESF_NSA_11use_defaultESK_EENS0_5tupleIJNSA_16discard_iteratorISK_EESO_EEENSM_IJSG_SG_EEES6_PlJS6_EEE10hipError_tPvRmT3_T4_T5_T6_T7_T9_mT8_P12ihipStream_tbDpT10_ENKUlT_T0_E_clISt17integral_constantIbLb1EES1B_EEDaS16_S17_EUlS16_E_NS1_11comp_targetILNS1_3genE3ELNS1_11target_archE908ELNS1_3gpuE7ELNS1_3repE0EEENS1_30default_config_static_selectorELNS0_4arch9wavefront6targetE1EEEvT1_,"axG",@progbits,_ZN7rocprim17ROCPRIM_400000_NS6detail17trampoline_kernelINS0_14default_configENS1_25partition_config_selectorILNS1_17partition_subalgoE1EiNS0_10empty_typeEbEEZZNS1_14partition_implILS5_1ELb0ES3_jN6thrust23THRUST_200600_302600_NS6detail15normal_iteratorINSA_10device_ptrIiEEEEPS6_NSA_18transform_iteratorI7is_evenIiESF_NSA_11use_defaultESK_EENS0_5tupleIJNSA_16discard_iteratorISK_EESO_EEENSM_IJSG_SG_EEES6_PlJS6_EEE10hipError_tPvRmT3_T4_T5_T6_T7_T9_mT8_P12ihipStream_tbDpT10_ENKUlT_T0_E_clISt17integral_constantIbLb1EES1B_EEDaS16_S17_EUlS16_E_NS1_11comp_targetILNS1_3genE3ELNS1_11target_archE908ELNS1_3gpuE7ELNS1_3repE0EEENS1_30default_config_static_selectorELNS0_4arch9wavefront6targetE1EEEvT1_,comdat
	.protected	_ZN7rocprim17ROCPRIM_400000_NS6detail17trampoline_kernelINS0_14default_configENS1_25partition_config_selectorILNS1_17partition_subalgoE1EiNS0_10empty_typeEbEEZZNS1_14partition_implILS5_1ELb0ES3_jN6thrust23THRUST_200600_302600_NS6detail15normal_iteratorINSA_10device_ptrIiEEEEPS6_NSA_18transform_iteratorI7is_evenIiESF_NSA_11use_defaultESK_EENS0_5tupleIJNSA_16discard_iteratorISK_EESO_EEENSM_IJSG_SG_EEES6_PlJS6_EEE10hipError_tPvRmT3_T4_T5_T6_T7_T9_mT8_P12ihipStream_tbDpT10_ENKUlT_T0_E_clISt17integral_constantIbLb1EES1B_EEDaS16_S17_EUlS16_E_NS1_11comp_targetILNS1_3genE3ELNS1_11target_archE908ELNS1_3gpuE7ELNS1_3repE0EEENS1_30default_config_static_selectorELNS0_4arch9wavefront6targetE1EEEvT1_ ; -- Begin function _ZN7rocprim17ROCPRIM_400000_NS6detail17trampoline_kernelINS0_14default_configENS1_25partition_config_selectorILNS1_17partition_subalgoE1EiNS0_10empty_typeEbEEZZNS1_14partition_implILS5_1ELb0ES3_jN6thrust23THRUST_200600_302600_NS6detail15normal_iteratorINSA_10device_ptrIiEEEEPS6_NSA_18transform_iteratorI7is_evenIiESF_NSA_11use_defaultESK_EENS0_5tupleIJNSA_16discard_iteratorISK_EESO_EEENSM_IJSG_SG_EEES6_PlJS6_EEE10hipError_tPvRmT3_T4_T5_T6_T7_T9_mT8_P12ihipStream_tbDpT10_ENKUlT_T0_E_clISt17integral_constantIbLb1EES1B_EEDaS16_S17_EUlS16_E_NS1_11comp_targetILNS1_3genE3ELNS1_11target_archE908ELNS1_3gpuE7ELNS1_3repE0EEENS1_30default_config_static_selectorELNS0_4arch9wavefront6targetE1EEEvT1_
	.globl	_ZN7rocprim17ROCPRIM_400000_NS6detail17trampoline_kernelINS0_14default_configENS1_25partition_config_selectorILNS1_17partition_subalgoE1EiNS0_10empty_typeEbEEZZNS1_14partition_implILS5_1ELb0ES3_jN6thrust23THRUST_200600_302600_NS6detail15normal_iteratorINSA_10device_ptrIiEEEEPS6_NSA_18transform_iteratorI7is_evenIiESF_NSA_11use_defaultESK_EENS0_5tupleIJNSA_16discard_iteratorISK_EESO_EEENSM_IJSG_SG_EEES6_PlJS6_EEE10hipError_tPvRmT3_T4_T5_T6_T7_T9_mT8_P12ihipStream_tbDpT10_ENKUlT_T0_E_clISt17integral_constantIbLb1EES1B_EEDaS16_S17_EUlS16_E_NS1_11comp_targetILNS1_3genE3ELNS1_11target_archE908ELNS1_3gpuE7ELNS1_3repE0EEENS1_30default_config_static_selectorELNS0_4arch9wavefront6targetE1EEEvT1_
	.p2align	8
	.type	_ZN7rocprim17ROCPRIM_400000_NS6detail17trampoline_kernelINS0_14default_configENS1_25partition_config_selectorILNS1_17partition_subalgoE1EiNS0_10empty_typeEbEEZZNS1_14partition_implILS5_1ELb0ES3_jN6thrust23THRUST_200600_302600_NS6detail15normal_iteratorINSA_10device_ptrIiEEEEPS6_NSA_18transform_iteratorI7is_evenIiESF_NSA_11use_defaultESK_EENS0_5tupleIJNSA_16discard_iteratorISK_EESO_EEENSM_IJSG_SG_EEES6_PlJS6_EEE10hipError_tPvRmT3_T4_T5_T6_T7_T9_mT8_P12ihipStream_tbDpT10_ENKUlT_T0_E_clISt17integral_constantIbLb1EES1B_EEDaS16_S17_EUlS16_E_NS1_11comp_targetILNS1_3genE3ELNS1_11target_archE908ELNS1_3gpuE7ELNS1_3repE0EEENS1_30default_config_static_selectorELNS0_4arch9wavefront6targetE1EEEvT1_,@function
_ZN7rocprim17ROCPRIM_400000_NS6detail17trampoline_kernelINS0_14default_configENS1_25partition_config_selectorILNS1_17partition_subalgoE1EiNS0_10empty_typeEbEEZZNS1_14partition_implILS5_1ELb0ES3_jN6thrust23THRUST_200600_302600_NS6detail15normal_iteratorINSA_10device_ptrIiEEEEPS6_NSA_18transform_iteratorI7is_evenIiESF_NSA_11use_defaultESK_EENS0_5tupleIJNSA_16discard_iteratorISK_EESO_EEENSM_IJSG_SG_EEES6_PlJS6_EEE10hipError_tPvRmT3_T4_T5_T6_T7_T9_mT8_P12ihipStream_tbDpT10_ENKUlT_T0_E_clISt17integral_constantIbLb1EES1B_EEDaS16_S17_EUlS16_E_NS1_11comp_targetILNS1_3genE3ELNS1_11target_archE908ELNS1_3gpuE7ELNS1_3repE0EEENS1_30default_config_static_selectorELNS0_4arch9wavefront6targetE1EEEvT1_: ; @_ZN7rocprim17ROCPRIM_400000_NS6detail17trampoline_kernelINS0_14default_configENS1_25partition_config_selectorILNS1_17partition_subalgoE1EiNS0_10empty_typeEbEEZZNS1_14partition_implILS5_1ELb0ES3_jN6thrust23THRUST_200600_302600_NS6detail15normal_iteratorINSA_10device_ptrIiEEEEPS6_NSA_18transform_iteratorI7is_evenIiESF_NSA_11use_defaultESK_EENS0_5tupleIJNSA_16discard_iteratorISK_EESO_EEENSM_IJSG_SG_EEES6_PlJS6_EEE10hipError_tPvRmT3_T4_T5_T6_T7_T9_mT8_P12ihipStream_tbDpT10_ENKUlT_T0_E_clISt17integral_constantIbLb1EES1B_EEDaS16_S17_EUlS16_E_NS1_11comp_targetILNS1_3genE3ELNS1_11target_archE908ELNS1_3gpuE7ELNS1_3repE0EEENS1_30default_config_static_selectorELNS0_4arch9wavefront6targetE1EEEvT1_
; %bb.0:
	.section	.rodata,"a",@progbits
	.p2align	6, 0x0
	.amdhsa_kernel _ZN7rocprim17ROCPRIM_400000_NS6detail17trampoline_kernelINS0_14default_configENS1_25partition_config_selectorILNS1_17partition_subalgoE1EiNS0_10empty_typeEbEEZZNS1_14partition_implILS5_1ELb0ES3_jN6thrust23THRUST_200600_302600_NS6detail15normal_iteratorINSA_10device_ptrIiEEEEPS6_NSA_18transform_iteratorI7is_evenIiESF_NSA_11use_defaultESK_EENS0_5tupleIJNSA_16discard_iteratorISK_EESO_EEENSM_IJSG_SG_EEES6_PlJS6_EEE10hipError_tPvRmT3_T4_T5_T6_T7_T9_mT8_P12ihipStream_tbDpT10_ENKUlT_T0_E_clISt17integral_constantIbLb1EES1B_EEDaS16_S17_EUlS16_E_NS1_11comp_targetILNS1_3genE3ELNS1_11target_archE908ELNS1_3gpuE7ELNS1_3repE0EEENS1_30default_config_static_selectorELNS0_4arch9wavefront6targetE1EEEvT1_
		.amdhsa_group_segment_fixed_size 0
		.amdhsa_private_segment_fixed_size 0
		.amdhsa_kernarg_size 160
		.amdhsa_user_sgpr_count 2
		.amdhsa_user_sgpr_dispatch_ptr 0
		.amdhsa_user_sgpr_queue_ptr 0
		.amdhsa_user_sgpr_kernarg_segment_ptr 1
		.amdhsa_user_sgpr_dispatch_id 0
		.amdhsa_user_sgpr_kernarg_preload_length 0
		.amdhsa_user_sgpr_kernarg_preload_offset 0
		.amdhsa_user_sgpr_private_segment_size 0
		.amdhsa_uses_dynamic_stack 0
		.amdhsa_enable_private_segment 0
		.amdhsa_system_sgpr_workgroup_id_x 1
		.amdhsa_system_sgpr_workgroup_id_y 0
		.amdhsa_system_sgpr_workgroup_id_z 0
		.amdhsa_system_sgpr_workgroup_info 0
		.amdhsa_system_vgpr_workitem_id 0
		.amdhsa_next_free_vgpr 1
		.amdhsa_next_free_sgpr 0
		.amdhsa_accum_offset 4
		.amdhsa_reserve_vcc 0
		.amdhsa_float_round_mode_32 0
		.amdhsa_float_round_mode_16_64 0
		.amdhsa_float_denorm_mode_32 3
		.amdhsa_float_denorm_mode_16_64 3
		.amdhsa_dx10_clamp 1
		.amdhsa_ieee_mode 1
		.amdhsa_fp16_overflow 0
		.amdhsa_tg_split 0
		.amdhsa_exception_fp_ieee_invalid_op 0
		.amdhsa_exception_fp_denorm_src 0
		.amdhsa_exception_fp_ieee_div_zero 0
		.amdhsa_exception_fp_ieee_overflow 0
		.amdhsa_exception_fp_ieee_underflow 0
		.amdhsa_exception_fp_ieee_inexact 0
		.amdhsa_exception_int_div_zero 0
	.end_amdhsa_kernel
	.section	.text._ZN7rocprim17ROCPRIM_400000_NS6detail17trampoline_kernelINS0_14default_configENS1_25partition_config_selectorILNS1_17partition_subalgoE1EiNS0_10empty_typeEbEEZZNS1_14partition_implILS5_1ELb0ES3_jN6thrust23THRUST_200600_302600_NS6detail15normal_iteratorINSA_10device_ptrIiEEEEPS6_NSA_18transform_iteratorI7is_evenIiESF_NSA_11use_defaultESK_EENS0_5tupleIJNSA_16discard_iteratorISK_EESO_EEENSM_IJSG_SG_EEES6_PlJS6_EEE10hipError_tPvRmT3_T4_T5_T6_T7_T9_mT8_P12ihipStream_tbDpT10_ENKUlT_T0_E_clISt17integral_constantIbLb1EES1B_EEDaS16_S17_EUlS16_E_NS1_11comp_targetILNS1_3genE3ELNS1_11target_archE908ELNS1_3gpuE7ELNS1_3repE0EEENS1_30default_config_static_selectorELNS0_4arch9wavefront6targetE1EEEvT1_,"axG",@progbits,_ZN7rocprim17ROCPRIM_400000_NS6detail17trampoline_kernelINS0_14default_configENS1_25partition_config_selectorILNS1_17partition_subalgoE1EiNS0_10empty_typeEbEEZZNS1_14partition_implILS5_1ELb0ES3_jN6thrust23THRUST_200600_302600_NS6detail15normal_iteratorINSA_10device_ptrIiEEEEPS6_NSA_18transform_iteratorI7is_evenIiESF_NSA_11use_defaultESK_EENS0_5tupleIJNSA_16discard_iteratorISK_EESO_EEENSM_IJSG_SG_EEES6_PlJS6_EEE10hipError_tPvRmT3_T4_T5_T6_T7_T9_mT8_P12ihipStream_tbDpT10_ENKUlT_T0_E_clISt17integral_constantIbLb1EES1B_EEDaS16_S17_EUlS16_E_NS1_11comp_targetILNS1_3genE3ELNS1_11target_archE908ELNS1_3gpuE7ELNS1_3repE0EEENS1_30default_config_static_selectorELNS0_4arch9wavefront6targetE1EEEvT1_,comdat
.Lfunc_end3270:
	.size	_ZN7rocprim17ROCPRIM_400000_NS6detail17trampoline_kernelINS0_14default_configENS1_25partition_config_selectorILNS1_17partition_subalgoE1EiNS0_10empty_typeEbEEZZNS1_14partition_implILS5_1ELb0ES3_jN6thrust23THRUST_200600_302600_NS6detail15normal_iteratorINSA_10device_ptrIiEEEEPS6_NSA_18transform_iteratorI7is_evenIiESF_NSA_11use_defaultESK_EENS0_5tupleIJNSA_16discard_iteratorISK_EESO_EEENSM_IJSG_SG_EEES6_PlJS6_EEE10hipError_tPvRmT3_T4_T5_T6_T7_T9_mT8_P12ihipStream_tbDpT10_ENKUlT_T0_E_clISt17integral_constantIbLb1EES1B_EEDaS16_S17_EUlS16_E_NS1_11comp_targetILNS1_3genE3ELNS1_11target_archE908ELNS1_3gpuE7ELNS1_3repE0EEENS1_30default_config_static_selectorELNS0_4arch9wavefront6targetE1EEEvT1_, .Lfunc_end3270-_ZN7rocprim17ROCPRIM_400000_NS6detail17trampoline_kernelINS0_14default_configENS1_25partition_config_selectorILNS1_17partition_subalgoE1EiNS0_10empty_typeEbEEZZNS1_14partition_implILS5_1ELb0ES3_jN6thrust23THRUST_200600_302600_NS6detail15normal_iteratorINSA_10device_ptrIiEEEEPS6_NSA_18transform_iteratorI7is_evenIiESF_NSA_11use_defaultESK_EENS0_5tupleIJNSA_16discard_iteratorISK_EESO_EEENSM_IJSG_SG_EEES6_PlJS6_EEE10hipError_tPvRmT3_T4_T5_T6_T7_T9_mT8_P12ihipStream_tbDpT10_ENKUlT_T0_E_clISt17integral_constantIbLb1EES1B_EEDaS16_S17_EUlS16_E_NS1_11comp_targetILNS1_3genE3ELNS1_11target_archE908ELNS1_3gpuE7ELNS1_3repE0EEENS1_30default_config_static_selectorELNS0_4arch9wavefront6targetE1EEEvT1_
                                        ; -- End function
	.section	.AMDGPU.csdata,"",@progbits
; Kernel info:
; codeLenInByte = 0
; NumSgprs: 6
; NumVgprs: 0
; NumAgprs: 0
; TotalNumVgprs: 0
; ScratchSize: 0
; MemoryBound: 0
; FloatMode: 240
; IeeeMode: 1
; LDSByteSize: 0 bytes/workgroup (compile time only)
; SGPRBlocks: 0
; VGPRBlocks: 0
; NumSGPRsForWavesPerEU: 6
; NumVGPRsForWavesPerEU: 1
; AccumOffset: 4
; Occupancy: 8
; WaveLimiterHint : 0
; COMPUTE_PGM_RSRC2:SCRATCH_EN: 0
; COMPUTE_PGM_RSRC2:USER_SGPR: 2
; COMPUTE_PGM_RSRC2:TRAP_HANDLER: 0
; COMPUTE_PGM_RSRC2:TGID_X_EN: 1
; COMPUTE_PGM_RSRC2:TGID_Y_EN: 0
; COMPUTE_PGM_RSRC2:TGID_Z_EN: 0
; COMPUTE_PGM_RSRC2:TIDIG_COMP_CNT: 0
; COMPUTE_PGM_RSRC3_GFX90A:ACCUM_OFFSET: 0
; COMPUTE_PGM_RSRC3_GFX90A:TG_SPLIT: 0
	.section	.text._ZN7rocprim17ROCPRIM_400000_NS6detail17trampoline_kernelINS0_14default_configENS1_25partition_config_selectorILNS1_17partition_subalgoE1EiNS0_10empty_typeEbEEZZNS1_14partition_implILS5_1ELb0ES3_jN6thrust23THRUST_200600_302600_NS6detail15normal_iteratorINSA_10device_ptrIiEEEEPS6_NSA_18transform_iteratorI7is_evenIiESF_NSA_11use_defaultESK_EENS0_5tupleIJNSA_16discard_iteratorISK_EESO_EEENSM_IJSG_SG_EEES6_PlJS6_EEE10hipError_tPvRmT3_T4_T5_T6_T7_T9_mT8_P12ihipStream_tbDpT10_ENKUlT_T0_E_clISt17integral_constantIbLb1EES1B_EEDaS16_S17_EUlS16_E_NS1_11comp_targetILNS1_3genE2ELNS1_11target_archE906ELNS1_3gpuE6ELNS1_3repE0EEENS1_30default_config_static_selectorELNS0_4arch9wavefront6targetE1EEEvT1_,"axG",@progbits,_ZN7rocprim17ROCPRIM_400000_NS6detail17trampoline_kernelINS0_14default_configENS1_25partition_config_selectorILNS1_17partition_subalgoE1EiNS0_10empty_typeEbEEZZNS1_14partition_implILS5_1ELb0ES3_jN6thrust23THRUST_200600_302600_NS6detail15normal_iteratorINSA_10device_ptrIiEEEEPS6_NSA_18transform_iteratorI7is_evenIiESF_NSA_11use_defaultESK_EENS0_5tupleIJNSA_16discard_iteratorISK_EESO_EEENSM_IJSG_SG_EEES6_PlJS6_EEE10hipError_tPvRmT3_T4_T5_T6_T7_T9_mT8_P12ihipStream_tbDpT10_ENKUlT_T0_E_clISt17integral_constantIbLb1EES1B_EEDaS16_S17_EUlS16_E_NS1_11comp_targetILNS1_3genE2ELNS1_11target_archE906ELNS1_3gpuE6ELNS1_3repE0EEENS1_30default_config_static_selectorELNS0_4arch9wavefront6targetE1EEEvT1_,comdat
	.protected	_ZN7rocprim17ROCPRIM_400000_NS6detail17trampoline_kernelINS0_14default_configENS1_25partition_config_selectorILNS1_17partition_subalgoE1EiNS0_10empty_typeEbEEZZNS1_14partition_implILS5_1ELb0ES3_jN6thrust23THRUST_200600_302600_NS6detail15normal_iteratorINSA_10device_ptrIiEEEEPS6_NSA_18transform_iteratorI7is_evenIiESF_NSA_11use_defaultESK_EENS0_5tupleIJNSA_16discard_iteratorISK_EESO_EEENSM_IJSG_SG_EEES6_PlJS6_EEE10hipError_tPvRmT3_T4_T5_T6_T7_T9_mT8_P12ihipStream_tbDpT10_ENKUlT_T0_E_clISt17integral_constantIbLb1EES1B_EEDaS16_S17_EUlS16_E_NS1_11comp_targetILNS1_3genE2ELNS1_11target_archE906ELNS1_3gpuE6ELNS1_3repE0EEENS1_30default_config_static_selectorELNS0_4arch9wavefront6targetE1EEEvT1_ ; -- Begin function _ZN7rocprim17ROCPRIM_400000_NS6detail17trampoline_kernelINS0_14default_configENS1_25partition_config_selectorILNS1_17partition_subalgoE1EiNS0_10empty_typeEbEEZZNS1_14partition_implILS5_1ELb0ES3_jN6thrust23THRUST_200600_302600_NS6detail15normal_iteratorINSA_10device_ptrIiEEEEPS6_NSA_18transform_iteratorI7is_evenIiESF_NSA_11use_defaultESK_EENS0_5tupleIJNSA_16discard_iteratorISK_EESO_EEENSM_IJSG_SG_EEES6_PlJS6_EEE10hipError_tPvRmT3_T4_T5_T6_T7_T9_mT8_P12ihipStream_tbDpT10_ENKUlT_T0_E_clISt17integral_constantIbLb1EES1B_EEDaS16_S17_EUlS16_E_NS1_11comp_targetILNS1_3genE2ELNS1_11target_archE906ELNS1_3gpuE6ELNS1_3repE0EEENS1_30default_config_static_selectorELNS0_4arch9wavefront6targetE1EEEvT1_
	.globl	_ZN7rocprim17ROCPRIM_400000_NS6detail17trampoline_kernelINS0_14default_configENS1_25partition_config_selectorILNS1_17partition_subalgoE1EiNS0_10empty_typeEbEEZZNS1_14partition_implILS5_1ELb0ES3_jN6thrust23THRUST_200600_302600_NS6detail15normal_iteratorINSA_10device_ptrIiEEEEPS6_NSA_18transform_iteratorI7is_evenIiESF_NSA_11use_defaultESK_EENS0_5tupleIJNSA_16discard_iteratorISK_EESO_EEENSM_IJSG_SG_EEES6_PlJS6_EEE10hipError_tPvRmT3_T4_T5_T6_T7_T9_mT8_P12ihipStream_tbDpT10_ENKUlT_T0_E_clISt17integral_constantIbLb1EES1B_EEDaS16_S17_EUlS16_E_NS1_11comp_targetILNS1_3genE2ELNS1_11target_archE906ELNS1_3gpuE6ELNS1_3repE0EEENS1_30default_config_static_selectorELNS0_4arch9wavefront6targetE1EEEvT1_
	.p2align	8
	.type	_ZN7rocprim17ROCPRIM_400000_NS6detail17trampoline_kernelINS0_14default_configENS1_25partition_config_selectorILNS1_17partition_subalgoE1EiNS0_10empty_typeEbEEZZNS1_14partition_implILS5_1ELb0ES3_jN6thrust23THRUST_200600_302600_NS6detail15normal_iteratorINSA_10device_ptrIiEEEEPS6_NSA_18transform_iteratorI7is_evenIiESF_NSA_11use_defaultESK_EENS0_5tupleIJNSA_16discard_iteratorISK_EESO_EEENSM_IJSG_SG_EEES6_PlJS6_EEE10hipError_tPvRmT3_T4_T5_T6_T7_T9_mT8_P12ihipStream_tbDpT10_ENKUlT_T0_E_clISt17integral_constantIbLb1EES1B_EEDaS16_S17_EUlS16_E_NS1_11comp_targetILNS1_3genE2ELNS1_11target_archE906ELNS1_3gpuE6ELNS1_3repE0EEENS1_30default_config_static_selectorELNS0_4arch9wavefront6targetE1EEEvT1_,@function
_ZN7rocprim17ROCPRIM_400000_NS6detail17trampoline_kernelINS0_14default_configENS1_25partition_config_selectorILNS1_17partition_subalgoE1EiNS0_10empty_typeEbEEZZNS1_14partition_implILS5_1ELb0ES3_jN6thrust23THRUST_200600_302600_NS6detail15normal_iteratorINSA_10device_ptrIiEEEEPS6_NSA_18transform_iteratorI7is_evenIiESF_NSA_11use_defaultESK_EENS0_5tupleIJNSA_16discard_iteratorISK_EESO_EEENSM_IJSG_SG_EEES6_PlJS6_EEE10hipError_tPvRmT3_T4_T5_T6_T7_T9_mT8_P12ihipStream_tbDpT10_ENKUlT_T0_E_clISt17integral_constantIbLb1EES1B_EEDaS16_S17_EUlS16_E_NS1_11comp_targetILNS1_3genE2ELNS1_11target_archE906ELNS1_3gpuE6ELNS1_3repE0EEENS1_30default_config_static_selectorELNS0_4arch9wavefront6targetE1EEEvT1_: ; @_ZN7rocprim17ROCPRIM_400000_NS6detail17trampoline_kernelINS0_14default_configENS1_25partition_config_selectorILNS1_17partition_subalgoE1EiNS0_10empty_typeEbEEZZNS1_14partition_implILS5_1ELb0ES3_jN6thrust23THRUST_200600_302600_NS6detail15normal_iteratorINSA_10device_ptrIiEEEEPS6_NSA_18transform_iteratorI7is_evenIiESF_NSA_11use_defaultESK_EENS0_5tupleIJNSA_16discard_iteratorISK_EESO_EEENSM_IJSG_SG_EEES6_PlJS6_EEE10hipError_tPvRmT3_T4_T5_T6_T7_T9_mT8_P12ihipStream_tbDpT10_ENKUlT_T0_E_clISt17integral_constantIbLb1EES1B_EEDaS16_S17_EUlS16_E_NS1_11comp_targetILNS1_3genE2ELNS1_11target_archE906ELNS1_3gpuE6ELNS1_3repE0EEENS1_30default_config_static_selectorELNS0_4arch9wavefront6targetE1EEEvT1_
; %bb.0:
	.section	.rodata,"a",@progbits
	.p2align	6, 0x0
	.amdhsa_kernel _ZN7rocprim17ROCPRIM_400000_NS6detail17trampoline_kernelINS0_14default_configENS1_25partition_config_selectorILNS1_17partition_subalgoE1EiNS0_10empty_typeEbEEZZNS1_14partition_implILS5_1ELb0ES3_jN6thrust23THRUST_200600_302600_NS6detail15normal_iteratorINSA_10device_ptrIiEEEEPS6_NSA_18transform_iteratorI7is_evenIiESF_NSA_11use_defaultESK_EENS0_5tupleIJNSA_16discard_iteratorISK_EESO_EEENSM_IJSG_SG_EEES6_PlJS6_EEE10hipError_tPvRmT3_T4_T5_T6_T7_T9_mT8_P12ihipStream_tbDpT10_ENKUlT_T0_E_clISt17integral_constantIbLb1EES1B_EEDaS16_S17_EUlS16_E_NS1_11comp_targetILNS1_3genE2ELNS1_11target_archE906ELNS1_3gpuE6ELNS1_3repE0EEENS1_30default_config_static_selectorELNS0_4arch9wavefront6targetE1EEEvT1_
		.amdhsa_group_segment_fixed_size 0
		.amdhsa_private_segment_fixed_size 0
		.amdhsa_kernarg_size 160
		.amdhsa_user_sgpr_count 2
		.amdhsa_user_sgpr_dispatch_ptr 0
		.amdhsa_user_sgpr_queue_ptr 0
		.amdhsa_user_sgpr_kernarg_segment_ptr 1
		.amdhsa_user_sgpr_dispatch_id 0
		.amdhsa_user_sgpr_kernarg_preload_length 0
		.amdhsa_user_sgpr_kernarg_preload_offset 0
		.amdhsa_user_sgpr_private_segment_size 0
		.amdhsa_uses_dynamic_stack 0
		.amdhsa_enable_private_segment 0
		.amdhsa_system_sgpr_workgroup_id_x 1
		.amdhsa_system_sgpr_workgroup_id_y 0
		.amdhsa_system_sgpr_workgroup_id_z 0
		.amdhsa_system_sgpr_workgroup_info 0
		.amdhsa_system_vgpr_workitem_id 0
		.amdhsa_next_free_vgpr 1
		.amdhsa_next_free_sgpr 0
		.amdhsa_accum_offset 4
		.amdhsa_reserve_vcc 0
		.amdhsa_float_round_mode_32 0
		.amdhsa_float_round_mode_16_64 0
		.amdhsa_float_denorm_mode_32 3
		.amdhsa_float_denorm_mode_16_64 3
		.amdhsa_dx10_clamp 1
		.amdhsa_ieee_mode 1
		.amdhsa_fp16_overflow 0
		.amdhsa_tg_split 0
		.amdhsa_exception_fp_ieee_invalid_op 0
		.amdhsa_exception_fp_denorm_src 0
		.amdhsa_exception_fp_ieee_div_zero 0
		.amdhsa_exception_fp_ieee_overflow 0
		.amdhsa_exception_fp_ieee_underflow 0
		.amdhsa_exception_fp_ieee_inexact 0
		.amdhsa_exception_int_div_zero 0
	.end_amdhsa_kernel
	.section	.text._ZN7rocprim17ROCPRIM_400000_NS6detail17trampoline_kernelINS0_14default_configENS1_25partition_config_selectorILNS1_17partition_subalgoE1EiNS0_10empty_typeEbEEZZNS1_14partition_implILS5_1ELb0ES3_jN6thrust23THRUST_200600_302600_NS6detail15normal_iteratorINSA_10device_ptrIiEEEEPS6_NSA_18transform_iteratorI7is_evenIiESF_NSA_11use_defaultESK_EENS0_5tupleIJNSA_16discard_iteratorISK_EESO_EEENSM_IJSG_SG_EEES6_PlJS6_EEE10hipError_tPvRmT3_T4_T5_T6_T7_T9_mT8_P12ihipStream_tbDpT10_ENKUlT_T0_E_clISt17integral_constantIbLb1EES1B_EEDaS16_S17_EUlS16_E_NS1_11comp_targetILNS1_3genE2ELNS1_11target_archE906ELNS1_3gpuE6ELNS1_3repE0EEENS1_30default_config_static_selectorELNS0_4arch9wavefront6targetE1EEEvT1_,"axG",@progbits,_ZN7rocprim17ROCPRIM_400000_NS6detail17trampoline_kernelINS0_14default_configENS1_25partition_config_selectorILNS1_17partition_subalgoE1EiNS0_10empty_typeEbEEZZNS1_14partition_implILS5_1ELb0ES3_jN6thrust23THRUST_200600_302600_NS6detail15normal_iteratorINSA_10device_ptrIiEEEEPS6_NSA_18transform_iteratorI7is_evenIiESF_NSA_11use_defaultESK_EENS0_5tupleIJNSA_16discard_iteratorISK_EESO_EEENSM_IJSG_SG_EEES6_PlJS6_EEE10hipError_tPvRmT3_T4_T5_T6_T7_T9_mT8_P12ihipStream_tbDpT10_ENKUlT_T0_E_clISt17integral_constantIbLb1EES1B_EEDaS16_S17_EUlS16_E_NS1_11comp_targetILNS1_3genE2ELNS1_11target_archE906ELNS1_3gpuE6ELNS1_3repE0EEENS1_30default_config_static_selectorELNS0_4arch9wavefront6targetE1EEEvT1_,comdat
.Lfunc_end3271:
	.size	_ZN7rocprim17ROCPRIM_400000_NS6detail17trampoline_kernelINS0_14default_configENS1_25partition_config_selectorILNS1_17partition_subalgoE1EiNS0_10empty_typeEbEEZZNS1_14partition_implILS5_1ELb0ES3_jN6thrust23THRUST_200600_302600_NS6detail15normal_iteratorINSA_10device_ptrIiEEEEPS6_NSA_18transform_iteratorI7is_evenIiESF_NSA_11use_defaultESK_EENS0_5tupleIJNSA_16discard_iteratorISK_EESO_EEENSM_IJSG_SG_EEES6_PlJS6_EEE10hipError_tPvRmT3_T4_T5_T6_T7_T9_mT8_P12ihipStream_tbDpT10_ENKUlT_T0_E_clISt17integral_constantIbLb1EES1B_EEDaS16_S17_EUlS16_E_NS1_11comp_targetILNS1_3genE2ELNS1_11target_archE906ELNS1_3gpuE6ELNS1_3repE0EEENS1_30default_config_static_selectorELNS0_4arch9wavefront6targetE1EEEvT1_, .Lfunc_end3271-_ZN7rocprim17ROCPRIM_400000_NS6detail17trampoline_kernelINS0_14default_configENS1_25partition_config_selectorILNS1_17partition_subalgoE1EiNS0_10empty_typeEbEEZZNS1_14partition_implILS5_1ELb0ES3_jN6thrust23THRUST_200600_302600_NS6detail15normal_iteratorINSA_10device_ptrIiEEEEPS6_NSA_18transform_iteratorI7is_evenIiESF_NSA_11use_defaultESK_EENS0_5tupleIJNSA_16discard_iteratorISK_EESO_EEENSM_IJSG_SG_EEES6_PlJS6_EEE10hipError_tPvRmT3_T4_T5_T6_T7_T9_mT8_P12ihipStream_tbDpT10_ENKUlT_T0_E_clISt17integral_constantIbLb1EES1B_EEDaS16_S17_EUlS16_E_NS1_11comp_targetILNS1_3genE2ELNS1_11target_archE906ELNS1_3gpuE6ELNS1_3repE0EEENS1_30default_config_static_selectorELNS0_4arch9wavefront6targetE1EEEvT1_
                                        ; -- End function
	.section	.AMDGPU.csdata,"",@progbits
; Kernel info:
; codeLenInByte = 0
; NumSgprs: 6
; NumVgprs: 0
; NumAgprs: 0
; TotalNumVgprs: 0
; ScratchSize: 0
; MemoryBound: 0
; FloatMode: 240
; IeeeMode: 1
; LDSByteSize: 0 bytes/workgroup (compile time only)
; SGPRBlocks: 0
; VGPRBlocks: 0
; NumSGPRsForWavesPerEU: 6
; NumVGPRsForWavesPerEU: 1
; AccumOffset: 4
; Occupancy: 8
; WaveLimiterHint : 0
; COMPUTE_PGM_RSRC2:SCRATCH_EN: 0
; COMPUTE_PGM_RSRC2:USER_SGPR: 2
; COMPUTE_PGM_RSRC2:TRAP_HANDLER: 0
; COMPUTE_PGM_RSRC2:TGID_X_EN: 1
; COMPUTE_PGM_RSRC2:TGID_Y_EN: 0
; COMPUTE_PGM_RSRC2:TGID_Z_EN: 0
; COMPUTE_PGM_RSRC2:TIDIG_COMP_CNT: 0
; COMPUTE_PGM_RSRC3_GFX90A:ACCUM_OFFSET: 0
; COMPUTE_PGM_RSRC3_GFX90A:TG_SPLIT: 0
	.section	.text._ZN7rocprim17ROCPRIM_400000_NS6detail17trampoline_kernelINS0_14default_configENS1_25partition_config_selectorILNS1_17partition_subalgoE1EiNS0_10empty_typeEbEEZZNS1_14partition_implILS5_1ELb0ES3_jN6thrust23THRUST_200600_302600_NS6detail15normal_iteratorINSA_10device_ptrIiEEEEPS6_NSA_18transform_iteratorI7is_evenIiESF_NSA_11use_defaultESK_EENS0_5tupleIJNSA_16discard_iteratorISK_EESO_EEENSM_IJSG_SG_EEES6_PlJS6_EEE10hipError_tPvRmT3_T4_T5_T6_T7_T9_mT8_P12ihipStream_tbDpT10_ENKUlT_T0_E_clISt17integral_constantIbLb1EES1B_EEDaS16_S17_EUlS16_E_NS1_11comp_targetILNS1_3genE10ELNS1_11target_archE1200ELNS1_3gpuE4ELNS1_3repE0EEENS1_30default_config_static_selectorELNS0_4arch9wavefront6targetE1EEEvT1_,"axG",@progbits,_ZN7rocprim17ROCPRIM_400000_NS6detail17trampoline_kernelINS0_14default_configENS1_25partition_config_selectorILNS1_17partition_subalgoE1EiNS0_10empty_typeEbEEZZNS1_14partition_implILS5_1ELb0ES3_jN6thrust23THRUST_200600_302600_NS6detail15normal_iteratorINSA_10device_ptrIiEEEEPS6_NSA_18transform_iteratorI7is_evenIiESF_NSA_11use_defaultESK_EENS0_5tupleIJNSA_16discard_iteratorISK_EESO_EEENSM_IJSG_SG_EEES6_PlJS6_EEE10hipError_tPvRmT3_T4_T5_T6_T7_T9_mT8_P12ihipStream_tbDpT10_ENKUlT_T0_E_clISt17integral_constantIbLb1EES1B_EEDaS16_S17_EUlS16_E_NS1_11comp_targetILNS1_3genE10ELNS1_11target_archE1200ELNS1_3gpuE4ELNS1_3repE0EEENS1_30default_config_static_selectorELNS0_4arch9wavefront6targetE1EEEvT1_,comdat
	.protected	_ZN7rocprim17ROCPRIM_400000_NS6detail17trampoline_kernelINS0_14default_configENS1_25partition_config_selectorILNS1_17partition_subalgoE1EiNS0_10empty_typeEbEEZZNS1_14partition_implILS5_1ELb0ES3_jN6thrust23THRUST_200600_302600_NS6detail15normal_iteratorINSA_10device_ptrIiEEEEPS6_NSA_18transform_iteratorI7is_evenIiESF_NSA_11use_defaultESK_EENS0_5tupleIJNSA_16discard_iteratorISK_EESO_EEENSM_IJSG_SG_EEES6_PlJS6_EEE10hipError_tPvRmT3_T4_T5_T6_T7_T9_mT8_P12ihipStream_tbDpT10_ENKUlT_T0_E_clISt17integral_constantIbLb1EES1B_EEDaS16_S17_EUlS16_E_NS1_11comp_targetILNS1_3genE10ELNS1_11target_archE1200ELNS1_3gpuE4ELNS1_3repE0EEENS1_30default_config_static_selectorELNS0_4arch9wavefront6targetE1EEEvT1_ ; -- Begin function _ZN7rocprim17ROCPRIM_400000_NS6detail17trampoline_kernelINS0_14default_configENS1_25partition_config_selectorILNS1_17partition_subalgoE1EiNS0_10empty_typeEbEEZZNS1_14partition_implILS5_1ELb0ES3_jN6thrust23THRUST_200600_302600_NS6detail15normal_iteratorINSA_10device_ptrIiEEEEPS6_NSA_18transform_iteratorI7is_evenIiESF_NSA_11use_defaultESK_EENS0_5tupleIJNSA_16discard_iteratorISK_EESO_EEENSM_IJSG_SG_EEES6_PlJS6_EEE10hipError_tPvRmT3_T4_T5_T6_T7_T9_mT8_P12ihipStream_tbDpT10_ENKUlT_T0_E_clISt17integral_constantIbLb1EES1B_EEDaS16_S17_EUlS16_E_NS1_11comp_targetILNS1_3genE10ELNS1_11target_archE1200ELNS1_3gpuE4ELNS1_3repE0EEENS1_30default_config_static_selectorELNS0_4arch9wavefront6targetE1EEEvT1_
	.globl	_ZN7rocprim17ROCPRIM_400000_NS6detail17trampoline_kernelINS0_14default_configENS1_25partition_config_selectorILNS1_17partition_subalgoE1EiNS0_10empty_typeEbEEZZNS1_14partition_implILS5_1ELb0ES3_jN6thrust23THRUST_200600_302600_NS6detail15normal_iteratorINSA_10device_ptrIiEEEEPS6_NSA_18transform_iteratorI7is_evenIiESF_NSA_11use_defaultESK_EENS0_5tupleIJNSA_16discard_iteratorISK_EESO_EEENSM_IJSG_SG_EEES6_PlJS6_EEE10hipError_tPvRmT3_T4_T5_T6_T7_T9_mT8_P12ihipStream_tbDpT10_ENKUlT_T0_E_clISt17integral_constantIbLb1EES1B_EEDaS16_S17_EUlS16_E_NS1_11comp_targetILNS1_3genE10ELNS1_11target_archE1200ELNS1_3gpuE4ELNS1_3repE0EEENS1_30default_config_static_selectorELNS0_4arch9wavefront6targetE1EEEvT1_
	.p2align	8
	.type	_ZN7rocprim17ROCPRIM_400000_NS6detail17trampoline_kernelINS0_14default_configENS1_25partition_config_selectorILNS1_17partition_subalgoE1EiNS0_10empty_typeEbEEZZNS1_14partition_implILS5_1ELb0ES3_jN6thrust23THRUST_200600_302600_NS6detail15normal_iteratorINSA_10device_ptrIiEEEEPS6_NSA_18transform_iteratorI7is_evenIiESF_NSA_11use_defaultESK_EENS0_5tupleIJNSA_16discard_iteratorISK_EESO_EEENSM_IJSG_SG_EEES6_PlJS6_EEE10hipError_tPvRmT3_T4_T5_T6_T7_T9_mT8_P12ihipStream_tbDpT10_ENKUlT_T0_E_clISt17integral_constantIbLb1EES1B_EEDaS16_S17_EUlS16_E_NS1_11comp_targetILNS1_3genE10ELNS1_11target_archE1200ELNS1_3gpuE4ELNS1_3repE0EEENS1_30default_config_static_selectorELNS0_4arch9wavefront6targetE1EEEvT1_,@function
_ZN7rocprim17ROCPRIM_400000_NS6detail17trampoline_kernelINS0_14default_configENS1_25partition_config_selectorILNS1_17partition_subalgoE1EiNS0_10empty_typeEbEEZZNS1_14partition_implILS5_1ELb0ES3_jN6thrust23THRUST_200600_302600_NS6detail15normal_iteratorINSA_10device_ptrIiEEEEPS6_NSA_18transform_iteratorI7is_evenIiESF_NSA_11use_defaultESK_EENS0_5tupleIJNSA_16discard_iteratorISK_EESO_EEENSM_IJSG_SG_EEES6_PlJS6_EEE10hipError_tPvRmT3_T4_T5_T6_T7_T9_mT8_P12ihipStream_tbDpT10_ENKUlT_T0_E_clISt17integral_constantIbLb1EES1B_EEDaS16_S17_EUlS16_E_NS1_11comp_targetILNS1_3genE10ELNS1_11target_archE1200ELNS1_3gpuE4ELNS1_3repE0EEENS1_30default_config_static_selectorELNS0_4arch9wavefront6targetE1EEEvT1_: ; @_ZN7rocprim17ROCPRIM_400000_NS6detail17trampoline_kernelINS0_14default_configENS1_25partition_config_selectorILNS1_17partition_subalgoE1EiNS0_10empty_typeEbEEZZNS1_14partition_implILS5_1ELb0ES3_jN6thrust23THRUST_200600_302600_NS6detail15normal_iteratorINSA_10device_ptrIiEEEEPS6_NSA_18transform_iteratorI7is_evenIiESF_NSA_11use_defaultESK_EENS0_5tupleIJNSA_16discard_iteratorISK_EESO_EEENSM_IJSG_SG_EEES6_PlJS6_EEE10hipError_tPvRmT3_T4_T5_T6_T7_T9_mT8_P12ihipStream_tbDpT10_ENKUlT_T0_E_clISt17integral_constantIbLb1EES1B_EEDaS16_S17_EUlS16_E_NS1_11comp_targetILNS1_3genE10ELNS1_11target_archE1200ELNS1_3gpuE4ELNS1_3repE0EEENS1_30default_config_static_selectorELNS0_4arch9wavefront6targetE1EEEvT1_
; %bb.0:
	.section	.rodata,"a",@progbits
	.p2align	6, 0x0
	.amdhsa_kernel _ZN7rocprim17ROCPRIM_400000_NS6detail17trampoline_kernelINS0_14default_configENS1_25partition_config_selectorILNS1_17partition_subalgoE1EiNS0_10empty_typeEbEEZZNS1_14partition_implILS5_1ELb0ES3_jN6thrust23THRUST_200600_302600_NS6detail15normal_iteratorINSA_10device_ptrIiEEEEPS6_NSA_18transform_iteratorI7is_evenIiESF_NSA_11use_defaultESK_EENS0_5tupleIJNSA_16discard_iteratorISK_EESO_EEENSM_IJSG_SG_EEES6_PlJS6_EEE10hipError_tPvRmT3_T4_T5_T6_T7_T9_mT8_P12ihipStream_tbDpT10_ENKUlT_T0_E_clISt17integral_constantIbLb1EES1B_EEDaS16_S17_EUlS16_E_NS1_11comp_targetILNS1_3genE10ELNS1_11target_archE1200ELNS1_3gpuE4ELNS1_3repE0EEENS1_30default_config_static_selectorELNS0_4arch9wavefront6targetE1EEEvT1_
		.amdhsa_group_segment_fixed_size 0
		.amdhsa_private_segment_fixed_size 0
		.amdhsa_kernarg_size 160
		.amdhsa_user_sgpr_count 2
		.amdhsa_user_sgpr_dispatch_ptr 0
		.amdhsa_user_sgpr_queue_ptr 0
		.amdhsa_user_sgpr_kernarg_segment_ptr 1
		.amdhsa_user_sgpr_dispatch_id 0
		.amdhsa_user_sgpr_kernarg_preload_length 0
		.amdhsa_user_sgpr_kernarg_preload_offset 0
		.amdhsa_user_sgpr_private_segment_size 0
		.amdhsa_uses_dynamic_stack 0
		.amdhsa_enable_private_segment 0
		.amdhsa_system_sgpr_workgroup_id_x 1
		.amdhsa_system_sgpr_workgroup_id_y 0
		.amdhsa_system_sgpr_workgroup_id_z 0
		.amdhsa_system_sgpr_workgroup_info 0
		.amdhsa_system_vgpr_workitem_id 0
		.amdhsa_next_free_vgpr 1
		.amdhsa_next_free_sgpr 0
		.amdhsa_accum_offset 4
		.amdhsa_reserve_vcc 0
		.amdhsa_float_round_mode_32 0
		.amdhsa_float_round_mode_16_64 0
		.amdhsa_float_denorm_mode_32 3
		.amdhsa_float_denorm_mode_16_64 3
		.amdhsa_dx10_clamp 1
		.amdhsa_ieee_mode 1
		.amdhsa_fp16_overflow 0
		.amdhsa_tg_split 0
		.amdhsa_exception_fp_ieee_invalid_op 0
		.amdhsa_exception_fp_denorm_src 0
		.amdhsa_exception_fp_ieee_div_zero 0
		.amdhsa_exception_fp_ieee_overflow 0
		.amdhsa_exception_fp_ieee_underflow 0
		.amdhsa_exception_fp_ieee_inexact 0
		.amdhsa_exception_int_div_zero 0
	.end_amdhsa_kernel
	.section	.text._ZN7rocprim17ROCPRIM_400000_NS6detail17trampoline_kernelINS0_14default_configENS1_25partition_config_selectorILNS1_17partition_subalgoE1EiNS0_10empty_typeEbEEZZNS1_14partition_implILS5_1ELb0ES3_jN6thrust23THRUST_200600_302600_NS6detail15normal_iteratorINSA_10device_ptrIiEEEEPS6_NSA_18transform_iteratorI7is_evenIiESF_NSA_11use_defaultESK_EENS0_5tupleIJNSA_16discard_iteratorISK_EESO_EEENSM_IJSG_SG_EEES6_PlJS6_EEE10hipError_tPvRmT3_T4_T5_T6_T7_T9_mT8_P12ihipStream_tbDpT10_ENKUlT_T0_E_clISt17integral_constantIbLb1EES1B_EEDaS16_S17_EUlS16_E_NS1_11comp_targetILNS1_3genE10ELNS1_11target_archE1200ELNS1_3gpuE4ELNS1_3repE0EEENS1_30default_config_static_selectorELNS0_4arch9wavefront6targetE1EEEvT1_,"axG",@progbits,_ZN7rocprim17ROCPRIM_400000_NS6detail17trampoline_kernelINS0_14default_configENS1_25partition_config_selectorILNS1_17partition_subalgoE1EiNS0_10empty_typeEbEEZZNS1_14partition_implILS5_1ELb0ES3_jN6thrust23THRUST_200600_302600_NS6detail15normal_iteratorINSA_10device_ptrIiEEEEPS6_NSA_18transform_iteratorI7is_evenIiESF_NSA_11use_defaultESK_EENS0_5tupleIJNSA_16discard_iteratorISK_EESO_EEENSM_IJSG_SG_EEES6_PlJS6_EEE10hipError_tPvRmT3_T4_T5_T6_T7_T9_mT8_P12ihipStream_tbDpT10_ENKUlT_T0_E_clISt17integral_constantIbLb1EES1B_EEDaS16_S17_EUlS16_E_NS1_11comp_targetILNS1_3genE10ELNS1_11target_archE1200ELNS1_3gpuE4ELNS1_3repE0EEENS1_30default_config_static_selectorELNS0_4arch9wavefront6targetE1EEEvT1_,comdat
.Lfunc_end3272:
	.size	_ZN7rocprim17ROCPRIM_400000_NS6detail17trampoline_kernelINS0_14default_configENS1_25partition_config_selectorILNS1_17partition_subalgoE1EiNS0_10empty_typeEbEEZZNS1_14partition_implILS5_1ELb0ES3_jN6thrust23THRUST_200600_302600_NS6detail15normal_iteratorINSA_10device_ptrIiEEEEPS6_NSA_18transform_iteratorI7is_evenIiESF_NSA_11use_defaultESK_EENS0_5tupleIJNSA_16discard_iteratorISK_EESO_EEENSM_IJSG_SG_EEES6_PlJS6_EEE10hipError_tPvRmT3_T4_T5_T6_T7_T9_mT8_P12ihipStream_tbDpT10_ENKUlT_T0_E_clISt17integral_constantIbLb1EES1B_EEDaS16_S17_EUlS16_E_NS1_11comp_targetILNS1_3genE10ELNS1_11target_archE1200ELNS1_3gpuE4ELNS1_3repE0EEENS1_30default_config_static_selectorELNS0_4arch9wavefront6targetE1EEEvT1_, .Lfunc_end3272-_ZN7rocprim17ROCPRIM_400000_NS6detail17trampoline_kernelINS0_14default_configENS1_25partition_config_selectorILNS1_17partition_subalgoE1EiNS0_10empty_typeEbEEZZNS1_14partition_implILS5_1ELb0ES3_jN6thrust23THRUST_200600_302600_NS6detail15normal_iteratorINSA_10device_ptrIiEEEEPS6_NSA_18transform_iteratorI7is_evenIiESF_NSA_11use_defaultESK_EENS0_5tupleIJNSA_16discard_iteratorISK_EESO_EEENSM_IJSG_SG_EEES6_PlJS6_EEE10hipError_tPvRmT3_T4_T5_T6_T7_T9_mT8_P12ihipStream_tbDpT10_ENKUlT_T0_E_clISt17integral_constantIbLb1EES1B_EEDaS16_S17_EUlS16_E_NS1_11comp_targetILNS1_3genE10ELNS1_11target_archE1200ELNS1_3gpuE4ELNS1_3repE0EEENS1_30default_config_static_selectorELNS0_4arch9wavefront6targetE1EEEvT1_
                                        ; -- End function
	.section	.AMDGPU.csdata,"",@progbits
; Kernel info:
; codeLenInByte = 0
; NumSgprs: 6
; NumVgprs: 0
; NumAgprs: 0
; TotalNumVgprs: 0
; ScratchSize: 0
; MemoryBound: 0
; FloatMode: 240
; IeeeMode: 1
; LDSByteSize: 0 bytes/workgroup (compile time only)
; SGPRBlocks: 0
; VGPRBlocks: 0
; NumSGPRsForWavesPerEU: 6
; NumVGPRsForWavesPerEU: 1
; AccumOffset: 4
; Occupancy: 8
; WaveLimiterHint : 0
; COMPUTE_PGM_RSRC2:SCRATCH_EN: 0
; COMPUTE_PGM_RSRC2:USER_SGPR: 2
; COMPUTE_PGM_RSRC2:TRAP_HANDLER: 0
; COMPUTE_PGM_RSRC2:TGID_X_EN: 1
; COMPUTE_PGM_RSRC2:TGID_Y_EN: 0
; COMPUTE_PGM_RSRC2:TGID_Z_EN: 0
; COMPUTE_PGM_RSRC2:TIDIG_COMP_CNT: 0
; COMPUTE_PGM_RSRC3_GFX90A:ACCUM_OFFSET: 0
; COMPUTE_PGM_RSRC3_GFX90A:TG_SPLIT: 0
	.section	.text._ZN7rocprim17ROCPRIM_400000_NS6detail17trampoline_kernelINS0_14default_configENS1_25partition_config_selectorILNS1_17partition_subalgoE1EiNS0_10empty_typeEbEEZZNS1_14partition_implILS5_1ELb0ES3_jN6thrust23THRUST_200600_302600_NS6detail15normal_iteratorINSA_10device_ptrIiEEEEPS6_NSA_18transform_iteratorI7is_evenIiESF_NSA_11use_defaultESK_EENS0_5tupleIJNSA_16discard_iteratorISK_EESO_EEENSM_IJSG_SG_EEES6_PlJS6_EEE10hipError_tPvRmT3_T4_T5_T6_T7_T9_mT8_P12ihipStream_tbDpT10_ENKUlT_T0_E_clISt17integral_constantIbLb1EES1B_EEDaS16_S17_EUlS16_E_NS1_11comp_targetILNS1_3genE9ELNS1_11target_archE1100ELNS1_3gpuE3ELNS1_3repE0EEENS1_30default_config_static_selectorELNS0_4arch9wavefront6targetE1EEEvT1_,"axG",@progbits,_ZN7rocprim17ROCPRIM_400000_NS6detail17trampoline_kernelINS0_14default_configENS1_25partition_config_selectorILNS1_17partition_subalgoE1EiNS0_10empty_typeEbEEZZNS1_14partition_implILS5_1ELb0ES3_jN6thrust23THRUST_200600_302600_NS6detail15normal_iteratorINSA_10device_ptrIiEEEEPS6_NSA_18transform_iteratorI7is_evenIiESF_NSA_11use_defaultESK_EENS0_5tupleIJNSA_16discard_iteratorISK_EESO_EEENSM_IJSG_SG_EEES6_PlJS6_EEE10hipError_tPvRmT3_T4_T5_T6_T7_T9_mT8_P12ihipStream_tbDpT10_ENKUlT_T0_E_clISt17integral_constantIbLb1EES1B_EEDaS16_S17_EUlS16_E_NS1_11comp_targetILNS1_3genE9ELNS1_11target_archE1100ELNS1_3gpuE3ELNS1_3repE0EEENS1_30default_config_static_selectorELNS0_4arch9wavefront6targetE1EEEvT1_,comdat
	.protected	_ZN7rocprim17ROCPRIM_400000_NS6detail17trampoline_kernelINS0_14default_configENS1_25partition_config_selectorILNS1_17partition_subalgoE1EiNS0_10empty_typeEbEEZZNS1_14partition_implILS5_1ELb0ES3_jN6thrust23THRUST_200600_302600_NS6detail15normal_iteratorINSA_10device_ptrIiEEEEPS6_NSA_18transform_iteratorI7is_evenIiESF_NSA_11use_defaultESK_EENS0_5tupleIJNSA_16discard_iteratorISK_EESO_EEENSM_IJSG_SG_EEES6_PlJS6_EEE10hipError_tPvRmT3_T4_T5_T6_T7_T9_mT8_P12ihipStream_tbDpT10_ENKUlT_T0_E_clISt17integral_constantIbLb1EES1B_EEDaS16_S17_EUlS16_E_NS1_11comp_targetILNS1_3genE9ELNS1_11target_archE1100ELNS1_3gpuE3ELNS1_3repE0EEENS1_30default_config_static_selectorELNS0_4arch9wavefront6targetE1EEEvT1_ ; -- Begin function _ZN7rocprim17ROCPRIM_400000_NS6detail17trampoline_kernelINS0_14default_configENS1_25partition_config_selectorILNS1_17partition_subalgoE1EiNS0_10empty_typeEbEEZZNS1_14partition_implILS5_1ELb0ES3_jN6thrust23THRUST_200600_302600_NS6detail15normal_iteratorINSA_10device_ptrIiEEEEPS6_NSA_18transform_iteratorI7is_evenIiESF_NSA_11use_defaultESK_EENS0_5tupleIJNSA_16discard_iteratorISK_EESO_EEENSM_IJSG_SG_EEES6_PlJS6_EEE10hipError_tPvRmT3_T4_T5_T6_T7_T9_mT8_P12ihipStream_tbDpT10_ENKUlT_T0_E_clISt17integral_constantIbLb1EES1B_EEDaS16_S17_EUlS16_E_NS1_11comp_targetILNS1_3genE9ELNS1_11target_archE1100ELNS1_3gpuE3ELNS1_3repE0EEENS1_30default_config_static_selectorELNS0_4arch9wavefront6targetE1EEEvT1_
	.globl	_ZN7rocprim17ROCPRIM_400000_NS6detail17trampoline_kernelINS0_14default_configENS1_25partition_config_selectorILNS1_17partition_subalgoE1EiNS0_10empty_typeEbEEZZNS1_14partition_implILS5_1ELb0ES3_jN6thrust23THRUST_200600_302600_NS6detail15normal_iteratorINSA_10device_ptrIiEEEEPS6_NSA_18transform_iteratorI7is_evenIiESF_NSA_11use_defaultESK_EENS0_5tupleIJNSA_16discard_iteratorISK_EESO_EEENSM_IJSG_SG_EEES6_PlJS6_EEE10hipError_tPvRmT3_T4_T5_T6_T7_T9_mT8_P12ihipStream_tbDpT10_ENKUlT_T0_E_clISt17integral_constantIbLb1EES1B_EEDaS16_S17_EUlS16_E_NS1_11comp_targetILNS1_3genE9ELNS1_11target_archE1100ELNS1_3gpuE3ELNS1_3repE0EEENS1_30default_config_static_selectorELNS0_4arch9wavefront6targetE1EEEvT1_
	.p2align	8
	.type	_ZN7rocprim17ROCPRIM_400000_NS6detail17trampoline_kernelINS0_14default_configENS1_25partition_config_selectorILNS1_17partition_subalgoE1EiNS0_10empty_typeEbEEZZNS1_14partition_implILS5_1ELb0ES3_jN6thrust23THRUST_200600_302600_NS6detail15normal_iteratorINSA_10device_ptrIiEEEEPS6_NSA_18transform_iteratorI7is_evenIiESF_NSA_11use_defaultESK_EENS0_5tupleIJNSA_16discard_iteratorISK_EESO_EEENSM_IJSG_SG_EEES6_PlJS6_EEE10hipError_tPvRmT3_T4_T5_T6_T7_T9_mT8_P12ihipStream_tbDpT10_ENKUlT_T0_E_clISt17integral_constantIbLb1EES1B_EEDaS16_S17_EUlS16_E_NS1_11comp_targetILNS1_3genE9ELNS1_11target_archE1100ELNS1_3gpuE3ELNS1_3repE0EEENS1_30default_config_static_selectorELNS0_4arch9wavefront6targetE1EEEvT1_,@function
_ZN7rocprim17ROCPRIM_400000_NS6detail17trampoline_kernelINS0_14default_configENS1_25partition_config_selectorILNS1_17partition_subalgoE1EiNS0_10empty_typeEbEEZZNS1_14partition_implILS5_1ELb0ES3_jN6thrust23THRUST_200600_302600_NS6detail15normal_iteratorINSA_10device_ptrIiEEEEPS6_NSA_18transform_iteratorI7is_evenIiESF_NSA_11use_defaultESK_EENS0_5tupleIJNSA_16discard_iteratorISK_EESO_EEENSM_IJSG_SG_EEES6_PlJS6_EEE10hipError_tPvRmT3_T4_T5_T6_T7_T9_mT8_P12ihipStream_tbDpT10_ENKUlT_T0_E_clISt17integral_constantIbLb1EES1B_EEDaS16_S17_EUlS16_E_NS1_11comp_targetILNS1_3genE9ELNS1_11target_archE1100ELNS1_3gpuE3ELNS1_3repE0EEENS1_30default_config_static_selectorELNS0_4arch9wavefront6targetE1EEEvT1_: ; @_ZN7rocprim17ROCPRIM_400000_NS6detail17trampoline_kernelINS0_14default_configENS1_25partition_config_selectorILNS1_17partition_subalgoE1EiNS0_10empty_typeEbEEZZNS1_14partition_implILS5_1ELb0ES3_jN6thrust23THRUST_200600_302600_NS6detail15normal_iteratorINSA_10device_ptrIiEEEEPS6_NSA_18transform_iteratorI7is_evenIiESF_NSA_11use_defaultESK_EENS0_5tupleIJNSA_16discard_iteratorISK_EESO_EEENSM_IJSG_SG_EEES6_PlJS6_EEE10hipError_tPvRmT3_T4_T5_T6_T7_T9_mT8_P12ihipStream_tbDpT10_ENKUlT_T0_E_clISt17integral_constantIbLb1EES1B_EEDaS16_S17_EUlS16_E_NS1_11comp_targetILNS1_3genE9ELNS1_11target_archE1100ELNS1_3gpuE3ELNS1_3repE0EEENS1_30default_config_static_selectorELNS0_4arch9wavefront6targetE1EEEvT1_
; %bb.0:
	.section	.rodata,"a",@progbits
	.p2align	6, 0x0
	.amdhsa_kernel _ZN7rocprim17ROCPRIM_400000_NS6detail17trampoline_kernelINS0_14default_configENS1_25partition_config_selectorILNS1_17partition_subalgoE1EiNS0_10empty_typeEbEEZZNS1_14partition_implILS5_1ELb0ES3_jN6thrust23THRUST_200600_302600_NS6detail15normal_iteratorINSA_10device_ptrIiEEEEPS6_NSA_18transform_iteratorI7is_evenIiESF_NSA_11use_defaultESK_EENS0_5tupleIJNSA_16discard_iteratorISK_EESO_EEENSM_IJSG_SG_EEES6_PlJS6_EEE10hipError_tPvRmT3_T4_T5_T6_T7_T9_mT8_P12ihipStream_tbDpT10_ENKUlT_T0_E_clISt17integral_constantIbLb1EES1B_EEDaS16_S17_EUlS16_E_NS1_11comp_targetILNS1_3genE9ELNS1_11target_archE1100ELNS1_3gpuE3ELNS1_3repE0EEENS1_30default_config_static_selectorELNS0_4arch9wavefront6targetE1EEEvT1_
		.amdhsa_group_segment_fixed_size 0
		.amdhsa_private_segment_fixed_size 0
		.amdhsa_kernarg_size 160
		.amdhsa_user_sgpr_count 2
		.amdhsa_user_sgpr_dispatch_ptr 0
		.amdhsa_user_sgpr_queue_ptr 0
		.amdhsa_user_sgpr_kernarg_segment_ptr 1
		.amdhsa_user_sgpr_dispatch_id 0
		.amdhsa_user_sgpr_kernarg_preload_length 0
		.amdhsa_user_sgpr_kernarg_preload_offset 0
		.amdhsa_user_sgpr_private_segment_size 0
		.amdhsa_uses_dynamic_stack 0
		.amdhsa_enable_private_segment 0
		.amdhsa_system_sgpr_workgroup_id_x 1
		.amdhsa_system_sgpr_workgroup_id_y 0
		.amdhsa_system_sgpr_workgroup_id_z 0
		.amdhsa_system_sgpr_workgroup_info 0
		.amdhsa_system_vgpr_workitem_id 0
		.amdhsa_next_free_vgpr 1
		.amdhsa_next_free_sgpr 0
		.amdhsa_accum_offset 4
		.amdhsa_reserve_vcc 0
		.amdhsa_float_round_mode_32 0
		.amdhsa_float_round_mode_16_64 0
		.amdhsa_float_denorm_mode_32 3
		.amdhsa_float_denorm_mode_16_64 3
		.amdhsa_dx10_clamp 1
		.amdhsa_ieee_mode 1
		.amdhsa_fp16_overflow 0
		.amdhsa_tg_split 0
		.amdhsa_exception_fp_ieee_invalid_op 0
		.amdhsa_exception_fp_denorm_src 0
		.amdhsa_exception_fp_ieee_div_zero 0
		.amdhsa_exception_fp_ieee_overflow 0
		.amdhsa_exception_fp_ieee_underflow 0
		.amdhsa_exception_fp_ieee_inexact 0
		.amdhsa_exception_int_div_zero 0
	.end_amdhsa_kernel
	.section	.text._ZN7rocprim17ROCPRIM_400000_NS6detail17trampoline_kernelINS0_14default_configENS1_25partition_config_selectorILNS1_17partition_subalgoE1EiNS0_10empty_typeEbEEZZNS1_14partition_implILS5_1ELb0ES3_jN6thrust23THRUST_200600_302600_NS6detail15normal_iteratorINSA_10device_ptrIiEEEEPS6_NSA_18transform_iteratorI7is_evenIiESF_NSA_11use_defaultESK_EENS0_5tupleIJNSA_16discard_iteratorISK_EESO_EEENSM_IJSG_SG_EEES6_PlJS6_EEE10hipError_tPvRmT3_T4_T5_T6_T7_T9_mT8_P12ihipStream_tbDpT10_ENKUlT_T0_E_clISt17integral_constantIbLb1EES1B_EEDaS16_S17_EUlS16_E_NS1_11comp_targetILNS1_3genE9ELNS1_11target_archE1100ELNS1_3gpuE3ELNS1_3repE0EEENS1_30default_config_static_selectorELNS0_4arch9wavefront6targetE1EEEvT1_,"axG",@progbits,_ZN7rocprim17ROCPRIM_400000_NS6detail17trampoline_kernelINS0_14default_configENS1_25partition_config_selectorILNS1_17partition_subalgoE1EiNS0_10empty_typeEbEEZZNS1_14partition_implILS5_1ELb0ES3_jN6thrust23THRUST_200600_302600_NS6detail15normal_iteratorINSA_10device_ptrIiEEEEPS6_NSA_18transform_iteratorI7is_evenIiESF_NSA_11use_defaultESK_EENS0_5tupleIJNSA_16discard_iteratorISK_EESO_EEENSM_IJSG_SG_EEES6_PlJS6_EEE10hipError_tPvRmT3_T4_T5_T6_T7_T9_mT8_P12ihipStream_tbDpT10_ENKUlT_T0_E_clISt17integral_constantIbLb1EES1B_EEDaS16_S17_EUlS16_E_NS1_11comp_targetILNS1_3genE9ELNS1_11target_archE1100ELNS1_3gpuE3ELNS1_3repE0EEENS1_30default_config_static_selectorELNS0_4arch9wavefront6targetE1EEEvT1_,comdat
.Lfunc_end3273:
	.size	_ZN7rocprim17ROCPRIM_400000_NS6detail17trampoline_kernelINS0_14default_configENS1_25partition_config_selectorILNS1_17partition_subalgoE1EiNS0_10empty_typeEbEEZZNS1_14partition_implILS5_1ELb0ES3_jN6thrust23THRUST_200600_302600_NS6detail15normal_iteratorINSA_10device_ptrIiEEEEPS6_NSA_18transform_iteratorI7is_evenIiESF_NSA_11use_defaultESK_EENS0_5tupleIJNSA_16discard_iteratorISK_EESO_EEENSM_IJSG_SG_EEES6_PlJS6_EEE10hipError_tPvRmT3_T4_T5_T6_T7_T9_mT8_P12ihipStream_tbDpT10_ENKUlT_T0_E_clISt17integral_constantIbLb1EES1B_EEDaS16_S17_EUlS16_E_NS1_11comp_targetILNS1_3genE9ELNS1_11target_archE1100ELNS1_3gpuE3ELNS1_3repE0EEENS1_30default_config_static_selectorELNS0_4arch9wavefront6targetE1EEEvT1_, .Lfunc_end3273-_ZN7rocprim17ROCPRIM_400000_NS6detail17trampoline_kernelINS0_14default_configENS1_25partition_config_selectorILNS1_17partition_subalgoE1EiNS0_10empty_typeEbEEZZNS1_14partition_implILS5_1ELb0ES3_jN6thrust23THRUST_200600_302600_NS6detail15normal_iteratorINSA_10device_ptrIiEEEEPS6_NSA_18transform_iteratorI7is_evenIiESF_NSA_11use_defaultESK_EENS0_5tupleIJNSA_16discard_iteratorISK_EESO_EEENSM_IJSG_SG_EEES6_PlJS6_EEE10hipError_tPvRmT3_T4_T5_T6_T7_T9_mT8_P12ihipStream_tbDpT10_ENKUlT_T0_E_clISt17integral_constantIbLb1EES1B_EEDaS16_S17_EUlS16_E_NS1_11comp_targetILNS1_3genE9ELNS1_11target_archE1100ELNS1_3gpuE3ELNS1_3repE0EEENS1_30default_config_static_selectorELNS0_4arch9wavefront6targetE1EEEvT1_
                                        ; -- End function
	.section	.AMDGPU.csdata,"",@progbits
; Kernel info:
; codeLenInByte = 0
; NumSgprs: 6
; NumVgprs: 0
; NumAgprs: 0
; TotalNumVgprs: 0
; ScratchSize: 0
; MemoryBound: 0
; FloatMode: 240
; IeeeMode: 1
; LDSByteSize: 0 bytes/workgroup (compile time only)
; SGPRBlocks: 0
; VGPRBlocks: 0
; NumSGPRsForWavesPerEU: 6
; NumVGPRsForWavesPerEU: 1
; AccumOffset: 4
; Occupancy: 8
; WaveLimiterHint : 0
; COMPUTE_PGM_RSRC2:SCRATCH_EN: 0
; COMPUTE_PGM_RSRC2:USER_SGPR: 2
; COMPUTE_PGM_RSRC2:TRAP_HANDLER: 0
; COMPUTE_PGM_RSRC2:TGID_X_EN: 1
; COMPUTE_PGM_RSRC2:TGID_Y_EN: 0
; COMPUTE_PGM_RSRC2:TGID_Z_EN: 0
; COMPUTE_PGM_RSRC2:TIDIG_COMP_CNT: 0
; COMPUTE_PGM_RSRC3_GFX90A:ACCUM_OFFSET: 0
; COMPUTE_PGM_RSRC3_GFX90A:TG_SPLIT: 0
	.section	.text._ZN7rocprim17ROCPRIM_400000_NS6detail17trampoline_kernelINS0_14default_configENS1_25partition_config_selectorILNS1_17partition_subalgoE1EiNS0_10empty_typeEbEEZZNS1_14partition_implILS5_1ELb0ES3_jN6thrust23THRUST_200600_302600_NS6detail15normal_iteratorINSA_10device_ptrIiEEEEPS6_NSA_18transform_iteratorI7is_evenIiESF_NSA_11use_defaultESK_EENS0_5tupleIJNSA_16discard_iteratorISK_EESO_EEENSM_IJSG_SG_EEES6_PlJS6_EEE10hipError_tPvRmT3_T4_T5_T6_T7_T9_mT8_P12ihipStream_tbDpT10_ENKUlT_T0_E_clISt17integral_constantIbLb1EES1B_EEDaS16_S17_EUlS16_E_NS1_11comp_targetILNS1_3genE8ELNS1_11target_archE1030ELNS1_3gpuE2ELNS1_3repE0EEENS1_30default_config_static_selectorELNS0_4arch9wavefront6targetE1EEEvT1_,"axG",@progbits,_ZN7rocprim17ROCPRIM_400000_NS6detail17trampoline_kernelINS0_14default_configENS1_25partition_config_selectorILNS1_17partition_subalgoE1EiNS0_10empty_typeEbEEZZNS1_14partition_implILS5_1ELb0ES3_jN6thrust23THRUST_200600_302600_NS6detail15normal_iteratorINSA_10device_ptrIiEEEEPS6_NSA_18transform_iteratorI7is_evenIiESF_NSA_11use_defaultESK_EENS0_5tupleIJNSA_16discard_iteratorISK_EESO_EEENSM_IJSG_SG_EEES6_PlJS6_EEE10hipError_tPvRmT3_T4_T5_T6_T7_T9_mT8_P12ihipStream_tbDpT10_ENKUlT_T0_E_clISt17integral_constantIbLb1EES1B_EEDaS16_S17_EUlS16_E_NS1_11comp_targetILNS1_3genE8ELNS1_11target_archE1030ELNS1_3gpuE2ELNS1_3repE0EEENS1_30default_config_static_selectorELNS0_4arch9wavefront6targetE1EEEvT1_,comdat
	.protected	_ZN7rocprim17ROCPRIM_400000_NS6detail17trampoline_kernelINS0_14default_configENS1_25partition_config_selectorILNS1_17partition_subalgoE1EiNS0_10empty_typeEbEEZZNS1_14partition_implILS5_1ELb0ES3_jN6thrust23THRUST_200600_302600_NS6detail15normal_iteratorINSA_10device_ptrIiEEEEPS6_NSA_18transform_iteratorI7is_evenIiESF_NSA_11use_defaultESK_EENS0_5tupleIJNSA_16discard_iteratorISK_EESO_EEENSM_IJSG_SG_EEES6_PlJS6_EEE10hipError_tPvRmT3_T4_T5_T6_T7_T9_mT8_P12ihipStream_tbDpT10_ENKUlT_T0_E_clISt17integral_constantIbLb1EES1B_EEDaS16_S17_EUlS16_E_NS1_11comp_targetILNS1_3genE8ELNS1_11target_archE1030ELNS1_3gpuE2ELNS1_3repE0EEENS1_30default_config_static_selectorELNS0_4arch9wavefront6targetE1EEEvT1_ ; -- Begin function _ZN7rocprim17ROCPRIM_400000_NS6detail17trampoline_kernelINS0_14default_configENS1_25partition_config_selectorILNS1_17partition_subalgoE1EiNS0_10empty_typeEbEEZZNS1_14partition_implILS5_1ELb0ES3_jN6thrust23THRUST_200600_302600_NS6detail15normal_iteratorINSA_10device_ptrIiEEEEPS6_NSA_18transform_iteratorI7is_evenIiESF_NSA_11use_defaultESK_EENS0_5tupleIJNSA_16discard_iteratorISK_EESO_EEENSM_IJSG_SG_EEES6_PlJS6_EEE10hipError_tPvRmT3_T4_T5_T6_T7_T9_mT8_P12ihipStream_tbDpT10_ENKUlT_T0_E_clISt17integral_constantIbLb1EES1B_EEDaS16_S17_EUlS16_E_NS1_11comp_targetILNS1_3genE8ELNS1_11target_archE1030ELNS1_3gpuE2ELNS1_3repE0EEENS1_30default_config_static_selectorELNS0_4arch9wavefront6targetE1EEEvT1_
	.globl	_ZN7rocprim17ROCPRIM_400000_NS6detail17trampoline_kernelINS0_14default_configENS1_25partition_config_selectorILNS1_17partition_subalgoE1EiNS0_10empty_typeEbEEZZNS1_14partition_implILS5_1ELb0ES3_jN6thrust23THRUST_200600_302600_NS6detail15normal_iteratorINSA_10device_ptrIiEEEEPS6_NSA_18transform_iteratorI7is_evenIiESF_NSA_11use_defaultESK_EENS0_5tupleIJNSA_16discard_iteratorISK_EESO_EEENSM_IJSG_SG_EEES6_PlJS6_EEE10hipError_tPvRmT3_T4_T5_T6_T7_T9_mT8_P12ihipStream_tbDpT10_ENKUlT_T0_E_clISt17integral_constantIbLb1EES1B_EEDaS16_S17_EUlS16_E_NS1_11comp_targetILNS1_3genE8ELNS1_11target_archE1030ELNS1_3gpuE2ELNS1_3repE0EEENS1_30default_config_static_selectorELNS0_4arch9wavefront6targetE1EEEvT1_
	.p2align	8
	.type	_ZN7rocprim17ROCPRIM_400000_NS6detail17trampoline_kernelINS0_14default_configENS1_25partition_config_selectorILNS1_17partition_subalgoE1EiNS0_10empty_typeEbEEZZNS1_14partition_implILS5_1ELb0ES3_jN6thrust23THRUST_200600_302600_NS6detail15normal_iteratorINSA_10device_ptrIiEEEEPS6_NSA_18transform_iteratorI7is_evenIiESF_NSA_11use_defaultESK_EENS0_5tupleIJNSA_16discard_iteratorISK_EESO_EEENSM_IJSG_SG_EEES6_PlJS6_EEE10hipError_tPvRmT3_T4_T5_T6_T7_T9_mT8_P12ihipStream_tbDpT10_ENKUlT_T0_E_clISt17integral_constantIbLb1EES1B_EEDaS16_S17_EUlS16_E_NS1_11comp_targetILNS1_3genE8ELNS1_11target_archE1030ELNS1_3gpuE2ELNS1_3repE0EEENS1_30default_config_static_selectorELNS0_4arch9wavefront6targetE1EEEvT1_,@function
_ZN7rocprim17ROCPRIM_400000_NS6detail17trampoline_kernelINS0_14default_configENS1_25partition_config_selectorILNS1_17partition_subalgoE1EiNS0_10empty_typeEbEEZZNS1_14partition_implILS5_1ELb0ES3_jN6thrust23THRUST_200600_302600_NS6detail15normal_iteratorINSA_10device_ptrIiEEEEPS6_NSA_18transform_iteratorI7is_evenIiESF_NSA_11use_defaultESK_EENS0_5tupleIJNSA_16discard_iteratorISK_EESO_EEENSM_IJSG_SG_EEES6_PlJS6_EEE10hipError_tPvRmT3_T4_T5_T6_T7_T9_mT8_P12ihipStream_tbDpT10_ENKUlT_T0_E_clISt17integral_constantIbLb1EES1B_EEDaS16_S17_EUlS16_E_NS1_11comp_targetILNS1_3genE8ELNS1_11target_archE1030ELNS1_3gpuE2ELNS1_3repE0EEENS1_30default_config_static_selectorELNS0_4arch9wavefront6targetE1EEEvT1_: ; @_ZN7rocprim17ROCPRIM_400000_NS6detail17trampoline_kernelINS0_14default_configENS1_25partition_config_selectorILNS1_17partition_subalgoE1EiNS0_10empty_typeEbEEZZNS1_14partition_implILS5_1ELb0ES3_jN6thrust23THRUST_200600_302600_NS6detail15normal_iteratorINSA_10device_ptrIiEEEEPS6_NSA_18transform_iteratorI7is_evenIiESF_NSA_11use_defaultESK_EENS0_5tupleIJNSA_16discard_iteratorISK_EESO_EEENSM_IJSG_SG_EEES6_PlJS6_EEE10hipError_tPvRmT3_T4_T5_T6_T7_T9_mT8_P12ihipStream_tbDpT10_ENKUlT_T0_E_clISt17integral_constantIbLb1EES1B_EEDaS16_S17_EUlS16_E_NS1_11comp_targetILNS1_3genE8ELNS1_11target_archE1030ELNS1_3gpuE2ELNS1_3repE0EEENS1_30default_config_static_selectorELNS0_4arch9wavefront6targetE1EEEvT1_
; %bb.0:
	.section	.rodata,"a",@progbits
	.p2align	6, 0x0
	.amdhsa_kernel _ZN7rocprim17ROCPRIM_400000_NS6detail17trampoline_kernelINS0_14default_configENS1_25partition_config_selectorILNS1_17partition_subalgoE1EiNS0_10empty_typeEbEEZZNS1_14partition_implILS5_1ELb0ES3_jN6thrust23THRUST_200600_302600_NS6detail15normal_iteratorINSA_10device_ptrIiEEEEPS6_NSA_18transform_iteratorI7is_evenIiESF_NSA_11use_defaultESK_EENS0_5tupleIJNSA_16discard_iteratorISK_EESO_EEENSM_IJSG_SG_EEES6_PlJS6_EEE10hipError_tPvRmT3_T4_T5_T6_T7_T9_mT8_P12ihipStream_tbDpT10_ENKUlT_T0_E_clISt17integral_constantIbLb1EES1B_EEDaS16_S17_EUlS16_E_NS1_11comp_targetILNS1_3genE8ELNS1_11target_archE1030ELNS1_3gpuE2ELNS1_3repE0EEENS1_30default_config_static_selectorELNS0_4arch9wavefront6targetE1EEEvT1_
		.amdhsa_group_segment_fixed_size 0
		.amdhsa_private_segment_fixed_size 0
		.amdhsa_kernarg_size 160
		.amdhsa_user_sgpr_count 2
		.amdhsa_user_sgpr_dispatch_ptr 0
		.amdhsa_user_sgpr_queue_ptr 0
		.amdhsa_user_sgpr_kernarg_segment_ptr 1
		.amdhsa_user_sgpr_dispatch_id 0
		.amdhsa_user_sgpr_kernarg_preload_length 0
		.amdhsa_user_sgpr_kernarg_preload_offset 0
		.amdhsa_user_sgpr_private_segment_size 0
		.amdhsa_uses_dynamic_stack 0
		.amdhsa_enable_private_segment 0
		.amdhsa_system_sgpr_workgroup_id_x 1
		.amdhsa_system_sgpr_workgroup_id_y 0
		.amdhsa_system_sgpr_workgroup_id_z 0
		.amdhsa_system_sgpr_workgroup_info 0
		.amdhsa_system_vgpr_workitem_id 0
		.amdhsa_next_free_vgpr 1
		.amdhsa_next_free_sgpr 0
		.amdhsa_accum_offset 4
		.amdhsa_reserve_vcc 0
		.amdhsa_float_round_mode_32 0
		.amdhsa_float_round_mode_16_64 0
		.amdhsa_float_denorm_mode_32 3
		.amdhsa_float_denorm_mode_16_64 3
		.amdhsa_dx10_clamp 1
		.amdhsa_ieee_mode 1
		.amdhsa_fp16_overflow 0
		.amdhsa_tg_split 0
		.amdhsa_exception_fp_ieee_invalid_op 0
		.amdhsa_exception_fp_denorm_src 0
		.amdhsa_exception_fp_ieee_div_zero 0
		.amdhsa_exception_fp_ieee_overflow 0
		.amdhsa_exception_fp_ieee_underflow 0
		.amdhsa_exception_fp_ieee_inexact 0
		.amdhsa_exception_int_div_zero 0
	.end_amdhsa_kernel
	.section	.text._ZN7rocprim17ROCPRIM_400000_NS6detail17trampoline_kernelINS0_14default_configENS1_25partition_config_selectorILNS1_17partition_subalgoE1EiNS0_10empty_typeEbEEZZNS1_14partition_implILS5_1ELb0ES3_jN6thrust23THRUST_200600_302600_NS6detail15normal_iteratorINSA_10device_ptrIiEEEEPS6_NSA_18transform_iteratorI7is_evenIiESF_NSA_11use_defaultESK_EENS0_5tupleIJNSA_16discard_iteratorISK_EESO_EEENSM_IJSG_SG_EEES6_PlJS6_EEE10hipError_tPvRmT3_T4_T5_T6_T7_T9_mT8_P12ihipStream_tbDpT10_ENKUlT_T0_E_clISt17integral_constantIbLb1EES1B_EEDaS16_S17_EUlS16_E_NS1_11comp_targetILNS1_3genE8ELNS1_11target_archE1030ELNS1_3gpuE2ELNS1_3repE0EEENS1_30default_config_static_selectorELNS0_4arch9wavefront6targetE1EEEvT1_,"axG",@progbits,_ZN7rocprim17ROCPRIM_400000_NS6detail17trampoline_kernelINS0_14default_configENS1_25partition_config_selectorILNS1_17partition_subalgoE1EiNS0_10empty_typeEbEEZZNS1_14partition_implILS5_1ELb0ES3_jN6thrust23THRUST_200600_302600_NS6detail15normal_iteratorINSA_10device_ptrIiEEEEPS6_NSA_18transform_iteratorI7is_evenIiESF_NSA_11use_defaultESK_EENS0_5tupleIJNSA_16discard_iteratorISK_EESO_EEENSM_IJSG_SG_EEES6_PlJS6_EEE10hipError_tPvRmT3_T4_T5_T6_T7_T9_mT8_P12ihipStream_tbDpT10_ENKUlT_T0_E_clISt17integral_constantIbLb1EES1B_EEDaS16_S17_EUlS16_E_NS1_11comp_targetILNS1_3genE8ELNS1_11target_archE1030ELNS1_3gpuE2ELNS1_3repE0EEENS1_30default_config_static_selectorELNS0_4arch9wavefront6targetE1EEEvT1_,comdat
.Lfunc_end3274:
	.size	_ZN7rocprim17ROCPRIM_400000_NS6detail17trampoline_kernelINS0_14default_configENS1_25partition_config_selectorILNS1_17partition_subalgoE1EiNS0_10empty_typeEbEEZZNS1_14partition_implILS5_1ELb0ES3_jN6thrust23THRUST_200600_302600_NS6detail15normal_iteratorINSA_10device_ptrIiEEEEPS6_NSA_18transform_iteratorI7is_evenIiESF_NSA_11use_defaultESK_EENS0_5tupleIJNSA_16discard_iteratorISK_EESO_EEENSM_IJSG_SG_EEES6_PlJS6_EEE10hipError_tPvRmT3_T4_T5_T6_T7_T9_mT8_P12ihipStream_tbDpT10_ENKUlT_T0_E_clISt17integral_constantIbLb1EES1B_EEDaS16_S17_EUlS16_E_NS1_11comp_targetILNS1_3genE8ELNS1_11target_archE1030ELNS1_3gpuE2ELNS1_3repE0EEENS1_30default_config_static_selectorELNS0_4arch9wavefront6targetE1EEEvT1_, .Lfunc_end3274-_ZN7rocprim17ROCPRIM_400000_NS6detail17trampoline_kernelINS0_14default_configENS1_25partition_config_selectorILNS1_17partition_subalgoE1EiNS0_10empty_typeEbEEZZNS1_14partition_implILS5_1ELb0ES3_jN6thrust23THRUST_200600_302600_NS6detail15normal_iteratorINSA_10device_ptrIiEEEEPS6_NSA_18transform_iteratorI7is_evenIiESF_NSA_11use_defaultESK_EENS0_5tupleIJNSA_16discard_iteratorISK_EESO_EEENSM_IJSG_SG_EEES6_PlJS6_EEE10hipError_tPvRmT3_T4_T5_T6_T7_T9_mT8_P12ihipStream_tbDpT10_ENKUlT_T0_E_clISt17integral_constantIbLb1EES1B_EEDaS16_S17_EUlS16_E_NS1_11comp_targetILNS1_3genE8ELNS1_11target_archE1030ELNS1_3gpuE2ELNS1_3repE0EEENS1_30default_config_static_selectorELNS0_4arch9wavefront6targetE1EEEvT1_
                                        ; -- End function
	.section	.AMDGPU.csdata,"",@progbits
; Kernel info:
; codeLenInByte = 0
; NumSgprs: 6
; NumVgprs: 0
; NumAgprs: 0
; TotalNumVgprs: 0
; ScratchSize: 0
; MemoryBound: 0
; FloatMode: 240
; IeeeMode: 1
; LDSByteSize: 0 bytes/workgroup (compile time only)
; SGPRBlocks: 0
; VGPRBlocks: 0
; NumSGPRsForWavesPerEU: 6
; NumVGPRsForWavesPerEU: 1
; AccumOffset: 4
; Occupancy: 8
; WaveLimiterHint : 0
; COMPUTE_PGM_RSRC2:SCRATCH_EN: 0
; COMPUTE_PGM_RSRC2:USER_SGPR: 2
; COMPUTE_PGM_RSRC2:TRAP_HANDLER: 0
; COMPUTE_PGM_RSRC2:TGID_X_EN: 1
; COMPUTE_PGM_RSRC2:TGID_Y_EN: 0
; COMPUTE_PGM_RSRC2:TGID_Z_EN: 0
; COMPUTE_PGM_RSRC2:TIDIG_COMP_CNT: 0
; COMPUTE_PGM_RSRC3_GFX90A:ACCUM_OFFSET: 0
; COMPUTE_PGM_RSRC3_GFX90A:TG_SPLIT: 0
	.section	.text._ZN7rocprim17ROCPRIM_400000_NS6detail17trampoline_kernelINS0_14default_configENS1_25partition_config_selectorILNS1_17partition_subalgoE1EiNS0_10empty_typeEbEEZZNS1_14partition_implILS5_1ELb0ES3_jN6thrust23THRUST_200600_302600_NS6detail15normal_iteratorINSA_10device_ptrIiEEEEPS6_NSA_18transform_iteratorI7is_evenIiESF_NSA_11use_defaultESK_EENS0_5tupleIJNSA_16discard_iteratorISK_EESO_EEENSM_IJSG_SG_EEES6_PlJS6_EEE10hipError_tPvRmT3_T4_T5_T6_T7_T9_mT8_P12ihipStream_tbDpT10_ENKUlT_T0_E_clISt17integral_constantIbLb1EES1A_IbLb0EEEEDaS16_S17_EUlS16_E_NS1_11comp_targetILNS1_3genE0ELNS1_11target_archE4294967295ELNS1_3gpuE0ELNS1_3repE0EEENS1_30default_config_static_selectorELNS0_4arch9wavefront6targetE1EEEvT1_,"axG",@progbits,_ZN7rocprim17ROCPRIM_400000_NS6detail17trampoline_kernelINS0_14default_configENS1_25partition_config_selectorILNS1_17partition_subalgoE1EiNS0_10empty_typeEbEEZZNS1_14partition_implILS5_1ELb0ES3_jN6thrust23THRUST_200600_302600_NS6detail15normal_iteratorINSA_10device_ptrIiEEEEPS6_NSA_18transform_iteratorI7is_evenIiESF_NSA_11use_defaultESK_EENS0_5tupleIJNSA_16discard_iteratorISK_EESO_EEENSM_IJSG_SG_EEES6_PlJS6_EEE10hipError_tPvRmT3_T4_T5_T6_T7_T9_mT8_P12ihipStream_tbDpT10_ENKUlT_T0_E_clISt17integral_constantIbLb1EES1A_IbLb0EEEEDaS16_S17_EUlS16_E_NS1_11comp_targetILNS1_3genE0ELNS1_11target_archE4294967295ELNS1_3gpuE0ELNS1_3repE0EEENS1_30default_config_static_selectorELNS0_4arch9wavefront6targetE1EEEvT1_,comdat
	.protected	_ZN7rocprim17ROCPRIM_400000_NS6detail17trampoline_kernelINS0_14default_configENS1_25partition_config_selectorILNS1_17partition_subalgoE1EiNS0_10empty_typeEbEEZZNS1_14partition_implILS5_1ELb0ES3_jN6thrust23THRUST_200600_302600_NS6detail15normal_iteratorINSA_10device_ptrIiEEEEPS6_NSA_18transform_iteratorI7is_evenIiESF_NSA_11use_defaultESK_EENS0_5tupleIJNSA_16discard_iteratorISK_EESO_EEENSM_IJSG_SG_EEES6_PlJS6_EEE10hipError_tPvRmT3_T4_T5_T6_T7_T9_mT8_P12ihipStream_tbDpT10_ENKUlT_T0_E_clISt17integral_constantIbLb1EES1A_IbLb0EEEEDaS16_S17_EUlS16_E_NS1_11comp_targetILNS1_3genE0ELNS1_11target_archE4294967295ELNS1_3gpuE0ELNS1_3repE0EEENS1_30default_config_static_selectorELNS0_4arch9wavefront6targetE1EEEvT1_ ; -- Begin function _ZN7rocprim17ROCPRIM_400000_NS6detail17trampoline_kernelINS0_14default_configENS1_25partition_config_selectorILNS1_17partition_subalgoE1EiNS0_10empty_typeEbEEZZNS1_14partition_implILS5_1ELb0ES3_jN6thrust23THRUST_200600_302600_NS6detail15normal_iteratorINSA_10device_ptrIiEEEEPS6_NSA_18transform_iteratorI7is_evenIiESF_NSA_11use_defaultESK_EENS0_5tupleIJNSA_16discard_iteratorISK_EESO_EEENSM_IJSG_SG_EEES6_PlJS6_EEE10hipError_tPvRmT3_T4_T5_T6_T7_T9_mT8_P12ihipStream_tbDpT10_ENKUlT_T0_E_clISt17integral_constantIbLb1EES1A_IbLb0EEEEDaS16_S17_EUlS16_E_NS1_11comp_targetILNS1_3genE0ELNS1_11target_archE4294967295ELNS1_3gpuE0ELNS1_3repE0EEENS1_30default_config_static_selectorELNS0_4arch9wavefront6targetE1EEEvT1_
	.globl	_ZN7rocprim17ROCPRIM_400000_NS6detail17trampoline_kernelINS0_14default_configENS1_25partition_config_selectorILNS1_17partition_subalgoE1EiNS0_10empty_typeEbEEZZNS1_14partition_implILS5_1ELb0ES3_jN6thrust23THRUST_200600_302600_NS6detail15normal_iteratorINSA_10device_ptrIiEEEEPS6_NSA_18transform_iteratorI7is_evenIiESF_NSA_11use_defaultESK_EENS0_5tupleIJNSA_16discard_iteratorISK_EESO_EEENSM_IJSG_SG_EEES6_PlJS6_EEE10hipError_tPvRmT3_T4_T5_T6_T7_T9_mT8_P12ihipStream_tbDpT10_ENKUlT_T0_E_clISt17integral_constantIbLb1EES1A_IbLb0EEEEDaS16_S17_EUlS16_E_NS1_11comp_targetILNS1_3genE0ELNS1_11target_archE4294967295ELNS1_3gpuE0ELNS1_3repE0EEENS1_30default_config_static_selectorELNS0_4arch9wavefront6targetE1EEEvT1_
	.p2align	8
	.type	_ZN7rocprim17ROCPRIM_400000_NS6detail17trampoline_kernelINS0_14default_configENS1_25partition_config_selectorILNS1_17partition_subalgoE1EiNS0_10empty_typeEbEEZZNS1_14partition_implILS5_1ELb0ES3_jN6thrust23THRUST_200600_302600_NS6detail15normal_iteratorINSA_10device_ptrIiEEEEPS6_NSA_18transform_iteratorI7is_evenIiESF_NSA_11use_defaultESK_EENS0_5tupleIJNSA_16discard_iteratorISK_EESO_EEENSM_IJSG_SG_EEES6_PlJS6_EEE10hipError_tPvRmT3_T4_T5_T6_T7_T9_mT8_P12ihipStream_tbDpT10_ENKUlT_T0_E_clISt17integral_constantIbLb1EES1A_IbLb0EEEEDaS16_S17_EUlS16_E_NS1_11comp_targetILNS1_3genE0ELNS1_11target_archE4294967295ELNS1_3gpuE0ELNS1_3repE0EEENS1_30default_config_static_selectorELNS0_4arch9wavefront6targetE1EEEvT1_,@function
_ZN7rocprim17ROCPRIM_400000_NS6detail17trampoline_kernelINS0_14default_configENS1_25partition_config_selectorILNS1_17partition_subalgoE1EiNS0_10empty_typeEbEEZZNS1_14partition_implILS5_1ELb0ES3_jN6thrust23THRUST_200600_302600_NS6detail15normal_iteratorINSA_10device_ptrIiEEEEPS6_NSA_18transform_iteratorI7is_evenIiESF_NSA_11use_defaultESK_EENS0_5tupleIJNSA_16discard_iteratorISK_EESO_EEENSM_IJSG_SG_EEES6_PlJS6_EEE10hipError_tPvRmT3_T4_T5_T6_T7_T9_mT8_P12ihipStream_tbDpT10_ENKUlT_T0_E_clISt17integral_constantIbLb1EES1A_IbLb0EEEEDaS16_S17_EUlS16_E_NS1_11comp_targetILNS1_3genE0ELNS1_11target_archE4294967295ELNS1_3gpuE0ELNS1_3repE0EEENS1_30default_config_static_selectorELNS0_4arch9wavefront6targetE1EEEvT1_: ; @_ZN7rocprim17ROCPRIM_400000_NS6detail17trampoline_kernelINS0_14default_configENS1_25partition_config_selectorILNS1_17partition_subalgoE1EiNS0_10empty_typeEbEEZZNS1_14partition_implILS5_1ELb0ES3_jN6thrust23THRUST_200600_302600_NS6detail15normal_iteratorINSA_10device_ptrIiEEEEPS6_NSA_18transform_iteratorI7is_evenIiESF_NSA_11use_defaultESK_EENS0_5tupleIJNSA_16discard_iteratorISK_EESO_EEENSM_IJSG_SG_EEES6_PlJS6_EEE10hipError_tPvRmT3_T4_T5_T6_T7_T9_mT8_P12ihipStream_tbDpT10_ENKUlT_T0_E_clISt17integral_constantIbLb1EES1A_IbLb0EEEEDaS16_S17_EUlS16_E_NS1_11comp_targetILNS1_3genE0ELNS1_11target_archE4294967295ELNS1_3gpuE0ELNS1_3repE0EEENS1_30default_config_static_selectorELNS0_4arch9wavefront6targetE1EEEvT1_
; %bb.0:
	.section	.rodata,"a",@progbits
	.p2align	6, 0x0
	.amdhsa_kernel _ZN7rocprim17ROCPRIM_400000_NS6detail17trampoline_kernelINS0_14default_configENS1_25partition_config_selectorILNS1_17partition_subalgoE1EiNS0_10empty_typeEbEEZZNS1_14partition_implILS5_1ELb0ES3_jN6thrust23THRUST_200600_302600_NS6detail15normal_iteratorINSA_10device_ptrIiEEEEPS6_NSA_18transform_iteratorI7is_evenIiESF_NSA_11use_defaultESK_EENS0_5tupleIJNSA_16discard_iteratorISK_EESO_EEENSM_IJSG_SG_EEES6_PlJS6_EEE10hipError_tPvRmT3_T4_T5_T6_T7_T9_mT8_P12ihipStream_tbDpT10_ENKUlT_T0_E_clISt17integral_constantIbLb1EES1A_IbLb0EEEEDaS16_S17_EUlS16_E_NS1_11comp_targetILNS1_3genE0ELNS1_11target_archE4294967295ELNS1_3gpuE0ELNS1_3repE0EEENS1_30default_config_static_selectorELNS0_4arch9wavefront6targetE1EEEvT1_
		.amdhsa_group_segment_fixed_size 0
		.amdhsa_private_segment_fixed_size 0
		.amdhsa_kernarg_size 144
		.amdhsa_user_sgpr_count 2
		.amdhsa_user_sgpr_dispatch_ptr 0
		.amdhsa_user_sgpr_queue_ptr 0
		.amdhsa_user_sgpr_kernarg_segment_ptr 1
		.amdhsa_user_sgpr_dispatch_id 0
		.amdhsa_user_sgpr_kernarg_preload_length 0
		.amdhsa_user_sgpr_kernarg_preload_offset 0
		.amdhsa_user_sgpr_private_segment_size 0
		.amdhsa_uses_dynamic_stack 0
		.amdhsa_enable_private_segment 0
		.amdhsa_system_sgpr_workgroup_id_x 1
		.amdhsa_system_sgpr_workgroup_id_y 0
		.amdhsa_system_sgpr_workgroup_id_z 0
		.amdhsa_system_sgpr_workgroup_info 0
		.amdhsa_system_vgpr_workitem_id 0
		.amdhsa_next_free_vgpr 1
		.amdhsa_next_free_sgpr 0
		.amdhsa_accum_offset 4
		.amdhsa_reserve_vcc 0
		.amdhsa_float_round_mode_32 0
		.amdhsa_float_round_mode_16_64 0
		.amdhsa_float_denorm_mode_32 3
		.amdhsa_float_denorm_mode_16_64 3
		.amdhsa_dx10_clamp 1
		.amdhsa_ieee_mode 1
		.amdhsa_fp16_overflow 0
		.amdhsa_tg_split 0
		.amdhsa_exception_fp_ieee_invalid_op 0
		.amdhsa_exception_fp_denorm_src 0
		.amdhsa_exception_fp_ieee_div_zero 0
		.amdhsa_exception_fp_ieee_overflow 0
		.amdhsa_exception_fp_ieee_underflow 0
		.amdhsa_exception_fp_ieee_inexact 0
		.amdhsa_exception_int_div_zero 0
	.end_amdhsa_kernel
	.section	.text._ZN7rocprim17ROCPRIM_400000_NS6detail17trampoline_kernelINS0_14default_configENS1_25partition_config_selectorILNS1_17partition_subalgoE1EiNS0_10empty_typeEbEEZZNS1_14partition_implILS5_1ELb0ES3_jN6thrust23THRUST_200600_302600_NS6detail15normal_iteratorINSA_10device_ptrIiEEEEPS6_NSA_18transform_iteratorI7is_evenIiESF_NSA_11use_defaultESK_EENS0_5tupleIJNSA_16discard_iteratorISK_EESO_EEENSM_IJSG_SG_EEES6_PlJS6_EEE10hipError_tPvRmT3_T4_T5_T6_T7_T9_mT8_P12ihipStream_tbDpT10_ENKUlT_T0_E_clISt17integral_constantIbLb1EES1A_IbLb0EEEEDaS16_S17_EUlS16_E_NS1_11comp_targetILNS1_3genE0ELNS1_11target_archE4294967295ELNS1_3gpuE0ELNS1_3repE0EEENS1_30default_config_static_selectorELNS0_4arch9wavefront6targetE1EEEvT1_,"axG",@progbits,_ZN7rocprim17ROCPRIM_400000_NS6detail17trampoline_kernelINS0_14default_configENS1_25partition_config_selectorILNS1_17partition_subalgoE1EiNS0_10empty_typeEbEEZZNS1_14partition_implILS5_1ELb0ES3_jN6thrust23THRUST_200600_302600_NS6detail15normal_iteratorINSA_10device_ptrIiEEEEPS6_NSA_18transform_iteratorI7is_evenIiESF_NSA_11use_defaultESK_EENS0_5tupleIJNSA_16discard_iteratorISK_EESO_EEENSM_IJSG_SG_EEES6_PlJS6_EEE10hipError_tPvRmT3_T4_T5_T6_T7_T9_mT8_P12ihipStream_tbDpT10_ENKUlT_T0_E_clISt17integral_constantIbLb1EES1A_IbLb0EEEEDaS16_S17_EUlS16_E_NS1_11comp_targetILNS1_3genE0ELNS1_11target_archE4294967295ELNS1_3gpuE0ELNS1_3repE0EEENS1_30default_config_static_selectorELNS0_4arch9wavefront6targetE1EEEvT1_,comdat
.Lfunc_end3275:
	.size	_ZN7rocprim17ROCPRIM_400000_NS6detail17trampoline_kernelINS0_14default_configENS1_25partition_config_selectorILNS1_17partition_subalgoE1EiNS0_10empty_typeEbEEZZNS1_14partition_implILS5_1ELb0ES3_jN6thrust23THRUST_200600_302600_NS6detail15normal_iteratorINSA_10device_ptrIiEEEEPS6_NSA_18transform_iteratorI7is_evenIiESF_NSA_11use_defaultESK_EENS0_5tupleIJNSA_16discard_iteratorISK_EESO_EEENSM_IJSG_SG_EEES6_PlJS6_EEE10hipError_tPvRmT3_T4_T5_T6_T7_T9_mT8_P12ihipStream_tbDpT10_ENKUlT_T0_E_clISt17integral_constantIbLb1EES1A_IbLb0EEEEDaS16_S17_EUlS16_E_NS1_11comp_targetILNS1_3genE0ELNS1_11target_archE4294967295ELNS1_3gpuE0ELNS1_3repE0EEENS1_30default_config_static_selectorELNS0_4arch9wavefront6targetE1EEEvT1_, .Lfunc_end3275-_ZN7rocprim17ROCPRIM_400000_NS6detail17trampoline_kernelINS0_14default_configENS1_25partition_config_selectorILNS1_17partition_subalgoE1EiNS0_10empty_typeEbEEZZNS1_14partition_implILS5_1ELb0ES3_jN6thrust23THRUST_200600_302600_NS6detail15normal_iteratorINSA_10device_ptrIiEEEEPS6_NSA_18transform_iteratorI7is_evenIiESF_NSA_11use_defaultESK_EENS0_5tupleIJNSA_16discard_iteratorISK_EESO_EEENSM_IJSG_SG_EEES6_PlJS6_EEE10hipError_tPvRmT3_T4_T5_T6_T7_T9_mT8_P12ihipStream_tbDpT10_ENKUlT_T0_E_clISt17integral_constantIbLb1EES1A_IbLb0EEEEDaS16_S17_EUlS16_E_NS1_11comp_targetILNS1_3genE0ELNS1_11target_archE4294967295ELNS1_3gpuE0ELNS1_3repE0EEENS1_30default_config_static_selectorELNS0_4arch9wavefront6targetE1EEEvT1_
                                        ; -- End function
	.section	.AMDGPU.csdata,"",@progbits
; Kernel info:
; codeLenInByte = 0
; NumSgprs: 6
; NumVgprs: 0
; NumAgprs: 0
; TotalNumVgprs: 0
; ScratchSize: 0
; MemoryBound: 0
; FloatMode: 240
; IeeeMode: 1
; LDSByteSize: 0 bytes/workgroup (compile time only)
; SGPRBlocks: 0
; VGPRBlocks: 0
; NumSGPRsForWavesPerEU: 6
; NumVGPRsForWavesPerEU: 1
; AccumOffset: 4
; Occupancy: 8
; WaveLimiterHint : 0
; COMPUTE_PGM_RSRC2:SCRATCH_EN: 0
; COMPUTE_PGM_RSRC2:USER_SGPR: 2
; COMPUTE_PGM_RSRC2:TRAP_HANDLER: 0
; COMPUTE_PGM_RSRC2:TGID_X_EN: 1
; COMPUTE_PGM_RSRC2:TGID_Y_EN: 0
; COMPUTE_PGM_RSRC2:TGID_Z_EN: 0
; COMPUTE_PGM_RSRC2:TIDIG_COMP_CNT: 0
; COMPUTE_PGM_RSRC3_GFX90A:ACCUM_OFFSET: 0
; COMPUTE_PGM_RSRC3_GFX90A:TG_SPLIT: 0
	.section	.text._ZN7rocprim17ROCPRIM_400000_NS6detail17trampoline_kernelINS0_14default_configENS1_25partition_config_selectorILNS1_17partition_subalgoE1EiNS0_10empty_typeEbEEZZNS1_14partition_implILS5_1ELb0ES3_jN6thrust23THRUST_200600_302600_NS6detail15normal_iteratorINSA_10device_ptrIiEEEEPS6_NSA_18transform_iteratorI7is_evenIiESF_NSA_11use_defaultESK_EENS0_5tupleIJNSA_16discard_iteratorISK_EESO_EEENSM_IJSG_SG_EEES6_PlJS6_EEE10hipError_tPvRmT3_T4_T5_T6_T7_T9_mT8_P12ihipStream_tbDpT10_ENKUlT_T0_E_clISt17integral_constantIbLb1EES1A_IbLb0EEEEDaS16_S17_EUlS16_E_NS1_11comp_targetILNS1_3genE5ELNS1_11target_archE942ELNS1_3gpuE9ELNS1_3repE0EEENS1_30default_config_static_selectorELNS0_4arch9wavefront6targetE1EEEvT1_,"axG",@progbits,_ZN7rocprim17ROCPRIM_400000_NS6detail17trampoline_kernelINS0_14default_configENS1_25partition_config_selectorILNS1_17partition_subalgoE1EiNS0_10empty_typeEbEEZZNS1_14partition_implILS5_1ELb0ES3_jN6thrust23THRUST_200600_302600_NS6detail15normal_iteratorINSA_10device_ptrIiEEEEPS6_NSA_18transform_iteratorI7is_evenIiESF_NSA_11use_defaultESK_EENS0_5tupleIJNSA_16discard_iteratorISK_EESO_EEENSM_IJSG_SG_EEES6_PlJS6_EEE10hipError_tPvRmT3_T4_T5_T6_T7_T9_mT8_P12ihipStream_tbDpT10_ENKUlT_T0_E_clISt17integral_constantIbLb1EES1A_IbLb0EEEEDaS16_S17_EUlS16_E_NS1_11comp_targetILNS1_3genE5ELNS1_11target_archE942ELNS1_3gpuE9ELNS1_3repE0EEENS1_30default_config_static_selectorELNS0_4arch9wavefront6targetE1EEEvT1_,comdat
	.protected	_ZN7rocprim17ROCPRIM_400000_NS6detail17trampoline_kernelINS0_14default_configENS1_25partition_config_selectorILNS1_17partition_subalgoE1EiNS0_10empty_typeEbEEZZNS1_14partition_implILS5_1ELb0ES3_jN6thrust23THRUST_200600_302600_NS6detail15normal_iteratorINSA_10device_ptrIiEEEEPS6_NSA_18transform_iteratorI7is_evenIiESF_NSA_11use_defaultESK_EENS0_5tupleIJNSA_16discard_iteratorISK_EESO_EEENSM_IJSG_SG_EEES6_PlJS6_EEE10hipError_tPvRmT3_T4_T5_T6_T7_T9_mT8_P12ihipStream_tbDpT10_ENKUlT_T0_E_clISt17integral_constantIbLb1EES1A_IbLb0EEEEDaS16_S17_EUlS16_E_NS1_11comp_targetILNS1_3genE5ELNS1_11target_archE942ELNS1_3gpuE9ELNS1_3repE0EEENS1_30default_config_static_selectorELNS0_4arch9wavefront6targetE1EEEvT1_ ; -- Begin function _ZN7rocprim17ROCPRIM_400000_NS6detail17trampoline_kernelINS0_14default_configENS1_25partition_config_selectorILNS1_17partition_subalgoE1EiNS0_10empty_typeEbEEZZNS1_14partition_implILS5_1ELb0ES3_jN6thrust23THRUST_200600_302600_NS6detail15normal_iteratorINSA_10device_ptrIiEEEEPS6_NSA_18transform_iteratorI7is_evenIiESF_NSA_11use_defaultESK_EENS0_5tupleIJNSA_16discard_iteratorISK_EESO_EEENSM_IJSG_SG_EEES6_PlJS6_EEE10hipError_tPvRmT3_T4_T5_T6_T7_T9_mT8_P12ihipStream_tbDpT10_ENKUlT_T0_E_clISt17integral_constantIbLb1EES1A_IbLb0EEEEDaS16_S17_EUlS16_E_NS1_11comp_targetILNS1_3genE5ELNS1_11target_archE942ELNS1_3gpuE9ELNS1_3repE0EEENS1_30default_config_static_selectorELNS0_4arch9wavefront6targetE1EEEvT1_
	.globl	_ZN7rocprim17ROCPRIM_400000_NS6detail17trampoline_kernelINS0_14default_configENS1_25partition_config_selectorILNS1_17partition_subalgoE1EiNS0_10empty_typeEbEEZZNS1_14partition_implILS5_1ELb0ES3_jN6thrust23THRUST_200600_302600_NS6detail15normal_iteratorINSA_10device_ptrIiEEEEPS6_NSA_18transform_iteratorI7is_evenIiESF_NSA_11use_defaultESK_EENS0_5tupleIJNSA_16discard_iteratorISK_EESO_EEENSM_IJSG_SG_EEES6_PlJS6_EEE10hipError_tPvRmT3_T4_T5_T6_T7_T9_mT8_P12ihipStream_tbDpT10_ENKUlT_T0_E_clISt17integral_constantIbLb1EES1A_IbLb0EEEEDaS16_S17_EUlS16_E_NS1_11comp_targetILNS1_3genE5ELNS1_11target_archE942ELNS1_3gpuE9ELNS1_3repE0EEENS1_30default_config_static_selectorELNS0_4arch9wavefront6targetE1EEEvT1_
	.p2align	8
	.type	_ZN7rocprim17ROCPRIM_400000_NS6detail17trampoline_kernelINS0_14default_configENS1_25partition_config_selectorILNS1_17partition_subalgoE1EiNS0_10empty_typeEbEEZZNS1_14partition_implILS5_1ELb0ES3_jN6thrust23THRUST_200600_302600_NS6detail15normal_iteratorINSA_10device_ptrIiEEEEPS6_NSA_18transform_iteratorI7is_evenIiESF_NSA_11use_defaultESK_EENS0_5tupleIJNSA_16discard_iteratorISK_EESO_EEENSM_IJSG_SG_EEES6_PlJS6_EEE10hipError_tPvRmT3_T4_T5_T6_T7_T9_mT8_P12ihipStream_tbDpT10_ENKUlT_T0_E_clISt17integral_constantIbLb1EES1A_IbLb0EEEEDaS16_S17_EUlS16_E_NS1_11comp_targetILNS1_3genE5ELNS1_11target_archE942ELNS1_3gpuE9ELNS1_3repE0EEENS1_30default_config_static_selectorELNS0_4arch9wavefront6targetE1EEEvT1_,@function
_ZN7rocprim17ROCPRIM_400000_NS6detail17trampoline_kernelINS0_14default_configENS1_25partition_config_selectorILNS1_17partition_subalgoE1EiNS0_10empty_typeEbEEZZNS1_14partition_implILS5_1ELb0ES3_jN6thrust23THRUST_200600_302600_NS6detail15normal_iteratorINSA_10device_ptrIiEEEEPS6_NSA_18transform_iteratorI7is_evenIiESF_NSA_11use_defaultESK_EENS0_5tupleIJNSA_16discard_iteratorISK_EESO_EEENSM_IJSG_SG_EEES6_PlJS6_EEE10hipError_tPvRmT3_T4_T5_T6_T7_T9_mT8_P12ihipStream_tbDpT10_ENKUlT_T0_E_clISt17integral_constantIbLb1EES1A_IbLb0EEEEDaS16_S17_EUlS16_E_NS1_11comp_targetILNS1_3genE5ELNS1_11target_archE942ELNS1_3gpuE9ELNS1_3repE0EEENS1_30default_config_static_selectorELNS0_4arch9wavefront6targetE1EEEvT1_: ; @_ZN7rocprim17ROCPRIM_400000_NS6detail17trampoline_kernelINS0_14default_configENS1_25partition_config_selectorILNS1_17partition_subalgoE1EiNS0_10empty_typeEbEEZZNS1_14partition_implILS5_1ELb0ES3_jN6thrust23THRUST_200600_302600_NS6detail15normal_iteratorINSA_10device_ptrIiEEEEPS6_NSA_18transform_iteratorI7is_evenIiESF_NSA_11use_defaultESK_EENS0_5tupleIJNSA_16discard_iteratorISK_EESO_EEENSM_IJSG_SG_EEES6_PlJS6_EEE10hipError_tPvRmT3_T4_T5_T6_T7_T9_mT8_P12ihipStream_tbDpT10_ENKUlT_T0_E_clISt17integral_constantIbLb1EES1A_IbLb0EEEEDaS16_S17_EUlS16_E_NS1_11comp_targetILNS1_3genE5ELNS1_11target_archE942ELNS1_3gpuE9ELNS1_3repE0EEENS1_30default_config_static_selectorELNS0_4arch9wavefront6targetE1EEEvT1_
; %bb.0:
	s_load_dword s3, s[0:1], 0x88
	s_load_dwordx2 s[4:5], s[0:1], 0x70
	s_load_dwordx4 s[12:15], s[0:1], 0x8
	s_load_dwordx2 s[6:7], s[0:1], 0x20
	s_load_dwordx4 s[20:23], s[0:1], 0x60
	s_waitcnt lgkmcnt(0)
	v_mov_b32_e32 v3, s5
	s_lshl_b64 s[10:11], s[14:15], 2
	s_add_u32 s16, s12, s10
	s_mul_i32 s5, s3, 0x1e00
	s_addc_u32 s17, s13, s11
	s_add_i32 s8, s3, -1
	s_add_i32 s3, s5, s14
	s_sub_i32 s3, s4, s3
	s_addk_i32 s3, 0x1e00
	v_mov_b32_e32 v2, s4
	s_add_u32 s4, s14, s5
	s_addc_u32 s5, s15, 0
	s_cmp_eq_u32 s2, s8
	s_load_dwordx2 s[18:19], s[22:23], 0x0
	s_cselect_b64 s[22:23], -1, 0
	s_cmp_lg_u32 s2, s8
	s_mul_i32 s12, s2, 0x1e00
	s_mov_b32 s13, 0
	v_cmp_lt_u64_e32 vcc, s[4:5], v[2:3]
	s_cselect_b64 s[4:5], -1, 0
	s_or_b64 s[8:9], s[4:5], vcc
	s_lshl_b64 s[12:13], s[12:13], 2
	s_add_u32 s14, s16, s12
	s_addc_u32 s15, s17, s13
	s_mov_b64 s[4:5], -1
	s_and_b64 vcc, exec, s[8:9]
	s_cbranch_vccz .LBB3276_2
; %bb.1:
	v_lshlrev_b32_e32 v2, 2, v0
	v_mov_b32_e32 v3, 0
	v_lshl_add_u64 v[4:5], s[14:15], 0, v[2:3]
	v_add_co_u32_e32 v6, vcc, 0x1000, v4
	s_mov_b64 s[4:5], 0
	s_nop 0
	v_addc_co_u32_e32 v7, vcc, 0, v5, vcc
	v_add_co_u32_e32 v8, vcc, 0x2000, v4
	s_nop 1
	v_addc_co_u32_e32 v9, vcc, 0, v5, vcc
	v_add_co_u32_e32 v10, vcc, 0x3000, v4
	s_nop 1
	v_addc_co_u32_e32 v11, vcc, 0, v5, vcc
	flat_load_dword v1, v[4:5]
	flat_load_dword v3, v[4:5] offset:2048
	flat_load_dword v12, v[6:7]
	flat_load_dword v13, v[6:7] offset:2048
	;; [unrolled: 2-line block ×4, first 2 shown]
	v_add_co_u32_e32 v6, vcc, 0x4000, v4
	s_nop 1
	v_addc_co_u32_e32 v7, vcc, 0, v5, vcc
	v_add_co_u32_e32 v8, vcc, 0x5000, v4
	s_nop 1
	v_addc_co_u32_e32 v9, vcc, 0, v5, vcc
	;; [unrolled: 3-line block ×4, first 2 shown]
	flat_load_dword v18, v[6:7]
	flat_load_dword v19, v[6:7] offset:2048
	flat_load_dword v20, v[8:9]
	flat_load_dword v21, v[8:9] offset:2048
	;; [unrolled: 2-line block ×3, first 2 shown]
	flat_load_dword v24, v[4:5]
	s_waitcnt vmcnt(0) lgkmcnt(0)
	ds_write2st64_b32 v2, v1, v3 offset1:8
	ds_write2st64_b32 v2, v12, v13 offset0:16 offset1:24
	ds_write2st64_b32 v2, v14, v15 offset0:32 offset1:40
	;; [unrolled: 1-line block ×6, first 2 shown]
	ds_write_b32 v2, v24 offset:28672
	s_waitcnt lgkmcnt(0)
	s_barrier
.LBB3276_2:
	s_andn2_b64 vcc, exec, s[4:5]
	v_cmp_gt_u32_e64 s[4:5], s3, v0
	s_cbranch_vccnz .LBB3276_34
; %bb.3:
                                        ; implicit-def: $vgpr2_vgpr3_vgpr4_vgpr5_vgpr6_vgpr7_vgpr8_vgpr9_vgpr10_vgpr11_vgpr12_vgpr13_vgpr14_vgpr15_vgpr16_vgpr17
	s_and_saveexec_b64 s[16:17], s[4:5]
	s_cbranch_execz .LBB3276_5
; %bb.4:
	v_lshlrev_b32_e32 v2, 2, v0
	v_mov_b32_e32 v3, 0
	v_lshl_add_u64 v[2:3], s[14:15], 0, v[2:3]
	flat_load_dword v2, v[2:3]
.LBB3276_5:
	s_or_b64 exec, exec, s[16:17]
	v_or_b32_e32 v1, 0x200, v0
	v_cmp_gt_u32_e32 vcc, s3, v1
	s_and_saveexec_b64 s[4:5], vcc
	s_cbranch_execz .LBB3276_7
; %bb.6:
	v_lshlrev_b32_e32 v18, 2, v0
	v_mov_b32_e32 v19, 0
	v_lshl_add_u64 v[18:19], s[14:15], 0, v[18:19]
	flat_load_dword v3, v[18:19] offset:2048
.LBB3276_7:
	s_or_b64 exec, exec, s[4:5]
	v_or_b32_e32 v1, 0x400, v0
	v_cmp_gt_u32_e32 vcc, s3, v1
	s_and_saveexec_b64 s[4:5], vcc
	s_cbranch_execz .LBB3276_9
; %bb.8:
	v_lshlrev_b32_e32 v18, 2, v1
	v_mov_b32_e32 v19, 0
	v_lshl_add_u64 v[18:19], s[14:15], 0, v[18:19]
	flat_load_dword v4, v[18:19]
.LBB3276_9:
	s_or_b64 exec, exec, s[4:5]
	v_or_b32_e32 v1, 0x600, v0
	v_cmp_gt_u32_e32 vcc, s3, v1
	s_and_saveexec_b64 s[4:5], vcc
	s_cbranch_execz .LBB3276_11
; %bb.10:
	v_lshlrev_b32_e32 v18, 2, v1
	v_mov_b32_e32 v19, 0
	v_lshl_add_u64 v[18:19], s[14:15], 0, v[18:19]
	flat_load_dword v5, v[18:19]
.LBB3276_11:
	;; [unrolled: 11-line block ×13, first 2 shown]
	s_or_b64 exec, exec, s[4:5]
	v_lshlrev_b32_e32 v1, 2, v0
	s_waitcnt vmcnt(0) lgkmcnt(0)
	ds_write2st64_b32 v1, v2, v3 offset1:8
	ds_write2st64_b32 v1, v4, v5 offset0:16 offset1:24
	ds_write2st64_b32 v1, v6, v7 offset0:32 offset1:40
	;; [unrolled: 1-line block ×6, first 2 shown]
	ds_write_b32 v1, v16 offset:28672
	s_waitcnt lgkmcnt(0)
	s_barrier
.LBB3276_34:
	v_mul_u32_u24_e32 v21, 15, v0
	v_lshlrev_b32_e32 v1, 2, v21
	s_waitcnt lgkmcnt(0)
	ds_read2_b32 v[34:35], v1 offset1:1
	ds_read2_b32 v[32:33], v1 offset0:2 offset1:3
	ds_read2_b32 v[30:31], v1 offset0:4 offset1:5
	ds_read2_b32 v[28:29], v1 offset0:6 offset1:7
	ds_read2_b32 v[26:27], v1 offset0:8 offset1:9
	ds_read2_b32 v[24:25], v1 offset0:10 offset1:11
	ds_read2_b32 v[22:23], v1 offset0:12 offset1:13
	ds_read_b32 v1, v1 offset:56
	s_add_u32 s4, s6, s10
	s_addc_u32 s5, s7, s11
	s_add_u32 s4, s4, s12
	s_addc_u32 s5, s5, s13
	s_mov_b64 s[6:7], -1
	s_and_b64 vcc, exec, s[8:9]
	s_waitcnt lgkmcnt(0)
	s_barrier
	s_cbranch_vccz .LBB3276_36
; %bb.35:
	v_lshlrev_b32_e32 v2, 2, v0
	v_mov_b32_e32 v3, 0
	v_lshl_add_u64 v[4:5], s[4:5], 0, v[2:3]
	global_load_dword v8, v2, s[4:5]
	global_load_dword v9, v2, s[4:5] offset:2048
	v_add_co_u32_e32 v2, vcc, 0x1000, v4
	s_mov_b64 s[6:7], 0
	s_nop 0
	v_addc_co_u32_e32 v3, vcc, 0, v5, vcc
	v_add_co_u32_e32 v6, vcc, 0x2000, v4
	s_nop 1
	v_addc_co_u32_e32 v7, vcc, 0, v5, vcc
	global_load_dword v10, v[2:3], off
	global_load_dword v11, v[2:3], off offset:2048
	global_load_dword v12, v[6:7], off
	global_load_dword v13, v[6:7], off offset:2048
	v_add_co_u32_e32 v2, vcc, 0x3000, v4
	s_nop 1
	v_addc_co_u32_e32 v3, vcc, 0, v5, vcc
	v_add_co_u32_e32 v6, vcc, 0x4000, v4
	s_nop 1
	v_addc_co_u32_e32 v7, vcc, 0, v5, vcc
	global_load_dword v14, v[2:3], off
	global_load_dword v15, v[2:3], off offset:2048
	global_load_dword v16, v[6:7], off
	global_load_dword v17, v[6:7], off offset:2048
	v_add_co_u32_e32 v2, vcc, 0x5000, v4
	s_nop 1
	v_addc_co_u32_e32 v3, vcc, 0, v5, vcc
	global_load_dword v6, v[2:3], off
	global_load_dword v7, v[2:3], off offset:2048
	v_add_co_u32_e32 v2, vcc, 0x6000, v4
	s_waitcnt vmcnt(1)
	v_xor_b32_e32 v6, -1, v6
	v_addc_co_u32_e32 v3, vcc, 0, v5, vcc
	global_load_dword v18, v[2:3], off
	global_load_dword v19, v[2:3], off offset:2048
	v_add_co_u32_e32 v2, vcc, 0x7000, v4
	v_xor_b32_e32 v4, -1, v9
	s_nop 0
	v_addc_co_u32_e32 v3, vcc, 0, v5, vcc
	global_load_dword v2, v[2:3], off
	v_xor_b32_e32 v3, -1, v8
	v_and_b32_e32 v3, 1, v3
	v_and_b32_e32 v4, 1, v4
	ds_write_b8 v0, v3
	ds_write_b8 v0, v4 offset:512
	v_xor_b32_e32 v3, -1, v10
	v_xor_b32_e32 v4, -1, v11
	v_and_b32_e32 v3, 1, v3
	v_and_b32_e32 v4, 1, v4
	v_xor_b32_e32 v5, -1, v12
	v_xor_b32_e32 v8, -1, v13
	v_xor_b32_e32 v9, -1, v14
	v_xor_b32_e32 v10, -1, v15
	v_and_b32_e32 v5, 1, v5
	v_and_b32_e32 v8, 1, v8
	ds_write_b8 v0, v3 offset:1024
	ds_write_b8 v0, v4 offset:1536
	v_and_b32_e32 v3, 1, v9
	v_and_b32_e32 v4, 1, v10
	v_xor_b32_e32 v9, -1, v16
	v_xor_b32_e32 v10, -1, v17
	s_waitcnt vmcnt(3)
	v_xor_b32_e32 v7, -1, v7
	ds_write_b8 v0, v5 offset:2048
	ds_write_b8 v0, v8 offset:2560
	v_and_b32_e32 v5, 1, v9
	v_and_b32_e32 v8, 1, v10
	ds_write_b8 v0, v3 offset:3072
	ds_write_b8 v0, v4 offset:3584
	v_and_b32_e32 v3, 1, v6
	v_and_b32_e32 v4, 1, v7
	ds_write_b8 v0, v5 offset:4096
	s_waitcnt vmcnt(2)
	v_xor_b32_e32 v6, -1, v18
	s_waitcnt vmcnt(1)
	v_xor_b32_e32 v7, -1, v19
	v_and_b32_e32 v5, 1, v6
	v_and_b32_e32 v6, 1, v7
	s_waitcnt vmcnt(0)
	v_xor_b32_e32 v2, -1, v2
	v_and_b32_e32 v2, 1, v2
	ds_write_b8 v0, v8 offset:4608
	ds_write_b8 v0, v3 offset:5120
	;; [unrolled: 1-line block ×6, first 2 shown]
	s_waitcnt lgkmcnt(0)
	s_barrier
.LBB3276_36:
	s_load_dwordx2 s[24:25], s[0:1], 0x80
	s_andn2_b64 vcc, exec, s[6:7]
	s_cbranch_vccnz .LBB3276_68
; %bb.37:
	v_cmp_gt_u32_e32 vcc, s3, v0
	v_mov_b32_e32 v2, 0
	v_mov_b32_e32 v3, 0
	s_and_saveexec_b64 s[0:1], vcc
	s_cbranch_execz .LBB3276_39
; %bb.38:
	v_lshlrev_b32_e32 v3, 2, v0
	global_load_dword v3, v3, s[4:5]
	s_waitcnt vmcnt(0)
	v_xor_b32_e32 v3, -1, v3
	v_and_b32_e32 v3, 1, v3
.LBB3276_39:
	s_or_b64 exec, exec, s[0:1]
	v_or_b32_e32 v4, 0x200, v0
	v_cmp_gt_u32_e32 vcc, s3, v4
	s_and_saveexec_b64 s[0:1], vcc
	s_cbranch_execz .LBB3276_41
; %bb.40:
	v_lshlrev_b32_e32 v2, 2, v0
	global_load_dword v2, v2, s[4:5] offset:2048
	s_waitcnt vmcnt(0)
	v_xor_b32_e32 v2, -1, v2
	v_and_b32_e32 v2, 1, v2
.LBB3276_41:
	s_or_b64 exec, exec, s[0:1]
	v_or_b32_e32 v6, 0x400, v0
	v_cmp_gt_u32_e32 vcc, s3, v6
	v_mov_b32_e32 v4, 0
	v_mov_b32_e32 v5, 0
	s_and_saveexec_b64 s[0:1], vcc
	s_cbranch_execz .LBB3276_43
; %bb.42:
	v_lshlrev_b32_e32 v5, 2, v6
	global_load_dword v5, v5, s[4:5]
	s_waitcnt vmcnt(0)
	v_xor_b32_e32 v5, -1, v5
	v_and_b32_e32 v5, 1, v5
.LBB3276_43:
	s_or_b64 exec, exec, s[0:1]
	v_or_b32_e32 v6, 0x600, v0
	v_cmp_gt_u32_e32 vcc, s3, v6
	s_and_saveexec_b64 s[0:1], vcc
	s_cbranch_execz .LBB3276_45
; %bb.44:
	v_lshlrev_b32_e32 v4, 2, v6
	global_load_dword v4, v4, s[4:5]
	s_waitcnt vmcnt(0)
	v_xor_b32_e32 v4, -1, v4
	v_and_b32_e32 v4, 1, v4
.LBB3276_45:
	s_or_b64 exec, exec, s[0:1]
	v_or_b32_e32 v8, 0x800, v0
	v_cmp_gt_u32_e32 vcc, s3, v8
	v_mov_b32_e32 v6, 0
	v_mov_b32_e32 v7, 0
	s_and_saveexec_b64 s[0:1], vcc
	s_cbranch_execz .LBB3276_47
; %bb.46:
	v_lshlrev_b32_e32 v7, 2, v8
	global_load_dword v7, v7, s[4:5]
	s_waitcnt vmcnt(0)
	v_xor_b32_e32 v7, -1, v7
	v_and_b32_e32 v7, 1, v7
.LBB3276_47:
	s_or_b64 exec, exec, s[0:1]
	v_or_b32_e32 v8, 0xa00, v0
	v_cmp_gt_u32_e32 vcc, s3, v8
	s_and_saveexec_b64 s[0:1], vcc
	s_cbranch_execz .LBB3276_49
; %bb.48:
	v_lshlrev_b32_e32 v6, 2, v8
	global_load_dword v6, v6, s[4:5]
	s_waitcnt vmcnt(0)
	v_xor_b32_e32 v6, -1, v6
	v_and_b32_e32 v6, 1, v6
.LBB3276_49:
	;; [unrolled: 26-line block ×6, first 2 shown]
	s_or_b64 exec, exec, s[0:1]
	v_or_b32_e32 v17, 0x1c00, v0
	v_cmp_gt_u32_e32 vcc, s3, v17
	v_mov_b32_e32 v16, 0
	s_and_saveexec_b64 s[0:1], vcc
	s_cbranch_execz .LBB3276_67
; %bb.66:
	v_lshlrev_b32_e32 v16, 2, v17
	global_load_dword v16, v16, s[4:5]
	s_waitcnt vmcnt(0)
	v_xor_b32_e32 v16, -1, v16
	v_and_b32_e32 v16, 1, v16
.LBB3276_67:
	s_or_b64 exec, exec, s[0:1]
	ds_write_b8 v0, v3
	ds_write_b8 v0, v2 offset:512
	ds_write_b8 v0, v5 offset:1024
	;; [unrolled: 1-line block ×14, first 2 shown]
	s_waitcnt lgkmcnt(0)
	s_barrier
.LBB3276_68:
	s_waitcnt lgkmcnt(0)
	ds_read_b96 v[18:20], v21
	ds_read_u8 v2, v21 offset:12
	ds_read_u8 v3, v21 offset:13
	;; [unrolled: 1-line block ×3, first 2 shown]
	s_cmp_lg_u32 s2, 0
	v_lshrrev_b32_e32 v54, 6, v0
	s_waitcnt lgkmcnt(2)
	v_and_b32_e32 v41, 1, v2
	v_and_b32_e32 v50, 0xff, v18
	v_bfe_u32 v51, v18, 8, 8
	v_bfe_u32 v52, v18, 16, 8
	v_lshrrev_b32_e32 v43, 24, v18
	v_and_b32_e32 v47, 0xff, v19
	v_add3_u32 v2, v51, v50, v52
	v_bfe_u32 v48, v19, 8, 8
	v_bfe_u32 v49, v19, 16, 8
	v_add3_u32 v2, v2, v43, v47
	v_lshrrev_b32_e32 v42, 24, v19
	v_and_b32_e32 v44, 0xff, v20
	v_add3_u32 v2, v2, v48, v49
	v_bfe_u32 v45, v20, 8, 8
	v_bfe_u32 v46, v20, 16, 8
	v_add3_u32 v2, v2, v42, v44
	v_lshrrev_b32_e32 v40, 24, v20
	v_add3_u32 v2, v2, v45, v46
	s_waitcnt lgkmcnt(1)
	v_and_b32_e32 v39, 1, v3
	s_waitcnt lgkmcnt(0)
	v_and_b32_e32 v38, 1, v4
	v_add3_u32 v2, v2, v40, v41
	v_add3_u32 v55, v2, v39, v38
	v_mbcnt_lo_u32_b32 v2, -1, 0
	v_mbcnt_hi_u32_b32 v53, -1, v2
	v_and_b32_e32 v2, 15, v53
	v_cmp_eq_u32_e64 s[12:13], 0, v2
	v_cmp_lt_u32_e64 s[10:11], 1, v2
	v_cmp_lt_u32_e64 s[8:9], 3, v2
	;; [unrolled: 1-line block ×3, first 2 shown]
	v_and_b32_e32 v2, 16, v53
	v_cmp_eq_u32_e64 s[4:5], 0, v2
	v_or_b32_e32 v2, 63, v0
	v_cmp_lt_u32_e64 s[0:1], 31, v53
	v_cmp_eq_u32_e64 s[16:17], v2, v0
	s_barrier
	s_cbranch_scc0 .LBB3276_99
; %bb.69:
	v_mov_b32_dpp v2, v55 row_shr:1 row_mask:0xf bank_mask:0xf
	v_cndmask_b32_e64 v2, v2, 0, s[12:13]
	v_add_u32_e32 v2, v2, v55
	s_nop 1
	v_mov_b32_dpp v3, v2 row_shr:2 row_mask:0xf bank_mask:0xf
	v_cndmask_b32_e64 v3, 0, v3, s[10:11]
	v_add_u32_e32 v2, v2, v3
	s_nop 1
	;; [unrolled: 4-line block ×4, first 2 shown]
	v_mov_b32_dpp v3, v2 row_bcast:15 row_mask:0xf bank_mask:0xf
	v_cndmask_b32_e64 v3, v3, 0, s[4:5]
	v_add_u32_e32 v2, v2, v3
	s_nop 1
	v_mov_b32_dpp v3, v2 row_bcast:31 row_mask:0xf bank_mask:0xf
	v_cndmask_b32_e64 v3, 0, v3, s[0:1]
	v_add_u32_e32 v2, v2, v3
	s_and_saveexec_b64 s[14:15], s[16:17]
	s_cbranch_execz .LBB3276_71
; %bb.70:
	v_lshlrev_b32_e32 v3, 2, v54
	ds_write_b32 v3, v2
.LBB3276_71:
	s_or_b64 exec, exec, s[14:15]
	v_cmp_gt_u32_e32 vcc, 8, v0
	s_waitcnt lgkmcnt(0)
	s_barrier
	s_and_saveexec_b64 s[14:15], vcc
	s_cbranch_execz .LBB3276_73
; %bb.72:
	v_lshlrev_b32_e32 v3, 2, v0
	ds_read_b32 v4, v3
	v_and_b32_e32 v5, 7, v53
	v_cmp_ne_u32_e32 vcc, 0, v5
	s_waitcnt lgkmcnt(0)
	v_mov_b32_dpp v6, v4 row_shr:1 row_mask:0xf bank_mask:0xf
	v_cndmask_b32_e32 v6, 0, v6, vcc
	v_add_u32_e32 v4, v6, v4
	v_cmp_lt_u32_e32 vcc, 1, v5
	s_nop 0
	v_mov_b32_dpp v6, v4 row_shr:2 row_mask:0xf bank_mask:0xf
	v_cndmask_b32_e32 v6, 0, v6, vcc
	v_add_u32_e32 v4, v4, v6
	v_cmp_lt_u32_e32 vcc, 3, v5
	s_nop 0
	v_mov_b32_dpp v6, v4 row_shr:4 row_mask:0xf bank_mask:0xf
	v_cndmask_b32_e32 v5, 0, v6, vcc
	v_add_u32_e32 v4, v4, v5
	ds_write_b32 v3, v4
.LBB3276_73:
	s_or_b64 exec, exec, s[14:15]
	v_cmp_gt_u32_e32 vcc, 64, v0
	v_cmp_lt_u32_e64 s[14:15], 63, v0
	s_waitcnt lgkmcnt(0)
	s_barrier
	s_waitcnt lgkmcnt(0)
                                        ; implicit-def: $vgpr12
	s_and_saveexec_b64 s[26:27], s[14:15]
	s_cbranch_execz .LBB3276_75
; %bb.74:
	v_lshl_add_u32 v3, v54, 2, -4
	ds_read_b32 v12, v3
	s_waitcnt lgkmcnt(0)
	v_add_u32_e32 v2, v12, v2
.LBB3276_75:
	s_or_b64 exec, exec, s[26:27]
	v_add_u32_e32 v3, -1, v53
	v_and_b32_e32 v4, 64, v53
	v_cmp_lt_i32_e64 s[14:15], v3, v4
	s_nop 1
	v_cndmask_b32_e64 v3, v3, v53, s[14:15]
	v_lshlrev_b32_e32 v3, 2, v3
	ds_bpermute_b32 v13, v3, v2
	v_cmp_eq_u32_e64 s[14:15], 0, v53
	s_and_saveexec_b64 s[26:27], vcc
	s_cbranch_execz .LBB3276_98
; %bb.76:
	v_mov_b32_e32 v11, 0
	ds_read_b32 v2, v11 offset:28
	s_and_saveexec_b64 s[28:29], s[14:15]
	s_cbranch_execz .LBB3276_78
; %bb.77:
	s_add_i32 s30, s2, 64
	s_mov_b32 s31, 0
	s_lshl_b64 s[30:31], s[30:31], 3
	s_add_u32 s30, s24, s30
	v_mov_b32_e32 v3, 1
	s_addc_u32 s31, s25, s31
	s_waitcnt lgkmcnt(0)
	global_store_dwordx2 v11, v[2:3], s[30:31] sc1
.LBB3276_78:
	s_or_b64 exec, exec, s[28:29]
	v_xad_u32 v4, v53, -1, s2
	v_add_u32_e32 v10, 64, v4
	v_lshl_add_u64 v[6:7], v[10:11], 3, s[24:25]
	global_load_dwordx2 v[8:9], v[6:7], off sc1
	s_waitcnt vmcnt(0)
	v_cmp_eq_u16_sdwa s[30:31], v9, v11 src0_sel:BYTE_0 src1_sel:DWORD
	s_and_saveexec_b64 s[28:29], s[30:31]
	s_cbranch_execz .LBB3276_84
; %bb.79:
	s_mov_b32 s3, 1
	s_mov_b64 s[30:31], 0
	v_mov_b32_e32 v3, 0
.LBB3276_80:                            ; =>This Loop Header: Depth=1
                                        ;     Child Loop BB3276_81 Depth 2
	s_max_u32 s33, s3, 1
.LBB3276_81:                            ;   Parent Loop BB3276_80 Depth=1
                                        ; =>  This Inner Loop Header: Depth=2
	s_add_i32 s33, s33, -1
	s_cmp_eq_u32 s33, 0
	s_sleep 1
	s_cbranch_scc0 .LBB3276_81
; %bb.82:                               ;   in Loop: Header=BB3276_80 Depth=1
	global_load_dwordx2 v[8:9], v[6:7], off sc1
	s_cmp_lt_u32 s3, 32
	s_cselect_b64 s[34:35], -1, 0
	s_cmp_lg_u64 s[34:35], 0
	s_addc_u32 s3, s3, 0
	s_waitcnt vmcnt(0)
	v_cmp_ne_u16_sdwa s[34:35], v9, v3 src0_sel:BYTE_0 src1_sel:DWORD
	s_or_b64 s[30:31], s[34:35], s[30:31]
	s_andn2_b64 exec, exec, s[30:31]
	s_cbranch_execnz .LBB3276_80
; %bb.83:
	s_or_b64 exec, exec, s[30:31]
.LBB3276_84:
	s_or_b64 exec, exec, s[28:29]
	v_and_b32_e32 v15, 63, v53
	v_mov_b32_e32 v14, 2
	v_cmp_ne_u32_e32 vcc, 63, v15
	v_cmp_eq_u16_sdwa s[28:29], v9, v14 src0_sel:BYTE_0 src1_sel:DWORD
	v_lshlrev_b64 v[6:7], v53, -1
	v_addc_co_u32_e32 v10, vcc, 0, v53, vcc
	v_and_b32_e32 v3, s29, v7
	v_lshlrev_b32_e32 v16, 2, v10
	v_or_b32_e32 v3, 0x80000000, v3
	ds_bpermute_b32 v10, v16, v8
	v_and_b32_e32 v5, s28, v6
	v_ffbl_b32_e32 v3, v3
	v_add_u32_e32 v3, 32, v3
	v_ffbl_b32_e32 v5, v5
	v_min_u32_e32 v3, v5, v3
	v_cmp_lt_u32_e32 vcc, v15, v3
	v_add_u32_e32 v36, 2, v15
	v_add_u32_e32 v56, 4, v15
	s_waitcnt lgkmcnt(0)
	v_cndmask_b32_e32 v5, 0, v10, vcc
	v_cmp_gt_u32_e32 vcc, 62, v15
	v_add_u32_e32 v5, v5, v8
	v_add_u32_e32 v58, 8, v15
	v_cndmask_b32_e64 v8, 0, 1, vcc
	v_lshlrev_b32_e32 v8, 1, v8
	v_add_lshl_u32 v17, v8, v53, 2
	ds_bpermute_b32 v8, v17, v5
	v_cmp_le_u32_e32 vcc, v36, v3
	v_add_u32_e32 v60, 16, v15
	v_add_u32_e32 v62, 32, v15
	s_waitcnt lgkmcnt(0)
	v_cndmask_b32_e32 v8, 0, v8, vcc
	v_cmp_gt_u32_e32 vcc, 60, v15
	v_add_u32_e32 v5, v5, v8
	s_nop 0
	v_cndmask_b32_e64 v8, 0, 1, vcc
	v_lshlrev_b32_e32 v8, 2, v8
	v_add_lshl_u32 v37, v8, v53, 2
	ds_bpermute_b32 v8, v37, v5
	v_cmp_le_u32_e32 vcc, v56, v3
	s_waitcnt lgkmcnt(0)
	s_nop 0
	v_cndmask_b32_e32 v8, 0, v8, vcc
	v_cmp_gt_u32_e32 vcc, 56, v15
	v_add_u32_e32 v5, v5, v8
	s_nop 0
	v_cndmask_b32_e64 v8, 0, 1, vcc
	v_lshlrev_b32_e32 v8, 3, v8
	v_add_lshl_u32 v57, v8, v53, 2
	ds_bpermute_b32 v8, v57, v5
	v_cmp_le_u32_e32 vcc, v58, v3
	s_waitcnt lgkmcnt(0)
	s_nop 0
	;; [unrolled: 11-line block ×4, first 2 shown]
	v_cndmask_b32_e32 v3, 0, v8, vcc
	v_add_u32_e32 v8, v5, v3
	v_mov_b32_e32 v5, 0
	s_branch .LBB3276_86
.LBB3276_85:                            ;   in Loop: Header=BB3276_86 Depth=1
	s_or_b64 exec, exec, s[28:29]
	v_cmp_eq_u16_sdwa s[28:29], v9, v14 src0_sel:BYTE_0 src1_sel:DWORD
	ds_bpermute_b32 v63, v16, v8
	v_subrev_u32_e32 v4, 64, v4
	v_and_b32_e32 v10, s29, v7
	v_or_b32_e32 v10, 0x80000000, v10
	v_and_b32_e32 v11, s28, v6
	v_ffbl_b32_e32 v10, v10
	v_add_u32_e32 v10, 32, v10
	v_ffbl_b32_e32 v11, v11
	v_min_u32_e32 v10, v11, v10
	v_cmp_lt_u32_e32 vcc, v15, v10
	s_waitcnt lgkmcnt(0)
	s_nop 0
	v_cndmask_b32_e32 v11, 0, v63, vcc
	v_add_u32_e32 v8, v11, v8
	ds_bpermute_b32 v11, v17, v8
	v_cmp_le_u32_e32 vcc, v36, v10
	s_waitcnt lgkmcnt(0)
	s_nop 0
	v_cndmask_b32_e32 v11, 0, v11, vcc
	v_add_u32_e32 v8, v8, v11
	ds_bpermute_b32 v11, v37, v8
	v_cmp_le_u32_e32 vcc, v56, v10
	;; [unrolled: 6-line block ×5, first 2 shown]
	s_waitcnt lgkmcnt(0)
	s_nop 0
	v_cndmask_b32_e32 v10, 0, v11, vcc
	v_add3_u32 v8, v10, v3, v8
.LBB3276_86:                            ; =>This Loop Header: Depth=1
                                        ;     Child Loop BB3276_89 Depth 2
                                        ;       Child Loop BB3276_90 Depth 3
	v_cmp_ne_u16_sdwa s[28:29], v9, v14 src0_sel:BYTE_0 src1_sel:DWORD
	s_nop 1
	v_cndmask_b32_e64 v3, 0, 1, s[28:29]
	;;#ASMSTART
	;;#ASMEND
	s_nop 0
	v_cmp_ne_u32_e32 vcc, 0, v3
	s_cmp_lg_u64 vcc, exec
	v_mov_b32_e32 v3, v8
	s_cbranch_scc1 .LBB3276_93
; %bb.87:                               ;   in Loop: Header=BB3276_86 Depth=1
	v_lshl_add_u64 v[10:11], v[4:5], 3, s[24:25]
	global_load_dwordx2 v[8:9], v[10:11], off sc1
	s_waitcnt vmcnt(0)
	v_cmp_eq_u16_sdwa s[30:31], v9, v5 src0_sel:BYTE_0 src1_sel:DWORD
	s_and_saveexec_b64 s[28:29], s[30:31]
	s_cbranch_execz .LBB3276_85
; %bb.88:                               ;   in Loop: Header=BB3276_86 Depth=1
	s_mov_b32 s3, 1
	s_mov_b64 s[30:31], 0
.LBB3276_89:                            ;   Parent Loop BB3276_86 Depth=1
                                        ; =>  This Loop Header: Depth=2
                                        ;       Child Loop BB3276_90 Depth 3
	s_max_u32 s33, s3, 1
.LBB3276_90:                            ;   Parent Loop BB3276_86 Depth=1
                                        ;     Parent Loop BB3276_89 Depth=2
                                        ; =>    This Inner Loop Header: Depth=3
	s_add_i32 s33, s33, -1
	s_cmp_eq_u32 s33, 0
	s_sleep 1
	s_cbranch_scc0 .LBB3276_90
; %bb.91:                               ;   in Loop: Header=BB3276_89 Depth=2
	global_load_dwordx2 v[8:9], v[10:11], off sc1
	s_cmp_lt_u32 s3, 32
	s_cselect_b64 s[34:35], -1, 0
	s_cmp_lg_u64 s[34:35], 0
	s_addc_u32 s3, s3, 0
	s_waitcnt vmcnt(0)
	v_cmp_ne_u16_sdwa s[34:35], v9, v5 src0_sel:BYTE_0 src1_sel:DWORD
	s_or_b64 s[30:31], s[34:35], s[30:31]
	s_andn2_b64 exec, exec, s[30:31]
	s_cbranch_execnz .LBB3276_89
; %bb.92:                               ;   in Loop: Header=BB3276_86 Depth=1
	s_or_b64 exec, exec, s[30:31]
	s_branch .LBB3276_85
.LBB3276_93:                            ;   in Loop: Header=BB3276_86 Depth=1
                                        ; implicit-def: $vgpr8
                                        ; implicit-def: $vgpr9
	s_cbranch_execz .LBB3276_86
; %bb.94:
	s_and_saveexec_b64 s[28:29], s[14:15]
	s_cbranch_execz .LBB3276_96
; %bb.95:
	s_add_i32 s2, s2, 64
	s_mov_b32 s3, 0
	s_lshl_b64 s[2:3], s[2:3], 3
	s_add_u32 s2, s24, s2
	v_add_u32_e32 v4, v3, v2
	v_mov_b32_e32 v5, 2
	s_addc_u32 s3, s25, s3
	v_mov_b32_e32 v6, 0
	global_store_dwordx2 v6, v[4:5], s[2:3] sc1
	ds_write_b64 v6, v[2:3] offset:30720
.LBB3276_96:
	s_or_b64 exec, exec, s[28:29]
	v_cmp_eq_u32_e32 vcc, 0, v0
	s_and_b64 exec, exec, vcc
	s_cbranch_execz .LBB3276_98
; %bb.97:
	v_mov_b32_e32 v2, 0
	ds_write_b32 v2, v3 offset:28
.LBB3276_98:
	s_or_b64 exec, exec, s[26:27]
	v_mov_b32_e32 v14, 0
	s_waitcnt lgkmcnt(0)
	s_barrier
	ds_read_b32 v2, v14 offset:28
	v_cndmask_b32_e64 v3, v13, v12, s[14:15]
	v_cmp_ne_u32_e32 vcc, 0, v0
	s_waitcnt lgkmcnt(0)
	s_barrier
	v_cndmask_b32_e32 v3, 0, v3, vcc
	v_add_u32_e32 v2, v2, v3
	v_add_u32_e32 v3, v2, v50
	v_add_u32_e32 v4, v3, v51
	v_add_u32_e32 v5, v4, v52
	v_add_u32_e32 v6, v5, v43
	v_add_u32_e32 v7, v6, v47
	v_add_u32_e32 v8, v7, v48
	v_add_u32_e32 v9, v8, v49
	v_add_u32_e32 v10, v9, v42
	v_add_u32_e32 v11, v10, v44
	v_add_u32_e32 v12, v11, v45
	ds_read_b64 v[36:37], v14 offset:30720
	v_add_u32_e32 v13, v12, v46
	v_add_u32_e32 v14, v13, v40
	;; [unrolled: 1-line block ×4, first 2 shown]
	s_branch .LBB3276_109
.LBB3276_99:
                                        ; implicit-def: $vgpr37
                                        ; implicit-def: $vgpr2_vgpr3_vgpr4_vgpr5_vgpr6_vgpr7_vgpr8_vgpr9_vgpr10_vgpr11_vgpr12_vgpr13_vgpr14_vgpr15_vgpr16_vgpr17
	s_cbranch_execz .LBB3276_109
; %bb.100:
	s_nop 0
	v_mov_b32_dpp v2, v55 row_shr:1 row_mask:0xf bank_mask:0xf
	v_cndmask_b32_e64 v2, v2, 0, s[12:13]
	v_add_u32_e32 v2, v2, v55
	s_nop 1
	v_mov_b32_dpp v3, v2 row_shr:2 row_mask:0xf bank_mask:0xf
	v_cndmask_b32_e64 v3, 0, v3, s[10:11]
	v_add_u32_e32 v2, v2, v3
	;; [unrolled: 4-line block ×4, first 2 shown]
	s_nop 1
	v_mov_b32_dpp v3, v2 row_bcast:15 row_mask:0xf bank_mask:0xf
	v_cndmask_b32_e64 v3, v3, 0, s[4:5]
	v_add_u32_e32 v2, v2, v3
	s_nop 1
	v_mov_b32_dpp v3, v2 row_bcast:31 row_mask:0xf bank_mask:0xf
	v_cndmask_b32_e64 v3, 0, v3, s[0:1]
	v_add_u32_e32 v2, v2, v3
	s_and_saveexec_b64 s[0:1], s[16:17]
	s_cbranch_execz .LBB3276_102
; %bb.101:
	v_lshlrev_b32_e32 v3, 2, v54
	ds_write_b32 v3, v2
.LBB3276_102:
	s_or_b64 exec, exec, s[0:1]
	v_cmp_gt_u32_e32 vcc, 8, v0
	s_waitcnt lgkmcnt(0)
	s_barrier
	s_and_saveexec_b64 s[0:1], vcc
	s_cbranch_execz .LBB3276_104
; %bb.103:
	v_mad_i32_i24 v3, v0, -11, v21
	ds_read_b32 v4, v3
	v_and_b32_e32 v5, 7, v53
	v_cmp_ne_u32_e32 vcc, 0, v5
	s_waitcnt lgkmcnt(0)
	v_mov_b32_dpp v6, v4 row_shr:1 row_mask:0xf bank_mask:0xf
	v_cndmask_b32_e32 v6, 0, v6, vcc
	v_add_u32_e32 v4, v6, v4
	v_cmp_lt_u32_e32 vcc, 1, v5
	s_nop 0
	v_mov_b32_dpp v6, v4 row_shr:2 row_mask:0xf bank_mask:0xf
	v_cndmask_b32_e32 v6, 0, v6, vcc
	v_add_u32_e32 v4, v4, v6
	v_cmp_lt_u32_e32 vcc, 3, v5
	s_nop 0
	v_mov_b32_dpp v6, v4 row_shr:4 row_mask:0xf bank_mask:0xf
	v_cndmask_b32_e32 v5, 0, v6, vcc
	v_add_u32_e32 v4, v4, v5
	ds_write_b32 v3, v4
.LBB3276_104:
	s_or_b64 exec, exec, s[0:1]
	v_cmp_lt_u32_e32 vcc, 63, v0
	v_mov_b32_e32 v4, 0
	v_mov_b32_e32 v3, 0
	s_waitcnt lgkmcnt(0)
	s_barrier
	s_and_saveexec_b64 s[0:1], vcc
	s_cbranch_execz .LBB3276_106
; %bb.105:
	v_lshl_add_u32 v3, v54, 2, -4
	ds_read_b32 v3, v3
.LBB3276_106:
	s_or_b64 exec, exec, s[0:1]
	v_add_u32_e32 v5, -1, v53
	v_and_b32_e32 v6, 64, v53
	v_cmp_lt_i32_e32 vcc, v5, v6
	s_waitcnt lgkmcnt(0)
	v_add_u32_e32 v2, v3, v2
	ds_read_b32 v36, v4 offset:28
	v_cndmask_b32_e32 v5, v5, v53, vcc
	v_lshlrev_b32_e32 v5, 2, v5
	ds_bpermute_b32 v2, v5, v2
	v_cmp_eq_u32_e32 vcc, 0, v0
	s_and_saveexec_b64 s[0:1], vcc
	s_cbranch_execz .LBB3276_108
; %bb.107:
	v_mov_b32_e32 v4, 0
	v_mov_b32_e32 v37, 2
	s_waitcnt lgkmcnt(1)
	global_store_dwordx2 v4, v[36:37], s[24:25] offset:512 sc1
.LBB3276_108:
	s_or_b64 exec, exec, s[0:1]
	v_cmp_eq_u32_e64 s[0:1], 0, v53
	v_mov_b32_e32 v37, 0
	s_waitcnt lgkmcnt(0)
	v_cndmask_b32_e64 v2, v2, v3, s[0:1]
	v_cndmask_b32_e64 v2, v2, 0, vcc
	v_add_u32_e32 v3, v2, v50
	v_add_u32_e32 v4, v3, v51
	;; [unrolled: 1-line block ×14, first 2 shown]
	s_barrier
.LBB3276_109:
	s_waitcnt lgkmcnt(0)
	v_add_u32_e32 v21, v36, v21
	v_sub_u32_e32 v2, v2, v37
	v_and_b32_e32 v47, 1, v18
	v_sub_u32_e32 v46, v21, v2
	v_cmp_eq_u32_e32 vcc, 1, v47
	v_lshrrev_b32_e32 v45, 8, v18
	v_lshrrev_b32_e32 v44, 8, v19
	v_cndmask_b32_e32 v2, v46, v2, vcc
	v_lshlrev_b32_e32 v2, 2, v2
	ds_write_b32 v2, v34
	v_sub_u32_e32 v2, v3, v37
	v_sub_u32_e32 v3, v21, v2
	v_and_b32_e32 v34, 1, v45
	v_add_u32_e32 v3, 1, v3
	v_cmp_eq_u32_e32 vcc, 1, v34
	v_lshrrev_b32_e32 v17, 8, v20
	s_nop 0
	v_cndmask_b32_e32 v2, v3, v2, vcc
	v_lshlrev_b32_e32 v2, 2, v2
	ds_write_b32 v2, v35
	v_sub_u32_e32 v2, v4, v37
	v_mov_b32_e32 v4, 1
	v_sub_u32_e32 v3, v21, v2
	v_and_b32_sdwa v18, v4, v18 dst_sel:DWORD dst_unused:UNUSED_PAD src0_sel:DWORD src1_sel:WORD_1
	v_add_u32_e32 v3, 2, v3
	v_cmp_eq_u32_e32 vcc, 1, v18
	s_nop 1
	v_cndmask_b32_e32 v2, v3, v2, vcc
	v_lshlrev_b32_e32 v2, 2, v2
	ds_write_b32 v2, v32
	v_sub_u32_e32 v2, v5, v37
	v_sub_u32_e32 v3, v21, v2
	v_and_b32_e32 v5, 1, v43
	v_add_u32_e32 v3, 3, v3
	v_cmp_eq_u32_e32 vcc, 1, v5
	v_and_b32_e32 v5, 1, v19
	s_nop 0
	v_cndmask_b32_e32 v2, v3, v2, vcc
	v_lshlrev_b32_e32 v2, 2, v2
	ds_write_b32 v2, v33
	v_sub_u32_e32 v2, v6, v37
	v_sub_u32_e32 v3, v21, v2
	v_add_u32_e32 v3, 4, v3
	v_cmp_eq_u32_e32 vcc, 1, v5
	v_and_b32_e32 v5, 1, v44
	s_nop 0
	v_cndmask_b32_e32 v2, v3, v2, vcc
	v_lshlrev_b32_e32 v2, 2, v2
	ds_write_b32 v2, v30
	v_sub_u32_e32 v2, v7, v37
	v_sub_u32_e32 v3, v21, v2
	v_add_u32_e32 v3, 5, v3
	v_cmp_eq_u32_e32 vcc, 1, v5
	v_and_b32_sdwa v5, v4, v19 dst_sel:DWORD dst_unused:UNUSED_PAD src0_sel:DWORD src1_sel:WORD_1
	v_and_b32_sdwa v4, v4, v20 dst_sel:DWORD dst_unused:UNUSED_PAD src0_sel:DWORD src1_sel:WORD_1
	v_cndmask_b32_e32 v2, v3, v2, vcc
	v_lshlrev_b32_e32 v2, 2, v2
	ds_write_b32 v2, v31
	v_sub_u32_e32 v2, v8, v37
	v_sub_u32_e32 v3, v21, v2
	v_add_u32_e32 v3, 6, v3
	v_cmp_eq_u32_e32 vcc, 1, v5
	v_and_b32_e32 v5, 1, v42
	s_nop 0
	v_cndmask_b32_e32 v2, v3, v2, vcc
	v_lshlrev_b32_e32 v2, 2, v2
	ds_write_b32 v2, v28
	v_sub_u32_e32 v2, v9, v37
	v_sub_u32_e32 v3, v21, v2
	v_add_u32_e32 v3, 7, v3
	v_cmp_eq_u32_e32 vcc, 1, v5
	v_and_b32_e32 v5, 1, v20
	s_nop 0
	;; [unrolled: 9-line block ×3, first 2 shown]
	v_cndmask_b32_e32 v2, v3, v2, vcc
	v_lshlrev_b32_e32 v2, 2, v2
	ds_write_b32 v2, v26
	v_sub_u32_e32 v2, v11, v37
	v_sub_u32_e32 v3, v21, v2
	v_add_u32_e32 v3, 9, v3
	v_cmp_eq_u32_e32 vcc, 1, v5
	s_nop 1
	v_cndmask_b32_e32 v2, v3, v2, vcc
	v_lshlrev_b32_e32 v2, 2, v2
	ds_write_b32 v2, v27
	v_sub_u32_e32 v2, v12, v37
	v_sub_u32_e32 v3, v21, v2
	v_add_u32_e32 v3, 10, v3
	v_cmp_eq_u32_e32 vcc, 1, v4
	v_and_b32_e32 v4, 1, v40
	s_nop 0
	v_cndmask_b32_e32 v2, v3, v2, vcc
	v_lshlrev_b32_e32 v2, 2, v2
	ds_write_b32 v2, v24
	v_sub_u32_e32 v2, v13, v37
	v_sub_u32_e32 v3, v21, v2
	v_add_u32_e32 v3, 11, v3
	v_cmp_eq_u32_e32 vcc, 1, v4
	s_nop 1
	v_cndmask_b32_e32 v2, v3, v2, vcc
	v_lshlrev_b32_e32 v2, 2, v2
	ds_write_b32 v2, v25
	v_sub_u32_e32 v2, v14, v37
	v_sub_u32_e32 v3, v21, v2
	v_add_u32_e32 v3, 12, v3
	v_cmp_eq_u32_e32 vcc, 1, v41
	;; [unrolled: 8-line block ×4, first 2 shown]
	s_nop 1
	v_cndmask_b32_e32 v2, v3, v2, vcc
	v_cmp_eq_u32_e32 vcc, 0, v0
	v_lshlrev_b32_e32 v2, 2, v2
	s_and_b64 s[0:1], vcc, s[22:23]
	ds_write_b32 v2, v1
	s_waitcnt lgkmcnt(0)
	s_barrier
	s_and_saveexec_b64 s[2:3], s[0:1]
	s_cbranch_execz .LBB3276_111
; %bb.110:
	v_mov_b32_e32 v1, 0
	v_mov_b32_e32 v0, v36
	v_lshl_add_u64 v[2:3], s[18:19], 0, v[0:1]
	v_mov_b32_e32 v0, v37
	v_lshl_add_u64 v[2:3], v[2:3], 0, v[0:1]
	global_store_dwordx2 v1, v[2:3], s[20:21]
.LBB3276_111:
	s_endpgm
	.section	.rodata,"a",@progbits
	.p2align	6, 0x0
	.amdhsa_kernel _ZN7rocprim17ROCPRIM_400000_NS6detail17trampoline_kernelINS0_14default_configENS1_25partition_config_selectorILNS1_17partition_subalgoE1EiNS0_10empty_typeEbEEZZNS1_14partition_implILS5_1ELb0ES3_jN6thrust23THRUST_200600_302600_NS6detail15normal_iteratorINSA_10device_ptrIiEEEEPS6_NSA_18transform_iteratorI7is_evenIiESF_NSA_11use_defaultESK_EENS0_5tupleIJNSA_16discard_iteratorISK_EESO_EEENSM_IJSG_SG_EEES6_PlJS6_EEE10hipError_tPvRmT3_T4_T5_T6_T7_T9_mT8_P12ihipStream_tbDpT10_ENKUlT_T0_E_clISt17integral_constantIbLb1EES1A_IbLb0EEEEDaS16_S17_EUlS16_E_NS1_11comp_targetILNS1_3genE5ELNS1_11target_archE942ELNS1_3gpuE9ELNS1_3repE0EEENS1_30default_config_static_selectorELNS0_4arch9wavefront6targetE1EEEvT1_
		.amdhsa_group_segment_fixed_size 30728
		.amdhsa_private_segment_fixed_size 0
		.amdhsa_kernarg_size 144
		.amdhsa_user_sgpr_count 2
		.amdhsa_user_sgpr_dispatch_ptr 0
		.amdhsa_user_sgpr_queue_ptr 0
		.amdhsa_user_sgpr_kernarg_segment_ptr 1
		.amdhsa_user_sgpr_dispatch_id 0
		.amdhsa_user_sgpr_kernarg_preload_length 0
		.amdhsa_user_sgpr_kernarg_preload_offset 0
		.amdhsa_user_sgpr_private_segment_size 0
		.amdhsa_uses_dynamic_stack 0
		.amdhsa_enable_private_segment 0
		.amdhsa_system_sgpr_workgroup_id_x 1
		.amdhsa_system_sgpr_workgroup_id_y 0
		.amdhsa_system_sgpr_workgroup_id_z 0
		.amdhsa_system_sgpr_workgroup_info 0
		.amdhsa_system_vgpr_workitem_id 0
		.amdhsa_next_free_vgpr 64
		.amdhsa_next_free_sgpr 36
		.amdhsa_accum_offset 64
		.amdhsa_reserve_vcc 1
		.amdhsa_float_round_mode_32 0
		.amdhsa_float_round_mode_16_64 0
		.amdhsa_float_denorm_mode_32 3
		.amdhsa_float_denorm_mode_16_64 3
		.amdhsa_dx10_clamp 1
		.amdhsa_ieee_mode 1
		.amdhsa_fp16_overflow 0
		.amdhsa_tg_split 0
		.amdhsa_exception_fp_ieee_invalid_op 0
		.amdhsa_exception_fp_denorm_src 0
		.amdhsa_exception_fp_ieee_div_zero 0
		.amdhsa_exception_fp_ieee_overflow 0
		.amdhsa_exception_fp_ieee_underflow 0
		.amdhsa_exception_fp_ieee_inexact 0
		.amdhsa_exception_int_div_zero 0
	.end_amdhsa_kernel
	.section	.text._ZN7rocprim17ROCPRIM_400000_NS6detail17trampoline_kernelINS0_14default_configENS1_25partition_config_selectorILNS1_17partition_subalgoE1EiNS0_10empty_typeEbEEZZNS1_14partition_implILS5_1ELb0ES3_jN6thrust23THRUST_200600_302600_NS6detail15normal_iteratorINSA_10device_ptrIiEEEEPS6_NSA_18transform_iteratorI7is_evenIiESF_NSA_11use_defaultESK_EENS0_5tupleIJNSA_16discard_iteratorISK_EESO_EEENSM_IJSG_SG_EEES6_PlJS6_EEE10hipError_tPvRmT3_T4_T5_T6_T7_T9_mT8_P12ihipStream_tbDpT10_ENKUlT_T0_E_clISt17integral_constantIbLb1EES1A_IbLb0EEEEDaS16_S17_EUlS16_E_NS1_11comp_targetILNS1_3genE5ELNS1_11target_archE942ELNS1_3gpuE9ELNS1_3repE0EEENS1_30default_config_static_selectorELNS0_4arch9wavefront6targetE1EEEvT1_,"axG",@progbits,_ZN7rocprim17ROCPRIM_400000_NS6detail17trampoline_kernelINS0_14default_configENS1_25partition_config_selectorILNS1_17partition_subalgoE1EiNS0_10empty_typeEbEEZZNS1_14partition_implILS5_1ELb0ES3_jN6thrust23THRUST_200600_302600_NS6detail15normal_iteratorINSA_10device_ptrIiEEEEPS6_NSA_18transform_iteratorI7is_evenIiESF_NSA_11use_defaultESK_EENS0_5tupleIJNSA_16discard_iteratorISK_EESO_EEENSM_IJSG_SG_EEES6_PlJS6_EEE10hipError_tPvRmT3_T4_T5_T6_T7_T9_mT8_P12ihipStream_tbDpT10_ENKUlT_T0_E_clISt17integral_constantIbLb1EES1A_IbLb0EEEEDaS16_S17_EUlS16_E_NS1_11comp_targetILNS1_3genE5ELNS1_11target_archE942ELNS1_3gpuE9ELNS1_3repE0EEENS1_30default_config_static_selectorELNS0_4arch9wavefront6targetE1EEEvT1_,comdat
.Lfunc_end3276:
	.size	_ZN7rocprim17ROCPRIM_400000_NS6detail17trampoline_kernelINS0_14default_configENS1_25partition_config_selectorILNS1_17partition_subalgoE1EiNS0_10empty_typeEbEEZZNS1_14partition_implILS5_1ELb0ES3_jN6thrust23THRUST_200600_302600_NS6detail15normal_iteratorINSA_10device_ptrIiEEEEPS6_NSA_18transform_iteratorI7is_evenIiESF_NSA_11use_defaultESK_EENS0_5tupleIJNSA_16discard_iteratorISK_EESO_EEENSM_IJSG_SG_EEES6_PlJS6_EEE10hipError_tPvRmT3_T4_T5_T6_T7_T9_mT8_P12ihipStream_tbDpT10_ENKUlT_T0_E_clISt17integral_constantIbLb1EES1A_IbLb0EEEEDaS16_S17_EUlS16_E_NS1_11comp_targetILNS1_3genE5ELNS1_11target_archE942ELNS1_3gpuE9ELNS1_3repE0EEENS1_30default_config_static_selectorELNS0_4arch9wavefront6targetE1EEEvT1_, .Lfunc_end3276-_ZN7rocprim17ROCPRIM_400000_NS6detail17trampoline_kernelINS0_14default_configENS1_25partition_config_selectorILNS1_17partition_subalgoE1EiNS0_10empty_typeEbEEZZNS1_14partition_implILS5_1ELb0ES3_jN6thrust23THRUST_200600_302600_NS6detail15normal_iteratorINSA_10device_ptrIiEEEEPS6_NSA_18transform_iteratorI7is_evenIiESF_NSA_11use_defaultESK_EENS0_5tupleIJNSA_16discard_iteratorISK_EESO_EEENSM_IJSG_SG_EEES6_PlJS6_EEE10hipError_tPvRmT3_T4_T5_T6_T7_T9_mT8_P12ihipStream_tbDpT10_ENKUlT_T0_E_clISt17integral_constantIbLb1EES1A_IbLb0EEEEDaS16_S17_EUlS16_E_NS1_11comp_targetILNS1_3genE5ELNS1_11target_archE942ELNS1_3gpuE9ELNS1_3repE0EEENS1_30default_config_static_selectorELNS0_4arch9wavefront6targetE1EEEvT1_
                                        ; -- End function
	.section	.AMDGPU.csdata,"",@progbits
; Kernel info:
; codeLenInByte = 5908
; NumSgprs: 42
; NumVgprs: 64
; NumAgprs: 0
; TotalNumVgprs: 64
; ScratchSize: 0
; MemoryBound: 0
; FloatMode: 240
; IeeeMode: 1
; LDSByteSize: 30728 bytes/workgroup (compile time only)
; SGPRBlocks: 5
; VGPRBlocks: 7
; NumSGPRsForWavesPerEU: 42
; NumVGPRsForWavesPerEU: 64
; AccumOffset: 64
; Occupancy: 4
; WaveLimiterHint : 1
; COMPUTE_PGM_RSRC2:SCRATCH_EN: 0
; COMPUTE_PGM_RSRC2:USER_SGPR: 2
; COMPUTE_PGM_RSRC2:TRAP_HANDLER: 0
; COMPUTE_PGM_RSRC2:TGID_X_EN: 1
; COMPUTE_PGM_RSRC2:TGID_Y_EN: 0
; COMPUTE_PGM_RSRC2:TGID_Z_EN: 0
; COMPUTE_PGM_RSRC2:TIDIG_COMP_CNT: 0
; COMPUTE_PGM_RSRC3_GFX90A:ACCUM_OFFSET: 15
; COMPUTE_PGM_RSRC3_GFX90A:TG_SPLIT: 0
	.section	.text._ZN7rocprim17ROCPRIM_400000_NS6detail17trampoline_kernelINS0_14default_configENS1_25partition_config_selectorILNS1_17partition_subalgoE1EiNS0_10empty_typeEbEEZZNS1_14partition_implILS5_1ELb0ES3_jN6thrust23THRUST_200600_302600_NS6detail15normal_iteratorINSA_10device_ptrIiEEEEPS6_NSA_18transform_iteratorI7is_evenIiESF_NSA_11use_defaultESK_EENS0_5tupleIJNSA_16discard_iteratorISK_EESO_EEENSM_IJSG_SG_EEES6_PlJS6_EEE10hipError_tPvRmT3_T4_T5_T6_T7_T9_mT8_P12ihipStream_tbDpT10_ENKUlT_T0_E_clISt17integral_constantIbLb1EES1A_IbLb0EEEEDaS16_S17_EUlS16_E_NS1_11comp_targetILNS1_3genE4ELNS1_11target_archE910ELNS1_3gpuE8ELNS1_3repE0EEENS1_30default_config_static_selectorELNS0_4arch9wavefront6targetE1EEEvT1_,"axG",@progbits,_ZN7rocprim17ROCPRIM_400000_NS6detail17trampoline_kernelINS0_14default_configENS1_25partition_config_selectorILNS1_17partition_subalgoE1EiNS0_10empty_typeEbEEZZNS1_14partition_implILS5_1ELb0ES3_jN6thrust23THRUST_200600_302600_NS6detail15normal_iteratorINSA_10device_ptrIiEEEEPS6_NSA_18transform_iteratorI7is_evenIiESF_NSA_11use_defaultESK_EENS0_5tupleIJNSA_16discard_iteratorISK_EESO_EEENSM_IJSG_SG_EEES6_PlJS6_EEE10hipError_tPvRmT3_T4_T5_T6_T7_T9_mT8_P12ihipStream_tbDpT10_ENKUlT_T0_E_clISt17integral_constantIbLb1EES1A_IbLb0EEEEDaS16_S17_EUlS16_E_NS1_11comp_targetILNS1_3genE4ELNS1_11target_archE910ELNS1_3gpuE8ELNS1_3repE0EEENS1_30default_config_static_selectorELNS0_4arch9wavefront6targetE1EEEvT1_,comdat
	.protected	_ZN7rocprim17ROCPRIM_400000_NS6detail17trampoline_kernelINS0_14default_configENS1_25partition_config_selectorILNS1_17partition_subalgoE1EiNS0_10empty_typeEbEEZZNS1_14partition_implILS5_1ELb0ES3_jN6thrust23THRUST_200600_302600_NS6detail15normal_iteratorINSA_10device_ptrIiEEEEPS6_NSA_18transform_iteratorI7is_evenIiESF_NSA_11use_defaultESK_EENS0_5tupleIJNSA_16discard_iteratorISK_EESO_EEENSM_IJSG_SG_EEES6_PlJS6_EEE10hipError_tPvRmT3_T4_T5_T6_T7_T9_mT8_P12ihipStream_tbDpT10_ENKUlT_T0_E_clISt17integral_constantIbLb1EES1A_IbLb0EEEEDaS16_S17_EUlS16_E_NS1_11comp_targetILNS1_3genE4ELNS1_11target_archE910ELNS1_3gpuE8ELNS1_3repE0EEENS1_30default_config_static_selectorELNS0_4arch9wavefront6targetE1EEEvT1_ ; -- Begin function _ZN7rocprim17ROCPRIM_400000_NS6detail17trampoline_kernelINS0_14default_configENS1_25partition_config_selectorILNS1_17partition_subalgoE1EiNS0_10empty_typeEbEEZZNS1_14partition_implILS5_1ELb0ES3_jN6thrust23THRUST_200600_302600_NS6detail15normal_iteratorINSA_10device_ptrIiEEEEPS6_NSA_18transform_iteratorI7is_evenIiESF_NSA_11use_defaultESK_EENS0_5tupleIJNSA_16discard_iteratorISK_EESO_EEENSM_IJSG_SG_EEES6_PlJS6_EEE10hipError_tPvRmT3_T4_T5_T6_T7_T9_mT8_P12ihipStream_tbDpT10_ENKUlT_T0_E_clISt17integral_constantIbLb1EES1A_IbLb0EEEEDaS16_S17_EUlS16_E_NS1_11comp_targetILNS1_3genE4ELNS1_11target_archE910ELNS1_3gpuE8ELNS1_3repE0EEENS1_30default_config_static_selectorELNS0_4arch9wavefront6targetE1EEEvT1_
	.globl	_ZN7rocprim17ROCPRIM_400000_NS6detail17trampoline_kernelINS0_14default_configENS1_25partition_config_selectorILNS1_17partition_subalgoE1EiNS0_10empty_typeEbEEZZNS1_14partition_implILS5_1ELb0ES3_jN6thrust23THRUST_200600_302600_NS6detail15normal_iteratorINSA_10device_ptrIiEEEEPS6_NSA_18transform_iteratorI7is_evenIiESF_NSA_11use_defaultESK_EENS0_5tupleIJNSA_16discard_iteratorISK_EESO_EEENSM_IJSG_SG_EEES6_PlJS6_EEE10hipError_tPvRmT3_T4_T5_T6_T7_T9_mT8_P12ihipStream_tbDpT10_ENKUlT_T0_E_clISt17integral_constantIbLb1EES1A_IbLb0EEEEDaS16_S17_EUlS16_E_NS1_11comp_targetILNS1_3genE4ELNS1_11target_archE910ELNS1_3gpuE8ELNS1_3repE0EEENS1_30default_config_static_selectorELNS0_4arch9wavefront6targetE1EEEvT1_
	.p2align	8
	.type	_ZN7rocprim17ROCPRIM_400000_NS6detail17trampoline_kernelINS0_14default_configENS1_25partition_config_selectorILNS1_17partition_subalgoE1EiNS0_10empty_typeEbEEZZNS1_14partition_implILS5_1ELb0ES3_jN6thrust23THRUST_200600_302600_NS6detail15normal_iteratorINSA_10device_ptrIiEEEEPS6_NSA_18transform_iteratorI7is_evenIiESF_NSA_11use_defaultESK_EENS0_5tupleIJNSA_16discard_iteratorISK_EESO_EEENSM_IJSG_SG_EEES6_PlJS6_EEE10hipError_tPvRmT3_T4_T5_T6_T7_T9_mT8_P12ihipStream_tbDpT10_ENKUlT_T0_E_clISt17integral_constantIbLb1EES1A_IbLb0EEEEDaS16_S17_EUlS16_E_NS1_11comp_targetILNS1_3genE4ELNS1_11target_archE910ELNS1_3gpuE8ELNS1_3repE0EEENS1_30default_config_static_selectorELNS0_4arch9wavefront6targetE1EEEvT1_,@function
_ZN7rocprim17ROCPRIM_400000_NS6detail17trampoline_kernelINS0_14default_configENS1_25partition_config_selectorILNS1_17partition_subalgoE1EiNS0_10empty_typeEbEEZZNS1_14partition_implILS5_1ELb0ES3_jN6thrust23THRUST_200600_302600_NS6detail15normal_iteratorINSA_10device_ptrIiEEEEPS6_NSA_18transform_iteratorI7is_evenIiESF_NSA_11use_defaultESK_EENS0_5tupleIJNSA_16discard_iteratorISK_EESO_EEENSM_IJSG_SG_EEES6_PlJS6_EEE10hipError_tPvRmT3_T4_T5_T6_T7_T9_mT8_P12ihipStream_tbDpT10_ENKUlT_T0_E_clISt17integral_constantIbLb1EES1A_IbLb0EEEEDaS16_S17_EUlS16_E_NS1_11comp_targetILNS1_3genE4ELNS1_11target_archE910ELNS1_3gpuE8ELNS1_3repE0EEENS1_30default_config_static_selectorELNS0_4arch9wavefront6targetE1EEEvT1_: ; @_ZN7rocprim17ROCPRIM_400000_NS6detail17trampoline_kernelINS0_14default_configENS1_25partition_config_selectorILNS1_17partition_subalgoE1EiNS0_10empty_typeEbEEZZNS1_14partition_implILS5_1ELb0ES3_jN6thrust23THRUST_200600_302600_NS6detail15normal_iteratorINSA_10device_ptrIiEEEEPS6_NSA_18transform_iteratorI7is_evenIiESF_NSA_11use_defaultESK_EENS0_5tupleIJNSA_16discard_iteratorISK_EESO_EEENSM_IJSG_SG_EEES6_PlJS6_EEE10hipError_tPvRmT3_T4_T5_T6_T7_T9_mT8_P12ihipStream_tbDpT10_ENKUlT_T0_E_clISt17integral_constantIbLb1EES1A_IbLb0EEEEDaS16_S17_EUlS16_E_NS1_11comp_targetILNS1_3genE4ELNS1_11target_archE910ELNS1_3gpuE8ELNS1_3repE0EEENS1_30default_config_static_selectorELNS0_4arch9wavefront6targetE1EEEvT1_
; %bb.0:
	.section	.rodata,"a",@progbits
	.p2align	6, 0x0
	.amdhsa_kernel _ZN7rocprim17ROCPRIM_400000_NS6detail17trampoline_kernelINS0_14default_configENS1_25partition_config_selectorILNS1_17partition_subalgoE1EiNS0_10empty_typeEbEEZZNS1_14partition_implILS5_1ELb0ES3_jN6thrust23THRUST_200600_302600_NS6detail15normal_iteratorINSA_10device_ptrIiEEEEPS6_NSA_18transform_iteratorI7is_evenIiESF_NSA_11use_defaultESK_EENS0_5tupleIJNSA_16discard_iteratorISK_EESO_EEENSM_IJSG_SG_EEES6_PlJS6_EEE10hipError_tPvRmT3_T4_T5_T6_T7_T9_mT8_P12ihipStream_tbDpT10_ENKUlT_T0_E_clISt17integral_constantIbLb1EES1A_IbLb0EEEEDaS16_S17_EUlS16_E_NS1_11comp_targetILNS1_3genE4ELNS1_11target_archE910ELNS1_3gpuE8ELNS1_3repE0EEENS1_30default_config_static_selectorELNS0_4arch9wavefront6targetE1EEEvT1_
		.amdhsa_group_segment_fixed_size 0
		.amdhsa_private_segment_fixed_size 0
		.amdhsa_kernarg_size 144
		.amdhsa_user_sgpr_count 2
		.amdhsa_user_sgpr_dispatch_ptr 0
		.amdhsa_user_sgpr_queue_ptr 0
		.amdhsa_user_sgpr_kernarg_segment_ptr 1
		.amdhsa_user_sgpr_dispatch_id 0
		.amdhsa_user_sgpr_kernarg_preload_length 0
		.amdhsa_user_sgpr_kernarg_preload_offset 0
		.amdhsa_user_sgpr_private_segment_size 0
		.amdhsa_uses_dynamic_stack 0
		.amdhsa_enable_private_segment 0
		.amdhsa_system_sgpr_workgroup_id_x 1
		.amdhsa_system_sgpr_workgroup_id_y 0
		.amdhsa_system_sgpr_workgroup_id_z 0
		.amdhsa_system_sgpr_workgroup_info 0
		.amdhsa_system_vgpr_workitem_id 0
		.amdhsa_next_free_vgpr 1
		.amdhsa_next_free_sgpr 0
		.amdhsa_accum_offset 4
		.amdhsa_reserve_vcc 0
		.amdhsa_float_round_mode_32 0
		.amdhsa_float_round_mode_16_64 0
		.amdhsa_float_denorm_mode_32 3
		.amdhsa_float_denorm_mode_16_64 3
		.amdhsa_dx10_clamp 1
		.amdhsa_ieee_mode 1
		.amdhsa_fp16_overflow 0
		.amdhsa_tg_split 0
		.amdhsa_exception_fp_ieee_invalid_op 0
		.amdhsa_exception_fp_denorm_src 0
		.amdhsa_exception_fp_ieee_div_zero 0
		.amdhsa_exception_fp_ieee_overflow 0
		.amdhsa_exception_fp_ieee_underflow 0
		.amdhsa_exception_fp_ieee_inexact 0
		.amdhsa_exception_int_div_zero 0
	.end_amdhsa_kernel
	.section	.text._ZN7rocprim17ROCPRIM_400000_NS6detail17trampoline_kernelINS0_14default_configENS1_25partition_config_selectorILNS1_17partition_subalgoE1EiNS0_10empty_typeEbEEZZNS1_14partition_implILS5_1ELb0ES3_jN6thrust23THRUST_200600_302600_NS6detail15normal_iteratorINSA_10device_ptrIiEEEEPS6_NSA_18transform_iteratorI7is_evenIiESF_NSA_11use_defaultESK_EENS0_5tupleIJNSA_16discard_iteratorISK_EESO_EEENSM_IJSG_SG_EEES6_PlJS6_EEE10hipError_tPvRmT3_T4_T5_T6_T7_T9_mT8_P12ihipStream_tbDpT10_ENKUlT_T0_E_clISt17integral_constantIbLb1EES1A_IbLb0EEEEDaS16_S17_EUlS16_E_NS1_11comp_targetILNS1_3genE4ELNS1_11target_archE910ELNS1_3gpuE8ELNS1_3repE0EEENS1_30default_config_static_selectorELNS0_4arch9wavefront6targetE1EEEvT1_,"axG",@progbits,_ZN7rocprim17ROCPRIM_400000_NS6detail17trampoline_kernelINS0_14default_configENS1_25partition_config_selectorILNS1_17partition_subalgoE1EiNS0_10empty_typeEbEEZZNS1_14partition_implILS5_1ELb0ES3_jN6thrust23THRUST_200600_302600_NS6detail15normal_iteratorINSA_10device_ptrIiEEEEPS6_NSA_18transform_iteratorI7is_evenIiESF_NSA_11use_defaultESK_EENS0_5tupleIJNSA_16discard_iteratorISK_EESO_EEENSM_IJSG_SG_EEES6_PlJS6_EEE10hipError_tPvRmT3_T4_T5_T6_T7_T9_mT8_P12ihipStream_tbDpT10_ENKUlT_T0_E_clISt17integral_constantIbLb1EES1A_IbLb0EEEEDaS16_S17_EUlS16_E_NS1_11comp_targetILNS1_3genE4ELNS1_11target_archE910ELNS1_3gpuE8ELNS1_3repE0EEENS1_30default_config_static_selectorELNS0_4arch9wavefront6targetE1EEEvT1_,comdat
.Lfunc_end3277:
	.size	_ZN7rocprim17ROCPRIM_400000_NS6detail17trampoline_kernelINS0_14default_configENS1_25partition_config_selectorILNS1_17partition_subalgoE1EiNS0_10empty_typeEbEEZZNS1_14partition_implILS5_1ELb0ES3_jN6thrust23THRUST_200600_302600_NS6detail15normal_iteratorINSA_10device_ptrIiEEEEPS6_NSA_18transform_iteratorI7is_evenIiESF_NSA_11use_defaultESK_EENS0_5tupleIJNSA_16discard_iteratorISK_EESO_EEENSM_IJSG_SG_EEES6_PlJS6_EEE10hipError_tPvRmT3_T4_T5_T6_T7_T9_mT8_P12ihipStream_tbDpT10_ENKUlT_T0_E_clISt17integral_constantIbLb1EES1A_IbLb0EEEEDaS16_S17_EUlS16_E_NS1_11comp_targetILNS1_3genE4ELNS1_11target_archE910ELNS1_3gpuE8ELNS1_3repE0EEENS1_30default_config_static_selectorELNS0_4arch9wavefront6targetE1EEEvT1_, .Lfunc_end3277-_ZN7rocprim17ROCPRIM_400000_NS6detail17trampoline_kernelINS0_14default_configENS1_25partition_config_selectorILNS1_17partition_subalgoE1EiNS0_10empty_typeEbEEZZNS1_14partition_implILS5_1ELb0ES3_jN6thrust23THRUST_200600_302600_NS6detail15normal_iteratorINSA_10device_ptrIiEEEEPS6_NSA_18transform_iteratorI7is_evenIiESF_NSA_11use_defaultESK_EENS0_5tupleIJNSA_16discard_iteratorISK_EESO_EEENSM_IJSG_SG_EEES6_PlJS6_EEE10hipError_tPvRmT3_T4_T5_T6_T7_T9_mT8_P12ihipStream_tbDpT10_ENKUlT_T0_E_clISt17integral_constantIbLb1EES1A_IbLb0EEEEDaS16_S17_EUlS16_E_NS1_11comp_targetILNS1_3genE4ELNS1_11target_archE910ELNS1_3gpuE8ELNS1_3repE0EEENS1_30default_config_static_selectorELNS0_4arch9wavefront6targetE1EEEvT1_
                                        ; -- End function
	.section	.AMDGPU.csdata,"",@progbits
; Kernel info:
; codeLenInByte = 0
; NumSgprs: 6
; NumVgprs: 0
; NumAgprs: 0
; TotalNumVgprs: 0
; ScratchSize: 0
; MemoryBound: 0
; FloatMode: 240
; IeeeMode: 1
; LDSByteSize: 0 bytes/workgroup (compile time only)
; SGPRBlocks: 0
; VGPRBlocks: 0
; NumSGPRsForWavesPerEU: 6
; NumVGPRsForWavesPerEU: 1
; AccumOffset: 4
; Occupancy: 8
; WaveLimiterHint : 0
; COMPUTE_PGM_RSRC2:SCRATCH_EN: 0
; COMPUTE_PGM_RSRC2:USER_SGPR: 2
; COMPUTE_PGM_RSRC2:TRAP_HANDLER: 0
; COMPUTE_PGM_RSRC2:TGID_X_EN: 1
; COMPUTE_PGM_RSRC2:TGID_Y_EN: 0
; COMPUTE_PGM_RSRC2:TGID_Z_EN: 0
; COMPUTE_PGM_RSRC2:TIDIG_COMP_CNT: 0
; COMPUTE_PGM_RSRC3_GFX90A:ACCUM_OFFSET: 0
; COMPUTE_PGM_RSRC3_GFX90A:TG_SPLIT: 0
	.section	.text._ZN7rocprim17ROCPRIM_400000_NS6detail17trampoline_kernelINS0_14default_configENS1_25partition_config_selectorILNS1_17partition_subalgoE1EiNS0_10empty_typeEbEEZZNS1_14partition_implILS5_1ELb0ES3_jN6thrust23THRUST_200600_302600_NS6detail15normal_iteratorINSA_10device_ptrIiEEEEPS6_NSA_18transform_iteratorI7is_evenIiESF_NSA_11use_defaultESK_EENS0_5tupleIJNSA_16discard_iteratorISK_EESO_EEENSM_IJSG_SG_EEES6_PlJS6_EEE10hipError_tPvRmT3_T4_T5_T6_T7_T9_mT8_P12ihipStream_tbDpT10_ENKUlT_T0_E_clISt17integral_constantIbLb1EES1A_IbLb0EEEEDaS16_S17_EUlS16_E_NS1_11comp_targetILNS1_3genE3ELNS1_11target_archE908ELNS1_3gpuE7ELNS1_3repE0EEENS1_30default_config_static_selectorELNS0_4arch9wavefront6targetE1EEEvT1_,"axG",@progbits,_ZN7rocprim17ROCPRIM_400000_NS6detail17trampoline_kernelINS0_14default_configENS1_25partition_config_selectorILNS1_17partition_subalgoE1EiNS0_10empty_typeEbEEZZNS1_14partition_implILS5_1ELb0ES3_jN6thrust23THRUST_200600_302600_NS6detail15normal_iteratorINSA_10device_ptrIiEEEEPS6_NSA_18transform_iteratorI7is_evenIiESF_NSA_11use_defaultESK_EENS0_5tupleIJNSA_16discard_iteratorISK_EESO_EEENSM_IJSG_SG_EEES6_PlJS6_EEE10hipError_tPvRmT3_T4_T5_T6_T7_T9_mT8_P12ihipStream_tbDpT10_ENKUlT_T0_E_clISt17integral_constantIbLb1EES1A_IbLb0EEEEDaS16_S17_EUlS16_E_NS1_11comp_targetILNS1_3genE3ELNS1_11target_archE908ELNS1_3gpuE7ELNS1_3repE0EEENS1_30default_config_static_selectorELNS0_4arch9wavefront6targetE1EEEvT1_,comdat
	.protected	_ZN7rocprim17ROCPRIM_400000_NS6detail17trampoline_kernelINS0_14default_configENS1_25partition_config_selectorILNS1_17partition_subalgoE1EiNS0_10empty_typeEbEEZZNS1_14partition_implILS5_1ELb0ES3_jN6thrust23THRUST_200600_302600_NS6detail15normal_iteratorINSA_10device_ptrIiEEEEPS6_NSA_18transform_iteratorI7is_evenIiESF_NSA_11use_defaultESK_EENS0_5tupleIJNSA_16discard_iteratorISK_EESO_EEENSM_IJSG_SG_EEES6_PlJS6_EEE10hipError_tPvRmT3_T4_T5_T6_T7_T9_mT8_P12ihipStream_tbDpT10_ENKUlT_T0_E_clISt17integral_constantIbLb1EES1A_IbLb0EEEEDaS16_S17_EUlS16_E_NS1_11comp_targetILNS1_3genE3ELNS1_11target_archE908ELNS1_3gpuE7ELNS1_3repE0EEENS1_30default_config_static_selectorELNS0_4arch9wavefront6targetE1EEEvT1_ ; -- Begin function _ZN7rocprim17ROCPRIM_400000_NS6detail17trampoline_kernelINS0_14default_configENS1_25partition_config_selectorILNS1_17partition_subalgoE1EiNS0_10empty_typeEbEEZZNS1_14partition_implILS5_1ELb0ES3_jN6thrust23THRUST_200600_302600_NS6detail15normal_iteratorINSA_10device_ptrIiEEEEPS6_NSA_18transform_iteratorI7is_evenIiESF_NSA_11use_defaultESK_EENS0_5tupleIJNSA_16discard_iteratorISK_EESO_EEENSM_IJSG_SG_EEES6_PlJS6_EEE10hipError_tPvRmT3_T4_T5_T6_T7_T9_mT8_P12ihipStream_tbDpT10_ENKUlT_T0_E_clISt17integral_constantIbLb1EES1A_IbLb0EEEEDaS16_S17_EUlS16_E_NS1_11comp_targetILNS1_3genE3ELNS1_11target_archE908ELNS1_3gpuE7ELNS1_3repE0EEENS1_30default_config_static_selectorELNS0_4arch9wavefront6targetE1EEEvT1_
	.globl	_ZN7rocprim17ROCPRIM_400000_NS6detail17trampoline_kernelINS0_14default_configENS1_25partition_config_selectorILNS1_17partition_subalgoE1EiNS0_10empty_typeEbEEZZNS1_14partition_implILS5_1ELb0ES3_jN6thrust23THRUST_200600_302600_NS6detail15normal_iteratorINSA_10device_ptrIiEEEEPS6_NSA_18transform_iteratorI7is_evenIiESF_NSA_11use_defaultESK_EENS0_5tupleIJNSA_16discard_iteratorISK_EESO_EEENSM_IJSG_SG_EEES6_PlJS6_EEE10hipError_tPvRmT3_T4_T5_T6_T7_T9_mT8_P12ihipStream_tbDpT10_ENKUlT_T0_E_clISt17integral_constantIbLb1EES1A_IbLb0EEEEDaS16_S17_EUlS16_E_NS1_11comp_targetILNS1_3genE3ELNS1_11target_archE908ELNS1_3gpuE7ELNS1_3repE0EEENS1_30default_config_static_selectorELNS0_4arch9wavefront6targetE1EEEvT1_
	.p2align	8
	.type	_ZN7rocprim17ROCPRIM_400000_NS6detail17trampoline_kernelINS0_14default_configENS1_25partition_config_selectorILNS1_17partition_subalgoE1EiNS0_10empty_typeEbEEZZNS1_14partition_implILS5_1ELb0ES3_jN6thrust23THRUST_200600_302600_NS6detail15normal_iteratorINSA_10device_ptrIiEEEEPS6_NSA_18transform_iteratorI7is_evenIiESF_NSA_11use_defaultESK_EENS0_5tupleIJNSA_16discard_iteratorISK_EESO_EEENSM_IJSG_SG_EEES6_PlJS6_EEE10hipError_tPvRmT3_T4_T5_T6_T7_T9_mT8_P12ihipStream_tbDpT10_ENKUlT_T0_E_clISt17integral_constantIbLb1EES1A_IbLb0EEEEDaS16_S17_EUlS16_E_NS1_11comp_targetILNS1_3genE3ELNS1_11target_archE908ELNS1_3gpuE7ELNS1_3repE0EEENS1_30default_config_static_selectorELNS0_4arch9wavefront6targetE1EEEvT1_,@function
_ZN7rocprim17ROCPRIM_400000_NS6detail17trampoline_kernelINS0_14default_configENS1_25partition_config_selectorILNS1_17partition_subalgoE1EiNS0_10empty_typeEbEEZZNS1_14partition_implILS5_1ELb0ES3_jN6thrust23THRUST_200600_302600_NS6detail15normal_iteratorINSA_10device_ptrIiEEEEPS6_NSA_18transform_iteratorI7is_evenIiESF_NSA_11use_defaultESK_EENS0_5tupleIJNSA_16discard_iteratorISK_EESO_EEENSM_IJSG_SG_EEES6_PlJS6_EEE10hipError_tPvRmT3_T4_T5_T6_T7_T9_mT8_P12ihipStream_tbDpT10_ENKUlT_T0_E_clISt17integral_constantIbLb1EES1A_IbLb0EEEEDaS16_S17_EUlS16_E_NS1_11comp_targetILNS1_3genE3ELNS1_11target_archE908ELNS1_3gpuE7ELNS1_3repE0EEENS1_30default_config_static_selectorELNS0_4arch9wavefront6targetE1EEEvT1_: ; @_ZN7rocprim17ROCPRIM_400000_NS6detail17trampoline_kernelINS0_14default_configENS1_25partition_config_selectorILNS1_17partition_subalgoE1EiNS0_10empty_typeEbEEZZNS1_14partition_implILS5_1ELb0ES3_jN6thrust23THRUST_200600_302600_NS6detail15normal_iteratorINSA_10device_ptrIiEEEEPS6_NSA_18transform_iteratorI7is_evenIiESF_NSA_11use_defaultESK_EENS0_5tupleIJNSA_16discard_iteratorISK_EESO_EEENSM_IJSG_SG_EEES6_PlJS6_EEE10hipError_tPvRmT3_T4_T5_T6_T7_T9_mT8_P12ihipStream_tbDpT10_ENKUlT_T0_E_clISt17integral_constantIbLb1EES1A_IbLb0EEEEDaS16_S17_EUlS16_E_NS1_11comp_targetILNS1_3genE3ELNS1_11target_archE908ELNS1_3gpuE7ELNS1_3repE0EEENS1_30default_config_static_selectorELNS0_4arch9wavefront6targetE1EEEvT1_
; %bb.0:
	.section	.rodata,"a",@progbits
	.p2align	6, 0x0
	.amdhsa_kernel _ZN7rocprim17ROCPRIM_400000_NS6detail17trampoline_kernelINS0_14default_configENS1_25partition_config_selectorILNS1_17partition_subalgoE1EiNS0_10empty_typeEbEEZZNS1_14partition_implILS5_1ELb0ES3_jN6thrust23THRUST_200600_302600_NS6detail15normal_iteratorINSA_10device_ptrIiEEEEPS6_NSA_18transform_iteratorI7is_evenIiESF_NSA_11use_defaultESK_EENS0_5tupleIJNSA_16discard_iteratorISK_EESO_EEENSM_IJSG_SG_EEES6_PlJS6_EEE10hipError_tPvRmT3_T4_T5_T6_T7_T9_mT8_P12ihipStream_tbDpT10_ENKUlT_T0_E_clISt17integral_constantIbLb1EES1A_IbLb0EEEEDaS16_S17_EUlS16_E_NS1_11comp_targetILNS1_3genE3ELNS1_11target_archE908ELNS1_3gpuE7ELNS1_3repE0EEENS1_30default_config_static_selectorELNS0_4arch9wavefront6targetE1EEEvT1_
		.amdhsa_group_segment_fixed_size 0
		.amdhsa_private_segment_fixed_size 0
		.amdhsa_kernarg_size 144
		.amdhsa_user_sgpr_count 2
		.amdhsa_user_sgpr_dispatch_ptr 0
		.amdhsa_user_sgpr_queue_ptr 0
		.amdhsa_user_sgpr_kernarg_segment_ptr 1
		.amdhsa_user_sgpr_dispatch_id 0
		.amdhsa_user_sgpr_kernarg_preload_length 0
		.amdhsa_user_sgpr_kernarg_preload_offset 0
		.amdhsa_user_sgpr_private_segment_size 0
		.amdhsa_uses_dynamic_stack 0
		.amdhsa_enable_private_segment 0
		.amdhsa_system_sgpr_workgroup_id_x 1
		.amdhsa_system_sgpr_workgroup_id_y 0
		.amdhsa_system_sgpr_workgroup_id_z 0
		.amdhsa_system_sgpr_workgroup_info 0
		.amdhsa_system_vgpr_workitem_id 0
		.amdhsa_next_free_vgpr 1
		.amdhsa_next_free_sgpr 0
		.amdhsa_accum_offset 4
		.amdhsa_reserve_vcc 0
		.amdhsa_float_round_mode_32 0
		.amdhsa_float_round_mode_16_64 0
		.amdhsa_float_denorm_mode_32 3
		.amdhsa_float_denorm_mode_16_64 3
		.amdhsa_dx10_clamp 1
		.amdhsa_ieee_mode 1
		.amdhsa_fp16_overflow 0
		.amdhsa_tg_split 0
		.amdhsa_exception_fp_ieee_invalid_op 0
		.amdhsa_exception_fp_denorm_src 0
		.amdhsa_exception_fp_ieee_div_zero 0
		.amdhsa_exception_fp_ieee_overflow 0
		.amdhsa_exception_fp_ieee_underflow 0
		.amdhsa_exception_fp_ieee_inexact 0
		.amdhsa_exception_int_div_zero 0
	.end_amdhsa_kernel
	.section	.text._ZN7rocprim17ROCPRIM_400000_NS6detail17trampoline_kernelINS0_14default_configENS1_25partition_config_selectorILNS1_17partition_subalgoE1EiNS0_10empty_typeEbEEZZNS1_14partition_implILS5_1ELb0ES3_jN6thrust23THRUST_200600_302600_NS6detail15normal_iteratorINSA_10device_ptrIiEEEEPS6_NSA_18transform_iteratorI7is_evenIiESF_NSA_11use_defaultESK_EENS0_5tupleIJNSA_16discard_iteratorISK_EESO_EEENSM_IJSG_SG_EEES6_PlJS6_EEE10hipError_tPvRmT3_T4_T5_T6_T7_T9_mT8_P12ihipStream_tbDpT10_ENKUlT_T0_E_clISt17integral_constantIbLb1EES1A_IbLb0EEEEDaS16_S17_EUlS16_E_NS1_11comp_targetILNS1_3genE3ELNS1_11target_archE908ELNS1_3gpuE7ELNS1_3repE0EEENS1_30default_config_static_selectorELNS0_4arch9wavefront6targetE1EEEvT1_,"axG",@progbits,_ZN7rocprim17ROCPRIM_400000_NS6detail17trampoline_kernelINS0_14default_configENS1_25partition_config_selectorILNS1_17partition_subalgoE1EiNS0_10empty_typeEbEEZZNS1_14partition_implILS5_1ELb0ES3_jN6thrust23THRUST_200600_302600_NS6detail15normal_iteratorINSA_10device_ptrIiEEEEPS6_NSA_18transform_iteratorI7is_evenIiESF_NSA_11use_defaultESK_EENS0_5tupleIJNSA_16discard_iteratorISK_EESO_EEENSM_IJSG_SG_EEES6_PlJS6_EEE10hipError_tPvRmT3_T4_T5_T6_T7_T9_mT8_P12ihipStream_tbDpT10_ENKUlT_T0_E_clISt17integral_constantIbLb1EES1A_IbLb0EEEEDaS16_S17_EUlS16_E_NS1_11comp_targetILNS1_3genE3ELNS1_11target_archE908ELNS1_3gpuE7ELNS1_3repE0EEENS1_30default_config_static_selectorELNS0_4arch9wavefront6targetE1EEEvT1_,comdat
.Lfunc_end3278:
	.size	_ZN7rocprim17ROCPRIM_400000_NS6detail17trampoline_kernelINS0_14default_configENS1_25partition_config_selectorILNS1_17partition_subalgoE1EiNS0_10empty_typeEbEEZZNS1_14partition_implILS5_1ELb0ES3_jN6thrust23THRUST_200600_302600_NS6detail15normal_iteratorINSA_10device_ptrIiEEEEPS6_NSA_18transform_iteratorI7is_evenIiESF_NSA_11use_defaultESK_EENS0_5tupleIJNSA_16discard_iteratorISK_EESO_EEENSM_IJSG_SG_EEES6_PlJS6_EEE10hipError_tPvRmT3_T4_T5_T6_T7_T9_mT8_P12ihipStream_tbDpT10_ENKUlT_T0_E_clISt17integral_constantIbLb1EES1A_IbLb0EEEEDaS16_S17_EUlS16_E_NS1_11comp_targetILNS1_3genE3ELNS1_11target_archE908ELNS1_3gpuE7ELNS1_3repE0EEENS1_30default_config_static_selectorELNS0_4arch9wavefront6targetE1EEEvT1_, .Lfunc_end3278-_ZN7rocprim17ROCPRIM_400000_NS6detail17trampoline_kernelINS0_14default_configENS1_25partition_config_selectorILNS1_17partition_subalgoE1EiNS0_10empty_typeEbEEZZNS1_14partition_implILS5_1ELb0ES3_jN6thrust23THRUST_200600_302600_NS6detail15normal_iteratorINSA_10device_ptrIiEEEEPS6_NSA_18transform_iteratorI7is_evenIiESF_NSA_11use_defaultESK_EENS0_5tupleIJNSA_16discard_iteratorISK_EESO_EEENSM_IJSG_SG_EEES6_PlJS6_EEE10hipError_tPvRmT3_T4_T5_T6_T7_T9_mT8_P12ihipStream_tbDpT10_ENKUlT_T0_E_clISt17integral_constantIbLb1EES1A_IbLb0EEEEDaS16_S17_EUlS16_E_NS1_11comp_targetILNS1_3genE3ELNS1_11target_archE908ELNS1_3gpuE7ELNS1_3repE0EEENS1_30default_config_static_selectorELNS0_4arch9wavefront6targetE1EEEvT1_
                                        ; -- End function
	.section	.AMDGPU.csdata,"",@progbits
; Kernel info:
; codeLenInByte = 0
; NumSgprs: 6
; NumVgprs: 0
; NumAgprs: 0
; TotalNumVgprs: 0
; ScratchSize: 0
; MemoryBound: 0
; FloatMode: 240
; IeeeMode: 1
; LDSByteSize: 0 bytes/workgroup (compile time only)
; SGPRBlocks: 0
; VGPRBlocks: 0
; NumSGPRsForWavesPerEU: 6
; NumVGPRsForWavesPerEU: 1
; AccumOffset: 4
; Occupancy: 8
; WaveLimiterHint : 0
; COMPUTE_PGM_RSRC2:SCRATCH_EN: 0
; COMPUTE_PGM_RSRC2:USER_SGPR: 2
; COMPUTE_PGM_RSRC2:TRAP_HANDLER: 0
; COMPUTE_PGM_RSRC2:TGID_X_EN: 1
; COMPUTE_PGM_RSRC2:TGID_Y_EN: 0
; COMPUTE_PGM_RSRC2:TGID_Z_EN: 0
; COMPUTE_PGM_RSRC2:TIDIG_COMP_CNT: 0
; COMPUTE_PGM_RSRC3_GFX90A:ACCUM_OFFSET: 0
; COMPUTE_PGM_RSRC3_GFX90A:TG_SPLIT: 0
	.section	.text._ZN7rocprim17ROCPRIM_400000_NS6detail17trampoline_kernelINS0_14default_configENS1_25partition_config_selectorILNS1_17partition_subalgoE1EiNS0_10empty_typeEbEEZZNS1_14partition_implILS5_1ELb0ES3_jN6thrust23THRUST_200600_302600_NS6detail15normal_iteratorINSA_10device_ptrIiEEEEPS6_NSA_18transform_iteratorI7is_evenIiESF_NSA_11use_defaultESK_EENS0_5tupleIJNSA_16discard_iteratorISK_EESO_EEENSM_IJSG_SG_EEES6_PlJS6_EEE10hipError_tPvRmT3_T4_T5_T6_T7_T9_mT8_P12ihipStream_tbDpT10_ENKUlT_T0_E_clISt17integral_constantIbLb1EES1A_IbLb0EEEEDaS16_S17_EUlS16_E_NS1_11comp_targetILNS1_3genE2ELNS1_11target_archE906ELNS1_3gpuE6ELNS1_3repE0EEENS1_30default_config_static_selectorELNS0_4arch9wavefront6targetE1EEEvT1_,"axG",@progbits,_ZN7rocprim17ROCPRIM_400000_NS6detail17trampoline_kernelINS0_14default_configENS1_25partition_config_selectorILNS1_17partition_subalgoE1EiNS0_10empty_typeEbEEZZNS1_14partition_implILS5_1ELb0ES3_jN6thrust23THRUST_200600_302600_NS6detail15normal_iteratorINSA_10device_ptrIiEEEEPS6_NSA_18transform_iteratorI7is_evenIiESF_NSA_11use_defaultESK_EENS0_5tupleIJNSA_16discard_iteratorISK_EESO_EEENSM_IJSG_SG_EEES6_PlJS6_EEE10hipError_tPvRmT3_T4_T5_T6_T7_T9_mT8_P12ihipStream_tbDpT10_ENKUlT_T0_E_clISt17integral_constantIbLb1EES1A_IbLb0EEEEDaS16_S17_EUlS16_E_NS1_11comp_targetILNS1_3genE2ELNS1_11target_archE906ELNS1_3gpuE6ELNS1_3repE0EEENS1_30default_config_static_selectorELNS0_4arch9wavefront6targetE1EEEvT1_,comdat
	.protected	_ZN7rocprim17ROCPRIM_400000_NS6detail17trampoline_kernelINS0_14default_configENS1_25partition_config_selectorILNS1_17partition_subalgoE1EiNS0_10empty_typeEbEEZZNS1_14partition_implILS5_1ELb0ES3_jN6thrust23THRUST_200600_302600_NS6detail15normal_iteratorINSA_10device_ptrIiEEEEPS6_NSA_18transform_iteratorI7is_evenIiESF_NSA_11use_defaultESK_EENS0_5tupleIJNSA_16discard_iteratorISK_EESO_EEENSM_IJSG_SG_EEES6_PlJS6_EEE10hipError_tPvRmT3_T4_T5_T6_T7_T9_mT8_P12ihipStream_tbDpT10_ENKUlT_T0_E_clISt17integral_constantIbLb1EES1A_IbLb0EEEEDaS16_S17_EUlS16_E_NS1_11comp_targetILNS1_3genE2ELNS1_11target_archE906ELNS1_3gpuE6ELNS1_3repE0EEENS1_30default_config_static_selectorELNS0_4arch9wavefront6targetE1EEEvT1_ ; -- Begin function _ZN7rocprim17ROCPRIM_400000_NS6detail17trampoline_kernelINS0_14default_configENS1_25partition_config_selectorILNS1_17partition_subalgoE1EiNS0_10empty_typeEbEEZZNS1_14partition_implILS5_1ELb0ES3_jN6thrust23THRUST_200600_302600_NS6detail15normal_iteratorINSA_10device_ptrIiEEEEPS6_NSA_18transform_iteratorI7is_evenIiESF_NSA_11use_defaultESK_EENS0_5tupleIJNSA_16discard_iteratorISK_EESO_EEENSM_IJSG_SG_EEES6_PlJS6_EEE10hipError_tPvRmT3_T4_T5_T6_T7_T9_mT8_P12ihipStream_tbDpT10_ENKUlT_T0_E_clISt17integral_constantIbLb1EES1A_IbLb0EEEEDaS16_S17_EUlS16_E_NS1_11comp_targetILNS1_3genE2ELNS1_11target_archE906ELNS1_3gpuE6ELNS1_3repE0EEENS1_30default_config_static_selectorELNS0_4arch9wavefront6targetE1EEEvT1_
	.globl	_ZN7rocprim17ROCPRIM_400000_NS6detail17trampoline_kernelINS0_14default_configENS1_25partition_config_selectorILNS1_17partition_subalgoE1EiNS0_10empty_typeEbEEZZNS1_14partition_implILS5_1ELb0ES3_jN6thrust23THRUST_200600_302600_NS6detail15normal_iteratorINSA_10device_ptrIiEEEEPS6_NSA_18transform_iteratorI7is_evenIiESF_NSA_11use_defaultESK_EENS0_5tupleIJNSA_16discard_iteratorISK_EESO_EEENSM_IJSG_SG_EEES6_PlJS6_EEE10hipError_tPvRmT3_T4_T5_T6_T7_T9_mT8_P12ihipStream_tbDpT10_ENKUlT_T0_E_clISt17integral_constantIbLb1EES1A_IbLb0EEEEDaS16_S17_EUlS16_E_NS1_11comp_targetILNS1_3genE2ELNS1_11target_archE906ELNS1_3gpuE6ELNS1_3repE0EEENS1_30default_config_static_selectorELNS0_4arch9wavefront6targetE1EEEvT1_
	.p2align	8
	.type	_ZN7rocprim17ROCPRIM_400000_NS6detail17trampoline_kernelINS0_14default_configENS1_25partition_config_selectorILNS1_17partition_subalgoE1EiNS0_10empty_typeEbEEZZNS1_14partition_implILS5_1ELb0ES3_jN6thrust23THRUST_200600_302600_NS6detail15normal_iteratorINSA_10device_ptrIiEEEEPS6_NSA_18transform_iteratorI7is_evenIiESF_NSA_11use_defaultESK_EENS0_5tupleIJNSA_16discard_iteratorISK_EESO_EEENSM_IJSG_SG_EEES6_PlJS6_EEE10hipError_tPvRmT3_T4_T5_T6_T7_T9_mT8_P12ihipStream_tbDpT10_ENKUlT_T0_E_clISt17integral_constantIbLb1EES1A_IbLb0EEEEDaS16_S17_EUlS16_E_NS1_11comp_targetILNS1_3genE2ELNS1_11target_archE906ELNS1_3gpuE6ELNS1_3repE0EEENS1_30default_config_static_selectorELNS0_4arch9wavefront6targetE1EEEvT1_,@function
_ZN7rocprim17ROCPRIM_400000_NS6detail17trampoline_kernelINS0_14default_configENS1_25partition_config_selectorILNS1_17partition_subalgoE1EiNS0_10empty_typeEbEEZZNS1_14partition_implILS5_1ELb0ES3_jN6thrust23THRUST_200600_302600_NS6detail15normal_iteratorINSA_10device_ptrIiEEEEPS6_NSA_18transform_iteratorI7is_evenIiESF_NSA_11use_defaultESK_EENS0_5tupleIJNSA_16discard_iteratorISK_EESO_EEENSM_IJSG_SG_EEES6_PlJS6_EEE10hipError_tPvRmT3_T4_T5_T6_T7_T9_mT8_P12ihipStream_tbDpT10_ENKUlT_T0_E_clISt17integral_constantIbLb1EES1A_IbLb0EEEEDaS16_S17_EUlS16_E_NS1_11comp_targetILNS1_3genE2ELNS1_11target_archE906ELNS1_3gpuE6ELNS1_3repE0EEENS1_30default_config_static_selectorELNS0_4arch9wavefront6targetE1EEEvT1_: ; @_ZN7rocprim17ROCPRIM_400000_NS6detail17trampoline_kernelINS0_14default_configENS1_25partition_config_selectorILNS1_17partition_subalgoE1EiNS0_10empty_typeEbEEZZNS1_14partition_implILS5_1ELb0ES3_jN6thrust23THRUST_200600_302600_NS6detail15normal_iteratorINSA_10device_ptrIiEEEEPS6_NSA_18transform_iteratorI7is_evenIiESF_NSA_11use_defaultESK_EENS0_5tupleIJNSA_16discard_iteratorISK_EESO_EEENSM_IJSG_SG_EEES6_PlJS6_EEE10hipError_tPvRmT3_T4_T5_T6_T7_T9_mT8_P12ihipStream_tbDpT10_ENKUlT_T0_E_clISt17integral_constantIbLb1EES1A_IbLb0EEEEDaS16_S17_EUlS16_E_NS1_11comp_targetILNS1_3genE2ELNS1_11target_archE906ELNS1_3gpuE6ELNS1_3repE0EEENS1_30default_config_static_selectorELNS0_4arch9wavefront6targetE1EEEvT1_
; %bb.0:
	.section	.rodata,"a",@progbits
	.p2align	6, 0x0
	.amdhsa_kernel _ZN7rocprim17ROCPRIM_400000_NS6detail17trampoline_kernelINS0_14default_configENS1_25partition_config_selectorILNS1_17partition_subalgoE1EiNS0_10empty_typeEbEEZZNS1_14partition_implILS5_1ELb0ES3_jN6thrust23THRUST_200600_302600_NS6detail15normal_iteratorINSA_10device_ptrIiEEEEPS6_NSA_18transform_iteratorI7is_evenIiESF_NSA_11use_defaultESK_EENS0_5tupleIJNSA_16discard_iteratorISK_EESO_EEENSM_IJSG_SG_EEES6_PlJS6_EEE10hipError_tPvRmT3_T4_T5_T6_T7_T9_mT8_P12ihipStream_tbDpT10_ENKUlT_T0_E_clISt17integral_constantIbLb1EES1A_IbLb0EEEEDaS16_S17_EUlS16_E_NS1_11comp_targetILNS1_3genE2ELNS1_11target_archE906ELNS1_3gpuE6ELNS1_3repE0EEENS1_30default_config_static_selectorELNS0_4arch9wavefront6targetE1EEEvT1_
		.amdhsa_group_segment_fixed_size 0
		.amdhsa_private_segment_fixed_size 0
		.amdhsa_kernarg_size 144
		.amdhsa_user_sgpr_count 2
		.amdhsa_user_sgpr_dispatch_ptr 0
		.amdhsa_user_sgpr_queue_ptr 0
		.amdhsa_user_sgpr_kernarg_segment_ptr 1
		.amdhsa_user_sgpr_dispatch_id 0
		.amdhsa_user_sgpr_kernarg_preload_length 0
		.amdhsa_user_sgpr_kernarg_preload_offset 0
		.amdhsa_user_sgpr_private_segment_size 0
		.amdhsa_uses_dynamic_stack 0
		.amdhsa_enable_private_segment 0
		.amdhsa_system_sgpr_workgroup_id_x 1
		.amdhsa_system_sgpr_workgroup_id_y 0
		.amdhsa_system_sgpr_workgroup_id_z 0
		.amdhsa_system_sgpr_workgroup_info 0
		.amdhsa_system_vgpr_workitem_id 0
		.amdhsa_next_free_vgpr 1
		.amdhsa_next_free_sgpr 0
		.amdhsa_accum_offset 4
		.amdhsa_reserve_vcc 0
		.amdhsa_float_round_mode_32 0
		.amdhsa_float_round_mode_16_64 0
		.amdhsa_float_denorm_mode_32 3
		.amdhsa_float_denorm_mode_16_64 3
		.amdhsa_dx10_clamp 1
		.amdhsa_ieee_mode 1
		.amdhsa_fp16_overflow 0
		.amdhsa_tg_split 0
		.amdhsa_exception_fp_ieee_invalid_op 0
		.amdhsa_exception_fp_denorm_src 0
		.amdhsa_exception_fp_ieee_div_zero 0
		.amdhsa_exception_fp_ieee_overflow 0
		.amdhsa_exception_fp_ieee_underflow 0
		.amdhsa_exception_fp_ieee_inexact 0
		.amdhsa_exception_int_div_zero 0
	.end_amdhsa_kernel
	.section	.text._ZN7rocprim17ROCPRIM_400000_NS6detail17trampoline_kernelINS0_14default_configENS1_25partition_config_selectorILNS1_17partition_subalgoE1EiNS0_10empty_typeEbEEZZNS1_14partition_implILS5_1ELb0ES3_jN6thrust23THRUST_200600_302600_NS6detail15normal_iteratorINSA_10device_ptrIiEEEEPS6_NSA_18transform_iteratorI7is_evenIiESF_NSA_11use_defaultESK_EENS0_5tupleIJNSA_16discard_iteratorISK_EESO_EEENSM_IJSG_SG_EEES6_PlJS6_EEE10hipError_tPvRmT3_T4_T5_T6_T7_T9_mT8_P12ihipStream_tbDpT10_ENKUlT_T0_E_clISt17integral_constantIbLb1EES1A_IbLb0EEEEDaS16_S17_EUlS16_E_NS1_11comp_targetILNS1_3genE2ELNS1_11target_archE906ELNS1_3gpuE6ELNS1_3repE0EEENS1_30default_config_static_selectorELNS0_4arch9wavefront6targetE1EEEvT1_,"axG",@progbits,_ZN7rocprim17ROCPRIM_400000_NS6detail17trampoline_kernelINS0_14default_configENS1_25partition_config_selectorILNS1_17partition_subalgoE1EiNS0_10empty_typeEbEEZZNS1_14partition_implILS5_1ELb0ES3_jN6thrust23THRUST_200600_302600_NS6detail15normal_iteratorINSA_10device_ptrIiEEEEPS6_NSA_18transform_iteratorI7is_evenIiESF_NSA_11use_defaultESK_EENS0_5tupleIJNSA_16discard_iteratorISK_EESO_EEENSM_IJSG_SG_EEES6_PlJS6_EEE10hipError_tPvRmT3_T4_T5_T6_T7_T9_mT8_P12ihipStream_tbDpT10_ENKUlT_T0_E_clISt17integral_constantIbLb1EES1A_IbLb0EEEEDaS16_S17_EUlS16_E_NS1_11comp_targetILNS1_3genE2ELNS1_11target_archE906ELNS1_3gpuE6ELNS1_3repE0EEENS1_30default_config_static_selectorELNS0_4arch9wavefront6targetE1EEEvT1_,comdat
.Lfunc_end3279:
	.size	_ZN7rocprim17ROCPRIM_400000_NS6detail17trampoline_kernelINS0_14default_configENS1_25partition_config_selectorILNS1_17partition_subalgoE1EiNS0_10empty_typeEbEEZZNS1_14partition_implILS5_1ELb0ES3_jN6thrust23THRUST_200600_302600_NS6detail15normal_iteratorINSA_10device_ptrIiEEEEPS6_NSA_18transform_iteratorI7is_evenIiESF_NSA_11use_defaultESK_EENS0_5tupleIJNSA_16discard_iteratorISK_EESO_EEENSM_IJSG_SG_EEES6_PlJS6_EEE10hipError_tPvRmT3_T4_T5_T6_T7_T9_mT8_P12ihipStream_tbDpT10_ENKUlT_T0_E_clISt17integral_constantIbLb1EES1A_IbLb0EEEEDaS16_S17_EUlS16_E_NS1_11comp_targetILNS1_3genE2ELNS1_11target_archE906ELNS1_3gpuE6ELNS1_3repE0EEENS1_30default_config_static_selectorELNS0_4arch9wavefront6targetE1EEEvT1_, .Lfunc_end3279-_ZN7rocprim17ROCPRIM_400000_NS6detail17trampoline_kernelINS0_14default_configENS1_25partition_config_selectorILNS1_17partition_subalgoE1EiNS0_10empty_typeEbEEZZNS1_14partition_implILS5_1ELb0ES3_jN6thrust23THRUST_200600_302600_NS6detail15normal_iteratorINSA_10device_ptrIiEEEEPS6_NSA_18transform_iteratorI7is_evenIiESF_NSA_11use_defaultESK_EENS0_5tupleIJNSA_16discard_iteratorISK_EESO_EEENSM_IJSG_SG_EEES6_PlJS6_EEE10hipError_tPvRmT3_T4_T5_T6_T7_T9_mT8_P12ihipStream_tbDpT10_ENKUlT_T0_E_clISt17integral_constantIbLb1EES1A_IbLb0EEEEDaS16_S17_EUlS16_E_NS1_11comp_targetILNS1_3genE2ELNS1_11target_archE906ELNS1_3gpuE6ELNS1_3repE0EEENS1_30default_config_static_selectorELNS0_4arch9wavefront6targetE1EEEvT1_
                                        ; -- End function
	.section	.AMDGPU.csdata,"",@progbits
; Kernel info:
; codeLenInByte = 0
; NumSgprs: 6
; NumVgprs: 0
; NumAgprs: 0
; TotalNumVgprs: 0
; ScratchSize: 0
; MemoryBound: 0
; FloatMode: 240
; IeeeMode: 1
; LDSByteSize: 0 bytes/workgroup (compile time only)
; SGPRBlocks: 0
; VGPRBlocks: 0
; NumSGPRsForWavesPerEU: 6
; NumVGPRsForWavesPerEU: 1
; AccumOffset: 4
; Occupancy: 8
; WaveLimiterHint : 0
; COMPUTE_PGM_RSRC2:SCRATCH_EN: 0
; COMPUTE_PGM_RSRC2:USER_SGPR: 2
; COMPUTE_PGM_RSRC2:TRAP_HANDLER: 0
; COMPUTE_PGM_RSRC2:TGID_X_EN: 1
; COMPUTE_PGM_RSRC2:TGID_Y_EN: 0
; COMPUTE_PGM_RSRC2:TGID_Z_EN: 0
; COMPUTE_PGM_RSRC2:TIDIG_COMP_CNT: 0
; COMPUTE_PGM_RSRC3_GFX90A:ACCUM_OFFSET: 0
; COMPUTE_PGM_RSRC3_GFX90A:TG_SPLIT: 0
	.section	.text._ZN7rocprim17ROCPRIM_400000_NS6detail17trampoline_kernelINS0_14default_configENS1_25partition_config_selectorILNS1_17partition_subalgoE1EiNS0_10empty_typeEbEEZZNS1_14partition_implILS5_1ELb0ES3_jN6thrust23THRUST_200600_302600_NS6detail15normal_iteratorINSA_10device_ptrIiEEEEPS6_NSA_18transform_iteratorI7is_evenIiESF_NSA_11use_defaultESK_EENS0_5tupleIJNSA_16discard_iteratorISK_EESO_EEENSM_IJSG_SG_EEES6_PlJS6_EEE10hipError_tPvRmT3_T4_T5_T6_T7_T9_mT8_P12ihipStream_tbDpT10_ENKUlT_T0_E_clISt17integral_constantIbLb1EES1A_IbLb0EEEEDaS16_S17_EUlS16_E_NS1_11comp_targetILNS1_3genE10ELNS1_11target_archE1200ELNS1_3gpuE4ELNS1_3repE0EEENS1_30default_config_static_selectorELNS0_4arch9wavefront6targetE1EEEvT1_,"axG",@progbits,_ZN7rocprim17ROCPRIM_400000_NS6detail17trampoline_kernelINS0_14default_configENS1_25partition_config_selectorILNS1_17partition_subalgoE1EiNS0_10empty_typeEbEEZZNS1_14partition_implILS5_1ELb0ES3_jN6thrust23THRUST_200600_302600_NS6detail15normal_iteratorINSA_10device_ptrIiEEEEPS6_NSA_18transform_iteratorI7is_evenIiESF_NSA_11use_defaultESK_EENS0_5tupleIJNSA_16discard_iteratorISK_EESO_EEENSM_IJSG_SG_EEES6_PlJS6_EEE10hipError_tPvRmT3_T4_T5_T6_T7_T9_mT8_P12ihipStream_tbDpT10_ENKUlT_T0_E_clISt17integral_constantIbLb1EES1A_IbLb0EEEEDaS16_S17_EUlS16_E_NS1_11comp_targetILNS1_3genE10ELNS1_11target_archE1200ELNS1_3gpuE4ELNS1_3repE0EEENS1_30default_config_static_selectorELNS0_4arch9wavefront6targetE1EEEvT1_,comdat
	.protected	_ZN7rocprim17ROCPRIM_400000_NS6detail17trampoline_kernelINS0_14default_configENS1_25partition_config_selectorILNS1_17partition_subalgoE1EiNS0_10empty_typeEbEEZZNS1_14partition_implILS5_1ELb0ES3_jN6thrust23THRUST_200600_302600_NS6detail15normal_iteratorINSA_10device_ptrIiEEEEPS6_NSA_18transform_iteratorI7is_evenIiESF_NSA_11use_defaultESK_EENS0_5tupleIJNSA_16discard_iteratorISK_EESO_EEENSM_IJSG_SG_EEES6_PlJS6_EEE10hipError_tPvRmT3_T4_T5_T6_T7_T9_mT8_P12ihipStream_tbDpT10_ENKUlT_T0_E_clISt17integral_constantIbLb1EES1A_IbLb0EEEEDaS16_S17_EUlS16_E_NS1_11comp_targetILNS1_3genE10ELNS1_11target_archE1200ELNS1_3gpuE4ELNS1_3repE0EEENS1_30default_config_static_selectorELNS0_4arch9wavefront6targetE1EEEvT1_ ; -- Begin function _ZN7rocprim17ROCPRIM_400000_NS6detail17trampoline_kernelINS0_14default_configENS1_25partition_config_selectorILNS1_17partition_subalgoE1EiNS0_10empty_typeEbEEZZNS1_14partition_implILS5_1ELb0ES3_jN6thrust23THRUST_200600_302600_NS6detail15normal_iteratorINSA_10device_ptrIiEEEEPS6_NSA_18transform_iteratorI7is_evenIiESF_NSA_11use_defaultESK_EENS0_5tupleIJNSA_16discard_iteratorISK_EESO_EEENSM_IJSG_SG_EEES6_PlJS6_EEE10hipError_tPvRmT3_T4_T5_T6_T7_T9_mT8_P12ihipStream_tbDpT10_ENKUlT_T0_E_clISt17integral_constantIbLb1EES1A_IbLb0EEEEDaS16_S17_EUlS16_E_NS1_11comp_targetILNS1_3genE10ELNS1_11target_archE1200ELNS1_3gpuE4ELNS1_3repE0EEENS1_30default_config_static_selectorELNS0_4arch9wavefront6targetE1EEEvT1_
	.globl	_ZN7rocprim17ROCPRIM_400000_NS6detail17trampoline_kernelINS0_14default_configENS1_25partition_config_selectorILNS1_17partition_subalgoE1EiNS0_10empty_typeEbEEZZNS1_14partition_implILS5_1ELb0ES3_jN6thrust23THRUST_200600_302600_NS6detail15normal_iteratorINSA_10device_ptrIiEEEEPS6_NSA_18transform_iteratorI7is_evenIiESF_NSA_11use_defaultESK_EENS0_5tupleIJNSA_16discard_iteratorISK_EESO_EEENSM_IJSG_SG_EEES6_PlJS6_EEE10hipError_tPvRmT3_T4_T5_T6_T7_T9_mT8_P12ihipStream_tbDpT10_ENKUlT_T0_E_clISt17integral_constantIbLb1EES1A_IbLb0EEEEDaS16_S17_EUlS16_E_NS1_11comp_targetILNS1_3genE10ELNS1_11target_archE1200ELNS1_3gpuE4ELNS1_3repE0EEENS1_30default_config_static_selectorELNS0_4arch9wavefront6targetE1EEEvT1_
	.p2align	8
	.type	_ZN7rocprim17ROCPRIM_400000_NS6detail17trampoline_kernelINS0_14default_configENS1_25partition_config_selectorILNS1_17partition_subalgoE1EiNS0_10empty_typeEbEEZZNS1_14partition_implILS5_1ELb0ES3_jN6thrust23THRUST_200600_302600_NS6detail15normal_iteratorINSA_10device_ptrIiEEEEPS6_NSA_18transform_iteratorI7is_evenIiESF_NSA_11use_defaultESK_EENS0_5tupleIJNSA_16discard_iteratorISK_EESO_EEENSM_IJSG_SG_EEES6_PlJS6_EEE10hipError_tPvRmT3_T4_T5_T6_T7_T9_mT8_P12ihipStream_tbDpT10_ENKUlT_T0_E_clISt17integral_constantIbLb1EES1A_IbLb0EEEEDaS16_S17_EUlS16_E_NS1_11comp_targetILNS1_3genE10ELNS1_11target_archE1200ELNS1_3gpuE4ELNS1_3repE0EEENS1_30default_config_static_selectorELNS0_4arch9wavefront6targetE1EEEvT1_,@function
_ZN7rocprim17ROCPRIM_400000_NS6detail17trampoline_kernelINS0_14default_configENS1_25partition_config_selectorILNS1_17partition_subalgoE1EiNS0_10empty_typeEbEEZZNS1_14partition_implILS5_1ELb0ES3_jN6thrust23THRUST_200600_302600_NS6detail15normal_iteratorINSA_10device_ptrIiEEEEPS6_NSA_18transform_iteratorI7is_evenIiESF_NSA_11use_defaultESK_EENS0_5tupleIJNSA_16discard_iteratorISK_EESO_EEENSM_IJSG_SG_EEES6_PlJS6_EEE10hipError_tPvRmT3_T4_T5_T6_T7_T9_mT8_P12ihipStream_tbDpT10_ENKUlT_T0_E_clISt17integral_constantIbLb1EES1A_IbLb0EEEEDaS16_S17_EUlS16_E_NS1_11comp_targetILNS1_3genE10ELNS1_11target_archE1200ELNS1_3gpuE4ELNS1_3repE0EEENS1_30default_config_static_selectorELNS0_4arch9wavefront6targetE1EEEvT1_: ; @_ZN7rocprim17ROCPRIM_400000_NS6detail17trampoline_kernelINS0_14default_configENS1_25partition_config_selectorILNS1_17partition_subalgoE1EiNS0_10empty_typeEbEEZZNS1_14partition_implILS5_1ELb0ES3_jN6thrust23THRUST_200600_302600_NS6detail15normal_iteratorINSA_10device_ptrIiEEEEPS6_NSA_18transform_iteratorI7is_evenIiESF_NSA_11use_defaultESK_EENS0_5tupleIJNSA_16discard_iteratorISK_EESO_EEENSM_IJSG_SG_EEES6_PlJS6_EEE10hipError_tPvRmT3_T4_T5_T6_T7_T9_mT8_P12ihipStream_tbDpT10_ENKUlT_T0_E_clISt17integral_constantIbLb1EES1A_IbLb0EEEEDaS16_S17_EUlS16_E_NS1_11comp_targetILNS1_3genE10ELNS1_11target_archE1200ELNS1_3gpuE4ELNS1_3repE0EEENS1_30default_config_static_selectorELNS0_4arch9wavefront6targetE1EEEvT1_
; %bb.0:
	.section	.rodata,"a",@progbits
	.p2align	6, 0x0
	.amdhsa_kernel _ZN7rocprim17ROCPRIM_400000_NS6detail17trampoline_kernelINS0_14default_configENS1_25partition_config_selectorILNS1_17partition_subalgoE1EiNS0_10empty_typeEbEEZZNS1_14partition_implILS5_1ELb0ES3_jN6thrust23THRUST_200600_302600_NS6detail15normal_iteratorINSA_10device_ptrIiEEEEPS6_NSA_18transform_iteratorI7is_evenIiESF_NSA_11use_defaultESK_EENS0_5tupleIJNSA_16discard_iteratorISK_EESO_EEENSM_IJSG_SG_EEES6_PlJS6_EEE10hipError_tPvRmT3_T4_T5_T6_T7_T9_mT8_P12ihipStream_tbDpT10_ENKUlT_T0_E_clISt17integral_constantIbLb1EES1A_IbLb0EEEEDaS16_S17_EUlS16_E_NS1_11comp_targetILNS1_3genE10ELNS1_11target_archE1200ELNS1_3gpuE4ELNS1_3repE0EEENS1_30default_config_static_selectorELNS0_4arch9wavefront6targetE1EEEvT1_
		.amdhsa_group_segment_fixed_size 0
		.amdhsa_private_segment_fixed_size 0
		.amdhsa_kernarg_size 144
		.amdhsa_user_sgpr_count 2
		.amdhsa_user_sgpr_dispatch_ptr 0
		.amdhsa_user_sgpr_queue_ptr 0
		.amdhsa_user_sgpr_kernarg_segment_ptr 1
		.amdhsa_user_sgpr_dispatch_id 0
		.amdhsa_user_sgpr_kernarg_preload_length 0
		.amdhsa_user_sgpr_kernarg_preload_offset 0
		.amdhsa_user_sgpr_private_segment_size 0
		.amdhsa_uses_dynamic_stack 0
		.amdhsa_enable_private_segment 0
		.amdhsa_system_sgpr_workgroup_id_x 1
		.amdhsa_system_sgpr_workgroup_id_y 0
		.amdhsa_system_sgpr_workgroup_id_z 0
		.amdhsa_system_sgpr_workgroup_info 0
		.amdhsa_system_vgpr_workitem_id 0
		.amdhsa_next_free_vgpr 1
		.amdhsa_next_free_sgpr 0
		.amdhsa_accum_offset 4
		.amdhsa_reserve_vcc 0
		.amdhsa_float_round_mode_32 0
		.amdhsa_float_round_mode_16_64 0
		.amdhsa_float_denorm_mode_32 3
		.amdhsa_float_denorm_mode_16_64 3
		.amdhsa_dx10_clamp 1
		.amdhsa_ieee_mode 1
		.amdhsa_fp16_overflow 0
		.amdhsa_tg_split 0
		.amdhsa_exception_fp_ieee_invalid_op 0
		.amdhsa_exception_fp_denorm_src 0
		.amdhsa_exception_fp_ieee_div_zero 0
		.amdhsa_exception_fp_ieee_overflow 0
		.amdhsa_exception_fp_ieee_underflow 0
		.amdhsa_exception_fp_ieee_inexact 0
		.amdhsa_exception_int_div_zero 0
	.end_amdhsa_kernel
	.section	.text._ZN7rocprim17ROCPRIM_400000_NS6detail17trampoline_kernelINS0_14default_configENS1_25partition_config_selectorILNS1_17partition_subalgoE1EiNS0_10empty_typeEbEEZZNS1_14partition_implILS5_1ELb0ES3_jN6thrust23THRUST_200600_302600_NS6detail15normal_iteratorINSA_10device_ptrIiEEEEPS6_NSA_18transform_iteratorI7is_evenIiESF_NSA_11use_defaultESK_EENS0_5tupleIJNSA_16discard_iteratorISK_EESO_EEENSM_IJSG_SG_EEES6_PlJS6_EEE10hipError_tPvRmT3_T4_T5_T6_T7_T9_mT8_P12ihipStream_tbDpT10_ENKUlT_T0_E_clISt17integral_constantIbLb1EES1A_IbLb0EEEEDaS16_S17_EUlS16_E_NS1_11comp_targetILNS1_3genE10ELNS1_11target_archE1200ELNS1_3gpuE4ELNS1_3repE0EEENS1_30default_config_static_selectorELNS0_4arch9wavefront6targetE1EEEvT1_,"axG",@progbits,_ZN7rocprim17ROCPRIM_400000_NS6detail17trampoline_kernelINS0_14default_configENS1_25partition_config_selectorILNS1_17partition_subalgoE1EiNS0_10empty_typeEbEEZZNS1_14partition_implILS5_1ELb0ES3_jN6thrust23THRUST_200600_302600_NS6detail15normal_iteratorINSA_10device_ptrIiEEEEPS6_NSA_18transform_iteratorI7is_evenIiESF_NSA_11use_defaultESK_EENS0_5tupleIJNSA_16discard_iteratorISK_EESO_EEENSM_IJSG_SG_EEES6_PlJS6_EEE10hipError_tPvRmT3_T4_T5_T6_T7_T9_mT8_P12ihipStream_tbDpT10_ENKUlT_T0_E_clISt17integral_constantIbLb1EES1A_IbLb0EEEEDaS16_S17_EUlS16_E_NS1_11comp_targetILNS1_3genE10ELNS1_11target_archE1200ELNS1_3gpuE4ELNS1_3repE0EEENS1_30default_config_static_selectorELNS0_4arch9wavefront6targetE1EEEvT1_,comdat
.Lfunc_end3280:
	.size	_ZN7rocprim17ROCPRIM_400000_NS6detail17trampoline_kernelINS0_14default_configENS1_25partition_config_selectorILNS1_17partition_subalgoE1EiNS0_10empty_typeEbEEZZNS1_14partition_implILS5_1ELb0ES3_jN6thrust23THRUST_200600_302600_NS6detail15normal_iteratorINSA_10device_ptrIiEEEEPS6_NSA_18transform_iteratorI7is_evenIiESF_NSA_11use_defaultESK_EENS0_5tupleIJNSA_16discard_iteratorISK_EESO_EEENSM_IJSG_SG_EEES6_PlJS6_EEE10hipError_tPvRmT3_T4_T5_T6_T7_T9_mT8_P12ihipStream_tbDpT10_ENKUlT_T0_E_clISt17integral_constantIbLb1EES1A_IbLb0EEEEDaS16_S17_EUlS16_E_NS1_11comp_targetILNS1_3genE10ELNS1_11target_archE1200ELNS1_3gpuE4ELNS1_3repE0EEENS1_30default_config_static_selectorELNS0_4arch9wavefront6targetE1EEEvT1_, .Lfunc_end3280-_ZN7rocprim17ROCPRIM_400000_NS6detail17trampoline_kernelINS0_14default_configENS1_25partition_config_selectorILNS1_17partition_subalgoE1EiNS0_10empty_typeEbEEZZNS1_14partition_implILS5_1ELb0ES3_jN6thrust23THRUST_200600_302600_NS6detail15normal_iteratorINSA_10device_ptrIiEEEEPS6_NSA_18transform_iteratorI7is_evenIiESF_NSA_11use_defaultESK_EENS0_5tupleIJNSA_16discard_iteratorISK_EESO_EEENSM_IJSG_SG_EEES6_PlJS6_EEE10hipError_tPvRmT3_T4_T5_T6_T7_T9_mT8_P12ihipStream_tbDpT10_ENKUlT_T0_E_clISt17integral_constantIbLb1EES1A_IbLb0EEEEDaS16_S17_EUlS16_E_NS1_11comp_targetILNS1_3genE10ELNS1_11target_archE1200ELNS1_3gpuE4ELNS1_3repE0EEENS1_30default_config_static_selectorELNS0_4arch9wavefront6targetE1EEEvT1_
                                        ; -- End function
	.section	.AMDGPU.csdata,"",@progbits
; Kernel info:
; codeLenInByte = 0
; NumSgprs: 6
; NumVgprs: 0
; NumAgprs: 0
; TotalNumVgprs: 0
; ScratchSize: 0
; MemoryBound: 0
; FloatMode: 240
; IeeeMode: 1
; LDSByteSize: 0 bytes/workgroup (compile time only)
; SGPRBlocks: 0
; VGPRBlocks: 0
; NumSGPRsForWavesPerEU: 6
; NumVGPRsForWavesPerEU: 1
; AccumOffset: 4
; Occupancy: 8
; WaveLimiterHint : 0
; COMPUTE_PGM_RSRC2:SCRATCH_EN: 0
; COMPUTE_PGM_RSRC2:USER_SGPR: 2
; COMPUTE_PGM_RSRC2:TRAP_HANDLER: 0
; COMPUTE_PGM_RSRC2:TGID_X_EN: 1
; COMPUTE_PGM_RSRC2:TGID_Y_EN: 0
; COMPUTE_PGM_RSRC2:TGID_Z_EN: 0
; COMPUTE_PGM_RSRC2:TIDIG_COMP_CNT: 0
; COMPUTE_PGM_RSRC3_GFX90A:ACCUM_OFFSET: 0
; COMPUTE_PGM_RSRC3_GFX90A:TG_SPLIT: 0
	.section	.text._ZN7rocprim17ROCPRIM_400000_NS6detail17trampoline_kernelINS0_14default_configENS1_25partition_config_selectorILNS1_17partition_subalgoE1EiNS0_10empty_typeEbEEZZNS1_14partition_implILS5_1ELb0ES3_jN6thrust23THRUST_200600_302600_NS6detail15normal_iteratorINSA_10device_ptrIiEEEEPS6_NSA_18transform_iteratorI7is_evenIiESF_NSA_11use_defaultESK_EENS0_5tupleIJNSA_16discard_iteratorISK_EESO_EEENSM_IJSG_SG_EEES6_PlJS6_EEE10hipError_tPvRmT3_T4_T5_T6_T7_T9_mT8_P12ihipStream_tbDpT10_ENKUlT_T0_E_clISt17integral_constantIbLb1EES1A_IbLb0EEEEDaS16_S17_EUlS16_E_NS1_11comp_targetILNS1_3genE9ELNS1_11target_archE1100ELNS1_3gpuE3ELNS1_3repE0EEENS1_30default_config_static_selectorELNS0_4arch9wavefront6targetE1EEEvT1_,"axG",@progbits,_ZN7rocprim17ROCPRIM_400000_NS6detail17trampoline_kernelINS0_14default_configENS1_25partition_config_selectorILNS1_17partition_subalgoE1EiNS0_10empty_typeEbEEZZNS1_14partition_implILS5_1ELb0ES3_jN6thrust23THRUST_200600_302600_NS6detail15normal_iteratorINSA_10device_ptrIiEEEEPS6_NSA_18transform_iteratorI7is_evenIiESF_NSA_11use_defaultESK_EENS0_5tupleIJNSA_16discard_iteratorISK_EESO_EEENSM_IJSG_SG_EEES6_PlJS6_EEE10hipError_tPvRmT3_T4_T5_T6_T7_T9_mT8_P12ihipStream_tbDpT10_ENKUlT_T0_E_clISt17integral_constantIbLb1EES1A_IbLb0EEEEDaS16_S17_EUlS16_E_NS1_11comp_targetILNS1_3genE9ELNS1_11target_archE1100ELNS1_3gpuE3ELNS1_3repE0EEENS1_30default_config_static_selectorELNS0_4arch9wavefront6targetE1EEEvT1_,comdat
	.protected	_ZN7rocprim17ROCPRIM_400000_NS6detail17trampoline_kernelINS0_14default_configENS1_25partition_config_selectorILNS1_17partition_subalgoE1EiNS0_10empty_typeEbEEZZNS1_14partition_implILS5_1ELb0ES3_jN6thrust23THRUST_200600_302600_NS6detail15normal_iteratorINSA_10device_ptrIiEEEEPS6_NSA_18transform_iteratorI7is_evenIiESF_NSA_11use_defaultESK_EENS0_5tupleIJNSA_16discard_iteratorISK_EESO_EEENSM_IJSG_SG_EEES6_PlJS6_EEE10hipError_tPvRmT3_T4_T5_T6_T7_T9_mT8_P12ihipStream_tbDpT10_ENKUlT_T0_E_clISt17integral_constantIbLb1EES1A_IbLb0EEEEDaS16_S17_EUlS16_E_NS1_11comp_targetILNS1_3genE9ELNS1_11target_archE1100ELNS1_3gpuE3ELNS1_3repE0EEENS1_30default_config_static_selectorELNS0_4arch9wavefront6targetE1EEEvT1_ ; -- Begin function _ZN7rocprim17ROCPRIM_400000_NS6detail17trampoline_kernelINS0_14default_configENS1_25partition_config_selectorILNS1_17partition_subalgoE1EiNS0_10empty_typeEbEEZZNS1_14partition_implILS5_1ELb0ES3_jN6thrust23THRUST_200600_302600_NS6detail15normal_iteratorINSA_10device_ptrIiEEEEPS6_NSA_18transform_iteratorI7is_evenIiESF_NSA_11use_defaultESK_EENS0_5tupleIJNSA_16discard_iteratorISK_EESO_EEENSM_IJSG_SG_EEES6_PlJS6_EEE10hipError_tPvRmT3_T4_T5_T6_T7_T9_mT8_P12ihipStream_tbDpT10_ENKUlT_T0_E_clISt17integral_constantIbLb1EES1A_IbLb0EEEEDaS16_S17_EUlS16_E_NS1_11comp_targetILNS1_3genE9ELNS1_11target_archE1100ELNS1_3gpuE3ELNS1_3repE0EEENS1_30default_config_static_selectorELNS0_4arch9wavefront6targetE1EEEvT1_
	.globl	_ZN7rocprim17ROCPRIM_400000_NS6detail17trampoline_kernelINS0_14default_configENS1_25partition_config_selectorILNS1_17partition_subalgoE1EiNS0_10empty_typeEbEEZZNS1_14partition_implILS5_1ELb0ES3_jN6thrust23THRUST_200600_302600_NS6detail15normal_iteratorINSA_10device_ptrIiEEEEPS6_NSA_18transform_iteratorI7is_evenIiESF_NSA_11use_defaultESK_EENS0_5tupleIJNSA_16discard_iteratorISK_EESO_EEENSM_IJSG_SG_EEES6_PlJS6_EEE10hipError_tPvRmT3_T4_T5_T6_T7_T9_mT8_P12ihipStream_tbDpT10_ENKUlT_T0_E_clISt17integral_constantIbLb1EES1A_IbLb0EEEEDaS16_S17_EUlS16_E_NS1_11comp_targetILNS1_3genE9ELNS1_11target_archE1100ELNS1_3gpuE3ELNS1_3repE0EEENS1_30default_config_static_selectorELNS0_4arch9wavefront6targetE1EEEvT1_
	.p2align	8
	.type	_ZN7rocprim17ROCPRIM_400000_NS6detail17trampoline_kernelINS0_14default_configENS1_25partition_config_selectorILNS1_17partition_subalgoE1EiNS0_10empty_typeEbEEZZNS1_14partition_implILS5_1ELb0ES3_jN6thrust23THRUST_200600_302600_NS6detail15normal_iteratorINSA_10device_ptrIiEEEEPS6_NSA_18transform_iteratorI7is_evenIiESF_NSA_11use_defaultESK_EENS0_5tupleIJNSA_16discard_iteratorISK_EESO_EEENSM_IJSG_SG_EEES6_PlJS6_EEE10hipError_tPvRmT3_T4_T5_T6_T7_T9_mT8_P12ihipStream_tbDpT10_ENKUlT_T0_E_clISt17integral_constantIbLb1EES1A_IbLb0EEEEDaS16_S17_EUlS16_E_NS1_11comp_targetILNS1_3genE9ELNS1_11target_archE1100ELNS1_3gpuE3ELNS1_3repE0EEENS1_30default_config_static_selectorELNS0_4arch9wavefront6targetE1EEEvT1_,@function
_ZN7rocprim17ROCPRIM_400000_NS6detail17trampoline_kernelINS0_14default_configENS1_25partition_config_selectorILNS1_17partition_subalgoE1EiNS0_10empty_typeEbEEZZNS1_14partition_implILS5_1ELb0ES3_jN6thrust23THRUST_200600_302600_NS6detail15normal_iteratorINSA_10device_ptrIiEEEEPS6_NSA_18transform_iteratorI7is_evenIiESF_NSA_11use_defaultESK_EENS0_5tupleIJNSA_16discard_iteratorISK_EESO_EEENSM_IJSG_SG_EEES6_PlJS6_EEE10hipError_tPvRmT3_T4_T5_T6_T7_T9_mT8_P12ihipStream_tbDpT10_ENKUlT_T0_E_clISt17integral_constantIbLb1EES1A_IbLb0EEEEDaS16_S17_EUlS16_E_NS1_11comp_targetILNS1_3genE9ELNS1_11target_archE1100ELNS1_3gpuE3ELNS1_3repE0EEENS1_30default_config_static_selectorELNS0_4arch9wavefront6targetE1EEEvT1_: ; @_ZN7rocprim17ROCPRIM_400000_NS6detail17trampoline_kernelINS0_14default_configENS1_25partition_config_selectorILNS1_17partition_subalgoE1EiNS0_10empty_typeEbEEZZNS1_14partition_implILS5_1ELb0ES3_jN6thrust23THRUST_200600_302600_NS6detail15normal_iteratorINSA_10device_ptrIiEEEEPS6_NSA_18transform_iteratorI7is_evenIiESF_NSA_11use_defaultESK_EENS0_5tupleIJNSA_16discard_iteratorISK_EESO_EEENSM_IJSG_SG_EEES6_PlJS6_EEE10hipError_tPvRmT3_T4_T5_T6_T7_T9_mT8_P12ihipStream_tbDpT10_ENKUlT_T0_E_clISt17integral_constantIbLb1EES1A_IbLb0EEEEDaS16_S17_EUlS16_E_NS1_11comp_targetILNS1_3genE9ELNS1_11target_archE1100ELNS1_3gpuE3ELNS1_3repE0EEENS1_30default_config_static_selectorELNS0_4arch9wavefront6targetE1EEEvT1_
; %bb.0:
	.section	.rodata,"a",@progbits
	.p2align	6, 0x0
	.amdhsa_kernel _ZN7rocprim17ROCPRIM_400000_NS6detail17trampoline_kernelINS0_14default_configENS1_25partition_config_selectorILNS1_17partition_subalgoE1EiNS0_10empty_typeEbEEZZNS1_14partition_implILS5_1ELb0ES3_jN6thrust23THRUST_200600_302600_NS6detail15normal_iteratorINSA_10device_ptrIiEEEEPS6_NSA_18transform_iteratorI7is_evenIiESF_NSA_11use_defaultESK_EENS0_5tupleIJNSA_16discard_iteratorISK_EESO_EEENSM_IJSG_SG_EEES6_PlJS6_EEE10hipError_tPvRmT3_T4_T5_T6_T7_T9_mT8_P12ihipStream_tbDpT10_ENKUlT_T0_E_clISt17integral_constantIbLb1EES1A_IbLb0EEEEDaS16_S17_EUlS16_E_NS1_11comp_targetILNS1_3genE9ELNS1_11target_archE1100ELNS1_3gpuE3ELNS1_3repE0EEENS1_30default_config_static_selectorELNS0_4arch9wavefront6targetE1EEEvT1_
		.amdhsa_group_segment_fixed_size 0
		.amdhsa_private_segment_fixed_size 0
		.amdhsa_kernarg_size 144
		.amdhsa_user_sgpr_count 2
		.amdhsa_user_sgpr_dispatch_ptr 0
		.amdhsa_user_sgpr_queue_ptr 0
		.amdhsa_user_sgpr_kernarg_segment_ptr 1
		.amdhsa_user_sgpr_dispatch_id 0
		.amdhsa_user_sgpr_kernarg_preload_length 0
		.amdhsa_user_sgpr_kernarg_preload_offset 0
		.amdhsa_user_sgpr_private_segment_size 0
		.amdhsa_uses_dynamic_stack 0
		.amdhsa_enable_private_segment 0
		.amdhsa_system_sgpr_workgroup_id_x 1
		.amdhsa_system_sgpr_workgroup_id_y 0
		.amdhsa_system_sgpr_workgroup_id_z 0
		.amdhsa_system_sgpr_workgroup_info 0
		.amdhsa_system_vgpr_workitem_id 0
		.amdhsa_next_free_vgpr 1
		.amdhsa_next_free_sgpr 0
		.amdhsa_accum_offset 4
		.amdhsa_reserve_vcc 0
		.amdhsa_float_round_mode_32 0
		.amdhsa_float_round_mode_16_64 0
		.amdhsa_float_denorm_mode_32 3
		.amdhsa_float_denorm_mode_16_64 3
		.amdhsa_dx10_clamp 1
		.amdhsa_ieee_mode 1
		.amdhsa_fp16_overflow 0
		.amdhsa_tg_split 0
		.amdhsa_exception_fp_ieee_invalid_op 0
		.amdhsa_exception_fp_denorm_src 0
		.amdhsa_exception_fp_ieee_div_zero 0
		.amdhsa_exception_fp_ieee_overflow 0
		.amdhsa_exception_fp_ieee_underflow 0
		.amdhsa_exception_fp_ieee_inexact 0
		.amdhsa_exception_int_div_zero 0
	.end_amdhsa_kernel
	.section	.text._ZN7rocprim17ROCPRIM_400000_NS6detail17trampoline_kernelINS0_14default_configENS1_25partition_config_selectorILNS1_17partition_subalgoE1EiNS0_10empty_typeEbEEZZNS1_14partition_implILS5_1ELb0ES3_jN6thrust23THRUST_200600_302600_NS6detail15normal_iteratorINSA_10device_ptrIiEEEEPS6_NSA_18transform_iteratorI7is_evenIiESF_NSA_11use_defaultESK_EENS0_5tupleIJNSA_16discard_iteratorISK_EESO_EEENSM_IJSG_SG_EEES6_PlJS6_EEE10hipError_tPvRmT3_T4_T5_T6_T7_T9_mT8_P12ihipStream_tbDpT10_ENKUlT_T0_E_clISt17integral_constantIbLb1EES1A_IbLb0EEEEDaS16_S17_EUlS16_E_NS1_11comp_targetILNS1_3genE9ELNS1_11target_archE1100ELNS1_3gpuE3ELNS1_3repE0EEENS1_30default_config_static_selectorELNS0_4arch9wavefront6targetE1EEEvT1_,"axG",@progbits,_ZN7rocprim17ROCPRIM_400000_NS6detail17trampoline_kernelINS0_14default_configENS1_25partition_config_selectorILNS1_17partition_subalgoE1EiNS0_10empty_typeEbEEZZNS1_14partition_implILS5_1ELb0ES3_jN6thrust23THRUST_200600_302600_NS6detail15normal_iteratorINSA_10device_ptrIiEEEEPS6_NSA_18transform_iteratorI7is_evenIiESF_NSA_11use_defaultESK_EENS0_5tupleIJNSA_16discard_iteratorISK_EESO_EEENSM_IJSG_SG_EEES6_PlJS6_EEE10hipError_tPvRmT3_T4_T5_T6_T7_T9_mT8_P12ihipStream_tbDpT10_ENKUlT_T0_E_clISt17integral_constantIbLb1EES1A_IbLb0EEEEDaS16_S17_EUlS16_E_NS1_11comp_targetILNS1_3genE9ELNS1_11target_archE1100ELNS1_3gpuE3ELNS1_3repE0EEENS1_30default_config_static_selectorELNS0_4arch9wavefront6targetE1EEEvT1_,comdat
.Lfunc_end3281:
	.size	_ZN7rocprim17ROCPRIM_400000_NS6detail17trampoline_kernelINS0_14default_configENS1_25partition_config_selectorILNS1_17partition_subalgoE1EiNS0_10empty_typeEbEEZZNS1_14partition_implILS5_1ELb0ES3_jN6thrust23THRUST_200600_302600_NS6detail15normal_iteratorINSA_10device_ptrIiEEEEPS6_NSA_18transform_iteratorI7is_evenIiESF_NSA_11use_defaultESK_EENS0_5tupleIJNSA_16discard_iteratorISK_EESO_EEENSM_IJSG_SG_EEES6_PlJS6_EEE10hipError_tPvRmT3_T4_T5_T6_T7_T9_mT8_P12ihipStream_tbDpT10_ENKUlT_T0_E_clISt17integral_constantIbLb1EES1A_IbLb0EEEEDaS16_S17_EUlS16_E_NS1_11comp_targetILNS1_3genE9ELNS1_11target_archE1100ELNS1_3gpuE3ELNS1_3repE0EEENS1_30default_config_static_selectorELNS0_4arch9wavefront6targetE1EEEvT1_, .Lfunc_end3281-_ZN7rocprim17ROCPRIM_400000_NS6detail17trampoline_kernelINS0_14default_configENS1_25partition_config_selectorILNS1_17partition_subalgoE1EiNS0_10empty_typeEbEEZZNS1_14partition_implILS5_1ELb0ES3_jN6thrust23THRUST_200600_302600_NS6detail15normal_iteratorINSA_10device_ptrIiEEEEPS6_NSA_18transform_iteratorI7is_evenIiESF_NSA_11use_defaultESK_EENS0_5tupleIJNSA_16discard_iteratorISK_EESO_EEENSM_IJSG_SG_EEES6_PlJS6_EEE10hipError_tPvRmT3_T4_T5_T6_T7_T9_mT8_P12ihipStream_tbDpT10_ENKUlT_T0_E_clISt17integral_constantIbLb1EES1A_IbLb0EEEEDaS16_S17_EUlS16_E_NS1_11comp_targetILNS1_3genE9ELNS1_11target_archE1100ELNS1_3gpuE3ELNS1_3repE0EEENS1_30default_config_static_selectorELNS0_4arch9wavefront6targetE1EEEvT1_
                                        ; -- End function
	.section	.AMDGPU.csdata,"",@progbits
; Kernel info:
; codeLenInByte = 0
; NumSgprs: 6
; NumVgprs: 0
; NumAgprs: 0
; TotalNumVgprs: 0
; ScratchSize: 0
; MemoryBound: 0
; FloatMode: 240
; IeeeMode: 1
; LDSByteSize: 0 bytes/workgroup (compile time only)
; SGPRBlocks: 0
; VGPRBlocks: 0
; NumSGPRsForWavesPerEU: 6
; NumVGPRsForWavesPerEU: 1
; AccumOffset: 4
; Occupancy: 8
; WaveLimiterHint : 0
; COMPUTE_PGM_RSRC2:SCRATCH_EN: 0
; COMPUTE_PGM_RSRC2:USER_SGPR: 2
; COMPUTE_PGM_RSRC2:TRAP_HANDLER: 0
; COMPUTE_PGM_RSRC2:TGID_X_EN: 1
; COMPUTE_PGM_RSRC2:TGID_Y_EN: 0
; COMPUTE_PGM_RSRC2:TGID_Z_EN: 0
; COMPUTE_PGM_RSRC2:TIDIG_COMP_CNT: 0
; COMPUTE_PGM_RSRC3_GFX90A:ACCUM_OFFSET: 0
; COMPUTE_PGM_RSRC3_GFX90A:TG_SPLIT: 0
	.section	.text._ZN7rocprim17ROCPRIM_400000_NS6detail17trampoline_kernelINS0_14default_configENS1_25partition_config_selectorILNS1_17partition_subalgoE1EiNS0_10empty_typeEbEEZZNS1_14partition_implILS5_1ELb0ES3_jN6thrust23THRUST_200600_302600_NS6detail15normal_iteratorINSA_10device_ptrIiEEEEPS6_NSA_18transform_iteratorI7is_evenIiESF_NSA_11use_defaultESK_EENS0_5tupleIJNSA_16discard_iteratorISK_EESO_EEENSM_IJSG_SG_EEES6_PlJS6_EEE10hipError_tPvRmT3_T4_T5_T6_T7_T9_mT8_P12ihipStream_tbDpT10_ENKUlT_T0_E_clISt17integral_constantIbLb1EES1A_IbLb0EEEEDaS16_S17_EUlS16_E_NS1_11comp_targetILNS1_3genE8ELNS1_11target_archE1030ELNS1_3gpuE2ELNS1_3repE0EEENS1_30default_config_static_selectorELNS0_4arch9wavefront6targetE1EEEvT1_,"axG",@progbits,_ZN7rocprim17ROCPRIM_400000_NS6detail17trampoline_kernelINS0_14default_configENS1_25partition_config_selectorILNS1_17partition_subalgoE1EiNS0_10empty_typeEbEEZZNS1_14partition_implILS5_1ELb0ES3_jN6thrust23THRUST_200600_302600_NS6detail15normal_iteratorINSA_10device_ptrIiEEEEPS6_NSA_18transform_iteratorI7is_evenIiESF_NSA_11use_defaultESK_EENS0_5tupleIJNSA_16discard_iteratorISK_EESO_EEENSM_IJSG_SG_EEES6_PlJS6_EEE10hipError_tPvRmT3_T4_T5_T6_T7_T9_mT8_P12ihipStream_tbDpT10_ENKUlT_T0_E_clISt17integral_constantIbLb1EES1A_IbLb0EEEEDaS16_S17_EUlS16_E_NS1_11comp_targetILNS1_3genE8ELNS1_11target_archE1030ELNS1_3gpuE2ELNS1_3repE0EEENS1_30default_config_static_selectorELNS0_4arch9wavefront6targetE1EEEvT1_,comdat
	.protected	_ZN7rocprim17ROCPRIM_400000_NS6detail17trampoline_kernelINS0_14default_configENS1_25partition_config_selectorILNS1_17partition_subalgoE1EiNS0_10empty_typeEbEEZZNS1_14partition_implILS5_1ELb0ES3_jN6thrust23THRUST_200600_302600_NS6detail15normal_iteratorINSA_10device_ptrIiEEEEPS6_NSA_18transform_iteratorI7is_evenIiESF_NSA_11use_defaultESK_EENS0_5tupleIJNSA_16discard_iteratorISK_EESO_EEENSM_IJSG_SG_EEES6_PlJS6_EEE10hipError_tPvRmT3_T4_T5_T6_T7_T9_mT8_P12ihipStream_tbDpT10_ENKUlT_T0_E_clISt17integral_constantIbLb1EES1A_IbLb0EEEEDaS16_S17_EUlS16_E_NS1_11comp_targetILNS1_3genE8ELNS1_11target_archE1030ELNS1_3gpuE2ELNS1_3repE0EEENS1_30default_config_static_selectorELNS0_4arch9wavefront6targetE1EEEvT1_ ; -- Begin function _ZN7rocprim17ROCPRIM_400000_NS6detail17trampoline_kernelINS0_14default_configENS1_25partition_config_selectorILNS1_17partition_subalgoE1EiNS0_10empty_typeEbEEZZNS1_14partition_implILS5_1ELb0ES3_jN6thrust23THRUST_200600_302600_NS6detail15normal_iteratorINSA_10device_ptrIiEEEEPS6_NSA_18transform_iteratorI7is_evenIiESF_NSA_11use_defaultESK_EENS0_5tupleIJNSA_16discard_iteratorISK_EESO_EEENSM_IJSG_SG_EEES6_PlJS6_EEE10hipError_tPvRmT3_T4_T5_T6_T7_T9_mT8_P12ihipStream_tbDpT10_ENKUlT_T0_E_clISt17integral_constantIbLb1EES1A_IbLb0EEEEDaS16_S17_EUlS16_E_NS1_11comp_targetILNS1_3genE8ELNS1_11target_archE1030ELNS1_3gpuE2ELNS1_3repE0EEENS1_30default_config_static_selectorELNS0_4arch9wavefront6targetE1EEEvT1_
	.globl	_ZN7rocprim17ROCPRIM_400000_NS6detail17trampoline_kernelINS0_14default_configENS1_25partition_config_selectorILNS1_17partition_subalgoE1EiNS0_10empty_typeEbEEZZNS1_14partition_implILS5_1ELb0ES3_jN6thrust23THRUST_200600_302600_NS6detail15normal_iteratorINSA_10device_ptrIiEEEEPS6_NSA_18transform_iteratorI7is_evenIiESF_NSA_11use_defaultESK_EENS0_5tupleIJNSA_16discard_iteratorISK_EESO_EEENSM_IJSG_SG_EEES6_PlJS6_EEE10hipError_tPvRmT3_T4_T5_T6_T7_T9_mT8_P12ihipStream_tbDpT10_ENKUlT_T0_E_clISt17integral_constantIbLb1EES1A_IbLb0EEEEDaS16_S17_EUlS16_E_NS1_11comp_targetILNS1_3genE8ELNS1_11target_archE1030ELNS1_3gpuE2ELNS1_3repE0EEENS1_30default_config_static_selectorELNS0_4arch9wavefront6targetE1EEEvT1_
	.p2align	8
	.type	_ZN7rocprim17ROCPRIM_400000_NS6detail17trampoline_kernelINS0_14default_configENS1_25partition_config_selectorILNS1_17partition_subalgoE1EiNS0_10empty_typeEbEEZZNS1_14partition_implILS5_1ELb0ES3_jN6thrust23THRUST_200600_302600_NS6detail15normal_iteratorINSA_10device_ptrIiEEEEPS6_NSA_18transform_iteratorI7is_evenIiESF_NSA_11use_defaultESK_EENS0_5tupleIJNSA_16discard_iteratorISK_EESO_EEENSM_IJSG_SG_EEES6_PlJS6_EEE10hipError_tPvRmT3_T4_T5_T6_T7_T9_mT8_P12ihipStream_tbDpT10_ENKUlT_T0_E_clISt17integral_constantIbLb1EES1A_IbLb0EEEEDaS16_S17_EUlS16_E_NS1_11comp_targetILNS1_3genE8ELNS1_11target_archE1030ELNS1_3gpuE2ELNS1_3repE0EEENS1_30default_config_static_selectorELNS0_4arch9wavefront6targetE1EEEvT1_,@function
_ZN7rocprim17ROCPRIM_400000_NS6detail17trampoline_kernelINS0_14default_configENS1_25partition_config_selectorILNS1_17partition_subalgoE1EiNS0_10empty_typeEbEEZZNS1_14partition_implILS5_1ELb0ES3_jN6thrust23THRUST_200600_302600_NS6detail15normal_iteratorINSA_10device_ptrIiEEEEPS6_NSA_18transform_iteratorI7is_evenIiESF_NSA_11use_defaultESK_EENS0_5tupleIJNSA_16discard_iteratorISK_EESO_EEENSM_IJSG_SG_EEES6_PlJS6_EEE10hipError_tPvRmT3_T4_T5_T6_T7_T9_mT8_P12ihipStream_tbDpT10_ENKUlT_T0_E_clISt17integral_constantIbLb1EES1A_IbLb0EEEEDaS16_S17_EUlS16_E_NS1_11comp_targetILNS1_3genE8ELNS1_11target_archE1030ELNS1_3gpuE2ELNS1_3repE0EEENS1_30default_config_static_selectorELNS0_4arch9wavefront6targetE1EEEvT1_: ; @_ZN7rocprim17ROCPRIM_400000_NS6detail17trampoline_kernelINS0_14default_configENS1_25partition_config_selectorILNS1_17partition_subalgoE1EiNS0_10empty_typeEbEEZZNS1_14partition_implILS5_1ELb0ES3_jN6thrust23THRUST_200600_302600_NS6detail15normal_iteratorINSA_10device_ptrIiEEEEPS6_NSA_18transform_iteratorI7is_evenIiESF_NSA_11use_defaultESK_EENS0_5tupleIJNSA_16discard_iteratorISK_EESO_EEENSM_IJSG_SG_EEES6_PlJS6_EEE10hipError_tPvRmT3_T4_T5_T6_T7_T9_mT8_P12ihipStream_tbDpT10_ENKUlT_T0_E_clISt17integral_constantIbLb1EES1A_IbLb0EEEEDaS16_S17_EUlS16_E_NS1_11comp_targetILNS1_3genE8ELNS1_11target_archE1030ELNS1_3gpuE2ELNS1_3repE0EEENS1_30default_config_static_selectorELNS0_4arch9wavefront6targetE1EEEvT1_
; %bb.0:
	.section	.rodata,"a",@progbits
	.p2align	6, 0x0
	.amdhsa_kernel _ZN7rocprim17ROCPRIM_400000_NS6detail17trampoline_kernelINS0_14default_configENS1_25partition_config_selectorILNS1_17partition_subalgoE1EiNS0_10empty_typeEbEEZZNS1_14partition_implILS5_1ELb0ES3_jN6thrust23THRUST_200600_302600_NS6detail15normal_iteratorINSA_10device_ptrIiEEEEPS6_NSA_18transform_iteratorI7is_evenIiESF_NSA_11use_defaultESK_EENS0_5tupleIJNSA_16discard_iteratorISK_EESO_EEENSM_IJSG_SG_EEES6_PlJS6_EEE10hipError_tPvRmT3_T4_T5_T6_T7_T9_mT8_P12ihipStream_tbDpT10_ENKUlT_T0_E_clISt17integral_constantIbLb1EES1A_IbLb0EEEEDaS16_S17_EUlS16_E_NS1_11comp_targetILNS1_3genE8ELNS1_11target_archE1030ELNS1_3gpuE2ELNS1_3repE0EEENS1_30default_config_static_selectorELNS0_4arch9wavefront6targetE1EEEvT1_
		.amdhsa_group_segment_fixed_size 0
		.amdhsa_private_segment_fixed_size 0
		.amdhsa_kernarg_size 144
		.amdhsa_user_sgpr_count 2
		.amdhsa_user_sgpr_dispatch_ptr 0
		.amdhsa_user_sgpr_queue_ptr 0
		.amdhsa_user_sgpr_kernarg_segment_ptr 1
		.amdhsa_user_sgpr_dispatch_id 0
		.amdhsa_user_sgpr_kernarg_preload_length 0
		.amdhsa_user_sgpr_kernarg_preload_offset 0
		.amdhsa_user_sgpr_private_segment_size 0
		.amdhsa_uses_dynamic_stack 0
		.amdhsa_enable_private_segment 0
		.amdhsa_system_sgpr_workgroup_id_x 1
		.amdhsa_system_sgpr_workgroup_id_y 0
		.amdhsa_system_sgpr_workgroup_id_z 0
		.amdhsa_system_sgpr_workgroup_info 0
		.amdhsa_system_vgpr_workitem_id 0
		.amdhsa_next_free_vgpr 1
		.amdhsa_next_free_sgpr 0
		.amdhsa_accum_offset 4
		.amdhsa_reserve_vcc 0
		.amdhsa_float_round_mode_32 0
		.amdhsa_float_round_mode_16_64 0
		.amdhsa_float_denorm_mode_32 3
		.amdhsa_float_denorm_mode_16_64 3
		.amdhsa_dx10_clamp 1
		.amdhsa_ieee_mode 1
		.amdhsa_fp16_overflow 0
		.amdhsa_tg_split 0
		.amdhsa_exception_fp_ieee_invalid_op 0
		.amdhsa_exception_fp_denorm_src 0
		.amdhsa_exception_fp_ieee_div_zero 0
		.amdhsa_exception_fp_ieee_overflow 0
		.amdhsa_exception_fp_ieee_underflow 0
		.amdhsa_exception_fp_ieee_inexact 0
		.amdhsa_exception_int_div_zero 0
	.end_amdhsa_kernel
	.section	.text._ZN7rocprim17ROCPRIM_400000_NS6detail17trampoline_kernelINS0_14default_configENS1_25partition_config_selectorILNS1_17partition_subalgoE1EiNS0_10empty_typeEbEEZZNS1_14partition_implILS5_1ELb0ES3_jN6thrust23THRUST_200600_302600_NS6detail15normal_iteratorINSA_10device_ptrIiEEEEPS6_NSA_18transform_iteratorI7is_evenIiESF_NSA_11use_defaultESK_EENS0_5tupleIJNSA_16discard_iteratorISK_EESO_EEENSM_IJSG_SG_EEES6_PlJS6_EEE10hipError_tPvRmT3_T4_T5_T6_T7_T9_mT8_P12ihipStream_tbDpT10_ENKUlT_T0_E_clISt17integral_constantIbLb1EES1A_IbLb0EEEEDaS16_S17_EUlS16_E_NS1_11comp_targetILNS1_3genE8ELNS1_11target_archE1030ELNS1_3gpuE2ELNS1_3repE0EEENS1_30default_config_static_selectorELNS0_4arch9wavefront6targetE1EEEvT1_,"axG",@progbits,_ZN7rocprim17ROCPRIM_400000_NS6detail17trampoline_kernelINS0_14default_configENS1_25partition_config_selectorILNS1_17partition_subalgoE1EiNS0_10empty_typeEbEEZZNS1_14partition_implILS5_1ELb0ES3_jN6thrust23THRUST_200600_302600_NS6detail15normal_iteratorINSA_10device_ptrIiEEEEPS6_NSA_18transform_iteratorI7is_evenIiESF_NSA_11use_defaultESK_EENS0_5tupleIJNSA_16discard_iteratorISK_EESO_EEENSM_IJSG_SG_EEES6_PlJS6_EEE10hipError_tPvRmT3_T4_T5_T6_T7_T9_mT8_P12ihipStream_tbDpT10_ENKUlT_T0_E_clISt17integral_constantIbLb1EES1A_IbLb0EEEEDaS16_S17_EUlS16_E_NS1_11comp_targetILNS1_3genE8ELNS1_11target_archE1030ELNS1_3gpuE2ELNS1_3repE0EEENS1_30default_config_static_selectorELNS0_4arch9wavefront6targetE1EEEvT1_,comdat
.Lfunc_end3282:
	.size	_ZN7rocprim17ROCPRIM_400000_NS6detail17trampoline_kernelINS0_14default_configENS1_25partition_config_selectorILNS1_17partition_subalgoE1EiNS0_10empty_typeEbEEZZNS1_14partition_implILS5_1ELb0ES3_jN6thrust23THRUST_200600_302600_NS6detail15normal_iteratorINSA_10device_ptrIiEEEEPS6_NSA_18transform_iteratorI7is_evenIiESF_NSA_11use_defaultESK_EENS0_5tupleIJNSA_16discard_iteratorISK_EESO_EEENSM_IJSG_SG_EEES6_PlJS6_EEE10hipError_tPvRmT3_T4_T5_T6_T7_T9_mT8_P12ihipStream_tbDpT10_ENKUlT_T0_E_clISt17integral_constantIbLb1EES1A_IbLb0EEEEDaS16_S17_EUlS16_E_NS1_11comp_targetILNS1_3genE8ELNS1_11target_archE1030ELNS1_3gpuE2ELNS1_3repE0EEENS1_30default_config_static_selectorELNS0_4arch9wavefront6targetE1EEEvT1_, .Lfunc_end3282-_ZN7rocprim17ROCPRIM_400000_NS6detail17trampoline_kernelINS0_14default_configENS1_25partition_config_selectorILNS1_17partition_subalgoE1EiNS0_10empty_typeEbEEZZNS1_14partition_implILS5_1ELb0ES3_jN6thrust23THRUST_200600_302600_NS6detail15normal_iteratorINSA_10device_ptrIiEEEEPS6_NSA_18transform_iteratorI7is_evenIiESF_NSA_11use_defaultESK_EENS0_5tupleIJNSA_16discard_iteratorISK_EESO_EEENSM_IJSG_SG_EEES6_PlJS6_EEE10hipError_tPvRmT3_T4_T5_T6_T7_T9_mT8_P12ihipStream_tbDpT10_ENKUlT_T0_E_clISt17integral_constantIbLb1EES1A_IbLb0EEEEDaS16_S17_EUlS16_E_NS1_11comp_targetILNS1_3genE8ELNS1_11target_archE1030ELNS1_3gpuE2ELNS1_3repE0EEENS1_30default_config_static_selectorELNS0_4arch9wavefront6targetE1EEEvT1_
                                        ; -- End function
	.section	.AMDGPU.csdata,"",@progbits
; Kernel info:
; codeLenInByte = 0
; NumSgprs: 6
; NumVgprs: 0
; NumAgprs: 0
; TotalNumVgprs: 0
; ScratchSize: 0
; MemoryBound: 0
; FloatMode: 240
; IeeeMode: 1
; LDSByteSize: 0 bytes/workgroup (compile time only)
; SGPRBlocks: 0
; VGPRBlocks: 0
; NumSGPRsForWavesPerEU: 6
; NumVGPRsForWavesPerEU: 1
; AccumOffset: 4
; Occupancy: 8
; WaveLimiterHint : 0
; COMPUTE_PGM_RSRC2:SCRATCH_EN: 0
; COMPUTE_PGM_RSRC2:USER_SGPR: 2
; COMPUTE_PGM_RSRC2:TRAP_HANDLER: 0
; COMPUTE_PGM_RSRC2:TGID_X_EN: 1
; COMPUTE_PGM_RSRC2:TGID_Y_EN: 0
; COMPUTE_PGM_RSRC2:TGID_Z_EN: 0
; COMPUTE_PGM_RSRC2:TIDIG_COMP_CNT: 0
; COMPUTE_PGM_RSRC3_GFX90A:ACCUM_OFFSET: 0
; COMPUTE_PGM_RSRC3_GFX90A:TG_SPLIT: 0
	.section	.text._ZN7rocprim17ROCPRIM_400000_NS6detail17trampoline_kernelINS0_14default_configENS1_25partition_config_selectorILNS1_17partition_subalgoE1EiNS0_10empty_typeEbEEZZNS1_14partition_implILS5_1ELb0ES3_jN6thrust23THRUST_200600_302600_NS6detail15normal_iteratorINSA_10device_ptrIiEEEEPS6_NSA_18transform_iteratorI7is_evenIiESF_NSA_11use_defaultESK_EENS0_5tupleIJNSA_16discard_iteratorISK_EESO_EEENSM_IJSG_SG_EEES6_PlJS6_EEE10hipError_tPvRmT3_T4_T5_T6_T7_T9_mT8_P12ihipStream_tbDpT10_ENKUlT_T0_E_clISt17integral_constantIbLb0EES1A_IbLb1EEEEDaS16_S17_EUlS16_E_NS1_11comp_targetILNS1_3genE0ELNS1_11target_archE4294967295ELNS1_3gpuE0ELNS1_3repE0EEENS1_30default_config_static_selectorELNS0_4arch9wavefront6targetE1EEEvT1_,"axG",@progbits,_ZN7rocprim17ROCPRIM_400000_NS6detail17trampoline_kernelINS0_14default_configENS1_25partition_config_selectorILNS1_17partition_subalgoE1EiNS0_10empty_typeEbEEZZNS1_14partition_implILS5_1ELb0ES3_jN6thrust23THRUST_200600_302600_NS6detail15normal_iteratorINSA_10device_ptrIiEEEEPS6_NSA_18transform_iteratorI7is_evenIiESF_NSA_11use_defaultESK_EENS0_5tupleIJNSA_16discard_iteratorISK_EESO_EEENSM_IJSG_SG_EEES6_PlJS6_EEE10hipError_tPvRmT3_T4_T5_T6_T7_T9_mT8_P12ihipStream_tbDpT10_ENKUlT_T0_E_clISt17integral_constantIbLb0EES1A_IbLb1EEEEDaS16_S17_EUlS16_E_NS1_11comp_targetILNS1_3genE0ELNS1_11target_archE4294967295ELNS1_3gpuE0ELNS1_3repE0EEENS1_30default_config_static_selectorELNS0_4arch9wavefront6targetE1EEEvT1_,comdat
	.protected	_ZN7rocprim17ROCPRIM_400000_NS6detail17trampoline_kernelINS0_14default_configENS1_25partition_config_selectorILNS1_17partition_subalgoE1EiNS0_10empty_typeEbEEZZNS1_14partition_implILS5_1ELb0ES3_jN6thrust23THRUST_200600_302600_NS6detail15normal_iteratorINSA_10device_ptrIiEEEEPS6_NSA_18transform_iteratorI7is_evenIiESF_NSA_11use_defaultESK_EENS0_5tupleIJNSA_16discard_iteratorISK_EESO_EEENSM_IJSG_SG_EEES6_PlJS6_EEE10hipError_tPvRmT3_T4_T5_T6_T7_T9_mT8_P12ihipStream_tbDpT10_ENKUlT_T0_E_clISt17integral_constantIbLb0EES1A_IbLb1EEEEDaS16_S17_EUlS16_E_NS1_11comp_targetILNS1_3genE0ELNS1_11target_archE4294967295ELNS1_3gpuE0ELNS1_3repE0EEENS1_30default_config_static_selectorELNS0_4arch9wavefront6targetE1EEEvT1_ ; -- Begin function _ZN7rocprim17ROCPRIM_400000_NS6detail17trampoline_kernelINS0_14default_configENS1_25partition_config_selectorILNS1_17partition_subalgoE1EiNS0_10empty_typeEbEEZZNS1_14partition_implILS5_1ELb0ES3_jN6thrust23THRUST_200600_302600_NS6detail15normal_iteratorINSA_10device_ptrIiEEEEPS6_NSA_18transform_iteratorI7is_evenIiESF_NSA_11use_defaultESK_EENS0_5tupleIJNSA_16discard_iteratorISK_EESO_EEENSM_IJSG_SG_EEES6_PlJS6_EEE10hipError_tPvRmT3_T4_T5_T6_T7_T9_mT8_P12ihipStream_tbDpT10_ENKUlT_T0_E_clISt17integral_constantIbLb0EES1A_IbLb1EEEEDaS16_S17_EUlS16_E_NS1_11comp_targetILNS1_3genE0ELNS1_11target_archE4294967295ELNS1_3gpuE0ELNS1_3repE0EEENS1_30default_config_static_selectorELNS0_4arch9wavefront6targetE1EEEvT1_
	.globl	_ZN7rocprim17ROCPRIM_400000_NS6detail17trampoline_kernelINS0_14default_configENS1_25partition_config_selectorILNS1_17partition_subalgoE1EiNS0_10empty_typeEbEEZZNS1_14partition_implILS5_1ELb0ES3_jN6thrust23THRUST_200600_302600_NS6detail15normal_iteratorINSA_10device_ptrIiEEEEPS6_NSA_18transform_iteratorI7is_evenIiESF_NSA_11use_defaultESK_EENS0_5tupleIJNSA_16discard_iteratorISK_EESO_EEENSM_IJSG_SG_EEES6_PlJS6_EEE10hipError_tPvRmT3_T4_T5_T6_T7_T9_mT8_P12ihipStream_tbDpT10_ENKUlT_T0_E_clISt17integral_constantIbLb0EES1A_IbLb1EEEEDaS16_S17_EUlS16_E_NS1_11comp_targetILNS1_3genE0ELNS1_11target_archE4294967295ELNS1_3gpuE0ELNS1_3repE0EEENS1_30default_config_static_selectorELNS0_4arch9wavefront6targetE1EEEvT1_
	.p2align	8
	.type	_ZN7rocprim17ROCPRIM_400000_NS6detail17trampoline_kernelINS0_14default_configENS1_25partition_config_selectorILNS1_17partition_subalgoE1EiNS0_10empty_typeEbEEZZNS1_14partition_implILS5_1ELb0ES3_jN6thrust23THRUST_200600_302600_NS6detail15normal_iteratorINSA_10device_ptrIiEEEEPS6_NSA_18transform_iteratorI7is_evenIiESF_NSA_11use_defaultESK_EENS0_5tupleIJNSA_16discard_iteratorISK_EESO_EEENSM_IJSG_SG_EEES6_PlJS6_EEE10hipError_tPvRmT3_T4_T5_T6_T7_T9_mT8_P12ihipStream_tbDpT10_ENKUlT_T0_E_clISt17integral_constantIbLb0EES1A_IbLb1EEEEDaS16_S17_EUlS16_E_NS1_11comp_targetILNS1_3genE0ELNS1_11target_archE4294967295ELNS1_3gpuE0ELNS1_3repE0EEENS1_30default_config_static_selectorELNS0_4arch9wavefront6targetE1EEEvT1_,@function
_ZN7rocprim17ROCPRIM_400000_NS6detail17trampoline_kernelINS0_14default_configENS1_25partition_config_selectorILNS1_17partition_subalgoE1EiNS0_10empty_typeEbEEZZNS1_14partition_implILS5_1ELb0ES3_jN6thrust23THRUST_200600_302600_NS6detail15normal_iteratorINSA_10device_ptrIiEEEEPS6_NSA_18transform_iteratorI7is_evenIiESF_NSA_11use_defaultESK_EENS0_5tupleIJNSA_16discard_iteratorISK_EESO_EEENSM_IJSG_SG_EEES6_PlJS6_EEE10hipError_tPvRmT3_T4_T5_T6_T7_T9_mT8_P12ihipStream_tbDpT10_ENKUlT_T0_E_clISt17integral_constantIbLb0EES1A_IbLb1EEEEDaS16_S17_EUlS16_E_NS1_11comp_targetILNS1_3genE0ELNS1_11target_archE4294967295ELNS1_3gpuE0ELNS1_3repE0EEENS1_30default_config_static_selectorELNS0_4arch9wavefront6targetE1EEEvT1_: ; @_ZN7rocprim17ROCPRIM_400000_NS6detail17trampoline_kernelINS0_14default_configENS1_25partition_config_selectorILNS1_17partition_subalgoE1EiNS0_10empty_typeEbEEZZNS1_14partition_implILS5_1ELb0ES3_jN6thrust23THRUST_200600_302600_NS6detail15normal_iteratorINSA_10device_ptrIiEEEEPS6_NSA_18transform_iteratorI7is_evenIiESF_NSA_11use_defaultESK_EENS0_5tupleIJNSA_16discard_iteratorISK_EESO_EEENSM_IJSG_SG_EEES6_PlJS6_EEE10hipError_tPvRmT3_T4_T5_T6_T7_T9_mT8_P12ihipStream_tbDpT10_ENKUlT_T0_E_clISt17integral_constantIbLb0EES1A_IbLb1EEEEDaS16_S17_EUlS16_E_NS1_11comp_targetILNS1_3genE0ELNS1_11target_archE4294967295ELNS1_3gpuE0ELNS1_3repE0EEENS1_30default_config_static_selectorELNS0_4arch9wavefront6targetE1EEEvT1_
; %bb.0:
	.section	.rodata,"a",@progbits
	.p2align	6, 0x0
	.amdhsa_kernel _ZN7rocprim17ROCPRIM_400000_NS6detail17trampoline_kernelINS0_14default_configENS1_25partition_config_selectorILNS1_17partition_subalgoE1EiNS0_10empty_typeEbEEZZNS1_14partition_implILS5_1ELb0ES3_jN6thrust23THRUST_200600_302600_NS6detail15normal_iteratorINSA_10device_ptrIiEEEEPS6_NSA_18transform_iteratorI7is_evenIiESF_NSA_11use_defaultESK_EENS0_5tupleIJNSA_16discard_iteratorISK_EESO_EEENSM_IJSG_SG_EEES6_PlJS6_EEE10hipError_tPvRmT3_T4_T5_T6_T7_T9_mT8_P12ihipStream_tbDpT10_ENKUlT_T0_E_clISt17integral_constantIbLb0EES1A_IbLb1EEEEDaS16_S17_EUlS16_E_NS1_11comp_targetILNS1_3genE0ELNS1_11target_archE4294967295ELNS1_3gpuE0ELNS1_3repE0EEENS1_30default_config_static_selectorELNS0_4arch9wavefront6targetE1EEEvT1_
		.amdhsa_group_segment_fixed_size 0
		.amdhsa_private_segment_fixed_size 0
		.amdhsa_kernarg_size 160
		.amdhsa_user_sgpr_count 2
		.amdhsa_user_sgpr_dispatch_ptr 0
		.amdhsa_user_sgpr_queue_ptr 0
		.amdhsa_user_sgpr_kernarg_segment_ptr 1
		.amdhsa_user_sgpr_dispatch_id 0
		.amdhsa_user_sgpr_kernarg_preload_length 0
		.amdhsa_user_sgpr_kernarg_preload_offset 0
		.amdhsa_user_sgpr_private_segment_size 0
		.amdhsa_uses_dynamic_stack 0
		.amdhsa_enable_private_segment 0
		.amdhsa_system_sgpr_workgroup_id_x 1
		.amdhsa_system_sgpr_workgroup_id_y 0
		.amdhsa_system_sgpr_workgroup_id_z 0
		.amdhsa_system_sgpr_workgroup_info 0
		.amdhsa_system_vgpr_workitem_id 0
		.amdhsa_next_free_vgpr 1
		.amdhsa_next_free_sgpr 0
		.amdhsa_accum_offset 4
		.amdhsa_reserve_vcc 0
		.amdhsa_float_round_mode_32 0
		.amdhsa_float_round_mode_16_64 0
		.amdhsa_float_denorm_mode_32 3
		.amdhsa_float_denorm_mode_16_64 3
		.amdhsa_dx10_clamp 1
		.amdhsa_ieee_mode 1
		.amdhsa_fp16_overflow 0
		.amdhsa_tg_split 0
		.amdhsa_exception_fp_ieee_invalid_op 0
		.amdhsa_exception_fp_denorm_src 0
		.amdhsa_exception_fp_ieee_div_zero 0
		.amdhsa_exception_fp_ieee_overflow 0
		.amdhsa_exception_fp_ieee_underflow 0
		.amdhsa_exception_fp_ieee_inexact 0
		.amdhsa_exception_int_div_zero 0
	.end_amdhsa_kernel
	.section	.text._ZN7rocprim17ROCPRIM_400000_NS6detail17trampoline_kernelINS0_14default_configENS1_25partition_config_selectorILNS1_17partition_subalgoE1EiNS0_10empty_typeEbEEZZNS1_14partition_implILS5_1ELb0ES3_jN6thrust23THRUST_200600_302600_NS6detail15normal_iteratorINSA_10device_ptrIiEEEEPS6_NSA_18transform_iteratorI7is_evenIiESF_NSA_11use_defaultESK_EENS0_5tupleIJNSA_16discard_iteratorISK_EESO_EEENSM_IJSG_SG_EEES6_PlJS6_EEE10hipError_tPvRmT3_T4_T5_T6_T7_T9_mT8_P12ihipStream_tbDpT10_ENKUlT_T0_E_clISt17integral_constantIbLb0EES1A_IbLb1EEEEDaS16_S17_EUlS16_E_NS1_11comp_targetILNS1_3genE0ELNS1_11target_archE4294967295ELNS1_3gpuE0ELNS1_3repE0EEENS1_30default_config_static_selectorELNS0_4arch9wavefront6targetE1EEEvT1_,"axG",@progbits,_ZN7rocprim17ROCPRIM_400000_NS6detail17trampoline_kernelINS0_14default_configENS1_25partition_config_selectorILNS1_17partition_subalgoE1EiNS0_10empty_typeEbEEZZNS1_14partition_implILS5_1ELb0ES3_jN6thrust23THRUST_200600_302600_NS6detail15normal_iteratorINSA_10device_ptrIiEEEEPS6_NSA_18transform_iteratorI7is_evenIiESF_NSA_11use_defaultESK_EENS0_5tupleIJNSA_16discard_iteratorISK_EESO_EEENSM_IJSG_SG_EEES6_PlJS6_EEE10hipError_tPvRmT3_T4_T5_T6_T7_T9_mT8_P12ihipStream_tbDpT10_ENKUlT_T0_E_clISt17integral_constantIbLb0EES1A_IbLb1EEEEDaS16_S17_EUlS16_E_NS1_11comp_targetILNS1_3genE0ELNS1_11target_archE4294967295ELNS1_3gpuE0ELNS1_3repE0EEENS1_30default_config_static_selectorELNS0_4arch9wavefront6targetE1EEEvT1_,comdat
.Lfunc_end3283:
	.size	_ZN7rocprim17ROCPRIM_400000_NS6detail17trampoline_kernelINS0_14default_configENS1_25partition_config_selectorILNS1_17partition_subalgoE1EiNS0_10empty_typeEbEEZZNS1_14partition_implILS5_1ELb0ES3_jN6thrust23THRUST_200600_302600_NS6detail15normal_iteratorINSA_10device_ptrIiEEEEPS6_NSA_18transform_iteratorI7is_evenIiESF_NSA_11use_defaultESK_EENS0_5tupleIJNSA_16discard_iteratorISK_EESO_EEENSM_IJSG_SG_EEES6_PlJS6_EEE10hipError_tPvRmT3_T4_T5_T6_T7_T9_mT8_P12ihipStream_tbDpT10_ENKUlT_T0_E_clISt17integral_constantIbLb0EES1A_IbLb1EEEEDaS16_S17_EUlS16_E_NS1_11comp_targetILNS1_3genE0ELNS1_11target_archE4294967295ELNS1_3gpuE0ELNS1_3repE0EEENS1_30default_config_static_selectorELNS0_4arch9wavefront6targetE1EEEvT1_, .Lfunc_end3283-_ZN7rocprim17ROCPRIM_400000_NS6detail17trampoline_kernelINS0_14default_configENS1_25partition_config_selectorILNS1_17partition_subalgoE1EiNS0_10empty_typeEbEEZZNS1_14partition_implILS5_1ELb0ES3_jN6thrust23THRUST_200600_302600_NS6detail15normal_iteratorINSA_10device_ptrIiEEEEPS6_NSA_18transform_iteratorI7is_evenIiESF_NSA_11use_defaultESK_EENS0_5tupleIJNSA_16discard_iteratorISK_EESO_EEENSM_IJSG_SG_EEES6_PlJS6_EEE10hipError_tPvRmT3_T4_T5_T6_T7_T9_mT8_P12ihipStream_tbDpT10_ENKUlT_T0_E_clISt17integral_constantIbLb0EES1A_IbLb1EEEEDaS16_S17_EUlS16_E_NS1_11comp_targetILNS1_3genE0ELNS1_11target_archE4294967295ELNS1_3gpuE0ELNS1_3repE0EEENS1_30default_config_static_selectorELNS0_4arch9wavefront6targetE1EEEvT1_
                                        ; -- End function
	.section	.AMDGPU.csdata,"",@progbits
; Kernel info:
; codeLenInByte = 0
; NumSgprs: 6
; NumVgprs: 0
; NumAgprs: 0
; TotalNumVgprs: 0
; ScratchSize: 0
; MemoryBound: 0
; FloatMode: 240
; IeeeMode: 1
; LDSByteSize: 0 bytes/workgroup (compile time only)
; SGPRBlocks: 0
; VGPRBlocks: 0
; NumSGPRsForWavesPerEU: 6
; NumVGPRsForWavesPerEU: 1
; AccumOffset: 4
; Occupancy: 8
; WaveLimiterHint : 0
; COMPUTE_PGM_RSRC2:SCRATCH_EN: 0
; COMPUTE_PGM_RSRC2:USER_SGPR: 2
; COMPUTE_PGM_RSRC2:TRAP_HANDLER: 0
; COMPUTE_PGM_RSRC2:TGID_X_EN: 1
; COMPUTE_PGM_RSRC2:TGID_Y_EN: 0
; COMPUTE_PGM_RSRC2:TGID_Z_EN: 0
; COMPUTE_PGM_RSRC2:TIDIG_COMP_CNT: 0
; COMPUTE_PGM_RSRC3_GFX90A:ACCUM_OFFSET: 0
; COMPUTE_PGM_RSRC3_GFX90A:TG_SPLIT: 0
	.section	.text._ZN7rocprim17ROCPRIM_400000_NS6detail17trampoline_kernelINS0_14default_configENS1_25partition_config_selectorILNS1_17partition_subalgoE1EiNS0_10empty_typeEbEEZZNS1_14partition_implILS5_1ELb0ES3_jN6thrust23THRUST_200600_302600_NS6detail15normal_iteratorINSA_10device_ptrIiEEEEPS6_NSA_18transform_iteratorI7is_evenIiESF_NSA_11use_defaultESK_EENS0_5tupleIJNSA_16discard_iteratorISK_EESO_EEENSM_IJSG_SG_EEES6_PlJS6_EEE10hipError_tPvRmT3_T4_T5_T6_T7_T9_mT8_P12ihipStream_tbDpT10_ENKUlT_T0_E_clISt17integral_constantIbLb0EES1A_IbLb1EEEEDaS16_S17_EUlS16_E_NS1_11comp_targetILNS1_3genE5ELNS1_11target_archE942ELNS1_3gpuE9ELNS1_3repE0EEENS1_30default_config_static_selectorELNS0_4arch9wavefront6targetE1EEEvT1_,"axG",@progbits,_ZN7rocprim17ROCPRIM_400000_NS6detail17trampoline_kernelINS0_14default_configENS1_25partition_config_selectorILNS1_17partition_subalgoE1EiNS0_10empty_typeEbEEZZNS1_14partition_implILS5_1ELb0ES3_jN6thrust23THRUST_200600_302600_NS6detail15normal_iteratorINSA_10device_ptrIiEEEEPS6_NSA_18transform_iteratorI7is_evenIiESF_NSA_11use_defaultESK_EENS0_5tupleIJNSA_16discard_iteratorISK_EESO_EEENSM_IJSG_SG_EEES6_PlJS6_EEE10hipError_tPvRmT3_T4_T5_T6_T7_T9_mT8_P12ihipStream_tbDpT10_ENKUlT_T0_E_clISt17integral_constantIbLb0EES1A_IbLb1EEEEDaS16_S17_EUlS16_E_NS1_11comp_targetILNS1_3genE5ELNS1_11target_archE942ELNS1_3gpuE9ELNS1_3repE0EEENS1_30default_config_static_selectorELNS0_4arch9wavefront6targetE1EEEvT1_,comdat
	.protected	_ZN7rocprim17ROCPRIM_400000_NS6detail17trampoline_kernelINS0_14default_configENS1_25partition_config_selectorILNS1_17partition_subalgoE1EiNS0_10empty_typeEbEEZZNS1_14partition_implILS5_1ELb0ES3_jN6thrust23THRUST_200600_302600_NS6detail15normal_iteratorINSA_10device_ptrIiEEEEPS6_NSA_18transform_iteratorI7is_evenIiESF_NSA_11use_defaultESK_EENS0_5tupleIJNSA_16discard_iteratorISK_EESO_EEENSM_IJSG_SG_EEES6_PlJS6_EEE10hipError_tPvRmT3_T4_T5_T6_T7_T9_mT8_P12ihipStream_tbDpT10_ENKUlT_T0_E_clISt17integral_constantIbLb0EES1A_IbLb1EEEEDaS16_S17_EUlS16_E_NS1_11comp_targetILNS1_3genE5ELNS1_11target_archE942ELNS1_3gpuE9ELNS1_3repE0EEENS1_30default_config_static_selectorELNS0_4arch9wavefront6targetE1EEEvT1_ ; -- Begin function _ZN7rocprim17ROCPRIM_400000_NS6detail17trampoline_kernelINS0_14default_configENS1_25partition_config_selectorILNS1_17partition_subalgoE1EiNS0_10empty_typeEbEEZZNS1_14partition_implILS5_1ELb0ES3_jN6thrust23THRUST_200600_302600_NS6detail15normal_iteratorINSA_10device_ptrIiEEEEPS6_NSA_18transform_iteratorI7is_evenIiESF_NSA_11use_defaultESK_EENS0_5tupleIJNSA_16discard_iteratorISK_EESO_EEENSM_IJSG_SG_EEES6_PlJS6_EEE10hipError_tPvRmT3_T4_T5_T6_T7_T9_mT8_P12ihipStream_tbDpT10_ENKUlT_T0_E_clISt17integral_constantIbLb0EES1A_IbLb1EEEEDaS16_S17_EUlS16_E_NS1_11comp_targetILNS1_3genE5ELNS1_11target_archE942ELNS1_3gpuE9ELNS1_3repE0EEENS1_30default_config_static_selectorELNS0_4arch9wavefront6targetE1EEEvT1_
	.globl	_ZN7rocprim17ROCPRIM_400000_NS6detail17trampoline_kernelINS0_14default_configENS1_25partition_config_selectorILNS1_17partition_subalgoE1EiNS0_10empty_typeEbEEZZNS1_14partition_implILS5_1ELb0ES3_jN6thrust23THRUST_200600_302600_NS6detail15normal_iteratorINSA_10device_ptrIiEEEEPS6_NSA_18transform_iteratorI7is_evenIiESF_NSA_11use_defaultESK_EENS0_5tupleIJNSA_16discard_iteratorISK_EESO_EEENSM_IJSG_SG_EEES6_PlJS6_EEE10hipError_tPvRmT3_T4_T5_T6_T7_T9_mT8_P12ihipStream_tbDpT10_ENKUlT_T0_E_clISt17integral_constantIbLb0EES1A_IbLb1EEEEDaS16_S17_EUlS16_E_NS1_11comp_targetILNS1_3genE5ELNS1_11target_archE942ELNS1_3gpuE9ELNS1_3repE0EEENS1_30default_config_static_selectorELNS0_4arch9wavefront6targetE1EEEvT1_
	.p2align	8
	.type	_ZN7rocprim17ROCPRIM_400000_NS6detail17trampoline_kernelINS0_14default_configENS1_25partition_config_selectorILNS1_17partition_subalgoE1EiNS0_10empty_typeEbEEZZNS1_14partition_implILS5_1ELb0ES3_jN6thrust23THRUST_200600_302600_NS6detail15normal_iteratorINSA_10device_ptrIiEEEEPS6_NSA_18transform_iteratorI7is_evenIiESF_NSA_11use_defaultESK_EENS0_5tupleIJNSA_16discard_iteratorISK_EESO_EEENSM_IJSG_SG_EEES6_PlJS6_EEE10hipError_tPvRmT3_T4_T5_T6_T7_T9_mT8_P12ihipStream_tbDpT10_ENKUlT_T0_E_clISt17integral_constantIbLb0EES1A_IbLb1EEEEDaS16_S17_EUlS16_E_NS1_11comp_targetILNS1_3genE5ELNS1_11target_archE942ELNS1_3gpuE9ELNS1_3repE0EEENS1_30default_config_static_selectorELNS0_4arch9wavefront6targetE1EEEvT1_,@function
_ZN7rocprim17ROCPRIM_400000_NS6detail17trampoline_kernelINS0_14default_configENS1_25partition_config_selectorILNS1_17partition_subalgoE1EiNS0_10empty_typeEbEEZZNS1_14partition_implILS5_1ELb0ES3_jN6thrust23THRUST_200600_302600_NS6detail15normal_iteratorINSA_10device_ptrIiEEEEPS6_NSA_18transform_iteratorI7is_evenIiESF_NSA_11use_defaultESK_EENS0_5tupleIJNSA_16discard_iteratorISK_EESO_EEENSM_IJSG_SG_EEES6_PlJS6_EEE10hipError_tPvRmT3_T4_T5_T6_T7_T9_mT8_P12ihipStream_tbDpT10_ENKUlT_T0_E_clISt17integral_constantIbLb0EES1A_IbLb1EEEEDaS16_S17_EUlS16_E_NS1_11comp_targetILNS1_3genE5ELNS1_11target_archE942ELNS1_3gpuE9ELNS1_3repE0EEENS1_30default_config_static_selectorELNS0_4arch9wavefront6targetE1EEEvT1_: ; @_ZN7rocprim17ROCPRIM_400000_NS6detail17trampoline_kernelINS0_14default_configENS1_25partition_config_selectorILNS1_17partition_subalgoE1EiNS0_10empty_typeEbEEZZNS1_14partition_implILS5_1ELb0ES3_jN6thrust23THRUST_200600_302600_NS6detail15normal_iteratorINSA_10device_ptrIiEEEEPS6_NSA_18transform_iteratorI7is_evenIiESF_NSA_11use_defaultESK_EENS0_5tupleIJNSA_16discard_iteratorISK_EESO_EEENSM_IJSG_SG_EEES6_PlJS6_EEE10hipError_tPvRmT3_T4_T5_T6_T7_T9_mT8_P12ihipStream_tbDpT10_ENKUlT_T0_E_clISt17integral_constantIbLb0EES1A_IbLb1EEEEDaS16_S17_EUlS16_E_NS1_11comp_targetILNS1_3genE5ELNS1_11target_archE942ELNS1_3gpuE9ELNS1_3repE0EEENS1_30default_config_static_selectorELNS0_4arch9wavefront6targetE1EEEvT1_
; %bb.0:
	s_load_dwordx2 s[2:3], s[0:1], 0x20
	s_load_dwordx4 s[20:23], s[0:1], 0x60
	s_load_dwordx2 s[10:11], s[0:1], 0x70
	s_load_dwordx2 s[24:25], s[0:1], 0x80
	v_cmp_eq_u32_e64 s[18:19], 0, v0
	s_and_saveexec_b64 s[4:5], s[18:19]
	s_cbranch_execz .LBB3284_4
; %bb.1:
	s_mov_b64 s[8:9], exec
	v_mbcnt_lo_u32_b32 v1, s8, 0
	v_mbcnt_hi_u32_b32 v1, s9, v1
	v_cmp_eq_u32_e32 vcc, 0, v1
                                        ; implicit-def: $vgpr2
	s_and_saveexec_b64 s[6:7], vcc
	s_cbranch_execz .LBB3284_3
; %bb.2:
	s_load_dwordx2 s[12:13], s[0:1], 0x90
	s_bcnt1_i32_b64 s8, s[8:9]
	v_mov_b32_e32 v2, 0
	v_mov_b32_e32 v3, s8
	s_waitcnt lgkmcnt(0)
	global_atomic_add v2, v2, v3, s[12:13] sc0
.LBB3284_3:
	s_or_b64 exec, exec, s[6:7]
	s_waitcnt vmcnt(0)
	v_readfirstlane_b32 s6, v2
	v_mov_b32_e32 v2, 0
	s_nop 0
	v_add_u32_e32 v1, s6, v1
	ds_write_b32 v2, v1
.LBB3284_4:
	s_or_b64 exec, exec, s[4:5]
	v_mov_b32_e32 v3, 0
	s_load_dwordx4 s[4:7], s[0:1], 0x8
	s_load_dword s12, s[0:1], 0x88
	s_waitcnt lgkmcnt(0)
	s_barrier
	ds_read_b32 v1, v3
	s_waitcnt lgkmcnt(0)
	s_barrier
	global_load_dwordx2 v[22:23], v3, s[22:23]
	s_lshl_b64 s[8:9], s[6:7], 2
	v_mov_b32_e32 v5, s11
	s_add_u32 s11, s4, s8
	s_mul_i32 s4, s12, 0x1e00
	s_addc_u32 s13, s5, s9
	s_add_i32 s1, s4, s6
	s_sub_i32 s14, s10, s1
	s_add_i32 s15, s12, -1
	s_addk_i32 s14, 0x1e00
	s_add_u32 s4, s6, s4
	v_readfirstlane_b32 s30, v1
	s_addc_u32 s5, s7, 0
	s_cmp_eq_u32 s30, s15
	v_mov_b32_e32 v4, s10
	s_cselect_b64 s[22:23], -1, 0
	s_cmp_lg_u32 s30, s15
	s_mul_i32 s0, s30, 0x1e00
	s_mov_b32 s1, 0
	v_cmp_lt_u64_e32 vcc, s[4:5], v[4:5]
	s_cselect_b64 s[4:5], -1, 0
	s_or_b64 s[4:5], vcc, s[4:5]
	s_lshl_b64 s[6:7], s[0:1], 2
	s_add_u32 s10, s11, s6
	s_addc_u32 s11, s13, s7
	s_mov_b64 s[0:1], -1
	s_and_b64 vcc, exec, s[4:5]
	s_cbranch_vccz .LBB3284_6
; %bb.5:
	v_lshlrev_b32_e32 v2, 2, v0
	v_lshl_add_u64 v[4:5], s[10:11], 0, v[2:3]
	v_add_co_u32_e32 v6, vcc, 0x1000, v4
	s_mov_b64 s[0:1], 0
	s_nop 0
	v_addc_co_u32_e32 v7, vcc, 0, v5, vcc
	v_add_co_u32_e32 v8, vcc, 0x2000, v4
	s_nop 1
	v_addc_co_u32_e32 v9, vcc, 0, v5, vcc
	v_add_co_u32_e32 v10, vcc, 0x3000, v4
	s_nop 1
	v_addc_co_u32_e32 v11, vcc, 0, v5, vcc
	flat_load_dword v1, v[4:5]
	flat_load_dword v3, v[4:5] offset:2048
	flat_load_dword v12, v[6:7]
	flat_load_dword v13, v[6:7] offset:2048
	;; [unrolled: 2-line block ×4, first 2 shown]
	v_add_co_u32_e32 v6, vcc, 0x4000, v4
	s_nop 1
	v_addc_co_u32_e32 v7, vcc, 0, v5, vcc
	v_add_co_u32_e32 v8, vcc, 0x5000, v4
	s_nop 1
	v_addc_co_u32_e32 v9, vcc, 0, v5, vcc
	v_add_co_u32_e32 v10, vcc, 0x6000, v4
	s_nop 1
	v_addc_co_u32_e32 v11, vcc, 0, v5, vcc
	v_add_co_u32_e32 v4, vcc, 0x7000, v4
	s_nop 1
	v_addc_co_u32_e32 v5, vcc, 0, v5, vcc
	flat_load_dword v18, v[6:7]
	flat_load_dword v19, v[6:7] offset:2048
	flat_load_dword v20, v[8:9]
	flat_load_dword v21, v[8:9] offset:2048
	;; [unrolled: 2-line block ×3, first 2 shown]
	flat_load_dword v26, v[4:5]
	s_waitcnt vmcnt(0) lgkmcnt(0)
	ds_write2st64_b32 v2, v1, v3 offset1:8
	ds_write2st64_b32 v2, v12, v13 offset0:16 offset1:24
	ds_write2st64_b32 v2, v14, v15 offset0:32 offset1:40
	;; [unrolled: 1-line block ×6, first 2 shown]
	ds_write_b32 v2, v26 offset:28672
	s_waitcnt lgkmcnt(0)
	s_barrier
.LBB3284_6:
	s_andn2_b64 vcc, exec, s[0:1]
	v_cmp_gt_u32_e64 s[0:1], s14, v0
	s_cbranch_vccnz .LBB3284_38
; %bb.7:
                                        ; implicit-def: $vgpr2_vgpr3_vgpr4_vgpr5_vgpr6_vgpr7_vgpr8_vgpr9_vgpr10_vgpr11_vgpr12_vgpr13_vgpr14_vgpr15_vgpr16_vgpr17
	s_and_saveexec_b64 s[12:13], s[0:1]
	s_cbranch_execz .LBB3284_9
; %bb.8:
	v_lshlrev_b32_e32 v2, 2, v0
	v_mov_b32_e32 v3, 0
	v_lshl_add_u64 v[2:3], s[10:11], 0, v[2:3]
	flat_load_dword v2, v[2:3]
.LBB3284_9:
	s_or_b64 exec, exec, s[12:13]
	v_or_b32_e32 v1, 0x200, v0
	v_cmp_gt_u32_e32 vcc, s14, v1
	s_and_saveexec_b64 s[0:1], vcc
	s_cbranch_execz .LBB3284_11
; %bb.10:
	v_lshlrev_b32_e32 v18, 2, v0
	v_mov_b32_e32 v19, 0
	v_lshl_add_u64 v[18:19], s[10:11], 0, v[18:19]
	flat_load_dword v3, v[18:19] offset:2048
.LBB3284_11:
	s_or_b64 exec, exec, s[0:1]
	v_or_b32_e32 v1, 0x400, v0
	v_cmp_gt_u32_e32 vcc, s14, v1
	s_and_saveexec_b64 s[0:1], vcc
	s_cbranch_execz .LBB3284_13
; %bb.12:
	v_lshlrev_b32_e32 v18, 2, v1
	v_mov_b32_e32 v19, 0
	v_lshl_add_u64 v[18:19], s[10:11], 0, v[18:19]
	flat_load_dword v4, v[18:19]
.LBB3284_13:
	s_or_b64 exec, exec, s[0:1]
	v_or_b32_e32 v1, 0x600, v0
	v_cmp_gt_u32_e32 vcc, s14, v1
	s_and_saveexec_b64 s[0:1], vcc
	s_cbranch_execz .LBB3284_15
; %bb.14:
	v_lshlrev_b32_e32 v18, 2, v1
	v_mov_b32_e32 v19, 0
	v_lshl_add_u64 v[18:19], s[10:11], 0, v[18:19]
	flat_load_dword v5, v[18:19]
.LBB3284_15:
	;; [unrolled: 11-line block ×13, first 2 shown]
	s_or_b64 exec, exec, s[0:1]
	v_lshlrev_b32_e32 v1, 2, v0
	s_waitcnt vmcnt(0) lgkmcnt(0)
	ds_write2st64_b32 v1, v2, v3 offset1:8
	ds_write2st64_b32 v1, v4, v5 offset0:16 offset1:24
	ds_write2st64_b32 v1, v6, v7 offset0:32 offset1:40
	;; [unrolled: 1-line block ×6, first 2 shown]
	ds_write_b32 v1, v16 offset:28672
	s_waitcnt lgkmcnt(0)
	s_barrier
.LBB3284_38:
	v_mul_u32_u24_e32 v21, 15, v0
	v_lshlrev_b32_e32 v1, 2, v21
	ds_read2_b32 v[36:37], v1 offset1:1
	ds_read2_b32 v[34:35], v1 offset0:2 offset1:3
	ds_read2_b32 v[32:33], v1 offset0:4 offset1:5
	;; [unrolled: 1-line block ×6, first 2 shown]
	ds_read_b32 v1, v1 offset:56
	s_add_u32 s0, s2, s8
	s_addc_u32 s1, s3, s9
	s_add_u32 s0, s0, s6
	s_addc_u32 s1, s1, s7
	s_mov_b64 s[2:3], -1
	s_and_b64 vcc, exec, s[4:5]
	s_waitcnt lgkmcnt(0)
	s_barrier
	s_cbranch_vccz .LBB3284_40
; %bb.39:
	v_lshlrev_b32_e32 v2, 2, v0
	v_mov_b32_e32 v3, 0
	v_lshl_add_u64 v[4:5], s[0:1], 0, v[2:3]
	global_load_dword v8, v2, s[0:1]
	global_load_dword v9, v2, s[0:1] offset:2048
	v_add_co_u32_e32 v2, vcc, 0x1000, v4
	s_mov_b64 s[2:3], 0
	s_nop 0
	v_addc_co_u32_e32 v3, vcc, 0, v5, vcc
	v_add_co_u32_e32 v6, vcc, 0x2000, v4
	s_nop 1
	v_addc_co_u32_e32 v7, vcc, 0, v5, vcc
	global_load_dword v10, v[2:3], off
	global_load_dword v11, v[2:3], off offset:2048
	global_load_dword v12, v[6:7], off
	global_load_dword v13, v[6:7], off offset:2048
	v_add_co_u32_e32 v2, vcc, 0x3000, v4
	s_nop 1
	v_addc_co_u32_e32 v3, vcc, 0, v5, vcc
	v_add_co_u32_e32 v6, vcc, 0x4000, v4
	s_nop 1
	v_addc_co_u32_e32 v7, vcc, 0, v5, vcc
	global_load_dword v14, v[2:3], off
	global_load_dword v15, v[2:3], off offset:2048
	global_load_dword v16, v[6:7], off
	global_load_dword v17, v[6:7], off offset:2048
	v_add_co_u32_e32 v2, vcc, 0x5000, v4
	s_nop 1
	v_addc_co_u32_e32 v3, vcc, 0, v5, vcc
	global_load_dword v6, v[2:3], off
	global_load_dword v7, v[2:3], off offset:2048
	v_add_co_u32_e32 v2, vcc, 0x6000, v4
	s_waitcnt vmcnt(1)
	v_xor_b32_e32 v6, -1, v6
	v_addc_co_u32_e32 v3, vcc, 0, v5, vcc
	global_load_dword v18, v[2:3], off
	global_load_dword v19, v[2:3], off offset:2048
	v_add_co_u32_e32 v2, vcc, 0x7000, v4
	v_xor_b32_e32 v4, -1, v9
	s_nop 0
	v_addc_co_u32_e32 v3, vcc, 0, v5, vcc
	global_load_dword v2, v[2:3], off
	v_xor_b32_e32 v3, -1, v8
	v_and_b32_e32 v3, 1, v3
	v_and_b32_e32 v4, 1, v4
	ds_write_b8 v0, v3
	ds_write_b8 v0, v4 offset:512
	v_xor_b32_e32 v3, -1, v10
	v_xor_b32_e32 v4, -1, v11
	v_and_b32_e32 v3, 1, v3
	v_and_b32_e32 v4, 1, v4
	v_xor_b32_e32 v5, -1, v12
	v_xor_b32_e32 v8, -1, v13
	;; [unrolled: 1-line block ×4, first 2 shown]
	v_and_b32_e32 v5, 1, v5
	v_and_b32_e32 v8, 1, v8
	ds_write_b8 v0, v3 offset:1024
	ds_write_b8 v0, v4 offset:1536
	v_and_b32_e32 v3, 1, v9
	v_and_b32_e32 v4, 1, v10
	v_xor_b32_e32 v9, -1, v16
	v_xor_b32_e32 v10, -1, v17
	s_waitcnt vmcnt(3)
	v_xor_b32_e32 v7, -1, v7
	ds_write_b8 v0, v5 offset:2048
	ds_write_b8 v0, v8 offset:2560
	v_and_b32_e32 v5, 1, v9
	v_and_b32_e32 v8, 1, v10
	ds_write_b8 v0, v3 offset:3072
	ds_write_b8 v0, v4 offset:3584
	v_and_b32_e32 v3, 1, v6
	v_and_b32_e32 v4, 1, v7
	ds_write_b8 v0, v5 offset:4096
	s_waitcnt vmcnt(2)
	v_xor_b32_e32 v6, -1, v18
	s_waitcnt vmcnt(1)
	v_xor_b32_e32 v7, -1, v19
	v_and_b32_e32 v5, 1, v6
	v_and_b32_e32 v6, 1, v7
	s_waitcnt vmcnt(0)
	v_xor_b32_e32 v2, -1, v2
	v_and_b32_e32 v2, 1, v2
	ds_write_b8 v0, v8 offset:4608
	ds_write_b8 v0, v3 offset:5120
	;; [unrolled: 1-line block ×6, first 2 shown]
	s_waitcnt lgkmcnt(0)
	s_barrier
.LBB3284_40:
	s_andn2_b64 vcc, exec, s[2:3]
	s_cbranch_vccnz .LBB3284_72
; %bb.41:
	v_cmp_gt_u32_e32 vcc, s14, v0
	v_mov_b32_e32 v2, 0
	v_mov_b32_e32 v3, 0
	s_and_saveexec_b64 s[2:3], vcc
	s_cbranch_execz .LBB3284_43
; %bb.42:
	v_lshlrev_b32_e32 v3, 2, v0
	global_load_dword v3, v3, s[0:1]
	s_waitcnt vmcnt(0)
	v_xor_b32_e32 v3, -1, v3
	v_and_b32_e32 v3, 1, v3
.LBB3284_43:
	s_or_b64 exec, exec, s[2:3]
	v_or_b32_e32 v4, 0x200, v0
	v_cmp_gt_u32_e32 vcc, s14, v4
	s_and_saveexec_b64 s[2:3], vcc
	s_cbranch_execz .LBB3284_45
; %bb.44:
	v_lshlrev_b32_e32 v2, 2, v0
	global_load_dword v2, v2, s[0:1] offset:2048
	s_waitcnt vmcnt(0)
	v_xor_b32_e32 v2, -1, v2
	v_and_b32_e32 v2, 1, v2
.LBB3284_45:
	s_or_b64 exec, exec, s[2:3]
	v_or_b32_e32 v6, 0x400, v0
	v_cmp_gt_u32_e32 vcc, s14, v6
	v_mov_b32_e32 v4, 0
	v_mov_b32_e32 v5, 0
	s_and_saveexec_b64 s[2:3], vcc
	s_cbranch_execz .LBB3284_47
; %bb.46:
	v_lshlrev_b32_e32 v5, 2, v6
	global_load_dword v5, v5, s[0:1]
	s_waitcnt vmcnt(0)
	v_xor_b32_e32 v5, -1, v5
	v_and_b32_e32 v5, 1, v5
.LBB3284_47:
	s_or_b64 exec, exec, s[2:3]
	v_or_b32_e32 v6, 0x600, v0
	v_cmp_gt_u32_e32 vcc, s14, v6
	s_and_saveexec_b64 s[2:3], vcc
	s_cbranch_execz .LBB3284_49
; %bb.48:
	v_lshlrev_b32_e32 v4, 2, v6
	global_load_dword v4, v4, s[0:1]
	s_waitcnt vmcnt(0)
	v_xor_b32_e32 v4, -1, v4
	v_and_b32_e32 v4, 1, v4
.LBB3284_49:
	s_or_b64 exec, exec, s[2:3]
	v_or_b32_e32 v8, 0x800, v0
	v_cmp_gt_u32_e32 vcc, s14, v8
	v_mov_b32_e32 v6, 0
	v_mov_b32_e32 v7, 0
	s_and_saveexec_b64 s[2:3], vcc
	s_cbranch_execz .LBB3284_51
; %bb.50:
	v_lshlrev_b32_e32 v7, 2, v8
	global_load_dword v7, v7, s[0:1]
	s_waitcnt vmcnt(0)
	v_xor_b32_e32 v7, -1, v7
	v_and_b32_e32 v7, 1, v7
.LBB3284_51:
	s_or_b64 exec, exec, s[2:3]
	v_or_b32_e32 v8, 0xa00, v0
	v_cmp_gt_u32_e32 vcc, s14, v8
	s_and_saveexec_b64 s[2:3], vcc
	s_cbranch_execz .LBB3284_53
; %bb.52:
	v_lshlrev_b32_e32 v6, 2, v8
	global_load_dword v6, v6, s[0:1]
	s_waitcnt vmcnt(0)
	v_xor_b32_e32 v6, -1, v6
	v_and_b32_e32 v6, 1, v6
.LBB3284_53:
	;; [unrolled: 26-line block ×6, first 2 shown]
	s_or_b64 exec, exec, s[2:3]
	v_or_b32_e32 v17, 0x1c00, v0
	v_cmp_gt_u32_e32 vcc, s14, v17
	v_mov_b32_e32 v16, 0
	s_and_saveexec_b64 s[2:3], vcc
	s_cbranch_execz .LBB3284_71
; %bb.70:
	v_lshlrev_b32_e32 v16, 2, v17
	global_load_dword v16, v16, s[0:1]
	s_waitcnt vmcnt(0)
	v_xor_b32_e32 v16, -1, v16
	v_and_b32_e32 v16, 1, v16
.LBB3284_71:
	s_or_b64 exec, exec, s[2:3]
	ds_write_b8 v0, v3
	ds_write_b8 v0, v2 offset:512
	ds_write_b8 v0, v5 offset:1024
	;; [unrolled: 1-line block ×14, first 2 shown]
	s_waitcnt lgkmcnt(0)
	s_barrier
.LBB3284_72:
	ds_read_b96 v[18:20], v21
	ds_read_u8 v2, v21 offset:12
	ds_read_u8 v3, v21 offset:13
	;; [unrolled: 1-line block ×3, first 2 shown]
	s_cmp_lg_u32 s30, 0
	v_lshrrev_b32_e32 v56, 6, v0
	s_waitcnt lgkmcnt(2)
	v_and_b32_e32 v43, 1, v2
	v_and_b32_e32 v52, 0xff, v18
	v_bfe_u32 v53, v18, 8, 8
	v_bfe_u32 v54, v18, 16, 8
	v_lshrrev_b32_e32 v45, 24, v18
	v_and_b32_e32 v49, 0xff, v19
	v_add3_u32 v2, v53, v52, v54
	v_bfe_u32 v50, v19, 8, 8
	v_bfe_u32 v51, v19, 16, 8
	v_add3_u32 v2, v2, v45, v49
	v_lshrrev_b32_e32 v44, 24, v19
	v_and_b32_e32 v46, 0xff, v20
	v_add3_u32 v2, v2, v50, v51
	v_bfe_u32 v47, v20, 8, 8
	v_bfe_u32 v48, v20, 16, 8
	v_add3_u32 v2, v2, v44, v46
	v_lshrrev_b32_e32 v42, 24, v20
	v_add3_u32 v2, v2, v47, v48
	s_waitcnt lgkmcnt(1)
	v_and_b32_e32 v41, 1, v3
	s_waitcnt lgkmcnt(0)
	v_and_b32_e32 v40, 1, v4
	v_add3_u32 v2, v2, v42, v43
	v_add3_u32 v57, v2, v41, v40
	v_mbcnt_lo_u32_b32 v2, -1, 0
	v_mbcnt_hi_u32_b32 v55, -1, v2
	v_and_b32_e32 v2, 15, v55
	v_cmp_eq_u32_e64 s[14:15], 0, v2
	v_cmp_lt_u32_e64 s[12:13], 1, v2
	v_cmp_lt_u32_e64 s[10:11], 3, v2
	;; [unrolled: 1-line block ×3, first 2 shown]
	v_and_b32_e32 v2, 16, v55
	v_cmp_eq_u32_e64 s[6:7], 0, v2
	v_or_b32_e32 v2, 63, v0
	v_cmp_lt_u32_e64 s[2:3], 31, v55
	v_cmp_eq_u32_e64 s[4:5], v2, v0
	s_barrier
	s_cbranch_scc0 .LBB3284_99
; %bb.73:
	v_mov_b32_dpp v2, v57 row_shr:1 row_mask:0xf bank_mask:0xf
	v_cndmask_b32_e64 v2, v2, 0, s[14:15]
	v_add_u32_e32 v2, v2, v57
	s_nop 1
	v_mov_b32_dpp v3, v2 row_shr:2 row_mask:0xf bank_mask:0xf
	v_cndmask_b32_e64 v3, 0, v3, s[12:13]
	v_add_u32_e32 v2, v2, v3
	s_nop 1
	;; [unrolled: 4-line block ×4, first 2 shown]
	v_mov_b32_dpp v3, v2 row_bcast:15 row_mask:0xf bank_mask:0xf
	v_cndmask_b32_e64 v3, v3, 0, s[6:7]
	v_add_u32_e32 v2, v2, v3
	s_nop 1
	v_mov_b32_dpp v3, v2 row_bcast:31 row_mask:0xf bank_mask:0xf
	v_cndmask_b32_e64 v3, 0, v3, s[2:3]
	v_add_u32_e32 v2, v2, v3
	s_and_saveexec_b64 s[0:1], s[4:5]
	s_cbranch_execz .LBB3284_75
; %bb.74:
	v_lshlrev_b32_e32 v3, 2, v56
	ds_write_b32 v3, v2
.LBB3284_75:
	s_or_b64 exec, exec, s[0:1]
	v_cmp_gt_u32_e32 vcc, 8, v0
	s_waitcnt lgkmcnt(0)
	s_barrier
	s_and_saveexec_b64 s[0:1], vcc
	s_cbranch_execz .LBB3284_77
; %bb.76:
	v_lshlrev_b32_e32 v3, 2, v0
	ds_read_b32 v4, v3
	v_and_b32_e32 v5, 7, v55
	v_cmp_ne_u32_e32 vcc, 0, v5
	s_waitcnt lgkmcnt(0)
	v_mov_b32_dpp v6, v4 row_shr:1 row_mask:0xf bank_mask:0xf
	v_cndmask_b32_e32 v6, 0, v6, vcc
	v_add_u32_e32 v4, v6, v4
	v_cmp_lt_u32_e32 vcc, 1, v5
	s_nop 0
	v_mov_b32_dpp v6, v4 row_shr:2 row_mask:0xf bank_mask:0xf
	v_cndmask_b32_e32 v6, 0, v6, vcc
	v_add_u32_e32 v4, v4, v6
	v_cmp_lt_u32_e32 vcc, 3, v5
	s_nop 0
	v_mov_b32_dpp v6, v4 row_shr:4 row_mask:0xf bank_mask:0xf
	v_cndmask_b32_e32 v5, 0, v6, vcc
	v_add_u32_e32 v4, v4, v5
	ds_write_b32 v3, v4
.LBB3284_77:
	s_or_b64 exec, exec, s[0:1]
	v_cmp_gt_u32_e32 vcc, 64, v0
	v_cmp_lt_u32_e64 s[0:1], 63, v0
	s_waitcnt lgkmcnt(0)
	s_barrier
	s_waitcnt lgkmcnt(0)
                                        ; implicit-def: $vgpr12
	s_and_saveexec_b64 s[16:17], s[0:1]
	s_cbranch_execz .LBB3284_79
; %bb.78:
	v_lshl_add_u32 v3, v56, 2, -4
	ds_read_b32 v12, v3
	s_waitcnt lgkmcnt(0)
	v_add_u32_e32 v2, v12, v2
.LBB3284_79:
	s_or_b64 exec, exec, s[16:17]
	v_add_u32_e32 v3, -1, v55
	v_and_b32_e32 v4, 64, v55
	v_cmp_lt_i32_e64 s[0:1], v3, v4
	v_cmp_eq_u32_e64 s[16:17], 0, v55
	s_nop 0
	v_cndmask_b32_e64 v3, v3, v55, s[0:1]
	v_lshlrev_b32_e32 v3, 2, v3
	ds_bpermute_b32 v13, v3, v2
	s_and_saveexec_b64 s[0:1], vcc
	s_cbranch_execz .LBB3284_98
; %bb.80:
	v_mov_b32_e32 v9, 0
	ds_read_b32 v2, v9 offset:28
	s_and_saveexec_b64 s[26:27], s[16:17]
	s_cbranch_execz .LBB3284_82
; %bb.81:
	s_add_i32 s28, s30, 64
	s_mov_b32 s29, 0
	s_lshl_b64 s[28:29], s[28:29], 3
	s_add_u32 s28, s24, s28
	v_mov_b32_e32 v3, 1
	s_addc_u32 s29, s25, s29
	s_waitcnt lgkmcnt(0)
	global_store_dwordx2 v9, v[2:3], s[28:29] sc1
.LBB3284_82:
	s_or_b64 exec, exec, s[26:27]
	v_xad_u32 v4, v55, -1, s30
	v_add_u32_e32 v8, 64, v4
	v_lshl_add_u64 v[10:11], v[8:9], 3, s[24:25]
	global_load_dwordx2 v[6:7], v[10:11], off sc1
	s_waitcnt vmcnt(0)
	v_cmp_eq_u16_sdwa s[28:29], v7, v9 src0_sel:BYTE_0 src1_sel:DWORD
	s_and_saveexec_b64 s[26:27], s[28:29]
	s_cbranch_execz .LBB3284_86
; %bb.83:
	s_mov_b64 s[28:29], 0
	v_mov_b32_e32 v3, 0
.LBB3284_84:                            ; =>This Inner Loop Header: Depth=1
	global_load_dwordx2 v[6:7], v[10:11], off sc1
	s_waitcnt vmcnt(0)
	v_cmp_ne_u16_sdwa s[34:35], v7, v3 src0_sel:BYTE_0 src1_sel:DWORD
	s_or_b64 s[28:29], s[34:35], s[28:29]
	s_andn2_b64 exec, exec, s[28:29]
	s_cbranch_execnz .LBB3284_84
; %bb.85:
	s_or_b64 exec, exec, s[28:29]
.LBB3284_86:
	s_or_b64 exec, exec, s[26:27]
	v_and_b32_e32 v15, 63, v55
	v_mov_b32_e32 v14, 2
	v_cmp_ne_u32_e32 vcc, 63, v15
	v_cmp_eq_u16_sdwa s[26:27], v7, v14 src0_sel:BYTE_0 src1_sel:DWORD
	v_lshlrev_b64 v[8:9], v55, -1
	v_addc_co_u32_e32 v10, vcc, 0, v55, vcc
	v_and_b32_e32 v3, s27, v9
	v_lshlrev_b32_e32 v16, 2, v10
	v_or_b32_e32 v3, 0x80000000, v3
	ds_bpermute_b32 v10, v16, v6
	v_and_b32_e32 v5, s26, v8
	v_ffbl_b32_e32 v3, v3
	v_add_u32_e32 v3, 32, v3
	v_ffbl_b32_e32 v5, v5
	v_min_u32_e32 v3, v5, v3
	v_cmp_lt_u32_e32 vcc, v15, v3
	v_add_u32_e32 v38, 2, v15
	v_add_u32_e32 v58, 4, v15
	s_waitcnt lgkmcnt(0)
	v_cndmask_b32_e32 v5, 0, v10, vcc
	v_cmp_gt_u32_e32 vcc, 62, v15
	v_add_u32_e32 v5, v5, v6
	v_add_u32_e32 v60, 8, v15
	v_cndmask_b32_e64 v6, 0, 1, vcc
	v_lshlrev_b32_e32 v6, 1, v6
	v_add_lshl_u32 v17, v6, v55, 2
	ds_bpermute_b32 v6, v17, v5
	v_cmp_le_u32_e32 vcc, v38, v3
	v_add_u32_e32 v62, 16, v15
	v_add_u32_e32 v64, 32, v15
	s_waitcnt lgkmcnt(0)
	v_cndmask_b32_e32 v6, 0, v6, vcc
	v_cmp_gt_u32_e32 vcc, 60, v15
	v_add_u32_e32 v5, v5, v6
	s_nop 0
	v_cndmask_b32_e64 v6, 0, 1, vcc
	v_lshlrev_b32_e32 v6, 2, v6
	v_add_lshl_u32 v39, v6, v55, 2
	ds_bpermute_b32 v6, v39, v5
	v_cmp_le_u32_e32 vcc, v58, v3
	s_waitcnt lgkmcnt(0)
	s_nop 0
	v_cndmask_b32_e32 v6, 0, v6, vcc
	v_cmp_gt_u32_e32 vcc, 56, v15
	v_add_u32_e32 v5, v5, v6
	s_nop 0
	v_cndmask_b32_e64 v6, 0, 1, vcc
	v_lshlrev_b32_e32 v6, 3, v6
	v_add_lshl_u32 v59, v6, v55, 2
	ds_bpermute_b32 v6, v59, v5
	v_cmp_le_u32_e32 vcc, v60, v3
	s_waitcnt lgkmcnt(0)
	s_nop 0
	;; [unrolled: 11-line block ×4, first 2 shown]
	v_cndmask_b32_e32 v3, 0, v6, vcc
	v_add_u32_e32 v6, v5, v3
	v_mov_b32_e32 v5, 0
	s_branch .LBB3284_88
.LBB3284_87:                            ;   in Loop: Header=BB3284_88 Depth=1
	s_or_b64 exec, exec, s[26:27]
	v_cmp_eq_u16_sdwa s[26:27], v7, v14 src0_sel:BYTE_0 src1_sel:DWORD
	ds_bpermute_b32 v65, v16, v6
	v_subrev_u32_e32 v4, 64, v4
	v_and_b32_e32 v10, s27, v9
	v_or_b32_e32 v10, 0x80000000, v10
	v_and_b32_e32 v11, s26, v8
	v_ffbl_b32_e32 v10, v10
	v_add_u32_e32 v10, 32, v10
	v_ffbl_b32_e32 v11, v11
	v_min_u32_e32 v10, v11, v10
	v_cmp_lt_u32_e32 vcc, v15, v10
	s_waitcnt lgkmcnt(0)
	s_nop 0
	v_cndmask_b32_e32 v11, 0, v65, vcc
	v_add_u32_e32 v6, v11, v6
	ds_bpermute_b32 v11, v17, v6
	v_cmp_le_u32_e32 vcc, v38, v10
	s_waitcnt lgkmcnt(0)
	s_nop 0
	v_cndmask_b32_e32 v11, 0, v11, vcc
	v_add_u32_e32 v6, v6, v11
	ds_bpermute_b32 v11, v39, v6
	v_cmp_le_u32_e32 vcc, v58, v10
	;; [unrolled: 6-line block ×5, first 2 shown]
	s_waitcnt lgkmcnt(0)
	s_nop 0
	v_cndmask_b32_e32 v10, 0, v11, vcc
	v_add3_u32 v6, v10, v3, v6
.LBB3284_88:                            ; =>This Loop Header: Depth=1
                                        ;     Child Loop BB3284_91 Depth 2
	v_cmp_ne_u16_sdwa s[26:27], v7, v14 src0_sel:BYTE_0 src1_sel:DWORD
	s_nop 1
	v_cndmask_b32_e64 v3, 0, 1, s[26:27]
	;;#ASMSTART
	;;#ASMEND
	s_nop 0
	v_cmp_ne_u32_e32 vcc, 0, v3
	s_cmp_lg_u64 vcc, exec
	v_mov_b32_e32 v3, v6
	s_cbranch_scc1 .LBB3284_93
; %bb.89:                               ;   in Loop: Header=BB3284_88 Depth=1
	v_lshl_add_u64 v[10:11], v[4:5], 3, s[24:25]
	global_load_dwordx2 v[6:7], v[10:11], off sc1
	s_waitcnt vmcnt(0)
	v_cmp_eq_u16_sdwa s[28:29], v7, v5 src0_sel:BYTE_0 src1_sel:DWORD
	s_and_saveexec_b64 s[26:27], s[28:29]
	s_cbranch_execz .LBB3284_87
; %bb.90:                               ;   in Loop: Header=BB3284_88 Depth=1
	s_mov_b64 s[28:29], 0
.LBB3284_91:                            ;   Parent Loop BB3284_88 Depth=1
                                        ; =>  This Inner Loop Header: Depth=2
	global_load_dwordx2 v[6:7], v[10:11], off sc1
	s_waitcnt vmcnt(0)
	v_cmp_ne_u16_sdwa s[34:35], v7, v5 src0_sel:BYTE_0 src1_sel:DWORD
	s_or_b64 s[28:29], s[34:35], s[28:29]
	s_andn2_b64 exec, exec, s[28:29]
	s_cbranch_execnz .LBB3284_91
; %bb.92:                               ;   in Loop: Header=BB3284_88 Depth=1
	s_or_b64 exec, exec, s[28:29]
	s_branch .LBB3284_87
.LBB3284_93:                            ;   in Loop: Header=BB3284_88 Depth=1
                                        ; implicit-def: $vgpr6
                                        ; implicit-def: $vgpr7
	s_cbranch_execz .LBB3284_88
; %bb.94:
	s_and_saveexec_b64 s[26:27], s[16:17]
	s_cbranch_execz .LBB3284_96
; %bb.95:
	s_add_i32 s28, s30, 64
	s_mov_b32 s29, 0
	s_lshl_b64 s[28:29], s[28:29], 3
	s_add_u32 s28, s24, s28
	v_add_u32_e32 v4, v3, v2
	v_mov_b32_e32 v5, 2
	s_addc_u32 s29, s25, s29
	v_mov_b32_e32 v6, 0
	global_store_dwordx2 v6, v[4:5], s[28:29] sc1
	ds_write_b64 v6, v[2:3] offset:30720
.LBB3284_96:
	s_or_b64 exec, exec, s[26:27]
	s_and_b64 exec, exec, s[18:19]
	s_cbranch_execz .LBB3284_98
; %bb.97:
	v_mov_b32_e32 v2, 0
	ds_write_b32 v2, v3 offset:28
.LBB3284_98:
	s_or_b64 exec, exec, s[0:1]
	v_mov_b32_e32 v14, 0
	s_waitcnt lgkmcnt(0)
	s_barrier
	ds_read_b32 v2, v14 offset:28
	v_cndmask_b32_e64 v3, v13, v12, s[16:17]
	v_cndmask_b32_e64 v3, v3, 0, s[18:19]
	s_waitcnt lgkmcnt(0)
	s_barrier
	v_add_u32_e32 v2, v2, v3
	v_add_u32_e32 v3, v2, v52
	;; [unrolled: 1-line block ×11, first 2 shown]
	ds_read_b64 v[38:39], v14 offset:30720
	v_add_u32_e32 v13, v12, v48
	v_add_u32_e32 v14, v13, v42
	;; [unrolled: 1-line block ×4, first 2 shown]
	s_branch .LBB3284_109
.LBB3284_99:
                                        ; implicit-def: $vgpr39
                                        ; implicit-def: $vgpr2_vgpr3_vgpr4_vgpr5_vgpr6_vgpr7_vgpr8_vgpr9_vgpr10_vgpr11_vgpr12_vgpr13_vgpr14_vgpr15_vgpr16_vgpr17
	s_cbranch_execz .LBB3284_109
; %bb.100:
	s_nop 0
	v_mov_b32_dpp v2, v57 row_shr:1 row_mask:0xf bank_mask:0xf
	v_cndmask_b32_e64 v2, v2, 0, s[14:15]
	v_add_u32_e32 v2, v2, v57
	s_nop 1
	v_mov_b32_dpp v3, v2 row_shr:2 row_mask:0xf bank_mask:0xf
	v_cndmask_b32_e64 v3, 0, v3, s[12:13]
	v_add_u32_e32 v2, v2, v3
	;; [unrolled: 4-line block ×4, first 2 shown]
	s_nop 1
	v_mov_b32_dpp v3, v2 row_bcast:15 row_mask:0xf bank_mask:0xf
	v_cndmask_b32_e64 v3, v3, 0, s[6:7]
	v_add_u32_e32 v2, v2, v3
	s_nop 1
	v_mov_b32_dpp v3, v2 row_bcast:31 row_mask:0xf bank_mask:0xf
	v_cndmask_b32_e64 v3, 0, v3, s[2:3]
	v_add_u32_e32 v2, v2, v3
	s_and_saveexec_b64 s[0:1], s[4:5]
	s_cbranch_execz .LBB3284_102
; %bb.101:
	v_lshlrev_b32_e32 v3, 2, v56
	ds_write_b32 v3, v2
.LBB3284_102:
	s_or_b64 exec, exec, s[0:1]
	v_cmp_gt_u32_e32 vcc, 8, v0
	s_waitcnt lgkmcnt(0)
	s_barrier
	s_and_saveexec_b64 s[0:1], vcc
	s_cbranch_execz .LBB3284_104
; %bb.103:
	v_mad_i32_i24 v3, v0, -11, v21
	ds_read_b32 v4, v3
	v_and_b32_e32 v5, 7, v55
	v_cmp_ne_u32_e32 vcc, 0, v5
	s_waitcnt lgkmcnt(0)
	v_mov_b32_dpp v6, v4 row_shr:1 row_mask:0xf bank_mask:0xf
	v_cndmask_b32_e32 v6, 0, v6, vcc
	v_add_u32_e32 v4, v6, v4
	v_cmp_lt_u32_e32 vcc, 1, v5
	s_nop 0
	v_mov_b32_dpp v6, v4 row_shr:2 row_mask:0xf bank_mask:0xf
	v_cndmask_b32_e32 v6, 0, v6, vcc
	v_add_u32_e32 v4, v4, v6
	v_cmp_lt_u32_e32 vcc, 3, v5
	s_nop 0
	v_mov_b32_dpp v6, v4 row_shr:4 row_mask:0xf bank_mask:0xf
	v_cndmask_b32_e32 v5, 0, v6, vcc
	v_add_u32_e32 v4, v4, v5
	ds_write_b32 v3, v4
.LBB3284_104:
	s_or_b64 exec, exec, s[0:1]
	v_cmp_lt_u32_e32 vcc, 63, v0
	v_mov_b32_e32 v3, 0
	v_mov_b32_e32 v0, 0
	s_waitcnt lgkmcnt(0)
	s_barrier
	s_and_saveexec_b64 s[0:1], vcc
	s_cbranch_execz .LBB3284_106
; %bb.105:
	v_lshl_add_u32 v0, v56, 2, -4
	ds_read_b32 v0, v0
.LBB3284_106:
	s_or_b64 exec, exec, s[0:1]
	v_add_u32_e32 v4, -1, v55
	v_and_b32_e32 v5, 64, v55
	v_cmp_lt_i32_e32 vcc, v4, v5
	s_waitcnt lgkmcnt(0)
	v_add_u32_e32 v2, v0, v2
	ds_read_b32 v38, v3 offset:28
	v_cndmask_b32_e32 v4, v4, v55, vcc
	v_lshlrev_b32_e32 v4, 2, v4
	ds_bpermute_b32 v2, v4, v2
	s_and_saveexec_b64 s[0:1], s[18:19]
	s_cbranch_execz .LBB3284_108
; %bb.107:
	v_mov_b32_e32 v3, 0
	v_mov_b32_e32 v39, 2
	s_waitcnt lgkmcnt(1)
	global_store_dwordx2 v3, v[38:39], s[24:25] offset:512 sc1
.LBB3284_108:
	s_or_b64 exec, exec, s[0:1]
	v_cmp_eq_u32_e32 vcc, 0, v55
	v_mov_b32_e32 v39, 0
	s_waitcnt lgkmcnt(0)
	v_cndmask_b32_e32 v0, v2, v0, vcc
	v_cndmask_b32_e64 v2, v0, 0, s[18:19]
	v_add_u32_e32 v3, v2, v52
	v_add_u32_e32 v4, v3, v53
	;; [unrolled: 1-line block ×14, first 2 shown]
	s_barrier
.LBB3284_109:
	s_waitcnt lgkmcnt(0)
	v_add_u32_e32 v21, v38, v21
	v_sub_u32_e32 v2, v2, v39
	v_and_b32_e32 v48, 1, v18
	v_sub_u32_e32 v47, v21, v2
	v_cmp_eq_u32_e32 vcc, 1, v48
	v_lshrrev_b32_e32 v46, 8, v18
	v_lshrrev_b32_e32 v17, 8, v19
	v_cndmask_b32_e32 v2, v47, v2, vcc
	v_lshlrev_b32_e32 v2, 2, v2
	ds_write_b32 v2, v36
	v_sub_u32_e32 v2, v3, v39
	v_sub_u32_e32 v3, v21, v2
	v_and_b32_e32 v36, 1, v46
	v_add_u32_e32 v3, 1, v3
	v_cmp_eq_u32_e32 vcc, 1, v36
	v_lshrrev_b32_e32 v0, 8, v20
	v_and_b32_e32 v0, 1, v0
	v_cndmask_b32_e32 v2, v3, v2, vcc
	v_lshlrev_b32_e32 v2, 2, v2
	ds_write_b32 v2, v37
	v_sub_u32_e32 v2, v4, v39
	v_mov_b32_e32 v4, 1
	v_sub_u32_e32 v3, v21, v2
	v_and_b32_sdwa v18, v4, v18 dst_sel:DWORD dst_unused:UNUSED_PAD src0_sel:DWORD src1_sel:WORD_1
	v_add_u32_e32 v3, 2, v3
	v_cmp_eq_u32_e32 vcc, 1, v18
	s_and_b64 s[0:1], s[18:19], s[22:23]
	s_nop 0
	v_cndmask_b32_e32 v2, v3, v2, vcc
	v_lshlrev_b32_e32 v2, 2, v2
	ds_write_b32 v2, v34
	v_sub_u32_e32 v2, v5, v39
	v_sub_u32_e32 v3, v21, v2
	v_and_b32_e32 v5, 1, v45
	v_add_u32_e32 v3, 3, v3
	v_cmp_eq_u32_e32 vcc, 1, v5
	v_and_b32_e32 v5, 1, v19
	s_nop 0
	v_cndmask_b32_e32 v2, v3, v2, vcc
	v_lshlrev_b32_e32 v2, 2, v2
	ds_write_b32 v2, v35
	v_sub_u32_e32 v2, v6, v39
	v_sub_u32_e32 v3, v21, v2
	v_add_u32_e32 v3, 4, v3
	v_cmp_eq_u32_e32 vcc, 1, v5
	v_and_b32_e32 v5, 1, v17
	s_nop 0
	v_cndmask_b32_e32 v2, v3, v2, vcc
	v_lshlrev_b32_e32 v2, 2, v2
	ds_write_b32 v2, v32
	v_sub_u32_e32 v2, v7, v39
	v_sub_u32_e32 v3, v21, v2
	v_add_u32_e32 v3, 5, v3
	v_cmp_eq_u32_e32 vcc, 1, v5
	v_and_b32_sdwa v5, v4, v19 dst_sel:DWORD dst_unused:UNUSED_PAD src0_sel:DWORD src1_sel:WORD_1
	s_nop 0
	v_cndmask_b32_e32 v2, v3, v2, vcc
	v_lshlrev_b32_e32 v2, 2, v2
	ds_write_b32 v2, v33
	v_sub_u32_e32 v2, v8, v39
	v_sub_u32_e32 v3, v21, v2
	v_add_u32_e32 v3, 6, v3
	v_cmp_eq_u32_e32 vcc, 1, v5
	v_and_b32_e32 v5, 1, v44
	s_nop 0
	v_cndmask_b32_e32 v2, v3, v2, vcc
	v_lshlrev_b32_e32 v2, 2, v2
	ds_write_b32 v2, v30
	v_sub_u32_e32 v2, v9, v39
	v_sub_u32_e32 v3, v21, v2
	v_add_u32_e32 v3, 7, v3
	v_cmp_eq_u32_e32 vcc, 1, v5
	v_and_b32_e32 v5, 1, v20
	s_nop 0
	v_cndmask_b32_e32 v2, v3, v2, vcc
	v_lshlrev_b32_e32 v2, 2, v2
	ds_write_b32 v2, v31
	v_sub_u32_e32 v2, v10, v39
	v_sub_u32_e32 v3, v21, v2
	v_add_u32_e32 v3, 8, v3
	v_cmp_eq_u32_e32 vcc, 1, v5
	s_nop 1
	v_cndmask_b32_e32 v2, v3, v2, vcc
	v_lshlrev_b32_e32 v2, 2, v2
	ds_write_b32 v2, v28
	v_sub_u32_e32 v2, v11, v39
	v_sub_u32_e32 v3, v21, v2
	v_add_u32_e32 v3, 9, v3
	v_cmp_eq_u32_e32 vcc, 1, v0
	s_nop 1
	v_cndmask_b32_e32 v0, v3, v2, vcc
	v_lshlrev_b32_e32 v0, 2, v0
	ds_write_b32 v0, v29
	v_sub_u32_e32 v0, v12, v39
	v_sub_u32_e32 v2, v21, v0
	v_and_b32_sdwa v3, v4, v20 dst_sel:DWORD dst_unused:UNUSED_PAD src0_sel:DWORD src1_sel:WORD_1
	v_add_u32_e32 v2, 10, v2
	v_cmp_eq_u32_e32 vcc, 1, v3
	v_and_b32_e32 v3, 1, v42
	s_nop 0
	v_cndmask_b32_e32 v0, v2, v0, vcc
	v_lshlrev_b32_e32 v0, 2, v0
	ds_write_b32 v0, v26
	v_sub_u32_e32 v0, v13, v39
	v_sub_u32_e32 v2, v21, v0
	v_add_u32_e32 v2, 11, v2
	v_cmp_eq_u32_e32 vcc, 1, v3
	s_nop 1
	v_cndmask_b32_e32 v0, v2, v0, vcc
	v_lshlrev_b32_e32 v0, 2, v0
	ds_write_b32 v0, v27
	v_sub_u32_e32 v0, v14, v39
	v_sub_u32_e32 v2, v21, v0
	v_add_u32_e32 v2, 12, v2
	v_cmp_eq_u32_e32 vcc, 1, v43
	;; [unrolled: 8-line block ×4, first 2 shown]
	s_nop 1
	v_cndmask_b32_e32 v0, v2, v0, vcc
	v_lshlrev_b32_e32 v0, 2, v0
	ds_write_b32 v0, v1
	s_waitcnt lgkmcnt(0)
	s_barrier
	s_and_saveexec_b64 s[2:3], s[0:1]
	s_cbranch_execz .LBB3284_111
; %bb.110:
	v_mov_b32_e32 v1, 0
	v_mov_b32_e32 v0, v38
	s_waitcnt vmcnt(0)
	v_lshl_add_u64 v[2:3], v[22:23], 0, v[0:1]
	v_mov_b32_e32 v0, v39
	v_lshl_add_u64 v[2:3], v[2:3], 0, v[0:1]
	global_store_dwordx2 v1, v[2:3], s[20:21]
.LBB3284_111:
	s_endpgm
	.section	.rodata,"a",@progbits
	.p2align	6, 0x0
	.amdhsa_kernel _ZN7rocprim17ROCPRIM_400000_NS6detail17trampoline_kernelINS0_14default_configENS1_25partition_config_selectorILNS1_17partition_subalgoE1EiNS0_10empty_typeEbEEZZNS1_14partition_implILS5_1ELb0ES3_jN6thrust23THRUST_200600_302600_NS6detail15normal_iteratorINSA_10device_ptrIiEEEEPS6_NSA_18transform_iteratorI7is_evenIiESF_NSA_11use_defaultESK_EENS0_5tupleIJNSA_16discard_iteratorISK_EESO_EEENSM_IJSG_SG_EEES6_PlJS6_EEE10hipError_tPvRmT3_T4_T5_T6_T7_T9_mT8_P12ihipStream_tbDpT10_ENKUlT_T0_E_clISt17integral_constantIbLb0EES1A_IbLb1EEEEDaS16_S17_EUlS16_E_NS1_11comp_targetILNS1_3genE5ELNS1_11target_archE942ELNS1_3gpuE9ELNS1_3repE0EEENS1_30default_config_static_selectorELNS0_4arch9wavefront6targetE1EEEvT1_
		.amdhsa_group_segment_fixed_size 30728
		.amdhsa_private_segment_fixed_size 0
		.amdhsa_kernarg_size 160
		.amdhsa_user_sgpr_count 2
		.amdhsa_user_sgpr_dispatch_ptr 0
		.amdhsa_user_sgpr_queue_ptr 0
		.amdhsa_user_sgpr_kernarg_segment_ptr 1
		.amdhsa_user_sgpr_dispatch_id 0
		.amdhsa_user_sgpr_kernarg_preload_length 0
		.amdhsa_user_sgpr_kernarg_preload_offset 0
		.amdhsa_user_sgpr_private_segment_size 0
		.amdhsa_uses_dynamic_stack 0
		.amdhsa_enable_private_segment 0
		.amdhsa_system_sgpr_workgroup_id_x 1
		.amdhsa_system_sgpr_workgroup_id_y 0
		.amdhsa_system_sgpr_workgroup_id_z 0
		.amdhsa_system_sgpr_workgroup_info 0
		.amdhsa_system_vgpr_workitem_id 0
		.amdhsa_next_free_vgpr 66
		.amdhsa_next_free_sgpr 36
		.amdhsa_accum_offset 68
		.amdhsa_reserve_vcc 1
		.amdhsa_float_round_mode_32 0
		.amdhsa_float_round_mode_16_64 0
		.amdhsa_float_denorm_mode_32 3
		.amdhsa_float_denorm_mode_16_64 3
		.amdhsa_dx10_clamp 1
		.amdhsa_ieee_mode 1
		.amdhsa_fp16_overflow 0
		.amdhsa_tg_split 0
		.amdhsa_exception_fp_ieee_invalid_op 0
		.amdhsa_exception_fp_denorm_src 0
		.amdhsa_exception_fp_ieee_div_zero 0
		.amdhsa_exception_fp_ieee_overflow 0
		.amdhsa_exception_fp_ieee_underflow 0
		.amdhsa_exception_fp_ieee_inexact 0
		.amdhsa_exception_int_div_zero 0
	.end_amdhsa_kernel
	.section	.text._ZN7rocprim17ROCPRIM_400000_NS6detail17trampoline_kernelINS0_14default_configENS1_25partition_config_selectorILNS1_17partition_subalgoE1EiNS0_10empty_typeEbEEZZNS1_14partition_implILS5_1ELb0ES3_jN6thrust23THRUST_200600_302600_NS6detail15normal_iteratorINSA_10device_ptrIiEEEEPS6_NSA_18transform_iteratorI7is_evenIiESF_NSA_11use_defaultESK_EENS0_5tupleIJNSA_16discard_iteratorISK_EESO_EEENSM_IJSG_SG_EEES6_PlJS6_EEE10hipError_tPvRmT3_T4_T5_T6_T7_T9_mT8_P12ihipStream_tbDpT10_ENKUlT_T0_E_clISt17integral_constantIbLb0EES1A_IbLb1EEEEDaS16_S17_EUlS16_E_NS1_11comp_targetILNS1_3genE5ELNS1_11target_archE942ELNS1_3gpuE9ELNS1_3repE0EEENS1_30default_config_static_selectorELNS0_4arch9wavefront6targetE1EEEvT1_,"axG",@progbits,_ZN7rocprim17ROCPRIM_400000_NS6detail17trampoline_kernelINS0_14default_configENS1_25partition_config_selectorILNS1_17partition_subalgoE1EiNS0_10empty_typeEbEEZZNS1_14partition_implILS5_1ELb0ES3_jN6thrust23THRUST_200600_302600_NS6detail15normal_iteratorINSA_10device_ptrIiEEEEPS6_NSA_18transform_iteratorI7is_evenIiESF_NSA_11use_defaultESK_EENS0_5tupleIJNSA_16discard_iteratorISK_EESO_EEENSM_IJSG_SG_EEES6_PlJS6_EEE10hipError_tPvRmT3_T4_T5_T6_T7_T9_mT8_P12ihipStream_tbDpT10_ENKUlT_T0_E_clISt17integral_constantIbLb0EES1A_IbLb1EEEEDaS16_S17_EUlS16_E_NS1_11comp_targetILNS1_3genE5ELNS1_11target_archE942ELNS1_3gpuE9ELNS1_3repE0EEENS1_30default_config_static_selectorELNS0_4arch9wavefront6targetE1EEEvT1_,comdat
.Lfunc_end3284:
	.size	_ZN7rocprim17ROCPRIM_400000_NS6detail17trampoline_kernelINS0_14default_configENS1_25partition_config_selectorILNS1_17partition_subalgoE1EiNS0_10empty_typeEbEEZZNS1_14partition_implILS5_1ELb0ES3_jN6thrust23THRUST_200600_302600_NS6detail15normal_iteratorINSA_10device_ptrIiEEEEPS6_NSA_18transform_iteratorI7is_evenIiESF_NSA_11use_defaultESK_EENS0_5tupleIJNSA_16discard_iteratorISK_EESO_EEENSM_IJSG_SG_EEES6_PlJS6_EEE10hipError_tPvRmT3_T4_T5_T6_T7_T9_mT8_P12ihipStream_tbDpT10_ENKUlT_T0_E_clISt17integral_constantIbLb0EES1A_IbLb1EEEEDaS16_S17_EUlS16_E_NS1_11comp_targetILNS1_3genE5ELNS1_11target_archE942ELNS1_3gpuE9ELNS1_3repE0EEENS1_30default_config_static_selectorELNS0_4arch9wavefront6targetE1EEEvT1_, .Lfunc_end3284-_ZN7rocprim17ROCPRIM_400000_NS6detail17trampoline_kernelINS0_14default_configENS1_25partition_config_selectorILNS1_17partition_subalgoE1EiNS0_10empty_typeEbEEZZNS1_14partition_implILS5_1ELb0ES3_jN6thrust23THRUST_200600_302600_NS6detail15normal_iteratorINSA_10device_ptrIiEEEEPS6_NSA_18transform_iteratorI7is_evenIiESF_NSA_11use_defaultESK_EENS0_5tupleIJNSA_16discard_iteratorISK_EESO_EEENSM_IJSG_SG_EEES6_PlJS6_EEE10hipError_tPvRmT3_T4_T5_T6_T7_T9_mT8_P12ihipStream_tbDpT10_ENKUlT_T0_E_clISt17integral_constantIbLb0EES1A_IbLb1EEEEDaS16_S17_EUlS16_E_NS1_11comp_targetILNS1_3genE5ELNS1_11target_archE942ELNS1_3gpuE9ELNS1_3repE0EEENS1_30default_config_static_selectorELNS0_4arch9wavefront6targetE1EEEvT1_
                                        ; -- End function
	.section	.AMDGPU.csdata,"",@progbits
; Kernel info:
; codeLenInByte = 5944
; NumSgprs: 42
; NumVgprs: 66
; NumAgprs: 0
; TotalNumVgprs: 66
; ScratchSize: 0
; MemoryBound: 0
; FloatMode: 240
; IeeeMode: 1
; LDSByteSize: 30728 bytes/workgroup (compile time only)
; SGPRBlocks: 5
; VGPRBlocks: 8
; NumSGPRsForWavesPerEU: 42
; NumVGPRsForWavesPerEU: 66
; AccumOffset: 68
; Occupancy: 4
; WaveLimiterHint : 1
; COMPUTE_PGM_RSRC2:SCRATCH_EN: 0
; COMPUTE_PGM_RSRC2:USER_SGPR: 2
; COMPUTE_PGM_RSRC2:TRAP_HANDLER: 0
; COMPUTE_PGM_RSRC2:TGID_X_EN: 1
; COMPUTE_PGM_RSRC2:TGID_Y_EN: 0
; COMPUTE_PGM_RSRC2:TGID_Z_EN: 0
; COMPUTE_PGM_RSRC2:TIDIG_COMP_CNT: 0
; COMPUTE_PGM_RSRC3_GFX90A:ACCUM_OFFSET: 16
; COMPUTE_PGM_RSRC3_GFX90A:TG_SPLIT: 0
	.section	.text._ZN7rocprim17ROCPRIM_400000_NS6detail17trampoline_kernelINS0_14default_configENS1_25partition_config_selectorILNS1_17partition_subalgoE1EiNS0_10empty_typeEbEEZZNS1_14partition_implILS5_1ELb0ES3_jN6thrust23THRUST_200600_302600_NS6detail15normal_iteratorINSA_10device_ptrIiEEEEPS6_NSA_18transform_iteratorI7is_evenIiESF_NSA_11use_defaultESK_EENS0_5tupleIJNSA_16discard_iteratorISK_EESO_EEENSM_IJSG_SG_EEES6_PlJS6_EEE10hipError_tPvRmT3_T4_T5_T6_T7_T9_mT8_P12ihipStream_tbDpT10_ENKUlT_T0_E_clISt17integral_constantIbLb0EES1A_IbLb1EEEEDaS16_S17_EUlS16_E_NS1_11comp_targetILNS1_3genE4ELNS1_11target_archE910ELNS1_3gpuE8ELNS1_3repE0EEENS1_30default_config_static_selectorELNS0_4arch9wavefront6targetE1EEEvT1_,"axG",@progbits,_ZN7rocprim17ROCPRIM_400000_NS6detail17trampoline_kernelINS0_14default_configENS1_25partition_config_selectorILNS1_17partition_subalgoE1EiNS0_10empty_typeEbEEZZNS1_14partition_implILS5_1ELb0ES3_jN6thrust23THRUST_200600_302600_NS6detail15normal_iteratorINSA_10device_ptrIiEEEEPS6_NSA_18transform_iteratorI7is_evenIiESF_NSA_11use_defaultESK_EENS0_5tupleIJNSA_16discard_iteratorISK_EESO_EEENSM_IJSG_SG_EEES6_PlJS6_EEE10hipError_tPvRmT3_T4_T5_T6_T7_T9_mT8_P12ihipStream_tbDpT10_ENKUlT_T0_E_clISt17integral_constantIbLb0EES1A_IbLb1EEEEDaS16_S17_EUlS16_E_NS1_11comp_targetILNS1_3genE4ELNS1_11target_archE910ELNS1_3gpuE8ELNS1_3repE0EEENS1_30default_config_static_selectorELNS0_4arch9wavefront6targetE1EEEvT1_,comdat
	.protected	_ZN7rocprim17ROCPRIM_400000_NS6detail17trampoline_kernelINS0_14default_configENS1_25partition_config_selectorILNS1_17partition_subalgoE1EiNS0_10empty_typeEbEEZZNS1_14partition_implILS5_1ELb0ES3_jN6thrust23THRUST_200600_302600_NS6detail15normal_iteratorINSA_10device_ptrIiEEEEPS6_NSA_18transform_iteratorI7is_evenIiESF_NSA_11use_defaultESK_EENS0_5tupleIJNSA_16discard_iteratorISK_EESO_EEENSM_IJSG_SG_EEES6_PlJS6_EEE10hipError_tPvRmT3_T4_T5_T6_T7_T9_mT8_P12ihipStream_tbDpT10_ENKUlT_T0_E_clISt17integral_constantIbLb0EES1A_IbLb1EEEEDaS16_S17_EUlS16_E_NS1_11comp_targetILNS1_3genE4ELNS1_11target_archE910ELNS1_3gpuE8ELNS1_3repE0EEENS1_30default_config_static_selectorELNS0_4arch9wavefront6targetE1EEEvT1_ ; -- Begin function _ZN7rocprim17ROCPRIM_400000_NS6detail17trampoline_kernelINS0_14default_configENS1_25partition_config_selectorILNS1_17partition_subalgoE1EiNS0_10empty_typeEbEEZZNS1_14partition_implILS5_1ELb0ES3_jN6thrust23THRUST_200600_302600_NS6detail15normal_iteratorINSA_10device_ptrIiEEEEPS6_NSA_18transform_iteratorI7is_evenIiESF_NSA_11use_defaultESK_EENS0_5tupleIJNSA_16discard_iteratorISK_EESO_EEENSM_IJSG_SG_EEES6_PlJS6_EEE10hipError_tPvRmT3_T4_T5_T6_T7_T9_mT8_P12ihipStream_tbDpT10_ENKUlT_T0_E_clISt17integral_constantIbLb0EES1A_IbLb1EEEEDaS16_S17_EUlS16_E_NS1_11comp_targetILNS1_3genE4ELNS1_11target_archE910ELNS1_3gpuE8ELNS1_3repE0EEENS1_30default_config_static_selectorELNS0_4arch9wavefront6targetE1EEEvT1_
	.globl	_ZN7rocprim17ROCPRIM_400000_NS6detail17trampoline_kernelINS0_14default_configENS1_25partition_config_selectorILNS1_17partition_subalgoE1EiNS0_10empty_typeEbEEZZNS1_14partition_implILS5_1ELb0ES3_jN6thrust23THRUST_200600_302600_NS6detail15normal_iteratorINSA_10device_ptrIiEEEEPS6_NSA_18transform_iteratorI7is_evenIiESF_NSA_11use_defaultESK_EENS0_5tupleIJNSA_16discard_iteratorISK_EESO_EEENSM_IJSG_SG_EEES6_PlJS6_EEE10hipError_tPvRmT3_T4_T5_T6_T7_T9_mT8_P12ihipStream_tbDpT10_ENKUlT_T0_E_clISt17integral_constantIbLb0EES1A_IbLb1EEEEDaS16_S17_EUlS16_E_NS1_11comp_targetILNS1_3genE4ELNS1_11target_archE910ELNS1_3gpuE8ELNS1_3repE0EEENS1_30default_config_static_selectorELNS0_4arch9wavefront6targetE1EEEvT1_
	.p2align	8
	.type	_ZN7rocprim17ROCPRIM_400000_NS6detail17trampoline_kernelINS0_14default_configENS1_25partition_config_selectorILNS1_17partition_subalgoE1EiNS0_10empty_typeEbEEZZNS1_14partition_implILS5_1ELb0ES3_jN6thrust23THRUST_200600_302600_NS6detail15normal_iteratorINSA_10device_ptrIiEEEEPS6_NSA_18transform_iteratorI7is_evenIiESF_NSA_11use_defaultESK_EENS0_5tupleIJNSA_16discard_iteratorISK_EESO_EEENSM_IJSG_SG_EEES6_PlJS6_EEE10hipError_tPvRmT3_T4_T5_T6_T7_T9_mT8_P12ihipStream_tbDpT10_ENKUlT_T0_E_clISt17integral_constantIbLb0EES1A_IbLb1EEEEDaS16_S17_EUlS16_E_NS1_11comp_targetILNS1_3genE4ELNS1_11target_archE910ELNS1_3gpuE8ELNS1_3repE0EEENS1_30default_config_static_selectorELNS0_4arch9wavefront6targetE1EEEvT1_,@function
_ZN7rocprim17ROCPRIM_400000_NS6detail17trampoline_kernelINS0_14default_configENS1_25partition_config_selectorILNS1_17partition_subalgoE1EiNS0_10empty_typeEbEEZZNS1_14partition_implILS5_1ELb0ES3_jN6thrust23THRUST_200600_302600_NS6detail15normal_iteratorINSA_10device_ptrIiEEEEPS6_NSA_18transform_iteratorI7is_evenIiESF_NSA_11use_defaultESK_EENS0_5tupleIJNSA_16discard_iteratorISK_EESO_EEENSM_IJSG_SG_EEES6_PlJS6_EEE10hipError_tPvRmT3_T4_T5_T6_T7_T9_mT8_P12ihipStream_tbDpT10_ENKUlT_T0_E_clISt17integral_constantIbLb0EES1A_IbLb1EEEEDaS16_S17_EUlS16_E_NS1_11comp_targetILNS1_3genE4ELNS1_11target_archE910ELNS1_3gpuE8ELNS1_3repE0EEENS1_30default_config_static_selectorELNS0_4arch9wavefront6targetE1EEEvT1_: ; @_ZN7rocprim17ROCPRIM_400000_NS6detail17trampoline_kernelINS0_14default_configENS1_25partition_config_selectorILNS1_17partition_subalgoE1EiNS0_10empty_typeEbEEZZNS1_14partition_implILS5_1ELb0ES3_jN6thrust23THRUST_200600_302600_NS6detail15normal_iteratorINSA_10device_ptrIiEEEEPS6_NSA_18transform_iteratorI7is_evenIiESF_NSA_11use_defaultESK_EENS0_5tupleIJNSA_16discard_iteratorISK_EESO_EEENSM_IJSG_SG_EEES6_PlJS6_EEE10hipError_tPvRmT3_T4_T5_T6_T7_T9_mT8_P12ihipStream_tbDpT10_ENKUlT_T0_E_clISt17integral_constantIbLb0EES1A_IbLb1EEEEDaS16_S17_EUlS16_E_NS1_11comp_targetILNS1_3genE4ELNS1_11target_archE910ELNS1_3gpuE8ELNS1_3repE0EEENS1_30default_config_static_selectorELNS0_4arch9wavefront6targetE1EEEvT1_
; %bb.0:
	.section	.rodata,"a",@progbits
	.p2align	6, 0x0
	.amdhsa_kernel _ZN7rocprim17ROCPRIM_400000_NS6detail17trampoline_kernelINS0_14default_configENS1_25partition_config_selectorILNS1_17partition_subalgoE1EiNS0_10empty_typeEbEEZZNS1_14partition_implILS5_1ELb0ES3_jN6thrust23THRUST_200600_302600_NS6detail15normal_iteratorINSA_10device_ptrIiEEEEPS6_NSA_18transform_iteratorI7is_evenIiESF_NSA_11use_defaultESK_EENS0_5tupleIJNSA_16discard_iteratorISK_EESO_EEENSM_IJSG_SG_EEES6_PlJS6_EEE10hipError_tPvRmT3_T4_T5_T6_T7_T9_mT8_P12ihipStream_tbDpT10_ENKUlT_T0_E_clISt17integral_constantIbLb0EES1A_IbLb1EEEEDaS16_S17_EUlS16_E_NS1_11comp_targetILNS1_3genE4ELNS1_11target_archE910ELNS1_3gpuE8ELNS1_3repE0EEENS1_30default_config_static_selectorELNS0_4arch9wavefront6targetE1EEEvT1_
		.amdhsa_group_segment_fixed_size 0
		.amdhsa_private_segment_fixed_size 0
		.amdhsa_kernarg_size 160
		.amdhsa_user_sgpr_count 2
		.amdhsa_user_sgpr_dispatch_ptr 0
		.amdhsa_user_sgpr_queue_ptr 0
		.amdhsa_user_sgpr_kernarg_segment_ptr 1
		.amdhsa_user_sgpr_dispatch_id 0
		.amdhsa_user_sgpr_kernarg_preload_length 0
		.amdhsa_user_sgpr_kernarg_preload_offset 0
		.amdhsa_user_sgpr_private_segment_size 0
		.amdhsa_uses_dynamic_stack 0
		.amdhsa_enable_private_segment 0
		.amdhsa_system_sgpr_workgroup_id_x 1
		.amdhsa_system_sgpr_workgroup_id_y 0
		.amdhsa_system_sgpr_workgroup_id_z 0
		.amdhsa_system_sgpr_workgroup_info 0
		.amdhsa_system_vgpr_workitem_id 0
		.amdhsa_next_free_vgpr 1
		.amdhsa_next_free_sgpr 0
		.amdhsa_accum_offset 4
		.amdhsa_reserve_vcc 0
		.amdhsa_float_round_mode_32 0
		.amdhsa_float_round_mode_16_64 0
		.amdhsa_float_denorm_mode_32 3
		.amdhsa_float_denorm_mode_16_64 3
		.amdhsa_dx10_clamp 1
		.amdhsa_ieee_mode 1
		.amdhsa_fp16_overflow 0
		.amdhsa_tg_split 0
		.amdhsa_exception_fp_ieee_invalid_op 0
		.amdhsa_exception_fp_denorm_src 0
		.amdhsa_exception_fp_ieee_div_zero 0
		.amdhsa_exception_fp_ieee_overflow 0
		.amdhsa_exception_fp_ieee_underflow 0
		.amdhsa_exception_fp_ieee_inexact 0
		.amdhsa_exception_int_div_zero 0
	.end_amdhsa_kernel
	.section	.text._ZN7rocprim17ROCPRIM_400000_NS6detail17trampoline_kernelINS0_14default_configENS1_25partition_config_selectorILNS1_17partition_subalgoE1EiNS0_10empty_typeEbEEZZNS1_14partition_implILS5_1ELb0ES3_jN6thrust23THRUST_200600_302600_NS6detail15normal_iteratorINSA_10device_ptrIiEEEEPS6_NSA_18transform_iteratorI7is_evenIiESF_NSA_11use_defaultESK_EENS0_5tupleIJNSA_16discard_iteratorISK_EESO_EEENSM_IJSG_SG_EEES6_PlJS6_EEE10hipError_tPvRmT3_T4_T5_T6_T7_T9_mT8_P12ihipStream_tbDpT10_ENKUlT_T0_E_clISt17integral_constantIbLb0EES1A_IbLb1EEEEDaS16_S17_EUlS16_E_NS1_11comp_targetILNS1_3genE4ELNS1_11target_archE910ELNS1_3gpuE8ELNS1_3repE0EEENS1_30default_config_static_selectorELNS0_4arch9wavefront6targetE1EEEvT1_,"axG",@progbits,_ZN7rocprim17ROCPRIM_400000_NS6detail17trampoline_kernelINS0_14default_configENS1_25partition_config_selectorILNS1_17partition_subalgoE1EiNS0_10empty_typeEbEEZZNS1_14partition_implILS5_1ELb0ES3_jN6thrust23THRUST_200600_302600_NS6detail15normal_iteratorINSA_10device_ptrIiEEEEPS6_NSA_18transform_iteratorI7is_evenIiESF_NSA_11use_defaultESK_EENS0_5tupleIJNSA_16discard_iteratorISK_EESO_EEENSM_IJSG_SG_EEES6_PlJS6_EEE10hipError_tPvRmT3_T4_T5_T6_T7_T9_mT8_P12ihipStream_tbDpT10_ENKUlT_T0_E_clISt17integral_constantIbLb0EES1A_IbLb1EEEEDaS16_S17_EUlS16_E_NS1_11comp_targetILNS1_3genE4ELNS1_11target_archE910ELNS1_3gpuE8ELNS1_3repE0EEENS1_30default_config_static_selectorELNS0_4arch9wavefront6targetE1EEEvT1_,comdat
.Lfunc_end3285:
	.size	_ZN7rocprim17ROCPRIM_400000_NS6detail17trampoline_kernelINS0_14default_configENS1_25partition_config_selectorILNS1_17partition_subalgoE1EiNS0_10empty_typeEbEEZZNS1_14partition_implILS5_1ELb0ES3_jN6thrust23THRUST_200600_302600_NS6detail15normal_iteratorINSA_10device_ptrIiEEEEPS6_NSA_18transform_iteratorI7is_evenIiESF_NSA_11use_defaultESK_EENS0_5tupleIJNSA_16discard_iteratorISK_EESO_EEENSM_IJSG_SG_EEES6_PlJS6_EEE10hipError_tPvRmT3_T4_T5_T6_T7_T9_mT8_P12ihipStream_tbDpT10_ENKUlT_T0_E_clISt17integral_constantIbLb0EES1A_IbLb1EEEEDaS16_S17_EUlS16_E_NS1_11comp_targetILNS1_3genE4ELNS1_11target_archE910ELNS1_3gpuE8ELNS1_3repE0EEENS1_30default_config_static_selectorELNS0_4arch9wavefront6targetE1EEEvT1_, .Lfunc_end3285-_ZN7rocprim17ROCPRIM_400000_NS6detail17trampoline_kernelINS0_14default_configENS1_25partition_config_selectorILNS1_17partition_subalgoE1EiNS0_10empty_typeEbEEZZNS1_14partition_implILS5_1ELb0ES3_jN6thrust23THRUST_200600_302600_NS6detail15normal_iteratorINSA_10device_ptrIiEEEEPS6_NSA_18transform_iteratorI7is_evenIiESF_NSA_11use_defaultESK_EENS0_5tupleIJNSA_16discard_iteratorISK_EESO_EEENSM_IJSG_SG_EEES6_PlJS6_EEE10hipError_tPvRmT3_T4_T5_T6_T7_T9_mT8_P12ihipStream_tbDpT10_ENKUlT_T0_E_clISt17integral_constantIbLb0EES1A_IbLb1EEEEDaS16_S17_EUlS16_E_NS1_11comp_targetILNS1_3genE4ELNS1_11target_archE910ELNS1_3gpuE8ELNS1_3repE0EEENS1_30default_config_static_selectorELNS0_4arch9wavefront6targetE1EEEvT1_
                                        ; -- End function
	.section	.AMDGPU.csdata,"",@progbits
; Kernel info:
; codeLenInByte = 0
; NumSgprs: 6
; NumVgprs: 0
; NumAgprs: 0
; TotalNumVgprs: 0
; ScratchSize: 0
; MemoryBound: 0
; FloatMode: 240
; IeeeMode: 1
; LDSByteSize: 0 bytes/workgroup (compile time only)
; SGPRBlocks: 0
; VGPRBlocks: 0
; NumSGPRsForWavesPerEU: 6
; NumVGPRsForWavesPerEU: 1
; AccumOffset: 4
; Occupancy: 8
; WaveLimiterHint : 0
; COMPUTE_PGM_RSRC2:SCRATCH_EN: 0
; COMPUTE_PGM_RSRC2:USER_SGPR: 2
; COMPUTE_PGM_RSRC2:TRAP_HANDLER: 0
; COMPUTE_PGM_RSRC2:TGID_X_EN: 1
; COMPUTE_PGM_RSRC2:TGID_Y_EN: 0
; COMPUTE_PGM_RSRC2:TGID_Z_EN: 0
; COMPUTE_PGM_RSRC2:TIDIG_COMP_CNT: 0
; COMPUTE_PGM_RSRC3_GFX90A:ACCUM_OFFSET: 0
; COMPUTE_PGM_RSRC3_GFX90A:TG_SPLIT: 0
	.section	.text._ZN7rocprim17ROCPRIM_400000_NS6detail17trampoline_kernelINS0_14default_configENS1_25partition_config_selectorILNS1_17partition_subalgoE1EiNS0_10empty_typeEbEEZZNS1_14partition_implILS5_1ELb0ES3_jN6thrust23THRUST_200600_302600_NS6detail15normal_iteratorINSA_10device_ptrIiEEEEPS6_NSA_18transform_iteratorI7is_evenIiESF_NSA_11use_defaultESK_EENS0_5tupleIJNSA_16discard_iteratorISK_EESO_EEENSM_IJSG_SG_EEES6_PlJS6_EEE10hipError_tPvRmT3_T4_T5_T6_T7_T9_mT8_P12ihipStream_tbDpT10_ENKUlT_T0_E_clISt17integral_constantIbLb0EES1A_IbLb1EEEEDaS16_S17_EUlS16_E_NS1_11comp_targetILNS1_3genE3ELNS1_11target_archE908ELNS1_3gpuE7ELNS1_3repE0EEENS1_30default_config_static_selectorELNS0_4arch9wavefront6targetE1EEEvT1_,"axG",@progbits,_ZN7rocprim17ROCPRIM_400000_NS6detail17trampoline_kernelINS0_14default_configENS1_25partition_config_selectorILNS1_17partition_subalgoE1EiNS0_10empty_typeEbEEZZNS1_14partition_implILS5_1ELb0ES3_jN6thrust23THRUST_200600_302600_NS6detail15normal_iteratorINSA_10device_ptrIiEEEEPS6_NSA_18transform_iteratorI7is_evenIiESF_NSA_11use_defaultESK_EENS0_5tupleIJNSA_16discard_iteratorISK_EESO_EEENSM_IJSG_SG_EEES6_PlJS6_EEE10hipError_tPvRmT3_T4_T5_T6_T7_T9_mT8_P12ihipStream_tbDpT10_ENKUlT_T0_E_clISt17integral_constantIbLb0EES1A_IbLb1EEEEDaS16_S17_EUlS16_E_NS1_11comp_targetILNS1_3genE3ELNS1_11target_archE908ELNS1_3gpuE7ELNS1_3repE0EEENS1_30default_config_static_selectorELNS0_4arch9wavefront6targetE1EEEvT1_,comdat
	.protected	_ZN7rocprim17ROCPRIM_400000_NS6detail17trampoline_kernelINS0_14default_configENS1_25partition_config_selectorILNS1_17partition_subalgoE1EiNS0_10empty_typeEbEEZZNS1_14partition_implILS5_1ELb0ES3_jN6thrust23THRUST_200600_302600_NS6detail15normal_iteratorINSA_10device_ptrIiEEEEPS6_NSA_18transform_iteratorI7is_evenIiESF_NSA_11use_defaultESK_EENS0_5tupleIJNSA_16discard_iteratorISK_EESO_EEENSM_IJSG_SG_EEES6_PlJS6_EEE10hipError_tPvRmT3_T4_T5_T6_T7_T9_mT8_P12ihipStream_tbDpT10_ENKUlT_T0_E_clISt17integral_constantIbLb0EES1A_IbLb1EEEEDaS16_S17_EUlS16_E_NS1_11comp_targetILNS1_3genE3ELNS1_11target_archE908ELNS1_3gpuE7ELNS1_3repE0EEENS1_30default_config_static_selectorELNS0_4arch9wavefront6targetE1EEEvT1_ ; -- Begin function _ZN7rocprim17ROCPRIM_400000_NS6detail17trampoline_kernelINS0_14default_configENS1_25partition_config_selectorILNS1_17partition_subalgoE1EiNS0_10empty_typeEbEEZZNS1_14partition_implILS5_1ELb0ES3_jN6thrust23THRUST_200600_302600_NS6detail15normal_iteratorINSA_10device_ptrIiEEEEPS6_NSA_18transform_iteratorI7is_evenIiESF_NSA_11use_defaultESK_EENS0_5tupleIJNSA_16discard_iteratorISK_EESO_EEENSM_IJSG_SG_EEES6_PlJS6_EEE10hipError_tPvRmT3_T4_T5_T6_T7_T9_mT8_P12ihipStream_tbDpT10_ENKUlT_T0_E_clISt17integral_constantIbLb0EES1A_IbLb1EEEEDaS16_S17_EUlS16_E_NS1_11comp_targetILNS1_3genE3ELNS1_11target_archE908ELNS1_3gpuE7ELNS1_3repE0EEENS1_30default_config_static_selectorELNS0_4arch9wavefront6targetE1EEEvT1_
	.globl	_ZN7rocprim17ROCPRIM_400000_NS6detail17trampoline_kernelINS0_14default_configENS1_25partition_config_selectorILNS1_17partition_subalgoE1EiNS0_10empty_typeEbEEZZNS1_14partition_implILS5_1ELb0ES3_jN6thrust23THRUST_200600_302600_NS6detail15normal_iteratorINSA_10device_ptrIiEEEEPS6_NSA_18transform_iteratorI7is_evenIiESF_NSA_11use_defaultESK_EENS0_5tupleIJNSA_16discard_iteratorISK_EESO_EEENSM_IJSG_SG_EEES6_PlJS6_EEE10hipError_tPvRmT3_T4_T5_T6_T7_T9_mT8_P12ihipStream_tbDpT10_ENKUlT_T0_E_clISt17integral_constantIbLb0EES1A_IbLb1EEEEDaS16_S17_EUlS16_E_NS1_11comp_targetILNS1_3genE3ELNS1_11target_archE908ELNS1_3gpuE7ELNS1_3repE0EEENS1_30default_config_static_selectorELNS0_4arch9wavefront6targetE1EEEvT1_
	.p2align	8
	.type	_ZN7rocprim17ROCPRIM_400000_NS6detail17trampoline_kernelINS0_14default_configENS1_25partition_config_selectorILNS1_17partition_subalgoE1EiNS0_10empty_typeEbEEZZNS1_14partition_implILS5_1ELb0ES3_jN6thrust23THRUST_200600_302600_NS6detail15normal_iteratorINSA_10device_ptrIiEEEEPS6_NSA_18transform_iteratorI7is_evenIiESF_NSA_11use_defaultESK_EENS0_5tupleIJNSA_16discard_iteratorISK_EESO_EEENSM_IJSG_SG_EEES6_PlJS6_EEE10hipError_tPvRmT3_T4_T5_T6_T7_T9_mT8_P12ihipStream_tbDpT10_ENKUlT_T0_E_clISt17integral_constantIbLb0EES1A_IbLb1EEEEDaS16_S17_EUlS16_E_NS1_11comp_targetILNS1_3genE3ELNS1_11target_archE908ELNS1_3gpuE7ELNS1_3repE0EEENS1_30default_config_static_selectorELNS0_4arch9wavefront6targetE1EEEvT1_,@function
_ZN7rocprim17ROCPRIM_400000_NS6detail17trampoline_kernelINS0_14default_configENS1_25partition_config_selectorILNS1_17partition_subalgoE1EiNS0_10empty_typeEbEEZZNS1_14partition_implILS5_1ELb0ES3_jN6thrust23THRUST_200600_302600_NS6detail15normal_iteratorINSA_10device_ptrIiEEEEPS6_NSA_18transform_iteratorI7is_evenIiESF_NSA_11use_defaultESK_EENS0_5tupleIJNSA_16discard_iteratorISK_EESO_EEENSM_IJSG_SG_EEES6_PlJS6_EEE10hipError_tPvRmT3_T4_T5_T6_T7_T9_mT8_P12ihipStream_tbDpT10_ENKUlT_T0_E_clISt17integral_constantIbLb0EES1A_IbLb1EEEEDaS16_S17_EUlS16_E_NS1_11comp_targetILNS1_3genE3ELNS1_11target_archE908ELNS1_3gpuE7ELNS1_3repE0EEENS1_30default_config_static_selectorELNS0_4arch9wavefront6targetE1EEEvT1_: ; @_ZN7rocprim17ROCPRIM_400000_NS6detail17trampoline_kernelINS0_14default_configENS1_25partition_config_selectorILNS1_17partition_subalgoE1EiNS0_10empty_typeEbEEZZNS1_14partition_implILS5_1ELb0ES3_jN6thrust23THRUST_200600_302600_NS6detail15normal_iteratorINSA_10device_ptrIiEEEEPS6_NSA_18transform_iteratorI7is_evenIiESF_NSA_11use_defaultESK_EENS0_5tupleIJNSA_16discard_iteratorISK_EESO_EEENSM_IJSG_SG_EEES6_PlJS6_EEE10hipError_tPvRmT3_T4_T5_T6_T7_T9_mT8_P12ihipStream_tbDpT10_ENKUlT_T0_E_clISt17integral_constantIbLb0EES1A_IbLb1EEEEDaS16_S17_EUlS16_E_NS1_11comp_targetILNS1_3genE3ELNS1_11target_archE908ELNS1_3gpuE7ELNS1_3repE0EEENS1_30default_config_static_selectorELNS0_4arch9wavefront6targetE1EEEvT1_
; %bb.0:
	.section	.rodata,"a",@progbits
	.p2align	6, 0x0
	.amdhsa_kernel _ZN7rocprim17ROCPRIM_400000_NS6detail17trampoline_kernelINS0_14default_configENS1_25partition_config_selectorILNS1_17partition_subalgoE1EiNS0_10empty_typeEbEEZZNS1_14partition_implILS5_1ELb0ES3_jN6thrust23THRUST_200600_302600_NS6detail15normal_iteratorINSA_10device_ptrIiEEEEPS6_NSA_18transform_iteratorI7is_evenIiESF_NSA_11use_defaultESK_EENS0_5tupleIJNSA_16discard_iteratorISK_EESO_EEENSM_IJSG_SG_EEES6_PlJS6_EEE10hipError_tPvRmT3_T4_T5_T6_T7_T9_mT8_P12ihipStream_tbDpT10_ENKUlT_T0_E_clISt17integral_constantIbLb0EES1A_IbLb1EEEEDaS16_S17_EUlS16_E_NS1_11comp_targetILNS1_3genE3ELNS1_11target_archE908ELNS1_3gpuE7ELNS1_3repE0EEENS1_30default_config_static_selectorELNS0_4arch9wavefront6targetE1EEEvT1_
		.amdhsa_group_segment_fixed_size 0
		.amdhsa_private_segment_fixed_size 0
		.amdhsa_kernarg_size 160
		.amdhsa_user_sgpr_count 2
		.amdhsa_user_sgpr_dispatch_ptr 0
		.amdhsa_user_sgpr_queue_ptr 0
		.amdhsa_user_sgpr_kernarg_segment_ptr 1
		.amdhsa_user_sgpr_dispatch_id 0
		.amdhsa_user_sgpr_kernarg_preload_length 0
		.amdhsa_user_sgpr_kernarg_preload_offset 0
		.amdhsa_user_sgpr_private_segment_size 0
		.amdhsa_uses_dynamic_stack 0
		.amdhsa_enable_private_segment 0
		.amdhsa_system_sgpr_workgroup_id_x 1
		.amdhsa_system_sgpr_workgroup_id_y 0
		.amdhsa_system_sgpr_workgroup_id_z 0
		.amdhsa_system_sgpr_workgroup_info 0
		.amdhsa_system_vgpr_workitem_id 0
		.amdhsa_next_free_vgpr 1
		.amdhsa_next_free_sgpr 0
		.amdhsa_accum_offset 4
		.amdhsa_reserve_vcc 0
		.amdhsa_float_round_mode_32 0
		.amdhsa_float_round_mode_16_64 0
		.amdhsa_float_denorm_mode_32 3
		.amdhsa_float_denorm_mode_16_64 3
		.amdhsa_dx10_clamp 1
		.amdhsa_ieee_mode 1
		.amdhsa_fp16_overflow 0
		.amdhsa_tg_split 0
		.amdhsa_exception_fp_ieee_invalid_op 0
		.amdhsa_exception_fp_denorm_src 0
		.amdhsa_exception_fp_ieee_div_zero 0
		.amdhsa_exception_fp_ieee_overflow 0
		.amdhsa_exception_fp_ieee_underflow 0
		.amdhsa_exception_fp_ieee_inexact 0
		.amdhsa_exception_int_div_zero 0
	.end_amdhsa_kernel
	.section	.text._ZN7rocprim17ROCPRIM_400000_NS6detail17trampoline_kernelINS0_14default_configENS1_25partition_config_selectorILNS1_17partition_subalgoE1EiNS0_10empty_typeEbEEZZNS1_14partition_implILS5_1ELb0ES3_jN6thrust23THRUST_200600_302600_NS6detail15normal_iteratorINSA_10device_ptrIiEEEEPS6_NSA_18transform_iteratorI7is_evenIiESF_NSA_11use_defaultESK_EENS0_5tupleIJNSA_16discard_iteratorISK_EESO_EEENSM_IJSG_SG_EEES6_PlJS6_EEE10hipError_tPvRmT3_T4_T5_T6_T7_T9_mT8_P12ihipStream_tbDpT10_ENKUlT_T0_E_clISt17integral_constantIbLb0EES1A_IbLb1EEEEDaS16_S17_EUlS16_E_NS1_11comp_targetILNS1_3genE3ELNS1_11target_archE908ELNS1_3gpuE7ELNS1_3repE0EEENS1_30default_config_static_selectorELNS0_4arch9wavefront6targetE1EEEvT1_,"axG",@progbits,_ZN7rocprim17ROCPRIM_400000_NS6detail17trampoline_kernelINS0_14default_configENS1_25partition_config_selectorILNS1_17partition_subalgoE1EiNS0_10empty_typeEbEEZZNS1_14partition_implILS5_1ELb0ES3_jN6thrust23THRUST_200600_302600_NS6detail15normal_iteratorINSA_10device_ptrIiEEEEPS6_NSA_18transform_iteratorI7is_evenIiESF_NSA_11use_defaultESK_EENS0_5tupleIJNSA_16discard_iteratorISK_EESO_EEENSM_IJSG_SG_EEES6_PlJS6_EEE10hipError_tPvRmT3_T4_T5_T6_T7_T9_mT8_P12ihipStream_tbDpT10_ENKUlT_T0_E_clISt17integral_constantIbLb0EES1A_IbLb1EEEEDaS16_S17_EUlS16_E_NS1_11comp_targetILNS1_3genE3ELNS1_11target_archE908ELNS1_3gpuE7ELNS1_3repE0EEENS1_30default_config_static_selectorELNS0_4arch9wavefront6targetE1EEEvT1_,comdat
.Lfunc_end3286:
	.size	_ZN7rocprim17ROCPRIM_400000_NS6detail17trampoline_kernelINS0_14default_configENS1_25partition_config_selectorILNS1_17partition_subalgoE1EiNS0_10empty_typeEbEEZZNS1_14partition_implILS5_1ELb0ES3_jN6thrust23THRUST_200600_302600_NS6detail15normal_iteratorINSA_10device_ptrIiEEEEPS6_NSA_18transform_iteratorI7is_evenIiESF_NSA_11use_defaultESK_EENS0_5tupleIJNSA_16discard_iteratorISK_EESO_EEENSM_IJSG_SG_EEES6_PlJS6_EEE10hipError_tPvRmT3_T4_T5_T6_T7_T9_mT8_P12ihipStream_tbDpT10_ENKUlT_T0_E_clISt17integral_constantIbLb0EES1A_IbLb1EEEEDaS16_S17_EUlS16_E_NS1_11comp_targetILNS1_3genE3ELNS1_11target_archE908ELNS1_3gpuE7ELNS1_3repE0EEENS1_30default_config_static_selectorELNS0_4arch9wavefront6targetE1EEEvT1_, .Lfunc_end3286-_ZN7rocprim17ROCPRIM_400000_NS6detail17trampoline_kernelINS0_14default_configENS1_25partition_config_selectorILNS1_17partition_subalgoE1EiNS0_10empty_typeEbEEZZNS1_14partition_implILS5_1ELb0ES3_jN6thrust23THRUST_200600_302600_NS6detail15normal_iteratorINSA_10device_ptrIiEEEEPS6_NSA_18transform_iteratorI7is_evenIiESF_NSA_11use_defaultESK_EENS0_5tupleIJNSA_16discard_iteratorISK_EESO_EEENSM_IJSG_SG_EEES6_PlJS6_EEE10hipError_tPvRmT3_T4_T5_T6_T7_T9_mT8_P12ihipStream_tbDpT10_ENKUlT_T0_E_clISt17integral_constantIbLb0EES1A_IbLb1EEEEDaS16_S17_EUlS16_E_NS1_11comp_targetILNS1_3genE3ELNS1_11target_archE908ELNS1_3gpuE7ELNS1_3repE0EEENS1_30default_config_static_selectorELNS0_4arch9wavefront6targetE1EEEvT1_
                                        ; -- End function
	.section	.AMDGPU.csdata,"",@progbits
; Kernel info:
; codeLenInByte = 0
; NumSgprs: 6
; NumVgprs: 0
; NumAgprs: 0
; TotalNumVgprs: 0
; ScratchSize: 0
; MemoryBound: 0
; FloatMode: 240
; IeeeMode: 1
; LDSByteSize: 0 bytes/workgroup (compile time only)
; SGPRBlocks: 0
; VGPRBlocks: 0
; NumSGPRsForWavesPerEU: 6
; NumVGPRsForWavesPerEU: 1
; AccumOffset: 4
; Occupancy: 8
; WaveLimiterHint : 0
; COMPUTE_PGM_RSRC2:SCRATCH_EN: 0
; COMPUTE_PGM_RSRC2:USER_SGPR: 2
; COMPUTE_PGM_RSRC2:TRAP_HANDLER: 0
; COMPUTE_PGM_RSRC2:TGID_X_EN: 1
; COMPUTE_PGM_RSRC2:TGID_Y_EN: 0
; COMPUTE_PGM_RSRC2:TGID_Z_EN: 0
; COMPUTE_PGM_RSRC2:TIDIG_COMP_CNT: 0
; COMPUTE_PGM_RSRC3_GFX90A:ACCUM_OFFSET: 0
; COMPUTE_PGM_RSRC3_GFX90A:TG_SPLIT: 0
	.section	.text._ZN7rocprim17ROCPRIM_400000_NS6detail17trampoline_kernelINS0_14default_configENS1_25partition_config_selectorILNS1_17partition_subalgoE1EiNS0_10empty_typeEbEEZZNS1_14partition_implILS5_1ELb0ES3_jN6thrust23THRUST_200600_302600_NS6detail15normal_iteratorINSA_10device_ptrIiEEEEPS6_NSA_18transform_iteratorI7is_evenIiESF_NSA_11use_defaultESK_EENS0_5tupleIJNSA_16discard_iteratorISK_EESO_EEENSM_IJSG_SG_EEES6_PlJS6_EEE10hipError_tPvRmT3_T4_T5_T6_T7_T9_mT8_P12ihipStream_tbDpT10_ENKUlT_T0_E_clISt17integral_constantIbLb0EES1A_IbLb1EEEEDaS16_S17_EUlS16_E_NS1_11comp_targetILNS1_3genE2ELNS1_11target_archE906ELNS1_3gpuE6ELNS1_3repE0EEENS1_30default_config_static_selectorELNS0_4arch9wavefront6targetE1EEEvT1_,"axG",@progbits,_ZN7rocprim17ROCPRIM_400000_NS6detail17trampoline_kernelINS0_14default_configENS1_25partition_config_selectorILNS1_17partition_subalgoE1EiNS0_10empty_typeEbEEZZNS1_14partition_implILS5_1ELb0ES3_jN6thrust23THRUST_200600_302600_NS6detail15normal_iteratorINSA_10device_ptrIiEEEEPS6_NSA_18transform_iteratorI7is_evenIiESF_NSA_11use_defaultESK_EENS0_5tupleIJNSA_16discard_iteratorISK_EESO_EEENSM_IJSG_SG_EEES6_PlJS6_EEE10hipError_tPvRmT3_T4_T5_T6_T7_T9_mT8_P12ihipStream_tbDpT10_ENKUlT_T0_E_clISt17integral_constantIbLb0EES1A_IbLb1EEEEDaS16_S17_EUlS16_E_NS1_11comp_targetILNS1_3genE2ELNS1_11target_archE906ELNS1_3gpuE6ELNS1_3repE0EEENS1_30default_config_static_selectorELNS0_4arch9wavefront6targetE1EEEvT1_,comdat
	.protected	_ZN7rocprim17ROCPRIM_400000_NS6detail17trampoline_kernelINS0_14default_configENS1_25partition_config_selectorILNS1_17partition_subalgoE1EiNS0_10empty_typeEbEEZZNS1_14partition_implILS5_1ELb0ES3_jN6thrust23THRUST_200600_302600_NS6detail15normal_iteratorINSA_10device_ptrIiEEEEPS6_NSA_18transform_iteratorI7is_evenIiESF_NSA_11use_defaultESK_EENS0_5tupleIJNSA_16discard_iteratorISK_EESO_EEENSM_IJSG_SG_EEES6_PlJS6_EEE10hipError_tPvRmT3_T4_T5_T6_T7_T9_mT8_P12ihipStream_tbDpT10_ENKUlT_T0_E_clISt17integral_constantIbLb0EES1A_IbLb1EEEEDaS16_S17_EUlS16_E_NS1_11comp_targetILNS1_3genE2ELNS1_11target_archE906ELNS1_3gpuE6ELNS1_3repE0EEENS1_30default_config_static_selectorELNS0_4arch9wavefront6targetE1EEEvT1_ ; -- Begin function _ZN7rocprim17ROCPRIM_400000_NS6detail17trampoline_kernelINS0_14default_configENS1_25partition_config_selectorILNS1_17partition_subalgoE1EiNS0_10empty_typeEbEEZZNS1_14partition_implILS5_1ELb0ES3_jN6thrust23THRUST_200600_302600_NS6detail15normal_iteratorINSA_10device_ptrIiEEEEPS6_NSA_18transform_iteratorI7is_evenIiESF_NSA_11use_defaultESK_EENS0_5tupleIJNSA_16discard_iteratorISK_EESO_EEENSM_IJSG_SG_EEES6_PlJS6_EEE10hipError_tPvRmT3_T4_T5_T6_T7_T9_mT8_P12ihipStream_tbDpT10_ENKUlT_T0_E_clISt17integral_constantIbLb0EES1A_IbLb1EEEEDaS16_S17_EUlS16_E_NS1_11comp_targetILNS1_3genE2ELNS1_11target_archE906ELNS1_3gpuE6ELNS1_3repE0EEENS1_30default_config_static_selectorELNS0_4arch9wavefront6targetE1EEEvT1_
	.globl	_ZN7rocprim17ROCPRIM_400000_NS6detail17trampoline_kernelINS0_14default_configENS1_25partition_config_selectorILNS1_17partition_subalgoE1EiNS0_10empty_typeEbEEZZNS1_14partition_implILS5_1ELb0ES3_jN6thrust23THRUST_200600_302600_NS6detail15normal_iteratorINSA_10device_ptrIiEEEEPS6_NSA_18transform_iteratorI7is_evenIiESF_NSA_11use_defaultESK_EENS0_5tupleIJNSA_16discard_iteratorISK_EESO_EEENSM_IJSG_SG_EEES6_PlJS6_EEE10hipError_tPvRmT3_T4_T5_T6_T7_T9_mT8_P12ihipStream_tbDpT10_ENKUlT_T0_E_clISt17integral_constantIbLb0EES1A_IbLb1EEEEDaS16_S17_EUlS16_E_NS1_11comp_targetILNS1_3genE2ELNS1_11target_archE906ELNS1_3gpuE6ELNS1_3repE0EEENS1_30default_config_static_selectorELNS0_4arch9wavefront6targetE1EEEvT1_
	.p2align	8
	.type	_ZN7rocprim17ROCPRIM_400000_NS6detail17trampoline_kernelINS0_14default_configENS1_25partition_config_selectorILNS1_17partition_subalgoE1EiNS0_10empty_typeEbEEZZNS1_14partition_implILS5_1ELb0ES3_jN6thrust23THRUST_200600_302600_NS6detail15normal_iteratorINSA_10device_ptrIiEEEEPS6_NSA_18transform_iteratorI7is_evenIiESF_NSA_11use_defaultESK_EENS0_5tupleIJNSA_16discard_iteratorISK_EESO_EEENSM_IJSG_SG_EEES6_PlJS6_EEE10hipError_tPvRmT3_T4_T5_T6_T7_T9_mT8_P12ihipStream_tbDpT10_ENKUlT_T0_E_clISt17integral_constantIbLb0EES1A_IbLb1EEEEDaS16_S17_EUlS16_E_NS1_11comp_targetILNS1_3genE2ELNS1_11target_archE906ELNS1_3gpuE6ELNS1_3repE0EEENS1_30default_config_static_selectorELNS0_4arch9wavefront6targetE1EEEvT1_,@function
_ZN7rocprim17ROCPRIM_400000_NS6detail17trampoline_kernelINS0_14default_configENS1_25partition_config_selectorILNS1_17partition_subalgoE1EiNS0_10empty_typeEbEEZZNS1_14partition_implILS5_1ELb0ES3_jN6thrust23THRUST_200600_302600_NS6detail15normal_iteratorINSA_10device_ptrIiEEEEPS6_NSA_18transform_iteratorI7is_evenIiESF_NSA_11use_defaultESK_EENS0_5tupleIJNSA_16discard_iteratorISK_EESO_EEENSM_IJSG_SG_EEES6_PlJS6_EEE10hipError_tPvRmT3_T4_T5_T6_T7_T9_mT8_P12ihipStream_tbDpT10_ENKUlT_T0_E_clISt17integral_constantIbLb0EES1A_IbLb1EEEEDaS16_S17_EUlS16_E_NS1_11comp_targetILNS1_3genE2ELNS1_11target_archE906ELNS1_3gpuE6ELNS1_3repE0EEENS1_30default_config_static_selectorELNS0_4arch9wavefront6targetE1EEEvT1_: ; @_ZN7rocprim17ROCPRIM_400000_NS6detail17trampoline_kernelINS0_14default_configENS1_25partition_config_selectorILNS1_17partition_subalgoE1EiNS0_10empty_typeEbEEZZNS1_14partition_implILS5_1ELb0ES3_jN6thrust23THRUST_200600_302600_NS6detail15normal_iteratorINSA_10device_ptrIiEEEEPS6_NSA_18transform_iteratorI7is_evenIiESF_NSA_11use_defaultESK_EENS0_5tupleIJNSA_16discard_iteratorISK_EESO_EEENSM_IJSG_SG_EEES6_PlJS6_EEE10hipError_tPvRmT3_T4_T5_T6_T7_T9_mT8_P12ihipStream_tbDpT10_ENKUlT_T0_E_clISt17integral_constantIbLb0EES1A_IbLb1EEEEDaS16_S17_EUlS16_E_NS1_11comp_targetILNS1_3genE2ELNS1_11target_archE906ELNS1_3gpuE6ELNS1_3repE0EEENS1_30default_config_static_selectorELNS0_4arch9wavefront6targetE1EEEvT1_
; %bb.0:
	.section	.rodata,"a",@progbits
	.p2align	6, 0x0
	.amdhsa_kernel _ZN7rocprim17ROCPRIM_400000_NS6detail17trampoline_kernelINS0_14default_configENS1_25partition_config_selectorILNS1_17partition_subalgoE1EiNS0_10empty_typeEbEEZZNS1_14partition_implILS5_1ELb0ES3_jN6thrust23THRUST_200600_302600_NS6detail15normal_iteratorINSA_10device_ptrIiEEEEPS6_NSA_18transform_iteratorI7is_evenIiESF_NSA_11use_defaultESK_EENS0_5tupleIJNSA_16discard_iteratorISK_EESO_EEENSM_IJSG_SG_EEES6_PlJS6_EEE10hipError_tPvRmT3_T4_T5_T6_T7_T9_mT8_P12ihipStream_tbDpT10_ENKUlT_T0_E_clISt17integral_constantIbLb0EES1A_IbLb1EEEEDaS16_S17_EUlS16_E_NS1_11comp_targetILNS1_3genE2ELNS1_11target_archE906ELNS1_3gpuE6ELNS1_3repE0EEENS1_30default_config_static_selectorELNS0_4arch9wavefront6targetE1EEEvT1_
		.amdhsa_group_segment_fixed_size 0
		.amdhsa_private_segment_fixed_size 0
		.amdhsa_kernarg_size 160
		.amdhsa_user_sgpr_count 2
		.amdhsa_user_sgpr_dispatch_ptr 0
		.amdhsa_user_sgpr_queue_ptr 0
		.amdhsa_user_sgpr_kernarg_segment_ptr 1
		.amdhsa_user_sgpr_dispatch_id 0
		.amdhsa_user_sgpr_kernarg_preload_length 0
		.amdhsa_user_sgpr_kernarg_preload_offset 0
		.amdhsa_user_sgpr_private_segment_size 0
		.amdhsa_uses_dynamic_stack 0
		.amdhsa_enable_private_segment 0
		.amdhsa_system_sgpr_workgroup_id_x 1
		.amdhsa_system_sgpr_workgroup_id_y 0
		.amdhsa_system_sgpr_workgroup_id_z 0
		.amdhsa_system_sgpr_workgroup_info 0
		.amdhsa_system_vgpr_workitem_id 0
		.amdhsa_next_free_vgpr 1
		.amdhsa_next_free_sgpr 0
		.amdhsa_accum_offset 4
		.amdhsa_reserve_vcc 0
		.amdhsa_float_round_mode_32 0
		.amdhsa_float_round_mode_16_64 0
		.amdhsa_float_denorm_mode_32 3
		.amdhsa_float_denorm_mode_16_64 3
		.amdhsa_dx10_clamp 1
		.amdhsa_ieee_mode 1
		.amdhsa_fp16_overflow 0
		.amdhsa_tg_split 0
		.amdhsa_exception_fp_ieee_invalid_op 0
		.amdhsa_exception_fp_denorm_src 0
		.amdhsa_exception_fp_ieee_div_zero 0
		.amdhsa_exception_fp_ieee_overflow 0
		.amdhsa_exception_fp_ieee_underflow 0
		.amdhsa_exception_fp_ieee_inexact 0
		.amdhsa_exception_int_div_zero 0
	.end_amdhsa_kernel
	.section	.text._ZN7rocprim17ROCPRIM_400000_NS6detail17trampoline_kernelINS0_14default_configENS1_25partition_config_selectorILNS1_17partition_subalgoE1EiNS0_10empty_typeEbEEZZNS1_14partition_implILS5_1ELb0ES3_jN6thrust23THRUST_200600_302600_NS6detail15normal_iteratorINSA_10device_ptrIiEEEEPS6_NSA_18transform_iteratorI7is_evenIiESF_NSA_11use_defaultESK_EENS0_5tupleIJNSA_16discard_iteratorISK_EESO_EEENSM_IJSG_SG_EEES6_PlJS6_EEE10hipError_tPvRmT3_T4_T5_T6_T7_T9_mT8_P12ihipStream_tbDpT10_ENKUlT_T0_E_clISt17integral_constantIbLb0EES1A_IbLb1EEEEDaS16_S17_EUlS16_E_NS1_11comp_targetILNS1_3genE2ELNS1_11target_archE906ELNS1_3gpuE6ELNS1_3repE0EEENS1_30default_config_static_selectorELNS0_4arch9wavefront6targetE1EEEvT1_,"axG",@progbits,_ZN7rocprim17ROCPRIM_400000_NS6detail17trampoline_kernelINS0_14default_configENS1_25partition_config_selectorILNS1_17partition_subalgoE1EiNS0_10empty_typeEbEEZZNS1_14partition_implILS5_1ELb0ES3_jN6thrust23THRUST_200600_302600_NS6detail15normal_iteratorINSA_10device_ptrIiEEEEPS6_NSA_18transform_iteratorI7is_evenIiESF_NSA_11use_defaultESK_EENS0_5tupleIJNSA_16discard_iteratorISK_EESO_EEENSM_IJSG_SG_EEES6_PlJS6_EEE10hipError_tPvRmT3_T4_T5_T6_T7_T9_mT8_P12ihipStream_tbDpT10_ENKUlT_T0_E_clISt17integral_constantIbLb0EES1A_IbLb1EEEEDaS16_S17_EUlS16_E_NS1_11comp_targetILNS1_3genE2ELNS1_11target_archE906ELNS1_3gpuE6ELNS1_3repE0EEENS1_30default_config_static_selectorELNS0_4arch9wavefront6targetE1EEEvT1_,comdat
.Lfunc_end3287:
	.size	_ZN7rocprim17ROCPRIM_400000_NS6detail17trampoline_kernelINS0_14default_configENS1_25partition_config_selectorILNS1_17partition_subalgoE1EiNS0_10empty_typeEbEEZZNS1_14partition_implILS5_1ELb0ES3_jN6thrust23THRUST_200600_302600_NS6detail15normal_iteratorINSA_10device_ptrIiEEEEPS6_NSA_18transform_iteratorI7is_evenIiESF_NSA_11use_defaultESK_EENS0_5tupleIJNSA_16discard_iteratorISK_EESO_EEENSM_IJSG_SG_EEES6_PlJS6_EEE10hipError_tPvRmT3_T4_T5_T6_T7_T9_mT8_P12ihipStream_tbDpT10_ENKUlT_T0_E_clISt17integral_constantIbLb0EES1A_IbLb1EEEEDaS16_S17_EUlS16_E_NS1_11comp_targetILNS1_3genE2ELNS1_11target_archE906ELNS1_3gpuE6ELNS1_3repE0EEENS1_30default_config_static_selectorELNS0_4arch9wavefront6targetE1EEEvT1_, .Lfunc_end3287-_ZN7rocprim17ROCPRIM_400000_NS6detail17trampoline_kernelINS0_14default_configENS1_25partition_config_selectorILNS1_17partition_subalgoE1EiNS0_10empty_typeEbEEZZNS1_14partition_implILS5_1ELb0ES3_jN6thrust23THRUST_200600_302600_NS6detail15normal_iteratorINSA_10device_ptrIiEEEEPS6_NSA_18transform_iteratorI7is_evenIiESF_NSA_11use_defaultESK_EENS0_5tupleIJNSA_16discard_iteratorISK_EESO_EEENSM_IJSG_SG_EEES6_PlJS6_EEE10hipError_tPvRmT3_T4_T5_T6_T7_T9_mT8_P12ihipStream_tbDpT10_ENKUlT_T0_E_clISt17integral_constantIbLb0EES1A_IbLb1EEEEDaS16_S17_EUlS16_E_NS1_11comp_targetILNS1_3genE2ELNS1_11target_archE906ELNS1_3gpuE6ELNS1_3repE0EEENS1_30default_config_static_selectorELNS0_4arch9wavefront6targetE1EEEvT1_
                                        ; -- End function
	.section	.AMDGPU.csdata,"",@progbits
; Kernel info:
; codeLenInByte = 0
; NumSgprs: 6
; NumVgprs: 0
; NumAgprs: 0
; TotalNumVgprs: 0
; ScratchSize: 0
; MemoryBound: 0
; FloatMode: 240
; IeeeMode: 1
; LDSByteSize: 0 bytes/workgroup (compile time only)
; SGPRBlocks: 0
; VGPRBlocks: 0
; NumSGPRsForWavesPerEU: 6
; NumVGPRsForWavesPerEU: 1
; AccumOffset: 4
; Occupancy: 8
; WaveLimiterHint : 0
; COMPUTE_PGM_RSRC2:SCRATCH_EN: 0
; COMPUTE_PGM_RSRC2:USER_SGPR: 2
; COMPUTE_PGM_RSRC2:TRAP_HANDLER: 0
; COMPUTE_PGM_RSRC2:TGID_X_EN: 1
; COMPUTE_PGM_RSRC2:TGID_Y_EN: 0
; COMPUTE_PGM_RSRC2:TGID_Z_EN: 0
; COMPUTE_PGM_RSRC2:TIDIG_COMP_CNT: 0
; COMPUTE_PGM_RSRC3_GFX90A:ACCUM_OFFSET: 0
; COMPUTE_PGM_RSRC3_GFX90A:TG_SPLIT: 0
	.section	.text._ZN7rocprim17ROCPRIM_400000_NS6detail17trampoline_kernelINS0_14default_configENS1_25partition_config_selectorILNS1_17partition_subalgoE1EiNS0_10empty_typeEbEEZZNS1_14partition_implILS5_1ELb0ES3_jN6thrust23THRUST_200600_302600_NS6detail15normal_iteratorINSA_10device_ptrIiEEEEPS6_NSA_18transform_iteratorI7is_evenIiESF_NSA_11use_defaultESK_EENS0_5tupleIJNSA_16discard_iteratorISK_EESO_EEENSM_IJSG_SG_EEES6_PlJS6_EEE10hipError_tPvRmT3_T4_T5_T6_T7_T9_mT8_P12ihipStream_tbDpT10_ENKUlT_T0_E_clISt17integral_constantIbLb0EES1A_IbLb1EEEEDaS16_S17_EUlS16_E_NS1_11comp_targetILNS1_3genE10ELNS1_11target_archE1200ELNS1_3gpuE4ELNS1_3repE0EEENS1_30default_config_static_selectorELNS0_4arch9wavefront6targetE1EEEvT1_,"axG",@progbits,_ZN7rocprim17ROCPRIM_400000_NS6detail17trampoline_kernelINS0_14default_configENS1_25partition_config_selectorILNS1_17partition_subalgoE1EiNS0_10empty_typeEbEEZZNS1_14partition_implILS5_1ELb0ES3_jN6thrust23THRUST_200600_302600_NS6detail15normal_iteratorINSA_10device_ptrIiEEEEPS6_NSA_18transform_iteratorI7is_evenIiESF_NSA_11use_defaultESK_EENS0_5tupleIJNSA_16discard_iteratorISK_EESO_EEENSM_IJSG_SG_EEES6_PlJS6_EEE10hipError_tPvRmT3_T4_T5_T6_T7_T9_mT8_P12ihipStream_tbDpT10_ENKUlT_T0_E_clISt17integral_constantIbLb0EES1A_IbLb1EEEEDaS16_S17_EUlS16_E_NS1_11comp_targetILNS1_3genE10ELNS1_11target_archE1200ELNS1_3gpuE4ELNS1_3repE0EEENS1_30default_config_static_selectorELNS0_4arch9wavefront6targetE1EEEvT1_,comdat
	.protected	_ZN7rocprim17ROCPRIM_400000_NS6detail17trampoline_kernelINS0_14default_configENS1_25partition_config_selectorILNS1_17partition_subalgoE1EiNS0_10empty_typeEbEEZZNS1_14partition_implILS5_1ELb0ES3_jN6thrust23THRUST_200600_302600_NS6detail15normal_iteratorINSA_10device_ptrIiEEEEPS6_NSA_18transform_iteratorI7is_evenIiESF_NSA_11use_defaultESK_EENS0_5tupleIJNSA_16discard_iteratorISK_EESO_EEENSM_IJSG_SG_EEES6_PlJS6_EEE10hipError_tPvRmT3_T4_T5_T6_T7_T9_mT8_P12ihipStream_tbDpT10_ENKUlT_T0_E_clISt17integral_constantIbLb0EES1A_IbLb1EEEEDaS16_S17_EUlS16_E_NS1_11comp_targetILNS1_3genE10ELNS1_11target_archE1200ELNS1_3gpuE4ELNS1_3repE0EEENS1_30default_config_static_selectorELNS0_4arch9wavefront6targetE1EEEvT1_ ; -- Begin function _ZN7rocprim17ROCPRIM_400000_NS6detail17trampoline_kernelINS0_14default_configENS1_25partition_config_selectorILNS1_17partition_subalgoE1EiNS0_10empty_typeEbEEZZNS1_14partition_implILS5_1ELb0ES3_jN6thrust23THRUST_200600_302600_NS6detail15normal_iteratorINSA_10device_ptrIiEEEEPS6_NSA_18transform_iteratorI7is_evenIiESF_NSA_11use_defaultESK_EENS0_5tupleIJNSA_16discard_iteratorISK_EESO_EEENSM_IJSG_SG_EEES6_PlJS6_EEE10hipError_tPvRmT3_T4_T5_T6_T7_T9_mT8_P12ihipStream_tbDpT10_ENKUlT_T0_E_clISt17integral_constantIbLb0EES1A_IbLb1EEEEDaS16_S17_EUlS16_E_NS1_11comp_targetILNS1_3genE10ELNS1_11target_archE1200ELNS1_3gpuE4ELNS1_3repE0EEENS1_30default_config_static_selectorELNS0_4arch9wavefront6targetE1EEEvT1_
	.globl	_ZN7rocprim17ROCPRIM_400000_NS6detail17trampoline_kernelINS0_14default_configENS1_25partition_config_selectorILNS1_17partition_subalgoE1EiNS0_10empty_typeEbEEZZNS1_14partition_implILS5_1ELb0ES3_jN6thrust23THRUST_200600_302600_NS6detail15normal_iteratorINSA_10device_ptrIiEEEEPS6_NSA_18transform_iteratorI7is_evenIiESF_NSA_11use_defaultESK_EENS0_5tupleIJNSA_16discard_iteratorISK_EESO_EEENSM_IJSG_SG_EEES6_PlJS6_EEE10hipError_tPvRmT3_T4_T5_T6_T7_T9_mT8_P12ihipStream_tbDpT10_ENKUlT_T0_E_clISt17integral_constantIbLb0EES1A_IbLb1EEEEDaS16_S17_EUlS16_E_NS1_11comp_targetILNS1_3genE10ELNS1_11target_archE1200ELNS1_3gpuE4ELNS1_3repE0EEENS1_30default_config_static_selectorELNS0_4arch9wavefront6targetE1EEEvT1_
	.p2align	8
	.type	_ZN7rocprim17ROCPRIM_400000_NS6detail17trampoline_kernelINS0_14default_configENS1_25partition_config_selectorILNS1_17partition_subalgoE1EiNS0_10empty_typeEbEEZZNS1_14partition_implILS5_1ELb0ES3_jN6thrust23THRUST_200600_302600_NS6detail15normal_iteratorINSA_10device_ptrIiEEEEPS6_NSA_18transform_iteratorI7is_evenIiESF_NSA_11use_defaultESK_EENS0_5tupleIJNSA_16discard_iteratorISK_EESO_EEENSM_IJSG_SG_EEES6_PlJS6_EEE10hipError_tPvRmT3_T4_T5_T6_T7_T9_mT8_P12ihipStream_tbDpT10_ENKUlT_T0_E_clISt17integral_constantIbLb0EES1A_IbLb1EEEEDaS16_S17_EUlS16_E_NS1_11comp_targetILNS1_3genE10ELNS1_11target_archE1200ELNS1_3gpuE4ELNS1_3repE0EEENS1_30default_config_static_selectorELNS0_4arch9wavefront6targetE1EEEvT1_,@function
_ZN7rocprim17ROCPRIM_400000_NS6detail17trampoline_kernelINS0_14default_configENS1_25partition_config_selectorILNS1_17partition_subalgoE1EiNS0_10empty_typeEbEEZZNS1_14partition_implILS5_1ELb0ES3_jN6thrust23THRUST_200600_302600_NS6detail15normal_iteratorINSA_10device_ptrIiEEEEPS6_NSA_18transform_iteratorI7is_evenIiESF_NSA_11use_defaultESK_EENS0_5tupleIJNSA_16discard_iteratorISK_EESO_EEENSM_IJSG_SG_EEES6_PlJS6_EEE10hipError_tPvRmT3_T4_T5_T6_T7_T9_mT8_P12ihipStream_tbDpT10_ENKUlT_T0_E_clISt17integral_constantIbLb0EES1A_IbLb1EEEEDaS16_S17_EUlS16_E_NS1_11comp_targetILNS1_3genE10ELNS1_11target_archE1200ELNS1_3gpuE4ELNS1_3repE0EEENS1_30default_config_static_selectorELNS0_4arch9wavefront6targetE1EEEvT1_: ; @_ZN7rocprim17ROCPRIM_400000_NS6detail17trampoline_kernelINS0_14default_configENS1_25partition_config_selectorILNS1_17partition_subalgoE1EiNS0_10empty_typeEbEEZZNS1_14partition_implILS5_1ELb0ES3_jN6thrust23THRUST_200600_302600_NS6detail15normal_iteratorINSA_10device_ptrIiEEEEPS6_NSA_18transform_iteratorI7is_evenIiESF_NSA_11use_defaultESK_EENS0_5tupleIJNSA_16discard_iteratorISK_EESO_EEENSM_IJSG_SG_EEES6_PlJS6_EEE10hipError_tPvRmT3_T4_T5_T6_T7_T9_mT8_P12ihipStream_tbDpT10_ENKUlT_T0_E_clISt17integral_constantIbLb0EES1A_IbLb1EEEEDaS16_S17_EUlS16_E_NS1_11comp_targetILNS1_3genE10ELNS1_11target_archE1200ELNS1_3gpuE4ELNS1_3repE0EEENS1_30default_config_static_selectorELNS0_4arch9wavefront6targetE1EEEvT1_
; %bb.0:
	.section	.rodata,"a",@progbits
	.p2align	6, 0x0
	.amdhsa_kernel _ZN7rocprim17ROCPRIM_400000_NS6detail17trampoline_kernelINS0_14default_configENS1_25partition_config_selectorILNS1_17partition_subalgoE1EiNS0_10empty_typeEbEEZZNS1_14partition_implILS5_1ELb0ES3_jN6thrust23THRUST_200600_302600_NS6detail15normal_iteratorINSA_10device_ptrIiEEEEPS6_NSA_18transform_iteratorI7is_evenIiESF_NSA_11use_defaultESK_EENS0_5tupleIJNSA_16discard_iteratorISK_EESO_EEENSM_IJSG_SG_EEES6_PlJS6_EEE10hipError_tPvRmT3_T4_T5_T6_T7_T9_mT8_P12ihipStream_tbDpT10_ENKUlT_T0_E_clISt17integral_constantIbLb0EES1A_IbLb1EEEEDaS16_S17_EUlS16_E_NS1_11comp_targetILNS1_3genE10ELNS1_11target_archE1200ELNS1_3gpuE4ELNS1_3repE0EEENS1_30default_config_static_selectorELNS0_4arch9wavefront6targetE1EEEvT1_
		.amdhsa_group_segment_fixed_size 0
		.amdhsa_private_segment_fixed_size 0
		.amdhsa_kernarg_size 160
		.amdhsa_user_sgpr_count 2
		.amdhsa_user_sgpr_dispatch_ptr 0
		.amdhsa_user_sgpr_queue_ptr 0
		.amdhsa_user_sgpr_kernarg_segment_ptr 1
		.amdhsa_user_sgpr_dispatch_id 0
		.amdhsa_user_sgpr_kernarg_preload_length 0
		.amdhsa_user_sgpr_kernarg_preload_offset 0
		.amdhsa_user_sgpr_private_segment_size 0
		.amdhsa_uses_dynamic_stack 0
		.amdhsa_enable_private_segment 0
		.amdhsa_system_sgpr_workgroup_id_x 1
		.amdhsa_system_sgpr_workgroup_id_y 0
		.amdhsa_system_sgpr_workgroup_id_z 0
		.amdhsa_system_sgpr_workgroup_info 0
		.amdhsa_system_vgpr_workitem_id 0
		.amdhsa_next_free_vgpr 1
		.amdhsa_next_free_sgpr 0
		.amdhsa_accum_offset 4
		.amdhsa_reserve_vcc 0
		.amdhsa_float_round_mode_32 0
		.amdhsa_float_round_mode_16_64 0
		.amdhsa_float_denorm_mode_32 3
		.amdhsa_float_denorm_mode_16_64 3
		.amdhsa_dx10_clamp 1
		.amdhsa_ieee_mode 1
		.amdhsa_fp16_overflow 0
		.amdhsa_tg_split 0
		.amdhsa_exception_fp_ieee_invalid_op 0
		.amdhsa_exception_fp_denorm_src 0
		.amdhsa_exception_fp_ieee_div_zero 0
		.amdhsa_exception_fp_ieee_overflow 0
		.amdhsa_exception_fp_ieee_underflow 0
		.amdhsa_exception_fp_ieee_inexact 0
		.amdhsa_exception_int_div_zero 0
	.end_amdhsa_kernel
	.section	.text._ZN7rocprim17ROCPRIM_400000_NS6detail17trampoline_kernelINS0_14default_configENS1_25partition_config_selectorILNS1_17partition_subalgoE1EiNS0_10empty_typeEbEEZZNS1_14partition_implILS5_1ELb0ES3_jN6thrust23THRUST_200600_302600_NS6detail15normal_iteratorINSA_10device_ptrIiEEEEPS6_NSA_18transform_iteratorI7is_evenIiESF_NSA_11use_defaultESK_EENS0_5tupleIJNSA_16discard_iteratorISK_EESO_EEENSM_IJSG_SG_EEES6_PlJS6_EEE10hipError_tPvRmT3_T4_T5_T6_T7_T9_mT8_P12ihipStream_tbDpT10_ENKUlT_T0_E_clISt17integral_constantIbLb0EES1A_IbLb1EEEEDaS16_S17_EUlS16_E_NS1_11comp_targetILNS1_3genE10ELNS1_11target_archE1200ELNS1_3gpuE4ELNS1_3repE0EEENS1_30default_config_static_selectorELNS0_4arch9wavefront6targetE1EEEvT1_,"axG",@progbits,_ZN7rocprim17ROCPRIM_400000_NS6detail17trampoline_kernelINS0_14default_configENS1_25partition_config_selectorILNS1_17partition_subalgoE1EiNS0_10empty_typeEbEEZZNS1_14partition_implILS5_1ELb0ES3_jN6thrust23THRUST_200600_302600_NS6detail15normal_iteratorINSA_10device_ptrIiEEEEPS6_NSA_18transform_iteratorI7is_evenIiESF_NSA_11use_defaultESK_EENS0_5tupleIJNSA_16discard_iteratorISK_EESO_EEENSM_IJSG_SG_EEES6_PlJS6_EEE10hipError_tPvRmT3_T4_T5_T6_T7_T9_mT8_P12ihipStream_tbDpT10_ENKUlT_T0_E_clISt17integral_constantIbLb0EES1A_IbLb1EEEEDaS16_S17_EUlS16_E_NS1_11comp_targetILNS1_3genE10ELNS1_11target_archE1200ELNS1_3gpuE4ELNS1_3repE0EEENS1_30default_config_static_selectorELNS0_4arch9wavefront6targetE1EEEvT1_,comdat
.Lfunc_end3288:
	.size	_ZN7rocprim17ROCPRIM_400000_NS6detail17trampoline_kernelINS0_14default_configENS1_25partition_config_selectorILNS1_17partition_subalgoE1EiNS0_10empty_typeEbEEZZNS1_14partition_implILS5_1ELb0ES3_jN6thrust23THRUST_200600_302600_NS6detail15normal_iteratorINSA_10device_ptrIiEEEEPS6_NSA_18transform_iteratorI7is_evenIiESF_NSA_11use_defaultESK_EENS0_5tupleIJNSA_16discard_iteratorISK_EESO_EEENSM_IJSG_SG_EEES6_PlJS6_EEE10hipError_tPvRmT3_T4_T5_T6_T7_T9_mT8_P12ihipStream_tbDpT10_ENKUlT_T0_E_clISt17integral_constantIbLb0EES1A_IbLb1EEEEDaS16_S17_EUlS16_E_NS1_11comp_targetILNS1_3genE10ELNS1_11target_archE1200ELNS1_3gpuE4ELNS1_3repE0EEENS1_30default_config_static_selectorELNS0_4arch9wavefront6targetE1EEEvT1_, .Lfunc_end3288-_ZN7rocprim17ROCPRIM_400000_NS6detail17trampoline_kernelINS0_14default_configENS1_25partition_config_selectorILNS1_17partition_subalgoE1EiNS0_10empty_typeEbEEZZNS1_14partition_implILS5_1ELb0ES3_jN6thrust23THRUST_200600_302600_NS6detail15normal_iteratorINSA_10device_ptrIiEEEEPS6_NSA_18transform_iteratorI7is_evenIiESF_NSA_11use_defaultESK_EENS0_5tupleIJNSA_16discard_iteratorISK_EESO_EEENSM_IJSG_SG_EEES6_PlJS6_EEE10hipError_tPvRmT3_T4_T5_T6_T7_T9_mT8_P12ihipStream_tbDpT10_ENKUlT_T0_E_clISt17integral_constantIbLb0EES1A_IbLb1EEEEDaS16_S17_EUlS16_E_NS1_11comp_targetILNS1_3genE10ELNS1_11target_archE1200ELNS1_3gpuE4ELNS1_3repE0EEENS1_30default_config_static_selectorELNS0_4arch9wavefront6targetE1EEEvT1_
                                        ; -- End function
	.section	.AMDGPU.csdata,"",@progbits
; Kernel info:
; codeLenInByte = 0
; NumSgprs: 6
; NumVgprs: 0
; NumAgprs: 0
; TotalNumVgprs: 0
; ScratchSize: 0
; MemoryBound: 0
; FloatMode: 240
; IeeeMode: 1
; LDSByteSize: 0 bytes/workgroup (compile time only)
; SGPRBlocks: 0
; VGPRBlocks: 0
; NumSGPRsForWavesPerEU: 6
; NumVGPRsForWavesPerEU: 1
; AccumOffset: 4
; Occupancy: 8
; WaveLimiterHint : 0
; COMPUTE_PGM_RSRC2:SCRATCH_EN: 0
; COMPUTE_PGM_RSRC2:USER_SGPR: 2
; COMPUTE_PGM_RSRC2:TRAP_HANDLER: 0
; COMPUTE_PGM_RSRC2:TGID_X_EN: 1
; COMPUTE_PGM_RSRC2:TGID_Y_EN: 0
; COMPUTE_PGM_RSRC2:TGID_Z_EN: 0
; COMPUTE_PGM_RSRC2:TIDIG_COMP_CNT: 0
; COMPUTE_PGM_RSRC3_GFX90A:ACCUM_OFFSET: 0
; COMPUTE_PGM_RSRC3_GFX90A:TG_SPLIT: 0
	.section	.text._ZN7rocprim17ROCPRIM_400000_NS6detail17trampoline_kernelINS0_14default_configENS1_25partition_config_selectorILNS1_17partition_subalgoE1EiNS0_10empty_typeEbEEZZNS1_14partition_implILS5_1ELb0ES3_jN6thrust23THRUST_200600_302600_NS6detail15normal_iteratorINSA_10device_ptrIiEEEEPS6_NSA_18transform_iteratorI7is_evenIiESF_NSA_11use_defaultESK_EENS0_5tupleIJNSA_16discard_iteratorISK_EESO_EEENSM_IJSG_SG_EEES6_PlJS6_EEE10hipError_tPvRmT3_T4_T5_T6_T7_T9_mT8_P12ihipStream_tbDpT10_ENKUlT_T0_E_clISt17integral_constantIbLb0EES1A_IbLb1EEEEDaS16_S17_EUlS16_E_NS1_11comp_targetILNS1_3genE9ELNS1_11target_archE1100ELNS1_3gpuE3ELNS1_3repE0EEENS1_30default_config_static_selectorELNS0_4arch9wavefront6targetE1EEEvT1_,"axG",@progbits,_ZN7rocprim17ROCPRIM_400000_NS6detail17trampoline_kernelINS0_14default_configENS1_25partition_config_selectorILNS1_17partition_subalgoE1EiNS0_10empty_typeEbEEZZNS1_14partition_implILS5_1ELb0ES3_jN6thrust23THRUST_200600_302600_NS6detail15normal_iteratorINSA_10device_ptrIiEEEEPS6_NSA_18transform_iteratorI7is_evenIiESF_NSA_11use_defaultESK_EENS0_5tupleIJNSA_16discard_iteratorISK_EESO_EEENSM_IJSG_SG_EEES6_PlJS6_EEE10hipError_tPvRmT3_T4_T5_T6_T7_T9_mT8_P12ihipStream_tbDpT10_ENKUlT_T0_E_clISt17integral_constantIbLb0EES1A_IbLb1EEEEDaS16_S17_EUlS16_E_NS1_11comp_targetILNS1_3genE9ELNS1_11target_archE1100ELNS1_3gpuE3ELNS1_3repE0EEENS1_30default_config_static_selectorELNS0_4arch9wavefront6targetE1EEEvT1_,comdat
	.protected	_ZN7rocprim17ROCPRIM_400000_NS6detail17trampoline_kernelINS0_14default_configENS1_25partition_config_selectorILNS1_17partition_subalgoE1EiNS0_10empty_typeEbEEZZNS1_14partition_implILS5_1ELb0ES3_jN6thrust23THRUST_200600_302600_NS6detail15normal_iteratorINSA_10device_ptrIiEEEEPS6_NSA_18transform_iteratorI7is_evenIiESF_NSA_11use_defaultESK_EENS0_5tupleIJNSA_16discard_iteratorISK_EESO_EEENSM_IJSG_SG_EEES6_PlJS6_EEE10hipError_tPvRmT3_T4_T5_T6_T7_T9_mT8_P12ihipStream_tbDpT10_ENKUlT_T0_E_clISt17integral_constantIbLb0EES1A_IbLb1EEEEDaS16_S17_EUlS16_E_NS1_11comp_targetILNS1_3genE9ELNS1_11target_archE1100ELNS1_3gpuE3ELNS1_3repE0EEENS1_30default_config_static_selectorELNS0_4arch9wavefront6targetE1EEEvT1_ ; -- Begin function _ZN7rocprim17ROCPRIM_400000_NS6detail17trampoline_kernelINS0_14default_configENS1_25partition_config_selectorILNS1_17partition_subalgoE1EiNS0_10empty_typeEbEEZZNS1_14partition_implILS5_1ELb0ES3_jN6thrust23THRUST_200600_302600_NS6detail15normal_iteratorINSA_10device_ptrIiEEEEPS6_NSA_18transform_iteratorI7is_evenIiESF_NSA_11use_defaultESK_EENS0_5tupleIJNSA_16discard_iteratorISK_EESO_EEENSM_IJSG_SG_EEES6_PlJS6_EEE10hipError_tPvRmT3_T4_T5_T6_T7_T9_mT8_P12ihipStream_tbDpT10_ENKUlT_T0_E_clISt17integral_constantIbLb0EES1A_IbLb1EEEEDaS16_S17_EUlS16_E_NS1_11comp_targetILNS1_3genE9ELNS1_11target_archE1100ELNS1_3gpuE3ELNS1_3repE0EEENS1_30default_config_static_selectorELNS0_4arch9wavefront6targetE1EEEvT1_
	.globl	_ZN7rocprim17ROCPRIM_400000_NS6detail17trampoline_kernelINS0_14default_configENS1_25partition_config_selectorILNS1_17partition_subalgoE1EiNS0_10empty_typeEbEEZZNS1_14partition_implILS5_1ELb0ES3_jN6thrust23THRUST_200600_302600_NS6detail15normal_iteratorINSA_10device_ptrIiEEEEPS6_NSA_18transform_iteratorI7is_evenIiESF_NSA_11use_defaultESK_EENS0_5tupleIJNSA_16discard_iteratorISK_EESO_EEENSM_IJSG_SG_EEES6_PlJS6_EEE10hipError_tPvRmT3_T4_T5_T6_T7_T9_mT8_P12ihipStream_tbDpT10_ENKUlT_T0_E_clISt17integral_constantIbLb0EES1A_IbLb1EEEEDaS16_S17_EUlS16_E_NS1_11comp_targetILNS1_3genE9ELNS1_11target_archE1100ELNS1_3gpuE3ELNS1_3repE0EEENS1_30default_config_static_selectorELNS0_4arch9wavefront6targetE1EEEvT1_
	.p2align	8
	.type	_ZN7rocprim17ROCPRIM_400000_NS6detail17trampoline_kernelINS0_14default_configENS1_25partition_config_selectorILNS1_17partition_subalgoE1EiNS0_10empty_typeEbEEZZNS1_14partition_implILS5_1ELb0ES3_jN6thrust23THRUST_200600_302600_NS6detail15normal_iteratorINSA_10device_ptrIiEEEEPS6_NSA_18transform_iteratorI7is_evenIiESF_NSA_11use_defaultESK_EENS0_5tupleIJNSA_16discard_iteratorISK_EESO_EEENSM_IJSG_SG_EEES6_PlJS6_EEE10hipError_tPvRmT3_T4_T5_T6_T7_T9_mT8_P12ihipStream_tbDpT10_ENKUlT_T0_E_clISt17integral_constantIbLb0EES1A_IbLb1EEEEDaS16_S17_EUlS16_E_NS1_11comp_targetILNS1_3genE9ELNS1_11target_archE1100ELNS1_3gpuE3ELNS1_3repE0EEENS1_30default_config_static_selectorELNS0_4arch9wavefront6targetE1EEEvT1_,@function
_ZN7rocprim17ROCPRIM_400000_NS6detail17trampoline_kernelINS0_14default_configENS1_25partition_config_selectorILNS1_17partition_subalgoE1EiNS0_10empty_typeEbEEZZNS1_14partition_implILS5_1ELb0ES3_jN6thrust23THRUST_200600_302600_NS6detail15normal_iteratorINSA_10device_ptrIiEEEEPS6_NSA_18transform_iteratorI7is_evenIiESF_NSA_11use_defaultESK_EENS0_5tupleIJNSA_16discard_iteratorISK_EESO_EEENSM_IJSG_SG_EEES6_PlJS6_EEE10hipError_tPvRmT3_T4_T5_T6_T7_T9_mT8_P12ihipStream_tbDpT10_ENKUlT_T0_E_clISt17integral_constantIbLb0EES1A_IbLb1EEEEDaS16_S17_EUlS16_E_NS1_11comp_targetILNS1_3genE9ELNS1_11target_archE1100ELNS1_3gpuE3ELNS1_3repE0EEENS1_30default_config_static_selectorELNS0_4arch9wavefront6targetE1EEEvT1_: ; @_ZN7rocprim17ROCPRIM_400000_NS6detail17trampoline_kernelINS0_14default_configENS1_25partition_config_selectorILNS1_17partition_subalgoE1EiNS0_10empty_typeEbEEZZNS1_14partition_implILS5_1ELb0ES3_jN6thrust23THRUST_200600_302600_NS6detail15normal_iteratorINSA_10device_ptrIiEEEEPS6_NSA_18transform_iteratorI7is_evenIiESF_NSA_11use_defaultESK_EENS0_5tupleIJNSA_16discard_iteratorISK_EESO_EEENSM_IJSG_SG_EEES6_PlJS6_EEE10hipError_tPvRmT3_T4_T5_T6_T7_T9_mT8_P12ihipStream_tbDpT10_ENKUlT_T0_E_clISt17integral_constantIbLb0EES1A_IbLb1EEEEDaS16_S17_EUlS16_E_NS1_11comp_targetILNS1_3genE9ELNS1_11target_archE1100ELNS1_3gpuE3ELNS1_3repE0EEENS1_30default_config_static_selectorELNS0_4arch9wavefront6targetE1EEEvT1_
; %bb.0:
	.section	.rodata,"a",@progbits
	.p2align	6, 0x0
	.amdhsa_kernel _ZN7rocprim17ROCPRIM_400000_NS6detail17trampoline_kernelINS0_14default_configENS1_25partition_config_selectorILNS1_17partition_subalgoE1EiNS0_10empty_typeEbEEZZNS1_14partition_implILS5_1ELb0ES3_jN6thrust23THRUST_200600_302600_NS6detail15normal_iteratorINSA_10device_ptrIiEEEEPS6_NSA_18transform_iteratorI7is_evenIiESF_NSA_11use_defaultESK_EENS0_5tupleIJNSA_16discard_iteratorISK_EESO_EEENSM_IJSG_SG_EEES6_PlJS6_EEE10hipError_tPvRmT3_T4_T5_T6_T7_T9_mT8_P12ihipStream_tbDpT10_ENKUlT_T0_E_clISt17integral_constantIbLb0EES1A_IbLb1EEEEDaS16_S17_EUlS16_E_NS1_11comp_targetILNS1_3genE9ELNS1_11target_archE1100ELNS1_3gpuE3ELNS1_3repE0EEENS1_30default_config_static_selectorELNS0_4arch9wavefront6targetE1EEEvT1_
		.amdhsa_group_segment_fixed_size 0
		.amdhsa_private_segment_fixed_size 0
		.amdhsa_kernarg_size 160
		.amdhsa_user_sgpr_count 2
		.amdhsa_user_sgpr_dispatch_ptr 0
		.amdhsa_user_sgpr_queue_ptr 0
		.amdhsa_user_sgpr_kernarg_segment_ptr 1
		.amdhsa_user_sgpr_dispatch_id 0
		.amdhsa_user_sgpr_kernarg_preload_length 0
		.amdhsa_user_sgpr_kernarg_preload_offset 0
		.amdhsa_user_sgpr_private_segment_size 0
		.amdhsa_uses_dynamic_stack 0
		.amdhsa_enable_private_segment 0
		.amdhsa_system_sgpr_workgroup_id_x 1
		.amdhsa_system_sgpr_workgroup_id_y 0
		.amdhsa_system_sgpr_workgroup_id_z 0
		.amdhsa_system_sgpr_workgroup_info 0
		.amdhsa_system_vgpr_workitem_id 0
		.amdhsa_next_free_vgpr 1
		.amdhsa_next_free_sgpr 0
		.amdhsa_accum_offset 4
		.amdhsa_reserve_vcc 0
		.amdhsa_float_round_mode_32 0
		.amdhsa_float_round_mode_16_64 0
		.amdhsa_float_denorm_mode_32 3
		.amdhsa_float_denorm_mode_16_64 3
		.amdhsa_dx10_clamp 1
		.amdhsa_ieee_mode 1
		.amdhsa_fp16_overflow 0
		.amdhsa_tg_split 0
		.amdhsa_exception_fp_ieee_invalid_op 0
		.amdhsa_exception_fp_denorm_src 0
		.amdhsa_exception_fp_ieee_div_zero 0
		.amdhsa_exception_fp_ieee_overflow 0
		.amdhsa_exception_fp_ieee_underflow 0
		.amdhsa_exception_fp_ieee_inexact 0
		.amdhsa_exception_int_div_zero 0
	.end_amdhsa_kernel
	.section	.text._ZN7rocprim17ROCPRIM_400000_NS6detail17trampoline_kernelINS0_14default_configENS1_25partition_config_selectorILNS1_17partition_subalgoE1EiNS0_10empty_typeEbEEZZNS1_14partition_implILS5_1ELb0ES3_jN6thrust23THRUST_200600_302600_NS6detail15normal_iteratorINSA_10device_ptrIiEEEEPS6_NSA_18transform_iteratorI7is_evenIiESF_NSA_11use_defaultESK_EENS0_5tupleIJNSA_16discard_iteratorISK_EESO_EEENSM_IJSG_SG_EEES6_PlJS6_EEE10hipError_tPvRmT3_T4_T5_T6_T7_T9_mT8_P12ihipStream_tbDpT10_ENKUlT_T0_E_clISt17integral_constantIbLb0EES1A_IbLb1EEEEDaS16_S17_EUlS16_E_NS1_11comp_targetILNS1_3genE9ELNS1_11target_archE1100ELNS1_3gpuE3ELNS1_3repE0EEENS1_30default_config_static_selectorELNS0_4arch9wavefront6targetE1EEEvT1_,"axG",@progbits,_ZN7rocprim17ROCPRIM_400000_NS6detail17trampoline_kernelINS0_14default_configENS1_25partition_config_selectorILNS1_17partition_subalgoE1EiNS0_10empty_typeEbEEZZNS1_14partition_implILS5_1ELb0ES3_jN6thrust23THRUST_200600_302600_NS6detail15normal_iteratorINSA_10device_ptrIiEEEEPS6_NSA_18transform_iteratorI7is_evenIiESF_NSA_11use_defaultESK_EENS0_5tupleIJNSA_16discard_iteratorISK_EESO_EEENSM_IJSG_SG_EEES6_PlJS6_EEE10hipError_tPvRmT3_T4_T5_T6_T7_T9_mT8_P12ihipStream_tbDpT10_ENKUlT_T0_E_clISt17integral_constantIbLb0EES1A_IbLb1EEEEDaS16_S17_EUlS16_E_NS1_11comp_targetILNS1_3genE9ELNS1_11target_archE1100ELNS1_3gpuE3ELNS1_3repE0EEENS1_30default_config_static_selectorELNS0_4arch9wavefront6targetE1EEEvT1_,comdat
.Lfunc_end3289:
	.size	_ZN7rocprim17ROCPRIM_400000_NS6detail17trampoline_kernelINS0_14default_configENS1_25partition_config_selectorILNS1_17partition_subalgoE1EiNS0_10empty_typeEbEEZZNS1_14partition_implILS5_1ELb0ES3_jN6thrust23THRUST_200600_302600_NS6detail15normal_iteratorINSA_10device_ptrIiEEEEPS6_NSA_18transform_iteratorI7is_evenIiESF_NSA_11use_defaultESK_EENS0_5tupleIJNSA_16discard_iteratorISK_EESO_EEENSM_IJSG_SG_EEES6_PlJS6_EEE10hipError_tPvRmT3_T4_T5_T6_T7_T9_mT8_P12ihipStream_tbDpT10_ENKUlT_T0_E_clISt17integral_constantIbLb0EES1A_IbLb1EEEEDaS16_S17_EUlS16_E_NS1_11comp_targetILNS1_3genE9ELNS1_11target_archE1100ELNS1_3gpuE3ELNS1_3repE0EEENS1_30default_config_static_selectorELNS0_4arch9wavefront6targetE1EEEvT1_, .Lfunc_end3289-_ZN7rocprim17ROCPRIM_400000_NS6detail17trampoline_kernelINS0_14default_configENS1_25partition_config_selectorILNS1_17partition_subalgoE1EiNS0_10empty_typeEbEEZZNS1_14partition_implILS5_1ELb0ES3_jN6thrust23THRUST_200600_302600_NS6detail15normal_iteratorINSA_10device_ptrIiEEEEPS6_NSA_18transform_iteratorI7is_evenIiESF_NSA_11use_defaultESK_EENS0_5tupleIJNSA_16discard_iteratorISK_EESO_EEENSM_IJSG_SG_EEES6_PlJS6_EEE10hipError_tPvRmT3_T4_T5_T6_T7_T9_mT8_P12ihipStream_tbDpT10_ENKUlT_T0_E_clISt17integral_constantIbLb0EES1A_IbLb1EEEEDaS16_S17_EUlS16_E_NS1_11comp_targetILNS1_3genE9ELNS1_11target_archE1100ELNS1_3gpuE3ELNS1_3repE0EEENS1_30default_config_static_selectorELNS0_4arch9wavefront6targetE1EEEvT1_
                                        ; -- End function
	.section	.AMDGPU.csdata,"",@progbits
; Kernel info:
; codeLenInByte = 0
; NumSgprs: 6
; NumVgprs: 0
; NumAgprs: 0
; TotalNumVgprs: 0
; ScratchSize: 0
; MemoryBound: 0
; FloatMode: 240
; IeeeMode: 1
; LDSByteSize: 0 bytes/workgroup (compile time only)
; SGPRBlocks: 0
; VGPRBlocks: 0
; NumSGPRsForWavesPerEU: 6
; NumVGPRsForWavesPerEU: 1
; AccumOffset: 4
; Occupancy: 8
; WaveLimiterHint : 0
; COMPUTE_PGM_RSRC2:SCRATCH_EN: 0
; COMPUTE_PGM_RSRC2:USER_SGPR: 2
; COMPUTE_PGM_RSRC2:TRAP_HANDLER: 0
; COMPUTE_PGM_RSRC2:TGID_X_EN: 1
; COMPUTE_PGM_RSRC2:TGID_Y_EN: 0
; COMPUTE_PGM_RSRC2:TGID_Z_EN: 0
; COMPUTE_PGM_RSRC2:TIDIG_COMP_CNT: 0
; COMPUTE_PGM_RSRC3_GFX90A:ACCUM_OFFSET: 0
; COMPUTE_PGM_RSRC3_GFX90A:TG_SPLIT: 0
	.section	.text._ZN7rocprim17ROCPRIM_400000_NS6detail17trampoline_kernelINS0_14default_configENS1_25partition_config_selectorILNS1_17partition_subalgoE1EiNS0_10empty_typeEbEEZZNS1_14partition_implILS5_1ELb0ES3_jN6thrust23THRUST_200600_302600_NS6detail15normal_iteratorINSA_10device_ptrIiEEEEPS6_NSA_18transform_iteratorI7is_evenIiESF_NSA_11use_defaultESK_EENS0_5tupleIJNSA_16discard_iteratorISK_EESO_EEENSM_IJSG_SG_EEES6_PlJS6_EEE10hipError_tPvRmT3_T4_T5_T6_T7_T9_mT8_P12ihipStream_tbDpT10_ENKUlT_T0_E_clISt17integral_constantIbLb0EES1A_IbLb1EEEEDaS16_S17_EUlS16_E_NS1_11comp_targetILNS1_3genE8ELNS1_11target_archE1030ELNS1_3gpuE2ELNS1_3repE0EEENS1_30default_config_static_selectorELNS0_4arch9wavefront6targetE1EEEvT1_,"axG",@progbits,_ZN7rocprim17ROCPRIM_400000_NS6detail17trampoline_kernelINS0_14default_configENS1_25partition_config_selectorILNS1_17partition_subalgoE1EiNS0_10empty_typeEbEEZZNS1_14partition_implILS5_1ELb0ES3_jN6thrust23THRUST_200600_302600_NS6detail15normal_iteratorINSA_10device_ptrIiEEEEPS6_NSA_18transform_iteratorI7is_evenIiESF_NSA_11use_defaultESK_EENS0_5tupleIJNSA_16discard_iteratorISK_EESO_EEENSM_IJSG_SG_EEES6_PlJS6_EEE10hipError_tPvRmT3_T4_T5_T6_T7_T9_mT8_P12ihipStream_tbDpT10_ENKUlT_T0_E_clISt17integral_constantIbLb0EES1A_IbLb1EEEEDaS16_S17_EUlS16_E_NS1_11comp_targetILNS1_3genE8ELNS1_11target_archE1030ELNS1_3gpuE2ELNS1_3repE0EEENS1_30default_config_static_selectorELNS0_4arch9wavefront6targetE1EEEvT1_,comdat
	.protected	_ZN7rocprim17ROCPRIM_400000_NS6detail17trampoline_kernelINS0_14default_configENS1_25partition_config_selectorILNS1_17partition_subalgoE1EiNS0_10empty_typeEbEEZZNS1_14partition_implILS5_1ELb0ES3_jN6thrust23THRUST_200600_302600_NS6detail15normal_iteratorINSA_10device_ptrIiEEEEPS6_NSA_18transform_iteratorI7is_evenIiESF_NSA_11use_defaultESK_EENS0_5tupleIJNSA_16discard_iteratorISK_EESO_EEENSM_IJSG_SG_EEES6_PlJS6_EEE10hipError_tPvRmT3_T4_T5_T6_T7_T9_mT8_P12ihipStream_tbDpT10_ENKUlT_T0_E_clISt17integral_constantIbLb0EES1A_IbLb1EEEEDaS16_S17_EUlS16_E_NS1_11comp_targetILNS1_3genE8ELNS1_11target_archE1030ELNS1_3gpuE2ELNS1_3repE0EEENS1_30default_config_static_selectorELNS0_4arch9wavefront6targetE1EEEvT1_ ; -- Begin function _ZN7rocprim17ROCPRIM_400000_NS6detail17trampoline_kernelINS0_14default_configENS1_25partition_config_selectorILNS1_17partition_subalgoE1EiNS0_10empty_typeEbEEZZNS1_14partition_implILS5_1ELb0ES3_jN6thrust23THRUST_200600_302600_NS6detail15normal_iteratorINSA_10device_ptrIiEEEEPS6_NSA_18transform_iteratorI7is_evenIiESF_NSA_11use_defaultESK_EENS0_5tupleIJNSA_16discard_iteratorISK_EESO_EEENSM_IJSG_SG_EEES6_PlJS6_EEE10hipError_tPvRmT3_T4_T5_T6_T7_T9_mT8_P12ihipStream_tbDpT10_ENKUlT_T0_E_clISt17integral_constantIbLb0EES1A_IbLb1EEEEDaS16_S17_EUlS16_E_NS1_11comp_targetILNS1_3genE8ELNS1_11target_archE1030ELNS1_3gpuE2ELNS1_3repE0EEENS1_30default_config_static_selectorELNS0_4arch9wavefront6targetE1EEEvT1_
	.globl	_ZN7rocprim17ROCPRIM_400000_NS6detail17trampoline_kernelINS0_14default_configENS1_25partition_config_selectorILNS1_17partition_subalgoE1EiNS0_10empty_typeEbEEZZNS1_14partition_implILS5_1ELb0ES3_jN6thrust23THRUST_200600_302600_NS6detail15normal_iteratorINSA_10device_ptrIiEEEEPS6_NSA_18transform_iteratorI7is_evenIiESF_NSA_11use_defaultESK_EENS0_5tupleIJNSA_16discard_iteratorISK_EESO_EEENSM_IJSG_SG_EEES6_PlJS6_EEE10hipError_tPvRmT3_T4_T5_T6_T7_T9_mT8_P12ihipStream_tbDpT10_ENKUlT_T0_E_clISt17integral_constantIbLb0EES1A_IbLb1EEEEDaS16_S17_EUlS16_E_NS1_11comp_targetILNS1_3genE8ELNS1_11target_archE1030ELNS1_3gpuE2ELNS1_3repE0EEENS1_30default_config_static_selectorELNS0_4arch9wavefront6targetE1EEEvT1_
	.p2align	8
	.type	_ZN7rocprim17ROCPRIM_400000_NS6detail17trampoline_kernelINS0_14default_configENS1_25partition_config_selectorILNS1_17partition_subalgoE1EiNS0_10empty_typeEbEEZZNS1_14partition_implILS5_1ELb0ES3_jN6thrust23THRUST_200600_302600_NS6detail15normal_iteratorINSA_10device_ptrIiEEEEPS6_NSA_18transform_iteratorI7is_evenIiESF_NSA_11use_defaultESK_EENS0_5tupleIJNSA_16discard_iteratorISK_EESO_EEENSM_IJSG_SG_EEES6_PlJS6_EEE10hipError_tPvRmT3_T4_T5_T6_T7_T9_mT8_P12ihipStream_tbDpT10_ENKUlT_T0_E_clISt17integral_constantIbLb0EES1A_IbLb1EEEEDaS16_S17_EUlS16_E_NS1_11comp_targetILNS1_3genE8ELNS1_11target_archE1030ELNS1_3gpuE2ELNS1_3repE0EEENS1_30default_config_static_selectorELNS0_4arch9wavefront6targetE1EEEvT1_,@function
_ZN7rocprim17ROCPRIM_400000_NS6detail17trampoline_kernelINS0_14default_configENS1_25partition_config_selectorILNS1_17partition_subalgoE1EiNS0_10empty_typeEbEEZZNS1_14partition_implILS5_1ELb0ES3_jN6thrust23THRUST_200600_302600_NS6detail15normal_iteratorINSA_10device_ptrIiEEEEPS6_NSA_18transform_iteratorI7is_evenIiESF_NSA_11use_defaultESK_EENS0_5tupleIJNSA_16discard_iteratorISK_EESO_EEENSM_IJSG_SG_EEES6_PlJS6_EEE10hipError_tPvRmT3_T4_T5_T6_T7_T9_mT8_P12ihipStream_tbDpT10_ENKUlT_T0_E_clISt17integral_constantIbLb0EES1A_IbLb1EEEEDaS16_S17_EUlS16_E_NS1_11comp_targetILNS1_3genE8ELNS1_11target_archE1030ELNS1_3gpuE2ELNS1_3repE0EEENS1_30default_config_static_selectorELNS0_4arch9wavefront6targetE1EEEvT1_: ; @_ZN7rocprim17ROCPRIM_400000_NS6detail17trampoline_kernelINS0_14default_configENS1_25partition_config_selectorILNS1_17partition_subalgoE1EiNS0_10empty_typeEbEEZZNS1_14partition_implILS5_1ELb0ES3_jN6thrust23THRUST_200600_302600_NS6detail15normal_iteratorINSA_10device_ptrIiEEEEPS6_NSA_18transform_iteratorI7is_evenIiESF_NSA_11use_defaultESK_EENS0_5tupleIJNSA_16discard_iteratorISK_EESO_EEENSM_IJSG_SG_EEES6_PlJS6_EEE10hipError_tPvRmT3_T4_T5_T6_T7_T9_mT8_P12ihipStream_tbDpT10_ENKUlT_T0_E_clISt17integral_constantIbLb0EES1A_IbLb1EEEEDaS16_S17_EUlS16_E_NS1_11comp_targetILNS1_3genE8ELNS1_11target_archE1030ELNS1_3gpuE2ELNS1_3repE0EEENS1_30default_config_static_selectorELNS0_4arch9wavefront6targetE1EEEvT1_
; %bb.0:
	.section	.rodata,"a",@progbits
	.p2align	6, 0x0
	.amdhsa_kernel _ZN7rocprim17ROCPRIM_400000_NS6detail17trampoline_kernelINS0_14default_configENS1_25partition_config_selectorILNS1_17partition_subalgoE1EiNS0_10empty_typeEbEEZZNS1_14partition_implILS5_1ELb0ES3_jN6thrust23THRUST_200600_302600_NS6detail15normal_iteratorINSA_10device_ptrIiEEEEPS6_NSA_18transform_iteratorI7is_evenIiESF_NSA_11use_defaultESK_EENS0_5tupleIJNSA_16discard_iteratorISK_EESO_EEENSM_IJSG_SG_EEES6_PlJS6_EEE10hipError_tPvRmT3_T4_T5_T6_T7_T9_mT8_P12ihipStream_tbDpT10_ENKUlT_T0_E_clISt17integral_constantIbLb0EES1A_IbLb1EEEEDaS16_S17_EUlS16_E_NS1_11comp_targetILNS1_3genE8ELNS1_11target_archE1030ELNS1_3gpuE2ELNS1_3repE0EEENS1_30default_config_static_selectorELNS0_4arch9wavefront6targetE1EEEvT1_
		.amdhsa_group_segment_fixed_size 0
		.amdhsa_private_segment_fixed_size 0
		.amdhsa_kernarg_size 160
		.amdhsa_user_sgpr_count 2
		.amdhsa_user_sgpr_dispatch_ptr 0
		.amdhsa_user_sgpr_queue_ptr 0
		.amdhsa_user_sgpr_kernarg_segment_ptr 1
		.amdhsa_user_sgpr_dispatch_id 0
		.amdhsa_user_sgpr_kernarg_preload_length 0
		.amdhsa_user_sgpr_kernarg_preload_offset 0
		.amdhsa_user_sgpr_private_segment_size 0
		.amdhsa_uses_dynamic_stack 0
		.amdhsa_enable_private_segment 0
		.amdhsa_system_sgpr_workgroup_id_x 1
		.amdhsa_system_sgpr_workgroup_id_y 0
		.amdhsa_system_sgpr_workgroup_id_z 0
		.amdhsa_system_sgpr_workgroup_info 0
		.amdhsa_system_vgpr_workitem_id 0
		.amdhsa_next_free_vgpr 1
		.amdhsa_next_free_sgpr 0
		.amdhsa_accum_offset 4
		.amdhsa_reserve_vcc 0
		.amdhsa_float_round_mode_32 0
		.amdhsa_float_round_mode_16_64 0
		.amdhsa_float_denorm_mode_32 3
		.amdhsa_float_denorm_mode_16_64 3
		.amdhsa_dx10_clamp 1
		.amdhsa_ieee_mode 1
		.amdhsa_fp16_overflow 0
		.amdhsa_tg_split 0
		.amdhsa_exception_fp_ieee_invalid_op 0
		.amdhsa_exception_fp_denorm_src 0
		.amdhsa_exception_fp_ieee_div_zero 0
		.amdhsa_exception_fp_ieee_overflow 0
		.amdhsa_exception_fp_ieee_underflow 0
		.amdhsa_exception_fp_ieee_inexact 0
		.amdhsa_exception_int_div_zero 0
	.end_amdhsa_kernel
	.section	.text._ZN7rocprim17ROCPRIM_400000_NS6detail17trampoline_kernelINS0_14default_configENS1_25partition_config_selectorILNS1_17partition_subalgoE1EiNS0_10empty_typeEbEEZZNS1_14partition_implILS5_1ELb0ES3_jN6thrust23THRUST_200600_302600_NS6detail15normal_iteratorINSA_10device_ptrIiEEEEPS6_NSA_18transform_iteratorI7is_evenIiESF_NSA_11use_defaultESK_EENS0_5tupleIJNSA_16discard_iteratorISK_EESO_EEENSM_IJSG_SG_EEES6_PlJS6_EEE10hipError_tPvRmT3_T4_T5_T6_T7_T9_mT8_P12ihipStream_tbDpT10_ENKUlT_T0_E_clISt17integral_constantIbLb0EES1A_IbLb1EEEEDaS16_S17_EUlS16_E_NS1_11comp_targetILNS1_3genE8ELNS1_11target_archE1030ELNS1_3gpuE2ELNS1_3repE0EEENS1_30default_config_static_selectorELNS0_4arch9wavefront6targetE1EEEvT1_,"axG",@progbits,_ZN7rocprim17ROCPRIM_400000_NS6detail17trampoline_kernelINS0_14default_configENS1_25partition_config_selectorILNS1_17partition_subalgoE1EiNS0_10empty_typeEbEEZZNS1_14partition_implILS5_1ELb0ES3_jN6thrust23THRUST_200600_302600_NS6detail15normal_iteratorINSA_10device_ptrIiEEEEPS6_NSA_18transform_iteratorI7is_evenIiESF_NSA_11use_defaultESK_EENS0_5tupleIJNSA_16discard_iteratorISK_EESO_EEENSM_IJSG_SG_EEES6_PlJS6_EEE10hipError_tPvRmT3_T4_T5_T6_T7_T9_mT8_P12ihipStream_tbDpT10_ENKUlT_T0_E_clISt17integral_constantIbLb0EES1A_IbLb1EEEEDaS16_S17_EUlS16_E_NS1_11comp_targetILNS1_3genE8ELNS1_11target_archE1030ELNS1_3gpuE2ELNS1_3repE0EEENS1_30default_config_static_selectorELNS0_4arch9wavefront6targetE1EEEvT1_,comdat
.Lfunc_end3290:
	.size	_ZN7rocprim17ROCPRIM_400000_NS6detail17trampoline_kernelINS0_14default_configENS1_25partition_config_selectorILNS1_17partition_subalgoE1EiNS0_10empty_typeEbEEZZNS1_14partition_implILS5_1ELb0ES3_jN6thrust23THRUST_200600_302600_NS6detail15normal_iteratorINSA_10device_ptrIiEEEEPS6_NSA_18transform_iteratorI7is_evenIiESF_NSA_11use_defaultESK_EENS0_5tupleIJNSA_16discard_iteratorISK_EESO_EEENSM_IJSG_SG_EEES6_PlJS6_EEE10hipError_tPvRmT3_T4_T5_T6_T7_T9_mT8_P12ihipStream_tbDpT10_ENKUlT_T0_E_clISt17integral_constantIbLb0EES1A_IbLb1EEEEDaS16_S17_EUlS16_E_NS1_11comp_targetILNS1_3genE8ELNS1_11target_archE1030ELNS1_3gpuE2ELNS1_3repE0EEENS1_30default_config_static_selectorELNS0_4arch9wavefront6targetE1EEEvT1_, .Lfunc_end3290-_ZN7rocprim17ROCPRIM_400000_NS6detail17trampoline_kernelINS0_14default_configENS1_25partition_config_selectorILNS1_17partition_subalgoE1EiNS0_10empty_typeEbEEZZNS1_14partition_implILS5_1ELb0ES3_jN6thrust23THRUST_200600_302600_NS6detail15normal_iteratorINSA_10device_ptrIiEEEEPS6_NSA_18transform_iteratorI7is_evenIiESF_NSA_11use_defaultESK_EENS0_5tupleIJNSA_16discard_iteratorISK_EESO_EEENSM_IJSG_SG_EEES6_PlJS6_EEE10hipError_tPvRmT3_T4_T5_T6_T7_T9_mT8_P12ihipStream_tbDpT10_ENKUlT_T0_E_clISt17integral_constantIbLb0EES1A_IbLb1EEEEDaS16_S17_EUlS16_E_NS1_11comp_targetILNS1_3genE8ELNS1_11target_archE1030ELNS1_3gpuE2ELNS1_3repE0EEENS1_30default_config_static_selectorELNS0_4arch9wavefront6targetE1EEEvT1_
                                        ; -- End function
	.section	.AMDGPU.csdata,"",@progbits
; Kernel info:
; codeLenInByte = 0
; NumSgprs: 6
; NumVgprs: 0
; NumAgprs: 0
; TotalNumVgprs: 0
; ScratchSize: 0
; MemoryBound: 0
; FloatMode: 240
; IeeeMode: 1
; LDSByteSize: 0 bytes/workgroup (compile time only)
; SGPRBlocks: 0
; VGPRBlocks: 0
; NumSGPRsForWavesPerEU: 6
; NumVGPRsForWavesPerEU: 1
; AccumOffset: 4
; Occupancy: 8
; WaveLimiterHint : 0
; COMPUTE_PGM_RSRC2:SCRATCH_EN: 0
; COMPUTE_PGM_RSRC2:USER_SGPR: 2
; COMPUTE_PGM_RSRC2:TRAP_HANDLER: 0
; COMPUTE_PGM_RSRC2:TGID_X_EN: 1
; COMPUTE_PGM_RSRC2:TGID_Y_EN: 0
; COMPUTE_PGM_RSRC2:TGID_Z_EN: 0
; COMPUTE_PGM_RSRC2:TIDIG_COMP_CNT: 0
; COMPUTE_PGM_RSRC3_GFX90A:ACCUM_OFFSET: 0
; COMPUTE_PGM_RSRC3_GFX90A:TG_SPLIT: 0
	.section	.text._ZN7rocprim17ROCPRIM_400000_NS6detail17trampoline_kernelINS0_14default_configENS1_25partition_config_selectorILNS1_17partition_subalgoE1EiNS0_10empty_typeEbEEZZNS1_14partition_implILS5_1ELb0ES3_jN6thrust23THRUST_200600_302600_NS6detail15normal_iteratorINSA_10device_ptrIiEEEEPS6_NSA_18transform_iteratorI7is_evenIiESF_NSA_11use_defaultESK_EENS0_5tupleIJSF_NSA_16discard_iteratorISK_EEEEENSM_IJSG_SG_EEES6_PlJS6_EEE10hipError_tPvRmT3_T4_T5_T6_T7_T9_mT8_P12ihipStream_tbDpT10_ENKUlT_T0_E_clISt17integral_constantIbLb0EES1B_EEDaS16_S17_EUlS16_E_NS1_11comp_targetILNS1_3genE0ELNS1_11target_archE4294967295ELNS1_3gpuE0ELNS1_3repE0EEENS1_30default_config_static_selectorELNS0_4arch9wavefront6targetE1EEEvT1_,"axG",@progbits,_ZN7rocprim17ROCPRIM_400000_NS6detail17trampoline_kernelINS0_14default_configENS1_25partition_config_selectorILNS1_17partition_subalgoE1EiNS0_10empty_typeEbEEZZNS1_14partition_implILS5_1ELb0ES3_jN6thrust23THRUST_200600_302600_NS6detail15normal_iteratorINSA_10device_ptrIiEEEEPS6_NSA_18transform_iteratorI7is_evenIiESF_NSA_11use_defaultESK_EENS0_5tupleIJSF_NSA_16discard_iteratorISK_EEEEENSM_IJSG_SG_EEES6_PlJS6_EEE10hipError_tPvRmT3_T4_T5_T6_T7_T9_mT8_P12ihipStream_tbDpT10_ENKUlT_T0_E_clISt17integral_constantIbLb0EES1B_EEDaS16_S17_EUlS16_E_NS1_11comp_targetILNS1_3genE0ELNS1_11target_archE4294967295ELNS1_3gpuE0ELNS1_3repE0EEENS1_30default_config_static_selectorELNS0_4arch9wavefront6targetE1EEEvT1_,comdat
	.protected	_ZN7rocprim17ROCPRIM_400000_NS6detail17trampoline_kernelINS0_14default_configENS1_25partition_config_selectorILNS1_17partition_subalgoE1EiNS0_10empty_typeEbEEZZNS1_14partition_implILS5_1ELb0ES3_jN6thrust23THRUST_200600_302600_NS6detail15normal_iteratorINSA_10device_ptrIiEEEEPS6_NSA_18transform_iteratorI7is_evenIiESF_NSA_11use_defaultESK_EENS0_5tupleIJSF_NSA_16discard_iteratorISK_EEEEENSM_IJSG_SG_EEES6_PlJS6_EEE10hipError_tPvRmT3_T4_T5_T6_T7_T9_mT8_P12ihipStream_tbDpT10_ENKUlT_T0_E_clISt17integral_constantIbLb0EES1B_EEDaS16_S17_EUlS16_E_NS1_11comp_targetILNS1_3genE0ELNS1_11target_archE4294967295ELNS1_3gpuE0ELNS1_3repE0EEENS1_30default_config_static_selectorELNS0_4arch9wavefront6targetE1EEEvT1_ ; -- Begin function _ZN7rocprim17ROCPRIM_400000_NS6detail17trampoline_kernelINS0_14default_configENS1_25partition_config_selectorILNS1_17partition_subalgoE1EiNS0_10empty_typeEbEEZZNS1_14partition_implILS5_1ELb0ES3_jN6thrust23THRUST_200600_302600_NS6detail15normal_iteratorINSA_10device_ptrIiEEEEPS6_NSA_18transform_iteratorI7is_evenIiESF_NSA_11use_defaultESK_EENS0_5tupleIJSF_NSA_16discard_iteratorISK_EEEEENSM_IJSG_SG_EEES6_PlJS6_EEE10hipError_tPvRmT3_T4_T5_T6_T7_T9_mT8_P12ihipStream_tbDpT10_ENKUlT_T0_E_clISt17integral_constantIbLb0EES1B_EEDaS16_S17_EUlS16_E_NS1_11comp_targetILNS1_3genE0ELNS1_11target_archE4294967295ELNS1_3gpuE0ELNS1_3repE0EEENS1_30default_config_static_selectorELNS0_4arch9wavefront6targetE1EEEvT1_
	.globl	_ZN7rocprim17ROCPRIM_400000_NS6detail17trampoline_kernelINS0_14default_configENS1_25partition_config_selectorILNS1_17partition_subalgoE1EiNS0_10empty_typeEbEEZZNS1_14partition_implILS5_1ELb0ES3_jN6thrust23THRUST_200600_302600_NS6detail15normal_iteratorINSA_10device_ptrIiEEEEPS6_NSA_18transform_iteratorI7is_evenIiESF_NSA_11use_defaultESK_EENS0_5tupleIJSF_NSA_16discard_iteratorISK_EEEEENSM_IJSG_SG_EEES6_PlJS6_EEE10hipError_tPvRmT3_T4_T5_T6_T7_T9_mT8_P12ihipStream_tbDpT10_ENKUlT_T0_E_clISt17integral_constantIbLb0EES1B_EEDaS16_S17_EUlS16_E_NS1_11comp_targetILNS1_3genE0ELNS1_11target_archE4294967295ELNS1_3gpuE0ELNS1_3repE0EEENS1_30default_config_static_selectorELNS0_4arch9wavefront6targetE1EEEvT1_
	.p2align	8
	.type	_ZN7rocprim17ROCPRIM_400000_NS6detail17trampoline_kernelINS0_14default_configENS1_25partition_config_selectorILNS1_17partition_subalgoE1EiNS0_10empty_typeEbEEZZNS1_14partition_implILS5_1ELb0ES3_jN6thrust23THRUST_200600_302600_NS6detail15normal_iteratorINSA_10device_ptrIiEEEEPS6_NSA_18transform_iteratorI7is_evenIiESF_NSA_11use_defaultESK_EENS0_5tupleIJSF_NSA_16discard_iteratorISK_EEEEENSM_IJSG_SG_EEES6_PlJS6_EEE10hipError_tPvRmT3_T4_T5_T6_T7_T9_mT8_P12ihipStream_tbDpT10_ENKUlT_T0_E_clISt17integral_constantIbLb0EES1B_EEDaS16_S17_EUlS16_E_NS1_11comp_targetILNS1_3genE0ELNS1_11target_archE4294967295ELNS1_3gpuE0ELNS1_3repE0EEENS1_30default_config_static_selectorELNS0_4arch9wavefront6targetE1EEEvT1_,@function
_ZN7rocprim17ROCPRIM_400000_NS6detail17trampoline_kernelINS0_14default_configENS1_25partition_config_selectorILNS1_17partition_subalgoE1EiNS0_10empty_typeEbEEZZNS1_14partition_implILS5_1ELb0ES3_jN6thrust23THRUST_200600_302600_NS6detail15normal_iteratorINSA_10device_ptrIiEEEEPS6_NSA_18transform_iteratorI7is_evenIiESF_NSA_11use_defaultESK_EENS0_5tupleIJSF_NSA_16discard_iteratorISK_EEEEENSM_IJSG_SG_EEES6_PlJS6_EEE10hipError_tPvRmT3_T4_T5_T6_T7_T9_mT8_P12ihipStream_tbDpT10_ENKUlT_T0_E_clISt17integral_constantIbLb0EES1B_EEDaS16_S17_EUlS16_E_NS1_11comp_targetILNS1_3genE0ELNS1_11target_archE4294967295ELNS1_3gpuE0ELNS1_3repE0EEENS1_30default_config_static_selectorELNS0_4arch9wavefront6targetE1EEEvT1_: ; @_ZN7rocprim17ROCPRIM_400000_NS6detail17trampoline_kernelINS0_14default_configENS1_25partition_config_selectorILNS1_17partition_subalgoE1EiNS0_10empty_typeEbEEZZNS1_14partition_implILS5_1ELb0ES3_jN6thrust23THRUST_200600_302600_NS6detail15normal_iteratorINSA_10device_ptrIiEEEEPS6_NSA_18transform_iteratorI7is_evenIiESF_NSA_11use_defaultESK_EENS0_5tupleIJSF_NSA_16discard_iteratorISK_EEEEENSM_IJSG_SG_EEES6_PlJS6_EEE10hipError_tPvRmT3_T4_T5_T6_T7_T9_mT8_P12ihipStream_tbDpT10_ENKUlT_T0_E_clISt17integral_constantIbLb0EES1B_EEDaS16_S17_EUlS16_E_NS1_11comp_targetILNS1_3genE0ELNS1_11target_archE4294967295ELNS1_3gpuE0ELNS1_3repE0EEENS1_30default_config_static_selectorELNS0_4arch9wavefront6targetE1EEEvT1_
; %bb.0:
	.section	.rodata,"a",@progbits
	.p2align	6, 0x0
	.amdhsa_kernel _ZN7rocprim17ROCPRIM_400000_NS6detail17trampoline_kernelINS0_14default_configENS1_25partition_config_selectorILNS1_17partition_subalgoE1EiNS0_10empty_typeEbEEZZNS1_14partition_implILS5_1ELb0ES3_jN6thrust23THRUST_200600_302600_NS6detail15normal_iteratorINSA_10device_ptrIiEEEEPS6_NSA_18transform_iteratorI7is_evenIiESF_NSA_11use_defaultESK_EENS0_5tupleIJSF_NSA_16discard_iteratorISK_EEEEENSM_IJSG_SG_EEES6_PlJS6_EEE10hipError_tPvRmT3_T4_T5_T6_T7_T9_mT8_P12ihipStream_tbDpT10_ENKUlT_T0_E_clISt17integral_constantIbLb0EES1B_EEDaS16_S17_EUlS16_E_NS1_11comp_targetILNS1_3genE0ELNS1_11target_archE4294967295ELNS1_3gpuE0ELNS1_3repE0EEENS1_30default_config_static_selectorELNS0_4arch9wavefront6targetE1EEEvT1_
		.amdhsa_group_segment_fixed_size 0
		.amdhsa_private_segment_fixed_size 0
		.amdhsa_kernarg_size 136
		.amdhsa_user_sgpr_count 2
		.amdhsa_user_sgpr_dispatch_ptr 0
		.amdhsa_user_sgpr_queue_ptr 0
		.amdhsa_user_sgpr_kernarg_segment_ptr 1
		.amdhsa_user_sgpr_dispatch_id 0
		.amdhsa_user_sgpr_kernarg_preload_length 0
		.amdhsa_user_sgpr_kernarg_preload_offset 0
		.amdhsa_user_sgpr_private_segment_size 0
		.amdhsa_uses_dynamic_stack 0
		.amdhsa_enable_private_segment 0
		.amdhsa_system_sgpr_workgroup_id_x 1
		.amdhsa_system_sgpr_workgroup_id_y 0
		.amdhsa_system_sgpr_workgroup_id_z 0
		.amdhsa_system_sgpr_workgroup_info 0
		.amdhsa_system_vgpr_workitem_id 0
		.amdhsa_next_free_vgpr 1
		.amdhsa_next_free_sgpr 0
		.amdhsa_accum_offset 4
		.amdhsa_reserve_vcc 0
		.amdhsa_float_round_mode_32 0
		.amdhsa_float_round_mode_16_64 0
		.amdhsa_float_denorm_mode_32 3
		.amdhsa_float_denorm_mode_16_64 3
		.amdhsa_dx10_clamp 1
		.amdhsa_ieee_mode 1
		.amdhsa_fp16_overflow 0
		.amdhsa_tg_split 0
		.amdhsa_exception_fp_ieee_invalid_op 0
		.amdhsa_exception_fp_denorm_src 0
		.amdhsa_exception_fp_ieee_div_zero 0
		.amdhsa_exception_fp_ieee_overflow 0
		.amdhsa_exception_fp_ieee_underflow 0
		.amdhsa_exception_fp_ieee_inexact 0
		.amdhsa_exception_int_div_zero 0
	.end_amdhsa_kernel
	.section	.text._ZN7rocprim17ROCPRIM_400000_NS6detail17trampoline_kernelINS0_14default_configENS1_25partition_config_selectorILNS1_17partition_subalgoE1EiNS0_10empty_typeEbEEZZNS1_14partition_implILS5_1ELb0ES3_jN6thrust23THRUST_200600_302600_NS6detail15normal_iteratorINSA_10device_ptrIiEEEEPS6_NSA_18transform_iteratorI7is_evenIiESF_NSA_11use_defaultESK_EENS0_5tupleIJSF_NSA_16discard_iteratorISK_EEEEENSM_IJSG_SG_EEES6_PlJS6_EEE10hipError_tPvRmT3_T4_T5_T6_T7_T9_mT8_P12ihipStream_tbDpT10_ENKUlT_T0_E_clISt17integral_constantIbLb0EES1B_EEDaS16_S17_EUlS16_E_NS1_11comp_targetILNS1_3genE0ELNS1_11target_archE4294967295ELNS1_3gpuE0ELNS1_3repE0EEENS1_30default_config_static_selectorELNS0_4arch9wavefront6targetE1EEEvT1_,"axG",@progbits,_ZN7rocprim17ROCPRIM_400000_NS6detail17trampoline_kernelINS0_14default_configENS1_25partition_config_selectorILNS1_17partition_subalgoE1EiNS0_10empty_typeEbEEZZNS1_14partition_implILS5_1ELb0ES3_jN6thrust23THRUST_200600_302600_NS6detail15normal_iteratorINSA_10device_ptrIiEEEEPS6_NSA_18transform_iteratorI7is_evenIiESF_NSA_11use_defaultESK_EENS0_5tupleIJSF_NSA_16discard_iteratorISK_EEEEENSM_IJSG_SG_EEES6_PlJS6_EEE10hipError_tPvRmT3_T4_T5_T6_T7_T9_mT8_P12ihipStream_tbDpT10_ENKUlT_T0_E_clISt17integral_constantIbLb0EES1B_EEDaS16_S17_EUlS16_E_NS1_11comp_targetILNS1_3genE0ELNS1_11target_archE4294967295ELNS1_3gpuE0ELNS1_3repE0EEENS1_30default_config_static_selectorELNS0_4arch9wavefront6targetE1EEEvT1_,comdat
.Lfunc_end3291:
	.size	_ZN7rocprim17ROCPRIM_400000_NS6detail17trampoline_kernelINS0_14default_configENS1_25partition_config_selectorILNS1_17partition_subalgoE1EiNS0_10empty_typeEbEEZZNS1_14partition_implILS5_1ELb0ES3_jN6thrust23THRUST_200600_302600_NS6detail15normal_iteratorINSA_10device_ptrIiEEEEPS6_NSA_18transform_iteratorI7is_evenIiESF_NSA_11use_defaultESK_EENS0_5tupleIJSF_NSA_16discard_iteratorISK_EEEEENSM_IJSG_SG_EEES6_PlJS6_EEE10hipError_tPvRmT3_T4_T5_T6_T7_T9_mT8_P12ihipStream_tbDpT10_ENKUlT_T0_E_clISt17integral_constantIbLb0EES1B_EEDaS16_S17_EUlS16_E_NS1_11comp_targetILNS1_3genE0ELNS1_11target_archE4294967295ELNS1_3gpuE0ELNS1_3repE0EEENS1_30default_config_static_selectorELNS0_4arch9wavefront6targetE1EEEvT1_, .Lfunc_end3291-_ZN7rocprim17ROCPRIM_400000_NS6detail17trampoline_kernelINS0_14default_configENS1_25partition_config_selectorILNS1_17partition_subalgoE1EiNS0_10empty_typeEbEEZZNS1_14partition_implILS5_1ELb0ES3_jN6thrust23THRUST_200600_302600_NS6detail15normal_iteratorINSA_10device_ptrIiEEEEPS6_NSA_18transform_iteratorI7is_evenIiESF_NSA_11use_defaultESK_EENS0_5tupleIJSF_NSA_16discard_iteratorISK_EEEEENSM_IJSG_SG_EEES6_PlJS6_EEE10hipError_tPvRmT3_T4_T5_T6_T7_T9_mT8_P12ihipStream_tbDpT10_ENKUlT_T0_E_clISt17integral_constantIbLb0EES1B_EEDaS16_S17_EUlS16_E_NS1_11comp_targetILNS1_3genE0ELNS1_11target_archE4294967295ELNS1_3gpuE0ELNS1_3repE0EEENS1_30default_config_static_selectorELNS0_4arch9wavefront6targetE1EEEvT1_
                                        ; -- End function
	.section	.AMDGPU.csdata,"",@progbits
; Kernel info:
; codeLenInByte = 0
; NumSgprs: 6
; NumVgprs: 0
; NumAgprs: 0
; TotalNumVgprs: 0
; ScratchSize: 0
; MemoryBound: 0
; FloatMode: 240
; IeeeMode: 1
; LDSByteSize: 0 bytes/workgroup (compile time only)
; SGPRBlocks: 0
; VGPRBlocks: 0
; NumSGPRsForWavesPerEU: 6
; NumVGPRsForWavesPerEU: 1
; AccumOffset: 4
; Occupancy: 8
; WaveLimiterHint : 0
; COMPUTE_PGM_RSRC2:SCRATCH_EN: 0
; COMPUTE_PGM_RSRC2:USER_SGPR: 2
; COMPUTE_PGM_RSRC2:TRAP_HANDLER: 0
; COMPUTE_PGM_RSRC2:TGID_X_EN: 1
; COMPUTE_PGM_RSRC2:TGID_Y_EN: 0
; COMPUTE_PGM_RSRC2:TGID_Z_EN: 0
; COMPUTE_PGM_RSRC2:TIDIG_COMP_CNT: 0
; COMPUTE_PGM_RSRC3_GFX90A:ACCUM_OFFSET: 0
; COMPUTE_PGM_RSRC3_GFX90A:TG_SPLIT: 0
	.section	.text._ZN7rocprim17ROCPRIM_400000_NS6detail17trampoline_kernelINS0_14default_configENS1_25partition_config_selectorILNS1_17partition_subalgoE1EiNS0_10empty_typeEbEEZZNS1_14partition_implILS5_1ELb0ES3_jN6thrust23THRUST_200600_302600_NS6detail15normal_iteratorINSA_10device_ptrIiEEEEPS6_NSA_18transform_iteratorI7is_evenIiESF_NSA_11use_defaultESK_EENS0_5tupleIJSF_NSA_16discard_iteratorISK_EEEEENSM_IJSG_SG_EEES6_PlJS6_EEE10hipError_tPvRmT3_T4_T5_T6_T7_T9_mT8_P12ihipStream_tbDpT10_ENKUlT_T0_E_clISt17integral_constantIbLb0EES1B_EEDaS16_S17_EUlS16_E_NS1_11comp_targetILNS1_3genE5ELNS1_11target_archE942ELNS1_3gpuE9ELNS1_3repE0EEENS1_30default_config_static_selectorELNS0_4arch9wavefront6targetE1EEEvT1_,"axG",@progbits,_ZN7rocprim17ROCPRIM_400000_NS6detail17trampoline_kernelINS0_14default_configENS1_25partition_config_selectorILNS1_17partition_subalgoE1EiNS0_10empty_typeEbEEZZNS1_14partition_implILS5_1ELb0ES3_jN6thrust23THRUST_200600_302600_NS6detail15normal_iteratorINSA_10device_ptrIiEEEEPS6_NSA_18transform_iteratorI7is_evenIiESF_NSA_11use_defaultESK_EENS0_5tupleIJSF_NSA_16discard_iteratorISK_EEEEENSM_IJSG_SG_EEES6_PlJS6_EEE10hipError_tPvRmT3_T4_T5_T6_T7_T9_mT8_P12ihipStream_tbDpT10_ENKUlT_T0_E_clISt17integral_constantIbLb0EES1B_EEDaS16_S17_EUlS16_E_NS1_11comp_targetILNS1_3genE5ELNS1_11target_archE942ELNS1_3gpuE9ELNS1_3repE0EEENS1_30default_config_static_selectorELNS0_4arch9wavefront6targetE1EEEvT1_,comdat
	.protected	_ZN7rocprim17ROCPRIM_400000_NS6detail17trampoline_kernelINS0_14default_configENS1_25partition_config_selectorILNS1_17partition_subalgoE1EiNS0_10empty_typeEbEEZZNS1_14partition_implILS5_1ELb0ES3_jN6thrust23THRUST_200600_302600_NS6detail15normal_iteratorINSA_10device_ptrIiEEEEPS6_NSA_18transform_iteratorI7is_evenIiESF_NSA_11use_defaultESK_EENS0_5tupleIJSF_NSA_16discard_iteratorISK_EEEEENSM_IJSG_SG_EEES6_PlJS6_EEE10hipError_tPvRmT3_T4_T5_T6_T7_T9_mT8_P12ihipStream_tbDpT10_ENKUlT_T0_E_clISt17integral_constantIbLb0EES1B_EEDaS16_S17_EUlS16_E_NS1_11comp_targetILNS1_3genE5ELNS1_11target_archE942ELNS1_3gpuE9ELNS1_3repE0EEENS1_30default_config_static_selectorELNS0_4arch9wavefront6targetE1EEEvT1_ ; -- Begin function _ZN7rocprim17ROCPRIM_400000_NS6detail17trampoline_kernelINS0_14default_configENS1_25partition_config_selectorILNS1_17partition_subalgoE1EiNS0_10empty_typeEbEEZZNS1_14partition_implILS5_1ELb0ES3_jN6thrust23THRUST_200600_302600_NS6detail15normal_iteratorINSA_10device_ptrIiEEEEPS6_NSA_18transform_iteratorI7is_evenIiESF_NSA_11use_defaultESK_EENS0_5tupleIJSF_NSA_16discard_iteratorISK_EEEEENSM_IJSG_SG_EEES6_PlJS6_EEE10hipError_tPvRmT3_T4_T5_T6_T7_T9_mT8_P12ihipStream_tbDpT10_ENKUlT_T0_E_clISt17integral_constantIbLb0EES1B_EEDaS16_S17_EUlS16_E_NS1_11comp_targetILNS1_3genE5ELNS1_11target_archE942ELNS1_3gpuE9ELNS1_3repE0EEENS1_30default_config_static_selectorELNS0_4arch9wavefront6targetE1EEEvT1_
	.globl	_ZN7rocprim17ROCPRIM_400000_NS6detail17trampoline_kernelINS0_14default_configENS1_25partition_config_selectorILNS1_17partition_subalgoE1EiNS0_10empty_typeEbEEZZNS1_14partition_implILS5_1ELb0ES3_jN6thrust23THRUST_200600_302600_NS6detail15normal_iteratorINSA_10device_ptrIiEEEEPS6_NSA_18transform_iteratorI7is_evenIiESF_NSA_11use_defaultESK_EENS0_5tupleIJSF_NSA_16discard_iteratorISK_EEEEENSM_IJSG_SG_EEES6_PlJS6_EEE10hipError_tPvRmT3_T4_T5_T6_T7_T9_mT8_P12ihipStream_tbDpT10_ENKUlT_T0_E_clISt17integral_constantIbLb0EES1B_EEDaS16_S17_EUlS16_E_NS1_11comp_targetILNS1_3genE5ELNS1_11target_archE942ELNS1_3gpuE9ELNS1_3repE0EEENS1_30default_config_static_selectorELNS0_4arch9wavefront6targetE1EEEvT1_
	.p2align	8
	.type	_ZN7rocprim17ROCPRIM_400000_NS6detail17trampoline_kernelINS0_14default_configENS1_25partition_config_selectorILNS1_17partition_subalgoE1EiNS0_10empty_typeEbEEZZNS1_14partition_implILS5_1ELb0ES3_jN6thrust23THRUST_200600_302600_NS6detail15normal_iteratorINSA_10device_ptrIiEEEEPS6_NSA_18transform_iteratorI7is_evenIiESF_NSA_11use_defaultESK_EENS0_5tupleIJSF_NSA_16discard_iteratorISK_EEEEENSM_IJSG_SG_EEES6_PlJS6_EEE10hipError_tPvRmT3_T4_T5_T6_T7_T9_mT8_P12ihipStream_tbDpT10_ENKUlT_T0_E_clISt17integral_constantIbLb0EES1B_EEDaS16_S17_EUlS16_E_NS1_11comp_targetILNS1_3genE5ELNS1_11target_archE942ELNS1_3gpuE9ELNS1_3repE0EEENS1_30default_config_static_selectorELNS0_4arch9wavefront6targetE1EEEvT1_,@function
_ZN7rocprim17ROCPRIM_400000_NS6detail17trampoline_kernelINS0_14default_configENS1_25partition_config_selectorILNS1_17partition_subalgoE1EiNS0_10empty_typeEbEEZZNS1_14partition_implILS5_1ELb0ES3_jN6thrust23THRUST_200600_302600_NS6detail15normal_iteratorINSA_10device_ptrIiEEEEPS6_NSA_18transform_iteratorI7is_evenIiESF_NSA_11use_defaultESK_EENS0_5tupleIJSF_NSA_16discard_iteratorISK_EEEEENSM_IJSG_SG_EEES6_PlJS6_EEE10hipError_tPvRmT3_T4_T5_T6_T7_T9_mT8_P12ihipStream_tbDpT10_ENKUlT_T0_E_clISt17integral_constantIbLb0EES1B_EEDaS16_S17_EUlS16_E_NS1_11comp_targetILNS1_3genE5ELNS1_11target_archE942ELNS1_3gpuE9ELNS1_3repE0EEENS1_30default_config_static_selectorELNS0_4arch9wavefront6targetE1EEEvT1_: ; @_ZN7rocprim17ROCPRIM_400000_NS6detail17trampoline_kernelINS0_14default_configENS1_25partition_config_selectorILNS1_17partition_subalgoE1EiNS0_10empty_typeEbEEZZNS1_14partition_implILS5_1ELb0ES3_jN6thrust23THRUST_200600_302600_NS6detail15normal_iteratorINSA_10device_ptrIiEEEEPS6_NSA_18transform_iteratorI7is_evenIiESF_NSA_11use_defaultESK_EENS0_5tupleIJSF_NSA_16discard_iteratorISK_EEEEENSM_IJSG_SG_EEES6_PlJS6_EEE10hipError_tPvRmT3_T4_T5_T6_T7_T9_mT8_P12ihipStream_tbDpT10_ENKUlT_T0_E_clISt17integral_constantIbLb0EES1B_EEDaS16_S17_EUlS16_E_NS1_11comp_targetILNS1_3genE5ELNS1_11target_archE942ELNS1_3gpuE9ELNS1_3repE0EEENS1_30default_config_static_selectorELNS0_4arch9wavefront6targetE1EEEvT1_
; %bb.0:
	s_load_dwordx2 s[4:5], s[0:1], 0x68
	s_load_dwordx4 s[12:15], s[0:1], 0x8
	s_load_dwordx2 s[6:7], s[0:1], 0x20
	s_load_dwordx4 s[20:23], s[0:1], 0x58
	s_load_dword s3, s[0:1], 0x80
	s_waitcnt lgkmcnt(0)
	v_mov_b32_e32 v3, s5
	s_lshl_b64 s[8:9], s[14:15], 2
	s_add_u32 s12, s12, s8
	s_addc_u32 s13, s13, s9
	s_add_i32 s16, s3, -1
	s_mulk_i32 s3, 0x1e00
	s_add_i32 s5, s3, s14
	s_sub_i32 s33, s4, s5
	s_addk_i32 s33, 0x1e00
	v_mov_b32_e32 v2, s4
	s_add_u32 s4, s14, s3
	s_addc_u32 s5, s15, 0
	s_cmp_eq_u32 s2, s16
	s_load_dwordx2 s[22:23], s[22:23], 0x0
	s_cselect_b64 s[24:25], -1, 0
	s_cmp_lg_u32 s2, s16
	s_mul_i32 s10, s2, 0x1e00
	s_mov_b32 s11, 0
	v_cmp_lt_u64_e32 vcc, s[4:5], v[2:3]
	s_cselect_b64 s[4:5], -1, 0
	s_or_b64 s[26:27], s[4:5], vcc
	s_lshl_b64 s[10:11], s[10:11], 2
	s_add_u32 s12, s12, s10
	s_addc_u32 s13, s13, s11
	s_mov_b64 s[4:5], -1
	s_and_b64 vcc, exec, s[26:27]
	v_lshlrev_b32_e32 v22, 2, v0
	s_cbranch_vccz .LBB3292_2
; %bb.1:
	v_mov_b32_e32 v23, 0
	v_lshl_add_u64 v[2:3], s[12:13], 0, v[22:23]
	v_add_co_u32_e32 v4, vcc, 0x1000, v2
	s_mov_b64 s[4:5], 0
	s_nop 0
	v_addc_co_u32_e32 v5, vcc, 0, v3, vcc
	v_add_co_u32_e32 v6, vcc, 0x2000, v2
	s_nop 1
	v_addc_co_u32_e32 v7, vcc, 0, v3, vcc
	v_add_co_u32_e32 v8, vcc, 0x3000, v2
	s_nop 1
	v_addc_co_u32_e32 v9, vcc, 0, v3, vcc
	flat_load_dword v1, v[2:3]
	flat_load_dword v10, v[2:3] offset:2048
	flat_load_dword v11, v[4:5]
	flat_load_dword v12, v[4:5] offset:2048
	flat_load_dword v13, v[6:7]
	flat_load_dword v14, v[6:7] offset:2048
	flat_load_dword v15, v[8:9]
	flat_load_dword v16, v[8:9] offset:2048
	v_add_co_u32_e32 v4, vcc, 0x4000, v2
	s_nop 1
	v_addc_co_u32_e32 v5, vcc, 0, v3, vcc
	v_add_co_u32_e32 v6, vcc, 0x5000, v2
	s_nop 1
	v_addc_co_u32_e32 v7, vcc, 0, v3, vcc
	;; [unrolled: 3-line block ×4, first 2 shown]
	flat_load_dword v17, v[4:5]
	flat_load_dword v18, v[4:5] offset:2048
	flat_load_dword v19, v[6:7]
	flat_load_dword v20, v[6:7] offset:2048
	flat_load_dword v21, v[8:9]
	flat_load_dword v23, v[8:9] offset:2048
	flat_load_dword v24, v[2:3]
	s_waitcnt vmcnt(0) lgkmcnt(0)
	ds_write2st64_b32 v22, v1, v10 offset1:8
	ds_write2st64_b32 v22, v11, v12 offset0:16 offset1:24
	ds_write2st64_b32 v22, v13, v14 offset0:32 offset1:40
	;; [unrolled: 1-line block ×6, first 2 shown]
	ds_write_b32 v22, v24 offset:28672
	s_waitcnt lgkmcnt(0)
	s_barrier
.LBB3292_2:
	s_andn2_b64 vcc, exec, s[4:5]
	v_cmp_gt_u32_e64 s[4:5], s33, v0
	s_cbranch_vccnz .LBB3292_34
; %bb.3:
                                        ; implicit-def: $vgpr2_vgpr3_vgpr4_vgpr5_vgpr6_vgpr7_vgpr8_vgpr9_vgpr10_vgpr11_vgpr12_vgpr13_vgpr14_vgpr15_vgpr16_vgpr17
	s_and_saveexec_b64 s[14:15], s[4:5]
	s_cbranch_execz .LBB3292_5
; %bb.4:
	v_mov_b32_e32 v23, 0
	v_lshl_add_u64 v[2:3], s[12:13], 0, v[22:23]
	flat_load_dword v2, v[2:3]
.LBB3292_5:
	s_or_b64 exec, exec, s[14:15]
	v_or_b32_e32 v1, 0x200, v0
	v_cmp_gt_u32_e32 vcc, s33, v1
	s_and_saveexec_b64 s[4:5], vcc
	s_cbranch_execz .LBB3292_7
; %bb.6:
	v_mov_b32_e32 v23, 0
	v_lshl_add_u64 v[18:19], s[12:13], 0, v[22:23]
	flat_load_dword v3, v[18:19] offset:2048
.LBB3292_7:
	s_or_b64 exec, exec, s[4:5]
	v_or_b32_e32 v1, 0x400, v0
	v_cmp_gt_u32_e32 vcc, s33, v1
	s_and_saveexec_b64 s[4:5], vcc
	s_cbranch_execz .LBB3292_9
; %bb.8:
	v_lshlrev_b32_e32 v18, 2, v1
	v_mov_b32_e32 v19, 0
	v_lshl_add_u64 v[18:19], s[12:13], 0, v[18:19]
	flat_load_dword v4, v[18:19]
.LBB3292_9:
	s_or_b64 exec, exec, s[4:5]
	v_or_b32_e32 v1, 0x600, v0
	v_cmp_gt_u32_e32 vcc, s33, v1
	s_and_saveexec_b64 s[4:5], vcc
	s_cbranch_execz .LBB3292_11
; %bb.10:
	v_lshlrev_b32_e32 v18, 2, v1
	v_mov_b32_e32 v19, 0
	v_lshl_add_u64 v[18:19], s[12:13], 0, v[18:19]
	flat_load_dword v5, v[18:19]
.LBB3292_11:
	;; [unrolled: 11-line block ×13, first 2 shown]
	s_or_b64 exec, exec, s[4:5]
	s_waitcnt vmcnt(0) lgkmcnt(0)
	ds_write2st64_b32 v22, v2, v3 offset1:8
	ds_write2st64_b32 v22, v4, v5 offset0:16 offset1:24
	ds_write2st64_b32 v22, v6, v7 offset0:32 offset1:40
	;; [unrolled: 1-line block ×6, first 2 shown]
	ds_write_b32 v22, v16 offset:28672
	s_waitcnt lgkmcnt(0)
	s_barrier
.LBB3292_34:
	v_mul_u32_u24_e32 v21, 15, v0
	v_lshlrev_b32_e32 v1, 2, v21
	s_waitcnt lgkmcnt(0)
	ds_read2_b32 v[36:37], v1 offset1:1
	ds_read2_b32 v[34:35], v1 offset0:2 offset1:3
	ds_read2_b32 v[32:33], v1 offset0:4 offset1:5
	;; [unrolled: 1-line block ×6, first 2 shown]
	ds_read_b32 v1, v1 offset:56
	s_add_u32 s3, s6, s8
	s_addc_u32 s5, s7, s9
	s_add_u32 s4, s3, s10
	s_addc_u32 s5, s5, s11
	s_mov_b64 s[6:7], -1
	s_and_b64 vcc, exec, s[26:27]
	s_waitcnt lgkmcnt(0)
	s_barrier
	s_cbranch_vccz .LBB3292_36
; %bb.35:
	v_mov_b32_e32 v23, 0
	v_lshl_add_u64 v[2:3], s[4:5], 0, v[22:23]
	v_add_co_u32_e32 v4, vcc, 0x1000, v2
	global_load_dword v10, v22, s[4:5]
	global_load_dword v11, v22, s[4:5] offset:2048
	v_addc_co_u32_e32 v5, vcc, 0, v3, vcc
	v_add_co_u32_e32 v6, vcc, 0x2000, v2
	s_mov_b64 s[6:7], 0
	s_nop 0
	v_addc_co_u32_e32 v7, vcc, 0, v3, vcc
	v_add_co_u32_e32 v8, vcc, 0x3000, v2
	s_nop 1
	v_addc_co_u32_e32 v9, vcc, 0, v3, vcc
	global_load_dword v12, v[4:5], off
	global_load_dword v13, v[4:5], off offset:2048
	global_load_dword v14, v[6:7], off
	global_load_dword v15, v[6:7], off offset:2048
	global_load_dword v16, v[8:9], off
	global_load_dword v17, v[8:9], off offset:2048
	v_add_co_u32_e32 v4, vcc, 0x4000, v2
	s_nop 1
	v_addc_co_u32_e32 v5, vcc, 0, v3, vcc
	global_load_dword v6, v[4:5], off
	global_load_dword v7, v[4:5], off offset:2048
	v_add_co_u32_e32 v4, vcc, 0x5000, v2
	s_waitcnt vmcnt(1)
	v_xor_b32_e32 v6, -1, v6
	v_addc_co_u32_e32 v5, vcc, 0, v3, vcc
	global_load_dword v8, v[4:5], off
	global_load_dword v9, v[4:5], off offset:2048
	v_add_co_u32_e32 v4, vcc, 0x6000, v2
	s_waitcnt vmcnt(2)
	v_xor_b32_e32 v7, -1, v7
	v_addc_co_u32_e32 v5, vcc, 0, v3, vcc
	v_add_co_u32_e32 v2, vcc, 0x7000, v2
	global_load_dword v18, v[4:5], off
	global_load_dword v19, v[4:5], off offset:2048
	v_addc_co_u32_e32 v3, vcc, 0, v3, vcc
	global_load_dword v2, v[2:3], off
	v_xor_b32_e32 v3, -1, v10
	v_xor_b32_e32 v4, -1, v11
	v_and_b32_e32 v3, 1, v3
	v_and_b32_e32 v4, 1, v4
	ds_write_b8 v0, v3
	ds_write_b8 v0, v4 offset:512
	v_xor_b32_e32 v3, -1, v12
	v_xor_b32_e32 v4, -1, v13
	;; [unrolled: 1-line block ×3, first 2 shown]
	v_and_b32_e32 v3, 1, v3
	v_and_b32_e32 v4, 1, v4
	v_xor_b32_e32 v10, -1, v15
	v_and_b32_e32 v5, 1, v5
	v_xor_b32_e32 v11, -1, v16
	v_xor_b32_e32 v12, -1, v17
	v_and_b32_e32 v10, 1, v10
	ds_write_b8 v0, v3 offset:1024
	ds_write_b8 v0, v4 offset:1536
	v_and_b32_e32 v3, 1, v11
	v_and_b32_e32 v4, 1, v12
	ds_write_b8 v0, v5 offset:2048
	ds_write_b8 v0, v10 offset:2560
	v_and_b32_e32 v5, 1, v6
	v_and_b32_e32 v6, 1, v7
	ds_write_b8 v0, v3 offset:3072
	ds_write_b8 v0, v4 offset:3584
	;; [unrolled: 1-line block ×4, first 2 shown]
	s_waitcnt vmcnt(4)
	v_xor_b32_e32 v7, -1, v8
	s_waitcnt vmcnt(3)
	v_xor_b32_e32 v8, -1, v9
	v_and_b32_e32 v3, 1, v7
	v_and_b32_e32 v4, 1, v8
	s_waitcnt vmcnt(2)
	v_xor_b32_e32 v7, -1, v18
	s_waitcnt vmcnt(1)
	v_xor_b32_e32 v8, -1, v19
	v_and_b32_e32 v5, 1, v7
	v_and_b32_e32 v6, 1, v8
	s_waitcnt vmcnt(0)
	v_xor_b32_e32 v2, -1, v2
	v_and_b32_e32 v2, 1, v2
	ds_write_b8 v0, v3 offset:5120
	ds_write_b8 v0, v4 offset:5632
	;; [unrolled: 1-line block ×5, first 2 shown]
	s_waitcnt lgkmcnt(0)
	s_barrier
.LBB3292_36:
	s_load_dwordx2 s[28:29], s[0:1], 0x78
	s_andn2_b64 vcc, exec, s[6:7]
	s_cbranch_vccnz .LBB3292_68
; %bb.37:
	v_cmp_gt_u32_e32 vcc, s33, v0
	v_mov_b32_e32 v2, 0
	v_mov_b32_e32 v3, 0
	s_and_saveexec_b64 s[6:7], vcc
	s_cbranch_execz .LBB3292_39
; %bb.38:
	global_load_dword v3, v22, s[4:5]
	s_waitcnt vmcnt(0)
	v_xor_b32_e32 v3, -1, v3
	v_and_b32_e32 v3, 1, v3
.LBB3292_39:
	s_or_b64 exec, exec, s[6:7]
	v_or_b32_e32 v4, 0x200, v0
	v_cmp_gt_u32_e32 vcc, s33, v4
	s_and_saveexec_b64 s[6:7], vcc
	s_cbranch_execz .LBB3292_41
; %bb.40:
	global_load_dword v2, v22, s[4:5] offset:2048
	s_waitcnt vmcnt(0)
	v_xor_b32_e32 v2, -1, v2
	v_and_b32_e32 v2, 1, v2
.LBB3292_41:
	s_or_b64 exec, exec, s[6:7]
	v_or_b32_e32 v6, 0x400, v0
	v_cmp_gt_u32_e32 vcc, s33, v6
	v_mov_b32_e32 v4, 0
	v_mov_b32_e32 v5, 0
	s_and_saveexec_b64 s[6:7], vcc
	s_cbranch_execz .LBB3292_43
; %bb.42:
	v_lshlrev_b32_e32 v5, 2, v6
	global_load_dword v5, v5, s[4:5]
	s_waitcnt vmcnt(0)
	v_xor_b32_e32 v5, -1, v5
	v_and_b32_e32 v5, 1, v5
.LBB3292_43:
	s_or_b64 exec, exec, s[6:7]
	v_or_b32_e32 v6, 0x600, v0
	v_cmp_gt_u32_e32 vcc, s33, v6
	s_and_saveexec_b64 s[6:7], vcc
	s_cbranch_execz .LBB3292_45
; %bb.44:
	v_lshlrev_b32_e32 v4, 2, v6
	global_load_dword v4, v4, s[4:5]
	s_waitcnt vmcnt(0)
	v_xor_b32_e32 v4, -1, v4
	v_and_b32_e32 v4, 1, v4
.LBB3292_45:
	s_or_b64 exec, exec, s[6:7]
	v_or_b32_e32 v8, 0x800, v0
	v_cmp_gt_u32_e32 vcc, s33, v8
	v_mov_b32_e32 v6, 0
	v_mov_b32_e32 v7, 0
	s_and_saveexec_b64 s[6:7], vcc
	s_cbranch_execz .LBB3292_47
; %bb.46:
	v_lshlrev_b32_e32 v7, 2, v8
	global_load_dword v7, v7, s[4:5]
	s_waitcnt vmcnt(0)
	v_xor_b32_e32 v7, -1, v7
	v_and_b32_e32 v7, 1, v7
.LBB3292_47:
	s_or_b64 exec, exec, s[6:7]
	v_or_b32_e32 v8, 0xa00, v0
	v_cmp_gt_u32_e32 vcc, s33, v8
	s_and_saveexec_b64 s[6:7], vcc
	s_cbranch_execz .LBB3292_49
; %bb.48:
	v_lshlrev_b32_e32 v6, 2, v8
	global_load_dword v6, v6, s[4:5]
	s_waitcnt vmcnt(0)
	v_xor_b32_e32 v6, -1, v6
	v_and_b32_e32 v6, 1, v6
.LBB3292_49:
	;; [unrolled: 26-line block ×6, first 2 shown]
	s_or_b64 exec, exec, s[6:7]
	v_or_b32_e32 v17, 0x1c00, v0
	v_cmp_gt_u32_e32 vcc, s33, v17
	v_mov_b32_e32 v16, 0
	s_and_saveexec_b64 s[6:7], vcc
	s_cbranch_execz .LBB3292_67
; %bb.66:
	v_lshlrev_b32_e32 v16, 2, v17
	global_load_dword v16, v16, s[4:5]
	s_waitcnt vmcnt(0)
	v_xor_b32_e32 v16, -1, v16
	v_and_b32_e32 v16, 1, v16
.LBB3292_67:
	s_or_b64 exec, exec, s[6:7]
	ds_write_b8 v0, v3
	ds_write_b8 v0, v2 offset:512
	ds_write_b8 v0, v5 offset:1024
	;; [unrolled: 1-line block ×14, first 2 shown]
	s_waitcnt lgkmcnt(0)
	s_barrier
.LBB3292_68:
	s_waitcnt lgkmcnt(0)
	ds_read_b96 v[18:20], v21
	ds_read_u8 v2, v21 offset:12
	ds_read_u8 v3, v21 offset:13
	;; [unrolled: 1-line block ×3, first 2 shown]
	s_cmp_lg_u32 s2, 0
	v_lshrrev_b32_e32 v56, 6, v0
	s_waitcnt lgkmcnt(2)
	v_and_b32_e32 v43, 1, v2
	v_and_b32_e32 v52, 0xff, v18
	v_bfe_u32 v53, v18, 8, 8
	v_bfe_u32 v54, v18, 16, 8
	v_lshrrev_b32_e32 v45, 24, v18
	v_and_b32_e32 v49, 0xff, v19
	v_add3_u32 v2, v53, v52, v54
	v_bfe_u32 v50, v19, 8, 8
	v_bfe_u32 v51, v19, 16, 8
	v_add3_u32 v2, v2, v45, v49
	v_lshrrev_b32_e32 v44, 24, v19
	v_and_b32_e32 v46, 0xff, v20
	v_add3_u32 v2, v2, v50, v51
	v_bfe_u32 v47, v20, 8, 8
	v_bfe_u32 v48, v20, 16, 8
	v_add3_u32 v2, v2, v44, v46
	v_lshrrev_b32_e32 v42, 24, v20
	v_add3_u32 v2, v2, v47, v48
	s_waitcnt lgkmcnt(1)
	v_and_b32_e32 v41, 1, v3
	s_waitcnt lgkmcnt(0)
	v_and_b32_e32 v23, 1, v4
	v_add3_u32 v2, v2, v42, v43
	v_add3_u32 v57, v2, v41, v23
	v_mbcnt_lo_u32_b32 v2, -1, 0
	v_mbcnt_hi_u32_b32 v55, -1, v2
	v_and_b32_e32 v2, 15, v55
	v_cmp_eq_u32_e64 s[14:15], 0, v2
	v_cmp_lt_u32_e64 s[12:13], 1, v2
	v_cmp_lt_u32_e64 s[10:11], 3, v2
	;; [unrolled: 1-line block ×3, first 2 shown]
	v_and_b32_e32 v2, 16, v55
	v_cmp_eq_u32_e64 s[6:7], 0, v2
	v_or_b32_e32 v2, 63, v0
	v_cmp_lt_u32_e64 s[18:19], 31, v55
	v_cmp_eq_u32_e64 s[4:5], v2, v0
	s_barrier
	s_cbranch_scc0 .LBB3292_95
; %bb.69:
	v_mov_b32_dpp v2, v57 row_shr:1 row_mask:0xf bank_mask:0xf
	v_cndmask_b32_e64 v2, v2, 0, s[14:15]
	v_add_u32_e32 v2, v2, v57
	s_nop 1
	v_mov_b32_dpp v3, v2 row_shr:2 row_mask:0xf bank_mask:0xf
	v_cndmask_b32_e64 v3, 0, v3, s[12:13]
	v_add_u32_e32 v2, v2, v3
	s_nop 1
	;; [unrolled: 4-line block ×4, first 2 shown]
	v_mov_b32_dpp v3, v2 row_bcast:15 row_mask:0xf bank_mask:0xf
	v_cndmask_b32_e64 v3, v3, 0, s[6:7]
	v_add_u32_e32 v2, v2, v3
	s_nop 1
	v_mov_b32_dpp v3, v2 row_bcast:31 row_mask:0xf bank_mask:0xf
	v_cndmask_b32_e64 v3, 0, v3, s[18:19]
	v_add_u32_e32 v2, v2, v3
	s_and_saveexec_b64 s[16:17], s[4:5]
	s_cbranch_execz .LBB3292_71
; %bb.70:
	v_lshlrev_b32_e32 v3, 2, v56
	ds_write_b32 v3, v2
.LBB3292_71:
	s_or_b64 exec, exec, s[16:17]
	v_cmp_gt_u32_e32 vcc, 8, v0
	s_waitcnt lgkmcnt(0)
	s_barrier
	s_and_saveexec_b64 s[16:17], vcc
	s_cbranch_execz .LBB3292_73
; %bb.72:
	ds_read_b32 v3, v22
	v_and_b32_e32 v4, 7, v55
	v_cmp_ne_u32_e32 vcc, 0, v4
	s_waitcnt lgkmcnt(0)
	v_mov_b32_dpp v5, v3 row_shr:1 row_mask:0xf bank_mask:0xf
	v_cndmask_b32_e32 v5, 0, v5, vcc
	v_add_u32_e32 v3, v5, v3
	v_cmp_lt_u32_e32 vcc, 1, v4
	s_nop 0
	v_mov_b32_dpp v5, v3 row_shr:2 row_mask:0xf bank_mask:0xf
	v_cndmask_b32_e32 v5, 0, v5, vcc
	v_add_u32_e32 v3, v3, v5
	v_cmp_lt_u32_e32 vcc, 3, v4
	s_nop 0
	v_mov_b32_dpp v5, v3 row_shr:4 row_mask:0xf bank_mask:0xf
	v_cndmask_b32_e32 v4, 0, v5, vcc
	v_add_u32_e32 v3, v3, v4
	ds_write_b32 v22, v3
.LBB3292_73:
	s_or_b64 exec, exec, s[16:17]
	v_cmp_gt_u32_e32 vcc, 64, v0
	v_cmp_lt_u32_e64 s[16:17], 63, v0
	s_waitcnt lgkmcnt(0)
	s_barrier
	s_waitcnt lgkmcnt(0)
                                        ; implicit-def: $vgpr12
	s_and_saveexec_b64 s[30:31], s[16:17]
	s_cbranch_execz .LBB3292_75
; %bb.74:
	v_lshl_add_u32 v3, v56, 2, -4
	ds_read_b32 v12, v3
	s_waitcnt lgkmcnt(0)
	v_add_u32_e32 v2, v12, v2
.LBB3292_75:
	s_or_b64 exec, exec, s[30:31]
	v_add_u32_e32 v3, -1, v55
	v_and_b32_e32 v4, 64, v55
	v_cmp_lt_i32_e64 s[16:17], v3, v4
	s_nop 1
	v_cndmask_b32_e64 v3, v3, v55, s[16:17]
	v_lshlrev_b32_e32 v3, 2, v3
	ds_bpermute_b32 v13, v3, v2
	v_cmp_eq_u32_e64 s[16:17], 0, v55
	s_and_saveexec_b64 s[30:31], vcc
	s_cbranch_execz .LBB3292_94
; %bb.76:
	v_mov_b32_e32 v9, 0
	ds_read_b32 v2, v9 offset:28
	s_and_saveexec_b64 s[34:35], s[16:17]
	s_cbranch_execz .LBB3292_78
; %bb.77:
	s_add_i32 s36, s2, 64
	s_mov_b32 s37, 0
	s_lshl_b64 s[36:37], s[36:37], 3
	s_add_u32 s36, s28, s36
	v_mov_b32_e32 v3, 1
	s_addc_u32 s37, s29, s37
	s_waitcnt lgkmcnt(0)
	global_store_dwordx2 v9, v[2:3], s[36:37] sc1
.LBB3292_78:
	s_or_b64 exec, exec, s[34:35]
	v_xad_u32 v4, v55, -1, s2
	v_add_u32_e32 v8, 64, v4
	v_lshl_add_u64 v[10:11], v[8:9], 3, s[28:29]
	global_load_dwordx2 v[6:7], v[10:11], off sc1
	s_waitcnt vmcnt(0)
	v_cmp_eq_u16_sdwa s[36:37], v7, v9 src0_sel:BYTE_0 src1_sel:DWORD
	s_and_saveexec_b64 s[34:35], s[36:37]
	s_cbranch_execz .LBB3292_82
; %bb.79:
	s_mov_b64 s[36:37], 0
	v_mov_b32_e32 v3, 0
.LBB3292_80:                            ; =>This Inner Loop Header: Depth=1
	global_load_dwordx2 v[6:7], v[10:11], off sc1
	s_waitcnt vmcnt(0)
	v_cmp_ne_u16_sdwa s[38:39], v7, v3 src0_sel:BYTE_0 src1_sel:DWORD
	s_or_b64 s[36:37], s[38:39], s[36:37]
	s_andn2_b64 exec, exec, s[36:37]
	s_cbranch_execnz .LBB3292_80
; %bb.81:
	s_or_b64 exec, exec, s[36:37]
.LBB3292_82:
	s_or_b64 exec, exec, s[34:35]
	v_and_b32_e32 v15, 63, v55
	v_mov_b32_e32 v14, 2
	v_cmp_ne_u32_e32 vcc, 63, v15
	v_cmp_eq_u16_sdwa s[34:35], v7, v14 src0_sel:BYTE_0 src1_sel:DWORD
	v_lshlrev_b64 v[8:9], v55, -1
	v_addc_co_u32_e32 v10, vcc, 0, v55, vcc
	v_and_b32_e32 v3, s35, v9
	v_lshlrev_b32_e32 v16, 2, v10
	v_or_b32_e32 v3, 0x80000000, v3
	ds_bpermute_b32 v10, v16, v6
	v_and_b32_e32 v5, s34, v8
	v_ffbl_b32_e32 v3, v3
	v_add_u32_e32 v3, 32, v3
	v_ffbl_b32_e32 v5, v5
	v_min_u32_e32 v3, v5, v3
	v_cmp_lt_u32_e32 vcc, v15, v3
	v_add_u32_e32 v38, 2, v15
	v_add_u32_e32 v40, 4, v15
	s_waitcnt lgkmcnt(0)
	v_cndmask_b32_e32 v5, 0, v10, vcc
	v_cmp_gt_u32_e32 vcc, 62, v15
	v_add_u32_e32 v5, v5, v6
	v_add_u32_e32 v59, 8, v15
	v_cndmask_b32_e64 v6, 0, 1, vcc
	v_lshlrev_b32_e32 v6, 1, v6
	v_add_lshl_u32 v17, v6, v55, 2
	ds_bpermute_b32 v6, v17, v5
	v_cmp_le_u32_e32 vcc, v38, v3
	v_add_u32_e32 v61, 16, v15
	v_add_u32_e32 v63, 32, v15
	s_waitcnt lgkmcnt(0)
	v_cndmask_b32_e32 v6, 0, v6, vcc
	v_cmp_gt_u32_e32 vcc, 60, v15
	v_add_u32_e32 v5, v5, v6
	s_nop 0
	v_cndmask_b32_e64 v6, 0, 1, vcc
	v_lshlrev_b32_e32 v6, 2, v6
	v_add_lshl_u32 v39, v6, v55, 2
	ds_bpermute_b32 v6, v39, v5
	v_cmp_le_u32_e32 vcc, v40, v3
	s_waitcnt lgkmcnt(0)
	s_nop 0
	v_cndmask_b32_e32 v6, 0, v6, vcc
	v_cmp_gt_u32_e32 vcc, 56, v15
	v_add_u32_e32 v5, v5, v6
	s_nop 0
	v_cndmask_b32_e64 v6, 0, 1, vcc
	v_lshlrev_b32_e32 v6, 3, v6
	v_add_lshl_u32 v58, v6, v55, 2
	ds_bpermute_b32 v6, v58, v5
	v_cmp_le_u32_e32 vcc, v59, v3
	s_waitcnt lgkmcnt(0)
	s_nop 0
	;; [unrolled: 11-line block ×4, first 2 shown]
	v_cndmask_b32_e32 v3, 0, v6, vcc
	v_add_u32_e32 v6, v5, v3
	v_mov_b32_e32 v5, 0
	s_branch .LBB3292_84
.LBB3292_83:                            ;   in Loop: Header=BB3292_84 Depth=1
	s_or_b64 exec, exec, s[34:35]
	v_cmp_eq_u16_sdwa s[34:35], v7, v14 src0_sel:BYTE_0 src1_sel:DWORD
	ds_bpermute_b32 v64, v16, v6
	v_subrev_u32_e32 v4, 64, v4
	v_and_b32_e32 v10, s35, v9
	v_or_b32_e32 v10, 0x80000000, v10
	v_and_b32_e32 v11, s34, v8
	v_ffbl_b32_e32 v10, v10
	v_add_u32_e32 v10, 32, v10
	v_ffbl_b32_e32 v11, v11
	v_min_u32_e32 v10, v11, v10
	v_cmp_lt_u32_e32 vcc, v15, v10
	s_waitcnt lgkmcnt(0)
	s_nop 0
	v_cndmask_b32_e32 v11, 0, v64, vcc
	v_add_u32_e32 v6, v11, v6
	ds_bpermute_b32 v11, v17, v6
	v_cmp_le_u32_e32 vcc, v38, v10
	s_waitcnt lgkmcnt(0)
	s_nop 0
	v_cndmask_b32_e32 v11, 0, v11, vcc
	v_add_u32_e32 v6, v6, v11
	ds_bpermute_b32 v11, v39, v6
	v_cmp_le_u32_e32 vcc, v40, v10
	;; [unrolled: 6-line block ×5, first 2 shown]
	s_waitcnt lgkmcnt(0)
	s_nop 0
	v_cndmask_b32_e32 v10, 0, v11, vcc
	v_add3_u32 v6, v10, v3, v6
.LBB3292_84:                            ; =>This Loop Header: Depth=1
                                        ;     Child Loop BB3292_87 Depth 2
	v_cmp_ne_u16_sdwa s[34:35], v7, v14 src0_sel:BYTE_0 src1_sel:DWORD
	s_nop 1
	v_cndmask_b32_e64 v3, 0, 1, s[34:35]
	;;#ASMSTART
	;;#ASMEND
	s_nop 0
	v_cmp_ne_u32_e32 vcc, 0, v3
	s_cmp_lg_u64 vcc, exec
	v_mov_b32_e32 v3, v6
	s_cbranch_scc1 .LBB3292_89
; %bb.85:                               ;   in Loop: Header=BB3292_84 Depth=1
	v_lshl_add_u64 v[10:11], v[4:5], 3, s[28:29]
	global_load_dwordx2 v[6:7], v[10:11], off sc1
	s_waitcnt vmcnt(0)
	v_cmp_eq_u16_sdwa s[36:37], v7, v5 src0_sel:BYTE_0 src1_sel:DWORD
	s_and_saveexec_b64 s[34:35], s[36:37]
	s_cbranch_execz .LBB3292_83
; %bb.86:                               ;   in Loop: Header=BB3292_84 Depth=1
	s_mov_b64 s[36:37], 0
.LBB3292_87:                            ;   Parent Loop BB3292_84 Depth=1
                                        ; =>  This Inner Loop Header: Depth=2
	global_load_dwordx2 v[6:7], v[10:11], off sc1
	s_waitcnt vmcnt(0)
	v_cmp_ne_u16_sdwa s[38:39], v7, v5 src0_sel:BYTE_0 src1_sel:DWORD
	s_or_b64 s[36:37], s[38:39], s[36:37]
	s_andn2_b64 exec, exec, s[36:37]
	s_cbranch_execnz .LBB3292_87
; %bb.88:                               ;   in Loop: Header=BB3292_84 Depth=1
	s_or_b64 exec, exec, s[36:37]
	s_branch .LBB3292_83
.LBB3292_89:                            ;   in Loop: Header=BB3292_84 Depth=1
                                        ; implicit-def: $vgpr6
                                        ; implicit-def: $vgpr7
	s_cbranch_execz .LBB3292_84
; %bb.90:
	s_and_saveexec_b64 s[34:35], s[16:17]
	s_cbranch_execz .LBB3292_92
; %bb.91:
	s_add_i32 s2, s2, 64
	s_mov_b32 s3, 0
	s_lshl_b64 s[2:3], s[2:3], 3
	s_add_u32 s2, s28, s2
	v_add_u32_e32 v4, v3, v2
	v_mov_b32_e32 v5, 2
	s_addc_u32 s3, s29, s3
	v_mov_b32_e32 v6, 0
	global_store_dwordx2 v6, v[4:5], s[2:3] sc1
	ds_write_b64 v6, v[2:3] offset:30720
.LBB3292_92:
	s_or_b64 exec, exec, s[34:35]
	v_cmp_eq_u32_e32 vcc, 0, v0
	s_and_b64 exec, exec, vcc
	s_cbranch_execz .LBB3292_94
; %bb.93:
	v_mov_b32_e32 v2, 0
	ds_write_b32 v2, v3 offset:28
.LBB3292_94:
	s_or_b64 exec, exec, s[30:31]
	v_mov_b32_e32 v14, 0
	s_waitcnt lgkmcnt(0)
	s_barrier
	ds_read_b32 v2, v14 offset:28
	v_cndmask_b32_e64 v3, v13, v12, s[16:17]
	v_cmp_ne_u32_e32 vcc, 0, v0
	s_waitcnt lgkmcnt(0)
	s_barrier
	v_cndmask_b32_e32 v3, 0, v3, vcc
	v_add_u32_e32 v2, v2, v3
	v_add_u32_e32 v3, v2, v52
	;; [unrolled: 1-line block ×10, first 2 shown]
	ds_read_b64 v[38:39], v14 offset:30720
	v_add_u32_e32 v12, v11, v47
	v_add_u32_e32 v13, v12, v48
	;; [unrolled: 1-line block ×5, first 2 shown]
	s_waitcnt lgkmcnt(0)
	v_mov_b32_e32 v40, v39
	s_load_dwordx2 s[2:3], s[0:1], 0x30
	s_branch .LBB3292_105
.LBB3292_95:
                                        ; implicit-def: $vgpr40
                                        ; implicit-def: $vgpr38
                                        ; implicit-def: $vgpr2_vgpr3_vgpr4_vgpr5_vgpr6_vgpr7_vgpr8_vgpr9_vgpr10_vgpr11_vgpr12_vgpr13_vgpr14_vgpr15_vgpr16_vgpr17
	s_load_dwordx2 s[2:3], s[0:1], 0x30
	s_cbranch_execz .LBB3292_105
; %bb.96:
	v_mov_b32_dpp v2, v57 row_shr:1 row_mask:0xf bank_mask:0xf
	v_cndmask_b32_e64 v2, v2, 0, s[14:15]
	v_add_u32_e32 v2, v2, v57
	s_nop 1
	v_mov_b32_dpp v3, v2 row_shr:2 row_mask:0xf bank_mask:0xf
	v_cndmask_b32_e64 v3, 0, v3, s[12:13]
	v_add_u32_e32 v2, v2, v3
	s_nop 1
	;; [unrolled: 4-line block ×4, first 2 shown]
	v_mov_b32_dpp v3, v2 row_bcast:15 row_mask:0xf bank_mask:0xf
	v_cndmask_b32_e64 v3, v3, 0, s[6:7]
	v_add_u32_e32 v2, v2, v3
	s_nop 1
	v_mov_b32_dpp v3, v2 row_bcast:31 row_mask:0xf bank_mask:0xf
	v_cndmask_b32_e64 v3, 0, v3, s[18:19]
	v_add_u32_e32 v2, v2, v3
	s_and_saveexec_b64 s[0:1], s[4:5]
	s_cbranch_execz .LBB3292_98
; %bb.97:
	v_lshlrev_b32_e32 v3, 2, v56
	ds_write_b32 v3, v2
.LBB3292_98:
	s_or_b64 exec, exec, s[0:1]
	v_cmp_gt_u32_e32 vcc, 8, v0
	s_waitcnt lgkmcnt(0)
	s_barrier
	s_and_saveexec_b64 s[0:1], vcc
	s_cbranch_execz .LBB3292_100
; %bb.99:
	v_mad_i32_i24 v3, v0, -11, v21
	ds_read_b32 v4, v3
	v_and_b32_e32 v5, 7, v55
	v_cmp_ne_u32_e32 vcc, 0, v5
	s_waitcnt lgkmcnt(0)
	v_mov_b32_dpp v6, v4 row_shr:1 row_mask:0xf bank_mask:0xf
	v_cndmask_b32_e32 v6, 0, v6, vcc
	v_add_u32_e32 v4, v6, v4
	v_cmp_lt_u32_e32 vcc, 1, v5
	s_nop 0
	v_mov_b32_dpp v6, v4 row_shr:2 row_mask:0xf bank_mask:0xf
	v_cndmask_b32_e32 v6, 0, v6, vcc
	v_add_u32_e32 v4, v4, v6
	v_cmp_lt_u32_e32 vcc, 3, v5
	s_nop 0
	v_mov_b32_dpp v6, v4 row_shr:4 row_mask:0xf bank_mask:0xf
	v_cndmask_b32_e32 v5, 0, v6, vcc
	v_add_u32_e32 v4, v4, v5
	ds_write_b32 v3, v4
.LBB3292_100:
	s_or_b64 exec, exec, s[0:1]
	v_cmp_lt_u32_e32 vcc, 63, v0
	v_mov_b32_e32 v4, 0
	v_mov_b32_e32 v3, 0
	s_waitcnt lgkmcnt(0)
	s_barrier
	s_and_saveexec_b64 s[0:1], vcc
	s_cbranch_execz .LBB3292_102
; %bb.101:
	v_lshl_add_u32 v3, v56, 2, -4
	ds_read_b32 v3, v3
.LBB3292_102:
	s_or_b64 exec, exec, s[0:1]
	v_add_u32_e32 v5, -1, v55
	v_and_b32_e32 v6, 64, v55
	v_cmp_lt_i32_e32 vcc, v5, v6
	s_waitcnt lgkmcnt(0)
	v_add_u32_e32 v2, v3, v2
	ds_read_b32 v38, v4 offset:28
	v_cndmask_b32_e32 v5, v5, v55, vcc
	v_lshlrev_b32_e32 v5, 2, v5
	ds_bpermute_b32 v2, v5, v2
	v_cmp_eq_u32_e32 vcc, 0, v0
	s_and_saveexec_b64 s[0:1], vcc
	s_cbranch_execz .LBB3292_104
; %bb.103:
	v_mov_b32_e32 v4, 0
	v_mov_b32_e32 v39, 2
	s_waitcnt lgkmcnt(1)
	global_store_dwordx2 v4, v[38:39], s[28:29] offset:512 sc1
.LBB3292_104:
	s_or_b64 exec, exec, s[0:1]
	v_cmp_eq_u32_e64 s[0:1], 0, v55
	v_mov_b32_e32 v40, 0
	s_waitcnt lgkmcnt(0)
	v_cndmask_b32_e64 v2, v2, v3, s[0:1]
	v_cndmask_b32_e64 v2, v2, 0, vcc
	v_add_u32_e32 v3, v2, v52
	v_add_u32_e32 v4, v3, v53
	;; [unrolled: 1-line block ×14, first 2 shown]
	s_barrier
.LBB3292_105:
	v_add_u32_e32 v21, v38, v21
	v_sub_u32_e32 v2, v2, v40
	v_and_b32_e32 v48, 1, v18
	v_sub_u32_e32 v47, v21, v2
	v_cmp_eq_u32_e32 vcc, 1, v48
	v_lshrrev_b32_e32 v46, 8, v18
	v_lshrrev_b32_e32 v39, 8, v19
	v_cndmask_b32_e32 v2, v47, v2, vcc
	v_lshlrev_b32_e32 v2, 2, v2
	ds_write_b32 v2, v36
	v_sub_u32_e32 v2, v3, v40
	v_sub_u32_e32 v3, v21, v2
	v_and_b32_e32 v36, 1, v46
	v_add_u32_e32 v3, 1, v3
	v_cmp_eq_u32_e32 vcc, 1, v36
	v_lshrrev_b32_e32 v17, 8, v20
	s_nop 0
	v_cndmask_b32_e32 v2, v3, v2, vcc
	v_lshlrev_b32_e32 v2, 2, v2
	ds_write_b32 v2, v37
	v_sub_u32_e32 v2, v4, v40
	v_mov_b32_e32 v4, 1
	v_sub_u32_e32 v3, v21, v2
	v_and_b32_sdwa v18, v4, v18 dst_sel:DWORD dst_unused:UNUSED_PAD src0_sel:DWORD src1_sel:WORD_1
	v_add_u32_e32 v3, 2, v3
	v_cmp_eq_u32_e32 vcc, 1, v18
	v_or_b32_e32 v18, 0x1c00, v0
	s_nop 0
	v_cndmask_b32_e32 v2, v3, v2, vcc
	v_lshlrev_b32_e32 v2, 2, v2
	ds_write_b32 v2, v34
	v_sub_u32_e32 v2, v5, v40
	v_sub_u32_e32 v3, v21, v2
	v_and_b32_e32 v5, 1, v45
	v_add_u32_e32 v3, 3, v3
	v_cmp_eq_u32_e32 vcc, 1, v5
	v_and_b32_e32 v5, 1, v19
	s_nop 0
	v_cndmask_b32_e32 v2, v3, v2, vcc
	v_lshlrev_b32_e32 v2, 2, v2
	ds_write_b32 v2, v35
	v_sub_u32_e32 v2, v6, v40
	v_sub_u32_e32 v3, v21, v2
	v_add_u32_e32 v3, 4, v3
	v_cmp_eq_u32_e32 vcc, 1, v5
	v_and_b32_e32 v5, 1, v39
	s_nop 0
	v_cndmask_b32_e32 v2, v3, v2, vcc
	v_lshlrev_b32_e32 v2, 2, v2
	ds_write_b32 v2, v32
	v_sub_u32_e32 v2, v7, v40
	v_sub_u32_e32 v3, v21, v2
	v_add_u32_e32 v3, 5, v3
	v_cmp_eq_u32_e32 vcc, 1, v5
	v_and_b32_sdwa v5, v4, v19 dst_sel:DWORD dst_unused:UNUSED_PAD src0_sel:DWORD src1_sel:WORD_1
	v_and_b32_sdwa v4, v4, v20 dst_sel:DWORD dst_unused:UNUSED_PAD src0_sel:DWORD src1_sel:WORD_1
	v_cndmask_b32_e32 v2, v3, v2, vcc
	v_lshlrev_b32_e32 v2, 2, v2
	ds_write_b32 v2, v33
	v_sub_u32_e32 v2, v8, v40
	v_sub_u32_e32 v3, v21, v2
	v_add_u32_e32 v3, 6, v3
	v_cmp_eq_u32_e32 vcc, 1, v5
	v_and_b32_e32 v5, 1, v44
	v_or_b32_e32 v32, 0x200, v0
	v_cndmask_b32_e32 v2, v3, v2, vcc
	v_lshlrev_b32_e32 v2, 2, v2
	ds_write_b32 v2, v30
	v_sub_u32_e32 v2, v9, v40
	v_sub_u32_e32 v3, v21, v2
	v_add_u32_e32 v3, 7, v3
	v_cmp_eq_u32_e32 vcc, 1, v5
	v_and_b32_e32 v5, 1, v20
	v_or_b32_e32 v30, 0x600, v0
	;; [unrolled: 9-line block ×3, first 2 shown]
	v_cndmask_b32_e32 v2, v3, v2, vcc
	v_lshlrev_b32_e32 v2, 2, v2
	ds_write_b32 v2, v28
	v_sub_u32_e32 v2, v11, v40
	v_sub_u32_e32 v3, v21, v2
	v_add_u32_e32 v3, 9, v3
	v_cmp_eq_u32_e32 vcc, 1, v5
	v_or_b32_e32 v28, 0xa00, v0
	v_or_b32_e32 v20, 0x1800, v0
	v_cndmask_b32_e32 v2, v3, v2, vcc
	v_lshlrev_b32_e32 v2, 2, v2
	ds_write_b32 v2, v29
	v_sub_u32_e32 v2, v12, v40
	v_sub_u32_e32 v3, v21, v2
	v_add_u32_e32 v3, 10, v3
	v_cmp_eq_u32_e32 vcc, 1, v4
	v_and_b32_e32 v4, 1, v42
	v_or_b32_e32 v29, 0x800, v0
	v_cndmask_b32_e32 v2, v3, v2, vcc
	v_lshlrev_b32_e32 v2, 2, v2
	ds_write_b32 v2, v26
	v_sub_u32_e32 v2, v13, v40
	v_sub_u32_e32 v3, v21, v2
	v_add_u32_e32 v3, 11, v3
	v_cmp_eq_u32_e32 vcc, 1, v4
	v_or_b32_e32 v26, 0xe00, v0
	v_or_b32_e32 v19, 0x1a00, v0
	v_cndmask_b32_e32 v2, v3, v2, vcc
	v_lshlrev_b32_e32 v2, 2, v2
	ds_write_b32 v2, v27
	v_sub_u32_e32 v2, v14, v40
	v_sub_u32_e32 v3, v21, v2
	v_add_u32_e32 v3, 12, v3
	v_cmp_eq_u32_e32 vcc, 1, v43
	v_or_b32_e32 v27, 0xc00, v0
	s_nop 0
	v_cndmask_b32_e32 v2, v3, v2, vcc
	v_lshlrev_b32_e32 v2, 2, v2
	ds_write_b32 v2, v24
	v_sub_u32_e32 v2, v15, v40
	v_sub_u32_e32 v3, v21, v2
	v_add_u32_e32 v3, 13, v3
	v_cmp_eq_u32_e32 vcc, 1, v41
	v_or_b32_e32 v24, 0x1200, v0
	s_nop 0
	v_cndmask_b32_e32 v2, v3, v2, vcc
	v_lshlrev_b32_e32 v2, 2, v2
	ds_write_b32 v2, v25
	v_sub_u32_e32 v2, v16, v40
	v_sub_u32_e32 v3, v21, v2
	v_add_u32_e32 v3, 14, v3
	v_cmp_eq_u32_e32 vcc, 1, v23
	v_or_b32_e32 v25, 0x1000, v0
	v_or_b32_e32 v23, 0x1400, v0
	v_cndmask_b32_e32 v2, v3, v2, vcc
	v_lshlrev_b32_e32 v2, 2, v2
	ds_write_b32 v2, v1
	s_waitcnt lgkmcnt(0)
	s_barrier
	ds_read2st64_b32 v[16:17], v22 offset1:8
	ds_read2st64_b32 v[14:15], v22 offset0:16 offset1:24
	ds_read2st64_b32 v[12:13], v22 offset0:32 offset1:40
	;; [unrolled: 1-line block ×6, first 2 shown]
	ds_read_b32 v1, v22 offset:28672
	v_or_b32_e32 v21, 0x1600, v0
	s_andn2_b64 vcc, exec, s[26:27]
	s_cbranch_vccnz .LBB3292_122
; %bb.106:
	s_lshl_b64 s[0:1], s[22:23], 2
	v_mov_b32_e32 v41, 0
	s_add_u32 s0, s2, s0
	s_addc_u32 s1, s3, s1
	v_lshlrev_b64 v[4:5], 2, v[40:41]
	v_lshl_add_u64 v[4:5], s[0:1], 0, v[4:5]
	v_cmp_gt_u32_e32 vcc, v38, v0
	s_and_saveexec_b64 s[0:1], vcc
	s_cbranch_execnz .LBB3292_144
; %bb.107:
	s_or_b64 exec, exec, s[0:1]
	v_cmp_lt_u32_e32 vcc, v32, v38
	s_and_saveexec_b64 s[0:1], vcc
	s_cbranch_execnz .LBB3292_145
.LBB3292_108:
	s_or_b64 exec, exec, s[0:1]
	v_cmp_lt_u32_e32 vcc, v31, v38
	s_and_saveexec_b64 s[0:1], vcc
	s_cbranch_execnz .LBB3292_146
.LBB3292_109:
	s_or_b64 exec, exec, s[0:1]
	v_cmp_lt_u32_e32 vcc, v30, v38
	s_and_saveexec_b64 s[0:1], vcc
	s_cbranch_execnz .LBB3292_147
.LBB3292_110:
	s_or_b64 exec, exec, s[0:1]
	v_cmp_lt_u32_e32 vcc, v29, v38
	s_and_saveexec_b64 s[0:1], vcc
	s_cbranch_execnz .LBB3292_148
.LBB3292_111:
	s_or_b64 exec, exec, s[0:1]
	v_cmp_lt_u32_e32 vcc, v28, v38
	s_and_saveexec_b64 s[0:1], vcc
	s_cbranch_execnz .LBB3292_149
.LBB3292_112:
	s_or_b64 exec, exec, s[0:1]
	v_cmp_lt_u32_e32 vcc, v27, v38
	s_and_saveexec_b64 s[0:1], vcc
	s_cbranch_execnz .LBB3292_150
.LBB3292_113:
	s_or_b64 exec, exec, s[0:1]
	v_cmp_lt_u32_e32 vcc, v26, v38
	s_and_saveexec_b64 s[0:1], vcc
	s_cbranch_execnz .LBB3292_151
.LBB3292_114:
	s_or_b64 exec, exec, s[0:1]
	v_cmp_lt_u32_e32 vcc, v25, v38
	s_and_saveexec_b64 s[0:1], vcc
	s_cbranch_execnz .LBB3292_152
.LBB3292_115:
	s_or_b64 exec, exec, s[0:1]
	v_cmp_lt_u32_e32 vcc, v24, v38
	s_and_saveexec_b64 s[0:1], vcc
	s_cbranch_execnz .LBB3292_153
.LBB3292_116:
	s_or_b64 exec, exec, s[0:1]
	v_cmp_lt_u32_e32 vcc, v23, v38
	s_and_saveexec_b64 s[0:1], vcc
	s_cbranch_execnz .LBB3292_154
.LBB3292_117:
	s_or_b64 exec, exec, s[0:1]
	v_cmp_lt_u32_e32 vcc, v21, v38
	s_and_saveexec_b64 s[0:1], vcc
	s_cbranch_execnz .LBB3292_155
.LBB3292_118:
	s_or_b64 exec, exec, s[0:1]
	v_cmp_lt_u32_e32 vcc, v20, v38
	s_and_saveexec_b64 s[0:1], vcc
	s_cbranch_execnz .LBB3292_156
.LBB3292_119:
	s_or_b64 exec, exec, s[0:1]
	v_cmp_lt_u32_e32 vcc, v19, v38
	s_and_saveexec_b64 s[0:1], vcc
	s_cbranch_execz .LBB3292_121
.LBB3292_120:
	v_lshlrev_b32_e32 v33, 2, v19
	v_readfirstlane_b32 s4, v4
	v_readfirstlane_b32 s5, v5
	s_waitcnt lgkmcnt(1)
	s_nop 3
	global_store_dword v33, v3, s[4:5]
.LBB3292_121:
	s_or_b64 exec, exec, s[0:1]
	v_cmp_lt_u32_e64 s[0:1], v18, v38
	s_branch .LBB3292_139
.LBB3292_122:
	s_mov_b64 s[0:1], 0
                                        ; implicit-def: $vgpr4_vgpr5
	s_cbranch_execz .LBB3292_139
; %bb.123:
	s_lshl_b64 s[0:1], s[22:23], 2
	v_mov_b32_e32 v41, 0
	s_add_u32 s0, s2, s0
	v_min_u32_e32 v33, s33, v38
	s_addc_u32 s1, s3, s1
	v_lshlrev_b64 v[4:5], 2, v[40:41]
	v_lshl_add_u64 v[4:5], s[0:1], 0, v[4:5]
	v_cmp_gt_u32_e32 vcc, v33, v0
	s_and_saveexec_b64 s[0:1], vcc
	s_cbranch_execnz .LBB3292_157
; %bb.124:
	s_or_b64 exec, exec, s[0:1]
	v_cmp_lt_u32_e32 vcc, v32, v33
	s_and_saveexec_b64 s[0:1], vcc
	s_cbranch_execnz .LBB3292_158
.LBB3292_125:
	s_or_b64 exec, exec, s[0:1]
	v_cmp_lt_u32_e32 vcc, v31, v33
	s_and_saveexec_b64 s[0:1], vcc
	s_cbranch_execnz .LBB3292_159
.LBB3292_126:
	s_or_b64 exec, exec, s[0:1]
	v_cmp_lt_u32_e32 vcc, v30, v33
	s_and_saveexec_b64 s[0:1], vcc
	s_cbranch_execnz .LBB3292_160
.LBB3292_127:
	s_or_b64 exec, exec, s[0:1]
	v_cmp_lt_u32_e32 vcc, v29, v33
	s_and_saveexec_b64 s[0:1], vcc
	s_cbranch_execnz .LBB3292_161
.LBB3292_128:
	s_or_b64 exec, exec, s[0:1]
	v_cmp_lt_u32_e32 vcc, v28, v33
	s_and_saveexec_b64 s[0:1], vcc
	s_cbranch_execnz .LBB3292_162
.LBB3292_129:
	s_or_b64 exec, exec, s[0:1]
	v_cmp_lt_u32_e32 vcc, v27, v33
	s_and_saveexec_b64 s[0:1], vcc
	s_cbranch_execnz .LBB3292_163
.LBB3292_130:
	s_or_b64 exec, exec, s[0:1]
	v_cmp_lt_u32_e32 vcc, v26, v33
	s_and_saveexec_b64 s[0:1], vcc
	s_cbranch_execnz .LBB3292_164
.LBB3292_131:
	s_or_b64 exec, exec, s[0:1]
	v_cmp_lt_u32_e32 vcc, v25, v33
	s_and_saveexec_b64 s[0:1], vcc
	s_cbranch_execnz .LBB3292_165
.LBB3292_132:
	s_or_b64 exec, exec, s[0:1]
	v_cmp_lt_u32_e32 vcc, v24, v33
	s_and_saveexec_b64 s[0:1], vcc
	s_cbranch_execnz .LBB3292_166
.LBB3292_133:
	s_or_b64 exec, exec, s[0:1]
	v_cmp_lt_u32_e32 vcc, v23, v33
	s_and_saveexec_b64 s[0:1], vcc
	s_cbranch_execnz .LBB3292_167
.LBB3292_134:
	s_or_b64 exec, exec, s[0:1]
	v_cmp_lt_u32_e32 vcc, v21, v33
	s_and_saveexec_b64 s[0:1], vcc
	s_cbranch_execnz .LBB3292_168
.LBB3292_135:
	s_or_b64 exec, exec, s[0:1]
	v_cmp_lt_u32_e32 vcc, v20, v33
	s_and_saveexec_b64 s[0:1], vcc
	s_cbranch_execnz .LBB3292_169
.LBB3292_136:
	s_or_b64 exec, exec, s[0:1]
	v_cmp_lt_u32_e32 vcc, v19, v33
	s_and_saveexec_b64 s[0:1], vcc
	s_cbranch_execz .LBB3292_138
.LBB3292_137:
	s_waitcnt lgkmcnt(1)
	v_lshlrev_b32_e32 v2, 2, v19
	v_readfirstlane_b32 s2, v4
	v_readfirstlane_b32 s3, v5
	s_nop 4
	global_store_dword v2, v3, s[2:3]
.LBB3292_138:
	s_or_b64 exec, exec, s[0:1]
	v_cmp_lt_u32_e64 s[0:1], v18, v33
.LBB3292_139:
	s_and_saveexec_b64 s[2:3], s[0:1]
	s_cbranch_execz .LBB3292_141
; %bb.140:
	s_waitcnt lgkmcnt(1)
	v_lshlrev_b32_e32 v2, 2, v18
	v_readfirstlane_b32 s0, v4
	v_readfirstlane_b32 s1, v5
	s_waitcnt lgkmcnt(0)
	s_nop 3
	global_store_dword v2, v1, s[0:1]
.LBB3292_141:
	s_or_b64 exec, exec, s[2:3]
	v_cmp_eq_u32_e32 vcc, 0, v0
	s_and_b64 s[0:1], vcc, s[24:25]
	s_and_saveexec_b64 s[2:3], s[0:1]
	s_cbranch_execz .LBB3292_143
; %bb.142:
	v_mov_b32_e32 v39, 0
	s_waitcnt lgkmcnt(0)
	v_lshl_add_u64 v[0:1], s[22:23], 0, v[38:39]
	v_mov_b32_e32 v41, v39
	v_lshl_add_u64 v[0:1], v[0:1], 0, v[40:41]
	global_store_dwordx2 v39, v[0:1], s[20:21]
.LBB3292_143:
	s_endpgm
.LBB3292_144:
	v_readfirstlane_b32 s4, v4
	v_readfirstlane_b32 s5, v5
	s_waitcnt lgkmcnt(7)
	s_nop 3
	global_store_dword v22, v16, s[4:5]
	s_or_b64 exec, exec, s[0:1]
	v_cmp_lt_u32_e32 vcc, v32, v38
	s_and_saveexec_b64 s[0:1], vcc
	s_cbranch_execz .LBB3292_108
.LBB3292_145:
	v_readfirstlane_b32 s4, v4
	v_readfirstlane_b32 s5, v5
	s_waitcnt lgkmcnt(7)
	s_nop 3
	global_store_dword v22, v17, s[4:5] offset:2048
	s_or_b64 exec, exec, s[0:1]
	v_cmp_lt_u32_e32 vcc, v31, v38
	s_and_saveexec_b64 s[0:1], vcc
	s_cbranch_execz .LBB3292_109
.LBB3292_146:
	v_lshlrev_b32_e32 v33, 2, v31
	v_readfirstlane_b32 s4, v4
	v_readfirstlane_b32 s5, v5
	s_waitcnt lgkmcnt(6)
	s_nop 3
	global_store_dword v33, v14, s[4:5]
	s_or_b64 exec, exec, s[0:1]
	v_cmp_lt_u32_e32 vcc, v30, v38
	s_and_saveexec_b64 s[0:1], vcc
	s_cbranch_execz .LBB3292_110
.LBB3292_147:
	v_lshlrev_b32_e32 v33, 2, v30
	v_readfirstlane_b32 s4, v4
	v_readfirstlane_b32 s5, v5
	s_waitcnt lgkmcnt(6)
	s_nop 3
	global_store_dword v33, v15, s[4:5]
	s_or_b64 exec, exec, s[0:1]
	v_cmp_lt_u32_e32 vcc, v29, v38
	s_and_saveexec_b64 s[0:1], vcc
	s_cbranch_execz .LBB3292_111
.LBB3292_148:
	v_lshlrev_b32_e32 v33, 2, v29
	v_readfirstlane_b32 s4, v4
	v_readfirstlane_b32 s5, v5
	s_waitcnt lgkmcnt(5)
	s_nop 3
	global_store_dword v33, v12, s[4:5]
	s_or_b64 exec, exec, s[0:1]
	v_cmp_lt_u32_e32 vcc, v28, v38
	s_and_saveexec_b64 s[0:1], vcc
	s_cbranch_execz .LBB3292_112
.LBB3292_149:
	v_lshlrev_b32_e32 v33, 2, v28
	v_readfirstlane_b32 s4, v4
	v_readfirstlane_b32 s5, v5
	s_waitcnt lgkmcnt(5)
	s_nop 3
	global_store_dword v33, v13, s[4:5]
	s_or_b64 exec, exec, s[0:1]
	v_cmp_lt_u32_e32 vcc, v27, v38
	s_and_saveexec_b64 s[0:1], vcc
	s_cbranch_execz .LBB3292_113
.LBB3292_150:
	v_lshlrev_b32_e32 v33, 2, v27
	v_readfirstlane_b32 s4, v4
	v_readfirstlane_b32 s5, v5
	s_waitcnt lgkmcnt(4)
	s_nop 3
	global_store_dword v33, v10, s[4:5]
	s_or_b64 exec, exec, s[0:1]
	v_cmp_lt_u32_e32 vcc, v26, v38
	s_and_saveexec_b64 s[0:1], vcc
	s_cbranch_execz .LBB3292_114
.LBB3292_151:
	v_lshlrev_b32_e32 v33, 2, v26
	v_readfirstlane_b32 s4, v4
	v_readfirstlane_b32 s5, v5
	s_waitcnt lgkmcnt(4)
	s_nop 3
	global_store_dword v33, v11, s[4:5]
	s_or_b64 exec, exec, s[0:1]
	v_cmp_lt_u32_e32 vcc, v25, v38
	s_and_saveexec_b64 s[0:1], vcc
	s_cbranch_execz .LBB3292_115
.LBB3292_152:
	v_lshlrev_b32_e32 v33, 2, v25
	v_readfirstlane_b32 s4, v4
	v_readfirstlane_b32 s5, v5
	s_waitcnt lgkmcnt(3)
	s_nop 3
	global_store_dword v33, v8, s[4:5]
	s_or_b64 exec, exec, s[0:1]
	v_cmp_lt_u32_e32 vcc, v24, v38
	s_and_saveexec_b64 s[0:1], vcc
	s_cbranch_execz .LBB3292_116
.LBB3292_153:
	v_lshlrev_b32_e32 v33, 2, v24
	v_readfirstlane_b32 s4, v4
	v_readfirstlane_b32 s5, v5
	s_waitcnt lgkmcnt(3)
	s_nop 3
	global_store_dword v33, v9, s[4:5]
	s_or_b64 exec, exec, s[0:1]
	v_cmp_lt_u32_e32 vcc, v23, v38
	s_and_saveexec_b64 s[0:1], vcc
	s_cbranch_execz .LBB3292_117
.LBB3292_154:
	v_lshlrev_b32_e32 v33, 2, v23
	v_readfirstlane_b32 s4, v4
	v_readfirstlane_b32 s5, v5
	s_waitcnt lgkmcnt(2)
	s_nop 3
	global_store_dword v33, v6, s[4:5]
	s_or_b64 exec, exec, s[0:1]
	v_cmp_lt_u32_e32 vcc, v21, v38
	s_and_saveexec_b64 s[0:1], vcc
	s_cbranch_execz .LBB3292_118
.LBB3292_155:
	v_lshlrev_b32_e32 v33, 2, v21
	v_readfirstlane_b32 s4, v4
	v_readfirstlane_b32 s5, v5
	s_waitcnt lgkmcnt(2)
	s_nop 3
	global_store_dword v33, v7, s[4:5]
	s_or_b64 exec, exec, s[0:1]
	v_cmp_lt_u32_e32 vcc, v20, v38
	s_and_saveexec_b64 s[0:1], vcc
	s_cbranch_execz .LBB3292_119
.LBB3292_156:
	v_lshlrev_b32_e32 v33, 2, v20
	v_readfirstlane_b32 s4, v4
	v_readfirstlane_b32 s5, v5
	s_waitcnt lgkmcnt(1)
	s_nop 3
	global_store_dword v33, v2, s[4:5]
	s_or_b64 exec, exec, s[0:1]
	v_cmp_lt_u32_e32 vcc, v19, v38
	s_and_saveexec_b64 s[0:1], vcc
	s_cbranch_execnz .LBB3292_120
	s_branch .LBB3292_121
.LBB3292_157:
	v_readfirstlane_b32 s2, v4
	v_readfirstlane_b32 s3, v5
	s_waitcnt lgkmcnt(7)
	s_nop 3
	global_store_dword v22, v16, s[2:3]
	s_or_b64 exec, exec, s[0:1]
	v_cmp_lt_u32_e32 vcc, v32, v33
	s_and_saveexec_b64 s[0:1], vcc
	s_cbranch_execz .LBB3292_125
.LBB3292_158:
	v_readfirstlane_b32 s2, v4
	v_readfirstlane_b32 s3, v5
	s_waitcnt lgkmcnt(7)
	s_nop 3
	global_store_dword v22, v17, s[2:3] offset:2048
	s_or_b64 exec, exec, s[0:1]
	v_cmp_lt_u32_e32 vcc, v31, v33
	s_and_saveexec_b64 s[0:1], vcc
	s_cbranch_execz .LBB3292_126
.LBB3292_159:
	s_waitcnt lgkmcnt(7)
	v_lshlrev_b32_e32 v16, 2, v31
	v_readfirstlane_b32 s2, v4
	v_readfirstlane_b32 s3, v5
	s_waitcnt lgkmcnt(6)
	s_nop 3
	global_store_dword v16, v14, s[2:3]
	s_or_b64 exec, exec, s[0:1]
	v_cmp_lt_u32_e32 vcc, v30, v33
	s_and_saveexec_b64 s[0:1], vcc
	s_cbranch_execz .LBB3292_127
.LBB3292_160:
	s_waitcnt lgkmcnt(6)
	v_lshlrev_b32_e32 v14, 2, v30
	v_readfirstlane_b32 s2, v4
	v_readfirstlane_b32 s3, v5
	s_nop 4
	global_store_dword v14, v15, s[2:3]
	s_or_b64 exec, exec, s[0:1]
	v_cmp_lt_u32_e32 vcc, v29, v33
	s_and_saveexec_b64 s[0:1], vcc
	s_cbranch_execz .LBB3292_128
.LBB3292_161:
	s_waitcnt lgkmcnt(6)
	v_lshlrev_b32_e32 v14, 2, v29
	v_readfirstlane_b32 s2, v4
	v_readfirstlane_b32 s3, v5
	s_waitcnt lgkmcnt(5)
	s_nop 3
	global_store_dword v14, v12, s[2:3]
	s_or_b64 exec, exec, s[0:1]
	v_cmp_lt_u32_e32 vcc, v28, v33
	s_and_saveexec_b64 s[0:1], vcc
	s_cbranch_execz .LBB3292_129
.LBB3292_162:
	s_waitcnt lgkmcnt(5)
	v_lshlrev_b32_e32 v12, 2, v28
	v_readfirstlane_b32 s2, v4
	v_readfirstlane_b32 s3, v5
	s_nop 4
	global_store_dword v12, v13, s[2:3]
	s_or_b64 exec, exec, s[0:1]
	v_cmp_lt_u32_e32 vcc, v27, v33
	s_and_saveexec_b64 s[0:1], vcc
	s_cbranch_execz .LBB3292_130
.LBB3292_163:
	s_waitcnt lgkmcnt(5)
	v_lshlrev_b32_e32 v12, 2, v27
	v_readfirstlane_b32 s2, v4
	v_readfirstlane_b32 s3, v5
	s_waitcnt lgkmcnt(4)
	s_nop 3
	global_store_dword v12, v10, s[2:3]
	s_or_b64 exec, exec, s[0:1]
	v_cmp_lt_u32_e32 vcc, v26, v33
	s_and_saveexec_b64 s[0:1], vcc
	s_cbranch_execz .LBB3292_131
.LBB3292_164:
	s_waitcnt lgkmcnt(4)
	v_lshlrev_b32_e32 v10, 2, v26
	v_readfirstlane_b32 s2, v4
	v_readfirstlane_b32 s3, v5
	s_nop 4
	global_store_dword v10, v11, s[2:3]
	s_or_b64 exec, exec, s[0:1]
	v_cmp_lt_u32_e32 vcc, v25, v33
	s_and_saveexec_b64 s[0:1], vcc
	s_cbranch_execz .LBB3292_132
.LBB3292_165:
	s_waitcnt lgkmcnt(4)
	v_lshlrev_b32_e32 v10, 2, v25
	v_readfirstlane_b32 s2, v4
	v_readfirstlane_b32 s3, v5
	s_waitcnt lgkmcnt(3)
	s_nop 3
	global_store_dword v10, v8, s[2:3]
	s_or_b64 exec, exec, s[0:1]
	v_cmp_lt_u32_e32 vcc, v24, v33
	s_and_saveexec_b64 s[0:1], vcc
	s_cbranch_execz .LBB3292_133
.LBB3292_166:
	s_waitcnt lgkmcnt(3)
	v_lshlrev_b32_e32 v8, 2, v24
	v_readfirstlane_b32 s2, v4
	v_readfirstlane_b32 s3, v5
	s_nop 4
	global_store_dword v8, v9, s[2:3]
	s_or_b64 exec, exec, s[0:1]
	v_cmp_lt_u32_e32 vcc, v23, v33
	s_and_saveexec_b64 s[0:1], vcc
	s_cbranch_execz .LBB3292_134
.LBB3292_167:
	s_waitcnt lgkmcnt(3)
	v_lshlrev_b32_e32 v8, 2, v23
	v_readfirstlane_b32 s2, v4
	v_readfirstlane_b32 s3, v5
	s_waitcnt lgkmcnt(2)
	s_nop 3
	global_store_dword v8, v6, s[2:3]
	s_or_b64 exec, exec, s[0:1]
	v_cmp_lt_u32_e32 vcc, v21, v33
	s_and_saveexec_b64 s[0:1], vcc
	s_cbranch_execz .LBB3292_135
.LBB3292_168:
	s_waitcnt lgkmcnt(2)
	v_lshlrev_b32_e32 v6, 2, v21
	v_readfirstlane_b32 s2, v4
	v_readfirstlane_b32 s3, v5
	s_nop 4
	global_store_dword v6, v7, s[2:3]
	s_or_b64 exec, exec, s[0:1]
	v_cmp_lt_u32_e32 vcc, v20, v33
	s_and_saveexec_b64 s[0:1], vcc
	s_cbranch_execz .LBB3292_136
.LBB3292_169:
	s_waitcnt lgkmcnt(2)
	v_lshlrev_b32_e32 v6, 2, v20
	v_readfirstlane_b32 s2, v4
	v_readfirstlane_b32 s3, v5
	s_waitcnt lgkmcnt(1)
	s_nop 3
	global_store_dword v6, v2, s[2:3]
	s_or_b64 exec, exec, s[0:1]
	v_cmp_lt_u32_e32 vcc, v19, v33
	s_and_saveexec_b64 s[0:1], vcc
	s_cbranch_execnz .LBB3292_137
	s_branch .LBB3292_138
	.section	.rodata,"a",@progbits
	.p2align	6, 0x0
	.amdhsa_kernel _ZN7rocprim17ROCPRIM_400000_NS6detail17trampoline_kernelINS0_14default_configENS1_25partition_config_selectorILNS1_17partition_subalgoE1EiNS0_10empty_typeEbEEZZNS1_14partition_implILS5_1ELb0ES3_jN6thrust23THRUST_200600_302600_NS6detail15normal_iteratorINSA_10device_ptrIiEEEEPS6_NSA_18transform_iteratorI7is_evenIiESF_NSA_11use_defaultESK_EENS0_5tupleIJSF_NSA_16discard_iteratorISK_EEEEENSM_IJSG_SG_EEES6_PlJS6_EEE10hipError_tPvRmT3_T4_T5_T6_T7_T9_mT8_P12ihipStream_tbDpT10_ENKUlT_T0_E_clISt17integral_constantIbLb0EES1B_EEDaS16_S17_EUlS16_E_NS1_11comp_targetILNS1_3genE5ELNS1_11target_archE942ELNS1_3gpuE9ELNS1_3repE0EEENS1_30default_config_static_selectorELNS0_4arch9wavefront6targetE1EEEvT1_
		.amdhsa_group_segment_fixed_size 30728
		.amdhsa_private_segment_fixed_size 0
		.amdhsa_kernarg_size 136
		.amdhsa_user_sgpr_count 2
		.amdhsa_user_sgpr_dispatch_ptr 0
		.amdhsa_user_sgpr_queue_ptr 0
		.amdhsa_user_sgpr_kernarg_segment_ptr 1
		.amdhsa_user_sgpr_dispatch_id 0
		.amdhsa_user_sgpr_kernarg_preload_length 0
		.amdhsa_user_sgpr_kernarg_preload_offset 0
		.amdhsa_user_sgpr_private_segment_size 0
		.amdhsa_uses_dynamic_stack 0
		.amdhsa_enable_private_segment 0
		.amdhsa_system_sgpr_workgroup_id_x 1
		.amdhsa_system_sgpr_workgroup_id_y 0
		.amdhsa_system_sgpr_workgroup_id_z 0
		.amdhsa_system_sgpr_workgroup_info 0
		.amdhsa_system_vgpr_workitem_id 0
		.amdhsa_next_free_vgpr 65
		.amdhsa_next_free_sgpr 40
		.amdhsa_accum_offset 68
		.amdhsa_reserve_vcc 1
		.amdhsa_float_round_mode_32 0
		.amdhsa_float_round_mode_16_64 0
		.amdhsa_float_denorm_mode_32 3
		.amdhsa_float_denorm_mode_16_64 3
		.amdhsa_dx10_clamp 1
		.amdhsa_ieee_mode 1
		.amdhsa_fp16_overflow 0
		.amdhsa_tg_split 0
		.amdhsa_exception_fp_ieee_invalid_op 0
		.amdhsa_exception_fp_denorm_src 0
		.amdhsa_exception_fp_ieee_div_zero 0
		.amdhsa_exception_fp_ieee_overflow 0
		.amdhsa_exception_fp_ieee_underflow 0
		.amdhsa_exception_fp_ieee_inexact 0
		.amdhsa_exception_int_div_zero 0
	.end_amdhsa_kernel
	.section	.text._ZN7rocprim17ROCPRIM_400000_NS6detail17trampoline_kernelINS0_14default_configENS1_25partition_config_selectorILNS1_17partition_subalgoE1EiNS0_10empty_typeEbEEZZNS1_14partition_implILS5_1ELb0ES3_jN6thrust23THRUST_200600_302600_NS6detail15normal_iteratorINSA_10device_ptrIiEEEEPS6_NSA_18transform_iteratorI7is_evenIiESF_NSA_11use_defaultESK_EENS0_5tupleIJSF_NSA_16discard_iteratorISK_EEEEENSM_IJSG_SG_EEES6_PlJS6_EEE10hipError_tPvRmT3_T4_T5_T6_T7_T9_mT8_P12ihipStream_tbDpT10_ENKUlT_T0_E_clISt17integral_constantIbLb0EES1B_EEDaS16_S17_EUlS16_E_NS1_11comp_targetILNS1_3genE5ELNS1_11target_archE942ELNS1_3gpuE9ELNS1_3repE0EEENS1_30default_config_static_selectorELNS0_4arch9wavefront6targetE1EEEvT1_,"axG",@progbits,_ZN7rocprim17ROCPRIM_400000_NS6detail17trampoline_kernelINS0_14default_configENS1_25partition_config_selectorILNS1_17partition_subalgoE1EiNS0_10empty_typeEbEEZZNS1_14partition_implILS5_1ELb0ES3_jN6thrust23THRUST_200600_302600_NS6detail15normal_iteratorINSA_10device_ptrIiEEEEPS6_NSA_18transform_iteratorI7is_evenIiESF_NSA_11use_defaultESK_EENS0_5tupleIJSF_NSA_16discard_iteratorISK_EEEEENSM_IJSG_SG_EEES6_PlJS6_EEE10hipError_tPvRmT3_T4_T5_T6_T7_T9_mT8_P12ihipStream_tbDpT10_ENKUlT_T0_E_clISt17integral_constantIbLb0EES1B_EEDaS16_S17_EUlS16_E_NS1_11comp_targetILNS1_3genE5ELNS1_11target_archE942ELNS1_3gpuE9ELNS1_3repE0EEENS1_30default_config_static_selectorELNS0_4arch9wavefront6targetE1EEEvT1_,comdat
.Lfunc_end3292:
	.size	_ZN7rocprim17ROCPRIM_400000_NS6detail17trampoline_kernelINS0_14default_configENS1_25partition_config_selectorILNS1_17partition_subalgoE1EiNS0_10empty_typeEbEEZZNS1_14partition_implILS5_1ELb0ES3_jN6thrust23THRUST_200600_302600_NS6detail15normal_iteratorINSA_10device_ptrIiEEEEPS6_NSA_18transform_iteratorI7is_evenIiESF_NSA_11use_defaultESK_EENS0_5tupleIJSF_NSA_16discard_iteratorISK_EEEEENSM_IJSG_SG_EEES6_PlJS6_EEE10hipError_tPvRmT3_T4_T5_T6_T7_T9_mT8_P12ihipStream_tbDpT10_ENKUlT_T0_E_clISt17integral_constantIbLb0EES1B_EEDaS16_S17_EUlS16_E_NS1_11comp_targetILNS1_3genE5ELNS1_11target_archE942ELNS1_3gpuE9ELNS1_3repE0EEENS1_30default_config_static_selectorELNS0_4arch9wavefront6targetE1EEEvT1_, .Lfunc_end3292-_ZN7rocprim17ROCPRIM_400000_NS6detail17trampoline_kernelINS0_14default_configENS1_25partition_config_selectorILNS1_17partition_subalgoE1EiNS0_10empty_typeEbEEZZNS1_14partition_implILS5_1ELb0ES3_jN6thrust23THRUST_200600_302600_NS6detail15normal_iteratorINSA_10device_ptrIiEEEEPS6_NSA_18transform_iteratorI7is_evenIiESF_NSA_11use_defaultESK_EENS0_5tupleIJSF_NSA_16discard_iteratorISK_EEEEENSM_IJSG_SG_EEES6_PlJS6_EEE10hipError_tPvRmT3_T4_T5_T6_T7_T9_mT8_P12ihipStream_tbDpT10_ENKUlT_T0_E_clISt17integral_constantIbLb0EES1B_EEDaS16_S17_EUlS16_E_NS1_11comp_targetILNS1_3genE5ELNS1_11target_archE942ELNS1_3gpuE9ELNS1_3repE0EEENS1_30default_config_static_selectorELNS0_4arch9wavefront6targetE1EEEvT1_
                                        ; -- End function
	.section	.AMDGPU.csdata,"",@progbits
; Kernel info:
; codeLenInByte = 7768
; NumSgprs: 46
; NumVgprs: 65
; NumAgprs: 0
; TotalNumVgprs: 65
; ScratchSize: 0
; MemoryBound: 0
; FloatMode: 240
; IeeeMode: 1
; LDSByteSize: 30728 bytes/workgroup (compile time only)
; SGPRBlocks: 5
; VGPRBlocks: 8
; NumSGPRsForWavesPerEU: 46
; NumVGPRsForWavesPerEU: 65
; AccumOffset: 68
; Occupancy: 4
; WaveLimiterHint : 1
; COMPUTE_PGM_RSRC2:SCRATCH_EN: 0
; COMPUTE_PGM_RSRC2:USER_SGPR: 2
; COMPUTE_PGM_RSRC2:TRAP_HANDLER: 0
; COMPUTE_PGM_RSRC2:TGID_X_EN: 1
; COMPUTE_PGM_RSRC2:TGID_Y_EN: 0
; COMPUTE_PGM_RSRC2:TGID_Z_EN: 0
; COMPUTE_PGM_RSRC2:TIDIG_COMP_CNT: 0
; COMPUTE_PGM_RSRC3_GFX90A:ACCUM_OFFSET: 16
; COMPUTE_PGM_RSRC3_GFX90A:TG_SPLIT: 0
	.section	.text._ZN7rocprim17ROCPRIM_400000_NS6detail17trampoline_kernelINS0_14default_configENS1_25partition_config_selectorILNS1_17partition_subalgoE1EiNS0_10empty_typeEbEEZZNS1_14partition_implILS5_1ELb0ES3_jN6thrust23THRUST_200600_302600_NS6detail15normal_iteratorINSA_10device_ptrIiEEEEPS6_NSA_18transform_iteratorI7is_evenIiESF_NSA_11use_defaultESK_EENS0_5tupleIJSF_NSA_16discard_iteratorISK_EEEEENSM_IJSG_SG_EEES6_PlJS6_EEE10hipError_tPvRmT3_T4_T5_T6_T7_T9_mT8_P12ihipStream_tbDpT10_ENKUlT_T0_E_clISt17integral_constantIbLb0EES1B_EEDaS16_S17_EUlS16_E_NS1_11comp_targetILNS1_3genE4ELNS1_11target_archE910ELNS1_3gpuE8ELNS1_3repE0EEENS1_30default_config_static_selectorELNS0_4arch9wavefront6targetE1EEEvT1_,"axG",@progbits,_ZN7rocprim17ROCPRIM_400000_NS6detail17trampoline_kernelINS0_14default_configENS1_25partition_config_selectorILNS1_17partition_subalgoE1EiNS0_10empty_typeEbEEZZNS1_14partition_implILS5_1ELb0ES3_jN6thrust23THRUST_200600_302600_NS6detail15normal_iteratorINSA_10device_ptrIiEEEEPS6_NSA_18transform_iteratorI7is_evenIiESF_NSA_11use_defaultESK_EENS0_5tupleIJSF_NSA_16discard_iteratorISK_EEEEENSM_IJSG_SG_EEES6_PlJS6_EEE10hipError_tPvRmT3_T4_T5_T6_T7_T9_mT8_P12ihipStream_tbDpT10_ENKUlT_T0_E_clISt17integral_constantIbLb0EES1B_EEDaS16_S17_EUlS16_E_NS1_11comp_targetILNS1_3genE4ELNS1_11target_archE910ELNS1_3gpuE8ELNS1_3repE0EEENS1_30default_config_static_selectorELNS0_4arch9wavefront6targetE1EEEvT1_,comdat
	.protected	_ZN7rocprim17ROCPRIM_400000_NS6detail17trampoline_kernelINS0_14default_configENS1_25partition_config_selectorILNS1_17partition_subalgoE1EiNS0_10empty_typeEbEEZZNS1_14partition_implILS5_1ELb0ES3_jN6thrust23THRUST_200600_302600_NS6detail15normal_iteratorINSA_10device_ptrIiEEEEPS6_NSA_18transform_iteratorI7is_evenIiESF_NSA_11use_defaultESK_EENS0_5tupleIJSF_NSA_16discard_iteratorISK_EEEEENSM_IJSG_SG_EEES6_PlJS6_EEE10hipError_tPvRmT3_T4_T5_T6_T7_T9_mT8_P12ihipStream_tbDpT10_ENKUlT_T0_E_clISt17integral_constantIbLb0EES1B_EEDaS16_S17_EUlS16_E_NS1_11comp_targetILNS1_3genE4ELNS1_11target_archE910ELNS1_3gpuE8ELNS1_3repE0EEENS1_30default_config_static_selectorELNS0_4arch9wavefront6targetE1EEEvT1_ ; -- Begin function _ZN7rocprim17ROCPRIM_400000_NS6detail17trampoline_kernelINS0_14default_configENS1_25partition_config_selectorILNS1_17partition_subalgoE1EiNS0_10empty_typeEbEEZZNS1_14partition_implILS5_1ELb0ES3_jN6thrust23THRUST_200600_302600_NS6detail15normal_iteratorINSA_10device_ptrIiEEEEPS6_NSA_18transform_iteratorI7is_evenIiESF_NSA_11use_defaultESK_EENS0_5tupleIJSF_NSA_16discard_iteratorISK_EEEEENSM_IJSG_SG_EEES6_PlJS6_EEE10hipError_tPvRmT3_T4_T5_T6_T7_T9_mT8_P12ihipStream_tbDpT10_ENKUlT_T0_E_clISt17integral_constantIbLb0EES1B_EEDaS16_S17_EUlS16_E_NS1_11comp_targetILNS1_3genE4ELNS1_11target_archE910ELNS1_3gpuE8ELNS1_3repE0EEENS1_30default_config_static_selectorELNS0_4arch9wavefront6targetE1EEEvT1_
	.globl	_ZN7rocprim17ROCPRIM_400000_NS6detail17trampoline_kernelINS0_14default_configENS1_25partition_config_selectorILNS1_17partition_subalgoE1EiNS0_10empty_typeEbEEZZNS1_14partition_implILS5_1ELb0ES3_jN6thrust23THRUST_200600_302600_NS6detail15normal_iteratorINSA_10device_ptrIiEEEEPS6_NSA_18transform_iteratorI7is_evenIiESF_NSA_11use_defaultESK_EENS0_5tupleIJSF_NSA_16discard_iteratorISK_EEEEENSM_IJSG_SG_EEES6_PlJS6_EEE10hipError_tPvRmT3_T4_T5_T6_T7_T9_mT8_P12ihipStream_tbDpT10_ENKUlT_T0_E_clISt17integral_constantIbLb0EES1B_EEDaS16_S17_EUlS16_E_NS1_11comp_targetILNS1_3genE4ELNS1_11target_archE910ELNS1_3gpuE8ELNS1_3repE0EEENS1_30default_config_static_selectorELNS0_4arch9wavefront6targetE1EEEvT1_
	.p2align	8
	.type	_ZN7rocprim17ROCPRIM_400000_NS6detail17trampoline_kernelINS0_14default_configENS1_25partition_config_selectorILNS1_17partition_subalgoE1EiNS0_10empty_typeEbEEZZNS1_14partition_implILS5_1ELb0ES3_jN6thrust23THRUST_200600_302600_NS6detail15normal_iteratorINSA_10device_ptrIiEEEEPS6_NSA_18transform_iteratorI7is_evenIiESF_NSA_11use_defaultESK_EENS0_5tupleIJSF_NSA_16discard_iteratorISK_EEEEENSM_IJSG_SG_EEES6_PlJS6_EEE10hipError_tPvRmT3_T4_T5_T6_T7_T9_mT8_P12ihipStream_tbDpT10_ENKUlT_T0_E_clISt17integral_constantIbLb0EES1B_EEDaS16_S17_EUlS16_E_NS1_11comp_targetILNS1_3genE4ELNS1_11target_archE910ELNS1_3gpuE8ELNS1_3repE0EEENS1_30default_config_static_selectorELNS0_4arch9wavefront6targetE1EEEvT1_,@function
_ZN7rocprim17ROCPRIM_400000_NS6detail17trampoline_kernelINS0_14default_configENS1_25partition_config_selectorILNS1_17partition_subalgoE1EiNS0_10empty_typeEbEEZZNS1_14partition_implILS5_1ELb0ES3_jN6thrust23THRUST_200600_302600_NS6detail15normal_iteratorINSA_10device_ptrIiEEEEPS6_NSA_18transform_iteratorI7is_evenIiESF_NSA_11use_defaultESK_EENS0_5tupleIJSF_NSA_16discard_iteratorISK_EEEEENSM_IJSG_SG_EEES6_PlJS6_EEE10hipError_tPvRmT3_T4_T5_T6_T7_T9_mT8_P12ihipStream_tbDpT10_ENKUlT_T0_E_clISt17integral_constantIbLb0EES1B_EEDaS16_S17_EUlS16_E_NS1_11comp_targetILNS1_3genE4ELNS1_11target_archE910ELNS1_3gpuE8ELNS1_3repE0EEENS1_30default_config_static_selectorELNS0_4arch9wavefront6targetE1EEEvT1_: ; @_ZN7rocprim17ROCPRIM_400000_NS6detail17trampoline_kernelINS0_14default_configENS1_25partition_config_selectorILNS1_17partition_subalgoE1EiNS0_10empty_typeEbEEZZNS1_14partition_implILS5_1ELb0ES3_jN6thrust23THRUST_200600_302600_NS6detail15normal_iteratorINSA_10device_ptrIiEEEEPS6_NSA_18transform_iteratorI7is_evenIiESF_NSA_11use_defaultESK_EENS0_5tupleIJSF_NSA_16discard_iteratorISK_EEEEENSM_IJSG_SG_EEES6_PlJS6_EEE10hipError_tPvRmT3_T4_T5_T6_T7_T9_mT8_P12ihipStream_tbDpT10_ENKUlT_T0_E_clISt17integral_constantIbLb0EES1B_EEDaS16_S17_EUlS16_E_NS1_11comp_targetILNS1_3genE4ELNS1_11target_archE910ELNS1_3gpuE8ELNS1_3repE0EEENS1_30default_config_static_selectorELNS0_4arch9wavefront6targetE1EEEvT1_
; %bb.0:
	.section	.rodata,"a",@progbits
	.p2align	6, 0x0
	.amdhsa_kernel _ZN7rocprim17ROCPRIM_400000_NS6detail17trampoline_kernelINS0_14default_configENS1_25partition_config_selectorILNS1_17partition_subalgoE1EiNS0_10empty_typeEbEEZZNS1_14partition_implILS5_1ELb0ES3_jN6thrust23THRUST_200600_302600_NS6detail15normal_iteratorINSA_10device_ptrIiEEEEPS6_NSA_18transform_iteratorI7is_evenIiESF_NSA_11use_defaultESK_EENS0_5tupleIJSF_NSA_16discard_iteratorISK_EEEEENSM_IJSG_SG_EEES6_PlJS6_EEE10hipError_tPvRmT3_T4_T5_T6_T7_T9_mT8_P12ihipStream_tbDpT10_ENKUlT_T0_E_clISt17integral_constantIbLb0EES1B_EEDaS16_S17_EUlS16_E_NS1_11comp_targetILNS1_3genE4ELNS1_11target_archE910ELNS1_3gpuE8ELNS1_3repE0EEENS1_30default_config_static_selectorELNS0_4arch9wavefront6targetE1EEEvT1_
		.amdhsa_group_segment_fixed_size 0
		.amdhsa_private_segment_fixed_size 0
		.amdhsa_kernarg_size 136
		.amdhsa_user_sgpr_count 2
		.amdhsa_user_sgpr_dispatch_ptr 0
		.amdhsa_user_sgpr_queue_ptr 0
		.amdhsa_user_sgpr_kernarg_segment_ptr 1
		.amdhsa_user_sgpr_dispatch_id 0
		.amdhsa_user_sgpr_kernarg_preload_length 0
		.amdhsa_user_sgpr_kernarg_preload_offset 0
		.amdhsa_user_sgpr_private_segment_size 0
		.amdhsa_uses_dynamic_stack 0
		.amdhsa_enable_private_segment 0
		.amdhsa_system_sgpr_workgroup_id_x 1
		.amdhsa_system_sgpr_workgroup_id_y 0
		.amdhsa_system_sgpr_workgroup_id_z 0
		.amdhsa_system_sgpr_workgroup_info 0
		.amdhsa_system_vgpr_workitem_id 0
		.amdhsa_next_free_vgpr 1
		.amdhsa_next_free_sgpr 0
		.amdhsa_accum_offset 4
		.amdhsa_reserve_vcc 0
		.amdhsa_float_round_mode_32 0
		.amdhsa_float_round_mode_16_64 0
		.amdhsa_float_denorm_mode_32 3
		.amdhsa_float_denorm_mode_16_64 3
		.amdhsa_dx10_clamp 1
		.amdhsa_ieee_mode 1
		.amdhsa_fp16_overflow 0
		.amdhsa_tg_split 0
		.amdhsa_exception_fp_ieee_invalid_op 0
		.amdhsa_exception_fp_denorm_src 0
		.amdhsa_exception_fp_ieee_div_zero 0
		.amdhsa_exception_fp_ieee_overflow 0
		.amdhsa_exception_fp_ieee_underflow 0
		.amdhsa_exception_fp_ieee_inexact 0
		.amdhsa_exception_int_div_zero 0
	.end_amdhsa_kernel
	.section	.text._ZN7rocprim17ROCPRIM_400000_NS6detail17trampoline_kernelINS0_14default_configENS1_25partition_config_selectorILNS1_17partition_subalgoE1EiNS0_10empty_typeEbEEZZNS1_14partition_implILS5_1ELb0ES3_jN6thrust23THRUST_200600_302600_NS6detail15normal_iteratorINSA_10device_ptrIiEEEEPS6_NSA_18transform_iteratorI7is_evenIiESF_NSA_11use_defaultESK_EENS0_5tupleIJSF_NSA_16discard_iteratorISK_EEEEENSM_IJSG_SG_EEES6_PlJS6_EEE10hipError_tPvRmT3_T4_T5_T6_T7_T9_mT8_P12ihipStream_tbDpT10_ENKUlT_T0_E_clISt17integral_constantIbLb0EES1B_EEDaS16_S17_EUlS16_E_NS1_11comp_targetILNS1_3genE4ELNS1_11target_archE910ELNS1_3gpuE8ELNS1_3repE0EEENS1_30default_config_static_selectorELNS0_4arch9wavefront6targetE1EEEvT1_,"axG",@progbits,_ZN7rocprim17ROCPRIM_400000_NS6detail17trampoline_kernelINS0_14default_configENS1_25partition_config_selectorILNS1_17partition_subalgoE1EiNS0_10empty_typeEbEEZZNS1_14partition_implILS5_1ELb0ES3_jN6thrust23THRUST_200600_302600_NS6detail15normal_iteratorINSA_10device_ptrIiEEEEPS6_NSA_18transform_iteratorI7is_evenIiESF_NSA_11use_defaultESK_EENS0_5tupleIJSF_NSA_16discard_iteratorISK_EEEEENSM_IJSG_SG_EEES6_PlJS6_EEE10hipError_tPvRmT3_T4_T5_T6_T7_T9_mT8_P12ihipStream_tbDpT10_ENKUlT_T0_E_clISt17integral_constantIbLb0EES1B_EEDaS16_S17_EUlS16_E_NS1_11comp_targetILNS1_3genE4ELNS1_11target_archE910ELNS1_3gpuE8ELNS1_3repE0EEENS1_30default_config_static_selectorELNS0_4arch9wavefront6targetE1EEEvT1_,comdat
.Lfunc_end3293:
	.size	_ZN7rocprim17ROCPRIM_400000_NS6detail17trampoline_kernelINS0_14default_configENS1_25partition_config_selectorILNS1_17partition_subalgoE1EiNS0_10empty_typeEbEEZZNS1_14partition_implILS5_1ELb0ES3_jN6thrust23THRUST_200600_302600_NS6detail15normal_iteratorINSA_10device_ptrIiEEEEPS6_NSA_18transform_iteratorI7is_evenIiESF_NSA_11use_defaultESK_EENS0_5tupleIJSF_NSA_16discard_iteratorISK_EEEEENSM_IJSG_SG_EEES6_PlJS6_EEE10hipError_tPvRmT3_T4_T5_T6_T7_T9_mT8_P12ihipStream_tbDpT10_ENKUlT_T0_E_clISt17integral_constantIbLb0EES1B_EEDaS16_S17_EUlS16_E_NS1_11comp_targetILNS1_3genE4ELNS1_11target_archE910ELNS1_3gpuE8ELNS1_3repE0EEENS1_30default_config_static_selectorELNS0_4arch9wavefront6targetE1EEEvT1_, .Lfunc_end3293-_ZN7rocprim17ROCPRIM_400000_NS6detail17trampoline_kernelINS0_14default_configENS1_25partition_config_selectorILNS1_17partition_subalgoE1EiNS0_10empty_typeEbEEZZNS1_14partition_implILS5_1ELb0ES3_jN6thrust23THRUST_200600_302600_NS6detail15normal_iteratorINSA_10device_ptrIiEEEEPS6_NSA_18transform_iteratorI7is_evenIiESF_NSA_11use_defaultESK_EENS0_5tupleIJSF_NSA_16discard_iteratorISK_EEEEENSM_IJSG_SG_EEES6_PlJS6_EEE10hipError_tPvRmT3_T4_T5_T6_T7_T9_mT8_P12ihipStream_tbDpT10_ENKUlT_T0_E_clISt17integral_constantIbLb0EES1B_EEDaS16_S17_EUlS16_E_NS1_11comp_targetILNS1_3genE4ELNS1_11target_archE910ELNS1_3gpuE8ELNS1_3repE0EEENS1_30default_config_static_selectorELNS0_4arch9wavefront6targetE1EEEvT1_
                                        ; -- End function
	.section	.AMDGPU.csdata,"",@progbits
; Kernel info:
; codeLenInByte = 0
; NumSgprs: 6
; NumVgprs: 0
; NumAgprs: 0
; TotalNumVgprs: 0
; ScratchSize: 0
; MemoryBound: 0
; FloatMode: 240
; IeeeMode: 1
; LDSByteSize: 0 bytes/workgroup (compile time only)
; SGPRBlocks: 0
; VGPRBlocks: 0
; NumSGPRsForWavesPerEU: 6
; NumVGPRsForWavesPerEU: 1
; AccumOffset: 4
; Occupancy: 8
; WaveLimiterHint : 0
; COMPUTE_PGM_RSRC2:SCRATCH_EN: 0
; COMPUTE_PGM_RSRC2:USER_SGPR: 2
; COMPUTE_PGM_RSRC2:TRAP_HANDLER: 0
; COMPUTE_PGM_RSRC2:TGID_X_EN: 1
; COMPUTE_PGM_RSRC2:TGID_Y_EN: 0
; COMPUTE_PGM_RSRC2:TGID_Z_EN: 0
; COMPUTE_PGM_RSRC2:TIDIG_COMP_CNT: 0
; COMPUTE_PGM_RSRC3_GFX90A:ACCUM_OFFSET: 0
; COMPUTE_PGM_RSRC3_GFX90A:TG_SPLIT: 0
	.section	.text._ZN7rocprim17ROCPRIM_400000_NS6detail17trampoline_kernelINS0_14default_configENS1_25partition_config_selectorILNS1_17partition_subalgoE1EiNS0_10empty_typeEbEEZZNS1_14partition_implILS5_1ELb0ES3_jN6thrust23THRUST_200600_302600_NS6detail15normal_iteratorINSA_10device_ptrIiEEEEPS6_NSA_18transform_iteratorI7is_evenIiESF_NSA_11use_defaultESK_EENS0_5tupleIJSF_NSA_16discard_iteratorISK_EEEEENSM_IJSG_SG_EEES6_PlJS6_EEE10hipError_tPvRmT3_T4_T5_T6_T7_T9_mT8_P12ihipStream_tbDpT10_ENKUlT_T0_E_clISt17integral_constantIbLb0EES1B_EEDaS16_S17_EUlS16_E_NS1_11comp_targetILNS1_3genE3ELNS1_11target_archE908ELNS1_3gpuE7ELNS1_3repE0EEENS1_30default_config_static_selectorELNS0_4arch9wavefront6targetE1EEEvT1_,"axG",@progbits,_ZN7rocprim17ROCPRIM_400000_NS6detail17trampoline_kernelINS0_14default_configENS1_25partition_config_selectorILNS1_17partition_subalgoE1EiNS0_10empty_typeEbEEZZNS1_14partition_implILS5_1ELb0ES3_jN6thrust23THRUST_200600_302600_NS6detail15normal_iteratorINSA_10device_ptrIiEEEEPS6_NSA_18transform_iteratorI7is_evenIiESF_NSA_11use_defaultESK_EENS0_5tupleIJSF_NSA_16discard_iteratorISK_EEEEENSM_IJSG_SG_EEES6_PlJS6_EEE10hipError_tPvRmT3_T4_T5_T6_T7_T9_mT8_P12ihipStream_tbDpT10_ENKUlT_T0_E_clISt17integral_constantIbLb0EES1B_EEDaS16_S17_EUlS16_E_NS1_11comp_targetILNS1_3genE3ELNS1_11target_archE908ELNS1_3gpuE7ELNS1_3repE0EEENS1_30default_config_static_selectorELNS0_4arch9wavefront6targetE1EEEvT1_,comdat
	.protected	_ZN7rocprim17ROCPRIM_400000_NS6detail17trampoline_kernelINS0_14default_configENS1_25partition_config_selectorILNS1_17partition_subalgoE1EiNS0_10empty_typeEbEEZZNS1_14partition_implILS5_1ELb0ES3_jN6thrust23THRUST_200600_302600_NS6detail15normal_iteratorINSA_10device_ptrIiEEEEPS6_NSA_18transform_iteratorI7is_evenIiESF_NSA_11use_defaultESK_EENS0_5tupleIJSF_NSA_16discard_iteratorISK_EEEEENSM_IJSG_SG_EEES6_PlJS6_EEE10hipError_tPvRmT3_T4_T5_T6_T7_T9_mT8_P12ihipStream_tbDpT10_ENKUlT_T0_E_clISt17integral_constantIbLb0EES1B_EEDaS16_S17_EUlS16_E_NS1_11comp_targetILNS1_3genE3ELNS1_11target_archE908ELNS1_3gpuE7ELNS1_3repE0EEENS1_30default_config_static_selectorELNS0_4arch9wavefront6targetE1EEEvT1_ ; -- Begin function _ZN7rocprim17ROCPRIM_400000_NS6detail17trampoline_kernelINS0_14default_configENS1_25partition_config_selectorILNS1_17partition_subalgoE1EiNS0_10empty_typeEbEEZZNS1_14partition_implILS5_1ELb0ES3_jN6thrust23THRUST_200600_302600_NS6detail15normal_iteratorINSA_10device_ptrIiEEEEPS6_NSA_18transform_iteratorI7is_evenIiESF_NSA_11use_defaultESK_EENS0_5tupleIJSF_NSA_16discard_iteratorISK_EEEEENSM_IJSG_SG_EEES6_PlJS6_EEE10hipError_tPvRmT3_T4_T5_T6_T7_T9_mT8_P12ihipStream_tbDpT10_ENKUlT_T0_E_clISt17integral_constantIbLb0EES1B_EEDaS16_S17_EUlS16_E_NS1_11comp_targetILNS1_3genE3ELNS1_11target_archE908ELNS1_3gpuE7ELNS1_3repE0EEENS1_30default_config_static_selectorELNS0_4arch9wavefront6targetE1EEEvT1_
	.globl	_ZN7rocprim17ROCPRIM_400000_NS6detail17trampoline_kernelINS0_14default_configENS1_25partition_config_selectorILNS1_17partition_subalgoE1EiNS0_10empty_typeEbEEZZNS1_14partition_implILS5_1ELb0ES3_jN6thrust23THRUST_200600_302600_NS6detail15normal_iteratorINSA_10device_ptrIiEEEEPS6_NSA_18transform_iteratorI7is_evenIiESF_NSA_11use_defaultESK_EENS0_5tupleIJSF_NSA_16discard_iteratorISK_EEEEENSM_IJSG_SG_EEES6_PlJS6_EEE10hipError_tPvRmT3_T4_T5_T6_T7_T9_mT8_P12ihipStream_tbDpT10_ENKUlT_T0_E_clISt17integral_constantIbLb0EES1B_EEDaS16_S17_EUlS16_E_NS1_11comp_targetILNS1_3genE3ELNS1_11target_archE908ELNS1_3gpuE7ELNS1_3repE0EEENS1_30default_config_static_selectorELNS0_4arch9wavefront6targetE1EEEvT1_
	.p2align	8
	.type	_ZN7rocprim17ROCPRIM_400000_NS6detail17trampoline_kernelINS0_14default_configENS1_25partition_config_selectorILNS1_17partition_subalgoE1EiNS0_10empty_typeEbEEZZNS1_14partition_implILS5_1ELb0ES3_jN6thrust23THRUST_200600_302600_NS6detail15normal_iteratorINSA_10device_ptrIiEEEEPS6_NSA_18transform_iteratorI7is_evenIiESF_NSA_11use_defaultESK_EENS0_5tupleIJSF_NSA_16discard_iteratorISK_EEEEENSM_IJSG_SG_EEES6_PlJS6_EEE10hipError_tPvRmT3_T4_T5_T6_T7_T9_mT8_P12ihipStream_tbDpT10_ENKUlT_T0_E_clISt17integral_constantIbLb0EES1B_EEDaS16_S17_EUlS16_E_NS1_11comp_targetILNS1_3genE3ELNS1_11target_archE908ELNS1_3gpuE7ELNS1_3repE0EEENS1_30default_config_static_selectorELNS0_4arch9wavefront6targetE1EEEvT1_,@function
_ZN7rocprim17ROCPRIM_400000_NS6detail17trampoline_kernelINS0_14default_configENS1_25partition_config_selectorILNS1_17partition_subalgoE1EiNS0_10empty_typeEbEEZZNS1_14partition_implILS5_1ELb0ES3_jN6thrust23THRUST_200600_302600_NS6detail15normal_iteratorINSA_10device_ptrIiEEEEPS6_NSA_18transform_iteratorI7is_evenIiESF_NSA_11use_defaultESK_EENS0_5tupleIJSF_NSA_16discard_iteratorISK_EEEEENSM_IJSG_SG_EEES6_PlJS6_EEE10hipError_tPvRmT3_T4_T5_T6_T7_T9_mT8_P12ihipStream_tbDpT10_ENKUlT_T0_E_clISt17integral_constantIbLb0EES1B_EEDaS16_S17_EUlS16_E_NS1_11comp_targetILNS1_3genE3ELNS1_11target_archE908ELNS1_3gpuE7ELNS1_3repE0EEENS1_30default_config_static_selectorELNS0_4arch9wavefront6targetE1EEEvT1_: ; @_ZN7rocprim17ROCPRIM_400000_NS6detail17trampoline_kernelINS0_14default_configENS1_25partition_config_selectorILNS1_17partition_subalgoE1EiNS0_10empty_typeEbEEZZNS1_14partition_implILS5_1ELb0ES3_jN6thrust23THRUST_200600_302600_NS6detail15normal_iteratorINSA_10device_ptrIiEEEEPS6_NSA_18transform_iteratorI7is_evenIiESF_NSA_11use_defaultESK_EENS0_5tupleIJSF_NSA_16discard_iteratorISK_EEEEENSM_IJSG_SG_EEES6_PlJS6_EEE10hipError_tPvRmT3_T4_T5_T6_T7_T9_mT8_P12ihipStream_tbDpT10_ENKUlT_T0_E_clISt17integral_constantIbLb0EES1B_EEDaS16_S17_EUlS16_E_NS1_11comp_targetILNS1_3genE3ELNS1_11target_archE908ELNS1_3gpuE7ELNS1_3repE0EEENS1_30default_config_static_selectorELNS0_4arch9wavefront6targetE1EEEvT1_
; %bb.0:
	.section	.rodata,"a",@progbits
	.p2align	6, 0x0
	.amdhsa_kernel _ZN7rocprim17ROCPRIM_400000_NS6detail17trampoline_kernelINS0_14default_configENS1_25partition_config_selectorILNS1_17partition_subalgoE1EiNS0_10empty_typeEbEEZZNS1_14partition_implILS5_1ELb0ES3_jN6thrust23THRUST_200600_302600_NS6detail15normal_iteratorINSA_10device_ptrIiEEEEPS6_NSA_18transform_iteratorI7is_evenIiESF_NSA_11use_defaultESK_EENS0_5tupleIJSF_NSA_16discard_iteratorISK_EEEEENSM_IJSG_SG_EEES6_PlJS6_EEE10hipError_tPvRmT3_T4_T5_T6_T7_T9_mT8_P12ihipStream_tbDpT10_ENKUlT_T0_E_clISt17integral_constantIbLb0EES1B_EEDaS16_S17_EUlS16_E_NS1_11comp_targetILNS1_3genE3ELNS1_11target_archE908ELNS1_3gpuE7ELNS1_3repE0EEENS1_30default_config_static_selectorELNS0_4arch9wavefront6targetE1EEEvT1_
		.amdhsa_group_segment_fixed_size 0
		.amdhsa_private_segment_fixed_size 0
		.amdhsa_kernarg_size 136
		.amdhsa_user_sgpr_count 2
		.amdhsa_user_sgpr_dispatch_ptr 0
		.amdhsa_user_sgpr_queue_ptr 0
		.amdhsa_user_sgpr_kernarg_segment_ptr 1
		.amdhsa_user_sgpr_dispatch_id 0
		.amdhsa_user_sgpr_kernarg_preload_length 0
		.amdhsa_user_sgpr_kernarg_preload_offset 0
		.amdhsa_user_sgpr_private_segment_size 0
		.amdhsa_uses_dynamic_stack 0
		.amdhsa_enable_private_segment 0
		.amdhsa_system_sgpr_workgroup_id_x 1
		.amdhsa_system_sgpr_workgroup_id_y 0
		.amdhsa_system_sgpr_workgroup_id_z 0
		.amdhsa_system_sgpr_workgroup_info 0
		.amdhsa_system_vgpr_workitem_id 0
		.amdhsa_next_free_vgpr 1
		.amdhsa_next_free_sgpr 0
		.amdhsa_accum_offset 4
		.amdhsa_reserve_vcc 0
		.amdhsa_float_round_mode_32 0
		.amdhsa_float_round_mode_16_64 0
		.amdhsa_float_denorm_mode_32 3
		.amdhsa_float_denorm_mode_16_64 3
		.amdhsa_dx10_clamp 1
		.amdhsa_ieee_mode 1
		.amdhsa_fp16_overflow 0
		.amdhsa_tg_split 0
		.amdhsa_exception_fp_ieee_invalid_op 0
		.amdhsa_exception_fp_denorm_src 0
		.amdhsa_exception_fp_ieee_div_zero 0
		.amdhsa_exception_fp_ieee_overflow 0
		.amdhsa_exception_fp_ieee_underflow 0
		.amdhsa_exception_fp_ieee_inexact 0
		.amdhsa_exception_int_div_zero 0
	.end_amdhsa_kernel
	.section	.text._ZN7rocprim17ROCPRIM_400000_NS6detail17trampoline_kernelINS0_14default_configENS1_25partition_config_selectorILNS1_17partition_subalgoE1EiNS0_10empty_typeEbEEZZNS1_14partition_implILS5_1ELb0ES3_jN6thrust23THRUST_200600_302600_NS6detail15normal_iteratorINSA_10device_ptrIiEEEEPS6_NSA_18transform_iteratorI7is_evenIiESF_NSA_11use_defaultESK_EENS0_5tupleIJSF_NSA_16discard_iteratorISK_EEEEENSM_IJSG_SG_EEES6_PlJS6_EEE10hipError_tPvRmT3_T4_T5_T6_T7_T9_mT8_P12ihipStream_tbDpT10_ENKUlT_T0_E_clISt17integral_constantIbLb0EES1B_EEDaS16_S17_EUlS16_E_NS1_11comp_targetILNS1_3genE3ELNS1_11target_archE908ELNS1_3gpuE7ELNS1_3repE0EEENS1_30default_config_static_selectorELNS0_4arch9wavefront6targetE1EEEvT1_,"axG",@progbits,_ZN7rocprim17ROCPRIM_400000_NS6detail17trampoline_kernelINS0_14default_configENS1_25partition_config_selectorILNS1_17partition_subalgoE1EiNS0_10empty_typeEbEEZZNS1_14partition_implILS5_1ELb0ES3_jN6thrust23THRUST_200600_302600_NS6detail15normal_iteratorINSA_10device_ptrIiEEEEPS6_NSA_18transform_iteratorI7is_evenIiESF_NSA_11use_defaultESK_EENS0_5tupleIJSF_NSA_16discard_iteratorISK_EEEEENSM_IJSG_SG_EEES6_PlJS6_EEE10hipError_tPvRmT3_T4_T5_T6_T7_T9_mT8_P12ihipStream_tbDpT10_ENKUlT_T0_E_clISt17integral_constantIbLb0EES1B_EEDaS16_S17_EUlS16_E_NS1_11comp_targetILNS1_3genE3ELNS1_11target_archE908ELNS1_3gpuE7ELNS1_3repE0EEENS1_30default_config_static_selectorELNS0_4arch9wavefront6targetE1EEEvT1_,comdat
.Lfunc_end3294:
	.size	_ZN7rocprim17ROCPRIM_400000_NS6detail17trampoline_kernelINS0_14default_configENS1_25partition_config_selectorILNS1_17partition_subalgoE1EiNS0_10empty_typeEbEEZZNS1_14partition_implILS5_1ELb0ES3_jN6thrust23THRUST_200600_302600_NS6detail15normal_iteratorINSA_10device_ptrIiEEEEPS6_NSA_18transform_iteratorI7is_evenIiESF_NSA_11use_defaultESK_EENS0_5tupleIJSF_NSA_16discard_iteratorISK_EEEEENSM_IJSG_SG_EEES6_PlJS6_EEE10hipError_tPvRmT3_T4_T5_T6_T7_T9_mT8_P12ihipStream_tbDpT10_ENKUlT_T0_E_clISt17integral_constantIbLb0EES1B_EEDaS16_S17_EUlS16_E_NS1_11comp_targetILNS1_3genE3ELNS1_11target_archE908ELNS1_3gpuE7ELNS1_3repE0EEENS1_30default_config_static_selectorELNS0_4arch9wavefront6targetE1EEEvT1_, .Lfunc_end3294-_ZN7rocprim17ROCPRIM_400000_NS6detail17trampoline_kernelINS0_14default_configENS1_25partition_config_selectorILNS1_17partition_subalgoE1EiNS0_10empty_typeEbEEZZNS1_14partition_implILS5_1ELb0ES3_jN6thrust23THRUST_200600_302600_NS6detail15normal_iteratorINSA_10device_ptrIiEEEEPS6_NSA_18transform_iteratorI7is_evenIiESF_NSA_11use_defaultESK_EENS0_5tupleIJSF_NSA_16discard_iteratorISK_EEEEENSM_IJSG_SG_EEES6_PlJS6_EEE10hipError_tPvRmT3_T4_T5_T6_T7_T9_mT8_P12ihipStream_tbDpT10_ENKUlT_T0_E_clISt17integral_constantIbLb0EES1B_EEDaS16_S17_EUlS16_E_NS1_11comp_targetILNS1_3genE3ELNS1_11target_archE908ELNS1_3gpuE7ELNS1_3repE0EEENS1_30default_config_static_selectorELNS0_4arch9wavefront6targetE1EEEvT1_
                                        ; -- End function
	.section	.AMDGPU.csdata,"",@progbits
; Kernel info:
; codeLenInByte = 0
; NumSgprs: 6
; NumVgprs: 0
; NumAgprs: 0
; TotalNumVgprs: 0
; ScratchSize: 0
; MemoryBound: 0
; FloatMode: 240
; IeeeMode: 1
; LDSByteSize: 0 bytes/workgroup (compile time only)
; SGPRBlocks: 0
; VGPRBlocks: 0
; NumSGPRsForWavesPerEU: 6
; NumVGPRsForWavesPerEU: 1
; AccumOffset: 4
; Occupancy: 8
; WaveLimiterHint : 0
; COMPUTE_PGM_RSRC2:SCRATCH_EN: 0
; COMPUTE_PGM_RSRC2:USER_SGPR: 2
; COMPUTE_PGM_RSRC2:TRAP_HANDLER: 0
; COMPUTE_PGM_RSRC2:TGID_X_EN: 1
; COMPUTE_PGM_RSRC2:TGID_Y_EN: 0
; COMPUTE_PGM_RSRC2:TGID_Z_EN: 0
; COMPUTE_PGM_RSRC2:TIDIG_COMP_CNT: 0
; COMPUTE_PGM_RSRC3_GFX90A:ACCUM_OFFSET: 0
; COMPUTE_PGM_RSRC3_GFX90A:TG_SPLIT: 0
	.section	.text._ZN7rocprim17ROCPRIM_400000_NS6detail17trampoline_kernelINS0_14default_configENS1_25partition_config_selectorILNS1_17partition_subalgoE1EiNS0_10empty_typeEbEEZZNS1_14partition_implILS5_1ELb0ES3_jN6thrust23THRUST_200600_302600_NS6detail15normal_iteratorINSA_10device_ptrIiEEEEPS6_NSA_18transform_iteratorI7is_evenIiESF_NSA_11use_defaultESK_EENS0_5tupleIJSF_NSA_16discard_iteratorISK_EEEEENSM_IJSG_SG_EEES6_PlJS6_EEE10hipError_tPvRmT3_T4_T5_T6_T7_T9_mT8_P12ihipStream_tbDpT10_ENKUlT_T0_E_clISt17integral_constantIbLb0EES1B_EEDaS16_S17_EUlS16_E_NS1_11comp_targetILNS1_3genE2ELNS1_11target_archE906ELNS1_3gpuE6ELNS1_3repE0EEENS1_30default_config_static_selectorELNS0_4arch9wavefront6targetE1EEEvT1_,"axG",@progbits,_ZN7rocprim17ROCPRIM_400000_NS6detail17trampoline_kernelINS0_14default_configENS1_25partition_config_selectorILNS1_17partition_subalgoE1EiNS0_10empty_typeEbEEZZNS1_14partition_implILS5_1ELb0ES3_jN6thrust23THRUST_200600_302600_NS6detail15normal_iteratorINSA_10device_ptrIiEEEEPS6_NSA_18transform_iteratorI7is_evenIiESF_NSA_11use_defaultESK_EENS0_5tupleIJSF_NSA_16discard_iteratorISK_EEEEENSM_IJSG_SG_EEES6_PlJS6_EEE10hipError_tPvRmT3_T4_T5_T6_T7_T9_mT8_P12ihipStream_tbDpT10_ENKUlT_T0_E_clISt17integral_constantIbLb0EES1B_EEDaS16_S17_EUlS16_E_NS1_11comp_targetILNS1_3genE2ELNS1_11target_archE906ELNS1_3gpuE6ELNS1_3repE0EEENS1_30default_config_static_selectorELNS0_4arch9wavefront6targetE1EEEvT1_,comdat
	.protected	_ZN7rocprim17ROCPRIM_400000_NS6detail17trampoline_kernelINS0_14default_configENS1_25partition_config_selectorILNS1_17partition_subalgoE1EiNS0_10empty_typeEbEEZZNS1_14partition_implILS5_1ELb0ES3_jN6thrust23THRUST_200600_302600_NS6detail15normal_iteratorINSA_10device_ptrIiEEEEPS6_NSA_18transform_iteratorI7is_evenIiESF_NSA_11use_defaultESK_EENS0_5tupleIJSF_NSA_16discard_iteratorISK_EEEEENSM_IJSG_SG_EEES6_PlJS6_EEE10hipError_tPvRmT3_T4_T5_T6_T7_T9_mT8_P12ihipStream_tbDpT10_ENKUlT_T0_E_clISt17integral_constantIbLb0EES1B_EEDaS16_S17_EUlS16_E_NS1_11comp_targetILNS1_3genE2ELNS1_11target_archE906ELNS1_3gpuE6ELNS1_3repE0EEENS1_30default_config_static_selectorELNS0_4arch9wavefront6targetE1EEEvT1_ ; -- Begin function _ZN7rocprim17ROCPRIM_400000_NS6detail17trampoline_kernelINS0_14default_configENS1_25partition_config_selectorILNS1_17partition_subalgoE1EiNS0_10empty_typeEbEEZZNS1_14partition_implILS5_1ELb0ES3_jN6thrust23THRUST_200600_302600_NS6detail15normal_iteratorINSA_10device_ptrIiEEEEPS6_NSA_18transform_iteratorI7is_evenIiESF_NSA_11use_defaultESK_EENS0_5tupleIJSF_NSA_16discard_iteratorISK_EEEEENSM_IJSG_SG_EEES6_PlJS6_EEE10hipError_tPvRmT3_T4_T5_T6_T7_T9_mT8_P12ihipStream_tbDpT10_ENKUlT_T0_E_clISt17integral_constantIbLb0EES1B_EEDaS16_S17_EUlS16_E_NS1_11comp_targetILNS1_3genE2ELNS1_11target_archE906ELNS1_3gpuE6ELNS1_3repE0EEENS1_30default_config_static_selectorELNS0_4arch9wavefront6targetE1EEEvT1_
	.globl	_ZN7rocprim17ROCPRIM_400000_NS6detail17trampoline_kernelINS0_14default_configENS1_25partition_config_selectorILNS1_17partition_subalgoE1EiNS0_10empty_typeEbEEZZNS1_14partition_implILS5_1ELb0ES3_jN6thrust23THRUST_200600_302600_NS6detail15normal_iteratorINSA_10device_ptrIiEEEEPS6_NSA_18transform_iteratorI7is_evenIiESF_NSA_11use_defaultESK_EENS0_5tupleIJSF_NSA_16discard_iteratorISK_EEEEENSM_IJSG_SG_EEES6_PlJS6_EEE10hipError_tPvRmT3_T4_T5_T6_T7_T9_mT8_P12ihipStream_tbDpT10_ENKUlT_T0_E_clISt17integral_constantIbLb0EES1B_EEDaS16_S17_EUlS16_E_NS1_11comp_targetILNS1_3genE2ELNS1_11target_archE906ELNS1_3gpuE6ELNS1_3repE0EEENS1_30default_config_static_selectorELNS0_4arch9wavefront6targetE1EEEvT1_
	.p2align	8
	.type	_ZN7rocprim17ROCPRIM_400000_NS6detail17trampoline_kernelINS0_14default_configENS1_25partition_config_selectorILNS1_17partition_subalgoE1EiNS0_10empty_typeEbEEZZNS1_14partition_implILS5_1ELb0ES3_jN6thrust23THRUST_200600_302600_NS6detail15normal_iteratorINSA_10device_ptrIiEEEEPS6_NSA_18transform_iteratorI7is_evenIiESF_NSA_11use_defaultESK_EENS0_5tupleIJSF_NSA_16discard_iteratorISK_EEEEENSM_IJSG_SG_EEES6_PlJS6_EEE10hipError_tPvRmT3_T4_T5_T6_T7_T9_mT8_P12ihipStream_tbDpT10_ENKUlT_T0_E_clISt17integral_constantIbLb0EES1B_EEDaS16_S17_EUlS16_E_NS1_11comp_targetILNS1_3genE2ELNS1_11target_archE906ELNS1_3gpuE6ELNS1_3repE0EEENS1_30default_config_static_selectorELNS0_4arch9wavefront6targetE1EEEvT1_,@function
_ZN7rocprim17ROCPRIM_400000_NS6detail17trampoline_kernelINS0_14default_configENS1_25partition_config_selectorILNS1_17partition_subalgoE1EiNS0_10empty_typeEbEEZZNS1_14partition_implILS5_1ELb0ES3_jN6thrust23THRUST_200600_302600_NS6detail15normal_iteratorINSA_10device_ptrIiEEEEPS6_NSA_18transform_iteratorI7is_evenIiESF_NSA_11use_defaultESK_EENS0_5tupleIJSF_NSA_16discard_iteratorISK_EEEEENSM_IJSG_SG_EEES6_PlJS6_EEE10hipError_tPvRmT3_T4_T5_T6_T7_T9_mT8_P12ihipStream_tbDpT10_ENKUlT_T0_E_clISt17integral_constantIbLb0EES1B_EEDaS16_S17_EUlS16_E_NS1_11comp_targetILNS1_3genE2ELNS1_11target_archE906ELNS1_3gpuE6ELNS1_3repE0EEENS1_30default_config_static_selectorELNS0_4arch9wavefront6targetE1EEEvT1_: ; @_ZN7rocprim17ROCPRIM_400000_NS6detail17trampoline_kernelINS0_14default_configENS1_25partition_config_selectorILNS1_17partition_subalgoE1EiNS0_10empty_typeEbEEZZNS1_14partition_implILS5_1ELb0ES3_jN6thrust23THRUST_200600_302600_NS6detail15normal_iteratorINSA_10device_ptrIiEEEEPS6_NSA_18transform_iteratorI7is_evenIiESF_NSA_11use_defaultESK_EENS0_5tupleIJSF_NSA_16discard_iteratorISK_EEEEENSM_IJSG_SG_EEES6_PlJS6_EEE10hipError_tPvRmT3_T4_T5_T6_T7_T9_mT8_P12ihipStream_tbDpT10_ENKUlT_T0_E_clISt17integral_constantIbLb0EES1B_EEDaS16_S17_EUlS16_E_NS1_11comp_targetILNS1_3genE2ELNS1_11target_archE906ELNS1_3gpuE6ELNS1_3repE0EEENS1_30default_config_static_selectorELNS0_4arch9wavefront6targetE1EEEvT1_
; %bb.0:
	.section	.rodata,"a",@progbits
	.p2align	6, 0x0
	.amdhsa_kernel _ZN7rocprim17ROCPRIM_400000_NS6detail17trampoline_kernelINS0_14default_configENS1_25partition_config_selectorILNS1_17partition_subalgoE1EiNS0_10empty_typeEbEEZZNS1_14partition_implILS5_1ELb0ES3_jN6thrust23THRUST_200600_302600_NS6detail15normal_iteratorINSA_10device_ptrIiEEEEPS6_NSA_18transform_iteratorI7is_evenIiESF_NSA_11use_defaultESK_EENS0_5tupleIJSF_NSA_16discard_iteratorISK_EEEEENSM_IJSG_SG_EEES6_PlJS6_EEE10hipError_tPvRmT3_T4_T5_T6_T7_T9_mT8_P12ihipStream_tbDpT10_ENKUlT_T0_E_clISt17integral_constantIbLb0EES1B_EEDaS16_S17_EUlS16_E_NS1_11comp_targetILNS1_3genE2ELNS1_11target_archE906ELNS1_3gpuE6ELNS1_3repE0EEENS1_30default_config_static_selectorELNS0_4arch9wavefront6targetE1EEEvT1_
		.amdhsa_group_segment_fixed_size 0
		.amdhsa_private_segment_fixed_size 0
		.amdhsa_kernarg_size 136
		.amdhsa_user_sgpr_count 2
		.amdhsa_user_sgpr_dispatch_ptr 0
		.amdhsa_user_sgpr_queue_ptr 0
		.amdhsa_user_sgpr_kernarg_segment_ptr 1
		.amdhsa_user_sgpr_dispatch_id 0
		.amdhsa_user_sgpr_kernarg_preload_length 0
		.amdhsa_user_sgpr_kernarg_preload_offset 0
		.amdhsa_user_sgpr_private_segment_size 0
		.amdhsa_uses_dynamic_stack 0
		.amdhsa_enable_private_segment 0
		.amdhsa_system_sgpr_workgroup_id_x 1
		.amdhsa_system_sgpr_workgroup_id_y 0
		.amdhsa_system_sgpr_workgroup_id_z 0
		.amdhsa_system_sgpr_workgroup_info 0
		.amdhsa_system_vgpr_workitem_id 0
		.amdhsa_next_free_vgpr 1
		.amdhsa_next_free_sgpr 0
		.amdhsa_accum_offset 4
		.amdhsa_reserve_vcc 0
		.amdhsa_float_round_mode_32 0
		.amdhsa_float_round_mode_16_64 0
		.amdhsa_float_denorm_mode_32 3
		.amdhsa_float_denorm_mode_16_64 3
		.amdhsa_dx10_clamp 1
		.amdhsa_ieee_mode 1
		.amdhsa_fp16_overflow 0
		.amdhsa_tg_split 0
		.amdhsa_exception_fp_ieee_invalid_op 0
		.amdhsa_exception_fp_denorm_src 0
		.amdhsa_exception_fp_ieee_div_zero 0
		.amdhsa_exception_fp_ieee_overflow 0
		.amdhsa_exception_fp_ieee_underflow 0
		.amdhsa_exception_fp_ieee_inexact 0
		.amdhsa_exception_int_div_zero 0
	.end_amdhsa_kernel
	.section	.text._ZN7rocprim17ROCPRIM_400000_NS6detail17trampoline_kernelINS0_14default_configENS1_25partition_config_selectorILNS1_17partition_subalgoE1EiNS0_10empty_typeEbEEZZNS1_14partition_implILS5_1ELb0ES3_jN6thrust23THRUST_200600_302600_NS6detail15normal_iteratorINSA_10device_ptrIiEEEEPS6_NSA_18transform_iteratorI7is_evenIiESF_NSA_11use_defaultESK_EENS0_5tupleIJSF_NSA_16discard_iteratorISK_EEEEENSM_IJSG_SG_EEES6_PlJS6_EEE10hipError_tPvRmT3_T4_T5_T6_T7_T9_mT8_P12ihipStream_tbDpT10_ENKUlT_T0_E_clISt17integral_constantIbLb0EES1B_EEDaS16_S17_EUlS16_E_NS1_11comp_targetILNS1_3genE2ELNS1_11target_archE906ELNS1_3gpuE6ELNS1_3repE0EEENS1_30default_config_static_selectorELNS0_4arch9wavefront6targetE1EEEvT1_,"axG",@progbits,_ZN7rocprim17ROCPRIM_400000_NS6detail17trampoline_kernelINS0_14default_configENS1_25partition_config_selectorILNS1_17partition_subalgoE1EiNS0_10empty_typeEbEEZZNS1_14partition_implILS5_1ELb0ES3_jN6thrust23THRUST_200600_302600_NS6detail15normal_iteratorINSA_10device_ptrIiEEEEPS6_NSA_18transform_iteratorI7is_evenIiESF_NSA_11use_defaultESK_EENS0_5tupleIJSF_NSA_16discard_iteratorISK_EEEEENSM_IJSG_SG_EEES6_PlJS6_EEE10hipError_tPvRmT3_T4_T5_T6_T7_T9_mT8_P12ihipStream_tbDpT10_ENKUlT_T0_E_clISt17integral_constantIbLb0EES1B_EEDaS16_S17_EUlS16_E_NS1_11comp_targetILNS1_3genE2ELNS1_11target_archE906ELNS1_3gpuE6ELNS1_3repE0EEENS1_30default_config_static_selectorELNS0_4arch9wavefront6targetE1EEEvT1_,comdat
.Lfunc_end3295:
	.size	_ZN7rocprim17ROCPRIM_400000_NS6detail17trampoline_kernelINS0_14default_configENS1_25partition_config_selectorILNS1_17partition_subalgoE1EiNS0_10empty_typeEbEEZZNS1_14partition_implILS5_1ELb0ES3_jN6thrust23THRUST_200600_302600_NS6detail15normal_iteratorINSA_10device_ptrIiEEEEPS6_NSA_18transform_iteratorI7is_evenIiESF_NSA_11use_defaultESK_EENS0_5tupleIJSF_NSA_16discard_iteratorISK_EEEEENSM_IJSG_SG_EEES6_PlJS6_EEE10hipError_tPvRmT3_T4_T5_T6_T7_T9_mT8_P12ihipStream_tbDpT10_ENKUlT_T0_E_clISt17integral_constantIbLb0EES1B_EEDaS16_S17_EUlS16_E_NS1_11comp_targetILNS1_3genE2ELNS1_11target_archE906ELNS1_3gpuE6ELNS1_3repE0EEENS1_30default_config_static_selectorELNS0_4arch9wavefront6targetE1EEEvT1_, .Lfunc_end3295-_ZN7rocprim17ROCPRIM_400000_NS6detail17trampoline_kernelINS0_14default_configENS1_25partition_config_selectorILNS1_17partition_subalgoE1EiNS0_10empty_typeEbEEZZNS1_14partition_implILS5_1ELb0ES3_jN6thrust23THRUST_200600_302600_NS6detail15normal_iteratorINSA_10device_ptrIiEEEEPS6_NSA_18transform_iteratorI7is_evenIiESF_NSA_11use_defaultESK_EENS0_5tupleIJSF_NSA_16discard_iteratorISK_EEEEENSM_IJSG_SG_EEES6_PlJS6_EEE10hipError_tPvRmT3_T4_T5_T6_T7_T9_mT8_P12ihipStream_tbDpT10_ENKUlT_T0_E_clISt17integral_constantIbLb0EES1B_EEDaS16_S17_EUlS16_E_NS1_11comp_targetILNS1_3genE2ELNS1_11target_archE906ELNS1_3gpuE6ELNS1_3repE0EEENS1_30default_config_static_selectorELNS0_4arch9wavefront6targetE1EEEvT1_
                                        ; -- End function
	.section	.AMDGPU.csdata,"",@progbits
; Kernel info:
; codeLenInByte = 0
; NumSgprs: 6
; NumVgprs: 0
; NumAgprs: 0
; TotalNumVgprs: 0
; ScratchSize: 0
; MemoryBound: 0
; FloatMode: 240
; IeeeMode: 1
; LDSByteSize: 0 bytes/workgroup (compile time only)
; SGPRBlocks: 0
; VGPRBlocks: 0
; NumSGPRsForWavesPerEU: 6
; NumVGPRsForWavesPerEU: 1
; AccumOffset: 4
; Occupancy: 8
; WaveLimiterHint : 0
; COMPUTE_PGM_RSRC2:SCRATCH_EN: 0
; COMPUTE_PGM_RSRC2:USER_SGPR: 2
; COMPUTE_PGM_RSRC2:TRAP_HANDLER: 0
; COMPUTE_PGM_RSRC2:TGID_X_EN: 1
; COMPUTE_PGM_RSRC2:TGID_Y_EN: 0
; COMPUTE_PGM_RSRC2:TGID_Z_EN: 0
; COMPUTE_PGM_RSRC2:TIDIG_COMP_CNT: 0
; COMPUTE_PGM_RSRC3_GFX90A:ACCUM_OFFSET: 0
; COMPUTE_PGM_RSRC3_GFX90A:TG_SPLIT: 0
	.section	.text._ZN7rocprim17ROCPRIM_400000_NS6detail17trampoline_kernelINS0_14default_configENS1_25partition_config_selectorILNS1_17partition_subalgoE1EiNS0_10empty_typeEbEEZZNS1_14partition_implILS5_1ELb0ES3_jN6thrust23THRUST_200600_302600_NS6detail15normal_iteratorINSA_10device_ptrIiEEEEPS6_NSA_18transform_iteratorI7is_evenIiESF_NSA_11use_defaultESK_EENS0_5tupleIJSF_NSA_16discard_iteratorISK_EEEEENSM_IJSG_SG_EEES6_PlJS6_EEE10hipError_tPvRmT3_T4_T5_T6_T7_T9_mT8_P12ihipStream_tbDpT10_ENKUlT_T0_E_clISt17integral_constantIbLb0EES1B_EEDaS16_S17_EUlS16_E_NS1_11comp_targetILNS1_3genE10ELNS1_11target_archE1200ELNS1_3gpuE4ELNS1_3repE0EEENS1_30default_config_static_selectorELNS0_4arch9wavefront6targetE1EEEvT1_,"axG",@progbits,_ZN7rocprim17ROCPRIM_400000_NS6detail17trampoline_kernelINS0_14default_configENS1_25partition_config_selectorILNS1_17partition_subalgoE1EiNS0_10empty_typeEbEEZZNS1_14partition_implILS5_1ELb0ES3_jN6thrust23THRUST_200600_302600_NS6detail15normal_iteratorINSA_10device_ptrIiEEEEPS6_NSA_18transform_iteratorI7is_evenIiESF_NSA_11use_defaultESK_EENS0_5tupleIJSF_NSA_16discard_iteratorISK_EEEEENSM_IJSG_SG_EEES6_PlJS6_EEE10hipError_tPvRmT3_T4_T5_T6_T7_T9_mT8_P12ihipStream_tbDpT10_ENKUlT_T0_E_clISt17integral_constantIbLb0EES1B_EEDaS16_S17_EUlS16_E_NS1_11comp_targetILNS1_3genE10ELNS1_11target_archE1200ELNS1_3gpuE4ELNS1_3repE0EEENS1_30default_config_static_selectorELNS0_4arch9wavefront6targetE1EEEvT1_,comdat
	.protected	_ZN7rocprim17ROCPRIM_400000_NS6detail17trampoline_kernelINS0_14default_configENS1_25partition_config_selectorILNS1_17partition_subalgoE1EiNS0_10empty_typeEbEEZZNS1_14partition_implILS5_1ELb0ES3_jN6thrust23THRUST_200600_302600_NS6detail15normal_iteratorINSA_10device_ptrIiEEEEPS6_NSA_18transform_iteratorI7is_evenIiESF_NSA_11use_defaultESK_EENS0_5tupleIJSF_NSA_16discard_iteratorISK_EEEEENSM_IJSG_SG_EEES6_PlJS6_EEE10hipError_tPvRmT3_T4_T5_T6_T7_T9_mT8_P12ihipStream_tbDpT10_ENKUlT_T0_E_clISt17integral_constantIbLb0EES1B_EEDaS16_S17_EUlS16_E_NS1_11comp_targetILNS1_3genE10ELNS1_11target_archE1200ELNS1_3gpuE4ELNS1_3repE0EEENS1_30default_config_static_selectorELNS0_4arch9wavefront6targetE1EEEvT1_ ; -- Begin function _ZN7rocprim17ROCPRIM_400000_NS6detail17trampoline_kernelINS0_14default_configENS1_25partition_config_selectorILNS1_17partition_subalgoE1EiNS0_10empty_typeEbEEZZNS1_14partition_implILS5_1ELb0ES3_jN6thrust23THRUST_200600_302600_NS6detail15normal_iteratorINSA_10device_ptrIiEEEEPS6_NSA_18transform_iteratorI7is_evenIiESF_NSA_11use_defaultESK_EENS0_5tupleIJSF_NSA_16discard_iteratorISK_EEEEENSM_IJSG_SG_EEES6_PlJS6_EEE10hipError_tPvRmT3_T4_T5_T6_T7_T9_mT8_P12ihipStream_tbDpT10_ENKUlT_T0_E_clISt17integral_constantIbLb0EES1B_EEDaS16_S17_EUlS16_E_NS1_11comp_targetILNS1_3genE10ELNS1_11target_archE1200ELNS1_3gpuE4ELNS1_3repE0EEENS1_30default_config_static_selectorELNS0_4arch9wavefront6targetE1EEEvT1_
	.globl	_ZN7rocprim17ROCPRIM_400000_NS6detail17trampoline_kernelINS0_14default_configENS1_25partition_config_selectorILNS1_17partition_subalgoE1EiNS0_10empty_typeEbEEZZNS1_14partition_implILS5_1ELb0ES3_jN6thrust23THRUST_200600_302600_NS6detail15normal_iteratorINSA_10device_ptrIiEEEEPS6_NSA_18transform_iteratorI7is_evenIiESF_NSA_11use_defaultESK_EENS0_5tupleIJSF_NSA_16discard_iteratorISK_EEEEENSM_IJSG_SG_EEES6_PlJS6_EEE10hipError_tPvRmT3_T4_T5_T6_T7_T9_mT8_P12ihipStream_tbDpT10_ENKUlT_T0_E_clISt17integral_constantIbLb0EES1B_EEDaS16_S17_EUlS16_E_NS1_11comp_targetILNS1_3genE10ELNS1_11target_archE1200ELNS1_3gpuE4ELNS1_3repE0EEENS1_30default_config_static_selectorELNS0_4arch9wavefront6targetE1EEEvT1_
	.p2align	8
	.type	_ZN7rocprim17ROCPRIM_400000_NS6detail17trampoline_kernelINS0_14default_configENS1_25partition_config_selectorILNS1_17partition_subalgoE1EiNS0_10empty_typeEbEEZZNS1_14partition_implILS5_1ELb0ES3_jN6thrust23THRUST_200600_302600_NS6detail15normal_iteratorINSA_10device_ptrIiEEEEPS6_NSA_18transform_iteratorI7is_evenIiESF_NSA_11use_defaultESK_EENS0_5tupleIJSF_NSA_16discard_iteratorISK_EEEEENSM_IJSG_SG_EEES6_PlJS6_EEE10hipError_tPvRmT3_T4_T5_T6_T7_T9_mT8_P12ihipStream_tbDpT10_ENKUlT_T0_E_clISt17integral_constantIbLb0EES1B_EEDaS16_S17_EUlS16_E_NS1_11comp_targetILNS1_3genE10ELNS1_11target_archE1200ELNS1_3gpuE4ELNS1_3repE0EEENS1_30default_config_static_selectorELNS0_4arch9wavefront6targetE1EEEvT1_,@function
_ZN7rocprim17ROCPRIM_400000_NS6detail17trampoline_kernelINS0_14default_configENS1_25partition_config_selectorILNS1_17partition_subalgoE1EiNS0_10empty_typeEbEEZZNS1_14partition_implILS5_1ELb0ES3_jN6thrust23THRUST_200600_302600_NS6detail15normal_iteratorINSA_10device_ptrIiEEEEPS6_NSA_18transform_iteratorI7is_evenIiESF_NSA_11use_defaultESK_EENS0_5tupleIJSF_NSA_16discard_iteratorISK_EEEEENSM_IJSG_SG_EEES6_PlJS6_EEE10hipError_tPvRmT3_T4_T5_T6_T7_T9_mT8_P12ihipStream_tbDpT10_ENKUlT_T0_E_clISt17integral_constantIbLb0EES1B_EEDaS16_S17_EUlS16_E_NS1_11comp_targetILNS1_3genE10ELNS1_11target_archE1200ELNS1_3gpuE4ELNS1_3repE0EEENS1_30default_config_static_selectorELNS0_4arch9wavefront6targetE1EEEvT1_: ; @_ZN7rocprim17ROCPRIM_400000_NS6detail17trampoline_kernelINS0_14default_configENS1_25partition_config_selectorILNS1_17partition_subalgoE1EiNS0_10empty_typeEbEEZZNS1_14partition_implILS5_1ELb0ES3_jN6thrust23THRUST_200600_302600_NS6detail15normal_iteratorINSA_10device_ptrIiEEEEPS6_NSA_18transform_iteratorI7is_evenIiESF_NSA_11use_defaultESK_EENS0_5tupleIJSF_NSA_16discard_iteratorISK_EEEEENSM_IJSG_SG_EEES6_PlJS6_EEE10hipError_tPvRmT3_T4_T5_T6_T7_T9_mT8_P12ihipStream_tbDpT10_ENKUlT_T0_E_clISt17integral_constantIbLb0EES1B_EEDaS16_S17_EUlS16_E_NS1_11comp_targetILNS1_3genE10ELNS1_11target_archE1200ELNS1_3gpuE4ELNS1_3repE0EEENS1_30default_config_static_selectorELNS0_4arch9wavefront6targetE1EEEvT1_
; %bb.0:
	.section	.rodata,"a",@progbits
	.p2align	6, 0x0
	.amdhsa_kernel _ZN7rocprim17ROCPRIM_400000_NS6detail17trampoline_kernelINS0_14default_configENS1_25partition_config_selectorILNS1_17partition_subalgoE1EiNS0_10empty_typeEbEEZZNS1_14partition_implILS5_1ELb0ES3_jN6thrust23THRUST_200600_302600_NS6detail15normal_iteratorINSA_10device_ptrIiEEEEPS6_NSA_18transform_iteratorI7is_evenIiESF_NSA_11use_defaultESK_EENS0_5tupleIJSF_NSA_16discard_iteratorISK_EEEEENSM_IJSG_SG_EEES6_PlJS6_EEE10hipError_tPvRmT3_T4_T5_T6_T7_T9_mT8_P12ihipStream_tbDpT10_ENKUlT_T0_E_clISt17integral_constantIbLb0EES1B_EEDaS16_S17_EUlS16_E_NS1_11comp_targetILNS1_3genE10ELNS1_11target_archE1200ELNS1_3gpuE4ELNS1_3repE0EEENS1_30default_config_static_selectorELNS0_4arch9wavefront6targetE1EEEvT1_
		.amdhsa_group_segment_fixed_size 0
		.amdhsa_private_segment_fixed_size 0
		.amdhsa_kernarg_size 136
		.amdhsa_user_sgpr_count 2
		.amdhsa_user_sgpr_dispatch_ptr 0
		.amdhsa_user_sgpr_queue_ptr 0
		.amdhsa_user_sgpr_kernarg_segment_ptr 1
		.amdhsa_user_sgpr_dispatch_id 0
		.amdhsa_user_sgpr_kernarg_preload_length 0
		.amdhsa_user_sgpr_kernarg_preload_offset 0
		.amdhsa_user_sgpr_private_segment_size 0
		.amdhsa_uses_dynamic_stack 0
		.amdhsa_enable_private_segment 0
		.amdhsa_system_sgpr_workgroup_id_x 1
		.amdhsa_system_sgpr_workgroup_id_y 0
		.amdhsa_system_sgpr_workgroup_id_z 0
		.amdhsa_system_sgpr_workgroup_info 0
		.amdhsa_system_vgpr_workitem_id 0
		.amdhsa_next_free_vgpr 1
		.amdhsa_next_free_sgpr 0
		.amdhsa_accum_offset 4
		.amdhsa_reserve_vcc 0
		.amdhsa_float_round_mode_32 0
		.amdhsa_float_round_mode_16_64 0
		.amdhsa_float_denorm_mode_32 3
		.amdhsa_float_denorm_mode_16_64 3
		.amdhsa_dx10_clamp 1
		.amdhsa_ieee_mode 1
		.amdhsa_fp16_overflow 0
		.amdhsa_tg_split 0
		.amdhsa_exception_fp_ieee_invalid_op 0
		.amdhsa_exception_fp_denorm_src 0
		.amdhsa_exception_fp_ieee_div_zero 0
		.amdhsa_exception_fp_ieee_overflow 0
		.amdhsa_exception_fp_ieee_underflow 0
		.amdhsa_exception_fp_ieee_inexact 0
		.amdhsa_exception_int_div_zero 0
	.end_amdhsa_kernel
	.section	.text._ZN7rocprim17ROCPRIM_400000_NS6detail17trampoline_kernelINS0_14default_configENS1_25partition_config_selectorILNS1_17partition_subalgoE1EiNS0_10empty_typeEbEEZZNS1_14partition_implILS5_1ELb0ES3_jN6thrust23THRUST_200600_302600_NS6detail15normal_iteratorINSA_10device_ptrIiEEEEPS6_NSA_18transform_iteratorI7is_evenIiESF_NSA_11use_defaultESK_EENS0_5tupleIJSF_NSA_16discard_iteratorISK_EEEEENSM_IJSG_SG_EEES6_PlJS6_EEE10hipError_tPvRmT3_T4_T5_T6_T7_T9_mT8_P12ihipStream_tbDpT10_ENKUlT_T0_E_clISt17integral_constantIbLb0EES1B_EEDaS16_S17_EUlS16_E_NS1_11comp_targetILNS1_3genE10ELNS1_11target_archE1200ELNS1_3gpuE4ELNS1_3repE0EEENS1_30default_config_static_selectorELNS0_4arch9wavefront6targetE1EEEvT1_,"axG",@progbits,_ZN7rocprim17ROCPRIM_400000_NS6detail17trampoline_kernelINS0_14default_configENS1_25partition_config_selectorILNS1_17partition_subalgoE1EiNS0_10empty_typeEbEEZZNS1_14partition_implILS5_1ELb0ES3_jN6thrust23THRUST_200600_302600_NS6detail15normal_iteratorINSA_10device_ptrIiEEEEPS6_NSA_18transform_iteratorI7is_evenIiESF_NSA_11use_defaultESK_EENS0_5tupleIJSF_NSA_16discard_iteratorISK_EEEEENSM_IJSG_SG_EEES6_PlJS6_EEE10hipError_tPvRmT3_T4_T5_T6_T7_T9_mT8_P12ihipStream_tbDpT10_ENKUlT_T0_E_clISt17integral_constantIbLb0EES1B_EEDaS16_S17_EUlS16_E_NS1_11comp_targetILNS1_3genE10ELNS1_11target_archE1200ELNS1_3gpuE4ELNS1_3repE0EEENS1_30default_config_static_selectorELNS0_4arch9wavefront6targetE1EEEvT1_,comdat
.Lfunc_end3296:
	.size	_ZN7rocprim17ROCPRIM_400000_NS6detail17trampoline_kernelINS0_14default_configENS1_25partition_config_selectorILNS1_17partition_subalgoE1EiNS0_10empty_typeEbEEZZNS1_14partition_implILS5_1ELb0ES3_jN6thrust23THRUST_200600_302600_NS6detail15normal_iteratorINSA_10device_ptrIiEEEEPS6_NSA_18transform_iteratorI7is_evenIiESF_NSA_11use_defaultESK_EENS0_5tupleIJSF_NSA_16discard_iteratorISK_EEEEENSM_IJSG_SG_EEES6_PlJS6_EEE10hipError_tPvRmT3_T4_T5_T6_T7_T9_mT8_P12ihipStream_tbDpT10_ENKUlT_T0_E_clISt17integral_constantIbLb0EES1B_EEDaS16_S17_EUlS16_E_NS1_11comp_targetILNS1_3genE10ELNS1_11target_archE1200ELNS1_3gpuE4ELNS1_3repE0EEENS1_30default_config_static_selectorELNS0_4arch9wavefront6targetE1EEEvT1_, .Lfunc_end3296-_ZN7rocprim17ROCPRIM_400000_NS6detail17trampoline_kernelINS0_14default_configENS1_25partition_config_selectorILNS1_17partition_subalgoE1EiNS0_10empty_typeEbEEZZNS1_14partition_implILS5_1ELb0ES3_jN6thrust23THRUST_200600_302600_NS6detail15normal_iteratorINSA_10device_ptrIiEEEEPS6_NSA_18transform_iteratorI7is_evenIiESF_NSA_11use_defaultESK_EENS0_5tupleIJSF_NSA_16discard_iteratorISK_EEEEENSM_IJSG_SG_EEES6_PlJS6_EEE10hipError_tPvRmT3_T4_T5_T6_T7_T9_mT8_P12ihipStream_tbDpT10_ENKUlT_T0_E_clISt17integral_constantIbLb0EES1B_EEDaS16_S17_EUlS16_E_NS1_11comp_targetILNS1_3genE10ELNS1_11target_archE1200ELNS1_3gpuE4ELNS1_3repE0EEENS1_30default_config_static_selectorELNS0_4arch9wavefront6targetE1EEEvT1_
                                        ; -- End function
	.section	.AMDGPU.csdata,"",@progbits
; Kernel info:
; codeLenInByte = 0
; NumSgprs: 6
; NumVgprs: 0
; NumAgprs: 0
; TotalNumVgprs: 0
; ScratchSize: 0
; MemoryBound: 0
; FloatMode: 240
; IeeeMode: 1
; LDSByteSize: 0 bytes/workgroup (compile time only)
; SGPRBlocks: 0
; VGPRBlocks: 0
; NumSGPRsForWavesPerEU: 6
; NumVGPRsForWavesPerEU: 1
; AccumOffset: 4
; Occupancy: 8
; WaveLimiterHint : 0
; COMPUTE_PGM_RSRC2:SCRATCH_EN: 0
; COMPUTE_PGM_RSRC2:USER_SGPR: 2
; COMPUTE_PGM_RSRC2:TRAP_HANDLER: 0
; COMPUTE_PGM_RSRC2:TGID_X_EN: 1
; COMPUTE_PGM_RSRC2:TGID_Y_EN: 0
; COMPUTE_PGM_RSRC2:TGID_Z_EN: 0
; COMPUTE_PGM_RSRC2:TIDIG_COMP_CNT: 0
; COMPUTE_PGM_RSRC3_GFX90A:ACCUM_OFFSET: 0
; COMPUTE_PGM_RSRC3_GFX90A:TG_SPLIT: 0
	.section	.text._ZN7rocprim17ROCPRIM_400000_NS6detail17trampoline_kernelINS0_14default_configENS1_25partition_config_selectorILNS1_17partition_subalgoE1EiNS0_10empty_typeEbEEZZNS1_14partition_implILS5_1ELb0ES3_jN6thrust23THRUST_200600_302600_NS6detail15normal_iteratorINSA_10device_ptrIiEEEEPS6_NSA_18transform_iteratorI7is_evenIiESF_NSA_11use_defaultESK_EENS0_5tupleIJSF_NSA_16discard_iteratorISK_EEEEENSM_IJSG_SG_EEES6_PlJS6_EEE10hipError_tPvRmT3_T4_T5_T6_T7_T9_mT8_P12ihipStream_tbDpT10_ENKUlT_T0_E_clISt17integral_constantIbLb0EES1B_EEDaS16_S17_EUlS16_E_NS1_11comp_targetILNS1_3genE9ELNS1_11target_archE1100ELNS1_3gpuE3ELNS1_3repE0EEENS1_30default_config_static_selectorELNS0_4arch9wavefront6targetE1EEEvT1_,"axG",@progbits,_ZN7rocprim17ROCPRIM_400000_NS6detail17trampoline_kernelINS0_14default_configENS1_25partition_config_selectorILNS1_17partition_subalgoE1EiNS0_10empty_typeEbEEZZNS1_14partition_implILS5_1ELb0ES3_jN6thrust23THRUST_200600_302600_NS6detail15normal_iteratorINSA_10device_ptrIiEEEEPS6_NSA_18transform_iteratorI7is_evenIiESF_NSA_11use_defaultESK_EENS0_5tupleIJSF_NSA_16discard_iteratorISK_EEEEENSM_IJSG_SG_EEES6_PlJS6_EEE10hipError_tPvRmT3_T4_T5_T6_T7_T9_mT8_P12ihipStream_tbDpT10_ENKUlT_T0_E_clISt17integral_constantIbLb0EES1B_EEDaS16_S17_EUlS16_E_NS1_11comp_targetILNS1_3genE9ELNS1_11target_archE1100ELNS1_3gpuE3ELNS1_3repE0EEENS1_30default_config_static_selectorELNS0_4arch9wavefront6targetE1EEEvT1_,comdat
	.protected	_ZN7rocprim17ROCPRIM_400000_NS6detail17trampoline_kernelINS0_14default_configENS1_25partition_config_selectorILNS1_17partition_subalgoE1EiNS0_10empty_typeEbEEZZNS1_14partition_implILS5_1ELb0ES3_jN6thrust23THRUST_200600_302600_NS6detail15normal_iteratorINSA_10device_ptrIiEEEEPS6_NSA_18transform_iteratorI7is_evenIiESF_NSA_11use_defaultESK_EENS0_5tupleIJSF_NSA_16discard_iteratorISK_EEEEENSM_IJSG_SG_EEES6_PlJS6_EEE10hipError_tPvRmT3_T4_T5_T6_T7_T9_mT8_P12ihipStream_tbDpT10_ENKUlT_T0_E_clISt17integral_constantIbLb0EES1B_EEDaS16_S17_EUlS16_E_NS1_11comp_targetILNS1_3genE9ELNS1_11target_archE1100ELNS1_3gpuE3ELNS1_3repE0EEENS1_30default_config_static_selectorELNS0_4arch9wavefront6targetE1EEEvT1_ ; -- Begin function _ZN7rocprim17ROCPRIM_400000_NS6detail17trampoline_kernelINS0_14default_configENS1_25partition_config_selectorILNS1_17partition_subalgoE1EiNS0_10empty_typeEbEEZZNS1_14partition_implILS5_1ELb0ES3_jN6thrust23THRUST_200600_302600_NS6detail15normal_iteratorINSA_10device_ptrIiEEEEPS6_NSA_18transform_iteratorI7is_evenIiESF_NSA_11use_defaultESK_EENS0_5tupleIJSF_NSA_16discard_iteratorISK_EEEEENSM_IJSG_SG_EEES6_PlJS6_EEE10hipError_tPvRmT3_T4_T5_T6_T7_T9_mT8_P12ihipStream_tbDpT10_ENKUlT_T0_E_clISt17integral_constantIbLb0EES1B_EEDaS16_S17_EUlS16_E_NS1_11comp_targetILNS1_3genE9ELNS1_11target_archE1100ELNS1_3gpuE3ELNS1_3repE0EEENS1_30default_config_static_selectorELNS0_4arch9wavefront6targetE1EEEvT1_
	.globl	_ZN7rocprim17ROCPRIM_400000_NS6detail17trampoline_kernelINS0_14default_configENS1_25partition_config_selectorILNS1_17partition_subalgoE1EiNS0_10empty_typeEbEEZZNS1_14partition_implILS5_1ELb0ES3_jN6thrust23THRUST_200600_302600_NS6detail15normal_iteratorINSA_10device_ptrIiEEEEPS6_NSA_18transform_iteratorI7is_evenIiESF_NSA_11use_defaultESK_EENS0_5tupleIJSF_NSA_16discard_iteratorISK_EEEEENSM_IJSG_SG_EEES6_PlJS6_EEE10hipError_tPvRmT3_T4_T5_T6_T7_T9_mT8_P12ihipStream_tbDpT10_ENKUlT_T0_E_clISt17integral_constantIbLb0EES1B_EEDaS16_S17_EUlS16_E_NS1_11comp_targetILNS1_3genE9ELNS1_11target_archE1100ELNS1_3gpuE3ELNS1_3repE0EEENS1_30default_config_static_selectorELNS0_4arch9wavefront6targetE1EEEvT1_
	.p2align	8
	.type	_ZN7rocprim17ROCPRIM_400000_NS6detail17trampoline_kernelINS0_14default_configENS1_25partition_config_selectorILNS1_17partition_subalgoE1EiNS0_10empty_typeEbEEZZNS1_14partition_implILS5_1ELb0ES3_jN6thrust23THRUST_200600_302600_NS6detail15normal_iteratorINSA_10device_ptrIiEEEEPS6_NSA_18transform_iteratorI7is_evenIiESF_NSA_11use_defaultESK_EENS0_5tupleIJSF_NSA_16discard_iteratorISK_EEEEENSM_IJSG_SG_EEES6_PlJS6_EEE10hipError_tPvRmT3_T4_T5_T6_T7_T9_mT8_P12ihipStream_tbDpT10_ENKUlT_T0_E_clISt17integral_constantIbLb0EES1B_EEDaS16_S17_EUlS16_E_NS1_11comp_targetILNS1_3genE9ELNS1_11target_archE1100ELNS1_3gpuE3ELNS1_3repE0EEENS1_30default_config_static_selectorELNS0_4arch9wavefront6targetE1EEEvT1_,@function
_ZN7rocprim17ROCPRIM_400000_NS6detail17trampoline_kernelINS0_14default_configENS1_25partition_config_selectorILNS1_17partition_subalgoE1EiNS0_10empty_typeEbEEZZNS1_14partition_implILS5_1ELb0ES3_jN6thrust23THRUST_200600_302600_NS6detail15normal_iteratorINSA_10device_ptrIiEEEEPS6_NSA_18transform_iteratorI7is_evenIiESF_NSA_11use_defaultESK_EENS0_5tupleIJSF_NSA_16discard_iteratorISK_EEEEENSM_IJSG_SG_EEES6_PlJS6_EEE10hipError_tPvRmT3_T4_T5_T6_T7_T9_mT8_P12ihipStream_tbDpT10_ENKUlT_T0_E_clISt17integral_constantIbLb0EES1B_EEDaS16_S17_EUlS16_E_NS1_11comp_targetILNS1_3genE9ELNS1_11target_archE1100ELNS1_3gpuE3ELNS1_3repE0EEENS1_30default_config_static_selectorELNS0_4arch9wavefront6targetE1EEEvT1_: ; @_ZN7rocprim17ROCPRIM_400000_NS6detail17trampoline_kernelINS0_14default_configENS1_25partition_config_selectorILNS1_17partition_subalgoE1EiNS0_10empty_typeEbEEZZNS1_14partition_implILS5_1ELb0ES3_jN6thrust23THRUST_200600_302600_NS6detail15normal_iteratorINSA_10device_ptrIiEEEEPS6_NSA_18transform_iteratorI7is_evenIiESF_NSA_11use_defaultESK_EENS0_5tupleIJSF_NSA_16discard_iteratorISK_EEEEENSM_IJSG_SG_EEES6_PlJS6_EEE10hipError_tPvRmT3_T4_T5_T6_T7_T9_mT8_P12ihipStream_tbDpT10_ENKUlT_T0_E_clISt17integral_constantIbLb0EES1B_EEDaS16_S17_EUlS16_E_NS1_11comp_targetILNS1_3genE9ELNS1_11target_archE1100ELNS1_3gpuE3ELNS1_3repE0EEENS1_30default_config_static_selectorELNS0_4arch9wavefront6targetE1EEEvT1_
; %bb.0:
	.section	.rodata,"a",@progbits
	.p2align	6, 0x0
	.amdhsa_kernel _ZN7rocprim17ROCPRIM_400000_NS6detail17trampoline_kernelINS0_14default_configENS1_25partition_config_selectorILNS1_17partition_subalgoE1EiNS0_10empty_typeEbEEZZNS1_14partition_implILS5_1ELb0ES3_jN6thrust23THRUST_200600_302600_NS6detail15normal_iteratorINSA_10device_ptrIiEEEEPS6_NSA_18transform_iteratorI7is_evenIiESF_NSA_11use_defaultESK_EENS0_5tupleIJSF_NSA_16discard_iteratorISK_EEEEENSM_IJSG_SG_EEES6_PlJS6_EEE10hipError_tPvRmT3_T4_T5_T6_T7_T9_mT8_P12ihipStream_tbDpT10_ENKUlT_T0_E_clISt17integral_constantIbLb0EES1B_EEDaS16_S17_EUlS16_E_NS1_11comp_targetILNS1_3genE9ELNS1_11target_archE1100ELNS1_3gpuE3ELNS1_3repE0EEENS1_30default_config_static_selectorELNS0_4arch9wavefront6targetE1EEEvT1_
		.amdhsa_group_segment_fixed_size 0
		.amdhsa_private_segment_fixed_size 0
		.amdhsa_kernarg_size 136
		.amdhsa_user_sgpr_count 2
		.amdhsa_user_sgpr_dispatch_ptr 0
		.amdhsa_user_sgpr_queue_ptr 0
		.amdhsa_user_sgpr_kernarg_segment_ptr 1
		.amdhsa_user_sgpr_dispatch_id 0
		.amdhsa_user_sgpr_kernarg_preload_length 0
		.amdhsa_user_sgpr_kernarg_preload_offset 0
		.amdhsa_user_sgpr_private_segment_size 0
		.amdhsa_uses_dynamic_stack 0
		.amdhsa_enable_private_segment 0
		.amdhsa_system_sgpr_workgroup_id_x 1
		.amdhsa_system_sgpr_workgroup_id_y 0
		.amdhsa_system_sgpr_workgroup_id_z 0
		.amdhsa_system_sgpr_workgroup_info 0
		.amdhsa_system_vgpr_workitem_id 0
		.amdhsa_next_free_vgpr 1
		.amdhsa_next_free_sgpr 0
		.amdhsa_accum_offset 4
		.amdhsa_reserve_vcc 0
		.amdhsa_float_round_mode_32 0
		.amdhsa_float_round_mode_16_64 0
		.amdhsa_float_denorm_mode_32 3
		.amdhsa_float_denorm_mode_16_64 3
		.amdhsa_dx10_clamp 1
		.amdhsa_ieee_mode 1
		.amdhsa_fp16_overflow 0
		.amdhsa_tg_split 0
		.amdhsa_exception_fp_ieee_invalid_op 0
		.amdhsa_exception_fp_denorm_src 0
		.amdhsa_exception_fp_ieee_div_zero 0
		.amdhsa_exception_fp_ieee_overflow 0
		.amdhsa_exception_fp_ieee_underflow 0
		.amdhsa_exception_fp_ieee_inexact 0
		.amdhsa_exception_int_div_zero 0
	.end_amdhsa_kernel
	.section	.text._ZN7rocprim17ROCPRIM_400000_NS6detail17trampoline_kernelINS0_14default_configENS1_25partition_config_selectorILNS1_17partition_subalgoE1EiNS0_10empty_typeEbEEZZNS1_14partition_implILS5_1ELb0ES3_jN6thrust23THRUST_200600_302600_NS6detail15normal_iteratorINSA_10device_ptrIiEEEEPS6_NSA_18transform_iteratorI7is_evenIiESF_NSA_11use_defaultESK_EENS0_5tupleIJSF_NSA_16discard_iteratorISK_EEEEENSM_IJSG_SG_EEES6_PlJS6_EEE10hipError_tPvRmT3_T4_T5_T6_T7_T9_mT8_P12ihipStream_tbDpT10_ENKUlT_T0_E_clISt17integral_constantIbLb0EES1B_EEDaS16_S17_EUlS16_E_NS1_11comp_targetILNS1_3genE9ELNS1_11target_archE1100ELNS1_3gpuE3ELNS1_3repE0EEENS1_30default_config_static_selectorELNS0_4arch9wavefront6targetE1EEEvT1_,"axG",@progbits,_ZN7rocprim17ROCPRIM_400000_NS6detail17trampoline_kernelINS0_14default_configENS1_25partition_config_selectorILNS1_17partition_subalgoE1EiNS0_10empty_typeEbEEZZNS1_14partition_implILS5_1ELb0ES3_jN6thrust23THRUST_200600_302600_NS6detail15normal_iteratorINSA_10device_ptrIiEEEEPS6_NSA_18transform_iteratorI7is_evenIiESF_NSA_11use_defaultESK_EENS0_5tupleIJSF_NSA_16discard_iteratorISK_EEEEENSM_IJSG_SG_EEES6_PlJS6_EEE10hipError_tPvRmT3_T4_T5_T6_T7_T9_mT8_P12ihipStream_tbDpT10_ENKUlT_T0_E_clISt17integral_constantIbLb0EES1B_EEDaS16_S17_EUlS16_E_NS1_11comp_targetILNS1_3genE9ELNS1_11target_archE1100ELNS1_3gpuE3ELNS1_3repE0EEENS1_30default_config_static_selectorELNS0_4arch9wavefront6targetE1EEEvT1_,comdat
.Lfunc_end3297:
	.size	_ZN7rocprim17ROCPRIM_400000_NS6detail17trampoline_kernelINS0_14default_configENS1_25partition_config_selectorILNS1_17partition_subalgoE1EiNS0_10empty_typeEbEEZZNS1_14partition_implILS5_1ELb0ES3_jN6thrust23THRUST_200600_302600_NS6detail15normal_iteratorINSA_10device_ptrIiEEEEPS6_NSA_18transform_iteratorI7is_evenIiESF_NSA_11use_defaultESK_EENS0_5tupleIJSF_NSA_16discard_iteratorISK_EEEEENSM_IJSG_SG_EEES6_PlJS6_EEE10hipError_tPvRmT3_T4_T5_T6_T7_T9_mT8_P12ihipStream_tbDpT10_ENKUlT_T0_E_clISt17integral_constantIbLb0EES1B_EEDaS16_S17_EUlS16_E_NS1_11comp_targetILNS1_3genE9ELNS1_11target_archE1100ELNS1_3gpuE3ELNS1_3repE0EEENS1_30default_config_static_selectorELNS0_4arch9wavefront6targetE1EEEvT1_, .Lfunc_end3297-_ZN7rocprim17ROCPRIM_400000_NS6detail17trampoline_kernelINS0_14default_configENS1_25partition_config_selectorILNS1_17partition_subalgoE1EiNS0_10empty_typeEbEEZZNS1_14partition_implILS5_1ELb0ES3_jN6thrust23THRUST_200600_302600_NS6detail15normal_iteratorINSA_10device_ptrIiEEEEPS6_NSA_18transform_iteratorI7is_evenIiESF_NSA_11use_defaultESK_EENS0_5tupleIJSF_NSA_16discard_iteratorISK_EEEEENSM_IJSG_SG_EEES6_PlJS6_EEE10hipError_tPvRmT3_T4_T5_T6_T7_T9_mT8_P12ihipStream_tbDpT10_ENKUlT_T0_E_clISt17integral_constantIbLb0EES1B_EEDaS16_S17_EUlS16_E_NS1_11comp_targetILNS1_3genE9ELNS1_11target_archE1100ELNS1_3gpuE3ELNS1_3repE0EEENS1_30default_config_static_selectorELNS0_4arch9wavefront6targetE1EEEvT1_
                                        ; -- End function
	.section	.AMDGPU.csdata,"",@progbits
; Kernel info:
; codeLenInByte = 0
; NumSgprs: 6
; NumVgprs: 0
; NumAgprs: 0
; TotalNumVgprs: 0
; ScratchSize: 0
; MemoryBound: 0
; FloatMode: 240
; IeeeMode: 1
; LDSByteSize: 0 bytes/workgroup (compile time only)
; SGPRBlocks: 0
; VGPRBlocks: 0
; NumSGPRsForWavesPerEU: 6
; NumVGPRsForWavesPerEU: 1
; AccumOffset: 4
; Occupancy: 8
; WaveLimiterHint : 0
; COMPUTE_PGM_RSRC2:SCRATCH_EN: 0
; COMPUTE_PGM_RSRC2:USER_SGPR: 2
; COMPUTE_PGM_RSRC2:TRAP_HANDLER: 0
; COMPUTE_PGM_RSRC2:TGID_X_EN: 1
; COMPUTE_PGM_RSRC2:TGID_Y_EN: 0
; COMPUTE_PGM_RSRC2:TGID_Z_EN: 0
; COMPUTE_PGM_RSRC2:TIDIG_COMP_CNT: 0
; COMPUTE_PGM_RSRC3_GFX90A:ACCUM_OFFSET: 0
; COMPUTE_PGM_RSRC3_GFX90A:TG_SPLIT: 0
	.section	.text._ZN7rocprim17ROCPRIM_400000_NS6detail17trampoline_kernelINS0_14default_configENS1_25partition_config_selectorILNS1_17partition_subalgoE1EiNS0_10empty_typeEbEEZZNS1_14partition_implILS5_1ELb0ES3_jN6thrust23THRUST_200600_302600_NS6detail15normal_iteratorINSA_10device_ptrIiEEEEPS6_NSA_18transform_iteratorI7is_evenIiESF_NSA_11use_defaultESK_EENS0_5tupleIJSF_NSA_16discard_iteratorISK_EEEEENSM_IJSG_SG_EEES6_PlJS6_EEE10hipError_tPvRmT3_T4_T5_T6_T7_T9_mT8_P12ihipStream_tbDpT10_ENKUlT_T0_E_clISt17integral_constantIbLb0EES1B_EEDaS16_S17_EUlS16_E_NS1_11comp_targetILNS1_3genE8ELNS1_11target_archE1030ELNS1_3gpuE2ELNS1_3repE0EEENS1_30default_config_static_selectorELNS0_4arch9wavefront6targetE1EEEvT1_,"axG",@progbits,_ZN7rocprim17ROCPRIM_400000_NS6detail17trampoline_kernelINS0_14default_configENS1_25partition_config_selectorILNS1_17partition_subalgoE1EiNS0_10empty_typeEbEEZZNS1_14partition_implILS5_1ELb0ES3_jN6thrust23THRUST_200600_302600_NS6detail15normal_iteratorINSA_10device_ptrIiEEEEPS6_NSA_18transform_iteratorI7is_evenIiESF_NSA_11use_defaultESK_EENS0_5tupleIJSF_NSA_16discard_iteratorISK_EEEEENSM_IJSG_SG_EEES6_PlJS6_EEE10hipError_tPvRmT3_T4_T5_T6_T7_T9_mT8_P12ihipStream_tbDpT10_ENKUlT_T0_E_clISt17integral_constantIbLb0EES1B_EEDaS16_S17_EUlS16_E_NS1_11comp_targetILNS1_3genE8ELNS1_11target_archE1030ELNS1_3gpuE2ELNS1_3repE0EEENS1_30default_config_static_selectorELNS0_4arch9wavefront6targetE1EEEvT1_,comdat
	.protected	_ZN7rocprim17ROCPRIM_400000_NS6detail17trampoline_kernelINS0_14default_configENS1_25partition_config_selectorILNS1_17partition_subalgoE1EiNS0_10empty_typeEbEEZZNS1_14partition_implILS5_1ELb0ES3_jN6thrust23THRUST_200600_302600_NS6detail15normal_iteratorINSA_10device_ptrIiEEEEPS6_NSA_18transform_iteratorI7is_evenIiESF_NSA_11use_defaultESK_EENS0_5tupleIJSF_NSA_16discard_iteratorISK_EEEEENSM_IJSG_SG_EEES6_PlJS6_EEE10hipError_tPvRmT3_T4_T5_T6_T7_T9_mT8_P12ihipStream_tbDpT10_ENKUlT_T0_E_clISt17integral_constantIbLb0EES1B_EEDaS16_S17_EUlS16_E_NS1_11comp_targetILNS1_3genE8ELNS1_11target_archE1030ELNS1_3gpuE2ELNS1_3repE0EEENS1_30default_config_static_selectorELNS0_4arch9wavefront6targetE1EEEvT1_ ; -- Begin function _ZN7rocprim17ROCPRIM_400000_NS6detail17trampoline_kernelINS0_14default_configENS1_25partition_config_selectorILNS1_17partition_subalgoE1EiNS0_10empty_typeEbEEZZNS1_14partition_implILS5_1ELb0ES3_jN6thrust23THRUST_200600_302600_NS6detail15normal_iteratorINSA_10device_ptrIiEEEEPS6_NSA_18transform_iteratorI7is_evenIiESF_NSA_11use_defaultESK_EENS0_5tupleIJSF_NSA_16discard_iteratorISK_EEEEENSM_IJSG_SG_EEES6_PlJS6_EEE10hipError_tPvRmT3_T4_T5_T6_T7_T9_mT8_P12ihipStream_tbDpT10_ENKUlT_T0_E_clISt17integral_constantIbLb0EES1B_EEDaS16_S17_EUlS16_E_NS1_11comp_targetILNS1_3genE8ELNS1_11target_archE1030ELNS1_3gpuE2ELNS1_3repE0EEENS1_30default_config_static_selectorELNS0_4arch9wavefront6targetE1EEEvT1_
	.globl	_ZN7rocprim17ROCPRIM_400000_NS6detail17trampoline_kernelINS0_14default_configENS1_25partition_config_selectorILNS1_17partition_subalgoE1EiNS0_10empty_typeEbEEZZNS1_14partition_implILS5_1ELb0ES3_jN6thrust23THRUST_200600_302600_NS6detail15normal_iteratorINSA_10device_ptrIiEEEEPS6_NSA_18transform_iteratorI7is_evenIiESF_NSA_11use_defaultESK_EENS0_5tupleIJSF_NSA_16discard_iteratorISK_EEEEENSM_IJSG_SG_EEES6_PlJS6_EEE10hipError_tPvRmT3_T4_T5_T6_T7_T9_mT8_P12ihipStream_tbDpT10_ENKUlT_T0_E_clISt17integral_constantIbLb0EES1B_EEDaS16_S17_EUlS16_E_NS1_11comp_targetILNS1_3genE8ELNS1_11target_archE1030ELNS1_3gpuE2ELNS1_3repE0EEENS1_30default_config_static_selectorELNS0_4arch9wavefront6targetE1EEEvT1_
	.p2align	8
	.type	_ZN7rocprim17ROCPRIM_400000_NS6detail17trampoline_kernelINS0_14default_configENS1_25partition_config_selectorILNS1_17partition_subalgoE1EiNS0_10empty_typeEbEEZZNS1_14partition_implILS5_1ELb0ES3_jN6thrust23THRUST_200600_302600_NS6detail15normal_iteratorINSA_10device_ptrIiEEEEPS6_NSA_18transform_iteratorI7is_evenIiESF_NSA_11use_defaultESK_EENS0_5tupleIJSF_NSA_16discard_iteratorISK_EEEEENSM_IJSG_SG_EEES6_PlJS6_EEE10hipError_tPvRmT3_T4_T5_T6_T7_T9_mT8_P12ihipStream_tbDpT10_ENKUlT_T0_E_clISt17integral_constantIbLb0EES1B_EEDaS16_S17_EUlS16_E_NS1_11comp_targetILNS1_3genE8ELNS1_11target_archE1030ELNS1_3gpuE2ELNS1_3repE0EEENS1_30default_config_static_selectorELNS0_4arch9wavefront6targetE1EEEvT1_,@function
_ZN7rocprim17ROCPRIM_400000_NS6detail17trampoline_kernelINS0_14default_configENS1_25partition_config_selectorILNS1_17partition_subalgoE1EiNS0_10empty_typeEbEEZZNS1_14partition_implILS5_1ELb0ES3_jN6thrust23THRUST_200600_302600_NS6detail15normal_iteratorINSA_10device_ptrIiEEEEPS6_NSA_18transform_iteratorI7is_evenIiESF_NSA_11use_defaultESK_EENS0_5tupleIJSF_NSA_16discard_iteratorISK_EEEEENSM_IJSG_SG_EEES6_PlJS6_EEE10hipError_tPvRmT3_T4_T5_T6_T7_T9_mT8_P12ihipStream_tbDpT10_ENKUlT_T0_E_clISt17integral_constantIbLb0EES1B_EEDaS16_S17_EUlS16_E_NS1_11comp_targetILNS1_3genE8ELNS1_11target_archE1030ELNS1_3gpuE2ELNS1_3repE0EEENS1_30default_config_static_selectorELNS0_4arch9wavefront6targetE1EEEvT1_: ; @_ZN7rocprim17ROCPRIM_400000_NS6detail17trampoline_kernelINS0_14default_configENS1_25partition_config_selectorILNS1_17partition_subalgoE1EiNS0_10empty_typeEbEEZZNS1_14partition_implILS5_1ELb0ES3_jN6thrust23THRUST_200600_302600_NS6detail15normal_iteratorINSA_10device_ptrIiEEEEPS6_NSA_18transform_iteratorI7is_evenIiESF_NSA_11use_defaultESK_EENS0_5tupleIJSF_NSA_16discard_iteratorISK_EEEEENSM_IJSG_SG_EEES6_PlJS6_EEE10hipError_tPvRmT3_T4_T5_T6_T7_T9_mT8_P12ihipStream_tbDpT10_ENKUlT_T0_E_clISt17integral_constantIbLb0EES1B_EEDaS16_S17_EUlS16_E_NS1_11comp_targetILNS1_3genE8ELNS1_11target_archE1030ELNS1_3gpuE2ELNS1_3repE0EEENS1_30default_config_static_selectorELNS0_4arch9wavefront6targetE1EEEvT1_
; %bb.0:
	.section	.rodata,"a",@progbits
	.p2align	6, 0x0
	.amdhsa_kernel _ZN7rocprim17ROCPRIM_400000_NS6detail17trampoline_kernelINS0_14default_configENS1_25partition_config_selectorILNS1_17partition_subalgoE1EiNS0_10empty_typeEbEEZZNS1_14partition_implILS5_1ELb0ES3_jN6thrust23THRUST_200600_302600_NS6detail15normal_iteratorINSA_10device_ptrIiEEEEPS6_NSA_18transform_iteratorI7is_evenIiESF_NSA_11use_defaultESK_EENS0_5tupleIJSF_NSA_16discard_iteratorISK_EEEEENSM_IJSG_SG_EEES6_PlJS6_EEE10hipError_tPvRmT3_T4_T5_T6_T7_T9_mT8_P12ihipStream_tbDpT10_ENKUlT_T0_E_clISt17integral_constantIbLb0EES1B_EEDaS16_S17_EUlS16_E_NS1_11comp_targetILNS1_3genE8ELNS1_11target_archE1030ELNS1_3gpuE2ELNS1_3repE0EEENS1_30default_config_static_selectorELNS0_4arch9wavefront6targetE1EEEvT1_
		.amdhsa_group_segment_fixed_size 0
		.amdhsa_private_segment_fixed_size 0
		.amdhsa_kernarg_size 136
		.amdhsa_user_sgpr_count 2
		.amdhsa_user_sgpr_dispatch_ptr 0
		.amdhsa_user_sgpr_queue_ptr 0
		.amdhsa_user_sgpr_kernarg_segment_ptr 1
		.amdhsa_user_sgpr_dispatch_id 0
		.amdhsa_user_sgpr_kernarg_preload_length 0
		.amdhsa_user_sgpr_kernarg_preload_offset 0
		.amdhsa_user_sgpr_private_segment_size 0
		.amdhsa_uses_dynamic_stack 0
		.amdhsa_enable_private_segment 0
		.amdhsa_system_sgpr_workgroup_id_x 1
		.amdhsa_system_sgpr_workgroup_id_y 0
		.amdhsa_system_sgpr_workgroup_id_z 0
		.amdhsa_system_sgpr_workgroup_info 0
		.amdhsa_system_vgpr_workitem_id 0
		.amdhsa_next_free_vgpr 1
		.amdhsa_next_free_sgpr 0
		.amdhsa_accum_offset 4
		.amdhsa_reserve_vcc 0
		.amdhsa_float_round_mode_32 0
		.amdhsa_float_round_mode_16_64 0
		.amdhsa_float_denorm_mode_32 3
		.amdhsa_float_denorm_mode_16_64 3
		.amdhsa_dx10_clamp 1
		.amdhsa_ieee_mode 1
		.amdhsa_fp16_overflow 0
		.amdhsa_tg_split 0
		.amdhsa_exception_fp_ieee_invalid_op 0
		.amdhsa_exception_fp_denorm_src 0
		.amdhsa_exception_fp_ieee_div_zero 0
		.amdhsa_exception_fp_ieee_overflow 0
		.amdhsa_exception_fp_ieee_underflow 0
		.amdhsa_exception_fp_ieee_inexact 0
		.amdhsa_exception_int_div_zero 0
	.end_amdhsa_kernel
	.section	.text._ZN7rocprim17ROCPRIM_400000_NS6detail17trampoline_kernelINS0_14default_configENS1_25partition_config_selectorILNS1_17partition_subalgoE1EiNS0_10empty_typeEbEEZZNS1_14partition_implILS5_1ELb0ES3_jN6thrust23THRUST_200600_302600_NS6detail15normal_iteratorINSA_10device_ptrIiEEEEPS6_NSA_18transform_iteratorI7is_evenIiESF_NSA_11use_defaultESK_EENS0_5tupleIJSF_NSA_16discard_iteratorISK_EEEEENSM_IJSG_SG_EEES6_PlJS6_EEE10hipError_tPvRmT3_T4_T5_T6_T7_T9_mT8_P12ihipStream_tbDpT10_ENKUlT_T0_E_clISt17integral_constantIbLb0EES1B_EEDaS16_S17_EUlS16_E_NS1_11comp_targetILNS1_3genE8ELNS1_11target_archE1030ELNS1_3gpuE2ELNS1_3repE0EEENS1_30default_config_static_selectorELNS0_4arch9wavefront6targetE1EEEvT1_,"axG",@progbits,_ZN7rocprim17ROCPRIM_400000_NS6detail17trampoline_kernelINS0_14default_configENS1_25partition_config_selectorILNS1_17partition_subalgoE1EiNS0_10empty_typeEbEEZZNS1_14partition_implILS5_1ELb0ES3_jN6thrust23THRUST_200600_302600_NS6detail15normal_iteratorINSA_10device_ptrIiEEEEPS6_NSA_18transform_iteratorI7is_evenIiESF_NSA_11use_defaultESK_EENS0_5tupleIJSF_NSA_16discard_iteratorISK_EEEEENSM_IJSG_SG_EEES6_PlJS6_EEE10hipError_tPvRmT3_T4_T5_T6_T7_T9_mT8_P12ihipStream_tbDpT10_ENKUlT_T0_E_clISt17integral_constantIbLb0EES1B_EEDaS16_S17_EUlS16_E_NS1_11comp_targetILNS1_3genE8ELNS1_11target_archE1030ELNS1_3gpuE2ELNS1_3repE0EEENS1_30default_config_static_selectorELNS0_4arch9wavefront6targetE1EEEvT1_,comdat
.Lfunc_end3298:
	.size	_ZN7rocprim17ROCPRIM_400000_NS6detail17trampoline_kernelINS0_14default_configENS1_25partition_config_selectorILNS1_17partition_subalgoE1EiNS0_10empty_typeEbEEZZNS1_14partition_implILS5_1ELb0ES3_jN6thrust23THRUST_200600_302600_NS6detail15normal_iteratorINSA_10device_ptrIiEEEEPS6_NSA_18transform_iteratorI7is_evenIiESF_NSA_11use_defaultESK_EENS0_5tupleIJSF_NSA_16discard_iteratorISK_EEEEENSM_IJSG_SG_EEES6_PlJS6_EEE10hipError_tPvRmT3_T4_T5_T6_T7_T9_mT8_P12ihipStream_tbDpT10_ENKUlT_T0_E_clISt17integral_constantIbLb0EES1B_EEDaS16_S17_EUlS16_E_NS1_11comp_targetILNS1_3genE8ELNS1_11target_archE1030ELNS1_3gpuE2ELNS1_3repE0EEENS1_30default_config_static_selectorELNS0_4arch9wavefront6targetE1EEEvT1_, .Lfunc_end3298-_ZN7rocprim17ROCPRIM_400000_NS6detail17trampoline_kernelINS0_14default_configENS1_25partition_config_selectorILNS1_17partition_subalgoE1EiNS0_10empty_typeEbEEZZNS1_14partition_implILS5_1ELb0ES3_jN6thrust23THRUST_200600_302600_NS6detail15normal_iteratorINSA_10device_ptrIiEEEEPS6_NSA_18transform_iteratorI7is_evenIiESF_NSA_11use_defaultESK_EENS0_5tupleIJSF_NSA_16discard_iteratorISK_EEEEENSM_IJSG_SG_EEES6_PlJS6_EEE10hipError_tPvRmT3_T4_T5_T6_T7_T9_mT8_P12ihipStream_tbDpT10_ENKUlT_T0_E_clISt17integral_constantIbLb0EES1B_EEDaS16_S17_EUlS16_E_NS1_11comp_targetILNS1_3genE8ELNS1_11target_archE1030ELNS1_3gpuE2ELNS1_3repE0EEENS1_30default_config_static_selectorELNS0_4arch9wavefront6targetE1EEEvT1_
                                        ; -- End function
	.section	.AMDGPU.csdata,"",@progbits
; Kernel info:
; codeLenInByte = 0
; NumSgprs: 6
; NumVgprs: 0
; NumAgprs: 0
; TotalNumVgprs: 0
; ScratchSize: 0
; MemoryBound: 0
; FloatMode: 240
; IeeeMode: 1
; LDSByteSize: 0 bytes/workgroup (compile time only)
; SGPRBlocks: 0
; VGPRBlocks: 0
; NumSGPRsForWavesPerEU: 6
; NumVGPRsForWavesPerEU: 1
; AccumOffset: 4
; Occupancy: 8
; WaveLimiterHint : 0
; COMPUTE_PGM_RSRC2:SCRATCH_EN: 0
; COMPUTE_PGM_RSRC2:USER_SGPR: 2
; COMPUTE_PGM_RSRC2:TRAP_HANDLER: 0
; COMPUTE_PGM_RSRC2:TGID_X_EN: 1
; COMPUTE_PGM_RSRC2:TGID_Y_EN: 0
; COMPUTE_PGM_RSRC2:TGID_Z_EN: 0
; COMPUTE_PGM_RSRC2:TIDIG_COMP_CNT: 0
; COMPUTE_PGM_RSRC3_GFX90A:ACCUM_OFFSET: 0
; COMPUTE_PGM_RSRC3_GFX90A:TG_SPLIT: 0
	.section	.text._ZN7rocprim17ROCPRIM_400000_NS6detail17trampoline_kernelINS0_14default_configENS1_25partition_config_selectorILNS1_17partition_subalgoE1EiNS0_10empty_typeEbEEZZNS1_14partition_implILS5_1ELb0ES3_jN6thrust23THRUST_200600_302600_NS6detail15normal_iteratorINSA_10device_ptrIiEEEEPS6_NSA_18transform_iteratorI7is_evenIiESF_NSA_11use_defaultESK_EENS0_5tupleIJSF_NSA_16discard_iteratorISK_EEEEENSM_IJSG_SG_EEES6_PlJS6_EEE10hipError_tPvRmT3_T4_T5_T6_T7_T9_mT8_P12ihipStream_tbDpT10_ENKUlT_T0_E_clISt17integral_constantIbLb1EES1B_EEDaS16_S17_EUlS16_E_NS1_11comp_targetILNS1_3genE0ELNS1_11target_archE4294967295ELNS1_3gpuE0ELNS1_3repE0EEENS1_30default_config_static_selectorELNS0_4arch9wavefront6targetE1EEEvT1_,"axG",@progbits,_ZN7rocprim17ROCPRIM_400000_NS6detail17trampoline_kernelINS0_14default_configENS1_25partition_config_selectorILNS1_17partition_subalgoE1EiNS0_10empty_typeEbEEZZNS1_14partition_implILS5_1ELb0ES3_jN6thrust23THRUST_200600_302600_NS6detail15normal_iteratorINSA_10device_ptrIiEEEEPS6_NSA_18transform_iteratorI7is_evenIiESF_NSA_11use_defaultESK_EENS0_5tupleIJSF_NSA_16discard_iteratorISK_EEEEENSM_IJSG_SG_EEES6_PlJS6_EEE10hipError_tPvRmT3_T4_T5_T6_T7_T9_mT8_P12ihipStream_tbDpT10_ENKUlT_T0_E_clISt17integral_constantIbLb1EES1B_EEDaS16_S17_EUlS16_E_NS1_11comp_targetILNS1_3genE0ELNS1_11target_archE4294967295ELNS1_3gpuE0ELNS1_3repE0EEENS1_30default_config_static_selectorELNS0_4arch9wavefront6targetE1EEEvT1_,comdat
	.protected	_ZN7rocprim17ROCPRIM_400000_NS6detail17trampoline_kernelINS0_14default_configENS1_25partition_config_selectorILNS1_17partition_subalgoE1EiNS0_10empty_typeEbEEZZNS1_14partition_implILS5_1ELb0ES3_jN6thrust23THRUST_200600_302600_NS6detail15normal_iteratorINSA_10device_ptrIiEEEEPS6_NSA_18transform_iteratorI7is_evenIiESF_NSA_11use_defaultESK_EENS0_5tupleIJSF_NSA_16discard_iteratorISK_EEEEENSM_IJSG_SG_EEES6_PlJS6_EEE10hipError_tPvRmT3_T4_T5_T6_T7_T9_mT8_P12ihipStream_tbDpT10_ENKUlT_T0_E_clISt17integral_constantIbLb1EES1B_EEDaS16_S17_EUlS16_E_NS1_11comp_targetILNS1_3genE0ELNS1_11target_archE4294967295ELNS1_3gpuE0ELNS1_3repE0EEENS1_30default_config_static_selectorELNS0_4arch9wavefront6targetE1EEEvT1_ ; -- Begin function _ZN7rocprim17ROCPRIM_400000_NS6detail17trampoline_kernelINS0_14default_configENS1_25partition_config_selectorILNS1_17partition_subalgoE1EiNS0_10empty_typeEbEEZZNS1_14partition_implILS5_1ELb0ES3_jN6thrust23THRUST_200600_302600_NS6detail15normal_iteratorINSA_10device_ptrIiEEEEPS6_NSA_18transform_iteratorI7is_evenIiESF_NSA_11use_defaultESK_EENS0_5tupleIJSF_NSA_16discard_iteratorISK_EEEEENSM_IJSG_SG_EEES6_PlJS6_EEE10hipError_tPvRmT3_T4_T5_T6_T7_T9_mT8_P12ihipStream_tbDpT10_ENKUlT_T0_E_clISt17integral_constantIbLb1EES1B_EEDaS16_S17_EUlS16_E_NS1_11comp_targetILNS1_3genE0ELNS1_11target_archE4294967295ELNS1_3gpuE0ELNS1_3repE0EEENS1_30default_config_static_selectorELNS0_4arch9wavefront6targetE1EEEvT1_
	.globl	_ZN7rocprim17ROCPRIM_400000_NS6detail17trampoline_kernelINS0_14default_configENS1_25partition_config_selectorILNS1_17partition_subalgoE1EiNS0_10empty_typeEbEEZZNS1_14partition_implILS5_1ELb0ES3_jN6thrust23THRUST_200600_302600_NS6detail15normal_iteratorINSA_10device_ptrIiEEEEPS6_NSA_18transform_iteratorI7is_evenIiESF_NSA_11use_defaultESK_EENS0_5tupleIJSF_NSA_16discard_iteratorISK_EEEEENSM_IJSG_SG_EEES6_PlJS6_EEE10hipError_tPvRmT3_T4_T5_T6_T7_T9_mT8_P12ihipStream_tbDpT10_ENKUlT_T0_E_clISt17integral_constantIbLb1EES1B_EEDaS16_S17_EUlS16_E_NS1_11comp_targetILNS1_3genE0ELNS1_11target_archE4294967295ELNS1_3gpuE0ELNS1_3repE0EEENS1_30default_config_static_selectorELNS0_4arch9wavefront6targetE1EEEvT1_
	.p2align	8
	.type	_ZN7rocprim17ROCPRIM_400000_NS6detail17trampoline_kernelINS0_14default_configENS1_25partition_config_selectorILNS1_17partition_subalgoE1EiNS0_10empty_typeEbEEZZNS1_14partition_implILS5_1ELb0ES3_jN6thrust23THRUST_200600_302600_NS6detail15normal_iteratorINSA_10device_ptrIiEEEEPS6_NSA_18transform_iteratorI7is_evenIiESF_NSA_11use_defaultESK_EENS0_5tupleIJSF_NSA_16discard_iteratorISK_EEEEENSM_IJSG_SG_EEES6_PlJS6_EEE10hipError_tPvRmT3_T4_T5_T6_T7_T9_mT8_P12ihipStream_tbDpT10_ENKUlT_T0_E_clISt17integral_constantIbLb1EES1B_EEDaS16_S17_EUlS16_E_NS1_11comp_targetILNS1_3genE0ELNS1_11target_archE4294967295ELNS1_3gpuE0ELNS1_3repE0EEENS1_30default_config_static_selectorELNS0_4arch9wavefront6targetE1EEEvT1_,@function
_ZN7rocprim17ROCPRIM_400000_NS6detail17trampoline_kernelINS0_14default_configENS1_25partition_config_selectorILNS1_17partition_subalgoE1EiNS0_10empty_typeEbEEZZNS1_14partition_implILS5_1ELb0ES3_jN6thrust23THRUST_200600_302600_NS6detail15normal_iteratorINSA_10device_ptrIiEEEEPS6_NSA_18transform_iteratorI7is_evenIiESF_NSA_11use_defaultESK_EENS0_5tupleIJSF_NSA_16discard_iteratorISK_EEEEENSM_IJSG_SG_EEES6_PlJS6_EEE10hipError_tPvRmT3_T4_T5_T6_T7_T9_mT8_P12ihipStream_tbDpT10_ENKUlT_T0_E_clISt17integral_constantIbLb1EES1B_EEDaS16_S17_EUlS16_E_NS1_11comp_targetILNS1_3genE0ELNS1_11target_archE4294967295ELNS1_3gpuE0ELNS1_3repE0EEENS1_30default_config_static_selectorELNS0_4arch9wavefront6targetE1EEEvT1_: ; @_ZN7rocprim17ROCPRIM_400000_NS6detail17trampoline_kernelINS0_14default_configENS1_25partition_config_selectorILNS1_17partition_subalgoE1EiNS0_10empty_typeEbEEZZNS1_14partition_implILS5_1ELb0ES3_jN6thrust23THRUST_200600_302600_NS6detail15normal_iteratorINSA_10device_ptrIiEEEEPS6_NSA_18transform_iteratorI7is_evenIiESF_NSA_11use_defaultESK_EENS0_5tupleIJSF_NSA_16discard_iteratorISK_EEEEENSM_IJSG_SG_EEES6_PlJS6_EEE10hipError_tPvRmT3_T4_T5_T6_T7_T9_mT8_P12ihipStream_tbDpT10_ENKUlT_T0_E_clISt17integral_constantIbLb1EES1B_EEDaS16_S17_EUlS16_E_NS1_11comp_targetILNS1_3genE0ELNS1_11target_archE4294967295ELNS1_3gpuE0ELNS1_3repE0EEENS1_30default_config_static_selectorELNS0_4arch9wavefront6targetE1EEEvT1_
; %bb.0:
	.section	.rodata,"a",@progbits
	.p2align	6, 0x0
	.amdhsa_kernel _ZN7rocprim17ROCPRIM_400000_NS6detail17trampoline_kernelINS0_14default_configENS1_25partition_config_selectorILNS1_17partition_subalgoE1EiNS0_10empty_typeEbEEZZNS1_14partition_implILS5_1ELb0ES3_jN6thrust23THRUST_200600_302600_NS6detail15normal_iteratorINSA_10device_ptrIiEEEEPS6_NSA_18transform_iteratorI7is_evenIiESF_NSA_11use_defaultESK_EENS0_5tupleIJSF_NSA_16discard_iteratorISK_EEEEENSM_IJSG_SG_EEES6_PlJS6_EEE10hipError_tPvRmT3_T4_T5_T6_T7_T9_mT8_P12ihipStream_tbDpT10_ENKUlT_T0_E_clISt17integral_constantIbLb1EES1B_EEDaS16_S17_EUlS16_E_NS1_11comp_targetILNS1_3genE0ELNS1_11target_archE4294967295ELNS1_3gpuE0ELNS1_3repE0EEENS1_30default_config_static_selectorELNS0_4arch9wavefront6targetE1EEEvT1_
		.amdhsa_group_segment_fixed_size 0
		.amdhsa_private_segment_fixed_size 0
		.amdhsa_kernarg_size 152
		.amdhsa_user_sgpr_count 2
		.amdhsa_user_sgpr_dispatch_ptr 0
		.amdhsa_user_sgpr_queue_ptr 0
		.amdhsa_user_sgpr_kernarg_segment_ptr 1
		.amdhsa_user_sgpr_dispatch_id 0
		.amdhsa_user_sgpr_kernarg_preload_length 0
		.amdhsa_user_sgpr_kernarg_preload_offset 0
		.amdhsa_user_sgpr_private_segment_size 0
		.amdhsa_uses_dynamic_stack 0
		.amdhsa_enable_private_segment 0
		.amdhsa_system_sgpr_workgroup_id_x 1
		.amdhsa_system_sgpr_workgroup_id_y 0
		.amdhsa_system_sgpr_workgroup_id_z 0
		.amdhsa_system_sgpr_workgroup_info 0
		.amdhsa_system_vgpr_workitem_id 0
		.amdhsa_next_free_vgpr 1
		.amdhsa_next_free_sgpr 0
		.amdhsa_accum_offset 4
		.amdhsa_reserve_vcc 0
		.amdhsa_float_round_mode_32 0
		.amdhsa_float_round_mode_16_64 0
		.amdhsa_float_denorm_mode_32 3
		.amdhsa_float_denorm_mode_16_64 3
		.amdhsa_dx10_clamp 1
		.amdhsa_ieee_mode 1
		.amdhsa_fp16_overflow 0
		.amdhsa_tg_split 0
		.amdhsa_exception_fp_ieee_invalid_op 0
		.amdhsa_exception_fp_denorm_src 0
		.amdhsa_exception_fp_ieee_div_zero 0
		.amdhsa_exception_fp_ieee_overflow 0
		.amdhsa_exception_fp_ieee_underflow 0
		.amdhsa_exception_fp_ieee_inexact 0
		.amdhsa_exception_int_div_zero 0
	.end_amdhsa_kernel
	.section	.text._ZN7rocprim17ROCPRIM_400000_NS6detail17trampoline_kernelINS0_14default_configENS1_25partition_config_selectorILNS1_17partition_subalgoE1EiNS0_10empty_typeEbEEZZNS1_14partition_implILS5_1ELb0ES3_jN6thrust23THRUST_200600_302600_NS6detail15normal_iteratorINSA_10device_ptrIiEEEEPS6_NSA_18transform_iteratorI7is_evenIiESF_NSA_11use_defaultESK_EENS0_5tupleIJSF_NSA_16discard_iteratorISK_EEEEENSM_IJSG_SG_EEES6_PlJS6_EEE10hipError_tPvRmT3_T4_T5_T6_T7_T9_mT8_P12ihipStream_tbDpT10_ENKUlT_T0_E_clISt17integral_constantIbLb1EES1B_EEDaS16_S17_EUlS16_E_NS1_11comp_targetILNS1_3genE0ELNS1_11target_archE4294967295ELNS1_3gpuE0ELNS1_3repE0EEENS1_30default_config_static_selectorELNS0_4arch9wavefront6targetE1EEEvT1_,"axG",@progbits,_ZN7rocprim17ROCPRIM_400000_NS6detail17trampoline_kernelINS0_14default_configENS1_25partition_config_selectorILNS1_17partition_subalgoE1EiNS0_10empty_typeEbEEZZNS1_14partition_implILS5_1ELb0ES3_jN6thrust23THRUST_200600_302600_NS6detail15normal_iteratorINSA_10device_ptrIiEEEEPS6_NSA_18transform_iteratorI7is_evenIiESF_NSA_11use_defaultESK_EENS0_5tupleIJSF_NSA_16discard_iteratorISK_EEEEENSM_IJSG_SG_EEES6_PlJS6_EEE10hipError_tPvRmT3_T4_T5_T6_T7_T9_mT8_P12ihipStream_tbDpT10_ENKUlT_T0_E_clISt17integral_constantIbLb1EES1B_EEDaS16_S17_EUlS16_E_NS1_11comp_targetILNS1_3genE0ELNS1_11target_archE4294967295ELNS1_3gpuE0ELNS1_3repE0EEENS1_30default_config_static_selectorELNS0_4arch9wavefront6targetE1EEEvT1_,comdat
.Lfunc_end3299:
	.size	_ZN7rocprim17ROCPRIM_400000_NS6detail17trampoline_kernelINS0_14default_configENS1_25partition_config_selectorILNS1_17partition_subalgoE1EiNS0_10empty_typeEbEEZZNS1_14partition_implILS5_1ELb0ES3_jN6thrust23THRUST_200600_302600_NS6detail15normal_iteratorINSA_10device_ptrIiEEEEPS6_NSA_18transform_iteratorI7is_evenIiESF_NSA_11use_defaultESK_EENS0_5tupleIJSF_NSA_16discard_iteratorISK_EEEEENSM_IJSG_SG_EEES6_PlJS6_EEE10hipError_tPvRmT3_T4_T5_T6_T7_T9_mT8_P12ihipStream_tbDpT10_ENKUlT_T0_E_clISt17integral_constantIbLb1EES1B_EEDaS16_S17_EUlS16_E_NS1_11comp_targetILNS1_3genE0ELNS1_11target_archE4294967295ELNS1_3gpuE0ELNS1_3repE0EEENS1_30default_config_static_selectorELNS0_4arch9wavefront6targetE1EEEvT1_, .Lfunc_end3299-_ZN7rocprim17ROCPRIM_400000_NS6detail17trampoline_kernelINS0_14default_configENS1_25partition_config_selectorILNS1_17partition_subalgoE1EiNS0_10empty_typeEbEEZZNS1_14partition_implILS5_1ELb0ES3_jN6thrust23THRUST_200600_302600_NS6detail15normal_iteratorINSA_10device_ptrIiEEEEPS6_NSA_18transform_iteratorI7is_evenIiESF_NSA_11use_defaultESK_EENS0_5tupleIJSF_NSA_16discard_iteratorISK_EEEEENSM_IJSG_SG_EEES6_PlJS6_EEE10hipError_tPvRmT3_T4_T5_T6_T7_T9_mT8_P12ihipStream_tbDpT10_ENKUlT_T0_E_clISt17integral_constantIbLb1EES1B_EEDaS16_S17_EUlS16_E_NS1_11comp_targetILNS1_3genE0ELNS1_11target_archE4294967295ELNS1_3gpuE0ELNS1_3repE0EEENS1_30default_config_static_selectorELNS0_4arch9wavefront6targetE1EEEvT1_
                                        ; -- End function
	.section	.AMDGPU.csdata,"",@progbits
; Kernel info:
; codeLenInByte = 0
; NumSgprs: 6
; NumVgprs: 0
; NumAgprs: 0
; TotalNumVgprs: 0
; ScratchSize: 0
; MemoryBound: 0
; FloatMode: 240
; IeeeMode: 1
; LDSByteSize: 0 bytes/workgroup (compile time only)
; SGPRBlocks: 0
; VGPRBlocks: 0
; NumSGPRsForWavesPerEU: 6
; NumVGPRsForWavesPerEU: 1
; AccumOffset: 4
; Occupancy: 8
; WaveLimiterHint : 0
; COMPUTE_PGM_RSRC2:SCRATCH_EN: 0
; COMPUTE_PGM_RSRC2:USER_SGPR: 2
; COMPUTE_PGM_RSRC2:TRAP_HANDLER: 0
; COMPUTE_PGM_RSRC2:TGID_X_EN: 1
; COMPUTE_PGM_RSRC2:TGID_Y_EN: 0
; COMPUTE_PGM_RSRC2:TGID_Z_EN: 0
; COMPUTE_PGM_RSRC2:TIDIG_COMP_CNT: 0
; COMPUTE_PGM_RSRC3_GFX90A:ACCUM_OFFSET: 0
; COMPUTE_PGM_RSRC3_GFX90A:TG_SPLIT: 0
	.section	.text._ZN7rocprim17ROCPRIM_400000_NS6detail17trampoline_kernelINS0_14default_configENS1_25partition_config_selectorILNS1_17partition_subalgoE1EiNS0_10empty_typeEbEEZZNS1_14partition_implILS5_1ELb0ES3_jN6thrust23THRUST_200600_302600_NS6detail15normal_iteratorINSA_10device_ptrIiEEEEPS6_NSA_18transform_iteratorI7is_evenIiESF_NSA_11use_defaultESK_EENS0_5tupleIJSF_NSA_16discard_iteratorISK_EEEEENSM_IJSG_SG_EEES6_PlJS6_EEE10hipError_tPvRmT3_T4_T5_T6_T7_T9_mT8_P12ihipStream_tbDpT10_ENKUlT_T0_E_clISt17integral_constantIbLb1EES1B_EEDaS16_S17_EUlS16_E_NS1_11comp_targetILNS1_3genE5ELNS1_11target_archE942ELNS1_3gpuE9ELNS1_3repE0EEENS1_30default_config_static_selectorELNS0_4arch9wavefront6targetE1EEEvT1_,"axG",@progbits,_ZN7rocprim17ROCPRIM_400000_NS6detail17trampoline_kernelINS0_14default_configENS1_25partition_config_selectorILNS1_17partition_subalgoE1EiNS0_10empty_typeEbEEZZNS1_14partition_implILS5_1ELb0ES3_jN6thrust23THRUST_200600_302600_NS6detail15normal_iteratorINSA_10device_ptrIiEEEEPS6_NSA_18transform_iteratorI7is_evenIiESF_NSA_11use_defaultESK_EENS0_5tupleIJSF_NSA_16discard_iteratorISK_EEEEENSM_IJSG_SG_EEES6_PlJS6_EEE10hipError_tPvRmT3_T4_T5_T6_T7_T9_mT8_P12ihipStream_tbDpT10_ENKUlT_T0_E_clISt17integral_constantIbLb1EES1B_EEDaS16_S17_EUlS16_E_NS1_11comp_targetILNS1_3genE5ELNS1_11target_archE942ELNS1_3gpuE9ELNS1_3repE0EEENS1_30default_config_static_selectorELNS0_4arch9wavefront6targetE1EEEvT1_,comdat
	.protected	_ZN7rocprim17ROCPRIM_400000_NS6detail17trampoline_kernelINS0_14default_configENS1_25partition_config_selectorILNS1_17partition_subalgoE1EiNS0_10empty_typeEbEEZZNS1_14partition_implILS5_1ELb0ES3_jN6thrust23THRUST_200600_302600_NS6detail15normal_iteratorINSA_10device_ptrIiEEEEPS6_NSA_18transform_iteratorI7is_evenIiESF_NSA_11use_defaultESK_EENS0_5tupleIJSF_NSA_16discard_iteratorISK_EEEEENSM_IJSG_SG_EEES6_PlJS6_EEE10hipError_tPvRmT3_T4_T5_T6_T7_T9_mT8_P12ihipStream_tbDpT10_ENKUlT_T0_E_clISt17integral_constantIbLb1EES1B_EEDaS16_S17_EUlS16_E_NS1_11comp_targetILNS1_3genE5ELNS1_11target_archE942ELNS1_3gpuE9ELNS1_3repE0EEENS1_30default_config_static_selectorELNS0_4arch9wavefront6targetE1EEEvT1_ ; -- Begin function _ZN7rocprim17ROCPRIM_400000_NS6detail17trampoline_kernelINS0_14default_configENS1_25partition_config_selectorILNS1_17partition_subalgoE1EiNS0_10empty_typeEbEEZZNS1_14partition_implILS5_1ELb0ES3_jN6thrust23THRUST_200600_302600_NS6detail15normal_iteratorINSA_10device_ptrIiEEEEPS6_NSA_18transform_iteratorI7is_evenIiESF_NSA_11use_defaultESK_EENS0_5tupleIJSF_NSA_16discard_iteratorISK_EEEEENSM_IJSG_SG_EEES6_PlJS6_EEE10hipError_tPvRmT3_T4_T5_T6_T7_T9_mT8_P12ihipStream_tbDpT10_ENKUlT_T0_E_clISt17integral_constantIbLb1EES1B_EEDaS16_S17_EUlS16_E_NS1_11comp_targetILNS1_3genE5ELNS1_11target_archE942ELNS1_3gpuE9ELNS1_3repE0EEENS1_30default_config_static_selectorELNS0_4arch9wavefront6targetE1EEEvT1_
	.globl	_ZN7rocprim17ROCPRIM_400000_NS6detail17trampoline_kernelINS0_14default_configENS1_25partition_config_selectorILNS1_17partition_subalgoE1EiNS0_10empty_typeEbEEZZNS1_14partition_implILS5_1ELb0ES3_jN6thrust23THRUST_200600_302600_NS6detail15normal_iteratorINSA_10device_ptrIiEEEEPS6_NSA_18transform_iteratorI7is_evenIiESF_NSA_11use_defaultESK_EENS0_5tupleIJSF_NSA_16discard_iteratorISK_EEEEENSM_IJSG_SG_EEES6_PlJS6_EEE10hipError_tPvRmT3_T4_T5_T6_T7_T9_mT8_P12ihipStream_tbDpT10_ENKUlT_T0_E_clISt17integral_constantIbLb1EES1B_EEDaS16_S17_EUlS16_E_NS1_11comp_targetILNS1_3genE5ELNS1_11target_archE942ELNS1_3gpuE9ELNS1_3repE0EEENS1_30default_config_static_selectorELNS0_4arch9wavefront6targetE1EEEvT1_
	.p2align	8
	.type	_ZN7rocprim17ROCPRIM_400000_NS6detail17trampoline_kernelINS0_14default_configENS1_25partition_config_selectorILNS1_17partition_subalgoE1EiNS0_10empty_typeEbEEZZNS1_14partition_implILS5_1ELb0ES3_jN6thrust23THRUST_200600_302600_NS6detail15normal_iteratorINSA_10device_ptrIiEEEEPS6_NSA_18transform_iteratorI7is_evenIiESF_NSA_11use_defaultESK_EENS0_5tupleIJSF_NSA_16discard_iteratorISK_EEEEENSM_IJSG_SG_EEES6_PlJS6_EEE10hipError_tPvRmT3_T4_T5_T6_T7_T9_mT8_P12ihipStream_tbDpT10_ENKUlT_T0_E_clISt17integral_constantIbLb1EES1B_EEDaS16_S17_EUlS16_E_NS1_11comp_targetILNS1_3genE5ELNS1_11target_archE942ELNS1_3gpuE9ELNS1_3repE0EEENS1_30default_config_static_selectorELNS0_4arch9wavefront6targetE1EEEvT1_,@function
_ZN7rocprim17ROCPRIM_400000_NS6detail17trampoline_kernelINS0_14default_configENS1_25partition_config_selectorILNS1_17partition_subalgoE1EiNS0_10empty_typeEbEEZZNS1_14partition_implILS5_1ELb0ES3_jN6thrust23THRUST_200600_302600_NS6detail15normal_iteratorINSA_10device_ptrIiEEEEPS6_NSA_18transform_iteratorI7is_evenIiESF_NSA_11use_defaultESK_EENS0_5tupleIJSF_NSA_16discard_iteratorISK_EEEEENSM_IJSG_SG_EEES6_PlJS6_EEE10hipError_tPvRmT3_T4_T5_T6_T7_T9_mT8_P12ihipStream_tbDpT10_ENKUlT_T0_E_clISt17integral_constantIbLb1EES1B_EEDaS16_S17_EUlS16_E_NS1_11comp_targetILNS1_3genE5ELNS1_11target_archE942ELNS1_3gpuE9ELNS1_3repE0EEENS1_30default_config_static_selectorELNS0_4arch9wavefront6targetE1EEEvT1_: ; @_ZN7rocprim17ROCPRIM_400000_NS6detail17trampoline_kernelINS0_14default_configENS1_25partition_config_selectorILNS1_17partition_subalgoE1EiNS0_10empty_typeEbEEZZNS1_14partition_implILS5_1ELb0ES3_jN6thrust23THRUST_200600_302600_NS6detail15normal_iteratorINSA_10device_ptrIiEEEEPS6_NSA_18transform_iteratorI7is_evenIiESF_NSA_11use_defaultESK_EENS0_5tupleIJSF_NSA_16discard_iteratorISK_EEEEENSM_IJSG_SG_EEES6_PlJS6_EEE10hipError_tPvRmT3_T4_T5_T6_T7_T9_mT8_P12ihipStream_tbDpT10_ENKUlT_T0_E_clISt17integral_constantIbLb1EES1B_EEDaS16_S17_EUlS16_E_NS1_11comp_targetILNS1_3genE5ELNS1_11target_archE942ELNS1_3gpuE9ELNS1_3repE0EEENS1_30default_config_static_selectorELNS0_4arch9wavefront6targetE1EEEvT1_
; %bb.0:
	s_load_dwordx2 s[2:3], s[0:1], 0x20
	s_load_dwordx4 s[20:23], s[0:1], 0x58
	s_load_dwordx2 s[10:11], s[0:1], 0x68
	s_load_dwordx2 s[28:29], s[0:1], 0x78
	v_cmp_eq_u32_e64 s[18:19], 0, v0
	s_and_saveexec_b64 s[4:5], s[18:19]
	s_cbranch_execz .LBB3300_4
; %bb.1:
	s_mov_b64 s[8:9], exec
	v_mbcnt_lo_u32_b32 v1, s8, 0
	v_mbcnt_hi_u32_b32 v1, s9, v1
	v_cmp_eq_u32_e32 vcc, 0, v1
                                        ; implicit-def: $vgpr2
	s_and_saveexec_b64 s[6:7], vcc
	s_cbranch_execz .LBB3300_3
; %bb.2:
	s_load_dwordx2 s[12:13], s[0:1], 0x88
	s_bcnt1_i32_b64 s8, s[8:9]
	v_mov_b32_e32 v2, 0
	v_mov_b32_e32 v3, s8
	s_waitcnt lgkmcnt(0)
	global_atomic_add v2, v2, v3, s[12:13] sc0
.LBB3300_3:
	s_or_b64 exec, exec, s[6:7]
	s_waitcnt vmcnt(0)
	v_readfirstlane_b32 s6, v2
	v_mov_b32_e32 v2, 0
	s_nop 0
	v_add_u32_e32 v1, s6, v1
	ds_write_b32 v2, v1
.LBB3300_4:
	s_or_b64 exec, exec, s[4:5]
	v_mov_b32_e32 v25, 0
	s_load_dwordx4 s[4:7], s[0:1], 0x8
	s_load_dwordx2 s[24:25], s[0:1], 0x30
	s_load_dword s12, s[0:1], 0x80
	s_waitcnt lgkmcnt(0)
	s_barrier
	ds_read_b32 v1, v25
	s_waitcnt lgkmcnt(0)
	s_barrier
	global_load_dwordx2 v[22:23], v25, s[22:23]
	s_lshl_b64 s[8:9], s[6:7], 2
	v_mov_b32_e32 v3, s11
	s_add_u32 s11, s4, s8
	s_mul_i32 s4, s12, 0x1e00
	s_addc_u32 s13, s5, s9
	s_add_i32 s1, s4, s6
	s_sub_i32 s33, s10, s1
	s_add_i32 s14, s12, -1
	s_addk_i32 s33, 0x1e00
	s_add_u32 s4, s6, s4
	v_readfirstlane_b32 s36, v1
	s_addc_u32 s5, s7, 0
	s_cmp_eq_u32 s36, s14
	v_mov_b32_e32 v2, s10
	s_cselect_b64 s[22:23], -1, 0
	s_cmp_lg_u32 s36, s14
	s_mul_i32 s0, s36, 0x1e00
	s_mov_b32 s1, 0
	v_cmp_lt_u64_e32 vcc, s[4:5], v[2:3]
	s_cselect_b64 s[4:5], -1, 0
	s_or_b64 s[26:27], vcc, s[4:5]
	s_lshl_b64 s[4:5], s[0:1], 2
	s_add_u32 s6, s11, s4
	s_addc_u32 s7, s13, s5
	s_mov_b64 s[0:1], -1
	s_and_b64 vcc, exec, s[26:27]
	v_lshlrev_b32_e32 v24, 2, v0
	s_cbranch_vccz .LBB3300_6
; %bb.5:
	v_lshl_add_u64 v[2:3], s[6:7], 0, v[24:25]
	v_add_co_u32_e32 v4, vcc, 0x1000, v2
	s_mov_b64 s[0:1], 0
	s_nop 0
	v_addc_co_u32_e32 v5, vcc, 0, v3, vcc
	v_add_co_u32_e32 v6, vcc, 0x2000, v2
	s_nop 1
	v_addc_co_u32_e32 v7, vcc, 0, v3, vcc
	v_add_co_u32_e32 v8, vcc, 0x3000, v2
	s_nop 1
	v_addc_co_u32_e32 v9, vcc, 0, v3, vcc
	flat_load_dword v1, v[2:3]
	flat_load_dword v10, v[2:3] offset:2048
	flat_load_dword v11, v[4:5]
	flat_load_dword v12, v[4:5] offset:2048
	;; [unrolled: 2-line block ×4, first 2 shown]
	v_add_co_u32_e32 v4, vcc, 0x4000, v2
	s_nop 1
	v_addc_co_u32_e32 v5, vcc, 0, v3, vcc
	v_add_co_u32_e32 v6, vcc, 0x5000, v2
	s_nop 1
	v_addc_co_u32_e32 v7, vcc, 0, v3, vcc
	;; [unrolled: 3-line block ×4, first 2 shown]
	flat_load_dword v17, v[4:5]
	flat_load_dword v18, v[4:5] offset:2048
	flat_load_dword v19, v[6:7]
	flat_load_dword v20, v[6:7] offset:2048
	;; [unrolled: 2-line block ×3, first 2 shown]
	flat_load_dword v26, v[2:3]
	s_waitcnt vmcnt(0) lgkmcnt(0)
	ds_write2st64_b32 v24, v1, v10 offset1:8
	ds_write2st64_b32 v24, v11, v12 offset0:16 offset1:24
	ds_write2st64_b32 v24, v13, v14 offset0:32 offset1:40
	;; [unrolled: 1-line block ×6, first 2 shown]
	ds_write_b32 v24, v26 offset:28672
	s_waitcnt lgkmcnt(0)
	s_barrier
.LBB3300_6:
	s_andn2_b64 vcc, exec, s[0:1]
	v_cmp_gt_u32_e64 s[0:1], s33, v0
	s_cbranch_vccnz .LBB3300_38
; %bb.7:
                                        ; implicit-def: $vgpr2_vgpr3_vgpr4_vgpr5_vgpr6_vgpr7_vgpr8_vgpr9_vgpr10_vgpr11_vgpr12_vgpr13_vgpr14_vgpr15_vgpr16_vgpr17
	s_and_saveexec_b64 s[10:11], s[0:1]
	s_cbranch_execz .LBB3300_9
; %bb.8:
	v_mov_b32_e32 v25, 0
	v_lshl_add_u64 v[2:3], s[6:7], 0, v[24:25]
	flat_load_dword v2, v[2:3]
.LBB3300_9:
	s_or_b64 exec, exec, s[10:11]
	v_or_b32_e32 v1, 0x200, v0
	v_cmp_gt_u32_e32 vcc, s33, v1
	s_and_saveexec_b64 s[0:1], vcc
	s_cbranch_execz .LBB3300_11
; %bb.10:
	v_mov_b32_e32 v25, 0
	v_lshl_add_u64 v[18:19], s[6:7], 0, v[24:25]
	flat_load_dword v3, v[18:19] offset:2048
.LBB3300_11:
	s_or_b64 exec, exec, s[0:1]
	v_or_b32_e32 v1, 0x400, v0
	v_cmp_gt_u32_e32 vcc, s33, v1
	s_and_saveexec_b64 s[0:1], vcc
	s_cbranch_execz .LBB3300_13
; %bb.12:
	v_lshlrev_b32_e32 v18, 2, v1
	v_mov_b32_e32 v19, 0
	v_lshl_add_u64 v[18:19], s[6:7], 0, v[18:19]
	flat_load_dword v4, v[18:19]
.LBB3300_13:
	s_or_b64 exec, exec, s[0:1]
	v_or_b32_e32 v1, 0x600, v0
	v_cmp_gt_u32_e32 vcc, s33, v1
	s_and_saveexec_b64 s[0:1], vcc
	s_cbranch_execz .LBB3300_15
; %bb.14:
	v_lshlrev_b32_e32 v18, 2, v1
	v_mov_b32_e32 v19, 0
	v_lshl_add_u64 v[18:19], s[6:7], 0, v[18:19]
	flat_load_dword v5, v[18:19]
.LBB3300_15:
	;; [unrolled: 11-line block ×13, first 2 shown]
	s_or_b64 exec, exec, s[0:1]
	s_waitcnt vmcnt(0) lgkmcnt(0)
	ds_write2st64_b32 v24, v2, v3 offset1:8
	ds_write2st64_b32 v24, v4, v5 offset0:16 offset1:24
	ds_write2st64_b32 v24, v6, v7 offset0:32 offset1:40
	;; [unrolled: 1-line block ×6, first 2 shown]
	ds_write_b32 v24, v16 offset:28672
	s_waitcnt lgkmcnt(0)
	s_barrier
.LBB3300_38:
	v_mul_u32_u24_e32 v21, 15, v0
	v_lshlrev_b32_e32 v1, 2, v21
	ds_read2_b32 v[38:39], v1 offset1:1
	ds_read2_b32 v[36:37], v1 offset0:2 offset1:3
	ds_read2_b32 v[34:35], v1 offset0:4 offset1:5
	;; [unrolled: 1-line block ×6, first 2 shown]
	ds_read_b32 v1, v1 offset:56
	s_add_u32 s0, s2, s8
	s_addc_u32 s1, s3, s9
	s_add_u32 s0, s0, s4
	s_addc_u32 s1, s1, s5
	s_mov_b64 s[2:3], -1
	s_and_b64 vcc, exec, s[26:27]
	s_waitcnt lgkmcnt(0)
	s_barrier
	s_cbranch_vccz .LBB3300_40
; %bb.39:
	v_mov_b32_e32 v25, 0
	v_lshl_add_u64 v[2:3], s[0:1], 0, v[24:25]
	v_add_co_u32_e32 v4, vcc, 0x1000, v2
	global_load_dword v10, v24, s[0:1]
	global_load_dword v11, v24, s[0:1] offset:2048
	v_addc_co_u32_e32 v5, vcc, 0, v3, vcc
	v_add_co_u32_e32 v6, vcc, 0x2000, v2
	s_mov_b64 s[2:3], 0
	s_nop 0
	v_addc_co_u32_e32 v7, vcc, 0, v3, vcc
	v_add_co_u32_e32 v8, vcc, 0x3000, v2
	s_nop 1
	v_addc_co_u32_e32 v9, vcc, 0, v3, vcc
	global_load_dword v12, v[4:5], off
	global_load_dword v13, v[4:5], off offset:2048
	global_load_dword v14, v[6:7], off
	global_load_dword v15, v[6:7], off offset:2048
	;; [unrolled: 2-line block ×3, first 2 shown]
	v_add_co_u32_e32 v4, vcc, 0x4000, v2
	s_nop 1
	v_addc_co_u32_e32 v5, vcc, 0, v3, vcc
	global_load_dword v6, v[4:5], off
	global_load_dword v7, v[4:5], off offset:2048
	v_add_co_u32_e32 v4, vcc, 0x5000, v2
	s_waitcnt vmcnt(1)
	v_xor_b32_e32 v6, -1, v6
	v_addc_co_u32_e32 v5, vcc, 0, v3, vcc
	global_load_dword v8, v[4:5], off
	global_load_dword v9, v[4:5], off offset:2048
	v_add_co_u32_e32 v4, vcc, 0x6000, v2
	s_waitcnt vmcnt(2)
	v_xor_b32_e32 v7, -1, v7
	v_addc_co_u32_e32 v5, vcc, 0, v3, vcc
	v_add_co_u32_e32 v2, vcc, 0x7000, v2
	global_load_dword v18, v[4:5], off
	global_load_dword v19, v[4:5], off offset:2048
	v_addc_co_u32_e32 v3, vcc, 0, v3, vcc
	global_load_dword v2, v[2:3], off
	v_xor_b32_e32 v3, -1, v10
	v_xor_b32_e32 v4, -1, v11
	v_and_b32_e32 v3, 1, v3
	v_and_b32_e32 v4, 1, v4
	ds_write_b8 v0, v3
	ds_write_b8 v0, v4 offset:512
	v_xor_b32_e32 v3, -1, v12
	v_xor_b32_e32 v4, -1, v13
	;; [unrolled: 1-line block ×3, first 2 shown]
	v_and_b32_e32 v3, 1, v3
	v_and_b32_e32 v4, 1, v4
	v_xor_b32_e32 v10, -1, v15
	v_and_b32_e32 v5, 1, v5
	v_xor_b32_e32 v11, -1, v16
	v_xor_b32_e32 v12, -1, v17
	v_and_b32_e32 v10, 1, v10
	ds_write_b8 v0, v3 offset:1024
	ds_write_b8 v0, v4 offset:1536
	v_and_b32_e32 v3, 1, v11
	v_and_b32_e32 v4, 1, v12
	ds_write_b8 v0, v5 offset:2048
	ds_write_b8 v0, v10 offset:2560
	v_and_b32_e32 v5, 1, v6
	v_and_b32_e32 v6, 1, v7
	ds_write_b8 v0, v3 offset:3072
	ds_write_b8 v0, v4 offset:3584
	;; [unrolled: 1-line block ×4, first 2 shown]
	s_waitcnt vmcnt(4)
	v_xor_b32_e32 v7, -1, v8
	s_waitcnt vmcnt(3)
	v_xor_b32_e32 v8, -1, v9
	v_and_b32_e32 v3, 1, v7
	v_and_b32_e32 v4, 1, v8
	s_waitcnt vmcnt(2)
	v_xor_b32_e32 v7, -1, v18
	s_waitcnt vmcnt(1)
	v_xor_b32_e32 v8, -1, v19
	v_and_b32_e32 v5, 1, v7
	v_and_b32_e32 v6, 1, v8
	s_waitcnt vmcnt(0)
	v_xor_b32_e32 v2, -1, v2
	v_and_b32_e32 v2, 1, v2
	ds_write_b8 v0, v3 offset:5120
	ds_write_b8 v0, v4 offset:5632
	;; [unrolled: 1-line block ×5, first 2 shown]
	s_waitcnt lgkmcnt(0)
	s_barrier
.LBB3300_40:
	s_andn2_b64 vcc, exec, s[2:3]
	s_cbranch_vccnz .LBB3300_72
; %bb.41:
	v_cmp_gt_u32_e32 vcc, s33, v0
	v_mov_b32_e32 v2, 0
	v_mov_b32_e32 v3, 0
	s_and_saveexec_b64 s[2:3], vcc
	s_cbranch_execz .LBB3300_43
; %bb.42:
	global_load_dword v3, v24, s[0:1]
	s_waitcnt vmcnt(0)
	v_xor_b32_e32 v3, -1, v3
	v_and_b32_e32 v3, 1, v3
.LBB3300_43:
	s_or_b64 exec, exec, s[2:3]
	v_or_b32_e32 v4, 0x200, v0
	v_cmp_gt_u32_e32 vcc, s33, v4
	s_and_saveexec_b64 s[2:3], vcc
	s_cbranch_execz .LBB3300_45
; %bb.44:
	global_load_dword v2, v24, s[0:1] offset:2048
	s_waitcnt vmcnt(0)
	v_xor_b32_e32 v2, -1, v2
	v_and_b32_e32 v2, 1, v2
.LBB3300_45:
	s_or_b64 exec, exec, s[2:3]
	v_or_b32_e32 v6, 0x400, v0
	v_cmp_gt_u32_e32 vcc, s33, v6
	v_mov_b32_e32 v4, 0
	v_mov_b32_e32 v5, 0
	s_and_saveexec_b64 s[2:3], vcc
	s_cbranch_execz .LBB3300_47
; %bb.46:
	v_lshlrev_b32_e32 v5, 2, v6
	global_load_dword v5, v5, s[0:1]
	s_waitcnt vmcnt(0)
	v_xor_b32_e32 v5, -1, v5
	v_and_b32_e32 v5, 1, v5
.LBB3300_47:
	s_or_b64 exec, exec, s[2:3]
	v_or_b32_e32 v6, 0x600, v0
	v_cmp_gt_u32_e32 vcc, s33, v6
	s_and_saveexec_b64 s[2:3], vcc
	s_cbranch_execz .LBB3300_49
; %bb.48:
	v_lshlrev_b32_e32 v4, 2, v6
	global_load_dword v4, v4, s[0:1]
	s_waitcnt vmcnt(0)
	v_xor_b32_e32 v4, -1, v4
	v_and_b32_e32 v4, 1, v4
.LBB3300_49:
	s_or_b64 exec, exec, s[2:3]
	v_or_b32_e32 v8, 0x800, v0
	v_cmp_gt_u32_e32 vcc, s33, v8
	v_mov_b32_e32 v6, 0
	v_mov_b32_e32 v7, 0
	s_and_saveexec_b64 s[2:3], vcc
	s_cbranch_execz .LBB3300_51
; %bb.50:
	v_lshlrev_b32_e32 v7, 2, v8
	global_load_dword v7, v7, s[0:1]
	s_waitcnt vmcnt(0)
	v_xor_b32_e32 v7, -1, v7
	v_and_b32_e32 v7, 1, v7
.LBB3300_51:
	s_or_b64 exec, exec, s[2:3]
	v_or_b32_e32 v8, 0xa00, v0
	v_cmp_gt_u32_e32 vcc, s33, v8
	s_and_saveexec_b64 s[2:3], vcc
	s_cbranch_execz .LBB3300_53
; %bb.52:
	v_lshlrev_b32_e32 v6, 2, v8
	global_load_dword v6, v6, s[0:1]
	s_waitcnt vmcnt(0)
	v_xor_b32_e32 v6, -1, v6
	v_and_b32_e32 v6, 1, v6
.LBB3300_53:
	;; [unrolled: 26-line block ×6, first 2 shown]
	s_or_b64 exec, exec, s[2:3]
	v_or_b32_e32 v17, 0x1c00, v0
	v_cmp_gt_u32_e32 vcc, s33, v17
	v_mov_b32_e32 v16, 0
	s_and_saveexec_b64 s[2:3], vcc
	s_cbranch_execz .LBB3300_71
; %bb.70:
	v_lshlrev_b32_e32 v16, 2, v17
	global_load_dword v16, v16, s[0:1]
	s_waitcnt vmcnt(0)
	v_xor_b32_e32 v16, -1, v16
	v_and_b32_e32 v16, 1, v16
.LBB3300_71:
	s_or_b64 exec, exec, s[2:3]
	ds_write_b8 v0, v3
	ds_write_b8 v0, v2 offset:512
	ds_write_b8 v0, v5 offset:1024
	;; [unrolled: 1-line block ×14, first 2 shown]
	s_waitcnt lgkmcnt(0)
	s_barrier
.LBB3300_72:
	ds_read_b96 v[18:20], v21
	ds_read_u8 v2, v21 offset:12
	ds_read_u8 v3, v21 offset:13
	;; [unrolled: 1-line block ×3, first 2 shown]
	s_cmp_lg_u32 s36, 0
	v_lshrrev_b32_e32 v58, 6, v0
	s_waitcnt lgkmcnt(2)
	v_and_b32_e32 v45, 1, v2
	v_and_b32_e32 v54, 0xff, v18
	v_bfe_u32 v55, v18, 8, 8
	v_bfe_u32 v56, v18, 16, 8
	v_lshrrev_b32_e32 v47, 24, v18
	v_and_b32_e32 v51, 0xff, v19
	v_add3_u32 v2, v55, v54, v56
	v_bfe_u32 v52, v19, 8, 8
	v_bfe_u32 v53, v19, 16, 8
	v_add3_u32 v2, v2, v47, v51
	v_lshrrev_b32_e32 v46, 24, v19
	v_and_b32_e32 v48, 0xff, v20
	v_add3_u32 v2, v2, v52, v53
	v_bfe_u32 v49, v20, 8, 8
	v_bfe_u32 v50, v20, 16, 8
	v_add3_u32 v2, v2, v46, v48
	v_lshrrev_b32_e32 v44, 24, v20
	v_add3_u32 v2, v2, v49, v50
	s_waitcnt lgkmcnt(1)
	v_and_b32_e32 v43, 1, v3
	s_waitcnt lgkmcnt(0)
	v_and_b32_e32 v25, 1, v4
	v_add3_u32 v2, v2, v44, v45
	v_add3_u32 v59, v2, v43, v25
	v_mbcnt_lo_u32_b32 v2, -1, 0
	v_mbcnt_hi_u32_b32 v57, -1, v2
	v_and_b32_e32 v2, 15, v57
	v_cmp_eq_u32_e64 s[14:15], 0, v2
	v_cmp_lt_u32_e64 s[12:13], 1, v2
	v_cmp_lt_u32_e64 s[10:11], 3, v2
	;; [unrolled: 1-line block ×3, first 2 shown]
	v_and_b32_e32 v2, 16, v57
	v_cmp_eq_u32_e64 s[6:7], 0, v2
	v_or_b32_e32 v2, 63, v0
	v_cmp_lt_u32_e64 s[2:3], 31, v57
	v_cmp_eq_u32_e64 s[4:5], v2, v0
	s_barrier
	s_cbranch_scc0 .LBB3300_103
; %bb.73:
	v_mov_b32_dpp v2, v59 row_shr:1 row_mask:0xf bank_mask:0xf
	v_cndmask_b32_e64 v2, v2, 0, s[14:15]
	v_add_u32_e32 v2, v2, v59
	s_nop 1
	v_mov_b32_dpp v3, v2 row_shr:2 row_mask:0xf bank_mask:0xf
	v_cndmask_b32_e64 v3, 0, v3, s[12:13]
	v_add_u32_e32 v2, v2, v3
	s_nop 1
	;; [unrolled: 4-line block ×4, first 2 shown]
	v_mov_b32_dpp v3, v2 row_bcast:15 row_mask:0xf bank_mask:0xf
	v_cndmask_b32_e64 v3, v3, 0, s[6:7]
	v_add_u32_e32 v2, v2, v3
	s_nop 1
	v_mov_b32_dpp v3, v2 row_bcast:31 row_mask:0xf bank_mask:0xf
	v_cndmask_b32_e64 v3, 0, v3, s[2:3]
	v_add_u32_e32 v2, v2, v3
	s_and_saveexec_b64 s[0:1], s[4:5]
	s_cbranch_execz .LBB3300_75
; %bb.74:
	v_lshlrev_b32_e32 v3, 2, v58
	ds_write_b32 v3, v2
.LBB3300_75:
	s_or_b64 exec, exec, s[0:1]
	v_cmp_gt_u32_e32 vcc, 8, v0
	s_waitcnt lgkmcnt(0)
	s_barrier
	s_and_saveexec_b64 s[0:1], vcc
	s_cbranch_execz .LBB3300_77
; %bb.76:
	ds_read_b32 v3, v24
	v_and_b32_e32 v4, 7, v57
	v_cmp_ne_u32_e32 vcc, 0, v4
	s_waitcnt lgkmcnt(0)
	v_mov_b32_dpp v5, v3 row_shr:1 row_mask:0xf bank_mask:0xf
	v_cndmask_b32_e32 v5, 0, v5, vcc
	v_add_u32_e32 v3, v5, v3
	v_cmp_lt_u32_e32 vcc, 1, v4
	s_nop 0
	v_mov_b32_dpp v5, v3 row_shr:2 row_mask:0xf bank_mask:0xf
	v_cndmask_b32_e32 v5, 0, v5, vcc
	v_add_u32_e32 v3, v3, v5
	v_cmp_lt_u32_e32 vcc, 3, v4
	s_nop 0
	v_mov_b32_dpp v5, v3 row_shr:4 row_mask:0xf bank_mask:0xf
	v_cndmask_b32_e32 v4, 0, v5, vcc
	v_add_u32_e32 v3, v3, v4
	ds_write_b32 v24, v3
.LBB3300_77:
	s_or_b64 exec, exec, s[0:1]
	v_cmp_gt_u32_e32 vcc, 64, v0
	v_cmp_lt_u32_e64 s[0:1], 63, v0
	s_waitcnt lgkmcnt(0)
	s_barrier
	s_waitcnt lgkmcnt(0)
                                        ; implicit-def: $vgpr12
	s_and_saveexec_b64 s[16:17], s[0:1]
	s_cbranch_execz .LBB3300_79
; %bb.78:
	v_lshl_add_u32 v3, v58, 2, -4
	ds_read_b32 v12, v3
	s_waitcnt lgkmcnt(0)
	v_add_u32_e32 v2, v12, v2
.LBB3300_79:
	s_or_b64 exec, exec, s[16:17]
	v_add_u32_e32 v3, -1, v57
	v_and_b32_e32 v4, 64, v57
	v_cmp_lt_i32_e64 s[0:1], v3, v4
	v_cmp_eq_u32_e64 s[16:17], 0, v57
	s_nop 0
	v_cndmask_b32_e64 v3, v3, v57, s[0:1]
	v_lshlrev_b32_e32 v3, 2, v3
	ds_bpermute_b32 v13, v3, v2
	s_and_saveexec_b64 s[0:1], vcc
	s_cbranch_execz .LBB3300_102
; %bb.80:
	v_mov_b32_e32 v11, 0
	ds_read_b32 v2, v11 offset:28
	s_and_saveexec_b64 s[30:31], s[16:17]
	s_cbranch_execz .LBB3300_82
; %bb.81:
	s_add_i32 s34, s36, 64
	s_mov_b32 s35, 0
	s_lshl_b64 s[34:35], s[34:35], 3
	s_add_u32 s34, s28, s34
	v_mov_b32_e32 v3, 1
	s_addc_u32 s35, s29, s35
	s_waitcnt lgkmcnt(0)
	global_store_dwordx2 v11, v[2:3], s[34:35] sc1
.LBB3300_82:
	s_or_b64 exec, exec, s[30:31]
	v_xad_u32 v4, v57, -1, s36
	v_add_u32_e32 v10, 64, v4
	v_lshl_add_u64 v[6:7], v[10:11], 3, s[28:29]
	global_load_dwordx2 v[8:9], v[6:7], off sc1
	s_waitcnt vmcnt(0)
	v_cmp_eq_u16_sdwa s[34:35], v9, v11 src0_sel:BYTE_0 src1_sel:DWORD
	s_and_saveexec_b64 s[30:31], s[34:35]
	s_cbranch_execz .LBB3300_88
; %bb.83:
	s_mov_b32 s37, 1
	s_mov_b64 s[34:35], 0
	v_mov_b32_e32 v3, 0
.LBB3300_84:                            ; =>This Loop Header: Depth=1
                                        ;     Child Loop BB3300_85 Depth 2
	s_max_u32 s38, s37, 1
.LBB3300_85:                            ;   Parent Loop BB3300_84 Depth=1
                                        ; =>  This Inner Loop Header: Depth=2
	s_add_i32 s38, s38, -1
	s_cmp_eq_u32 s38, 0
	s_sleep 1
	s_cbranch_scc0 .LBB3300_85
; %bb.86:                               ;   in Loop: Header=BB3300_84 Depth=1
	global_load_dwordx2 v[8:9], v[6:7], off sc1
	s_cmp_lt_u32 s37, 32
	s_cselect_b64 s[38:39], -1, 0
	s_cmp_lg_u64 s[38:39], 0
	s_addc_u32 s37, s37, 0
	s_waitcnt vmcnt(0)
	v_cmp_ne_u16_sdwa s[38:39], v9, v3 src0_sel:BYTE_0 src1_sel:DWORD
	s_or_b64 s[34:35], s[38:39], s[34:35]
	s_andn2_b64 exec, exec, s[34:35]
	s_cbranch_execnz .LBB3300_84
; %bb.87:
	s_or_b64 exec, exec, s[34:35]
.LBB3300_88:
	s_or_b64 exec, exec, s[30:31]
	v_and_b32_e32 v15, 63, v57
	v_mov_b32_e32 v14, 2
	v_cmp_ne_u32_e32 vcc, 63, v15
	v_cmp_eq_u16_sdwa s[30:31], v9, v14 src0_sel:BYTE_0 src1_sel:DWORD
	v_lshlrev_b64 v[6:7], v57, -1
	v_addc_co_u32_e32 v10, vcc, 0, v57, vcc
	v_and_b32_e32 v3, s31, v7
	v_lshlrev_b32_e32 v16, 2, v10
	v_or_b32_e32 v3, 0x80000000, v3
	ds_bpermute_b32 v10, v16, v8
	v_and_b32_e32 v5, s30, v6
	v_ffbl_b32_e32 v3, v3
	v_add_u32_e32 v3, 32, v3
	v_ffbl_b32_e32 v5, v5
	v_min_u32_e32 v3, v5, v3
	v_cmp_lt_u32_e32 vcc, v15, v3
	v_add_u32_e32 v40, 2, v15
	v_add_u32_e32 v42, 4, v15
	s_waitcnt lgkmcnt(0)
	v_cndmask_b32_e32 v5, 0, v10, vcc
	v_cmp_gt_u32_e32 vcc, 62, v15
	v_add_u32_e32 v5, v5, v8
	v_add_u32_e32 v61, 8, v15
	v_cndmask_b32_e64 v8, 0, 1, vcc
	v_lshlrev_b32_e32 v8, 1, v8
	v_add_lshl_u32 v17, v8, v57, 2
	ds_bpermute_b32 v8, v17, v5
	v_cmp_le_u32_e32 vcc, v40, v3
	v_add_u32_e32 v63, 16, v15
	v_add_u32_e32 v65, 32, v15
	s_waitcnt lgkmcnt(0)
	v_cndmask_b32_e32 v8, 0, v8, vcc
	v_cmp_gt_u32_e32 vcc, 60, v15
	v_add_u32_e32 v5, v5, v8
	s_nop 0
	v_cndmask_b32_e64 v8, 0, 1, vcc
	v_lshlrev_b32_e32 v8, 2, v8
	v_add_lshl_u32 v41, v8, v57, 2
	ds_bpermute_b32 v8, v41, v5
	v_cmp_le_u32_e32 vcc, v42, v3
	s_waitcnt lgkmcnt(0)
	s_nop 0
	v_cndmask_b32_e32 v8, 0, v8, vcc
	v_cmp_gt_u32_e32 vcc, 56, v15
	v_add_u32_e32 v5, v5, v8
	s_nop 0
	v_cndmask_b32_e64 v8, 0, 1, vcc
	v_lshlrev_b32_e32 v8, 3, v8
	v_add_lshl_u32 v60, v8, v57, 2
	ds_bpermute_b32 v8, v60, v5
	v_cmp_le_u32_e32 vcc, v61, v3
	s_waitcnt lgkmcnt(0)
	s_nop 0
	;; [unrolled: 11-line block ×4, first 2 shown]
	v_cndmask_b32_e32 v3, 0, v8, vcc
	v_add_u32_e32 v8, v5, v3
	v_mov_b32_e32 v5, 0
	s_branch .LBB3300_90
.LBB3300_89:                            ;   in Loop: Header=BB3300_90 Depth=1
	s_or_b64 exec, exec, s[30:31]
	v_cmp_eq_u16_sdwa s[30:31], v9, v14 src0_sel:BYTE_0 src1_sel:DWORD
	ds_bpermute_b32 v66, v16, v8
	v_subrev_u32_e32 v4, 64, v4
	v_and_b32_e32 v10, s31, v7
	v_or_b32_e32 v10, 0x80000000, v10
	v_and_b32_e32 v11, s30, v6
	v_ffbl_b32_e32 v10, v10
	v_add_u32_e32 v10, 32, v10
	v_ffbl_b32_e32 v11, v11
	v_min_u32_e32 v10, v11, v10
	v_cmp_lt_u32_e32 vcc, v15, v10
	s_waitcnt lgkmcnt(0)
	s_nop 0
	v_cndmask_b32_e32 v11, 0, v66, vcc
	v_add_u32_e32 v8, v11, v8
	ds_bpermute_b32 v11, v17, v8
	v_cmp_le_u32_e32 vcc, v40, v10
	s_waitcnt lgkmcnt(0)
	s_nop 0
	v_cndmask_b32_e32 v11, 0, v11, vcc
	v_add_u32_e32 v8, v8, v11
	ds_bpermute_b32 v11, v41, v8
	v_cmp_le_u32_e32 vcc, v42, v10
	;; [unrolled: 6-line block ×5, first 2 shown]
	s_waitcnt lgkmcnt(0)
	s_nop 0
	v_cndmask_b32_e32 v10, 0, v11, vcc
	v_add3_u32 v8, v10, v3, v8
.LBB3300_90:                            ; =>This Loop Header: Depth=1
                                        ;     Child Loop BB3300_93 Depth 2
                                        ;       Child Loop BB3300_94 Depth 3
	v_cmp_ne_u16_sdwa s[30:31], v9, v14 src0_sel:BYTE_0 src1_sel:DWORD
	s_nop 1
	v_cndmask_b32_e64 v3, 0, 1, s[30:31]
	;;#ASMSTART
	;;#ASMEND
	s_nop 0
	v_cmp_ne_u32_e32 vcc, 0, v3
	s_cmp_lg_u64 vcc, exec
	v_mov_b32_e32 v3, v8
	s_cbranch_scc1 .LBB3300_97
; %bb.91:                               ;   in Loop: Header=BB3300_90 Depth=1
	v_lshl_add_u64 v[10:11], v[4:5], 3, s[28:29]
	global_load_dwordx2 v[8:9], v[10:11], off sc1
	s_waitcnt vmcnt(0)
	v_cmp_eq_u16_sdwa s[34:35], v9, v5 src0_sel:BYTE_0 src1_sel:DWORD
	s_and_saveexec_b64 s[30:31], s[34:35]
	s_cbranch_execz .LBB3300_89
; %bb.92:                               ;   in Loop: Header=BB3300_90 Depth=1
	s_mov_b32 s37, 1
	s_mov_b64 s[34:35], 0
.LBB3300_93:                            ;   Parent Loop BB3300_90 Depth=1
                                        ; =>  This Loop Header: Depth=2
                                        ;       Child Loop BB3300_94 Depth 3
	s_max_u32 s38, s37, 1
.LBB3300_94:                            ;   Parent Loop BB3300_90 Depth=1
                                        ;     Parent Loop BB3300_93 Depth=2
                                        ; =>    This Inner Loop Header: Depth=3
	s_add_i32 s38, s38, -1
	s_cmp_eq_u32 s38, 0
	s_sleep 1
	s_cbranch_scc0 .LBB3300_94
; %bb.95:                               ;   in Loop: Header=BB3300_93 Depth=2
	global_load_dwordx2 v[8:9], v[10:11], off sc1
	s_cmp_lt_u32 s37, 32
	s_cselect_b64 s[38:39], -1, 0
	s_cmp_lg_u64 s[38:39], 0
	s_addc_u32 s37, s37, 0
	s_waitcnt vmcnt(0)
	v_cmp_ne_u16_sdwa s[38:39], v9, v5 src0_sel:BYTE_0 src1_sel:DWORD
	s_or_b64 s[34:35], s[38:39], s[34:35]
	s_andn2_b64 exec, exec, s[34:35]
	s_cbranch_execnz .LBB3300_93
; %bb.96:                               ;   in Loop: Header=BB3300_90 Depth=1
	s_or_b64 exec, exec, s[34:35]
	s_branch .LBB3300_89
.LBB3300_97:                            ;   in Loop: Header=BB3300_90 Depth=1
                                        ; implicit-def: $vgpr8
                                        ; implicit-def: $vgpr9
	s_cbranch_execz .LBB3300_90
; %bb.98:
	s_and_saveexec_b64 s[30:31], s[16:17]
	s_cbranch_execz .LBB3300_100
; %bb.99:
	s_add_i32 s34, s36, 64
	s_mov_b32 s35, 0
	s_lshl_b64 s[34:35], s[34:35], 3
	s_add_u32 s34, s28, s34
	v_add_u32_e32 v4, v3, v2
	v_mov_b32_e32 v5, 2
	s_addc_u32 s35, s29, s35
	v_mov_b32_e32 v6, 0
	global_store_dwordx2 v6, v[4:5], s[34:35] sc1
	ds_write_b64 v6, v[2:3] offset:30720
.LBB3300_100:
	s_or_b64 exec, exec, s[30:31]
	s_and_b64 exec, exec, s[18:19]
	s_cbranch_execz .LBB3300_102
; %bb.101:
	v_mov_b32_e32 v2, 0
	ds_write_b32 v2, v3 offset:28
.LBB3300_102:
	s_or_b64 exec, exec, s[0:1]
	v_mov_b32_e32 v14, 0
	s_waitcnt lgkmcnt(0)
	s_barrier
	ds_read_b32 v2, v14 offset:28
	v_cndmask_b32_e64 v3, v13, v12, s[16:17]
	v_cndmask_b32_e64 v3, v3, 0, s[18:19]
	s_waitcnt lgkmcnt(0)
	s_barrier
	v_add_u32_e32 v2, v2, v3
	v_add_u32_e32 v3, v2, v54
	;; [unrolled: 1-line block ×10, first 2 shown]
	ds_read_b64 v[40:41], v14 offset:30720
	v_add_u32_e32 v12, v11, v49
	v_add_u32_e32 v13, v12, v50
	;; [unrolled: 1-line block ×5, first 2 shown]
	s_waitcnt lgkmcnt(0)
	v_mov_b32_e32 v42, v41
	s_branch .LBB3300_113
.LBB3300_103:
                                        ; implicit-def: $vgpr42
                                        ; implicit-def: $vgpr40
                                        ; implicit-def: $vgpr2_vgpr3_vgpr4_vgpr5_vgpr6_vgpr7_vgpr8_vgpr9_vgpr10_vgpr11_vgpr12_vgpr13_vgpr14_vgpr15_vgpr16_vgpr17
	s_cbranch_execz .LBB3300_113
; %bb.104:
	s_nop 0
	v_mov_b32_dpp v2, v59 row_shr:1 row_mask:0xf bank_mask:0xf
	v_cndmask_b32_e64 v2, v2, 0, s[14:15]
	v_add_u32_e32 v2, v2, v59
	s_nop 1
	v_mov_b32_dpp v3, v2 row_shr:2 row_mask:0xf bank_mask:0xf
	v_cndmask_b32_e64 v3, 0, v3, s[12:13]
	v_add_u32_e32 v2, v2, v3
	;; [unrolled: 4-line block ×4, first 2 shown]
	s_nop 1
	v_mov_b32_dpp v3, v2 row_bcast:15 row_mask:0xf bank_mask:0xf
	v_cndmask_b32_e64 v3, v3, 0, s[6:7]
	v_add_u32_e32 v2, v2, v3
	s_nop 1
	v_mov_b32_dpp v3, v2 row_bcast:31 row_mask:0xf bank_mask:0xf
	v_cndmask_b32_e64 v3, 0, v3, s[2:3]
	v_add_u32_e32 v2, v2, v3
	s_and_saveexec_b64 s[0:1], s[4:5]
	s_cbranch_execz .LBB3300_106
; %bb.105:
	v_lshlrev_b32_e32 v3, 2, v58
	ds_write_b32 v3, v2
.LBB3300_106:
	s_or_b64 exec, exec, s[0:1]
	v_cmp_gt_u32_e32 vcc, 8, v0
	s_waitcnt lgkmcnt(0)
	s_barrier
	s_and_saveexec_b64 s[0:1], vcc
	s_cbranch_execz .LBB3300_108
; %bb.107:
	v_mad_i32_i24 v3, v0, -11, v21
	ds_read_b32 v4, v3
	v_and_b32_e32 v5, 7, v57
	v_cmp_ne_u32_e32 vcc, 0, v5
	s_waitcnt lgkmcnt(0)
	v_mov_b32_dpp v6, v4 row_shr:1 row_mask:0xf bank_mask:0xf
	v_cndmask_b32_e32 v6, 0, v6, vcc
	v_add_u32_e32 v4, v6, v4
	v_cmp_lt_u32_e32 vcc, 1, v5
	s_nop 0
	v_mov_b32_dpp v6, v4 row_shr:2 row_mask:0xf bank_mask:0xf
	v_cndmask_b32_e32 v6, 0, v6, vcc
	v_add_u32_e32 v4, v4, v6
	v_cmp_lt_u32_e32 vcc, 3, v5
	s_nop 0
	v_mov_b32_dpp v6, v4 row_shr:4 row_mask:0xf bank_mask:0xf
	v_cndmask_b32_e32 v5, 0, v6, vcc
	v_add_u32_e32 v4, v4, v5
	ds_write_b32 v3, v4
.LBB3300_108:
	s_or_b64 exec, exec, s[0:1]
	v_cmp_lt_u32_e32 vcc, 63, v0
	v_mov_b32_e32 v4, 0
	v_mov_b32_e32 v3, 0
	s_waitcnt lgkmcnt(0)
	s_barrier
	s_and_saveexec_b64 s[0:1], vcc
	s_cbranch_execz .LBB3300_110
; %bb.109:
	v_lshl_add_u32 v3, v58, 2, -4
	ds_read_b32 v3, v3
.LBB3300_110:
	s_or_b64 exec, exec, s[0:1]
	v_add_u32_e32 v5, -1, v57
	v_and_b32_e32 v6, 64, v57
	v_cmp_lt_i32_e32 vcc, v5, v6
	s_waitcnt lgkmcnt(0)
	v_add_u32_e32 v2, v3, v2
	ds_read_b32 v40, v4 offset:28
	v_cndmask_b32_e32 v5, v5, v57, vcc
	v_lshlrev_b32_e32 v5, 2, v5
	ds_bpermute_b32 v2, v5, v2
	s_and_saveexec_b64 s[0:1], s[18:19]
	s_cbranch_execz .LBB3300_112
; %bb.111:
	v_mov_b32_e32 v4, 0
	v_mov_b32_e32 v41, 2
	s_waitcnt lgkmcnt(1)
	global_store_dwordx2 v4, v[40:41], s[28:29] offset:512 sc1
.LBB3300_112:
	s_or_b64 exec, exec, s[0:1]
	v_cmp_eq_u32_e32 vcc, 0, v57
	v_mov_b32_e32 v42, 0
	s_waitcnt lgkmcnt(0)
	v_cndmask_b32_e32 v2, v2, v3, vcc
	v_cndmask_b32_e64 v2, v2, 0, s[18:19]
	v_add_u32_e32 v3, v2, v54
	v_add_u32_e32 v4, v3, v55
	;; [unrolled: 1-line block ×14, first 2 shown]
	s_barrier
.LBB3300_113:
	v_add_u32_e32 v21, v40, v21
	v_sub_u32_e32 v2, v2, v42
	v_and_b32_e32 v50, 1, v18
	v_sub_u32_e32 v49, v21, v2
	v_cmp_eq_u32_e32 vcc, 1, v50
	v_lshrrev_b32_e32 v48, 8, v18
	v_lshrrev_b32_e32 v41, 8, v19
	v_cndmask_b32_e32 v2, v49, v2, vcc
	v_lshlrev_b32_e32 v2, 2, v2
	ds_write_b32 v2, v38
	v_sub_u32_e32 v2, v3, v42
	v_sub_u32_e32 v3, v21, v2
	v_and_b32_e32 v38, 1, v48
	v_add_u32_e32 v3, 1, v3
	v_cmp_eq_u32_e32 vcc, 1, v38
	v_lshrrev_b32_e32 v17, 8, v20
	s_nop 0
	v_cndmask_b32_e32 v2, v3, v2, vcc
	v_lshlrev_b32_e32 v2, 2, v2
	ds_write_b32 v2, v39
	v_sub_u32_e32 v2, v4, v42
	v_mov_b32_e32 v4, 1
	v_sub_u32_e32 v3, v21, v2
	v_and_b32_sdwa v18, v4, v18 dst_sel:DWORD dst_unused:UNUSED_PAD src0_sel:DWORD src1_sel:WORD_1
	v_add_u32_e32 v3, 2, v3
	v_cmp_eq_u32_e32 vcc, 1, v18
	s_nop 1
	v_cndmask_b32_e32 v2, v3, v2, vcc
	v_lshlrev_b32_e32 v2, 2, v2
	ds_write_b32 v2, v36
	v_sub_u32_e32 v2, v5, v42
	v_sub_u32_e32 v3, v21, v2
	v_and_b32_e32 v5, 1, v47
	v_add_u32_e32 v3, 3, v3
	v_cmp_eq_u32_e32 vcc, 1, v5
	v_and_b32_e32 v5, 1, v19
	v_or_b32_e32 v36, 0x200, v0
	v_cndmask_b32_e32 v2, v3, v2, vcc
	v_lshlrev_b32_e32 v2, 2, v2
	ds_write_b32 v2, v37
	v_sub_u32_e32 v2, v6, v42
	v_sub_u32_e32 v3, v21, v2
	v_add_u32_e32 v3, 4, v3
	v_cmp_eq_u32_e32 vcc, 1, v5
	v_and_b32_e32 v5, 1, v41
	s_nop 0
	v_cndmask_b32_e32 v2, v3, v2, vcc
	v_lshlrev_b32_e32 v2, 2, v2
	ds_write_b32 v2, v34
	v_sub_u32_e32 v2, v7, v42
	v_sub_u32_e32 v3, v21, v2
	v_add_u32_e32 v3, 5, v3
	v_cmp_eq_u32_e32 vcc, 1, v5
	v_and_b32_sdwa v5, v4, v19 dst_sel:DWORD dst_unused:UNUSED_PAD src0_sel:DWORD src1_sel:WORD_1
	v_and_b32_sdwa v4, v4, v20 dst_sel:DWORD dst_unused:UNUSED_PAD src0_sel:DWORD src1_sel:WORD_1
	v_cndmask_b32_e32 v2, v3, v2, vcc
	v_lshlrev_b32_e32 v2, 2, v2
	ds_write_b32 v2, v35
	v_sub_u32_e32 v2, v8, v42
	v_sub_u32_e32 v3, v21, v2
	v_add_u32_e32 v3, 6, v3
	v_cmp_eq_u32_e32 vcc, 1, v5
	v_and_b32_e32 v5, 1, v46
	v_or_b32_e32 v35, 0x400, v0
	v_cndmask_b32_e32 v2, v3, v2, vcc
	v_lshlrev_b32_e32 v2, 2, v2
	ds_write_b32 v2, v32
	v_sub_u32_e32 v2, v9, v42
	v_sub_u32_e32 v3, v21, v2
	v_add_u32_e32 v3, 7, v3
	v_cmp_eq_u32_e32 vcc, 1, v5
	v_and_b32_e32 v5, 1, v20
	v_or_b32_e32 v34, 0x600, v0
	v_cndmask_b32_e32 v2, v3, v2, vcc
	v_lshlrev_b32_e32 v2, 2, v2
	ds_write_b32 v2, v33
	v_sub_u32_e32 v2, v10, v42
	v_sub_u32_e32 v3, v21, v2
	v_add_u32_e32 v3, 8, v3
	v_cmp_eq_u32_e32 vcc, 1, v5
	v_and_b32_e32 v5, 1, v17
	v_or_b32_e32 v33, 0x800, v0
	v_cndmask_b32_e32 v2, v3, v2, vcc
	v_lshlrev_b32_e32 v2, 2, v2
	ds_write_b32 v2, v30
	v_sub_u32_e32 v2, v11, v42
	v_sub_u32_e32 v3, v21, v2
	v_add_u32_e32 v3, 9, v3
	v_cmp_eq_u32_e32 vcc, 1, v5
	v_or_b32_e32 v32, 0xa00, v0
	v_or_b32_e32 v30, 0xe00, v0
	v_cndmask_b32_e32 v2, v3, v2, vcc
	v_lshlrev_b32_e32 v2, 2, v2
	ds_write_b32 v2, v31
	v_sub_u32_e32 v2, v12, v42
	v_sub_u32_e32 v3, v21, v2
	v_add_u32_e32 v3, 10, v3
	v_cmp_eq_u32_e32 vcc, 1, v4
	v_and_b32_e32 v4, 1, v44
	v_or_b32_e32 v31, 0xc00, v0
	v_cndmask_b32_e32 v2, v3, v2, vcc
	v_lshlrev_b32_e32 v2, 2, v2
	ds_write_b32 v2, v28
	v_sub_u32_e32 v2, v13, v42
	v_sub_u32_e32 v3, v21, v2
	v_add_u32_e32 v3, 11, v3
	v_cmp_eq_u32_e32 vcc, 1, v4
	v_or_b32_e32 v28, 0x1200, v0
	v_or_b32_e32 v20, 0x1c00, v0
	v_cndmask_b32_e32 v2, v3, v2, vcc
	v_lshlrev_b32_e32 v2, 2, v2
	ds_write_b32 v2, v29
	v_sub_u32_e32 v2, v14, v42
	v_sub_u32_e32 v3, v21, v2
	v_add_u32_e32 v3, 12, v3
	v_cmp_eq_u32_e32 vcc, 1, v45
	v_or_b32_e32 v29, 0x1000, v0
	s_waitcnt vmcnt(0)
	v_lshlrev_b64 v[18:19], 2, v[22:23]
	v_cndmask_b32_e32 v2, v3, v2, vcc
	v_lshlrev_b32_e32 v2, 2, v2
	ds_write_b32 v2, v26
	v_sub_u32_e32 v2, v15, v42
	v_sub_u32_e32 v3, v21, v2
	v_add_u32_e32 v3, 13, v3
	v_cmp_eq_u32_e32 vcc, 1, v43
	v_or_b32_e32 v26, 0x1600, v0
	s_nop 0
	v_cndmask_b32_e32 v2, v3, v2, vcc
	v_lshlrev_b32_e32 v2, 2, v2
	ds_write_b32 v2, v27
	v_sub_u32_e32 v2, v16, v42
	v_sub_u32_e32 v3, v21, v2
	v_add_u32_e32 v3, 14, v3
	v_cmp_eq_u32_e32 vcc, 1, v25
	v_or_b32_e32 v27, 0x1400, v0
	v_or_b32_e32 v25, 0x1800, v0
	v_cndmask_b32_e32 v2, v3, v2, vcc
	v_lshlrev_b32_e32 v2, 2, v2
	ds_write_b32 v2, v1
	s_waitcnt lgkmcnt(0)
	s_barrier
	ds_read2st64_b32 v[16:17], v24 offset1:8
	ds_read2st64_b32 v[14:15], v24 offset0:16 offset1:24
	ds_read2st64_b32 v[12:13], v24 offset0:32 offset1:40
	;; [unrolled: 1-line block ×6, first 2 shown]
	ds_read_b32 v1, v24 offset:28672
	v_or_b32_e32 v21, 0x1a00, v0
	s_andn2_b64 vcc, exec, s[26:27]
	s_cbranch_vccnz .LBB3300_130
; %bb.114:
	v_mov_b32_e32 v43, 0
	v_lshl_add_u64 v[4:5], s[24:25], 0, v[18:19]
	v_lshlrev_b64 v[38:39], 2, v[42:43]
	v_lshl_add_u64 v[4:5], v[4:5], 0, v[38:39]
	v_cmp_gt_u32_e32 vcc, v40, v0
	s_and_saveexec_b64 s[0:1], vcc
	s_cbranch_execnz .LBB3300_152
; %bb.115:
	s_or_b64 exec, exec, s[0:1]
	v_cmp_lt_u32_e32 vcc, v36, v40
	s_and_saveexec_b64 s[0:1], vcc
	s_cbranch_execnz .LBB3300_153
.LBB3300_116:
	s_or_b64 exec, exec, s[0:1]
	v_cmp_lt_u32_e32 vcc, v35, v40
	s_and_saveexec_b64 s[0:1], vcc
	s_cbranch_execnz .LBB3300_154
.LBB3300_117:
	s_or_b64 exec, exec, s[0:1]
	v_cmp_lt_u32_e32 vcc, v34, v40
	s_and_saveexec_b64 s[0:1], vcc
	s_cbranch_execnz .LBB3300_155
.LBB3300_118:
	s_or_b64 exec, exec, s[0:1]
	v_cmp_lt_u32_e32 vcc, v33, v40
	s_and_saveexec_b64 s[0:1], vcc
	s_cbranch_execnz .LBB3300_156
.LBB3300_119:
	s_or_b64 exec, exec, s[0:1]
	v_cmp_lt_u32_e32 vcc, v32, v40
	s_and_saveexec_b64 s[0:1], vcc
	s_cbranch_execnz .LBB3300_157
.LBB3300_120:
	s_or_b64 exec, exec, s[0:1]
	v_cmp_lt_u32_e32 vcc, v31, v40
	s_and_saveexec_b64 s[0:1], vcc
	s_cbranch_execnz .LBB3300_158
.LBB3300_121:
	s_or_b64 exec, exec, s[0:1]
	v_cmp_lt_u32_e32 vcc, v30, v40
	s_and_saveexec_b64 s[0:1], vcc
	s_cbranch_execnz .LBB3300_159
.LBB3300_122:
	s_or_b64 exec, exec, s[0:1]
	v_cmp_lt_u32_e32 vcc, v29, v40
	s_and_saveexec_b64 s[0:1], vcc
	s_cbranch_execnz .LBB3300_160
.LBB3300_123:
	s_or_b64 exec, exec, s[0:1]
	v_cmp_lt_u32_e32 vcc, v28, v40
	s_and_saveexec_b64 s[0:1], vcc
	s_cbranch_execnz .LBB3300_161
.LBB3300_124:
	s_or_b64 exec, exec, s[0:1]
	v_cmp_lt_u32_e32 vcc, v27, v40
	s_and_saveexec_b64 s[0:1], vcc
	s_cbranch_execnz .LBB3300_162
.LBB3300_125:
	s_or_b64 exec, exec, s[0:1]
	v_cmp_lt_u32_e32 vcc, v26, v40
	s_and_saveexec_b64 s[0:1], vcc
	s_cbranch_execnz .LBB3300_163
.LBB3300_126:
	s_or_b64 exec, exec, s[0:1]
	v_cmp_lt_u32_e32 vcc, v25, v40
	s_and_saveexec_b64 s[0:1], vcc
	s_cbranch_execnz .LBB3300_164
.LBB3300_127:
	s_or_b64 exec, exec, s[0:1]
	v_cmp_lt_u32_e32 vcc, v21, v40
	s_and_saveexec_b64 s[0:1], vcc
	s_cbranch_execz .LBB3300_129
.LBB3300_128:
	v_lshlrev_b32_e32 v37, 2, v21
	v_readfirstlane_b32 s2, v4
	v_readfirstlane_b32 s3, v5
	s_waitcnt lgkmcnt(1)
	s_nop 3
	global_store_dword v37, v3, s[2:3]
.LBB3300_129:
	s_or_b64 exec, exec, s[0:1]
	v_cmp_lt_u32_e64 s[0:1], v20, v40
	s_branch .LBB3300_147
.LBB3300_130:
	s_mov_b64 s[0:1], 0
                                        ; implicit-def: $vgpr4_vgpr5
	s_cbranch_execz .LBB3300_147
; %bb.131:
	v_mov_b32_e32 v43, 0
	v_min_u32_e32 v37, s33, v40
	v_lshl_add_u64 v[4:5], s[24:25], 0, v[18:19]
	v_lshlrev_b64 v[18:19], 2, v[42:43]
	v_lshl_add_u64 v[4:5], v[4:5], 0, v[18:19]
	v_cmp_gt_u32_e32 vcc, v37, v0
	s_and_saveexec_b64 s[0:1], vcc
	s_cbranch_execnz .LBB3300_165
; %bb.132:
	s_or_b64 exec, exec, s[0:1]
	v_cmp_lt_u32_e32 vcc, v36, v37
	s_and_saveexec_b64 s[0:1], vcc
	s_cbranch_execnz .LBB3300_166
.LBB3300_133:
	s_or_b64 exec, exec, s[0:1]
	v_cmp_lt_u32_e32 vcc, v35, v37
	s_and_saveexec_b64 s[0:1], vcc
	s_cbranch_execnz .LBB3300_167
.LBB3300_134:
	s_or_b64 exec, exec, s[0:1]
	v_cmp_lt_u32_e32 vcc, v34, v37
	s_and_saveexec_b64 s[0:1], vcc
	s_cbranch_execnz .LBB3300_168
.LBB3300_135:
	s_or_b64 exec, exec, s[0:1]
	v_cmp_lt_u32_e32 vcc, v33, v37
	s_and_saveexec_b64 s[0:1], vcc
	s_cbranch_execnz .LBB3300_169
.LBB3300_136:
	s_or_b64 exec, exec, s[0:1]
	v_cmp_lt_u32_e32 vcc, v32, v37
	s_and_saveexec_b64 s[0:1], vcc
	s_cbranch_execnz .LBB3300_170
.LBB3300_137:
	s_or_b64 exec, exec, s[0:1]
	v_cmp_lt_u32_e32 vcc, v31, v37
	s_and_saveexec_b64 s[0:1], vcc
	s_cbranch_execnz .LBB3300_171
.LBB3300_138:
	s_or_b64 exec, exec, s[0:1]
	v_cmp_lt_u32_e32 vcc, v30, v37
	s_and_saveexec_b64 s[0:1], vcc
	s_cbranch_execnz .LBB3300_172
.LBB3300_139:
	s_or_b64 exec, exec, s[0:1]
	v_cmp_lt_u32_e32 vcc, v29, v37
	s_and_saveexec_b64 s[0:1], vcc
	s_cbranch_execnz .LBB3300_173
.LBB3300_140:
	s_or_b64 exec, exec, s[0:1]
	v_cmp_lt_u32_e32 vcc, v28, v37
	s_and_saveexec_b64 s[0:1], vcc
	s_cbranch_execnz .LBB3300_174
.LBB3300_141:
	s_or_b64 exec, exec, s[0:1]
	v_cmp_lt_u32_e32 vcc, v27, v37
	s_and_saveexec_b64 s[0:1], vcc
	s_cbranch_execnz .LBB3300_175
.LBB3300_142:
	s_or_b64 exec, exec, s[0:1]
	v_cmp_lt_u32_e32 vcc, v26, v37
	s_and_saveexec_b64 s[0:1], vcc
	s_cbranch_execnz .LBB3300_176
.LBB3300_143:
	s_or_b64 exec, exec, s[0:1]
	v_cmp_lt_u32_e32 vcc, v25, v37
	s_and_saveexec_b64 s[0:1], vcc
	s_cbranch_execnz .LBB3300_177
.LBB3300_144:
	s_or_b64 exec, exec, s[0:1]
	v_cmp_lt_u32_e32 vcc, v21, v37
	s_and_saveexec_b64 s[0:1], vcc
	s_cbranch_execz .LBB3300_146
.LBB3300_145:
	v_lshlrev_b32_e32 v0, 2, v21
	v_readfirstlane_b32 s2, v4
	v_readfirstlane_b32 s3, v5
	s_waitcnt lgkmcnt(1)
	s_nop 3
	global_store_dword v0, v3, s[2:3]
.LBB3300_146:
	s_or_b64 exec, exec, s[0:1]
	v_cmp_lt_u32_e64 s[0:1], v20, v37
.LBB3300_147:
	s_and_saveexec_b64 s[2:3], s[0:1]
	s_cbranch_execnz .LBB3300_150
; %bb.148:
	s_or_b64 exec, exec, s[2:3]
	s_and_b64 s[0:1], s[18:19], s[22:23]
	s_and_saveexec_b64 s[2:3], s[0:1]
	s_cbranch_execnz .LBB3300_151
.LBB3300_149:
	s_endpgm
.LBB3300_150:
	v_lshlrev_b32_e32 v0, 2, v20
	v_readfirstlane_b32 s0, v4
	v_readfirstlane_b32 s1, v5
	s_waitcnt lgkmcnt(0)
	s_nop 3
	global_store_dword v0, v1, s[0:1]
	s_or_b64 exec, exec, s[2:3]
	s_and_b64 s[0:1], s[18:19], s[22:23]
	s_and_saveexec_b64 s[2:3], s[0:1]
	s_cbranch_execz .LBB3300_149
.LBB3300_151:
	v_mov_b32_e32 v41, 0
	s_waitcnt lgkmcnt(0)
	v_lshl_add_u64 v[0:1], v[22:23], 0, v[40:41]
	v_mov_b32_e32 v43, v41
	v_lshl_add_u64 v[0:1], v[0:1], 0, v[42:43]
	global_store_dwordx2 v41, v[0:1], s[20:21]
	s_endpgm
.LBB3300_152:
	v_readfirstlane_b32 s2, v4
	v_readfirstlane_b32 s3, v5
	s_waitcnt lgkmcnt(7)
	s_nop 3
	global_store_dword v24, v16, s[2:3]
	s_or_b64 exec, exec, s[0:1]
	v_cmp_lt_u32_e32 vcc, v36, v40
	s_and_saveexec_b64 s[0:1], vcc
	s_cbranch_execz .LBB3300_116
.LBB3300_153:
	v_readfirstlane_b32 s2, v4
	v_readfirstlane_b32 s3, v5
	s_waitcnt lgkmcnt(7)
	s_nop 3
	global_store_dword v24, v17, s[2:3] offset:2048
	s_or_b64 exec, exec, s[0:1]
	v_cmp_lt_u32_e32 vcc, v35, v40
	s_and_saveexec_b64 s[0:1], vcc
	s_cbranch_execz .LBB3300_117
.LBB3300_154:
	v_lshlrev_b32_e32 v37, 2, v35
	v_readfirstlane_b32 s2, v4
	v_readfirstlane_b32 s3, v5
	s_waitcnt lgkmcnt(6)
	s_nop 3
	global_store_dword v37, v14, s[2:3]
	s_or_b64 exec, exec, s[0:1]
	v_cmp_lt_u32_e32 vcc, v34, v40
	s_and_saveexec_b64 s[0:1], vcc
	s_cbranch_execz .LBB3300_118
.LBB3300_155:
	v_lshlrev_b32_e32 v37, 2, v34
	v_readfirstlane_b32 s2, v4
	v_readfirstlane_b32 s3, v5
	s_waitcnt lgkmcnt(6)
	s_nop 3
	global_store_dword v37, v15, s[2:3]
	s_or_b64 exec, exec, s[0:1]
	v_cmp_lt_u32_e32 vcc, v33, v40
	s_and_saveexec_b64 s[0:1], vcc
	s_cbranch_execz .LBB3300_119
.LBB3300_156:
	v_lshlrev_b32_e32 v37, 2, v33
	v_readfirstlane_b32 s2, v4
	v_readfirstlane_b32 s3, v5
	s_waitcnt lgkmcnt(5)
	s_nop 3
	global_store_dword v37, v12, s[2:3]
	s_or_b64 exec, exec, s[0:1]
	v_cmp_lt_u32_e32 vcc, v32, v40
	s_and_saveexec_b64 s[0:1], vcc
	s_cbranch_execz .LBB3300_120
.LBB3300_157:
	v_lshlrev_b32_e32 v37, 2, v32
	v_readfirstlane_b32 s2, v4
	v_readfirstlane_b32 s3, v5
	s_waitcnt lgkmcnt(5)
	s_nop 3
	global_store_dword v37, v13, s[2:3]
	s_or_b64 exec, exec, s[0:1]
	v_cmp_lt_u32_e32 vcc, v31, v40
	s_and_saveexec_b64 s[0:1], vcc
	s_cbranch_execz .LBB3300_121
.LBB3300_158:
	v_lshlrev_b32_e32 v37, 2, v31
	v_readfirstlane_b32 s2, v4
	v_readfirstlane_b32 s3, v5
	s_waitcnt lgkmcnt(4)
	s_nop 3
	global_store_dword v37, v10, s[2:3]
	s_or_b64 exec, exec, s[0:1]
	v_cmp_lt_u32_e32 vcc, v30, v40
	s_and_saveexec_b64 s[0:1], vcc
	s_cbranch_execz .LBB3300_122
.LBB3300_159:
	v_lshlrev_b32_e32 v37, 2, v30
	v_readfirstlane_b32 s2, v4
	v_readfirstlane_b32 s3, v5
	s_waitcnt lgkmcnt(4)
	s_nop 3
	global_store_dword v37, v11, s[2:3]
	s_or_b64 exec, exec, s[0:1]
	v_cmp_lt_u32_e32 vcc, v29, v40
	s_and_saveexec_b64 s[0:1], vcc
	s_cbranch_execz .LBB3300_123
.LBB3300_160:
	v_lshlrev_b32_e32 v37, 2, v29
	v_readfirstlane_b32 s2, v4
	v_readfirstlane_b32 s3, v5
	s_waitcnt lgkmcnt(3)
	s_nop 3
	global_store_dword v37, v8, s[2:3]
	s_or_b64 exec, exec, s[0:1]
	v_cmp_lt_u32_e32 vcc, v28, v40
	s_and_saveexec_b64 s[0:1], vcc
	s_cbranch_execz .LBB3300_124
.LBB3300_161:
	v_lshlrev_b32_e32 v37, 2, v28
	v_readfirstlane_b32 s2, v4
	v_readfirstlane_b32 s3, v5
	s_waitcnt lgkmcnt(3)
	s_nop 3
	global_store_dword v37, v9, s[2:3]
	s_or_b64 exec, exec, s[0:1]
	v_cmp_lt_u32_e32 vcc, v27, v40
	s_and_saveexec_b64 s[0:1], vcc
	s_cbranch_execz .LBB3300_125
.LBB3300_162:
	v_lshlrev_b32_e32 v37, 2, v27
	v_readfirstlane_b32 s2, v4
	v_readfirstlane_b32 s3, v5
	s_waitcnt lgkmcnt(2)
	s_nop 3
	global_store_dword v37, v6, s[2:3]
	s_or_b64 exec, exec, s[0:1]
	v_cmp_lt_u32_e32 vcc, v26, v40
	s_and_saveexec_b64 s[0:1], vcc
	s_cbranch_execz .LBB3300_126
.LBB3300_163:
	v_lshlrev_b32_e32 v37, 2, v26
	v_readfirstlane_b32 s2, v4
	v_readfirstlane_b32 s3, v5
	s_waitcnt lgkmcnt(2)
	s_nop 3
	global_store_dword v37, v7, s[2:3]
	s_or_b64 exec, exec, s[0:1]
	v_cmp_lt_u32_e32 vcc, v25, v40
	s_and_saveexec_b64 s[0:1], vcc
	s_cbranch_execz .LBB3300_127
.LBB3300_164:
	v_lshlrev_b32_e32 v37, 2, v25
	v_readfirstlane_b32 s2, v4
	v_readfirstlane_b32 s3, v5
	s_waitcnt lgkmcnt(1)
	s_nop 3
	global_store_dword v37, v2, s[2:3]
	s_or_b64 exec, exec, s[0:1]
	v_cmp_lt_u32_e32 vcc, v21, v40
	s_and_saveexec_b64 s[0:1], vcc
	s_cbranch_execnz .LBB3300_128
	s_branch .LBB3300_129
.LBB3300_165:
	v_readfirstlane_b32 s2, v4
	v_readfirstlane_b32 s3, v5
	s_waitcnt lgkmcnt(7)
	s_nop 3
	global_store_dword v24, v16, s[2:3]
	s_or_b64 exec, exec, s[0:1]
	v_cmp_lt_u32_e32 vcc, v36, v37
	s_and_saveexec_b64 s[0:1], vcc
	s_cbranch_execz .LBB3300_133
.LBB3300_166:
	v_readfirstlane_b32 s2, v4
	v_readfirstlane_b32 s3, v5
	s_waitcnt lgkmcnt(7)
	s_nop 3
	global_store_dword v24, v17, s[2:3] offset:2048
	s_or_b64 exec, exec, s[0:1]
	v_cmp_lt_u32_e32 vcc, v35, v37
	s_and_saveexec_b64 s[0:1], vcc
	s_cbranch_execz .LBB3300_134
.LBB3300_167:
	v_lshlrev_b32_e32 v0, 2, v35
	v_readfirstlane_b32 s2, v4
	v_readfirstlane_b32 s3, v5
	s_waitcnt lgkmcnt(6)
	s_nop 3
	global_store_dword v0, v14, s[2:3]
	s_or_b64 exec, exec, s[0:1]
	v_cmp_lt_u32_e32 vcc, v34, v37
	s_and_saveexec_b64 s[0:1], vcc
	s_cbranch_execz .LBB3300_135
.LBB3300_168:
	v_lshlrev_b32_e32 v0, 2, v34
	v_readfirstlane_b32 s2, v4
	v_readfirstlane_b32 s3, v5
	s_waitcnt lgkmcnt(6)
	s_nop 3
	global_store_dword v0, v15, s[2:3]
	s_or_b64 exec, exec, s[0:1]
	v_cmp_lt_u32_e32 vcc, v33, v37
	s_and_saveexec_b64 s[0:1], vcc
	s_cbranch_execz .LBB3300_136
.LBB3300_169:
	v_lshlrev_b32_e32 v0, 2, v33
	v_readfirstlane_b32 s2, v4
	v_readfirstlane_b32 s3, v5
	s_waitcnt lgkmcnt(5)
	s_nop 3
	global_store_dword v0, v12, s[2:3]
	s_or_b64 exec, exec, s[0:1]
	v_cmp_lt_u32_e32 vcc, v32, v37
	s_and_saveexec_b64 s[0:1], vcc
	s_cbranch_execz .LBB3300_137
.LBB3300_170:
	v_lshlrev_b32_e32 v0, 2, v32
	v_readfirstlane_b32 s2, v4
	v_readfirstlane_b32 s3, v5
	s_waitcnt lgkmcnt(5)
	s_nop 3
	global_store_dword v0, v13, s[2:3]
	s_or_b64 exec, exec, s[0:1]
	v_cmp_lt_u32_e32 vcc, v31, v37
	s_and_saveexec_b64 s[0:1], vcc
	s_cbranch_execz .LBB3300_138
.LBB3300_171:
	v_lshlrev_b32_e32 v0, 2, v31
	v_readfirstlane_b32 s2, v4
	v_readfirstlane_b32 s3, v5
	s_waitcnt lgkmcnt(4)
	s_nop 3
	global_store_dword v0, v10, s[2:3]
	s_or_b64 exec, exec, s[0:1]
	v_cmp_lt_u32_e32 vcc, v30, v37
	s_and_saveexec_b64 s[0:1], vcc
	s_cbranch_execz .LBB3300_139
.LBB3300_172:
	v_lshlrev_b32_e32 v0, 2, v30
	v_readfirstlane_b32 s2, v4
	v_readfirstlane_b32 s3, v5
	s_waitcnt lgkmcnt(4)
	s_nop 3
	global_store_dword v0, v11, s[2:3]
	s_or_b64 exec, exec, s[0:1]
	v_cmp_lt_u32_e32 vcc, v29, v37
	s_and_saveexec_b64 s[0:1], vcc
	s_cbranch_execz .LBB3300_140
.LBB3300_173:
	v_lshlrev_b32_e32 v0, 2, v29
	v_readfirstlane_b32 s2, v4
	v_readfirstlane_b32 s3, v5
	s_waitcnt lgkmcnt(3)
	s_nop 3
	global_store_dword v0, v8, s[2:3]
	s_or_b64 exec, exec, s[0:1]
	v_cmp_lt_u32_e32 vcc, v28, v37
	s_and_saveexec_b64 s[0:1], vcc
	s_cbranch_execz .LBB3300_141
.LBB3300_174:
	v_lshlrev_b32_e32 v0, 2, v28
	v_readfirstlane_b32 s2, v4
	v_readfirstlane_b32 s3, v5
	s_waitcnt lgkmcnt(3)
	s_nop 3
	global_store_dword v0, v9, s[2:3]
	s_or_b64 exec, exec, s[0:1]
	v_cmp_lt_u32_e32 vcc, v27, v37
	s_and_saveexec_b64 s[0:1], vcc
	s_cbranch_execz .LBB3300_142
.LBB3300_175:
	v_lshlrev_b32_e32 v0, 2, v27
	v_readfirstlane_b32 s2, v4
	v_readfirstlane_b32 s3, v5
	s_waitcnt lgkmcnt(2)
	s_nop 3
	global_store_dword v0, v6, s[2:3]
	s_or_b64 exec, exec, s[0:1]
	v_cmp_lt_u32_e32 vcc, v26, v37
	s_and_saveexec_b64 s[0:1], vcc
	s_cbranch_execz .LBB3300_143
.LBB3300_176:
	v_lshlrev_b32_e32 v0, 2, v26
	v_readfirstlane_b32 s2, v4
	v_readfirstlane_b32 s3, v5
	s_waitcnt lgkmcnt(2)
	s_nop 3
	global_store_dword v0, v7, s[2:3]
	s_or_b64 exec, exec, s[0:1]
	v_cmp_lt_u32_e32 vcc, v25, v37
	s_and_saveexec_b64 s[0:1], vcc
	s_cbranch_execz .LBB3300_144
.LBB3300_177:
	v_lshlrev_b32_e32 v0, 2, v25
	v_readfirstlane_b32 s2, v4
	v_readfirstlane_b32 s3, v5
	s_waitcnt lgkmcnt(1)
	s_nop 3
	global_store_dword v0, v2, s[2:3]
	s_or_b64 exec, exec, s[0:1]
	v_cmp_lt_u32_e32 vcc, v21, v37
	s_and_saveexec_b64 s[0:1], vcc
	s_cbranch_execnz .LBB3300_145
	s_branch .LBB3300_146
	.section	.rodata,"a",@progbits
	.p2align	6, 0x0
	.amdhsa_kernel _ZN7rocprim17ROCPRIM_400000_NS6detail17trampoline_kernelINS0_14default_configENS1_25partition_config_selectorILNS1_17partition_subalgoE1EiNS0_10empty_typeEbEEZZNS1_14partition_implILS5_1ELb0ES3_jN6thrust23THRUST_200600_302600_NS6detail15normal_iteratorINSA_10device_ptrIiEEEEPS6_NSA_18transform_iteratorI7is_evenIiESF_NSA_11use_defaultESK_EENS0_5tupleIJSF_NSA_16discard_iteratorISK_EEEEENSM_IJSG_SG_EEES6_PlJS6_EEE10hipError_tPvRmT3_T4_T5_T6_T7_T9_mT8_P12ihipStream_tbDpT10_ENKUlT_T0_E_clISt17integral_constantIbLb1EES1B_EEDaS16_S17_EUlS16_E_NS1_11comp_targetILNS1_3genE5ELNS1_11target_archE942ELNS1_3gpuE9ELNS1_3repE0EEENS1_30default_config_static_selectorELNS0_4arch9wavefront6targetE1EEEvT1_
		.amdhsa_group_segment_fixed_size 30728
		.amdhsa_private_segment_fixed_size 0
		.amdhsa_kernarg_size 152
		.amdhsa_user_sgpr_count 2
		.amdhsa_user_sgpr_dispatch_ptr 0
		.amdhsa_user_sgpr_queue_ptr 0
		.amdhsa_user_sgpr_kernarg_segment_ptr 1
		.amdhsa_user_sgpr_dispatch_id 0
		.amdhsa_user_sgpr_kernarg_preload_length 0
		.amdhsa_user_sgpr_kernarg_preload_offset 0
		.amdhsa_user_sgpr_private_segment_size 0
		.amdhsa_uses_dynamic_stack 0
		.amdhsa_enable_private_segment 0
		.amdhsa_system_sgpr_workgroup_id_x 1
		.amdhsa_system_sgpr_workgroup_id_y 0
		.amdhsa_system_sgpr_workgroup_id_z 0
		.amdhsa_system_sgpr_workgroup_info 0
		.amdhsa_system_vgpr_workitem_id 0
		.amdhsa_next_free_vgpr 67
		.amdhsa_next_free_sgpr 40
		.amdhsa_accum_offset 68
		.amdhsa_reserve_vcc 1
		.amdhsa_float_round_mode_32 0
		.amdhsa_float_round_mode_16_64 0
		.amdhsa_float_denorm_mode_32 3
		.amdhsa_float_denorm_mode_16_64 3
		.amdhsa_dx10_clamp 1
		.amdhsa_ieee_mode 1
		.amdhsa_fp16_overflow 0
		.amdhsa_tg_split 0
		.amdhsa_exception_fp_ieee_invalid_op 0
		.amdhsa_exception_fp_denorm_src 0
		.amdhsa_exception_fp_ieee_div_zero 0
		.amdhsa_exception_fp_ieee_overflow 0
		.amdhsa_exception_fp_ieee_underflow 0
		.amdhsa_exception_fp_ieee_inexact 0
		.amdhsa_exception_int_div_zero 0
	.end_amdhsa_kernel
	.section	.text._ZN7rocprim17ROCPRIM_400000_NS6detail17trampoline_kernelINS0_14default_configENS1_25partition_config_selectorILNS1_17partition_subalgoE1EiNS0_10empty_typeEbEEZZNS1_14partition_implILS5_1ELb0ES3_jN6thrust23THRUST_200600_302600_NS6detail15normal_iteratorINSA_10device_ptrIiEEEEPS6_NSA_18transform_iteratorI7is_evenIiESF_NSA_11use_defaultESK_EENS0_5tupleIJSF_NSA_16discard_iteratorISK_EEEEENSM_IJSG_SG_EEES6_PlJS6_EEE10hipError_tPvRmT3_T4_T5_T6_T7_T9_mT8_P12ihipStream_tbDpT10_ENKUlT_T0_E_clISt17integral_constantIbLb1EES1B_EEDaS16_S17_EUlS16_E_NS1_11comp_targetILNS1_3genE5ELNS1_11target_archE942ELNS1_3gpuE9ELNS1_3repE0EEENS1_30default_config_static_selectorELNS0_4arch9wavefront6targetE1EEEvT1_,"axG",@progbits,_ZN7rocprim17ROCPRIM_400000_NS6detail17trampoline_kernelINS0_14default_configENS1_25partition_config_selectorILNS1_17partition_subalgoE1EiNS0_10empty_typeEbEEZZNS1_14partition_implILS5_1ELb0ES3_jN6thrust23THRUST_200600_302600_NS6detail15normal_iteratorINSA_10device_ptrIiEEEEPS6_NSA_18transform_iteratorI7is_evenIiESF_NSA_11use_defaultESK_EENS0_5tupleIJSF_NSA_16discard_iteratorISK_EEEEENSM_IJSG_SG_EEES6_PlJS6_EEE10hipError_tPvRmT3_T4_T5_T6_T7_T9_mT8_P12ihipStream_tbDpT10_ENKUlT_T0_E_clISt17integral_constantIbLb1EES1B_EEDaS16_S17_EUlS16_E_NS1_11comp_targetILNS1_3genE5ELNS1_11target_archE942ELNS1_3gpuE9ELNS1_3repE0EEENS1_30default_config_static_selectorELNS0_4arch9wavefront6targetE1EEEvT1_,comdat
.Lfunc_end3300:
	.size	_ZN7rocprim17ROCPRIM_400000_NS6detail17trampoline_kernelINS0_14default_configENS1_25partition_config_selectorILNS1_17partition_subalgoE1EiNS0_10empty_typeEbEEZZNS1_14partition_implILS5_1ELb0ES3_jN6thrust23THRUST_200600_302600_NS6detail15normal_iteratorINSA_10device_ptrIiEEEEPS6_NSA_18transform_iteratorI7is_evenIiESF_NSA_11use_defaultESK_EENS0_5tupleIJSF_NSA_16discard_iteratorISK_EEEEENSM_IJSG_SG_EEES6_PlJS6_EEE10hipError_tPvRmT3_T4_T5_T6_T7_T9_mT8_P12ihipStream_tbDpT10_ENKUlT_T0_E_clISt17integral_constantIbLb1EES1B_EEDaS16_S17_EUlS16_E_NS1_11comp_targetILNS1_3genE5ELNS1_11target_archE942ELNS1_3gpuE9ELNS1_3repE0EEENS1_30default_config_static_selectorELNS0_4arch9wavefront6targetE1EEEvT1_, .Lfunc_end3300-_ZN7rocprim17ROCPRIM_400000_NS6detail17trampoline_kernelINS0_14default_configENS1_25partition_config_selectorILNS1_17partition_subalgoE1EiNS0_10empty_typeEbEEZZNS1_14partition_implILS5_1ELb0ES3_jN6thrust23THRUST_200600_302600_NS6detail15normal_iteratorINSA_10device_ptrIiEEEEPS6_NSA_18transform_iteratorI7is_evenIiESF_NSA_11use_defaultESK_EENS0_5tupleIJSF_NSA_16discard_iteratorISK_EEEEENSM_IJSG_SG_EEES6_PlJS6_EEE10hipError_tPvRmT3_T4_T5_T6_T7_T9_mT8_P12ihipStream_tbDpT10_ENKUlT_T0_E_clISt17integral_constantIbLb1EES1B_EEDaS16_S17_EUlS16_E_NS1_11comp_targetILNS1_3genE5ELNS1_11target_archE942ELNS1_3gpuE9ELNS1_3repE0EEENS1_30default_config_static_selectorELNS0_4arch9wavefront6targetE1EEEvT1_
                                        ; -- End function
	.section	.AMDGPU.csdata,"",@progbits
; Kernel info:
; codeLenInByte = 7948
; NumSgprs: 46
; NumVgprs: 67
; NumAgprs: 0
; TotalNumVgprs: 67
; ScratchSize: 0
; MemoryBound: 0
; FloatMode: 240
; IeeeMode: 1
; LDSByteSize: 30728 bytes/workgroup (compile time only)
; SGPRBlocks: 5
; VGPRBlocks: 8
; NumSGPRsForWavesPerEU: 46
; NumVGPRsForWavesPerEU: 67
; AccumOffset: 68
; Occupancy: 4
; WaveLimiterHint : 1
; COMPUTE_PGM_RSRC2:SCRATCH_EN: 0
; COMPUTE_PGM_RSRC2:USER_SGPR: 2
; COMPUTE_PGM_RSRC2:TRAP_HANDLER: 0
; COMPUTE_PGM_RSRC2:TGID_X_EN: 1
; COMPUTE_PGM_RSRC2:TGID_Y_EN: 0
; COMPUTE_PGM_RSRC2:TGID_Z_EN: 0
; COMPUTE_PGM_RSRC2:TIDIG_COMP_CNT: 0
; COMPUTE_PGM_RSRC3_GFX90A:ACCUM_OFFSET: 16
; COMPUTE_PGM_RSRC3_GFX90A:TG_SPLIT: 0
	.section	.text._ZN7rocprim17ROCPRIM_400000_NS6detail17trampoline_kernelINS0_14default_configENS1_25partition_config_selectorILNS1_17partition_subalgoE1EiNS0_10empty_typeEbEEZZNS1_14partition_implILS5_1ELb0ES3_jN6thrust23THRUST_200600_302600_NS6detail15normal_iteratorINSA_10device_ptrIiEEEEPS6_NSA_18transform_iteratorI7is_evenIiESF_NSA_11use_defaultESK_EENS0_5tupleIJSF_NSA_16discard_iteratorISK_EEEEENSM_IJSG_SG_EEES6_PlJS6_EEE10hipError_tPvRmT3_T4_T5_T6_T7_T9_mT8_P12ihipStream_tbDpT10_ENKUlT_T0_E_clISt17integral_constantIbLb1EES1B_EEDaS16_S17_EUlS16_E_NS1_11comp_targetILNS1_3genE4ELNS1_11target_archE910ELNS1_3gpuE8ELNS1_3repE0EEENS1_30default_config_static_selectorELNS0_4arch9wavefront6targetE1EEEvT1_,"axG",@progbits,_ZN7rocprim17ROCPRIM_400000_NS6detail17trampoline_kernelINS0_14default_configENS1_25partition_config_selectorILNS1_17partition_subalgoE1EiNS0_10empty_typeEbEEZZNS1_14partition_implILS5_1ELb0ES3_jN6thrust23THRUST_200600_302600_NS6detail15normal_iteratorINSA_10device_ptrIiEEEEPS6_NSA_18transform_iteratorI7is_evenIiESF_NSA_11use_defaultESK_EENS0_5tupleIJSF_NSA_16discard_iteratorISK_EEEEENSM_IJSG_SG_EEES6_PlJS6_EEE10hipError_tPvRmT3_T4_T5_T6_T7_T9_mT8_P12ihipStream_tbDpT10_ENKUlT_T0_E_clISt17integral_constantIbLb1EES1B_EEDaS16_S17_EUlS16_E_NS1_11comp_targetILNS1_3genE4ELNS1_11target_archE910ELNS1_3gpuE8ELNS1_3repE0EEENS1_30default_config_static_selectorELNS0_4arch9wavefront6targetE1EEEvT1_,comdat
	.protected	_ZN7rocprim17ROCPRIM_400000_NS6detail17trampoline_kernelINS0_14default_configENS1_25partition_config_selectorILNS1_17partition_subalgoE1EiNS0_10empty_typeEbEEZZNS1_14partition_implILS5_1ELb0ES3_jN6thrust23THRUST_200600_302600_NS6detail15normal_iteratorINSA_10device_ptrIiEEEEPS6_NSA_18transform_iteratorI7is_evenIiESF_NSA_11use_defaultESK_EENS0_5tupleIJSF_NSA_16discard_iteratorISK_EEEEENSM_IJSG_SG_EEES6_PlJS6_EEE10hipError_tPvRmT3_T4_T5_T6_T7_T9_mT8_P12ihipStream_tbDpT10_ENKUlT_T0_E_clISt17integral_constantIbLb1EES1B_EEDaS16_S17_EUlS16_E_NS1_11comp_targetILNS1_3genE4ELNS1_11target_archE910ELNS1_3gpuE8ELNS1_3repE0EEENS1_30default_config_static_selectorELNS0_4arch9wavefront6targetE1EEEvT1_ ; -- Begin function _ZN7rocprim17ROCPRIM_400000_NS6detail17trampoline_kernelINS0_14default_configENS1_25partition_config_selectorILNS1_17partition_subalgoE1EiNS0_10empty_typeEbEEZZNS1_14partition_implILS5_1ELb0ES3_jN6thrust23THRUST_200600_302600_NS6detail15normal_iteratorINSA_10device_ptrIiEEEEPS6_NSA_18transform_iteratorI7is_evenIiESF_NSA_11use_defaultESK_EENS0_5tupleIJSF_NSA_16discard_iteratorISK_EEEEENSM_IJSG_SG_EEES6_PlJS6_EEE10hipError_tPvRmT3_T4_T5_T6_T7_T9_mT8_P12ihipStream_tbDpT10_ENKUlT_T0_E_clISt17integral_constantIbLb1EES1B_EEDaS16_S17_EUlS16_E_NS1_11comp_targetILNS1_3genE4ELNS1_11target_archE910ELNS1_3gpuE8ELNS1_3repE0EEENS1_30default_config_static_selectorELNS0_4arch9wavefront6targetE1EEEvT1_
	.globl	_ZN7rocprim17ROCPRIM_400000_NS6detail17trampoline_kernelINS0_14default_configENS1_25partition_config_selectorILNS1_17partition_subalgoE1EiNS0_10empty_typeEbEEZZNS1_14partition_implILS5_1ELb0ES3_jN6thrust23THRUST_200600_302600_NS6detail15normal_iteratorINSA_10device_ptrIiEEEEPS6_NSA_18transform_iteratorI7is_evenIiESF_NSA_11use_defaultESK_EENS0_5tupleIJSF_NSA_16discard_iteratorISK_EEEEENSM_IJSG_SG_EEES6_PlJS6_EEE10hipError_tPvRmT3_T4_T5_T6_T7_T9_mT8_P12ihipStream_tbDpT10_ENKUlT_T0_E_clISt17integral_constantIbLb1EES1B_EEDaS16_S17_EUlS16_E_NS1_11comp_targetILNS1_3genE4ELNS1_11target_archE910ELNS1_3gpuE8ELNS1_3repE0EEENS1_30default_config_static_selectorELNS0_4arch9wavefront6targetE1EEEvT1_
	.p2align	8
	.type	_ZN7rocprim17ROCPRIM_400000_NS6detail17trampoline_kernelINS0_14default_configENS1_25partition_config_selectorILNS1_17partition_subalgoE1EiNS0_10empty_typeEbEEZZNS1_14partition_implILS5_1ELb0ES3_jN6thrust23THRUST_200600_302600_NS6detail15normal_iteratorINSA_10device_ptrIiEEEEPS6_NSA_18transform_iteratorI7is_evenIiESF_NSA_11use_defaultESK_EENS0_5tupleIJSF_NSA_16discard_iteratorISK_EEEEENSM_IJSG_SG_EEES6_PlJS6_EEE10hipError_tPvRmT3_T4_T5_T6_T7_T9_mT8_P12ihipStream_tbDpT10_ENKUlT_T0_E_clISt17integral_constantIbLb1EES1B_EEDaS16_S17_EUlS16_E_NS1_11comp_targetILNS1_3genE4ELNS1_11target_archE910ELNS1_3gpuE8ELNS1_3repE0EEENS1_30default_config_static_selectorELNS0_4arch9wavefront6targetE1EEEvT1_,@function
_ZN7rocprim17ROCPRIM_400000_NS6detail17trampoline_kernelINS0_14default_configENS1_25partition_config_selectorILNS1_17partition_subalgoE1EiNS0_10empty_typeEbEEZZNS1_14partition_implILS5_1ELb0ES3_jN6thrust23THRUST_200600_302600_NS6detail15normal_iteratorINSA_10device_ptrIiEEEEPS6_NSA_18transform_iteratorI7is_evenIiESF_NSA_11use_defaultESK_EENS0_5tupleIJSF_NSA_16discard_iteratorISK_EEEEENSM_IJSG_SG_EEES6_PlJS6_EEE10hipError_tPvRmT3_T4_T5_T6_T7_T9_mT8_P12ihipStream_tbDpT10_ENKUlT_T0_E_clISt17integral_constantIbLb1EES1B_EEDaS16_S17_EUlS16_E_NS1_11comp_targetILNS1_3genE4ELNS1_11target_archE910ELNS1_3gpuE8ELNS1_3repE0EEENS1_30default_config_static_selectorELNS0_4arch9wavefront6targetE1EEEvT1_: ; @_ZN7rocprim17ROCPRIM_400000_NS6detail17trampoline_kernelINS0_14default_configENS1_25partition_config_selectorILNS1_17partition_subalgoE1EiNS0_10empty_typeEbEEZZNS1_14partition_implILS5_1ELb0ES3_jN6thrust23THRUST_200600_302600_NS6detail15normal_iteratorINSA_10device_ptrIiEEEEPS6_NSA_18transform_iteratorI7is_evenIiESF_NSA_11use_defaultESK_EENS0_5tupleIJSF_NSA_16discard_iteratorISK_EEEEENSM_IJSG_SG_EEES6_PlJS6_EEE10hipError_tPvRmT3_T4_T5_T6_T7_T9_mT8_P12ihipStream_tbDpT10_ENKUlT_T0_E_clISt17integral_constantIbLb1EES1B_EEDaS16_S17_EUlS16_E_NS1_11comp_targetILNS1_3genE4ELNS1_11target_archE910ELNS1_3gpuE8ELNS1_3repE0EEENS1_30default_config_static_selectorELNS0_4arch9wavefront6targetE1EEEvT1_
; %bb.0:
	.section	.rodata,"a",@progbits
	.p2align	6, 0x0
	.amdhsa_kernel _ZN7rocprim17ROCPRIM_400000_NS6detail17trampoline_kernelINS0_14default_configENS1_25partition_config_selectorILNS1_17partition_subalgoE1EiNS0_10empty_typeEbEEZZNS1_14partition_implILS5_1ELb0ES3_jN6thrust23THRUST_200600_302600_NS6detail15normal_iteratorINSA_10device_ptrIiEEEEPS6_NSA_18transform_iteratorI7is_evenIiESF_NSA_11use_defaultESK_EENS0_5tupleIJSF_NSA_16discard_iteratorISK_EEEEENSM_IJSG_SG_EEES6_PlJS6_EEE10hipError_tPvRmT3_T4_T5_T6_T7_T9_mT8_P12ihipStream_tbDpT10_ENKUlT_T0_E_clISt17integral_constantIbLb1EES1B_EEDaS16_S17_EUlS16_E_NS1_11comp_targetILNS1_3genE4ELNS1_11target_archE910ELNS1_3gpuE8ELNS1_3repE0EEENS1_30default_config_static_selectorELNS0_4arch9wavefront6targetE1EEEvT1_
		.amdhsa_group_segment_fixed_size 0
		.amdhsa_private_segment_fixed_size 0
		.amdhsa_kernarg_size 152
		.amdhsa_user_sgpr_count 2
		.amdhsa_user_sgpr_dispatch_ptr 0
		.amdhsa_user_sgpr_queue_ptr 0
		.amdhsa_user_sgpr_kernarg_segment_ptr 1
		.amdhsa_user_sgpr_dispatch_id 0
		.amdhsa_user_sgpr_kernarg_preload_length 0
		.amdhsa_user_sgpr_kernarg_preload_offset 0
		.amdhsa_user_sgpr_private_segment_size 0
		.amdhsa_uses_dynamic_stack 0
		.amdhsa_enable_private_segment 0
		.amdhsa_system_sgpr_workgroup_id_x 1
		.amdhsa_system_sgpr_workgroup_id_y 0
		.amdhsa_system_sgpr_workgroup_id_z 0
		.amdhsa_system_sgpr_workgroup_info 0
		.amdhsa_system_vgpr_workitem_id 0
		.amdhsa_next_free_vgpr 1
		.amdhsa_next_free_sgpr 0
		.amdhsa_accum_offset 4
		.amdhsa_reserve_vcc 0
		.amdhsa_float_round_mode_32 0
		.amdhsa_float_round_mode_16_64 0
		.amdhsa_float_denorm_mode_32 3
		.amdhsa_float_denorm_mode_16_64 3
		.amdhsa_dx10_clamp 1
		.amdhsa_ieee_mode 1
		.amdhsa_fp16_overflow 0
		.amdhsa_tg_split 0
		.amdhsa_exception_fp_ieee_invalid_op 0
		.amdhsa_exception_fp_denorm_src 0
		.amdhsa_exception_fp_ieee_div_zero 0
		.amdhsa_exception_fp_ieee_overflow 0
		.amdhsa_exception_fp_ieee_underflow 0
		.amdhsa_exception_fp_ieee_inexact 0
		.amdhsa_exception_int_div_zero 0
	.end_amdhsa_kernel
	.section	.text._ZN7rocprim17ROCPRIM_400000_NS6detail17trampoline_kernelINS0_14default_configENS1_25partition_config_selectorILNS1_17partition_subalgoE1EiNS0_10empty_typeEbEEZZNS1_14partition_implILS5_1ELb0ES3_jN6thrust23THRUST_200600_302600_NS6detail15normal_iteratorINSA_10device_ptrIiEEEEPS6_NSA_18transform_iteratorI7is_evenIiESF_NSA_11use_defaultESK_EENS0_5tupleIJSF_NSA_16discard_iteratorISK_EEEEENSM_IJSG_SG_EEES6_PlJS6_EEE10hipError_tPvRmT3_T4_T5_T6_T7_T9_mT8_P12ihipStream_tbDpT10_ENKUlT_T0_E_clISt17integral_constantIbLb1EES1B_EEDaS16_S17_EUlS16_E_NS1_11comp_targetILNS1_3genE4ELNS1_11target_archE910ELNS1_3gpuE8ELNS1_3repE0EEENS1_30default_config_static_selectorELNS0_4arch9wavefront6targetE1EEEvT1_,"axG",@progbits,_ZN7rocprim17ROCPRIM_400000_NS6detail17trampoline_kernelINS0_14default_configENS1_25partition_config_selectorILNS1_17partition_subalgoE1EiNS0_10empty_typeEbEEZZNS1_14partition_implILS5_1ELb0ES3_jN6thrust23THRUST_200600_302600_NS6detail15normal_iteratorINSA_10device_ptrIiEEEEPS6_NSA_18transform_iteratorI7is_evenIiESF_NSA_11use_defaultESK_EENS0_5tupleIJSF_NSA_16discard_iteratorISK_EEEEENSM_IJSG_SG_EEES6_PlJS6_EEE10hipError_tPvRmT3_T4_T5_T6_T7_T9_mT8_P12ihipStream_tbDpT10_ENKUlT_T0_E_clISt17integral_constantIbLb1EES1B_EEDaS16_S17_EUlS16_E_NS1_11comp_targetILNS1_3genE4ELNS1_11target_archE910ELNS1_3gpuE8ELNS1_3repE0EEENS1_30default_config_static_selectorELNS0_4arch9wavefront6targetE1EEEvT1_,comdat
.Lfunc_end3301:
	.size	_ZN7rocprim17ROCPRIM_400000_NS6detail17trampoline_kernelINS0_14default_configENS1_25partition_config_selectorILNS1_17partition_subalgoE1EiNS0_10empty_typeEbEEZZNS1_14partition_implILS5_1ELb0ES3_jN6thrust23THRUST_200600_302600_NS6detail15normal_iteratorINSA_10device_ptrIiEEEEPS6_NSA_18transform_iteratorI7is_evenIiESF_NSA_11use_defaultESK_EENS0_5tupleIJSF_NSA_16discard_iteratorISK_EEEEENSM_IJSG_SG_EEES6_PlJS6_EEE10hipError_tPvRmT3_T4_T5_T6_T7_T9_mT8_P12ihipStream_tbDpT10_ENKUlT_T0_E_clISt17integral_constantIbLb1EES1B_EEDaS16_S17_EUlS16_E_NS1_11comp_targetILNS1_3genE4ELNS1_11target_archE910ELNS1_3gpuE8ELNS1_3repE0EEENS1_30default_config_static_selectorELNS0_4arch9wavefront6targetE1EEEvT1_, .Lfunc_end3301-_ZN7rocprim17ROCPRIM_400000_NS6detail17trampoline_kernelINS0_14default_configENS1_25partition_config_selectorILNS1_17partition_subalgoE1EiNS0_10empty_typeEbEEZZNS1_14partition_implILS5_1ELb0ES3_jN6thrust23THRUST_200600_302600_NS6detail15normal_iteratorINSA_10device_ptrIiEEEEPS6_NSA_18transform_iteratorI7is_evenIiESF_NSA_11use_defaultESK_EENS0_5tupleIJSF_NSA_16discard_iteratorISK_EEEEENSM_IJSG_SG_EEES6_PlJS6_EEE10hipError_tPvRmT3_T4_T5_T6_T7_T9_mT8_P12ihipStream_tbDpT10_ENKUlT_T0_E_clISt17integral_constantIbLb1EES1B_EEDaS16_S17_EUlS16_E_NS1_11comp_targetILNS1_3genE4ELNS1_11target_archE910ELNS1_3gpuE8ELNS1_3repE0EEENS1_30default_config_static_selectorELNS0_4arch9wavefront6targetE1EEEvT1_
                                        ; -- End function
	.section	.AMDGPU.csdata,"",@progbits
; Kernel info:
; codeLenInByte = 0
; NumSgprs: 6
; NumVgprs: 0
; NumAgprs: 0
; TotalNumVgprs: 0
; ScratchSize: 0
; MemoryBound: 0
; FloatMode: 240
; IeeeMode: 1
; LDSByteSize: 0 bytes/workgroup (compile time only)
; SGPRBlocks: 0
; VGPRBlocks: 0
; NumSGPRsForWavesPerEU: 6
; NumVGPRsForWavesPerEU: 1
; AccumOffset: 4
; Occupancy: 8
; WaveLimiterHint : 0
; COMPUTE_PGM_RSRC2:SCRATCH_EN: 0
; COMPUTE_PGM_RSRC2:USER_SGPR: 2
; COMPUTE_PGM_RSRC2:TRAP_HANDLER: 0
; COMPUTE_PGM_RSRC2:TGID_X_EN: 1
; COMPUTE_PGM_RSRC2:TGID_Y_EN: 0
; COMPUTE_PGM_RSRC2:TGID_Z_EN: 0
; COMPUTE_PGM_RSRC2:TIDIG_COMP_CNT: 0
; COMPUTE_PGM_RSRC3_GFX90A:ACCUM_OFFSET: 0
; COMPUTE_PGM_RSRC3_GFX90A:TG_SPLIT: 0
	.section	.text._ZN7rocprim17ROCPRIM_400000_NS6detail17trampoline_kernelINS0_14default_configENS1_25partition_config_selectorILNS1_17partition_subalgoE1EiNS0_10empty_typeEbEEZZNS1_14partition_implILS5_1ELb0ES3_jN6thrust23THRUST_200600_302600_NS6detail15normal_iteratorINSA_10device_ptrIiEEEEPS6_NSA_18transform_iteratorI7is_evenIiESF_NSA_11use_defaultESK_EENS0_5tupleIJSF_NSA_16discard_iteratorISK_EEEEENSM_IJSG_SG_EEES6_PlJS6_EEE10hipError_tPvRmT3_T4_T5_T6_T7_T9_mT8_P12ihipStream_tbDpT10_ENKUlT_T0_E_clISt17integral_constantIbLb1EES1B_EEDaS16_S17_EUlS16_E_NS1_11comp_targetILNS1_3genE3ELNS1_11target_archE908ELNS1_3gpuE7ELNS1_3repE0EEENS1_30default_config_static_selectorELNS0_4arch9wavefront6targetE1EEEvT1_,"axG",@progbits,_ZN7rocprim17ROCPRIM_400000_NS6detail17trampoline_kernelINS0_14default_configENS1_25partition_config_selectorILNS1_17partition_subalgoE1EiNS0_10empty_typeEbEEZZNS1_14partition_implILS5_1ELb0ES3_jN6thrust23THRUST_200600_302600_NS6detail15normal_iteratorINSA_10device_ptrIiEEEEPS6_NSA_18transform_iteratorI7is_evenIiESF_NSA_11use_defaultESK_EENS0_5tupleIJSF_NSA_16discard_iteratorISK_EEEEENSM_IJSG_SG_EEES6_PlJS6_EEE10hipError_tPvRmT3_T4_T5_T6_T7_T9_mT8_P12ihipStream_tbDpT10_ENKUlT_T0_E_clISt17integral_constantIbLb1EES1B_EEDaS16_S17_EUlS16_E_NS1_11comp_targetILNS1_3genE3ELNS1_11target_archE908ELNS1_3gpuE7ELNS1_3repE0EEENS1_30default_config_static_selectorELNS0_4arch9wavefront6targetE1EEEvT1_,comdat
	.protected	_ZN7rocprim17ROCPRIM_400000_NS6detail17trampoline_kernelINS0_14default_configENS1_25partition_config_selectorILNS1_17partition_subalgoE1EiNS0_10empty_typeEbEEZZNS1_14partition_implILS5_1ELb0ES3_jN6thrust23THRUST_200600_302600_NS6detail15normal_iteratorINSA_10device_ptrIiEEEEPS6_NSA_18transform_iteratorI7is_evenIiESF_NSA_11use_defaultESK_EENS0_5tupleIJSF_NSA_16discard_iteratorISK_EEEEENSM_IJSG_SG_EEES6_PlJS6_EEE10hipError_tPvRmT3_T4_T5_T6_T7_T9_mT8_P12ihipStream_tbDpT10_ENKUlT_T0_E_clISt17integral_constantIbLb1EES1B_EEDaS16_S17_EUlS16_E_NS1_11comp_targetILNS1_3genE3ELNS1_11target_archE908ELNS1_3gpuE7ELNS1_3repE0EEENS1_30default_config_static_selectorELNS0_4arch9wavefront6targetE1EEEvT1_ ; -- Begin function _ZN7rocprim17ROCPRIM_400000_NS6detail17trampoline_kernelINS0_14default_configENS1_25partition_config_selectorILNS1_17partition_subalgoE1EiNS0_10empty_typeEbEEZZNS1_14partition_implILS5_1ELb0ES3_jN6thrust23THRUST_200600_302600_NS6detail15normal_iteratorINSA_10device_ptrIiEEEEPS6_NSA_18transform_iteratorI7is_evenIiESF_NSA_11use_defaultESK_EENS0_5tupleIJSF_NSA_16discard_iteratorISK_EEEEENSM_IJSG_SG_EEES6_PlJS6_EEE10hipError_tPvRmT3_T4_T5_T6_T7_T9_mT8_P12ihipStream_tbDpT10_ENKUlT_T0_E_clISt17integral_constantIbLb1EES1B_EEDaS16_S17_EUlS16_E_NS1_11comp_targetILNS1_3genE3ELNS1_11target_archE908ELNS1_3gpuE7ELNS1_3repE0EEENS1_30default_config_static_selectorELNS0_4arch9wavefront6targetE1EEEvT1_
	.globl	_ZN7rocprim17ROCPRIM_400000_NS6detail17trampoline_kernelINS0_14default_configENS1_25partition_config_selectorILNS1_17partition_subalgoE1EiNS0_10empty_typeEbEEZZNS1_14partition_implILS5_1ELb0ES3_jN6thrust23THRUST_200600_302600_NS6detail15normal_iteratorINSA_10device_ptrIiEEEEPS6_NSA_18transform_iteratorI7is_evenIiESF_NSA_11use_defaultESK_EENS0_5tupleIJSF_NSA_16discard_iteratorISK_EEEEENSM_IJSG_SG_EEES6_PlJS6_EEE10hipError_tPvRmT3_T4_T5_T6_T7_T9_mT8_P12ihipStream_tbDpT10_ENKUlT_T0_E_clISt17integral_constantIbLb1EES1B_EEDaS16_S17_EUlS16_E_NS1_11comp_targetILNS1_3genE3ELNS1_11target_archE908ELNS1_3gpuE7ELNS1_3repE0EEENS1_30default_config_static_selectorELNS0_4arch9wavefront6targetE1EEEvT1_
	.p2align	8
	.type	_ZN7rocprim17ROCPRIM_400000_NS6detail17trampoline_kernelINS0_14default_configENS1_25partition_config_selectorILNS1_17partition_subalgoE1EiNS0_10empty_typeEbEEZZNS1_14partition_implILS5_1ELb0ES3_jN6thrust23THRUST_200600_302600_NS6detail15normal_iteratorINSA_10device_ptrIiEEEEPS6_NSA_18transform_iteratorI7is_evenIiESF_NSA_11use_defaultESK_EENS0_5tupleIJSF_NSA_16discard_iteratorISK_EEEEENSM_IJSG_SG_EEES6_PlJS6_EEE10hipError_tPvRmT3_T4_T5_T6_T7_T9_mT8_P12ihipStream_tbDpT10_ENKUlT_T0_E_clISt17integral_constantIbLb1EES1B_EEDaS16_S17_EUlS16_E_NS1_11comp_targetILNS1_3genE3ELNS1_11target_archE908ELNS1_3gpuE7ELNS1_3repE0EEENS1_30default_config_static_selectorELNS0_4arch9wavefront6targetE1EEEvT1_,@function
_ZN7rocprim17ROCPRIM_400000_NS6detail17trampoline_kernelINS0_14default_configENS1_25partition_config_selectorILNS1_17partition_subalgoE1EiNS0_10empty_typeEbEEZZNS1_14partition_implILS5_1ELb0ES3_jN6thrust23THRUST_200600_302600_NS6detail15normal_iteratorINSA_10device_ptrIiEEEEPS6_NSA_18transform_iteratorI7is_evenIiESF_NSA_11use_defaultESK_EENS0_5tupleIJSF_NSA_16discard_iteratorISK_EEEEENSM_IJSG_SG_EEES6_PlJS6_EEE10hipError_tPvRmT3_T4_T5_T6_T7_T9_mT8_P12ihipStream_tbDpT10_ENKUlT_T0_E_clISt17integral_constantIbLb1EES1B_EEDaS16_S17_EUlS16_E_NS1_11comp_targetILNS1_3genE3ELNS1_11target_archE908ELNS1_3gpuE7ELNS1_3repE0EEENS1_30default_config_static_selectorELNS0_4arch9wavefront6targetE1EEEvT1_: ; @_ZN7rocprim17ROCPRIM_400000_NS6detail17trampoline_kernelINS0_14default_configENS1_25partition_config_selectorILNS1_17partition_subalgoE1EiNS0_10empty_typeEbEEZZNS1_14partition_implILS5_1ELb0ES3_jN6thrust23THRUST_200600_302600_NS6detail15normal_iteratorINSA_10device_ptrIiEEEEPS6_NSA_18transform_iteratorI7is_evenIiESF_NSA_11use_defaultESK_EENS0_5tupleIJSF_NSA_16discard_iteratorISK_EEEEENSM_IJSG_SG_EEES6_PlJS6_EEE10hipError_tPvRmT3_T4_T5_T6_T7_T9_mT8_P12ihipStream_tbDpT10_ENKUlT_T0_E_clISt17integral_constantIbLb1EES1B_EEDaS16_S17_EUlS16_E_NS1_11comp_targetILNS1_3genE3ELNS1_11target_archE908ELNS1_3gpuE7ELNS1_3repE0EEENS1_30default_config_static_selectorELNS0_4arch9wavefront6targetE1EEEvT1_
; %bb.0:
	.section	.rodata,"a",@progbits
	.p2align	6, 0x0
	.amdhsa_kernel _ZN7rocprim17ROCPRIM_400000_NS6detail17trampoline_kernelINS0_14default_configENS1_25partition_config_selectorILNS1_17partition_subalgoE1EiNS0_10empty_typeEbEEZZNS1_14partition_implILS5_1ELb0ES3_jN6thrust23THRUST_200600_302600_NS6detail15normal_iteratorINSA_10device_ptrIiEEEEPS6_NSA_18transform_iteratorI7is_evenIiESF_NSA_11use_defaultESK_EENS0_5tupleIJSF_NSA_16discard_iteratorISK_EEEEENSM_IJSG_SG_EEES6_PlJS6_EEE10hipError_tPvRmT3_T4_T5_T6_T7_T9_mT8_P12ihipStream_tbDpT10_ENKUlT_T0_E_clISt17integral_constantIbLb1EES1B_EEDaS16_S17_EUlS16_E_NS1_11comp_targetILNS1_3genE3ELNS1_11target_archE908ELNS1_3gpuE7ELNS1_3repE0EEENS1_30default_config_static_selectorELNS0_4arch9wavefront6targetE1EEEvT1_
		.amdhsa_group_segment_fixed_size 0
		.amdhsa_private_segment_fixed_size 0
		.amdhsa_kernarg_size 152
		.amdhsa_user_sgpr_count 2
		.amdhsa_user_sgpr_dispatch_ptr 0
		.amdhsa_user_sgpr_queue_ptr 0
		.amdhsa_user_sgpr_kernarg_segment_ptr 1
		.amdhsa_user_sgpr_dispatch_id 0
		.amdhsa_user_sgpr_kernarg_preload_length 0
		.amdhsa_user_sgpr_kernarg_preload_offset 0
		.amdhsa_user_sgpr_private_segment_size 0
		.amdhsa_uses_dynamic_stack 0
		.amdhsa_enable_private_segment 0
		.amdhsa_system_sgpr_workgroup_id_x 1
		.amdhsa_system_sgpr_workgroup_id_y 0
		.amdhsa_system_sgpr_workgroup_id_z 0
		.amdhsa_system_sgpr_workgroup_info 0
		.amdhsa_system_vgpr_workitem_id 0
		.amdhsa_next_free_vgpr 1
		.amdhsa_next_free_sgpr 0
		.amdhsa_accum_offset 4
		.amdhsa_reserve_vcc 0
		.amdhsa_float_round_mode_32 0
		.amdhsa_float_round_mode_16_64 0
		.amdhsa_float_denorm_mode_32 3
		.amdhsa_float_denorm_mode_16_64 3
		.amdhsa_dx10_clamp 1
		.amdhsa_ieee_mode 1
		.amdhsa_fp16_overflow 0
		.amdhsa_tg_split 0
		.amdhsa_exception_fp_ieee_invalid_op 0
		.amdhsa_exception_fp_denorm_src 0
		.amdhsa_exception_fp_ieee_div_zero 0
		.amdhsa_exception_fp_ieee_overflow 0
		.amdhsa_exception_fp_ieee_underflow 0
		.amdhsa_exception_fp_ieee_inexact 0
		.amdhsa_exception_int_div_zero 0
	.end_amdhsa_kernel
	.section	.text._ZN7rocprim17ROCPRIM_400000_NS6detail17trampoline_kernelINS0_14default_configENS1_25partition_config_selectorILNS1_17partition_subalgoE1EiNS0_10empty_typeEbEEZZNS1_14partition_implILS5_1ELb0ES3_jN6thrust23THRUST_200600_302600_NS6detail15normal_iteratorINSA_10device_ptrIiEEEEPS6_NSA_18transform_iteratorI7is_evenIiESF_NSA_11use_defaultESK_EENS0_5tupleIJSF_NSA_16discard_iteratorISK_EEEEENSM_IJSG_SG_EEES6_PlJS6_EEE10hipError_tPvRmT3_T4_T5_T6_T7_T9_mT8_P12ihipStream_tbDpT10_ENKUlT_T0_E_clISt17integral_constantIbLb1EES1B_EEDaS16_S17_EUlS16_E_NS1_11comp_targetILNS1_3genE3ELNS1_11target_archE908ELNS1_3gpuE7ELNS1_3repE0EEENS1_30default_config_static_selectorELNS0_4arch9wavefront6targetE1EEEvT1_,"axG",@progbits,_ZN7rocprim17ROCPRIM_400000_NS6detail17trampoline_kernelINS0_14default_configENS1_25partition_config_selectorILNS1_17partition_subalgoE1EiNS0_10empty_typeEbEEZZNS1_14partition_implILS5_1ELb0ES3_jN6thrust23THRUST_200600_302600_NS6detail15normal_iteratorINSA_10device_ptrIiEEEEPS6_NSA_18transform_iteratorI7is_evenIiESF_NSA_11use_defaultESK_EENS0_5tupleIJSF_NSA_16discard_iteratorISK_EEEEENSM_IJSG_SG_EEES6_PlJS6_EEE10hipError_tPvRmT3_T4_T5_T6_T7_T9_mT8_P12ihipStream_tbDpT10_ENKUlT_T0_E_clISt17integral_constantIbLb1EES1B_EEDaS16_S17_EUlS16_E_NS1_11comp_targetILNS1_3genE3ELNS1_11target_archE908ELNS1_3gpuE7ELNS1_3repE0EEENS1_30default_config_static_selectorELNS0_4arch9wavefront6targetE1EEEvT1_,comdat
.Lfunc_end3302:
	.size	_ZN7rocprim17ROCPRIM_400000_NS6detail17trampoline_kernelINS0_14default_configENS1_25partition_config_selectorILNS1_17partition_subalgoE1EiNS0_10empty_typeEbEEZZNS1_14partition_implILS5_1ELb0ES3_jN6thrust23THRUST_200600_302600_NS6detail15normal_iteratorINSA_10device_ptrIiEEEEPS6_NSA_18transform_iteratorI7is_evenIiESF_NSA_11use_defaultESK_EENS0_5tupleIJSF_NSA_16discard_iteratorISK_EEEEENSM_IJSG_SG_EEES6_PlJS6_EEE10hipError_tPvRmT3_T4_T5_T6_T7_T9_mT8_P12ihipStream_tbDpT10_ENKUlT_T0_E_clISt17integral_constantIbLb1EES1B_EEDaS16_S17_EUlS16_E_NS1_11comp_targetILNS1_3genE3ELNS1_11target_archE908ELNS1_3gpuE7ELNS1_3repE0EEENS1_30default_config_static_selectorELNS0_4arch9wavefront6targetE1EEEvT1_, .Lfunc_end3302-_ZN7rocprim17ROCPRIM_400000_NS6detail17trampoline_kernelINS0_14default_configENS1_25partition_config_selectorILNS1_17partition_subalgoE1EiNS0_10empty_typeEbEEZZNS1_14partition_implILS5_1ELb0ES3_jN6thrust23THRUST_200600_302600_NS6detail15normal_iteratorINSA_10device_ptrIiEEEEPS6_NSA_18transform_iteratorI7is_evenIiESF_NSA_11use_defaultESK_EENS0_5tupleIJSF_NSA_16discard_iteratorISK_EEEEENSM_IJSG_SG_EEES6_PlJS6_EEE10hipError_tPvRmT3_T4_T5_T6_T7_T9_mT8_P12ihipStream_tbDpT10_ENKUlT_T0_E_clISt17integral_constantIbLb1EES1B_EEDaS16_S17_EUlS16_E_NS1_11comp_targetILNS1_3genE3ELNS1_11target_archE908ELNS1_3gpuE7ELNS1_3repE0EEENS1_30default_config_static_selectorELNS0_4arch9wavefront6targetE1EEEvT1_
                                        ; -- End function
	.section	.AMDGPU.csdata,"",@progbits
; Kernel info:
; codeLenInByte = 0
; NumSgprs: 6
; NumVgprs: 0
; NumAgprs: 0
; TotalNumVgprs: 0
; ScratchSize: 0
; MemoryBound: 0
; FloatMode: 240
; IeeeMode: 1
; LDSByteSize: 0 bytes/workgroup (compile time only)
; SGPRBlocks: 0
; VGPRBlocks: 0
; NumSGPRsForWavesPerEU: 6
; NumVGPRsForWavesPerEU: 1
; AccumOffset: 4
; Occupancy: 8
; WaveLimiterHint : 0
; COMPUTE_PGM_RSRC2:SCRATCH_EN: 0
; COMPUTE_PGM_RSRC2:USER_SGPR: 2
; COMPUTE_PGM_RSRC2:TRAP_HANDLER: 0
; COMPUTE_PGM_RSRC2:TGID_X_EN: 1
; COMPUTE_PGM_RSRC2:TGID_Y_EN: 0
; COMPUTE_PGM_RSRC2:TGID_Z_EN: 0
; COMPUTE_PGM_RSRC2:TIDIG_COMP_CNT: 0
; COMPUTE_PGM_RSRC3_GFX90A:ACCUM_OFFSET: 0
; COMPUTE_PGM_RSRC3_GFX90A:TG_SPLIT: 0
	.section	.text._ZN7rocprim17ROCPRIM_400000_NS6detail17trampoline_kernelINS0_14default_configENS1_25partition_config_selectorILNS1_17partition_subalgoE1EiNS0_10empty_typeEbEEZZNS1_14partition_implILS5_1ELb0ES3_jN6thrust23THRUST_200600_302600_NS6detail15normal_iteratorINSA_10device_ptrIiEEEEPS6_NSA_18transform_iteratorI7is_evenIiESF_NSA_11use_defaultESK_EENS0_5tupleIJSF_NSA_16discard_iteratorISK_EEEEENSM_IJSG_SG_EEES6_PlJS6_EEE10hipError_tPvRmT3_T4_T5_T6_T7_T9_mT8_P12ihipStream_tbDpT10_ENKUlT_T0_E_clISt17integral_constantIbLb1EES1B_EEDaS16_S17_EUlS16_E_NS1_11comp_targetILNS1_3genE2ELNS1_11target_archE906ELNS1_3gpuE6ELNS1_3repE0EEENS1_30default_config_static_selectorELNS0_4arch9wavefront6targetE1EEEvT1_,"axG",@progbits,_ZN7rocprim17ROCPRIM_400000_NS6detail17trampoline_kernelINS0_14default_configENS1_25partition_config_selectorILNS1_17partition_subalgoE1EiNS0_10empty_typeEbEEZZNS1_14partition_implILS5_1ELb0ES3_jN6thrust23THRUST_200600_302600_NS6detail15normal_iteratorINSA_10device_ptrIiEEEEPS6_NSA_18transform_iteratorI7is_evenIiESF_NSA_11use_defaultESK_EENS0_5tupleIJSF_NSA_16discard_iteratorISK_EEEEENSM_IJSG_SG_EEES6_PlJS6_EEE10hipError_tPvRmT3_T4_T5_T6_T7_T9_mT8_P12ihipStream_tbDpT10_ENKUlT_T0_E_clISt17integral_constantIbLb1EES1B_EEDaS16_S17_EUlS16_E_NS1_11comp_targetILNS1_3genE2ELNS1_11target_archE906ELNS1_3gpuE6ELNS1_3repE0EEENS1_30default_config_static_selectorELNS0_4arch9wavefront6targetE1EEEvT1_,comdat
	.protected	_ZN7rocprim17ROCPRIM_400000_NS6detail17trampoline_kernelINS0_14default_configENS1_25partition_config_selectorILNS1_17partition_subalgoE1EiNS0_10empty_typeEbEEZZNS1_14partition_implILS5_1ELb0ES3_jN6thrust23THRUST_200600_302600_NS6detail15normal_iteratorINSA_10device_ptrIiEEEEPS6_NSA_18transform_iteratorI7is_evenIiESF_NSA_11use_defaultESK_EENS0_5tupleIJSF_NSA_16discard_iteratorISK_EEEEENSM_IJSG_SG_EEES6_PlJS6_EEE10hipError_tPvRmT3_T4_T5_T6_T7_T9_mT8_P12ihipStream_tbDpT10_ENKUlT_T0_E_clISt17integral_constantIbLb1EES1B_EEDaS16_S17_EUlS16_E_NS1_11comp_targetILNS1_3genE2ELNS1_11target_archE906ELNS1_3gpuE6ELNS1_3repE0EEENS1_30default_config_static_selectorELNS0_4arch9wavefront6targetE1EEEvT1_ ; -- Begin function _ZN7rocprim17ROCPRIM_400000_NS6detail17trampoline_kernelINS0_14default_configENS1_25partition_config_selectorILNS1_17partition_subalgoE1EiNS0_10empty_typeEbEEZZNS1_14partition_implILS5_1ELb0ES3_jN6thrust23THRUST_200600_302600_NS6detail15normal_iteratorINSA_10device_ptrIiEEEEPS6_NSA_18transform_iteratorI7is_evenIiESF_NSA_11use_defaultESK_EENS0_5tupleIJSF_NSA_16discard_iteratorISK_EEEEENSM_IJSG_SG_EEES6_PlJS6_EEE10hipError_tPvRmT3_T4_T5_T6_T7_T9_mT8_P12ihipStream_tbDpT10_ENKUlT_T0_E_clISt17integral_constantIbLb1EES1B_EEDaS16_S17_EUlS16_E_NS1_11comp_targetILNS1_3genE2ELNS1_11target_archE906ELNS1_3gpuE6ELNS1_3repE0EEENS1_30default_config_static_selectorELNS0_4arch9wavefront6targetE1EEEvT1_
	.globl	_ZN7rocprim17ROCPRIM_400000_NS6detail17trampoline_kernelINS0_14default_configENS1_25partition_config_selectorILNS1_17partition_subalgoE1EiNS0_10empty_typeEbEEZZNS1_14partition_implILS5_1ELb0ES3_jN6thrust23THRUST_200600_302600_NS6detail15normal_iteratorINSA_10device_ptrIiEEEEPS6_NSA_18transform_iteratorI7is_evenIiESF_NSA_11use_defaultESK_EENS0_5tupleIJSF_NSA_16discard_iteratorISK_EEEEENSM_IJSG_SG_EEES6_PlJS6_EEE10hipError_tPvRmT3_T4_T5_T6_T7_T9_mT8_P12ihipStream_tbDpT10_ENKUlT_T0_E_clISt17integral_constantIbLb1EES1B_EEDaS16_S17_EUlS16_E_NS1_11comp_targetILNS1_3genE2ELNS1_11target_archE906ELNS1_3gpuE6ELNS1_3repE0EEENS1_30default_config_static_selectorELNS0_4arch9wavefront6targetE1EEEvT1_
	.p2align	8
	.type	_ZN7rocprim17ROCPRIM_400000_NS6detail17trampoline_kernelINS0_14default_configENS1_25partition_config_selectorILNS1_17partition_subalgoE1EiNS0_10empty_typeEbEEZZNS1_14partition_implILS5_1ELb0ES3_jN6thrust23THRUST_200600_302600_NS6detail15normal_iteratorINSA_10device_ptrIiEEEEPS6_NSA_18transform_iteratorI7is_evenIiESF_NSA_11use_defaultESK_EENS0_5tupleIJSF_NSA_16discard_iteratorISK_EEEEENSM_IJSG_SG_EEES6_PlJS6_EEE10hipError_tPvRmT3_T4_T5_T6_T7_T9_mT8_P12ihipStream_tbDpT10_ENKUlT_T0_E_clISt17integral_constantIbLb1EES1B_EEDaS16_S17_EUlS16_E_NS1_11comp_targetILNS1_3genE2ELNS1_11target_archE906ELNS1_3gpuE6ELNS1_3repE0EEENS1_30default_config_static_selectorELNS0_4arch9wavefront6targetE1EEEvT1_,@function
_ZN7rocprim17ROCPRIM_400000_NS6detail17trampoline_kernelINS0_14default_configENS1_25partition_config_selectorILNS1_17partition_subalgoE1EiNS0_10empty_typeEbEEZZNS1_14partition_implILS5_1ELb0ES3_jN6thrust23THRUST_200600_302600_NS6detail15normal_iteratorINSA_10device_ptrIiEEEEPS6_NSA_18transform_iteratorI7is_evenIiESF_NSA_11use_defaultESK_EENS0_5tupleIJSF_NSA_16discard_iteratorISK_EEEEENSM_IJSG_SG_EEES6_PlJS6_EEE10hipError_tPvRmT3_T4_T5_T6_T7_T9_mT8_P12ihipStream_tbDpT10_ENKUlT_T0_E_clISt17integral_constantIbLb1EES1B_EEDaS16_S17_EUlS16_E_NS1_11comp_targetILNS1_3genE2ELNS1_11target_archE906ELNS1_3gpuE6ELNS1_3repE0EEENS1_30default_config_static_selectorELNS0_4arch9wavefront6targetE1EEEvT1_: ; @_ZN7rocprim17ROCPRIM_400000_NS6detail17trampoline_kernelINS0_14default_configENS1_25partition_config_selectorILNS1_17partition_subalgoE1EiNS0_10empty_typeEbEEZZNS1_14partition_implILS5_1ELb0ES3_jN6thrust23THRUST_200600_302600_NS6detail15normal_iteratorINSA_10device_ptrIiEEEEPS6_NSA_18transform_iteratorI7is_evenIiESF_NSA_11use_defaultESK_EENS0_5tupleIJSF_NSA_16discard_iteratorISK_EEEEENSM_IJSG_SG_EEES6_PlJS6_EEE10hipError_tPvRmT3_T4_T5_T6_T7_T9_mT8_P12ihipStream_tbDpT10_ENKUlT_T0_E_clISt17integral_constantIbLb1EES1B_EEDaS16_S17_EUlS16_E_NS1_11comp_targetILNS1_3genE2ELNS1_11target_archE906ELNS1_3gpuE6ELNS1_3repE0EEENS1_30default_config_static_selectorELNS0_4arch9wavefront6targetE1EEEvT1_
; %bb.0:
	.section	.rodata,"a",@progbits
	.p2align	6, 0x0
	.amdhsa_kernel _ZN7rocprim17ROCPRIM_400000_NS6detail17trampoline_kernelINS0_14default_configENS1_25partition_config_selectorILNS1_17partition_subalgoE1EiNS0_10empty_typeEbEEZZNS1_14partition_implILS5_1ELb0ES3_jN6thrust23THRUST_200600_302600_NS6detail15normal_iteratorINSA_10device_ptrIiEEEEPS6_NSA_18transform_iteratorI7is_evenIiESF_NSA_11use_defaultESK_EENS0_5tupleIJSF_NSA_16discard_iteratorISK_EEEEENSM_IJSG_SG_EEES6_PlJS6_EEE10hipError_tPvRmT3_T4_T5_T6_T7_T9_mT8_P12ihipStream_tbDpT10_ENKUlT_T0_E_clISt17integral_constantIbLb1EES1B_EEDaS16_S17_EUlS16_E_NS1_11comp_targetILNS1_3genE2ELNS1_11target_archE906ELNS1_3gpuE6ELNS1_3repE0EEENS1_30default_config_static_selectorELNS0_4arch9wavefront6targetE1EEEvT1_
		.amdhsa_group_segment_fixed_size 0
		.amdhsa_private_segment_fixed_size 0
		.amdhsa_kernarg_size 152
		.amdhsa_user_sgpr_count 2
		.amdhsa_user_sgpr_dispatch_ptr 0
		.amdhsa_user_sgpr_queue_ptr 0
		.amdhsa_user_sgpr_kernarg_segment_ptr 1
		.amdhsa_user_sgpr_dispatch_id 0
		.amdhsa_user_sgpr_kernarg_preload_length 0
		.amdhsa_user_sgpr_kernarg_preload_offset 0
		.amdhsa_user_sgpr_private_segment_size 0
		.amdhsa_uses_dynamic_stack 0
		.amdhsa_enable_private_segment 0
		.amdhsa_system_sgpr_workgroup_id_x 1
		.amdhsa_system_sgpr_workgroup_id_y 0
		.amdhsa_system_sgpr_workgroup_id_z 0
		.amdhsa_system_sgpr_workgroup_info 0
		.amdhsa_system_vgpr_workitem_id 0
		.amdhsa_next_free_vgpr 1
		.amdhsa_next_free_sgpr 0
		.amdhsa_accum_offset 4
		.amdhsa_reserve_vcc 0
		.amdhsa_float_round_mode_32 0
		.amdhsa_float_round_mode_16_64 0
		.amdhsa_float_denorm_mode_32 3
		.amdhsa_float_denorm_mode_16_64 3
		.amdhsa_dx10_clamp 1
		.amdhsa_ieee_mode 1
		.amdhsa_fp16_overflow 0
		.amdhsa_tg_split 0
		.amdhsa_exception_fp_ieee_invalid_op 0
		.amdhsa_exception_fp_denorm_src 0
		.amdhsa_exception_fp_ieee_div_zero 0
		.amdhsa_exception_fp_ieee_overflow 0
		.amdhsa_exception_fp_ieee_underflow 0
		.amdhsa_exception_fp_ieee_inexact 0
		.amdhsa_exception_int_div_zero 0
	.end_amdhsa_kernel
	.section	.text._ZN7rocprim17ROCPRIM_400000_NS6detail17trampoline_kernelINS0_14default_configENS1_25partition_config_selectorILNS1_17partition_subalgoE1EiNS0_10empty_typeEbEEZZNS1_14partition_implILS5_1ELb0ES3_jN6thrust23THRUST_200600_302600_NS6detail15normal_iteratorINSA_10device_ptrIiEEEEPS6_NSA_18transform_iteratorI7is_evenIiESF_NSA_11use_defaultESK_EENS0_5tupleIJSF_NSA_16discard_iteratorISK_EEEEENSM_IJSG_SG_EEES6_PlJS6_EEE10hipError_tPvRmT3_T4_T5_T6_T7_T9_mT8_P12ihipStream_tbDpT10_ENKUlT_T0_E_clISt17integral_constantIbLb1EES1B_EEDaS16_S17_EUlS16_E_NS1_11comp_targetILNS1_3genE2ELNS1_11target_archE906ELNS1_3gpuE6ELNS1_3repE0EEENS1_30default_config_static_selectorELNS0_4arch9wavefront6targetE1EEEvT1_,"axG",@progbits,_ZN7rocprim17ROCPRIM_400000_NS6detail17trampoline_kernelINS0_14default_configENS1_25partition_config_selectorILNS1_17partition_subalgoE1EiNS0_10empty_typeEbEEZZNS1_14partition_implILS5_1ELb0ES3_jN6thrust23THRUST_200600_302600_NS6detail15normal_iteratorINSA_10device_ptrIiEEEEPS6_NSA_18transform_iteratorI7is_evenIiESF_NSA_11use_defaultESK_EENS0_5tupleIJSF_NSA_16discard_iteratorISK_EEEEENSM_IJSG_SG_EEES6_PlJS6_EEE10hipError_tPvRmT3_T4_T5_T6_T7_T9_mT8_P12ihipStream_tbDpT10_ENKUlT_T0_E_clISt17integral_constantIbLb1EES1B_EEDaS16_S17_EUlS16_E_NS1_11comp_targetILNS1_3genE2ELNS1_11target_archE906ELNS1_3gpuE6ELNS1_3repE0EEENS1_30default_config_static_selectorELNS0_4arch9wavefront6targetE1EEEvT1_,comdat
.Lfunc_end3303:
	.size	_ZN7rocprim17ROCPRIM_400000_NS6detail17trampoline_kernelINS0_14default_configENS1_25partition_config_selectorILNS1_17partition_subalgoE1EiNS0_10empty_typeEbEEZZNS1_14partition_implILS5_1ELb0ES3_jN6thrust23THRUST_200600_302600_NS6detail15normal_iteratorINSA_10device_ptrIiEEEEPS6_NSA_18transform_iteratorI7is_evenIiESF_NSA_11use_defaultESK_EENS0_5tupleIJSF_NSA_16discard_iteratorISK_EEEEENSM_IJSG_SG_EEES6_PlJS6_EEE10hipError_tPvRmT3_T4_T5_T6_T7_T9_mT8_P12ihipStream_tbDpT10_ENKUlT_T0_E_clISt17integral_constantIbLb1EES1B_EEDaS16_S17_EUlS16_E_NS1_11comp_targetILNS1_3genE2ELNS1_11target_archE906ELNS1_3gpuE6ELNS1_3repE0EEENS1_30default_config_static_selectorELNS0_4arch9wavefront6targetE1EEEvT1_, .Lfunc_end3303-_ZN7rocprim17ROCPRIM_400000_NS6detail17trampoline_kernelINS0_14default_configENS1_25partition_config_selectorILNS1_17partition_subalgoE1EiNS0_10empty_typeEbEEZZNS1_14partition_implILS5_1ELb0ES3_jN6thrust23THRUST_200600_302600_NS6detail15normal_iteratorINSA_10device_ptrIiEEEEPS6_NSA_18transform_iteratorI7is_evenIiESF_NSA_11use_defaultESK_EENS0_5tupleIJSF_NSA_16discard_iteratorISK_EEEEENSM_IJSG_SG_EEES6_PlJS6_EEE10hipError_tPvRmT3_T4_T5_T6_T7_T9_mT8_P12ihipStream_tbDpT10_ENKUlT_T0_E_clISt17integral_constantIbLb1EES1B_EEDaS16_S17_EUlS16_E_NS1_11comp_targetILNS1_3genE2ELNS1_11target_archE906ELNS1_3gpuE6ELNS1_3repE0EEENS1_30default_config_static_selectorELNS0_4arch9wavefront6targetE1EEEvT1_
                                        ; -- End function
	.section	.AMDGPU.csdata,"",@progbits
; Kernel info:
; codeLenInByte = 0
; NumSgprs: 6
; NumVgprs: 0
; NumAgprs: 0
; TotalNumVgprs: 0
; ScratchSize: 0
; MemoryBound: 0
; FloatMode: 240
; IeeeMode: 1
; LDSByteSize: 0 bytes/workgroup (compile time only)
; SGPRBlocks: 0
; VGPRBlocks: 0
; NumSGPRsForWavesPerEU: 6
; NumVGPRsForWavesPerEU: 1
; AccumOffset: 4
; Occupancy: 8
; WaveLimiterHint : 0
; COMPUTE_PGM_RSRC2:SCRATCH_EN: 0
; COMPUTE_PGM_RSRC2:USER_SGPR: 2
; COMPUTE_PGM_RSRC2:TRAP_HANDLER: 0
; COMPUTE_PGM_RSRC2:TGID_X_EN: 1
; COMPUTE_PGM_RSRC2:TGID_Y_EN: 0
; COMPUTE_PGM_RSRC2:TGID_Z_EN: 0
; COMPUTE_PGM_RSRC2:TIDIG_COMP_CNT: 0
; COMPUTE_PGM_RSRC3_GFX90A:ACCUM_OFFSET: 0
; COMPUTE_PGM_RSRC3_GFX90A:TG_SPLIT: 0
	.section	.text._ZN7rocprim17ROCPRIM_400000_NS6detail17trampoline_kernelINS0_14default_configENS1_25partition_config_selectorILNS1_17partition_subalgoE1EiNS0_10empty_typeEbEEZZNS1_14partition_implILS5_1ELb0ES3_jN6thrust23THRUST_200600_302600_NS6detail15normal_iteratorINSA_10device_ptrIiEEEEPS6_NSA_18transform_iteratorI7is_evenIiESF_NSA_11use_defaultESK_EENS0_5tupleIJSF_NSA_16discard_iteratorISK_EEEEENSM_IJSG_SG_EEES6_PlJS6_EEE10hipError_tPvRmT3_T4_T5_T6_T7_T9_mT8_P12ihipStream_tbDpT10_ENKUlT_T0_E_clISt17integral_constantIbLb1EES1B_EEDaS16_S17_EUlS16_E_NS1_11comp_targetILNS1_3genE10ELNS1_11target_archE1200ELNS1_3gpuE4ELNS1_3repE0EEENS1_30default_config_static_selectorELNS0_4arch9wavefront6targetE1EEEvT1_,"axG",@progbits,_ZN7rocprim17ROCPRIM_400000_NS6detail17trampoline_kernelINS0_14default_configENS1_25partition_config_selectorILNS1_17partition_subalgoE1EiNS0_10empty_typeEbEEZZNS1_14partition_implILS5_1ELb0ES3_jN6thrust23THRUST_200600_302600_NS6detail15normal_iteratorINSA_10device_ptrIiEEEEPS6_NSA_18transform_iteratorI7is_evenIiESF_NSA_11use_defaultESK_EENS0_5tupleIJSF_NSA_16discard_iteratorISK_EEEEENSM_IJSG_SG_EEES6_PlJS6_EEE10hipError_tPvRmT3_T4_T5_T6_T7_T9_mT8_P12ihipStream_tbDpT10_ENKUlT_T0_E_clISt17integral_constantIbLb1EES1B_EEDaS16_S17_EUlS16_E_NS1_11comp_targetILNS1_3genE10ELNS1_11target_archE1200ELNS1_3gpuE4ELNS1_3repE0EEENS1_30default_config_static_selectorELNS0_4arch9wavefront6targetE1EEEvT1_,comdat
	.protected	_ZN7rocprim17ROCPRIM_400000_NS6detail17trampoline_kernelINS0_14default_configENS1_25partition_config_selectorILNS1_17partition_subalgoE1EiNS0_10empty_typeEbEEZZNS1_14partition_implILS5_1ELb0ES3_jN6thrust23THRUST_200600_302600_NS6detail15normal_iteratorINSA_10device_ptrIiEEEEPS6_NSA_18transform_iteratorI7is_evenIiESF_NSA_11use_defaultESK_EENS0_5tupleIJSF_NSA_16discard_iteratorISK_EEEEENSM_IJSG_SG_EEES6_PlJS6_EEE10hipError_tPvRmT3_T4_T5_T6_T7_T9_mT8_P12ihipStream_tbDpT10_ENKUlT_T0_E_clISt17integral_constantIbLb1EES1B_EEDaS16_S17_EUlS16_E_NS1_11comp_targetILNS1_3genE10ELNS1_11target_archE1200ELNS1_3gpuE4ELNS1_3repE0EEENS1_30default_config_static_selectorELNS0_4arch9wavefront6targetE1EEEvT1_ ; -- Begin function _ZN7rocprim17ROCPRIM_400000_NS6detail17trampoline_kernelINS0_14default_configENS1_25partition_config_selectorILNS1_17partition_subalgoE1EiNS0_10empty_typeEbEEZZNS1_14partition_implILS5_1ELb0ES3_jN6thrust23THRUST_200600_302600_NS6detail15normal_iteratorINSA_10device_ptrIiEEEEPS6_NSA_18transform_iteratorI7is_evenIiESF_NSA_11use_defaultESK_EENS0_5tupleIJSF_NSA_16discard_iteratorISK_EEEEENSM_IJSG_SG_EEES6_PlJS6_EEE10hipError_tPvRmT3_T4_T5_T6_T7_T9_mT8_P12ihipStream_tbDpT10_ENKUlT_T0_E_clISt17integral_constantIbLb1EES1B_EEDaS16_S17_EUlS16_E_NS1_11comp_targetILNS1_3genE10ELNS1_11target_archE1200ELNS1_3gpuE4ELNS1_3repE0EEENS1_30default_config_static_selectorELNS0_4arch9wavefront6targetE1EEEvT1_
	.globl	_ZN7rocprim17ROCPRIM_400000_NS6detail17trampoline_kernelINS0_14default_configENS1_25partition_config_selectorILNS1_17partition_subalgoE1EiNS0_10empty_typeEbEEZZNS1_14partition_implILS5_1ELb0ES3_jN6thrust23THRUST_200600_302600_NS6detail15normal_iteratorINSA_10device_ptrIiEEEEPS6_NSA_18transform_iteratorI7is_evenIiESF_NSA_11use_defaultESK_EENS0_5tupleIJSF_NSA_16discard_iteratorISK_EEEEENSM_IJSG_SG_EEES6_PlJS6_EEE10hipError_tPvRmT3_T4_T5_T6_T7_T9_mT8_P12ihipStream_tbDpT10_ENKUlT_T0_E_clISt17integral_constantIbLb1EES1B_EEDaS16_S17_EUlS16_E_NS1_11comp_targetILNS1_3genE10ELNS1_11target_archE1200ELNS1_3gpuE4ELNS1_3repE0EEENS1_30default_config_static_selectorELNS0_4arch9wavefront6targetE1EEEvT1_
	.p2align	8
	.type	_ZN7rocprim17ROCPRIM_400000_NS6detail17trampoline_kernelINS0_14default_configENS1_25partition_config_selectorILNS1_17partition_subalgoE1EiNS0_10empty_typeEbEEZZNS1_14partition_implILS5_1ELb0ES3_jN6thrust23THRUST_200600_302600_NS6detail15normal_iteratorINSA_10device_ptrIiEEEEPS6_NSA_18transform_iteratorI7is_evenIiESF_NSA_11use_defaultESK_EENS0_5tupleIJSF_NSA_16discard_iteratorISK_EEEEENSM_IJSG_SG_EEES6_PlJS6_EEE10hipError_tPvRmT3_T4_T5_T6_T7_T9_mT8_P12ihipStream_tbDpT10_ENKUlT_T0_E_clISt17integral_constantIbLb1EES1B_EEDaS16_S17_EUlS16_E_NS1_11comp_targetILNS1_3genE10ELNS1_11target_archE1200ELNS1_3gpuE4ELNS1_3repE0EEENS1_30default_config_static_selectorELNS0_4arch9wavefront6targetE1EEEvT1_,@function
_ZN7rocprim17ROCPRIM_400000_NS6detail17trampoline_kernelINS0_14default_configENS1_25partition_config_selectorILNS1_17partition_subalgoE1EiNS0_10empty_typeEbEEZZNS1_14partition_implILS5_1ELb0ES3_jN6thrust23THRUST_200600_302600_NS6detail15normal_iteratorINSA_10device_ptrIiEEEEPS6_NSA_18transform_iteratorI7is_evenIiESF_NSA_11use_defaultESK_EENS0_5tupleIJSF_NSA_16discard_iteratorISK_EEEEENSM_IJSG_SG_EEES6_PlJS6_EEE10hipError_tPvRmT3_T4_T5_T6_T7_T9_mT8_P12ihipStream_tbDpT10_ENKUlT_T0_E_clISt17integral_constantIbLb1EES1B_EEDaS16_S17_EUlS16_E_NS1_11comp_targetILNS1_3genE10ELNS1_11target_archE1200ELNS1_3gpuE4ELNS1_3repE0EEENS1_30default_config_static_selectorELNS0_4arch9wavefront6targetE1EEEvT1_: ; @_ZN7rocprim17ROCPRIM_400000_NS6detail17trampoline_kernelINS0_14default_configENS1_25partition_config_selectorILNS1_17partition_subalgoE1EiNS0_10empty_typeEbEEZZNS1_14partition_implILS5_1ELb0ES3_jN6thrust23THRUST_200600_302600_NS6detail15normal_iteratorINSA_10device_ptrIiEEEEPS6_NSA_18transform_iteratorI7is_evenIiESF_NSA_11use_defaultESK_EENS0_5tupleIJSF_NSA_16discard_iteratorISK_EEEEENSM_IJSG_SG_EEES6_PlJS6_EEE10hipError_tPvRmT3_T4_T5_T6_T7_T9_mT8_P12ihipStream_tbDpT10_ENKUlT_T0_E_clISt17integral_constantIbLb1EES1B_EEDaS16_S17_EUlS16_E_NS1_11comp_targetILNS1_3genE10ELNS1_11target_archE1200ELNS1_3gpuE4ELNS1_3repE0EEENS1_30default_config_static_selectorELNS0_4arch9wavefront6targetE1EEEvT1_
; %bb.0:
	.section	.rodata,"a",@progbits
	.p2align	6, 0x0
	.amdhsa_kernel _ZN7rocprim17ROCPRIM_400000_NS6detail17trampoline_kernelINS0_14default_configENS1_25partition_config_selectorILNS1_17partition_subalgoE1EiNS0_10empty_typeEbEEZZNS1_14partition_implILS5_1ELb0ES3_jN6thrust23THRUST_200600_302600_NS6detail15normal_iteratorINSA_10device_ptrIiEEEEPS6_NSA_18transform_iteratorI7is_evenIiESF_NSA_11use_defaultESK_EENS0_5tupleIJSF_NSA_16discard_iteratorISK_EEEEENSM_IJSG_SG_EEES6_PlJS6_EEE10hipError_tPvRmT3_T4_T5_T6_T7_T9_mT8_P12ihipStream_tbDpT10_ENKUlT_T0_E_clISt17integral_constantIbLb1EES1B_EEDaS16_S17_EUlS16_E_NS1_11comp_targetILNS1_3genE10ELNS1_11target_archE1200ELNS1_3gpuE4ELNS1_3repE0EEENS1_30default_config_static_selectorELNS0_4arch9wavefront6targetE1EEEvT1_
		.amdhsa_group_segment_fixed_size 0
		.amdhsa_private_segment_fixed_size 0
		.amdhsa_kernarg_size 152
		.amdhsa_user_sgpr_count 2
		.amdhsa_user_sgpr_dispatch_ptr 0
		.amdhsa_user_sgpr_queue_ptr 0
		.amdhsa_user_sgpr_kernarg_segment_ptr 1
		.amdhsa_user_sgpr_dispatch_id 0
		.amdhsa_user_sgpr_kernarg_preload_length 0
		.amdhsa_user_sgpr_kernarg_preload_offset 0
		.amdhsa_user_sgpr_private_segment_size 0
		.amdhsa_uses_dynamic_stack 0
		.amdhsa_enable_private_segment 0
		.amdhsa_system_sgpr_workgroup_id_x 1
		.amdhsa_system_sgpr_workgroup_id_y 0
		.amdhsa_system_sgpr_workgroup_id_z 0
		.amdhsa_system_sgpr_workgroup_info 0
		.amdhsa_system_vgpr_workitem_id 0
		.amdhsa_next_free_vgpr 1
		.amdhsa_next_free_sgpr 0
		.amdhsa_accum_offset 4
		.amdhsa_reserve_vcc 0
		.amdhsa_float_round_mode_32 0
		.amdhsa_float_round_mode_16_64 0
		.amdhsa_float_denorm_mode_32 3
		.amdhsa_float_denorm_mode_16_64 3
		.amdhsa_dx10_clamp 1
		.amdhsa_ieee_mode 1
		.amdhsa_fp16_overflow 0
		.amdhsa_tg_split 0
		.amdhsa_exception_fp_ieee_invalid_op 0
		.amdhsa_exception_fp_denorm_src 0
		.amdhsa_exception_fp_ieee_div_zero 0
		.amdhsa_exception_fp_ieee_overflow 0
		.amdhsa_exception_fp_ieee_underflow 0
		.amdhsa_exception_fp_ieee_inexact 0
		.amdhsa_exception_int_div_zero 0
	.end_amdhsa_kernel
	.section	.text._ZN7rocprim17ROCPRIM_400000_NS6detail17trampoline_kernelINS0_14default_configENS1_25partition_config_selectorILNS1_17partition_subalgoE1EiNS0_10empty_typeEbEEZZNS1_14partition_implILS5_1ELb0ES3_jN6thrust23THRUST_200600_302600_NS6detail15normal_iteratorINSA_10device_ptrIiEEEEPS6_NSA_18transform_iteratorI7is_evenIiESF_NSA_11use_defaultESK_EENS0_5tupleIJSF_NSA_16discard_iteratorISK_EEEEENSM_IJSG_SG_EEES6_PlJS6_EEE10hipError_tPvRmT3_T4_T5_T6_T7_T9_mT8_P12ihipStream_tbDpT10_ENKUlT_T0_E_clISt17integral_constantIbLb1EES1B_EEDaS16_S17_EUlS16_E_NS1_11comp_targetILNS1_3genE10ELNS1_11target_archE1200ELNS1_3gpuE4ELNS1_3repE0EEENS1_30default_config_static_selectorELNS0_4arch9wavefront6targetE1EEEvT1_,"axG",@progbits,_ZN7rocprim17ROCPRIM_400000_NS6detail17trampoline_kernelINS0_14default_configENS1_25partition_config_selectorILNS1_17partition_subalgoE1EiNS0_10empty_typeEbEEZZNS1_14partition_implILS5_1ELb0ES3_jN6thrust23THRUST_200600_302600_NS6detail15normal_iteratorINSA_10device_ptrIiEEEEPS6_NSA_18transform_iteratorI7is_evenIiESF_NSA_11use_defaultESK_EENS0_5tupleIJSF_NSA_16discard_iteratorISK_EEEEENSM_IJSG_SG_EEES6_PlJS6_EEE10hipError_tPvRmT3_T4_T5_T6_T7_T9_mT8_P12ihipStream_tbDpT10_ENKUlT_T0_E_clISt17integral_constantIbLb1EES1B_EEDaS16_S17_EUlS16_E_NS1_11comp_targetILNS1_3genE10ELNS1_11target_archE1200ELNS1_3gpuE4ELNS1_3repE0EEENS1_30default_config_static_selectorELNS0_4arch9wavefront6targetE1EEEvT1_,comdat
.Lfunc_end3304:
	.size	_ZN7rocprim17ROCPRIM_400000_NS6detail17trampoline_kernelINS0_14default_configENS1_25partition_config_selectorILNS1_17partition_subalgoE1EiNS0_10empty_typeEbEEZZNS1_14partition_implILS5_1ELb0ES3_jN6thrust23THRUST_200600_302600_NS6detail15normal_iteratorINSA_10device_ptrIiEEEEPS6_NSA_18transform_iteratorI7is_evenIiESF_NSA_11use_defaultESK_EENS0_5tupleIJSF_NSA_16discard_iteratorISK_EEEEENSM_IJSG_SG_EEES6_PlJS6_EEE10hipError_tPvRmT3_T4_T5_T6_T7_T9_mT8_P12ihipStream_tbDpT10_ENKUlT_T0_E_clISt17integral_constantIbLb1EES1B_EEDaS16_S17_EUlS16_E_NS1_11comp_targetILNS1_3genE10ELNS1_11target_archE1200ELNS1_3gpuE4ELNS1_3repE0EEENS1_30default_config_static_selectorELNS0_4arch9wavefront6targetE1EEEvT1_, .Lfunc_end3304-_ZN7rocprim17ROCPRIM_400000_NS6detail17trampoline_kernelINS0_14default_configENS1_25partition_config_selectorILNS1_17partition_subalgoE1EiNS0_10empty_typeEbEEZZNS1_14partition_implILS5_1ELb0ES3_jN6thrust23THRUST_200600_302600_NS6detail15normal_iteratorINSA_10device_ptrIiEEEEPS6_NSA_18transform_iteratorI7is_evenIiESF_NSA_11use_defaultESK_EENS0_5tupleIJSF_NSA_16discard_iteratorISK_EEEEENSM_IJSG_SG_EEES6_PlJS6_EEE10hipError_tPvRmT3_T4_T5_T6_T7_T9_mT8_P12ihipStream_tbDpT10_ENKUlT_T0_E_clISt17integral_constantIbLb1EES1B_EEDaS16_S17_EUlS16_E_NS1_11comp_targetILNS1_3genE10ELNS1_11target_archE1200ELNS1_3gpuE4ELNS1_3repE0EEENS1_30default_config_static_selectorELNS0_4arch9wavefront6targetE1EEEvT1_
                                        ; -- End function
	.section	.AMDGPU.csdata,"",@progbits
; Kernel info:
; codeLenInByte = 0
; NumSgprs: 6
; NumVgprs: 0
; NumAgprs: 0
; TotalNumVgprs: 0
; ScratchSize: 0
; MemoryBound: 0
; FloatMode: 240
; IeeeMode: 1
; LDSByteSize: 0 bytes/workgroup (compile time only)
; SGPRBlocks: 0
; VGPRBlocks: 0
; NumSGPRsForWavesPerEU: 6
; NumVGPRsForWavesPerEU: 1
; AccumOffset: 4
; Occupancy: 8
; WaveLimiterHint : 0
; COMPUTE_PGM_RSRC2:SCRATCH_EN: 0
; COMPUTE_PGM_RSRC2:USER_SGPR: 2
; COMPUTE_PGM_RSRC2:TRAP_HANDLER: 0
; COMPUTE_PGM_RSRC2:TGID_X_EN: 1
; COMPUTE_PGM_RSRC2:TGID_Y_EN: 0
; COMPUTE_PGM_RSRC2:TGID_Z_EN: 0
; COMPUTE_PGM_RSRC2:TIDIG_COMP_CNT: 0
; COMPUTE_PGM_RSRC3_GFX90A:ACCUM_OFFSET: 0
; COMPUTE_PGM_RSRC3_GFX90A:TG_SPLIT: 0
	.section	.text._ZN7rocprim17ROCPRIM_400000_NS6detail17trampoline_kernelINS0_14default_configENS1_25partition_config_selectorILNS1_17partition_subalgoE1EiNS0_10empty_typeEbEEZZNS1_14partition_implILS5_1ELb0ES3_jN6thrust23THRUST_200600_302600_NS6detail15normal_iteratorINSA_10device_ptrIiEEEEPS6_NSA_18transform_iteratorI7is_evenIiESF_NSA_11use_defaultESK_EENS0_5tupleIJSF_NSA_16discard_iteratorISK_EEEEENSM_IJSG_SG_EEES6_PlJS6_EEE10hipError_tPvRmT3_T4_T5_T6_T7_T9_mT8_P12ihipStream_tbDpT10_ENKUlT_T0_E_clISt17integral_constantIbLb1EES1B_EEDaS16_S17_EUlS16_E_NS1_11comp_targetILNS1_3genE9ELNS1_11target_archE1100ELNS1_3gpuE3ELNS1_3repE0EEENS1_30default_config_static_selectorELNS0_4arch9wavefront6targetE1EEEvT1_,"axG",@progbits,_ZN7rocprim17ROCPRIM_400000_NS6detail17trampoline_kernelINS0_14default_configENS1_25partition_config_selectorILNS1_17partition_subalgoE1EiNS0_10empty_typeEbEEZZNS1_14partition_implILS5_1ELb0ES3_jN6thrust23THRUST_200600_302600_NS6detail15normal_iteratorINSA_10device_ptrIiEEEEPS6_NSA_18transform_iteratorI7is_evenIiESF_NSA_11use_defaultESK_EENS0_5tupleIJSF_NSA_16discard_iteratorISK_EEEEENSM_IJSG_SG_EEES6_PlJS6_EEE10hipError_tPvRmT3_T4_T5_T6_T7_T9_mT8_P12ihipStream_tbDpT10_ENKUlT_T0_E_clISt17integral_constantIbLb1EES1B_EEDaS16_S17_EUlS16_E_NS1_11comp_targetILNS1_3genE9ELNS1_11target_archE1100ELNS1_3gpuE3ELNS1_3repE0EEENS1_30default_config_static_selectorELNS0_4arch9wavefront6targetE1EEEvT1_,comdat
	.protected	_ZN7rocprim17ROCPRIM_400000_NS6detail17trampoline_kernelINS0_14default_configENS1_25partition_config_selectorILNS1_17partition_subalgoE1EiNS0_10empty_typeEbEEZZNS1_14partition_implILS5_1ELb0ES3_jN6thrust23THRUST_200600_302600_NS6detail15normal_iteratorINSA_10device_ptrIiEEEEPS6_NSA_18transform_iteratorI7is_evenIiESF_NSA_11use_defaultESK_EENS0_5tupleIJSF_NSA_16discard_iteratorISK_EEEEENSM_IJSG_SG_EEES6_PlJS6_EEE10hipError_tPvRmT3_T4_T5_T6_T7_T9_mT8_P12ihipStream_tbDpT10_ENKUlT_T0_E_clISt17integral_constantIbLb1EES1B_EEDaS16_S17_EUlS16_E_NS1_11comp_targetILNS1_3genE9ELNS1_11target_archE1100ELNS1_3gpuE3ELNS1_3repE0EEENS1_30default_config_static_selectorELNS0_4arch9wavefront6targetE1EEEvT1_ ; -- Begin function _ZN7rocprim17ROCPRIM_400000_NS6detail17trampoline_kernelINS0_14default_configENS1_25partition_config_selectorILNS1_17partition_subalgoE1EiNS0_10empty_typeEbEEZZNS1_14partition_implILS5_1ELb0ES3_jN6thrust23THRUST_200600_302600_NS6detail15normal_iteratorINSA_10device_ptrIiEEEEPS6_NSA_18transform_iteratorI7is_evenIiESF_NSA_11use_defaultESK_EENS0_5tupleIJSF_NSA_16discard_iteratorISK_EEEEENSM_IJSG_SG_EEES6_PlJS6_EEE10hipError_tPvRmT3_T4_T5_T6_T7_T9_mT8_P12ihipStream_tbDpT10_ENKUlT_T0_E_clISt17integral_constantIbLb1EES1B_EEDaS16_S17_EUlS16_E_NS1_11comp_targetILNS1_3genE9ELNS1_11target_archE1100ELNS1_3gpuE3ELNS1_3repE0EEENS1_30default_config_static_selectorELNS0_4arch9wavefront6targetE1EEEvT1_
	.globl	_ZN7rocprim17ROCPRIM_400000_NS6detail17trampoline_kernelINS0_14default_configENS1_25partition_config_selectorILNS1_17partition_subalgoE1EiNS0_10empty_typeEbEEZZNS1_14partition_implILS5_1ELb0ES3_jN6thrust23THRUST_200600_302600_NS6detail15normal_iteratorINSA_10device_ptrIiEEEEPS6_NSA_18transform_iteratorI7is_evenIiESF_NSA_11use_defaultESK_EENS0_5tupleIJSF_NSA_16discard_iteratorISK_EEEEENSM_IJSG_SG_EEES6_PlJS6_EEE10hipError_tPvRmT3_T4_T5_T6_T7_T9_mT8_P12ihipStream_tbDpT10_ENKUlT_T0_E_clISt17integral_constantIbLb1EES1B_EEDaS16_S17_EUlS16_E_NS1_11comp_targetILNS1_3genE9ELNS1_11target_archE1100ELNS1_3gpuE3ELNS1_3repE0EEENS1_30default_config_static_selectorELNS0_4arch9wavefront6targetE1EEEvT1_
	.p2align	8
	.type	_ZN7rocprim17ROCPRIM_400000_NS6detail17trampoline_kernelINS0_14default_configENS1_25partition_config_selectorILNS1_17partition_subalgoE1EiNS0_10empty_typeEbEEZZNS1_14partition_implILS5_1ELb0ES3_jN6thrust23THRUST_200600_302600_NS6detail15normal_iteratorINSA_10device_ptrIiEEEEPS6_NSA_18transform_iteratorI7is_evenIiESF_NSA_11use_defaultESK_EENS0_5tupleIJSF_NSA_16discard_iteratorISK_EEEEENSM_IJSG_SG_EEES6_PlJS6_EEE10hipError_tPvRmT3_T4_T5_T6_T7_T9_mT8_P12ihipStream_tbDpT10_ENKUlT_T0_E_clISt17integral_constantIbLb1EES1B_EEDaS16_S17_EUlS16_E_NS1_11comp_targetILNS1_3genE9ELNS1_11target_archE1100ELNS1_3gpuE3ELNS1_3repE0EEENS1_30default_config_static_selectorELNS0_4arch9wavefront6targetE1EEEvT1_,@function
_ZN7rocprim17ROCPRIM_400000_NS6detail17trampoline_kernelINS0_14default_configENS1_25partition_config_selectorILNS1_17partition_subalgoE1EiNS0_10empty_typeEbEEZZNS1_14partition_implILS5_1ELb0ES3_jN6thrust23THRUST_200600_302600_NS6detail15normal_iteratorINSA_10device_ptrIiEEEEPS6_NSA_18transform_iteratorI7is_evenIiESF_NSA_11use_defaultESK_EENS0_5tupleIJSF_NSA_16discard_iteratorISK_EEEEENSM_IJSG_SG_EEES6_PlJS6_EEE10hipError_tPvRmT3_T4_T5_T6_T7_T9_mT8_P12ihipStream_tbDpT10_ENKUlT_T0_E_clISt17integral_constantIbLb1EES1B_EEDaS16_S17_EUlS16_E_NS1_11comp_targetILNS1_3genE9ELNS1_11target_archE1100ELNS1_3gpuE3ELNS1_3repE0EEENS1_30default_config_static_selectorELNS0_4arch9wavefront6targetE1EEEvT1_: ; @_ZN7rocprim17ROCPRIM_400000_NS6detail17trampoline_kernelINS0_14default_configENS1_25partition_config_selectorILNS1_17partition_subalgoE1EiNS0_10empty_typeEbEEZZNS1_14partition_implILS5_1ELb0ES3_jN6thrust23THRUST_200600_302600_NS6detail15normal_iteratorINSA_10device_ptrIiEEEEPS6_NSA_18transform_iteratorI7is_evenIiESF_NSA_11use_defaultESK_EENS0_5tupleIJSF_NSA_16discard_iteratorISK_EEEEENSM_IJSG_SG_EEES6_PlJS6_EEE10hipError_tPvRmT3_T4_T5_T6_T7_T9_mT8_P12ihipStream_tbDpT10_ENKUlT_T0_E_clISt17integral_constantIbLb1EES1B_EEDaS16_S17_EUlS16_E_NS1_11comp_targetILNS1_3genE9ELNS1_11target_archE1100ELNS1_3gpuE3ELNS1_3repE0EEENS1_30default_config_static_selectorELNS0_4arch9wavefront6targetE1EEEvT1_
; %bb.0:
	.section	.rodata,"a",@progbits
	.p2align	6, 0x0
	.amdhsa_kernel _ZN7rocprim17ROCPRIM_400000_NS6detail17trampoline_kernelINS0_14default_configENS1_25partition_config_selectorILNS1_17partition_subalgoE1EiNS0_10empty_typeEbEEZZNS1_14partition_implILS5_1ELb0ES3_jN6thrust23THRUST_200600_302600_NS6detail15normal_iteratorINSA_10device_ptrIiEEEEPS6_NSA_18transform_iteratorI7is_evenIiESF_NSA_11use_defaultESK_EENS0_5tupleIJSF_NSA_16discard_iteratorISK_EEEEENSM_IJSG_SG_EEES6_PlJS6_EEE10hipError_tPvRmT3_T4_T5_T6_T7_T9_mT8_P12ihipStream_tbDpT10_ENKUlT_T0_E_clISt17integral_constantIbLb1EES1B_EEDaS16_S17_EUlS16_E_NS1_11comp_targetILNS1_3genE9ELNS1_11target_archE1100ELNS1_3gpuE3ELNS1_3repE0EEENS1_30default_config_static_selectorELNS0_4arch9wavefront6targetE1EEEvT1_
		.amdhsa_group_segment_fixed_size 0
		.amdhsa_private_segment_fixed_size 0
		.amdhsa_kernarg_size 152
		.amdhsa_user_sgpr_count 2
		.amdhsa_user_sgpr_dispatch_ptr 0
		.amdhsa_user_sgpr_queue_ptr 0
		.amdhsa_user_sgpr_kernarg_segment_ptr 1
		.amdhsa_user_sgpr_dispatch_id 0
		.amdhsa_user_sgpr_kernarg_preload_length 0
		.amdhsa_user_sgpr_kernarg_preload_offset 0
		.amdhsa_user_sgpr_private_segment_size 0
		.amdhsa_uses_dynamic_stack 0
		.amdhsa_enable_private_segment 0
		.amdhsa_system_sgpr_workgroup_id_x 1
		.amdhsa_system_sgpr_workgroup_id_y 0
		.amdhsa_system_sgpr_workgroup_id_z 0
		.amdhsa_system_sgpr_workgroup_info 0
		.amdhsa_system_vgpr_workitem_id 0
		.amdhsa_next_free_vgpr 1
		.amdhsa_next_free_sgpr 0
		.amdhsa_accum_offset 4
		.amdhsa_reserve_vcc 0
		.amdhsa_float_round_mode_32 0
		.amdhsa_float_round_mode_16_64 0
		.amdhsa_float_denorm_mode_32 3
		.amdhsa_float_denorm_mode_16_64 3
		.amdhsa_dx10_clamp 1
		.amdhsa_ieee_mode 1
		.amdhsa_fp16_overflow 0
		.amdhsa_tg_split 0
		.amdhsa_exception_fp_ieee_invalid_op 0
		.amdhsa_exception_fp_denorm_src 0
		.amdhsa_exception_fp_ieee_div_zero 0
		.amdhsa_exception_fp_ieee_overflow 0
		.amdhsa_exception_fp_ieee_underflow 0
		.amdhsa_exception_fp_ieee_inexact 0
		.amdhsa_exception_int_div_zero 0
	.end_amdhsa_kernel
	.section	.text._ZN7rocprim17ROCPRIM_400000_NS6detail17trampoline_kernelINS0_14default_configENS1_25partition_config_selectorILNS1_17partition_subalgoE1EiNS0_10empty_typeEbEEZZNS1_14partition_implILS5_1ELb0ES3_jN6thrust23THRUST_200600_302600_NS6detail15normal_iteratorINSA_10device_ptrIiEEEEPS6_NSA_18transform_iteratorI7is_evenIiESF_NSA_11use_defaultESK_EENS0_5tupleIJSF_NSA_16discard_iteratorISK_EEEEENSM_IJSG_SG_EEES6_PlJS6_EEE10hipError_tPvRmT3_T4_T5_T6_T7_T9_mT8_P12ihipStream_tbDpT10_ENKUlT_T0_E_clISt17integral_constantIbLb1EES1B_EEDaS16_S17_EUlS16_E_NS1_11comp_targetILNS1_3genE9ELNS1_11target_archE1100ELNS1_3gpuE3ELNS1_3repE0EEENS1_30default_config_static_selectorELNS0_4arch9wavefront6targetE1EEEvT1_,"axG",@progbits,_ZN7rocprim17ROCPRIM_400000_NS6detail17trampoline_kernelINS0_14default_configENS1_25partition_config_selectorILNS1_17partition_subalgoE1EiNS0_10empty_typeEbEEZZNS1_14partition_implILS5_1ELb0ES3_jN6thrust23THRUST_200600_302600_NS6detail15normal_iteratorINSA_10device_ptrIiEEEEPS6_NSA_18transform_iteratorI7is_evenIiESF_NSA_11use_defaultESK_EENS0_5tupleIJSF_NSA_16discard_iteratorISK_EEEEENSM_IJSG_SG_EEES6_PlJS6_EEE10hipError_tPvRmT3_T4_T5_T6_T7_T9_mT8_P12ihipStream_tbDpT10_ENKUlT_T0_E_clISt17integral_constantIbLb1EES1B_EEDaS16_S17_EUlS16_E_NS1_11comp_targetILNS1_3genE9ELNS1_11target_archE1100ELNS1_3gpuE3ELNS1_3repE0EEENS1_30default_config_static_selectorELNS0_4arch9wavefront6targetE1EEEvT1_,comdat
.Lfunc_end3305:
	.size	_ZN7rocprim17ROCPRIM_400000_NS6detail17trampoline_kernelINS0_14default_configENS1_25partition_config_selectorILNS1_17partition_subalgoE1EiNS0_10empty_typeEbEEZZNS1_14partition_implILS5_1ELb0ES3_jN6thrust23THRUST_200600_302600_NS6detail15normal_iteratorINSA_10device_ptrIiEEEEPS6_NSA_18transform_iteratorI7is_evenIiESF_NSA_11use_defaultESK_EENS0_5tupleIJSF_NSA_16discard_iteratorISK_EEEEENSM_IJSG_SG_EEES6_PlJS6_EEE10hipError_tPvRmT3_T4_T5_T6_T7_T9_mT8_P12ihipStream_tbDpT10_ENKUlT_T0_E_clISt17integral_constantIbLb1EES1B_EEDaS16_S17_EUlS16_E_NS1_11comp_targetILNS1_3genE9ELNS1_11target_archE1100ELNS1_3gpuE3ELNS1_3repE0EEENS1_30default_config_static_selectorELNS0_4arch9wavefront6targetE1EEEvT1_, .Lfunc_end3305-_ZN7rocprim17ROCPRIM_400000_NS6detail17trampoline_kernelINS0_14default_configENS1_25partition_config_selectorILNS1_17partition_subalgoE1EiNS0_10empty_typeEbEEZZNS1_14partition_implILS5_1ELb0ES3_jN6thrust23THRUST_200600_302600_NS6detail15normal_iteratorINSA_10device_ptrIiEEEEPS6_NSA_18transform_iteratorI7is_evenIiESF_NSA_11use_defaultESK_EENS0_5tupleIJSF_NSA_16discard_iteratorISK_EEEEENSM_IJSG_SG_EEES6_PlJS6_EEE10hipError_tPvRmT3_T4_T5_T6_T7_T9_mT8_P12ihipStream_tbDpT10_ENKUlT_T0_E_clISt17integral_constantIbLb1EES1B_EEDaS16_S17_EUlS16_E_NS1_11comp_targetILNS1_3genE9ELNS1_11target_archE1100ELNS1_3gpuE3ELNS1_3repE0EEENS1_30default_config_static_selectorELNS0_4arch9wavefront6targetE1EEEvT1_
                                        ; -- End function
	.section	.AMDGPU.csdata,"",@progbits
; Kernel info:
; codeLenInByte = 0
; NumSgprs: 6
; NumVgprs: 0
; NumAgprs: 0
; TotalNumVgprs: 0
; ScratchSize: 0
; MemoryBound: 0
; FloatMode: 240
; IeeeMode: 1
; LDSByteSize: 0 bytes/workgroup (compile time only)
; SGPRBlocks: 0
; VGPRBlocks: 0
; NumSGPRsForWavesPerEU: 6
; NumVGPRsForWavesPerEU: 1
; AccumOffset: 4
; Occupancy: 8
; WaveLimiterHint : 0
; COMPUTE_PGM_RSRC2:SCRATCH_EN: 0
; COMPUTE_PGM_RSRC2:USER_SGPR: 2
; COMPUTE_PGM_RSRC2:TRAP_HANDLER: 0
; COMPUTE_PGM_RSRC2:TGID_X_EN: 1
; COMPUTE_PGM_RSRC2:TGID_Y_EN: 0
; COMPUTE_PGM_RSRC2:TGID_Z_EN: 0
; COMPUTE_PGM_RSRC2:TIDIG_COMP_CNT: 0
; COMPUTE_PGM_RSRC3_GFX90A:ACCUM_OFFSET: 0
; COMPUTE_PGM_RSRC3_GFX90A:TG_SPLIT: 0
	.section	.text._ZN7rocprim17ROCPRIM_400000_NS6detail17trampoline_kernelINS0_14default_configENS1_25partition_config_selectorILNS1_17partition_subalgoE1EiNS0_10empty_typeEbEEZZNS1_14partition_implILS5_1ELb0ES3_jN6thrust23THRUST_200600_302600_NS6detail15normal_iteratorINSA_10device_ptrIiEEEEPS6_NSA_18transform_iteratorI7is_evenIiESF_NSA_11use_defaultESK_EENS0_5tupleIJSF_NSA_16discard_iteratorISK_EEEEENSM_IJSG_SG_EEES6_PlJS6_EEE10hipError_tPvRmT3_T4_T5_T6_T7_T9_mT8_P12ihipStream_tbDpT10_ENKUlT_T0_E_clISt17integral_constantIbLb1EES1B_EEDaS16_S17_EUlS16_E_NS1_11comp_targetILNS1_3genE8ELNS1_11target_archE1030ELNS1_3gpuE2ELNS1_3repE0EEENS1_30default_config_static_selectorELNS0_4arch9wavefront6targetE1EEEvT1_,"axG",@progbits,_ZN7rocprim17ROCPRIM_400000_NS6detail17trampoline_kernelINS0_14default_configENS1_25partition_config_selectorILNS1_17partition_subalgoE1EiNS0_10empty_typeEbEEZZNS1_14partition_implILS5_1ELb0ES3_jN6thrust23THRUST_200600_302600_NS6detail15normal_iteratorINSA_10device_ptrIiEEEEPS6_NSA_18transform_iteratorI7is_evenIiESF_NSA_11use_defaultESK_EENS0_5tupleIJSF_NSA_16discard_iteratorISK_EEEEENSM_IJSG_SG_EEES6_PlJS6_EEE10hipError_tPvRmT3_T4_T5_T6_T7_T9_mT8_P12ihipStream_tbDpT10_ENKUlT_T0_E_clISt17integral_constantIbLb1EES1B_EEDaS16_S17_EUlS16_E_NS1_11comp_targetILNS1_3genE8ELNS1_11target_archE1030ELNS1_3gpuE2ELNS1_3repE0EEENS1_30default_config_static_selectorELNS0_4arch9wavefront6targetE1EEEvT1_,comdat
	.protected	_ZN7rocprim17ROCPRIM_400000_NS6detail17trampoline_kernelINS0_14default_configENS1_25partition_config_selectorILNS1_17partition_subalgoE1EiNS0_10empty_typeEbEEZZNS1_14partition_implILS5_1ELb0ES3_jN6thrust23THRUST_200600_302600_NS6detail15normal_iteratorINSA_10device_ptrIiEEEEPS6_NSA_18transform_iteratorI7is_evenIiESF_NSA_11use_defaultESK_EENS0_5tupleIJSF_NSA_16discard_iteratorISK_EEEEENSM_IJSG_SG_EEES6_PlJS6_EEE10hipError_tPvRmT3_T4_T5_T6_T7_T9_mT8_P12ihipStream_tbDpT10_ENKUlT_T0_E_clISt17integral_constantIbLb1EES1B_EEDaS16_S17_EUlS16_E_NS1_11comp_targetILNS1_3genE8ELNS1_11target_archE1030ELNS1_3gpuE2ELNS1_3repE0EEENS1_30default_config_static_selectorELNS0_4arch9wavefront6targetE1EEEvT1_ ; -- Begin function _ZN7rocprim17ROCPRIM_400000_NS6detail17trampoline_kernelINS0_14default_configENS1_25partition_config_selectorILNS1_17partition_subalgoE1EiNS0_10empty_typeEbEEZZNS1_14partition_implILS5_1ELb0ES3_jN6thrust23THRUST_200600_302600_NS6detail15normal_iteratorINSA_10device_ptrIiEEEEPS6_NSA_18transform_iteratorI7is_evenIiESF_NSA_11use_defaultESK_EENS0_5tupleIJSF_NSA_16discard_iteratorISK_EEEEENSM_IJSG_SG_EEES6_PlJS6_EEE10hipError_tPvRmT3_T4_T5_T6_T7_T9_mT8_P12ihipStream_tbDpT10_ENKUlT_T0_E_clISt17integral_constantIbLb1EES1B_EEDaS16_S17_EUlS16_E_NS1_11comp_targetILNS1_3genE8ELNS1_11target_archE1030ELNS1_3gpuE2ELNS1_3repE0EEENS1_30default_config_static_selectorELNS0_4arch9wavefront6targetE1EEEvT1_
	.globl	_ZN7rocprim17ROCPRIM_400000_NS6detail17trampoline_kernelINS0_14default_configENS1_25partition_config_selectorILNS1_17partition_subalgoE1EiNS0_10empty_typeEbEEZZNS1_14partition_implILS5_1ELb0ES3_jN6thrust23THRUST_200600_302600_NS6detail15normal_iteratorINSA_10device_ptrIiEEEEPS6_NSA_18transform_iteratorI7is_evenIiESF_NSA_11use_defaultESK_EENS0_5tupleIJSF_NSA_16discard_iteratorISK_EEEEENSM_IJSG_SG_EEES6_PlJS6_EEE10hipError_tPvRmT3_T4_T5_T6_T7_T9_mT8_P12ihipStream_tbDpT10_ENKUlT_T0_E_clISt17integral_constantIbLb1EES1B_EEDaS16_S17_EUlS16_E_NS1_11comp_targetILNS1_3genE8ELNS1_11target_archE1030ELNS1_3gpuE2ELNS1_3repE0EEENS1_30default_config_static_selectorELNS0_4arch9wavefront6targetE1EEEvT1_
	.p2align	8
	.type	_ZN7rocprim17ROCPRIM_400000_NS6detail17trampoline_kernelINS0_14default_configENS1_25partition_config_selectorILNS1_17partition_subalgoE1EiNS0_10empty_typeEbEEZZNS1_14partition_implILS5_1ELb0ES3_jN6thrust23THRUST_200600_302600_NS6detail15normal_iteratorINSA_10device_ptrIiEEEEPS6_NSA_18transform_iteratorI7is_evenIiESF_NSA_11use_defaultESK_EENS0_5tupleIJSF_NSA_16discard_iteratorISK_EEEEENSM_IJSG_SG_EEES6_PlJS6_EEE10hipError_tPvRmT3_T4_T5_T6_T7_T9_mT8_P12ihipStream_tbDpT10_ENKUlT_T0_E_clISt17integral_constantIbLb1EES1B_EEDaS16_S17_EUlS16_E_NS1_11comp_targetILNS1_3genE8ELNS1_11target_archE1030ELNS1_3gpuE2ELNS1_3repE0EEENS1_30default_config_static_selectorELNS0_4arch9wavefront6targetE1EEEvT1_,@function
_ZN7rocprim17ROCPRIM_400000_NS6detail17trampoline_kernelINS0_14default_configENS1_25partition_config_selectorILNS1_17partition_subalgoE1EiNS0_10empty_typeEbEEZZNS1_14partition_implILS5_1ELb0ES3_jN6thrust23THRUST_200600_302600_NS6detail15normal_iteratorINSA_10device_ptrIiEEEEPS6_NSA_18transform_iteratorI7is_evenIiESF_NSA_11use_defaultESK_EENS0_5tupleIJSF_NSA_16discard_iteratorISK_EEEEENSM_IJSG_SG_EEES6_PlJS6_EEE10hipError_tPvRmT3_T4_T5_T6_T7_T9_mT8_P12ihipStream_tbDpT10_ENKUlT_T0_E_clISt17integral_constantIbLb1EES1B_EEDaS16_S17_EUlS16_E_NS1_11comp_targetILNS1_3genE8ELNS1_11target_archE1030ELNS1_3gpuE2ELNS1_3repE0EEENS1_30default_config_static_selectorELNS0_4arch9wavefront6targetE1EEEvT1_: ; @_ZN7rocprim17ROCPRIM_400000_NS6detail17trampoline_kernelINS0_14default_configENS1_25partition_config_selectorILNS1_17partition_subalgoE1EiNS0_10empty_typeEbEEZZNS1_14partition_implILS5_1ELb0ES3_jN6thrust23THRUST_200600_302600_NS6detail15normal_iteratorINSA_10device_ptrIiEEEEPS6_NSA_18transform_iteratorI7is_evenIiESF_NSA_11use_defaultESK_EENS0_5tupleIJSF_NSA_16discard_iteratorISK_EEEEENSM_IJSG_SG_EEES6_PlJS6_EEE10hipError_tPvRmT3_T4_T5_T6_T7_T9_mT8_P12ihipStream_tbDpT10_ENKUlT_T0_E_clISt17integral_constantIbLb1EES1B_EEDaS16_S17_EUlS16_E_NS1_11comp_targetILNS1_3genE8ELNS1_11target_archE1030ELNS1_3gpuE2ELNS1_3repE0EEENS1_30default_config_static_selectorELNS0_4arch9wavefront6targetE1EEEvT1_
; %bb.0:
	.section	.rodata,"a",@progbits
	.p2align	6, 0x0
	.amdhsa_kernel _ZN7rocprim17ROCPRIM_400000_NS6detail17trampoline_kernelINS0_14default_configENS1_25partition_config_selectorILNS1_17partition_subalgoE1EiNS0_10empty_typeEbEEZZNS1_14partition_implILS5_1ELb0ES3_jN6thrust23THRUST_200600_302600_NS6detail15normal_iteratorINSA_10device_ptrIiEEEEPS6_NSA_18transform_iteratorI7is_evenIiESF_NSA_11use_defaultESK_EENS0_5tupleIJSF_NSA_16discard_iteratorISK_EEEEENSM_IJSG_SG_EEES6_PlJS6_EEE10hipError_tPvRmT3_T4_T5_T6_T7_T9_mT8_P12ihipStream_tbDpT10_ENKUlT_T0_E_clISt17integral_constantIbLb1EES1B_EEDaS16_S17_EUlS16_E_NS1_11comp_targetILNS1_3genE8ELNS1_11target_archE1030ELNS1_3gpuE2ELNS1_3repE0EEENS1_30default_config_static_selectorELNS0_4arch9wavefront6targetE1EEEvT1_
		.amdhsa_group_segment_fixed_size 0
		.amdhsa_private_segment_fixed_size 0
		.amdhsa_kernarg_size 152
		.amdhsa_user_sgpr_count 2
		.amdhsa_user_sgpr_dispatch_ptr 0
		.amdhsa_user_sgpr_queue_ptr 0
		.amdhsa_user_sgpr_kernarg_segment_ptr 1
		.amdhsa_user_sgpr_dispatch_id 0
		.amdhsa_user_sgpr_kernarg_preload_length 0
		.amdhsa_user_sgpr_kernarg_preload_offset 0
		.amdhsa_user_sgpr_private_segment_size 0
		.amdhsa_uses_dynamic_stack 0
		.amdhsa_enable_private_segment 0
		.amdhsa_system_sgpr_workgroup_id_x 1
		.amdhsa_system_sgpr_workgroup_id_y 0
		.amdhsa_system_sgpr_workgroup_id_z 0
		.amdhsa_system_sgpr_workgroup_info 0
		.amdhsa_system_vgpr_workitem_id 0
		.amdhsa_next_free_vgpr 1
		.amdhsa_next_free_sgpr 0
		.amdhsa_accum_offset 4
		.amdhsa_reserve_vcc 0
		.amdhsa_float_round_mode_32 0
		.amdhsa_float_round_mode_16_64 0
		.amdhsa_float_denorm_mode_32 3
		.amdhsa_float_denorm_mode_16_64 3
		.amdhsa_dx10_clamp 1
		.amdhsa_ieee_mode 1
		.amdhsa_fp16_overflow 0
		.amdhsa_tg_split 0
		.amdhsa_exception_fp_ieee_invalid_op 0
		.amdhsa_exception_fp_denorm_src 0
		.amdhsa_exception_fp_ieee_div_zero 0
		.amdhsa_exception_fp_ieee_overflow 0
		.amdhsa_exception_fp_ieee_underflow 0
		.amdhsa_exception_fp_ieee_inexact 0
		.amdhsa_exception_int_div_zero 0
	.end_amdhsa_kernel
	.section	.text._ZN7rocprim17ROCPRIM_400000_NS6detail17trampoline_kernelINS0_14default_configENS1_25partition_config_selectorILNS1_17partition_subalgoE1EiNS0_10empty_typeEbEEZZNS1_14partition_implILS5_1ELb0ES3_jN6thrust23THRUST_200600_302600_NS6detail15normal_iteratorINSA_10device_ptrIiEEEEPS6_NSA_18transform_iteratorI7is_evenIiESF_NSA_11use_defaultESK_EENS0_5tupleIJSF_NSA_16discard_iteratorISK_EEEEENSM_IJSG_SG_EEES6_PlJS6_EEE10hipError_tPvRmT3_T4_T5_T6_T7_T9_mT8_P12ihipStream_tbDpT10_ENKUlT_T0_E_clISt17integral_constantIbLb1EES1B_EEDaS16_S17_EUlS16_E_NS1_11comp_targetILNS1_3genE8ELNS1_11target_archE1030ELNS1_3gpuE2ELNS1_3repE0EEENS1_30default_config_static_selectorELNS0_4arch9wavefront6targetE1EEEvT1_,"axG",@progbits,_ZN7rocprim17ROCPRIM_400000_NS6detail17trampoline_kernelINS0_14default_configENS1_25partition_config_selectorILNS1_17partition_subalgoE1EiNS0_10empty_typeEbEEZZNS1_14partition_implILS5_1ELb0ES3_jN6thrust23THRUST_200600_302600_NS6detail15normal_iteratorINSA_10device_ptrIiEEEEPS6_NSA_18transform_iteratorI7is_evenIiESF_NSA_11use_defaultESK_EENS0_5tupleIJSF_NSA_16discard_iteratorISK_EEEEENSM_IJSG_SG_EEES6_PlJS6_EEE10hipError_tPvRmT3_T4_T5_T6_T7_T9_mT8_P12ihipStream_tbDpT10_ENKUlT_T0_E_clISt17integral_constantIbLb1EES1B_EEDaS16_S17_EUlS16_E_NS1_11comp_targetILNS1_3genE8ELNS1_11target_archE1030ELNS1_3gpuE2ELNS1_3repE0EEENS1_30default_config_static_selectorELNS0_4arch9wavefront6targetE1EEEvT1_,comdat
.Lfunc_end3306:
	.size	_ZN7rocprim17ROCPRIM_400000_NS6detail17trampoline_kernelINS0_14default_configENS1_25partition_config_selectorILNS1_17partition_subalgoE1EiNS0_10empty_typeEbEEZZNS1_14partition_implILS5_1ELb0ES3_jN6thrust23THRUST_200600_302600_NS6detail15normal_iteratorINSA_10device_ptrIiEEEEPS6_NSA_18transform_iteratorI7is_evenIiESF_NSA_11use_defaultESK_EENS0_5tupleIJSF_NSA_16discard_iteratorISK_EEEEENSM_IJSG_SG_EEES6_PlJS6_EEE10hipError_tPvRmT3_T4_T5_T6_T7_T9_mT8_P12ihipStream_tbDpT10_ENKUlT_T0_E_clISt17integral_constantIbLb1EES1B_EEDaS16_S17_EUlS16_E_NS1_11comp_targetILNS1_3genE8ELNS1_11target_archE1030ELNS1_3gpuE2ELNS1_3repE0EEENS1_30default_config_static_selectorELNS0_4arch9wavefront6targetE1EEEvT1_, .Lfunc_end3306-_ZN7rocprim17ROCPRIM_400000_NS6detail17trampoline_kernelINS0_14default_configENS1_25partition_config_selectorILNS1_17partition_subalgoE1EiNS0_10empty_typeEbEEZZNS1_14partition_implILS5_1ELb0ES3_jN6thrust23THRUST_200600_302600_NS6detail15normal_iteratorINSA_10device_ptrIiEEEEPS6_NSA_18transform_iteratorI7is_evenIiESF_NSA_11use_defaultESK_EENS0_5tupleIJSF_NSA_16discard_iteratorISK_EEEEENSM_IJSG_SG_EEES6_PlJS6_EEE10hipError_tPvRmT3_T4_T5_T6_T7_T9_mT8_P12ihipStream_tbDpT10_ENKUlT_T0_E_clISt17integral_constantIbLb1EES1B_EEDaS16_S17_EUlS16_E_NS1_11comp_targetILNS1_3genE8ELNS1_11target_archE1030ELNS1_3gpuE2ELNS1_3repE0EEENS1_30default_config_static_selectorELNS0_4arch9wavefront6targetE1EEEvT1_
                                        ; -- End function
	.section	.AMDGPU.csdata,"",@progbits
; Kernel info:
; codeLenInByte = 0
; NumSgprs: 6
; NumVgprs: 0
; NumAgprs: 0
; TotalNumVgprs: 0
; ScratchSize: 0
; MemoryBound: 0
; FloatMode: 240
; IeeeMode: 1
; LDSByteSize: 0 bytes/workgroup (compile time only)
; SGPRBlocks: 0
; VGPRBlocks: 0
; NumSGPRsForWavesPerEU: 6
; NumVGPRsForWavesPerEU: 1
; AccumOffset: 4
; Occupancy: 8
; WaveLimiterHint : 0
; COMPUTE_PGM_RSRC2:SCRATCH_EN: 0
; COMPUTE_PGM_RSRC2:USER_SGPR: 2
; COMPUTE_PGM_RSRC2:TRAP_HANDLER: 0
; COMPUTE_PGM_RSRC2:TGID_X_EN: 1
; COMPUTE_PGM_RSRC2:TGID_Y_EN: 0
; COMPUTE_PGM_RSRC2:TGID_Z_EN: 0
; COMPUTE_PGM_RSRC2:TIDIG_COMP_CNT: 0
; COMPUTE_PGM_RSRC3_GFX90A:ACCUM_OFFSET: 0
; COMPUTE_PGM_RSRC3_GFX90A:TG_SPLIT: 0
	.section	.text._ZN7rocprim17ROCPRIM_400000_NS6detail17trampoline_kernelINS0_14default_configENS1_25partition_config_selectorILNS1_17partition_subalgoE1EiNS0_10empty_typeEbEEZZNS1_14partition_implILS5_1ELb0ES3_jN6thrust23THRUST_200600_302600_NS6detail15normal_iteratorINSA_10device_ptrIiEEEEPS6_NSA_18transform_iteratorI7is_evenIiESF_NSA_11use_defaultESK_EENS0_5tupleIJSF_NSA_16discard_iteratorISK_EEEEENSM_IJSG_SG_EEES6_PlJS6_EEE10hipError_tPvRmT3_T4_T5_T6_T7_T9_mT8_P12ihipStream_tbDpT10_ENKUlT_T0_E_clISt17integral_constantIbLb1EES1A_IbLb0EEEEDaS16_S17_EUlS16_E_NS1_11comp_targetILNS1_3genE0ELNS1_11target_archE4294967295ELNS1_3gpuE0ELNS1_3repE0EEENS1_30default_config_static_selectorELNS0_4arch9wavefront6targetE1EEEvT1_,"axG",@progbits,_ZN7rocprim17ROCPRIM_400000_NS6detail17trampoline_kernelINS0_14default_configENS1_25partition_config_selectorILNS1_17partition_subalgoE1EiNS0_10empty_typeEbEEZZNS1_14partition_implILS5_1ELb0ES3_jN6thrust23THRUST_200600_302600_NS6detail15normal_iteratorINSA_10device_ptrIiEEEEPS6_NSA_18transform_iteratorI7is_evenIiESF_NSA_11use_defaultESK_EENS0_5tupleIJSF_NSA_16discard_iteratorISK_EEEEENSM_IJSG_SG_EEES6_PlJS6_EEE10hipError_tPvRmT3_T4_T5_T6_T7_T9_mT8_P12ihipStream_tbDpT10_ENKUlT_T0_E_clISt17integral_constantIbLb1EES1A_IbLb0EEEEDaS16_S17_EUlS16_E_NS1_11comp_targetILNS1_3genE0ELNS1_11target_archE4294967295ELNS1_3gpuE0ELNS1_3repE0EEENS1_30default_config_static_selectorELNS0_4arch9wavefront6targetE1EEEvT1_,comdat
	.protected	_ZN7rocprim17ROCPRIM_400000_NS6detail17trampoline_kernelINS0_14default_configENS1_25partition_config_selectorILNS1_17partition_subalgoE1EiNS0_10empty_typeEbEEZZNS1_14partition_implILS5_1ELb0ES3_jN6thrust23THRUST_200600_302600_NS6detail15normal_iteratorINSA_10device_ptrIiEEEEPS6_NSA_18transform_iteratorI7is_evenIiESF_NSA_11use_defaultESK_EENS0_5tupleIJSF_NSA_16discard_iteratorISK_EEEEENSM_IJSG_SG_EEES6_PlJS6_EEE10hipError_tPvRmT3_T4_T5_T6_T7_T9_mT8_P12ihipStream_tbDpT10_ENKUlT_T0_E_clISt17integral_constantIbLb1EES1A_IbLb0EEEEDaS16_S17_EUlS16_E_NS1_11comp_targetILNS1_3genE0ELNS1_11target_archE4294967295ELNS1_3gpuE0ELNS1_3repE0EEENS1_30default_config_static_selectorELNS0_4arch9wavefront6targetE1EEEvT1_ ; -- Begin function _ZN7rocprim17ROCPRIM_400000_NS6detail17trampoline_kernelINS0_14default_configENS1_25partition_config_selectorILNS1_17partition_subalgoE1EiNS0_10empty_typeEbEEZZNS1_14partition_implILS5_1ELb0ES3_jN6thrust23THRUST_200600_302600_NS6detail15normal_iteratorINSA_10device_ptrIiEEEEPS6_NSA_18transform_iteratorI7is_evenIiESF_NSA_11use_defaultESK_EENS0_5tupleIJSF_NSA_16discard_iteratorISK_EEEEENSM_IJSG_SG_EEES6_PlJS6_EEE10hipError_tPvRmT3_T4_T5_T6_T7_T9_mT8_P12ihipStream_tbDpT10_ENKUlT_T0_E_clISt17integral_constantIbLb1EES1A_IbLb0EEEEDaS16_S17_EUlS16_E_NS1_11comp_targetILNS1_3genE0ELNS1_11target_archE4294967295ELNS1_3gpuE0ELNS1_3repE0EEENS1_30default_config_static_selectorELNS0_4arch9wavefront6targetE1EEEvT1_
	.globl	_ZN7rocprim17ROCPRIM_400000_NS6detail17trampoline_kernelINS0_14default_configENS1_25partition_config_selectorILNS1_17partition_subalgoE1EiNS0_10empty_typeEbEEZZNS1_14partition_implILS5_1ELb0ES3_jN6thrust23THRUST_200600_302600_NS6detail15normal_iteratorINSA_10device_ptrIiEEEEPS6_NSA_18transform_iteratorI7is_evenIiESF_NSA_11use_defaultESK_EENS0_5tupleIJSF_NSA_16discard_iteratorISK_EEEEENSM_IJSG_SG_EEES6_PlJS6_EEE10hipError_tPvRmT3_T4_T5_T6_T7_T9_mT8_P12ihipStream_tbDpT10_ENKUlT_T0_E_clISt17integral_constantIbLb1EES1A_IbLb0EEEEDaS16_S17_EUlS16_E_NS1_11comp_targetILNS1_3genE0ELNS1_11target_archE4294967295ELNS1_3gpuE0ELNS1_3repE0EEENS1_30default_config_static_selectorELNS0_4arch9wavefront6targetE1EEEvT1_
	.p2align	8
	.type	_ZN7rocprim17ROCPRIM_400000_NS6detail17trampoline_kernelINS0_14default_configENS1_25partition_config_selectorILNS1_17partition_subalgoE1EiNS0_10empty_typeEbEEZZNS1_14partition_implILS5_1ELb0ES3_jN6thrust23THRUST_200600_302600_NS6detail15normal_iteratorINSA_10device_ptrIiEEEEPS6_NSA_18transform_iteratorI7is_evenIiESF_NSA_11use_defaultESK_EENS0_5tupleIJSF_NSA_16discard_iteratorISK_EEEEENSM_IJSG_SG_EEES6_PlJS6_EEE10hipError_tPvRmT3_T4_T5_T6_T7_T9_mT8_P12ihipStream_tbDpT10_ENKUlT_T0_E_clISt17integral_constantIbLb1EES1A_IbLb0EEEEDaS16_S17_EUlS16_E_NS1_11comp_targetILNS1_3genE0ELNS1_11target_archE4294967295ELNS1_3gpuE0ELNS1_3repE0EEENS1_30default_config_static_selectorELNS0_4arch9wavefront6targetE1EEEvT1_,@function
_ZN7rocprim17ROCPRIM_400000_NS6detail17trampoline_kernelINS0_14default_configENS1_25partition_config_selectorILNS1_17partition_subalgoE1EiNS0_10empty_typeEbEEZZNS1_14partition_implILS5_1ELb0ES3_jN6thrust23THRUST_200600_302600_NS6detail15normal_iteratorINSA_10device_ptrIiEEEEPS6_NSA_18transform_iteratorI7is_evenIiESF_NSA_11use_defaultESK_EENS0_5tupleIJSF_NSA_16discard_iteratorISK_EEEEENSM_IJSG_SG_EEES6_PlJS6_EEE10hipError_tPvRmT3_T4_T5_T6_T7_T9_mT8_P12ihipStream_tbDpT10_ENKUlT_T0_E_clISt17integral_constantIbLb1EES1A_IbLb0EEEEDaS16_S17_EUlS16_E_NS1_11comp_targetILNS1_3genE0ELNS1_11target_archE4294967295ELNS1_3gpuE0ELNS1_3repE0EEENS1_30default_config_static_selectorELNS0_4arch9wavefront6targetE1EEEvT1_: ; @_ZN7rocprim17ROCPRIM_400000_NS6detail17trampoline_kernelINS0_14default_configENS1_25partition_config_selectorILNS1_17partition_subalgoE1EiNS0_10empty_typeEbEEZZNS1_14partition_implILS5_1ELb0ES3_jN6thrust23THRUST_200600_302600_NS6detail15normal_iteratorINSA_10device_ptrIiEEEEPS6_NSA_18transform_iteratorI7is_evenIiESF_NSA_11use_defaultESK_EENS0_5tupleIJSF_NSA_16discard_iteratorISK_EEEEENSM_IJSG_SG_EEES6_PlJS6_EEE10hipError_tPvRmT3_T4_T5_T6_T7_T9_mT8_P12ihipStream_tbDpT10_ENKUlT_T0_E_clISt17integral_constantIbLb1EES1A_IbLb0EEEEDaS16_S17_EUlS16_E_NS1_11comp_targetILNS1_3genE0ELNS1_11target_archE4294967295ELNS1_3gpuE0ELNS1_3repE0EEENS1_30default_config_static_selectorELNS0_4arch9wavefront6targetE1EEEvT1_
; %bb.0:
	.section	.rodata,"a",@progbits
	.p2align	6, 0x0
	.amdhsa_kernel _ZN7rocprim17ROCPRIM_400000_NS6detail17trampoline_kernelINS0_14default_configENS1_25partition_config_selectorILNS1_17partition_subalgoE1EiNS0_10empty_typeEbEEZZNS1_14partition_implILS5_1ELb0ES3_jN6thrust23THRUST_200600_302600_NS6detail15normal_iteratorINSA_10device_ptrIiEEEEPS6_NSA_18transform_iteratorI7is_evenIiESF_NSA_11use_defaultESK_EENS0_5tupleIJSF_NSA_16discard_iteratorISK_EEEEENSM_IJSG_SG_EEES6_PlJS6_EEE10hipError_tPvRmT3_T4_T5_T6_T7_T9_mT8_P12ihipStream_tbDpT10_ENKUlT_T0_E_clISt17integral_constantIbLb1EES1A_IbLb0EEEEDaS16_S17_EUlS16_E_NS1_11comp_targetILNS1_3genE0ELNS1_11target_archE4294967295ELNS1_3gpuE0ELNS1_3repE0EEENS1_30default_config_static_selectorELNS0_4arch9wavefront6targetE1EEEvT1_
		.amdhsa_group_segment_fixed_size 0
		.amdhsa_private_segment_fixed_size 0
		.amdhsa_kernarg_size 136
		.amdhsa_user_sgpr_count 2
		.amdhsa_user_sgpr_dispatch_ptr 0
		.amdhsa_user_sgpr_queue_ptr 0
		.amdhsa_user_sgpr_kernarg_segment_ptr 1
		.amdhsa_user_sgpr_dispatch_id 0
		.amdhsa_user_sgpr_kernarg_preload_length 0
		.amdhsa_user_sgpr_kernarg_preload_offset 0
		.amdhsa_user_sgpr_private_segment_size 0
		.amdhsa_uses_dynamic_stack 0
		.amdhsa_enable_private_segment 0
		.amdhsa_system_sgpr_workgroup_id_x 1
		.amdhsa_system_sgpr_workgroup_id_y 0
		.amdhsa_system_sgpr_workgroup_id_z 0
		.amdhsa_system_sgpr_workgroup_info 0
		.amdhsa_system_vgpr_workitem_id 0
		.amdhsa_next_free_vgpr 1
		.amdhsa_next_free_sgpr 0
		.amdhsa_accum_offset 4
		.amdhsa_reserve_vcc 0
		.amdhsa_float_round_mode_32 0
		.amdhsa_float_round_mode_16_64 0
		.amdhsa_float_denorm_mode_32 3
		.amdhsa_float_denorm_mode_16_64 3
		.amdhsa_dx10_clamp 1
		.amdhsa_ieee_mode 1
		.amdhsa_fp16_overflow 0
		.amdhsa_tg_split 0
		.amdhsa_exception_fp_ieee_invalid_op 0
		.amdhsa_exception_fp_denorm_src 0
		.amdhsa_exception_fp_ieee_div_zero 0
		.amdhsa_exception_fp_ieee_overflow 0
		.amdhsa_exception_fp_ieee_underflow 0
		.amdhsa_exception_fp_ieee_inexact 0
		.amdhsa_exception_int_div_zero 0
	.end_amdhsa_kernel
	.section	.text._ZN7rocprim17ROCPRIM_400000_NS6detail17trampoline_kernelINS0_14default_configENS1_25partition_config_selectorILNS1_17partition_subalgoE1EiNS0_10empty_typeEbEEZZNS1_14partition_implILS5_1ELb0ES3_jN6thrust23THRUST_200600_302600_NS6detail15normal_iteratorINSA_10device_ptrIiEEEEPS6_NSA_18transform_iteratorI7is_evenIiESF_NSA_11use_defaultESK_EENS0_5tupleIJSF_NSA_16discard_iteratorISK_EEEEENSM_IJSG_SG_EEES6_PlJS6_EEE10hipError_tPvRmT3_T4_T5_T6_T7_T9_mT8_P12ihipStream_tbDpT10_ENKUlT_T0_E_clISt17integral_constantIbLb1EES1A_IbLb0EEEEDaS16_S17_EUlS16_E_NS1_11comp_targetILNS1_3genE0ELNS1_11target_archE4294967295ELNS1_3gpuE0ELNS1_3repE0EEENS1_30default_config_static_selectorELNS0_4arch9wavefront6targetE1EEEvT1_,"axG",@progbits,_ZN7rocprim17ROCPRIM_400000_NS6detail17trampoline_kernelINS0_14default_configENS1_25partition_config_selectorILNS1_17partition_subalgoE1EiNS0_10empty_typeEbEEZZNS1_14partition_implILS5_1ELb0ES3_jN6thrust23THRUST_200600_302600_NS6detail15normal_iteratorINSA_10device_ptrIiEEEEPS6_NSA_18transform_iteratorI7is_evenIiESF_NSA_11use_defaultESK_EENS0_5tupleIJSF_NSA_16discard_iteratorISK_EEEEENSM_IJSG_SG_EEES6_PlJS6_EEE10hipError_tPvRmT3_T4_T5_T6_T7_T9_mT8_P12ihipStream_tbDpT10_ENKUlT_T0_E_clISt17integral_constantIbLb1EES1A_IbLb0EEEEDaS16_S17_EUlS16_E_NS1_11comp_targetILNS1_3genE0ELNS1_11target_archE4294967295ELNS1_3gpuE0ELNS1_3repE0EEENS1_30default_config_static_selectorELNS0_4arch9wavefront6targetE1EEEvT1_,comdat
.Lfunc_end3307:
	.size	_ZN7rocprim17ROCPRIM_400000_NS6detail17trampoline_kernelINS0_14default_configENS1_25partition_config_selectorILNS1_17partition_subalgoE1EiNS0_10empty_typeEbEEZZNS1_14partition_implILS5_1ELb0ES3_jN6thrust23THRUST_200600_302600_NS6detail15normal_iteratorINSA_10device_ptrIiEEEEPS6_NSA_18transform_iteratorI7is_evenIiESF_NSA_11use_defaultESK_EENS0_5tupleIJSF_NSA_16discard_iteratorISK_EEEEENSM_IJSG_SG_EEES6_PlJS6_EEE10hipError_tPvRmT3_T4_T5_T6_T7_T9_mT8_P12ihipStream_tbDpT10_ENKUlT_T0_E_clISt17integral_constantIbLb1EES1A_IbLb0EEEEDaS16_S17_EUlS16_E_NS1_11comp_targetILNS1_3genE0ELNS1_11target_archE4294967295ELNS1_3gpuE0ELNS1_3repE0EEENS1_30default_config_static_selectorELNS0_4arch9wavefront6targetE1EEEvT1_, .Lfunc_end3307-_ZN7rocprim17ROCPRIM_400000_NS6detail17trampoline_kernelINS0_14default_configENS1_25partition_config_selectorILNS1_17partition_subalgoE1EiNS0_10empty_typeEbEEZZNS1_14partition_implILS5_1ELb0ES3_jN6thrust23THRUST_200600_302600_NS6detail15normal_iteratorINSA_10device_ptrIiEEEEPS6_NSA_18transform_iteratorI7is_evenIiESF_NSA_11use_defaultESK_EENS0_5tupleIJSF_NSA_16discard_iteratorISK_EEEEENSM_IJSG_SG_EEES6_PlJS6_EEE10hipError_tPvRmT3_T4_T5_T6_T7_T9_mT8_P12ihipStream_tbDpT10_ENKUlT_T0_E_clISt17integral_constantIbLb1EES1A_IbLb0EEEEDaS16_S17_EUlS16_E_NS1_11comp_targetILNS1_3genE0ELNS1_11target_archE4294967295ELNS1_3gpuE0ELNS1_3repE0EEENS1_30default_config_static_selectorELNS0_4arch9wavefront6targetE1EEEvT1_
                                        ; -- End function
	.section	.AMDGPU.csdata,"",@progbits
; Kernel info:
; codeLenInByte = 0
; NumSgprs: 6
; NumVgprs: 0
; NumAgprs: 0
; TotalNumVgprs: 0
; ScratchSize: 0
; MemoryBound: 0
; FloatMode: 240
; IeeeMode: 1
; LDSByteSize: 0 bytes/workgroup (compile time only)
; SGPRBlocks: 0
; VGPRBlocks: 0
; NumSGPRsForWavesPerEU: 6
; NumVGPRsForWavesPerEU: 1
; AccumOffset: 4
; Occupancy: 8
; WaveLimiterHint : 0
; COMPUTE_PGM_RSRC2:SCRATCH_EN: 0
; COMPUTE_PGM_RSRC2:USER_SGPR: 2
; COMPUTE_PGM_RSRC2:TRAP_HANDLER: 0
; COMPUTE_PGM_RSRC2:TGID_X_EN: 1
; COMPUTE_PGM_RSRC2:TGID_Y_EN: 0
; COMPUTE_PGM_RSRC2:TGID_Z_EN: 0
; COMPUTE_PGM_RSRC2:TIDIG_COMP_CNT: 0
; COMPUTE_PGM_RSRC3_GFX90A:ACCUM_OFFSET: 0
; COMPUTE_PGM_RSRC3_GFX90A:TG_SPLIT: 0
	.section	.text._ZN7rocprim17ROCPRIM_400000_NS6detail17trampoline_kernelINS0_14default_configENS1_25partition_config_selectorILNS1_17partition_subalgoE1EiNS0_10empty_typeEbEEZZNS1_14partition_implILS5_1ELb0ES3_jN6thrust23THRUST_200600_302600_NS6detail15normal_iteratorINSA_10device_ptrIiEEEEPS6_NSA_18transform_iteratorI7is_evenIiESF_NSA_11use_defaultESK_EENS0_5tupleIJSF_NSA_16discard_iteratorISK_EEEEENSM_IJSG_SG_EEES6_PlJS6_EEE10hipError_tPvRmT3_T4_T5_T6_T7_T9_mT8_P12ihipStream_tbDpT10_ENKUlT_T0_E_clISt17integral_constantIbLb1EES1A_IbLb0EEEEDaS16_S17_EUlS16_E_NS1_11comp_targetILNS1_3genE5ELNS1_11target_archE942ELNS1_3gpuE9ELNS1_3repE0EEENS1_30default_config_static_selectorELNS0_4arch9wavefront6targetE1EEEvT1_,"axG",@progbits,_ZN7rocprim17ROCPRIM_400000_NS6detail17trampoline_kernelINS0_14default_configENS1_25partition_config_selectorILNS1_17partition_subalgoE1EiNS0_10empty_typeEbEEZZNS1_14partition_implILS5_1ELb0ES3_jN6thrust23THRUST_200600_302600_NS6detail15normal_iteratorINSA_10device_ptrIiEEEEPS6_NSA_18transform_iteratorI7is_evenIiESF_NSA_11use_defaultESK_EENS0_5tupleIJSF_NSA_16discard_iteratorISK_EEEEENSM_IJSG_SG_EEES6_PlJS6_EEE10hipError_tPvRmT3_T4_T5_T6_T7_T9_mT8_P12ihipStream_tbDpT10_ENKUlT_T0_E_clISt17integral_constantIbLb1EES1A_IbLb0EEEEDaS16_S17_EUlS16_E_NS1_11comp_targetILNS1_3genE5ELNS1_11target_archE942ELNS1_3gpuE9ELNS1_3repE0EEENS1_30default_config_static_selectorELNS0_4arch9wavefront6targetE1EEEvT1_,comdat
	.protected	_ZN7rocprim17ROCPRIM_400000_NS6detail17trampoline_kernelINS0_14default_configENS1_25partition_config_selectorILNS1_17partition_subalgoE1EiNS0_10empty_typeEbEEZZNS1_14partition_implILS5_1ELb0ES3_jN6thrust23THRUST_200600_302600_NS6detail15normal_iteratorINSA_10device_ptrIiEEEEPS6_NSA_18transform_iteratorI7is_evenIiESF_NSA_11use_defaultESK_EENS0_5tupleIJSF_NSA_16discard_iteratorISK_EEEEENSM_IJSG_SG_EEES6_PlJS6_EEE10hipError_tPvRmT3_T4_T5_T6_T7_T9_mT8_P12ihipStream_tbDpT10_ENKUlT_T0_E_clISt17integral_constantIbLb1EES1A_IbLb0EEEEDaS16_S17_EUlS16_E_NS1_11comp_targetILNS1_3genE5ELNS1_11target_archE942ELNS1_3gpuE9ELNS1_3repE0EEENS1_30default_config_static_selectorELNS0_4arch9wavefront6targetE1EEEvT1_ ; -- Begin function _ZN7rocprim17ROCPRIM_400000_NS6detail17trampoline_kernelINS0_14default_configENS1_25partition_config_selectorILNS1_17partition_subalgoE1EiNS0_10empty_typeEbEEZZNS1_14partition_implILS5_1ELb0ES3_jN6thrust23THRUST_200600_302600_NS6detail15normal_iteratorINSA_10device_ptrIiEEEEPS6_NSA_18transform_iteratorI7is_evenIiESF_NSA_11use_defaultESK_EENS0_5tupleIJSF_NSA_16discard_iteratorISK_EEEEENSM_IJSG_SG_EEES6_PlJS6_EEE10hipError_tPvRmT3_T4_T5_T6_T7_T9_mT8_P12ihipStream_tbDpT10_ENKUlT_T0_E_clISt17integral_constantIbLb1EES1A_IbLb0EEEEDaS16_S17_EUlS16_E_NS1_11comp_targetILNS1_3genE5ELNS1_11target_archE942ELNS1_3gpuE9ELNS1_3repE0EEENS1_30default_config_static_selectorELNS0_4arch9wavefront6targetE1EEEvT1_
	.globl	_ZN7rocprim17ROCPRIM_400000_NS6detail17trampoline_kernelINS0_14default_configENS1_25partition_config_selectorILNS1_17partition_subalgoE1EiNS0_10empty_typeEbEEZZNS1_14partition_implILS5_1ELb0ES3_jN6thrust23THRUST_200600_302600_NS6detail15normal_iteratorINSA_10device_ptrIiEEEEPS6_NSA_18transform_iteratorI7is_evenIiESF_NSA_11use_defaultESK_EENS0_5tupleIJSF_NSA_16discard_iteratorISK_EEEEENSM_IJSG_SG_EEES6_PlJS6_EEE10hipError_tPvRmT3_T4_T5_T6_T7_T9_mT8_P12ihipStream_tbDpT10_ENKUlT_T0_E_clISt17integral_constantIbLb1EES1A_IbLb0EEEEDaS16_S17_EUlS16_E_NS1_11comp_targetILNS1_3genE5ELNS1_11target_archE942ELNS1_3gpuE9ELNS1_3repE0EEENS1_30default_config_static_selectorELNS0_4arch9wavefront6targetE1EEEvT1_
	.p2align	8
	.type	_ZN7rocprim17ROCPRIM_400000_NS6detail17trampoline_kernelINS0_14default_configENS1_25partition_config_selectorILNS1_17partition_subalgoE1EiNS0_10empty_typeEbEEZZNS1_14partition_implILS5_1ELb0ES3_jN6thrust23THRUST_200600_302600_NS6detail15normal_iteratorINSA_10device_ptrIiEEEEPS6_NSA_18transform_iteratorI7is_evenIiESF_NSA_11use_defaultESK_EENS0_5tupleIJSF_NSA_16discard_iteratorISK_EEEEENSM_IJSG_SG_EEES6_PlJS6_EEE10hipError_tPvRmT3_T4_T5_T6_T7_T9_mT8_P12ihipStream_tbDpT10_ENKUlT_T0_E_clISt17integral_constantIbLb1EES1A_IbLb0EEEEDaS16_S17_EUlS16_E_NS1_11comp_targetILNS1_3genE5ELNS1_11target_archE942ELNS1_3gpuE9ELNS1_3repE0EEENS1_30default_config_static_selectorELNS0_4arch9wavefront6targetE1EEEvT1_,@function
_ZN7rocprim17ROCPRIM_400000_NS6detail17trampoline_kernelINS0_14default_configENS1_25partition_config_selectorILNS1_17partition_subalgoE1EiNS0_10empty_typeEbEEZZNS1_14partition_implILS5_1ELb0ES3_jN6thrust23THRUST_200600_302600_NS6detail15normal_iteratorINSA_10device_ptrIiEEEEPS6_NSA_18transform_iteratorI7is_evenIiESF_NSA_11use_defaultESK_EENS0_5tupleIJSF_NSA_16discard_iteratorISK_EEEEENSM_IJSG_SG_EEES6_PlJS6_EEE10hipError_tPvRmT3_T4_T5_T6_T7_T9_mT8_P12ihipStream_tbDpT10_ENKUlT_T0_E_clISt17integral_constantIbLb1EES1A_IbLb0EEEEDaS16_S17_EUlS16_E_NS1_11comp_targetILNS1_3genE5ELNS1_11target_archE942ELNS1_3gpuE9ELNS1_3repE0EEENS1_30default_config_static_selectorELNS0_4arch9wavefront6targetE1EEEvT1_: ; @_ZN7rocprim17ROCPRIM_400000_NS6detail17trampoline_kernelINS0_14default_configENS1_25partition_config_selectorILNS1_17partition_subalgoE1EiNS0_10empty_typeEbEEZZNS1_14partition_implILS5_1ELb0ES3_jN6thrust23THRUST_200600_302600_NS6detail15normal_iteratorINSA_10device_ptrIiEEEEPS6_NSA_18transform_iteratorI7is_evenIiESF_NSA_11use_defaultESK_EENS0_5tupleIJSF_NSA_16discard_iteratorISK_EEEEENSM_IJSG_SG_EEES6_PlJS6_EEE10hipError_tPvRmT3_T4_T5_T6_T7_T9_mT8_P12ihipStream_tbDpT10_ENKUlT_T0_E_clISt17integral_constantIbLb1EES1A_IbLb0EEEEDaS16_S17_EUlS16_E_NS1_11comp_targetILNS1_3genE5ELNS1_11target_archE942ELNS1_3gpuE9ELNS1_3repE0EEENS1_30default_config_static_selectorELNS0_4arch9wavefront6targetE1EEEvT1_
; %bb.0:
	s_load_dwordx2 s[4:5], s[0:1], 0x68
	s_load_dwordx4 s[12:15], s[0:1], 0x8
	s_load_dwordx2 s[6:7], s[0:1], 0x20
	s_load_dwordx4 s[20:23], s[0:1], 0x58
	s_load_dword s3, s[0:1], 0x80
	s_waitcnt lgkmcnt(0)
	v_mov_b32_e32 v3, s5
	s_lshl_b64 s[8:9], s[14:15], 2
	s_add_u32 s12, s12, s8
	s_addc_u32 s13, s13, s9
	s_add_i32 s16, s3, -1
	s_mulk_i32 s3, 0x1e00
	s_add_i32 s5, s3, s14
	s_sub_i32 s33, s4, s5
	s_addk_i32 s33, 0x1e00
	v_mov_b32_e32 v2, s4
	s_add_u32 s4, s14, s3
	s_addc_u32 s5, s15, 0
	s_cmp_eq_u32 s2, s16
	s_load_dwordx2 s[22:23], s[22:23], 0x0
	s_cselect_b64 s[24:25], -1, 0
	s_cmp_lg_u32 s2, s16
	s_mul_i32 s10, s2, 0x1e00
	s_mov_b32 s11, 0
	v_cmp_lt_u64_e32 vcc, s[4:5], v[2:3]
	s_cselect_b64 s[4:5], -1, 0
	s_or_b64 s[26:27], s[4:5], vcc
	s_lshl_b64 s[10:11], s[10:11], 2
	s_add_u32 s12, s12, s10
	s_addc_u32 s13, s13, s11
	s_mov_b64 s[4:5], -1
	s_and_b64 vcc, exec, s[26:27]
	v_lshlrev_b32_e32 v22, 2, v0
	s_cbranch_vccz .LBB3308_2
; %bb.1:
	v_mov_b32_e32 v23, 0
	v_lshl_add_u64 v[2:3], s[12:13], 0, v[22:23]
	v_add_co_u32_e32 v4, vcc, 0x1000, v2
	s_mov_b64 s[4:5], 0
	s_nop 0
	v_addc_co_u32_e32 v5, vcc, 0, v3, vcc
	v_add_co_u32_e32 v6, vcc, 0x2000, v2
	s_nop 1
	v_addc_co_u32_e32 v7, vcc, 0, v3, vcc
	v_add_co_u32_e32 v8, vcc, 0x3000, v2
	s_nop 1
	v_addc_co_u32_e32 v9, vcc, 0, v3, vcc
	flat_load_dword v1, v[2:3]
	flat_load_dword v10, v[2:3] offset:2048
	flat_load_dword v11, v[4:5]
	flat_load_dword v12, v[4:5] offset:2048
	;; [unrolled: 2-line block ×4, first 2 shown]
	v_add_co_u32_e32 v4, vcc, 0x4000, v2
	s_nop 1
	v_addc_co_u32_e32 v5, vcc, 0, v3, vcc
	v_add_co_u32_e32 v6, vcc, 0x5000, v2
	s_nop 1
	v_addc_co_u32_e32 v7, vcc, 0, v3, vcc
	;; [unrolled: 3-line block ×4, first 2 shown]
	flat_load_dword v17, v[4:5]
	flat_load_dword v18, v[4:5] offset:2048
	flat_load_dword v19, v[6:7]
	flat_load_dword v20, v[6:7] offset:2048
	;; [unrolled: 2-line block ×3, first 2 shown]
	flat_load_dword v24, v[2:3]
	s_waitcnt vmcnt(0) lgkmcnt(0)
	ds_write2st64_b32 v22, v1, v10 offset1:8
	ds_write2st64_b32 v22, v11, v12 offset0:16 offset1:24
	ds_write2st64_b32 v22, v13, v14 offset0:32 offset1:40
	;; [unrolled: 1-line block ×6, first 2 shown]
	ds_write_b32 v22, v24 offset:28672
	s_waitcnt lgkmcnt(0)
	s_barrier
.LBB3308_2:
	s_andn2_b64 vcc, exec, s[4:5]
	v_cmp_gt_u32_e64 s[4:5], s33, v0
	s_cbranch_vccnz .LBB3308_34
; %bb.3:
                                        ; implicit-def: $vgpr2_vgpr3_vgpr4_vgpr5_vgpr6_vgpr7_vgpr8_vgpr9_vgpr10_vgpr11_vgpr12_vgpr13_vgpr14_vgpr15_vgpr16_vgpr17
	s_and_saveexec_b64 s[14:15], s[4:5]
	s_cbranch_execz .LBB3308_5
; %bb.4:
	v_mov_b32_e32 v23, 0
	v_lshl_add_u64 v[2:3], s[12:13], 0, v[22:23]
	flat_load_dword v2, v[2:3]
.LBB3308_5:
	s_or_b64 exec, exec, s[14:15]
	v_or_b32_e32 v1, 0x200, v0
	v_cmp_gt_u32_e32 vcc, s33, v1
	s_and_saveexec_b64 s[4:5], vcc
	s_cbranch_execz .LBB3308_7
; %bb.6:
	v_mov_b32_e32 v23, 0
	v_lshl_add_u64 v[18:19], s[12:13], 0, v[22:23]
	flat_load_dword v3, v[18:19] offset:2048
.LBB3308_7:
	s_or_b64 exec, exec, s[4:5]
	v_or_b32_e32 v1, 0x400, v0
	v_cmp_gt_u32_e32 vcc, s33, v1
	s_and_saveexec_b64 s[4:5], vcc
	s_cbranch_execz .LBB3308_9
; %bb.8:
	v_lshlrev_b32_e32 v18, 2, v1
	v_mov_b32_e32 v19, 0
	v_lshl_add_u64 v[18:19], s[12:13], 0, v[18:19]
	flat_load_dword v4, v[18:19]
.LBB3308_9:
	s_or_b64 exec, exec, s[4:5]
	v_or_b32_e32 v1, 0x600, v0
	v_cmp_gt_u32_e32 vcc, s33, v1
	s_and_saveexec_b64 s[4:5], vcc
	s_cbranch_execz .LBB3308_11
; %bb.10:
	v_lshlrev_b32_e32 v18, 2, v1
	v_mov_b32_e32 v19, 0
	v_lshl_add_u64 v[18:19], s[12:13], 0, v[18:19]
	flat_load_dword v5, v[18:19]
.LBB3308_11:
	;; [unrolled: 11-line block ×13, first 2 shown]
	s_or_b64 exec, exec, s[4:5]
	s_waitcnt vmcnt(0) lgkmcnt(0)
	ds_write2st64_b32 v22, v2, v3 offset1:8
	ds_write2st64_b32 v22, v4, v5 offset0:16 offset1:24
	ds_write2st64_b32 v22, v6, v7 offset0:32 offset1:40
	;; [unrolled: 1-line block ×6, first 2 shown]
	ds_write_b32 v22, v16 offset:28672
	s_waitcnt lgkmcnt(0)
	s_barrier
.LBB3308_34:
	v_mul_u32_u24_e32 v21, 15, v0
	v_lshlrev_b32_e32 v1, 2, v21
	s_waitcnt lgkmcnt(0)
	ds_read2_b32 v[36:37], v1 offset1:1
	ds_read2_b32 v[34:35], v1 offset0:2 offset1:3
	ds_read2_b32 v[32:33], v1 offset0:4 offset1:5
	;; [unrolled: 1-line block ×6, first 2 shown]
	ds_read_b32 v1, v1 offset:56
	s_add_u32 s3, s6, s8
	s_addc_u32 s5, s7, s9
	s_add_u32 s4, s3, s10
	s_addc_u32 s5, s5, s11
	s_mov_b64 s[6:7], -1
	s_and_b64 vcc, exec, s[26:27]
	s_waitcnt lgkmcnt(0)
	s_barrier
	s_cbranch_vccz .LBB3308_36
; %bb.35:
	v_mov_b32_e32 v23, 0
	v_lshl_add_u64 v[2:3], s[4:5], 0, v[22:23]
	v_add_co_u32_e32 v4, vcc, 0x1000, v2
	global_load_dword v10, v22, s[4:5]
	global_load_dword v11, v22, s[4:5] offset:2048
	v_addc_co_u32_e32 v5, vcc, 0, v3, vcc
	v_add_co_u32_e32 v6, vcc, 0x2000, v2
	s_mov_b64 s[6:7], 0
	s_nop 0
	v_addc_co_u32_e32 v7, vcc, 0, v3, vcc
	v_add_co_u32_e32 v8, vcc, 0x3000, v2
	s_nop 1
	v_addc_co_u32_e32 v9, vcc, 0, v3, vcc
	global_load_dword v12, v[4:5], off
	global_load_dword v13, v[4:5], off offset:2048
	global_load_dword v14, v[6:7], off
	global_load_dword v15, v[6:7], off offset:2048
	;; [unrolled: 2-line block ×3, first 2 shown]
	v_add_co_u32_e32 v4, vcc, 0x4000, v2
	s_nop 1
	v_addc_co_u32_e32 v5, vcc, 0, v3, vcc
	global_load_dword v6, v[4:5], off
	global_load_dword v7, v[4:5], off offset:2048
	v_add_co_u32_e32 v4, vcc, 0x5000, v2
	s_waitcnt vmcnt(1)
	v_xor_b32_e32 v6, -1, v6
	v_addc_co_u32_e32 v5, vcc, 0, v3, vcc
	global_load_dword v8, v[4:5], off
	global_load_dword v9, v[4:5], off offset:2048
	v_add_co_u32_e32 v4, vcc, 0x6000, v2
	s_waitcnt vmcnt(2)
	v_xor_b32_e32 v7, -1, v7
	v_addc_co_u32_e32 v5, vcc, 0, v3, vcc
	v_add_co_u32_e32 v2, vcc, 0x7000, v2
	global_load_dword v18, v[4:5], off
	global_load_dword v19, v[4:5], off offset:2048
	v_addc_co_u32_e32 v3, vcc, 0, v3, vcc
	global_load_dword v2, v[2:3], off
	v_xor_b32_e32 v3, -1, v10
	v_xor_b32_e32 v4, -1, v11
	v_and_b32_e32 v3, 1, v3
	v_and_b32_e32 v4, 1, v4
	ds_write_b8 v0, v3
	ds_write_b8 v0, v4 offset:512
	v_xor_b32_e32 v3, -1, v12
	v_xor_b32_e32 v4, -1, v13
	;; [unrolled: 1-line block ×3, first 2 shown]
	v_and_b32_e32 v3, 1, v3
	v_and_b32_e32 v4, 1, v4
	v_xor_b32_e32 v10, -1, v15
	v_and_b32_e32 v5, 1, v5
	v_xor_b32_e32 v11, -1, v16
	v_xor_b32_e32 v12, -1, v17
	v_and_b32_e32 v10, 1, v10
	ds_write_b8 v0, v3 offset:1024
	ds_write_b8 v0, v4 offset:1536
	v_and_b32_e32 v3, 1, v11
	v_and_b32_e32 v4, 1, v12
	ds_write_b8 v0, v5 offset:2048
	ds_write_b8 v0, v10 offset:2560
	v_and_b32_e32 v5, 1, v6
	v_and_b32_e32 v6, 1, v7
	ds_write_b8 v0, v3 offset:3072
	ds_write_b8 v0, v4 offset:3584
	;; [unrolled: 1-line block ×4, first 2 shown]
	s_waitcnt vmcnt(4)
	v_xor_b32_e32 v7, -1, v8
	s_waitcnt vmcnt(3)
	v_xor_b32_e32 v8, -1, v9
	v_and_b32_e32 v3, 1, v7
	v_and_b32_e32 v4, 1, v8
	s_waitcnt vmcnt(2)
	v_xor_b32_e32 v7, -1, v18
	s_waitcnt vmcnt(1)
	v_xor_b32_e32 v8, -1, v19
	v_and_b32_e32 v5, 1, v7
	v_and_b32_e32 v6, 1, v8
	s_waitcnt vmcnt(0)
	v_xor_b32_e32 v2, -1, v2
	v_and_b32_e32 v2, 1, v2
	ds_write_b8 v0, v3 offset:5120
	ds_write_b8 v0, v4 offset:5632
	ds_write_b8 v0, v5 offset:6144
	ds_write_b8 v0, v6 offset:6656
	ds_write_b8 v0, v2 offset:7168
	s_waitcnt lgkmcnt(0)
	s_barrier
.LBB3308_36:
	s_load_dwordx2 s[28:29], s[0:1], 0x78
	s_andn2_b64 vcc, exec, s[6:7]
	s_cbranch_vccnz .LBB3308_68
; %bb.37:
	v_cmp_gt_u32_e32 vcc, s33, v0
	v_mov_b32_e32 v2, 0
	v_mov_b32_e32 v3, 0
	s_and_saveexec_b64 s[6:7], vcc
	s_cbranch_execz .LBB3308_39
; %bb.38:
	global_load_dword v3, v22, s[4:5]
	s_waitcnt vmcnt(0)
	v_xor_b32_e32 v3, -1, v3
	v_and_b32_e32 v3, 1, v3
.LBB3308_39:
	s_or_b64 exec, exec, s[6:7]
	v_or_b32_e32 v4, 0x200, v0
	v_cmp_gt_u32_e32 vcc, s33, v4
	s_and_saveexec_b64 s[6:7], vcc
	s_cbranch_execz .LBB3308_41
; %bb.40:
	global_load_dword v2, v22, s[4:5] offset:2048
	s_waitcnt vmcnt(0)
	v_xor_b32_e32 v2, -1, v2
	v_and_b32_e32 v2, 1, v2
.LBB3308_41:
	s_or_b64 exec, exec, s[6:7]
	v_or_b32_e32 v6, 0x400, v0
	v_cmp_gt_u32_e32 vcc, s33, v6
	v_mov_b32_e32 v4, 0
	v_mov_b32_e32 v5, 0
	s_and_saveexec_b64 s[6:7], vcc
	s_cbranch_execz .LBB3308_43
; %bb.42:
	v_lshlrev_b32_e32 v5, 2, v6
	global_load_dword v5, v5, s[4:5]
	s_waitcnt vmcnt(0)
	v_xor_b32_e32 v5, -1, v5
	v_and_b32_e32 v5, 1, v5
.LBB3308_43:
	s_or_b64 exec, exec, s[6:7]
	v_or_b32_e32 v6, 0x600, v0
	v_cmp_gt_u32_e32 vcc, s33, v6
	s_and_saveexec_b64 s[6:7], vcc
	s_cbranch_execz .LBB3308_45
; %bb.44:
	v_lshlrev_b32_e32 v4, 2, v6
	global_load_dword v4, v4, s[4:5]
	s_waitcnt vmcnt(0)
	v_xor_b32_e32 v4, -1, v4
	v_and_b32_e32 v4, 1, v4
.LBB3308_45:
	s_or_b64 exec, exec, s[6:7]
	v_or_b32_e32 v8, 0x800, v0
	v_cmp_gt_u32_e32 vcc, s33, v8
	v_mov_b32_e32 v6, 0
	v_mov_b32_e32 v7, 0
	s_and_saveexec_b64 s[6:7], vcc
	s_cbranch_execz .LBB3308_47
; %bb.46:
	v_lshlrev_b32_e32 v7, 2, v8
	global_load_dword v7, v7, s[4:5]
	s_waitcnt vmcnt(0)
	v_xor_b32_e32 v7, -1, v7
	v_and_b32_e32 v7, 1, v7
.LBB3308_47:
	s_or_b64 exec, exec, s[6:7]
	v_or_b32_e32 v8, 0xa00, v0
	v_cmp_gt_u32_e32 vcc, s33, v8
	s_and_saveexec_b64 s[6:7], vcc
	s_cbranch_execz .LBB3308_49
; %bb.48:
	v_lshlrev_b32_e32 v6, 2, v8
	global_load_dword v6, v6, s[4:5]
	s_waitcnt vmcnt(0)
	v_xor_b32_e32 v6, -1, v6
	v_and_b32_e32 v6, 1, v6
.LBB3308_49:
	;; [unrolled: 26-line block ×6, first 2 shown]
	s_or_b64 exec, exec, s[6:7]
	v_or_b32_e32 v17, 0x1c00, v0
	v_cmp_gt_u32_e32 vcc, s33, v17
	v_mov_b32_e32 v16, 0
	s_and_saveexec_b64 s[6:7], vcc
	s_cbranch_execz .LBB3308_67
; %bb.66:
	v_lshlrev_b32_e32 v16, 2, v17
	global_load_dword v16, v16, s[4:5]
	s_waitcnt vmcnt(0)
	v_xor_b32_e32 v16, -1, v16
	v_and_b32_e32 v16, 1, v16
.LBB3308_67:
	s_or_b64 exec, exec, s[6:7]
	ds_write_b8 v0, v3
	ds_write_b8 v0, v2 offset:512
	ds_write_b8 v0, v5 offset:1024
	;; [unrolled: 1-line block ×14, first 2 shown]
	s_waitcnt lgkmcnt(0)
	s_barrier
.LBB3308_68:
	s_waitcnt lgkmcnt(0)
	ds_read_b96 v[18:20], v21
	ds_read_u8 v2, v21 offset:12
	ds_read_u8 v3, v21 offset:13
	ds_read_u8 v4, v21 offset:14
	s_cmp_lg_u32 s2, 0
	v_lshrrev_b32_e32 v56, 6, v0
	s_waitcnt lgkmcnt(2)
	v_and_b32_e32 v43, 1, v2
	v_and_b32_e32 v52, 0xff, v18
	v_bfe_u32 v53, v18, 8, 8
	v_bfe_u32 v54, v18, 16, 8
	v_lshrrev_b32_e32 v45, 24, v18
	v_and_b32_e32 v49, 0xff, v19
	v_add3_u32 v2, v53, v52, v54
	v_bfe_u32 v50, v19, 8, 8
	v_bfe_u32 v51, v19, 16, 8
	v_add3_u32 v2, v2, v45, v49
	v_lshrrev_b32_e32 v44, 24, v19
	v_and_b32_e32 v46, 0xff, v20
	v_add3_u32 v2, v2, v50, v51
	v_bfe_u32 v47, v20, 8, 8
	v_bfe_u32 v48, v20, 16, 8
	v_add3_u32 v2, v2, v44, v46
	v_lshrrev_b32_e32 v42, 24, v20
	v_add3_u32 v2, v2, v47, v48
	s_waitcnt lgkmcnt(1)
	v_and_b32_e32 v41, 1, v3
	s_waitcnt lgkmcnt(0)
	v_and_b32_e32 v23, 1, v4
	v_add3_u32 v2, v2, v42, v43
	v_add3_u32 v57, v2, v41, v23
	v_mbcnt_lo_u32_b32 v2, -1, 0
	v_mbcnt_hi_u32_b32 v55, -1, v2
	v_and_b32_e32 v2, 15, v55
	v_cmp_eq_u32_e64 s[14:15], 0, v2
	v_cmp_lt_u32_e64 s[12:13], 1, v2
	v_cmp_lt_u32_e64 s[10:11], 3, v2
	;; [unrolled: 1-line block ×3, first 2 shown]
	v_and_b32_e32 v2, 16, v55
	v_cmp_eq_u32_e64 s[6:7], 0, v2
	v_or_b32_e32 v2, 63, v0
	v_cmp_lt_u32_e64 s[18:19], 31, v55
	v_cmp_eq_u32_e64 s[4:5], v2, v0
	s_barrier
	s_cbranch_scc0 .LBB3308_99
; %bb.69:
	v_mov_b32_dpp v2, v57 row_shr:1 row_mask:0xf bank_mask:0xf
	v_cndmask_b32_e64 v2, v2, 0, s[14:15]
	v_add_u32_e32 v2, v2, v57
	s_nop 1
	v_mov_b32_dpp v3, v2 row_shr:2 row_mask:0xf bank_mask:0xf
	v_cndmask_b32_e64 v3, 0, v3, s[12:13]
	v_add_u32_e32 v2, v2, v3
	s_nop 1
	;; [unrolled: 4-line block ×4, first 2 shown]
	v_mov_b32_dpp v3, v2 row_bcast:15 row_mask:0xf bank_mask:0xf
	v_cndmask_b32_e64 v3, v3, 0, s[6:7]
	v_add_u32_e32 v2, v2, v3
	s_nop 1
	v_mov_b32_dpp v3, v2 row_bcast:31 row_mask:0xf bank_mask:0xf
	v_cndmask_b32_e64 v3, 0, v3, s[18:19]
	v_add_u32_e32 v2, v2, v3
	s_and_saveexec_b64 s[16:17], s[4:5]
	s_cbranch_execz .LBB3308_71
; %bb.70:
	v_lshlrev_b32_e32 v3, 2, v56
	ds_write_b32 v3, v2
.LBB3308_71:
	s_or_b64 exec, exec, s[16:17]
	v_cmp_gt_u32_e32 vcc, 8, v0
	s_waitcnt lgkmcnt(0)
	s_barrier
	s_and_saveexec_b64 s[16:17], vcc
	s_cbranch_execz .LBB3308_73
; %bb.72:
	ds_read_b32 v3, v22
	v_and_b32_e32 v4, 7, v55
	v_cmp_ne_u32_e32 vcc, 0, v4
	s_waitcnt lgkmcnt(0)
	v_mov_b32_dpp v5, v3 row_shr:1 row_mask:0xf bank_mask:0xf
	v_cndmask_b32_e32 v5, 0, v5, vcc
	v_add_u32_e32 v3, v5, v3
	v_cmp_lt_u32_e32 vcc, 1, v4
	s_nop 0
	v_mov_b32_dpp v5, v3 row_shr:2 row_mask:0xf bank_mask:0xf
	v_cndmask_b32_e32 v5, 0, v5, vcc
	v_add_u32_e32 v3, v3, v5
	v_cmp_lt_u32_e32 vcc, 3, v4
	s_nop 0
	v_mov_b32_dpp v5, v3 row_shr:4 row_mask:0xf bank_mask:0xf
	v_cndmask_b32_e32 v4, 0, v5, vcc
	v_add_u32_e32 v3, v3, v4
	ds_write_b32 v22, v3
.LBB3308_73:
	s_or_b64 exec, exec, s[16:17]
	v_cmp_gt_u32_e32 vcc, 64, v0
	v_cmp_lt_u32_e64 s[16:17], 63, v0
	s_waitcnt lgkmcnt(0)
	s_barrier
	s_waitcnt lgkmcnt(0)
                                        ; implicit-def: $vgpr12
	s_and_saveexec_b64 s[30:31], s[16:17]
	s_cbranch_execz .LBB3308_75
; %bb.74:
	v_lshl_add_u32 v3, v56, 2, -4
	ds_read_b32 v12, v3
	s_waitcnt lgkmcnt(0)
	v_add_u32_e32 v2, v12, v2
.LBB3308_75:
	s_or_b64 exec, exec, s[30:31]
	v_add_u32_e32 v3, -1, v55
	v_and_b32_e32 v4, 64, v55
	v_cmp_lt_i32_e64 s[16:17], v3, v4
	s_nop 1
	v_cndmask_b32_e64 v3, v3, v55, s[16:17]
	v_lshlrev_b32_e32 v3, 2, v3
	ds_bpermute_b32 v13, v3, v2
	v_cmp_eq_u32_e64 s[16:17], 0, v55
	s_and_saveexec_b64 s[30:31], vcc
	s_cbranch_execz .LBB3308_98
; %bb.76:
	v_mov_b32_e32 v11, 0
	ds_read_b32 v2, v11 offset:28
	s_and_saveexec_b64 s[34:35], s[16:17]
	s_cbranch_execz .LBB3308_78
; %bb.77:
	s_add_i32 s36, s2, 64
	s_mov_b32 s37, 0
	s_lshl_b64 s[36:37], s[36:37], 3
	s_add_u32 s36, s28, s36
	v_mov_b32_e32 v3, 1
	s_addc_u32 s37, s29, s37
	s_waitcnt lgkmcnt(0)
	global_store_dwordx2 v11, v[2:3], s[36:37] sc1
.LBB3308_78:
	s_or_b64 exec, exec, s[34:35]
	v_xad_u32 v4, v55, -1, s2
	v_add_u32_e32 v10, 64, v4
	v_lshl_add_u64 v[6:7], v[10:11], 3, s[28:29]
	global_load_dwordx2 v[8:9], v[6:7], off sc1
	s_waitcnt vmcnt(0)
	v_cmp_eq_u16_sdwa s[36:37], v9, v11 src0_sel:BYTE_0 src1_sel:DWORD
	s_and_saveexec_b64 s[34:35], s[36:37]
	s_cbranch_execz .LBB3308_84
; %bb.79:
	s_mov_b32 s3, 1
	s_mov_b64 s[36:37], 0
	v_mov_b32_e32 v3, 0
.LBB3308_80:                            ; =>This Loop Header: Depth=1
                                        ;     Child Loop BB3308_81 Depth 2
	s_max_u32 s38, s3, 1
.LBB3308_81:                            ;   Parent Loop BB3308_80 Depth=1
                                        ; =>  This Inner Loop Header: Depth=2
	s_add_i32 s38, s38, -1
	s_cmp_eq_u32 s38, 0
	s_sleep 1
	s_cbranch_scc0 .LBB3308_81
; %bb.82:                               ;   in Loop: Header=BB3308_80 Depth=1
	global_load_dwordx2 v[8:9], v[6:7], off sc1
	s_cmp_lt_u32 s3, 32
	s_cselect_b64 s[38:39], -1, 0
	s_cmp_lg_u64 s[38:39], 0
	s_addc_u32 s3, s3, 0
	s_waitcnt vmcnt(0)
	v_cmp_ne_u16_sdwa s[38:39], v9, v3 src0_sel:BYTE_0 src1_sel:DWORD
	s_or_b64 s[36:37], s[38:39], s[36:37]
	s_andn2_b64 exec, exec, s[36:37]
	s_cbranch_execnz .LBB3308_80
; %bb.83:
	s_or_b64 exec, exec, s[36:37]
.LBB3308_84:
	s_or_b64 exec, exec, s[34:35]
	v_and_b32_e32 v15, 63, v55
	v_mov_b32_e32 v14, 2
	v_cmp_ne_u32_e32 vcc, 63, v15
	v_cmp_eq_u16_sdwa s[34:35], v9, v14 src0_sel:BYTE_0 src1_sel:DWORD
	v_lshlrev_b64 v[6:7], v55, -1
	v_addc_co_u32_e32 v10, vcc, 0, v55, vcc
	v_and_b32_e32 v3, s35, v7
	v_lshlrev_b32_e32 v16, 2, v10
	v_or_b32_e32 v3, 0x80000000, v3
	ds_bpermute_b32 v10, v16, v8
	v_and_b32_e32 v5, s34, v6
	v_ffbl_b32_e32 v3, v3
	v_add_u32_e32 v3, 32, v3
	v_ffbl_b32_e32 v5, v5
	v_min_u32_e32 v3, v5, v3
	v_cmp_lt_u32_e32 vcc, v15, v3
	v_add_u32_e32 v38, 2, v15
	v_add_u32_e32 v40, 4, v15
	s_waitcnt lgkmcnt(0)
	v_cndmask_b32_e32 v5, 0, v10, vcc
	v_cmp_gt_u32_e32 vcc, 62, v15
	v_add_u32_e32 v5, v5, v8
	v_add_u32_e32 v59, 8, v15
	v_cndmask_b32_e64 v8, 0, 1, vcc
	v_lshlrev_b32_e32 v8, 1, v8
	v_add_lshl_u32 v17, v8, v55, 2
	ds_bpermute_b32 v8, v17, v5
	v_cmp_le_u32_e32 vcc, v38, v3
	v_add_u32_e32 v61, 16, v15
	v_add_u32_e32 v63, 32, v15
	s_waitcnt lgkmcnt(0)
	v_cndmask_b32_e32 v8, 0, v8, vcc
	v_cmp_gt_u32_e32 vcc, 60, v15
	v_add_u32_e32 v5, v5, v8
	s_nop 0
	v_cndmask_b32_e64 v8, 0, 1, vcc
	v_lshlrev_b32_e32 v8, 2, v8
	v_add_lshl_u32 v39, v8, v55, 2
	ds_bpermute_b32 v8, v39, v5
	v_cmp_le_u32_e32 vcc, v40, v3
	s_waitcnt lgkmcnt(0)
	s_nop 0
	v_cndmask_b32_e32 v8, 0, v8, vcc
	v_cmp_gt_u32_e32 vcc, 56, v15
	v_add_u32_e32 v5, v5, v8
	s_nop 0
	v_cndmask_b32_e64 v8, 0, 1, vcc
	v_lshlrev_b32_e32 v8, 3, v8
	v_add_lshl_u32 v58, v8, v55, 2
	ds_bpermute_b32 v8, v58, v5
	v_cmp_le_u32_e32 vcc, v59, v3
	s_waitcnt lgkmcnt(0)
	s_nop 0
	;; [unrolled: 11-line block ×4, first 2 shown]
	v_cndmask_b32_e32 v3, 0, v8, vcc
	v_add_u32_e32 v8, v5, v3
	v_mov_b32_e32 v5, 0
	s_branch .LBB3308_86
.LBB3308_85:                            ;   in Loop: Header=BB3308_86 Depth=1
	s_or_b64 exec, exec, s[34:35]
	v_cmp_eq_u16_sdwa s[34:35], v9, v14 src0_sel:BYTE_0 src1_sel:DWORD
	ds_bpermute_b32 v64, v16, v8
	v_subrev_u32_e32 v4, 64, v4
	v_and_b32_e32 v10, s35, v7
	v_or_b32_e32 v10, 0x80000000, v10
	v_and_b32_e32 v11, s34, v6
	v_ffbl_b32_e32 v10, v10
	v_add_u32_e32 v10, 32, v10
	v_ffbl_b32_e32 v11, v11
	v_min_u32_e32 v10, v11, v10
	v_cmp_lt_u32_e32 vcc, v15, v10
	s_waitcnt lgkmcnt(0)
	s_nop 0
	v_cndmask_b32_e32 v11, 0, v64, vcc
	v_add_u32_e32 v8, v11, v8
	ds_bpermute_b32 v11, v17, v8
	v_cmp_le_u32_e32 vcc, v38, v10
	s_waitcnt lgkmcnt(0)
	s_nop 0
	v_cndmask_b32_e32 v11, 0, v11, vcc
	v_add_u32_e32 v8, v8, v11
	ds_bpermute_b32 v11, v39, v8
	v_cmp_le_u32_e32 vcc, v40, v10
	;; [unrolled: 6-line block ×5, first 2 shown]
	s_waitcnt lgkmcnt(0)
	s_nop 0
	v_cndmask_b32_e32 v10, 0, v11, vcc
	v_add3_u32 v8, v10, v3, v8
.LBB3308_86:                            ; =>This Loop Header: Depth=1
                                        ;     Child Loop BB3308_89 Depth 2
                                        ;       Child Loop BB3308_90 Depth 3
	v_cmp_ne_u16_sdwa s[34:35], v9, v14 src0_sel:BYTE_0 src1_sel:DWORD
	s_nop 1
	v_cndmask_b32_e64 v3, 0, 1, s[34:35]
	;;#ASMSTART
	;;#ASMEND
	s_nop 0
	v_cmp_ne_u32_e32 vcc, 0, v3
	s_cmp_lg_u64 vcc, exec
	v_mov_b32_e32 v3, v8
	s_cbranch_scc1 .LBB3308_93
; %bb.87:                               ;   in Loop: Header=BB3308_86 Depth=1
	v_lshl_add_u64 v[10:11], v[4:5], 3, s[28:29]
	global_load_dwordx2 v[8:9], v[10:11], off sc1
	s_waitcnt vmcnt(0)
	v_cmp_eq_u16_sdwa s[36:37], v9, v5 src0_sel:BYTE_0 src1_sel:DWORD
	s_and_saveexec_b64 s[34:35], s[36:37]
	s_cbranch_execz .LBB3308_85
; %bb.88:                               ;   in Loop: Header=BB3308_86 Depth=1
	s_mov_b32 s3, 1
	s_mov_b64 s[36:37], 0
.LBB3308_89:                            ;   Parent Loop BB3308_86 Depth=1
                                        ; =>  This Loop Header: Depth=2
                                        ;       Child Loop BB3308_90 Depth 3
	s_max_u32 s38, s3, 1
.LBB3308_90:                            ;   Parent Loop BB3308_86 Depth=1
                                        ;     Parent Loop BB3308_89 Depth=2
                                        ; =>    This Inner Loop Header: Depth=3
	s_add_i32 s38, s38, -1
	s_cmp_eq_u32 s38, 0
	s_sleep 1
	s_cbranch_scc0 .LBB3308_90
; %bb.91:                               ;   in Loop: Header=BB3308_89 Depth=2
	global_load_dwordx2 v[8:9], v[10:11], off sc1
	s_cmp_lt_u32 s3, 32
	s_cselect_b64 s[38:39], -1, 0
	s_cmp_lg_u64 s[38:39], 0
	s_addc_u32 s3, s3, 0
	s_waitcnt vmcnt(0)
	v_cmp_ne_u16_sdwa s[38:39], v9, v5 src0_sel:BYTE_0 src1_sel:DWORD
	s_or_b64 s[36:37], s[38:39], s[36:37]
	s_andn2_b64 exec, exec, s[36:37]
	s_cbranch_execnz .LBB3308_89
; %bb.92:                               ;   in Loop: Header=BB3308_86 Depth=1
	s_or_b64 exec, exec, s[36:37]
	s_branch .LBB3308_85
.LBB3308_93:                            ;   in Loop: Header=BB3308_86 Depth=1
                                        ; implicit-def: $vgpr8
                                        ; implicit-def: $vgpr9
	s_cbranch_execz .LBB3308_86
; %bb.94:
	s_and_saveexec_b64 s[34:35], s[16:17]
	s_cbranch_execz .LBB3308_96
; %bb.95:
	s_add_i32 s2, s2, 64
	s_mov_b32 s3, 0
	s_lshl_b64 s[2:3], s[2:3], 3
	s_add_u32 s2, s28, s2
	v_add_u32_e32 v4, v3, v2
	v_mov_b32_e32 v5, 2
	s_addc_u32 s3, s29, s3
	v_mov_b32_e32 v6, 0
	global_store_dwordx2 v6, v[4:5], s[2:3] sc1
	ds_write_b64 v6, v[2:3] offset:30720
.LBB3308_96:
	s_or_b64 exec, exec, s[34:35]
	v_cmp_eq_u32_e32 vcc, 0, v0
	s_and_b64 exec, exec, vcc
	s_cbranch_execz .LBB3308_98
; %bb.97:
	v_mov_b32_e32 v2, 0
	ds_write_b32 v2, v3 offset:28
.LBB3308_98:
	s_or_b64 exec, exec, s[30:31]
	v_mov_b32_e32 v14, 0
	s_waitcnt lgkmcnt(0)
	s_barrier
	ds_read_b32 v2, v14 offset:28
	v_cndmask_b32_e64 v3, v13, v12, s[16:17]
	v_cmp_ne_u32_e32 vcc, 0, v0
	s_waitcnt lgkmcnt(0)
	s_barrier
	v_cndmask_b32_e32 v3, 0, v3, vcc
	v_add_u32_e32 v2, v2, v3
	v_add_u32_e32 v3, v2, v52
	v_add_u32_e32 v4, v3, v53
	v_add_u32_e32 v5, v4, v54
	v_add_u32_e32 v6, v5, v45
	v_add_u32_e32 v7, v6, v49
	v_add_u32_e32 v8, v7, v50
	v_add_u32_e32 v9, v8, v51
	v_add_u32_e32 v10, v9, v44
	v_add_u32_e32 v11, v10, v46
	ds_read_b64 v[38:39], v14 offset:30720
	v_add_u32_e32 v12, v11, v47
	v_add_u32_e32 v13, v12, v48
	;; [unrolled: 1-line block ×5, first 2 shown]
	s_waitcnt lgkmcnt(0)
	v_mov_b32_e32 v40, v39
	s_load_dwordx2 s[2:3], s[0:1], 0x30
	s_branch .LBB3308_109
.LBB3308_99:
                                        ; implicit-def: $vgpr40
                                        ; implicit-def: $vgpr38
                                        ; implicit-def: $vgpr2_vgpr3_vgpr4_vgpr5_vgpr6_vgpr7_vgpr8_vgpr9_vgpr10_vgpr11_vgpr12_vgpr13_vgpr14_vgpr15_vgpr16_vgpr17
	s_load_dwordx2 s[2:3], s[0:1], 0x30
	s_cbranch_execz .LBB3308_109
; %bb.100:
	v_mov_b32_dpp v2, v57 row_shr:1 row_mask:0xf bank_mask:0xf
	v_cndmask_b32_e64 v2, v2, 0, s[14:15]
	v_add_u32_e32 v2, v2, v57
	s_nop 1
	v_mov_b32_dpp v3, v2 row_shr:2 row_mask:0xf bank_mask:0xf
	v_cndmask_b32_e64 v3, 0, v3, s[12:13]
	v_add_u32_e32 v2, v2, v3
	s_nop 1
	;; [unrolled: 4-line block ×4, first 2 shown]
	v_mov_b32_dpp v3, v2 row_bcast:15 row_mask:0xf bank_mask:0xf
	v_cndmask_b32_e64 v3, v3, 0, s[6:7]
	v_add_u32_e32 v2, v2, v3
	s_nop 1
	v_mov_b32_dpp v3, v2 row_bcast:31 row_mask:0xf bank_mask:0xf
	v_cndmask_b32_e64 v3, 0, v3, s[18:19]
	v_add_u32_e32 v2, v2, v3
	s_and_saveexec_b64 s[0:1], s[4:5]
	s_cbranch_execz .LBB3308_102
; %bb.101:
	v_lshlrev_b32_e32 v3, 2, v56
	ds_write_b32 v3, v2
.LBB3308_102:
	s_or_b64 exec, exec, s[0:1]
	v_cmp_gt_u32_e32 vcc, 8, v0
	s_waitcnt lgkmcnt(0)
	s_barrier
	s_and_saveexec_b64 s[0:1], vcc
	s_cbranch_execz .LBB3308_104
; %bb.103:
	v_mad_i32_i24 v3, v0, -11, v21
	ds_read_b32 v4, v3
	v_and_b32_e32 v5, 7, v55
	v_cmp_ne_u32_e32 vcc, 0, v5
	s_waitcnt lgkmcnt(0)
	v_mov_b32_dpp v6, v4 row_shr:1 row_mask:0xf bank_mask:0xf
	v_cndmask_b32_e32 v6, 0, v6, vcc
	v_add_u32_e32 v4, v6, v4
	v_cmp_lt_u32_e32 vcc, 1, v5
	s_nop 0
	v_mov_b32_dpp v6, v4 row_shr:2 row_mask:0xf bank_mask:0xf
	v_cndmask_b32_e32 v6, 0, v6, vcc
	v_add_u32_e32 v4, v4, v6
	v_cmp_lt_u32_e32 vcc, 3, v5
	s_nop 0
	v_mov_b32_dpp v6, v4 row_shr:4 row_mask:0xf bank_mask:0xf
	v_cndmask_b32_e32 v5, 0, v6, vcc
	v_add_u32_e32 v4, v4, v5
	ds_write_b32 v3, v4
.LBB3308_104:
	s_or_b64 exec, exec, s[0:1]
	v_cmp_lt_u32_e32 vcc, 63, v0
	v_mov_b32_e32 v4, 0
	v_mov_b32_e32 v3, 0
	s_waitcnt lgkmcnt(0)
	s_barrier
	s_and_saveexec_b64 s[0:1], vcc
	s_cbranch_execz .LBB3308_106
; %bb.105:
	v_lshl_add_u32 v3, v56, 2, -4
	ds_read_b32 v3, v3
.LBB3308_106:
	s_or_b64 exec, exec, s[0:1]
	v_add_u32_e32 v5, -1, v55
	v_and_b32_e32 v6, 64, v55
	v_cmp_lt_i32_e32 vcc, v5, v6
	s_waitcnt lgkmcnt(0)
	v_add_u32_e32 v2, v3, v2
	ds_read_b32 v38, v4 offset:28
	v_cndmask_b32_e32 v5, v5, v55, vcc
	v_lshlrev_b32_e32 v5, 2, v5
	ds_bpermute_b32 v2, v5, v2
	v_cmp_eq_u32_e32 vcc, 0, v0
	s_and_saveexec_b64 s[0:1], vcc
	s_cbranch_execz .LBB3308_108
; %bb.107:
	v_mov_b32_e32 v4, 0
	v_mov_b32_e32 v39, 2
	s_waitcnt lgkmcnt(1)
	global_store_dwordx2 v4, v[38:39], s[28:29] offset:512 sc1
.LBB3308_108:
	s_or_b64 exec, exec, s[0:1]
	v_cmp_eq_u32_e64 s[0:1], 0, v55
	v_mov_b32_e32 v40, 0
	s_waitcnt lgkmcnt(0)
	v_cndmask_b32_e64 v2, v2, v3, s[0:1]
	v_cndmask_b32_e64 v2, v2, 0, vcc
	v_add_u32_e32 v3, v2, v52
	v_add_u32_e32 v4, v3, v53
	;; [unrolled: 1-line block ×14, first 2 shown]
	s_barrier
.LBB3308_109:
	v_add_u32_e32 v21, v38, v21
	v_sub_u32_e32 v2, v2, v40
	v_and_b32_e32 v48, 1, v18
	v_sub_u32_e32 v47, v21, v2
	v_cmp_eq_u32_e32 vcc, 1, v48
	v_lshrrev_b32_e32 v46, 8, v18
	v_lshrrev_b32_e32 v39, 8, v19
	v_cndmask_b32_e32 v2, v47, v2, vcc
	v_lshlrev_b32_e32 v2, 2, v2
	ds_write_b32 v2, v36
	v_sub_u32_e32 v2, v3, v40
	v_sub_u32_e32 v3, v21, v2
	v_and_b32_e32 v36, 1, v46
	v_add_u32_e32 v3, 1, v3
	v_cmp_eq_u32_e32 vcc, 1, v36
	v_lshrrev_b32_e32 v17, 8, v20
	s_nop 0
	v_cndmask_b32_e32 v2, v3, v2, vcc
	v_lshlrev_b32_e32 v2, 2, v2
	ds_write_b32 v2, v37
	v_sub_u32_e32 v2, v4, v40
	v_mov_b32_e32 v4, 1
	v_sub_u32_e32 v3, v21, v2
	v_and_b32_sdwa v18, v4, v18 dst_sel:DWORD dst_unused:UNUSED_PAD src0_sel:DWORD src1_sel:WORD_1
	v_add_u32_e32 v3, 2, v3
	v_cmp_eq_u32_e32 vcc, 1, v18
	v_or_b32_e32 v18, 0x1c00, v0
	s_nop 0
	v_cndmask_b32_e32 v2, v3, v2, vcc
	v_lshlrev_b32_e32 v2, 2, v2
	ds_write_b32 v2, v34
	v_sub_u32_e32 v2, v5, v40
	v_sub_u32_e32 v3, v21, v2
	v_and_b32_e32 v5, 1, v45
	v_add_u32_e32 v3, 3, v3
	v_cmp_eq_u32_e32 vcc, 1, v5
	v_and_b32_e32 v5, 1, v19
	s_nop 0
	v_cndmask_b32_e32 v2, v3, v2, vcc
	v_lshlrev_b32_e32 v2, 2, v2
	ds_write_b32 v2, v35
	v_sub_u32_e32 v2, v6, v40
	v_sub_u32_e32 v3, v21, v2
	v_add_u32_e32 v3, 4, v3
	v_cmp_eq_u32_e32 vcc, 1, v5
	v_and_b32_e32 v5, 1, v39
	s_nop 0
	v_cndmask_b32_e32 v2, v3, v2, vcc
	v_lshlrev_b32_e32 v2, 2, v2
	ds_write_b32 v2, v32
	v_sub_u32_e32 v2, v7, v40
	v_sub_u32_e32 v3, v21, v2
	v_add_u32_e32 v3, 5, v3
	v_cmp_eq_u32_e32 vcc, 1, v5
	v_and_b32_sdwa v5, v4, v19 dst_sel:DWORD dst_unused:UNUSED_PAD src0_sel:DWORD src1_sel:WORD_1
	v_and_b32_sdwa v4, v4, v20 dst_sel:DWORD dst_unused:UNUSED_PAD src0_sel:DWORD src1_sel:WORD_1
	v_cndmask_b32_e32 v2, v3, v2, vcc
	v_lshlrev_b32_e32 v2, 2, v2
	ds_write_b32 v2, v33
	v_sub_u32_e32 v2, v8, v40
	v_sub_u32_e32 v3, v21, v2
	v_add_u32_e32 v3, 6, v3
	v_cmp_eq_u32_e32 vcc, 1, v5
	v_and_b32_e32 v5, 1, v44
	v_or_b32_e32 v32, 0x200, v0
	v_cndmask_b32_e32 v2, v3, v2, vcc
	v_lshlrev_b32_e32 v2, 2, v2
	ds_write_b32 v2, v30
	v_sub_u32_e32 v2, v9, v40
	v_sub_u32_e32 v3, v21, v2
	v_add_u32_e32 v3, 7, v3
	v_cmp_eq_u32_e32 vcc, 1, v5
	v_and_b32_e32 v5, 1, v20
	v_or_b32_e32 v30, 0x600, v0
	;; [unrolled: 9-line block ×3, first 2 shown]
	v_cndmask_b32_e32 v2, v3, v2, vcc
	v_lshlrev_b32_e32 v2, 2, v2
	ds_write_b32 v2, v28
	v_sub_u32_e32 v2, v11, v40
	v_sub_u32_e32 v3, v21, v2
	v_add_u32_e32 v3, 9, v3
	v_cmp_eq_u32_e32 vcc, 1, v5
	v_or_b32_e32 v28, 0xa00, v0
	v_or_b32_e32 v20, 0x1800, v0
	v_cndmask_b32_e32 v2, v3, v2, vcc
	v_lshlrev_b32_e32 v2, 2, v2
	ds_write_b32 v2, v29
	v_sub_u32_e32 v2, v12, v40
	v_sub_u32_e32 v3, v21, v2
	v_add_u32_e32 v3, 10, v3
	v_cmp_eq_u32_e32 vcc, 1, v4
	v_and_b32_e32 v4, 1, v42
	v_or_b32_e32 v29, 0x800, v0
	v_cndmask_b32_e32 v2, v3, v2, vcc
	v_lshlrev_b32_e32 v2, 2, v2
	ds_write_b32 v2, v26
	v_sub_u32_e32 v2, v13, v40
	v_sub_u32_e32 v3, v21, v2
	v_add_u32_e32 v3, 11, v3
	v_cmp_eq_u32_e32 vcc, 1, v4
	v_or_b32_e32 v26, 0xe00, v0
	v_or_b32_e32 v19, 0x1a00, v0
	v_cndmask_b32_e32 v2, v3, v2, vcc
	v_lshlrev_b32_e32 v2, 2, v2
	ds_write_b32 v2, v27
	v_sub_u32_e32 v2, v14, v40
	v_sub_u32_e32 v3, v21, v2
	v_add_u32_e32 v3, 12, v3
	v_cmp_eq_u32_e32 vcc, 1, v43
	v_or_b32_e32 v27, 0xc00, v0
	s_nop 0
	v_cndmask_b32_e32 v2, v3, v2, vcc
	v_lshlrev_b32_e32 v2, 2, v2
	ds_write_b32 v2, v24
	v_sub_u32_e32 v2, v15, v40
	v_sub_u32_e32 v3, v21, v2
	v_add_u32_e32 v3, 13, v3
	v_cmp_eq_u32_e32 vcc, 1, v41
	v_or_b32_e32 v24, 0x1200, v0
	s_nop 0
	v_cndmask_b32_e32 v2, v3, v2, vcc
	v_lshlrev_b32_e32 v2, 2, v2
	ds_write_b32 v2, v25
	v_sub_u32_e32 v2, v16, v40
	v_sub_u32_e32 v3, v21, v2
	v_add_u32_e32 v3, 14, v3
	v_cmp_eq_u32_e32 vcc, 1, v23
	v_or_b32_e32 v25, 0x1000, v0
	v_or_b32_e32 v23, 0x1400, v0
	v_cndmask_b32_e32 v2, v3, v2, vcc
	v_lshlrev_b32_e32 v2, 2, v2
	ds_write_b32 v2, v1
	s_waitcnt lgkmcnt(0)
	s_barrier
	ds_read2st64_b32 v[16:17], v22 offset1:8
	ds_read2st64_b32 v[14:15], v22 offset0:16 offset1:24
	ds_read2st64_b32 v[12:13], v22 offset0:32 offset1:40
	;; [unrolled: 1-line block ×6, first 2 shown]
	ds_read_b32 v1, v22 offset:28672
	v_or_b32_e32 v21, 0x1600, v0
	s_andn2_b64 vcc, exec, s[26:27]
	s_cbranch_vccnz .LBB3308_126
; %bb.110:
	s_lshl_b64 s[0:1], s[22:23], 2
	v_mov_b32_e32 v41, 0
	s_add_u32 s0, s2, s0
	s_addc_u32 s1, s3, s1
	v_lshlrev_b64 v[4:5], 2, v[40:41]
	v_lshl_add_u64 v[4:5], s[0:1], 0, v[4:5]
	v_cmp_gt_u32_e32 vcc, v38, v0
	s_and_saveexec_b64 s[0:1], vcc
	s_cbranch_execnz .LBB3308_148
; %bb.111:
	s_or_b64 exec, exec, s[0:1]
	v_cmp_lt_u32_e32 vcc, v32, v38
	s_and_saveexec_b64 s[0:1], vcc
	s_cbranch_execnz .LBB3308_149
.LBB3308_112:
	s_or_b64 exec, exec, s[0:1]
	v_cmp_lt_u32_e32 vcc, v31, v38
	s_and_saveexec_b64 s[0:1], vcc
	s_cbranch_execnz .LBB3308_150
.LBB3308_113:
	s_or_b64 exec, exec, s[0:1]
	v_cmp_lt_u32_e32 vcc, v30, v38
	s_and_saveexec_b64 s[0:1], vcc
	s_cbranch_execnz .LBB3308_151
.LBB3308_114:
	s_or_b64 exec, exec, s[0:1]
	v_cmp_lt_u32_e32 vcc, v29, v38
	s_and_saveexec_b64 s[0:1], vcc
	s_cbranch_execnz .LBB3308_152
.LBB3308_115:
	s_or_b64 exec, exec, s[0:1]
	v_cmp_lt_u32_e32 vcc, v28, v38
	s_and_saveexec_b64 s[0:1], vcc
	s_cbranch_execnz .LBB3308_153
.LBB3308_116:
	s_or_b64 exec, exec, s[0:1]
	v_cmp_lt_u32_e32 vcc, v27, v38
	s_and_saveexec_b64 s[0:1], vcc
	s_cbranch_execnz .LBB3308_154
.LBB3308_117:
	s_or_b64 exec, exec, s[0:1]
	v_cmp_lt_u32_e32 vcc, v26, v38
	s_and_saveexec_b64 s[0:1], vcc
	s_cbranch_execnz .LBB3308_155
.LBB3308_118:
	s_or_b64 exec, exec, s[0:1]
	v_cmp_lt_u32_e32 vcc, v25, v38
	s_and_saveexec_b64 s[0:1], vcc
	s_cbranch_execnz .LBB3308_156
.LBB3308_119:
	s_or_b64 exec, exec, s[0:1]
	v_cmp_lt_u32_e32 vcc, v24, v38
	s_and_saveexec_b64 s[0:1], vcc
	s_cbranch_execnz .LBB3308_157
.LBB3308_120:
	s_or_b64 exec, exec, s[0:1]
	v_cmp_lt_u32_e32 vcc, v23, v38
	s_and_saveexec_b64 s[0:1], vcc
	s_cbranch_execnz .LBB3308_158
.LBB3308_121:
	s_or_b64 exec, exec, s[0:1]
	v_cmp_lt_u32_e32 vcc, v21, v38
	s_and_saveexec_b64 s[0:1], vcc
	s_cbranch_execnz .LBB3308_159
.LBB3308_122:
	s_or_b64 exec, exec, s[0:1]
	v_cmp_lt_u32_e32 vcc, v20, v38
	s_and_saveexec_b64 s[0:1], vcc
	s_cbranch_execnz .LBB3308_160
.LBB3308_123:
	s_or_b64 exec, exec, s[0:1]
	v_cmp_lt_u32_e32 vcc, v19, v38
	s_and_saveexec_b64 s[0:1], vcc
	s_cbranch_execz .LBB3308_125
.LBB3308_124:
	v_lshlrev_b32_e32 v33, 2, v19
	v_readfirstlane_b32 s4, v4
	v_readfirstlane_b32 s5, v5
	s_waitcnt lgkmcnt(1)
	s_nop 3
	global_store_dword v33, v3, s[4:5]
.LBB3308_125:
	s_or_b64 exec, exec, s[0:1]
	v_cmp_lt_u32_e64 s[0:1], v18, v38
	s_branch .LBB3308_143
.LBB3308_126:
	s_mov_b64 s[0:1], 0
                                        ; implicit-def: $vgpr4_vgpr5
	s_cbranch_execz .LBB3308_143
; %bb.127:
	s_lshl_b64 s[0:1], s[22:23], 2
	v_mov_b32_e32 v41, 0
	s_add_u32 s0, s2, s0
	v_min_u32_e32 v33, s33, v38
	s_addc_u32 s1, s3, s1
	v_lshlrev_b64 v[4:5], 2, v[40:41]
	v_lshl_add_u64 v[4:5], s[0:1], 0, v[4:5]
	v_cmp_gt_u32_e32 vcc, v33, v0
	s_and_saveexec_b64 s[0:1], vcc
	s_cbranch_execnz .LBB3308_161
; %bb.128:
	s_or_b64 exec, exec, s[0:1]
	v_cmp_lt_u32_e32 vcc, v32, v33
	s_and_saveexec_b64 s[0:1], vcc
	s_cbranch_execnz .LBB3308_162
.LBB3308_129:
	s_or_b64 exec, exec, s[0:1]
	v_cmp_lt_u32_e32 vcc, v31, v33
	s_and_saveexec_b64 s[0:1], vcc
	s_cbranch_execnz .LBB3308_163
.LBB3308_130:
	s_or_b64 exec, exec, s[0:1]
	v_cmp_lt_u32_e32 vcc, v30, v33
	s_and_saveexec_b64 s[0:1], vcc
	s_cbranch_execnz .LBB3308_164
.LBB3308_131:
	s_or_b64 exec, exec, s[0:1]
	v_cmp_lt_u32_e32 vcc, v29, v33
	s_and_saveexec_b64 s[0:1], vcc
	s_cbranch_execnz .LBB3308_165
.LBB3308_132:
	s_or_b64 exec, exec, s[0:1]
	v_cmp_lt_u32_e32 vcc, v28, v33
	s_and_saveexec_b64 s[0:1], vcc
	s_cbranch_execnz .LBB3308_166
.LBB3308_133:
	s_or_b64 exec, exec, s[0:1]
	v_cmp_lt_u32_e32 vcc, v27, v33
	s_and_saveexec_b64 s[0:1], vcc
	s_cbranch_execnz .LBB3308_167
.LBB3308_134:
	s_or_b64 exec, exec, s[0:1]
	v_cmp_lt_u32_e32 vcc, v26, v33
	s_and_saveexec_b64 s[0:1], vcc
	s_cbranch_execnz .LBB3308_168
.LBB3308_135:
	s_or_b64 exec, exec, s[0:1]
	v_cmp_lt_u32_e32 vcc, v25, v33
	s_and_saveexec_b64 s[0:1], vcc
	s_cbranch_execnz .LBB3308_169
.LBB3308_136:
	s_or_b64 exec, exec, s[0:1]
	v_cmp_lt_u32_e32 vcc, v24, v33
	s_and_saveexec_b64 s[0:1], vcc
	s_cbranch_execnz .LBB3308_170
.LBB3308_137:
	s_or_b64 exec, exec, s[0:1]
	v_cmp_lt_u32_e32 vcc, v23, v33
	s_and_saveexec_b64 s[0:1], vcc
	s_cbranch_execnz .LBB3308_171
.LBB3308_138:
	s_or_b64 exec, exec, s[0:1]
	v_cmp_lt_u32_e32 vcc, v21, v33
	s_and_saveexec_b64 s[0:1], vcc
	s_cbranch_execnz .LBB3308_172
.LBB3308_139:
	s_or_b64 exec, exec, s[0:1]
	v_cmp_lt_u32_e32 vcc, v20, v33
	s_and_saveexec_b64 s[0:1], vcc
	s_cbranch_execnz .LBB3308_173
.LBB3308_140:
	s_or_b64 exec, exec, s[0:1]
	v_cmp_lt_u32_e32 vcc, v19, v33
	s_and_saveexec_b64 s[0:1], vcc
	s_cbranch_execz .LBB3308_142
.LBB3308_141:
	s_waitcnt lgkmcnt(1)
	v_lshlrev_b32_e32 v2, 2, v19
	v_readfirstlane_b32 s2, v4
	v_readfirstlane_b32 s3, v5
	s_nop 4
	global_store_dword v2, v3, s[2:3]
.LBB3308_142:
	s_or_b64 exec, exec, s[0:1]
	v_cmp_lt_u32_e64 s[0:1], v18, v33
.LBB3308_143:
	s_and_saveexec_b64 s[2:3], s[0:1]
	s_cbranch_execz .LBB3308_145
; %bb.144:
	s_waitcnt lgkmcnt(1)
	v_lshlrev_b32_e32 v2, 2, v18
	v_readfirstlane_b32 s0, v4
	v_readfirstlane_b32 s1, v5
	s_waitcnt lgkmcnt(0)
	s_nop 3
	global_store_dword v2, v1, s[0:1]
.LBB3308_145:
	s_or_b64 exec, exec, s[2:3]
	v_cmp_eq_u32_e32 vcc, 0, v0
	s_and_b64 s[0:1], vcc, s[24:25]
	s_and_saveexec_b64 s[2:3], s[0:1]
	s_cbranch_execz .LBB3308_147
; %bb.146:
	v_mov_b32_e32 v39, 0
	s_waitcnt lgkmcnt(0)
	v_lshl_add_u64 v[0:1], s[22:23], 0, v[38:39]
	v_mov_b32_e32 v41, v39
	v_lshl_add_u64 v[0:1], v[0:1], 0, v[40:41]
	global_store_dwordx2 v39, v[0:1], s[20:21]
.LBB3308_147:
	s_endpgm
.LBB3308_148:
	v_readfirstlane_b32 s4, v4
	v_readfirstlane_b32 s5, v5
	s_waitcnt lgkmcnt(7)
	s_nop 3
	global_store_dword v22, v16, s[4:5]
	s_or_b64 exec, exec, s[0:1]
	v_cmp_lt_u32_e32 vcc, v32, v38
	s_and_saveexec_b64 s[0:1], vcc
	s_cbranch_execz .LBB3308_112
.LBB3308_149:
	v_readfirstlane_b32 s4, v4
	v_readfirstlane_b32 s5, v5
	s_waitcnt lgkmcnt(7)
	s_nop 3
	global_store_dword v22, v17, s[4:5] offset:2048
	s_or_b64 exec, exec, s[0:1]
	v_cmp_lt_u32_e32 vcc, v31, v38
	s_and_saveexec_b64 s[0:1], vcc
	s_cbranch_execz .LBB3308_113
.LBB3308_150:
	v_lshlrev_b32_e32 v33, 2, v31
	v_readfirstlane_b32 s4, v4
	v_readfirstlane_b32 s5, v5
	s_waitcnt lgkmcnt(6)
	s_nop 3
	global_store_dword v33, v14, s[4:5]
	s_or_b64 exec, exec, s[0:1]
	v_cmp_lt_u32_e32 vcc, v30, v38
	s_and_saveexec_b64 s[0:1], vcc
	s_cbranch_execz .LBB3308_114
.LBB3308_151:
	v_lshlrev_b32_e32 v33, 2, v30
	v_readfirstlane_b32 s4, v4
	v_readfirstlane_b32 s5, v5
	s_waitcnt lgkmcnt(6)
	s_nop 3
	global_store_dword v33, v15, s[4:5]
	s_or_b64 exec, exec, s[0:1]
	v_cmp_lt_u32_e32 vcc, v29, v38
	s_and_saveexec_b64 s[0:1], vcc
	s_cbranch_execz .LBB3308_115
.LBB3308_152:
	v_lshlrev_b32_e32 v33, 2, v29
	v_readfirstlane_b32 s4, v4
	v_readfirstlane_b32 s5, v5
	s_waitcnt lgkmcnt(5)
	s_nop 3
	global_store_dword v33, v12, s[4:5]
	s_or_b64 exec, exec, s[0:1]
	v_cmp_lt_u32_e32 vcc, v28, v38
	s_and_saveexec_b64 s[0:1], vcc
	s_cbranch_execz .LBB3308_116
.LBB3308_153:
	v_lshlrev_b32_e32 v33, 2, v28
	v_readfirstlane_b32 s4, v4
	v_readfirstlane_b32 s5, v5
	s_waitcnt lgkmcnt(5)
	s_nop 3
	global_store_dword v33, v13, s[4:5]
	s_or_b64 exec, exec, s[0:1]
	v_cmp_lt_u32_e32 vcc, v27, v38
	s_and_saveexec_b64 s[0:1], vcc
	s_cbranch_execz .LBB3308_117
.LBB3308_154:
	v_lshlrev_b32_e32 v33, 2, v27
	v_readfirstlane_b32 s4, v4
	v_readfirstlane_b32 s5, v5
	s_waitcnt lgkmcnt(4)
	s_nop 3
	global_store_dword v33, v10, s[4:5]
	s_or_b64 exec, exec, s[0:1]
	v_cmp_lt_u32_e32 vcc, v26, v38
	s_and_saveexec_b64 s[0:1], vcc
	s_cbranch_execz .LBB3308_118
.LBB3308_155:
	v_lshlrev_b32_e32 v33, 2, v26
	v_readfirstlane_b32 s4, v4
	v_readfirstlane_b32 s5, v5
	s_waitcnt lgkmcnt(4)
	s_nop 3
	global_store_dword v33, v11, s[4:5]
	s_or_b64 exec, exec, s[0:1]
	v_cmp_lt_u32_e32 vcc, v25, v38
	s_and_saveexec_b64 s[0:1], vcc
	s_cbranch_execz .LBB3308_119
.LBB3308_156:
	v_lshlrev_b32_e32 v33, 2, v25
	v_readfirstlane_b32 s4, v4
	v_readfirstlane_b32 s5, v5
	s_waitcnt lgkmcnt(3)
	s_nop 3
	global_store_dword v33, v8, s[4:5]
	s_or_b64 exec, exec, s[0:1]
	v_cmp_lt_u32_e32 vcc, v24, v38
	s_and_saveexec_b64 s[0:1], vcc
	s_cbranch_execz .LBB3308_120
.LBB3308_157:
	v_lshlrev_b32_e32 v33, 2, v24
	v_readfirstlane_b32 s4, v4
	v_readfirstlane_b32 s5, v5
	s_waitcnt lgkmcnt(3)
	s_nop 3
	global_store_dword v33, v9, s[4:5]
	s_or_b64 exec, exec, s[0:1]
	v_cmp_lt_u32_e32 vcc, v23, v38
	s_and_saveexec_b64 s[0:1], vcc
	s_cbranch_execz .LBB3308_121
.LBB3308_158:
	v_lshlrev_b32_e32 v33, 2, v23
	v_readfirstlane_b32 s4, v4
	v_readfirstlane_b32 s5, v5
	s_waitcnt lgkmcnt(2)
	s_nop 3
	global_store_dword v33, v6, s[4:5]
	s_or_b64 exec, exec, s[0:1]
	v_cmp_lt_u32_e32 vcc, v21, v38
	s_and_saveexec_b64 s[0:1], vcc
	s_cbranch_execz .LBB3308_122
.LBB3308_159:
	v_lshlrev_b32_e32 v33, 2, v21
	v_readfirstlane_b32 s4, v4
	v_readfirstlane_b32 s5, v5
	s_waitcnt lgkmcnt(2)
	s_nop 3
	global_store_dword v33, v7, s[4:5]
	s_or_b64 exec, exec, s[0:1]
	v_cmp_lt_u32_e32 vcc, v20, v38
	s_and_saveexec_b64 s[0:1], vcc
	s_cbranch_execz .LBB3308_123
.LBB3308_160:
	v_lshlrev_b32_e32 v33, 2, v20
	v_readfirstlane_b32 s4, v4
	v_readfirstlane_b32 s5, v5
	s_waitcnt lgkmcnt(1)
	s_nop 3
	global_store_dword v33, v2, s[4:5]
	s_or_b64 exec, exec, s[0:1]
	v_cmp_lt_u32_e32 vcc, v19, v38
	s_and_saveexec_b64 s[0:1], vcc
	s_cbranch_execnz .LBB3308_124
	s_branch .LBB3308_125
.LBB3308_161:
	v_readfirstlane_b32 s2, v4
	v_readfirstlane_b32 s3, v5
	s_waitcnt lgkmcnt(7)
	s_nop 3
	global_store_dword v22, v16, s[2:3]
	s_or_b64 exec, exec, s[0:1]
	v_cmp_lt_u32_e32 vcc, v32, v33
	s_and_saveexec_b64 s[0:1], vcc
	s_cbranch_execz .LBB3308_129
.LBB3308_162:
	v_readfirstlane_b32 s2, v4
	v_readfirstlane_b32 s3, v5
	s_waitcnt lgkmcnt(7)
	s_nop 3
	global_store_dword v22, v17, s[2:3] offset:2048
	s_or_b64 exec, exec, s[0:1]
	v_cmp_lt_u32_e32 vcc, v31, v33
	s_and_saveexec_b64 s[0:1], vcc
	s_cbranch_execz .LBB3308_130
.LBB3308_163:
	s_waitcnt lgkmcnt(7)
	v_lshlrev_b32_e32 v16, 2, v31
	v_readfirstlane_b32 s2, v4
	v_readfirstlane_b32 s3, v5
	s_waitcnt lgkmcnt(6)
	s_nop 3
	global_store_dword v16, v14, s[2:3]
	s_or_b64 exec, exec, s[0:1]
	v_cmp_lt_u32_e32 vcc, v30, v33
	s_and_saveexec_b64 s[0:1], vcc
	s_cbranch_execz .LBB3308_131
.LBB3308_164:
	s_waitcnt lgkmcnt(6)
	v_lshlrev_b32_e32 v14, 2, v30
	v_readfirstlane_b32 s2, v4
	v_readfirstlane_b32 s3, v5
	s_nop 4
	global_store_dword v14, v15, s[2:3]
	s_or_b64 exec, exec, s[0:1]
	v_cmp_lt_u32_e32 vcc, v29, v33
	s_and_saveexec_b64 s[0:1], vcc
	s_cbranch_execz .LBB3308_132
.LBB3308_165:
	s_waitcnt lgkmcnt(6)
	v_lshlrev_b32_e32 v14, 2, v29
	v_readfirstlane_b32 s2, v4
	v_readfirstlane_b32 s3, v5
	s_waitcnt lgkmcnt(5)
	s_nop 3
	global_store_dword v14, v12, s[2:3]
	s_or_b64 exec, exec, s[0:1]
	v_cmp_lt_u32_e32 vcc, v28, v33
	s_and_saveexec_b64 s[0:1], vcc
	s_cbranch_execz .LBB3308_133
.LBB3308_166:
	s_waitcnt lgkmcnt(5)
	v_lshlrev_b32_e32 v12, 2, v28
	v_readfirstlane_b32 s2, v4
	v_readfirstlane_b32 s3, v5
	s_nop 4
	global_store_dword v12, v13, s[2:3]
	s_or_b64 exec, exec, s[0:1]
	v_cmp_lt_u32_e32 vcc, v27, v33
	s_and_saveexec_b64 s[0:1], vcc
	s_cbranch_execz .LBB3308_134
.LBB3308_167:
	s_waitcnt lgkmcnt(5)
	v_lshlrev_b32_e32 v12, 2, v27
	v_readfirstlane_b32 s2, v4
	v_readfirstlane_b32 s3, v5
	s_waitcnt lgkmcnt(4)
	s_nop 3
	global_store_dword v12, v10, s[2:3]
	s_or_b64 exec, exec, s[0:1]
	v_cmp_lt_u32_e32 vcc, v26, v33
	s_and_saveexec_b64 s[0:1], vcc
	s_cbranch_execz .LBB3308_135
.LBB3308_168:
	s_waitcnt lgkmcnt(4)
	v_lshlrev_b32_e32 v10, 2, v26
	v_readfirstlane_b32 s2, v4
	v_readfirstlane_b32 s3, v5
	s_nop 4
	global_store_dword v10, v11, s[2:3]
	s_or_b64 exec, exec, s[0:1]
	v_cmp_lt_u32_e32 vcc, v25, v33
	s_and_saveexec_b64 s[0:1], vcc
	s_cbranch_execz .LBB3308_136
.LBB3308_169:
	s_waitcnt lgkmcnt(4)
	v_lshlrev_b32_e32 v10, 2, v25
	v_readfirstlane_b32 s2, v4
	v_readfirstlane_b32 s3, v5
	s_waitcnt lgkmcnt(3)
	s_nop 3
	global_store_dword v10, v8, s[2:3]
	s_or_b64 exec, exec, s[0:1]
	v_cmp_lt_u32_e32 vcc, v24, v33
	s_and_saveexec_b64 s[0:1], vcc
	s_cbranch_execz .LBB3308_137
.LBB3308_170:
	s_waitcnt lgkmcnt(3)
	v_lshlrev_b32_e32 v8, 2, v24
	v_readfirstlane_b32 s2, v4
	v_readfirstlane_b32 s3, v5
	s_nop 4
	global_store_dword v8, v9, s[2:3]
	s_or_b64 exec, exec, s[0:1]
	v_cmp_lt_u32_e32 vcc, v23, v33
	s_and_saveexec_b64 s[0:1], vcc
	s_cbranch_execz .LBB3308_138
.LBB3308_171:
	s_waitcnt lgkmcnt(3)
	v_lshlrev_b32_e32 v8, 2, v23
	v_readfirstlane_b32 s2, v4
	v_readfirstlane_b32 s3, v5
	s_waitcnt lgkmcnt(2)
	s_nop 3
	global_store_dword v8, v6, s[2:3]
	s_or_b64 exec, exec, s[0:1]
	v_cmp_lt_u32_e32 vcc, v21, v33
	s_and_saveexec_b64 s[0:1], vcc
	s_cbranch_execz .LBB3308_139
.LBB3308_172:
	s_waitcnt lgkmcnt(2)
	v_lshlrev_b32_e32 v6, 2, v21
	v_readfirstlane_b32 s2, v4
	v_readfirstlane_b32 s3, v5
	s_nop 4
	global_store_dword v6, v7, s[2:3]
	s_or_b64 exec, exec, s[0:1]
	v_cmp_lt_u32_e32 vcc, v20, v33
	s_and_saveexec_b64 s[0:1], vcc
	s_cbranch_execz .LBB3308_140
.LBB3308_173:
	s_waitcnt lgkmcnt(2)
	v_lshlrev_b32_e32 v6, 2, v20
	v_readfirstlane_b32 s2, v4
	v_readfirstlane_b32 s3, v5
	s_waitcnt lgkmcnt(1)
	s_nop 3
	global_store_dword v6, v2, s[2:3]
	s_or_b64 exec, exec, s[0:1]
	v_cmp_lt_u32_e32 vcc, v19, v33
	s_and_saveexec_b64 s[0:1], vcc
	s_cbranch_execnz .LBB3308_141
	s_branch .LBB3308_142
	.section	.rodata,"a",@progbits
	.p2align	6, 0x0
	.amdhsa_kernel _ZN7rocprim17ROCPRIM_400000_NS6detail17trampoline_kernelINS0_14default_configENS1_25partition_config_selectorILNS1_17partition_subalgoE1EiNS0_10empty_typeEbEEZZNS1_14partition_implILS5_1ELb0ES3_jN6thrust23THRUST_200600_302600_NS6detail15normal_iteratorINSA_10device_ptrIiEEEEPS6_NSA_18transform_iteratorI7is_evenIiESF_NSA_11use_defaultESK_EENS0_5tupleIJSF_NSA_16discard_iteratorISK_EEEEENSM_IJSG_SG_EEES6_PlJS6_EEE10hipError_tPvRmT3_T4_T5_T6_T7_T9_mT8_P12ihipStream_tbDpT10_ENKUlT_T0_E_clISt17integral_constantIbLb1EES1A_IbLb0EEEEDaS16_S17_EUlS16_E_NS1_11comp_targetILNS1_3genE5ELNS1_11target_archE942ELNS1_3gpuE9ELNS1_3repE0EEENS1_30default_config_static_selectorELNS0_4arch9wavefront6targetE1EEEvT1_
		.amdhsa_group_segment_fixed_size 30728
		.amdhsa_private_segment_fixed_size 0
		.amdhsa_kernarg_size 136
		.amdhsa_user_sgpr_count 2
		.amdhsa_user_sgpr_dispatch_ptr 0
		.amdhsa_user_sgpr_queue_ptr 0
		.amdhsa_user_sgpr_kernarg_segment_ptr 1
		.amdhsa_user_sgpr_dispatch_id 0
		.amdhsa_user_sgpr_kernarg_preload_length 0
		.amdhsa_user_sgpr_kernarg_preload_offset 0
		.amdhsa_user_sgpr_private_segment_size 0
		.amdhsa_uses_dynamic_stack 0
		.amdhsa_enable_private_segment 0
		.amdhsa_system_sgpr_workgroup_id_x 1
		.amdhsa_system_sgpr_workgroup_id_y 0
		.amdhsa_system_sgpr_workgroup_id_z 0
		.amdhsa_system_sgpr_workgroup_info 0
		.amdhsa_system_vgpr_workitem_id 0
		.amdhsa_next_free_vgpr 65
		.amdhsa_next_free_sgpr 40
		.amdhsa_accum_offset 68
		.amdhsa_reserve_vcc 1
		.amdhsa_float_round_mode_32 0
		.amdhsa_float_round_mode_16_64 0
		.amdhsa_float_denorm_mode_32 3
		.amdhsa_float_denorm_mode_16_64 3
		.amdhsa_dx10_clamp 1
		.amdhsa_ieee_mode 1
		.amdhsa_fp16_overflow 0
		.amdhsa_tg_split 0
		.amdhsa_exception_fp_ieee_invalid_op 0
		.amdhsa_exception_fp_denorm_src 0
		.amdhsa_exception_fp_ieee_div_zero 0
		.amdhsa_exception_fp_ieee_overflow 0
		.amdhsa_exception_fp_ieee_underflow 0
		.amdhsa_exception_fp_ieee_inexact 0
		.amdhsa_exception_int_div_zero 0
	.end_amdhsa_kernel
	.section	.text._ZN7rocprim17ROCPRIM_400000_NS6detail17trampoline_kernelINS0_14default_configENS1_25partition_config_selectorILNS1_17partition_subalgoE1EiNS0_10empty_typeEbEEZZNS1_14partition_implILS5_1ELb0ES3_jN6thrust23THRUST_200600_302600_NS6detail15normal_iteratorINSA_10device_ptrIiEEEEPS6_NSA_18transform_iteratorI7is_evenIiESF_NSA_11use_defaultESK_EENS0_5tupleIJSF_NSA_16discard_iteratorISK_EEEEENSM_IJSG_SG_EEES6_PlJS6_EEE10hipError_tPvRmT3_T4_T5_T6_T7_T9_mT8_P12ihipStream_tbDpT10_ENKUlT_T0_E_clISt17integral_constantIbLb1EES1A_IbLb0EEEEDaS16_S17_EUlS16_E_NS1_11comp_targetILNS1_3genE5ELNS1_11target_archE942ELNS1_3gpuE9ELNS1_3repE0EEENS1_30default_config_static_selectorELNS0_4arch9wavefront6targetE1EEEvT1_,"axG",@progbits,_ZN7rocprim17ROCPRIM_400000_NS6detail17trampoline_kernelINS0_14default_configENS1_25partition_config_selectorILNS1_17partition_subalgoE1EiNS0_10empty_typeEbEEZZNS1_14partition_implILS5_1ELb0ES3_jN6thrust23THRUST_200600_302600_NS6detail15normal_iteratorINSA_10device_ptrIiEEEEPS6_NSA_18transform_iteratorI7is_evenIiESF_NSA_11use_defaultESK_EENS0_5tupleIJSF_NSA_16discard_iteratorISK_EEEEENSM_IJSG_SG_EEES6_PlJS6_EEE10hipError_tPvRmT3_T4_T5_T6_T7_T9_mT8_P12ihipStream_tbDpT10_ENKUlT_T0_E_clISt17integral_constantIbLb1EES1A_IbLb0EEEEDaS16_S17_EUlS16_E_NS1_11comp_targetILNS1_3genE5ELNS1_11target_archE942ELNS1_3gpuE9ELNS1_3repE0EEENS1_30default_config_static_selectorELNS0_4arch9wavefront6targetE1EEEvT1_,comdat
.Lfunc_end3308:
	.size	_ZN7rocprim17ROCPRIM_400000_NS6detail17trampoline_kernelINS0_14default_configENS1_25partition_config_selectorILNS1_17partition_subalgoE1EiNS0_10empty_typeEbEEZZNS1_14partition_implILS5_1ELb0ES3_jN6thrust23THRUST_200600_302600_NS6detail15normal_iteratorINSA_10device_ptrIiEEEEPS6_NSA_18transform_iteratorI7is_evenIiESF_NSA_11use_defaultESK_EENS0_5tupleIJSF_NSA_16discard_iteratorISK_EEEEENSM_IJSG_SG_EEES6_PlJS6_EEE10hipError_tPvRmT3_T4_T5_T6_T7_T9_mT8_P12ihipStream_tbDpT10_ENKUlT_T0_E_clISt17integral_constantIbLb1EES1A_IbLb0EEEEDaS16_S17_EUlS16_E_NS1_11comp_targetILNS1_3genE5ELNS1_11target_archE942ELNS1_3gpuE9ELNS1_3repE0EEENS1_30default_config_static_selectorELNS0_4arch9wavefront6targetE1EEEvT1_, .Lfunc_end3308-_ZN7rocprim17ROCPRIM_400000_NS6detail17trampoline_kernelINS0_14default_configENS1_25partition_config_selectorILNS1_17partition_subalgoE1EiNS0_10empty_typeEbEEZZNS1_14partition_implILS5_1ELb0ES3_jN6thrust23THRUST_200600_302600_NS6detail15normal_iteratorINSA_10device_ptrIiEEEEPS6_NSA_18transform_iteratorI7is_evenIiESF_NSA_11use_defaultESK_EENS0_5tupleIJSF_NSA_16discard_iteratorISK_EEEEENSM_IJSG_SG_EEES6_PlJS6_EEE10hipError_tPvRmT3_T4_T5_T6_T7_T9_mT8_P12ihipStream_tbDpT10_ENKUlT_T0_E_clISt17integral_constantIbLb1EES1A_IbLb0EEEEDaS16_S17_EUlS16_E_NS1_11comp_targetILNS1_3genE5ELNS1_11target_archE942ELNS1_3gpuE9ELNS1_3repE0EEENS1_30default_config_static_selectorELNS0_4arch9wavefront6targetE1EEEvT1_
                                        ; -- End function
	.section	.AMDGPU.csdata,"",@progbits
; Kernel info:
; codeLenInByte = 7848
; NumSgprs: 46
; NumVgprs: 65
; NumAgprs: 0
; TotalNumVgprs: 65
; ScratchSize: 0
; MemoryBound: 0
; FloatMode: 240
; IeeeMode: 1
; LDSByteSize: 30728 bytes/workgroup (compile time only)
; SGPRBlocks: 5
; VGPRBlocks: 8
; NumSGPRsForWavesPerEU: 46
; NumVGPRsForWavesPerEU: 65
; AccumOffset: 68
; Occupancy: 4
; WaveLimiterHint : 1
; COMPUTE_PGM_RSRC2:SCRATCH_EN: 0
; COMPUTE_PGM_RSRC2:USER_SGPR: 2
; COMPUTE_PGM_RSRC2:TRAP_HANDLER: 0
; COMPUTE_PGM_RSRC2:TGID_X_EN: 1
; COMPUTE_PGM_RSRC2:TGID_Y_EN: 0
; COMPUTE_PGM_RSRC2:TGID_Z_EN: 0
; COMPUTE_PGM_RSRC2:TIDIG_COMP_CNT: 0
; COMPUTE_PGM_RSRC3_GFX90A:ACCUM_OFFSET: 16
; COMPUTE_PGM_RSRC3_GFX90A:TG_SPLIT: 0
	.section	.text._ZN7rocprim17ROCPRIM_400000_NS6detail17trampoline_kernelINS0_14default_configENS1_25partition_config_selectorILNS1_17partition_subalgoE1EiNS0_10empty_typeEbEEZZNS1_14partition_implILS5_1ELb0ES3_jN6thrust23THRUST_200600_302600_NS6detail15normal_iteratorINSA_10device_ptrIiEEEEPS6_NSA_18transform_iteratorI7is_evenIiESF_NSA_11use_defaultESK_EENS0_5tupleIJSF_NSA_16discard_iteratorISK_EEEEENSM_IJSG_SG_EEES6_PlJS6_EEE10hipError_tPvRmT3_T4_T5_T6_T7_T9_mT8_P12ihipStream_tbDpT10_ENKUlT_T0_E_clISt17integral_constantIbLb1EES1A_IbLb0EEEEDaS16_S17_EUlS16_E_NS1_11comp_targetILNS1_3genE4ELNS1_11target_archE910ELNS1_3gpuE8ELNS1_3repE0EEENS1_30default_config_static_selectorELNS0_4arch9wavefront6targetE1EEEvT1_,"axG",@progbits,_ZN7rocprim17ROCPRIM_400000_NS6detail17trampoline_kernelINS0_14default_configENS1_25partition_config_selectorILNS1_17partition_subalgoE1EiNS0_10empty_typeEbEEZZNS1_14partition_implILS5_1ELb0ES3_jN6thrust23THRUST_200600_302600_NS6detail15normal_iteratorINSA_10device_ptrIiEEEEPS6_NSA_18transform_iteratorI7is_evenIiESF_NSA_11use_defaultESK_EENS0_5tupleIJSF_NSA_16discard_iteratorISK_EEEEENSM_IJSG_SG_EEES6_PlJS6_EEE10hipError_tPvRmT3_T4_T5_T6_T7_T9_mT8_P12ihipStream_tbDpT10_ENKUlT_T0_E_clISt17integral_constantIbLb1EES1A_IbLb0EEEEDaS16_S17_EUlS16_E_NS1_11comp_targetILNS1_3genE4ELNS1_11target_archE910ELNS1_3gpuE8ELNS1_3repE0EEENS1_30default_config_static_selectorELNS0_4arch9wavefront6targetE1EEEvT1_,comdat
	.protected	_ZN7rocprim17ROCPRIM_400000_NS6detail17trampoline_kernelINS0_14default_configENS1_25partition_config_selectorILNS1_17partition_subalgoE1EiNS0_10empty_typeEbEEZZNS1_14partition_implILS5_1ELb0ES3_jN6thrust23THRUST_200600_302600_NS6detail15normal_iteratorINSA_10device_ptrIiEEEEPS6_NSA_18transform_iteratorI7is_evenIiESF_NSA_11use_defaultESK_EENS0_5tupleIJSF_NSA_16discard_iteratorISK_EEEEENSM_IJSG_SG_EEES6_PlJS6_EEE10hipError_tPvRmT3_T4_T5_T6_T7_T9_mT8_P12ihipStream_tbDpT10_ENKUlT_T0_E_clISt17integral_constantIbLb1EES1A_IbLb0EEEEDaS16_S17_EUlS16_E_NS1_11comp_targetILNS1_3genE4ELNS1_11target_archE910ELNS1_3gpuE8ELNS1_3repE0EEENS1_30default_config_static_selectorELNS0_4arch9wavefront6targetE1EEEvT1_ ; -- Begin function _ZN7rocprim17ROCPRIM_400000_NS6detail17trampoline_kernelINS0_14default_configENS1_25partition_config_selectorILNS1_17partition_subalgoE1EiNS0_10empty_typeEbEEZZNS1_14partition_implILS5_1ELb0ES3_jN6thrust23THRUST_200600_302600_NS6detail15normal_iteratorINSA_10device_ptrIiEEEEPS6_NSA_18transform_iteratorI7is_evenIiESF_NSA_11use_defaultESK_EENS0_5tupleIJSF_NSA_16discard_iteratorISK_EEEEENSM_IJSG_SG_EEES6_PlJS6_EEE10hipError_tPvRmT3_T4_T5_T6_T7_T9_mT8_P12ihipStream_tbDpT10_ENKUlT_T0_E_clISt17integral_constantIbLb1EES1A_IbLb0EEEEDaS16_S17_EUlS16_E_NS1_11comp_targetILNS1_3genE4ELNS1_11target_archE910ELNS1_3gpuE8ELNS1_3repE0EEENS1_30default_config_static_selectorELNS0_4arch9wavefront6targetE1EEEvT1_
	.globl	_ZN7rocprim17ROCPRIM_400000_NS6detail17trampoline_kernelINS0_14default_configENS1_25partition_config_selectorILNS1_17partition_subalgoE1EiNS0_10empty_typeEbEEZZNS1_14partition_implILS5_1ELb0ES3_jN6thrust23THRUST_200600_302600_NS6detail15normal_iteratorINSA_10device_ptrIiEEEEPS6_NSA_18transform_iteratorI7is_evenIiESF_NSA_11use_defaultESK_EENS0_5tupleIJSF_NSA_16discard_iteratorISK_EEEEENSM_IJSG_SG_EEES6_PlJS6_EEE10hipError_tPvRmT3_T4_T5_T6_T7_T9_mT8_P12ihipStream_tbDpT10_ENKUlT_T0_E_clISt17integral_constantIbLb1EES1A_IbLb0EEEEDaS16_S17_EUlS16_E_NS1_11comp_targetILNS1_3genE4ELNS1_11target_archE910ELNS1_3gpuE8ELNS1_3repE0EEENS1_30default_config_static_selectorELNS0_4arch9wavefront6targetE1EEEvT1_
	.p2align	8
	.type	_ZN7rocprim17ROCPRIM_400000_NS6detail17trampoline_kernelINS0_14default_configENS1_25partition_config_selectorILNS1_17partition_subalgoE1EiNS0_10empty_typeEbEEZZNS1_14partition_implILS5_1ELb0ES3_jN6thrust23THRUST_200600_302600_NS6detail15normal_iteratorINSA_10device_ptrIiEEEEPS6_NSA_18transform_iteratorI7is_evenIiESF_NSA_11use_defaultESK_EENS0_5tupleIJSF_NSA_16discard_iteratorISK_EEEEENSM_IJSG_SG_EEES6_PlJS6_EEE10hipError_tPvRmT3_T4_T5_T6_T7_T9_mT8_P12ihipStream_tbDpT10_ENKUlT_T0_E_clISt17integral_constantIbLb1EES1A_IbLb0EEEEDaS16_S17_EUlS16_E_NS1_11comp_targetILNS1_3genE4ELNS1_11target_archE910ELNS1_3gpuE8ELNS1_3repE0EEENS1_30default_config_static_selectorELNS0_4arch9wavefront6targetE1EEEvT1_,@function
_ZN7rocprim17ROCPRIM_400000_NS6detail17trampoline_kernelINS0_14default_configENS1_25partition_config_selectorILNS1_17partition_subalgoE1EiNS0_10empty_typeEbEEZZNS1_14partition_implILS5_1ELb0ES3_jN6thrust23THRUST_200600_302600_NS6detail15normal_iteratorINSA_10device_ptrIiEEEEPS6_NSA_18transform_iteratorI7is_evenIiESF_NSA_11use_defaultESK_EENS0_5tupleIJSF_NSA_16discard_iteratorISK_EEEEENSM_IJSG_SG_EEES6_PlJS6_EEE10hipError_tPvRmT3_T4_T5_T6_T7_T9_mT8_P12ihipStream_tbDpT10_ENKUlT_T0_E_clISt17integral_constantIbLb1EES1A_IbLb0EEEEDaS16_S17_EUlS16_E_NS1_11comp_targetILNS1_3genE4ELNS1_11target_archE910ELNS1_3gpuE8ELNS1_3repE0EEENS1_30default_config_static_selectorELNS0_4arch9wavefront6targetE1EEEvT1_: ; @_ZN7rocprim17ROCPRIM_400000_NS6detail17trampoline_kernelINS0_14default_configENS1_25partition_config_selectorILNS1_17partition_subalgoE1EiNS0_10empty_typeEbEEZZNS1_14partition_implILS5_1ELb0ES3_jN6thrust23THRUST_200600_302600_NS6detail15normal_iteratorINSA_10device_ptrIiEEEEPS6_NSA_18transform_iteratorI7is_evenIiESF_NSA_11use_defaultESK_EENS0_5tupleIJSF_NSA_16discard_iteratorISK_EEEEENSM_IJSG_SG_EEES6_PlJS6_EEE10hipError_tPvRmT3_T4_T5_T6_T7_T9_mT8_P12ihipStream_tbDpT10_ENKUlT_T0_E_clISt17integral_constantIbLb1EES1A_IbLb0EEEEDaS16_S17_EUlS16_E_NS1_11comp_targetILNS1_3genE4ELNS1_11target_archE910ELNS1_3gpuE8ELNS1_3repE0EEENS1_30default_config_static_selectorELNS0_4arch9wavefront6targetE1EEEvT1_
; %bb.0:
	.section	.rodata,"a",@progbits
	.p2align	6, 0x0
	.amdhsa_kernel _ZN7rocprim17ROCPRIM_400000_NS6detail17trampoline_kernelINS0_14default_configENS1_25partition_config_selectorILNS1_17partition_subalgoE1EiNS0_10empty_typeEbEEZZNS1_14partition_implILS5_1ELb0ES3_jN6thrust23THRUST_200600_302600_NS6detail15normal_iteratorINSA_10device_ptrIiEEEEPS6_NSA_18transform_iteratorI7is_evenIiESF_NSA_11use_defaultESK_EENS0_5tupleIJSF_NSA_16discard_iteratorISK_EEEEENSM_IJSG_SG_EEES6_PlJS6_EEE10hipError_tPvRmT3_T4_T5_T6_T7_T9_mT8_P12ihipStream_tbDpT10_ENKUlT_T0_E_clISt17integral_constantIbLb1EES1A_IbLb0EEEEDaS16_S17_EUlS16_E_NS1_11comp_targetILNS1_3genE4ELNS1_11target_archE910ELNS1_3gpuE8ELNS1_3repE0EEENS1_30default_config_static_selectorELNS0_4arch9wavefront6targetE1EEEvT1_
		.amdhsa_group_segment_fixed_size 0
		.amdhsa_private_segment_fixed_size 0
		.amdhsa_kernarg_size 136
		.amdhsa_user_sgpr_count 2
		.amdhsa_user_sgpr_dispatch_ptr 0
		.amdhsa_user_sgpr_queue_ptr 0
		.amdhsa_user_sgpr_kernarg_segment_ptr 1
		.amdhsa_user_sgpr_dispatch_id 0
		.amdhsa_user_sgpr_kernarg_preload_length 0
		.amdhsa_user_sgpr_kernarg_preload_offset 0
		.amdhsa_user_sgpr_private_segment_size 0
		.amdhsa_uses_dynamic_stack 0
		.amdhsa_enable_private_segment 0
		.amdhsa_system_sgpr_workgroup_id_x 1
		.amdhsa_system_sgpr_workgroup_id_y 0
		.amdhsa_system_sgpr_workgroup_id_z 0
		.amdhsa_system_sgpr_workgroup_info 0
		.amdhsa_system_vgpr_workitem_id 0
		.amdhsa_next_free_vgpr 1
		.amdhsa_next_free_sgpr 0
		.amdhsa_accum_offset 4
		.amdhsa_reserve_vcc 0
		.amdhsa_float_round_mode_32 0
		.amdhsa_float_round_mode_16_64 0
		.amdhsa_float_denorm_mode_32 3
		.amdhsa_float_denorm_mode_16_64 3
		.amdhsa_dx10_clamp 1
		.amdhsa_ieee_mode 1
		.amdhsa_fp16_overflow 0
		.amdhsa_tg_split 0
		.amdhsa_exception_fp_ieee_invalid_op 0
		.amdhsa_exception_fp_denorm_src 0
		.amdhsa_exception_fp_ieee_div_zero 0
		.amdhsa_exception_fp_ieee_overflow 0
		.amdhsa_exception_fp_ieee_underflow 0
		.amdhsa_exception_fp_ieee_inexact 0
		.amdhsa_exception_int_div_zero 0
	.end_amdhsa_kernel
	.section	.text._ZN7rocprim17ROCPRIM_400000_NS6detail17trampoline_kernelINS0_14default_configENS1_25partition_config_selectorILNS1_17partition_subalgoE1EiNS0_10empty_typeEbEEZZNS1_14partition_implILS5_1ELb0ES3_jN6thrust23THRUST_200600_302600_NS6detail15normal_iteratorINSA_10device_ptrIiEEEEPS6_NSA_18transform_iteratorI7is_evenIiESF_NSA_11use_defaultESK_EENS0_5tupleIJSF_NSA_16discard_iteratorISK_EEEEENSM_IJSG_SG_EEES6_PlJS6_EEE10hipError_tPvRmT3_T4_T5_T6_T7_T9_mT8_P12ihipStream_tbDpT10_ENKUlT_T0_E_clISt17integral_constantIbLb1EES1A_IbLb0EEEEDaS16_S17_EUlS16_E_NS1_11comp_targetILNS1_3genE4ELNS1_11target_archE910ELNS1_3gpuE8ELNS1_3repE0EEENS1_30default_config_static_selectorELNS0_4arch9wavefront6targetE1EEEvT1_,"axG",@progbits,_ZN7rocprim17ROCPRIM_400000_NS6detail17trampoline_kernelINS0_14default_configENS1_25partition_config_selectorILNS1_17partition_subalgoE1EiNS0_10empty_typeEbEEZZNS1_14partition_implILS5_1ELb0ES3_jN6thrust23THRUST_200600_302600_NS6detail15normal_iteratorINSA_10device_ptrIiEEEEPS6_NSA_18transform_iteratorI7is_evenIiESF_NSA_11use_defaultESK_EENS0_5tupleIJSF_NSA_16discard_iteratorISK_EEEEENSM_IJSG_SG_EEES6_PlJS6_EEE10hipError_tPvRmT3_T4_T5_T6_T7_T9_mT8_P12ihipStream_tbDpT10_ENKUlT_T0_E_clISt17integral_constantIbLb1EES1A_IbLb0EEEEDaS16_S17_EUlS16_E_NS1_11comp_targetILNS1_3genE4ELNS1_11target_archE910ELNS1_3gpuE8ELNS1_3repE0EEENS1_30default_config_static_selectorELNS0_4arch9wavefront6targetE1EEEvT1_,comdat
.Lfunc_end3309:
	.size	_ZN7rocprim17ROCPRIM_400000_NS6detail17trampoline_kernelINS0_14default_configENS1_25partition_config_selectorILNS1_17partition_subalgoE1EiNS0_10empty_typeEbEEZZNS1_14partition_implILS5_1ELb0ES3_jN6thrust23THRUST_200600_302600_NS6detail15normal_iteratorINSA_10device_ptrIiEEEEPS6_NSA_18transform_iteratorI7is_evenIiESF_NSA_11use_defaultESK_EENS0_5tupleIJSF_NSA_16discard_iteratorISK_EEEEENSM_IJSG_SG_EEES6_PlJS6_EEE10hipError_tPvRmT3_T4_T5_T6_T7_T9_mT8_P12ihipStream_tbDpT10_ENKUlT_T0_E_clISt17integral_constantIbLb1EES1A_IbLb0EEEEDaS16_S17_EUlS16_E_NS1_11comp_targetILNS1_3genE4ELNS1_11target_archE910ELNS1_3gpuE8ELNS1_3repE0EEENS1_30default_config_static_selectorELNS0_4arch9wavefront6targetE1EEEvT1_, .Lfunc_end3309-_ZN7rocprim17ROCPRIM_400000_NS6detail17trampoline_kernelINS0_14default_configENS1_25partition_config_selectorILNS1_17partition_subalgoE1EiNS0_10empty_typeEbEEZZNS1_14partition_implILS5_1ELb0ES3_jN6thrust23THRUST_200600_302600_NS6detail15normal_iteratorINSA_10device_ptrIiEEEEPS6_NSA_18transform_iteratorI7is_evenIiESF_NSA_11use_defaultESK_EENS0_5tupleIJSF_NSA_16discard_iteratorISK_EEEEENSM_IJSG_SG_EEES6_PlJS6_EEE10hipError_tPvRmT3_T4_T5_T6_T7_T9_mT8_P12ihipStream_tbDpT10_ENKUlT_T0_E_clISt17integral_constantIbLb1EES1A_IbLb0EEEEDaS16_S17_EUlS16_E_NS1_11comp_targetILNS1_3genE4ELNS1_11target_archE910ELNS1_3gpuE8ELNS1_3repE0EEENS1_30default_config_static_selectorELNS0_4arch9wavefront6targetE1EEEvT1_
                                        ; -- End function
	.section	.AMDGPU.csdata,"",@progbits
; Kernel info:
; codeLenInByte = 0
; NumSgprs: 6
; NumVgprs: 0
; NumAgprs: 0
; TotalNumVgprs: 0
; ScratchSize: 0
; MemoryBound: 0
; FloatMode: 240
; IeeeMode: 1
; LDSByteSize: 0 bytes/workgroup (compile time only)
; SGPRBlocks: 0
; VGPRBlocks: 0
; NumSGPRsForWavesPerEU: 6
; NumVGPRsForWavesPerEU: 1
; AccumOffset: 4
; Occupancy: 8
; WaveLimiterHint : 0
; COMPUTE_PGM_RSRC2:SCRATCH_EN: 0
; COMPUTE_PGM_RSRC2:USER_SGPR: 2
; COMPUTE_PGM_RSRC2:TRAP_HANDLER: 0
; COMPUTE_PGM_RSRC2:TGID_X_EN: 1
; COMPUTE_PGM_RSRC2:TGID_Y_EN: 0
; COMPUTE_PGM_RSRC2:TGID_Z_EN: 0
; COMPUTE_PGM_RSRC2:TIDIG_COMP_CNT: 0
; COMPUTE_PGM_RSRC3_GFX90A:ACCUM_OFFSET: 0
; COMPUTE_PGM_RSRC3_GFX90A:TG_SPLIT: 0
	.section	.text._ZN7rocprim17ROCPRIM_400000_NS6detail17trampoline_kernelINS0_14default_configENS1_25partition_config_selectorILNS1_17partition_subalgoE1EiNS0_10empty_typeEbEEZZNS1_14partition_implILS5_1ELb0ES3_jN6thrust23THRUST_200600_302600_NS6detail15normal_iteratorINSA_10device_ptrIiEEEEPS6_NSA_18transform_iteratorI7is_evenIiESF_NSA_11use_defaultESK_EENS0_5tupleIJSF_NSA_16discard_iteratorISK_EEEEENSM_IJSG_SG_EEES6_PlJS6_EEE10hipError_tPvRmT3_T4_T5_T6_T7_T9_mT8_P12ihipStream_tbDpT10_ENKUlT_T0_E_clISt17integral_constantIbLb1EES1A_IbLb0EEEEDaS16_S17_EUlS16_E_NS1_11comp_targetILNS1_3genE3ELNS1_11target_archE908ELNS1_3gpuE7ELNS1_3repE0EEENS1_30default_config_static_selectorELNS0_4arch9wavefront6targetE1EEEvT1_,"axG",@progbits,_ZN7rocprim17ROCPRIM_400000_NS6detail17trampoline_kernelINS0_14default_configENS1_25partition_config_selectorILNS1_17partition_subalgoE1EiNS0_10empty_typeEbEEZZNS1_14partition_implILS5_1ELb0ES3_jN6thrust23THRUST_200600_302600_NS6detail15normal_iteratorINSA_10device_ptrIiEEEEPS6_NSA_18transform_iteratorI7is_evenIiESF_NSA_11use_defaultESK_EENS0_5tupleIJSF_NSA_16discard_iteratorISK_EEEEENSM_IJSG_SG_EEES6_PlJS6_EEE10hipError_tPvRmT3_T4_T5_T6_T7_T9_mT8_P12ihipStream_tbDpT10_ENKUlT_T0_E_clISt17integral_constantIbLb1EES1A_IbLb0EEEEDaS16_S17_EUlS16_E_NS1_11comp_targetILNS1_3genE3ELNS1_11target_archE908ELNS1_3gpuE7ELNS1_3repE0EEENS1_30default_config_static_selectorELNS0_4arch9wavefront6targetE1EEEvT1_,comdat
	.protected	_ZN7rocprim17ROCPRIM_400000_NS6detail17trampoline_kernelINS0_14default_configENS1_25partition_config_selectorILNS1_17partition_subalgoE1EiNS0_10empty_typeEbEEZZNS1_14partition_implILS5_1ELb0ES3_jN6thrust23THRUST_200600_302600_NS6detail15normal_iteratorINSA_10device_ptrIiEEEEPS6_NSA_18transform_iteratorI7is_evenIiESF_NSA_11use_defaultESK_EENS0_5tupleIJSF_NSA_16discard_iteratorISK_EEEEENSM_IJSG_SG_EEES6_PlJS6_EEE10hipError_tPvRmT3_T4_T5_T6_T7_T9_mT8_P12ihipStream_tbDpT10_ENKUlT_T0_E_clISt17integral_constantIbLb1EES1A_IbLb0EEEEDaS16_S17_EUlS16_E_NS1_11comp_targetILNS1_3genE3ELNS1_11target_archE908ELNS1_3gpuE7ELNS1_3repE0EEENS1_30default_config_static_selectorELNS0_4arch9wavefront6targetE1EEEvT1_ ; -- Begin function _ZN7rocprim17ROCPRIM_400000_NS6detail17trampoline_kernelINS0_14default_configENS1_25partition_config_selectorILNS1_17partition_subalgoE1EiNS0_10empty_typeEbEEZZNS1_14partition_implILS5_1ELb0ES3_jN6thrust23THRUST_200600_302600_NS6detail15normal_iteratorINSA_10device_ptrIiEEEEPS6_NSA_18transform_iteratorI7is_evenIiESF_NSA_11use_defaultESK_EENS0_5tupleIJSF_NSA_16discard_iteratorISK_EEEEENSM_IJSG_SG_EEES6_PlJS6_EEE10hipError_tPvRmT3_T4_T5_T6_T7_T9_mT8_P12ihipStream_tbDpT10_ENKUlT_T0_E_clISt17integral_constantIbLb1EES1A_IbLb0EEEEDaS16_S17_EUlS16_E_NS1_11comp_targetILNS1_3genE3ELNS1_11target_archE908ELNS1_3gpuE7ELNS1_3repE0EEENS1_30default_config_static_selectorELNS0_4arch9wavefront6targetE1EEEvT1_
	.globl	_ZN7rocprim17ROCPRIM_400000_NS6detail17trampoline_kernelINS0_14default_configENS1_25partition_config_selectorILNS1_17partition_subalgoE1EiNS0_10empty_typeEbEEZZNS1_14partition_implILS5_1ELb0ES3_jN6thrust23THRUST_200600_302600_NS6detail15normal_iteratorINSA_10device_ptrIiEEEEPS6_NSA_18transform_iteratorI7is_evenIiESF_NSA_11use_defaultESK_EENS0_5tupleIJSF_NSA_16discard_iteratorISK_EEEEENSM_IJSG_SG_EEES6_PlJS6_EEE10hipError_tPvRmT3_T4_T5_T6_T7_T9_mT8_P12ihipStream_tbDpT10_ENKUlT_T0_E_clISt17integral_constantIbLb1EES1A_IbLb0EEEEDaS16_S17_EUlS16_E_NS1_11comp_targetILNS1_3genE3ELNS1_11target_archE908ELNS1_3gpuE7ELNS1_3repE0EEENS1_30default_config_static_selectorELNS0_4arch9wavefront6targetE1EEEvT1_
	.p2align	8
	.type	_ZN7rocprim17ROCPRIM_400000_NS6detail17trampoline_kernelINS0_14default_configENS1_25partition_config_selectorILNS1_17partition_subalgoE1EiNS0_10empty_typeEbEEZZNS1_14partition_implILS5_1ELb0ES3_jN6thrust23THRUST_200600_302600_NS6detail15normal_iteratorINSA_10device_ptrIiEEEEPS6_NSA_18transform_iteratorI7is_evenIiESF_NSA_11use_defaultESK_EENS0_5tupleIJSF_NSA_16discard_iteratorISK_EEEEENSM_IJSG_SG_EEES6_PlJS6_EEE10hipError_tPvRmT3_T4_T5_T6_T7_T9_mT8_P12ihipStream_tbDpT10_ENKUlT_T0_E_clISt17integral_constantIbLb1EES1A_IbLb0EEEEDaS16_S17_EUlS16_E_NS1_11comp_targetILNS1_3genE3ELNS1_11target_archE908ELNS1_3gpuE7ELNS1_3repE0EEENS1_30default_config_static_selectorELNS0_4arch9wavefront6targetE1EEEvT1_,@function
_ZN7rocprim17ROCPRIM_400000_NS6detail17trampoline_kernelINS0_14default_configENS1_25partition_config_selectorILNS1_17partition_subalgoE1EiNS0_10empty_typeEbEEZZNS1_14partition_implILS5_1ELb0ES3_jN6thrust23THRUST_200600_302600_NS6detail15normal_iteratorINSA_10device_ptrIiEEEEPS6_NSA_18transform_iteratorI7is_evenIiESF_NSA_11use_defaultESK_EENS0_5tupleIJSF_NSA_16discard_iteratorISK_EEEEENSM_IJSG_SG_EEES6_PlJS6_EEE10hipError_tPvRmT3_T4_T5_T6_T7_T9_mT8_P12ihipStream_tbDpT10_ENKUlT_T0_E_clISt17integral_constantIbLb1EES1A_IbLb0EEEEDaS16_S17_EUlS16_E_NS1_11comp_targetILNS1_3genE3ELNS1_11target_archE908ELNS1_3gpuE7ELNS1_3repE0EEENS1_30default_config_static_selectorELNS0_4arch9wavefront6targetE1EEEvT1_: ; @_ZN7rocprim17ROCPRIM_400000_NS6detail17trampoline_kernelINS0_14default_configENS1_25partition_config_selectorILNS1_17partition_subalgoE1EiNS0_10empty_typeEbEEZZNS1_14partition_implILS5_1ELb0ES3_jN6thrust23THRUST_200600_302600_NS6detail15normal_iteratorINSA_10device_ptrIiEEEEPS6_NSA_18transform_iteratorI7is_evenIiESF_NSA_11use_defaultESK_EENS0_5tupleIJSF_NSA_16discard_iteratorISK_EEEEENSM_IJSG_SG_EEES6_PlJS6_EEE10hipError_tPvRmT3_T4_T5_T6_T7_T9_mT8_P12ihipStream_tbDpT10_ENKUlT_T0_E_clISt17integral_constantIbLb1EES1A_IbLb0EEEEDaS16_S17_EUlS16_E_NS1_11comp_targetILNS1_3genE3ELNS1_11target_archE908ELNS1_3gpuE7ELNS1_3repE0EEENS1_30default_config_static_selectorELNS0_4arch9wavefront6targetE1EEEvT1_
; %bb.0:
	.section	.rodata,"a",@progbits
	.p2align	6, 0x0
	.amdhsa_kernel _ZN7rocprim17ROCPRIM_400000_NS6detail17trampoline_kernelINS0_14default_configENS1_25partition_config_selectorILNS1_17partition_subalgoE1EiNS0_10empty_typeEbEEZZNS1_14partition_implILS5_1ELb0ES3_jN6thrust23THRUST_200600_302600_NS6detail15normal_iteratorINSA_10device_ptrIiEEEEPS6_NSA_18transform_iteratorI7is_evenIiESF_NSA_11use_defaultESK_EENS0_5tupleIJSF_NSA_16discard_iteratorISK_EEEEENSM_IJSG_SG_EEES6_PlJS6_EEE10hipError_tPvRmT3_T4_T5_T6_T7_T9_mT8_P12ihipStream_tbDpT10_ENKUlT_T0_E_clISt17integral_constantIbLb1EES1A_IbLb0EEEEDaS16_S17_EUlS16_E_NS1_11comp_targetILNS1_3genE3ELNS1_11target_archE908ELNS1_3gpuE7ELNS1_3repE0EEENS1_30default_config_static_selectorELNS0_4arch9wavefront6targetE1EEEvT1_
		.amdhsa_group_segment_fixed_size 0
		.amdhsa_private_segment_fixed_size 0
		.amdhsa_kernarg_size 136
		.amdhsa_user_sgpr_count 2
		.amdhsa_user_sgpr_dispatch_ptr 0
		.amdhsa_user_sgpr_queue_ptr 0
		.amdhsa_user_sgpr_kernarg_segment_ptr 1
		.amdhsa_user_sgpr_dispatch_id 0
		.amdhsa_user_sgpr_kernarg_preload_length 0
		.amdhsa_user_sgpr_kernarg_preload_offset 0
		.amdhsa_user_sgpr_private_segment_size 0
		.amdhsa_uses_dynamic_stack 0
		.amdhsa_enable_private_segment 0
		.amdhsa_system_sgpr_workgroup_id_x 1
		.amdhsa_system_sgpr_workgroup_id_y 0
		.amdhsa_system_sgpr_workgroup_id_z 0
		.amdhsa_system_sgpr_workgroup_info 0
		.amdhsa_system_vgpr_workitem_id 0
		.amdhsa_next_free_vgpr 1
		.amdhsa_next_free_sgpr 0
		.amdhsa_accum_offset 4
		.amdhsa_reserve_vcc 0
		.amdhsa_float_round_mode_32 0
		.amdhsa_float_round_mode_16_64 0
		.amdhsa_float_denorm_mode_32 3
		.amdhsa_float_denorm_mode_16_64 3
		.amdhsa_dx10_clamp 1
		.amdhsa_ieee_mode 1
		.amdhsa_fp16_overflow 0
		.amdhsa_tg_split 0
		.amdhsa_exception_fp_ieee_invalid_op 0
		.amdhsa_exception_fp_denorm_src 0
		.amdhsa_exception_fp_ieee_div_zero 0
		.amdhsa_exception_fp_ieee_overflow 0
		.amdhsa_exception_fp_ieee_underflow 0
		.amdhsa_exception_fp_ieee_inexact 0
		.amdhsa_exception_int_div_zero 0
	.end_amdhsa_kernel
	.section	.text._ZN7rocprim17ROCPRIM_400000_NS6detail17trampoline_kernelINS0_14default_configENS1_25partition_config_selectorILNS1_17partition_subalgoE1EiNS0_10empty_typeEbEEZZNS1_14partition_implILS5_1ELb0ES3_jN6thrust23THRUST_200600_302600_NS6detail15normal_iteratorINSA_10device_ptrIiEEEEPS6_NSA_18transform_iteratorI7is_evenIiESF_NSA_11use_defaultESK_EENS0_5tupleIJSF_NSA_16discard_iteratorISK_EEEEENSM_IJSG_SG_EEES6_PlJS6_EEE10hipError_tPvRmT3_T4_T5_T6_T7_T9_mT8_P12ihipStream_tbDpT10_ENKUlT_T0_E_clISt17integral_constantIbLb1EES1A_IbLb0EEEEDaS16_S17_EUlS16_E_NS1_11comp_targetILNS1_3genE3ELNS1_11target_archE908ELNS1_3gpuE7ELNS1_3repE0EEENS1_30default_config_static_selectorELNS0_4arch9wavefront6targetE1EEEvT1_,"axG",@progbits,_ZN7rocprim17ROCPRIM_400000_NS6detail17trampoline_kernelINS0_14default_configENS1_25partition_config_selectorILNS1_17partition_subalgoE1EiNS0_10empty_typeEbEEZZNS1_14partition_implILS5_1ELb0ES3_jN6thrust23THRUST_200600_302600_NS6detail15normal_iteratorINSA_10device_ptrIiEEEEPS6_NSA_18transform_iteratorI7is_evenIiESF_NSA_11use_defaultESK_EENS0_5tupleIJSF_NSA_16discard_iteratorISK_EEEEENSM_IJSG_SG_EEES6_PlJS6_EEE10hipError_tPvRmT3_T4_T5_T6_T7_T9_mT8_P12ihipStream_tbDpT10_ENKUlT_T0_E_clISt17integral_constantIbLb1EES1A_IbLb0EEEEDaS16_S17_EUlS16_E_NS1_11comp_targetILNS1_3genE3ELNS1_11target_archE908ELNS1_3gpuE7ELNS1_3repE0EEENS1_30default_config_static_selectorELNS0_4arch9wavefront6targetE1EEEvT1_,comdat
.Lfunc_end3310:
	.size	_ZN7rocprim17ROCPRIM_400000_NS6detail17trampoline_kernelINS0_14default_configENS1_25partition_config_selectorILNS1_17partition_subalgoE1EiNS0_10empty_typeEbEEZZNS1_14partition_implILS5_1ELb0ES3_jN6thrust23THRUST_200600_302600_NS6detail15normal_iteratorINSA_10device_ptrIiEEEEPS6_NSA_18transform_iteratorI7is_evenIiESF_NSA_11use_defaultESK_EENS0_5tupleIJSF_NSA_16discard_iteratorISK_EEEEENSM_IJSG_SG_EEES6_PlJS6_EEE10hipError_tPvRmT3_T4_T5_T6_T7_T9_mT8_P12ihipStream_tbDpT10_ENKUlT_T0_E_clISt17integral_constantIbLb1EES1A_IbLb0EEEEDaS16_S17_EUlS16_E_NS1_11comp_targetILNS1_3genE3ELNS1_11target_archE908ELNS1_3gpuE7ELNS1_3repE0EEENS1_30default_config_static_selectorELNS0_4arch9wavefront6targetE1EEEvT1_, .Lfunc_end3310-_ZN7rocprim17ROCPRIM_400000_NS6detail17trampoline_kernelINS0_14default_configENS1_25partition_config_selectorILNS1_17partition_subalgoE1EiNS0_10empty_typeEbEEZZNS1_14partition_implILS5_1ELb0ES3_jN6thrust23THRUST_200600_302600_NS6detail15normal_iteratorINSA_10device_ptrIiEEEEPS6_NSA_18transform_iteratorI7is_evenIiESF_NSA_11use_defaultESK_EENS0_5tupleIJSF_NSA_16discard_iteratorISK_EEEEENSM_IJSG_SG_EEES6_PlJS6_EEE10hipError_tPvRmT3_T4_T5_T6_T7_T9_mT8_P12ihipStream_tbDpT10_ENKUlT_T0_E_clISt17integral_constantIbLb1EES1A_IbLb0EEEEDaS16_S17_EUlS16_E_NS1_11comp_targetILNS1_3genE3ELNS1_11target_archE908ELNS1_3gpuE7ELNS1_3repE0EEENS1_30default_config_static_selectorELNS0_4arch9wavefront6targetE1EEEvT1_
                                        ; -- End function
	.section	.AMDGPU.csdata,"",@progbits
; Kernel info:
; codeLenInByte = 0
; NumSgprs: 6
; NumVgprs: 0
; NumAgprs: 0
; TotalNumVgprs: 0
; ScratchSize: 0
; MemoryBound: 0
; FloatMode: 240
; IeeeMode: 1
; LDSByteSize: 0 bytes/workgroup (compile time only)
; SGPRBlocks: 0
; VGPRBlocks: 0
; NumSGPRsForWavesPerEU: 6
; NumVGPRsForWavesPerEU: 1
; AccumOffset: 4
; Occupancy: 8
; WaveLimiterHint : 0
; COMPUTE_PGM_RSRC2:SCRATCH_EN: 0
; COMPUTE_PGM_RSRC2:USER_SGPR: 2
; COMPUTE_PGM_RSRC2:TRAP_HANDLER: 0
; COMPUTE_PGM_RSRC2:TGID_X_EN: 1
; COMPUTE_PGM_RSRC2:TGID_Y_EN: 0
; COMPUTE_PGM_RSRC2:TGID_Z_EN: 0
; COMPUTE_PGM_RSRC2:TIDIG_COMP_CNT: 0
; COMPUTE_PGM_RSRC3_GFX90A:ACCUM_OFFSET: 0
; COMPUTE_PGM_RSRC3_GFX90A:TG_SPLIT: 0
	.section	.text._ZN7rocprim17ROCPRIM_400000_NS6detail17trampoline_kernelINS0_14default_configENS1_25partition_config_selectorILNS1_17partition_subalgoE1EiNS0_10empty_typeEbEEZZNS1_14partition_implILS5_1ELb0ES3_jN6thrust23THRUST_200600_302600_NS6detail15normal_iteratorINSA_10device_ptrIiEEEEPS6_NSA_18transform_iteratorI7is_evenIiESF_NSA_11use_defaultESK_EENS0_5tupleIJSF_NSA_16discard_iteratorISK_EEEEENSM_IJSG_SG_EEES6_PlJS6_EEE10hipError_tPvRmT3_T4_T5_T6_T7_T9_mT8_P12ihipStream_tbDpT10_ENKUlT_T0_E_clISt17integral_constantIbLb1EES1A_IbLb0EEEEDaS16_S17_EUlS16_E_NS1_11comp_targetILNS1_3genE2ELNS1_11target_archE906ELNS1_3gpuE6ELNS1_3repE0EEENS1_30default_config_static_selectorELNS0_4arch9wavefront6targetE1EEEvT1_,"axG",@progbits,_ZN7rocprim17ROCPRIM_400000_NS6detail17trampoline_kernelINS0_14default_configENS1_25partition_config_selectorILNS1_17partition_subalgoE1EiNS0_10empty_typeEbEEZZNS1_14partition_implILS5_1ELb0ES3_jN6thrust23THRUST_200600_302600_NS6detail15normal_iteratorINSA_10device_ptrIiEEEEPS6_NSA_18transform_iteratorI7is_evenIiESF_NSA_11use_defaultESK_EENS0_5tupleIJSF_NSA_16discard_iteratorISK_EEEEENSM_IJSG_SG_EEES6_PlJS6_EEE10hipError_tPvRmT3_T4_T5_T6_T7_T9_mT8_P12ihipStream_tbDpT10_ENKUlT_T0_E_clISt17integral_constantIbLb1EES1A_IbLb0EEEEDaS16_S17_EUlS16_E_NS1_11comp_targetILNS1_3genE2ELNS1_11target_archE906ELNS1_3gpuE6ELNS1_3repE0EEENS1_30default_config_static_selectorELNS0_4arch9wavefront6targetE1EEEvT1_,comdat
	.protected	_ZN7rocprim17ROCPRIM_400000_NS6detail17trampoline_kernelINS0_14default_configENS1_25partition_config_selectorILNS1_17partition_subalgoE1EiNS0_10empty_typeEbEEZZNS1_14partition_implILS5_1ELb0ES3_jN6thrust23THRUST_200600_302600_NS6detail15normal_iteratorINSA_10device_ptrIiEEEEPS6_NSA_18transform_iteratorI7is_evenIiESF_NSA_11use_defaultESK_EENS0_5tupleIJSF_NSA_16discard_iteratorISK_EEEEENSM_IJSG_SG_EEES6_PlJS6_EEE10hipError_tPvRmT3_T4_T5_T6_T7_T9_mT8_P12ihipStream_tbDpT10_ENKUlT_T0_E_clISt17integral_constantIbLb1EES1A_IbLb0EEEEDaS16_S17_EUlS16_E_NS1_11comp_targetILNS1_3genE2ELNS1_11target_archE906ELNS1_3gpuE6ELNS1_3repE0EEENS1_30default_config_static_selectorELNS0_4arch9wavefront6targetE1EEEvT1_ ; -- Begin function _ZN7rocprim17ROCPRIM_400000_NS6detail17trampoline_kernelINS0_14default_configENS1_25partition_config_selectorILNS1_17partition_subalgoE1EiNS0_10empty_typeEbEEZZNS1_14partition_implILS5_1ELb0ES3_jN6thrust23THRUST_200600_302600_NS6detail15normal_iteratorINSA_10device_ptrIiEEEEPS6_NSA_18transform_iteratorI7is_evenIiESF_NSA_11use_defaultESK_EENS0_5tupleIJSF_NSA_16discard_iteratorISK_EEEEENSM_IJSG_SG_EEES6_PlJS6_EEE10hipError_tPvRmT3_T4_T5_T6_T7_T9_mT8_P12ihipStream_tbDpT10_ENKUlT_T0_E_clISt17integral_constantIbLb1EES1A_IbLb0EEEEDaS16_S17_EUlS16_E_NS1_11comp_targetILNS1_3genE2ELNS1_11target_archE906ELNS1_3gpuE6ELNS1_3repE0EEENS1_30default_config_static_selectorELNS0_4arch9wavefront6targetE1EEEvT1_
	.globl	_ZN7rocprim17ROCPRIM_400000_NS6detail17trampoline_kernelINS0_14default_configENS1_25partition_config_selectorILNS1_17partition_subalgoE1EiNS0_10empty_typeEbEEZZNS1_14partition_implILS5_1ELb0ES3_jN6thrust23THRUST_200600_302600_NS6detail15normal_iteratorINSA_10device_ptrIiEEEEPS6_NSA_18transform_iteratorI7is_evenIiESF_NSA_11use_defaultESK_EENS0_5tupleIJSF_NSA_16discard_iteratorISK_EEEEENSM_IJSG_SG_EEES6_PlJS6_EEE10hipError_tPvRmT3_T4_T5_T6_T7_T9_mT8_P12ihipStream_tbDpT10_ENKUlT_T0_E_clISt17integral_constantIbLb1EES1A_IbLb0EEEEDaS16_S17_EUlS16_E_NS1_11comp_targetILNS1_3genE2ELNS1_11target_archE906ELNS1_3gpuE6ELNS1_3repE0EEENS1_30default_config_static_selectorELNS0_4arch9wavefront6targetE1EEEvT1_
	.p2align	8
	.type	_ZN7rocprim17ROCPRIM_400000_NS6detail17trampoline_kernelINS0_14default_configENS1_25partition_config_selectorILNS1_17partition_subalgoE1EiNS0_10empty_typeEbEEZZNS1_14partition_implILS5_1ELb0ES3_jN6thrust23THRUST_200600_302600_NS6detail15normal_iteratorINSA_10device_ptrIiEEEEPS6_NSA_18transform_iteratorI7is_evenIiESF_NSA_11use_defaultESK_EENS0_5tupleIJSF_NSA_16discard_iteratorISK_EEEEENSM_IJSG_SG_EEES6_PlJS6_EEE10hipError_tPvRmT3_T4_T5_T6_T7_T9_mT8_P12ihipStream_tbDpT10_ENKUlT_T0_E_clISt17integral_constantIbLb1EES1A_IbLb0EEEEDaS16_S17_EUlS16_E_NS1_11comp_targetILNS1_3genE2ELNS1_11target_archE906ELNS1_3gpuE6ELNS1_3repE0EEENS1_30default_config_static_selectorELNS0_4arch9wavefront6targetE1EEEvT1_,@function
_ZN7rocprim17ROCPRIM_400000_NS6detail17trampoline_kernelINS0_14default_configENS1_25partition_config_selectorILNS1_17partition_subalgoE1EiNS0_10empty_typeEbEEZZNS1_14partition_implILS5_1ELb0ES3_jN6thrust23THRUST_200600_302600_NS6detail15normal_iteratorINSA_10device_ptrIiEEEEPS6_NSA_18transform_iteratorI7is_evenIiESF_NSA_11use_defaultESK_EENS0_5tupleIJSF_NSA_16discard_iteratorISK_EEEEENSM_IJSG_SG_EEES6_PlJS6_EEE10hipError_tPvRmT3_T4_T5_T6_T7_T9_mT8_P12ihipStream_tbDpT10_ENKUlT_T0_E_clISt17integral_constantIbLb1EES1A_IbLb0EEEEDaS16_S17_EUlS16_E_NS1_11comp_targetILNS1_3genE2ELNS1_11target_archE906ELNS1_3gpuE6ELNS1_3repE0EEENS1_30default_config_static_selectorELNS0_4arch9wavefront6targetE1EEEvT1_: ; @_ZN7rocprim17ROCPRIM_400000_NS6detail17trampoline_kernelINS0_14default_configENS1_25partition_config_selectorILNS1_17partition_subalgoE1EiNS0_10empty_typeEbEEZZNS1_14partition_implILS5_1ELb0ES3_jN6thrust23THRUST_200600_302600_NS6detail15normal_iteratorINSA_10device_ptrIiEEEEPS6_NSA_18transform_iteratorI7is_evenIiESF_NSA_11use_defaultESK_EENS0_5tupleIJSF_NSA_16discard_iteratorISK_EEEEENSM_IJSG_SG_EEES6_PlJS6_EEE10hipError_tPvRmT3_T4_T5_T6_T7_T9_mT8_P12ihipStream_tbDpT10_ENKUlT_T0_E_clISt17integral_constantIbLb1EES1A_IbLb0EEEEDaS16_S17_EUlS16_E_NS1_11comp_targetILNS1_3genE2ELNS1_11target_archE906ELNS1_3gpuE6ELNS1_3repE0EEENS1_30default_config_static_selectorELNS0_4arch9wavefront6targetE1EEEvT1_
; %bb.0:
	.section	.rodata,"a",@progbits
	.p2align	6, 0x0
	.amdhsa_kernel _ZN7rocprim17ROCPRIM_400000_NS6detail17trampoline_kernelINS0_14default_configENS1_25partition_config_selectorILNS1_17partition_subalgoE1EiNS0_10empty_typeEbEEZZNS1_14partition_implILS5_1ELb0ES3_jN6thrust23THRUST_200600_302600_NS6detail15normal_iteratorINSA_10device_ptrIiEEEEPS6_NSA_18transform_iteratorI7is_evenIiESF_NSA_11use_defaultESK_EENS0_5tupleIJSF_NSA_16discard_iteratorISK_EEEEENSM_IJSG_SG_EEES6_PlJS6_EEE10hipError_tPvRmT3_T4_T5_T6_T7_T9_mT8_P12ihipStream_tbDpT10_ENKUlT_T0_E_clISt17integral_constantIbLb1EES1A_IbLb0EEEEDaS16_S17_EUlS16_E_NS1_11comp_targetILNS1_3genE2ELNS1_11target_archE906ELNS1_3gpuE6ELNS1_3repE0EEENS1_30default_config_static_selectorELNS0_4arch9wavefront6targetE1EEEvT1_
		.amdhsa_group_segment_fixed_size 0
		.amdhsa_private_segment_fixed_size 0
		.amdhsa_kernarg_size 136
		.amdhsa_user_sgpr_count 2
		.amdhsa_user_sgpr_dispatch_ptr 0
		.amdhsa_user_sgpr_queue_ptr 0
		.amdhsa_user_sgpr_kernarg_segment_ptr 1
		.amdhsa_user_sgpr_dispatch_id 0
		.amdhsa_user_sgpr_kernarg_preload_length 0
		.amdhsa_user_sgpr_kernarg_preload_offset 0
		.amdhsa_user_sgpr_private_segment_size 0
		.amdhsa_uses_dynamic_stack 0
		.amdhsa_enable_private_segment 0
		.amdhsa_system_sgpr_workgroup_id_x 1
		.amdhsa_system_sgpr_workgroup_id_y 0
		.amdhsa_system_sgpr_workgroup_id_z 0
		.amdhsa_system_sgpr_workgroup_info 0
		.amdhsa_system_vgpr_workitem_id 0
		.amdhsa_next_free_vgpr 1
		.amdhsa_next_free_sgpr 0
		.amdhsa_accum_offset 4
		.amdhsa_reserve_vcc 0
		.amdhsa_float_round_mode_32 0
		.amdhsa_float_round_mode_16_64 0
		.amdhsa_float_denorm_mode_32 3
		.amdhsa_float_denorm_mode_16_64 3
		.amdhsa_dx10_clamp 1
		.amdhsa_ieee_mode 1
		.amdhsa_fp16_overflow 0
		.amdhsa_tg_split 0
		.amdhsa_exception_fp_ieee_invalid_op 0
		.amdhsa_exception_fp_denorm_src 0
		.amdhsa_exception_fp_ieee_div_zero 0
		.amdhsa_exception_fp_ieee_overflow 0
		.amdhsa_exception_fp_ieee_underflow 0
		.amdhsa_exception_fp_ieee_inexact 0
		.amdhsa_exception_int_div_zero 0
	.end_amdhsa_kernel
	.section	.text._ZN7rocprim17ROCPRIM_400000_NS6detail17trampoline_kernelINS0_14default_configENS1_25partition_config_selectorILNS1_17partition_subalgoE1EiNS0_10empty_typeEbEEZZNS1_14partition_implILS5_1ELb0ES3_jN6thrust23THRUST_200600_302600_NS6detail15normal_iteratorINSA_10device_ptrIiEEEEPS6_NSA_18transform_iteratorI7is_evenIiESF_NSA_11use_defaultESK_EENS0_5tupleIJSF_NSA_16discard_iteratorISK_EEEEENSM_IJSG_SG_EEES6_PlJS6_EEE10hipError_tPvRmT3_T4_T5_T6_T7_T9_mT8_P12ihipStream_tbDpT10_ENKUlT_T0_E_clISt17integral_constantIbLb1EES1A_IbLb0EEEEDaS16_S17_EUlS16_E_NS1_11comp_targetILNS1_3genE2ELNS1_11target_archE906ELNS1_3gpuE6ELNS1_3repE0EEENS1_30default_config_static_selectorELNS0_4arch9wavefront6targetE1EEEvT1_,"axG",@progbits,_ZN7rocprim17ROCPRIM_400000_NS6detail17trampoline_kernelINS0_14default_configENS1_25partition_config_selectorILNS1_17partition_subalgoE1EiNS0_10empty_typeEbEEZZNS1_14partition_implILS5_1ELb0ES3_jN6thrust23THRUST_200600_302600_NS6detail15normal_iteratorINSA_10device_ptrIiEEEEPS6_NSA_18transform_iteratorI7is_evenIiESF_NSA_11use_defaultESK_EENS0_5tupleIJSF_NSA_16discard_iteratorISK_EEEEENSM_IJSG_SG_EEES6_PlJS6_EEE10hipError_tPvRmT3_T4_T5_T6_T7_T9_mT8_P12ihipStream_tbDpT10_ENKUlT_T0_E_clISt17integral_constantIbLb1EES1A_IbLb0EEEEDaS16_S17_EUlS16_E_NS1_11comp_targetILNS1_3genE2ELNS1_11target_archE906ELNS1_3gpuE6ELNS1_3repE0EEENS1_30default_config_static_selectorELNS0_4arch9wavefront6targetE1EEEvT1_,comdat
.Lfunc_end3311:
	.size	_ZN7rocprim17ROCPRIM_400000_NS6detail17trampoline_kernelINS0_14default_configENS1_25partition_config_selectorILNS1_17partition_subalgoE1EiNS0_10empty_typeEbEEZZNS1_14partition_implILS5_1ELb0ES3_jN6thrust23THRUST_200600_302600_NS6detail15normal_iteratorINSA_10device_ptrIiEEEEPS6_NSA_18transform_iteratorI7is_evenIiESF_NSA_11use_defaultESK_EENS0_5tupleIJSF_NSA_16discard_iteratorISK_EEEEENSM_IJSG_SG_EEES6_PlJS6_EEE10hipError_tPvRmT3_T4_T5_T6_T7_T9_mT8_P12ihipStream_tbDpT10_ENKUlT_T0_E_clISt17integral_constantIbLb1EES1A_IbLb0EEEEDaS16_S17_EUlS16_E_NS1_11comp_targetILNS1_3genE2ELNS1_11target_archE906ELNS1_3gpuE6ELNS1_3repE0EEENS1_30default_config_static_selectorELNS0_4arch9wavefront6targetE1EEEvT1_, .Lfunc_end3311-_ZN7rocprim17ROCPRIM_400000_NS6detail17trampoline_kernelINS0_14default_configENS1_25partition_config_selectorILNS1_17partition_subalgoE1EiNS0_10empty_typeEbEEZZNS1_14partition_implILS5_1ELb0ES3_jN6thrust23THRUST_200600_302600_NS6detail15normal_iteratorINSA_10device_ptrIiEEEEPS6_NSA_18transform_iteratorI7is_evenIiESF_NSA_11use_defaultESK_EENS0_5tupleIJSF_NSA_16discard_iteratorISK_EEEEENSM_IJSG_SG_EEES6_PlJS6_EEE10hipError_tPvRmT3_T4_T5_T6_T7_T9_mT8_P12ihipStream_tbDpT10_ENKUlT_T0_E_clISt17integral_constantIbLb1EES1A_IbLb0EEEEDaS16_S17_EUlS16_E_NS1_11comp_targetILNS1_3genE2ELNS1_11target_archE906ELNS1_3gpuE6ELNS1_3repE0EEENS1_30default_config_static_selectorELNS0_4arch9wavefront6targetE1EEEvT1_
                                        ; -- End function
	.section	.AMDGPU.csdata,"",@progbits
; Kernel info:
; codeLenInByte = 0
; NumSgprs: 6
; NumVgprs: 0
; NumAgprs: 0
; TotalNumVgprs: 0
; ScratchSize: 0
; MemoryBound: 0
; FloatMode: 240
; IeeeMode: 1
; LDSByteSize: 0 bytes/workgroup (compile time only)
; SGPRBlocks: 0
; VGPRBlocks: 0
; NumSGPRsForWavesPerEU: 6
; NumVGPRsForWavesPerEU: 1
; AccumOffset: 4
; Occupancy: 8
; WaveLimiterHint : 0
; COMPUTE_PGM_RSRC2:SCRATCH_EN: 0
; COMPUTE_PGM_RSRC2:USER_SGPR: 2
; COMPUTE_PGM_RSRC2:TRAP_HANDLER: 0
; COMPUTE_PGM_RSRC2:TGID_X_EN: 1
; COMPUTE_PGM_RSRC2:TGID_Y_EN: 0
; COMPUTE_PGM_RSRC2:TGID_Z_EN: 0
; COMPUTE_PGM_RSRC2:TIDIG_COMP_CNT: 0
; COMPUTE_PGM_RSRC3_GFX90A:ACCUM_OFFSET: 0
; COMPUTE_PGM_RSRC3_GFX90A:TG_SPLIT: 0
	.section	.text._ZN7rocprim17ROCPRIM_400000_NS6detail17trampoline_kernelINS0_14default_configENS1_25partition_config_selectorILNS1_17partition_subalgoE1EiNS0_10empty_typeEbEEZZNS1_14partition_implILS5_1ELb0ES3_jN6thrust23THRUST_200600_302600_NS6detail15normal_iteratorINSA_10device_ptrIiEEEEPS6_NSA_18transform_iteratorI7is_evenIiESF_NSA_11use_defaultESK_EENS0_5tupleIJSF_NSA_16discard_iteratorISK_EEEEENSM_IJSG_SG_EEES6_PlJS6_EEE10hipError_tPvRmT3_T4_T5_T6_T7_T9_mT8_P12ihipStream_tbDpT10_ENKUlT_T0_E_clISt17integral_constantIbLb1EES1A_IbLb0EEEEDaS16_S17_EUlS16_E_NS1_11comp_targetILNS1_3genE10ELNS1_11target_archE1200ELNS1_3gpuE4ELNS1_3repE0EEENS1_30default_config_static_selectorELNS0_4arch9wavefront6targetE1EEEvT1_,"axG",@progbits,_ZN7rocprim17ROCPRIM_400000_NS6detail17trampoline_kernelINS0_14default_configENS1_25partition_config_selectorILNS1_17partition_subalgoE1EiNS0_10empty_typeEbEEZZNS1_14partition_implILS5_1ELb0ES3_jN6thrust23THRUST_200600_302600_NS6detail15normal_iteratorINSA_10device_ptrIiEEEEPS6_NSA_18transform_iteratorI7is_evenIiESF_NSA_11use_defaultESK_EENS0_5tupleIJSF_NSA_16discard_iteratorISK_EEEEENSM_IJSG_SG_EEES6_PlJS6_EEE10hipError_tPvRmT3_T4_T5_T6_T7_T9_mT8_P12ihipStream_tbDpT10_ENKUlT_T0_E_clISt17integral_constantIbLb1EES1A_IbLb0EEEEDaS16_S17_EUlS16_E_NS1_11comp_targetILNS1_3genE10ELNS1_11target_archE1200ELNS1_3gpuE4ELNS1_3repE0EEENS1_30default_config_static_selectorELNS0_4arch9wavefront6targetE1EEEvT1_,comdat
	.protected	_ZN7rocprim17ROCPRIM_400000_NS6detail17trampoline_kernelINS0_14default_configENS1_25partition_config_selectorILNS1_17partition_subalgoE1EiNS0_10empty_typeEbEEZZNS1_14partition_implILS5_1ELb0ES3_jN6thrust23THRUST_200600_302600_NS6detail15normal_iteratorINSA_10device_ptrIiEEEEPS6_NSA_18transform_iteratorI7is_evenIiESF_NSA_11use_defaultESK_EENS0_5tupleIJSF_NSA_16discard_iteratorISK_EEEEENSM_IJSG_SG_EEES6_PlJS6_EEE10hipError_tPvRmT3_T4_T5_T6_T7_T9_mT8_P12ihipStream_tbDpT10_ENKUlT_T0_E_clISt17integral_constantIbLb1EES1A_IbLb0EEEEDaS16_S17_EUlS16_E_NS1_11comp_targetILNS1_3genE10ELNS1_11target_archE1200ELNS1_3gpuE4ELNS1_3repE0EEENS1_30default_config_static_selectorELNS0_4arch9wavefront6targetE1EEEvT1_ ; -- Begin function _ZN7rocprim17ROCPRIM_400000_NS6detail17trampoline_kernelINS0_14default_configENS1_25partition_config_selectorILNS1_17partition_subalgoE1EiNS0_10empty_typeEbEEZZNS1_14partition_implILS5_1ELb0ES3_jN6thrust23THRUST_200600_302600_NS6detail15normal_iteratorINSA_10device_ptrIiEEEEPS6_NSA_18transform_iteratorI7is_evenIiESF_NSA_11use_defaultESK_EENS0_5tupleIJSF_NSA_16discard_iteratorISK_EEEEENSM_IJSG_SG_EEES6_PlJS6_EEE10hipError_tPvRmT3_T4_T5_T6_T7_T9_mT8_P12ihipStream_tbDpT10_ENKUlT_T0_E_clISt17integral_constantIbLb1EES1A_IbLb0EEEEDaS16_S17_EUlS16_E_NS1_11comp_targetILNS1_3genE10ELNS1_11target_archE1200ELNS1_3gpuE4ELNS1_3repE0EEENS1_30default_config_static_selectorELNS0_4arch9wavefront6targetE1EEEvT1_
	.globl	_ZN7rocprim17ROCPRIM_400000_NS6detail17trampoline_kernelINS0_14default_configENS1_25partition_config_selectorILNS1_17partition_subalgoE1EiNS0_10empty_typeEbEEZZNS1_14partition_implILS5_1ELb0ES3_jN6thrust23THRUST_200600_302600_NS6detail15normal_iteratorINSA_10device_ptrIiEEEEPS6_NSA_18transform_iteratorI7is_evenIiESF_NSA_11use_defaultESK_EENS0_5tupleIJSF_NSA_16discard_iteratorISK_EEEEENSM_IJSG_SG_EEES6_PlJS6_EEE10hipError_tPvRmT3_T4_T5_T6_T7_T9_mT8_P12ihipStream_tbDpT10_ENKUlT_T0_E_clISt17integral_constantIbLb1EES1A_IbLb0EEEEDaS16_S17_EUlS16_E_NS1_11comp_targetILNS1_3genE10ELNS1_11target_archE1200ELNS1_3gpuE4ELNS1_3repE0EEENS1_30default_config_static_selectorELNS0_4arch9wavefront6targetE1EEEvT1_
	.p2align	8
	.type	_ZN7rocprim17ROCPRIM_400000_NS6detail17trampoline_kernelINS0_14default_configENS1_25partition_config_selectorILNS1_17partition_subalgoE1EiNS0_10empty_typeEbEEZZNS1_14partition_implILS5_1ELb0ES3_jN6thrust23THRUST_200600_302600_NS6detail15normal_iteratorINSA_10device_ptrIiEEEEPS6_NSA_18transform_iteratorI7is_evenIiESF_NSA_11use_defaultESK_EENS0_5tupleIJSF_NSA_16discard_iteratorISK_EEEEENSM_IJSG_SG_EEES6_PlJS6_EEE10hipError_tPvRmT3_T4_T5_T6_T7_T9_mT8_P12ihipStream_tbDpT10_ENKUlT_T0_E_clISt17integral_constantIbLb1EES1A_IbLb0EEEEDaS16_S17_EUlS16_E_NS1_11comp_targetILNS1_3genE10ELNS1_11target_archE1200ELNS1_3gpuE4ELNS1_3repE0EEENS1_30default_config_static_selectorELNS0_4arch9wavefront6targetE1EEEvT1_,@function
_ZN7rocprim17ROCPRIM_400000_NS6detail17trampoline_kernelINS0_14default_configENS1_25partition_config_selectorILNS1_17partition_subalgoE1EiNS0_10empty_typeEbEEZZNS1_14partition_implILS5_1ELb0ES3_jN6thrust23THRUST_200600_302600_NS6detail15normal_iteratorINSA_10device_ptrIiEEEEPS6_NSA_18transform_iteratorI7is_evenIiESF_NSA_11use_defaultESK_EENS0_5tupleIJSF_NSA_16discard_iteratorISK_EEEEENSM_IJSG_SG_EEES6_PlJS6_EEE10hipError_tPvRmT3_T4_T5_T6_T7_T9_mT8_P12ihipStream_tbDpT10_ENKUlT_T0_E_clISt17integral_constantIbLb1EES1A_IbLb0EEEEDaS16_S17_EUlS16_E_NS1_11comp_targetILNS1_3genE10ELNS1_11target_archE1200ELNS1_3gpuE4ELNS1_3repE0EEENS1_30default_config_static_selectorELNS0_4arch9wavefront6targetE1EEEvT1_: ; @_ZN7rocprim17ROCPRIM_400000_NS6detail17trampoline_kernelINS0_14default_configENS1_25partition_config_selectorILNS1_17partition_subalgoE1EiNS0_10empty_typeEbEEZZNS1_14partition_implILS5_1ELb0ES3_jN6thrust23THRUST_200600_302600_NS6detail15normal_iteratorINSA_10device_ptrIiEEEEPS6_NSA_18transform_iteratorI7is_evenIiESF_NSA_11use_defaultESK_EENS0_5tupleIJSF_NSA_16discard_iteratorISK_EEEEENSM_IJSG_SG_EEES6_PlJS6_EEE10hipError_tPvRmT3_T4_T5_T6_T7_T9_mT8_P12ihipStream_tbDpT10_ENKUlT_T0_E_clISt17integral_constantIbLb1EES1A_IbLb0EEEEDaS16_S17_EUlS16_E_NS1_11comp_targetILNS1_3genE10ELNS1_11target_archE1200ELNS1_3gpuE4ELNS1_3repE0EEENS1_30default_config_static_selectorELNS0_4arch9wavefront6targetE1EEEvT1_
; %bb.0:
	.section	.rodata,"a",@progbits
	.p2align	6, 0x0
	.amdhsa_kernel _ZN7rocprim17ROCPRIM_400000_NS6detail17trampoline_kernelINS0_14default_configENS1_25partition_config_selectorILNS1_17partition_subalgoE1EiNS0_10empty_typeEbEEZZNS1_14partition_implILS5_1ELb0ES3_jN6thrust23THRUST_200600_302600_NS6detail15normal_iteratorINSA_10device_ptrIiEEEEPS6_NSA_18transform_iteratorI7is_evenIiESF_NSA_11use_defaultESK_EENS0_5tupleIJSF_NSA_16discard_iteratorISK_EEEEENSM_IJSG_SG_EEES6_PlJS6_EEE10hipError_tPvRmT3_T4_T5_T6_T7_T9_mT8_P12ihipStream_tbDpT10_ENKUlT_T0_E_clISt17integral_constantIbLb1EES1A_IbLb0EEEEDaS16_S17_EUlS16_E_NS1_11comp_targetILNS1_3genE10ELNS1_11target_archE1200ELNS1_3gpuE4ELNS1_3repE0EEENS1_30default_config_static_selectorELNS0_4arch9wavefront6targetE1EEEvT1_
		.amdhsa_group_segment_fixed_size 0
		.amdhsa_private_segment_fixed_size 0
		.amdhsa_kernarg_size 136
		.amdhsa_user_sgpr_count 2
		.amdhsa_user_sgpr_dispatch_ptr 0
		.amdhsa_user_sgpr_queue_ptr 0
		.amdhsa_user_sgpr_kernarg_segment_ptr 1
		.amdhsa_user_sgpr_dispatch_id 0
		.amdhsa_user_sgpr_kernarg_preload_length 0
		.amdhsa_user_sgpr_kernarg_preload_offset 0
		.amdhsa_user_sgpr_private_segment_size 0
		.amdhsa_uses_dynamic_stack 0
		.amdhsa_enable_private_segment 0
		.amdhsa_system_sgpr_workgroup_id_x 1
		.amdhsa_system_sgpr_workgroup_id_y 0
		.amdhsa_system_sgpr_workgroup_id_z 0
		.amdhsa_system_sgpr_workgroup_info 0
		.amdhsa_system_vgpr_workitem_id 0
		.amdhsa_next_free_vgpr 1
		.amdhsa_next_free_sgpr 0
		.amdhsa_accum_offset 4
		.amdhsa_reserve_vcc 0
		.amdhsa_float_round_mode_32 0
		.amdhsa_float_round_mode_16_64 0
		.amdhsa_float_denorm_mode_32 3
		.amdhsa_float_denorm_mode_16_64 3
		.amdhsa_dx10_clamp 1
		.amdhsa_ieee_mode 1
		.amdhsa_fp16_overflow 0
		.amdhsa_tg_split 0
		.amdhsa_exception_fp_ieee_invalid_op 0
		.amdhsa_exception_fp_denorm_src 0
		.amdhsa_exception_fp_ieee_div_zero 0
		.amdhsa_exception_fp_ieee_overflow 0
		.amdhsa_exception_fp_ieee_underflow 0
		.amdhsa_exception_fp_ieee_inexact 0
		.amdhsa_exception_int_div_zero 0
	.end_amdhsa_kernel
	.section	.text._ZN7rocprim17ROCPRIM_400000_NS6detail17trampoline_kernelINS0_14default_configENS1_25partition_config_selectorILNS1_17partition_subalgoE1EiNS0_10empty_typeEbEEZZNS1_14partition_implILS5_1ELb0ES3_jN6thrust23THRUST_200600_302600_NS6detail15normal_iteratorINSA_10device_ptrIiEEEEPS6_NSA_18transform_iteratorI7is_evenIiESF_NSA_11use_defaultESK_EENS0_5tupleIJSF_NSA_16discard_iteratorISK_EEEEENSM_IJSG_SG_EEES6_PlJS6_EEE10hipError_tPvRmT3_T4_T5_T6_T7_T9_mT8_P12ihipStream_tbDpT10_ENKUlT_T0_E_clISt17integral_constantIbLb1EES1A_IbLb0EEEEDaS16_S17_EUlS16_E_NS1_11comp_targetILNS1_3genE10ELNS1_11target_archE1200ELNS1_3gpuE4ELNS1_3repE0EEENS1_30default_config_static_selectorELNS0_4arch9wavefront6targetE1EEEvT1_,"axG",@progbits,_ZN7rocprim17ROCPRIM_400000_NS6detail17trampoline_kernelINS0_14default_configENS1_25partition_config_selectorILNS1_17partition_subalgoE1EiNS0_10empty_typeEbEEZZNS1_14partition_implILS5_1ELb0ES3_jN6thrust23THRUST_200600_302600_NS6detail15normal_iteratorINSA_10device_ptrIiEEEEPS6_NSA_18transform_iteratorI7is_evenIiESF_NSA_11use_defaultESK_EENS0_5tupleIJSF_NSA_16discard_iteratorISK_EEEEENSM_IJSG_SG_EEES6_PlJS6_EEE10hipError_tPvRmT3_T4_T5_T6_T7_T9_mT8_P12ihipStream_tbDpT10_ENKUlT_T0_E_clISt17integral_constantIbLb1EES1A_IbLb0EEEEDaS16_S17_EUlS16_E_NS1_11comp_targetILNS1_3genE10ELNS1_11target_archE1200ELNS1_3gpuE4ELNS1_3repE0EEENS1_30default_config_static_selectorELNS0_4arch9wavefront6targetE1EEEvT1_,comdat
.Lfunc_end3312:
	.size	_ZN7rocprim17ROCPRIM_400000_NS6detail17trampoline_kernelINS0_14default_configENS1_25partition_config_selectorILNS1_17partition_subalgoE1EiNS0_10empty_typeEbEEZZNS1_14partition_implILS5_1ELb0ES3_jN6thrust23THRUST_200600_302600_NS6detail15normal_iteratorINSA_10device_ptrIiEEEEPS6_NSA_18transform_iteratorI7is_evenIiESF_NSA_11use_defaultESK_EENS0_5tupleIJSF_NSA_16discard_iteratorISK_EEEEENSM_IJSG_SG_EEES6_PlJS6_EEE10hipError_tPvRmT3_T4_T5_T6_T7_T9_mT8_P12ihipStream_tbDpT10_ENKUlT_T0_E_clISt17integral_constantIbLb1EES1A_IbLb0EEEEDaS16_S17_EUlS16_E_NS1_11comp_targetILNS1_3genE10ELNS1_11target_archE1200ELNS1_3gpuE4ELNS1_3repE0EEENS1_30default_config_static_selectorELNS0_4arch9wavefront6targetE1EEEvT1_, .Lfunc_end3312-_ZN7rocprim17ROCPRIM_400000_NS6detail17trampoline_kernelINS0_14default_configENS1_25partition_config_selectorILNS1_17partition_subalgoE1EiNS0_10empty_typeEbEEZZNS1_14partition_implILS5_1ELb0ES3_jN6thrust23THRUST_200600_302600_NS6detail15normal_iteratorINSA_10device_ptrIiEEEEPS6_NSA_18transform_iteratorI7is_evenIiESF_NSA_11use_defaultESK_EENS0_5tupleIJSF_NSA_16discard_iteratorISK_EEEEENSM_IJSG_SG_EEES6_PlJS6_EEE10hipError_tPvRmT3_T4_T5_T6_T7_T9_mT8_P12ihipStream_tbDpT10_ENKUlT_T0_E_clISt17integral_constantIbLb1EES1A_IbLb0EEEEDaS16_S17_EUlS16_E_NS1_11comp_targetILNS1_3genE10ELNS1_11target_archE1200ELNS1_3gpuE4ELNS1_3repE0EEENS1_30default_config_static_selectorELNS0_4arch9wavefront6targetE1EEEvT1_
                                        ; -- End function
	.section	.AMDGPU.csdata,"",@progbits
; Kernel info:
; codeLenInByte = 0
; NumSgprs: 6
; NumVgprs: 0
; NumAgprs: 0
; TotalNumVgprs: 0
; ScratchSize: 0
; MemoryBound: 0
; FloatMode: 240
; IeeeMode: 1
; LDSByteSize: 0 bytes/workgroup (compile time only)
; SGPRBlocks: 0
; VGPRBlocks: 0
; NumSGPRsForWavesPerEU: 6
; NumVGPRsForWavesPerEU: 1
; AccumOffset: 4
; Occupancy: 8
; WaveLimiterHint : 0
; COMPUTE_PGM_RSRC2:SCRATCH_EN: 0
; COMPUTE_PGM_RSRC2:USER_SGPR: 2
; COMPUTE_PGM_RSRC2:TRAP_HANDLER: 0
; COMPUTE_PGM_RSRC2:TGID_X_EN: 1
; COMPUTE_PGM_RSRC2:TGID_Y_EN: 0
; COMPUTE_PGM_RSRC2:TGID_Z_EN: 0
; COMPUTE_PGM_RSRC2:TIDIG_COMP_CNT: 0
; COMPUTE_PGM_RSRC3_GFX90A:ACCUM_OFFSET: 0
; COMPUTE_PGM_RSRC3_GFX90A:TG_SPLIT: 0
	.section	.text._ZN7rocprim17ROCPRIM_400000_NS6detail17trampoline_kernelINS0_14default_configENS1_25partition_config_selectorILNS1_17partition_subalgoE1EiNS0_10empty_typeEbEEZZNS1_14partition_implILS5_1ELb0ES3_jN6thrust23THRUST_200600_302600_NS6detail15normal_iteratorINSA_10device_ptrIiEEEEPS6_NSA_18transform_iteratorI7is_evenIiESF_NSA_11use_defaultESK_EENS0_5tupleIJSF_NSA_16discard_iteratorISK_EEEEENSM_IJSG_SG_EEES6_PlJS6_EEE10hipError_tPvRmT3_T4_T5_T6_T7_T9_mT8_P12ihipStream_tbDpT10_ENKUlT_T0_E_clISt17integral_constantIbLb1EES1A_IbLb0EEEEDaS16_S17_EUlS16_E_NS1_11comp_targetILNS1_3genE9ELNS1_11target_archE1100ELNS1_3gpuE3ELNS1_3repE0EEENS1_30default_config_static_selectorELNS0_4arch9wavefront6targetE1EEEvT1_,"axG",@progbits,_ZN7rocprim17ROCPRIM_400000_NS6detail17trampoline_kernelINS0_14default_configENS1_25partition_config_selectorILNS1_17partition_subalgoE1EiNS0_10empty_typeEbEEZZNS1_14partition_implILS5_1ELb0ES3_jN6thrust23THRUST_200600_302600_NS6detail15normal_iteratorINSA_10device_ptrIiEEEEPS6_NSA_18transform_iteratorI7is_evenIiESF_NSA_11use_defaultESK_EENS0_5tupleIJSF_NSA_16discard_iteratorISK_EEEEENSM_IJSG_SG_EEES6_PlJS6_EEE10hipError_tPvRmT3_T4_T5_T6_T7_T9_mT8_P12ihipStream_tbDpT10_ENKUlT_T0_E_clISt17integral_constantIbLb1EES1A_IbLb0EEEEDaS16_S17_EUlS16_E_NS1_11comp_targetILNS1_3genE9ELNS1_11target_archE1100ELNS1_3gpuE3ELNS1_3repE0EEENS1_30default_config_static_selectorELNS0_4arch9wavefront6targetE1EEEvT1_,comdat
	.protected	_ZN7rocprim17ROCPRIM_400000_NS6detail17trampoline_kernelINS0_14default_configENS1_25partition_config_selectorILNS1_17partition_subalgoE1EiNS0_10empty_typeEbEEZZNS1_14partition_implILS5_1ELb0ES3_jN6thrust23THRUST_200600_302600_NS6detail15normal_iteratorINSA_10device_ptrIiEEEEPS6_NSA_18transform_iteratorI7is_evenIiESF_NSA_11use_defaultESK_EENS0_5tupleIJSF_NSA_16discard_iteratorISK_EEEEENSM_IJSG_SG_EEES6_PlJS6_EEE10hipError_tPvRmT3_T4_T5_T6_T7_T9_mT8_P12ihipStream_tbDpT10_ENKUlT_T0_E_clISt17integral_constantIbLb1EES1A_IbLb0EEEEDaS16_S17_EUlS16_E_NS1_11comp_targetILNS1_3genE9ELNS1_11target_archE1100ELNS1_3gpuE3ELNS1_3repE0EEENS1_30default_config_static_selectorELNS0_4arch9wavefront6targetE1EEEvT1_ ; -- Begin function _ZN7rocprim17ROCPRIM_400000_NS6detail17trampoline_kernelINS0_14default_configENS1_25partition_config_selectorILNS1_17partition_subalgoE1EiNS0_10empty_typeEbEEZZNS1_14partition_implILS5_1ELb0ES3_jN6thrust23THRUST_200600_302600_NS6detail15normal_iteratorINSA_10device_ptrIiEEEEPS6_NSA_18transform_iteratorI7is_evenIiESF_NSA_11use_defaultESK_EENS0_5tupleIJSF_NSA_16discard_iteratorISK_EEEEENSM_IJSG_SG_EEES6_PlJS6_EEE10hipError_tPvRmT3_T4_T5_T6_T7_T9_mT8_P12ihipStream_tbDpT10_ENKUlT_T0_E_clISt17integral_constantIbLb1EES1A_IbLb0EEEEDaS16_S17_EUlS16_E_NS1_11comp_targetILNS1_3genE9ELNS1_11target_archE1100ELNS1_3gpuE3ELNS1_3repE0EEENS1_30default_config_static_selectorELNS0_4arch9wavefront6targetE1EEEvT1_
	.globl	_ZN7rocprim17ROCPRIM_400000_NS6detail17trampoline_kernelINS0_14default_configENS1_25partition_config_selectorILNS1_17partition_subalgoE1EiNS0_10empty_typeEbEEZZNS1_14partition_implILS5_1ELb0ES3_jN6thrust23THRUST_200600_302600_NS6detail15normal_iteratorINSA_10device_ptrIiEEEEPS6_NSA_18transform_iteratorI7is_evenIiESF_NSA_11use_defaultESK_EENS0_5tupleIJSF_NSA_16discard_iteratorISK_EEEEENSM_IJSG_SG_EEES6_PlJS6_EEE10hipError_tPvRmT3_T4_T5_T6_T7_T9_mT8_P12ihipStream_tbDpT10_ENKUlT_T0_E_clISt17integral_constantIbLb1EES1A_IbLb0EEEEDaS16_S17_EUlS16_E_NS1_11comp_targetILNS1_3genE9ELNS1_11target_archE1100ELNS1_3gpuE3ELNS1_3repE0EEENS1_30default_config_static_selectorELNS0_4arch9wavefront6targetE1EEEvT1_
	.p2align	8
	.type	_ZN7rocprim17ROCPRIM_400000_NS6detail17trampoline_kernelINS0_14default_configENS1_25partition_config_selectorILNS1_17partition_subalgoE1EiNS0_10empty_typeEbEEZZNS1_14partition_implILS5_1ELb0ES3_jN6thrust23THRUST_200600_302600_NS6detail15normal_iteratorINSA_10device_ptrIiEEEEPS6_NSA_18transform_iteratorI7is_evenIiESF_NSA_11use_defaultESK_EENS0_5tupleIJSF_NSA_16discard_iteratorISK_EEEEENSM_IJSG_SG_EEES6_PlJS6_EEE10hipError_tPvRmT3_T4_T5_T6_T7_T9_mT8_P12ihipStream_tbDpT10_ENKUlT_T0_E_clISt17integral_constantIbLb1EES1A_IbLb0EEEEDaS16_S17_EUlS16_E_NS1_11comp_targetILNS1_3genE9ELNS1_11target_archE1100ELNS1_3gpuE3ELNS1_3repE0EEENS1_30default_config_static_selectorELNS0_4arch9wavefront6targetE1EEEvT1_,@function
_ZN7rocprim17ROCPRIM_400000_NS6detail17trampoline_kernelINS0_14default_configENS1_25partition_config_selectorILNS1_17partition_subalgoE1EiNS0_10empty_typeEbEEZZNS1_14partition_implILS5_1ELb0ES3_jN6thrust23THRUST_200600_302600_NS6detail15normal_iteratorINSA_10device_ptrIiEEEEPS6_NSA_18transform_iteratorI7is_evenIiESF_NSA_11use_defaultESK_EENS0_5tupleIJSF_NSA_16discard_iteratorISK_EEEEENSM_IJSG_SG_EEES6_PlJS6_EEE10hipError_tPvRmT3_T4_T5_T6_T7_T9_mT8_P12ihipStream_tbDpT10_ENKUlT_T0_E_clISt17integral_constantIbLb1EES1A_IbLb0EEEEDaS16_S17_EUlS16_E_NS1_11comp_targetILNS1_3genE9ELNS1_11target_archE1100ELNS1_3gpuE3ELNS1_3repE0EEENS1_30default_config_static_selectorELNS0_4arch9wavefront6targetE1EEEvT1_: ; @_ZN7rocprim17ROCPRIM_400000_NS6detail17trampoline_kernelINS0_14default_configENS1_25partition_config_selectorILNS1_17partition_subalgoE1EiNS0_10empty_typeEbEEZZNS1_14partition_implILS5_1ELb0ES3_jN6thrust23THRUST_200600_302600_NS6detail15normal_iteratorINSA_10device_ptrIiEEEEPS6_NSA_18transform_iteratorI7is_evenIiESF_NSA_11use_defaultESK_EENS0_5tupleIJSF_NSA_16discard_iteratorISK_EEEEENSM_IJSG_SG_EEES6_PlJS6_EEE10hipError_tPvRmT3_T4_T5_T6_T7_T9_mT8_P12ihipStream_tbDpT10_ENKUlT_T0_E_clISt17integral_constantIbLb1EES1A_IbLb0EEEEDaS16_S17_EUlS16_E_NS1_11comp_targetILNS1_3genE9ELNS1_11target_archE1100ELNS1_3gpuE3ELNS1_3repE0EEENS1_30default_config_static_selectorELNS0_4arch9wavefront6targetE1EEEvT1_
; %bb.0:
	.section	.rodata,"a",@progbits
	.p2align	6, 0x0
	.amdhsa_kernel _ZN7rocprim17ROCPRIM_400000_NS6detail17trampoline_kernelINS0_14default_configENS1_25partition_config_selectorILNS1_17partition_subalgoE1EiNS0_10empty_typeEbEEZZNS1_14partition_implILS5_1ELb0ES3_jN6thrust23THRUST_200600_302600_NS6detail15normal_iteratorINSA_10device_ptrIiEEEEPS6_NSA_18transform_iteratorI7is_evenIiESF_NSA_11use_defaultESK_EENS0_5tupleIJSF_NSA_16discard_iteratorISK_EEEEENSM_IJSG_SG_EEES6_PlJS6_EEE10hipError_tPvRmT3_T4_T5_T6_T7_T9_mT8_P12ihipStream_tbDpT10_ENKUlT_T0_E_clISt17integral_constantIbLb1EES1A_IbLb0EEEEDaS16_S17_EUlS16_E_NS1_11comp_targetILNS1_3genE9ELNS1_11target_archE1100ELNS1_3gpuE3ELNS1_3repE0EEENS1_30default_config_static_selectorELNS0_4arch9wavefront6targetE1EEEvT1_
		.amdhsa_group_segment_fixed_size 0
		.amdhsa_private_segment_fixed_size 0
		.amdhsa_kernarg_size 136
		.amdhsa_user_sgpr_count 2
		.amdhsa_user_sgpr_dispatch_ptr 0
		.amdhsa_user_sgpr_queue_ptr 0
		.amdhsa_user_sgpr_kernarg_segment_ptr 1
		.amdhsa_user_sgpr_dispatch_id 0
		.amdhsa_user_sgpr_kernarg_preload_length 0
		.amdhsa_user_sgpr_kernarg_preload_offset 0
		.amdhsa_user_sgpr_private_segment_size 0
		.amdhsa_uses_dynamic_stack 0
		.amdhsa_enable_private_segment 0
		.amdhsa_system_sgpr_workgroup_id_x 1
		.amdhsa_system_sgpr_workgroup_id_y 0
		.amdhsa_system_sgpr_workgroup_id_z 0
		.amdhsa_system_sgpr_workgroup_info 0
		.amdhsa_system_vgpr_workitem_id 0
		.amdhsa_next_free_vgpr 1
		.amdhsa_next_free_sgpr 0
		.amdhsa_accum_offset 4
		.amdhsa_reserve_vcc 0
		.amdhsa_float_round_mode_32 0
		.amdhsa_float_round_mode_16_64 0
		.amdhsa_float_denorm_mode_32 3
		.amdhsa_float_denorm_mode_16_64 3
		.amdhsa_dx10_clamp 1
		.amdhsa_ieee_mode 1
		.amdhsa_fp16_overflow 0
		.amdhsa_tg_split 0
		.amdhsa_exception_fp_ieee_invalid_op 0
		.amdhsa_exception_fp_denorm_src 0
		.amdhsa_exception_fp_ieee_div_zero 0
		.amdhsa_exception_fp_ieee_overflow 0
		.amdhsa_exception_fp_ieee_underflow 0
		.amdhsa_exception_fp_ieee_inexact 0
		.amdhsa_exception_int_div_zero 0
	.end_amdhsa_kernel
	.section	.text._ZN7rocprim17ROCPRIM_400000_NS6detail17trampoline_kernelINS0_14default_configENS1_25partition_config_selectorILNS1_17partition_subalgoE1EiNS0_10empty_typeEbEEZZNS1_14partition_implILS5_1ELb0ES3_jN6thrust23THRUST_200600_302600_NS6detail15normal_iteratorINSA_10device_ptrIiEEEEPS6_NSA_18transform_iteratorI7is_evenIiESF_NSA_11use_defaultESK_EENS0_5tupleIJSF_NSA_16discard_iteratorISK_EEEEENSM_IJSG_SG_EEES6_PlJS6_EEE10hipError_tPvRmT3_T4_T5_T6_T7_T9_mT8_P12ihipStream_tbDpT10_ENKUlT_T0_E_clISt17integral_constantIbLb1EES1A_IbLb0EEEEDaS16_S17_EUlS16_E_NS1_11comp_targetILNS1_3genE9ELNS1_11target_archE1100ELNS1_3gpuE3ELNS1_3repE0EEENS1_30default_config_static_selectorELNS0_4arch9wavefront6targetE1EEEvT1_,"axG",@progbits,_ZN7rocprim17ROCPRIM_400000_NS6detail17trampoline_kernelINS0_14default_configENS1_25partition_config_selectorILNS1_17partition_subalgoE1EiNS0_10empty_typeEbEEZZNS1_14partition_implILS5_1ELb0ES3_jN6thrust23THRUST_200600_302600_NS6detail15normal_iteratorINSA_10device_ptrIiEEEEPS6_NSA_18transform_iteratorI7is_evenIiESF_NSA_11use_defaultESK_EENS0_5tupleIJSF_NSA_16discard_iteratorISK_EEEEENSM_IJSG_SG_EEES6_PlJS6_EEE10hipError_tPvRmT3_T4_T5_T6_T7_T9_mT8_P12ihipStream_tbDpT10_ENKUlT_T0_E_clISt17integral_constantIbLb1EES1A_IbLb0EEEEDaS16_S17_EUlS16_E_NS1_11comp_targetILNS1_3genE9ELNS1_11target_archE1100ELNS1_3gpuE3ELNS1_3repE0EEENS1_30default_config_static_selectorELNS0_4arch9wavefront6targetE1EEEvT1_,comdat
.Lfunc_end3313:
	.size	_ZN7rocprim17ROCPRIM_400000_NS6detail17trampoline_kernelINS0_14default_configENS1_25partition_config_selectorILNS1_17partition_subalgoE1EiNS0_10empty_typeEbEEZZNS1_14partition_implILS5_1ELb0ES3_jN6thrust23THRUST_200600_302600_NS6detail15normal_iteratorINSA_10device_ptrIiEEEEPS6_NSA_18transform_iteratorI7is_evenIiESF_NSA_11use_defaultESK_EENS0_5tupleIJSF_NSA_16discard_iteratorISK_EEEEENSM_IJSG_SG_EEES6_PlJS6_EEE10hipError_tPvRmT3_T4_T5_T6_T7_T9_mT8_P12ihipStream_tbDpT10_ENKUlT_T0_E_clISt17integral_constantIbLb1EES1A_IbLb0EEEEDaS16_S17_EUlS16_E_NS1_11comp_targetILNS1_3genE9ELNS1_11target_archE1100ELNS1_3gpuE3ELNS1_3repE0EEENS1_30default_config_static_selectorELNS0_4arch9wavefront6targetE1EEEvT1_, .Lfunc_end3313-_ZN7rocprim17ROCPRIM_400000_NS6detail17trampoline_kernelINS0_14default_configENS1_25partition_config_selectorILNS1_17partition_subalgoE1EiNS0_10empty_typeEbEEZZNS1_14partition_implILS5_1ELb0ES3_jN6thrust23THRUST_200600_302600_NS6detail15normal_iteratorINSA_10device_ptrIiEEEEPS6_NSA_18transform_iteratorI7is_evenIiESF_NSA_11use_defaultESK_EENS0_5tupleIJSF_NSA_16discard_iteratorISK_EEEEENSM_IJSG_SG_EEES6_PlJS6_EEE10hipError_tPvRmT3_T4_T5_T6_T7_T9_mT8_P12ihipStream_tbDpT10_ENKUlT_T0_E_clISt17integral_constantIbLb1EES1A_IbLb0EEEEDaS16_S17_EUlS16_E_NS1_11comp_targetILNS1_3genE9ELNS1_11target_archE1100ELNS1_3gpuE3ELNS1_3repE0EEENS1_30default_config_static_selectorELNS0_4arch9wavefront6targetE1EEEvT1_
                                        ; -- End function
	.section	.AMDGPU.csdata,"",@progbits
; Kernel info:
; codeLenInByte = 0
; NumSgprs: 6
; NumVgprs: 0
; NumAgprs: 0
; TotalNumVgprs: 0
; ScratchSize: 0
; MemoryBound: 0
; FloatMode: 240
; IeeeMode: 1
; LDSByteSize: 0 bytes/workgroup (compile time only)
; SGPRBlocks: 0
; VGPRBlocks: 0
; NumSGPRsForWavesPerEU: 6
; NumVGPRsForWavesPerEU: 1
; AccumOffset: 4
; Occupancy: 8
; WaveLimiterHint : 0
; COMPUTE_PGM_RSRC2:SCRATCH_EN: 0
; COMPUTE_PGM_RSRC2:USER_SGPR: 2
; COMPUTE_PGM_RSRC2:TRAP_HANDLER: 0
; COMPUTE_PGM_RSRC2:TGID_X_EN: 1
; COMPUTE_PGM_RSRC2:TGID_Y_EN: 0
; COMPUTE_PGM_RSRC2:TGID_Z_EN: 0
; COMPUTE_PGM_RSRC2:TIDIG_COMP_CNT: 0
; COMPUTE_PGM_RSRC3_GFX90A:ACCUM_OFFSET: 0
; COMPUTE_PGM_RSRC3_GFX90A:TG_SPLIT: 0
	.section	.text._ZN7rocprim17ROCPRIM_400000_NS6detail17trampoline_kernelINS0_14default_configENS1_25partition_config_selectorILNS1_17partition_subalgoE1EiNS0_10empty_typeEbEEZZNS1_14partition_implILS5_1ELb0ES3_jN6thrust23THRUST_200600_302600_NS6detail15normal_iteratorINSA_10device_ptrIiEEEEPS6_NSA_18transform_iteratorI7is_evenIiESF_NSA_11use_defaultESK_EENS0_5tupleIJSF_NSA_16discard_iteratorISK_EEEEENSM_IJSG_SG_EEES6_PlJS6_EEE10hipError_tPvRmT3_T4_T5_T6_T7_T9_mT8_P12ihipStream_tbDpT10_ENKUlT_T0_E_clISt17integral_constantIbLb1EES1A_IbLb0EEEEDaS16_S17_EUlS16_E_NS1_11comp_targetILNS1_3genE8ELNS1_11target_archE1030ELNS1_3gpuE2ELNS1_3repE0EEENS1_30default_config_static_selectorELNS0_4arch9wavefront6targetE1EEEvT1_,"axG",@progbits,_ZN7rocprim17ROCPRIM_400000_NS6detail17trampoline_kernelINS0_14default_configENS1_25partition_config_selectorILNS1_17partition_subalgoE1EiNS0_10empty_typeEbEEZZNS1_14partition_implILS5_1ELb0ES3_jN6thrust23THRUST_200600_302600_NS6detail15normal_iteratorINSA_10device_ptrIiEEEEPS6_NSA_18transform_iteratorI7is_evenIiESF_NSA_11use_defaultESK_EENS0_5tupleIJSF_NSA_16discard_iteratorISK_EEEEENSM_IJSG_SG_EEES6_PlJS6_EEE10hipError_tPvRmT3_T4_T5_T6_T7_T9_mT8_P12ihipStream_tbDpT10_ENKUlT_T0_E_clISt17integral_constantIbLb1EES1A_IbLb0EEEEDaS16_S17_EUlS16_E_NS1_11comp_targetILNS1_3genE8ELNS1_11target_archE1030ELNS1_3gpuE2ELNS1_3repE0EEENS1_30default_config_static_selectorELNS0_4arch9wavefront6targetE1EEEvT1_,comdat
	.protected	_ZN7rocprim17ROCPRIM_400000_NS6detail17trampoline_kernelINS0_14default_configENS1_25partition_config_selectorILNS1_17partition_subalgoE1EiNS0_10empty_typeEbEEZZNS1_14partition_implILS5_1ELb0ES3_jN6thrust23THRUST_200600_302600_NS6detail15normal_iteratorINSA_10device_ptrIiEEEEPS6_NSA_18transform_iteratorI7is_evenIiESF_NSA_11use_defaultESK_EENS0_5tupleIJSF_NSA_16discard_iteratorISK_EEEEENSM_IJSG_SG_EEES6_PlJS6_EEE10hipError_tPvRmT3_T4_T5_T6_T7_T9_mT8_P12ihipStream_tbDpT10_ENKUlT_T0_E_clISt17integral_constantIbLb1EES1A_IbLb0EEEEDaS16_S17_EUlS16_E_NS1_11comp_targetILNS1_3genE8ELNS1_11target_archE1030ELNS1_3gpuE2ELNS1_3repE0EEENS1_30default_config_static_selectorELNS0_4arch9wavefront6targetE1EEEvT1_ ; -- Begin function _ZN7rocprim17ROCPRIM_400000_NS6detail17trampoline_kernelINS0_14default_configENS1_25partition_config_selectorILNS1_17partition_subalgoE1EiNS0_10empty_typeEbEEZZNS1_14partition_implILS5_1ELb0ES3_jN6thrust23THRUST_200600_302600_NS6detail15normal_iteratorINSA_10device_ptrIiEEEEPS6_NSA_18transform_iteratorI7is_evenIiESF_NSA_11use_defaultESK_EENS0_5tupleIJSF_NSA_16discard_iteratorISK_EEEEENSM_IJSG_SG_EEES6_PlJS6_EEE10hipError_tPvRmT3_T4_T5_T6_T7_T9_mT8_P12ihipStream_tbDpT10_ENKUlT_T0_E_clISt17integral_constantIbLb1EES1A_IbLb0EEEEDaS16_S17_EUlS16_E_NS1_11comp_targetILNS1_3genE8ELNS1_11target_archE1030ELNS1_3gpuE2ELNS1_3repE0EEENS1_30default_config_static_selectorELNS0_4arch9wavefront6targetE1EEEvT1_
	.globl	_ZN7rocprim17ROCPRIM_400000_NS6detail17trampoline_kernelINS0_14default_configENS1_25partition_config_selectorILNS1_17partition_subalgoE1EiNS0_10empty_typeEbEEZZNS1_14partition_implILS5_1ELb0ES3_jN6thrust23THRUST_200600_302600_NS6detail15normal_iteratorINSA_10device_ptrIiEEEEPS6_NSA_18transform_iteratorI7is_evenIiESF_NSA_11use_defaultESK_EENS0_5tupleIJSF_NSA_16discard_iteratorISK_EEEEENSM_IJSG_SG_EEES6_PlJS6_EEE10hipError_tPvRmT3_T4_T5_T6_T7_T9_mT8_P12ihipStream_tbDpT10_ENKUlT_T0_E_clISt17integral_constantIbLb1EES1A_IbLb0EEEEDaS16_S17_EUlS16_E_NS1_11comp_targetILNS1_3genE8ELNS1_11target_archE1030ELNS1_3gpuE2ELNS1_3repE0EEENS1_30default_config_static_selectorELNS0_4arch9wavefront6targetE1EEEvT1_
	.p2align	8
	.type	_ZN7rocprim17ROCPRIM_400000_NS6detail17trampoline_kernelINS0_14default_configENS1_25partition_config_selectorILNS1_17partition_subalgoE1EiNS0_10empty_typeEbEEZZNS1_14partition_implILS5_1ELb0ES3_jN6thrust23THRUST_200600_302600_NS6detail15normal_iteratorINSA_10device_ptrIiEEEEPS6_NSA_18transform_iteratorI7is_evenIiESF_NSA_11use_defaultESK_EENS0_5tupleIJSF_NSA_16discard_iteratorISK_EEEEENSM_IJSG_SG_EEES6_PlJS6_EEE10hipError_tPvRmT3_T4_T5_T6_T7_T9_mT8_P12ihipStream_tbDpT10_ENKUlT_T0_E_clISt17integral_constantIbLb1EES1A_IbLb0EEEEDaS16_S17_EUlS16_E_NS1_11comp_targetILNS1_3genE8ELNS1_11target_archE1030ELNS1_3gpuE2ELNS1_3repE0EEENS1_30default_config_static_selectorELNS0_4arch9wavefront6targetE1EEEvT1_,@function
_ZN7rocprim17ROCPRIM_400000_NS6detail17trampoline_kernelINS0_14default_configENS1_25partition_config_selectorILNS1_17partition_subalgoE1EiNS0_10empty_typeEbEEZZNS1_14partition_implILS5_1ELb0ES3_jN6thrust23THRUST_200600_302600_NS6detail15normal_iteratorINSA_10device_ptrIiEEEEPS6_NSA_18transform_iteratorI7is_evenIiESF_NSA_11use_defaultESK_EENS0_5tupleIJSF_NSA_16discard_iteratorISK_EEEEENSM_IJSG_SG_EEES6_PlJS6_EEE10hipError_tPvRmT3_T4_T5_T6_T7_T9_mT8_P12ihipStream_tbDpT10_ENKUlT_T0_E_clISt17integral_constantIbLb1EES1A_IbLb0EEEEDaS16_S17_EUlS16_E_NS1_11comp_targetILNS1_3genE8ELNS1_11target_archE1030ELNS1_3gpuE2ELNS1_3repE0EEENS1_30default_config_static_selectorELNS0_4arch9wavefront6targetE1EEEvT1_: ; @_ZN7rocprim17ROCPRIM_400000_NS6detail17trampoline_kernelINS0_14default_configENS1_25partition_config_selectorILNS1_17partition_subalgoE1EiNS0_10empty_typeEbEEZZNS1_14partition_implILS5_1ELb0ES3_jN6thrust23THRUST_200600_302600_NS6detail15normal_iteratorINSA_10device_ptrIiEEEEPS6_NSA_18transform_iteratorI7is_evenIiESF_NSA_11use_defaultESK_EENS0_5tupleIJSF_NSA_16discard_iteratorISK_EEEEENSM_IJSG_SG_EEES6_PlJS6_EEE10hipError_tPvRmT3_T4_T5_T6_T7_T9_mT8_P12ihipStream_tbDpT10_ENKUlT_T0_E_clISt17integral_constantIbLb1EES1A_IbLb0EEEEDaS16_S17_EUlS16_E_NS1_11comp_targetILNS1_3genE8ELNS1_11target_archE1030ELNS1_3gpuE2ELNS1_3repE0EEENS1_30default_config_static_selectorELNS0_4arch9wavefront6targetE1EEEvT1_
; %bb.0:
	.section	.rodata,"a",@progbits
	.p2align	6, 0x0
	.amdhsa_kernel _ZN7rocprim17ROCPRIM_400000_NS6detail17trampoline_kernelINS0_14default_configENS1_25partition_config_selectorILNS1_17partition_subalgoE1EiNS0_10empty_typeEbEEZZNS1_14partition_implILS5_1ELb0ES3_jN6thrust23THRUST_200600_302600_NS6detail15normal_iteratorINSA_10device_ptrIiEEEEPS6_NSA_18transform_iteratorI7is_evenIiESF_NSA_11use_defaultESK_EENS0_5tupleIJSF_NSA_16discard_iteratorISK_EEEEENSM_IJSG_SG_EEES6_PlJS6_EEE10hipError_tPvRmT3_T4_T5_T6_T7_T9_mT8_P12ihipStream_tbDpT10_ENKUlT_T0_E_clISt17integral_constantIbLb1EES1A_IbLb0EEEEDaS16_S17_EUlS16_E_NS1_11comp_targetILNS1_3genE8ELNS1_11target_archE1030ELNS1_3gpuE2ELNS1_3repE0EEENS1_30default_config_static_selectorELNS0_4arch9wavefront6targetE1EEEvT1_
		.amdhsa_group_segment_fixed_size 0
		.amdhsa_private_segment_fixed_size 0
		.amdhsa_kernarg_size 136
		.amdhsa_user_sgpr_count 2
		.amdhsa_user_sgpr_dispatch_ptr 0
		.amdhsa_user_sgpr_queue_ptr 0
		.amdhsa_user_sgpr_kernarg_segment_ptr 1
		.amdhsa_user_sgpr_dispatch_id 0
		.amdhsa_user_sgpr_kernarg_preload_length 0
		.amdhsa_user_sgpr_kernarg_preload_offset 0
		.amdhsa_user_sgpr_private_segment_size 0
		.amdhsa_uses_dynamic_stack 0
		.amdhsa_enable_private_segment 0
		.amdhsa_system_sgpr_workgroup_id_x 1
		.amdhsa_system_sgpr_workgroup_id_y 0
		.amdhsa_system_sgpr_workgroup_id_z 0
		.amdhsa_system_sgpr_workgroup_info 0
		.amdhsa_system_vgpr_workitem_id 0
		.amdhsa_next_free_vgpr 1
		.amdhsa_next_free_sgpr 0
		.amdhsa_accum_offset 4
		.amdhsa_reserve_vcc 0
		.amdhsa_float_round_mode_32 0
		.amdhsa_float_round_mode_16_64 0
		.amdhsa_float_denorm_mode_32 3
		.amdhsa_float_denorm_mode_16_64 3
		.amdhsa_dx10_clamp 1
		.amdhsa_ieee_mode 1
		.amdhsa_fp16_overflow 0
		.amdhsa_tg_split 0
		.amdhsa_exception_fp_ieee_invalid_op 0
		.amdhsa_exception_fp_denorm_src 0
		.amdhsa_exception_fp_ieee_div_zero 0
		.amdhsa_exception_fp_ieee_overflow 0
		.amdhsa_exception_fp_ieee_underflow 0
		.amdhsa_exception_fp_ieee_inexact 0
		.amdhsa_exception_int_div_zero 0
	.end_amdhsa_kernel
	.section	.text._ZN7rocprim17ROCPRIM_400000_NS6detail17trampoline_kernelINS0_14default_configENS1_25partition_config_selectorILNS1_17partition_subalgoE1EiNS0_10empty_typeEbEEZZNS1_14partition_implILS5_1ELb0ES3_jN6thrust23THRUST_200600_302600_NS6detail15normal_iteratorINSA_10device_ptrIiEEEEPS6_NSA_18transform_iteratorI7is_evenIiESF_NSA_11use_defaultESK_EENS0_5tupleIJSF_NSA_16discard_iteratorISK_EEEEENSM_IJSG_SG_EEES6_PlJS6_EEE10hipError_tPvRmT3_T4_T5_T6_T7_T9_mT8_P12ihipStream_tbDpT10_ENKUlT_T0_E_clISt17integral_constantIbLb1EES1A_IbLb0EEEEDaS16_S17_EUlS16_E_NS1_11comp_targetILNS1_3genE8ELNS1_11target_archE1030ELNS1_3gpuE2ELNS1_3repE0EEENS1_30default_config_static_selectorELNS0_4arch9wavefront6targetE1EEEvT1_,"axG",@progbits,_ZN7rocprim17ROCPRIM_400000_NS6detail17trampoline_kernelINS0_14default_configENS1_25partition_config_selectorILNS1_17partition_subalgoE1EiNS0_10empty_typeEbEEZZNS1_14partition_implILS5_1ELb0ES3_jN6thrust23THRUST_200600_302600_NS6detail15normal_iteratorINSA_10device_ptrIiEEEEPS6_NSA_18transform_iteratorI7is_evenIiESF_NSA_11use_defaultESK_EENS0_5tupleIJSF_NSA_16discard_iteratorISK_EEEEENSM_IJSG_SG_EEES6_PlJS6_EEE10hipError_tPvRmT3_T4_T5_T6_T7_T9_mT8_P12ihipStream_tbDpT10_ENKUlT_T0_E_clISt17integral_constantIbLb1EES1A_IbLb0EEEEDaS16_S17_EUlS16_E_NS1_11comp_targetILNS1_3genE8ELNS1_11target_archE1030ELNS1_3gpuE2ELNS1_3repE0EEENS1_30default_config_static_selectorELNS0_4arch9wavefront6targetE1EEEvT1_,comdat
.Lfunc_end3314:
	.size	_ZN7rocprim17ROCPRIM_400000_NS6detail17trampoline_kernelINS0_14default_configENS1_25partition_config_selectorILNS1_17partition_subalgoE1EiNS0_10empty_typeEbEEZZNS1_14partition_implILS5_1ELb0ES3_jN6thrust23THRUST_200600_302600_NS6detail15normal_iteratorINSA_10device_ptrIiEEEEPS6_NSA_18transform_iteratorI7is_evenIiESF_NSA_11use_defaultESK_EENS0_5tupleIJSF_NSA_16discard_iteratorISK_EEEEENSM_IJSG_SG_EEES6_PlJS6_EEE10hipError_tPvRmT3_T4_T5_T6_T7_T9_mT8_P12ihipStream_tbDpT10_ENKUlT_T0_E_clISt17integral_constantIbLb1EES1A_IbLb0EEEEDaS16_S17_EUlS16_E_NS1_11comp_targetILNS1_3genE8ELNS1_11target_archE1030ELNS1_3gpuE2ELNS1_3repE0EEENS1_30default_config_static_selectorELNS0_4arch9wavefront6targetE1EEEvT1_, .Lfunc_end3314-_ZN7rocprim17ROCPRIM_400000_NS6detail17trampoline_kernelINS0_14default_configENS1_25partition_config_selectorILNS1_17partition_subalgoE1EiNS0_10empty_typeEbEEZZNS1_14partition_implILS5_1ELb0ES3_jN6thrust23THRUST_200600_302600_NS6detail15normal_iteratorINSA_10device_ptrIiEEEEPS6_NSA_18transform_iteratorI7is_evenIiESF_NSA_11use_defaultESK_EENS0_5tupleIJSF_NSA_16discard_iteratorISK_EEEEENSM_IJSG_SG_EEES6_PlJS6_EEE10hipError_tPvRmT3_T4_T5_T6_T7_T9_mT8_P12ihipStream_tbDpT10_ENKUlT_T0_E_clISt17integral_constantIbLb1EES1A_IbLb0EEEEDaS16_S17_EUlS16_E_NS1_11comp_targetILNS1_3genE8ELNS1_11target_archE1030ELNS1_3gpuE2ELNS1_3repE0EEENS1_30default_config_static_selectorELNS0_4arch9wavefront6targetE1EEEvT1_
                                        ; -- End function
	.section	.AMDGPU.csdata,"",@progbits
; Kernel info:
; codeLenInByte = 0
; NumSgprs: 6
; NumVgprs: 0
; NumAgprs: 0
; TotalNumVgprs: 0
; ScratchSize: 0
; MemoryBound: 0
; FloatMode: 240
; IeeeMode: 1
; LDSByteSize: 0 bytes/workgroup (compile time only)
; SGPRBlocks: 0
; VGPRBlocks: 0
; NumSGPRsForWavesPerEU: 6
; NumVGPRsForWavesPerEU: 1
; AccumOffset: 4
; Occupancy: 8
; WaveLimiterHint : 0
; COMPUTE_PGM_RSRC2:SCRATCH_EN: 0
; COMPUTE_PGM_RSRC2:USER_SGPR: 2
; COMPUTE_PGM_RSRC2:TRAP_HANDLER: 0
; COMPUTE_PGM_RSRC2:TGID_X_EN: 1
; COMPUTE_PGM_RSRC2:TGID_Y_EN: 0
; COMPUTE_PGM_RSRC2:TGID_Z_EN: 0
; COMPUTE_PGM_RSRC2:TIDIG_COMP_CNT: 0
; COMPUTE_PGM_RSRC3_GFX90A:ACCUM_OFFSET: 0
; COMPUTE_PGM_RSRC3_GFX90A:TG_SPLIT: 0
	.section	.text._ZN7rocprim17ROCPRIM_400000_NS6detail17trampoline_kernelINS0_14default_configENS1_25partition_config_selectorILNS1_17partition_subalgoE1EiNS0_10empty_typeEbEEZZNS1_14partition_implILS5_1ELb0ES3_jN6thrust23THRUST_200600_302600_NS6detail15normal_iteratorINSA_10device_ptrIiEEEEPS6_NSA_18transform_iteratorI7is_evenIiESF_NSA_11use_defaultESK_EENS0_5tupleIJSF_NSA_16discard_iteratorISK_EEEEENSM_IJSG_SG_EEES6_PlJS6_EEE10hipError_tPvRmT3_T4_T5_T6_T7_T9_mT8_P12ihipStream_tbDpT10_ENKUlT_T0_E_clISt17integral_constantIbLb0EES1A_IbLb1EEEEDaS16_S17_EUlS16_E_NS1_11comp_targetILNS1_3genE0ELNS1_11target_archE4294967295ELNS1_3gpuE0ELNS1_3repE0EEENS1_30default_config_static_selectorELNS0_4arch9wavefront6targetE1EEEvT1_,"axG",@progbits,_ZN7rocprim17ROCPRIM_400000_NS6detail17trampoline_kernelINS0_14default_configENS1_25partition_config_selectorILNS1_17partition_subalgoE1EiNS0_10empty_typeEbEEZZNS1_14partition_implILS5_1ELb0ES3_jN6thrust23THRUST_200600_302600_NS6detail15normal_iteratorINSA_10device_ptrIiEEEEPS6_NSA_18transform_iteratorI7is_evenIiESF_NSA_11use_defaultESK_EENS0_5tupleIJSF_NSA_16discard_iteratorISK_EEEEENSM_IJSG_SG_EEES6_PlJS6_EEE10hipError_tPvRmT3_T4_T5_T6_T7_T9_mT8_P12ihipStream_tbDpT10_ENKUlT_T0_E_clISt17integral_constantIbLb0EES1A_IbLb1EEEEDaS16_S17_EUlS16_E_NS1_11comp_targetILNS1_3genE0ELNS1_11target_archE4294967295ELNS1_3gpuE0ELNS1_3repE0EEENS1_30default_config_static_selectorELNS0_4arch9wavefront6targetE1EEEvT1_,comdat
	.protected	_ZN7rocprim17ROCPRIM_400000_NS6detail17trampoline_kernelINS0_14default_configENS1_25partition_config_selectorILNS1_17partition_subalgoE1EiNS0_10empty_typeEbEEZZNS1_14partition_implILS5_1ELb0ES3_jN6thrust23THRUST_200600_302600_NS6detail15normal_iteratorINSA_10device_ptrIiEEEEPS6_NSA_18transform_iteratorI7is_evenIiESF_NSA_11use_defaultESK_EENS0_5tupleIJSF_NSA_16discard_iteratorISK_EEEEENSM_IJSG_SG_EEES6_PlJS6_EEE10hipError_tPvRmT3_T4_T5_T6_T7_T9_mT8_P12ihipStream_tbDpT10_ENKUlT_T0_E_clISt17integral_constantIbLb0EES1A_IbLb1EEEEDaS16_S17_EUlS16_E_NS1_11comp_targetILNS1_3genE0ELNS1_11target_archE4294967295ELNS1_3gpuE0ELNS1_3repE0EEENS1_30default_config_static_selectorELNS0_4arch9wavefront6targetE1EEEvT1_ ; -- Begin function _ZN7rocprim17ROCPRIM_400000_NS6detail17trampoline_kernelINS0_14default_configENS1_25partition_config_selectorILNS1_17partition_subalgoE1EiNS0_10empty_typeEbEEZZNS1_14partition_implILS5_1ELb0ES3_jN6thrust23THRUST_200600_302600_NS6detail15normal_iteratorINSA_10device_ptrIiEEEEPS6_NSA_18transform_iteratorI7is_evenIiESF_NSA_11use_defaultESK_EENS0_5tupleIJSF_NSA_16discard_iteratorISK_EEEEENSM_IJSG_SG_EEES6_PlJS6_EEE10hipError_tPvRmT3_T4_T5_T6_T7_T9_mT8_P12ihipStream_tbDpT10_ENKUlT_T0_E_clISt17integral_constantIbLb0EES1A_IbLb1EEEEDaS16_S17_EUlS16_E_NS1_11comp_targetILNS1_3genE0ELNS1_11target_archE4294967295ELNS1_3gpuE0ELNS1_3repE0EEENS1_30default_config_static_selectorELNS0_4arch9wavefront6targetE1EEEvT1_
	.globl	_ZN7rocprim17ROCPRIM_400000_NS6detail17trampoline_kernelINS0_14default_configENS1_25partition_config_selectorILNS1_17partition_subalgoE1EiNS0_10empty_typeEbEEZZNS1_14partition_implILS5_1ELb0ES3_jN6thrust23THRUST_200600_302600_NS6detail15normal_iteratorINSA_10device_ptrIiEEEEPS6_NSA_18transform_iteratorI7is_evenIiESF_NSA_11use_defaultESK_EENS0_5tupleIJSF_NSA_16discard_iteratorISK_EEEEENSM_IJSG_SG_EEES6_PlJS6_EEE10hipError_tPvRmT3_T4_T5_T6_T7_T9_mT8_P12ihipStream_tbDpT10_ENKUlT_T0_E_clISt17integral_constantIbLb0EES1A_IbLb1EEEEDaS16_S17_EUlS16_E_NS1_11comp_targetILNS1_3genE0ELNS1_11target_archE4294967295ELNS1_3gpuE0ELNS1_3repE0EEENS1_30default_config_static_selectorELNS0_4arch9wavefront6targetE1EEEvT1_
	.p2align	8
	.type	_ZN7rocprim17ROCPRIM_400000_NS6detail17trampoline_kernelINS0_14default_configENS1_25partition_config_selectorILNS1_17partition_subalgoE1EiNS0_10empty_typeEbEEZZNS1_14partition_implILS5_1ELb0ES3_jN6thrust23THRUST_200600_302600_NS6detail15normal_iteratorINSA_10device_ptrIiEEEEPS6_NSA_18transform_iteratorI7is_evenIiESF_NSA_11use_defaultESK_EENS0_5tupleIJSF_NSA_16discard_iteratorISK_EEEEENSM_IJSG_SG_EEES6_PlJS6_EEE10hipError_tPvRmT3_T4_T5_T6_T7_T9_mT8_P12ihipStream_tbDpT10_ENKUlT_T0_E_clISt17integral_constantIbLb0EES1A_IbLb1EEEEDaS16_S17_EUlS16_E_NS1_11comp_targetILNS1_3genE0ELNS1_11target_archE4294967295ELNS1_3gpuE0ELNS1_3repE0EEENS1_30default_config_static_selectorELNS0_4arch9wavefront6targetE1EEEvT1_,@function
_ZN7rocprim17ROCPRIM_400000_NS6detail17trampoline_kernelINS0_14default_configENS1_25partition_config_selectorILNS1_17partition_subalgoE1EiNS0_10empty_typeEbEEZZNS1_14partition_implILS5_1ELb0ES3_jN6thrust23THRUST_200600_302600_NS6detail15normal_iteratorINSA_10device_ptrIiEEEEPS6_NSA_18transform_iteratorI7is_evenIiESF_NSA_11use_defaultESK_EENS0_5tupleIJSF_NSA_16discard_iteratorISK_EEEEENSM_IJSG_SG_EEES6_PlJS6_EEE10hipError_tPvRmT3_T4_T5_T6_T7_T9_mT8_P12ihipStream_tbDpT10_ENKUlT_T0_E_clISt17integral_constantIbLb0EES1A_IbLb1EEEEDaS16_S17_EUlS16_E_NS1_11comp_targetILNS1_3genE0ELNS1_11target_archE4294967295ELNS1_3gpuE0ELNS1_3repE0EEENS1_30default_config_static_selectorELNS0_4arch9wavefront6targetE1EEEvT1_: ; @_ZN7rocprim17ROCPRIM_400000_NS6detail17trampoline_kernelINS0_14default_configENS1_25partition_config_selectorILNS1_17partition_subalgoE1EiNS0_10empty_typeEbEEZZNS1_14partition_implILS5_1ELb0ES3_jN6thrust23THRUST_200600_302600_NS6detail15normal_iteratorINSA_10device_ptrIiEEEEPS6_NSA_18transform_iteratorI7is_evenIiESF_NSA_11use_defaultESK_EENS0_5tupleIJSF_NSA_16discard_iteratorISK_EEEEENSM_IJSG_SG_EEES6_PlJS6_EEE10hipError_tPvRmT3_T4_T5_T6_T7_T9_mT8_P12ihipStream_tbDpT10_ENKUlT_T0_E_clISt17integral_constantIbLb0EES1A_IbLb1EEEEDaS16_S17_EUlS16_E_NS1_11comp_targetILNS1_3genE0ELNS1_11target_archE4294967295ELNS1_3gpuE0ELNS1_3repE0EEENS1_30default_config_static_selectorELNS0_4arch9wavefront6targetE1EEEvT1_
; %bb.0:
	.section	.rodata,"a",@progbits
	.p2align	6, 0x0
	.amdhsa_kernel _ZN7rocprim17ROCPRIM_400000_NS6detail17trampoline_kernelINS0_14default_configENS1_25partition_config_selectorILNS1_17partition_subalgoE1EiNS0_10empty_typeEbEEZZNS1_14partition_implILS5_1ELb0ES3_jN6thrust23THRUST_200600_302600_NS6detail15normal_iteratorINSA_10device_ptrIiEEEEPS6_NSA_18transform_iteratorI7is_evenIiESF_NSA_11use_defaultESK_EENS0_5tupleIJSF_NSA_16discard_iteratorISK_EEEEENSM_IJSG_SG_EEES6_PlJS6_EEE10hipError_tPvRmT3_T4_T5_T6_T7_T9_mT8_P12ihipStream_tbDpT10_ENKUlT_T0_E_clISt17integral_constantIbLb0EES1A_IbLb1EEEEDaS16_S17_EUlS16_E_NS1_11comp_targetILNS1_3genE0ELNS1_11target_archE4294967295ELNS1_3gpuE0ELNS1_3repE0EEENS1_30default_config_static_selectorELNS0_4arch9wavefront6targetE1EEEvT1_
		.amdhsa_group_segment_fixed_size 0
		.amdhsa_private_segment_fixed_size 0
		.amdhsa_kernarg_size 152
		.amdhsa_user_sgpr_count 2
		.amdhsa_user_sgpr_dispatch_ptr 0
		.amdhsa_user_sgpr_queue_ptr 0
		.amdhsa_user_sgpr_kernarg_segment_ptr 1
		.amdhsa_user_sgpr_dispatch_id 0
		.amdhsa_user_sgpr_kernarg_preload_length 0
		.amdhsa_user_sgpr_kernarg_preload_offset 0
		.amdhsa_user_sgpr_private_segment_size 0
		.amdhsa_uses_dynamic_stack 0
		.amdhsa_enable_private_segment 0
		.amdhsa_system_sgpr_workgroup_id_x 1
		.amdhsa_system_sgpr_workgroup_id_y 0
		.amdhsa_system_sgpr_workgroup_id_z 0
		.amdhsa_system_sgpr_workgroup_info 0
		.amdhsa_system_vgpr_workitem_id 0
		.amdhsa_next_free_vgpr 1
		.amdhsa_next_free_sgpr 0
		.amdhsa_accum_offset 4
		.amdhsa_reserve_vcc 0
		.amdhsa_float_round_mode_32 0
		.amdhsa_float_round_mode_16_64 0
		.amdhsa_float_denorm_mode_32 3
		.amdhsa_float_denorm_mode_16_64 3
		.amdhsa_dx10_clamp 1
		.amdhsa_ieee_mode 1
		.amdhsa_fp16_overflow 0
		.amdhsa_tg_split 0
		.amdhsa_exception_fp_ieee_invalid_op 0
		.amdhsa_exception_fp_denorm_src 0
		.amdhsa_exception_fp_ieee_div_zero 0
		.amdhsa_exception_fp_ieee_overflow 0
		.amdhsa_exception_fp_ieee_underflow 0
		.amdhsa_exception_fp_ieee_inexact 0
		.amdhsa_exception_int_div_zero 0
	.end_amdhsa_kernel
	.section	.text._ZN7rocprim17ROCPRIM_400000_NS6detail17trampoline_kernelINS0_14default_configENS1_25partition_config_selectorILNS1_17partition_subalgoE1EiNS0_10empty_typeEbEEZZNS1_14partition_implILS5_1ELb0ES3_jN6thrust23THRUST_200600_302600_NS6detail15normal_iteratorINSA_10device_ptrIiEEEEPS6_NSA_18transform_iteratorI7is_evenIiESF_NSA_11use_defaultESK_EENS0_5tupleIJSF_NSA_16discard_iteratorISK_EEEEENSM_IJSG_SG_EEES6_PlJS6_EEE10hipError_tPvRmT3_T4_T5_T6_T7_T9_mT8_P12ihipStream_tbDpT10_ENKUlT_T0_E_clISt17integral_constantIbLb0EES1A_IbLb1EEEEDaS16_S17_EUlS16_E_NS1_11comp_targetILNS1_3genE0ELNS1_11target_archE4294967295ELNS1_3gpuE0ELNS1_3repE0EEENS1_30default_config_static_selectorELNS0_4arch9wavefront6targetE1EEEvT1_,"axG",@progbits,_ZN7rocprim17ROCPRIM_400000_NS6detail17trampoline_kernelINS0_14default_configENS1_25partition_config_selectorILNS1_17partition_subalgoE1EiNS0_10empty_typeEbEEZZNS1_14partition_implILS5_1ELb0ES3_jN6thrust23THRUST_200600_302600_NS6detail15normal_iteratorINSA_10device_ptrIiEEEEPS6_NSA_18transform_iteratorI7is_evenIiESF_NSA_11use_defaultESK_EENS0_5tupleIJSF_NSA_16discard_iteratorISK_EEEEENSM_IJSG_SG_EEES6_PlJS6_EEE10hipError_tPvRmT3_T4_T5_T6_T7_T9_mT8_P12ihipStream_tbDpT10_ENKUlT_T0_E_clISt17integral_constantIbLb0EES1A_IbLb1EEEEDaS16_S17_EUlS16_E_NS1_11comp_targetILNS1_3genE0ELNS1_11target_archE4294967295ELNS1_3gpuE0ELNS1_3repE0EEENS1_30default_config_static_selectorELNS0_4arch9wavefront6targetE1EEEvT1_,comdat
.Lfunc_end3315:
	.size	_ZN7rocprim17ROCPRIM_400000_NS6detail17trampoline_kernelINS0_14default_configENS1_25partition_config_selectorILNS1_17partition_subalgoE1EiNS0_10empty_typeEbEEZZNS1_14partition_implILS5_1ELb0ES3_jN6thrust23THRUST_200600_302600_NS6detail15normal_iteratorINSA_10device_ptrIiEEEEPS6_NSA_18transform_iteratorI7is_evenIiESF_NSA_11use_defaultESK_EENS0_5tupleIJSF_NSA_16discard_iteratorISK_EEEEENSM_IJSG_SG_EEES6_PlJS6_EEE10hipError_tPvRmT3_T4_T5_T6_T7_T9_mT8_P12ihipStream_tbDpT10_ENKUlT_T0_E_clISt17integral_constantIbLb0EES1A_IbLb1EEEEDaS16_S17_EUlS16_E_NS1_11comp_targetILNS1_3genE0ELNS1_11target_archE4294967295ELNS1_3gpuE0ELNS1_3repE0EEENS1_30default_config_static_selectorELNS0_4arch9wavefront6targetE1EEEvT1_, .Lfunc_end3315-_ZN7rocprim17ROCPRIM_400000_NS6detail17trampoline_kernelINS0_14default_configENS1_25partition_config_selectorILNS1_17partition_subalgoE1EiNS0_10empty_typeEbEEZZNS1_14partition_implILS5_1ELb0ES3_jN6thrust23THRUST_200600_302600_NS6detail15normal_iteratorINSA_10device_ptrIiEEEEPS6_NSA_18transform_iteratorI7is_evenIiESF_NSA_11use_defaultESK_EENS0_5tupleIJSF_NSA_16discard_iteratorISK_EEEEENSM_IJSG_SG_EEES6_PlJS6_EEE10hipError_tPvRmT3_T4_T5_T6_T7_T9_mT8_P12ihipStream_tbDpT10_ENKUlT_T0_E_clISt17integral_constantIbLb0EES1A_IbLb1EEEEDaS16_S17_EUlS16_E_NS1_11comp_targetILNS1_3genE0ELNS1_11target_archE4294967295ELNS1_3gpuE0ELNS1_3repE0EEENS1_30default_config_static_selectorELNS0_4arch9wavefront6targetE1EEEvT1_
                                        ; -- End function
	.section	.AMDGPU.csdata,"",@progbits
; Kernel info:
; codeLenInByte = 0
; NumSgprs: 6
; NumVgprs: 0
; NumAgprs: 0
; TotalNumVgprs: 0
; ScratchSize: 0
; MemoryBound: 0
; FloatMode: 240
; IeeeMode: 1
; LDSByteSize: 0 bytes/workgroup (compile time only)
; SGPRBlocks: 0
; VGPRBlocks: 0
; NumSGPRsForWavesPerEU: 6
; NumVGPRsForWavesPerEU: 1
; AccumOffset: 4
; Occupancy: 8
; WaveLimiterHint : 0
; COMPUTE_PGM_RSRC2:SCRATCH_EN: 0
; COMPUTE_PGM_RSRC2:USER_SGPR: 2
; COMPUTE_PGM_RSRC2:TRAP_HANDLER: 0
; COMPUTE_PGM_RSRC2:TGID_X_EN: 1
; COMPUTE_PGM_RSRC2:TGID_Y_EN: 0
; COMPUTE_PGM_RSRC2:TGID_Z_EN: 0
; COMPUTE_PGM_RSRC2:TIDIG_COMP_CNT: 0
; COMPUTE_PGM_RSRC3_GFX90A:ACCUM_OFFSET: 0
; COMPUTE_PGM_RSRC3_GFX90A:TG_SPLIT: 0
	.section	.text._ZN7rocprim17ROCPRIM_400000_NS6detail17trampoline_kernelINS0_14default_configENS1_25partition_config_selectorILNS1_17partition_subalgoE1EiNS0_10empty_typeEbEEZZNS1_14partition_implILS5_1ELb0ES3_jN6thrust23THRUST_200600_302600_NS6detail15normal_iteratorINSA_10device_ptrIiEEEEPS6_NSA_18transform_iteratorI7is_evenIiESF_NSA_11use_defaultESK_EENS0_5tupleIJSF_NSA_16discard_iteratorISK_EEEEENSM_IJSG_SG_EEES6_PlJS6_EEE10hipError_tPvRmT3_T4_T5_T6_T7_T9_mT8_P12ihipStream_tbDpT10_ENKUlT_T0_E_clISt17integral_constantIbLb0EES1A_IbLb1EEEEDaS16_S17_EUlS16_E_NS1_11comp_targetILNS1_3genE5ELNS1_11target_archE942ELNS1_3gpuE9ELNS1_3repE0EEENS1_30default_config_static_selectorELNS0_4arch9wavefront6targetE1EEEvT1_,"axG",@progbits,_ZN7rocprim17ROCPRIM_400000_NS6detail17trampoline_kernelINS0_14default_configENS1_25partition_config_selectorILNS1_17partition_subalgoE1EiNS0_10empty_typeEbEEZZNS1_14partition_implILS5_1ELb0ES3_jN6thrust23THRUST_200600_302600_NS6detail15normal_iteratorINSA_10device_ptrIiEEEEPS6_NSA_18transform_iteratorI7is_evenIiESF_NSA_11use_defaultESK_EENS0_5tupleIJSF_NSA_16discard_iteratorISK_EEEEENSM_IJSG_SG_EEES6_PlJS6_EEE10hipError_tPvRmT3_T4_T5_T6_T7_T9_mT8_P12ihipStream_tbDpT10_ENKUlT_T0_E_clISt17integral_constantIbLb0EES1A_IbLb1EEEEDaS16_S17_EUlS16_E_NS1_11comp_targetILNS1_3genE5ELNS1_11target_archE942ELNS1_3gpuE9ELNS1_3repE0EEENS1_30default_config_static_selectorELNS0_4arch9wavefront6targetE1EEEvT1_,comdat
	.protected	_ZN7rocprim17ROCPRIM_400000_NS6detail17trampoline_kernelINS0_14default_configENS1_25partition_config_selectorILNS1_17partition_subalgoE1EiNS0_10empty_typeEbEEZZNS1_14partition_implILS5_1ELb0ES3_jN6thrust23THRUST_200600_302600_NS6detail15normal_iteratorINSA_10device_ptrIiEEEEPS6_NSA_18transform_iteratorI7is_evenIiESF_NSA_11use_defaultESK_EENS0_5tupleIJSF_NSA_16discard_iteratorISK_EEEEENSM_IJSG_SG_EEES6_PlJS6_EEE10hipError_tPvRmT3_T4_T5_T6_T7_T9_mT8_P12ihipStream_tbDpT10_ENKUlT_T0_E_clISt17integral_constantIbLb0EES1A_IbLb1EEEEDaS16_S17_EUlS16_E_NS1_11comp_targetILNS1_3genE5ELNS1_11target_archE942ELNS1_3gpuE9ELNS1_3repE0EEENS1_30default_config_static_selectorELNS0_4arch9wavefront6targetE1EEEvT1_ ; -- Begin function _ZN7rocprim17ROCPRIM_400000_NS6detail17trampoline_kernelINS0_14default_configENS1_25partition_config_selectorILNS1_17partition_subalgoE1EiNS0_10empty_typeEbEEZZNS1_14partition_implILS5_1ELb0ES3_jN6thrust23THRUST_200600_302600_NS6detail15normal_iteratorINSA_10device_ptrIiEEEEPS6_NSA_18transform_iteratorI7is_evenIiESF_NSA_11use_defaultESK_EENS0_5tupleIJSF_NSA_16discard_iteratorISK_EEEEENSM_IJSG_SG_EEES6_PlJS6_EEE10hipError_tPvRmT3_T4_T5_T6_T7_T9_mT8_P12ihipStream_tbDpT10_ENKUlT_T0_E_clISt17integral_constantIbLb0EES1A_IbLb1EEEEDaS16_S17_EUlS16_E_NS1_11comp_targetILNS1_3genE5ELNS1_11target_archE942ELNS1_3gpuE9ELNS1_3repE0EEENS1_30default_config_static_selectorELNS0_4arch9wavefront6targetE1EEEvT1_
	.globl	_ZN7rocprim17ROCPRIM_400000_NS6detail17trampoline_kernelINS0_14default_configENS1_25partition_config_selectorILNS1_17partition_subalgoE1EiNS0_10empty_typeEbEEZZNS1_14partition_implILS5_1ELb0ES3_jN6thrust23THRUST_200600_302600_NS6detail15normal_iteratorINSA_10device_ptrIiEEEEPS6_NSA_18transform_iteratorI7is_evenIiESF_NSA_11use_defaultESK_EENS0_5tupleIJSF_NSA_16discard_iteratorISK_EEEEENSM_IJSG_SG_EEES6_PlJS6_EEE10hipError_tPvRmT3_T4_T5_T6_T7_T9_mT8_P12ihipStream_tbDpT10_ENKUlT_T0_E_clISt17integral_constantIbLb0EES1A_IbLb1EEEEDaS16_S17_EUlS16_E_NS1_11comp_targetILNS1_3genE5ELNS1_11target_archE942ELNS1_3gpuE9ELNS1_3repE0EEENS1_30default_config_static_selectorELNS0_4arch9wavefront6targetE1EEEvT1_
	.p2align	8
	.type	_ZN7rocprim17ROCPRIM_400000_NS6detail17trampoline_kernelINS0_14default_configENS1_25partition_config_selectorILNS1_17partition_subalgoE1EiNS0_10empty_typeEbEEZZNS1_14partition_implILS5_1ELb0ES3_jN6thrust23THRUST_200600_302600_NS6detail15normal_iteratorINSA_10device_ptrIiEEEEPS6_NSA_18transform_iteratorI7is_evenIiESF_NSA_11use_defaultESK_EENS0_5tupleIJSF_NSA_16discard_iteratorISK_EEEEENSM_IJSG_SG_EEES6_PlJS6_EEE10hipError_tPvRmT3_T4_T5_T6_T7_T9_mT8_P12ihipStream_tbDpT10_ENKUlT_T0_E_clISt17integral_constantIbLb0EES1A_IbLb1EEEEDaS16_S17_EUlS16_E_NS1_11comp_targetILNS1_3genE5ELNS1_11target_archE942ELNS1_3gpuE9ELNS1_3repE0EEENS1_30default_config_static_selectorELNS0_4arch9wavefront6targetE1EEEvT1_,@function
_ZN7rocprim17ROCPRIM_400000_NS6detail17trampoline_kernelINS0_14default_configENS1_25partition_config_selectorILNS1_17partition_subalgoE1EiNS0_10empty_typeEbEEZZNS1_14partition_implILS5_1ELb0ES3_jN6thrust23THRUST_200600_302600_NS6detail15normal_iteratorINSA_10device_ptrIiEEEEPS6_NSA_18transform_iteratorI7is_evenIiESF_NSA_11use_defaultESK_EENS0_5tupleIJSF_NSA_16discard_iteratorISK_EEEEENSM_IJSG_SG_EEES6_PlJS6_EEE10hipError_tPvRmT3_T4_T5_T6_T7_T9_mT8_P12ihipStream_tbDpT10_ENKUlT_T0_E_clISt17integral_constantIbLb0EES1A_IbLb1EEEEDaS16_S17_EUlS16_E_NS1_11comp_targetILNS1_3genE5ELNS1_11target_archE942ELNS1_3gpuE9ELNS1_3repE0EEENS1_30default_config_static_selectorELNS0_4arch9wavefront6targetE1EEEvT1_: ; @_ZN7rocprim17ROCPRIM_400000_NS6detail17trampoline_kernelINS0_14default_configENS1_25partition_config_selectorILNS1_17partition_subalgoE1EiNS0_10empty_typeEbEEZZNS1_14partition_implILS5_1ELb0ES3_jN6thrust23THRUST_200600_302600_NS6detail15normal_iteratorINSA_10device_ptrIiEEEEPS6_NSA_18transform_iteratorI7is_evenIiESF_NSA_11use_defaultESK_EENS0_5tupleIJSF_NSA_16discard_iteratorISK_EEEEENSM_IJSG_SG_EEES6_PlJS6_EEE10hipError_tPvRmT3_T4_T5_T6_T7_T9_mT8_P12ihipStream_tbDpT10_ENKUlT_T0_E_clISt17integral_constantIbLb0EES1A_IbLb1EEEEDaS16_S17_EUlS16_E_NS1_11comp_targetILNS1_3genE5ELNS1_11target_archE942ELNS1_3gpuE9ELNS1_3repE0EEENS1_30default_config_static_selectorELNS0_4arch9wavefront6targetE1EEEvT1_
; %bb.0:
	s_load_dwordx2 s[2:3], s[0:1], 0x20
	s_load_dwordx4 s[20:23], s[0:1], 0x58
	s_load_dwordx2 s[10:11], s[0:1], 0x68
	s_load_dwordx2 s[28:29], s[0:1], 0x78
	v_cmp_eq_u32_e64 s[18:19], 0, v0
	s_and_saveexec_b64 s[4:5], s[18:19]
	s_cbranch_execz .LBB3316_4
; %bb.1:
	s_mov_b64 s[8:9], exec
	v_mbcnt_lo_u32_b32 v1, s8, 0
	v_mbcnt_hi_u32_b32 v1, s9, v1
	v_cmp_eq_u32_e32 vcc, 0, v1
                                        ; implicit-def: $vgpr2
	s_and_saveexec_b64 s[6:7], vcc
	s_cbranch_execz .LBB3316_3
; %bb.2:
	s_load_dwordx2 s[12:13], s[0:1], 0x88
	s_bcnt1_i32_b64 s8, s[8:9]
	v_mov_b32_e32 v2, 0
	v_mov_b32_e32 v3, s8
	s_waitcnt lgkmcnt(0)
	global_atomic_add v2, v2, v3, s[12:13] sc0
.LBB3316_3:
	s_or_b64 exec, exec, s[6:7]
	s_waitcnt vmcnt(0)
	v_readfirstlane_b32 s6, v2
	v_mov_b32_e32 v2, 0
	s_nop 0
	v_add_u32_e32 v1, s6, v1
	ds_write_b32 v2, v1
.LBB3316_4:
	s_or_b64 exec, exec, s[4:5]
	v_mov_b32_e32 v25, 0
	s_load_dwordx4 s[4:7], s[0:1], 0x8
	s_load_dwordx2 s[24:25], s[0:1], 0x30
	s_load_dword s12, s[0:1], 0x80
	s_waitcnt lgkmcnt(0)
	s_barrier
	ds_read_b32 v1, v25
	s_waitcnt lgkmcnt(0)
	s_barrier
	global_load_dwordx2 v[22:23], v25, s[22:23]
	s_lshl_b64 s[8:9], s[6:7], 2
	v_mov_b32_e32 v3, s11
	s_add_u32 s11, s4, s8
	s_mul_i32 s4, s12, 0x1e00
	s_addc_u32 s13, s5, s9
	s_add_i32 s1, s4, s6
	s_sub_i32 s33, s10, s1
	s_add_i32 s14, s12, -1
	s_addk_i32 s33, 0x1e00
	s_add_u32 s4, s6, s4
	v_readfirstlane_b32 s36, v1
	s_addc_u32 s5, s7, 0
	s_cmp_eq_u32 s36, s14
	v_mov_b32_e32 v2, s10
	s_cselect_b64 s[22:23], -1, 0
	s_cmp_lg_u32 s36, s14
	s_mul_i32 s0, s36, 0x1e00
	s_mov_b32 s1, 0
	v_cmp_lt_u64_e32 vcc, s[4:5], v[2:3]
	s_cselect_b64 s[4:5], -1, 0
	s_or_b64 s[26:27], vcc, s[4:5]
	s_lshl_b64 s[4:5], s[0:1], 2
	s_add_u32 s6, s11, s4
	s_addc_u32 s7, s13, s5
	s_mov_b64 s[0:1], -1
	s_and_b64 vcc, exec, s[26:27]
	v_lshlrev_b32_e32 v24, 2, v0
	s_cbranch_vccz .LBB3316_6
; %bb.5:
	v_lshl_add_u64 v[2:3], s[6:7], 0, v[24:25]
	v_add_co_u32_e32 v4, vcc, 0x1000, v2
	s_mov_b64 s[0:1], 0
	s_nop 0
	v_addc_co_u32_e32 v5, vcc, 0, v3, vcc
	v_add_co_u32_e32 v6, vcc, 0x2000, v2
	s_nop 1
	v_addc_co_u32_e32 v7, vcc, 0, v3, vcc
	v_add_co_u32_e32 v8, vcc, 0x3000, v2
	s_nop 1
	v_addc_co_u32_e32 v9, vcc, 0, v3, vcc
	flat_load_dword v1, v[2:3]
	flat_load_dword v10, v[2:3] offset:2048
	flat_load_dword v11, v[4:5]
	flat_load_dword v12, v[4:5] offset:2048
	;; [unrolled: 2-line block ×4, first 2 shown]
	v_add_co_u32_e32 v4, vcc, 0x4000, v2
	s_nop 1
	v_addc_co_u32_e32 v5, vcc, 0, v3, vcc
	v_add_co_u32_e32 v6, vcc, 0x5000, v2
	s_nop 1
	v_addc_co_u32_e32 v7, vcc, 0, v3, vcc
	;; [unrolled: 3-line block ×4, first 2 shown]
	flat_load_dword v17, v[4:5]
	flat_load_dword v18, v[4:5] offset:2048
	flat_load_dword v19, v[6:7]
	flat_load_dword v20, v[6:7] offset:2048
	;; [unrolled: 2-line block ×3, first 2 shown]
	flat_load_dword v26, v[2:3]
	s_waitcnt vmcnt(0) lgkmcnt(0)
	ds_write2st64_b32 v24, v1, v10 offset1:8
	ds_write2st64_b32 v24, v11, v12 offset0:16 offset1:24
	ds_write2st64_b32 v24, v13, v14 offset0:32 offset1:40
	;; [unrolled: 1-line block ×6, first 2 shown]
	ds_write_b32 v24, v26 offset:28672
	s_waitcnt lgkmcnt(0)
	s_barrier
.LBB3316_6:
	s_andn2_b64 vcc, exec, s[0:1]
	v_cmp_gt_u32_e64 s[0:1], s33, v0
	s_cbranch_vccnz .LBB3316_38
; %bb.7:
                                        ; implicit-def: $vgpr2_vgpr3_vgpr4_vgpr5_vgpr6_vgpr7_vgpr8_vgpr9_vgpr10_vgpr11_vgpr12_vgpr13_vgpr14_vgpr15_vgpr16_vgpr17
	s_and_saveexec_b64 s[10:11], s[0:1]
	s_cbranch_execz .LBB3316_9
; %bb.8:
	v_mov_b32_e32 v25, 0
	v_lshl_add_u64 v[2:3], s[6:7], 0, v[24:25]
	flat_load_dword v2, v[2:3]
.LBB3316_9:
	s_or_b64 exec, exec, s[10:11]
	v_or_b32_e32 v1, 0x200, v0
	v_cmp_gt_u32_e32 vcc, s33, v1
	s_and_saveexec_b64 s[0:1], vcc
	s_cbranch_execz .LBB3316_11
; %bb.10:
	v_mov_b32_e32 v25, 0
	v_lshl_add_u64 v[18:19], s[6:7], 0, v[24:25]
	flat_load_dword v3, v[18:19] offset:2048
.LBB3316_11:
	s_or_b64 exec, exec, s[0:1]
	v_or_b32_e32 v1, 0x400, v0
	v_cmp_gt_u32_e32 vcc, s33, v1
	s_and_saveexec_b64 s[0:1], vcc
	s_cbranch_execz .LBB3316_13
; %bb.12:
	v_lshlrev_b32_e32 v18, 2, v1
	v_mov_b32_e32 v19, 0
	v_lshl_add_u64 v[18:19], s[6:7], 0, v[18:19]
	flat_load_dword v4, v[18:19]
.LBB3316_13:
	s_or_b64 exec, exec, s[0:1]
	v_or_b32_e32 v1, 0x600, v0
	v_cmp_gt_u32_e32 vcc, s33, v1
	s_and_saveexec_b64 s[0:1], vcc
	s_cbranch_execz .LBB3316_15
; %bb.14:
	v_lshlrev_b32_e32 v18, 2, v1
	v_mov_b32_e32 v19, 0
	v_lshl_add_u64 v[18:19], s[6:7], 0, v[18:19]
	flat_load_dword v5, v[18:19]
.LBB3316_15:
	;; [unrolled: 11-line block ×13, first 2 shown]
	s_or_b64 exec, exec, s[0:1]
	s_waitcnt vmcnt(0) lgkmcnt(0)
	ds_write2st64_b32 v24, v2, v3 offset1:8
	ds_write2st64_b32 v24, v4, v5 offset0:16 offset1:24
	ds_write2st64_b32 v24, v6, v7 offset0:32 offset1:40
	;; [unrolled: 1-line block ×6, first 2 shown]
	ds_write_b32 v24, v16 offset:28672
	s_waitcnt lgkmcnt(0)
	s_barrier
.LBB3316_38:
	v_mul_u32_u24_e32 v21, 15, v0
	v_lshlrev_b32_e32 v1, 2, v21
	ds_read2_b32 v[38:39], v1 offset1:1
	ds_read2_b32 v[36:37], v1 offset0:2 offset1:3
	ds_read2_b32 v[34:35], v1 offset0:4 offset1:5
	;; [unrolled: 1-line block ×6, first 2 shown]
	ds_read_b32 v1, v1 offset:56
	s_add_u32 s0, s2, s8
	s_addc_u32 s1, s3, s9
	s_add_u32 s0, s0, s4
	s_addc_u32 s1, s1, s5
	s_mov_b64 s[2:3], -1
	s_and_b64 vcc, exec, s[26:27]
	s_waitcnt lgkmcnt(0)
	s_barrier
	s_cbranch_vccz .LBB3316_40
; %bb.39:
	v_mov_b32_e32 v25, 0
	v_lshl_add_u64 v[2:3], s[0:1], 0, v[24:25]
	v_add_co_u32_e32 v4, vcc, 0x1000, v2
	global_load_dword v10, v24, s[0:1]
	global_load_dword v11, v24, s[0:1] offset:2048
	v_addc_co_u32_e32 v5, vcc, 0, v3, vcc
	v_add_co_u32_e32 v6, vcc, 0x2000, v2
	s_mov_b64 s[2:3], 0
	s_nop 0
	v_addc_co_u32_e32 v7, vcc, 0, v3, vcc
	v_add_co_u32_e32 v8, vcc, 0x3000, v2
	s_nop 1
	v_addc_co_u32_e32 v9, vcc, 0, v3, vcc
	global_load_dword v12, v[4:5], off
	global_load_dword v13, v[4:5], off offset:2048
	global_load_dword v14, v[6:7], off
	global_load_dword v15, v[6:7], off offset:2048
	;; [unrolled: 2-line block ×3, first 2 shown]
	v_add_co_u32_e32 v4, vcc, 0x4000, v2
	s_nop 1
	v_addc_co_u32_e32 v5, vcc, 0, v3, vcc
	global_load_dword v6, v[4:5], off
	global_load_dword v7, v[4:5], off offset:2048
	v_add_co_u32_e32 v4, vcc, 0x5000, v2
	s_waitcnt vmcnt(1)
	v_xor_b32_e32 v6, -1, v6
	v_addc_co_u32_e32 v5, vcc, 0, v3, vcc
	global_load_dword v8, v[4:5], off
	global_load_dword v9, v[4:5], off offset:2048
	v_add_co_u32_e32 v4, vcc, 0x6000, v2
	s_waitcnt vmcnt(2)
	v_xor_b32_e32 v7, -1, v7
	v_addc_co_u32_e32 v5, vcc, 0, v3, vcc
	v_add_co_u32_e32 v2, vcc, 0x7000, v2
	global_load_dword v18, v[4:5], off
	global_load_dword v19, v[4:5], off offset:2048
	v_addc_co_u32_e32 v3, vcc, 0, v3, vcc
	global_load_dword v2, v[2:3], off
	v_xor_b32_e32 v3, -1, v10
	v_xor_b32_e32 v4, -1, v11
	v_and_b32_e32 v3, 1, v3
	v_and_b32_e32 v4, 1, v4
	ds_write_b8 v0, v3
	ds_write_b8 v0, v4 offset:512
	v_xor_b32_e32 v3, -1, v12
	v_xor_b32_e32 v4, -1, v13
	;; [unrolled: 1-line block ×3, first 2 shown]
	v_and_b32_e32 v3, 1, v3
	v_and_b32_e32 v4, 1, v4
	v_xor_b32_e32 v10, -1, v15
	v_and_b32_e32 v5, 1, v5
	v_xor_b32_e32 v11, -1, v16
	v_xor_b32_e32 v12, -1, v17
	v_and_b32_e32 v10, 1, v10
	ds_write_b8 v0, v3 offset:1024
	ds_write_b8 v0, v4 offset:1536
	v_and_b32_e32 v3, 1, v11
	v_and_b32_e32 v4, 1, v12
	ds_write_b8 v0, v5 offset:2048
	ds_write_b8 v0, v10 offset:2560
	v_and_b32_e32 v5, 1, v6
	v_and_b32_e32 v6, 1, v7
	ds_write_b8 v0, v3 offset:3072
	ds_write_b8 v0, v4 offset:3584
	;; [unrolled: 1-line block ×4, first 2 shown]
	s_waitcnt vmcnt(4)
	v_xor_b32_e32 v7, -1, v8
	s_waitcnt vmcnt(3)
	v_xor_b32_e32 v8, -1, v9
	v_and_b32_e32 v3, 1, v7
	v_and_b32_e32 v4, 1, v8
	s_waitcnt vmcnt(2)
	v_xor_b32_e32 v7, -1, v18
	s_waitcnt vmcnt(1)
	v_xor_b32_e32 v8, -1, v19
	v_and_b32_e32 v5, 1, v7
	v_and_b32_e32 v6, 1, v8
	s_waitcnt vmcnt(0)
	v_xor_b32_e32 v2, -1, v2
	v_and_b32_e32 v2, 1, v2
	ds_write_b8 v0, v3 offset:5120
	ds_write_b8 v0, v4 offset:5632
	;; [unrolled: 1-line block ×5, first 2 shown]
	s_waitcnt lgkmcnt(0)
	s_barrier
.LBB3316_40:
	s_andn2_b64 vcc, exec, s[2:3]
	s_cbranch_vccnz .LBB3316_72
; %bb.41:
	v_cmp_gt_u32_e32 vcc, s33, v0
	v_mov_b32_e32 v2, 0
	v_mov_b32_e32 v3, 0
	s_and_saveexec_b64 s[2:3], vcc
	s_cbranch_execz .LBB3316_43
; %bb.42:
	global_load_dword v3, v24, s[0:1]
	s_waitcnt vmcnt(0)
	v_xor_b32_e32 v3, -1, v3
	v_and_b32_e32 v3, 1, v3
.LBB3316_43:
	s_or_b64 exec, exec, s[2:3]
	v_or_b32_e32 v4, 0x200, v0
	v_cmp_gt_u32_e32 vcc, s33, v4
	s_and_saveexec_b64 s[2:3], vcc
	s_cbranch_execz .LBB3316_45
; %bb.44:
	global_load_dword v2, v24, s[0:1] offset:2048
	s_waitcnt vmcnt(0)
	v_xor_b32_e32 v2, -1, v2
	v_and_b32_e32 v2, 1, v2
.LBB3316_45:
	s_or_b64 exec, exec, s[2:3]
	v_or_b32_e32 v6, 0x400, v0
	v_cmp_gt_u32_e32 vcc, s33, v6
	v_mov_b32_e32 v4, 0
	v_mov_b32_e32 v5, 0
	s_and_saveexec_b64 s[2:3], vcc
	s_cbranch_execz .LBB3316_47
; %bb.46:
	v_lshlrev_b32_e32 v5, 2, v6
	global_load_dword v5, v5, s[0:1]
	s_waitcnt vmcnt(0)
	v_xor_b32_e32 v5, -1, v5
	v_and_b32_e32 v5, 1, v5
.LBB3316_47:
	s_or_b64 exec, exec, s[2:3]
	v_or_b32_e32 v6, 0x600, v0
	v_cmp_gt_u32_e32 vcc, s33, v6
	s_and_saveexec_b64 s[2:3], vcc
	s_cbranch_execz .LBB3316_49
; %bb.48:
	v_lshlrev_b32_e32 v4, 2, v6
	global_load_dword v4, v4, s[0:1]
	s_waitcnt vmcnt(0)
	v_xor_b32_e32 v4, -1, v4
	v_and_b32_e32 v4, 1, v4
.LBB3316_49:
	s_or_b64 exec, exec, s[2:3]
	v_or_b32_e32 v8, 0x800, v0
	v_cmp_gt_u32_e32 vcc, s33, v8
	v_mov_b32_e32 v6, 0
	v_mov_b32_e32 v7, 0
	s_and_saveexec_b64 s[2:3], vcc
	s_cbranch_execz .LBB3316_51
; %bb.50:
	v_lshlrev_b32_e32 v7, 2, v8
	global_load_dword v7, v7, s[0:1]
	s_waitcnt vmcnt(0)
	v_xor_b32_e32 v7, -1, v7
	v_and_b32_e32 v7, 1, v7
.LBB3316_51:
	s_or_b64 exec, exec, s[2:3]
	v_or_b32_e32 v8, 0xa00, v0
	v_cmp_gt_u32_e32 vcc, s33, v8
	s_and_saveexec_b64 s[2:3], vcc
	s_cbranch_execz .LBB3316_53
; %bb.52:
	v_lshlrev_b32_e32 v6, 2, v8
	global_load_dword v6, v6, s[0:1]
	s_waitcnt vmcnt(0)
	v_xor_b32_e32 v6, -1, v6
	v_and_b32_e32 v6, 1, v6
.LBB3316_53:
	;; [unrolled: 26-line block ×6, first 2 shown]
	s_or_b64 exec, exec, s[2:3]
	v_or_b32_e32 v17, 0x1c00, v0
	v_cmp_gt_u32_e32 vcc, s33, v17
	v_mov_b32_e32 v16, 0
	s_and_saveexec_b64 s[2:3], vcc
	s_cbranch_execz .LBB3316_71
; %bb.70:
	v_lshlrev_b32_e32 v16, 2, v17
	global_load_dword v16, v16, s[0:1]
	s_waitcnt vmcnt(0)
	v_xor_b32_e32 v16, -1, v16
	v_and_b32_e32 v16, 1, v16
.LBB3316_71:
	s_or_b64 exec, exec, s[2:3]
	ds_write_b8 v0, v3
	ds_write_b8 v0, v2 offset:512
	ds_write_b8 v0, v5 offset:1024
	;; [unrolled: 1-line block ×14, first 2 shown]
	s_waitcnt lgkmcnt(0)
	s_barrier
.LBB3316_72:
	ds_read_b96 v[18:20], v21
	ds_read_u8 v2, v21 offset:12
	ds_read_u8 v3, v21 offset:13
	;; [unrolled: 1-line block ×3, first 2 shown]
	s_cmp_lg_u32 s36, 0
	v_lshrrev_b32_e32 v58, 6, v0
	s_waitcnt lgkmcnt(2)
	v_and_b32_e32 v45, 1, v2
	v_and_b32_e32 v54, 0xff, v18
	v_bfe_u32 v55, v18, 8, 8
	v_bfe_u32 v56, v18, 16, 8
	v_lshrrev_b32_e32 v47, 24, v18
	v_and_b32_e32 v51, 0xff, v19
	v_add3_u32 v2, v55, v54, v56
	v_bfe_u32 v52, v19, 8, 8
	v_bfe_u32 v53, v19, 16, 8
	v_add3_u32 v2, v2, v47, v51
	v_lshrrev_b32_e32 v46, 24, v19
	v_and_b32_e32 v48, 0xff, v20
	v_add3_u32 v2, v2, v52, v53
	v_bfe_u32 v49, v20, 8, 8
	v_bfe_u32 v50, v20, 16, 8
	v_add3_u32 v2, v2, v46, v48
	v_lshrrev_b32_e32 v44, 24, v20
	v_add3_u32 v2, v2, v49, v50
	s_waitcnt lgkmcnt(1)
	v_and_b32_e32 v43, 1, v3
	s_waitcnt lgkmcnt(0)
	v_and_b32_e32 v25, 1, v4
	v_add3_u32 v2, v2, v44, v45
	v_add3_u32 v59, v2, v43, v25
	v_mbcnt_lo_u32_b32 v2, -1, 0
	v_mbcnt_hi_u32_b32 v57, -1, v2
	v_and_b32_e32 v2, 15, v57
	v_cmp_eq_u32_e64 s[14:15], 0, v2
	v_cmp_lt_u32_e64 s[12:13], 1, v2
	v_cmp_lt_u32_e64 s[10:11], 3, v2
	;; [unrolled: 1-line block ×3, first 2 shown]
	v_and_b32_e32 v2, 16, v57
	v_cmp_eq_u32_e64 s[6:7], 0, v2
	v_or_b32_e32 v2, 63, v0
	v_cmp_lt_u32_e64 s[2:3], 31, v57
	v_cmp_eq_u32_e64 s[4:5], v2, v0
	s_barrier
	s_cbranch_scc0 .LBB3316_99
; %bb.73:
	v_mov_b32_dpp v2, v59 row_shr:1 row_mask:0xf bank_mask:0xf
	v_cndmask_b32_e64 v2, v2, 0, s[14:15]
	v_add_u32_e32 v2, v2, v59
	s_nop 1
	v_mov_b32_dpp v3, v2 row_shr:2 row_mask:0xf bank_mask:0xf
	v_cndmask_b32_e64 v3, 0, v3, s[12:13]
	v_add_u32_e32 v2, v2, v3
	s_nop 1
	;; [unrolled: 4-line block ×4, first 2 shown]
	v_mov_b32_dpp v3, v2 row_bcast:15 row_mask:0xf bank_mask:0xf
	v_cndmask_b32_e64 v3, v3, 0, s[6:7]
	v_add_u32_e32 v2, v2, v3
	s_nop 1
	v_mov_b32_dpp v3, v2 row_bcast:31 row_mask:0xf bank_mask:0xf
	v_cndmask_b32_e64 v3, 0, v3, s[2:3]
	v_add_u32_e32 v2, v2, v3
	s_and_saveexec_b64 s[0:1], s[4:5]
	s_cbranch_execz .LBB3316_75
; %bb.74:
	v_lshlrev_b32_e32 v3, 2, v58
	ds_write_b32 v3, v2
.LBB3316_75:
	s_or_b64 exec, exec, s[0:1]
	v_cmp_gt_u32_e32 vcc, 8, v0
	s_waitcnt lgkmcnt(0)
	s_barrier
	s_and_saveexec_b64 s[0:1], vcc
	s_cbranch_execz .LBB3316_77
; %bb.76:
	ds_read_b32 v3, v24
	v_and_b32_e32 v4, 7, v57
	v_cmp_ne_u32_e32 vcc, 0, v4
	s_waitcnt lgkmcnt(0)
	v_mov_b32_dpp v5, v3 row_shr:1 row_mask:0xf bank_mask:0xf
	v_cndmask_b32_e32 v5, 0, v5, vcc
	v_add_u32_e32 v3, v5, v3
	v_cmp_lt_u32_e32 vcc, 1, v4
	s_nop 0
	v_mov_b32_dpp v5, v3 row_shr:2 row_mask:0xf bank_mask:0xf
	v_cndmask_b32_e32 v5, 0, v5, vcc
	v_add_u32_e32 v3, v3, v5
	v_cmp_lt_u32_e32 vcc, 3, v4
	s_nop 0
	v_mov_b32_dpp v5, v3 row_shr:4 row_mask:0xf bank_mask:0xf
	v_cndmask_b32_e32 v4, 0, v5, vcc
	v_add_u32_e32 v3, v3, v4
	ds_write_b32 v24, v3
.LBB3316_77:
	s_or_b64 exec, exec, s[0:1]
	v_cmp_gt_u32_e32 vcc, 64, v0
	v_cmp_lt_u32_e64 s[0:1], 63, v0
	s_waitcnt lgkmcnt(0)
	s_barrier
	s_waitcnt lgkmcnt(0)
                                        ; implicit-def: $vgpr12
	s_and_saveexec_b64 s[16:17], s[0:1]
	s_cbranch_execz .LBB3316_79
; %bb.78:
	v_lshl_add_u32 v3, v58, 2, -4
	ds_read_b32 v12, v3
	s_waitcnt lgkmcnt(0)
	v_add_u32_e32 v2, v12, v2
.LBB3316_79:
	s_or_b64 exec, exec, s[16:17]
	v_add_u32_e32 v3, -1, v57
	v_and_b32_e32 v4, 64, v57
	v_cmp_lt_i32_e64 s[0:1], v3, v4
	v_cmp_eq_u32_e64 s[16:17], 0, v57
	s_nop 0
	v_cndmask_b32_e64 v3, v3, v57, s[0:1]
	v_lshlrev_b32_e32 v3, 2, v3
	ds_bpermute_b32 v13, v3, v2
	s_and_saveexec_b64 s[0:1], vcc
	s_cbranch_execz .LBB3316_98
; %bb.80:
	v_mov_b32_e32 v9, 0
	ds_read_b32 v2, v9 offset:28
	s_and_saveexec_b64 s[30:31], s[16:17]
	s_cbranch_execz .LBB3316_82
; %bb.81:
	s_add_i32 s34, s36, 64
	s_mov_b32 s35, 0
	s_lshl_b64 s[34:35], s[34:35], 3
	s_add_u32 s34, s28, s34
	v_mov_b32_e32 v3, 1
	s_addc_u32 s35, s29, s35
	s_waitcnt lgkmcnt(0)
	global_store_dwordx2 v9, v[2:3], s[34:35] sc1
.LBB3316_82:
	s_or_b64 exec, exec, s[30:31]
	v_xad_u32 v4, v57, -1, s36
	v_add_u32_e32 v8, 64, v4
	v_lshl_add_u64 v[10:11], v[8:9], 3, s[28:29]
	global_load_dwordx2 v[6:7], v[10:11], off sc1
	s_waitcnt vmcnt(0)
	v_cmp_eq_u16_sdwa s[34:35], v7, v9 src0_sel:BYTE_0 src1_sel:DWORD
	s_and_saveexec_b64 s[30:31], s[34:35]
	s_cbranch_execz .LBB3316_86
; %bb.83:
	s_mov_b64 s[34:35], 0
	v_mov_b32_e32 v3, 0
.LBB3316_84:                            ; =>This Inner Loop Header: Depth=1
	global_load_dwordx2 v[6:7], v[10:11], off sc1
	s_waitcnt vmcnt(0)
	v_cmp_ne_u16_sdwa s[38:39], v7, v3 src0_sel:BYTE_0 src1_sel:DWORD
	s_or_b64 s[34:35], s[38:39], s[34:35]
	s_andn2_b64 exec, exec, s[34:35]
	s_cbranch_execnz .LBB3316_84
; %bb.85:
	s_or_b64 exec, exec, s[34:35]
.LBB3316_86:
	s_or_b64 exec, exec, s[30:31]
	v_and_b32_e32 v15, 63, v57
	v_mov_b32_e32 v14, 2
	v_cmp_ne_u32_e32 vcc, 63, v15
	v_cmp_eq_u16_sdwa s[30:31], v7, v14 src0_sel:BYTE_0 src1_sel:DWORD
	v_lshlrev_b64 v[8:9], v57, -1
	v_addc_co_u32_e32 v10, vcc, 0, v57, vcc
	v_and_b32_e32 v3, s31, v9
	v_lshlrev_b32_e32 v16, 2, v10
	v_or_b32_e32 v3, 0x80000000, v3
	ds_bpermute_b32 v10, v16, v6
	v_and_b32_e32 v5, s30, v8
	v_ffbl_b32_e32 v3, v3
	v_add_u32_e32 v3, 32, v3
	v_ffbl_b32_e32 v5, v5
	v_min_u32_e32 v3, v5, v3
	v_cmp_lt_u32_e32 vcc, v15, v3
	v_add_u32_e32 v40, 2, v15
	v_add_u32_e32 v42, 4, v15
	s_waitcnt lgkmcnt(0)
	v_cndmask_b32_e32 v5, 0, v10, vcc
	v_cmp_gt_u32_e32 vcc, 62, v15
	v_add_u32_e32 v5, v5, v6
	v_add_u32_e32 v61, 8, v15
	v_cndmask_b32_e64 v6, 0, 1, vcc
	v_lshlrev_b32_e32 v6, 1, v6
	v_add_lshl_u32 v17, v6, v57, 2
	ds_bpermute_b32 v6, v17, v5
	v_cmp_le_u32_e32 vcc, v40, v3
	v_add_u32_e32 v63, 16, v15
	v_add_u32_e32 v65, 32, v15
	s_waitcnt lgkmcnt(0)
	v_cndmask_b32_e32 v6, 0, v6, vcc
	v_cmp_gt_u32_e32 vcc, 60, v15
	v_add_u32_e32 v5, v5, v6
	s_nop 0
	v_cndmask_b32_e64 v6, 0, 1, vcc
	v_lshlrev_b32_e32 v6, 2, v6
	v_add_lshl_u32 v41, v6, v57, 2
	ds_bpermute_b32 v6, v41, v5
	v_cmp_le_u32_e32 vcc, v42, v3
	s_waitcnt lgkmcnt(0)
	s_nop 0
	v_cndmask_b32_e32 v6, 0, v6, vcc
	v_cmp_gt_u32_e32 vcc, 56, v15
	v_add_u32_e32 v5, v5, v6
	s_nop 0
	v_cndmask_b32_e64 v6, 0, 1, vcc
	v_lshlrev_b32_e32 v6, 3, v6
	v_add_lshl_u32 v60, v6, v57, 2
	ds_bpermute_b32 v6, v60, v5
	v_cmp_le_u32_e32 vcc, v61, v3
	s_waitcnt lgkmcnt(0)
	s_nop 0
	;; [unrolled: 11-line block ×4, first 2 shown]
	v_cndmask_b32_e32 v3, 0, v6, vcc
	v_add_u32_e32 v6, v5, v3
	v_mov_b32_e32 v5, 0
	s_branch .LBB3316_88
.LBB3316_87:                            ;   in Loop: Header=BB3316_88 Depth=1
	s_or_b64 exec, exec, s[30:31]
	v_cmp_eq_u16_sdwa s[30:31], v7, v14 src0_sel:BYTE_0 src1_sel:DWORD
	ds_bpermute_b32 v66, v16, v6
	v_subrev_u32_e32 v4, 64, v4
	v_and_b32_e32 v10, s31, v9
	v_or_b32_e32 v10, 0x80000000, v10
	v_and_b32_e32 v11, s30, v8
	v_ffbl_b32_e32 v10, v10
	v_add_u32_e32 v10, 32, v10
	v_ffbl_b32_e32 v11, v11
	v_min_u32_e32 v10, v11, v10
	v_cmp_lt_u32_e32 vcc, v15, v10
	s_waitcnt lgkmcnt(0)
	s_nop 0
	v_cndmask_b32_e32 v11, 0, v66, vcc
	v_add_u32_e32 v6, v11, v6
	ds_bpermute_b32 v11, v17, v6
	v_cmp_le_u32_e32 vcc, v40, v10
	s_waitcnt lgkmcnt(0)
	s_nop 0
	v_cndmask_b32_e32 v11, 0, v11, vcc
	v_add_u32_e32 v6, v6, v11
	ds_bpermute_b32 v11, v41, v6
	v_cmp_le_u32_e32 vcc, v42, v10
	;; [unrolled: 6-line block ×5, first 2 shown]
	s_waitcnt lgkmcnt(0)
	s_nop 0
	v_cndmask_b32_e32 v10, 0, v11, vcc
	v_add3_u32 v6, v10, v3, v6
.LBB3316_88:                            ; =>This Loop Header: Depth=1
                                        ;     Child Loop BB3316_91 Depth 2
	v_cmp_ne_u16_sdwa s[30:31], v7, v14 src0_sel:BYTE_0 src1_sel:DWORD
	s_nop 1
	v_cndmask_b32_e64 v3, 0, 1, s[30:31]
	;;#ASMSTART
	;;#ASMEND
	s_nop 0
	v_cmp_ne_u32_e32 vcc, 0, v3
	s_cmp_lg_u64 vcc, exec
	v_mov_b32_e32 v3, v6
	s_cbranch_scc1 .LBB3316_93
; %bb.89:                               ;   in Loop: Header=BB3316_88 Depth=1
	v_lshl_add_u64 v[10:11], v[4:5], 3, s[28:29]
	global_load_dwordx2 v[6:7], v[10:11], off sc1
	s_waitcnt vmcnt(0)
	v_cmp_eq_u16_sdwa s[34:35], v7, v5 src0_sel:BYTE_0 src1_sel:DWORD
	s_and_saveexec_b64 s[30:31], s[34:35]
	s_cbranch_execz .LBB3316_87
; %bb.90:                               ;   in Loop: Header=BB3316_88 Depth=1
	s_mov_b64 s[34:35], 0
.LBB3316_91:                            ;   Parent Loop BB3316_88 Depth=1
                                        ; =>  This Inner Loop Header: Depth=2
	global_load_dwordx2 v[6:7], v[10:11], off sc1
	s_waitcnt vmcnt(0)
	v_cmp_ne_u16_sdwa s[38:39], v7, v5 src0_sel:BYTE_0 src1_sel:DWORD
	s_or_b64 s[34:35], s[38:39], s[34:35]
	s_andn2_b64 exec, exec, s[34:35]
	s_cbranch_execnz .LBB3316_91
; %bb.92:                               ;   in Loop: Header=BB3316_88 Depth=1
	s_or_b64 exec, exec, s[34:35]
	s_branch .LBB3316_87
.LBB3316_93:                            ;   in Loop: Header=BB3316_88 Depth=1
                                        ; implicit-def: $vgpr6
                                        ; implicit-def: $vgpr7
	s_cbranch_execz .LBB3316_88
; %bb.94:
	s_and_saveexec_b64 s[30:31], s[16:17]
	s_cbranch_execz .LBB3316_96
; %bb.95:
	s_add_i32 s34, s36, 64
	s_mov_b32 s35, 0
	s_lshl_b64 s[34:35], s[34:35], 3
	s_add_u32 s34, s28, s34
	v_add_u32_e32 v4, v3, v2
	v_mov_b32_e32 v5, 2
	s_addc_u32 s35, s29, s35
	v_mov_b32_e32 v6, 0
	global_store_dwordx2 v6, v[4:5], s[34:35] sc1
	ds_write_b64 v6, v[2:3] offset:30720
.LBB3316_96:
	s_or_b64 exec, exec, s[30:31]
	s_and_b64 exec, exec, s[18:19]
	s_cbranch_execz .LBB3316_98
; %bb.97:
	v_mov_b32_e32 v2, 0
	ds_write_b32 v2, v3 offset:28
.LBB3316_98:
	s_or_b64 exec, exec, s[0:1]
	v_mov_b32_e32 v14, 0
	s_waitcnt lgkmcnt(0)
	s_barrier
	ds_read_b32 v2, v14 offset:28
	v_cndmask_b32_e64 v3, v13, v12, s[16:17]
	v_cndmask_b32_e64 v3, v3, 0, s[18:19]
	s_waitcnt lgkmcnt(0)
	s_barrier
	v_add_u32_e32 v2, v2, v3
	v_add_u32_e32 v3, v2, v54
	;; [unrolled: 1-line block ×10, first 2 shown]
	ds_read_b64 v[40:41], v14 offset:30720
	v_add_u32_e32 v12, v11, v49
	v_add_u32_e32 v13, v12, v50
	;; [unrolled: 1-line block ×5, first 2 shown]
	s_waitcnt lgkmcnt(0)
	v_mov_b32_e32 v42, v41
	s_branch .LBB3316_109
.LBB3316_99:
                                        ; implicit-def: $vgpr42
                                        ; implicit-def: $vgpr40
                                        ; implicit-def: $vgpr2_vgpr3_vgpr4_vgpr5_vgpr6_vgpr7_vgpr8_vgpr9_vgpr10_vgpr11_vgpr12_vgpr13_vgpr14_vgpr15_vgpr16_vgpr17
	s_cbranch_execz .LBB3316_109
; %bb.100:
	s_nop 0
	v_mov_b32_dpp v2, v59 row_shr:1 row_mask:0xf bank_mask:0xf
	v_cndmask_b32_e64 v2, v2, 0, s[14:15]
	v_add_u32_e32 v2, v2, v59
	s_nop 1
	v_mov_b32_dpp v3, v2 row_shr:2 row_mask:0xf bank_mask:0xf
	v_cndmask_b32_e64 v3, 0, v3, s[12:13]
	v_add_u32_e32 v2, v2, v3
	;; [unrolled: 4-line block ×4, first 2 shown]
	s_nop 1
	v_mov_b32_dpp v3, v2 row_bcast:15 row_mask:0xf bank_mask:0xf
	v_cndmask_b32_e64 v3, v3, 0, s[6:7]
	v_add_u32_e32 v2, v2, v3
	s_nop 1
	v_mov_b32_dpp v3, v2 row_bcast:31 row_mask:0xf bank_mask:0xf
	v_cndmask_b32_e64 v3, 0, v3, s[2:3]
	v_add_u32_e32 v2, v2, v3
	s_and_saveexec_b64 s[0:1], s[4:5]
	s_cbranch_execz .LBB3316_102
; %bb.101:
	v_lshlrev_b32_e32 v3, 2, v58
	ds_write_b32 v3, v2
.LBB3316_102:
	s_or_b64 exec, exec, s[0:1]
	v_cmp_gt_u32_e32 vcc, 8, v0
	s_waitcnt lgkmcnt(0)
	s_barrier
	s_and_saveexec_b64 s[0:1], vcc
	s_cbranch_execz .LBB3316_104
; %bb.103:
	v_mad_i32_i24 v3, v0, -11, v21
	ds_read_b32 v4, v3
	v_and_b32_e32 v5, 7, v57
	v_cmp_ne_u32_e32 vcc, 0, v5
	s_waitcnt lgkmcnt(0)
	v_mov_b32_dpp v6, v4 row_shr:1 row_mask:0xf bank_mask:0xf
	v_cndmask_b32_e32 v6, 0, v6, vcc
	v_add_u32_e32 v4, v6, v4
	v_cmp_lt_u32_e32 vcc, 1, v5
	s_nop 0
	v_mov_b32_dpp v6, v4 row_shr:2 row_mask:0xf bank_mask:0xf
	v_cndmask_b32_e32 v6, 0, v6, vcc
	v_add_u32_e32 v4, v4, v6
	v_cmp_lt_u32_e32 vcc, 3, v5
	s_nop 0
	v_mov_b32_dpp v6, v4 row_shr:4 row_mask:0xf bank_mask:0xf
	v_cndmask_b32_e32 v5, 0, v6, vcc
	v_add_u32_e32 v4, v4, v5
	ds_write_b32 v3, v4
.LBB3316_104:
	s_or_b64 exec, exec, s[0:1]
	v_cmp_lt_u32_e32 vcc, 63, v0
	v_mov_b32_e32 v4, 0
	v_mov_b32_e32 v3, 0
	s_waitcnt lgkmcnt(0)
	s_barrier
	s_and_saveexec_b64 s[0:1], vcc
	s_cbranch_execz .LBB3316_106
; %bb.105:
	v_lshl_add_u32 v3, v58, 2, -4
	ds_read_b32 v3, v3
.LBB3316_106:
	s_or_b64 exec, exec, s[0:1]
	v_add_u32_e32 v5, -1, v57
	v_and_b32_e32 v6, 64, v57
	v_cmp_lt_i32_e32 vcc, v5, v6
	s_waitcnt lgkmcnt(0)
	v_add_u32_e32 v2, v3, v2
	ds_read_b32 v40, v4 offset:28
	v_cndmask_b32_e32 v5, v5, v57, vcc
	v_lshlrev_b32_e32 v5, 2, v5
	ds_bpermute_b32 v2, v5, v2
	s_and_saveexec_b64 s[0:1], s[18:19]
	s_cbranch_execz .LBB3316_108
; %bb.107:
	v_mov_b32_e32 v4, 0
	v_mov_b32_e32 v41, 2
	s_waitcnt lgkmcnt(1)
	global_store_dwordx2 v4, v[40:41], s[28:29] offset:512 sc1
.LBB3316_108:
	s_or_b64 exec, exec, s[0:1]
	v_cmp_eq_u32_e32 vcc, 0, v57
	v_mov_b32_e32 v42, 0
	s_waitcnt lgkmcnt(0)
	v_cndmask_b32_e32 v2, v2, v3, vcc
	v_cndmask_b32_e64 v2, v2, 0, s[18:19]
	v_add_u32_e32 v3, v2, v54
	v_add_u32_e32 v4, v3, v55
	;; [unrolled: 1-line block ×14, first 2 shown]
	s_barrier
.LBB3316_109:
	v_add_u32_e32 v21, v40, v21
	v_sub_u32_e32 v2, v2, v42
	v_and_b32_e32 v50, 1, v18
	v_sub_u32_e32 v49, v21, v2
	v_cmp_eq_u32_e32 vcc, 1, v50
	v_lshrrev_b32_e32 v48, 8, v18
	v_lshrrev_b32_e32 v41, 8, v19
	v_cndmask_b32_e32 v2, v49, v2, vcc
	v_lshlrev_b32_e32 v2, 2, v2
	ds_write_b32 v2, v38
	v_sub_u32_e32 v2, v3, v42
	v_sub_u32_e32 v3, v21, v2
	v_and_b32_e32 v38, 1, v48
	v_add_u32_e32 v3, 1, v3
	v_cmp_eq_u32_e32 vcc, 1, v38
	v_lshrrev_b32_e32 v17, 8, v20
	s_nop 0
	v_cndmask_b32_e32 v2, v3, v2, vcc
	v_lshlrev_b32_e32 v2, 2, v2
	ds_write_b32 v2, v39
	v_sub_u32_e32 v2, v4, v42
	v_mov_b32_e32 v4, 1
	v_sub_u32_e32 v3, v21, v2
	v_and_b32_sdwa v18, v4, v18 dst_sel:DWORD dst_unused:UNUSED_PAD src0_sel:DWORD src1_sel:WORD_1
	v_add_u32_e32 v3, 2, v3
	v_cmp_eq_u32_e32 vcc, 1, v18
	s_nop 1
	v_cndmask_b32_e32 v2, v3, v2, vcc
	v_lshlrev_b32_e32 v2, 2, v2
	ds_write_b32 v2, v36
	v_sub_u32_e32 v2, v5, v42
	v_sub_u32_e32 v3, v21, v2
	v_and_b32_e32 v5, 1, v47
	v_add_u32_e32 v3, 3, v3
	v_cmp_eq_u32_e32 vcc, 1, v5
	v_and_b32_e32 v5, 1, v19
	v_or_b32_e32 v36, 0x200, v0
	v_cndmask_b32_e32 v2, v3, v2, vcc
	v_lshlrev_b32_e32 v2, 2, v2
	ds_write_b32 v2, v37
	v_sub_u32_e32 v2, v6, v42
	v_sub_u32_e32 v3, v21, v2
	v_add_u32_e32 v3, 4, v3
	v_cmp_eq_u32_e32 vcc, 1, v5
	v_and_b32_e32 v5, 1, v41
	s_nop 0
	v_cndmask_b32_e32 v2, v3, v2, vcc
	v_lshlrev_b32_e32 v2, 2, v2
	ds_write_b32 v2, v34
	v_sub_u32_e32 v2, v7, v42
	v_sub_u32_e32 v3, v21, v2
	v_add_u32_e32 v3, 5, v3
	v_cmp_eq_u32_e32 vcc, 1, v5
	v_and_b32_sdwa v5, v4, v19 dst_sel:DWORD dst_unused:UNUSED_PAD src0_sel:DWORD src1_sel:WORD_1
	v_and_b32_sdwa v4, v4, v20 dst_sel:DWORD dst_unused:UNUSED_PAD src0_sel:DWORD src1_sel:WORD_1
	v_cndmask_b32_e32 v2, v3, v2, vcc
	v_lshlrev_b32_e32 v2, 2, v2
	ds_write_b32 v2, v35
	v_sub_u32_e32 v2, v8, v42
	v_sub_u32_e32 v3, v21, v2
	v_add_u32_e32 v3, 6, v3
	v_cmp_eq_u32_e32 vcc, 1, v5
	v_and_b32_e32 v5, 1, v46
	v_or_b32_e32 v35, 0x400, v0
	v_cndmask_b32_e32 v2, v3, v2, vcc
	v_lshlrev_b32_e32 v2, 2, v2
	ds_write_b32 v2, v32
	v_sub_u32_e32 v2, v9, v42
	v_sub_u32_e32 v3, v21, v2
	v_add_u32_e32 v3, 7, v3
	v_cmp_eq_u32_e32 vcc, 1, v5
	v_and_b32_e32 v5, 1, v20
	v_or_b32_e32 v34, 0x600, v0
	;; [unrolled: 9-line block ×3, first 2 shown]
	v_cndmask_b32_e32 v2, v3, v2, vcc
	v_lshlrev_b32_e32 v2, 2, v2
	ds_write_b32 v2, v30
	v_sub_u32_e32 v2, v11, v42
	v_sub_u32_e32 v3, v21, v2
	v_add_u32_e32 v3, 9, v3
	v_cmp_eq_u32_e32 vcc, 1, v5
	v_or_b32_e32 v32, 0xa00, v0
	v_or_b32_e32 v30, 0xe00, v0
	v_cndmask_b32_e32 v2, v3, v2, vcc
	v_lshlrev_b32_e32 v2, 2, v2
	ds_write_b32 v2, v31
	v_sub_u32_e32 v2, v12, v42
	v_sub_u32_e32 v3, v21, v2
	v_add_u32_e32 v3, 10, v3
	v_cmp_eq_u32_e32 vcc, 1, v4
	v_and_b32_e32 v4, 1, v44
	v_or_b32_e32 v31, 0xc00, v0
	v_cndmask_b32_e32 v2, v3, v2, vcc
	v_lshlrev_b32_e32 v2, 2, v2
	ds_write_b32 v2, v28
	v_sub_u32_e32 v2, v13, v42
	v_sub_u32_e32 v3, v21, v2
	v_add_u32_e32 v3, 11, v3
	v_cmp_eq_u32_e32 vcc, 1, v4
	v_or_b32_e32 v28, 0x1200, v0
	v_or_b32_e32 v20, 0x1c00, v0
	v_cndmask_b32_e32 v2, v3, v2, vcc
	v_lshlrev_b32_e32 v2, 2, v2
	ds_write_b32 v2, v29
	v_sub_u32_e32 v2, v14, v42
	v_sub_u32_e32 v3, v21, v2
	v_add_u32_e32 v3, 12, v3
	v_cmp_eq_u32_e32 vcc, 1, v45
	v_or_b32_e32 v29, 0x1000, v0
	s_waitcnt vmcnt(0)
	v_lshlrev_b64 v[18:19], 2, v[22:23]
	v_cndmask_b32_e32 v2, v3, v2, vcc
	v_lshlrev_b32_e32 v2, 2, v2
	ds_write_b32 v2, v26
	v_sub_u32_e32 v2, v15, v42
	v_sub_u32_e32 v3, v21, v2
	v_add_u32_e32 v3, 13, v3
	v_cmp_eq_u32_e32 vcc, 1, v43
	v_or_b32_e32 v26, 0x1600, v0
	s_nop 0
	v_cndmask_b32_e32 v2, v3, v2, vcc
	v_lshlrev_b32_e32 v2, 2, v2
	ds_write_b32 v2, v27
	v_sub_u32_e32 v2, v16, v42
	v_sub_u32_e32 v3, v21, v2
	v_add_u32_e32 v3, 14, v3
	v_cmp_eq_u32_e32 vcc, 1, v25
	v_or_b32_e32 v27, 0x1400, v0
	v_or_b32_e32 v25, 0x1800, v0
	v_cndmask_b32_e32 v2, v3, v2, vcc
	v_lshlrev_b32_e32 v2, 2, v2
	ds_write_b32 v2, v1
	s_waitcnt lgkmcnt(0)
	s_barrier
	ds_read2st64_b32 v[16:17], v24 offset1:8
	ds_read2st64_b32 v[14:15], v24 offset0:16 offset1:24
	ds_read2st64_b32 v[12:13], v24 offset0:32 offset1:40
	;; [unrolled: 1-line block ×6, first 2 shown]
	ds_read_b32 v1, v24 offset:28672
	v_or_b32_e32 v21, 0x1a00, v0
	s_andn2_b64 vcc, exec, s[26:27]
	s_cbranch_vccnz .LBB3316_126
; %bb.110:
	v_mov_b32_e32 v43, 0
	v_lshl_add_u64 v[4:5], s[24:25], 0, v[18:19]
	v_lshlrev_b64 v[38:39], 2, v[42:43]
	v_lshl_add_u64 v[4:5], v[4:5], 0, v[38:39]
	v_cmp_gt_u32_e32 vcc, v40, v0
	s_and_saveexec_b64 s[0:1], vcc
	s_cbranch_execnz .LBB3316_148
; %bb.111:
	s_or_b64 exec, exec, s[0:1]
	v_cmp_lt_u32_e32 vcc, v36, v40
	s_and_saveexec_b64 s[0:1], vcc
	s_cbranch_execnz .LBB3316_149
.LBB3316_112:
	s_or_b64 exec, exec, s[0:1]
	v_cmp_lt_u32_e32 vcc, v35, v40
	s_and_saveexec_b64 s[0:1], vcc
	s_cbranch_execnz .LBB3316_150
.LBB3316_113:
	s_or_b64 exec, exec, s[0:1]
	v_cmp_lt_u32_e32 vcc, v34, v40
	s_and_saveexec_b64 s[0:1], vcc
	s_cbranch_execnz .LBB3316_151
.LBB3316_114:
	s_or_b64 exec, exec, s[0:1]
	v_cmp_lt_u32_e32 vcc, v33, v40
	s_and_saveexec_b64 s[0:1], vcc
	s_cbranch_execnz .LBB3316_152
.LBB3316_115:
	s_or_b64 exec, exec, s[0:1]
	v_cmp_lt_u32_e32 vcc, v32, v40
	s_and_saveexec_b64 s[0:1], vcc
	s_cbranch_execnz .LBB3316_153
.LBB3316_116:
	s_or_b64 exec, exec, s[0:1]
	v_cmp_lt_u32_e32 vcc, v31, v40
	s_and_saveexec_b64 s[0:1], vcc
	s_cbranch_execnz .LBB3316_154
.LBB3316_117:
	s_or_b64 exec, exec, s[0:1]
	v_cmp_lt_u32_e32 vcc, v30, v40
	s_and_saveexec_b64 s[0:1], vcc
	s_cbranch_execnz .LBB3316_155
.LBB3316_118:
	s_or_b64 exec, exec, s[0:1]
	v_cmp_lt_u32_e32 vcc, v29, v40
	s_and_saveexec_b64 s[0:1], vcc
	s_cbranch_execnz .LBB3316_156
.LBB3316_119:
	s_or_b64 exec, exec, s[0:1]
	v_cmp_lt_u32_e32 vcc, v28, v40
	s_and_saveexec_b64 s[0:1], vcc
	s_cbranch_execnz .LBB3316_157
.LBB3316_120:
	s_or_b64 exec, exec, s[0:1]
	v_cmp_lt_u32_e32 vcc, v27, v40
	s_and_saveexec_b64 s[0:1], vcc
	s_cbranch_execnz .LBB3316_158
.LBB3316_121:
	s_or_b64 exec, exec, s[0:1]
	v_cmp_lt_u32_e32 vcc, v26, v40
	s_and_saveexec_b64 s[0:1], vcc
	s_cbranch_execnz .LBB3316_159
.LBB3316_122:
	s_or_b64 exec, exec, s[0:1]
	v_cmp_lt_u32_e32 vcc, v25, v40
	s_and_saveexec_b64 s[0:1], vcc
	s_cbranch_execnz .LBB3316_160
.LBB3316_123:
	s_or_b64 exec, exec, s[0:1]
	v_cmp_lt_u32_e32 vcc, v21, v40
	s_and_saveexec_b64 s[0:1], vcc
	s_cbranch_execz .LBB3316_125
.LBB3316_124:
	v_lshlrev_b32_e32 v37, 2, v21
	v_readfirstlane_b32 s2, v4
	v_readfirstlane_b32 s3, v5
	s_waitcnt lgkmcnt(1)
	s_nop 3
	global_store_dword v37, v3, s[2:3]
.LBB3316_125:
	s_or_b64 exec, exec, s[0:1]
	v_cmp_lt_u32_e64 s[0:1], v20, v40
	s_branch .LBB3316_143
.LBB3316_126:
	s_mov_b64 s[0:1], 0
                                        ; implicit-def: $vgpr4_vgpr5
	s_cbranch_execz .LBB3316_143
; %bb.127:
	v_mov_b32_e32 v43, 0
	v_min_u32_e32 v37, s33, v40
	v_lshl_add_u64 v[4:5], s[24:25], 0, v[18:19]
	v_lshlrev_b64 v[18:19], 2, v[42:43]
	v_lshl_add_u64 v[4:5], v[4:5], 0, v[18:19]
	v_cmp_gt_u32_e32 vcc, v37, v0
	s_and_saveexec_b64 s[0:1], vcc
	s_cbranch_execnz .LBB3316_161
; %bb.128:
	s_or_b64 exec, exec, s[0:1]
	v_cmp_lt_u32_e32 vcc, v36, v37
	s_and_saveexec_b64 s[0:1], vcc
	s_cbranch_execnz .LBB3316_162
.LBB3316_129:
	s_or_b64 exec, exec, s[0:1]
	v_cmp_lt_u32_e32 vcc, v35, v37
	s_and_saveexec_b64 s[0:1], vcc
	s_cbranch_execnz .LBB3316_163
.LBB3316_130:
	s_or_b64 exec, exec, s[0:1]
	v_cmp_lt_u32_e32 vcc, v34, v37
	s_and_saveexec_b64 s[0:1], vcc
	s_cbranch_execnz .LBB3316_164
.LBB3316_131:
	s_or_b64 exec, exec, s[0:1]
	v_cmp_lt_u32_e32 vcc, v33, v37
	s_and_saveexec_b64 s[0:1], vcc
	s_cbranch_execnz .LBB3316_165
.LBB3316_132:
	s_or_b64 exec, exec, s[0:1]
	v_cmp_lt_u32_e32 vcc, v32, v37
	s_and_saveexec_b64 s[0:1], vcc
	s_cbranch_execnz .LBB3316_166
.LBB3316_133:
	s_or_b64 exec, exec, s[0:1]
	v_cmp_lt_u32_e32 vcc, v31, v37
	s_and_saveexec_b64 s[0:1], vcc
	s_cbranch_execnz .LBB3316_167
.LBB3316_134:
	s_or_b64 exec, exec, s[0:1]
	v_cmp_lt_u32_e32 vcc, v30, v37
	s_and_saveexec_b64 s[0:1], vcc
	s_cbranch_execnz .LBB3316_168
.LBB3316_135:
	s_or_b64 exec, exec, s[0:1]
	v_cmp_lt_u32_e32 vcc, v29, v37
	s_and_saveexec_b64 s[0:1], vcc
	s_cbranch_execnz .LBB3316_169
.LBB3316_136:
	s_or_b64 exec, exec, s[0:1]
	v_cmp_lt_u32_e32 vcc, v28, v37
	s_and_saveexec_b64 s[0:1], vcc
	s_cbranch_execnz .LBB3316_170
.LBB3316_137:
	s_or_b64 exec, exec, s[0:1]
	v_cmp_lt_u32_e32 vcc, v27, v37
	s_and_saveexec_b64 s[0:1], vcc
	s_cbranch_execnz .LBB3316_171
.LBB3316_138:
	s_or_b64 exec, exec, s[0:1]
	v_cmp_lt_u32_e32 vcc, v26, v37
	s_and_saveexec_b64 s[0:1], vcc
	s_cbranch_execnz .LBB3316_172
.LBB3316_139:
	s_or_b64 exec, exec, s[0:1]
	v_cmp_lt_u32_e32 vcc, v25, v37
	s_and_saveexec_b64 s[0:1], vcc
	s_cbranch_execnz .LBB3316_173
.LBB3316_140:
	s_or_b64 exec, exec, s[0:1]
	v_cmp_lt_u32_e32 vcc, v21, v37
	s_and_saveexec_b64 s[0:1], vcc
	s_cbranch_execz .LBB3316_142
.LBB3316_141:
	v_lshlrev_b32_e32 v0, 2, v21
	v_readfirstlane_b32 s2, v4
	v_readfirstlane_b32 s3, v5
	s_waitcnt lgkmcnt(1)
	s_nop 3
	global_store_dword v0, v3, s[2:3]
.LBB3316_142:
	s_or_b64 exec, exec, s[0:1]
	v_cmp_lt_u32_e64 s[0:1], v20, v37
.LBB3316_143:
	s_and_saveexec_b64 s[2:3], s[0:1]
	s_cbranch_execnz .LBB3316_146
; %bb.144:
	s_or_b64 exec, exec, s[2:3]
	s_and_b64 s[0:1], s[18:19], s[22:23]
	s_and_saveexec_b64 s[2:3], s[0:1]
	s_cbranch_execnz .LBB3316_147
.LBB3316_145:
	s_endpgm
.LBB3316_146:
	v_lshlrev_b32_e32 v0, 2, v20
	v_readfirstlane_b32 s0, v4
	v_readfirstlane_b32 s1, v5
	s_waitcnt lgkmcnt(0)
	s_nop 3
	global_store_dword v0, v1, s[0:1]
	s_or_b64 exec, exec, s[2:3]
	s_and_b64 s[0:1], s[18:19], s[22:23]
	s_and_saveexec_b64 s[2:3], s[0:1]
	s_cbranch_execz .LBB3316_145
.LBB3316_147:
	v_mov_b32_e32 v41, 0
	s_waitcnt lgkmcnt(0)
	v_lshl_add_u64 v[0:1], v[22:23], 0, v[40:41]
	v_mov_b32_e32 v43, v41
	v_lshl_add_u64 v[0:1], v[0:1], 0, v[42:43]
	global_store_dwordx2 v41, v[0:1], s[20:21]
	s_endpgm
.LBB3316_148:
	v_readfirstlane_b32 s2, v4
	v_readfirstlane_b32 s3, v5
	s_waitcnt lgkmcnt(7)
	s_nop 3
	global_store_dword v24, v16, s[2:3]
	s_or_b64 exec, exec, s[0:1]
	v_cmp_lt_u32_e32 vcc, v36, v40
	s_and_saveexec_b64 s[0:1], vcc
	s_cbranch_execz .LBB3316_112
.LBB3316_149:
	v_readfirstlane_b32 s2, v4
	v_readfirstlane_b32 s3, v5
	s_waitcnt lgkmcnt(7)
	s_nop 3
	global_store_dword v24, v17, s[2:3] offset:2048
	s_or_b64 exec, exec, s[0:1]
	v_cmp_lt_u32_e32 vcc, v35, v40
	s_and_saveexec_b64 s[0:1], vcc
	s_cbranch_execz .LBB3316_113
.LBB3316_150:
	v_lshlrev_b32_e32 v37, 2, v35
	v_readfirstlane_b32 s2, v4
	v_readfirstlane_b32 s3, v5
	s_waitcnt lgkmcnt(6)
	s_nop 3
	global_store_dword v37, v14, s[2:3]
	s_or_b64 exec, exec, s[0:1]
	v_cmp_lt_u32_e32 vcc, v34, v40
	s_and_saveexec_b64 s[0:1], vcc
	s_cbranch_execz .LBB3316_114
.LBB3316_151:
	v_lshlrev_b32_e32 v37, 2, v34
	v_readfirstlane_b32 s2, v4
	v_readfirstlane_b32 s3, v5
	s_waitcnt lgkmcnt(6)
	s_nop 3
	global_store_dword v37, v15, s[2:3]
	s_or_b64 exec, exec, s[0:1]
	v_cmp_lt_u32_e32 vcc, v33, v40
	s_and_saveexec_b64 s[0:1], vcc
	s_cbranch_execz .LBB3316_115
.LBB3316_152:
	v_lshlrev_b32_e32 v37, 2, v33
	v_readfirstlane_b32 s2, v4
	v_readfirstlane_b32 s3, v5
	s_waitcnt lgkmcnt(5)
	s_nop 3
	global_store_dword v37, v12, s[2:3]
	s_or_b64 exec, exec, s[0:1]
	v_cmp_lt_u32_e32 vcc, v32, v40
	s_and_saveexec_b64 s[0:1], vcc
	s_cbranch_execz .LBB3316_116
.LBB3316_153:
	v_lshlrev_b32_e32 v37, 2, v32
	v_readfirstlane_b32 s2, v4
	v_readfirstlane_b32 s3, v5
	s_waitcnt lgkmcnt(5)
	s_nop 3
	global_store_dword v37, v13, s[2:3]
	s_or_b64 exec, exec, s[0:1]
	v_cmp_lt_u32_e32 vcc, v31, v40
	s_and_saveexec_b64 s[0:1], vcc
	s_cbranch_execz .LBB3316_117
.LBB3316_154:
	v_lshlrev_b32_e32 v37, 2, v31
	v_readfirstlane_b32 s2, v4
	v_readfirstlane_b32 s3, v5
	s_waitcnt lgkmcnt(4)
	s_nop 3
	global_store_dword v37, v10, s[2:3]
	s_or_b64 exec, exec, s[0:1]
	v_cmp_lt_u32_e32 vcc, v30, v40
	s_and_saveexec_b64 s[0:1], vcc
	s_cbranch_execz .LBB3316_118
.LBB3316_155:
	v_lshlrev_b32_e32 v37, 2, v30
	v_readfirstlane_b32 s2, v4
	v_readfirstlane_b32 s3, v5
	s_waitcnt lgkmcnt(4)
	s_nop 3
	global_store_dword v37, v11, s[2:3]
	s_or_b64 exec, exec, s[0:1]
	v_cmp_lt_u32_e32 vcc, v29, v40
	s_and_saveexec_b64 s[0:1], vcc
	s_cbranch_execz .LBB3316_119
.LBB3316_156:
	v_lshlrev_b32_e32 v37, 2, v29
	v_readfirstlane_b32 s2, v4
	v_readfirstlane_b32 s3, v5
	s_waitcnt lgkmcnt(3)
	s_nop 3
	global_store_dword v37, v8, s[2:3]
	s_or_b64 exec, exec, s[0:1]
	v_cmp_lt_u32_e32 vcc, v28, v40
	s_and_saveexec_b64 s[0:1], vcc
	s_cbranch_execz .LBB3316_120
.LBB3316_157:
	v_lshlrev_b32_e32 v37, 2, v28
	v_readfirstlane_b32 s2, v4
	v_readfirstlane_b32 s3, v5
	s_waitcnt lgkmcnt(3)
	s_nop 3
	global_store_dword v37, v9, s[2:3]
	s_or_b64 exec, exec, s[0:1]
	v_cmp_lt_u32_e32 vcc, v27, v40
	s_and_saveexec_b64 s[0:1], vcc
	s_cbranch_execz .LBB3316_121
.LBB3316_158:
	v_lshlrev_b32_e32 v37, 2, v27
	v_readfirstlane_b32 s2, v4
	v_readfirstlane_b32 s3, v5
	s_waitcnt lgkmcnt(2)
	s_nop 3
	global_store_dword v37, v6, s[2:3]
	s_or_b64 exec, exec, s[0:1]
	v_cmp_lt_u32_e32 vcc, v26, v40
	s_and_saveexec_b64 s[0:1], vcc
	s_cbranch_execz .LBB3316_122
.LBB3316_159:
	v_lshlrev_b32_e32 v37, 2, v26
	v_readfirstlane_b32 s2, v4
	v_readfirstlane_b32 s3, v5
	s_waitcnt lgkmcnt(2)
	s_nop 3
	global_store_dword v37, v7, s[2:3]
	s_or_b64 exec, exec, s[0:1]
	v_cmp_lt_u32_e32 vcc, v25, v40
	s_and_saveexec_b64 s[0:1], vcc
	s_cbranch_execz .LBB3316_123
.LBB3316_160:
	v_lshlrev_b32_e32 v37, 2, v25
	v_readfirstlane_b32 s2, v4
	v_readfirstlane_b32 s3, v5
	s_waitcnt lgkmcnt(1)
	s_nop 3
	global_store_dword v37, v2, s[2:3]
	s_or_b64 exec, exec, s[0:1]
	v_cmp_lt_u32_e32 vcc, v21, v40
	s_and_saveexec_b64 s[0:1], vcc
	s_cbranch_execnz .LBB3316_124
	s_branch .LBB3316_125
.LBB3316_161:
	v_readfirstlane_b32 s2, v4
	v_readfirstlane_b32 s3, v5
	s_waitcnt lgkmcnt(7)
	s_nop 3
	global_store_dword v24, v16, s[2:3]
	s_or_b64 exec, exec, s[0:1]
	v_cmp_lt_u32_e32 vcc, v36, v37
	s_and_saveexec_b64 s[0:1], vcc
	s_cbranch_execz .LBB3316_129
.LBB3316_162:
	v_readfirstlane_b32 s2, v4
	v_readfirstlane_b32 s3, v5
	s_waitcnt lgkmcnt(7)
	s_nop 3
	global_store_dword v24, v17, s[2:3] offset:2048
	s_or_b64 exec, exec, s[0:1]
	v_cmp_lt_u32_e32 vcc, v35, v37
	s_and_saveexec_b64 s[0:1], vcc
	s_cbranch_execz .LBB3316_130
.LBB3316_163:
	v_lshlrev_b32_e32 v0, 2, v35
	v_readfirstlane_b32 s2, v4
	v_readfirstlane_b32 s3, v5
	s_waitcnt lgkmcnt(6)
	s_nop 3
	global_store_dword v0, v14, s[2:3]
	s_or_b64 exec, exec, s[0:1]
	v_cmp_lt_u32_e32 vcc, v34, v37
	s_and_saveexec_b64 s[0:1], vcc
	s_cbranch_execz .LBB3316_131
.LBB3316_164:
	v_lshlrev_b32_e32 v0, 2, v34
	v_readfirstlane_b32 s2, v4
	v_readfirstlane_b32 s3, v5
	s_waitcnt lgkmcnt(6)
	s_nop 3
	global_store_dword v0, v15, s[2:3]
	s_or_b64 exec, exec, s[0:1]
	v_cmp_lt_u32_e32 vcc, v33, v37
	s_and_saveexec_b64 s[0:1], vcc
	s_cbranch_execz .LBB3316_132
.LBB3316_165:
	v_lshlrev_b32_e32 v0, 2, v33
	v_readfirstlane_b32 s2, v4
	v_readfirstlane_b32 s3, v5
	s_waitcnt lgkmcnt(5)
	s_nop 3
	global_store_dword v0, v12, s[2:3]
	s_or_b64 exec, exec, s[0:1]
	v_cmp_lt_u32_e32 vcc, v32, v37
	s_and_saveexec_b64 s[0:1], vcc
	s_cbranch_execz .LBB3316_133
.LBB3316_166:
	v_lshlrev_b32_e32 v0, 2, v32
	v_readfirstlane_b32 s2, v4
	v_readfirstlane_b32 s3, v5
	s_waitcnt lgkmcnt(5)
	s_nop 3
	global_store_dword v0, v13, s[2:3]
	s_or_b64 exec, exec, s[0:1]
	v_cmp_lt_u32_e32 vcc, v31, v37
	s_and_saveexec_b64 s[0:1], vcc
	s_cbranch_execz .LBB3316_134
.LBB3316_167:
	v_lshlrev_b32_e32 v0, 2, v31
	v_readfirstlane_b32 s2, v4
	v_readfirstlane_b32 s3, v5
	s_waitcnt lgkmcnt(4)
	s_nop 3
	global_store_dword v0, v10, s[2:3]
	s_or_b64 exec, exec, s[0:1]
	v_cmp_lt_u32_e32 vcc, v30, v37
	s_and_saveexec_b64 s[0:1], vcc
	s_cbranch_execz .LBB3316_135
.LBB3316_168:
	v_lshlrev_b32_e32 v0, 2, v30
	v_readfirstlane_b32 s2, v4
	v_readfirstlane_b32 s3, v5
	s_waitcnt lgkmcnt(4)
	s_nop 3
	global_store_dword v0, v11, s[2:3]
	s_or_b64 exec, exec, s[0:1]
	v_cmp_lt_u32_e32 vcc, v29, v37
	s_and_saveexec_b64 s[0:1], vcc
	s_cbranch_execz .LBB3316_136
.LBB3316_169:
	v_lshlrev_b32_e32 v0, 2, v29
	v_readfirstlane_b32 s2, v4
	v_readfirstlane_b32 s3, v5
	s_waitcnt lgkmcnt(3)
	s_nop 3
	global_store_dword v0, v8, s[2:3]
	s_or_b64 exec, exec, s[0:1]
	v_cmp_lt_u32_e32 vcc, v28, v37
	s_and_saveexec_b64 s[0:1], vcc
	s_cbranch_execz .LBB3316_137
.LBB3316_170:
	v_lshlrev_b32_e32 v0, 2, v28
	v_readfirstlane_b32 s2, v4
	v_readfirstlane_b32 s3, v5
	s_waitcnt lgkmcnt(3)
	s_nop 3
	global_store_dword v0, v9, s[2:3]
	s_or_b64 exec, exec, s[0:1]
	v_cmp_lt_u32_e32 vcc, v27, v37
	s_and_saveexec_b64 s[0:1], vcc
	s_cbranch_execz .LBB3316_138
.LBB3316_171:
	v_lshlrev_b32_e32 v0, 2, v27
	v_readfirstlane_b32 s2, v4
	v_readfirstlane_b32 s3, v5
	s_waitcnt lgkmcnt(2)
	s_nop 3
	global_store_dword v0, v6, s[2:3]
	s_or_b64 exec, exec, s[0:1]
	v_cmp_lt_u32_e32 vcc, v26, v37
	s_and_saveexec_b64 s[0:1], vcc
	s_cbranch_execz .LBB3316_139
.LBB3316_172:
	v_lshlrev_b32_e32 v0, 2, v26
	v_readfirstlane_b32 s2, v4
	v_readfirstlane_b32 s3, v5
	s_waitcnt lgkmcnt(2)
	s_nop 3
	global_store_dword v0, v7, s[2:3]
	s_or_b64 exec, exec, s[0:1]
	v_cmp_lt_u32_e32 vcc, v25, v37
	s_and_saveexec_b64 s[0:1], vcc
	s_cbranch_execz .LBB3316_140
.LBB3316_173:
	v_lshlrev_b32_e32 v0, 2, v25
	v_readfirstlane_b32 s2, v4
	v_readfirstlane_b32 s3, v5
	s_waitcnt lgkmcnt(1)
	s_nop 3
	global_store_dword v0, v2, s[2:3]
	s_or_b64 exec, exec, s[0:1]
	v_cmp_lt_u32_e32 vcc, v21, v37
	s_and_saveexec_b64 s[0:1], vcc
	s_cbranch_execnz .LBB3316_141
	s_branch .LBB3316_142
	.section	.rodata,"a",@progbits
	.p2align	6, 0x0
	.amdhsa_kernel _ZN7rocprim17ROCPRIM_400000_NS6detail17trampoline_kernelINS0_14default_configENS1_25partition_config_selectorILNS1_17partition_subalgoE1EiNS0_10empty_typeEbEEZZNS1_14partition_implILS5_1ELb0ES3_jN6thrust23THRUST_200600_302600_NS6detail15normal_iteratorINSA_10device_ptrIiEEEEPS6_NSA_18transform_iteratorI7is_evenIiESF_NSA_11use_defaultESK_EENS0_5tupleIJSF_NSA_16discard_iteratorISK_EEEEENSM_IJSG_SG_EEES6_PlJS6_EEE10hipError_tPvRmT3_T4_T5_T6_T7_T9_mT8_P12ihipStream_tbDpT10_ENKUlT_T0_E_clISt17integral_constantIbLb0EES1A_IbLb1EEEEDaS16_S17_EUlS16_E_NS1_11comp_targetILNS1_3genE5ELNS1_11target_archE942ELNS1_3gpuE9ELNS1_3repE0EEENS1_30default_config_static_selectorELNS0_4arch9wavefront6targetE1EEEvT1_
		.amdhsa_group_segment_fixed_size 30728
		.amdhsa_private_segment_fixed_size 0
		.amdhsa_kernarg_size 152
		.amdhsa_user_sgpr_count 2
		.amdhsa_user_sgpr_dispatch_ptr 0
		.amdhsa_user_sgpr_queue_ptr 0
		.amdhsa_user_sgpr_kernarg_segment_ptr 1
		.amdhsa_user_sgpr_dispatch_id 0
		.amdhsa_user_sgpr_kernarg_preload_length 0
		.amdhsa_user_sgpr_kernarg_preload_offset 0
		.amdhsa_user_sgpr_private_segment_size 0
		.amdhsa_uses_dynamic_stack 0
		.amdhsa_enable_private_segment 0
		.amdhsa_system_sgpr_workgroup_id_x 1
		.amdhsa_system_sgpr_workgroup_id_y 0
		.amdhsa_system_sgpr_workgroup_id_z 0
		.amdhsa_system_sgpr_workgroup_info 0
		.amdhsa_system_vgpr_workitem_id 0
		.amdhsa_next_free_vgpr 67
		.amdhsa_next_free_sgpr 40
		.amdhsa_accum_offset 68
		.amdhsa_reserve_vcc 1
		.amdhsa_float_round_mode_32 0
		.amdhsa_float_round_mode_16_64 0
		.amdhsa_float_denorm_mode_32 3
		.amdhsa_float_denorm_mode_16_64 3
		.amdhsa_dx10_clamp 1
		.amdhsa_ieee_mode 1
		.amdhsa_fp16_overflow 0
		.amdhsa_tg_split 0
		.amdhsa_exception_fp_ieee_invalid_op 0
		.amdhsa_exception_fp_denorm_src 0
		.amdhsa_exception_fp_ieee_div_zero 0
		.amdhsa_exception_fp_ieee_overflow 0
		.amdhsa_exception_fp_ieee_underflow 0
		.amdhsa_exception_fp_ieee_inexact 0
		.amdhsa_exception_int_div_zero 0
	.end_amdhsa_kernel
	.section	.text._ZN7rocprim17ROCPRIM_400000_NS6detail17trampoline_kernelINS0_14default_configENS1_25partition_config_selectorILNS1_17partition_subalgoE1EiNS0_10empty_typeEbEEZZNS1_14partition_implILS5_1ELb0ES3_jN6thrust23THRUST_200600_302600_NS6detail15normal_iteratorINSA_10device_ptrIiEEEEPS6_NSA_18transform_iteratorI7is_evenIiESF_NSA_11use_defaultESK_EENS0_5tupleIJSF_NSA_16discard_iteratorISK_EEEEENSM_IJSG_SG_EEES6_PlJS6_EEE10hipError_tPvRmT3_T4_T5_T6_T7_T9_mT8_P12ihipStream_tbDpT10_ENKUlT_T0_E_clISt17integral_constantIbLb0EES1A_IbLb1EEEEDaS16_S17_EUlS16_E_NS1_11comp_targetILNS1_3genE5ELNS1_11target_archE942ELNS1_3gpuE9ELNS1_3repE0EEENS1_30default_config_static_selectorELNS0_4arch9wavefront6targetE1EEEvT1_,"axG",@progbits,_ZN7rocprim17ROCPRIM_400000_NS6detail17trampoline_kernelINS0_14default_configENS1_25partition_config_selectorILNS1_17partition_subalgoE1EiNS0_10empty_typeEbEEZZNS1_14partition_implILS5_1ELb0ES3_jN6thrust23THRUST_200600_302600_NS6detail15normal_iteratorINSA_10device_ptrIiEEEEPS6_NSA_18transform_iteratorI7is_evenIiESF_NSA_11use_defaultESK_EENS0_5tupleIJSF_NSA_16discard_iteratorISK_EEEEENSM_IJSG_SG_EEES6_PlJS6_EEE10hipError_tPvRmT3_T4_T5_T6_T7_T9_mT8_P12ihipStream_tbDpT10_ENKUlT_T0_E_clISt17integral_constantIbLb0EES1A_IbLb1EEEEDaS16_S17_EUlS16_E_NS1_11comp_targetILNS1_3genE5ELNS1_11target_archE942ELNS1_3gpuE9ELNS1_3repE0EEENS1_30default_config_static_selectorELNS0_4arch9wavefront6targetE1EEEvT1_,comdat
.Lfunc_end3316:
	.size	_ZN7rocprim17ROCPRIM_400000_NS6detail17trampoline_kernelINS0_14default_configENS1_25partition_config_selectorILNS1_17partition_subalgoE1EiNS0_10empty_typeEbEEZZNS1_14partition_implILS5_1ELb0ES3_jN6thrust23THRUST_200600_302600_NS6detail15normal_iteratorINSA_10device_ptrIiEEEEPS6_NSA_18transform_iteratorI7is_evenIiESF_NSA_11use_defaultESK_EENS0_5tupleIJSF_NSA_16discard_iteratorISK_EEEEENSM_IJSG_SG_EEES6_PlJS6_EEE10hipError_tPvRmT3_T4_T5_T6_T7_T9_mT8_P12ihipStream_tbDpT10_ENKUlT_T0_E_clISt17integral_constantIbLb0EES1A_IbLb1EEEEDaS16_S17_EUlS16_E_NS1_11comp_targetILNS1_3genE5ELNS1_11target_archE942ELNS1_3gpuE9ELNS1_3repE0EEENS1_30default_config_static_selectorELNS0_4arch9wavefront6targetE1EEEvT1_, .Lfunc_end3316-_ZN7rocprim17ROCPRIM_400000_NS6detail17trampoline_kernelINS0_14default_configENS1_25partition_config_selectorILNS1_17partition_subalgoE1EiNS0_10empty_typeEbEEZZNS1_14partition_implILS5_1ELb0ES3_jN6thrust23THRUST_200600_302600_NS6detail15normal_iteratorINSA_10device_ptrIiEEEEPS6_NSA_18transform_iteratorI7is_evenIiESF_NSA_11use_defaultESK_EENS0_5tupleIJSF_NSA_16discard_iteratorISK_EEEEENSM_IJSG_SG_EEES6_PlJS6_EEE10hipError_tPvRmT3_T4_T5_T6_T7_T9_mT8_P12ihipStream_tbDpT10_ENKUlT_T0_E_clISt17integral_constantIbLb0EES1A_IbLb1EEEEDaS16_S17_EUlS16_E_NS1_11comp_targetILNS1_3genE5ELNS1_11target_archE942ELNS1_3gpuE9ELNS1_3repE0EEENS1_30default_config_static_selectorELNS0_4arch9wavefront6targetE1EEEvT1_
                                        ; -- End function
	.section	.AMDGPU.csdata,"",@progbits
; Kernel info:
; codeLenInByte = 7868
; NumSgprs: 46
; NumVgprs: 67
; NumAgprs: 0
; TotalNumVgprs: 67
; ScratchSize: 0
; MemoryBound: 0
; FloatMode: 240
; IeeeMode: 1
; LDSByteSize: 30728 bytes/workgroup (compile time only)
; SGPRBlocks: 5
; VGPRBlocks: 8
; NumSGPRsForWavesPerEU: 46
; NumVGPRsForWavesPerEU: 67
; AccumOffset: 68
; Occupancy: 4
; WaveLimiterHint : 1
; COMPUTE_PGM_RSRC2:SCRATCH_EN: 0
; COMPUTE_PGM_RSRC2:USER_SGPR: 2
; COMPUTE_PGM_RSRC2:TRAP_HANDLER: 0
; COMPUTE_PGM_RSRC2:TGID_X_EN: 1
; COMPUTE_PGM_RSRC2:TGID_Y_EN: 0
; COMPUTE_PGM_RSRC2:TGID_Z_EN: 0
; COMPUTE_PGM_RSRC2:TIDIG_COMP_CNT: 0
; COMPUTE_PGM_RSRC3_GFX90A:ACCUM_OFFSET: 16
; COMPUTE_PGM_RSRC3_GFX90A:TG_SPLIT: 0
	.section	.text._ZN7rocprim17ROCPRIM_400000_NS6detail17trampoline_kernelINS0_14default_configENS1_25partition_config_selectorILNS1_17partition_subalgoE1EiNS0_10empty_typeEbEEZZNS1_14partition_implILS5_1ELb0ES3_jN6thrust23THRUST_200600_302600_NS6detail15normal_iteratorINSA_10device_ptrIiEEEEPS6_NSA_18transform_iteratorI7is_evenIiESF_NSA_11use_defaultESK_EENS0_5tupleIJSF_NSA_16discard_iteratorISK_EEEEENSM_IJSG_SG_EEES6_PlJS6_EEE10hipError_tPvRmT3_T4_T5_T6_T7_T9_mT8_P12ihipStream_tbDpT10_ENKUlT_T0_E_clISt17integral_constantIbLb0EES1A_IbLb1EEEEDaS16_S17_EUlS16_E_NS1_11comp_targetILNS1_3genE4ELNS1_11target_archE910ELNS1_3gpuE8ELNS1_3repE0EEENS1_30default_config_static_selectorELNS0_4arch9wavefront6targetE1EEEvT1_,"axG",@progbits,_ZN7rocprim17ROCPRIM_400000_NS6detail17trampoline_kernelINS0_14default_configENS1_25partition_config_selectorILNS1_17partition_subalgoE1EiNS0_10empty_typeEbEEZZNS1_14partition_implILS5_1ELb0ES3_jN6thrust23THRUST_200600_302600_NS6detail15normal_iteratorINSA_10device_ptrIiEEEEPS6_NSA_18transform_iteratorI7is_evenIiESF_NSA_11use_defaultESK_EENS0_5tupleIJSF_NSA_16discard_iteratorISK_EEEEENSM_IJSG_SG_EEES6_PlJS6_EEE10hipError_tPvRmT3_T4_T5_T6_T7_T9_mT8_P12ihipStream_tbDpT10_ENKUlT_T0_E_clISt17integral_constantIbLb0EES1A_IbLb1EEEEDaS16_S17_EUlS16_E_NS1_11comp_targetILNS1_3genE4ELNS1_11target_archE910ELNS1_3gpuE8ELNS1_3repE0EEENS1_30default_config_static_selectorELNS0_4arch9wavefront6targetE1EEEvT1_,comdat
	.protected	_ZN7rocprim17ROCPRIM_400000_NS6detail17trampoline_kernelINS0_14default_configENS1_25partition_config_selectorILNS1_17partition_subalgoE1EiNS0_10empty_typeEbEEZZNS1_14partition_implILS5_1ELb0ES3_jN6thrust23THRUST_200600_302600_NS6detail15normal_iteratorINSA_10device_ptrIiEEEEPS6_NSA_18transform_iteratorI7is_evenIiESF_NSA_11use_defaultESK_EENS0_5tupleIJSF_NSA_16discard_iteratorISK_EEEEENSM_IJSG_SG_EEES6_PlJS6_EEE10hipError_tPvRmT3_T4_T5_T6_T7_T9_mT8_P12ihipStream_tbDpT10_ENKUlT_T0_E_clISt17integral_constantIbLb0EES1A_IbLb1EEEEDaS16_S17_EUlS16_E_NS1_11comp_targetILNS1_3genE4ELNS1_11target_archE910ELNS1_3gpuE8ELNS1_3repE0EEENS1_30default_config_static_selectorELNS0_4arch9wavefront6targetE1EEEvT1_ ; -- Begin function _ZN7rocprim17ROCPRIM_400000_NS6detail17trampoline_kernelINS0_14default_configENS1_25partition_config_selectorILNS1_17partition_subalgoE1EiNS0_10empty_typeEbEEZZNS1_14partition_implILS5_1ELb0ES3_jN6thrust23THRUST_200600_302600_NS6detail15normal_iteratorINSA_10device_ptrIiEEEEPS6_NSA_18transform_iteratorI7is_evenIiESF_NSA_11use_defaultESK_EENS0_5tupleIJSF_NSA_16discard_iteratorISK_EEEEENSM_IJSG_SG_EEES6_PlJS6_EEE10hipError_tPvRmT3_T4_T5_T6_T7_T9_mT8_P12ihipStream_tbDpT10_ENKUlT_T0_E_clISt17integral_constantIbLb0EES1A_IbLb1EEEEDaS16_S17_EUlS16_E_NS1_11comp_targetILNS1_3genE4ELNS1_11target_archE910ELNS1_3gpuE8ELNS1_3repE0EEENS1_30default_config_static_selectorELNS0_4arch9wavefront6targetE1EEEvT1_
	.globl	_ZN7rocprim17ROCPRIM_400000_NS6detail17trampoline_kernelINS0_14default_configENS1_25partition_config_selectorILNS1_17partition_subalgoE1EiNS0_10empty_typeEbEEZZNS1_14partition_implILS5_1ELb0ES3_jN6thrust23THRUST_200600_302600_NS6detail15normal_iteratorINSA_10device_ptrIiEEEEPS6_NSA_18transform_iteratorI7is_evenIiESF_NSA_11use_defaultESK_EENS0_5tupleIJSF_NSA_16discard_iteratorISK_EEEEENSM_IJSG_SG_EEES6_PlJS6_EEE10hipError_tPvRmT3_T4_T5_T6_T7_T9_mT8_P12ihipStream_tbDpT10_ENKUlT_T0_E_clISt17integral_constantIbLb0EES1A_IbLb1EEEEDaS16_S17_EUlS16_E_NS1_11comp_targetILNS1_3genE4ELNS1_11target_archE910ELNS1_3gpuE8ELNS1_3repE0EEENS1_30default_config_static_selectorELNS0_4arch9wavefront6targetE1EEEvT1_
	.p2align	8
	.type	_ZN7rocprim17ROCPRIM_400000_NS6detail17trampoline_kernelINS0_14default_configENS1_25partition_config_selectorILNS1_17partition_subalgoE1EiNS0_10empty_typeEbEEZZNS1_14partition_implILS5_1ELb0ES3_jN6thrust23THRUST_200600_302600_NS6detail15normal_iteratorINSA_10device_ptrIiEEEEPS6_NSA_18transform_iteratorI7is_evenIiESF_NSA_11use_defaultESK_EENS0_5tupleIJSF_NSA_16discard_iteratorISK_EEEEENSM_IJSG_SG_EEES6_PlJS6_EEE10hipError_tPvRmT3_T4_T5_T6_T7_T9_mT8_P12ihipStream_tbDpT10_ENKUlT_T0_E_clISt17integral_constantIbLb0EES1A_IbLb1EEEEDaS16_S17_EUlS16_E_NS1_11comp_targetILNS1_3genE4ELNS1_11target_archE910ELNS1_3gpuE8ELNS1_3repE0EEENS1_30default_config_static_selectorELNS0_4arch9wavefront6targetE1EEEvT1_,@function
_ZN7rocprim17ROCPRIM_400000_NS6detail17trampoline_kernelINS0_14default_configENS1_25partition_config_selectorILNS1_17partition_subalgoE1EiNS0_10empty_typeEbEEZZNS1_14partition_implILS5_1ELb0ES3_jN6thrust23THRUST_200600_302600_NS6detail15normal_iteratorINSA_10device_ptrIiEEEEPS6_NSA_18transform_iteratorI7is_evenIiESF_NSA_11use_defaultESK_EENS0_5tupleIJSF_NSA_16discard_iteratorISK_EEEEENSM_IJSG_SG_EEES6_PlJS6_EEE10hipError_tPvRmT3_T4_T5_T6_T7_T9_mT8_P12ihipStream_tbDpT10_ENKUlT_T0_E_clISt17integral_constantIbLb0EES1A_IbLb1EEEEDaS16_S17_EUlS16_E_NS1_11comp_targetILNS1_3genE4ELNS1_11target_archE910ELNS1_3gpuE8ELNS1_3repE0EEENS1_30default_config_static_selectorELNS0_4arch9wavefront6targetE1EEEvT1_: ; @_ZN7rocprim17ROCPRIM_400000_NS6detail17trampoline_kernelINS0_14default_configENS1_25partition_config_selectorILNS1_17partition_subalgoE1EiNS0_10empty_typeEbEEZZNS1_14partition_implILS5_1ELb0ES3_jN6thrust23THRUST_200600_302600_NS6detail15normal_iteratorINSA_10device_ptrIiEEEEPS6_NSA_18transform_iteratorI7is_evenIiESF_NSA_11use_defaultESK_EENS0_5tupleIJSF_NSA_16discard_iteratorISK_EEEEENSM_IJSG_SG_EEES6_PlJS6_EEE10hipError_tPvRmT3_T4_T5_T6_T7_T9_mT8_P12ihipStream_tbDpT10_ENKUlT_T0_E_clISt17integral_constantIbLb0EES1A_IbLb1EEEEDaS16_S17_EUlS16_E_NS1_11comp_targetILNS1_3genE4ELNS1_11target_archE910ELNS1_3gpuE8ELNS1_3repE0EEENS1_30default_config_static_selectorELNS0_4arch9wavefront6targetE1EEEvT1_
; %bb.0:
	.section	.rodata,"a",@progbits
	.p2align	6, 0x0
	.amdhsa_kernel _ZN7rocprim17ROCPRIM_400000_NS6detail17trampoline_kernelINS0_14default_configENS1_25partition_config_selectorILNS1_17partition_subalgoE1EiNS0_10empty_typeEbEEZZNS1_14partition_implILS5_1ELb0ES3_jN6thrust23THRUST_200600_302600_NS6detail15normal_iteratorINSA_10device_ptrIiEEEEPS6_NSA_18transform_iteratorI7is_evenIiESF_NSA_11use_defaultESK_EENS0_5tupleIJSF_NSA_16discard_iteratorISK_EEEEENSM_IJSG_SG_EEES6_PlJS6_EEE10hipError_tPvRmT3_T4_T5_T6_T7_T9_mT8_P12ihipStream_tbDpT10_ENKUlT_T0_E_clISt17integral_constantIbLb0EES1A_IbLb1EEEEDaS16_S17_EUlS16_E_NS1_11comp_targetILNS1_3genE4ELNS1_11target_archE910ELNS1_3gpuE8ELNS1_3repE0EEENS1_30default_config_static_selectorELNS0_4arch9wavefront6targetE1EEEvT1_
		.amdhsa_group_segment_fixed_size 0
		.amdhsa_private_segment_fixed_size 0
		.amdhsa_kernarg_size 152
		.amdhsa_user_sgpr_count 2
		.amdhsa_user_sgpr_dispatch_ptr 0
		.amdhsa_user_sgpr_queue_ptr 0
		.amdhsa_user_sgpr_kernarg_segment_ptr 1
		.amdhsa_user_sgpr_dispatch_id 0
		.amdhsa_user_sgpr_kernarg_preload_length 0
		.amdhsa_user_sgpr_kernarg_preload_offset 0
		.amdhsa_user_sgpr_private_segment_size 0
		.amdhsa_uses_dynamic_stack 0
		.amdhsa_enable_private_segment 0
		.amdhsa_system_sgpr_workgroup_id_x 1
		.amdhsa_system_sgpr_workgroup_id_y 0
		.amdhsa_system_sgpr_workgroup_id_z 0
		.amdhsa_system_sgpr_workgroup_info 0
		.amdhsa_system_vgpr_workitem_id 0
		.amdhsa_next_free_vgpr 1
		.amdhsa_next_free_sgpr 0
		.amdhsa_accum_offset 4
		.amdhsa_reserve_vcc 0
		.amdhsa_float_round_mode_32 0
		.amdhsa_float_round_mode_16_64 0
		.amdhsa_float_denorm_mode_32 3
		.amdhsa_float_denorm_mode_16_64 3
		.amdhsa_dx10_clamp 1
		.amdhsa_ieee_mode 1
		.amdhsa_fp16_overflow 0
		.amdhsa_tg_split 0
		.amdhsa_exception_fp_ieee_invalid_op 0
		.amdhsa_exception_fp_denorm_src 0
		.amdhsa_exception_fp_ieee_div_zero 0
		.amdhsa_exception_fp_ieee_overflow 0
		.amdhsa_exception_fp_ieee_underflow 0
		.amdhsa_exception_fp_ieee_inexact 0
		.amdhsa_exception_int_div_zero 0
	.end_amdhsa_kernel
	.section	.text._ZN7rocprim17ROCPRIM_400000_NS6detail17trampoline_kernelINS0_14default_configENS1_25partition_config_selectorILNS1_17partition_subalgoE1EiNS0_10empty_typeEbEEZZNS1_14partition_implILS5_1ELb0ES3_jN6thrust23THRUST_200600_302600_NS6detail15normal_iteratorINSA_10device_ptrIiEEEEPS6_NSA_18transform_iteratorI7is_evenIiESF_NSA_11use_defaultESK_EENS0_5tupleIJSF_NSA_16discard_iteratorISK_EEEEENSM_IJSG_SG_EEES6_PlJS6_EEE10hipError_tPvRmT3_T4_T5_T6_T7_T9_mT8_P12ihipStream_tbDpT10_ENKUlT_T0_E_clISt17integral_constantIbLb0EES1A_IbLb1EEEEDaS16_S17_EUlS16_E_NS1_11comp_targetILNS1_3genE4ELNS1_11target_archE910ELNS1_3gpuE8ELNS1_3repE0EEENS1_30default_config_static_selectorELNS0_4arch9wavefront6targetE1EEEvT1_,"axG",@progbits,_ZN7rocprim17ROCPRIM_400000_NS6detail17trampoline_kernelINS0_14default_configENS1_25partition_config_selectorILNS1_17partition_subalgoE1EiNS0_10empty_typeEbEEZZNS1_14partition_implILS5_1ELb0ES3_jN6thrust23THRUST_200600_302600_NS6detail15normal_iteratorINSA_10device_ptrIiEEEEPS6_NSA_18transform_iteratorI7is_evenIiESF_NSA_11use_defaultESK_EENS0_5tupleIJSF_NSA_16discard_iteratorISK_EEEEENSM_IJSG_SG_EEES6_PlJS6_EEE10hipError_tPvRmT3_T4_T5_T6_T7_T9_mT8_P12ihipStream_tbDpT10_ENKUlT_T0_E_clISt17integral_constantIbLb0EES1A_IbLb1EEEEDaS16_S17_EUlS16_E_NS1_11comp_targetILNS1_3genE4ELNS1_11target_archE910ELNS1_3gpuE8ELNS1_3repE0EEENS1_30default_config_static_selectorELNS0_4arch9wavefront6targetE1EEEvT1_,comdat
.Lfunc_end3317:
	.size	_ZN7rocprim17ROCPRIM_400000_NS6detail17trampoline_kernelINS0_14default_configENS1_25partition_config_selectorILNS1_17partition_subalgoE1EiNS0_10empty_typeEbEEZZNS1_14partition_implILS5_1ELb0ES3_jN6thrust23THRUST_200600_302600_NS6detail15normal_iteratorINSA_10device_ptrIiEEEEPS6_NSA_18transform_iteratorI7is_evenIiESF_NSA_11use_defaultESK_EENS0_5tupleIJSF_NSA_16discard_iteratorISK_EEEEENSM_IJSG_SG_EEES6_PlJS6_EEE10hipError_tPvRmT3_T4_T5_T6_T7_T9_mT8_P12ihipStream_tbDpT10_ENKUlT_T0_E_clISt17integral_constantIbLb0EES1A_IbLb1EEEEDaS16_S17_EUlS16_E_NS1_11comp_targetILNS1_3genE4ELNS1_11target_archE910ELNS1_3gpuE8ELNS1_3repE0EEENS1_30default_config_static_selectorELNS0_4arch9wavefront6targetE1EEEvT1_, .Lfunc_end3317-_ZN7rocprim17ROCPRIM_400000_NS6detail17trampoline_kernelINS0_14default_configENS1_25partition_config_selectorILNS1_17partition_subalgoE1EiNS0_10empty_typeEbEEZZNS1_14partition_implILS5_1ELb0ES3_jN6thrust23THRUST_200600_302600_NS6detail15normal_iteratorINSA_10device_ptrIiEEEEPS6_NSA_18transform_iteratorI7is_evenIiESF_NSA_11use_defaultESK_EENS0_5tupleIJSF_NSA_16discard_iteratorISK_EEEEENSM_IJSG_SG_EEES6_PlJS6_EEE10hipError_tPvRmT3_T4_T5_T6_T7_T9_mT8_P12ihipStream_tbDpT10_ENKUlT_T0_E_clISt17integral_constantIbLb0EES1A_IbLb1EEEEDaS16_S17_EUlS16_E_NS1_11comp_targetILNS1_3genE4ELNS1_11target_archE910ELNS1_3gpuE8ELNS1_3repE0EEENS1_30default_config_static_selectorELNS0_4arch9wavefront6targetE1EEEvT1_
                                        ; -- End function
	.section	.AMDGPU.csdata,"",@progbits
; Kernel info:
; codeLenInByte = 0
; NumSgprs: 6
; NumVgprs: 0
; NumAgprs: 0
; TotalNumVgprs: 0
; ScratchSize: 0
; MemoryBound: 0
; FloatMode: 240
; IeeeMode: 1
; LDSByteSize: 0 bytes/workgroup (compile time only)
; SGPRBlocks: 0
; VGPRBlocks: 0
; NumSGPRsForWavesPerEU: 6
; NumVGPRsForWavesPerEU: 1
; AccumOffset: 4
; Occupancy: 8
; WaveLimiterHint : 0
; COMPUTE_PGM_RSRC2:SCRATCH_EN: 0
; COMPUTE_PGM_RSRC2:USER_SGPR: 2
; COMPUTE_PGM_RSRC2:TRAP_HANDLER: 0
; COMPUTE_PGM_RSRC2:TGID_X_EN: 1
; COMPUTE_PGM_RSRC2:TGID_Y_EN: 0
; COMPUTE_PGM_RSRC2:TGID_Z_EN: 0
; COMPUTE_PGM_RSRC2:TIDIG_COMP_CNT: 0
; COMPUTE_PGM_RSRC3_GFX90A:ACCUM_OFFSET: 0
; COMPUTE_PGM_RSRC3_GFX90A:TG_SPLIT: 0
	.section	.text._ZN7rocprim17ROCPRIM_400000_NS6detail17trampoline_kernelINS0_14default_configENS1_25partition_config_selectorILNS1_17partition_subalgoE1EiNS0_10empty_typeEbEEZZNS1_14partition_implILS5_1ELb0ES3_jN6thrust23THRUST_200600_302600_NS6detail15normal_iteratorINSA_10device_ptrIiEEEEPS6_NSA_18transform_iteratorI7is_evenIiESF_NSA_11use_defaultESK_EENS0_5tupleIJSF_NSA_16discard_iteratorISK_EEEEENSM_IJSG_SG_EEES6_PlJS6_EEE10hipError_tPvRmT3_T4_T5_T6_T7_T9_mT8_P12ihipStream_tbDpT10_ENKUlT_T0_E_clISt17integral_constantIbLb0EES1A_IbLb1EEEEDaS16_S17_EUlS16_E_NS1_11comp_targetILNS1_3genE3ELNS1_11target_archE908ELNS1_3gpuE7ELNS1_3repE0EEENS1_30default_config_static_selectorELNS0_4arch9wavefront6targetE1EEEvT1_,"axG",@progbits,_ZN7rocprim17ROCPRIM_400000_NS6detail17trampoline_kernelINS0_14default_configENS1_25partition_config_selectorILNS1_17partition_subalgoE1EiNS0_10empty_typeEbEEZZNS1_14partition_implILS5_1ELb0ES3_jN6thrust23THRUST_200600_302600_NS6detail15normal_iteratorINSA_10device_ptrIiEEEEPS6_NSA_18transform_iteratorI7is_evenIiESF_NSA_11use_defaultESK_EENS0_5tupleIJSF_NSA_16discard_iteratorISK_EEEEENSM_IJSG_SG_EEES6_PlJS6_EEE10hipError_tPvRmT3_T4_T5_T6_T7_T9_mT8_P12ihipStream_tbDpT10_ENKUlT_T0_E_clISt17integral_constantIbLb0EES1A_IbLb1EEEEDaS16_S17_EUlS16_E_NS1_11comp_targetILNS1_3genE3ELNS1_11target_archE908ELNS1_3gpuE7ELNS1_3repE0EEENS1_30default_config_static_selectorELNS0_4arch9wavefront6targetE1EEEvT1_,comdat
	.protected	_ZN7rocprim17ROCPRIM_400000_NS6detail17trampoline_kernelINS0_14default_configENS1_25partition_config_selectorILNS1_17partition_subalgoE1EiNS0_10empty_typeEbEEZZNS1_14partition_implILS5_1ELb0ES3_jN6thrust23THRUST_200600_302600_NS6detail15normal_iteratorINSA_10device_ptrIiEEEEPS6_NSA_18transform_iteratorI7is_evenIiESF_NSA_11use_defaultESK_EENS0_5tupleIJSF_NSA_16discard_iteratorISK_EEEEENSM_IJSG_SG_EEES6_PlJS6_EEE10hipError_tPvRmT3_T4_T5_T6_T7_T9_mT8_P12ihipStream_tbDpT10_ENKUlT_T0_E_clISt17integral_constantIbLb0EES1A_IbLb1EEEEDaS16_S17_EUlS16_E_NS1_11comp_targetILNS1_3genE3ELNS1_11target_archE908ELNS1_3gpuE7ELNS1_3repE0EEENS1_30default_config_static_selectorELNS0_4arch9wavefront6targetE1EEEvT1_ ; -- Begin function _ZN7rocprim17ROCPRIM_400000_NS6detail17trampoline_kernelINS0_14default_configENS1_25partition_config_selectorILNS1_17partition_subalgoE1EiNS0_10empty_typeEbEEZZNS1_14partition_implILS5_1ELb0ES3_jN6thrust23THRUST_200600_302600_NS6detail15normal_iteratorINSA_10device_ptrIiEEEEPS6_NSA_18transform_iteratorI7is_evenIiESF_NSA_11use_defaultESK_EENS0_5tupleIJSF_NSA_16discard_iteratorISK_EEEEENSM_IJSG_SG_EEES6_PlJS6_EEE10hipError_tPvRmT3_T4_T5_T6_T7_T9_mT8_P12ihipStream_tbDpT10_ENKUlT_T0_E_clISt17integral_constantIbLb0EES1A_IbLb1EEEEDaS16_S17_EUlS16_E_NS1_11comp_targetILNS1_3genE3ELNS1_11target_archE908ELNS1_3gpuE7ELNS1_3repE0EEENS1_30default_config_static_selectorELNS0_4arch9wavefront6targetE1EEEvT1_
	.globl	_ZN7rocprim17ROCPRIM_400000_NS6detail17trampoline_kernelINS0_14default_configENS1_25partition_config_selectorILNS1_17partition_subalgoE1EiNS0_10empty_typeEbEEZZNS1_14partition_implILS5_1ELb0ES3_jN6thrust23THRUST_200600_302600_NS6detail15normal_iteratorINSA_10device_ptrIiEEEEPS6_NSA_18transform_iteratorI7is_evenIiESF_NSA_11use_defaultESK_EENS0_5tupleIJSF_NSA_16discard_iteratorISK_EEEEENSM_IJSG_SG_EEES6_PlJS6_EEE10hipError_tPvRmT3_T4_T5_T6_T7_T9_mT8_P12ihipStream_tbDpT10_ENKUlT_T0_E_clISt17integral_constantIbLb0EES1A_IbLb1EEEEDaS16_S17_EUlS16_E_NS1_11comp_targetILNS1_3genE3ELNS1_11target_archE908ELNS1_3gpuE7ELNS1_3repE0EEENS1_30default_config_static_selectorELNS0_4arch9wavefront6targetE1EEEvT1_
	.p2align	8
	.type	_ZN7rocprim17ROCPRIM_400000_NS6detail17trampoline_kernelINS0_14default_configENS1_25partition_config_selectorILNS1_17partition_subalgoE1EiNS0_10empty_typeEbEEZZNS1_14partition_implILS5_1ELb0ES3_jN6thrust23THRUST_200600_302600_NS6detail15normal_iteratorINSA_10device_ptrIiEEEEPS6_NSA_18transform_iteratorI7is_evenIiESF_NSA_11use_defaultESK_EENS0_5tupleIJSF_NSA_16discard_iteratorISK_EEEEENSM_IJSG_SG_EEES6_PlJS6_EEE10hipError_tPvRmT3_T4_T5_T6_T7_T9_mT8_P12ihipStream_tbDpT10_ENKUlT_T0_E_clISt17integral_constantIbLb0EES1A_IbLb1EEEEDaS16_S17_EUlS16_E_NS1_11comp_targetILNS1_3genE3ELNS1_11target_archE908ELNS1_3gpuE7ELNS1_3repE0EEENS1_30default_config_static_selectorELNS0_4arch9wavefront6targetE1EEEvT1_,@function
_ZN7rocprim17ROCPRIM_400000_NS6detail17trampoline_kernelINS0_14default_configENS1_25partition_config_selectorILNS1_17partition_subalgoE1EiNS0_10empty_typeEbEEZZNS1_14partition_implILS5_1ELb0ES3_jN6thrust23THRUST_200600_302600_NS6detail15normal_iteratorINSA_10device_ptrIiEEEEPS6_NSA_18transform_iteratorI7is_evenIiESF_NSA_11use_defaultESK_EENS0_5tupleIJSF_NSA_16discard_iteratorISK_EEEEENSM_IJSG_SG_EEES6_PlJS6_EEE10hipError_tPvRmT3_T4_T5_T6_T7_T9_mT8_P12ihipStream_tbDpT10_ENKUlT_T0_E_clISt17integral_constantIbLb0EES1A_IbLb1EEEEDaS16_S17_EUlS16_E_NS1_11comp_targetILNS1_3genE3ELNS1_11target_archE908ELNS1_3gpuE7ELNS1_3repE0EEENS1_30default_config_static_selectorELNS0_4arch9wavefront6targetE1EEEvT1_: ; @_ZN7rocprim17ROCPRIM_400000_NS6detail17trampoline_kernelINS0_14default_configENS1_25partition_config_selectorILNS1_17partition_subalgoE1EiNS0_10empty_typeEbEEZZNS1_14partition_implILS5_1ELb0ES3_jN6thrust23THRUST_200600_302600_NS6detail15normal_iteratorINSA_10device_ptrIiEEEEPS6_NSA_18transform_iteratorI7is_evenIiESF_NSA_11use_defaultESK_EENS0_5tupleIJSF_NSA_16discard_iteratorISK_EEEEENSM_IJSG_SG_EEES6_PlJS6_EEE10hipError_tPvRmT3_T4_T5_T6_T7_T9_mT8_P12ihipStream_tbDpT10_ENKUlT_T0_E_clISt17integral_constantIbLb0EES1A_IbLb1EEEEDaS16_S17_EUlS16_E_NS1_11comp_targetILNS1_3genE3ELNS1_11target_archE908ELNS1_3gpuE7ELNS1_3repE0EEENS1_30default_config_static_selectorELNS0_4arch9wavefront6targetE1EEEvT1_
; %bb.0:
	.section	.rodata,"a",@progbits
	.p2align	6, 0x0
	.amdhsa_kernel _ZN7rocprim17ROCPRIM_400000_NS6detail17trampoline_kernelINS0_14default_configENS1_25partition_config_selectorILNS1_17partition_subalgoE1EiNS0_10empty_typeEbEEZZNS1_14partition_implILS5_1ELb0ES3_jN6thrust23THRUST_200600_302600_NS6detail15normal_iteratorINSA_10device_ptrIiEEEEPS6_NSA_18transform_iteratorI7is_evenIiESF_NSA_11use_defaultESK_EENS0_5tupleIJSF_NSA_16discard_iteratorISK_EEEEENSM_IJSG_SG_EEES6_PlJS6_EEE10hipError_tPvRmT3_T4_T5_T6_T7_T9_mT8_P12ihipStream_tbDpT10_ENKUlT_T0_E_clISt17integral_constantIbLb0EES1A_IbLb1EEEEDaS16_S17_EUlS16_E_NS1_11comp_targetILNS1_3genE3ELNS1_11target_archE908ELNS1_3gpuE7ELNS1_3repE0EEENS1_30default_config_static_selectorELNS0_4arch9wavefront6targetE1EEEvT1_
		.amdhsa_group_segment_fixed_size 0
		.amdhsa_private_segment_fixed_size 0
		.amdhsa_kernarg_size 152
		.amdhsa_user_sgpr_count 2
		.amdhsa_user_sgpr_dispatch_ptr 0
		.amdhsa_user_sgpr_queue_ptr 0
		.amdhsa_user_sgpr_kernarg_segment_ptr 1
		.amdhsa_user_sgpr_dispatch_id 0
		.amdhsa_user_sgpr_kernarg_preload_length 0
		.amdhsa_user_sgpr_kernarg_preload_offset 0
		.amdhsa_user_sgpr_private_segment_size 0
		.amdhsa_uses_dynamic_stack 0
		.amdhsa_enable_private_segment 0
		.amdhsa_system_sgpr_workgroup_id_x 1
		.amdhsa_system_sgpr_workgroup_id_y 0
		.amdhsa_system_sgpr_workgroup_id_z 0
		.amdhsa_system_sgpr_workgroup_info 0
		.amdhsa_system_vgpr_workitem_id 0
		.amdhsa_next_free_vgpr 1
		.amdhsa_next_free_sgpr 0
		.amdhsa_accum_offset 4
		.amdhsa_reserve_vcc 0
		.amdhsa_float_round_mode_32 0
		.amdhsa_float_round_mode_16_64 0
		.amdhsa_float_denorm_mode_32 3
		.amdhsa_float_denorm_mode_16_64 3
		.amdhsa_dx10_clamp 1
		.amdhsa_ieee_mode 1
		.amdhsa_fp16_overflow 0
		.amdhsa_tg_split 0
		.amdhsa_exception_fp_ieee_invalid_op 0
		.amdhsa_exception_fp_denorm_src 0
		.amdhsa_exception_fp_ieee_div_zero 0
		.amdhsa_exception_fp_ieee_overflow 0
		.amdhsa_exception_fp_ieee_underflow 0
		.amdhsa_exception_fp_ieee_inexact 0
		.amdhsa_exception_int_div_zero 0
	.end_amdhsa_kernel
	.section	.text._ZN7rocprim17ROCPRIM_400000_NS6detail17trampoline_kernelINS0_14default_configENS1_25partition_config_selectorILNS1_17partition_subalgoE1EiNS0_10empty_typeEbEEZZNS1_14partition_implILS5_1ELb0ES3_jN6thrust23THRUST_200600_302600_NS6detail15normal_iteratorINSA_10device_ptrIiEEEEPS6_NSA_18transform_iteratorI7is_evenIiESF_NSA_11use_defaultESK_EENS0_5tupleIJSF_NSA_16discard_iteratorISK_EEEEENSM_IJSG_SG_EEES6_PlJS6_EEE10hipError_tPvRmT3_T4_T5_T6_T7_T9_mT8_P12ihipStream_tbDpT10_ENKUlT_T0_E_clISt17integral_constantIbLb0EES1A_IbLb1EEEEDaS16_S17_EUlS16_E_NS1_11comp_targetILNS1_3genE3ELNS1_11target_archE908ELNS1_3gpuE7ELNS1_3repE0EEENS1_30default_config_static_selectorELNS0_4arch9wavefront6targetE1EEEvT1_,"axG",@progbits,_ZN7rocprim17ROCPRIM_400000_NS6detail17trampoline_kernelINS0_14default_configENS1_25partition_config_selectorILNS1_17partition_subalgoE1EiNS0_10empty_typeEbEEZZNS1_14partition_implILS5_1ELb0ES3_jN6thrust23THRUST_200600_302600_NS6detail15normal_iteratorINSA_10device_ptrIiEEEEPS6_NSA_18transform_iteratorI7is_evenIiESF_NSA_11use_defaultESK_EENS0_5tupleIJSF_NSA_16discard_iteratorISK_EEEEENSM_IJSG_SG_EEES6_PlJS6_EEE10hipError_tPvRmT3_T4_T5_T6_T7_T9_mT8_P12ihipStream_tbDpT10_ENKUlT_T0_E_clISt17integral_constantIbLb0EES1A_IbLb1EEEEDaS16_S17_EUlS16_E_NS1_11comp_targetILNS1_3genE3ELNS1_11target_archE908ELNS1_3gpuE7ELNS1_3repE0EEENS1_30default_config_static_selectorELNS0_4arch9wavefront6targetE1EEEvT1_,comdat
.Lfunc_end3318:
	.size	_ZN7rocprim17ROCPRIM_400000_NS6detail17trampoline_kernelINS0_14default_configENS1_25partition_config_selectorILNS1_17partition_subalgoE1EiNS0_10empty_typeEbEEZZNS1_14partition_implILS5_1ELb0ES3_jN6thrust23THRUST_200600_302600_NS6detail15normal_iteratorINSA_10device_ptrIiEEEEPS6_NSA_18transform_iteratorI7is_evenIiESF_NSA_11use_defaultESK_EENS0_5tupleIJSF_NSA_16discard_iteratorISK_EEEEENSM_IJSG_SG_EEES6_PlJS6_EEE10hipError_tPvRmT3_T4_T5_T6_T7_T9_mT8_P12ihipStream_tbDpT10_ENKUlT_T0_E_clISt17integral_constantIbLb0EES1A_IbLb1EEEEDaS16_S17_EUlS16_E_NS1_11comp_targetILNS1_3genE3ELNS1_11target_archE908ELNS1_3gpuE7ELNS1_3repE0EEENS1_30default_config_static_selectorELNS0_4arch9wavefront6targetE1EEEvT1_, .Lfunc_end3318-_ZN7rocprim17ROCPRIM_400000_NS6detail17trampoline_kernelINS0_14default_configENS1_25partition_config_selectorILNS1_17partition_subalgoE1EiNS0_10empty_typeEbEEZZNS1_14partition_implILS5_1ELb0ES3_jN6thrust23THRUST_200600_302600_NS6detail15normal_iteratorINSA_10device_ptrIiEEEEPS6_NSA_18transform_iteratorI7is_evenIiESF_NSA_11use_defaultESK_EENS0_5tupleIJSF_NSA_16discard_iteratorISK_EEEEENSM_IJSG_SG_EEES6_PlJS6_EEE10hipError_tPvRmT3_T4_T5_T6_T7_T9_mT8_P12ihipStream_tbDpT10_ENKUlT_T0_E_clISt17integral_constantIbLb0EES1A_IbLb1EEEEDaS16_S17_EUlS16_E_NS1_11comp_targetILNS1_3genE3ELNS1_11target_archE908ELNS1_3gpuE7ELNS1_3repE0EEENS1_30default_config_static_selectorELNS0_4arch9wavefront6targetE1EEEvT1_
                                        ; -- End function
	.section	.AMDGPU.csdata,"",@progbits
; Kernel info:
; codeLenInByte = 0
; NumSgprs: 6
; NumVgprs: 0
; NumAgprs: 0
; TotalNumVgprs: 0
; ScratchSize: 0
; MemoryBound: 0
; FloatMode: 240
; IeeeMode: 1
; LDSByteSize: 0 bytes/workgroup (compile time only)
; SGPRBlocks: 0
; VGPRBlocks: 0
; NumSGPRsForWavesPerEU: 6
; NumVGPRsForWavesPerEU: 1
; AccumOffset: 4
; Occupancy: 8
; WaveLimiterHint : 0
; COMPUTE_PGM_RSRC2:SCRATCH_EN: 0
; COMPUTE_PGM_RSRC2:USER_SGPR: 2
; COMPUTE_PGM_RSRC2:TRAP_HANDLER: 0
; COMPUTE_PGM_RSRC2:TGID_X_EN: 1
; COMPUTE_PGM_RSRC2:TGID_Y_EN: 0
; COMPUTE_PGM_RSRC2:TGID_Z_EN: 0
; COMPUTE_PGM_RSRC2:TIDIG_COMP_CNT: 0
; COMPUTE_PGM_RSRC3_GFX90A:ACCUM_OFFSET: 0
; COMPUTE_PGM_RSRC3_GFX90A:TG_SPLIT: 0
	.section	.text._ZN7rocprim17ROCPRIM_400000_NS6detail17trampoline_kernelINS0_14default_configENS1_25partition_config_selectorILNS1_17partition_subalgoE1EiNS0_10empty_typeEbEEZZNS1_14partition_implILS5_1ELb0ES3_jN6thrust23THRUST_200600_302600_NS6detail15normal_iteratorINSA_10device_ptrIiEEEEPS6_NSA_18transform_iteratorI7is_evenIiESF_NSA_11use_defaultESK_EENS0_5tupleIJSF_NSA_16discard_iteratorISK_EEEEENSM_IJSG_SG_EEES6_PlJS6_EEE10hipError_tPvRmT3_T4_T5_T6_T7_T9_mT8_P12ihipStream_tbDpT10_ENKUlT_T0_E_clISt17integral_constantIbLb0EES1A_IbLb1EEEEDaS16_S17_EUlS16_E_NS1_11comp_targetILNS1_3genE2ELNS1_11target_archE906ELNS1_3gpuE6ELNS1_3repE0EEENS1_30default_config_static_selectorELNS0_4arch9wavefront6targetE1EEEvT1_,"axG",@progbits,_ZN7rocprim17ROCPRIM_400000_NS6detail17trampoline_kernelINS0_14default_configENS1_25partition_config_selectorILNS1_17partition_subalgoE1EiNS0_10empty_typeEbEEZZNS1_14partition_implILS5_1ELb0ES3_jN6thrust23THRUST_200600_302600_NS6detail15normal_iteratorINSA_10device_ptrIiEEEEPS6_NSA_18transform_iteratorI7is_evenIiESF_NSA_11use_defaultESK_EENS0_5tupleIJSF_NSA_16discard_iteratorISK_EEEEENSM_IJSG_SG_EEES6_PlJS6_EEE10hipError_tPvRmT3_T4_T5_T6_T7_T9_mT8_P12ihipStream_tbDpT10_ENKUlT_T0_E_clISt17integral_constantIbLb0EES1A_IbLb1EEEEDaS16_S17_EUlS16_E_NS1_11comp_targetILNS1_3genE2ELNS1_11target_archE906ELNS1_3gpuE6ELNS1_3repE0EEENS1_30default_config_static_selectorELNS0_4arch9wavefront6targetE1EEEvT1_,comdat
	.protected	_ZN7rocprim17ROCPRIM_400000_NS6detail17trampoline_kernelINS0_14default_configENS1_25partition_config_selectorILNS1_17partition_subalgoE1EiNS0_10empty_typeEbEEZZNS1_14partition_implILS5_1ELb0ES3_jN6thrust23THRUST_200600_302600_NS6detail15normal_iteratorINSA_10device_ptrIiEEEEPS6_NSA_18transform_iteratorI7is_evenIiESF_NSA_11use_defaultESK_EENS0_5tupleIJSF_NSA_16discard_iteratorISK_EEEEENSM_IJSG_SG_EEES6_PlJS6_EEE10hipError_tPvRmT3_T4_T5_T6_T7_T9_mT8_P12ihipStream_tbDpT10_ENKUlT_T0_E_clISt17integral_constantIbLb0EES1A_IbLb1EEEEDaS16_S17_EUlS16_E_NS1_11comp_targetILNS1_3genE2ELNS1_11target_archE906ELNS1_3gpuE6ELNS1_3repE0EEENS1_30default_config_static_selectorELNS0_4arch9wavefront6targetE1EEEvT1_ ; -- Begin function _ZN7rocprim17ROCPRIM_400000_NS6detail17trampoline_kernelINS0_14default_configENS1_25partition_config_selectorILNS1_17partition_subalgoE1EiNS0_10empty_typeEbEEZZNS1_14partition_implILS5_1ELb0ES3_jN6thrust23THRUST_200600_302600_NS6detail15normal_iteratorINSA_10device_ptrIiEEEEPS6_NSA_18transform_iteratorI7is_evenIiESF_NSA_11use_defaultESK_EENS0_5tupleIJSF_NSA_16discard_iteratorISK_EEEEENSM_IJSG_SG_EEES6_PlJS6_EEE10hipError_tPvRmT3_T4_T5_T6_T7_T9_mT8_P12ihipStream_tbDpT10_ENKUlT_T0_E_clISt17integral_constantIbLb0EES1A_IbLb1EEEEDaS16_S17_EUlS16_E_NS1_11comp_targetILNS1_3genE2ELNS1_11target_archE906ELNS1_3gpuE6ELNS1_3repE0EEENS1_30default_config_static_selectorELNS0_4arch9wavefront6targetE1EEEvT1_
	.globl	_ZN7rocprim17ROCPRIM_400000_NS6detail17trampoline_kernelINS0_14default_configENS1_25partition_config_selectorILNS1_17partition_subalgoE1EiNS0_10empty_typeEbEEZZNS1_14partition_implILS5_1ELb0ES3_jN6thrust23THRUST_200600_302600_NS6detail15normal_iteratorINSA_10device_ptrIiEEEEPS6_NSA_18transform_iteratorI7is_evenIiESF_NSA_11use_defaultESK_EENS0_5tupleIJSF_NSA_16discard_iteratorISK_EEEEENSM_IJSG_SG_EEES6_PlJS6_EEE10hipError_tPvRmT3_T4_T5_T6_T7_T9_mT8_P12ihipStream_tbDpT10_ENKUlT_T0_E_clISt17integral_constantIbLb0EES1A_IbLb1EEEEDaS16_S17_EUlS16_E_NS1_11comp_targetILNS1_3genE2ELNS1_11target_archE906ELNS1_3gpuE6ELNS1_3repE0EEENS1_30default_config_static_selectorELNS0_4arch9wavefront6targetE1EEEvT1_
	.p2align	8
	.type	_ZN7rocprim17ROCPRIM_400000_NS6detail17trampoline_kernelINS0_14default_configENS1_25partition_config_selectorILNS1_17partition_subalgoE1EiNS0_10empty_typeEbEEZZNS1_14partition_implILS5_1ELb0ES3_jN6thrust23THRUST_200600_302600_NS6detail15normal_iteratorINSA_10device_ptrIiEEEEPS6_NSA_18transform_iteratorI7is_evenIiESF_NSA_11use_defaultESK_EENS0_5tupleIJSF_NSA_16discard_iteratorISK_EEEEENSM_IJSG_SG_EEES6_PlJS6_EEE10hipError_tPvRmT3_T4_T5_T6_T7_T9_mT8_P12ihipStream_tbDpT10_ENKUlT_T0_E_clISt17integral_constantIbLb0EES1A_IbLb1EEEEDaS16_S17_EUlS16_E_NS1_11comp_targetILNS1_3genE2ELNS1_11target_archE906ELNS1_3gpuE6ELNS1_3repE0EEENS1_30default_config_static_selectorELNS0_4arch9wavefront6targetE1EEEvT1_,@function
_ZN7rocprim17ROCPRIM_400000_NS6detail17trampoline_kernelINS0_14default_configENS1_25partition_config_selectorILNS1_17partition_subalgoE1EiNS0_10empty_typeEbEEZZNS1_14partition_implILS5_1ELb0ES3_jN6thrust23THRUST_200600_302600_NS6detail15normal_iteratorINSA_10device_ptrIiEEEEPS6_NSA_18transform_iteratorI7is_evenIiESF_NSA_11use_defaultESK_EENS0_5tupleIJSF_NSA_16discard_iteratorISK_EEEEENSM_IJSG_SG_EEES6_PlJS6_EEE10hipError_tPvRmT3_T4_T5_T6_T7_T9_mT8_P12ihipStream_tbDpT10_ENKUlT_T0_E_clISt17integral_constantIbLb0EES1A_IbLb1EEEEDaS16_S17_EUlS16_E_NS1_11comp_targetILNS1_3genE2ELNS1_11target_archE906ELNS1_3gpuE6ELNS1_3repE0EEENS1_30default_config_static_selectorELNS0_4arch9wavefront6targetE1EEEvT1_: ; @_ZN7rocprim17ROCPRIM_400000_NS6detail17trampoline_kernelINS0_14default_configENS1_25partition_config_selectorILNS1_17partition_subalgoE1EiNS0_10empty_typeEbEEZZNS1_14partition_implILS5_1ELb0ES3_jN6thrust23THRUST_200600_302600_NS6detail15normal_iteratorINSA_10device_ptrIiEEEEPS6_NSA_18transform_iteratorI7is_evenIiESF_NSA_11use_defaultESK_EENS0_5tupleIJSF_NSA_16discard_iteratorISK_EEEEENSM_IJSG_SG_EEES6_PlJS6_EEE10hipError_tPvRmT3_T4_T5_T6_T7_T9_mT8_P12ihipStream_tbDpT10_ENKUlT_T0_E_clISt17integral_constantIbLb0EES1A_IbLb1EEEEDaS16_S17_EUlS16_E_NS1_11comp_targetILNS1_3genE2ELNS1_11target_archE906ELNS1_3gpuE6ELNS1_3repE0EEENS1_30default_config_static_selectorELNS0_4arch9wavefront6targetE1EEEvT1_
; %bb.0:
	.section	.rodata,"a",@progbits
	.p2align	6, 0x0
	.amdhsa_kernel _ZN7rocprim17ROCPRIM_400000_NS6detail17trampoline_kernelINS0_14default_configENS1_25partition_config_selectorILNS1_17partition_subalgoE1EiNS0_10empty_typeEbEEZZNS1_14partition_implILS5_1ELb0ES3_jN6thrust23THRUST_200600_302600_NS6detail15normal_iteratorINSA_10device_ptrIiEEEEPS6_NSA_18transform_iteratorI7is_evenIiESF_NSA_11use_defaultESK_EENS0_5tupleIJSF_NSA_16discard_iteratorISK_EEEEENSM_IJSG_SG_EEES6_PlJS6_EEE10hipError_tPvRmT3_T4_T5_T6_T7_T9_mT8_P12ihipStream_tbDpT10_ENKUlT_T0_E_clISt17integral_constantIbLb0EES1A_IbLb1EEEEDaS16_S17_EUlS16_E_NS1_11comp_targetILNS1_3genE2ELNS1_11target_archE906ELNS1_3gpuE6ELNS1_3repE0EEENS1_30default_config_static_selectorELNS0_4arch9wavefront6targetE1EEEvT1_
		.amdhsa_group_segment_fixed_size 0
		.amdhsa_private_segment_fixed_size 0
		.amdhsa_kernarg_size 152
		.amdhsa_user_sgpr_count 2
		.amdhsa_user_sgpr_dispatch_ptr 0
		.amdhsa_user_sgpr_queue_ptr 0
		.amdhsa_user_sgpr_kernarg_segment_ptr 1
		.amdhsa_user_sgpr_dispatch_id 0
		.amdhsa_user_sgpr_kernarg_preload_length 0
		.amdhsa_user_sgpr_kernarg_preload_offset 0
		.amdhsa_user_sgpr_private_segment_size 0
		.amdhsa_uses_dynamic_stack 0
		.amdhsa_enable_private_segment 0
		.amdhsa_system_sgpr_workgroup_id_x 1
		.amdhsa_system_sgpr_workgroup_id_y 0
		.amdhsa_system_sgpr_workgroup_id_z 0
		.amdhsa_system_sgpr_workgroup_info 0
		.amdhsa_system_vgpr_workitem_id 0
		.amdhsa_next_free_vgpr 1
		.amdhsa_next_free_sgpr 0
		.amdhsa_accum_offset 4
		.amdhsa_reserve_vcc 0
		.amdhsa_float_round_mode_32 0
		.amdhsa_float_round_mode_16_64 0
		.amdhsa_float_denorm_mode_32 3
		.amdhsa_float_denorm_mode_16_64 3
		.amdhsa_dx10_clamp 1
		.amdhsa_ieee_mode 1
		.amdhsa_fp16_overflow 0
		.amdhsa_tg_split 0
		.amdhsa_exception_fp_ieee_invalid_op 0
		.amdhsa_exception_fp_denorm_src 0
		.amdhsa_exception_fp_ieee_div_zero 0
		.amdhsa_exception_fp_ieee_overflow 0
		.amdhsa_exception_fp_ieee_underflow 0
		.amdhsa_exception_fp_ieee_inexact 0
		.amdhsa_exception_int_div_zero 0
	.end_amdhsa_kernel
	.section	.text._ZN7rocprim17ROCPRIM_400000_NS6detail17trampoline_kernelINS0_14default_configENS1_25partition_config_selectorILNS1_17partition_subalgoE1EiNS0_10empty_typeEbEEZZNS1_14partition_implILS5_1ELb0ES3_jN6thrust23THRUST_200600_302600_NS6detail15normal_iteratorINSA_10device_ptrIiEEEEPS6_NSA_18transform_iteratorI7is_evenIiESF_NSA_11use_defaultESK_EENS0_5tupleIJSF_NSA_16discard_iteratorISK_EEEEENSM_IJSG_SG_EEES6_PlJS6_EEE10hipError_tPvRmT3_T4_T5_T6_T7_T9_mT8_P12ihipStream_tbDpT10_ENKUlT_T0_E_clISt17integral_constantIbLb0EES1A_IbLb1EEEEDaS16_S17_EUlS16_E_NS1_11comp_targetILNS1_3genE2ELNS1_11target_archE906ELNS1_3gpuE6ELNS1_3repE0EEENS1_30default_config_static_selectorELNS0_4arch9wavefront6targetE1EEEvT1_,"axG",@progbits,_ZN7rocprim17ROCPRIM_400000_NS6detail17trampoline_kernelINS0_14default_configENS1_25partition_config_selectorILNS1_17partition_subalgoE1EiNS0_10empty_typeEbEEZZNS1_14partition_implILS5_1ELb0ES3_jN6thrust23THRUST_200600_302600_NS6detail15normal_iteratorINSA_10device_ptrIiEEEEPS6_NSA_18transform_iteratorI7is_evenIiESF_NSA_11use_defaultESK_EENS0_5tupleIJSF_NSA_16discard_iteratorISK_EEEEENSM_IJSG_SG_EEES6_PlJS6_EEE10hipError_tPvRmT3_T4_T5_T6_T7_T9_mT8_P12ihipStream_tbDpT10_ENKUlT_T0_E_clISt17integral_constantIbLb0EES1A_IbLb1EEEEDaS16_S17_EUlS16_E_NS1_11comp_targetILNS1_3genE2ELNS1_11target_archE906ELNS1_3gpuE6ELNS1_3repE0EEENS1_30default_config_static_selectorELNS0_4arch9wavefront6targetE1EEEvT1_,comdat
.Lfunc_end3319:
	.size	_ZN7rocprim17ROCPRIM_400000_NS6detail17trampoline_kernelINS0_14default_configENS1_25partition_config_selectorILNS1_17partition_subalgoE1EiNS0_10empty_typeEbEEZZNS1_14partition_implILS5_1ELb0ES3_jN6thrust23THRUST_200600_302600_NS6detail15normal_iteratorINSA_10device_ptrIiEEEEPS6_NSA_18transform_iteratorI7is_evenIiESF_NSA_11use_defaultESK_EENS0_5tupleIJSF_NSA_16discard_iteratorISK_EEEEENSM_IJSG_SG_EEES6_PlJS6_EEE10hipError_tPvRmT3_T4_T5_T6_T7_T9_mT8_P12ihipStream_tbDpT10_ENKUlT_T0_E_clISt17integral_constantIbLb0EES1A_IbLb1EEEEDaS16_S17_EUlS16_E_NS1_11comp_targetILNS1_3genE2ELNS1_11target_archE906ELNS1_3gpuE6ELNS1_3repE0EEENS1_30default_config_static_selectorELNS0_4arch9wavefront6targetE1EEEvT1_, .Lfunc_end3319-_ZN7rocprim17ROCPRIM_400000_NS6detail17trampoline_kernelINS0_14default_configENS1_25partition_config_selectorILNS1_17partition_subalgoE1EiNS0_10empty_typeEbEEZZNS1_14partition_implILS5_1ELb0ES3_jN6thrust23THRUST_200600_302600_NS6detail15normal_iteratorINSA_10device_ptrIiEEEEPS6_NSA_18transform_iteratorI7is_evenIiESF_NSA_11use_defaultESK_EENS0_5tupleIJSF_NSA_16discard_iteratorISK_EEEEENSM_IJSG_SG_EEES6_PlJS6_EEE10hipError_tPvRmT3_T4_T5_T6_T7_T9_mT8_P12ihipStream_tbDpT10_ENKUlT_T0_E_clISt17integral_constantIbLb0EES1A_IbLb1EEEEDaS16_S17_EUlS16_E_NS1_11comp_targetILNS1_3genE2ELNS1_11target_archE906ELNS1_3gpuE6ELNS1_3repE0EEENS1_30default_config_static_selectorELNS0_4arch9wavefront6targetE1EEEvT1_
                                        ; -- End function
	.section	.AMDGPU.csdata,"",@progbits
; Kernel info:
; codeLenInByte = 0
; NumSgprs: 6
; NumVgprs: 0
; NumAgprs: 0
; TotalNumVgprs: 0
; ScratchSize: 0
; MemoryBound: 0
; FloatMode: 240
; IeeeMode: 1
; LDSByteSize: 0 bytes/workgroup (compile time only)
; SGPRBlocks: 0
; VGPRBlocks: 0
; NumSGPRsForWavesPerEU: 6
; NumVGPRsForWavesPerEU: 1
; AccumOffset: 4
; Occupancy: 8
; WaveLimiterHint : 0
; COMPUTE_PGM_RSRC2:SCRATCH_EN: 0
; COMPUTE_PGM_RSRC2:USER_SGPR: 2
; COMPUTE_PGM_RSRC2:TRAP_HANDLER: 0
; COMPUTE_PGM_RSRC2:TGID_X_EN: 1
; COMPUTE_PGM_RSRC2:TGID_Y_EN: 0
; COMPUTE_PGM_RSRC2:TGID_Z_EN: 0
; COMPUTE_PGM_RSRC2:TIDIG_COMP_CNT: 0
; COMPUTE_PGM_RSRC3_GFX90A:ACCUM_OFFSET: 0
; COMPUTE_PGM_RSRC3_GFX90A:TG_SPLIT: 0
	.section	.text._ZN7rocprim17ROCPRIM_400000_NS6detail17trampoline_kernelINS0_14default_configENS1_25partition_config_selectorILNS1_17partition_subalgoE1EiNS0_10empty_typeEbEEZZNS1_14partition_implILS5_1ELb0ES3_jN6thrust23THRUST_200600_302600_NS6detail15normal_iteratorINSA_10device_ptrIiEEEEPS6_NSA_18transform_iteratorI7is_evenIiESF_NSA_11use_defaultESK_EENS0_5tupleIJSF_NSA_16discard_iteratorISK_EEEEENSM_IJSG_SG_EEES6_PlJS6_EEE10hipError_tPvRmT3_T4_T5_T6_T7_T9_mT8_P12ihipStream_tbDpT10_ENKUlT_T0_E_clISt17integral_constantIbLb0EES1A_IbLb1EEEEDaS16_S17_EUlS16_E_NS1_11comp_targetILNS1_3genE10ELNS1_11target_archE1200ELNS1_3gpuE4ELNS1_3repE0EEENS1_30default_config_static_selectorELNS0_4arch9wavefront6targetE1EEEvT1_,"axG",@progbits,_ZN7rocprim17ROCPRIM_400000_NS6detail17trampoline_kernelINS0_14default_configENS1_25partition_config_selectorILNS1_17partition_subalgoE1EiNS0_10empty_typeEbEEZZNS1_14partition_implILS5_1ELb0ES3_jN6thrust23THRUST_200600_302600_NS6detail15normal_iteratorINSA_10device_ptrIiEEEEPS6_NSA_18transform_iteratorI7is_evenIiESF_NSA_11use_defaultESK_EENS0_5tupleIJSF_NSA_16discard_iteratorISK_EEEEENSM_IJSG_SG_EEES6_PlJS6_EEE10hipError_tPvRmT3_T4_T5_T6_T7_T9_mT8_P12ihipStream_tbDpT10_ENKUlT_T0_E_clISt17integral_constantIbLb0EES1A_IbLb1EEEEDaS16_S17_EUlS16_E_NS1_11comp_targetILNS1_3genE10ELNS1_11target_archE1200ELNS1_3gpuE4ELNS1_3repE0EEENS1_30default_config_static_selectorELNS0_4arch9wavefront6targetE1EEEvT1_,comdat
	.protected	_ZN7rocprim17ROCPRIM_400000_NS6detail17trampoline_kernelINS0_14default_configENS1_25partition_config_selectorILNS1_17partition_subalgoE1EiNS0_10empty_typeEbEEZZNS1_14partition_implILS5_1ELb0ES3_jN6thrust23THRUST_200600_302600_NS6detail15normal_iteratorINSA_10device_ptrIiEEEEPS6_NSA_18transform_iteratorI7is_evenIiESF_NSA_11use_defaultESK_EENS0_5tupleIJSF_NSA_16discard_iteratorISK_EEEEENSM_IJSG_SG_EEES6_PlJS6_EEE10hipError_tPvRmT3_T4_T5_T6_T7_T9_mT8_P12ihipStream_tbDpT10_ENKUlT_T0_E_clISt17integral_constantIbLb0EES1A_IbLb1EEEEDaS16_S17_EUlS16_E_NS1_11comp_targetILNS1_3genE10ELNS1_11target_archE1200ELNS1_3gpuE4ELNS1_3repE0EEENS1_30default_config_static_selectorELNS0_4arch9wavefront6targetE1EEEvT1_ ; -- Begin function _ZN7rocprim17ROCPRIM_400000_NS6detail17trampoline_kernelINS0_14default_configENS1_25partition_config_selectorILNS1_17partition_subalgoE1EiNS0_10empty_typeEbEEZZNS1_14partition_implILS5_1ELb0ES3_jN6thrust23THRUST_200600_302600_NS6detail15normal_iteratorINSA_10device_ptrIiEEEEPS6_NSA_18transform_iteratorI7is_evenIiESF_NSA_11use_defaultESK_EENS0_5tupleIJSF_NSA_16discard_iteratorISK_EEEEENSM_IJSG_SG_EEES6_PlJS6_EEE10hipError_tPvRmT3_T4_T5_T6_T7_T9_mT8_P12ihipStream_tbDpT10_ENKUlT_T0_E_clISt17integral_constantIbLb0EES1A_IbLb1EEEEDaS16_S17_EUlS16_E_NS1_11comp_targetILNS1_3genE10ELNS1_11target_archE1200ELNS1_3gpuE4ELNS1_3repE0EEENS1_30default_config_static_selectorELNS0_4arch9wavefront6targetE1EEEvT1_
	.globl	_ZN7rocprim17ROCPRIM_400000_NS6detail17trampoline_kernelINS0_14default_configENS1_25partition_config_selectorILNS1_17partition_subalgoE1EiNS0_10empty_typeEbEEZZNS1_14partition_implILS5_1ELb0ES3_jN6thrust23THRUST_200600_302600_NS6detail15normal_iteratorINSA_10device_ptrIiEEEEPS6_NSA_18transform_iteratorI7is_evenIiESF_NSA_11use_defaultESK_EENS0_5tupleIJSF_NSA_16discard_iteratorISK_EEEEENSM_IJSG_SG_EEES6_PlJS6_EEE10hipError_tPvRmT3_T4_T5_T6_T7_T9_mT8_P12ihipStream_tbDpT10_ENKUlT_T0_E_clISt17integral_constantIbLb0EES1A_IbLb1EEEEDaS16_S17_EUlS16_E_NS1_11comp_targetILNS1_3genE10ELNS1_11target_archE1200ELNS1_3gpuE4ELNS1_3repE0EEENS1_30default_config_static_selectorELNS0_4arch9wavefront6targetE1EEEvT1_
	.p2align	8
	.type	_ZN7rocprim17ROCPRIM_400000_NS6detail17trampoline_kernelINS0_14default_configENS1_25partition_config_selectorILNS1_17partition_subalgoE1EiNS0_10empty_typeEbEEZZNS1_14partition_implILS5_1ELb0ES3_jN6thrust23THRUST_200600_302600_NS6detail15normal_iteratorINSA_10device_ptrIiEEEEPS6_NSA_18transform_iteratorI7is_evenIiESF_NSA_11use_defaultESK_EENS0_5tupleIJSF_NSA_16discard_iteratorISK_EEEEENSM_IJSG_SG_EEES6_PlJS6_EEE10hipError_tPvRmT3_T4_T5_T6_T7_T9_mT8_P12ihipStream_tbDpT10_ENKUlT_T0_E_clISt17integral_constantIbLb0EES1A_IbLb1EEEEDaS16_S17_EUlS16_E_NS1_11comp_targetILNS1_3genE10ELNS1_11target_archE1200ELNS1_3gpuE4ELNS1_3repE0EEENS1_30default_config_static_selectorELNS0_4arch9wavefront6targetE1EEEvT1_,@function
_ZN7rocprim17ROCPRIM_400000_NS6detail17trampoline_kernelINS0_14default_configENS1_25partition_config_selectorILNS1_17partition_subalgoE1EiNS0_10empty_typeEbEEZZNS1_14partition_implILS5_1ELb0ES3_jN6thrust23THRUST_200600_302600_NS6detail15normal_iteratorINSA_10device_ptrIiEEEEPS6_NSA_18transform_iteratorI7is_evenIiESF_NSA_11use_defaultESK_EENS0_5tupleIJSF_NSA_16discard_iteratorISK_EEEEENSM_IJSG_SG_EEES6_PlJS6_EEE10hipError_tPvRmT3_T4_T5_T6_T7_T9_mT8_P12ihipStream_tbDpT10_ENKUlT_T0_E_clISt17integral_constantIbLb0EES1A_IbLb1EEEEDaS16_S17_EUlS16_E_NS1_11comp_targetILNS1_3genE10ELNS1_11target_archE1200ELNS1_3gpuE4ELNS1_3repE0EEENS1_30default_config_static_selectorELNS0_4arch9wavefront6targetE1EEEvT1_: ; @_ZN7rocprim17ROCPRIM_400000_NS6detail17trampoline_kernelINS0_14default_configENS1_25partition_config_selectorILNS1_17partition_subalgoE1EiNS0_10empty_typeEbEEZZNS1_14partition_implILS5_1ELb0ES3_jN6thrust23THRUST_200600_302600_NS6detail15normal_iteratorINSA_10device_ptrIiEEEEPS6_NSA_18transform_iteratorI7is_evenIiESF_NSA_11use_defaultESK_EENS0_5tupleIJSF_NSA_16discard_iteratorISK_EEEEENSM_IJSG_SG_EEES6_PlJS6_EEE10hipError_tPvRmT3_T4_T5_T6_T7_T9_mT8_P12ihipStream_tbDpT10_ENKUlT_T0_E_clISt17integral_constantIbLb0EES1A_IbLb1EEEEDaS16_S17_EUlS16_E_NS1_11comp_targetILNS1_3genE10ELNS1_11target_archE1200ELNS1_3gpuE4ELNS1_3repE0EEENS1_30default_config_static_selectorELNS0_4arch9wavefront6targetE1EEEvT1_
; %bb.0:
	.section	.rodata,"a",@progbits
	.p2align	6, 0x0
	.amdhsa_kernel _ZN7rocprim17ROCPRIM_400000_NS6detail17trampoline_kernelINS0_14default_configENS1_25partition_config_selectorILNS1_17partition_subalgoE1EiNS0_10empty_typeEbEEZZNS1_14partition_implILS5_1ELb0ES3_jN6thrust23THRUST_200600_302600_NS6detail15normal_iteratorINSA_10device_ptrIiEEEEPS6_NSA_18transform_iteratorI7is_evenIiESF_NSA_11use_defaultESK_EENS0_5tupleIJSF_NSA_16discard_iteratorISK_EEEEENSM_IJSG_SG_EEES6_PlJS6_EEE10hipError_tPvRmT3_T4_T5_T6_T7_T9_mT8_P12ihipStream_tbDpT10_ENKUlT_T0_E_clISt17integral_constantIbLb0EES1A_IbLb1EEEEDaS16_S17_EUlS16_E_NS1_11comp_targetILNS1_3genE10ELNS1_11target_archE1200ELNS1_3gpuE4ELNS1_3repE0EEENS1_30default_config_static_selectorELNS0_4arch9wavefront6targetE1EEEvT1_
		.amdhsa_group_segment_fixed_size 0
		.amdhsa_private_segment_fixed_size 0
		.amdhsa_kernarg_size 152
		.amdhsa_user_sgpr_count 2
		.amdhsa_user_sgpr_dispatch_ptr 0
		.amdhsa_user_sgpr_queue_ptr 0
		.amdhsa_user_sgpr_kernarg_segment_ptr 1
		.amdhsa_user_sgpr_dispatch_id 0
		.amdhsa_user_sgpr_kernarg_preload_length 0
		.amdhsa_user_sgpr_kernarg_preload_offset 0
		.amdhsa_user_sgpr_private_segment_size 0
		.amdhsa_uses_dynamic_stack 0
		.amdhsa_enable_private_segment 0
		.amdhsa_system_sgpr_workgroup_id_x 1
		.amdhsa_system_sgpr_workgroup_id_y 0
		.amdhsa_system_sgpr_workgroup_id_z 0
		.amdhsa_system_sgpr_workgroup_info 0
		.amdhsa_system_vgpr_workitem_id 0
		.amdhsa_next_free_vgpr 1
		.amdhsa_next_free_sgpr 0
		.amdhsa_accum_offset 4
		.amdhsa_reserve_vcc 0
		.amdhsa_float_round_mode_32 0
		.amdhsa_float_round_mode_16_64 0
		.amdhsa_float_denorm_mode_32 3
		.amdhsa_float_denorm_mode_16_64 3
		.amdhsa_dx10_clamp 1
		.amdhsa_ieee_mode 1
		.amdhsa_fp16_overflow 0
		.amdhsa_tg_split 0
		.amdhsa_exception_fp_ieee_invalid_op 0
		.amdhsa_exception_fp_denorm_src 0
		.amdhsa_exception_fp_ieee_div_zero 0
		.amdhsa_exception_fp_ieee_overflow 0
		.amdhsa_exception_fp_ieee_underflow 0
		.amdhsa_exception_fp_ieee_inexact 0
		.amdhsa_exception_int_div_zero 0
	.end_amdhsa_kernel
	.section	.text._ZN7rocprim17ROCPRIM_400000_NS6detail17trampoline_kernelINS0_14default_configENS1_25partition_config_selectorILNS1_17partition_subalgoE1EiNS0_10empty_typeEbEEZZNS1_14partition_implILS5_1ELb0ES3_jN6thrust23THRUST_200600_302600_NS6detail15normal_iteratorINSA_10device_ptrIiEEEEPS6_NSA_18transform_iteratorI7is_evenIiESF_NSA_11use_defaultESK_EENS0_5tupleIJSF_NSA_16discard_iteratorISK_EEEEENSM_IJSG_SG_EEES6_PlJS6_EEE10hipError_tPvRmT3_T4_T5_T6_T7_T9_mT8_P12ihipStream_tbDpT10_ENKUlT_T0_E_clISt17integral_constantIbLb0EES1A_IbLb1EEEEDaS16_S17_EUlS16_E_NS1_11comp_targetILNS1_3genE10ELNS1_11target_archE1200ELNS1_3gpuE4ELNS1_3repE0EEENS1_30default_config_static_selectorELNS0_4arch9wavefront6targetE1EEEvT1_,"axG",@progbits,_ZN7rocprim17ROCPRIM_400000_NS6detail17trampoline_kernelINS0_14default_configENS1_25partition_config_selectorILNS1_17partition_subalgoE1EiNS0_10empty_typeEbEEZZNS1_14partition_implILS5_1ELb0ES3_jN6thrust23THRUST_200600_302600_NS6detail15normal_iteratorINSA_10device_ptrIiEEEEPS6_NSA_18transform_iteratorI7is_evenIiESF_NSA_11use_defaultESK_EENS0_5tupleIJSF_NSA_16discard_iteratorISK_EEEEENSM_IJSG_SG_EEES6_PlJS6_EEE10hipError_tPvRmT3_T4_T5_T6_T7_T9_mT8_P12ihipStream_tbDpT10_ENKUlT_T0_E_clISt17integral_constantIbLb0EES1A_IbLb1EEEEDaS16_S17_EUlS16_E_NS1_11comp_targetILNS1_3genE10ELNS1_11target_archE1200ELNS1_3gpuE4ELNS1_3repE0EEENS1_30default_config_static_selectorELNS0_4arch9wavefront6targetE1EEEvT1_,comdat
.Lfunc_end3320:
	.size	_ZN7rocprim17ROCPRIM_400000_NS6detail17trampoline_kernelINS0_14default_configENS1_25partition_config_selectorILNS1_17partition_subalgoE1EiNS0_10empty_typeEbEEZZNS1_14partition_implILS5_1ELb0ES3_jN6thrust23THRUST_200600_302600_NS6detail15normal_iteratorINSA_10device_ptrIiEEEEPS6_NSA_18transform_iteratorI7is_evenIiESF_NSA_11use_defaultESK_EENS0_5tupleIJSF_NSA_16discard_iteratorISK_EEEEENSM_IJSG_SG_EEES6_PlJS6_EEE10hipError_tPvRmT3_T4_T5_T6_T7_T9_mT8_P12ihipStream_tbDpT10_ENKUlT_T0_E_clISt17integral_constantIbLb0EES1A_IbLb1EEEEDaS16_S17_EUlS16_E_NS1_11comp_targetILNS1_3genE10ELNS1_11target_archE1200ELNS1_3gpuE4ELNS1_3repE0EEENS1_30default_config_static_selectorELNS0_4arch9wavefront6targetE1EEEvT1_, .Lfunc_end3320-_ZN7rocprim17ROCPRIM_400000_NS6detail17trampoline_kernelINS0_14default_configENS1_25partition_config_selectorILNS1_17partition_subalgoE1EiNS0_10empty_typeEbEEZZNS1_14partition_implILS5_1ELb0ES3_jN6thrust23THRUST_200600_302600_NS6detail15normal_iteratorINSA_10device_ptrIiEEEEPS6_NSA_18transform_iteratorI7is_evenIiESF_NSA_11use_defaultESK_EENS0_5tupleIJSF_NSA_16discard_iteratorISK_EEEEENSM_IJSG_SG_EEES6_PlJS6_EEE10hipError_tPvRmT3_T4_T5_T6_T7_T9_mT8_P12ihipStream_tbDpT10_ENKUlT_T0_E_clISt17integral_constantIbLb0EES1A_IbLb1EEEEDaS16_S17_EUlS16_E_NS1_11comp_targetILNS1_3genE10ELNS1_11target_archE1200ELNS1_3gpuE4ELNS1_3repE0EEENS1_30default_config_static_selectorELNS0_4arch9wavefront6targetE1EEEvT1_
                                        ; -- End function
	.section	.AMDGPU.csdata,"",@progbits
; Kernel info:
; codeLenInByte = 0
; NumSgprs: 6
; NumVgprs: 0
; NumAgprs: 0
; TotalNumVgprs: 0
; ScratchSize: 0
; MemoryBound: 0
; FloatMode: 240
; IeeeMode: 1
; LDSByteSize: 0 bytes/workgroup (compile time only)
; SGPRBlocks: 0
; VGPRBlocks: 0
; NumSGPRsForWavesPerEU: 6
; NumVGPRsForWavesPerEU: 1
; AccumOffset: 4
; Occupancy: 8
; WaveLimiterHint : 0
; COMPUTE_PGM_RSRC2:SCRATCH_EN: 0
; COMPUTE_PGM_RSRC2:USER_SGPR: 2
; COMPUTE_PGM_RSRC2:TRAP_HANDLER: 0
; COMPUTE_PGM_RSRC2:TGID_X_EN: 1
; COMPUTE_PGM_RSRC2:TGID_Y_EN: 0
; COMPUTE_PGM_RSRC2:TGID_Z_EN: 0
; COMPUTE_PGM_RSRC2:TIDIG_COMP_CNT: 0
; COMPUTE_PGM_RSRC3_GFX90A:ACCUM_OFFSET: 0
; COMPUTE_PGM_RSRC3_GFX90A:TG_SPLIT: 0
	.section	.text._ZN7rocprim17ROCPRIM_400000_NS6detail17trampoline_kernelINS0_14default_configENS1_25partition_config_selectorILNS1_17partition_subalgoE1EiNS0_10empty_typeEbEEZZNS1_14partition_implILS5_1ELb0ES3_jN6thrust23THRUST_200600_302600_NS6detail15normal_iteratorINSA_10device_ptrIiEEEEPS6_NSA_18transform_iteratorI7is_evenIiESF_NSA_11use_defaultESK_EENS0_5tupleIJSF_NSA_16discard_iteratorISK_EEEEENSM_IJSG_SG_EEES6_PlJS6_EEE10hipError_tPvRmT3_T4_T5_T6_T7_T9_mT8_P12ihipStream_tbDpT10_ENKUlT_T0_E_clISt17integral_constantIbLb0EES1A_IbLb1EEEEDaS16_S17_EUlS16_E_NS1_11comp_targetILNS1_3genE9ELNS1_11target_archE1100ELNS1_3gpuE3ELNS1_3repE0EEENS1_30default_config_static_selectorELNS0_4arch9wavefront6targetE1EEEvT1_,"axG",@progbits,_ZN7rocprim17ROCPRIM_400000_NS6detail17trampoline_kernelINS0_14default_configENS1_25partition_config_selectorILNS1_17partition_subalgoE1EiNS0_10empty_typeEbEEZZNS1_14partition_implILS5_1ELb0ES3_jN6thrust23THRUST_200600_302600_NS6detail15normal_iteratorINSA_10device_ptrIiEEEEPS6_NSA_18transform_iteratorI7is_evenIiESF_NSA_11use_defaultESK_EENS0_5tupleIJSF_NSA_16discard_iteratorISK_EEEEENSM_IJSG_SG_EEES6_PlJS6_EEE10hipError_tPvRmT3_T4_T5_T6_T7_T9_mT8_P12ihipStream_tbDpT10_ENKUlT_T0_E_clISt17integral_constantIbLb0EES1A_IbLb1EEEEDaS16_S17_EUlS16_E_NS1_11comp_targetILNS1_3genE9ELNS1_11target_archE1100ELNS1_3gpuE3ELNS1_3repE0EEENS1_30default_config_static_selectorELNS0_4arch9wavefront6targetE1EEEvT1_,comdat
	.protected	_ZN7rocprim17ROCPRIM_400000_NS6detail17trampoline_kernelINS0_14default_configENS1_25partition_config_selectorILNS1_17partition_subalgoE1EiNS0_10empty_typeEbEEZZNS1_14partition_implILS5_1ELb0ES3_jN6thrust23THRUST_200600_302600_NS6detail15normal_iteratorINSA_10device_ptrIiEEEEPS6_NSA_18transform_iteratorI7is_evenIiESF_NSA_11use_defaultESK_EENS0_5tupleIJSF_NSA_16discard_iteratorISK_EEEEENSM_IJSG_SG_EEES6_PlJS6_EEE10hipError_tPvRmT3_T4_T5_T6_T7_T9_mT8_P12ihipStream_tbDpT10_ENKUlT_T0_E_clISt17integral_constantIbLb0EES1A_IbLb1EEEEDaS16_S17_EUlS16_E_NS1_11comp_targetILNS1_3genE9ELNS1_11target_archE1100ELNS1_3gpuE3ELNS1_3repE0EEENS1_30default_config_static_selectorELNS0_4arch9wavefront6targetE1EEEvT1_ ; -- Begin function _ZN7rocprim17ROCPRIM_400000_NS6detail17trampoline_kernelINS0_14default_configENS1_25partition_config_selectorILNS1_17partition_subalgoE1EiNS0_10empty_typeEbEEZZNS1_14partition_implILS5_1ELb0ES3_jN6thrust23THRUST_200600_302600_NS6detail15normal_iteratorINSA_10device_ptrIiEEEEPS6_NSA_18transform_iteratorI7is_evenIiESF_NSA_11use_defaultESK_EENS0_5tupleIJSF_NSA_16discard_iteratorISK_EEEEENSM_IJSG_SG_EEES6_PlJS6_EEE10hipError_tPvRmT3_T4_T5_T6_T7_T9_mT8_P12ihipStream_tbDpT10_ENKUlT_T0_E_clISt17integral_constantIbLb0EES1A_IbLb1EEEEDaS16_S17_EUlS16_E_NS1_11comp_targetILNS1_3genE9ELNS1_11target_archE1100ELNS1_3gpuE3ELNS1_3repE0EEENS1_30default_config_static_selectorELNS0_4arch9wavefront6targetE1EEEvT1_
	.globl	_ZN7rocprim17ROCPRIM_400000_NS6detail17trampoline_kernelINS0_14default_configENS1_25partition_config_selectorILNS1_17partition_subalgoE1EiNS0_10empty_typeEbEEZZNS1_14partition_implILS5_1ELb0ES3_jN6thrust23THRUST_200600_302600_NS6detail15normal_iteratorINSA_10device_ptrIiEEEEPS6_NSA_18transform_iteratorI7is_evenIiESF_NSA_11use_defaultESK_EENS0_5tupleIJSF_NSA_16discard_iteratorISK_EEEEENSM_IJSG_SG_EEES6_PlJS6_EEE10hipError_tPvRmT3_T4_T5_T6_T7_T9_mT8_P12ihipStream_tbDpT10_ENKUlT_T0_E_clISt17integral_constantIbLb0EES1A_IbLb1EEEEDaS16_S17_EUlS16_E_NS1_11comp_targetILNS1_3genE9ELNS1_11target_archE1100ELNS1_3gpuE3ELNS1_3repE0EEENS1_30default_config_static_selectorELNS0_4arch9wavefront6targetE1EEEvT1_
	.p2align	8
	.type	_ZN7rocprim17ROCPRIM_400000_NS6detail17trampoline_kernelINS0_14default_configENS1_25partition_config_selectorILNS1_17partition_subalgoE1EiNS0_10empty_typeEbEEZZNS1_14partition_implILS5_1ELb0ES3_jN6thrust23THRUST_200600_302600_NS6detail15normal_iteratorINSA_10device_ptrIiEEEEPS6_NSA_18transform_iteratorI7is_evenIiESF_NSA_11use_defaultESK_EENS0_5tupleIJSF_NSA_16discard_iteratorISK_EEEEENSM_IJSG_SG_EEES6_PlJS6_EEE10hipError_tPvRmT3_T4_T5_T6_T7_T9_mT8_P12ihipStream_tbDpT10_ENKUlT_T0_E_clISt17integral_constantIbLb0EES1A_IbLb1EEEEDaS16_S17_EUlS16_E_NS1_11comp_targetILNS1_3genE9ELNS1_11target_archE1100ELNS1_3gpuE3ELNS1_3repE0EEENS1_30default_config_static_selectorELNS0_4arch9wavefront6targetE1EEEvT1_,@function
_ZN7rocprim17ROCPRIM_400000_NS6detail17trampoline_kernelINS0_14default_configENS1_25partition_config_selectorILNS1_17partition_subalgoE1EiNS0_10empty_typeEbEEZZNS1_14partition_implILS5_1ELb0ES3_jN6thrust23THRUST_200600_302600_NS6detail15normal_iteratorINSA_10device_ptrIiEEEEPS6_NSA_18transform_iteratorI7is_evenIiESF_NSA_11use_defaultESK_EENS0_5tupleIJSF_NSA_16discard_iteratorISK_EEEEENSM_IJSG_SG_EEES6_PlJS6_EEE10hipError_tPvRmT3_T4_T5_T6_T7_T9_mT8_P12ihipStream_tbDpT10_ENKUlT_T0_E_clISt17integral_constantIbLb0EES1A_IbLb1EEEEDaS16_S17_EUlS16_E_NS1_11comp_targetILNS1_3genE9ELNS1_11target_archE1100ELNS1_3gpuE3ELNS1_3repE0EEENS1_30default_config_static_selectorELNS0_4arch9wavefront6targetE1EEEvT1_: ; @_ZN7rocprim17ROCPRIM_400000_NS6detail17trampoline_kernelINS0_14default_configENS1_25partition_config_selectorILNS1_17partition_subalgoE1EiNS0_10empty_typeEbEEZZNS1_14partition_implILS5_1ELb0ES3_jN6thrust23THRUST_200600_302600_NS6detail15normal_iteratorINSA_10device_ptrIiEEEEPS6_NSA_18transform_iteratorI7is_evenIiESF_NSA_11use_defaultESK_EENS0_5tupleIJSF_NSA_16discard_iteratorISK_EEEEENSM_IJSG_SG_EEES6_PlJS6_EEE10hipError_tPvRmT3_T4_T5_T6_T7_T9_mT8_P12ihipStream_tbDpT10_ENKUlT_T0_E_clISt17integral_constantIbLb0EES1A_IbLb1EEEEDaS16_S17_EUlS16_E_NS1_11comp_targetILNS1_3genE9ELNS1_11target_archE1100ELNS1_3gpuE3ELNS1_3repE0EEENS1_30default_config_static_selectorELNS0_4arch9wavefront6targetE1EEEvT1_
; %bb.0:
	.section	.rodata,"a",@progbits
	.p2align	6, 0x0
	.amdhsa_kernel _ZN7rocprim17ROCPRIM_400000_NS6detail17trampoline_kernelINS0_14default_configENS1_25partition_config_selectorILNS1_17partition_subalgoE1EiNS0_10empty_typeEbEEZZNS1_14partition_implILS5_1ELb0ES3_jN6thrust23THRUST_200600_302600_NS6detail15normal_iteratorINSA_10device_ptrIiEEEEPS6_NSA_18transform_iteratorI7is_evenIiESF_NSA_11use_defaultESK_EENS0_5tupleIJSF_NSA_16discard_iteratorISK_EEEEENSM_IJSG_SG_EEES6_PlJS6_EEE10hipError_tPvRmT3_T4_T5_T6_T7_T9_mT8_P12ihipStream_tbDpT10_ENKUlT_T0_E_clISt17integral_constantIbLb0EES1A_IbLb1EEEEDaS16_S17_EUlS16_E_NS1_11comp_targetILNS1_3genE9ELNS1_11target_archE1100ELNS1_3gpuE3ELNS1_3repE0EEENS1_30default_config_static_selectorELNS0_4arch9wavefront6targetE1EEEvT1_
		.amdhsa_group_segment_fixed_size 0
		.amdhsa_private_segment_fixed_size 0
		.amdhsa_kernarg_size 152
		.amdhsa_user_sgpr_count 2
		.amdhsa_user_sgpr_dispatch_ptr 0
		.amdhsa_user_sgpr_queue_ptr 0
		.amdhsa_user_sgpr_kernarg_segment_ptr 1
		.amdhsa_user_sgpr_dispatch_id 0
		.amdhsa_user_sgpr_kernarg_preload_length 0
		.amdhsa_user_sgpr_kernarg_preload_offset 0
		.amdhsa_user_sgpr_private_segment_size 0
		.amdhsa_uses_dynamic_stack 0
		.amdhsa_enable_private_segment 0
		.amdhsa_system_sgpr_workgroup_id_x 1
		.amdhsa_system_sgpr_workgroup_id_y 0
		.amdhsa_system_sgpr_workgroup_id_z 0
		.amdhsa_system_sgpr_workgroup_info 0
		.amdhsa_system_vgpr_workitem_id 0
		.amdhsa_next_free_vgpr 1
		.amdhsa_next_free_sgpr 0
		.amdhsa_accum_offset 4
		.amdhsa_reserve_vcc 0
		.amdhsa_float_round_mode_32 0
		.amdhsa_float_round_mode_16_64 0
		.amdhsa_float_denorm_mode_32 3
		.amdhsa_float_denorm_mode_16_64 3
		.amdhsa_dx10_clamp 1
		.amdhsa_ieee_mode 1
		.amdhsa_fp16_overflow 0
		.amdhsa_tg_split 0
		.amdhsa_exception_fp_ieee_invalid_op 0
		.amdhsa_exception_fp_denorm_src 0
		.amdhsa_exception_fp_ieee_div_zero 0
		.amdhsa_exception_fp_ieee_overflow 0
		.amdhsa_exception_fp_ieee_underflow 0
		.amdhsa_exception_fp_ieee_inexact 0
		.amdhsa_exception_int_div_zero 0
	.end_amdhsa_kernel
	.section	.text._ZN7rocprim17ROCPRIM_400000_NS6detail17trampoline_kernelINS0_14default_configENS1_25partition_config_selectorILNS1_17partition_subalgoE1EiNS0_10empty_typeEbEEZZNS1_14partition_implILS5_1ELb0ES3_jN6thrust23THRUST_200600_302600_NS6detail15normal_iteratorINSA_10device_ptrIiEEEEPS6_NSA_18transform_iteratorI7is_evenIiESF_NSA_11use_defaultESK_EENS0_5tupleIJSF_NSA_16discard_iteratorISK_EEEEENSM_IJSG_SG_EEES6_PlJS6_EEE10hipError_tPvRmT3_T4_T5_T6_T7_T9_mT8_P12ihipStream_tbDpT10_ENKUlT_T0_E_clISt17integral_constantIbLb0EES1A_IbLb1EEEEDaS16_S17_EUlS16_E_NS1_11comp_targetILNS1_3genE9ELNS1_11target_archE1100ELNS1_3gpuE3ELNS1_3repE0EEENS1_30default_config_static_selectorELNS0_4arch9wavefront6targetE1EEEvT1_,"axG",@progbits,_ZN7rocprim17ROCPRIM_400000_NS6detail17trampoline_kernelINS0_14default_configENS1_25partition_config_selectorILNS1_17partition_subalgoE1EiNS0_10empty_typeEbEEZZNS1_14partition_implILS5_1ELb0ES3_jN6thrust23THRUST_200600_302600_NS6detail15normal_iteratorINSA_10device_ptrIiEEEEPS6_NSA_18transform_iteratorI7is_evenIiESF_NSA_11use_defaultESK_EENS0_5tupleIJSF_NSA_16discard_iteratorISK_EEEEENSM_IJSG_SG_EEES6_PlJS6_EEE10hipError_tPvRmT3_T4_T5_T6_T7_T9_mT8_P12ihipStream_tbDpT10_ENKUlT_T0_E_clISt17integral_constantIbLb0EES1A_IbLb1EEEEDaS16_S17_EUlS16_E_NS1_11comp_targetILNS1_3genE9ELNS1_11target_archE1100ELNS1_3gpuE3ELNS1_3repE0EEENS1_30default_config_static_selectorELNS0_4arch9wavefront6targetE1EEEvT1_,comdat
.Lfunc_end3321:
	.size	_ZN7rocprim17ROCPRIM_400000_NS6detail17trampoline_kernelINS0_14default_configENS1_25partition_config_selectorILNS1_17partition_subalgoE1EiNS0_10empty_typeEbEEZZNS1_14partition_implILS5_1ELb0ES3_jN6thrust23THRUST_200600_302600_NS6detail15normal_iteratorINSA_10device_ptrIiEEEEPS6_NSA_18transform_iteratorI7is_evenIiESF_NSA_11use_defaultESK_EENS0_5tupleIJSF_NSA_16discard_iteratorISK_EEEEENSM_IJSG_SG_EEES6_PlJS6_EEE10hipError_tPvRmT3_T4_T5_T6_T7_T9_mT8_P12ihipStream_tbDpT10_ENKUlT_T0_E_clISt17integral_constantIbLb0EES1A_IbLb1EEEEDaS16_S17_EUlS16_E_NS1_11comp_targetILNS1_3genE9ELNS1_11target_archE1100ELNS1_3gpuE3ELNS1_3repE0EEENS1_30default_config_static_selectorELNS0_4arch9wavefront6targetE1EEEvT1_, .Lfunc_end3321-_ZN7rocprim17ROCPRIM_400000_NS6detail17trampoline_kernelINS0_14default_configENS1_25partition_config_selectorILNS1_17partition_subalgoE1EiNS0_10empty_typeEbEEZZNS1_14partition_implILS5_1ELb0ES3_jN6thrust23THRUST_200600_302600_NS6detail15normal_iteratorINSA_10device_ptrIiEEEEPS6_NSA_18transform_iteratorI7is_evenIiESF_NSA_11use_defaultESK_EENS0_5tupleIJSF_NSA_16discard_iteratorISK_EEEEENSM_IJSG_SG_EEES6_PlJS6_EEE10hipError_tPvRmT3_T4_T5_T6_T7_T9_mT8_P12ihipStream_tbDpT10_ENKUlT_T0_E_clISt17integral_constantIbLb0EES1A_IbLb1EEEEDaS16_S17_EUlS16_E_NS1_11comp_targetILNS1_3genE9ELNS1_11target_archE1100ELNS1_3gpuE3ELNS1_3repE0EEENS1_30default_config_static_selectorELNS0_4arch9wavefront6targetE1EEEvT1_
                                        ; -- End function
	.section	.AMDGPU.csdata,"",@progbits
; Kernel info:
; codeLenInByte = 0
; NumSgprs: 6
; NumVgprs: 0
; NumAgprs: 0
; TotalNumVgprs: 0
; ScratchSize: 0
; MemoryBound: 0
; FloatMode: 240
; IeeeMode: 1
; LDSByteSize: 0 bytes/workgroup (compile time only)
; SGPRBlocks: 0
; VGPRBlocks: 0
; NumSGPRsForWavesPerEU: 6
; NumVGPRsForWavesPerEU: 1
; AccumOffset: 4
; Occupancy: 8
; WaveLimiterHint : 0
; COMPUTE_PGM_RSRC2:SCRATCH_EN: 0
; COMPUTE_PGM_RSRC2:USER_SGPR: 2
; COMPUTE_PGM_RSRC2:TRAP_HANDLER: 0
; COMPUTE_PGM_RSRC2:TGID_X_EN: 1
; COMPUTE_PGM_RSRC2:TGID_Y_EN: 0
; COMPUTE_PGM_RSRC2:TGID_Z_EN: 0
; COMPUTE_PGM_RSRC2:TIDIG_COMP_CNT: 0
; COMPUTE_PGM_RSRC3_GFX90A:ACCUM_OFFSET: 0
; COMPUTE_PGM_RSRC3_GFX90A:TG_SPLIT: 0
	.section	.text._ZN7rocprim17ROCPRIM_400000_NS6detail17trampoline_kernelINS0_14default_configENS1_25partition_config_selectorILNS1_17partition_subalgoE1EiNS0_10empty_typeEbEEZZNS1_14partition_implILS5_1ELb0ES3_jN6thrust23THRUST_200600_302600_NS6detail15normal_iteratorINSA_10device_ptrIiEEEEPS6_NSA_18transform_iteratorI7is_evenIiESF_NSA_11use_defaultESK_EENS0_5tupleIJSF_NSA_16discard_iteratorISK_EEEEENSM_IJSG_SG_EEES6_PlJS6_EEE10hipError_tPvRmT3_T4_T5_T6_T7_T9_mT8_P12ihipStream_tbDpT10_ENKUlT_T0_E_clISt17integral_constantIbLb0EES1A_IbLb1EEEEDaS16_S17_EUlS16_E_NS1_11comp_targetILNS1_3genE8ELNS1_11target_archE1030ELNS1_3gpuE2ELNS1_3repE0EEENS1_30default_config_static_selectorELNS0_4arch9wavefront6targetE1EEEvT1_,"axG",@progbits,_ZN7rocprim17ROCPRIM_400000_NS6detail17trampoline_kernelINS0_14default_configENS1_25partition_config_selectorILNS1_17partition_subalgoE1EiNS0_10empty_typeEbEEZZNS1_14partition_implILS5_1ELb0ES3_jN6thrust23THRUST_200600_302600_NS6detail15normal_iteratorINSA_10device_ptrIiEEEEPS6_NSA_18transform_iteratorI7is_evenIiESF_NSA_11use_defaultESK_EENS0_5tupleIJSF_NSA_16discard_iteratorISK_EEEEENSM_IJSG_SG_EEES6_PlJS6_EEE10hipError_tPvRmT3_T4_T5_T6_T7_T9_mT8_P12ihipStream_tbDpT10_ENKUlT_T0_E_clISt17integral_constantIbLb0EES1A_IbLb1EEEEDaS16_S17_EUlS16_E_NS1_11comp_targetILNS1_3genE8ELNS1_11target_archE1030ELNS1_3gpuE2ELNS1_3repE0EEENS1_30default_config_static_selectorELNS0_4arch9wavefront6targetE1EEEvT1_,comdat
	.protected	_ZN7rocprim17ROCPRIM_400000_NS6detail17trampoline_kernelINS0_14default_configENS1_25partition_config_selectorILNS1_17partition_subalgoE1EiNS0_10empty_typeEbEEZZNS1_14partition_implILS5_1ELb0ES3_jN6thrust23THRUST_200600_302600_NS6detail15normal_iteratorINSA_10device_ptrIiEEEEPS6_NSA_18transform_iteratorI7is_evenIiESF_NSA_11use_defaultESK_EENS0_5tupleIJSF_NSA_16discard_iteratorISK_EEEEENSM_IJSG_SG_EEES6_PlJS6_EEE10hipError_tPvRmT3_T4_T5_T6_T7_T9_mT8_P12ihipStream_tbDpT10_ENKUlT_T0_E_clISt17integral_constantIbLb0EES1A_IbLb1EEEEDaS16_S17_EUlS16_E_NS1_11comp_targetILNS1_3genE8ELNS1_11target_archE1030ELNS1_3gpuE2ELNS1_3repE0EEENS1_30default_config_static_selectorELNS0_4arch9wavefront6targetE1EEEvT1_ ; -- Begin function _ZN7rocprim17ROCPRIM_400000_NS6detail17trampoline_kernelINS0_14default_configENS1_25partition_config_selectorILNS1_17partition_subalgoE1EiNS0_10empty_typeEbEEZZNS1_14partition_implILS5_1ELb0ES3_jN6thrust23THRUST_200600_302600_NS6detail15normal_iteratorINSA_10device_ptrIiEEEEPS6_NSA_18transform_iteratorI7is_evenIiESF_NSA_11use_defaultESK_EENS0_5tupleIJSF_NSA_16discard_iteratorISK_EEEEENSM_IJSG_SG_EEES6_PlJS6_EEE10hipError_tPvRmT3_T4_T5_T6_T7_T9_mT8_P12ihipStream_tbDpT10_ENKUlT_T0_E_clISt17integral_constantIbLb0EES1A_IbLb1EEEEDaS16_S17_EUlS16_E_NS1_11comp_targetILNS1_3genE8ELNS1_11target_archE1030ELNS1_3gpuE2ELNS1_3repE0EEENS1_30default_config_static_selectorELNS0_4arch9wavefront6targetE1EEEvT1_
	.globl	_ZN7rocprim17ROCPRIM_400000_NS6detail17trampoline_kernelINS0_14default_configENS1_25partition_config_selectorILNS1_17partition_subalgoE1EiNS0_10empty_typeEbEEZZNS1_14partition_implILS5_1ELb0ES3_jN6thrust23THRUST_200600_302600_NS6detail15normal_iteratorINSA_10device_ptrIiEEEEPS6_NSA_18transform_iteratorI7is_evenIiESF_NSA_11use_defaultESK_EENS0_5tupleIJSF_NSA_16discard_iteratorISK_EEEEENSM_IJSG_SG_EEES6_PlJS6_EEE10hipError_tPvRmT3_T4_T5_T6_T7_T9_mT8_P12ihipStream_tbDpT10_ENKUlT_T0_E_clISt17integral_constantIbLb0EES1A_IbLb1EEEEDaS16_S17_EUlS16_E_NS1_11comp_targetILNS1_3genE8ELNS1_11target_archE1030ELNS1_3gpuE2ELNS1_3repE0EEENS1_30default_config_static_selectorELNS0_4arch9wavefront6targetE1EEEvT1_
	.p2align	8
	.type	_ZN7rocprim17ROCPRIM_400000_NS6detail17trampoline_kernelINS0_14default_configENS1_25partition_config_selectorILNS1_17partition_subalgoE1EiNS0_10empty_typeEbEEZZNS1_14partition_implILS5_1ELb0ES3_jN6thrust23THRUST_200600_302600_NS6detail15normal_iteratorINSA_10device_ptrIiEEEEPS6_NSA_18transform_iteratorI7is_evenIiESF_NSA_11use_defaultESK_EENS0_5tupleIJSF_NSA_16discard_iteratorISK_EEEEENSM_IJSG_SG_EEES6_PlJS6_EEE10hipError_tPvRmT3_T4_T5_T6_T7_T9_mT8_P12ihipStream_tbDpT10_ENKUlT_T0_E_clISt17integral_constantIbLb0EES1A_IbLb1EEEEDaS16_S17_EUlS16_E_NS1_11comp_targetILNS1_3genE8ELNS1_11target_archE1030ELNS1_3gpuE2ELNS1_3repE0EEENS1_30default_config_static_selectorELNS0_4arch9wavefront6targetE1EEEvT1_,@function
_ZN7rocprim17ROCPRIM_400000_NS6detail17trampoline_kernelINS0_14default_configENS1_25partition_config_selectorILNS1_17partition_subalgoE1EiNS0_10empty_typeEbEEZZNS1_14partition_implILS5_1ELb0ES3_jN6thrust23THRUST_200600_302600_NS6detail15normal_iteratorINSA_10device_ptrIiEEEEPS6_NSA_18transform_iteratorI7is_evenIiESF_NSA_11use_defaultESK_EENS0_5tupleIJSF_NSA_16discard_iteratorISK_EEEEENSM_IJSG_SG_EEES6_PlJS6_EEE10hipError_tPvRmT3_T4_T5_T6_T7_T9_mT8_P12ihipStream_tbDpT10_ENKUlT_T0_E_clISt17integral_constantIbLb0EES1A_IbLb1EEEEDaS16_S17_EUlS16_E_NS1_11comp_targetILNS1_3genE8ELNS1_11target_archE1030ELNS1_3gpuE2ELNS1_3repE0EEENS1_30default_config_static_selectorELNS0_4arch9wavefront6targetE1EEEvT1_: ; @_ZN7rocprim17ROCPRIM_400000_NS6detail17trampoline_kernelINS0_14default_configENS1_25partition_config_selectorILNS1_17partition_subalgoE1EiNS0_10empty_typeEbEEZZNS1_14partition_implILS5_1ELb0ES3_jN6thrust23THRUST_200600_302600_NS6detail15normal_iteratorINSA_10device_ptrIiEEEEPS6_NSA_18transform_iteratorI7is_evenIiESF_NSA_11use_defaultESK_EENS0_5tupleIJSF_NSA_16discard_iteratorISK_EEEEENSM_IJSG_SG_EEES6_PlJS6_EEE10hipError_tPvRmT3_T4_T5_T6_T7_T9_mT8_P12ihipStream_tbDpT10_ENKUlT_T0_E_clISt17integral_constantIbLb0EES1A_IbLb1EEEEDaS16_S17_EUlS16_E_NS1_11comp_targetILNS1_3genE8ELNS1_11target_archE1030ELNS1_3gpuE2ELNS1_3repE0EEENS1_30default_config_static_selectorELNS0_4arch9wavefront6targetE1EEEvT1_
; %bb.0:
	.section	.rodata,"a",@progbits
	.p2align	6, 0x0
	.amdhsa_kernel _ZN7rocprim17ROCPRIM_400000_NS6detail17trampoline_kernelINS0_14default_configENS1_25partition_config_selectorILNS1_17partition_subalgoE1EiNS0_10empty_typeEbEEZZNS1_14partition_implILS5_1ELb0ES3_jN6thrust23THRUST_200600_302600_NS6detail15normal_iteratorINSA_10device_ptrIiEEEEPS6_NSA_18transform_iteratorI7is_evenIiESF_NSA_11use_defaultESK_EENS0_5tupleIJSF_NSA_16discard_iteratorISK_EEEEENSM_IJSG_SG_EEES6_PlJS6_EEE10hipError_tPvRmT3_T4_T5_T6_T7_T9_mT8_P12ihipStream_tbDpT10_ENKUlT_T0_E_clISt17integral_constantIbLb0EES1A_IbLb1EEEEDaS16_S17_EUlS16_E_NS1_11comp_targetILNS1_3genE8ELNS1_11target_archE1030ELNS1_3gpuE2ELNS1_3repE0EEENS1_30default_config_static_selectorELNS0_4arch9wavefront6targetE1EEEvT1_
		.amdhsa_group_segment_fixed_size 0
		.amdhsa_private_segment_fixed_size 0
		.amdhsa_kernarg_size 152
		.amdhsa_user_sgpr_count 2
		.amdhsa_user_sgpr_dispatch_ptr 0
		.amdhsa_user_sgpr_queue_ptr 0
		.amdhsa_user_sgpr_kernarg_segment_ptr 1
		.amdhsa_user_sgpr_dispatch_id 0
		.amdhsa_user_sgpr_kernarg_preload_length 0
		.amdhsa_user_sgpr_kernarg_preload_offset 0
		.amdhsa_user_sgpr_private_segment_size 0
		.amdhsa_uses_dynamic_stack 0
		.amdhsa_enable_private_segment 0
		.amdhsa_system_sgpr_workgroup_id_x 1
		.amdhsa_system_sgpr_workgroup_id_y 0
		.amdhsa_system_sgpr_workgroup_id_z 0
		.amdhsa_system_sgpr_workgroup_info 0
		.amdhsa_system_vgpr_workitem_id 0
		.amdhsa_next_free_vgpr 1
		.amdhsa_next_free_sgpr 0
		.amdhsa_accum_offset 4
		.amdhsa_reserve_vcc 0
		.amdhsa_float_round_mode_32 0
		.amdhsa_float_round_mode_16_64 0
		.amdhsa_float_denorm_mode_32 3
		.amdhsa_float_denorm_mode_16_64 3
		.amdhsa_dx10_clamp 1
		.amdhsa_ieee_mode 1
		.amdhsa_fp16_overflow 0
		.amdhsa_tg_split 0
		.amdhsa_exception_fp_ieee_invalid_op 0
		.amdhsa_exception_fp_denorm_src 0
		.amdhsa_exception_fp_ieee_div_zero 0
		.amdhsa_exception_fp_ieee_overflow 0
		.amdhsa_exception_fp_ieee_underflow 0
		.amdhsa_exception_fp_ieee_inexact 0
		.amdhsa_exception_int_div_zero 0
	.end_amdhsa_kernel
	.section	.text._ZN7rocprim17ROCPRIM_400000_NS6detail17trampoline_kernelINS0_14default_configENS1_25partition_config_selectorILNS1_17partition_subalgoE1EiNS0_10empty_typeEbEEZZNS1_14partition_implILS5_1ELb0ES3_jN6thrust23THRUST_200600_302600_NS6detail15normal_iteratorINSA_10device_ptrIiEEEEPS6_NSA_18transform_iteratorI7is_evenIiESF_NSA_11use_defaultESK_EENS0_5tupleIJSF_NSA_16discard_iteratorISK_EEEEENSM_IJSG_SG_EEES6_PlJS6_EEE10hipError_tPvRmT3_T4_T5_T6_T7_T9_mT8_P12ihipStream_tbDpT10_ENKUlT_T0_E_clISt17integral_constantIbLb0EES1A_IbLb1EEEEDaS16_S17_EUlS16_E_NS1_11comp_targetILNS1_3genE8ELNS1_11target_archE1030ELNS1_3gpuE2ELNS1_3repE0EEENS1_30default_config_static_selectorELNS0_4arch9wavefront6targetE1EEEvT1_,"axG",@progbits,_ZN7rocprim17ROCPRIM_400000_NS6detail17trampoline_kernelINS0_14default_configENS1_25partition_config_selectorILNS1_17partition_subalgoE1EiNS0_10empty_typeEbEEZZNS1_14partition_implILS5_1ELb0ES3_jN6thrust23THRUST_200600_302600_NS6detail15normal_iteratorINSA_10device_ptrIiEEEEPS6_NSA_18transform_iteratorI7is_evenIiESF_NSA_11use_defaultESK_EENS0_5tupleIJSF_NSA_16discard_iteratorISK_EEEEENSM_IJSG_SG_EEES6_PlJS6_EEE10hipError_tPvRmT3_T4_T5_T6_T7_T9_mT8_P12ihipStream_tbDpT10_ENKUlT_T0_E_clISt17integral_constantIbLb0EES1A_IbLb1EEEEDaS16_S17_EUlS16_E_NS1_11comp_targetILNS1_3genE8ELNS1_11target_archE1030ELNS1_3gpuE2ELNS1_3repE0EEENS1_30default_config_static_selectorELNS0_4arch9wavefront6targetE1EEEvT1_,comdat
.Lfunc_end3322:
	.size	_ZN7rocprim17ROCPRIM_400000_NS6detail17trampoline_kernelINS0_14default_configENS1_25partition_config_selectorILNS1_17partition_subalgoE1EiNS0_10empty_typeEbEEZZNS1_14partition_implILS5_1ELb0ES3_jN6thrust23THRUST_200600_302600_NS6detail15normal_iteratorINSA_10device_ptrIiEEEEPS6_NSA_18transform_iteratorI7is_evenIiESF_NSA_11use_defaultESK_EENS0_5tupleIJSF_NSA_16discard_iteratorISK_EEEEENSM_IJSG_SG_EEES6_PlJS6_EEE10hipError_tPvRmT3_T4_T5_T6_T7_T9_mT8_P12ihipStream_tbDpT10_ENKUlT_T0_E_clISt17integral_constantIbLb0EES1A_IbLb1EEEEDaS16_S17_EUlS16_E_NS1_11comp_targetILNS1_3genE8ELNS1_11target_archE1030ELNS1_3gpuE2ELNS1_3repE0EEENS1_30default_config_static_selectorELNS0_4arch9wavefront6targetE1EEEvT1_, .Lfunc_end3322-_ZN7rocprim17ROCPRIM_400000_NS6detail17trampoline_kernelINS0_14default_configENS1_25partition_config_selectorILNS1_17partition_subalgoE1EiNS0_10empty_typeEbEEZZNS1_14partition_implILS5_1ELb0ES3_jN6thrust23THRUST_200600_302600_NS6detail15normal_iteratorINSA_10device_ptrIiEEEEPS6_NSA_18transform_iteratorI7is_evenIiESF_NSA_11use_defaultESK_EENS0_5tupleIJSF_NSA_16discard_iteratorISK_EEEEENSM_IJSG_SG_EEES6_PlJS6_EEE10hipError_tPvRmT3_T4_T5_T6_T7_T9_mT8_P12ihipStream_tbDpT10_ENKUlT_T0_E_clISt17integral_constantIbLb0EES1A_IbLb1EEEEDaS16_S17_EUlS16_E_NS1_11comp_targetILNS1_3genE8ELNS1_11target_archE1030ELNS1_3gpuE2ELNS1_3repE0EEENS1_30default_config_static_selectorELNS0_4arch9wavefront6targetE1EEEvT1_
                                        ; -- End function
	.section	.AMDGPU.csdata,"",@progbits
; Kernel info:
; codeLenInByte = 0
; NumSgprs: 6
; NumVgprs: 0
; NumAgprs: 0
; TotalNumVgprs: 0
; ScratchSize: 0
; MemoryBound: 0
; FloatMode: 240
; IeeeMode: 1
; LDSByteSize: 0 bytes/workgroup (compile time only)
; SGPRBlocks: 0
; VGPRBlocks: 0
; NumSGPRsForWavesPerEU: 6
; NumVGPRsForWavesPerEU: 1
; AccumOffset: 4
; Occupancy: 8
; WaveLimiterHint : 0
; COMPUTE_PGM_RSRC2:SCRATCH_EN: 0
; COMPUTE_PGM_RSRC2:USER_SGPR: 2
; COMPUTE_PGM_RSRC2:TRAP_HANDLER: 0
; COMPUTE_PGM_RSRC2:TGID_X_EN: 1
; COMPUTE_PGM_RSRC2:TGID_Y_EN: 0
; COMPUTE_PGM_RSRC2:TGID_Z_EN: 0
; COMPUTE_PGM_RSRC2:TIDIG_COMP_CNT: 0
; COMPUTE_PGM_RSRC3_GFX90A:ACCUM_OFFSET: 0
; COMPUTE_PGM_RSRC3_GFX90A:TG_SPLIT: 0
	.section	.text._ZN7rocprim17ROCPRIM_400000_NS6detail17trampoline_kernelINS0_14default_configENS1_25partition_config_selectorILNS1_17partition_subalgoE1EiNS0_10empty_typeEbEEZZNS1_14partition_implILS5_1ELb0ES3_jN6thrust23THRUST_200600_302600_NS6detail15normal_iteratorINSA_10device_ptrIiEEEEPS6_NSA_18transform_iteratorI7is_evenIiESF_NSA_11use_defaultESK_EENS0_5tupleIJNSA_16discard_iteratorISK_EESF_EEENSM_IJSG_SG_EEES6_PlJS6_EEE10hipError_tPvRmT3_T4_T5_T6_T7_T9_mT8_P12ihipStream_tbDpT10_ENKUlT_T0_E_clISt17integral_constantIbLb0EES1B_EEDaS16_S17_EUlS16_E_NS1_11comp_targetILNS1_3genE0ELNS1_11target_archE4294967295ELNS1_3gpuE0ELNS1_3repE0EEENS1_30default_config_static_selectorELNS0_4arch9wavefront6targetE1EEEvT1_,"axG",@progbits,_ZN7rocprim17ROCPRIM_400000_NS6detail17trampoline_kernelINS0_14default_configENS1_25partition_config_selectorILNS1_17partition_subalgoE1EiNS0_10empty_typeEbEEZZNS1_14partition_implILS5_1ELb0ES3_jN6thrust23THRUST_200600_302600_NS6detail15normal_iteratorINSA_10device_ptrIiEEEEPS6_NSA_18transform_iteratorI7is_evenIiESF_NSA_11use_defaultESK_EENS0_5tupleIJNSA_16discard_iteratorISK_EESF_EEENSM_IJSG_SG_EEES6_PlJS6_EEE10hipError_tPvRmT3_T4_T5_T6_T7_T9_mT8_P12ihipStream_tbDpT10_ENKUlT_T0_E_clISt17integral_constantIbLb0EES1B_EEDaS16_S17_EUlS16_E_NS1_11comp_targetILNS1_3genE0ELNS1_11target_archE4294967295ELNS1_3gpuE0ELNS1_3repE0EEENS1_30default_config_static_selectorELNS0_4arch9wavefront6targetE1EEEvT1_,comdat
	.protected	_ZN7rocprim17ROCPRIM_400000_NS6detail17trampoline_kernelINS0_14default_configENS1_25partition_config_selectorILNS1_17partition_subalgoE1EiNS0_10empty_typeEbEEZZNS1_14partition_implILS5_1ELb0ES3_jN6thrust23THRUST_200600_302600_NS6detail15normal_iteratorINSA_10device_ptrIiEEEEPS6_NSA_18transform_iteratorI7is_evenIiESF_NSA_11use_defaultESK_EENS0_5tupleIJNSA_16discard_iteratorISK_EESF_EEENSM_IJSG_SG_EEES6_PlJS6_EEE10hipError_tPvRmT3_T4_T5_T6_T7_T9_mT8_P12ihipStream_tbDpT10_ENKUlT_T0_E_clISt17integral_constantIbLb0EES1B_EEDaS16_S17_EUlS16_E_NS1_11comp_targetILNS1_3genE0ELNS1_11target_archE4294967295ELNS1_3gpuE0ELNS1_3repE0EEENS1_30default_config_static_selectorELNS0_4arch9wavefront6targetE1EEEvT1_ ; -- Begin function _ZN7rocprim17ROCPRIM_400000_NS6detail17trampoline_kernelINS0_14default_configENS1_25partition_config_selectorILNS1_17partition_subalgoE1EiNS0_10empty_typeEbEEZZNS1_14partition_implILS5_1ELb0ES3_jN6thrust23THRUST_200600_302600_NS6detail15normal_iteratorINSA_10device_ptrIiEEEEPS6_NSA_18transform_iteratorI7is_evenIiESF_NSA_11use_defaultESK_EENS0_5tupleIJNSA_16discard_iteratorISK_EESF_EEENSM_IJSG_SG_EEES6_PlJS6_EEE10hipError_tPvRmT3_T4_T5_T6_T7_T9_mT8_P12ihipStream_tbDpT10_ENKUlT_T0_E_clISt17integral_constantIbLb0EES1B_EEDaS16_S17_EUlS16_E_NS1_11comp_targetILNS1_3genE0ELNS1_11target_archE4294967295ELNS1_3gpuE0ELNS1_3repE0EEENS1_30default_config_static_selectorELNS0_4arch9wavefront6targetE1EEEvT1_
	.globl	_ZN7rocprim17ROCPRIM_400000_NS6detail17trampoline_kernelINS0_14default_configENS1_25partition_config_selectorILNS1_17partition_subalgoE1EiNS0_10empty_typeEbEEZZNS1_14partition_implILS5_1ELb0ES3_jN6thrust23THRUST_200600_302600_NS6detail15normal_iteratorINSA_10device_ptrIiEEEEPS6_NSA_18transform_iteratorI7is_evenIiESF_NSA_11use_defaultESK_EENS0_5tupleIJNSA_16discard_iteratorISK_EESF_EEENSM_IJSG_SG_EEES6_PlJS6_EEE10hipError_tPvRmT3_T4_T5_T6_T7_T9_mT8_P12ihipStream_tbDpT10_ENKUlT_T0_E_clISt17integral_constantIbLb0EES1B_EEDaS16_S17_EUlS16_E_NS1_11comp_targetILNS1_3genE0ELNS1_11target_archE4294967295ELNS1_3gpuE0ELNS1_3repE0EEENS1_30default_config_static_selectorELNS0_4arch9wavefront6targetE1EEEvT1_
	.p2align	8
	.type	_ZN7rocprim17ROCPRIM_400000_NS6detail17trampoline_kernelINS0_14default_configENS1_25partition_config_selectorILNS1_17partition_subalgoE1EiNS0_10empty_typeEbEEZZNS1_14partition_implILS5_1ELb0ES3_jN6thrust23THRUST_200600_302600_NS6detail15normal_iteratorINSA_10device_ptrIiEEEEPS6_NSA_18transform_iteratorI7is_evenIiESF_NSA_11use_defaultESK_EENS0_5tupleIJNSA_16discard_iteratorISK_EESF_EEENSM_IJSG_SG_EEES6_PlJS6_EEE10hipError_tPvRmT3_T4_T5_T6_T7_T9_mT8_P12ihipStream_tbDpT10_ENKUlT_T0_E_clISt17integral_constantIbLb0EES1B_EEDaS16_S17_EUlS16_E_NS1_11comp_targetILNS1_3genE0ELNS1_11target_archE4294967295ELNS1_3gpuE0ELNS1_3repE0EEENS1_30default_config_static_selectorELNS0_4arch9wavefront6targetE1EEEvT1_,@function
_ZN7rocprim17ROCPRIM_400000_NS6detail17trampoline_kernelINS0_14default_configENS1_25partition_config_selectorILNS1_17partition_subalgoE1EiNS0_10empty_typeEbEEZZNS1_14partition_implILS5_1ELb0ES3_jN6thrust23THRUST_200600_302600_NS6detail15normal_iteratorINSA_10device_ptrIiEEEEPS6_NSA_18transform_iteratorI7is_evenIiESF_NSA_11use_defaultESK_EENS0_5tupleIJNSA_16discard_iteratorISK_EESF_EEENSM_IJSG_SG_EEES6_PlJS6_EEE10hipError_tPvRmT3_T4_T5_T6_T7_T9_mT8_P12ihipStream_tbDpT10_ENKUlT_T0_E_clISt17integral_constantIbLb0EES1B_EEDaS16_S17_EUlS16_E_NS1_11comp_targetILNS1_3genE0ELNS1_11target_archE4294967295ELNS1_3gpuE0ELNS1_3repE0EEENS1_30default_config_static_selectorELNS0_4arch9wavefront6targetE1EEEvT1_: ; @_ZN7rocprim17ROCPRIM_400000_NS6detail17trampoline_kernelINS0_14default_configENS1_25partition_config_selectorILNS1_17partition_subalgoE1EiNS0_10empty_typeEbEEZZNS1_14partition_implILS5_1ELb0ES3_jN6thrust23THRUST_200600_302600_NS6detail15normal_iteratorINSA_10device_ptrIiEEEEPS6_NSA_18transform_iteratorI7is_evenIiESF_NSA_11use_defaultESK_EENS0_5tupleIJNSA_16discard_iteratorISK_EESF_EEENSM_IJSG_SG_EEES6_PlJS6_EEE10hipError_tPvRmT3_T4_T5_T6_T7_T9_mT8_P12ihipStream_tbDpT10_ENKUlT_T0_E_clISt17integral_constantIbLb0EES1B_EEDaS16_S17_EUlS16_E_NS1_11comp_targetILNS1_3genE0ELNS1_11target_archE4294967295ELNS1_3gpuE0ELNS1_3repE0EEENS1_30default_config_static_selectorELNS0_4arch9wavefront6targetE1EEEvT1_
; %bb.0:
	.section	.rodata,"a",@progbits
	.p2align	6, 0x0
	.amdhsa_kernel _ZN7rocprim17ROCPRIM_400000_NS6detail17trampoline_kernelINS0_14default_configENS1_25partition_config_selectorILNS1_17partition_subalgoE1EiNS0_10empty_typeEbEEZZNS1_14partition_implILS5_1ELb0ES3_jN6thrust23THRUST_200600_302600_NS6detail15normal_iteratorINSA_10device_ptrIiEEEEPS6_NSA_18transform_iteratorI7is_evenIiESF_NSA_11use_defaultESK_EENS0_5tupleIJNSA_16discard_iteratorISK_EESF_EEENSM_IJSG_SG_EEES6_PlJS6_EEE10hipError_tPvRmT3_T4_T5_T6_T7_T9_mT8_P12ihipStream_tbDpT10_ENKUlT_T0_E_clISt17integral_constantIbLb0EES1B_EEDaS16_S17_EUlS16_E_NS1_11comp_targetILNS1_3genE0ELNS1_11target_archE4294967295ELNS1_3gpuE0ELNS1_3repE0EEENS1_30default_config_static_selectorELNS0_4arch9wavefront6targetE1EEEvT1_
		.amdhsa_group_segment_fixed_size 0
		.amdhsa_private_segment_fixed_size 0
		.amdhsa_kernarg_size 136
		.amdhsa_user_sgpr_count 2
		.amdhsa_user_sgpr_dispatch_ptr 0
		.amdhsa_user_sgpr_queue_ptr 0
		.amdhsa_user_sgpr_kernarg_segment_ptr 1
		.amdhsa_user_sgpr_dispatch_id 0
		.amdhsa_user_sgpr_kernarg_preload_length 0
		.amdhsa_user_sgpr_kernarg_preload_offset 0
		.amdhsa_user_sgpr_private_segment_size 0
		.amdhsa_uses_dynamic_stack 0
		.amdhsa_enable_private_segment 0
		.amdhsa_system_sgpr_workgroup_id_x 1
		.amdhsa_system_sgpr_workgroup_id_y 0
		.amdhsa_system_sgpr_workgroup_id_z 0
		.amdhsa_system_sgpr_workgroup_info 0
		.amdhsa_system_vgpr_workitem_id 0
		.amdhsa_next_free_vgpr 1
		.amdhsa_next_free_sgpr 0
		.amdhsa_accum_offset 4
		.amdhsa_reserve_vcc 0
		.amdhsa_float_round_mode_32 0
		.amdhsa_float_round_mode_16_64 0
		.amdhsa_float_denorm_mode_32 3
		.amdhsa_float_denorm_mode_16_64 3
		.amdhsa_dx10_clamp 1
		.amdhsa_ieee_mode 1
		.amdhsa_fp16_overflow 0
		.amdhsa_tg_split 0
		.amdhsa_exception_fp_ieee_invalid_op 0
		.amdhsa_exception_fp_denorm_src 0
		.amdhsa_exception_fp_ieee_div_zero 0
		.amdhsa_exception_fp_ieee_overflow 0
		.amdhsa_exception_fp_ieee_underflow 0
		.amdhsa_exception_fp_ieee_inexact 0
		.amdhsa_exception_int_div_zero 0
	.end_amdhsa_kernel
	.section	.text._ZN7rocprim17ROCPRIM_400000_NS6detail17trampoline_kernelINS0_14default_configENS1_25partition_config_selectorILNS1_17partition_subalgoE1EiNS0_10empty_typeEbEEZZNS1_14partition_implILS5_1ELb0ES3_jN6thrust23THRUST_200600_302600_NS6detail15normal_iteratorINSA_10device_ptrIiEEEEPS6_NSA_18transform_iteratorI7is_evenIiESF_NSA_11use_defaultESK_EENS0_5tupleIJNSA_16discard_iteratorISK_EESF_EEENSM_IJSG_SG_EEES6_PlJS6_EEE10hipError_tPvRmT3_T4_T5_T6_T7_T9_mT8_P12ihipStream_tbDpT10_ENKUlT_T0_E_clISt17integral_constantIbLb0EES1B_EEDaS16_S17_EUlS16_E_NS1_11comp_targetILNS1_3genE0ELNS1_11target_archE4294967295ELNS1_3gpuE0ELNS1_3repE0EEENS1_30default_config_static_selectorELNS0_4arch9wavefront6targetE1EEEvT1_,"axG",@progbits,_ZN7rocprim17ROCPRIM_400000_NS6detail17trampoline_kernelINS0_14default_configENS1_25partition_config_selectorILNS1_17partition_subalgoE1EiNS0_10empty_typeEbEEZZNS1_14partition_implILS5_1ELb0ES3_jN6thrust23THRUST_200600_302600_NS6detail15normal_iteratorINSA_10device_ptrIiEEEEPS6_NSA_18transform_iteratorI7is_evenIiESF_NSA_11use_defaultESK_EENS0_5tupleIJNSA_16discard_iteratorISK_EESF_EEENSM_IJSG_SG_EEES6_PlJS6_EEE10hipError_tPvRmT3_T4_T5_T6_T7_T9_mT8_P12ihipStream_tbDpT10_ENKUlT_T0_E_clISt17integral_constantIbLb0EES1B_EEDaS16_S17_EUlS16_E_NS1_11comp_targetILNS1_3genE0ELNS1_11target_archE4294967295ELNS1_3gpuE0ELNS1_3repE0EEENS1_30default_config_static_selectorELNS0_4arch9wavefront6targetE1EEEvT1_,comdat
.Lfunc_end3323:
	.size	_ZN7rocprim17ROCPRIM_400000_NS6detail17trampoline_kernelINS0_14default_configENS1_25partition_config_selectorILNS1_17partition_subalgoE1EiNS0_10empty_typeEbEEZZNS1_14partition_implILS5_1ELb0ES3_jN6thrust23THRUST_200600_302600_NS6detail15normal_iteratorINSA_10device_ptrIiEEEEPS6_NSA_18transform_iteratorI7is_evenIiESF_NSA_11use_defaultESK_EENS0_5tupleIJNSA_16discard_iteratorISK_EESF_EEENSM_IJSG_SG_EEES6_PlJS6_EEE10hipError_tPvRmT3_T4_T5_T6_T7_T9_mT8_P12ihipStream_tbDpT10_ENKUlT_T0_E_clISt17integral_constantIbLb0EES1B_EEDaS16_S17_EUlS16_E_NS1_11comp_targetILNS1_3genE0ELNS1_11target_archE4294967295ELNS1_3gpuE0ELNS1_3repE0EEENS1_30default_config_static_selectorELNS0_4arch9wavefront6targetE1EEEvT1_, .Lfunc_end3323-_ZN7rocprim17ROCPRIM_400000_NS6detail17trampoline_kernelINS0_14default_configENS1_25partition_config_selectorILNS1_17partition_subalgoE1EiNS0_10empty_typeEbEEZZNS1_14partition_implILS5_1ELb0ES3_jN6thrust23THRUST_200600_302600_NS6detail15normal_iteratorINSA_10device_ptrIiEEEEPS6_NSA_18transform_iteratorI7is_evenIiESF_NSA_11use_defaultESK_EENS0_5tupleIJNSA_16discard_iteratorISK_EESF_EEENSM_IJSG_SG_EEES6_PlJS6_EEE10hipError_tPvRmT3_T4_T5_T6_T7_T9_mT8_P12ihipStream_tbDpT10_ENKUlT_T0_E_clISt17integral_constantIbLb0EES1B_EEDaS16_S17_EUlS16_E_NS1_11comp_targetILNS1_3genE0ELNS1_11target_archE4294967295ELNS1_3gpuE0ELNS1_3repE0EEENS1_30default_config_static_selectorELNS0_4arch9wavefront6targetE1EEEvT1_
                                        ; -- End function
	.section	.AMDGPU.csdata,"",@progbits
; Kernel info:
; codeLenInByte = 0
; NumSgprs: 6
; NumVgprs: 0
; NumAgprs: 0
; TotalNumVgprs: 0
; ScratchSize: 0
; MemoryBound: 0
; FloatMode: 240
; IeeeMode: 1
; LDSByteSize: 0 bytes/workgroup (compile time only)
; SGPRBlocks: 0
; VGPRBlocks: 0
; NumSGPRsForWavesPerEU: 6
; NumVGPRsForWavesPerEU: 1
; AccumOffset: 4
; Occupancy: 8
; WaveLimiterHint : 0
; COMPUTE_PGM_RSRC2:SCRATCH_EN: 0
; COMPUTE_PGM_RSRC2:USER_SGPR: 2
; COMPUTE_PGM_RSRC2:TRAP_HANDLER: 0
; COMPUTE_PGM_RSRC2:TGID_X_EN: 1
; COMPUTE_PGM_RSRC2:TGID_Y_EN: 0
; COMPUTE_PGM_RSRC2:TGID_Z_EN: 0
; COMPUTE_PGM_RSRC2:TIDIG_COMP_CNT: 0
; COMPUTE_PGM_RSRC3_GFX90A:ACCUM_OFFSET: 0
; COMPUTE_PGM_RSRC3_GFX90A:TG_SPLIT: 0
	.section	.text._ZN7rocprim17ROCPRIM_400000_NS6detail17trampoline_kernelINS0_14default_configENS1_25partition_config_selectorILNS1_17partition_subalgoE1EiNS0_10empty_typeEbEEZZNS1_14partition_implILS5_1ELb0ES3_jN6thrust23THRUST_200600_302600_NS6detail15normal_iteratorINSA_10device_ptrIiEEEEPS6_NSA_18transform_iteratorI7is_evenIiESF_NSA_11use_defaultESK_EENS0_5tupleIJNSA_16discard_iteratorISK_EESF_EEENSM_IJSG_SG_EEES6_PlJS6_EEE10hipError_tPvRmT3_T4_T5_T6_T7_T9_mT8_P12ihipStream_tbDpT10_ENKUlT_T0_E_clISt17integral_constantIbLb0EES1B_EEDaS16_S17_EUlS16_E_NS1_11comp_targetILNS1_3genE5ELNS1_11target_archE942ELNS1_3gpuE9ELNS1_3repE0EEENS1_30default_config_static_selectorELNS0_4arch9wavefront6targetE1EEEvT1_,"axG",@progbits,_ZN7rocprim17ROCPRIM_400000_NS6detail17trampoline_kernelINS0_14default_configENS1_25partition_config_selectorILNS1_17partition_subalgoE1EiNS0_10empty_typeEbEEZZNS1_14partition_implILS5_1ELb0ES3_jN6thrust23THRUST_200600_302600_NS6detail15normal_iteratorINSA_10device_ptrIiEEEEPS6_NSA_18transform_iteratorI7is_evenIiESF_NSA_11use_defaultESK_EENS0_5tupleIJNSA_16discard_iteratorISK_EESF_EEENSM_IJSG_SG_EEES6_PlJS6_EEE10hipError_tPvRmT3_T4_T5_T6_T7_T9_mT8_P12ihipStream_tbDpT10_ENKUlT_T0_E_clISt17integral_constantIbLb0EES1B_EEDaS16_S17_EUlS16_E_NS1_11comp_targetILNS1_3genE5ELNS1_11target_archE942ELNS1_3gpuE9ELNS1_3repE0EEENS1_30default_config_static_selectorELNS0_4arch9wavefront6targetE1EEEvT1_,comdat
	.protected	_ZN7rocprim17ROCPRIM_400000_NS6detail17trampoline_kernelINS0_14default_configENS1_25partition_config_selectorILNS1_17partition_subalgoE1EiNS0_10empty_typeEbEEZZNS1_14partition_implILS5_1ELb0ES3_jN6thrust23THRUST_200600_302600_NS6detail15normal_iteratorINSA_10device_ptrIiEEEEPS6_NSA_18transform_iteratorI7is_evenIiESF_NSA_11use_defaultESK_EENS0_5tupleIJNSA_16discard_iteratorISK_EESF_EEENSM_IJSG_SG_EEES6_PlJS6_EEE10hipError_tPvRmT3_T4_T5_T6_T7_T9_mT8_P12ihipStream_tbDpT10_ENKUlT_T0_E_clISt17integral_constantIbLb0EES1B_EEDaS16_S17_EUlS16_E_NS1_11comp_targetILNS1_3genE5ELNS1_11target_archE942ELNS1_3gpuE9ELNS1_3repE0EEENS1_30default_config_static_selectorELNS0_4arch9wavefront6targetE1EEEvT1_ ; -- Begin function _ZN7rocprim17ROCPRIM_400000_NS6detail17trampoline_kernelINS0_14default_configENS1_25partition_config_selectorILNS1_17partition_subalgoE1EiNS0_10empty_typeEbEEZZNS1_14partition_implILS5_1ELb0ES3_jN6thrust23THRUST_200600_302600_NS6detail15normal_iteratorINSA_10device_ptrIiEEEEPS6_NSA_18transform_iteratorI7is_evenIiESF_NSA_11use_defaultESK_EENS0_5tupleIJNSA_16discard_iteratorISK_EESF_EEENSM_IJSG_SG_EEES6_PlJS6_EEE10hipError_tPvRmT3_T4_T5_T6_T7_T9_mT8_P12ihipStream_tbDpT10_ENKUlT_T0_E_clISt17integral_constantIbLb0EES1B_EEDaS16_S17_EUlS16_E_NS1_11comp_targetILNS1_3genE5ELNS1_11target_archE942ELNS1_3gpuE9ELNS1_3repE0EEENS1_30default_config_static_selectorELNS0_4arch9wavefront6targetE1EEEvT1_
	.globl	_ZN7rocprim17ROCPRIM_400000_NS6detail17trampoline_kernelINS0_14default_configENS1_25partition_config_selectorILNS1_17partition_subalgoE1EiNS0_10empty_typeEbEEZZNS1_14partition_implILS5_1ELb0ES3_jN6thrust23THRUST_200600_302600_NS6detail15normal_iteratorINSA_10device_ptrIiEEEEPS6_NSA_18transform_iteratorI7is_evenIiESF_NSA_11use_defaultESK_EENS0_5tupleIJNSA_16discard_iteratorISK_EESF_EEENSM_IJSG_SG_EEES6_PlJS6_EEE10hipError_tPvRmT3_T4_T5_T6_T7_T9_mT8_P12ihipStream_tbDpT10_ENKUlT_T0_E_clISt17integral_constantIbLb0EES1B_EEDaS16_S17_EUlS16_E_NS1_11comp_targetILNS1_3genE5ELNS1_11target_archE942ELNS1_3gpuE9ELNS1_3repE0EEENS1_30default_config_static_selectorELNS0_4arch9wavefront6targetE1EEEvT1_
	.p2align	8
	.type	_ZN7rocprim17ROCPRIM_400000_NS6detail17trampoline_kernelINS0_14default_configENS1_25partition_config_selectorILNS1_17partition_subalgoE1EiNS0_10empty_typeEbEEZZNS1_14partition_implILS5_1ELb0ES3_jN6thrust23THRUST_200600_302600_NS6detail15normal_iteratorINSA_10device_ptrIiEEEEPS6_NSA_18transform_iteratorI7is_evenIiESF_NSA_11use_defaultESK_EENS0_5tupleIJNSA_16discard_iteratorISK_EESF_EEENSM_IJSG_SG_EEES6_PlJS6_EEE10hipError_tPvRmT3_T4_T5_T6_T7_T9_mT8_P12ihipStream_tbDpT10_ENKUlT_T0_E_clISt17integral_constantIbLb0EES1B_EEDaS16_S17_EUlS16_E_NS1_11comp_targetILNS1_3genE5ELNS1_11target_archE942ELNS1_3gpuE9ELNS1_3repE0EEENS1_30default_config_static_selectorELNS0_4arch9wavefront6targetE1EEEvT1_,@function
_ZN7rocprim17ROCPRIM_400000_NS6detail17trampoline_kernelINS0_14default_configENS1_25partition_config_selectorILNS1_17partition_subalgoE1EiNS0_10empty_typeEbEEZZNS1_14partition_implILS5_1ELb0ES3_jN6thrust23THRUST_200600_302600_NS6detail15normal_iteratorINSA_10device_ptrIiEEEEPS6_NSA_18transform_iteratorI7is_evenIiESF_NSA_11use_defaultESK_EENS0_5tupleIJNSA_16discard_iteratorISK_EESF_EEENSM_IJSG_SG_EEES6_PlJS6_EEE10hipError_tPvRmT3_T4_T5_T6_T7_T9_mT8_P12ihipStream_tbDpT10_ENKUlT_T0_E_clISt17integral_constantIbLb0EES1B_EEDaS16_S17_EUlS16_E_NS1_11comp_targetILNS1_3genE5ELNS1_11target_archE942ELNS1_3gpuE9ELNS1_3repE0EEENS1_30default_config_static_selectorELNS0_4arch9wavefront6targetE1EEEvT1_: ; @_ZN7rocprim17ROCPRIM_400000_NS6detail17trampoline_kernelINS0_14default_configENS1_25partition_config_selectorILNS1_17partition_subalgoE1EiNS0_10empty_typeEbEEZZNS1_14partition_implILS5_1ELb0ES3_jN6thrust23THRUST_200600_302600_NS6detail15normal_iteratorINSA_10device_ptrIiEEEEPS6_NSA_18transform_iteratorI7is_evenIiESF_NSA_11use_defaultESK_EENS0_5tupleIJNSA_16discard_iteratorISK_EESF_EEENSM_IJSG_SG_EEES6_PlJS6_EEE10hipError_tPvRmT3_T4_T5_T6_T7_T9_mT8_P12ihipStream_tbDpT10_ENKUlT_T0_E_clISt17integral_constantIbLb0EES1B_EEDaS16_S17_EUlS16_E_NS1_11comp_targetILNS1_3genE5ELNS1_11target_archE942ELNS1_3gpuE9ELNS1_3repE0EEENS1_30default_config_static_selectorELNS0_4arch9wavefront6targetE1EEEvT1_
; %bb.0:
	s_load_dwordx2 s[4:5], s[0:1], 0x68
	s_load_dwordx4 s[24:27], s[0:1], 0x8
	s_load_dwordx2 s[6:7], s[0:1], 0x20
	s_load_dwordx4 s[20:23], s[0:1], 0x58
	s_load_dword s3, s[0:1], 0x80
	s_waitcnt lgkmcnt(0)
	v_mov_b32_e32 v3, s5
	s_lshl_b64 s[8:9], s[26:27], 2
	s_add_u32 s12, s24, s8
	s_addc_u32 s13, s25, s9
	s_add_i32 s14, s3, -1
	s_mulk_i32 s3, 0x1e00
	s_add_i32 s5, s3, s26
	s_sub_i32 s33, s4, s5
	s_addk_i32 s33, 0x1e00
	v_mov_b32_e32 v2, s4
	s_add_u32 s4, s26, s3
	s_addc_u32 s5, s27, 0
	s_cmp_eq_u32 s2, s14
	s_load_dwordx2 s[24:25], s[22:23], 0x0
	s_cselect_b64 s[22:23], -1, 0
	s_cmp_lg_u32 s2, s14
	s_mul_i32 s10, s2, 0x1e00
	s_mov_b32 s11, 0
	v_cmp_lt_u64_e32 vcc, s[4:5], v[2:3]
	s_cselect_b64 s[4:5], -1, 0
	s_or_b64 s[28:29], s[4:5], vcc
	s_lshl_b64 s[30:31], s[10:11], 2
	s_add_u32 s10, s12, s30
	s_addc_u32 s11, s13, s31
	s_mov_b64 s[4:5], -1
	s_and_b64 vcc, exec, s[28:29]
	v_lshlrev_b32_e32 v22, 2, v0
	s_cbranch_vccz .LBB3324_2
; %bb.1:
	v_mov_b32_e32 v23, 0
	v_lshl_add_u64 v[2:3], s[10:11], 0, v[22:23]
	v_add_co_u32_e32 v4, vcc, 0x1000, v2
	s_mov_b64 s[4:5], 0
	s_nop 0
	v_addc_co_u32_e32 v5, vcc, 0, v3, vcc
	v_add_co_u32_e32 v6, vcc, 0x2000, v2
	s_nop 1
	v_addc_co_u32_e32 v7, vcc, 0, v3, vcc
	v_add_co_u32_e32 v8, vcc, 0x3000, v2
	s_nop 1
	v_addc_co_u32_e32 v9, vcc, 0, v3, vcc
	flat_load_dword v1, v[2:3]
	flat_load_dword v10, v[2:3] offset:2048
	flat_load_dword v11, v[4:5]
	flat_load_dword v12, v[4:5] offset:2048
	;; [unrolled: 2-line block ×4, first 2 shown]
	v_add_co_u32_e32 v4, vcc, 0x4000, v2
	s_nop 1
	v_addc_co_u32_e32 v5, vcc, 0, v3, vcc
	v_add_co_u32_e32 v6, vcc, 0x5000, v2
	s_nop 1
	v_addc_co_u32_e32 v7, vcc, 0, v3, vcc
	;; [unrolled: 3-line block ×4, first 2 shown]
	flat_load_dword v17, v[4:5]
	flat_load_dword v18, v[4:5] offset:2048
	flat_load_dword v19, v[6:7]
	flat_load_dword v20, v[6:7] offset:2048
	;; [unrolled: 2-line block ×3, first 2 shown]
	flat_load_dword v24, v[2:3]
	s_waitcnt vmcnt(0) lgkmcnt(0)
	ds_write2st64_b32 v22, v1, v10 offset1:8
	ds_write2st64_b32 v22, v11, v12 offset0:16 offset1:24
	ds_write2st64_b32 v22, v13, v14 offset0:32 offset1:40
	;; [unrolled: 1-line block ×6, first 2 shown]
	ds_write_b32 v22, v24 offset:28672
	s_waitcnt lgkmcnt(0)
	s_barrier
.LBB3324_2:
	s_andn2_b64 vcc, exec, s[4:5]
	v_cmp_gt_u32_e64 s[4:5], s33, v0
	s_cbranch_vccnz .LBB3324_34
; %bb.3:
                                        ; implicit-def: $vgpr2_vgpr3_vgpr4_vgpr5_vgpr6_vgpr7_vgpr8_vgpr9_vgpr10_vgpr11_vgpr12_vgpr13_vgpr14_vgpr15_vgpr16_vgpr17
	s_and_saveexec_b64 s[12:13], s[4:5]
	s_cbranch_execz .LBB3324_5
; %bb.4:
	v_mov_b32_e32 v23, 0
	v_lshl_add_u64 v[2:3], s[10:11], 0, v[22:23]
	flat_load_dword v2, v[2:3]
.LBB3324_5:
	s_or_b64 exec, exec, s[12:13]
	v_or_b32_e32 v1, 0x200, v0
	v_cmp_gt_u32_e32 vcc, s33, v1
	s_and_saveexec_b64 s[4:5], vcc
	s_cbranch_execz .LBB3324_7
; %bb.6:
	v_mov_b32_e32 v23, 0
	v_lshl_add_u64 v[18:19], s[10:11], 0, v[22:23]
	flat_load_dword v3, v[18:19] offset:2048
.LBB3324_7:
	s_or_b64 exec, exec, s[4:5]
	v_or_b32_e32 v1, 0x400, v0
	v_cmp_gt_u32_e32 vcc, s33, v1
	s_and_saveexec_b64 s[4:5], vcc
	s_cbranch_execz .LBB3324_9
; %bb.8:
	v_lshlrev_b32_e32 v18, 2, v1
	v_mov_b32_e32 v19, 0
	v_lshl_add_u64 v[18:19], s[10:11], 0, v[18:19]
	flat_load_dword v4, v[18:19]
.LBB3324_9:
	s_or_b64 exec, exec, s[4:5]
	v_or_b32_e32 v1, 0x600, v0
	v_cmp_gt_u32_e32 vcc, s33, v1
	s_and_saveexec_b64 s[4:5], vcc
	s_cbranch_execz .LBB3324_11
; %bb.10:
	v_lshlrev_b32_e32 v18, 2, v1
	v_mov_b32_e32 v19, 0
	v_lshl_add_u64 v[18:19], s[10:11], 0, v[18:19]
	flat_load_dword v5, v[18:19]
.LBB3324_11:
	;; [unrolled: 11-line block ×13, first 2 shown]
	s_or_b64 exec, exec, s[4:5]
	s_waitcnt vmcnt(0) lgkmcnt(0)
	ds_write2st64_b32 v22, v2, v3 offset1:8
	ds_write2st64_b32 v22, v4, v5 offset0:16 offset1:24
	ds_write2st64_b32 v22, v6, v7 offset0:32 offset1:40
	ds_write2st64_b32 v22, v8, v9 offset0:48 offset1:56
	ds_write2st64_b32 v22, v10, v11 offset0:64 offset1:72
	ds_write2st64_b32 v22, v12, v13 offset0:80 offset1:88
	ds_write2st64_b32 v22, v14, v15 offset0:96 offset1:104
	ds_write_b32 v22, v16 offset:28672
	s_waitcnt lgkmcnt(0)
	s_barrier
.LBB3324_34:
	v_mul_u32_u24_e32 v21, 15, v0
	v_lshlrev_b32_e32 v1, 2, v21
	s_waitcnt lgkmcnt(0)
	ds_read2_b32 v[36:37], v1 offset1:1
	ds_read2_b32 v[34:35], v1 offset0:2 offset1:3
	ds_read2_b32 v[32:33], v1 offset0:4 offset1:5
	;; [unrolled: 1-line block ×6, first 2 shown]
	ds_read_b32 v1, v1 offset:56
	s_add_u32 s3, s6, s8
	s_addc_u32 s5, s7, s9
	s_add_u32 s4, s3, s30
	s_addc_u32 s5, s5, s31
	s_mov_b64 s[6:7], -1
	s_and_b64 vcc, exec, s[28:29]
	s_waitcnt lgkmcnt(0)
	s_barrier
	s_cbranch_vccz .LBB3324_36
; %bb.35:
	v_mov_b32_e32 v23, 0
	v_lshl_add_u64 v[2:3], s[4:5], 0, v[22:23]
	v_add_co_u32_e32 v4, vcc, 0x1000, v2
	global_load_dword v10, v22, s[4:5]
	global_load_dword v11, v22, s[4:5] offset:2048
	v_addc_co_u32_e32 v5, vcc, 0, v3, vcc
	v_add_co_u32_e32 v6, vcc, 0x2000, v2
	s_mov_b64 s[6:7], 0
	s_nop 0
	v_addc_co_u32_e32 v7, vcc, 0, v3, vcc
	v_add_co_u32_e32 v8, vcc, 0x3000, v2
	s_nop 1
	v_addc_co_u32_e32 v9, vcc, 0, v3, vcc
	global_load_dword v12, v[4:5], off
	global_load_dword v13, v[4:5], off offset:2048
	global_load_dword v14, v[6:7], off
	global_load_dword v15, v[6:7], off offset:2048
	;; [unrolled: 2-line block ×3, first 2 shown]
	v_add_co_u32_e32 v4, vcc, 0x4000, v2
	s_nop 1
	v_addc_co_u32_e32 v5, vcc, 0, v3, vcc
	global_load_dword v6, v[4:5], off
	global_load_dword v7, v[4:5], off offset:2048
	v_add_co_u32_e32 v4, vcc, 0x5000, v2
	s_waitcnt vmcnt(1)
	v_xor_b32_e32 v6, -1, v6
	v_addc_co_u32_e32 v5, vcc, 0, v3, vcc
	global_load_dword v8, v[4:5], off
	global_load_dword v9, v[4:5], off offset:2048
	v_add_co_u32_e32 v4, vcc, 0x6000, v2
	s_waitcnt vmcnt(2)
	v_xor_b32_e32 v7, -1, v7
	v_addc_co_u32_e32 v5, vcc, 0, v3, vcc
	v_add_co_u32_e32 v2, vcc, 0x7000, v2
	global_load_dword v18, v[4:5], off
	global_load_dword v19, v[4:5], off offset:2048
	v_addc_co_u32_e32 v3, vcc, 0, v3, vcc
	global_load_dword v2, v[2:3], off
	v_xor_b32_e32 v3, -1, v10
	v_xor_b32_e32 v4, -1, v11
	v_and_b32_e32 v3, 1, v3
	v_and_b32_e32 v4, 1, v4
	ds_write_b8 v0, v3
	ds_write_b8 v0, v4 offset:512
	v_xor_b32_e32 v3, -1, v12
	v_xor_b32_e32 v4, -1, v13
	;; [unrolled: 1-line block ×3, first 2 shown]
	v_and_b32_e32 v3, 1, v3
	v_and_b32_e32 v4, 1, v4
	v_xor_b32_e32 v10, -1, v15
	v_and_b32_e32 v5, 1, v5
	v_xor_b32_e32 v11, -1, v16
	v_xor_b32_e32 v12, -1, v17
	v_and_b32_e32 v10, 1, v10
	ds_write_b8 v0, v3 offset:1024
	ds_write_b8 v0, v4 offset:1536
	v_and_b32_e32 v3, 1, v11
	v_and_b32_e32 v4, 1, v12
	ds_write_b8 v0, v5 offset:2048
	ds_write_b8 v0, v10 offset:2560
	v_and_b32_e32 v5, 1, v6
	v_and_b32_e32 v6, 1, v7
	ds_write_b8 v0, v3 offset:3072
	ds_write_b8 v0, v4 offset:3584
	;; [unrolled: 1-line block ×4, first 2 shown]
	s_waitcnt vmcnt(4)
	v_xor_b32_e32 v7, -1, v8
	s_waitcnt vmcnt(3)
	v_xor_b32_e32 v8, -1, v9
	v_and_b32_e32 v3, 1, v7
	v_and_b32_e32 v4, 1, v8
	s_waitcnt vmcnt(2)
	v_xor_b32_e32 v7, -1, v18
	s_waitcnt vmcnt(1)
	v_xor_b32_e32 v8, -1, v19
	v_and_b32_e32 v5, 1, v7
	v_and_b32_e32 v6, 1, v8
	s_waitcnt vmcnt(0)
	v_xor_b32_e32 v2, -1, v2
	v_and_b32_e32 v2, 1, v2
	ds_write_b8 v0, v3 offset:5120
	ds_write_b8 v0, v4 offset:5632
	;; [unrolled: 1-line block ×5, first 2 shown]
	s_waitcnt lgkmcnt(0)
	s_barrier
.LBB3324_36:
	s_load_dwordx2 s[34:35], s[0:1], 0x78
	s_andn2_b64 vcc, exec, s[6:7]
	s_cbranch_vccnz .LBB3324_68
; %bb.37:
	v_cmp_gt_u32_e32 vcc, s33, v0
	v_mov_b32_e32 v2, 0
	v_mov_b32_e32 v3, 0
	s_and_saveexec_b64 s[6:7], vcc
	s_cbranch_execz .LBB3324_39
; %bb.38:
	global_load_dword v3, v22, s[4:5]
	s_waitcnt vmcnt(0)
	v_xor_b32_e32 v3, -1, v3
	v_and_b32_e32 v3, 1, v3
.LBB3324_39:
	s_or_b64 exec, exec, s[6:7]
	v_or_b32_e32 v4, 0x200, v0
	v_cmp_gt_u32_e32 vcc, s33, v4
	s_and_saveexec_b64 s[6:7], vcc
	s_cbranch_execz .LBB3324_41
; %bb.40:
	global_load_dword v2, v22, s[4:5] offset:2048
	s_waitcnt vmcnt(0)
	v_xor_b32_e32 v2, -1, v2
	v_and_b32_e32 v2, 1, v2
.LBB3324_41:
	s_or_b64 exec, exec, s[6:7]
	v_or_b32_e32 v6, 0x400, v0
	v_cmp_gt_u32_e32 vcc, s33, v6
	v_mov_b32_e32 v4, 0
	v_mov_b32_e32 v5, 0
	s_and_saveexec_b64 s[6:7], vcc
	s_cbranch_execz .LBB3324_43
; %bb.42:
	v_lshlrev_b32_e32 v5, 2, v6
	global_load_dword v5, v5, s[4:5]
	s_waitcnt vmcnt(0)
	v_xor_b32_e32 v5, -1, v5
	v_and_b32_e32 v5, 1, v5
.LBB3324_43:
	s_or_b64 exec, exec, s[6:7]
	v_or_b32_e32 v6, 0x600, v0
	v_cmp_gt_u32_e32 vcc, s33, v6
	s_and_saveexec_b64 s[6:7], vcc
	s_cbranch_execz .LBB3324_45
; %bb.44:
	v_lshlrev_b32_e32 v4, 2, v6
	global_load_dword v4, v4, s[4:5]
	s_waitcnt vmcnt(0)
	v_xor_b32_e32 v4, -1, v4
	v_and_b32_e32 v4, 1, v4
.LBB3324_45:
	s_or_b64 exec, exec, s[6:7]
	v_or_b32_e32 v8, 0x800, v0
	v_cmp_gt_u32_e32 vcc, s33, v8
	v_mov_b32_e32 v6, 0
	v_mov_b32_e32 v7, 0
	s_and_saveexec_b64 s[6:7], vcc
	s_cbranch_execz .LBB3324_47
; %bb.46:
	v_lshlrev_b32_e32 v7, 2, v8
	global_load_dword v7, v7, s[4:5]
	s_waitcnt vmcnt(0)
	v_xor_b32_e32 v7, -1, v7
	v_and_b32_e32 v7, 1, v7
.LBB3324_47:
	s_or_b64 exec, exec, s[6:7]
	v_or_b32_e32 v8, 0xa00, v0
	v_cmp_gt_u32_e32 vcc, s33, v8
	s_and_saveexec_b64 s[6:7], vcc
	s_cbranch_execz .LBB3324_49
; %bb.48:
	v_lshlrev_b32_e32 v6, 2, v8
	global_load_dword v6, v6, s[4:5]
	s_waitcnt vmcnt(0)
	v_xor_b32_e32 v6, -1, v6
	v_and_b32_e32 v6, 1, v6
.LBB3324_49:
	;; [unrolled: 26-line block ×6, first 2 shown]
	s_or_b64 exec, exec, s[6:7]
	v_or_b32_e32 v17, 0x1c00, v0
	v_cmp_gt_u32_e32 vcc, s33, v17
	v_mov_b32_e32 v16, 0
	s_and_saveexec_b64 s[6:7], vcc
	s_cbranch_execz .LBB3324_67
; %bb.66:
	v_lshlrev_b32_e32 v16, 2, v17
	global_load_dword v16, v16, s[4:5]
	s_waitcnt vmcnt(0)
	v_xor_b32_e32 v16, -1, v16
	v_and_b32_e32 v16, 1, v16
.LBB3324_67:
	s_or_b64 exec, exec, s[6:7]
	ds_write_b8 v0, v3
	ds_write_b8 v0, v2 offset:512
	ds_write_b8 v0, v5 offset:1024
	;; [unrolled: 1-line block ×14, first 2 shown]
	s_waitcnt lgkmcnt(0)
	s_barrier
.LBB3324_68:
	s_waitcnt lgkmcnt(0)
	ds_read_b96 v[18:20], v21
	ds_read_u8 v2, v21 offset:12
	ds_read_u8 v3, v21 offset:13
	;; [unrolled: 1-line block ×3, first 2 shown]
	s_cmp_lg_u32 s2, 0
	v_lshrrev_b32_e32 v56, 6, v0
	s_waitcnt lgkmcnt(2)
	v_and_b32_e32 v43, 1, v2
	v_and_b32_e32 v52, 0xff, v18
	v_bfe_u32 v53, v18, 8, 8
	v_bfe_u32 v54, v18, 16, 8
	v_lshrrev_b32_e32 v45, 24, v18
	v_and_b32_e32 v49, 0xff, v19
	v_add3_u32 v2, v53, v52, v54
	v_bfe_u32 v50, v19, 8, 8
	v_bfe_u32 v51, v19, 16, 8
	v_add3_u32 v2, v2, v45, v49
	v_lshrrev_b32_e32 v44, 24, v19
	v_and_b32_e32 v46, 0xff, v20
	v_add3_u32 v2, v2, v50, v51
	v_bfe_u32 v47, v20, 8, 8
	v_bfe_u32 v48, v20, 16, 8
	v_add3_u32 v2, v2, v44, v46
	v_lshrrev_b32_e32 v42, 24, v20
	v_add3_u32 v2, v2, v47, v48
	s_waitcnt lgkmcnt(1)
	v_and_b32_e32 v41, 1, v3
	s_waitcnt lgkmcnt(0)
	v_and_b32_e32 v23, 1, v4
	v_add3_u32 v2, v2, v42, v43
	v_add3_u32 v57, v2, v41, v23
	v_mbcnt_lo_u32_b32 v2, -1, 0
	v_mbcnt_hi_u32_b32 v55, -1, v2
	v_and_b32_e32 v2, 15, v55
	v_cmp_eq_u32_e64 s[14:15], 0, v2
	v_cmp_lt_u32_e64 s[12:13], 1, v2
	v_cmp_lt_u32_e64 s[10:11], 3, v2
	v_cmp_lt_u32_e64 s[8:9], 7, v2
	v_and_b32_e32 v2, 16, v55
	v_cmp_eq_u32_e64 s[6:7], 0, v2
	v_or_b32_e32 v2, 63, v0
	v_cmp_lt_u32_e64 s[18:19], 31, v55
	v_cmp_eq_u32_e64 s[4:5], v2, v0
	s_barrier
	s_cbranch_scc0 .LBB3324_95
; %bb.69:
	v_mov_b32_dpp v2, v57 row_shr:1 row_mask:0xf bank_mask:0xf
	v_cndmask_b32_e64 v2, v2, 0, s[14:15]
	v_add_u32_e32 v2, v2, v57
	s_nop 1
	v_mov_b32_dpp v3, v2 row_shr:2 row_mask:0xf bank_mask:0xf
	v_cndmask_b32_e64 v3, 0, v3, s[12:13]
	v_add_u32_e32 v2, v2, v3
	s_nop 1
	v_mov_b32_dpp v3, v2 row_shr:4 row_mask:0xf bank_mask:0xf
	v_cndmask_b32_e64 v3, 0, v3, s[10:11]
	v_add_u32_e32 v2, v2, v3
	s_nop 1
	v_mov_b32_dpp v3, v2 row_shr:8 row_mask:0xf bank_mask:0xf
	v_cndmask_b32_e64 v3, 0, v3, s[8:9]
	v_add_u32_e32 v2, v2, v3
	s_nop 1
	v_mov_b32_dpp v3, v2 row_bcast:15 row_mask:0xf bank_mask:0xf
	v_cndmask_b32_e64 v3, v3, 0, s[6:7]
	v_add_u32_e32 v2, v2, v3
	s_nop 1
	v_mov_b32_dpp v3, v2 row_bcast:31 row_mask:0xf bank_mask:0xf
	v_cndmask_b32_e64 v3, 0, v3, s[18:19]
	v_add_u32_e32 v2, v2, v3
	s_and_saveexec_b64 s[16:17], s[4:5]
	s_cbranch_execz .LBB3324_71
; %bb.70:
	v_lshlrev_b32_e32 v3, 2, v56
	ds_write_b32 v3, v2
.LBB3324_71:
	s_or_b64 exec, exec, s[16:17]
	v_cmp_gt_u32_e32 vcc, 8, v0
	s_waitcnt lgkmcnt(0)
	s_barrier
	s_and_saveexec_b64 s[16:17], vcc
	s_cbranch_execz .LBB3324_73
; %bb.72:
	ds_read_b32 v3, v22
	v_and_b32_e32 v4, 7, v55
	v_cmp_ne_u32_e32 vcc, 0, v4
	s_waitcnt lgkmcnt(0)
	v_mov_b32_dpp v5, v3 row_shr:1 row_mask:0xf bank_mask:0xf
	v_cndmask_b32_e32 v5, 0, v5, vcc
	v_add_u32_e32 v3, v5, v3
	v_cmp_lt_u32_e32 vcc, 1, v4
	s_nop 0
	v_mov_b32_dpp v5, v3 row_shr:2 row_mask:0xf bank_mask:0xf
	v_cndmask_b32_e32 v5, 0, v5, vcc
	v_add_u32_e32 v3, v3, v5
	v_cmp_lt_u32_e32 vcc, 3, v4
	s_nop 0
	v_mov_b32_dpp v5, v3 row_shr:4 row_mask:0xf bank_mask:0xf
	v_cndmask_b32_e32 v4, 0, v5, vcc
	v_add_u32_e32 v3, v3, v4
	ds_write_b32 v22, v3
.LBB3324_73:
	s_or_b64 exec, exec, s[16:17]
	v_cmp_gt_u32_e32 vcc, 64, v0
	v_cmp_lt_u32_e64 s[16:17], 63, v0
	s_waitcnt lgkmcnt(0)
	s_barrier
	s_waitcnt lgkmcnt(0)
                                        ; implicit-def: $vgpr12
	s_and_saveexec_b64 s[36:37], s[16:17]
	s_cbranch_execz .LBB3324_75
; %bb.74:
	v_lshl_add_u32 v3, v56, 2, -4
	ds_read_b32 v12, v3
	s_waitcnt lgkmcnt(0)
	v_add_u32_e32 v2, v12, v2
.LBB3324_75:
	s_or_b64 exec, exec, s[36:37]
	v_add_u32_e32 v3, -1, v55
	v_and_b32_e32 v4, 64, v55
	v_cmp_lt_i32_e64 s[16:17], v3, v4
	s_nop 1
	v_cndmask_b32_e64 v3, v3, v55, s[16:17]
	v_lshlrev_b32_e32 v3, 2, v3
	ds_bpermute_b32 v13, v3, v2
	v_cmp_eq_u32_e64 s[16:17], 0, v55
	s_and_saveexec_b64 s[36:37], vcc
	s_cbranch_execz .LBB3324_94
; %bb.76:
	v_mov_b32_e32 v9, 0
	ds_read_b32 v2, v9 offset:28
	s_and_saveexec_b64 s[38:39], s[16:17]
	s_cbranch_execz .LBB3324_78
; %bb.77:
	s_add_i32 s40, s2, 64
	s_mov_b32 s41, 0
	s_lshl_b64 s[40:41], s[40:41], 3
	s_add_u32 s40, s34, s40
	v_mov_b32_e32 v3, 1
	s_addc_u32 s41, s35, s41
	s_waitcnt lgkmcnt(0)
	global_store_dwordx2 v9, v[2:3], s[40:41] sc1
.LBB3324_78:
	s_or_b64 exec, exec, s[38:39]
	v_xad_u32 v4, v55, -1, s2
	v_add_u32_e32 v8, 64, v4
	v_lshl_add_u64 v[10:11], v[8:9], 3, s[34:35]
	global_load_dwordx2 v[6:7], v[10:11], off sc1
	s_waitcnt vmcnt(0)
	v_cmp_eq_u16_sdwa s[40:41], v7, v9 src0_sel:BYTE_0 src1_sel:DWORD
	s_and_saveexec_b64 s[38:39], s[40:41]
	s_cbranch_execz .LBB3324_82
; %bb.79:
	s_mov_b64 s[40:41], 0
	v_mov_b32_e32 v3, 0
.LBB3324_80:                            ; =>This Inner Loop Header: Depth=1
	global_load_dwordx2 v[6:7], v[10:11], off sc1
	s_waitcnt vmcnt(0)
	v_cmp_ne_u16_sdwa s[42:43], v7, v3 src0_sel:BYTE_0 src1_sel:DWORD
	s_or_b64 s[40:41], s[42:43], s[40:41]
	s_andn2_b64 exec, exec, s[40:41]
	s_cbranch_execnz .LBB3324_80
; %bb.81:
	s_or_b64 exec, exec, s[40:41]
.LBB3324_82:
	s_or_b64 exec, exec, s[38:39]
	v_and_b32_e32 v15, 63, v55
	v_mov_b32_e32 v14, 2
	v_cmp_ne_u32_e32 vcc, 63, v15
	v_cmp_eq_u16_sdwa s[38:39], v7, v14 src0_sel:BYTE_0 src1_sel:DWORD
	v_lshlrev_b64 v[8:9], v55, -1
	v_addc_co_u32_e32 v10, vcc, 0, v55, vcc
	v_and_b32_e32 v3, s39, v9
	v_lshlrev_b32_e32 v16, 2, v10
	v_or_b32_e32 v3, 0x80000000, v3
	ds_bpermute_b32 v10, v16, v6
	v_and_b32_e32 v5, s38, v8
	v_ffbl_b32_e32 v3, v3
	v_add_u32_e32 v3, 32, v3
	v_ffbl_b32_e32 v5, v5
	v_min_u32_e32 v3, v5, v3
	v_cmp_lt_u32_e32 vcc, v15, v3
	v_add_u32_e32 v38, 2, v15
	v_add_u32_e32 v40, 4, v15
	s_waitcnt lgkmcnt(0)
	v_cndmask_b32_e32 v5, 0, v10, vcc
	v_cmp_gt_u32_e32 vcc, 62, v15
	v_add_u32_e32 v5, v5, v6
	v_add_u32_e32 v59, 8, v15
	v_cndmask_b32_e64 v6, 0, 1, vcc
	v_lshlrev_b32_e32 v6, 1, v6
	v_add_lshl_u32 v17, v6, v55, 2
	ds_bpermute_b32 v6, v17, v5
	v_cmp_le_u32_e32 vcc, v38, v3
	v_add_u32_e32 v61, 16, v15
	v_add_u32_e32 v63, 32, v15
	s_waitcnt lgkmcnt(0)
	v_cndmask_b32_e32 v6, 0, v6, vcc
	v_cmp_gt_u32_e32 vcc, 60, v15
	v_add_u32_e32 v5, v5, v6
	s_nop 0
	v_cndmask_b32_e64 v6, 0, 1, vcc
	v_lshlrev_b32_e32 v6, 2, v6
	v_add_lshl_u32 v39, v6, v55, 2
	ds_bpermute_b32 v6, v39, v5
	v_cmp_le_u32_e32 vcc, v40, v3
	s_waitcnt lgkmcnt(0)
	s_nop 0
	v_cndmask_b32_e32 v6, 0, v6, vcc
	v_cmp_gt_u32_e32 vcc, 56, v15
	v_add_u32_e32 v5, v5, v6
	s_nop 0
	v_cndmask_b32_e64 v6, 0, 1, vcc
	v_lshlrev_b32_e32 v6, 3, v6
	v_add_lshl_u32 v58, v6, v55, 2
	ds_bpermute_b32 v6, v58, v5
	v_cmp_le_u32_e32 vcc, v59, v3
	s_waitcnt lgkmcnt(0)
	s_nop 0
	;; [unrolled: 11-line block ×4, first 2 shown]
	v_cndmask_b32_e32 v3, 0, v6, vcc
	v_add_u32_e32 v6, v5, v3
	v_mov_b32_e32 v5, 0
	s_branch .LBB3324_84
.LBB3324_83:                            ;   in Loop: Header=BB3324_84 Depth=1
	s_or_b64 exec, exec, s[38:39]
	v_cmp_eq_u16_sdwa s[38:39], v7, v14 src0_sel:BYTE_0 src1_sel:DWORD
	ds_bpermute_b32 v64, v16, v6
	v_subrev_u32_e32 v4, 64, v4
	v_and_b32_e32 v10, s39, v9
	v_or_b32_e32 v10, 0x80000000, v10
	v_and_b32_e32 v11, s38, v8
	v_ffbl_b32_e32 v10, v10
	v_add_u32_e32 v10, 32, v10
	v_ffbl_b32_e32 v11, v11
	v_min_u32_e32 v10, v11, v10
	v_cmp_lt_u32_e32 vcc, v15, v10
	s_waitcnt lgkmcnt(0)
	s_nop 0
	v_cndmask_b32_e32 v11, 0, v64, vcc
	v_add_u32_e32 v6, v11, v6
	ds_bpermute_b32 v11, v17, v6
	v_cmp_le_u32_e32 vcc, v38, v10
	s_waitcnt lgkmcnt(0)
	s_nop 0
	v_cndmask_b32_e32 v11, 0, v11, vcc
	v_add_u32_e32 v6, v6, v11
	ds_bpermute_b32 v11, v39, v6
	v_cmp_le_u32_e32 vcc, v40, v10
	;; [unrolled: 6-line block ×5, first 2 shown]
	s_waitcnt lgkmcnt(0)
	s_nop 0
	v_cndmask_b32_e32 v10, 0, v11, vcc
	v_add3_u32 v6, v10, v3, v6
.LBB3324_84:                            ; =>This Loop Header: Depth=1
                                        ;     Child Loop BB3324_87 Depth 2
	v_cmp_ne_u16_sdwa s[38:39], v7, v14 src0_sel:BYTE_0 src1_sel:DWORD
	s_nop 1
	v_cndmask_b32_e64 v3, 0, 1, s[38:39]
	;;#ASMSTART
	;;#ASMEND
	s_nop 0
	v_cmp_ne_u32_e32 vcc, 0, v3
	s_cmp_lg_u64 vcc, exec
	v_mov_b32_e32 v3, v6
	s_cbranch_scc1 .LBB3324_89
; %bb.85:                               ;   in Loop: Header=BB3324_84 Depth=1
	v_lshl_add_u64 v[10:11], v[4:5], 3, s[34:35]
	global_load_dwordx2 v[6:7], v[10:11], off sc1
	s_waitcnt vmcnt(0)
	v_cmp_eq_u16_sdwa s[40:41], v7, v5 src0_sel:BYTE_0 src1_sel:DWORD
	s_and_saveexec_b64 s[38:39], s[40:41]
	s_cbranch_execz .LBB3324_83
; %bb.86:                               ;   in Loop: Header=BB3324_84 Depth=1
	s_mov_b64 s[40:41], 0
.LBB3324_87:                            ;   Parent Loop BB3324_84 Depth=1
                                        ; =>  This Inner Loop Header: Depth=2
	global_load_dwordx2 v[6:7], v[10:11], off sc1
	s_waitcnt vmcnt(0)
	v_cmp_ne_u16_sdwa s[42:43], v7, v5 src0_sel:BYTE_0 src1_sel:DWORD
	s_or_b64 s[40:41], s[42:43], s[40:41]
	s_andn2_b64 exec, exec, s[40:41]
	s_cbranch_execnz .LBB3324_87
; %bb.88:                               ;   in Loop: Header=BB3324_84 Depth=1
	s_or_b64 exec, exec, s[40:41]
	s_branch .LBB3324_83
.LBB3324_89:                            ;   in Loop: Header=BB3324_84 Depth=1
                                        ; implicit-def: $vgpr6
                                        ; implicit-def: $vgpr7
	s_cbranch_execz .LBB3324_84
; %bb.90:
	s_and_saveexec_b64 s[38:39], s[16:17]
	s_cbranch_execz .LBB3324_92
; %bb.91:
	s_add_i32 s2, s2, 64
	s_mov_b32 s3, 0
	s_lshl_b64 s[2:3], s[2:3], 3
	s_add_u32 s2, s34, s2
	v_add_u32_e32 v4, v3, v2
	v_mov_b32_e32 v5, 2
	s_addc_u32 s3, s35, s3
	v_mov_b32_e32 v6, 0
	global_store_dwordx2 v6, v[4:5], s[2:3] sc1
	ds_write_b64 v6, v[2:3] offset:30720
.LBB3324_92:
	s_or_b64 exec, exec, s[38:39]
	v_cmp_eq_u32_e32 vcc, 0, v0
	s_and_b64 exec, exec, vcc
	s_cbranch_execz .LBB3324_94
; %bb.93:
	v_mov_b32_e32 v2, 0
	ds_write_b32 v2, v3 offset:28
.LBB3324_94:
	s_or_b64 exec, exec, s[36:37]
	v_mov_b32_e32 v14, 0
	s_waitcnt lgkmcnt(0)
	s_barrier
	ds_read_b32 v2, v14 offset:28
	v_cndmask_b32_e64 v3, v13, v12, s[16:17]
	v_cmp_ne_u32_e32 vcc, 0, v0
	s_waitcnt lgkmcnt(0)
	s_barrier
	v_cndmask_b32_e32 v3, 0, v3, vcc
	v_add_u32_e32 v2, v2, v3
	v_add_u32_e32 v3, v2, v52
	;; [unrolled: 1-line block ×10, first 2 shown]
	ds_read_b64 v[38:39], v14 offset:30720
	v_add_u32_e32 v12, v11, v47
	v_add_u32_e32 v13, v12, v48
	;; [unrolled: 1-line block ×5, first 2 shown]
	s_waitcnt lgkmcnt(0)
	v_mov_b32_e32 v40, v39
	s_branch .LBB3324_105
.LBB3324_95:
                                        ; implicit-def: $vgpr40
                                        ; implicit-def: $vgpr38
                                        ; implicit-def: $vgpr2_vgpr3_vgpr4_vgpr5_vgpr6_vgpr7_vgpr8_vgpr9_vgpr10_vgpr11_vgpr12_vgpr13_vgpr14_vgpr15_vgpr16_vgpr17
	s_cbranch_execz .LBB3324_105
; %bb.96:
	s_nop 0
	v_mov_b32_dpp v2, v57 row_shr:1 row_mask:0xf bank_mask:0xf
	v_cndmask_b32_e64 v2, v2, 0, s[14:15]
	v_add_u32_e32 v2, v2, v57
	s_nop 1
	v_mov_b32_dpp v3, v2 row_shr:2 row_mask:0xf bank_mask:0xf
	v_cndmask_b32_e64 v3, 0, v3, s[12:13]
	v_add_u32_e32 v2, v2, v3
	;; [unrolled: 4-line block ×4, first 2 shown]
	s_nop 1
	v_mov_b32_dpp v3, v2 row_bcast:15 row_mask:0xf bank_mask:0xf
	v_cndmask_b32_e64 v3, v3, 0, s[6:7]
	v_add_u32_e32 v2, v2, v3
	s_nop 1
	v_mov_b32_dpp v3, v2 row_bcast:31 row_mask:0xf bank_mask:0xf
	v_cndmask_b32_e64 v3, 0, v3, s[18:19]
	v_add_u32_e32 v2, v2, v3
	s_and_saveexec_b64 s[2:3], s[4:5]
	s_cbranch_execz .LBB3324_98
; %bb.97:
	v_lshlrev_b32_e32 v3, 2, v56
	ds_write_b32 v3, v2
.LBB3324_98:
	s_or_b64 exec, exec, s[2:3]
	v_cmp_gt_u32_e32 vcc, 8, v0
	s_waitcnt lgkmcnt(0)
	s_barrier
	s_and_saveexec_b64 s[2:3], vcc
	s_cbranch_execz .LBB3324_100
; %bb.99:
	v_mad_i32_i24 v3, v0, -11, v21
	ds_read_b32 v4, v3
	v_and_b32_e32 v5, 7, v55
	v_cmp_ne_u32_e32 vcc, 0, v5
	s_waitcnt lgkmcnt(0)
	v_mov_b32_dpp v6, v4 row_shr:1 row_mask:0xf bank_mask:0xf
	v_cndmask_b32_e32 v6, 0, v6, vcc
	v_add_u32_e32 v4, v6, v4
	v_cmp_lt_u32_e32 vcc, 1, v5
	s_nop 0
	v_mov_b32_dpp v6, v4 row_shr:2 row_mask:0xf bank_mask:0xf
	v_cndmask_b32_e32 v6, 0, v6, vcc
	v_add_u32_e32 v4, v4, v6
	v_cmp_lt_u32_e32 vcc, 3, v5
	s_nop 0
	v_mov_b32_dpp v6, v4 row_shr:4 row_mask:0xf bank_mask:0xf
	v_cndmask_b32_e32 v5, 0, v6, vcc
	v_add_u32_e32 v4, v4, v5
	ds_write_b32 v3, v4
.LBB3324_100:
	s_or_b64 exec, exec, s[2:3]
	v_cmp_lt_u32_e32 vcc, 63, v0
	v_mov_b32_e32 v4, 0
	v_mov_b32_e32 v3, 0
	s_waitcnt lgkmcnt(0)
	s_barrier
	s_and_saveexec_b64 s[2:3], vcc
	s_cbranch_execz .LBB3324_102
; %bb.101:
	v_lshl_add_u32 v3, v56, 2, -4
	ds_read_b32 v3, v3
.LBB3324_102:
	s_or_b64 exec, exec, s[2:3]
	v_add_u32_e32 v5, -1, v55
	v_and_b32_e32 v6, 64, v55
	v_cmp_lt_i32_e32 vcc, v5, v6
	s_waitcnt lgkmcnt(0)
	v_add_u32_e32 v2, v3, v2
	ds_read_b32 v38, v4 offset:28
	v_cndmask_b32_e32 v5, v5, v55, vcc
	v_lshlrev_b32_e32 v5, 2, v5
	ds_bpermute_b32 v2, v5, v2
	v_cmp_eq_u32_e32 vcc, 0, v0
	s_and_saveexec_b64 s[2:3], vcc
	s_cbranch_execz .LBB3324_104
; %bb.103:
	v_mov_b32_e32 v4, 0
	v_mov_b32_e32 v39, 2
	s_waitcnt lgkmcnt(1)
	global_store_dwordx2 v4, v[38:39], s[34:35] offset:512 sc1
.LBB3324_104:
	s_or_b64 exec, exec, s[2:3]
	v_cmp_eq_u32_e64 s[2:3], 0, v55
	v_mov_b32_e32 v40, 0
	s_waitcnt lgkmcnt(0)
	v_cndmask_b32_e64 v2, v2, v3, s[2:3]
	v_cndmask_b32_e64 v2, v2, 0, vcc
	v_add_u32_e32 v3, v2, v52
	v_add_u32_e32 v4, v3, v53
	;; [unrolled: 1-line block ×14, first 2 shown]
	s_barrier
.LBB3324_105:
	v_add_u32_e32 v21, v38, v21
	v_sub_u32_e32 v2, v2, v40
	v_and_b32_e32 v48, 1, v18
	v_sub_u32_e32 v47, v21, v2
	v_cmp_eq_u32_e32 vcc, 1, v48
	v_lshrrev_b32_e32 v46, 8, v18
	v_lshrrev_b32_e32 v39, 8, v19
	v_cndmask_b32_e32 v2, v47, v2, vcc
	v_lshlrev_b32_e32 v2, 2, v2
	ds_write_b32 v2, v36
	v_sub_u32_e32 v2, v3, v40
	v_sub_u32_e32 v3, v21, v2
	v_and_b32_e32 v36, 1, v46
	v_add_u32_e32 v3, 1, v3
	v_cmp_eq_u32_e32 vcc, 1, v36
	v_lshrrev_b32_e32 v17, 8, v20
	s_load_dwordx2 s[0:1], s[0:1], 0x40
	v_cndmask_b32_e32 v2, v3, v2, vcc
	v_lshlrev_b32_e32 v2, 2, v2
	ds_write_b32 v2, v37
	v_sub_u32_e32 v2, v4, v40
	v_mov_b32_e32 v4, 1
	v_sub_u32_e32 v3, v21, v2
	v_and_b32_sdwa v18, v4, v18 dst_sel:DWORD dst_unused:UNUSED_PAD src0_sel:DWORD src1_sel:WORD_1
	v_add_u32_e32 v3, 2, v3
	v_cmp_eq_u32_e32 vcc, 1, v18
	s_nop 1
	v_cndmask_b32_e32 v2, v3, v2, vcc
	v_lshlrev_b32_e32 v2, 2, v2
	ds_write_b32 v2, v34
	v_sub_u32_e32 v2, v5, v40
	v_sub_u32_e32 v3, v21, v2
	v_and_b32_e32 v5, 1, v45
	v_add_u32_e32 v3, 3, v3
	v_cmp_eq_u32_e32 vcc, 1, v5
	v_and_b32_e32 v5, 1, v19
	v_or_b32_e32 v34, 0x200, v0
	v_cndmask_b32_e32 v2, v3, v2, vcc
	v_lshlrev_b32_e32 v2, 2, v2
	ds_write_b32 v2, v35
	v_sub_u32_e32 v2, v6, v40
	v_sub_u32_e32 v3, v21, v2
	v_add_u32_e32 v3, 4, v3
	v_cmp_eq_u32_e32 vcc, 1, v5
	v_and_b32_e32 v5, 1, v39
	s_nop 0
	v_cndmask_b32_e32 v2, v3, v2, vcc
	v_lshlrev_b32_e32 v2, 2, v2
	ds_write_b32 v2, v32
	v_sub_u32_e32 v2, v7, v40
	v_sub_u32_e32 v3, v21, v2
	v_add_u32_e32 v3, 5, v3
	v_cmp_eq_u32_e32 vcc, 1, v5
	v_and_b32_sdwa v5, v4, v19 dst_sel:DWORD dst_unused:UNUSED_PAD src0_sel:DWORD src1_sel:WORD_1
	v_and_b32_sdwa v4, v4, v20 dst_sel:DWORD dst_unused:UNUSED_PAD src0_sel:DWORD src1_sel:WORD_1
	v_cndmask_b32_e32 v2, v3, v2, vcc
	v_lshlrev_b32_e32 v2, 2, v2
	ds_write_b32 v2, v33
	v_sub_u32_e32 v2, v8, v40
	v_sub_u32_e32 v3, v21, v2
	v_add_u32_e32 v3, 6, v3
	v_cmp_eq_u32_e32 vcc, 1, v5
	v_and_b32_e32 v5, 1, v44
	v_or_b32_e32 v33, 0x400, v0
	v_cndmask_b32_e32 v2, v3, v2, vcc
	v_lshlrev_b32_e32 v2, 2, v2
	ds_write_b32 v2, v30
	v_sub_u32_e32 v2, v9, v40
	v_sub_u32_e32 v3, v21, v2
	v_add_u32_e32 v3, 7, v3
	v_cmp_eq_u32_e32 vcc, 1, v5
	v_and_b32_e32 v5, 1, v20
	v_or_b32_e32 v32, 0x600, v0
	;; [unrolled: 9-line block ×3, first 2 shown]
	v_cndmask_b32_e32 v2, v3, v2, vcc
	v_lshlrev_b32_e32 v2, 2, v2
	ds_write_b32 v2, v28
	v_sub_u32_e32 v2, v11, v40
	v_sub_u32_e32 v3, v21, v2
	v_add_u32_e32 v3, 9, v3
	v_cmp_eq_u32_e32 vcc, 1, v5
	v_mov_b32_e32 v5, s27
	v_or_b32_e32 v30, 0xa00, v0
	v_cndmask_b32_e32 v2, v3, v2, vcc
	v_lshlrev_b32_e32 v2, 2, v2
	ds_write_b32 v2, v29
	v_sub_u32_e32 v2, v12, v40
	v_sub_u32_e32 v3, v21, v2
	v_add_u32_e32 v3, 10, v3
	v_cmp_eq_u32_e32 vcc, 1, v4
	v_and_b32_e32 v4, 1, v42
	v_or_b32_e32 v29, 0xc00, v0
	v_cndmask_b32_e32 v2, v3, v2, vcc
	v_lshlrev_b32_e32 v2, 2, v2
	ds_write_b32 v2, v26
	v_sub_u32_e32 v2, v13, v40
	v_sub_u32_e32 v3, v21, v2
	v_add_u32_e32 v3, 11, v3
	v_cmp_eq_u32_e32 vcc, 1, v4
	v_or_b32_e32 v28, 0xe00, v0
	v_or_b32_e32 v26, 0x1200, v0
	v_cndmask_b32_e32 v2, v3, v2, vcc
	v_lshlrev_b32_e32 v2, 2, v2
	ds_write_b32 v2, v27
	v_sub_u32_e32 v2, v14, v40
	v_sub_u32_e32 v3, v21, v2
	v_add_u32_e32 v3, 12, v3
	v_cmp_eq_u32_e32 vcc, 1, v43
	v_or_b32_e32 v27, 0x1000, v0
	v_or_b32_e32 v20, 0x1c00, v0
	v_cndmask_b32_e32 v2, v3, v2, vcc
	v_lshlrev_b32_e32 v2, 2, v2
	ds_write_b32 v2, v24
	v_sub_u32_e32 v2, v15, v40
	v_sub_u32_e32 v3, v21, v2
	v_add_u32_e32 v3, 13, v3
	v_cmp_eq_u32_e32 vcc, 1, v41
	v_mov_b32_e32 v41, 0
	v_mov_b32_e32 v39, v41
	v_cndmask_b32_e32 v2, v3, v2, vcc
	v_lshlrev_b32_e32 v2, 2, v2
	ds_write_b32 v2, v25
	v_sub_u32_e32 v2, v16, v40
	v_sub_u32_e32 v3, v21, v2
	v_add_u32_e32 v3, 14, v3
	v_cmp_eq_u32_e32 vcc, 1, v23
	v_or_b32_e32 v25, 0x1400, v0
	v_or_b32_e32 v24, 0x1600, v0
	v_cndmask_b32_e32 v2, v3, v2, vcc
	v_lshlrev_b32_e32 v2, 2, v2
	ds_write_b32 v2, v1
	v_lshl_add_u64 v[2:3], s[24:25], 0, v[38:39]
	v_lshl_add_u64 v[2:3], v[2:3], 0, v[40:41]
	s_waitcnt lgkmcnt(0)
	s_barrier
	ds_read2st64_b32 v[18:19], v22 offset1:8
	ds_read2st64_b32 v[16:17], v22 offset0:16 offset1:24
	ds_read2st64_b32 v[14:15], v22 offset0:32 offset1:40
	;; [unrolled: 1-line block ×6, first 2 shown]
	ds_read_b32 v1, v22 offset:28672
	v_sub_co_u32_e32 v4, vcc, s26, v2
	v_or_b32_e32 v23, 0x1800, v0
	s_nop 0
	v_subb_co_u32_e32 v5, vcc, v5, v3, vcc
	v_lshlrev_b64 v[4:5], 2, v[4:5]
	v_lshl_add_u64 v[4:5], s[0:1], 0, v[4:5]
	v_or_b32_e32 v21, 0x1a00, v0
	v_lshl_add_u64 v[4:5], v[4:5], 0, s[30:31]
	s_andn2_b64 vcc, exec, s[28:29]
	v_cmp_le_u32_e64 s[0:1], v38, v0
	s_cbranch_vccnz .LBB3324_122
; %bb.106:
	s_and_saveexec_b64 s[2:3], s[0:1]
	s_cbranch_execnz .LBB3324_157
; %bb.107:
	s_or_b64 exec, exec, s[2:3]
	v_cmp_ge_u32_e32 vcc, v34, v38
	s_and_saveexec_b64 s[0:1], vcc
	s_cbranch_execnz .LBB3324_158
.LBB3324_108:
	s_or_b64 exec, exec, s[0:1]
	v_cmp_ge_u32_e32 vcc, v33, v38
	s_and_saveexec_b64 s[0:1], vcc
	s_cbranch_execnz .LBB3324_159
.LBB3324_109:
	s_or_b64 exec, exec, s[0:1]
	v_cmp_ge_u32_e32 vcc, v32, v38
	s_and_saveexec_b64 s[0:1], vcc
	s_cbranch_execnz .LBB3324_160
.LBB3324_110:
	s_or_b64 exec, exec, s[0:1]
	v_cmp_ge_u32_e32 vcc, v31, v38
	s_and_saveexec_b64 s[0:1], vcc
	s_cbranch_execnz .LBB3324_161
.LBB3324_111:
	s_or_b64 exec, exec, s[0:1]
	v_cmp_ge_u32_e32 vcc, v30, v38
	s_and_saveexec_b64 s[0:1], vcc
	s_cbranch_execnz .LBB3324_162
.LBB3324_112:
	s_or_b64 exec, exec, s[0:1]
	v_cmp_ge_u32_e32 vcc, v29, v38
	s_and_saveexec_b64 s[0:1], vcc
	s_cbranch_execnz .LBB3324_163
.LBB3324_113:
	s_or_b64 exec, exec, s[0:1]
	v_cmp_ge_u32_e32 vcc, v28, v38
	s_and_saveexec_b64 s[0:1], vcc
	s_cbranch_execnz .LBB3324_164
.LBB3324_114:
	s_or_b64 exec, exec, s[0:1]
	v_cmp_ge_u32_e32 vcc, v27, v38
	s_and_saveexec_b64 s[0:1], vcc
	s_cbranch_execnz .LBB3324_165
.LBB3324_115:
	s_or_b64 exec, exec, s[0:1]
	v_cmp_ge_u32_e32 vcc, v26, v38
	s_and_saveexec_b64 s[0:1], vcc
	s_cbranch_execnz .LBB3324_166
.LBB3324_116:
	s_or_b64 exec, exec, s[0:1]
	v_cmp_ge_u32_e32 vcc, v25, v38
	s_and_saveexec_b64 s[0:1], vcc
	s_cbranch_execnz .LBB3324_167
.LBB3324_117:
	s_or_b64 exec, exec, s[0:1]
	v_cmp_ge_u32_e32 vcc, v24, v38
	s_and_saveexec_b64 s[0:1], vcc
	s_cbranch_execnz .LBB3324_168
.LBB3324_118:
	s_or_b64 exec, exec, s[0:1]
	v_cmp_ge_u32_e32 vcc, v23, v38
	s_and_saveexec_b64 s[0:1], vcc
	s_cbranch_execnz .LBB3324_169
.LBB3324_119:
	s_or_b64 exec, exec, s[0:1]
	v_cmp_ge_u32_e32 vcc, v21, v38
	s_and_saveexec_b64 s[0:1], vcc
	s_cbranch_execz .LBB3324_121
.LBB3324_120:
	v_lshlrev_b32_e32 v35, 2, v21
	v_readfirstlane_b32 s2, v4
	v_readfirstlane_b32 s3, v5
	s_waitcnt lgkmcnt(1)
	s_nop 3
	global_store_dword v35, v7, s[2:3]
.LBB3324_121:
	s_or_b64 exec, exec, s[0:1]
	v_cmp_ge_u32_e64 s[0:1], v20, v38
	s_branch .LBB3324_152
.LBB3324_122:
	s_mov_b64 s[0:1], 0
	s_cbranch_execz .LBB3324_152
; %bb.123:
	v_cmp_gt_u32_e32 vcc, s33, v0
	v_cmp_le_u32_e64 s[0:1], v38, v0
	s_and_b64 s[2:3], vcc, s[0:1]
	s_and_saveexec_b64 s[0:1], s[2:3]
	s_cbranch_execz .LBB3324_125
; %bb.124:
	v_readfirstlane_b32 s2, v4
	v_readfirstlane_b32 s3, v5
	s_waitcnt lgkmcnt(7)
	s_nop 3
	global_store_dword v22, v18, s[2:3]
.LBB3324_125:
	s_or_b64 exec, exec, s[0:1]
	v_cmp_gt_u32_e32 vcc, s33, v34
	v_cmp_ge_u32_e64 s[0:1], v34, v38
	s_and_b64 s[2:3], vcc, s[0:1]
	s_and_saveexec_b64 s[0:1], s[2:3]
	s_cbranch_execz .LBB3324_127
; %bb.126:
	v_readfirstlane_b32 s2, v4
	v_readfirstlane_b32 s3, v5
	s_waitcnt lgkmcnt(7)
	s_nop 3
	global_store_dword v22, v19, s[2:3] offset:2048
.LBB3324_127:
	s_or_b64 exec, exec, s[0:1]
	v_cmp_gt_u32_e32 vcc, s33, v33
	v_cmp_ge_u32_e64 s[0:1], v33, v38
	s_and_b64 s[2:3], vcc, s[0:1]
	s_and_saveexec_b64 s[0:1], s[2:3]
	s_cbranch_execz .LBB3324_129
; %bb.128:
	s_waitcnt lgkmcnt(7)
	v_lshlrev_b32_e32 v18, 2, v33
	v_readfirstlane_b32 s2, v4
	v_readfirstlane_b32 s3, v5
	s_waitcnt lgkmcnt(6)
	s_nop 3
	global_store_dword v18, v16, s[2:3]
.LBB3324_129:
	s_or_b64 exec, exec, s[0:1]
	v_cmp_gt_u32_e32 vcc, s33, v32
	v_cmp_ge_u32_e64 s[0:1], v32, v38
	s_and_b64 s[2:3], vcc, s[0:1]
	s_and_saveexec_b64 s[0:1], s[2:3]
	s_cbranch_execz .LBB3324_131
; %bb.130:
	s_waitcnt lgkmcnt(6)
	v_lshlrev_b32_e32 v16, 2, v32
	v_readfirstlane_b32 s2, v4
	v_readfirstlane_b32 s3, v5
	s_nop 4
	global_store_dword v16, v17, s[2:3]
.LBB3324_131:
	s_or_b64 exec, exec, s[0:1]
	v_cmp_gt_u32_e32 vcc, s33, v31
	v_cmp_ge_u32_e64 s[0:1], v31, v38
	s_and_b64 s[2:3], vcc, s[0:1]
	s_and_saveexec_b64 s[0:1], s[2:3]
	s_cbranch_execz .LBB3324_133
; %bb.132:
	s_waitcnt lgkmcnt(6)
	v_lshlrev_b32_e32 v16, 2, v31
	v_readfirstlane_b32 s2, v4
	v_readfirstlane_b32 s3, v5
	s_waitcnt lgkmcnt(5)
	s_nop 3
	global_store_dword v16, v14, s[2:3]
.LBB3324_133:
	s_or_b64 exec, exec, s[0:1]
	v_cmp_gt_u32_e32 vcc, s33, v30
	v_cmp_ge_u32_e64 s[0:1], v30, v38
	s_and_b64 s[2:3], vcc, s[0:1]
	s_and_saveexec_b64 s[0:1], s[2:3]
	s_cbranch_execz .LBB3324_135
; %bb.134:
	s_waitcnt lgkmcnt(5)
	v_lshlrev_b32_e32 v14, 2, v30
	v_readfirstlane_b32 s2, v4
	v_readfirstlane_b32 s3, v5
	s_nop 4
	global_store_dword v14, v15, s[2:3]
.LBB3324_135:
	;; [unrolled: 29-line block ×6, first 2 shown]
	s_or_b64 exec, exec, s[0:1]
	v_cmp_gt_u32_e32 vcc, s33, v20
	v_cmp_ge_u32_e64 s[0:1], v20, v38
	s_and_b64 s[0:1], vcc, s[0:1]
.LBB3324_152:
	s_and_saveexec_b64 s[2:3], s[0:1]
	s_cbranch_execz .LBB3324_154
; %bb.153:
	s_waitcnt lgkmcnt(1)
	v_lshlrev_b32_e32 v6, 2, v20
	v_readfirstlane_b32 s0, v4
	v_readfirstlane_b32 s1, v5
	s_waitcnt lgkmcnt(0)
	s_nop 3
	global_store_dword v6, v1, s[0:1]
.LBB3324_154:
	s_or_b64 exec, exec, s[2:3]
	v_cmp_eq_u32_e32 vcc, 0, v0
	s_and_b64 s[0:1], vcc, s[22:23]
	s_and_saveexec_b64 s[2:3], s[0:1]
	s_cbranch_execz .LBB3324_156
; %bb.155:
	v_mov_b32_e32 v0, 0
	global_store_dwordx2 v0, v[2:3], s[20:21]
.LBB3324_156:
	s_endpgm
.LBB3324_157:
	v_readfirstlane_b32 s0, v4
	v_readfirstlane_b32 s1, v5
	s_waitcnt lgkmcnt(7)
	s_nop 3
	global_store_dword v22, v18, s[0:1]
	s_or_b64 exec, exec, s[2:3]
	v_cmp_ge_u32_e32 vcc, v34, v38
	s_and_saveexec_b64 s[0:1], vcc
	s_cbranch_execz .LBB3324_108
.LBB3324_158:
	v_readfirstlane_b32 s2, v4
	v_readfirstlane_b32 s3, v5
	s_waitcnt lgkmcnt(7)
	s_nop 3
	global_store_dword v22, v19, s[2:3] offset:2048
	s_or_b64 exec, exec, s[0:1]
	v_cmp_ge_u32_e32 vcc, v33, v38
	s_and_saveexec_b64 s[0:1], vcc
	s_cbranch_execz .LBB3324_109
.LBB3324_159:
	v_lshlrev_b32_e32 v35, 2, v33
	v_readfirstlane_b32 s2, v4
	v_readfirstlane_b32 s3, v5
	s_waitcnt lgkmcnt(6)
	s_nop 3
	global_store_dword v35, v16, s[2:3]
	s_or_b64 exec, exec, s[0:1]
	v_cmp_ge_u32_e32 vcc, v32, v38
	s_and_saveexec_b64 s[0:1], vcc
	s_cbranch_execz .LBB3324_110
.LBB3324_160:
	v_lshlrev_b32_e32 v35, 2, v32
	v_readfirstlane_b32 s2, v4
	v_readfirstlane_b32 s3, v5
	s_waitcnt lgkmcnt(6)
	s_nop 3
	global_store_dword v35, v17, s[2:3]
	s_or_b64 exec, exec, s[0:1]
	v_cmp_ge_u32_e32 vcc, v31, v38
	s_and_saveexec_b64 s[0:1], vcc
	s_cbranch_execz .LBB3324_111
.LBB3324_161:
	v_lshlrev_b32_e32 v35, 2, v31
	v_readfirstlane_b32 s2, v4
	v_readfirstlane_b32 s3, v5
	s_waitcnt lgkmcnt(5)
	s_nop 3
	global_store_dword v35, v14, s[2:3]
	s_or_b64 exec, exec, s[0:1]
	v_cmp_ge_u32_e32 vcc, v30, v38
	s_and_saveexec_b64 s[0:1], vcc
	s_cbranch_execz .LBB3324_112
.LBB3324_162:
	v_lshlrev_b32_e32 v35, 2, v30
	v_readfirstlane_b32 s2, v4
	v_readfirstlane_b32 s3, v5
	s_waitcnt lgkmcnt(5)
	s_nop 3
	global_store_dword v35, v15, s[2:3]
	s_or_b64 exec, exec, s[0:1]
	v_cmp_ge_u32_e32 vcc, v29, v38
	s_and_saveexec_b64 s[0:1], vcc
	s_cbranch_execz .LBB3324_113
.LBB3324_163:
	v_lshlrev_b32_e32 v35, 2, v29
	v_readfirstlane_b32 s2, v4
	v_readfirstlane_b32 s3, v5
	s_waitcnt lgkmcnt(4)
	s_nop 3
	global_store_dword v35, v12, s[2:3]
	s_or_b64 exec, exec, s[0:1]
	v_cmp_ge_u32_e32 vcc, v28, v38
	s_and_saveexec_b64 s[0:1], vcc
	s_cbranch_execz .LBB3324_114
.LBB3324_164:
	v_lshlrev_b32_e32 v35, 2, v28
	v_readfirstlane_b32 s2, v4
	v_readfirstlane_b32 s3, v5
	s_waitcnt lgkmcnt(4)
	s_nop 3
	global_store_dword v35, v13, s[2:3]
	s_or_b64 exec, exec, s[0:1]
	v_cmp_ge_u32_e32 vcc, v27, v38
	s_and_saveexec_b64 s[0:1], vcc
	s_cbranch_execz .LBB3324_115
.LBB3324_165:
	v_lshlrev_b32_e32 v35, 2, v27
	v_readfirstlane_b32 s2, v4
	v_readfirstlane_b32 s3, v5
	s_waitcnt lgkmcnt(3)
	s_nop 3
	global_store_dword v35, v10, s[2:3]
	s_or_b64 exec, exec, s[0:1]
	v_cmp_ge_u32_e32 vcc, v26, v38
	s_and_saveexec_b64 s[0:1], vcc
	s_cbranch_execz .LBB3324_116
.LBB3324_166:
	v_lshlrev_b32_e32 v35, 2, v26
	v_readfirstlane_b32 s2, v4
	v_readfirstlane_b32 s3, v5
	s_waitcnt lgkmcnt(3)
	s_nop 3
	global_store_dword v35, v11, s[2:3]
	s_or_b64 exec, exec, s[0:1]
	v_cmp_ge_u32_e32 vcc, v25, v38
	s_and_saveexec_b64 s[0:1], vcc
	s_cbranch_execz .LBB3324_117
.LBB3324_167:
	v_lshlrev_b32_e32 v35, 2, v25
	v_readfirstlane_b32 s2, v4
	v_readfirstlane_b32 s3, v5
	s_waitcnt lgkmcnt(2)
	s_nop 3
	global_store_dword v35, v8, s[2:3]
	s_or_b64 exec, exec, s[0:1]
	v_cmp_ge_u32_e32 vcc, v24, v38
	s_and_saveexec_b64 s[0:1], vcc
	s_cbranch_execz .LBB3324_118
.LBB3324_168:
	v_lshlrev_b32_e32 v35, 2, v24
	v_readfirstlane_b32 s2, v4
	v_readfirstlane_b32 s3, v5
	s_waitcnt lgkmcnt(2)
	s_nop 3
	global_store_dword v35, v9, s[2:3]
	s_or_b64 exec, exec, s[0:1]
	v_cmp_ge_u32_e32 vcc, v23, v38
	s_and_saveexec_b64 s[0:1], vcc
	s_cbranch_execz .LBB3324_119
.LBB3324_169:
	v_lshlrev_b32_e32 v35, 2, v23
	v_readfirstlane_b32 s2, v4
	v_readfirstlane_b32 s3, v5
	s_waitcnt lgkmcnt(1)
	s_nop 3
	global_store_dword v35, v6, s[2:3]
	s_or_b64 exec, exec, s[0:1]
	v_cmp_ge_u32_e32 vcc, v21, v38
	s_and_saveexec_b64 s[0:1], vcc
	s_cbranch_execnz .LBB3324_120
	s_branch .LBB3324_121
	.section	.rodata,"a",@progbits
	.p2align	6, 0x0
	.amdhsa_kernel _ZN7rocprim17ROCPRIM_400000_NS6detail17trampoline_kernelINS0_14default_configENS1_25partition_config_selectorILNS1_17partition_subalgoE1EiNS0_10empty_typeEbEEZZNS1_14partition_implILS5_1ELb0ES3_jN6thrust23THRUST_200600_302600_NS6detail15normal_iteratorINSA_10device_ptrIiEEEEPS6_NSA_18transform_iteratorI7is_evenIiESF_NSA_11use_defaultESK_EENS0_5tupleIJNSA_16discard_iteratorISK_EESF_EEENSM_IJSG_SG_EEES6_PlJS6_EEE10hipError_tPvRmT3_T4_T5_T6_T7_T9_mT8_P12ihipStream_tbDpT10_ENKUlT_T0_E_clISt17integral_constantIbLb0EES1B_EEDaS16_S17_EUlS16_E_NS1_11comp_targetILNS1_3genE5ELNS1_11target_archE942ELNS1_3gpuE9ELNS1_3repE0EEENS1_30default_config_static_selectorELNS0_4arch9wavefront6targetE1EEEvT1_
		.amdhsa_group_segment_fixed_size 30728
		.amdhsa_private_segment_fixed_size 0
		.amdhsa_kernarg_size 136
		.amdhsa_user_sgpr_count 2
		.amdhsa_user_sgpr_dispatch_ptr 0
		.amdhsa_user_sgpr_queue_ptr 0
		.amdhsa_user_sgpr_kernarg_segment_ptr 1
		.amdhsa_user_sgpr_dispatch_id 0
		.amdhsa_user_sgpr_kernarg_preload_length 0
		.amdhsa_user_sgpr_kernarg_preload_offset 0
		.amdhsa_user_sgpr_private_segment_size 0
		.amdhsa_uses_dynamic_stack 0
		.amdhsa_enable_private_segment 0
		.amdhsa_system_sgpr_workgroup_id_x 1
		.amdhsa_system_sgpr_workgroup_id_y 0
		.amdhsa_system_sgpr_workgroup_id_z 0
		.amdhsa_system_sgpr_workgroup_info 0
		.amdhsa_system_vgpr_workitem_id 0
		.amdhsa_next_free_vgpr 65
		.amdhsa_next_free_sgpr 44
		.amdhsa_accum_offset 68
		.amdhsa_reserve_vcc 1
		.amdhsa_float_round_mode_32 0
		.amdhsa_float_round_mode_16_64 0
		.amdhsa_float_denorm_mode_32 3
		.amdhsa_float_denorm_mode_16_64 3
		.amdhsa_dx10_clamp 1
		.amdhsa_ieee_mode 1
		.amdhsa_fp16_overflow 0
		.amdhsa_tg_split 0
		.amdhsa_exception_fp_ieee_invalid_op 0
		.amdhsa_exception_fp_denorm_src 0
		.amdhsa_exception_fp_ieee_div_zero 0
		.amdhsa_exception_fp_ieee_overflow 0
		.amdhsa_exception_fp_ieee_underflow 0
		.amdhsa_exception_fp_ieee_inexact 0
		.amdhsa_exception_int_div_zero 0
	.end_amdhsa_kernel
	.section	.text._ZN7rocprim17ROCPRIM_400000_NS6detail17trampoline_kernelINS0_14default_configENS1_25partition_config_selectorILNS1_17partition_subalgoE1EiNS0_10empty_typeEbEEZZNS1_14partition_implILS5_1ELb0ES3_jN6thrust23THRUST_200600_302600_NS6detail15normal_iteratorINSA_10device_ptrIiEEEEPS6_NSA_18transform_iteratorI7is_evenIiESF_NSA_11use_defaultESK_EENS0_5tupleIJNSA_16discard_iteratorISK_EESF_EEENSM_IJSG_SG_EEES6_PlJS6_EEE10hipError_tPvRmT3_T4_T5_T6_T7_T9_mT8_P12ihipStream_tbDpT10_ENKUlT_T0_E_clISt17integral_constantIbLb0EES1B_EEDaS16_S17_EUlS16_E_NS1_11comp_targetILNS1_3genE5ELNS1_11target_archE942ELNS1_3gpuE9ELNS1_3repE0EEENS1_30default_config_static_selectorELNS0_4arch9wavefront6targetE1EEEvT1_,"axG",@progbits,_ZN7rocprim17ROCPRIM_400000_NS6detail17trampoline_kernelINS0_14default_configENS1_25partition_config_selectorILNS1_17partition_subalgoE1EiNS0_10empty_typeEbEEZZNS1_14partition_implILS5_1ELb0ES3_jN6thrust23THRUST_200600_302600_NS6detail15normal_iteratorINSA_10device_ptrIiEEEEPS6_NSA_18transform_iteratorI7is_evenIiESF_NSA_11use_defaultESK_EENS0_5tupleIJNSA_16discard_iteratorISK_EESF_EEENSM_IJSG_SG_EEES6_PlJS6_EEE10hipError_tPvRmT3_T4_T5_T6_T7_T9_mT8_P12ihipStream_tbDpT10_ENKUlT_T0_E_clISt17integral_constantIbLb0EES1B_EEDaS16_S17_EUlS16_E_NS1_11comp_targetILNS1_3genE5ELNS1_11target_archE942ELNS1_3gpuE9ELNS1_3repE0EEENS1_30default_config_static_selectorELNS0_4arch9wavefront6targetE1EEEvT1_,comdat
.Lfunc_end3324:
	.size	_ZN7rocprim17ROCPRIM_400000_NS6detail17trampoline_kernelINS0_14default_configENS1_25partition_config_selectorILNS1_17partition_subalgoE1EiNS0_10empty_typeEbEEZZNS1_14partition_implILS5_1ELb0ES3_jN6thrust23THRUST_200600_302600_NS6detail15normal_iteratorINSA_10device_ptrIiEEEEPS6_NSA_18transform_iteratorI7is_evenIiESF_NSA_11use_defaultESK_EENS0_5tupleIJNSA_16discard_iteratorISK_EESF_EEENSM_IJSG_SG_EEES6_PlJS6_EEE10hipError_tPvRmT3_T4_T5_T6_T7_T9_mT8_P12ihipStream_tbDpT10_ENKUlT_T0_E_clISt17integral_constantIbLb0EES1B_EEDaS16_S17_EUlS16_E_NS1_11comp_targetILNS1_3genE5ELNS1_11target_archE942ELNS1_3gpuE9ELNS1_3repE0EEENS1_30default_config_static_selectorELNS0_4arch9wavefront6targetE1EEEvT1_, .Lfunc_end3324-_ZN7rocprim17ROCPRIM_400000_NS6detail17trampoline_kernelINS0_14default_configENS1_25partition_config_selectorILNS1_17partition_subalgoE1EiNS0_10empty_typeEbEEZZNS1_14partition_implILS5_1ELb0ES3_jN6thrust23THRUST_200600_302600_NS6detail15normal_iteratorINSA_10device_ptrIiEEEEPS6_NSA_18transform_iteratorI7is_evenIiESF_NSA_11use_defaultESK_EENS0_5tupleIJNSA_16discard_iteratorISK_EESF_EEENSM_IJSG_SG_EEES6_PlJS6_EEE10hipError_tPvRmT3_T4_T5_T6_T7_T9_mT8_P12ihipStream_tbDpT10_ENKUlT_T0_E_clISt17integral_constantIbLb0EES1B_EEDaS16_S17_EUlS16_E_NS1_11comp_targetILNS1_3genE5ELNS1_11target_archE942ELNS1_3gpuE9ELNS1_3repE0EEENS1_30default_config_static_selectorELNS0_4arch9wavefront6targetE1EEEvT1_
                                        ; -- End function
	.section	.AMDGPU.csdata,"",@progbits
; Kernel info:
; codeLenInByte = 7688
; NumSgprs: 50
; NumVgprs: 65
; NumAgprs: 0
; TotalNumVgprs: 65
; ScratchSize: 0
; MemoryBound: 0
; FloatMode: 240
; IeeeMode: 1
; LDSByteSize: 30728 bytes/workgroup (compile time only)
; SGPRBlocks: 6
; VGPRBlocks: 8
; NumSGPRsForWavesPerEU: 50
; NumVGPRsForWavesPerEU: 65
; AccumOffset: 68
; Occupancy: 4
; WaveLimiterHint : 1
; COMPUTE_PGM_RSRC2:SCRATCH_EN: 0
; COMPUTE_PGM_RSRC2:USER_SGPR: 2
; COMPUTE_PGM_RSRC2:TRAP_HANDLER: 0
; COMPUTE_PGM_RSRC2:TGID_X_EN: 1
; COMPUTE_PGM_RSRC2:TGID_Y_EN: 0
; COMPUTE_PGM_RSRC2:TGID_Z_EN: 0
; COMPUTE_PGM_RSRC2:TIDIG_COMP_CNT: 0
; COMPUTE_PGM_RSRC3_GFX90A:ACCUM_OFFSET: 16
; COMPUTE_PGM_RSRC3_GFX90A:TG_SPLIT: 0
	.section	.text._ZN7rocprim17ROCPRIM_400000_NS6detail17trampoline_kernelINS0_14default_configENS1_25partition_config_selectorILNS1_17partition_subalgoE1EiNS0_10empty_typeEbEEZZNS1_14partition_implILS5_1ELb0ES3_jN6thrust23THRUST_200600_302600_NS6detail15normal_iteratorINSA_10device_ptrIiEEEEPS6_NSA_18transform_iteratorI7is_evenIiESF_NSA_11use_defaultESK_EENS0_5tupleIJNSA_16discard_iteratorISK_EESF_EEENSM_IJSG_SG_EEES6_PlJS6_EEE10hipError_tPvRmT3_T4_T5_T6_T7_T9_mT8_P12ihipStream_tbDpT10_ENKUlT_T0_E_clISt17integral_constantIbLb0EES1B_EEDaS16_S17_EUlS16_E_NS1_11comp_targetILNS1_3genE4ELNS1_11target_archE910ELNS1_3gpuE8ELNS1_3repE0EEENS1_30default_config_static_selectorELNS0_4arch9wavefront6targetE1EEEvT1_,"axG",@progbits,_ZN7rocprim17ROCPRIM_400000_NS6detail17trampoline_kernelINS0_14default_configENS1_25partition_config_selectorILNS1_17partition_subalgoE1EiNS0_10empty_typeEbEEZZNS1_14partition_implILS5_1ELb0ES3_jN6thrust23THRUST_200600_302600_NS6detail15normal_iteratorINSA_10device_ptrIiEEEEPS6_NSA_18transform_iteratorI7is_evenIiESF_NSA_11use_defaultESK_EENS0_5tupleIJNSA_16discard_iteratorISK_EESF_EEENSM_IJSG_SG_EEES6_PlJS6_EEE10hipError_tPvRmT3_T4_T5_T6_T7_T9_mT8_P12ihipStream_tbDpT10_ENKUlT_T0_E_clISt17integral_constantIbLb0EES1B_EEDaS16_S17_EUlS16_E_NS1_11comp_targetILNS1_3genE4ELNS1_11target_archE910ELNS1_3gpuE8ELNS1_3repE0EEENS1_30default_config_static_selectorELNS0_4arch9wavefront6targetE1EEEvT1_,comdat
	.protected	_ZN7rocprim17ROCPRIM_400000_NS6detail17trampoline_kernelINS0_14default_configENS1_25partition_config_selectorILNS1_17partition_subalgoE1EiNS0_10empty_typeEbEEZZNS1_14partition_implILS5_1ELb0ES3_jN6thrust23THRUST_200600_302600_NS6detail15normal_iteratorINSA_10device_ptrIiEEEEPS6_NSA_18transform_iteratorI7is_evenIiESF_NSA_11use_defaultESK_EENS0_5tupleIJNSA_16discard_iteratorISK_EESF_EEENSM_IJSG_SG_EEES6_PlJS6_EEE10hipError_tPvRmT3_T4_T5_T6_T7_T9_mT8_P12ihipStream_tbDpT10_ENKUlT_T0_E_clISt17integral_constantIbLb0EES1B_EEDaS16_S17_EUlS16_E_NS1_11comp_targetILNS1_3genE4ELNS1_11target_archE910ELNS1_3gpuE8ELNS1_3repE0EEENS1_30default_config_static_selectorELNS0_4arch9wavefront6targetE1EEEvT1_ ; -- Begin function _ZN7rocprim17ROCPRIM_400000_NS6detail17trampoline_kernelINS0_14default_configENS1_25partition_config_selectorILNS1_17partition_subalgoE1EiNS0_10empty_typeEbEEZZNS1_14partition_implILS5_1ELb0ES3_jN6thrust23THRUST_200600_302600_NS6detail15normal_iteratorINSA_10device_ptrIiEEEEPS6_NSA_18transform_iteratorI7is_evenIiESF_NSA_11use_defaultESK_EENS0_5tupleIJNSA_16discard_iteratorISK_EESF_EEENSM_IJSG_SG_EEES6_PlJS6_EEE10hipError_tPvRmT3_T4_T5_T6_T7_T9_mT8_P12ihipStream_tbDpT10_ENKUlT_T0_E_clISt17integral_constantIbLb0EES1B_EEDaS16_S17_EUlS16_E_NS1_11comp_targetILNS1_3genE4ELNS1_11target_archE910ELNS1_3gpuE8ELNS1_3repE0EEENS1_30default_config_static_selectorELNS0_4arch9wavefront6targetE1EEEvT1_
	.globl	_ZN7rocprim17ROCPRIM_400000_NS6detail17trampoline_kernelINS0_14default_configENS1_25partition_config_selectorILNS1_17partition_subalgoE1EiNS0_10empty_typeEbEEZZNS1_14partition_implILS5_1ELb0ES3_jN6thrust23THRUST_200600_302600_NS6detail15normal_iteratorINSA_10device_ptrIiEEEEPS6_NSA_18transform_iteratorI7is_evenIiESF_NSA_11use_defaultESK_EENS0_5tupleIJNSA_16discard_iteratorISK_EESF_EEENSM_IJSG_SG_EEES6_PlJS6_EEE10hipError_tPvRmT3_T4_T5_T6_T7_T9_mT8_P12ihipStream_tbDpT10_ENKUlT_T0_E_clISt17integral_constantIbLb0EES1B_EEDaS16_S17_EUlS16_E_NS1_11comp_targetILNS1_3genE4ELNS1_11target_archE910ELNS1_3gpuE8ELNS1_3repE0EEENS1_30default_config_static_selectorELNS0_4arch9wavefront6targetE1EEEvT1_
	.p2align	8
	.type	_ZN7rocprim17ROCPRIM_400000_NS6detail17trampoline_kernelINS0_14default_configENS1_25partition_config_selectorILNS1_17partition_subalgoE1EiNS0_10empty_typeEbEEZZNS1_14partition_implILS5_1ELb0ES3_jN6thrust23THRUST_200600_302600_NS6detail15normal_iteratorINSA_10device_ptrIiEEEEPS6_NSA_18transform_iteratorI7is_evenIiESF_NSA_11use_defaultESK_EENS0_5tupleIJNSA_16discard_iteratorISK_EESF_EEENSM_IJSG_SG_EEES6_PlJS6_EEE10hipError_tPvRmT3_T4_T5_T6_T7_T9_mT8_P12ihipStream_tbDpT10_ENKUlT_T0_E_clISt17integral_constantIbLb0EES1B_EEDaS16_S17_EUlS16_E_NS1_11comp_targetILNS1_3genE4ELNS1_11target_archE910ELNS1_3gpuE8ELNS1_3repE0EEENS1_30default_config_static_selectorELNS0_4arch9wavefront6targetE1EEEvT1_,@function
_ZN7rocprim17ROCPRIM_400000_NS6detail17trampoline_kernelINS0_14default_configENS1_25partition_config_selectorILNS1_17partition_subalgoE1EiNS0_10empty_typeEbEEZZNS1_14partition_implILS5_1ELb0ES3_jN6thrust23THRUST_200600_302600_NS6detail15normal_iteratorINSA_10device_ptrIiEEEEPS6_NSA_18transform_iteratorI7is_evenIiESF_NSA_11use_defaultESK_EENS0_5tupleIJNSA_16discard_iteratorISK_EESF_EEENSM_IJSG_SG_EEES6_PlJS6_EEE10hipError_tPvRmT3_T4_T5_T6_T7_T9_mT8_P12ihipStream_tbDpT10_ENKUlT_T0_E_clISt17integral_constantIbLb0EES1B_EEDaS16_S17_EUlS16_E_NS1_11comp_targetILNS1_3genE4ELNS1_11target_archE910ELNS1_3gpuE8ELNS1_3repE0EEENS1_30default_config_static_selectorELNS0_4arch9wavefront6targetE1EEEvT1_: ; @_ZN7rocprim17ROCPRIM_400000_NS6detail17trampoline_kernelINS0_14default_configENS1_25partition_config_selectorILNS1_17partition_subalgoE1EiNS0_10empty_typeEbEEZZNS1_14partition_implILS5_1ELb0ES3_jN6thrust23THRUST_200600_302600_NS6detail15normal_iteratorINSA_10device_ptrIiEEEEPS6_NSA_18transform_iteratorI7is_evenIiESF_NSA_11use_defaultESK_EENS0_5tupleIJNSA_16discard_iteratorISK_EESF_EEENSM_IJSG_SG_EEES6_PlJS6_EEE10hipError_tPvRmT3_T4_T5_T6_T7_T9_mT8_P12ihipStream_tbDpT10_ENKUlT_T0_E_clISt17integral_constantIbLb0EES1B_EEDaS16_S17_EUlS16_E_NS1_11comp_targetILNS1_3genE4ELNS1_11target_archE910ELNS1_3gpuE8ELNS1_3repE0EEENS1_30default_config_static_selectorELNS0_4arch9wavefront6targetE1EEEvT1_
; %bb.0:
	.section	.rodata,"a",@progbits
	.p2align	6, 0x0
	.amdhsa_kernel _ZN7rocprim17ROCPRIM_400000_NS6detail17trampoline_kernelINS0_14default_configENS1_25partition_config_selectorILNS1_17partition_subalgoE1EiNS0_10empty_typeEbEEZZNS1_14partition_implILS5_1ELb0ES3_jN6thrust23THRUST_200600_302600_NS6detail15normal_iteratorINSA_10device_ptrIiEEEEPS6_NSA_18transform_iteratorI7is_evenIiESF_NSA_11use_defaultESK_EENS0_5tupleIJNSA_16discard_iteratorISK_EESF_EEENSM_IJSG_SG_EEES6_PlJS6_EEE10hipError_tPvRmT3_T4_T5_T6_T7_T9_mT8_P12ihipStream_tbDpT10_ENKUlT_T0_E_clISt17integral_constantIbLb0EES1B_EEDaS16_S17_EUlS16_E_NS1_11comp_targetILNS1_3genE4ELNS1_11target_archE910ELNS1_3gpuE8ELNS1_3repE0EEENS1_30default_config_static_selectorELNS0_4arch9wavefront6targetE1EEEvT1_
		.amdhsa_group_segment_fixed_size 0
		.amdhsa_private_segment_fixed_size 0
		.amdhsa_kernarg_size 136
		.amdhsa_user_sgpr_count 2
		.amdhsa_user_sgpr_dispatch_ptr 0
		.amdhsa_user_sgpr_queue_ptr 0
		.amdhsa_user_sgpr_kernarg_segment_ptr 1
		.amdhsa_user_sgpr_dispatch_id 0
		.amdhsa_user_sgpr_kernarg_preload_length 0
		.amdhsa_user_sgpr_kernarg_preload_offset 0
		.amdhsa_user_sgpr_private_segment_size 0
		.amdhsa_uses_dynamic_stack 0
		.amdhsa_enable_private_segment 0
		.amdhsa_system_sgpr_workgroup_id_x 1
		.amdhsa_system_sgpr_workgroup_id_y 0
		.amdhsa_system_sgpr_workgroup_id_z 0
		.amdhsa_system_sgpr_workgroup_info 0
		.amdhsa_system_vgpr_workitem_id 0
		.amdhsa_next_free_vgpr 1
		.amdhsa_next_free_sgpr 0
		.amdhsa_accum_offset 4
		.amdhsa_reserve_vcc 0
		.amdhsa_float_round_mode_32 0
		.amdhsa_float_round_mode_16_64 0
		.amdhsa_float_denorm_mode_32 3
		.amdhsa_float_denorm_mode_16_64 3
		.amdhsa_dx10_clamp 1
		.amdhsa_ieee_mode 1
		.amdhsa_fp16_overflow 0
		.amdhsa_tg_split 0
		.amdhsa_exception_fp_ieee_invalid_op 0
		.amdhsa_exception_fp_denorm_src 0
		.amdhsa_exception_fp_ieee_div_zero 0
		.amdhsa_exception_fp_ieee_overflow 0
		.amdhsa_exception_fp_ieee_underflow 0
		.amdhsa_exception_fp_ieee_inexact 0
		.amdhsa_exception_int_div_zero 0
	.end_amdhsa_kernel
	.section	.text._ZN7rocprim17ROCPRIM_400000_NS6detail17trampoline_kernelINS0_14default_configENS1_25partition_config_selectorILNS1_17partition_subalgoE1EiNS0_10empty_typeEbEEZZNS1_14partition_implILS5_1ELb0ES3_jN6thrust23THRUST_200600_302600_NS6detail15normal_iteratorINSA_10device_ptrIiEEEEPS6_NSA_18transform_iteratorI7is_evenIiESF_NSA_11use_defaultESK_EENS0_5tupleIJNSA_16discard_iteratorISK_EESF_EEENSM_IJSG_SG_EEES6_PlJS6_EEE10hipError_tPvRmT3_T4_T5_T6_T7_T9_mT8_P12ihipStream_tbDpT10_ENKUlT_T0_E_clISt17integral_constantIbLb0EES1B_EEDaS16_S17_EUlS16_E_NS1_11comp_targetILNS1_3genE4ELNS1_11target_archE910ELNS1_3gpuE8ELNS1_3repE0EEENS1_30default_config_static_selectorELNS0_4arch9wavefront6targetE1EEEvT1_,"axG",@progbits,_ZN7rocprim17ROCPRIM_400000_NS6detail17trampoline_kernelINS0_14default_configENS1_25partition_config_selectorILNS1_17partition_subalgoE1EiNS0_10empty_typeEbEEZZNS1_14partition_implILS5_1ELb0ES3_jN6thrust23THRUST_200600_302600_NS6detail15normal_iteratorINSA_10device_ptrIiEEEEPS6_NSA_18transform_iteratorI7is_evenIiESF_NSA_11use_defaultESK_EENS0_5tupleIJNSA_16discard_iteratorISK_EESF_EEENSM_IJSG_SG_EEES6_PlJS6_EEE10hipError_tPvRmT3_T4_T5_T6_T7_T9_mT8_P12ihipStream_tbDpT10_ENKUlT_T0_E_clISt17integral_constantIbLb0EES1B_EEDaS16_S17_EUlS16_E_NS1_11comp_targetILNS1_3genE4ELNS1_11target_archE910ELNS1_3gpuE8ELNS1_3repE0EEENS1_30default_config_static_selectorELNS0_4arch9wavefront6targetE1EEEvT1_,comdat
.Lfunc_end3325:
	.size	_ZN7rocprim17ROCPRIM_400000_NS6detail17trampoline_kernelINS0_14default_configENS1_25partition_config_selectorILNS1_17partition_subalgoE1EiNS0_10empty_typeEbEEZZNS1_14partition_implILS5_1ELb0ES3_jN6thrust23THRUST_200600_302600_NS6detail15normal_iteratorINSA_10device_ptrIiEEEEPS6_NSA_18transform_iteratorI7is_evenIiESF_NSA_11use_defaultESK_EENS0_5tupleIJNSA_16discard_iteratorISK_EESF_EEENSM_IJSG_SG_EEES6_PlJS6_EEE10hipError_tPvRmT3_T4_T5_T6_T7_T9_mT8_P12ihipStream_tbDpT10_ENKUlT_T0_E_clISt17integral_constantIbLb0EES1B_EEDaS16_S17_EUlS16_E_NS1_11comp_targetILNS1_3genE4ELNS1_11target_archE910ELNS1_3gpuE8ELNS1_3repE0EEENS1_30default_config_static_selectorELNS0_4arch9wavefront6targetE1EEEvT1_, .Lfunc_end3325-_ZN7rocprim17ROCPRIM_400000_NS6detail17trampoline_kernelINS0_14default_configENS1_25partition_config_selectorILNS1_17partition_subalgoE1EiNS0_10empty_typeEbEEZZNS1_14partition_implILS5_1ELb0ES3_jN6thrust23THRUST_200600_302600_NS6detail15normal_iteratorINSA_10device_ptrIiEEEEPS6_NSA_18transform_iteratorI7is_evenIiESF_NSA_11use_defaultESK_EENS0_5tupleIJNSA_16discard_iteratorISK_EESF_EEENSM_IJSG_SG_EEES6_PlJS6_EEE10hipError_tPvRmT3_T4_T5_T6_T7_T9_mT8_P12ihipStream_tbDpT10_ENKUlT_T0_E_clISt17integral_constantIbLb0EES1B_EEDaS16_S17_EUlS16_E_NS1_11comp_targetILNS1_3genE4ELNS1_11target_archE910ELNS1_3gpuE8ELNS1_3repE0EEENS1_30default_config_static_selectorELNS0_4arch9wavefront6targetE1EEEvT1_
                                        ; -- End function
	.section	.AMDGPU.csdata,"",@progbits
; Kernel info:
; codeLenInByte = 0
; NumSgprs: 6
; NumVgprs: 0
; NumAgprs: 0
; TotalNumVgprs: 0
; ScratchSize: 0
; MemoryBound: 0
; FloatMode: 240
; IeeeMode: 1
; LDSByteSize: 0 bytes/workgroup (compile time only)
; SGPRBlocks: 0
; VGPRBlocks: 0
; NumSGPRsForWavesPerEU: 6
; NumVGPRsForWavesPerEU: 1
; AccumOffset: 4
; Occupancy: 8
; WaveLimiterHint : 0
; COMPUTE_PGM_RSRC2:SCRATCH_EN: 0
; COMPUTE_PGM_RSRC2:USER_SGPR: 2
; COMPUTE_PGM_RSRC2:TRAP_HANDLER: 0
; COMPUTE_PGM_RSRC2:TGID_X_EN: 1
; COMPUTE_PGM_RSRC2:TGID_Y_EN: 0
; COMPUTE_PGM_RSRC2:TGID_Z_EN: 0
; COMPUTE_PGM_RSRC2:TIDIG_COMP_CNT: 0
; COMPUTE_PGM_RSRC3_GFX90A:ACCUM_OFFSET: 0
; COMPUTE_PGM_RSRC3_GFX90A:TG_SPLIT: 0
	.section	.text._ZN7rocprim17ROCPRIM_400000_NS6detail17trampoline_kernelINS0_14default_configENS1_25partition_config_selectorILNS1_17partition_subalgoE1EiNS0_10empty_typeEbEEZZNS1_14partition_implILS5_1ELb0ES3_jN6thrust23THRUST_200600_302600_NS6detail15normal_iteratorINSA_10device_ptrIiEEEEPS6_NSA_18transform_iteratorI7is_evenIiESF_NSA_11use_defaultESK_EENS0_5tupleIJNSA_16discard_iteratorISK_EESF_EEENSM_IJSG_SG_EEES6_PlJS6_EEE10hipError_tPvRmT3_T4_T5_T6_T7_T9_mT8_P12ihipStream_tbDpT10_ENKUlT_T0_E_clISt17integral_constantIbLb0EES1B_EEDaS16_S17_EUlS16_E_NS1_11comp_targetILNS1_3genE3ELNS1_11target_archE908ELNS1_3gpuE7ELNS1_3repE0EEENS1_30default_config_static_selectorELNS0_4arch9wavefront6targetE1EEEvT1_,"axG",@progbits,_ZN7rocprim17ROCPRIM_400000_NS6detail17trampoline_kernelINS0_14default_configENS1_25partition_config_selectorILNS1_17partition_subalgoE1EiNS0_10empty_typeEbEEZZNS1_14partition_implILS5_1ELb0ES3_jN6thrust23THRUST_200600_302600_NS6detail15normal_iteratorINSA_10device_ptrIiEEEEPS6_NSA_18transform_iteratorI7is_evenIiESF_NSA_11use_defaultESK_EENS0_5tupleIJNSA_16discard_iteratorISK_EESF_EEENSM_IJSG_SG_EEES6_PlJS6_EEE10hipError_tPvRmT3_T4_T5_T6_T7_T9_mT8_P12ihipStream_tbDpT10_ENKUlT_T0_E_clISt17integral_constantIbLb0EES1B_EEDaS16_S17_EUlS16_E_NS1_11comp_targetILNS1_3genE3ELNS1_11target_archE908ELNS1_3gpuE7ELNS1_3repE0EEENS1_30default_config_static_selectorELNS0_4arch9wavefront6targetE1EEEvT1_,comdat
	.protected	_ZN7rocprim17ROCPRIM_400000_NS6detail17trampoline_kernelINS0_14default_configENS1_25partition_config_selectorILNS1_17partition_subalgoE1EiNS0_10empty_typeEbEEZZNS1_14partition_implILS5_1ELb0ES3_jN6thrust23THRUST_200600_302600_NS6detail15normal_iteratorINSA_10device_ptrIiEEEEPS6_NSA_18transform_iteratorI7is_evenIiESF_NSA_11use_defaultESK_EENS0_5tupleIJNSA_16discard_iteratorISK_EESF_EEENSM_IJSG_SG_EEES6_PlJS6_EEE10hipError_tPvRmT3_T4_T5_T6_T7_T9_mT8_P12ihipStream_tbDpT10_ENKUlT_T0_E_clISt17integral_constantIbLb0EES1B_EEDaS16_S17_EUlS16_E_NS1_11comp_targetILNS1_3genE3ELNS1_11target_archE908ELNS1_3gpuE7ELNS1_3repE0EEENS1_30default_config_static_selectorELNS0_4arch9wavefront6targetE1EEEvT1_ ; -- Begin function _ZN7rocprim17ROCPRIM_400000_NS6detail17trampoline_kernelINS0_14default_configENS1_25partition_config_selectorILNS1_17partition_subalgoE1EiNS0_10empty_typeEbEEZZNS1_14partition_implILS5_1ELb0ES3_jN6thrust23THRUST_200600_302600_NS6detail15normal_iteratorINSA_10device_ptrIiEEEEPS6_NSA_18transform_iteratorI7is_evenIiESF_NSA_11use_defaultESK_EENS0_5tupleIJNSA_16discard_iteratorISK_EESF_EEENSM_IJSG_SG_EEES6_PlJS6_EEE10hipError_tPvRmT3_T4_T5_T6_T7_T9_mT8_P12ihipStream_tbDpT10_ENKUlT_T0_E_clISt17integral_constantIbLb0EES1B_EEDaS16_S17_EUlS16_E_NS1_11comp_targetILNS1_3genE3ELNS1_11target_archE908ELNS1_3gpuE7ELNS1_3repE0EEENS1_30default_config_static_selectorELNS0_4arch9wavefront6targetE1EEEvT1_
	.globl	_ZN7rocprim17ROCPRIM_400000_NS6detail17trampoline_kernelINS0_14default_configENS1_25partition_config_selectorILNS1_17partition_subalgoE1EiNS0_10empty_typeEbEEZZNS1_14partition_implILS5_1ELb0ES3_jN6thrust23THRUST_200600_302600_NS6detail15normal_iteratorINSA_10device_ptrIiEEEEPS6_NSA_18transform_iteratorI7is_evenIiESF_NSA_11use_defaultESK_EENS0_5tupleIJNSA_16discard_iteratorISK_EESF_EEENSM_IJSG_SG_EEES6_PlJS6_EEE10hipError_tPvRmT3_T4_T5_T6_T7_T9_mT8_P12ihipStream_tbDpT10_ENKUlT_T0_E_clISt17integral_constantIbLb0EES1B_EEDaS16_S17_EUlS16_E_NS1_11comp_targetILNS1_3genE3ELNS1_11target_archE908ELNS1_3gpuE7ELNS1_3repE0EEENS1_30default_config_static_selectorELNS0_4arch9wavefront6targetE1EEEvT1_
	.p2align	8
	.type	_ZN7rocprim17ROCPRIM_400000_NS6detail17trampoline_kernelINS0_14default_configENS1_25partition_config_selectorILNS1_17partition_subalgoE1EiNS0_10empty_typeEbEEZZNS1_14partition_implILS5_1ELb0ES3_jN6thrust23THRUST_200600_302600_NS6detail15normal_iteratorINSA_10device_ptrIiEEEEPS6_NSA_18transform_iteratorI7is_evenIiESF_NSA_11use_defaultESK_EENS0_5tupleIJNSA_16discard_iteratorISK_EESF_EEENSM_IJSG_SG_EEES6_PlJS6_EEE10hipError_tPvRmT3_T4_T5_T6_T7_T9_mT8_P12ihipStream_tbDpT10_ENKUlT_T0_E_clISt17integral_constantIbLb0EES1B_EEDaS16_S17_EUlS16_E_NS1_11comp_targetILNS1_3genE3ELNS1_11target_archE908ELNS1_3gpuE7ELNS1_3repE0EEENS1_30default_config_static_selectorELNS0_4arch9wavefront6targetE1EEEvT1_,@function
_ZN7rocprim17ROCPRIM_400000_NS6detail17trampoline_kernelINS0_14default_configENS1_25partition_config_selectorILNS1_17partition_subalgoE1EiNS0_10empty_typeEbEEZZNS1_14partition_implILS5_1ELb0ES3_jN6thrust23THRUST_200600_302600_NS6detail15normal_iteratorINSA_10device_ptrIiEEEEPS6_NSA_18transform_iteratorI7is_evenIiESF_NSA_11use_defaultESK_EENS0_5tupleIJNSA_16discard_iteratorISK_EESF_EEENSM_IJSG_SG_EEES6_PlJS6_EEE10hipError_tPvRmT3_T4_T5_T6_T7_T9_mT8_P12ihipStream_tbDpT10_ENKUlT_T0_E_clISt17integral_constantIbLb0EES1B_EEDaS16_S17_EUlS16_E_NS1_11comp_targetILNS1_3genE3ELNS1_11target_archE908ELNS1_3gpuE7ELNS1_3repE0EEENS1_30default_config_static_selectorELNS0_4arch9wavefront6targetE1EEEvT1_: ; @_ZN7rocprim17ROCPRIM_400000_NS6detail17trampoline_kernelINS0_14default_configENS1_25partition_config_selectorILNS1_17partition_subalgoE1EiNS0_10empty_typeEbEEZZNS1_14partition_implILS5_1ELb0ES3_jN6thrust23THRUST_200600_302600_NS6detail15normal_iteratorINSA_10device_ptrIiEEEEPS6_NSA_18transform_iteratorI7is_evenIiESF_NSA_11use_defaultESK_EENS0_5tupleIJNSA_16discard_iteratorISK_EESF_EEENSM_IJSG_SG_EEES6_PlJS6_EEE10hipError_tPvRmT3_T4_T5_T6_T7_T9_mT8_P12ihipStream_tbDpT10_ENKUlT_T0_E_clISt17integral_constantIbLb0EES1B_EEDaS16_S17_EUlS16_E_NS1_11comp_targetILNS1_3genE3ELNS1_11target_archE908ELNS1_3gpuE7ELNS1_3repE0EEENS1_30default_config_static_selectorELNS0_4arch9wavefront6targetE1EEEvT1_
; %bb.0:
	.section	.rodata,"a",@progbits
	.p2align	6, 0x0
	.amdhsa_kernel _ZN7rocprim17ROCPRIM_400000_NS6detail17trampoline_kernelINS0_14default_configENS1_25partition_config_selectorILNS1_17partition_subalgoE1EiNS0_10empty_typeEbEEZZNS1_14partition_implILS5_1ELb0ES3_jN6thrust23THRUST_200600_302600_NS6detail15normal_iteratorINSA_10device_ptrIiEEEEPS6_NSA_18transform_iteratorI7is_evenIiESF_NSA_11use_defaultESK_EENS0_5tupleIJNSA_16discard_iteratorISK_EESF_EEENSM_IJSG_SG_EEES6_PlJS6_EEE10hipError_tPvRmT3_T4_T5_T6_T7_T9_mT8_P12ihipStream_tbDpT10_ENKUlT_T0_E_clISt17integral_constantIbLb0EES1B_EEDaS16_S17_EUlS16_E_NS1_11comp_targetILNS1_3genE3ELNS1_11target_archE908ELNS1_3gpuE7ELNS1_3repE0EEENS1_30default_config_static_selectorELNS0_4arch9wavefront6targetE1EEEvT1_
		.amdhsa_group_segment_fixed_size 0
		.amdhsa_private_segment_fixed_size 0
		.amdhsa_kernarg_size 136
		.amdhsa_user_sgpr_count 2
		.amdhsa_user_sgpr_dispatch_ptr 0
		.amdhsa_user_sgpr_queue_ptr 0
		.amdhsa_user_sgpr_kernarg_segment_ptr 1
		.amdhsa_user_sgpr_dispatch_id 0
		.amdhsa_user_sgpr_kernarg_preload_length 0
		.amdhsa_user_sgpr_kernarg_preload_offset 0
		.amdhsa_user_sgpr_private_segment_size 0
		.amdhsa_uses_dynamic_stack 0
		.amdhsa_enable_private_segment 0
		.amdhsa_system_sgpr_workgroup_id_x 1
		.amdhsa_system_sgpr_workgroup_id_y 0
		.amdhsa_system_sgpr_workgroup_id_z 0
		.amdhsa_system_sgpr_workgroup_info 0
		.amdhsa_system_vgpr_workitem_id 0
		.amdhsa_next_free_vgpr 1
		.amdhsa_next_free_sgpr 0
		.amdhsa_accum_offset 4
		.amdhsa_reserve_vcc 0
		.amdhsa_float_round_mode_32 0
		.amdhsa_float_round_mode_16_64 0
		.amdhsa_float_denorm_mode_32 3
		.amdhsa_float_denorm_mode_16_64 3
		.amdhsa_dx10_clamp 1
		.amdhsa_ieee_mode 1
		.amdhsa_fp16_overflow 0
		.amdhsa_tg_split 0
		.amdhsa_exception_fp_ieee_invalid_op 0
		.amdhsa_exception_fp_denorm_src 0
		.amdhsa_exception_fp_ieee_div_zero 0
		.amdhsa_exception_fp_ieee_overflow 0
		.amdhsa_exception_fp_ieee_underflow 0
		.amdhsa_exception_fp_ieee_inexact 0
		.amdhsa_exception_int_div_zero 0
	.end_amdhsa_kernel
	.section	.text._ZN7rocprim17ROCPRIM_400000_NS6detail17trampoline_kernelINS0_14default_configENS1_25partition_config_selectorILNS1_17partition_subalgoE1EiNS0_10empty_typeEbEEZZNS1_14partition_implILS5_1ELb0ES3_jN6thrust23THRUST_200600_302600_NS6detail15normal_iteratorINSA_10device_ptrIiEEEEPS6_NSA_18transform_iteratorI7is_evenIiESF_NSA_11use_defaultESK_EENS0_5tupleIJNSA_16discard_iteratorISK_EESF_EEENSM_IJSG_SG_EEES6_PlJS6_EEE10hipError_tPvRmT3_T4_T5_T6_T7_T9_mT8_P12ihipStream_tbDpT10_ENKUlT_T0_E_clISt17integral_constantIbLb0EES1B_EEDaS16_S17_EUlS16_E_NS1_11comp_targetILNS1_3genE3ELNS1_11target_archE908ELNS1_3gpuE7ELNS1_3repE0EEENS1_30default_config_static_selectorELNS0_4arch9wavefront6targetE1EEEvT1_,"axG",@progbits,_ZN7rocprim17ROCPRIM_400000_NS6detail17trampoline_kernelINS0_14default_configENS1_25partition_config_selectorILNS1_17partition_subalgoE1EiNS0_10empty_typeEbEEZZNS1_14partition_implILS5_1ELb0ES3_jN6thrust23THRUST_200600_302600_NS6detail15normal_iteratorINSA_10device_ptrIiEEEEPS6_NSA_18transform_iteratorI7is_evenIiESF_NSA_11use_defaultESK_EENS0_5tupleIJNSA_16discard_iteratorISK_EESF_EEENSM_IJSG_SG_EEES6_PlJS6_EEE10hipError_tPvRmT3_T4_T5_T6_T7_T9_mT8_P12ihipStream_tbDpT10_ENKUlT_T0_E_clISt17integral_constantIbLb0EES1B_EEDaS16_S17_EUlS16_E_NS1_11comp_targetILNS1_3genE3ELNS1_11target_archE908ELNS1_3gpuE7ELNS1_3repE0EEENS1_30default_config_static_selectorELNS0_4arch9wavefront6targetE1EEEvT1_,comdat
.Lfunc_end3326:
	.size	_ZN7rocprim17ROCPRIM_400000_NS6detail17trampoline_kernelINS0_14default_configENS1_25partition_config_selectorILNS1_17partition_subalgoE1EiNS0_10empty_typeEbEEZZNS1_14partition_implILS5_1ELb0ES3_jN6thrust23THRUST_200600_302600_NS6detail15normal_iteratorINSA_10device_ptrIiEEEEPS6_NSA_18transform_iteratorI7is_evenIiESF_NSA_11use_defaultESK_EENS0_5tupleIJNSA_16discard_iteratorISK_EESF_EEENSM_IJSG_SG_EEES6_PlJS6_EEE10hipError_tPvRmT3_T4_T5_T6_T7_T9_mT8_P12ihipStream_tbDpT10_ENKUlT_T0_E_clISt17integral_constantIbLb0EES1B_EEDaS16_S17_EUlS16_E_NS1_11comp_targetILNS1_3genE3ELNS1_11target_archE908ELNS1_3gpuE7ELNS1_3repE0EEENS1_30default_config_static_selectorELNS0_4arch9wavefront6targetE1EEEvT1_, .Lfunc_end3326-_ZN7rocprim17ROCPRIM_400000_NS6detail17trampoline_kernelINS0_14default_configENS1_25partition_config_selectorILNS1_17partition_subalgoE1EiNS0_10empty_typeEbEEZZNS1_14partition_implILS5_1ELb0ES3_jN6thrust23THRUST_200600_302600_NS6detail15normal_iteratorINSA_10device_ptrIiEEEEPS6_NSA_18transform_iteratorI7is_evenIiESF_NSA_11use_defaultESK_EENS0_5tupleIJNSA_16discard_iteratorISK_EESF_EEENSM_IJSG_SG_EEES6_PlJS6_EEE10hipError_tPvRmT3_T4_T5_T6_T7_T9_mT8_P12ihipStream_tbDpT10_ENKUlT_T0_E_clISt17integral_constantIbLb0EES1B_EEDaS16_S17_EUlS16_E_NS1_11comp_targetILNS1_3genE3ELNS1_11target_archE908ELNS1_3gpuE7ELNS1_3repE0EEENS1_30default_config_static_selectorELNS0_4arch9wavefront6targetE1EEEvT1_
                                        ; -- End function
	.section	.AMDGPU.csdata,"",@progbits
; Kernel info:
; codeLenInByte = 0
; NumSgprs: 6
; NumVgprs: 0
; NumAgprs: 0
; TotalNumVgprs: 0
; ScratchSize: 0
; MemoryBound: 0
; FloatMode: 240
; IeeeMode: 1
; LDSByteSize: 0 bytes/workgroup (compile time only)
; SGPRBlocks: 0
; VGPRBlocks: 0
; NumSGPRsForWavesPerEU: 6
; NumVGPRsForWavesPerEU: 1
; AccumOffset: 4
; Occupancy: 8
; WaveLimiterHint : 0
; COMPUTE_PGM_RSRC2:SCRATCH_EN: 0
; COMPUTE_PGM_RSRC2:USER_SGPR: 2
; COMPUTE_PGM_RSRC2:TRAP_HANDLER: 0
; COMPUTE_PGM_RSRC2:TGID_X_EN: 1
; COMPUTE_PGM_RSRC2:TGID_Y_EN: 0
; COMPUTE_PGM_RSRC2:TGID_Z_EN: 0
; COMPUTE_PGM_RSRC2:TIDIG_COMP_CNT: 0
; COMPUTE_PGM_RSRC3_GFX90A:ACCUM_OFFSET: 0
; COMPUTE_PGM_RSRC3_GFX90A:TG_SPLIT: 0
	.section	.text._ZN7rocprim17ROCPRIM_400000_NS6detail17trampoline_kernelINS0_14default_configENS1_25partition_config_selectorILNS1_17partition_subalgoE1EiNS0_10empty_typeEbEEZZNS1_14partition_implILS5_1ELb0ES3_jN6thrust23THRUST_200600_302600_NS6detail15normal_iteratorINSA_10device_ptrIiEEEEPS6_NSA_18transform_iteratorI7is_evenIiESF_NSA_11use_defaultESK_EENS0_5tupleIJNSA_16discard_iteratorISK_EESF_EEENSM_IJSG_SG_EEES6_PlJS6_EEE10hipError_tPvRmT3_T4_T5_T6_T7_T9_mT8_P12ihipStream_tbDpT10_ENKUlT_T0_E_clISt17integral_constantIbLb0EES1B_EEDaS16_S17_EUlS16_E_NS1_11comp_targetILNS1_3genE2ELNS1_11target_archE906ELNS1_3gpuE6ELNS1_3repE0EEENS1_30default_config_static_selectorELNS0_4arch9wavefront6targetE1EEEvT1_,"axG",@progbits,_ZN7rocprim17ROCPRIM_400000_NS6detail17trampoline_kernelINS0_14default_configENS1_25partition_config_selectorILNS1_17partition_subalgoE1EiNS0_10empty_typeEbEEZZNS1_14partition_implILS5_1ELb0ES3_jN6thrust23THRUST_200600_302600_NS6detail15normal_iteratorINSA_10device_ptrIiEEEEPS6_NSA_18transform_iteratorI7is_evenIiESF_NSA_11use_defaultESK_EENS0_5tupleIJNSA_16discard_iteratorISK_EESF_EEENSM_IJSG_SG_EEES6_PlJS6_EEE10hipError_tPvRmT3_T4_T5_T6_T7_T9_mT8_P12ihipStream_tbDpT10_ENKUlT_T0_E_clISt17integral_constantIbLb0EES1B_EEDaS16_S17_EUlS16_E_NS1_11comp_targetILNS1_3genE2ELNS1_11target_archE906ELNS1_3gpuE6ELNS1_3repE0EEENS1_30default_config_static_selectorELNS0_4arch9wavefront6targetE1EEEvT1_,comdat
	.protected	_ZN7rocprim17ROCPRIM_400000_NS6detail17trampoline_kernelINS0_14default_configENS1_25partition_config_selectorILNS1_17partition_subalgoE1EiNS0_10empty_typeEbEEZZNS1_14partition_implILS5_1ELb0ES3_jN6thrust23THRUST_200600_302600_NS6detail15normal_iteratorINSA_10device_ptrIiEEEEPS6_NSA_18transform_iteratorI7is_evenIiESF_NSA_11use_defaultESK_EENS0_5tupleIJNSA_16discard_iteratorISK_EESF_EEENSM_IJSG_SG_EEES6_PlJS6_EEE10hipError_tPvRmT3_T4_T5_T6_T7_T9_mT8_P12ihipStream_tbDpT10_ENKUlT_T0_E_clISt17integral_constantIbLb0EES1B_EEDaS16_S17_EUlS16_E_NS1_11comp_targetILNS1_3genE2ELNS1_11target_archE906ELNS1_3gpuE6ELNS1_3repE0EEENS1_30default_config_static_selectorELNS0_4arch9wavefront6targetE1EEEvT1_ ; -- Begin function _ZN7rocprim17ROCPRIM_400000_NS6detail17trampoline_kernelINS0_14default_configENS1_25partition_config_selectorILNS1_17partition_subalgoE1EiNS0_10empty_typeEbEEZZNS1_14partition_implILS5_1ELb0ES3_jN6thrust23THRUST_200600_302600_NS6detail15normal_iteratorINSA_10device_ptrIiEEEEPS6_NSA_18transform_iteratorI7is_evenIiESF_NSA_11use_defaultESK_EENS0_5tupleIJNSA_16discard_iteratorISK_EESF_EEENSM_IJSG_SG_EEES6_PlJS6_EEE10hipError_tPvRmT3_T4_T5_T6_T7_T9_mT8_P12ihipStream_tbDpT10_ENKUlT_T0_E_clISt17integral_constantIbLb0EES1B_EEDaS16_S17_EUlS16_E_NS1_11comp_targetILNS1_3genE2ELNS1_11target_archE906ELNS1_3gpuE6ELNS1_3repE0EEENS1_30default_config_static_selectorELNS0_4arch9wavefront6targetE1EEEvT1_
	.globl	_ZN7rocprim17ROCPRIM_400000_NS6detail17trampoline_kernelINS0_14default_configENS1_25partition_config_selectorILNS1_17partition_subalgoE1EiNS0_10empty_typeEbEEZZNS1_14partition_implILS5_1ELb0ES3_jN6thrust23THRUST_200600_302600_NS6detail15normal_iteratorINSA_10device_ptrIiEEEEPS6_NSA_18transform_iteratorI7is_evenIiESF_NSA_11use_defaultESK_EENS0_5tupleIJNSA_16discard_iteratorISK_EESF_EEENSM_IJSG_SG_EEES6_PlJS6_EEE10hipError_tPvRmT3_T4_T5_T6_T7_T9_mT8_P12ihipStream_tbDpT10_ENKUlT_T0_E_clISt17integral_constantIbLb0EES1B_EEDaS16_S17_EUlS16_E_NS1_11comp_targetILNS1_3genE2ELNS1_11target_archE906ELNS1_3gpuE6ELNS1_3repE0EEENS1_30default_config_static_selectorELNS0_4arch9wavefront6targetE1EEEvT1_
	.p2align	8
	.type	_ZN7rocprim17ROCPRIM_400000_NS6detail17trampoline_kernelINS0_14default_configENS1_25partition_config_selectorILNS1_17partition_subalgoE1EiNS0_10empty_typeEbEEZZNS1_14partition_implILS5_1ELb0ES3_jN6thrust23THRUST_200600_302600_NS6detail15normal_iteratorINSA_10device_ptrIiEEEEPS6_NSA_18transform_iteratorI7is_evenIiESF_NSA_11use_defaultESK_EENS0_5tupleIJNSA_16discard_iteratorISK_EESF_EEENSM_IJSG_SG_EEES6_PlJS6_EEE10hipError_tPvRmT3_T4_T5_T6_T7_T9_mT8_P12ihipStream_tbDpT10_ENKUlT_T0_E_clISt17integral_constantIbLb0EES1B_EEDaS16_S17_EUlS16_E_NS1_11comp_targetILNS1_3genE2ELNS1_11target_archE906ELNS1_3gpuE6ELNS1_3repE0EEENS1_30default_config_static_selectorELNS0_4arch9wavefront6targetE1EEEvT1_,@function
_ZN7rocprim17ROCPRIM_400000_NS6detail17trampoline_kernelINS0_14default_configENS1_25partition_config_selectorILNS1_17partition_subalgoE1EiNS0_10empty_typeEbEEZZNS1_14partition_implILS5_1ELb0ES3_jN6thrust23THRUST_200600_302600_NS6detail15normal_iteratorINSA_10device_ptrIiEEEEPS6_NSA_18transform_iteratorI7is_evenIiESF_NSA_11use_defaultESK_EENS0_5tupleIJNSA_16discard_iteratorISK_EESF_EEENSM_IJSG_SG_EEES6_PlJS6_EEE10hipError_tPvRmT3_T4_T5_T6_T7_T9_mT8_P12ihipStream_tbDpT10_ENKUlT_T0_E_clISt17integral_constantIbLb0EES1B_EEDaS16_S17_EUlS16_E_NS1_11comp_targetILNS1_3genE2ELNS1_11target_archE906ELNS1_3gpuE6ELNS1_3repE0EEENS1_30default_config_static_selectorELNS0_4arch9wavefront6targetE1EEEvT1_: ; @_ZN7rocprim17ROCPRIM_400000_NS6detail17trampoline_kernelINS0_14default_configENS1_25partition_config_selectorILNS1_17partition_subalgoE1EiNS0_10empty_typeEbEEZZNS1_14partition_implILS5_1ELb0ES3_jN6thrust23THRUST_200600_302600_NS6detail15normal_iteratorINSA_10device_ptrIiEEEEPS6_NSA_18transform_iteratorI7is_evenIiESF_NSA_11use_defaultESK_EENS0_5tupleIJNSA_16discard_iteratorISK_EESF_EEENSM_IJSG_SG_EEES6_PlJS6_EEE10hipError_tPvRmT3_T4_T5_T6_T7_T9_mT8_P12ihipStream_tbDpT10_ENKUlT_T0_E_clISt17integral_constantIbLb0EES1B_EEDaS16_S17_EUlS16_E_NS1_11comp_targetILNS1_3genE2ELNS1_11target_archE906ELNS1_3gpuE6ELNS1_3repE0EEENS1_30default_config_static_selectorELNS0_4arch9wavefront6targetE1EEEvT1_
; %bb.0:
	.section	.rodata,"a",@progbits
	.p2align	6, 0x0
	.amdhsa_kernel _ZN7rocprim17ROCPRIM_400000_NS6detail17trampoline_kernelINS0_14default_configENS1_25partition_config_selectorILNS1_17partition_subalgoE1EiNS0_10empty_typeEbEEZZNS1_14partition_implILS5_1ELb0ES3_jN6thrust23THRUST_200600_302600_NS6detail15normal_iteratorINSA_10device_ptrIiEEEEPS6_NSA_18transform_iteratorI7is_evenIiESF_NSA_11use_defaultESK_EENS0_5tupleIJNSA_16discard_iteratorISK_EESF_EEENSM_IJSG_SG_EEES6_PlJS6_EEE10hipError_tPvRmT3_T4_T5_T6_T7_T9_mT8_P12ihipStream_tbDpT10_ENKUlT_T0_E_clISt17integral_constantIbLb0EES1B_EEDaS16_S17_EUlS16_E_NS1_11comp_targetILNS1_3genE2ELNS1_11target_archE906ELNS1_3gpuE6ELNS1_3repE0EEENS1_30default_config_static_selectorELNS0_4arch9wavefront6targetE1EEEvT1_
		.amdhsa_group_segment_fixed_size 0
		.amdhsa_private_segment_fixed_size 0
		.amdhsa_kernarg_size 136
		.amdhsa_user_sgpr_count 2
		.amdhsa_user_sgpr_dispatch_ptr 0
		.amdhsa_user_sgpr_queue_ptr 0
		.amdhsa_user_sgpr_kernarg_segment_ptr 1
		.amdhsa_user_sgpr_dispatch_id 0
		.amdhsa_user_sgpr_kernarg_preload_length 0
		.amdhsa_user_sgpr_kernarg_preload_offset 0
		.amdhsa_user_sgpr_private_segment_size 0
		.amdhsa_uses_dynamic_stack 0
		.amdhsa_enable_private_segment 0
		.amdhsa_system_sgpr_workgroup_id_x 1
		.amdhsa_system_sgpr_workgroup_id_y 0
		.amdhsa_system_sgpr_workgroup_id_z 0
		.amdhsa_system_sgpr_workgroup_info 0
		.amdhsa_system_vgpr_workitem_id 0
		.amdhsa_next_free_vgpr 1
		.amdhsa_next_free_sgpr 0
		.amdhsa_accum_offset 4
		.amdhsa_reserve_vcc 0
		.amdhsa_float_round_mode_32 0
		.amdhsa_float_round_mode_16_64 0
		.amdhsa_float_denorm_mode_32 3
		.amdhsa_float_denorm_mode_16_64 3
		.amdhsa_dx10_clamp 1
		.amdhsa_ieee_mode 1
		.amdhsa_fp16_overflow 0
		.amdhsa_tg_split 0
		.amdhsa_exception_fp_ieee_invalid_op 0
		.amdhsa_exception_fp_denorm_src 0
		.amdhsa_exception_fp_ieee_div_zero 0
		.amdhsa_exception_fp_ieee_overflow 0
		.amdhsa_exception_fp_ieee_underflow 0
		.amdhsa_exception_fp_ieee_inexact 0
		.amdhsa_exception_int_div_zero 0
	.end_amdhsa_kernel
	.section	.text._ZN7rocprim17ROCPRIM_400000_NS6detail17trampoline_kernelINS0_14default_configENS1_25partition_config_selectorILNS1_17partition_subalgoE1EiNS0_10empty_typeEbEEZZNS1_14partition_implILS5_1ELb0ES3_jN6thrust23THRUST_200600_302600_NS6detail15normal_iteratorINSA_10device_ptrIiEEEEPS6_NSA_18transform_iteratorI7is_evenIiESF_NSA_11use_defaultESK_EENS0_5tupleIJNSA_16discard_iteratorISK_EESF_EEENSM_IJSG_SG_EEES6_PlJS6_EEE10hipError_tPvRmT3_T4_T5_T6_T7_T9_mT8_P12ihipStream_tbDpT10_ENKUlT_T0_E_clISt17integral_constantIbLb0EES1B_EEDaS16_S17_EUlS16_E_NS1_11comp_targetILNS1_3genE2ELNS1_11target_archE906ELNS1_3gpuE6ELNS1_3repE0EEENS1_30default_config_static_selectorELNS0_4arch9wavefront6targetE1EEEvT1_,"axG",@progbits,_ZN7rocprim17ROCPRIM_400000_NS6detail17trampoline_kernelINS0_14default_configENS1_25partition_config_selectorILNS1_17partition_subalgoE1EiNS0_10empty_typeEbEEZZNS1_14partition_implILS5_1ELb0ES3_jN6thrust23THRUST_200600_302600_NS6detail15normal_iteratorINSA_10device_ptrIiEEEEPS6_NSA_18transform_iteratorI7is_evenIiESF_NSA_11use_defaultESK_EENS0_5tupleIJNSA_16discard_iteratorISK_EESF_EEENSM_IJSG_SG_EEES6_PlJS6_EEE10hipError_tPvRmT3_T4_T5_T6_T7_T9_mT8_P12ihipStream_tbDpT10_ENKUlT_T0_E_clISt17integral_constantIbLb0EES1B_EEDaS16_S17_EUlS16_E_NS1_11comp_targetILNS1_3genE2ELNS1_11target_archE906ELNS1_3gpuE6ELNS1_3repE0EEENS1_30default_config_static_selectorELNS0_4arch9wavefront6targetE1EEEvT1_,comdat
.Lfunc_end3327:
	.size	_ZN7rocprim17ROCPRIM_400000_NS6detail17trampoline_kernelINS0_14default_configENS1_25partition_config_selectorILNS1_17partition_subalgoE1EiNS0_10empty_typeEbEEZZNS1_14partition_implILS5_1ELb0ES3_jN6thrust23THRUST_200600_302600_NS6detail15normal_iteratorINSA_10device_ptrIiEEEEPS6_NSA_18transform_iteratorI7is_evenIiESF_NSA_11use_defaultESK_EENS0_5tupleIJNSA_16discard_iteratorISK_EESF_EEENSM_IJSG_SG_EEES6_PlJS6_EEE10hipError_tPvRmT3_T4_T5_T6_T7_T9_mT8_P12ihipStream_tbDpT10_ENKUlT_T0_E_clISt17integral_constantIbLb0EES1B_EEDaS16_S17_EUlS16_E_NS1_11comp_targetILNS1_3genE2ELNS1_11target_archE906ELNS1_3gpuE6ELNS1_3repE0EEENS1_30default_config_static_selectorELNS0_4arch9wavefront6targetE1EEEvT1_, .Lfunc_end3327-_ZN7rocprim17ROCPRIM_400000_NS6detail17trampoline_kernelINS0_14default_configENS1_25partition_config_selectorILNS1_17partition_subalgoE1EiNS0_10empty_typeEbEEZZNS1_14partition_implILS5_1ELb0ES3_jN6thrust23THRUST_200600_302600_NS6detail15normal_iteratorINSA_10device_ptrIiEEEEPS6_NSA_18transform_iteratorI7is_evenIiESF_NSA_11use_defaultESK_EENS0_5tupleIJNSA_16discard_iteratorISK_EESF_EEENSM_IJSG_SG_EEES6_PlJS6_EEE10hipError_tPvRmT3_T4_T5_T6_T7_T9_mT8_P12ihipStream_tbDpT10_ENKUlT_T0_E_clISt17integral_constantIbLb0EES1B_EEDaS16_S17_EUlS16_E_NS1_11comp_targetILNS1_3genE2ELNS1_11target_archE906ELNS1_3gpuE6ELNS1_3repE0EEENS1_30default_config_static_selectorELNS0_4arch9wavefront6targetE1EEEvT1_
                                        ; -- End function
	.section	.AMDGPU.csdata,"",@progbits
; Kernel info:
; codeLenInByte = 0
; NumSgprs: 6
; NumVgprs: 0
; NumAgprs: 0
; TotalNumVgprs: 0
; ScratchSize: 0
; MemoryBound: 0
; FloatMode: 240
; IeeeMode: 1
; LDSByteSize: 0 bytes/workgroup (compile time only)
; SGPRBlocks: 0
; VGPRBlocks: 0
; NumSGPRsForWavesPerEU: 6
; NumVGPRsForWavesPerEU: 1
; AccumOffset: 4
; Occupancy: 8
; WaveLimiterHint : 0
; COMPUTE_PGM_RSRC2:SCRATCH_EN: 0
; COMPUTE_PGM_RSRC2:USER_SGPR: 2
; COMPUTE_PGM_RSRC2:TRAP_HANDLER: 0
; COMPUTE_PGM_RSRC2:TGID_X_EN: 1
; COMPUTE_PGM_RSRC2:TGID_Y_EN: 0
; COMPUTE_PGM_RSRC2:TGID_Z_EN: 0
; COMPUTE_PGM_RSRC2:TIDIG_COMP_CNT: 0
; COMPUTE_PGM_RSRC3_GFX90A:ACCUM_OFFSET: 0
; COMPUTE_PGM_RSRC3_GFX90A:TG_SPLIT: 0
	.section	.text._ZN7rocprim17ROCPRIM_400000_NS6detail17trampoline_kernelINS0_14default_configENS1_25partition_config_selectorILNS1_17partition_subalgoE1EiNS0_10empty_typeEbEEZZNS1_14partition_implILS5_1ELb0ES3_jN6thrust23THRUST_200600_302600_NS6detail15normal_iteratorINSA_10device_ptrIiEEEEPS6_NSA_18transform_iteratorI7is_evenIiESF_NSA_11use_defaultESK_EENS0_5tupleIJNSA_16discard_iteratorISK_EESF_EEENSM_IJSG_SG_EEES6_PlJS6_EEE10hipError_tPvRmT3_T4_T5_T6_T7_T9_mT8_P12ihipStream_tbDpT10_ENKUlT_T0_E_clISt17integral_constantIbLb0EES1B_EEDaS16_S17_EUlS16_E_NS1_11comp_targetILNS1_3genE10ELNS1_11target_archE1200ELNS1_3gpuE4ELNS1_3repE0EEENS1_30default_config_static_selectorELNS0_4arch9wavefront6targetE1EEEvT1_,"axG",@progbits,_ZN7rocprim17ROCPRIM_400000_NS6detail17trampoline_kernelINS0_14default_configENS1_25partition_config_selectorILNS1_17partition_subalgoE1EiNS0_10empty_typeEbEEZZNS1_14partition_implILS5_1ELb0ES3_jN6thrust23THRUST_200600_302600_NS6detail15normal_iteratorINSA_10device_ptrIiEEEEPS6_NSA_18transform_iteratorI7is_evenIiESF_NSA_11use_defaultESK_EENS0_5tupleIJNSA_16discard_iteratorISK_EESF_EEENSM_IJSG_SG_EEES6_PlJS6_EEE10hipError_tPvRmT3_T4_T5_T6_T7_T9_mT8_P12ihipStream_tbDpT10_ENKUlT_T0_E_clISt17integral_constantIbLb0EES1B_EEDaS16_S17_EUlS16_E_NS1_11comp_targetILNS1_3genE10ELNS1_11target_archE1200ELNS1_3gpuE4ELNS1_3repE0EEENS1_30default_config_static_selectorELNS0_4arch9wavefront6targetE1EEEvT1_,comdat
	.protected	_ZN7rocprim17ROCPRIM_400000_NS6detail17trampoline_kernelINS0_14default_configENS1_25partition_config_selectorILNS1_17partition_subalgoE1EiNS0_10empty_typeEbEEZZNS1_14partition_implILS5_1ELb0ES3_jN6thrust23THRUST_200600_302600_NS6detail15normal_iteratorINSA_10device_ptrIiEEEEPS6_NSA_18transform_iteratorI7is_evenIiESF_NSA_11use_defaultESK_EENS0_5tupleIJNSA_16discard_iteratorISK_EESF_EEENSM_IJSG_SG_EEES6_PlJS6_EEE10hipError_tPvRmT3_T4_T5_T6_T7_T9_mT8_P12ihipStream_tbDpT10_ENKUlT_T0_E_clISt17integral_constantIbLb0EES1B_EEDaS16_S17_EUlS16_E_NS1_11comp_targetILNS1_3genE10ELNS1_11target_archE1200ELNS1_3gpuE4ELNS1_3repE0EEENS1_30default_config_static_selectorELNS0_4arch9wavefront6targetE1EEEvT1_ ; -- Begin function _ZN7rocprim17ROCPRIM_400000_NS6detail17trampoline_kernelINS0_14default_configENS1_25partition_config_selectorILNS1_17partition_subalgoE1EiNS0_10empty_typeEbEEZZNS1_14partition_implILS5_1ELb0ES3_jN6thrust23THRUST_200600_302600_NS6detail15normal_iteratorINSA_10device_ptrIiEEEEPS6_NSA_18transform_iteratorI7is_evenIiESF_NSA_11use_defaultESK_EENS0_5tupleIJNSA_16discard_iteratorISK_EESF_EEENSM_IJSG_SG_EEES6_PlJS6_EEE10hipError_tPvRmT3_T4_T5_T6_T7_T9_mT8_P12ihipStream_tbDpT10_ENKUlT_T0_E_clISt17integral_constantIbLb0EES1B_EEDaS16_S17_EUlS16_E_NS1_11comp_targetILNS1_3genE10ELNS1_11target_archE1200ELNS1_3gpuE4ELNS1_3repE0EEENS1_30default_config_static_selectorELNS0_4arch9wavefront6targetE1EEEvT1_
	.globl	_ZN7rocprim17ROCPRIM_400000_NS6detail17trampoline_kernelINS0_14default_configENS1_25partition_config_selectorILNS1_17partition_subalgoE1EiNS0_10empty_typeEbEEZZNS1_14partition_implILS5_1ELb0ES3_jN6thrust23THRUST_200600_302600_NS6detail15normal_iteratorINSA_10device_ptrIiEEEEPS6_NSA_18transform_iteratorI7is_evenIiESF_NSA_11use_defaultESK_EENS0_5tupleIJNSA_16discard_iteratorISK_EESF_EEENSM_IJSG_SG_EEES6_PlJS6_EEE10hipError_tPvRmT3_T4_T5_T6_T7_T9_mT8_P12ihipStream_tbDpT10_ENKUlT_T0_E_clISt17integral_constantIbLb0EES1B_EEDaS16_S17_EUlS16_E_NS1_11comp_targetILNS1_3genE10ELNS1_11target_archE1200ELNS1_3gpuE4ELNS1_3repE0EEENS1_30default_config_static_selectorELNS0_4arch9wavefront6targetE1EEEvT1_
	.p2align	8
	.type	_ZN7rocprim17ROCPRIM_400000_NS6detail17trampoline_kernelINS0_14default_configENS1_25partition_config_selectorILNS1_17partition_subalgoE1EiNS0_10empty_typeEbEEZZNS1_14partition_implILS5_1ELb0ES3_jN6thrust23THRUST_200600_302600_NS6detail15normal_iteratorINSA_10device_ptrIiEEEEPS6_NSA_18transform_iteratorI7is_evenIiESF_NSA_11use_defaultESK_EENS0_5tupleIJNSA_16discard_iteratorISK_EESF_EEENSM_IJSG_SG_EEES6_PlJS6_EEE10hipError_tPvRmT3_T4_T5_T6_T7_T9_mT8_P12ihipStream_tbDpT10_ENKUlT_T0_E_clISt17integral_constantIbLb0EES1B_EEDaS16_S17_EUlS16_E_NS1_11comp_targetILNS1_3genE10ELNS1_11target_archE1200ELNS1_3gpuE4ELNS1_3repE0EEENS1_30default_config_static_selectorELNS0_4arch9wavefront6targetE1EEEvT1_,@function
_ZN7rocprim17ROCPRIM_400000_NS6detail17trampoline_kernelINS0_14default_configENS1_25partition_config_selectorILNS1_17partition_subalgoE1EiNS0_10empty_typeEbEEZZNS1_14partition_implILS5_1ELb0ES3_jN6thrust23THRUST_200600_302600_NS6detail15normal_iteratorINSA_10device_ptrIiEEEEPS6_NSA_18transform_iteratorI7is_evenIiESF_NSA_11use_defaultESK_EENS0_5tupleIJNSA_16discard_iteratorISK_EESF_EEENSM_IJSG_SG_EEES6_PlJS6_EEE10hipError_tPvRmT3_T4_T5_T6_T7_T9_mT8_P12ihipStream_tbDpT10_ENKUlT_T0_E_clISt17integral_constantIbLb0EES1B_EEDaS16_S17_EUlS16_E_NS1_11comp_targetILNS1_3genE10ELNS1_11target_archE1200ELNS1_3gpuE4ELNS1_3repE0EEENS1_30default_config_static_selectorELNS0_4arch9wavefront6targetE1EEEvT1_: ; @_ZN7rocprim17ROCPRIM_400000_NS6detail17trampoline_kernelINS0_14default_configENS1_25partition_config_selectorILNS1_17partition_subalgoE1EiNS0_10empty_typeEbEEZZNS1_14partition_implILS5_1ELb0ES3_jN6thrust23THRUST_200600_302600_NS6detail15normal_iteratorINSA_10device_ptrIiEEEEPS6_NSA_18transform_iteratorI7is_evenIiESF_NSA_11use_defaultESK_EENS0_5tupleIJNSA_16discard_iteratorISK_EESF_EEENSM_IJSG_SG_EEES6_PlJS6_EEE10hipError_tPvRmT3_T4_T5_T6_T7_T9_mT8_P12ihipStream_tbDpT10_ENKUlT_T0_E_clISt17integral_constantIbLb0EES1B_EEDaS16_S17_EUlS16_E_NS1_11comp_targetILNS1_3genE10ELNS1_11target_archE1200ELNS1_3gpuE4ELNS1_3repE0EEENS1_30default_config_static_selectorELNS0_4arch9wavefront6targetE1EEEvT1_
; %bb.0:
	.section	.rodata,"a",@progbits
	.p2align	6, 0x0
	.amdhsa_kernel _ZN7rocprim17ROCPRIM_400000_NS6detail17trampoline_kernelINS0_14default_configENS1_25partition_config_selectorILNS1_17partition_subalgoE1EiNS0_10empty_typeEbEEZZNS1_14partition_implILS5_1ELb0ES3_jN6thrust23THRUST_200600_302600_NS6detail15normal_iteratorINSA_10device_ptrIiEEEEPS6_NSA_18transform_iteratorI7is_evenIiESF_NSA_11use_defaultESK_EENS0_5tupleIJNSA_16discard_iteratorISK_EESF_EEENSM_IJSG_SG_EEES6_PlJS6_EEE10hipError_tPvRmT3_T4_T5_T6_T7_T9_mT8_P12ihipStream_tbDpT10_ENKUlT_T0_E_clISt17integral_constantIbLb0EES1B_EEDaS16_S17_EUlS16_E_NS1_11comp_targetILNS1_3genE10ELNS1_11target_archE1200ELNS1_3gpuE4ELNS1_3repE0EEENS1_30default_config_static_selectorELNS0_4arch9wavefront6targetE1EEEvT1_
		.amdhsa_group_segment_fixed_size 0
		.amdhsa_private_segment_fixed_size 0
		.amdhsa_kernarg_size 136
		.amdhsa_user_sgpr_count 2
		.amdhsa_user_sgpr_dispatch_ptr 0
		.amdhsa_user_sgpr_queue_ptr 0
		.amdhsa_user_sgpr_kernarg_segment_ptr 1
		.amdhsa_user_sgpr_dispatch_id 0
		.amdhsa_user_sgpr_kernarg_preload_length 0
		.amdhsa_user_sgpr_kernarg_preload_offset 0
		.amdhsa_user_sgpr_private_segment_size 0
		.amdhsa_uses_dynamic_stack 0
		.amdhsa_enable_private_segment 0
		.amdhsa_system_sgpr_workgroup_id_x 1
		.amdhsa_system_sgpr_workgroup_id_y 0
		.amdhsa_system_sgpr_workgroup_id_z 0
		.amdhsa_system_sgpr_workgroup_info 0
		.amdhsa_system_vgpr_workitem_id 0
		.amdhsa_next_free_vgpr 1
		.amdhsa_next_free_sgpr 0
		.amdhsa_accum_offset 4
		.amdhsa_reserve_vcc 0
		.amdhsa_float_round_mode_32 0
		.amdhsa_float_round_mode_16_64 0
		.amdhsa_float_denorm_mode_32 3
		.amdhsa_float_denorm_mode_16_64 3
		.amdhsa_dx10_clamp 1
		.amdhsa_ieee_mode 1
		.amdhsa_fp16_overflow 0
		.amdhsa_tg_split 0
		.amdhsa_exception_fp_ieee_invalid_op 0
		.amdhsa_exception_fp_denorm_src 0
		.amdhsa_exception_fp_ieee_div_zero 0
		.amdhsa_exception_fp_ieee_overflow 0
		.amdhsa_exception_fp_ieee_underflow 0
		.amdhsa_exception_fp_ieee_inexact 0
		.amdhsa_exception_int_div_zero 0
	.end_amdhsa_kernel
	.section	.text._ZN7rocprim17ROCPRIM_400000_NS6detail17trampoline_kernelINS0_14default_configENS1_25partition_config_selectorILNS1_17partition_subalgoE1EiNS0_10empty_typeEbEEZZNS1_14partition_implILS5_1ELb0ES3_jN6thrust23THRUST_200600_302600_NS6detail15normal_iteratorINSA_10device_ptrIiEEEEPS6_NSA_18transform_iteratorI7is_evenIiESF_NSA_11use_defaultESK_EENS0_5tupleIJNSA_16discard_iteratorISK_EESF_EEENSM_IJSG_SG_EEES6_PlJS6_EEE10hipError_tPvRmT3_T4_T5_T6_T7_T9_mT8_P12ihipStream_tbDpT10_ENKUlT_T0_E_clISt17integral_constantIbLb0EES1B_EEDaS16_S17_EUlS16_E_NS1_11comp_targetILNS1_3genE10ELNS1_11target_archE1200ELNS1_3gpuE4ELNS1_3repE0EEENS1_30default_config_static_selectorELNS0_4arch9wavefront6targetE1EEEvT1_,"axG",@progbits,_ZN7rocprim17ROCPRIM_400000_NS6detail17trampoline_kernelINS0_14default_configENS1_25partition_config_selectorILNS1_17partition_subalgoE1EiNS0_10empty_typeEbEEZZNS1_14partition_implILS5_1ELb0ES3_jN6thrust23THRUST_200600_302600_NS6detail15normal_iteratorINSA_10device_ptrIiEEEEPS6_NSA_18transform_iteratorI7is_evenIiESF_NSA_11use_defaultESK_EENS0_5tupleIJNSA_16discard_iteratorISK_EESF_EEENSM_IJSG_SG_EEES6_PlJS6_EEE10hipError_tPvRmT3_T4_T5_T6_T7_T9_mT8_P12ihipStream_tbDpT10_ENKUlT_T0_E_clISt17integral_constantIbLb0EES1B_EEDaS16_S17_EUlS16_E_NS1_11comp_targetILNS1_3genE10ELNS1_11target_archE1200ELNS1_3gpuE4ELNS1_3repE0EEENS1_30default_config_static_selectorELNS0_4arch9wavefront6targetE1EEEvT1_,comdat
.Lfunc_end3328:
	.size	_ZN7rocprim17ROCPRIM_400000_NS6detail17trampoline_kernelINS0_14default_configENS1_25partition_config_selectorILNS1_17partition_subalgoE1EiNS0_10empty_typeEbEEZZNS1_14partition_implILS5_1ELb0ES3_jN6thrust23THRUST_200600_302600_NS6detail15normal_iteratorINSA_10device_ptrIiEEEEPS6_NSA_18transform_iteratorI7is_evenIiESF_NSA_11use_defaultESK_EENS0_5tupleIJNSA_16discard_iteratorISK_EESF_EEENSM_IJSG_SG_EEES6_PlJS6_EEE10hipError_tPvRmT3_T4_T5_T6_T7_T9_mT8_P12ihipStream_tbDpT10_ENKUlT_T0_E_clISt17integral_constantIbLb0EES1B_EEDaS16_S17_EUlS16_E_NS1_11comp_targetILNS1_3genE10ELNS1_11target_archE1200ELNS1_3gpuE4ELNS1_3repE0EEENS1_30default_config_static_selectorELNS0_4arch9wavefront6targetE1EEEvT1_, .Lfunc_end3328-_ZN7rocprim17ROCPRIM_400000_NS6detail17trampoline_kernelINS0_14default_configENS1_25partition_config_selectorILNS1_17partition_subalgoE1EiNS0_10empty_typeEbEEZZNS1_14partition_implILS5_1ELb0ES3_jN6thrust23THRUST_200600_302600_NS6detail15normal_iteratorINSA_10device_ptrIiEEEEPS6_NSA_18transform_iteratorI7is_evenIiESF_NSA_11use_defaultESK_EENS0_5tupleIJNSA_16discard_iteratorISK_EESF_EEENSM_IJSG_SG_EEES6_PlJS6_EEE10hipError_tPvRmT3_T4_T5_T6_T7_T9_mT8_P12ihipStream_tbDpT10_ENKUlT_T0_E_clISt17integral_constantIbLb0EES1B_EEDaS16_S17_EUlS16_E_NS1_11comp_targetILNS1_3genE10ELNS1_11target_archE1200ELNS1_3gpuE4ELNS1_3repE0EEENS1_30default_config_static_selectorELNS0_4arch9wavefront6targetE1EEEvT1_
                                        ; -- End function
	.section	.AMDGPU.csdata,"",@progbits
; Kernel info:
; codeLenInByte = 0
; NumSgprs: 6
; NumVgprs: 0
; NumAgprs: 0
; TotalNumVgprs: 0
; ScratchSize: 0
; MemoryBound: 0
; FloatMode: 240
; IeeeMode: 1
; LDSByteSize: 0 bytes/workgroup (compile time only)
; SGPRBlocks: 0
; VGPRBlocks: 0
; NumSGPRsForWavesPerEU: 6
; NumVGPRsForWavesPerEU: 1
; AccumOffset: 4
; Occupancy: 8
; WaveLimiterHint : 0
; COMPUTE_PGM_RSRC2:SCRATCH_EN: 0
; COMPUTE_PGM_RSRC2:USER_SGPR: 2
; COMPUTE_PGM_RSRC2:TRAP_HANDLER: 0
; COMPUTE_PGM_RSRC2:TGID_X_EN: 1
; COMPUTE_PGM_RSRC2:TGID_Y_EN: 0
; COMPUTE_PGM_RSRC2:TGID_Z_EN: 0
; COMPUTE_PGM_RSRC2:TIDIG_COMP_CNT: 0
; COMPUTE_PGM_RSRC3_GFX90A:ACCUM_OFFSET: 0
; COMPUTE_PGM_RSRC3_GFX90A:TG_SPLIT: 0
	.section	.text._ZN7rocprim17ROCPRIM_400000_NS6detail17trampoline_kernelINS0_14default_configENS1_25partition_config_selectorILNS1_17partition_subalgoE1EiNS0_10empty_typeEbEEZZNS1_14partition_implILS5_1ELb0ES3_jN6thrust23THRUST_200600_302600_NS6detail15normal_iteratorINSA_10device_ptrIiEEEEPS6_NSA_18transform_iteratorI7is_evenIiESF_NSA_11use_defaultESK_EENS0_5tupleIJNSA_16discard_iteratorISK_EESF_EEENSM_IJSG_SG_EEES6_PlJS6_EEE10hipError_tPvRmT3_T4_T5_T6_T7_T9_mT8_P12ihipStream_tbDpT10_ENKUlT_T0_E_clISt17integral_constantIbLb0EES1B_EEDaS16_S17_EUlS16_E_NS1_11comp_targetILNS1_3genE9ELNS1_11target_archE1100ELNS1_3gpuE3ELNS1_3repE0EEENS1_30default_config_static_selectorELNS0_4arch9wavefront6targetE1EEEvT1_,"axG",@progbits,_ZN7rocprim17ROCPRIM_400000_NS6detail17trampoline_kernelINS0_14default_configENS1_25partition_config_selectorILNS1_17partition_subalgoE1EiNS0_10empty_typeEbEEZZNS1_14partition_implILS5_1ELb0ES3_jN6thrust23THRUST_200600_302600_NS6detail15normal_iteratorINSA_10device_ptrIiEEEEPS6_NSA_18transform_iteratorI7is_evenIiESF_NSA_11use_defaultESK_EENS0_5tupleIJNSA_16discard_iteratorISK_EESF_EEENSM_IJSG_SG_EEES6_PlJS6_EEE10hipError_tPvRmT3_T4_T5_T6_T7_T9_mT8_P12ihipStream_tbDpT10_ENKUlT_T0_E_clISt17integral_constantIbLb0EES1B_EEDaS16_S17_EUlS16_E_NS1_11comp_targetILNS1_3genE9ELNS1_11target_archE1100ELNS1_3gpuE3ELNS1_3repE0EEENS1_30default_config_static_selectorELNS0_4arch9wavefront6targetE1EEEvT1_,comdat
	.protected	_ZN7rocprim17ROCPRIM_400000_NS6detail17trampoline_kernelINS0_14default_configENS1_25partition_config_selectorILNS1_17partition_subalgoE1EiNS0_10empty_typeEbEEZZNS1_14partition_implILS5_1ELb0ES3_jN6thrust23THRUST_200600_302600_NS6detail15normal_iteratorINSA_10device_ptrIiEEEEPS6_NSA_18transform_iteratorI7is_evenIiESF_NSA_11use_defaultESK_EENS0_5tupleIJNSA_16discard_iteratorISK_EESF_EEENSM_IJSG_SG_EEES6_PlJS6_EEE10hipError_tPvRmT3_T4_T5_T6_T7_T9_mT8_P12ihipStream_tbDpT10_ENKUlT_T0_E_clISt17integral_constantIbLb0EES1B_EEDaS16_S17_EUlS16_E_NS1_11comp_targetILNS1_3genE9ELNS1_11target_archE1100ELNS1_3gpuE3ELNS1_3repE0EEENS1_30default_config_static_selectorELNS0_4arch9wavefront6targetE1EEEvT1_ ; -- Begin function _ZN7rocprim17ROCPRIM_400000_NS6detail17trampoline_kernelINS0_14default_configENS1_25partition_config_selectorILNS1_17partition_subalgoE1EiNS0_10empty_typeEbEEZZNS1_14partition_implILS5_1ELb0ES3_jN6thrust23THRUST_200600_302600_NS6detail15normal_iteratorINSA_10device_ptrIiEEEEPS6_NSA_18transform_iteratorI7is_evenIiESF_NSA_11use_defaultESK_EENS0_5tupleIJNSA_16discard_iteratorISK_EESF_EEENSM_IJSG_SG_EEES6_PlJS6_EEE10hipError_tPvRmT3_T4_T5_T6_T7_T9_mT8_P12ihipStream_tbDpT10_ENKUlT_T0_E_clISt17integral_constantIbLb0EES1B_EEDaS16_S17_EUlS16_E_NS1_11comp_targetILNS1_3genE9ELNS1_11target_archE1100ELNS1_3gpuE3ELNS1_3repE0EEENS1_30default_config_static_selectorELNS0_4arch9wavefront6targetE1EEEvT1_
	.globl	_ZN7rocprim17ROCPRIM_400000_NS6detail17trampoline_kernelINS0_14default_configENS1_25partition_config_selectorILNS1_17partition_subalgoE1EiNS0_10empty_typeEbEEZZNS1_14partition_implILS5_1ELb0ES3_jN6thrust23THRUST_200600_302600_NS6detail15normal_iteratorINSA_10device_ptrIiEEEEPS6_NSA_18transform_iteratorI7is_evenIiESF_NSA_11use_defaultESK_EENS0_5tupleIJNSA_16discard_iteratorISK_EESF_EEENSM_IJSG_SG_EEES6_PlJS6_EEE10hipError_tPvRmT3_T4_T5_T6_T7_T9_mT8_P12ihipStream_tbDpT10_ENKUlT_T0_E_clISt17integral_constantIbLb0EES1B_EEDaS16_S17_EUlS16_E_NS1_11comp_targetILNS1_3genE9ELNS1_11target_archE1100ELNS1_3gpuE3ELNS1_3repE0EEENS1_30default_config_static_selectorELNS0_4arch9wavefront6targetE1EEEvT1_
	.p2align	8
	.type	_ZN7rocprim17ROCPRIM_400000_NS6detail17trampoline_kernelINS0_14default_configENS1_25partition_config_selectorILNS1_17partition_subalgoE1EiNS0_10empty_typeEbEEZZNS1_14partition_implILS5_1ELb0ES3_jN6thrust23THRUST_200600_302600_NS6detail15normal_iteratorINSA_10device_ptrIiEEEEPS6_NSA_18transform_iteratorI7is_evenIiESF_NSA_11use_defaultESK_EENS0_5tupleIJNSA_16discard_iteratorISK_EESF_EEENSM_IJSG_SG_EEES6_PlJS6_EEE10hipError_tPvRmT3_T4_T5_T6_T7_T9_mT8_P12ihipStream_tbDpT10_ENKUlT_T0_E_clISt17integral_constantIbLb0EES1B_EEDaS16_S17_EUlS16_E_NS1_11comp_targetILNS1_3genE9ELNS1_11target_archE1100ELNS1_3gpuE3ELNS1_3repE0EEENS1_30default_config_static_selectorELNS0_4arch9wavefront6targetE1EEEvT1_,@function
_ZN7rocprim17ROCPRIM_400000_NS6detail17trampoline_kernelINS0_14default_configENS1_25partition_config_selectorILNS1_17partition_subalgoE1EiNS0_10empty_typeEbEEZZNS1_14partition_implILS5_1ELb0ES3_jN6thrust23THRUST_200600_302600_NS6detail15normal_iteratorINSA_10device_ptrIiEEEEPS6_NSA_18transform_iteratorI7is_evenIiESF_NSA_11use_defaultESK_EENS0_5tupleIJNSA_16discard_iteratorISK_EESF_EEENSM_IJSG_SG_EEES6_PlJS6_EEE10hipError_tPvRmT3_T4_T5_T6_T7_T9_mT8_P12ihipStream_tbDpT10_ENKUlT_T0_E_clISt17integral_constantIbLb0EES1B_EEDaS16_S17_EUlS16_E_NS1_11comp_targetILNS1_3genE9ELNS1_11target_archE1100ELNS1_3gpuE3ELNS1_3repE0EEENS1_30default_config_static_selectorELNS0_4arch9wavefront6targetE1EEEvT1_: ; @_ZN7rocprim17ROCPRIM_400000_NS6detail17trampoline_kernelINS0_14default_configENS1_25partition_config_selectorILNS1_17partition_subalgoE1EiNS0_10empty_typeEbEEZZNS1_14partition_implILS5_1ELb0ES3_jN6thrust23THRUST_200600_302600_NS6detail15normal_iteratorINSA_10device_ptrIiEEEEPS6_NSA_18transform_iteratorI7is_evenIiESF_NSA_11use_defaultESK_EENS0_5tupleIJNSA_16discard_iteratorISK_EESF_EEENSM_IJSG_SG_EEES6_PlJS6_EEE10hipError_tPvRmT3_T4_T5_T6_T7_T9_mT8_P12ihipStream_tbDpT10_ENKUlT_T0_E_clISt17integral_constantIbLb0EES1B_EEDaS16_S17_EUlS16_E_NS1_11comp_targetILNS1_3genE9ELNS1_11target_archE1100ELNS1_3gpuE3ELNS1_3repE0EEENS1_30default_config_static_selectorELNS0_4arch9wavefront6targetE1EEEvT1_
; %bb.0:
	.section	.rodata,"a",@progbits
	.p2align	6, 0x0
	.amdhsa_kernel _ZN7rocprim17ROCPRIM_400000_NS6detail17trampoline_kernelINS0_14default_configENS1_25partition_config_selectorILNS1_17partition_subalgoE1EiNS0_10empty_typeEbEEZZNS1_14partition_implILS5_1ELb0ES3_jN6thrust23THRUST_200600_302600_NS6detail15normal_iteratorINSA_10device_ptrIiEEEEPS6_NSA_18transform_iteratorI7is_evenIiESF_NSA_11use_defaultESK_EENS0_5tupleIJNSA_16discard_iteratorISK_EESF_EEENSM_IJSG_SG_EEES6_PlJS6_EEE10hipError_tPvRmT3_T4_T5_T6_T7_T9_mT8_P12ihipStream_tbDpT10_ENKUlT_T0_E_clISt17integral_constantIbLb0EES1B_EEDaS16_S17_EUlS16_E_NS1_11comp_targetILNS1_3genE9ELNS1_11target_archE1100ELNS1_3gpuE3ELNS1_3repE0EEENS1_30default_config_static_selectorELNS0_4arch9wavefront6targetE1EEEvT1_
		.amdhsa_group_segment_fixed_size 0
		.amdhsa_private_segment_fixed_size 0
		.amdhsa_kernarg_size 136
		.amdhsa_user_sgpr_count 2
		.amdhsa_user_sgpr_dispatch_ptr 0
		.amdhsa_user_sgpr_queue_ptr 0
		.amdhsa_user_sgpr_kernarg_segment_ptr 1
		.amdhsa_user_sgpr_dispatch_id 0
		.amdhsa_user_sgpr_kernarg_preload_length 0
		.amdhsa_user_sgpr_kernarg_preload_offset 0
		.amdhsa_user_sgpr_private_segment_size 0
		.amdhsa_uses_dynamic_stack 0
		.amdhsa_enable_private_segment 0
		.amdhsa_system_sgpr_workgroup_id_x 1
		.amdhsa_system_sgpr_workgroup_id_y 0
		.amdhsa_system_sgpr_workgroup_id_z 0
		.amdhsa_system_sgpr_workgroup_info 0
		.amdhsa_system_vgpr_workitem_id 0
		.amdhsa_next_free_vgpr 1
		.amdhsa_next_free_sgpr 0
		.amdhsa_accum_offset 4
		.amdhsa_reserve_vcc 0
		.amdhsa_float_round_mode_32 0
		.amdhsa_float_round_mode_16_64 0
		.amdhsa_float_denorm_mode_32 3
		.amdhsa_float_denorm_mode_16_64 3
		.amdhsa_dx10_clamp 1
		.amdhsa_ieee_mode 1
		.amdhsa_fp16_overflow 0
		.amdhsa_tg_split 0
		.amdhsa_exception_fp_ieee_invalid_op 0
		.amdhsa_exception_fp_denorm_src 0
		.amdhsa_exception_fp_ieee_div_zero 0
		.amdhsa_exception_fp_ieee_overflow 0
		.amdhsa_exception_fp_ieee_underflow 0
		.amdhsa_exception_fp_ieee_inexact 0
		.amdhsa_exception_int_div_zero 0
	.end_amdhsa_kernel
	.section	.text._ZN7rocprim17ROCPRIM_400000_NS6detail17trampoline_kernelINS0_14default_configENS1_25partition_config_selectorILNS1_17partition_subalgoE1EiNS0_10empty_typeEbEEZZNS1_14partition_implILS5_1ELb0ES3_jN6thrust23THRUST_200600_302600_NS6detail15normal_iteratorINSA_10device_ptrIiEEEEPS6_NSA_18transform_iteratorI7is_evenIiESF_NSA_11use_defaultESK_EENS0_5tupleIJNSA_16discard_iteratorISK_EESF_EEENSM_IJSG_SG_EEES6_PlJS6_EEE10hipError_tPvRmT3_T4_T5_T6_T7_T9_mT8_P12ihipStream_tbDpT10_ENKUlT_T0_E_clISt17integral_constantIbLb0EES1B_EEDaS16_S17_EUlS16_E_NS1_11comp_targetILNS1_3genE9ELNS1_11target_archE1100ELNS1_3gpuE3ELNS1_3repE0EEENS1_30default_config_static_selectorELNS0_4arch9wavefront6targetE1EEEvT1_,"axG",@progbits,_ZN7rocprim17ROCPRIM_400000_NS6detail17trampoline_kernelINS0_14default_configENS1_25partition_config_selectorILNS1_17partition_subalgoE1EiNS0_10empty_typeEbEEZZNS1_14partition_implILS5_1ELb0ES3_jN6thrust23THRUST_200600_302600_NS6detail15normal_iteratorINSA_10device_ptrIiEEEEPS6_NSA_18transform_iteratorI7is_evenIiESF_NSA_11use_defaultESK_EENS0_5tupleIJNSA_16discard_iteratorISK_EESF_EEENSM_IJSG_SG_EEES6_PlJS6_EEE10hipError_tPvRmT3_T4_T5_T6_T7_T9_mT8_P12ihipStream_tbDpT10_ENKUlT_T0_E_clISt17integral_constantIbLb0EES1B_EEDaS16_S17_EUlS16_E_NS1_11comp_targetILNS1_3genE9ELNS1_11target_archE1100ELNS1_3gpuE3ELNS1_3repE0EEENS1_30default_config_static_selectorELNS0_4arch9wavefront6targetE1EEEvT1_,comdat
.Lfunc_end3329:
	.size	_ZN7rocprim17ROCPRIM_400000_NS6detail17trampoline_kernelINS0_14default_configENS1_25partition_config_selectorILNS1_17partition_subalgoE1EiNS0_10empty_typeEbEEZZNS1_14partition_implILS5_1ELb0ES3_jN6thrust23THRUST_200600_302600_NS6detail15normal_iteratorINSA_10device_ptrIiEEEEPS6_NSA_18transform_iteratorI7is_evenIiESF_NSA_11use_defaultESK_EENS0_5tupleIJNSA_16discard_iteratorISK_EESF_EEENSM_IJSG_SG_EEES6_PlJS6_EEE10hipError_tPvRmT3_T4_T5_T6_T7_T9_mT8_P12ihipStream_tbDpT10_ENKUlT_T0_E_clISt17integral_constantIbLb0EES1B_EEDaS16_S17_EUlS16_E_NS1_11comp_targetILNS1_3genE9ELNS1_11target_archE1100ELNS1_3gpuE3ELNS1_3repE0EEENS1_30default_config_static_selectorELNS0_4arch9wavefront6targetE1EEEvT1_, .Lfunc_end3329-_ZN7rocprim17ROCPRIM_400000_NS6detail17trampoline_kernelINS0_14default_configENS1_25partition_config_selectorILNS1_17partition_subalgoE1EiNS0_10empty_typeEbEEZZNS1_14partition_implILS5_1ELb0ES3_jN6thrust23THRUST_200600_302600_NS6detail15normal_iteratorINSA_10device_ptrIiEEEEPS6_NSA_18transform_iteratorI7is_evenIiESF_NSA_11use_defaultESK_EENS0_5tupleIJNSA_16discard_iteratorISK_EESF_EEENSM_IJSG_SG_EEES6_PlJS6_EEE10hipError_tPvRmT3_T4_T5_T6_T7_T9_mT8_P12ihipStream_tbDpT10_ENKUlT_T0_E_clISt17integral_constantIbLb0EES1B_EEDaS16_S17_EUlS16_E_NS1_11comp_targetILNS1_3genE9ELNS1_11target_archE1100ELNS1_3gpuE3ELNS1_3repE0EEENS1_30default_config_static_selectorELNS0_4arch9wavefront6targetE1EEEvT1_
                                        ; -- End function
	.section	.AMDGPU.csdata,"",@progbits
; Kernel info:
; codeLenInByte = 0
; NumSgprs: 6
; NumVgprs: 0
; NumAgprs: 0
; TotalNumVgprs: 0
; ScratchSize: 0
; MemoryBound: 0
; FloatMode: 240
; IeeeMode: 1
; LDSByteSize: 0 bytes/workgroup (compile time only)
; SGPRBlocks: 0
; VGPRBlocks: 0
; NumSGPRsForWavesPerEU: 6
; NumVGPRsForWavesPerEU: 1
; AccumOffset: 4
; Occupancy: 8
; WaveLimiterHint : 0
; COMPUTE_PGM_RSRC2:SCRATCH_EN: 0
; COMPUTE_PGM_RSRC2:USER_SGPR: 2
; COMPUTE_PGM_RSRC2:TRAP_HANDLER: 0
; COMPUTE_PGM_RSRC2:TGID_X_EN: 1
; COMPUTE_PGM_RSRC2:TGID_Y_EN: 0
; COMPUTE_PGM_RSRC2:TGID_Z_EN: 0
; COMPUTE_PGM_RSRC2:TIDIG_COMP_CNT: 0
; COMPUTE_PGM_RSRC3_GFX90A:ACCUM_OFFSET: 0
; COMPUTE_PGM_RSRC3_GFX90A:TG_SPLIT: 0
	.section	.text._ZN7rocprim17ROCPRIM_400000_NS6detail17trampoline_kernelINS0_14default_configENS1_25partition_config_selectorILNS1_17partition_subalgoE1EiNS0_10empty_typeEbEEZZNS1_14partition_implILS5_1ELb0ES3_jN6thrust23THRUST_200600_302600_NS6detail15normal_iteratorINSA_10device_ptrIiEEEEPS6_NSA_18transform_iteratorI7is_evenIiESF_NSA_11use_defaultESK_EENS0_5tupleIJNSA_16discard_iteratorISK_EESF_EEENSM_IJSG_SG_EEES6_PlJS6_EEE10hipError_tPvRmT3_T4_T5_T6_T7_T9_mT8_P12ihipStream_tbDpT10_ENKUlT_T0_E_clISt17integral_constantIbLb0EES1B_EEDaS16_S17_EUlS16_E_NS1_11comp_targetILNS1_3genE8ELNS1_11target_archE1030ELNS1_3gpuE2ELNS1_3repE0EEENS1_30default_config_static_selectorELNS0_4arch9wavefront6targetE1EEEvT1_,"axG",@progbits,_ZN7rocprim17ROCPRIM_400000_NS6detail17trampoline_kernelINS0_14default_configENS1_25partition_config_selectorILNS1_17partition_subalgoE1EiNS0_10empty_typeEbEEZZNS1_14partition_implILS5_1ELb0ES3_jN6thrust23THRUST_200600_302600_NS6detail15normal_iteratorINSA_10device_ptrIiEEEEPS6_NSA_18transform_iteratorI7is_evenIiESF_NSA_11use_defaultESK_EENS0_5tupleIJNSA_16discard_iteratorISK_EESF_EEENSM_IJSG_SG_EEES6_PlJS6_EEE10hipError_tPvRmT3_T4_T5_T6_T7_T9_mT8_P12ihipStream_tbDpT10_ENKUlT_T0_E_clISt17integral_constantIbLb0EES1B_EEDaS16_S17_EUlS16_E_NS1_11comp_targetILNS1_3genE8ELNS1_11target_archE1030ELNS1_3gpuE2ELNS1_3repE0EEENS1_30default_config_static_selectorELNS0_4arch9wavefront6targetE1EEEvT1_,comdat
	.protected	_ZN7rocprim17ROCPRIM_400000_NS6detail17trampoline_kernelINS0_14default_configENS1_25partition_config_selectorILNS1_17partition_subalgoE1EiNS0_10empty_typeEbEEZZNS1_14partition_implILS5_1ELb0ES3_jN6thrust23THRUST_200600_302600_NS6detail15normal_iteratorINSA_10device_ptrIiEEEEPS6_NSA_18transform_iteratorI7is_evenIiESF_NSA_11use_defaultESK_EENS0_5tupleIJNSA_16discard_iteratorISK_EESF_EEENSM_IJSG_SG_EEES6_PlJS6_EEE10hipError_tPvRmT3_T4_T5_T6_T7_T9_mT8_P12ihipStream_tbDpT10_ENKUlT_T0_E_clISt17integral_constantIbLb0EES1B_EEDaS16_S17_EUlS16_E_NS1_11comp_targetILNS1_3genE8ELNS1_11target_archE1030ELNS1_3gpuE2ELNS1_3repE0EEENS1_30default_config_static_selectorELNS0_4arch9wavefront6targetE1EEEvT1_ ; -- Begin function _ZN7rocprim17ROCPRIM_400000_NS6detail17trampoline_kernelINS0_14default_configENS1_25partition_config_selectorILNS1_17partition_subalgoE1EiNS0_10empty_typeEbEEZZNS1_14partition_implILS5_1ELb0ES3_jN6thrust23THRUST_200600_302600_NS6detail15normal_iteratorINSA_10device_ptrIiEEEEPS6_NSA_18transform_iteratorI7is_evenIiESF_NSA_11use_defaultESK_EENS0_5tupleIJNSA_16discard_iteratorISK_EESF_EEENSM_IJSG_SG_EEES6_PlJS6_EEE10hipError_tPvRmT3_T4_T5_T6_T7_T9_mT8_P12ihipStream_tbDpT10_ENKUlT_T0_E_clISt17integral_constantIbLb0EES1B_EEDaS16_S17_EUlS16_E_NS1_11comp_targetILNS1_3genE8ELNS1_11target_archE1030ELNS1_3gpuE2ELNS1_3repE0EEENS1_30default_config_static_selectorELNS0_4arch9wavefront6targetE1EEEvT1_
	.globl	_ZN7rocprim17ROCPRIM_400000_NS6detail17trampoline_kernelINS0_14default_configENS1_25partition_config_selectorILNS1_17partition_subalgoE1EiNS0_10empty_typeEbEEZZNS1_14partition_implILS5_1ELb0ES3_jN6thrust23THRUST_200600_302600_NS6detail15normal_iteratorINSA_10device_ptrIiEEEEPS6_NSA_18transform_iteratorI7is_evenIiESF_NSA_11use_defaultESK_EENS0_5tupleIJNSA_16discard_iteratorISK_EESF_EEENSM_IJSG_SG_EEES6_PlJS6_EEE10hipError_tPvRmT3_T4_T5_T6_T7_T9_mT8_P12ihipStream_tbDpT10_ENKUlT_T0_E_clISt17integral_constantIbLb0EES1B_EEDaS16_S17_EUlS16_E_NS1_11comp_targetILNS1_3genE8ELNS1_11target_archE1030ELNS1_3gpuE2ELNS1_3repE0EEENS1_30default_config_static_selectorELNS0_4arch9wavefront6targetE1EEEvT1_
	.p2align	8
	.type	_ZN7rocprim17ROCPRIM_400000_NS6detail17trampoline_kernelINS0_14default_configENS1_25partition_config_selectorILNS1_17partition_subalgoE1EiNS0_10empty_typeEbEEZZNS1_14partition_implILS5_1ELb0ES3_jN6thrust23THRUST_200600_302600_NS6detail15normal_iteratorINSA_10device_ptrIiEEEEPS6_NSA_18transform_iteratorI7is_evenIiESF_NSA_11use_defaultESK_EENS0_5tupleIJNSA_16discard_iteratorISK_EESF_EEENSM_IJSG_SG_EEES6_PlJS6_EEE10hipError_tPvRmT3_T4_T5_T6_T7_T9_mT8_P12ihipStream_tbDpT10_ENKUlT_T0_E_clISt17integral_constantIbLb0EES1B_EEDaS16_S17_EUlS16_E_NS1_11comp_targetILNS1_3genE8ELNS1_11target_archE1030ELNS1_3gpuE2ELNS1_3repE0EEENS1_30default_config_static_selectorELNS0_4arch9wavefront6targetE1EEEvT1_,@function
_ZN7rocprim17ROCPRIM_400000_NS6detail17trampoline_kernelINS0_14default_configENS1_25partition_config_selectorILNS1_17partition_subalgoE1EiNS0_10empty_typeEbEEZZNS1_14partition_implILS5_1ELb0ES3_jN6thrust23THRUST_200600_302600_NS6detail15normal_iteratorINSA_10device_ptrIiEEEEPS6_NSA_18transform_iteratorI7is_evenIiESF_NSA_11use_defaultESK_EENS0_5tupleIJNSA_16discard_iteratorISK_EESF_EEENSM_IJSG_SG_EEES6_PlJS6_EEE10hipError_tPvRmT3_T4_T5_T6_T7_T9_mT8_P12ihipStream_tbDpT10_ENKUlT_T0_E_clISt17integral_constantIbLb0EES1B_EEDaS16_S17_EUlS16_E_NS1_11comp_targetILNS1_3genE8ELNS1_11target_archE1030ELNS1_3gpuE2ELNS1_3repE0EEENS1_30default_config_static_selectorELNS0_4arch9wavefront6targetE1EEEvT1_: ; @_ZN7rocprim17ROCPRIM_400000_NS6detail17trampoline_kernelINS0_14default_configENS1_25partition_config_selectorILNS1_17partition_subalgoE1EiNS0_10empty_typeEbEEZZNS1_14partition_implILS5_1ELb0ES3_jN6thrust23THRUST_200600_302600_NS6detail15normal_iteratorINSA_10device_ptrIiEEEEPS6_NSA_18transform_iteratorI7is_evenIiESF_NSA_11use_defaultESK_EENS0_5tupleIJNSA_16discard_iteratorISK_EESF_EEENSM_IJSG_SG_EEES6_PlJS6_EEE10hipError_tPvRmT3_T4_T5_T6_T7_T9_mT8_P12ihipStream_tbDpT10_ENKUlT_T0_E_clISt17integral_constantIbLb0EES1B_EEDaS16_S17_EUlS16_E_NS1_11comp_targetILNS1_3genE8ELNS1_11target_archE1030ELNS1_3gpuE2ELNS1_3repE0EEENS1_30default_config_static_selectorELNS0_4arch9wavefront6targetE1EEEvT1_
; %bb.0:
	.section	.rodata,"a",@progbits
	.p2align	6, 0x0
	.amdhsa_kernel _ZN7rocprim17ROCPRIM_400000_NS6detail17trampoline_kernelINS0_14default_configENS1_25partition_config_selectorILNS1_17partition_subalgoE1EiNS0_10empty_typeEbEEZZNS1_14partition_implILS5_1ELb0ES3_jN6thrust23THRUST_200600_302600_NS6detail15normal_iteratorINSA_10device_ptrIiEEEEPS6_NSA_18transform_iteratorI7is_evenIiESF_NSA_11use_defaultESK_EENS0_5tupleIJNSA_16discard_iteratorISK_EESF_EEENSM_IJSG_SG_EEES6_PlJS6_EEE10hipError_tPvRmT3_T4_T5_T6_T7_T9_mT8_P12ihipStream_tbDpT10_ENKUlT_T0_E_clISt17integral_constantIbLb0EES1B_EEDaS16_S17_EUlS16_E_NS1_11comp_targetILNS1_3genE8ELNS1_11target_archE1030ELNS1_3gpuE2ELNS1_3repE0EEENS1_30default_config_static_selectorELNS0_4arch9wavefront6targetE1EEEvT1_
		.amdhsa_group_segment_fixed_size 0
		.amdhsa_private_segment_fixed_size 0
		.amdhsa_kernarg_size 136
		.amdhsa_user_sgpr_count 2
		.amdhsa_user_sgpr_dispatch_ptr 0
		.amdhsa_user_sgpr_queue_ptr 0
		.amdhsa_user_sgpr_kernarg_segment_ptr 1
		.amdhsa_user_sgpr_dispatch_id 0
		.amdhsa_user_sgpr_kernarg_preload_length 0
		.amdhsa_user_sgpr_kernarg_preload_offset 0
		.amdhsa_user_sgpr_private_segment_size 0
		.amdhsa_uses_dynamic_stack 0
		.amdhsa_enable_private_segment 0
		.amdhsa_system_sgpr_workgroup_id_x 1
		.amdhsa_system_sgpr_workgroup_id_y 0
		.amdhsa_system_sgpr_workgroup_id_z 0
		.amdhsa_system_sgpr_workgroup_info 0
		.amdhsa_system_vgpr_workitem_id 0
		.amdhsa_next_free_vgpr 1
		.amdhsa_next_free_sgpr 0
		.amdhsa_accum_offset 4
		.amdhsa_reserve_vcc 0
		.amdhsa_float_round_mode_32 0
		.amdhsa_float_round_mode_16_64 0
		.amdhsa_float_denorm_mode_32 3
		.amdhsa_float_denorm_mode_16_64 3
		.amdhsa_dx10_clamp 1
		.amdhsa_ieee_mode 1
		.amdhsa_fp16_overflow 0
		.amdhsa_tg_split 0
		.amdhsa_exception_fp_ieee_invalid_op 0
		.amdhsa_exception_fp_denorm_src 0
		.amdhsa_exception_fp_ieee_div_zero 0
		.amdhsa_exception_fp_ieee_overflow 0
		.amdhsa_exception_fp_ieee_underflow 0
		.amdhsa_exception_fp_ieee_inexact 0
		.amdhsa_exception_int_div_zero 0
	.end_amdhsa_kernel
	.section	.text._ZN7rocprim17ROCPRIM_400000_NS6detail17trampoline_kernelINS0_14default_configENS1_25partition_config_selectorILNS1_17partition_subalgoE1EiNS0_10empty_typeEbEEZZNS1_14partition_implILS5_1ELb0ES3_jN6thrust23THRUST_200600_302600_NS6detail15normal_iteratorINSA_10device_ptrIiEEEEPS6_NSA_18transform_iteratorI7is_evenIiESF_NSA_11use_defaultESK_EENS0_5tupleIJNSA_16discard_iteratorISK_EESF_EEENSM_IJSG_SG_EEES6_PlJS6_EEE10hipError_tPvRmT3_T4_T5_T6_T7_T9_mT8_P12ihipStream_tbDpT10_ENKUlT_T0_E_clISt17integral_constantIbLb0EES1B_EEDaS16_S17_EUlS16_E_NS1_11comp_targetILNS1_3genE8ELNS1_11target_archE1030ELNS1_3gpuE2ELNS1_3repE0EEENS1_30default_config_static_selectorELNS0_4arch9wavefront6targetE1EEEvT1_,"axG",@progbits,_ZN7rocprim17ROCPRIM_400000_NS6detail17trampoline_kernelINS0_14default_configENS1_25partition_config_selectorILNS1_17partition_subalgoE1EiNS0_10empty_typeEbEEZZNS1_14partition_implILS5_1ELb0ES3_jN6thrust23THRUST_200600_302600_NS6detail15normal_iteratorINSA_10device_ptrIiEEEEPS6_NSA_18transform_iteratorI7is_evenIiESF_NSA_11use_defaultESK_EENS0_5tupleIJNSA_16discard_iteratorISK_EESF_EEENSM_IJSG_SG_EEES6_PlJS6_EEE10hipError_tPvRmT3_T4_T5_T6_T7_T9_mT8_P12ihipStream_tbDpT10_ENKUlT_T0_E_clISt17integral_constantIbLb0EES1B_EEDaS16_S17_EUlS16_E_NS1_11comp_targetILNS1_3genE8ELNS1_11target_archE1030ELNS1_3gpuE2ELNS1_3repE0EEENS1_30default_config_static_selectorELNS0_4arch9wavefront6targetE1EEEvT1_,comdat
.Lfunc_end3330:
	.size	_ZN7rocprim17ROCPRIM_400000_NS6detail17trampoline_kernelINS0_14default_configENS1_25partition_config_selectorILNS1_17partition_subalgoE1EiNS0_10empty_typeEbEEZZNS1_14partition_implILS5_1ELb0ES3_jN6thrust23THRUST_200600_302600_NS6detail15normal_iteratorINSA_10device_ptrIiEEEEPS6_NSA_18transform_iteratorI7is_evenIiESF_NSA_11use_defaultESK_EENS0_5tupleIJNSA_16discard_iteratorISK_EESF_EEENSM_IJSG_SG_EEES6_PlJS6_EEE10hipError_tPvRmT3_T4_T5_T6_T7_T9_mT8_P12ihipStream_tbDpT10_ENKUlT_T0_E_clISt17integral_constantIbLb0EES1B_EEDaS16_S17_EUlS16_E_NS1_11comp_targetILNS1_3genE8ELNS1_11target_archE1030ELNS1_3gpuE2ELNS1_3repE0EEENS1_30default_config_static_selectorELNS0_4arch9wavefront6targetE1EEEvT1_, .Lfunc_end3330-_ZN7rocprim17ROCPRIM_400000_NS6detail17trampoline_kernelINS0_14default_configENS1_25partition_config_selectorILNS1_17partition_subalgoE1EiNS0_10empty_typeEbEEZZNS1_14partition_implILS5_1ELb0ES3_jN6thrust23THRUST_200600_302600_NS6detail15normal_iteratorINSA_10device_ptrIiEEEEPS6_NSA_18transform_iteratorI7is_evenIiESF_NSA_11use_defaultESK_EENS0_5tupleIJNSA_16discard_iteratorISK_EESF_EEENSM_IJSG_SG_EEES6_PlJS6_EEE10hipError_tPvRmT3_T4_T5_T6_T7_T9_mT8_P12ihipStream_tbDpT10_ENKUlT_T0_E_clISt17integral_constantIbLb0EES1B_EEDaS16_S17_EUlS16_E_NS1_11comp_targetILNS1_3genE8ELNS1_11target_archE1030ELNS1_3gpuE2ELNS1_3repE0EEENS1_30default_config_static_selectorELNS0_4arch9wavefront6targetE1EEEvT1_
                                        ; -- End function
	.section	.AMDGPU.csdata,"",@progbits
; Kernel info:
; codeLenInByte = 0
; NumSgprs: 6
; NumVgprs: 0
; NumAgprs: 0
; TotalNumVgprs: 0
; ScratchSize: 0
; MemoryBound: 0
; FloatMode: 240
; IeeeMode: 1
; LDSByteSize: 0 bytes/workgroup (compile time only)
; SGPRBlocks: 0
; VGPRBlocks: 0
; NumSGPRsForWavesPerEU: 6
; NumVGPRsForWavesPerEU: 1
; AccumOffset: 4
; Occupancy: 8
; WaveLimiterHint : 0
; COMPUTE_PGM_RSRC2:SCRATCH_EN: 0
; COMPUTE_PGM_RSRC2:USER_SGPR: 2
; COMPUTE_PGM_RSRC2:TRAP_HANDLER: 0
; COMPUTE_PGM_RSRC2:TGID_X_EN: 1
; COMPUTE_PGM_RSRC2:TGID_Y_EN: 0
; COMPUTE_PGM_RSRC2:TGID_Z_EN: 0
; COMPUTE_PGM_RSRC2:TIDIG_COMP_CNT: 0
; COMPUTE_PGM_RSRC3_GFX90A:ACCUM_OFFSET: 0
; COMPUTE_PGM_RSRC3_GFX90A:TG_SPLIT: 0
	.section	.text._ZN7rocprim17ROCPRIM_400000_NS6detail17trampoline_kernelINS0_14default_configENS1_25partition_config_selectorILNS1_17partition_subalgoE1EiNS0_10empty_typeEbEEZZNS1_14partition_implILS5_1ELb0ES3_jN6thrust23THRUST_200600_302600_NS6detail15normal_iteratorINSA_10device_ptrIiEEEEPS6_NSA_18transform_iteratorI7is_evenIiESF_NSA_11use_defaultESK_EENS0_5tupleIJNSA_16discard_iteratorISK_EESF_EEENSM_IJSG_SG_EEES6_PlJS6_EEE10hipError_tPvRmT3_T4_T5_T6_T7_T9_mT8_P12ihipStream_tbDpT10_ENKUlT_T0_E_clISt17integral_constantIbLb1EES1B_EEDaS16_S17_EUlS16_E_NS1_11comp_targetILNS1_3genE0ELNS1_11target_archE4294967295ELNS1_3gpuE0ELNS1_3repE0EEENS1_30default_config_static_selectorELNS0_4arch9wavefront6targetE1EEEvT1_,"axG",@progbits,_ZN7rocprim17ROCPRIM_400000_NS6detail17trampoline_kernelINS0_14default_configENS1_25partition_config_selectorILNS1_17partition_subalgoE1EiNS0_10empty_typeEbEEZZNS1_14partition_implILS5_1ELb0ES3_jN6thrust23THRUST_200600_302600_NS6detail15normal_iteratorINSA_10device_ptrIiEEEEPS6_NSA_18transform_iteratorI7is_evenIiESF_NSA_11use_defaultESK_EENS0_5tupleIJNSA_16discard_iteratorISK_EESF_EEENSM_IJSG_SG_EEES6_PlJS6_EEE10hipError_tPvRmT3_T4_T5_T6_T7_T9_mT8_P12ihipStream_tbDpT10_ENKUlT_T0_E_clISt17integral_constantIbLb1EES1B_EEDaS16_S17_EUlS16_E_NS1_11comp_targetILNS1_3genE0ELNS1_11target_archE4294967295ELNS1_3gpuE0ELNS1_3repE0EEENS1_30default_config_static_selectorELNS0_4arch9wavefront6targetE1EEEvT1_,comdat
	.protected	_ZN7rocprim17ROCPRIM_400000_NS6detail17trampoline_kernelINS0_14default_configENS1_25partition_config_selectorILNS1_17partition_subalgoE1EiNS0_10empty_typeEbEEZZNS1_14partition_implILS5_1ELb0ES3_jN6thrust23THRUST_200600_302600_NS6detail15normal_iteratorINSA_10device_ptrIiEEEEPS6_NSA_18transform_iteratorI7is_evenIiESF_NSA_11use_defaultESK_EENS0_5tupleIJNSA_16discard_iteratorISK_EESF_EEENSM_IJSG_SG_EEES6_PlJS6_EEE10hipError_tPvRmT3_T4_T5_T6_T7_T9_mT8_P12ihipStream_tbDpT10_ENKUlT_T0_E_clISt17integral_constantIbLb1EES1B_EEDaS16_S17_EUlS16_E_NS1_11comp_targetILNS1_3genE0ELNS1_11target_archE4294967295ELNS1_3gpuE0ELNS1_3repE0EEENS1_30default_config_static_selectorELNS0_4arch9wavefront6targetE1EEEvT1_ ; -- Begin function _ZN7rocprim17ROCPRIM_400000_NS6detail17trampoline_kernelINS0_14default_configENS1_25partition_config_selectorILNS1_17partition_subalgoE1EiNS0_10empty_typeEbEEZZNS1_14partition_implILS5_1ELb0ES3_jN6thrust23THRUST_200600_302600_NS6detail15normal_iteratorINSA_10device_ptrIiEEEEPS6_NSA_18transform_iteratorI7is_evenIiESF_NSA_11use_defaultESK_EENS0_5tupleIJNSA_16discard_iteratorISK_EESF_EEENSM_IJSG_SG_EEES6_PlJS6_EEE10hipError_tPvRmT3_T4_T5_T6_T7_T9_mT8_P12ihipStream_tbDpT10_ENKUlT_T0_E_clISt17integral_constantIbLb1EES1B_EEDaS16_S17_EUlS16_E_NS1_11comp_targetILNS1_3genE0ELNS1_11target_archE4294967295ELNS1_3gpuE0ELNS1_3repE0EEENS1_30default_config_static_selectorELNS0_4arch9wavefront6targetE1EEEvT1_
	.globl	_ZN7rocprim17ROCPRIM_400000_NS6detail17trampoline_kernelINS0_14default_configENS1_25partition_config_selectorILNS1_17partition_subalgoE1EiNS0_10empty_typeEbEEZZNS1_14partition_implILS5_1ELb0ES3_jN6thrust23THRUST_200600_302600_NS6detail15normal_iteratorINSA_10device_ptrIiEEEEPS6_NSA_18transform_iteratorI7is_evenIiESF_NSA_11use_defaultESK_EENS0_5tupleIJNSA_16discard_iteratorISK_EESF_EEENSM_IJSG_SG_EEES6_PlJS6_EEE10hipError_tPvRmT3_T4_T5_T6_T7_T9_mT8_P12ihipStream_tbDpT10_ENKUlT_T0_E_clISt17integral_constantIbLb1EES1B_EEDaS16_S17_EUlS16_E_NS1_11comp_targetILNS1_3genE0ELNS1_11target_archE4294967295ELNS1_3gpuE0ELNS1_3repE0EEENS1_30default_config_static_selectorELNS0_4arch9wavefront6targetE1EEEvT1_
	.p2align	8
	.type	_ZN7rocprim17ROCPRIM_400000_NS6detail17trampoline_kernelINS0_14default_configENS1_25partition_config_selectorILNS1_17partition_subalgoE1EiNS0_10empty_typeEbEEZZNS1_14partition_implILS5_1ELb0ES3_jN6thrust23THRUST_200600_302600_NS6detail15normal_iteratorINSA_10device_ptrIiEEEEPS6_NSA_18transform_iteratorI7is_evenIiESF_NSA_11use_defaultESK_EENS0_5tupleIJNSA_16discard_iteratorISK_EESF_EEENSM_IJSG_SG_EEES6_PlJS6_EEE10hipError_tPvRmT3_T4_T5_T6_T7_T9_mT8_P12ihipStream_tbDpT10_ENKUlT_T0_E_clISt17integral_constantIbLb1EES1B_EEDaS16_S17_EUlS16_E_NS1_11comp_targetILNS1_3genE0ELNS1_11target_archE4294967295ELNS1_3gpuE0ELNS1_3repE0EEENS1_30default_config_static_selectorELNS0_4arch9wavefront6targetE1EEEvT1_,@function
_ZN7rocprim17ROCPRIM_400000_NS6detail17trampoline_kernelINS0_14default_configENS1_25partition_config_selectorILNS1_17partition_subalgoE1EiNS0_10empty_typeEbEEZZNS1_14partition_implILS5_1ELb0ES3_jN6thrust23THRUST_200600_302600_NS6detail15normal_iteratorINSA_10device_ptrIiEEEEPS6_NSA_18transform_iteratorI7is_evenIiESF_NSA_11use_defaultESK_EENS0_5tupleIJNSA_16discard_iteratorISK_EESF_EEENSM_IJSG_SG_EEES6_PlJS6_EEE10hipError_tPvRmT3_T4_T5_T6_T7_T9_mT8_P12ihipStream_tbDpT10_ENKUlT_T0_E_clISt17integral_constantIbLb1EES1B_EEDaS16_S17_EUlS16_E_NS1_11comp_targetILNS1_3genE0ELNS1_11target_archE4294967295ELNS1_3gpuE0ELNS1_3repE0EEENS1_30default_config_static_selectorELNS0_4arch9wavefront6targetE1EEEvT1_: ; @_ZN7rocprim17ROCPRIM_400000_NS6detail17trampoline_kernelINS0_14default_configENS1_25partition_config_selectorILNS1_17partition_subalgoE1EiNS0_10empty_typeEbEEZZNS1_14partition_implILS5_1ELb0ES3_jN6thrust23THRUST_200600_302600_NS6detail15normal_iteratorINSA_10device_ptrIiEEEEPS6_NSA_18transform_iteratorI7is_evenIiESF_NSA_11use_defaultESK_EENS0_5tupleIJNSA_16discard_iteratorISK_EESF_EEENSM_IJSG_SG_EEES6_PlJS6_EEE10hipError_tPvRmT3_T4_T5_T6_T7_T9_mT8_P12ihipStream_tbDpT10_ENKUlT_T0_E_clISt17integral_constantIbLb1EES1B_EEDaS16_S17_EUlS16_E_NS1_11comp_targetILNS1_3genE0ELNS1_11target_archE4294967295ELNS1_3gpuE0ELNS1_3repE0EEENS1_30default_config_static_selectorELNS0_4arch9wavefront6targetE1EEEvT1_
; %bb.0:
	.section	.rodata,"a",@progbits
	.p2align	6, 0x0
	.amdhsa_kernel _ZN7rocprim17ROCPRIM_400000_NS6detail17trampoline_kernelINS0_14default_configENS1_25partition_config_selectorILNS1_17partition_subalgoE1EiNS0_10empty_typeEbEEZZNS1_14partition_implILS5_1ELb0ES3_jN6thrust23THRUST_200600_302600_NS6detail15normal_iteratorINSA_10device_ptrIiEEEEPS6_NSA_18transform_iteratorI7is_evenIiESF_NSA_11use_defaultESK_EENS0_5tupleIJNSA_16discard_iteratorISK_EESF_EEENSM_IJSG_SG_EEES6_PlJS6_EEE10hipError_tPvRmT3_T4_T5_T6_T7_T9_mT8_P12ihipStream_tbDpT10_ENKUlT_T0_E_clISt17integral_constantIbLb1EES1B_EEDaS16_S17_EUlS16_E_NS1_11comp_targetILNS1_3genE0ELNS1_11target_archE4294967295ELNS1_3gpuE0ELNS1_3repE0EEENS1_30default_config_static_selectorELNS0_4arch9wavefront6targetE1EEEvT1_
		.amdhsa_group_segment_fixed_size 0
		.amdhsa_private_segment_fixed_size 0
		.amdhsa_kernarg_size 152
		.amdhsa_user_sgpr_count 2
		.amdhsa_user_sgpr_dispatch_ptr 0
		.amdhsa_user_sgpr_queue_ptr 0
		.amdhsa_user_sgpr_kernarg_segment_ptr 1
		.amdhsa_user_sgpr_dispatch_id 0
		.amdhsa_user_sgpr_kernarg_preload_length 0
		.amdhsa_user_sgpr_kernarg_preload_offset 0
		.amdhsa_user_sgpr_private_segment_size 0
		.amdhsa_uses_dynamic_stack 0
		.amdhsa_enable_private_segment 0
		.amdhsa_system_sgpr_workgroup_id_x 1
		.amdhsa_system_sgpr_workgroup_id_y 0
		.amdhsa_system_sgpr_workgroup_id_z 0
		.amdhsa_system_sgpr_workgroup_info 0
		.amdhsa_system_vgpr_workitem_id 0
		.amdhsa_next_free_vgpr 1
		.amdhsa_next_free_sgpr 0
		.amdhsa_accum_offset 4
		.amdhsa_reserve_vcc 0
		.amdhsa_float_round_mode_32 0
		.amdhsa_float_round_mode_16_64 0
		.amdhsa_float_denorm_mode_32 3
		.amdhsa_float_denorm_mode_16_64 3
		.amdhsa_dx10_clamp 1
		.amdhsa_ieee_mode 1
		.amdhsa_fp16_overflow 0
		.amdhsa_tg_split 0
		.amdhsa_exception_fp_ieee_invalid_op 0
		.amdhsa_exception_fp_denorm_src 0
		.amdhsa_exception_fp_ieee_div_zero 0
		.amdhsa_exception_fp_ieee_overflow 0
		.amdhsa_exception_fp_ieee_underflow 0
		.amdhsa_exception_fp_ieee_inexact 0
		.amdhsa_exception_int_div_zero 0
	.end_amdhsa_kernel
	.section	.text._ZN7rocprim17ROCPRIM_400000_NS6detail17trampoline_kernelINS0_14default_configENS1_25partition_config_selectorILNS1_17partition_subalgoE1EiNS0_10empty_typeEbEEZZNS1_14partition_implILS5_1ELb0ES3_jN6thrust23THRUST_200600_302600_NS6detail15normal_iteratorINSA_10device_ptrIiEEEEPS6_NSA_18transform_iteratorI7is_evenIiESF_NSA_11use_defaultESK_EENS0_5tupleIJNSA_16discard_iteratorISK_EESF_EEENSM_IJSG_SG_EEES6_PlJS6_EEE10hipError_tPvRmT3_T4_T5_T6_T7_T9_mT8_P12ihipStream_tbDpT10_ENKUlT_T0_E_clISt17integral_constantIbLb1EES1B_EEDaS16_S17_EUlS16_E_NS1_11comp_targetILNS1_3genE0ELNS1_11target_archE4294967295ELNS1_3gpuE0ELNS1_3repE0EEENS1_30default_config_static_selectorELNS0_4arch9wavefront6targetE1EEEvT1_,"axG",@progbits,_ZN7rocprim17ROCPRIM_400000_NS6detail17trampoline_kernelINS0_14default_configENS1_25partition_config_selectorILNS1_17partition_subalgoE1EiNS0_10empty_typeEbEEZZNS1_14partition_implILS5_1ELb0ES3_jN6thrust23THRUST_200600_302600_NS6detail15normal_iteratorINSA_10device_ptrIiEEEEPS6_NSA_18transform_iteratorI7is_evenIiESF_NSA_11use_defaultESK_EENS0_5tupleIJNSA_16discard_iteratorISK_EESF_EEENSM_IJSG_SG_EEES6_PlJS6_EEE10hipError_tPvRmT3_T4_T5_T6_T7_T9_mT8_P12ihipStream_tbDpT10_ENKUlT_T0_E_clISt17integral_constantIbLb1EES1B_EEDaS16_S17_EUlS16_E_NS1_11comp_targetILNS1_3genE0ELNS1_11target_archE4294967295ELNS1_3gpuE0ELNS1_3repE0EEENS1_30default_config_static_selectorELNS0_4arch9wavefront6targetE1EEEvT1_,comdat
.Lfunc_end3331:
	.size	_ZN7rocprim17ROCPRIM_400000_NS6detail17trampoline_kernelINS0_14default_configENS1_25partition_config_selectorILNS1_17partition_subalgoE1EiNS0_10empty_typeEbEEZZNS1_14partition_implILS5_1ELb0ES3_jN6thrust23THRUST_200600_302600_NS6detail15normal_iteratorINSA_10device_ptrIiEEEEPS6_NSA_18transform_iteratorI7is_evenIiESF_NSA_11use_defaultESK_EENS0_5tupleIJNSA_16discard_iteratorISK_EESF_EEENSM_IJSG_SG_EEES6_PlJS6_EEE10hipError_tPvRmT3_T4_T5_T6_T7_T9_mT8_P12ihipStream_tbDpT10_ENKUlT_T0_E_clISt17integral_constantIbLb1EES1B_EEDaS16_S17_EUlS16_E_NS1_11comp_targetILNS1_3genE0ELNS1_11target_archE4294967295ELNS1_3gpuE0ELNS1_3repE0EEENS1_30default_config_static_selectorELNS0_4arch9wavefront6targetE1EEEvT1_, .Lfunc_end3331-_ZN7rocprim17ROCPRIM_400000_NS6detail17trampoline_kernelINS0_14default_configENS1_25partition_config_selectorILNS1_17partition_subalgoE1EiNS0_10empty_typeEbEEZZNS1_14partition_implILS5_1ELb0ES3_jN6thrust23THRUST_200600_302600_NS6detail15normal_iteratorINSA_10device_ptrIiEEEEPS6_NSA_18transform_iteratorI7is_evenIiESF_NSA_11use_defaultESK_EENS0_5tupleIJNSA_16discard_iteratorISK_EESF_EEENSM_IJSG_SG_EEES6_PlJS6_EEE10hipError_tPvRmT3_T4_T5_T6_T7_T9_mT8_P12ihipStream_tbDpT10_ENKUlT_T0_E_clISt17integral_constantIbLb1EES1B_EEDaS16_S17_EUlS16_E_NS1_11comp_targetILNS1_3genE0ELNS1_11target_archE4294967295ELNS1_3gpuE0ELNS1_3repE0EEENS1_30default_config_static_selectorELNS0_4arch9wavefront6targetE1EEEvT1_
                                        ; -- End function
	.section	.AMDGPU.csdata,"",@progbits
; Kernel info:
; codeLenInByte = 0
; NumSgprs: 6
; NumVgprs: 0
; NumAgprs: 0
; TotalNumVgprs: 0
; ScratchSize: 0
; MemoryBound: 0
; FloatMode: 240
; IeeeMode: 1
; LDSByteSize: 0 bytes/workgroup (compile time only)
; SGPRBlocks: 0
; VGPRBlocks: 0
; NumSGPRsForWavesPerEU: 6
; NumVGPRsForWavesPerEU: 1
; AccumOffset: 4
; Occupancy: 8
; WaveLimiterHint : 0
; COMPUTE_PGM_RSRC2:SCRATCH_EN: 0
; COMPUTE_PGM_RSRC2:USER_SGPR: 2
; COMPUTE_PGM_RSRC2:TRAP_HANDLER: 0
; COMPUTE_PGM_RSRC2:TGID_X_EN: 1
; COMPUTE_PGM_RSRC2:TGID_Y_EN: 0
; COMPUTE_PGM_RSRC2:TGID_Z_EN: 0
; COMPUTE_PGM_RSRC2:TIDIG_COMP_CNT: 0
; COMPUTE_PGM_RSRC3_GFX90A:ACCUM_OFFSET: 0
; COMPUTE_PGM_RSRC3_GFX90A:TG_SPLIT: 0
	.section	.text._ZN7rocprim17ROCPRIM_400000_NS6detail17trampoline_kernelINS0_14default_configENS1_25partition_config_selectorILNS1_17partition_subalgoE1EiNS0_10empty_typeEbEEZZNS1_14partition_implILS5_1ELb0ES3_jN6thrust23THRUST_200600_302600_NS6detail15normal_iteratorINSA_10device_ptrIiEEEEPS6_NSA_18transform_iteratorI7is_evenIiESF_NSA_11use_defaultESK_EENS0_5tupleIJNSA_16discard_iteratorISK_EESF_EEENSM_IJSG_SG_EEES6_PlJS6_EEE10hipError_tPvRmT3_T4_T5_T6_T7_T9_mT8_P12ihipStream_tbDpT10_ENKUlT_T0_E_clISt17integral_constantIbLb1EES1B_EEDaS16_S17_EUlS16_E_NS1_11comp_targetILNS1_3genE5ELNS1_11target_archE942ELNS1_3gpuE9ELNS1_3repE0EEENS1_30default_config_static_selectorELNS0_4arch9wavefront6targetE1EEEvT1_,"axG",@progbits,_ZN7rocprim17ROCPRIM_400000_NS6detail17trampoline_kernelINS0_14default_configENS1_25partition_config_selectorILNS1_17partition_subalgoE1EiNS0_10empty_typeEbEEZZNS1_14partition_implILS5_1ELb0ES3_jN6thrust23THRUST_200600_302600_NS6detail15normal_iteratorINSA_10device_ptrIiEEEEPS6_NSA_18transform_iteratorI7is_evenIiESF_NSA_11use_defaultESK_EENS0_5tupleIJNSA_16discard_iteratorISK_EESF_EEENSM_IJSG_SG_EEES6_PlJS6_EEE10hipError_tPvRmT3_T4_T5_T6_T7_T9_mT8_P12ihipStream_tbDpT10_ENKUlT_T0_E_clISt17integral_constantIbLb1EES1B_EEDaS16_S17_EUlS16_E_NS1_11comp_targetILNS1_3genE5ELNS1_11target_archE942ELNS1_3gpuE9ELNS1_3repE0EEENS1_30default_config_static_selectorELNS0_4arch9wavefront6targetE1EEEvT1_,comdat
	.protected	_ZN7rocprim17ROCPRIM_400000_NS6detail17trampoline_kernelINS0_14default_configENS1_25partition_config_selectorILNS1_17partition_subalgoE1EiNS0_10empty_typeEbEEZZNS1_14partition_implILS5_1ELb0ES3_jN6thrust23THRUST_200600_302600_NS6detail15normal_iteratorINSA_10device_ptrIiEEEEPS6_NSA_18transform_iteratorI7is_evenIiESF_NSA_11use_defaultESK_EENS0_5tupleIJNSA_16discard_iteratorISK_EESF_EEENSM_IJSG_SG_EEES6_PlJS6_EEE10hipError_tPvRmT3_T4_T5_T6_T7_T9_mT8_P12ihipStream_tbDpT10_ENKUlT_T0_E_clISt17integral_constantIbLb1EES1B_EEDaS16_S17_EUlS16_E_NS1_11comp_targetILNS1_3genE5ELNS1_11target_archE942ELNS1_3gpuE9ELNS1_3repE0EEENS1_30default_config_static_selectorELNS0_4arch9wavefront6targetE1EEEvT1_ ; -- Begin function _ZN7rocprim17ROCPRIM_400000_NS6detail17trampoline_kernelINS0_14default_configENS1_25partition_config_selectorILNS1_17partition_subalgoE1EiNS0_10empty_typeEbEEZZNS1_14partition_implILS5_1ELb0ES3_jN6thrust23THRUST_200600_302600_NS6detail15normal_iteratorINSA_10device_ptrIiEEEEPS6_NSA_18transform_iteratorI7is_evenIiESF_NSA_11use_defaultESK_EENS0_5tupleIJNSA_16discard_iteratorISK_EESF_EEENSM_IJSG_SG_EEES6_PlJS6_EEE10hipError_tPvRmT3_T4_T5_T6_T7_T9_mT8_P12ihipStream_tbDpT10_ENKUlT_T0_E_clISt17integral_constantIbLb1EES1B_EEDaS16_S17_EUlS16_E_NS1_11comp_targetILNS1_3genE5ELNS1_11target_archE942ELNS1_3gpuE9ELNS1_3repE0EEENS1_30default_config_static_selectorELNS0_4arch9wavefront6targetE1EEEvT1_
	.globl	_ZN7rocprim17ROCPRIM_400000_NS6detail17trampoline_kernelINS0_14default_configENS1_25partition_config_selectorILNS1_17partition_subalgoE1EiNS0_10empty_typeEbEEZZNS1_14partition_implILS5_1ELb0ES3_jN6thrust23THRUST_200600_302600_NS6detail15normal_iteratorINSA_10device_ptrIiEEEEPS6_NSA_18transform_iteratorI7is_evenIiESF_NSA_11use_defaultESK_EENS0_5tupleIJNSA_16discard_iteratorISK_EESF_EEENSM_IJSG_SG_EEES6_PlJS6_EEE10hipError_tPvRmT3_T4_T5_T6_T7_T9_mT8_P12ihipStream_tbDpT10_ENKUlT_T0_E_clISt17integral_constantIbLb1EES1B_EEDaS16_S17_EUlS16_E_NS1_11comp_targetILNS1_3genE5ELNS1_11target_archE942ELNS1_3gpuE9ELNS1_3repE0EEENS1_30default_config_static_selectorELNS0_4arch9wavefront6targetE1EEEvT1_
	.p2align	8
	.type	_ZN7rocprim17ROCPRIM_400000_NS6detail17trampoline_kernelINS0_14default_configENS1_25partition_config_selectorILNS1_17partition_subalgoE1EiNS0_10empty_typeEbEEZZNS1_14partition_implILS5_1ELb0ES3_jN6thrust23THRUST_200600_302600_NS6detail15normal_iteratorINSA_10device_ptrIiEEEEPS6_NSA_18transform_iteratorI7is_evenIiESF_NSA_11use_defaultESK_EENS0_5tupleIJNSA_16discard_iteratorISK_EESF_EEENSM_IJSG_SG_EEES6_PlJS6_EEE10hipError_tPvRmT3_T4_T5_T6_T7_T9_mT8_P12ihipStream_tbDpT10_ENKUlT_T0_E_clISt17integral_constantIbLb1EES1B_EEDaS16_S17_EUlS16_E_NS1_11comp_targetILNS1_3genE5ELNS1_11target_archE942ELNS1_3gpuE9ELNS1_3repE0EEENS1_30default_config_static_selectorELNS0_4arch9wavefront6targetE1EEEvT1_,@function
_ZN7rocprim17ROCPRIM_400000_NS6detail17trampoline_kernelINS0_14default_configENS1_25partition_config_selectorILNS1_17partition_subalgoE1EiNS0_10empty_typeEbEEZZNS1_14partition_implILS5_1ELb0ES3_jN6thrust23THRUST_200600_302600_NS6detail15normal_iteratorINSA_10device_ptrIiEEEEPS6_NSA_18transform_iteratorI7is_evenIiESF_NSA_11use_defaultESK_EENS0_5tupleIJNSA_16discard_iteratorISK_EESF_EEENSM_IJSG_SG_EEES6_PlJS6_EEE10hipError_tPvRmT3_T4_T5_T6_T7_T9_mT8_P12ihipStream_tbDpT10_ENKUlT_T0_E_clISt17integral_constantIbLb1EES1B_EEDaS16_S17_EUlS16_E_NS1_11comp_targetILNS1_3genE5ELNS1_11target_archE942ELNS1_3gpuE9ELNS1_3repE0EEENS1_30default_config_static_selectorELNS0_4arch9wavefront6targetE1EEEvT1_: ; @_ZN7rocprim17ROCPRIM_400000_NS6detail17trampoline_kernelINS0_14default_configENS1_25partition_config_selectorILNS1_17partition_subalgoE1EiNS0_10empty_typeEbEEZZNS1_14partition_implILS5_1ELb0ES3_jN6thrust23THRUST_200600_302600_NS6detail15normal_iteratorINSA_10device_ptrIiEEEEPS6_NSA_18transform_iteratorI7is_evenIiESF_NSA_11use_defaultESK_EENS0_5tupleIJNSA_16discard_iteratorISK_EESF_EEENSM_IJSG_SG_EEES6_PlJS6_EEE10hipError_tPvRmT3_T4_T5_T6_T7_T9_mT8_P12ihipStream_tbDpT10_ENKUlT_T0_E_clISt17integral_constantIbLb1EES1B_EEDaS16_S17_EUlS16_E_NS1_11comp_targetILNS1_3genE5ELNS1_11target_archE942ELNS1_3gpuE9ELNS1_3repE0EEENS1_30default_config_static_selectorELNS0_4arch9wavefront6targetE1EEEvT1_
; %bb.0:
	s_load_dwordx2 s[2:3], s[0:1], 0x20
	s_load_dwordx4 s[20:23], s[0:1], 0x58
	s_load_dwordx2 s[6:7], s[0:1], 0x68
	s_load_dwordx2 s[30:31], s[0:1], 0x78
	v_cmp_eq_u32_e64 s[18:19], 0, v0
	s_and_saveexec_b64 s[4:5], s[18:19]
	s_cbranch_execz .LBB3332_4
; %bb.1:
	s_mov_b64 s[10:11], exec
	v_mbcnt_lo_u32_b32 v1, s10, 0
	v_mbcnt_hi_u32_b32 v1, s11, v1
	v_cmp_eq_u32_e32 vcc, 0, v1
                                        ; implicit-def: $vgpr2
	s_and_saveexec_b64 s[8:9], vcc
	s_cbranch_execz .LBB3332_3
; %bb.2:
	s_load_dwordx2 s[12:13], s[0:1], 0x88
	s_bcnt1_i32_b64 s10, s[10:11]
	v_mov_b32_e32 v2, 0
	v_mov_b32_e32 v3, s10
	s_waitcnt lgkmcnt(0)
	global_atomic_add v2, v2, v3, s[12:13] sc0
.LBB3332_3:
	s_or_b64 exec, exec, s[8:9]
	s_waitcnt vmcnt(0)
	v_readfirstlane_b32 s8, v2
	v_mov_b32_e32 v2, 0
	s_nop 0
	v_add_u32_e32 v1, s8, v1
	ds_write_b32 v2, v1
.LBB3332_4:
	s_or_b64 exec, exec, s[4:5]
	v_mov_b32_e32 v23, 0
	s_load_dwordx4 s[24:27], s[0:1], 0x8
	s_load_dwordx2 s[28:29], s[0:1], 0x40
	s_load_dword s8, s[0:1], 0x80
	s_waitcnt lgkmcnt(0)
	s_barrier
	ds_read_b32 v1, v23
	s_waitcnt lgkmcnt(0)
	s_barrier
	global_load_dwordx2 v[24:25], v23, s[22:23]
	v_mov_b32_e32 v3, s7
	s_lshl_b64 s[4:5], s[26:27], 2
	s_movk_i32 s7, 0x1e00
	s_add_u32 s0, s24, s4
	v_mul_lo_u32 v22, v1, s7
	s_mul_i32 s7, s8, 0x1e00
	s_addc_u32 s1, s25, s5
	s_add_i32 s9, s8, -1
	s_add_i32 s8, s7, s26
	s_sub_i32 s33, s6, s8
	s_addk_i32 s33, 0x1e00
	v_mov_b32_e32 v2, s6
	s_add_u32 s6, s26, s7
	v_readfirstlane_b32 s38, v1
	s_addc_u32 s7, s27, 0
	s_cmp_eq_u32 s38, s9
	s_cselect_b64 s[22:23], -1, 0
	s_cmp_lg_u32 s38, s9
	v_cmp_lt_u64_e32 vcc, s[6:7], v[2:3]
	s_cselect_b64 s[6:7], -1, 0
	s_or_b64 s[24:25], vcc, s[6:7]
	v_lshlrev_b64 v[26:27], 2, v[22:23]
	v_lshl_add_u64 v[18:19], s[0:1], 0, v[26:27]
	s_mov_b64 s[0:1], -1
	s_and_b64 vcc, exec, s[24:25]
	v_lshlrev_b32_e32 v22, 2, v0
	s_cbranch_vccz .LBB3332_6
; %bb.5:
	v_lshl_add_u64 v[2:3], v[18:19], 0, v[22:23]
	v_add_co_u32_e32 v4, vcc, 0x1000, v2
	s_mov_b64 s[0:1], 0
	s_nop 0
	v_addc_co_u32_e32 v5, vcc, 0, v3, vcc
	v_add_co_u32_e32 v6, vcc, 0x2000, v2
	s_nop 1
	v_addc_co_u32_e32 v7, vcc, 0, v3, vcc
	v_add_co_u32_e32 v8, vcc, 0x3000, v2
	s_nop 1
	v_addc_co_u32_e32 v9, vcc, 0, v3, vcc
	flat_load_dword v1, v[2:3]
	flat_load_dword v10, v[2:3] offset:2048
	flat_load_dword v11, v[4:5]
	flat_load_dword v12, v[4:5] offset:2048
	;; [unrolled: 2-line block ×4, first 2 shown]
	v_add_co_u32_e32 v4, vcc, 0x4000, v2
	s_nop 1
	v_addc_co_u32_e32 v5, vcc, 0, v3, vcc
	v_add_co_u32_e32 v6, vcc, 0x5000, v2
	s_nop 1
	v_addc_co_u32_e32 v7, vcc, 0, v3, vcc
	v_add_co_u32_e32 v8, vcc, 0x6000, v2
	s_nop 1
	v_addc_co_u32_e32 v9, vcc, 0, v3, vcc
	v_add_co_u32_e32 v2, vcc, 0x7000, v2
	s_nop 1
	v_addc_co_u32_e32 v3, vcc, 0, v3, vcc
	flat_load_dword v17, v[4:5]
	flat_load_dword v20, v[4:5] offset:2048
	flat_load_dword v21, v[6:7]
	flat_load_dword v23, v[6:7] offset:2048
	flat_load_dword v28, v[8:9]
	flat_load_dword v29, v[8:9] offset:2048
	flat_load_dword v30, v[2:3]
	s_waitcnt vmcnt(0) lgkmcnt(0)
	ds_write2st64_b32 v22, v1, v10 offset1:8
	ds_write2st64_b32 v22, v11, v12 offset0:16 offset1:24
	ds_write2st64_b32 v22, v13, v14 offset0:32 offset1:40
	;; [unrolled: 1-line block ×6, first 2 shown]
	ds_write_b32 v22, v30 offset:28672
	s_waitcnt lgkmcnt(0)
	s_barrier
.LBB3332_6:
	s_andn2_b64 vcc, exec, s[0:1]
	v_cmp_gt_u32_e64 s[0:1], s33, v0
	s_cbranch_vccnz .LBB3332_38
; %bb.7:
                                        ; implicit-def: $vgpr2_vgpr3_vgpr4_vgpr5_vgpr6_vgpr7_vgpr8_vgpr9_vgpr10_vgpr11_vgpr12_vgpr13_vgpr14_vgpr15_vgpr16_vgpr17
	s_and_saveexec_b64 s[6:7], s[0:1]
	s_cbranch_execz .LBB3332_9
; %bb.8:
	v_mov_b32_e32 v23, 0
	v_lshl_add_u64 v[2:3], v[18:19], 0, v[22:23]
	flat_load_dword v2, v[2:3]
.LBB3332_9:
	s_or_b64 exec, exec, s[6:7]
	v_or_b32_e32 v1, 0x200, v0
	v_cmp_gt_u32_e32 vcc, s33, v1
	s_and_saveexec_b64 s[0:1], vcc
	s_cbranch_execz .LBB3332_11
; %bb.10:
	v_mov_b32_e32 v23, 0
	v_lshl_add_u64 v[20:21], v[18:19], 0, v[22:23]
	flat_load_dword v3, v[20:21] offset:2048
.LBB3332_11:
	s_or_b64 exec, exec, s[0:1]
	v_or_b32_e32 v1, 0x400, v0
	v_cmp_gt_u32_e32 vcc, s33, v1
	s_and_saveexec_b64 s[0:1], vcc
	s_cbranch_execz .LBB3332_13
; %bb.12:
	v_lshlrev_b32_e32 v20, 2, v1
	v_mov_b32_e32 v21, 0
	v_lshl_add_u64 v[20:21], v[18:19], 0, v[20:21]
	flat_load_dword v4, v[20:21]
.LBB3332_13:
	s_or_b64 exec, exec, s[0:1]
	v_or_b32_e32 v1, 0x600, v0
	v_cmp_gt_u32_e32 vcc, s33, v1
	s_and_saveexec_b64 s[0:1], vcc
	s_cbranch_execz .LBB3332_15
; %bb.14:
	v_lshlrev_b32_e32 v20, 2, v1
	v_mov_b32_e32 v21, 0
	v_lshl_add_u64 v[20:21], v[18:19], 0, v[20:21]
	flat_load_dword v5, v[20:21]
.LBB3332_15:
	;; [unrolled: 11-line block ×13, first 2 shown]
	s_or_b64 exec, exec, s[0:1]
	s_waitcnt vmcnt(0) lgkmcnt(0)
	ds_write2st64_b32 v22, v2, v3 offset1:8
	ds_write2st64_b32 v22, v4, v5 offset0:16 offset1:24
	ds_write2st64_b32 v22, v6, v7 offset0:32 offset1:40
	;; [unrolled: 1-line block ×6, first 2 shown]
	ds_write_b32 v22, v16 offset:28672
	s_waitcnt lgkmcnt(0)
	s_barrier
.LBB3332_38:
	v_mul_u32_u24_e32 v21, 15, v0
	v_lshlrev_b32_e32 v1, 2, v21
	ds_read2_b32 v[40:41], v1 offset1:1
	ds_read2_b32 v[38:39], v1 offset0:2 offset1:3
	ds_read2_b32 v[36:37], v1 offset0:4 offset1:5
	;; [unrolled: 1-line block ×6, first 2 shown]
	ds_read_b32 v1, v1 offset:56
	s_add_u32 s0, s2, s4
	s_addc_u32 s1, s3, s5
	v_lshl_add_u64 v[2:3], s[0:1], 0, v[26:27]
	s_mov_b64 s[0:1], -1
	s_and_b64 vcc, exec, s[24:25]
	s_waitcnt lgkmcnt(0)
	s_barrier
	s_cbranch_vccz .LBB3332_40
; %bb.39:
	v_mov_b32_e32 v23, 0
	v_lshl_add_u64 v[4:5], v[2:3], 0, v[22:23]
	v_add_co_u32_e32 v6, vcc, 0x1000, v4
	v_readfirstlane_b32 s0, v2
	s_nop 0
	v_addc_co_u32_e32 v7, vcc, 0, v5, vcc
	v_add_co_u32_e32 v8, vcc, 0x2000, v4
	v_readfirstlane_b32 s1, v3
	s_nop 0
	v_addc_co_u32_e32 v9, vcc, 0, v5, vcc
	s_nop 2
	global_load_dword v10, v22, s[0:1]
	global_load_dword v11, v22, s[0:1] offset:2048
	global_load_dword v12, v[6:7], off
	global_load_dword v13, v[6:7], off offset:2048
	global_load_dword v14, v[8:9], off
	global_load_dword v15, v[8:9], off offset:2048
	v_add_co_u32_e32 v6, vcc, 0x3000, v4
	s_mov_b64 s[0:1], 0
	s_nop 0
	v_addc_co_u32_e32 v7, vcc, 0, v5, vcc
	v_add_co_u32_e32 v8, vcc, 0x4000, v4
	s_nop 1
	v_addc_co_u32_e32 v9, vcc, 0, v5, vcc
	global_load_dword v16, v[6:7], off
	global_load_dword v17, v[6:7], off offset:2048
	global_load_dword v18, v[8:9], off
	global_load_dword v19, v[8:9], off offset:2048
	v_add_co_u32_e32 v6, vcc, 0x5000, v4
	s_nop 1
	v_addc_co_u32_e32 v7, vcc, 0, v5, vcc
	global_load_dword v8, v[6:7], off
	global_load_dword v9, v[6:7], off offset:2048
	v_add_co_u32_e32 v6, vcc, 0x6000, v4
	s_waitcnt vmcnt(1)
	v_xor_b32_e32 v8, -1, v8
	v_addc_co_u32_e32 v7, vcc, 0, v5, vcc
	v_add_co_u32_e32 v4, vcc, 0x7000, v4
	global_load_dword v20, v[6:7], off
	global_load_dword v23, v[6:7], off offset:2048
	v_addc_co_u32_e32 v5, vcc, 0, v5, vcc
	global_load_dword v4, v[4:5], off
	v_xor_b32_e32 v5, -1, v10
	v_xor_b32_e32 v6, -1, v11
	v_and_b32_e32 v5, 1, v5
	v_and_b32_e32 v6, 1, v6
	ds_write_b8 v0, v5
	ds_write_b8 v0, v6 offset:512
	v_xor_b32_e32 v5, -1, v12
	v_xor_b32_e32 v6, -1, v13
	v_and_b32_e32 v5, 1, v5
	v_and_b32_e32 v6, 1, v6
	v_xor_b32_e32 v7, -1, v14
	v_xor_b32_e32 v11, -1, v16
	;; [unrolled: 1-line block ×4, first 2 shown]
	v_and_b32_e32 v7, 1, v7
	ds_write_b8 v0, v5 offset:1024
	ds_write_b8 v0, v6 offset:1536
	v_and_b32_e32 v5, 1, v11
	v_and_b32_e32 v6, 1, v12
	v_xor_b32_e32 v11, -1, v18
	s_waitcnt vmcnt(3)
	v_xor_b32_e32 v9, -1, v9
	v_and_b32_e32 v10, 1, v10
	v_xor_b32_e32 v12, -1, v19
	ds_write_b8 v0, v7 offset:2048
	ds_write_b8 v0, v10 offset:2560
	v_and_b32_e32 v7, 1, v11
	ds_write_b8 v0, v5 offset:3072
	ds_write_b8 v0, v6 offset:3584
	v_and_b32_e32 v5, 1, v8
	v_and_b32_e32 v6, 1, v9
	;; [unrolled: 1-line block ×3, first 2 shown]
	s_waitcnt vmcnt(2)
	v_xor_b32_e32 v8, -1, v20
	s_waitcnt vmcnt(1)
	v_xor_b32_e32 v9, -1, v23
	v_and_b32_e32 v8, 1, v8
	v_and_b32_e32 v9, 1, v9
	s_waitcnt vmcnt(0)
	v_xor_b32_e32 v4, -1, v4
	v_and_b32_e32 v4, 1, v4
	ds_write_b8 v0, v7 offset:4096
	ds_write_b8 v0, v10 offset:4608
	;; [unrolled: 1-line block ×7, first 2 shown]
	s_waitcnt lgkmcnt(0)
	s_barrier
.LBB3332_40:
	s_andn2_b64 vcc, exec, s[0:1]
	s_cbranch_vccnz .LBB3332_72
; %bb.41:
	v_cmp_gt_u32_e32 vcc, s33, v0
	v_mov_b32_e32 v4, 0
	v_mov_b32_e32 v5, 0
	s_and_saveexec_b64 s[0:1], vcc
	s_cbranch_execz .LBB3332_43
; %bb.42:
	v_readfirstlane_b32 s2, v2
	v_readfirstlane_b32 s3, v3
	s_nop 4
	global_load_dword v5, v22, s[2:3]
	s_waitcnt vmcnt(0)
	v_xor_b32_e32 v5, -1, v5
	v_and_b32_e32 v5, 1, v5
.LBB3332_43:
	s_or_b64 exec, exec, s[0:1]
	v_or_b32_e32 v6, 0x200, v0
	v_cmp_gt_u32_e32 vcc, s33, v6
	s_and_saveexec_b64 s[0:1], vcc
	s_cbranch_execz .LBB3332_45
; %bb.44:
	v_readfirstlane_b32 s2, v2
	v_readfirstlane_b32 s3, v3
	s_nop 4
	global_load_dword v4, v22, s[2:3] offset:2048
	s_waitcnt vmcnt(0)
	v_xor_b32_e32 v4, -1, v4
	v_and_b32_e32 v4, 1, v4
.LBB3332_45:
	s_or_b64 exec, exec, s[0:1]
	v_or_b32_e32 v8, 0x400, v0
	v_cmp_gt_u32_e32 vcc, s33, v8
	v_mov_b32_e32 v6, 0
	v_mov_b32_e32 v7, 0
	s_and_saveexec_b64 s[0:1], vcc
	s_cbranch_execz .LBB3332_47
; %bb.46:
	v_lshlrev_b32_e32 v7, 2, v8
	v_readfirstlane_b32 s2, v2
	v_readfirstlane_b32 s3, v3
	s_nop 4
	global_load_dword v7, v7, s[2:3]
	s_waitcnt vmcnt(0)
	v_xor_b32_e32 v7, -1, v7
	v_and_b32_e32 v7, 1, v7
.LBB3332_47:
	s_or_b64 exec, exec, s[0:1]
	v_or_b32_e32 v8, 0x600, v0
	v_cmp_gt_u32_e32 vcc, s33, v8
	s_and_saveexec_b64 s[0:1], vcc
	s_cbranch_execz .LBB3332_49
; %bb.48:
	v_lshlrev_b32_e32 v6, 2, v8
	v_readfirstlane_b32 s2, v2
	v_readfirstlane_b32 s3, v3
	s_nop 4
	global_load_dword v6, v6, s[2:3]
	s_waitcnt vmcnt(0)
	v_xor_b32_e32 v6, -1, v6
	v_and_b32_e32 v6, 1, v6
.LBB3332_49:
	s_or_b64 exec, exec, s[0:1]
	v_or_b32_e32 v10, 0x800, v0
	v_cmp_gt_u32_e32 vcc, s33, v10
	v_mov_b32_e32 v8, 0
	v_mov_b32_e32 v9, 0
	s_and_saveexec_b64 s[0:1], vcc
	s_cbranch_execz .LBB3332_51
; %bb.50:
	v_lshlrev_b32_e32 v9, 2, v10
	v_readfirstlane_b32 s2, v2
	v_readfirstlane_b32 s3, v3
	s_nop 4
	global_load_dword v9, v9, s[2:3]
	s_waitcnt vmcnt(0)
	v_xor_b32_e32 v9, -1, v9
	v_and_b32_e32 v9, 1, v9
.LBB3332_51:
	s_or_b64 exec, exec, s[0:1]
	v_or_b32_e32 v10, 0xa00, v0
	v_cmp_gt_u32_e32 vcc, s33, v10
	s_and_saveexec_b64 s[0:1], vcc
	s_cbranch_execz .LBB3332_53
; %bb.52:
	v_lshlrev_b32_e32 v8, 2, v10
	v_readfirstlane_b32 s2, v2
	v_readfirstlane_b32 s3, v3
	s_nop 4
	global_load_dword v8, v8, s[2:3]
	s_waitcnt vmcnt(0)
	v_xor_b32_e32 v8, -1, v8
	v_and_b32_e32 v8, 1, v8
.LBB3332_53:
	s_or_b64 exec, exec, s[0:1]
	v_or_b32_e32 v12, 0xc00, v0
	v_cmp_gt_u32_e32 vcc, s33, v12
	v_mov_b32_e32 v10, 0
	v_mov_b32_e32 v11, 0
	s_and_saveexec_b64 s[0:1], vcc
	s_cbranch_execz .LBB3332_55
; %bb.54:
	v_lshlrev_b32_e32 v11, 2, v12
	v_readfirstlane_b32 s2, v2
	v_readfirstlane_b32 s3, v3
	s_nop 4
	global_load_dword v11, v11, s[2:3]
	s_waitcnt vmcnt(0)
	v_xor_b32_e32 v11, -1, v11
	v_and_b32_e32 v11, 1, v11
.LBB3332_55:
	s_or_b64 exec, exec, s[0:1]
	v_or_b32_e32 v12, 0xe00, v0
	v_cmp_gt_u32_e32 vcc, s33, v12
	s_and_saveexec_b64 s[0:1], vcc
	s_cbranch_execz .LBB3332_57
; %bb.56:
	v_lshlrev_b32_e32 v10, 2, v12
	v_readfirstlane_b32 s2, v2
	v_readfirstlane_b32 s3, v3
	s_nop 4
	global_load_dword v10, v10, s[2:3]
	s_waitcnt vmcnt(0)
	v_xor_b32_e32 v10, -1, v10
	v_and_b32_e32 v10, 1, v10
.LBB3332_57:
	s_or_b64 exec, exec, s[0:1]
	v_or_b32_e32 v14, 0x1000, v0
	v_cmp_gt_u32_e32 vcc, s33, v14
	v_mov_b32_e32 v12, 0
	v_mov_b32_e32 v13, 0
	s_and_saveexec_b64 s[0:1], vcc
	s_cbranch_execz .LBB3332_59
; %bb.58:
	v_lshlrev_b32_e32 v13, 2, v14
	v_readfirstlane_b32 s2, v2
	v_readfirstlane_b32 s3, v3
	s_nop 4
	global_load_dword v13, v13, s[2:3]
	s_waitcnt vmcnt(0)
	v_xor_b32_e32 v13, -1, v13
	v_and_b32_e32 v13, 1, v13
.LBB3332_59:
	s_or_b64 exec, exec, s[0:1]
	v_or_b32_e32 v14, 0x1200, v0
	v_cmp_gt_u32_e32 vcc, s33, v14
	s_and_saveexec_b64 s[0:1], vcc
	s_cbranch_execz .LBB3332_61
; %bb.60:
	v_lshlrev_b32_e32 v12, 2, v14
	v_readfirstlane_b32 s2, v2
	v_readfirstlane_b32 s3, v3
	s_nop 4
	global_load_dword v12, v12, s[2:3]
	s_waitcnt vmcnt(0)
	v_xor_b32_e32 v12, -1, v12
	v_and_b32_e32 v12, 1, v12
.LBB3332_61:
	s_or_b64 exec, exec, s[0:1]
	v_or_b32_e32 v16, 0x1400, v0
	v_cmp_gt_u32_e32 vcc, s33, v16
	v_mov_b32_e32 v14, 0
	v_mov_b32_e32 v15, 0
	s_and_saveexec_b64 s[0:1], vcc
	s_cbranch_execz .LBB3332_63
; %bb.62:
	v_lshlrev_b32_e32 v15, 2, v16
	v_readfirstlane_b32 s2, v2
	v_readfirstlane_b32 s3, v3
	s_nop 4
	global_load_dword v15, v15, s[2:3]
	s_waitcnt vmcnt(0)
	v_xor_b32_e32 v15, -1, v15
	v_and_b32_e32 v15, 1, v15
.LBB3332_63:
	s_or_b64 exec, exec, s[0:1]
	v_or_b32_e32 v16, 0x1600, v0
	v_cmp_gt_u32_e32 vcc, s33, v16
	s_and_saveexec_b64 s[0:1], vcc
	s_cbranch_execz .LBB3332_65
; %bb.64:
	v_lshlrev_b32_e32 v14, 2, v16
	v_readfirstlane_b32 s2, v2
	v_readfirstlane_b32 s3, v3
	s_nop 4
	global_load_dword v14, v14, s[2:3]
	s_waitcnt vmcnt(0)
	v_xor_b32_e32 v14, -1, v14
	v_and_b32_e32 v14, 1, v14
.LBB3332_65:
	s_or_b64 exec, exec, s[0:1]
	v_or_b32_e32 v18, 0x1800, v0
	v_cmp_gt_u32_e32 vcc, s33, v18
	v_mov_b32_e32 v16, 0
	v_mov_b32_e32 v17, 0
	s_and_saveexec_b64 s[0:1], vcc
	s_cbranch_execz .LBB3332_67
; %bb.66:
	v_lshlrev_b32_e32 v17, 2, v18
	v_readfirstlane_b32 s2, v2
	v_readfirstlane_b32 s3, v3
	s_nop 4
	global_load_dword v17, v17, s[2:3]
	s_waitcnt vmcnt(0)
	v_xor_b32_e32 v17, -1, v17
	v_and_b32_e32 v17, 1, v17
.LBB3332_67:
	s_or_b64 exec, exec, s[0:1]
	v_or_b32_e32 v18, 0x1a00, v0
	v_cmp_gt_u32_e32 vcc, s33, v18
	s_and_saveexec_b64 s[0:1], vcc
	s_cbranch_execz .LBB3332_69
; %bb.68:
	v_lshlrev_b32_e32 v16, 2, v18
	v_readfirstlane_b32 s2, v2
	v_readfirstlane_b32 s3, v3
	s_nop 4
	global_load_dword v16, v16, s[2:3]
	s_waitcnt vmcnt(0)
	v_xor_b32_e32 v16, -1, v16
	v_and_b32_e32 v16, 1, v16
.LBB3332_69:
	s_or_b64 exec, exec, s[0:1]
	v_or_b32_e32 v19, 0x1c00, v0
	v_cmp_gt_u32_e32 vcc, s33, v19
	v_mov_b32_e32 v18, 0
	s_and_saveexec_b64 s[0:1], vcc
	s_cbranch_execz .LBB3332_71
; %bb.70:
	v_lshlrev_b32_e32 v18, 2, v19
	v_readfirstlane_b32 s2, v2
	v_readfirstlane_b32 s3, v3
	s_nop 4
	global_load_dword v2, v18, s[2:3]
	s_waitcnt vmcnt(0)
	v_xor_b32_e32 v2, -1, v2
	v_and_b32_e32 v18, 1, v2
.LBB3332_71:
	s_or_b64 exec, exec, s[0:1]
	ds_write_b8 v0, v5
	ds_write_b8 v0, v4 offset:512
	ds_write_b8 v0, v7 offset:1024
	;; [unrolled: 1-line block ×14, first 2 shown]
	s_waitcnt lgkmcnt(0)
	s_barrier
.LBB3332_72:
	ds_read_b96 v[18:20], v21
	ds_read_u8 v2, v21 offset:12
	ds_read_u8 v3, v21 offset:13
	;; [unrolled: 1-line block ×3, first 2 shown]
	s_cmp_lg_u32 s38, 0
	v_lshrrev_b32_e32 v60, 6, v0
	s_waitcnt lgkmcnt(2)
	v_and_b32_e32 v47, 1, v2
	v_and_b32_e32 v56, 0xff, v18
	v_bfe_u32 v57, v18, 8, 8
	v_bfe_u32 v58, v18, 16, 8
	v_lshrrev_b32_e32 v49, 24, v18
	v_and_b32_e32 v53, 0xff, v19
	v_add3_u32 v2, v57, v56, v58
	v_bfe_u32 v54, v19, 8, 8
	v_bfe_u32 v55, v19, 16, 8
	v_add3_u32 v2, v2, v49, v53
	v_lshrrev_b32_e32 v48, 24, v19
	v_and_b32_e32 v50, 0xff, v20
	v_add3_u32 v2, v2, v54, v55
	v_bfe_u32 v51, v20, 8, 8
	v_bfe_u32 v52, v20, 16, 8
	v_add3_u32 v2, v2, v48, v50
	v_lshrrev_b32_e32 v46, 24, v20
	v_add3_u32 v2, v2, v51, v52
	s_waitcnt lgkmcnt(1)
	v_and_b32_e32 v45, 1, v3
	s_waitcnt lgkmcnt(0)
	v_and_b32_e32 v23, 1, v4
	v_add3_u32 v2, v2, v46, v47
	v_add3_u32 v61, v2, v45, v23
	v_mbcnt_lo_u32_b32 v2, -1, 0
	v_mbcnt_hi_u32_b32 v59, -1, v2
	v_and_b32_e32 v2, 15, v59
	v_cmp_eq_u32_e64 s[14:15], 0, v2
	v_cmp_lt_u32_e64 s[12:13], 1, v2
	v_cmp_lt_u32_e64 s[10:11], 3, v2
	;; [unrolled: 1-line block ×3, first 2 shown]
	v_and_b32_e32 v2, 16, v59
	v_cmp_eq_u32_e64 s[6:7], 0, v2
	v_or_b32_e32 v2, 63, v0
	v_cmp_lt_u32_e64 s[2:3], 31, v59
	v_cmp_eq_u32_e64 s[4:5], v2, v0
	s_barrier
	s_cbranch_scc0 .LBB3332_103
; %bb.73:
	v_mov_b32_dpp v2, v61 row_shr:1 row_mask:0xf bank_mask:0xf
	v_cndmask_b32_e64 v2, v2, 0, s[14:15]
	v_add_u32_e32 v2, v2, v61
	s_nop 1
	v_mov_b32_dpp v3, v2 row_shr:2 row_mask:0xf bank_mask:0xf
	v_cndmask_b32_e64 v3, 0, v3, s[12:13]
	v_add_u32_e32 v2, v2, v3
	s_nop 1
	;; [unrolled: 4-line block ×4, first 2 shown]
	v_mov_b32_dpp v3, v2 row_bcast:15 row_mask:0xf bank_mask:0xf
	v_cndmask_b32_e64 v3, v3, 0, s[6:7]
	v_add_u32_e32 v2, v2, v3
	s_nop 1
	v_mov_b32_dpp v3, v2 row_bcast:31 row_mask:0xf bank_mask:0xf
	v_cndmask_b32_e64 v3, 0, v3, s[2:3]
	v_add_u32_e32 v2, v2, v3
	s_and_saveexec_b64 s[0:1], s[4:5]
	s_cbranch_execz .LBB3332_75
; %bb.74:
	v_lshlrev_b32_e32 v3, 2, v60
	ds_write_b32 v3, v2
.LBB3332_75:
	s_or_b64 exec, exec, s[0:1]
	v_cmp_gt_u32_e32 vcc, 8, v0
	s_waitcnt lgkmcnt(0)
	s_barrier
	s_and_saveexec_b64 s[0:1], vcc
	s_cbranch_execz .LBB3332_77
; %bb.76:
	ds_read_b32 v3, v22
	v_and_b32_e32 v4, 7, v59
	v_cmp_ne_u32_e32 vcc, 0, v4
	s_waitcnt lgkmcnt(0)
	v_mov_b32_dpp v5, v3 row_shr:1 row_mask:0xf bank_mask:0xf
	v_cndmask_b32_e32 v5, 0, v5, vcc
	v_add_u32_e32 v3, v5, v3
	v_cmp_lt_u32_e32 vcc, 1, v4
	s_nop 0
	v_mov_b32_dpp v5, v3 row_shr:2 row_mask:0xf bank_mask:0xf
	v_cndmask_b32_e32 v5, 0, v5, vcc
	v_add_u32_e32 v3, v3, v5
	v_cmp_lt_u32_e32 vcc, 3, v4
	s_nop 0
	v_mov_b32_dpp v5, v3 row_shr:4 row_mask:0xf bank_mask:0xf
	v_cndmask_b32_e32 v4, 0, v5, vcc
	v_add_u32_e32 v3, v3, v4
	ds_write_b32 v22, v3
.LBB3332_77:
	s_or_b64 exec, exec, s[0:1]
	v_cmp_gt_u32_e32 vcc, 64, v0
	v_cmp_lt_u32_e64 s[0:1], 63, v0
	s_waitcnt lgkmcnt(0)
	s_barrier
	s_waitcnt lgkmcnt(0)
                                        ; implicit-def: $vgpr12
	s_and_saveexec_b64 s[16:17], s[0:1]
	s_cbranch_execz .LBB3332_79
; %bb.78:
	v_lshl_add_u32 v3, v60, 2, -4
	ds_read_b32 v12, v3
	s_waitcnt lgkmcnt(0)
	v_add_u32_e32 v2, v12, v2
.LBB3332_79:
	s_or_b64 exec, exec, s[16:17]
	v_add_u32_e32 v3, -1, v59
	v_and_b32_e32 v4, 64, v59
	v_cmp_lt_i32_e64 s[0:1], v3, v4
	v_cmp_eq_u32_e64 s[16:17], 0, v59
	s_nop 0
	v_cndmask_b32_e64 v3, v3, v59, s[0:1]
	v_lshlrev_b32_e32 v3, 2, v3
	ds_bpermute_b32 v13, v3, v2
	s_and_saveexec_b64 s[0:1], vcc
	s_cbranch_execz .LBB3332_102
; %bb.80:
	v_mov_b32_e32 v11, 0
	ds_read_b32 v2, v11 offset:28
	s_and_saveexec_b64 s[34:35], s[16:17]
	s_cbranch_execz .LBB3332_82
; %bb.81:
	s_add_i32 s36, s38, 64
	s_mov_b32 s37, 0
	s_lshl_b64 s[36:37], s[36:37], 3
	s_add_u32 s36, s30, s36
	v_mov_b32_e32 v3, 1
	s_addc_u32 s37, s31, s37
	s_waitcnt lgkmcnt(0)
	global_store_dwordx2 v11, v[2:3], s[36:37] sc1
.LBB3332_82:
	s_or_b64 exec, exec, s[34:35]
	v_xad_u32 v4, v59, -1, s38
	v_add_u32_e32 v10, 64, v4
	v_lshl_add_u64 v[6:7], v[10:11], 3, s[30:31]
	global_load_dwordx2 v[8:9], v[6:7], off sc1
	s_waitcnt vmcnt(0)
	v_cmp_eq_u16_sdwa s[36:37], v9, v11 src0_sel:BYTE_0 src1_sel:DWORD
	s_and_saveexec_b64 s[34:35], s[36:37]
	s_cbranch_execz .LBB3332_88
; %bb.83:
	s_mov_b32 s39, 1
	s_mov_b64 s[36:37], 0
	v_mov_b32_e32 v3, 0
.LBB3332_84:                            ; =>This Loop Header: Depth=1
                                        ;     Child Loop BB3332_85 Depth 2
	s_max_u32 s40, s39, 1
.LBB3332_85:                            ;   Parent Loop BB3332_84 Depth=1
                                        ; =>  This Inner Loop Header: Depth=2
	s_add_i32 s40, s40, -1
	s_cmp_eq_u32 s40, 0
	s_sleep 1
	s_cbranch_scc0 .LBB3332_85
; %bb.86:                               ;   in Loop: Header=BB3332_84 Depth=1
	global_load_dwordx2 v[8:9], v[6:7], off sc1
	s_cmp_lt_u32 s39, 32
	s_cselect_b64 s[40:41], -1, 0
	s_cmp_lg_u64 s[40:41], 0
	s_addc_u32 s39, s39, 0
	s_waitcnt vmcnt(0)
	v_cmp_ne_u16_sdwa s[40:41], v9, v3 src0_sel:BYTE_0 src1_sel:DWORD
	s_or_b64 s[36:37], s[40:41], s[36:37]
	s_andn2_b64 exec, exec, s[36:37]
	s_cbranch_execnz .LBB3332_84
; %bb.87:
	s_or_b64 exec, exec, s[36:37]
.LBB3332_88:
	s_or_b64 exec, exec, s[34:35]
	v_and_b32_e32 v15, 63, v59
	v_mov_b32_e32 v14, 2
	v_cmp_ne_u32_e32 vcc, 63, v15
	v_cmp_eq_u16_sdwa s[34:35], v9, v14 src0_sel:BYTE_0 src1_sel:DWORD
	v_lshlrev_b64 v[6:7], v59, -1
	v_addc_co_u32_e32 v10, vcc, 0, v59, vcc
	v_and_b32_e32 v3, s35, v7
	v_lshlrev_b32_e32 v16, 2, v10
	v_or_b32_e32 v3, 0x80000000, v3
	ds_bpermute_b32 v10, v16, v8
	v_and_b32_e32 v5, s34, v6
	v_ffbl_b32_e32 v3, v3
	v_add_u32_e32 v3, 32, v3
	v_ffbl_b32_e32 v5, v5
	v_min_u32_e32 v3, v5, v3
	v_cmp_lt_u32_e32 vcc, v15, v3
	v_add_u32_e32 v42, 2, v15
	v_add_u32_e32 v44, 4, v15
	s_waitcnt lgkmcnt(0)
	v_cndmask_b32_e32 v5, 0, v10, vcc
	v_cmp_gt_u32_e32 vcc, 62, v15
	v_add_u32_e32 v5, v5, v8
	v_add_u32_e32 v63, 8, v15
	v_cndmask_b32_e64 v8, 0, 1, vcc
	v_lshlrev_b32_e32 v8, 1, v8
	v_add_lshl_u32 v17, v8, v59, 2
	ds_bpermute_b32 v8, v17, v5
	v_cmp_le_u32_e32 vcc, v42, v3
	v_add_u32_e32 v65, 16, v15
	v_add_u32_e32 v67, 32, v15
	s_waitcnt lgkmcnt(0)
	v_cndmask_b32_e32 v8, 0, v8, vcc
	v_cmp_gt_u32_e32 vcc, 60, v15
	v_add_u32_e32 v5, v5, v8
	s_nop 0
	v_cndmask_b32_e64 v8, 0, 1, vcc
	v_lshlrev_b32_e32 v8, 2, v8
	v_add_lshl_u32 v43, v8, v59, 2
	ds_bpermute_b32 v8, v43, v5
	v_cmp_le_u32_e32 vcc, v44, v3
	s_waitcnt lgkmcnt(0)
	s_nop 0
	v_cndmask_b32_e32 v8, 0, v8, vcc
	v_cmp_gt_u32_e32 vcc, 56, v15
	v_add_u32_e32 v5, v5, v8
	s_nop 0
	v_cndmask_b32_e64 v8, 0, 1, vcc
	v_lshlrev_b32_e32 v8, 3, v8
	v_add_lshl_u32 v62, v8, v59, 2
	ds_bpermute_b32 v8, v62, v5
	v_cmp_le_u32_e32 vcc, v63, v3
	s_waitcnt lgkmcnt(0)
	s_nop 0
	;; [unrolled: 11-line block ×4, first 2 shown]
	v_cndmask_b32_e32 v3, 0, v8, vcc
	v_add_u32_e32 v8, v5, v3
	v_mov_b32_e32 v5, 0
	s_branch .LBB3332_90
.LBB3332_89:                            ;   in Loop: Header=BB3332_90 Depth=1
	s_or_b64 exec, exec, s[34:35]
	v_cmp_eq_u16_sdwa s[34:35], v9, v14 src0_sel:BYTE_0 src1_sel:DWORD
	ds_bpermute_b32 v68, v16, v8
	v_subrev_u32_e32 v4, 64, v4
	v_and_b32_e32 v10, s35, v7
	v_or_b32_e32 v10, 0x80000000, v10
	v_and_b32_e32 v11, s34, v6
	v_ffbl_b32_e32 v10, v10
	v_add_u32_e32 v10, 32, v10
	v_ffbl_b32_e32 v11, v11
	v_min_u32_e32 v10, v11, v10
	v_cmp_lt_u32_e32 vcc, v15, v10
	s_waitcnt lgkmcnt(0)
	s_nop 0
	v_cndmask_b32_e32 v11, 0, v68, vcc
	v_add_u32_e32 v8, v11, v8
	ds_bpermute_b32 v11, v17, v8
	v_cmp_le_u32_e32 vcc, v42, v10
	s_waitcnt lgkmcnt(0)
	s_nop 0
	v_cndmask_b32_e32 v11, 0, v11, vcc
	v_add_u32_e32 v8, v8, v11
	ds_bpermute_b32 v11, v43, v8
	v_cmp_le_u32_e32 vcc, v44, v10
	;; [unrolled: 6-line block ×5, first 2 shown]
	s_waitcnt lgkmcnt(0)
	s_nop 0
	v_cndmask_b32_e32 v10, 0, v11, vcc
	v_add3_u32 v8, v10, v3, v8
.LBB3332_90:                            ; =>This Loop Header: Depth=1
                                        ;     Child Loop BB3332_93 Depth 2
                                        ;       Child Loop BB3332_94 Depth 3
	v_cmp_ne_u16_sdwa s[34:35], v9, v14 src0_sel:BYTE_0 src1_sel:DWORD
	s_nop 1
	v_cndmask_b32_e64 v3, 0, 1, s[34:35]
	;;#ASMSTART
	;;#ASMEND
	s_nop 0
	v_cmp_ne_u32_e32 vcc, 0, v3
	s_cmp_lg_u64 vcc, exec
	v_mov_b32_e32 v3, v8
	s_cbranch_scc1 .LBB3332_97
; %bb.91:                               ;   in Loop: Header=BB3332_90 Depth=1
	v_lshl_add_u64 v[10:11], v[4:5], 3, s[30:31]
	global_load_dwordx2 v[8:9], v[10:11], off sc1
	s_waitcnt vmcnt(0)
	v_cmp_eq_u16_sdwa s[36:37], v9, v5 src0_sel:BYTE_0 src1_sel:DWORD
	s_and_saveexec_b64 s[34:35], s[36:37]
	s_cbranch_execz .LBB3332_89
; %bb.92:                               ;   in Loop: Header=BB3332_90 Depth=1
	s_mov_b32 s39, 1
	s_mov_b64 s[36:37], 0
.LBB3332_93:                            ;   Parent Loop BB3332_90 Depth=1
                                        ; =>  This Loop Header: Depth=2
                                        ;       Child Loop BB3332_94 Depth 3
	s_max_u32 s40, s39, 1
.LBB3332_94:                            ;   Parent Loop BB3332_90 Depth=1
                                        ;     Parent Loop BB3332_93 Depth=2
                                        ; =>    This Inner Loop Header: Depth=3
	s_add_i32 s40, s40, -1
	s_cmp_eq_u32 s40, 0
	s_sleep 1
	s_cbranch_scc0 .LBB3332_94
; %bb.95:                               ;   in Loop: Header=BB3332_93 Depth=2
	global_load_dwordx2 v[8:9], v[10:11], off sc1
	s_cmp_lt_u32 s39, 32
	s_cselect_b64 s[40:41], -1, 0
	s_cmp_lg_u64 s[40:41], 0
	s_addc_u32 s39, s39, 0
	s_waitcnt vmcnt(0)
	v_cmp_ne_u16_sdwa s[40:41], v9, v5 src0_sel:BYTE_0 src1_sel:DWORD
	s_or_b64 s[36:37], s[40:41], s[36:37]
	s_andn2_b64 exec, exec, s[36:37]
	s_cbranch_execnz .LBB3332_93
; %bb.96:                               ;   in Loop: Header=BB3332_90 Depth=1
	s_or_b64 exec, exec, s[36:37]
	s_branch .LBB3332_89
.LBB3332_97:                            ;   in Loop: Header=BB3332_90 Depth=1
                                        ; implicit-def: $vgpr8
                                        ; implicit-def: $vgpr9
	s_cbranch_execz .LBB3332_90
; %bb.98:
	s_and_saveexec_b64 s[34:35], s[16:17]
	s_cbranch_execz .LBB3332_100
; %bb.99:
	s_add_i32 s36, s38, 64
	s_mov_b32 s37, 0
	s_lshl_b64 s[36:37], s[36:37], 3
	s_add_u32 s36, s30, s36
	v_add_u32_e32 v4, v3, v2
	v_mov_b32_e32 v5, 2
	s_addc_u32 s37, s31, s37
	v_mov_b32_e32 v6, 0
	global_store_dwordx2 v6, v[4:5], s[36:37] sc1
	ds_write_b64 v6, v[2:3] offset:30720
.LBB3332_100:
	s_or_b64 exec, exec, s[34:35]
	s_and_b64 exec, exec, s[18:19]
	s_cbranch_execz .LBB3332_102
; %bb.101:
	v_mov_b32_e32 v2, 0
	ds_write_b32 v2, v3 offset:28
.LBB3332_102:
	s_or_b64 exec, exec, s[0:1]
	v_mov_b32_e32 v14, 0
	s_waitcnt lgkmcnt(0)
	s_barrier
	ds_read_b32 v2, v14 offset:28
	v_cndmask_b32_e64 v3, v13, v12, s[16:17]
	v_cndmask_b32_e64 v3, v3, 0, s[18:19]
	s_waitcnt lgkmcnt(0)
	s_barrier
	v_add_u32_e32 v2, v2, v3
	v_add_u32_e32 v3, v2, v56
	;; [unrolled: 1-line block ×10, first 2 shown]
	ds_read_b64 v[42:43], v14 offset:30720
	v_add_u32_e32 v12, v11, v51
	v_add_u32_e32 v13, v12, v52
	;; [unrolled: 1-line block ×5, first 2 shown]
	s_waitcnt lgkmcnt(0)
	v_mov_b32_e32 v44, v43
	s_branch .LBB3332_113
.LBB3332_103:
                                        ; implicit-def: $vgpr44
                                        ; implicit-def: $vgpr42
                                        ; implicit-def: $vgpr2_vgpr3_vgpr4_vgpr5_vgpr6_vgpr7_vgpr8_vgpr9_vgpr10_vgpr11_vgpr12_vgpr13_vgpr14_vgpr15_vgpr16_vgpr17
	s_cbranch_execz .LBB3332_113
; %bb.104:
	s_nop 0
	v_mov_b32_dpp v2, v61 row_shr:1 row_mask:0xf bank_mask:0xf
	v_cndmask_b32_e64 v2, v2, 0, s[14:15]
	v_add_u32_e32 v2, v2, v61
	s_nop 1
	v_mov_b32_dpp v3, v2 row_shr:2 row_mask:0xf bank_mask:0xf
	v_cndmask_b32_e64 v3, 0, v3, s[12:13]
	v_add_u32_e32 v2, v2, v3
	;; [unrolled: 4-line block ×4, first 2 shown]
	s_nop 1
	v_mov_b32_dpp v3, v2 row_bcast:15 row_mask:0xf bank_mask:0xf
	v_cndmask_b32_e64 v3, v3, 0, s[6:7]
	v_add_u32_e32 v2, v2, v3
	s_nop 1
	v_mov_b32_dpp v3, v2 row_bcast:31 row_mask:0xf bank_mask:0xf
	v_cndmask_b32_e64 v3, 0, v3, s[2:3]
	v_add_u32_e32 v2, v2, v3
	s_and_saveexec_b64 s[0:1], s[4:5]
	s_cbranch_execz .LBB3332_106
; %bb.105:
	v_lshlrev_b32_e32 v3, 2, v60
	ds_write_b32 v3, v2
.LBB3332_106:
	s_or_b64 exec, exec, s[0:1]
	v_cmp_gt_u32_e32 vcc, 8, v0
	s_waitcnt lgkmcnt(0)
	s_barrier
	s_and_saveexec_b64 s[0:1], vcc
	s_cbranch_execz .LBB3332_108
; %bb.107:
	v_mad_i32_i24 v3, v0, -11, v21
	ds_read_b32 v4, v3
	v_and_b32_e32 v5, 7, v59
	v_cmp_ne_u32_e32 vcc, 0, v5
	s_waitcnt lgkmcnt(0)
	v_mov_b32_dpp v6, v4 row_shr:1 row_mask:0xf bank_mask:0xf
	v_cndmask_b32_e32 v6, 0, v6, vcc
	v_add_u32_e32 v4, v6, v4
	v_cmp_lt_u32_e32 vcc, 1, v5
	s_nop 0
	v_mov_b32_dpp v6, v4 row_shr:2 row_mask:0xf bank_mask:0xf
	v_cndmask_b32_e32 v6, 0, v6, vcc
	v_add_u32_e32 v4, v4, v6
	v_cmp_lt_u32_e32 vcc, 3, v5
	s_nop 0
	v_mov_b32_dpp v6, v4 row_shr:4 row_mask:0xf bank_mask:0xf
	v_cndmask_b32_e32 v5, 0, v6, vcc
	v_add_u32_e32 v4, v4, v5
	ds_write_b32 v3, v4
.LBB3332_108:
	s_or_b64 exec, exec, s[0:1]
	v_cmp_lt_u32_e32 vcc, 63, v0
	v_mov_b32_e32 v4, 0
	v_mov_b32_e32 v3, 0
	s_waitcnt lgkmcnt(0)
	s_barrier
	s_and_saveexec_b64 s[0:1], vcc
	s_cbranch_execz .LBB3332_110
; %bb.109:
	v_lshl_add_u32 v3, v60, 2, -4
	ds_read_b32 v3, v3
.LBB3332_110:
	s_or_b64 exec, exec, s[0:1]
	v_add_u32_e32 v5, -1, v59
	v_and_b32_e32 v6, 64, v59
	v_cmp_lt_i32_e32 vcc, v5, v6
	s_waitcnt lgkmcnt(0)
	v_add_u32_e32 v2, v3, v2
	ds_read_b32 v42, v4 offset:28
	v_cndmask_b32_e32 v5, v5, v59, vcc
	v_lshlrev_b32_e32 v5, 2, v5
	ds_bpermute_b32 v2, v5, v2
	s_and_saveexec_b64 s[0:1], s[18:19]
	s_cbranch_execz .LBB3332_112
; %bb.111:
	v_mov_b32_e32 v4, 0
	v_mov_b32_e32 v43, 2
	s_waitcnt lgkmcnt(1)
	global_store_dwordx2 v4, v[42:43], s[30:31] offset:512 sc1
.LBB3332_112:
	s_or_b64 exec, exec, s[0:1]
	v_cmp_eq_u32_e32 vcc, 0, v59
	v_mov_b32_e32 v44, 0
	s_waitcnt lgkmcnt(0)
	v_cndmask_b32_e32 v2, v2, v3, vcc
	v_cndmask_b32_e64 v2, v2, 0, s[18:19]
	v_add_u32_e32 v3, v2, v56
	v_add_u32_e32 v4, v3, v57
	;; [unrolled: 1-line block ×14, first 2 shown]
	s_barrier
.LBB3332_113:
	v_add_u32_e32 v21, v42, v21
	v_sub_u32_e32 v2, v2, v44
	v_and_b32_e32 v52, 1, v18
	v_sub_u32_e32 v51, v21, v2
	v_cmp_eq_u32_e32 vcc, 1, v52
	v_lshrrev_b32_e32 v50, 8, v18
	v_lshrrev_b32_e32 v43, 8, v19
	v_cndmask_b32_e32 v2, v51, v2, vcc
	v_lshlrev_b32_e32 v2, 2, v2
	ds_write_b32 v2, v40
	v_sub_u32_e32 v2, v3, v44
	v_sub_u32_e32 v3, v21, v2
	v_and_b32_e32 v40, 1, v50
	v_add_u32_e32 v3, 1, v3
	v_cmp_eq_u32_e32 vcc, 1, v40
	v_lshrrev_b32_e32 v17, 8, v20
	v_cmp_le_u32_e64 s[0:1], v42, v0
	v_cndmask_b32_e32 v2, v3, v2, vcc
	v_lshlrev_b32_e32 v2, 2, v2
	ds_write_b32 v2, v41
	v_sub_u32_e32 v2, v4, v44
	v_mov_b32_e32 v4, 1
	v_sub_u32_e32 v3, v21, v2
	v_and_b32_sdwa v18, v4, v18 dst_sel:DWORD dst_unused:UNUSED_PAD src0_sel:DWORD src1_sel:WORD_1
	v_add_u32_e32 v3, 2, v3
	v_cmp_eq_u32_e32 vcc, 1, v18
	s_nop 1
	v_cndmask_b32_e32 v2, v3, v2, vcc
	v_lshlrev_b32_e32 v2, 2, v2
	ds_write_b32 v2, v38
	v_sub_u32_e32 v2, v5, v44
	v_sub_u32_e32 v3, v21, v2
	v_and_b32_e32 v5, 1, v49
	v_add_u32_e32 v3, 3, v3
	v_cmp_eq_u32_e32 vcc, 1, v5
	v_and_b32_e32 v5, 1, v19
	v_or_b32_e32 v38, 0x200, v0
	v_cndmask_b32_e32 v2, v3, v2, vcc
	v_lshlrev_b32_e32 v2, 2, v2
	ds_write_b32 v2, v39
	v_sub_u32_e32 v2, v6, v44
	v_sub_u32_e32 v3, v21, v2
	v_add_u32_e32 v3, 4, v3
	v_cmp_eq_u32_e32 vcc, 1, v5
	v_and_b32_e32 v5, 1, v43
	s_nop 0
	v_cndmask_b32_e32 v2, v3, v2, vcc
	v_lshlrev_b32_e32 v2, 2, v2
	ds_write_b32 v2, v36
	v_sub_u32_e32 v2, v7, v44
	v_sub_u32_e32 v3, v21, v2
	v_add_u32_e32 v3, 5, v3
	v_cmp_eq_u32_e32 vcc, 1, v5
	v_and_b32_sdwa v5, v4, v19 dst_sel:DWORD dst_unused:UNUSED_PAD src0_sel:DWORD src1_sel:WORD_1
	v_and_b32_sdwa v4, v4, v20 dst_sel:DWORD dst_unused:UNUSED_PAD src0_sel:DWORD src1_sel:WORD_1
	v_cndmask_b32_e32 v2, v3, v2, vcc
	v_lshlrev_b32_e32 v2, 2, v2
	ds_write_b32 v2, v37
	v_sub_u32_e32 v2, v8, v44
	v_sub_u32_e32 v3, v21, v2
	v_add_u32_e32 v3, 6, v3
	v_cmp_eq_u32_e32 vcc, 1, v5
	v_and_b32_e32 v5, 1, v48
	v_or_b32_e32 v37, 0x400, v0
	v_cndmask_b32_e32 v2, v3, v2, vcc
	v_lshlrev_b32_e32 v2, 2, v2
	ds_write_b32 v2, v34
	v_sub_u32_e32 v2, v9, v44
	v_sub_u32_e32 v3, v21, v2
	v_add_u32_e32 v3, 7, v3
	v_cmp_eq_u32_e32 vcc, 1, v5
	v_and_b32_e32 v5, 1, v20
	v_or_b32_e32 v36, 0x600, v0
	;; [unrolled: 9-line block ×3, first 2 shown]
	v_cndmask_b32_e32 v2, v3, v2, vcc
	v_lshlrev_b32_e32 v2, 2, v2
	ds_write_b32 v2, v32
	v_sub_u32_e32 v2, v11, v44
	v_sub_u32_e32 v3, v21, v2
	v_add_u32_e32 v3, 9, v3
	v_cmp_eq_u32_e32 vcc, 1, v5
	v_mov_b32_e32 v5, s27
	v_or_b32_e32 v34, 0xa00, v0
	v_cndmask_b32_e32 v2, v3, v2, vcc
	v_lshlrev_b32_e32 v2, 2, v2
	ds_write_b32 v2, v33
	v_sub_u32_e32 v2, v12, v44
	v_sub_u32_e32 v3, v21, v2
	v_add_u32_e32 v3, 10, v3
	v_cmp_eq_u32_e32 vcc, 1, v4
	v_and_b32_e32 v4, 1, v46
	v_or_b32_e32 v33, 0xc00, v0
	v_cndmask_b32_e32 v2, v3, v2, vcc
	v_lshlrev_b32_e32 v2, 2, v2
	ds_write_b32 v2, v30
	v_sub_u32_e32 v2, v13, v44
	v_sub_u32_e32 v3, v21, v2
	v_add_u32_e32 v3, 11, v3
	v_cmp_eq_u32_e32 vcc, 1, v4
	v_or_b32_e32 v32, 0xe00, v0
	v_or_b32_e32 v30, 0x1200, v0
	v_cndmask_b32_e32 v2, v3, v2, vcc
	v_lshlrev_b32_e32 v2, 2, v2
	ds_write_b32 v2, v31
	v_sub_u32_e32 v2, v14, v44
	v_sub_u32_e32 v3, v21, v2
	v_add_u32_e32 v3, 12, v3
	v_cmp_eq_u32_e32 vcc, 1, v47
	v_or_b32_e32 v31, 0x1000, v0
	v_or_b32_e32 v20, 0x1c00, v0
	v_cndmask_b32_e32 v2, v3, v2, vcc
	v_lshlrev_b32_e32 v2, 2, v2
	ds_write_b32 v2, v28
	v_sub_u32_e32 v2, v15, v44
	v_sub_u32_e32 v3, v21, v2
	v_add_u32_e32 v3, 13, v3
	v_cmp_eq_u32_e32 vcc, 1, v45
	v_mov_b32_e32 v45, 0
	v_mov_b32_e32 v43, v45
	v_cndmask_b32_e32 v2, v3, v2, vcc
	v_lshlrev_b32_e32 v2, 2, v2
	ds_write_b32 v2, v29
	v_sub_u32_e32 v2, v16, v44
	v_sub_u32_e32 v3, v21, v2
	v_add_u32_e32 v3, 14, v3
	v_cmp_eq_u32_e32 vcc, 1, v23
	v_or_b32_e32 v29, 0x1400, v0
	v_or_b32_e32 v28, 0x1600, v0
	v_cndmask_b32_e32 v2, v3, v2, vcc
	v_lshlrev_b32_e32 v2, 2, v2
	ds_write_b32 v2, v1
	s_waitcnt vmcnt(0)
	v_lshl_add_u64 v[2:3], v[24:25], 0, v[42:43]
	v_lshl_add_u64 v[2:3], v[2:3], 0, v[44:45]
	s_waitcnt lgkmcnt(0)
	s_barrier
	ds_read2st64_b32 v[18:19], v22 offset1:8
	ds_read2st64_b32 v[16:17], v22 offset0:16 offset1:24
	ds_read2st64_b32 v[14:15], v22 offset0:32 offset1:40
	ds_read2st64_b32 v[12:13], v22 offset0:48 offset1:56
	ds_read2st64_b32 v[10:11], v22 offset0:64 offset1:72
	ds_read2st64_b32 v[8:9], v22 offset0:80 offset1:88
	ds_read2st64_b32 v[6:7], v22 offset0:96 offset1:104
	ds_read_b32 v1, v22 offset:28672
	v_sub_co_u32_e32 v4, vcc, s26, v2
	v_or_b32_e32 v23, 0x1800, v0
	s_nop 0
	v_subb_co_u32_e32 v5, vcc, v5, v3, vcc
	v_lshlrev_b64 v[4:5], 2, v[4:5]
	v_lshl_add_u64 v[4:5], s[28:29], 0, v[4:5]
	v_or_b32_e32 v21, 0x1a00, v0
	v_lshl_add_u64 v[4:5], v[4:5], 0, v[26:27]
	s_andn2_b64 vcc, exec, s[24:25]
	s_cbranch_vccnz .LBB3332_130
; %bb.114:
	s_and_saveexec_b64 s[2:3], s[0:1]
	s_cbranch_execnz .LBB3332_165
; %bb.115:
	s_or_b64 exec, exec, s[2:3]
	v_cmp_ge_u32_e32 vcc, v38, v42
	s_and_saveexec_b64 s[0:1], vcc
	s_cbranch_execnz .LBB3332_166
.LBB3332_116:
	s_or_b64 exec, exec, s[0:1]
	v_cmp_ge_u32_e32 vcc, v37, v42
	s_and_saveexec_b64 s[0:1], vcc
	s_cbranch_execnz .LBB3332_167
.LBB3332_117:
	s_or_b64 exec, exec, s[0:1]
	v_cmp_ge_u32_e32 vcc, v36, v42
	s_and_saveexec_b64 s[0:1], vcc
	s_cbranch_execnz .LBB3332_168
.LBB3332_118:
	s_or_b64 exec, exec, s[0:1]
	v_cmp_ge_u32_e32 vcc, v35, v42
	s_and_saveexec_b64 s[0:1], vcc
	s_cbranch_execnz .LBB3332_169
.LBB3332_119:
	s_or_b64 exec, exec, s[0:1]
	v_cmp_ge_u32_e32 vcc, v34, v42
	s_and_saveexec_b64 s[0:1], vcc
	s_cbranch_execnz .LBB3332_170
.LBB3332_120:
	s_or_b64 exec, exec, s[0:1]
	v_cmp_ge_u32_e32 vcc, v33, v42
	s_and_saveexec_b64 s[0:1], vcc
	s_cbranch_execnz .LBB3332_171
.LBB3332_121:
	s_or_b64 exec, exec, s[0:1]
	v_cmp_ge_u32_e32 vcc, v32, v42
	s_and_saveexec_b64 s[0:1], vcc
	s_cbranch_execnz .LBB3332_172
.LBB3332_122:
	s_or_b64 exec, exec, s[0:1]
	v_cmp_ge_u32_e32 vcc, v31, v42
	s_and_saveexec_b64 s[0:1], vcc
	s_cbranch_execnz .LBB3332_173
.LBB3332_123:
	s_or_b64 exec, exec, s[0:1]
	v_cmp_ge_u32_e32 vcc, v30, v42
	s_and_saveexec_b64 s[0:1], vcc
	s_cbranch_execnz .LBB3332_174
.LBB3332_124:
	s_or_b64 exec, exec, s[0:1]
	v_cmp_ge_u32_e32 vcc, v29, v42
	s_and_saveexec_b64 s[0:1], vcc
	s_cbranch_execnz .LBB3332_175
.LBB3332_125:
	s_or_b64 exec, exec, s[0:1]
	v_cmp_ge_u32_e32 vcc, v28, v42
	s_and_saveexec_b64 s[0:1], vcc
	s_cbranch_execnz .LBB3332_176
.LBB3332_126:
	s_or_b64 exec, exec, s[0:1]
	v_cmp_ge_u32_e32 vcc, v23, v42
	s_and_saveexec_b64 s[0:1], vcc
	s_cbranch_execnz .LBB3332_177
.LBB3332_127:
	s_or_b64 exec, exec, s[0:1]
	v_cmp_ge_u32_e32 vcc, v21, v42
	s_and_saveexec_b64 s[0:1], vcc
	s_cbranch_execz .LBB3332_129
.LBB3332_128:
	v_lshlrev_b32_e32 v24, 2, v21
	v_readfirstlane_b32 s2, v4
	v_readfirstlane_b32 s3, v5
	s_waitcnt lgkmcnt(1)
	s_nop 3
	global_store_dword v24, v7, s[2:3]
.LBB3332_129:
	s_or_b64 exec, exec, s[0:1]
	v_cmp_ge_u32_e64 s[0:1], v20, v42
	s_branch .LBB3332_160
.LBB3332_130:
	s_mov_b64 s[0:1], 0
	s_cbranch_execz .LBB3332_160
; %bb.131:
	v_cmp_gt_u32_e32 vcc, s33, v0
	v_cmp_le_u32_e64 s[0:1], v42, v0
	s_and_b64 s[2:3], vcc, s[0:1]
	s_and_saveexec_b64 s[0:1], s[2:3]
	s_cbranch_execz .LBB3332_133
; %bb.132:
	v_readfirstlane_b32 s2, v4
	v_readfirstlane_b32 s3, v5
	s_waitcnt lgkmcnt(7)
	s_nop 3
	global_store_dword v22, v18, s[2:3]
.LBB3332_133:
	s_or_b64 exec, exec, s[0:1]
	v_cmp_gt_u32_e32 vcc, s33, v38
	v_cmp_ge_u32_e64 s[0:1], v38, v42
	s_and_b64 s[2:3], vcc, s[0:1]
	s_and_saveexec_b64 s[0:1], s[2:3]
	s_cbranch_execz .LBB3332_135
; %bb.134:
	v_readfirstlane_b32 s2, v4
	v_readfirstlane_b32 s3, v5
	s_waitcnt lgkmcnt(7)
	s_nop 3
	global_store_dword v22, v19, s[2:3] offset:2048
.LBB3332_135:
	s_or_b64 exec, exec, s[0:1]
	v_cmp_gt_u32_e32 vcc, s33, v37
	v_cmp_ge_u32_e64 s[0:1], v37, v42
	s_and_b64 s[2:3], vcc, s[0:1]
	s_and_saveexec_b64 s[0:1], s[2:3]
	s_cbranch_execz .LBB3332_137
; %bb.136:
	v_lshlrev_b32_e32 v0, 2, v37
	v_readfirstlane_b32 s2, v4
	v_readfirstlane_b32 s3, v5
	s_waitcnt lgkmcnt(6)
	s_nop 3
	global_store_dword v0, v16, s[2:3]
.LBB3332_137:
	s_or_b64 exec, exec, s[0:1]
	v_cmp_gt_u32_e32 vcc, s33, v36
	v_cmp_ge_u32_e64 s[0:1], v36, v42
	s_and_b64 s[2:3], vcc, s[0:1]
	s_and_saveexec_b64 s[0:1], s[2:3]
	s_cbranch_execz .LBB3332_139
; %bb.138:
	v_lshlrev_b32_e32 v0, 2, v36
	v_readfirstlane_b32 s2, v4
	v_readfirstlane_b32 s3, v5
	s_waitcnt lgkmcnt(6)
	s_nop 3
	global_store_dword v0, v17, s[2:3]
.LBB3332_139:
	;; [unrolled: 14-line block ×12, first 2 shown]
	s_or_b64 exec, exec, s[0:1]
	v_cmp_gt_u32_e32 vcc, s33, v20
	v_cmp_ge_u32_e64 s[0:1], v20, v42
	s_and_b64 s[0:1], vcc, s[0:1]
.LBB3332_160:
	s_and_saveexec_b64 s[2:3], s[0:1]
	s_cbranch_execnz .LBB3332_163
; %bb.161:
	s_or_b64 exec, exec, s[2:3]
	s_and_b64 s[0:1], s[18:19], s[22:23]
	s_and_saveexec_b64 s[2:3], s[0:1]
	s_cbranch_execnz .LBB3332_164
.LBB3332_162:
	s_endpgm
.LBB3332_163:
	v_lshlrev_b32_e32 v0, 2, v20
	v_readfirstlane_b32 s0, v4
	v_readfirstlane_b32 s1, v5
	s_waitcnt lgkmcnt(0)
	s_nop 3
	global_store_dword v0, v1, s[0:1]
	s_or_b64 exec, exec, s[2:3]
	s_and_b64 s[0:1], s[18:19], s[22:23]
	s_and_saveexec_b64 s[2:3], s[0:1]
	s_cbranch_execz .LBB3332_162
.LBB3332_164:
	v_mov_b32_e32 v0, 0
	global_store_dwordx2 v0, v[2:3], s[20:21]
	s_endpgm
.LBB3332_165:
	v_readfirstlane_b32 s0, v4
	v_readfirstlane_b32 s1, v5
	s_waitcnt lgkmcnt(7)
	s_nop 3
	global_store_dword v22, v18, s[0:1]
	s_or_b64 exec, exec, s[2:3]
	v_cmp_ge_u32_e32 vcc, v38, v42
	s_and_saveexec_b64 s[0:1], vcc
	s_cbranch_execz .LBB3332_116
.LBB3332_166:
	v_readfirstlane_b32 s2, v4
	v_readfirstlane_b32 s3, v5
	s_waitcnt lgkmcnt(7)
	s_nop 3
	global_store_dword v22, v19, s[2:3] offset:2048
	s_or_b64 exec, exec, s[0:1]
	v_cmp_ge_u32_e32 vcc, v37, v42
	s_and_saveexec_b64 s[0:1], vcc
	s_cbranch_execz .LBB3332_117
.LBB3332_167:
	v_lshlrev_b32_e32 v24, 2, v37
	v_readfirstlane_b32 s2, v4
	v_readfirstlane_b32 s3, v5
	s_waitcnt lgkmcnt(6)
	s_nop 3
	global_store_dword v24, v16, s[2:3]
	s_or_b64 exec, exec, s[0:1]
	v_cmp_ge_u32_e32 vcc, v36, v42
	s_and_saveexec_b64 s[0:1], vcc
	s_cbranch_execz .LBB3332_118
.LBB3332_168:
	v_lshlrev_b32_e32 v24, 2, v36
	v_readfirstlane_b32 s2, v4
	v_readfirstlane_b32 s3, v5
	s_waitcnt lgkmcnt(6)
	s_nop 3
	global_store_dword v24, v17, s[2:3]
	s_or_b64 exec, exec, s[0:1]
	v_cmp_ge_u32_e32 vcc, v35, v42
	s_and_saveexec_b64 s[0:1], vcc
	s_cbranch_execz .LBB3332_119
.LBB3332_169:
	v_lshlrev_b32_e32 v24, 2, v35
	v_readfirstlane_b32 s2, v4
	v_readfirstlane_b32 s3, v5
	s_waitcnt lgkmcnt(5)
	s_nop 3
	global_store_dword v24, v14, s[2:3]
	s_or_b64 exec, exec, s[0:1]
	v_cmp_ge_u32_e32 vcc, v34, v42
	s_and_saveexec_b64 s[0:1], vcc
	s_cbranch_execz .LBB3332_120
.LBB3332_170:
	v_lshlrev_b32_e32 v24, 2, v34
	v_readfirstlane_b32 s2, v4
	v_readfirstlane_b32 s3, v5
	s_waitcnt lgkmcnt(5)
	s_nop 3
	global_store_dword v24, v15, s[2:3]
	s_or_b64 exec, exec, s[0:1]
	v_cmp_ge_u32_e32 vcc, v33, v42
	s_and_saveexec_b64 s[0:1], vcc
	s_cbranch_execz .LBB3332_121
.LBB3332_171:
	v_lshlrev_b32_e32 v24, 2, v33
	v_readfirstlane_b32 s2, v4
	v_readfirstlane_b32 s3, v5
	s_waitcnt lgkmcnt(4)
	s_nop 3
	global_store_dword v24, v12, s[2:3]
	s_or_b64 exec, exec, s[0:1]
	v_cmp_ge_u32_e32 vcc, v32, v42
	s_and_saveexec_b64 s[0:1], vcc
	s_cbranch_execz .LBB3332_122
.LBB3332_172:
	v_lshlrev_b32_e32 v24, 2, v32
	v_readfirstlane_b32 s2, v4
	v_readfirstlane_b32 s3, v5
	s_waitcnt lgkmcnt(4)
	s_nop 3
	global_store_dword v24, v13, s[2:3]
	s_or_b64 exec, exec, s[0:1]
	v_cmp_ge_u32_e32 vcc, v31, v42
	s_and_saveexec_b64 s[0:1], vcc
	s_cbranch_execz .LBB3332_123
.LBB3332_173:
	v_lshlrev_b32_e32 v24, 2, v31
	v_readfirstlane_b32 s2, v4
	v_readfirstlane_b32 s3, v5
	s_waitcnt lgkmcnt(3)
	s_nop 3
	global_store_dword v24, v10, s[2:3]
	s_or_b64 exec, exec, s[0:1]
	v_cmp_ge_u32_e32 vcc, v30, v42
	s_and_saveexec_b64 s[0:1], vcc
	s_cbranch_execz .LBB3332_124
.LBB3332_174:
	v_lshlrev_b32_e32 v24, 2, v30
	v_readfirstlane_b32 s2, v4
	v_readfirstlane_b32 s3, v5
	s_waitcnt lgkmcnt(3)
	s_nop 3
	global_store_dword v24, v11, s[2:3]
	s_or_b64 exec, exec, s[0:1]
	v_cmp_ge_u32_e32 vcc, v29, v42
	s_and_saveexec_b64 s[0:1], vcc
	s_cbranch_execz .LBB3332_125
.LBB3332_175:
	v_lshlrev_b32_e32 v24, 2, v29
	v_readfirstlane_b32 s2, v4
	v_readfirstlane_b32 s3, v5
	s_waitcnt lgkmcnt(2)
	s_nop 3
	global_store_dword v24, v8, s[2:3]
	s_or_b64 exec, exec, s[0:1]
	v_cmp_ge_u32_e32 vcc, v28, v42
	s_and_saveexec_b64 s[0:1], vcc
	s_cbranch_execz .LBB3332_126
.LBB3332_176:
	v_lshlrev_b32_e32 v24, 2, v28
	v_readfirstlane_b32 s2, v4
	v_readfirstlane_b32 s3, v5
	s_waitcnt lgkmcnt(2)
	s_nop 3
	global_store_dword v24, v9, s[2:3]
	s_or_b64 exec, exec, s[0:1]
	v_cmp_ge_u32_e32 vcc, v23, v42
	s_and_saveexec_b64 s[0:1], vcc
	s_cbranch_execz .LBB3332_127
.LBB3332_177:
	v_lshlrev_b32_e32 v24, 2, v23
	v_readfirstlane_b32 s2, v4
	v_readfirstlane_b32 s3, v5
	s_waitcnt lgkmcnt(1)
	s_nop 3
	global_store_dword v24, v6, s[2:3]
	s_or_b64 exec, exec, s[0:1]
	v_cmp_ge_u32_e32 vcc, v21, v42
	s_and_saveexec_b64 s[0:1], vcc
	s_cbranch_execnz .LBB3332_128
	s_branch .LBB3332_129
	.section	.rodata,"a",@progbits
	.p2align	6, 0x0
	.amdhsa_kernel _ZN7rocprim17ROCPRIM_400000_NS6detail17trampoline_kernelINS0_14default_configENS1_25partition_config_selectorILNS1_17partition_subalgoE1EiNS0_10empty_typeEbEEZZNS1_14partition_implILS5_1ELb0ES3_jN6thrust23THRUST_200600_302600_NS6detail15normal_iteratorINSA_10device_ptrIiEEEEPS6_NSA_18transform_iteratorI7is_evenIiESF_NSA_11use_defaultESK_EENS0_5tupleIJNSA_16discard_iteratorISK_EESF_EEENSM_IJSG_SG_EEES6_PlJS6_EEE10hipError_tPvRmT3_T4_T5_T6_T7_T9_mT8_P12ihipStream_tbDpT10_ENKUlT_T0_E_clISt17integral_constantIbLb1EES1B_EEDaS16_S17_EUlS16_E_NS1_11comp_targetILNS1_3genE5ELNS1_11target_archE942ELNS1_3gpuE9ELNS1_3repE0EEENS1_30default_config_static_selectorELNS0_4arch9wavefront6targetE1EEEvT1_
		.amdhsa_group_segment_fixed_size 30728
		.amdhsa_private_segment_fixed_size 0
		.amdhsa_kernarg_size 152
		.amdhsa_user_sgpr_count 2
		.amdhsa_user_sgpr_dispatch_ptr 0
		.amdhsa_user_sgpr_queue_ptr 0
		.amdhsa_user_sgpr_kernarg_segment_ptr 1
		.amdhsa_user_sgpr_dispatch_id 0
		.amdhsa_user_sgpr_kernarg_preload_length 0
		.amdhsa_user_sgpr_kernarg_preload_offset 0
		.amdhsa_user_sgpr_private_segment_size 0
		.amdhsa_uses_dynamic_stack 0
		.amdhsa_enable_private_segment 0
		.amdhsa_system_sgpr_workgroup_id_x 1
		.amdhsa_system_sgpr_workgroup_id_y 0
		.amdhsa_system_sgpr_workgroup_id_z 0
		.amdhsa_system_sgpr_workgroup_info 0
		.amdhsa_system_vgpr_workitem_id 0
		.amdhsa_next_free_vgpr 69
		.amdhsa_next_free_sgpr 42
		.amdhsa_accum_offset 72
		.amdhsa_reserve_vcc 1
		.amdhsa_float_round_mode_32 0
		.amdhsa_float_round_mode_16_64 0
		.amdhsa_float_denorm_mode_32 3
		.amdhsa_float_denorm_mode_16_64 3
		.amdhsa_dx10_clamp 1
		.amdhsa_ieee_mode 1
		.amdhsa_fp16_overflow 0
		.amdhsa_tg_split 0
		.amdhsa_exception_fp_ieee_invalid_op 0
		.amdhsa_exception_fp_denorm_src 0
		.amdhsa_exception_fp_ieee_div_zero 0
		.amdhsa_exception_fp_ieee_overflow 0
		.amdhsa_exception_fp_ieee_underflow 0
		.amdhsa_exception_fp_ieee_inexact 0
		.amdhsa_exception_int_div_zero 0
	.end_amdhsa_kernel
	.section	.text._ZN7rocprim17ROCPRIM_400000_NS6detail17trampoline_kernelINS0_14default_configENS1_25partition_config_selectorILNS1_17partition_subalgoE1EiNS0_10empty_typeEbEEZZNS1_14partition_implILS5_1ELb0ES3_jN6thrust23THRUST_200600_302600_NS6detail15normal_iteratorINSA_10device_ptrIiEEEEPS6_NSA_18transform_iteratorI7is_evenIiESF_NSA_11use_defaultESK_EENS0_5tupleIJNSA_16discard_iteratorISK_EESF_EEENSM_IJSG_SG_EEES6_PlJS6_EEE10hipError_tPvRmT3_T4_T5_T6_T7_T9_mT8_P12ihipStream_tbDpT10_ENKUlT_T0_E_clISt17integral_constantIbLb1EES1B_EEDaS16_S17_EUlS16_E_NS1_11comp_targetILNS1_3genE5ELNS1_11target_archE942ELNS1_3gpuE9ELNS1_3repE0EEENS1_30default_config_static_selectorELNS0_4arch9wavefront6targetE1EEEvT1_,"axG",@progbits,_ZN7rocprim17ROCPRIM_400000_NS6detail17trampoline_kernelINS0_14default_configENS1_25partition_config_selectorILNS1_17partition_subalgoE1EiNS0_10empty_typeEbEEZZNS1_14partition_implILS5_1ELb0ES3_jN6thrust23THRUST_200600_302600_NS6detail15normal_iteratorINSA_10device_ptrIiEEEEPS6_NSA_18transform_iteratorI7is_evenIiESF_NSA_11use_defaultESK_EENS0_5tupleIJNSA_16discard_iteratorISK_EESF_EEENSM_IJSG_SG_EEES6_PlJS6_EEE10hipError_tPvRmT3_T4_T5_T6_T7_T9_mT8_P12ihipStream_tbDpT10_ENKUlT_T0_E_clISt17integral_constantIbLb1EES1B_EEDaS16_S17_EUlS16_E_NS1_11comp_targetILNS1_3genE5ELNS1_11target_archE942ELNS1_3gpuE9ELNS1_3repE0EEENS1_30default_config_static_selectorELNS0_4arch9wavefront6targetE1EEEvT1_,comdat
.Lfunc_end3332:
	.size	_ZN7rocprim17ROCPRIM_400000_NS6detail17trampoline_kernelINS0_14default_configENS1_25partition_config_selectorILNS1_17partition_subalgoE1EiNS0_10empty_typeEbEEZZNS1_14partition_implILS5_1ELb0ES3_jN6thrust23THRUST_200600_302600_NS6detail15normal_iteratorINSA_10device_ptrIiEEEEPS6_NSA_18transform_iteratorI7is_evenIiESF_NSA_11use_defaultESK_EENS0_5tupleIJNSA_16discard_iteratorISK_EESF_EEENSM_IJSG_SG_EEES6_PlJS6_EEE10hipError_tPvRmT3_T4_T5_T6_T7_T9_mT8_P12ihipStream_tbDpT10_ENKUlT_T0_E_clISt17integral_constantIbLb1EES1B_EEDaS16_S17_EUlS16_E_NS1_11comp_targetILNS1_3genE5ELNS1_11target_archE942ELNS1_3gpuE9ELNS1_3repE0EEENS1_30default_config_static_selectorELNS0_4arch9wavefront6targetE1EEEvT1_, .Lfunc_end3332-_ZN7rocprim17ROCPRIM_400000_NS6detail17trampoline_kernelINS0_14default_configENS1_25partition_config_selectorILNS1_17partition_subalgoE1EiNS0_10empty_typeEbEEZZNS1_14partition_implILS5_1ELb0ES3_jN6thrust23THRUST_200600_302600_NS6detail15normal_iteratorINSA_10device_ptrIiEEEEPS6_NSA_18transform_iteratorI7is_evenIiESF_NSA_11use_defaultESK_EENS0_5tupleIJNSA_16discard_iteratorISK_EESF_EEENSM_IJSG_SG_EEES6_PlJS6_EEE10hipError_tPvRmT3_T4_T5_T6_T7_T9_mT8_P12ihipStream_tbDpT10_ENKUlT_T0_E_clISt17integral_constantIbLb1EES1B_EEDaS16_S17_EUlS16_E_NS1_11comp_targetILNS1_3genE5ELNS1_11target_archE942ELNS1_3gpuE9ELNS1_3repE0EEENS1_30default_config_static_selectorELNS0_4arch9wavefront6targetE1EEEvT1_
                                        ; -- End function
	.section	.AMDGPU.csdata,"",@progbits
; Kernel info:
; codeLenInByte = 8076
; NumSgprs: 48
; NumVgprs: 69
; NumAgprs: 0
; TotalNumVgprs: 69
; ScratchSize: 0
; MemoryBound: 0
; FloatMode: 240
; IeeeMode: 1
; LDSByteSize: 30728 bytes/workgroup (compile time only)
; SGPRBlocks: 5
; VGPRBlocks: 8
; NumSGPRsForWavesPerEU: 48
; NumVGPRsForWavesPerEU: 69
; AccumOffset: 72
; Occupancy: 4
; WaveLimiterHint : 1
; COMPUTE_PGM_RSRC2:SCRATCH_EN: 0
; COMPUTE_PGM_RSRC2:USER_SGPR: 2
; COMPUTE_PGM_RSRC2:TRAP_HANDLER: 0
; COMPUTE_PGM_RSRC2:TGID_X_EN: 1
; COMPUTE_PGM_RSRC2:TGID_Y_EN: 0
; COMPUTE_PGM_RSRC2:TGID_Z_EN: 0
; COMPUTE_PGM_RSRC2:TIDIG_COMP_CNT: 0
; COMPUTE_PGM_RSRC3_GFX90A:ACCUM_OFFSET: 17
; COMPUTE_PGM_RSRC3_GFX90A:TG_SPLIT: 0
	.section	.text._ZN7rocprim17ROCPRIM_400000_NS6detail17trampoline_kernelINS0_14default_configENS1_25partition_config_selectorILNS1_17partition_subalgoE1EiNS0_10empty_typeEbEEZZNS1_14partition_implILS5_1ELb0ES3_jN6thrust23THRUST_200600_302600_NS6detail15normal_iteratorINSA_10device_ptrIiEEEEPS6_NSA_18transform_iteratorI7is_evenIiESF_NSA_11use_defaultESK_EENS0_5tupleIJNSA_16discard_iteratorISK_EESF_EEENSM_IJSG_SG_EEES6_PlJS6_EEE10hipError_tPvRmT3_T4_T5_T6_T7_T9_mT8_P12ihipStream_tbDpT10_ENKUlT_T0_E_clISt17integral_constantIbLb1EES1B_EEDaS16_S17_EUlS16_E_NS1_11comp_targetILNS1_3genE4ELNS1_11target_archE910ELNS1_3gpuE8ELNS1_3repE0EEENS1_30default_config_static_selectorELNS0_4arch9wavefront6targetE1EEEvT1_,"axG",@progbits,_ZN7rocprim17ROCPRIM_400000_NS6detail17trampoline_kernelINS0_14default_configENS1_25partition_config_selectorILNS1_17partition_subalgoE1EiNS0_10empty_typeEbEEZZNS1_14partition_implILS5_1ELb0ES3_jN6thrust23THRUST_200600_302600_NS6detail15normal_iteratorINSA_10device_ptrIiEEEEPS6_NSA_18transform_iteratorI7is_evenIiESF_NSA_11use_defaultESK_EENS0_5tupleIJNSA_16discard_iteratorISK_EESF_EEENSM_IJSG_SG_EEES6_PlJS6_EEE10hipError_tPvRmT3_T4_T5_T6_T7_T9_mT8_P12ihipStream_tbDpT10_ENKUlT_T0_E_clISt17integral_constantIbLb1EES1B_EEDaS16_S17_EUlS16_E_NS1_11comp_targetILNS1_3genE4ELNS1_11target_archE910ELNS1_3gpuE8ELNS1_3repE0EEENS1_30default_config_static_selectorELNS0_4arch9wavefront6targetE1EEEvT1_,comdat
	.protected	_ZN7rocprim17ROCPRIM_400000_NS6detail17trampoline_kernelINS0_14default_configENS1_25partition_config_selectorILNS1_17partition_subalgoE1EiNS0_10empty_typeEbEEZZNS1_14partition_implILS5_1ELb0ES3_jN6thrust23THRUST_200600_302600_NS6detail15normal_iteratorINSA_10device_ptrIiEEEEPS6_NSA_18transform_iteratorI7is_evenIiESF_NSA_11use_defaultESK_EENS0_5tupleIJNSA_16discard_iteratorISK_EESF_EEENSM_IJSG_SG_EEES6_PlJS6_EEE10hipError_tPvRmT3_T4_T5_T6_T7_T9_mT8_P12ihipStream_tbDpT10_ENKUlT_T0_E_clISt17integral_constantIbLb1EES1B_EEDaS16_S17_EUlS16_E_NS1_11comp_targetILNS1_3genE4ELNS1_11target_archE910ELNS1_3gpuE8ELNS1_3repE0EEENS1_30default_config_static_selectorELNS0_4arch9wavefront6targetE1EEEvT1_ ; -- Begin function _ZN7rocprim17ROCPRIM_400000_NS6detail17trampoline_kernelINS0_14default_configENS1_25partition_config_selectorILNS1_17partition_subalgoE1EiNS0_10empty_typeEbEEZZNS1_14partition_implILS5_1ELb0ES3_jN6thrust23THRUST_200600_302600_NS6detail15normal_iteratorINSA_10device_ptrIiEEEEPS6_NSA_18transform_iteratorI7is_evenIiESF_NSA_11use_defaultESK_EENS0_5tupleIJNSA_16discard_iteratorISK_EESF_EEENSM_IJSG_SG_EEES6_PlJS6_EEE10hipError_tPvRmT3_T4_T5_T6_T7_T9_mT8_P12ihipStream_tbDpT10_ENKUlT_T0_E_clISt17integral_constantIbLb1EES1B_EEDaS16_S17_EUlS16_E_NS1_11comp_targetILNS1_3genE4ELNS1_11target_archE910ELNS1_3gpuE8ELNS1_3repE0EEENS1_30default_config_static_selectorELNS0_4arch9wavefront6targetE1EEEvT1_
	.globl	_ZN7rocprim17ROCPRIM_400000_NS6detail17trampoline_kernelINS0_14default_configENS1_25partition_config_selectorILNS1_17partition_subalgoE1EiNS0_10empty_typeEbEEZZNS1_14partition_implILS5_1ELb0ES3_jN6thrust23THRUST_200600_302600_NS6detail15normal_iteratorINSA_10device_ptrIiEEEEPS6_NSA_18transform_iteratorI7is_evenIiESF_NSA_11use_defaultESK_EENS0_5tupleIJNSA_16discard_iteratorISK_EESF_EEENSM_IJSG_SG_EEES6_PlJS6_EEE10hipError_tPvRmT3_T4_T5_T6_T7_T9_mT8_P12ihipStream_tbDpT10_ENKUlT_T0_E_clISt17integral_constantIbLb1EES1B_EEDaS16_S17_EUlS16_E_NS1_11comp_targetILNS1_3genE4ELNS1_11target_archE910ELNS1_3gpuE8ELNS1_3repE0EEENS1_30default_config_static_selectorELNS0_4arch9wavefront6targetE1EEEvT1_
	.p2align	8
	.type	_ZN7rocprim17ROCPRIM_400000_NS6detail17trampoline_kernelINS0_14default_configENS1_25partition_config_selectorILNS1_17partition_subalgoE1EiNS0_10empty_typeEbEEZZNS1_14partition_implILS5_1ELb0ES3_jN6thrust23THRUST_200600_302600_NS6detail15normal_iteratorINSA_10device_ptrIiEEEEPS6_NSA_18transform_iteratorI7is_evenIiESF_NSA_11use_defaultESK_EENS0_5tupleIJNSA_16discard_iteratorISK_EESF_EEENSM_IJSG_SG_EEES6_PlJS6_EEE10hipError_tPvRmT3_T4_T5_T6_T7_T9_mT8_P12ihipStream_tbDpT10_ENKUlT_T0_E_clISt17integral_constantIbLb1EES1B_EEDaS16_S17_EUlS16_E_NS1_11comp_targetILNS1_3genE4ELNS1_11target_archE910ELNS1_3gpuE8ELNS1_3repE0EEENS1_30default_config_static_selectorELNS0_4arch9wavefront6targetE1EEEvT1_,@function
_ZN7rocprim17ROCPRIM_400000_NS6detail17trampoline_kernelINS0_14default_configENS1_25partition_config_selectorILNS1_17partition_subalgoE1EiNS0_10empty_typeEbEEZZNS1_14partition_implILS5_1ELb0ES3_jN6thrust23THRUST_200600_302600_NS6detail15normal_iteratorINSA_10device_ptrIiEEEEPS6_NSA_18transform_iteratorI7is_evenIiESF_NSA_11use_defaultESK_EENS0_5tupleIJNSA_16discard_iteratorISK_EESF_EEENSM_IJSG_SG_EEES6_PlJS6_EEE10hipError_tPvRmT3_T4_T5_T6_T7_T9_mT8_P12ihipStream_tbDpT10_ENKUlT_T0_E_clISt17integral_constantIbLb1EES1B_EEDaS16_S17_EUlS16_E_NS1_11comp_targetILNS1_3genE4ELNS1_11target_archE910ELNS1_3gpuE8ELNS1_3repE0EEENS1_30default_config_static_selectorELNS0_4arch9wavefront6targetE1EEEvT1_: ; @_ZN7rocprim17ROCPRIM_400000_NS6detail17trampoline_kernelINS0_14default_configENS1_25partition_config_selectorILNS1_17partition_subalgoE1EiNS0_10empty_typeEbEEZZNS1_14partition_implILS5_1ELb0ES3_jN6thrust23THRUST_200600_302600_NS6detail15normal_iteratorINSA_10device_ptrIiEEEEPS6_NSA_18transform_iteratorI7is_evenIiESF_NSA_11use_defaultESK_EENS0_5tupleIJNSA_16discard_iteratorISK_EESF_EEENSM_IJSG_SG_EEES6_PlJS6_EEE10hipError_tPvRmT3_T4_T5_T6_T7_T9_mT8_P12ihipStream_tbDpT10_ENKUlT_T0_E_clISt17integral_constantIbLb1EES1B_EEDaS16_S17_EUlS16_E_NS1_11comp_targetILNS1_3genE4ELNS1_11target_archE910ELNS1_3gpuE8ELNS1_3repE0EEENS1_30default_config_static_selectorELNS0_4arch9wavefront6targetE1EEEvT1_
; %bb.0:
	.section	.rodata,"a",@progbits
	.p2align	6, 0x0
	.amdhsa_kernel _ZN7rocprim17ROCPRIM_400000_NS6detail17trampoline_kernelINS0_14default_configENS1_25partition_config_selectorILNS1_17partition_subalgoE1EiNS0_10empty_typeEbEEZZNS1_14partition_implILS5_1ELb0ES3_jN6thrust23THRUST_200600_302600_NS6detail15normal_iteratorINSA_10device_ptrIiEEEEPS6_NSA_18transform_iteratorI7is_evenIiESF_NSA_11use_defaultESK_EENS0_5tupleIJNSA_16discard_iteratorISK_EESF_EEENSM_IJSG_SG_EEES6_PlJS6_EEE10hipError_tPvRmT3_T4_T5_T6_T7_T9_mT8_P12ihipStream_tbDpT10_ENKUlT_T0_E_clISt17integral_constantIbLb1EES1B_EEDaS16_S17_EUlS16_E_NS1_11comp_targetILNS1_3genE4ELNS1_11target_archE910ELNS1_3gpuE8ELNS1_3repE0EEENS1_30default_config_static_selectorELNS0_4arch9wavefront6targetE1EEEvT1_
		.amdhsa_group_segment_fixed_size 0
		.amdhsa_private_segment_fixed_size 0
		.amdhsa_kernarg_size 152
		.amdhsa_user_sgpr_count 2
		.amdhsa_user_sgpr_dispatch_ptr 0
		.amdhsa_user_sgpr_queue_ptr 0
		.amdhsa_user_sgpr_kernarg_segment_ptr 1
		.amdhsa_user_sgpr_dispatch_id 0
		.amdhsa_user_sgpr_kernarg_preload_length 0
		.amdhsa_user_sgpr_kernarg_preload_offset 0
		.amdhsa_user_sgpr_private_segment_size 0
		.amdhsa_uses_dynamic_stack 0
		.amdhsa_enable_private_segment 0
		.amdhsa_system_sgpr_workgroup_id_x 1
		.amdhsa_system_sgpr_workgroup_id_y 0
		.amdhsa_system_sgpr_workgroup_id_z 0
		.amdhsa_system_sgpr_workgroup_info 0
		.amdhsa_system_vgpr_workitem_id 0
		.amdhsa_next_free_vgpr 1
		.amdhsa_next_free_sgpr 0
		.amdhsa_accum_offset 4
		.amdhsa_reserve_vcc 0
		.amdhsa_float_round_mode_32 0
		.amdhsa_float_round_mode_16_64 0
		.amdhsa_float_denorm_mode_32 3
		.amdhsa_float_denorm_mode_16_64 3
		.amdhsa_dx10_clamp 1
		.amdhsa_ieee_mode 1
		.amdhsa_fp16_overflow 0
		.amdhsa_tg_split 0
		.amdhsa_exception_fp_ieee_invalid_op 0
		.amdhsa_exception_fp_denorm_src 0
		.amdhsa_exception_fp_ieee_div_zero 0
		.amdhsa_exception_fp_ieee_overflow 0
		.amdhsa_exception_fp_ieee_underflow 0
		.amdhsa_exception_fp_ieee_inexact 0
		.amdhsa_exception_int_div_zero 0
	.end_amdhsa_kernel
	.section	.text._ZN7rocprim17ROCPRIM_400000_NS6detail17trampoline_kernelINS0_14default_configENS1_25partition_config_selectorILNS1_17partition_subalgoE1EiNS0_10empty_typeEbEEZZNS1_14partition_implILS5_1ELb0ES3_jN6thrust23THRUST_200600_302600_NS6detail15normal_iteratorINSA_10device_ptrIiEEEEPS6_NSA_18transform_iteratorI7is_evenIiESF_NSA_11use_defaultESK_EENS0_5tupleIJNSA_16discard_iteratorISK_EESF_EEENSM_IJSG_SG_EEES6_PlJS6_EEE10hipError_tPvRmT3_T4_T5_T6_T7_T9_mT8_P12ihipStream_tbDpT10_ENKUlT_T0_E_clISt17integral_constantIbLb1EES1B_EEDaS16_S17_EUlS16_E_NS1_11comp_targetILNS1_3genE4ELNS1_11target_archE910ELNS1_3gpuE8ELNS1_3repE0EEENS1_30default_config_static_selectorELNS0_4arch9wavefront6targetE1EEEvT1_,"axG",@progbits,_ZN7rocprim17ROCPRIM_400000_NS6detail17trampoline_kernelINS0_14default_configENS1_25partition_config_selectorILNS1_17partition_subalgoE1EiNS0_10empty_typeEbEEZZNS1_14partition_implILS5_1ELb0ES3_jN6thrust23THRUST_200600_302600_NS6detail15normal_iteratorINSA_10device_ptrIiEEEEPS6_NSA_18transform_iteratorI7is_evenIiESF_NSA_11use_defaultESK_EENS0_5tupleIJNSA_16discard_iteratorISK_EESF_EEENSM_IJSG_SG_EEES6_PlJS6_EEE10hipError_tPvRmT3_T4_T5_T6_T7_T9_mT8_P12ihipStream_tbDpT10_ENKUlT_T0_E_clISt17integral_constantIbLb1EES1B_EEDaS16_S17_EUlS16_E_NS1_11comp_targetILNS1_3genE4ELNS1_11target_archE910ELNS1_3gpuE8ELNS1_3repE0EEENS1_30default_config_static_selectorELNS0_4arch9wavefront6targetE1EEEvT1_,comdat
.Lfunc_end3333:
	.size	_ZN7rocprim17ROCPRIM_400000_NS6detail17trampoline_kernelINS0_14default_configENS1_25partition_config_selectorILNS1_17partition_subalgoE1EiNS0_10empty_typeEbEEZZNS1_14partition_implILS5_1ELb0ES3_jN6thrust23THRUST_200600_302600_NS6detail15normal_iteratorINSA_10device_ptrIiEEEEPS6_NSA_18transform_iteratorI7is_evenIiESF_NSA_11use_defaultESK_EENS0_5tupleIJNSA_16discard_iteratorISK_EESF_EEENSM_IJSG_SG_EEES6_PlJS6_EEE10hipError_tPvRmT3_T4_T5_T6_T7_T9_mT8_P12ihipStream_tbDpT10_ENKUlT_T0_E_clISt17integral_constantIbLb1EES1B_EEDaS16_S17_EUlS16_E_NS1_11comp_targetILNS1_3genE4ELNS1_11target_archE910ELNS1_3gpuE8ELNS1_3repE0EEENS1_30default_config_static_selectorELNS0_4arch9wavefront6targetE1EEEvT1_, .Lfunc_end3333-_ZN7rocprim17ROCPRIM_400000_NS6detail17trampoline_kernelINS0_14default_configENS1_25partition_config_selectorILNS1_17partition_subalgoE1EiNS0_10empty_typeEbEEZZNS1_14partition_implILS5_1ELb0ES3_jN6thrust23THRUST_200600_302600_NS6detail15normal_iteratorINSA_10device_ptrIiEEEEPS6_NSA_18transform_iteratorI7is_evenIiESF_NSA_11use_defaultESK_EENS0_5tupleIJNSA_16discard_iteratorISK_EESF_EEENSM_IJSG_SG_EEES6_PlJS6_EEE10hipError_tPvRmT3_T4_T5_T6_T7_T9_mT8_P12ihipStream_tbDpT10_ENKUlT_T0_E_clISt17integral_constantIbLb1EES1B_EEDaS16_S17_EUlS16_E_NS1_11comp_targetILNS1_3genE4ELNS1_11target_archE910ELNS1_3gpuE8ELNS1_3repE0EEENS1_30default_config_static_selectorELNS0_4arch9wavefront6targetE1EEEvT1_
                                        ; -- End function
	.section	.AMDGPU.csdata,"",@progbits
; Kernel info:
; codeLenInByte = 0
; NumSgprs: 6
; NumVgprs: 0
; NumAgprs: 0
; TotalNumVgprs: 0
; ScratchSize: 0
; MemoryBound: 0
; FloatMode: 240
; IeeeMode: 1
; LDSByteSize: 0 bytes/workgroup (compile time only)
; SGPRBlocks: 0
; VGPRBlocks: 0
; NumSGPRsForWavesPerEU: 6
; NumVGPRsForWavesPerEU: 1
; AccumOffset: 4
; Occupancy: 8
; WaveLimiterHint : 0
; COMPUTE_PGM_RSRC2:SCRATCH_EN: 0
; COMPUTE_PGM_RSRC2:USER_SGPR: 2
; COMPUTE_PGM_RSRC2:TRAP_HANDLER: 0
; COMPUTE_PGM_RSRC2:TGID_X_EN: 1
; COMPUTE_PGM_RSRC2:TGID_Y_EN: 0
; COMPUTE_PGM_RSRC2:TGID_Z_EN: 0
; COMPUTE_PGM_RSRC2:TIDIG_COMP_CNT: 0
; COMPUTE_PGM_RSRC3_GFX90A:ACCUM_OFFSET: 0
; COMPUTE_PGM_RSRC3_GFX90A:TG_SPLIT: 0
	.section	.text._ZN7rocprim17ROCPRIM_400000_NS6detail17trampoline_kernelINS0_14default_configENS1_25partition_config_selectorILNS1_17partition_subalgoE1EiNS0_10empty_typeEbEEZZNS1_14partition_implILS5_1ELb0ES3_jN6thrust23THRUST_200600_302600_NS6detail15normal_iteratorINSA_10device_ptrIiEEEEPS6_NSA_18transform_iteratorI7is_evenIiESF_NSA_11use_defaultESK_EENS0_5tupleIJNSA_16discard_iteratorISK_EESF_EEENSM_IJSG_SG_EEES6_PlJS6_EEE10hipError_tPvRmT3_T4_T5_T6_T7_T9_mT8_P12ihipStream_tbDpT10_ENKUlT_T0_E_clISt17integral_constantIbLb1EES1B_EEDaS16_S17_EUlS16_E_NS1_11comp_targetILNS1_3genE3ELNS1_11target_archE908ELNS1_3gpuE7ELNS1_3repE0EEENS1_30default_config_static_selectorELNS0_4arch9wavefront6targetE1EEEvT1_,"axG",@progbits,_ZN7rocprim17ROCPRIM_400000_NS6detail17trampoline_kernelINS0_14default_configENS1_25partition_config_selectorILNS1_17partition_subalgoE1EiNS0_10empty_typeEbEEZZNS1_14partition_implILS5_1ELb0ES3_jN6thrust23THRUST_200600_302600_NS6detail15normal_iteratorINSA_10device_ptrIiEEEEPS6_NSA_18transform_iteratorI7is_evenIiESF_NSA_11use_defaultESK_EENS0_5tupleIJNSA_16discard_iteratorISK_EESF_EEENSM_IJSG_SG_EEES6_PlJS6_EEE10hipError_tPvRmT3_T4_T5_T6_T7_T9_mT8_P12ihipStream_tbDpT10_ENKUlT_T0_E_clISt17integral_constantIbLb1EES1B_EEDaS16_S17_EUlS16_E_NS1_11comp_targetILNS1_3genE3ELNS1_11target_archE908ELNS1_3gpuE7ELNS1_3repE0EEENS1_30default_config_static_selectorELNS0_4arch9wavefront6targetE1EEEvT1_,comdat
	.protected	_ZN7rocprim17ROCPRIM_400000_NS6detail17trampoline_kernelINS0_14default_configENS1_25partition_config_selectorILNS1_17partition_subalgoE1EiNS0_10empty_typeEbEEZZNS1_14partition_implILS5_1ELb0ES3_jN6thrust23THRUST_200600_302600_NS6detail15normal_iteratorINSA_10device_ptrIiEEEEPS6_NSA_18transform_iteratorI7is_evenIiESF_NSA_11use_defaultESK_EENS0_5tupleIJNSA_16discard_iteratorISK_EESF_EEENSM_IJSG_SG_EEES6_PlJS6_EEE10hipError_tPvRmT3_T4_T5_T6_T7_T9_mT8_P12ihipStream_tbDpT10_ENKUlT_T0_E_clISt17integral_constantIbLb1EES1B_EEDaS16_S17_EUlS16_E_NS1_11comp_targetILNS1_3genE3ELNS1_11target_archE908ELNS1_3gpuE7ELNS1_3repE0EEENS1_30default_config_static_selectorELNS0_4arch9wavefront6targetE1EEEvT1_ ; -- Begin function _ZN7rocprim17ROCPRIM_400000_NS6detail17trampoline_kernelINS0_14default_configENS1_25partition_config_selectorILNS1_17partition_subalgoE1EiNS0_10empty_typeEbEEZZNS1_14partition_implILS5_1ELb0ES3_jN6thrust23THRUST_200600_302600_NS6detail15normal_iteratorINSA_10device_ptrIiEEEEPS6_NSA_18transform_iteratorI7is_evenIiESF_NSA_11use_defaultESK_EENS0_5tupleIJNSA_16discard_iteratorISK_EESF_EEENSM_IJSG_SG_EEES6_PlJS6_EEE10hipError_tPvRmT3_T4_T5_T6_T7_T9_mT8_P12ihipStream_tbDpT10_ENKUlT_T0_E_clISt17integral_constantIbLb1EES1B_EEDaS16_S17_EUlS16_E_NS1_11comp_targetILNS1_3genE3ELNS1_11target_archE908ELNS1_3gpuE7ELNS1_3repE0EEENS1_30default_config_static_selectorELNS0_4arch9wavefront6targetE1EEEvT1_
	.globl	_ZN7rocprim17ROCPRIM_400000_NS6detail17trampoline_kernelINS0_14default_configENS1_25partition_config_selectorILNS1_17partition_subalgoE1EiNS0_10empty_typeEbEEZZNS1_14partition_implILS5_1ELb0ES3_jN6thrust23THRUST_200600_302600_NS6detail15normal_iteratorINSA_10device_ptrIiEEEEPS6_NSA_18transform_iteratorI7is_evenIiESF_NSA_11use_defaultESK_EENS0_5tupleIJNSA_16discard_iteratorISK_EESF_EEENSM_IJSG_SG_EEES6_PlJS6_EEE10hipError_tPvRmT3_T4_T5_T6_T7_T9_mT8_P12ihipStream_tbDpT10_ENKUlT_T0_E_clISt17integral_constantIbLb1EES1B_EEDaS16_S17_EUlS16_E_NS1_11comp_targetILNS1_3genE3ELNS1_11target_archE908ELNS1_3gpuE7ELNS1_3repE0EEENS1_30default_config_static_selectorELNS0_4arch9wavefront6targetE1EEEvT1_
	.p2align	8
	.type	_ZN7rocprim17ROCPRIM_400000_NS6detail17trampoline_kernelINS0_14default_configENS1_25partition_config_selectorILNS1_17partition_subalgoE1EiNS0_10empty_typeEbEEZZNS1_14partition_implILS5_1ELb0ES3_jN6thrust23THRUST_200600_302600_NS6detail15normal_iteratorINSA_10device_ptrIiEEEEPS6_NSA_18transform_iteratorI7is_evenIiESF_NSA_11use_defaultESK_EENS0_5tupleIJNSA_16discard_iteratorISK_EESF_EEENSM_IJSG_SG_EEES6_PlJS6_EEE10hipError_tPvRmT3_T4_T5_T6_T7_T9_mT8_P12ihipStream_tbDpT10_ENKUlT_T0_E_clISt17integral_constantIbLb1EES1B_EEDaS16_S17_EUlS16_E_NS1_11comp_targetILNS1_3genE3ELNS1_11target_archE908ELNS1_3gpuE7ELNS1_3repE0EEENS1_30default_config_static_selectorELNS0_4arch9wavefront6targetE1EEEvT1_,@function
_ZN7rocprim17ROCPRIM_400000_NS6detail17trampoline_kernelINS0_14default_configENS1_25partition_config_selectorILNS1_17partition_subalgoE1EiNS0_10empty_typeEbEEZZNS1_14partition_implILS5_1ELb0ES3_jN6thrust23THRUST_200600_302600_NS6detail15normal_iteratorINSA_10device_ptrIiEEEEPS6_NSA_18transform_iteratorI7is_evenIiESF_NSA_11use_defaultESK_EENS0_5tupleIJNSA_16discard_iteratorISK_EESF_EEENSM_IJSG_SG_EEES6_PlJS6_EEE10hipError_tPvRmT3_T4_T5_T6_T7_T9_mT8_P12ihipStream_tbDpT10_ENKUlT_T0_E_clISt17integral_constantIbLb1EES1B_EEDaS16_S17_EUlS16_E_NS1_11comp_targetILNS1_3genE3ELNS1_11target_archE908ELNS1_3gpuE7ELNS1_3repE0EEENS1_30default_config_static_selectorELNS0_4arch9wavefront6targetE1EEEvT1_: ; @_ZN7rocprim17ROCPRIM_400000_NS6detail17trampoline_kernelINS0_14default_configENS1_25partition_config_selectorILNS1_17partition_subalgoE1EiNS0_10empty_typeEbEEZZNS1_14partition_implILS5_1ELb0ES3_jN6thrust23THRUST_200600_302600_NS6detail15normal_iteratorINSA_10device_ptrIiEEEEPS6_NSA_18transform_iteratorI7is_evenIiESF_NSA_11use_defaultESK_EENS0_5tupleIJNSA_16discard_iteratorISK_EESF_EEENSM_IJSG_SG_EEES6_PlJS6_EEE10hipError_tPvRmT3_T4_T5_T6_T7_T9_mT8_P12ihipStream_tbDpT10_ENKUlT_T0_E_clISt17integral_constantIbLb1EES1B_EEDaS16_S17_EUlS16_E_NS1_11comp_targetILNS1_3genE3ELNS1_11target_archE908ELNS1_3gpuE7ELNS1_3repE0EEENS1_30default_config_static_selectorELNS0_4arch9wavefront6targetE1EEEvT1_
; %bb.0:
	.section	.rodata,"a",@progbits
	.p2align	6, 0x0
	.amdhsa_kernel _ZN7rocprim17ROCPRIM_400000_NS6detail17trampoline_kernelINS0_14default_configENS1_25partition_config_selectorILNS1_17partition_subalgoE1EiNS0_10empty_typeEbEEZZNS1_14partition_implILS5_1ELb0ES3_jN6thrust23THRUST_200600_302600_NS6detail15normal_iteratorINSA_10device_ptrIiEEEEPS6_NSA_18transform_iteratorI7is_evenIiESF_NSA_11use_defaultESK_EENS0_5tupleIJNSA_16discard_iteratorISK_EESF_EEENSM_IJSG_SG_EEES6_PlJS6_EEE10hipError_tPvRmT3_T4_T5_T6_T7_T9_mT8_P12ihipStream_tbDpT10_ENKUlT_T0_E_clISt17integral_constantIbLb1EES1B_EEDaS16_S17_EUlS16_E_NS1_11comp_targetILNS1_3genE3ELNS1_11target_archE908ELNS1_3gpuE7ELNS1_3repE0EEENS1_30default_config_static_selectorELNS0_4arch9wavefront6targetE1EEEvT1_
		.amdhsa_group_segment_fixed_size 0
		.amdhsa_private_segment_fixed_size 0
		.amdhsa_kernarg_size 152
		.amdhsa_user_sgpr_count 2
		.amdhsa_user_sgpr_dispatch_ptr 0
		.amdhsa_user_sgpr_queue_ptr 0
		.amdhsa_user_sgpr_kernarg_segment_ptr 1
		.amdhsa_user_sgpr_dispatch_id 0
		.amdhsa_user_sgpr_kernarg_preload_length 0
		.amdhsa_user_sgpr_kernarg_preload_offset 0
		.amdhsa_user_sgpr_private_segment_size 0
		.amdhsa_uses_dynamic_stack 0
		.amdhsa_enable_private_segment 0
		.amdhsa_system_sgpr_workgroup_id_x 1
		.amdhsa_system_sgpr_workgroup_id_y 0
		.amdhsa_system_sgpr_workgroup_id_z 0
		.amdhsa_system_sgpr_workgroup_info 0
		.amdhsa_system_vgpr_workitem_id 0
		.amdhsa_next_free_vgpr 1
		.amdhsa_next_free_sgpr 0
		.amdhsa_accum_offset 4
		.amdhsa_reserve_vcc 0
		.amdhsa_float_round_mode_32 0
		.amdhsa_float_round_mode_16_64 0
		.amdhsa_float_denorm_mode_32 3
		.amdhsa_float_denorm_mode_16_64 3
		.amdhsa_dx10_clamp 1
		.amdhsa_ieee_mode 1
		.amdhsa_fp16_overflow 0
		.amdhsa_tg_split 0
		.amdhsa_exception_fp_ieee_invalid_op 0
		.amdhsa_exception_fp_denorm_src 0
		.amdhsa_exception_fp_ieee_div_zero 0
		.amdhsa_exception_fp_ieee_overflow 0
		.amdhsa_exception_fp_ieee_underflow 0
		.amdhsa_exception_fp_ieee_inexact 0
		.amdhsa_exception_int_div_zero 0
	.end_amdhsa_kernel
	.section	.text._ZN7rocprim17ROCPRIM_400000_NS6detail17trampoline_kernelINS0_14default_configENS1_25partition_config_selectorILNS1_17partition_subalgoE1EiNS0_10empty_typeEbEEZZNS1_14partition_implILS5_1ELb0ES3_jN6thrust23THRUST_200600_302600_NS6detail15normal_iteratorINSA_10device_ptrIiEEEEPS6_NSA_18transform_iteratorI7is_evenIiESF_NSA_11use_defaultESK_EENS0_5tupleIJNSA_16discard_iteratorISK_EESF_EEENSM_IJSG_SG_EEES6_PlJS6_EEE10hipError_tPvRmT3_T4_T5_T6_T7_T9_mT8_P12ihipStream_tbDpT10_ENKUlT_T0_E_clISt17integral_constantIbLb1EES1B_EEDaS16_S17_EUlS16_E_NS1_11comp_targetILNS1_3genE3ELNS1_11target_archE908ELNS1_3gpuE7ELNS1_3repE0EEENS1_30default_config_static_selectorELNS0_4arch9wavefront6targetE1EEEvT1_,"axG",@progbits,_ZN7rocprim17ROCPRIM_400000_NS6detail17trampoline_kernelINS0_14default_configENS1_25partition_config_selectorILNS1_17partition_subalgoE1EiNS0_10empty_typeEbEEZZNS1_14partition_implILS5_1ELb0ES3_jN6thrust23THRUST_200600_302600_NS6detail15normal_iteratorINSA_10device_ptrIiEEEEPS6_NSA_18transform_iteratorI7is_evenIiESF_NSA_11use_defaultESK_EENS0_5tupleIJNSA_16discard_iteratorISK_EESF_EEENSM_IJSG_SG_EEES6_PlJS6_EEE10hipError_tPvRmT3_T4_T5_T6_T7_T9_mT8_P12ihipStream_tbDpT10_ENKUlT_T0_E_clISt17integral_constantIbLb1EES1B_EEDaS16_S17_EUlS16_E_NS1_11comp_targetILNS1_3genE3ELNS1_11target_archE908ELNS1_3gpuE7ELNS1_3repE0EEENS1_30default_config_static_selectorELNS0_4arch9wavefront6targetE1EEEvT1_,comdat
.Lfunc_end3334:
	.size	_ZN7rocprim17ROCPRIM_400000_NS6detail17trampoline_kernelINS0_14default_configENS1_25partition_config_selectorILNS1_17partition_subalgoE1EiNS0_10empty_typeEbEEZZNS1_14partition_implILS5_1ELb0ES3_jN6thrust23THRUST_200600_302600_NS6detail15normal_iteratorINSA_10device_ptrIiEEEEPS6_NSA_18transform_iteratorI7is_evenIiESF_NSA_11use_defaultESK_EENS0_5tupleIJNSA_16discard_iteratorISK_EESF_EEENSM_IJSG_SG_EEES6_PlJS6_EEE10hipError_tPvRmT3_T4_T5_T6_T7_T9_mT8_P12ihipStream_tbDpT10_ENKUlT_T0_E_clISt17integral_constantIbLb1EES1B_EEDaS16_S17_EUlS16_E_NS1_11comp_targetILNS1_3genE3ELNS1_11target_archE908ELNS1_3gpuE7ELNS1_3repE0EEENS1_30default_config_static_selectorELNS0_4arch9wavefront6targetE1EEEvT1_, .Lfunc_end3334-_ZN7rocprim17ROCPRIM_400000_NS6detail17trampoline_kernelINS0_14default_configENS1_25partition_config_selectorILNS1_17partition_subalgoE1EiNS0_10empty_typeEbEEZZNS1_14partition_implILS5_1ELb0ES3_jN6thrust23THRUST_200600_302600_NS6detail15normal_iteratorINSA_10device_ptrIiEEEEPS6_NSA_18transform_iteratorI7is_evenIiESF_NSA_11use_defaultESK_EENS0_5tupleIJNSA_16discard_iteratorISK_EESF_EEENSM_IJSG_SG_EEES6_PlJS6_EEE10hipError_tPvRmT3_T4_T5_T6_T7_T9_mT8_P12ihipStream_tbDpT10_ENKUlT_T0_E_clISt17integral_constantIbLb1EES1B_EEDaS16_S17_EUlS16_E_NS1_11comp_targetILNS1_3genE3ELNS1_11target_archE908ELNS1_3gpuE7ELNS1_3repE0EEENS1_30default_config_static_selectorELNS0_4arch9wavefront6targetE1EEEvT1_
                                        ; -- End function
	.section	.AMDGPU.csdata,"",@progbits
; Kernel info:
; codeLenInByte = 0
; NumSgprs: 6
; NumVgprs: 0
; NumAgprs: 0
; TotalNumVgprs: 0
; ScratchSize: 0
; MemoryBound: 0
; FloatMode: 240
; IeeeMode: 1
; LDSByteSize: 0 bytes/workgroup (compile time only)
; SGPRBlocks: 0
; VGPRBlocks: 0
; NumSGPRsForWavesPerEU: 6
; NumVGPRsForWavesPerEU: 1
; AccumOffset: 4
; Occupancy: 8
; WaveLimiterHint : 0
; COMPUTE_PGM_RSRC2:SCRATCH_EN: 0
; COMPUTE_PGM_RSRC2:USER_SGPR: 2
; COMPUTE_PGM_RSRC2:TRAP_HANDLER: 0
; COMPUTE_PGM_RSRC2:TGID_X_EN: 1
; COMPUTE_PGM_RSRC2:TGID_Y_EN: 0
; COMPUTE_PGM_RSRC2:TGID_Z_EN: 0
; COMPUTE_PGM_RSRC2:TIDIG_COMP_CNT: 0
; COMPUTE_PGM_RSRC3_GFX90A:ACCUM_OFFSET: 0
; COMPUTE_PGM_RSRC3_GFX90A:TG_SPLIT: 0
	.section	.text._ZN7rocprim17ROCPRIM_400000_NS6detail17trampoline_kernelINS0_14default_configENS1_25partition_config_selectorILNS1_17partition_subalgoE1EiNS0_10empty_typeEbEEZZNS1_14partition_implILS5_1ELb0ES3_jN6thrust23THRUST_200600_302600_NS6detail15normal_iteratorINSA_10device_ptrIiEEEEPS6_NSA_18transform_iteratorI7is_evenIiESF_NSA_11use_defaultESK_EENS0_5tupleIJNSA_16discard_iteratorISK_EESF_EEENSM_IJSG_SG_EEES6_PlJS6_EEE10hipError_tPvRmT3_T4_T5_T6_T7_T9_mT8_P12ihipStream_tbDpT10_ENKUlT_T0_E_clISt17integral_constantIbLb1EES1B_EEDaS16_S17_EUlS16_E_NS1_11comp_targetILNS1_3genE2ELNS1_11target_archE906ELNS1_3gpuE6ELNS1_3repE0EEENS1_30default_config_static_selectorELNS0_4arch9wavefront6targetE1EEEvT1_,"axG",@progbits,_ZN7rocprim17ROCPRIM_400000_NS6detail17trampoline_kernelINS0_14default_configENS1_25partition_config_selectorILNS1_17partition_subalgoE1EiNS0_10empty_typeEbEEZZNS1_14partition_implILS5_1ELb0ES3_jN6thrust23THRUST_200600_302600_NS6detail15normal_iteratorINSA_10device_ptrIiEEEEPS6_NSA_18transform_iteratorI7is_evenIiESF_NSA_11use_defaultESK_EENS0_5tupleIJNSA_16discard_iteratorISK_EESF_EEENSM_IJSG_SG_EEES6_PlJS6_EEE10hipError_tPvRmT3_T4_T5_T6_T7_T9_mT8_P12ihipStream_tbDpT10_ENKUlT_T0_E_clISt17integral_constantIbLb1EES1B_EEDaS16_S17_EUlS16_E_NS1_11comp_targetILNS1_3genE2ELNS1_11target_archE906ELNS1_3gpuE6ELNS1_3repE0EEENS1_30default_config_static_selectorELNS0_4arch9wavefront6targetE1EEEvT1_,comdat
	.protected	_ZN7rocprim17ROCPRIM_400000_NS6detail17trampoline_kernelINS0_14default_configENS1_25partition_config_selectorILNS1_17partition_subalgoE1EiNS0_10empty_typeEbEEZZNS1_14partition_implILS5_1ELb0ES3_jN6thrust23THRUST_200600_302600_NS6detail15normal_iteratorINSA_10device_ptrIiEEEEPS6_NSA_18transform_iteratorI7is_evenIiESF_NSA_11use_defaultESK_EENS0_5tupleIJNSA_16discard_iteratorISK_EESF_EEENSM_IJSG_SG_EEES6_PlJS6_EEE10hipError_tPvRmT3_T4_T5_T6_T7_T9_mT8_P12ihipStream_tbDpT10_ENKUlT_T0_E_clISt17integral_constantIbLb1EES1B_EEDaS16_S17_EUlS16_E_NS1_11comp_targetILNS1_3genE2ELNS1_11target_archE906ELNS1_3gpuE6ELNS1_3repE0EEENS1_30default_config_static_selectorELNS0_4arch9wavefront6targetE1EEEvT1_ ; -- Begin function _ZN7rocprim17ROCPRIM_400000_NS6detail17trampoline_kernelINS0_14default_configENS1_25partition_config_selectorILNS1_17partition_subalgoE1EiNS0_10empty_typeEbEEZZNS1_14partition_implILS5_1ELb0ES3_jN6thrust23THRUST_200600_302600_NS6detail15normal_iteratorINSA_10device_ptrIiEEEEPS6_NSA_18transform_iteratorI7is_evenIiESF_NSA_11use_defaultESK_EENS0_5tupleIJNSA_16discard_iteratorISK_EESF_EEENSM_IJSG_SG_EEES6_PlJS6_EEE10hipError_tPvRmT3_T4_T5_T6_T7_T9_mT8_P12ihipStream_tbDpT10_ENKUlT_T0_E_clISt17integral_constantIbLb1EES1B_EEDaS16_S17_EUlS16_E_NS1_11comp_targetILNS1_3genE2ELNS1_11target_archE906ELNS1_3gpuE6ELNS1_3repE0EEENS1_30default_config_static_selectorELNS0_4arch9wavefront6targetE1EEEvT1_
	.globl	_ZN7rocprim17ROCPRIM_400000_NS6detail17trampoline_kernelINS0_14default_configENS1_25partition_config_selectorILNS1_17partition_subalgoE1EiNS0_10empty_typeEbEEZZNS1_14partition_implILS5_1ELb0ES3_jN6thrust23THRUST_200600_302600_NS6detail15normal_iteratorINSA_10device_ptrIiEEEEPS6_NSA_18transform_iteratorI7is_evenIiESF_NSA_11use_defaultESK_EENS0_5tupleIJNSA_16discard_iteratorISK_EESF_EEENSM_IJSG_SG_EEES6_PlJS6_EEE10hipError_tPvRmT3_T4_T5_T6_T7_T9_mT8_P12ihipStream_tbDpT10_ENKUlT_T0_E_clISt17integral_constantIbLb1EES1B_EEDaS16_S17_EUlS16_E_NS1_11comp_targetILNS1_3genE2ELNS1_11target_archE906ELNS1_3gpuE6ELNS1_3repE0EEENS1_30default_config_static_selectorELNS0_4arch9wavefront6targetE1EEEvT1_
	.p2align	8
	.type	_ZN7rocprim17ROCPRIM_400000_NS6detail17trampoline_kernelINS0_14default_configENS1_25partition_config_selectorILNS1_17partition_subalgoE1EiNS0_10empty_typeEbEEZZNS1_14partition_implILS5_1ELb0ES3_jN6thrust23THRUST_200600_302600_NS6detail15normal_iteratorINSA_10device_ptrIiEEEEPS6_NSA_18transform_iteratorI7is_evenIiESF_NSA_11use_defaultESK_EENS0_5tupleIJNSA_16discard_iteratorISK_EESF_EEENSM_IJSG_SG_EEES6_PlJS6_EEE10hipError_tPvRmT3_T4_T5_T6_T7_T9_mT8_P12ihipStream_tbDpT10_ENKUlT_T0_E_clISt17integral_constantIbLb1EES1B_EEDaS16_S17_EUlS16_E_NS1_11comp_targetILNS1_3genE2ELNS1_11target_archE906ELNS1_3gpuE6ELNS1_3repE0EEENS1_30default_config_static_selectorELNS0_4arch9wavefront6targetE1EEEvT1_,@function
_ZN7rocprim17ROCPRIM_400000_NS6detail17trampoline_kernelINS0_14default_configENS1_25partition_config_selectorILNS1_17partition_subalgoE1EiNS0_10empty_typeEbEEZZNS1_14partition_implILS5_1ELb0ES3_jN6thrust23THRUST_200600_302600_NS6detail15normal_iteratorINSA_10device_ptrIiEEEEPS6_NSA_18transform_iteratorI7is_evenIiESF_NSA_11use_defaultESK_EENS0_5tupleIJNSA_16discard_iteratorISK_EESF_EEENSM_IJSG_SG_EEES6_PlJS6_EEE10hipError_tPvRmT3_T4_T5_T6_T7_T9_mT8_P12ihipStream_tbDpT10_ENKUlT_T0_E_clISt17integral_constantIbLb1EES1B_EEDaS16_S17_EUlS16_E_NS1_11comp_targetILNS1_3genE2ELNS1_11target_archE906ELNS1_3gpuE6ELNS1_3repE0EEENS1_30default_config_static_selectorELNS0_4arch9wavefront6targetE1EEEvT1_: ; @_ZN7rocprim17ROCPRIM_400000_NS6detail17trampoline_kernelINS0_14default_configENS1_25partition_config_selectorILNS1_17partition_subalgoE1EiNS0_10empty_typeEbEEZZNS1_14partition_implILS5_1ELb0ES3_jN6thrust23THRUST_200600_302600_NS6detail15normal_iteratorINSA_10device_ptrIiEEEEPS6_NSA_18transform_iteratorI7is_evenIiESF_NSA_11use_defaultESK_EENS0_5tupleIJNSA_16discard_iteratorISK_EESF_EEENSM_IJSG_SG_EEES6_PlJS6_EEE10hipError_tPvRmT3_T4_T5_T6_T7_T9_mT8_P12ihipStream_tbDpT10_ENKUlT_T0_E_clISt17integral_constantIbLb1EES1B_EEDaS16_S17_EUlS16_E_NS1_11comp_targetILNS1_3genE2ELNS1_11target_archE906ELNS1_3gpuE6ELNS1_3repE0EEENS1_30default_config_static_selectorELNS0_4arch9wavefront6targetE1EEEvT1_
; %bb.0:
	.section	.rodata,"a",@progbits
	.p2align	6, 0x0
	.amdhsa_kernel _ZN7rocprim17ROCPRIM_400000_NS6detail17trampoline_kernelINS0_14default_configENS1_25partition_config_selectorILNS1_17partition_subalgoE1EiNS0_10empty_typeEbEEZZNS1_14partition_implILS5_1ELb0ES3_jN6thrust23THRUST_200600_302600_NS6detail15normal_iteratorINSA_10device_ptrIiEEEEPS6_NSA_18transform_iteratorI7is_evenIiESF_NSA_11use_defaultESK_EENS0_5tupleIJNSA_16discard_iteratorISK_EESF_EEENSM_IJSG_SG_EEES6_PlJS6_EEE10hipError_tPvRmT3_T4_T5_T6_T7_T9_mT8_P12ihipStream_tbDpT10_ENKUlT_T0_E_clISt17integral_constantIbLb1EES1B_EEDaS16_S17_EUlS16_E_NS1_11comp_targetILNS1_3genE2ELNS1_11target_archE906ELNS1_3gpuE6ELNS1_3repE0EEENS1_30default_config_static_selectorELNS0_4arch9wavefront6targetE1EEEvT1_
		.amdhsa_group_segment_fixed_size 0
		.amdhsa_private_segment_fixed_size 0
		.amdhsa_kernarg_size 152
		.amdhsa_user_sgpr_count 2
		.amdhsa_user_sgpr_dispatch_ptr 0
		.amdhsa_user_sgpr_queue_ptr 0
		.amdhsa_user_sgpr_kernarg_segment_ptr 1
		.amdhsa_user_sgpr_dispatch_id 0
		.amdhsa_user_sgpr_kernarg_preload_length 0
		.amdhsa_user_sgpr_kernarg_preload_offset 0
		.amdhsa_user_sgpr_private_segment_size 0
		.amdhsa_uses_dynamic_stack 0
		.amdhsa_enable_private_segment 0
		.amdhsa_system_sgpr_workgroup_id_x 1
		.amdhsa_system_sgpr_workgroup_id_y 0
		.amdhsa_system_sgpr_workgroup_id_z 0
		.amdhsa_system_sgpr_workgroup_info 0
		.amdhsa_system_vgpr_workitem_id 0
		.amdhsa_next_free_vgpr 1
		.amdhsa_next_free_sgpr 0
		.amdhsa_accum_offset 4
		.amdhsa_reserve_vcc 0
		.amdhsa_float_round_mode_32 0
		.amdhsa_float_round_mode_16_64 0
		.amdhsa_float_denorm_mode_32 3
		.amdhsa_float_denorm_mode_16_64 3
		.amdhsa_dx10_clamp 1
		.amdhsa_ieee_mode 1
		.amdhsa_fp16_overflow 0
		.amdhsa_tg_split 0
		.amdhsa_exception_fp_ieee_invalid_op 0
		.amdhsa_exception_fp_denorm_src 0
		.amdhsa_exception_fp_ieee_div_zero 0
		.amdhsa_exception_fp_ieee_overflow 0
		.amdhsa_exception_fp_ieee_underflow 0
		.amdhsa_exception_fp_ieee_inexact 0
		.amdhsa_exception_int_div_zero 0
	.end_amdhsa_kernel
	.section	.text._ZN7rocprim17ROCPRIM_400000_NS6detail17trampoline_kernelINS0_14default_configENS1_25partition_config_selectorILNS1_17partition_subalgoE1EiNS0_10empty_typeEbEEZZNS1_14partition_implILS5_1ELb0ES3_jN6thrust23THRUST_200600_302600_NS6detail15normal_iteratorINSA_10device_ptrIiEEEEPS6_NSA_18transform_iteratorI7is_evenIiESF_NSA_11use_defaultESK_EENS0_5tupleIJNSA_16discard_iteratorISK_EESF_EEENSM_IJSG_SG_EEES6_PlJS6_EEE10hipError_tPvRmT3_T4_T5_T6_T7_T9_mT8_P12ihipStream_tbDpT10_ENKUlT_T0_E_clISt17integral_constantIbLb1EES1B_EEDaS16_S17_EUlS16_E_NS1_11comp_targetILNS1_3genE2ELNS1_11target_archE906ELNS1_3gpuE6ELNS1_3repE0EEENS1_30default_config_static_selectorELNS0_4arch9wavefront6targetE1EEEvT1_,"axG",@progbits,_ZN7rocprim17ROCPRIM_400000_NS6detail17trampoline_kernelINS0_14default_configENS1_25partition_config_selectorILNS1_17partition_subalgoE1EiNS0_10empty_typeEbEEZZNS1_14partition_implILS5_1ELb0ES3_jN6thrust23THRUST_200600_302600_NS6detail15normal_iteratorINSA_10device_ptrIiEEEEPS6_NSA_18transform_iteratorI7is_evenIiESF_NSA_11use_defaultESK_EENS0_5tupleIJNSA_16discard_iteratorISK_EESF_EEENSM_IJSG_SG_EEES6_PlJS6_EEE10hipError_tPvRmT3_T4_T5_T6_T7_T9_mT8_P12ihipStream_tbDpT10_ENKUlT_T0_E_clISt17integral_constantIbLb1EES1B_EEDaS16_S17_EUlS16_E_NS1_11comp_targetILNS1_3genE2ELNS1_11target_archE906ELNS1_3gpuE6ELNS1_3repE0EEENS1_30default_config_static_selectorELNS0_4arch9wavefront6targetE1EEEvT1_,comdat
.Lfunc_end3335:
	.size	_ZN7rocprim17ROCPRIM_400000_NS6detail17trampoline_kernelINS0_14default_configENS1_25partition_config_selectorILNS1_17partition_subalgoE1EiNS0_10empty_typeEbEEZZNS1_14partition_implILS5_1ELb0ES3_jN6thrust23THRUST_200600_302600_NS6detail15normal_iteratorINSA_10device_ptrIiEEEEPS6_NSA_18transform_iteratorI7is_evenIiESF_NSA_11use_defaultESK_EENS0_5tupleIJNSA_16discard_iteratorISK_EESF_EEENSM_IJSG_SG_EEES6_PlJS6_EEE10hipError_tPvRmT3_T4_T5_T6_T7_T9_mT8_P12ihipStream_tbDpT10_ENKUlT_T0_E_clISt17integral_constantIbLb1EES1B_EEDaS16_S17_EUlS16_E_NS1_11comp_targetILNS1_3genE2ELNS1_11target_archE906ELNS1_3gpuE6ELNS1_3repE0EEENS1_30default_config_static_selectorELNS0_4arch9wavefront6targetE1EEEvT1_, .Lfunc_end3335-_ZN7rocprim17ROCPRIM_400000_NS6detail17trampoline_kernelINS0_14default_configENS1_25partition_config_selectorILNS1_17partition_subalgoE1EiNS0_10empty_typeEbEEZZNS1_14partition_implILS5_1ELb0ES3_jN6thrust23THRUST_200600_302600_NS6detail15normal_iteratorINSA_10device_ptrIiEEEEPS6_NSA_18transform_iteratorI7is_evenIiESF_NSA_11use_defaultESK_EENS0_5tupleIJNSA_16discard_iteratorISK_EESF_EEENSM_IJSG_SG_EEES6_PlJS6_EEE10hipError_tPvRmT3_T4_T5_T6_T7_T9_mT8_P12ihipStream_tbDpT10_ENKUlT_T0_E_clISt17integral_constantIbLb1EES1B_EEDaS16_S17_EUlS16_E_NS1_11comp_targetILNS1_3genE2ELNS1_11target_archE906ELNS1_3gpuE6ELNS1_3repE0EEENS1_30default_config_static_selectorELNS0_4arch9wavefront6targetE1EEEvT1_
                                        ; -- End function
	.section	.AMDGPU.csdata,"",@progbits
; Kernel info:
; codeLenInByte = 0
; NumSgprs: 6
; NumVgprs: 0
; NumAgprs: 0
; TotalNumVgprs: 0
; ScratchSize: 0
; MemoryBound: 0
; FloatMode: 240
; IeeeMode: 1
; LDSByteSize: 0 bytes/workgroup (compile time only)
; SGPRBlocks: 0
; VGPRBlocks: 0
; NumSGPRsForWavesPerEU: 6
; NumVGPRsForWavesPerEU: 1
; AccumOffset: 4
; Occupancy: 8
; WaveLimiterHint : 0
; COMPUTE_PGM_RSRC2:SCRATCH_EN: 0
; COMPUTE_PGM_RSRC2:USER_SGPR: 2
; COMPUTE_PGM_RSRC2:TRAP_HANDLER: 0
; COMPUTE_PGM_RSRC2:TGID_X_EN: 1
; COMPUTE_PGM_RSRC2:TGID_Y_EN: 0
; COMPUTE_PGM_RSRC2:TGID_Z_EN: 0
; COMPUTE_PGM_RSRC2:TIDIG_COMP_CNT: 0
; COMPUTE_PGM_RSRC3_GFX90A:ACCUM_OFFSET: 0
; COMPUTE_PGM_RSRC3_GFX90A:TG_SPLIT: 0
	.section	.text._ZN7rocprim17ROCPRIM_400000_NS6detail17trampoline_kernelINS0_14default_configENS1_25partition_config_selectorILNS1_17partition_subalgoE1EiNS0_10empty_typeEbEEZZNS1_14partition_implILS5_1ELb0ES3_jN6thrust23THRUST_200600_302600_NS6detail15normal_iteratorINSA_10device_ptrIiEEEEPS6_NSA_18transform_iteratorI7is_evenIiESF_NSA_11use_defaultESK_EENS0_5tupleIJNSA_16discard_iteratorISK_EESF_EEENSM_IJSG_SG_EEES6_PlJS6_EEE10hipError_tPvRmT3_T4_T5_T6_T7_T9_mT8_P12ihipStream_tbDpT10_ENKUlT_T0_E_clISt17integral_constantIbLb1EES1B_EEDaS16_S17_EUlS16_E_NS1_11comp_targetILNS1_3genE10ELNS1_11target_archE1200ELNS1_3gpuE4ELNS1_3repE0EEENS1_30default_config_static_selectorELNS0_4arch9wavefront6targetE1EEEvT1_,"axG",@progbits,_ZN7rocprim17ROCPRIM_400000_NS6detail17trampoline_kernelINS0_14default_configENS1_25partition_config_selectorILNS1_17partition_subalgoE1EiNS0_10empty_typeEbEEZZNS1_14partition_implILS5_1ELb0ES3_jN6thrust23THRUST_200600_302600_NS6detail15normal_iteratorINSA_10device_ptrIiEEEEPS6_NSA_18transform_iteratorI7is_evenIiESF_NSA_11use_defaultESK_EENS0_5tupleIJNSA_16discard_iteratorISK_EESF_EEENSM_IJSG_SG_EEES6_PlJS6_EEE10hipError_tPvRmT3_T4_T5_T6_T7_T9_mT8_P12ihipStream_tbDpT10_ENKUlT_T0_E_clISt17integral_constantIbLb1EES1B_EEDaS16_S17_EUlS16_E_NS1_11comp_targetILNS1_3genE10ELNS1_11target_archE1200ELNS1_3gpuE4ELNS1_3repE0EEENS1_30default_config_static_selectorELNS0_4arch9wavefront6targetE1EEEvT1_,comdat
	.protected	_ZN7rocprim17ROCPRIM_400000_NS6detail17trampoline_kernelINS0_14default_configENS1_25partition_config_selectorILNS1_17partition_subalgoE1EiNS0_10empty_typeEbEEZZNS1_14partition_implILS5_1ELb0ES3_jN6thrust23THRUST_200600_302600_NS6detail15normal_iteratorINSA_10device_ptrIiEEEEPS6_NSA_18transform_iteratorI7is_evenIiESF_NSA_11use_defaultESK_EENS0_5tupleIJNSA_16discard_iteratorISK_EESF_EEENSM_IJSG_SG_EEES6_PlJS6_EEE10hipError_tPvRmT3_T4_T5_T6_T7_T9_mT8_P12ihipStream_tbDpT10_ENKUlT_T0_E_clISt17integral_constantIbLb1EES1B_EEDaS16_S17_EUlS16_E_NS1_11comp_targetILNS1_3genE10ELNS1_11target_archE1200ELNS1_3gpuE4ELNS1_3repE0EEENS1_30default_config_static_selectorELNS0_4arch9wavefront6targetE1EEEvT1_ ; -- Begin function _ZN7rocprim17ROCPRIM_400000_NS6detail17trampoline_kernelINS0_14default_configENS1_25partition_config_selectorILNS1_17partition_subalgoE1EiNS0_10empty_typeEbEEZZNS1_14partition_implILS5_1ELb0ES3_jN6thrust23THRUST_200600_302600_NS6detail15normal_iteratorINSA_10device_ptrIiEEEEPS6_NSA_18transform_iteratorI7is_evenIiESF_NSA_11use_defaultESK_EENS0_5tupleIJNSA_16discard_iteratorISK_EESF_EEENSM_IJSG_SG_EEES6_PlJS6_EEE10hipError_tPvRmT3_T4_T5_T6_T7_T9_mT8_P12ihipStream_tbDpT10_ENKUlT_T0_E_clISt17integral_constantIbLb1EES1B_EEDaS16_S17_EUlS16_E_NS1_11comp_targetILNS1_3genE10ELNS1_11target_archE1200ELNS1_3gpuE4ELNS1_3repE0EEENS1_30default_config_static_selectorELNS0_4arch9wavefront6targetE1EEEvT1_
	.globl	_ZN7rocprim17ROCPRIM_400000_NS6detail17trampoline_kernelINS0_14default_configENS1_25partition_config_selectorILNS1_17partition_subalgoE1EiNS0_10empty_typeEbEEZZNS1_14partition_implILS5_1ELb0ES3_jN6thrust23THRUST_200600_302600_NS6detail15normal_iteratorINSA_10device_ptrIiEEEEPS6_NSA_18transform_iteratorI7is_evenIiESF_NSA_11use_defaultESK_EENS0_5tupleIJNSA_16discard_iteratorISK_EESF_EEENSM_IJSG_SG_EEES6_PlJS6_EEE10hipError_tPvRmT3_T4_T5_T6_T7_T9_mT8_P12ihipStream_tbDpT10_ENKUlT_T0_E_clISt17integral_constantIbLb1EES1B_EEDaS16_S17_EUlS16_E_NS1_11comp_targetILNS1_3genE10ELNS1_11target_archE1200ELNS1_3gpuE4ELNS1_3repE0EEENS1_30default_config_static_selectorELNS0_4arch9wavefront6targetE1EEEvT1_
	.p2align	8
	.type	_ZN7rocprim17ROCPRIM_400000_NS6detail17trampoline_kernelINS0_14default_configENS1_25partition_config_selectorILNS1_17partition_subalgoE1EiNS0_10empty_typeEbEEZZNS1_14partition_implILS5_1ELb0ES3_jN6thrust23THRUST_200600_302600_NS6detail15normal_iteratorINSA_10device_ptrIiEEEEPS6_NSA_18transform_iteratorI7is_evenIiESF_NSA_11use_defaultESK_EENS0_5tupleIJNSA_16discard_iteratorISK_EESF_EEENSM_IJSG_SG_EEES6_PlJS6_EEE10hipError_tPvRmT3_T4_T5_T6_T7_T9_mT8_P12ihipStream_tbDpT10_ENKUlT_T0_E_clISt17integral_constantIbLb1EES1B_EEDaS16_S17_EUlS16_E_NS1_11comp_targetILNS1_3genE10ELNS1_11target_archE1200ELNS1_3gpuE4ELNS1_3repE0EEENS1_30default_config_static_selectorELNS0_4arch9wavefront6targetE1EEEvT1_,@function
_ZN7rocprim17ROCPRIM_400000_NS6detail17trampoline_kernelINS0_14default_configENS1_25partition_config_selectorILNS1_17partition_subalgoE1EiNS0_10empty_typeEbEEZZNS1_14partition_implILS5_1ELb0ES3_jN6thrust23THRUST_200600_302600_NS6detail15normal_iteratorINSA_10device_ptrIiEEEEPS6_NSA_18transform_iteratorI7is_evenIiESF_NSA_11use_defaultESK_EENS0_5tupleIJNSA_16discard_iteratorISK_EESF_EEENSM_IJSG_SG_EEES6_PlJS6_EEE10hipError_tPvRmT3_T4_T5_T6_T7_T9_mT8_P12ihipStream_tbDpT10_ENKUlT_T0_E_clISt17integral_constantIbLb1EES1B_EEDaS16_S17_EUlS16_E_NS1_11comp_targetILNS1_3genE10ELNS1_11target_archE1200ELNS1_3gpuE4ELNS1_3repE0EEENS1_30default_config_static_selectorELNS0_4arch9wavefront6targetE1EEEvT1_: ; @_ZN7rocprim17ROCPRIM_400000_NS6detail17trampoline_kernelINS0_14default_configENS1_25partition_config_selectorILNS1_17partition_subalgoE1EiNS0_10empty_typeEbEEZZNS1_14partition_implILS5_1ELb0ES3_jN6thrust23THRUST_200600_302600_NS6detail15normal_iteratorINSA_10device_ptrIiEEEEPS6_NSA_18transform_iteratorI7is_evenIiESF_NSA_11use_defaultESK_EENS0_5tupleIJNSA_16discard_iteratorISK_EESF_EEENSM_IJSG_SG_EEES6_PlJS6_EEE10hipError_tPvRmT3_T4_T5_T6_T7_T9_mT8_P12ihipStream_tbDpT10_ENKUlT_T0_E_clISt17integral_constantIbLb1EES1B_EEDaS16_S17_EUlS16_E_NS1_11comp_targetILNS1_3genE10ELNS1_11target_archE1200ELNS1_3gpuE4ELNS1_3repE0EEENS1_30default_config_static_selectorELNS0_4arch9wavefront6targetE1EEEvT1_
; %bb.0:
	.section	.rodata,"a",@progbits
	.p2align	6, 0x0
	.amdhsa_kernel _ZN7rocprim17ROCPRIM_400000_NS6detail17trampoline_kernelINS0_14default_configENS1_25partition_config_selectorILNS1_17partition_subalgoE1EiNS0_10empty_typeEbEEZZNS1_14partition_implILS5_1ELb0ES3_jN6thrust23THRUST_200600_302600_NS6detail15normal_iteratorINSA_10device_ptrIiEEEEPS6_NSA_18transform_iteratorI7is_evenIiESF_NSA_11use_defaultESK_EENS0_5tupleIJNSA_16discard_iteratorISK_EESF_EEENSM_IJSG_SG_EEES6_PlJS6_EEE10hipError_tPvRmT3_T4_T5_T6_T7_T9_mT8_P12ihipStream_tbDpT10_ENKUlT_T0_E_clISt17integral_constantIbLb1EES1B_EEDaS16_S17_EUlS16_E_NS1_11comp_targetILNS1_3genE10ELNS1_11target_archE1200ELNS1_3gpuE4ELNS1_3repE0EEENS1_30default_config_static_selectorELNS0_4arch9wavefront6targetE1EEEvT1_
		.amdhsa_group_segment_fixed_size 0
		.amdhsa_private_segment_fixed_size 0
		.amdhsa_kernarg_size 152
		.amdhsa_user_sgpr_count 2
		.amdhsa_user_sgpr_dispatch_ptr 0
		.amdhsa_user_sgpr_queue_ptr 0
		.amdhsa_user_sgpr_kernarg_segment_ptr 1
		.amdhsa_user_sgpr_dispatch_id 0
		.amdhsa_user_sgpr_kernarg_preload_length 0
		.amdhsa_user_sgpr_kernarg_preload_offset 0
		.amdhsa_user_sgpr_private_segment_size 0
		.amdhsa_uses_dynamic_stack 0
		.amdhsa_enable_private_segment 0
		.amdhsa_system_sgpr_workgroup_id_x 1
		.amdhsa_system_sgpr_workgroup_id_y 0
		.amdhsa_system_sgpr_workgroup_id_z 0
		.amdhsa_system_sgpr_workgroup_info 0
		.amdhsa_system_vgpr_workitem_id 0
		.amdhsa_next_free_vgpr 1
		.amdhsa_next_free_sgpr 0
		.amdhsa_accum_offset 4
		.amdhsa_reserve_vcc 0
		.amdhsa_float_round_mode_32 0
		.amdhsa_float_round_mode_16_64 0
		.amdhsa_float_denorm_mode_32 3
		.amdhsa_float_denorm_mode_16_64 3
		.amdhsa_dx10_clamp 1
		.amdhsa_ieee_mode 1
		.amdhsa_fp16_overflow 0
		.amdhsa_tg_split 0
		.amdhsa_exception_fp_ieee_invalid_op 0
		.amdhsa_exception_fp_denorm_src 0
		.amdhsa_exception_fp_ieee_div_zero 0
		.amdhsa_exception_fp_ieee_overflow 0
		.amdhsa_exception_fp_ieee_underflow 0
		.amdhsa_exception_fp_ieee_inexact 0
		.amdhsa_exception_int_div_zero 0
	.end_amdhsa_kernel
	.section	.text._ZN7rocprim17ROCPRIM_400000_NS6detail17trampoline_kernelINS0_14default_configENS1_25partition_config_selectorILNS1_17partition_subalgoE1EiNS0_10empty_typeEbEEZZNS1_14partition_implILS5_1ELb0ES3_jN6thrust23THRUST_200600_302600_NS6detail15normal_iteratorINSA_10device_ptrIiEEEEPS6_NSA_18transform_iteratorI7is_evenIiESF_NSA_11use_defaultESK_EENS0_5tupleIJNSA_16discard_iteratorISK_EESF_EEENSM_IJSG_SG_EEES6_PlJS6_EEE10hipError_tPvRmT3_T4_T5_T6_T7_T9_mT8_P12ihipStream_tbDpT10_ENKUlT_T0_E_clISt17integral_constantIbLb1EES1B_EEDaS16_S17_EUlS16_E_NS1_11comp_targetILNS1_3genE10ELNS1_11target_archE1200ELNS1_3gpuE4ELNS1_3repE0EEENS1_30default_config_static_selectorELNS0_4arch9wavefront6targetE1EEEvT1_,"axG",@progbits,_ZN7rocprim17ROCPRIM_400000_NS6detail17trampoline_kernelINS0_14default_configENS1_25partition_config_selectorILNS1_17partition_subalgoE1EiNS0_10empty_typeEbEEZZNS1_14partition_implILS5_1ELb0ES3_jN6thrust23THRUST_200600_302600_NS6detail15normal_iteratorINSA_10device_ptrIiEEEEPS6_NSA_18transform_iteratorI7is_evenIiESF_NSA_11use_defaultESK_EENS0_5tupleIJNSA_16discard_iteratorISK_EESF_EEENSM_IJSG_SG_EEES6_PlJS6_EEE10hipError_tPvRmT3_T4_T5_T6_T7_T9_mT8_P12ihipStream_tbDpT10_ENKUlT_T0_E_clISt17integral_constantIbLb1EES1B_EEDaS16_S17_EUlS16_E_NS1_11comp_targetILNS1_3genE10ELNS1_11target_archE1200ELNS1_3gpuE4ELNS1_3repE0EEENS1_30default_config_static_selectorELNS0_4arch9wavefront6targetE1EEEvT1_,comdat
.Lfunc_end3336:
	.size	_ZN7rocprim17ROCPRIM_400000_NS6detail17trampoline_kernelINS0_14default_configENS1_25partition_config_selectorILNS1_17partition_subalgoE1EiNS0_10empty_typeEbEEZZNS1_14partition_implILS5_1ELb0ES3_jN6thrust23THRUST_200600_302600_NS6detail15normal_iteratorINSA_10device_ptrIiEEEEPS6_NSA_18transform_iteratorI7is_evenIiESF_NSA_11use_defaultESK_EENS0_5tupleIJNSA_16discard_iteratorISK_EESF_EEENSM_IJSG_SG_EEES6_PlJS6_EEE10hipError_tPvRmT3_T4_T5_T6_T7_T9_mT8_P12ihipStream_tbDpT10_ENKUlT_T0_E_clISt17integral_constantIbLb1EES1B_EEDaS16_S17_EUlS16_E_NS1_11comp_targetILNS1_3genE10ELNS1_11target_archE1200ELNS1_3gpuE4ELNS1_3repE0EEENS1_30default_config_static_selectorELNS0_4arch9wavefront6targetE1EEEvT1_, .Lfunc_end3336-_ZN7rocprim17ROCPRIM_400000_NS6detail17trampoline_kernelINS0_14default_configENS1_25partition_config_selectorILNS1_17partition_subalgoE1EiNS0_10empty_typeEbEEZZNS1_14partition_implILS5_1ELb0ES3_jN6thrust23THRUST_200600_302600_NS6detail15normal_iteratorINSA_10device_ptrIiEEEEPS6_NSA_18transform_iteratorI7is_evenIiESF_NSA_11use_defaultESK_EENS0_5tupleIJNSA_16discard_iteratorISK_EESF_EEENSM_IJSG_SG_EEES6_PlJS6_EEE10hipError_tPvRmT3_T4_T5_T6_T7_T9_mT8_P12ihipStream_tbDpT10_ENKUlT_T0_E_clISt17integral_constantIbLb1EES1B_EEDaS16_S17_EUlS16_E_NS1_11comp_targetILNS1_3genE10ELNS1_11target_archE1200ELNS1_3gpuE4ELNS1_3repE0EEENS1_30default_config_static_selectorELNS0_4arch9wavefront6targetE1EEEvT1_
                                        ; -- End function
	.section	.AMDGPU.csdata,"",@progbits
; Kernel info:
; codeLenInByte = 0
; NumSgprs: 6
; NumVgprs: 0
; NumAgprs: 0
; TotalNumVgprs: 0
; ScratchSize: 0
; MemoryBound: 0
; FloatMode: 240
; IeeeMode: 1
; LDSByteSize: 0 bytes/workgroup (compile time only)
; SGPRBlocks: 0
; VGPRBlocks: 0
; NumSGPRsForWavesPerEU: 6
; NumVGPRsForWavesPerEU: 1
; AccumOffset: 4
; Occupancy: 8
; WaveLimiterHint : 0
; COMPUTE_PGM_RSRC2:SCRATCH_EN: 0
; COMPUTE_PGM_RSRC2:USER_SGPR: 2
; COMPUTE_PGM_RSRC2:TRAP_HANDLER: 0
; COMPUTE_PGM_RSRC2:TGID_X_EN: 1
; COMPUTE_PGM_RSRC2:TGID_Y_EN: 0
; COMPUTE_PGM_RSRC2:TGID_Z_EN: 0
; COMPUTE_PGM_RSRC2:TIDIG_COMP_CNT: 0
; COMPUTE_PGM_RSRC3_GFX90A:ACCUM_OFFSET: 0
; COMPUTE_PGM_RSRC3_GFX90A:TG_SPLIT: 0
	.section	.text._ZN7rocprim17ROCPRIM_400000_NS6detail17trampoline_kernelINS0_14default_configENS1_25partition_config_selectorILNS1_17partition_subalgoE1EiNS0_10empty_typeEbEEZZNS1_14partition_implILS5_1ELb0ES3_jN6thrust23THRUST_200600_302600_NS6detail15normal_iteratorINSA_10device_ptrIiEEEEPS6_NSA_18transform_iteratorI7is_evenIiESF_NSA_11use_defaultESK_EENS0_5tupleIJNSA_16discard_iteratorISK_EESF_EEENSM_IJSG_SG_EEES6_PlJS6_EEE10hipError_tPvRmT3_T4_T5_T6_T7_T9_mT8_P12ihipStream_tbDpT10_ENKUlT_T0_E_clISt17integral_constantIbLb1EES1B_EEDaS16_S17_EUlS16_E_NS1_11comp_targetILNS1_3genE9ELNS1_11target_archE1100ELNS1_3gpuE3ELNS1_3repE0EEENS1_30default_config_static_selectorELNS0_4arch9wavefront6targetE1EEEvT1_,"axG",@progbits,_ZN7rocprim17ROCPRIM_400000_NS6detail17trampoline_kernelINS0_14default_configENS1_25partition_config_selectorILNS1_17partition_subalgoE1EiNS0_10empty_typeEbEEZZNS1_14partition_implILS5_1ELb0ES3_jN6thrust23THRUST_200600_302600_NS6detail15normal_iteratorINSA_10device_ptrIiEEEEPS6_NSA_18transform_iteratorI7is_evenIiESF_NSA_11use_defaultESK_EENS0_5tupleIJNSA_16discard_iteratorISK_EESF_EEENSM_IJSG_SG_EEES6_PlJS6_EEE10hipError_tPvRmT3_T4_T5_T6_T7_T9_mT8_P12ihipStream_tbDpT10_ENKUlT_T0_E_clISt17integral_constantIbLb1EES1B_EEDaS16_S17_EUlS16_E_NS1_11comp_targetILNS1_3genE9ELNS1_11target_archE1100ELNS1_3gpuE3ELNS1_3repE0EEENS1_30default_config_static_selectorELNS0_4arch9wavefront6targetE1EEEvT1_,comdat
	.protected	_ZN7rocprim17ROCPRIM_400000_NS6detail17trampoline_kernelINS0_14default_configENS1_25partition_config_selectorILNS1_17partition_subalgoE1EiNS0_10empty_typeEbEEZZNS1_14partition_implILS5_1ELb0ES3_jN6thrust23THRUST_200600_302600_NS6detail15normal_iteratorINSA_10device_ptrIiEEEEPS6_NSA_18transform_iteratorI7is_evenIiESF_NSA_11use_defaultESK_EENS0_5tupleIJNSA_16discard_iteratorISK_EESF_EEENSM_IJSG_SG_EEES6_PlJS6_EEE10hipError_tPvRmT3_T4_T5_T6_T7_T9_mT8_P12ihipStream_tbDpT10_ENKUlT_T0_E_clISt17integral_constantIbLb1EES1B_EEDaS16_S17_EUlS16_E_NS1_11comp_targetILNS1_3genE9ELNS1_11target_archE1100ELNS1_3gpuE3ELNS1_3repE0EEENS1_30default_config_static_selectorELNS0_4arch9wavefront6targetE1EEEvT1_ ; -- Begin function _ZN7rocprim17ROCPRIM_400000_NS6detail17trampoline_kernelINS0_14default_configENS1_25partition_config_selectorILNS1_17partition_subalgoE1EiNS0_10empty_typeEbEEZZNS1_14partition_implILS5_1ELb0ES3_jN6thrust23THRUST_200600_302600_NS6detail15normal_iteratorINSA_10device_ptrIiEEEEPS6_NSA_18transform_iteratorI7is_evenIiESF_NSA_11use_defaultESK_EENS0_5tupleIJNSA_16discard_iteratorISK_EESF_EEENSM_IJSG_SG_EEES6_PlJS6_EEE10hipError_tPvRmT3_T4_T5_T6_T7_T9_mT8_P12ihipStream_tbDpT10_ENKUlT_T0_E_clISt17integral_constantIbLb1EES1B_EEDaS16_S17_EUlS16_E_NS1_11comp_targetILNS1_3genE9ELNS1_11target_archE1100ELNS1_3gpuE3ELNS1_3repE0EEENS1_30default_config_static_selectorELNS0_4arch9wavefront6targetE1EEEvT1_
	.globl	_ZN7rocprim17ROCPRIM_400000_NS6detail17trampoline_kernelINS0_14default_configENS1_25partition_config_selectorILNS1_17partition_subalgoE1EiNS0_10empty_typeEbEEZZNS1_14partition_implILS5_1ELb0ES3_jN6thrust23THRUST_200600_302600_NS6detail15normal_iteratorINSA_10device_ptrIiEEEEPS6_NSA_18transform_iteratorI7is_evenIiESF_NSA_11use_defaultESK_EENS0_5tupleIJNSA_16discard_iteratorISK_EESF_EEENSM_IJSG_SG_EEES6_PlJS6_EEE10hipError_tPvRmT3_T4_T5_T6_T7_T9_mT8_P12ihipStream_tbDpT10_ENKUlT_T0_E_clISt17integral_constantIbLb1EES1B_EEDaS16_S17_EUlS16_E_NS1_11comp_targetILNS1_3genE9ELNS1_11target_archE1100ELNS1_3gpuE3ELNS1_3repE0EEENS1_30default_config_static_selectorELNS0_4arch9wavefront6targetE1EEEvT1_
	.p2align	8
	.type	_ZN7rocprim17ROCPRIM_400000_NS6detail17trampoline_kernelINS0_14default_configENS1_25partition_config_selectorILNS1_17partition_subalgoE1EiNS0_10empty_typeEbEEZZNS1_14partition_implILS5_1ELb0ES3_jN6thrust23THRUST_200600_302600_NS6detail15normal_iteratorINSA_10device_ptrIiEEEEPS6_NSA_18transform_iteratorI7is_evenIiESF_NSA_11use_defaultESK_EENS0_5tupleIJNSA_16discard_iteratorISK_EESF_EEENSM_IJSG_SG_EEES6_PlJS6_EEE10hipError_tPvRmT3_T4_T5_T6_T7_T9_mT8_P12ihipStream_tbDpT10_ENKUlT_T0_E_clISt17integral_constantIbLb1EES1B_EEDaS16_S17_EUlS16_E_NS1_11comp_targetILNS1_3genE9ELNS1_11target_archE1100ELNS1_3gpuE3ELNS1_3repE0EEENS1_30default_config_static_selectorELNS0_4arch9wavefront6targetE1EEEvT1_,@function
_ZN7rocprim17ROCPRIM_400000_NS6detail17trampoline_kernelINS0_14default_configENS1_25partition_config_selectorILNS1_17partition_subalgoE1EiNS0_10empty_typeEbEEZZNS1_14partition_implILS5_1ELb0ES3_jN6thrust23THRUST_200600_302600_NS6detail15normal_iteratorINSA_10device_ptrIiEEEEPS6_NSA_18transform_iteratorI7is_evenIiESF_NSA_11use_defaultESK_EENS0_5tupleIJNSA_16discard_iteratorISK_EESF_EEENSM_IJSG_SG_EEES6_PlJS6_EEE10hipError_tPvRmT3_T4_T5_T6_T7_T9_mT8_P12ihipStream_tbDpT10_ENKUlT_T0_E_clISt17integral_constantIbLb1EES1B_EEDaS16_S17_EUlS16_E_NS1_11comp_targetILNS1_3genE9ELNS1_11target_archE1100ELNS1_3gpuE3ELNS1_3repE0EEENS1_30default_config_static_selectorELNS0_4arch9wavefront6targetE1EEEvT1_: ; @_ZN7rocprim17ROCPRIM_400000_NS6detail17trampoline_kernelINS0_14default_configENS1_25partition_config_selectorILNS1_17partition_subalgoE1EiNS0_10empty_typeEbEEZZNS1_14partition_implILS5_1ELb0ES3_jN6thrust23THRUST_200600_302600_NS6detail15normal_iteratorINSA_10device_ptrIiEEEEPS6_NSA_18transform_iteratorI7is_evenIiESF_NSA_11use_defaultESK_EENS0_5tupleIJNSA_16discard_iteratorISK_EESF_EEENSM_IJSG_SG_EEES6_PlJS6_EEE10hipError_tPvRmT3_T4_T5_T6_T7_T9_mT8_P12ihipStream_tbDpT10_ENKUlT_T0_E_clISt17integral_constantIbLb1EES1B_EEDaS16_S17_EUlS16_E_NS1_11comp_targetILNS1_3genE9ELNS1_11target_archE1100ELNS1_3gpuE3ELNS1_3repE0EEENS1_30default_config_static_selectorELNS0_4arch9wavefront6targetE1EEEvT1_
; %bb.0:
	.section	.rodata,"a",@progbits
	.p2align	6, 0x0
	.amdhsa_kernel _ZN7rocprim17ROCPRIM_400000_NS6detail17trampoline_kernelINS0_14default_configENS1_25partition_config_selectorILNS1_17partition_subalgoE1EiNS0_10empty_typeEbEEZZNS1_14partition_implILS5_1ELb0ES3_jN6thrust23THRUST_200600_302600_NS6detail15normal_iteratorINSA_10device_ptrIiEEEEPS6_NSA_18transform_iteratorI7is_evenIiESF_NSA_11use_defaultESK_EENS0_5tupleIJNSA_16discard_iteratorISK_EESF_EEENSM_IJSG_SG_EEES6_PlJS6_EEE10hipError_tPvRmT3_T4_T5_T6_T7_T9_mT8_P12ihipStream_tbDpT10_ENKUlT_T0_E_clISt17integral_constantIbLb1EES1B_EEDaS16_S17_EUlS16_E_NS1_11comp_targetILNS1_3genE9ELNS1_11target_archE1100ELNS1_3gpuE3ELNS1_3repE0EEENS1_30default_config_static_selectorELNS0_4arch9wavefront6targetE1EEEvT1_
		.amdhsa_group_segment_fixed_size 0
		.amdhsa_private_segment_fixed_size 0
		.amdhsa_kernarg_size 152
		.amdhsa_user_sgpr_count 2
		.amdhsa_user_sgpr_dispatch_ptr 0
		.amdhsa_user_sgpr_queue_ptr 0
		.amdhsa_user_sgpr_kernarg_segment_ptr 1
		.amdhsa_user_sgpr_dispatch_id 0
		.amdhsa_user_sgpr_kernarg_preload_length 0
		.amdhsa_user_sgpr_kernarg_preload_offset 0
		.amdhsa_user_sgpr_private_segment_size 0
		.amdhsa_uses_dynamic_stack 0
		.amdhsa_enable_private_segment 0
		.amdhsa_system_sgpr_workgroup_id_x 1
		.amdhsa_system_sgpr_workgroup_id_y 0
		.amdhsa_system_sgpr_workgroup_id_z 0
		.amdhsa_system_sgpr_workgroup_info 0
		.amdhsa_system_vgpr_workitem_id 0
		.amdhsa_next_free_vgpr 1
		.amdhsa_next_free_sgpr 0
		.amdhsa_accum_offset 4
		.amdhsa_reserve_vcc 0
		.amdhsa_float_round_mode_32 0
		.amdhsa_float_round_mode_16_64 0
		.amdhsa_float_denorm_mode_32 3
		.amdhsa_float_denorm_mode_16_64 3
		.amdhsa_dx10_clamp 1
		.amdhsa_ieee_mode 1
		.amdhsa_fp16_overflow 0
		.amdhsa_tg_split 0
		.amdhsa_exception_fp_ieee_invalid_op 0
		.amdhsa_exception_fp_denorm_src 0
		.amdhsa_exception_fp_ieee_div_zero 0
		.amdhsa_exception_fp_ieee_overflow 0
		.amdhsa_exception_fp_ieee_underflow 0
		.amdhsa_exception_fp_ieee_inexact 0
		.amdhsa_exception_int_div_zero 0
	.end_amdhsa_kernel
	.section	.text._ZN7rocprim17ROCPRIM_400000_NS6detail17trampoline_kernelINS0_14default_configENS1_25partition_config_selectorILNS1_17partition_subalgoE1EiNS0_10empty_typeEbEEZZNS1_14partition_implILS5_1ELb0ES3_jN6thrust23THRUST_200600_302600_NS6detail15normal_iteratorINSA_10device_ptrIiEEEEPS6_NSA_18transform_iteratorI7is_evenIiESF_NSA_11use_defaultESK_EENS0_5tupleIJNSA_16discard_iteratorISK_EESF_EEENSM_IJSG_SG_EEES6_PlJS6_EEE10hipError_tPvRmT3_T4_T5_T6_T7_T9_mT8_P12ihipStream_tbDpT10_ENKUlT_T0_E_clISt17integral_constantIbLb1EES1B_EEDaS16_S17_EUlS16_E_NS1_11comp_targetILNS1_3genE9ELNS1_11target_archE1100ELNS1_3gpuE3ELNS1_3repE0EEENS1_30default_config_static_selectorELNS0_4arch9wavefront6targetE1EEEvT1_,"axG",@progbits,_ZN7rocprim17ROCPRIM_400000_NS6detail17trampoline_kernelINS0_14default_configENS1_25partition_config_selectorILNS1_17partition_subalgoE1EiNS0_10empty_typeEbEEZZNS1_14partition_implILS5_1ELb0ES3_jN6thrust23THRUST_200600_302600_NS6detail15normal_iteratorINSA_10device_ptrIiEEEEPS6_NSA_18transform_iteratorI7is_evenIiESF_NSA_11use_defaultESK_EENS0_5tupleIJNSA_16discard_iteratorISK_EESF_EEENSM_IJSG_SG_EEES6_PlJS6_EEE10hipError_tPvRmT3_T4_T5_T6_T7_T9_mT8_P12ihipStream_tbDpT10_ENKUlT_T0_E_clISt17integral_constantIbLb1EES1B_EEDaS16_S17_EUlS16_E_NS1_11comp_targetILNS1_3genE9ELNS1_11target_archE1100ELNS1_3gpuE3ELNS1_3repE0EEENS1_30default_config_static_selectorELNS0_4arch9wavefront6targetE1EEEvT1_,comdat
.Lfunc_end3337:
	.size	_ZN7rocprim17ROCPRIM_400000_NS6detail17trampoline_kernelINS0_14default_configENS1_25partition_config_selectorILNS1_17partition_subalgoE1EiNS0_10empty_typeEbEEZZNS1_14partition_implILS5_1ELb0ES3_jN6thrust23THRUST_200600_302600_NS6detail15normal_iteratorINSA_10device_ptrIiEEEEPS6_NSA_18transform_iteratorI7is_evenIiESF_NSA_11use_defaultESK_EENS0_5tupleIJNSA_16discard_iteratorISK_EESF_EEENSM_IJSG_SG_EEES6_PlJS6_EEE10hipError_tPvRmT3_T4_T5_T6_T7_T9_mT8_P12ihipStream_tbDpT10_ENKUlT_T0_E_clISt17integral_constantIbLb1EES1B_EEDaS16_S17_EUlS16_E_NS1_11comp_targetILNS1_3genE9ELNS1_11target_archE1100ELNS1_3gpuE3ELNS1_3repE0EEENS1_30default_config_static_selectorELNS0_4arch9wavefront6targetE1EEEvT1_, .Lfunc_end3337-_ZN7rocprim17ROCPRIM_400000_NS6detail17trampoline_kernelINS0_14default_configENS1_25partition_config_selectorILNS1_17partition_subalgoE1EiNS0_10empty_typeEbEEZZNS1_14partition_implILS5_1ELb0ES3_jN6thrust23THRUST_200600_302600_NS6detail15normal_iteratorINSA_10device_ptrIiEEEEPS6_NSA_18transform_iteratorI7is_evenIiESF_NSA_11use_defaultESK_EENS0_5tupleIJNSA_16discard_iteratorISK_EESF_EEENSM_IJSG_SG_EEES6_PlJS6_EEE10hipError_tPvRmT3_T4_T5_T6_T7_T9_mT8_P12ihipStream_tbDpT10_ENKUlT_T0_E_clISt17integral_constantIbLb1EES1B_EEDaS16_S17_EUlS16_E_NS1_11comp_targetILNS1_3genE9ELNS1_11target_archE1100ELNS1_3gpuE3ELNS1_3repE0EEENS1_30default_config_static_selectorELNS0_4arch9wavefront6targetE1EEEvT1_
                                        ; -- End function
	.section	.AMDGPU.csdata,"",@progbits
; Kernel info:
; codeLenInByte = 0
; NumSgprs: 6
; NumVgprs: 0
; NumAgprs: 0
; TotalNumVgprs: 0
; ScratchSize: 0
; MemoryBound: 0
; FloatMode: 240
; IeeeMode: 1
; LDSByteSize: 0 bytes/workgroup (compile time only)
; SGPRBlocks: 0
; VGPRBlocks: 0
; NumSGPRsForWavesPerEU: 6
; NumVGPRsForWavesPerEU: 1
; AccumOffset: 4
; Occupancy: 8
; WaveLimiterHint : 0
; COMPUTE_PGM_RSRC2:SCRATCH_EN: 0
; COMPUTE_PGM_RSRC2:USER_SGPR: 2
; COMPUTE_PGM_RSRC2:TRAP_HANDLER: 0
; COMPUTE_PGM_RSRC2:TGID_X_EN: 1
; COMPUTE_PGM_RSRC2:TGID_Y_EN: 0
; COMPUTE_PGM_RSRC2:TGID_Z_EN: 0
; COMPUTE_PGM_RSRC2:TIDIG_COMP_CNT: 0
; COMPUTE_PGM_RSRC3_GFX90A:ACCUM_OFFSET: 0
; COMPUTE_PGM_RSRC3_GFX90A:TG_SPLIT: 0
	.section	.text._ZN7rocprim17ROCPRIM_400000_NS6detail17trampoline_kernelINS0_14default_configENS1_25partition_config_selectorILNS1_17partition_subalgoE1EiNS0_10empty_typeEbEEZZNS1_14partition_implILS5_1ELb0ES3_jN6thrust23THRUST_200600_302600_NS6detail15normal_iteratorINSA_10device_ptrIiEEEEPS6_NSA_18transform_iteratorI7is_evenIiESF_NSA_11use_defaultESK_EENS0_5tupleIJNSA_16discard_iteratorISK_EESF_EEENSM_IJSG_SG_EEES6_PlJS6_EEE10hipError_tPvRmT3_T4_T5_T6_T7_T9_mT8_P12ihipStream_tbDpT10_ENKUlT_T0_E_clISt17integral_constantIbLb1EES1B_EEDaS16_S17_EUlS16_E_NS1_11comp_targetILNS1_3genE8ELNS1_11target_archE1030ELNS1_3gpuE2ELNS1_3repE0EEENS1_30default_config_static_selectorELNS0_4arch9wavefront6targetE1EEEvT1_,"axG",@progbits,_ZN7rocprim17ROCPRIM_400000_NS6detail17trampoline_kernelINS0_14default_configENS1_25partition_config_selectorILNS1_17partition_subalgoE1EiNS0_10empty_typeEbEEZZNS1_14partition_implILS5_1ELb0ES3_jN6thrust23THRUST_200600_302600_NS6detail15normal_iteratorINSA_10device_ptrIiEEEEPS6_NSA_18transform_iteratorI7is_evenIiESF_NSA_11use_defaultESK_EENS0_5tupleIJNSA_16discard_iteratorISK_EESF_EEENSM_IJSG_SG_EEES6_PlJS6_EEE10hipError_tPvRmT3_T4_T5_T6_T7_T9_mT8_P12ihipStream_tbDpT10_ENKUlT_T0_E_clISt17integral_constantIbLb1EES1B_EEDaS16_S17_EUlS16_E_NS1_11comp_targetILNS1_3genE8ELNS1_11target_archE1030ELNS1_3gpuE2ELNS1_3repE0EEENS1_30default_config_static_selectorELNS0_4arch9wavefront6targetE1EEEvT1_,comdat
	.protected	_ZN7rocprim17ROCPRIM_400000_NS6detail17trampoline_kernelINS0_14default_configENS1_25partition_config_selectorILNS1_17partition_subalgoE1EiNS0_10empty_typeEbEEZZNS1_14partition_implILS5_1ELb0ES3_jN6thrust23THRUST_200600_302600_NS6detail15normal_iteratorINSA_10device_ptrIiEEEEPS6_NSA_18transform_iteratorI7is_evenIiESF_NSA_11use_defaultESK_EENS0_5tupleIJNSA_16discard_iteratorISK_EESF_EEENSM_IJSG_SG_EEES6_PlJS6_EEE10hipError_tPvRmT3_T4_T5_T6_T7_T9_mT8_P12ihipStream_tbDpT10_ENKUlT_T0_E_clISt17integral_constantIbLb1EES1B_EEDaS16_S17_EUlS16_E_NS1_11comp_targetILNS1_3genE8ELNS1_11target_archE1030ELNS1_3gpuE2ELNS1_3repE0EEENS1_30default_config_static_selectorELNS0_4arch9wavefront6targetE1EEEvT1_ ; -- Begin function _ZN7rocprim17ROCPRIM_400000_NS6detail17trampoline_kernelINS0_14default_configENS1_25partition_config_selectorILNS1_17partition_subalgoE1EiNS0_10empty_typeEbEEZZNS1_14partition_implILS5_1ELb0ES3_jN6thrust23THRUST_200600_302600_NS6detail15normal_iteratorINSA_10device_ptrIiEEEEPS6_NSA_18transform_iteratorI7is_evenIiESF_NSA_11use_defaultESK_EENS0_5tupleIJNSA_16discard_iteratorISK_EESF_EEENSM_IJSG_SG_EEES6_PlJS6_EEE10hipError_tPvRmT3_T4_T5_T6_T7_T9_mT8_P12ihipStream_tbDpT10_ENKUlT_T0_E_clISt17integral_constantIbLb1EES1B_EEDaS16_S17_EUlS16_E_NS1_11comp_targetILNS1_3genE8ELNS1_11target_archE1030ELNS1_3gpuE2ELNS1_3repE0EEENS1_30default_config_static_selectorELNS0_4arch9wavefront6targetE1EEEvT1_
	.globl	_ZN7rocprim17ROCPRIM_400000_NS6detail17trampoline_kernelINS0_14default_configENS1_25partition_config_selectorILNS1_17partition_subalgoE1EiNS0_10empty_typeEbEEZZNS1_14partition_implILS5_1ELb0ES3_jN6thrust23THRUST_200600_302600_NS6detail15normal_iteratorINSA_10device_ptrIiEEEEPS6_NSA_18transform_iteratorI7is_evenIiESF_NSA_11use_defaultESK_EENS0_5tupleIJNSA_16discard_iteratorISK_EESF_EEENSM_IJSG_SG_EEES6_PlJS6_EEE10hipError_tPvRmT3_T4_T5_T6_T7_T9_mT8_P12ihipStream_tbDpT10_ENKUlT_T0_E_clISt17integral_constantIbLb1EES1B_EEDaS16_S17_EUlS16_E_NS1_11comp_targetILNS1_3genE8ELNS1_11target_archE1030ELNS1_3gpuE2ELNS1_3repE0EEENS1_30default_config_static_selectorELNS0_4arch9wavefront6targetE1EEEvT1_
	.p2align	8
	.type	_ZN7rocprim17ROCPRIM_400000_NS6detail17trampoline_kernelINS0_14default_configENS1_25partition_config_selectorILNS1_17partition_subalgoE1EiNS0_10empty_typeEbEEZZNS1_14partition_implILS5_1ELb0ES3_jN6thrust23THRUST_200600_302600_NS6detail15normal_iteratorINSA_10device_ptrIiEEEEPS6_NSA_18transform_iteratorI7is_evenIiESF_NSA_11use_defaultESK_EENS0_5tupleIJNSA_16discard_iteratorISK_EESF_EEENSM_IJSG_SG_EEES6_PlJS6_EEE10hipError_tPvRmT3_T4_T5_T6_T7_T9_mT8_P12ihipStream_tbDpT10_ENKUlT_T0_E_clISt17integral_constantIbLb1EES1B_EEDaS16_S17_EUlS16_E_NS1_11comp_targetILNS1_3genE8ELNS1_11target_archE1030ELNS1_3gpuE2ELNS1_3repE0EEENS1_30default_config_static_selectorELNS0_4arch9wavefront6targetE1EEEvT1_,@function
_ZN7rocprim17ROCPRIM_400000_NS6detail17trampoline_kernelINS0_14default_configENS1_25partition_config_selectorILNS1_17partition_subalgoE1EiNS0_10empty_typeEbEEZZNS1_14partition_implILS5_1ELb0ES3_jN6thrust23THRUST_200600_302600_NS6detail15normal_iteratorINSA_10device_ptrIiEEEEPS6_NSA_18transform_iteratorI7is_evenIiESF_NSA_11use_defaultESK_EENS0_5tupleIJNSA_16discard_iteratorISK_EESF_EEENSM_IJSG_SG_EEES6_PlJS6_EEE10hipError_tPvRmT3_T4_T5_T6_T7_T9_mT8_P12ihipStream_tbDpT10_ENKUlT_T0_E_clISt17integral_constantIbLb1EES1B_EEDaS16_S17_EUlS16_E_NS1_11comp_targetILNS1_3genE8ELNS1_11target_archE1030ELNS1_3gpuE2ELNS1_3repE0EEENS1_30default_config_static_selectorELNS0_4arch9wavefront6targetE1EEEvT1_: ; @_ZN7rocprim17ROCPRIM_400000_NS6detail17trampoline_kernelINS0_14default_configENS1_25partition_config_selectorILNS1_17partition_subalgoE1EiNS0_10empty_typeEbEEZZNS1_14partition_implILS5_1ELb0ES3_jN6thrust23THRUST_200600_302600_NS6detail15normal_iteratorINSA_10device_ptrIiEEEEPS6_NSA_18transform_iteratorI7is_evenIiESF_NSA_11use_defaultESK_EENS0_5tupleIJNSA_16discard_iteratorISK_EESF_EEENSM_IJSG_SG_EEES6_PlJS6_EEE10hipError_tPvRmT3_T4_T5_T6_T7_T9_mT8_P12ihipStream_tbDpT10_ENKUlT_T0_E_clISt17integral_constantIbLb1EES1B_EEDaS16_S17_EUlS16_E_NS1_11comp_targetILNS1_3genE8ELNS1_11target_archE1030ELNS1_3gpuE2ELNS1_3repE0EEENS1_30default_config_static_selectorELNS0_4arch9wavefront6targetE1EEEvT1_
; %bb.0:
	.section	.rodata,"a",@progbits
	.p2align	6, 0x0
	.amdhsa_kernel _ZN7rocprim17ROCPRIM_400000_NS6detail17trampoline_kernelINS0_14default_configENS1_25partition_config_selectorILNS1_17partition_subalgoE1EiNS0_10empty_typeEbEEZZNS1_14partition_implILS5_1ELb0ES3_jN6thrust23THRUST_200600_302600_NS6detail15normal_iteratorINSA_10device_ptrIiEEEEPS6_NSA_18transform_iteratorI7is_evenIiESF_NSA_11use_defaultESK_EENS0_5tupleIJNSA_16discard_iteratorISK_EESF_EEENSM_IJSG_SG_EEES6_PlJS6_EEE10hipError_tPvRmT3_T4_T5_T6_T7_T9_mT8_P12ihipStream_tbDpT10_ENKUlT_T0_E_clISt17integral_constantIbLb1EES1B_EEDaS16_S17_EUlS16_E_NS1_11comp_targetILNS1_3genE8ELNS1_11target_archE1030ELNS1_3gpuE2ELNS1_3repE0EEENS1_30default_config_static_selectorELNS0_4arch9wavefront6targetE1EEEvT1_
		.amdhsa_group_segment_fixed_size 0
		.amdhsa_private_segment_fixed_size 0
		.amdhsa_kernarg_size 152
		.amdhsa_user_sgpr_count 2
		.amdhsa_user_sgpr_dispatch_ptr 0
		.amdhsa_user_sgpr_queue_ptr 0
		.amdhsa_user_sgpr_kernarg_segment_ptr 1
		.amdhsa_user_sgpr_dispatch_id 0
		.amdhsa_user_sgpr_kernarg_preload_length 0
		.amdhsa_user_sgpr_kernarg_preload_offset 0
		.amdhsa_user_sgpr_private_segment_size 0
		.amdhsa_uses_dynamic_stack 0
		.amdhsa_enable_private_segment 0
		.amdhsa_system_sgpr_workgroup_id_x 1
		.amdhsa_system_sgpr_workgroup_id_y 0
		.amdhsa_system_sgpr_workgroup_id_z 0
		.amdhsa_system_sgpr_workgroup_info 0
		.amdhsa_system_vgpr_workitem_id 0
		.amdhsa_next_free_vgpr 1
		.amdhsa_next_free_sgpr 0
		.amdhsa_accum_offset 4
		.amdhsa_reserve_vcc 0
		.amdhsa_float_round_mode_32 0
		.amdhsa_float_round_mode_16_64 0
		.amdhsa_float_denorm_mode_32 3
		.amdhsa_float_denorm_mode_16_64 3
		.amdhsa_dx10_clamp 1
		.amdhsa_ieee_mode 1
		.amdhsa_fp16_overflow 0
		.amdhsa_tg_split 0
		.amdhsa_exception_fp_ieee_invalid_op 0
		.amdhsa_exception_fp_denorm_src 0
		.amdhsa_exception_fp_ieee_div_zero 0
		.amdhsa_exception_fp_ieee_overflow 0
		.amdhsa_exception_fp_ieee_underflow 0
		.amdhsa_exception_fp_ieee_inexact 0
		.amdhsa_exception_int_div_zero 0
	.end_amdhsa_kernel
	.section	.text._ZN7rocprim17ROCPRIM_400000_NS6detail17trampoline_kernelINS0_14default_configENS1_25partition_config_selectorILNS1_17partition_subalgoE1EiNS0_10empty_typeEbEEZZNS1_14partition_implILS5_1ELb0ES3_jN6thrust23THRUST_200600_302600_NS6detail15normal_iteratorINSA_10device_ptrIiEEEEPS6_NSA_18transform_iteratorI7is_evenIiESF_NSA_11use_defaultESK_EENS0_5tupleIJNSA_16discard_iteratorISK_EESF_EEENSM_IJSG_SG_EEES6_PlJS6_EEE10hipError_tPvRmT3_T4_T5_T6_T7_T9_mT8_P12ihipStream_tbDpT10_ENKUlT_T0_E_clISt17integral_constantIbLb1EES1B_EEDaS16_S17_EUlS16_E_NS1_11comp_targetILNS1_3genE8ELNS1_11target_archE1030ELNS1_3gpuE2ELNS1_3repE0EEENS1_30default_config_static_selectorELNS0_4arch9wavefront6targetE1EEEvT1_,"axG",@progbits,_ZN7rocprim17ROCPRIM_400000_NS6detail17trampoline_kernelINS0_14default_configENS1_25partition_config_selectorILNS1_17partition_subalgoE1EiNS0_10empty_typeEbEEZZNS1_14partition_implILS5_1ELb0ES3_jN6thrust23THRUST_200600_302600_NS6detail15normal_iteratorINSA_10device_ptrIiEEEEPS6_NSA_18transform_iteratorI7is_evenIiESF_NSA_11use_defaultESK_EENS0_5tupleIJNSA_16discard_iteratorISK_EESF_EEENSM_IJSG_SG_EEES6_PlJS6_EEE10hipError_tPvRmT3_T4_T5_T6_T7_T9_mT8_P12ihipStream_tbDpT10_ENKUlT_T0_E_clISt17integral_constantIbLb1EES1B_EEDaS16_S17_EUlS16_E_NS1_11comp_targetILNS1_3genE8ELNS1_11target_archE1030ELNS1_3gpuE2ELNS1_3repE0EEENS1_30default_config_static_selectorELNS0_4arch9wavefront6targetE1EEEvT1_,comdat
.Lfunc_end3338:
	.size	_ZN7rocprim17ROCPRIM_400000_NS6detail17trampoline_kernelINS0_14default_configENS1_25partition_config_selectorILNS1_17partition_subalgoE1EiNS0_10empty_typeEbEEZZNS1_14partition_implILS5_1ELb0ES3_jN6thrust23THRUST_200600_302600_NS6detail15normal_iteratorINSA_10device_ptrIiEEEEPS6_NSA_18transform_iteratorI7is_evenIiESF_NSA_11use_defaultESK_EENS0_5tupleIJNSA_16discard_iteratorISK_EESF_EEENSM_IJSG_SG_EEES6_PlJS6_EEE10hipError_tPvRmT3_T4_T5_T6_T7_T9_mT8_P12ihipStream_tbDpT10_ENKUlT_T0_E_clISt17integral_constantIbLb1EES1B_EEDaS16_S17_EUlS16_E_NS1_11comp_targetILNS1_3genE8ELNS1_11target_archE1030ELNS1_3gpuE2ELNS1_3repE0EEENS1_30default_config_static_selectorELNS0_4arch9wavefront6targetE1EEEvT1_, .Lfunc_end3338-_ZN7rocprim17ROCPRIM_400000_NS6detail17trampoline_kernelINS0_14default_configENS1_25partition_config_selectorILNS1_17partition_subalgoE1EiNS0_10empty_typeEbEEZZNS1_14partition_implILS5_1ELb0ES3_jN6thrust23THRUST_200600_302600_NS6detail15normal_iteratorINSA_10device_ptrIiEEEEPS6_NSA_18transform_iteratorI7is_evenIiESF_NSA_11use_defaultESK_EENS0_5tupleIJNSA_16discard_iteratorISK_EESF_EEENSM_IJSG_SG_EEES6_PlJS6_EEE10hipError_tPvRmT3_T4_T5_T6_T7_T9_mT8_P12ihipStream_tbDpT10_ENKUlT_T0_E_clISt17integral_constantIbLb1EES1B_EEDaS16_S17_EUlS16_E_NS1_11comp_targetILNS1_3genE8ELNS1_11target_archE1030ELNS1_3gpuE2ELNS1_3repE0EEENS1_30default_config_static_selectorELNS0_4arch9wavefront6targetE1EEEvT1_
                                        ; -- End function
	.section	.AMDGPU.csdata,"",@progbits
; Kernel info:
; codeLenInByte = 0
; NumSgprs: 6
; NumVgprs: 0
; NumAgprs: 0
; TotalNumVgprs: 0
; ScratchSize: 0
; MemoryBound: 0
; FloatMode: 240
; IeeeMode: 1
; LDSByteSize: 0 bytes/workgroup (compile time only)
; SGPRBlocks: 0
; VGPRBlocks: 0
; NumSGPRsForWavesPerEU: 6
; NumVGPRsForWavesPerEU: 1
; AccumOffset: 4
; Occupancy: 8
; WaveLimiterHint : 0
; COMPUTE_PGM_RSRC2:SCRATCH_EN: 0
; COMPUTE_PGM_RSRC2:USER_SGPR: 2
; COMPUTE_PGM_RSRC2:TRAP_HANDLER: 0
; COMPUTE_PGM_RSRC2:TGID_X_EN: 1
; COMPUTE_PGM_RSRC2:TGID_Y_EN: 0
; COMPUTE_PGM_RSRC2:TGID_Z_EN: 0
; COMPUTE_PGM_RSRC2:TIDIG_COMP_CNT: 0
; COMPUTE_PGM_RSRC3_GFX90A:ACCUM_OFFSET: 0
; COMPUTE_PGM_RSRC3_GFX90A:TG_SPLIT: 0
	.section	.text._ZN7rocprim17ROCPRIM_400000_NS6detail17trampoline_kernelINS0_14default_configENS1_25partition_config_selectorILNS1_17partition_subalgoE1EiNS0_10empty_typeEbEEZZNS1_14partition_implILS5_1ELb0ES3_jN6thrust23THRUST_200600_302600_NS6detail15normal_iteratorINSA_10device_ptrIiEEEEPS6_NSA_18transform_iteratorI7is_evenIiESF_NSA_11use_defaultESK_EENS0_5tupleIJNSA_16discard_iteratorISK_EESF_EEENSM_IJSG_SG_EEES6_PlJS6_EEE10hipError_tPvRmT3_T4_T5_T6_T7_T9_mT8_P12ihipStream_tbDpT10_ENKUlT_T0_E_clISt17integral_constantIbLb1EES1A_IbLb0EEEEDaS16_S17_EUlS16_E_NS1_11comp_targetILNS1_3genE0ELNS1_11target_archE4294967295ELNS1_3gpuE0ELNS1_3repE0EEENS1_30default_config_static_selectorELNS0_4arch9wavefront6targetE1EEEvT1_,"axG",@progbits,_ZN7rocprim17ROCPRIM_400000_NS6detail17trampoline_kernelINS0_14default_configENS1_25partition_config_selectorILNS1_17partition_subalgoE1EiNS0_10empty_typeEbEEZZNS1_14partition_implILS5_1ELb0ES3_jN6thrust23THRUST_200600_302600_NS6detail15normal_iteratorINSA_10device_ptrIiEEEEPS6_NSA_18transform_iteratorI7is_evenIiESF_NSA_11use_defaultESK_EENS0_5tupleIJNSA_16discard_iteratorISK_EESF_EEENSM_IJSG_SG_EEES6_PlJS6_EEE10hipError_tPvRmT3_T4_T5_T6_T7_T9_mT8_P12ihipStream_tbDpT10_ENKUlT_T0_E_clISt17integral_constantIbLb1EES1A_IbLb0EEEEDaS16_S17_EUlS16_E_NS1_11comp_targetILNS1_3genE0ELNS1_11target_archE4294967295ELNS1_3gpuE0ELNS1_3repE0EEENS1_30default_config_static_selectorELNS0_4arch9wavefront6targetE1EEEvT1_,comdat
	.protected	_ZN7rocprim17ROCPRIM_400000_NS6detail17trampoline_kernelINS0_14default_configENS1_25partition_config_selectorILNS1_17partition_subalgoE1EiNS0_10empty_typeEbEEZZNS1_14partition_implILS5_1ELb0ES3_jN6thrust23THRUST_200600_302600_NS6detail15normal_iteratorINSA_10device_ptrIiEEEEPS6_NSA_18transform_iteratorI7is_evenIiESF_NSA_11use_defaultESK_EENS0_5tupleIJNSA_16discard_iteratorISK_EESF_EEENSM_IJSG_SG_EEES6_PlJS6_EEE10hipError_tPvRmT3_T4_T5_T6_T7_T9_mT8_P12ihipStream_tbDpT10_ENKUlT_T0_E_clISt17integral_constantIbLb1EES1A_IbLb0EEEEDaS16_S17_EUlS16_E_NS1_11comp_targetILNS1_3genE0ELNS1_11target_archE4294967295ELNS1_3gpuE0ELNS1_3repE0EEENS1_30default_config_static_selectorELNS0_4arch9wavefront6targetE1EEEvT1_ ; -- Begin function _ZN7rocprim17ROCPRIM_400000_NS6detail17trampoline_kernelINS0_14default_configENS1_25partition_config_selectorILNS1_17partition_subalgoE1EiNS0_10empty_typeEbEEZZNS1_14partition_implILS5_1ELb0ES3_jN6thrust23THRUST_200600_302600_NS6detail15normal_iteratorINSA_10device_ptrIiEEEEPS6_NSA_18transform_iteratorI7is_evenIiESF_NSA_11use_defaultESK_EENS0_5tupleIJNSA_16discard_iteratorISK_EESF_EEENSM_IJSG_SG_EEES6_PlJS6_EEE10hipError_tPvRmT3_T4_T5_T6_T7_T9_mT8_P12ihipStream_tbDpT10_ENKUlT_T0_E_clISt17integral_constantIbLb1EES1A_IbLb0EEEEDaS16_S17_EUlS16_E_NS1_11comp_targetILNS1_3genE0ELNS1_11target_archE4294967295ELNS1_3gpuE0ELNS1_3repE0EEENS1_30default_config_static_selectorELNS0_4arch9wavefront6targetE1EEEvT1_
	.globl	_ZN7rocprim17ROCPRIM_400000_NS6detail17trampoline_kernelINS0_14default_configENS1_25partition_config_selectorILNS1_17partition_subalgoE1EiNS0_10empty_typeEbEEZZNS1_14partition_implILS5_1ELb0ES3_jN6thrust23THRUST_200600_302600_NS6detail15normal_iteratorINSA_10device_ptrIiEEEEPS6_NSA_18transform_iteratorI7is_evenIiESF_NSA_11use_defaultESK_EENS0_5tupleIJNSA_16discard_iteratorISK_EESF_EEENSM_IJSG_SG_EEES6_PlJS6_EEE10hipError_tPvRmT3_T4_T5_T6_T7_T9_mT8_P12ihipStream_tbDpT10_ENKUlT_T0_E_clISt17integral_constantIbLb1EES1A_IbLb0EEEEDaS16_S17_EUlS16_E_NS1_11comp_targetILNS1_3genE0ELNS1_11target_archE4294967295ELNS1_3gpuE0ELNS1_3repE0EEENS1_30default_config_static_selectorELNS0_4arch9wavefront6targetE1EEEvT1_
	.p2align	8
	.type	_ZN7rocprim17ROCPRIM_400000_NS6detail17trampoline_kernelINS0_14default_configENS1_25partition_config_selectorILNS1_17partition_subalgoE1EiNS0_10empty_typeEbEEZZNS1_14partition_implILS5_1ELb0ES3_jN6thrust23THRUST_200600_302600_NS6detail15normal_iteratorINSA_10device_ptrIiEEEEPS6_NSA_18transform_iteratorI7is_evenIiESF_NSA_11use_defaultESK_EENS0_5tupleIJNSA_16discard_iteratorISK_EESF_EEENSM_IJSG_SG_EEES6_PlJS6_EEE10hipError_tPvRmT3_T4_T5_T6_T7_T9_mT8_P12ihipStream_tbDpT10_ENKUlT_T0_E_clISt17integral_constantIbLb1EES1A_IbLb0EEEEDaS16_S17_EUlS16_E_NS1_11comp_targetILNS1_3genE0ELNS1_11target_archE4294967295ELNS1_3gpuE0ELNS1_3repE0EEENS1_30default_config_static_selectorELNS0_4arch9wavefront6targetE1EEEvT1_,@function
_ZN7rocprim17ROCPRIM_400000_NS6detail17trampoline_kernelINS0_14default_configENS1_25partition_config_selectorILNS1_17partition_subalgoE1EiNS0_10empty_typeEbEEZZNS1_14partition_implILS5_1ELb0ES3_jN6thrust23THRUST_200600_302600_NS6detail15normal_iteratorINSA_10device_ptrIiEEEEPS6_NSA_18transform_iteratorI7is_evenIiESF_NSA_11use_defaultESK_EENS0_5tupleIJNSA_16discard_iteratorISK_EESF_EEENSM_IJSG_SG_EEES6_PlJS6_EEE10hipError_tPvRmT3_T4_T5_T6_T7_T9_mT8_P12ihipStream_tbDpT10_ENKUlT_T0_E_clISt17integral_constantIbLb1EES1A_IbLb0EEEEDaS16_S17_EUlS16_E_NS1_11comp_targetILNS1_3genE0ELNS1_11target_archE4294967295ELNS1_3gpuE0ELNS1_3repE0EEENS1_30default_config_static_selectorELNS0_4arch9wavefront6targetE1EEEvT1_: ; @_ZN7rocprim17ROCPRIM_400000_NS6detail17trampoline_kernelINS0_14default_configENS1_25partition_config_selectorILNS1_17partition_subalgoE1EiNS0_10empty_typeEbEEZZNS1_14partition_implILS5_1ELb0ES3_jN6thrust23THRUST_200600_302600_NS6detail15normal_iteratorINSA_10device_ptrIiEEEEPS6_NSA_18transform_iteratorI7is_evenIiESF_NSA_11use_defaultESK_EENS0_5tupleIJNSA_16discard_iteratorISK_EESF_EEENSM_IJSG_SG_EEES6_PlJS6_EEE10hipError_tPvRmT3_T4_T5_T6_T7_T9_mT8_P12ihipStream_tbDpT10_ENKUlT_T0_E_clISt17integral_constantIbLb1EES1A_IbLb0EEEEDaS16_S17_EUlS16_E_NS1_11comp_targetILNS1_3genE0ELNS1_11target_archE4294967295ELNS1_3gpuE0ELNS1_3repE0EEENS1_30default_config_static_selectorELNS0_4arch9wavefront6targetE1EEEvT1_
; %bb.0:
	.section	.rodata,"a",@progbits
	.p2align	6, 0x0
	.amdhsa_kernel _ZN7rocprim17ROCPRIM_400000_NS6detail17trampoline_kernelINS0_14default_configENS1_25partition_config_selectorILNS1_17partition_subalgoE1EiNS0_10empty_typeEbEEZZNS1_14partition_implILS5_1ELb0ES3_jN6thrust23THRUST_200600_302600_NS6detail15normal_iteratorINSA_10device_ptrIiEEEEPS6_NSA_18transform_iteratorI7is_evenIiESF_NSA_11use_defaultESK_EENS0_5tupleIJNSA_16discard_iteratorISK_EESF_EEENSM_IJSG_SG_EEES6_PlJS6_EEE10hipError_tPvRmT3_T4_T5_T6_T7_T9_mT8_P12ihipStream_tbDpT10_ENKUlT_T0_E_clISt17integral_constantIbLb1EES1A_IbLb0EEEEDaS16_S17_EUlS16_E_NS1_11comp_targetILNS1_3genE0ELNS1_11target_archE4294967295ELNS1_3gpuE0ELNS1_3repE0EEENS1_30default_config_static_selectorELNS0_4arch9wavefront6targetE1EEEvT1_
		.amdhsa_group_segment_fixed_size 0
		.amdhsa_private_segment_fixed_size 0
		.amdhsa_kernarg_size 136
		.amdhsa_user_sgpr_count 2
		.amdhsa_user_sgpr_dispatch_ptr 0
		.amdhsa_user_sgpr_queue_ptr 0
		.amdhsa_user_sgpr_kernarg_segment_ptr 1
		.amdhsa_user_sgpr_dispatch_id 0
		.amdhsa_user_sgpr_kernarg_preload_length 0
		.amdhsa_user_sgpr_kernarg_preload_offset 0
		.amdhsa_user_sgpr_private_segment_size 0
		.amdhsa_uses_dynamic_stack 0
		.amdhsa_enable_private_segment 0
		.amdhsa_system_sgpr_workgroup_id_x 1
		.amdhsa_system_sgpr_workgroup_id_y 0
		.amdhsa_system_sgpr_workgroup_id_z 0
		.amdhsa_system_sgpr_workgroup_info 0
		.amdhsa_system_vgpr_workitem_id 0
		.amdhsa_next_free_vgpr 1
		.amdhsa_next_free_sgpr 0
		.amdhsa_accum_offset 4
		.amdhsa_reserve_vcc 0
		.amdhsa_float_round_mode_32 0
		.amdhsa_float_round_mode_16_64 0
		.amdhsa_float_denorm_mode_32 3
		.amdhsa_float_denorm_mode_16_64 3
		.amdhsa_dx10_clamp 1
		.amdhsa_ieee_mode 1
		.amdhsa_fp16_overflow 0
		.amdhsa_tg_split 0
		.amdhsa_exception_fp_ieee_invalid_op 0
		.amdhsa_exception_fp_denorm_src 0
		.amdhsa_exception_fp_ieee_div_zero 0
		.amdhsa_exception_fp_ieee_overflow 0
		.amdhsa_exception_fp_ieee_underflow 0
		.amdhsa_exception_fp_ieee_inexact 0
		.amdhsa_exception_int_div_zero 0
	.end_amdhsa_kernel
	.section	.text._ZN7rocprim17ROCPRIM_400000_NS6detail17trampoline_kernelINS0_14default_configENS1_25partition_config_selectorILNS1_17partition_subalgoE1EiNS0_10empty_typeEbEEZZNS1_14partition_implILS5_1ELb0ES3_jN6thrust23THRUST_200600_302600_NS6detail15normal_iteratorINSA_10device_ptrIiEEEEPS6_NSA_18transform_iteratorI7is_evenIiESF_NSA_11use_defaultESK_EENS0_5tupleIJNSA_16discard_iteratorISK_EESF_EEENSM_IJSG_SG_EEES6_PlJS6_EEE10hipError_tPvRmT3_T4_T5_T6_T7_T9_mT8_P12ihipStream_tbDpT10_ENKUlT_T0_E_clISt17integral_constantIbLb1EES1A_IbLb0EEEEDaS16_S17_EUlS16_E_NS1_11comp_targetILNS1_3genE0ELNS1_11target_archE4294967295ELNS1_3gpuE0ELNS1_3repE0EEENS1_30default_config_static_selectorELNS0_4arch9wavefront6targetE1EEEvT1_,"axG",@progbits,_ZN7rocprim17ROCPRIM_400000_NS6detail17trampoline_kernelINS0_14default_configENS1_25partition_config_selectorILNS1_17partition_subalgoE1EiNS0_10empty_typeEbEEZZNS1_14partition_implILS5_1ELb0ES3_jN6thrust23THRUST_200600_302600_NS6detail15normal_iteratorINSA_10device_ptrIiEEEEPS6_NSA_18transform_iteratorI7is_evenIiESF_NSA_11use_defaultESK_EENS0_5tupleIJNSA_16discard_iteratorISK_EESF_EEENSM_IJSG_SG_EEES6_PlJS6_EEE10hipError_tPvRmT3_T4_T5_T6_T7_T9_mT8_P12ihipStream_tbDpT10_ENKUlT_T0_E_clISt17integral_constantIbLb1EES1A_IbLb0EEEEDaS16_S17_EUlS16_E_NS1_11comp_targetILNS1_3genE0ELNS1_11target_archE4294967295ELNS1_3gpuE0ELNS1_3repE0EEENS1_30default_config_static_selectorELNS0_4arch9wavefront6targetE1EEEvT1_,comdat
.Lfunc_end3339:
	.size	_ZN7rocprim17ROCPRIM_400000_NS6detail17trampoline_kernelINS0_14default_configENS1_25partition_config_selectorILNS1_17partition_subalgoE1EiNS0_10empty_typeEbEEZZNS1_14partition_implILS5_1ELb0ES3_jN6thrust23THRUST_200600_302600_NS6detail15normal_iteratorINSA_10device_ptrIiEEEEPS6_NSA_18transform_iteratorI7is_evenIiESF_NSA_11use_defaultESK_EENS0_5tupleIJNSA_16discard_iteratorISK_EESF_EEENSM_IJSG_SG_EEES6_PlJS6_EEE10hipError_tPvRmT3_T4_T5_T6_T7_T9_mT8_P12ihipStream_tbDpT10_ENKUlT_T0_E_clISt17integral_constantIbLb1EES1A_IbLb0EEEEDaS16_S17_EUlS16_E_NS1_11comp_targetILNS1_3genE0ELNS1_11target_archE4294967295ELNS1_3gpuE0ELNS1_3repE0EEENS1_30default_config_static_selectorELNS0_4arch9wavefront6targetE1EEEvT1_, .Lfunc_end3339-_ZN7rocprim17ROCPRIM_400000_NS6detail17trampoline_kernelINS0_14default_configENS1_25partition_config_selectorILNS1_17partition_subalgoE1EiNS0_10empty_typeEbEEZZNS1_14partition_implILS5_1ELb0ES3_jN6thrust23THRUST_200600_302600_NS6detail15normal_iteratorINSA_10device_ptrIiEEEEPS6_NSA_18transform_iteratorI7is_evenIiESF_NSA_11use_defaultESK_EENS0_5tupleIJNSA_16discard_iteratorISK_EESF_EEENSM_IJSG_SG_EEES6_PlJS6_EEE10hipError_tPvRmT3_T4_T5_T6_T7_T9_mT8_P12ihipStream_tbDpT10_ENKUlT_T0_E_clISt17integral_constantIbLb1EES1A_IbLb0EEEEDaS16_S17_EUlS16_E_NS1_11comp_targetILNS1_3genE0ELNS1_11target_archE4294967295ELNS1_3gpuE0ELNS1_3repE0EEENS1_30default_config_static_selectorELNS0_4arch9wavefront6targetE1EEEvT1_
                                        ; -- End function
	.section	.AMDGPU.csdata,"",@progbits
; Kernel info:
; codeLenInByte = 0
; NumSgprs: 6
; NumVgprs: 0
; NumAgprs: 0
; TotalNumVgprs: 0
; ScratchSize: 0
; MemoryBound: 0
; FloatMode: 240
; IeeeMode: 1
; LDSByteSize: 0 bytes/workgroup (compile time only)
; SGPRBlocks: 0
; VGPRBlocks: 0
; NumSGPRsForWavesPerEU: 6
; NumVGPRsForWavesPerEU: 1
; AccumOffset: 4
; Occupancy: 8
; WaveLimiterHint : 0
; COMPUTE_PGM_RSRC2:SCRATCH_EN: 0
; COMPUTE_PGM_RSRC2:USER_SGPR: 2
; COMPUTE_PGM_RSRC2:TRAP_HANDLER: 0
; COMPUTE_PGM_RSRC2:TGID_X_EN: 1
; COMPUTE_PGM_RSRC2:TGID_Y_EN: 0
; COMPUTE_PGM_RSRC2:TGID_Z_EN: 0
; COMPUTE_PGM_RSRC2:TIDIG_COMP_CNT: 0
; COMPUTE_PGM_RSRC3_GFX90A:ACCUM_OFFSET: 0
; COMPUTE_PGM_RSRC3_GFX90A:TG_SPLIT: 0
	.section	.text._ZN7rocprim17ROCPRIM_400000_NS6detail17trampoline_kernelINS0_14default_configENS1_25partition_config_selectorILNS1_17partition_subalgoE1EiNS0_10empty_typeEbEEZZNS1_14partition_implILS5_1ELb0ES3_jN6thrust23THRUST_200600_302600_NS6detail15normal_iteratorINSA_10device_ptrIiEEEEPS6_NSA_18transform_iteratorI7is_evenIiESF_NSA_11use_defaultESK_EENS0_5tupleIJNSA_16discard_iteratorISK_EESF_EEENSM_IJSG_SG_EEES6_PlJS6_EEE10hipError_tPvRmT3_T4_T5_T6_T7_T9_mT8_P12ihipStream_tbDpT10_ENKUlT_T0_E_clISt17integral_constantIbLb1EES1A_IbLb0EEEEDaS16_S17_EUlS16_E_NS1_11comp_targetILNS1_3genE5ELNS1_11target_archE942ELNS1_3gpuE9ELNS1_3repE0EEENS1_30default_config_static_selectorELNS0_4arch9wavefront6targetE1EEEvT1_,"axG",@progbits,_ZN7rocprim17ROCPRIM_400000_NS6detail17trampoline_kernelINS0_14default_configENS1_25partition_config_selectorILNS1_17partition_subalgoE1EiNS0_10empty_typeEbEEZZNS1_14partition_implILS5_1ELb0ES3_jN6thrust23THRUST_200600_302600_NS6detail15normal_iteratorINSA_10device_ptrIiEEEEPS6_NSA_18transform_iteratorI7is_evenIiESF_NSA_11use_defaultESK_EENS0_5tupleIJNSA_16discard_iteratorISK_EESF_EEENSM_IJSG_SG_EEES6_PlJS6_EEE10hipError_tPvRmT3_T4_T5_T6_T7_T9_mT8_P12ihipStream_tbDpT10_ENKUlT_T0_E_clISt17integral_constantIbLb1EES1A_IbLb0EEEEDaS16_S17_EUlS16_E_NS1_11comp_targetILNS1_3genE5ELNS1_11target_archE942ELNS1_3gpuE9ELNS1_3repE0EEENS1_30default_config_static_selectorELNS0_4arch9wavefront6targetE1EEEvT1_,comdat
	.protected	_ZN7rocprim17ROCPRIM_400000_NS6detail17trampoline_kernelINS0_14default_configENS1_25partition_config_selectorILNS1_17partition_subalgoE1EiNS0_10empty_typeEbEEZZNS1_14partition_implILS5_1ELb0ES3_jN6thrust23THRUST_200600_302600_NS6detail15normal_iteratorINSA_10device_ptrIiEEEEPS6_NSA_18transform_iteratorI7is_evenIiESF_NSA_11use_defaultESK_EENS0_5tupleIJNSA_16discard_iteratorISK_EESF_EEENSM_IJSG_SG_EEES6_PlJS6_EEE10hipError_tPvRmT3_T4_T5_T6_T7_T9_mT8_P12ihipStream_tbDpT10_ENKUlT_T0_E_clISt17integral_constantIbLb1EES1A_IbLb0EEEEDaS16_S17_EUlS16_E_NS1_11comp_targetILNS1_3genE5ELNS1_11target_archE942ELNS1_3gpuE9ELNS1_3repE0EEENS1_30default_config_static_selectorELNS0_4arch9wavefront6targetE1EEEvT1_ ; -- Begin function _ZN7rocprim17ROCPRIM_400000_NS6detail17trampoline_kernelINS0_14default_configENS1_25partition_config_selectorILNS1_17partition_subalgoE1EiNS0_10empty_typeEbEEZZNS1_14partition_implILS5_1ELb0ES3_jN6thrust23THRUST_200600_302600_NS6detail15normal_iteratorINSA_10device_ptrIiEEEEPS6_NSA_18transform_iteratorI7is_evenIiESF_NSA_11use_defaultESK_EENS0_5tupleIJNSA_16discard_iteratorISK_EESF_EEENSM_IJSG_SG_EEES6_PlJS6_EEE10hipError_tPvRmT3_T4_T5_T6_T7_T9_mT8_P12ihipStream_tbDpT10_ENKUlT_T0_E_clISt17integral_constantIbLb1EES1A_IbLb0EEEEDaS16_S17_EUlS16_E_NS1_11comp_targetILNS1_3genE5ELNS1_11target_archE942ELNS1_3gpuE9ELNS1_3repE0EEENS1_30default_config_static_selectorELNS0_4arch9wavefront6targetE1EEEvT1_
	.globl	_ZN7rocprim17ROCPRIM_400000_NS6detail17trampoline_kernelINS0_14default_configENS1_25partition_config_selectorILNS1_17partition_subalgoE1EiNS0_10empty_typeEbEEZZNS1_14partition_implILS5_1ELb0ES3_jN6thrust23THRUST_200600_302600_NS6detail15normal_iteratorINSA_10device_ptrIiEEEEPS6_NSA_18transform_iteratorI7is_evenIiESF_NSA_11use_defaultESK_EENS0_5tupleIJNSA_16discard_iteratorISK_EESF_EEENSM_IJSG_SG_EEES6_PlJS6_EEE10hipError_tPvRmT3_T4_T5_T6_T7_T9_mT8_P12ihipStream_tbDpT10_ENKUlT_T0_E_clISt17integral_constantIbLb1EES1A_IbLb0EEEEDaS16_S17_EUlS16_E_NS1_11comp_targetILNS1_3genE5ELNS1_11target_archE942ELNS1_3gpuE9ELNS1_3repE0EEENS1_30default_config_static_selectorELNS0_4arch9wavefront6targetE1EEEvT1_
	.p2align	8
	.type	_ZN7rocprim17ROCPRIM_400000_NS6detail17trampoline_kernelINS0_14default_configENS1_25partition_config_selectorILNS1_17partition_subalgoE1EiNS0_10empty_typeEbEEZZNS1_14partition_implILS5_1ELb0ES3_jN6thrust23THRUST_200600_302600_NS6detail15normal_iteratorINSA_10device_ptrIiEEEEPS6_NSA_18transform_iteratorI7is_evenIiESF_NSA_11use_defaultESK_EENS0_5tupleIJNSA_16discard_iteratorISK_EESF_EEENSM_IJSG_SG_EEES6_PlJS6_EEE10hipError_tPvRmT3_T4_T5_T6_T7_T9_mT8_P12ihipStream_tbDpT10_ENKUlT_T0_E_clISt17integral_constantIbLb1EES1A_IbLb0EEEEDaS16_S17_EUlS16_E_NS1_11comp_targetILNS1_3genE5ELNS1_11target_archE942ELNS1_3gpuE9ELNS1_3repE0EEENS1_30default_config_static_selectorELNS0_4arch9wavefront6targetE1EEEvT1_,@function
_ZN7rocprim17ROCPRIM_400000_NS6detail17trampoline_kernelINS0_14default_configENS1_25partition_config_selectorILNS1_17partition_subalgoE1EiNS0_10empty_typeEbEEZZNS1_14partition_implILS5_1ELb0ES3_jN6thrust23THRUST_200600_302600_NS6detail15normal_iteratorINSA_10device_ptrIiEEEEPS6_NSA_18transform_iteratorI7is_evenIiESF_NSA_11use_defaultESK_EENS0_5tupleIJNSA_16discard_iteratorISK_EESF_EEENSM_IJSG_SG_EEES6_PlJS6_EEE10hipError_tPvRmT3_T4_T5_T6_T7_T9_mT8_P12ihipStream_tbDpT10_ENKUlT_T0_E_clISt17integral_constantIbLb1EES1A_IbLb0EEEEDaS16_S17_EUlS16_E_NS1_11comp_targetILNS1_3genE5ELNS1_11target_archE942ELNS1_3gpuE9ELNS1_3repE0EEENS1_30default_config_static_selectorELNS0_4arch9wavefront6targetE1EEEvT1_: ; @_ZN7rocprim17ROCPRIM_400000_NS6detail17trampoline_kernelINS0_14default_configENS1_25partition_config_selectorILNS1_17partition_subalgoE1EiNS0_10empty_typeEbEEZZNS1_14partition_implILS5_1ELb0ES3_jN6thrust23THRUST_200600_302600_NS6detail15normal_iteratorINSA_10device_ptrIiEEEEPS6_NSA_18transform_iteratorI7is_evenIiESF_NSA_11use_defaultESK_EENS0_5tupleIJNSA_16discard_iteratorISK_EESF_EEENSM_IJSG_SG_EEES6_PlJS6_EEE10hipError_tPvRmT3_T4_T5_T6_T7_T9_mT8_P12ihipStream_tbDpT10_ENKUlT_T0_E_clISt17integral_constantIbLb1EES1A_IbLb0EEEEDaS16_S17_EUlS16_E_NS1_11comp_targetILNS1_3genE5ELNS1_11target_archE942ELNS1_3gpuE9ELNS1_3repE0EEENS1_30default_config_static_selectorELNS0_4arch9wavefront6targetE1EEEvT1_
; %bb.0:
	s_load_dwordx2 s[4:5], s[0:1], 0x68
	s_load_dwordx4 s[24:27], s[0:1], 0x8
	s_load_dwordx2 s[6:7], s[0:1], 0x20
	s_load_dwordx4 s[20:23], s[0:1], 0x58
	s_load_dword s3, s[0:1], 0x80
	s_waitcnt lgkmcnt(0)
	v_mov_b32_e32 v3, s5
	s_lshl_b64 s[8:9], s[26:27], 2
	s_add_u32 s12, s24, s8
	s_addc_u32 s13, s25, s9
	s_add_i32 s14, s3, -1
	s_mulk_i32 s3, 0x1e00
	s_add_i32 s5, s3, s26
	s_sub_i32 s33, s4, s5
	s_addk_i32 s33, 0x1e00
	v_mov_b32_e32 v2, s4
	s_add_u32 s4, s26, s3
	s_addc_u32 s5, s27, 0
	s_cmp_eq_u32 s2, s14
	s_load_dwordx2 s[24:25], s[22:23], 0x0
	s_cselect_b64 s[22:23], -1, 0
	s_cmp_lg_u32 s2, s14
	s_mul_i32 s10, s2, 0x1e00
	s_mov_b32 s11, 0
	v_cmp_lt_u64_e32 vcc, s[4:5], v[2:3]
	s_cselect_b64 s[4:5], -1, 0
	s_or_b64 s[28:29], s[4:5], vcc
	s_lshl_b64 s[30:31], s[10:11], 2
	s_add_u32 s10, s12, s30
	s_addc_u32 s11, s13, s31
	s_mov_b64 s[4:5], -1
	s_and_b64 vcc, exec, s[28:29]
	v_lshlrev_b32_e32 v22, 2, v0
	s_cbranch_vccz .LBB3340_2
; %bb.1:
	v_mov_b32_e32 v23, 0
	v_lshl_add_u64 v[2:3], s[10:11], 0, v[22:23]
	v_add_co_u32_e32 v4, vcc, 0x1000, v2
	s_mov_b64 s[4:5], 0
	s_nop 0
	v_addc_co_u32_e32 v5, vcc, 0, v3, vcc
	v_add_co_u32_e32 v6, vcc, 0x2000, v2
	s_nop 1
	v_addc_co_u32_e32 v7, vcc, 0, v3, vcc
	v_add_co_u32_e32 v8, vcc, 0x3000, v2
	s_nop 1
	v_addc_co_u32_e32 v9, vcc, 0, v3, vcc
	flat_load_dword v1, v[2:3]
	flat_load_dword v10, v[2:3] offset:2048
	flat_load_dword v11, v[4:5]
	flat_load_dword v12, v[4:5] offset:2048
	;; [unrolled: 2-line block ×4, first 2 shown]
	v_add_co_u32_e32 v4, vcc, 0x4000, v2
	s_nop 1
	v_addc_co_u32_e32 v5, vcc, 0, v3, vcc
	v_add_co_u32_e32 v6, vcc, 0x5000, v2
	s_nop 1
	v_addc_co_u32_e32 v7, vcc, 0, v3, vcc
	;; [unrolled: 3-line block ×4, first 2 shown]
	flat_load_dword v17, v[4:5]
	flat_load_dword v18, v[4:5] offset:2048
	flat_load_dword v19, v[6:7]
	flat_load_dword v20, v[6:7] offset:2048
	flat_load_dword v21, v[8:9]
	flat_load_dword v23, v[8:9] offset:2048
	flat_load_dword v24, v[2:3]
	s_waitcnt vmcnt(0) lgkmcnt(0)
	ds_write2st64_b32 v22, v1, v10 offset1:8
	ds_write2st64_b32 v22, v11, v12 offset0:16 offset1:24
	ds_write2st64_b32 v22, v13, v14 offset0:32 offset1:40
	;; [unrolled: 1-line block ×6, first 2 shown]
	ds_write_b32 v22, v24 offset:28672
	s_waitcnt lgkmcnt(0)
	s_barrier
.LBB3340_2:
	s_andn2_b64 vcc, exec, s[4:5]
	v_cmp_gt_u32_e64 s[4:5], s33, v0
	s_cbranch_vccnz .LBB3340_34
; %bb.3:
                                        ; implicit-def: $vgpr2_vgpr3_vgpr4_vgpr5_vgpr6_vgpr7_vgpr8_vgpr9_vgpr10_vgpr11_vgpr12_vgpr13_vgpr14_vgpr15_vgpr16_vgpr17
	s_and_saveexec_b64 s[12:13], s[4:5]
	s_cbranch_execz .LBB3340_5
; %bb.4:
	v_mov_b32_e32 v23, 0
	v_lshl_add_u64 v[2:3], s[10:11], 0, v[22:23]
	flat_load_dword v2, v[2:3]
.LBB3340_5:
	s_or_b64 exec, exec, s[12:13]
	v_or_b32_e32 v1, 0x200, v0
	v_cmp_gt_u32_e32 vcc, s33, v1
	s_and_saveexec_b64 s[4:5], vcc
	s_cbranch_execz .LBB3340_7
; %bb.6:
	v_mov_b32_e32 v23, 0
	v_lshl_add_u64 v[18:19], s[10:11], 0, v[22:23]
	flat_load_dword v3, v[18:19] offset:2048
.LBB3340_7:
	s_or_b64 exec, exec, s[4:5]
	v_or_b32_e32 v1, 0x400, v0
	v_cmp_gt_u32_e32 vcc, s33, v1
	s_and_saveexec_b64 s[4:5], vcc
	s_cbranch_execz .LBB3340_9
; %bb.8:
	v_lshlrev_b32_e32 v18, 2, v1
	v_mov_b32_e32 v19, 0
	v_lshl_add_u64 v[18:19], s[10:11], 0, v[18:19]
	flat_load_dword v4, v[18:19]
.LBB3340_9:
	s_or_b64 exec, exec, s[4:5]
	v_or_b32_e32 v1, 0x600, v0
	v_cmp_gt_u32_e32 vcc, s33, v1
	s_and_saveexec_b64 s[4:5], vcc
	s_cbranch_execz .LBB3340_11
; %bb.10:
	v_lshlrev_b32_e32 v18, 2, v1
	v_mov_b32_e32 v19, 0
	v_lshl_add_u64 v[18:19], s[10:11], 0, v[18:19]
	flat_load_dword v5, v[18:19]
.LBB3340_11:
	;; [unrolled: 11-line block ×13, first 2 shown]
	s_or_b64 exec, exec, s[4:5]
	s_waitcnt vmcnt(0) lgkmcnt(0)
	ds_write2st64_b32 v22, v2, v3 offset1:8
	ds_write2st64_b32 v22, v4, v5 offset0:16 offset1:24
	ds_write2st64_b32 v22, v6, v7 offset0:32 offset1:40
	ds_write2st64_b32 v22, v8, v9 offset0:48 offset1:56
	ds_write2st64_b32 v22, v10, v11 offset0:64 offset1:72
	ds_write2st64_b32 v22, v12, v13 offset0:80 offset1:88
	ds_write2st64_b32 v22, v14, v15 offset0:96 offset1:104
	ds_write_b32 v22, v16 offset:28672
	s_waitcnt lgkmcnt(0)
	s_barrier
.LBB3340_34:
	v_mul_u32_u24_e32 v21, 15, v0
	v_lshlrev_b32_e32 v1, 2, v21
	s_waitcnt lgkmcnt(0)
	ds_read2_b32 v[36:37], v1 offset1:1
	ds_read2_b32 v[34:35], v1 offset0:2 offset1:3
	ds_read2_b32 v[32:33], v1 offset0:4 offset1:5
	;; [unrolled: 1-line block ×6, first 2 shown]
	ds_read_b32 v1, v1 offset:56
	s_add_u32 s3, s6, s8
	s_addc_u32 s5, s7, s9
	s_add_u32 s4, s3, s30
	s_addc_u32 s5, s5, s31
	s_mov_b64 s[6:7], -1
	s_and_b64 vcc, exec, s[28:29]
	s_waitcnt lgkmcnt(0)
	s_barrier
	s_cbranch_vccz .LBB3340_36
; %bb.35:
	v_mov_b32_e32 v23, 0
	v_lshl_add_u64 v[2:3], s[4:5], 0, v[22:23]
	v_add_co_u32_e32 v4, vcc, 0x1000, v2
	global_load_dword v10, v22, s[4:5]
	global_load_dword v11, v22, s[4:5] offset:2048
	v_addc_co_u32_e32 v5, vcc, 0, v3, vcc
	v_add_co_u32_e32 v6, vcc, 0x2000, v2
	s_mov_b64 s[6:7], 0
	s_nop 0
	v_addc_co_u32_e32 v7, vcc, 0, v3, vcc
	v_add_co_u32_e32 v8, vcc, 0x3000, v2
	s_nop 1
	v_addc_co_u32_e32 v9, vcc, 0, v3, vcc
	global_load_dword v12, v[4:5], off
	global_load_dword v13, v[4:5], off offset:2048
	global_load_dword v14, v[6:7], off
	global_load_dword v15, v[6:7], off offset:2048
	;; [unrolled: 2-line block ×3, first 2 shown]
	v_add_co_u32_e32 v4, vcc, 0x4000, v2
	s_nop 1
	v_addc_co_u32_e32 v5, vcc, 0, v3, vcc
	global_load_dword v6, v[4:5], off
	global_load_dword v7, v[4:5], off offset:2048
	v_add_co_u32_e32 v4, vcc, 0x5000, v2
	s_waitcnt vmcnt(1)
	v_xor_b32_e32 v6, -1, v6
	v_addc_co_u32_e32 v5, vcc, 0, v3, vcc
	global_load_dword v8, v[4:5], off
	global_load_dword v9, v[4:5], off offset:2048
	v_add_co_u32_e32 v4, vcc, 0x6000, v2
	s_waitcnt vmcnt(2)
	v_xor_b32_e32 v7, -1, v7
	v_addc_co_u32_e32 v5, vcc, 0, v3, vcc
	v_add_co_u32_e32 v2, vcc, 0x7000, v2
	global_load_dword v18, v[4:5], off
	global_load_dword v19, v[4:5], off offset:2048
	v_addc_co_u32_e32 v3, vcc, 0, v3, vcc
	global_load_dword v2, v[2:3], off
	v_xor_b32_e32 v3, -1, v10
	v_xor_b32_e32 v4, -1, v11
	v_and_b32_e32 v3, 1, v3
	v_and_b32_e32 v4, 1, v4
	ds_write_b8 v0, v3
	ds_write_b8 v0, v4 offset:512
	v_xor_b32_e32 v3, -1, v12
	v_xor_b32_e32 v4, -1, v13
	;; [unrolled: 1-line block ×3, first 2 shown]
	v_and_b32_e32 v3, 1, v3
	v_and_b32_e32 v4, 1, v4
	v_xor_b32_e32 v10, -1, v15
	v_and_b32_e32 v5, 1, v5
	v_xor_b32_e32 v11, -1, v16
	v_xor_b32_e32 v12, -1, v17
	v_and_b32_e32 v10, 1, v10
	ds_write_b8 v0, v3 offset:1024
	ds_write_b8 v0, v4 offset:1536
	v_and_b32_e32 v3, 1, v11
	v_and_b32_e32 v4, 1, v12
	ds_write_b8 v0, v5 offset:2048
	ds_write_b8 v0, v10 offset:2560
	v_and_b32_e32 v5, 1, v6
	v_and_b32_e32 v6, 1, v7
	ds_write_b8 v0, v3 offset:3072
	ds_write_b8 v0, v4 offset:3584
	;; [unrolled: 1-line block ×4, first 2 shown]
	s_waitcnt vmcnt(4)
	v_xor_b32_e32 v7, -1, v8
	s_waitcnt vmcnt(3)
	v_xor_b32_e32 v8, -1, v9
	v_and_b32_e32 v3, 1, v7
	v_and_b32_e32 v4, 1, v8
	s_waitcnt vmcnt(2)
	v_xor_b32_e32 v7, -1, v18
	s_waitcnt vmcnt(1)
	v_xor_b32_e32 v8, -1, v19
	v_and_b32_e32 v5, 1, v7
	v_and_b32_e32 v6, 1, v8
	s_waitcnt vmcnt(0)
	v_xor_b32_e32 v2, -1, v2
	v_and_b32_e32 v2, 1, v2
	ds_write_b8 v0, v3 offset:5120
	ds_write_b8 v0, v4 offset:5632
	;; [unrolled: 1-line block ×5, first 2 shown]
	s_waitcnt lgkmcnt(0)
	s_barrier
.LBB3340_36:
	s_load_dwordx2 s[34:35], s[0:1], 0x78
	s_andn2_b64 vcc, exec, s[6:7]
	s_cbranch_vccnz .LBB3340_68
; %bb.37:
	v_cmp_gt_u32_e32 vcc, s33, v0
	v_mov_b32_e32 v2, 0
	v_mov_b32_e32 v3, 0
	s_and_saveexec_b64 s[6:7], vcc
	s_cbranch_execz .LBB3340_39
; %bb.38:
	global_load_dword v3, v22, s[4:5]
	s_waitcnt vmcnt(0)
	v_xor_b32_e32 v3, -1, v3
	v_and_b32_e32 v3, 1, v3
.LBB3340_39:
	s_or_b64 exec, exec, s[6:7]
	v_or_b32_e32 v4, 0x200, v0
	v_cmp_gt_u32_e32 vcc, s33, v4
	s_and_saveexec_b64 s[6:7], vcc
	s_cbranch_execz .LBB3340_41
; %bb.40:
	global_load_dword v2, v22, s[4:5] offset:2048
	s_waitcnt vmcnt(0)
	v_xor_b32_e32 v2, -1, v2
	v_and_b32_e32 v2, 1, v2
.LBB3340_41:
	s_or_b64 exec, exec, s[6:7]
	v_or_b32_e32 v6, 0x400, v0
	v_cmp_gt_u32_e32 vcc, s33, v6
	v_mov_b32_e32 v4, 0
	v_mov_b32_e32 v5, 0
	s_and_saveexec_b64 s[6:7], vcc
	s_cbranch_execz .LBB3340_43
; %bb.42:
	v_lshlrev_b32_e32 v5, 2, v6
	global_load_dword v5, v5, s[4:5]
	s_waitcnt vmcnt(0)
	v_xor_b32_e32 v5, -1, v5
	v_and_b32_e32 v5, 1, v5
.LBB3340_43:
	s_or_b64 exec, exec, s[6:7]
	v_or_b32_e32 v6, 0x600, v0
	v_cmp_gt_u32_e32 vcc, s33, v6
	s_and_saveexec_b64 s[6:7], vcc
	s_cbranch_execz .LBB3340_45
; %bb.44:
	v_lshlrev_b32_e32 v4, 2, v6
	global_load_dword v4, v4, s[4:5]
	s_waitcnt vmcnt(0)
	v_xor_b32_e32 v4, -1, v4
	v_and_b32_e32 v4, 1, v4
.LBB3340_45:
	s_or_b64 exec, exec, s[6:7]
	v_or_b32_e32 v8, 0x800, v0
	v_cmp_gt_u32_e32 vcc, s33, v8
	v_mov_b32_e32 v6, 0
	v_mov_b32_e32 v7, 0
	s_and_saveexec_b64 s[6:7], vcc
	s_cbranch_execz .LBB3340_47
; %bb.46:
	v_lshlrev_b32_e32 v7, 2, v8
	global_load_dword v7, v7, s[4:5]
	s_waitcnt vmcnt(0)
	v_xor_b32_e32 v7, -1, v7
	v_and_b32_e32 v7, 1, v7
.LBB3340_47:
	s_or_b64 exec, exec, s[6:7]
	v_or_b32_e32 v8, 0xa00, v0
	v_cmp_gt_u32_e32 vcc, s33, v8
	s_and_saveexec_b64 s[6:7], vcc
	s_cbranch_execz .LBB3340_49
; %bb.48:
	v_lshlrev_b32_e32 v6, 2, v8
	global_load_dword v6, v6, s[4:5]
	s_waitcnt vmcnt(0)
	v_xor_b32_e32 v6, -1, v6
	v_and_b32_e32 v6, 1, v6
.LBB3340_49:
	;; [unrolled: 26-line block ×6, first 2 shown]
	s_or_b64 exec, exec, s[6:7]
	v_or_b32_e32 v17, 0x1c00, v0
	v_cmp_gt_u32_e32 vcc, s33, v17
	v_mov_b32_e32 v16, 0
	s_and_saveexec_b64 s[6:7], vcc
	s_cbranch_execz .LBB3340_67
; %bb.66:
	v_lshlrev_b32_e32 v16, 2, v17
	global_load_dword v16, v16, s[4:5]
	s_waitcnt vmcnt(0)
	v_xor_b32_e32 v16, -1, v16
	v_and_b32_e32 v16, 1, v16
.LBB3340_67:
	s_or_b64 exec, exec, s[6:7]
	ds_write_b8 v0, v3
	ds_write_b8 v0, v2 offset:512
	ds_write_b8 v0, v5 offset:1024
	;; [unrolled: 1-line block ×14, first 2 shown]
	s_waitcnt lgkmcnt(0)
	s_barrier
.LBB3340_68:
	s_waitcnt lgkmcnt(0)
	ds_read_b96 v[18:20], v21
	ds_read_u8 v2, v21 offset:12
	ds_read_u8 v3, v21 offset:13
	;; [unrolled: 1-line block ×3, first 2 shown]
	s_cmp_lg_u32 s2, 0
	v_lshrrev_b32_e32 v56, 6, v0
	s_waitcnt lgkmcnt(2)
	v_and_b32_e32 v43, 1, v2
	v_and_b32_e32 v52, 0xff, v18
	v_bfe_u32 v53, v18, 8, 8
	v_bfe_u32 v54, v18, 16, 8
	v_lshrrev_b32_e32 v45, 24, v18
	v_and_b32_e32 v49, 0xff, v19
	v_add3_u32 v2, v53, v52, v54
	v_bfe_u32 v50, v19, 8, 8
	v_bfe_u32 v51, v19, 16, 8
	v_add3_u32 v2, v2, v45, v49
	v_lshrrev_b32_e32 v44, 24, v19
	v_and_b32_e32 v46, 0xff, v20
	v_add3_u32 v2, v2, v50, v51
	v_bfe_u32 v47, v20, 8, 8
	v_bfe_u32 v48, v20, 16, 8
	v_add3_u32 v2, v2, v44, v46
	v_lshrrev_b32_e32 v42, 24, v20
	v_add3_u32 v2, v2, v47, v48
	s_waitcnt lgkmcnt(1)
	v_and_b32_e32 v41, 1, v3
	s_waitcnt lgkmcnt(0)
	v_and_b32_e32 v23, 1, v4
	v_add3_u32 v2, v2, v42, v43
	v_add3_u32 v57, v2, v41, v23
	v_mbcnt_lo_u32_b32 v2, -1, 0
	v_mbcnt_hi_u32_b32 v55, -1, v2
	v_and_b32_e32 v2, 15, v55
	v_cmp_eq_u32_e64 s[14:15], 0, v2
	v_cmp_lt_u32_e64 s[12:13], 1, v2
	v_cmp_lt_u32_e64 s[10:11], 3, v2
	;; [unrolled: 1-line block ×3, first 2 shown]
	v_and_b32_e32 v2, 16, v55
	v_cmp_eq_u32_e64 s[6:7], 0, v2
	v_or_b32_e32 v2, 63, v0
	v_cmp_lt_u32_e64 s[18:19], 31, v55
	v_cmp_eq_u32_e64 s[4:5], v2, v0
	s_barrier
	s_cbranch_scc0 .LBB3340_99
; %bb.69:
	v_mov_b32_dpp v2, v57 row_shr:1 row_mask:0xf bank_mask:0xf
	v_cndmask_b32_e64 v2, v2, 0, s[14:15]
	v_add_u32_e32 v2, v2, v57
	s_nop 1
	v_mov_b32_dpp v3, v2 row_shr:2 row_mask:0xf bank_mask:0xf
	v_cndmask_b32_e64 v3, 0, v3, s[12:13]
	v_add_u32_e32 v2, v2, v3
	s_nop 1
	;; [unrolled: 4-line block ×4, first 2 shown]
	v_mov_b32_dpp v3, v2 row_bcast:15 row_mask:0xf bank_mask:0xf
	v_cndmask_b32_e64 v3, v3, 0, s[6:7]
	v_add_u32_e32 v2, v2, v3
	s_nop 1
	v_mov_b32_dpp v3, v2 row_bcast:31 row_mask:0xf bank_mask:0xf
	v_cndmask_b32_e64 v3, 0, v3, s[18:19]
	v_add_u32_e32 v2, v2, v3
	s_and_saveexec_b64 s[16:17], s[4:5]
	s_cbranch_execz .LBB3340_71
; %bb.70:
	v_lshlrev_b32_e32 v3, 2, v56
	ds_write_b32 v3, v2
.LBB3340_71:
	s_or_b64 exec, exec, s[16:17]
	v_cmp_gt_u32_e32 vcc, 8, v0
	s_waitcnt lgkmcnt(0)
	s_barrier
	s_and_saveexec_b64 s[16:17], vcc
	s_cbranch_execz .LBB3340_73
; %bb.72:
	ds_read_b32 v3, v22
	v_and_b32_e32 v4, 7, v55
	v_cmp_ne_u32_e32 vcc, 0, v4
	s_waitcnt lgkmcnt(0)
	v_mov_b32_dpp v5, v3 row_shr:1 row_mask:0xf bank_mask:0xf
	v_cndmask_b32_e32 v5, 0, v5, vcc
	v_add_u32_e32 v3, v5, v3
	v_cmp_lt_u32_e32 vcc, 1, v4
	s_nop 0
	v_mov_b32_dpp v5, v3 row_shr:2 row_mask:0xf bank_mask:0xf
	v_cndmask_b32_e32 v5, 0, v5, vcc
	v_add_u32_e32 v3, v3, v5
	v_cmp_lt_u32_e32 vcc, 3, v4
	s_nop 0
	v_mov_b32_dpp v5, v3 row_shr:4 row_mask:0xf bank_mask:0xf
	v_cndmask_b32_e32 v4, 0, v5, vcc
	v_add_u32_e32 v3, v3, v4
	ds_write_b32 v22, v3
.LBB3340_73:
	s_or_b64 exec, exec, s[16:17]
	v_cmp_gt_u32_e32 vcc, 64, v0
	v_cmp_lt_u32_e64 s[16:17], 63, v0
	s_waitcnt lgkmcnt(0)
	s_barrier
	s_waitcnt lgkmcnt(0)
                                        ; implicit-def: $vgpr12
	s_and_saveexec_b64 s[36:37], s[16:17]
	s_cbranch_execz .LBB3340_75
; %bb.74:
	v_lshl_add_u32 v3, v56, 2, -4
	ds_read_b32 v12, v3
	s_waitcnt lgkmcnt(0)
	v_add_u32_e32 v2, v12, v2
.LBB3340_75:
	s_or_b64 exec, exec, s[36:37]
	v_add_u32_e32 v3, -1, v55
	v_and_b32_e32 v4, 64, v55
	v_cmp_lt_i32_e64 s[16:17], v3, v4
	s_nop 1
	v_cndmask_b32_e64 v3, v3, v55, s[16:17]
	v_lshlrev_b32_e32 v3, 2, v3
	ds_bpermute_b32 v13, v3, v2
	v_cmp_eq_u32_e64 s[16:17], 0, v55
	s_and_saveexec_b64 s[36:37], vcc
	s_cbranch_execz .LBB3340_98
; %bb.76:
	v_mov_b32_e32 v11, 0
	ds_read_b32 v2, v11 offset:28
	s_and_saveexec_b64 s[38:39], s[16:17]
	s_cbranch_execz .LBB3340_78
; %bb.77:
	s_add_i32 s40, s2, 64
	s_mov_b32 s41, 0
	s_lshl_b64 s[40:41], s[40:41], 3
	s_add_u32 s40, s34, s40
	v_mov_b32_e32 v3, 1
	s_addc_u32 s41, s35, s41
	s_waitcnt lgkmcnt(0)
	global_store_dwordx2 v11, v[2:3], s[40:41] sc1
.LBB3340_78:
	s_or_b64 exec, exec, s[38:39]
	v_xad_u32 v4, v55, -1, s2
	v_add_u32_e32 v10, 64, v4
	v_lshl_add_u64 v[6:7], v[10:11], 3, s[34:35]
	global_load_dwordx2 v[8:9], v[6:7], off sc1
	s_waitcnt vmcnt(0)
	v_cmp_eq_u16_sdwa s[40:41], v9, v11 src0_sel:BYTE_0 src1_sel:DWORD
	s_and_saveexec_b64 s[38:39], s[40:41]
	s_cbranch_execz .LBB3340_84
; %bb.79:
	s_mov_b32 s3, 1
	s_mov_b64 s[40:41], 0
	v_mov_b32_e32 v3, 0
.LBB3340_80:                            ; =>This Loop Header: Depth=1
                                        ;     Child Loop BB3340_81 Depth 2
	s_max_u32 s42, s3, 1
.LBB3340_81:                            ;   Parent Loop BB3340_80 Depth=1
                                        ; =>  This Inner Loop Header: Depth=2
	s_add_i32 s42, s42, -1
	s_cmp_eq_u32 s42, 0
	s_sleep 1
	s_cbranch_scc0 .LBB3340_81
; %bb.82:                               ;   in Loop: Header=BB3340_80 Depth=1
	global_load_dwordx2 v[8:9], v[6:7], off sc1
	s_cmp_lt_u32 s3, 32
	s_cselect_b64 s[42:43], -1, 0
	s_cmp_lg_u64 s[42:43], 0
	s_addc_u32 s3, s3, 0
	s_waitcnt vmcnt(0)
	v_cmp_ne_u16_sdwa s[42:43], v9, v3 src0_sel:BYTE_0 src1_sel:DWORD
	s_or_b64 s[40:41], s[42:43], s[40:41]
	s_andn2_b64 exec, exec, s[40:41]
	s_cbranch_execnz .LBB3340_80
; %bb.83:
	s_or_b64 exec, exec, s[40:41]
.LBB3340_84:
	s_or_b64 exec, exec, s[38:39]
	v_and_b32_e32 v15, 63, v55
	v_mov_b32_e32 v14, 2
	v_cmp_ne_u32_e32 vcc, 63, v15
	v_cmp_eq_u16_sdwa s[38:39], v9, v14 src0_sel:BYTE_0 src1_sel:DWORD
	v_lshlrev_b64 v[6:7], v55, -1
	v_addc_co_u32_e32 v10, vcc, 0, v55, vcc
	v_and_b32_e32 v3, s39, v7
	v_lshlrev_b32_e32 v16, 2, v10
	v_or_b32_e32 v3, 0x80000000, v3
	ds_bpermute_b32 v10, v16, v8
	v_and_b32_e32 v5, s38, v6
	v_ffbl_b32_e32 v3, v3
	v_add_u32_e32 v3, 32, v3
	v_ffbl_b32_e32 v5, v5
	v_min_u32_e32 v3, v5, v3
	v_cmp_lt_u32_e32 vcc, v15, v3
	v_add_u32_e32 v38, 2, v15
	v_add_u32_e32 v40, 4, v15
	s_waitcnt lgkmcnt(0)
	v_cndmask_b32_e32 v5, 0, v10, vcc
	v_cmp_gt_u32_e32 vcc, 62, v15
	v_add_u32_e32 v5, v5, v8
	v_add_u32_e32 v59, 8, v15
	v_cndmask_b32_e64 v8, 0, 1, vcc
	v_lshlrev_b32_e32 v8, 1, v8
	v_add_lshl_u32 v17, v8, v55, 2
	ds_bpermute_b32 v8, v17, v5
	v_cmp_le_u32_e32 vcc, v38, v3
	v_add_u32_e32 v61, 16, v15
	v_add_u32_e32 v63, 32, v15
	s_waitcnt lgkmcnt(0)
	v_cndmask_b32_e32 v8, 0, v8, vcc
	v_cmp_gt_u32_e32 vcc, 60, v15
	v_add_u32_e32 v5, v5, v8
	s_nop 0
	v_cndmask_b32_e64 v8, 0, 1, vcc
	v_lshlrev_b32_e32 v8, 2, v8
	v_add_lshl_u32 v39, v8, v55, 2
	ds_bpermute_b32 v8, v39, v5
	v_cmp_le_u32_e32 vcc, v40, v3
	s_waitcnt lgkmcnt(0)
	s_nop 0
	v_cndmask_b32_e32 v8, 0, v8, vcc
	v_cmp_gt_u32_e32 vcc, 56, v15
	v_add_u32_e32 v5, v5, v8
	s_nop 0
	v_cndmask_b32_e64 v8, 0, 1, vcc
	v_lshlrev_b32_e32 v8, 3, v8
	v_add_lshl_u32 v58, v8, v55, 2
	ds_bpermute_b32 v8, v58, v5
	v_cmp_le_u32_e32 vcc, v59, v3
	s_waitcnt lgkmcnt(0)
	s_nop 0
	;; [unrolled: 11-line block ×4, first 2 shown]
	v_cndmask_b32_e32 v3, 0, v8, vcc
	v_add_u32_e32 v8, v5, v3
	v_mov_b32_e32 v5, 0
	s_branch .LBB3340_86
.LBB3340_85:                            ;   in Loop: Header=BB3340_86 Depth=1
	s_or_b64 exec, exec, s[38:39]
	v_cmp_eq_u16_sdwa s[38:39], v9, v14 src0_sel:BYTE_0 src1_sel:DWORD
	ds_bpermute_b32 v64, v16, v8
	v_subrev_u32_e32 v4, 64, v4
	v_and_b32_e32 v10, s39, v7
	v_or_b32_e32 v10, 0x80000000, v10
	v_and_b32_e32 v11, s38, v6
	v_ffbl_b32_e32 v10, v10
	v_add_u32_e32 v10, 32, v10
	v_ffbl_b32_e32 v11, v11
	v_min_u32_e32 v10, v11, v10
	v_cmp_lt_u32_e32 vcc, v15, v10
	s_waitcnt lgkmcnt(0)
	s_nop 0
	v_cndmask_b32_e32 v11, 0, v64, vcc
	v_add_u32_e32 v8, v11, v8
	ds_bpermute_b32 v11, v17, v8
	v_cmp_le_u32_e32 vcc, v38, v10
	s_waitcnt lgkmcnt(0)
	s_nop 0
	v_cndmask_b32_e32 v11, 0, v11, vcc
	v_add_u32_e32 v8, v8, v11
	ds_bpermute_b32 v11, v39, v8
	v_cmp_le_u32_e32 vcc, v40, v10
	;; [unrolled: 6-line block ×5, first 2 shown]
	s_waitcnt lgkmcnt(0)
	s_nop 0
	v_cndmask_b32_e32 v10, 0, v11, vcc
	v_add3_u32 v8, v10, v3, v8
.LBB3340_86:                            ; =>This Loop Header: Depth=1
                                        ;     Child Loop BB3340_89 Depth 2
                                        ;       Child Loop BB3340_90 Depth 3
	v_cmp_ne_u16_sdwa s[38:39], v9, v14 src0_sel:BYTE_0 src1_sel:DWORD
	s_nop 1
	v_cndmask_b32_e64 v3, 0, 1, s[38:39]
	;;#ASMSTART
	;;#ASMEND
	s_nop 0
	v_cmp_ne_u32_e32 vcc, 0, v3
	s_cmp_lg_u64 vcc, exec
	v_mov_b32_e32 v3, v8
	s_cbranch_scc1 .LBB3340_93
; %bb.87:                               ;   in Loop: Header=BB3340_86 Depth=1
	v_lshl_add_u64 v[10:11], v[4:5], 3, s[34:35]
	global_load_dwordx2 v[8:9], v[10:11], off sc1
	s_waitcnt vmcnt(0)
	v_cmp_eq_u16_sdwa s[40:41], v9, v5 src0_sel:BYTE_0 src1_sel:DWORD
	s_and_saveexec_b64 s[38:39], s[40:41]
	s_cbranch_execz .LBB3340_85
; %bb.88:                               ;   in Loop: Header=BB3340_86 Depth=1
	s_mov_b32 s3, 1
	s_mov_b64 s[40:41], 0
.LBB3340_89:                            ;   Parent Loop BB3340_86 Depth=1
                                        ; =>  This Loop Header: Depth=2
                                        ;       Child Loop BB3340_90 Depth 3
	s_max_u32 s42, s3, 1
.LBB3340_90:                            ;   Parent Loop BB3340_86 Depth=1
                                        ;     Parent Loop BB3340_89 Depth=2
                                        ; =>    This Inner Loop Header: Depth=3
	s_add_i32 s42, s42, -1
	s_cmp_eq_u32 s42, 0
	s_sleep 1
	s_cbranch_scc0 .LBB3340_90
; %bb.91:                               ;   in Loop: Header=BB3340_89 Depth=2
	global_load_dwordx2 v[8:9], v[10:11], off sc1
	s_cmp_lt_u32 s3, 32
	s_cselect_b64 s[42:43], -1, 0
	s_cmp_lg_u64 s[42:43], 0
	s_addc_u32 s3, s3, 0
	s_waitcnt vmcnt(0)
	v_cmp_ne_u16_sdwa s[42:43], v9, v5 src0_sel:BYTE_0 src1_sel:DWORD
	s_or_b64 s[40:41], s[42:43], s[40:41]
	s_andn2_b64 exec, exec, s[40:41]
	s_cbranch_execnz .LBB3340_89
; %bb.92:                               ;   in Loop: Header=BB3340_86 Depth=1
	s_or_b64 exec, exec, s[40:41]
	s_branch .LBB3340_85
.LBB3340_93:                            ;   in Loop: Header=BB3340_86 Depth=1
                                        ; implicit-def: $vgpr8
                                        ; implicit-def: $vgpr9
	s_cbranch_execz .LBB3340_86
; %bb.94:
	s_and_saveexec_b64 s[38:39], s[16:17]
	s_cbranch_execz .LBB3340_96
; %bb.95:
	s_add_i32 s2, s2, 64
	s_mov_b32 s3, 0
	s_lshl_b64 s[2:3], s[2:3], 3
	s_add_u32 s2, s34, s2
	v_add_u32_e32 v4, v3, v2
	v_mov_b32_e32 v5, 2
	s_addc_u32 s3, s35, s3
	v_mov_b32_e32 v6, 0
	global_store_dwordx2 v6, v[4:5], s[2:3] sc1
	ds_write_b64 v6, v[2:3] offset:30720
.LBB3340_96:
	s_or_b64 exec, exec, s[38:39]
	v_cmp_eq_u32_e32 vcc, 0, v0
	s_and_b64 exec, exec, vcc
	s_cbranch_execz .LBB3340_98
; %bb.97:
	v_mov_b32_e32 v2, 0
	ds_write_b32 v2, v3 offset:28
.LBB3340_98:
	s_or_b64 exec, exec, s[36:37]
	v_mov_b32_e32 v14, 0
	s_waitcnt lgkmcnt(0)
	s_barrier
	ds_read_b32 v2, v14 offset:28
	v_cndmask_b32_e64 v3, v13, v12, s[16:17]
	v_cmp_ne_u32_e32 vcc, 0, v0
	s_waitcnt lgkmcnt(0)
	s_barrier
	v_cndmask_b32_e32 v3, 0, v3, vcc
	v_add_u32_e32 v2, v2, v3
	v_add_u32_e32 v3, v2, v52
	;; [unrolled: 1-line block ×10, first 2 shown]
	ds_read_b64 v[38:39], v14 offset:30720
	v_add_u32_e32 v12, v11, v47
	v_add_u32_e32 v13, v12, v48
	;; [unrolled: 1-line block ×5, first 2 shown]
	s_waitcnt lgkmcnt(0)
	v_mov_b32_e32 v40, v39
	s_branch .LBB3340_109
.LBB3340_99:
                                        ; implicit-def: $vgpr40
                                        ; implicit-def: $vgpr38
                                        ; implicit-def: $vgpr2_vgpr3_vgpr4_vgpr5_vgpr6_vgpr7_vgpr8_vgpr9_vgpr10_vgpr11_vgpr12_vgpr13_vgpr14_vgpr15_vgpr16_vgpr17
	s_cbranch_execz .LBB3340_109
; %bb.100:
	s_nop 0
	v_mov_b32_dpp v2, v57 row_shr:1 row_mask:0xf bank_mask:0xf
	v_cndmask_b32_e64 v2, v2, 0, s[14:15]
	v_add_u32_e32 v2, v2, v57
	s_nop 1
	v_mov_b32_dpp v3, v2 row_shr:2 row_mask:0xf bank_mask:0xf
	v_cndmask_b32_e64 v3, 0, v3, s[12:13]
	v_add_u32_e32 v2, v2, v3
	;; [unrolled: 4-line block ×4, first 2 shown]
	s_nop 1
	v_mov_b32_dpp v3, v2 row_bcast:15 row_mask:0xf bank_mask:0xf
	v_cndmask_b32_e64 v3, v3, 0, s[6:7]
	v_add_u32_e32 v2, v2, v3
	s_nop 1
	v_mov_b32_dpp v3, v2 row_bcast:31 row_mask:0xf bank_mask:0xf
	v_cndmask_b32_e64 v3, 0, v3, s[18:19]
	v_add_u32_e32 v2, v2, v3
	s_and_saveexec_b64 s[2:3], s[4:5]
	s_cbranch_execz .LBB3340_102
; %bb.101:
	v_lshlrev_b32_e32 v3, 2, v56
	ds_write_b32 v3, v2
.LBB3340_102:
	s_or_b64 exec, exec, s[2:3]
	v_cmp_gt_u32_e32 vcc, 8, v0
	s_waitcnt lgkmcnt(0)
	s_barrier
	s_and_saveexec_b64 s[2:3], vcc
	s_cbranch_execz .LBB3340_104
; %bb.103:
	v_mad_i32_i24 v3, v0, -11, v21
	ds_read_b32 v4, v3
	v_and_b32_e32 v5, 7, v55
	v_cmp_ne_u32_e32 vcc, 0, v5
	s_waitcnt lgkmcnt(0)
	v_mov_b32_dpp v6, v4 row_shr:1 row_mask:0xf bank_mask:0xf
	v_cndmask_b32_e32 v6, 0, v6, vcc
	v_add_u32_e32 v4, v6, v4
	v_cmp_lt_u32_e32 vcc, 1, v5
	s_nop 0
	v_mov_b32_dpp v6, v4 row_shr:2 row_mask:0xf bank_mask:0xf
	v_cndmask_b32_e32 v6, 0, v6, vcc
	v_add_u32_e32 v4, v4, v6
	v_cmp_lt_u32_e32 vcc, 3, v5
	s_nop 0
	v_mov_b32_dpp v6, v4 row_shr:4 row_mask:0xf bank_mask:0xf
	v_cndmask_b32_e32 v5, 0, v6, vcc
	v_add_u32_e32 v4, v4, v5
	ds_write_b32 v3, v4
.LBB3340_104:
	s_or_b64 exec, exec, s[2:3]
	v_cmp_lt_u32_e32 vcc, 63, v0
	v_mov_b32_e32 v4, 0
	v_mov_b32_e32 v3, 0
	s_waitcnt lgkmcnt(0)
	s_barrier
	s_and_saveexec_b64 s[2:3], vcc
	s_cbranch_execz .LBB3340_106
; %bb.105:
	v_lshl_add_u32 v3, v56, 2, -4
	ds_read_b32 v3, v3
.LBB3340_106:
	s_or_b64 exec, exec, s[2:3]
	v_add_u32_e32 v5, -1, v55
	v_and_b32_e32 v6, 64, v55
	v_cmp_lt_i32_e32 vcc, v5, v6
	s_waitcnt lgkmcnt(0)
	v_add_u32_e32 v2, v3, v2
	ds_read_b32 v38, v4 offset:28
	v_cndmask_b32_e32 v5, v5, v55, vcc
	v_lshlrev_b32_e32 v5, 2, v5
	ds_bpermute_b32 v2, v5, v2
	v_cmp_eq_u32_e32 vcc, 0, v0
	s_and_saveexec_b64 s[2:3], vcc
	s_cbranch_execz .LBB3340_108
; %bb.107:
	v_mov_b32_e32 v4, 0
	v_mov_b32_e32 v39, 2
	s_waitcnt lgkmcnt(1)
	global_store_dwordx2 v4, v[38:39], s[34:35] offset:512 sc1
.LBB3340_108:
	s_or_b64 exec, exec, s[2:3]
	v_cmp_eq_u32_e64 s[2:3], 0, v55
	v_mov_b32_e32 v40, 0
	s_waitcnt lgkmcnt(0)
	v_cndmask_b32_e64 v2, v2, v3, s[2:3]
	v_cndmask_b32_e64 v2, v2, 0, vcc
	v_add_u32_e32 v3, v2, v52
	v_add_u32_e32 v4, v3, v53
	;; [unrolled: 1-line block ×14, first 2 shown]
	s_barrier
.LBB3340_109:
	v_add_u32_e32 v21, v38, v21
	v_sub_u32_e32 v2, v2, v40
	v_and_b32_e32 v48, 1, v18
	v_sub_u32_e32 v47, v21, v2
	v_cmp_eq_u32_e32 vcc, 1, v48
	v_lshrrev_b32_e32 v46, 8, v18
	v_lshrrev_b32_e32 v39, 8, v19
	v_cndmask_b32_e32 v2, v47, v2, vcc
	v_lshlrev_b32_e32 v2, 2, v2
	ds_write_b32 v2, v36
	v_sub_u32_e32 v2, v3, v40
	v_sub_u32_e32 v3, v21, v2
	v_and_b32_e32 v36, 1, v46
	v_add_u32_e32 v3, 1, v3
	v_cmp_eq_u32_e32 vcc, 1, v36
	v_lshrrev_b32_e32 v17, 8, v20
	s_load_dwordx2 s[0:1], s[0:1], 0x40
	v_cndmask_b32_e32 v2, v3, v2, vcc
	v_lshlrev_b32_e32 v2, 2, v2
	ds_write_b32 v2, v37
	v_sub_u32_e32 v2, v4, v40
	v_mov_b32_e32 v4, 1
	v_sub_u32_e32 v3, v21, v2
	v_and_b32_sdwa v18, v4, v18 dst_sel:DWORD dst_unused:UNUSED_PAD src0_sel:DWORD src1_sel:WORD_1
	v_add_u32_e32 v3, 2, v3
	v_cmp_eq_u32_e32 vcc, 1, v18
	s_nop 1
	v_cndmask_b32_e32 v2, v3, v2, vcc
	v_lshlrev_b32_e32 v2, 2, v2
	ds_write_b32 v2, v34
	v_sub_u32_e32 v2, v5, v40
	v_sub_u32_e32 v3, v21, v2
	v_and_b32_e32 v5, 1, v45
	v_add_u32_e32 v3, 3, v3
	v_cmp_eq_u32_e32 vcc, 1, v5
	v_and_b32_e32 v5, 1, v19
	v_or_b32_e32 v34, 0x200, v0
	v_cndmask_b32_e32 v2, v3, v2, vcc
	v_lshlrev_b32_e32 v2, 2, v2
	ds_write_b32 v2, v35
	v_sub_u32_e32 v2, v6, v40
	v_sub_u32_e32 v3, v21, v2
	v_add_u32_e32 v3, 4, v3
	v_cmp_eq_u32_e32 vcc, 1, v5
	v_and_b32_e32 v5, 1, v39
	s_nop 0
	v_cndmask_b32_e32 v2, v3, v2, vcc
	v_lshlrev_b32_e32 v2, 2, v2
	ds_write_b32 v2, v32
	v_sub_u32_e32 v2, v7, v40
	v_sub_u32_e32 v3, v21, v2
	v_add_u32_e32 v3, 5, v3
	v_cmp_eq_u32_e32 vcc, 1, v5
	v_and_b32_sdwa v5, v4, v19 dst_sel:DWORD dst_unused:UNUSED_PAD src0_sel:DWORD src1_sel:WORD_1
	v_and_b32_sdwa v4, v4, v20 dst_sel:DWORD dst_unused:UNUSED_PAD src0_sel:DWORD src1_sel:WORD_1
	v_cndmask_b32_e32 v2, v3, v2, vcc
	v_lshlrev_b32_e32 v2, 2, v2
	ds_write_b32 v2, v33
	v_sub_u32_e32 v2, v8, v40
	v_sub_u32_e32 v3, v21, v2
	v_add_u32_e32 v3, 6, v3
	v_cmp_eq_u32_e32 vcc, 1, v5
	v_and_b32_e32 v5, 1, v44
	v_or_b32_e32 v33, 0x400, v0
	v_cndmask_b32_e32 v2, v3, v2, vcc
	v_lshlrev_b32_e32 v2, 2, v2
	ds_write_b32 v2, v30
	v_sub_u32_e32 v2, v9, v40
	v_sub_u32_e32 v3, v21, v2
	v_add_u32_e32 v3, 7, v3
	v_cmp_eq_u32_e32 vcc, 1, v5
	v_and_b32_e32 v5, 1, v20
	v_or_b32_e32 v32, 0x600, v0
	;; [unrolled: 9-line block ×3, first 2 shown]
	v_cndmask_b32_e32 v2, v3, v2, vcc
	v_lshlrev_b32_e32 v2, 2, v2
	ds_write_b32 v2, v28
	v_sub_u32_e32 v2, v11, v40
	v_sub_u32_e32 v3, v21, v2
	v_add_u32_e32 v3, 9, v3
	v_cmp_eq_u32_e32 vcc, 1, v5
	v_mov_b32_e32 v5, s27
	v_or_b32_e32 v30, 0xa00, v0
	v_cndmask_b32_e32 v2, v3, v2, vcc
	v_lshlrev_b32_e32 v2, 2, v2
	ds_write_b32 v2, v29
	v_sub_u32_e32 v2, v12, v40
	v_sub_u32_e32 v3, v21, v2
	v_add_u32_e32 v3, 10, v3
	v_cmp_eq_u32_e32 vcc, 1, v4
	v_and_b32_e32 v4, 1, v42
	v_or_b32_e32 v29, 0xc00, v0
	v_cndmask_b32_e32 v2, v3, v2, vcc
	v_lshlrev_b32_e32 v2, 2, v2
	ds_write_b32 v2, v26
	v_sub_u32_e32 v2, v13, v40
	v_sub_u32_e32 v3, v21, v2
	v_add_u32_e32 v3, 11, v3
	v_cmp_eq_u32_e32 vcc, 1, v4
	v_or_b32_e32 v28, 0xe00, v0
	v_or_b32_e32 v26, 0x1200, v0
	v_cndmask_b32_e32 v2, v3, v2, vcc
	v_lshlrev_b32_e32 v2, 2, v2
	ds_write_b32 v2, v27
	v_sub_u32_e32 v2, v14, v40
	v_sub_u32_e32 v3, v21, v2
	v_add_u32_e32 v3, 12, v3
	v_cmp_eq_u32_e32 vcc, 1, v43
	v_or_b32_e32 v27, 0x1000, v0
	v_or_b32_e32 v20, 0x1c00, v0
	v_cndmask_b32_e32 v2, v3, v2, vcc
	v_lshlrev_b32_e32 v2, 2, v2
	ds_write_b32 v2, v24
	v_sub_u32_e32 v2, v15, v40
	v_sub_u32_e32 v3, v21, v2
	v_add_u32_e32 v3, 13, v3
	v_cmp_eq_u32_e32 vcc, 1, v41
	v_mov_b32_e32 v41, 0
	v_mov_b32_e32 v39, v41
	v_cndmask_b32_e32 v2, v3, v2, vcc
	v_lshlrev_b32_e32 v2, 2, v2
	ds_write_b32 v2, v25
	v_sub_u32_e32 v2, v16, v40
	v_sub_u32_e32 v3, v21, v2
	v_add_u32_e32 v3, 14, v3
	v_cmp_eq_u32_e32 vcc, 1, v23
	v_or_b32_e32 v25, 0x1400, v0
	v_or_b32_e32 v24, 0x1600, v0
	v_cndmask_b32_e32 v2, v3, v2, vcc
	v_lshlrev_b32_e32 v2, 2, v2
	ds_write_b32 v2, v1
	v_lshl_add_u64 v[2:3], s[24:25], 0, v[38:39]
	v_lshl_add_u64 v[2:3], v[2:3], 0, v[40:41]
	s_waitcnt lgkmcnt(0)
	s_barrier
	ds_read2st64_b32 v[18:19], v22 offset1:8
	ds_read2st64_b32 v[16:17], v22 offset0:16 offset1:24
	ds_read2st64_b32 v[14:15], v22 offset0:32 offset1:40
	ds_read2st64_b32 v[12:13], v22 offset0:48 offset1:56
	ds_read2st64_b32 v[10:11], v22 offset0:64 offset1:72
	ds_read2st64_b32 v[8:9], v22 offset0:80 offset1:88
	ds_read2st64_b32 v[6:7], v22 offset0:96 offset1:104
	ds_read_b32 v1, v22 offset:28672
	v_sub_co_u32_e32 v4, vcc, s26, v2
	v_or_b32_e32 v23, 0x1800, v0
	s_nop 0
	v_subb_co_u32_e32 v5, vcc, v5, v3, vcc
	v_lshlrev_b64 v[4:5], 2, v[4:5]
	v_lshl_add_u64 v[4:5], s[0:1], 0, v[4:5]
	v_or_b32_e32 v21, 0x1a00, v0
	v_lshl_add_u64 v[4:5], v[4:5], 0, s[30:31]
	s_andn2_b64 vcc, exec, s[28:29]
	v_cmp_le_u32_e64 s[0:1], v38, v0
	s_cbranch_vccnz .LBB3340_126
; %bb.110:
	s_and_saveexec_b64 s[2:3], s[0:1]
	s_cbranch_execnz .LBB3340_161
; %bb.111:
	s_or_b64 exec, exec, s[2:3]
	v_cmp_ge_u32_e32 vcc, v34, v38
	s_and_saveexec_b64 s[0:1], vcc
	s_cbranch_execnz .LBB3340_162
.LBB3340_112:
	s_or_b64 exec, exec, s[0:1]
	v_cmp_ge_u32_e32 vcc, v33, v38
	s_and_saveexec_b64 s[0:1], vcc
	s_cbranch_execnz .LBB3340_163
.LBB3340_113:
	s_or_b64 exec, exec, s[0:1]
	v_cmp_ge_u32_e32 vcc, v32, v38
	s_and_saveexec_b64 s[0:1], vcc
	s_cbranch_execnz .LBB3340_164
.LBB3340_114:
	s_or_b64 exec, exec, s[0:1]
	v_cmp_ge_u32_e32 vcc, v31, v38
	s_and_saveexec_b64 s[0:1], vcc
	s_cbranch_execnz .LBB3340_165
.LBB3340_115:
	s_or_b64 exec, exec, s[0:1]
	v_cmp_ge_u32_e32 vcc, v30, v38
	s_and_saveexec_b64 s[0:1], vcc
	s_cbranch_execnz .LBB3340_166
.LBB3340_116:
	s_or_b64 exec, exec, s[0:1]
	v_cmp_ge_u32_e32 vcc, v29, v38
	s_and_saveexec_b64 s[0:1], vcc
	s_cbranch_execnz .LBB3340_167
.LBB3340_117:
	s_or_b64 exec, exec, s[0:1]
	v_cmp_ge_u32_e32 vcc, v28, v38
	s_and_saveexec_b64 s[0:1], vcc
	s_cbranch_execnz .LBB3340_168
.LBB3340_118:
	s_or_b64 exec, exec, s[0:1]
	v_cmp_ge_u32_e32 vcc, v27, v38
	s_and_saveexec_b64 s[0:1], vcc
	s_cbranch_execnz .LBB3340_169
.LBB3340_119:
	s_or_b64 exec, exec, s[0:1]
	v_cmp_ge_u32_e32 vcc, v26, v38
	s_and_saveexec_b64 s[0:1], vcc
	s_cbranch_execnz .LBB3340_170
.LBB3340_120:
	s_or_b64 exec, exec, s[0:1]
	v_cmp_ge_u32_e32 vcc, v25, v38
	s_and_saveexec_b64 s[0:1], vcc
	s_cbranch_execnz .LBB3340_171
.LBB3340_121:
	s_or_b64 exec, exec, s[0:1]
	v_cmp_ge_u32_e32 vcc, v24, v38
	s_and_saveexec_b64 s[0:1], vcc
	s_cbranch_execnz .LBB3340_172
.LBB3340_122:
	s_or_b64 exec, exec, s[0:1]
	v_cmp_ge_u32_e32 vcc, v23, v38
	s_and_saveexec_b64 s[0:1], vcc
	s_cbranch_execnz .LBB3340_173
.LBB3340_123:
	s_or_b64 exec, exec, s[0:1]
	v_cmp_ge_u32_e32 vcc, v21, v38
	s_and_saveexec_b64 s[0:1], vcc
	s_cbranch_execz .LBB3340_125
.LBB3340_124:
	v_lshlrev_b32_e32 v35, 2, v21
	v_readfirstlane_b32 s2, v4
	v_readfirstlane_b32 s3, v5
	s_waitcnt lgkmcnt(1)
	s_nop 3
	global_store_dword v35, v7, s[2:3]
.LBB3340_125:
	s_or_b64 exec, exec, s[0:1]
	v_cmp_ge_u32_e64 s[0:1], v20, v38
	s_branch .LBB3340_156
.LBB3340_126:
	s_mov_b64 s[0:1], 0
	s_cbranch_execz .LBB3340_156
; %bb.127:
	v_cmp_gt_u32_e32 vcc, s33, v0
	v_cmp_le_u32_e64 s[0:1], v38, v0
	s_and_b64 s[2:3], vcc, s[0:1]
	s_and_saveexec_b64 s[0:1], s[2:3]
	s_cbranch_execz .LBB3340_129
; %bb.128:
	v_readfirstlane_b32 s2, v4
	v_readfirstlane_b32 s3, v5
	s_waitcnt lgkmcnt(7)
	s_nop 3
	global_store_dword v22, v18, s[2:3]
.LBB3340_129:
	s_or_b64 exec, exec, s[0:1]
	v_cmp_gt_u32_e32 vcc, s33, v34
	v_cmp_ge_u32_e64 s[0:1], v34, v38
	s_and_b64 s[2:3], vcc, s[0:1]
	s_and_saveexec_b64 s[0:1], s[2:3]
	s_cbranch_execz .LBB3340_131
; %bb.130:
	v_readfirstlane_b32 s2, v4
	v_readfirstlane_b32 s3, v5
	s_waitcnt lgkmcnt(7)
	s_nop 3
	global_store_dword v22, v19, s[2:3] offset:2048
.LBB3340_131:
	s_or_b64 exec, exec, s[0:1]
	v_cmp_gt_u32_e32 vcc, s33, v33
	v_cmp_ge_u32_e64 s[0:1], v33, v38
	s_and_b64 s[2:3], vcc, s[0:1]
	s_and_saveexec_b64 s[0:1], s[2:3]
	s_cbranch_execz .LBB3340_133
; %bb.132:
	s_waitcnt lgkmcnt(7)
	v_lshlrev_b32_e32 v18, 2, v33
	v_readfirstlane_b32 s2, v4
	v_readfirstlane_b32 s3, v5
	s_waitcnt lgkmcnt(6)
	s_nop 3
	global_store_dword v18, v16, s[2:3]
.LBB3340_133:
	s_or_b64 exec, exec, s[0:1]
	v_cmp_gt_u32_e32 vcc, s33, v32
	v_cmp_ge_u32_e64 s[0:1], v32, v38
	s_and_b64 s[2:3], vcc, s[0:1]
	s_and_saveexec_b64 s[0:1], s[2:3]
	s_cbranch_execz .LBB3340_135
; %bb.134:
	s_waitcnt lgkmcnt(6)
	v_lshlrev_b32_e32 v16, 2, v32
	v_readfirstlane_b32 s2, v4
	v_readfirstlane_b32 s3, v5
	s_nop 4
	global_store_dword v16, v17, s[2:3]
.LBB3340_135:
	s_or_b64 exec, exec, s[0:1]
	v_cmp_gt_u32_e32 vcc, s33, v31
	v_cmp_ge_u32_e64 s[0:1], v31, v38
	s_and_b64 s[2:3], vcc, s[0:1]
	s_and_saveexec_b64 s[0:1], s[2:3]
	s_cbranch_execz .LBB3340_137
; %bb.136:
	s_waitcnt lgkmcnt(6)
	v_lshlrev_b32_e32 v16, 2, v31
	v_readfirstlane_b32 s2, v4
	v_readfirstlane_b32 s3, v5
	s_waitcnt lgkmcnt(5)
	s_nop 3
	global_store_dword v16, v14, s[2:3]
.LBB3340_137:
	s_or_b64 exec, exec, s[0:1]
	v_cmp_gt_u32_e32 vcc, s33, v30
	v_cmp_ge_u32_e64 s[0:1], v30, v38
	s_and_b64 s[2:3], vcc, s[0:1]
	s_and_saveexec_b64 s[0:1], s[2:3]
	s_cbranch_execz .LBB3340_139
; %bb.138:
	s_waitcnt lgkmcnt(5)
	v_lshlrev_b32_e32 v14, 2, v30
	v_readfirstlane_b32 s2, v4
	v_readfirstlane_b32 s3, v5
	s_nop 4
	global_store_dword v14, v15, s[2:3]
.LBB3340_139:
	;; [unrolled: 29-line block ×6, first 2 shown]
	s_or_b64 exec, exec, s[0:1]
	v_cmp_gt_u32_e32 vcc, s33, v20
	v_cmp_ge_u32_e64 s[0:1], v20, v38
	s_and_b64 s[0:1], vcc, s[0:1]
.LBB3340_156:
	s_and_saveexec_b64 s[2:3], s[0:1]
	s_cbranch_execz .LBB3340_158
; %bb.157:
	s_waitcnt lgkmcnt(1)
	v_lshlrev_b32_e32 v6, 2, v20
	v_readfirstlane_b32 s0, v4
	v_readfirstlane_b32 s1, v5
	s_waitcnt lgkmcnt(0)
	s_nop 3
	global_store_dword v6, v1, s[0:1]
.LBB3340_158:
	s_or_b64 exec, exec, s[2:3]
	v_cmp_eq_u32_e32 vcc, 0, v0
	s_and_b64 s[0:1], vcc, s[22:23]
	s_and_saveexec_b64 s[2:3], s[0:1]
	s_cbranch_execz .LBB3340_160
; %bb.159:
	v_mov_b32_e32 v0, 0
	global_store_dwordx2 v0, v[2:3], s[20:21]
.LBB3340_160:
	s_endpgm
.LBB3340_161:
	v_readfirstlane_b32 s0, v4
	v_readfirstlane_b32 s1, v5
	s_waitcnt lgkmcnt(7)
	s_nop 3
	global_store_dword v22, v18, s[0:1]
	s_or_b64 exec, exec, s[2:3]
	v_cmp_ge_u32_e32 vcc, v34, v38
	s_and_saveexec_b64 s[0:1], vcc
	s_cbranch_execz .LBB3340_112
.LBB3340_162:
	v_readfirstlane_b32 s2, v4
	v_readfirstlane_b32 s3, v5
	s_waitcnt lgkmcnt(7)
	s_nop 3
	global_store_dword v22, v19, s[2:3] offset:2048
	s_or_b64 exec, exec, s[0:1]
	v_cmp_ge_u32_e32 vcc, v33, v38
	s_and_saveexec_b64 s[0:1], vcc
	s_cbranch_execz .LBB3340_113
.LBB3340_163:
	v_lshlrev_b32_e32 v35, 2, v33
	v_readfirstlane_b32 s2, v4
	v_readfirstlane_b32 s3, v5
	s_waitcnt lgkmcnt(6)
	s_nop 3
	global_store_dword v35, v16, s[2:3]
	s_or_b64 exec, exec, s[0:1]
	v_cmp_ge_u32_e32 vcc, v32, v38
	s_and_saveexec_b64 s[0:1], vcc
	s_cbranch_execz .LBB3340_114
.LBB3340_164:
	v_lshlrev_b32_e32 v35, 2, v32
	v_readfirstlane_b32 s2, v4
	v_readfirstlane_b32 s3, v5
	s_waitcnt lgkmcnt(6)
	s_nop 3
	global_store_dword v35, v17, s[2:3]
	s_or_b64 exec, exec, s[0:1]
	v_cmp_ge_u32_e32 vcc, v31, v38
	s_and_saveexec_b64 s[0:1], vcc
	s_cbranch_execz .LBB3340_115
.LBB3340_165:
	v_lshlrev_b32_e32 v35, 2, v31
	v_readfirstlane_b32 s2, v4
	v_readfirstlane_b32 s3, v5
	s_waitcnt lgkmcnt(5)
	s_nop 3
	global_store_dword v35, v14, s[2:3]
	s_or_b64 exec, exec, s[0:1]
	v_cmp_ge_u32_e32 vcc, v30, v38
	s_and_saveexec_b64 s[0:1], vcc
	s_cbranch_execz .LBB3340_116
.LBB3340_166:
	v_lshlrev_b32_e32 v35, 2, v30
	v_readfirstlane_b32 s2, v4
	v_readfirstlane_b32 s3, v5
	s_waitcnt lgkmcnt(5)
	s_nop 3
	global_store_dword v35, v15, s[2:3]
	s_or_b64 exec, exec, s[0:1]
	v_cmp_ge_u32_e32 vcc, v29, v38
	s_and_saveexec_b64 s[0:1], vcc
	s_cbranch_execz .LBB3340_117
.LBB3340_167:
	v_lshlrev_b32_e32 v35, 2, v29
	v_readfirstlane_b32 s2, v4
	v_readfirstlane_b32 s3, v5
	s_waitcnt lgkmcnt(4)
	s_nop 3
	global_store_dword v35, v12, s[2:3]
	s_or_b64 exec, exec, s[0:1]
	v_cmp_ge_u32_e32 vcc, v28, v38
	s_and_saveexec_b64 s[0:1], vcc
	s_cbranch_execz .LBB3340_118
.LBB3340_168:
	v_lshlrev_b32_e32 v35, 2, v28
	v_readfirstlane_b32 s2, v4
	v_readfirstlane_b32 s3, v5
	s_waitcnt lgkmcnt(4)
	s_nop 3
	global_store_dword v35, v13, s[2:3]
	s_or_b64 exec, exec, s[0:1]
	v_cmp_ge_u32_e32 vcc, v27, v38
	s_and_saveexec_b64 s[0:1], vcc
	s_cbranch_execz .LBB3340_119
.LBB3340_169:
	v_lshlrev_b32_e32 v35, 2, v27
	v_readfirstlane_b32 s2, v4
	v_readfirstlane_b32 s3, v5
	s_waitcnt lgkmcnt(3)
	s_nop 3
	global_store_dword v35, v10, s[2:3]
	s_or_b64 exec, exec, s[0:1]
	v_cmp_ge_u32_e32 vcc, v26, v38
	s_and_saveexec_b64 s[0:1], vcc
	s_cbranch_execz .LBB3340_120
.LBB3340_170:
	v_lshlrev_b32_e32 v35, 2, v26
	v_readfirstlane_b32 s2, v4
	v_readfirstlane_b32 s3, v5
	s_waitcnt lgkmcnt(3)
	s_nop 3
	global_store_dword v35, v11, s[2:3]
	s_or_b64 exec, exec, s[0:1]
	v_cmp_ge_u32_e32 vcc, v25, v38
	s_and_saveexec_b64 s[0:1], vcc
	s_cbranch_execz .LBB3340_121
.LBB3340_171:
	v_lshlrev_b32_e32 v35, 2, v25
	v_readfirstlane_b32 s2, v4
	v_readfirstlane_b32 s3, v5
	s_waitcnt lgkmcnt(2)
	s_nop 3
	global_store_dword v35, v8, s[2:3]
	s_or_b64 exec, exec, s[0:1]
	v_cmp_ge_u32_e32 vcc, v24, v38
	s_and_saveexec_b64 s[0:1], vcc
	s_cbranch_execz .LBB3340_122
.LBB3340_172:
	v_lshlrev_b32_e32 v35, 2, v24
	v_readfirstlane_b32 s2, v4
	v_readfirstlane_b32 s3, v5
	s_waitcnt lgkmcnt(2)
	s_nop 3
	global_store_dword v35, v9, s[2:3]
	s_or_b64 exec, exec, s[0:1]
	v_cmp_ge_u32_e32 vcc, v23, v38
	s_and_saveexec_b64 s[0:1], vcc
	s_cbranch_execz .LBB3340_123
.LBB3340_173:
	v_lshlrev_b32_e32 v35, 2, v23
	v_readfirstlane_b32 s2, v4
	v_readfirstlane_b32 s3, v5
	s_waitcnt lgkmcnt(1)
	s_nop 3
	global_store_dword v35, v6, s[2:3]
	s_or_b64 exec, exec, s[0:1]
	v_cmp_ge_u32_e32 vcc, v21, v38
	s_and_saveexec_b64 s[0:1], vcc
	s_cbranch_execnz .LBB3340_124
	s_branch .LBB3340_125
	.section	.rodata,"a",@progbits
	.p2align	6, 0x0
	.amdhsa_kernel _ZN7rocprim17ROCPRIM_400000_NS6detail17trampoline_kernelINS0_14default_configENS1_25partition_config_selectorILNS1_17partition_subalgoE1EiNS0_10empty_typeEbEEZZNS1_14partition_implILS5_1ELb0ES3_jN6thrust23THRUST_200600_302600_NS6detail15normal_iteratorINSA_10device_ptrIiEEEEPS6_NSA_18transform_iteratorI7is_evenIiESF_NSA_11use_defaultESK_EENS0_5tupleIJNSA_16discard_iteratorISK_EESF_EEENSM_IJSG_SG_EEES6_PlJS6_EEE10hipError_tPvRmT3_T4_T5_T6_T7_T9_mT8_P12ihipStream_tbDpT10_ENKUlT_T0_E_clISt17integral_constantIbLb1EES1A_IbLb0EEEEDaS16_S17_EUlS16_E_NS1_11comp_targetILNS1_3genE5ELNS1_11target_archE942ELNS1_3gpuE9ELNS1_3repE0EEENS1_30default_config_static_selectorELNS0_4arch9wavefront6targetE1EEEvT1_
		.amdhsa_group_segment_fixed_size 30728
		.amdhsa_private_segment_fixed_size 0
		.amdhsa_kernarg_size 136
		.amdhsa_user_sgpr_count 2
		.amdhsa_user_sgpr_dispatch_ptr 0
		.amdhsa_user_sgpr_queue_ptr 0
		.amdhsa_user_sgpr_kernarg_segment_ptr 1
		.amdhsa_user_sgpr_dispatch_id 0
		.amdhsa_user_sgpr_kernarg_preload_length 0
		.amdhsa_user_sgpr_kernarg_preload_offset 0
		.amdhsa_user_sgpr_private_segment_size 0
		.amdhsa_uses_dynamic_stack 0
		.amdhsa_enable_private_segment 0
		.amdhsa_system_sgpr_workgroup_id_x 1
		.amdhsa_system_sgpr_workgroup_id_y 0
		.amdhsa_system_sgpr_workgroup_id_z 0
		.amdhsa_system_sgpr_workgroup_info 0
		.amdhsa_system_vgpr_workitem_id 0
		.amdhsa_next_free_vgpr 65
		.amdhsa_next_free_sgpr 44
		.amdhsa_accum_offset 68
		.amdhsa_reserve_vcc 1
		.amdhsa_float_round_mode_32 0
		.amdhsa_float_round_mode_16_64 0
		.amdhsa_float_denorm_mode_32 3
		.amdhsa_float_denorm_mode_16_64 3
		.amdhsa_dx10_clamp 1
		.amdhsa_ieee_mode 1
		.amdhsa_fp16_overflow 0
		.amdhsa_tg_split 0
		.amdhsa_exception_fp_ieee_invalid_op 0
		.amdhsa_exception_fp_denorm_src 0
		.amdhsa_exception_fp_ieee_div_zero 0
		.amdhsa_exception_fp_ieee_overflow 0
		.amdhsa_exception_fp_ieee_underflow 0
		.amdhsa_exception_fp_ieee_inexact 0
		.amdhsa_exception_int_div_zero 0
	.end_amdhsa_kernel
	.section	.text._ZN7rocprim17ROCPRIM_400000_NS6detail17trampoline_kernelINS0_14default_configENS1_25partition_config_selectorILNS1_17partition_subalgoE1EiNS0_10empty_typeEbEEZZNS1_14partition_implILS5_1ELb0ES3_jN6thrust23THRUST_200600_302600_NS6detail15normal_iteratorINSA_10device_ptrIiEEEEPS6_NSA_18transform_iteratorI7is_evenIiESF_NSA_11use_defaultESK_EENS0_5tupleIJNSA_16discard_iteratorISK_EESF_EEENSM_IJSG_SG_EEES6_PlJS6_EEE10hipError_tPvRmT3_T4_T5_T6_T7_T9_mT8_P12ihipStream_tbDpT10_ENKUlT_T0_E_clISt17integral_constantIbLb1EES1A_IbLb0EEEEDaS16_S17_EUlS16_E_NS1_11comp_targetILNS1_3genE5ELNS1_11target_archE942ELNS1_3gpuE9ELNS1_3repE0EEENS1_30default_config_static_selectorELNS0_4arch9wavefront6targetE1EEEvT1_,"axG",@progbits,_ZN7rocprim17ROCPRIM_400000_NS6detail17trampoline_kernelINS0_14default_configENS1_25partition_config_selectorILNS1_17partition_subalgoE1EiNS0_10empty_typeEbEEZZNS1_14partition_implILS5_1ELb0ES3_jN6thrust23THRUST_200600_302600_NS6detail15normal_iteratorINSA_10device_ptrIiEEEEPS6_NSA_18transform_iteratorI7is_evenIiESF_NSA_11use_defaultESK_EENS0_5tupleIJNSA_16discard_iteratorISK_EESF_EEENSM_IJSG_SG_EEES6_PlJS6_EEE10hipError_tPvRmT3_T4_T5_T6_T7_T9_mT8_P12ihipStream_tbDpT10_ENKUlT_T0_E_clISt17integral_constantIbLb1EES1A_IbLb0EEEEDaS16_S17_EUlS16_E_NS1_11comp_targetILNS1_3genE5ELNS1_11target_archE942ELNS1_3gpuE9ELNS1_3repE0EEENS1_30default_config_static_selectorELNS0_4arch9wavefront6targetE1EEEvT1_,comdat
.Lfunc_end3340:
	.size	_ZN7rocprim17ROCPRIM_400000_NS6detail17trampoline_kernelINS0_14default_configENS1_25partition_config_selectorILNS1_17partition_subalgoE1EiNS0_10empty_typeEbEEZZNS1_14partition_implILS5_1ELb0ES3_jN6thrust23THRUST_200600_302600_NS6detail15normal_iteratorINSA_10device_ptrIiEEEEPS6_NSA_18transform_iteratorI7is_evenIiESF_NSA_11use_defaultESK_EENS0_5tupleIJNSA_16discard_iteratorISK_EESF_EEENSM_IJSG_SG_EEES6_PlJS6_EEE10hipError_tPvRmT3_T4_T5_T6_T7_T9_mT8_P12ihipStream_tbDpT10_ENKUlT_T0_E_clISt17integral_constantIbLb1EES1A_IbLb0EEEEDaS16_S17_EUlS16_E_NS1_11comp_targetILNS1_3genE5ELNS1_11target_archE942ELNS1_3gpuE9ELNS1_3repE0EEENS1_30default_config_static_selectorELNS0_4arch9wavefront6targetE1EEEvT1_, .Lfunc_end3340-_ZN7rocprim17ROCPRIM_400000_NS6detail17trampoline_kernelINS0_14default_configENS1_25partition_config_selectorILNS1_17partition_subalgoE1EiNS0_10empty_typeEbEEZZNS1_14partition_implILS5_1ELb0ES3_jN6thrust23THRUST_200600_302600_NS6detail15normal_iteratorINSA_10device_ptrIiEEEEPS6_NSA_18transform_iteratorI7is_evenIiESF_NSA_11use_defaultESK_EENS0_5tupleIJNSA_16discard_iteratorISK_EESF_EEENSM_IJSG_SG_EEES6_PlJS6_EEE10hipError_tPvRmT3_T4_T5_T6_T7_T9_mT8_P12ihipStream_tbDpT10_ENKUlT_T0_E_clISt17integral_constantIbLb1EES1A_IbLb0EEEEDaS16_S17_EUlS16_E_NS1_11comp_targetILNS1_3genE5ELNS1_11target_archE942ELNS1_3gpuE9ELNS1_3repE0EEENS1_30default_config_static_selectorELNS0_4arch9wavefront6targetE1EEEvT1_
                                        ; -- End function
	.section	.AMDGPU.csdata,"",@progbits
; Kernel info:
; codeLenInByte = 7768
; NumSgprs: 50
; NumVgprs: 65
; NumAgprs: 0
; TotalNumVgprs: 65
; ScratchSize: 0
; MemoryBound: 0
; FloatMode: 240
; IeeeMode: 1
; LDSByteSize: 30728 bytes/workgroup (compile time only)
; SGPRBlocks: 6
; VGPRBlocks: 8
; NumSGPRsForWavesPerEU: 50
; NumVGPRsForWavesPerEU: 65
; AccumOffset: 68
; Occupancy: 4
; WaveLimiterHint : 1
; COMPUTE_PGM_RSRC2:SCRATCH_EN: 0
; COMPUTE_PGM_RSRC2:USER_SGPR: 2
; COMPUTE_PGM_RSRC2:TRAP_HANDLER: 0
; COMPUTE_PGM_RSRC2:TGID_X_EN: 1
; COMPUTE_PGM_RSRC2:TGID_Y_EN: 0
; COMPUTE_PGM_RSRC2:TGID_Z_EN: 0
; COMPUTE_PGM_RSRC2:TIDIG_COMP_CNT: 0
; COMPUTE_PGM_RSRC3_GFX90A:ACCUM_OFFSET: 16
; COMPUTE_PGM_RSRC3_GFX90A:TG_SPLIT: 0
	.section	.text._ZN7rocprim17ROCPRIM_400000_NS6detail17trampoline_kernelINS0_14default_configENS1_25partition_config_selectorILNS1_17partition_subalgoE1EiNS0_10empty_typeEbEEZZNS1_14partition_implILS5_1ELb0ES3_jN6thrust23THRUST_200600_302600_NS6detail15normal_iteratorINSA_10device_ptrIiEEEEPS6_NSA_18transform_iteratorI7is_evenIiESF_NSA_11use_defaultESK_EENS0_5tupleIJNSA_16discard_iteratorISK_EESF_EEENSM_IJSG_SG_EEES6_PlJS6_EEE10hipError_tPvRmT3_T4_T5_T6_T7_T9_mT8_P12ihipStream_tbDpT10_ENKUlT_T0_E_clISt17integral_constantIbLb1EES1A_IbLb0EEEEDaS16_S17_EUlS16_E_NS1_11comp_targetILNS1_3genE4ELNS1_11target_archE910ELNS1_3gpuE8ELNS1_3repE0EEENS1_30default_config_static_selectorELNS0_4arch9wavefront6targetE1EEEvT1_,"axG",@progbits,_ZN7rocprim17ROCPRIM_400000_NS6detail17trampoline_kernelINS0_14default_configENS1_25partition_config_selectorILNS1_17partition_subalgoE1EiNS0_10empty_typeEbEEZZNS1_14partition_implILS5_1ELb0ES3_jN6thrust23THRUST_200600_302600_NS6detail15normal_iteratorINSA_10device_ptrIiEEEEPS6_NSA_18transform_iteratorI7is_evenIiESF_NSA_11use_defaultESK_EENS0_5tupleIJNSA_16discard_iteratorISK_EESF_EEENSM_IJSG_SG_EEES6_PlJS6_EEE10hipError_tPvRmT3_T4_T5_T6_T7_T9_mT8_P12ihipStream_tbDpT10_ENKUlT_T0_E_clISt17integral_constantIbLb1EES1A_IbLb0EEEEDaS16_S17_EUlS16_E_NS1_11comp_targetILNS1_3genE4ELNS1_11target_archE910ELNS1_3gpuE8ELNS1_3repE0EEENS1_30default_config_static_selectorELNS0_4arch9wavefront6targetE1EEEvT1_,comdat
	.protected	_ZN7rocprim17ROCPRIM_400000_NS6detail17trampoline_kernelINS0_14default_configENS1_25partition_config_selectorILNS1_17partition_subalgoE1EiNS0_10empty_typeEbEEZZNS1_14partition_implILS5_1ELb0ES3_jN6thrust23THRUST_200600_302600_NS6detail15normal_iteratorINSA_10device_ptrIiEEEEPS6_NSA_18transform_iteratorI7is_evenIiESF_NSA_11use_defaultESK_EENS0_5tupleIJNSA_16discard_iteratorISK_EESF_EEENSM_IJSG_SG_EEES6_PlJS6_EEE10hipError_tPvRmT3_T4_T5_T6_T7_T9_mT8_P12ihipStream_tbDpT10_ENKUlT_T0_E_clISt17integral_constantIbLb1EES1A_IbLb0EEEEDaS16_S17_EUlS16_E_NS1_11comp_targetILNS1_3genE4ELNS1_11target_archE910ELNS1_3gpuE8ELNS1_3repE0EEENS1_30default_config_static_selectorELNS0_4arch9wavefront6targetE1EEEvT1_ ; -- Begin function _ZN7rocprim17ROCPRIM_400000_NS6detail17trampoline_kernelINS0_14default_configENS1_25partition_config_selectorILNS1_17partition_subalgoE1EiNS0_10empty_typeEbEEZZNS1_14partition_implILS5_1ELb0ES3_jN6thrust23THRUST_200600_302600_NS6detail15normal_iteratorINSA_10device_ptrIiEEEEPS6_NSA_18transform_iteratorI7is_evenIiESF_NSA_11use_defaultESK_EENS0_5tupleIJNSA_16discard_iteratorISK_EESF_EEENSM_IJSG_SG_EEES6_PlJS6_EEE10hipError_tPvRmT3_T4_T5_T6_T7_T9_mT8_P12ihipStream_tbDpT10_ENKUlT_T0_E_clISt17integral_constantIbLb1EES1A_IbLb0EEEEDaS16_S17_EUlS16_E_NS1_11comp_targetILNS1_3genE4ELNS1_11target_archE910ELNS1_3gpuE8ELNS1_3repE0EEENS1_30default_config_static_selectorELNS0_4arch9wavefront6targetE1EEEvT1_
	.globl	_ZN7rocprim17ROCPRIM_400000_NS6detail17trampoline_kernelINS0_14default_configENS1_25partition_config_selectorILNS1_17partition_subalgoE1EiNS0_10empty_typeEbEEZZNS1_14partition_implILS5_1ELb0ES3_jN6thrust23THRUST_200600_302600_NS6detail15normal_iteratorINSA_10device_ptrIiEEEEPS6_NSA_18transform_iteratorI7is_evenIiESF_NSA_11use_defaultESK_EENS0_5tupleIJNSA_16discard_iteratorISK_EESF_EEENSM_IJSG_SG_EEES6_PlJS6_EEE10hipError_tPvRmT3_T4_T5_T6_T7_T9_mT8_P12ihipStream_tbDpT10_ENKUlT_T0_E_clISt17integral_constantIbLb1EES1A_IbLb0EEEEDaS16_S17_EUlS16_E_NS1_11comp_targetILNS1_3genE4ELNS1_11target_archE910ELNS1_3gpuE8ELNS1_3repE0EEENS1_30default_config_static_selectorELNS0_4arch9wavefront6targetE1EEEvT1_
	.p2align	8
	.type	_ZN7rocprim17ROCPRIM_400000_NS6detail17trampoline_kernelINS0_14default_configENS1_25partition_config_selectorILNS1_17partition_subalgoE1EiNS0_10empty_typeEbEEZZNS1_14partition_implILS5_1ELb0ES3_jN6thrust23THRUST_200600_302600_NS6detail15normal_iteratorINSA_10device_ptrIiEEEEPS6_NSA_18transform_iteratorI7is_evenIiESF_NSA_11use_defaultESK_EENS0_5tupleIJNSA_16discard_iteratorISK_EESF_EEENSM_IJSG_SG_EEES6_PlJS6_EEE10hipError_tPvRmT3_T4_T5_T6_T7_T9_mT8_P12ihipStream_tbDpT10_ENKUlT_T0_E_clISt17integral_constantIbLb1EES1A_IbLb0EEEEDaS16_S17_EUlS16_E_NS1_11comp_targetILNS1_3genE4ELNS1_11target_archE910ELNS1_3gpuE8ELNS1_3repE0EEENS1_30default_config_static_selectorELNS0_4arch9wavefront6targetE1EEEvT1_,@function
_ZN7rocprim17ROCPRIM_400000_NS6detail17trampoline_kernelINS0_14default_configENS1_25partition_config_selectorILNS1_17partition_subalgoE1EiNS0_10empty_typeEbEEZZNS1_14partition_implILS5_1ELb0ES3_jN6thrust23THRUST_200600_302600_NS6detail15normal_iteratorINSA_10device_ptrIiEEEEPS6_NSA_18transform_iteratorI7is_evenIiESF_NSA_11use_defaultESK_EENS0_5tupleIJNSA_16discard_iteratorISK_EESF_EEENSM_IJSG_SG_EEES6_PlJS6_EEE10hipError_tPvRmT3_T4_T5_T6_T7_T9_mT8_P12ihipStream_tbDpT10_ENKUlT_T0_E_clISt17integral_constantIbLb1EES1A_IbLb0EEEEDaS16_S17_EUlS16_E_NS1_11comp_targetILNS1_3genE4ELNS1_11target_archE910ELNS1_3gpuE8ELNS1_3repE0EEENS1_30default_config_static_selectorELNS0_4arch9wavefront6targetE1EEEvT1_: ; @_ZN7rocprim17ROCPRIM_400000_NS6detail17trampoline_kernelINS0_14default_configENS1_25partition_config_selectorILNS1_17partition_subalgoE1EiNS0_10empty_typeEbEEZZNS1_14partition_implILS5_1ELb0ES3_jN6thrust23THRUST_200600_302600_NS6detail15normal_iteratorINSA_10device_ptrIiEEEEPS6_NSA_18transform_iteratorI7is_evenIiESF_NSA_11use_defaultESK_EENS0_5tupleIJNSA_16discard_iteratorISK_EESF_EEENSM_IJSG_SG_EEES6_PlJS6_EEE10hipError_tPvRmT3_T4_T5_T6_T7_T9_mT8_P12ihipStream_tbDpT10_ENKUlT_T0_E_clISt17integral_constantIbLb1EES1A_IbLb0EEEEDaS16_S17_EUlS16_E_NS1_11comp_targetILNS1_3genE4ELNS1_11target_archE910ELNS1_3gpuE8ELNS1_3repE0EEENS1_30default_config_static_selectorELNS0_4arch9wavefront6targetE1EEEvT1_
; %bb.0:
	.section	.rodata,"a",@progbits
	.p2align	6, 0x0
	.amdhsa_kernel _ZN7rocprim17ROCPRIM_400000_NS6detail17trampoline_kernelINS0_14default_configENS1_25partition_config_selectorILNS1_17partition_subalgoE1EiNS0_10empty_typeEbEEZZNS1_14partition_implILS5_1ELb0ES3_jN6thrust23THRUST_200600_302600_NS6detail15normal_iteratorINSA_10device_ptrIiEEEEPS6_NSA_18transform_iteratorI7is_evenIiESF_NSA_11use_defaultESK_EENS0_5tupleIJNSA_16discard_iteratorISK_EESF_EEENSM_IJSG_SG_EEES6_PlJS6_EEE10hipError_tPvRmT3_T4_T5_T6_T7_T9_mT8_P12ihipStream_tbDpT10_ENKUlT_T0_E_clISt17integral_constantIbLb1EES1A_IbLb0EEEEDaS16_S17_EUlS16_E_NS1_11comp_targetILNS1_3genE4ELNS1_11target_archE910ELNS1_3gpuE8ELNS1_3repE0EEENS1_30default_config_static_selectorELNS0_4arch9wavefront6targetE1EEEvT1_
		.amdhsa_group_segment_fixed_size 0
		.amdhsa_private_segment_fixed_size 0
		.amdhsa_kernarg_size 136
		.amdhsa_user_sgpr_count 2
		.amdhsa_user_sgpr_dispatch_ptr 0
		.amdhsa_user_sgpr_queue_ptr 0
		.amdhsa_user_sgpr_kernarg_segment_ptr 1
		.amdhsa_user_sgpr_dispatch_id 0
		.amdhsa_user_sgpr_kernarg_preload_length 0
		.amdhsa_user_sgpr_kernarg_preload_offset 0
		.amdhsa_user_sgpr_private_segment_size 0
		.amdhsa_uses_dynamic_stack 0
		.amdhsa_enable_private_segment 0
		.amdhsa_system_sgpr_workgroup_id_x 1
		.amdhsa_system_sgpr_workgroup_id_y 0
		.amdhsa_system_sgpr_workgroup_id_z 0
		.amdhsa_system_sgpr_workgroup_info 0
		.amdhsa_system_vgpr_workitem_id 0
		.amdhsa_next_free_vgpr 1
		.amdhsa_next_free_sgpr 0
		.amdhsa_accum_offset 4
		.amdhsa_reserve_vcc 0
		.amdhsa_float_round_mode_32 0
		.amdhsa_float_round_mode_16_64 0
		.amdhsa_float_denorm_mode_32 3
		.amdhsa_float_denorm_mode_16_64 3
		.amdhsa_dx10_clamp 1
		.amdhsa_ieee_mode 1
		.amdhsa_fp16_overflow 0
		.amdhsa_tg_split 0
		.amdhsa_exception_fp_ieee_invalid_op 0
		.amdhsa_exception_fp_denorm_src 0
		.amdhsa_exception_fp_ieee_div_zero 0
		.amdhsa_exception_fp_ieee_overflow 0
		.amdhsa_exception_fp_ieee_underflow 0
		.amdhsa_exception_fp_ieee_inexact 0
		.amdhsa_exception_int_div_zero 0
	.end_amdhsa_kernel
	.section	.text._ZN7rocprim17ROCPRIM_400000_NS6detail17trampoline_kernelINS0_14default_configENS1_25partition_config_selectorILNS1_17partition_subalgoE1EiNS0_10empty_typeEbEEZZNS1_14partition_implILS5_1ELb0ES3_jN6thrust23THRUST_200600_302600_NS6detail15normal_iteratorINSA_10device_ptrIiEEEEPS6_NSA_18transform_iteratorI7is_evenIiESF_NSA_11use_defaultESK_EENS0_5tupleIJNSA_16discard_iteratorISK_EESF_EEENSM_IJSG_SG_EEES6_PlJS6_EEE10hipError_tPvRmT3_T4_T5_T6_T7_T9_mT8_P12ihipStream_tbDpT10_ENKUlT_T0_E_clISt17integral_constantIbLb1EES1A_IbLb0EEEEDaS16_S17_EUlS16_E_NS1_11comp_targetILNS1_3genE4ELNS1_11target_archE910ELNS1_3gpuE8ELNS1_3repE0EEENS1_30default_config_static_selectorELNS0_4arch9wavefront6targetE1EEEvT1_,"axG",@progbits,_ZN7rocprim17ROCPRIM_400000_NS6detail17trampoline_kernelINS0_14default_configENS1_25partition_config_selectorILNS1_17partition_subalgoE1EiNS0_10empty_typeEbEEZZNS1_14partition_implILS5_1ELb0ES3_jN6thrust23THRUST_200600_302600_NS6detail15normal_iteratorINSA_10device_ptrIiEEEEPS6_NSA_18transform_iteratorI7is_evenIiESF_NSA_11use_defaultESK_EENS0_5tupleIJNSA_16discard_iteratorISK_EESF_EEENSM_IJSG_SG_EEES6_PlJS6_EEE10hipError_tPvRmT3_T4_T5_T6_T7_T9_mT8_P12ihipStream_tbDpT10_ENKUlT_T0_E_clISt17integral_constantIbLb1EES1A_IbLb0EEEEDaS16_S17_EUlS16_E_NS1_11comp_targetILNS1_3genE4ELNS1_11target_archE910ELNS1_3gpuE8ELNS1_3repE0EEENS1_30default_config_static_selectorELNS0_4arch9wavefront6targetE1EEEvT1_,comdat
.Lfunc_end3341:
	.size	_ZN7rocprim17ROCPRIM_400000_NS6detail17trampoline_kernelINS0_14default_configENS1_25partition_config_selectorILNS1_17partition_subalgoE1EiNS0_10empty_typeEbEEZZNS1_14partition_implILS5_1ELb0ES3_jN6thrust23THRUST_200600_302600_NS6detail15normal_iteratorINSA_10device_ptrIiEEEEPS6_NSA_18transform_iteratorI7is_evenIiESF_NSA_11use_defaultESK_EENS0_5tupleIJNSA_16discard_iteratorISK_EESF_EEENSM_IJSG_SG_EEES6_PlJS6_EEE10hipError_tPvRmT3_T4_T5_T6_T7_T9_mT8_P12ihipStream_tbDpT10_ENKUlT_T0_E_clISt17integral_constantIbLb1EES1A_IbLb0EEEEDaS16_S17_EUlS16_E_NS1_11comp_targetILNS1_3genE4ELNS1_11target_archE910ELNS1_3gpuE8ELNS1_3repE0EEENS1_30default_config_static_selectorELNS0_4arch9wavefront6targetE1EEEvT1_, .Lfunc_end3341-_ZN7rocprim17ROCPRIM_400000_NS6detail17trampoline_kernelINS0_14default_configENS1_25partition_config_selectorILNS1_17partition_subalgoE1EiNS0_10empty_typeEbEEZZNS1_14partition_implILS5_1ELb0ES3_jN6thrust23THRUST_200600_302600_NS6detail15normal_iteratorINSA_10device_ptrIiEEEEPS6_NSA_18transform_iteratorI7is_evenIiESF_NSA_11use_defaultESK_EENS0_5tupleIJNSA_16discard_iteratorISK_EESF_EEENSM_IJSG_SG_EEES6_PlJS6_EEE10hipError_tPvRmT3_T4_T5_T6_T7_T9_mT8_P12ihipStream_tbDpT10_ENKUlT_T0_E_clISt17integral_constantIbLb1EES1A_IbLb0EEEEDaS16_S17_EUlS16_E_NS1_11comp_targetILNS1_3genE4ELNS1_11target_archE910ELNS1_3gpuE8ELNS1_3repE0EEENS1_30default_config_static_selectorELNS0_4arch9wavefront6targetE1EEEvT1_
                                        ; -- End function
	.section	.AMDGPU.csdata,"",@progbits
; Kernel info:
; codeLenInByte = 0
; NumSgprs: 6
; NumVgprs: 0
; NumAgprs: 0
; TotalNumVgprs: 0
; ScratchSize: 0
; MemoryBound: 0
; FloatMode: 240
; IeeeMode: 1
; LDSByteSize: 0 bytes/workgroup (compile time only)
; SGPRBlocks: 0
; VGPRBlocks: 0
; NumSGPRsForWavesPerEU: 6
; NumVGPRsForWavesPerEU: 1
; AccumOffset: 4
; Occupancy: 8
; WaveLimiterHint : 0
; COMPUTE_PGM_RSRC2:SCRATCH_EN: 0
; COMPUTE_PGM_RSRC2:USER_SGPR: 2
; COMPUTE_PGM_RSRC2:TRAP_HANDLER: 0
; COMPUTE_PGM_RSRC2:TGID_X_EN: 1
; COMPUTE_PGM_RSRC2:TGID_Y_EN: 0
; COMPUTE_PGM_RSRC2:TGID_Z_EN: 0
; COMPUTE_PGM_RSRC2:TIDIG_COMP_CNT: 0
; COMPUTE_PGM_RSRC3_GFX90A:ACCUM_OFFSET: 0
; COMPUTE_PGM_RSRC3_GFX90A:TG_SPLIT: 0
	.section	.text._ZN7rocprim17ROCPRIM_400000_NS6detail17trampoline_kernelINS0_14default_configENS1_25partition_config_selectorILNS1_17partition_subalgoE1EiNS0_10empty_typeEbEEZZNS1_14partition_implILS5_1ELb0ES3_jN6thrust23THRUST_200600_302600_NS6detail15normal_iteratorINSA_10device_ptrIiEEEEPS6_NSA_18transform_iteratorI7is_evenIiESF_NSA_11use_defaultESK_EENS0_5tupleIJNSA_16discard_iteratorISK_EESF_EEENSM_IJSG_SG_EEES6_PlJS6_EEE10hipError_tPvRmT3_T4_T5_T6_T7_T9_mT8_P12ihipStream_tbDpT10_ENKUlT_T0_E_clISt17integral_constantIbLb1EES1A_IbLb0EEEEDaS16_S17_EUlS16_E_NS1_11comp_targetILNS1_3genE3ELNS1_11target_archE908ELNS1_3gpuE7ELNS1_3repE0EEENS1_30default_config_static_selectorELNS0_4arch9wavefront6targetE1EEEvT1_,"axG",@progbits,_ZN7rocprim17ROCPRIM_400000_NS6detail17trampoline_kernelINS0_14default_configENS1_25partition_config_selectorILNS1_17partition_subalgoE1EiNS0_10empty_typeEbEEZZNS1_14partition_implILS5_1ELb0ES3_jN6thrust23THRUST_200600_302600_NS6detail15normal_iteratorINSA_10device_ptrIiEEEEPS6_NSA_18transform_iteratorI7is_evenIiESF_NSA_11use_defaultESK_EENS0_5tupleIJNSA_16discard_iteratorISK_EESF_EEENSM_IJSG_SG_EEES6_PlJS6_EEE10hipError_tPvRmT3_T4_T5_T6_T7_T9_mT8_P12ihipStream_tbDpT10_ENKUlT_T0_E_clISt17integral_constantIbLb1EES1A_IbLb0EEEEDaS16_S17_EUlS16_E_NS1_11comp_targetILNS1_3genE3ELNS1_11target_archE908ELNS1_3gpuE7ELNS1_3repE0EEENS1_30default_config_static_selectorELNS0_4arch9wavefront6targetE1EEEvT1_,comdat
	.protected	_ZN7rocprim17ROCPRIM_400000_NS6detail17trampoline_kernelINS0_14default_configENS1_25partition_config_selectorILNS1_17partition_subalgoE1EiNS0_10empty_typeEbEEZZNS1_14partition_implILS5_1ELb0ES3_jN6thrust23THRUST_200600_302600_NS6detail15normal_iteratorINSA_10device_ptrIiEEEEPS6_NSA_18transform_iteratorI7is_evenIiESF_NSA_11use_defaultESK_EENS0_5tupleIJNSA_16discard_iteratorISK_EESF_EEENSM_IJSG_SG_EEES6_PlJS6_EEE10hipError_tPvRmT3_T4_T5_T6_T7_T9_mT8_P12ihipStream_tbDpT10_ENKUlT_T0_E_clISt17integral_constantIbLb1EES1A_IbLb0EEEEDaS16_S17_EUlS16_E_NS1_11comp_targetILNS1_3genE3ELNS1_11target_archE908ELNS1_3gpuE7ELNS1_3repE0EEENS1_30default_config_static_selectorELNS0_4arch9wavefront6targetE1EEEvT1_ ; -- Begin function _ZN7rocprim17ROCPRIM_400000_NS6detail17trampoline_kernelINS0_14default_configENS1_25partition_config_selectorILNS1_17partition_subalgoE1EiNS0_10empty_typeEbEEZZNS1_14partition_implILS5_1ELb0ES3_jN6thrust23THRUST_200600_302600_NS6detail15normal_iteratorINSA_10device_ptrIiEEEEPS6_NSA_18transform_iteratorI7is_evenIiESF_NSA_11use_defaultESK_EENS0_5tupleIJNSA_16discard_iteratorISK_EESF_EEENSM_IJSG_SG_EEES6_PlJS6_EEE10hipError_tPvRmT3_T4_T5_T6_T7_T9_mT8_P12ihipStream_tbDpT10_ENKUlT_T0_E_clISt17integral_constantIbLb1EES1A_IbLb0EEEEDaS16_S17_EUlS16_E_NS1_11comp_targetILNS1_3genE3ELNS1_11target_archE908ELNS1_3gpuE7ELNS1_3repE0EEENS1_30default_config_static_selectorELNS0_4arch9wavefront6targetE1EEEvT1_
	.globl	_ZN7rocprim17ROCPRIM_400000_NS6detail17trampoline_kernelINS0_14default_configENS1_25partition_config_selectorILNS1_17partition_subalgoE1EiNS0_10empty_typeEbEEZZNS1_14partition_implILS5_1ELb0ES3_jN6thrust23THRUST_200600_302600_NS6detail15normal_iteratorINSA_10device_ptrIiEEEEPS6_NSA_18transform_iteratorI7is_evenIiESF_NSA_11use_defaultESK_EENS0_5tupleIJNSA_16discard_iteratorISK_EESF_EEENSM_IJSG_SG_EEES6_PlJS6_EEE10hipError_tPvRmT3_T4_T5_T6_T7_T9_mT8_P12ihipStream_tbDpT10_ENKUlT_T0_E_clISt17integral_constantIbLb1EES1A_IbLb0EEEEDaS16_S17_EUlS16_E_NS1_11comp_targetILNS1_3genE3ELNS1_11target_archE908ELNS1_3gpuE7ELNS1_3repE0EEENS1_30default_config_static_selectorELNS0_4arch9wavefront6targetE1EEEvT1_
	.p2align	8
	.type	_ZN7rocprim17ROCPRIM_400000_NS6detail17trampoline_kernelINS0_14default_configENS1_25partition_config_selectorILNS1_17partition_subalgoE1EiNS0_10empty_typeEbEEZZNS1_14partition_implILS5_1ELb0ES3_jN6thrust23THRUST_200600_302600_NS6detail15normal_iteratorINSA_10device_ptrIiEEEEPS6_NSA_18transform_iteratorI7is_evenIiESF_NSA_11use_defaultESK_EENS0_5tupleIJNSA_16discard_iteratorISK_EESF_EEENSM_IJSG_SG_EEES6_PlJS6_EEE10hipError_tPvRmT3_T4_T5_T6_T7_T9_mT8_P12ihipStream_tbDpT10_ENKUlT_T0_E_clISt17integral_constantIbLb1EES1A_IbLb0EEEEDaS16_S17_EUlS16_E_NS1_11comp_targetILNS1_3genE3ELNS1_11target_archE908ELNS1_3gpuE7ELNS1_3repE0EEENS1_30default_config_static_selectorELNS0_4arch9wavefront6targetE1EEEvT1_,@function
_ZN7rocprim17ROCPRIM_400000_NS6detail17trampoline_kernelINS0_14default_configENS1_25partition_config_selectorILNS1_17partition_subalgoE1EiNS0_10empty_typeEbEEZZNS1_14partition_implILS5_1ELb0ES3_jN6thrust23THRUST_200600_302600_NS6detail15normal_iteratorINSA_10device_ptrIiEEEEPS6_NSA_18transform_iteratorI7is_evenIiESF_NSA_11use_defaultESK_EENS0_5tupleIJNSA_16discard_iteratorISK_EESF_EEENSM_IJSG_SG_EEES6_PlJS6_EEE10hipError_tPvRmT3_T4_T5_T6_T7_T9_mT8_P12ihipStream_tbDpT10_ENKUlT_T0_E_clISt17integral_constantIbLb1EES1A_IbLb0EEEEDaS16_S17_EUlS16_E_NS1_11comp_targetILNS1_3genE3ELNS1_11target_archE908ELNS1_3gpuE7ELNS1_3repE0EEENS1_30default_config_static_selectorELNS0_4arch9wavefront6targetE1EEEvT1_: ; @_ZN7rocprim17ROCPRIM_400000_NS6detail17trampoline_kernelINS0_14default_configENS1_25partition_config_selectorILNS1_17partition_subalgoE1EiNS0_10empty_typeEbEEZZNS1_14partition_implILS5_1ELb0ES3_jN6thrust23THRUST_200600_302600_NS6detail15normal_iteratorINSA_10device_ptrIiEEEEPS6_NSA_18transform_iteratorI7is_evenIiESF_NSA_11use_defaultESK_EENS0_5tupleIJNSA_16discard_iteratorISK_EESF_EEENSM_IJSG_SG_EEES6_PlJS6_EEE10hipError_tPvRmT3_T4_T5_T6_T7_T9_mT8_P12ihipStream_tbDpT10_ENKUlT_T0_E_clISt17integral_constantIbLb1EES1A_IbLb0EEEEDaS16_S17_EUlS16_E_NS1_11comp_targetILNS1_3genE3ELNS1_11target_archE908ELNS1_3gpuE7ELNS1_3repE0EEENS1_30default_config_static_selectorELNS0_4arch9wavefront6targetE1EEEvT1_
; %bb.0:
	.section	.rodata,"a",@progbits
	.p2align	6, 0x0
	.amdhsa_kernel _ZN7rocprim17ROCPRIM_400000_NS6detail17trampoline_kernelINS0_14default_configENS1_25partition_config_selectorILNS1_17partition_subalgoE1EiNS0_10empty_typeEbEEZZNS1_14partition_implILS5_1ELb0ES3_jN6thrust23THRUST_200600_302600_NS6detail15normal_iteratorINSA_10device_ptrIiEEEEPS6_NSA_18transform_iteratorI7is_evenIiESF_NSA_11use_defaultESK_EENS0_5tupleIJNSA_16discard_iteratorISK_EESF_EEENSM_IJSG_SG_EEES6_PlJS6_EEE10hipError_tPvRmT3_T4_T5_T6_T7_T9_mT8_P12ihipStream_tbDpT10_ENKUlT_T0_E_clISt17integral_constantIbLb1EES1A_IbLb0EEEEDaS16_S17_EUlS16_E_NS1_11comp_targetILNS1_3genE3ELNS1_11target_archE908ELNS1_3gpuE7ELNS1_3repE0EEENS1_30default_config_static_selectorELNS0_4arch9wavefront6targetE1EEEvT1_
		.amdhsa_group_segment_fixed_size 0
		.amdhsa_private_segment_fixed_size 0
		.amdhsa_kernarg_size 136
		.amdhsa_user_sgpr_count 2
		.amdhsa_user_sgpr_dispatch_ptr 0
		.amdhsa_user_sgpr_queue_ptr 0
		.amdhsa_user_sgpr_kernarg_segment_ptr 1
		.amdhsa_user_sgpr_dispatch_id 0
		.amdhsa_user_sgpr_kernarg_preload_length 0
		.amdhsa_user_sgpr_kernarg_preload_offset 0
		.amdhsa_user_sgpr_private_segment_size 0
		.amdhsa_uses_dynamic_stack 0
		.amdhsa_enable_private_segment 0
		.amdhsa_system_sgpr_workgroup_id_x 1
		.amdhsa_system_sgpr_workgroup_id_y 0
		.amdhsa_system_sgpr_workgroup_id_z 0
		.amdhsa_system_sgpr_workgroup_info 0
		.amdhsa_system_vgpr_workitem_id 0
		.amdhsa_next_free_vgpr 1
		.amdhsa_next_free_sgpr 0
		.amdhsa_accum_offset 4
		.amdhsa_reserve_vcc 0
		.amdhsa_float_round_mode_32 0
		.amdhsa_float_round_mode_16_64 0
		.amdhsa_float_denorm_mode_32 3
		.amdhsa_float_denorm_mode_16_64 3
		.amdhsa_dx10_clamp 1
		.amdhsa_ieee_mode 1
		.amdhsa_fp16_overflow 0
		.amdhsa_tg_split 0
		.amdhsa_exception_fp_ieee_invalid_op 0
		.amdhsa_exception_fp_denorm_src 0
		.amdhsa_exception_fp_ieee_div_zero 0
		.amdhsa_exception_fp_ieee_overflow 0
		.amdhsa_exception_fp_ieee_underflow 0
		.amdhsa_exception_fp_ieee_inexact 0
		.amdhsa_exception_int_div_zero 0
	.end_amdhsa_kernel
	.section	.text._ZN7rocprim17ROCPRIM_400000_NS6detail17trampoline_kernelINS0_14default_configENS1_25partition_config_selectorILNS1_17partition_subalgoE1EiNS0_10empty_typeEbEEZZNS1_14partition_implILS5_1ELb0ES3_jN6thrust23THRUST_200600_302600_NS6detail15normal_iteratorINSA_10device_ptrIiEEEEPS6_NSA_18transform_iteratorI7is_evenIiESF_NSA_11use_defaultESK_EENS0_5tupleIJNSA_16discard_iteratorISK_EESF_EEENSM_IJSG_SG_EEES6_PlJS6_EEE10hipError_tPvRmT3_T4_T5_T6_T7_T9_mT8_P12ihipStream_tbDpT10_ENKUlT_T0_E_clISt17integral_constantIbLb1EES1A_IbLb0EEEEDaS16_S17_EUlS16_E_NS1_11comp_targetILNS1_3genE3ELNS1_11target_archE908ELNS1_3gpuE7ELNS1_3repE0EEENS1_30default_config_static_selectorELNS0_4arch9wavefront6targetE1EEEvT1_,"axG",@progbits,_ZN7rocprim17ROCPRIM_400000_NS6detail17trampoline_kernelINS0_14default_configENS1_25partition_config_selectorILNS1_17partition_subalgoE1EiNS0_10empty_typeEbEEZZNS1_14partition_implILS5_1ELb0ES3_jN6thrust23THRUST_200600_302600_NS6detail15normal_iteratorINSA_10device_ptrIiEEEEPS6_NSA_18transform_iteratorI7is_evenIiESF_NSA_11use_defaultESK_EENS0_5tupleIJNSA_16discard_iteratorISK_EESF_EEENSM_IJSG_SG_EEES6_PlJS6_EEE10hipError_tPvRmT3_T4_T5_T6_T7_T9_mT8_P12ihipStream_tbDpT10_ENKUlT_T0_E_clISt17integral_constantIbLb1EES1A_IbLb0EEEEDaS16_S17_EUlS16_E_NS1_11comp_targetILNS1_3genE3ELNS1_11target_archE908ELNS1_3gpuE7ELNS1_3repE0EEENS1_30default_config_static_selectorELNS0_4arch9wavefront6targetE1EEEvT1_,comdat
.Lfunc_end3342:
	.size	_ZN7rocprim17ROCPRIM_400000_NS6detail17trampoline_kernelINS0_14default_configENS1_25partition_config_selectorILNS1_17partition_subalgoE1EiNS0_10empty_typeEbEEZZNS1_14partition_implILS5_1ELb0ES3_jN6thrust23THRUST_200600_302600_NS6detail15normal_iteratorINSA_10device_ptrIiEEEEPS6_NSA_18transform_iteratorI7is_evenIiESF_NSA_11use_defaultESK_EENS0_5tupleIJNSA_16discard_iteratorISK_EESF_EEENSM_IJSG_SG_EEES6_PlJS6_EEE10hipError_tPvRmT3_T4_T5_T6_T7_T9_mT8_P12ihipStream_tbDpT10_ENKUlT_T0_E_clISt17integral_constantIbLb1EES1A_IbLb0EEEEDaS16_S17_EUlS16_E_NS1_11comp_targetILNS1_3genE3ELNS1_11target_archE908ELNS1_3gpuE7ELNS1_3repE0EEENS1_30default_config_static_selectorELNS0_4arch9wavefront6targetE1EEEvT1_, .Lfunc_end3342-_ZN7rocprim17ROCPRIM_400000_NS6detail17trampoline_kernelINS0_14default_configENS1_25partition_config_selectorILNS1_17partition_subalgoE1EiNS0_10empty_typeEbEEZZNS1_14partition_implILS5_1ELb0ES3_jN6thrust23THRUST_200600_302600_NS6detail15normal_iteratorINSA_10device_ptrIiEEEEPS6_NSA_18transform_iteratorI7is_evenIiESF_NSA_11use_defaultESK_EENS0_5tupleIJNSA_16discard_iteratorISK_EESF_EEENSM_IJSG_SG_EEES6_PlJS6_EEE10hipError_tPvRmT3_T4_T5_T6_T7_T9_mT8_P12ihipStream_tbDpT10_ENKUlT_T0_E_clISt17integral_constantIbLb1EES1A_IbLb0EEEEDaS16_S17_EUlS16_E_NS1_11comp_targetILNS1_3genE3ELNS1_11target_archE908ELNS1_3gpuE7ELNS1_3repE0EEENS1_30default_config_static_selectorELNS0_4arch9wavefront6targetE1EEEvT1_
                                        ; -- End function
	.section	.AMDGPU.csdata,"",@progbits
; Kernel info:
; codeLenInByte = 0
; NumSgprs: 6
; NumVgprs: 0
; NumAgprs: 0
; TotalNumVgprs: 0
; ScratchSize: 0
; MemoryBound: 0
; FloatMode: 240
; IeeeMode: 1
; LDSByteSize: 0 bytes/workgroup (compile time only)
; SGPRBlocks: 0
; VGPRBlocks: 0
; NumSGPRsForWavesPerEU: 6
; NumVGPRsForWavesPerEU: 1
; AccumOffset: 4
; Occupancy: 8
; WaveLimiterHint : 0
; COMPUTE_PGM_RSRC2:SCRATCH_EN: 0
; COMPUTE_PGM_RSRC2:USER_SGPR: 2
; COMPUTE_PGM_RSRC2:TRAP_HANDLER: 0
; COMPUTE_PGM_RSRC2:TGID_X_EN: 1
; COMPUTE_PGM_RSRC2:TGID_Y_EN: 0
; COMPUTE_PGM_RSRC2:TGID_Z_EN: 0
; COMPUTE_PGM_RSRC2:TIDIG_COMP_CNT: 0
; COMPUTE_PGM_RSRC3_GFX90A:ACCUM_OFFSET: 0
; COMPUTE_PGM_RSRC3_GFX90A:TG_SPLIT: 0
	.section	.text._ZN7rocprim17ROCPRIM_400000_NS6detail17trampoline_kernelINS0_14default_configENS1_25partition_config_selectorILNS1_17partition_subalgoE1EiNS0_10empty_typeEbEEZZNS1_14partition_implILS5_1ELb0ES3_jN6thrust23THRUST_200600_302600_NS6detail15normal_iteratorINSA_10device_ptrIiEEEEPS6_NSA_18transform_iteratorI7is_evenIiESF_NSA_11use_defaultESK_EENS0_5tupleIJNSA_16discard_iteratorISK_EESF_EEENSM_IJSG_SG_EEES6_PlJS6_EEE10hipError_tPvRmT3_T4_T5_T6_T7_T9_mT8_P12ihipStream_tbDpT10_ENKUlT_T0_E_clISt17integral_constantIbLb1EES1A_IbLb0EEEEDaS16_S17_EUlS16_E_NS1_11comp_targetILNS1_3genE2ELNS1_11target_archE906ELNS1_3gpuE6ELNS1_3repE0EEENS1_30default_config_static_selectorELNS0_4arch9wavefront6targetE1EEEvT1_,"axG",@progbits,_ZN7rocprim17ROCPRIM_400000_NS6detail17trampoline_kernelINS0_14default_configENS1_25partition_config_selectorILNS1_17partition_subalgoE1EiNS0_10empty_typeEbEEZZNS1_14partition_implILS5_1ELb0ES3_jN6thrust23THRUST_200600_302600_NS6detail15normal_iteratorINSA_10device_ptrIiEEEEPS6_NSA_18transform_iteratorI7is_evenIiESF_NSA_11use_defaultESK_EENS0_5tupleIJNSA_16discard_iteratorISK_EESF_EEENSM_IJSG_SG_EEES6_PlJS6_EEE10hipError_tPvRmT3_T4_T5_T6_T7_T9_mT8_P12ihipStream_tbDpT10_ENKUlT_T0_E_clISt17integral_constantIbLb1EES1A_IbLb0EEEEDaS16_S17_EUlS16_E_NS1_11comp_targetILNS1_3genE2ELNS1_11target_archE906ELNS1_3gpuE6ELNS1_3repE0EEENS1_30default_config_static_selectorELNS0_4arch9wavefront6targetE1EEEvT1_,comdat
	.protected	_ZN7rocprim17ROCPRIM_400000_NS6detail17trampoline_kernelINS0_14default_configENS1_25partition_config_selectorILNS1_17partition_subalgoE1EiNS0_10empty_typeEbEEZZNS1_14partition_implILS5_1ELb0ES3_jN6thrust23THRUST_200600_302600_NS6detail15normal_iteratorINSA_10device_ptrIiEEEEPS6_NSA_18transform_iteratorI7is_evenIiESF_NSA_11use_defaultESK_EENS0_5tupleIJNSA_16discard_iteratorISK_EESF_EEENSM_IJSG_SG_EEES6_PlJS6_EEE10hipError_tPvRmT3_T4_T5_T6_T7_T9_mT8_P12ihipStream_tbDpT10_ENKUlT_T0_E_clISt17integral_constantIbLb1EES1A_IbLb0EEEEDaS16_S17_EUlS16_E_NS1_11comp_targetILNS1_3genE2ELNS1_11target_archE906ELNS1_3gpuE6ELNS1_3repE0EEENS1_30default_config_static_selectorELNS0_4arch9wavefront6targetE1EEEvT1_ ; -- Begin function _ZN7rocprim17ROCPRIM_400000_NS6detail17trampoline_kernelINS0_14default_configENS1_25partition_config_selectorILNS1_17partition_subalgoE1EiNS0_10empty_typeEbEEZZNS1_14partition_implILS5_1ELb0ES3_jN6thrust23THRUST_200600_302600_NS6detail15normal_iteratorINSA_10device_ptrIiEEEEPS6_NSA_18transform_iteratorI7is_evenIiESF_NSA_11use_defaultESK_EENS0_5tupleIJNSA_16discard_iteratorISK_EESF_EEENSM_IJSG_SG_EEES6_PlJS6_EEE10hipError_tPvRmT3_T4_T5_T6_T7_T9_mT8_P12ihipStream_tbDpT10_ENKUlT_T0_E_clISt17integral_constantIbLb1EES1A_IbLb0EEEEDaS16_S17_EUlS16_E_NS1_11comp_targetILNS1_3genE2ELNS1_11target_archE906ELNS1_3gpuE6ELNS1_3repE0EEENS1_30default_config_static_selectorELNS0_4arch9wavefront6targetE1EEEvT1_
	.globl	_ZN7rocprim17ROCPRIM_400000_NS6detail17trampoline_kernelINS0_14default_configENS1_25partition_config_selectorILNS1_17partition_subalgoE1EiNS0_10empty_typeEbEEZZNS1_14partition_implILS5_1ELb0ES3_jN6thrust23THRUST_200600_302600_NS6detail15normal_iteratorINSA_10device_ptrIiEEEEPS6_NSA_18transform_iteratorI7is_evenIiESF_NSA_11use_defaultESK_EENS0_5tupleIJNSA_16discard_iteratorISK_EESF_EEENSM_IJSG_SG_EEES6_PlJS6_EEE10hipError_tPvRmT3_T4_T5_T6_T7_T9_mT8_P12ihipStream_tbDpT10_ENKUlT_T0_E_clISt17integral_constantIbLb1EES1A_IbLb0EEEEDaS16_S17_EUlS16_E_NS1_11comp_targetILNS1_3genE2ELNS1_11target_archE906ELNS1_3gpuE6ELNS1_3repE0EEENS1_30default_config_static_selectorELNS0_4arch9wavefront6targetE1EEEvT1_
	.p2align	8
	.type	_ZN7rocprim17ROCPRIM_400000_NS6detail17trampoline_kernelINS0_14default_configENS1_25partition_config_selectorILNS1_17partition_subalgoE1EiNS0_10empty_typeEbEEZZNS1_14partition_implILS5_1ELb0ES3_jN6thrust23THRUST_200600_302600_NS6detail15normal_iteratorINSA_10device_ptrIiEEEEPS6_NSA_18transform_iteratorI7is_evenIiESF_NSA_11use_defaultESK_EENS0_5tupleIJNSA_16discard_iteratorISK_EESF_EEENSM_IJSG_SG_EEES6_PlJS6_EEE10hipError_tPvRmT3_T4_T5_T6_T7_T9_mT8_P12ihipStream_tbDpT10_ENKUlT_T0_E_clISt17integral_constantIbLb1EES1A_IbLb0EEEEDaS16_S17_EUlS16_E_NS1_11comp_targetILNS1_3genE2ELNS1_11target_archE906ELNS1_3gpuE6ELNS1_3repE0EEENS1_30default_config_static_selectorELNS0_4arch9wavefront6targetE1EEEvT1_,@function
_ZN7rocprim17ROCPRIM_400000_NS6detail17trampoline_kernelINS0_14default_configENS1_25partition_config_selectorILNS1_17partition_subalgoE1EiNS0_10empty_typeEbEEZZNS1_14partition_implILS5_1ELb0ES3_jN6thrust23THRUST_200600_302600_NS6detail15normal_iteratorINSA_10device_ptrIiEEEEPS6_NSA_18transform_iteratorI7is_evenIiESF_NSA_11use_defaultESK_EENS0_5tupleIJNSA_16discard_iteratorISK_EESF_EEENSM_IJSG_SG_EEES6_PlJS6_EEE10hipError_tPvRmT3_T4_T5_T6_T7_T9_mT8_P12ihipStream_tbDpT10_ENKUlT_T0_E_clISt17integral_constantIbLb1EES1A_IbLb0EEEEDaS16_S17_EUlS16_E_NS1_11comp_targetILNS1_3genE2ELNS1_11target_archE906ELNS1_3gpuE6ELNS1_3repE0EEENS1_30default_config_static_selectorELNS0_4arch9wavefront6targetE1EEEvT1_: ; @_ZN7rocprim17ROCPRIM_400000_NS6detail17trampoline_kernelINS0_14default_configENS1_25partition_config_selectorILNS1_17partition_subalgoE1EiNS0_10empty_typeEbEEZZNS1_14partition_implILS5_1ELb0ES3_jN6thrust23THRUST_200600_302600_NS6detail15normal_iteratorINSA_10device_ptrIiEEEEPS6_NSA_18transform_iteratorI7is_evenIiESF_NSA_11use_defaultESK_EENS0_5tupleIJNSA_16discard_iteratorISK_EESF_EEENSM_IJSG_SG_EEES6_PlJS6_EEE10hipError_tPvRmT3_T4_T5_T6_T7_T9_mT8_P12ihipStream_tbDpT10_ENKUlT_T0_E_clISt17integral_constantIbLb1EES1A_IbLb0EEEEDaS16_S17_EUlS16_E_NS1_11comp_targetILNS1_3genE2ELNS1_11target_archE906ELNS1_3gpuE6ELNS1_3repE0EEENS1_30default_config_static_selectorELNS0_4arch9wavefront6targetE1EEEvT1_
; %bb.0:
	.section	.rodata,"a",@progbits
	.p2align	6, 0x0
	.amdhsa_kernel _ZN7rocprim17ROCPRIM_400000_NS6detail17trampoline_kernelINS0_14default_configENS1_25partition_config_selectorILNS1_17partition_subalgoE1EiNS0_10empty_typeEbEEZZNS1_14partition_implILS5_1ELb0ES3_jN6thrust23THRUST_200600_302600_NS6detail15normal_iteratorINSA_10device_ptrIiEEEEPS6_NSA_18transform_iteratorI7is_evenIiESF_NSA_11use_defaultESK_EENS0_5tupleIJNSA_16discard_iteratorISK_EESF_EEENSM_IJSG_SG_EEES6_PlJS6_EEE10hipError_tPvRmT3_T4_T5_T6_T7_T9_mT8_P12ihipStream_tbDpT10_ENKUlT_T0_E_clISt17integral_constantIbLb1EES1A_IbLb0EEEEDaS16_S17_EUlS16_E_NS1_11comp_targetILNS1_3genE2ELNS1_11target_archE906ELNS1_3gpuE6ELNS1_3repE0EEENS1_30default_config_static_selectorELNS0_4arch9wavefront6targetE1EEEvT1_
		.amdhsa_group_segment_fixed_size 0
		.amdhsa_private_segment_fixed_size 0
		.amdhsa_kernarg_size 136
		.amdhsa_user_sgpr_count 2
		.amdhsa_user_sgpr_dispatch_ptr 0
		.amdhsa_user_sgpr_queue_ptr 0
		.amdhsa_user_sgpr_kernarg_segment_ptr 1
		.amdhsa_user_sgpr_dispatch_id 0
		.amdhsa_user_sgpr_kernarg_preload_length 0
		.amdhsa_user_sgpr_kernarg_preload_offset 0
		.amdhsa_user_sgpr_private_segment_size 0
		.amdhsa_uses_dynamic_stack 0
		.amdhsa_enable_private_segment 0
		.amdhsa_system_sgpr_workgroup_id_x 1
		.amdhsa_system_sgpr_workgroup_id_y 0
		.amdhsa_system_sgpr_workgroup_id_z 0
		.amdhsa_system_sgpr_workgroup_info 0
		.amdhsa_system_vgpr_workitem_id 0
		.amdhsa_next_free_vgpr 1
		.amdhsa_next_free_sgpr 0
		.amdhsa_accum_offset 4
		.amdhsa_reserve_vcc 0
		.amdhsa_float_round_mode_32 0
		.amdhsa_float_round_mode_16_64 0
		.amdhsa_float_denorm_mode_32 3
		.amdhsa_float_denorm_mode_16_64 3
		.amdhsa_dx10_clamp 1
		.amdhsa_ieee_mode 1
		.amdhsa_fp16_overflow 0
		.amdhsa_tg_split 0
		.amdhsa_exception_fp_ieee_invalid_op 0
		.amdhsa_exception_fp_denorm_src 0
		.amdhsa_exception_fp_ieee_div_zero 0
		.amdhsa_exception_fp_ieee_overflow 0
		.amdhsa_exception_fp_ieee_underflow 0
		.amdhsa_exception_fp_ieee_inexact 0
		.amdhsa_exception_int_div_zero 0
	.end_amdhsa_kernel
	.section	.text._ZN7rocprim17ROCPRIM_400000_NS6detail17trampoline_kernelINS0_14default_configENS1_25partition_config_selectorILNS1_17partition_subalgoE1EiNS0_10empty_typeEbEEZZNS1_14partition_implILS5_1ELb0ES3_jN6thrust23THRUST_200600_302600_NS6detail15normal_iteratorINSA_10device_ptrIiEEEEPS6_NSA_18transform_iteratorI7is_evenIiESF_NSA_11use_defaultESK_EENS0_5tupleIJNSA_16discard_iteratorISK_EESF_EEENSM_IJSG_SG_EEES6_PlJS6_EEE10hipError_tPvRmT3_T4_T5_T6_T7_T9_mT8_P12ihipStream_tbDpT10_ENKUlT_T0_E_clISt17integral_constantIbLb1EES1A_IbLb0EEEEDaS16_S17_EUlS16_E_NS1_11comp_targetILNS1_3genE2ELNS1_11target_archE906ELNS1_3gpuE6ELNS1_3repE0EEENS1_30default_config_static_selectorELNS0_4arch9wavefront6targetE1EEEvT1_,"axG",@progbits,_ZN7rocprim17ROCPRIM_400000_NS6detail17trampoline_kernelINS0_14default_configENS1_25partition_config_selectorILNS1_17partition_subalgoE1EiNS0_10empty_typeEbEEZZNS1_14partition_implILS5_1ELb0ES3_jN6thrust23THRUST_200600_302600_NS6detail15normal_iteratorINSA_10device_ptrIiEEEEPS6_NSA_18transform_iteratorI7is_evenIiESF_NSA_11use_defaultESK_EENS0_5tupleIJNSA_16discard_iteratorISK_EESF_EEENSM_IJSG_SG_EEES6_PlJS6_EEE10hipError_tPvRmT3_T4_T5_T6_T7_T9_mT8_P12ihipStream_tbDpT10_ENKUlT_T0_E_clISt17integral_constantIbLb1EES1A_IbLb0EEEEDaS16_S17_EUlS16_E_NS1_11comp_targetILNS1_3genE2ELNS1_11target_archE906ELNS1_3gpuE6ELNS1_3repE0EEENS1_30default_config_static_selectorELNS0_4arch9wavefront6targetE1EEEvT1_,comdat
.Lfunc_end3343:
	.size	_ZN7rocprim17ROCPRIM_400000_NS6detail17trampoline_kernelINS0_14default_configENS1_25partition_config_selectorILNS1_17partition_subalgoE1EiNS0_10empty_typeEbEEZZNS1_14partition_implILS5_1ELb0ES3_jN6thrust23THRUST_200600_302600_NS6detail15normal_iteratorINSA_10device_ptrIiEEEEPS6_NSA_18transform_iteratorI7is_evenIiESF_NSA_11use_defaultESK_EENS0_5tupleIJNSA_16discard_iteratorISK_EESF_EEENSM_IJSG_SG_EEES6_PlJS6_EEE10hipError_tPvRmT3_T4_T5_T6_T7_T9_mT8_P12ihipStream_tbDpT10_ENKUlT_T0_E_clISt17integral_constantIbLb1EES1A_IbLb0EEEEDaS16_S17_EUlS16_E_NS1_11comp_targetILNS1_3genE2ELNS1_11target_archE906ELNS1_3gpuE6ELNS1_3repE0EEENS1_30default_config_static_selectorELNS0_4arch9wavefront6targetE1EEEvT1_, .Lfunc_end3343-_ZN7rocprim17ROCPRIM_400000_NS6detail17trampoline_kernelINS0_14default_configENS1_25partition_config_selectorILNS1_17partition_subalgoE1EiNS0_10empty_typeEbEEZZNS1_14partition_implILS5_1ELb0ES3_jN6thrust23THRUST_200600_302600_NS6detail15normal_iteratorINSA_10device_ptrIiEEEEPS6_NSA_18transform_iteratorI7is_evenIiESF_NSA_11use_defaultESK_EENS0_5tupleIJNSA_16discard_iteratorISK_EESF_EEENSM_IJSG_SG_EEES6_PlJS6_EEE10hipError_tPvRmT3_T4_T5_T6_T7_T9_mT8_P12ihipStream_tbDpT10_ENKUlT_T0_E_clISt17integral_constantIbLb1EES1A_IbLb0EEEEDaS16_S17_EUlS16_E_NS1_11comp_targetILNS1_3genE2ELNS1_11target_archE906ELNS1_3gpuE6ELNS1_3repE0EEENS1_30default_config_static_selectorELNS0_4arch9wavefront6targetE1EEEvT1_
                                        ; -- End function
	.section	.AMDGPU.csdata,"",@progbits
; Kernel info:
; codeLenInByte = 0
; NumSgprs: 6
; NumVgprs: 0
; NumAgprs: 0
; TotalNumVgprs: 0
; ScratchSize: 0
; MemoryBound: 0
; FloatMode: 240
; IeeeMode: 1
; LDSByteSize: 0 bytes/workgroup (compile time only)
; SGPRBlocks: 0
; VGPRBlocks: 0
; NumSGPRsForWavesPerEU: 6
; NumVGPRsForWavesPerEU: 1
; AccumOffset: 4
; Occupancy: 8
; WaveLimiterHint : 0
; COMPUTE_PGM_RSRC2:SCRATCH_EN: 0
; COMPUTE_PGM_RSRC2:USER_SGPR: 2
; COMPUTE_PGM_RSRC2:TRAP_HANDLER: 0
; COMPUTE_PGM_RSRC2:TGID_X_EN: 1
; COMPUTE_PGM_RSRC2:TGID_Y_EN: 0
; COMPUTE_PGM_RSRC2:TGID_Z_EN: 0
; COMPUTE_PGM_RSRC2:TIDIG_COMP_CNT: 0
; COMPUTE_PGM_RSRC3_GFX90A:ACCUM_OFFSET: 0
; COMPUTE_PGM_RSRC3_GFX90A:TG_SPLIT: 0
	.section	.text._ZN7rocprim17ROCPRIM_400000_NS6detail17trampoline_kernelINS0_14default_configENS1_25partition_config_selectorILNS1_17partition_subalgoE1EiNS0_10empty_typeEbEEZZNS1_14partition_implILS5_1ELb0ES3_jN6thrust23THRUST_200600_302600_NS6detail15normal_iteratorINSA_10device_ptrIiEEEEPS6_NSA_18transform_iteratorI7is_evenIiESF_NSA_11use_defaultESK_EENS0_5tupleIJNSA_16discard_iteratorISK_EESF_EEENSM_IJSG_SG_EEES6_PlJS6_EEE10hipError_tPvRmT3_T4_T5_T6_T7_T9_mT8_P12ihipStream_tbDpT10_ENKUlT_T0_E_clISt17integral_constantIbLb1EES1A_IbLb0EEEEDaS16_S17_EUlS16_E_NS1_11comp_targetILNS1_3genE10ELNS1_11target_archE1200ELNS1_3gpuE4ELNS1_3repE0EEENS1_30default_config_static_selectorELNS0_4arch9wavefront6targetE1EEEvT1_,"axG",@progbits,_ZN7rocprim17ROCPRIM_400000_NS6detail17trampoline_kernelINS0_14default_configENS1_25partition_config_selectorILNS1_17partition_subalgoE1EiNS0_10empty_typeEbEEZZNS1_14partition_implILS5_1ELb0ES3_jN6thrust23THRUST_200600_302600_NS6detail15normal_iteratorINSA_10device_ptrIiEEEEPS6_NSA_18transform_iteratorI7is_evenIiESF_NSA_11use_defaultESK_EENS0_5tupleIJNSA_16discard_iteratorISK_EESF_EEENSM_IJSG_SG_EEES6_PlJS6_EEE10hipError_tPvRmT3_T4_T5_T6_T7_T9_mT8_P12ihipStream_tbDpT10_ENKUlT_T0_E_clISt17integral_constantIbLb1EES1A_IbLb0EEEEDaS16_S17_EUlS16_E_NS1_11comp_targetILNS1_3genE10ELNS1_11target_archE1200ELNS1_3gpuE4ELNS1_3repE0EEENS1_30default_config_static_selectorELNS0_4arch9wavefront6targetE1EEEvT1_,comdat
	.protected	_ZN7rocprim17ROCPRIM_400000_NS6detail17trampoline_kernelINS0_14default_configENS1_25partition_config_selectorILNS1_17partition_subalgoE1EiNS0_10empty_typeEbEEZZNS1_14partition_implILS5_1ELb0ES3_jN6thrust23THRUST_200600_302600_NS6detail15normal_iteratorINSA_10device_ptrIiEEEEPS6_NSA_18transform_iteratorI7is_evenIiESF_NSA_11use_defaultESK_EENS0_5tupleIJNSA_16discard_iteratorISK_EESF_EEENSM_IJSG_SG_EEES6_PlJS6_EEE10hipError_tPvRmT3_T4_T5_T6_T7_T9_mT8_P12ihipStream_tbDpT10_ENKUlT_T0_E_clISt17integral_constantIbLb1EES1A_IbLb0EEEEDaS16_S17_EUlS16_E_NS1_11comp_targetILNS1_3genE10ELNS1_11target_archE1200ELNS1_3gpuE4ELNS1_3repE0EEENS1_30default_config_static_selectorELNS0_4arch9wavefront6targetE1EEEvT1_ ; -- Begin function _ZN7rocprim17ROCPRIM_400000_NS6detail17trampoline_kernelINS0_14default_configENS1_25partition_config_selectorILNS1_17partition_subalgoE1EiNS0_10empty_typeEbEEZZNS1_14partition_implILS5_1ELb0ES3_jN6thrust23THRUST_200600_302600_NS6detail15normal_iteratorINSA_10device_ptrIiEEEEPS6_NSA_18transform_iteratorI7is_evenIiESF_NSA_11use_defaultESK_EENS0_5tupleIJNSA_16discard_iteratorISK_EESF_EEENSM_IJSG_SG_EEES6_PlJS6_EEE10hipError_tPvRmT3_T4_T5_T6_T7_T9_mT8_P12ihipStream_tbDpT10_ENKUlT_T0_E_clISt17integral_constantIbLb1EES1A_IbLb0EEEEDaS16_S17_EUlS16_E_NS1_11comp_targetILNS1_3genE10ELNS1_11target_archE1200ELNS1_3gpuE4ELNS1_3repE0EEENS1_30default_config_static_selectorELNS0_4arch9wavefront6targetE1EEEvT1_
	.globl	_ZN7rocprim17ROCPRIM_400000_NS6detail17trampoline_kernelINS0_14default_configENS1_25partition_config_selectorILNS1_17partition_subalgoE1EiNS0_10empty_typeEbEEZZNS1_14partition_implILS5_1ELb0ES3_jN6thrust23THRUST_200600_302600_NS6detail15normal_iteratorINSA_10device_ptrIiEEEEPS6_NSA_18transform_iteratorI7is_evenIiESF_NSA_11use_defaultESK_EENS0_5tupleIJNSA_16discard_iteratorISK_EESF_EEENSM_IJSG_SG_EEES6_PlJS6_EEE10hipError_tPvRmT3_T4_T5_T6_T7_T9_mT8_P12ihipStream_tbDpT10_ENKUlT_T0_E_clISt17integral_constantIbLb1EES1A_IbLb0EEEEDaS16_S17_EUlS16_E_NS1_11comp_targetILNS1_3genE10ELNS1_11target_archE1200ELNS1_3gpuE4ELNS1_3repE0EEENS1_30default_config_static_selectorELNS0_4arch9wavefront6targetE1EEEvT1_
	.p2align	8
	.type	_ZN7rocprim17ROCPRIM_400000_NS6detail17trampoline_kernelINS0_14default_configENS1_25partition_config_selectorILNS1_17partition_subalgoE1EiNS0_10empty_typeEbEEZZNS1_14partition_implILS5_1ELb0ES3_jN6thrust23THRUST_200600_302600_NS6detail15normal_iteratorINSA_10device_ptrIiEEEEPS6_NSA_18transform_iteratorI7is_evenIiESF_NSA_11use_defaultESK_EENS0_5tupleIJNSA_16discard_iteratorISK_EESF_EEENSM_IJSG_SG_EEES6_PlJS6_EEE10hipError_tPvRmT3_T4_T5_T6_T7_T9_mT8_P12ihipStream_tbDpT10_ENKUlT_T0_E_clISt17integral_constantIbLb1EES1A_IbLb0EEEEDaS16_S17_EUlS16_E_NS1_11comp_targetILNS1_3genE10ELNS1_11target_archE1200ELNS1_3gpuE4ELNS1_3repE0EEENS1_30default_config_static_selectorELNS0_4arch9wavefront6targetE1EEEvT1_,@function
_ZN7rocprim17ROCPRIM_400000_NS6detail17trampoline_kernelINS0_14default_configENS1_25partition_config_selectorILNS1_17partition_subalgoE1EiNS0_10empty_typeEbEEZZNS1_14partition_implILS5_1ELb0ES3_jN6thrust23THRUST_200600_302600_NS6detail15normal_iteratorINSA_10device_ptrIiEEEEPS6_NSA_18transform_iteratorI7is_evenIiESF_NSA_11use_defaultESK_EENS0_5tupleIJNSA_16discard_iteratorISK_EESF_EEENSM_IJSG_SG_EEES6_PlJS6_EEE10hipError_tPvRmT3_T4_T5_T6_T7_T9_mT8_P12ihipStream_tbDpT10_ENKUlT_T0_E_clISt17integral_constantIbLb1EES1A_IbLb0EEEEDaS16_S17_EUlS16_E_NS1_11comp_targetILNS1_3genE10ELNS1_11target_archE1200ELNS1_3gpuE4ELNS1_3repE0EEENS1_30default_config_static_selectorELNS0_4arch9wavefront6targetE1EEEvT1_: ; @_ZN7rocprim17ROCPRIM_400000_NS6detail17trampoline_kernelINS0_14default_configENS1_25partition_config_selectorILNS1_17partition_subalgoE1EiNS0_10empty_typeEbEEZZNS1_14partition_implILS5_1ELb0ES3_jN6thrust23THRUST_200600_302600_NS6detail15normal_iteratorINSA_10device_ptrIiEEEEPS6_NSA_18transform_iteratorI7is_evenIiESF_NSA_11use_defaultESK_EENS0_5tupleIJNSA_16discard_iteratorISK_EESF_EEENSM_IJSG_SG_EEES6_PlJS6_EEE10hipError_tPvRmT3_T4_T5_T6_T7_T9_mT8_P12ihipStream_tbDpT10_ENKUlT_T0_E_clISt17integral_constantIbLb1EES1A_IbLb0EEEEDaS16_S17_EUlS16_E_NS1_11comp_targetILNS1_3genE10ELNS1_11target_archE1200ELNS1_3gpuE4ELNS1_3repE0EEENS1_30default_config_static_selectorELNS0_4arch9wavefront6targetE1EEEvT1_
; %bb.0:
	.section	.rodata,"a",@progbits
	.p2align	6, 0x0
	.amdhsa_kernel _ZN7rocprim17ROCPRIM_400000_NS6detail17trampoline_kernelINS0_14default_configENS1_25partition_config_selectorILNS1_17partition_subalgoE1EiNS0_10empty_typeEbEEZZNS1_14partition_implILS5_1ELb0ES3_jN6thrust23THRUST_200600_302600_NS6detail15normal_iteratorINSA_10device_ptrIiEEEEPS6_NSA_18transform_iteratorI7is_evenIiESF_NSA_11use_defaultESK_EENS0_5tupleIJNSA_16discard_iteratorISK_EESF_EEENSM_IJSG_SG_EEES6_PlJS6_EEE10hipError_tPvRmT3_T4_T5_T6_T7_T9_mT8_P12ihipStream_tbDpT10_ENKUlT_T0_E_clISt17integral_constantIbLb1EES1A_IbLb0EEEEDaS16_S17_EUlS16_E_NS1_11comp_targetILNS1_3genE10ELNS1_11target_archE1200ELNS1_3gpuE4ELNS1_3repE0EEENS1_30default_config_static_selectorELNS0_4arch9wavefront6targetE1EEEvT1_
		.amdhsa_group_segment_fixed_size 0
		.amdhsa_private_segment_fixed_size 0
		.amdhsa_kernarg_size 136
		.amdhsa_user_sgpr_count 2
		.amdhsa_user_sgpr_dispatch_ptr 0
		.amdhsa_user_sgpr_queue_ptr 0
		.amdhsa_user_sgpr_kernarg_segment_ptr 1
		.amdhsa_user_sgpr_dispatch_id 0
		.amdhsa_user_sgpr_kernarg_preload_length 0
		.amdhsa_user_sgpr_kernarg_preload_offset 0
		.amdhsa_user_sgpr_private_segment_size 0
		.amdhsa_uses_dynamic_stack 0
		.amdhsa_enable_private_segment 0
		.amdhsa_system_sgpr_workgroup_id_x 1
		.amdhsa_system_sgpr_workgroup_id_y 0
		.amdhsa_system_sgpr_workgroup_id_z 0
		.amdhsa_system_sgpr_workgroup_info 0
		.amdhsa_system_vgpr_workitem_id 0
		.amdhsa_next_free_vgpr 1
		.amdhsa_next_free_sgpr 0
		.amdhsa_accum_offset 4
		.amdhsa_reserve_vcc 0
		.amdhsa_float_round_mode_32 0
		.amdhsa_float_round_mode_16_64 0
		.amdhsa_float_denorm_mode_32 3
		.amdhsa_float_denorm_mode_16_64 3
		.amdhsa_dx10_clamp 1
		.amdhsa_ieee_mode 1
		.amdhsa_fp16_overflow 0
		.amdhsa_tg_split 0
		.amdhsa_exception_fp_ieee_invalid_op 0
		.amdhsa_exception_fp_denorm_src 0
		.amdhsa_exception_fp_ieee_div_zero 0
		.amdhsa_exception_fp_ieee_overflow 0
		.amdhsa_exception_fp_ieee_underflow 0
		.amdhsa_exception_fp_ieee_inexact 0
		.amdhsa_exception_int_div_zero 0
	.end_amdhsa_kernel
	.section	.text._ZN7rocprim17ROCPRIM_400000_NS6detail17trampoline_kernelINS0_14default_configENS1_25partition_config_selectorILNS1_17partition_subalgoE1EiNS0_10empty_typeEbEEZZNS1_14partition_implILS5_1ELb0ES3_jN6thrust23THRUST_200600_302600_NS6detail15normal_iteratorINSA_10device_ptrIiEEEEPS6_NSA_18transform_iteratorI7is_evenIiESF_NSA_11use_defaultESK_EENS0_5tupleIJNSA_16discard_iteratorISK_EESF_EEENSM_IJSG_SG_EEES6_PlJS6_EEE10hipError_tPvRmT3_T4_T5_T6_T7_T9_mT8_P12ihipStream_tbDpT10_ENKUlT_T0_E_clISt17integral_constantIbLb1EES1A_IbLb0EEEEDaS16_S17_EUlS16_E_NS1_11comp_targetILNS1_3genE10ELNS1_11target_archE1200ELNS1_3gpuE4ELNS1_3repE0EEENS1_30default_config_static_selectorELNS0_4arch9wavefront6targetE1EEEvT1_,"axG",@progbits,_ZN7rocprim17ROCPRIM_400000_NS6detail17trampoline_kernelINS0_14default_configENS1_25partition_config_selectorILNS1_17partition_subalgoE1EiNS0_10empty_typeEbEEZZNS1_14partition_implILS5_1ELb0ES3_jN6thrust23THRUST_200600_302600_NS6detail15normal_iteratorINSA_10device_ptrIiEEEEPS6_NSA_18transform_iteratorI7is_evenIiESF_NSA_11use_defaultESK_EENS0_5tupleIJNSA_16discard_iteratorISK_EESF_EEENSM_IJSG_SG_EEES6_PlJS6_EEE10hipError_tPvRmT3_T4_T5_T6_T7_T9_mT8_P12ihipStream_tbDpT10_ENKUlT_T0_E_clISt17integral_constantIbLb1EES1A_IbLb0EEEEDaS16_S17_EUlS16_E_NS1_11comp_targetILNS1_3genE10ELNS1_11target_archE1200ELNS1_3gpuE4ELNS1_3repE0EEENS1_30default_config_static_selectorELNS0_4arch9wavefront6targetE1EEEvT1_,comdat
.Lfunc_end3344:
	.size	_ZN7rocprim17ROCPRIM_400000_NS6detail17trampoline_kernelINS0_14default_configENS1_25partition_config_selectorILNS1_17partition_subalgoE1EiNS0_10empty_typeEbEEZZNS1_14partition_implILS5_1ELb0ES3_jN6thrust23THRUST_200600_302600_NS6detail15normal_iteratorINSA_10device_ptrIiEEEEPS6_NSA_18transform_iteratorI7is_evenIiESF_NSA_11use_defaultESK_EENS0_5tupleIJNSA_16discard_iteratorISK_EESF_EEENSM_IJSG_SG_EEES6_PlJS6_EEE10hipError_tPvRmT3_T4_T5_T6_T7_T9_mT8_P12ihipStream_tbDpT10_ENKUlT_T0_E_clISt17integral_constantIbLb1EES1A_IbLb0EEEEDaS16_S17_EUlS16_E_NS1_11comp_targetILNS1_3genE10ELNS1_11target_archE1200ELNS1_3gpuE4ELNS1_3repE0EEENS1_30default_config_static_selectorELNS0_4arch9wavefront6targetE1EEEvT1_, .Lfunc_end3344-_ZN7rocprim17ROCPRIM_400000_NS6detail17trampoline_kernelINS0_14default_configENS1_25partition_config_selectorILNS1_17partition_subalgoE1EiNS0_10empty_typeEbEEZZNS1_14partition_implILS5_1ELb0ES3_jN6thrust23THRUST_200600_302600_NS6detail15normal_iteratorINSA_10device_ptrIiEEEEPS6_NSA_18transform_iteratorI7is_evenIiESF_NSA_11use_defaultESK_EENS0_5tupleIJNSA_16discard_iteratorISK_EESF_EEENSM_IJSG_SG_EEES6_PlJS6_EEE10hipError_tPvRmT3_T4_T5_T6_T7_T9_mT8_P12ihipStream_tbDpT10_ENKUlT_T0_E_clISt17integral_constantIbLb1EES1A_IbLb0EEEEDaS16_S17_EUlS16_E_NS1_11comp_targetILNS1_3genE10ELNS1_11target_archE1200ELNS1_3gpuE4ELNS1_3repE0EEENS1_30default_config_static_selectorELNS0_4arch9wavefront6targetE1EEEvT1_
                                        ; -- End function
	.section	.AMDGPU.csdata,"",@progbits
; Kernel info:
; codeLenInByte = 0
; NumSgprs: 6
; NumVgprs: 0
; NumAgprs: 0
; TotalNumVgprs: 0
; ScratchSize: 0
; MemoryBound: 0
; FloatMode: 240
; IeeeMode: 1
; LDSByteSize: 0 bytes/workgroup (compile time only)
; SGPRBlocks: 0
; VGPRBlocks: 0
; NumSGPRsForWavesPerEU: 6
; NumVGPRsForWavesPerEU: 1
; AccumOffset: 4
; Occupancy: 8
; WaveLimiterHint : 0
; COMPUTE_PGM_RSRC2:SCRATCH_EN: 0
; COMPUTE_PGM_RSRC2:USER_SGPR: 2
; COMPUTE_PGM_RSRC2:TRAP_HANDLER: 0
; COMPUTE_PGM_RSRC2:TGID_X_EN: 1
; COMPUTE_PGM_RSRC2:TGID_Y_EN: 0
; COMPUTE_PGM_RSRC2:TGID_Z_EN: 0
; COMPUTE_PGM_RSRC2:TIDIG_COMP_CNT: 0
; COMPUTE_PGM_RSRC3_GFX90A:ACCUM_OFFSET: 0
; COMPUTE_PGM_RSRC3_GFX90A:TG_SPLIT: 0
	.section	.text._ZN7rocprim17ROCPRIM_400000_NS6detail17trampoline_kernelINS0_14default_configENS1_25partition_config_selectorILNS1_17partition_subalgoE1EiNS0_10empty_typeEbEEZZNS1_14partition_implILS5_1ELb0ES3_jN6thrust23THRUST_200600_302600_NS6detail15normal_iteratorINSA_10device_ptrIiEEEEPS6_NSA_18transform_iteratorI7is_evenIiESF_NSA_11use_defaultESK_EENS0_5tupleIJNSA_16discard_iteratorISK_EESF_EEENSM_IJSG_SG_EEES6_PlJS6_EEE10hipError_tPvRmT3_T4_T5_T6_T7_T9_mT8_P12ihipStream_tbDpT10_ENKUlT_T0_E_clISt17integral_constantIbLb1EES1A_IbLb0EEEEDaS16_S17_EUlS16_E_NS1_11comp_targetILNS1_3genE9ELNS1_11target_archE1100ELNS1_3gpuE3ELNS1_3repE0EEENS1_30default_config_static_selectorELNS0_4arch9wavefront6targetE1EEEvT1_,"axG",@progbits,_ZN7rocprim17ROCPRIM_400000_NS6detail17trampoline_kernelINS0_14default_configENS1_25partition_config_selectorILNS1_17partition_subalgoE1EiNS0_10empty_typeEbEEZZNS1_14partition_implILS5_1ELb0ES3_jN6thrust23THRUST_200600_302600_NS6detail15normal_iteratorINSA_10device_ptrIiEEEEPS6_NSA_18transform_iteratorI7is_evenIiESF_NSA_11use_defaultESK_EENS0_5tupleIJNSA_16discard_iteratorISK_EESF_EEENSM_IJSG_SG_EEES6_PlJS6_EEE10hipError_tPvRmT3_T4_T5_T6_T7_T9_mT8_P12ihipStream_tbDpT10_ENKUlT_T0_E_clISt17integral_constantIbLb1EES1A_IbLb0EEEEDaS16_S17_EUlS16_E_NS1_11comp_targetILNS1_3genE9ELNS1_11target_archE1100ELNS1_3gpuE3ELNS1_3repE0EEENS1_30default_config_static_selectorELNS0_4arch9wavefront6targetE1EEEvT1_,comdat
	.protected	_ZN7rocprim17ROCPRIM_400000_NS6detail17trampoline_kernelINS0_14default_configENS1_25partition_config_selectorILNS1_17partition_subalgoE1EiNS0_10empty_typeEbEEZZNS1_14partition_implILS5_1ELb0ES3_jN6thrust23THRUST_200600_302600_NS6detail15normal_iteratorINSA_10device_ptrIiEEEEPS6_NSA_18transform_iteratorI7is_evenIiESF_NSA_11use_defaultESK_EENS0_5tupleIJNSA_16discard_iteratorISK_EESF_EEENSM_IJSG_SG_EEES6_PlJS6_EEE10hipError_tPvRmT3_T4_T5_T6_T7_T9_mT8_P12ihipStream_tbDpT10_ENKUlT_T0_E_clISt17integral_constantIbLb1EES1A_IbLb0EEEEDaS16_S17_EUlS16_E_NS1_11comp_targetILNS1_3genE9ELNS1_11target_archE1100ELNS1_3gpuE3ELNS1_3repE0EEENS1_30default_config_static_selectorELNS0_4arch9wavefront6targetE1EEEvT1_ ; -- Begin function _ZN7rocprim17ROCPRIM_400000_NS6detail17trampoline_kernelINS0_14default_configENS1_25partition_config_selectorILNS1_17partition_subalgoE1EiNS0_10empty_typeEbEEZZNS1_14partition_implILS5_1ELb0ES3_jN6thrust23THRUST_200600_302600_NS6detail15normal_iteratorINSA_10device_ptrIiEEEEPS6_NSA_18transform_iteratorI7is_evenIiESF_NSA_11use_defaultESK_EENS0_5tupleIJNSA_16discard_iteratorISK_EESF_EEENSM_IJSG_SG_EEES6_PlJS6_EEE10hipError_tPvRmT3_T4_T5_T6_T7_T9_mT8_P12ihipStream_tbDpT10_ENKUlT_T0_E_clISt17integral_constantIbLb1EES1A_IbLb0EEEEDaS16_S17_EUlS16_E_NS1_11comp_targetILNS1_3genE9ELNS1_11target_archE1100ELNS1_3gpuE3ELNS1_3repE0EEENS1_30default_config_static_selectorELNS0_4arch9wavefront6targetE1EEEvT1_
	.globl	_ZN7rocprim17ROCPRIM_400000_NS6detail17trampoline_kernelINS0_14default_configENS1_25partition_config_selectorILNS1_17partition_subalgoE1EiNS0_10empty_typeEbEEZZNS1_14partition_implILS5_1ELb0ES3_jN6thrust23THRUST_200600_302600_NS6detail15normal_iteratorINSA_10device_ptrIiEEEEPS6_NSA_18transform_iteratorI7is_evenIiESF_NSA_11use_defaultESK_EENS0_5tupleIJNSA_16discard_iteratorISK_EESF_EEENSM_IJSG_SG_EEES6_PlJS6_EEE10hipError_tPvRmT3_T4_T5_T6_T7_T9_mT8_P12ihipStream_tbDpT10_ENKUlT_T0_E_clISt17integral_constantIbLb1EES1A_IbLb0EEEEDaS16_S17_EUlS16_E_NS1_11comp_targetILNS1_3genE9ELNS1_11target_archE1100ELNS1_3gpuE3ELNS1_3repE0EEENS1_30default_config_static_selectorELNS0_4arch9wavefront6targetE1EEEvT1_
	.p2align	8
	.type	_ZN7rocprim17ROCPRIM_400000_NS6detail17trampoline_kernelINS0_14default_configENS1_25partition_config_selectorILNS1_17partition_subalgoE1EiNS0_10empty_typeEbEEZZNS1_14partition_implILS5_1ELb0ES3_jN6thrust23THRUST_200600_302600_NS6detail15normal_iteratorINSA_10device_ptrIiEEEEPS6_NSA_18transform_iteratorI7is_evenIiESF_NSA_11use_defaultESK_EENS0_5tupleIJNSA_16discard_iteratorISK_EESF_EEENSM_IJSG_SG_EEES6_PlJS6_EEE10hipError_tPvRmT3_T4_T5_T6_T7_T9_mT8_P12ihipStream_tbDpT10_ENKUlT_T0_E_clISt17integral_constantIbLb1EES1A_IbLb0EEEEDaS16_S17_EUlS16_E_NS1_11comp_targetILNS1_3genE9ELNS1_11target_archE1100ELNS1_3gpuE3ELNS1_3repE0EEENS1_30default_config_static_selectorELNS0_4arch9wavefront6targetE1EEEvT1_,@function
_ZN7rocprim17ROCPRIM_400000_NS6detail17trampoline_kernelINS0_14default_configENS1_25partition_config_selectorILNS1_17partition_subalgoE1EiNS0_10empty_typeEbEEZZNS1_14partition_implILS5_1ELb0ES3_jN6thrust23THRUST_200600_302600_NS6detail15normal_iteratorINSA_10device_ptrIiEEEEPS6_NSA_18transform_iteratorI7is_evenIiESF_NSA_11use_defaultESK_EENS0_5tupleIJNSA_16discard_iteratorISK_EESF_EEENSM_IJSG_SG_EEES6_PlJS6_EEE10hipError_tPvRmT3_T4_T5_T6_T7_T9_mT8_P12ihipStream_tbDpT10_ENKUlT_T0_E_clISt17integral_constantIbLb1EES1A_IbLb0EEEEDaS16_S17_EUlS16_E_NS1_11comp_targetILNS1_3genE9ELNS1_11target_archE1100ELNS1_3gpuE3ELNS1_3repE0EEENS1_30default_config_static_selectorELNS0_4arch9wavefront6targetE1EEEvT1_: ; @_ZN7rocprim17ROCPRIM_400000_NS6detail17trampoline_kernelINS0_14default_configENS1_25partition_config_selectorILNS1_17partition_subalgoE1EiNS0_10empty_typeEbEEZZNS1_14partition_implILS5_1ELb0ES3_jN6thrust23THRUST_200600_302600_NS6detail15normal_iteratorINSA_10device_ptrIiEEEEPS6_NSA_18transform_iteratorI7is_evenIiESF_NSA_11use_defaultESK_EENS0_5tupleIJNSA_16discard_iteratorISK_EESF_EEENSM_IJSG_SG_EEES6_PlJS6_EEE10hipError_tPvRmT3_T4_T5_T6_T7_T9_mT8_P12ihipStream_tbDpT10_ENKUlT_T0_E_clISt17integral_constantIbLb1EES1A_IbLb0EEEEDaS16_S17_EUlS16_E_NS1_11comp_targetILNS1_3genE9ELNS1_11target_archE1100ELNS1_3gpuE3ELNS1_3repE0EEENS1_30default_config_static_selectorELNS0_4arch9wavefront6targetE1EEEvT1_
; %bb.0:
	.section	.rodata,"a",@progbits
	.p2align	6, 0x0
	.amdhsa_kernel _ZN7rocprim17ROCPRIM_400000_NS6detail17trampoline_kernelINS0_14default_configENS1_25partition_config_selectorILNS1_17partition_subalgoE1EiNS0_10empty_typeEbEEZZNS1_14partition_implILS5_1ELb0ES3_jN6thrust23THRUST_200600_302600_NS6detail15normal_iteratorINSA_10device_ptrIiEEEEPS6_NSA_18transform_iteratorI7is_evenIiESF_NSA_11use_defaultESK_EENS0_5tupleIJNSA_16discard_iteratorISK_EESF_EEENSM_IJSG_SG_EEES6_PlJS6_EEE10hipError_tPvRmT3_T4_T5_T6_T7_T9_mT8_P12ihipStream_tbDpT10_ENKUlT_T0_E_clISt17integral_constantIbLb1EES1A_IbLb0EEEEDaS16_S17_EUlS16_E_NS1_11comp_targetILNS1_3genE9ELNS1_11target_archE1100ELNS1_3gpuE3ELNS1_3repE0EEENS1_30default_config_static_selectorELNS0_4arch9wavefront6targetE1EEEvT1_
		.amdhsa_group_segment_fixed_size 0
		.amdhsa_private_segment_fixed_size 0
		.amdhsa_kernarg_size 136
		.amdhsa_user_sgpr_count 2
		.amdhsa_user_sgpr_dispatch_ptr 0
		.amdhsa_user_sgpr_queue_ptr 0
		.amdhsa_user_sgpr_kernarg_segment_ptr 1
		.amdhsa_user_sgpr_dispatch_id 0
		.amdhsa_user_sgpr_kernarg_preload_length 0
		.amdhsa_user_sgpr_kernarg_preload_offset 0
		.amdhsa_user_sgpr_private_segment_size 0
		.amdhsa_uses_dynamic_stack 0
		.amdhsa_enable_private_segment 0
		.amdhsa_system_sgpr_workgroup_id_x 1
		.amdhsa_system_sgpr_workgroup_id_y 0
		.amdhsa_system_sgpr_workgroup_id_z 0
		.amdhsa_system_sgpr_workgroup_info 0
		.amdhsa_system_vgpr_workitem_id 0
		.amdhsa_next_free_vgpr 1
		.amdhsa_next_free_sgpr 0
		.amdhsa_accum_offset 4
		.amdhsa_reserve_vcc 0
		.amdhsa_float_round_mode_32 0
		.amdhsa_float_round_mode_16_64 0
		.amdhsa_float_denorm_mode_32 3
		.amdhsa_float_denorm_mode_16_64 3
		.amdhsa_dx10_clamp 1
		.amdhsa_ieee_mode 1
		.amdhsa_fp16_overflow 0
		.amdhsa_tg_split 0
		.amdhsa_exception_fp_ieee_invalid_op 0
		.amdhsa_exception_fp_denorm_src 0
		.amdhsa_exception_fp_ieee_div_zero 0
		.amdhsa_exception_fp_ieee_overflow 0
		.amdhsa_exception_fp_ieee_underflow 0
		.amdhsa_exception_fp_ieee_inexact 0
		.amdhsa_exception_int_div_zero 0
	.end_amdhsa_kernel
	.section	.text._ZN7rocprim17ROCPRIM_400000_NS6detail17trampoline_kernelINS0_14default_configENS1_25partition_config_selectorILNS1_17partition_subalgoE1EiNS0_10empty_typeEbEEZZNS1_14partition_implILS5_1ELb0ES3_jN6thrust23THRUST_200600_302600_NS6detail15normal_iteratorINSA_10device_ptrIiEEEEPS6_NSA_18transform_iteratorI7is_evenIiESF_NSA_11use_defaultESK_EENS0_5tupleIJNSA_16discard_iteratorISK_EESF_EEENSM_IJSG_SG_EEES6_PlJS6_EEE10hipError_tPvRmT3_T4_T5_T6_T7_T9_mT8_P12ihipStream_tbDpT10_ENKUlT_T0_E_clISt17integral_constantIbLb1EES1A_IbLb0EEEEDaS16_S17_EUlS16_E_NS1_11comp_targetILNS1_3genE9ELNS1_11target_archE1100ELNS1_3gpuE3ELNS1_3repE0EEENS1_30default_config_static_selectorELNS0_4arch9wavefront6targetE1EEEvT1_,"axG",@progbits,_ZN7rocprim17ROCPRIM_400000_NS6detail17trampoline_kernelINS0_14default_configENS1_25partition_config_selectorILNS1_17partition_subalgoE1EiNS0_10empty_typeEbEEZZNS1_14partition_implILS5_1ELb0ES3_jN6thrust23THRUST_200600_302600_NS6detail15normal_iteratorINSA_10device_ptrIiEEEEPS6_NSA_18transform_iteratorI7is_evenIiESF_NSA_11use_defaultESK_EENS0_5tupleIJNSA_16discard_iteratorISK_EESF_EEENSM_IJSG_SG_EEES6_PlJS6_EEE10hipError_tPvRmT3_T4_T5_T6_T7_T9_mT8_P12ihipStream_tbDpT10_ENKUlT_T0_E_clISt17integral_constantIbLb1EES1A_IbLb0EEEEDaS16_S17_EUlS16_E_NS1_11comp_targetILNS1_3genE9ELNS1_11target_archE1100ELNS1_3gpuE3ELNS1_3repE0EEENS1_30default_config_static_selectorELNS0_4arch9wavefront6targetE1EEEvT1_,comdat
.Lfunc_end3345:
	.size	_ZN7rocprim17ROCPRIM_400000_NS6detail17trampoline_kernelINS0_14default_configENS1_25partition_config_selectorILNS1_17partition_subalgoE1EiNS0_10empty_typeEbEEZZNS1_14partition_implILS5_1ELb0ES3_jN6thrust23THRUST_200600_302600_NS6detail15normal_iteratorINSA_10device_ptrIiEEEEPS6_NSA_18transform_iteratorI7is_evenIiESF_NSA_11use_defaultESK_EENS0_5tupleIJNSA_16discard_iteratorISK_EESF_EEENSM_IJSG_SG_EEES6_PlJS6_EEE10hipError_tPvRmT3_T4_T5_T6_T7_T9_mT8_P12ihipStream_tbDpT10_ENKUlT_T0_E_clISt17integral_constantIbLb1EES1A_IbLb0EEEEDaS16_S17_EUlS16_E_NS1_11comp_targetILNS1_3genE9ELNS1_11target_archE1100ELNS1_3gpuE3ELNS1_3repE0EEENS1_30default_config_static_selectorELNS0_4arch9wavefront6targetE1EEEvT1_, .Lfunc_end3345-_ZN7rocprim17ROCPRIM_400000_NS6detail17trampoline_kernelINS0_14default_configENS1_25partition_config_selectorILNS1_17partition_subalgoE1EiNS0_10empty_typeEbEEZZNS1_14partition_implILS5_1ELb0ES3_jN6thrust23THRUST_200600_302600_NS6detail15normal_iteratorINSA_10device_ptrIiEEEEPS6_NSA_18transform_iteratorI7is_evenIiESF_NSA_11use_defaultESK_EENS0_5tupleIJNSA_16discard_iteratorISK_EESF_EEENSM_IJSG_SG_EEES6_PlJS6_EEE10hipError_tPvRmT3_T4_T5_T6_T7_T9_mT8_P12ihipStream_tbDpT10_ENKUlT_T0_E_clISt17integral_constantIbLb1EES1A_IbLb0EEEEDaS16_S17_EUlS16_E_NS1_11comp_targetILNS1_3genE9ELNS1_11target_archE1100ELNS1_3gpuE3ELNS1_3repE0EEENS1_30default_config_static_selectorELNS0_4arch9wavefront6targetE1EEEvT1_
                                        ; -- End function
	.section	.AMDGPU.csdata,"",@progbits
; Kernel info:
; codeLenInByte = 0
; NumSgprs: 6
; NumVgprs: 0
; NumAgprs: 0
; TotalNumVgprs: 0
; ScratchSize: 0
; MemoryBound: 0
; FloatMode: 240
; IeeeMode: 1
; LDSByteSize: 0 bytes/workgroup (compile time only)
; SGPRBlocks: 0
; VGPRBlocks: 0
; NumSGPRsForWavesPerEU: 6
; NumVGPRsForWavesPerEU: 1
; AccumOffset: 4
; Occupancy: 8
; WaveLimiterHint : 0
; COMPUTE_PGM_RSRC2:SCRATCH_EN: 0
; COMPUTE_PGM_RSRC2:USER_SGPR: 2
; COMPUTE_PGM_RSRC2:TRAP_HANDLER: 0
; COMPUTE_PGM_RSRC2:TGID_X_EN: 1
; COMPUTE_PGM_RSRC2:TGID_Y_EN: 0
; COMPUTE_PGM_RSRC2:TGID_Z_EN: 0
; COMPUTE_PGM_RSRC2:TIDIG_COMP_CNT: 0
; COMPUTE_PGM_RSRC3_GFX90A:ACCUM_OFFSET: 0
; COMPUTE_PGM_RSRC3_GFX90A:TG_SPLIT: 0
	.section	.text._ZN7rocprim17ROCPRIM_400000_NS6detail17trampoline_kernelINS0_14default_configENS1_25partition_config_selectorILNS1_17partition_subalgoE1EiNS0_10empty_typeEbEEZZNS1_14partition_implILS5_1ELb0ES3_jN6thrust23THRUST_200600_302600_NS6detail15normal_iteratorINSA_10device_ptrIiEEEEPS6_NSA_18transform_iteratorI7is_evenIiESF_NSA_11use_defaultESK_EENS0_5tupleIJNSA_16discard_iteratorISK_EESF_EEENSM_IJSG_SG_EEES6_PlJS6_EEE10hipError_tPvRmT3_T4_T5_T6_T7_T9_mT8_P12ihipStream_tbDpT10_ENKUlT_T0_E_clISt17integral_constantIbLb1EES1A_IbLb0EEEEDaS16_S17_EUlS16_E_NS1_11comp_targetILNS1_3genE8ELNS1_11target_archE1030ELNS1_3gpuE2ELNS1_3repE0EEENS1_30default_config_static_selectorELNS0_4arch9wavefront6targetE1EEEvT1_,"axG",@progbits,_ZN7rocprim17ROCPRIM_400000_NS6detail17trampoline_kernelINS0_14default_configENS1_25partition_config_selectorILNS1_17partition_subalgoE1EiNS0_10empty_typeEbEEZZNS1_14partition_implILS5_1ELb0ES3_jN6thrust23THRUST_200600_302600_NS6detail15normal_iteratorINSA_10device_ptrIiEEEEPS6_NSA_18transform_iteratorI7is_evenIiESF_NSA_11use_defaultESK_EENS0_5tupleIJNSA_16discard_iteratorISK_EESF_EEENSM_IJSG_SG_EEES6_PlJS6_EEE10hipError_tPvRmT3_T4_T5_T6_T7_T9_mT8_P12ihipStream_tbDpT10_ENKUlT_T0_E_clISt17integral_constantIbLb1EES1A_IbLb0EEEEDaS16_S17_EUlS16_E_NS1_11comp_targetILNS1_3genE8ELNS1_11target_archE1030ELNS1_3gpuE2ELNS1_3repE0EEENS1_30default_config_static_selectorELNS0_4arch9wavefront6targetE1EEEvT1_,comdat
	.protected	_ZN7rocprim17ROCPRIM_400000_NS6detail17trampoline_kernelINS0_14default_configENS1_25partition_config_selectorILNS1_17partition_subalgoE1EiNS0_10empty_typeEbEEZZNS1_14partition_implILS5_1ELb0ES3_jN6thrust23THRUST_200600_302600_NS6detail15normal_iteratorINSA_10device_ptrIiEEEEPS6_NSA_18transform_iteratorI7is_evenIiESF_NSA_11use_defaultESK_EENS0_5tupleIJNSA_16discard_iteratorISK_EESF_EEENSM_IJSG_SG_EEES6_PlJS6_EEE10hipError_tPvRmT3_T4_T5_T6_T7_T9_mT8_P12ihipStream_tbDpT10_ENKUlT_T0_E_clISt17integral_constantIbLb1EES1A_IbLb0EEEEDaS16_S17_EUlS16_E_NS1_11comp_targetILNS1_3genE8ELNS1_11target_archE1030ELNS1_3gpuE2ELNS1_3repE0EEENS1_30default_config_static_selectorELNS0_4arch9wavefront6targetE1EEEvT1_ ; -- Begin function _ZN7rocprim17ROCPRIM_400000_NS6detail17trampoline_kernelINS0_14default_configENS1_25partition_config_selectorILNS1_17partition_subalgoE1EiNS0_10empty_typeEbEEZZNS1_14partition_implILS5_1ELb0ES3_jN6thrust23THRUST_200600_302600_NS6detail15normal_iteratorINSA_10device_ptrIiEEEEPS6_NSA_18transform_iteratorI7is_evenIiESF_NSA_11use_defaultESK_EENS0_5tupleIJNSA_16discard_iteratorISK_EESF_EEENSM_IJSG_SG_EEES6_PlJS6_EEE10hipError_tPvRmT3_T4_T5_T6_T7_T9_mT8_P12ihipStream_tbDpT10_ENKUlT_T0_E_clISt17integral_constantIbLb1EES1A_IbLb0EEEEDaS16_S17_EUlS16_E_NS1_11comp_targetILNS1_3genE8ELNS1_11target_archE1030ELNS1_3gpuE2ELNS1_3repE0EEENS1_30default_config_static_selectorELNS0_4arch9wavefront6targetE1EEEvT1_
	.globl	_ZN7rocprim17ROCPRIM_400000_NS6detail17trampoline_kernelINS0_14default_configENS1_25partition_config_selectorILNS1_17partition_subalgoE1EiNS0_10empty_typeEbEEZZNS1_14partition_implILS5_1ELb0ES3_jN6thrust23THRUST_200600_302600_NS6detail15normal_iteratorINSA_10device_ptrIiEEEEPS6_NSA_18transform_iteratorI7is_evenIiESF_NSA_11use_defaultESK_EENS0_5tupleIJNSA_16discard_iteratorISK_EESF_EEENSM_IJSG_SG_EEES6_PlJS6_EEE10hipError_tPvRmT3_T4_T5_T6_T7_T9_mT8_P12ihipStream_tbDpT10_ENKUlT_T0_E_clISt17integral_constantIbLb1EES1A_IbLb0EEEEDaS16_S17_EUlS16_E_NS1_11comp_targetILNS1_3genE8ELNS1_11target_archE1030ELNS1_3gpuE2ELNS1_3repE0EEENS1_30default_config_static_selectorELNS0_4arch9wavefront6targetE1EEEvT1_
	.p2align	8
	.type	_ZN7rocprim17ROCPRIM_400000_NS6detail17trampoline_kernelINS0_14default_configENS1_25partition_config_selectorILNS1_17partition_subalgoE1EiNS0_10empty_typeEbEEZZNS1_14partition_implILS5_1ELb0ES3_jN6thrust23THRUST_200600_302600_NS6detail15normal_iteratorINSA_10device_ptrIiEEEEPS6_NSA_18transform_iteratorI7is_evenIiESF_NSA_11use_defaultESK_EENS0_5tupleIJNSA_16discard_iteratorISK_EESF_EEENSM_IJSG_SG_EEES6_PlJS6_EEE10hipError_tPvRmT3_T4_T5_T6_T7_T9_mT8_P12ihipStream_tbDpT10_ENKUlT_T0_E_clISt17integral_constantIbLb1EES1A_IbLb0EEEEDaS16_S17_EUlS16_E_NS1_11comp_targetILNS1_3genE8ELNS1_11target_archE1030ELNS1_3gpuE2ELNS1_3repE0EEENS1_30default_config_static_selectorELNS0_4arch9wavefront6targetE1EEEvT1_,@function
_ZN7rocprim17ROCPRIM_400000_NS6detail17trampoline_kernelINS0_14default_configENS1_25partition_config_selectorILNS1_17partition_subalgoE1EiNS0_10empty_typeEbEEZZNS1_14partition_implILS5_1ELb0ES3_jN6thrust23THRUST_200600_302600_NS6detail15normal_iteratorINSA_10device_ptrIiEEEEPS6_NSA_18transform_iteratorI7is_evenIiESF_NSA_11use_defaultESK_EENS0_5tupleIJNSA_16discard_iteratorISK_EESF_EEENSM_IJSG_SG_EEES6_PlJS6_EEE10hipError_tPvRmT3_T4_T5_T6_T7_T9_mT8_P12ihipStream_tbDpT10_ENKUlT_T0_E_clISt17integral_constantIbLb1EES1A_IbLb0EEEEDaS16_S17_EUlS16_E_NS1_11comp_targetILNS1_3genE8ELNS1_11target_archE1030ELNS1_3gpuE2ELNS1_3repE0EEENS1_30default_config_static_selectorELNS0_4arch9wavefront6targetE1EEEvT1_: ; @_ZN7rocprim17ROCPRIM_400000_NS6detail17trampoline_kernelINS0_14default_configENS1_25partition_config_selectorILNS1_17partition_subalgoE1EiNS0_10empty_typeEbEEZZNS1_14partition_implILS5_1ELb0ES3_jN6thrust23THRUST_200600_302600_NS6detail15normal_iteratorINSA_10device_ptrIiEEEEPS6_NSA_18transform_iteratorI7is_evenIiESF_NSA_11use_defaultESK_EENS0_5tupleIJNSA_16discard_iteratorISK_EESF_EEENSM_IJSG_SG_EEES6_PlJS6_EEE10hipError_tPvRmT3_T4_T5_T6_T7_T9_mT8_P12ihipStream_tbDpT10_ENKUlT_T0_E_clISt17integral_constantIbLb1EES1A_IbLb0EEEEDaS16_S17_EUlS16_E_NS1_11comp_targetILNS1_3genE8ELNS1_11target_archE1030ELNS1_3gpuE2ELNS1_3repE0EEENS1_30default_config_static_selectorELNS0_4arch9wavefront6targetE1EEEvT1_
; %bb.0:
	.section	.rodata,"a",@progbits
	.p2align	6, 0x0
	.amdhsa_kernel _ZN7rocprim17ROCPRIM_400000_NS6detail17trampoline_kernelINS0_14default_configENS1_25partition_config_selectorILNS1_17partition_subalgoE1EiNS0_10empty_typeEbEEZZNS1_14partition_implILS5_1ELb0ES3_jN6thrust23THRUST_200600_302600_NS6detail15normal_iteratorINSA_10device_ptrIiEEEEPS6_NSA_18transform_iteratorI7is_evenIiESF_NSA_11use_defaultESK_EENS0_5tupleIJNSA_16discard_iteratorISK_EESF_EEENSM_IJSG_SG_EEES6_PlJS6_EEE10hipError_tPvRmT3_T4_T5_T6_T7_T9_mT8_P12ihipStream_tbDpT10_ENKUlT_T0_E_clISt17integral_constantIbLb1EES1A_IbLb0EEEEDaS16_S17_EUlS16_E_NS1_11comp_targetILNS1_3genE8ELNS1_11target_archE1030ELNS1_3gpuE2ELNS1_3repE0EEENS1_30default_config_static_selectorELNS0_4arch9wavefront6targetE1EEEvT1_
		.amdhsa_group_segment_fixed_size 0
		.amdhsa_private_segment_fixed_size 0
		.amdhsa_kernarg_size 136
		.amdhsa_user_sgpr_count 2
		.amdhsa_user_sgpr_dispatch_ptr 0
		.amdhsa_user_sgpr_queue_ptr 0
		.amdhsa_user_sgpr_kernarg_segment_ptr 1
		.amdhsa_user_sgpr_dispatch_id 0
		.amdhsa_user_sgpr_kernarg_preload_length 0
		.amdhsa_user_sgpr_kernarg_preload_offset 0
		.amdhsa_user_sgpr_private_segment_size 0
		.amdhsa_uses_dynamic_stack 0
		.amdhsa_enable_private_segment 0
		.amdhsa_system_sgpr_workgroup_id_x 1
		.amdhsa_system_sgpr_workgroup_id_y 0
		.amdhsa_system_sgpr_workgroup_id_z 0
		.amdhsa_system_sgpr_workgroup_info 0
		.amdhsa_system_vgpr_workitem_id 0
		.amdhsa_next_free_vgpr 1
		.amdhsa_next_free_sgpr 0
		.amdhsa_accum_offset 4
		.amdhsa_reserve_vcc 0
		.amdhsa_float_round_mode_32 0
		.amdhsa_float_round_mode_16_64 0
		.amdhsa_float_denorm_mode_32 3
		.amdhsa_float_denorm_mode_16_64 3
		.amdhsa_dx10_clamp 1
		.amdhsa_ieee_mode 1
		.amdhsa_fp16_overflow 0
		.amdhsa_tg_split 0
		.amdhsa_exception_fp_ieee_invalid_op 0
		.amdhsa_exception_fp_denorm_src 0
		.amdhsa_exception_fp_ieee_div_zero 0
		.amdhsa_exception_fp_ieee_overflow 0
		.amdhsa_exception_fp_ieee_underflow 0
		.amdhsa_exception_fp_ieee_inexact 0
		.amdhsa_exception_int_div_zero 0
	.end_amdhsa_kernel
	.section	.text._ZN7rocprim17ROCPRIM_400000_NS6detail17trampoline_kernelINS0_14default_configENS1_25partition_config_selectorILNS1_17partition_subalgoE1EiNS0_10empty_typeEbEEZZNS1_14partition_implILS5_1ELb0ES3_jN6thrust23THRUST_200600_302600_NS6detail15normal_iteratorINSA_10device_ptrIiEEEEPS6_NSA_18transform_iteratorI7is_evenIiESF_NSA_11use_defaultESK_EENS0_5tupleIJNSA_16discard_iteratorISK_EESF_EEENSM_IJSG_SG_EEES6_PlJS6_EEE10hipError_tPvRmT3_T4_T5_T6_T7_T9_mT8_P12ihipStream_tbDpT10_ENKUlT_T0_E_clISt17integral_constantIbLb1EES1A_IbLb0EEEEDaS16_S17_EUlS16_E_NS1_11comp_targetILNS1_3genE8ELNS1_11target_archE1030ELNS1_3gpuE2ELNS1_3repE0EEENS1_30default_config_static_selectorELNS0_4arch9wavefront6targetE1EEEvT1_,"axG",@progbits,_ZN7rocprim17ROCPRIM_400000_NS6detail17trampoline_kernelINS0_14default_configENS1_25partition_config_selectorILNS1_17partition_subalgoE1EiNS0_10empty_typeEbEEZZNS1_14partition_implILS5_1ELb0ES3_jN6thrust23THRUST_200600_302600_NS6detail15normal_iteratorINSA_10device_ptrIiEEEEPS6_NSA_18transform_iteratorI7is_evenIiESF_NSA_11use_defaultESK_EENS0_5tupleIJNSA_16discard_iteratorISK_EESF_EEENSM_IJSG_SG_EEES6_PlJS6_EEE10hipError_tPvRmT3_T4_T5_T6_T7_T9_mT8_P12ihipStream_tbDpT10_ENKUlT_T0_E_clISt17integral_constantIbLb1EES1A_IbLb0EEEEDaS16_S17_EUlS16_E_NS1_11comp_targetILNS1_3genE8ELNS1_11target_archE1030ELNS1_3gpuE2ELNS1_3repE0EEENS1_30default_config_static_selectorELNS0_4arch9wavefront6targetE1EEEvT1_,comdat
.Lfunc_end3346:
	.size	_ZN7rocprim17ROCPRIM_400000_NS6detail17trampoline_kernelINS0_14default_configENS1_25partition_config_selectorILNS1_17partition_subalgoE1EiNS0_10empty_typeEbEEZZNS1_14partition_implILS5_1ELb0ES3_jN6thrust23THRUST_200600_302600_NS6detail15normal_iteratorINSA_10device_ptrIiEEEEPS6_NSA_18transform_iteratorI7is_evenIiESF_NSA_11use_defaultESK_EENS0_5tupleIJNSA_16discard_iteratorISK_EESF_EEENSM_IJSG_SG_EEES6_PlJS6_EEE10hipError_tPvRmT3_T4_T5_T6_T7_T9_mT8_P12ihipStream_tbDpT10_ENKUlT_T0_E_clISt17integral_constantIbLb1EES1A_IbLb0EEEEDaS16_S17_EUlS16_E_NS1_11comp_targetILNS1_3genE8ELNS1_11target_archE1030ELNS1_3gpuE2ELNS1_3repE0EEENS1_30default_config_static_selectorELNS0_4arch9wavefront6targetE1EEEvT1_, .Lfunc_end3346-_ZN7rocprim17ROCPRIM_400000_NS6detail17trampoline_kernelINS0_14default_configENS1_25partition_config_selectorILNS1_17partition_subalgoE1EiNS0_10empty_typeEbEEZZNS1_14partition_implILS5_1ELb0ES3_jN6thrust23THRUST_200600_302600_NS6detail15normal_iteratorINSA_10device_ptrIiEEEEPS6_NSA_18transform_iteratorI7is_evenIiESF_NSA_11use_defaultESK_EENS0_5tupleIJNSA_16discard_iteratorISK_EESF_EEENSM_IJSG_SG_EEES6_PlJS6_EEE10hipError_tPvRmT3_T4_T5_T6_T7_T9_mT8_P12ihipStream_tbDpT10_ENKUlT_T0_E_clISt17integral_constantIbLb1EES1A_IbLb0EEEEDaS16_S17_EUlS16_E_NS1_11comp_targetILNS1_3genE8ELNS1_11target_archE1030ELNS1_3gpuE2ELNS1_3repE0EEENS1_30default_config_static_selectorELNS0_4arch9wavefront6targetE1EEEvT1_
                                        ; -- End function
	.section	.AMDGPU.csdata,"",@progbits
; Kernel info:
; codeLenInByte = 0
; NumSgprs: 6
; NumVgprs: 0
; NumAgprs: 0
; TotalNumVgprs: 0
; ScratchSize: 0
; MemoryBound: 0
; FloatMode: 240
; IeeeMode: 1
; LDSByteSize: 0 bytes/workgroup (compile time only)
; SGPRBlocks: 0
; VGPRBlocks: 0
; NumSGPRsForWavesPerEU: 6
; NumVGPRsForWavesPerEU: 1
; AccumOffset: 4
; Occupancy: 8
; WaveLimiterHint : 0
; COMPUTE_PGM_RSRC2:SCRATCH_EN: 0
; COMPUTE_PGM_RSRC2:USER_SGPR: 2
; COMPUTE_PGM_RSRC2:TRAP_HANDLER: 0
; COMPUTE_PGM_RSRC2:TGID_X_EN: 1
; COMPUTE_PGM_RSRC2:TGID_Y_EN: 0
; COMPUTE_PGM_RSRC2:TGID_Z_EN: 0
; COMPUTE_PGM_RSRC2:TIDIG_COMP_CNT: 0
; COMPUTE_PGM_RSRC3_GFX90A:ACCUM_OFFSET: 0
; COMPUTE_PGM_RSRC3_GFX90A:TG_SPLIT: 0
	.section	.text._ZN7rocprim17ROCPRIM_400000_NS6detail17trampoline_kernelINS0_14default_configENS1_25partition_config_selectorILNS1_17partition_subalgoE1EiNS0_10empty_typeEbEEZZNS1_14partition_implILS5_1ELb0ES3_jN6thrust23THRUST_200600_302600_NS6detail15normal_iteratorINSA_10device_ptrIiEEEEPS6_NSA_18transform_iteratorI7is_evenIiESF_NSA_11use_defaultESK_EENS0_5tupleIJNSA_16discard_iteratorISK_EESF_EEENSM_IJSG_SG_EEES6_PlJS6_EEE10hipError_tPvRmT3_T4_T5_T6_T7_T9_mT8_P12ihipStream_tbDpT10_ENKUlT_T0_E_clISt17integral_constantIbLb0EES1A_IbLb1EEEEDaS16_S17_EUlS16_E_NS1_11comp_targetILNS1_3genE0ELNS1_11target_archE4294967295ELNS1_3gpuE0ELNS1_3repE0EEENS1_30default_config_static_selectorELNS0_4arch9wavefront6targetE1EEEvT1_,"axG",@progbits,_ZN7rocprim17ROCPRIM_400000_NS6detail17trampoline_kernelINS0_14default_configENS1_25partition_config_selectorILNS1_17partition_subalgoE1EiNS0_10empty_typeEbEEZZNS1_14partition_implILS5_1ELb0ES3_jN6thrust23THRUST_200600_302600_NS6detail15normal_iteratorINSA_10device_ptrIiEEEEPS6_NSA_18transform_iteratorI7is_evenIiESF_NSA_11use_defaultESK_EENS0_5tupleIJNSA_16discard_iteratorISK_EESF_EEENSM_IJSG_SG_EEES6_PlJS6_EEE10hipError_tPvRmT3_T4_T5_T6_T7_T9_mT8_P12ihipStream_tbDpT10_ENKUlT_T0_E_clISt17integral_constantIbLb0EES1A_IbLb1EEEEDaS16_S17_EUlS16_E_NS1_11comp_targetILNS1_3genE0ELNS1_11target_archE4294967295ELNS1_3gpuE0ELNS1_3repE0EEENS1_30default_config_static_selectorELNS0_4arch9wavefront6targetE1EEEvT1_,comdat
	.protected	_ZN7rocprim17ROCPRIM_400000_NS6detail17trampoline_kernelINS0_14default_configENS1_25partition_config_selectorILNS1_17partition_subalgoE1EiNS0_10empty_typeEbEEZZNS1_14partition_implILS5_1ELb0ES3_jN6thrust23THRUST_200600_302600_NS6detail15normal_iteratorINSA_10device_ptrIiEEEEPS6_NSA_18transform_iteratorI7is_evenIiESF_NSA_11use_defaultESK_EENS0_5tupleIJNSA_16discard_iteratorISK_EESF_EEENSM_IJSG_SG_EEES6_PlJS6_EEE10hipError_tPvRmT3_T4_T5_T6_T7_T9_mT8_P12ihipStream_tbDpT10_ENKUlT_T0_E_clISt17integral_constantIbLb0EES1A_IbLb1EEEEDaS16_S17_EUlS16_E_NS1_11comp_targetILNS1_3genE0ELNS1_11target_archE4294967295ELNS1_3gpuE0ELNS1_3repE0EEENS1_30default_config_static_selectorELNS0_4arch9wavefront6targetE1EEEvT1_ ; -- Begin function _ZN7rocprim17ROCPRIM_400000_NS6detail17trampoline_kernelINS0_14default_configENS1_25partition_config_selectorILNS1_17partition_subalgoE1EiNS0_10empty_typeEbEEZZNS1_14partition_implILS5_1ELb0ES3_jN6thrust23THRUST_200600_302600_NS6detail15normal_iteratorINSA_10device_ptrIiEEEEPS6_NSA_18transform_iteratorI7is_evenIiESF_NSA_11use_defaultESK_EENS0_5tupleIJNSA_16discard_iteratorISK_EESF_EEENSM_IJSG_SG_EEES6_PlJS6_EEE10hipError_tPvRmT3_T4_T5_T6_T7_T9_mT8_P12ihipStream_tbDpT10_ENKUlT_T0_E_clISt17integral_constantIbLb0EES1A_IbLb1EEEEDaS16_S17_EUlS16_E_NS1_11comp_targetILNS1_3genE0ELNS1_11target_archE4294967295ELNS1_3gpuE0ELNS1_3repE0EEENS1_30default_config_static_selectorELNS0_4arch9wavefront6targetE1EEEvT1_
	.globl	_ZN7rocprim17ROCPRIM_400000_NS6detail17trampoline_kernelINS0_14default_configENS1_25partition_config_selectorILNS1_17partition_subalgoE1EiNS0_10empty_typeEbEEZZNS1_14partition_implILS5_1ELb0ES3_jN6thrust23THRUST_200600_302600_NS6detail15normal_iteratorINSA_10device_ptrIiEEEEPS6_NSA_18transform_iteratorI7is_evenIiESF_NSA_11use_defaultESK_EENS0_5tupleIJNSA_16discard_iteratorISK_EESF_EEENSM_IJSG_SG_EEES6_PlJS6_EEE10hipError_tPvRmT3_T4_T5_T6_T7_T9_mT8_P12ihipStream_tbDpT10_ENKUlT_T0_E_clISt17integral_constantIbLb0EES1A_IbLb1EEEEDaS16_S17_EUlS16_E_NS1_11comp_targetILNS1_3genE0ELNS1_11target_archE4294967295ELNS1_3gpuE0ELNS1_3repE0EEENS1_30default_config_static_selectorELNS0_4arch9wavefront6targetE1EEEvT1_
	.p2align	8
	.type	_ZN7rocprim17ROCPRIM_400000_NS6detail17trampoline_kernelINS0_14default_configENS1_25partition_config_selectorILNS1_17partition_subalgoE1EiNS0_10empty_typeEbEEZZNS1_14partition_implILS5_1ELb0ES3_jN6thrust23THRUST_200600_302600_NS6detail15normal_iteratorINSA_10device_ptrIiEEEEPS6_NSA_18transform_iteratorI7is_evenIiESF_NSA_11use_defaultESK_EENS0_5tupleIJNSA_16discard_iteratorISK_EESF_EEENSM_IJSG_SG_EEES6_PlJS6_EEE10hipError_tPvRmT3_T4_T5_T6_T7_T9_mT8_P12ihipStream_tbDpT10_ENKUlT_T0_E_clISt17integral_constantIbLb0EES1A_IbLb1EEEEDaS16_S17_EUlS16_E_NS1_11comp_targetILNS1_3genE0ELNS1_11target_archE4294967295ELNS1_3gpuE0ELNS1_3repE0EEENS1_30default_config_static_selectorELNS0_4arch9wavefront6targetE1EEEvT1_,@function
_ZN7rocprim17ROCPRIM_400000_NS6detail17trampoline_kernelINS0_14default_configENS1_25partition_config_selectorILNS1_17partition_subalgoE1EiNS0_10empty_typeEbEEZZNS1_14partition_implILS5_1ELb0ES3_jN6thrust23THRUST_200600_302600_NS6detail15normal_iteratorINSA_10device_ptrIiEEEEPS6_NSA_18transform_iteratorI7is_evenIiESF_NSA_11use_defaultESK_EENS0_5tupleIJNSA_16discard_iteratorISK_EESF_EEENSM_IJSG_SG_EEES6_PlJS6_EEE10hipError_tPvRmT3_T4_T5_T6_T7_T9_mT8_P12ihipStream_tbDpT10_ENKUlT_T0_E_clISt17integral_constantIbLb0EES1A_IbLb1EEEEDaS16_S17_EUlS16_E_NS1_11comp_targetILNS1_3genE0ELNS1_11target_archE4294967295ELNS1_3gpuE0ELNS1_3repE0EEENS1_30default_config_static_selectorELNS0_4arch9wavefront6targetE1EEEvT1_: ; @_ZN7rocprim17ROCPRIM_400000_NS6detail17trampoline_kernelINS0_14default_configENS1_25partition_config_selectorILNS1_17partition_subalgoE1EiNS0_10empty_typeEbEEZZNS1_14partition_implILS5_1ELb0ES3_jN6thrust23THRUST_200600_302600_NS6detail15normal_iteratorINSA_10device_ptrIiEEEEPS6_NSA_18transform_iteratorI7is_evenIiESF_NSA_11use_defaultESK_EENS0_5tupleIJNSA_16discard_iteratorISK_EESF_EEENSM_IJSG_SG_EEES6_PlJS6_EEE10hipError_tPvRmT3_T4_T5_T6_T7_T9_mT8_P12ihipStream_tbDpT10_ENKUlT_T0_E_clISt17integral_constantIbLb0EES1A_IbLb1EEEEDaS16_S17_EUlS16_E_NS1_11comp_targetILNS1_3genE0ELNS1_11target_archE4294967295ELNS1_3gpuE0ELNS1_3repE0EEENS1_30default_config_static_selectorELNS0_4arch9wavefront6targetE1EEEvT1_
; %bb.0:
	.section	.rodata,"a",@progbits
	.p2align	6, 0x0
	.amdhsa_kernel _ZN7rocprim17ROCPRIM_400000_NS6detail17trampoline_kernelINS0_14default_configENS1_25partition_config_selectorILNS1_17partition_subalgoE1EiNS0_10empty_typeEbEEZZNS1_14partition_implILS5_1ELb0ES3_jN6thrust23THRUST_200600_302600_NS6detail15normal_iteratorINSA_10device_ptrIiEEEEPS6_NSA_18transform_iteratorI7is_evenIiESF_NSA_11use_defaultESK_EENS0_5tupleIJNSA_16discard_iteratorISK_EESF_EEENSM_IJSG_SG_EEES6_PlJS6_EEE10hipError_tPvRmT3_T4_T5_T6_T7_T9_mT8_P12ihipStream_tbDpT10_ENKUlT_T0_E_clISt17integral_constantIbLb0EES1A_IbLb1EEEEDaS16_S17_EUlS16_E_NS1_11comp_targetILNS1_3genE0ELNS1_11target_archE4294967295ELNS1_3gpuE0ELNS1_3repE0EEENS1_30default_config_static_selectorELNS0_4arch9wavefront6targetE1EEEvT1_
		.amdhsa_group_segment_fixed_size 0
		.amdhsa_private_segment_fixed_size 0
		.amdhsa_kernarg_size 152
		.amdhsa_user_sgpr_count 2
		.amdhsa_user_sgpr_dispatch_ptr 0
		.amdhsa_user_sgpr_queue_ptr 0
		.amdhsa_user_sgpr_kernarg_segment_ptr 1
		.amdhsa_user_sgpr_dispatch_id 0
		.amdhsa_user_sgpr_kernarg_preload_length 0
		.amdhsa_user_sgpr_kernarg_preload_offset 0
		.amdhsa_user_sgpr_private_segment_size 0
		.amdhsa_uses_dynamic_stack 0
		.amdhsa_enable_private_segment 0
		.amdhsa_system_sgpr_workgroup_id_x 1
		.amdhsa_system_sgpr_workgroup_id_y 0
		.amdhsa_system_sgpr_workgroup_id_z 0
		.amdhsa_system_sgpr_workgroup_info 0
		.amdhsa_system_vgpr_workitem_id 0
		.amdhsa_next_free_vgpr 1
		.amdhsa_next_free_sgpr 0
		.amdhsa_accum_offset 4
		.amdhsa_reserve_vcc 0
		.amdhsa_float_round_mode_32 0
		.amdhsa_float_round_mode_16_64 0
		.amdhsa_float_denorm_mode_32 3
		.amdhsa_float_denorm_mode_16_64 3
		.amdhsa_dx10_clamp 1
		.amdhsa_ieee_mode 1
		.amdhsa_fp16_overflow 0
		.amdhsa_tg_split 0
		.amdhsa_exception_fp_ieee_invalid_op 0
		.amdhsa_exception_fp_denorm_src 0
		.amdhsa_exception_fp_ieee_div_zero 0
		.amdhsa_exception_fp_ieee_overflow 0
		.amdhsa_exception_fp_ieee_underflow 0
		.amdhsa_exception_fp_ieee_inexact 0
		.amdhsa_exception_int_div_zero 0
	.end_amdhsa_kernel
	.section	.text._ZN7rocprim17ROCPRIM_400000_NS6detail17trampoline_kernelINS0_14default_configENS1_25partition_config_selectorILNS1_17partition_subalgoE1EiNS0_10empty_typeEbEEZZNS1_14partition_implILS5_1ELb0ES3_jN6thrust23THRUST_200600_302600_NS6detail15normal_iteratorINSA_10device_ptrIiEEEEPS6_NSA_18transform_iteratorI7is_evenIiESF_NSA_11use_defaultESK_EENS0_5tupleIJNSA_16discard_iteratorISK_EESF_EEENSM_IJSG_SG_EEES6_PlJS6_EEE10hipError_tPvRmT3_T4_T5_T6_T7_T9_mT8_P12ihipStream_tbDpT10_ENKUlT_T0_E_clISt17integral_constantIbLb0EES1A_IbLb1EEEEDaS16_S17_EUlS16_E_NS1_11comp_targetILNS1_3genE0ELNS1_11target_archE4294967295ELNS1_3gpuE0ELNS1_3repE0EEENS1_30default_config_static_selectorELNS0_4arch9wavefront6targetE1EEEvT1_,"axG",@progbits,_ZN7rocprim17ROCPRIM_400000_NS6detail17trampoline_kernelINS0_14default_configENS1_25partition_config_selectorILNS1_17partition_subalgoE1EiNS0_10empty_typeEbEEZZNS1_14partition_implILS5_1ELb0ES3_jN6thrust23THRUST_200600_302600_NS6detail15normal_iteratorINSA_10device_ptrIiEEEEPS6_NSA_18transform_iteratorI7is_evenIiESF_NSA_11use_defaultESK_EENS0_5tupleIJNSA_16discard_iteratorISK_EESF_EEENSM_IJSG_SG_EEES6_PlJS6_EEE10hipError_tPvRmT3_T4_T5_T6_T7_T9_mT8_P12ihipStream_tbDpT10_ENKUlT_T0_E_clISt17integral_constantIbLb0EES1A_IbLb1EEEEDaS16_S17_EUlS16_E_NS1_11comp_targetILNS1_3genE0ELNS1_11target_archE4294967295ELNS1_3gpuE0ELNS1_3repE0EEENS1_30default_config_static_selectorELNS0_4arch9wavefront6targetE1EEEvT1_,comdat
.Lfunc_end3347:
	.size	_ZN7rocprim17ROCPRIM_400000_NS6detail17trampoline_kernelINS0_14default_configENS1_25partition_config_selectorILNS1_17partition_subalgoE1EiNS0_10empty_typeEbEEZZNS1_14partition_implILS5_1ELb0ES3_jN6thrust23THRUST_200600_302600_NS6detail15normal_iteratorINSA_10device_ptrIiEEEEPS6_NSA_18transform_iteratorI7is_evenIiESF_NSA_11use_defaultESK_EENS0_5tupleIJNSA_16discard_iteratorISK_EESF_EEENSM_IJSG_SG_EEES6_PlJS6_EEE10hipError_tPvRmT3_T4_T5_T6_T7_T9_mT8_P12ihipStream_tbDpT10_ENKUlT_T0_E_clISt17integral_constantIbLb0EES1A_IbLb1EEEEDaS16_S17_EUlS16_E_NS1_11comp_targetILNS1_3genE0ELNS1_11target_archE4294967295ELNS1_3gpuE0ELNS1_3repE0EEENS1_30default_config_static_selectorELNS0_4arch9wavefront6targetE1EEEvT1_, .Lfunc_end3347-_ZN7rocprim17ROCPRIM_400000_NS6detail17trampoline_kernelINS0_14default_configENS1_25partition_config_selectorILNS1_17partition_subalgoE1EiNS0_10empty_typeEbEEZZNS1_14partition_implILS5_1ELb0ES3_jN6thrust23THRUST_200600_302600_NS6detail15normal_iteratorINSA_10device_ptrIiEEEEPS6_NSA_18transform_iteratorI7is_evenIiESF_NSA_11use_defaultESK_EENS0_5tupleIJNSA_16discard_iteratorISK_EESF_EEENSM_IJSG_SG_EEES6_PlJS6_EEE10hipError_tPvRmT3_T4_T5_T6_T7_T9_mT8_P12ihipStream_tbDpT10_ENKUlT_T0_E_clISt17integral_constantIbLb0EES1A_IbLb1EEEEDaS16_S17_EUlS16_E_NS1_11comp_targetILNS1_3genE0ELNS1_11target_archE4294967295ELNS1_3gpuE0ELNS1_3repE0EEENS1_30default_config_static_selectorELNS0_4arch9wavefront6targetE1EEEvT1_
                                        ; -- End function
	.section	.AMDGPU.csdata,"",@progbits
; Kernel info:
; codeLenInByte = 0
; NumSgprs: 6
; NumVgprs: 0
; NumAgprs: 0
; TotalNumVgprs: 0
; ScratchSize: 0
; MemoryBound: 0
; FloatMode: 240
; IeeeMode: 1
; LDSByteSize: 0 bytes/workgroup (compile time only)
; SGPRBlocks: 0
; VGPRBlocks: 0
; NumSGPRsForWavesPerEU: 6
; NumVGPRsForWavesPerEU: 1
; AccumOffset: 4
; Occupancy: 8
; WaveLimiterHint : 0
; COMPUTE_PGM_RSRC2:SCRATCH_EN: 0
; COMPUTE_PGM_RSRC2:USER_SGPR: 2
; COMPUTE_PGM_RSRC2:TRAP_HANDLER: 0
; COMPUTE_PGM_RSRC2:TGID_X_EN: 1
; COMPUTE_PGM_RSRC2:TGID_Y_EN: 0
; COMPUTE_PGM_RSRC2:TGID_Z_EN: 0
; COMPUTE_PGM_RSRC2:TIDIG_COMP_CNT: 0
; COMPUTE_PGM_RSRC3_GFX90A:ACCUM_OFFSET: 0
; COMPUTE_PGM_RSRC3_GFX90A:TG_SPLIT: 0
	.section	.text._ZN7rocprim17ROCPRIM_400000_NS6detail17trampoline_kernelINS0_14default_configENS1_25partition_config_selectorILNS1_17partition_subalgoE1EiNS0_10empty_typeEbEEZZNS1_14partition_implILS5_1ELb0ES3_jN6thrust23THRUST_200600_302600_NS6detail15normal_iteratorINSA_10device_ptrIiEEEEPS6_NSA_18transform_iteratorI7is_evenIiESF_NSA_11use_defaultESK_EENS0_5tupleIJNSA_16discard_iteratorISK_EESF_EEENSM_IJSG_SG_EEES6_PlJS6_EEE10hipError_tPvRmT3_T4_T5_T6_T7_T9_mT8_P12ihipStream_tbDpT10_ENKUlT_T0_E_clISt17integral_constantIbLb0EES1A_IbLb1EEEEDaS16_S17_EUlS16_E_NS1_11comp_targetILNS1_3genE5ELNS1_11target_archE942ELNS1_3gpuE9ELNS1_3repE0EEENS1_30default_config_static_selectorELNS0_4arch9wavefront6targetE1EEEvT1_,"axG",@progbits,_ZN7rocprim17ROCPRIM_400000_NS6detail17trampoline_kernelINS0_14default_configENS1_25partition_config_selectorILNS1_17partition_subalgoE1EiNS0_10empty_typeEbEEZZNS1_14partition_implILS5_1ELb0ES3_jN6thrust23THRUST_200600_302600_NS6detail15normal_iteratorINSA_10device_ptrIiEEEEPS6_NSA_18transform_iteratorI7is_evenIiESF_NSA_11use_defaultESK_EENS0_5tupleIJNSA_16discard_iteratorISK_EESF_EEENSM_IJSG_SG_EEES6_PlJS6_EEE10hipError_tPvRmT3_T4_T5_T6_T7_T9_mT8_P12ihipStream_tbDpT10_ENKUlT_T0_E_clISt17integral_constantIbLb0EES1A_IbLb1EEEEDaS16_S17_EUlS16_E_NS1_11comp_targetILNS1_3genE5ELNS1_11target_archE942ELNS1_3gpuE9ELNS1_3repE0EEENS1_30default_config_static_selectorELNS0_4arch9wavefront6targetE1EEEvT1_,comdat
	.protected	_ZN7rocprim17ROCPRIM_400000_NS6detail17trampoline_kernelINS0_14default_configENS1_25partition_config_selectorILNS1_17partition_subalgoE1EiNS0_10empty_typeEbEEZZNS1_14partition_implILS5_1ELb0ES3_jN6thrust23THRUST_200600_302600_NS6detail15normal_iteratorINSA_10device_ptrIiEEEEPS6_NSA_18transform_iteratorI7is_evenIiESF_NSA_11use_defaultESK_EENS0_5tupleIJNSA_16discard_iteratorISK_EESF_EEENSM_IJSG_SG_EEES6_PlJS6_EEE10hipError_tPvRmT3_T4_T5_T6_T7_T9_mT8_P12ihipStream_tbDpT10_ENKUlT_T0_E_clISt17integral_constantIbLb0EES1A_IbLb1EEEEDaS16_S17_EUlS16_E_NS1_11comp_targetILNS1_3genE5ELNS1_11target_archE942ELNS1_3gpuE9ELNS1_3repE0EEENS1_30default_config_static_selectorELNS0_4arch9wavefront6targetE1EEEvT1_ ; -- Begin function _ZN7rocprim17ROCPRIM_400000_NS6detail17trampoline_kernelINS0_14default_configENS1_25partition_config_selectorILNS1_17partition_subalgoE1EiNS0_10empty_typeEbEEZZNS1_14partition_implILS5_1ELb0ES3_jN6thrust23THRUST_200600_302600_NS6detail15normal_iteratorINSA_10device_ptrIiEEEEPS6_NSA_18transform_iteratorI7is_evenIiESF_NSA_11use_defaultESK_EENS0_5tupleIJNSA_16discard_iteratorISK_EESF_EEENSM_IJSG_SG_EEES6_PlJS6_EEE10hipError_tPvRmT3_T4_T5_T6_T7_T9_mT8_P12ihipStream_tbDpT10_ENKUlT_T0_E_clISt17integral_constantIbLb0EES1A_IbLb1EEEEDaS16_S17_EUlS16_E_NS1_11comp_targetILNS1_3genE5ELNS1_11target_archE942ELNS1_3gpuE9ELNS1_3repE0EEENS1_30default_config_static_selectorELNS0_4arch9wavefront6targetE1EEEvT1_
	.globl	_ZN7rocprim17ROCPRIM_400000_NS6detail17trampoline_kernelINS0_14default_configENS1_25partition_config_selectorILNS1_17partition_subalgoE1EiNS0_10empty_typeEbEEZZNS1_14partition_implILS5_1ELb0ES3_jN6thrust23THRUST_200600_302600_NS6detail15normal_iteratorINSA_10device_ptrIiEEEEPS6_NSA_18transform_iteratorI7is_evenIiESF_NSA_11use_defaultESK_EENS0_5tupleIJNSA_16discard_iteratorISK_EESF_EEENSM_IJSG_SG_EEES6_PlJS6_EEE10hipError_tPvRmT3_T4_T5_T6_T7_T9_mT8_P12ihipStream_tbDpT10_ENKUlT_T0_E_clISt17integral_constantIbLb0EES1A_IbLb1EEEEDaS16_S17_EUlS16_E_NS1_11comp_targetILNS1_3genE5ELNS1_11target_archE942ELNS1_3gpuE9ELNS1_3repE0EEENS1_30default_config_static_selectorELNS0_4arch9wavefront6targetE1EEEvT1_
	.p2align	8
	.type	_ZN7rocprim17ROCPRIM_400000_NS6detail17trampoline_kernelINS0_14default_configENS1_25partition_config_selectorILNS1_17partition_subalgoE1EiNS0_10empty_typeEbEEZZNS1_14partition_implILS5_1ELb0ES3_jN6thrust23THRUST_200600_302600_NS6detail15normal_iteratorINSA_10device_ptrIiEEEEPS6_NSA_18transform_iteratorI7is_evenIiESF_NSA_11use_defaultESK_EENS0_5tupleIJNSA_16discard_iteratorISK_EESF_EEENSM_IJSG_SG_EEES6_PlJS6_EEE10hipError_tPvRmT3_T4_T5_T6_T7_T9_mT8_P12ihipStream_tbDpT10_ENKUlT_T0_E_clISt17integral_constantIbLb0EES1A_IbLb1EEEEDaS16_S17_EUlS16_E_NS1_11comp_targetILNS1_3genE5ELNS1_11target_archE942ELNS1_3gpuE9ELNS1_3repE0EEENS1_30default_config_static_selectorELNS0_4arch9wavefront6targetE1EEEvT1_,@function
_ZN7rocprim17ROCPRIM_400000_NS6detail17trampoline_kernelINS0_14default_configENS1_25partition_config_selectorILNS1_17partition_subalgoE1EiNS0_10empty_typeEbEEZZNS1_14partition_implILS5_1ELb0ES3_jN6thrust23THRUST_200600_302600_NS6detail15normal_iteratorINSA_10device_ptrIiEEEEPS6_NSA_18transform_iteratorI7is_evenIiESF_NSA_11use_defaultESK_EENS0_5tupleIJNSA_16discard_iteratorISK_EESF_EEENSM_IJSG_SG_EEES6_PlJS6_EEE10hipError_tPvRmT3_T4_T5_T6_T7_T9_mT8_P12ihipStream_tbDpT10_ENKUlT_T0_E_clISt17integral_constantIbLb0EES1A_IbLb1EEEEDaS16_S17_EUlS16_E_NS1_11comp_targetILNS1_3genE5ELNS1_11target_archE942ELNS1_3gpuE9ELNS1_3repE0EEENS1_30default_config_static_selectorELNS0_4arch9wavefront6targetE1EEEvT1_: ; @_ZN7rocprim17ROCPRIM_400000_NS6detail17trampoline_kernelINS0_14default_configENS1_25partition_config_selectorILNS1_17partition_subalgoE1EiNS0_10empty_typeEbEEZZNS1_14partition_implILS5_1ELb0ES3_jN6thrust23THRUST_200600_302600_NS6detail15normal_iteratorINSA_10device_ptrIiEEEEPS6_NSA_18transform_iteratorI7is_evenIiESF_NSA_11use_defaultESK_EENS0_5tupleIJNSA_16discard_iteratorISK_EESF_EEENSM_IJSG_SG_EEES6_PlJS6_EEE10hipError_tPvRmT3_T4_T5_T6_T7_T9_mT8_P12ihipStream_tbDpT10_ENKUlT_T0_E_clISt17integral_constantIbLb0EES1A_IbLb1EEEEDaS16_S17_EUlS16_E_NS1_11comp_targetILNS1_3genE5ELNS1_11target_archE942ELNS1_3gpuE9ELNS1_3repE0EEENS1_30default_config_static_selectorELNS0_4arch9wavefront6targetE1EEEvT1_
; %bb.0:
	s_load_dwordx2 s[2:3], s[0:1], 0x20
	s_load_dwordx4 s[20:23], s[0:1], 0x58
	s_load_dwordx2 s[6:7], s[0:1], 0x68
	s_load_dwordx2 s[30:31], s[0:1], 0x78
	v_cmp_eq_u32_e64 s[18:19], 0, v0
	s_and_saveexec_b64 s[4:5], s[18:19]
	s_cbranch_execz .LBB3348_4
; %bb.1:
	s_mov_b64 s[10:11], exec
	v_mbcnt_lo_u32_b32 v1, s10, 0
	v_mbcnt_hi_u32_b32 v1, s11, v1
	v_cmp_eq_u32_e32 vcc, 0, v1
                                        ; implicit-def: $vgpr2
	s_and_saveexec_b64 s[8:9], vcc
	s_cbranch_execz .LBB3348_3
; %bb.2:
	s_load_dwordx2 s[12:13], s[0:1], 0x88
	s_bcnt1_i32_b64 s10, s[10:11]
	v_mov_b32_e32 v2, 0
	v_mov_b32_e32 v3, s10
	s_waitcnt lgkmcnt(0)
	global_atomic_add v2, v2, v3, s[12:13] sc0
.LBB3348_3:
	s_or_b64 exec, exec, s[8:9]
	s_waitcnt vmcnt(0)
	v_readfirstlane_b32 s8, v2
	v_mov_b32_e32 v2, 0
	s_nop 0
	v_add_u32_e32 v1, s8, v1
	ds_write_b32 v2, v1
.LBB3348_4:
	s_or_b64 exec, exec, s[4:5]
	v_mov_b32_e32 v23, 0
	s_load_dwordx4 s[24:27], s[0:1], 0x8
	s_load_dwordx2 s[28:29], s[0:1], 0x40
	s_load_dword s8, s[0:1], 0x80
	s_waitcnt lgkmcnt(0)
	s_barrier
	ds_read_b32 v1, v23
	s_waitcnt lgkmcnt(0)
	s_barrier
	global_load_dwordx2 v[24:25], v23, s[22:23]
	v_mov_b32_e32 v3, s7
	s_lshl_b64 s[4:5], s[26:27], 2
	s_movk_i32 s7, 0x1e00
	s_add_u32 s0, s24, s4
	v_mul_lo_u32 v22, v1, s7
	s_mul_i32 s7, s8, 0x1e00
	s_addc_u32 s1, s25, s5
	s_add_i32 s9, s8, -1
	s_add_i32 s8, s7, s26
	s_sub_i32 s33, s6, s8
	s_addk_i32 s33, 0x1e00
	v_mov_b32_e32 v2, s6
	s_add_u32 s6, s26, s7
	v_readfirstlane_b32 s38, v1
	s_addc_u32 s7, s27, 0
	s_cmp_eq_u32 s38, s9
	s_cselect_b64 s[22:23], -1, 0
	s_cmp_lg_u32 s38, s9
	v_cmp_lt_u64_e32 vcc, s[6:7], v[2:3]
	s_cselect_b64 s[6:7], -1, 0
	s_or_b64 s[24:25], vcc, s[6:7]
	v_lshlrev_b64 v[26:27], 2, v[22:23]
	v_lshl_add_u64 v[18:19], s[0:1], 0, v[26:27]
	s_mov_b64 s[0:1], -1
	s_and_b64 vcc, exec, s[24:25]
	v_lshlrev_b32_e32 v22, 2, v0
	s_cbranch_vccz .LBB3348_6
; %bb.5:
	v_lshl_add_u64 v[2:3], v[18:19], 0, v[22:23]
	v_add_co_u32_e32 v4, vcc, 0x1000, v2
	s_mov_b64 s[0:1], 0
	s_nop 0
	v_addc_co_u32_e32 v5, vcc, 0, v3, vcc
	v_add_co_u32_e32 v6, vcc, 0x2000, v2
	s_nop 1
	v_addc_co_u32_e32 v7, vcc, 0, v3, vcc
	v_add_co_u32_e32 v8, vcc, 0x3000, v2
	s_nop 1
	v_addc_co_u32_e32 v9, vcc, 0, v3, vcc
	flat_load_dword v1, v[2:3]
	flat_load_dword v10, v[2:3] offset:2048
	flat_load_dword v11, v[4:5]
	flat_load_dword v12, v[4:5] offset:2048
	flat_load_dword v13, v[6:7]
	flat_load_dword v14, v[6:7] offset:2048
	flat_load_dword v15, v[8:9]
	flat_load_dword v16, v[8:9] offset:2048
	v_add_co_u32_e32 v4, vcc, 0x4000, v2
	s_nop 1
	v_addc_co_u32_e32 v5, vcc, 0, v3, vcc
	v_add_co_u32_e32 v6, vcc, 0x5000, v2
	s_nop 1
	v_addc_co_u32_e32 v7, vcc, 0, v3, vcc
	;; [unrolled: 3-line block ×4, first 2 shown]
	flat_load_dword v17, v[4:5]
	flat_load_dword v20, v[4:5] offset:2048
	flat_load_dword v21, v[6:7]
	flat_load_dword v23, v[6:7] offset:2048
	;; [unrolled: 2-line block ×3, first 2 shown]
	flat_load_dword v30, v[2:3]
	s_waitcnt vmcnt(0) lgkmcnt(0)
	ds_write2st64_b32 v22, v1, v10 offset1:8
	ds_write2st64_b32 v22, v11, v12 offset0:16 offset1:24
	ds_write2st64_b32 v22, v13, v14 offset0:32 offset1:40
	;; [unrolled: 1-line block ×6, first 2 shown]
	ds_write_b32 v22, v30 offset:28672
	s_waitcnt lgkmcnt(0)
	s_barrier
.LBB3348_6:
	s_andn2_b64 vcc, exec, s[0:1]
	v_cmp_gt_u32_e64 s[0:1], s33, v0
	s_cbranch_vccnz .LBB3348_38
; %bb.7:
                                        ; implicit-def: $vgpr2_vgpr3_vgpr4_vgpr5_vgpr6_vgpr7_vgpr8_vgpr9_vgpr10_vgpr11_vgpr12_vgpr13_vgpr14_vgpr15_vgpr16_vgpr17
	s_and_saveexec_b64 s[6:7], s[0:1]
	s_cbranch_execz .LBB3348_9
; %bb.8:
	v_mov_b32_e32 v23, 0
	v_lshl_add_u64 v[2:3], v[18:19], 0, v[22:23]
	flat_load_dword v2, v[2:3]
.LBB3348_9:
	s_or_b64 exec, exec, s[6:7]
	v_or_b32_e32 v1, 0x200, v0
	v_cmp_gt_u32_e32 vcc, s33, v1
	s_and_saveexec_b64 s[0:1], vcc
	s_cbranch_execz .LBB3348_11
; %bb.10:
	v_mov_b32_e32 v23, 0
	v_lshl_add_u64 v[20:21], v[18:19], 0, v[22:23]
	flat_load_dword v3, v[20:21] offset:2048
.LBB3348_11:
	s_or_b64 exec, exec, s[0:1]
	v_or_b32_e32 v1, 0x400, v0
	v_cmp_gt_u32_e32 vcc, s33, v1
	s_and_saveexec_b64 s[0:1], vcc
	s_cbranch_execz .LBB3348_13
; %bb.12:
	v_lshlrev_b32_e32 v20, 2, v1
	v_mov_b32_e32 v21, 0
	v_lshl_add_u64 v[20:21], v[18:19], 0, v[20:21]
	flat_load_dword v4, v[20:21]
.LBB3348_13:
	s_or_b64 exec, exec, s[0:1]
	v_or_b32_e32 v1, 0x600, v0
	v_cmp_gt_u32_e32 vcc, s33, v1
	s_and_saveexec_b64 s[0:1], vcc
	s_cbranch_execz .LBB3348_15
; %bb.14:
	v_lshlrev_b32_e32 v20, 2, v1
	v_mov_b32_e32 v21, 0
	v_lshl_add_u64 v[20:21], v[18:19], 0, v[20:21]
	flat_load_dword v5, v[20:21]
.LBB3348_15:
	;; [unrolled: 11-line block ×13, first 2 shown]
	s_or_b64 exec, exec, s[0:1]
	s_waitcnt vmcnt(0) lgkmcnt(0)
	ds_write2st64_b32 v22, v2, v3 offset1:8
	ds_write2st64_b32 v22, v4, v5 offset0:16 offset1:24
	ds_write2st64_b32 v22, v6, v7 offset0:32 offset1:40
	;; [unrolled: 1-line block ×6, first 2 shown]
	ds_write_b32 v22, v16 offset:28672
	s_waitcnt lgkmcnt(0)
	s_barrier
.LBB3348_38:
	v_mul_u32_u24_e32 v21, 15, v0
	v_lshlrev_b32_e32 v1, 2, v21
	ds_read2_b32 v[40:41], v1 offset1:1
	ds_read2_b32 v[38:39], v1 offset0:2 offset1:3
	ds_read2_b32 v[36:37], v1 offset0:4 offset1:5
	;; [unrolled: 1-line block ×6, first 2 shown]
	ds_read_b32 v1, v1 offset:56
	s_add_u32 s0, s2, s4
	s_addc_u32 s1, s3, s5
	v_lshl_add_u64 v[2:3], s[0:1], 0, v[26:27]
	s_mov_b64 s[0:1], -1
	s_and_b64 vcc, exec, s[24:25]
	s_waitcnt lgkmcnt(0)
	s_barrier
	s_cbranch_vccz .LBB3348_40
; %bb.39:
	v_mov_b32_e32 v23, 0
	v_lshl_add_u64 v[4:5], v[2:3], 0, v[22:23]
	v_add_co_u32_e32 v6, vcc, 0x1000, v4
	v_readfirstlane_b32 s0, v2
	s_nop 0
	v_addc_co_u32_e32 v7, vcc, 0, v5, vcc
	v_add_co_u32_e32 v8, vcc, 0x2000, v4
	v_readfirstlane_b32 s1, v3
	s_nop 0
	v_addc_co_u32_e32 v9, vcc, 0, v5, vcc
	s_nop 2
	global_load_dword v10, v22, s[0:1]
	global_load_dword v11, v22, s[0:1] offset:2048
	global_load_dword v12, v[6:7], off
	global_load_dword v13, v[6:7], off offset:2048
	global_load_dword v14, v[8:9], off
	global_load_dword v15, v[8:9], off offset:2048
	v_add_co_u32_e32 v6, vcc, 0x3000, v4
	s_mov_b64 s[0:1], 0
	s_nop 0
	v_addc_co_u32_e32 v7, vcc, 0, v5, vcc
	v_add_co_u32_e32 v8, vcc, 0x4000, v4
	s_nop 1
	v_addc_co_u32_e32 v9, vcc, 0, v5, vcc
	global_load_dword v16, v[6:7], off
	global_load_dword v17, v[6:7], off offset:2048
	global_load_dword v18, v[8:9], off
	global_load_dword v19, v[8:9], off offset:2048
	v_add_co_u32_e32 v6, vcc, 0x5000, v4
	s_nop 1
	v_addc_co_u32_e32 v7, vcc, 0, v5, vcc
	global_load_dword v8, v[6:7], off
	global_load_dword v9, v[6:7], off offset:2048
	v_add_co_u32_e32 v6, vcc, 0x6000, v4
	s_waitcnt vmcnt(1)
	v_xor_b32_e32 v8, -1, v8
	v_addc_co_u32_e32 v7, vcc, 0, v5, vcc
	v_add_co_u32_e32 v4, vcc, 0x7000, v4
	global_load_dword v20, v[6:7], off
	global_load_dword v23, v[6:7], off offset:2048
	v_addc_co_u32_e32 v5, vcc, 0, v5, vcc
	global_load_dword v4, v[4:5], off
	v_xor_b32_e32 v5, -1, v10
	v_xor_b32_e32 v6, -1, v11
	v_and_b32_e32 v5, 1, v5
	v_and_b32_e32 v6, 1, v6
	ds_write_b8 v0, v5
	ds_write_b8 v0, v6 offset:512
	v_xor_b32_e32 v5, -1, v12
	v_xor_b32_e32 v6, -1, v13
	v_and_b32_e32 v5, 1, v5
	v_and_b32_e32 v6, 1, v6
	v_xor_b32_e32 v7, -1, v14
	v_xor_b32_e32 v11, -1, v16
	;; [unrolled: 1-line block ×4, first 2 shown]
	v_and_b32_e32 v7, 1, v7
	ds_write_b8 v0, v5 offset:1024
	ds_write_b8 v0, v6 offset:1536
	v_and_b32_e32 v5, 1, v11
	v_and_b32_e32 v6, 1, v12
	v_xor_b32_e32 v11, -1, v18
	s_waitcnt vmcnt(3)
	v_xor_b32_e32 v9, -1, v9
	v_and_b32_e32 v10, 1, v10
	v_xor_b32_e32 v12, -1, v19
	ds_write_b8 v0, v7 offset:2048
	ds_write_b8 v0, v10 offset:2560
	v_and_b32_e32 v7, 1, v11
	ds_write_b8 v0, v5 offset:3072
	ds_write_b8 v0, v6 offset:3584
	v_and_b32_e32 v5, 1, v8
	v_and_b32_e32 v6, 1, v9
	;; [unrolled: 1-line block ×3, first 2 shown]
	s_waitcnt vmcnt(2)
	v_xor_b32_e32 v8, -1, v20
	s_waitcnt vmcnt(1)
	v_xor_b32_e32 v9, -1, v23
	v_and_b32_e32 v8, 1, v8
	v_and_b32_e32 v9, 1, v9
	s_waitcnt vmcnt(0)
	v_xor_b32_e32 v4, -1, v4
	v_and_b32_e32 v4, 1, v4
	ds_write_b8 v0, v7 offset:4096
	ds_write_b8 v0, v10 offset:4608
	;; [unrolled: 1-line block ×7, first 2 shown]
	s_waitcnt lgkmcnt(0)
	s_barrier
.LBB3348_40:
	s_andn2_b64 vcc, exec, s[0:1]
	s_cbranch_vccnz .LBB3348_72
; %bb.41:
	v_cmp_gt_u32_e32 vcc, s33, v0
	v_mov_b32_e32 v4, 0
	v_mov_b32_e32 v5, 0
	s_and_saveexec_b64 s[0:1], vcc
	s_cbranch_execz .LBB3348_43
; %bb.42:
	v_readfirstlane_b32 s2, v2
	v_readfirstlane_b32 s3, v3
	s_nop 4
	global_load_dword v5, v22, s[2:3]
	s_waitcnt vmcnt(0)
	v_xor_b32_e32 v5, -1, v5
	v_and_b32_e32 v5, 1, v5
.LBB3348_43:
	s_or_b64 exec, exec, s[0:1]
	v_or_b32_e32 v6, 0x200, v0
	v_cmp_gt_u32_e32 vcc, s33, v6
	s_and_saveexec_b64 s[0:1], vcc
	s_cbranch_execz .LBB3348_45
; %bb.44:
	v_readfirstlane_b32 s2, v2
	v_readfirstlane_b32 s3, v3
	s_nop 4
	global_load_dword v4, v22, s[2:3] offset:2048
	s_waitcnt vmcnt(0)
	v_xor_b32_e32 v4, -1, v4
	v_and_b32_e32 v4, 1, v4
.LBB3348_45:
	s_or_b64 exec, exec, s[0:1]
	v_or_b32_e32 v8, 0x400, v0
	v_cmp_gt_u32_e32 vcc, s33, v8
	v_mov_b32_e32 v6, 0
	v_mov_b32_e32 v7, 0
	s_and_saveexec_b64 s[0:1], vcc
	s_cbranch_execz .LBB3348_47
; %bb.46:
	v_lshlrev_b32_e32 v7, 2, v8
	v_readfirstlane_b32 s2, v2
	v_readfirstlane_b32 s3, v3
	s_nop 4
	global_load_dword v7, v7, s[2:3]
	s_waitcnt vmcnt(0)
	v_xor_b32_e32 v7, -1, v7
	v_and_b32_e32 v7, 1, v7
.LBB3348_47:
	s_or_b64 exec, exec, s[0:1]
	v_or_b32_e32 v8, 0x600, v0
	v_cmp_gt_u32_e32 vcc, s33, v8
	s_and_saveexec_b64 s[0:1], vcc
	s_cbranch_execz .LBB3348_49
; %bb.48:
	v_lshlrev_b32_e32 v6, 2, v8
	v_readfirstlane_b32 s2, v2
	v_readfirstlane_b32 s3, v3
	s_nop 4
	global_load_dword v6, v6, s[2:3]
	s_waitcnt vmcnt(0)
	v_xor_b32_e32 v6, -1, v6
	v_and_b32_e32 v6, 1, v6
.LBB3348_49:
	s_or_b64 exec, exec, s[0:1]
	v_or_b32_e32 v10, 0x800, v0
	v_cmp_gt_u32_e32 vcc, s33, v10
	v_mov_b32_e32 v8, 0
	v_mov_b32_e32 v9, 0
	s_and_saveexec_b64 s[0:1], vcc
	s_cbranch_execz .LBB3348_51
; %bb.50:
	v_lshlrev_b32_e32 v9, 2, v10
	v_readfirstlane_b32 s2, v2
	v_readfirstlane_b32 s3, v3
	s_nop 4
	global_load_dword v9, v9, s[2:3]
	s_waitcnt vmcnt(0)
	v_xor_b32_e32 v9, -1, v9
	v_and_b32_e32 v9, 1, v9
.LBB3348_51:
	s_or_b64 exec, exec, s[0:1]
	v_or_b32_e32 v10, 0xa00, v0
	v_cmp_gt_u32_e32 vcc, s33, v10
	s_and_saveexec_b64 s[0:1], vcc
	s_cbranch_execz .LBB3348_53
; %bb.52:
	v_lshlrev_b32_e32 v8, 2, v10
	v_readfirstlane_b32 s2, v2
	v_readfirstlane_b32 s3, v3
	s_nop 4
	global_load_dword v8, v8, s[2:3]
	s_waitcnt vmcnt(0)
	v_xor_b32_e32 v8, -1, v8
	v_and_b32_e32 v8, 1, v8
.LBB3348_53:
	;; [unrolled: 32-line block ×6, first 2 shown]
	s_or_b64 exec, exec, s[0:1]
	v_or_b32_e32 v19, 0x1c00, v0
	v_cmp_gt_u32_e32 vcc, s33, v19
	v_mov_b32_e32 v18, 0
	s_and_saveexec_b64 s[0:1], vcc
	s_cbranch_execz .LBB3348_71
; %bb.70:
	v_lshlrev_b32_e32 v18, 2, v19
	v_readfirstlane_b32 s2, v2
	v_readfirstlane_b32 s3, v3
	s_nop 4
	global_load_dword v2, v18, s[2:3]
	s_waitcnt vmcnt(0)
	v_xor_b32_e32 v2, -1, v2
	v_and_b32_e32 v18, 1, v2
.LBB3348_71:
	s_or_b64 exec, exec, s[0:1]
	ds_write_b8 v0, v5
	ds_write_b8 v0, v4 offset:512
	ds_write_b8 v0, v7 offset:1024
	;; [unrolled: 1-line block ×14, first 2 shown]
	s_waitcnt lgkmcnt(0)
	s_barrier
.LBB3348_72:
	ds_read_b96 v[18:20], v21
	ds_read_u8 v2, v21 offset:12
	ds_read_u8 v3, v21 offset:13
	;; [unrolled: 1-line block ×3, first 2 shown]
	s_cmp_lg_u32 s38, 0
	v_lshrrev_b32_e32 v60, 6, v0
	s_waitcnt lgkmcnt(2)
	v_and_b32_e32 v47, 1, v2
	v_and_b32_e32 v56, 0xff, v18
	v_bfe_u32 v57, v18, 8, 8
	v_bfe_u32 v58, v18, 16, 8
	v_lshrrev_b32_e32 v49, 24, v18
	v_and_b32_e32 v53, 0xff, v19
	v_add3_u32 v2, v57, v56, v58
	v_bfe_u32 v54, v19, 8, 8
	v_bfe_u32 v55, v19, 16, 8
	v_add3_u32 v2, v2, v49, v53
	v_lshrrev_b32_e32 v48, 24, v19
	v_and_b32_e32 v50, 0xff, v20
	v_add3_u32 v2, v2, v54, v55
	v_bfe_u32 v51, v20, 8, 8
	v_bfe_u32 v52, v20, 16, 8
	v_add3_u32 v2, v2, v48, v50
	v_lshrrev_b32_e32 v46, 24, v20
	v_add3_u32 v2, v2, v51, v52
	s_waitcnt lgkmcnt(1)
	v_and_b32_e32 v45, 1, v3
	s_waitcnt lgkmcnt(0)
	v_and_b32_e32 v23, 1, v4
	v_add3_u32 v2, v2, v46, v47
	v_add3_u32 v61, v2, v45, v23
	v_mbcnt_lo_u32_b32 v2, -1, 0
	v_mbcnt_hi_u32_b32 v59, -1, v2
	v_and_b32_e32 v2, 15, v59
	v_cmp_eq_u32_e64 s[14:15], 0, v2
	v_cmp_lt_u32_e64 s[12:13], 1, v2
	v_cmp_lt_u32_e64 s[10:11], 3, v2
	;; [unrolled: 1-line block ×3, first 2 shown]
	v_and_b32_e32 v2, 16, v59
	v_cmp_eq_u32_e64 s[6:7], 0, v2
	v_or_b32_e32 v2, 63, v0
	v_cmp_lt_u32_e64 s[2:3], 31, v59
	v_cmp_eq_u32_e64 s[4:5], v2, v0
	s_barrier
	s_cbranch_scc0 .LBB3348_99
; %bb.73:
	v_mov_b32_dpp v2, v61 row_shr:1 row_mask:0xf bank_mask:0xf
	v_cndmask_b32_e64 v2, v2, 0, s[14:15]
	v_add_u32_e32 v2, v2, v61
	s_nop 1
	v_mov_b32_dpp v3, v2 row_shr:2 row_mask:0xf bank_mask:0xf
	v_cndmask_b32_e64 v3, 0, v3, s[12:13]
	v_add_u32_e32 v2, v2, v3
	s_nop 1
	;; [unrolled: 4-line block ×4, first 2 shown]
	v_mov_b32_dpp v3, v2 row_bcast:15 row_mask:0xf bank_mask:0xf
	v_cndmask_b32_e64 v3, v3, 0, s[6:7]
	v_add_u32_e32 v2, v2, v3
	s_nop 1
	v_mov_b32_dpp v3, v2 row_bcast:31 row_mask:0xf bank_mask:0xf
	v_cndmask_b32_e64 v3, 0, v3, s[2:3]
	v_add_u32_e32 v2, v2, v3
	s_and_saveexec_b64 s[0:1], s[4:5]
	s_cbranch_execz .LBB3348_75
; %bb.74:
	v_lshlrev_b32_e32 v3, 2, v60
	ds_write_b32 v3, v2
.LBB3348_75:
	s_or_b64 exec, exec, s[0:1]
	v_cmp_gt_u32_e32 vcc, 8, v0
	s_waitcnt lgkmcnt(0)
	s_barrier
	s_and_saveexec_b64 s[0:1], vcc
	s_cbranch_execz .LBB3348_77
; %bb.76:
	ds_read_b32 v3, v22
	v_and_b32_e32 v4, 7, v59
	v_cmp_ne_u32_e32 vcc, 0, v4
	s_waitcnt lgkmcnt(0)
	v_mov_b32_dpp v5, v3 row_shr:1 row_mask:0xf bank_mask:0xf
	v_cndmask_b32_e32 v5, 0, v5, vcc
	v_add_u32_e32 v3, v5, v3
	v_cmp_lt_u32_e32 vcc, 1, v4
	s_nop 0
	v_mov_b32_dpp v5, v3 row_shr:2 row_mask:0xf bank_mask:0xf
	v_cndmask_b32_e32 v5, 0, v5, vcc
	v_add_u32_e32 v3, v3, v5
	v_cmp_lt_u32_e32 vcc, 3, v4
	s_nop 0
	v_mov_b32_dpp v5, v3 row_shr:4 row_mask:0xf bank_mask:0xf
	v_cndmask_b32_e32 v4, 0, v5, vcc
	v_add_u32_e32 v3, v3, v4
	ds_write_b32 v22, v3
.LBB3348_77:
	s_or_b64 exec, exec, s[0:1]
	v_cmp_gt_u32_e32 vcc, 64, v0
	v_cmp_lt_u32_e64 s[0:1], 63, v0
	s_waitcnt lgkmcnt(0)
	s_barrier
	s_waitcnt lgkmcnt(0)
                                        ; implicit-def: $vgpr12
	s_and_saveexec_b64 s[16:17], s[0:1]
	s_cbranch_execz .LBB3348_79
; %bb.78:
	v_lshl_add_u32 v3, v60, 2, -4
	ds_read_b32 v12, v3
	s_waitcnt lgkmcnt(0)
	v_add_u32_e32 v2, v12, v2
.LBB3348_79:
	s_or_b64 exec, exec, s[16:17]
	v_add_u32_e32 v3, -1, v59
	v_and_b32_e32 v4, 64, v59
	v_cmp_lt_i32_e64 s[0:1], v3, v4
	v_cmp_eq_u32_e64 s[16:17], 0, v59
	s_nop 0
	v_cndmask_b32_e64 v3, v3, v59, s[0:1]
	v_lshlrev_b32_e32 v3, 2, v3
	ds_bpermute_b32 v13, v3, v2
	s_and_saveexec_b64 s[0:1], vcc
	s_cbranch_execz .LBB3348_98
; %bb.80:
	v_mov_b32_e32 v9, 0
	ds_read_b32 v2, v9 offset:28
	s_and_saveexec_b64 s[34:35], s[16:17]
	s_cbranch_execz .LBB3348_82
; %bb.81:
	s_add_i32 s36, s38, 64
	s_mov_b32 s37, 0
	s_lshl_b64 s[36:37], s[36:37], 3
	s_add_u32 s36, s30, s36
	v_mov_b32_e32 v3, 1
	s_addc_u32 s37, s31, s37
	s_waitcnt lgkmcnt(0)
	global_store_dwordx2 v9, v[2:3], s[36:37] sc1
.LBB3348_82:
	s_or_b64 exec, exec, s[34:35]
	v_xad_u32 v4, v59, -1, s38
	v_add_u32_e32 v8, 64, v4
	v_lshl_add_u64 v[10:11], v[8:9], 3, s[30:31]
	global_load_dwordx2 v[6:7], v[10:11], off sc1
	s_waitcnt vmcnt(0)
	v_cmp_eq_u16_sdwa s[36:37], v7, v9 src0_sel:BYTE_0 src1_sel:DWORD
	s_and_saveexec_b64 s[34:35], s[36:37]
	s_cbranch_execz .LBB3348_86
; %bb.83:
	s_mov_b64 s[36:37], 0
	v_mov_b32_e32 v3, 0
.LBB3348_84:                            ; =>This Inner Loop Header: Depth=1
	global_load_dwordx2 v[6:7], v[10:11], off sc1
	s_waitcnt vmcnt(0)
	v_cmp_ne_u16_sdwa s[40:41], v7, v3 src0_sel:BYTE_0 src1_sel:DWORD
	s_or_b64 s[36:37], s[40:41], s[36:37]
	s_andn2_b64 exec, exec, s[36:37]
	s_cbranch_execnz .LBB3348_84
; %bb.85:
	s_or_b64 exec, exec, s[36:37]
.LBB3348_86:
	s_or_b64 exec, exec, s[34:35]
	v_and_b32_e32 v15, 63, v59
	v_mov_b32_e32 v14, 2
	v_cmp_ne_u32_e32 vcc, 63, v15
	v_cmp_eq_u16_sdwa s[34:35], v7, v14 src0_sel:BYTE_0 src1_sel:DWORD
	v_lshlrev_b64 v[8:9], v59, -1
	v_addc_co_u32_e32 v10, vcc, 0, v59, vcc
	v_and_b32_e32 v3, s35, v9
	v_lshlrev_b32_e32 v16, 2, v10
	v_or_b32_e32 v3, 0x80000000, v3
	ds_bpermute_b32 v10, v16, v6
	v_and_b32_e32 v5, s34, v8
	v_ffbl_b32_e32 v3, v3
	v_add_u32_e32 v3, 32, v3
	v_ffbl_b32_e32 v5, v5
	v_min_u32_e32 v3, v5, v3
	v_cmp_lt_u32_e32 vcc, v15, v3
	v_add_u32_e32 v42, 2, v15
	v_add_u32_e32 v44, 4, v15
	s_waitcnt lgkmcnt(0)
	v_cndmask_b32_e32 v5, 0, v10, vcc
	v_cmp_gt_u32_e32 vcc, 62, v15
	v_add_u32_e32 v5, v5, v6
	v_add_u32_e32 v63, 8, v15
	v_cndmask_b32_e64 v6, 0, 1, vcc
	v_lshlrev_b32_e32 v6, 1, v6
	v_add_lshl_u32 v17, v6, v59, 2
	ds_bpermute_b32 v6, v17, v5
	v_cmp_le_u32_e32 vcc, v42, v3
	v_add_u32_e32 v65, 16, v15
	v_add_u32_e32 v67, 32, v15
	s_waitcnt lgkmcnt(0)
	v_cndmask_b32_e32 v6, 0, v6, vcc
	v_cmp_gt_u32_e32 vcc, 60, v15
	v_add_u32_e32 v5, v5, v6
	s_nop 0
	v_cndmask_b32_e64 v6, 0, 1, vcc
	v_lshlrev_b32_e32 v6, 2, v6
	v_add_lshl_u32 v43, v6, v59, 2
	ds_bpermute_b32 v6, v43, v5
	v_cmp_le_u32_e32 vcc, v44, v3
	s_waitcnt lgkmcnt(0)
	s_nop 0
	v_cndmask_b32_e32 v6, 0, v6, vcc
	v_cmp_gt_u32_e32 vcc, 56, v15
	v_add_u32_e32 v5, v5, v6
	s_nop 0
	v_cndmask_b32_e64 v6, 0, 1, vcc
	v_lshlrev_b32_e32 v6, 3, v6
	v_add_lshl_u32 v62, v6, v59, 2
	ds_bpermute_b32 v6, v62, v5
	v_cmp_le_u32_e32 vcc, v63, v3
	s_waitcnt lgkmcnt(0)
	s_nop 0
	;; [unrolled: 11-line block ×4, first 2 shown]
	v_cndmask_b32_e32 v3, 0, v6, vcc
	v_add_u32_e32 v6, v5, v3
	v_mov_b32_e32 v5, 0
	s_branch .LBB3348_88
.LBB3348_87:                            ;   in Loop: Header=BB3348_88 Depth=1
	s_or_b64 exec, exec, s[34:35]
	v_cmp_eq_u16_sdwa s[34:35], v7, v14 src0_sel:BYTE_0 src1_sel:DWORD
	ds_bpermute_b32 v68, v16, v6
	v_subrev_u32_e32 v4, 64, v4
	v_and_b32_e32 v10, s35, v9
	v_or_b32_e32 v10, 0x80000000, v10
	v_and_b32_e32 v11, s34, v8
	v_ffbl_b32_e32 v10, v10
	v_add_u32_e32 v10, 32, v10
	v_ffbl_b32_e32 v11, v11
	v_min_u32_e32 v10, v11, v10
	v_cmp_lt_u32_e32 vcc, v15, v10
	s_waitcnt lgkmcnt(0)
	s_nop 0
	v_cndmask_b32_e32 v11, 0, v68, vcc
	v_add_u32_e32 v6, v11, v6
	ds_bpermute_b32 v11, v17, v6
	v_cmp_le_u32_e32 vcc, v42, v10
	s_waitcnt lgkmcnt(0)
	s_nop 0
	v_cndmask_b32_e32 v11, 0, v11, vcc
	v_add_u32_e32 v6, v6, v11
	ds_bpermute_b32 v11, v43, v6
	v_cmp_le_u32_e32 vcc, v44, v10
	;; [unrolled: 6-line block ×5, first 2 shown]
	s_waitcnt lgkmcnt(0)
	s_nop 0
	v_cndmask_b32_e32 v10, 0, v11, vcc
	v_add3_u32 v6, v10, v3, v6
.LBB3348_88:                            ; =>This Loop Header: Depth=1
                                        ;     Child Loop BB3348_91 Depth 2
	v_cmp_ne_u16_sdwa s[34:35], v7, v14 src0_sel:BYTE_0 src1_sel:DWORD
	s_nop 1
	v_cndmask_b32_e64 v3, 0, 1, s[34:35]
	;;#ASMSTART
	;;#ASMEND
	s_nop 0
	v_cmp_ne_u32_e32 vcc, 0, v3
	s_cmp_lg_u64 vcc, exec
	v_mov_b32_e32 v3, v6
	s_cbranch_scc1 .LBB3348_93
; %bb.89:                               ;   in Loop: Header=BB3348_88 Depth=1
	v_lshl_add_u64 v[10:11], v[4:5], 3, s[30:31]
	global_load_dwordx2 v[6:7], v[10:11], off sc1
	s_waitcnt vmcnt(0)
	v_cmp_eq_u16_sdwa s[36:37], v7, v5 src0_sel:BYTE_0 src1_sel:DWORD
	s_and_saveexec_b64 s[34:35], s[36:37]
	s_cbranch_execz .LBB3348_87
; %bb.90:                               ;   in Loop: Header=BB3348_88 Depth=1
	s_mov_b64 s[36:37], 0
.LBB3348_91:                            ;   Parent Loop BB3348_88 Depth=1
                                        ; =>  This Inner Loop Header: Depth=2
	global_load_dwordx2 v[6:7], v[10:11], off sc1
	s_waitcnt vmcnt(0)
	v_cmp_ne_u16_sdwa s[40:41], v7, v5 src0_sel:BYTE_0 src1_sel:DWORD
	s_or_b64 s[36:37], s[40:41], s[36:37]
	s_andn2_b64 exec, exec, s[36:37]
	s_cbranch_execnz .LBB3348_91
; %bb.92:                               ;   in Loop: Header=BB3348_88 Depth=1
	s_or_b64 exec, exec, s[36:37]
	s_branch .LBB3348_87
.LBB3348_93:                            ;   in Loop: Header=BB3348_88 Depth=1
                                        ; implicit-def: $vgpr6
                                        ; implicit-def: $vgpr7
	s_cbranch_execz .LBB3348_88
; %bb.94:
	s_and_saveexec_b64 s[34:35], s[16:17]
	s_cbranch_execz .LBB3348_96
; %bb.95:
	s_add_i32 s36, s38, 64
	s_mov_b32 s37, 0
	s_lshl_b64 s[36:37], s[36:37], 3
	s_add_u32 s36, s30, s36
	v_add_u32_e32 v4, v3, v2
	v_mov_b32_e32 v5, 2
	s_addc_u32 s37, s31, s37
	v_mov_b32_e32 v6, 0
	global_store_dwordx2 v6, v[4:5], s[36:37] sc1
	ds_write_b64 v6, v[2:3] offset:30720
.LBB3348_96:
	s_or_b64 exec, exec, s[34:35]
	s_and_b64 exec, exec, s[18:19]
	s_cbranch_execz .LBB3348_98
; %bb.97:
	v_mov_b32_e32 v2, 0
	ds_write_b32 v2, v3 offset:28
.LBB3348_98:
	s_or_b64 exec, exec, s[0:1]
	v_mov_b32_e32 v14, 0
	s_waitcnt lgkmcnt(0)
	s_barrier
	ds_read_b32 v2, v14 offset:28
	v_cndmask_b32_e64 v3, v13, v12, s[16:17]
	v_cndmask_b32_e64 v3, v3, 0, s[18:19]
	s_waitcnt lgkmcnt(0)
	s_barrier
	v_add_u32_e32 v2, v2, v3
	v_add_u32_e32 v3, v2, v56
	;; [unrolled: 1-line block ×10, first 2 shown]
	ds_read_b64 v[42:43], v14 offset:30720
	v_add_u32_e32 v12, v11, v51
	v_add_u32_e32 v13, v12, v52
	;; [unrolled: 1-line block ×5, first 2 shown]
	s_waitcnt lgkmcnt(0)
	v_mov_b32_e32 v44, v43
	s_branch .LBB3348_109
.LBB3348_99:
                                        ; implicit-def: $vgpr44
                                        ; implicit-def: $vgpr42
                                        ; implicit-def: $vgpr2_vgpr3_vgpr4_vgpr5_vgpr6_vgpr7_vgpr8_vgpr9_vgpr10_vgpr11_vgpr12_vgpr13_vgpr14_vgpr15_vgpr16_vgpr17
	s_cbranch_execz .LBB3348_109
; %bb.100:
	s_nop 0
	v_mov_b32_dpp v2, v61 row_shr:1 row_mask:0xf bank_mask:0xf
	v_cndmask_b32_e64 v2, v2, 0, s[14:15]
	v_add_u32_e32 v2, v2, v61
	s_nop 1
	v_mov_b32_dpp v3, v2 row_shr:2 row_mask:0xf bank_mask:0xf
	v_cndmask_b32_e64 v3, 0, v3, s[12:13]
	v_add_u32_e32 v2, v2, v3
	;; [unrolled: 4-line block ×4, first 2 shown]
	s_nop 1
	v_mov_b32_dpp v3, v2 row_bcast:15 row_mask:0xf bank_mask:0xf
	v_cndmask_b32_e64 v3, v3, 0, s[6:7]
	v_add_u32_e32 v2, v2, v3
	s_nop 1
	v_mov_b32_dpp v3, v2 row_bcast:31 row_mask:0xf bank_mask:0xf
	v_cndmask_b32_e64 v3, 0, v3, s[2:3]
	v_add_u32_e32 v2, v2, v3
	s_and_saveexec_b64 s[0:1], s[4:5]
	s_cbranch_execz .LBB3348_102
; %bb.101:
	v_lshlrev_b32_e32 v3, 2, v60
	ds_write_b32 v3, v2
.LBB3348_102:
	s_or_b64 exec, exec, s[0:1]
	v_cmp_gt_u32_e32 vcc, 8, v0
	s_waitcnt lgkmcnt(0)
	s_barrier
	s_and_saveexec_b64 s[0:1], vcc
	s_cbranch_execz .LBB3348_104
; %bb.103:
	v_mad_i32_i24 v3, v0, -11, v21
	ds_read_b32 v4, v3
	v_and_b32_e32 v5, 7, v59
	v_cmp_ne_u32_e32 vcc, 0, v5
	s_waitcnt lgkmcnt(0)
	v_mov_b32_dpp v6, v4 row_shr:1 row_mask:0xf bank_mask:0xf
	v_cndmask_b32_e32 v6, 0, v6, vcc
	v_add_u32_e32 v4, v6, v4
	v_cmp_lt_u32_e32 vcc, 1, v5
	s_nop 0
	v_mov_b32_dpp v6, v4 row_shr:2 row_mask:0xf bank_mask:0xf
	v_cndmask_b32_e32 v6, 0, v6, vcc
	v_add_u32_e32 v4, v4, v6
	v_cmp_lt_u32_e32 vcc, 3, v5
	s_nop 0
	v_mov_b32_dpp v6, v4 row_shr:4 row_mask:0xf bank_mask:0xf
	v_cndmask_b32_e32 v5, 0, v6, vcc
	v_add_u32_e32 v4, v4, v5
	ds_write_b32 v3, v4
.LBB3348_104:
	s_or_b64 exec, exec, s[0:1]
	v_cmp_lt_u32_e32 vcc, 63, v0
	v_mov_b32_e32 v4, 0
	v_mov_b32_e32 v3, 0
	s_waitcnt lgkmcnt(0)
	s_barrier
	s_and_saveexec_b64 s[0:1], vcc
	s_cbranch_execz .LBB3348_106
; %bb.105:
	v_lshl_add_u32 v3, v60, 2, -4
	ds_read_b32 v3, v3
.LBB3348_106:
	s_or_b64 exec, exec, s[0:1]
	v_add_u32_e32 v5, -1, v59
	v_and_b32_e32 v6, 64, v59
	v_cmp_lt_i32_e32 vcc, v5, v6
	s_waitcnt lgkmcnt(0)
	v_add_u32_e32 v2, v3, v2
	ds_read_b32 v42, v4 offset:28
	v_cndmask_b32_e32 v5, v5, v59, vcc
	v_lshlrev_b32_e32 v5, 2, v5
	ds_bpermute_b32 v2, v5, v2
	s_and_saveexec_b64 s[0:1], s[18:19]
	s_cbranch_execz .LBB3348_108
; %bb.107:
	v_mov_b32_e32 v4, 0
	v_mov_b32_e32 v43, 2
	s_waitcnt lgkmcnt(1)
	global_store_dwordx2 v4, v[42:43], s[30:31] offset:512 sc1
.LBB3348_108:
	s_or_b64 exec, exec, s[0:1]
	v_cmp_eq_u32_e32 vcc, 0, v59
	v_mov_b32_e32 v44, 0
	s_waitcnt lgkmcnt(0)
	v_cndmask_b32_e32 v2, v2, v3, vcc
	v_cndmask_b32_e64 v2, v2, 0, s[18:19]
	v_add_u32_e32 v3, v2, v56
	v_add_u32_e32 v4, v3, v57
	;; [unrolled: 1-line block ×14, first 2 shown]
	s_barrier
.LBB3348_109:
	v_add_u32_e32 v21, v42, v21
	v_sub_u32_e32 v2, v2, v44
	v_and_b32_e32 v52, 1, v18
	v_sub_u32_e32 v51, v21, v2
	v_cmp_eq_u32_e32 vcc, 1, v52
	v_lshrrev_b32_e32 v50, 8, v18
	v_lshrrev_b32_e32 v43, 8, v19
	v_cndmask_b32_e32 v2, v51, v2, vcc
	v_lshlrev_b32_e32 v2, 2, v2
	ds_write_b32 v2, v40
	v_sub_u32_e32 v2, v3, v44
	v_sub_u32_e32 v3, v21, v2
	v_and_b32_e32 v40, 1, v50
	v_add_u32_e32 v3, 1, v3
	v_cmp_eq_u32_e32 vcc, 1, v40
	v_lshrrev_b32_e32 v17, 8, v20
	v_cmp_le_u32_e64 s[0:1], v42, v0
	v_cndmask_b32_e32 v2, v3, v2, vcc
	v_lshlrev_b32_e32 v2, 2, v2
	ds_write_b32 v2, v41
	v_sub_u32_e32 v2, v4, v44
	v_mov_b32_e32 v4, 1
	v_sub_u32_e32 v3, v21, v2
	v_and_b32_sdwa v18, v4, v18 dst_sel:DWORD dst_unused:UNUSED_PAD src0_sel:DWORD src1_sel:WORD_1
	v_add_u32_e32 v3, 2, v3
	v_cmp_eq_u32_e32 vcc, 1, v18
	s_nop 1
	v_cndmask_b32_e32 v2, v3, v2, vcc
	v_lshlrev_b32_e32 v2, 2, v2
	ds_write_b32 v2, v38
	v_sub_u32_e32 v2, v5, v44
	v_sub_u32_e32 v3, v21, v2
	v_and_b32_e32 v5, 1, v49
	v_add_u32_e32 v3, 3, v3
	v_cmp_eq_u32_e32 vcc, 1, v5
	v_and_b32_e32 v5, 1, v19
	v_or_b32_e32 v38, 0x200, v0
	v_cndmask_b32_e32 v2, v3, v2, vcc
	v_lshlrev_b32_e32 v2, 2, v2
	ds_write_b32 v2, v39
	v_sub_u32_e32 v2, v6, v44
	v_sub_u32_e32 v3, v21, v2
	v_add_u32_e32 v3, 4, v3
	v_cmp_eq_u32_e32 vcc, 1, v5
	v_and_b32_e32 v5, 1, v43
	s_nop 0
	v_cndmask_b32_e32 v2, v3, v2, vcc
	v_lshlrev_b32_e32 v2, 2, v2
	ds_write_b32 v2, v36
	v_sub_u32_e32 v2, v7, v44
	v_sub_u32_e32 v3, v21, v2
	v_add_u32_e32 v3, 5, v3
	v_cmp_eq_u32_e32 vcc, 1, v5
	v_and_b32_sdwa v5, v4, v19 dst_sel:DWORD dst_unused:UNUSED_PAD src0_sel:DWORD src1_sel:WORD_1
	v_and_b32_sdwa v4, v4, v20 dst_sel:DWORD dst_unused:UNUSED_PAD src0_sel:DWORD src1_sel:WORD_1
	v_cndmask_b32_e32 v2, v3, v2, vcc
	v_lshlrev_b32_e32 v2, 2, v2
	ds_write_b32 v2, v37
	v_sub_u32_e32 v2, v8, v44
	v_sub_u32_e32 v3, v21, v2
	v_add_u32_e32 v3, 6, v3
	v_cmp_eq_u32_e32 vcc, 1, v5
	v_and_b32_e32 v5, 1, v48
	v_or_b32_e32 v37, 0x400, v0
	v_cndmask_b32_e32 v2, v3, v2, vcc
	v_lshlrev_b32_e32 v2, 2, v2
	ds_write_b32 v2, v34
	v_sub_u32_e32 v2, v9, v44
	v_sub_u32_e32 v3, v21, v2
	v_add_u32_e32 v3, 7, v3
	v_cmp_eq_u32_e32 vcc, 1, v5
	v_and_b32_e32 v5, 1, v20
	v_or_b32_e32 v36, 0x600, v0
	;; [unrolled: 9-line block ×3, first 2 shown]
	v_cndmask_b32_e32 v2, v3, v2, vcc
	v_lshlrev_b32_e32 v2, 2, v2
	ds_write_b32 v2, v32
	v_sub_u32_e32 v2, v11, v44
	v_sub_u32_e32 v3, v21, v2
	v_add_u32_e32 v3, 9, v3
	v_cmp_eq_u32_e32 vcc, 1, v5
	v_mov_b32_e32 v5, s27
	v_or_b32_e32 v34, 0xa00, v0
	v_cndmask_b32_e32 v2, v3, v2, vcc
	v_lshlrev_b32_e32 v2, 2, v2
	ds_write_b32 v2, v33
	v_sub_u32_e32 v2, v12, v44
	v_sub_u32_e32 v3, v21, v2
	v_add_u32_e32 v3, 10, v3
	v_cmp_eq_u32_e32 vcc, 1, v4
	v_and_b32_e32 v4, 1, v46
	v_or_b32_e32 v33, 0xc00, v0
	v_cndmask_b32_e32 v2, v3, v2, vcc
	v_lshlrev_b32_e32 v2, 2, v2
	ds_write_b32 v2, v30
	v_sub_u32_e32 v2, v13, v44
	v_sub_u32_e32 v3, v21, v2
	v_add_u32_e32 v3, 11, v3
	v_cmp_eq_u32_e32 vcc, 1, v4
	v_or_b32_e32 v32, 0xe00, v0
	v_or_b32_e32 v30, 0x1200, v0
	v_cndmask_b32_e32 v2, v3, v2, vcc
	v_lshlrev_b32_e32 v2, 2, v2
	ds_write_b32 v2, v31
	v_sub_u32_e32 v2, v14, v44
	v_sub_u32_e32 v3, v21, v2
	v_add_u32_e32 v3, 12, v3
	v_cmp_eq_u32_e32 vcc, 1, v47
	v_or_b32_e32 v31, 0x1000, v0
	v_or_b32_e32 v20, 0x1c00, v0
	v_cndmask_b32_e32 v2, v3, v2, vcc
	v_lshlrev_b32_e32 v2, 2, v2
	ds_write_b32 v2, v28
	v_sub_u32_e32 v2, v15, v44
	v_sub_u32_e32 v3, v21, v2
	v_add_u32_e32 v3, 13, v3
	v_cmp_eq_u32_e32 vcc, 1, v45
	v_mov_b32_e32 v45, 0
	v_mov_b32_e32 v43, v45
	v_cndmask_b32_e32 v2, v3, v2, vcc
	v_lshlrev_b32_e32 v2, 2, v2
	ds_write_b32 v2, v29
	v_sub_u32_e32 v2, v16, v44
	v_sub_u32_e32 v3, v21, v2
	v_add_u32_e32 v3, 14, v3
	v_cmp_eq_u32_e32 vcc, 1, v23
	v_or_b32_e32 v29, 0x1400, v0
	v_or_b32_e32 v28, 0x1600, v0
	v_cndmask_b32_e32 v2, v3, v2, vcc
	v_lshlrev_b32_e32 v2, 2, v2
	ds_write_b32 v2, v1
	s_waitcnt vmcnt(0)
	v_lshl_add_u64 v[2:3], v[24:25], 0, v[42:43]
	v_lshl_add_u64 v[2:3], v[2:3], 0, v[44:45]
	s_waitcnt lgkmcnt(0)
	s_barrier
	ds_read2st64_b32 v[18:19], v22 offset1:8
	ds_read2st64_b32 v[16:17], v22 offset0:16 offset1:24
	ds_read2st64_b32 v[14:15], v22 offset0:32 offset1:40
	;; [unrolled: 1-line block ×6, first 2 shown]
	ds_read_b32 v1, v22 offset:28672
	v_sub_co_u32_e32 v4, vcc, s26, v2
	v_or_b32_e32 v23, 0x1800, v0
	s_nop 0
	v_subb_co_u32_e32 v5, vcc, v5, v3, vcc
	v_lshlrev_b64 v[4:5], 2, v[4:5]
	v_lshl_add_u64 v[4:5], s[28:29], 0, v[4:5]
	v_or_b32_e32 v21, 0x1a00, v0
	v_lshl_add_u64 v[4:5], v[4:5], 0, v[26:27]
	s_andn2_b64 vcc, exec, s[24:25]
	s_cbranch_vccnz .LBB3348_126
; %bb.110:
	s_and_saveexec_b64 s[2:3], s[0:1]
	s_cbranch_execnz .LBB3348_161
; %bb.111:
	s_or_b64 exec, exec, s[2:3]
	v_cmp_ge_u32_e32 vcc, v38, v42
	s_and_saveexec_b64 s[0:1], vcc
	s_cbranch_execnz .LBB3348_162
.LBB3348_112:
	s_or_b64 exec, exec, s[0:1]
	v_cmp_ge_u32_e32 vcc, v37, v42
	s_and_saveexec_b64 s[0:1], vcc
	s_cbranch_execnz .LBB3348_163
.LBB3348_113:
	s_or_b64 exec, exec, s[0:1]
	v_cmp_ge_u32_e32 vcc, v36, v42
	s_and_saveexec_b64 s[0:1], vcc
	s_cbranch_execnz .LBB3348_164
.LBB3348_114:
	s_or_b64 exec, exec, s[0:1]
	v_cmp_ge_u32_e32 vcc, v35, v42
	s_and_saveexec_b64 s[0:1], vcc
	s_cbranch_execnz .LBB3348_165
.LBB3348_115:
	s_or_b64 exec, exec, s[0:1]
	v_cmp_ge_u32_e32 vcc, v34, v42
	s_and_saveexec_b64 s[0:1], vcc
	s_cbranch_execnz .LBB3348_166
.LBB3348_116:
	s_or_b64 exec, exec, s[0:1]
	v_cmp_ge_u32_e32 vcc, v33, v42
	s_and_saveexec_b64 s[0:1], vcc
	s_cbranch_execnz .LBB3348_167
.LBB3348_117:
	s_or_b64 exec, exec, s[0:1]
	v_cmp_ge_u32_e32 vcc, v32, v42
	s_and_saveexec_b64 s[0:1], vcc
	s_cbranch_execnz .LBB3348_168
.LBB3348_118:
	s_or_b64 exec, exec, s[0:1]
	v_cmp_ge_u32_e32 vcc, v31, v42
	s_and_saveexec_b64 s[0:1], vcc
	s_cbranch_execnz .LBB3348_169
.LBB3348_119:
	s_or_b64 exec, exec, s[0:1]
	v_cmp_ge_u32_e32 vcc, v30, v42
	s_and_saveexec_b64 s[0:1], vcc
	s_cbranch_execnz .LBB3348_170
.LBB3348_120:
	s_or_b64 exec, exec, s[0:1]
	v_cmp_ge_u32_e32 vcc, v29, v42
	s_and_saveexec_b64 s[0:1], vcc
	s_cbranch_execnz .LBB3348_171
.LBB3348_121:
	s_or_b64 exec, exec, s[0:1]
	v_cmp_ge_u32_e32 vcc, v28, v42
	s_and_saveexec_b64 s[0:1], vcc
	s_cbranch_execnz .LBB3348_172
.LBB3348_122:
	s_or_b64 exec, exec, s[0:1]
	v_cmp_ge_u32_e32 vcc, v23, v42
	s_and_saveexec_b64 s[0:1], vcc
	s_cbranch_execnz .LBB3348_173
.LBB3348_123:
	s_or_b64 exec, exec, s[0:1]
	v_cmp_ge_u32_e32 vcc, v21, v42
	s_and_saveexec_b64 s[0:1], vcc
	s_cbranch_execz .LBB3348_125
.LBB3348_124:
	v_lshlrev_b32_e32 v24, 2, v21
	v_readfirstlane_b32 s2, v4
	v_readfirstlane_b32 s3, v5
	s_waitcnt lgkmcnt(1)
	s_nop 3
	global_store_dword v24, v7, s[2:3]
.LBB3348_125:
	s_or_b64 exec, exec, s[0:1]
	v_cmp_ge_u32_e64 s[0:1], v20, v42
	s_branch .LBB3348_156
.LBB3348_126:
	s_mov_b64 s[0:1], 0
	s_cbranch_execz .LBB3348_156
; %bb.127:
	v_cmp_gt_u32_e32 vcc, s33, v0
	v_cmp_le_u32_e64 s[0:1], v42, v0
	s_and_b64 s[2:3], vcc, s[0:1]
	s_and_saveexec_b64 s[0:1], s[2:3]
	s_cbranch_execz .LBB3348_129
; %bb.128:
	v_readfirstlane_b32 s2, v4
	v_readfirstlane_b32 s3, v5
	s_waitcnt lgkmcnt(7)
	s_nop 3
	global_store_dword v22, v18, s[2:3]
.LBB3348_129:
	s_or_b64 exec, exec, s[0:1]
	v_cmp_gt_u32_e32 vcc, s33, v38
	v_cmp_ge_u32_e64 s[0:1], v38, v42
	s_and_b64 s[2:3], vcc, s[0:1]
	s_and_saveexec_b64 s[0:1], s[2:3]
	s_cbranch_execz .LBB3348_131
; %bb.130:
	v_readfirstlane_b32 s2, v4
	v_readfirstlane_b32 s3, v5
	s_waitcnt lgkmcnt(7)
	s_nop 3
	global_store_dword v22, v19, s[2:3] offset:2048
.LBB3348_131:
	s_or_b64 exec, exec, s[0:1]
	v_cmp_gt_u32_e32 vcc, s33, v37
	v_cmp_ge_u32_e64 s[0:1], v37, v42
	s_and_b64 s[2:3], vcc, s[0:1]
	s_and_saveexec_b64 s[0:1], s[2:3]
	s_cbranch_execz .LBB3348_133
; %bb.132:
	v_lshlrev_b32_e32 v0, 2, v37
	v_readfirstlane_b32 s2, v4
	v_readfirstlane_b32 s3, v5
	s_waitcnt lgkmcnt(6)
	s_nop 3
	global_store_dword v0, v16, s[2:3]
.LBB3348_133:
	s_or_b64 exec, exec, s[0:1]
	v_cmp_gt_u32_e32 vcc, s33, v36
	v_cmp_ge_u32_e64 s[0:1], v36, v42
	s_and_b64 s[2:3], vcc, s[0:1]
	s_and_saveexec_b64 s[0:1], s[2:3]
	s_cbranch_execz .LBB3348_135
; %bb.134:
	v_lshlrev_b32_e32 v0, 2, v36
	v_readfirstlane_b32 s2, v4
	v_readfirstlane_b32 s3, v5
	s_waitcnt lgkmcnt(6)
	s_nop 3
	global_store_dword v0, v17, s[2:3]
.LBB3348_135:
	;; [unrolled: 14-line block ×12, first 2 shown]
	s_or_b64 exec, exec, s[0:1]
	v_cmp_gt_u32_e32 vcc, s33, v20
	v_cmp_ge_u32_e64 s[0:1], v20, v42
	s_and_b64 s[0:1], vcc, s[0:1]
.LBB3348_156:
	s_and_saveexec_b64 s[2:3], s[0:1]
	s_cbranch_execnz .LBB3348_159
; %bb.157:
	s_or_b64 exec, exec, s[2:3]
	s_and_b64 s[0:1], s[18:19], s[22:23]
	s_and_saveexec_b64 s[2:3], s[0:1]
	s_cbranch_execnz .LBB3348_160
.LBB3348_158:
	s_endpgm
.LBB3348_159:
	v_lshlrev_b32_e32 v0, 2, v20
	v_readfirstlane_b32 s0, v4
	v_readfirstlane_b32 s1, v5
	s_waitcnt lgkmcnt(0)
	s_nop 3
	global_store_dword v0, v1, s[0:1]
	s_or_b64 exec, exec, s[2:3]
	s_and_b64 s[0:1], s[18:19], s[22:23]
	s_and_saveexec_b64 s[2:3], s[0:1]
	s_cbranch_execz .LBB3348_158
.LBB3348_160:
	v_mov_b32_e32 v0, 0
	global_store_dwordx2 v0, v[2:3], s[20:21]
	s_endpgm
.LBB3348_161:
	v_readfirstlane_b32 s0, v4
	v_readfirstlane_b32 s1, v5
	s_waitcnt lgkmcnt(7)
	s_nop 3
	global_store_dword v22, v18, s[0:1]
	s_or_b64 exec, exec, s[2:3]
	v_cmp_ge_u32_e32 vcc, v38, v42
	s_and_saveexec_b64 s[0:1], vcc
	s_cbranch_execz .LBB3348_112
.LBB3348_162:
	v_readfirstlane_b32 s2, v4
	v_readfirstlane_b32 s3, v5
	s_waitcnt lgkmcnt(7)
	s_nop 3
	global_store_dword v22, v19, s[2:3] offset:2048
	s_or_b64 exec, exec, s[0:1]
	v_cmp_ge_u32_e32 vcc, v37, v42
	s_and_saveexec_b64 s[0:1], vcc
	s_cbranch_execz .LBB3348_113
.LBB3348_163:
	v_lshlrev_b32_e32 v24, 2, v37
	v_readfirstlane_b32 s2, v4
	v_readfirstlane_b32 s3, v5
	s_waitcnt lgkmcnt(6)
	s_nop 3
	global_store_dword v24, v16, s[2:3]
	s_or_b64 exec, exec, s[0:1]
	v_cmp_ge_u32_e32 vcc, v36, v42
	s_and_saveexec_b64 s[0:1], vcc
	s_cbranch_execz .LBB3348_114
.LBB3348_164:
	v_lshlrev_b32_e32 v24, 2, v36
	v_readfirstlane_b32 s2, v4
	v_readfirstlane_b32 s3, v5
	s_waitcnt lgkmcnt(6)
	s_nop 3
	global_store_dword v24, v17, s[2:3]
	s_or_b64 exec, exec, s[0:1]
	v_cmp_ge_u32_e32 vcc, v35, v42
	s_and_saveexec_b64 s[0:1], vcc
	s_cbranch_execz .LBB3348_115
.LBB3348_165:
	v_lshlrev_b32_e32 v24, 2, v35
	v_readfirstlane_b32 s2, v4
	v_readfirstlane_b32 s3, v5
	s_waitcnt lgkmcnt(5)
	s_nop 3
	global_store_dword v24, v14, s[2:3]
	s_or_b64 exec, exec, s[0:1]
	v_cmp_ge_u32_e32 vcc, v34, v42
	s_and_saveexec_b64 s[0:1], vcc
	s_cbranch_execz .LBB3348_116
.LBB3348_166:
	v_lshlrev_b32_e32 v24, 2, v34
	v_readfirstlane_b32 s2, v4
	v_readfirstlane_b32 s3, v5
	s_waitcnt lgkmcnt(5)
	s_nop 3
	global_store_dword v24, v15, s[2:3]
	s_or_b64 exec, exec, s[0:1]
	v_cmp_ge_u32_e32 vcc, v33, v42
	s_and_saveexec_b64 s[0:1], vcc
	s_cbranch_execz .LBB3348_117
.LBB3348_167:
	v_lshlrev_b32_e32 v24, 2, v33
	v_readfirstlane_b32 s2, v4
	v_readfirstlane_b32 s3, v5
	s_waitcnt lgkmcnt(4)
	s_nop 3
	global_store_dword v24, v12, s[2:3]
	s_or_b64 exec, exec, s[0:1]
	v_cmp_ge_u32_e32 vcc, v32, v42
	s_and_saveexec_b64 s[0:1], vcc
	s_cbranch_execz .LBB3348_118
.LBB3348_168:
	v_lshlrev_b32_e32 v24, 2, v32
	v_readfirstlane_b32 s2, v4
	v_readfirstlane_b32 s3, v5
	s_waitcnt lgkmcnt(4)
	s_nop 3
	global_store_dword v24, v13, s[2:3]
	s_or_b64 exec, exec, s[0:1]
	v_cmp_ge_u32_e32 vcc, v31, v42
	s_and_saveexec_b64 s[0:1], vcc
	s_cbranch_execz .LBB3348_119
.LBB3348_169:
	v_lshlrev_b32_e32 v24, 2, v31
	v_readfirstlane_b32 s2, v4
	v_readfirstlane_b32 s3, v5
	s_waitcnt lgkmcnt(3)
	s_nop 3
	global_store_dword v24, v10, s[2:3]
	s_or_b64 exec, exec, s[0:1]
	v_cmp_ge_u32_e32 vcc, v30, v42
	s_and_saveexec_b64 s[0:1], vcc
	s_cbranch_execz .LBB3348_120
.LBB3348_170:
	v_lshlrev_b32_e32 v24, 2, v30
	v_readfirstlane_b32 s2, v4
	v_readfirstlane_b32 s3, v5
	s_waitcnt lgkmcnt(3)
	s_nop 3
	global_store_dword v24, v11, s[2:3]
	s_or_b64 exec, exec, s[0:1]
	v_cmp_ge_u32_e32 vcc, v29, v42
	s_and_saveexec_b64 s[0:1], vcc
	s_cbranch_execz .LBB3348_121
.LBB3348_171:
	v_lshlrev_b32_e32 v24, 2, v29
	v_readfirstlane_b32 s2, v4
	v_readfirstlane_b32 s3, v5
	s_waitcnt lgkmcnt(2)
	s_nop 3
	global_store_dword v24, v8, s[2:3]
	s_or_b64 exec, exec, s[0:1]
	v_cmp_ge_u32_e32 vcc, v28, v42
	s_and_saveexec_b64 s[0:1], vcc
	s_cbranch_execz .LBB3348_122
.LBB3348_172:
	v_lshlrev_b32_e32 v24, 2, v28
	v_readfirstlane_b32 s2, v4
	v_readfirstlane_b32 s3, v5
	s_waitcnt lgkmcnt(2)
	s_nop 3
	global_store_dword v24, v9, s[2:3]
	s_or_b64 exec, exec, s[0:1]
	v_cmp_ge_u32_e32 vcc, v23, v42
	s_and_saveexec_b64 s[0:1], vcc
	s_cbranch_execz .LBB3348_123
.LBB3348_173:
	v_lshlrev_b32_e32 v24, 2, v23
	v_readfirstlane_b32 s2, v4
	v_readfirstlane_b32 s3, v5
	s_waitcnt lgkmcnt(1)
	s_nop 3
	global_store_dword v24, v6, s[2:3]
	s_or_b64 exec, exec, s[0:1]
	v_cmp_ge_u32_e32 vcc, v21, v42
	s_and_saveexec_b64 s[0:1], vcc
	s_cbranch_execnz .LBB3348_124
	s_branch .LBB3348_125
	.section	.rodata,"a",@progbits
	.p2align	6, 0x0
	.amdhsa_kernel _ZN7rocprim17ROCPRIM_400000_NS6detail17trampoline_kernelINS0_14default_configENS1_25partition_config_selectorILNS1_17partition_subalgoE1EiNS0_10empty_typeEbEEZZNS1_14partition_implILS5_1ELb0ES3_jN6thrust23THRUST_200600_302600_NS6detail15normal_iteratorINSA_10device_ptrIiEEEEPS6_NSA_18transform_iteratorI7is_evenIiESF_NSA_11use_defaultESK_EENS0_5tupleIJNSA_16discard_iteratorISK_EESF_EEENSM_IJSG_SG_EEES6_PlJS6_EEE10hipError_tPvRmT3_T4_T5_T6_T7_T9_mT8_P12ihipStream_tbDpT10_ENKUlT_T0_E_clISt17integral_constantIbLb0EES1A_IbLb1EEEEDaS16_S17_EUlS16_E_NS1_11comp_targetILNS1_3genE5ELNS1_11target_archE942ELNS1_3gpuE9ELNS1_3repE0EEENS1_30default_config_static_selectorELNS0_4arch9wavefront6targetE1EEEvT1_
		.amdhsa_group_segment_fixed_size 30728
		.amdhsa_private_segment_fixed_size 0
		.amdhsa_kernarg_size 152
		.amdhsa_user_sgpr_count 2
		.amdhsa_user_sgpr_dispatch_ptr 0
		.amdhsa_user_sgpr_queue_ptr 0
		.amdhsa_user_sgpr_kernarg_segment_ptr 1
		.amdhsa_user_sgpr_dispatch_id 0
		.amdhsa_user_sgpr_kernarg_preload_length 0
		.amdhsa_user_sgpr_kernarg_preload_offset 0
		.amdhsa_user_sgpr_private_segment_size 0
		.amdhsa_uses_dynamic_stack 0
		.amdhsa_enable_private_segment 0
		.amdhsa_system_sgpr_workgroup_id_x 1
		.amdhsa_system_sgpr_workgroup_id_y 0
		.amdhsa_system_sgpr_workgroup_id_z 0
		.amdhsa_system_sgpr_workgroup_info 0
		.amdhsa_system_vgpr_workitem_id 0
		.amdhsa_next_free_vgpr 69
		.amdhsa_next_free_sgpr 42
		.amdhsa_accum_offset 72
		.amdhsa_reserve_vcc 1
		.amdhsa_float_round_mode_32 0
		.amdhsa_float_round_mode_16_64 0
		.amdhsa_float_denorm_mode_32 3
		.amdhsa_float_denorm_mode_16_64 3
		.amdhsa_dx10_clamp 1
		.amdhsa_ieee_mode 1
		.amdhsa_fp16_overflow 0
		.amdhsa_tg_split 0
		.amdhsa_exception_fp_ieee_invalid_op 0
		.amdhsa_exception_fp_denorm_src 0
		.amdhsa_exception_fp_ieee_div_zero 0
		.amdhsa_exception_fp_ieee_overflow 0
		.amdhsa_exception_fp_ieee_underflow 0
		.amdhsa_exception_fp_ieee_inexact 0
		.amdhsa_exception_int_div_zero 0
	.end_amdhsa_kernel
	.section	.text._ZN7rocprim17ROCPRIM_400000_NS6detail17trampoline_kernelINS0_14default_configENS1_25partition_config_selectorILNS1_17partition_subalgoE1EiNS0_10empty_typeEbEEZZNS1_14partition_implILS5_1ELb0ES3_jN6thrust23THRUST_200600_302600_NS6detail15normal_iteratorINSA_10device_ptrIiEEEEPS6_NSA_18transform_iteratorI7is_evenIiESF_NSA_11use_defaultESK_EENS0_5tupleIJNSA_16discard_iteratorISK_EESF_EEENSM_IJSG_SG_EEES6_PlJS6_EEE10hipError_tPvRmT3_T4_T5_T6_T7_T9_mT8_P12ihipStream_tbDpT10_ENKUlT_T0_E_clISt17integral_constantIbLb0EES1A_IbLb1EEEEDaS16_S17_EUlS16_E_NS1_11comp_targetILNS1_3genE5ELNS1_11target_archE942ELNS1_3gpuE9ELNS1_3repE0EEENS1_30default_config_static_selectorELNS0_4arch9wavefront6targetE1EEEvT1_,"axG",@progbits,_ZN7rocprim17ROCPRIM_400000_NS6detail17trampoline_kernelINS0_14default_configENS1_25partition_config_selectorILNS1_17partition_subalgoE1EiNS0_10empty_typeEbEEZZNS1_14partition_implILS5_1ELb0ES3_jN6thrust23THRUST_200600_302600_NS6detail15normal_iteratorINSA_10device_ptrIiEEEEPS6_NSA_18transform_iteratorI7is_evenIiESF_NSA_11use_defaultESK_EENS0_5tupleIJNSA_16discard_iteratorISK_EESF_EEENSM_IJSG_SG_EEES6_PlJS6_EEE10hipError_tPvRmT3_T4_T5_T6_T7_T9_mT8_P12ihipStream_tbDpT10_ENKUlT_T0_E_clISt17integral_constantIbLb0EES1A_IbLb1EEEEDaS16_S17_EUlS16_E_NS1_11comp_targetILNS1_3genE5ELNS1_11target_archE942ELNS1_3gpuE9ELNS1_3repE0EEENS1_30default_config_static_selectorELNS0_4arch9wavefront6targetE1EEEvT1_,comdat
.Lfunc_end3348:
	.size	_ZN7rocprim17ROCPRIM_400000_NS6detail17trampoline_kernelINS0_14default_configENS1_25partition_config_selectorILNS1_17partition_subalgoE1EiNS0_10empty_typeEbEEZZNS1_14partition_implILS5_1ELb0ES3_jN6thrust23THRUST_200600_302600_NS6detail15normal_iteratorINSA_10device_ptrIiEEEEPS6_NSA_18transform_iteratorI7is_evenIiESF_NSA_11use_defaultESK_EENS0_5tupleIJNSA_16discard_iteratorISK_EESF_EEENSM_IJSG_SG_EEES6_PlJS6_EEE10hipError_tPvRmT3_T4_T5_T6_T7_T9_mT8_P12ihipStream_tbDpT10_ENKUlT_T0_E_clISt17integral_constantIbLb0EES1A_IbLb1EEEEDaS16_S17_EUlS16_E_NS1_11comp_targetILNS1_3genE5ELNS1_11target_archE942ELNS1_3gpuE9ELNS1_3repE0EEENS1_30default_config_static_selectorELNS0_4arch9wavefront6targetE1EEEvT1_, .Lfunc_end3348-_ZN7rocprim17ROCPRIM_400000_NS6detail17trampoline_kernelINS0_14default_configENS1_25partition_config_selectorILNS1_17partition_subalgoE1EiNS0_10empty_typeEbEEZZNS1_14partition_implILS5_1ELb0ES3_jN6thrust23THRUST_200600_302600_NS6detail15normal_iteratorINSA_10device_ptrIiEEEEPS6_NSA_18transform_iteratorI7is_evenIiESF_NSA_11use_defaultESK_EENS0_5tupleIJNSA_16discard_iteratorISK_EESF_EEENSM_IJSG_SG_EEES6_PlJS6_EEE10hipError_tPvRmT3_T4_T5_T6_T7_T9_mT8_P12ihipStream_tbDpT10_ENKUlT_T0_E_clISt17integral_constantIbLb0EES1A_IbLb1EEEEDaS16_S17_EUlS16_E_NS1_11comp_targetILNS1_3genE5ELNS1_11target_archE942ELNS1_3gpuE9ELNS1_3repE0EEENS1_30default_config_static_selectorELNS0_4arch9wavefront6targetE1EEEvT1_
                                        ; -- End function
	.section	.AMDGPU.csdata,"",@progbits
; Kernel info:
; codeLenInByte = 7996
; NumSgprs: 48
; NumVgprs: 69
; NumAgprs: 0
; TotalNumVgprs: 69
; ScratchSize: 0
; MemoryBound: 0
; FloatMode: 240
; IeeeMode: 1
; LDSByteSize: 30728 bytes/workgroup (compile time only)
; SGPRBlocks: 5
; VGPRBlocks: 8
; NumSGPRsForWavesPerEU: 48
; NumVGPRsForWavesPerEU: 69
; AccumOffset: 72
; Occupancy: 4
; WaveLimiterHint : 1
; COMPUTE_PGM_RSRC2:SCRATCH_EN: 0
; COMPUTE_PGM_RSRC2:USER_SGPR: 2
; COMPUTE_PGM_RSRC2:TRAP_HANDLER: 0
; COMPUTE_PGM_RSRC2:TGID_X_EN: 1
; COMPUTE_PGM_RSRC2:TGID_Y_EN: 0
; COMPUTE_PGM_RSRC2:TGID_Z_EN: 0
; COMPUTE_PGM_RSRC2:TIDIG_COMP_CNT: 0
; COMPUTE_PGM_RSRC3_GFX90A:ACCUM_OFFSET: 17
; COMPUTE_PGM_RSRC3_GFX90A:TG_SPLIT: 0
	.section	.text._ZN7rocprim17ROCPRIM_400000_NS6detail17trampoline_kernelINS0_14default_configENS1_25partition_config_selectorILNS1_17partition_subalgoE1EiNS0_10empty_typeEbEEZZNS1_14partition_implILS5_1ELb0ES3_jN6thrust23THRUST_200600_302600_NS6detail15normal_iteratorINSA_10device_ptrIiEEEEPS6_NSA_18transform_iteratorI7is_evenIiESF_NSA_11use_defaultESK_EENS0_5tupleIJNSA_16discard_iteratorISK_EESF_EEENSM_IJSG_SG_EEES6_PlJS6_EEE10hipError_tPvRmT3_T4_T5_T6_T7_T9_mT8_P12ihipStream_tbDpT10_ENKUlT_T0_E_clISt17integral_constantIbLb0EES1A_IbLb1EEEEDaS16_S17_EUlS16_E_NS1_11comp_targetILNS1_3genE4ELNS1_11target_archE910ELNS1_3gpuE8ELNS1_3repE0EEENS1_30default_config_static_selectorELNS0_4arch9wavefront6targetE1EEEvT1_,"axG",@progbits,_ZN7rocprim17ROCPRIM_400000_NS6detail17trampoline_kernelINS0_14default_configENS1_25partition_config_selectorILNS1_17partition_subalgoE1EiNS0_10empty_typeEbEEZZNS1_14partition_implILS5_1ELb0ES3_jN6thrust23THRUST_200600_302600_NS6detail15normal_iteratorINSA_10device_ptrIiEEEEPS6_NSA_18transform_iteratorI7is_evenIiESF_NSA_11use_defaultESK_EENS0_5tupleIJNSA_16discard_iteratorISK_EESF_EEENSM_IJSG_SG_EEES6_PlJS6_EEE10hipError_tPvRmT3_T4_T5_T6_T7_T9_mT8_P12ihipStream_tbDpT10_ENKUlT_T0_E_clISt17integral_constantIbLb0EES1A_IbLb1EEEEDaS16_S17_EUlS16_E_NS1_11comp_targetILNS1_3genE4ELNS1_11target_archE910ELNS1_3gpuE8ELNS1_3repE0EEENS1_30default_config_static_selectorELNS0_4arch9wavefront6targetE1EEEvT1_,comdat
	.protected	_ZN7rocprim17ROCPRIM_400000_NS6detail17trampoline_kernelINS0_14default_configENS1_25partition_config_selectorILNS1_17partition_subalgoE1EiNS0_10empty_typeEbEEZZNS1_14partition_implILS5_1ELb0ES3_jN6thrust23THRUST_200600_302600_NS6detail15normal_iteratorINSA_10device_ptrIiEEEEPS6_NSA_18transform_iteratorI7is_evenIiESF_NSA_11use_defaultESK_EENS0_5tupleIJNSA_16discard_iteratorISK_EESF_EEENSM_IJSG_SG_EEES6_PlJS6_EEE10hipError_tPvRmT3_T4_T5_T6_T7_T9_mT8_P12ihipStream_tbDpT10_ENKUlT_T0_E_clISt17integral_constantIbLb0EES1A_IbLb1EEEEDaS16_S17_EUlS16_E_NS1_11comp_targetILNS1_3genE4ELNS1_11target_archE910ELNS1_3gpuE8ELNS1_3repE0EEENS1_30default_config_static_selectorELNS0_4arch9wavefront6targetE1EEEvT1_ ; -- Begin function _ZN7rocprim17ROCPRIM_400000_NS6detail17trampoline_kernelINS0_14default_configENS1_25partition_config_selectorILNS1_17partition_subalgoE1EiNS0_10empty_typeEbEEZZNS1_14partition_implILS5_1ELb0ES3_jN6thrust23THRUST_200600_302600_NS6detail15normal_iteratorINSA_10device_ptrIiEEEEPS6_NSA_18transform_iteratorI7is_evenIiESF_NSA_11use_defaultESK_EENS0_5tupleIJNSA_16discard_iteratorISK_EESF_EEENSM_IJSG_SG_EEES6_PlJS6_EEE10hipError_tPvRmT3_T4_T5_T6_T7_T9_mT8_P12ihipStream_tbDpT10_ENKUlT_T0_E_clISt17integral_constantIbLb0EES1A_IbLb1EEEEDaS16_S17_EUlS16_E_NS1_11comp_targetILNS1_3genE4ELNS1_11target_archE910ELNS1_3gpuE8ELNS1_3repE0EEENS1_30default_config_static_selectorELNS0_4arch9wavefront6targetE1EEEvT1_
	.globl	_ZN7rocprim17ROCPRIM_400000_NS6detail17trampoline_kernelINS0_14default_configENS1_25partition_config_selectorILNS1_17partition_subalgoE1EiNS0_10empty_typeEbEEZZNS1_14partition_implILS5_1ELb0ES3_jN6thrust23THRUST_200600_302600_NS6detail15normal_iteratorINSA_10device_ptrIiEEEEPS6_NSA_18transform_iteratorI7is_evenIiESF_NSA_11use_defaultESK_EENS0_5tupleIJNSA_16discard_iteratorISK_EESF_EEENSM_IJSG_SG_EEES6_PlJS6_EEE10hipError_tPvRmT3_T4_T5_T6_T7_T9_mT8_P12ihipStream_tbDpT10_ENKUlT_T0_E_clISt17integral_constantIbLb0EES1A_IbLb1EEEEDaS16_S17_EUlS16_E_NS1_11comp_targetILNS1_3genE4ELNS1_11target_archE910ELNS1_3gpuE8ELNS1_3repE0EEENS1_30default_config_static_selectorELNS0_4arch9wavefront6targetE1EEEvT1_
	.p2align	8
	.type	_ZN7rocprim17ROCPRIM_400000_NS6detail17trampoline_kernelINS0_14default_configENS1_25partition_config_selectorILNS1_17partition_subalgoE1EiNS0_10empty_typeEbEEZZNS1_14partition_implILS5_1ELb0ES3_jN6thrust23THRUST_200600_302600_NS6detail15normal_iteratorINSA_10device_ptrIiEEEEPS6_NSA_18transform_iteratorI7is_evenIiESF_NSA_11use_defaultESK_EENS0_5tupleIJNSA_16discard_iteratorISK_EESF_EEENSM_IJSG_SG_EEES6_PlJS6_EEE10hipError_tPvRmT3_T4_T5_T6_T7_T9_mT8_P12ihipStream_tbDpT10_ENKUlT_T0_E_clISt17integral_constantIbLb0EES1A_IbLb1EEEEDaS16_S17_EUlS16_E_NS1_11comp_targetILNS1_3genE4ELNS1_11target_archE910ELNS1_3gpuE8ELNS1_3repE0EEENS1_30default_config_static_selectorELNS0_4arch9wavefront6targetE1EEEvT1_,@function
_ZN7rocprim17ROCPRIM_400000_NS6detail17trampoline_kernelINS0_14default_configENS1_25partition_config_selectorILNS1_17partition_subalgoE1EiNS0_10empty_typeEbEEZZNS1_14partition_implILS5_1ELb0ES3_jN6thrust23THRUST_200600_302600_NS6detail15normal_iteratorINSA_10device_ptrIiEEEEPS6_NSA_18transform_iteratorI7is_evenIiESF_NSA_11use_defaultESK_EENS0_5tupleIJNSA_16discard_iteratorISK_EESF_EEENSM_IJSG_SG_EEES6_PlJS6_EEE10hipError_tPvRmT3_T4_T5_T6_T7_T9_mT8_P12ihipStream_tbDpT10_ENKUlT_T0_E_clISt17integral_constantIbLb0EES1A_IbLb1EEEEDaS16_S17_EUlS16_E_NS1_11comp_targetILNS1_3genE4ELNS1_11target_archE910ELNS1_3gpuE8ELNS1_3repE0EEENS1_30default_config_static_selectorELNS0_4arch9wavefront6targetE1EEEvT1_: ; @_ZN7rocprim17ROCPRIM_400000_NS6detail17trampoline_kernelINS0_14default_configENS1_25partition_config_selectorILNS1_17partition_subalgoE1EiNS0_10empty_typeEbEEZZNS1_14partition_implILS5_1ELb0ES3_jN6thrust23THRUST_200600_302600_NS6detail15normal_iteratorINSA_10device_ptrIiEEEEPS6_NSA_18transform_iteratorI7is_evenIiESF_NSA_11use_defaultESK_EENS0_5tupleIJNSA_16discard_iteratorISK_EESF_EEENSM_IJSG_SG_EEES6_PlJS6_EEE10hipError_tPvRmT3_T4_T5_T6_T7_T9_mT8_P12ihipStream_tbDpT10_ENKUlT_T0_E_clISt17integral_constantIbLb0EES1A_IbLb1EEEEDaS16_S17_EUlS16_E_NS1_11comp_targetILNS1_3genE4ELNS1_11target_archE910ELNS1_3gpuE8ELNS1_3repE0EEENS1_30default_config_static_selectorELNS0_4arch9wavefront6targetE1EEEvT1_
; %bb.0:
	.section	.rodata,"a",@progbits
	.p2align	6, 0x0
	.amdhsa_kernel _ZN7rocprim17ROCPRIM_400000_NS6detail17trampoline_kernelINS0_14default_configENS1_25partition_config_selectorILNS1_17partition_subalgoE1EiNS0_10empty_typeEbEEZZNS1_14partition_implILS5_1ELb0ES3_jN6thrust23THRUST_200600_302600_NS6detail15normal_iteratorINSA_10device_ptrIiEEEEPS6_NSA_18transform_iteratorI7is_evenIiESF_NSA_11use_defaultESK_EENS0_5tupleIJNSA_16discard_iteratorISK_EESF_EEENSM_IJSG_SG_EEES6_PlJS6_EEE10hipError_tPvRmT3_T4_T5_T6_T7_T9_mT8_P12ihipStream_tbDpT10_ENKUlT_T0_E_clISt17integral_constantIbLb0EES1A_IbLb1EEEEDaS16_S17_EUlS16_E_NS1_11comp_targetILNS1_3genE4ELNS1_11target_archE910ELNS1_3gpuE8ELNS1_3repE0EEENS1_30default_config_static_selectorELNS0_4arch9wavefront6targetE1EEEvT1_
		.amdhsa_group_segment_fixed_size 0
		.amdhsa_private_segment_fixed_size 0
		.amdhsa_kernarg_size 152
		.amdhsa_user_sgpr_count 2
		.amdhsa_user_sgpr_dispatch_ptr 0
		.amdhsa_user_sgpr_queue_ptr 0
		.amdhsa_user_sgpr_kernarg_segment_ptr 1
		.amdhsa_user_sgpr_dispatch_id 0
		.amdhsa_user_sgpr_kernarg_preload_length 0
		.amdhsa_user_sgpr_kernarg_preload_offset 0
		.amdhsa_user_sgpr_private_segment_size 0
		.amdhsa_uses_dynamic_stack 0
		.amdhsa_enable_private_segment 0
		.amdhsa_system_sgpr_workgroup_id_x 1
		.amdhsa_system_sgpr_workgroup_id_y 0
		.amdhsa_system_sgpr_workgroup_id_z 0
		.amdhsa_system_sgpr_workgroup_info 0
		.amdhsa_system_vgpr_workitem_id 0
		.amdhsa_next_free_vgpr 1
		.amdhsa_next_free_sgpr 0
		.amdhsa_accum_offset 4
		.amdhsa_reserve_vcc 0
		.amdhsa_float_round_mode_32 0
		.amdhsa_float_round_mode_16_64 0
		.amdhsa_float_denorm_mode_32 3
		.amdhsa_float_denorm_mode_16_64 3
		.amdhsa_dx10_clamp 1
		.amdhsa_ieee_mode 1
		.amdhsa_fp16_overflow 0
		.amdhsa_tg_split 0
		.amdhsa_exception_fp_ieee_invalid_op 0
		.amdhsa_exception_fp_denorm_src 0
		.amdhsa_exception_fp_ieee_div_zero 0
		.amdhsa_exception_fp_ieee_overflow 0
		.amdhsa_exception_fp_ieee_underflow 0
		.amdhsa_exception_fp_ieee_inexact 0
		.amdhsa_exception_int_div_zero 0
	.end_amdhsa_kernel
	.section	.text._ZN7rocprim17ROCPRIM_400000_NS6detail17trampoline_kernelINS0_14default_configENS1_25partition_config_selectorILNS1_17partition_subalgoE1EiNS0_10empty_typeEbEEZZNS1_14partition_implILS5_1ELb0ES3_jN6thrust23THRUST_200600_302600_NS6detail15normal_iteratorINSA_10device_ptrIiEEEEPS6_NSA_18transform_iteratorI7is_evenIiESF_NSA_11use_defaultESK_EENS0_5tupleIJNSA_16discard_iteratorISK_EESF_EEENSM_IJSG_SG_EEES6_PlJS6_EEE10hipError_tPvRmT3_T4_T5_T6_T7_T9_mT8_P12ihipStream_tbDpT10_ENKUlT_T0_E_clISt17integral_constantIbLb0EES1A_IbLb1EEEEDaS16_S17_EUlS16_E_NS1_11comp_targetILNS1_3genE4ELNS1_11target_archE910ELNS1_3gpuE8ELNS1_3repE0EEENS1_30default_config_static_selectorELNS0_4arch9wavefront6targetE1EEEvT1_,"axG",@progbits,_ZN7rocprim17ROCPRIM_400000_NS6detail17trampoline_kernelINS0_14default_configENS1_25partition_config_selectorILNS1_17partition_subalgoE1EiNS0_10empty_typeEbEEZZNS1_14partition_implILS5_1ELb0ES3_jN6thrust23THRUST_200600_302600_NS6detail15normal_iteratorINSA_10device_ptrIiEEEEPS6_NSA_18transform_iteratorI7is_evenIiESF_NSA_11use_defaultESK_EENS0_5tupleIJNSA_16discard_iteratorISK_EESF_EEENSM_IJSG_SG_EEES6_PlJS6_EEE10hipError_tPvRmT3_T4_T5_T6_T7_T9_mT8_P12ihipStream_tbDpT10_ENKUlT_T0_E_clISt17integral_constantIbLb0EES1A_IbLb1EEEEDaS16_S17_EUlS16_E_NS1_11comp_targetILNS1_3genE4ELNS1_11target_archE910ELNS1_3gpuE8ELNS1_3repE0EEENS1_30default_config_static_selectorELNS0_4arch9wavefront6targetE1EEEvT1_,comdat
.Lfunc_end3349:
	.size	_ZN7rocprim17ROCPRIM_400000_NS6detail17trampoline_kernelINS0_14default_configENS1_25partition_config_selectorILNS1_17partition_subalgoE1EiNS0_10empty_typeEbEEZZNS1_14partition_implILS5_1ELb0ES3_jN6thrust23THRUST_200600_302600_NS6detail15normal_iteratorINSA_10device_ptrIiEEEEPS6_NSA_18transform_iteratorI7is_evenIiESF_NSA_11use_defaultESK_EENS0_5tupleIJNSA_16discard_iteratorISK_EESF_EEENSM_IJSG_SG_EEES6_PlJS6_EEE10hipError_tPvRmT3_T4_T5_T6_T7_T9_mT8_P12ihipStream_tbDpT10_ENKUlT_T0_E_clISt17integral_constantIbLb0EES1A_IbLb1EEEEDaS16_S17_EUlS16_E_NS1_11comp_targetILNS1_3genE4ELNS1_11target_archE910ELNS1_3gpuE8ELNS1_3repE0EEENS1_30default_config_static_selectorELNS0_4arch9wavefront6targetE1EEEvT1_, .Lfunc_end3349-_ZN7rocprim17ROCPRIM_400000_NS6detail17trampoline_kernelINS0_14default_configENS1_25partition_config_selectorILNS1_17partition_subalgoE1EiNS0_10empty_typeEbEEZZNS1_14partition_implILS5_1ELb0ES3_jN6thrust23THRUST_200600_302600_NS6detail15normal_iteratorINSA_10device_ptrIiEEEEPS6_NSA_18transform_iteratorI7is_evenIiESF_NSA_11use_defaultESK_EENS0_5tupleIJNSA_16discard_iteratorISK_EESF_EEENSM_IJSG_SG_EEES6_PlJS6_EEE10hipError_tPvRmT3_T4_T5_T6_T7_T9_mT8_P12ihipStream_tbDpT10_ENKUlT_T0_E_clISt17integral_constantIbLb0EES1A_IbLb1EEEEDaS16_S17_EUlS16_E_NS1_11comp_targetILNS1_3genE4ELNS1_11target_archE910ELNS1_3gpuE8ELNS1_3repE0EEENS1_30default_config_static_selectorELNS0_4arch9wavefront6targetE1EEEvT1_
                                        ; -- End function
	.section	.AMDGPU.csdata,"",@progbits
; Kernel info:
; codeLenInByte = 0
; NumSgprs: 6
; NumVgprs: 0
; NumAgprs: 0
; TotalNumVgprs: 0
; ScratchSize: 0
; MemoryBound: 0
; FloatMode: 240
; IeeeMode: 1
; LDSByteSize: 0 bytes/workgroup (compile time only)
; SGPRBlocks: 0
; VGPRBlocks: 0
; NumSGPRsForWavesPerEU: 6
; NumVGPRsForWavesPerEU: 1
; AccumOffset: 4
; Occupancy: 8
; WaveLimiterHint : 0
; COMPUTE_PGM_RSRC2:SCRATCH_EN: 0
; COMPUTE_PGM_RSRC2:USER_SGPR: 2
; COMPUTE_PGM_RSRC2:TRAP_HANDLER: 0
; COMPUTE_PGM_RSRC2:TGID_X_EN: 1
; COMPUTE_PGM_RSRC2:TGID_Y_EN: 0
; COMPUTE_PGM_RSRC2:TGID_Z_EN: 0
; COMPUTE_PGM_RSRC2:TIDIG_COMP_CNT: 0
; COMPUTE_PGM_RSRC3_GFX90A:ACCUM_OFFSET: 0
; COMPUTE_PGM_RSRC3_GFX90A:TG_SPLIT: 0
	.section	.text._ZN7rocprim17ROCPRIM_400000_NS6detail17trampoline_kernelINS0_14default_configENS1_25partition_config_selectorILNS1_17partition_subalgoE1EiNS0_10empty_typeEbEEZZNS1_14partition_implILS5_1ELb0ES3_jN6thrust23THRUST_200600_302600_NS6detail15normal_iteratorINSA_10device_ptrIiEEEEPS6_NSA_18transform_iteratorI7is_evenIiESF_NSA_11use_defaultESK_EENS0_5tupleIJNSA_16discard_iteratorISK_EESF_EEENSM_IJSG_SG_EEES6_PlJS6_EEE10hipError_tPvRmT3_T4_T5_T6_T7_T9_mT8_P12ihipStream_tbDpT10_ENKUlT_T0_E_clISt17integral_constantIbLb0EES1A_IbLb1EEEEDaS16_S17_EUlS16_E_NS1_11comp_targetILNS1_3genE3ELNS1_11target_archE908ELNS1_3gpuE7ELNS1_3repE0EEENS1_30default_config_static_selectorELNS0_4arch9wavefront6targetE1EEEvT1_,"axG",@progbits,_ZN7rocprim17ROCPRIM_400000_NS6detail17trampoline_kernelINS0_14default_configENS1_25partition_config_selectorILNS1_17partition_subalgoE1EiNS0_10empty_typeEbEEZZNS1_14partition_implILS5_1ELb0ES3_jN6thrust23THRUST_200600_302600_NS6detail15normal_iteratorINSA_10device_ptrIiEEEEPS6_NSA_18transform_iteratorI7is_evenIiESF_NSA_11use_defaultESK_EENS0_5tupleIJNSA_16discard_iteratorISK_EESF_EEENSM_IJSG_SG_EEES6_PlJS6_EEE10hipError_tPvRmT3_T4_T5_T6_T7_T9_mT8_P12ihipStream_tbDpT10_ENKUlT_T0_E_clISt17integral_constantIbLb0EES1A_IbLb1EEEEDaS16_S17_EUlS16_E_NS1_11comp_targetILNS1_3genE3ELNS1_11target_archE908ELNS1_3gpuE7ELNS1_3repE0EEENS1_30default_config_static_selectorELNS0_4arch9wavefront6targetE1EEEvT1_,comdat
	.protected	_ZN7rocprim17ROCPRIM_400000_NS6detail17trampoline_kernelINS0_14default_configENS1_25partition_config_selectorILNS1_17partition_subalgoE1EiNS0_10empty_typeEbEEZZNS1_14partition_implILS5_1ELb0ES3_jN6thrust23THRUST_200600_302600_NS6detail15normal_iteratorINSA_10device_ptrIiEEEEPS6_NSA_18transform_iteratorI7is_evenIiESF_NSA_11use_defaultESK_EENS0_5tupleIJNSA_16discard_iteratorISK_EESF_EEENSM_IJSG_SG_EEES6_PlJS6_EEE10hipError_tPvRmT3_T4_T5_T6_T7_T9_mT8_P12ihipStream_tbDpT10_ENKUlT_T0_E_clISt17integral_constantIbLb0EES1A_IbLb1EEEEDaS16_S17_EUlS16_E_NS1_11comp_targetILNS1_3genE3ELNS1_11target_archE908ELNS1_3gpuE7ELNS1_3repE0EEENS1_30default_config_static_selectorELNS0_4arch9wavefront6targetE1EEEvT1_ ; -- Begin function _ZN7rocprim17ROCPRIM_400000_NS6detail17trampoline_kernelINS0_14default_configENS1_25partition_config_selectorILNS1_17partition_subalgoE1EiNS0_10empty_typeEbEEZZNS1_14partition_implILS5_1ELb0ES3_jN6thrust23THRUST_200600_302600_NS6detail15normal_iteratorINSA_10device_ptrIiEEEEPS6_NSA_18transform_iteratorI7is_evenIiESF_NSA_11use_defaultESK_EENS0_5tupleIJNSA_16discard_iteratorISK_EESF_EEENSM_IJSG_SG_EEES6_PlJS6_EEE10hipError_tPvRmT3_T4_T5_T6_T7_T9_mT8_P12ihipStream_tbDpT10_ENKUlT_T0_E_clISt17integral_constantIbLb0EES1A_IbLb1EEEEDaS16_S17_EUlS16_E_NS1_11comp_targetILNS1_3genE3ELNS1_11target_archE908ELNS1_3gpuE7ELNS1_3repE0EEENS1_30default_config_static_selectorELNS0_4arch9wavefront6targetE1EEEvT1_
	.globl	_ZN7rocprim17ROCPRIM_400000_NS6detail17trampoline_kernelINS0_14default_configENS1_25partition_config_selectorILNS1_17partition_subalgoE1EiNS0_10empty_typeEbEEZZNS1_14partition_implILS5_1ELb0ES3_jN6thrust23THRUST_200600_302600_NS6detail15normal_iteratorINSA_10device_ptrIiEEEEPS6_NSA_18transform_iteratorI7is_evenIiESF_NSA_11use_defaultESK_EENS0_5tupleIJNSA_16discard_iteratorISK_EESF_EEENSM_IJSG_SG_EEES6_PlJS6_EEE10hipError_tPvRmT3_T4_T5_T6_T7_T9_mT8_P12ihipStream_tbDpT10_ENKUlT_T0_E_clISt17integral_constantIbLb0EES1A_IbLb1EEEEDaS16_S17_EUlS16_E_NS1_11comp_targetILNS1_3genE3ELNS1_11target_archE908ELNS1_3gpuE7ELNS1_3repE0EEENS1_30default_config_static_selectorELNS0_4arch9wavefront6targetE1EEEvT1_
	.p2align	8
	.type	_ZN7rocprim17ROCPRIM_400000_NS6detail17trampoline_kernelINS0_14default_configENS1_25partition_config_selectorILNS1_17partition_subalgoE1EiNS0_10empty_typeEbEEZZNS1_14partition_implILS5_1ELb0ES3_jN6thrust23THRUST_200600_302600_NS6detail15normal_iteratorINSA_10device_ptrIiEEEEPS6_NSA_18transform_iteratorI7is_evenIiESF_NSA_11use_defaultESK_EENS0_5tupleIJNSA_16discard_iteratorISK_EESF_EEENSM_IJSG_SG_EEES6_PlJS6_EEE10hipError_tPvRmT3_T4_T5_T6_T7_T9_mT8_P12ihipStream_tbDpT10_ENKUlT_T0_E_clISt17integral_constantIbLb0EES1A_IbLb1EEEEDaS16_S17_EUlS16_E_NS1_11comp_targetILNS1_3genE3ELNS1_11target_archE908ELNS1_3gpuE7ELNS1_3repE0EEENS1_30default_config_static_selectorELNS0_4arch9wavefront6targetE1EEEvT1_,@function
_ZN7rocprim17ROCPRIM_400000_NS6detail17trampoline_kernelINS0_14default_configENS1_25partition_config_selectorILNS1_17partition_subalgoE1EiNS0_10empty_typeEbEEZZNS1_14partition_implILS5_1ELb0ES3_jN6thrust23THRUST_200600_302600_NS6detail15normal_iteratorINSA_10device_ptrIiEEEEPS6_NSA_18transform_iteratorI7is_evenIiESF_NSA_11use_defaultESK_EENS0_5tupleIJNSA_16discard_iteratorISK_EESF_EEENSM_IJSG_SG_EEES6_PlJS6_EEE10hipError_tPvRmT3_T4_T5_T6_T7_T9_mT8_P12ihipStream_tbDpT10_ENKUlT_T0_E_clISt17integral_constantIbLb0EES1A_IbLb1EEEEDaS16_S17_EUlS16_E_NS1_11comp_targetILNS1_3genE3ELNS1_11target_archE908ELNS1_3gpuE7ELNS1_3repE0EEENS1_30default_config_static_selectorELNS0_4arch9wavefront6targetE1EEEvT1_: ; @_ZN7rocprim17ROCPRIM_400000_NS6detail17trampoline_kernelINS0_14default_configENS1_25partition_config_selectorILNS1_17partition_subalgoE1EiNS0_10empty_typeEbEEZZNS1_14partition_implILS5_1ELb0ES3_jN6thrust23THRUST_200600_302600_NS6detail15normal_iteratorINSA_10device_ptrIiEEEEPS6_NSA_18transform_iteratorI7is_evenIiESF_NSA_11use_defaultESK_EENS0_5tupleIJNSA_16discard_iteratorISK_EESF_EEENSM_IJSG_SG_EEES6_PlJS6_EEE10hipError_tPvRmT3_T4_T5_T6_T7_T9_mT8_P12ihipStream_tbDpT10_ENKUlT_T0_E_clISt17integral_constantIbLb0EES1A_IbLb1EEEEDaS16_S17_EUlS16_E_NS1_11comp_targetILNS1_3genE3ELNS1_11target_archE908ELNS1_3gpuE7ELNS1_3repE0EEENS1_30default_config_static_selectorELNS0_4arch9wavefront6targetE1EEEvT1_
; %bb.0:
	.section	.rodata,"a",@progbits
	.p2align	6, 0x0
	.amdhsa_kernel _ZN7rocprim17ROCPRIM_400000_NS6detail17trampoline_kernelINS0_14default_configENS1_25partition_config_selectorILNS1_17partition_subalgoE1EiNS0_10empty_typeEbEEZZNS1_14partition_implILS5_1ELb0ES3_jN6thrust23THRUST_200600_302600_NS6detail15normal_iteratorINSA_10device_ptrIiEEEEPS6_NSA_18transform_iteratorI7is_evenIiESF_NSA_11use_defaultESK_EENS0_5tupleIJNSA_16discard_iteratorISK_EESF_EEENSM_IJSG_SG_EEES6_PlJS6_EEE10hipError_tPvRmT3_T4_T5_T6_T7_T9_mT8_P12ihipStream_tbDpT10_ENKUlT_T0_E_clISt17integral_constantIbLb0EES1A_IbLb1EEEEDaS16_S17_EUlS16_E_NS1_11comp_targetILNS1_3genE3ELNS1_11target_archE908ELNS1_3gpuE7ELNS1_3repE0EEENS1_30default_config_static_selectorELNS0_4arch9wavefront6targetE1EEEvT1_
		.amdhsa_group_segment_fixed_size 0
		.amdhsa_private_segment_fixed_size 0
		.amdhsa_kernarg_size 152
		.amdhsa_user_sgpr_count 2
		.amdhsa_user_sgpr_dispatch_ptr 0
		.amdhsa_user_sgpr_queue_ptr 0
		.amdhsa_user_sgpr_kernarg_segment_ptr 1
		.amdhsa_user_sgpr_dispatch_id 0
		.amdhsa_user_sgpr_kernarg_preload_length 0
		.amdhsa_user_sgpr_kernarg_preload_offset 0
		.amdhsa_user_sgpr_private_segment_size 0
		.amdhsa_uses_dynamic_stack 0
		.amdhsa_enable_private_segment 0
		.amdhsa_system_sgpr_workgroup_id_x 1
		.amdhsa_system_sgpr_workgroup_id_y 0
		.amdhsa_system_sgpr_workgroup_id_z 0
		.amdhsa_system_sgpr_workgroup_info 0
		.amdhsa_system_vgpr_workitem_id 0
		.amdhsa_next_free_vgpr 1
		.amdhsa_next_free_sgpr 0
		.amdhsa_accum_offset 4
		.amdhsa_reserve_vcc 0
		.amdhsa_float_round_mode_32 0
		.amdhsa_float_round_mode_16_64 0
		.amdhsa_float_denorm_mode_32 3
		.amdhsa_float_denorm_mode_16_64 3
		.amdhsa_dx10_clamp 1
		.amdhsa_ieee_mode 1
		.amdhsa_fp16_overflow 0
		.amdhsa_tg_split 0
		.amdhsa_exception_fp_ieee_invalid_op 0
		.amdhsa_exception_fp_denorm_src 0
		.amdhsa_exception_fp_ieee_div_zero 0
		.amdhsa_exception_fp_ieee_overflow 0
		.amdhsa_exception_fp_ieee_underflow 0
		.amdhsa_exception_fp_ieee_inexact 0
		.amdhsa_exception_int_div_zero 0
	.end_amdhsa_kernel
	.section	.text._ZN7rocprim17ROCPRIM_400000_NS6detail17trampoline_kernelINS0_14default_configENS1_25partition_config_selectorILNS1_17partition_subalgoE1EiNS0_10empty_typeEbEEZZNS1_14partition_implILS5_1ELb0ES3_jN6thrust23THRUST_200600_302600_NS6detail15normal_iteratorINSA_10device_ptrIiEEEEPS6_NSA_18transform_iteratorI7is_evenIiESF_NSA_11use_defaultESK_EENS0_5tupleIJNSA_16discard_iteratorISK_EESF_EEENSM_IJSG_SG_EEES6_PlJS6_EEE10hipError_tPvRmT3_T4_T5_T6_T7_T9_mT8_P12ihipStream_tbDpT10_ENKUlT_T0_E_clISt17integral_constantIbLb0EES1A_IbLb1EEEEDaS16_S17_EUlS16_E_NS1_11comp_targetILNS1_3genE3ELNS1_11target_archE908ELNS1_3gpuE7ELNS1_3repE0EEENS1_30default_config_static_selectorELNS0_4arch9wavefront6targetE1EEEvT1_,"axG",@progbits,_ZN7rocprim17ROCPRIM_400000_NS6detail17trampoline_kernelINS0_14default_configENS1_25partition_config_selectorILNS1_17partition_subalgoE1EiNS0_10empty_typeEbEEZZNS1_14partition_implILS5_1ELb0ES3_jN6thrust23THRUST_200600_302600_NS6detail15normal_iteratorINSA_10device_ptrIiEEEEPS6_NSA_18transform_iteratorI7is_evenIiESF_NSA_11use_defaultESK_EENS0_5tupleIJNSA_16discard_iteratorISK_EESF_EEENSM_IJSG_SG_EEES6_PlJS6_EEE10hipError_tPvRmT3_T4_T5_T6_T7_T9_mT8_P12ihipStream_tbDpT10_ENKUlT_T0_E_clISt17integral_constantIbLb0EES1A_IbLb1EEEEDaS16_S17_EUlS16_E_NS1_11comp_targetILNS1_3genE3ELNS1_11target_archE908ELNS1_3gpuE7ELNS1_3repE0EEENS1_30default_config_static_selectorELNS0_4arch9wavefront6targetE1EEEvT1_,comdat
.Lfunc_end3350:
	.size	_ZN7rocprim17ROCPRIM_400000_NS6detail17trampoline_kernelINS0_14default_configENS1_25partition_config_selectorILNS1_17partition_subalgoE1EiNS0_10empty_typeEbEEZZNS1_14partition_implILS5_1ELb0ES3_jN6thrust23THRUST_200600_302600_NS6detail15normal_iteratorINSA_10device_ptrIiEEEEPS6_NSA_18transform_iteratorI7is_evenIiESF_NSA_11use_defaultESK_EENS0_5tupleIJNSA_16discard_iteratorISK_EESF_EEENSM_IJSG_SG_EEES6_PlJS6_EEE10hipError_tPvRmT3_T4_T5_T6_T7_T9_mT8_P12ihipStream_tbDpT10_ENKUlT_T0_E_clISt17integral_constantIbLb0EES1A_IbLb1EEEEDaS16_S17_EUlS16_E_NS1_11comp_targetILNS1_3genE3ELNS1_11target_archE908ELNS1_3gpuE7ELNS1_3repE0EEENS1_30default_config_static_selectorELNS0_4arch9wavefront6targetE1EEEvT1_, .Lfunc_end3350-_ZN7rocprim17ROCPRIM_400000_NS6detail17trampoline_kernelINS0_14default_configENS1_25partition_config_selectorILNS1_17partition_subalgoE1EiNS0_10empty_typeEbEEZZNS1_14partition_implILS5_1ELb0ES3_jN6thrust23THRUST_200600_302600_NS6detail15normal_iteratorINSA_10device_ptrIiEEEEPS6_NSA_18transform_iteratorI7is_evenIiESF_NSA_11use_defaultESK_EENS0_5tupleIJNSA_16discard_iteratorISK_EESF_EEENSM_IJSG_SG_EEES6_PlJS6_EEE10hipError_tPvRmT3_T4_T5_T6_T7_T9_mT8_P12ihipStream_tbDpT10_ENKUlT_T0_E_clISt17integral_constantIbLb0EES1A_IbLb1EEEEDaS16_S17_EUlS16_E_NS1_11comp_targetILNS1_3genE3ELNS1_11target_archE908ELNS1_3gpuE7ELNS1_3repE0EEENS1_30default_config_static_selectorELNS0_4arch9wavefront6targetE1EEEvT1_
                                        ; -- End function
	.section	.AMDGPU.csdata,"",@progbits
; Kernel info:
; codeLenInByte = 0
; NumSgprs: 6
; NumVgprs: 0
; NumAgprs: 0
; TotalNumVgprs: 0
; ScratchSize: 0
; MemoryBound: 0
; FloatMode: 240
; IeeeMode: 1
; LDSByteSize: 0 bytes/workgroup (compile time only)
; SGPRBlocks: 0
; VGPRBlocks: 0
; NumSGPRsForWavesPerEU: 6
; NumVGPRsForWavesPerEU: 1
; AccumOffset: 4
; Occupancy: 8
; WaveLimiterHint : 0
; COMPUTE_PGM_RSRC2:SCRATCH_EN: 0
; COMPUTE_PGM_RSRC2:USER_SGPR: 2
; COMPUTE_PGM_RSRC2:TRAP_HANDLER: 0
; COMPUTE_PGM_RSRC2:TGID_X_EN: 1
; COMPUTE_PGM_RSRC2:TGID_Y_EN: 0
; COMPUTE_PGM_RSRC2:TGID_Z_EN: 0
; COMPUTE_PGM_RSRC2:TIDIG_COMP_CNT: 0
; COMPUTE_PGM_RSRC3_GFX90A:ACCUM_OFFSET: 0
; COMPUTE_PGM_RSRC3_GFX90A:TG_SPLIT: 0
	.section	.text._ZN7rocprim17ROCPRIM_400000_NS6detail17trampoline_kernelINS0_14default_configENS1_25partition_config_selectorILNS1_17partition_subalgoE1EiNS0_10empty_typeEbEEZZNS1_14partition_implILS5_1ELb0ES3_jN6thrust23THRUST_200600_302600_NS6detail15normal_iteratorINSA_10device_ptrIiEEEEPS6_NSA_18transform_iteratorI7is_evenIiESF_NSA_11use_defaultESK_EENS0_5tupleIJNSA_16discard_iteratorISK_EESF_EEENSM_IJSG_SG_EEES6_PlJS6_EEE10hipError_tPvRmT3_T4_T5_T6_T7_T9_mT8_P12ihipStream_tbDpT10_ENKUlT_T0_E_clISt17integral_constantIbLb0EES1A_IbLb1EEEEDaS16_S17_EUlS16_E_NS1_11comp_targetILNS1_3genE2ELNS1_11target_archE906ELNS1_3gpuE6ELNS1_3repE0EEENS1_30default_config_static_selectorELNS0_4arch9wavefront6targetE1EEEvT1_,"axG",@progbits,_ZN7rocprim17ROCPRIM_400000_NS6detail17trampoline_kernelINS0_14default_configENS1_25partition_config_selectorILNS1_17partition_subalgoE1EiNS0_10empty_typeEbEEZZNS1_14partition_implILS5_1ELb0ES3_jN6thrust23THRUST_200600_302600_NS6detail15normal_iteratorINSA_10device_ptrIiEEEEPS6_NSA_18transform_iteratorI7is_evenIiESF_NSA_11use_defaultESK_EENS0_5tupleIJNSA_16discard_iteratorISK_EESF_EEENSM_IJSG_SG_EEES6_PlJS6_EEE10hipError_tPvRmT3_T4_T5_T6_T7_T9_mT8_P12ihipStream_tbDpT10_ENKUlT_T0_E_clISt17integral_constantIbLb0EES1A_IbLb1EEEEDaS16_S17_EUlS16_E_NS1_11comp_targetILNS1_3genE2ELNS1_11target_archE906ELNS1_3gpuE6ELNS1_3repE0EEENS1_30default_config_static_selectorELNS0_4arch9wavefront6targetE1EEEvT1_,comdat
	.protected	_ZN7rocprim17ROCPRIM_400000_NS6detail17trampoline_kernelINS0_14default_configENS1_25partition_config_selectorILNS1_17partition_subalgoE1EiNS0_10empty_typeEbEEZZNS1_14partition_implILS5_1ELb0ES3_jN6thrust23THRUST_200600_302600_NS6detail15normal_iteratorINSA_10device_ptrIiEEEEPS6_NSA_18transform_iteratorI7is_evenIiESF_NSA_11use_defaultESK_EENS0_5tupleIJNSA_16discard_iteratorISK_EESF_EEENSM_IJSG_SG_EEES6_PlJS6_EEE10hipError_tPvRmT3_T4_T5_T6_T7_T9_mT8_P12ihipStream_tbDpT10_ENKUlT_T0_E_clISt17integral_constantIbLb0EES1A_IbLb1EEEEDaS16_S17_EUlS16_E_NS1_11comp_targetILNS1_3genE2ELNS1_11target_archE906ELNS1_3gpuE6ELNS1_3repE0EEENS1_30default_config_static_selectorELNS0_4arch9wavefront6targetE1EEEvT1_ ; -- Begin function _ZN7rocprim17ROCPRIM_400000_NS6detail17trampoline_kernelINS0_14default_configENS1_25partition_config_selectorILNS1_17partition_subalgoE1EiNS0_10empty_typeEbEEZZNS1_14partition_implILS5_1ELb0ES3_jN6thrust23THRUST_200600_302600_NS6detail15normal_iteratorINSA_10device_ptrIiEEEEPS6_NSA_18transform_iteratorI7is_evenIiESF_NSA_11use_defaultESK_EENS0_5tupleIJNSA_16discard_iteratorISK_EESF_EEENSM_IJSG_SG_EEES6_PlJS6_EEE10hipError_tPvRmT3_T4_T5_T6_T7_T9_mT8_P12ihipStream_tbDpT10_ENKUlT_T0_E_clISt17integral_constantIbLb0EES1A_IbLb1EEEEDaS16_S17_EUlS16_E_NS1_11comp_targetILNS1_3genE2ELNS1_11target_archE906ELNS1_3gpuE6ELNS1_3repE0EEENS1_30default_config_static_selectorELNS0_4arch9wavefront6targetE1EEEvT1_
	.globl	_ZN7rocprim17ROCPRIM_400000_NS6detail17trampoline_kernelINS0_14default_configENS1_25partition_config_selectorILNS1_17partition_subalgoE1EiNS0_10empty_typeEbEEZZNS1_14partition_implILS5_1ELb0ES3_jN6thrust23THRUST_200600_302600_NS6detail15normal_iteratorINSA_10device_ptrIiEEEEPS6_NSA_18transform_iteratorI7is_evenIiESF_NSA_11use_defaultESK_EENS0_5tupleIJNSA_16discard_iteratorISK_EESF_EEENSM_IJSG_SG_EEES6_PlJS6_EEE10hipError_tPvRmT3_T4_T5_T6_T7_T9_mT8_P12ihipStream_tbDpT10_ENKUlT_T0_E_clISt17integral_constantIbLb0EES1A_IbLb1EEEEDaS16_S17_EUlS16_E_NS1_11comp_targetILNS1_3genE2ELNS1_11target_archE906ELNS1_3gpuE6ELNS1_3repE0EEENS1_30default_config_static_selectorELNS0_4arch9wavefront6targetE1EEEvT1_
	.p2align	8
	.type	_ZN7rocprim17ROCPRIM_400000_NS6detail17trampoline_kernelINS0_14default_configENS1_25partition_config_selectorILNS1_17partition_subalgoE1EiNS0_10empty_typeEbEEZZNS1_14partition_implILS5_1ELb0ES3_jN6thrust23THRUST_200600_302600_NS6detail15normal_iteratorINSA_10device_ptrIiEEEEPS6_NSA_18transform_iteratorI7is_evenIiESF_NSA_11use_defaultESK_EENS0_5tupleIJNSA_16discard_iteratorISK_EESF_EEENSM_IJSG_SG_EEES6_PlJS6_EEE10hipError_tPvRmT3_T4_T5_T6_T7_T9_mT8_P12ihipStream_tbDpT10_ENKUlT_T0_E_clISt17integral_constantIbLb0EES1A_IbLb1EEEEDaS16_S17_EUlS16_E_NS1_11comp_targetILNS1_3genE2ELNS1_11target_archE906ELNS1_3gpuE6ELNS1_3repE0EEENS1_30default_config_static_selectorELNS0_4arch9wavefront6targetE1EEEvT1_,@function
_ZN7rocprim17ROCPRIM_400000_NS6detail17trampoline_kernelINS0_14default_configENS1_25partition_config_selectorILNS1_17partition_subalgoE1EiNS0_10empty_typeEbEEZZNS1_14partition_implILS5_1ELb0ES3_jN6thrust23THRUST_200600_302600_NS6detail15normal_iteratorINSA_10device_ptrIiEEEEPS6_NSA_18transform_iteratorI7is_evenIiESF_NSA_11use_defaultESK_EENS0_5tupleIJNSA_16discard_iteratorISK_EESF_EEENSM_IJSG_SG_EEES6_PlJS6_EEE10hipError_tPvRmT3_T4_T5_T6_T7_T9_mT8_P12ihipStream_tbDpT10_ENKUlT_T0_E_clISt17integral_constantIbLb0EES1A_IbLb1EEEEDaS16_S17_EUlS16_E_NS1_11comp_targetILNS1_3genE2ELNS1_11target_archE906ELNS1_3gpuE6ELNS1_3repE0EEENS1_30default_config_static_selectorELNS0_4arch9wavefront6targetE1EEEvT1_: ; @_ZN7rocprim17ROCPRIM_400000_NS6detail17trampoline_kernelINS0_14default_configENS1_25partition_config_selectorILNS1_17partition_subalgoE1EiNS0_10empty_typeEbEEZZNS1_14partition_implILS5_1ELb0ES3_jN6thrust23THRUST_200600_302600_NS6detail15normal_iteratorINSA_10device_ptrIiEEEEPS6_NSA_18transform_iteratorI7is_evenIiESF_NSA_11use_defaultESK_EENS0_5tupleIJNSA_16discard_iteratorISK_EESF_EEENSM_IJSG_SG_EEES6_PlJS6_EEE10hipError_tPvRmT3_T4_T5_T6_T7_T9_mT8_P12ihipStream_tbDpT10_ENKUlT_T0_E_clISt17integral_constantIbLb0EES1A_IbLb1EEEEDaS16_S17_EUlS16_E_NS1_11comp_targetILNS1_3genE2ELNS1_11target_archE906ELNS1_3gpuE6ELNS1_3repE0EEENS1_30default_config_static_selectorELNS0_4arch9wavefront6targetE1EEEvT1_
; %bb.0:
	.section	.rodata,"a",@progbits
	.p2align	6, 0x0
	.amdhsa_kernel _ZN7rocprim17ROCPRIM_400000_NS6detail17trampoline_kernelINS0_14default_configENS1_25partition_config_selectorILNS1_17partition_subalgoE1EiNS0_10empty_typeEbEEZZNS1_14partition_implILS5_1ELb0ES3_jN6thrust23THRUST_200600_302600_NS6detail15normal_iteratorINSA_10device_ptrIiEEEEPS6_NSA_18transform_iteratorI7is_evenIiESF_NSA_11use_defaultESK_EENS0_5tupleIJNSA_16discard_iteratorISK_EESF_EEENSM_IJSG_SG_EEES6_PlJS6_EEE10hipError_tPvRmT3_T4_T5_T6_T7_T9_mT8_P12ihipStream_tbDpT10_ENKUlT_T0_E_clISt17integral_constantIbLb0EES1A_IbLb1EEEEDaS16_S17_EUlS16_E_NS1_11comp_targetILNS1_3genE2ELNS1_11target_archE906ELNS1_3gpuE6ELNS1_3repE0EEENS1_30default_config_static_selectorELNS0_4arch9wavefront6targetE1EEEvT1_
		.amdhsa_group_segment_fixed_size 0
		.amdhsa_private_segment_fixed_size 0
		.amdhsa_kernarg_size 152
		.amdhsa_user_sgpr_count 2
		.amdhsa_user_sgpr_dispatch_ptr 0
		.amdhsa_user_sgpr_queue_ptr 0
		.amdhsa_user_sgpr_kernarg_segment_ptr 1
		.amdhsa_user_sgpr_dispatch_id 0
		.amdhsa_user_sgpr_kernarg_preload_length 0
		.amdhsa_user_sgpr_kernarg_preload_offset 0
		.amdhsa_user_sgpr_private_segment_size 0
		.amdhsa_uses_dynamic_stack 0
		.amdhsa_enable_private_segment 0
		.amdhsa_system_sgpr_workgroup_id_x 1
		.amdhsa_system_sgpr_workgroup_id_y 0
		.amdhsa_system_sgpr_workgroup_id_z 0
		.amdhsa_system_sgpr_workgroup_info 0
		.amdhsa_system_vgpr_workitem_id 0
		.amdhsa_next_free_vgpr 1
		.amdhsa_next_free_sgpr 0
		.amdhsa_accum_offset 4
		.amdhsa_reserve_vcc 0
		.amdhsa_float_round_mode_32 0
		.amdhsa_float_round_mode_16_64 0
		.amdhsa_float_denorm_mode_32 3
		.amdhsa_float_denorm_mode_16_64 3
		.amdhsa_dx10_clamp 1
		.amdhsa_ieee_mode 1
		.amdhsa_fp16_overflow 0
		.amdhsa_tg_split 0
		.amdhsa_exception_fp_ieee_invalid_op 0
		.amdhsa_exception_fp_denorm_src 0
		.amdhsa_exception_fp_ieee_div_zero 0
		.amdhsa_exception_fp_ieee_overflow 0
		.amdhsa_exception_fp_ieee_underflow 0
		.amdhsa_exception_fp_ieee_inexact 0
		.amdhsa_exception_int_div_zero 0
	.end_amdhsa_kernel
	.section	.text._ZN7rocprim17ROCPRIM_400000_NS6detail17trampoline_kernelINS0_14default_configENS1_25partition_config_selectorILNS1_17partition_subalgoE1EiNS0_10empty_typeEbEEZZNS1_14partition_implILS5_1ELb0ES3_jN6thrust23THRUST_200600_302600_NS6detail15normal_iteratorINSA_10device_ptrIiEEEEPS6_NSA_18transform_iteratorI7is_evenIiESF_NSA_11use_defaultESK_EENS0_5tupleIJNSA_16discard_iteratorISK_EESF_EEENSM_IJSG_SG_EEES6_PlJS6_EEE10hipError_tPvRmT3_T4_T5_T6_T7_T9_mT8_P12ihipStream_tbDpT10_ENKUlT_T0_E_clISt17integral_constantIbLb0EES1A_IbLb1EEEEDaS16_S17_EUlS16_E_NS1_11comp_targetILNS1_3genE2ELNS1_11target_archE906ELNS1_3gpuE6ELNS1_3repE0EEENS1_30default_config_static_selectorELNS0_4arch9wavefront6targetE1EEEvT1_,"axG",@progbits,_ZN7rocprim17ROCPRIM_400000_NS6detail17trampoline_kernelINS0_14default_configENS1_25partition_config_selectorILNS1_17partition_subalgoE1EiNS0_10empty_typeEbEEZZNS1_14partition_implILS5_1ELb0ES3_jN6thrust23THRUST_200600_302600_NS6detail15normal_iteratorINSA_10device_ptrIiEEEEPS6_NSA_18transform_iteratorI7is_evenIiESF_NSA_11use_defaultESK_EENS0_5tupleIJNSA_16discard_iteratorISK_EESF_EEENSM_IJSG_SG_EEES6_PlJS6_EEE10hipError_tPvRmT3_T4_T5_T6_T7_T9_mT8_P12ihipStream_tbDpT10_ENKUlT_T0_E_clISt17integral_constantIbLb0EES1A_IbLb1EEEEDaS16_S17_EUlS16_E_NS1_11comp_targetILNS1_3genE2ELNS1_11target_archE906ELNS1_3gpuE6ELNS1_3repE0EEENS1_30default_config_static_selectorELNS0_4arch9wavefront6targetE1EEEvT1_,comdat
.Lfunc_end3351:
	.size	_ZN7rocprim17ROCPRIM_400000_NS6detail17trampoline_kernelINS0_14default_configENS1_25partition_config_selectorILNS1_17partition_subalgoE1EiNS0_10empty_typeEbEEZZNS1_14partition_implILS5_1ELb0ES3_jN6thrust23THRUST_200600_302600_NS6detail15normal_iteratorINSA_10device_ptrIiEEEEPS6_NSA_18transform_iteratorI7is_evenIiESF_NSA_11use_defaultESK_EENS0_5tupleIJNSA_16discard_iteratorISK_EESF_EEENSM_IJSG_SG_EEES6_PlJS6_EEE10hipError_tPvRmT3_T4_T5_T6_T7_T9_mT8_P12ihipStream_tbDpT10_ENKUlT_T0_E_clISt17integral_constantIbLb0EES1A_IbLb1EEEEDaS16_S17_EUlS16_E_NS1_11comp_targetILNS1_3genE2ELNS1_11target_archE906ELNS1_3gpuE6ELNS1_3repE0EEENS1_30default_config_static_selectorELNS0_4arch9wavefront6targetE1EEEvT1_, .Lfunc_end3351-_ZN7rocprim17ROCPRIM_400000_NS6detail17trampoline_kernelINS0_14default_configENS1_25partition_config_selectorILNS1_17partition_subalgoE1EiNS0_10empty_typeEbEEZZNS1_14partition_implILS5_1ELb0ES3_jN6thrust23THRUST_200600_302600_NS6detail15normal_iteratorINSA_10device_ptrIiEEEEPS6_NSA_18transform_iteratorI7is_evenIiESF_NSA_11use_defaultESK_EENS0_5tupleIJNSA_16discard_iteratorISK_EESF_EEENSM_IJSG_SG_EEES6_PlJS6_EEE10hipError_tPvRmT3_T4_T5_T6_T7_T9_mT8_P12ihipStream_tbDpT10_ENKUlT_T0_E_clISt17integral_constantIbLb0EES1A_IbLb1EEEEDaS16_S17_EUlS16_E_NS1_11comp_targetILNS1_3genE2ELNS1_11target_archE906ELNS1_3gpuE6ELNS1_3repE0EEENS1_30default_config_static_selectorELNS0_4arch9wavefront6targetE1EEEvT1_
                                        ; -- End function
	.section	.AMDGPU.csdata,"",@progbits
; Kernel info:
; codeLenInByte = 0
; NumSgprs: 6
; NumVgprs: 0
; NumAgprs: 0
; TotalNumVgprs: 0
; ScratchSize: 0
; MemoryBound: 0
; FloatMode: 240
; IeeeMode: 1
; LDSByteSize: 0 bytes/workgroup (compile time only)
; SGPRBlocks: 0
; VGPRBlocks: 0
; NumSGPRsForWavesPerEU: 6
; NumVGPRsForWavesPerEU: 1
; AccumOffset: 4
; Occupancy: 8
; WaveLimiterHint : 0
; COMPUTE_PGM_RSRC2:SCRATCH_EN: 0
; COMPUTE_PGM_RSRC2:USER_SGPR: 2
; COMPUTE_PGM_RSRC2:TRAP_HANDLER: 0
; COMPUTE_PGM_RSRC2:TGID_X_EN: 1
; COMPUTE_PGM_RSRC2:TGID_Y_EN: 0
; COMPUTE_PGM_RSRC2:TGID_Z_EN: 0
; COMPUTE_PGM_RSRC2:TIDIG_COMP_CNT: 0
; COMPUTE_PGM_RSRC3_GFX90A:ACCUM_OFFSET: 0
; COMPUTE_PGM_RSRC3_GFX90A:TG_SPLIT: 0
	.section	.text._ZN7rocprim17ROCPRIM_400000_NS6detail17trampoline_kernelINS0_14default_configENS1_25partition_config_selectorILNS1_17partition_subalgoE1EiNS0_10empty_typeEbEEZZNS1_14partition_implILS5_1ELb0ES3_jN6thrust23THRUST_200600_302600_NS6detail15normal_iteratorINSA_10device_ptrIiEEEEPS6_NSA_18transform_iteratorI7is_evenIiESF_NSA_11use_defaultESK_EENS0_5tupleIJNSA_16discard_iteratorISK_EESF_EEENSM_IJSG_SG_EEES6_PlJS6_EEE10hipError_tPvRmT3_T4_T5_T6_T7_T9_mT8_P12ihipStream_tbDpT10_ENKUlT_T0_E_clISt17integral_constantIbLb0EES1A_IbLb1EEEEDaS16_S17_EUlS16_E_NS1_11comp_targetILNS1_3genE10ELNS1_11target_archE1200ELNS1_3gpuE4ELNS1_3repE0EEENS1_30default_config_static_selectorELNS0_4arch9wavefront6targetE1EEEvT1_,"axG",@progbits,_ZN7rocprim17ROCPRIM_400000_NS6detail17trampoline_kernelINS0_14default_configENS1_25partition_config_selectorILNS1_17partition_subalgoE1EiNS0_10empty_typeEbEEZZNS1_14partition_implILS5_1ELb0ES3_jN6thrust23THRUST_200600_302600_NS6detail15normal_iteratorINSA_10device_ptrIiEEEEPS6_NSA_18transform_iteratorI7is_evenIiESF_NSA_11use_defaultESK_EENS0_5tupleIJNSA_16discard_iteratorISK_EESF_EEENSM_IJSG_SG_EEES6_PlJS6_EEE10hipError_tPvRmT3_T4_T5_T6_T7_T9_mT8_P12ihipStream_tbDpT10_ENKUlT_T0_E_clISt17integral_constantIbLb0EES1A_IbLb1EEEEDaS16_S17_EUlS16_E_NS1_11comp_targetILNS1_3genE10ELNS1_11target_archE1200ELNS1_3gpuE4ELNS1_3repE0EEENS1_30default_config_static_selectorELNS0_4arch9wavefront6targetE1EEEvT1_,comdat
	.protected	_ZN7rocprim17ROCPRIM_400000_NS6detail17trampoline_kernelINS0_14default_configENS1_25partition_config_selectorILNS1_17partition_subalgoE1EiNS0_10empty_typeEbEEZZNS1_14partition_implILS5_1ELb0ES3_jN6thrust23THRUST_200600_302600_NS6detail15normal_iteratorINSA_10device_ptrIiEEEEPS6_NSA_18transform_iteratorI7is_evenIiESF_NSA_11use_defaultESK_EENS0_5tupleIJNSA_16discard_iteratorISK_EESF_EEENSM_IJSG_SG_EEES6_PlJS6_EEE10hipError_tPvRmT3_T4_T5_T6_T7_T9_mT8_P12ihipStream_tbDpT10_ENKUlT_T0_E_clISt17integral_constantIbLb0EES1A_IbLb1EEEEDaS16_S17_EUlS16_E_NS1_11comp_targetILNS1_3genE10ELNS1_11target_archE1200ELNS1_3gpuE4ELNS1_3repE0EEENS1_30default_config_static_selectorELNS0_4arch9wavefront6targetE1EEEvT1_ ; -- Begin function _ZN7rocprim17ROCPRIM_400000_NS6detail17trampoline_kernelINS0_14default_configENS1_25partition_config_selectorILNS1_17partition_subalgoE1EiNS0_10empty_typeEbEEZZNS1_14partition_implILS5_1ELb0ES3_jN6thrust23THRUST_200600_302600_NS6detail15normal_iteratorINSA_10device_ptrIiEEEEPS6_NSA_18transform_iteratorI7is_evenIiESF_NSA_11use_defaultESK_EENS0_5tupleIJNSA_16discard_iteratorISK_EESF_EEENSM_IJSG_SG_EEES6_PlJS6_EEE10hipError_tPvRmT3_T4_T5_T6_T7_T9_mT8_P12ihipStream_tbDpT10_ENKUlT_T0_E_clISt17integral_constantIbLb0EES1A_IbLb1EEEEDaS16_S17_EUlS16_E_NS1_11comp_targetILNS1_3genE10ELNS1_11target_archE1200ELNS1_3gpuE4ELNS1_3repE0EEENS1_30default_config_static_selectorELNS0_4arch9wavefront6targetE1EEEvT1_
	.globl	_ZN7rocprim17ROCPRIM_400000_NS6detail17trampoline_kernelINS0_14default_configENS1_25partition_config_selectorILNS1_17partition_subalgoE1EiNS0_10empty_typeEbEEZZNS1_14partition_implILS5_1ELb0ES3_jN6thrust23THRUST_200600_302600_NS6detail15normal_iteratorINSA_10device_ptrIiEEEEPS6_NSA_18transform_iteratorI7is_evenIiESF_NSA_11use_defaultESK_EENS0_5tupleIJNSA_16discard_iteratorISK_EESF_EEENSM_IJSG_SG_EEES6_PlJS6_EEE10hipError_tPvRmT3_T4_T5_T6_T7_T9_mT8_P12ihipStream_tbDpT10_ENKUlT_T0_E_clISt17integral_constantIbLb0EES1A_IbLb1EEEEDaS16_S17_EUlS16_E_NS1_11comp_targetILNS1_3genE10ELNS1_11target_archE1200ELNS1_3gpuE4ELNS1_3repE0EEENS1_30default_config_static_selectorELNS0_4arch9wavefront6targetE1EEEvT1_
	.p2align	8
	.type	_ZN7rocprim17ROCPRIM_400000_NS6detail17trampoline_kernelINS0_14default_configENS1_25partition_config_selectorILNS1_17partition_subalgoE1EiNS0_10empty_typeEbEEZZNS1_14partition_implILS5_1ELb0ES3_jN6thrust23THRUST_200600_302600_NS6detail15normal_iteratorINSA_10device_ptrIiEEEEPS6_NSA_18transform_iteratorI7is_evenIiESF_NSA_11use_defaultESK_EENS0_5tupleIJNSA_16discard_iteratorISK_EESF_EEENSM_IJSG_SG_EEES6_PlJS6_EEE10hipError_tPvRmT3_T4_T5_T6_T7_T9_mT8_P12ihipStream_tbDpT10_ENKUlT_T0_E_clISt17integral_constantIbLb0EES1A_IbLb1EEEEDaS16_S17_EUlS16_E_NS1_11comp_targetILNS1_3genE10ELNS1_11target_archE1200ELNS1_3gpuE4ELNS1_3repE0EEENS1_30default_config_static_selectorELNS0_4arch9wavefront6targetE1EEEvT1_,@function
_ZN7rocprim17ROCPRIM_400000_NS6detail17trampoline_kernelINS0_14default_configENS1_25partition_config_selectorILNS1_17partition_subalgoE1EiNS0_10empty_typeEbEEZZNS1_14partition_implILS5_1ELb0ES3_jN6thrust23THRUST_200600_302600_NS6detail15normal_iteratorINSA_10device_ptrIiEEEEPS6_NSA_18transform_iteratorI7is_evenIiESF_NSA_11use_defaultESK_EENS0_5tupleIJNSA_16discard_iteratorISK_EESF_EEENSM_IJSG_SG_EEES6_PlJS6_EEE10hipError_tPvRmT3_T4_T5_T6_T7_T9_mT8_P12ihipStream_tbDpT10_ENKUlT_T0_E_clISt17integral_constantIbLb0EES1A_IbLb1EEEEDaS16_S17_EUlS16_E_NS1_11comp_targetILNS1_3genE10ELNS1_11target_archE1200ELNS1_3gpuE4ELNS1_3repE0EEENS1_30default_config_static_selectorELNS0_4arch9wavefront6targetE1EEEvT1_: ; @_ZN7rocprim17ROCPRIM_400000_NS6detail17trampoline_kernelINS0_14default_configENS1_25partition_config_selectorILNS1_17partition_subalgoE1EiNS0_10empty_typeEbEEZZNS1_14partition_implILS5_1ELb0ES3_jN6thrust23THRUST_200600_302600_NS6detail15normal_iteratorINSA_10device_ptrIiEEEEPS6_NSA_18transform_iteratorI7is_evenIiESF_NSA_11use_defaultESK_EENS0_5tupleIJNSA_16discard_iteratorISK_EESF_EEENSM_IJSG_SG_EEES6_PlJS6_EEE10hipError_tPvRmT3_T4_T5_T6_T7_T9_mT8_P12ihipStream_tbDpT10_ENKUlT_T0_E_clISt17integral_constantIbLb0EES1A_IbLb1EEEEDaS16_S17_EUlS16_E_NS1_11comp_targetILNS1_3genE10ELNS1_11target_archE1200ELNS1_3gpuE4ELNS1_3repE0EEENS1_30default_config_static_selectorELNS0_4arch9wavefront6targetE1EEEvT1_
; %bb.0:
	.section	.rodata,"a",@progbits
	.p2align	6, 0x0
	.amdhsa_kernel _ZN7rocprim17ROCPRIM_400000_NS6detail17trampoline_kernelINS0_14default_configENS1_25partition_config_selectorILNS1_17partition_subalgoE1EiNS0_10empty_typeEbEEZZNS1_14partition_implILS5_1ELb0ES3_jN6thrust23THRUST_200600_302600_NS6detail15normal_iteratorINSA_10device_ptrIiEEEEPS6_NSA_18transform_iteratorI7is_evenIiESF_NSA_11use_defaultESK_EENS0_5tupleIJNSA_16discard_iteratorISK_EESF_EEENSM_IJSG_SG_EEES6_PlJS6_EEE10hipError_tPvRmT3_T4_T5_T6_T7_T9_mT8_P12ihipStream_tbDpT10_ENKUlT_T0_E_clISt17integral_constantIbLb0EES1A_IbLb1EEEEDaS16_S17_EUlS16_E_NS1_11comp_targetILNS1_3genE10ELNS1_11target_archE1200ELNS1_3gpuE4ELNS1_3repE0EEENS1_30default_config_static_selectorELNS0_4arch9wavefront6targetE1EEEvT1_
		.amdhsa_group_segment_fixed_size 0
		.amdhsa_private_segment_fixed_size 0
		.amdhsa_kernarg_size 152
		.amdhsa_user_sgpr_count 2
		.amdhsa_user_sgpr_dispatch_ptr 0
		.amdhsa_user_sgpr_queue_ptr 0
		.amdhsa_user_sgpr_kernarg_segment_ptr 1
		.amdhsa_user_sgpr_dispatch_id 0
		.amdhsa_user_sgpr_kernarg_preload_length 0
		.amdhsa_user_sgpr_kernarg_preload_offset 0
		.amdhsa_user_sgpr_private_segment_size 0
		.amdhsa_uses_dynamic_stack 0
		.amdhsa_enable_private_segment 0
		.amdhsa_system_sgpr_workgroup_id_x 1
		.amdhsa_system_sgpr_workgroup_id_y 0
		.amdhsa_system_sgpr_workgroup_id_z 0
		.amdhsa_system_sgpr_workgroup_info 0
		.amdhsa_system_vgpr_workitem_id 0
		.amdhsa_next_free_vgpr 1
		.amdhsa_next_free_sgpr 0
		.amdhsa_accum_offset 4
		.amdhsa_reserve_vcc 0
		.amdhsa_float_round_mode_32 0
		.amdhsa_float_round_mode_16_64 0
		.amdhsa_float_denorm_mode_32 3
		.amdhsa_float_denorm_mode_16_64 3
		.amdhsa_dx10_clamp 1
		.amdhsa_ieee_mode 1
		.amdhsa_fp16_overflow 0
		.amdhsa_tg_split 0
		.amdhsa_exception_fp_ieee_invalid_op 0
		.amdhsa_exception_fp_denorm_src 0
		.amdhsa_exception_fp_ieee_div_zero 0
		.amdhsa_exception_fp_ieee_overflow 0
		.amdhsa_exception_fp_ieee_underflow 0
		.amdhsa_exception_fp_ieee_inexact 0
		.amdhsa_exception_int_div_zero 0
	.end_amdhsa_kernel
	.section	.text._ZN7rocprim17ROCPRIM_400000_NS6detail17trampoline_kernelINS0_14default_configENS1_25partition_config_selectorILNS1_17partition_subalgoE1EiNS0_10empty_typeEbEEZZNS1_14partition_implILS5_1ELb0ES3_jN6thrust23THRUST_200600_302600_NS6detail15normal_iteratorINSA_10device_ptrIiEEEEPS6_NSA_18transform_iteratorI7is_evenIiESF_NSA_11use_defaultESK_EENS0_5tupleIJNSA_16discard_iteratorISK_EESF_EEENSM_IJSG_SG_EEES6_PlJS6_EEE10hipError_tPvRmT3_T4_T5_T6_T7_T9_mT8_P12ihipStream_tbDpT10_ENKUlT_T0_E_clISt17integral_constantIbLb0EES1A_IbLb1EEEEDaS16_S17_EUlS16_E_NS1_11comp_targetILNS1_3genE10ELNS1_11target_archE1200ELNS1_3gpuE4ELNS1_3repE0EEENS1_30default_config_static_selectorELNS0_4arch9wavefront6targetE1EEEvT1_,"axG",@progbits,_ZN7rocprim17ROCPRIM_400000_NS6detail17trampoline_kernelINS0_14default_configENS1_25partition_config_selectorILNS1_17partition_subalgoE1EiNS0_10empty_typeEbEEZZNS1_14partition_implILS5_1ELb0ES3_jN6thrust23THRUST_200600_302600_NS6detail15normal_iteratorINSA_10device_ptrIiEEEEPS6_NSA_18transform_iteratorI7is_evenIiESF_NSA_11use_defaultESK_EENS0_5tupleIJNSA_16discard_iteratorISK_EESF_EEENSM_IJSG_SG_EEES6_PlJS6_EEE10hipError_tPvRmT3_T4_T5_T6_T7_T9_mT8_P12ihipStream_tbDpT10_ENKUlT_T0_E_clISt17integral_constantIbLb0EES1A_IbLb1EEEEDaS16_S17_EUlS16_E_NS1_11comp_targetILNS1_3genE10ELNS1_11target_archE1200ELNS1_3gpuE4ELNS1_3repE0EEENS1_30default_config_static_selectorELNS0_4arch9wavefront6targetE1EEEvT1_,comdat
.Lfunc_end3352:
	.size	_ZN7rocprim17ROCPRIM_400000_NS6detail17trampoline_kernelINS0_14default_configENS1_25partition_config_selectorILNS1_17partition_subalgoE1EiNS0_10empty_typeEbEEZZNS1_14partition_implILS5_1ELb0ES3_jN6thrust23THRUST_200600_302600_NS6detail15normal_iteratorINSA_10device_ptrIiEEEEPS6_NSA_18transform_iteratorI7is_evenIiESF_NSA_11use_defaultESK_EENS0_5tupleIJNSA_16discard_iteratorISK_EESF_EEENSM_IJSG_SG_EEES6_PlJS6_EEE10hipError_tPvRmT3_T4_T5_T6_T7_T9_mT8_P12ihipStream_tbDpT10_ENKUlT_T0_E_clISt17integral_constantIbLb0EES1A_IbLb1EEEEDaS16_S17_EUlS16_E_NS1_11comp_targetILNS1_3genE10ELNS1_11target_archE1200ELNS1_3gpuE4ELNS1_3repE0EEENS1_30default_config_static_selectorELNS0_4arch9wavefront6targetE1EEEvT1_, .Lfunc_end3352-_ZN7rocprim17ROCPRIM_400000_NS6detail17trampoline_kernelINS0_14default_configENS1_25partition_config_selectorILNS1_17partition_subalgoE1EiNS0_10empty_typeEbEEZZNS1_14partition_implILS5_1ELb0ES3_jN6thrust23THRUST_200600_302600_NS6detail15normal_iteratorINSA_10device_ptrIiEEEEPS6_NSA_18transform_iteratorI7is_evenIiESF_NSA_11use_defaultESK_EENS0_5tupleIJNSA_16discard_iteratorISK_EESF_EEENSM_IJSG_SG_EEES6_PlJS6_EEE10hipError_tPvRmT3_T4_T5_T6_T7_T9_mT8_P12ihipStream_tbDpT10_ENKUlT_T0_E_clISt17integral_constantIbLb0EES1A_IbLb1EEEEDaS16_S17_EUlS16_E_NS1_11comp_targetILNS1_3genE10ELNS1_11target_archE1200ELNS1_3gpuE4ELNS1_3repE0EEENS1_30default_config_static_selectorELNS0_4arch9wavefront6targetE1EEEvT1_
                                        ; -- End function
	.section	.AMDGPU.csdata,"",@progbits
; Kernel info:
; codeLenInByte = 0
; NumSgprs: 6
; NumVgprs: 0
; NumAgprs: 0
; TotalNumVgprs: 0
; ScratchSize: 0
; MemoryBound: 0
; FloatMode: 240
; IeeeMode: 1
; LDSByteSize: 0 bytes/workgroup (compile time only)
; SGPRBlocks: 0
; VGPRBlocks: 0
; NumSGPRsForWavesPerEU: 6
; NumVGPRsForWavesPerEU: 1
; AccumOffset: 4
; Occupancy: 8
; WaveLimiterHint : 0
; COMPUTE_PGM_RSRC2:SCRATCH_EN: 0
; COMPUTE_PGM_RSRC2:USER_SGPR: 2
; COMPUTE_PGM_RSRC2:TRAP_HANDLER: 0
; COMPUTE_PGM_RSRC2:TGID_X_EN: 1
; COMPUTE_PGM_RSRC2:TGID_Y_EN: 0
; COMPUTE_PGM_RSRC2:TGID_Z_EN: 0
; COMPUTE_PGM_RSRC2:TIDIG_COMP_CNT: 0
; COMPUTE_PGM_RSRC3_GFX90A:ACCUM_OFFSET: 0
; COMPUTE_PGM_RSRC3_GFX90A:TG_SPLIT: 0
	.section	.text._ZN7rocprim17ROCPRIM_400000_NS6detail17trampoline_kernelINS0_14default_configENS1_25partition_config_selectorILNS1_17partition_subalgoE1EiNS0_10empty_typeEbEEZZNS1_14partition_implILS5_1ELb0ES3_jN6thrust23THRUST_200600_302600_NS6detail15normal_iteratorINSA_10device_ptrIiEEEEPS6_NSA_18transform_iteratorI7is_evenIiESF_NSA_11use_defaultESK_EENS0_5tupleIJNSA_16discard_iteratorISK_EESF_EEENSM_IJSG_SG_EEES6_PlJS6_EEE10hipError_tPvRmT3_T4_T5_T6_T7_T9_mT8_P12ihipStream_tbDpT10_ENKUlT_T0_E_clISt17integral_constantIbLb0EES1A_IbLb1EEEEDaS16_S17_EUlS16_E_NS1_11comp_targetILNS1_3genE9ELNS1_11target_archE1100ELNS1_3gpuE3ELNS1_3repE0EEENS1_30default_config_static_selectorELNS0_4arch9wavefront6targetE1EEEvT1_,"axG",@progbits,_ZN7rocprim17ROCPRIM_400000_NS6detail17trampoline_kernelINS0_14default_configENS1_25partition_config_selectorILNS1_17partition_subalgoE1EiNS0_10empty_typeEbEEZZNS1_14partition_implILS5_1ELb0ES3_jN6thrust23THRUST_200600_302600_NS6detail15normal_iteratorINSA_10device_ptrIiEEEEPS6_NSA_18transform_iteratorI7is_evenIiESF_NSA_11use_defaultESK_EENS0_5tupleIJNSA_16discard_iteratorISK_EESF_EEENSM_IJSG_SG_EEES6_PlJS6_EEE10hipError_tPvRmT3_T4_T5_T6_T7_T9_mT8_P12ihipStream_tbDpT10_ENKUlT_T0_E_clISt17integral_constantIbLb0EES1A_IbLb1EEEEDaS16_S17_EUlS16_E_NS1_11comp_targetILNS1_3genE9ELNS1_11target_archE1100ELNS1_3gpuE3ELNS1_3repE0EEENS1_30default_config_static_selectorELNS0_4arch9wavefront6targetE1EEEvT1_,comdat
	.protected	_ZN7rocprim17ROCPRIM_400000_NS6detail17trampoline_kernelINS0_14default_configENS1_25partition_config_selectorILNS1_17partition_subalgoE1EiNS0_10empty_typeEbEEZZNS1_14partition_implILS5_1ELb0ES3_jN6thrust23THRUST_200600_302600_NS6detail15normal_iteratorINSA_10device_ptrIiEEEEPS6_NSA_18transform_iteratorI7is_evenIiESF_NSA_11use_defaultESK_EENS0_5tupleIJNSA_16discard_iteratorISK_EESF_EEENSM_IJSG_SG_EEES6_PlJS6_EEE10hipError_tPvRmT3_T4_T5_T6_T7_T9_mT8_P12ihipStream_tbDpT10_ENKUlT_T0_E_clISt17integral_constantIbLb0EES1A_IbLb1EEEEDaS16_S17_EUlS16_E_NS1_11comp_targetILNS1_3genE9ELNS1_11target_archE1100ELNS1_3gpuE3ELNS1_3repE0EEENS1_30default_config_static_selectorELNS0_4arch9wavefront6targetE1EEEvT1_ ; -- Begin function _ZN7rocprim17ROCPRIM_400000_NS6detail17trampoline_kernelINS0_14default_configENS1_25partition_config_selectorILNS1_17partition_subalgoE1EiNS0_10empty_typeEbEEZZNS1_14partition_implILS5_1ELb0ES3_jN6thrust23THRUST_200600_302600_NS6detail15normal_iteratorINSA_10device_ptrIiEEEEPS6_NSA_18transform_iteratorI7is_evenIiESF_NSA_11use_defaultESK_EENS0_5tupleIJNSA_16discard_iteratorISK_EESF_EEENSM_IJSG_SG_EEES6_PlJS6_EEE10hipError_tPvRmT3_T4_T5_T6_T7_T9_mT8_P12ihipStream_tbDpT10_ENKUlT_T0_E_clISt17integral_constantIbLb0EES1A_IbLb1EEEEDaS16_S17_EUlS16_E_NS1_11comp_targetILNS1_3genE9ELNS1_11target_archE1100ELNS1_3gpuE3ELNS1_3repE0EEENS1_30default_config_static_selectorELNS0_4arch9wavefront6targetE1EEEvT1_
	.globl	_ZN7rocprim17ROCPRIM_400000_NS6detail17trampoline_kernelINS0_14default_configENS1_25partition_config_selectorILNS1_17partition_subalgoE1EiNS0_10empty_typeEbEEZZNS1_14partition_implILS5_1ELb0ES3_jN6thrust23THRUST_200600_302600_NS6detail15normal_iteratorINSA_10device_ptrIiEEEEPS6_NSA_18transform_iteratorI7is_evenIiESF_NSA_11use_defaultESK_EENS0_5tupleIJNSA_16discard_iteratorISK_EESF_EEENSM_IJSG_SG_EEES6_PlJS6_EEE10hipError_tPvRmT3_T4_T5_T6_T7_T9_mT8_P12ihipStream_tbDpT10_ENKUlT_T0_E_clISt17integral_constantIbLb0EES1A_IbLb1EEEEDaS16_S17_EUlS16_E_NS1_11comp_targetILNS1_3genE9ELNS1_11target_archE1100ELNS1_3gpuE3ELNS1_3repE0EEENS1_30default_config_static_selectorELNS0_4arch9wavefront6targetE1EEEvT1_
	.p2align	8
	.type	_ZN7rocprim17ROCPRIM_400000_NS6detail17trampoline_kernelINS0_14default_configENS1_25partition_config_selectorILNS1_17partition_subalgoE1EiNS0_10empty_typeEbEEZZNS1_14partition_implILS5_1ELb0ES3_jN6thrust23THRUST_200600_302600_NS6detail15normal_iteratorINSA_10device_ptrIiEEEEPS6_NSA_18transform_iteratorI7is_evenIiESF_NSA_11use_defaultESK_EENS0_5tupleIJNSA_16discard_iteratorISK_EESF_EEENSM_IJSG_SG_EEES6_PlJS6_EEE10hipError_tPvRmT3_T4_T5_T6_T7_T9_mT8_P12ihipStream_tbDpT10_ENKUlT_T0_E_clISt17integral_constantIbLb0EES1A_IbLb1EEEEDaS16_S17_EUlS16_E_NS1_11comp_targetILNS1_3genE9ELNS1_11target_archE1100ELNS1_3gpuE3ELNS1_3repE0EEENS1_30default_config_static_selectorELNS0_4arch9wavefront6targetE1EEEvT1_,@function
_ZN7rocprim17ROCPRIM_400000_NS6detail17trampoline_kernelINS0_14default_configENS1_25partition_config_selectorILNS1_17partition_subalgoE1EiNS0_10empty_typeEbEEZZNS1_14partition_implILS5_1ELb0ES3_jN6thrust23THRUST_200600_302600_NS6detail15normal_iteratorINSA_10device_ptrIiEEEEPS6_NSA_18transform_iteratorI7is_evenIiESF_NSA_11use_defaultESK_EENS0_5tupleIJNSA_16discard_iteratorISK_EESF_EEENSM_IJSG_SG_EEES6_PlJS6_EEE10hipError_tPvRmT3_T4_T5_T6_T7_T9_mT8_P12ihipStream_tbDpT10_ENKUlT_T0_E_clISt17integral_constantIbLb0EES1A_IbLb1EEEEDaS16_S17_EUlS16_E_NS1_11comp_targetILNS1_3genE9ELNS1_11target_archE1100ELNS1_3gpuE3ELNS1_3repE0EEENS1_30default_config_static_selectorELNS0_4arch9wavefront6targetE1EEEvT1_: ; @_ZN7rocprim17ROCPRIM_400000_NS6detail17trampoline_kernelINS0_14default_configENS1_25partition_config_selectorILNS1_17partition_subalgoE1EiNS0_10empty_typeEbEEZZNS1_14partition_implILS5_1ELb0ES3_jN6thrust23THRUST_200600_302600_NS6detail15normal_iteratorINSA_10device_ptrIiEEEEPS6_NSA_18transform_iteratorI7is_evenIiESF_NSA_11use_defaultESK_EENS0_5tupleIJNSA_16discard_iteratorISK_EESF_EEENSM_IJSG_SG_EEES6_PlJS6_EEE10hipError_tPvRmT3_T4_T5_T6_T7_T9_mT8_P12ihipStream_tbDpT10_ENKUlT_T0_E_clISt17integral_constantIbLb0EES1A_IbLb1EEEEDaS16_S17_EUlS16_E_NS1_11comp_targetILNS1_3genE9ELNS1_11target_archE1100ELNS1_3gpuE3ELNS1_3repE0EEENS1_30default_config_static_selectorELNS0_4arch9wavefront6targetE1EEEvT1_
; %bb.0:
	.section	.rodata,"a",@progbits
	.p2align	6, 0x0
	.amdhsa_kernel _ZN7rocprim17ROCPRIM_400000_NS6detail17trampoline_kernelINS0_14default_configENS1_25partition_config_selectorILNS1_17partition_subalgoE1EiNS0_10empty_typeEbEEZZNS1_14partition_implILS5_1ELb0ES3_jN6thrust23THRUST_200600_302600_NS6detail15normal_iteratorINSA_10device_ptrIiEEEEPS6_NSA_18transform_iteratorI7is_evenIiESF_NSA_11use_defaultESK_EENS0_5tupleIJNSA_16discard_iteratorISK_EESF_EEENSM_IJSG_SG_EEES6_PlJS6_EEE10hipError_tPvRmT3_T4_T5_T6_T7_T9_mT8_P12ihipStream_tbDpT10_ENKUlT_T0_E_clISt17integral_constantIbLb0EES1A_IbLb1EEEEDaS16_S17_EUlS16_E_NS1_11comp_targetILNS1_3genE9ELNS1_11target_archE1100ELNS1_3gpuE3ELNS1_3repE0EEENS1_30default_config_static_selectorELNS0_4arch9wavefront6targetE1EEEvT1_
		.amdhsa_group_segment_fixed_size 0
		.amdhsa_private_segment_fixed_size 0
		.amdhsa_kernarg_size 152
		.amdhsa_user_sgpr_count 2
		.amdhsa_user_sgpr_dispatch_ptr 0
		.amdhsa_user_sgpr_queue_ptr 0
		.amdhsa_user_sgpr_kernarg_segment_ptr 1
		.amdhsa_user_sgpr_dispatch_id 0
		.amdhsa_user_sgpr_kernarg_preload_length 0
		.amdhsa_user_sgpr_kernarg_preload_offset 0
		.amdhsa_user_sgpr_private_segment_size 0
		.amdhsa_uses_dynamic_stack 0
		.amdhsa_enable_private_segment 0
		.amdhsa_system_sgpr_workgroup_id_x 1
		.amdhsa_system_sgpr_workgroup_id_y 0
		.amdhsa_system_sgpr_workgroup_id_z 0
		.amdhsa_system_sgpr_workgroup_info 0
		.amdhsa_system_vgpr_workitem_id 0
		.amdhsa_next_free_vgpr 1
		.amdhsa_next_free_sgpr 0
		.amdhsa_accum_offset 4
		.amdhsa_reserve_vcc 0
		.amdhsa_float_round_mode_32 0
		.amdhsa_float_round_mode_16_64 0
		.amdhsa_float_denorm_mode_32 3
		.amdhsa_float_denorm_mode_16_64 3
		.amdhsa_dx10_clamp 1
		.amdhsa_ieee_mode 1
		.amdhsa_fp16_overflow 0
		.amdhsa_tg_split 0
		.amdhsa_exception_fp_ieee_invalid_op 0
		.amdhsa_exception_fp_denorm_src 0
		.amdhsa_exception_fp_ieee_div_zero 0
		.amdhsa_exception_fp_ieee_overflow 0
		.amdhsa_exception_fp_ieee_underflow 0
		.amdhsa_exception_fp_ieee_inexact 0
		.amdhsa_exception_int_div_zero 0
	.end_amdhsa_kernel
	.section	.text._ZN7rocprim17ROCPRIM_400000_NS6detail17trampoline_kernelINS0_14default_configENS1_25partition_config_selectorILNS1_17partition_subalgoE1EiNS0_10empty_typeEbEEZZNS1_14partition_implILS5_1ELb0ES3_jN6thrust23THRUST_200600_302600_NS6detail15normal_iteratorINSA_10device_ptrIiEEEEPS6_NSA_18transform_iteratorI7is_evenIiESF_NSA_11use_defaultESK_EENS0_5tupleIJNSA_16discard_iteratorISK_EESF_EEENSM_IJSG_SG_EEES6_PlJS6_EEE10hipError_tPvRmT3_T4_T5_T6_T7_T9_mT8_P12ihipStream_tbDpT10_ENKUlT_T0_E_clISt17integral_constantIbLb0EES1A_IbLb1EEEEDaS16_S17_EUlS16_E_NS1_11comp_targetILNS1_3genE9ELNS1_11target_archE1100ELNS1_3gpuE3ELNS1_3repE0EEENS1_30default_config_static_selectorELNS0_4arch9wavefront6targetE1EEEvT1_,"axG",@progbits,_ZN7rocprim17ROCPRIM_400000_NS6detail17trampoline_kernelINS0_14default_configENS1_25partition_config_selectorILNS1_17partition_subalgoE1EiNS0_10empty_typeEbEEZZNS1_14partition_implILS5_1ELb0ES3_jN6thrust23THRUST_200600_302600_NS6detail15normal_iteratorINSA_10device_ptrIiEEEEPS6_NSA_18transform_iteratorI7is_evenIiESF_NSA_11use_defaultESK_EENS0_5tupleIJNSA_16discard_iteratorISK_EESF_EEENSM_IJSG_SG_EEES6_PlJS6_EEE10hipError_tPvRmT3_T4_T5_T6_T7_T9_mT8_P12ihipStream_tbDpT10_ENKUlT_T0_E_clISt17integral_constantIbLb0EES1A_IbLb1EEEEDaS16_S17_EUlS16_E_NS1_11comp_targetILNS1_3genE9ELNS1_11target_archE1100ELNS1_3gpuE3ELNS1_3repE0EEENS1_30default_config_static_selectorELNS0_4arch9wavefront6targetE1EEEvT1_,comdat
.Lfunc_end3353:
	.size	_ZN7rocprim17ROCPRIM_400000_NS6detail17trampoline_kernelINS0_14default_configENS1_25partition_config_selectorILNS1_17partition_subalgoE1EiNS0_10empty_typeEbEEZZNS1_14partition_implILS5_1ELb0ES3_jN6thrust23THRUST_200600_302600_NS6detail15normal_iteratorINSA_10device_ptrIiEEEEPS6_NSA_18transform_iteratorI7is_evenIiESF_NSA_11use_defaultESK_EENS0_5tupleIJNSA_16discard_iteratorISK_EESF_EEENSM_IJSG_SG_EEES6_PlJS6_EEE10hipError_tPvRmT3_T4_T5_T6_T7_T9_mT8_P12ihipStream_tbDpT10_ENKUlT_T0_E_clISt17integral_constantIbLb0EES1A_IbLb1EEEEDaS16_S17_EUlS16_E_NS1_11comp_targetILNS1_3genE9ELNS1_11target_archE1100ELNS1_3gpuE3ELNS1_3repE0EEENS1_30default_config_static_selectorELNS0_4arch9wavefront6targetE1EEEvT1_, .Lfunc_end3353-_ZN7rocprim17ROCPRIM_400000_NS6detail17trampoline_kernelINS0_14default_configENS1_25partition_config_selectorILNS1_17partition_subalgoE1EiNS0_10empty_typeEbEEZZNS1_14partition_implILS5_1ELb0ES3_jN6thrust23THRUST_200600_302600_NS6detail15normal_iteratorINSA_10device_ptrIiEEEEPS6_NSA_18transform_iteratorI7is_evenIiESF_NSA_11use_defaultESK_EENS0_5tupleIJNSA_16discard_iteratorISK_EESF_EEENSM_IJSG_SG_EEES6_PlJS6_EEE10hipError_tPvRmT3_T4_T5_T6_T7_T9_mT8_P12ihipStream_tbDpT10_ENKUlT_T0_E_clISt17integral_constantIbLb0EES1A_IbLb1EEEEDaS16_S17_EUlS16_E_NS1_11comp_targetILNS1_3genE9ELNS1_11target_archE1100ELNS1_3gpuE3ELNS1_3repE0EEENS1_30default_config_static_selectorELNS0_4arch9wavefront6targetE1EEEvT1_
                                        ; -- End function
	.section	.AMDGPU.csdata,"",@progbits
; Kernel info:
; codeLenInByte = 0
; NumSgprs: 6
; NumVgprs: 0
; NumAgprs: 0
; TotalNumVgprs: 0
; ScratchSize: 0
; MemoryBound: 0
; FloatMode: 240
; IeeeMode: 1
; LDSByteSize: 0 bytes/workgroup (compile time only)
; SGPRBlocks: 0
; VGPRBlocks: 0
; NumSGPRsForWavesPerEU: 6
; NumVGPRsForWavesPerEU: 1
; AccumOffset: 4
; Occupancy: 8
; WaveLimiterHint : 0
; COMPUTE_PGM_RSRC2:SCRATCH_EN: 0
; COMPUTE_PGM_RSRC2:USER_SGPR: 2
; COMPUTE_PGM_RSRC2:TRAP_HANDLER: 0
; COMPUTE_PGM_RSRC2:TGID_X_EN: 1
; COMPUTE_PGM_RSRC2:TGID_Y_EN: 0
; COMPUTE_PGM_RSRC2:TGID_Z_EN: 0
; COMPUTE_PGM_RSRC2:TIDIG_COMP_CNT: 0
; COMPUTE_PGM_RSRC3_GFX90A:ACCUM_OFFSET: 0
; COMPUTE_PGM_RSRC3_GFX90A:TG_SPLIT: 0
	.section	.text._ZN7rocprim17ROCPRIM_400000_NS6detail17trampoline_kernelINS0_14default_configENS1_25partition_config_selectorILNS1_17partition_subalgoE1EiNS0_10empty_typeEbEEZZNS1_14partition_implILS5_1ELb0ES3_jN6thrust23THRUST_200600_302600_NS6detail15normal_iteratorINSA_10device_ptrIiEEEEPS6_NSA_18transform_iteratorI7is_evenIiESF_NSA_11use_defaultESK_EENS0_5tupleIJNSA_16discard_iteratorISK_EESF_EEENSM_IJSG_SG_EEES6_PlJS6_EEE10hipError_tPvRmT3_T4_T5_T6_T7_T9_mT8_P12ihipStream_tbDpT10_ENKUlT_T0_E_clISt17integral_constantIbLb0EES1A_IbLb1EEEEDaS16_S17_EUlS16_E_NS1_11comp_targetILNS1_3genE8ELNS1_11target_archE1030ELNS1_3gpuE2ELNS1_3repE0EEENS1_30default_config_static_selectorELNS0_4arch9wavefront6targetE1EEEvT1_,"axG",@progbits,_ZN7rocprim17ROCPRIM_400000_NS6detail17trampoline_kernelINS0_14default_configENS1_25partition_config_selectorILNS1_17partition_subalgoE1EiNS0_10empty_typeEbEEZZNS1_14partition_implILS5_1ELb0ES3_jN6thrust23THRUST_200600_302600_NS6detail15normal_iteratorINSA_10device_ptrIiEEEEPS6_NSA_18transform_iteratorI7is_evenIiESF_NSA_11use_defaultESK_EENS0_5tupleIJNSA_16discard_iteratorISK_EESF_EEENSM_IJSG_SG_EEES6_PlJS6_EEE10hipError_tPvRmT3_T4_T5_T6_T7_T9_mT8_P12ihipStream_tbDpT10_ENKUlT_T0_E_clISt17integral_constantIbLb0EES1A_IbLb1EEEEDaS16_S17_EUlS16_E_NS1_11comp_targetILNS1_3genE8ELNS1_11target_archE1030ELNS1_3gpuE2ELNS1_3repE0EEENS1_30default_config_static_selectorELNS0_4arch9wavefront6targetE1EEEvT1_,comdat
	.protected	_ZN7rocprim17ROCPRIM_400000_NS6detail17trampoline_kernelINS0_14default_configENS1_25partition_config_selectorILNS1_17partition_subalgoE1EiNS0_10empty_typeEbEEZZNS1_14partition_implILS5_1ELb0ES3_jN6thrust23THRUST_200600_302600_NS6detail15normal_iteratorINSA_10device_ptrIiEEEEPS6_NSA_18transform_iteratorI7is_evenIiESF_NSA_11use_defaultESK_EENS0_5tupleIJNSA_16discard_iteratorISK_EESF_EEENSM_IJSG_SG_EEES6_PlJS6_EEE10hipError_tPvRmT3_T4_T5_T6_T7_T9_mT8_P12ihipStream_tbDpT10_ENKUlT_T0_E_clISt17integral_constantIbLb0EES1A_IbLb1EEEEDaS16_S17_EUlS16_E_NS1_11comp_targetILNS1_3genE8ELNS1_11target_archE1030ELNS1_3gpuE2ELNS1_3repE0EEENS1_30default_config_static_selectorELNS0_4arch9wavefront6targetE1EEEvT1_ ; -- Begin function _ZN7rocprim17ROCPRIM_400000_NS6detail17trampoline_kernelINS0_14default_configENS1_25partition_config_selectorILNS1_17partition_subalgoE1EiNS0_10empty_typeEbEEZZNS1_14partition_implILS5_1ELb0ES3_jN6thrust23THRUST_200600_302600_NS6detail15normal_iteratorINSA_10device_ptrIiEEEEPS6_NSA_18transform_iteratorI7is_evenIiESF_NSA_11use_defaultESK_EENS0_5tupleIJNSA_16discard_iteratorISK_EESF_EEENSM_IJSG_SG_EEES6_PlJS6_EEE10hipError_tPvRmT3_T4_T5_T6_T7_T9_mT8_P12ihipStream_tbDpT10_ENKUlT_T0_E_clISt17integral_constantIbLb0EES1A_IbLb1EEEEDaS16_S17_EUlS16_E_NS1_11comp_targetILNS1_3genE8ELNS1_11target_archE1030ELNS1_3gpuE2ELNS1_3repE0EEENS1_30default_config_static_selectorELNS0_4arch9wavefront6targetE1EEEvT1_
	.globl	_ZN7rocprim17ROCPRIM_400000_NS6detail17trampoline_kernelINS0_14default_configENS1_25partition_config_selectorILNS1_17partition_subalgoE1EiNS0_10empty_typeEbEEZZNS1_14partition_implILS5_1ELb0ES3_jN6thrust23THRUST_200600_302600_NS6detail15normal_iteratorINSA_10device_ptrIiEEEEPS6_NSA_18transform_iteratorI7is_evenIiESF_NSA_11use_defaultESK_EENS0_5tupleIJNSA_16discard_iteratorISK_EESF_EEENSM_IJSG_SG_EEES6_PlJS6_EEE10hipError_tPvRmT3_T4_T5_T6_T7_T9_mT8_P12ihipStream_tbDpT10_ENKUlT_T0_E_clISt17integral_constantIbLb0EES1A_IbLb1EEEEDaS16_S17_EUlS16_E_NS1_11comp_targetILNS1_3genE8ELNS1_11target_archE1030ELNS1_3gpuE2ELNS1_3repE0EEENS1_30default_config_static_selectorELNS0_4arch9wavefront6targetE1EEEvT1_
	.p2align	8
	.type	_ZN7rocprim17ROCPRIM_400000_NS6detail17trampoline_kernelINS0_14default_configENS1_25partition_config_selectorILNS1_17partition_subalgoE1EiNS0_10empty_typeEbEEZZNS1_14partition_implILS5_1ELb0ES3_jN6thrust23THRUST_200600_302600_NS6detail15normal_iteratorINSA_10device_ptrIiEEEEPS6_NSA_18transform_iteratorI7is_evenIiESF_NSA_11use_defaultESK_EENS0_5tupleIJNSA_16discard_iteratorISK_EESF_EEENSM_IJSG_SG_EEES6_PlJS6_EEE10hipError_tPvRmT3_T4_T5_T6_T7_T9_mT8_P12ihipStream_tbDpT10_ENKUlT_T0_E_clISt17integral_constantIbLb0EES1A_IbLb1EEEEDaS16_S17_EUlS16_E_NS1_11comp_targetILNS1_3genE8ELNS1_11target_archE1030ELNS1_3gpuE2ELNS1_3repE0EEENS1_30default_config_static_selectorELNS0_4arch9wavefront6targetE1EEEvT1_,@function
_ZN7rocprim17ROCPRIM_400000_NS6detail17trampoline_kernelINS0_14default_configENS1_25partition_config_selectorILNS1_17partition_subalgoE1EiNS0_10empty_typeEbEEZZNS1_14partition_implILS5_1ELb0ES3_jN6thrust23THRUST_200600_302600_NS6detail15normal_iteratorINSA_10device_ptrIiEEEEPS6_NSA_18transform_iteratorI7is_evenIiESF_NSA_11use_defaultESK_EENS0_5tupleIJNSA_16discard_iteratorISK_EESF_EEENSM_IJSG_SG_EEES6_PlJS6_EEE10hipError_tPvRmT3_T4_T5_T6_T7_T9_mT8_P12ihipStream_tbDpT10_ENKUlT_T0_E_clISt17integral_constantIbLb0EES1A_IbLb1EEEEDaS16_S17_EUlS16_E_NS1_11comp_targetILNS1_3genE8ELNS1_11target_archE1030ELNS1_3gpuE2ELNS1_3repE0EEENS1_30default_config_static_selectorELNS0_4arch9wavefront6targetE1EEEvT1_: ; @_ZN7rocprim17ROCPRIM_400000_NS6detail17trampoline_kernelINS0_14default_configENS1_25partition_config_selectorILNS1_17partition_subalgoE1EiNS0_10empty_typeEbEEZZNS1_14partition_implILS5_1ELb0ES3_jN6thrust23THRUST_200600_302600_NS6detail15normal_iteratorINSA_10device_ptrIiEEEEPS6_NSA_18transform_iteratorI7is_evenIiESF_NSA_11use_defaultESK_EENS0_5tupleIJNSA_16discard_iteratorISK_EESF_EEENSM_IJSG_SG_EEES6_PlJS6_EEE10hipError_tPvRmT3_T4_T5_T6_T7_T9_mT8_P12ihipStream_tbDpT10_ENKUlT_T0_E_clISt17integral_constantIbLb0EES1A_IbLb1EEEEDaS16_S17_EUlS16_E_NS1_11comp_targetILNS1_3genE8ELNS1_11target_archE1030ELNS1_3gpuE2ELNS1_3repE0EEENS1_30default_config_static_selectorELNS0_4arch9wavefront6targetE1EEEvT1_
; %bb.0:
	.section	.rodata,"a",@progbits
	.p2align	6, 0x0
	.amdhsa_kernel _ZN7rocprim17ROCPRIM_400000_NS6detail17trampoline_kernelINS0_14default_configENS1_25partition_config_selectorILNS1_17partition_subalgoE1EiNS0_10empty_typeEbEEZZNS1_14partition_implILS5_1ELb0ES3_jN6thrust23THRUST_200600_302600_NS6detail15normal_iteratorINSA_10device_ptrIiEEEEPS6_NSA_18transform_iteratorI7is_evenIiESF_NSA_11use_defaultESK_EENS0_5tupleIJNSA_16discard_iteratorISK_EESF_EEENSM_IJSG_SG_EEES6_PlJS6_EEE10hipError_tPvRmT3_T4_T5_T6_T7_T9_mT8_P12ihipStream_tbDpT10_ENKUlT_T0_E_clISt17integral_constantIbLb0EES1A_IbLb1EEEEDaS16_S17_EUlS16_E_NS1_11comp_targetILNS1_3genE8ELNS1_11target_archE1030ELNS1_3gpuE2ELNS1_3repE0EEENS1_30default_config_static_selectorELNS0_4arch9wavefront6targetE1EEEvT1_
		.amdhsa_group_segment_fixed_size 0
		.amdhsa_private_segment_fixed_size 0
		.amdhsa_kernarg_size 152
		.amdhsa_user_sgpr_count 2
		.amdhsa_user_sgpr_dispatch_ptr 0
		.amdhsa_user_sgpr_queue_ptr 0
		.amdhsa_user_sgpr_kernarg_segment_ptr 1
		.amdhsa_user_sgpr_dispatch_id 0
		.amdhsa_user_sgpr_kernarg_preload_length 0
		.amdhsa_user_sgpr_kernarg_preload_offset 0
		.amdhsa_user_sgpr_private_segment_size 0
		.amdhsa_uses_dynamic_stack 0
		.amdhsa_enable_private_segment 0
		.amdhsa_system_sgpr_workgroup_id_x 1
		.amdhsa_system_sgpr_workgroup_id_y 0
		.amdhsa_system_sgpr_workgroup_id_z 0
		.amdhsa_system_sgpr_workgroup_info 0
		.amdhsa_system_vgpr_workitem_id 0
		.amdhsa_next_free_vgpr 1
		.amdhsa_next_free_sgpr 0
		.amdhsa_accum_offset 4
		.amdhsa_reserve_vcc 0
		.amdhsa_float_round_mode_32 0
		.amdhsa_float_round_mode_16_64 0
		.amdhsa_float_denorm_mode_32 3
		.amdhsa_float_denorm_mode_16_64 3
		.amdhsa_dx10_clamp 1
		.amdhsa_ieee_mode 1
		.amdhsa_fp16_overflow 0
		.amdhsa_tg_split 0
		.amdhsa_exception_fp_ieee_invalid_op 0
		.amdhsa_exception_fp_denorm_src 0
		.amdhsa_exception_fp_ieee_div_zero 0
		.amdhsa_exception_fp_ieee_overflow 0
		.amdhsa_exception_fp_ieee_underflow 0
		.amdhsa_exception_fp_ieee_inexact 0
		.amdhsa_exception_int_div_zero 0
	.end_amdhsa_kernel
	.section	.text._ZN7rocprim17ROCPRIM_400000_NS6detail17trampoline_kernelINS0_14default_configENS1_25partition_config_selectorILNS1_17partition_subalgoE1EiNS0_10empty_typeEbEEZZNS1_14partition_implILS5_1ELb0ES3_jN6thrust23THRUST_200600_302600_NS6detail15normal_iteratorINSA_10device_ptrIiEEEEPS6_NSA_18transform_iteratorI7is_evenIiESF_NSA_11use_defaultESK_EENS0_5tupleIJNSA_16discard_iteratorISK_EESF_EEENSM_IJSG_SG_EEES6_PlJS6_EEE10hipError_tPvRmT3_T4_T5_T6_T7_T9_mT8_P12ihipStream_tbDpT10_ENKUlT_T0_E_clISt17integral_constantIbLb0EES1A_IbLb1EEEEDaS16_S17_EUlS16_E_NS1_11comp_targetILNS1_3genE8ELNS1_11target_archE1030ELNS1_3gpuE2ELNS1_3repE0EEENS1_30default_config_static_selectorELNS0_4arch9wavefront6targetE1EEEvT1_,"axG",@progbits,_ZN7rocprim17ROCPRIM_400000_NS6detail17trampoline_kernelINS0_14default_configENS1_25partition_config_selectorILNS1_17partition_subalgoE1EiNS0_10empty_typeEbEEZZNS1_14partition_implILS5_1ELb0ES3_jN6thrust23THRUST_200600_302600_NS6detail15normal_iteratorINSA_10device_ptrIiEEEEPS6_NSA_18transform_iteratorI7is_evenIiESF_NSA_11use_defaultESK_EENS0_5tupleIJNSA_16discard_iteratorISK_EESF_EEENSM_IJSG_SG_EEES6_PlJS6_EEE10hipError_tPvRmT3_T4_T5_T6_T7_T9_mT8_P12ihipStream_tbDpT10_ENKUlT_T0_E_clISt17integral_constantIbLb0EES1A_IbLb1EEEEDaS16_S17_EUlS16_E_NS1_11comp_targetILNS1_3genE8ELNS1_11target_archE1030ELNS1_3gpuE2ELNS1_3repE0EEENS1_30default_config_static_selectorELNS0_4arch9wavefront6targetE1EEEvT1_,comdat
.Lfunc_end3354:
	.size	_ZN7rocprim17ROCPRIM_400000_NS6detail17trampoline_kernelINS0_14default_configENS1_25partition_config_selectorILNS1_17partition_subalgoE1EiNS0_10empty_typeEbEEZZNS1_14partition_implILS5_1ELb0ES3_jN6thrust23THRUST_200600_302600_NS6detail15normal_iteratorINSA_10device_ptrIiEEEEPS6_NSA_18transform_iteratorI7is_evenIiESF_NSA_11use_defaultESK_EENS0_5tupleIJNSA_16discard_iteratorISK_EESF_EEENSM_IJSG_SG_EEES6_PlJS6_EEE10hipError_tPvRmT3_T4_T5_T6_T7_T9_mT8_P12ihipStream_tbDpT10_ENKUlT_T0_E_clISt17integral_constantIbLb0EES1A_IbLb1EEEEDaS16_S17_EUlS16_E_NS1_11comp_targetILNS1_3genE8ELNS1_11target_archE1030ELNS1_3gpuE2ELNS1_3repE0EEENS1_30default_config_static_selectorELNS0_4arch9wavefront6targetE1EEEvT1_, .Lfunc_end3354-_ZN7rocprim17ROCPRIM_400000_NS6detail17trampoline_kernelINS0_14default_configENS1_25partition_config_selectorILNS1_17partition_subalgoE1EiNS0_10empty_typeEbEEZZNS1_14partition_implILS5_1ELb0ES3_jN6thrust23THRUST_200600_302600_NS6detail15normal_iteratorINSA_10device_ptrIiEEEEPS6_NSA_18transform_iteratorI7is_evenIiESF_NSA_11use_defaultESK_EENS0_5tupleIJNSA_16discard_iteratorISK_EESF_EEENSM_IJSG_SG_EEES6_PlJS6_EEE10hipError_tPvRmT3_T4_T5_T6_T7_T9_mT8_P12ihipStream_tbDpT10_ENKUlT_T0_E_clISt17integral_constantIbLb0EES1A_IbLb1EEEEDaS16_S17_EUlS16_E_NS1_11comp_targetILNS1_3genE8ELNS1_11target_archE1030ELNS1_3gpuE2ELNS1_3repE0EEENS1_30default_config_static_selectorELNS0_4arch9wavefront6targetE1EEEvT1_
                                        ; -- End function
	.section	.AMDGPU.csdata,"",@progbits
; Kernel info:
; codeLenInByte = 0
; NumSgprs: 6
; NumVgprs: 0
; NumAgprs: 0
; TotalNumVgprs: 0
; ScratchSize: 0
; MemoryBound: 0
; FloatMode: 240
; IeeeMode: 1
; LDSByteSize: 0 bytes/workgroup (compile time only)
; SGPRBlocks: 0
; VGPRBlocks: 0
; NumSGPRsForWavesPerEU: 6
; NumVGPRsForWavesPerEU: 1
; AccumOffset: 4
; Occupancy: 8
; WaveLimiterHint : 0
; COMPUTE_PGM_RSRC2:SCRATCH_EN: 0
; COMPUTE_PGM_RSRC2:USER_SGPR: 2
; COMPUTE_PGM_RSRC2:TRAP_HANDLER: 0
; COMPUTE_PGM_RSRC2:TGID_X_EN: 1
; COMPUTE_PGM_RSRC2:TGID_Y_EN: 0
; COMPUTE_PGM_RSRC2:TGID_Z_EN: 0
; COMPUTE_PGM_RSRC2:TIDIG_COMP_CNT: 0
; COMPUTE_PGM_RSRC3_GFX90A:ACCUM_OFFSET: 0
; COMPUTE_PGM_RSRC3_GFX90A:TG_SPLIT: 0
	.section	.text._ZN7rocprim17ROCPRIM_400000_NS6detail17trampoline_kernelINS0_14default_configENS1_25partition_config_selectorILNS1_17partition_subalgoE1EsNS0_10empty_typeEbEEZZNS1_14partition_implILS5_1ELb0ES3_jN6thrust23THRUST_200600_302600_NS6detail15normal_iteratorINSA_10device_ptrIsEEEEPS6_NSA_18transform_iteratorI7is_evenIsESF_NSA_11use_defaultESK_EENS0_5tupleIJNSA_16discard_iteratorISK_EESO_EEENSM_IJSG_SG_EEES6_PlJS6_EEE10hipError_tPvRmT3_T4_T5_T6_T7_T9_mT8_P12ihipStream_tbDpT10_ENKUlT_T0_E_clISt17integral_constantIbLb0EES1B_EEDaS16_S17_EUlS16_E_NS1_11comp_targetILNS1_3genE0ELNS1_11target_archE4294967295ELNS1_3gpuE0ELNS1_3repE0EEENS1_30default_config_static_selectorELNS0_4arch9wavefront6targetE1EEEvT1_,"axG",@progbits,_ZN7rocprim17ROCPRIM_400000_NS6detail17trampoline_kernelINS0_14default_configENS1_25partition_config_selectorILNS1_17partition_subalgoE1EsNS0_10empty_typeEbEEZZNS1_14partition_implILS5_1ELb0ES3_jN6thrust23THRUST_200600_302600_NS6detail15normal_iteratorINSA_10device_ptrIsEEEEPS6_NSA_18transform_iteratorI7is_evenIsESF_NSA_11use_defaultESK_EENS0_5tupleIJNSA_16discard_iteratorISK_EESO_EEENSM_IJSG_SG_EEES6_PlJS6_EEE10hipError_tPvRmT3_T4_T5_T6_T7_T9_mT8_P12ihipStream_tbDpT10_ENKUlT_T0_E_clISt17integral_constantIbLb0EES1B_EEDaS16_S17_EUlS16_E_NS1_11comp_targetILNS1_3genE0ELNS1_11target_archE4294967295ELNS1_3gpuE0ELNS1_3repE0EEENS1_30default_config_static_selectorELNS0_4arch9wavefront6targetE1EEEvT1_,comdat
	.protected	_ZN7rocprim17ROCPRIM_400000_NS6detail17trampoline_kernelINS0_14default_configENS1_25partition_config_selectorILNS1_17partition_subalgoE1EsNS0_10empty_typeEbEEZZNS1_14partition_implILS5_1ELb0ES3_jN6thrust23THRUST_200600_302600_NS6detail15normal_iteratorINSA_10device_ptrIsEEEEPS6_NSA_18transform_iteratorI7is_evenIsESF_NSA_11use_defaultESK_EENS0_5tupleIJNSA_16discard_iteratorISK_EESO_EEENSM_IJSG_SG_EEES6_PlJS6_EEE10hipError_tPvRmT3_T4_T5_T6_T7_T9_mT8_P12ihipStream_tbDpT10_ENKUlT_T0_E_clISt17integral_constantIbLb0EES1B_EEDaS16_S17_EUlS16_E_NS1_11comp_targetILNS1_3genE0ELNS1_11target_archE4294967295ELNS1_3gpuE0ELNS1_3repE0EEENS1_30default_config_static_selectorELNS0_4arch9wavefront6targetE1EEEvT1_ ; -- Begin function _ZN7rocprim17ROCPRIM_400000_NS6detail17trampoline_kernelINS0_14default_configENS1_25partition_config_selectorILNS1_17partition_subalgoE1EsNS0_10empty_typeEbEEZZNS1_14partition_implILS5_1ELb0ES3_jN6thrust23THRUST_200600_302600_NS6detail15normal_iteratorINSA_10device_ptrIsEEEEPS6_NSA_18transform_iteratorI7is_evenIsESF_NSA_11use_defaultESK_EENS0_5tupleIJNSA_16discard_iteratorISK_EESO_EEENSM_IJSG_SG_EEES6_PlJS6_EEE10hipError_tPvRmT3_T4_T5_T6_T7_T9_mT8_P12ihipStream_tbDpT10_ENKUlT_T0_E_clISt17integral_constantIbLb0EES1B_EEDaS16_S17_EUlS16_E_NS1_11comp_targetILNS1_3genE0ELNS1_11target_archE4294967295ELNS1_3gpuE0ELNS1_3repE0EEENS1_30default_config_static_selectorELNS0_4arch9wavefront6targetE1EEEvT1_
	.globl	_ZN7rocprim17ROCPRIM_400000_NS6detail17trampoline_kernelINS0_14default_configENS1_25partition_config_selectorILNS1_17partition_subalgoE1EsNS0_10empty_typeEbEEZZNS1_14partition_implILS5_1ELb0ES3_jN6thrust23THRUST_200600_302600_NS6detail15normal_iteratorINSA_10device_ptrIsEEEEPS6_NSA_18transform_iteratorI7is_evenIsESF_NSA_11use_defaultESK_EENS0_5tupleIJNSA_16discard_iteratorISK_EESO_EEENSM_IJSG_SG_EEES6_PlJS6_EEE10hipError_tPvRmT3_T4_T5_T6_T7_T9_mT8_P12ihipStream_tbDpT10_ENKUlT_T0_E_clISt17integral_constantIbLb0EES1B_EEDaS16_S17_EUlS16_E_NS1_11comp_targetILNS1_3genE0ELNS1_11target_archE4294967295ELNS1_3gpuE0ELNS1_3repE0EEENS1_30default_config_static_selectorELNS0_4arch9wavefront6targetE1EEEvT1_
	.p2align	8
	.type	_ZN7rocprim17ROCPRIM_400000_NS6detail17trampoline_kernelINS0_14default_configENS1_25partition_config_selectorILNS1_17partition_subalgoE1EsNS0_10empty_typeEbEEZZNS1_14partition_implILS5_1ELb0ES3_jN6thrust23THRUST_200600_302600_NS6detail15normal_iteratorINSA_10device_ptrIsEEEEPS6_NSA_18transform_iteratorI7is_evenIsESF_NSA_11use_defaultESK_EENS0_5tupleIJNSA_16discard_iteratorISK_EESO_EEENSM_IJSG_SG_EEES6_PlJS6_EEE10hipError_tPvRmT3_T4_T5_T6_T7_T9_mT8_P12ihipStream_tbDpT10_ENKUlT_T0_E_clISt17integral_constantIbLb0EES1B_EEDaS16_S17_EUlS16_E_NS1_11comp_targetILNS1_3genE0ELNS1_11target_archE4294967295ELNS1_3gpuE0ELNS1_3repE0EEENS1_30default_config_static_selectorELNS0_4arch9wavefront6targetE1EEEvT1_,@function
_ZN7rocprim17ROCPRIM_400000_NS6detail17trampoline_kernelINS0_14default_configENS1_25partition_config_selectorILNS1_17partition_subalgoE1EsNS0_10empty_typeEbEEZZNS1_14partition_implILS5_1ELb0ES3_jN6thrust23THRUST_200600_302600_NS6detail15normal_iteratorINSA_10device_ptrIsEEEEPS6_NSA_18transform_iteratorI7is_evenIsESF_NSA_11use_defaultESK_EENS0_5tupleIJNSA_16discard_iteratorISK_EESO_EEENSM_IJSG_SG_EEES6_PlJS6_EEE10hipError_tPvRmT3_T4_T5_T6_T7_T9_mT8_P12ihipStream_tbDpT10_ENKUlT_T0_E_clISt17integral_constantIbLb0EES1B_EEDaS16_S17_EUlS16_E_NS1_11comp_targetILNS1_3genE0ELNS1_11target_archE4294967295ELNS1_3gpuE0ELNS1_3repE0EEENS1_30default_config_static_selectorELNS0_4arch9wavefront6targetE1EEEvT1_: ; @_ZN7rocprim17ROCPRIM_400000_NS6detail17trampoline_kernelINS0_14default_configENS1_25partition_config_selectorILNS1_17partition_subalgoE1EsNS0_10empty_typeEbEEZZNS1_14partition_implILS5_1ELb0ES3_jN6thrust23THRUST_200600_302600_NS6detail15normal_iteratorINSA_10device_ptrIsEEEEPS6_NSA_18transform_iteratorI7is_evenIsESF_NSA_11use_defaultESK_EENS0_5tupleIJNSA_16discard_iteratorISK_EESO_EEENSM_IJSG_SG_EEES6_PlJS6_EEE10hipError_tPvRmT3_T4_T5_T6_T7_T9_mT8_P12ihipStream_tbDpT10_ENKUlT_T0_E_clISt17integral_constantIbLb0EES1B_EEDaS16_S17_EUlS16_E_NS1_11comp_targetILNS1_3genE0ELNS1_11target_archE4294967295ELNS1_3gpuE0ELNS1_3repE0EEENS1_30default_config_static_selectorELNS0_4arch9wavefront6targetE1EEEvT1_
; %bb.0:
	.section	.rodata,"a",@progbits
	.p2align	6, 0x0
	.amdhsa_kernel _ZN7rocprim17ROCPRIM_400000_NS6detail17trampoline_kernelINS0_14default_configENS1_25partition_config_selectorILNS1_17partition_subalgoE1EsNS0_10empty_typeEbEEZZNS1_14partition_implILS5_1ELb0ES3_jN6thrust23THRUST_200600_302600_NS6detail15normal_iteratorINSA_10device_ptrIsEEEEPS6_NSA_18transform_iteratorI7is_evenIsESF_NSA_11use_defaultESK_EENS0_5tupleIJNSA_16discard_iteratorISK_EESO_EEENSM_IJSG_SG_EEES6_PlJS6_EEE10hipError_tPvRmT3_T4_T5_T6_T7_T9_mT8_P12ihipStream_tbDpT10_ENKUlT_T0_E_clISt17integral_constantIbLb0EES1B_EEDaS16_S17_EUlS16_E_NS1_11comp_targetILNS1_3genE0ELNS1_11target_archE4294967295ELNS1_3gpuE0ELNS1_3repE0EEENS1_30default_config_static_selectorELNS0_4arch9wavefront6targetE1EEEvT1_
		.amdhsa_group_segment_fixed_size 0
		.amdhsa_private_segment_fixed_size 0
		.amdhsa_kernarg_size 144
		.amdhsa_user_sgpr_count 2
		.amdhsa_user_sgpr_dispatch_ptr 0
		.amdhsa_user_sgpr_queue_ptr 0
		.amdhsa_user_sgpr_kernarg_segment_ptr 1
		.amdhsa_user_sgpr_dispatch_id 0
		.amdhsa_user_sgpr_kernarg_preload_length 0
		.amdhsa_user_sgpr_kernarg_preload_offset 0
		.amdhsa_user_sgpr_private_segment_size 0
		.amdhsa_uses_dynamic_stack 0
		.amdhsa_enable_private_segment 0
		.amdhsa_system_sgpr_workgroup_id_x 1
		.amdhsa_system_sgpr_workgroup_id_y 0
		.amdhsa_system_sgpr_workgroup_id_z 0
		.amdhsa_system_sgpr_workgroup_info 0
		.amdhsa_system_vgpr_workitem_id 0
		.amdhsa_next_free_vgpr 1
		.amdhsa_next_free_sgpr 0
		.amdhsa_accum_offset 4
		.amdhsa_reserve_vcc 0
		.amdhsa_float_round_mode_32 0
		.amdhsa_float_round_mode_16_64 0
		.amdhsa_float_denorm_mode_32 3
		.amdhsa_float_denorm_mode_16_64 3
		.amdhsa_dx10_clamp 1
		.amdhsa_ieee_mode 1
		.amdhsa_fp16_overflow 0
		.amdhsa_tg_split 0
		.amdhsa_exception_fp_ieee_invalid_op 0
		.amdhsa_exception_fp_denorm_src 0
		.amdhsa_exception_fp_ieee_div_zero 0
		.amdhsa_exception_fp_ieee_overflow 0
		.amdhsa_exception_fp_ieee_underflow 0
		.amdhsa_exception_fp_ieee_inexact 0
		.amdhsa_exception_int_div_zero 0
	.end_amdhsa_kernel
	.section	.text._ZN7rocprim17ROCPRIM_400000_NS6detail17trampoline_kernelINS0_14default_configENS1_25partition_config_selectorILNS1_17partition_subalgoE1EsNS0_10empty_typeEbEEZZNS1_14partition_implILS5_1ELb0ES3_jN6thrust23THRUST_200600_302600_NS6detail15normal_iteratorINSA_10device_ptrIsEEEEPS6_NSA_18transform_iteratorI7is_evenIsESF_NSA_11use_defaultESK_EENS0_5tupleIJNSA_16discard_iteratorISK_EESO_EEENSM_IJSG_SG_EEES6_PlJS6_EEE10hipError_tPvRmT3_T4_T5_T6_T7_T9_mT8_P12ihipStream_tbDpT10_ENKUlT_T0_E_clISt17integral_constantIbLb0EES1B_EEDaS16_S17_EUlS16_E_NS1_11comp_targetILNS1_3genE0ELNS1_11target_archE4294967295ELNS1_3gpuE0ELNS1_3repE0EEENS1_30default_config_static_selectorELNS0_4arch9wavefront6targetE1EEEvT1_,"axG",@progbits,_ZN7rocprim17ROCPRIM_400000_NS6detail17trampoline_kernelINS0_14default_configENS1_25partition_config_selectorILNS1_17partition_subalgoE1EsNS0_10empty_typeEbEEZZNS1_14partition_implILS5_1ELb0ES3_jN6thrust23THRUST_200600_302600_NS6detail15normal_iteratorINSA_10device_ptrIsEEEEPS6_NSA_18transform_iteratorI7is_evenIsESF_NSA_11use_defaultESK_EENS0_5tupleIJNSA_16discard_iteratorISK_EESO_EEENSM_IJSG_SG_EEES6_PlJS6_EEE10hipError_tPvRmT3_T4_T5_T6_T7_T9_mT8_P12ihipStream_tbDpT10_ENKUlT_T0_E_clISt17integral_constantIbLb0EES1B_EEDaS16_S17_EUlS16_E_NS1_11comp_targetILNS1_3genE0ELNS1_11target_archE4294967295ELNS1_3gpuE0ELNS1_3repE0EEENS1_30default_config_static_selectorELNS0_4arch9wavefront6targetE1EEEvT1_,comdat
.Lfunc_end3355:
	.size	_ZN7rocprim17ROCPRIM_400000_NS6detail17trampoline_kernelINS0_14default_configENS1_25partition_config_selectorILNS1_17partition_subalgoE1EsNS0_10empty_typeEbEEZZNS1_14partition_implILS5_1ELb0ES3_jN6thrust23THRUST_200600_302600_NS6detail15normal_iteratorINSA_10device_ptrIsEEEEPS6_NSA_18transform_iteratorI7is_evenIsESF_NSA_11use_defaultESK_EENS0_5tupleIJNSA_16discard_iteratorISK_EESO_EEENSM_IJSG_SG_EEES6_PlJS6_EEE10hipError_tPvRmT3_T4_T5_T6_T7_T9_mT8_P12ihipStream_tbDpT10_ENKUlT_T0_E_clISt17integral_constantIbLb0EES1B_EEDaS16_S17_EUlS16_E_NS1_11comp_targetILNS1_3genE0ELNS1_11target_archE4294967295ELNS1_3gpuE0ELNS1_3repE0EEENS1_30default_config_static_selectorELNS0_4arch9wavefront6targetE1EEEvT1_, .Lfunc_end3355-_ZN7rocprim17ROCPRIM_400000_NS6detail17trampoline_kernelINS0_14default_configENS1_25partition_config_selectorILNS1_17partition_subalgoE1EsNS0_10empty_typeEbEEZZNS1_14partition_implILS5_1ELb0ES3_jN6thrust23THRUST_200600_302600_NS6detail15normal_iteratorINSA_10device_ptrIsEEEEPS6_NSA_18transform_iteratorI7is_evenIsESF_NSA_11use_defaultESK_EENS0_5tupleIJNSA_16discard_iteratorISK_EESO_EEENSM_IJSG_SG_EEES6_PlJS6_EEE10hipError_tPvRmT3_T4_T5_T6_T7_T9_mT8_P12ihipStream_tbDpT10_ENKUlT_T0_E_clISt17integral_constantIbLb0EES1B_EEDaS16_S17_EUlS16_E_NS1_11comp_targetILNS1_3genE0ELNS1_11target_archE4294967295ELNS1_3gpuE0ELNS1_3repE0EEENS1_30default_config_static_selectorELNS0_4arch9wavefront6targetE1EEEvT1_
                                        ; -- End function
	.section	.AMDGPU.csdata,"",@progbits
; Kernel info:
; codeLenInByte = 0
; NumSgprs: 6
; NumVgprs: 0
; NumAgprs: 0
; TotalNumVgprs: 0
; ScratchSize: 0
; MemoryBound: 0
; FloatMode: 240
; IeeeMode: 1
; LDSByteSize: 0 bytes/workgroup (compile time only)
; SGPRBlocks: 0
; VGPRBlocks: 0
; NumSGPRsForWavesPerEU: 6
; NumVGPRsForWavesPerEU: 1
; AccumOffset: 4
; Occupancy: 8
; WaveLimiterHint : 0
; COMPUTE_PGM_RSRC2:SCRATCH_EN: 0
; COMPUTE_PGM_RSRC2:USER_SGPR: 2
; COMPUTE_PGM_RSRC2:TRAP_HANDLER: 0
; COMPUTE_PGM_RSRC2:TGID_X_EN: 1
; COMPUTE_PGM_RSRC2:TGID_Y_EN: 0
; COMPUTE_PGM_RSRC2:TGID_Z_EN: 0
; COMPUTE_PGM_RSRC2:TIDIG_COMP_CNT: 0
; COMPUTE_PGM_RSRC3_GFX90A:ACCUM_OFFSET: 0
; COMPUTE_PGM_RSRC3_GFX90A:TG_SPLIT: 0
	.section	.text._ZN7rocprim17ROCPRIM_400000_NS6detail17trampoline_kernelINS0_14default_configENS1_25partition_config_selectorILNS1_17partition_subalgoE1EsNS0_10empty_typeEbEEZZNS1_14partition_implILS5_1ELb0ES3_jN6thrust23THRUST_200600_302600_NS6detail15normal_iteratorINSA_10device_ptrIsEEEEPS6_NSA_18transform_iteratorI7is_evenIsESF_NSA_11use_defaultESK_EENS0_5tupleIJNSA_16discard_iteratorISK_EESO_EEENSM_IJSG_SG_EEES6_PlJS6_EEE10hipError_tPvRmT3_T4_T5_T6_T7_T9_mT8_P12ihipStream_tbDpT10_ENKUlT_T0_E_clISt17integral_constantIbLb0EES1B_EEDaS16_S17_EUlS16_E_NS1_11comp_targetILNS1_3genE5ELNS1_11target_archE942ELNS1_3gpuE9ELNS1_3repE0EEENS1_30default_config_static_selectorELNS0_4arch9wavefront6targetE1EEEvT1_,"axG",@progbits,_ZN7rocprim17ROCPRIM_400000_NS6detail17trampoline_kernelINS0_14default_configENS1_25partition_config_selectorILNS1_17partition_subalgoE1EsNS0_10empty_typeEbEEZZNS1_14partition_implILS5_1ELb0ES3_jN6thrust23THRUST_200600_302600_NS6detail15normal_iteratorINSA_10device_ptrIsEEEEPS6_NSA_18transform_iteratorI7is_evenIsESF_NSA_11use_defaultESK_EENS0_5tupleIJNSA_16discard_iteratorISK_EESO_EEENSM_IJSG_SG_EEES6_PlJS6_EEE10hipError_tPvRmT3_T4_T5_T6_T7_T9_mT8_P12ihipStream_tbDpT10_ENKUlT_T0_E_clISt17integral_constantIbLb0EES1B_EEDaS16_S17_EUlS16_E_NS1_11comp_targetILNS1_3genE5ELNS1_11target_archE942ELNS1_3gpuE9ELNS1_3repE0EEENS1_30default_config_static_selectorELNS0_4arch9wavefront6targetE1EEEvT1_,comdat
	.protected	_ZN7rocprim17ROCPRIM_400000_NS6detail17trampoline_kernelINS0_14default_configENS1_25partition_config_selectorILNS1_17partition_subalgoE1EsNS0_10empty_typeEbEEZZNS1_14partition_implILS5_1ELb0ES3_jN6thrust23THRUST_200600_302600_NS6detail15normal_iteratorINSA_10device_ptrIsEEEEPS6_NSA_18transform_iteratorI7is_evenIsESF_NSA_11use_defaultESK_EENS0_5tupleIJNSA_16discard_iteratorISK_EESO_EEENSM_IJSG_SG_EEES6_PlJS6_EEE10hipError_tPvRmT3_T4_T5_T6_T7_T9_mT8_P12ihipStream_tbDpT10_ENKUlT_T0_E_clISt17integral_constantIbLb0EES1B_EEDaS16_S17_EUlS16_E_NS1_11comp_targetILNS1_3genE5ELNS1_11target_archE942ELNS1_3gpuE9ELNS1_3repE0EEENS1_30default_config_static_selectorELNS0_4arch9wavefront6targetE1EEEvT1_ ; -- Begin function _ZN7rocprim17ROCPRIM_400000_NS6detail17trampoline_kernelINS0_14default_configENS1_25partition_config_selectorILNS1_17partition_subalgoE1EsNS0_10empty_typeEbEEZZNS1_14partition_implILS5_1ELb0ES3_jN6thrust23THRUST_200600_302600_NS6detail15normal_iteratorINSA_10device_ptrIsEEEEPS6_NSA_18transform_iteratorI7is_evenIsESF_NSA_11use_defaultESK_EENS0_5tupleIJNSA_16discard_iteratorISK_EESO_EEENSM_IJSG_SG_EEES6_PlJS6_EEE10hipError_tPvRmT3_T4_T5_T6_T7_T9_mT8_P12ihipStream_tbDpT10_ENKUlT_T0_E_clISt17integral_constantIbLb0EES1B_EEDaS16_S17_EUlS16_E_NS1_11comp_targetILNS1_3genE5ELNS1_11target_archE942ELNS1_3gpuE9ELNS1_3repE0EEENS1_30default_config_static_selectorELNS0_4arch9wavefront6targetE1EEEvT1_
	.globl	_ZN7rocprim17ROCPRIM_400000_NS6detail17trampoline_kernelINS0_14default_configENS1_25partition_config_selectorILNS1_17partition_subalgoE1EsNS0_10empty_typeEbEEZZNS1_14partition_implILS5_1ELb0ES3_jN6thrust23THRUST_200600_302600_NS6detail15normal_iteratorINSA_10device_ptrIsEEEEPS6_NSA_18transform_iteratorI7is_evenIsESF_NSA_11use_defaultESK_EENS0_5tupleIJNSA_16discard_iteratorISK_EESO_EEENSM_IJSG_SG_EEES6_PlJS6_EEE10hipError_tPvRmT3_T4_T5_T6_T7_T9_mT8_P12ihipStream_tbDpT10_ENKUlT_T0_E_clISt17integral_constantIbLb0EES1B_EEDaS16_S17_EUlS16_E_NS1_11comp_targetILNS1_3genE5ELNS1_11target_archE942ELNS1_3gpuE9ELNS1_3repE0EEENS1_30default_config_static_selectorELNS0_4arch9wavefront6targetE1EEEvT1_
	.p2align	8
	.type	_ZN7rocprim17ROCPRIM_400000_NS6detail17trampoline_kernelINS0_14default_configENS1_25partition_config_selectorILNS1_17partition_subalgoE1EsNS0_10empty_typeEbEEZZNS1_14partition_implILS5_1ELb0ES3_jN6thrust23THRUST_200600_302600_NS6detail15normal_iteratorINSA_10device_ptrIsEEEEPS6_NSA_18transform_iteratorI7is_evenIsESF_NSA_11use_defaultESK_EENS0_5tupleIJNSA_16discard_iteratorISK_EESO_EEENSM_IJSG_SG_EEES6_PlJS6_EEE10hipError_tPvRmT3_T4_T5_T6_T7_T9_mT8_P12ihipStream_tbDpT10_ENKUlT_T0_E_clISt17integral_constantIbLb0EES1B_EEDaS16_S17_EUlS16_E_NS1_11comp_targetILNS1_3genE5ELNS1_11target_archE942ELNS1_3gpuE9ELNS1_3repE0EEENS1_30default_config_static_selectorELNS0_4arch9wavefront6targetE1EEEvT1_,@function
_ZN7rocprim17ROCPRIM_400000_NS6detail17trampoline_kernelINS0_14default_configENS1_25partition_config_selectorILNS1_17partition_subalgoE1EsNS0_10empty_typeEbEEZZNS1_14partition_implILS5_1ELb0ES3_jN6thrust23THRUST_200600_302600_NS6detail15normal_iteratorINSA_10device_ptrIsEEEEPS6_NSA_18transform_iteratorI7is_evenIsESF_NSA_11use_defaultESK_EENS0_5tupleIJNSA_16discard_iteratorISK_EESO_EEENSM_IJSG_SG_EEES6_PlJS6_EEE10hipError_tPvRmT3_T4_T5_T6_T7_T9_mT8_P12ihipStream_tbDpT10_ENKUlT_T0_E_clISt17integral_constantIbLb0EES1B_EEDaS16_S17_EUlS16_E_NS1_11comp_targetILNS1_3genE5ELNS1_11target_archE942ELNS1_3gpuE9ELNS1_3repE0EEENS1_30default_config_static_selectorELNS0_4arch9wavefront6targetE1EEEvT1_: ; @_ZN7rocprim17ROCPRIM_400000_NS6detail17trampoline_kernelINS0_14default_configENS1_25partition_config_selectorILNS1_17partition_subalgoE1EsNS0_10empty_typeEbEEZZNS1_14partition_implILS5_1ELb0ES3_jN6thrust23THRUST_200600_302600_NS6detail15normal_iteratorINSA_10device_ptrIsEEEEPS6_NSA_18transform_iteratorI7is_evenIsESF_NSA_11use_defaultESK_EENS0_5tupleIJNSA_16discard_iteratorISK_EESO_EEENSM_IJSG_SG_EEES6_PlJS6_EEE10hipError_tPvRmT3_T4_T5_T6_T7_T9_mT8_P12ihipStream_tbDpT10_ENKUlT_T0_E_clISt17integral_constantIbLb0EES1B_EEDaS16_S17_EUlS16_E_NS1_11comp_targetILNS1_3genE5ELNS1_11target_archE942ELNS1_3gpuE9ELNS1_3repE0EEENS1_30default_config_static_selectorELNS0_4arch9wavefront6targetE1EEEvT1_
; %bb.0:
	s_load_dword s3, s[0:1], 0x88
	s_load_dwordx2 s[4:5], s[0:1], 0x70
	s_load_dwordx4 s[12:15], s[0:1], 0x8
	s_load_dwordx2 s[6:7], s[0:1], 0x20
	s_load_dwordx4 s[20:23], s[0:1], 0x60
	v_lshlrev_b32_e32 v16, 1, v0
	s_waitcnt lgkmcnt(0)
	v_mov_b32_e32 v3, s5
	s_lshl_b64 s[8:9], s[14:15], 1
	s_add_u32 s16, s12, s8
	s_mul_i32 s5, s3, 0x3800
	s_addc_u32 s17, s13, s9
	s_add_i32 s10, s3, -1
	s_add_i32 s3, s5, s14
	s_sub_i32 s3, s4, s3
	s_addk_i32 s3, 0x3800
	v_mov_b32_e32 v2, s4
	s_add_u32 s4, s14, s5
	s_addc_u32 s5, s15, 0
	s_cmp_eq_u32 s2, s10
	s_load_dwordx2 s[18:19], s[22:23], 0x0
	s_cselect_b64 s[22:23], -1, 0
	s_cmp_lg_u32 s2, s10
	s_mul_i32 s12, s2, 0x3800
	s_mov_b32 s13, 0
	v_cmp_lt_u64_e32 vcc, s[4:5], v[2:3]
	s_cselect_b64 s[4:5], -1, 0
	s_or_b64 s[10:11], s[4:5], vcc
	s_lshl_b64 s[12:13], s[12:13], 1
	s_add_u32 s14, s16, s12
	s_addc_u32 s15, s17, s13
	s_mov_b64 s[4:5], -1
	s_and_b64 vcc, exec, s[10:11]
	s_cbranch_vccz .LBB3356_2
; %bb.1:
	v_mov_b32_e32 v17, 0
	v_lshl_add_u64 v[2:3], s[14:15], 0, v[16:17]
	v_add_co_u32_e32 v4, vcc, 0x1000, v2
	s_mov_b64 s[4:5], 0
	s_nop 0
	v_addc_co_u32_e32 v5, vcc, 0, v3, vcc
	flat_load_ushort v1, v[2:3]
	flat_load_ushort v8, v[2:3] offset:1024
	flat_load_ushort v9, v[2:3] offset:2048
	;; [unrolled: 1-line block ×3, first 2 shown]
	flat_load_ushort v11, v[4:5]
	flat_load_ushort v12, v[4:5] offset:1024
	flat_load_ushort v13, v[4:5] offset:2048
	;; [unrolled: 1-line block ×3, first 2 shown]
	v_add_co_u32_e32 v4, vcc, 0x2000, v2
	s_nop 1
	v_addc_co_u32_e32 v5, vcc, 0, v3, vcc
	v_add_co_u32_e32 v6, vcc, 0x3000, v2
	s_nop 1
	v_addc_co_u32_e32 v7, vcc, 0, v3, vcc
	flat_load_ushort v15, v[4:5]
	flat_load_ushort v17, v[4:5] offset:1024
	flat_load_ushort v18, v[4:5] offset:2048
	;; [unrolled: 1-line block ×3, first 2 shown]
	flat_load_ushort v20, v[6:7]
	flat_load_ushort v21, v[6:7] offset:1024
	flat_load_ushort v22, v[6:7] offset:2048
	;; [unrolled: 1-line block ×3, first 2 shown]
	v_add_co_u32_e32 v4, vcc, 0x4000, v2
	s_nop 1
	v_addc_co_u32_e32 v5, vcc, 0, v3, vcc
	v_add_co_u32_e32 v6, vcc, 0x5000, v2
	s_nop 1
	v_addc_co_u32_e32 v7, vcc, 0, v3, vcc
	v_add_co_u32_e32 v2, vcc, 0x6000, v2
	flat_load_ushort v24, v[4:5]
	flat_load_ushort v25, v[4:5] offset:1024
	flat_load_ushort v26, v[4:5] offset:2048
	;; [unrolled: 1-line block ×3, first 2 shown]
	flat_load_ushort v28, v[6:7]
	flat_load_ushort v29, v[6:7] offset:1024
	flat_load_ushort v30, v[6:7] offset:2048
	;; [unrolled: 1-line block ×3, first 2 shown]
	v_addc_co_u32_e32 v3, vcc, 0, v3, vcc
	flat_load_ushort v4, v[2:3]
	flat_load_ushort v5, v[2:3] offset:1024
	flat_load_ushort v6, v[2:3] offset:2048
	;; [unrolled: 1-line block ×3, first 2 shown]
	s_waitcnt vmcnt(0) lgkmcnt(0)
	ds_write_b16 v16, v1
	ds_write_b16 v16, v8 offset:1024
	ds_write_b16 v16, v9 offset:2048
	;; [unrolled: 1-line block ×27, first 2 shown]
	s_waitcnt lgkmcnt(0)
	s_barrier
.LBB3356_2:
	s_andn2_b64 vcc, exec, s[4:5]
	v_cmp_gt_u32_e64 s[4:5], s3, v0
	s_cbranch_vccnz .LBB3356_60
; %bb.3:
                                        ; implicit-def: $vgpr1
	s_and_saveexec_b64 s[16:17], s[4:5]
	s_cbranch_execz .LBB3356_5
; %bb.4:
	v_mov_b32_e32 v17, 0
	v_lshl_add_u64 v[2:3], s[14:15], 0, v[16:17]
	flat_load_ushort v1, v[2:3]
.LBB3356_5:
	s_or_b64 exec, exec, s[16:17]
	v_or_b32_e32 v2, 0x200, v0
	v_cmp_gt_u32_e32 vcc, s3, v2
                                        ; implicit-def: $vgpr2
	s_and_saveexec_b64 s[4:5], vcc
	s_cbranch_execz .LBB3356_7
; %bb.6:
	v_mov_b32_e32 v17, 0
	v_lshl_add_u64 v[2:3], s[14:15], 0, v[16:17]
	flat_load_ushort v2, v[2:3] offset:1024
.LBB3356_7:
	s_or_b64 exec, exec, s[4:5]
	v_or_b32_e32 v3, 0x400, v0
	v_cmp_gt_u32_e32 vcc, s3, v3
                                        ; implicit-def: $vgpr3
	s_and_saveexec_b64 s[4:5], vcc
	s_cbranch_execz .LBB3356_9
; %bb.8:
	v_mov_b32_e32 v17, 0
	v_lshl_add_u64 v[4:5], s[14:15], 0, v[16:17]
	flat_load_ushort v3, v[4:5] offset:2048
.LBB3356_9:
	s_or_b64 exec, exec, s[4:5]
	v_or_b32_e32 v4, 0x600, v0
	v_cmp_gt_u32_e32 vcc, s3, v4
                                        ; implicit-def: $vgpr4
	s_and_saveexec_b64 s[4:5], vcc
	s_cbranch_execz .LBB3356_11
; %bb.10:
	v_mov_b32_e32 v17, 0
	v_lshl_add_u64 v[4:5], s[14:15], 0, v[16:17]
	flat_load_ushort v4, v[4:5] offset:3072
.LBB3356_11:
	s_or_b64 exec, exec, s[4:5]
	v_or_b32_e32 v6, 0x800, v0
	v_cmp_gt_u32_e32 vcc, s3, v6
                                        ; implicit-def: $vgpr5
	s_and_saveexec_b64 s[4:5], vcc
	s_cbranch_execz .LBB3356_13
; %bb.12:
	v_lshlrev_b32_e32 v6, 1, v6
	v_mov_b32_e32 v7, 0
	v_lshl_add_u64 v[6:7], s[14:15], 0, v[6:7]
	flat_load_ushort v5, v[6:7]
.LBB3356_13:
	s_or_b64 exec, exec, s[4:5]
	v_or_b32_e32 v7, 0xa00, v0
	v_cmp_gt_u32_e32 vcc, s3, v7
                                        ; implicit-def: $vgpr6
	s_and_saveexec_b64 s[4:5], vcc
	s_cbranch_execz .LBB3356_15
; %bb.14:
	v_lshlrev_b32_e32 v6, 1, v7
	v_mov_b32_e32 v7, 0
	v_lshl_add_u64 v[6:7], s[14:15], 0, v[6:7]
	flat_load_ushort v6, v[6:7]
.LBB3356_15:
	s_or_b64 exec, exec, s[4:5]
	v_or_b32_e32 v8, 0xc00, v0
	v_cmp_gt_u32_e32 vcc, s3, v8
                                        ; implicit-def: $vgpr7
	s_and_saveexec_b64 s[4:5], vcc
	s_cbranch_execz .LBB3356_17
; %bb.16:
	v_lshlrev_b32_e32 v8, 1, v8
	v_mov_b32_e32 v9, 0
	v_lshl_add_u64 v[8:9], s[14:15], 0, v[8:9]
	flat_load_ushort v7, v[8:9]
.LBB3356_17:
	s_or_b64 exec, exec, s[4:5]
	v_or_b32_e32 v9, 0xe00, v0
	v_cmp_gt_u32_e32 vcc, s3, v9
                                        ; implicit-def: $vgpr8
	s_and_saveexec_b64 s[4:5], vcc
	s_cbranch_execz .LBB3356_19
; %bb.18:
	v_lshlrev_b32_e32 v8, 1, v9
	v_mov_b32_e32 v9, 0
	v_lshl_add_u64 v[8:9], s[14:15], 0, v[8:9]
	flat_load_ushort v8, v[8:9]
.LBB3356_19:
	s_or_b64 exec, exec, s[4:5]
	v_or_b32_e32 v10, 0x1000, v0
	v_cmp_gt_u32_e32 vcc, s3, v10
                                        ; implicit-def: $vgpr9
	s_and_saveexec_b64 s[4:5], vcc
	s_cbranch_execz .LBB3356_21
; %bb.20:
	v_lshlrev_b32_e32 v10, 1, v10
	v_mov_b32_e32 v11, 0
	v_lshl_add_u64 v[10:11], s[14:15], 0, v[10:11]
	flat_load_ushort v9, v[10:11]
.LBB3356_21:
	s_or_b64 exec, exec, s[4:5]
	v_or_b32_e32 v11, 0x1200, v0
	v_cmp_gt_u32_e32 vcc, s3, v11
                                        ; implicit-def: $vgpr10
	s_and_saveexec_b64 s[4:5], vcc
	s_cbranch_execz .LBB3356_23
; %bb.22:
	v_lshlrev_b32_e32 v10, 1, v11
	v_mov_b32_e32 v11, 0
	v_lshl_add_u64 v[10:11], s[14:15], 0, v[10:11]
	flat_load_ushort v10, v[10:11]
.LBB3356_23:
	s_or_b64 exec, exec, s[4:5]
	v_or_b32_e32 v12, 0x1400, v0
	v_cmp_gt_u32_e32 vcc, s3, v12
                                        ; implicit-def: $vgpr11
	s_and_saveexec_b64 s[4:5], vcc
	s_cbranch_execz .LBB3356_25
; %bb.24:
	v_lshlrev_b32_e32 v12, 1, v12
	v_mov_b32_e32 v13, 0
	v_lshl_add_u64 v[12:13], s[14:15], 0, v[12:13]
	flat_load_ushort v11, v[12:13]
.LBB3356_25:
	s_or_b64 exec, exec, s[4:5]
	v_or_b32_e32 v13, 0x1600, v0
	v_cmp_gt_u32_e32 vcc, s3, v13
                                        ; implicit-def: $vgpr12
	s_and_saveexec_b64 s[4:5], vcc
	s_cbranch_execz .LBB3356_27
; %bb.26:
	v_lshlrev_b32_e32 v12, 1, v13
	v_mov_b32_e32 v13, 0
	v_lshl_add_u64 v[12:13], s[14:15], 0, v[12:13]
	flat_load_ushort v12, v[12:13]
.LBB3356_27:
	s_or_b64 exec, exec, s[4:5]
	v_or_b32_e32 v14, 0x1800, v0
	v_cmp_gt_u32_e32 vcc, s3, v14
                                        ; implicit-def: $vgpr13
	s_and_saveexec_b64 s[4:5], vcc
	s_cbranch_execz .LBB3356_29
; %bb.28:
	v_lshlrev_b32_e32 v14, 1, v14
	v_mov_b32_e32 v15, 0
	v_lshl_add_u64 v[14:15], s[14:15], 0, v[14:15]
	flat_load_ushort v13, v[14:15]
.LBB3356_29:
	s_or_b64 exec, exec, s[4:5]
	v_or_b32_e32 v15, 0x1a00, v0
	v_cmp_gt_u32_e32 vcc, s3, v15
                                        ; implicit-def: $vgpr14
	s_and_saveexec_b64 s[4:5], vcc
	s_cbranch_execz .LBB3356_31
; %bb.30:
	v_lshlrev_b32_e32 v14, 1, v15
	v_mov_b32_e32 v15, 0
	v_lshl_add_u64 v[14:15], s[14:15], 0, v[14:15]
	flat_load_ushort v14, v[14:15]
.LBB3356_31:
	s_or_b64 exec, exec, s[4:5]
	v_or_b32_e32 v17, 0x1c00, v0
	v_cmp_gt_u32_e32 vcc, s3, v17
                                        ; implicit-def: $vgpr15
	s_and_saveexec_b64 s[4:5], vcc
	s_cbranch_execz .LBB3356_33
; %bb.32:
	v_lshlrev_b32_e32 v18, 1, v17
	v_mov_b32_e32 v19, 0
	v_lshl_add_u64 v[18:19], s[14:15], 0, v[18:19]
	flat_load_ushort v15, v[18:19]
.LBB3356_33:
	s_or_b64 exec, exec, s[4:5]
	v_or_b32_e32 v18, 0x1e00, v0
	v_cmp_gt_u32_e32 vcc, s3, v18
                                        ; implicit-def: $vgpr17
	s_and_saveexec_b64 s[4:5], vcc
	s_cbranch_execz .LBB3356_35
; %bb.34:
	v_lshlrev_b32_e32 v18, 1, v18
	v_mov_b32_e32 v19, 0
	v_lshl_add_u64 v[18:19], s[14:15], 0, v[18:19]
	flat_load_ushort v17, v[18:19]
.LBB3356_35:
	s_or_b64 exec, exec, s[4:5]
	v_or_b32_e32 v19, 0x2000, v0
	v_cmp_gt_u32_e32 vcc, s3, v19
                                        ; implicit-def: $vgpr18
	s_and_saveexec_b64 s[4:5], vcc
	s_cbranch_execz .LBB3356_37
; %bb.36:
	v_lshlrev_b32_e32 v18, 1, v19
	v_mov_b32_e32 v19, 0
	v_lshl_add_u64 v[18:19], s[14:15], 0, v[18:19]
	flat_load_ushort v18, v[18:19]
.LBB3356_37:
	s_or_b64 exec, exec, s[4:5]
	v_or_b32_e32 v20, 0x2200, v0
	v_cmp_gt_u32_e32 vcc, s3, v20
                                        ; implicit-def: $vgpr19
	s_and_saveexec_b64 s[4:5], vcc
	s_cbranch_execz .LBB3356_39
; %bb.38:
	v_lshlrev_b32_e32 v20, 1, v20
	v_mov_b32_e32 v21, 0
	v_lshl_add_u64 v[20:21], s[14:15], 0, v[20:21]
	flat_load_ushort v19, v[20:21]
.LBB3356_39:
	s_or_b64 exec, exec, s[4:5]
	v_or_b32_e32 v21, 0x2400, v0
	v_cmp_gt_u32_e32 vcc, s3, v21
                                        ; implicit-def: $vgpr20
	s_and_saveexec_b64 s[4:5], vcc
	s_cbranch_execz .LBB3356_41
; %bb.40:
	v_lshlrev_b32_e32 v20, 1, v21
	v_mov_b32_e32 v21, 0
	v_lshl_add_u64 v[20:21], s[14:15], 0, v[20:21]
	flat_load_ushort v20, v[20:21]
.LBB3356_41:
	s_or_b64 exec, exec, s[4:5]
	v_or_b32_e32 v22, 0x2600, v0
	v_cmp_gt_u32_e32 vcc, s3, v22
                                        ; implicit-def: $vgpr21
	s_and_saveexec_b64 s[4:5], vcc
	s_cbranch_execz .LBB3356_43
; %bb.42:
	v_lshlrev_b32_e32 v22, 1, v22
	v_mov_b32_e32 v23, 0
	v_lshl_add_u64 v[22:23], s[14:15], 0, v[22:23]
	flat_load_ushort v21, v[22:23]
.LBB3356_43:
	s_or_b64 exec, exec, s[4:5]
	v_or_b32_e32 v23, 0x2800, v0
	v_cmp_gt_u32_e32 vcc, s3, v23
                                        ; implicit-def: $vgpr22
	s_and_saveexec_b64 s[4:5], vcc
	s_cbranch_execz .LBB3356_45
; %bb.44:
	v_lshlrev_b32_e32 v22, 1, v23
	v_mov_b32_e32 v23, 0
	v_lshl_add_u64 v[22:23], s[14:15], 0, v[22:23]
	flat_load_ushort v22, v[22:23]
.LBB3356_45:
	s_or_b64 exec, exec, s[4:5]
	v_or_b32_e32 v24, 0x2a00, v0
	v_cmp_gt_u32_e32 vcc, s3, v24
                                        ; implicit-def: $vgpr23
	s_and_saveexec_b64 s[4:5], vcc
	s_cbranch_execz .LBB3356_47
; %bb.46:
	v_lshlrev_b32_e32 v24, 1, v24
	v_mov_b32_e32 v25, 0
	v_lshl_add_u64 v[24:25], s[14:15], 0, v[24:25]
	flat_load_ushort v23, v[24:25]
.LBB3356_47:
	s_or_b64 exec, exec, s[4:5]
	v_or_b32_e32 v25, 0x2c00, v0
	v_cmp_gt_u32_e32 vcc, s3, v25
                                        ; implicit-def: $vgpr24
	s_and_saveexec_b64 s[4:5], vcc
	s_cbranch_execz .LBB3356_49
; %bb.48:
	v_lshlrev_b32_e32 v24, 1, v25
	v_mov_b32_e32 v25, 0
	v_lshl_add_u64 v[24:25], s[14:15], 0, v[24:25]
	flat_load_ushort v24, v[24:25]
.LBB3356_49:
	s_or_b64 exec, exec, s[4:5]
	v_or_b32_e32 v26, 0x2e00, v0
	v_cmp_gt_u32_e32 vcc, s3, v26
                                        ; implicit-def: $vgpr25
	s_and_saveexec_b64 s[4:5], vcc
	s_cbranch_execz .LBB3356_51
; %bb.50:
	v_lshlrev_b32_e32 v26, 1, v26
	v_mov_b32_e32 v27, 0
	v_lshl_add_u64 v[26:27], s[14:15], 0, v[26:27]
	flat_load_ushort v25, v[26:27]
.LBB3356_51:
	s_or_b64 exec, exec, s[4:5]
	v_or_b32_e32 v27, 0x3000, v0
	v_cmp_gt_u32_e32 vcc, s3, v27
                                        ; implicit-def: $vgpr26
	s_and_saveexec_b64 s[4:5], vcc
	s_cbranch_execz .LBB3356_53
; %bb.52:
	v_lshlrev_b32_e32 v26, 1, v27
	v_mov_b32_e32 v27, 0
	v_lshl_add_u64 v[26:27], s[14:15], 0, v[26:27]
	flat_load_ushort v26, v[26:27]
.LBB3356_53:
	s_or_b64 exec, exec, s[4:5]
	v_or_b32_e32 v28, 0x3200, v0
	v_cmp_gt_u32_e32 vcc, s3, v28
                                        ; implicit-def: $vgpr27
	s_and_saveexec_b64 s[4:5], vcc
	s_cbranch_execz .LBB3356_55
; %bb.54:
	v_lshlrev_b32_e32 v28, 1, v28
	v_mov_b32_e32 v29, 0
	v_lshl_add_u64 v[28:29], s[14:15], 0, v[28:29]
	flat_load_ushort v27, v[28:29]
.LBB3356_55:
	s_or_b64 exec, exec, s[4:5]
	v_or_b32_e32 v29, 0x3400, v0
	v_cmp_gt_u32_e32 vcc, s3, v29
                                        ; implicit-def: $vgpr28
	s_and_saveexec_b64 s[4:5], vcc
	s_cbranch_execz .LBB3356_57
; %bb.56:
	v_lshlrev_b32_e32 v28, 1, v29
	v_mov_b32_e32 v29, 0
	v_lshl_add_u64 v[28:29], s[14:15], 0, v[28:29]
	flat_load_ushort v28, v[28:29]
.LBB3356_57:
	s_or_b64 exec, exec, s[4:5]
	v_or_b32_e32 v30, 0x3600, v0
	v_cmp_gt_u32_e32 vcc, s3, v30
                                        ; implicit-def: $vgpr29
	s_and_saveexec_b64 s[4:5], vcc
	s_cbranch_execz .LBB3356_59
; %bb.58:
	v_lshlrev_b32_e32 v30, 1, v30
	v_mov_b32_e32 v31, 0
	v_lshl_add_u64 v[30:31], s[14:15], 0, v[30:31]
	flat_load_ushort v29, v[30:31]
.LBB3356_59:
	s_or_b64 exec, exec, s[4:5]
	s_waitcnt vmcnt(0) lgkmcnt(0)
	ds_write_b16 v16, v1
	ds_write_b16 v16, v2 offset:1024
	ds_write_b16 v16, v3 offset:2048
	;; [unrolled: 1-line block ×27, first 2 shown]
	s_waitcnt lgkmcnt(0)
	s_barrier
.LBB3356_60:
	v_mul_u32_u24_e32 v1, 28, v0
	v_lshlrev_b32_e32 v6, 1, v1
	s_waitcnt lgkmcnt(0)
	ds_read_b64 v[14:15], v6 offset:48
	ds_read2_b64 v[2:5], v6 offset0:4 offset1:5
	ds_read2_b64 v[10:13], v6 offset1:1
	ds_read2_b64 v[6:9], v6 offset0:2 offset1:3
	s_add_u32 s4, s6, s8
	s_addc_u32 s5, s7, s9
	s_add_u32 s4, s4, s12
	s_addc_u32 s5, s5, s13
	s_mov_b64 s[6:7], -1
	s_and_b64 vcc, exec, s[10:11]
	s_waitcnt lgkmcnt(0)
	s_barrier
	s_cbranch_vccz .LBB3356_62
; %bb.61:
	v_mov_b32_e32 v17, 0
	v_lshl_add_u64 v[18:19], s[4:5], 0, v[16:17]
	s_movk_i32 s6, 0x1000
	v_add_co_u32_e32 v20, vcc, s6, v18
	s_movk_i32 s6, 0x2000
	s_nop 0
	v_addc_co_u32_e32 v21, vcc, 0, v19, vcc
	v_add_co_u32_e32 v22, vcc, s6, v18
	s_movk_i32 s7, 0x4000
	s_nop 0
	v_addc_co_u32_e32 v23, vcc, 0, v19, vcc
	global_load_ubyte v17, v16, s[4:5]
	global_load_ubyte v24, v16, s[4:5] offset:1024
	global_load_ubyte v25, v16, s[4:5] offset:2048
	;; [unrolled: 1-line block ×3, first 2 shown]
	global_load_ubyte v27, v[20:21], off offset:1024
	global_load_ubyte v28, v[20:21], off offset:2048
	;; [unrolled: 1-line block ×3, first 2 shown]
	global_load_ubyte v30, v[22:23], off offset:-4096
	global_load_ubyte v31, v[22:23], off
	global_load_ubyte v32, v[22:23], off offset:1024
	v_add_co_u32_e32 v20, vcc, s7, v18
	s_movk_i32 s6, 0x3000
	s_nop 0
	v_addc_co_u32_e32 v21, vcc, 0, v19, vcc
	global_load_ubyte v33, v[22:23], off offset:2048
	global_load_ubyte v34, v[22:23], off offset:3072
	global_load_ubyte v35, v[20:21], off offset:-4096
	v_add_co_u32_e32 v22, vcc, s6, v18
	s_movk_i32 s7, 0x6000
	s_nop 0
	v_addc_co_u32_e32 v23, vcc, 0, v19, vcc
	global_load_ubyte v36, v[22:23], off offset:1024
	global_load_ubyte v37, v[22:23], off offset:2048
	;; [unrolled: 1-line block ×3, first 2 shown]
	global_load_ubyte v39, v[20:21], off
	v_add_co_u32_e32 v22, vcc, s7, v18
	s_movk_i32 s6, 0x5000
	s_nop 0
	v_addc_co_u32_e32 v23, vcc, 0, v19, vcc
	v_add_co_u32_e32 v18, vcc, s6, v18
	global_load_ubyte v40, v[20:21], off offset:1024
	global_load_ubyte v41, v[20:21], off offset:2048
	;; [unrolled: 1-line block ×3, first 2 shown]
	global_load_ubyte v43, v[22:23], off offset:-4096
	v_addc_co_u32_e32 v19, vcc, 0, v19, vcc
	global_load_ubyte v20, v[18:19], off offset:1024
	global_load_ubyte v21, v[18:19], off offset:2048
	;; [unrolled: 1-line block ×3, first 2 shown]
	global_load_ubyte v45, v[22:23], off
	global_load_ubyte v46, v[22:23], off offset:1024
	global_load_ubyte v47, v[22:23], off offset:2048
	;; [unrolled: 1-line block ×3, first 2 shown]
	s_mov_b64 s[6:7], 0
	s_waitcnt vmcnt(23)
	v_xor_b32_e32 v23, -1, v27
	v_xor_b32_e32 v17, -1, v17
	v_xor_b32_e32 v18, -1, v24
	v_xor_b32_e32 v19, -1, v25
	v_xor_b32_e32 v22, -1, v26
	v_and_b32_e32 v17, 1, v17
	s_waitcnt vmcnt(22)
	v_xor_b32_e32 v24, -1, v28
	s_waitcnt vmcnt(21)
	v_xor_b32_e32 v25, -1, v29
	;; [unrolled: 2-line block ×12, first 2 shown]
	v_and_b32_e32 v18, 1, v18
	v_and_b32_e32 v19, 1, v19
	;; [unrolled: 1-line block ×4, first 2 shown]
	s_waitcnt vmcnt(10)
	v_xor_b32_e32 v36, -1, v40
	s_waitcnt vmcnt(9)
	v_xor_b32_e32 v37, -1, v41
	;; [unrolled: 2-line block ×11, first 2 shown]
	v_and_b32_e32 v24, 1, v24
	v_and_b32_e32 v25, 1, v25
	;; [unrolled: 1-line block ×23, first 2 shown]
	ds_write_b8 v0, v17
	ds_write_b8 v0, v18 offset:512
	ds_write_b8 v0, v19 offset:1024
	;; [unrolled: 1-line block ×27, first 2 shown]
	s_waitcnt lgkmcnt(0)
	s_barrier
.LBB3356_62:
	s_load_dwordx2 s[24:25], s[0:1], 0x80
	s_andn2_b64 vcc, exec, s[6:7]
	s_cbranch_vccnz .LBB3356_120
; %bb.63:
	v_cmp_gt_u32_e32 vcc, s3, v0
	v_mov_b32_e32 v17, 0
	v_mov_b32_e32 v18, 0
	s_and_saveexec_b64 s[0:1], vcc
	s_cbranch_execz .LBB3356_65
; %bb.64:
	global_load_ubyte v18, v16, s[4:5]
	s_waitcnt vmcnt(0)
	v_xor_b32_e32 v18, -1, v18
	v_and_b32_e32 v18, 1, v18
.LBB3356_65:
	s_or_b64 exec, exec, s[0:1]
	v_or_b32_e32 v19, 0x200, v0
	v_cmp_gt_u32_e32 vcc, s3, v19
	s_and_saveexec_b64 s[0:1], vcc
	s_cbranch_execz .LBB3356_67
; %bb.66:
	global_load_ubyte v17, v16, s[4:5] offset:1024
	s_waitcnt vmcnt(0)
	v_xor_b32_e32 v17, -1, v17
	v_and_b32_e32 v17, 1, v17
.LBB3356_67:
	s_or_b64 exec, exec, s[0:1]
	v_or_b32_e32 v19, 0x400, v0
	v_cmp_gt_u32_e32 vcc, s3, v19
	v_mov_b32_e32 v19, 0
	v_mov_b32_e32 v20, 0
	s_and_saveexec_b64 s[0:1], vcc
	s_cbranch_execz .LBB3356_69
; %bb.68:
	global_load_ubyte v20, v16, s[4:5] offset:2048
	s_waitcnt vmcnt(0)
	v_xor_b32_e32 v20, -1, v20
	v_and_b32_e32 v20, 1, v20
.LBB3356_69:
	s_or_b64 exec, exec, s[0:1]
	v_or_b32_e32 v21, 0x600, v0
	v_cmp_gt_u32_e32 vcc, s3, v21
	s_and_saveexec_b64 s[0:1], vcc
	s_cbranch_execz .LBB3356_71
; %bb.70:
	global_load_ubyte v16, v16, s[4:5] offset:3072
	s_waitcnt vmcnt(0)
	v_xor_b32_e32 v16, -1, v16
	v_and_b32_e32 v19, 1, v16
.LBB3356_71:
	s_or_b64 exec, exec, s[0:1]
	v_or_b32_e32 v22, 0x800, v0
	v_cmp_gt_u32_e32 vcc, s3, v22
	v_mov_b32_e32 v16, 0
	v_mov_b32_e32 v21, 0
	s_and_saveexec_b64 s[0:1], vcc
	s_cbranch_execz .LBB3356_73
; %bb.72:
	v_lshlrev_b32_e32 v21, 1, v22
	global_load_ubyte v21, v21, s[4:5]
	s_waitcnt vmcnt(0)
	v_xor_b32_e32 v21, -1, v21
	v_and_b32_e32 v21, 1, v21
.LBB3356_73:
	s_or_b64 exec, exec, s[0:1]
	v_or_b32_e32 v22, 0xa00, v0
	v_cmp_gt_u32_e32 vcc, s3, v22
	s_and_saveexec_b64 s[0:1], vcc
	s_cbranch_execz .LBB3356_75
; %bb.74:
	v_lshlrev_b32_e32 v16, 1, v22
	global_load_ubyte v16, v16, s[4:5]
	s_waitcnt vmcnt(0)
	v_xor_b32_e32 v16, -1, v16
	v_and_b32_e32 v16, 1, v16
.LBB3356_75:
	s_or_b64 exec, exec, s[0:1]
	v_or_b32_e32 v24, 0xc00, v0
	v_cmp_gt_u32_e32 vcc, s3, v24
	v_mov_b32_e32 v22, 0
	v_mov_b32_e32 v23, 0
	s_and_saveexec_b64 s[0:1], vcc
	s_cbranch_execz .LBB3356_77
; %bb.76:
	v_lshlrev_b32_e32 v23, 1, v24
	global_load_ubyte v23, v23, s[4:5]
	s_waitcnt vmcnt(0)
	v_xor_b32_e32 v23, -1, v23
	v_and_b32_e32 v23, 1, v23
.LBB3356_77:
	s_or_b64 exec, exec, s[0:1]
	v_or_b32_e32 v24, 0xe00, v0
	v_cmp_gt_u32_e32 vcc, s3, v24
	s_and_saveexec_b64 s[0:1], vcc
	s_cbranch_execz .LBB3356_79
; %bb.78:
	v_lshlrev_b32_e32 v22, 1, v24
	global_load_ubyte v22, v22, s[4:5]
	s_waitcnt vmcnt(0)
	v_xor_b32_e32 v22, -1, v22
	v_and_b32_e32 v22, 1, v22
.LBB3356_79:
	;; [unrolled: 26-line block ×12, first 2 shown]
	s_or_b64 exec, exec, s[0:1]
	ds_write_b8 v0, v18
	ds_write_b8 v0, v17 offset:512
	ds_write_b8 v0, v20 offset:1024
	;; [unrolled: 1-line block ×27, first 2 shown]
	s_waitcnt lgkmcnt(0)
	s_barrier
.LBB3356_120:
	s_waitcnt lgkmcnt(0)
	ds_read2_b32 v[20:21], v1 offset1:1
	ds_read2_b32 v[18:19], v1 offset0:2 offset1:3
	ds_read2_b32 v[16:17], v1 offset0:4 offset1:5
	ds_read_b32 v33, v1 offset:24
	s_cmp_lg_u32 s2, 0
	v_lshrrev_b32_e32 v60, 6, v0
	s_waitcnt lgkmcnt(2)
	v_and_b32_e32 v52, 0xff, v18
	v_lshrrev_b32_e32 v40, 24, v20
	v_bfe_u32 v58, v20, 16, 8
	v_add_u32_sdwa v22, v20, v20 dst_sel:DWORD dst_unused:UNUSED_PAD src0_sel:BYTE_1 src1_sel:BYTE_0
	v_and_b32_e32 v55, 0xff, v21
	v_bfe_u32 v56, v21, 8, 8
	v_add3_u32 v22, v22, v58, v40
	v_lshrrev_b32_e32 v39, 24, v21
	v_bfe_u32 v57, v21, 16, 8
	v_add3_u32 v22, v22, v55, v56
	v_bfe_u32 v53, v18, 8, 8
	v_add3_u32 v22, v22, v57, v39
	v_lshrrev_b32_e32 v38, 24, v18
	v_bfe_u32 v54, v18, 16, 8
	v_add3_u32 v22, v22, v52, v53
	v_and_b32_e32 v49, 0xff, v19
	v_bfe_u32 v50, v19, 8, 8
	v_add3_u32 v22, v22, v54, v38
	v_lshrrev_b32_e32 v37, 24, v19
	v_bfe_u32 v51, v19, 16, 8
	v_add3_u32 v22, v22, v49, v50
	s_waitcnt lgkmcnt(1)
	v_and_b32_e32 v46, 0xff, v16
	v_bfe_u32 v47, v16, 8, 8
	v_add3_u32 v22, v22, v51, v37
	v_lshrrev_b32_e32 v36, 24, v16
	v_bfe_u32 v48, v16, 16, 8
	v_add3_u32 v22, v22, v46, v47
	v_and_b32_e32 v43, 0xff, v17
	v_bfe_u32 v44, v17, 8, 8
	v_add3_u32 v22, v22, v48, v36
	v_lshrrev_b32_e32 v35, 24, v17
	v_bfe_u32 v45, v17, 16, 8
	v_add3_u32 v22, v22, v43, v44
	s_waitcnt lgkmcnt(0)
	v_and_b32_e32 v41, 0xff, v33
	v_bfe_u32 v42, v33, 8, 8
	v_add3_u32 v22, v22, v45, v35
	v_lshrrev_b32_e32 v32, 24, v33
	v_bfe_u32 v34, v33, 16, 8
	v_add3_u32 v22, v22, v41, v42
	v_add3_u32 v61, v22, v34, v32
	v_mbcnt_lo_u32_b32 v22, -1, 0
	v_mbcnt_hi_u32_b32 v59, -1, v22
	v_and_b32_e32 v22, 15, v59
	v_cmp_eq_u32_e64 s[12:13], 0, v22
	v_cmp_lt_u32_e64 s[10:11], 1, v22
	v_cmp_lt_u32_e64 s[8:9], 3, v22
	;; [unrolled: 1-line block ×3, first 2 shown]
	v_and_b32_e32 v22, 16, v59
	v_cmp_eq_u32_e64 s[4:5], 0, v22
	v_or_b32_e32 v22, 63, v0
	v_cmp_lt_u32_e64 s[0:1], 31, v59
	v_cmp_eq_u32_e64 s[16:17], v22, v0
	s_barrier
	s_cbranch_scc0 .LBB3356_147
; %bb.121:
	v_mov_b32_dpp v22, v61 row_shr:1 row_mask:0xf bank_mask:0xf
	v_cndmask_b32_e64 v22, v22, 0, s[12:13]
	v_add_u32_e32 v22, v22, v61
	s_nop 1
	v_mov_b32_dpp v23, v22 row_shr:2 row_mask:0xf bank_mask:0xf
	v_cndmask_b32_e64 v23, 0, v23, s[10:11]
	v_add_u32_e32 v22, v22, v23
	s_nop 1
	;; [unrolled: 4-line block ×4, first 2 shown]
	v_mov_b32_dpp v23, v22 row_bcast:15 row_mask:0xf bank_mask:0xf
	v_cndmask_b32_e64 v23, v23, 0, s[4:5]
	v_add_u32_e32 v22, v22, v23
	s_nop 1
	v_mov_b32_dpp v23, v22 row_bcast:31 row_mask:0xf bank_mask:0xf
	v_cndmask_b32_e64 v23, 0, v23, s[0:1]
	v_add_u32_e32 v22, v22, v23
	s_and_saveexec_b64 s[14:15], s[16:17]
	s_cbranch_execz .LBB3356_123
; %bb.122:
	v_lshlrev_b32_e32 v23, 2, v60
	ds_write_b32 v23, v22
.LBB3356_123:
	s_or_b64 exec, exec, s[14:15]
	v_cmp_gt_u32_e32 vcc, 8, v0
	s_waitcnt lgkmcnt(0)
	s_barrier
	s_and_saveexec_b64 s[14:15], vcc
	s_cbranch_execz .LBB3356_125
; %bb.124:
	v_lshlrev_b32_e32 v23, 2, v0
	ds_read_b32 v24, v23
	v_and_b32_e32 v25, 7, v59
	v_cmp_ne_u32_e32 vcc, 0, v25
	s_waitcnt lgkmcnt(0)
	v_mov_b32_dpp v26, v24 row_shr:1 row_mask:0xf bank_mask:0xf
	v_cndmask_b32_e32 v26, 0, v26, vcc
	v_add_u32_e32 v24, v26, v24
	v_cmp_lt_u32_e32 vcc, 1, v25
	s_nop 0
	v_mov_b32_dpp v26, v24 row_shr:2 row_mask:0xf bank_mask:0xf
	v_cndmask_b32_e32 v26, 0, v26, vcc
	v_add_u32_e32 v24, v24, v26
	v_cmp_lt_u32_e32 vcc, 3, v25
	s_nop 0
	v_mov_b32_dpp v26, v24 row_shr:4 row_mask:0xf bank_mask:0xf
	v_cndmask_b32_e32 v25, 0, v26, vcc
	v_add_u32_e32 v24, v24, v25
	ds_write_b32 v23, v24
.LBB3356_125:
	s_or_b64 exec, exec, s[14:15]
	v_cmp_gt_u32_e32 vcc, 64, v0
	v_cmp_lt_u32_e64 s[14:15], 63, v0
	s_waitcnt lgkmcnt(0)
	s_barrier
	s_waitcnt lgkmcnt(0)
                                        ; implicit-def: $vgpr62
	s_and_saveexec_b64 s[26:27], s[14:15]
	s_cbranch_execz .LBB3356_127
; %bb.126:
	v_lshl_add_u32 v23, v60, 2, -4
	ds_read_b32 v62, v23
	s_waitcnt lgkmcnt(0)
	v_add_u32_e32 v22, v62, v22
.LBB3356_127:
	s_or_b64 exec, exec, s[26:27]
	v_add_u32_e32 v23, -1, v59
	v_and_b32_e32 v24, 64, v59
	v_cmp_lt_i32_e64 s[14:15], v23, v24
	s_nop 1
	v_cndmask_b32_e64 v23, v23, v59, s[14:15]
	v_lshlrev_b32_e32 v23, 2, v23
	ds_bpermute_b32 v63, v23, v22
	v_cmp_eq_u32_e64 s[14:15], 0, v59
	s_and_saveexec_b64 s[26:27], vcc
	s_cbranch_execz .LBB3356_146
; %bb.128:
	v_mov_b32_e32 v29, 0
	ds_read_b32 v22, v29 offset:28
	s_and_saveexec_b64 s[28:29], s[14:15]
	s_cbranch_execz .LBB3356_130
; %bb.129:
	s_add_i32 s30, s2, 64
	s_mov_b32 s31, 0
	s_lshl_b64 s[30:31], s[30:31], 3
	s_add_u32 s30, s24, s30
	v_mov_b32_e32 v23, 1
	s_addc_u32 s31, s25, s31
	s_waitcnt lgkmcnt(0)
	global_store_dwordx2 v29, v[22:23], s[30:31] sc1
.LBB3356_130:
	s_or_b64 exec, exec, s[28:29]
	v_xad_u32 v24, v59, -1, s2
	v_add_u32_e32 v28, 64, v24
	v_lshl_add_u64 v[30:31], v[28:29], 3, s[24:25]
	global_load_dwordx2 v[26:27], v[30:31], off sc1
	s_waitcnt vmcnt(0)
	v_cmp_eq_u16_sdwa s[30:31], v27, v29 src0_sel:BYTE_0 src1_sel:DWORD
	s_and_saveexec_b64 s[28:29], s[30:31]
	s_cbranch_execz .LBB3356_134
; %bb.131:
	s_mov_b64 s[30:31], 0
	v_mov_b32_e32 v23, 0
.LBB3356_132:                           ; =>This Inner Loop Header: Depth=1
	global_load_dwordx2 v[26:27], v[30:31], off sc1
	s_waitcnt vmcnt(0)
	v_cmp_ne_u16_sdwa s[34:35], v27, v23 src0_sel:BYTE_0 src1_sel:DWORD
	s_or_b64 s[30:31], s[34:35], s[30:31]
	s_andn2_b64 exec, exec, s[30:31]
	s_cbranch_execnz .LBB3356_132
; %bb.133:
	s_or_b64 exec, exec, s[30:31]
.LBB3356_134:
	s_or_b64 exec, exec, s[28:29]
	v_and_b32_e32 v65, 63, v59
	v_mov_b32_e32 v64, 2
	v_cmp_ne_u32_e32 vcc, 63, v65
	v_cmp_eq_u16_sdwa s[28:29], v27, v64 src0_sel:BYTE_0 src1_sel:DWORD
	v_lshlrev_b64 v[28:29], v59, -1
	v_addc_co_u32_e32 v30, vcc, 0, v59, vcc
	v_and_b32_e32 v23, s29, v29
	v_lshlrev_b32_e32 v66, 2, v30
	v_or_b32_e32 v23, 0x80000000, v23
	ds_bpermute_b32 v30, v66, v26
	v_and_b32_e32 v25, s28, v28
	v_ffbl_b32_e32 v23, v23
	v_add_u32_e32 v23, 32, v23
	v_ffbl_b32_e32 v25, v25
	v_min_u32_e32 v23, v25, v23
	v_cmp_lt_u32_e32 vcc, v65, v23
	v_add_u32_e32 v68, 2, v65
	v_add_u32_e32 v70, 4, v65
	s_waitcnt lgkmcnt(0)
	v_cndmask_b32_e32 v25, 0, v30, vcc
	v_cmp_gt_u32_e32 vcc, 62, v65
	v_add_u32_e32 v25, v25, v26
	v_add_u32_e32 v72, 8, v65
	v_cndmask_b32_e64 v26, 0, 1, vcc
	v_lshlrev_b32_e32 v26, 1, v26
	v_add_lshl_u32 v67, v26, v59, 2
	ds_bpermute_b32 v26, v67, v25
	v_cmp_le_u32_e32 vcc, v68, v23
	v_add_u32_e32 v74, 16, v65
	v_add_u32_e32 v76, 32, v65
	s_waitcnt lgkmcnt(0)
	v_cndmask_b32_e32 v26, 0, v26, vcc
	v_cmp_gt_u32_e32 vcc, 60, v65
	v_add_u32_e32 v25, v25, v26
	s_nop 0
	v_cndmask_b32_e64 v26, 0, 1, vcc
	v_lshlrev_b32_e32 v26, 2, v26
	v_add_lshl_u32 v69, v26, v59, 2
	ds_bpermute_b32 v26, v69, v25
	v_cmp_le_u32_e32 vcc, v70, v23
	s_waitcnt lgkmcnt(0)
	s_nop 0
	v_cndmask_b32_e32 v26, 0, v26, vcc
	v_cmp_gt_u32_e32 vcc, 56, v65
	v_add_u32_e32 v25, v25, v26
	s_nop 0
	v_cndmask_b32_e64 v26, 0, 1, vcc
	v_lshlrev_b32_e32 v26, 3, v26
	v_add_lshl_u32 v71, v26, v59, 2
	ds_bpermute_b32 v26, v71, v25
	v_cmp_le_u32_e32 vcc, v72, v23
	s_waitcnt lgkmcnt(0)
	s_nop 0
	;; [unrolled: 11-line block ×4, first 2 shown]
	v_cndmask_b32_e32 v23, 0, v26, vcc
	v_add_u32_e32 v26, v25, v23
	v_mov_b32_e32 v25, 0
	s_branch .LBB3356_136
.LBB3356_135:                           ;   in Loop: Header=BB3356_136 Depth=1
	s_or_b64 exec, exec, s[28:29]
	v_cmp_eq_u16_sdwa s[28:29], v27, v64 src0_sel:BYTE_0 src1_sel:DWORD
	ds_bpermute_b32 v77, v66, v26
	v_subrev_u32_e32 v24, 64, v24
	v_and_b32_e32 v30, s29, v29
	v_or_b32_e32 v30, 0x80000000, v30
	v_and_b32_e32 v31, s28, v28
	v_ffbl_b32_e32 v30, v30
	v_add_u32_e32 v30, 32, v30
	v_ffbl_b32_e32 v31, v31
	v_min_u32_e32 v30, v31, v30
	v_cmp_lt_u32_e32 vcc, v65, v30
	s_waitcnt lgkmcnt(0)
	s_nop 0
	v_cndmask_b32_e32 v31, 0, v77, vcc
	v_add_u32_e32 v26, v31, v26
	ds_bpermute_b32 v31, v67, v26
	v_cmp_le_u32_e32 vcc, v68, v30
	s_waitcnt lgkmcnt(0)
	s_nop 0
	v_cndmask_b32_e32 v31, 0, v31, vcc
	v_add_u32_e32 v26, v26, v31
	ds_bpermute_b32 v31, v69, v26
	v_cmp_le_u32_e32 vcc, v70, v30
	;; [unrolled: 6-line block ×5, first 2 shown]
	s_waitcnt lgkmcnt(0)
	s_nop 0
	v_cndmask_b32_e32 v30, 0, v31, vcc
	v_add3_u32 v26, v30, v23, v26
.LBB3356_136:                           ; =>This Loop Header: Depth=1
                                        ;     Child Loop BB3356_139 Depth 2
	v_cmp_ne_u16_sdwa s[28:29], v27, v64 src0_sel:BYTE_0 src1_sel:DWORD
	s_nop 1
	v_cndmask_b32_e64 v23, 0, 1, s[28:29]
	;;#ASMSTART
	;;#ASMEND
	s_nop 0
	v_cmp_ne_u32_e32 vcc, 0, v23
	s_cmp_lg_u64 vcc, exec
	v_mov_b32_e32 v23, v26
	s_cbranch_scc1 .LBB3356_141
; %bb.137:                              ;   in Loop: Header=BB3356_136 Depth=1
	v_lshl_add_u64 v[30:31], v[24:25], 3, s[24:25]
	global_load_dwordx2 v[26:27], v[30:31], off sc1
	s_waitcnt vmcnt(0)
	v_cmp_eq_u16_sdwa s[30:31], v27, v25 src0_sel:BYTE_0 src1_sel:DWORD
	s_and_saveexec_b64 s[28:29], s[30:31]
	s_cbranch_execz .LBB3356_135
; %bb.138:                              ;   in Loop: Header=BB3356_136 Depth=1
	s_mov_b64 s[30:31], 0
.LBB3356_139:                           ;   Parent Loop BB3356_136 Depth=1
                                        ; =>  This Inner Loop Header: Depth=2
	global_load_dwordx2 v[26:27], v[30:31], off sc1
	s_waitcnt vmcnt(0)
	v_cmp_ne_u16_sdwa s[34:35], v27, v25 src0_sel:BYTE_0 src1_sel:DWORD
	s_or_b64 s[30:31], s[34:35], s[30:31]
	s_andn2_b64 exec, exec, s[30:31]
	s_cbranch_execnz .LBB3356_139
; %bb.140:                              ;   in Loop: Header=BB3356_136 Depth=1
	s_or_b64 exec, exec, s[30:31]
	s_branch .LBB3356_135
.LBB3356_141:                           ;   in Loop: Header=BB3356_136 Depth=1
                                        ; implicit-def: $vgpr26
                                        ; implicit-def: $vgpr27
	s_cbranch_execz .LBB3356_136
; %bb.142:
	s_and_saveexec_b64 s[28:29], s[14:15]
	s_cbranch_execz .LBB3356_144
; %bb.143:
	s_add_i32 s2, s2, 64
	s_mov_b32 s3, 0
	s_lshl_b64 s[2:3], s[2:3], 3
	s_add_u32 s2, s24, s2
	v_add_u32_e32 v24, v23, v22
	v_mov_b32_e32 v25, 2
	s_addc_u32 s3, s25, s3
	v_mov_b32_e32 v26, 0
	global_store_dwordx2 v26, v[24:25], s[2:3] sc1
	ds_write_b64 v26, v[22:23] offset:28672
.LBB3356_144:
	s_or_b64 exec, exec, s[28:29]
	v_cmp_eq_u32_e32 vcc, 0, v0
	s_and_b64 exec, exec, vcc
	s_cbranch_execz .LBB3356_146
; %bb.145:
	v_mov_b32_e32 v22, 0
	ds_write_b32 v22, v23 offset:28
.LBB3356_146:
	s_or_b64 exec, exec, s[26:27]
	v_mov_b32_e32 v22, 0
	s_waitcnt lgkmcnt(0)
	s_barrier
	ds_read_b32 v25, v22 offset:28
	s_waitcnt lgkmcnt(0)
	s_barrier
	ds_read_b64 v[22:23], v22 offset:28672
	v_cndmask_b32_e64 v24, v63, v62, s[14:15]
	v_cmp_ne_u32_e32 vcc, 0, v0
	s_nop 1
	v_cndmask_b32_e32 v24, 0, v24, vcc
	v_add_u32_e32 v30, v25, v24
	s_branch .LBB3356_157
.LBB3356_147:
                                        ; implicit-def: $vgpr23
                                        ; implicit-def: $vgpr30
	s_cbranch_execz .LBB3356_157
; %bb.148:
	s_waitcnt lgkmcnt(0)
	v_mov_b32_dpp v22, v61 row_shr:1 row_mask:0xf bank_mask:0xf
	v_cndmask_b32_e64 v22, v22, 0, s[12:13]
	v_add_u32_e32 v22, v22, v61
	s_nop 1
	v_mov_b32_dpp v23, v22 row_shr:2 row_mask:0xf bank_mask:0xf
	v_cndmask_b32_e64 v23, 0, v23, s[10:11]
	v_add_u32_e32 v22, v22, v23
	s_nop 1
	;; [unrolled: 4-line block ×4, first 2 shown]
	v_mov_b32_dpp v23, v22 row_bcast:15 row_mask:0xf bank_mask:0xf
	v_cndmask_b32_e64 v23, v23, 0, s[4:5]
	v_add_u32_e32 v22, v22, v23
	s_nop 1
	v_mov_b32_dpp v23, v22 row_bcast:31 row_mask:0xf bank_mask:0xf
	v_cndmask_b32_e64 v23, 0, v23, s[0:1]
	v_add_u32_e32 v22, v22, v23
	s_and_saveexec_b64 s[0:1], s[16:17]
	s_cbranch_execz .LBB3356_150
; %bb.149:
	v_lshlrev_b32_e32 v23, 2, v60
	ds_write_b32 v23, v22
.LBB3356_150:
	s_or_b64 exec, exec, s[0:1]
	v_cmp_gt_u32_e32 vcc, 8, v0
	s_waitcnt lgkmcnt(0)
	s_barrier
	s_and_saveexec_b64 s[0:1], vcc
	s_cbranch_execz .LBB3356_152
; %bb.151:
	v_lshlrev_b32_e32 v23, 2, v0
	ds_read_b32 v24, v23
	v_and_b32_e32 v25, 7, v59
	v_cmp_ne_u32_e32 vcc, 0, v25
	s_waitcnt lgkmcnt(0)
	v_mov_b32_dpp v26, v24 row_shr:1 row_mask:0xf bank_mask:0xf
	v_cndmask_b32_e32 v26, 0, v26, vcc
	v_add_u32_e32 v24, v26, v24
	v_cmp_lt_u32_e32 vcc, 1, v25
	s_nop 0
	v_mov_b32_dpp v26, v24 row_shr:2 row_mask:0xf bank_mask:0xf
	v_cndmask_b32_e32 v26, 0, v26, vcc
	v_add_u32_e32 v24, v24, v26
	v_cmp_lt_u32_e32 vcc, 3, v25
	s_nop 0
	v_mov_b32_dpp v26, v24 row_shr:4 row_mask:0xf bank_mask:0xf
	v_cndmask_b32_e32 v25, 0, v26, vcc
	v_add_u32_e32 v24, v24, v25
	ds_write_b32 v23, v24
.LBB3356_152:
	s_or_b64 exec, exec, s[0:1]
	v_cmp_lt_u32_e32 vcc, 63, v0
	v_mov_b32_e32 v23, 0
	v_mov_b32_e32 v24, 0
	s_waitcnt lgkmcnt(0)
	s_barrier
	s_and_saveexec_b64 s[0:1], vcc
	s_cbranch_execz .LBB3356_154
; %bb.153:
	v_lshl_add_u32 v24, v60, 2, -4
	ds_read_b32 v24, v24
.LBB3356_154:
	s_or_b64 exec, exec, s[0:1]
	v_add_u32_e32 v25, -1, v59
	v_and_b32_e32 v26, 64, v59
	v_cmp_lt_i32_e32 vcc, v25, v26
	s_waitcnt lgkmcnt(0)
	v_add_u32_e32 v22, v24, v22
	v_cndmask_b32_e32 v25, v25, v59, vcc
	v_lshlrev_b32_e32 v25, 2, v25
	ds_bpermute_b32 v25, v25, v22
	ds_read_b32 v22, v23 offset:28
	v_cmp_eq_u32_e32 vcc, 0, v0
	s_and_saveexec_b64 s[0:1], vcc
	s_cbranch_execz .LBB3356_156
; %bb.155:
	v_mov_b32_e32 v26, 0
	v_mov_b32_e32 v23, 2
	s_waitcnt lgkmcnt(0)
	global_store_dwordx2 v26, v[22:23], s[24:25] offset:512 sc1
.LBB3356_156:
	s_or_b64 exec, exec, s[0:1]
	v_cmp_eq_u32_e64 s[0:1], 0, v59
	v_mov_b32_e32 v23, 0
	s_waitcnt lgkmcnt(0)
	v_cndmask_b32_e64 v24, v25, v24, s[0:1]
	v_cndmask_b32_e64 v30, v24, 0, vcc
	s_barrier
.LBB3356_157:
	v_add_u32_sdwa v59, v30, v20 dst_sel:DWORD dst_unused:UNUSED_PAD src0_sel:DWORD src1_sel:BYTE_0
	s_waitcnt lgkmcnt(0)
	v_add_u32_e32 v1, v22, v1
	v_sub_u32_e32 v30, v30, v23
	v_and_b32_e32 v68, 1, v20
	v_sub_u32_e32 v67, v1, v30
	v_cmp_eq_u32_e32 vcc, 1, v68
	v_lshrrev_b32_e32 v31, 8, v20
	v_add_u32_sdwa v60, v59, v20 dst_sel:DWORD dst_unused:UNUSED_PAD src0_sel:DWORD src1_sel:BYTE_1
	v_cndmask_b32_e32 v30, v67, v30, vcc
	v_lshlrev_b32_e32 v30, 1, v30
	ds_write_b16 v30, v10
	v_sub_u32_e32 v30, v59, v23
	v_sub_u32_e32 v59, v1, v30
	v_and_b32_e32 v31, 1, v31
	v_add_u32_e32 v59, 1, v59
	v_cmp_eq_u32_e32 vcc, 1, v31
	v_mov_b32_e32 v31, 1
	v_and_b32_sdwa v20, v31, v20 dst_sel:DWORD dst_unused:UNUSED_PAD src0_sel:DWORD src1_sel:WORD_1
	v_cndmask_b32_e32 v30, v59, v30, vcc
	v_lshlrev_b32_e32 v30, 1, v30
	ds_write_b16_d16_hi v30, v10
	v_sub_u32_e32 v10, v60, v23
	v_sub_u32_e32 v30, v1, v10
	v_add_u32_e32 v30, 2, v30
	v_cmp_eq_u32_e32 vcc, 1, v20
	v_add_u32_e32 v58, v60, v58
	v_add_u32_e32 v61, v58, v40
	v_cndmask_b32_e32 v10, v30, v10, vcc
	v_lshlrev_b32_e32 v10, 1, v10
	ds_write_b16 v10, v11
	v_sub_u32_e32 v10, v58, v23
	v_sub_u32_e32 v20, v1, v10
	v_and_b32_e32 v30, 1, v40
	v_add_u32_e32 v20, 3, v20
	v_cmp_eq_u32_e32 vcc, 1, v30
	v_add_u32_e32 v55, v61, v55
	v_lshrrev_b32_e32 v29, 8, v21
	v_cndmask_b32_e32 v10, v20, v10, vcc
	v_lshlrev_b32_e32 v10, 1, v10
	ds_write_b16_d16_hi v10, v11
	v_sub_u32_e32 v10, v61, v23
	v_sub_u32_e32 v11, v1, v10
	v_and_b32_e32 v20, 1, v21
	v_add_u32_e32 v11, 4, v11
	v_cmp_eq_u32_e32 vcc, 1, v20
	v_and_b32_e32 v20, 1, v29
	v_add_u32_e32 v56, v55, v56
	v_cndmask_b32_e32 v10, v11, v10, vcc
	v_lshlrev_b32_e32 v10, 1, v10
	ds_write_b16 v10, v12
	v_sub_u32_e32 v10, v55, v23
	v_sub_u32_e32 v11, v1, v10
	v_add_u32_e32 v11, 5, v11
	v_cmp_eq_u32_e32 vcc, 1, v20
	v_add_u32_e32 v57, v56, v57
	v_add_u32_e32 v62, v57, v39
	v_cndmask_b32_e32 v10, v11, v10, vcc
	v_lshlrev_b32_e32 v10, 1, v10
	ds_write_b16_d16_hi v10, v12
	v_sub_u32_e32 v10, v56, v23
	v_sub_u32_e32 v11, v1, v10
	v_and_b32_sdwa v12, v31, v21 dst_sel:DWORD dst_unused:UNUSED_PAD src0_sel:DWORD src1_sel:WORD_1
	v_add_u32_e32 v11, 6, v11
	v_cmp_eq_u32_e32 vcc, 1, v12
	v_and_b32_e32 v12, 1, v39
	v_add_u32_e32 v52, v62, v52
	v_cndmask_b32_e32 v10, v11, v10, vcc
	v_lshlrev_b32_e32 v10, 1, v10
	ds_write_b16 v10, v13
	v_sub_u32_e32 v10, v57, v23
	v_sub_u32_e32 v11, v1, v10
	v_add_u32_e32 v11, 7, v11
	v_cmp_eq_u32_e32 vcc, 1, v12
	v_and_b32_e32 v12, 1, v18
	v_lshrrev_b32_e32 v28, 8, v18
	v_cndmask_b32_e32 v10, v11, v10, vcc
	v_lshlrev_b32_e32 v10, 1, v10
	ds_write_b16_d16_hi v10, v13
	v_sub_u32_e32 v10, v62, v23
	v_sub_u32_e32 v11, v1, v10
	v_add_u32_e32 v11, 8, v11
	v_cmp_eq_u32_e32 vcc, 1, v12
	v_and_b32_e32 v12, 1, v28
	v_add_u32_e32 v53, v52, v53
	v_cndmask_b32_e32 v10, v11, v10, vcc
	v_lshlrev_b32_e32 v10, 1, v10
	ds_write_b16 v10, v6
	v_sub_u32_e32 v10, v52, v23
	v_sub_u32_e32 v11, v1, v10
	v_add_u32_e32 v11, 9, v11
	v_cmp_eq_u32_e32 vcc, 1, v12
	v_add_u32_e32 v54, v53, v54
	v_add_u32_e32 v63, v54, v38
	v_cndmask_b32_e32 v10, v11, v10, vcc
	v_lshlrev_b32_e32 v10, 1, v10
	ds_write_b16_d16_hi v10, v6
	v_sub_u32_e32 v6, v53, v23
	v_sub_u32_e32 v10, v1, v6
	v_and_b32_sdwa v11, v31, v18 dst_sel:DWORD dst_unused:UNUSED_PAD src0_sel:DWORD src1_sel:WORD_1
	v_add_u32_e32 v10, 10, v10
	v_cmp_eq_u32_e32 vcc, 1, v11
	v_and_b32_e32 v11, 1, v38
	v_add_u32_e32 v49, v63, v49
	v_cndmask_b32_e32 v6, v10, v6, vcc
	v_lshlrev_b32_e32 v6, 1, v6
	ds_write_b16 v6, v7
	v_sub_u32_e32 v6, v54, v23
	v_sub_u32_e32 v10, v1, v6
	v_add_u32_e32 v10, 11, v10
	v_cmp_eq_u32_e32 vcc, 1, v11
	v_lshrrev_b32_e32 v27, 8, v19
	v_add_u32_e32 v50, v49, v50
	v_cndmask_b32_e32 v6, v10, v6, vcc
	v_lshlrev_b32_e32 v6, 1, v6
	ds_write_b16_d16_hi v6, v7
	v_sub_u32_e32 v6, v63, v23
	v_sub_u32_e32 v7, v1, v6
	v_and_b32_e32 v10, 1, v19
	v_add_u32_e32 v7, 12, v7
	v_cmp_eq_u32_e32 vcc, 1, v10
	v_and_b32_e32 v10, 1, v27
	v_add_u32_e32 v51, v50, v51
	v_cndmask_b32_e32 v6, v7, v6, vcc
	v_lshlrev_b32_e32 v6, 1, v6
	ds_write_b16 v6, v8
	v_sub_u32_e32 v6, v49, v23
	v_sub_u32_e32 v7, v1, v6
	v_add_u32_e32 v7, 13, v7
	v_cmp_eq_u32_e32 vcc, 1, v10
	v_add_u32_e32 v64, v51, v37
	v_add_u32_e32 v46, v64, v46
	v_cndmask_b32_e32 v6, v7, v6, vcc
	v_lshlrev_b32_e32 v6, 1, v6
	ds_write_b16_d16_hi v6, v8
	v_sub_u32_e32 v6, v50, v23
	v_sub_u32_e32 v7, v1, v6
	v_and_b32_sdwa v8, v31, v19 dst_sel:DWORD dst_unused:UNUSED_PAD src0_sel:DWORD src1_sel:WORD_1
	v_add_u32_e32 v7, 14, v7
	v_cmp_eq_u32_e32 vcc, 1, v8
	v_and_b32_e32 v8, 1, v37
	v_lshrrev_b32_e32 v26, 8, v16
	v_cndmask_b32_e32 v6, v7, v6, vcc
	v_lshlrev_b32_e32 v6, 1, v6
	ds_write_b16 v6, v9
	v_sub_u32_e32 v6, v51, v23
	v_sub_u32_e32 v7, v1, v6
	v_add_u32_e32 v7, 15, v7
	v_cmp_eq_u32_e32 vcc, 1, v8
	v_and_b32_e32 v8, 1, v16
	v_add_u32_e32 v47, v46, v47
	v_cndmask_b32_e32 v6, v7, v6, vcc
	v_lshlrev_b32_e32 v6, 1, v6
	ds_write_b16_d16_hi v6, v9
	v_sub_u32_e32 v6, v64, v23
	v_sub_u32_e32 v7, v1, v6
	v_add_u32_e32 v7, 16, v7
	v_cmp_eq_u32_e32 vcc, 1, v8
	v_and_b32_e32 v8, 1, v26
	v_add_u32_e32 v48, v47, v48
	v_cndmask_b32_e32 v6, v7, v6, vcc
	v_lshlrev_b32_e32 v6, 1, v6
	ds_write_b16 v6, v2
	v_sub_u32_e32 v6, v46, v23
	v_sub_u32_e32 v7, v1, v6
	v_add_u32_e32 v7, 17, v7
	v_cmp_eq_u32_e32 vcc, 1, v8
	v_add_u32_e32 v65, v48, v36
	v_add_u32_e32 v43, v65, v43
	v_cndmask_b32_e32 v6, v7, v6, vcc
	v_lshlrev_b32_e32 v6, 1, v6
	ds_write_b16_d16_hi v6, v2
	v_sub_u32_e32 v2, v47, v23
	v_sub_u32_e32 v6, v1, v2
	v_and_b32_sdwa v7, v31, v16 dst_sel:DWORD dst_unused:UNUSED_PAD src0_sel:DWORD src1_sel:WORD_1
	v_add_u32_e32 v6, 18, v6
	v_cmp_eq_u32_e32 vcc, 1, v7
	v_and_b32_e32 v7, 1, v36
	v_lshrrev_b32_e32 v25, 8, v17
	v_cndmask_b32_e32 v2, v6, v2, vcc
	v_lshlrev_b32_e32 v2, 1, v2
	ds_write_b16 v2, v3
	v_sub_u32_e32 v2, v48, v23
	v_sub_u32_e32 v6, v1, v2
	v_add_u32_e32 v6, 19, v6
	v_cmp_eq_u32_e32 vcc, 1, v7
	v_add_u32_e32 v44, v43, v44
	v_add_u32_e32 v45, v44, v45
	v_cndmask_b32_e32 v2, v6, v2, vcc
	v_lshlrev_b32_e32 v2, 1, v2
	ds_write_b16_d16_hi v2, v3
	v_sub_u32_e32 v2, v65, v23
	v_sub_u32_e32 v3, v1, v2
	v_and_b32_e32 v6, 1, v17
	v_add_u32_e32 v3, 20, v3
	v_cmp_eq_u32_e32 vcc, 1, v6
	v_and_b32_e32 v6, 1, v25
	v_add_u32_e32 v66, v45, v35
	v_cndmask_b32_e32 v2, v3, v2, vcc
	v_lshlrev_b32_e32 v2, 1, v2
	ds_write_b16 v2, v4
	v_sub_u32_e32 v2, v43, v23
	v_sub_u32_e32 v3, v1, v2
	v_add_u32_e32 v3, 21, v3
	v_cmp_eq_u32_e32 vcc, 1, v6
	v_add_u32_e32 v41, v66, v41
	v_lshrrev_b32_e32 v24, 8, v33
	v_cndmask_b32_e32 v2, v3, v2, vcc
	v_lshlrev_b32_e32 v2, 1, v2
	ds_write_b16_d16_hi v2, v4
	v_sub_u32_e32 v2, v44, v23
	v_sub_u32_e32 v3, v1, v2
	v_and_b32_sdwa v4, v31, v17 dst_sel:DWORD dst_unused:UNUSED_PAD src0_sel:DWORD src1_sel:WORD_1
	v_add_u32_e32 v3, 22, v3
	v_cmp_eq_u32_e32 vcc, 1, v4
	v_and_b32_e32 v4, 1, v35
	v_add_u32_e32 v42, v41, v42
	v_cndmask_b32_e32 v2, v3, v2, vcc
	v_lshlrev_b32_e32 v2, 1, v2
	ds_write_b16 v2, v5
	v_sub_u32_e32 v2, v45, v23
	v_sub_u32_e32 v3, v1, v2
	v_add_u32_e32 v3, 23, v3
	v_cmp_eq_u32_e32 vcc, 1, v4
	v_and_b32_e32 v4, 1, v33
	s_nop 0
	v_cndmask_b32_e32 v2, v3, v2, vcc
	v_lshlrev_b32_e32 v2, 1, v2
	ds_write_b16_d16_hi v2, v5
	v_sub_u32_e32 v2, v66, v23
	v_sub_u32_e32 v3, v1, v2
	v_add_u32_e32 v3, 24, v3
	v_cmp_eq_u32_e32 vcc, 1, v4
	v_and_b32_e32 v4, 1, v24
	s_nop 0
	v_cndmask_b32_e32 v2, v3, v2, vcc
	v_lshlrev_b32_e32 v2, 1, v2
	ds_write_b16 v2, v14
	v_sub_u32_e32 v2, v41, v23
	v_sub_u32_e32 v3, v1, v2
	v_add_u32_e32 v3, 25, v3
	v_cmp_eq_u32_e32 vcc, 1, v4
	v_and_b32_sdwa v4, v31, v33 dst_sel:DWORD dst_unused:UNUSED_PAD src0_sel:DWORD src1_sel:WORD_1
	s_nop 0
	v_cndmask_b32_e32 v2, v3, v2, vcc
	v_lshlrev_b32_e32 v2, 1, v2
	ds_write_b16_d16_hi v2, v14
	v_sub_u32_e32 v2, v42, v23
	v_sub_u32_e32 v3, v1, v2
	v_add_u32_e32 v3, 26, v3
	v_cmp_eq_u32_e32 vcc, 1, v4
	s_nop 1
	v_cndmask_b32_e32 v2, v3, v2, vcc
	v_lshlrev_b32_e32 v2, 1, v2
	ds_write_b16 v2, v15
	v_sub_u32_e32 v2, v34, v23
	v_add_u32_e32 v2, v42, v2
	v_sub_u32_e32 v1, v1, v2
	v_and_b32_e32 v3, 1, v32
	v_add_u32_e32 v1, 27, v1
	v_cmp_eq_u32_e32 vcc, 1, v3
	s_nop 1
	v_cndmask_b32_e32 v1, v1, v2, vcc
	v_cmp_eq_u32_e32 vcc, 0, v0
	v_lshlrev_b32_e32 v1, 1, v1
	s_and_b64 s[0:1], vcc, s[22:23]
	ds_write_b16_d16_hi v1, v15
	s_waitcnt lgkmcnt(0)
	s_barrier
	s_and_saveexec_b64 s[2:3], s[0:1]
	s_cbranch_execz .LBB3356_159
; %bb.158:
	v_mov_b32_e32 v1, 0
	v_mov_b32_e32 v0, v22
	v_lshl_add_u64 v[2:3], s[18:19], 0, v[0:1]
	v_mov_b32_e32 v0, v23
	v_lshl_add_u64 v[2:3], v[2:3], 0, v[0:1]
	global_store_dwordx2 v1, v[2:3], s[20:21]
.LBB3356_159:
	s_endpgm
	.section	.rodata,"a",@progbits
	.p2align	6, 0x0
	.amdhsa_kernel _ZN7rocprim17ROCPRIM_400000_NS6detail17trampoline_kernelINS0_14default_configENS1_25partition_config_selectorILNS1_17partition_subalgoE1EsNS0_10empty_typeEbEEZZNS1_14partition_implILS5_1ELb0ES3_jN6thrust23THRUST_200600_302600_NS6detail15normal_iteratorINSA_10device_ptrIsEEEEPS6_NSA_18transform_iteratorI7is_evenIsESF_NSA_11use_defaultESK_EENS0_5tupleIJNSA_16discard_iteratorISK_EESO_EEENSM_IJSG_SG_EEES6_PlJS6_EEE10hipError_tPvRmT3_T4_T5_T6_T7_T9_mT8_P12ihipStream_tbDpT10_ENKUlT_T0_E_clISt17integral_constantIbLb0EES1B_EEDaS16_S17_EUlS16_E_NS1_11comp_targetILNS1_3genE5ELNS1_11target_archE942ELNS1_3gpuE9ELNS1_3repE0EEENS1_30default_config_static_selectorELNS0_4arch9wavefront6targetE1EEEvT1_
		.amdhsa_group_segment_fixed_size 28680
		.amdhsa_private_segment_fixed_size 0
		.amdhsa_kernarg_size 144
		.amdhsa_user_sgpr_count 2
		.amdhsa_user_sgpr_dispatch_ptr 0
		.amdhsa_user_sgpr_queue_ptr 0
		.amdhsa_user_sgpr_kernarg_segment_ptr 1
		.amdhsa_user_sgpr_dispatch_id 0
		.amdhsa_user_sgpr_kernarg_preload_length 0
		.amdhsa_user_sgpr_kernarg_preload_offset 0
		.amdhsa_user_sgpr_private_segment_size 0
		.amdhsa_uses_dynamic_stack 0
		.amdhsa_enable_private_segment 0
		.amdhsa_system_sgpr_workgroup_id_x 1
		.amdhsa_system_sgpr_workgroup_id_y 0
		.amdhsa_system_sgpr_workgroup_id_z 0
		.amdhsa_system_sgpr_workgroup_info 0
		.amdhsa_system_vgpr_workitem_id 0
		.amdhsa_next_free_vgpr 78
		.amdhsa_next_free_sgpr 36
		.amdhsa_accum_offset 80
		.amdhsa_reserve_vcc 1
		.amdhsa_float_round_mode_32 0
		.amdhsa_float_round_mode_16_64 0
		.amdhsa_float_denorm_mode_32 3
		.amdhsa_float_denorm_mode_16_64 3
		.amdhsa_dx10_clamp 1
		.amdhsa_ieee_mode 1
		.amdhsa_fp16_overflow 0
		.amdhsa_tg_split 0
		.amdhsa_exception_fp_ieee_invalid_op 0
		.amdhsa_exception_fp_denorm_src 0
		.amdhsa_exception_fp_ieee_div_zero 0
		.amdhsa_exception_fp_ieee_overflow 0
		.amdhsa_exception_fp_ieee_underflow 0
		.amdhsa_exception_fp_ieee_inexact 0
		.amdhsa_exception_int_div_zero 0
	.end_amdhsa_kernel
	.section	.text._ZN7rocprim17ROCPRIM_400000_NS6detail17trampoline_kernelINS0_14default_configENS1_25partition_config_selectorILNS1_17partition_subalgoE1EsNS0_10empty_typeEbEEZZNS1_14partition_implILS5_1ELb0ES3_jN6thrust23THRUST_200600_302600_NS6detail15normal_iteratorINSA_10device_ptrIsEEEEPS6_NSA_18transform_iteratorI7is_evenIsESF_NSA_11use_defaultESK_EENS0_5tupleIJNSA_16discard_iteratorISK_EESO_EEENSM_IJSG_SG_EEES6_PlJS6_EEE10hipError_tPvRmT3_T4_T5_T6_T7_T9_mT8_P12ihipStream_tbDpT10_ENKUlT_T0_E_clISt17integral_constantIbLb0EES1B_EEDaS16_S17_EUlS16_E_NS1_11comp_targetILNS1_3genE5ELNS1_11target_archE942ELNS1_3gpuE9ELNS1_3repE0EEENS1_30default_config_static_selectorELNS0_4arch9wavefront6targetE1EEEvT1_,"axG",@progbits,_ZN7rocprim17ROCPRIM_400000_NS6detail17trampoline_kernelINS0_14default_configENS1_25partition_config_selectorILNS1_17partition_subalgoE1EsNS0_10empty_typeEbEEZZNS1_14partition_implILS5_1ELb0ES3_jN6thrust23THRUST_200600_302600_NS6detail15normal_iteratorINSA_10device_ptrIsEEEEPS6_NSA_18transform_iteratorI7is_evenIsESF_NSA_11use_defaultESK_EENS0_5tupleIJNSA_16discard_iteratorISK_EESO_EEENSM_IJSG_SG_EEES6_PlJS6_EEE10hipError_tPvRmT3_T4_T5_T6_T7_T9_mT8_P12ihipStream_tbDpT10_ENKUlT_T0_E_clISt17integral_constantIbLb0EES1B_EEDaS16_S17_EUlS16_E_NS1_11comp_targetILNS1_3genE5ELNS1_11target_archE942ELNS1_3gpuE9ELNS1_3repE0EEENS1_30default_config_static_selectorELNS0_4arch9wavefront6targetE1EEEvT1_,comdat
.Lfunc_end3356:
	.size	_ZN7rocprim17ROCPRIM_400000_NS6detail17trampoline_kernelINS0_14default_configENS1_25partition_config_selectorILNS1_17partition_subalgoE1EsNS0_10empty_typeEbEEZZNS1_14partition_implILS5_1ELb0ES3_jN6thrust23THRUST_200600_302600_NS6detail15normal_iteratorINSA_10device_ptrIsEEEEPS6_NSA_18transform_iteratorI7is_evenIsESF_NSA_11use_defaultESK_EENS0_5tupleIJNSA_16discard_iteratorISK_EESO_EEENSM_IJSG_SG_EEES6_PlJS6_EEE10hipError_tPvRmT3_T4_T5_T6_T7_T9_mT8_P12ihipStream_tbDpT10_ENKUlT_T0_E_clISt17integral_constantIbLb0EES1B_EEDaS16_S17_EUlS16_E_NS1_11comp_targetILNS1_3genE5ELNS1_11target_archE942ELNS1_3gpuE9ELNS1_3repE0EEENS1_30default_config_static_selectorELNS0_4arch9wavefront6targetE1EEEvT1_, .Lfunc_end3356-_ZN7rocprim17ROCPRIM_400000_NS6detail17trampoline_kernelINS0_14default_configENS1_25partition_config_selectorILNS1_17partition_subalgoE1EsNS0_10empty_typeEbEEZZNS1_14partition_implILS5_1ELb0ES3_jN6thrust23THRUST_200600_302600_NS6detail15normal_iteratorINSA_10device_ptrIsEEEEPS6_NSA_18transform_iteratorI7is_evenIsESF_NSA_11use_defaultESK_EENS0_5tupleIJNSA_16discard_iteratorISK_EESO_EEENSM_IJSG_SG_EEES6_PlJS6_EEE10hipError_tPvRmT3_T4_T5_T6_T7_T9_mT8_P12ihipStream_tbDpT10_ENKUlT_T0_E_clISt17integral_constantIbLb0EES1B_EEDaS16_S17_EUlS16_E_NS1_11comp_targetILNS1_3genE5ELNS1_11target_archE942ELNS1_3gpuE9ELNS1_3repE0EEENS1_30default_config_static_selectorELNS0_4arch9wavefront6targetE1EEEvT1_
                                        ; -- End function
	.section	.AMDGPU.csdata,"",@progbits
; Kernel info:
; codeLenInByte = 8560
; NumSgprs: 42
; NumVgprs: 78
; NumAgprs: 0
; TotalNumVgprs: 78
; ScratchSize: 0
; MemoryBound: 0
; FloatMode: 240
; IeeeMode: 1
; LDSByteSize: 28680 bytes/workgroup (compile time only)
; SGPRBlocks: 5
; VGPRBlocks: 9
; NumSGPRsForWavesPerEU: 42
; NumVGPRsForWavesPerEU: 78
; AccumOffset: 80
; Occupancy: 4
; WaveLimiterHint : 1
; COMPUTE_PGM_RSRC2:SCRATCH_EN: 0
; COMPUTE_PGM_RSRC2:USER_SGPR: 2
; COMPUTE_PGM_RSRC2:TRAP_HANDLER: 0
; COMPUTE_PGM_RSRC2:TGID_X_EN: 1
; COMPUTE_PGM_RSRC2:TGID_Y_EN: 0
; COMPUTE_PGM_RSRC2:TGID_Z_EN: 0
; COMPUTE_PGM_RSRC2:TIDIG_COMP_CNT: 0
; COMPUTE_PGM_RSRC3_GFX90A:ACCUM_OFFSET: 19
; COMPUTE_PGM_RSRC3_GFX90A:TG_SPLIT: 0
	.section	.text._ZN7rocprim17ROCPRIM_400000_NS6detail17trampoline_kernelINS0_14default_configENS1_25partition_config_selectorILNS1_17partition_subalgoE1EsNS0_10empty_typeEbEEZZNS1_14partition_implILS5_1ELb0ES3_jN6thrust23THRUST_200600_302600_NS6detail15normal_iteratorINSA_10device_ptrIsEEEEPS6_NSA_18transform_iteratorI7is_evenIsESF_NSA_11use_defaultESK_EENS0_5tupleIJNSA_16discard_iteratorISK_EESO_EEENSM_IJSG_SG_EEES6_PlJS6_EEE10hipError_tPvRmT3_T4_T5_T6_T7_T9_mT8_P12ihipStream_tbDpT10_ENKUlT_T0_E_clISt17integral_constantIbLb0EES1B_EEDaS16_S17_EUlS16_E_NS1_11comp_targetILNS1_3genE4ELNS1_11target_archE910ELNS1_3gpuE8ELNS1_3repE0EEENS1_30default_config_static_selectorELNS0_4arch9wavefront6targetE1EEEvT1_,"axG",@progbits,_ZN7rocprim17ROCPRIM_400000_NS6detail17trampoline_kernelINS0_14default_configENS1_25partition_config_selectorILNS1_17partition_subalgoE1EsNS0_10empty_typeEbEEZZNS1_14partition_implILS5_1ELb0ES3_jN6thrust23THRUST_200600_302600_NS6detail15normal_iteratorINSA_10device_ptrIsEEEEPS6_NSA_18transform_iteratorI7is_evenIsESF_NSA_11use_defaultESK_EENS0_5tupleIJNSA_16discard_iteratorISK_EESO_EEENSM_IJSG_SG_EEES6_PlJS6_EEE10hipError_tPvRmT3_T4_T5_T6_T7_T9_mT8_P12ihipStream_tbDpT10_ENKUlT_T0_E_clISt17integral_constantIbLb0EES1B_EEDaS16_S17_EUlS16_E_NS1_11comp_targetILNS1_3genE4ELNS1_11target_archE910ELNS1_3gpuE8ELNS1_3repE0EEENS1_30default_config_static_selectorELNS0_4arch9wavefront6targetE1EEEvT1_,comdat
	.protected	_ZN7rocprim17ROCPRIM_400000_NS6detail17trampoline_kernelINS0_14default_configENS1_25partition_config_selectorILNS1_17partition_subalgoE1EsNS0_10empty_typeEbEEZZNS1_14partition_implILS5_1ELb0ES3_jN6thrust23THRUST_200600_302600_NS6detail15normal_iteratorINSA_10device_ptrIsEEEEPS6_NSA_18transform_iteratorI7is_evenIsESF_NSA_11use_defaultESK_EENS0_5tupleIJNSA_16discard_iteratorISK_EESO_EEENSM_IJSG_SG_EEES6_PlJS6_EEE10hipError_tPvRmT3_T4_T5_T6_T7_T9_mT8_P12ihipStream_tbDpT10_ENKUlT_T0_E_clISt17integral_constantIbLb0EES1B_EEDaS16_S17_EUlS16_E_NS1_11comp_targetILNS1_3genE4ELNS1_11target_archE910ELNS1_3gpuE8ELNS1_3repE0EEENS1_30default_config_static_selectorELNS0_4arch9wavefront6targetE1EEEvT1_ ; -- Begin function _ZN7rocprim17ROCPRIM_400000_NS6detail17trampoline_kernelINS0_14default_configENS1_25partition_config_selectorILNS1_17partition_subalgoE1EsNS0_10empty_typeEbEEZZNS1_14partition_implILS5_1ELb0ES3_jN6thrust23THRUST_200600_302600_NS6detail15normal_iteratorINSA_10device_ptrIsEEEEPS6_NSA_18transform_iteratorI7is_evenIsESF_NSA_11use_defaultESK_EENS0_5tupleIJNSA_16discard_iteratorISK_EESO_EEENSM_IJSG_SG_EEES6_PlJS6_EEE10hipError_tPvRmT3_T4_T5_T6_T7_T9_mT8_P12ihipStream_tbDpT10_ENKUlT_T0_E_clISt17integral_constantIbLb0EES1B_EEDaS16_S17_EUlS16_E_NS1_11comp_targetILNS1_3genE4ELNS1_11target_archE910ELNS1_3gpuE8ELNS1_3repE0EEENS1_30default_config_static_selectorELNS0_4arch9wavefront6targetE1EEEvT1_
	.globl	_ZN7rocprim17ROCPRIM_400000_NS6detail17trampoline_kernelINS0_14default_configENS1_25partition_config_selectorILNS1_17partition_subalgoE1EsNS0_10empty_typeEbEEZZNS1_14partition_implILS5_1ELb0ES3_jN6thrust23THRUST_200600_302600_NS6detail15normal_iteratorINSA_10device_ptrIsEEEEPS6_NSA_18transform_iteratorI7is_evenIsESF_NSA_11use_defaultESK_EENS0_5tupleIJNSA_16discard_iteratorISK_EESO_EEENSM_IJSG_SG_EEES6_PlJS6_EEE10hipError_tPvRmT3_T4_T5_T6_T7_T9_mT8_P12ihipStream_tbDpT10_ENKUlT_T0_E_clISt17integral_constantIbLb0EES1B_EEDaS16_S17_EUlS16_E_NS1_11comp_targetILNS1_3genE4ELNS1_11target_archE910ELNS1_3gpuE8ELNS1_3repE0EEENS1_30default_config_static_selectorELNS0_4arch9wavefront6targetE1EEEvT1_
	.p2align	8
	.type	_ZN7rocprim17ROCPRIM_400000_NS6detail17trampoline_kernelINS0_14default_configENS1_25partition_config_selectorILNS1_17partition_subalgoE1EsNS0_10empty_typeEbEEZZNS1_14partition_implILS5_1ELb0ES3_jN6thrust23THRUST_200600_302600_NS6detail15normal_iteratorINSA_10device_ptrIsEEEEPS6_NSA_18transform_iteratorI7is_evenIsESF_NSA_11use_defaultESK_EENS0_5tupleIJNSA_16discard_iteratorISK_EESO_EEENSM_IJSG_SG_EEES6_PlJS6_EEE10hipError_tPvRmT3_T4_T5_T6_T7_T9_mT8_P12ihipStream_tbDpT10_ENKUlT_T0_E_clISt17integral_constantIbLb0EES1B_EEDaS16_S17_EUlS16_E_NS1_11comp_targetILNS1_3genE4ELNS1_11target_archE910ELNS1_3gpuE8ELNS1_3repE0EEENS1_30default_config_static_selectorELNS0_4arch9wavefront6targetE1EEEvT1_,@function
_ZN7rocprim17ROCPRIM_400000_NS6detail17trampoline_kernelINS0_14default_configENS1_25partition_config_selectorILNS1_17partition_subalgoE1EsNS0_10empty_typeEbEEZZNS1_14partition_implILS5_1ELb0ES3_jN6thrust23THRUST_200600_302600_NS6detail15normal_iteratorINSA_10device_ptrIsEEEEPS6_NSA_18transform_iteratorI7is_evenIsESF_NSA_11use_defaultESK_EENS0_5tupleIJNSA_16discard_iteratorISK_EESO_EEENSM_IJSG_SG_EEES6_PlJS6_EEE10hipError_tPvRmT3_T4_T5_T6_T7_T9_mT8_P12ihipStream_tbDpT10_ENKUlT_T0_E_clISt17integral_constantIbLb0EES1B_EEDaS16_S17_EUlS16_E_NS1_11comp_targetILNS1_3genE4ELNS1_11target_archE910ELNS1_3gpuE8ELNS1_3repE0EEENS1_30default_config_static_selectorELNS0_4arch9wavefront6targetE1EEEvT1_: ; @_ZN7rocprim17ROCPRIM_400000_NS6detail17trampoline_kernelINS0_14default_configENS1_25partition_config_selectorILNS1_17partition_subalgoE1EsNS0_10empty_typeEbEEZZNS1_14partition_implILS5_1ELb0ES3_jN6thrust23THRUST_200600_302600_NS6detail15normal_iteratorINSA_10device_ptrIsEEEEPS6_NSA_18transform_iteratorI7is_evenIsESF_NSA_11use_defaultESK_EENS0_5tupleIJNSA_16discard_iteratorISK_EESO_EEENSM_IJSG_SG_EEES6_PlJS6_EEE10hipError_tPvRmT3_T4_T5_T6_T7_T9_mT8_P12ihipStream_tbDpT10_ENKUlT_T0_E_clISt17integral_constantIbLb0EES1B_EEDaS16_S17_EUlS16_E_NS1_11comp_targetILNS1_3genE4ELNS1_11target_archE910ELNS1_3gpuE8ELNS1_3repE0EEENS1_30default_config_static_selectorELNS0_4arch9wavefront6targetE1EEEvT1_
; %bb.0:
	.section	.rodata,"a",@progbits
	.p2align	6, 0x0
	.amdhsa_kernel _ZN7rocprim17ROCPRIM_400000_NS6detail17trampoline_kernelINS0_14default_configENS1_25partition_config_selectorILNS1_17partition_subalgoE1EsNS0_10empty_typeEbEEZZNS1_14partition_implILS5_1ELb0ES3_jN6thrust23THRUST_200600_302600_NS6detail15normal_iteratorINSA_10device_ptrIsEEEEPS6_NSA_18transform_iteratorI7is_evenIsESF_NSA_11use_defaultESK_EENS0_5tupleIJNSA_16discard_iteratorISK_EESO_EEENSM_IJSG_SG_EEES6_PlJS6_EEE10hipError_tPvRmT3_T4_T5_T6_T7_T9_mT8_P12ihipStream_tbDpT10_ENKUlT_T0_E_clISt17integral_constantIbLb0EES1B_EEDaS16_S17_EUlS16_E_NS1_11comp_targetILNS1_3genE4ELNS1_11target_archE910ELNS1_3gpuE8ELNS1_3repE0EEENS1_30default_config_static_selectorELNS0_4arch9wavefront6targetE1EEEvT1_
		.amdhsa_group_segment_fixed_size 0
		.amdhsa_private_segment_fixed_size 0
		.amdhsa_kernarg_size 144
		.amdhsa_user_sgpr_count 2
		.amdhsa_user_sgpr_dispatch_ptr 0
		.amdhsa_user_sgpr_queue_ptr 0
		.amdhsa_user_sgpr_kernarg_segment_ptr 1
		.amdhsa_user_sgpr_dispatch_id 0
		.amdhsa_user_sgpr_kernarg_preload_length 0
		.amdhsa_user_sgpr_kernarg_preload_offset 0
		.amdhsa_user_sgpr_private_segment_size 0
		.amdhsa_uses_dynamic_stack 0
		.amdhsa_enable_private_segment 0
		.amdhsa_system_sgpr_workgroup_id_x 1
		.amdhsa_system_sgpr_workgroup_id_y 0
		.amdhsa_system_sgpr_workgroup_id_z 0
		.amdhsa_system_sgpr_workgroup_info 0
		.amdhsa_system_vgpr_workitem_id 0
		.amdhsa_next_free_vgpr 1
		.amdhsa_next_free_sgpr 0
		.amdhsa_accum_offset 4
		.amdhsa_reserve_vcc 0
		.amdhsa_float_round_mode_32 0
		.amdhsa_float_round_mode_16_64 0
		.amdhsa_float_denorm_mode_32 3
		.amdhsa_float_denorm_mode_16_64 3
		.amdhsa_dx10_clamp 1
		.amdhsa_ieee_mode 1
		.amdhsa_fp16_overflow 0
		.amdhsa_tg_split 0
		.amdhsa_exception_fp_ieee_invalid_op 0
		.amdhsa_exception_fp_denorm_src 0
		.amdhsa_exception_fp_ieee_div_zero 0
		.amdhsa_exception_fp_ieee_overflow 0
		.amdhsa_exception_fp_ieee_underflow 0
		.amdhsa_exception_fp_ieee_inexact 0
		.amdhsa_exception_int_div_zero 0
	.end_amdhsa_kernel
	.section	.text._ZN7rocprim17ROCPRIM_400000_NS6detail17trampoline_kernelINS0_14default_configENS1_25partition_config_selectorILNS1_17partition_subalgoE1EsNS0_10empty_typeEbEEZZNS1_14partition_implILS5_1ELb0ES3_jN6thrust23THRUST_200600_302600_NS6detail15normal_iteratorINSA_10device_ptrIsEEEEPS6_NSA_18transform_iteratorI7is_evenIsESF_NSA_11use_defaultESK_EENS0_5tupleIJNSA_16discard_iteratorISK_EESO_EEENSM_IJSG_SG_EEES6_PlJS6_EEE10hipError_tPvRmT3_T4_T5_T6_T7_T9_mT8_P12ihipStream_tbDpT10_ENKUlT_T0_E_clISt17integral_constantIbLb0EES1B_EEDaS16_S17_EUlS16_E_NS1_11comp_targetILNS1_3genE4ELNS1_11target_archE910ELNS1_3gpuE8ELNS1_3repE0EEENS1_30default_config_static_selectorELNS0_4arch9wavefront6targetE1EEEvT1_,"axG",@progbits,_ZN7rocprim17ROCPRIM_400000_NS6detail17trampoline_kernelINS0_14default_configENS1_25partition_config_selectorILNS1_17partition_subalgoE1EsNS0_10empty_typeEbEEZZNS1_14partition_implILS5_1ELb0ES3_jN6thrust23THRUST_200600_302600_NS6detail15normal_iteratorINSA_10device_ptrIsEEEEPS6_NSA_18transform_iteratorI7is_evenIsESF_NSA_11use_defaultESK_EENS0_5tupleIJNSA_16discard_iteratorISK_EESO_EEENSM_IJSG_SG_EEES6_PlJS6_EEE10hipError_tPvRmT3_T4_T5_T6_T7_T9_mT8_P12ihipStream_tbDpT10_ENKUlT_T0_E_clISt17integral_constantIbLb0EES1B_EEDaS16_S17_EUlS16_E_NS1_11comp_targetILNS1_3genE4ELNS1_11target_archE910ELNS1_3gpuE8ELNS1_3repE0EEENS1_30default_config_static_selectorELNS0_4arch9wavefront6targetE1EEEvT1_,comdat
.Lfunc_end3357:
	.size	_ZN7rocprim17ROCPRIM_400000_NS6detail17trampoline_kernelINS0_14default_configENS1_25partition_config_selectorILNS1_17partition_subalgoE1EsNS0_10empty_typeEbEEZZNS1_14partition_implILS5_1ELb0ES3_jN6thrust23THRUST_200600_302600_NS6detail15normal_iteratorINSA_10device_ptrIsEEEEPS6_NSA_18transform_iteratorI7is_evenIsESF_NSA_11use_defaultESK_EENS0_5tupleIJNSA_16discard_iteratorISK_EESO_EEENSM_IJSG_SG_EEES6_PlJS6_EEE10hipError_tPvRmT3_T4_T5_T6_T7_T9_mT8_P12ihipStream_tbDpT10_ENKUlT_T0_E_clISt17integral_constantIbLb0EES1B_EEDaS16_S17_EUlS16_E_NS1_11comp_targetILNS1_3genE4ELNS1_11target_archE910ELNS1_3gpuE8ELNS1_3repE0EEENS1_30default_config_static_selectorELNS0_4arch9wavefront6targetE1EEEvT1_, .Lfunc_end3357-_ZN7rocprim17ROCPRIM_400000_NS6detail17trampoline_kernelINS0_14default_configENS1_25partition_config_selectorILNS1_17partition_subalgoE1EsNS0_10empty_typeEbEEZZNS1_14partition_implILS5_1ELb0ES3_jN6thrust23THRUST_200600_302600_NS6detail15normal_iteratorINSA_10device_ptrIsEEEEPS6_NSA_18transform_iteratorI7is_evenIsESF_NSA_11use_defaultESK_EENS0_5tupleIJNSA_16discard_iteratorISK_EESO_EEENSM_IJSG_SG_EEES6_PlJS6_EEE10hipError_tPvRmT3_T4_T5_T6_T7_T9_mT8_P12ihipStream_tbDpT10_ENKUlT_T0_E_clISt17integral_constantIbLb0EES1B_EEDaS16_S17_EUlS16_E_NS1_11comp_targetILNS1_3genE4ELNS1_11target_archE910ELNS1_3gpuE8ELNS1_3repE0EEENS1_30default_config_static_selectorELNS0_4arch9wavefront6targetE1EEEvT1_
                                        ; -- End function
	.section	.AMDGPU.csdata,"",@progbits
; Kernel info:
; codeLenInByte = 0
; NumSgprs: 6
; NumVgprs: 0
; NumAgprs: 0
; TotalNumVgprs: 0
; ScratchSize: 0
; MemoryBound: 0
; FloatMode: 240
; IeeeMode: 1
; LDSByteSize: 0 bytes/workgroup (compile time only)
; SGPRBlocks: 0
; VGPRBlocks: 0
; NumSGPRsForWavesPerEU: 6
; NumVGPRsForWavesPerEU: 1
; AccumOffset: 4
; Occupancy: 8
; WaveLimiterHint : 0
; COMPUTE_PGM_RSRC2:SCRATCH_EN: 0
; COMPUTE_PGM_RSRC2:USER_SGPR: 2
; COMPUTE_PGM_RSRC2:TRAP_HANDLER: 0
; COMPUTE_PGM_RSRC2:TGID_X_EN: 1
; COMPUTE_PGM_RSRC2:TGID_Y_EN: 0
; COMPUTE_PGM_RSRC2:TGID_Z_EN: 0
; COMPUTE_PGM_RSRC2:TIDIG_COMP_CNT: 0
; COMPUTE_PGM_RSRC3_GFX90A:ACCUM_OFFSET: 0
; COMPUTE_PGM_RSRC3_GFX90A:TG_SPLIT: 0
	.section	.text._ZN7rocprim17ROCPRIM_400000_NS6detail17trampoline_kernelINS0_14default_configENS1_25partition_config_selectorILNS1_17partition_subalgoE1EsNS0_10empty_typeEbEEZZNS1_14partition_implILS5_1ELb0ES3_jN6thrust23THRUST_200600_302600_NS6detail15normal_iteratorINSA_10device_ptrIsEEEEPS6_NSA_18transform_iteratorI7is_evenIsESF_NSA_11use_defaultESK_EENS0_5tupleIJNSA_16discard_iteratorISK_EESO_EEENSM_IJSG_SG_EEES6_PlJS6_EEE10hipError_tPvRmT3_T4_T5_T6_T7_T9_mT8_P12ihipStream_tbDpT10_ENKUlT_T0_E_clISt17integral_constantIbLb0EES1B_EEDaS16_S17_EUlS16_E_NS1_11comp_targetILNS1_3genE3ELNS1_11target_archE908ELNS1_3gpuE7ELNS1_3repE0EEENS1_30default_config_static_selectorELNS0_4arch9wavefront6targetE1EEEvT1_,"axG",@progbits,_ZN7rocprim17ROCPRIM_400000_NS6detail17trampoline_kernelINS0_14default_configENS1_25partition_config_selectorILNS1_17partition_subalgoE1EsNS0_10empty_typeEbEEZZNS1_14partition_implILS5_1ELb0ES3_jN6thrust23THRUST_200600_302600_NS6detail15normal_iteratorINSA_10device_ptrIsEEEEPS6_NSA_18transform_iteratorI7is_evenIsESF_NSA_11use_defaultESK_EENS0_5tupleIJNSA_16discard_iteratorISK_EESO_EEENSM_IJSG_SG_EEES6_PlJS6_EEE10hipError_tPvRmT3_T4_T5_T6_T7_T9_mT8_P12ihipStream_tbDpT10_ENKUlT_T0_E_clISt17integral_constantIbLb0EES1B_EEDaS16_S17_EUlS16_E_NS1_11comp_targetILNS1_3genE3ELNS1_11target_archE908ELNS1_3gpuE7ELNS1_3repE0EEENS1_30default_config_static_selectorELNS0_4arch9wavefront6targetE1EEEvT1_,comdat
	.protected	_ZN7rocprim17ROCPRIM_400000_NS6detail17trampoline_kernelINS0_14default_configENS1_25partition_config_selectorILNS1_17partition_subalgoE1EsNS0_10empty_typeEbEEZZNS1_14partition_implILS5_1ELb0ES3_jN6thrust23THRUST_200600_302600_NS6detail15normal_iteratorINSA_10device_ptrIsEEEEPS6_NSA_18transform_iteratorI7is_evenIsESF_NSA_11use_defaultESK_EENS0_5tupleIJNSA_16discard_iteratorISK_EESO_EEENSM_IJSG_SG_EEES6_PlJS6_EEE10hipError_tPvRmT3_T4_T5_T6_T7_T9_mT8_P12ihipStream_tbDpT10_ENKUlT_T0_E_clISt17integral_constantIbLb0EES1B_EEDaS16_S17_EUlS16_E_NS1_11comp_targetILNS1_3genE3ELNS1_11target_archE908ELNS1_3gpuE7ELNS1_3repE0EEENS1_30default_config_static_selectorELNS0_4arch9wavefront6targetE1EEEvT1_ ; -- Begin function _ZN7rocprim17ROCPRIM_400000_NS6detail17trampoline_kernelINS0_14default_configENS1_25partition_config_selectorILNS1_17partition_subalgoE1EsNS0_10empty_typeEbEEZZNS1_14partition_implILS5_1ELb0ES3_jN6thrust23THRUST_200600_302600_NS6detail15normal_iteratorINSA_10device_ptrIsEEEEPS6_NSA_18transform_iteratorI7is_evenIsESF_NSA_11use_defaultESK_EENS0_5tupleIJNSA_16discard_iteratorISK_EESO_EEENSM_IJSG_SG_EEES6_PlJS6_EEE10hipError_tPvRmT3_T4_T5_T6_T7_T9_mT8_P12ihipStream_tbDpT10_ENKUlT_T0_E_clISt17integral_constantIbLb0EES1B_EEDaS16_S17_EUlS16_E_NS1_11comp_targetILNS1_3genE3ELNS1_11target_archE908ELNS1_3gpuE7ELNS1_3repE0EEENS1_30default_config_static_selectorELNS0_4arch9wavefront6targetE1EEEvT1_
	.globl	_ZN7rocprim17ROCPRIM_400000_NS6detail17trampoline_kernelINS0_14default_configENS1_25partition_config_selectorILNS1_17partition_subalgoE1EsNS0_10empty_typeEbEEZZNS1_14partition_implILS5_1ELb0ES3_jN6thrust23THRUST_200600_302600_NS6detail15normal_iteratorINSA_10device_ptrIsEEEEPS6_NSA_18transform_iteratorI7is_evenIsESF_NSA_11use_defaultESK_EENS0_5tupleIJNSA_16discard_iteratorISK_EESO_EEENSM_IJSG_SG_EEES6_PlJS6_EEE10hipError_tPvRmT3_T4_T5_T6_T7_T9_mT8_P12ihipStream_tbDpT10_ENKUlT_T0_E_clISt17integral_constantIbLb0EES1B_EEDaS16_S17_EUlS16_E_NS1_11comp_targetILNS1_3genE3ELNS1_11target_archE908ELNS1_3gpuE7ELNS1_3repE0EEENS1_30default_config_static_selectorELNS0_4arch9wavefront6targetE1EEEvT1_
	.p2align	8
	.type	_ZN7rocprim17ROCPRIM_400000_NS6detail17trampoline_kernelINS0_14default_configENS1_25partition_config_selectorILNS1_17partition_subalgoE1EsNS0_10empty_typeEbEEZZNS1_14partition_implILS5_1ELb0ES3_jN6thrust23THRUST_200600_302600_NS6detail15normal_iteratorINSA_10device_ptrIsEEEEPS6_NSA_18transform_iteratorI7is_evenIsESF_NSA_11use_defaultESK_EENS0_5tupleIJNSA_16discard_iteratorISK_EESO_EEENSM_IJSG_SG_EEES6_PlJS6_EEE10hipError_tPvRmT3_T4_T5_T6_T7_T9_mT8_P12ihipStream_tbDpT10_ENKUlT_T0_E_clISt17integral_constantIbLb0EES1B_EEDaS16_S17_EUlS16_E_NS1_11comp_targetILNS1_3genE3ELNS1_11target_archE908ELNS1_3gpuE7ELNS1_3repE0EEENS1_30default_config_static_selectorELNS0_4arch9wavefront6targetE1EEEvT1_,@function
_ZN7rocprim17ROCPRIM_400000_NS6detail17trampoline_kernelINS0_14default_configENS1_25partition_config_selectorILNS1_17partition_subalgoE1EsNS0_10empty_typeEbEEZZNS1_14partition_implILS5_1ELb0ES3_jN6thrust23THRUST_200600_302600_NS6detail15normal_iteratorINSA_10device_ptrIsEEEEPS6_NSA_18transform_iteratorI7is_evenIsESF_NSA_11use_defaultESK_EENS0_5tupleIJNSA_16discard_iteratorISK_EESO_EEENSM_IJSG_SG_EEES6_PlJS6_EEE10hipError_tPvRmT3_T4_T5_T6_T7_T9_mT8_P12ihipStream_tbDpT10_ENKUlT_T0_E_clISt17integral_constantIbLb0EES1B_EEDaS16_S17_EUlS16_E_NS1_11comp_targetILNS1_3genE3ELNS1_11target_archE908ELNS1_3gpuE7ELNS1_3repE0EEENS1_30default_config_static_selectorELNS0_4arch9wavefront6targetE1EEEvT1_: ; @_ZN7rocprim17ROCPRIM_400000_NS6detail17trampoline_kernelINS0_14default_configENS1_25partition_config_selectorILNS1_17partition_subalgoE1EsNS0_10empty_typeEbEEZZNS1_14partition_implILS5_1ELb0ES3_jN6thrust23THRUST_200600_302600_NS6detail15normal_iteratorINSA_10device_ptrIsEEEEPS6_NSA_18transform_iteratorI7is_evenIsESF_NSA_11use_defaultESK_EENS0_5tupleIJNSA_16discard_iteratorISK_EESO_EEENSM_IJSG_SG_EEES6_PlJS6_EEE10hipError_tPvRmT3_T4_T5_T6_T7_T9_mT8_P12ihipStream_tbDpT10_ENKUlT_T0_E_clISt17integral_constantIbLb0EES1B_EEDaS16_S17_EUlS16_E_NS1_11comp_targetILNS1_3genE3ELNS1_11target_archE908ELNS1_3gpuE7ELNS1_3repE0EEENS1_30default_config_static_selectorELNS0_4arch9wavefront6targetE1EEEvT1_
; %bb.0:
	.section	.rodata,"a",@progbits
	.p2align	6, 0x0
	.amdhsa_kernel _ZN7rocprim17ROCPRIM_400000_NS6detail17trampoline_kernelINS0_14default_configENS1_25partition_config_selectorILNS1_17partition_subalgoE1EsNS0_10empty_typeEbEEZZNS1_14partition_implILS5_1ELb0ES3_jN6thrust23THRUST_200600_302600_NS6detail15normal_iteratorINSA_10device_ptrIsEEEEPS6_NSA_18transform_iteratorI7is_evenIsESF_NSA_11use_defaultESK_EENS0_5tupleIJNSA_16discard_iteratorISK_EESO_EEENSM_IJSG_SG_EEES6_PlJS6_EEE10hipError_tPvRmT3_T4_T5_T6_T7_T9_mT8_P12ihipStream_tbDpT10_ENKUlT_T0_E_clISt17integral_constantIbLb0EES1B_EEDaS16_S17_EUlS16_E_NS1_11comp_targetILNS1_3genE3ELNS1_11target_archE908ELNS1_3gpuE7ELNS1_3repE0EEENS1_30default_config_static_selectorELNS0_4arch9wavefront6targetE1EEEvT1_
		.amdhsa_group_segment_fixed_size 0
		.amdhsa_private_segment_fixed_size 0
		.amdhsa_kernarg_size 144
		.amdhsa_user_sgpr_count 2
		.amdhsa_user_sgpr_dispatch_ptr 0
		.amdhsa_user_sgpr_queue_ptr 0
		.amdhsa_user_sgpr_kernarg_segment_ptr 1
		.amdhsa_user_sgpr_dispatch_id 0
		.amdhsa_user_sgpr_kernarg_preload_length 0
		.amdhsa_user_sgpr_kernarg_preload_offset 0
		.amdhsa_user_sgpr_private_segment_size 0
		.amdhsa_uses_dynamic_stack 0
		.amdhsa_enable_private_segment 0
		.amdhsa_system_sgpr_workgroup_id_x 1
		.amdhsa_system_sgpr_workgroup_id_y 0
		.amdhsa_system_sgpr_workgroup_id_z 0
		.amdhsa_system_sgpr_workgroup_info 0
		.amdhsa_system_vgpr_workitem_id 0
		.amdhsa_next_free_vgpr 1
		.amdhsa_next_free_sgpr 0
		.amdhsa_accum_offset 4
		.amdhsa_reserve_vcc 0
		.amdhsa_float_round_mode_32 0
		.amdhsa_float_round_mode_16_64 0
		.amdhsa_float_denorm_mode_32 3
		.amdhsa_float_denorm_mode_16_64 3
		.amdhsa_dx10_clamp 1
		.amdhsa_ieee_mode 1
		.amdhsa_fp16_overflow 0
		.amdhsa_tg_split 0
		.amdhsa_exception_fp_ieee_invalid_op 0
		.amdhsa_exception_fp_denorm_src 0
		.amdhsa_exception_fp_ieee_div_zero 0
		.amdhsa_exception_fp_ieee_overflow 0
		.amdhsa_exception_fp_ieee_underflow 0
		.amdhsa_exception_fp_ieee_inexact 0
		.amdhsa_exception_int_div_zero 0
	.end_amdhsa_kernel
	.section	.text._ZN7rocprim17ROCPRIM_400000_NS6detail17trampoline_kernelINS0_14default_configENS1_25partition_config_selectorILNS1_17partition_subalgoE1EsNS0_10empty_typeEbEEZZNS1_14partition_implILS5_1ELb0ES3_jN6thrust23THRUST_200600_302600_NS6detail15normal_iteratorINSA_10device_ptrIsEEEEPS6_NSA_18transform_iteratorI7is_evenIsESF_NSA_11use_defaultESK_EENS0_5tupleIJNSA_16discard_iteratorISK_EESO_EEENSM_IJSG_SG_EEES6_PlJS6_EEE10hipError_tPvRmT3_T4_T5_T6_T7_T9_mT8_P12ihipStream_tbDpT10_ENKUlT_T0_E_clISt17integral_constantIbLb0EES1B_EEDaS16_S17_EUlS16_E_NS1_11comp_targetILNS1_3genE3ELNS1_11target_archE908ELNS1_3gpuE7ELNS1_3repE0EEENS1_30default_config_static_selectorELNS0_4arch9wavefront6targetE1EEEvT1_,"axG",@progbits,_ZN7rocprim17ROCPRIM_400000_NS6detail17trampoline_kernelINS0_14default_configENS1_25partition_config_selectorILNS1_17partition_subalgoE1EsNS0_10empty_typeEbEEZZNS1_14partition_implILS5_1ELb0ES3_jN6thrust23THRUST_200600_302600_NS6detail15normal_iteratorINSA_10device_ptrIsEEEEPS6_NSA_18transform_iteratorI7is_evenIsESF_NSA_11use_defaultESK_EENS0_5tupleIJNSA_16discard_iteratorISK_EESO_EEENSM_IJSG_SG_EEES6_PlJS6_EEE10hipError_tPvRmT3_T4_T5_T6_T7_T9_mT8_P12ihipStream_tbDpT10_ENKUlT_T0_E_clISt17integral_constantIbLb0EES1B_EEDaS16_S17_EUlS16_E_NS1_11comp_targetILNS1_3genE3ELNS1_11target_archE908ELNS1_3gpuE7ELNS1_3repE0EEENS1_30default_config_static_selectorELNS0_4arch9wavefront6targetE1EEEvT1_,comdat
.Lfunc_end3358:
	.size	_ZN7rocprim17ROCPRIM_400000_NS6detail17trampoline_kernelINS0_14default_configENS1_25partition_config_selectorILNS1_17partition_subalgoE1EsNS0_10empty_typeEbEEZZNS1_14partition_implILS5_1ELb0ES3_jN6thrust23THRUST_200600_302600_NS6detail15normal_iteratorINSA_10device_ptrIsEEEEPS6_NSA_18transform_iteratorI7is_evenIsESF_NSA_11use_defaultESK_EENS0_5tupleIJNSA_16discard_iteratorISK_EESO_EEENSM_IJSG_SG_EEES6_PlJS6_EEE10hipError_tPvRmT3_T4_T5_T6_T7_T9_mT8_P12ihipStream_tbDpT10_ENKUlT_T0_E_clISt17integral_constantIbLb0EES1B_EEDaS16_S17_EUlS16_E_NS1_11comp_targetILNS1_3genE3ELNS1_11target_archE908ELNS1_3gpuE7ELNS1_3repE0EEENS1_30default_config_static_selectorELNS0_4arch9wavefront6targetE1EEEvT1_, .Lfunc_end3358-_ZN7rocprim17ROCPRIM_400000_NS6detail17trampoline_kernelINS0_14default_configENS1_25partition_config_selectorILNS1_17partition_subalgoE1EsNS0_10empty_typeEbEEZZNS1_14partition_implILS5_1ELb0ES3_jN6thrust23THRUST_200600_302600_NS6detail15normal_iteratorINSA_10device_ptrIsEEEEPS6_NSA_18transform_iteratorI7is_evenIsESF_NSA_11use_defaultESK_EENS0_5tupleIJNSA_16discard_iteratorISK_EESO_EEENSM_IJSG_SG_EEES6_PlJS6_EEE10hipError_tPvRmT3_T4_T5_T6_T7_T9_mT8_P12ihipStream_tbDpT10_ENKUlT_T0_E_clISt17integral_constantIbLb0EES1B_EEDaS16_S17_EUlS16_E_NS1_11comp_targetILNS1_3genE3ELNS1_11target_archE908ELNS1_3gpuE7ELNS1_3repE0EEENS1_30default_config_static_selectorELNS0_4arch9wavefront6targetE1EEEvT1_
                                        ; -- End function
	.section	.AMDGPU.csdata,"",@progbits
; Kernel info:
; codeLenInByte = 0
; NumSgprs: 6
; NumVgprs: 0
; NumAgprs: 0
; TotalNumVgprs: 0
; ScratchSize: 0
; MemoryBound: 0
; FloatMode: 240
; IeeeMode: 1
; LDSByteSize: 0 bytes/workgroup (compile time only)
; SGPRBlocks: 0
; VGPRBlocks: 0
; NumSGPRsForWavesPerEU: 6
; NumVGPRsForWavesPerEU: 1
; AccumOffset: 4
; Occupancy: 8
; WaveLimiterHint : 0
; COMPUTE_PGM_RSRC2:SCRATCH_EN: 0
; COMPUTE_PGM_RSRC2:USER_SGPR: 2
; COMPUTE_PGM_RSRC2:TRAP_HANDLER: 0
; COMPUTE_PGM_RSRC2:TGID_X_EN: 1
; COMPUTE_PGM_RSRC2:TGID_Y_EN: 0
; COMPUTE_PGM_RSRC2:TGID_Z_EN: 0
; COMPUTE_PGM_RSRC2:TIDIG_COMP_CNT: 0
; COMPUTE_PGM_RSRC3_GFX90A:ACCUM_OFFSET: 0
; COMPUTE_PGM_RSRC3_GFX90A:TG_SPLIT: 0
	.section	.text._ZN7rocprim17ROCPRIM_400000_NS6detail17trampoline_kernelINS0_14default_configENS1_25partition_config_selectorILNS1_17partition_subalgoE1EsNS0_10empty_typeEbEEZZNS1_14partition_implILS5_1ELb0ES3_jN6thrust23THRUST_200600_302600_NS6detail15normal_iteratorINSA_10device_ptrIsEEEEPS6_NSA_18transform_iteratorI7is_evenIsESF_NSA_11use_defaultESK_EENS0_5tupleIJNSA_16discard_iteratorISK_EESO_EEENSM_IJSG_SG_EEES6_PlJS6_EEE10hipError_tPvRmT3_T4_T5_T6_T7_T9_mT8_P12ihipStream_tbDpT10_ENKUlT_T0_E_clISt17integral_constantIbLb0EES1B_EEDaS16_S17_EUlS16_E_NS1_11comp_targetILNS1_3genE2ELNS1_11target_archE906ELNS1_3gpuE6ELNS1_3repE0EEENS1_30default_config_static_selectorELNS0_4arch9wavefront6targetE1EEEvT1_,"axG",@progbits,_ZN7rocprim17ROCPRIM_400000_NS6detail17trampoline_kernelINS0_14default_configENS1_25partition_config_selectorILNS1_17partition_subalgoE1EsNS0_10empty_typeEbEEZZNS1_14partition_implILS5_1ELb0ES3_jN6thrust23THRUST_200600_302600_NS6detail15normal_iteratorINSA_10device_ptrIsEEEEPS6_NSA_18transform_iteratorI7is_evenIsESF_NSA_11use_defaultESK_EENS0_5tupleIJNSA_16discard_iteratorISK_EESO_EEENSM_IJSG_SG_EEES6_PlJS6_EEE10hipError_tPvRmT3_T4_T5_T6_T7_T9_mT8_P12ihipStream_tbDpT10_ENKUlT_T0_E_clISt17integral_constantIbLb0EES1B_EEDaS16_S17_EUlS16_E_NS1_11comp_targetILNS1_3genE2ELNS1_11target_archE906ELNS1_3gpuE6ELNS1_3repE0EEENS1_30default_config_static_selectorELNS0_4arch9wavefront6targetE1EEEvT1_,comdat
	.protected	_ZN7rocprim17ROCPRIM_400000_NS6detail17trampoline_kernelINS0_14default_configENS1_25partition_config_selectorILNS1_17partition_subalgoE1EsNS0_10empty_typeEbEEZZNS1_14partition_implILS5_1ELb0ES3_jN6thrust23THRUST_200600_302600_NS6detail15normal_iteratorINSA_10device_ptrIsEEEEPS6_NSA_18transform_iteratorI7is_evenIsESF_NSA_11use_defaultESK_EENS0_5tupleIJNSA_16discard_iteratorISK_EESO_EEENSM_IJSG_SG_EEES6_PlJS6_EEE10hipError_tPvRmT3_T4_T5_T6_T7_T9_mT8_P12ihipStream_tbDpT10_ENKUlT_T0_E_clISt17integral_constantIbLb0EES1B_EEDaS16_S17_EUlS16_E_NS1_11comp_targetILNS1_3genE2ELNS1_11target_archE906ELNS1_3gpuE6ELNS1_3repE0EEENS1_30default_config_static_selectorELNS0_4arch9wavefront6targetE1EEEvT1_ ; -- Begin function _ZN7rocprim17ROCPRIM_400000_NS6detail17trampoline_kernelINS0_14default_configENS1_25partition_config_selectorILNS1_17partition_subalgoE1EsNS0_10empty_typeEbEEZZNS1_14partition_implILS5_1ELb0ES3_jN6thrust23THRUST_200600_302600_NS6detail15normal_iteratorINSA_10device_ptrIsEEEEPS6_NSA_18transform_iteratorI7is_evenIsESF_NSA_11use_defaultESK_EENS0_5tupleIJNSA_16discard_iteratorISK_EESO_EEENSM_IJSG_SG_EEES6_PlJS6_EEE10hipError_tPvRmT3_T4_T5_T6_T7_T9_mT8_P12ihipStream_tbDpT10_ENKUlT_T0_E_clISt17integral_constantIbLb0EES1B_EEDaS16_S17_EUlS16_E_NS1_11comp_targetILNS1_3genE2ELNS1_11target_archE906ELNS1_3gpuE6ELNS1_3repE0EEENS1_30default_config_static_selectorELNS0_4arch9wavefront6targetE1EEEvT1_
	.globl	_ZN7rocprim17ROCPRIM_400000_NS6detail17trampoline_kernelINS0_14default_configENS1_25partition_config_selectorILNS1_17partition_subalgoE1EsNS0_10empty_typeEbEEZZNS1_14partition_implILS5_1ELb0ES3_jN6thrust23THRUST_200600_302600_NS6detail15normal_iteratorINSA_10device_ptrIsEEEEPS6_NSA_18transform_iteratorI7is_evenIsESF_NSA_11use_defaultESK_EENS0_5tupleIJNSA_16discard_iteratorISK_EESO_EEENSM_IJSG_SG_EEES6_PlJS6_EEE10hipError_tPvRmT3_T4_T5_T6_T7_T9_mT8_P12ihipStream_tbDpT10_ENKUlT_T0_E_clISt17integral_constantIbLb0EES1B_EEDaS16_S17_EUlS16_E_NS1_11comp_targetILNS1_3genE2ELNS1_11target_archE906ELNS1_3gpuE6ELNS1_3repE0EEENS1_30default_config_static_selectorELNS0_4arch9wavefront6targetE1EEEvT1_
	.p2align	8
	.type	_ZN7rocprim17ROCPRIM_400000_NS6detail17trampoline_kernelINS0_14default_configENS1_25partition_config_selectorILNS1_17partition_subalgoE1EsNS0_10empty_typeEbEEZZNS1_14partition_implILS5_1ELb0ES3_jN6thrust23THRUST_200600_302600_NS6detail15normal_iteratorINSA_10device_ptrIsEEEEPS6_NSA_18transform_iteratorI7is_evenIsESF_NSA_11use_defaultESK_EENS0_5tupleIJNSA_16discard_iteratorISK_EESO_EEENSM_IJSG_SG_EEES6_PlJS6_EEE10hipError_tPvRmT3_T4_T5_T6_T7_T9_mT8_P12ihipStream_tbDpT10_ENKUlT_T0_E_clISt17integral_constantIbLb0EES1B_EEDaS16_S17_EUlS16_E_NS1_11comp_targetILNS1_3genE2ELNS1_11target_archE906ELNS1_3gpuE6ELNS1_3repE0EEENS1_30default_config_static_selectorELNS0_4arch9wavefront6targetE1EEEvT1_,@function
_ZN7rocprim17ROCPRIM_400000_NS6detail17trampoline_kernelINS0_14default_configENS1_25partition_config_selectorILNS1_17partition_subalgoE1EsNS0_10empty_typeEbEEZZNS1_14partition_implILS5_1ELb0ES3_jN6thrust23THRUST_200600_302600_NS6detail15normal_iteratorINSA_10device_ptrIsEEEEPS6_NSA_18transform_iteratorI7is_evenIsESF_NSA_11use_defaultESK_EENS0_5tupleIJNSA_16discard_iteratorISK_EESO_EEENSM_IJSG_SG_EEES6_PlJS6_EEE10hipError_tPvRmT3_T4_T5_T6_T7_T9_mT8_P12ihipStream_tbDpT10_ENKUlT_T0_E_clISt17integral_constantIbLb0EES1B_EEDaS16_S17_EUlS16_E_NS1_11comp_targetILNS1_3genE2ELNS1_11target_archE906ELNS1_3gpuE6ELNS1_3repE0EEENS1_30default_config_static_selectorELNS0_4arch9wavefront6targetE1EEEvT1_: ; @_ZN7rocprim17ROCPRIM_400000_NS6detail17trampoline_kernelINS0_14default_configENS1_25partition_config_selectorILNS1_17partition_subalgoE1EsNS0_10empty_typeEbEEZZNS1_14partition_implILS5_1ELb0ES3_jN6thrust23THRUST_200600_302600_NS6detail15normal_iteratorINSA_10device_ptrIsEEEEPS6_NSA_18transform_iteratorI7is_evenIsESF_NSA_11use_defaultESK_EENS0_5tupleIJNSA_16discard_iteratorISK_EESO_EEENSM_IJSG_SG_EEES6_PlJS6_EEE10hipError_tPvRmT3_T4_T5_T6_T7_T9_mT8_P12ihipStream_tbDpT10_ENKUlT_T0_E_clISt17integral_constantIbLb0EES1B_EEDaS16_S17_EUlS16_E_NS1_11comp_targetILNS1_3genE2ELNS1_11target_archE906ELNS1_3gpuE6ELNS1_3repE0EEENS1_30default_config_static_selectorELNS0_4arch9wavefront6targetE1EEEvT1_
; %bb.0:
	.section	.rodata,"a",@progbits
	.p2align	6, 0x0
	.amdhsa_kernel _ZN7rocprim17ROCPRIM_400000_NS6detail17trampoline_kernelINS0_14default_configENS1_25partition_config_selectorILNS1_17partition_subalgoE1EsNS0_10empty_typeEbEEZZNS1_14partition_implILS5_1ELb0ES3_jN6thrust23THRUST_200600_302600_NS6detail15normal_iteratorINSA_10device_ptrIsEEEEPS6_NSA_18transform_iteratorI7is_evenIsESF_NSA_11use_defaultESK_EENS0_5tupleIJNSA_16discard_iteratorISK_EESO_EEENSM_IJSG_SG_EEES6_PlJS6_EEE10hipError_tPvRmT3_T4_T5_T6_T7_T9_mT8_P12ihipStream_tbDpT10_ENKUlT_T0_E_clISt17integral_constantIbLb0EES1B_EEDaS16_S17_EUlS16_E_NS1_11comp_targetILNS1_3genE2ELNS1_11target_archE906ELNS1_3gpuE6ELNS1_3repE0EEENS1_30default_config_static_selectorELNS0_4arch9wavefront6targetE1EEEvT1_
		.amdhsa_group_segment_fixed_size 0
		.amdhsa_private_segment_fixed_size 0
		.amdhsa_kernarg_size 144
		.amdhsa_user_sgpr_count 2
		.amdhsa_user_sgpr_dispatch_ptr 0
		.amdhsa_user_sgpr_queue_ptr 0
		.amdhsa_user_sgpr_kernarg_segment_ptr 1
		.amdhsa_user_sgpr_dispatch_id 0
		.amdhsa_user_sgpr_kernarg_preload_length 0
		.amdhsa_user_sgpr_kernarg_preload_offset 0
		.amdhsa_user_sgpr_private_segment_size 0
		.amdhsa_uses_dynamic_stack 0
		.amdhsa_enable_private_segment 0
		.amdhsa_system_sgpr_workgroup_id_x 1
		.amdhsa_system_sgpr_workgroup_id_y 0
		.amdhsa_system_sgpr_workgroup_id_z 0
		.amdhsa_system_sgpr_workgroup_info 0
		.amdhsa_system_vgpr_workitem_id 0
		.amdhsa_next_free_vgpr 1
		.amdhsa_next_free_sgpr 0
		.amdhsa_accum_offset 4
		.amdhsa_reserve_vcc 0
		.amdhsa_float_round_mode_32 0
		.amdhsa_float_round_mode_16_64 0
		.amdhsa_float_denorm_mode_32 3
		.amdhsa_float_denorm_mode_16_64 3
		.amdhsa_dx10_clamp 1
		.amdhsa_ieee_mode 1
		.amdhsa_fp16_overflow 0
		.amdhsa_tg_split 0
		.amdhsa_exception_fp_ieee_invalid_op 0
		.amdhsa_exception_fp_denorm_src 0
		.amdhsa_exception_fp_ieee_div_zero 0
		.amdhsa_exception_fp_ieee_overflow 0
		.amdhsa_exception_fp_ieee_underflow 0
		.amdhsa_exception_fp_ieee_inexact 0
		.amdhsa_exception_int_div_zero 0
	.end_amdhsa_kernel
	.section	.text._ZN7rocprim17ROCPRIM_400000_NS6detail17trampoline_kernelINS0_14default_configENS1_25partition_config_selectorILNS1_17partition_subalgoE1EsNS0_10empty_typeEbEEZZNS1_14partition_implILS5_1ELb0ES3_jN6thrust23THRUST_200600_302600_NS6detail15normal_iteratorINSA_10device_ptrIsEEEEPS6_NSA_18transform_iteratorI7is_evenIsESF_NSA_11use_defaultESK_EENS0_5tupleIJNSA_16discard_iteratorISK_EESO_EEENSM_IJSG_SG_EEES6_PlJS6_EEE10hipError_tPvRmT3_T4_T5_T6_T7_T9_mT8_P12ihipStream_tbDpT10_ENKUlT_T0_E_clISt17integral_constantIbLb0EES1B_EEDaS16_S17_EUlS16_E_NS1_11comp_targetILNS1_3genE2ELNS1_11target_archE906ELNS1_3gpuE6ELNS1_3repE0EEENS1_30default_config_static_selectorELNS0_4arch9wavefront6targetE1EEEvT1_,"axG",@progbits,_ZN7rocprim17ROCPRIM_400000_NS6detail17trampoline_kernelINS0_14default_configENS1_25partition_config_selectorILNS1_17partition_subalgoE1EsNS0_10empty_typeEbEEZZNS1_14partition_implILS5_1ELb0ES3_jN6thrust23THRUST_200600_302600_NS6detail15normal_iteratorINSA_10device_ptrIsEEEEPS6_NSA_18transform_iteratorI7is_evenIsESF_NSA_11use_defaultESK_EENS0_5tupleIJNSA_16discard_iteratorISK_EESO_EEENSM_IJSG_SG_EEES6_PlJS6_EEE10hipError_tPvRmT3_T4_T5_T6_T7_T9_mT8_P12ihipStream_tbDpT10_ENKUlT_T0_E_clISt17integral_constantIbLb0EES1B_EEDaS16_S17_EUlS16_E_NS1_11comp_targetILNS1_3genE2ELNS1_11target_archE906ELNS1_3gpuE6ELNS1_3repE0EEENS1_30default_config_static_selectorELNS0_4arch9wavefront6targetE1EEEvT1_,comdat
.Lfunc_end3359:
	.size	_ZN7rocprim17ROCPRIM_400000_NS6detail17trampoline_kernelINS0_14default_configENS1_25partition_config_selectorILNS1_17partition_subalgoE1EsNS0_10empty_typeEbEEZZNS1_14partition_implILS5_1ELb0ES3_jN6thrust23THRUST_200600_302600_NS6detail15normal_iteratorINSA_10device_ptrIsEEEEPS6_NSA_18transform_iteratorI7is_evenIsESF_NSA_11use_defaultESK_EENS0_5tupleIJNSA_16discard_iteratorISK_EESO_EEENSM_IJSG_SG_EEES6_PlJS6_EEE10hipError_tPvRmT3_T4_T5_T6_T7_T9_mT8_P12ihipStream_tbDpT10_ENKUlT_T0_E_clISt17integral_constantIbLb0EES1B_EEDaS16_S17_EUlS16_E_NS1_11comp_targetILNS1_3genE2ELNS1_11target_archE906ELNS1_3gpuE6ELNS1_3repE0EEENS1_30default_config_static_selectorELNS0_4arch9wavefront6targetE1EEEvT1_, .Lfunc_end3359-_ZN7rocprim17ROCPRIM_400000_NS6detail17trampoline_kernelINS0_14default_configENS1_25partition_config_selectorILNS1_17partition_subalgoE1EsNS0_10empty_typeEbEEZZNS1_14partition_implILS5_1ELb0ES3_jN6thrust23THRUST_200600_302600_NS6detail15normal_iteratorINSA_10device_ptrIsEEEEPS6_NSA_18transform_iteratorI7is_evenIsESF_NSA_11use_defaultESK_EENS0_5tupleIJNSA_16discard_iteratorISK_EESO_EEENSM_IJSG_SG_EEES6_PlJS6_EEE10hipError_tPvRmT3_T4_T5_T6_T7_T9_mT8_P12ihipStream_tbDpT10_ENKUlT_T0_E_clISt17integral_constantIbLb0EES1B_EEDaS16_S17_EUlS16_E_NS1_11comp_targetILNS1_3genE2ELNS1_11target_archE906ELNS1_3gpuE6ELNS1_3repE0EEENS1_30default_config_static_selectorELNS0_4arch9wavefront6targetE1EEEvT1_
                                        ; -- End function
	.section	.AMDGPU.csdata,"",@progbits
; Kernel info:
; codeLenInByte = 0
; NumSgprs: 6
; NumVgprs: 0
; NumAgprs: 0
; TotalNumVgprs: 0
; ScratchSize: 0
; MemoryBound: 0
; FloatMode: 240
; IeeeMode: 1
; LDSByteSize: 0 bytes/workgroup (compile time only)
; SGPRBlocks: 0
; VGPRBlocks: 0
; NumSGPRsForWavesPerEU: 6
; NumVGPRsForWavesPerEU: 1
; AccumOffset: 4
; Occupancy: 8
; WaveLimiterHint : 0
; COMPUTE_PGM_RSRC2:SCRATCH_EN: 0
; COMPUTE_PGM_RSRC2:USER_SGPR: 2
; COMPUTE_PGM_RSRC2:TRAP_HANDLER: 0
; COMPUTE_PGM_RSRC2:TGID_X_EN: 1
; COMPUTE_PGM_RSRC2:TGID_Y_EN: 0
; COMPUTE_PGM_RSRC2:TGID_Z_EN: 0
; COMPUTE_PGM_RSRC2:TIDIG_COMP_CNT: 0
; COMPUTE_PGM_RSRC3_GFX90A:ACCUM_OFFSET: 0
; COMPUTE_PGM_RSRC3_GFX90A:TG_SPLIT: 0
	.section	.text._ZN7rocprim17ROCPRIM_400000_NS6detail17trampoline_kernelINS0_14default_configENS1_25partition_config_selectorILNS1_17partition_subalgoE1EsNS0_10empty_typeEbEEZZNS1_14partition_implILS5_1ELb0ES3_jN6thrust23THRUST_200600_302600_NS6detail15normal_iteratorINSA_10device_ptrIsEEEEPS6_NSA_18transform_iteratorI7is_evenIsESF_NSA_11use_defaultESK_EENS0_5tupleIJNSA_16discard_iteratorISK_EESO_EEENSM_IJSG_SG_EEES6_PlJS6_EEE10hipError_tPvRmT3_T4_T5_T6_T7_T9_mT8_P12ihipStream_tbDpT10_ENKUlT_T0_E_clISt17integral_constantIbLb0EES1B_EEDaS16_S17_EUlS16_E_NS1_11comp_targetILNS1_3genE10ELNS1_11target_archE1200ELNS1_3gpuE4ELNS1_3repE0EEENS1_30default_config_static_selectorELNS0_4arch9wavefront6targetE1EEEvT1_,"axG",@progbits,_ZN7rocprim17ROCPRIM_400000_NS6detail17trampoline_kernelINS0_14default_configENS1_25partition_config_selectorILNS1_17partition_subalgoE1EsNS0_10empty_typeEbEEZZNS1_14partition_implILS5_1ELb0ES3_jN6thrust23THRUST_200600_302600_NS6detail15normal_iteratorINSA_10device_ptrIsEEEEPS6_NSA_18transform_iteratorI7is_evenIsESF_NSA_11use_defaultESK_EENS0_5tupleIJNSA_16discard_iteratorISK_EESO_EEENSM_IJSG_SG_EEES6_PlJS6_EEE10hipError_tPvRmT3_T4_T5_T6_T7_T9_mT8_P12ihipStream_tbDpT10_ENKUlT_T0_E_clISt17integral_constantIbLb0EES1B_EEDaS16_S17_EUlS16_E_NS1_11comp_targetILNS1_3genE10ELNS1_11target_archE1200ELNS1_3gpuE4ELNS1_3repE0EEENS1_30default_config_static_selectorELNS0_4arch9wavefront6targetE1EEEvT1_,comdat
	.protected	_ZN7rocprim17ROCPRIM_400000_NS6detail17trampoline_kernelINS0_14default_configENS1_25partition_config_selectorILNS1_17partition_subalgoE1EsNS0_10empty_typeEbEEZZNS1_14partition_implILS5_1ELb0ES3_jN6thrust23THRUST_200600_302600_NS6detail15normal_iteratorINSA_10device_ptrIsEEEEPS6_NSA_18transform_iteratorI7is_evenIsESF_NSA_11use_defaultESK_EENS0_5tupleIJNSA_16discard_iteratorISK_EESO_EEENSM_IJSG_SG_EEES6_PlJS6_EEE10hipError_tPvRmT3_T4_T5_T6_T7_T9_mT8_P12ihipStream_tbDpT10_ENKUlT_T0_E_clISt17integral_constantIbLb0EES1B_EEDaS16_S17_EUlS16_E_NS1_11comp_targetILNS1_3genE10ELNS1_11target_archE1200ELNS1_3gpuE4ELNS1_3repE0EEENS1_30default_config_static_selectorELNS0_4arch9wavefront6targetE1EEEvT1_ ; -- Begin function _ZN7rocprim17ROCPRIM_400000_NS6detail17trampoline_kernelINS0_14default_configENS1_25partition_config_selectorILNS1_17partition_subalgoE1EsNS0_10empty_typeEbEEZZNS1_14partition_implILS5_1ELb0ES3_jN6thrust23THRUST_200600_302600_NS6detail15normal_iteratorINSA_10device_ptrIsEEEEPS6_NSA_18transform_iteratorI7is_evenIsESF_NSA_11use_defaultESK_EENS0_5tupleIJNSA_16discard_iteratorISK_EESO_EEENSM_IJSG_SG_EEES6_PlJS6_EEE10hipError_tPvRmT3_T4_T5_T6_T7_T9_mT8_P12ihipStream_tbDpT10_ENKUlT_T0_E_clISt17integral_constantIbLb0EES1B_EEDaS16_S17_EUlS16_E_NS1_11comp_targetILNS1_3genE10ELNS1_11target_archE1200ELNS1_3gpuE4ELNS1_3repE0EEENS1_30default_config_static_selectorELNS0_4arch9wavefront6targetE1EEEvT1_
	.globl	_ZN7rocprim17ROCPRIM_400000_NS6detail17trampoline_kernelINS0_14default_configENS1_25partition_config_selectorILNS1_17partition_subalgoE1EsNS0_10empty_typeEbEEZZNS1_14partition_implILS5_1ELb0ES3_jN6thrust23THRUST_200600_302600_NS6detail15normal_iteratorINSA_10device_ptrIsEEEEPS6_NSA_18transform_iteratorI7is_evenIsESF_NSA_11use_defaultESK_EENS0_5tupleIJNSA_16discard_iteratorISK_EESO_EEENSM_IJSG_SG_EEES6_PlJS6_EEE10hipError_tPvRmT3_T4_T5_T6_T7_T9_mT8_P12ihipStream_tbDpT10_ENKUlT_T0_E_clISt17integral_constantIbLb0EES1B_EEDaS16_S17_EUlS16_E_NS1_11comp_targetILNS1_3genE10ELNS1_11target_archE1200ELNS1_3gpuE4ELNS1_3repE0EEENS1_30default_config_static_selectorELNS0_4arch9wavefront6targetE1EEEvT1_
	.p2align	8
	.type	_ZN7rocprim17ROCPRIM_400000_NS6detail17trampoline_kernelINS0_14default_configENS1_25partition_config_selectorILNS1_17partition_subalgoE1EsNS0_10empty_typeEbEEZZNS1_14partition_implILS5_1ELb0ES3_jN6thrust23THRUST_200600_302600_NS6detail15normal_iteratorINSA_10device_ptrIsEEEEPS6_NSA_18transform_iteratorI7is_evenIsESF_NSA_11use_defaultESK_EENS0_5tupleIJNSA_16discard_iteratorISK_EESO_EEENSM_IJSG_SG_EEES6_PlJS6_EEE10hipError_tPvRmT3_T4_T5_T6_T7_T9_mT8_P12ihipStream_tbDpT10_ENKUlT_T0_E_clISt17integral_constantIbLb0EES1B_EEDaS16_S17_EUlS16_E_NS1_11comp_targetILNS1_3genE10ELNS1_11target_archE1200ELNS1_3gpuE4ELNS1_3repE0EEENS1_30default_config_static_selectorELNS0_4arch9wavefront6targetE1EEEvT1_,@function
_ZN7rocprim17ROCPRIM_400000_NS6detail17trampoline_kernelINS0_14default_configENS1_25partition_config_selectorILNS1_17partition_subalgoE1EsNS0_10empty_typeEbEEZZNS1_14partition_implILS5_1ELb0ES3_jN6thrust23THRUST_200600_302600_NS6detail15normal_iteratorINSA_10device_ptrIsEEEEPS6_NSA_18transform_iteratorI7is_evenIsESF_NSA_11use_defaultESK_EENS0_5tupleIJNSA_16discard_iteratorISK_EESO_EEENSM_IJSG_SG_EEES6_PlJS6_EEE10hipError_tPvRmT3_T4_T5_T6_T7_T9_mT8_P12ihipStream_tbDpT10_ENKUlT_T0_E_clISt17integral_constantIbLb0EES1B_EEDaS16_S17_EUlS16_E_NS1_11comp_targetILNS1_3genE10ELNS1_11target_archE1200ELNS1_3gpuE4ELNS1_3repE0EEENS1_30default_config_static_selectorELNS0_4arch9wavefront6targetE1EEEvT1_: ; @_ZN7rocprim17ROCPRIM_400000_NS6detail17trampoline_kernelINS0_14default_configENS1_25partition_config_selectorILNS1_17partition_subalgoE1EsNS0_10empty_typeEbEEZZNS1_14partition_implILS5_1ELb0ES3_jN6thrust23THRUST_200600_302600_NS6detail15normal_iteratorINSA_10device_ptrIsEEEEPS6_NSA_18transform_iteratorI7is_evenIsESF_NSA_11use_defaultESK_EENS0_5tupleIJNSA_16discard_iteratorISK_EESO_EEENSM_IJSG_SG_EEES6_PlJS6_EEE10hipError_tPvRmT3_T4_T5_T6_T7_T9_mT8_P12ihipStream_tbDpT10_ENKUlT_T0_E_clISt17integral_constantIbLb0EES1B_EEDaS16_S17_EUlS16_E_NS1_11comp_targetILNS1_3genE10ELNS1_11target_archE1200ELNS1_3gpuE4ELNS1_3repE0EEENS1_30default_config_static_selectorELNS0_4arch9wavefront6targetE1EEEvT1_
; %bb.0:
	.section	.rodata,"a",@progbits
	.p2align	6, 0x0
	.amdhsa_kernel _ZN7rocprim17ROCPRIM_400000_NS6detail17trampoline_kernelINS0_14default_configENS1_25partition_config_selectorILNS1_17partition_subalgoE1EsNS0_10empty_typeEbEEZZNS1_14partition_implILS5_1ELb0ES3_jN6thrust23THRUST_200600_302600_NS6detail15normal_iteratorINSA_10device_ptrIsEEEEPS6_NSA_18transform_iteratorI7is_evenIsESF_NSA_11use_defaultESK_EENS0_5tupleIJNSA_16discard_iteratorISK_EESO_EEENSM_IJSG_SG_EEES6_PlJS6_EEE10hipError_tPvRmT3_T4_T5_T6_T7_T9_mT8_P12ihipStream_tbDpT10_ENKUlT_T0_E_clISt17integral_constantIbLb0EES1B_EEDaS16_S17_EUlS16_E_NS1_11comp_targetILNS1_3genE10ELNS1_11target_archE1200ELNS1_3gpuE4ELNS1_3repE0EEENS1_30default_config_static_selectorELNS0_4arch9wavefront6targetE1EEEvT1_
		.amdhsa_group_segment_fixed_size 0
		.amdhsa_private_segment_fixed_size 0
		.amdhsa_kernarg_size 144
		.amdhsa_user_sgpr_count 2
		.amdhsa_user_sgpr_dispatch_ptr 0
		.amdhsa_user_sgpr_queue_ptr 0
		.amdhsa_user_sgpr_kernarg_segment_ptr 1
		.amdhsa_user_sgpr_dispatch_id 0
		.amdhsa_user_sgpr_kernarg_preload_length 0
		.amdhsa_user_sgpr_kernarg_preload_offset 0
		.amdhsa_user_sgpr_private_segment_size 0
		.amdhsa_uses_dynamic_stack 0
		.amdhsa_enable_private_segment 0
		.amdhsa_system_sgpr_workgroup_id_x 1
		.amdhsa_system_sgpr_workgroup_id_y 0
		.amdhsa_system_sgpr_workgroup_id_z 0
		.amdhsa_system_sgpr_workgroup_info 0
		.amdhsa_system_vgpr_workitem_id 0
		.amdhsa_next_free_vgpr 1
		.amdhsa_next_free_sgpr 0
		.amdhsa_accum_offset 4
		.amdhsa_reserve_vcc 0
		.amdhsa_float_round_mode_32 0
		.amdhsa_float_round_mode_16_64 0
		.amdhsa_float_denorm_mode_32 3
		.amdhsa_float_denorm_mode_16_64 3
		.amdhsa_dx10_clamp 1
		.amdhsa_ieee_mode 1
		.amdhsa_fp16_overflow 0
		.amdhsa_tg_split 0
		.amdhsa_exception_fp_ieee_invalid_op 0
		.amdhsa_exception_fp_denorm_src 0
		.amdhsa_exception_fp_ieee_div_zero 0
		.amdhsa_exception_fp_ieee_overflow 0
		.amdhsa_exception_fp_ieee_underflow 0
		.amdhsa_exception_fp_ieee_inexact 0
		.amdhsa_exception_int_div_zero 0
	.end_amdhsa_kernel
	.section	.text._ZN7rocprim17ROCPRIM_400000_NS6detail17trampoline_kernelINS0_14default_configENS1_25partition_config_selectorILNS1_17partition_subalgoE1EsNS0_10empty_typeEbEEZZNS1_14partition_implILS5_1ELb0ES3_jN6thrust23THRUST_200600_302600_NS6detail15normal_iteratorINSA_10device_ptrIsEEEEPS6_NSA_18transform_iteratorI7is_evenIsESF_NSA_11use_defaultESK_EENS0_5tupleIJNSA_16discard_iteratorISK_EESO_EEENSM_IJSG_SG_EEES6_PlJS6_EEE10hipError_tPvRmT3_T4_T5_T6_T7_T9_mT8_P12ihipStream_tbDpT10_ENKUlT_T0_E_clISt17integral_constantIbLb0EES1B_EEDaS16_S17_EUlS16_E_NS1_11comp_targetILNS1_3genE10ELNS1_11target_archE1200ELNS1_3gpuE4ELNS1_3repE0EEENS1_30default_config_static_selectorELNS0_4arch9wavefront6targetE1EEEvT1_,"axG",@progbits,_ZN7rocprim17ROCPRIM_400000_NS6detail17trampoline_kernelINS0_14default_configENS1_25partition_config_selectorILNS1_17partition_subalgoE1EsNS0_10empty_typeEbEEZZNS1_14partition_implILS5_1ELb0ES3_jN6thrust23THRUST_200600_302600_NS6detail15normal_iteratorINSA_10device_ptrIsEEEEPS6_NSA_18transform_iteratorI7is_evenIsESF_NSA_11use_defaultESK_EENS0_5tupleIJNSA_16discard_iteratorISK_EESO_EEENSM_IJSG_SG_EEES6_PlJS6_EEE10hipError_tPvRmT3_T4_T5_T6_T7_T9_mT8_P12ihipStream_tbDpT10_ENKUlT_T0_E_clISt17integral_constantIbLb0EES1B_EEDaS16_S17_EUlS16_E_NS1_11comp_targetILNS1_3genE10ELNS1_11target_archE1200ELNS1_3gpuE4ELNS1_3repE0EEENS1_30default_config_static_selectorELNS0_4arch9wavefront6targetE1EEEvT1_,comdat
.Lfunc_end3360:
	.size	_ZN7rocprim17ROCPRIM_400000_NS6detail17trampoline_kernelINS0_14default_configENS1_25partition_config_selectorILNS1_17partition_subalgoE1EsNS0_10empty_typeEbEEZZNS1_14partition_implILS5_1ELb0ES3_jN6thrust23THRUST_200600_302600_NS6detail15normal_iteratorINSA_10device_ptrIsEEEEPS6_NSA_18transform_iteratorI7is_evenIsESF_NSA_11use_defaultESK_EENS0_5tupleIJNSA_16discard_iteratorISK_EESO_EEENSM_IJSG_SG_EEES6_PlJS6_EEE10hipError_tPvRmT3_T4_T5_T6_T7_T9_mT8_P12ihipStream_tbDpT10_ENKUlT_T0_E_clISt17integral_constantIbLb0EES1B_EEDaS16_S17_EUlS16_E_NS1_11comp_targetILNS1_3genE10ELNS1_11target_archE1200ELNS1_3gpuE4ELNS1_3repE0EEENS1_30default_config_static_selectorELNS0_4arch9wavefront6targetE1EEEvT1_, .Lfunc_end3360-_ZN7rocprim17ROCPRIM_400000_NS6detail17trampoline_kernelINS0_14default_configENS1_25partition_config_selectorILNS1_17partition_subalgoE1EsNS0_10empty_typeEbEEZZNS1_14partition_implILS5_1ELb0ES3_jN6thrust23THRUST_200600_302600_NS6detail15normal_iteratorINSA_10device_ptrIsEEEEPS6_NSA_18transform_iteratorI7is_evenIsESF_NSA_11use_defaultESK_EENS0_5tupleIJNSA_16discard_iteratorISK_EESO_EEENSM_IJSG_SG_EEES6_PlJS6_EEE10hipError_tPvRmT3_T4_T5_T6_T7_T9_mT8_P12ihipStream_tbDpT10_ENKUlT_T0_E_clISt17integral_constantIbLb0EES1B_EEDaS16_S17_EUlS16_E_NS1_11comp_targetILNS1_3genE10ELNS1_11target_archE1200ELNS1_3gpuE4ELNS1_3repE0EEENS1_30default_config_static_selectorELNS0_4arch9wavefront6targetE1EEEvT1_
                                        ; -- End function
	.section	.AMDGPU.csdata,"",@progbits
; Kernel info:
; codeLenInByte = 0
; NumSgprs: 6
; NumVgprs: 0
; NumAgprs: 0
; TotalNumVgprs: 0
; ScratchSize: 0
; MemoryBound: 0
; FloatMode: 240
; IeeeMode: 1
; LDSByteSize: 0 bytes/workgroup (compile time only)
; SGPRBlocks: 0
; VGPRBlocks: 0
; NumSGPRsForWavesPerEU: 6
; NumVGPRsForWavesPerEU: 1
; AccumOffset: 4
; Occupancy: 8
; WaveLimiterHint : 0
; COMPUTE_PGM_RSRC2:SCRATCH_EN: 0
; COMPUTE_PGM_RSRC2:USER_SGPR: 2
; COMPUTE_PGM_RSRC2:TRAP_HANDLER: 0
; COMPUTE_PGM_RSRC2:TGID_X_EN: 1
; COMPUTE_PGM_RSRC2:TGID_Y_EN: 0
; COMPUTE_PGM_RSRC2:TGID_Z_EN: 0
; COMPUTE_PGM_RSRC2:TIDIG_COMP_CNT: 0
; COMPUTE_PGM_RSRC3_GFX90A:ACCUM_OFFSET: 0
; COMPUTE_PGM_RSRC3_GFX90A:TG_SPLIT: 0
	.section	.text._ZN7rocprim17ROCPRIM_400000_NS6detail17trampoline_kernelINS0_14default_configENS1_25partition_config_selectorILNS1_17partition_subalgoE1EsNS0_10empty_typeEbEEZZNS1_14partition_implILS5_1ELb0ES3_jN6thrust23THRUST_200600_302600_NS6detail15normal_iteratorINSA_10device_ptrIsEEEEPS6_NSA_18transform_iteratorI7is_evenIsESF_NSA_11use_defaultESK_EENS0_5tupleIJNSA_16discard_iteratorISK_EESO_EEENSM_IJSG_SG_EEES6_PlJS6_EEE10hipError_tPvRmT3_T4_T5_T6_T7_T9_mT8_P12ihipStream_tbDpT10_ENKUlT_T0_E_clISt17integral_constantIbLb0EES1B_EEDaS16_S17_EUlS16_E_NS1_11comp_targetILNS1_3genE9ELNS1_11target_archE1100ELNS1_3gpuE3ELNS1_3repE0EEENS1_30default_config_static_selectorELNS0_4arch9wavefront6targetE1EEEvT1_,"axG",@progbits,_ZN7rocprim17ROCPRIM_400000_NS6detail17trampoline_kernelINS0_14default_configENS1_25partition_config_selectorILNS1_17partition_subalgoE1EsNS0_10empty_typeEbEEZZNS1_14partition_implILS5_1ELb0ES3_jN6thrust23THRUST_200600_302600_NS6detail15normal_iteratorINSA_10device_ptrIsEEEEPS6_NSA_18transform_iteratorI7is_evenIsESF_NSA_11use_defaultESK_EENS0_5tupleIJNSA_16discard_iteratorISK_EESO_EEENSM_IJSG_SG_EEES6_PlJS6_EEE10hipError_tPvRmT3_T4_T5_T6_T7_T9_mT8_P12ihipStream_tbDpT10_ENKUlT_T0_E_clISt17integral_constantIbLb0EES1B_EEDaS16_S17_EUlS16_E_NS1_11comp_targetILNS1_3genE9ELNS1_11target_archE1100ELNS1_3gpuE3ELNS1_3repE0EEENS1_30default_config_static_selectorELNS0_4arch9wavefront6targetE1EEEvT1_,comdat
	.protected	_ZN7rocprim17ROCPRIM_400000_NS6detail17trampoline_kernelINS0_14default_configENS1_25partition_config_selectorILNS1_17partition_subalgoE1EsNS0_10empty_typeEbEEZZNS1_14partition_implILS5_1ELb0ES3_jN6thrust23THRUST_200600_302600_NS6detail15normal_iteratorINSA_10device_ptrIsEEEEPS6_NSA_18transform_iteratorI7is_evenIsESF_NSA_11use_defaultESK_EENS0_5tupleIJNSA_16discard_iteratorISK_EESO_EEENSM_IJSG_SG_EEES6_PlJS6_EEE10hipError_tPvRmT3_T4_T5_T6_T7_T9_mT8_P12ihipStream_tbDpT10_ENKUlT_T0_E_clISt17integral_constantIbLb0EES1B_EEDaS16_S17_EUlS16_E_NS1_11comp_targetILNS1_3genE9ELNS1_11target_archE1100ELNS1_3gpuE3ELNS1_3repE0EEENS1_30default_config_static_selectorELNS0_4arch9wavefront6targetE1EEEvT1_ ; -- Begin function _ZN7rocprim17ROCPRIM_400000_NS6detail17trampoline_kernelINS0_14default_configENS1_25partition_config_selectorILNS1_17partition_subalgoE1EsNS0_10empty_typeEbEEZZNS1_14partition_implILS5_1ELb0ES3_jN6thrust23THRUST_200600_302600_NS6detail15normal_iteratorINSA_10device_ptrIsEEEEPS6_NSA_18transform_iteratorI7is_evenIsESF_NSA_11use_defaultESK_EENS0_5tupleIJNSA_16discard_iteratorISK_EESO_EEENSM_IJSG_SG_EEES6_PlJS6_EEE10hipError_tPvRmT3_T4_T5_T6_T7_T9_mT8_P12ihipStream_tbDpT10_ENKUlT_T0_E_clISt17integral_constantIbLb0EES1B_EEDaS16_S17_EUlS16_E_NS1_11comp_targetILNS1_3genE9ELNS1_11target_archE1100ELNS1_3gpuE3ELNS1_3repE0EEENS1_30default_config_static_selectorELNS0_4arch9wavefront6targetE1EEEvT1_
	.globl	_ZN7rocprim17ROCPRIM_400000_NS6detail17trampoline_kernelINS0_14default_configENS1_25partition_config_selectorILNS1_17partition_subalgoE1EsNS0_10empty_typeEbEEZZNS1_14partition_implILS5_1ELb0ES3_jN6thrust23THRUST_200600_302600_NS6detail15normal_iteratorINSA_10device_ptrIsEEEEPS6_NSA_18transform_iteratorI7is_evenIsESF_NSA_11use_defaultESK_EENS0_5tupleIJNSA_16discard_iteratorISK_EESO_EEENSM_IJSG_SG_EEES6_PlJS6_EEE10hipError_tPvRmT3_T4_T5_T6_T7_T9_mT8_P12ihipStream_tbDpT10_ENKUlT_T0_E_clISt17integral_constantIbLb0EES1B_EEDaS16_S17_EUlS16_E_NS1_11comp_targetILNS1_3genE9ELNS1_11target_archE1100ELNS1_3gpuE3ELNS1_3repE0EEENS1_30default_config_static_selectorELNS0_4arch9wavefront6targetE1EEEvT1_
	.p2align	8
	.type	_ZN7rocprim17ROCPRIM_400000_NS6detail17trampoline_kernelINS0_14default_configENS1_25partition_config_selectorILNS1_17partition_subalgoE1EsNS0_10empty_typeEbEEZZNS1_14partition_implILS5_1ELb0ES3_jN6thrust23THRUST_200600_302600_NS6detail15normal_iteratorINSA_10device_ptrIsEEEEPS6_NSA_18transform_iteratorI7is_evenIsESF_NSA_11use_defaultESK_EENS0_5tupleIJNSA_16discard_iteratorISK_EESO_EEENSM_IJSG_SG_EEES6_PlJS6_EEE10hipError_tPvRmT3_T4_T5_T6_T7_T9_mT8_P12ihipStream_tbDpT10_ENKUlT_T0_E_clISt17integral_constantIbLb0EES1B_EEDaS16_S17_EUlS16_E_NS1_11comp_targetILNS1_3genE9ELNS1_11target_archE1100ELNS1_3gpuE3ELNS1_3repE0EEENS1_30default_config_static_selectorELNS0_4arch9wavefront6targetE1EEEvT1_,@function
_ZN7rocprim17ROCPRIM_400000_NS6detail17trampoline_kernelINS0_14default_configENS1_25partition_config_selectorILNS1_17partition_subalgoE1EsNS0_10empty_typeEbEEZZNS1_14partition_implILS5_1ELb0ES3_jN6thrust23THRUST_200600_302600_NS6detail15normal_iteratorINSA_10device_ptrIsEEEEPS6_NSA_18transform_iteratorI7is_evenIsESF_NSA_11use_defaultESK_EENS0_5tupleIJNSA_16discard_iteratorISK_EESO_EEENSM_IJSG_SG_EEES6_PlJS6_EEE10hipError_tPvRmT3_T4_T5_T6_T7_T9_mT8_P12ihipStream_tbDpT10_ENKUlT_T0_E_clISt17integral_constantIbLb0EES1B_EEDaS16_S17_EUlS16_E_NS1_11comp_targetILNS1_3genE9ELNS1_11target_archE1100ELNS1_3gpuE3ELNS1_3repE0EEENS1_30default_config_static_selectorELNS0_4arch9wavefront6targetE1EEEvT1_: ; @_ZN7rocprim17ROCPRIM_400000_NS6detail17trampoline_kernelINS0_14default_configENS1_25partition_config_selectorILNS1_17partition_subalgoE1EsNS0_10empty_typeEbEEZZNS1_14partition_implILS5_1ELb0ES3_jN6thrust23THRUST_200600_302600_NS6detail15normal_iteratorINSA_10device_ptrIsEEEEPS6_NSA_18transform_iteratorI7is_evenIsESF_NSA_11use_defaultESK_EENS0_5tupleIJNSA_16discard_iteratorISK_EESO_EEENSM_IJSG_SG_EEES6_PlJS6_EEE10hipError_tPvRmT3_T4_T5_T6_T7_T9_mT8_P12ihipStream_tbDpT10_ENKUlT_T0_E_clISt17integral_constantIbLb0EES1B_EEDaS16_S17_EUlS16_E_NS1_11comp_targetILNS1_3genE9ELNS1_11target_archE1100ELNS1_3gpuE3ELNS1_3repE0EEENS1_30default_config_static_selectorELNS0_4arch9wavefront6targetE1EEEvT1_
; %bb.0:
	.section	.rodata,"a",@progbits
	.p2align	6, 0x0
	.amdhsa_kernel _ZN7rocprim17ROCPRIM_400000_NS6detail17trampoline_kernelINS0_14default_configENS1_25partition_config_selectorILNS1_17partition_subalgoE1EsNS0_10empty_typeEbEEZZNS1_14partition_implILS5_1ELb0ES3_jN6thrust23THRUST_200600_302600_NS6detail15normal_iteratorINSA_10device_ptrIsEEEEPS6_NSA_18transform_iteratorI7is_evenIsESF_NSA_11use_defaultESK_EENS0_5tupleIJNSA_16discard_iteratorISK_EESO_EEENSM_IJSG_SG_EEES6_PlJS6_EEE10hipError_tPvRmT3_T4_T5_T6_T7_T9_mT8_P12ihipStream_tbDpT10_ENKUlT_T0_E_clISt17integral_constantIbLb0EES1B_EEDaS16_S17_EUlS16_E_NS1_11comp_targetILNS1_3genE9ELNS1_11target_archE1100ELNS1_3gpuE3ELNS1_3repE0EEENS1_30default_config_static_selectorELNS0_4arch9wavefront6targetE1EEEvT1_
		.amdhsa_group_segment_fixed_size 0
		.amdhsa_private_segment_fixed_size 0
		.amdhsa_kernarg_size 144
		.amdhsa_user_sgpr_count 2
		.amdhsa_user_sgpr_dispatch_ptr 0
		.amdhsa_user_sgpr_queue_ptr 0
		.amdhsa_user_sgpr_kernarg_segment_ptr 1
		.amdhsa_user_sgpr_dispatch_id 0
		.amdhsa_user_sgpr_kernarg_preload_length 0
		.amdhsa_user_sgpr_kernarg_preload_offset 0
		.amdhsa_user_sgpr_private_segment_size 0
		.amdhsa_uses_dynamic_stack 0
		.amdhsa_enable_private_segment 0
		.amdhsa_system_sgpr_workgroup_id_x 1
		.amdhsa_system_sgpr_workgroup_id_y 0
		.amdhsa_system_sgpr_workgroup_id_z 0
		.amdhsa_system_sgpr_workgroup_info 0
		.amdhsa_system_vgpr_workitem_id 0
		.amdhsa_next_free_vgpr 1
		.amdhsa_next_free_sgpr 0
		.amdhsa_accum_offset 4
		.amdhsa_reserve_vcc 0
		.amdhsa_float_round_mode_32 0
		.amdhsa_float_round_mode_16_64 0
		.amdhsa_float_denorm_mode_32 3
		.amdhsa_float_denorm_mode_16_64 3
		.amdhsa_dx10_clamp 1
		.amdhsa_ieee_mode 1
		.amdhsa_fp16_overflow 0
		.amdhsa_tg_split 0
		.amdhsa_exception_fp_ieee_invalid_op 0
		.amdhsa_exception_fp_denorm_src 0
		.amdhsa_exception_fp_ieee_div_zero 0
		.amdhsa_exception_fp_ieee_overflow 0
		.amdhsa_exception_fp_ieee_underflow 0
		.amdhsa_exception_fp_ieee_inexact 0
		.amdhsa_exception_int_div_zero 0
	.end_amdhsa_kernel
	.section	.text._ZN7rocprim17ROCPRIM_400000_NS6detail17trampoline_kernelINS0_14default_configENS1_25partition_config_selectorILNS1_17partition_subalgoE1EsNS0_10empty_typeEbEEZZNS1_14partition_implILS5_1ELb0ES3_jN6thrust23THRUST_200600_302600_NS6detail15normal_iteratorINSA_10device_ptrIsEEEEPS6_NSA_18transform_iteratorI7is_evenIsESF_NSA_11use_defaultESK_EENS0_5tupleIJNSA_16discard_iteratorISK_EESO_EEENSM_IJSG_SG_EEES6_PlJS6_EEE10hipError_tPvRmT3_T4_T5_T6_T7_T9_mT8_P12ihipStream_tbDpT10_ENKUlT_T0_E_clISt17integral_constantIbLb0EES1B_EEDaS16_S17_EUlS16_E_NS1_11comp_targetILNS1_3genE9ELNS1_11target_archE1100ELNS1_3gpuE3ELNS1_3repE0EEENS1_30default_config_static_selectorELNS0_4arch9wavefront6targetE1EEEvT1_,"axG",@progbits,_ZN7rocprim17ROCPRIM_400000_NS6detail17trampoline_kernelINS0_14default_configENS1_25partition_config_selectorILNS1_17partition_subalgoE1EsNS0_10empty_typeEbEEZZNS1_14partition_implILS5_1ELb0ES3_jN6thrust23THRUST_200600_302600_NS6detail15normal_iteratorINSA_10device_ptrIsEEEEPS6_NSA_18transform_iteratorI7is_evenIsESF_NSA_11use_defaultESK_EENS0_5tupleIJNSA_16discard_iteratorISK_EESO_EEENSM_IJSG_SG_EEES6_PlJS6_EEE10hipError_tPvRmT3_T4_T5_T6_T7_T9_mT8_P12ihipStream_tbDpT10_ENKUlT_T0_E_clISt17integral_constantIbLb0EES1B_EEDaS16_S17_EUlS16_E_NS1_11comp_targetILNS1_3genE9ELNS1_11target_archE1100ELNS1_3gpuE3ELNS1_3repE0EEENS1_30default_config_static_selectorELNS0_4arch9wavefront6targetE1EEEvT1_,comdat
.Lfunc_end3361:
	.size	_ZN7rocprim17ROCPRIM_400000_NS6detail17trampoline_kernelINS0_14default_configENS1_25partition_config_selectorILNS1_17partition_subalgoE1EsNS0_10empty_typeEbEEZZNS1_14partition_implILS5_1ELb0ES3_jN6thrust23THRUST_200600_302600_NS6detail15normal_iteratorINSA_10device_ptrIsEEEEPS6_NSA_18transform_iteratorI7is_evenIsESF_NSA_11use_defaultESK_EENS0_5tupleIJNSA_16discard_iteratorISK_EESO_EEENSM_IJSG_SG_EEES6_PlJS6_EEE10hipError_tPvRmT3_T4_T5_T6_T7_T9_mT8_P12ihipStream_tbDpT10_ENKUlT_T0_E_clISt17integral_constantIbLb0EES1B_EEDaS16_S17_EUlS16_E_NS1_11comp_targetILNS1_3genE9ELNS1_11target_archE1100ELNS1_3gpuE3ELNS1_3repE0EEENS1_30default_config_static_selectorELNS0_4arch9wavefront6targetE1EEEvT1_, .Lfunc_end3361-_ZN7rocprim17ROCPRIM_400000_NS6detail17trampoline_kernelINS0_14default_configENS1_25partition_config_selectorILNS1_17partition_subalgoE1EsNS0_10empty_typeEbEEZZNS1_14partition_implILS5_1ELb0ES3_jN6thrust23THRUST_200600_302600_NS6detail15normal_iteratorINSA_10device_ptrIsEEEEPS6_NSA_18transform_iteratorI7is_evenIsESF_NSA_11use_defaultESK_EENS0_5tupleIJNSA_16discard_iteratorISK_EESO_EEENSM_IJSG_SG_EEES6_PlJS6_EEE10hipError_tPvRmT3_T4_T5_T6_T7_T9_mT8_P12ihipStream_tbDpT10_ENKUlT_T0_E_clISt17integral_constantIbLb0EES1B_EEDaS16_S17_EUlS16_E_NS1_11comp_targetILNS1_3genE9ELNS1_11target_archE1100ELNS1_3gpuE3ELNS1_3repE0EEENS1_30default_config_static_selectorELNS0_4arch9wavefront6targetE1EEEvT1_
                                        ; -- End function
	.section	.AMDGPU.csdata,"",@progbits
; Kernel info:
; codeLenInByte = 0
; NumSgprs: 6
; NumVgprs: 0
; NumAgprs: 0
; TotalNumVgprs: 0
; ScratchSize: 0
; MemoryBound: 0
; FloatMode: 240
; IeeeMode: 1
; LDSByteSize: 0 bytes/workgroup (compile time only)
; SGPRBlocks: 0
; VGPRBlocks: 0
; NumSGPRsForWavesPerEU: 6
; NumVGPRsForWavesPerEU: 1
; AccumOffset: 4
; Occupancy: 8
; WaveLimiterHint : 0
; COMPUTE_PGM_RSRC2:SCRATCH_EN: 0
; COMPUTE_PGM_RSRC2:USER_SGPR: 2
; COMPUTE_PGM_RSRC2:TRAP_HANDLER: 0
; COMPUTE_PGM_RSRC2:TGID_X_EN: 1
; COMPUTE_PGM_RSRC2:TGID_Y_EN: 0
; COMPUTE_PGM_RSRC2:TGID_Z_EN: 0
; COMPUTE_PGM_RSRC2:TIDIG_COMP_CNT: 0
; COMPUTE_PGM_RSRC3_GFX90A:ACCUM_OFFSET: 0
; COMPUTE_PGM_RSRC3_GFX90A:TG_SPLIT: 0
	.section	.text._ZN7rocprim17ROCPRIM_400000_NS6detail17trampoline_kernelINS0_14default_configENS1_25partition_config_selectorILNS1_17partition_subalgoE1EsNS0_10empty_typeEbEEZZNS1_14partition_implILS5_1ELb0ES3_jN6thrust23THRUST_200600_302600_NS6detail15normal_iteratorINSA_10device_ptrIsEEEEPS6_NSA_18transform_iteratorI7is_evenIsESF_NSA_11use_defaultESK_EENS0_5tupleIJNSA_16discard_iteratorISK_EESO_EEENSM_IJSG_SG_EEES6_PlJS6_EEE10hipError_tPvRmT3_T4_T5_T6_T7_T9_mT8_P12ihipStream_tbDpT10_ENKUlT_T0_E_clISt17integral_constantIbLb0EES1B_EEDaS16_S17_EUlS16_E_NS1_11comp_targetILNS1_3genE8ELNS1_11target_archE1030ELNS1_3gpuE2ELNS1_3repE0EEENS1_30default_config_static_selectorELNS0_4arch9wavefront6targetE1EEEvT1_,"axG",@progbits,_ZN7rocprim17ROCPRIM_400000_NS6detail17trampoline_kernelINS0_14default_configENS1_25partition_config_selectorILNS1_17partition_subalgoE1EsNS0_10empty_typeEbEEZZNS1_14partition_implILS5_1ELb0ES3_jN6thrust23THRUST_200600_302600_NS6detail15normal_iteratorINSA_10device_ptrIsEEEEPS6_NSA_18transform_iteratorI7is_evenIsESF_NSA_11use_defaultESK_EENS0_5tupleIJNSA_16discard_iteratorISK_EESO_EEENSM_IJSG_SG_EEES6_PlJS6_EEE10hipError_tPvRmT3_T4_T5_T6_T7_T9_mT8_P12ihipStream_tbDpT10_ENKUlT_T0_E_clISt17integral_constantIbLb0EES1B_EEDaS16_S17_EUlS16_E_NS1_11comp_targetILNS1_3genE8ELNS1_11target_archE1030ELNS1_3gpuE2ELNS1_3repE0EEENS1_30default_config_static_selectorELNS0_4arch9wavefront6targetE1EEEvT1_,comdat
	.protected	_ZN7rocprim17ROCPRIM_400000_NS6detail17trampoline_kernelINS0_14default_configENS1_25partition_config_selectorILNS1_17partition_subalgoE1EsNS0_10empty_typeEbEEZZNS1_14partition_implILS5_1ELb0ES3_jN6thrust23THRUST_200600_302600_NS6detail15normal_iteratorINSA_10device_ptrIsEEEEPS6_NSA_18transform_iteratorI7is_evenIsESF_NSA_11use_defaultESK_EENS0_5tupleIJNSA_16discard_iteratorISK_EESO_EEENSM_IJSG_SG_EEES6_PlJS6_EEE10hipError_tPvRmT3_T4_T5_T6_T7_T9_mT8_P12ihipStream_tbDpT10_ENKUlT_T0_E_clISt17integral_constantIbLb0EES1B_EEDaS16_S17_EUlS16_E_NS1_11comp_targetILNS1_3genE8ELNS1_11target_archE1030ELNS1_3gpuE2ELNS1_3repE0EEENS1_30default_config_static_selectorELNS0_4arch9wavefront6targetE1EEEvT1_ ; -- Begin function _ZN7rocprim17ROCPRIM_400000_NS6detail17trampoline_kernelINS0_14default_configENS1_25partition_config_selectorILNS1_17partition_subalgoE1EsNS0_10empty_typeEbEEZZNS1_14partition_implILS5_1ELb0ES3_jN6thrust23THRUST_200600_302600_NS6detail15normal_iteratorINSA_10device_ptrIsEEEEPS6_NSA_18transform_iteratorI7is_evenIsESF_NSA_11use_defaultESK_EENS0_5tupleIJNSA_16discard_iteratorISK_EESO_EEENSM_IJSG_SG_EEES6_PlJS6_EEE10hipError_tPvRmT3_T4_T5_T6_T7_T9_mT8_P12ihipStream_tbDpT10_ENKUlT_T0_E_clISt17integral_constantIbLb0EES1B_EEDaS16_S17_EUlS16_E_NS1_11comp_targetILNS1_3genE8ELNS1_11target_archE1030ELNS1_3gpuE2ELNS1_3repE0EEENS1_30default_config_static_selectorELNS0_4arch9wavefront6targetE1EEEvT1_
	.globl	_ZN7rocprim17ROCPRIM_400000_NS6detail17trampoline_kernelINS0_14default_configENS1_25partition_config_selectorILNS1_17partition_subalgoE1EsNS0_10empty_typeEbEEZZNS1_14partition_implILS5_1ELb0ES3_jN6thrust23THRUST_200600_302600_NS6detail15normal_iteratorINSA_10device_ptrIsEEEEPS6_NSA_18transform_iteratorI7is_evenIsESF_NSA_11use_defaultESK_EENS0_5tupleIJNSA_16discard_iteratorISK_EESO_EEENSM_IJSG_SG_EEES6_PlJS6_EEE10hipError_tPvRmT3_T4_T5_T6_T7_T9_mT8_P12ihipStream_tbDpT10_ENKUlT_T0_E_clISt17integral_constantIbLb0EES1B_EEDaS16_S17_EUlS16_E_NS1_11comp_targetILNS1_3genE8ELNS1_11target_archE1030ELNS1_3gpuE2ELNS1_3repE0EEENS1_30default_config_static_selectorELNS0_4arch9wavefront6targetE1EEEvT1_
	.p2align	8
	.type	_ZN7rocprim17ROCPRIM_400000_NS6detail17trampoline_kernelINS0_14default_configENS1_25partition_config_selectorILNS1_17partition_subalgoE1EsNS0_10empty_typeEbEEZZNS1_14partition_implILS5_1ELb0ES3_jN6thrust23THRUST_200600_302600_NS6detail15normal_iteratorINSA_10device_ptrIsEEEEPS6_NSA_18transform_iteratorI7is_evenIsESF_NSA_11use_defaultESK_EENS0_5tupleIJNSA_16discard_iteratorISK_EESO_EEENSM_IJSG_SG_EEES6_PlJS6_EEE10hipError_tPvRmT3_T4_T5_T6_T7_T9_mT8_P12ihipStream_tbDpT10_ENKUlT_T0_E_clISt17integral_constantIbLb0EES1B_EEDaS16_S17_EUlS16_E_NS1_11comp_targetILNS1_3genE8ELNS1_11target_archE1030ELNS1_3gpuE2ELNS1_3repE0EEENS1_30default_config_static_selectorELNS0_4arch9wavefront6targetE1EEEvT1_,@function
_ZN7rocprim17ROCPRIM_400000_NS6detail17trampoline_kernelINS0_14default_configENS1_25partition_config_selectorILNS1_17partition_subalgoE1EsNS0_10empty_typeEbEEZZNS1_14partition_implILS5_1ELb0ES3_jN6thrust23THRUST_200600_302600_NS6detail15normal_iteratorINSA_10device_ptrIsEEEEPS6_NSA_18transform_iteratorI7is_evenIsESF_NSA_11use_defaultESK_EENS0_5tupleIJNSA_16discard_iteratorISK_EESO_EEENSM_IJSG_SG_EEES6_PlJS6_EEE10hipError_tPvRmT3_T4_T5_T6_T7_T9_mT8_P12ihipStream_tbDpT10_ENKUlT_T0_E_clISt17integral_constantIbLb0EES1B_EEDaS16_S17_EUlS16_E_NS1_11comp_targetILNS1_3genE8ELNS1_11target_archE1030ELNS1_3gpuE2ELNS1_3repE0EEENS1_30default_config_static_selectorELNS0_4arch9wavefront6targetE1EEEvT1_: ; @_ZN7rocprim17ROCPRIM_400000_NS6detail17trampoline_kernelINS0_14default_configENS1_25partition_config_selectorILNS1_17partition_subalgoE1EsNS0_10empty_typeEbEEZZNS1_14partition_implILS5_1ELb0ES3_jN6thrust23THRUST_200600_302600_NS6detail15normal_iteratorINSA_10device_ptrIsEEEEPS6_NSA_18transform_iteratorI7is_evenIsESF_NSA_11use_defaultESK_EENS0_5tupleIJNSA_16discard_iteratorISK_EESO_EEENSM_IJSG_SG_EEES6_PlJS6_EEE10hipError_tPvRmT3_T4_T5_T6_T7_T9_mT8_P12ihipStream_tbDpT10_ENKUlT_T0_E_clISt17integral_constantIbLb0EES1B_EEDaS16_S17_EUlS16_E_NS1_11comp_targetILNS1_3genE8ELNS1_11target_archE1030ELNS1_3gpuE2ELNS1_3repE0EEENS1_30default_config_static_selectorELNS0_4arch9wavefront6targetE1EEEvT1_
; %bb.0:
	.section	.rodata,"a",@progbits
	.p2align	6, 0x0
	.amdhsa_kernel _ZN7rocprim17ROCPRIM_400000_NS6detail17trampoline_kernelINS0_14default_configENS1_25partition_config_selectorILNS1_17partition_subalgoE1EsNS0_10empty_typeEbEEZZNS1_14partition_implILS5_1ELb0ES3_jN6thrust23THRUST_200600_302600_NS6detail15normal_iteratorINSA_10device_ptrIsEEEEPS6_NSA_18transform_iteratorI7is_evenIsESF_NSA_11use_defaultESK_EENS0_5tupleIJNSA_16discard_iteratorISK_EESO_EEENSM_IJSG_SG_EEES6_PlJS6_EEE10hipError_tPvRmT3_T4_T5_T6_T7_T9_mT8_P12ihipStream_tbDpT10_ENKUlT_T0_E_clISt17integral_constantIbLb0EES1B_EEDaS16_S17_EUlS16_E_NS1_11comp_targetILNS1_3genE8ELNS1_11target_archE1030ELNS1_3gpuE2ELNS1_3repE0EEENS1_30default_config_static_selectorELNS0_4arch9wavefront6targetE1EEEvT1_
		.amdhsa_group_segment_fixed_size 0
		.amdhsa_private_segment_fixed_size 0
		.amdhsa_kernarg_size 144
		.amdhsa_user_sgpr_count 2
		.amdhsa_user_sgpr_dispatch_ptr 0
		.amdhsa_user_sgpr_queue_ptr 0
		.amdhsa_user_sgpr_kernarg_segment_ptr 1
		.amdhsa_user_sgpr_dispatch_id 0
		.amdhsa_user_sgpr_kernarg_preload_length 0
		.amdhsa_user_sgpr_kernarg_preload_offset 0
		.amdhsa_user_sgpr_private_segment_size 0
		.amdhsa_uses_dynamic_stack 0
		.amdhsa_enable_private_segment 0
		.amdhsa_system_sgpr_workgroup_id_x 1
		.amdhsa_system_sgpr_workgroup_id_y 0
		.amdhsa_system_sgpr_workgroup_id_z 0
		.amdhsa_system_sgpr_workgroup_info 0
		.amdhsa_system_vgpr_workitem_id 0
		.amdhsa_next_free_vgpr 1
		.amdhsa_next_free_sgpr 0
		.amdhsa_accum_offset 4
		.amdhsa_reserve_vcc 0
		.amdhsa_float_round_mode_32 0
		.amdhsa_float_round_mode_16_64 0
		.amdhsa_float_denorm_mode_32 3
		.amdhsa_float_denorm_mode_16_64 3
		.amdhsa_dx10_clamp 1
		.amdhsa_ieee_mode 1
		.amdhsa_fp16_overflow 0
		.amdhsa_tg_split 0
		.amdhsa_exception_fp_ieee_invalid_op 0
		.amdhsa_exception_fp_denorm_src 0
		.amdhsa_exception_fp_ieee_div_zero 0
		.amdhsa_exception_fp_ieee_overflow 0
		.amdhsa_exception_fp_ieee_underflow 0
		.amdhsa_exception_fp_ieee_inexact 0
		.amdhsa_exception_int_div_zero 0
	.end_amdhsa_kernel
	.section	.text._ZN7rocprim17ROCPRIM_400000_NS6detail17trampoline_kernelINS0_14default_configENS1_25partition_config_selectorILNS1_17partition_subalgoE1EsNS0_10empty_typeEbEEZZNS1_14partition_implILS5_1ELb0ES3_jN6thrust23THRUST_200600_302600_NS6detail15normal_iteratorINSA_10device_ptrIsEEEEPS6_NSA_18transform_iteratorI7is_evenIsESF_NSA_11use_defaultESK_EENS0_5tupleIJNSA_16discard_iteratorISK_EESO_EEENSM_IJSG_SG_EEES6_PlJS6_EEE10hipError_tPvRmT3_T4_T5_T6_T7_T9_mT8_P12ihipStream_tbDpT10_ENKUlT_T0_E_clISt17integral_constantIbLb0EES1B_EEDaS16_S17_EUlS16_E_NS1_11comp_targetILNS1_3genE8ELNS1_11target_archE1030ELNS1_3gpuE2ELNS1_3repE0EEENS1_30default_config_static_selectorELNS0_4arch9wavefront6targetE1EEEvT1_,"axG",@progbits,_ZN7rocprim17ROCPRIM_400000_NS6detail17trampoline_kernelINS0_14default_configENS1_25partition_config_selectorILNS1_17partition_subalgoE1EsNS0_10empty_typeEbEEZZNS1_14partition_implILS5_1ELb0ES3_jN6thrust23THRUST_200600_302600_NS6detail15normal_iteratorINSA_10device_ptrIsEEEEPS6_NSA_18transform_iteratorI7is_evenIsESF_NSA_11use_defaultESK_EENS0_5tupleIJNSA_16discard_iteratorISK_EESO_EEENSM_IJSG_SG_EEES6_PlJS6_EEE10hipError_tPvRmT3_T4_T5_T6_T7_T9_mT8_P12ihipStream_tbDpT10_ENKUlT_T0_E_clISt17integral_constantIbLb0EES1B_EEDaS16_S17_EUlS16_E_NS1_11comp_targetILNS1_3genE8ELNS1_11target_archE1030ELNS1_3gpuE2ELNS1_3repE0EEENS1_30default_config_static_selectorELNS0_4arch9wavefront6targetE1EEEvT1_,comdat
.Lfunc_end3362:
	.size	_ZN7rocprim17ROCPRIM_400000_NS6detail17trampoline_kernelINS0_14default_configENS1_25partition_config_selectorILNS1_17partition_subalgoE1EsNS0_10empty_typeEbEEZZNS1_14partition_implILS5_1ELb0ES3_jN6thrust23THRUST_200600_302600_NS6detail15normal_iteratorINSA_10device_ptrIsEEEEPS6_NSA_18transform_iteratorI7is_evenIsESF_NSA_11use_defaultESK_EENS0_5tupleIJNSA_16discard_iteratorISK_EESO_EEENSM_IJSG_SG_EEES6_PlJS6_EEE10hipError_tPvRmT3_T4_T5_T6_T7_T9_mT8_P12ihipStream_tbDpT10_ENKUlT_T0_E_clISt17integral_constantIbLb0EES1B_EEDaS16_S17_EUlS16_E_NS1_11comp_targetILNS1_3genE8ELNS1_11target_archE1030ELNS1_3gpuE2ELNS1_3repE0EEENS1_30default_config_static_selectorELNS0_4arch9wavefront6targetE1EEEvT1_, .Lfunc_end3362-_ZN7rocprim17ROCPRIM_400000_NS6detail17trampoline_kernelINS0_14default_configENS1_25partition_config_selectorILNS1_17partition_subalgoE1EsNS0_10empty_typeEbEEZZNS1_14partition_implILS5_1ELb0ES3_jN6thrust23THRUST_200600_302600_NS6detail15normal_iteratorINSA_10device_ptrIsEEEEPS6_NSA_18transform_iteratorI7is_evenIsESF_NSA_11use_defaultESK_EENS0_5tupleIJNSA_16discard_iteratorISK_EESO_EEENSM_IJSG_SG_EEES6_PlJS6_EEE10hipError_tPvRmT3_T4_T5_T6_T7_T9_mT8_P12ihipStream_tbDpT10_ENKUlT_T0_E_clISt17integral_constantIbLb0EES1B_EEDaS16_S17_EUlS16_E_NS1_11comp_targetILNS1_3genE8ELNS1_11target_archE1030ELNS1_3gpuE2ELNS1_3repE0EEENS1_30default_config_static_selectorELNS0_4arch9wavefront6targetE1EEEvT1_
                                        ; -- End function
	.section	.AMDGPU.csdata,"",@progbits
; Kernel info:
; codeLenInByte = 0
; NumSgprs: 6
; NumVgprs: 0
; NumAgprs: 0
; TotalNumVgprs: 0
; ScratchSize: 0
; MemoryBound: 0
; FloatMode: 240
; IeeeMode: 1
; LDSByteSize: 0 bytes/workgroup (compile time only)
; SGPRBlocks: 0
; VGPRBlocks: 0
; NumSGPRsForWavesPerEU: 6
; NumVGPRsForWavesPerEU: 1
; AccumOffset: 4
; Occupancy: 8
; WaveLimiterHint : 0
; COMPUTE_PGM_RSRC2:SCRATCH_EN: 0
; COMPUTE_PGM_RSRC2:USER_SGPR: 2
; COMPUTE_PGM_RSRC2:TRAP_HANDLER: 0
; COMPUTE_PGM_RSRC2:TGID_X_EN: 1
; COMPUTE_PGM_RSRC2:TGID_Y_EN: 0
; COMPUTE_PGM_RSRC2:TGID_Z_EN: 0
; COMPUTE_PGM_RSRC2:TIDIG_COMP_CNT: 0
; COMPUTE_PGM_RSRC3_GFX90A:ACCUM_OFFSET: 0
; COMPUTE_PGM_RSRC3_GFX90A:TG_SPLIT: 0
	.section	.text._ZN7rocprim17ROCPRIM_400000_NS6detail17trampoline_kernelINS0_14default_configENS1_25partition_config_selectorILNS1_17partition_subalgoE1EsNS0_10empty_typeEbEEZZNS1_14partition_implILS5_1ELb0ES3_jN6thrust23THRUST_200600_302600_NS6detail15normal_iteratorINSA_10device_ptrIsEEEEPS6_NSA_18transform_iteratorI7is_evenIsESF_NSA_11use_defaultESK_EENS0_5tupleIJNSA_16discard_iteratorISK_EESO_EEENSM_IJSG_SG_EEES6_PlJS6_EEE10hipError_tPvRmT3_T4_T5_T6_T7_T9_mT8_P12ihipStream_tbDpT10_ENKUlT_T0_E_clISt17integral_constantIbLb1EES1B_EEDaS16_S17_EUlS16_E_NS1_11comp_targetILNS1_3genE0ELNS1_11target_archE4294967295ELNS1_3gpuE0ELNS1_3repE0EEENS1_30default_config_static_selectorELNS0_4arch9wavefront6targetE1EEEvT1_,"axG",@progbits,_ZN7rocprim17ROCPRIM_400000_NS6detail17trampoline_kernelINS0_14default_configENS1_25partition_config_selectorILNS1_17partition_subalgoE1EsNS0_10empty_typeEbEEZZNS1_14partition_implILS5_1ELb0ES3_jN6thrust23THRUST_200600_302600_NS6detail15normal_iteratorINSA_10device_ptrIsEEEEPS6_NSA_18transform_iteratorI7is_evenIsESF_NSA_11use_defaultESK_EENS0_5tupleIJNSA_16discard_iteratorISK_EESO_EEENSM_IJSG_SG_EEES6_PlJS6_EEE10hipError_tPvRmT3_T4_T5_T6_T7_T9_mT8_P12ihipStream_tbDpT10_ENKUlT_T0_E_clISt17integral_constantIbLb1EES1B_EEDaS16_S17_EUlS16_E_NS1_11comp_targetILNS1_3genE0ELNS1_11target_archE4294967295ELNS1_3gpuE0ELNS1_3repE0EEENS1_30default_config_static_selectorELNS0_4arch9wavefront6targetE1EEEvT1_,comdat
	.protected	_ZN7rocprim17ROCPRIM_400000_NS6detail17trampoline_kernelINS0_14default_configENS1_25partition_config_selectorILNS1_17partition_subalgoE1EsNS0_10empty_typeEbEEZZNS1_14partition_implILS5_1ELb0ES3_jN6thrust23THRUST_200600_302600_NS6detail15normal_iteratorINSA_10device_ptrIsEEEEPS6_NSA_18transform_iteratorI7is_evenIsESF_NSA_11use_defaultESK_EENS0_5tupleIJNSA_16discard_iteratorISK_EESO_EEENSM_IJSG_SG_EEES6_PlJS6_EEE10hipError_tPvRmT3_T4_T5_T6_T7_T9_mT8_P12ihipStream_tbDpT10_ENKUlT_T0_E_clISt17integral_constantIbLb1EES1B_EEDaS16_S17_EUlS16_E_NS1_11comp_targetILNS1_3genE0ELNS1_11target_archE4294967295ELNS1_3gpuE0ELNS1_3repE0EEENS1_30default_config_static_selectorELNS0_4arch9wavefront6targetE1EEEvT1_ ; -- Begin function _ZN7rocprim17ROCPRIM_400000_NS6detail17trampoline_kernelINS0_14default_configENS1_25partition_config_selectorILNS1_17partition_subalgoE1EsNS0_10empty_typeEbEEZZNS1_14partition_implILS5_1ELb0ES3_jN6thrust23THRUST_200600_302600_NS6detail15normal_iteratorINSA_10device_ptrIsEEEEPS6_NSA_18transform_iteratorI7is_evenIsESF_NSA_11use_defaultESK_EENS0_5tupleIJNSA_16discard_iteratorISK_EESO_EEENSM_IJSG_SG_EEES6_PlJS6_EEE10hipError_tPvRmT3_T4_T5_T6_T7_T9_mT8_P12ihipStream_tbDpT10_ENKUlT_T0_E_clISt17integral_constantIbLb1EES1B_EEDaS16_S17_EUlS16_E_NS1_11comp_targetILNS1_3genE0ELNS1_11target_archE4294967295ELNS1_3gpuE0ELNS1_3repE0EEENS1_30default_config_static_selectorELNS0_4arch9wavefront6targetE1EEEvT1_
	.globl	_ZN7rocprim17ROCPRIM_400000_NS6detail17trampoline_kernelINS0_14default_configENS1_25partition_config_selectorILNS1_17partition_subalgoE1EsNS0_10empty_typeEbEEZZNS1_14partition_implILS5_1ELb0ES3_jN6thrust23THRUST_200600_302600_NS6detail15normal_iteratorINSA_10device_ptrIsEEEEPS6_NSA_18transform_iteratorI7is_evenIsESF_NSA_11use_defaultESK_EENS0_5tupleIJNSA_16discard_iteratorISK_EESO_EEENSM_IJSG_SG_EEES6_PlJS6_EEE10hipError_tPvRmT3_T4_T5_T6_T7_T9_mT8_P12ihipStream_tbDpT10_ENKUlT_T0_E_clISt17integral_constantIbLb1EES1B_EEDaS16_S17_EUlS16_E_NS1_11comp_targetILNS1_3genE0ELNS1_11target_archE4294967295ELNS1_3gpuE0ELNS1_3repE0EEENS1_30default_config_static_selectorELNS0_4arch9wavefront6targetE1EEEvT1_
	.p2align	8
	.type	_ZN7rocprim17ROCPRIM_400000_NS6detail17trampoline_kernelINS0_14default_configENS1_25partition_config_selectorILNS1_17partition_subalgoE1EsNS0_10empty_typeEbEEZZNS1_14partition_implILS5_1ELb0ES3_jN6thrust23THRUST_200600_302600_NS6detail15normal_iteratorINSA_10device_ptrIsEEEEPS6_NSA_18transform_iteratorI7is_evenIsESF_NSA_11use_defaultESK_EENS0_5tupleIJNSA_16discard_iteratorISK_EESO_EEENSM_IJSG_SG_EEES6_PlJS6_EEE10hipError_tPvRmT3_T4_T5_T6_T7_T9_mT8_P12ihipStream_tbDpT10_ENKUlT_T0_E_clISt17integral_constantIbLb1EES1B_EEDaS16_S17_EUlS16_E_NS1_11comp_targetILNS1_3genE0ELNS1_11target_archE4294967295ELNS1_3gpuE0ELNS1_3repE0EEENS1_30default_config_static_selectorELNS0_4arch9wavefront6targetE1EEEvT1_,@function
_ZN7rocprim17ROCPRIM_400000_NS6detail17trampoline_kernelINS0_14default_configENS1_25partition_config_selectorILNS1_17partition_subalgoE1EsNS0_10empty_typeEbEEZZNS1_14partition_implILS5_1ELb0ES3_jN6thrust23THRUST_200600_302600_NS6detail15normal_iteratorINSA_10device_ptrIsEEEEPS6_NSA_18transform_iteratorI7is_evenIsESF_NSA_11use_defaultESK_EENS0_5tupleIJNSA_16discard_iteratorISK_EESO_EEENSM_IJSG_SG_EEES6_PlJS6_EEE10hipError_tPvRmT3_T4_T5_T6_T7_T9_mT8_P12ihipStream_tbDpT10_ENKUlT_T0_E_clISt17integral_constantIbLb1EES1B_EEDaS16_S17_EUlS16_E_NS1_11comp_targetILNS1_3genE0ELNS1_11target_archE4294967295ELNS1_3gpuE0ELNS1_3repE0EEENS1_30default_config_static_selectorELNS0_4arch9wavefront6targetE1EEEvT1_: ; @_ZN7rocprim17ROCPRIM_400000_NS6detail17trampoline_kernelINS0_14default_configENS1_25partition_config_selectorILNS1_17partition_subalgoE1EsNS0_10empty_typeEbEEZZNS1_14partition_implILS5_1ELb0ES3_jN6thrust23THRUST_200600_302600_NS6detail15normal_iteratorINSA_10device_ptrIsEEEEPS6_NSA_18transform_iteratorI7is_evenIsESF_NSA_11use_defaultESK_EENS0_5tupleIJNSA_16discard_iteratorISK_EESO_EEENSM_IJSG_SG_EEES6_PlJS6_EEE10hipError_tPvRmT3_T4_T5_T6_T7_T9_mT8_P12ihipStream_tbDpT10_ENKUlT_T0_E_clISt17integral_constantIbLb1EES1B_EEDaS16_S17_EUlS16_E_NS1_11comp_targetILNS1_3genE0ELNS1_11target_archE4294967295ELNS1_3gpuE0ELNS1_3repE0EEENS1_30default_config_static_selectorELNS0_4arch9wavefront6targetE1EEEvT1_
; %bb.0:
	.section	.rodata,"a",@progbits
	.p2align	6, 0x0
	.amdhsa_kernel _ZN7rocprim17ROCPRIM_400000_NS6detail17trampoline_kernelINS0_14default_configENS1_25partition_config_selectorILNS1_17partition_subalgoE1EsNS0_10empty_typeEbEEZZNS1_14partition_implILS5_1ELb0ES3_jN6thrust23THRUST_200600_302600_NS6detail15normal_iteratorINSA_10device_ptrIsEEEEPS6_NSA_18transform_iteratorI7is_evenIsESF_NSA_11use_defaultESK_EENS0_5tupleIJNSA_16discard_iteratorISK_EESO_EEENSM_IJSG_SG_EEES6_PlJS6_EEE10hipError_tPvRmT3_T4_T5_T6_T7_T9_mT8_P12ihipStream_tbDpT10_ENKUlT_T0_E_clISt17integral_constantIbLb1EES1B_EEDaS16_S17_EUlS16_E_NS1_11comp_targetILNS1_3genE0ELNS1_11target_archE4294967295ELNS1_3gpuE0ELNS1_3repE0EEENS1_30default_config_static_selectorELNS0_4arch9wavefront6targetE1EEEvT1_
		.amdhsa_group_segment_fixed_size 0
		.amdhsa_private_segment_fixed_size 0
		.amdhsa_kernarg_size 160
		.amdhsa_user_sgpr_count 2
		.amdhsa_user_sgpr_dispatch_ptr 0
		.amdhsa_user_sgpr_queue_ptr 0
		.amdhsa_user_sgpr_kernarg_segment_ptr 1
		.amdhsa_user_sgpr_dispatch_id 0
		.amdhsa_user_sgpr_kernarg_preload_length 0
		.amdhsa_user_sgpr_kernarg_preload_offset 0
		.amdhsa_user_sgpr_private_segment_size 0
		.amdhsa_uses_dynamic_stack 0
		.amdhsa_enable_private_segment 0
		.amdhsa_system_sgpr_workgroup_id_x 1
		.amdhsa_system_sgpr_workgroup_id_y 0
		.amdhsa_system_sgpr_workgroup_id_z 0
		.amdhsa_system_sgpr_workgroup_info 0
		.amdhsa_system_vgpr_workitem_id 0
		.amdhsa_next_free_vgpr 1
		.amdhsa_next_free_sgpr 0
		.amdhsa_accum_offset 4
		.amdhsa_reserve_vcc 0
		.amdhsa_float_round_mode_32 0
		.amdhsa_float_round_mode_16_64 0
		.amdhsa_float_denorm_mode_32 3
		.amdhsa_float_denorm_mode_16_64 3
		.amdhsa_dx10_clamp 1
		.amdhsa_ieee_mode 1
		.amdhsa_fp16_overflow 0
		.amdhsa_tg_split 0
		.amdhsa_exception_fp_ieee_invalid_op 0
		.amdhsa_exception_fp_denorm_src 0
		.amdhsa_exception_fp_ieee_div_zero 0
		.amdhsa_exception_fp_ieee_overflow 0
		.amdhsa_exception_fp_ieee_underflow 0
		.amdhsa_exception_fp_ieee_inexact 0
		.amdhsa_exception_int_div_zero 0
	.end_amdhsa_kernel
	.section	.text._ZN7rocprim17ROCPRIM_400000_NS6detail17trampoline_kernelINS0_14default_configENS1_25partition_config_selectorILNS1_17partition_subalgoE1EsNS0_10empty_typeEbEEZZNS1_14partition_implILS5_1ELb0ES3_jN6thrust23THRUST_200600_302600_NS6detail15normal_iteratorINSA_10device_ptrIsEEEEPS6_NSA_18transform_iteratorI7is_evenIsESF_NSA_11use_defaultESK_EENS0_5tupleIJNSA_16discard_iteratorISK_EESO_EEENSM_IJSG_SG_EEES6_PlJS6_EEE10hipError_tPvRmT3_T4_T5_T6_T7_T9_mT8_P12ihipStream_tbDpT10_ENKUlT_T0_E_clISt17integral_constantIbLb1EES1B_EEDaS16_S17_EUlS16_E_NS1_11comp_targetILNS1_3genE0ELNS1_11target_archE4294967295ELNS1_3gpuE0ELNS1_3repE0EEENS1_30default_config_static_selectorELNS0_4arch9wavefront6targetE1EEEvT1_,"axG",@progbits,_ZN7rocprim17ROCPRIM_400000_NS6detail17trampoline_kernelINS0_14default_configENS1_25partition_config_selectorILNS1_17partition_subalgoE1EsNS0_10empty_typeEbEEZZNS1_14partition_implILS5_1ELb0ES3_jN6thrust23THRUST_200600_302600_NS6detail15normal_iteratorINSA_10device_ptrIsEEEEPS6_NSA_18transform_iteratorI7is_evenIsESF_NSA_11use_defaultESK_EENS0_5tupleIJNSA_16discard_iteratorISK_EESO_EEENSM_IJSG_SG_EEES6_PlJS6_EEE10hipError_tPvRmT3_T4_T5_T6_T7_T9_mT8_P12ihipStream_tbDpT10_ENKUlT_T0_E_clISt17integral_constantIbLb1EES1B_EEDaS16_S17_EUlS16_E_NS1_11comp_targetILNS1_3genE0ELNS1_11target_archE4294967295ELNS1_3gpuE0ELNS1_3repE0EEENS1_30default_config_static_selectorELNS0_4arch9wavefront6targetE1EEEvT1_,comdat
.Lfunc_end3363:
	.size	_ZN7rocprim17ROCPRIM_400000_NS6detail17trampoline_kernelINS0_14default_configENS1_25partition_config_selectorILNS1_17partition_subalgoE1EsNS0_10empty_typeEbEEZZNS1_14partition_implILS5_1ELb0ES3_jN6thrust23THRUST_200600_302600_NS6detail15normal_iteratorINSA_10device_ptrIsEEEEPS6_NSA_18transform_iteratorI7is_evenIsESF_NSA_11use_defaultESK_EENS0_5tupleIJNSA_16discard_iteratorISK_EESO_EEENSM_IJSG_SG_EEES6_PlJS6_EEE10hipError_tPvRmT3_T4_T5_T6_T7_T9_mT8_P12ihipStream_tbDpT10_ENKUlT_T0_E_clISt17integral_constantIbLb1EES1B_EEDaS16_S17_EUlS16_E_NS1_11comp_targetILNS1_3genE0ELNS1_11target_archE4294967295ELNS1_3gpuE0ELNS1_3repE0EEENS1_30default_config_static_selectorELNS0_4arch9wavefront6targetE1EEEvT1_, .Lfunc_end3363-_ZN7rocprim17ROCPRIM_400000_NS6detail17trampoline_kernelINS0_14default_configENS1_25partition_config_selectorILNS1_17partition_subalgoE1EsNS0_10empty_typeEbEEZZNS1_14partition_implILS5_1ELb0ES3_jN6thrust23THRUST_200600_302600_NS6detail15normal_iteratorINSA_10device_ptrIsEEEEPS6_NSA_18transform_iteratorI7is_evenIsESF_NSA_11use_defaultESK_EENS0_5tupleIJNSA_16discard_iteratorISK_EESO_EEENSM_IJSG_SG_EEES6_PlJS6_EEE10hipError_tPvRmT3_T4_T5_T6_T7_T9_mT8_P12ihipStream_tbDpT10_ENKUlT_T0_E_clISt17integral_constantIbLb1EES1B_EEDaS16_S17_EUlS16_E_NS1_11comp_targetILNS1_3genE0ELNS1_11target_archE4294967295ELNS1_3gpuE0ELNS1_3repE0EEENS1_30default_config_static_selectorELNS0_4arch9wavefront6targetE1EEEvT1_
                                        ; -- End function
	.section	.AMDGPU.csdata,"",@progbits
; Kernel info:
; codeLenInByte = 0
; NumSgprs: 6
; NumVgprs: 0
; NumAgprs: 0
; TotalNumVgprs: 0
; ScratchSize: 0
; MemoryBound: 0
; FloatMode: 240
; IeeeMode: 1
; LDSByteSize: 0 bytes/workgroup (compile time only)
; SGPRBlocks: 0
; VGPRBlocks: 0
; NumSGPRsForWavesPerEU: 6
; NumVGPRsForWavesPerEU: 1
; AccumOffset: 4
; Occupancy: 8
; WaveLimiterHint : 0
; COMPUTE_PGM_RSRC2:SCRATCH_EN: 0
; COMPUTE_PGM_RSRC2:USER_SGPR: 2
; COMPUTE_PGM_RSRC2:TRAP_HANDLER: 0
; COMPUTE_PGM_RSRC2:TGID_X_EN: 1
; COMPUTE_PGM_RSRC2:TGID_Y_EN: 0
; COMPUTE_PGM_RSRC2:TGID_Z_EN: 0
; COMPUTE_PGM_RSRC2:TIDIG_COMP_CNT: 0
; COMPUTE_PGM_RSRC3_GFX90A:ACCUM_OFFSET: 0
; COMPUTE_PGM_RSRC3_GFX90A:TG_SPLIT: 0
	.section	.text._ZN7rocprim17ROCPRIM_400000_NS6detail17trampoline_kernelINS0_14default_configENS1_25partition_config_selectorILNS1_17partition_subalgoE1EsNS0_10empty_typeEbEEZZNS1_14partition_implILS5_1ELb0ES3_jN6thrust23THRUST_200600_302600_NS6detail15normal_iteratorINSA_10device_ptrIsEEEEPS6_NSA_18transform_iteratorI7is_evenIsESF_NSA_11use_defaultESK_EENS0_5tupleIJNSA_16discard_iteratorISK_EESO_EEENSM_IJSG_SG_EEES6_PlJS6_EEE10hipError_tPvRmT3_T4_T5_T6_T7_T9_mT8_P12ihipStream_tbDpT10_ENKUlT_T0_E_clISt17integral_constantIbLb1EES1B_EEDaS16_S17_EUlS16_E_NS1_11comp_targetILNS1_3genE5ELNS1_11target_archE942ELNS1_3gpuE9ELNS1_3repE0EEENS1_30default_config_static_selectorELNS0_4arch9wavefront6targetE1EEEvT1_,"axG",@progbits,_ZN7rocprim17ROCPRIM_400000_NS6detail17trampoline_kernelINS0_14default_configENS1_25partition_config_selectorILNS1_17partition_subalgoE1EsNS0_10empty_typeEbEEZZNS1_14partition_implILS5_1ELb0ES3_jN6thrust23THRUST_200600_302600_NS6detail15normal_iteratorINSA_10device_ptrIsEEEEPS6_NSA_18transform_iteratorI7is_evenIsESF_NSA_11use_defaultESK_EENS0_5tupleIJNSA_16discard_iteratorISK_EESO_EEENSM_IJSG_SG_EEES6_PlJS6_EEE10hipError_tPvRmT3_T4_T5_T6_T7_T9_mT8_P12ihipStream_tbDpT10_ENKUlT_T0_E_clISt17integral_constantIbLb1EES1B_EEDaS16_S17_EUlS16_E_NS1_11comp_targetILNS1_3genE5ELNS1_11target_archE942ELNS1_3gpuE9ELNS1_3repE0EEENS1_30default_config_static_selectorELNS0_4arch9wavefront6targetE1EEEvT1_,comdat
	.protected	_ZN7rocprim17ROCPRIM_400000_NS6detail17trampoline_kernelINS0_14default_configENS1_25partition_config_selectorILNS1_17partition_subalgoE1EsNS0_10empty_typeEbEEZZNS1_14partition_implILS5_1ELb0ES3_jN6thrust23THRUST_200600_302600_NS6detail15normal_iteratorINSA_10device_ptrIsEEEEPS6_NSA_18transform_iteratorI7is_evenIsESF_NSA_11use_defaultESK_EENS0_5tupleIJNSA_16discard_iteratorISK_EESO_EEENSM_IJSG_SG_EEES6_PlJS6_EEE10hipError_tPvRmT3_T4_T5_T6_T7_T9_mT8_P12ihipStream_tbDpT10_ENKUlT_T0_E_clISt17integral_constantIbLb1EES1B_EEDaS16_S17_EUlS16_E_NS1_11comp_targetILNS1_3genE5ELNS1_11target_archE942ELNS1_3gpuE9ELNS1_3repE0EEENS1_30default_config_static_selectorELNS0_4arch9wavefront6targetE1EEEvT1_ ; -- Begin function _ZN7rocprim17ROCPRIM_400000_NS6detail17trampoline_kernelINS0_14default_configENS1_25partition_config_selectorILNS1_17partition_subalgoE1EsNS0_10empty_typeEbEEZZNS1_14partition_implILS5_1ELb0ES3_jN6thrust23THRUST_200600_302600_NS6detail15normal_iteratorINSA_10device_ptrIsEEEEPS6_NSA_18transform_iteratorI7is_evenIsESF_NSA_11use_defaultESK_EENS0_5tupleIJNSA_16discard_iteratorISK_EESO_EEENSM_IJSG_SG_EEES6_PlJS6_EEE10hipError_tPvRmT3_T4_T5_T6_T7_T9_mT8_P12ihipStream_tbDpT10_ENKUlT_T0_E_clISt17integral_constantIbLb1EES1B_EEDaS16_S17_EUlS16_E_NS1_11comp_targetILNS1_3genE5ELNS1_11target_archE942ELNS1_3gpuE9ELNS1_3repE0EEENS1_30default_config_static_selectorELNS0_4arch9wavefront6targetE1EEEvT1_
	.globl	_ZN7rocprim17ROCPRIM_400000_NS6detail17trampoline_kernelINS0_14default_configENS1_25partition_config_selectorILNS1_17partition_subalgoE1EsNS0_10empty_typeEbEEZZNS1_14partition_implILS5_1ELb0ES3_jN6thrust23THRUST_200600_302600_NS6detail15normal_iteratorINSA_10device_ptrIsEEEEPS6_NSA_18transform_iteratorI7is_evenIsESF_NSA_11use_defaultESK_EENS0_5tupleIJNSA_16discard_iteratorISK_EESO_EEENSM_IJSG_SG_EEES6_PlJS6_EEE10hipError_tPvRmT3_T4_T5_T6_T7_T9_mT8_P12ihipStream_tbDpT10_ENKUlT_T0_E_clISt17integral_constantIbLb1EES1B_EEDaS16_S17_EUlS16_E_NS1_11comp_targetILNS1_3genE5ELNS1_11target_archE942ELNS1_3gpuE9ELNS1_3repE0EEENS1_30default_config_static_selectorELNS0_4arch9wavefront6targetE1EEEvT1_
	.p2align	8
	.type	_ZN7rocprim17ROCPRIM_400000_NS6detail17trampoline_kernelINS0_14default_configENS1_25partition_config_selectorILNS1_17partition_subalgoE1EsNS0_10empty_typeEbEEZZNS1_14partition_implILS5_1ELb0ES3_jN6thrust23THRUST_200600_302600_NS6detail15normal_iteratorINSA_10device_ptrIsEEEEPS6_NSA_18transform_iteratorI7is_evenIsESF_NSA_11use_defaultESK_EENS0_5tupleIJNSA_16discard_iteratorISK_EESO_EEENSM_IJSG_SG_EEES6_PlJS6_EEE10hipError_tPvRmT3_T4_T5_T6_T7_T9_mT8_P12ihipStream_tbDpT10_ENKUlT_T0_E_clISt17integral_constantIbLb1EES1B_EEDaS16_S17_EUlS16_E_NS1_11comp_targetILNS1_3genE5ELNS1_11target_archE942ELNS1_3gpuE9ELNS1_3repE0EEENS1_30default_config_static_selectorELNS0_4arch9wavefront6targetE1EEEvT1_,@function
_ZN7rocprim17ROCPRIM_400000_NS6detail17trampoline_kernelINS0_14default_configENS1_25partition_config_selectorILNS1_17partition_subalgoE1EsNS0_10empty_typeEbEEZZNS1_14partition_implILS5_1ELb0ES3_jN6thrust23THRUST_200600_302600_NS6detail15normal_iteratorINSA_10device_ptrIsEEEEPS6_NSA_18transform_iteratorI7is_evenIsESF_NSA_11use_defaultESK_EENS0_5tupleIJNSA_16discard_iteratorISK_EESO_EEENSM_IJSG_SG_EEES6_PlJS6_EEE10hipError_tPvRmT3_T4_T5_T6_T7_T9_mT8_P12ihipStream_tbDpT10_ENKUlT_T0_E_clISt17integral_constantIbLb1EES1B_EEDaS16_S17_EUlS16_E_NS1_11comp_targetILNS1_3genE5ELNS1_11target_archE942ELNS1_3gpuE9ELNS1_3repE0EEENS1_30default_config_static_selectorELNS0_4arch9wavefront6targetE1EEEvT1_: ; @_ZN7rocprim17ROCPRIM_400000_NS6detail17trampoline_kernelINS0_14default_configENS1_25partition_config_selectorILNS1_17partition_subalgoE1EsNS0_10empty_typeEbEEZZNS1_14partition_implILS5_1ELb0ES3_jN6thrust23THRUST_200600_302600_NS6detail15normal_iteratorINSA_10device_ptrIsEEEEPS6_NSA_18transform_iteratorI7is_evenIsESF_NSA_11use_defaultESK_EENS0_5tupleIJNSA_16discard_iteratorISK_EESO_EEENSM_IJSG_SG_EEES6_PlJS6_EEE10hipError_tPvRmT3_T4_T5_T6_T7_T9_mT8_P12ihipStream_tbDpT10_ENKUlT_T0_E_clISt17integral_constantIbLb1EES1B_EEDaS16_S17_EUlS16_E_NS1_11comp_targetILNS1_3genE5ELNS1_11target_archE942ELNS1_3gpuE9ELNS1_3repE0EEENS1_30default_config_static_selectorELNS0_4arch9wavefront6targetE1EEEvT1_
; %bb.0:
	s_load_dwordx2 s[2:3], s[0:1], 0x20
	s_load_dwordx4 s[20:23], s[0:1], 0x60
	s_load_dwordx2 s[10:11], s[0:1], 0x70
	s_load_dwordx2 s[24:25], s[0:1], 0x80
	v_cmp_eq_u32_e64 s[18:19], 0, v0
	s_and_saveexec_b64 s[4:5], s[18:19]
	s_cbranch_execz .LBB3364_4
; %bb.1:
	s_mov_b64 s[8:9], exec
	v_mbcnt_lo_u32_b32 v1, s8, 0
	v_mbcnt_hi_u32_b32 v1, s9, v1
	v_cmp_eq_u32_e32 vcc, 0, v1
                                        ; implicit-def: $vgpr2
	s_and_saveexec_b64 s[6:7], vcc
	s_cbranch_execz .LBB3364_3
; %bb.2:
	s_load_dwordx2 s[12:13], s[0:1], 0x90
	s_bcnt1_i32_b64 s8, s[8:9]
	v_mov_b32_e32 v2, 0
	v_mov_b32_e32 v3, s8
	s_waitcnt lgkmcnt(0)
	global_atomic_add v2, v2, v3, s[12:13] sc0
.LBB3364_3:
	s_or_b64 exec, exec, s[6:7]
	s_waitcnt vmcnt(0)
	v_readfirstlane_b32 s6, v2
	v_mov_b32_e32 v2, 0
	s_nop 0
	v_add_u32_e32 v1, s6, v1
	ds_write_b32 v2, v1
.LBB3364_4:
	s_or_b64 exec, exec, s[4:5]
	v_mov_b32_e32 v3, 0
	s_load_dwordx4 s[4:7], s[0:1], 0x8
	s_load_dword s12, s[0:1], 0x88
	s_waitcnt lgkmcnt(0)
	s_barrier
	ds_read_b32 v1, v3
	s_waitcnt lgkmcnt(0)
	s_barrier
	global_load_dwordx2 v[14:15], v3, s[22:23]
	s_lshl_b64 s[8:9], s[6:7], 1
	v_mov_b32_e32 v5, s11
	s_add_u32 s11, s4, s8
	s_mul_i32 s4, s12, 0x3800
	s_addc_u32 s13, s5, s9
	s_add_i32 s1, s4, s6
	s_sub_i32 s14, s10, s1
	s_add_i32 s15, s12, -1
	s_addk_i32 s14, 0x3800
	s_add_u32 s4, s6, s4
	v_readfirstlane_b32 s30, v1
	s_addc_u32 s5, s7, 0
	s_cmp_eq_u32 s30, s15
	v_mov_b32_e32 v4, s10
	s_cselect_b64 s[22:23], -1, 0
	s_cmp_lg_u32 s30, s15
	s_mul_i32 s0, s30, 0x3800
	s_mov_b32 s1, 0
	v_cmp_lt_u64_e32 vcc, s[4:5], v[4:5]
	s_cselect_b64 s[4:5], -1, 0
	s_or_b64 s[4:5], vcc, s[4:5]
	s_lshl_b64 s[6:7], s[0:1], 1
	s_add_u32 s10, s11, s6
	s_addc_u32 s11, s13, s7
	s_mov_b64 s[0:1], -1
	s_and_b64 vcc, exec, s[4:5]
	s_cbranch_vccz .LBB3364_6
; %bb.5:
	v_lshlrev_b32_e32 v2, 1, v0
	v_lshl_add_u64 v[4:5], s[10:11], 0, v[2:3]
	v_add_co_u32_e32 v6, vcc, 0x1000, v4
	s_mov_b64 s[0:1], 0
	s_nop 0
	v_addc_co_u32_e32 v7, vcc, 0, v5, vcc
	flat_load_ushort v1, v[4:5]
	flat_load_ushort v3, v[4:5] offset:1024
	flat_load_ushort v10, v[4:5] offset:2048
	;; [unrolled: 1-line block ×3, first 2 shown]
	flat_load_ushort v12, v[6:7]
	flat_load_ushort v13, v[6:7] offset:1024
	flat_load_ushort v16, v[6:7] offset:2048
	;; [unrolled: 1-line block ×3, first 2 shown]
	v_add_co_u32_e32 v6, vcc, 0x2000, v4
	s_nop 1
	v_addc_co_u32_e32 v7, vcc, 0, v5, vcc
	v_add_co_u32_e32 v8, vcc, 0x3000, v4
	s_nop 1
	v_addc_co_u32_e32 v9, vcc, 0, v5, vcc
	flat_load_ushort v18, v[6:7]
	flat_load_ushort v19, v[6:7] offset:1024
	flat_load_ushort v20, v[6:7] offset:2048
	;; [unrolled: 1-line block ×3, first 2 shown]
	flat_load_ushort v22, v[8:9]
	flat_load_ushort v23, v[8:9] offset:1024
	flat_load_ushort v24, v[8:9] offset:2048
	;; [unrolled: 1-line block ×3, first 2 shown]
	v_add_co_u32_e32 v6, vcc, 0x4000, v4
	s_nop 1
	v_addc_co_u32_e32 v7, vcc, 0, v5, vcc
	v_add_co_u32_e32 v8, vcc, 0x5000, v4
	s_nop 1
	v_addc_co_u32_e32 v9, vcc, 0, v5, vcc
	v_add_co_u32_e32 v4, vcc, 0x6000, v4
	flat_load_ushort v26, v[6:7]
	flat_load_ushort v27, v[6:7] offset:1024
	flat_load_ushort v28, v[6:7] offset:2048
	;; [unrolled: 1-line block ×3, first 2 shown]
	flat_load_ushort v30, v[8:9]
	flat_load_ushort v31, v[8:9] offset:1024
	flat_load_ushort v32, v[8:9] offset:2048
	;; [unrolled: 1-line block ×3, first 2 shown]
	v_addc_co_u32_e32 v5, vcc, 0, v5, vcc
	flat_load_ushort v6, v[4:5]
	flat_load_ushort v7, v[4:5] offset:1024
	flat_load_ushort v8, v[4:5] offset:2048
	;; [unrolled: 1-line block ×3, first 2 shown]
	s_waitcnt vmcnt(0) lgkmcnt(0)
	ds_write_b16 v2, v1
	ds_write_b16 v2, v3 offset:1024
	ds_write_b16 v2, v10 offset:2048
	ds_write_b16 v2, v11 offset:3072
	ds_write_b16 v2, v12 offset:4096
	ds_write_b16 v2, v13 offset:5120
	ds_write_b16 v2, v16 offset:6144
	ds_write_b16 v2, v17 offset:7168
	ds_write_b16 v2, v18 offset:8192
	ds_write_b16 v2, v19 offset:9216
	ds_write_b16 v2, v20 offset:10240
	ds_write_b16 v2, v21 offset:11264
	ds_write_b16 v2, v22 offset:12288
	ds_write_b16 v2, v23 offset:13312
	ds_write_b16 v2, v24 offset:14336
	ds_write_b16 v2, v25 offset:15360
	ds_write_b16 v2, v26 offset:16384
	ds_write_b16 v2, v27 offset:17408
	ds_write_b16 v2, v28 offset:18432
	ds_write_b16 v2, v29 offset:19456
	ds_write_b16 v2, v30 offset:20480
	ds_write_b16 v2, v31 offset:21504
	ds_write_b16 v2, v32 offset:22528
	ds_write_b16 v2, v33 offset:23552
	ds_write_b16 v2, v6 offset:24576
	ds_write_b16 v2, v7 offset:25600
	ds_write_b16 v2, v8 offset:26624
	ds_write_b16 v2, v9 offset:27648
	s_waitcnt lgkmcnt(0)
	s_barrier
.LBB3364_6:
	s_andn2_b64 vcc, exec, s[0:1]
	v_cmp_gt_u32_e64 s[0:1], s14, v0
	s_cbranch_vccnz .LBB3364_64
; %bb.7:
                                        ; implicit-def: $vgpr1
	s_and_saveexec_b64 s[12:13], s[0:1]
	s_cbranch_execz .LBB3364_9
; %bb.8:
	v_lshlrev_b32_e32 v2, 1, v0
	v_mov_b32_e32 v3, 0
	v_lshl_add_u64 v[2:3], s[10:11], 0, v[2:3]
	flat_load_ushort v1, v[2:3]
.LBB3364_9:
	s_or_b64 exec, exec, s[12:13]
	v_or_b32_e32 v2, 0x200, v0
	v_cmp_gt_u32_e32 vcc, s14, v2
                                        ; implicit-def: $vgpr2
	s_and_saveexec_b64 s[0:1], vcc
	s_cbranch_execz .LBB3364_11
; %bb.10:
	v_lshlrev_b32_e32 v2, 1, v0
	v_mov_b32_e32 v3, 0
	v_lshl_add_u64 v[2:3], s[10:11], 0, v[2:3]
	flat_load_ushort v2, v[2:3] offset:1024
.LBB3364_11:
	s_or_b64 exec, exec, s[0:1]
	v_or_b32_e32 v3, 0x400, v0
	v_cmp_gt_u32_e32 vcc, s14, v3
                                        ; implicit-def: $vgpr3
	s_and_saveexec_b64 s[0:1], vcc
	s_cbranch_execz .LBB3364_13
; %bb.12:
	v_lshlrev_b32_e32 v4, 1, v0
	v_mov_b32_e32 v5, 0
	v_lshl_add_u64 v[4:5], s[10:11], 0, v[4:5]
	flat_load_ushort v3, v[4:5] offset:2048
.LBB3364_13:
	s_or_b64 exec, exec, s[0:1]
	v_or_b32_e32 v4, 0x600, v0
	v_cmp_gt_u32_e32 vcc, s14, v4
                                        ; implicit-def: $vgpr4
	s_and_saveexec_b64 s[0:1], vcc
	s_cbranch_execz .LBB3364_15
; %bb.14:
	v_lshlrev_b32_e32 v4, 1, v0
	v_mov_b32_e32 v5, 0
	v_lshl_add_u64 v[4:5], s[10:11], 0, v[4:5]
	flat_load_ushort v4, v[4:5] offset:3072
.LBB3364_15:
	s_or_b64 exec, exec, s[0:1]
	v_or_b32_e32 v6, 0x800, v0
	v_cmp_gt_u32_e32 vcc, s14, v6
                                        ; implicit-def: $vgpr5
	s_and_saveexec_b64 s[0:1], vcc
	s_cbranch_execz .LBB3364_17
; %bb.16:
	v_lshlrev_b32_e32 v6, 1, v6
	v_mov_b32_e32 v7, 0
	v_lshl_add_u64 v[6:7], s[10:11], 0, v[6:7]
	flat_load_ushort v5, v[6:7]
.LBB3364_17:
	s_or_b64 exec, exec, s[0:1]
	v_or_b32_e32 v7, 0xa00, v0
	v_cmp_gt_u32_e32 vcc, s14, v7
                                        ; implicit-def: $vgpr6
	s_and_saveexec_b64 s[0:1], vcc
	s_cbranch_execz .LBB3364_19
; %bb.18:
	v_lshlrev_b32_e32 v6, 1, v7
	v_mov_b32_e32 v7, 0
	v_lshl_add_u64 v[6:7], s[10:11], 0, v[6:7]
	flat_load_ushort v6, v[6:7]
.LBB3364_19:
	s_or_b64 exec, exec, s[0:1]
	v_or_b32_e32 v8, 0xc00, v0
	v_cmp_gt_u32_e32 vcc, s14, v8
                                        ; implicit-def: $vgpr7
	s_and_saveexec_b64 s[0:1], vcc
	s_cbranch_execz .LBB3364_21
; %bb.20:
	v_lshlrev_b32_e32 v8, 1, v8
	v_mov_b32_e32 v9, 0
	v_lshl_add_u64 v[8:9], s[10:11], 0, v[8:9]
	flat_load_ushort v7, v[8:9]
.LBB3364_21:
	s_or_b64 exec, exec, s[0:1]
	v_or_b32_e32 v9, 0xe00, v0
	v_cmp_gt_u32_e32 vcc, s14, v9
                                        ; implicit-def: $vgpr8
	s_and_saveexec_b64 s[0:1], vcc
	s_cbranch_execz .LBB3364_23
; %bb.22:
	v_lshlrev_b32_e32 v8, 1, v9
	v_mov_b32_e32 v9, 0
	v_lshl_add_u64 v[8:9], s[10:11], 0, v[8:9]
	flat_load_ushort v8, v[8:9]
.LBB3364_23:
	s_or_b64 exec, exec, s[0:1]
	v_or_b32_e32 v10, 0x1000, v0
	v_cmp_gt_u32_e32 vcc, s14, v10
                                        ; implicit-def: $vgpr9
	s_and_saveexec_b64 s[0:1], vcc
	s_cbranch_execz .LBB3364_25
; %bb.24:
	v_lshlrev_b32_e32 v10, 1, v10
	v_mov_b32_e32 v11, 0
	v_lshl_add_u64 v[10:11], s[10:11], 0, v[10:11]
	flat_load_ushort v9, v[10:11]
.LBB3364_25:
	s_or_b64 exec, exec, s[0:1]
	v_or_b32_e32 v11, 0x1200, v0
	v_cmp_gt_u32_e32 vcc, s14, v11
                                        ; implicit-def: $vgpr10
	s_and_saveexec_b64 s[0:1], vcc
	s_cbranch_execz .LBB3364_27
; %bb.26:
	v_lshlrev_b32_e32 v10, 1, v11
	v_mov_b32_e32 v11, 0
	v_lshl_add_u64 v[10:11], s[10:11], 0, v[10:11]
	flat_load_ushort v10, v[10:11]
.LBB3364_27:
	s_or_b64 exec, exec, s[0:1]
	v_or_b32_e32 v12, 0x1400, v0
	v_cmp_gt_u32_e32 vcc, s14, v12
                                        ; implicit-def: $vgpr11
	s_and_saveexec_b64 s[0:1], vcc
	s_cbranch_execz .LBB3364_29
; %bb.28:
	v_lshlrev_b32_e32 v12, 1, v12
	v_mov_b32_e32 v13, 0
	v_lshl_add_u64 v[12:13], s[10:11], 0, v[12:13]
	flat_load_ushort v11, v[12:13]
.LBB3364_29:
	s_or_b64 exec, exec, s[0:1]
	v_or_b32_e32 v13, 0x1600, v0
	v_cmp_gt_u32_e32 vcc, s14, v13
                                        ; implicit-def: $vgpr12
	s_and_saveexec_b64 s[0:1], vcc
	s_cbranch_execz .LBB3364_31
; %bb.30:
	v_lshlrev_b32_e32 v12, 1, v13
	v_mov_b32_e32 v13, 0
	v_lshl_add_u64 v[12:13], s[10:11], 0, v[12:13]
	flat_load_ushort v12, v[12:13]
.LBB3364_31:
	s_or_b64 exec, exec, s[0:1]
	v_or_b32_e32 v16, 0x1800, v0
	v_cmp_gt_u32_e32 vcc, s14, v16
                                        ; implicit-def: $vgpr13
	s_and_saveexec_b64 s[0:1], vcc
	s_cbranch_execz .LBB3364_33
; %bb.32:
	v_lshlrev_b32_e32 v16, 1, v16
	v_mov_b32_e32 v17, 0
	v_lshl_add_u64 v[16:17], s[10:11], 0, v[16:17]
	flat_load_ushort v13, v[16:17]
.LBB3364_33:
	s_or_b64 exec, exec, s[0:1]
	v_or_b32_e32 v17, 0x1a00, v0
	v_cmp_gt_u32_e32 vcc, s14, v17
                                        ; implicit-def: $vgpr16
	s_and_saveexec_b64 s[0:1], vcc
	s_cbranch_execz .LBB3364_35
; %bb.34:
	v_lshlrev_b32_e32 v16, 1, v17
	v_mov_b32_e32 v17, 0
	v_lshl_add_u64 v[16:17], s[10:11], 0, v[16:17]
	flat_load_ushort v16, v[16:17]
.LBB3364_35:
	s_or_b64 exec, exec, s[0:1]
	v_or_b32_e32 v18, 0x1c00, v0
	v_cmp_gt_u32_e32 vcc, s14, v18
                                        ; implicit-def: $vgpr17
	s_and_saveexec_b64 s[0:1], vcc
	s_cbranch_execz .LBB3364_37
; %bb.36:
	v_lshlrev_b32_e32 v18, 1, v18
	v_mov_b32_e32 v19, 0
	v_lshl_add_u64 v[18:19], s[10:11], 0, v[18:19]
	flat_load_ushort v17, v[18:19]
.LBB3364_37:
	s_or_b64 exec, exec, s[0:1]
	v_or_b32_e32 v19, 0x1e00, v0
	v_cmp_gt_u32_e32 vcc, s14, v19
                                        ; implicit-def: $vgpr18
	s_and_saveexec_b64 s[0:1], vcc
	s_cbranch_execz .LBB3364_39
; %bb.38:
	v_lshlrev_b32_e32 v18, 1, v19
	v_mov_b32_e32 v19, 0
	v_lshl_add_u64 v[18:19], s[10:11], 0, v[18:19]
	flat_load_ushort v18, v[18:19]
.LBB3364_39:
	s_or_b64 exec, exec, s[0:1]
	v_or_b32_e32 v20, 0x2000, v0
	v_cmp_gt_u32_e32 vcc, s14, v20
                                        ; implicit-def: $vgpr19
	s_and_saveexec_b64 s[0:1], vcc
	s_cbranch_execz .LBB3364_41
; %bb.40:
	v_lshlrev_b32_e32 v20, 1, v20
	v_mov_b32_e32 v21, 0
	v_lshl_add_u64 v[20:21], s[10:11], 0, v[20:21]
	flat_load_ushort v19, v[20:21]
.LBB3364_41:
	s_or_b64 exec, exec, s[0:1]
	v_or_b32_e32 v21, 0x2200, v0
	v_cmp_gt_u32_e32 vcc, s14, v21
                                        ; implicit-def: $vgpr20
	s_and_saveexec_b64 s[0:1], vcc
	s_cbranch_execz .LBB3364_43
; %bb.42:
	v_lshlrev_b32_e32 v20, 1, v21
	v_mov_b32_e32 v21, 0
	v_lshl_add_u64 v[20:21], s[10:11], 0, v[20:21]
	flat_load_ushort v20, v[20:21]
.LBB3364_43:
	s_or_b64 exec, exec, s[0:1]
	v_or_b32_e32 v22, 0x2400, v0
	v_cmp_gt_u32_e32 vcc, s14, v22
                                        ; implicit-def: $vgpr21
	s_and_saveexec_b64 s[0:1], vcc
	s_cbranch_execz .LBB3364_45
; %bb.44:
	v_lshlrev_b32_e32 v22, 1, v22
	v_mov_b32_e32 v23, 0
	v_lshl_add_u64 v[22:23], s[10:11], 0, v[22:23]
	flat_load_ushort v21, v[22:23]
.LBB3364_45:
	s_or_b64 exec, exec, s[0:1]
	v_or_b32_e32 v23, 0x2600, v0
	v_cmp_gt_u32_e32 vcc, s14, v23
                                        ; implicit-def: $vgpr22
	s_and_saveexec_b64 s[0:1], vcc
	s_cbranch_execz .LBB3364_47
; %bb.46:
	v_lshlrev_b32_e32 v22, 1, v23
	v_mov_b32_e32 v23, 0
	v_lshl_add_u64 v[22:23], s[10:11], 0, v[22:23]
	flat_load_ushort v22, v[22:23]
.LBB3364_47:
	s_or_b64 exec, exec, s[0:1]
	v_or_b32_e32 v24, 0x2800, v0
	v_cmp_gt_u32_e32 vcc, s14, v24
                                        ; implicit-def: $vgpr23
	s_and_saveexec_b64 s[0:1], vcc
	s_cbranch_execz .LBB3364_49
; %bb.48:
	v_lshlrev_b32_e32 v24, 1, v24
	v_mov_b32_e32 v25, 0
	v_lshl_add_u64 v[24:25], s[10:11], 0, v[24:25]
	flat_load_ushort v23, v[24:25]
.LBB3364_49:
	s_or_b64 exec, exec, s[0:1]
	v_or_b32_e32 v25, 0x2a00, v0
	v_cmp_gt_u32_e32 vcc, s14, v25
                                        ; implicit-def: $vgpr24
	s_and_saveexec_b64 s[0:1], vcc
	s_cbranch_execz .LBB3364_51
; %bb.50:
	v_lshlrev_b32_e32 v24, 1, v25
	v_mov_b32_e32 v25, 0
	v_lshl_add_u64 v[24:25], s[10:11], 0, v[24:25]
	flat_load_ushort v24, v[24:25]
.LBB3364_51:
	s_or_b64 exec, exec, s[0:1]
	v_or_b32_e32 v26, 0x2c00, v0
	v_cmp_gt_u32_e32 vcc, s14, v26
                                        ; implicit-def: $vgpr25
	s_and_saveexec_b64 s[0:1], vcc
	s_cbranch_execz .LBB3364_53
; %bb.52:
	v_lshlrev_b32_e32 v26, 1, v26
	v_mov_b32_e32 v27, 0
	v_lshl_add_u64 v[26:27], s[10:11], 0, v[26:27]
	flat_load_ushort v25, v[26:27]
.LBB3364_53:
	s_or_b64 exec, exec, s[0:1]
	v_or_b32_e32 v27, 0x2e00, v0
	v_cmp_gt_u32_e32 vcc, s14, v27
                                        ; implicit-def: $vgpr26
	s_and_saveexec_b64 s[0:1], vcc
	s_cbranch_execz .LBB3364_55
; %bb.54:
	v_lshlrev_b32_e32 v26, 1, v27
	v_mov_b32_e32 v27, 0
	v_lshl_add_u64 v[26:27], s[10:11], 0, v[26:27]
	flat_load_ushort v26, v[26:27]
.LBB3364_55:
	s_or_b64 exec, exec, s[0:1]
	v_or_b32_e32 v28, 0x3000, v0
	v_cmp_gt_u32_e32 vcc, s14, v28
                                        ; implicit-def: $vgpr27
	s_and_saveexec_b64 s[0:1], vcc
	s_cbranch_execz .LBB3364_57
; %bb.56:
	v_lshlrev_b32_e32 v28, 1, v28
	v_mov_b32_e32 v29, 0
	v_lshl_add_u64 v[28:29], s[10:11], 0, v[28:29]
	flat_load_ushort v27, v[28:29]
.LBB3364_57:
	s_or_b64 exec, exec, s[0:1]
	v_or_b32_e32 v29, 0x3200, v0
	v_cmp_gt_u32_e32 vcc, s14, v29
                                        ; implicit-def: $vgpr28
	s_and_saveexec_b64 s[0:1], vcc
	s_cbranch_execz .LBB3364_59
; %bb.58:
	v_lshlrev_b32_e32 v28, 1, v29
	v_mov_b32_e32 v29, 0
	v_lshl_add_u64 v[28:29], s[10:11], 0, v[28:29]
	flat_load_ushort v28, v[28:29]
.LBB3364_59:
	s_or_b64 exec, exec, s[0:1]
	v_or_b32_e32 v30, 0x3400, v0
	v_cmp_gt_u32_e32 vcc, s14, v30
                                        ; implicit-def: $vgpr29
	s_and_saveexec_b64 s[0:1], vcc
	s_cbranch_execz .LBB3364_61
; %bb.60:
	v_lshlrev_b32_e32 v30, 1, v30
	v_mov_b32_e32 v31, 0
	v_lshl_add_u64 v[30:31], s[10:11], 0, v[30:31]
	flat_load_ushort v29, v[30:31]
.LBB3364_61:
	s_or_b64 exec, exec, s[0:1]
	v_or_b32_e32 v31, 0x3600, v0
	v_cmp_gt_u32_e32 vcc, s14, v31
                                        ; implicit-def: $vgpr30
	s_and_saveexec_b64 s[0:1], vcc
	s_cbranch_execz .LBB3364_63
; %bb.62:
	v_lshlrev_b32_e32 v30, 1, v31
	v_mov_b32_e32 v31, 0
	v_lshl_add_u64 v[30:31], s[10:11], 0, v[30:31]
	flat_load_ushort v30, v[30:31]
.LBB3364_63:
	s_or_b64 exec, exec, s[0:1]
	v_lshlrev_b32_e32 v31, 1, v0
	s_waitcnt vmcnt(0) lgkmcnt(0)
	ds_write_b16 v31, v1
	ds_write_b16 v31, v2 offset:1024
	ds_write_b16 v31, v3 offset:2048
	;; [unrolled: 1-line block ×27, first 2 shown]
	s_waitcnt lgkmcnt(0)
	s_barrier
.LBB3364_64:
	v_mul_u32_u24_e32 v1, 28, v0
	v_lshlrev_b32_e32 v6, 1, v1
	ds_read_b64 v[16:17], v6 offset:48
	ds_read2_b64 v[2:5], v6 offset0:4 offset1:5
	ds_read2_b64 v[10:13], v6 offset1:1
	ds_read2_b64 v[6:9], v6 offset0:2 offset1:3
	s_add_u32 s0, s2, s8
	s_addc_u32 s1, s3, s9
	s_add_u32 s0, s0, s6
	s_addc_u32 s1, s1, s7
	s_mov_b64 s[2:3], -1
	s_and_b64 vcc, exec, s[4:5]
	s_waitcnt lgkmcnt(0)
	s_barrier
	s_cbranch_vccz .LBB3364_66
; %bb.65:
	v_lshlrev_b32_e32 v18, 1, v0
	v_mov_b32_e32 v19, 0
	v_lshl_add_u64 v[20:21], s[0:1], 0, v[18:19]
	s_movk_i32 s2, 0x1000
	global_load_ubyte v24, v18, s[0:1]
	global_load_ubyte v25, v18, s[0:1] offset:1024
	global_load_ubyte v26, v18, s[0:1] offset:2048
	global_load_ubyte v27, v18, s[0:1] offset:3072
	v_add_co_u32_e32 v18, vcc, s2, v20
	s_movk_i32 s2, 0x2000
	s_nop 0
	v_addc_co_u32_e32 v19, vcc, 0, v21, vcc
	v_add_co_u32_e32 v22, vcc, s2, v20
	s_movk_i32 s2, 0x3000
	s_nop 0
	v_addc_co_u32_e32 v23, vcc, 0, v21, vcc
	global_load_ubyte v28, v[18:19], off offset:1024
	global_load_ubyte v29, v[18:19], off offset:2048
	global_load_ubyte v30, v[18:19], off offset:3072
	global_load_ubyte v31, v[22:23], off offset:-4096
	global_load_ubyte v32, v[22:23], off
	global_load_ubyte v33, v[22:23], off offset:1024
	global_load_ubyte v34, v[22:23], off offset:2048
	;; [unrolled: 1-line block ×3, first 2 shown]
	v_add_co_u32_e32 v18, vcc, s2, v20
	s_movk_i32 s2, 0x4000
	s_nop 0
	v_addc_co_u32_e32 v19, vcc, 0, v21, vcc
	v_add_co_u32_e32 v22, vcc, s2, v20
	s_movk_i32 s3, 0x6000
	s_nop 0
	v_addc_co_u32_e32 v23, vcc, 0, v21, vcc
	global_load_ubyte v36, v[22:23], off offset:-4096
	global_load_ubyte v37, v[18:19], off offset:1024
	global_load_ubyte v38, v[18:19], off offset:2048
	;; [unrolled: 1-line block ×3, first 2 shown]
	global_load_ubyte v40, v[22:23], off
	v_add_co_u32_e32 v18, vcc, s3, v20
	s_movk_i32 s2, 0x5000
	s_nop 0
	v_addc_co_u32_e32 v19, vcc, 0, v21, vcc
	v_add_co_u32_e32 v20, vcc, s2, v20
	global_load_ubyte v41, v[22:23], off offset:1024
	global_load_ubyte v42, v[22:23], off offset:2048
	;; [unrolled: 1-line block ×3, first 2 shown]
	global_load_ubyte v44, v[18:19], off offset:-4096
	v_addc_co_u32_e32 v21, vcc, 0, v21, vcc
	global_load_ubyte v22, v[20:21], off offset:1024
	global_load_ubyte v23, v[20:21], off offset:2048
	;; [unrolled: 1-line block ×3, first 2 shown]
	global_load_ubyte v46, v[18:19], off
	global_load_ubyte v47, v[18:19], off offset:1024
	global_load_ubyte v48, v[18:19], off offset:2048
	;; [unrolled: 1-line block ×3, first 2 shown]
	s_mov_b64 s[2:3], 0
	s_waitcnt vmcnt(27)
	v_xor_b32_e32 v18, -1, v24
	s_waitcnt vmcnt(26)
	v_xor_b32_e32 v19, -1, v25
	;; [unrolled: 2-line block ×4, first 2 shown]
	v_and_b32_e32 v18, 1, v18
	v_and_b32_e32 v19, 1, v19
	;; [unrolled: 1-line block ×3, first 2 shown]
	s_waitcnt vmcnt(23)
	v_xor_b32_e32 v25, -1, v28
	s_waitcnt vmcnt(22)
	v_xor_b32_e32 v26, -1, v29
	;; [unrolled: 2-line block ×8, first 2 shown]
	v_and_b32_e32 v21, 1, v21
	v_and_b32_e32 v24, 1, v24
	;; [unrolled: 1-line block ×6, first 2 shown]
	s_waitcnt vmcnt(15)
	v_xor_b32_e32 v32, -1, v36
	s_waitcnt vmcnt(14)
	v_xor_b32_e32 v33, -1, v37
	;; [unrolled: 2-line block ×5, first 2 shown]
	v_and_b32_e32 v29, 1, v29
	v_and_b32_e32 v30, 1, v30
	;; [unrolled: 1-line block ×4, first 2 shown]
	s_waitcnt vmcnt(10)
	v_xor_b32_e32 v37, -1, v41
	s_waitcnt vmcnt(9)
	v_xor_b32_e32 v38, -1, v42
	;; [unrolled: 2-line block ×11, first 2 shown]
	v_and_b32_e32 v33, 1, v33
	v_and_b32_e32 v34, 1, v34
	;; [unrolled: 1-line block ×15, first 2 shown]
	ds_write_b8 v0, v18
	ds_write_b8 v0, v19 offset:512
	ds_write_b8 v0, v20 offset:1024
	;; [unrolled: 1-line block ×27, first 2 shown]
	s_waitcnt lgkmcnt(0)
	s_barrier
.LBB3364_66:
	s_andn2_b64 vcc, exec, s[2:3]
	s_cbranch_vccnz .LBB3364_124
; %bb.67:
	v_cmp_gt_u32_e32 vcc, s14, v0
	v_mov_b32_e32 v18, 0
	v_mov_b32_e32 v19, 0
	s_and_saveexec_b64 s[2:3], vcc
	s_cbranch_execz .LBB3364_69
; %bb.68:
	v_lshlrev_b32_e32 v19, 1, v0
	global_load_ubyte v19, v19, s[0:1]
	s_waitcnt vmcnt(0)
	v_xor_b32_e32 v19, -1, v19
	v_and_b32_e32 v19, 1, v19
.LBB3364_69:
	s_or_b64 exec, exec, s[2:3]
	v_or_b32_e32 v20, 0x200, v0
	v_cmp_gt_u32_e32 vcc, s14, v20
	s_and_saveexec_b64 s[2:3], vcc
	s_cbranch_execz .LBB3364_71
; %bb.70:
	v_lshlrev_b32_e32 v18, 1, v0
	global_load_ubyte v18, v18, s[0:1] offset:1024
	s_waitcnt vmcnt(0)
	v_xor_b32_e32 v18, -1, v18
	v_and_b32_e32 v18, 1, v18
.LBB3364_71:
	s_or_b64 exec, exec, s[2:3]
	v_or_b32_e32 v20, 0x400, v0
	v_cmp_gt_u32_e32 vcc, s14, v20
	v_mov_b32_e32 v20, 0
	v_mov_b32_e32 v21, 0
	s_and_saveexec_b64 s[2:3], vcc
	s_cbranch_execz .LBB3364_73
; %bb.72:
	v_lshlrev_b32_e32 v21, 1, v0
	global_load_ubyte v21, v21, s[0:1] offset:2048
	s_waitcnt vmcnt(0)
	v_xor_b32_e32 v21, -1, v21
	v_and_b32_e32 v21, 1, v21
.LBB3364_73:
	s_or_b64 exec, exec, s[2:3]
	v_or_b32_e32 v22, 0x600, v0
	v_cmp_gt_u32_e32 vcc, s14, v22
	s_and_saveexec_b64 s[2:3], vcc
	s_cbranch_execz .LBB3364_75
; %bb.74:
	v_lshlrev_b32_e32 v20, 1, v0
	global_load_ubyte v20, v20, s[0:1] offset:3072
	s_waitcnt vmcnt(0)
	v_xor_b32_e32 v20, -1, v20
	v_and_b32_e32 v20, 1, v20
.LBB3364_75:
	s_or_b64 exec, exec, s[2:3]
	v_or_b32_e32 v24, 0x800, v0
	v_cmp_gt_u32_e32 vcc, s14, v24
	v_mov_b32_e32 v22, 0
	v_mov_b32_e32 v23, 0
	s_and_saveexec_b64 s[2:3], vcc
	s_cbranch_execz .LBB3364_77
; %bb.76:
	v_lshlrev_b32_e32 v23, 1, v24
	global_load_ubyte v23, v23, s[0:1]
	s_waitcnt vmcnt(0)
	v_xor_b32_e32 v23, -1, v23
	v_and_b32_e32 v23, 1, v23
.LBB3364_77:
	s_or_b64 exec, exec, s[2:3]
	v_or_b32_e32 v24, 0xa00, v0
	v_cmp_gt_u32_e32 vcc, s14, v24
	s_and_saveexec_b64 s[2:3], vcc
	s_cbranch_execz .LBB3364_79
; %bb.78:
	v_lshlrev_b32_e32 v22, 1, v24
	global_load_ubyte v22, v22, s[0:1]
	s_waitcnt vmcnt(0)
	v_xor_b32_e32 v22, -1, v22
	v_and_b32_e32 v22, 1, v22
.LBB3364_79:
	s_or_b64 exec, exec, s[2:3]
	v_or_b32_e32 v26, 0xc00, v0
	v_cmp_gt_u32_e32 vcc, s14, v26
	v_mov_b32_e32 v24, 0
	v_mov_b32_e32 v25, 0
	s_and_saveexec_b64 s[2:3], vcc
	s_cbranch_execz .LBB3364_81
; %bb.80:
	v_lshlrev_b32_e32 v25, 1, v26
	global_load_ubyte v25, v25, s[0:1]
	s_waitcnt vmcnt(0)
	v_xor_b32_e32 v25, -1, v25
	v_and_b32_e32 v25, 1, v25
.LBB3364_81:
	s_or_b64 exec, exec, s[2:3]
	v_or_b32_e32 v26, 0xe00, v0
	v_cmp_gt_u32_e32 vcc, s14, v26
	s_and_saveexec_b64 s[2:3], vcc
	s_cbranch_execz .LBB3364_83
; %bb.82:
	v_lshlrev_b32_e32 v24, 1, v26
	global_load_ubyte v24, v24, s[0:1]
	s_waitcnt vmcnt(0)
	v_xor_b32_e32 v24, -1, v24
	v_and_b32_e32 v24, 1, v24
.LBB3364_83:
	s_or_b64 exec, exec, s[2:3]
	v_or_b32_e32 v28, 0x1000, v0
	v_cmp_gt_u32_e32 vcc, s14, v28
	v_mov_b32_e32 v26, 0
	v_mov_b32_e32 v27, 0
	s_and_saveexec_b64 s[2:3], vcc
	s_cbranch_execz .LBB3364_85
; %bb.84:
	v_lshlrev_b32_e32 v27, 1, v28
	global_load_ubyte v27, v27, s[0:1]
	s_waitcnt vmcnt(0)
	v_xor_b32_e32 v27, -1, v27
	v_and_b32_e32 v27, 1, v27
.LBB3364_85:
	s_or_b64 exec, exec, s[2:3]
	v_or_b32_e32 v28, 0x1200, v0
	v_cmp_gt_u32_e32 vcc, s14, v28
	s_and_saveexec_b64 s[2:3], vcc
	s_cbranch_execz .LBB3364_87
; %bb.86:
	v_lshlrev_b32_e32 v26, 1, v28
	global_load_ubyte v26, v26, s[0:1]
	s_waitcnt vmcnt(0)
	v_xor_b32_e32 v26, -1, v26
	v_and_b32_e32 v26, 1, v26
.LBB3364_87:
	s_or_b64 exec, exec, s[2:3]
	v_or_b32_e32 v30, 0x1400, v0
	v_cmp_gt_u32_e32 vcc, s14, v30
	v_mov_b32_e32 v28, 0
	v_mov_b32_e32 v29, 0
	s_and_saveexec_b64 s[2:3], vcc
	s_cbranch_execz .LBB3364_89
; %bb.88:
	v_lshlrev_b32_e32 v29, 1, v30
	global_load_ubyte v29, v29, s[0:1]
	s_waitcnt vmcnt(0)
	v_xor_b32_e32 v29, -1, v29
	v_and_b32_e32 v29, 1, v29
.LBB3364_89:
	s_or_b64 exec, exec, s[2:3]
	v_or_b32_e32 v30, 0x1600, v0
	v_cmp_gt_u32_e32 vcc, s14, v30
	s_and_saveexec_b64 s[2:3], vcc
	s_cbranch_execz .LBB3364_91
; %bb.90:
	v_lshlrev_b32_e32 v28, 1, v30
	global_load_ubyte v28, v28, s[0:1]
	s_waitcnt vmcnt(0)
	v_xor_b32_e32 v28, -1, v28
	v_and_b32_e32 v28, 1, v28
.LBB3364_91:
	s_or_b64 exec, exec, s[2:3]
	v_or_b32_e32 v32, 0x1800, v0
	v_cmp_gt_u32_e32 vcc, s14, v32
	v_mov_b32_e32 v30, 0
	v_mov_b32_e32 v31, 0
	s_and_saveexec_b64 s[2:3], vcc
	s_cbranch_execz .LBB3364_93
; %bb.92:
	v_lshlrev_b32_e32 v31, 1, v32
	global_load_ubyte v31, v31, s[0:1]
	s_waitcnt vmcnt(0)
	v_xor_b32_e32 v31, -1, v31
	v_and_b32_e32 v31, 1, v31
.LBB3364_93:
	s_or_b64 exec, exec, s[2:3]
	v_or_b32_e32 v32, 0x1a00, v0
	v_cmp_gt_u32_e32 vcc, s14, v32
	s_and_saveexec_b64 s[2:3], vcc
	s_cbranch_execz .LBB3364_95
; %bb.94:
	v_lshlrev_b32_e32 v30, 1, v32
	global_load_ubyte v30, v30, s[0:1]
	s_waitcnt vmcnt(0)
	v_xor_b32_e32 v30, -1, v30
	v_and_b32_e32 v30, 1, v30
.LBB3364_95:
	s_or_b64 exec, exec, s[2:3]
	v_or_b32_e32 v34, 0x1c00, v0
	v_cmp_gt_u32_e32 vcc, s14, v34
	v_mov_b32_e32 v32, 0
	v_mov_b32_e32 v33, 0
	s_and_saveexec_b64 s[2:3], vcc
	s_cbranch_execz .LBB3364_97
; %bb.96:
	v_lshlrev_b32_e32 v33, 1, v34
	global_load_ubyte v33, v33, s[0:1]
	s_waitcnt vmcnt(0)
	v_xor_b32_e32 v33, -1, v33
	v_and_b32_e32 v33, 1, v33
.LBB3364_97:
	s_or_b64 exec, exec, s[2:3]
	v_or_b32_e32 v34, 0x1e00, v0
	v_cmp_gt_u32_e32 vcc, s14, v34
	s_and_saveexec_b64 s[2:3], vcc
	s_cbranch_execz .LBB3364_99
; %bb.98:
	v_lshlrev_b32_e32 v32, 1, v34
	global_load_ubyte v32, v32, s[0:1]
	s_waitcnt vmcnt(0)
	v_xor_b32_e32 v32, -1, v32
	v_and_b32_e32 v32, 1, v32
.LBB3364_99:
	s_or_b64 exec, exec, s[2:3]
	v_or_b32_e32 v36, 0x2000, v0
	v_cmp_gt_u32_e32 vcc, s14, v36
	v_mov_b32_e32 v34, 0
	v_mov_b32_e32 v35, 0
	s_and_saveexec_b64 s[2:3], vcc
	s_cbranch_execz .LBB3364_101
; %bb.100:
	v_lshlrev_b32_e32 v35, 1, v36
	global_load_ubyte v35, v35, s[0:1]
	s_waitcnt vmcnt(0)
	v_xor_b32_e32 v35, -1, v35
	v_and_b32_e32 v35, 1, v35
.LBB3364_101:
	s_or_b64 exec, exec, s[2:3]
	v_or_b32_e32 v36, 0x2200, v0
	v_cmp_gt_u32_e32 vcc, s14, v36
	s_and_saveexec_b64 s[2:3], vcc
	s_cbranch_execz .LBB3364_103
; %bb.102:
	v_lshlrev_b32_e32 v34, 1, v36
	global_load_ubyte v34, v34, s[0:1]
	s_waitcnt vmcnt(0)
	v_xor_b32_e32 v34, -1, v34
	v_and_b32_e32 v34, 1, v34
.LBB3364_103:
	s_or_b64 exec, exec, s[2:3]
	v_or_b32_e32 v38, 0x2400, v0
	v_cmp_gt_u32_e32 vcc, s14, v38
	v_mov_b32_e32 v36, 0
	v_mov_b32_e32 v37, 0
	s_and_saveexec_b64 s[2:3], vcc
	s_cbranch_execz .LBB3364_105
; %bb.104:
	v_lshlrev_b32_e32 v37, 1, v38
	global_load_ubyte v37, v37, s[0:1]
	s_waitcnt vmcnt(0)
	v_xor_b32_e32 v37, -1, v37
	v_and_b32_e32 v37, 1, v37
.LBB3364_105:
	s_or_b64 exec, exec, s[2:3]
	v_or_b32_e32 v38, 0x2600, v0
	v_cmp_gt_u32_e32 vcc, s14, v38
	s_and_saveexec_b64 s[2:3], vcc
	s_cbranch_execz .LBB3364_107
; %bb.106:
	v_lshlrev_b32_e32 v36, 1, v38
	global_load_ubyte v36, v36, s[0:1]
	s_waitcnt vmcnt(0)
	v_xor_b32_e32 v36, -1, v36
	v_and_b32_e32 v36, 1, v36
.LBB3364_107:
	s_or_b64 exec, exec, s[2:3]
	v_or_b32_e32 v40, 0x2800, v0
	v_cmp_gt_u32_e32 vcc, s14, v40
	v_mov_b32_e32 v38, 0
	v_mov_b32_e32 v39, 0
	s_and_saveexec_b64 s[2:3], vcc
	s_cbranch_execz .LBB3364_109
; %bb.108:
	v_lshlrev_b32_e32 v39, 1, v40
	global_load_ubyte v39, v39, s[0:1]
	s_waitcnt vmcnt(0)
	v_xor_b32_e32 v39, -1, v39
	v_and_b32_e32 v39, 1, v39
.LBB3364_109:
	s_or_b64 exec, exec, s[2:3]
	v_or_b32_e32 v40, 0x2a00, v0
	v_cmp_gt_u32_e32 vcc, s14, v40
	s_and_saveexec_b64 s[2:3], vcc
	s_cbranch_execz .LBB3364_111
; %bb.110:
	v_lshlrev_b32_e32 v38, 1, v40
	global_load_ubyte v38, v38, s[0:1]
	s_waitcnt vmcnt(0)
	v_xor_b32_e32 v38, -1, v38
	v_and_b32_e32 v38, 1, v38
.LBB3364_111:
	s_or_b64 exec, exec, s[2:3]
	v_or_b32_e32 v42, 0x2c00, v0
	v_cmp_gt_u32_e32 vcc, s14, v42
	v_mov_b32_e32 v40, 0
	v_mov_b32_e32 v41, 0
	s_and_saveexec_b64 s[2:3], vcc
	s_cbranch_execz .LBB3364_113
; %bb.112:
	v_lshlrev_b32_e32 v41, 1, v42
	global_load_ubyte v41, v41, s[0:1]
	s_waitcnt vmcnt(0)
	v_xor_b32_e32 v41, -1, v41
	v_and_b32_e32 v41, 1, v41
.LBB3364_113:
	s_or_b64 exec, exec, s[2:3]
	v_or_b32_e32 v42, 0x2e00, v0
	v_cmp_gt_u32_e32 vcc, s14, v42
	s_and_saveexec_b64 s[2:3], vcc
	s_cbranch_execz .LBB3364_115
; %bb.114:
	v_lshlrev_b32_e32 v40, 1, v42
	global_load_ubyte v40, v40, s[0:1]
	s_waitcnt vmcnt(0)
	v_xor_b32_e32 v40, -1, v40
	v_and_b32_e32 v40, 1, v40
.LBB3364_115:
	s_or_b64 exec, exec, s[2:3]
	v_or_b32_e32 v44, 0x3000, v0
	v_cmp_gt_u32_e32 vcc, s14, v44
	v_mov_b32_e32 v42, 0
	v_mov_b32_e32 v43, 0
	s_and_saveexec_b64 s[2:3], vcc
	s_cbranch_execz .LBB3364_117
; %bb.116:
	v_lshlrev_b32_e32 v43, 1, v44
	global_load_ubyte v43, v43, s[0:1]
	s_waitcnt vmcnt(0)
	v_xor_b32_e32 v43, -1, v43
	v_and_b32_e32 v43, 1, v43
.LBB3364_117:
	s_or_b64 exec, exec, s[2:3]
	v_or_b32_e32 v44, 0x3200, v0
	v_cmp_gt_u32_e32 vcc, s14, v44
	s_and_saveexec_b64 s[2:3], vcc
	s_cbranch_execz .LBB3364_119
; %bb.118:
	v_lshlrev_b32_e32 v42, 1, v44
	global_load_ubyte v42, v42, s[0:1]
	s_waitcnt vmcnt(0)
	v_xor_b32_e32 v42, -1, v42
	v_and_b32_e32 v42, 1, v42
.LBB3364_119:
	s_or_b64 exec, exec, s[2:3]
	v_or_b32_e32 v46, 0x3400, v0
	v_cmp_gt_u32_e32 vcc, s14, v46
	v_mov_b32_e32 v44, 0
	v_mov_b32_e32 v45, 0
	s_and_saveexec_b64 s[2:3], vcc
	s_cbranch_execz .LBB3364_121
; %bb.120:
	v_lshlrev_b32_e32 v45, 1, v46
	global_load_ubyte v45, v45, s[0:1]
	s_waitcnt vmcnt(0)
	v_xor_b32_e32 v45, -1, v45
	v_and_b32_e32 v45, 1, v45
.LBB3364_121:
	s_or_b64 exec, exec, s[2:3]
	v_or_b32_e32 v46, 0x3600, v0
	v_cmp_gt_u32_e32 vcc, s14, v46
	s_and_saveexec_b64 s[2:3], vcc
	s_cbranch_execz .LBB3364_123
; %bb.122:
	v_lshlrev_b32_e32 v44, 1, v46
	global_load_ubyte v44, v44, s[0:1]
	s_waitcnt vmcnt(0)
	v_xor_b32_e32 v44, -1, v44
	v_and_b32_e32 v44, 1, v44
.LBB3364_123:
	s_or_b64 exec, exec, s[2:3]
	ds_write_b8 v0, v19
	ds_write_b8 v0, v18 offset:512
	ds_write_b8 v0, v21 offset:1024
	;; [unrolled: 1-line block ×27, first 2 shown]
	s_waitcnt lgkmcnt(0)
	s_barrier
.LBB3364_124:
	ds_read2_b32 v[22:23], v1 offset1:1
	ds_read2_b32 v[20:21], v1 offset0:2 offset1:3
	ds_read2_b32 v[18:19], v1 offset0:4 offset1:5
	ds_read_b32 v35, v1 offset:24
	s_cmp_lg_u32 s30, 0
	v_lshrrev_b32_e32 v62, 6, v0
	s_waitcnt lgkmcnt(2)
	v_and_b32_e32 v54, 0xff, v20
	v_lshrrev_b32_e32 v42, 24, v22
	v_bfe_u32 v60, v22, 16, 8
	v_add_u32_sdwa v24, v22, v22 dst_sel:DWORD dst_unused:UNUSED_PAD src0_sel:BYTE_1 src1_sel:BYTE_0
	v_and_b32_e32 v57, 0xff, v23
	v_bfe_u32 v58, v23, 8, 8
	v_add3_u32 v24, v24, v60, v42
	v_lshrrev_b32_e32 v41, 24, v23
	v_bfe_u32 v59, v23, 16, 8
	v_add3_u32 v24, v24, v57, v58
	v_bfe_u32 v55, v20, 8, 8
	v_add3_u32 v24, v24, v59, v41
	v_lshrrev_b32_e32 v40, 24, v20
	v_bfe_u32 v56, v20, 16, 8
	v_add3_u32 v24, v24, v54, v55
	v_and_b32_e32 v51, 0xff, v21
	v_bfe_u32 v52, v21, 8, 8
	v_add3_u32 v24, v24, v56, v40
	v_lshrrev_b32_e32 v39, 24, v21
	v_bfe_u32 v53, v21, 16, 8
	v_add3_u32 v24, v24, v51, v52
	s_waitcnt lgkmcnt(1)
	v_and_b32_e32 v48, 0xff, v18
	v_bfe_u32 v49, v18, 8, 8
	v_add3_u32 v24, v24, v53, v39
	v_lshrrev_b32_e32 v38, 24, v18
	v_bfe_u32 v50, v18, 16, 8
	v_add3_u32 v24, v24, v48, v49
	v_and_b32_e32 v45, 0xff, v19
	v_bfe_u32 v46, v19, 8, 8
	v_add3_u32 v24, v24, v50, v38
	v_lshrrev_b32_e32 v37, 24, v19
	v_bfe_u32 v47, v19, 16, 8
	v_add3_u32 v24, v24, v45, v46
	s_waitcnt lgkmcnt(0)
	v_and_b32_e32 v43, 0xff, v35
	v_bfe_u32 v44, v35, 8, 8
	v_add3_u32 v24, v24, v47, v37
	v_lshrrev_b32_e32 v34, 24, v35
	v_bfe_u32 v36, v35, 16, 8
	v_add3_u32 v24, v24, v43, v44
	v_add3_u32 v63, v24, v36, v34
	v_mbcnt_lo_u32_b32 v24, -1, 0
	v_mbcnt_hi_u32_b32 v61, -1, v24
	v_and_b32_e32 v24, 15, v61
	v_cmp_eq_u32_e64 s[14:15], 0, v24
	v_cmp_lt_u32_e64 s[12:13], 1, v24
	v_cmp_lt_u32_e64 s[10:11], 3, v24
	;; [unrolled: 1-line block ×3, first 2 shown]
	v_and_b32_e32 v24, 16, v61
	v_cmp_eq_u32_e64 s[6:7], 0, v24
	v_or_b32_e32 v24, 63, v0
	v_cmp_lt_u32_e64 s[2:3], 31, v61
	v_cmp_eq_u32_e64 s[4:5], v24, v0
	s_barrier
	s_cbranch_scc0 .LBB3364_155
; %bb.125:
	v_mov_b32_dpp v24, v63 row_shr:1 row_mask:0xf bank_mask:0xf
	v_cndmask_b32_e64 v24, v24, 0, s[14:15]
	v_add_u32_e32 v24, v24, v63
	s_nop 1
	v_mov_b32_dpp v25, v24 row_shr:2 row_mask:0xf bank_mask:0xf
	v_cndmask_b32_e64 v25, 0, v25, s[12:13]
	v_add_u32_e32 v24, v24, v25
	s_nop 1
	v_mov_b32_dpp v25, v24 row_shr:4 row_mask:0xf bank_mask:0xf
	v_cndmask_b32_e64 v25, 0, v25, s[10:11]
	v_add_u32_e32 v24, v24, v25
	s_nop 1
	v_mov_b32_dpp v25, v24 row_shr:8 row_mask:0xf bank_mask:0xf
	v_cndmask_b32_e64 v25, 0, v25, s[8:9]
	v_add_u32_e32 v24, v24, v25
	s_nop 1
	v_mov_b32_dpp v25, v24 row_bcast:15 row_mask:0xf bank_mask:0xf
	v_cndmask_b32_e64 v25, v25, 0, s[6:7]
	v_add_u32_e32 v24, v24, v25
	s_nop 1
	v_mov_b32_dpp v25, v24 row_bcast:31 row_mask:0xf bank_mask:0xf
	v_cndmask_b32_e64 v25, 0, v25, s[2:3]
	v_add_u32_e32 v24, v24, v25
	s_and_saveexec_b64 s[0:1], s[4:5]
	s_cbranch_execz .LBB3364_127
; %bb.126:
	v_lshlrev_b32_e32 v25, 2, v62
	ds_write_b32 v25, v24
.LBB3364_127:
	s_or_b64 exec, exec, s[0:1]
	v_cmp_gt_u32_e32 vcc, 8, v0
	s_waitcnt lgkmcnt(0)
	s_barrier
	s_and_saveexec_b64 s[0:1], vcc
	s_cbranch_execz .LBB3364_129
; %bb.128:
	v_lshlrev_b32_e32 v25, 2, v0
	ds_read_b32 v26, v25
	v_and_b32_e32 v27, 7, v61
	v_cmp_ne_u32_e32 vcc, 0, v27
	s_waitcnt lgkmcnt(0)
	v_mov_b32_dpp v28, v26 row_shr:1 row_mask:0xf bank_mask:0xf
	v_cndmask_b32_e32 v28, 0, v28, vcc
	v_add_u32_e32 v26, v28, v26
	v_cmp_lt_u32_e32 vcc, 1, v27
	s_nop 0
	v_mov_b32_dpp v28, v26 row_shr:2 row_mask:0xf bank_mask:0xf
	v_cndmask_b32_e32 v28, 0, v28, vcc
	v_add_u32_e32 v26, v26, v28
	v_cmp_lt_u32_e32 vcc, 3, v27
	s_nop 0
	v_mov_b32_dpp v28, v26 row_shr:4 row_mask:0xf bank_mask:0xf
	v_cndmask_b32_e32 v27, 0, v28, vcc
	v_add_u32_e32 v26, v26, v27
	ds_write_b32 v25, v26
.LBB3364_129:
	s_or_b64 exec, exec, s[0:1]
	v_cmp_gt_u32_e32 vcc, 64, v0
	v_cmp_lt_u32_e64 s[0:1], 63, v0
	s_waitcnt lgkmcnt(0)
	s_barrier
	s_waitcnt lgkmcnt(0)
                                        ; implicit-def: $vgpr64
	s_and_saveexec_b64 s[16:17], s[0:1]
	s_cbranch_execz .LBB3364_131
; %bb.130:
	v_lshl_add_u32 v25, v62, 2, -4
	ds_read_b32 v64, v25
	s_waitcnt lgkmcnt(0)
	v_add_u32_e32 v24, v64, v24
.LBB3364_131:
	s_or_b64 exec, exec, s[16:17]
	v_add_u32_e32 v25, -1, v61
	v_and_b32_e32 v26, 64, v61
	v_cmp_lt_i32_e64 s[0:1], v25, v26
	v_cmp_eq_u32_e64 s[16:17], 0, v61
	s_nop 0
	v_cndmask_b32_e64 v25, v25, v61, s[0:1]
	v_lshlrev_b32_e32 v25, 2, v25
	ds_bpermute_b32 v65, v25, v24
	s_and_saveexec_b64 s[0:1], vcc
	s_cbranch_execz .LBB3364_154
; %bb.132:
	v_mov_b32_e32 v33, 0
	ds_read_b32 v24, v33 offset:28
	s_and_saveexec_b64 s[26:27], s[16:17]
	s_cbranch_execz .LBB3364_134
; %bb.133:
	s_add_i32 s28, s30, 64
	s_mov_b32 s29, 0
	s_lshl_b64 s[28:29], s[28:29], 3
	s_add_u32 s28, s24, s28
	v_mov_b32_e32 v25, 1
	s_addc_u32 s29, s25, s29
	s_waitcnt lgkmcnt(0)
	global_store_dwordx2 v33, v[24:25], s[28:29] sc1
.LBB3364_134:
	s_or_b64 exec, exec, s[26:27]
	v_xad_u32 v26, v61, -1, s30
	v_add_u32_e32 v32, 64, v26
	v_lshl_add_u64 v[28:29], v[32:33], 3, s[24:25]
	global_load_dwordx2 v[30:31], v[28:29], off sc1
	s_waitcnt vmcnt(0)
	v_cmp_eq_u16_sdwa s[28:29], v31, v33 src0_sel:BYTE_0 src1_sel:DWORD
	s_and_saveexec_b64 s[26:27], s[28:29]
	s_cbranch_execz .LBB3364_140
; %bb.135:
	s_mov_b32 s31, 1
	s_mov_b64 s[28:29], 0
	v_mov_b32_e32 v25, 0
.LBB3364_136:                           ; =>This Loop Header: Depth=1
                                        ;     Child Loop BB3364_137 Depth 2
	s_max_u32 s33, s31, 1
.LBB3364_137:                           ;   Parent Loop BB3364_136 Depth=1
                                        ; =>  This Inner Loop Header: Depth=2
	s_add_i32 s33, s33, -1
	s_cmp_eq_u32 s33, 0
	s_sleep 1
	s_cbranch_scc0 .LBB3364_137
; %bb.138:                              ;   in Loop: Header=BB3364_136 Depth=1
	global_load_dwordx2 v[30:31], v[28:29], off sc1
	s_cmp_lt_u32 s31, 32
	s_cselect_b64 s[34:35], -1, 0
	s_cmp_lg_u64 s[34:35], 0
	s_addc_u32 s31, s31, 0
	s_waitcnt vmcnt(0)
	v_cmp_ne_u16_sdwa s[34:35], v31, v25 src0_sel:BYTE_0 src1_sel:DWORD
	s_or_b64 s[28:29], s[34:35], s[28:29]
	s_andn2_b64 exec, exec, s[28:29]
	s_cbranch_execnz .LBB3364_136
; %bb.139:
	s_or_b64 exec, exec, s[28:29]
.LBB3364_140:
	s_or_b64 exec, exec, s[26:27]
	v_and_b32_e32 v67, 63, v61
	v_mov_b32_e32 v66, 2
	v_cmp_ne_u32_e32 vcc, 63, v67
	v_cmp_eq_u16_sdwa s[26:27], v31, v66 src0_sel:BYTE_0 src1_sel:DWORD
	v_lshlrev_b64 v[28:29], v61, -1
	v_addc_co_u32_e32 v32, vcc, 0, v61, vcc
	v_and_b32_e32 v25, s27, v29
	v_lshlrev_b32_e32 v68, 2, v32
	v_or_b32_e32 v25, 0x80000000, v25
	ds_bpermute_b32 v32, v68, v30
	v_and_b32_e32 v27, s26, v28
	v_ffbl_b32_e32 v25, v25
	v_add_u32_e32 v25, 32, v25
	v_ffbl_b32_e32 v27, v27
	v_min_u32_e32 v25, v27, v25
	v_cmp_lt_u32_e32 vcc, v67, v25
	v_add_u32_e32 v70, 2, v67
	v_add_u32_e32 v72, 4, v67
	s_waitcnt lgkmcnt(0)
	v_cndmask_b32_e32 v27, 0, v32, vcc
	v_cmp_gt_u32_e32 vcc, 62, v67
	v_add_u32_e32 v27, v27, v30
	v_add_u32_e32 v74, 8, v67
	v_cndmask_b32_e64 v30, 0, 1, vcc
	v_lshlrev_b32_e32 v30, 1, v30
	v_add_lshl_u32 v69, v30, v61, 2
	ds_bpermute_b32 v30, v69, v27
	v_cmp_le_u32_e32 vcc, v70, v25
	v_add_u32_e32 v76, 16, v67
	v_add_u32_e32 v78, 32, v67
	s_waitcnt lgkmcnt(0)
	v_cndmask_b32_e32 v30, 0, v30, vcc
	v_cmp_gt_u32_e32 vcc, 60, v67
	v_add_u32_e32 v27, v27, v30
	s_nop 0
	v_cndmask_b32_e64 v30, 0, 1, vcc
	v_lshlrev_b32_e32 v30, 2, v30
	v_add_lshl_u32 v71, v30, v61, 2
	ds_bpermute_b32 v30, v71, v27
	v_cmp_le_u32_e32 vcc, v72, v25
	s_waitcnt lgkmcnt(0)
	s_nop 0
	v_cndmask_b32_e32 v30, 0, v30, vcc
	v_cmp_gt_u32_e32 vcc, 56, v67
	v_add_u32_e32 v27, v27, v30
	s_nop 0
	v_cndmask_b32_e64 v30, 0, 1, vcc
	v_lshlrev_b32_e32 v30, 3, v30
	v_add_lshl_u32 v73, v30, v61, 2
	ds_bpermute_b32 v30, v73, v27
	v_cmp_le_u32_e32 vcc, v74, v25
	s_waitcnt lgkmcnt(0)
	s_nop 0
	;; [unrolled: 11-line block ×4, first 2 shown]
	v_cndmask_b32_e32 v25, 0, v30, vcc
	v_add_u32_e32 v30, v27, v25
	v_mov_b32_e32 v27, 0
	s_branch .LBB3364_142
.LBB3364_141:                           ;   in Loop: Header=BB3364_142 Depth=1
	s_or_b64 exec, exec, s[26:27]
	v_cmp_eq_u16_sdwa s[26:27], v31, v66 src0_sel:BYTE_0 src1_sel:DWORD
	ds_bpermute_b32 v79, v68, v30
	v_subrev_u32_e32 v26, 64, v26
	v_and_b32_e32 v32, s27, v29
	v_or_b32_e32 v32, 0x80000000, v32
	v_and_b32_e32 v33, s26, v28
	v_ffbl_b32_e32 v32, v32
	v_add_u32_e32 v32, 32, v32
	v_ffbl_b32_e32 v33, v33
	v_min_u32_e32 v32, v33, v32
	v_cmp_lt_u32_e32 vcc, v67, v32
	s_waitcnt lgkmcnt(0)
	s_nop 0
	v_cndmask_b32_e32 v33, 0, v79, vcc
	v_add_u32_e32 v30, v33, v30
	ds_bpermute_b32 v33, v69, v30
	v_cmp_le_u32_e32 vcc, v70, v32
	s_waitcnt lgkmcnt(0)
	s_nop 0
	v_cndmask_b32_e32 v33, 0, v33, vcc
	v_add_u32_e32 v30, v30, v33
	ds_bpermute_b32 v33, v71, v30
	v_cmp_le_u32_e32 vcc, v72, v32
	;; [unrolled: 6-line block ×5, first 2 shown]
	s_waitcnt lgkmcnt(0)
	s_nop 0
	v_cndmask_b32_e32 v32, 0, v33, vcc
	v_add3_u32 v30, v32, v25, v30
.LBB3364_142:                           ; =>This Loop Header: Depth=1
                                        ;     Child Loop BB3364_145 Depth 2
                                        ;       Child Loop BB3364_146 Depth 3
	v_cmp_ne_u16_sdwa s[26:27], v31, v66 src0_sel:BYTE_0 src1_sel:DWORD
	s_nop 1
	v_cndmask_b32_e64 v25, 0, 1, s[26:27]
	;;#ASMSTART
	;;#ASMEND
	s_nop 0
	v_cmp_ne_u32_e32 vcc, 0, v25
	s_cmp_lg_u64 vcc, exec
	v_mov_b32_e32 v25, v30
	s_cbranch_scc1 .LBB3364_149
; %bb.143:                              ;   in Loop: Header=BB3364_142 Depth=1
	v_lshl_add_u64 v[32:33], v[26:27], 3, s[24:25]
	global_load_dwordx2 v[30:31], v[32:33], off sc1
	s_waitcnt vmcnt(0)
	v_cmp_eq_u16_sdwa s[28:29], v31, v27 src0_sel:BYTE_0 src1_sel:DWORD
	s_and_saveexec_b64 s[26:27], s[28:29]
	s_cbranch_execz .LBB3364_141
; %bb.144:                              ;   in Loop: Header=BB3364_142 Depth=1
	s_mov_b32 s31, 1
	s_mov_b64 s[28:29], 0
.LBB3364_145:                           ;   Parent Loop BB3364_142 Depth=1
                                        ; =>  This Loop Header: Depth=2
                                        ;       Child Loop BB3364_146 Depth 3
	s_max_u32 s33, s31, 1
.LBB3364_146:                           ;   Parent Loop BB3364_142 Depth=1
                                        ;     Parent Loop BB3364_145 Depth=2
                                        ; =>    This Inner Loop Header: Depth=3
	s_add_i32 s33, s33, -1
	s_cmp_eq_u32 s33, 0
	s_sleep 1
	s_cbranch_scc0 .LBB3364_146
; %bb.147:                              ;   in Loop: Header=BB3364_145 Depth=2
	global_load_dwordx2 v[30:31], v[32:33], off sc1
	s_cmp_lt_u32 s31, 32
	s_cselect_b64 s[34:35], -1, 0
	s_cmp_lg_u64 s[34:35], 0
	s_addc_u32 s31, s31, 0
	s_waitcnt vmcnt(0)
	v_cmp_ne_u16_sdwa s[34:35], v31, v27 src0_sel:BYTE_0 src1_sel:DWORD
	s_or_b64 s[28:29], s[34:35], s[28:29]
	s_andn2_b64 exec, exec, s[28:29]
	s_cbranch_execnz .LBB3364_145
; %bb.148:                              ;   in Loop: Header=BB3364_142 Depth=1
	s_or_b64 exec, exec, s[28:29]
	s_branch .LBB3364_141
.LBB3364_149:                           ;   in Loop: Header=BB3364_142 Depth=1
                                        ; implicit-def: $vgpr30
                                        ; implicit-def: $vgpr31
	s_cbranch_execz .LBB3364_142
; %bb.150:
	s_and_saveexec_b64 s[26:27], s[16:17]
	s_cbranch_execz .LBB3364_152
; %bb.151:
	s_add_i32 s28, s30, 64
	s_mov_b32 s29, 0
	s_lshl_b64 s[28:29], s[28:29], 3
	s_add_u32 s28, s24, s28
	v_add_u32_e32 v26, v25, v24
	v_mov_b32_e32 v27, 2
	s_addc_u32 s29, s25, s29
	v_mov_b32_e32 v28, 0
	global_store_dwordx2 v28, v[26:27], s[28:29] sc1
	ds_write_b64 v28, v[24:25] offset:28672
.LBB3364_152:
	s_or_b64 exec, exec, s[26:27]
	s_and_b64 exec, exec, s[18:19]
	s_cbranch_execz .LBB3364_154
; %bb.153:
	v_mov_b32_e32 v24, 0
	ds_write_b32 v24, v25 offset:28
.LBB3364_154:
	s_or_b64 exec, exec, s[0:1]
	v_mov_b32_e32 v24, 0
	s_waitcnt lgkmcnt(0)
	s_barrier
	ds_read_b32 v26, v24 offset:28
	s_waitcnt lgkmcnt(0)
	s_barrier
	ds_read_b64 v[24:25], v24 offset:28672
	v_cndmask_b32_e64 v27, v65, v64, s[16:17]
	v_cndmask_b32_e64 v27, v27, 0, s[18:19]
	v_add_u32_e32 v31, v26, v27
	s_branch .LBB3364_165
.LBB3364_155:
                                        ; implicit-def: $vgpr25
                                        ; implicit-def: $vgpr31
	s_cbranch_execz .LBB3364_165
; %bb.156:
	s_waitcnt lgkmcnt(0)
	v_mov_b32_dpp v24, v63 row_shr:1 row_mask:0xf bank_mask:0xf
	v_cndmask_b32_e64 v24, v24, 0, s[14:15]
	v_add_u32_e32 v24, v24, v63
	s_nop 1
	v_mov_b32_dpp v25, v24 row_shr:2 row_mask:0xf bank_mask:0xf
	v_cndmask_b32_e64 v25, 0, v25, s[12:13]
	v_add_u32_e32 v24, v24, v25
	s_nop 1
	;; [unrolled: 4-line block ×4, first 2 shown]
	v_mov_b32_dpp v25, v24 row_bcast:15 row_mask:0xf bank_mask:0xf
	v_cndmask_b32_e64 v25, v25, 0, s[6:7]
	v_add_u32_e32 v24, v24, v25
	s_nop 1
	v_mov_b32_dpp v25, v24 row_bcast:31 row_mask:0xf bank_mask:0xf
	v_cndmask_b32_e64 v25, 0, v25, s[2:3]
	v_add_u32_e32 v24, v24, v25
	s_and_saveexec_b64 s[0:1], s[4:5]
	s_cbranch_execz .LBB3364_158
; %bb.157:
	v_lshlrev_b32_e32 v25, 2, v62
	ds_write_b32 v25, v24
.LBB3364_158:
	s_or_b64 exec, exec, s[0:1]
	v_cmp_gt_u32_e32 vcc, 8, v0
	s_waitcnt lgkmcnt(0)
	s_barrier
	s_and_saveexec_b64 s[0:1], vcc
	s_cbranch_execz .LBB3364_160
; %bb.159:
	v_lshlrev_b32_e32 v25, 2, v0
	ds_read_b32 v26, v25
	v_and_b32_e32 v27, 7, v61
	v_cmp_ne_u32_e32 vcc, 0, v27
	s_waitcnt lgkmcnt(0)
	v_mov_b32_dpp v28, v26 row_shr:1 row_mask:0xf bank_mask:0xf
	v_cndmask_b32_e32 v28, 0, v28, vcc
	v_add_u32_e32 v26, v28, v26
	v_cmp_lt_u32_e32 vcc, 1, v27
	s_nop 0
	v_mov_b32_dpp v28, v26 row_shr:2 row_mask:0xf bank_mask:0xf
	v_cndmask_b32_e32 v28, 0, v28, vcc
	v_add_u32_e32 v26, v26, v28
	v_cmp_lt_u32_e32 vcc, 3, v27
	s_nop 0
	v_mov_b32_dpp v28, v26 row_shr:4 row_mask:0xf bank_mask:0xf
	v_cndmask_b32_e32 v27, 0, v28, vcc
	v_add_u32_e32 v26, v26, v27
	ds_write_b32 v25, v26
.LBB3364_160:
	s_or_b64 exec, exec, s[0:1]
	v_cmp_lt_u32_e32 vcc, 63, v0
	v_mov_b32_e32 v25, 0
	v_mov_b32_e32 v0, 0
	s_waitcnt lgkmcnt(0)
	s_barrier
	s_and_saveexec_b64 s[0:1], vcc
	s_cbranch_execz .LBB3364_162
; %bb.161:
	v_lshl_add_u32 v0, v62, 2, -4
	ds_read_b32 v0, v0
.LBB3364_162:
	s_or_b64 exec, exec, s[0:1]
	v_add_u32_e32 v26, -1, v61
	v_and_b32_e32 v27, 64, v61
	v_cmp_lt_i32_e32 vcc, v26, v27
	s_waitcnt lgkmcnt(0)
	v_add_u32_e32 v24, v0, v24
	v_cndmask_b32_e32 v26, v26, v61, vcc
	v_lshlrev_b32_e32 v26, 2, v26
	ds_bpermute_b32 v26, v26, v24
	ds_read_b32 v24, v25 offset:28
	s_and_saveexec_b64 s[0:1], s[18:19]
	s_cbranch_execz .LBB3364_164
; %bb.163:
	v_mov_b32_e32 v27, 0
	v_mov_b32_e32 v25, 2
	s_waitcnt lgkmcnt(0)
	global_store_dwordx2 v27, v[24:25], s[24:25] offset:512 sc1
.LBB3364_164:
	s_or_b64 exec, exec, s[0:1]
	v_cmp_eq_u32_e32 vcc, 0, v61
	v_mov_b32_e32 v25, 0
	s_waitcnt lgkmcnt(0)
	v_cndmask_b32_e32 v0, v26, v0, vcc
	v_cndmask_b32_e64 v31, v0, 0, s[18:19]
	s_barrier
.LBB3364_165:
	v_add_u32_sdwa v33, v31, v22 dst_sel:DWORD dst_unused:UNUSED_PAD src0_sel:DWORD src1_sel:BYTE_0
	s_waitcnt lgkmcnt(0)
	v_add_u32_e32 v1, v24, v1
	v_sub_u32_e32 v31, v31, v25
	v_and_b32_e32 v69, 1, v22
	v_sub_u32_e32 v68, v1, v31
	v_cmp_eq_u32_e32 vcc, 1, v69
	v_lshrrev_b32_e32 v32, 8, v22
	v_add_u32_sdwa v61, v33, v22 dst_sel:DWORD dst_unused:UNUSED_PAD src0_sel:DWORD src1_sel:BYTE_1
	v_cndmask_b32_e32 v31, v68, v31, vcc
	v_lshlrev_b32_e32 v31, 1, v31
	ds_write_b16 v31, v10
	v_sub_u32_e32 v31, v33, v25
	v_sub_u32_e32 v33, v1, v31
	v_and_b32_e32 v32, 1, v32
	v_add_u32_e32 v33, 1, v33
	v_cmp_eq_u32_e32 vcc, 1, v32
	v_mov_b32_e32 v32, 1
	v_and_b32_sdwa v22, v32, v22 dst_sel:DWORD dst_unused:UNUSED_PAD src0_sel:DWORD src1_sel:WORD_1
	v_cndmask_b32_e32 v31, v33, v31, vcc
	v_lshlrev_b32_e32 v31, 1, v31
	ds_write_b16_d16_hi v31, v10
	v_sub_u32_e32 v10, v61, v25
	v_sub_u32_e32 v31, v1, v10
	v_add_u32_e32 v31, 2, v31
	v_cmp_eq_u32_e32 vcc, 1, v22
	v_add_u32_e32 v60, v61, v60
	v_add_u32_e32 v62, v60, v42
	v_cndmask_b32_e32 v10, v31, v10, vcc
	v_lshlrev_b32_e32 v10, 1, v10
	ds_write_b16 v10, v11
	v_sub_u32_e32 v10, v60, v25
	v_sub_u32_e32 v22, v1, v10
	v_and_b32_e32 v31, 1, v42
	v_add_u32_e32 v22, 3, v22
	v_cmp_eq_u32_e32 vcc, 1, v31
	v_add_u32_e32 v57, v62, v57
	v_lshrrev_b32_e32 v30, 8, v23
	v_cndmask_b32_e32 v10, v22, v10, vcc
	v_lshlrev_b32_e32 v10, 1, v10
	ds_write_b16_d16_hi v10, v11
	v_sub_u32_e32 v10, v62, v25
	v_sub_u32_e32 v11, v1, v10
	v_and_b32_e32 v22, 1, v23
	v_add_u32_e32 v11, 4, v11
	v_cmp_eq_u32_e32 vcc, 1, v22
	v_and_b32_e32 v22, 1, v30
	v_add_u32_e32 v58, v57, v58
	v_cndmask_b32_e32 v10, v11, v10, vcc
	v_lshlrev_b32_e32 v10, 1, v10
	ds_write_b16 v10, v12
	v_sub_u32_e32 v10, v57, v25
	v_sub_u32_e32 v11, v1, v10
	v_add_u32_e32 v11, 5, v11
	v_cmp_eq_u32_e32 vcc, 1, v22
	v_add_u32_e32 v59, v58, v59
	v_add_u32_e32 v63, v59, v41
	v_cndmask_b32_e32 v10, v11, v10, vcc
	v_lshlrev_b32_e32 v10, 1, v10
	ds_write_b16_d16_hi v10, v12
	v_sub_u32_e32 v10, v58, v25
	v_sub_u32_e32 v11, v1, v10
	v_and_b32_sdwa v12, v32, v23 dst_sel:DWORD dst_unused:UNUSED_PAD src0_sel:DWORD src1_sel:WORD_1
	v_add_u32_e32 v11, 6, v11
	v_cmp_eq_u32_e32 vcc, 1, v12
	v_and_b32_e32 v12, 1, v41
	v_add_u32_e32 v54, v63, v54
	v_cndmask_b32_e32 v10, v11, v10, vcc
	v_lshlrev_b32_e32 v10, 1, v10
	ds_write_b16 v10, v13
	v_sub_u32_e32 v10, v59, v25
	v_sub_u32_e32 v11, v1, v10
	v_add_u32_e32 v11, 7, v11
	v_cmp_eq_u32_e32 vcc, 1, v12
	v_and_b32_e32 v12, 1, v20
	v_lshrrev_b32_e32 v29, 8, v20
	v_cndmask_b32_e32 v10, v11, v10, vcc
	v_lshlrev_b32_e32 v10, 1, v10
	ds_write_b16_d16_hi v10, v13
	v_sub_u32_e32 v10, v63, v25
	v_sub_u32_e32 v11, v1, v10
	v_add_u32_e32 v11, 8, v11
	v_cmp_eq_u32_e32 vcc, 1, v12
	v_and_b32_e32 v12, 1, v29
	v_add_u32_e32 v55, v54, v55
	v_cndmask_b32_e32 v10, v11, v10, vcc
	v_lshlrev_b32_e32 v10, 1, v10
	ds_write_b16 v10, v6
	v_sub_u32_e32 v10, v54, v25
	v_sub_u32_e32 v11, v1, v10
	v_add_u32_e32 v11, 9, v11
	v_cmp_eq_u32_e32 vcc, 1, v12
	v_add_u32_e32 v56, v55, v56
	v_add_u32_e32 v64, v56, v40
	v_cndmask_b32_e32 v10, v11, v10, vcc
	v_lshlrev_b32_e32 v10, 1, v10
	ds_write_b16_d16_hi v10, v6
	v_sub_u32_e32 v6, v55, v25
	v_sub_u32_e32 v10, v1, v6
	v_and_b32_sdwa v11, v32, v20 dst_sel:DWORD dst_unused:UNUSED_PAD src0_sel:DWORD src1_sel:WORD_1
	v_add_u32_e32 v10, 10, v10
	v_cmp_eq_u32_e32 vcc, 1, v11
	v_and_b32_e32 v11, 1, v40
	v_add_u32_e32 v51, v64, v51
	v_cndmask_b32_e32 v6, v10, v6, vcc
	v_lshlrev_b32_e32 v6, 1, v6
	ds_write_b16 v6, v7
	v_sub_u32_e32 v6, v56, v25
	v_sub_u32_e32 v10, v1, v6
	v_add_u32_e32 v10, 11, v10
	v_cmp_eq_u32_e32 vcc, 1, v11
	v_lshrrev_b32_e32 v28, 8, v21
	v_add_u32_e32 v52, v51, v52
	v_cndmask_b32_e32 v6, v10, v6, vcc
	v_lshlrev_b32_e32 v6, 1, v6
	ds_write_b16_d16_hi v6, v7
	v_sub_u32_e32 v6, v64, v25
	v_sub_u32_e32 v7, v1, v6
	v_and_b32_e32 v10, 1, v21
	v_add_u32_e32 v7, 12, v7
	v_cmp_eq_u32_e32 vcc, 1, v10
	v_and_b32_e32 v10, 1, v28
	v_add_u32_e32 v53, v52, v53
	v_cndmask_b32_e32 v6, v7, v6, vcc
	v_lshlrev_b32_e32 v6, 1, v6
	ds_write_b16 v6, v8
	v_sub_u32_e32 v6, v51, v25
	v_sub_u32_e32 v7, v1, v6
	v_add_u32_e32 v7, 13, v7
	v_cmp_eq_u32_e32 vcc, 1, v10
	v_add_u32_e32 v65, v53, v39
	v_add_u32_e32 v48, v65, v48
	v_cndmask_b32_e32 v6, v7, v6, vcc
	v_lshlrev_b32_e32 v6, 1, v6
	ds_write_b16_d16_hi v6, v8
	v_sub_u32_e32 v6, v52, v25
	v_sub_u32_e32 v7, v1, v6
	v_and_b32_sdwa v8, v32, v21 dst_sel:DWORD dst_unused:UNUSED_PAD src0_sel:DWORD src1_sel:WORD_1
	v_add_u32_e32 v7, 14, v7
	v_cmp_eq_u32_e32 vcc, 1, v8
	v_and_b32_e32 v8, 1, v39
	v_lshrrev_b32_e32 v27, 8, v18
	v_cndmask_b32_e32 v6, v7, v6, vcc
	v_lshlrev_b32_e32 v6, 1, v6
	ds_write_b16 v6, v9
	v_sub_u32_e32 v6, v53, v25
	v_sub_u32_e32 v7, v1, v6
	v_add_u32_e32 v7, 15, v7
	v_cmp_eq_u32_e32 vcc, 1, v8
	v_and_b32_e32 v8, 1, v18
	v_add_u32_e32 v49, v48, v49
	v_cndmask_b32_e32 v6, v7, v6, vcc
	v_lshlrev_b32_e32 v6, 1, v6
	ds_write_b16_d16_hi v6, v9
	v_sub_u32_e32 v6, v65, v25
	v_sub_u32_e32 v7, v1, v6
	v_add_u32_e32 v7, 16, v7
	v_cmp_eq_u32_e32 vcc, 1, v8
	v_and_b32_e32 v8, 1, v27
	v_add_u32_e32 v50, v49, v50
	v_cndmask_b32_e32 v6, v7, v6, vcc
	v_lshlrev_b32_e32 v6, 1, v6
	ds_write_b16 v6, v2
	v_sub_u32_e32 v6, v48, v25
	v_sub_u32_e32 v7, v1, v6
	v_add_u32_e32 v7, 17, v7
	v_cmp_eq_u32_e32 vcc, 1, v8
	v_add_u32_e32 v66, v50, v38
	v_add_u32_e32 v45, v66, v45
	v_cndmask_b32_e32 v6, v7, v6, vcc
	v_lshlrev_b32_e32 v6, 1, v6
	ds_write_b16_d16_hi v6, v2
	v_sub_u32_e32 v2, v49, v25
	v_sub_u32_e32 v6, v1, v2
	v_and_b32_sdwa v7, v32, v18 dst_sel:DWORD dst_unused:UNUSED_PAD src0_sel:DWORD src1_sel:WORD_1
	v_add_u32_e32 v6, 18, v6
	v_cmp_eq_u32_e32 vcc, 1, v7
	v_and_b32_e32 v7, 1, v38
	v_lshrrev_b32_e32 v26, 8, v19
	v_cndmask_b32_e32 v2, v6, v2, vcc
	v_lshlrev_b32_e32 v2, 1, v2
	ds_write_b16 v2, v3
	v_sub_u32_e32 v2, v50, v25
	v_sub_u32_e32 v6, v1, v2
	v_add_u32_e32 v6, 19, v6
	v_cmp_eq_u32_e32 vcc, 1, v7
	v_add_u32_e32 v46, v45, v46
	v_add_u32_e32 v47, v46, v47
	v_cndmask_b32_e32 v2, v6, v2, vcc
	v_lshlrev_b32_e32 v2, 1, v2
	ds_write_b16_d16_hi v2, v3
	v_sub_u32_e32 v2, v66, v25
	v_sub_u32_e32 v3, v1, v2
	v_and_b32_e32 v6, 1, v19
	v_add_u32_e32 v3, 20, v3
	v_cmp_eq_u32_e32 vcc, 1, v6
	v_and_b32_e32 v6, 1, v26
	v_add_u32_e32 v67, v47, v37
	v_cndmask_b32_e32 v2, v3, v2, vcc
	v_lshlrev_b32_e32 v2, 1, v2
	ds_write_b16 v2, v4
	v_sub_u32_e32 v2, v45, v25
	v_sub_u32_e32 v3, v1, v2
	v_add_u32_e32 v3, 21, v3
	v_cmp_eq_u32_e32 vcc, 1, v6
	v_add_u32_e32 v43, v67, v43
	v_lshrrev_b32_e32 v0, 8, v35
	v_cndmask_b32_e32 v2, v3, v2, vcc
	v_lshlrev_b32_e32 v2, 1, v2
	ds_write_b16_d16_hi v2, v4
	v_sub_u32_e32 v2, v46, v25
	v_sub_u32_e32 v3, v1, v2
	v_and_b32_sdwa v4, v32, v19 dst_sel:DWORD dst_unused:UNUSED_PAD src0_sel:DWORD src1_sel:WORD_1
	v_add_u32_e32 v3, 22, v3
	v_cmp_eq_u32_e32 vcc, 1, v4
	v_and_b32_e32 v4, 1, v37
	v_and_b32_e32 v0, 1, v0
	v_cndmask_b32_e32 v2, v3, v2, vcc
	v_lshlrev_b32_e32 v2, 1, v2
	ds_write_b16 v2, v5
	v_sub_u32_e32 v2, v47, v25
	v_sub_u32_e32 v3, v1, v2
	v_add_u32_e32 v3, 23, v3
	v_cmp_eq_u32_e32 vcc, 1, v4
	v_and_b32_e32 v4, 1, v35
	v_add_u32_e32 v44, v43, v44
	v_cndmask_b32_e32 v2, v3, v2, vcc
	v_lshlrev_b32_e32 v2, 1, v2
	ds_write_b16_d16_hi v2, v5
	v_sub_u32_e32 v2, v67, v25
	v_sub_u32_e32 v3, v1, v2
	v_add_u32_e32 v3, 24, v3
	v_cmp_eq_u32_e32 vcc, 1, v4
	s_and_b64 s[0:1], s[18:19], s[22:23]
	s_nop 0
	v_cndmask_b32_e32 v2, v3, v2, vcc
	v_lshlrev_b32_e32 v2, 1, v2
	ds_write_b16 v2, v16
	v_sub_u32_e32 v2, v43, v25
	v_sub_u32_e32 v3, v1, v2
	v_add_u32_e32 v3, 25, v3
	v_cmp_eq_u32_e32 vcc, 1, v0
	s_nop 1
	v_cndmask_b32_e32 v0, v3, v2, vcc
	v_lshlrev_b32_e32 v0, 1, v0
	ds_write_b16_d16_hi v0, v16
	v_sub_u32_e32 v0, v44, v25
	v_sub_u32_e32 v2, v1, v0
	v_and_b32_sdwa v3, v32, v35 dst_sel:DWORD dst_unused:UNUSED_PAD src0_sel:DWORD src1_sel:WORD_1
	v_add_u32_e32 v2, 26, v2
	v_cmp_eq_u32_e32 vcc, 1, v3
	s_nop 1
	v_cndmask_b32_e32 v0, v2, v0, vcc
	v_lshlrev_b32_e32 v0, 1, v0
	ds_write_b16 v0, v17
	v_sub_u32_e32 v0, v36, v25
	v_add_u32_e32 v0, v44, v0
	v_sub_u32_e32 v1, v1, v0
	v_and_b32_e32 v2, 1, v34
	v_add_u32_e32 v1, 27, v1
	v_cmp_eq_u32_e32 vcc, 1, v2
	s_nop 1
	v_cndmask_b32_e32 v0, v1, v0, vcc
	v_lshlrev_b32_e32 v0, 1, v0
	ds_write_b16_d16_hi v0, v17
	s_waitcnt lgkmcnt(0)
	s_barrier
	s_and_saveexec_b64 s[2:3], s[0:1]
	s_cbranch_execz .LBB3364_167
; %bb.166:
	v_mov_b32_e32 v1, 0
	v_mov_b32_e32 v0, v24
	s_waitcnt vmcnt(0)
	v_lshl_add_u64 v[2:3], v[14:15], 0, v[0:1]
	v_mov_b32_e32 v0, v25
	v_lshl_add_u64 v[2:3], v[2:3], 0, v[0:1]
	global_store_dwordx2 v1, v[2:3], s[20:21]
.LBB3364_167:
	s_endpgm
	.section	.rodata,"a",@progbits
	.p2align	6, 0x0
	.amdhsa_kernel _ZN7rocprim17ROCPRIM_400000_NS6detail17trampoline_kernelINS0_14default_configENS1_25partition_config_selectorILNS1_17partition_subalgoE1EsNS0_10empty_typeEbEEZZNS1_14partition_implILS5_1ELb0ES3_jN6thrust23THRUST_200600_302600_NS6detail15normal_iteratorINSA_10device_ptrIsEEEEPS6_NSA_18transform_iteratorI7is_evenIsESF_NSA_11use_defaultESK_EENS0_5tupleIJNSA_16discard_iteratorISK_EESO_EEENSM_IJSG_SG_EEES6_PlJS6_EEE10hipError_tPvRmT3_T4_T5_T6_T7_T9_mT8_P12ihipStream_tbDpT10_ENKUlT_T0_E_clISt17integral_constantIbLb1EES1B_EEDaS16_S17_EUlS16_E_NS1_11comp_targetILNS1_3genE5ELNS1_11target_archE942ELNS1_3gpuE9ELNS1_3repE0EEENS1_30default_config_static_selectorELNS0_4arch9wavefront6targetE1EEEvT1_
		.amdhsa_group_segment_fixed_size 28680
		.amdhsa_private_segment_fixed_size 0
		.amdhsa_kernarg_size 160
		.amdhsa_user_sgpr_count 2
		.amdhsa_user_sgpr_dispatch_ptr 0
		.amdhsa_user_sgpr_queue_ptr 0
		.amdhsa_user_sgpr_kernarg_segment_ptr 1
		.amdhsa_user_sgpr_dispatch_id 0
		.amdhsa_user_sgpr_kernarg_preload_length 0
		.amdhsa_user_sgpr_kernarg_preload_offset 0
		.amdhsa_user_sgpr_private_segment_size 0
		.amdhsa_uses_dynamic_stack 0
		.amdhsa_enable_private_segment 0
		.amdhsa_system_sgpr_workgroup_id_x 1
		.amdhsa_system_sgpr_workgroup_id_y 0
		.amdhsa_system_sgpr_workgroup_id_z 0
		.amdhsa_system_sgpr_workgroup_info 0
		.amdhsa_system_vgpr_workitem_id 0
		.amdhsa_next_free_vgpr 80
		.amdhsa_next_free_sgpr 36
		.amdhsa_accum_offset 80
		.amdhsa_reserve_vcc 1
		.amdhsa_float_round_mode_32 0
		.amdhsa_float_round_mode_16_64 0
		.amdhsa_float_denorm_mode_32 3
		.amdhsa_float_denorm_mode_16_64 3
		.amdhsa_dx10_clamp 1
		.amdhsa_ieee_mode 1
		.amdhsa_fp16_overflow 0
		.amdhsa_tg_split 0
		.amdhsa_exception_fp_ieee_invalid_op 0
		.amdhsa_exception_fp_denorm_src 0
		.amdhsa_exception_fp_ieee_div_zero 0
		.amdhsa_exception_fp_ieee_overflow 0
		.amdhsa_exception_fp_ieee_underflow 0
		.amdhsa_exception_fp_ieee_inexact 0
		.amdhsa_exception_int_div_zero 0
	.end_amdhsa_kernel
	.section	.text._ZN7rocprim17ROCPRIM_400000_NS6detail17trampoline_kernelINS0_14default_configENS1_25partition_config_selectorILNS1_17partition_subalgoE1EsNS0_10empty_typeEbEEZZNS1_14partition_implILS5_1ELb0ES3_jN6thrust23THRUST_200600_302600_NS6detail15normal_iteratorINSA_10device_ptrIsEEEEPS6_NSA_18transform_iteratorI7is_evenIsESF_NSA_11use_defaultESK_EENS0_5tupleIJNSA_16discard_iteratorISK_EESO_EEENSM_IJSG_SG_EEES6_PlJS6_EEE10hipError_tPvRmT3_T4_T5_T6_T7_T9_mT8_P12ihipStream_tbDpT10_ENKUlT_T0_E_clISt17integral_constantIbLb1EES1B_EEDaS16_S17_EUlS16_E_NS1_11comp_targetILNS1_3genE5ELNS1_11target_archE942ELNS1_3gpuE9ELNS1_3repE0EEENS1_30default_config_static_selectorELNS0_4arch9wavefront6targetE1EEEvT1_,"axG",@progbits,_ZN7rocprim17ROCPRIM_400000_NS6detail17trampoline_kernelINS0_14default_configENS1_25partition_config_selectorILNS1_17partition_subalgoE1EsNS0_10empty_typeEbEEZZNS1_14partition_implILS5_1ELb0ES3_jN6thrust23THRUST_200600_302600_NS6detail15normal_iteratorINSA_10device_ptrIsEEEEPS6_NSA_18transform_iteratorI7is_evenIsESF_NSA_11use_defaultESK_EENS0_5tupleIJNSA_16discard_iteratorISK_EESO_EEENSM_IJSG_SG_EEES6_PlJS6_EEE10hipError_tPvRmT3_T4_T5_T6_T7_T9_mT8_P12ihipStream_tbDpT10_ENKUlT_T0_E_clISt17integral_constantIbLb1EES1B_EEDaS16_S17_EUlS16_E_NS1_11comp_targetILNS1_3genE5ELNS1_11target_archE942ELNS1_3gpuE9ELNS1_3repE0EEENS1_30default_config_static_selectorELNS0_4arch9wavefront6targetE1EEEvT1_,comdat
.Lfunc_end3364:
	.size	_ZN7rocprim17ROCPRIM_400000_NS6detail17trampoline_kernelINS0_14default_configENS1_25partition_config_selectorILNS1_17partition_subalgoE1EsNS0_10empty_typeEbEEZZNS1_14partition_implILS5_1ELb0ES3_jN6thrust23THRUST_200600_302600_NS6detail15normal_iteratorINSA_10device_ptrIsEEEEPS6_NSA_18transform_iteratorI7is_evenIsESF_NSA_11use_defaultESK_EENS0_5tupleIJNSA_16discard_iteratorISK_EESO_EEENSM_IJSG_SG_EEES6_PlJS6_EEE10hipError_tPvRmT3_T4_T5_T6_T7_T9_mT8_P12ihipStream_tbDpT10_ENKUlT_T0_E_clISt17integral_constantIbLb1EES1B_EEDaS16_S17_EUlS16_E_NS1_11comp_targetILNS1_3genE5ELNS1_11target_archE942ELNS1_3gpuE9ELNS1_3repE0EEENS1_30default_config_static_selectorELNS0_4arch9wavefront6targetE1EEEvT1_, .Lfunc_end3364-_ZN7rocprim17ROCPRIM_400000_NS6detail17trampoline_kernelINS0_14default_configENS1_25partition_config_selectorILNS1_17partition_subalgoE1EsNS0_10empty_typeEbEEZZNS1_14partition_implILS5_1ELb0ES3_jN6thrust23THRUST_200600_302600_NS6detail15normal_iteratorINSA_10device_ptrIsEEEEPS6_NSA_18transform_iteratorI7is_evenIsESF_NSA_11use_defaultESK_EENS0_5tupleIJNSA_16discard_iteratorISK_EESO_EEENSM_IJSG_SG_EEES6_PlJS6_EEE10hipError_tPvRmT3_T4_T5_T6_T7_T9_mT8_P12ihipStream_tbDpT10_ENKUlT_T0_E_clISt17integral_constantIbLb1EES1B_EEDaS16_S17_EUlS16_E_NS1_11comp_targetILNS1_3genE5ELNS1_11target_archE942ELNS1_3gpuE9ELNS1_3repE0EEENS1_30default_config_static_selectorELNS0_4arch9wavefront6targetE1EEEvT1_
                                        ; -- End function
	.section	.AMDGPU.csdata,"",@progbits
; Kernel info:
; codeLenInByte = 8804
; NumSgprs: 42
; NumVgprs: 80
; NumAgprs: 0
; TotalNumVgprs: 80
; ScratchSize: 0
; MemoryBound: 0
; FloatMode: 240
; IeeeMode: 1
; LDSByteSize: 28680 bytes/workgroup (compile time only)
; SGPRBlocks: 5
; VGPRBlocks: 9
; NumSGPRsForWavesPerEU: 42
; NumVGPRsForWavesPerEU: 80
; AccumOffset: 80
; Occupancy: 4
; WaveLimiterHint : 1
; COMPUTE_PGM_RSRC2:SCRATCH_EN: 0
; COMPUTE_PGM_RSRC2:USER_SGPR: 2
; COMPUTE_PGM_RSRC2:TRAP_HANDLER: 0
; COMPUTE_PGM_RSRC2:TGID_X_EN: 1
; COMPUTE_PGM_RSRC2:TGID_Y_EN: 0
; COMPUTE_PGM_RSRC2:TGID_Z_EN: 0
; COMPUTE_PGM_RSRC2:TIDIG_COMP_CNT: 0
; COMPUTE_PGM_RSRC3_GFX90A:ACCUM_OFFSET: 19
; COMPUTE_PGM_RSRC3_GFX90A:TG_SPLIT: 0
	.section	.text._ZN7rocprim17ROCPRIM_400000_NS6detail17trampoline_kernelINS0_14default_configENS1_25partition_config_selectorILNS1_17partition_subalgoE1EsNS0_10empty_typeEbEEZZNS1_14partition_implILS5_1ELb0ES3_jN6thrust23THRUST_200600_302600_NS6detail15normal_iteratorINSA_10device_ptrIsEEEEPS6_NSA_18transform_iteratorI7is_evenIsESF_NSA_11use_defaultESK_EENS0_5tupleIJNSA_16discard_iteratorISK_EESO_EEENSM_IJSG_SG_EEES6_PlJS6_EEE10hipError_tPvRmT3_T4_T5_T6_T7_T9_mT8_P12ihipStream_tbDpT10_ENKUlT_T0_E_clISt17integral_constantIbLb1EES1B_EEDaS16_S17_EUlS16_E_NS1_11comp_targetILNS1_3genE4ELNS1_11target_archE910ELNS1_3gpuE8ELNS1_3repE0EEENS1_30default_config_static_selectorELNS0_4arch9wavefront6targetE1EEEvT1_,"axG",@progbits,_ZN7rocprim17ROCPRIM_400000_NS6detail17trampoline_kernelINS0_14default_configENS1_25partition_config_selectorILNS1_17partition_subalgoE1EsNS0_10empty_typeEbEEZZNS1_14partition_implILS5_1ELb0ES3_jN6thrust23THRUST_200600_302600_NS6detail15normal_iteratorINSA_10device_ptrIsEEEEPS6_NSA_18transform_iteratorI7is_evenIsESF_NSA_11use_defaultESK_EENS0_5tupleIJNSA_16discard_iteratorISK_EESO_EEENSM_IJSG_SG_EEES6_PlJS6_EEE10hipError_tPvRmT3_T4_T5_T6_T7_T9_mT8_P12ihipStream_tbDpT10_ENKUlT_T0_E_clISt17integral_constantIbLb1EES1B_EEDaS16_S17_EUlS16_E_NS1_11comp_targetILNS1_3genE4ELNS1_11target_archE910ELNS1_3gpuE8ELNS1_3repE0EEENS1_30default_config_static_selectorELNS0_4arch9wavefront6targetE1EEEvT1_,comdat
	.protected	_ZN7rocprim17ROCPRIM_400000_NS6detail17trampoline_kernelINS0_14default_configENS1_25partition_config_selectorILNS1_17partition_subalgoE1EsNS0_10empty_typeEbEEZZNS1_14partition_implILS5_1ELb0ES3_jN6thrust23THRUST_200600_302600_NS6detail15normal_iteratorINSA_10device_ptrIsEEEEPS6_NSA_18transform_iteratorI7is_evenIsESF_NSA_11use_defaultESK_EENS0_5tupleIJNSA_16discard_iteratorISK_EESO_EEENSM_IJSG_SG_EEES6_PlJS6_EEE10hipError_tPvRmT3_T4_T5_T6_T7_T9_mT8_P12ihipStream_tbDpT10_ENKUlT_T0_E_clISt17integral_constantIbLb1EES1B_EEDaS16_S17_EUlS16_E_NS1_11comp_targetILNS1_3genE4ELNS1_11target_archE910ELNS1_3gpuE8ELNS1_3repE0EEENS1_30default_config_static_selectorELNS0_4arch9wavefront6targetE1EEEvT1_ ; -- Begin function _ZN7rocprim17ROCPRIM_400000_NS6detail17trampoline_kernelINS0_14default_configENS1_25partition_config_selectorILNS1_17partition_subalgoE1EsNS0_10empty_typeEbEEZZNS1_14partition_implILS5_1ELb0ES3_jN6thrust23THRUST_200600_302600_NS6detail15normal_iteratorINSA_10device_ptrIsEEEEPS6_NSA_18transform_iteratorI7is_evenIsESF_NSA_11use_defaultESK_EENS0_5tupleIJNSA_16discard_iteratorISK_EESO_EEENSM_IJSG_SG_EEES6_PlJS6_EEE10hipError_tPvRmT3_T4_T5_T6_T7_T9_mT8_P12ihipStream_tbDpT10_ENKUlT_T0_E_clISt17integral_constantIbLb1EES1B_EEDaS16_S17_EUlS16_E_NS1_11comp_targetILNS1_3genE4ELNS1_11target_archE910ELNS1_3gpuE8ELNS1_3repE0EEENS1_30default_config_static_selectorELNS0_4arch9wavefront6targetE1EEEvT1_
	.globl	_ZN7rocprim17ROCPRIM_400000_NS6detail17trampoline_kernelINS0_14default_configENS1_25partition_config_selectorILNS1_17partition_subalgoE1EsNS0_10empty_typeEbEEZZNS1_14partition_implILS5_1ELb0ES3_jN6thrust23THRUST_200600_302600_NS6detail15normal_iteratorINSA_10device_ptrIsEEEEPS6_NSA_18transform_iteratorI7is_evenIsESF_NSA_11use_defaultESK_EENS0_5tupleIJNSA_16discard_iteratorISK_EESO_EEENSM_IJSG_SG_EEES6_PlJS6_EEE10hipError_tPvRmT3_T4_T5_T6_T7_T9_mT8_P12ihipStream_tbDpT10_ENKUlT_T0_E_clISt17integral_constantIbLb1EES1B_EEDaS16_S17_EUlS16_E_NS1_11comp_targetILNS1_3genE4ELNS1_11target_archE910ELNS1_3gpuE8ELNS1_3repE0EEENS1_30default_config_static_selectorELNS0_4arch9wavefront6targetE1EEEvT1_
	.p2align	8
	.type	_ZN7rocprim17ROCPRIM_400000_NS6detail17trampoline_kernelINS0_14default_configENS1_25partition_config_selectorILNS1_17partition_subalgoE1EsNS0_10empty_typeEbEEZZNS1_14partition_implILS5_1ELb0ES3_jN6thrust23THRUST_200600_302600_NS6detail15normal_iteratorINSA_10device_ptrIsEEEEPS6_NSA_18transform_iteratorI7is_evenIsESF_NSA_11use_defaultESK_EENS0_5tupleIJNSA_16discard_iteratorISK_EESO_EEENSM_IJSG_SG_EEES6_PlJS6_EEE10hipError_tPvRmT3_T4_T5_T6_T7_T9_mT8_P12ihipStream_tbDpT10_ENKUlT_T0_E_clISt17integral_constantIbLb1EES1B_EEDaS16_S17_EUlS16_E_NS1_11comp_targetILNS1_3genE4ELNS1_11target_archE910ELNS1_3gpuE8ELNS1_3repE0EEENS1_30default_config_static_selectorELNS0_4arch9wavefront6targetE1EEEvT1_,@function
_ZN7rocprim17ROCPRIM_400000_NS6detail17trampoline_kernelINS0_14default_configENS1_25partition_config_selectorILNS1_17partition_subalgoE1EsNS0_10empty_typeEbEEZZNS1_14partition_implILS5_1ELb0ES3_jN6thrust23THRUST_200600_302600_NS6detail15normal_iteratorINSA_10device_ptrIsEEEEPS6_NSA_18transform_iteratorI7is_evenIsESF_NSA_11use_defaultESK_EENS0_5tupleIJNSA_16discard_iteratorISK_EESO_EEENSM_IJSG_SG_EEES6_PlJS6_EEE10hipError_tPvRmT3_T4_T5_T6_T7_T9_mT8_P12ihipStream_tbDpT10_ENKUlT_T0_E_clISt17integral_constantIbLb1EES1B_EEDaS16_S17_EUlS16_E_NS1_11comp_targetILNS1_3genE4ELNS1_11target_archE910ELNS1_3gpuE8ELNS1_3repE0EEENS1_30default_config_static_selectorELNS0_4arch9wavefront6targetE1EEEvT1_: ; @_ZN7rocprim17ROCPRIM_400000_NS6detail17trampoline_kernelINS0_14default_configENS1_25partition_config_selectorILNS1_17partition_subalgoE1EsNS0_10empty_typeEbEEZZNS1_14partition_implILS5_1ELb0ES3_jN6thrust23THRUST_200600_302600_NS6detail15normal_iteratorINSA_10device_ptrIsEEEEPS6_NSA_18transform_iteratorI7is_evenIsESF_NSA_11use_defaultESK_EENS0_5tupleIJNSA_16discard_iteratorISK_EESO_EEENSM_IJSG_SG_EEES6_PlJS6_EEE10hipError_tPvRmT3_T4_T5_T6_T7_T9_mT8_P12ihipStream_tbDpT10_ENKUlT_T0_E_clISt17integral_constantIbLb1EES1B_EEDaS16_S17_EUlS16_E_NS1_11comp_targetILNS1_3genE4ELNS1_11target_archE910ELNS1_3gpuE8ELNS1_3repE0EEENS1_30default_config_static_selectorELNS0_4arch9wavefront6targetE1EEEvT1_
; %bb.0:
	.section	.rodata,"a",@progbits
	.p2align	6, 0x0
	.amdhsa_kernel _ZN7rocprim17ROCPRIM_400000_NS6detail17trampoline_kernelINS0_14default_configENS1_25partition_config_selectorILNS1_17partition_subalgoE1EsNS0_10empty_typeEbEEZZNS1_14partition_implILS5_1ELb0ES3_jN6thrust23THRUST_200600_302600_NS6detail15normal_iteratorINSA_10device_ptrIsEEEEPS6_NSA_18transform_iteratorI7is_evenIsESF_NSA_11use_defaultESK_EENS0_5tupleIJNSA_16discard_iteratorISK_EESO_EEENSM_IJSG_SG_EEES6_PlJS6_EEE10hipError_tPvRmT3_T4_T5_T6_T7_T9_mT8_P12ihipStream_tbDpT10_ENKUlT_T0_E_clISt17integral_constantIbLb1EES1B_EEDaS16_S17_EUlS16_E_NS1_11comp_targetILNS1_3genE4ELNS1_11target_archE910ELNS1_3gpuE8ELNS1_3repE0EEENS1_30default_config_static_selectorELNS0_4arch9wavefront6targetE1EEEvT1_
		.amdhsa_group_segment_fixed_size 0
		.amdhsa_private_segment_fixed_size 0
		.amdhsa_kernarg_size 160
		.amdhsa_user_sgpr_count 2
		.amdhsa_user_sgpr_dispatch_ptr 0
		.amdhsa_user_sgpr_queue_ptr 0
		.amdhsa_user_sgpr_kernarg_segment_ptr 1
		.amdhsa_user_sgpr_dispatch_id 0
		.amdhsa_user_sgpr_kernarg_preload_length 0
		.amdhsa_user_sgpr_kernarg_preload_offset 0
		.amdhsa_user_sgpr_private_segment_size 0
		.amdhsa_uses_dynamic_stack 0
		.amdhsa_enable_private_segment 0
		.amdhsa_system_sgpr_workgroup_id_x 1
		.amdhsa_system_sgpr_workgroup_id_y 0
		.amdhsa_system_sgpr_workgroup_id_z 0
		.amdhsa_system_sgpr_workgroup_info 0
		.amdhsa_system_vgpr_workitem_id 0
		.amdhsa_next_free_vgpr 1
		.amdhsa_next_free_sgpr 0
		.amdhsa_accum_offset 4
		.amdhsa_reserve_vcc 0
		.amdhsa_float_round_mode_32 0
		.amdhsa_float_round_mode_16_64 0
		.amdhsa_float_denorm_mode_32 3
		.amdhsa_float_denorm_mode_16_64 3
		.amdhsa_dx10_clamp 1
		.amdhsa_ieee_mode 1
		.amdhsa_fp16_overflow 0
		.amdhsa_tg_split 0
		.amdhsa_exception_fp_ieee_invalid_op 0
		.amdhsa_exception_fp_denorm_src 0
		.amdhsa_exception_fp_ieee_div_zero 0
		.amdhsa_exception_fp_ieee_overflow 0
		.amdhsa_exception_fp_ieee_underflow 0
		.amdhsa_exception_fp_ieee_inexact 0
		.amdhsa_exception_int_div_zero 0
	.end_amdhsa_kernel
	.section	.text._ZN7rocprim17ROCPRIM_400000_NS6detail17trampoline_kernelINS0_14default_configENS1_25partition_config_selectorILNS1_17partition_subalgoE1EsNS0_10empty_typeEbEEZZNS1_14partition_implILS5_1ELb0ES3_jN6thrust23THRUST_200600_302600_NS6detail15normal_iteratorINSA_10device_ptrIsEEEEPS6_NSA_18transform_iteratorI7is_evenIsESF_NSA_11use_defaultESK_EENS0_5tupleIJNSA_16discard_iteratorISK_EESO_EEENSM_IJSG_SG_EEES6_PlJS6_EEE10hipError_tPvRmT3_T4_T5_T6_T7_T9_mT8_P12ihipStream_tbDpT10_ENKUlT_T0_E_clISt17integral_constantIbLb1EES1B_EEDaS16_S17_EUlS16_E_NS1_11comp_targetILNS1_3genE4ELNS1_11target_archE910ELNS1_3gpuE8ELNS1_3repE0EEENS1_30default_config_static_selectorELNS0_4arch9wavefront6targetE1EEEvT1_,"axG",@progbits,_ZN7rocprim17ROCPRIM_400000_NS6detail17trampoline_kernelINS0_14default_configENS1_25partition_config_selectorILNS1_17partition_subalgoE1EsNS0_10empty_typeEbEEZZNS1_14partition_implILS5_1ELb0ES3_jN6thrust23THRUST_200600_302600_NS6detail15normal_iteratorINSA_10device_ptrIsEEEEPS6_NSA_18transform_iteratorI7is_evenIsESF_NSA_11use_defaultESK_EENS0_5tupleIJNSA_16discard_iteratorISK_EESO_EEENSM_IJSG_SG_EEES6_PlJS6_EEE10hipError_tPvRmT3_T4_T5_T6_T7_T9_mT8_P12ihipStream_tbDpT10_ENKUlT_T0_E_clISt17integral_constantIbLb1EES1B_EEDaS16_S17_EUlS16_E_NS1_11comp_targetILNS1_3genE4ELNS1_11target_archE910ELNS1_3gpuE8ELNS1_3repE0EEENS1_30default_config_static_selectorELNS0_4arch9wavefront6targetE1EEEvT1_,comdat
.Lfunc_end3365:
	.size	_ZN7rocprim17ROCPRIM_400000_NS6detail17trampoline_kernelINS0_14default_configENS1_25partition_config_selectorILNS1_17partition_subalgoE1EsNS0_10empty_typeEbEEZZNS1_14partition_implILS5_1ELb0ES3_jN6thrust23THRUST_200600_302600_NS6detail15normal_iteratorINSA_10device_ptrIsEEEEPS6_NSA_18transform_iteratorI7is_evenIsESF_NSA_11use_defaultESK_EENS0_5tupleIJNSA_16discard_iteratorISK_EESO_EEENSM_IJSG_SG_EEES6_PlJS6_EEE10hipError_tPvRmT3_T4_T5_T6_T7_T9_mT8_P12ihipStream_tbDpT10_ENKUlT_T0_E_clISt17integral_constantIbLb1EES1B_EEDaS16_S17_EUlS16_E_NS1_11comp_targetILNS1_3genE4ELNS1_11target_archE910ELNS1_3gpuE8ELNS1_3repE0EEENS1_30default_config_static_selectorELNS0_4arch9wavefront6targetE1EEEvT1_, .Lfunc_end3365-_ZN7rocprim17ROCPRIM_400000_NS6detail17trampoline_kernelINS0_14default_configENS1_25partition_config_selectorILNS1_17partition_subalgoE1EsNS0_10empty_typeEbEEZZNS1_14partition_implILS5_1ELb0ES3_jN6thrust23THRUST_200600_302600_NS6detail15normal_iteratorINSA_10device_ptrIsEEEEPS6_NSA_18transform_iteratorI7is_evenIsESF_NSA_11use_defaultESK_EENS0_5tupleIJNSA_16discard_iteratorISK_EESO_EEENSM_IJSG_SG_EEES6_PlJS6_EEE10hipError_tPvRmT3_T4_T5_T6_T7_T9_mT8_P12ihipStream_tbDpT10_ENKUlT_T0_E_clISt17integral_constantIbLb1EES1B_EEDaS16_S17_EUlS16_E_NS1_11comp_targetILNS1_3genE4ELNS1_11target_archE910ELNS1_3gpuE8ELNS1_3repE0EEENS1_30default_config_static_selectorELNS0_4arch9wavefront6targetE1EEEvT1_
                                        ; -- End function
	.section	.AMDGPU.csdata,"",@progbits
; Kernel info:
; codeLenInByte = 0
; NumSgprs: 6
; NumVgprs: 0
; NumAgprs: 0
; TotalNumVgprs: 0
; ScratchSize: 0
; MemoryBound: 0
; FloatMode: 240
; IeeeMode: 1
; LDSByteSize: 0 bytes/workgroup (compile time only)
; SGPRBlocks: 0
; VGPRBlocks: 0
; NumSGPRsForWavesPerEU: 6
; NumVGPRsForWavesPerEU: 1
; AccumOffset: 4
; Occupancy: 8
; WaveLimiterHint : 0
; COMPUTE_PGM_RSRC2:SCRATCH_EN: 0
; COMPUTE_PGM_RSRC2:USER_SGPR: 2
; COMPUTE_PGM_RSRC2:TRAP_HANDLER: 0
; COMPUTE_PGM_RSRC2:TGID_X_EN: 1
; COMPUTE_PGM_RSRC2:TGID_Y_EN: 0
; COMPUTE_PGM_RSRC2:TGID_Z_EN: 0
; COMPUTE_PGM_RSRC2:TIDIG_COMP_CNT: 0
; COMPUTE_PGM_RSRC3_GFX90A:ACCUM_OFFSET: 0
; COMPUTE_PGM_RSRC3_GFX90A:TG_SPLIT: 0
	.section	.text._ZN7rocprim17ROCPRIM_400000_NS6detail17trampoline_kernelINS0_14default_configENS1_25partition_config_selectorILNS1_17partition_subalgoE1EsNS0_10empty_typeEbEEZZNS1_14partition_implILS5_1ELb0ES3_jN6thrust23THRUST_200600_302600_NS6detail15normal_iteratorINSA_10device_ptrIsEEEEPS6_NSA_18transform_iteratorI7is_evenIsESF_NSA_11use_defaultESK_EENS0_5tupleIJNSA_16discard_iteratorISK_EESO_EEENSM_IJSG_SG_EEES6_PlJS6_EEE10hipError_tPvRmT3_T4_T5_T6_T7_T9_mT8_P12ihipStream_tbDpT10_ENKUlT_T0_E_clISt17integral_constantIbLb1EES1B_EEDaS16_S17_EUlS16_E_NS1_11comp_targetILNS1_3genE3ELNS1_11target_archE908ELNS1_3gpuE7ELNS1_3repE0EEENS1_30default_config_static_selectorELNS0_4arch9wavefront6targetE1EEEvT1_,"axG",@progbits,_ZN7rocprim17ROCPRIM_400000_NS6detail17trampoline_kernelINS0_14default_configENS1_25partition_config_selectorILNS1_17partition_subalgoE1EsNS0_10empty_typeEbEEZZNS1_14partition_implILS5_1ELb0ES3_jN6thrust23THRUST_200600_302600_NS6detail15normal_iteratorINSA_10device_ptrIsEEEEPS6_NSA_18transform_iteratorI7is_evenIsESF_NSA_11use_defaultESK_EENS0_5tupleIJNSA_16discard_iteratorISK_EESO_EEENSM_IJSG_SG_EEES6_PlJS6_EEE10hipError_tPvRmT3_T4_T5_T6_T7_T9_mT8_P12ihipStream_tbDpT10_ENKUlT_T0_E_clISt17integral_constantIbLb1EES1B_EEDaS16_S17_EUlS16_E_NS1_11comp_targetILNS1_3genE3ELNS1_11target_archE908ELNS1_3gpuE7ELNS1_3repE0EEENS1_30default_config_static_selectorELNS0_4arch9wavefront6targetE1EEEvT1_,comdat
	.protected	_ZN7rocprim17ROCPRIM_400000_NS6detail17trampoline_kernelINS0_14default_configENS1_25partition_config_selectorILNS1_17partition_subalgoE1EsNS0_10empty_typeEbEEZZNS1_14partition_implILS5_1ELb0ES3_jN6thrust23THRUST_200600_302600_NS6detail15normal_iteratorINSA_10device_ptrIsEEEEPS6_NSA_18transform_iteratorI7is_evenIsESF_NSA_11use_defaultESK_EENS0_5tupleIJNSA_16discard_iteratorISK_EESO_EEENSM_IJSG_SG_EEES6_PlJS6_EEE10hipError_tPvRmT3_T4_T5_T6_T7_T9_mT8_P12ihipStream_tbDpT10_ENKUlT_T0_E_clISt17integral_constantIbLb1EES1B_EEDaS16_S17_EUlS16_E_NS1_11comp_targetILNS1_3genE3ELNS1_11target_archE908ELNS1_3gpuE7ELNS1_3repE0EEENS1_30default_config_static_selectorELNS0_4arch9wavefront6targetE1EEEvT1_ ; -- Begin function _ZN7rocprim17ROCPRIM_400000_NS6detail17trampoline_kernelINS0_14default_configENS1_25partition_config_selectorILNS1_17partition_subalgoE1EsNS0_10empty_typeEbEEZZNS1_14partition_implILS5_1ELb0ES3_jN6thrust23THRUST_200600_302600_NS6detail15normal_iteratorINSA_10device_ptrIsEEEEPS6_NSA_18transform_iteratorI7is_evenIsESF_NSA_11use_defaultESK_EENS0_5tupleIJNSA_16discard_iteratorISK_EESO_EEENSM_IJSG_SG_EEES6_PlJS6_EEE10hipError_tPvRmT3_T4_T5_T6_T7_T9_mT8_P12ihipStream_tbDpT10_ENKUlT_T0_E_clISt17integral_constantIbLb1EES1B_EEDaS16_S17_EUlS16_E_NS1_11comp_targetILNS1_3genE3ELNS1_11target_archE908ELNS1_3gpuE7ELNS1_3repE0EEENS1_30default_config_static_selectorELNS0_4arch9wavefront6targetE1EEEvT1_
	.globl	_ZN7rocprim17ROCPRIM_400000_NS6detail17trampoline_kernelINS0_14default_configENS1_25partition_config_selectorILNS1_17partition_subalgoE1EsNS0_10empty_typeEbEEZZNS1_14partition_implILS5_1ELb0ES3_jN6thrust23THRUST_200600_302600_NS6detail15normal_iteratorINSA_10device_ptrIsEEEEPS6_NSA_18transform_iteratorI7is_evenIsESF_NSA_11use_defaultESK_EENS0_5tupleIJNSA_16discard_iteratorISK_EESO_EEENSM_IJSG_SG_EEES6_PlJS6_EEE10hipError_tPvRmT3_T4_T5_T6_T7_T9_mT8_P12ihipStream_tbDpT10_ENKUlT_T0_E_clISt17integral_constantIbLb1EES1B_EEDaS16_S17_EUlS16_E_NS1_11comp_targetILNS1_3genE3ELNS1_11target_archE908ELNS1_3gpuE7ELNS1_3repE0EEENS1_30default_config_static_selectorELNS0_4arch9wavefront6targetE1EEEvT1_
	.p2align	8
	.type	_ZN7rocprim17ROCPRIM_400000_NS6detail17trampoline_kernelINS0_14default_configENS1_25partition_config_selectorILNS1_17partition_subalgoE1EsNS0_10empty_typeEbEEZZNS1_14partition_implILS5_1ELb0ES3_jN6thrust23THRUST_200600_302600_NS6detail15normal_iteratorINSA_10device_ptrIsEEEEPS6_NSA_18transform_iteratorI7is_evenIsESF_NSA_11use_defaultESK_EENS0_5tupleIJNSA_16discard_iteratorISK_EESO_EEENSM_IJSG_SG_EEES6_PlJS6_EEE10hipError_tPvRmT3_T4_T5_T6_T7_T9_mT8_P12ihipStream_tbDpT10_ENKUlT_T0_E_clISt17integral_constantIbLb1EES1B_EEDaS16_S17_EUlS16_E_NS1_11comp_targetILNS1_3genE3ELNS1_11target_archE908ELNS1_3gpuE7ELNS1_3repE0EEENS1_30default_config_static_selectorELNS0_4arch9wavefront6targetE1EEEvT1_,@function
_ZN7rocprim17ROCPRIM_400000_NS6detail17trampoline_kernelINS0_14default_configENS1_25partition_config_selectorILNS1_17partition_subalgoE1EsNS0_10empty_typeEbEEZZNS1_14partition_implILS5_1ELb0ES3_jN6thrust23THRUST_200600_302600_NS6detail15normal_iteratorINSA_10device_ptrIsEEEEPS6_NSA_18transform_iteratorI7is_evenIsESF_NSA_11use_defaultESK_EENS0_5tupleIJNSA_16discard_iteratorISK_EESO_EEENSM_IJSG_SG_EEES6_PlJS6_EEE10hipError_tPvRmT3_T4_T5_T6_T7_T9_mT8_P12ihipStream_tbDpT10_ENKUlT_T0_E_clISt17integral_constantIbLb1EES1B_EEDaS16_S17_EUlS16_E_NS1_11comp_targetILNS1_3genE3ELNS1_11target_archE908ELNS1_3gpuE7ELNS1_3repE0EEENS1_30default_config_static_selectorELNS0_4arch9wavefront6targetE1EEEvT1_: ; @_ZN7rocprim17ROCPRIM_400000_NS6detail17trampoline_kernelINS0_14default_configENS1_25partition_config_selectorILNS1_17partition_subalgoE1EsNS0_10empty_typeEbEEZZNS1_14partition_implILS5_1ELb0ES3_jN6thrust23THRUST_200600_302600_NS6detail15normal_iteratorINSA_10device_ptrIsEEEEPS6_NSA_18transform_iteratorI7is_evenIsESF_NSA_11use_defaultESK_EENS0_5tupleIJNSA_16discard_iteratorISK_EESO_EEENSM_IJSG_SG_EEES6_PlJS6_EEE10hipError_tPvRmT3_T4_T5_T6_T7_T9_mT8_P12ihipStream_tbDpT10_ENKUlT_T0_E_clISt17integral_constantIbLb1EES1B_EEDaS16_S17_EUlS16_E_NS1_11comp_targetILNS1_3genE3ELNS1_11target_archE908ELNS1_3gpuE7ELNS1_3repE0EEENS1_30default_config_static_selectorELNS0_4arch9wavefront6targetE1EEEvT1_
; %bb.0:
	.section	.rodata,"a",@progbits
	.p2align	6, 0x0
	.amdhsa_kernel _ZN7rocprim17ROCPRIM_400000_NS6detail17trampoline_kernelINS0_14default_configENS1_25partition_config_selectorILNS1_17partition_subalgoE1EsNS0_10empty_typeEbEEZZNS1_14partition_implILS5_1ELb0ES3_jN6thrust23THRUST_200600_302600_NS6detail15normal_iteratorINSA_10device_ptrIsEEEEPS6_NSA_18transform_iteratorI7is_evenIsESF_NSA_11use_defaultESK_EENS0_5tupleIJNSA_16discard_iteratorISK_EESO_EEENSM_IJSG_SG_EEES6_PlJS6_EEE10hipError_tPvRmT3_T4_T5_T6_T7_T9_mT8_P12ihipStream_tbDpT10_ENKUlT_T0_E_clISt17integral_constantIbLb1EES1B_EEDaS16_S17_EUlS16_E_NS1_11comp_targetILNS1_3genE3ELNS1_11target_archE908ELNS1_3gpuE7ELNS1_3repE0EEENS1_30default_config_static_selectorELNS0_4arch9wavefront6targetE1EEEvT1_
		.amdhsa_group_segment_fixed_size 0
		.amdhsa_private_segment_fixed_size 0
		.amdhsa_kernarg_size 160
		.amdhsa_user_sgpr_count 2
		.amdhsa_user_sgpr_dispatch_ptr 0
		.amdhsa_user_sgpr_queue_ptr 0
		.amdhsa_user_sgpr_kernarg_segment_ptr 1
		.amdhsa_user_sgpr_dispatch_id 0
		.amdhsa_user_sgpr_kernarg_preload_length 0
		.amdhsa_user_sgpr_kernarg_preload_offset 0
		.amdhsa_user_sgpr_private_segment_size 0
		.amdhsa_uses_dynamic_stack 0
		.amdhsa_enable_private_segment 0
		.amdhsa_system_sgpr_workgroup_id_x 1
		.amdhsa_system_sgpr_workgroup_id_y 0
		.amdhsa_system_sgpr_workgroup_id_z 0
		.amdhsa_system_sgpr_workgroup_info 0
		.amdhsa_system_vgpr_workitem_id 0
		.amdhsa_next_free_vgpr 1
		.amdhsa_next_free_sgpr 0
		.amdhsa_accum_offset 4
		.amdhsa_reserve_vcc 0
		.amdhsa_float_round_mode_32 0
		.amdhsa_float_round_mode_16_64 0
		.amdhsa_float_denorm_mode_32 3
		.amdhsa_float_denorm_mode_16_64 3
		.amdhsa_dx10_clamp 1
		.amdhsa_ieee_mode 1
		.amdhsa_fp16_overflow 0
		.amdhsa_tg_split 0
		.amdhsa_exception_fp_ieee_invalid_op 0
		.amdhsa_exception_fp_denorm_src 0
		.amdhsa_exception_fp_ieee_div_zero 0
		.amdhsa_exception_fp_ieee_overflow 0
		.amdhsa_exception_fp_ieee_underflow 0
		.amdhsa_exception_fp_ieee_inexact 0
		.amdhsa_exception_int_div_zero 0
	.end_amdhsa_kernel
	.section	.text._ZN7rocprim17ROCPRIM_400000_NS6detail17trampoline_kernelINS0_14default_configENS1_25partition_config_selectorILNS1_17partition_subalgoE1EsNS0_10empty_typeEbEEZZNS1_14partition_implILS5_1ELb0ES3_jN6thrust23THRUST_200600_302600_NS6detail15normal_iteratorINSA_10device_ptrIsEEEEPS6_NSA_18transform_iteratorI7is_evenIsESF_NSA_11use_defaultESK_EENS0_5tupleIJNSA_16discard_iteratorISK_EESO_EEENSM_IJSG_SG_EEES6_PlJS6_EEE10hipError_tPvRmT3_T4_T5_T6_T7_T9_mT8_P12ihipStream_tbDpT10_ENKUlT_T0_E_clISt17integral_constantIbLb1EES1B_EEDaS16_S17_EUlS16_E_NS1_11comp_targetILNS1_3genE3ELNS1_11target_archE908ELNS1_3gpuE7ELNS1_3repE0EEENS1_30default_config_static_selectorELNS0_4arch9wavefront6targetE1EEEvT1_,"axG",@progbits,_ZN7rocprim17ROCPRIM_400000_NS6detail17trampoline_kernelINS0_14default_configENS1_25partition_config_selectorILNS1_17partition_subalgoE1EsNS0_10empty_typeEbEEZZNS1_14partition_implILS5_1ELb0ES3_jN6thrust23THRUST_200600_302600_NS6detail15normal_iteratorINSA_10device_ptrIsEEEEPS6_NSA_18transform_iteratorI7is_evenIsESF_NSA_11use_defaultESK_EENS0_5tupleIJNSA_16discard_iteratorISK_EESO_EEENSM_IJSG_SG_EEES6_PlJS6_EEE10hipError_tPvRmT3_T4_T5_T6_T7_T9_mT8_P12ihipStream_tbDpT10_ENKUlT_T0_E_clISt17integral_constantIbLb1EES1B_EEDaS16_S17_EUlS16_E_NS1_11comp_targetILNS1_3genE3ELNS1_11target_archE908ELNS1_3gpuE7ELNS1_3repE0EEENS1_30default_config_static_selectorELNS0_4arch9wavefront6targetE1EEEvT1_,comdat
.Lfunc_end3366:
	.size	_ZN7rocprim17ROCPRIM_400000_NS6detail17trampoline_kernelINS0_14default_configENS1_25partition_config_selectorILNS1_17partition_subalgoE1EsNS0_10empty_typeEbEEZZNS1_14partition_implILS5_1ELb0ES3_jN6thrust23THRUST_200600_302600_NS6detail15normal_iteratorINSA_10device_ptrIsEEEEPS6_NSA_18transform_iteratorI7is_evenIsESF_NSA_11use_defaultESK_EENS0_5tupleIJNSA_16discard_iteratorISK_EESO_EEENSM_IJSG_SG_EEES6_PlJS6_EEE10hipError_tPvRmT3_T4_T5_T6_T7_T9_mT8_P12ihipStream_tbDpT10_ENKUlT_T0_E_clISt17integral_constantIbLb1EES1B_EEDaS16_S17_EUlS16_E_NS1_11comp_targetILNS1_3genE3ELNS1_11target_archE908ELNS1_3gpuE7ELNS1_3repE0EEENS1_30default_config_static_selectorELNS0_4arch9wavefront6targetE1EEEvT1_, .Lfunc_end3366-_ZN7rocprim17ROCPRIM_400000_NS6detail17trampoline_kernelINS0_14default_configENS1_25partition_config_selectorILNS1_17partition_subalgoE1EsNS0_10empty_typeEbEEZZNS1_14partition_implILS5_1ELb0ES3_jN6thrust23THRUST_200600_302600_NS6detail15normal_iteratorINSA_10device_ptrIsEEEEPS6_NSA_18transform_iteratorI7is_evenIsESF_NSA_11use_defaultESK_EENS0_5tupleIJNSA_16discard_iteratorISK_EESO_EEENSM_IJSG_SG_EEES6_PlJS6_EEE10hipError_tPvRmT3_T4_T5_T6_T7_T9_mT8_P12ihipStream_tbDpT10_ENKUlT_T0_E_clISt17integral_constantIbLb1EES1B_EEDaS16_S17_EUlS16_E_NS1_11comp_targetILNS1_3genE3ELNS1_11target_archE908ELNS1_3gpuE7ELNS1_3repE0EEENS1_30default_config_static_selectorELNS0_4arch9wavefront6targetE1EEEvT1_
                                        ; -- End function
	.section	.AMDGPU.csdata,"",@progbits
; Kernel info:
; codeLenInByte = 0
; NumSgprs: 6
; NumVgprs: 0
; NumAgprs: 0
; TotalNumVgprs: 0
; ScratchSize: 0
; MemoryBound: 0
; FloatMode: 240
; IeeeMode: 1
; LDSByteSize: 0 bytes/workgroup (compile time only)
; SGPRBlocks: 0
; VGPRBlocks: 0
; NumSGPRsForWavesPerEU: 6
; NumVGPRsForWavesPerEU: 1
; AccumOffset: 4
; Occupancy: 8
; WaveLimiterHint : 0
; COMPUTE_PGM_RSRC2:SCRATCH_EN: 0
; COMPUTE_PGM_RSRC2:USER_SGPR: 2
; COMPUTE_PGM_RSRC2:TRAP_HANDLER: 0
; COMPUTE_PGM_RSRC2:TGID_X_EN: 1
; COMPUTE_PGM_RSRC2:TGID_Y_EN: 0
; COMPUTE_PGM_RSRC2:TGID_Z_EN: 0
; COMPUTE_PGM_RSRC2:TIDIG_COMP_CNT: 0
; COMPUTE_PGM_RSRC3_GFX90A:ACCUM_OFFSET: 0
; COMPUTE_PGM_RSRC3_GFX90A:TG_SPLIT: 0
	.section	.text._ZN7rocprim17ROCPRIM_400000_NS6detail17trampoline_kernelINS0_14default_configENS1_25partition_config_selectorILNS1_17partition_subalgoE1EsNS0_10empty_typeEbEEZZNS1_14partition_implILS5_1ELb0ES3_jN6thrust23THRUST_200600_302600_NS6detail15normal_iteratorINSA_10device_ptrIsEEEEPS6_NSA_18transform_iteratorI7is_evenIsESF_NSA_11use_defaultESK_EENS0_5tupleIJNSA_16discard_iteratorISK_EESO_EEENSM_IJSG_SG_EEES6_PlJS6_EEE10hipError_tPvRmT3_T4_T5_T6_T7_T9_mT8_P12ihipStream_tbDpT10_ENKUlT_T0_E_clISt17integral_constantIbLb1EES1B_EEDaS16_S17_EUlS16_E_NS1_11comp_targetILNS1_3genE2ELNS1_11target_archE906ELNS1_3gpuE6ELNS1_3repE0EEENS1_30default_config_static_selectorELNS0_4arch9wavefront6targetE1EEEvT1_,"axG",@progbits,_ZN7rocprim17ROCPRIM_400000_NS6detail17trampoline_kernelINS0_14default_configENS1_25partition_config_selectorILNS1_17partition_subalgoE1EsNS0_10empty_typeEbEEZZNS1_14partition_implILS5_1ELb0ES3_jN6thrust23THRUST_200600_302600_NS6detail15normal_iteratorINSA_10device_ptrIsEEEEPS6_NSA_18transform_iteratorI7is_evenIsESF_NSA_11use_defaultESK_EENS0_5tupleIJNSA_16discard_iteratorISK_EESO_EEENSM_IJSG_SG_EEES6_PlJS6_EEE10hipError_tPvRmT3_T4_T5_T6_T7_T9_mT8_P12ihipStream_tbDpT10_ENKUlT_T0_E_clISt17integral_constantIbLb1EES1B_EEDaS16_S17_EUlS16_E_NS1_11comp_targetILNS1_3genE2ELNS1_11target_archE906ELNS1_3gpuE6ELNS1_3repE0EEENS1_30default_config_static_selectorELNS0_4arch9wavefront6targetE1EEEvT1_,comdat
	.protected	_ZN7rocprim17ROCPRIM_400000_NS6detail17trampoline_kernelINS0_14default_configENS1_25partition_config_selectorILNS1_17partition_subalgoE1EsNS0_10empty_typeEbEEZZNS1_14partition_implILS5_1ELb0ES3_jN6thrust23THRUST_200600_302600_NS6detail15normal_iteratorINSA_10device_ptrIsEEEEPS6_NSA_18transform_iteratorI7is_evenIsESF_NSA_11use_defaultESK_EENS0_5tupleIJNSA_16discard_iteratorISK_EESO_EEENSM_IJSG_SG_EEES6_PlJS6_EEE10hipError_tPvRmT3_T4_T5_T6_T7_T9_mT8_P12ihipStream_tbDpT10_ENKUlT_T0_E_clISt17integral_constantIbLb1EES1B_EEDaS16_S17_EUlS16_E_NS1_11comp_targetILNS1_3genE2ELNS1_11target_archE906ELNS1_3gpuE6ELNS1_3repE0EEENS1_30default_config_static_selectorELNS0_4arch9wavefront6targetE1EEEvT1_ ; -- Begin function _ZN7rocprim17ROCPRIM_400000_NS6detail17trampoline_kernelINS0_14default_configENS1_25partition_config_selectorILNS1_17partition_subalgoE1EsNS0_10empty_typeEbEEZZNS1_14partition_implILS5_1ELb0ES3_jN6thrust23THRUST_200600_302600_NS6detail15normal_iteratorINSA_10device_ptrIsEEEEPS6_NSA_18transform_iteratorI7is_evenIsESF_NSA_11use_defaultESK_EENS0_5tupleIJNSA_16discard_iteratorISK_EESO_EEENSM_IJSG_SG_EEES6_PlJS6_EEE10hipError_tPvRmT3_T4_T5_T6_T7_T9_mT8_P12ihipStream_tbDpT10_ENKUlT_T0_E_clISt17integral_constantIbLb1EES1B_EEDaS16_S17_EUlS16_E_NS1_11comp_targetILNS1_3genE2ELNS1_11target_archE906ELNS1_3gpuE6ELNS1_3repE0EEENS1_30default_config_static_selectorELNS0_4arch9wavefront6targetE1EEEvT1_
	.globl	_ZN7rocprim17ROCPRIM_400000_NS6detail17trampoline_kernelINS0_14default_configENS1_25partition_config_selectorILNS1_17partition_subalgoE1EsNS0_10empty_typeEbEEZZNS1_14partition_implILS5_1ELb0ES3_jN6thrust23THRUST_200600_302600_NS6detail15normal_iteratorINSA_10device_ptrIsEEEEPS6_NSA_18transform_iteratorI7is_evenIsESF_NSA_11use_defaultESK_EENS0_5tupleIJNSA_16discard_iteratorISK_EESO_EEENSM_IJSG_SG_EEES6_PlJS6_EEE10hipError_tPvRmT3_T4_T5_T6_T7_T9_mT8_P12ihipStream_tbDpT10_ENKUlT_T0_E_clISt17integral_constantIbLb1EES1B_EEDaS16_S17_EUlS16_E_NS1_11comp_targetILNS1_3genE2ELNS1_11target_archE906ELNS1_3gpuE6ELNS1_3repE0EEENS1_30default_config_static_selectorELNS0_4arch9wavefront6targetE1EEEvT1_
	.p2align	8
	.type	_ZN7rocprim17ROCPRIM_400000_NS6detail17trampoline_kernelINS0_14default_configENS1_25partition_config_selectorILNS1_17partition_subalgoE1EsNS0_10empty_typeEbEEZZNS1_14partition_implILS5_1ELb0ES3_jN6thrust23THRUST_200600_302600_NS6detail15normal_iteratorINSA_10device_ptrIsEEEEPS6_NSA_18transform_iteratorI7is_evenIsESF_NSA_11use_defaultESK_EENS0_5tupleIJNSA_16discard_iteratorISK_EESO_EEENSM_IJSG_SG_EEES6_PlJS6_EEE10hipError_tPvRmT3_T4_T5_T6_T7_T9_mT8_P12ihipStream_tbDpT10_ENKUlT_T0_E_clISt17integral_constantIbLb1EES1B_EEDaS16_S17_EUlS16_E_NS1_11comp_targetILNS1_3genE2ELNS1_11target_archE906ELNS1_3gpuE6ELNS1_3repE0EEENS1_30default_config_static_selectorELNS0_4arch9wavefront6targetE1EEEvT1_,@function
_ZN7rocprim17ROCPRIM_400000_NS6detail17trampoline_kernelINS0_14default_configENS1_25partition_config_selectorILNS1_17partition_subalgoE1EsNS0_10empty_typeEbEEZZNS1_14partition_implILS5_1ELb0ES3_jN6thrust23THRUST_200600_302600_NS6detail15normal_iteratorINSA_10device_ptrIsEEEEPS6_NSA_18transform_iteratorI7is_evenIsESF_NSA_11use_defaultESK_EENS0_5tupleIJNSA_16discard_iteratorISK_EESO_EEENSM_IJSG_SG_EEES6_PlJS6_EEE10hipError_tPvRmT3_T4_T5_T6_T7_T9_mT8_P12ihipStream_tbDpT10_ENKUlT_T0_E_clISt17integral_constantIbLb1EES1B_EEDaS16_S17_EUlS16_E_NS1_11comp_targetILNS1_3genE2ELNS1_11target_archE906ELNS1_3gpuE6ELNS1_3repE0EEENS1_30default_config_static_selectorELNS0_4arch9wavefront6targetE1EEEvT1_: ; @_ZN7rocprim17ROCPRIM_400000_NS6detail17trampoline_kernelINS0_14default_configENS1_25partition_config_selectorILNS1_17partition_subalgoE1EsNS0_10empty_typeEbEEZZNS1_14partition_implILS5_1ELb0ES3_jN6thrust23THRUST_200600_302600_NS6detail15normal_iteratorINSA_10device_ptrIsEEEEPS6_NSA_18transform_iteratorI7is_evenIsESF_NSA_11use_defaultESK_EENS0_5tupleIJNSA_16discard_iteratorISK_EESO_EEENSM_IJSG_SG_EEES6_PlJS6_EEE10hipError_tPvRmT3_T4_T5_T6_T7_T9_mT8_P12ihipStream_tbDpT10_ENKUlT_T0_E_clISt17integral_constantIbLb1EES1B_EEDaS16_S17_EUlS16_E_NS1_11comp_targetILNS1_3genE2ELNS1_11target_archE906ELNS1_3gpuE6ELNS1_3repE0EEENS1_30default_config_static_selectorELNS0_4arch9wavefront6targetE1EEEvT1_
; %bb.0:
	.section	.rodata,"a",@progbits
	.p2align	6, 0x0
	.amdhsa_kernel _ZN7rocprim17ROCPRIM_400000_NS6detail17trampoline_kernelINS0_14default_configENS1_25partition_config_selectorILNS1_17partition_subalgoE1EsNS0_10empty_typeEbEEZZNS1_14partition_implILS5_1ELb0ES3_jN6thrust23THRUST_200600_302600_NS6detail15normal_iteratorINSA_10device_ptrIsEEEEPS6_NSA_18transform_iteratorI7is_evenIsESF_NSA_11use_defaultESK_EENS0_5tupleIJNSA_16discard_iteratorISK_EESO_EEENSM_IJSG_SG_EEES6_PlJS6_EEE10hipError_tPvRmT3_T4_T5_T6_T7_T9_mT8_P12ihipStream_tbDpT10_ENKUlT_T0_E_clISt17integral_constantIbLb1EES1B_EEDaS16_S17_EUlS16_E_NS1_11comp_targetILNS1_3genE2ELNS1_11target_archE906ELNS1_3gpuE6ELNS1_3repE0EEENS1_30default_config_static_selectorELNS0_4arch9wavefront6targetE1EEEvT1_
		.amdhsa_group_segment_fixed_size 0
		.amdhsa_private_segment_fixed_size 0
		.amdhsa_kernarg_size 160
		.amdhsa_user_sgpr_count 2
		.amdhsa_user_sgpr_dispatch_ptr 0
		.amdhsa_user_sgpr_queue_ptr 0
		.amdhsa_user_sgpr_kernarg_segment_ptr 1
		.amdhsa_user_sgpr_dispatch_id 0
		.amdhsa_user_sgpr_kernarg_preload_length 0
		.amdhsa_user_sgpr_kernarg_preload_offset 0
		.amdhsa_user_sgpr_private_segment_size 0
		.amdhsa_uses_dynamic_stack 0
		.amdhsa_enable_private_segment 0
		.amdhsa_system_sgpr_workgroup_id_x 1
		.amdhsa_system_sgpr_workgroup_id_y 0
		.amdhsa_system_sgpr_workgroup_id_z 0
		.amdhsa_system_sgpr_workgroup_info 0
		.amdhsa_system_vgpr_workitem_id 0
		.amdhsa_next_free_vgpr 1
		.amdhsa_next_free_sgpr 0
		.amdhsa_accum_offset 4
		.amdhsa_reserve_vcc 0
		.amdhsa_float_round_mode_32 0
		.amdhsa_float_round_mode_16_64 0
		.amdhsa_float_denorm_mode_32 3
		.amdhsa_float_denorm_mode_16_64 3
		.amdhsa_dx10_clamp 1
		.amdhsa_ieee_mode 1
		.amdhsa_fp16_overflow 0
		.amdhsa_tg_split 0
		.amdhsa_exception_fp_ieee_invalid_op 0
		.amdhsa_exception_fp_denorm_src 0
		.amdhsa_exception_fp_ieee_div_zero 0
		.amdhsa_exception_fp_ieee_overflow 0
		.amdhsa_exception_fp_ieee_underflow 0
		.amdhsa_exception_fp_ieee_inexact 0
		.amdhsa_exception_int_div_zero 0
	.end_amdhsa_kernel
	.section	.text._ZN7rocprim17ROCPRIM_400000_NS6detail17trampoline_kernelINS0_14default_configENS1_25partition_config_selectorILNS1_17partition_subalgoE1EsNS0_10empty_typeEbEEZZNS1_14partition_implILS5_1ELb0ES3_jN6thrust23THRUST_200600_302600_NS6detail15normal_iteratorINSA_10device_ptrIsEEEEPS6_NSA_18transform_iteratorI7is_evenIsESF_NSA_11use_defaultESK_EENS0_5tupleIJNSA_16discard_iteratorISK_EESO_EEENSM_IJSG_SG_EEES6_PlJS6_EEE10hipError_tPvRmT3_T4_T5_T6_T7_T9_mT8_P12ihipStream_tbDpT10_ENKUlT_T0_E_clISt17integral_constantIbLb1EES1B_EEDaS16_S17_EUlS16_E_NS1_11comp_targetILNS1_3genE2ELNS1_11target_archE906ELNS1_3gpuE6ELNS1_3repE0EEENS1_30default_config_static_selectorELNS0_4arch9wavefront6targetE1EEEvT1_,"axG",@progbits,_ZN7rocprim17ROCPRIM_400000_NS6detail17trampoline_kernelINS0_14default_configENS1_25partition_config_selectorILNS1_17partition_subalgoE1EsNS0_10empty_typeEbEEZZNS1_14partition_implILS5_1ELb0ES3_jN6thrust23THRUST_200600_302600_NS6detail15normal_iteratorINSA_10device_ptrIsEEEEPS6_NSA_18transform_iteratorI7is_evenIsESF_NSA_11use_defaultESK_EENS0_5tupleIJNSA_16discard_iteratorISK_EESO_EEENSM_IJSG_SG_EEES6_PlJS6_EEE10hipError_tPvRmT3_T4_T5_T6_T7_T9_mT8_P12ihipStream_tbDpT10_ENKUlT_T0_E_clISt17integral_constantIbLb1EES1B_EEDaS16_S17_EUlS16_E_NS1_11comp_targetILNS1_3genE2ELNS1_11target_archE906ELNS1_3gpuE6ELNS1_3repE0EEENS1_30default_config_static_selectorELNS0_4arch9wavefront6targetE1EEEvT1_,comdat
.Lfunc_end3367:
	.size	_ZN7rocprim17ROCPRIM_400000_NS6detail17trampoline_kernelINS0_14default_configENS1_25partition_config_selectorILNS1_17partition_subalgoE1EsNS0_10empty_typeEbEEZZNS1_14partition_implILS5_1ELb0ES3_jN6thrust23THRUST_200600_302600_NS6detail15normal_iteratorINSA_10device_ptrIsEEEEPS6_NSA_18transform_iteratorI7is_evenIsESF_NSA_11use_defaultESK_EENS0_5tupleIJNSA_16discard_iteratorISK_EESO_EEENSM_IJSG_SG_EEES6_PlJS6_EEE10hipError_tPvRmT3_T4_T5_T6_T7_T9_mT8_P12ihipStream_tbDpT10_ENKUlT_T0_E_clISt17integral_constantIbLb1EES1B_EEDaS16_S17_EUlS16_E_NS1_11comp_targetILNS1_3genE2ELNS1_11target_archE906ELNS1_3gpuE6ELNS1_3repE0EEENS1_30default_config_static_selectorELNS0_4arch9wavefront6targetE1EEEvT1_, .Lfunc_end3367-_ZN7rocprim17ROCPRIM_400000_NS6detail17trampoline_kernelINS0_14default_configENS1_25partition_config_selectorILNS1_17partition_subalgoE1EsNS0_10empty_typeEbEEZZNS1_14partition_implILS5_1ELb0ES3_jN6thrust23THRUST_200600_302600_NS6detail15normal_iteratorINSA_10device_ptrIsEEEEPS6_NSA_18transform_iteratorI7is_evenIsESF_NSA_11use_defaultESK_EENS0_5tupleIJNSA_16discard_iteratorISK_EESO_EEENSM_IJSG_SG_EEES6_PlJS6_EEE10hipError_tPvRmT3_T4_T5_T6_T7_T9_mT8_P12ihipStream_tbDpT10_ENKUlT_T0_E_clISt17integral_constantIbLb1EES1B_EEDaS16_S17_EUlS16_E_NS1_11comp_targetILNS1_3genE2ELNS1_11target_archE906ELNS1_3gpuE6ELNS1_3repE0EEENS1_30default_config_static_selectorELNS0_4arch9wavefront6targetE1EEEvT1_
                                        ; -- End function
	.section	.AMDGPU.csdata,"",@progbits
; Kernel info:
; codeLenInByte = 0
; NumSgprs: 6
; NumVgprs: 0
; NumAgprs: 0
; TotalNumVgprs: 0
; ScratchSize: 0
; MemoryBound: 0
; FloatMode: 240
; IeeeMode: 1
; LDSByteSize: 0 bytes/workgroup (compile time only)
; SGPRBlocks: 0
; VGPRBlocks: 0
; NumSGPRsForWavesPerEU: 6
; NumVGPRsForWavesPerEU: 1
; AccumOffset: 4
; Occupancy: 8
; WaveLimiterHint : 0
; COMPUTE_PGM_RSRC2:SCRATCH_EN: 0
; COMPUTE_PGM_RSRC2:USER_SGPR: 2
; COMPUTE_PGM_RSRC2:TRAP_HANDLER: 0
; COMPUTE_PGM_RSRC2:TGID_X_EN: 1
; COMPUTE_PGM_RSRC2:TGID_Y_EN: 0
; COMPUTE_PGM_RSRC2:TGID_Z_EN: 0
; COMPUTE_PGM_RSRC2:TIDIG_COMP_CNT: 0
; COMPUTE_PGM_RSRC3_GFX90A:ACCUM_OFFSET: 0
; COMPUTE_PGM_RSRC3_GFX90A:TG_SPLIT: 0
	.section	.text._ZN7rocprim17ROCPRIM_400000_NS6detail17trampoline_kernelINS0_14default_configENS1_25partition_config_selectorILNS1_17partition_subalgoE1EsNS0_10empty_typeEbEEZZNS1_14partition_implILS5_1ELb0ES3_jN6thrust23THRUST_200600_302600_NS6detail15normal_iteratorINSA_10device_ptrIsEEEEPS6_NSA_18transform_iteratorI7is_evenIsESF_NSA_11use_defaultESK_EENS0_5tupleIJNSA_16discard_iteratorISK_EESO_EEENSM_IJSG_SG_EEES6_PlJS6_EEE10hipError_tPvRmT3_T4_T5_T6_T7_T9_mT8_P12ihipStream_tbDpT10_ENKUlT_T0_E_clISt17integral_constantIbLb1EES1B_EEDaS16_S17_EUlS16_E_NS1_11comp_targetILNS1_3genE10ELNS1_11target_archE1200ELNS1_3gpuE4ELNS1_3repE0EEENS1_30default_config_static_selectorELNS0_4arch9wavefront6targetE1EEEvT1_,"axG",@progbits,_ZN7rocprim17ROCPRIM_400000_NS6detail17trampoline_kernelINS0_14default_configENS1_25partition_config_selectorILNS1_17partition_subalgoE1EsNS0_10empty_typeEbEEZZNS1_14partition_implILS5_1ELb0ES3_jN6thrust23THRUST_200600_302600_NS6detail15normal_iteratorINSA_10device_ptrIsEEEEPS6_NSA_18transform_iteratorI7is_evenIsESF_NSA_11use_defaultESK_EENS0_5tupleIJNSA_16discard_iteratorISK_EESO_EEENSM_IJSG_SG_EEES6_PlJS6_EEE10hipError_tPvRmT3_T4_T5_T6_T7_T9_mT8_P12ihipStream_tbDpT10_ENKUlT_T0_E_clISt17integral_constantIbLb1EES1B_EEDaS16_S17_EUlS16_E_NS1_11comp_targetILNS1_3genE10ELNS1_11target_archE1200ELNS1_3gpuE4ELNS1_3repE0EEENS1_30default_config_static_selectorELNS0_4arch9wavefront6targetE1EEEvT1_,comdat
	.protected	_ZN7rocprim17ROCPRIM_400000_NS6detail17trampoline_kernelINS0_14default_configENS1_25partition_config_selectorILNS1_17partition_subalgoE1EsNS0_10empty_typeEbEEZZNS1_14partition_implILS5_1ELb0ES3_jN6thrust23THRUST_200600_302600_NS6detail15normal_iteratorINSA_10device_ptrIsEEEEPS6_NSA_18transform_iteratorI7is_evenIsESF_NSA_11use_defaultESK_EENS0_5tupleIJNSA_16discard_iteratorISK_EESO_EEENSM_IJSG_SG_EEES6_PlJS6_EEE10hipError_tPvRmT3_T4_T5_T6_T7_T9_mT8_P12ihipStream_tbDpT10_ENKUlT_T0_E_clISt17integral_constantIbLb1EES1B_EEDaS16_S17_EUlS16_E_NS1_11comp_targetILNS1_3genE10ELNS1_11target_archE1200ELNS1_3gpuE4ELNS1_3repE0EEENS1_30default_config_static_selectorELNS0_4arch9wavefront6targetE1EEEvT1_ ; -- Begin function _ZN7rocprim17ROCPRIM_400000_NS6detail17trampoline_kernelINS0_14default_configENS1_25partition_config_selectorILNS1_17partition_subalgoE1EsNS0_10empty_typeEbEEZZNS1_14partition_implILS5_1ELb0ES3_jN6thrust23THRUST_200600_302600_NS6detail15normal_iteratorINSA_10device_ptrIsEEEEPS6_NSA_18transform_iteratorI7is_evenIsESF_NSA_11use_defaultESK_EENS0_5tupleIJNSA_16discard_iteratorISK_EESO_EEENSM_IJSG_SG_EEES6_PlJS6_EEE10hipError_tPvRmT3_T4_T5_T6_T7_T9_mT8_P12ihipStream_tbDpT10_ENKUlT_T0_E_clISt17integral_constantIbLb1EES1B_EEDaS16_S17_EUlS16_E_NS1_11comp_targetILNS1_3genE10ELNS1_11target_archE1200ELNS1_3gpuE4ELNS1_3repE0EEENS1_30default_config_static_selectorELNS0_4arch9wavefront6targetE1EEEvT1_
	.globl	_ZN7rocprim17ROCPRIM_400000_NS6detail17trampoline_kernelINS0_14default_configENS1_25partition_config_selectorILNS1_17partition_subalgoE1EsNS0_10empty_typeEbEEZZNS1_14partition_implILS5_1ELb0ES3_jN6thrust23THRUST_200600_302600_NS6detail15normal_iteratorINSA_10device_ptrIsEEEEPS6_NSA_18transform_iteratorI7is_evenIsESF_NSA_11use_defaultESK_EENS0_5tupleIJNSA_16discard_iteratorISK_EESO_EEENSM_IJSG_SG_EEES6_PlJS6_EEE10hipError_tPvRmT3_T4_T5_T6_T7_T9_mT8_P12ihipStream_tbDpT10_ENKUlT_T0_E_clISt17integral_constantIbLb1EES1B_EEDaS16_S17_EUlS16_E_NS1_11comp_targetILNS1_3genE10ELNS1_11target_archE1200ELNS1_3gpuE4ELNS1_3repE0EEENS1_30default_config_static_selectorELNS0_4arch9wavefront6targetE1EEEvT1_
	.p2align	8
	.type	_ZN7rocprim17ROCPRIM_400000_NS6detail17trampoline_kernelINS0_14default_configENS1_25partition_config_selectorILNS1_17partition_subalgoE1EsNS0_10empty_typeEbEEZZNS1_14partition_implILS5_1ELb0ES3_jN6thrust23THRUST_200600_302600_NS6detail15normal_iteratorINSA_10device_ptrIsEEEEPS6_NSA_18transform_iteratorI7is_evenIsESF_NSA_11use_defaultESK_EENS0_5tupleIJNSA_16discard_iteratorISK_EESO_EEENSM_IJSG_SG_EEES6_PlJS6_EEE10hipError_tPvRmT3_T4_T5_T6_T7_T9_mT8_P12ihipStream_tbDpT10_ENKUlT_T0_E_clISt17integral_constantIbLb1EES1B_EEDaS16_S17_EUlS16_E_NS1_11comp_targetILNS1_3genE10ELNS1_11target_archE1200ELNS1_3gpuE4ELNS1_3repE0EEENS1_30default_config_static_selectorELNS0_4arch9wavefront6targetE1EEEvT1_,@function
_ZN7rocprim17ROCPRIM_400000_NS6detail17trampoline_kernelINS0_14default_configENS1_25partition_config_selectorILNS1_17partition_subalgoE1EsNS0_10empty_typeEbEEZZNS1_14partition_implILS5_1ELb0ES3_jN6thrust23THRUST_200600_302600_NS6detail15normal_iteratorINSA_10device_ptrIsEEEEPS6_NSA_18transform_iteratorI7is_evenIsESF_NSA_11use_defaultESK_EENS0_5tupleIJNSA_16discard_iteratorISK_EESO_EEENSM_IJSG_SG_EEES6_PlJS6_EEE10hipError_tPvRmT3_T4_T5_T6_T7_T9_mT8_P12ihipStream_tbDpT10_ENKUlT_T0_E_clISt17integral_constantIbLb1EES1B_EEDaS16_S17_EUlS16_E_NS1_11comp_targetILNS1_3genE10ELNS1_11target_archE1200ELNS1_3gpuE4ELNS1_3repE0EEENS1_30default_config_static_selectorELNS0_4arch9wavefront6targetE1EEEvT1_: ; @_ZN7rocprim17ROCPRIM_400000_NS6detail17trampoline_kernelINS0_14default_configENS1_25partition_config_selectorILNS1_17partition_subalgoE1EsNS0_10empty_typeEbEEZZNS1_14partition_implILS5_1ELb0ES3_jN6thrust23THRUST_200600_302600_NS6detail15normal_iteratorINSA_10device_ptrIsEEEEPS6_NSA_18transform_iteratorI7is_evenIsESF_NSA_11use_defaultESK_EENS0_5tupleIJNSA_16discard_iteratorISK_EESO_EEENSM_IJSG_SG_EEES6_PlJS6_EEE10hipError_tPvRmT3_T4_T5_T6_T7_T9_mT8_P12ihipStream_tbDpT10_ENKUlT_T0_E_clISt17integral_constantIbLb1EES1B_EEDaS16_S17_EUlS16_E_NS1_11comp_targetILNS1_3genE10ELNS1_11target_archE1200ELNS1_3gpuE4ELNS1_3repE0EEENS1_30default_config_static_selectorELNS0_4arch9wavefront6targetE1EEEvT1_
; %bb.0:
	.section	.rodata,"a",@progbits
	.p2align	6, 0x0
	.amdhsa_kernel _ZN7rocprim17ROCPRIM_400000_NS6detail17trampoline_kernelINS0_14default_configENS1_25partition_config_selectorILNS1_17partition_subalgoE1EsNS0_10empty_typeEbEEZZNS1_14partition_implILS5_1ELb0ES3_jN6thrust23THRUST_200600_302600_NS6detail15normal_iteratorINSA_10device_ptrIsEEEEPS6_NSA_18transform_iteratorI7is_evenIsESF_NSA_11use_defaultESK_EENS0_5tupleIJNSA_16discard_iteratorISK_EESO_EEENSM_IJSG_SG_EEES6_PlJS6_EEE10hipError_tPvRmT3_T4_T5_T6_T7_T9_mT8_P12ihipStream_tbDpT10_ENKUlT_T0_E_clISt17integral_constantIbLb1EES1B_EEDaS16_S17_EUlS16_E_NS1_11comp_targetILNS1_3genE10ELNS1_11target_archE1200ELNS1_3gpuE4ELNS1_3repE0EEENS1_30default_config_static_selectorELNS0_4arch9wavefront6targetE1EEEvT1_
		.amdhsa_group_segment_fixed_size 0
		.amdhsa_private_segment_fixed_size 0
		.amdhsa_kernarg_size 160
		.amdhsa_user_sgpr_count 2
		.amdhsa_user_sgpr_dispatch_ptr 0
		.amdhsa_user_sgpr_queue_ptr 0
		.amdhsa_user_sgpr_kernarg_segment_ptr 1
		.amdhsa_user_sgpr_dispatch_id 0
		.amdhsa_user_sgpr_kernarg_preload_length 0
		.amdhsa_user_sgpr_kernarg_preload_offset 0
		.amdhsa_user_sgpr_private_segment_size 0
		.amdhsa_uses_dynamic_stack 0
		.amdhsa_enable_private_segment 0
		.amdhsa_system_sgpr_workgroup_id_x 1
		.amdhsa_system_sgpr_workgroup_id_y 0
		.amdhsa_system_sgpr_workgroup_id_z 0
		.amdhsa_system_sgpr_workgroup_info 0
		.amdhsa_system_vgpr_workitem_id 0
		.amdhsa_next_free_vgpr 1
		.amdhsa_next_free_sgpr 0
		.amdhsa_accum_offset 4
		.amdhsa_reserve_vcc 0
		.amdhsa_float_round_mode_32 0
		.amdhsa_float_round_mode_16_64 0
		.amdhsa_float_denorm_mode_32 3
		.amdhsa_float_denorm_mode_16_64 3
		.amdhsa_dx10_clamp 1
		.amdhsa_ieee_mode 1
		.amdhsa_fp16_overflow 0
		.amdhsa_tg_split 0
		.amdhsa_exception_fp_ieee_invalid_op 0
		.amdhsa_exception_fp_denorm_src 0
		.amdhsa_exception_fp_ieee_div_zero 0
		.amdhsa_exception_fp_ieee_overflow 0
		.amdhsa_exception_fp_ieee_underflow 0
		.amdhsa_exception_fp_ieee_inexact 0
		.amdhsa_exception_int_div_zero 0
	.end_amdhsa_kernel
	.section	.text._ZN7rocprim17ROCPRIM_400000_NS6detail17trampoline_kernelINS0_14default_configENS1_25partition_config_selectorILNS1_17partition_subalgoE1EsNS0_10empty_typeEbEEZZNS1_14partition_implILS5_1ELb0ES3_jN6thrust23THRUST_200600_302600_NS6detail15normal_iteratorINSA_10device_ptrIsEEEEPS6_NSA_18transform_iteratorI7is_evenIsESF_NSA_11use_defaultESK_EENS0_5tupleIJNSA_16discard_iteratorISK_EESO_EEENSM_IJSG_SG_EEES6_PlJS6_EEE10hipError_tPvRmT3_T4_T5_T6_T7_T9_mT8_P12ihipStream_tbDpT10_ENKUlT_T0_E_clISt17integral_constantIbLb1EES1B_EEDaS16_S17_EUlS16_E_NS1_11comp_targetILNS1_3genE10ELNS1_11target_archE1200ELNS1_3gpuE4ELNS1_3repE0EEENS1_30default_config_static_selectorELNS0_4arch9wavefront6targetE1EEEvT1_,"axG",@progbits,_ZN7rocprim17ROCPRIM_400000_NS6detail17trampoline_kernelINS0_14default_configENS1_25partition_config_selectorILNS1_17partition_subalgoE1EsNS0_10empty_typeEbEEZZNS1_14partition_implILS5_1ELb0ES3_jN6thrust23THRUST_200600_302600_NS6detail15normal_iteratorINSA_10device_ptrIsEEEEPS6_NSA_18transform_iteratorI7is_evenIsESF_NSA_11use_defaultESK_EENS0_5tupleIJNSA_16discard_iteratorISK_EESO_EEENSM_IJSG_SG_EEES6_PlJS6_EEE10hipError_tPvRmT3_T4_T5_T6_T7_T9_mT8_P12ihipStream_tbDpT10_ENKUlT_T0_E_clISt17integral_constantIbLb1EES1B_EEDaS16_S17_EUlS16_E_NS1_11comp_targetILNS1_3genE10ELNS1_11target_archE1200ELNS1_3gpuE4ELNS1_3repE0EEENS1_30default_config_static_selectorELNS0_4arch9wavefront6targetE1EEEvT1_,comdat
.Lfunc_end3368:
	.size	_ZN7rocprim17ROCPRIM_400000_NS6detail17trampoline_kernelINS0_14default_configENS1_25partition_config_selectorILNS1_17partition_subalgoE1EsNS0_10empty_typeEbEEZZNS1_14partition_implILS5_1ELb0ES3_jN6thrust23THRUST_200600_302600_NS6detail15normal_iteratorINSA_10device_ptrIsEEEEPS6_NSA_18transform_iteratorI7is_evenIsESF_NSA_11use_defaultESK_EENS0_5tupleIJNSA_16discard_iteratorISK_EESO_EEENSM_IJSG_SG_EEES6_PlJS6_EEE10hipError_tPvRmT3_T4_T5_T6_T7_T9_mT8_P12ihipStream_tbDpT10_ENKUlT_T0_E_clISt17integral_constantIbLb1EES1B_EEDaS16_S17_EUlS16_E_NS1_11comp_targetILNS1_3genE10ELNS1_11target_archE1200ELNS1_3gpuE4ELNS1_3repE0EEENS1_30default_config_static_selectorELNS0_4arch9wavefront6targetE1EEEvT1_, .Lfunc_end3368-_ZN7rocprim17ROCPRIM_400000_NS6detail17trampoline_kernelINS0_14default_configENS1_25partition_config_selectorILNS1_17partition_subalgoE1EsNS0_10empty_typeEbEEZZNS1_14partition_implILS5_1ELb0ES3_jN6thrust23THRUST_200600_302600_NS6detail15normal_iteratorINSA_10device_ptrIsEEEEPS6_NSA_18transform_iteratorI7is_evenIsESF_NSA_11use_defaultESK_EENS0_5tupleIJNSA_16discard_iteratorISK_EESO_EEENSM_IJSG_SG_EEES6_PlJS6_EEE10hipError_tPvRmT3_T4_T5_T6_T7_T9_mT8_P12ihipStream_tbDpT10_ENKUlT_T0_E_clISt17integral_constantIbLb1EES1B_EEDaS16_S17_EUlS16_E_NS1_11comp_targetILNS1_3genE10ELNS1_11target_archE1200ELNS1_3gpuE4ELNS1_3repE0EEENS1_30default_config_static_selectorELNS0_4arch9wavefront6targetE1EEEvT1_
                                        ; -- End function
	.section	.AMDGPU.csdata,"",@progbits
; Kernel info:
; codeLenInByte = 0
; NumSgprs: 6
; NumVgprs: 0
; NumAgprs: 0
; TotalNumVgprs: 0
; ScratchSize: 0
; MemoryBound: 0
; FloatMode: 240
; IeeeMode: 1
; LDSByteSize: 0 bytes/workgroup (compile time only)
; SGPRBlocks: 0
; VGPRBlocks: 0
; NumSGPRsForWavesPerEU: 6
; NumVGPRsForWavesPerEU: 1
; AccumOffset: 4
; Occupancy: 8
; WaveLimiterHint : 0
; COMPUTE_PGM_RSRC2:SCRATCH_EN: 0
; COMPUTE_PGM_RSRC2:USER_SGPR: 2
; COMPUTE_PGM_RSRC2:TRAP_HANDLER: 0
; COMPUTE_PGM_RSRC2:TGID_X_EN: 1
; COMPUTE_PGM_RSRC2:TGID_Y_EN: 0
; COMPUTE_PGM_RSRC2:TGID_Z_EN: 0
; COMPUTE_PGM_RSRC2:TIDIG_COMP_CNT: 0
; COMPUTE_PGM_RSRC3_GFX90A:ACCUM_OFFSET: 0
; COMPUTE_PGM_RSRC3_GFX90A:TG_SPLIT: 0
	.section	.text._ZN7rocprim17ROCPRIM_400000_NS6detail17trampoline_kernelINS0_14default_configENS1_25partition_config_selectorILNS1_17partition_subalgoE1EsNS0_10empty_typeEbEEZZNS1_14partition_implILS5_1ELb0ES3_jN6thrust23THRUST_200600_302600_NS6detail15normal_iteratorINSA_10device_ptrIsEEEEPS6_NSA_18transform_iteratorI7is_evenIsESF_NSA_11use_defaultESK_EENS0_5tupleIJNSA_16discard_iteratorISK_EESO_EEENSM_IJSG_SG_EEES6_PlJS6_EEE10hipError_tPvRmT3_T4_T5_T6_T7_T9_mT8_P12ihipStream_tbDpT10_ENKUlT_T0_E_clISt17integral_constantIbLb1EES1B_EEDaS16_S17_EUlS16_E_NS1_11comp_targetILNS1_3genE9ELNS1_11target_archE1100ELNS1_3gpuE3ELNS1_3repE0EEENS1_30default_config_static_selectorELNS0_4arch9wavefront6targetE1EEEvT1_,"axG",@progbits,_ZN7rocprim17ROCPRIM_400000_NS6detail17trampoline_kernelINS0_14default_configENS1_25partition_config_selectorILNS1_17partition_subalgoE1EsNS0_10empty_typeEbEEZZNS1_14partition_implILS5_1ELb0ES3_jN6thrust23THRUST_200600_302600_NS6detail15normal_iteratorINSA_10device_ptrIsEEEEPS6_NSA_18transform_iteratorI7is_evenIsESF_NSA_11use_defaultESK_EENS0_5tupleIJNSA_16discard_iteratorISK_EESO_EEENSM_IJSG_SG_EEES6_PlJS6_EEE10hipError_tPvRmT3_T4_T5_T6_T7_T9_mT8_P12ihipStream_tbDpT10_ENKUlT_T0_E_clISt17integral_constantIbLb1EES1B_EEDaS16_S17_EUlS16_E_NS1_11comp_targetILNS1_3genE9ELNS1_11target_archE1100ELNS1_3gpuE3ELNS1_3repE0EEENS1_30default_config_static_selectorELNS0_4arch9wavefront6targetE1EEEvT1_,comdat
	.protected	_ZN7rocprim17ROCPRIM_400000_NS6detail17trampoline_kernelINS0_14default_configENS1_25partition_config_selectorILNS1_17partition_subalgoE1EsNS0_10empty_typeEbEEZZNS1_14partition_implILS5_1ELb0ES3_jN6thrust23THRUST_200600_302600_NS6detail15normal_iteratorINSA_10device_ptrIsEEEEPS6_NSA_18transform_iteratorI7is_evenIsESF_NSA_11use_defaultESK_EENS0_5tupleIJNSA_16discard_iteratorISK_EESO_EEENSM_IJSG_SG_EEES6_PlJS6_EEE10hipError_tPvRmT3_T4_T5_T6_T7_T9_mT8_P12ihipStream_tbDpT10_ENKUlT_T0_E_clISt17integral_constantIbLb1EES1B_EEDaS16_S17_EUlS16_E_NS1_11comp_targetILNS1_3genE9ELNS1_11target_archE1100ELNS1_3gpuE3ELNS1_3repE0EEENS1_30default_config_static_selectorELNS0_4arch9wavefront6targetE1EEEvT1_ ; -- Begin function _ZN7rocprim17ROCPRIM_400000_NS6detail17trampoline_kernelINS0_14default_configENS1_25partition_config_selectorILNS1_17partition_subalgoE1EsNS0_10empty_typeEbEEZZNS1_14partition_implILS5_1ELb0ES3_jN6thrust23THRUST_200600_302600_NS6detail15normal_iteratorINSA_10device_ptrIsEEEEPS6_NSA_18transform_iteratorI7is_evenIsESF_NSA_11use_defaultESK_EENS0_5tupleIJNSA_16discard_iteratorISK_EESO_EEENSM_IJSG_SG_EEES6_PlJS6_EEE10hipError_tPvRmT3_T4_T5_T6_T7_T9_mT8_P12ihipStream_tbDpT10_ENKUlT_T0_E_clISt17integral_constantIbLb1EES1B_EEDaS16_S17_EUlS16_E_NS1_11comp_targetILNS1_3genE9ELNS1_11target_archE1100ELNS1_3gpuE3ELNS1_3repE0EEENS1_30default_config_static_selectorELNS0_4arch9wavefront6targetE1EEEvT1_
	.globl	_ZN7rocprim17ROCPRIM_400000_NS6detail17trampoline_kernelINS0_14default_configENS1_25partition_config_selectorILNS1_17partition_subalgoE1EsNS0_10empty_typeEbEEZZNS1_14partition_implILS5_1ELb0ES3_jN6thrust23THRUST_200600_302600_NS6detail15normal_iteratorINSA_10device_ptrIsEEEEPS6_NSA_18transform_iteratorI7is_evenIsESF_NSA_11use_defaultESK_EENS0_5tupleIJNSA_16discard_iteratorISK_EESO_EEENSM_IJSG_SG_EEES6_PlJS6_EEE10hipError_tPvRmT3_T4_T5_T6_T7_T9_mT8_P12ihipStream_tbDpT10_ENKUlT_T0_E_clISt17integral_constantIbLb1EES1B_EEDaS16_S17_EUlS16_E_NS1_11comp_targetILNS1_3genE9ELNS1_11target_archE1100ELNS1_3gpuE3ELNS1_3repE0EEENS1_30default_config_static_selectorELNS0_4arch9wavefront6targetE1EEEvT1_
	.p2align	8
	.type	_ZN7rocprim17ROCPRIM_400000_NS6detail17trampoline_kernelINS0_14default_configENS1_25partition_config_selectorILNS1_17partition_subalgoE1EsNS0_10empty_typeEbEEZZNS1_14partition_implILS5_1ELb0ES3_jN6thrust23THRUST_200600_302600_NS6detail15normal_iteratorINSA_10device_ptrIsEEEEPS6_NSA_18transform_iteratorI7is_evenIsESF_NSA_11use_defaultESK_EENS0_5tupleIJNSA_16discard_iteratorISK_EESO_EEENSM_IJSG_SG_EEES6_PlJS6_EEE10hipError_tPvRmT3_T4_T5_T6_T7_T9_mT8_P12ihipStream_tbDpT10_ENKUlT_T0_E_clISt17integral_constantIbLb1EES1B_EEDaS16_S17_EUlS16_E_NS1_11comp_targetILNS1_3genE9ELNS1_11target_archE1100ELNS1_3gpuE3ELNS1_3repE0EEENS1_30default_config_static_selectorELNS0_4arch9wavefront6targetE1EEEvT1_,@function
_ZN7rocprim17ROCPRIM_400000_NS6detail17trampoline_kernelINS0_14default_configENS1_25partition_config_selectorILNS1_17partition_subalgoE1EsNS0_10empty_typeEbEEZZNS1_14partition_implILS5_1ELb0ES3_jN6thrust23THRUST_200600_302600_NS6detail15normal_iteratorINSA_10device_ptrIsEEEEPS6_NSA_18transform_iteratorI7is_evenIsESF_NSA_11use_defaultESK_EENS0_5tupleIJNSA_16discard_iteratorISK_EESO_EEENSM_IJSG_SG_EEES6_PlJS6_EEE10hipError_tPvRmT3_T4_T5_T6_T7_T9_mT8_P12ihipStream_tbDpT10_ENKUlT_T0_E_clISt17integral_constantIbLb1EES1B_EEDaS16_S17_EUlS16_E_NS1_11comp_targetILNS1_3genE9ELNS1_11target_archE1100ELNS1_3gpuE3ELNS1_3repE0EEENS1_30default_config_static_selectorELNS0_4arch9wavefront6targetE1EEEvT1_: ; @_ZN7rocprim17ROCPRIM_400000_NS6detail17trampoline_kernelINS0_14default_configENS1_25partition_config_selectorILNS1_17partition_subalgoE1EsNS0_10empty_typeEbEEZZNS1_14partition_implILS5_1ELb0ES3_jN6thrust23THRUST_200600_302600_NS6detail15normal_iteratorINSA_10device_ptrIsEEEEPS6_NSA_18transform_iteratorI7is_evenIsESF_NSA_11use_defaultESK_EENS0_5tupleIJNSA_16discard_iteratorISK_EESO_EEENSM_IJSG_SG_EEES6_PlJS6_EEE10hipError_tPvRmT3_T4_T5_T6_T7_T9_mT8_P12ihipStream_tbDpT10_ENKUlT_T0_E_clISt17integral_constantIbLb1EES1B_EEDaS16_S17_EUlS16_E_NS1_11comp_targetILNS1_3genE9ELNS1_11target_archE1100ELNS1_3gpuE3ELNS1_3repE0EEENS1_30default_config_static_selectorELNS0_4arch9wavefront6targetE1EEEvT1_
; %bb.0:
	.section	.rodata,"a",@progbits
	.p2align	6, 0x0
	.amdhsa_kernel _ZN7rocprim17ROCPRIM_400000_NS6detail17trampoline_kernelINS0_14default_configENS1_25partition_config_selectorILNS1_17partition_subalgoE1EsNS0_10empty_typeEbEEZZNS1_14partition_implILS5_1ELb0ES3_jN6thrust23THRUST_200600_302600_NS6detail15normal_iteratorINSA_10device_ptrIsEEEEPS6_NSA_18transform_iteratorI7is_evenIsESF_NSA_11use_defaultESK_EENS0_5tupleIJNSA_16discard_iteratorISK_EESO_EEENSM_IJSG_SG_EEES6_PlJS6_EEE10hipError_tPvRmT3_T4_T5_T6_T7_T9_mT8_P12ihipStream_tbDpT10_ENKUlT_T0_E_clISt17integral_constantIbLb1EES1B_EEDaS16_S17_EUlS16_E_NS1_11comp_targetILNS1_3genE9ELNS1_11target_archE1100ELNS1_3gpuE3ELNS1_3repE0EEENS1_30default_config_static_selectorELNS0_4arch9wavefront6targetE1EEEvT1_
		.amdhsa_group_segment_fixed_size 0
		.amdhsa_private_segment_fixed_size 0
		.amdhsa_kernarg_size 160
		.amdhsa_user_sgpr_count 2
		.amdhsa_user_sgpr_dispatch_ptr 0
		.amdhsa_user_sgpr_queue_ptr 0
		.amdhsa_user_sgpr_kernarg_segment_ptr 1
		.amdhsa_user_sgpr_dispatch_id 0
		.amdhsa_user_sgpr_kernarg_preload_length 0
		.amdhsa_user_sgpr_kernarg_preload_offset 0
		.amdhsa_user_sgpr_private_segment_size 0
		.amdhsa_uses_dynamic_stack 0
		.amdhsa_enable_private_segment 0
		.amdhsa_system_sgpr_workgroup_id_x 1
		.amdhsa_system_sgpr_workgroup_id_y 0
		.amdhsa_system_sgpr_workgroup_id_z 0
		.amdhsa_system_sgpr_workgroup_info 0
		.amdhsa_system_vgpr_workitem_id 0
		.amdhsa_next_free_vgpr 1
		.amdhsa_next_free_sgpr 0
		.amdhsa_accum_offset 4
		.amdhsa_reserve_vcc 0
		.amdhsa_float_round_mode_32 0
		.amdhsa_float_round_mode_16_64 0
		.amdhsa_float_denorm_mode_32 3
		.amdhsa_float_denorm_mode_16_64 3
		.amdhsa_dx10_clamp 1
		.amdhsa_ieee_mode 1
		.amdhsa_fp16_overflow 0
		.amdhsa_tg_split 0
		.amdhsa_exception_fp_ieee_invalid_op 0
		.amdhsa_exception_fp_denorm_src 0
		.amdhsa_exception_fp_ieee_div_zero 0
		.amdhsa_exception_fp_ieee_overflow 0
		.amdhsa_exception_fp_ieee_underflow 0
		.amdhsa_exception_fp_ieee_inexact 0
		.amdhsa_exception_int_div_zero 0
	.end_amdhsa_kernel
	.section	.text._ZN7rocprim17ROCPRIM_400000_NS6detail17trampoline_kernelINS0_14default_configENS1_25partition_config_selectorILNS1_17partition_subalgoE1EsNS0_10empty_typeEbEEZZNS1_14partition_implILS5_1ELb0ES3_jN6thrust23THRUST_200600_302600_NS6detail15normal_iteratorINSA_10device_ptrIsEEEEPS6_NSA_18transform_iteratorI7is_evenIsESF_NSA_11use_defaultESK_EENS0_5tupleIJNSA_16discard_iteratorISK_EESO_EEENSM_IJSG_SG_EEES6_PlJS6_EEE10hipError_tPvRmT3_T4_T5_T6_T7_T9_mT8_P12ihipStream_tbDpT10_ENKUlT_T0_E_clISt17integral_constantIbLb1EES1B_EEDaS16_S17_EUlS16_E_NS1_11comp_targetILNS1_3genE9ELNS1_11target_archE1100ELNS1_3gpuE3ELNS1_3repE0EEENS1_30default_config_static_selectorELNS0_4arch9wavefront6targetE1EEEvT1_,"axG",@progbits,_ZN7rocprim17ROCPRIM_400000_NS6detail17trampoline_kernelINS0_14default_configENS1_25partition_config_selectorILNS1_17partition_subalgoE1EsNS0_10empty_typeEbEEZZNS1_14partition_implILS5_1ELb0ES3_jN6thrust23THRUST_200600_302600_NS6detail15normal_iteratorINSA_10device_ptrIsEEEEPS6_NSA_18transform_iteratorI7is_evenIsESF_NSA_11use_defaultESK_EENS0_5tupleIJNSA_16discard_iteratorISK_EESO_EEENSM_IJSG_SG_EEES6_PlJS6_EEE10hipError_tPvRmT3_T4_T5_T6_T7_T9_mT8_P12ihipStream_tbDpT10_ENKUlT_T0_E_clISt17integral_constantIbLb1EES1B_EEDaS16_S17_EUlS16_E_NS1_11comp_targetILNS1_3genE9ELNS1_11target_archE1100ELNS1_3gpuE3ELNS1_3repE0EEENS1_30default_config_static_selectorELNS0_4arch9wavefront6targetE1EEEvT1_,comdat
.Lfunc_end3369:
	.size	_ZN7rocprim17ROCPRIM_400000_NS6detail17trampoline_kernelINS0_14default_configENS1_25partition_config_selectorILNS1_17partition_subalgoE1EsNS0_10empty_typeEbEEZZNS1_14partition_implILS5_1ELb0ES3_jN6thrust23THRUST_200600_302600_NS6detail15normal_iteratorINSA_10device_ptrIsEEEEPS6_NSA_18transform_iteratorI7is_evenIsESF_NSA_11use_defaultESK_EENS0_5tupleIJNSA_16discard_iteratorISK_EESO_EEENSM_IJSG_SG_EEES6_PlJS6_EEE10hipError_tPvRmT3_T4_T5_T6_T7_T9_mT8_P12ihipStream_tbDpT10_ENKUlT_T0_E_clISt17integral_constantIbLb1EES1B_EEDaS16_S17_EUlS16_E_NS1_11comp_targetILNS1_3genE9ELNS1_11target_archE1100ELNS1_3gpuE3ELNS1_3repE0EEENS1_30default_config_static_selectorELNS0_4arch9wavefront6targetE1EEEvT1_, .Lfunc_end3369-_ZN7rocprim17ROCPRIM_400000_NS6detail17trampoline_kernelINS0_14default_configENS1_25partition_config_selectorILNS1_17partition_subalgoE1EsNS0_10empty_typeEbEEZZNS1_14partition_implILS5_1ELb0ES3_jN6thrust23THRUST_200600_302600_NS6detail15normal_iteratorINSA_10device_ptrIsEEEEPS6_NSA_18transform_iteratorI7is_evenIsESF_NSA_11use_defaultESK_EENS0_5tupleIJNSA_16discard_iteratorISK_EESO_EEENSM_IJSG_SG_EEES6_PlJS6_EEE10hipError_tPvRmT3_T4_T5_T6_T7_T9_mT8_P12ihipStream_tbDpT10_ENKUlT_T0_E_clISt17integral_constantIbLb1EES1B_EEDaS16_S17_EUlS16_E_NS1_11comp_targetILNS1_3genE9ELNS1_11target_archE1100ELNS1_3gpuE3ELNS1_3repE0EEENS1_30default_config_static_selectorELNS0_4arch9wavefront6targetE1EEEvT1_
                                        ; -- End function
	.section	.AMDGPU.csdata,"",@progbits
; Kernel info:
; codeLenInByte = 0
; NumSgprs: 6
; NumVgprs: 0
; NumAgprs: 0
; TotalNumVgprs: 0
; ScratchSize: 0
; MemoryBound: 0
; FloatMode: 240
; IeeeMode: 1
; LDSByteSize: 0 bytes/workgroup (compile time only)
; SGPRBlocks: 0
; VGPRBlocks: 0
; NumSGPRsForWavesPerEU: 6
; NumVGPRsForWavesPerEU: 1
; AccumOffset: 4
; Occupancy: 8
; WaveLimiterHint : 0
; COMPUTE_PGM_RSRC2:SCRATCH_EN: 0
; COMPUTE_PGM_RSRC2:USER_SGPR: 2
; COMPUTE_PGM_RSRC2:TRAP_HANDLER: 0
; COMPUTE_PGM_RSRC2:TGID_X_EN: 1
; COMPUTE_PGM_RSRC2:TGID_Y_EN: 0
; COMPUTE_PGM_RSRC2:TGID_Z_EN: 0
; COMPUTE_PGM_RSRC2:TIDIG_COMP_CNT: 0
; COMPUTE_PGM_RSRC3_GFX90A:ACCUM_OFFSET: 0
; COMPUTE_PGM_RSRC3_GFX90A:TG_SPLIT: 0
	.section	.text._ZN7rocprim17ROCPRIM_400000_NS6detail17trampoline_kernelINS0_14default_configENS1_25partition_config_selectorILNS1_17partition_subalgoE1EsNS0_10empty_typeEbEEZZNS1_14partition_implILS5_1ELb0ES3_jN6thrust23THRUST_200600_302600_NS6detail15normal_iteratorINSA_10device_ptrIsEEEEPS6_NSA_18transform_iteratorI7is_evenIsESF_NSA_11use_defaultESK_EENS0_5tupleIJNSA_16discard_iteratorISK_EESO_EEENSM_IJSG_SG_EEES6_PlJS6_EEE10hipError_tPvRmT3_T4_T5_T6_T7_T9_mT8_P12ihipStream_tbDpT10_ENKUlT_T0_E_clISt17integral_constantIbLb1EES1B_EEDaS16_S17_EUlS16_E_NS1_11comp_targetILNS1_3genE8ELNS1_11target_archE1030ELNS1_3gpuE2ELNS1_3repE0EEENS1_30default_config_static_selectorELNS0_4arch9wavefront6targetE1EEEvT1_,"axG",@progbits,_ZN7rocprim17ROCPRIM_400000_NS6detail17trampoline_kernelINS0_14default_configENS1_25partition_config_selectorILNS1_17partition_subalgoE1EsNS0_10empty_typeEbEEZZNS1_14partition_implILS5_1ELb0ES3_jN6thrust23THRUST_200600_302600_NS6detail15normal_iteratorINSA_10device_ptrIsEEEEPS6_NSA_18transform_iteratorI7is_evenIsESF_NSA_11use_defaultESK_EENS0_5tupleIJNSA_16discard_iteratorISK_EESO_EEENSM_IJSG_SG_EEES6_PlJS6_EEE10hipError_tPvRmT3_T4_T5_T6_T7_T9_mT8_P12ihipStream_tbDpT10_ENKUlT_T0_E_clISt17integral_constantIbLb1EES1B_EEDaS16_S17_EUlS16_E_NS1_11comp_targetILNS1_3genE8ELNS1_11target_archE1030ELNS1_3gpuE2ELNS1_3repE0EEENS1_30default_config_static_selectorELNS0_4arch9wavefront6targetE1EEEvT1_,comdat
	.protected	_ZN7rocprim17ROCPRIM_400000_NS6detail17trampoline_kernelINS0_14default_configENS1_25partition_config_selectorILNS1_17partition_subalgoE1EsNS0_10empty_typeEbEEZZNS1_14partition_implILS5_1ELb0ES3_jN6thrust23THRUST_200600_302600_NS6detail15normal_iteratorINSA_10device_ptrIsEEEEPS6_NSA_18transform_iteratorI7is_evenIsESF_NSA_11use_defaultESK_EENS0_5tupleIJNSA_16discard_iteratorISK_EESO_EEENSM_IJSG_SG_EEES6_PlJS6_EEE10hipError_tPvRmT3_T4_T5_T6_T7_T9_mT8_P12ihipStream_tbDpT10_ENKUlT_T0_E_clISt17integral_constantIbLb1EES1B_EEDaS16_S17_EUlS16_E_NS1_11comp_targetILNS1_3genE8ELNS1_11target_archE1030ELNS1_3gpuE2ELNS1_3repE0EEENS1_30default_config_static_selectorELNS0_4arch9wavefront6targetE1EEEvT1_ ; -- Begin function _ZN7rocprim17ROCPRIM_400000_NS6detail17trampoline_kernelINS0_14default_configENS1_25partition_config_selectorILNS1_17partition_subalgoE1EsNS0_10empty_typeEbEEZZNS1_14partition_implILS5_1ELb0ES3_jN6thrust23THRUST_200600_302600_NS6detail15normal_iteratorINSA_10device_ptrIsEEEEPS6_NSA_18transform_iteratorI7is_evenIsESF_NSA_11use_defaultESK_EENS0_5tupleIJNSA_16discard_iteratorISK_EESO_EEENSM_IJSG_SG_EEES6_PlJS6_EEE10hipError_tPvRmT3_T4_T5_T6_T7_T9_mT8_P12ihipStream_tbDpT10_ENKUlT_T0_E_clISt17integral_constantIbLb1EES1B_EEDaS16_S17_EUlS16_E_NS1_11comp_targetILNS1_3genE8ELNS1_11target_archE1030ELNS1_3gpuE2ELNS1_3repE0EEENS1_30default_config_static_selectorELNS0_4arch9wavefront6targetE1EEEvT1_
	.globl	_ZN7rocprim17ROCPRIM_400000_NS6detail17trampoline_kernelINS0_14default_configENS1_25partition_config_selectorILNS1_17partition_subalgoE1EsNS0_10empty_typeEbEEZZNS1_14partition_implILS5_1ELb0ES3_jN6thrust23THRUST_200600_302600_NS6detail15normal_iteratorINSA_10device_ptrIsEEEEPS6_NSA_18transform_iteratorI7is_evenIsESF_NSA_11use_defaultESK_EENS0_5tupleIJNSA_16discard_iteratorISK_EESO_EEENSM_IJSG_SG_EEES6_PlJS6_EEE10hipError_tPvRmT3_T4_T5_T6_T7_T9_mT8_P12ihipStream_tbDpT10_ENKUlT_T0_E_clISt17integral_constantIbLb1EES1B_EEDaS16_S17_EUlS16_E_NS1_11comp_targetILNS1_3genE8ELNS1_11target_archE1030ELNS1_3gpuE2ELNS1_3repE0EEENS1_30default_config_static_selectorELNS0_4arch9wavefront6targetE1EEEvT1_
	.p2align	8
	.type	_ZN7rocprim17ROCPRIM_400000_NS6detail17trampoline_kernelINS0_14default_configENS1_25partition_config_selectorILNS1_17partition_subalgoE1EsNS0_10empty_typeEbEEZZNS1_14partition_implILS5_1ELb0ES3_jN6thrust23THRUST_200600_302600_NS6detail15normal_iteratorINSA_10device_ptrIsEEEEPS6_NSA_18transform_iteratorI7is_evenIsESF_NSA_11use_defaultESK_EENS0_5tupleIJNSA_16discard_iteratorISK_EESO_EEENSM_IJSG_SG_EEES6_PlJS6_EEE10hipError_tPvRmT3_T4_T5_T6_T7_T9_mT8_P12ihipStream_tbDpT10_ENKUlT_T0_E_clISt17integral_constantIbLb1EES1B_EEDaS16_S17_EUlS16_E_NS1_11comp_targetILNS1_3genE8ELNS1_11target_archE1030ELNS1_3gpuE2ELNS1_3repE0EEENS1_30default_config_static_selectorELNS0_4arch9wavefront6targetE1EEEvT1_,@function
_ZN7rocprim17ROCPRIM_400000_NS6detail17trampoline_kernelINS0_14default_configENS1_25partition_config_selectorILNS1_17partition_subalgoE1EsNS0_10empty_typeEbEEZZNS1_14partition_implILS5_1ELb0ES3_jN6thrust23THRUST_200600_302600_NS6detail15normal_iteratorINSA_10device_ptrIsEEEEPS6_NSA_18transform_iteratorI7is_evenIsESF_NSA_11use_defaultESK_EENS0_5tupleIJNSA_16discard_iteratorISK_EESO_EEENSM_IJSG_SG_EEES6_PlJS6_EEE10hipError_tPvRmT3_T4_T5_T6_T7_T9_mT8_P12ihipStream_tbDpT10_ENKUlT_T0_E_clISt17integral_constantIbLb1EES1B_EEDaS16_S17_EUlS16_E_NS1_11comp_targetILNS1_3genE8ELNS1_11target_archE1030ELNS1_3gpuE2ELNS1_3repE0EEENS1_30default_config_static_selectorELNS0_4arch9wavefront6targetE1EEEvT1_: ; @_ZN7rocprim17ROCPRIM_400000_NS6detail17trampoline_kernelINS0_14default_configENS1_25partition_config_selectorILNS1_17partition_subalgoE1EsNS0_10empty_typeEbEEZZNS1_14partition_implILS5_1ELb0ES3_jN6thrust23THRUST_200600_302600_NS6detail15normal_iteratorINSA_10device_ptrIsEEEEPS6_NSA_18transform_iteratorI7is_evenIsESF_NSA_11use_defaultESK_EENS0_5tupleIJNSA_16discard_iteratorISK_EESO_EEENSM_IJSG_SG_EEES6_PlJS6_EEE10hipError_tPvRmT3_T4_T5_T6_T7_T9_mT8_P12ihipStream_tbDpT10_ENKUlT_T0_E_clISt17integral_constantIbLb1EES1B_EEDaS16_S17_EUlS16_E_NS1_11comp_targetILNS1_3genE8ELNS1_11target_archE1030ELNS1_3gpuE2ELNS1_3repE0EEENS1_30default_config_static_selectorELNS0_4arch9wavefront6targetE1EEEvT1_
; %bb.0:
	.section	.rodata,"a",@progbits
	.p2align	6, 0x0
	.amdhsa_kernel _ZN7rocprim17ROCPRIM_400000_NS6detail17trampoline_kernelINS0_14default_configENS1_25partition_config_selectorILNS1_17partition_subalgoE1EsNS0_10empty_typeEbEEZZNS1_14partition_implILS5_1ELb0ES3_jN6thrust23THRUST_200600_302600_NS6detail15normal_iteratorINSA_10device_ptrIsEEEEPS6_NSA_18transform_iteratorI7is_evenIsESF_NSA_11use_defaultESK_EENS0_5tupleIJNSA_16discard_iteratorISK_EESO_EEENSM_IJSG_SG_EEES6_PlJS6_EEE10hipError_tPvRmT3_T4_T5_T6_T7_T9_mT8_P12ihipStream_tbDpT10_ENKUlT_T0_E_clISt17integral_constantIbLb1EES1B_EEDaS16_S17_EUlS16_E_NS1_11comp_targetILNS1_3genE8ELNS1_11target_archE1030ELNS1_3gpuE2ELNS1_3repE0EEENS1_30default_config_static_selectorELNS0_4arch9wavefront6targetE1EEEvT1_
		.amdhsa_group_segment_fixed_size 0
		.amdhsa_private_segment_fixed_size 0
		.amdhsa_kernarg_size 160
		.amdhsa_user_sgpr_count 2
		.amdhsa_user_sgpr_dispatch_ptr 0
		.amdhsa_user_sgpr_queue_ptr 0
		.amdhsa_user_sgpr_kernarg_segment_ptr 1
		.amdhsa_user_sgpr_dispatch_id 0
		.amdhsa_user_sgpr_kernarg_preload_length 0
		.amdhsa_user_sgpr_kernarg_preload_offset 0
		.amdhsa_user_sgpr_private_segment_size 0
		.amdhsa_uses_dynamic_stack 0
		.amdhsa_enable_private_segment 0
		.amdhsa_system_sgpr_workgroup_id_x 1
		.amdhsa_system_sgpr_workgroup_id_y 0
		.amdhsa_system_sgpr_workgroup_id_z 0
		.amdhsa_system_sgpr_workgroup_info 0
		.amdhsa_system_vgpr_workitem_id 0
		.amdhsa_next_free_vgpr 1
		.amdhsa_next_free_sgpr 0
		.amdhsa_accum_offset 4
		.amdhsa_reserve_vcc 0
		.amdhsa_float_round_mode_32 0
		.amdhsa_float_round_mode_16_64 0
		.amdhsa_float_denorm_mode_32 3
		.amdhsa_float_denorm_mode_16_64 3
		.amdhsa_dx10_clamp 1
		.amdhsa_ieee_mode 1
		.amdhsa_fp16_overflow 0
		.amdhsa_tg_split 0
		.amdhsa_exception_fp_ieee_invalid_op 0
		.amdhsa_exception_fp_denorm_src 0
		.amdhsa_exception_fp_ieee_div_zero 0
		.amdhsa_exception_fp_ieee_overflow 0
		.amdhsa_exception_fp_ieee_underflow 0
		.amdhsa_exception_fp_ieee_inexact 0
		.amdhsa_exception_int_div_zero 0
	.end_amdhsa_kernel
	.section	.text._ZN7rocprim17ROCPRIM_400000_NS6detail17trampoline_kernelINS0_14default_configENS1_25partition_config_selectorILNS1_17partition_subalgoE1EsNS0_10empty_typeEbEEZZNS1_14partition_implILS5_1ELb0ES3_jN6thrust23THRUST_200600_302600_NS6detail15normal_iteratorINSA_10device_ptrIsEEEEPS6_NSA_18transform_iteratorI7is_evenIsESF_NSA_11use_defaultESK_EENS0_5tupleIJNSA_16discard_iteratorISK_EESO_EEENSM_IJSG_SG_EEES6_PlJS6_EEE10hipError_tPvRmT3_T4_T5_T6_T7_T9_mT8_P12ihipStream_tbDpT10_ENKUlT_T0_E_clISt17integral_constantIbLb1EES1B_EEDaS16_S17_EUlS16_E_NS1_11comp_targetILNS1_3genE8ELNS1_11target_archE1030ELNS1_3gpuE2ELNS1_3repE0EEENS1_30default_config_static_selectorELNS0_4arch9wavefront6targetE1EEEvT1_,"axG",@progbits,_ZN7rocprim17ROCPRIM_400000_NS6detail17trampoline_kernelINS0_14default_configENS1_25partition_config_selectorILNS1_17partition_subalgoE1EsNS0_10empty_typeEbEEZZNS1_14partition_implILS5_1ELb0ES3_jN6thrust23THRUST_200600_302600_NS6detail15normal_iteratorINSA_10device_ptrIsEEEEPS6_NSA_18transform_iteratorI7is_evenIsESF_NSA_11use_defaultESK_EENS0_5tupleIJNSA_16discard_iteratorISK_EESO_EEENSM_IJSG_SG_EEES6_PlJS6_EEE10hipError_tPvRmT3_T4_T5_T6_T7_T9_mT8_P12ihipStream_tbDpT10_ENKUlT_T0_E_clISt17integral_constantIbLb1EES1B_EEDaS16_S17_EUlS16_E_NS1_11comp_targetILNS1_3genE8ELNS1_11target_archE1030ELNS1_3gpuE2ELNS1_3repE0EEENS1_30default_config_static_selectorELNS0_4arch9wavefront6targetE1EEEvT1_,comdat
.Lfunc_end3370:
	.size	_ZN7rocprim17ROCPRIM_400000_NS6detail17trampoline_kernelINS0_14default_configENS1_25partition_config_selectorILNS1_17partition_subalgoE1EsNS0_10empty_typeEbEEZZNS1_14partition_implILS5_1ELb0ES3_jN6thrust23THRUST_200600_302600_NS6detail15normal_iteratorINSA_10device_ptrIsEEEEPS6_NSA_18transform_iteratorI7is_evenIsESF_NSA_11use_defaultESK_EENS0_5tupleIJNSA_16discard_iteratorISK_EESO_EEENSM_IJSG_SG_EEES6_PlJS6_EEE10hipError_tPvRmT3_T4_T5_T6_T7_T9_mT8_P12ihipStream_tbDpT10_ENKUlT_T0_E_clISt17integral_constantIbLb1EES1B_EEDaS16_S17_EUlS16_E_NS1_11comp_targetILNS1_3genE8ELNS1_11target_archE1030ELNS1_3gpuE2ELNS1_3repE0EEENS1_30default_config_static_selectorELNS0_4arch9wavefront6targetE1EEEvT1_, .Lfunc_end3370-_ZN7rocprim17ROCPRIM_400000_NS6detail17trampoline_kernelINS0_14default_configENS1_25partition_config_selectorILNS1_17partition_subalgoE1EsNS0_10empty_typeEbEEZZNS1_14partition_implILS5_1ELb0ES3_jN6thrust23THRUST_200600_302600_NS6detail15normal_iteratorINSA_10device_ptrIsEEEEPS6_NSA_18transform_iteratorI7is_evenIsESF_NSA_11use_defaultESK_EENS0_5tupleIJNSA_16discard_iteratorISK_EESO_EEENSM_IJSG_SG_EEES6_PlJS6_EEE10hipError_tPvRmT3_T4_T5_T6_T7_T9_mT8_P12ihipStream_tbDpT10_ENKUlT_T0_E_clISt17integral_constantIbLb1EES1B_EEDaS16_S17_EUlS16_E_NS1_11comp_targetILNS1_3genE8ELNS1_11target_archE1030ELNS1_3gpuE2ELNS1_3repE0EEENS1_30default_config_static_selectorELNS0_4arch9wavefront6targetE1EEEvT1_
                                        ; -- End function
	.section	.AMDGPU.csdata,"",@progbits
; Kernel info:
; codeLenInByte = 0
; NumSgprs: 6
; NumVgprs: 0
; NumAgprs: 0
; TotalNumVgprs: 0
; ScratchSize: 0
; MemoryBound: 0
; FloatMode: 240
; IeeeMode: 1
; LDSByteSize: 0 bytes/workgroup (compile time only)
; SGPRBlocks: 0
; VGPRBlocks: 0
; NumSGPRsForWavesPerEU: 6
; NumVGPRsForWavesPerEU: 1
; AccumOffset: 4
; Occupancy: 8
; WaveLimiterHint : 0
; COMPUTE_PGM_RSRC2:SCRATCH_EN: 0
; COMPUTE_PGM_RSRC2:USER_SGPR: 2
; COMPUTE_PGM_RSRC2:TRAP_HANDLER: 0
; COMPUTE_PGM_RSRC2:TGID_X_EN: 1
; COMPUTE_PGM_RSRC2:TGID_Y_EN: 0
; COMPUTE_PGM_RSRC2:TGID_Z_EN: 0
; COMPUTE_PGM_RSRC2:TIDIG_COMP_CNT: 0
; COMPUTE_PGM_RSRC3_GFX90A:ACCUM_OFFSET: 0
; COMPUTE_PGM_RSRC3_GFX90A:TG_SPLIT: 0
	.section	.text._ZN7rocprim17ROCPRIM_400000_NS6detail17trampoline_kernelINS0_14default_configENS1_25partition_config_selectorILNS1_17partition_subalgoE1EsNS0_10empty_typeEbEEZZNS1_14partition_implILS5_1ELb0ES3_jN6thrust23THRUST_200600_302600_NS6detail15normal_iteratorINSA_10device_ptrIsEEEEPS6_NSA_18transform_iteratorI7is_evenIsESF_NSA_11use_defaultESK_EENS0_5tupleIJNSA_16discard_iteratorISK_EESO_EEENSM_IJSG_SG_EEES6_PlJS6_EEE10hipError_tPvRmT3_T4_T5_T6_T7_T9_mT8_P12ihipStream_tbDpT10_ENKUlT_T0_E_clISt17integral_constantIbLb1EES1A_IbLb0EEEEDaS16_S17_EUlS16_E_NS1_11comp_targetILNS1_3genE0ELNS1_11target_archE4294967295ELNS1_3gpuE0ELNS1_3repE0EEENS1_30default_config_static_selectorELNS0_4arch9wavefront6targetE1EEEvT1_,"axG",@progbits,_ZN7rocprim17ROCPRIM_400000_NS6detail17trampoline_kernelINS0_14default_configENS1_25partition_config_selectorILNS1_17partition_subalgoE1EsNS0_10empty_typeEbEEZZNS1_14partition_implILS5_1ELb0ES3_jN6thrust23THRUST_200600_302600_NS6detail15normal_iteratorINSA_10device_ptrIsEEEEPS6_NSA_18transform_iteratorI7is_evenIsESF_NSA_11use_defaultESK_EENS0_5tupleIJNSA_16discard_iteratorISK_EESO_EEENSM_IJSG_SG_EEES6_PlJS6_EEE10hipError_tPvRmT3_T4_T5_T6_T7_T9_mT8_P12ihipStream_tbDpT10_ENKUlT_T0_E_clISt17integral_constantIbLb1EES1A_IbLb0EEEEDaS16_S17_EUlS16_E_NS1_11comp_targetILNS1_3genE0ELNS1_11target_archE4294967295ELNS1_3gpuE0ELNS1_3repE0EEENS1_30default_config_static_selectorELNS0_4arch9wavefront6targetE1EEEvT1_,comdat
	.protected	_ZN7rocprim17ROCPRIM_400000_NS6detail17trampoline_kernelINS0_14default_configENS1_25partition_config_selectorILNS1_17partition_subalgoE1EsNS0_10empty_typeEbEEZZNS1_14partition_implILS5_1ELb0ES3_jN6thrust23THRUST_200600_302600_NS6detail15normal_iteratorINSA_10device_ptrIsEEEEPS6_NSA_18transform_iteratorI7is_evenIsESF_NSA_11use_defaultESK_EENS0_5tupleIJNSA_16discard_iteratorISK_EESO_EEENSM_IJSG_SG_EEES6_PlJS6_EEE10hipError_tPvRmT3_T4_T5_T6_T7_T9_mT8_P12ihipStream_tbDpT10_ENKUlT_T0_E_clISt17integral_constantIbLb1EES1A_IbLb0EEEEDaS16_S17_EUlS16_E_NS1_11comp_targetILNS1_3genE0ELNS1_11target_archE4294967295ELNS1_3gpuE0ELNS1_3repE0EEENS1_30default_config_static_selectorELNS0_4arch9wavefront6targetE1EEEvT1_ ; -- Begin function _ZN7rocprim17ROCPRIM_400000_NS6detail17trampoline_kernelINS0_14default_configENS1_25partition_config_selectorILNS1_17partition_subalgoE1EsNS0_10empty_typeEbEEZZNS1_14partition_implILS5_1ELb0ES3_jN6thrust23THRUST_200600_302600_NS6detail15normal_iteratorINSA_10device_ptrIsEEEEPS6_NSA_18transform_iteratorI7is_evenIsESF_NSA_11use_defaultESK_EENS0_5tupleIJNSA_16discard_iteratorISK_EESO_EEENSM_IJSG_SG_EEES6_PlJS6_EEE10hipError_tPvRmT3_T4_T5_T6_T7_T9_mT8_P12ihipStream_tbDpT10_ENKUlT_T0_E_clISt17integral_constantIbLb1EES1A_IbLb0EEEEDaS16_S17_EUlS16_E_NS1_11comp_targetILNS1_3genE0ELNS1_11target_archE4294967295ELNS1_3gpuE0ELNS1_3repE0EEENS1_30default_config_static_selectorELNS0_4arch9wavefront6targetE1EEEvT1_
	.globl	_ZN7rocprim17ROCPRIM_400000_NS6detail17trampoline_kernelINS0_14default_configENS1_25partition_config_selectorILNS1_17partition_subalgoE1EsNS0_10empty_typeEbEEZZNS1_14partition_implILS5_1ELb0ES3_jN6thrust23THRUST_200600_302600_NS6detail15normal_iteratorINSA_10device_ptrIsEEEEPS6_NSA_18transform_iteratorI7is_evenIsESF_NSA_11use_defaultESK_EENS0_5tupleIJNSA_16discard_iteratorISK_EESO_EEENSM_IJSG_SG_EEES6_PlJS6_EEE10hipError_tPvRmT3_T4_T5_T6_T7_T9_mT8_P12ihipStream_tbDpT10_ENKUlT_T0_E_clISt17integral_constantIbLb1EES1A_IbLb0EEEEDaS16_S17_EUlS16_E_NS1_11comp_targetILNS1_3genE0ELNS1_11target_archE4294967295ELNS1_3gpuE0ELNS1_3repE0EEENS1_30default_config_static_selectorELNS0_4arch9wavefront6targetE1EEEvT1_
	.p2align	8
	.type	_ZN7rocprim17ROCPRIM_400000_NS6detail17trampoline_kernelINS0_14default_configENS1_25partition_config_selectorILNS1_17partition_subalgoE1EsNS0_10empty_typeEbEEZZNS1_14partition_implILS5_1ELb0ES3_jN6thrust23THRUST_200600_302600_NS6detail15normal_iteratorINSA_10device_ptrIsEEEEPS6_NSA_18transform_iteratorI7is_evenIsESF_NSA_11use_defaultESK_EENS0_5tupleIJNSA_16discard_iteratorISK_EESO_EEENSM_IJSG_SG_EEES6_PlJS6_EEE10hipError_tPvRmT3_T4_T5_T6_T7_T9_mT8_P12ihipStream_tbDpT10_ENKUlT_T0_E_clISt17integral_constantIbLb1EES1A_IbLb0EEEEDaS16_S17_EUlS16_E_NS1_11comp_targetILNS1_3genE0ELNS1_11target_archE4294967295ELNS1_3gpuE0ELNS1_3repE0EEENS1_30default_config_static_selectorELNS0_4arch9wavefront6targetE1EEEvT1_,@function
_ZN7rocprim17ROCPRIM_400000_NS6detail17trampoline_kernelINS0_14default_configENS1_25partition_config_selectorILNS1_17partition_subalgoE1EsNS0_10empty_typeEbEEZZNS1_14partition_implILS5_1ELb0ES3_jN6thrust23THRUST_200600_302600_NS6detail15normal_iteratorINSA_10device_ptrIsEEEEPS6_NSA_18transform_iteratorI7is_evenIsESF_NSA_11use_defaultESK_EENS0_5tupleIJNSA_16discard_iteratorISK_EESO_EEENSM_IJSG_SG_EEES6_PlJS6_EEE10hipError_tPvRmT3_T4_T5_T6_T7_T9_mT8_P12ihipStream_tbDpT10_ENKUlT_T0_E_clISt17integral_constantIbLb1EES1A_IbLb0EEEEDaS16_S17_EUlS16_E_NS1_11comp_targetILNS1_3genE0ELNS1_11target_archE4294967295ELNS1_3gpuE0ELNS1_3repE0EEENS1_30default_config_static_selectorELNS0_4arch9wavefront6targetE1EEEvT1_: ; @_ZN7rocprim17ROCPRIM_400000_NS6detail17trampoline_kernelINS0_14default_configENS1_25partition_config_selectorILNS1_17partition_subalgoE1EsNS0_10empty_typeEbEEZZNS1_14partition_implILS5_1ELb0ES3_jN6thrust23THRUST_200600_302600_NS6detail15normal_iteratorINSA_10device_ptrIsEEEEPS6_NSA_18transform_iteratorI7is_evenIsESF_NSA_11use_defaultESK_EENS0_5tupleIJNSA_16discard_iteratorISK_EESO_EEENSM_IJSG_SG_EEES6_PlJS6_EEE10hipError_tPvRmT3_T4_T5_T6_T7_T9_mT8_P12ihipStream_tbDpT10_ENKUlT_T0_E_clISt17integral_constantIbLb1EES1A_IbLb0EEEEDaS16_S17_EUlS16_E_NS1_11comp_targetILNS1_3genE0ELNS1_11target_archE4294967295ELNS1_3gpuE0ELNS1_3repE0EEENS1_30default_config_static_selectorELNS0_4arch9wavefront6targetE1EEEvT1_
; %bb.0:
	.section	.rodata,"a",@progbits
	.p2align	6, 0x0
	.amdhsa_kernel _ZN7rocprim17ROCPRIM_400000_NS6detail17trampoline_kernelINS0_14default_configENS1_25partition_config_selectorILNS1_17partition_subalgoE1EsNS0_10empty_typeEbEEZZNS1_14partition_implILS5_1ELb0ES3_jN6thrust23THRUST_200600_302600_NS6detail15normal_iteratorINSA_10device_ptrIsEEEEPS6_NSA_18transform_iteratorI7is_evenIsESF_NSA_11use_defaultESK_EENS0_5tupleIJNSA_16discard_iteratorISK_EESO_EEENSM_IJSG_SG_EEES6_PlJS6_EEE10hipError_tPvRmT3_T4_T5_T6_T7_T9_mT8_P12ihipStream_tbDpT10_ENKUlT_T0_E_clISt17integral_constantIbLb1EES1A_IbLb0EEEEDaS16_S17_EUlS16_E_NS1_11comp_targetILNS1_3genE0ELNS1_11target_archE4294967295ELNS1_3gpuE0ELNS1_3repE0EEENS1_30default_config_static_selectorELNS0_4arch9wavefront6targetE1EEEvT1_
		.amdhsa_group_segment_fixed_size 0
		.amdhsa_private_segment_fixed_size 0
		.amdhsa_kernarg_size 144
		.amdhsa_user_sgpr_count 2
		.amdhsa_user_sgpr_dispatch_ptr 0
		.amdhsa_user_sgpr_queue_ptr 0
		.amdhsa_user_sgpr_kernarg_segment_ptr 1
		.amdhsa_user_sgpr_dispatch_id 0
		.amdhsa_user_sgpr_kernarg_preload_length 0
		.amdhsa_user_sgpr_kernarg_preload_offset 0
		.amdhsa_user_sgpr_private_segment_size 0
		.amdhsa_uses_dynamic_stack 0
		.amdhsa_enable_private_segment 0
		.amdhsa_system_sgpr_workgroup_id_x 1
		.amdhsa_system_sgpr_workgroup_id_y 0
		.amdhsa_system_sgpr_workgroup_id_z 0
		.amdhsa_system_sgpr_workgroup_info 0
		.amdhsa_system_vgpr_workitem_id 0
		.amdhsa_next_free_vgpr 1
		.amdhsa_next_free_sgpr 0
		.amdhsa_accum_offset 4
		.amdhsa_reserve_vcc 0
		.amdhsa_float_round_mode_32 0
		.amdhsa_float_round_mode_16_64 0
		.amdhsa_float_denorm_mode_32 3
		.amdhsa_float_denorm_mode_16_64 3
		.amdhsa_dx10_clamp 1
		.amdhsa_ieee_mode 1
		.amdhsa_fp16_overflow 0
		.amdhsa_tg_split 0
		.amdhsa_exception_fp_ieee_invalid_op 0
		.amdhsa_exception_fp_denorm_src 0
		.amdhsa_exception_fp_ieee_div_zero 0
		.amdhsa_exception_fp_ieee_overflow 0
		.amdhsa_exception_fp_ieee_underflow 0
		.amdhsa_exception_fp_ieee_inexact 0
		.amdhsa_exception_int_div_zero 0
	.end_amdhsa_kernel
	.section	.text._ZN7rocprim17ROCPRIM_400000_NS6detail17trampoline_kernelINS0_14default_configENS1_25partition_config_selectorILNS1_17partition_subalgoE1EsNS0_10empty_typeEbEEZZNS1_14partition_implILS5_1ELb0ES3_jN6thrust23THRUST_200600_302600_NS6detail15normal_iteratorINSA_10device_ptrIsEEEEPS6_NSA_18transform_iteratorI7is_evenIsESF_NSA_11use_defaultESK_EENS0_5tupleIJNSA_16discard_iteratorISK_EESO_EEENSM_IJSG_SG_EEES6_PlJS6_EEE10hipError_tPvRmT3_T4_T5_T6_T7_T9_mT8_P12ihipStream_tbDpT10_ENKUlT_T0_E_clISt17integral_constantIbLb1EES1A_IbLb0EEEEDaS16_S17_EUlS16_E_NS1_11comp_targetILNS1_3genE0ELNS1_11target_archE4294967295ELNS1_3gpuE0ELNS1_3repE0EEENS1_30default_config_static_selectorELNS0_4arch9wavefront6targetE1EEEvT1_,"axG",@progbits,_ZN7rocprim17ROCPRIM_400000_NS6detail17trampoline_kernelINS0_14default_configENS1_25partition_config_selectorILNS1_17partition_subalgoE1EsNS0_10empty_typeEbEEZZNS1_14partition_implILS5_1ELb0ES3_jN6thrust23THRUST_200600_302600_NS6detail15normal_iteratorINSA_10device_ptrIsEEEEPS6_NSA_18transform_iteratorI7is_evenIsESF_NSA_11use_defaultESK_EENS0_5tupleIJNSA_16discard_iteratorISK_EESO_EEENSM_IJSG_SG_EEES6_PlJS6_EEE10hipError_tPvRmT3_T4_T5_T6_T7_T9_mT8_P12ihipStream_tbDpT10_ENKUlT_T0_E_clISt17integral_constantIbLb1EES1A_IbLb0EEEEDaS16_S17_EUlS16_E_NS1_11comp_targetILNS1_3genE0ELNS1_11target_archE4294967295ELNS1_3gpuE0ELNS1_3repE0EEENS1_30default_config_static_selectorELNS0_4arch9wavefront6targetE1EEEvT1_,comdat
.Lfunc_end3371:
	.size	_ZN7rocprim17ROCPRIM_400000_NS6detail17trampoline_kernelINS0_14default_configENS1_25partition_config_selectorILNS1_17partition_subalgoE1EsNS0_10empty_typeEbEEZZNS1_14partition_implILS5_1ELb0ES3_jN6thrust23THRUST_200600_302600_NS6detail15normal_iteratorINSA_10device_ptrIsEEEEPS6_NSA_18transform_iteratorI7is_evenIsESF_NSA_11use_defaultESK_EENS0_5tupleIJNSA_16discard_iteratorISK_EESO_EEENSM_IJSG_SG_EEES6_PlJS6_EEE10hipError_tPvRmT3_T4_T5_T6_T7_T9_mT8_P12ihipStream_tbDpT10_ENKUlT_T0_E_clISt17integral_constantIbLb1EES1A_IbLb0EEEEDaS16_S17_EUlS16_E_NS1_11comp_targetILNS1_3genE0ELNS1_11target_archE4294967295ELNS1_3gpuE0ELNS1_3repE0EEENS1_30default_config_static_selectorELNS0_4arch9wavefront6targetE1EEEvT1_, .Lfunc_end3371-_ZN7rocprim17ROCPRIM_400000_NS6detail17trampoline_kernelINS0_14default_configENS1_25partition_config_selectorILNS1_17partition_subalgoE1EsNS0_10empty_typeEbEEZZNS1_14partition_implILS5_1ELb0ES3_jN6thrust23THRUST_200600_302600_NS6detail15normal_iteratorINSA_10device_ptrIsEEEEPS6_NSA_18transform_iteratorI7is_evenIsESF_NSA_11use_defaultESK_EENS0_5tupleIJNSA_16discard_iteratorISK_EESO_EEENSM_IJSG_SG_EEES6_PlJS6_EEE10hipError_tPvRmT3_T4_T5_T6_T7_T9_mT8_P12ihipStream_tbDpT10_ENKUlT_T0_E_clISt17integral_constantIbLb1EES1A_IbLb0EEEEDaS16_S17_EUlS16_E_NS1_11comp_targetILNS1_3genE0ELNS1_11target_archE4294967295ELNS1_3gpuE0ELNS1_3repE0EEENS1_30default_config_static_selectorELNS0_4arch9wavefront6targetE1EEEvT1_
                                        ; -- End function
	.section	.AMDGPU.csdata,"",@progbits
; Kernel info:
; codeLenInByte = 0
; NumSgprs: 6
; NumVgprs: 0
; NumAgprs: 0
; TotalNumVgprs: 0
; ScratchSize: 0
; MemoryBound: 0
; FloatMode: 240
; IeeeMode: 1
; LDSByteSize: 0 bytes/workgroup (compile time only)
; SGPRBlocks: 0
; VGPRBlocks: 0
; NumSGPRsForWavesPerEU: 6
; NumVGPRsForWavesPerEU: 1
; AccumOffset: 4
; Occupancy: 8
; WaveLimiterHint : 0
; COMPUTE_PGM_RSRC2:SCRATCH_EN: 0
; COMPUTE_PGM_RSRC2:USER_SGPR: 2
; COMPUTE_PGM_RSRC2:TRAP_HANDLER: 0
; COMPUTE_PGM_RSRC2:TGID_X_EN: 1
; COMPUTE_PGM_RSRC2:TGID_Y_EN: 0
; COMPUTE_PGM_RSRC2:TGID_Z_EN: 0
; COMPUTE_PGM_RSRC2:TIDIG_COMP_CNT: 0
; COMPUTE_PGM_RSRC3_GFX90A:ACCUM_OFFSET: 0
; COMPUTE_PGM_RSRC3_GFX90A:TG_SPLIT: 0
	.section	.text._ZN7rocprim17ROCPRIM_400000_NS6detail17trampoline_kernelINS0_14default_configENS1_25partition_config_selectorILNS1_17partition_subalgoE1EsNS0_10empty_typeEbEEZZNS1_14partition_implILS5_1ELb0ES3_jN6thrust23THRUST_200600_302600_NS6detail15normal_iteratorINSA_10device_ptrIsEEEEPS6_NSA_18transform_iteratorI7is_evenIsESF_NSA_11use_defaultESK_EENS0_5tupleIJNSA_16discard_iteratorISK_EESO_EEENSM_IJSG_SG_EEES6_PlJS6_EEE10hipError_tPvRmT3_T4_T5_T6_T7_T9_mT8_P12ihipStream_tbDpT10_ENKUlT_T0_E_clISt17integral_constantIbLb1EES1A_IbLb0EEEEDaS16_S17_EUlS16_E_NS1_11comp_targetILNS1_3genE5ELNS1_11target_archE942ELNS1_3gpuE9ELNS1_3repE0EEENS1_30default_config_static_selectorELNS0_4arch9wavefront6targetE1EEEvT1_,"axG",@progbits,_ZN7rocprim17ROCPRIM_400000_NS6detail17trampoline_kernelINS0_14default_configENS1_25partition_config_selectorILNS1_17partition_subalgoE1EsNS0_10empty_typeEbEEZZNS1_14partition_implILS5_1ELb0ES3_jN6thrust23THRUST_200600_302600_NS6detail15normal_iteratorINSA_10device_ptrIsEEEEPS6_NSA_18transform_iteratorI7is_evenIsESF_NSA_11use_defaultESK_EENS0_5tupleIJNSA_16discard_iteratorISK_EESO_EEENSM_IJSG_SG_EEES6_PlJS6_EEE10hipError_tPvRmT3_T4_T5_T6_T7_T9_mT8_P12ihipStream_tbDpT10_ENKUlT_T0_E_clISt17integral_constantIbLb1EES1A_IbLb0EEEEDaS16_S17_EUlS16_E_NS1_11comp_targetILNS1_3genE5ELNS1_11target_archE942ELNS1_3gpuE9ELNS1_3repE0EEENS1_30default_config_static_selectorELNS0_4arch9wavefront6targetE1EEEvT1_,comdat
	.protected	_ZN7rocprim17ROCPRIM_400000_NS6detail17trampoline_kernelINS0_14default_configENS1_25partition_config_selectorILNS1_17partition_subalgoE1EsNS0_10empty_typeEbEEZZNS1_14partition_implILS5_1ELb0ES3_jN6thrust23THRUST_200600_302600_NS6detail15normal_iteratorINSA_10device_ptrIsEEEEPS6_NSA_18transform_iteratorI7is_evenIsESF_NSA_11use_defaultESK_EENS0_5tupleIJNSA_16discard_iteratorISK_EESO_EEENSM_IJSG_SG_EEES6_PlJS6_EEE10hipError_tPvRmT3_T4_T5_T6_T7_T9_mT8_P12ihipStream_tbDpT10_ENKUlT_T0_E_clISt17integral_constantIbLb1EES1A_IbLb0EEEEDaS16_S17_EUlS16_E_NS1_11comp_targetILNS1_3genE5ELNS1_11target_archE942ELNS1_3gpuE9ELNS1_3repE0EEENS1_30default_config_static_selectorELNS0_4arch9wavefront6targetE1EEEvT1_ ; -- Begin function _ZN7rocprim17ROCPRIM_400000_NS6detail17trampoline_kernelINS0_14default_configENS1_25partition_config_selectorILNS1_17partition_subalgoE1EsNS0_10empty_typeEbEEZZNS1_14partition_implILS5_1ELb0ES3_jN6thrust23THRUST_200600_302600_NS6detail15normal_iteratorINSA_10device_ptrIsEEEEPS6_NSA_18transform_iteratorI7is_evenIsESF_NSA_11use_defaultESK_EENS0_5tupleIJNSA_16discard_iteratorISK_EESO_EEENSM_IJSG_SG_EEES6_PlJS6_EEE10hipError_tPvRmT3_T4_T5_T6_T7_T9_mT8_P12ihipStream_tbDpT10_ENKUlT_T0_E_clISt17integral_constantIbLb1EES1A_IbLb0EEEEDaS16_S17_EUlS16_E_NS1_11comp_targetILNS1_3genE5ELNS1_11target_archE942ELNS1_3gpuE9ELNS1_3repE0EEENS1_30default_config_static_selectorELNS0_4arch9wavefront6targetE1EEEvT1_
	.globl	_ZN7rocprim17ROCPRIM_400000_NS6detail17trampoline_kernelINS0_14default_configENS1_25partition_config_selectorILNS1_17partition_subalgoE1EsNS0_10empty_typeEbEEZZNS1_14partition_implILS5_1ELb0ES3_jN6thrust23THRUST_200600_302600_NS6detail15normal_iteratorINSA_10device_ptrIsEEEEPS6_NSA_18transform_iteratorI7is_evenIsESF_NSA_11use_defaultESK_EENS0_5tupleIJNSA_16discard_iteratorISK_EESO_EEENSM_IJSG_SG_EEES6_PlJS6_EEE10hipError_tPvRmT3_T4_T5_T6_T7_T9_mT8_P12ihipStream_tbDpT10_ENKUlT_T0_E_clISt17integral_constantIbLb1EES1A_IbLb0EEEEDaS16_S17_EUlS16_E_NS1_11comp_targetILNS1_3genE5ELNS1_11target_archE942ELNS1_3gpuE9ELNS1_3repE0EEENS1_30default_config_static_selectorELNS0_4arch9wavefront6targetE1EEEvT1_
	.p2align	8
	.type	_ZN7rocprim17ROCPRIM_400000_NS6detail17trampoline_kernelINS0_14default_configENS1_25partition_config_selectorILNS1_17partition_subalgoE1EsNS0_10empty_typeEbEEZZNS1_14partition_implILS5_1ELb0ES3_jN6thrust23THRUST_200600_302600_NS6detail15normal_iteratorINSA_10device_ptrIsEEEEPS6_NSA_18transform_iteratorI7is_evenIsESF_NSA_11use_defaultESK_EENS0_5tupleIJNSA_16discard_iteratorISK_EESO_EEENSM_IJSG_SG_EEES6_PlJS6_EEE10hipError_tPvRmT3_T4_T5_T6_T7_T9_mT8_P12ihipStream_tbDpT10_ENKUlT_T0_E_clISt17integral_constantIbLb1EES1A_IbLb0EEEEDaS16_S17_EUlS16_E_NS1_11comp_targetILNS1_3genE5ELNS1_11target_archE942ELNS1_3gpuE9ELNS1_3repE0EEENS1_30default_config_static_selectorELNS0_4arch9wavefront6targetE1EEEvT1_,@function
_ZN7rocprim17ROCPRIM_400000_NS6detail17trampoline_kernelINS0_14default_configENS1_25partition_config_selectorILNS1_17partition_subalgoE1EsNS0_10empty_typeEbEEZZNS1_14partition_implILS5_1ELb0ES3_jN6thrust23THRUST_200600_302600_NS6detail15normal_iteratorINSA_10device_ptrIsEEEEPS6_NSA_18transform_iteratorI7is_evenIsESF_NSA_11use_defaultESK_EENS0_5tupleIJNSA_16discard_iteratorISK_EESO_EEENSM_IJSG_SG_EEES6_PlJS6_EEE10hipError_tPvRmT3_T4_T5_T6_T7_T9_mT8_P12ihipStream_tbDpT10_ENKUlT_T0_E_clISt17integral_constantIbLb1EES1A_IbLb0EEEEDaS16_S17_EUlS16_E_NS1_11comp_targetILNS1_3genE5ELNS1_11target_archE942ELNS1_3gpuE9ELNS1_3repE0EEENS1_30default_config_static_selectorELNS0_4arch9wavefront6targetE1EEEvT1_: ; @_ZN7rocprim17ROCPRIM_400000_NS6detail17trampoline_kernelINS0_14default_configENS1_25partition_config_selectorILNS1_17partition_subalgoE1EsNS0_10empty_typeEbEEZZNS1_14partition_implILS5_1ELb0ES3_jN6thrust23THRUST_200600_302600_NS6detail15normal_iteratorINSA_10device_ptrIsEEEEPS6_NSA_18transform_iteratorI7is_evenIsESF_NSA_11use_defaultESK_EENS0_5tupleIJNSA_16discard_iteratorISK_EESO_EEENSM_IJSG_SG_EEES6_PlJS6_EEE10hipError_tPvRmT3_T4_T5_T6_T7_T9_mT8_P12ihipStream_tbDpT10_ENKUlT_T0_E_clISt17integral_constantIbLb1EES1A_IbLb0EEEEDaS16_S17_EUlS16_E_NS1_11comp_targetILNS1_3genE5ELNS1_11target_archE942ELNS1_3gpuE9ELNS1_3repE0EEENS1_30default_config_static_selectorELNS0_4arch9wavefront6targetE1EEEvT1_
; %bb.0:
	s_load_dword s3, s[0:1], 0x88
	s_load_dwordx2 s[4:5], s[0:1], 0x70
	s_load_dwordx4 s[12:15], s[0:1], 0x8
	s_load_dwordx2 s[6:7], s[0:1], 0x20
	s_load_dwordx4 s[20:23], s[0:1], 0x60
	s_waitcnt lgkmcnt(0)
	v_mov_b32_e32 v3, s5
	s_lshl_b64 s[8:9], s[14:15], 1
	s_add_u32 s16, s12, s8
	s_mul_i32 s5, s3, 0x3800
	s_addc_u32 s17, s13, s9
	s_add_i32 s10, s3, -1
	s_add_i32 s3, s5, s14
	s_sub_i32 s3, s4, s3
	s_addk_i32 s3, 0x3800
	v_mov_b32_e32 v2, s4
	s_add_u32 s4, s14, s5
	s_addc_u32 s5, s15, 0
	s_cmp_eq_u32 s2, s10
	s_load_dwordx2 s[18:19], s[22:23], 0x0
	s_cselect_b64 s[22:23], -1, 0
	s_cmp_lg_u32 s2, s10
	s_mul_i32 s12, s2, 0x3800
	s_mov_b32 s13, 0
	v_cmp_lt_u64_e32 vcc, s[4:5], v[2:3]
	s_cselect_b64 s[4:5], -1, 0
	s_or_b64 s[10:11], s[4:5], vcc
	s_lshl_b64 s[12:13], s[12:13], 1
	s_add_u32 s14, s16, s12
	s_addc_u32 s15, s17, s13
	s_mov_b64 s[4:5], -1
	s_and_b64 vcc, exec, s[10:11]
	s_cbranch_vccz .LBB3372_2
; %bb.1:
	v_lshlrev_b32_e32 v2, 1, v0
	v_mov_b32_e32 v3, 0
	v_lshl_add_u64 v[4:5], s[14:15], 0, v[2:3]
	v_add_co_u32_e32 v6, vcc, 0x1000, v4
	s_mov_b64 s[4:5], 0
	s_nop 0
	v_addc_co_u32_e32 v7, vcc, 0, v5, vcc
	flat_load_ushort v1, v[4:5]
	flat_load_ushort v3, v[4:5] offset:1024
	flat_load_ushort v10, v[4:5] offset:2048
	;; [unrolled: 1-line block ×3, first 2 shown]
	flat_load_ushort v12, v[6:7]
	flat_load_ushort v13, v[6:7] offset:1024
	flat_load_ushort v14, v[6:7] offset:2048
	;; [unrolled: 1-line block ×3, first 2 shown]
	v_add_co_u32_e32 v6, vcc, 0x2000, v4
	s_nop 1
	v_addc_co_u32_e32 v7, vcc, 0, v5, vcc
	v_add_co_u32_e32 v8, vcc, 0x3000, v4
	s_nop 1
	v_addc_co_u32_e32 v9, vcc, 0, v5, vcc
	flat_load_ushort v16, v[6:7]
	flat_load_ushort v17, v[6:7] offset:1024
	flat_load_ushort v18, v[6:7] offset:2048
	;; [unrolled: 1-line block ×3, first 2 shown]
	flat_load_ushort v20, v[8:9]
	flat_load_ushort v21, v[8:9] offset:1024
	flat_load_ushort v22, v[8:9] offset:2048
	;; [unrolled: 1-line block ×3, first 2 shown]
	v_add_co_u32_e32 v6, vcc, 0x4000, v4
	s_nop 1
	v_addc_co_u32_e32 v7, vcc, 0, v5, vcc
	v_add_co_u32_e32 v8, vcc, 0x5000, v4
	s_nop 1
	v_addc_co_u32_e32 v9, vcc, 0, v5, vcc
	v_add_co_u32_e32 v4, vcc, 0x6000, v4
	flat_load_ushort v24, v[6:7]
	flat_load_ushort v25, v[6:7] offset:1024
	flat_load_ushort v26, v[6:7] offset:2048
	;; [unrolled: 1-line block ×3, first 2 shown]
	flat_load_ushort v28, v[8:9]
	flat_load_ushort v29, v[8:9] offset:1024
	flat_load_ushort v30, v[8:9] offset:2048
	;; [unrolled: 1-line block ×3, first 2 shown]
	v_addc_co_u32_e32 v5, vcc, 0, v5, vcc
	flat_load_ushort v6, v[4:5]
	flat_load_ushort v7, v[4:5] offset:1024
	flat_load_ushort v8, v[4:5] offset:2048
	;; [unrolled: 1-line block ×3, first 2 shown]
	s_waitcnt vmcnt(0) lgkmcnt(0)
	ds_write_b16 v2, v1
	ds_write_b16 v2, v3 offset:1024
	ds_write_b16 v2, v10 offset:2048
	ds_write_b16 v2, v11 offset:3072
	ds_write_b16 v2, v12 offset:4096
	ds_write_b16 v2, v13 offset:5120
	ds_write_b16 v2, v14 offset:6144
	ds_write_b16 v2, v15 offset:7168
	ds_write_b16 v2, v16 offset:8192
	ds_write_b16 v2, v17 offset:9216
	ds_write_b16 v2, v18 offset:10240
	ds_write_b16 v2, v19 offset:11264
	ds_write_b16 v2, v20 offset:12288
	ds_write_b16 v2, v21 offset:13312
	ds_write_b16 v2, v22 offset:14336
	ds_write_b16 v2, v23 offset:15360
	ds_write_b16 v2, v24 offset:16384
	ds_write_b16 v2, v25 offset:17408
	ds_write_b16 v2, v26 offset:18432
	ds_write_b16 v2, v27 offset:19456
	ds_write_b16 v2, v28 offset:20480
	ds_write_b16 v2, v29 offset:21504
	ds_write_b16 v2, v30 offset:22528
	ds_write_b16 v2, v31 offset:23552
	ds_write_b16 v2, v6 offset:24576
	ds_write_b16 v2, v7 offset:25600
	ds_write_b16 v2, v8 offset:26624
	ds_write_b16 v2, v9 offset:27648
	s_waitcnt lgkmcnt(0)
	s_barrier
.LBB3372_2:
	s_andn2_b64 vcc, exec, s[4:5]
	v_cmp_gt_u32_e64 s[4:5], s3, v0
	s_cbranch_vccnz .LBB3372_60
; %bb.3:
                                        ; implicit-def: $vgpr1
	s_and_saveexec_b64 s[16:17], s[4:5]
	s_cbranch_execz .LBB3372_5
; %bb.4:
	v_lshlrev_b32_e32 v2, 1, v0
	v_mov_b32_e32 v3, 0
	v_lshl_add_u64 v[2:3], s[14:15], 0, v[2:3]
	flat_load_ushort v1, v[2:3]
.LBB3372_5:
	s_or_b64 exec, exec, s[16:17]
	v_or_b32_e32 v2, 0x200, v0
	v_cmp_gt_u32_e32 vcc, s3, v2
                                        ; implicit-def: $vgpr2
	s_and_saveexec_b64 s[4:5], vcc
	s_cbranch_execz .LBB3372_7
; %bb.6:
	v_lshlrev_b32_e32 v2, 1, v0
	v_mov_b32_e32 v3, 0
	v_lshl_add_u64 v[2:3], s[14:15], 0, v[2:3]
	flat_load_ushort v2, v[2:3] offset:1024
.LBB3372_7:
	s_or_b64 exec, exec, s[4:5]
	v_or_b32_e32 v3, 0x400, v0
	v_cmp_gt_u32_e32 vcc, s3, v3
                                        ; implicit-def: $vgpr3
	s_and_saveexec_b64 s[4:5], vcc
	s_cbranch_execz .LBB3372_9
; %bb.8:
	v_lshlrev_b32_e32 v4, 1, v0
	v_mov_b32_e32 v5, 0
	v_lshl_add_u64 v[4:5], s[14:15], 0, v[4:5]
	flat_load_ushort v3, v[4:5] offset:2048
.LBB3372_9:
	s_or_b64 exec, exec, s[4:5]
	v_or_b32_e32 v4, 0x600, v0
	v_cmp_gt_u32_e32 vcc, s3, v4
                                        ; implicit-def: $vgpr4
	s_and_saveexec_b64 s[4:5], vcc
	s_cbranch_execz .LBB3372_11
; %bb.10:
	v_lshlrev_b32_e32 v4, 1, v0
	v_mov_b32_e32 v5, 0
	v_lshl_add_u64 v[4:5], s[14:15], 0, v[4:5]
	flat_load_ushort v4, v[4:5] offset:3072
.LBB3372_11:
	s_or_b64 exec, exec, s[4:5]
	v_or_b32_e32 v6, 0x800, v0
	v_cmp_gt_u32_e32 vcc, s3, v6
                                        ; implicit-def: $vgpr5
	s_and_saveexec_b64 s[4:5], vcc
	s_cbranch_execz .LBB3372_13
; %bb.12:
	v_lshlrev_b32_e32 v6, 1, v6
	v_mov_b32_e32 v7, 0
	v_lshl_add_u64 v[6:7], s[14:15], 0, v[6:7]
	flat_load_ushort v5, v[6:7]
.LBB3372_13:
	s_or_b64 exec, exec, s[4:5]
	v_or_b32_e32 v7, 0xa00, v0
	v_cmp_gt_u32_e32 vcc, s3, v7
                                        ; implicit-def: $vgpr6
	s_and_saveexec_b64 s[4:5], vcc
	s_cbranch_execz .LBB3372_15
; %bb.14:
	v_lshlrev_b32_e32 v6, 1, v7
	v_mov_b32_e32 v7, 0
	v_lshl_add_u64 v[6:7], s[14:15], 0, v[6:7]
	flat_load_ushort v6, v[6:7]
.LBB3372_15:
	s_or_b64 exec, exec, s[4:5]
	v_or_b32_e32 v8, 0xc00, v0
	v_cmp_gt_u32_e32 vcc, s3, v8
                                        ; implicit-def: $vgpr7
	s_and_saveexec_b64 s[4:5], vcc
	s_cbranch_execz .LBB3372_17
; %bb.16:
	v_lshlrev_b32_e32 v8, 1, v8
	v_mov_b32_e32 v9, 0
	v_lshl_add_u64 v[8:9], s[14:15], 0, v[8:9]
	flat_load_ushort v7, v[8:9]
.LBB3372_17:
	s_or_b64 exec, exec, s[4:5]
	v_or_b32_e32 v9, 0xe00, v0
	v_cmp_gt_u32_e32 vcc, s3, v9
                                        ; implicit-def: $vgpr8
	s_and_saveexec_b64 s[4:5], vcc
	s_cbranch_execz .LBB3372_19
; %bb.18:
	v_lshlrev_b32_e32 v8, 1, v9
	v_mov_b32_e32 v9, 0
	v_lshl_add_u64 v[8:9], s[14:15], 0, v[8:9]
	flat_load_ushort v8, v[8:9]
.LBB3372_19:
	s_or_b64 exec, exec, s[4:5]
	v_or_b32_e32 v10, 0x1000, v0
	v_cmp_gt_u32_e32 vcc, s3, v10
                                        ; implicit-def: $vgpr9
	s_and_saveexec_b64 s[4:5], vcc
	s_cbranch_execz .LBB3372_21
; %bb.20:
	v_lshlrev_b32_e32 v10, 1, v10
	v_mov_b32_e32 v11, 0
	v_lshl_add_u64 v[10:11], s[14:15], 0, v[10:11]
	flat_load_ushort v9, v[10:11]
.LBB3372_21:
	s_or_b64 exec, exec, s[4:5]
	v_or_b32_e32 v11, 0x1200, v0
	v_cmp_gt_u32_e32 vcc, s3, v11
                                        ; implicit-def: $vgpr10
	s_and_saveexec_b64 s[4:5], vcc
	s_cbranch_execz .LBB3372_23
; %bb.22:
	v_lshlrev_b32_e32 v10, 1, v11
	v_mov_b32_e32 v11, 0
	v_lshl_add_u64 v[10:11], s[14:15], 0, v[10:11]
	flat_load_ushort v10, v[10:11]
.LBB3372_23:
	s_or_b64 exec, exec, s[4:5]
	v_or_b32_e32 v12, 0x1400, v0
	v_cmp_gt_u32_e32 vcc, s3, v12
                                        ; implicit-def: $vgpr11
	s_and_saveexec_b64 s[4:5], vcc
	s_cbranch_execz .LBB3372_25
; %bb.24:
	v_lshlrev_b32_e32 v12, 1, v12
	v_mov_b32_e32 v13, 0
	v_lshl_add_u64 v[12:13], s[14:15], 0, v[12:13]
	flat_load_ushort v11, v[12:13]
.LBB3372_25:
	s_or_b64 exec, exec, s[4:5]
	v_or_b32_e32 v13, 0x1600, v0
	v_cmp_gt_u32_e32 vcc, s3, v13
                                        ; implicit-def: $vgpr12
	s_and_saveexec_b64 s[4:5], vcc
	s_cbranch_execz .LBB3372_27
; %bb.26:
	v_lshlrev_b32_e32 v12, 1, v13
	v_mov_b32_e32 v13, 0
	v_lshl_add_u64 v[12:13], s[14:15], 0, v[12:13]
	flat_load_ushort v12, v[12:13]
.LBB3372_27:
	s_or_b64 exec, exec, s[4:5]
	v_or_b32_e32 v14, 0x1800, v0
	v_cmp_gt_u32_e32 vcc, s3, v14
                                        ; implicit-def: $vgpr13
	s_and_saveexec_b64 s[4:5], vcc
	s_cbranch_execz .LBB3372_29
; %bb.28:
	v_lshlrev_b32_e32 v14, 1, v14
	v_mov_b32_e32 v15, 0
	v_lshl_add_u64 v[14:15], s[14:15], 0, v[14:15]
	flat_load_ushort v13, v[14:15]
.LBB3372_29:
	s_or_b64 exec, exec, s[4:5]
	v_or_b32_e32 v15, 0x1a00, v0
	v_cmp_gt_u32_e32 vcc, s3, v15
                                        ; implicit-def: $vgpr14
	s_and_saveexec_b64 s[4:5], vcc
	s_cbranch_execz .LBB3372_31
; %bb.30:
	v_lshlrev_b32_e32 v14, 1, v15
	v_mov_b32_e32 v15, 0
	v_lshl_add_u64 v[14:15], s[14:15], 0, v[14:15]
	flat_load_ushort v14, v[14:15]
.LBB3372_31:
	s_or_b64 exec, exec, s[4:5]
	v_or_b32_e32 v16, 0x1c00, v0
	v_cmp_gt_u32_e32 vcc, s3, v16
                                        ; implicit-def: $vgpr15
	s_and_saveexec_b64 s[4:5], vcc
	s_cbranch_execz .LBB3372_33
; %bb.32:
	v_lshlrev_b32_e32 v16, 1, v16
	v_mov_b32_e32 v17, 0
	v_lshl_add_u64 v[16:17], s[14:15], 0, v[16:17]
	flat_load_ushort v15, v[16:17]
.LBB3372_33:
	s_or_b64 exec, exec, s[4:5]
	v_or_b32_e32 v17, 0x1e00, v0
	v_cmp_gt_u32_e32 vcc, s3, v17
                                        ; implicit-def: $vgpr16
	s_and_saveexec_b64 s[4:5], vcc
	s_cbranch_execz .LBB3372_35
; %bb.34:
	v_lshlrev_b32_e32 v16, 1, v17
	v_mov_b32_e32 v17, 0
	v_lshl_add_u64 v[16:17], s[14:15], 0, v[16:17]
	flat_load_ushort v16, v[16:17]
.LBB3372_35:
	s_or_b64 exec, exec, s[4:5]
	v_or_b32_e32 v18, 0x2000, v0
	v_cmp_gt_u32_e32 vcc, s3, v18
                                        ; implicit-def: $vgpr17
	s_and_saveexec_b64 s[4:5], vcc
	s_cbranch_execz .LBB3372_37
; %bb.36:
	v_lshlrev_b32_e32 v18, 1, v18
	v_mov_b32_e32 v19, 0
	v_lshl_add_u64 v[18:19], s[14:15], 0, v[18:19]
	flat_load_ushort v17, v[18:19]
.LBB3372_37:
	s_or_b64 exec, exec, s[4:5]
	v_or_b32_e32 v19, 0x2200, v0
	v_cmp_gt_u32_e32 vcc, s3, v19
                                        ; implicit-def: $vgpr18
	s_and_saveexec_b64 s[4:5], vcc
	s_cbranch_execz .LBB3372_39
; %bb.38:
	v_lshlrev_b32_e32 v18, 1, v19
	v_mov_b32_e32 v19, 0
	v_lshl_add_u64 v[18:19], s[14:15], 0, v[18:19]
	flat_load_ushort v18, v[18:19]
.LBB3372_39:
	s_or_b64 exec, exec, s[4:5]
	v_or_b32_e32 v20, 0x2400, v0
	v_cmp_gt_u32_e32 vcc, s3, v20
                                        ; implicit-def: $vgpr19
	s_and_saveexec_b64 s[4:5], vcc
	s_cbranch_execz .LBB3372_41
; %bb.40:
	v_lshlrev_b32_e32 v20, 1, v20
	v_mov_b32_e32 v21, 0
	v_lshl_add_u64 v[20:21], s[14:15], 0, v[20:21]
	flat_load_ushort v19, v[20:21]
.LBB3372_41:
	s_or_b64 exec, exec, s[4:5]
	v_or_b32_e32 v21, 0x2600, v0
	v_cmp_gt_u32_e32 vcc, s3, v21
                                        ; implicit-def: $vgpr20
	s_and_saveexec_b64 s[4:5], vcc
	s_cbranch_execz .LBB3372_43
; %bb.42:
	v_lshlrev_b32_e32 v20, 1, v21
	v_mov_b32_e32 v21, 0
	v_lshl_add_u64 v[20:21], s[14:15], 0, v[20:21]
	flat_load_ushort v20, v[20:21]
.LBB3372_43:
	s_or_b64 exec, exec, s[4:5]
	v_or_b32_e32 v22, 0x2800, v0
	v_cmp_gt_u32_e32 vcc, s3, v22
                                        ; implicit-def: $vgpr21
	s_and_saveexec_b64 s[4:5], vcc
	s_cbranch_execz .LBB3372_45
; %bb.44:
	v_lshlrev_b32_e32 v22, 1, v22
	v_mov_b32_e32 v23, 0
	v_lshl_add_u64 v[22:23], s[14:15], 0, v[22:23]
	flat_load_ushort v21, v[22:23]
.LBB3372_45:
	s_or_b64 exec, exec, s[4:5]
	v_or_b32_e32 v23, 0x2a00, v0
	v_cmp_gt_u32_e32 vcc, s3, v23
                                        ; implicit-def: $vgpr22
	s_and_saveexec_b64 s[4:5], vcc
	s_cbranch_execz .LBB3372_47
; %bb.46:
	v_lshlrev_b32_e32 v22, 1, v23
	v_mov_b32_e32 v23, 0
	v_lshl_add_u64 v[22:23], s[14:15], 0, v[22:23]
	flat_load_ushort v22, v[22:23]
.LBB3372_47:
	s_or_b64 exec, exec, s[4:5]
	v_or_b32_e32 v24, 0x2c00, v0
	v_cmp_gt_u32_e32 vcc, s3, v24
                                        ; implicit-def: $vgpr23
	s_and_saveexec_b64 s[4:5], vcc
	s_cbranch_execz .LBB3372_49
; %bb.48:
	v_lshlrev_b32_e32 v24, 1, v24
	v_mov_b32_e32 v25, 0
	v_lshl_add_u64 v[24:25], s[14:15], 0, v[24:25]
	flat_load_ushort v23, v[24:25]
.LBB3372_49:
	s_or_b64 exec, exec, s[4:5]
	v_or_b32_e32 v25, 0x2e00, v0
	v_cmp_gt_u32_e32 vcc, s3, v25
                                        ; implicit-def: $vgpr24
	s_and_saveexec_b64 s[4:5], vcc
	s_cbranch_execz .LBB3372_51
; %bb.50:
	v_lshlrev_b32_e32 v24, 1, v25
	v_mov_b32_e32 v25, 0
	v_lshl_add_u64 v[24:25], s[14:15], 0, v[24:25]
	flat_load_ushort v24, v[24:25]
.LBB3372_51:
	s_or_b64 exec, exec, s[4:5]
	v_or_b32_e32 v26, 0x3000, v0
	v_cmp_gt_u32_e32 vcc, s3, v26
                                        ; implicit-def: $vgpr25
	s_and_saveexec_b64 s[4:5], vcc
	s_cbranch_execz .LBB3372_53
; %bb.52:
	v_lshlrev_b32_e32 v26, 1, v26
	v_mov_b32_e32 v27, 0
	v_lshl_add_u64 v[26:27], s[14:15], 0, v[26:27]
	flat_load_ushort v25, v[26:27]
.LBB3372_53:
	s_or_b64 exec, exec, s[4:5]
	v_or_b32_e32 v27, 0x3200, v0
	v_cmp_gt_u32_e32 vcc, s3, v27
                                        ; implicit-def: $vgpr26
	s_and_saveexec_b64 s[4:5], vcc
	s_cbranch_execz .LBB3372_55
; %bb.54:
	v_lshlrev_b32_e32 v26, 1, v27
	v_mov_b32_e32 v27, 0
	v_lshl_add_u64 v[26:27], s[14:15], 0, v[26:27]
	flat_load_ushort v26, v[26:27]
.LBB3372_55:
	s_or_b64 exec, exec, s[4:5]
	v_or_b32_e32 v28, 0x3400, v0
	v_cmp_gt_u32_e32 vcc, s3, v28
                                        ; implicit-def: $vgpr27
	s_and_saveexec_b64 s[4:5], vcc
	s_cbranch_execz .LBB3372_57
; %bb.56:
	v_lshlrev_b32_e32 v28, 1, v28
	v_mov_b32_e32 v29, 0
	v_lshl_add_u64 v[28:29], s[14:15], 0, v[28:29]
	flat_load_ushort v27, v[28:29]
.LBB3372_57:
	s_or_b64 exec, exec, s[4:5]
	v_or_b32_e32 v29, 0x3600, v0
	v_cmp_gt_u32_e32 vcc, s3, v29
                                        ; implicit-def: $vgpr28
	s_and_saveexec_b64 s[4:5], vcc
	s_cbranch_execz .LBB3372_59
; %bb.58:
	v_lshlrev_b32_e32 v28, 1, v29
	v_mov_b32_e32 v29, 0
	v_lshl_add_u64 v[28:29], s[14:15], 0, v[28:29]
	flat_load_ushort v28, v[28:29]
.LBB3372_59:
	s_or_b64 exec, exec, s[4:5]
	v_lshlrev_b32_e32 v29, 1, v0
	s_waitcnt vmcnt(0) lgkmcnt(0)
	ds_write_b16 v29, v1
	ds_write_b16 v29, v2 offset:1024
	ds_write_b16 v29, v3 offset:2048
	;; [unrolled: 1-line block ×27, first 2 shown]
	s_waitcnt lgkmcnt(0)
	s_barrier
.LBB3372_60:
	v_mul_u32_u24_e32 v1, 28, v0
	v_lshlrev_b32_e32 v6, 1, v1
	s_waitcnt lgkmcnt(0)
	ds_read_b64 v[14:15], v6 offset:48
	ds_read2_b64 v[2:5], v6 offset0:4 offset1:5
	ds_read2_b64 v[10:13], v6 offset1:1
	ds_read2_b64 v[6:9], v6 offset0:2 offset1:3
	s_add_u32 s4, s6, s8
	s_addc_u32 s5, s7, s9
	s_add_u32 s4, s4, s12
	s_addc_u32 s5, s5, s13
	s_mov_b64 s[6:7], -1
	s_and_b64 vcc, exec, s[10:11]
	s_waitcnt lgkmcnt(0)
	s_barrier
	s_cbranch_vccz .LBB3372_62
; %bb.61:
	v_lshlrev_b32_e32 v16, 1, v0
	v_mov_b32_e32 v17, 0
	v_lshl_add_u64 v[18:19], s[4:5], 0, v[16:17]
	s_movk_i32 s6, 0x1000
	global_load_ubyte v22, v16, s[4:5]
	global_load_ubyte v23, v16, s[4:5] offset:1024
	global_load_ubyte v24, v16, s[4:5] offset:2048
	global_load_ubyte v25, v16, s[4:5] offset:3072
	v_add_co_u32_e32 v16, vcc, s6, v18
	s_movk_i32 s6, 0x2000
	s_nop 0
	v_addc_co_u32_e32 v17, vcc, 0, v19, vcc
	v_add_co_u32_e32 v20, vcc, s6, v18
	s_movk_i32 s6, 0x3000
	s_nop 0
	v_addc_co_u32_e32 v21, vcc, 0, v19, vcc
	global_load_ubyte v26, v[16:17], off offset:1024
	global_load_ubyte v27, v[16:17], off offset:2048
	;; [unrolled: 1-line block ×3, first 2 shown]
	global_load_ubyte v29, v[20:21], off offset:-4096
	global_load_ubyte v30, v[20:21], off
	global_load_ubyte v31, v[20:21], off offset:1024
	global_load_ubyte v32, v[20:21], off offset:2048
	;; [unrolled: 1-line block ×3, first 2 shown]
	v_add_co_u32_e32 v16, vcc, s6, v18
	s_movk_i32 s6, 0x4000
	s_nop 0
	v_addc_co_u32_e32 v17, vcc, 0, v19, vcc
	v_add_co_u32_e32 v20, vcc, s6, v18
	s_movk_i32 s7, 0x6000
	s_nop 0
	v_addc_co_u32_e32 v21, vcc, 0, v19, vcc
	global_load_ubyte v34, v[20:21], off offset:-4096
	global_load_ubyte v35, v[16:17], off offset:1024
	global_load_ubyte v36, v[16:17], off offset:2048
	;; [unrolled: 1-line block ×3, first 2 shown]
	global_load_ubyte v38, v[20:21], off
	v_add_co_u32_e32 v16, vcc, s7, v18
	s_movk_i32 s6, 0x5000
	s_nop 0
	v_addc_co_u32_e32 v17, vcc, 0, v19, vcc
	v_add_co_u32_e32 v18, vcc, s6, v18
	global_load_ubyte v39, v[20:21], off offset:1024
	global_load_ubyte v40, v[20:21], off offset:2048
	;; [unrolled: 1-line block ×3, first 2 shown]
	global_load_ubyte v42, v[16:17], off offset:-4096
	v_addc_co_u32_e32 v19, vcc, 0, v19, vcc
	global_load_ubyte v20, v[18:19], off offset:1024
	global_load_ubyte v21, v[18:19], off offset:2048
	;; [unrolled: 1-line block ×3, first 2 shown]
	global_load_ubyte v44, v[16:17], off
	global_load_ubyte v45, v[16:17], off offset:1024
	global_load_ubyte v46, v[16:17], off offset:2048
	;; [unrolled: 1-line block ×3, first 2 shown]
	s_mov_b64 s[6:7], 0
	s_waitcnt vmcnt(27)
	v_xor_b32_e32 v16, -1, v22
	s_waitcnt vmcnt(26)
	v_xor_b32_e32 v17, -1, v23
	;; [unrolled: 2-line block ×4, first 2 shown]
	v_and_b32_e32 v16, 1, v16
	v_and_b32_e32 v17, 1, v17
	;; [unrolled: 1-line block ×3, first 2 shown]
	s_waitcnt vmcnt(23)
	v_xor_b32_e32 v23, -1, v26
	s_waitcnt vmcnt(22)
	v_xor_b32_e32 v24, -1, v27
	;; [unrolled: 2-line block ×8, first 2 shown]
	v_and_b32_e32 v19, 1, v19
	v_and_b32_e32 v22, 1, v22
	;; [unrolled: 1-line block ×6, first 2 shown]
	s_waitcnt vmcnt(15)
	v_xor_b32_e32 v30, -1, v34
	s_waitcnt vmcnt(14)
	v_xor_b32_e32 v31, -1, v35
	;; [unrolled: 2-line block ×5, first 2 shown]
	v_and_b32_e32 v27, 1, v27
	v_and_b32_e32 v28, 1, v28
	v_and_b32_e32 v29, 1, v29
	v_and_b32_e32 v30, 1, v30
	s_waitcnt vmcnt(10)
	v_xor_b32_e32 v35, -1, v39
	s_waitcnt vmcnt(9)
	v_xor_b32_e32 v36, -1, v40
	;; [unrolled: 2-line block ×11, first 2 shown]
	v_and_b32_e32 v31, 1, v31
	v_and_b32_e32 v32, 1, v32
	;; [unrolled: 1-line block ×15, first 2 shown]
	ds_write_b8 v0, v16
	ds_write_b8 v0, v17 offset:512
	ds_write_b8 v0, v18 offset:1024
	ds_write_b8 v0, v19 offset:1536
	ds_write_b8 v0, v22 offset:2048
	ds_write_b8 v0, v23 offset:2560
	ds_write_b8 v0, v24 offset:3072
	ds_write_b8 v0, v25 offset:3584
	ds_write_b8 v0, v26 offset:4096
	ds_write_b8 v0, v27 offset:4608
	ds_write_b8 v0, v28 offset:5120
	ds_write_b8 v0, v29 offset:5632
	ds_write_b8 v0, v30 offset:6144
	ds_write_b8 v0, v31 offset:6656
	ds_write_b8 v0, v32 offset:7168
	ds_write_b8 v0, v33 offset:7680
	ds_write_b8 v0, v34 offset:8192
	ds_write_b8 v0, v35 offset:8704
	ds_write_b8 v0, v36 offset:9216
	ds_write_b8 v0, v37 offset:9728
	ds_write_b8 v0, v38 offset:10240
	ds_write_b8 v0, v20 offset:10752
	ds_write_b8 v0, v21 offset:11264
	ds_write_b8 v0, v39 offset:11776
	ds_write_b8 v0, v40 offset:12288
	ds_write_b8 v0, v41 offset:12800
	ds_write_b8 v0, v42 offset:13312
	ds_write_b8 v0, v43 offset:13824
	s_waitcnt lgkmcnt(0)
	s_barrier
.LBB3372_62:
	s_load_dwordx2 s[24:25], s[0:1], 0x80
	s_andn2_b64 vcc, exec, s[6:7]
	s_cbranch_vccnz .LBB3372_120
; %bb.63:
	v_cmp_gt_u32_e32 vcc, s3, v0
	v_mov_b32_e32 v16, 0
	v_mov_b32_e32 v17, 0
	s_and_saveexec_b64 s[0:1], vcc
	s_cbranch_execz .LBB3372_65
; %bb.64:
	v_lshlrev_b32_e32 v17, 1, v0
	global_load_ubyte v17, v17, s[4:5]
	s_waitcnt vmcnt(0)
	v_xor_b32_e32 v17, -1, v17
	v_and_b32_e32 v17, 1, v17
.LBB3372_65:
	s_or_b64 exec, exec, s[0:1]
	v_or_b32_e32 v18, 0x200, v0
	v_cmp_gt_u32_e32 vcc, s3, v18
	s_and_saveexec_b64 s[0:1], vcc
	s_cbranch_execz .LBB3372_67
; %bb.66:
	v_lshlrev_b32_e32 v16, 1, v0
	global_load_ubyte v16, v16, s[4:5] offset:1024
	s_waitcnt vmcnt(0)
	v_xor_b32_e32 v16, -1, v16
	v_and_b32_e32 v16, 1, v16
.LBB3372_67:
	s_or_b64 exec, exec, s[0:1]
	v_or_b32_e32 v18, 0x400, v0
	v_cmp_gt_u32_e32 vcc, s3, v18
	v_mov_b32_e32 v18, 0
	v_mov_b32_e32 v19, 0
	s_and_saveexec_b64 s[0:1], vcc
	s_cbranch_execz .LBB3372_69
; %bb.68:
	v_lshlrev_b32_e32 v19, 1, v0
	global_load_ubyte v19, v19, s[4:5] offset:2048
	s_waitcnt vmcnt(0)
	v_xor_b32_e32 v19, -1, v19
	v_and_b32_e32 v19, 1, v19
.LBB3372_69:
	s_or_b64 exec, exec, s[0:1]
	v_or_b32_e32 v20, 0x600, v0
	v_cmp_gt_u32_e32 vcc, s3, v20
	s_and_saveexec_b64 s[0:1], vcc
	s_cbranch_execz .LBB3372_71
; %bb.70:
	v_lshlrev_b32_e32 v18, 1, v0
	global_load_ubyte v18, v18, s[4:5] offset:3072
	s_waitcnt vmcnt(0)
	v_xor_b32_e32 v18, -1, v18
	v_and_b32_e32 v18, 1, v18
.LBB3372_71:
	s_or_b64 exec, exec, s[0:1]
	v_or_b32_e32 v22, 0x800, v0
	v_cmp_gt_u32_e32 vcc, s3, v22
	v_mov_b32_e32 v20, 0
	v_mov_b32_e32 v21, 0
	s_and_saveexec_b64 s[0:1], vcc
	s_cbranch_execz .LBB3372_73
; %bb.72:
	v_lshlrev_b32_e32 v21, 1, v22
	global_load_ubyte v21, v21, s[4:5]
	s_waitcnt vmcnt(0)
	v_xor_b32_e32 v21, -1, v21
	v_and_b32_e32 v21, 1, v21
.LBB3372_73:
	s_or_b64 exec, exec, s[0:1]
	v_or_b32_e32 v22, 0xa00, v0
	v_cmp_gt_u32_e32 vcc, s3, v22
	s_and_saveexec_b64 s[0:1], vcc
	s_cbranch_execz .LBB3372_75
; %bb.74:
	v_lshlrev_b32_e32 v20, 1, v22
	global_load_ubyte v20, v20, s[4:5]
	s_waitcnt vmcnt(0)
	v_xor_b32_e32 v20, -1, v20
	v_and_b32_e32 v20, 1, v20
.LBB3372_75:
	s_or_b64 exec, exec, s[0:1]
	v_or_b32_e32 v24, 0xc00, v0
	v_cmp_gt_u32_e32 vcc, s3, v24
	v_mov_b32_e32 v22, 0
	v_mov_b32_e32 v23, 0
	s_and_saveexec_b64 s[0:1], vcc
	s_cbranch_execz .LBB3372_77
; %bb.76:
	v_lshlrev_b32_e32 v23, 1, v24
	global_load_ubyte v23, v23, s[4:5]
	s_waitcnt vmcnt(0)
	v_xor_b32_e32 v23, -1, v23
	v_and_b32_e32 v23, 1, v23
.LBB3372_77:
	s_or_b64 exec, exec, s[0:1]
	v_or_b32_e32 v24, 0xe00, v0
	v_cmp_gt_u32_e32 vcc, s3, v24
	s_and_saveexec_b64 s[0:1], vcc
	s_cbranch_execz .LBB3372_79
; %bb.78:
	v_lshlrev_b32_e32 v22, 1, v24
	global_load_ubyte v22, v22, s[4:5]
	s_waitcnt vmcnt(0)
	v_xor_b32_e32 v22, -1, v22
	v_and_b32_e32 v22, 1, v22
.LBB3372_79:
	;; [unrolled: 26-line block ×12, first 2 shown]
	s_or_b64 exec, exec, s[0:1]
	ds_write_b8 v0, v17
	ds_write_b8 v0, v16 offset:512
	ds_write_b8 v0, v19 offset:1024
	;; [unrolled: 1-line block ×27, first 2 shown]
	s_waitcnt lgkmcnt(0)
	s_barrier
.LBB3372_120:
	s_waitcnt lgkmcnt(0)
	ds_read2_b32 v[20:21], v1 offset1:1
	ds_read2_b32 v[18:19], v1 offset0:2 offset1:3
	ds_read2_b32 v[16:17], v1 offset0:4 offset1:5
	ds_read_b32 v33, v1 offset:24
	s_cmp_lg_u32 s2, 0
	v_lshrrev_b32_e32 v60, 6, v0
	s_waitcnt lgkmcnt(2)
	v_and_b32_e32 v52, 0xff, v18
	v_lshrrev_b32_e32 v40, 24, v20
	v_bfe_u32 v58, v20, 16, 8
	v_add_u32_sdwa v22, v20, v20 dst_sel:DWORD dst_unused:UNUSED_PAD src0_sel:BYTE_1 src1_sel:BYTE_0
	v_and_b32_e32 v55, 0xff, v21
	v_bfe_u32 v56, v21, 8, 8
	v_add3_u32 v22, v22, v58, v40
	v_lshrrev_b32_e32 v39, 24, v21
	v_bfe_u32 v57, v21, 16, 8
	v_add3_u32 v22, v22, v55, v56
	v_bfe_u32 v53, v18, 8, 8
	v_add3_u32 v22, v22, v57, v39
	v_lshrrev_b32_e32 v38, 24, v18
	v_bfe_u32 v54, v18, 16, 8
	v_add3_u32 v22, v22, v52, v53
	v_and_b32_e32 v49, 0xff, v19
	v_bfe_u32 v50, v19, 8, 8
	v_add3_u32 v22, v22, v54, v38
	v_lshrrev_b32_e32 v37, 24, v19
	v_bfe_u32 v51, v19, 16, 8
	v_add3_u32 v22, v22, v49, v50
	s_waitcnt lgkmcnt(1)
	v_and_b32_e32 v46, 0xff, v16
	v_bfe_u32 v47, v16, 8, 8
	v_add3_u32 v22, v22, v51, v37
	v_lshrrev_b32_e32 v36, 24, v16
	v_bfe_u32 v48, v16, 16, 8
	v_add3_u32 v22, v22, v46, v47
	v_and_b32_e32 v43, 0xff, v17
	v_bfe_u32 v44, v17, 8, 8
	v_add3_u32 v22, v22, v48, v36
	v_lshrrev_b32_e32 v35, 24, v17
	v_bfe_u32 v45, v17, 16, 8
	v_add3_u32 v22, v22, v43, v44
	s_waitcnt lgkmcnt(0)
	v_and_b32_e32 v41, 0xff, v33
	v_bfe_u32 v42, v33, 8, 8
	v_add3_u32 v22, v22, v45, v35
	v_lshrrev_b32_e32 v32, 24, v33
	v_bfe_u32 v34, v33, 16, 8
	v_add3_u32 v22, v22, v41, v42
	v_add3_u32 v61, v22, v34, v32
	v_mbcnt_lo_u32_b32 v22, -1, 0
	v_mbcnt_hi_u32_b32 v59, -1, v22
	v_and_b32_e32 v22, 15, v59
	v_cmp_eq_u32_e64 s[12:13], 0, v22
	v_cmp_lt_u32_e64 s[10:11], 1, v22
	v_cmp_lt_u32_e64 s[8:9], 3, v22
	;; [unrolled: 1-line block ×3, first 2 shown]
	v_and_b32_e32 v22, 16, v59
	v_cmp_eq_u32_e64 s[4:5], 0, v22
	v_or_b32_e32 v22, 63, v0
	v_cmp_lt_u32_e64 s[0:1], 31, v59
	v_cmp_eq_u32_e64 s[16:17], v22, v0
	s_barrier
	s_cbranch_scc0 .LBB3372_151
; %bb.121:
	v_mov_b32_dpp v22, v61 row_shr:1 row_mask:0xf bank_mask:0xf
	v_cndmask_b32_e64 v22, v22, 0, s[12:13]
	v_add_u32_e32 v22, v22, v61
	s_nop 1
	v_mov_b32_dpp v23, v22 row_shr:2 row_mask:0xf bank_mask:0xf
	v_cndmask_b32_e64 v23, 0, v23, s[10:11]
	v_add_u32_e32 v22, v22, v23
	s_nop 1
	;; [unrolled: 4-line block ×4, first 2 shown]
	v_mov_b32_dpp v23, v22 row_bcast:15 row_mask:0xf bank_mask:0xf
	v_cndmask_b32_e64 v23, v23, 0, s[4:5]
	v_add_u32_e32 v22, v22, v23
	s_nop 1
	v_mov_b32_dpp v23, v22 row_bcast:31 row_mask:0xf bank_mask:0xf
	v_cndmask_b32_e64 v23, 0, v23, s[0:1]
	v_add_u32_e32 v22, v22, v23
	s_and_saveexec_b64 s[14:15], s[16:17]
	s_cbranch_execz .LBB3372_123
; %bb.122:
	v_lshlrev_b32_e32 v23, 2, v60
	ds_write_b32 v23, v22
.LBB3372_123:
	s_or_b64 exec, exec, s[14:15]
	v_cmp_gt_u32_e32 vcc, 8, v0
	s_waitcnt lgkmcnt(0)
	s_barrier
	s_and_saveexec_b64 s[14:15], vcc
	s_cbranch_execz .LBB3372_125
; %bb.124:
	v_lshlrev_b32_e32 v23, 2, v0
	ds_read_b32 v24, v23
	v_and_b32_e32 v25, 7, v59
	v_cmp_ne_u32_e32 vcc, 0, v25
	s_waitcnt lgkmcnt(0)
	v_mov_b32_dpp v26, v24 row_shr:1 row_mask:0xf bank_mask:0xf
	v_cndmask_b32_e32 v26, 0, v26, vcc
	v_add_u32_e32 v24, v26, v24
	v_cmp_lt_u32_e32 vcc, 1, v25
	s_nop 0
	v_mov_b32_dpp v26, v24 row_shr:2 row_mask:0xf bank_mask:0xf
	v_cndmask_b32_e32 v26, 0, v26, vcc
	v_add_u32_e32 v24, v24, v26
	v_cmp_lt_u32_e32 vcc, 3, v25
	s_nop 0
	v_mov_b32_dpp v26, v24 row_shr:4 row_mask:0xf bank_mask:0xf
	v_cndmask_b32_e32 v25, 0, v26, vcc
	v_add_u32_e32 v24, v24, v25
	ds_write_b32 v23, v24
.LBB3372_125:
	s_or_b64 exec, exec, s[14:15]
	v_cmp_gt_u32_e32 vcc, 64, v0
	v_cmp_lt_u32_e64 s[14:15], 63, v0
	s_waitcnt lgkmcnt(0)
	s_barrier
	s_waitcnt lgkmcnt(0)
                                        ; implicit-def: $vgpr62
	s_and_saveexec_b64 s[26:27], s[14:15]
	s_cbranch_execz .LBB3372_127
; %bb.126:
	v_lshl_add_u32 v23, v60, 2, -4
	ds_read_b32 v62, v23
	s_waitcnt lgkmcnt(0)
	v_add_u32_e32 v22, v62, v22
.LBB3372_127:
	s_or_b64 exec, exec, s[26:27]
	v_add_u32_e32 v23, -1, v59
	v_and_b32_e32 v24, 64, v59
	v_cmp_lt_i32_e64 s[14:15], v23, v24
	s_nop 1
	v_cndmask_b32_e64 v23, v23, v59, s[14:15]
	v_lshlrev_b32_e32 v23, 2, v23
	ds_bpermute_b32 v63, v23, v22
	v_cmp_eq_u32_e64 s[14:15], 0, v59
	s_and_saveexec_b64 s[26:27], vcc
	s_cbranch_execz .LBB3372_150
; %bb.128:
	v_mov_b32_e32 v31, 0
	ds_read_b32 v22, v31 offset:28
	s_and_saveexec_b64 s[28:29], s[14:15]
	s_cbranch_execz .LBB3372_130
; %bb.129:
	s_add_i32 s30, s2, 64
	s_mov_b32 s31, 0
	s_lshl_b64 s[30:31], s[30:31], 3
	s_add_u32 s30, s24, s30
	v_mov_b32_e32 v23, 1
	s_addc_u32 s31, s25, s31
	s_waitcnt lgkmcnt(0)
	global_store_dwordx2 v31, v[22:23], s[30:31] sc1
.LBB3372_130:
	s_or_b64 exec, exec, s[28:29]
	v_xad_u32 v24, v59, -1, s2
	v_add_u32_e32 v30, 64, v24
	v_lshl_add_u64 v[26:27], v[30:31], 3, s[24:25]
	global_load_dwordx2 v[28:29], v[26:27], off sc1
	s_waitcnt vmcnt(0)
	v_cmp_eq_u16_sdwa s[30:31], v29, v31 src0_sel:BYTE_0 src1_sel:DWORD
	s_and_saveexec_b64 s[28:29], s[30:31]
	s_cbranch_execz .LBB3372_136
; %bb.131:
	s_mov_b32 s3, 1
	s_mov_b64 s[30:31], 0
	v_mov_b32_e32 v23, 0
.LBB3372_132:                           ; =>This Loop Header: Depth=1
                                        ;     Child Loop BB3372_133 Depth 2
	s_max_u32 s33, s3, 1
.LBB3372_133:                           ;   Parent Loop BB3372_132 Depth=1
                                        ; =>  This Inner Loop Header: Depth=2
	s_add_i32 s33, s33, -1
	s_cmp_eq_u32 s33, 0
	s_sleep 1
	s_cbranch_scc0 .LBB3372_133
; %bb.134:                              ;   in Loop: Header=BB3372_132 Depth=1
	global_load_dwordx2 v[28:29], v[26:27], off sc1
	s_cmp_lt_u32 s3, 32
	s_cselect_b64 s[34:35], -1, 0
	s_cmp_lg_u64 s[34:35], 0
	s_addc_u32 s3, s3, 0
	s_waitcnt vmcnt(0)
	v_cmp_ne_u16_sdwa s[34:35], v29, v23 src0_sel:BYTE_0 src1_sel:DWORD
	s_or_b64 s[30:31], s[34:35], s[30:31]
	s_andn2_b64 exec, exec, s[30:31]
	s_cbranch_execnz .LBB3372_132
; %bb.135:
	s_or_b64 exec, exec, s[30:31]
.LBB3372_136:
	s_or_b64 exec, exec, s[28:29]
	v_and_b32_e32 v65, 63, v59
	v_mov_b32_e32 v64, 2
	v_cmp_ne_u32_e32 vcc, 63, v65
	v_cmp_eq_u16_sdwa s[28:29], v29, v64 src0_sel:BYTE_0 src1_sel:DWORD
	v_lshlrev_b64 v[26:27], v59, -1
	v_addc_co_u32_e32 v30, vcc, 0, v59, vcc
	v_and_b32_e32 v23, s29, v27
	v_lshlrev_b32_e32 v66, 2, v30
	v_or_b32_e32 v23, 0x80000000, v23
	ds_bpermute_b32 v30, v66, v28
	v_and_b32_e32 v25, s28, v26
	v_ffbl_b32_e32 v23, v23
	v_add_u32_e32 v23, 32, v23
	v_ffbl_b32_e32 v25, v25
	v_min_u32_e32 v23, v25, v23
	v_cmp_lt_u32_e32 vcc, v65, v23
	v_add_u32_e32 v68, 2, v65
	v_add_u32_e32 v70, 4, v65
	s_waitcnt lgkmcnt(0)
	v_cndmask_b32_e32 v25, 0, v30, vcc
	v_cmp_gt_u32_e32 vcc, 62, v65
	v_add_u32_e32 v25, v25, v28
	v_add_u32_e32 v72, 8, v65
	v_cndmask_b32_e64 v28, 0, 1, vcc
	v_lshlrev_b32_e32 v28, 1, v28
	v_add_lshl_u32 v67, v28, v59, 2
	ds_bpermute_b32 v28, v67, v25
	v_cmp_le_u32_e32 vcc, v68, v23
	v_add_u32_e32 v74, 16, v65
	v_add_u32_e32 v76, 32, v65
	s_waitcnt lgkmcnt(0)
	v_cndmask_b32_e32 v28, 0, v28, vcc
	v_cmp_gt_u32_e32 vcc, 60, v65
	v_add_u32_e32 v25, v25, v28
	s_nop 0
	v_cndmask_b32_e64 v28, 0, 1, vcc
	v_lshlrev_b32_e32 v28, 2, v28
	v_add_lshl_u32 v69, v28, v59, 2
	ds_bpermute_b32 v28, v69, v25
	v_cmp_le_u32_e32 vcc, v70, v23
	s_waitcnt lgkmcnt(0)
	s_nop 0
	v_cndmask_b32_e32 v28, 0, v28, vcc
	v_cmp_gt_u32_e32 vcc, 56, v65
	v_add_u32_e32 v25, v25, v28
	s_nop 0
	v_cndmask_b32_e64 v28, 0, 1, vcc
	v_lshlrev_b32_e32 v28, 3, v28
	v_add_lshl_u32 v71, v28, v59, 2
	ds_bpermute_b32 v28, v71, v25
	v_cmp_le_u32_e32 vcc, v72, v23
	s_waitcnt lgkmcnt(0)
	s_nop 0
	;; [unrolled: 11-line block ×4, first 2 shown]
	v_cndmask_b32_e32 v23, 0, v28, vcc
	v_add_u32_e32 v28, v25, v23
	v_mov_b32_e32 v25, 0
	s_branch .LBB3372_138
.LBB3372_137:                           ;   in Loop: Header=BB3372_138 Depth=1
	s_or_b64 exec, exec, s[28:29]
	v_cmp_eq_u16_sdwa s[28:29], v29, v64 src0_sel:BYTE_0 src1_sel:DWORD
	ds_bpermute_b32 v77, v66, v28
	v_subrev_u32_e32 v24, 64, v24
	v_and_b32_e32 v30, s29, v27
	v_or_b32_e32 v30, 0x80000000, v30
	v_and_b32_e32 v31, s28, v26
	v_ffbl_b32_e32 v30, v30
	v_add_u32_e32 v30, 32, v30
	v_ffbl_b32_e32 v31, v31
	v_min_u32_e32 v30, v31, v30
	v_cmp_lt_u32_e32 vcc, v65, v30
	s_waitcnt lgkmcnt(0)
	s_nop 0
	v_cndmask_b32_e32 v31, 0, v77, vcc
	v_add_u32_e32 v28, v31, v28
	ds_bpermute_b32 v31, v67, v28
	v_cmp_le_u32_e32 vcc, v68, v30
	s_waitcnt lgkmcnt(0)
	s_nop 0
	v_cndmask_b32_e32 v31, 0, v31, vcc
	v_add_u32_e32 v28, v28, v31
	ds_bpermute_b32 v31, v69, v28
	v_cmp_le_u32_e32 vcc, v70, v30
	;; [unrolled: 6-line block ×5, first 2 shown]
	s_waitcnt lgkmcnt(0)
	s_nop 0
	v_cndmask_b32_e32 v30, 0, v31, vcc
	v_add3_u32 v28, v30, v23, v28
.LBB3372_138:                           ; =>This Loop Header: Depth=1
                                        ;     Child Loop BB3372_141 Depth 2
                                        ;       Child Loop BB3372_142 Depth 3
	v_cmp_ne_u16_sdwa s[28:29], v29, v64 src0_sel:BYTE_0 src1_sel:DWORD
	s_nop 1
	v_cndmask_b32_e64 v23, 0, 1, s[28:29]
	;;#ASMSTART
	;;#ASMEND
	s_nop 0
	v_cmp_ne_u32_e32 vcc, 0, v23
	s_cmp_lg_u64 vcc, exec
	v_mov_b32_e32 v23, v28
	s_cbranch_scc1 .LBB3372_145
; %bb.139:                              ;   in Loop: Header=BB3372_138 Depth=1
	v_lshl_add_u64 v[30:31], v[24:25], 3, s[24:25]
	global_load_dwordx2 v[28:29], v[30:31], off sc1
	s_waitcnt vmcnt(0)
	v_cmp_eq_u16_sdwa s[30:31], v29, v25 src0_sel:BYTE_0 src1_sel:DWORD
	s_and_saveexec_b64 s[28:29], s[30:31]
	s_cbranch_execz .LBB3372_137
; %bb.140:                              ;   in Loop: Header=BB3372_138 Depth=1
	s_mov_b32 s3, 1
	s_mov_b64 s[30:31], 0
.LBB3372_141:                           ;   Parent Loop BB3372_138 Depth=1
                                        ; =>  This Loop Header: Depth=2
                                        ;       Child Loop BB3372_142 Depth 3
	s_max_u32 s33, s3, 1
.LBB3372_142:                           ;   Parent Loop BB3372_138 Depth=1
                                        ;     Parent Loop BB3372_141 Depth=2
                                        ; =>    This Inner Loop Header: Depth=3
	s_add_i32 s33, s33, -1
	s_cmp_eq_u32 s33, 0
	s_sleep 1
	s_cbranch_scc0 .LBB3372_142
; %bb.143:                              ;   in Loop: Header=BB3372_141 Depth=2
	global_load_dwordx2 v[28:29], v[30:31], off sc1
	s_cmp_lt_u32 s3, 32
	s_cselect_b64 s[34:35], -1, 0
	s_cmp_lg_u64 s[34:35], 0
	s_addc_u32 s3, s3, 0
	s_waitcnt vmcnt(0)
	v_cmp_ne_u16_sdwa s[34:35], v29, v25 src0_sel:BYTE_0 src1_sel:DWORD
	s_or_b64 s[30:31], s[34:35], s[30:31]
	s_andn2_b64 exec, exec, s[30:31]
	s_cbranch_execnz .LBB3372_141
; %bb.144:                              ;   in Loop: Header=BB3372_138 Depth=1
	s_or_b64 exec, exec, s[30:31]
	s_branch .LBB3372_137
.LBB3372_145:                           ;   in Loop: Header=BB3372_138 Depth=1
                                        ; implicit-def: $vgpr28
                                        ; implicit-def: $vgpr29
	s_cbranch_execz .LBB3372_138
; %bb.146:
	s_and_saveexec_b64 s[28:29], s[14:15]
	s_cbranch_execz .LBB3372_148
; %bb.147:
	s_add_i32 s2, s2, 64
	s_mov_b32 s3, 0
	s_lshl_b64 s[2:3], s[2:3], 3
	s_add_u32 s2, s24, s2
	v_add_u32_e32 v24, v23, v22
	v_mov_b32_e32 v25, 2
	s_addc_u32 s3, s25, s3
	v_mov_b32_e32 v26, 0
	global_store_dwordx2 v26, v[24:25], s[2:3] sc1
	ds_write_b64 v26, v[22:23] offset:28672
.LBB3372_148:
	s_or_b64 exec, exec, s[28:29]
	v_cmp_eq_u32_e32 vcc, 0, v0
	s_and_b64 exec, exec, vcc
	s_cbranch_execz .LBB3372_150
; %bb.149:
	v_mov_b32_e32 v22, 0
	ds_write_b32 v22, v23 offset:28
.LBB3372_150:
	s_or_b64 exec, exec, s[26:27]
	v_mov_b32_e32 v22, 0
	s_waitcnt lgkmcnt(0)
	s_barrier
	ds_read_b32 v25, v22 offset:28
	s_waitcnt lgkmcnt(0)
	s_barrier
	ds_read_b64 v[22:23], v22 offset:28672
	v_cndmask_b32_e64 v24, v63, v62, s[14:15]
	v_cmp_ne_u32_e32 vcc, 0, v0
	s_nop 1
	v_cndmask_b32_e32 v24, 0, v24, vcc
	v_add_u32_e32 v30, v25, v24
	s_branch .LBB3372_161
.LBB3372_151:
                                        ; implicit-def: $vgpr23
                                        ; implicit-def: $vgpr30
	s_cbranch_execz .LBB3372_161
; %bb.152:
	s_waitcnt lgkmcnt(0)
	v_mov_b32_dpp v22, v61 row_shr:1 row_mask:0xf bank_mask:0xf
	v_cndmask_b32_e64 v22, v22, 0, s[12:13]
	v_add_u32_e32 v22, v22, v61
	s_nop 1
	v_mov_b32_dpp v23, v22 row_shr:2 row_mask:0xf bank_mask:0xf
	v_cndmask_b32_e64 v23, 0, v23, s[10:11]
	v_add_u32_e32 v22, v22, v23
	s_nop 1
	;; [unrolled: 4-line block ×4, first 2 shown]
	v_mov_b32_dpp v23, v22 row_bcast:15 row_mask:0xf bank_mask:0xf
	v_cndmask_b32_e64 v23, v23, 0, s[4:5]
	v_add_u32_e32 v22, v22, v23
	s_nop 1
	v_mov_b32_dpp v23, v22 row_bcast:31 row_mask:0xf bank_mask:0xf
	v_cndmask_b32_e64 v23, 0, v23, s[0:1]
	v_add_u32_e32 v22, v22, v23
	s_and_saveexec_b64 s[0:1], s[16:17]
	s_cbranch_execz .LBB3372_154
; %bb.153:
	v_lshlrev_b32_e32 v23, 2, v60
	ds_write_b32 v23, v22
.LBB3372_154:
	s_or_b64 exec, exec, s[0:1]
	v_cmp_gt_u32_e32 vcc, 8, v0
	s_waitcnt lgkmcnt(0)
	s_barrier
	s_and_saveexec_b64 s[0:1], vcc
	s_cbranch_execz .LBB3372_156
; %bb.155:
	v_lshlrev_b32_e32 v23, 2, v0
	ds_read_b32 v24, v23
	v_and_b32_e32 v25, 7, v59
	v_cmp_ne_u32_e32 vcc, 0, v25
	s_waitcnt lgkmcnt(0)
	v_mov_b32_dpp v26, v24 row_shr:1 row_mask:0xf bank_mask:0xf
	v_cndmask_b32_e32 v26, 0, v26, vcc
	v_add_u32_e32 v24, v26, v24
	v_cmp_lt_u32_e32 vcc, 1, v25
	s_nop 0
	v_mov_b32_dpp v26, v24 row_shr:2 row_mask:0xf bank_mask:0xf
	v_cndmask_b32_e32 v26, 0, v26, vcc
	v_add_u32_e32 v24, v24, v26
	v_cmp_lt_u32_e32 vcc, 3, v25
	s_nop 0
	v_mov_b32_dpp v26, v24 row_shr:4 row_mask:0xf bank_mask:0xf
	v_cndmask_b32_e32 v25, 0, v26, vcc
	v_add_u32_e32 v24, v24, v25
	ds_write_b32 v23, v24
.LBB3372_156:
	s_or_b64 exec, exec, s[0:1]
	v_cmp_lt_u32_e32 vcc, 63, v0
	v_mov_b32_e32 v23, 0
	v_mov_b32_e32 v24, 0
	s_waitcnt lgkmcnt(0)
	s_barrier
	s_and_saveexec_b64 s[0:1], vcc
	s_cbranch_execz .LBB3372_158
; %bb.157:
	v_lshl_add_u32 v24, v60, 2, -4
	ds_read_b32 v24, v24
.LBB3372_158:
	s_or_b64 exec, exec, s[0:1]
	v_add_u32_e32 v25, -1, v59
	v_and_b32_e32 v26, 64, v59
	v_cmp_lt_i32_e32 vcc, v25, v26
	s_waitcnt lgkmcnt(0)
	v_add_u32_e32 v22, v24, v22
	v_cndmask_b32_e32 v25, v25, v59, vcc
	v_lshlrev_b32_e32 v25, 2, v25
	ds_bpermute_b32 v25, v25, v22
	ds_read_b32 v22, v23 offset:28
	v_cmp_eq_u32_e32 vcc, 0, v0
	s_and_saveexec_b64 s[0:1], vcc
	s_cbranch_execz .LBB3372_160
; %bb.159:
	v_mov_b32_e32 v26, 0
	v_mov_b32_e32 v23, 2
	s_waitcnt lgkmcnt(0)
	global_store_dwordx2 v26, v[22:23], s[24:25] offset:512 sc1
.LBB3372_160:
	s_or_b64 exec, exec, s[0:1]
	v_cmp_eq_u32_e64 s[0:1], 0, v59
	v_mov_b32_e32 v23, 0
	s_waitcnt lgkmcnt(0)
	v_cndmask_b32_e64 v24, v25, v24, s[0:1]
	v_cndmask_b32_e64 v30, v24, 0, vcc
	s_barrier
.LBB3372_161:
	v_add_u32_sdwa v59, v30, v20 dst_sel:DWORD dst_unused:UNUSED_PAD src0_sel:DWORD src1_sel:BYTE_0
	s_waitcnt lgkmcnt(0)
	v_add_u32_e32 v1, v22, v1
	v_sub_u32_e32 v30, v30, v23
	v_and_b32_e32 v68, 1, v20
	v_sub_u32_e32 v67, v1, v30
	v_cmp_eq_u32_e32 vcc, 1, v68
	v_lshrrev_b32_e32 v31, 8, v20
	v_add_u32_sdwa v60, v59, v20 dst_sel:DWORD dst_unused:UNUSED_PAD src0_sel:DWORD src1_sel:BYTE_1
	v_cndmask_b32_e32 v30, v67, v30, vcc
	v_lshlrev_b32_e32 v30, 1, v30
	ds_write_b16 v30, v10
	v_sub_u32_e32 v30, v59, v23
	v_sub_u32_e32 v59, v1, v30
	v_and_b32_e32 v31, 1, v31
	v_add_u32_e32 v59, 1, v59
	v_cmp_eq_u32_e32 vcc, 1, v31
	v_mov_b32_e32 v31, 1
	v_and_b32_sdwa v20, v31, v20 dst_sel:DWORD dst_unused:UNUSED_PAD src0_sel:DWORD src1_sel:WORD_1
	v_cndmask_b32_e32 v30, v59, v30, vcc
	v_lshlrev_b32_e32 v30, 1, v30
	ds_write_b16_d16_hi v30, v10
	v_sub_u32_e32 v10, v60, v23
	v_sub_u32_e32 v30, v1, v10
	v_add_u32_e32 v30, 2, v30
	v_cmp_eq_u32_e32 vcc, 1, v20
	v_add_u32_e32 v58, v60, v58
	v_add_u32_e32 v61, v58, v40
	v_cndmask_b32_e32 v10, v30, v10, vcc
	v_lshlrev_b32_e32 v10, 1, v10
	ds_write_b16 v10, v11
	v_sub_u32_e32 v10, v58, v23
	v_sub_u32_e32 v20, v1, v10
	v_and_b32_e32 v30, 1, v40
	v_add_u32_e32 v20, 3, v20
	v_cmp_eq_u32_e32 vcc, 1, v30
	v_add_u32_e32 v55, v61, v55
	v_lshrrev_b32_e32 v29, 8, v21
	v_cndmask_b32_e32 v10, v20, v10, vcc
	v_lshlrev_b32_e32 v10, 1, v10
	ds_write_b16_d16_hi v10, v11
	v_sub_u32_e32 v10, v61, v23
	v_sub_u32_e32 v11, v1, v10
	v_and_b32_e32 v20, 1, v21
	v_add_u32_e32 v11, 4, v11
	v_cmp_eq_u32_e32 vcc, 1, v20
	v_and_b32_e32 v20, 1, v29
	v_add_u32_e32 v56, v55, v56
	v_cndmask_b32_e32 v10, v11, v10, vcc
	v_lshlrev_b32_e32 v10, 1, v10
	ds_write_b16 v10, v12
	v_sub_u32_e32 v10, v55, v23
	v_sub_u32_e32 v11, v1, v10
	v_add_u32_e32 v11, 5, v11
	v_cmp_eq_u32_e32 vcc, 1, v20
	v_add_u32_e32 v57, v56, v57
	v_add_u32_e32 v62, v57, v39
	v_cndmask_b32_e32 v10, v11, v10, vcc
	v_lshlrev_b32_e32 v10, 1, v10
	ds_write_b16_d16_hi v10, v12
	v_sub_u32_e32 v10, v56, v23
	v_sub_u32_e32 v11, v1, v10
	v_and_b32_sdwa v12, v31, v21 dst_sel:DWORD dst_unused:UNUSED_PAD src0_sel:DWORD src1_sel:WORD_1
	v_add_u32_e32 v11, 6, v11
	v_cmp_eq_u32_e32 vcc, 1, v12
	v_and_b32_e32 v12, 1, v39
	v_add_u32_e32 v52, v62, v52
	v_cndmask_b32_e32 v10, v11, v10, vcc
	v_lshlrev_b32_e32 v10, 1, v10
	ds_write_b16 v10, v13
	v_sub_u32_e32 v10, v57, v23
	v_sub_u32_e32 v11, v1, v10
	v_add_u32_e32 v11, 7, v11
	v_cmp_eq_u32_e32 vcc, 1, v12
	v_and_b32_e32 v12, 1, v18
	v_lshrrev_b32_e32 v28, 8, v18
	v_cndmask_b32_e32 v10, v11, v10, vcc
	v_lshlrev_b32_e32 v10, 1, v10
	ds_write_b16_d16_hi v10, v13
	v_sub_u32_e32 v10, v62, v23
	v_sub_u32_e32 v11, v1, v10
	v_add_u32_e32 v11, 8, v11
	v_cmp_eq_u32_e32 vcc, 1, v12
	v_and_b32_e32 v12, 1, v28
	v_add_u32_e32 v53, v52, v53
	v_cndmask_b32_e32 v10, v11, v10, vcc
	v_lshlrev_b32_e32 v10, 1, v10
	ds_write_b16 v10, v6
	v_sub_u32_e32 v10, v52, v23
	v_sub_u32_e32 v11, v1, v10
	v_add_u32_e32 v11, 9, v11
	v_cmp_eq_u32_e32 vcc, 1, v12
	v_add_u32_e32 v54, v53, v54
	v_add_u32_e32 v63, v54, v38
	v_cndmask_b32_e32 v10, v11, v10, vcc
	v_lshlrev_b32_e32 v10, 1, v10
	ds_write_b16_d16_hi v10, v6
	v_sub_u32_e32 v6, v53, v23
	v_sub_u32_e32 v10, v1, v6
	v_and_b32_sdwa v11, v31, v18 dst_sel:DWORD dst_unused:UNUSED_PAD src0_sel:DWORD src1_sel:WORD_1
	v_add_u32_e32 v10, 10, v10
	v_cmp_eq_u32_e32 vcc, 1, v11
	v_and_b32_e32 v11, 1, v38
	v_add_u32_e32 v49, v63, v49
	v_cndmask_b32_e32 v6, v10, v6, vcc
	v_lshlrev_b32_e32 v6, 1, v6
	ds_write_b16 v6, v7
	v_sub_u32_e32 v6, v54, v23
	v_sub_u32_e32 v10, v1, v6
	v_add_u32_e32 v10, 11, v10
	v_cmp_eq_u32_e32 vcc, 1, v11
	v_lshrrev_b32_e32 v27, 8, v19
	v_add_u32_e32 v50, v49, v50
	v_cndmask_b32_e32 v6, v10, v6, vcc
	v_lshlrev_b32_e32 v6, 1, v6
	ds_write_b16_d16_hi v6, v7
	v_sub_u32_e32 v6, v63, v23
	v_sub_u32_e32 v7, v1, v6
	v_and_b32_e32 v10, 1, v19
	v_add_u32_e32 v7, 12, v7
	v_cmp_eq_u32_e32 vcc, 1, v10
	v_and_b32_e32 v10, 1, v27
	v_add_u32_e32 v51, v50, v51
	v_cndmask_b32_e32 v6, v7, v6, vcc
	v_lshlrev_b32_e32 v6, 1, v6
	ds_write_b16 v6, v8
	v_sub_u32_e32 v6, v49, v23
	v_sub_u32_e32 v7, v1, v6
	v_add_u32_e32 v7, 13, v7
	v_cmp_eq_u32_e32 vcc, 1, v10
	v_add_u32_e32 v64, v51, v37
	v_add_u32_e32 v46, v64, v46
	v_cndmask_b32_e32 v6, v7, v6, vcc
	v_lshlrev_b32_e32 v6, 1, v6
	ds_write_b16_d16_hi v6, v8
	v_sub_u32_e32 v6, v50, v23
	v_sub_u32_e32 v7, v1, v6
	v_and_b32_sdwa v8, v31, v19 dst_sel:DWORD dst_unused:UNUSED_PAD src0_sel:DWORD src1_sel:WORD_1
	v_add_u32_e32 v7, 14, v7
	v_cmp_eq_u32_e32 vcc, 1, v8
	v_and_b32_e32 v8, 1, v37
	v_lshrrev_b32_e32 v26, 8, v16
	v_cndmask_b32_e32 v6, v7, v6, vcc
	v_lshlrev_b32_e32 v6, 1, v6
	ds_write_b16 v6, v9
	v_sub_u32_e32 v6, v51, v23
	v_sub_u32_e32 v7, v1, v6
	v_add_u32_e32 v7, 15, v7
	v_cmp_eq_u32_e32 vcc, 1, v8
	v_and_b32_e32 v8, 1, v16
	v_add_u32_e32 v47, v46, v47
	v_cndmask_b32_e32 v6, v7, v6, vcc
	v_lshlrev_b32_e32 v6, 1, v6
	ds_write_b16_d16_hi v6, v9
	v_sub_u32_e32 v6, v64, v23
	v_sub_u32_e32 v7, v1, v6
	v_add_u32_e32 v7, 16, v7
	v_cmp_eq_u32_e32 vcc, 1, v8
	v_and_b32_e32 v8, 1, v26
	v_add_u32_e32 v48, v47, v48
	v_cndmask_b32_e32 v6, v7, v6, vcc
	v_lshlrev_b32_e32 v6, 1, v6
	ds_write_b16 v6, v2
	v_sub_u32_e32 v6, v46, v23
	v_sub_u32_e32 v7, v1, v6
	v_add_u32_e32 v7, 17, v7
	v_cmp_eq_u32_e32 vcc, 1, v8
	v_add_u32_e32 v65, v48, v36
	v_add_u32_e32 v43, v65, v43
	v_cndmask_b32_e32 v6, v7, v6, vcc
	v_lshlrev_b32_e32 v6, 1, v6
	ds_write_b16_d16_hi v6, v2
	v_sub_u32_e32 v2, v47, v23
	v_sub_u32_e32 v6, v1, v2
	v_and_b32_sdwa v7, v31, v16 dst_sel:DWORD dst_unused:UNUSED_PAD src0_sel:DWORD src1_sel:WORD_1
	v_add_u32_e32 v6, 18, v6
	v_cmp_eq_u32_e32 vcc, 1, v7
	v_and_b32_e32 v7, 1, v36
	v_lshrrev_b32_e32 v25, 8, v17
	v_cndmask_b32_e32 v2, v6, v2, vcc
	v_lshlrev_b32_e32 v2, 1, v2
	ds_write_b16 v2, v3
	v_sub_u32_e32 v2, v48, v23
	v_sub_u32_e32 v6, v1, v2
	v_add_u32_e32 v6, 19, v6
	v_cmp_eq_u32_e32 vcc, 1, v7
	v_add_u32_e32 v44, v43, v44
	v_add_u32_e32 v45, v44, v45
	v_cndmask_b32_e32 v2, v6, v2, vcc
	v_lshlrev_b32_e32 v2, 1, v2
	ds_write_b16_d16_hi v2, v3
	v_sub_u32_e32 v2, v65, v23
	v_sub_u32_e32 v3, v1, v2
	v_and_b32_e32 v6, 1, v17
	v_add_u32_e32 v3, 20, v3
	v_cmp_eq_u32_e32 vcc, 1, v6
	v_and_b32_e32 v6, 1, v25
	v_add_u32_e32 v66, v45, v35
	v_cndmask_b32_e32 v2, v3, v2, vcc
	v_lshlrev_b32_e32 v2, 1, v2
	ds_write_b16 v2, v4
	v_sub_u32_e32 v2, v43, v23
	v_sub_u32_e32 v3, v1, v2
	v_add_u32_e32 v3, 21, v3
	v_cmp_eq_u32_e32 vcc, 1, v6
	v_add_u32_e32 v41, v66, v41
	v_lshrrev_b32_e32 v24, 8, v33
	v_cndmask_b32_e32 v2, v3, v2, vcc
	v_lshlrev_b32_e32 v2, 1, v2
	ds_write_b16_d16_hi v2, v4
	v_sub_u32_e32 v2, v44, v23
	v_sub_u32_e32 v3, v1, v2
	v_and_b32_sdwa v4, v31, v17 dst_sel:DWORD dst_unused:UNUSED_PAD src0_sel:DWORD src1_sel:WORD_1
	v_add_u32_e32 v3, 22, v3
	v_cmp_eq_u32_e32 vcc, 1, v4
	v_and_b32_e32 v4, 1, v35
	v_add_u32_e32 v42, v41, v42
	v_cndmask_b32_e32 v2, v3, v2, vcc
	v_lshlrev_b32_e32 v2, 1, v2
	ds_write_b16 v2, v5
	v_sub_u32_e32 v2, v45, v23
	v_sub_u32_e32 v3, v1, v2
	v_add_u32_e32 v3, 23, v3
	v_cmp_eq_u32_e32 vcc, 1, v4
	v_and_b32_e32 v4, 1, v33
	s_nop 0
	v_cndmask_b32_e32 v2, v3, v2, vcc
	v_lshlrev_b32_e32 v2, 1, v2
	ds_write_b16_d16_hi v2, v5
	v_sub_u32_e32 v2, v66, v23
	v_sub_u32_e32 v3, v1, v2
	v_add_u32_e32 v3, 24, v3
	v_cmp_eq_u32_e32 vcc, 1, v4
	v_and_b32_e32 v4, 1, v24
	s_nop 0
	v_cndmask_b32_e32 v2, v3, v2, vcc
	v_lshlrev_b32_e32 v2, 1, v2
	ds_write_b16 v2, v14
	v_sub_u32_e32 v2, v41, v23
	v_sub_u32_e32 v3, v1, v2
	v_add_u32_e32 v3, 25, v3
	v_cmp_eq_u32_e32 vcc, 1, v4
	v_and_b32_sdwa v4, v31, v33 dst_sel:DWORD dst_unused:UNUSED_PAD src0_sel:DWORD src1_sel:WORD_1
	s_nop 0
	v_cndmask_b32_e32 v2, v3, v2, vcc
	v_lshlrev_b32_e32 v2, 1, v2
	ds_write_b16_d16_hi v2, v14
	v_sub_u32_e32 v2, v42, v23
	v_sub_u32_e32 v3, v1, v2
	v_add_u32_e32 v3, 26, v3
	v_cmp_eq_u32_e32 vcc, 1, v4
	s_nop 1
	v_cndmask_b32_e32 v2, v3, v2, vcc
	v_lshlrev_b32_e32 v2, 1, v2
	ds_write_b16 v2, v15
	v_sub_u32_e32 v2, v34, v23
	v_add_u32_e32 v2, v42, v2
	v_sub_u32_e32 v1, v1, v2
	v_and_b32_e32 v3, 1, v32
	v_add_u32_e32 v1, 27, v1
	v_cmp_eq_u32_e32 vcc, 1, v3
	s_nop 1
	v_cndmask_b32_e32 v1, v1, v2, vcc
	v_cmp_eq_u32_e32 vcc, 0, v0
	v_lshlrev_b32_e32 v1, 1, v1
	s_and_b64 s[0:1], vcc, s[22:23]
	ds_write_b16_d16_hi v1, v15
	s_waitcnt lgkmcnt(0)
	s_barrier
	s_and_saveexec_b64 s[2:3], s[0:1]
	s_cbranch_execz .LBB3372_163
; %bb.162:
	v_mov_b32_e32 v1, 0
	v_mov_b32_e32 v0, v22
	v_lshl_add_u64 v[2:3], s[18:19], 0, v[0:1]
	v_mov_b32_e32 v0, v23
	v_lshl_add_u64 v[2:3], v[2:3], 0, v[0:1]
	global_store_dwordx2 v1, v[2:3], s[20:21]
.LBB3372_163:
	s_endpgm
	.section	.rodata,"a",@progbits
	.p2align	6, 0x0
	.amdhsa_kernel _ZN7rocprim17ROCPRIM_400000_NS6detail17trampoline_kernelINS0_14default_configENS1_25partition_config_selectorILNS1_17partition_subalgoE1EsNS0_10empty_typeEbEEZZNS1_14partition_implILS5_1ELb0ES3_jN6thrust23THRUST_200600_302600_NS6detail15normal_iteratorINSA_10device_ptrIsEEEEPS6_NSA_18transform_iteratorI7is_evenIsESF_NSA_11use_defaultESK_EENS0_5tupleIJNSA_16discard_iteratorISK_EESO_EEENSM_IJSG_SG_EEES6_PlJS6_EEE10hipError_tPvRmT3_T4_T5_T6_T7_T9_mT8_P12ihipStream_tbDpT10_ENKUlT_T0_E_clISt17integral_constantIbLb1EES1A_IbLb0EEEEDaS16_S17_EUlS16_E_NS1_11comp_targetILNS1_3genE5ELNS1_11target_archE942ELNS1_3gpuE9ELNS1_3repE0EEENS1_30default_config_static_selectorELNS0_4arch9wavefront6targetE1EEEvT1_
		.amdhsa_group_segment_fixed_size 28680
		.amdhsa_private_segment_fixed_size 0
		.amdhsa_kernarg_size 144
		.amdhsa_user_sgpr_count 2
		.amdhsa_user_sgpr_dispatch_ptr 0
		.amdhsa_user_sgpr_queue_ptr 0
		.amdhsa_user_sgpr_kernarg_segment_ptr 1
		.amdhsa_user_sgpr_dispatch_id 0
		.amdhsa_user_sgpr_kernarg_preload_length 0
		.amdhsa_user_sgpr_kernarg_preload_offset 0
		.amdhsa_user_sgpr_private_segment_size 0
		.amdhsa_uses_dynamic_stack 0
		.amdhsa_enable_private_segment 0
		.amdhsa_system_sgpr_workgroup_id_x 1
		.amdhsa_system_sgpr_workgroup_id_y 0
		.amdhsa_system_sgpr_workgroup_id_z 0
		.amdhsa_system_sgpr_workgroup_info 0
		.amdhsa_system_vgpr_workitem_id 0
		.amdhsa_next_free_vgpr 78
		.amdhsa_next_free_sgpr 36
		.amdhsa_accum_offset 80
		.amdhsa_reserve_vcc 1
		.amdhsa_float_round_mode_32 0
		.amdhsa_float_round_mode_16_64 0
		.amdhsa_float_denorm_mode_32 3
		.amdhsa_float_denorm_mode_16_64 3
		.amdhsa_dx10_clamp 1
		.amdhsa_ieee_mode 1
		.amdhsa_fp16_overflow 0
		.amdhsa_tg_split 0
		.amdhsa_exception_fp_ieee_invalid_op 0
		.amdhsa_exception_fp_denorm_src 0
		.amdhsa_exception_fp_ieee_div_zero 0
		.amdhsa_exception_fp_ieee_overflow 0
		.amdhsa_exception_fp_ieee_underflow 0
		.amdhsa_exception_fp_ieee_inexact 0
		.amdhsa_exception_int_div_zero 0
	.end_amdhsa_kernel
	.section	.text._ZN7rocprim17ROCPRIM_400000_NS6detail17trampoline_kernelINS0_14default_configENS1_25partition_config_selectorILNS1_17partition_subalgoE1EsNS0_10empty_typeEbEEZZNS1_14partition_implILS5_1ELb0ES3_jN6thrust23THRUST_200600_302600_NS6detail15normal_iteratorINSA_10device_ptrIsEEEEPS6_NSA_18transform_iteratorI7is_evenIsESF_NSA_11use_defaultESK_EENS0_5tupleIJNSA_16discard_iteratorISK_EESO_EEENSM_IJSG_SG_EEES6_PlJS6_EEE10hipError_tPvRmT3_T4_T5_T6_T7_T9_mT8_P12ihipStream_tbDpT10_ENKUlT_T0_E_clISt17integral_constantIbLb1EES1A_IbLb0EEEEDaS16_S17_EUlS16_E_NS1_11comp_targetILNS1_3genE5ELNS1_11target_archE942ELNS1_3gpuE9ELNS1_3repE0EEENS1_30default_config_static_selectorELNS0_4arch9wavefront6targetE1EEEvT1_,"axG",@progbits,_ZN7rocprim17ROCPRIM_400000_NS6detail17trampoline_kernelINS0_14default_configENS1_25partition_config_selectorILNS1_17partition_subalgoE1EsNS0_10empty_typeEbEEZZNS1_14partition_implILS5_1ELb0ES3_jN6thrust23THRUST_200600_302600_NS6detail15normal_iteratorINSA_10device_ptrIsEEEEPS6_NSA_18transform_iteratorI7is_evenIsESF_NSA_11use_defaultESK_EENS0_5tupleIJNSA_16discard_iteratorISK_EESO_EEENSM_IJSG_SG_EEES6_PlJS6_EEE10hipError_tPvRmT3_T4_T5_T6_T7_T9_mT8_P12ihipStream_tbDpT10_ENKUlT_T0_E_clISt17integral_constantIbLb1EES1A_IbLb0EEEEDaS16_S17_EUlS16_E_NS1_11comp_targetILNS1_3genE5ELNS1_11target_archE942ELNS1_3gpuE9ELNS1_3repE0EEENS1_30default_config_static_selectorELNS0_4arch9wavefront6targetE1EEEvT1_,comdat
.Lfunc_end3372:
	.size	_ZN7rocprim17ROCPRIM_400000_NS6detail17trampoline_kernelINS0_14default_configENS1_25partition_config_selectorILNS1_17partition_subalgoE1EsNS0_10empty_typeEbEEZZNS1_14partition_implILS5_1ELb0ES3_jN6thrust23THRUST_200600_302600_NS6detail15normal_iteratorINSA_10device_ptrIsEEEEPS6_NSA_18transform_iteratorI7is_evenIsESF_NSA_11use_defaultESK_EENS0_5tupleIJNSA_16discard_iteratorISK_EESO_EEENSM_IJSG_SG_EEES6_PlJS6_EEE10hipError_tPvRmT3_T4_T5_T6_T7_T9_mT8_P12ihipStream_tbDpT10_ENKUlT_T0_E_clISt17integral_constantIbLb1EES1A_IbLb0EEEEDaS16_S17_EUlS16_E_NS1_11comp_targetILNS1_3genE5ELNS1_11target_archE942ELNS1_3gpuE9ELNS1_3repE0EEENS1_30default_config_static_selectorELNS0_4arch9wavefront6targetE1EEEvT1_, .Lfunc_end3372-_ZN7rocprim17ROCPRIM_400000_NS6detail17trampoline_kernelINS0_14default_configENS1_25partition_config_selectorILNS1_17partition_subalgoE1EsNS0_10empty_typeEbEEZZNS1_14partition_implILS5_1ELb0ES3_jN6thrust23THRUST_200600_302600_NS6detail15normal_iteratorINSA_10device_ptrIsEEEEPS6_NSA_18transform_iteratorI7is_evenIsESF_NSA_11use_defaultESK_EENS0_5tupleIJNSA_16discard_iteratorISK_EESO_EEENSM_IJSG_SG_EEES6_PlJS6_EEE10hipError_tPvRmT3_T4_T5_T6_T7_T9_mT8_P12ihipStream_tbDpT10_ENKUlT_T0_E_clISt17integral_constantIbLb1EES1A_IbLb0EEEEDaS16_S17_EUlS16_E_NS1_11comp_targetILNS1_3genE5ELNS1_11target_archE942ELNS1_3gpuE9ELNS1_3repE0EEENS1_30default_config_static_selectorELNS0_4arch9wavefront6targetE1EEEvT1_
                                        ; -- End function
	.section	.AMDGPU.csdata,"",@progbits
; Kernel info:
; codeLenInByte = 8696
; NumSgprs: 42
; NumVgprs: 78
; NumAgprs: 0
; TotalNumVgprs: 78
; ScratchSize: 0
; MemoryBound: 0
; FloatMode: 240
; IeeeMode: 1
; LDSByteSize: 28680 bytes/workgroup (compile time only)
; SGPRBlocks: 5
; VGPRBlocks: 9
; NumSGPRsForWavesPerEU: 42
; NumVGPRsForWavesPerEU: 78
; AccumOffset: 80
; Occupancy: 4
; WaveLimiterHint : 1
; COMPUTE_PGM_RSRC2:SCRATCH_EN: 0
; COMPUTE_PGM_RSRC2:USER_SGPR: 2
; COMPUTE_PGM_RSRC2:TRAP_HANDLER: 0
; COMPUTE_PGM_RSRC2:TGID_X_EN: 1
; COMPUTE_PGM_RSRC2:TGID_Y_EN: 0
; COMPUTE_PGM_RSRC2:TGID_Z_EN: 0
; COMPUTE_PGM_RSRC2:TIDIG_COMP_CNT: 0
; COMPUTE_PGM_RSRC3_GFX90A:ACCUM_OFFSET: 19
; COMPUTE_PGM_RSRC3_GFX90A:TG_SPLIT: 0
	.section	.text._ZN7rocprim17ROCPRIM_400000_NS6detail17trampoline_kernelINS0_14default_configENS1_25partition_config_selectorILNS1_17partition_subalgoE1EsNS0_10empty_typeEbEEZZNS1_14partition_implILS5_1ELb0ES3_jN6thrust23THRUST_200600_302600_NS6detail15normal_iteratorINSA_10device_ptrIsEEEEPS6_NSA_18transform_iteratorI7is_evenIsESF_NSA_11use_defaultESK_EENS0_5tupleIJNSA_16discard_iteratorISK_EESO_EEENSM_IJSG_SG_EEES6_PlJS6_EEE10hipError_tPvRmT3_T4_T5_T6_T7_T9_mT8_P12ihipStream_tbDpT10_ENKUlT_T0_E_clISt17integral_constantIbLb1EES1A_IbLb0EEEEDaS16_S17_EUlS16_E_NS1_11comp_targetILNS1_3genE4ELNS1_11target_archE910ELNS1_3gpuE8ELNS1_3repE0EEENS1_30default_config_static_selectorELNS0_4arch9wavefront6targetE1EEEvT1_,"axG",@progbits,_ZN7rocprim17ROCPRIM_400000_NS6detail17trampoline_kernelINS0_14default_configENS1_25partition_config_selectorILNS1_17partition_subalgoE1EsNS0_10empty_typeEbEEZZNS1_14partition_implILS5_1ELb0ES3_jN6thrust23THRUST_200600_302600_NS6detail15normal_iteratorINSA_10device_ptrIsEEEEPS6_NSA_18transform_iteratorI7is_evenIsESF_NSA_11use_defaultESK_EENS0_5tupleIJNSA_16discard_iteratorISK_EESO_EEENSM_IJSG_SG_EEES6_PlJS6_EEE10hipError_tPvRmT3_T4_T5_T6_T7_T9_mT8_P12ihipStream_tbDpT10_ENKUlT_T0_E_clISt17integral_constantIbLb1EES1A_IbLb0EEEEDaS16_S17_EUlS16_E_NS1_11comp_targetILNS1_3genE4ELNS1_11target_archE910ELNS1_3gpuE8ELNS1_3repE0EEENS1_30default_config_static_selectorELNS0_4arch9wavefront6targetE1EEEvT1_,comdat
	.protected	_ZN7rocprim17ROCPRIM_400000_NS6detail17trampoline_kernelINS0_14default_configENS1_25partition_config_selectorILNS1_17partition_subalgoE1EsNS0_10empty_typeEbEEZZNS1_14partition_implILS5_1ELb0ES3_jN6thrust23THRUST_200600_302600_NS6detail15normal_iteratorINSA_10device_ptrIsEEEEPS6_NSA_18transform_iteratorI7is_evenIsESF_NSA_11use_defaultESK_EENS0_5tupleIJNSA_16discard_iteratorISK_EESO_EEENSM_IJSG_SG_EEES6_PlJS6_EEE10hipError_tPvRmT3_T4_T5_T6_T7_T9_mT8_P12ihipStream_tbDpT10_ENKUlT_T0_E_clISt17integral_constantIbLb1EES1A_IbLb0EEEEDaS16_S17_EUlS16_E_NS1_11comp_targetILNS1_3genE4ELNS1_11target_archE910ELNS1_3gpuE8ELNS1_3repE0EEENS1_30default_config_static_selectorELNS0_4arch9wavefront6targetE1EEEvT1_ ; -- Begin function _ZN7rocprim17ROCPRIM_400000_NS6detail17trampoline_kernelINS0_14default_configENS1_25partition_config_selectorILNS1_17partition_subalgoE1EsNS0_10empty_typeEbEEZZNS1_14partition_implILS5_1ELb0ES3_jN6thrust23THRUST_200600_302600_NS6detail15normal_iteratorINSA_10device_ptrIsEEEEPS6_NSA_18transform_iteratorI7is_evenIsESF_NSA_11use_defaultESK_EENS0_5tupleIJNSA_16discard_iteratorISK_EESO_EEENSM_IJSG_SG_EEES6_PlJS6_EEE10hipError_tPvRmT3_T4_T5_T6_T7_T9_mT8_P12ihipStream_tbDpT10_ENKUlT_T0_E_clISt17integral_constantIbLb1EES1A_IbLb0EEEEDaS16_S17_EUlS16_E_NS1_11comp_targetILNS1_3genE4ELNS1_11target_archE910ELNS1_3gpuE8ELNS1_3repE0EEENS1_30default_config_static_selectorELNS0_4arch9wavefront6targetE1EEEvT1_
	.globl	_ZN7rocprim17ROCPRIM_400000_NS6detail17trampoline_kernelINS0_14default_configENS1_25partition_config_selectorILNS1_17partition_subalgoE1EsNS0_10empty_typeEbEEZZNS1_14partition_implILS5_1ELb0ES3_jN6thrust23THRUST_200600_302600_NS6detail15normal_iteratorINSA_10device_ptrIsEEEEPS6_NSA_18transform_iteratorI7is_evenIsESF_NSA_11use_defaultESK_EENS0_5tupleIJNSA_16discard_iteratorISK_EESO_EEENSM_IJSG_SG_EEES6_PlJS6_EEE10hipError_tPvRmT3_T4_T5_T6_T7_T9_mT8_P12ihipStream_tbDpT10_ENKUlT_T0_E_clISt17integral_constantIbLb1EES1A_IbLb0EEEEDaS16_S17_EUlS16_E_NS1_11comp_targetILNS1_3genE4ELNS1_11target_archE910ELNS1_3gpuE8ELNS1_3repE0EEENS1_30default_config_static_selectorELNS0_4arch9wavefront6targetE1EEEvT1_
	.p2align	8
	.type	_ZN7rocprim17ROCPRIM_400000_NS6detail17trampoline_kernelINS0_14default_configENS1_25partition_config_selectorILNS1_17partition_subalgoE1EsNS0_10empty_typeEbEEZZNS1_14partition_implILS5_1ELb0ES3_jN6thrust23THRUST_200600_302600_NS6detail15normal_iteratorINSA_10device_ptrIsEEEEPS6_NSA_18transform_iteratorI7is_evenIsESF_NSA_11use_defaultESK_EENS0_5tupleIJNSA_16discard_iteratorISK_EESO_EEENSM_IJSG_SG_EEES6_PlJS6_EEE10hipError_tPvRmT3_T4_T5_T6_T7_T9_mT8_P12ihipStream_tbDpT10_ENKUlT_T0_E_clISt17integral_constantIbLb1EES1A_IbLb0EEEEDaS16_S17_EUlS16_E_NS1_11comp_targetILNS1_3genE4ELNS1_11target_archE910ELNS1_3gpuE8ELNS1_3repE0EEENS1_30default_config_static_selectorELNS0_4arch9wavefront6targetE1EEEvT1_,@function
_ZN7rocprim17ROCPRIM_400000_NS6detail17trampoline_kernelINS0_14default_configENS1_25partition_config_selectorILNS1_17partition_subalgoE1EsNS0_10empty_typeEbEEZZNS1_14partition_implILS5_1ELb0ES3_jN6thrust23THRUST_200600_302600_NS6detail15normal_iteratorINSA_10device_ptrIsEEEEPS6_NSA_18transform_iteratorI7is_evenIsESF_NSA_11use_defaultESK_EENS0_5tupleIJNSA_16discard_iteratorISK_EESO_EEENSM_IJSG_SG_EEES6_PlJS6_EEE10hipError_tPvRmT3_T4_T5_T6_T7_T9_mT8_P12ihipStream_tbDpT10_ENKUlT_T0_E_clISt17integral_constantIbLb1EES1A_IbLb0EEEEDaS16_S17_EUlS16_E_NS1_11comp_targetILNS1_3genE4ELNS1_11target_archE910ELNS1_3gpuE8ELNS1_3repE0EEENS1_30default_config_static_selectorELNS0_4arch9wavefront6targetE1EEEvT1_: ; @_ZN7rocprim17ROCPRIM_400000_NS6detail17trampoline_kernelINS0_14default_configENS1_25partition_config_selectorILNS1_17partition_subalgoE1EsNS0_10empty_typeEbEEZZNS1_14partition_implILS5_1ELb0ES3_jN6thrust23THRUST_200600_302600_NS6detail15normal_iteratorINSA_10device_ptrIsEEEEPS6_NSA_18transform_iteratorI7is_evenIsESF_NSA_11use_defaultESK_EENS0_5tupleIJNSA_16discard_iteratorISK_EESO_EEENSM_IJSG_SG_EEES6_PlJS6_EEE10hipError_tPvRmT3_T4_T5_T6_T7_T9_mT8_P12ihipStream_tbDpT10_ENKUlT_T0_E_clISt17integral_constantIbLb1EES1A_IbLb0EEEEDaS16_S17_EUlS16_E_NS1_11comp_targetILNS1_3genE4ELNS1_11target_archE910ELNS1_3gpuE8ELNS1_3repE0EEENS1_30default_config_static_selectorELNS0_4arch9wavefront6targetE1EEEvT1_
; %bb.0:
	.section	.rodata,"a",@progbits
	.p2align	6, 0x0
	.amdhsa_kernel _ZN7rocprim17ROCPRIM_400000_NS6detail17trampoline_kernelINS0_14default_configENS1_25partition_config_selectorILNS1_17partition_subalgoE1EsNS0_10empty_typeEbEEZZNS1_14partition_implILS5_1ELb0ES3_jN6thrust23THRUST_200600_302600_NS6detail15normal_iteratorINSA_10device_ptrIsEEEEPS6_NSA_18transform_iteratorI7is_evenIsESF_NSA_11use_defaultESK_EENS0_5tupleIJNSA_16discard_iteratorISK_EESO_EEENSM_IJSG_SG_EEES6_PlJS6_EEE10hipError_tPvRmT3_T4_T5_T6_T7_T9_mT8_P12ihipStream_tbDpT10_ENKUlT_T0_E_clISt17integral_constantIbLb1EES1A_IbLb0EEEEDaS16_S17_EUlS16_E_NS1_11comp_targetILNS1_3genE4ELNS1_11target_archE910ELNS1_3gpuE8ELNS1_3repE0EEENS1_30default_config_static_selectorELNS0_4arch9wavefront6targetE1EEEvT1_
		.amdhsa_group_segment_fixed_size 0
		.amdhsa_private_segment_fixed_size 0
		.amdhsa_kernarg_size 144
		.amdhsa_user_sgpr_count 2
		.amdhsa_user_sgpr_dispatch_ptr 0
		.amdhsa_user_sgpr_queue_ptr 0
		.amdhsa_user_sgpr_kernarg_segment_ptr 1
		.amdhsa_user_sgpr_dispatch_id 0
		.amdhsa_user_sgpr_kernarg_preload_length 0
		.amdhsa_user_sgpr_kernarg_preload_offset 0
		.amdhsa_user_sgpr_private_segment_size 0
		.amdhsa_uses_dynamic_stack 0
		.amdhsa_enable_private_segment 0
		.amdhsa_system_sgpr_workgroup_id_x 1
		.amdhsa_system_sgpr_workgroup_id_y 0
		.amdhsa_system_sgpr_workgroup_id_z 0
		.amdhsa_system_sgpr_workgroup_info 0
		.amdhsa_system_vgpr_workitem_id 0
		.amdhsa_next_free_vgpr 1
		.amdhsa_next_free_sgpr 0
		.amdhsa_accum_offset 4
		.amdhsa_reserve_vcc 0
		.amdhsa_float_round_mode_32 0
		.amdhsa_float_round_mode_16_64 0
		.amdhsa_float_denorm_mode_32 3
		.amdhsa_float_denorm_mode_16_64 3
		.amdhsa_dx10_clamp 1
		.amdhsa_ieee_mode 1
		.amdhsa_fp16_overflow 0
		.amdhsa_tg_split 0
		.amdhsa_exception_fp_ieee_invalid_op 0
		.amdhsa_exception_fp_denorm_src 0
		.amdhsa_exception_fp_ieee_div_zero 0
		.amdhsa_exception_fp_ieee_overflow 0
		.amdhsa_exception_fp_ieee_underflow 0
		.amdhsa_exception_fp_ieee_inexact 0
		.amdhsa_exception_int_div_zero 0
	.end_amdhsa_kernel
	.section	.text._ZN7rocprim17ROCPRIM_400000_NS6detail17trampoline_kernelINS0_14default_configENS1_25partition_config_selectorILNS1_17partition_subalgoE1EsNS0_10empty_typeEbEEZZNS1_14partition_implILS5_1ELb0ES3_jN6thrust23THRUST_200600_302600_NS6detail15normal_iteratorINSA_10device_ptrIsEEEEPS6_NSA_18transform_iteratorI7is_evenIsESF_NSA_11use_defaultESK_EENS0_5tupleIJNSA_16discard_iteratorISK_EESO_EEENSM_IJSG_SG_EEES6_PlJS6_EEE10hipError_tPvRmT3_T4_T5_T6_T7_T9_mT8_P12ihipStream_tbDpT10_ENKUlT_T0_E_clISt17integral_constantIbLb1EES1A_IbLb0EEEEDaS16_S17_EUlS16_E_NS1_11comp_targetILNS1_3genE4ELNS1_11target_archE910ELNS1_3gpuE8ELNS1_3repE0EEENS1_30default_config_static_selectorELNS0_4arch9wavefront6targetE1EEEvT1_,"axG",@progbits,_ZN7rocprim17ROCPRIM_400000_NS6detail17trampoline_kernelINS0_14default_configENS1_25partition_config_selectorILNS1_17partition_subalgoE1EsNS0_10empty_typeEbEEZZNS1_14partition_implILS5_1ELb0ES3_jN6thrust23THRUST_200600_302600_NS6detail15normal_iteratorINSA_10device_ptrIsEEEEPS6_NSA_18transform_iteratorI7is_evenIsESF_NSA_11use_defaultESK_EENS0_5tupleIJNSA_16discard_iteratorISK_EESO_EEENSM_IJSG_SG_EEES6_PlJS6_EEE10hipError_tPvRmT3_T4_T5_T6_T7_T9_mT8_P12ihipStream_tbDpT10_ENKUlT_T0_E_clISt17integral_constantIbLb1EES1A_IbLb0EEEEDaS16_S17_EUlS16_E_NS1_11comp_targetILNS1_3genE4ELNS1_11target_archE910ELNS1_3gpuE8ELNS1_3repE0EEENS1_30default_config_static_selectorELNS0_4arch9wavefront6targetE1EEEvT1_,comdat
.Lfunc_end3373:
	.size	_ZN7rocprim17ROCPRIM_400000_NS6detail17trampoline_kernelINS0_14default_configENS1_25partition_config_selectorILNS1_17partition_subalgoE1EsNS0_10empty_typeEbEEZZNS1_14partition_implILS5_1ELb0ES3_jN6thrust23THRUST_200600_302600_NS6detail15normal_iteratorINSA_10device_ptrIsEEEEPS6_NSA_18transform_iteratorI7is_evenIsESF_NSA_11use_defaultESK_EENS0_5tupleIJNSA_16discard_iteratorISK_EESO_EEENSM_IJSG_SG_EEES6_PlJS6_EEE10hipError_tPvRmT3_T4_T5_T6_T7_T9_mT8_P12ihipStream_tbDpT10_ENKUlT_T0_E_clISt17integral_constantIbLb1EES1A_IbLb0EEEEDaS16_S17_EUlS16_E_NS1_11comp_targetILNS1_3genE4ELNS1_11target_archE910ELNS1_3gpuE8ELNS1_3repE0EEENS1_30default_config_static_selectorELNS0_4arch9wavefront6targetE1EEEvT1_, .Lfunc_end3373-_ZN7rocprim17ROCPRIM_400000_NS6detail17trampoline_kernelINS0_14default_configENS1_25partition_config_selectorILNS1_17partition_subalgoE1EsNS0_10empty_typeEbEEZZNS1_14partition_implILS5_1ELb0ES3_jN6thrust23THRUST_200600_302600_NS6detail15normal_iteratorINSA_10device_ptrIsEEEEPS6_NSA_18transform_iteratorI7is_evenIsESF_NSA_11use_defaultESK_EENS0_5tupleIJNSA_16discard_iteratorISK_EESO_EEENSM_IJSG_SG_EEES6_PlJS6_EEE10hipError_tPvRmT3_T4_T5_T6_T7_T9_mT8_P12ihipStream_tbDpT10_ENKUlT_T0_E_clISt17integral_constantIbLb1EES1A_IbLb0EEEEDaS16_S17_EUlS16_E_NS1_11comp_targetILNS1_3genE4ELNS1_11target_archE910ELNS1_3gpuE8ELNS1_3repE0EEENS1_30default_config_static_selectorELNS0_4arch9wavefront6targetE1EEEvT1_
                                        ; -- End function
	.section	.AMDGPU.csdata,"",@progbits
; Kernel info:
; codeLenInByte = 0
; NumSgprs: 6
; NumVgprs: 0
; NumAgprs: 0
; TotalNumVgprs: 0
; ScratchSize: 0
; MemoryBound: 0
; FloatMode: 240
; IeeeMode: 1
; LDSByteSize: 0 bytes/workgroup (compile time only)
; SGPRBlocks: 0
; VGPRBlocks: 0
; NumSGPRsForWavesPerEU: 6
; NumVGPRsForWavesPerEU: 1
; AccumOffset: 4
; Occupancy: 8
; WaveLimiterHint : 0
; COMPUTE_PGM_RSRC2:SCRATCH_EN: 0
; COMPUTE_PGM_RSRC2:USER_SGPR: 2
; COMPUTE_PGM_RSRC2:TRAP_HANDLER: 0
; COMPUTE_PGM_RSRC2:TGID_X_EN: 1
; COMPUTE_PGM_RSRC2:TGID_Y_EN: 0
; COMPUTE_PGM_RSRC2:TGID_Z_EN: 0
; COMPUTE_PGM_RSRC2:TIDIG_COMP_CNT: 0
; COMPUTE_PGM_RSRC3_GFX90A:ACCUM_OFFSET: 0
; COMPUTE_PGM_RSRC3_GFX90A:TG_SPLIT: 0
	.section	.text._ZN7rocprim17ROCPRIM_400000_NS6detail17trampoline_kernelINS0_14default_configENS1_25partition_config_selectorILNS1_17partition_subalgoE1EsNS0_10empty_typeEbEEZZNS1_14partition_implILS5_1ELb0ES3_jN6thrust23THRUST_200600_302600_NS6detail15normal_iteratorINSA_10device_ptrIsEEEEPS6_NSA_18transform_iteratorI7is_evenIsESF_NSA_11use_defaultESK_EENS0_5tupleIJNSA_16discard_iteratorISK_EESO_EEENSM_IJSG_SG_EEES6_PlJS6_EEE10hipError_tPvRmT3_T4_T5_T6_T7_T9_mT8_P12ihipStream_tbDpT10_ENKUlT_T0_E_clISt17integral_constantIbLb1EES1A_IbLb0EEEEDaS16_S17_EUlS16_E_NS1_11comp_targetILNS1_3genE3ELNS1_11target_archE908ELNS1_3gpuE7ELNS1_3repE0EEENS1_30default_config_static_selectorELNS0_4arch9wavefront6targetE1EEEvT1_,"axG",@progbits,_ZN7rocprim17ROCPRIM_400000_NS6detail17trampoline_kernelINS0_14default_configENS1_25partition_config_selectorILNS1_17partition_subalgoE1EsNS0_10empty_typeEbEEZZNS1_14partition_implILS5_1ELb0ES3_jN6thrust23THRUST_200600_302600_NS6detail15normal_iteratorINSA_10device_ptrIsEEEEPS6_NSA_18transform_iteratorI7is_evenIsESF_NSA_11use_defaultESK_EENS0_5tupleIJNSA_16discard_iteratorISK_EESO_EEENSM_IJSG_SG_EEES6_PlJS6_EEE10hipError_tPvRmT3_T4_T5_T6_T7_T9_mT8_P12ihipStream_tbDpT10_ENKUlT_T0_E_clISt17integral_constantIbLb1EES1A_IbLb0EEEEDaS16_S17_EUlS16_E_NS1_11comp_targetILNS1_3genE3ELNS1_11target_archE908ELNS1_3gpuE7ELNS1_3repE0EEENS1_30default_config_static_selectorELNS0_4arch9wavefront6targetE1EEEvT1_,comdat
	.protected	_ZN7rocprim17ROCPRIM_400000_NS6detail17trampoline_kernelINS0_14default_configENS1_25partition_config_selectorILNS1_17partition_subalgoE1EsNS0_10empty_typeEbEEZZNS1_14partition_implILS5_1ELb0ES3_jN6thrust23THRUST_200600_302600_NS6detail15normal_iteratorINSA_10device_ptrIsEEEEPS6_NSA_18transform_iteratorI7is_evenIsESF_NSA_11use_defaultESK_EENS0_5tupleIJNSA_16discard_iteratorISK_EESO_EEENSM_IJSG_SG_EEES6_PlJS6_EEE10hipError_tPvRmT3_T4_T5_T6_T7_T9_mT8_P12ihipStream_tbDpT10_ENKUlT_T0_E_clISt17integral_constantIbLb1EES1A_IbLb0EEEEDaS16_S17_EUlS16_E_NS1_11comp_targetILNS1_3genE3ELNS1_11target_archE908ELNS1_3gpuE7ELNS1_3repE0EEENS1_30default_config_static_selectorELNS0_4arch9wavefront6targetE1EEEvT1_ ; -- Begin function _ZN7rocprim17ROCPRIM_400000_NS6detail17trampoline_kernelINS0_14default_configENS1_25partition_config_selectorILNS1_17partition_subalgoE1EsNS0_10empty_typeEbEEZZNS1_14partition_implILS5_1ELb0ES3_jN6thrust23THRUST_200600_302600_NS6detail15normal_iteratorINSA_10device_ptrIsEEEEPS6_NSA_18transform_iteratorI7is_evenIsESF_NSA_11use_defaultESK_EENS0_5tupleIJNSA_16discard_iteratorISK_EESO_EEENSM_IJSG_SG_EEES6_PlJS6_EEE10hipError_tPvRmT3_T4_T5_T6_T7_T9_mT8_P12ihipStream_tbDpT10_ENKUlT_T0_E_clISt17integral_constantIbLb1EES1A_IbLb0EEEEDaS16_S17_EUlS16_E_NS1_11comp_targetILNS1_3genE3ELNS1_11target_archE908ELNS1_3gpuE7ELNS1_3repE0EEENS1_30default_config_static_selectorELNS0_4arch9wavefront6targetE1EEEvT1_
	.globl	_ZN7rocprim17ROCPRIM_400000_NS6detail17trampoline_kernelINS0_14default_configENS1_25partition_config_selectorILNS1_17partition_subalgoE1EsNS0_10empty_typeEbEEZZNS1_14partition_implILS5_1ELb0ES3_jN6thrust23THRUST_200600_302600_NS6detail15normal_iteratorINSA_10device_ptrIsEEEEPS6_NSA_18transform_iteratorI7is_evenIsESF_NSA_11use_defaultESK_EENS0_5tupleIJNSA_16discard_iteratorISK_EESO_EEENSM_IJSG_SG_EEES6_PlJS6_EEE10hipError_tPvRmT3_T4_T5_T6_T7_T9_mT8_P12ihipStream_tbDpT10_ENKUlT_T0_E_clISt17integral_constantIbLb1EES1A_IbLb0EEEEDaS16_S17_EUlS16_E_NS1_11comp_targetILNS1_3genE3ELNS1_11target_archE908ELNS1_3gpuE7ELNS1_3repE0EEENS1_30default_config_static_selectorELNS0_4arch9wavefront6targetE1EEEvT1_
	.p2align	8
	.type	_ZN7rocprim17ROCPRIM_400000_NS6detail17trampoline_kernelINS0_14default_configENS1_25partition_config_selectorILNS1_17partition_subalgoE1EsNS0_10empty_typeEbEEZZNS1_14partition_implILS5_1ELb0ES3_jN6thrust23THRUST_200600_302600_NS6detail15normal_iteratorINSA_10device_ptrIsEEEEPS6_NSA_18transform_iteratorI7is_evenIsESF_NSA_11use_defaultESK_EENS0_5tupleIJNSA_16discard_iteratorISK_EESO_EEENSM_IJSG_SG_EEES6_PlJS6_EEE10hipError_tPvRmT3_T4_T5_T6_T7_T9_mT8_P12ihipStream_tbDpT10_ENKUlT_T0_E_clISt17integral_constantIbLb1EES1A_IbLb0EEEEDaS16_S17_EUlS16_E_NS1_11comp_targetILNS1_3genE3ELNS1_11target_archE908ELNS1_3gpuE7ELNS1_3repE0EEENS1_30default_config_static_selectorELNS0_4arch9wavefront6targetE1EEEvT1_,@function
_ZN7rocprim17ROCPRIM_400000_NS6detail17trampoline_kernelINS0_14default_configENS1_25partition_config_selectorILNS1_17partition_subalgoE1EsNS0_10empty_typeEbEEZZNS1_14partition_implILS5_1ELb0ES3_jN6thrust23THRUST_200600_302600_NS6detail15normal_iteratorINSA_10device_ptrIsEEEEPS6_NSA_18transform_iteratorI7is_evenIsESF_NSA_11use_defaultESK_EENS0_5tupleIJNSA_16discard_iteratorISK_EESO_EEENSM_IJSG_SG_EEES6_PlJS6_EEE10hipError_tPvRmT3_T4_T5_T6_T7_T9_mT8_P12ihipStream_tbDpT10_ENKUlT_T0_E_clISt17integral_constantIbLb1EES1A_IbLb0EEEEDaS16_S17_EUlS16_E_NS1_11comp_targetILNS1_3genE3ELNS1_11target_archE908ELNS1_3gpuE7ELNS1_3repE0EEENS1_30default_config_static_selectorELNS0_4arch9wavefront6targetE1EEEvT1_: ; @_ZN7rocprim17ROCPRIM_400000_NS6detail17trampoline_kernelINS0_14default_configENS1_25partition_config_selectorILNS1_17partition_subalgoE1EsNS0_10empty_typeEbEEZZNS1_14partition_implILS5_1ELb0ES3_jN6thrust23THRUST_200600_302600_NS6detail15normal_iteratorINSA_10device_ptrIsEEEEPS6_NSA_18transform_iteratorI7is_evenIsESF_NSA_11use_defaultESK_EENS0_5tupleIJNSA_16discard_iteratorISK_EESO_EEENSM_IJSG_SG_EEES6_PlJS6_EEE10hipError_tPvRmT3_T4_T5_T6_T7_T9_mT8_P12ihipStream_tbDpT10_ENKUlT_T0_E_clISt17integral_constantIbLb1EES1A_IbLb0EEEEDaS16_S17_EUlS16_E_NS1_11comp_targetILNS1_3genE3ELNS1_11target_archE908ELNS1_3gpuE7ELNS1_3repE0EEENS1_30default_config_static_selectorELNS0_4arch9wavefront6targetE1EEEvT1_
; %bb.0:
	.section	.rodata,"a",@progbits
	.p2align	6, 0x0
	.amdhsa_kernel _ZN7rocprim17ROCPRIM_400000_NS6detail17trampoline_kernelINS0_14default_configENS1_25partition_config_selectorILNS1_17partition_subalgoE1EsNS0_10empty_typeEbEEZZNS1_14partition_implILS5_1ELb0ES3_jN6thrust23THRUST_200600_302600_NS6detail15normal_iteratorINSA_10device_ptrIsEEEEPS6_NSA_18transform_iteratorI7is_evenIsESF_NSA_11use_defaultESK_EENS0_5tupleIJNSA_16discard_iteratorISK_EESO_EEENSM_IJSG_SG_EEES6_PlJS6_EEE10hipError_tPvRmT3_T4_T5_T6_T7_T9_mT8_P12ihipStream_tbDpT10_ENKUlT_T0_E_clISt17integral_constantIbLb1EES1A_IbLb0EEEEDaS16_S17_EUlS16_E_NS1_11comp_targetILNS1_3genE3ELNS1_11target_archE908ELNS1_3gpuE7ELNS1_3repE0EEENS1_30default_config_static_selectorELNS0_4arch9wavefront6targetE1EEEvT1_
		.amdhsa_group_segment_fixed_size 0
		.amdhsa_private_segment_fixed_size 0
		.amdhsa_kernarg_size 144
		.amdhsa_user_sgpr_count 2
		.amdhsa_user_sgpr_dispatch_ptr 0
		.amdhsa_user_sgpr_queue_ptr 0
		.amdhsa_user_sgpr_kernarg_segment_ptr 1
		.amdhsa_user_sgpr_dispatch_id 0
		.amdhsa_user_sgpr_kernarg_preload_length 0
		.amdhsa_user_sgpr_kernarg_preload_offset 0
		.amdhsa_user_sgpr_private_segment_size 0
		.amdhsa_uses_dynamic_stack 0
		.amdhsa_enable_private_segment 0
		.amdhsa_system_sgpr_workgroup_id_x 1
		.amdhsa_system_sgpr_workgroup_id_y 0
		.amdhsa_system_sgpr_workgroup_id_z 0
		.amdhsa_system_sgpr_workgroup_info 0
		.amdhsa_system_vgpr_workitem_id 0
		.amdhsa_next_free_vgpr 1
		.amdhsa_next_free_sgpr 0
		.amdhsa_accum_offset 4
		.amdhsa_reserve_vcc 0
		.amdhsa_float_round_mode_32 0
		.amdhsa_float_round_mode_16_64 0
		.amdhsa_float_denorm_mode_32 3
		.amdhsa_float_denorm_mode_16_64 3
		.amdhsa_dx10_clamp 1
		.amdhsa_ieee_mode 1
		.amdhsa_fp16_overflow 0
		.amdhsa_tg_split 0
		.amdhsa_exception_fp_ieee_invalid_op 0
		.amdhsa_exception_fp_denorm_src 0
		.amdhsa_exception_fp_ieee_div_zero 0
		.amdhsa_exception_fp_ieee_overflow 0
		.amdhsa_exception_fp_ieee_underflow 0
		.amdhsa_exception_fp_ieee_inexact 0
		.amdhsa_exception_int_div_zero 0
	.end_amdhsa_kernel
	.section	.text._ZN7rocprim17ROCPRIM_400000_NS6detail17trampoline_kernelINS0_14default_configENS1_25partition_config_selectorILNS1_17partition_subalgoE1EsNS0_10empty_typeEbEEZZNS1_14partition_implILS5_1ELb0ES3_jN6thrust23THRUST_200600_302600_NS6detail15normal_iteratorINSA_10device_ptrIsEEEEPS6_NSA_18transform_iteratorI7is_evenIsESF_NSA_11use_defaultESK_EENS0_5tupleIJNSA_16discard_iteratorISK_EESO_EEENSM_IJSG_SG_EEES6_PlJS6_EEE10hipError_tPvRmT3_T4_T5_T6_T7_T9_mT8_P12ihipStream_tbDpT10_ENKUlT_T0_E_clISt17integral_constantIbLb1EES1A_IbLb0EEEEDaS16_S17_EUlS16_E_NS1_11comp_targetILNS1_3genE3ELNS1_11target_archE908ELNS1_3gpuE7ELNS1_3repE0EEENS1_30default_config_static_selectorELNS0_4arch9wavefront6targetE1EEEvT1_,"axG",@progbits,_ZN7rocprim17ROCPRIM_400000_NS6detail17trampoline_kernelINS0_14default_configENS1_25partition_config_selectorILNS1_17partition_subalgoE1EsNS0_10empty_typeEbEEZZNS1_14partition_implILS5_1ELb0ES3_jN6thrust23THRUST_200600_302600_NS6detail15normal_iteratorINSA_10device_ptrIsEEEEPS6_NSA_18transform_iteratorI7is_evenIsESF_NSA_11use_defaultESK_EENS0_5tupleIJNSA_16discard_iteratorISK_EESO_EEENSM_IJSG_SG_EEES6_PlJS6_EEE10hipError_tPvRmT3_T4_T5_T6_T7_T9_mT8_P12ihipStream_tbDpT10_ENKUlT_T0_E_clISt17integral_constantIbLb1EES1A_IbLb0EEEEDaS16_S17_EUlS16_E_NS1_11comp_targetILNS1_3genE3ELNS1_11target_archE908ELNS1_3gpuE7ELNS1_3repE0EEENS1_30default_config_static_selectorELNS0_4arch9wavefront6targetE1EEEvT1_,comdat
.Lfunc_end3374:
	.size	_ZN7rocprim17ROCPRIM_400000_NS6detail17trampoline_kernelINS0_14default_configENS1_25partition_config_selectorILNS1_17partition_subalgoE1EsNS0_10empty_typeEbEEZZNS1_14partition_implILS5_1ELb0ES3_jN6thrust23THRUST_200600_302600_NS6detail15normal_iteratorINSA_10device_ptrIsEEEEPS6_NSA_18transform_iteratorI7is_evenIsESF_NSA_11use_defaultESK_EENS0_5tupleIJNSA_16discard_iteratorISK_EESO_EEENSM_IJSG_SG_EEES6_PlJS6_EEE10hipError_tPvRmT3_T4_T5_T6_T7_T9_mT8_P12ihipStream_tbDpT10_ENKUlT_T0_E_clISt17integral_constantIbLb1EES1A_IbLb0EEEEDaS16_S17_EUlS16_E_NS1_11comp_targetILNS1_3genE3ELNS1_11target_archE908ELNS1_3gpuE7ELNS1_3repE0EEENS1_30default_config_static_selectorELNS0_4arch9wavefront6targetE1EEEvT1_, .Lfunc_end3374-_ZN7rocprim17ROCPRIM_400000_NS6detail17trampoline_kernelINS0_14default_configENS1_25partition_config_selectorILNS1_17partition_subalgoE1EsNS0_10empty_typeEbEEZZNS1_14partition_implILS5_1ELb0ES3_jN6thrust23THRUST_200600_302600_NS6detail15normal_iteratorINSA_10device_ptrIsEEEEPS6_NSA_18transform_iteratorI7is_evenIsESF_NSA_11use_defaultESK_EENS0_5tupleIJNSA_16discard_iteratorISK_EESO_EEENSM_IJSG_SG_EEES6_PlJS6_EEE10hipError_tPvRmT3_T4_T5_T6_T7_T9_mT8_P12ihipStream_tbDpT10_ENKUlT_T0_E_clISt17integral_constantIbLb1EES1A_IbLb0EEEEDaS16_S17_EUlS16_E_NS1_11comp_targetILNS1_3genE3ELNS1_11target_archE908ELNS1_3gpuE7ELNS1_3repE0EEENS1_30default_config_static_selectorELNS0_4arch9wavefront6targetE1EEEvT1_
                                        ; -- End function
	.section	.AMDGPU.csdata,"",@progbits
; Kernel info:
; codeLenInByte = 0
; NumSgprs: 6
; NumVgprs: 0
; NumAgprs: 0
; TotalNumVgprs: 0
; ScratchSize: 0
; MemoryBound: 0
; FloatMode: 240
; IeeeMode: 1
; LDSByteSize: 0 bytes/workgroup (compile time only)
; SGPRBlocks: 0
; VGPRBlocks: 0
; NumSGPRsForWavesPerEU: 6
; NumVGPRsForWavesPerEU: 1
; AccumOffset: 4
; Occupancy: 8
; WaveLimiterHint : 0
; COMPUTE_PGM_RSRC2:SCRATCH_EN: 0
; COMPUTE_PGM_RSRC2:USER_SGPR: 2
; COMPUTE_PGM_RSRC2:TRAP_HANDLER: 0
; COMPUTE_PGM_RSRC2:TGID_X_EN: 1
; COMPUTE_PGM_RSRC2:TGID_Y_EN: 0
; COMPUTE_PGM_RSRC2:TGID_Z_EN: 0
; COMPUTE_PGM_RSRC2:TIDIG_COMP_CNT: 0
; COMPUTE_PGM_RSRC3_GFX90A:ACCUM_OFFSET: 0
; COMPUTE_PGM_RSRC3_GFX90A:TG_SPLIT: 0
	.section	.text._ZN7rocprim17ROCPRIM_400000_NS6detail17trampoline_kernelINS0_14default_configENS1_25partition_config_selectorILNS1_17partition_subalgoE1EsNS0_10empty_typeEbEEZZNS1_14partition_implILS5_1ELb0ES3_jN6thrust23THRUST_200600_302600_NS6detail15normal_iteratorINSA_10device_ptrIsEEEEPS6_NSA_18transform_iteratorI7is_evenIsESF_NSA_11use_defaultESK_EENS0_5tupleIJNSA_16discard_iteratorISK_EESO_EEENSM_IJSG_SG_EEES6_PlJS6_EEE10hipError_tPvRmT3_T4_T5_T6_T7_T9_mT8_P12ihipStream_tbDpT10_ENKUlT_T0_E_clISt17integral_constantIbLb1EES1A_IbLb0EEEEDaS16_S17_EUlS16_E_NS1_11comp_targetILNS1_3genE2ELNS1_11target_archE906ELNS1_3gpuE6ELNS1_3repE0EEENS1_30default_config_static_selectorELNS0_4arch9wavefront6targetE1EEEvT1_,"axG",@progbits,_ZN7rocprim17ROCPRIM_400000_NS6detail17trampoline_kernelINS0_14default_configENS1_25partition_config_selectorILNS1_17partition_subalgoE1EsNS0_10empty_typeEbEEZZNS1_14partition_implILS5_1ELb0ES3_jN6thrust23THRUST_200600_302600_NS6detail15normal_iteratorINSA_10device_ptrIsEEEEPS6_NSA_18transform_iteratorI7is_evenIsESF_NSA_11use_defaultESK_EENS0_5tupleIJNSA_16discard_iteratorISK_EESO_EEENSM_IJSG_SG_EEES6_PlJS6_EEE10hipError_tPvRmT3_T4_T5_T6_T7_T9_mT8_P12ihipStream_tbDpT10_ENKUlT_T0_E_clISt17integral_constantIbLb1EES1A_IbLb0EEEEDaS16_S17_EUlS16_E_NS1_11comp_targetILNS1_3genE2ELNS1_11target_archE906ELNS1_3gpuE6ELNS1_3repE0EEENS1_30default_config_static_selectorELNS0_4arch9wavefront6targetE1EEEvT1_,comdat
	.protected	_ZN7rocprim17ROCPRIM_400000_NS6detail17trampoline_kernelINS0_14default_configENS1_25partition_config_selectorILNS1_17partition_subalgoE1EsNS0_10empty_typeEbEEZZNS1_14partition_implILS5_1ELb0ES3_jN6thrust23THRUST_200600_302600_NS6detail15normal_iteratorINSA_10device_ptrIsEEEEPS6_NSA_18transform_iteratorI7is_evenIsESF_NSA_11use_defaultESK_EENS0_5tupleIJNSA_16discard_iteratorISK_EESO_EEENSM_IJSG_SG_EEES6_PlJS6_EEE10hipError_tPvRmT3_T4_T5_T6_T7_T9_mT8_P12ihipStream_tbDpT10_ENKUlT_T0_E_clISt17integral_constantIbLb1EES1A_IbLb0EEEEDaS16_S17_EUlS16_E_NS1_11comp_targetILNS1_3genE2ELNS1_11target_archE906ELNS1_3gpuE6ELNS1_3repE0EEENS1_30default_config_static_selectorELNS0_4arch9wavefront6targetE1EEEvT1_ ; -- Begin function _ZN7rocprim17ROCPRIM_400000_NS6detail17trampoline_kernelINS0_14default_configENS1_25partition_config_selectorILNS1_17partition_subalgoE1EsNS0_10empty_typeEbEEZZNS1_14partition_implILS5_1ELb0ES3_jN6thrust23THRUST_200600_302600_NS6detail15normal_iteratorINSA_10device_ptrIsEEEEPS6_NSA_18transform_iteratorI7is_evenIsESF_NSA_11use_defaultESK_EENS0_5tupleIJNSA_16discard_iteratorISK_EESO_EEENSM_IJSG_SG_EEES6_PlJS6_EEE10hipError_tPvRmT3_T4_T5_T6_T7_T9_mT8_P12ihipStream_tbDpT10_ENKUlT_T0_E_clISt17integral_constantIbLb1EES1A_IbLb0EEEEDaS16_S17_EUlS16_E_NS1_11comp_targetILNS1_3genE2ELNS1_11target_archE906ELNS1_3gpuE6ELNS1_3repE0EEENS1_30default_config_static_selectorELNS0_4arch9wavefront6targetE1EEEvT1_
	.globl	_ZN7rocprim17ROCPRIM_400000_NS6detail17trampoline_kernelINS0_14default_configENS1_25partition_config_selectorILNS1_17partition_subalgoE1EsNS0_10empty_typeEbEEZZNS1_14partition_implILS5_1ELb0ES3_jN6thrust23THRUST_200600_302600_NS6detail15normal_iteratorINSA_10device_ptrIsEEEEPS6_NSA_18transform_iteratorI7is_evenIsESF_NSA_11use_defaultESK_EENS0_5tupleIJNSA_16discard_iteratorISK_EESO_EEENSM_IJSG_SG_EEES6_PlJS6_EEE10hipError_tPvRmT3_T4_T5_T6_T7_T9_mT8_P12ihipStream_tbDpT10_ENKUlT_T0_E_clISt17integral_constantIbLb1EES1A_IbLb0EEEEDaS16_S17_EUlS16_E_NS1_11comp_targetILNS1_3genE2ELNS1_11target_archE906ELNS1_3gpuE6ELNS1_3repE0EEENS1_30default_config_static_selectorELNS0_4arch9wavefront6targetE1EEEvT1_
	.p2align	8
	.type	_ZN7rocprim17ROCPRIM_400000_NS6detail17trampoline_kernelINS0_14default_configENS1_25partition_config_selectorILNS1_17partition_subalgoE1EsNS0_10empty_typeEbEEZZNS1_14partition_implILS5_1ELb0ES3_jN6thrust23THRUST_200600_302600_NS6detail15normal_iteratorINSA_10device_ptrIsEEEEPS6_NSA_18transform_iteratorI7is_evenIsESF_NSA_11use_defaultESK_EENS0_5tupleIJNSA_16discard_iteratorISK_EESO_EEENSM_IJSG_SG_EEES6_PlJS6_EEE10hipError_tPvRmT3_T4_T5_T6_T7_T9_mT8_P12ihipStream_tbDpT10_ENKUlT_T0_E_clISt17integral_constantIbLb1EES1A_IbLb0EEEEDaS16_S17_EUlS16_E_NS1_11comp_targetILNS1_3genE2ELNS1_11target_archE906ELNS1_3gpuE6ELNS1_3repE0EEENS1_30default_config_static_selectorELNS0_4arch9wavefront6targetE1EEEvT1_,@function
_ZN7rocprim17ROCPRIM_400000_NS6detail17trampoline_kernelINS0_14default_configENS1_25partition_config_selectorILNS1_17partition_subalgoE1EsNS0_10empty_typeEbEEZZNS1_14partition_implILS5_1ELb0ES3_jN6thrust23THRUST_200600_302600_NS6detail15normal_iteratorINSA_10device_ptrIsEEEEPS6_NSA_18transform_iteratorI7is_evenIsESF_NSA_11use_defaultESK_EENS0_5tupleIJNSA_16discard_iteratorISK_EESO_EEENSM_IJSG_SG_EEES6_PlJS6_EEE10hipError_tPvRmT3_T4_T5_T6_T7_T9_mT8_P12ihipStream_tbDpT10_ENKUlT_T0_E_clISt17integral_constantIbLb1EES1A_IbLb0EEEEDaS16_S17_EUlS16_E_NS1_11comp_targetILNS1_3genE2ELNS1_11target_archE906ELNS1_3gpuE6ELNS1_3repE0EEENS1_30default_config_static_selectorELNS0_4arch9wavefront6targetE1EEEvT1_: ; @_ZN7rocprim17ROCPRIM_400000_NS6detail17trampoline_kernelINS0_14default_configENS1_25partition_config_selectorILNS1_17partition_subalgoE1EsNS0_10empty_typeEbEEZZNS1_14partition_implILS5_1ELb0ES3_jN6thrust23THRUST_200600_302600_NS6detail15normal_iteratorINSA_10device_ptrIsEEEEPS6_NSA_18transform_iteratorI7is_evenIsESF_NSA_11use_defaultESK_EENS0_5tupleIJNSA_16discard_iteratorISK_EESO_EEENSM_IJSG_SG_EEES6_PlJS6_EEE10hipError_tPvRmT3_T4_T5_T6_T7_T9_mT8_P12ihipStream_tbDpT10_ENKUlT_T0_E_clISt17integral_constantIbLb1EES1A_IbLb0EEEEDaS16_S17_EUlS16_E_NS1_11comp_targetILNS1_3genE2ELNS1_11target_archE906ELNS1_3gpuE6ELNS1_3repE0EEENS1_30default_config_static_selectorELNS0_4arch9wavefront6targetE1EEEvT1_
; %bb.0:
	.section	.rodata,"a",@progbits
	.p2align	6, 0x0
	.amdhsa_kernel _ZN7rocprim17ROCPRIM_400000_NS6detail17trampoline_kernelINS0_14default_configENS1_25partition_config_selectorILNS1_17partition_subalgoE1EsNS0_10empty_typeEbEEZZNS1_14partition_implILS5_1ELb0ES3_jN6thrust23THRUST_200600_302600_NS6detail15normal_iteratorINSA_10device_ptrIsEEEEPS6_NSA_18transform_iteratorI7is_evenIsESF_NSA_11use_defaultESK_EENS0_5tupleIJNSA_16discard_iteratorISK_EESO_EEENSM_IJSG_SG_EEES6_PlJS6_EEE10hipError_tPvRmT3_T4_T5_T6_T7_T9_mT8_P12ihipStream_tbDpT10_ENKUlT_T0_E_clISt17integral_constantIbLb1EES1A_IbLb0EEEEDaS16_S17_EUlS16_E_NS1_11comp_targetILNS1_3genE2ELNS1_11target_archE906ELNS1_3gpuE6ELNS1_3repE0EEENS1_30default_config_static_selectorELNS0_4arch9wavefront6targetE1EEEvT1_
		.amdhsa_group_segment_fixed_size 0
		.amdhsa_private_segment_fixed_size 0
		.amdhsa_kernarg_size 144
		.amdhsa_user_sgpr_count 2
		.amdhsa_user_sgpr_dispatch_ptr 0
		.amdhsa_user_sgpr_queue_ptr 0
		.amdhsa_user_sgpr_kernarg_segment_ptr 1
		.amdhsa_user_sgpr_dispatch_id 0
		.amdhsa_user_sgpr_kernarg_preload_length 0
		.amdhsa_user_sgpr_kernarg_preload_offset 0
		.amdhsa_user_sgpr_private_segment_size 0
		.amdhsa_uses_dynamic_stack 0
		.amdhsa_enable_private_segment 0
		.amdhsa_system_sgpr_workgroup_id_x 1
		.amdhsa_system_sgpr_workgroup_id_y 0
		.amdhsa_system_sgpr_workgroup_id_z 0
		.amdhsa_system_sgpr_workgroup_info 0
		.amdhsa_system_vgpr_workitem_id 0
		.amdhsa_next_free_vgpr 1
		.amdhsa_next_free_sgpr 0
		.amdhsa_accum_offset 4
		.amdhsa_reserve_vcc 0
		.amdhsa_float_round_mode_32 0
		.amdhsa_float_round_mode_16_64 0
		.amdhsa_float_denorm_mode_32 3
		.amdhsa_float_denorm_mode_16_64 3
		.amdhsa_dx10_clamp 1
		.amdhsa_ieee_mode 1
		.amdhsa_fp16_overflow 0
		.amdhsa_tg_split 0
		.amdhsa_exception_fp_ieee_invalid_op 0
		.amdhsa_exception_fp_denorm_src 0
		.amdhsa_exception_fp_ieee_div_zero 0
		.amdhsa_exception_fp_ieee_overflow 0
		.amdhsa_exception_fp_ieee_underflow 0
		.amdhsa_exception_fp_ieee_inexact 0
		.amdhsa_exception_int_div_zero 0
	.end_amdhsa_kernel
	.section	.text._ZN7rocprim17ROCPRIM_400000_NS6detail17trampoline_kernelINS0_14default_configENS1_25partition_config_selectorILNS1_17partition_subalgoE1EsNS0_10empty_typeEbEEZZNS1_14partition_implILS5_1ELb0ES3_jN6thrust23THRUST_200600_302600_NS6detail15normal_iteratorINSA_10device_ptrIsEEEEPS6_NSA_18transform_iteratorI7is_evenIsESF_NSA_11use_defaultESK_EENS0_5tupleIJNSA_16discard_iteratorISK_EESO_EEENSM_IJSG_SG_EEES6_PlJS6_EEE10hipError_tPvRmT3_T4_T5_T6_T7_T9_mT8_P12ihipStream_tbDpT10_ENKUlT_T0_E_clISt17integral_constantIbLb1EES1A_IbLb0EEEEDaS16_S17_EUlS16_E_NS1_11comp_targetILNS1_3genE2ELNS1_11target_archE906ELNS1_3gpuE6ELNS1_3repE0EEENS1_30default_config_static_selectorELNS0_4arch9wavefront6targetE1EEEvT1_,"axG",@progbits,_ZN7rocprim17ROCPRIM_400000_NS6detail17trampoline_kernelINS0_14default_configENS1_25partition_config_selectorILNS1_17partition_subalgoE1EsNS0_10empty_typeEbEEZZNS1_14partition_implILS5_1ELb0ES3_jN6thrust23THRUST_200600_302600_NS6detail15normal_iteratorINSA_10device_ptrIsEEEEPS6_NSA_18transform_iteratorI7is_evenIsESF_NSA_11use_defaultESK_EENS0_5tupleIJNSA_16discard_iteratorISK_EESO_EEENSM_IJSG_SG_EEES6_PlJS6_EEE10hipError_tPvRmT3_T4_T5_T6_T7_T9_mT8_P12ihipStream_tbDpT10_ENKUlT_T0_E_clISt17integral_constantIbLb1EES1A_IbLb0EEEEDaS16_S17_EUlS16_E_NS1_11comp_targetILNS1_3genE2ELNS1_11target_archE906ELNS1_3gpuE6ELNS1_3repE0EEENS1_30default_config_static_selectorELNS0_4arch9wavefront6targetE1EEEvT1_,comdat
.Lfunc_end3375:
	.size	_ZN7rocprim17ROCPRIM_400000_NS6detail17trampoline_kernelINS0_14default_configENS1_25partition_config_selectorILNS1_17partition_subalgoE1EsNS0_10empty_typeEbEEZZNS1_14partition_implILS5_1ELb0ES3_jN6thrust23THRUST_200600_302600_NS6detail15normal_iteratorINSA_10device_ptrIsEEEEPS6_NSA_18transform_iteratorI7is_evenIsESF_NSA_11use_defaultESK_EENS0_5tupleIJNSA_16discard_iteratorISK_EESO_EEENSM_IJSG_SG_EEES6_PlJS6_EEE10hipError_tPvRmT3_T4_T5_T6_T7_T9_mT8_P12ihipStream_tbDpT10_ENKUlT_T0_E_clISt17integral_constantIbLb1EES1A_IbLb0EEEEDaS16_S17_EUlS16_E_NS1_11comp_targetILNS1_3genE2ELNS1_11target_archE906ELNS1_3gpuE6ELNS1_3repE0EEENS1_30default_config_static_selectorELNS0_4arch9wavefront6targetE1EEEvT1_, .Lfunc_end3375-_ZN7rocprim17ROCPRIM_400000_NS6detail17trampoline_kernelINS0_14default_configENS1_25partition_config_selectorILNS1_17partition_subalgoE1EsNS0_10empty_typeEbEEZZNS1_14partition_implILS5_1ELb0ES3_jN6thrust23THRUST_200600_302600_NS6detail15normal_iteratorINSA_10device_ptrIsEEEEPS6_NSA_18transform_iteratorI7is_evenIsESF_NSA_11use_defaultESK_EENS0_5tupleIJNSA_16discard_iteratorISK_EESO_EEENSM_IJSG_SG_EEES6_PlJS6_EEE10hipError_tPvRmT3_T4_T5_T6_T7_T9_mT8_P12ihipStream_tbDpT10_ENKUlT_T0_E_clISt17integral_constantIbLb1EES1A_IbLb0EEEEDaS16_S17_EUlS16_E_NS1_11comp_targetILNS1_3genE2ELNS1_11target_archE906ELNS1_3gpuE6ELNS1_3repE0EEENS1_30default_config_static_selectorELNS0_4arch9wavefront6targetE1EEEvT1_
                                        ; -- End function
	.section	.AMDGPU.csdata,"",@progbits
; Kernel info:
; codeLenInByte = 0
; NumSgprs: 6
; NumVgprs: 0
; NumAgprs: 0
; TotalNumVgprs: 0
; ScratchSize: 0
; MemoryBound: 0
; FloatMode: 240
; IeeeMode: 1
; LDSByteSize: 0 bytes/workgroup (compile time only)
; SGPRBlocks: 0
; VGPRBlocks: 0
; NumSGPRsForWavesPerEU: 6
; NumVGPRsForWavesPerEU: 1
; AccumOffset: 4
; Occupancy: 8
; WaveLimiterHint : 0
; COMPUTE_PGM_RSRC2:SCRATCH_EN: 0
; COMPUTE_PGM_RSRC2:USER_SGPR: 2
; COMPUTE_PGM_RSRC2:TRAP_HANDLER: 0
; COMPUTE_PGM_RSRC2:TGID_X_EN: 1
; COMPUTE_PGM_RSRC2:TGID_Y_EN: 0
; COMPUTE_PGM_RSRC2:TGID_Z_EN: 0
; COMPUTE_PGM_RSRC2:TIDIG_COMP_CNT: 0
; COMPUTE_PGM_RSRC3_GFX90A:ACCUM_OFFSET: 0
; COMPUTE_PGM_RSRC3_GFX90A:TG_SPLIT: 0
	.section	.text._ZN7rocprim17ROCPRIM_400000_NS6detail17trampoline_kernelINS0_14default_configENS1_25partition_config_selectorILNS1_17partition_subalgoE1EsNS0_10empty_typeEbEEZZNS1_14partition_implILS5_1ELb0ES3_jN6thrust23THRUST_200600_302600_NS6detail15normal_iteratorINSA_10device_ptrIsEEEEPS6_NSA_18transform_iteratorI7is_evenIsESF_NSA_11use_defaultESK_EENS0_5tupleIJNSA_16discard_iteratorISK_EESO_EEENSM_IJSG_SG_EEES6_PlJS6_EEE10hipError_tPvRmT3_T4_T5_T6_T7_T9_mT8_P12ihipStream_tbDpT10_ENKUlT_T0_E_clISt17integral_constantIbLb1EES1A_IbLb0EEEEDaS16_S17_EUlS16_E_NS1_11comp_targetILNS1_3genE10ELNS1_11target_archE1200ELNS1_3gpuE4ELNS1_3repE0EEENS1_30default_config_static_selectorELNS0_4arch9wavefront6targetE1EEEvT1_,"axG",@progbits,_ZN7rocprim17ROCPRIM_400000_NS6detail17trampoline_kernelINS0_14default_configENS1_25partition_config_selectorILNS1_17partition_subalgoE1EsNS0_10empty_typeEbEEZZNS1_14partition_implILS5_1ELb0ES3_jN6thrust23THRUST_200600_302600_NS6detail15normal_iteratorINSA_10device_ptrIsEEEEPS6_NSA_18transform_iteratorI7is_evenIsESF_NSA_11use_defaultESK_EENS0_5tupleIJNSA_16discard_iteratorISK_EESO_EEENSM_IJSG_SG_EEES6_PlJS6_EEE10hipError_tPvRmT3_T4_T5_T6_T7_T9_mT8_P12ihipStream_tbDpT10_ENKUlT_T0_E_clISt17integral_constantIbLb1EES1A_IbLb0EEEEDaS16_S17_EUlS16_E_NS1_11comp_targetILNS1_3genE10ELNS1_11target_archE1200ELNS1_3gpuE4ELNS1_3repE0EEENS1_30default_config_static_selectorELNS0_4arch9wavefront6targetE1EEEvT1_,comdat
	.protected	_ZN7rocprim17ROCPRIM_400000_NS6detail17trampoline_kernelINS0_14default_configENS1_25partition_config_selectorILNS1_17partition_subalgoE1EsNS0_10empty_typeEbEEZZNS1_14partition_implILS5_1ELb0ES3_jN6thrust23THRUST_200600_302600_NS6detail15normal_iteratorINSA_10device_ptrIsEEEEPS6_NSA_18transform_iteratorI7is_evenIsESF_NSA_11use_defaultESK_EENS0_5tupleIJNSA_16discard_iteratorISK_EESO_EEENSM_IJSG_SG_EEES6_PlJS6_EEE10hipError_tPvRmT3_T4_T5_T6_T7_T9_mT8_P12ihipStream_tbDpT10_ENKUlT_T0_E_clISt17integral_constantIbLb1EES1A_IbLb0EEEEDaS16_S17_EUlS16_E_NS1_11comp_targetILNS1_3genE10ELNS1_11target_archE1200ELNS1_3gpuE4ELNS1_3repE0EEENS1_30default_config_static_selectorELNS0_4arch9wavefront6targetE1EEEvT1_ ; -- Begin function _ZN7rocprim17ROCPRIM_400000_NS6detail17trampoline_kernelINS0_14default_configENS1_25partition_config_selectorILNS1_17partition_subalgoE1EsNS0_10empty_typeEbEEZZNS1_14partition_implILS5_1ELb0ES3_jN6thrust23THRUST_200600_302600_NS6detail15normal_iteratorINSA_10device_ptrIsEEEEPS6_NSA_18transform_iteratorI7is_evenIsESF_NSA_11use_defaultESK_EENS0_5tupleIJNSA_16discard_iteratorISK_EESO_EEENSM_IJSG_SG_EEES6_PlJS6_EEE10hipError_tPvRmT3_T4_T5_T6_T7_T9_mT8_P12ihipStream_tbDpT10_ENKUlT_T0_E_clISt17integral_constantIbLb1EES1A_IbLb0EEEEDaS16_S17_EUlS16_E_NS1_11comp_targetILNS1_3genE10ELNS1_11target_archE1200ELNS1_3gpuE4ELNS1_3repE0EEENS1_30default_config_static_selectorELNS0_4arch9wavefront6targetE1EEEvT1_
	.globl	_ZN7rocprim17ROCPRIM_400000_NS6detail17trampoline_kernelINS0_14default_configENS1_25partition_config_selectorILNS1_17partition_subalgoE1EsNS0_10empty_typeEbEEZZNS1_14partition_implILS5_1ELb0ES3_jN6thrust23THRUST_200600_302600_NS6detail15normal_iteratorINSA_10device_ptrIsEEEEPS6_NSA_18transform_iteratorI7is_evenIsESF_NSA_11use_defaultESK_EENS0_5tupleIJNSA_16discard_iteratorISK_EESO_EEENSM_IJSG_SG_EEES6_PlJS6_EEE10hipError_tPvRmT3_T4_T5_T6_T7_T9_mT8_P12ihipStream_tbDpT10_ENKUlT_T0_E_clISt17integral_constantIbLb1EES1A_IbLb0EEEEDaS16_S17_EUlS16_E_NS1_11comp_targetILNS1_3genE10ELNS1_11target_archE1200ELNS1_3gpuE4ELNS1_3repE0EEENS1_30default_config_static_selectorELNS0_4arch9wavefront6targetE1EEEvT1_
	.p2align	8
	.type	_ZN7rocprim17ROCPRIM_400000_NS6detail17trampoline_kernelINS0_14default_configENS1_25partition_config_selectorILNS1_17partition_subalgoE1EsNS0_10empty_typeEbEEZZNS1_14partition_implILS5_1ELb0ES3_jN6thrust23THRUST_200600_302600_NS6detail15normal_iteratorINSA_10device_ptrIsEEEEPS6_NSA_18transform_iteratorI7is_evenIsESF_NSA_11use_defaultESK_EENS0_5tupleIJNSA_16discard_iteratorISK_EESO_EEENSM_IJSG_SG_EEES6_PlJS6_EEE10hipError_tPvRmT3_T4_T5_T6_T7_T9_mT8_P12ihipStream_tbDpT10_ENKUlT_T0_E_clISt17integral_constantIbLb1EES1A_IbLb0EEEEDaS16_S17_EUlS16_E_NS1_11comp_targetILNS1_3genE10ELNS1_11target_archE1200ELNS1_3gpuE4ELNS1_3repE0EEENS1_30default_config_static_selectorELNS0_4arch9wavefront6targetE1EEEvT1_,@function
_ZN7rocprim17ROCPRIM_400000_NS6detail17trampoline_kernelINS0_14default_configENS1_25partition_config_selectorILNS1_17partition_subalgoE1EsNS0_10empty_typeEbEEZZNS1_14partition_implILS5_1ELb0ES3_jN6thrust23THRUST_200600_302600_NS6detail15normal_iteratorINSA_10device_ptrIsEEEEPS6_NSA_18transform_iteratorI7is_evenIsESF_NSA_11use_defaultESK_EENS0_5tupleIJNSA_16discard_iteratorISK_EESO_EEENSM_IJSG_SG_EEES6_PlJS6_EEE10hipError_tPvRmT3_T4_T5_T6_T7_T9_mT8_P12ihipStream_tbDpT10_ENKUlT_T0_E_clISt17integral_constantIbLb1EES1A_IbLb0EEEEDaS16_S17_EUlS16_E_NS1_11comp_targetILNS1_3genE10ELNS1_11target_archE1200ELNS1_3gpuE4ELNS1_3repE0EEENS1_30default_config_static_selectorELNS0_4arch9wavefront6targetE1EEEvT1_: ; @_ZN7rocprim17ROCPRIM_400000_NS6detail17trampoline_kernelINS0_14default_configENS1_25partition_config_selectorILNS1_17partition_subalgoE1EsNS0_10empty_typeEbEEZZNS1_14partition_implILS5_1ELb0ES3_jN6thrust23THRUST_200600_302600_NS6detail15normal_iteratorINSA_10device_ptrIsEEEEPS6_NSA_18transform_iteratorI7is_evenIsESF_NSA_11use_defaultESK_EENS0_5tupleIJNSA_16discard_iteratorISK_EESO_EEENSM_IJSG_SG_EEES6_PlJS6_EEE10hipError_tPvRmT3_T4_T5_T6_T7_T9_mT8_P12ihipStream_tbDpT10_ENKUlT_T0_E_clISt17integral_constantIbLb1EES1A_IbLb0EEEEDaS16_S17_EUlS16_E_NS1_11comp_targetILNS1_3genE10ELNS1_11target_archE1200ELNS1_3gpuE4ELNS1_3repE0EEENS1_30default_config_static_selectorELNS0_4arch9wavefront6targetE1EEEvT1_
; %bb.0:
	.section	.rodata,"a",@progbits
	.p2align	6, 0x0
	.amdhsa_kernel _ZN7rocprim17ROCPRIM_400000_NS6detail17trampoline_kernelINS0_14default_configENS1_25partition_config_selectorILNS1_17partition_subalgoE1EsNS0_10empty_typeEbEEZZNS1_14partition_implILS5_1ELb0ES3_jN6thrust23THRUST_200600_302600_NS6detail15normal_iteratorINSA_10device_ptrIsEEEEPS6_NSA_18transform_iteratorI7is_evenIsESF_NSA_11use_defaultESK_EENS0_5tupleIJNSA_16discard_iteratorISK_EESO_EEENSM_IJSG_SG_EEES6_PlJS6_EEE10hipError_tPvRmT3_T4_T5_T6_T7_T9_mT8_P12ihipStream_tbDpT10_ENKUlT_T0_E_clISt17integral_constantIbLb1EES1A_IbLb0EEEEDaS16_S17_EUlS16_E_NS1_11comp_targetILNS1_3genE10ELNS1_11target_archE1200ELNS1_3gpuE4ELNS1_3repE0EEENS1_30default_config_static_selectorELNS0_4arch9wavefront6targetE1EEEvT1_
		.amdhsa_group_segment_fixed_size 0
		.amdhsa_private_segment_fixed_size 0
		.amdhsa_kernarg_size 144
		.amdhsa_user_sgpr_count 2
		.amdhsa_user_sgpr_dispatch_ptr 0
		.amdhsa_user_sgpr_queue_ptr 0
		.amdhsa_user_sgpr_kernarg_segment_ptr 1
		.amdhsa_user_sgpr_dispatch_id 0
		.amdhsa_user_sgpr_kernarg_preload_length 0
		.amdhsa_user_sgpr_kernarg_preload_offset 0
		.amdhsa_user_sgpr_private_segment_size 0
		.amdhsa_uses_dynamic_stack 0
		.amdhsa_enable_private_segment 0
		.amdhsa_system_sgpr_workgroup_id_x 1
		.amdhsa_system_sgpr_workgroup_id_y 0
		.amdhsa_system_sgpr_workgroup_id_z 0
		.amdhsa_system_sgpr_workgroup_info 0
		.amdhsa_system_vgpr_workitem_id 0
		.amdhsa_next_free_vgpr 1
		.amdhsa_next_free_sgpr 0
		.amdhsa_accum_offset 4
		.amdhsa_reserve_vcc 0
		.amdhsa_float_round_mode_32 0
		.amdhsa_float_round_mode_16_64 0
		.amdhsa_float_denorm_mode_32 3
		.amdhsa_float_denorm_mode_16_64 3
		.amdhsa_dx10_clamp 1
		.amdhsa_ieee_mode 1
		.amdhsa_fp16_overflow 0
		.amdhsa_tg_split 0
		.amdhsa_exception_fp_ieee_invalid_op 0
		.amdhsa_exception_fp_denorm_src 0
		.amdhsa_exception_fp_ieee_div_zero 0
		.amdhsa_exception_fp_ieee_overflow 0
		.amdhsa_exception_fp_ieee_underflow 0
		.amdhsa_exception_fp_ieee_inexact 0
		.amdhsa_exception_int_div_zero 0
	.end_amdhsa_kernel
	.section	.text._ZN7rocprim17ROCPRIM_400000_NS6detail17trampoline_kernelINS0_14default_configENS1_25partition_config_selectorILNS1_17partition_subalgoE1EsNS0_10empty_typeEbEEZZNS1_14partition_implILS5_1ELb0ES3_jN6thrust23THRUST_200600_302600_NS6detail15normal_iteratorINSA_10device_ptrIsEEEEPS6_NSA_18transform_iteratorI7is_evenIsESF_NSA_11use_defaultESK_EENS0_5tupleIJNSA_16discard_iteratorISK_EESO_EEENSM_IJSG_SG_EEES6_PlJS6_EEE10hipError_tPvRmT3_T4_T5_T6_T7_T9_mT8_P12ihipStream_tbDpT10_ENKUlT_T0_E_clISt17integral_constantIbLb1EES1A_IbLb0EEEEDaS16_S17_EUlS16_E_NS1_11comp_targetILNS1_3genE10ELNS1_11target_archE1200ELNS1_3gpuE4ELNS1_3repE0EEENS1_30default_config_static_selectorELNS0_4arch9wavefront6targetE1EEEvT1_,"axG",@progbits,_ZN7rocprim17ROCPRIM_400000_NS6detail17trampoline_kernelINS0_14default_configENS1_25partition_config_selectorILNS1_17partition_subalgoE1EsNS0_10empty_typeEbEEZZNS1_14partition_implILS5_1ELb0ES3_jN6thrust23THRUST_200600_302600_NS6detail15normal_iteratorINSA_10device_ptrIsEEEEPS6_NSA_18transform_iteratorI7is_evenIsESF_NSA_11use_defaultESK_EENS0_5tupleIJNSA_16discard_iteratorISK_EESO_EEENSM_IJSG_SG_EEES6_PlJS6_EEE10hipError_tPvRmT3_T4_T5_T6_T7_T9_mT8_P12ihipStream_tbDpT10_ENKUlT_T0_E_clISt17integral_constantIbLb1EES1A_IbLb0EEEEDaS16_S17_EUlS16_E_NS1_11comp_targetILNS1_3genE10ELNS1_11target_archE1200ELNS1_3gpuE4ELNS1_3repE0EEENS1_30default_config_static_selectorELNS0_4arch9wavefront6targetE1EEEvT1_,comdat
.Lfunc_end3376:
	.size	_ZN7rocprim17ROCPRIM_400000_NS6detail17trampoline_kernelINS0_14default_configENS1_25partition_config_selectorILNS1_17partition_subalgoE1EsNS0_10empty_typeEbEEZZNS1_14partition_implILS5_1ELb0ES3_jN6thrust23THRUST_200600_302600_NS6detail15normal_iteratorINSA_10device_ptrIsEEEEPS6_NSA_18transform_iteratorI7is_evenIsESF_NSA_11use_defaultESK_EENS0_5tupleIJNSA_16discard_iteratorISK_EESO_EEENSM_IJSG_SG_EEES6_PlJS6_EEE10hipError_tPvRmT3_T4_T5_T6_T7_T9_mT8_P12ihipStream_tbDpT10_ENKUlT_T0_E_clISt17integral_constantIbLb1EES1A_IbLb0EEEEDaS16_S17_EUlS16_E_NS1_11comp_targetILNS1_3genE10ELNS1_11target_archE1200ELNS1_3gpuE4ELNS1_3repE0EEENS1_30default_config_static_selectorELNS0_4arch9wavefront6targetE1EEEvT1_, .Lfunc_end3376-_ZN7rocprim17ROCPRIM_400000_NS6detail17trampoline_kernelINS0_14default_configENS1_25partition_config_selectorILNS1_17partition_subalgoE1EsNS0_10empty_typeEbEEZZNS1_14partition_implILS5_1ELb0ES3_jN6thrust23THRUST_200600_302600_NS6detail15normal_iteratorINSA_10device_ptrIsEEEEPS6_NSA_18transform_iteratorI7is_evenIsESF_NSA_11use_defaultESK_EENS0_5tupleIJNSA_16discard_iteratorISK_EESO_EEENSM_IJSG_SG_EEES6_PlJS6_EEE10hipError_tPvRmT3_T4_T5_T6_T7_T9_mT8_P12ihipStream_tbDpT10_ENKUlT_T0_E_clISt17integral_constantIbLb1EES1A_IbLb0EEEEDaS16_S17_EUlS16_E_NS1_11comp_targetILNS1_3genE10ELNS1_11target_archE1200ELNS1_3gpuE4ELNS1_3repE0EEENS1_30default_config_static_selectorELNS0_4arch9wavefront6targetE1EEEvT1_
                                        ; -- End function
	.section	.AMDGPU.csdata,"",@progbits
; Kernel info:
; codeLenInByte = 0
; NumSgprs: 6
; NumVgprs: 0
; NumAgprs: 0
; TotalNumVgprs: 0
; ScratchSize: 0
; MemoryBound: 0
; FloatMode: 240
; IeeeMode: 1
; LDSByteSize: 0 bytes/workgroup (compile time only)
; SGPRBlocks: 0
; VGPRBlocks: 0
; NumSGPRsForWavesPerEU: 6
; NumVGPRsForWavesPerEU: 1
; AccumOffset: 4
; Occupancy: 8
; WaveLimiterHint : 0
; COMPUTE_PGM_RSRC2:SCRATCH_EN: 0
; COMPUTE_PGM_RSRC2:USER_SGPR: 2
; COMPUTE_PGM_RSRC2:TRAP_HANDLER: 0
; COMPUTE_PGM_RSRC2:TGID_X_EN: 1
; COMPUTE_PGM_RSRC2:TGID_Y_EN: 0
; COMPUTE_PGM_RSRC2:TGID_Z_EN: 0
; COMPUTE_PGM_RSRC2:TIDIG_COMP_CNT: 0
; COMPUTE_PGM_RSRC3_GFX90A:ACCUM_OFFSET: 0
; COMPUTE_PGM_RSRC3_GFX90A:TG_SPLIT: 0
	.section	.text._ZN7rocprim17ROCPRIM_400000_NS6detail17trampoline_kernelINS0_14default_configENS1_25partition_config_selectorILNS1_17partition_subalgoE1EsNS0_10empty_typeEbEEZZNS1_14partition_implILS5_1ELb0ES3_jN6thrust23THRUST_200600_302600_NS6detail15normal_iteratorINSA_10device_ptrIsEEEEPS6_NSA_18transform_iteratorI7is_evenIsESF_NSA_11use_defaultESK_EENS0_5tupleIJNSA_16discard_iteratorISK_EESO_EEENSM_IJSG_SG_EEES6_PlJS6_EEE10hipError_tPvRmT3_T4_T5_T6_T7_T9_mT8_P12ihipStream_tbDpT10_ENKUlT_T0_E_clISt17integral_constantIbLb1EES1A_IbLb0EEEEDaS16_S17_EUlS16_E_NS1_11comp_targetILNS1_3genE9ELNS1_11target_archE1100ELNS1_3gpuE3ELNS1_3repE0EEENS1_30default_config_static_selectorELNS0_4arch9wavefront6targetE1EEEvT1_,"axG",@progbits,_ZN7rocprim17ROCPRIM_400000_NS6detail17trampoline_kernelINS0_14default_configENS1_25partition_config_selectorILNS1_17partition_subalgoE1EsNS0_10empty_typeEbEEZZNS1_14partition_implILS5_1ELb0ES3_jN6thrust23THRUST_200600_302600_NS6detail15normal_iteratorINSA_10device_ptrIsEEEEPS6_NSA_18transform_iteratorI7is_evenIsESF_NSA_11use_defaultESK_EENS0_5tupleIJNSA_16discard_iteratorISK_EESO_EEENSM_IJSG_SG_EEES6_PlJS6_EEE10hipError_tPvRmT3_T4_T5_T6_T7_T9_mT8_P12ihipStream_tbDpT10_ENKUlT_T0_E_clISt17integral_constantIbLb1EES1A_IbLb0EEEEDaS16_S17_EUlS16_E_NS1_11comp_targetILNS1_3genE9ELNS1_11target_archE1100ELNS1_3gpuE3ELNS1_3repE0EEENS1_30default_config_static_selectorELNS0_4arch9wavefront6targetE1EEEvT1_,comdat
	.protected	_ZN7rocprim17ROCPRIM_400000_NS6detail17trampoline_kernelINS0_14default_configENS1_25partition_config_selectorILNS1_17partition_subalgoE1EsNS0_10empty_typeEbEEZZNS1_14partition_implILS5_1ELb0ES3_jN6thrust23THRUST_200600_302600_NS6detail15normal_iteratorINSA_10device_ptrIsEEEEPS6_NSA_18transform_iteratorI7is_evenIsESF_NSA_11use_defaultESK_EENS0_5tupleIJNSA_16discard_iteratorISK_EESO_EEENSM_IJSG_SG_EEES6_PlJS6_EEE10hipError_tPvRmT3_T4_T5_T6_T7_T9_mT8_P12ihipStream_tbDpT10_ENKUlT_T0_E_clISt17integral_constantIbLb1EES1A_IbLb0EEEEDaS16_S17_EUlS16_E_NS1_11comp_targetILNS1_3genE9ELNS1_11target_archE1100ELNS1_3gpuE3ELNS1_3repE0EEENS1_30default_config_static_selectorELNS0_4arch9wavefront6targetE1EEEvT1_ ; -- Begin function _ZN7rocprim17ROCPRIM_400000_NS6detail17trampoline_kernelINS0_14default_configENS1_25partition_config_selectorILNS1_17partition_subalgoE1EsNS0_10empty_typeEbEEZZNS1_14partition_implILS5_1ELb0ES3_jN6thrust23THRUST_200600_302600_NS6detail15normal_iteratorINSA_10device_ptrIsEEEEPS6_NSA_18transform_iteratorI7is_evenIsESF_NSA_11use_defaultESK_EENS0_5tupleIJNSA_16discard_iteratorISK_EESO_EEENSM_IJSG_SG_EEES6_PlJS6_EEE10hipError_tPvRmT3_T4_T5_T6_T7_T9_mT8_P12ihipStream_tbDpT10_ENKUlT_T0_E_clISt17integral_constantIbLb1EES1A_IbLb0EEEEDaS16_S17_EUlS16_E_NS1_11comp_targetILNS1_3genE9ELNS1_11target_archE1100ELNS1_3gpuE3ELNS1_3repE0EEENS1_30default_config_static_selectorELNS0_4arch9wavefront6targetE1EEEvT1_
	.globl	_ZN7rocprim17ROCPRIM_400000_NS6detail17trampoline_kernelINS0_14default_configENS1_25partition_config_selectorILNS1_17partition_subalgoE1EsNS0_10empty_typeEbEEZZNS1_14partition_implILS5_1ELb0ES3_jN6thrust23THRUST_200600_302600_NS6detail15normal_iteratorINSA_10device_ptrIsEEEEPS6_NSA_18transform_iteratorI7is_evenIsESF_NSA_11use_defaultESK_EENS0_5tupleIJNSA_16discard_iteratorISK_EESO_EEENSM_IJSG_SG_EEES6_PlJS6_EEE10hipError_tPvRmT3_T4_T5_T6_T7_T9_mT8_P12ihipStream_tbDpT10_ENKUlT_T0_E_clISt17integral_constantIbLb1EES1A_IbLb0EEEEDaS16_S17_EUlS16_E_NS1_11comp_targetILNS1_3genE9ELNS1_11target_archE1100ELNS1_3gpuE3ELNS1_3repE0EEENS1_30default_config_static_selectorELNS0_4arch9wavefront6targetE1EEEvT1_
	.p2align	8
	.type	_ZN7rocprim17ROCPRIM_400000_NS6detail17trampoline_kernelINS0_14default_configENS1_25partition_config_selectorILNS1_17partition_subalgoE1EsNS0_10empty_typeEbEEZZNS1_14partition_implILS5_1ELb0ES3_jN6thrust23THRUST_200600_302600_NS6detail15normal_iteratorINSA_10device_ptrIsEEEEPS6_NSA_18transform_iteratorI7is_evenIsESF_NSA_11use_defaultESK_EENS0_5tupleIJNSA_16discard_iteratorISK_EESO_EEENSM_IJSG_SG_EEES6_PlJS6_EEE10hipError_tPvRmT3_T4_T5_T6_T7_T9_mT8_P12ihipStream_tbDpT10_ENKUlT_T0_E_clISt17integral_constantIbLb1EES1A_IbLb0EEEEDaS16_S17_EUlS16_E_NS1_11comp_targetILNS1_3genE9ELNS1_11target_archE1100ELNS1_3gpuE3ELNS1_3repE0EEENS1_30default_config_static_selectorELNS0_4arch9wavefront6targetE1EEEvT1_,@function
_ZN7rocprim17ROCPRIM_400000_NS6detail17trampoline_kernelINS0_14default_configENS1_25partition_config_selectorILNS1_17partition_subalgoE1EsNS0_10empty_typeEbEEZZNS1_14partition_implILS5_1ELb0ES3_jN6thrust23THRUST_200600_302600_NS6detail15normal_iteratorINSA_10device_ptrIsEEEEPS6_NSA_18transform_iteratorI7is_evenIsESF_NSA_11use_defaultESK_EENS0_5tupleIJNSA_16discard_iteratorISK_EESO_EEENSM_IJSG_SG_EEES6_PlJS6_EEE10hipError_tPvRmT3_T4_T5_T6_T7_T9_mT8_P12ihipStream_tbDpT10_ENKUlT_T0_E_clISt17integral_constantIbLb1EES1A_IbLb0EEEEDaS16_S17_EUlS16_E_NS1_11comp_targetILNS1_3genE9ELNS1_11target_archE1100ELNS1_3gpuE3ELNS1_3repE0EEENS1_30default_config_static_selectorELNS0_4arch9wavefront6targetE1EEEvT1_: ; @_ZN7rocprim17ROCPRIM_400000_NS6detail17trampoline_kernelINS0_14default_configENS1_25partition_config_selectorILNS1_17partition_subalgoE1EsNS0_10empty_typeEbEEZZNS1_14partition_implILS5_1ELb0ES3_jN6thrust23THRUST_200600_302600_NS6detail15normal_iteratorINSA_10device_ptrIsEEEEPS6_NSA_18transform_iteratorI7is_evenIsESF_NSA_11use_defaultESK_EENS0_5tupleIJNSA_16discard_iteratorISK_EESO_EEENSM_IJSG_SG_EEES6_PlJS6_EEE10hipError_tPvRmT3_T4_T5_T6_T7_T9_mT8_P12ihipStream_tbDpT10_ENKUlT_T0_E_clISt17integral_constantIbLb1EES1A_IbLb0EEEEDaS16_S17_EUlS16_E_NS1_11comp_targetILNS1_3genE9ELNS1_11target_archE1100ELNS1_3gpuE3ELNS1_3repE0EEENS1_30default_config_static_selectorELNS0_4arch9wavefront6targetE1EEEvT1_
; %bb.0:
	.section	.rodata,"a",@progbits
	.p2align	6, 0x0
	.amdhsa_kernel _ZN7rocprim17ROCPRIM_400000_NS6detail17trampoline_kernelINS0_14default_configENS1_25partition_config_selectorILNS1_17partition_subalgoE1EsNS0_10empty_typeEbEEZZNS1_14partition_implILS5_1ELb0ES3_jN6thrust23THRUST_200600_302600_NS6detail15normal_iteratorINSA_10device_ptrIsEEEEPS6_NSA_18transform_iteratorI7is_evenIsESF_NSA_11use_defaultESK_EENS0_5tupleIJNSA_16discard_iteratorISK_EESO_EEENSM_IJSG_SG_EEES6_PlJS6_EEE10hipError_tPvRmT3_T4_T5_T6_T7_T9_mT8_P12ihipStream_tbDpT10_ENKUlT_T0_E_clISt17integral_constantIbLb1EES1A_IbLb0EEEEDaS16_S17_EUlS16_E_NS1_11comp_targetILNS1_3genE9ELNS1_11target_archE1100ELNS1_3gpuE3ELNS1_3repE0EEENS1_30default_config_static_selectorELNS0_4arch9wavefront6targetE1EEEvT1_
		.amdhsa_group_segment_fixed_size 0
		.amdhsa_private_segment_fixed_size 0
		.amdhsa_kernarg_size 144
		.amdhsa_user_sgpr_count 2
		.amdhsa_user_sgpr_dispatch_ptr 0
		.amdhsa_user_sgpr_queue_ptr 0
		.amdhsa_user_sgpr_kernarg_segment_ptr 1
		.amdhsa_user_sgpr_dispatch_id 0
		.amdhsa_user_sgpr_kernarg_preload_length 0
		.amdhsa_user_sgpr_kernarg_preload_offset 0
		.amdhsa_user_sgpr_private_segment_size 0
		.amdhsa_uses_dynamic_stack 0
		.amdhsa_enable_private_segment 0
		.amdhsa_system_sgpr_workgroup_id_x 1
		.amdhsa_system_sgpr_workgroup_id_y 0
		.amdhsa_system_sgpr_workgroup_id_z 0
		.amdhsa_system_sgpr_workgroup_info 0
		.amdhsa_system_vgpr_workitem_id 0
		.amdhsa_next_free_vgpr 1
		.amdhsa_next_free_sgpr 0
		.amdhsa_accum_offset 4
		.amdhsa_reserve_vcc 0
		.amdhsa_float_round_mode_32 0
		.amdhsa_float_round_mode_16_64 0
		.amdhsa_float_denorm_mode_32 3
		.amdhsa_float_denorm_mode_16_64 3
		.amdhsa_dx10_clamp 1
		.amdhsa_ieee_mode 1
		.amdhsa_fp16_overflow 0
		.amdhsa_tg_split 0
		.amdhsa_exception_fp_ieee_invalid_op 0
		.amdhsa_exception_fp_denorm_src 0
		.amdhsa_exception_fp_ieee_div_zero 0
		.amdhsa_exception_fp_ieee_overflow 0
		.amdhsa_exception_fp_ieee_underflow 0
		.amdhsa_exception_fp_ieee_inexact 0
		.amdhsa_exception_int_div_zero 0
	.end_amdhsa_kernel
	.section	.text._ZN7rocprim17ROCPRIM_400000_NS6detail17trampoline_kernelINS0_14default_configENS1_25partition_config_selectorILNS1_17partition_subalgoE1EsNS0_10empty_typeEbEEZZNS1_14partition_implILS5_1ELb0ES3_jN6thrust23THRUST_200600_302600_NS6detail15normal_iteratorINSA_10device_ptrIsEEEEPS6_NSA_18transform_iteratorI7is_evenIsESF_NSA_11use_defaultESK_EENS0_5tupleIJNSA_16discard_iteratorISK_EESO_EEENSM_IJSG_SG_EEES6_PlJS6_EEE10hipError_tPvRmT3_T4_T5_T6_T7_T9_mT8_P12ihipStream_tbDpT10_ENKUlT_T0_E_clISt17integral_constantIbLb1EES1A_IbLb0EEEEDaS16_S17_EUlS16_E_NS1_11comp_targetILNS1_3genE9ELNS1_11target_archE1100ELNS1_3gpuE3ELNS1_3repE0EEENS1_30default_config_static_selectorELNS0_4arch9wavefront6targetE1EEEvT1_,"axG",@progbits,_ZN7rocprim17ROCPRIM_400000_NS6detail17trampoline_kernelINS0_14default_configENS1_25partition_config_selectorILNS1_17partition_subalgoE1EsNS0_10empty_typeEbEEZZNS1_14partition_implILS5_1ELb0ES3_jN6thrust23THRUST_200600_302600_NS6detail15normal_iteratorINSA_10device_ptrIsEEEEPS6_NSA_18transform_iteratorI7is_evenIsESF_NSA_11use_defaultESK_EENS0_5tupleIJNSA_16discard_iteratorISK_EESO_EEENSM_IJSG_SG_EEES6_PlJS6_EEE10hipError_tPvRmT3_T4_T5_T6_T7_T9_mT8_P12ihipStream_tbDpT10_ENKUlT_T0_E_clISt17integral_constantIbLb1EES1A_IbLb0EEEEDaS16_S17_EUlS16_E_NS1_11comp_targetILNS1_3genE9ELNS1_11target_archE1100ELNS1_3gpuE3ELNS1_3repE0EEENS1_30default_config_static_selectorELNS0_4arch9wavefront6targetE1EEEvT1_,comdat
.Lfunc_end3377:
	.size	_ZN7rocprim17ROCPRIM_400000_NS6detail17trampoline_kernelINS0_14default_configENS1_25partition_config_selectorILNS1_17partition_subalgoE1EsNS0_10empty_typeEbEEZZNS1_14partition_implILS5_1ELb0ES3_jN6thrust23THRUST_200600_302600_NS6detail15normal_iteratorINSA_10device_ptrIsEEEEPS6_NSA_18transform_iteratorI7is_evenIsESF_NSA_11use_defaultESK_EENS0_5tupleIJNSA_16discard_iteratorISK_EESO_EEENSM_IJSG_SG_EEES6_PlJS6_EEE10hipError_tPvRmT3_T4_T5_T6_T7_T9_mT8_P12ihipStream_tbDpT10_ENKUlT_T0_E_clISt17integral_constantIbLb1EES1A_IbLb0EEEEDaS16_S17_EUlS16_E_NS1_11comp_targetILNS1_3genE9ELNS1_11target_archE1100ELNS1_3gpuE3ELNS1_3repE0EEENS1_30default_config_static_selectorELNS0_4arch9wavefront6targetE1EEEvT1_, .Lfunc_end3377-_ZN7rocprim17ROCPRIM_400000_NS6detail17trampoline_kernelINS0_14default_configENS1_25partition_config_selectorILNS1_17partition_subalgoE1EsNS0_10empty_typeEbEEZZNS1_14partition_implILS5_1ELb0ES3_jN6thrust23THRUST_200600_302600_NS6detail15normal_iteratorINSA_10device_ptrIsEEEEPS6_NSA_18transform_iteratorI7is_evenIsESF_NSA_11use_defaultESK_EENS0_5tupleIJNSA_16discard_iteratorISK_EESO_EEENSM_IJSG_SG_EEES6_PlJS6_EEE10hipError_tPvRmT3_T4_T5_T6_T7_T9_mT8_P12ihipStream_tbDpT10_ENKUlT_T0_E_clISt17integral_constantIbLb1EES1A_IbLb0EEEEDaS16_S17_EUlS16_E_NS1_11comp_targetILNS1_3genE9ELNS1_11target_archE1100ELNS1_3gpuE3ELNS1_3repE0EEENS1_30default_config_static_selectorELNS0_4arch9wavefront6targetE1EEEvT1_
                                        ; -- End function
	.section	.AMDGPU.csdata,"",@progbits
; Kernel info:
; codeLenInByte = 0
; NumSgprs: 6
; NumVgprs: 0
; NumAgprs: 0
; TotalNumVgprs: 0
; ScratchSize: 0
; MemoryBound: 0
; FloatMode: 240
; IeeeMode: 1
; LDSByteSize: 0 bytes/workgroup (compile time only)
; SGPRBlocks: 0
; VGPRBlocks: 0
; NumSGPRsForWavesPerEU: 6
; NumVGPRsForWavesPerEU: 1
; AccumOffset: 4
; Occupancy: 8
; WaveLimiterHint : 0
; COMPUTE_PGM_RSRC2:SCRATCH_EN: 0
; COMPUTE_PGM_RSRC2:USER_SGPR: 2
; COMPUTE_PGM_RSRC2:TRAP_HANDLER: 0
; COMPUTE_PGM_RSRC2:TGID_X_EN: 1
; COMPUTE_PGM_RSRC2:TGID_Y_EN: 0
; COMPUTE_PGM_RSRC2:TGID_Z_EN: 0
; COMPUTE_PGM_RSRC2:TIDIG_COMP_CNT: 0
; COMPUTE_PGM_RSRC3_GFX90A:ACCUM_OFFSET: 0
; COMPUTE_PGM_RSRC3_GFX90A:TG_SPLIT: 0
	.section	.text._ZN7rocprim17ROCPRIM_400000_NS6detail17trampoline_kernelINS0_14default_configENS1_25partition_config_selectorILNS1_17partition_subalgoE1EsNS0_10empty_typeEbEEZZNS1_14partition_implILS5_1ELb0ES3_jN6thrust23THRUST_200600_302600_NS6detail15normal_iteratorINSA_10device_ptrIsEEEEPS6_NSA_18transform_iteratorI7is_evenIsESF_NSA_11use_defaultESK_EENS0_5tupleIJNSA_16discard_iteratorISK_EESO_EEENSM_IJSG_SG_EEES6_PlJS6_EEE10hipError_tPvRmT3_T4_T5_T6_T7_T9_mT8_P12ihipStream_tbDpT10_ENKUlT_T0_E_clISt17integral_constantIbLb1EES1A_IbLb0EEEEDaS16_S17_EUlS16_E_NS1_11comp_targetILNS1_3genE8ELNS1_11target_archE1030ELNS1_3gpuE2ELNS1_3repE0EEENS1_30default_config_static_selectorELNS0_4arch9wavefront6targetE1EEEvT1_,"axG",@progbits,_ZN7rocprim17ROCPRIM_400000_NS6detail17trampoline_kernelINS0_14default_configENS1_25partition_config_selectorILNS1_17partition_subalgoE1EsNS0_10empty_typeEbEEZZNS1_14partition_implILS5_1ELb0ES3_jN6thrust23THRUST_200600_302600_NS6detail15normal_iteratorINSA_10device_ptrIsEEEEPS6_NSA_18transform_iteratorI7is_evenIsESF_NSA_11use_defaultESK_EENS0_5tupleIJNSA_16discard_iteratorISK_EESO_EEENSM_IJSG_SG_EEES6_PlJS6_EEE10hipError_tPvRmT3_T4_T5_T6_T7_T9_mT8_P12ihipStream_tbDpT10_ENKUlT_T0_E_clISt17integral_constantIbLb1EES1A_IbLb0EEEEDaS16_S17_EUlS16_E_NS1_11comp_targetILNS1_3genE8ELNS1_11target_archE1030ELNS1_3gpuE2ELNS1_3repE0EEENS1_30default_config_static_selectorELNS0_4arch9wavefront6targetE1EEEvT1_,comdat
	.protected	_ZN7rocprim17ROCPRIM_400000_NS6detail17trampoline_kernelINS0_14default_configENS1_25partition_config_selectorILNS1_17partition_subalgoE1EsNS0_10empty_typeEbEEZZNS1_14partition_implILS5_1ELb0ES3_jN6thrust23THRUST_200600_302600_NS6detail15normal_iteratorINSA_10device_ptrIsEEEEPS6_NSA_18transform_iteratorI7is_evenIsESF_NSA_11use_defaultESK_EENS0_5tupleIJNSA_16discard_iteratorISK_EESO_EEENSM_IJSG_SG_EEES6_PlJS6_EEE10hipError_tPvRmT3_T4_T5_T6_T7_T9_mT8_P12ihipStream_tbDpT10_ENKUlT_T0_E_clISt17integral_constantIbLb1EES1A_IbLb0EEEEDaS16_S17_EUlS16_E_NS1_11comp_targetILNS1_3genE8ELNS1_11target_archE1030ELNS1_3gpuE2ELNS1_3repE0EEENS1_30default_config_static_selectorELNS0_4arch9wavefront6targetE1EEEvT1_ ; -- Begin function _ZN7rocprim17ROCPRIM_400000_NS6detail17trampoline_kernelINS0_14default_configENS1_25partition_config_selectorILNS1_17partition_subalgoE1EsNS0_10empty_typeEbEEZZNS1_14partition_implILS5_1ELb0ES3_jN6thrust23THRUST_200600_302600_NS6detail15normal_iteratorINSA_10device_ptrIsEEEEPS6_NSA_18transform_iteratorI7is_evenIsESF_NSA_11use_defaultESK_EENS0_5tupleIJNSA_16discard_iteratorISK_EESO_EEENSM_IJSG_SG_EEES6_PlJS6_EEE10hipError_tPvRmT3_T4_T5_T6_T7_T9_mT8_P12ihipStream_tbDpT10_ENKUlT_T0_E_clISt17integral_constantIbLb1EES1A_IbLb0EEEEDaS16_S17_EUlS16_E_NS1_11comp_targetILNS1_3genE8ELNS1_11target_archE1030ELNS1_3gpuE2ELNS1_3repE0EEENS1_30default_config_static_selectorELNS0_4arch9wavefront6targetE1EEEvT1_
	.globl	_ZN7rocprim17ROCPRIM_400000_NS6detail17trampoline_kernelINS0_14default_configENS1_25partition_config_selectorILNS1_17partition_subalgoE1EsNS0_10empty_typeEbEEZZNS1_14partition_implILS5_1ELb0ES3_jN6thrust23THRUST_200600_302600_NS6detail15normal_iteratorINSA_10device_ptrIsEEEEPS6_NSA_18transform_iteratorI7is_evenIsESF_NSA_11use_defaultESK_EENS0_5tupleIJNSA_16discard_iteratorISK_EESO_EEENSM_IJSG_SG_EEES6_PlJS6_EEE10hipError_tPvRmT3_T4_T5_T6_T7_T9_mT8_P12ihipStream_tbDpT10_ENKUlT_T0_E_clISt17integral_constantIbLb1EES1A_IbLb0EEEEDaS16_S17_EUlS16_E_NS1_11comp_targetILNS1_3genE8ELNS1_11target_archE1030ELNS1_3gpuE2ELNS1_3repE0EEENS1_30default_config_static_selectorELNS0_4arch9wavefront6targetE1EEEvT1_
	.p2align	8
	.type	_ZN7rocprim17ROCPRIM_400000_NS6detail17trampoline_kernelINS0_14default_configENS1_25partition_config_selectorILNS1_17partition_subalgoE1EsNS0_10empty_typeEbEEZZNS1_14partition_implILS5_1ELb0ES3_jN6thrust23THRUST_200600_302600_NS6detail15normal_iteratorINSA_10device_ptrIsEEEEPS6_NSA_18transform_iteratorI7is_evenIsESF_NSA_11use_defaultESK_EENS0_5tupleIJNSA_16discard_iteratorISK_EESO_EEENSM_IJSG_SG_EEES6_PlJS6_EEE10hipError_tPvRmT3_T4_T5_T6_T7_T9_mT8_P12ihipStream_tbDpT10_ENKUlT_T0_E_clISt17integral_constantIbLb1EES1A_IbLb0EEEEDaS16_S17_EUlS16_E_NS1_11comp_targetILNS1_3genE8ELNS1_11target_archE1030ELNS1_3gpuE2ELNS1_3repE0EEENS1_30default_config_static_selectorELNS0_4arch9wavefront6targetE1EEEvT1_,@function
_ZN7rocprim17ROCPRIM_400000_NS6detail17trampoline_kernelINS0_14default_configENS1_25partition_config_selectorILNS1_17partition_subalgoE1EsNS0_10empty_typeEbEEZZNS1_14partition_implILS5_1ELb0ES3_jN6thrust23THRUST_200600_302600_NS6detail15normal_iteratorINSA_10device_ptrIsEEEEPS6_NSA_18transform_iteratorI7is_evenIsESF_NSA_11use_defaultESK_EENS0_5tupleIJNSA_16discard_iteratorISK_EESO_EEENSM_IJSG_SG_EEES6_PlJS6_EEE10hipError_tPvRmT3_T4_T5_T6_T7_T9_mT8_P12ihipStream_tbDpT10_ENKUlT_T0_E_clISt17integral_constantIbLb1EES1A_IbLb0EEEEDaS16_S17_EUlS16_E_NS1_11comp_targetILNS1_3genE8ELNS1_11target_archE1030ELNS1_3gpuE2ELNS1_3repE0EEENS1_30default_config_static_selectorELNS0_4arch9wavefront6targetE1EEEvT1_: ; @_ZN7rocprim17ROCPRIM_400000_NS6detail17trampoline_kernelINS0_14default_configENS1_25partition_config_selectorILNS1_17partition_subalgoE1EsNS0_10empty_typeEbEEZZNS1_14partition_implILS5_1ELb0ES3_jN6thrust23THRUST_200600_302600_NS6detail15normal_iteratorINSA_10device_ptrIsEEEEPS6_NSA_18transform_iteratorI7is_evenIsESF_NSA_11use_defaultESK_EENS0_5tupleIJNSA_16discard_iteratorISK_EESO_EEENSM_IJSG_SG_EEES6_PlJS6_EEE10hipError_tPvRmT3_T4_T5_T6_T7_T9_mT8_P12ihipStream_tbDpT10_ENKUlT_T0_E_clISt17integral_constantIbLb1EES1A_IbLb0EEEEDaS16_S17_EUlS16_E_NS1_11comp_targetILNS1_3genE8ELNS1_11target_archE1030ELNS1_3gpuE2ELNS1_3repE0EEENS1_30default_config_static_selectorELNS0_4arch9wavefront6targetE1EEEvT1_
; %bb.0:
	.section	.rodata,"a",@progbits
	.p2align	6, 0x0
	.amdhsa_kernel _ZN7rocprim17ROCPRIM_400000_NS6detail17trampoline_kernelINS0_14default_configENS1_25partition_config_selectorILNS1_17partition_subalgoE1EsNS0_10empty_typeEbEEZZNS1_14partition_implILS5_1ELb0ES3_jN6thrust23THRUST_200600_302600_NS6detail15normal_iteratorINSA_10device_ptrIsEEEEPS6_NSA_18transform_iteratorI7is_evenIsESF_NSA_11use_defaultESK_EENS0_5tupleIJNSA_16discard_iteratorISK_EESO_EEENSM_IJSG_SG_EEES6_PlJS6_EEE10hipError_tPvRmT3_T4_T5_T6_T7_T9_mT8_P12ihipStream_tbDpT10_ENKUlT_T0_E_clISt17integral_constantIbLb1EES1A_IbLb0EEEEDaS16_S17_EUlS16_E_NS1_11comp_targetILNS1_3genE8ELNS1_11target_archE1030ELNS1_3gpuE2ELNS1_3repE0EEENS1_30default_config_static_selectorELNS0_4arch9wavefront6targetE1EEEvT1_
		.amdhsa_group_segment_fixed_size 0
		.amdhsa_private_segment_fixed_size 0
		.amdhsa_kernarg_size 144
		.amdhsa_user_sgpr_count 2
		.amdhsa_user_sgpr_dispatch_ptr 0
		.amdhsa_user_sgpr_queue_ptr 0
		.amdhsa_user_sgpr_kernarg_segment_ptr 1
		.amdhsa_user_sgpr_dispatch_id 0
		.amdhsa_user_sgpr_kernarg_preload_length 0
		.amdhsa_user_sgpr_kernarg_preload_offset 0
		.amdhsa_user_sgpr_private_segment_size 0
		.amdhsa_uses_dynamic_stack 0
		.amdhsa_enable_private_segment 0
		.amdhsa_system_sgpr_workgroup_id_x 1
		.amdhsa_system_sgpr_workgroup_id_y 0
		.amdhsa_system_sgpr_workgroup_id_z 0
		.amdhsa_system_sgpr_workgroup_info 0
		.amdhsa_system_vgpr_workitem_id 0
		.amdhsa_next_free_vgpr 1
		.amdhsa_next_free_sgpr 0
		.amdhsa_accum_offset 4
		.amdhsa_reserve_vcc 0
		.amdhsa_float_round_mode_32 0
		.amdhsa_float_round_mode_16_64 0
		.amdhsa_float_denorm_mode_32 3
		.amdhsa_float_denorm_mode_16_64 3
		.amdhsa_dx10_clamp 1
		.amdhsa_ieee_mode 1
		.amdhsa_fp16_overflow 0
		.amdhsa_tg_split 0
		.amdhsa_exception_fp_ieee_invalid_op 0
		.amdhsa_exception_fp_denorm_src 0
		.amdhsa_exception_fp_ieee_div_zero 0
		.amdhsa_exception_fp_ieee_overflow 0
		.amdhsa_exception_fp_ieee_underflow 0
		.amdhsa_exception_fp_ieee_inexact 0
		.amdhsa_exception_int_div_zero 0
	.end_amdhsa_kernel
	.section	.text._ZN7rocprim17ROCPRIM_400000_NS6detail17trampoline_kernelINS0_14default_configENS1_25partition_config_selectorILNS1_17partition_subalgoE1EsNS0_10empty_typeEbEEZZNS1_14partition_implILS5_1ELb0ES3_jN6thrust23THRUST_200600_302600_NS6detail15normal_iteratorINSA_10device_ptrIsEEEEPS6_NSA_18transform_iteratorI7is_evenIsESF_NSA_11use_defaultESK_EENS0_5tupleIJNSA_16discard_iteratorISK_EESO_EEENSM_IJSG_SG_EEES6_PlJS6_EEE10hipError_tPvRmT3_T4_T5_T6_T7_T9_mT8_P12ihipStream_tbDpT10_ENKUlT_T0_E_clISt17integral_constantIbLb1EES1A_IbLb0EEEEDaS16_S17_EUlS16_E_NS1_11comp_targetILNS1_3genE8ELNS1_11target_archE1030ELNS1_3gpuE2ELNS1_3repE0EEENS1_30default_config_static_selectorELNS0_4arch9wavefront6targetE1EEEvT1_,"axG",@progbits,_ZN7rocprim17ROCPRIM_400000_NS6detail17trampoline_kernelINS0_14default_configENS1_25partition_config_selectorILNS1_17partition_subalgoE1EsNS0_10empty_typeEbEEZZNS1_14partition_implILS5_1ELb0ES3_jN6thrust23THRUST_200600_302600_NS6detail15normal_iteratorINSA_10device_ptrIsEEEEPS6_NSA_18transform_iteratorI7is_evenIsESF_NSA_11use_defaultESK_EENS0_5tupleIJNSA_16discard_iteratorISK_EESO_EEENSM_IJSG_SG_EEES6_PlJS6_EEE10hipError_tPvRmT3_T4_T5_T6_T7_T9_mT8_P12ihipStream_tbDpT10_ENKUlT_T0_E_clISt17integral_constantIbLb1EES1A_IbLb0EEEEDaS16_S17_EUlS16_E_NS1_11comp_targetILNS1_3genE8ELNS1_11target_archE1030ELNS1_3gpuE2ELNS1_3repE0EEENS1_30default_config_static_selectorELNS0_4arch9wavefront6targetE1EEEvT1_,comdat
.Lfunc_end3378:
	.size	_ZN7rocprim17ROCPRIM_400000_NS6detail17trampoline_kernelINS0_14default_configENS1_25partition_config_selectorILNS1_17partition_subalgoE1EsNS0_10empty_typeEbEEZZNS1_14partition_implILS5_1ELb0ES3_jN6thrust23THRUST_200600_302600_NS6detail15normal_iteratorINSA_10device_ptrIsEEEEPS6_NSA_18transform_iteratorI7is_evenIsESF_NSA_11use_defaultESK_EENS0_5tupleIJNSA_16discard_iteratorISK_EESO_EEENSM_IJSG_SG_EEES6_PlJS6_EEE10hipError_tPvRmT3_T4_T5_T6_T7_T9_mT8_P12ihipStream_tbDpT10_ENKUlT_T0_E_clISt17integral_constantIbLb1EES1A_IbLb0EEEEDaS16_S17_EUlS16_E_NS1_11comp_targetILNS1_3genE8ELNS1_11target_archE1030ELNS1_3gpuE2ELNS1_3repE0EEENS1_30default_config_static_selectorELNS0_4arch9wavefront6targetE1EEEvT1_, .Lfunc_end3378-_ZN7rocprim17ROCPRIM_400000_NS6detail17trampoline_kernelINS0_14default_configENS1_25partition_config_selectorILNS1_17partition_subalgoE1EsNS0_10empty_typeEbEEZZNS1_14partition_implILS5_1ELb0ES3_jN6thrust23THRUST_200600_302600_NS6detail15normal_iteratorINSA_10device_ptrIsEEEEPS6_NSA_18transform_iteratorI7is_evenIsESF_NSA_11use_defaultESK_EENS0_5tupleIJNSA_16discard_iteratorISK_EESO_EEENSM_IJSG_SG_EEES6_PlJS6_EEE10hipError_tPvRmT3_T4_T5_T6_T7_T9_mT8_P12ihipStream_tbDpT10_ENKUlT_T0_E_clISt17integral_constantIbLb1EES1A_IbLb0EEEEDaS16_S17_EUlS16_E_NS1_11comp_targetILNS1_3genE8ELNS1_11target_archE1030ELNS1_3gpuE2ELNS1_3repE0EEENS1_30default_config_static_selectorELNS0_4arch9wavefront6targetE1EEEvT1_
                                        ; -- End function
	.section	.AMDGPU.csdata,"",@progbits
; Kernel info:
; codeLenInByte = 0
; NumSgprs: 6
; NumVgprs: 0
; NumAgprs: 0
; TotalNumVgprs: 0
; ScratchSize: 0
; MemoryBound: 0
; FloatMode: 240
; IeeeMode: 1
; LDSByteSize: 0 bytes/workgroup (compile time only)
; SGPRBlocks: 0
; VGPRBlocks: 0
; NumSGPRsForWavesPerEU: 6
; NumVGPRsForWavesPerEU: 1
; AccumOffset: 4
; Occupancy: 8
; WaveLimiterHint : 0
; COMPUTE_PGM_RSRC2:SCRATCH_EN: 0
; COMPUTE_PGM_RSRC2:USER_SGPR: 2
; COMPUTE_PGM_RSRC2:TRAP_HANDLER: 0
; COMPUTE_PGM_RSRC2:TGID_X_EN: 1
; COMPUTE_PGM_RSRC2:TGID_Y_EN: 0
; COMPUTE_PGM_RSRC2:TGID_Z_EN: 0
; COMPUTE_PGM_RSRC2:TIDIG_COMP_CNT: 0
; COMPUTE_PGM_RSRC3_GFX90A:ACCUM_OFFSET: 0
; COMPUTE_PGM_RSRC3_GFX90A:TG_SPLIT: 0
	.section	.text._ZN7rocprim17ROCPRIM_400000_NS6detail17trampoline_kernelINS0_14default_configENS1_25partition_config_selectorILNS1_17partition_subalgoE1EsNS0_10empty_typeEbEEZZNS1_14partition_implILS5_1ELb0ES3_jN6thrust23THRUST_200600_302600_NS6detail15normal_iteratorINSA_10device_ptrIsEEEEPS6_NSA_18transform_iteratorI7is_evenIsESF_NSA_11use_defaultESK_EENS0_5tupleIJNSA_16discard_iteratorISK_EESO_EEENSM_IJSG_SG_EEES6_PlJS6_EEE10hipError_tPvRmT3_T4_T5_T6_T7_T9_mT8_P12ihipStream_tbDpT10_ENKUlT_T0_E_clISt17integral_constantIbLb0EES1A_IbLb1EEEEDaS16_S17_EUlS16_E_NS1_11comp_targetILNS1_3genE0ELNS1_11target_archE4294967295ELNS1_3gpuE0ELNS1_3repE0EEENS1_30default_config_static_selectorELNS0_4arch9wavefront6targetE1EEEvT1_,"axG",@progbits,_ZN7rocprim17ROCPRIM_400000_NS6detail17trampoline_kernelINS0_14default_configENS1_25partition_config_selectorILNS1_17partition_subalgoE1EsNS0_10empty_typeEbEEZZNS1_14partition_implILS5_1ELb0ES3_jN6thrust23THRUST_200600_302600_NS6detail15normal_iteratorINSA_10device_ptrIsEEEEPS6_NSA_18transform_iteratorI7is_evenIsESF_NSA_11use_defaultESK_EENS0_5tupleIJNSA_16discard_iteratorISK_EESO_EEENSM_IJSG_SG_EEES6_PlJS6_EEE10hipError_tPvRmT3_T4_T5_T6_T7_T9_mT8_P12ihipStream_tbDpT10_ENKUlT_T0_E_clISt17integral_constantIbLb0EES1A_IbLb1EEEEDaS16_S17_EUlS16_E_NS1_11comp_targetILNS1_3genE0ELNS1_11target_archE4294967295ELNS1_3gpuE0ELNS1_3repE0EEENS1_30default_config_static_selectorELNS0_4arch9wavefront6targetE1EEEvT1_,comdat
	.protected	_ZN7rocprim17ROCPRIM_400000_NS6detail17trampoline_kernelINS0_14default_configENS1_25partition_config_selectorILNS1_17partition_subalgoE1EsNS0_10empty_typeEbEEZZNS1_14partition_implILS5_1ELb0ES3_jN6thrust23THRUST_200600_302600_NS6detail15normal_iteratorINSA_10device_ptrIsEEEEPS6_NSA_18transform_iteratorI7is_evenIsESF_NSA_11use_defaultESK_EENS0_5tupleIJNSA_16discard_iteratorISK_EESO_EEENSM_IJSG_SG_EEES6_PlJS6_EEE10hipError_tPvRmT3_T4_T5_T6_T7_T9_mT8_P12ihipStream_tbDpT10_ENKUlT_T0_E_clISt17integral_constantIbLb0EES1A_IbLb1EEEEDaS16_S17_EUlS16_E_NS1_11comp_targetILNS1_3genE0ELNS1_11target_archE4294967295ELNS1_3gpuE0ELNS1_3repE0EEENS1_30default_config_static_selectorELNS0_4arch9wavefront6targetE1EEEvT1_ ; -- Begin function _ZN7rocprim17ROCPRIM_400000_NS6detail17trampoline_kernelINS0_14default_configENS1_25partition_config_selectorILNS1_17partition_subalgoE1EsNS0_10empty_typeEbEEZZNS1_14partition_implILS5_1ELb0ES3_jN6thrust23THRUST_200600_302600_NS6detail15normal_iteratorINSA_10device_ptrIsEEEEPS6_NSA_18transform_iteratorI7is_evenIsESF_NSA_11use_defaultESK_EENS0_5tupleIJNSA_16discard_iteratorISK_EESO_EEENSM_IJSG_SG_EEES6_PlJS6_EEE10hipError_tPvRmT3_T4_T5_T6_T7_T9_mT8_P12ihipStream_tbDpT10_ENKUlT_T0_E_clISt17integral_constantIbLb0EES1A_IbLb1EEEEDaS16_S17_EUlS16_E_NS1_11comp_targetILNS1_3genE0ELNS1_11target_archE4294967295ELNS1_3gpuE0ELNS1_3repE0EEENS1_30default_config_static_selectorELNS0_4arch9wavefront6targetE1EEEvT1_
	.globl	_ZN7rocprim17ROCPRIM_400000_NS6detail17trampoline_kernelINS0_14default_configENS1_25partition_config_selectorILNS1_17partition_subalgoE1EsNS0_10empty_typeEbEEZZNS1_14partition_implILS5_1ELb0ES3_jN6thrust23THRUST_200600_302600_NS6detail15normal_iteratorINSA_10device_ptrIsEEEEPS6_NSA_18transform_iteratorI7is_evenIsESF_NSA_11use_defaultESK_EENS0_5tupleIJNSA_16discard_iteratorISK_EESO_EEENSM_IJSG_SG_EEES6_PlJS6_EEE10hipError_tPvRmT3_T4_T5_T6_T7_T9_mT8_P12ihipStream_tbDpT10_ENKUlT_T0_E_clISt17integral_constantIbLb0EES1A_IbLb1EEEEDaS16_S17_EUlS16_E_NS1_11comp_targetILNS1_3genE0ELNS1_11target_archE4294967295ELNS1_3gpuE0ELNS1_3repE0EEENS1_30default_config_static_selectorELNS0_4arch9wavefront6targetE1EEEvT1_
	.p2align	8
	.type	_ZN7rocprim17ROCPRIM_400000_NS6detail17trampoline_kernelINS0_14default_configENS1_25partition_config_selectorILNS1_17partition_subalgoE1EsNS0_10empty_typeEbEEZZNS1_14partition_implILS5_1ELb0ES3_jN6thrust23THRUST_200600_302600_NS6detail15normal_iteratorINSA_10device_ptrIsEEEEPS6_NSA_18transform_iteratorI7is_evenIsESF_NSA_11use_defaultESK_EENS0_5tupleIJNSA_16discard_iteratorISK_EESO_EEENSM_IJSG_SG_EEES6_PlJS6_EEE10hipError_tPvRmT3_T4_T5_T6_T7_T9_mT8_P12ihipStream_tbDpT10_ENKUlT_T0_E_clISt17integral_constantIbLb0EES1A_IbLb1EEEEDaS16_S17_EUlS16_E_NS1_11comp_targetILNS1_3genE0ELNS1_11target_archE4294967295ELNS1_3gpuE0ELNS1_3repE0EEENS1_30default_config_static_selectorELNS0_4arch9wavefront6targetE1EEEvT1_,@function
_ZN7rocprim17ROCPRIM_400000_NS6detail17trampoline_kernelINS0_14default_configENS1_25partition_config_selectorILNS1_17partition_subalgoE1EsNS0_10empty_typeEbEEZZNS1_14partition_implILS5_1ELb0ES3_jN6thrust23THRUST_200600_302600_NS6detail15normal_iteratorINSA_10device_ptrIsEEEEPS6_NSA_18transform_iteratorI7is_evenIsESF_NSA_11use_defaultESK_EENS0_5tupleIJNSA_16discard_iteratorISK_EESO_EEENSM_IJSG_SG_EEES6_PlJS6_EEE10hipError_tPvRmT3_T4_T5_T6_T7_T9_mT8_P12ihipStream_tbDpT10_ENKUlT_T0_E_clISt17integral_constantIbLb0EES1A_IbLb1EEEEDaS16_S17_EUlS16_E_NS1_11comp_targetILNS1_3genE0ELNS1_11target_archE4294967295ELNS1_3gpuE0ELNS1_3repE0EEENS1_30default_config_static_selectorELNS0_4arch9wavefront6targetE1EEEvT1_: ; @_ZN7rocprim17ROCPRIM_400000_NS6detail17trampoline_kernelINS0_14default_configENS1_25partition_config_selectorILNS1_17partition_subalgoE1EsNS0_10empty_typeEbEEZZNS1_14partition_implILS5_1ELb0ES3_jN6thrust23THRUST_200600_302600_NS6detail15normal_iteratorINSA_10device_ptrIsEEEEPS6_NSA_18transform_iteratorI7is_evenIsESF_NSA_11use_defaultESK_EENS0_5tupleIJNSA_16discard_iteratorISK_EESO_EEENSM_IJSG_SG_EEES6_PlJS6_EEE10hipError_tPvRmT3_T4_T5_T6_T7_T9_mT8_P12ihipStream_tbDpT10_ENKUlT_T0_E_clISt17integral_constantIbLb0EES1A_IbLb1EEEEDaS16_S17_EUlS16_E_NS1_11comp_targetILNS1_3genE0ELNS1_11target_archE4294967295ELNS1_3gpuE0ELNS1_3repE0EEENS1_30default_config_static_selectorELNS0_4arch9wavefront6targetE1EEEvT1_
; %bb.0:
	.section	.rodata,"a",@progbits
	.p2align	6, 0x0
	.amdhsa_kernel _ZN7rocprim17ROCPRIM_400000_NS6detail17trampoline_kernelINS0_14default_configENS1_25partition_config_selectorILNS1_17partition_subalgoE1EsNS0_10empty_typeEbEEZZNS1_14partition_implILS5_1ELb0ES3_jN6thrust23THRUST_200600_302600_NS6detail15normal_iteratorINSA_10device_ptrIsEEEEPS6_NSA_18transform_iteratorI7is_evenIsESF_NSA_11use_defaultESK_EENS0_5tupleIJNSA_16discard_iteratorISK_EESO_EEENSM_IJSG_SG_EEES6_PlJS6_EEE10hipError_tPvRmT3_T4_T5_T6_T7_T9_mT8_P12ihipStream_tbDpT10_ENKUlT_T0_E_clISt17integral_constantIbLb0EES1A_IbLb1EEEEDaS16_S17_EUlS16_E_NS1_11comp_targetILNS1_3genE0ELNS1_11target_archE4294967295ELNS1_3gpuE0ELNS1_3repE0EEENS1_30default_config_static_selectorELNS0_4arch9wavefront6targetE1EEEvT1_
		.amdhsa_group_segment_fixed_size 0
		.amdhsa_private_segment_fixed_size 0
		.amdhsa_kernarg_size 160
		.amdhsa_user_sgpr_count 2
		.amdhsa_user_sgpr_dispatch_ptr 0
		.amdhsa_user_sgpr_queue_ptr 0
		.amdhsa_user_sgpr_kernarg_segment_ptr 1
		.amdhsa_user_sgpr_dispatch_id 0
		.amdhsa_user_sgpr_kernarg_preload_length 0
		.amdhsa_user_sgpr_kernarg_preload_offset 0
		.amdhsa_user_sgpr_private_segment_size 0
		.amdhsa_uses_dynamic_stack 0
		.amdhsa_enable_private_segment 0
		.amdhsa_system_sgpr_workgroup_id_x 1
		.amdhsa_system_sgpr_workgroup_id_y 0
		.amdhsa_system_sgpr_workgroup_id_z 0
		.amdhsa_system_sgpr_workgroup_info 0
		.amdhsa_system_vgpr_workitem_id 0
		.amdhsa_next_free_vgpr 1
		.amdhsa_next_free_sgpr 0
		.amdhsa_accum_offset 4
		.amdhsa_reserve_vcc 0
		.amdhsa_float_round_mode_32 0
		.amdhsa_float_round_mode_16_64 0
		.amdhsa_float_denorm_mode_32 3
		.amdhsa_float_denorm_mode_16_64 3
		.amdhsa_dx10_clamp 1
		.amdhsa_ieee_mode 1
		.amdhsa_fp16_overflow 0
		.amdhsa_tg_split 0
		.amdhsa_exception_fp_ieee_invalid_op 0
		.amdhsa_exception_fp_denorm_src 0
		.amdhsa_exception_fp_ieee_div_zero 0
		.amdhsa_exception_fp_ieee_overflow 0
		.amdhsa_exception_fp_ieee_underflow 0
		.amdhsa_exception_fp_ieee_inexact 0
		.amdhsa_exception_int_div_zero 0
	.end_amdhsa_kernel
	.section	.text._ZN7rocprim17ROCPRIM_400000_NS6detail17trampoline_kernelINS0_14default_configENS1_25partition_config_selectorILNS1_17partition_subalgoE1EsNS0_10empty_typeEbEEZZNS1_14partition_implILS5_1ELb0ES3_jN6thrust23THRUST_200600_302600_NS6detail15normal_iteratorINSA_10device_ptrIsEEEEPS6_NSA_18transform_iteratorI7is_evenIsESF_NSA_11use_defaultESK_EENS0_5tupleIJNSA_16discard_iteratorISK_EESO_EEENSM_IJSG_SG_EEES6_PlJS6_EEE10hipError_tPvRmT3_T4_T5_T6_T7_T9_mT8_P12ihipStream_tbDpT10_ENKUlT_T0_E_clISt17integral_constantIbLb0EES1A_IbLb1EEEEDaS16_S17_EUlS16_E_NS1_11comp_targetILNS1_3genE0ELNS1_11target_archE4294967295ELNS1_3gpuE0ELNS1_3repE0EEENS1_30default_config_static_selectorELNS0_4arch9wavefront6targetE1EEEvT1_,"axG",@progbits,_ZN7rocprim17ROCPRIM_400000_NS6detail17trampoline_kernelINS0_14default_configENS1_25partition_config_selectorILNS1_17partition_subalgoE1EsNS0_10empty_typeEbEEZZNS1_14partition_implILS5_1ELb0ES3_jN6thrust23THRUST_200600_302600_NS6detail15normal_iteratorINSA_10device_ptrIsEEEEPS6_NSA_18transform_iteratorI7is_evenIsESF_NSA_11use_defaultESK_EENS0_5tupleIJNSA_16discard_iteratorISK_EESO_EEENSM_IJSG_SG_EEES6_PlJS6_EEE10hipError_tPvRmT3_T4_T5_T6_T7_T9_mT8_P12ihipStream_tbDpT10_ENKUlT_T0_E_clISt17integral_constantIbLb0EES1A_IbLb1EEEEDaS16_S17_EUlS16_E_NS1_11comp_targetILNS1_3genE0ELNS1_11target_archE4294967295ELNS1_3gpuE0ELNS1_3repE0EEENS1_30default_config_static_selectorELNS0_4arch9wavefront6targetE1EEEvT1_,comdat
.Lfunc_end3379:
	.size	_ZN7rocprim17ROCPRIM_400000_NS6detail17trampoline_kernelINS0_14default_configENS1_25partition_config_selectorILNS1_17partition_subalgoE1EsNS0_10empty_typeEbEEZZNS1_14partition_implILS5_1ELb0ES3_jN6thrust23THRUST_200600_302600_NS6detail15normal_iteratorINSA_10device_ptrIsEEEEPS6_NSA_18transform_iteratorI7is_evenIsESF_NSA_11use_defaultESK_EENS0_5tupleIJNSA_16discard_iteratorISK_EESO_EEENSM_IJSG_SG_EEES6_PlJS6_EEE10hipError_tPvRmT3_T4_T5_T6_T7_T9_mT8_P12ihipStream_tbDpT10_ENKUlT_T0_E_clISt17integral_constantIbLb0EES1A_IbLb1EEEEDaS16_S17_EUlS16_E_NS1_11comp_targetILNS1_3genE0ELNS1_11target_archE4294967295ELNS1_3gpuE0ELNS1_3repE0EEENS1_30default_config_static_selectorELNS0_4arch9wavefront6targetE1EEEvT1_, .Lfunc_end3379-_ZN7rocprim17ROCPRIM_400000_NS6detail17trampoline_kernelINS0_14default_configENS1_25partition_config_selectorILNS1_17partition_subalgoE1EsNS0_10empty_typeEbEEZZNS1_14partition_implILS5_1ELb0ES3_jN6thrust23THRUST_200600_302600_NS6detail15normal_iteratorINSA_10device_ptrIsEEEEPS6_NSA_18transform_iteratorI7is_evenIsESF_NSA_11use_defaultESK_EENS0_5tupleIJNSA_16discard_iteratorISK_EESO_EEENSM_IJSG_SG_EEES6_PlJS6_EEE10hipError_tPvRmT3_T4_T5_T6_T7_T9_mT8_P12ihipStream_tbDpT10_ENKUlT_T0_E_clISt17integral_constantIbLb0EES1A_IbLb1EEEEDaS16_S17_EUlS16_E_NS1_11comp_targetILNS1_3genE0ELNS1_11target_archE4294967295ELNS1_3gpuE0ELNS1_3repE0EEENS1_30default_config_static_selectorELNS0_4arch9wavefront6targetE1EEEvT1_
                                        ; -- End function
	.section	.AMDGPU.csdata,"",@progbits
; Kernel info:
; codeLenInByte = 0
; NumSgprs: 6
; NumVgprs: 0
; NumAgprs: 0
; TotalNumVgprs: 0
; ScratchSize: 0
; MemoryBound: 0
; FloatMode: 240
; IeeeMode: 1
; LDSByteSize: 0 bytes/workgroup (compile time only)
; SGPRBlocks: 0
; VGPRBlocks: 0
; NumSGPRsForWavesPerEU: 6
; NumVGPRsForWavesPerEU: 1
; AccumOffset: 4
; Occupancy: 8
; WaveLimiterHint : 0
; COMPUTE_PGM_RSRC2:SCRATCH_EN: 0
; COMPUTE_PGM_RSRC2:USER_SGPR: 2
; COMPUTE_PGM_RSRC2:TRAP_HANDLER: 0
; COMPUTE_PGM_RSRC2:TGID_X_EN: 1
; COMPUTE_PGM_RSRC2:TGID_Y_EN: 0
; COMPUTE_PGM_RSRC2:TGID_Z_EN: 0
; COMPUTE_PGM_RSRC2:TIDIG_COMP_CNT: 0
; COMPUTE_PGM_RSRC3_GFX90A:ACCUM_OFFSET: 0
; COMPUTE_PGM_RSRC3_GFX90A:TG_SPLIT: 0
	.section	.text._ZN7rocprim17ROCPRIM_400000_NS6detail17trampoline_kernelINS0_14default_configENS1_25partition_config_selectorILNS1_17partition_subalgoE1EsNS0_10empty_typeEbEEZZNS1_14partition_implILS5_1ELb0ES3_jN6thrust23THRUST_200600_302600_NS6detail15normal_iteratorINSA_10device_ptrIsEEEEPS6_NSA_18transform_iteratorI7is_evenIsESF_NSA_11use_defaultESK_EENS0_5tupleIJNSA_16discard_iteratorISK_EESO_EEENSM_IJSG_SG_EEES6_PlJS6_EEE10hipError_tPvRmT3_T4_T5_T6_T7_T9_mT8_P12ihipStream_tbDpT10_ENKUlT_T0_E_clISt17integral_constantIbLb0EES1A_IbLb1EEEEDaS16_S17_EUlS16_E_NS1_11comp_targetILNS1_3genE5ELNS1_11target_archE942ELNS1_3gpuE9ELNS1_3repE0EEENS1_30default_config_static_selectorELNS0_4arch9wavefront6targetE1EEEvT1_,"axG",@progbits,_ZN7rocprim17ROCPRIM_400000_NS6detail17trampoline_kernelINS0_14default_configENS1_25partition_config_selectorILNS1_17partition_subalgoE1EsNS0_10empty_typeEbEEZZNS1_14partition_implILS5_1ELb0ES3_jN6thrust23THRUST_200600_302600_NS6detail15normal_iteratorINSA_10device_ptrIsEEEEPS6_NSA_18transform_iteratorI7is_evenIsESF_NSA_11use_defaultESK_EENS0_5tupleIJNSA_16discard_iteratorISK_EESO_EEENSM_IJSG_SG_EEES6_PlJS6_EEE10hipError_tPvRmT3_T4_T5_T6_T7_T9_mT8_P12ihipStream_tbDpT10_ENKUlT_T0_E_clISt17integral_constantIbLb0EES1A_IbLb1EEEEDaS16_S17_EUlS16_E_NS1_11comp_targetILNS1_3genE5ELNS1_11target_archE942ELNS1_3gpuE9ELNS1_3repE0EEENS1_30default_config_static_selectorELNS0_4arch9wavefront6targetE1EEEvT1_,comdat
	.protected	_ZN7rocprim17ROCPRIM_400000_NS6detail17trampoline_kernelINS0_14default_configENS1_25partition_config_selectorILNS1_17partition_subalgoE1EsNS0_10empty_typeEbEEZZNS1_14partition_implILS5_1ELb0ES3_jN6thrust23THRUST_200600_302600_NS6detail15normal_iteratorINSA_10device_ptrIsEEEEPS6_NSA_18transform_iteratorI7is_evenIsESF_NSA_11use_defaultESK_EENS0_5tupleIJNSA_16discard_iteratorISK_EESO_EEENSM_IJSG_SG_EEES6_PlJS6_EEE10hipError_tPvRmT3_T4_T5_T6_T7_T9_mT8_P12ihipStream_tbDpT10_ENKUlT_T0_E_clISt17integral_constantIbLb0EES1A_IbLb1EEEEDaS16_S17_EUlS16_E_NS1_11comp_targetILNS1_3genE5ELNS1_11target_archE942ELNS1_3gpuE9ELNS1_3repE0EEENS1_30default_config_static_selectorELNS0_4arch9wavefront6targetE1EEEvT1_ ; -- Begin function _ZN7rocprim17ROCPRIM_400000_NS6detail17trampoline_kernelINS0_14default_configENS1_25partition_config_selectorILNS1_17partition_subalgoE1EsNS0_10empty_typeEbEEZZNS1_14partition_implILS5_1ELb0ES3_jN6thrust23THRUST_200600_302600_NS6detail15normal_iteratorINSA_10device_ptrIsEEEEPS6_NSA_18transform_iteratorI7is_evenIsESF_NSA_11use_defaultESK_EENS0_5tupleIJNSA_16discard_iteratorISK_EESO_EEENSM_IJSG_SG_EEES6_PlJS6_EEE10hipError_tPvRmT3_T4_T5_T6_T7_T9_mT8_P12ihipStream_tbDpT10_ENKUlT_T0_E_clISt17integral_constantIbLb0EES1A_IbLb1EEEEDaS16_S17_EUlS16_E_NS1_11comp_targetILNS1_3genE5ELNS1_11target_archE942ELNS1_3gpuE9ELNS1_3repE0EEENS1_30default_config_static_selectorELNS0_4arch9wavefront6targetE1EEEvT1_
	.globl	_ZN7rocprim17ROCPRIM_400000_NS6detail17trampoline_kernelINS0_14default_configENS1_25partition_config_selectorILNS1_17partition_subalgoE1EsNS0_10empty_typeEbEEZZNS1_14partition_implILS5_1ELb0ES3_jN6thrust23THRUST_200600_302600_NS6detail15normal_iteratorINSA_10device_ptrIsEEEEPS6_NSA_18transform_iteratorI7is_evenIsESF_NSA_11use_defaultESK_EENS0_5tupleIJNSA_16discard_iteratorISK_EESO_EEENSM_IJSG_SG_EEES6_PlJS6_EEE10hipError_tPvRmT3_T4_T5_T6_T7_T9_mT8_P12ihipStream_tbDpT10_ENKUlT_T0_E_clISt17integral_constantIbLb0EES1A_IbLb1EEEEDaS16_S17_EUlS16_E_NS1_11comp_targetILNS1_3genE5ELNS1_11target_archE942ELNS1_3gpuE9ELNS1_3repE0EEENS1_30default_config_static_selectorELNS0_4arch9wavefront6targetE1EEEvT1_
	.p2align	8
	.type	_ZN7rocprim17ROCPRIM_400000_NS6detail17trampoline_kernelINS0_14default_configENS1_25partition_config_selectorILNS1_17partition_subalgoE1EsNS0_10empty_typeEbEEZZNS1_14partition_implILS5_1ELb0ES3_jN6thrust23THRUST_200600_302600_NS6detail15normal_iteratorINSA_10device_ptrIsEEEEPS6_NSA_18transform_iteratorI7is_evenIsESF_NSA_11use_defaultESK_EENS0_5tupleIJNSA_16discard_iteratorISK_EESO_EEENSM_IJSG_SG_EEES6_PlJS6_EEE10hipError_tPvRmT3_T4_T5_T6_T7_T9_mT8_P12ihipStream_tbDpT10_ENKUlT_T0_E_clISt17integral_constantIbLb0EES1A_IbLb1EEEEDaS16_S17_EUlS16_E_NS1_11comp_targetILNS1_3genE5ELNS1_11target_archE942ELNS1_3gpuE9ELNS1_3repE0EEENS1_30default_config_static_selectorELNS0_4arch9wavefront6targetE1EEEvT1_,@function
_ZN7rocprim17ROCPRIM_400000_NS6detail17trampoline_kernelINS0_14default_configENS1_25partition_config_selectorILNS1_17partition_subalgoE1EsNS0_10empty_typeEbEEZZNS1_14partition_implILS5_1ELb0ES3_jN6thrust23THRUST_200600_302600_NS6detail15normal_iteratorINSA_10device_ptrIsEEEEPS6_NSA_18transform_iteratorI7is_evenIsESF_NSA_11use_defaultESK_EENS0_5tupleIJNSA_16discard_iteratorISK_EESO_EEENSM_IJSG_SG_EEES6_PlJS6_EEE10hipError_tPvRmT3_T4_T5_T6_T7_T9_mT8_P12ihipStream_tbDpT10_ENKUlT_T0_E_clISt17integral_constantIbLb0EES1A_IbLb1EEEEDaS16_S17_EUlS16_E_NS1_11comp_targetILNS1_3genE5ELNS1_11target_archE942ELNS1_3gpuE9ELNS1_3repE0EEENS1_30default_config_static_selectorELNS0_4arch9wavefront6targetE1EEEvT1_: ; @_ZN7rocprim17ROCPRIM_400000_NS6detail17trampoline_kernelINS0_14default_configENS1_25partition_config_selectorILNS1_17partition_subalgoE1EsNS0_10empty_typeEbEEZZNS1_14partition_implILS5_1ELb0ES3_jN6thrust23THRUST_200600_302600_NS6detail15normal_iteratorINSA_10device_ptrIsEEEEPS6_NSA_18transform_iteratorI7is_evenIsESF_NSA_11use_defaultESK_EENS0_5tupleIJNSA_16discard_iteratorISK_EESO_EEENSM_IJSG_SG_EEES6_PlJS6_EEE10hipError_tPvRmT3_T4_T5_T6_T7_T9_mT8_P12ihipStream_tbDpT10_ENKUlT_T0_E_clISt17integral_constantIbLb0EES1A_IbLb1EEEEDaS16_S17_EUlS16_E_NS1_11comp_targetILNS1_3genE5ELNS1_11target_archE942ELNS1_3gpuE9ELNS1_3repE0EEENS1_30default_config_static_selectorELNS0_4arch9wavefront6targetE1EEEvT1_
; %bb.0:
	s_load_dwordx2 s[2:3], s[0:1], 0x20
	s_load_dwordx4 s[20:23], s[0:1], 0x60
	s_load_dwordx2 s[10:11], s[0:1], 0x70
	s_load_dwordx2 s[24:25], s[0:1], 0x80
	v_cmp_eq_u32_e64 s[18:19], 0, v0
	s_and_saveexec_b64 s[4:5], s[18:19]
	s_cbranch_execz .LBB3380_4
; %bb.1:
	s_mov_b64 s[8:9], exec
	v_mbcnt_lo_u32_b32 v1, s8, 0
	v_mbcnt_hi_u32_b32 v1, s9, v1
	v_cmp_eq_u32_e32 vcc, 0, v1
                                        ; implicit-def: $vgpr2
	s_and_saveexec_b64 s[6:7], vcc
	s_cbranch_execz .LBB3380_3
; %bb.2:
	s_load_dwordx2 s[12:13], s[0:1], 0x90
	s_bcnt1_i32_b64 s8, s[8:9]
	v_mov_b32_e32 v2, 0
	v_mov_b32_e32 v3, s8
	s_waitcnt lgkmcnt(0)
	global_atomic_add v2, v2, v3, s[12:13] sc0
.LBB3380_3:
	s_or_b64 exec, exec, s[6:7]
	s_waitcnt vmcnt(0)
	v_readfirstlane_b32 s6, v2
	v_mov_b32_e32 v2, 0
	s_nop 0
	v_add_u32_e32 v1, s6, v1
	ds_write_b32 v2, v1
.LBB3380_4:
	s_or_b64 exec, exec, s[4:5]
	v_mov_b32_e32 v19, 0
	s_load_dwordx4 s[4:7], s[0:1], 0x8
	s_load_dword s12, s[0:1], 0x88
	s_waitcnt lgkmcnt(0)
	s_barrier
	ds_read_b32 v1, v19
	s_waitcnt lgkmcnt(0)
	s_barrier
	global_load_dwordx2 v[14:15], v19, s[22:23]
	s_lshl_b64 s[8:9], s[6:7], 1
	v_mov_b32_e32 v3, s11
	s_add_u32 s11, s4, s8
	s_mul_i32 s4, s12, 0x3800
	s_addc_u32 s13, s5, s9
	s_add_i32 s1, s4, s6
	s_sub_i32 s14, s10, s1
	s_add_i32 s15, s12, -1
	s_addk_i32 s14, 0x3800
	s_add_u32 s4, s6, s4
	v_readfirstlane_b32 s30, v1
	s_addc_u32 s5, s7, 0
	s_cmp_eq_u32 s30, s15
	v_mov_b32_e32 v2, s10
	s_cselect_b64 s[22:23], -1, 0
	s_cmp_lg_u32 s30, s15
	s_mul_i32 s0, s30, 0x3800
	s_mov_b32 s1, 0
	v_cmp_lt_u64_e32 vcc, s[4:5], v[2:3]
	s_cselect_b64 s[4:5], -1, 0
	s_or_b64 s[4:5], vcc, s[4:5]
	s_lshl_b64 s[6:7], s[0:1], 1
	s_add_u32 s10, s11, s6
	s_addc_u32 s11, s13, s7
	s_mov_b64 s[0:1], -1
	s_and_b64 vcc, exec, s[4:5]
	v_lshlrev_b32_e32 v18, 1, v0
	s_cbranch_vccz .LBB3380_6
; %bb.5:
	v_lshl_add_u64 v[2:3], s[10:11], 0, v[18:19]
	v_add_co_u32_e32 v4, vcc, 0x1000, v2
	s_mov_b64 s[0:1], 0
	s_nop 0
	v_addc_co_u32_e32 v5, vcc, 0, v3, vcc
	flat_load_ushort v1, v[2:3]
	flat_load_ushort v8, v[2:3] offset:1024
	flat_load_ushort v9, v[2:3] offset:2048
	;; [unrolled: 1-line block ×3, first 2 shown]
	flat_load_ushort v11, v[4:5]
	flat_load_ushort v12, v[4:5] offset:1024
	flat_load_ushort v13, v[4:5] offset:2048
	;; [unrolled: 1-line block ×3, first 2 shown]
	v_add_co_u32_e32 v4, vcc, 0x2000, v2
	s_nop 1
	v_addc_co_u32_e32 v5, vcc, 0, v3, vcc
	v_add_co_u32_e32 v6, vcc, 0x3000, v2
	s_nop 1
	v_addc_co_u32_e32 v7, vcc, 0, v3, vcc
	flat_load_ushort v17, v[4:5]
	flat_load_ushort v19, v[4:5] offset:1024
	flat_load_ushort v20, v[4:5] offset:2048
	flat_load_ushort v21, v[4:5] offset:3072
	flat_load_ushort v22, v[6:7]
	flat_load_ushort v23, v[6:7] offset:1024
	flat_load_ushort v24, v[6:7] offset:2048
	;; [unrolled: 1-line block ×3, first 2 shown]
	v_add_co_u32_e32 v4, vcc, 0x4000, v2
	s_nop 1
	v_addc_co_u32_e32 v5, vcc, 0, v3, vcc
	v_add_co_u32_e32 v6, vcc, 0x5000, v2
	s_nop 1
	v_addc_co_u32_e32 v7, vcc, 0, v3, vcc
	v_add_co_u32_e32 v2, vcc, 0x6000, v2
	flat_load_ushort v26, v[4:5]
	flat_load_ushort v27, v[4:5] offset:1024
	flat_load_ushort v28, v[4:5] offset:2048
	;; [unrolled: 1-line block ×3, first 2 shown]
	flat_load_ushort v30, v[6:7]
	flat_load_ushort v31, v[6:7] offset:1024
	flat_load_ushort v32, v[6:7] offset:2048
	;; [unrolled: 1-line block ×3, first 2 shown]
	v_addc_co_u32_e32 v3, vcc, 0, v3, vcc
	flat_load_ushort v4, v[2:3]
	flat_load_ushort v5, v[2:3] offset:1024
	flat_load_ushort v6, v[2:3] offset:2048
	;; [unrolled: 1-line block ×3, first 2 shown]
	s_waitcnt vmcnt(0) lgkmcnt(0)
	ds_write_b16 v18, v1
	ds_write_b16 v18, v8 offset:1024
	ds_write_b16 v18, v9 offset:2048
	ds_write_b16 v18, v10 offset:3072
	ds_write_b16 v18, v11 offset:4096
	ds_write_b16 v18, v12 offset:5120
	ds_write_b16 v18, v13 offset:6144
	ds_write_b16 v18, v16 offset:7168
	ds_write_b16 v18, v17 offset:8192
	ds_write_b16 v18, v19 offset:9216
	ds_write_b16 v18, v20 offset:10240
	ds_write_b16 v18, v21 offset:11264
	ds_write_b16 v18, v22 offset:12288
	ds_write_b16 v18, v23 offset:13312
	ds_write_b16 v18, v24 offset:14336
	ds_write_b16 v18, v25 offset:15360
	ds_write_b16 v18, v26 offset:16384
	ds_write_b16 v18, v27 offset:17408
	ds_write_b16 v18, v28 offset:18432
	ds_write_b16 v18, v29 offset:19456
	ds_write_b16 v18, v30 offset:20480
	ds_write_b16 v18, v31 offset:21504
	ds_write_b16 v18, v32 offset:22528
	ds_write_b16 v18, v33 offset:23552
	ds_write_b16 v18, v4 offset:24576
	ds_write_b16 v18, v5 offset:25600
	ds_write_b16 v18, v6 offset:26624
	ds_write_b16 v18, v7 offset:27648
	s_waitcnt lgkmcnt(0)
	s_barrier
.LBB3380_6:
	s_andn2_b64 vcc, exec, s[0:1]
	v_cmp_gt_u32_e64 s[0:1], s14, v0
	s_cbranch_vccnz .LBB3380_64
; %bb.7:
                                        ; implicit-def: $vgpr1
	s_and_saveexec_b64 s[12:13], s[0:1]
	s_cbranch_execz .LBB3380_9
; %bb.8:
	v_mov_b32_e32 v19, 0
	v_lshl_add_u64 v[2:3], s[10:11], 0, v[18:19]
	flat_load_ushort v1, v[2:3]
.LBB3380_9:
	s_or_b64 exec, exec, s[12:13]
	v_or_b32_e32 v2, 0x200, v0
	v_cmp_gt_u32_e32 vcc, s14, v2
                                        ; implicit-def: $vgpr2
	s_and_saveexec_b64 s[0:1], vcc
	s_cbranch_execz .LBB3380_11
; %bb.10:
	v_mov_b32_e32 v19, 0
	v_lshl_add_u64 v[2:3], s[10:11], 0, v[18:19]
	flat_load_ushort v2, v[2:3] offset:1024
.LBB3380_11:
	s_or_b64 exec, exec, s[0:1]
	v_or_b32_e32 v3, 0x400, v0
	v_cmp_gt_u32_e32 vcc, s14, v3
                                        ; implicit-def: $vgpr3
	s_and_saveexec_b64 s[0:1], vcc
	s_cbranch_execz .LBB3380_13
; %bb.12:
	v_mov_b32_e32 v19, 0
	v_lshl_add_u64 v[4:5], s[10:11], 0, v[18:19]
	flat_load_ushort v3, v[4:5] offset:2048
.LBB3380_13:
	s_or_b64 exec, exec, s[0:1]
	v_or_b32_e32 v4, 0x600, v0
	v_cmp_gt_u32_e32 vcc, s14, v4
                                        ; implicit-def: $vgpr4
	s_and_saveexec_b64 s[0:1], vcc
	s_cbranch_execz .LBB3380_15
; %bb.14:
	v_mov_b32_e32 v19, 0
	v_lshl_add_u64 v[4:5], s[10:11], 0, v[18:19]
	flat_load_ushort v4, v[4:5] offset:3072
.LBB3380_15:
	s_or_b64 exec, exec, s[0:1]
	v_or_b32_e32 v6, 0x800, v0
	v_cmp_gt_u32_e32 vcc, s14, v6
                                        ; implicit-def: $vgpr5
	s_and_saveexec_b64 s[0:1], vcc
	s_cbranch_execz .LBB3380_17
; %bb.16:
	v_lshlrev_b32_e32 v6, 1, v6
	v_mov_b32_e32 v7, 0
	v_lshl_add_u64 v[6:7], s[10:11], 0, v[6:7]
	flat_load_ushort v5, v[6:7]
.LBB3380_17:
	s_or_b64 exec, exec, s[0:1]
	v_or_b32_e32 v7, 0xa00, v0
	v_cmp_gt_u32_e32 vcc, s14, v7
                                        ; implicit-def: $vgpr6
	s_and_saveexec_b64 s[0:1], vcc
	s_cbranch_execz .LBB3380_19
; %bb.18:
	v_lshlrev_b32_e32 v6, 1, v7
	v_mov_b32_e32 v7, 0
	v_lshl_add_u64 v[6:7], s[10:11], 0, v[6:7]
	flat_load_ushort v6, v[6:7]
.LBB3380_19:
	s_or_b64 exec, exec, s[0:1]
	v_or_b32_e32 v8, 0xc00, v0
	v_cmp_gt_u32_e32 vcc, s14, v8
                                        ; implicit-def: $vgpr7
	s_and_saveexec_b64 s[0:1], vcc
	s_cbranch_execz .LBB3380_21
; %bb.20:
	v_lshlrev_b32_e32 v8, 1, v8
	v_mov_b32_e32 v9, 0
	v_lshl_add_u64 v[8:9], s[10:11], 0, v[8:9]
	flat_load_ushort v7, v[8:9]
.LBB3380_21:
	s_or_b64 exec, exec, s[0:1]
	v_or_b32_e32 v9, 0xe00, v0
	v_cmp_gt_u32_e32 vcc, s14, v9
                                        ; implicit-def: $vgpr8
	s_and_saveexec_b64 s[0:1], vcc
	s_cbranch_execz .LBB3380_23
; %bb.22:
	v_lshlrev_b32_e32 v8, 1, v9
	v_mov_b32_e32 v9, 0
	v_lshl_add_u64 v[8:9], s[10:11], 0, v[8:9]
	flat_load_ushort v8, v[8:9]
.LBB3380_23:
	s_or_b64 exec, exec, s[0:1]
	v_or_b32_e32 v10, 0x1000, v0
	v_cmp_gt_u32_e32 vcc, s14, v10
                                        ; implicit-def: $vgpr9
	s_and_saveexec_b64 s[0:1], vcc
	s_cbranch_execz .LBB3380_25
; %bb.24:
	v_lshlrev_b32_e32 v10, 1, v10
	v_mov_b32_e32 v11, 0
	v_lshl_add_u64 v[10:11], s[10:11], 0, v[10:11]
	flat_load_ushort v9, v[10:11]
.LBB3380_25:
	s_or_b64 exec, exec, s[0:1]
	v_or_b32_e32 v11, 0x1200, v0
	v_cmp_gt_u32_e32 vcc, s14, v11
                                        ; implicit-def: $vgpr10
	s_and_saveexec_b64 s[0:1], vcc
	s_cbranch_execz .LBB3380_27
; %bb.26:
	v_lshlrev_b32_e32 v10, 1, v11
	v_mov_b32_e32 v11, 0
	v_lshl_add_u64 v[10:11], s[10:11], 0, v[10:11]
	flat_load_ushort v10, v[10:11]
.LBB3380_27:
	s_or_b64 exec, exec, s[0:1]
	v_or_b32_e32 v12, 0x1400, v0
	v_cmp_gt_u32_e32 vcc, s14, v12
                                        ; implicit-def: $vgpr11
	s_and_saveexec_b64 s[0:1], vcc
	s_cbranch_execz .LBB3380_29
; %bb.28:
	v_lshlrev_b32_e32 v12, 1, v12
	v_mov_b32_e32 v13, 0
	v_lshl_add_u64 v[12:13], s[10:11], 0, v[12:13]
	flat_load_ushort v11, v[12:13]
.LBB3380_29:
	s_or_b64 exec, exec, s[0:1]
	v_or_b32_e32 v13, 0x1600, v0
	v_cmp_gt_u32_e32 vcc, s14, v13
                                        ; implicit-def: $vgpr12
	s_and_saveexec_b64 s[0:1], vcc
	s_cbranch_execz .LBB3380_31
; %bb.30:
	v_lshlrev_b32_e32 v12, 1, v13
	v_mov_b32_e32 v13, 0
	v_lshl_add_u64 v[12:13], s[10:11], 0, v[12:13]
	flat_load_ushort v12, v[12:13]
.LBB3380_31:
	s_or_b64 exec, exec, s[0:1]
	v_or_b32_e32 v16, 0x1800, v0
	v_cmp_gt_u32_e32 vcc, s14, v16
                                        ; implicit-def: $vgpr13
	s_and_saveexec_b64 s[0:1], vcc
	s_cbranch_execz .LBB3380_33
; %bb.32:
	v_lshlrev_b32_e32 v16, 1, v16
	v_mov_b32_e32 v17, 0
	v_lshl_add_u64 v[16:17], s[10:11], 0, v[16:17]
	flat_load_ushort v13, v[16:17]
.LBB3380_33:
	s_or_b64 exec, exec, s[0:1]
	v_or_b32_e32 v17, 0x1a00, v0
	v_cmp_gt_u32_e32 vcc, s14, v17
                                        ; implicit-def: $vgpr16
	s_and_saveexec_b64 s[0:1], vcc
	s_cbranch_execz .LBB3380_35
; %bb.34:
	v_lshlrev_b32_e32 v16, 1, v17
	v_mov_b32_e32 v17, 0
	v_lshl_add_u64 v[16:17], s[10:11], 0, v[16:17]
	flat_load_ushort v16, v[16:17]
.LBB3380_35:
	s_or_b64 exec, exec, s[0:1]
	v_or_b32_e32 v19, 0x1c00, v0
	v_cmp_gt_u32_e32 vcc, s14, v19
                                        ; implicit-def: $vgpr17
	s_and_saveexec_b64 s[0:1], vcc
	s_cbranch_execz .LBB3380_37
; %bb.36:
	v_lshlrev_b32_e32 v20, 1, v19
	v_mov_b32_e32 v21, 0
	v_lshl_add_u64 v[20:21], s[10:11], 0, v[20:21]
	flat_load_ushort v17, v[20:21]
.LBB3380_37:
	s_or_b64 exec, exec, s[0:1]
	v_or_b32_e32 v20, 0x1e00, v0
	v_cmp_gt_u32_e32 vcc, s14, v20
                                        ; implicit-def: $vgpr19
	s_and_saveexec_b64 s[0:1], vcc
	s_cbranch_execz .LBB3380_39
; %bb.38:
	v_lshlrev_b32_e32 v20, 1, v20
	v_mov_b32_e32 v21, 0
	v_lshl_add_u64 v[20:21], s[10:11], 0, v[20:21]
	flat_load_ushort v19, v[20:21]
.LBB3380_39:
	s_or_b64 exec, exec, s[0:1]
	v_or_b32_e32 v21, 0x2000, v0
	v_cmp_gt_u32_e32 vcc, s14, v21
                                        ; implicit-def: $vgpr20
	s_and_saveexec_b64 s[0:1], vcc
	s_cbranch_execz .LBB3380_41
; %bb.40:
	v_lshlrev_b32_e32 v20, 1, v21
	v_mov_b32_e32 v21, 0
	v_lshl_add_u64 v[20:21], s[10:11], 0, v[20:21]
	flat_load_ushort v20, v[20:21]
.LBB3380_41:
	s_or_b64 exec, exec, s[0:1]
	v_or_b32_e32 v22, 0x2200, v0
	v_cmp_gt_u32_e32 vcc, s14, v22
                                        ; implicit-def: $vgpr21
	s_and_saveexec_b64 s[0:1], vcc
	s_cbranch_execz .LBB3380_43
; %bb.42:
	v_lshlrev_b32_e32 v22, 1, v22
	v_mov_b32_e32 v23, 0
	v_lshl_add_u64 v[22:23], s[10:11], 0, v[22:23]
	flat_load_ushort v21, v[22:23]
.LBB3380_43:
	s_or_b64 exec, exec, s[0:1]
	v_or_b32_e32 v23, 0x2400, v0
	v_cmp_gt_u32_e32 vcc, s14, v23
                                        ; implicit-def: $vgpr22
	s_and_saveexec_b64 s[0:1], vcc
	s_cbranch_execz .LBB3380_45
; %bb.44:
	v_lshlrev_b32_e32 v22, 1, v23
	v_mov_b32_e32 v23, 0
	v_lshl_add_u64 v[22:23], s[10:11], 0, v[22:23]
	flat_load_ushort v22, v[22:23]
.LBB3380_45:
	s_or_b64 exec, exec, s[0:1]
	v_or_b32_e32 v24, 0x2600, v0
	v_cmp_gt_u32_e32 vcc, s14, v24
                                        ; implicit-def: $vgpr23
	s_and_saveexec_b64 s[0:1], vcc
	s_cbranch_execz .LBB3380_47
; %bb.46:
	v_lshlrev_b32_e32 v24, 1, v24
	v_mov_b32_e32 v25, 0
	v_lshl_add_u64 v[24:25], s[10:11], 0, v[24:25]
	flat_load_ushort v23, v[24:25]
.LBB3380_47:
	s_or_b64 exec, exec, s[0:1]
	v_or_b32_e32 v25, 0x2800, v0
	v_cmp_gt_u32_e32 vcc, s14, v25
                                        ; implicit-def: $vgpr24
	s_and_saveexec_b64 s[0:1], vcc
	s_cbranch_execz .LBB3380_49
; %bb.48:
	v_lshlrev_b32_e32 v24, 1, v25
	v_mov_b32_e32 v25, 0
	v_lshl_add_u64 v[24:25], s[10:11], 0, v[24:25]
	flat_load_ushort v24, v[24:25]
.LBB3380_49:
	s_or_b64 exec, exec, s[0:1]
	v_or_b32_e32 v26, 0x2a00, v0
	v_cmp_gt_u32_e32 vcc, s14, v26
                                        ; implicit-def: $vgpr25
	s_and_saveexec_b64 s[0:1], vcc
	s_cbranch_execz .LBB3380_51
; %bb.50:
	v_lshlrev_b32_e32 v26, 1, v26
	v_mov_b32_e32 v27, 0
	v_lshl_add_u64 v[26:27], s[10:11], 0, v[26:27]
	flat_load_ushort v25, v[26:27]
.LBB3380_51:
	s_or_b64 exec, exec, s[0:1]
	v_or_b32_e32 v27, 0x2c00, v0
	v_cmp_gt_u32_e32 vcc, s14, v27
                                        ; implicit-def: $vgpr26
	s_and_saveexec_b64 s[0:1], vcc
	s_cbranch_execz .LBB3380_53
; %bb.52:
	v_lshlrev_b32_e32 v26, 1, v27
	v_mov_b32_e32 v27, 0
	v_lshl_add_u64 v[26:27], s[10:11], 0, v[26:27]
	flat_load_ushort v26, v[26:27]
.LBB3380_53:
	s_or_b64 exec, exec, s[0:1]
	v_or_b32_e32 v28, 0x2e00, v0
	v_cmp_gt_u32_e32 vcc, s14, v28
                                        ; implicit-def: $vgpr27
	s_and_saveexec_b64 s[0:1], vcc
	s_cbranch_execz .LBB3380_55
; %bb.54:
	v_lshlrev_b32_e32 v28, 1, v28
	v_mov_b32_e32 v29, 0
	v_lshl_add_u64 v[28:29], s[10:11], 0, v[28:29]
	flat_load_ushort v27, v[28:29]
.LBB3380_55:
	s_or_b64 exec, exec, s[0:1]
	v_or_b32_e32 v29, 0x3000, v0
	v_cmp_gt_u32_e32 vcc, s14, v29
                                        ; implicit-def: $vgpr28
	s_and_saveexec_b64 s[0:1], vcc
	s_cbranch_execz .LBB3380_57
; %bb.56:
	v_lshlrev_b32_e32 v28, 1, v29
	v_mov_b32_e32 v29, 0
	v_lshl_add_u64 v[28:29], s[10:11], 0, v[28:29]
	flat_load_ushort v28, v[28:29]
.LBB3380_57:
	s_or_b64 exec, exec, s[0:1]
	v_or_b32_e32 v30, 0x3200, v0
	v_cmp_gt_u32_e32 vcc, s14, v30
                                        ; implicit-def: $vgpr29
	s_and_saveexec_b64 s[0:1], vcc
	s_cbranch_execz .LBB3380_59
; %bb.58:
	v_lshlrev_b32_e32 v30, 1, v30
	v_mov_b32_e32 v31, 0
	v_lshl_add_u64 v[30:31], s[10:11], 0, v[30:31]
	flat_load_ushort v29, v[30:31]
.LBB3380_59:
	s_or_b64 exec, exec, s[0:1]
	v_or_b32_e32 v31, 0x3400, v0
	v_cmp_gt_u32_e32 vcc, s14, v31
                                        ; implicit-def: $vgpr30
	s_and_saveexec_b64 s[0:1], vcc
	s_cbranch_execz .LBB3380_61
; %bb.60:
	v_lshlrev_b32_e32 v30, 1, v31
	v_mov_b32_e32 v31, 0
	v_lshl_add_u64 v[30:31], s[10:11], 0, v[30:31]
	flat_load_ushort v30, v[30:31]
.LBB3380_61:
	s_or_b64 exec, exec, s[0:1]
	v_or_b32_e32 v32, 0x3600, v0
	v_cmp_gt_u32_e32 vcc, s14, v32
                                        ; implicit-def: $vgpr31
	s_and_saveexec_b64 s[0:1], vcc
	s_cbranch_execz .LBB3380_63
; %bb.62:
	v_lshlrev_b32_e32 v32, 1, v32
	v_mov_b32_e32 v33, 0
	v_lshl_add_u64 v[32:33], s[10:11], 0, v[32:33]
	flat_load_ushort v31, v[32:33]
.LBB3380_63:
	s_or_b64 exec, exec, s[0:1]
	s_waitcnt vmcnt(0) lgkmcnt(0)
	ds_write_b16 v18, v1
	ds_write_b16 v18, v2 offset:1024
	ds_write_b16 v18, v3 offset:2048
	;; [unrolled: 1-line block ×27, first 2 shown]
	s_waitcnt lgkmcnt(0)
	s_barrier
.LBB3380_64:
	v_mul_u32_u24_e32 v1, 28, v0
	v_lshlrev_b32_e32 v6, 1, v1
	ds_read_b64 v[16:17], v6 offset:48
	ds_read2_b64 v[2:5], v6 offset0:4 offset1:5
	ds_read2_b64 v[10:13], v6 offset1:1
	ds_read2_b64 v[6:9], v6 offset0:2 offset1:3
	s_add_u32 s0, s2, s8
	s_addc_u32 s1, s3, s9
	s_add_u32 s0, s0, s6
	s_addc_u32 s1, s1, s7
	s_mov_b64 s[2:3], -1
	s_and_b64 vcc, exec, s[4:5]
	s_waitcnt lgkmcnt(0)
	s_barrier
	s_cbranch_vccz .LBB3380_66
; %bb.65:
	v_mov_b32_e32 v19, 0
	v_lshl_add_u64 v[20:21], s[0:1], 0, v[18:19]
	s_movk_i32 s2, 0x1000
	v_add_co_u32_e32 v22, vcc, s2, v20
	s_movk_i32 s2, 0x2000
	s_nop 0
	v_addc_co_u32_e32 v23, vcc, 0, v21, vcc
	v_add_co_u32_e32 v24, vcc, s2, v20
	s_movk_i32 s3, 0x4000
	s_nop 0
	v_addc_co_u32_e32 v25, vcc, 0, v21, vcc
	global_load_ubyte v19, v18, s[0:1]
	global_load_ubyte v26, v18, s[0:1] offset:1024
	global_load_ubyte v27, v18, s[0:1] offset:2048
	;; [unrolled: 1-line block ×3, first 2 shown]
	global_load_ubyte v29, v[22:23], off offset:1024
	global_load_ubyte v30, v[22:23], off offset:2048
	;; [unrolled: 1-line block ×3, first 2 shown]
	global_load_ubyte v32, v[24:25], off offset:-4096
	global_load_ubyte v33, v[24:25], off
	global_load_ubyte v34, v[24:25], off offset:1024
	v_add_co_u32_e32 v22, vcc, s3, v20
	s_movk_i32 s2, 0x3000
	s_nop 0
	v_addc_co_u32_e32 v23, vcc, 0, v21, vcc
	global_load_ubyte v35, v[24:25], off offset:2048
	global_load_ubyte v36, v[24:25], off offset:3072
	global_load_ubyte v37, v[22:23], off offset:-4096
	v_add_co_u32_e32 v24, vcc, s2, v20
	s_movk_i32 s3, 0x6000
	s_nop 0
	v_addc_co_u32_e32 v25, vcc, 0, v21, vcc
	global_load_ubyte v38, v[24:25], off offset:1024
	global_load_ubyte v39, v[24:25], off offset:2048
	;; [unrolled: 1-line block ×3, first 2 shown]
	global_load_ubyte v41, v[22:23], off
	v_add_co_u32_e32 v24, vcc, s3, v20
	s_movk_i32 s2, 0x5000
	s_nop 0
	v_addc_co_u32_e32 v25, vcc, 0, v21, vcc
	v_add_co_u32_e32 v20, vcc, s2, v20
	global_load_ubyte v42, v[22:23], off offset:1024
	global_load_ubyte v43, v[22:23], off offset:2048
	;; [unrolled: 1-line block ×3, first 2 shown]
	global_load_ubyte v45, v[24:25], off offset:-4096
	v_addc_co_u32_e32 v21, vcc, 0, v21, vcc
	global_load_ubyte v22, v[20:21], off offset:1024
	global_load_ubyte v23, v[20:21], off offset:2048
	;; [unrolled: 1-line block ×3, first 2 shown]
	global_load_ubyte v47, v[24:25], off
	global_load_ubyte v48, v[24:25], off offset:1024
	global_load_ubyte v49, v[24:25], off offset:2048
	;; [unrolled: 1-line block ×3, first 2 shown]
	s_mov_b64 s[2:3], 0
	s_waitcnt vmcnt(23)
	v_xor_b32_e32 v25, -1, v29
	v_xor_b32_e32 v19, -1, v19
	;; [unrolled: 1-line block ×5, first 2 shown]
	v_and_b32_e32 v19, 1, v19
	s_waitcnt vmcnt(22)
	v_xor_b32_e32 v26, -1, v30
	s_waitcnt vmcnt(21)
	v_xor_b32_e32 v27, -1, v31
	;; [unrolled: 2-line block ×12, first 2 shown]
	v_and_b32_e32 v20, 1, v20
	v_and_b32_e32 v21, 1, v21
	;; [unrolled: 1-line block ×4, first 2 shown]
	s_waitcnt vmcnt(10)
	v_xor_b32_e32 v38, -1, v42
	s_waitcnt vmcnt(9)
	v_xor_b32_e32 v39, -1, v43
	s_waitcnt vmcnt(8)
	v_xor_b32_e32 v40, -1, v44
	s_waitcnt vmcnt(7)
	v_xor_b32_e32 v41, -1, v45
	s_waitcnt vmcnt(6)
	v_xor_b32_e32 v22, -1, v22
	s_waitcnt vmcnt(5)
	v_xor_b32_e32 v23, -1, v23
	s_waitcnt vmcnt(4)
	v_xor_b32_e32 v42, -1, v46
	s_waitcnt vmcnt(3)
	v_xor_b32_e32 v43, -1, v47
	s_waitcnt vmcnt(2)
	v_xor_b32_e32 v44, -1, v48
	s_waitcnt vmcnt(1)
	v_xor_b32_e32 v45, -1, v49
	s_waitcnt vmcnt(0)
	v_xor_b32_e32 v46, -1, v50
	v_and_b32_e32 v26, 1, v26
	v_and_b32_e32 v27, 1, v27
	;; [unrolled: 1-line block ×23, first 2 shown]
	ds_write_b8 v0, v19
	ds_write_b8 v0, v20 offset:512
	ds_write_b8 v0, v21 offset:1024
	;; [unrolled: 1-line block ×27, first 2 shown]
	s_waitcnt lgkmcnt(0)
	s_barrier
.LBB3380_66:
	s_andn2_b64 vcc, exec, s[2:3]
	s_cbranch_vccnz .LBB3380_124
; %bb.67:
	v_cmp_gt_u32_e32 vcc, s14, v0
	v_mov_b32_e32 v19, 0
	v_mov_b32_e32 v20, 0
	s_and_saveexec_b64 s[2:3], vcc
	s_cbranch_execz .LBB3380_69
; %bb.68:
	global_load_ubyte v20, v18, s[0:1]
	s_waitcnt vmcnt(0)
	v_xor_b32_e32 v20, -1, v20
	v_and_b32_e32 v20, 1, v20
.LBB3380_69:
	s_or_b64 exec, exec, s[2:3]
	v_or_b32_e32 v21, 0x200, v0
	v_cmp_gt_u32_e32 vcc, s14, v21
	s_and_saveexec_b64 s[2:3], vcc
	s_cbranch_execz .LBB3380_71
; %bb.70:
	global_load_ubyte v19, v18, s[0:1] offset:1024
	s_waitcnt vmcnt(0)
	v_xor_b32_e32 v19, -1, v19
	v_and_b32_e32 v19, 1, v19
.LBB3380_71:
	s_or_b64 exec, exec, s[2:3]
	v_or_b32_e32 v21, 0x400, v0
	v_cmp_gt_u32_e32 vcc, s14, v21
	v_mov_b32_e32 v21, 0
	v_mov_b32_e32 v22, 0
	s_and_saveexec_b64 s[2:3], vcc
	s_cbranch_execz .LBB3380_73
; %bb.72:
	global_load_ubyte v22, v18, s[0:1] offset:2048
	s_waitcnt vmcnt(0)
	v_xor_b32_e32 v22, -1, v22
	v_and_b32_e32 v22, 1, v22
.LBB3380_73:
	s_or_b64 exec, exec, s[2:3]
	v_or_b32_e32 v23, 0x600, v0
	v_cmp_gt_u32_e32 vcc, s14, v23
	s_and_saveexec_b64 s[2:3], vcc
	s_cbranch_execz .LBB3380_75
; %bb.74:
	global_load_ubyte v18, v18, s[0:1] offset:3072
	s_waitcnt vmcnt(0)
	v_xor_b32_e32 v18, -1, v18
	v_and_b32_e32 v21, 1, v18
.LBB3380_75:
	s_or_b64 exec, exec, s[2:3]
	v_or_b32_e32 v24, 0x800, v0
	v_cmp_gt_u32_e32 vcc, s14, v24
	v_mov_b32_e32 v18, 0
	v_mov_b32_e32 v23, 0
	s_and_saveexec_b64 s[2:3], vcc
	s_cbranch_execz .LBB3380_77
; %bb.76:
	v_lshlrev_b32_e32 v23, 1, v24
	global_load_ubyte v23, v23, s[0:1]
	s_waitcnt vmcnt(0)
	v_xor_b32_e32 v23, -1, v23
	v_and_b32_e32 v23, 1, v23
.LBB3380_77:
	s_or_b64 exec, exec, s[2:3]
	v_or_b32_e32 v24, 0xa00, v0
	v_cmp_gt_u32_e32 vcc, s14, v24
	s_and_saveexec_b64 s[2:3], vcc
	s_cbranch_execz .LBB3380_79
; %bb.78:
	v_lshlrev_b32_e32 v18, 1, v24
	global_load_ubyte v18, v18, s[0:1]
	s_waitcnt vmcnt(0)
	v_xor_b32_e32 v18, -1, v18
	v_and_b32_e32 v18, 1, v18
.LBB3380_79:
	s_or_b64 exec, exec, s[2:3]
	v_or_b32_e32 v26, 0xc00, v0
	v_cmp_gt_u32_e32 vcc, s14, v26
	v_mov_b32_e32 v24, 0
	v_mov_b32_e32 v25, 0
	s_and_saveexec_b64 s[2:3], vcc
	s_cbranch_execz .LBB3380_81
; %bb.80:
	v_lshlrev_b32_e32 v25, 1, v26
	global_load_ubyte v25, v25, s[0:1]
	s_waitcnt vmcnt(0)
	v_xor_b32_e32 v25, -1, v25
	v_and_b32_e32 v25, 1, v25
.LBB3380_81:
	s_or_b64 exec, exec, s[2:3]
	v_or_b32_e32 v26, 0xe00, v0
	v_cmp_gt_u32_e32 vcc, s14, v26
	s_and_saveexec_b64 s[2:3], vcc
	s_cbranch_execz .LBB3380_83
; %bb.82:
	v_lshlrev_b32_e32 v24, 1, v26
	global_load_ubyte v24, v24, s[0:1]
	s_waitcnt vmcnt(0)
	v_xor_b32_e32 v24, -1, v24
	v_and_b32_e32 v24, 1, v24
.LBB3380_83:
	s_or_b64 exec, exec, s[2:3]
	v_or_b32_e32 v28, 0x1000, v0
	v_cmp_gt_u32_e32 vcc, s14, v28
	v_mov_b32_e32 v26, 0
	v_mov_b32_e32 v27, 0
	s_and_saveexec_b64 s[2:3], vcc
	s_cbranch_execz .LBB3380_85
; %bb.84:
	v_lshlrev_b32_e32 v27, 1, v28
	global_load_ubyte v27, v27, s[0:1]
	s_waitcnt vmcnt(0)
	v_xor_b32_e32 v27, -1, v27
	v_and_b32_e32 v27, 1, v27
.LBB3380_85:
	s_or_b64 exec, exec, s[2:3]
	v_or_b32_e32 v28, 0x1200, v0
	v_cmp_gt_u32_e32 vcc, s14, v28
	s_and_saveexec_b64 s[2:3], vcc
	s_cbranch_execz .LBB3380_87
; %bb.86:
	v_lshlrev_b32_e32 v26, 1, v28
	global_load_ubyte v26, v26, s[0:1]
	s_waitcnt vmcnt(0)
	v_xor_b32_e32 v26, -1, v26
	v_and_b32_e32 v26, 1, v26
.LBB3380_87:
	s_or_b64 exec, exec, s[2:3]
	v_or_b32_e32 v30, 0x1400, v0
	v_cmp_gt_u32_e32 vcc, s14, v30
	v_mov_b32_e32 v28, 0
	v_mov_b32_e32 v29, 0
	s_and_saveexec_b64 s[2:3], vcc
	s_cbranch_execz .LBB3380_89
; %bb.88:
	v_lshlrev_b32_e32 v29, 1, v30
	global_load_ubyte v29, v29, s[0:1]
	s_waitcnt vmcnt(0)
	v_xor_b32_e32 v29, -1, v29
	v_and_b32_e32 v29, 1, v29
.LBB3380_89:
	s_or_b64 exec, exec, s[2:3]
	v_or_b32_e32 v30, 0x1600, v0
	v_cmp_gt_u32_e32 vcc, s14, v30
	s_and_saveexec_b64 s[2:3], vcc
	s_cbranch_execz .LBB3380_91
; %bb.90:
	v_lshlrev_b32_e32 v28, 1, v30
	global_load_ubyte v28, v28, s[0:1]
	s_waitcnt vmcnt(0)
	v_xor_b32_e32 v28, -1, v28
	v_and_b32_e32 v28, 1, v28
.LBB3380_91:
	s_or_b64 exec, exec, s[2:3]
	v_or_b32_e32 v32, 0x1800, v0
	v_cmp_gt_u32_e32 vcc, s14, v32
	v_mov_b32_e32 v30, 0
	v_mov_b32_e32 v31, 0
	s_and_saveexec_b64 s[2:3], vcc
	s_cbranch_execz .LBB3380_93
; %bb.92:
	v_lshlrev_b32_e32 v31, 1, v32
	global_load_ubyte v31, v31, s[0:1]
	s_waitcnt vmcnt(0)
	v_xor_b32_e32 v31, -1, v31
	v_and_b32_e32 v31, 1, v31
.LBB3380_93:
	s_or_b64 exec, exec, s[2:3]
	v_or_b32_e32 v32, 0x1a00, v0
	v_cmp_gt_u32_e32 vcc, s14, v32
	s_and_saveexec_b64 s[2:3], vcc
	s_cbranch_execz .LBB3380_95
; %bb.94:
	v_lshlrev_b32_e32 v30, 1, v32
	global_load_ubyte v30, v30, s[0:1]
	s_waitcnt vmcnt(0)
	v_xor_b32_e32 v30, -1, v30
	v_and_b32_e32 v30, 1, v30
.LBB3380_95:
	s_or_b64 exec, exec, s[2:3]
	v_or_b32_e32 v34, 0x1c00, v0
	v_cmp_gt_u32_e32 vcc, s14, v34
	v_mov_b32_e32 v32, 0
	v_mov_b32_e32 v33, 0
	s_and_saveexec_b64 s[2:3], vcc
	s_cbranch_execz .LBB3380_97
; %bb.96:
	v_lshlrev_b32_e32 v33, 1, v34
	global_load_ubyte v33, v33, s[0:1]
	s_waitcnt vmcnt(0)
	v_xor_b32_e32 v33, -1, v33
	v_and_b32_e32 v33, 1, v33
.LBB3380_97:
	s_or_b64 exec, exec, s[2:3]
	v_or_b32_e32 v34, 0x1e00, v0
	v_cmp_gt_u32_e32 vcc, s14, v34
	s_and_saveexec_b64 s[2:3], vcc
	s_cbranch_execz .LBB3380_99
; %bb.98:
	v_lshlrev_b32_e32 v32, 1, v34
	global_load_ubyte v32, v32, s[0:1]
	s_waitcnt vmcnt(0)
	v_xor_b32_e32 v32, -1, v32
	v_and_b32_e32 v32, 1, v32
.LBB3380_99:
	s_or_b64 exec, exec, s[2:3]
	v_or_b32_e32 v36, 0x2000, v0
	v_cmp_gt_u32_e32 vcc, s14, v36
	v_mov_b32_e32 v34, 0
	v_mov_b32_e32 v35, 0
	s_and_saveexec_b64 s[2:3], vcc
	s_cbranch_execz .LBB3380_101
; %bb.100:
	v_lshlrev_b32_e32 v35, 1, v36
	global_load_ubyte v35, v35, s[0:1]
	s_waitcnt vmcnt(0)
	v_xor_b32_e32 v35, -1, v35
	v_and_b32_e32 v35, 1, v35
.LBB3380_101:
	s_or_b64 exec, exec, s[2:3]
	v_or_b32_e32 v36, 0x2200, v0
	v_cmp_gt_u32_e32 vcc, s14, v36
	s_and_saveexec_b64 s[2:3], vcc
	s_cbranch_execz .LBB3380_103
; %bb.102:
	v_lshlrev_b32_e32 v34, 1, v36
	global_load_ubyte v34, v34, s[0:1]
	s_waitcnt vmcnt(0)
	v_xor_b32_e32 v34, -1, v34
	v_and_b32_e32 v34, 1, v34
.LBB3380_103:
	s_or_b64 exec, exec, s[2:3]
	v_or_b32_e32 v38, 0x2400, v0
	v_cmp_gt_u32_e32 vcc, s14, v38
	v_mov_b32_e32 v36, 0
	v_mov_b32_e32 v37, 0
	s_and_saveexec_b64 s[2:3], vcc
	s_cbranch_execz .LBB3380_105
; %bb.104:
	v_lshlrev_b32_e32 v37, 1, v38
	global_load_ubyte v37, v37, s[0:1]
	s_waitcnt vmcnt(0)
	v_xor_b32_e32 v37, -1, v37
	v_and_b32_e32 v37, 1, v37
.LBB3380_105:
	s_or_b64 exec, exec, s[2:3]
	v_or_b32_e32 v38, 0x2600, v0
	v_cmp_gt_u32_e32 vcc, s14, v38
	s_and_saveexec_b64 s[2:3], vcc
	s_cbranch_execz .LBB3380_107
; %bb.106:
	v_lshlrev_b32_e32 v36, 1, v38
	global_load_ubyte v36, v36, s[0:1]
	s_waitcnt vmcnt(0)
	v_xor_b32_e32 v36, -1, v36
	v_and_b32_e32 v36, 1, v36
.LBB3380_107:
	s_or_b64 exec, exec, s[2:3]
	v_or_b32_e32 v40, 0x2800, v0
	v_cmp_gt_u32_e32 vcc, s14, v40
	v_mov_b32_e32 v38, 0
	v_mov_b32_e32 v39, 0
	s_and_saveexec_b64 s[2:3], vcc
	s_cbranch_execz .LBB3380_109
; %bb.108:
	v_lshlrev_b32_e32 v39, 1, v40
	global_load_ubyte v39, v39, s[0:1]
	s_waitcnt vmcnt(0)
	v_xor_b32_e32 v39, -1, v39
	v_and_b32_e32 v39, 1, v39
.LBB3380_109:
	s_or_b64 exec, exec, s[2:3]
	v_or_b32_e32 v40, 0x2a00, v0
	v_cmp_gt_u32_e32 vcc, s14, v40
	s_and_saveexec_b64 s[2:3], vcc
	s_cbranch_execz .LBB3380_111
; %bb.110:
	v_lshlrev_b32_e32 v38, 1, v40
	global_load_ubyte v38, v38, s[0:1]
	s_waitcnt vmcnt(0)
	v_xor_b32_e32 v38, -1, v38
	v_and_b32_e32 v38, 1, v38
.LBB3380_111:
	s_or_b64 exec, exec, s[2:3]
	v_or_b32_e32 v42, 0x2c00, v0
	v_cmp_gt_u32_e32 vcc, s14, v42
	v_mov_b32_e32 v40, 0
	v_mov_b32_e32 v41, 0
	s_and_saveexec_b64 s[2:3], vcc
	s_cbranch_execz .LBB3380_113
; %bb.112:
	v_lshlrev_b32_e32 v41, 1, v42
	global_load_ubyte v41, v41, s[0:1]
	s_waitcnt vmcnt(0)
	v_xor_b32_e32 v41, -1, v41
	v_and_b32_e32 v41, 1, v41
.LBB3380_113:
	s_or_b64 exec, exec, s[2:3]
	v_or_b32_e32 v42, 0x2e00, v0
	v_cmp_gt_u32_e32 vcc, s14, v42
	s_and_saveexec_b64 s[2:3], vcc
	s_cbranch_execz .LBB3380_115
; %bb.114:
	v_lshlrev_b32_e32 v40, 1, v42
	global_load_ubyte v40, v40, s[0:1]
	s_waitcnt vmcnt(0)
	v_xor_b32_e32 v40, -1, v40
	v_and_b32_e32 v40, 1, v40
.LBB3380_115:
	s_or_b64 exec, exec, s[2:3]
	v_or_b32_e32 v44, 0x3000, v0
	v_cmp_gt_u32_e32 vcc, s14, v44
	v_mov_b32_e32 v42, 0
	v_mov_b32_e32 v43, 0
	s_and_saveexec_b64 s[2:3], vcc
	s_cbranch_execz .LBB3380_117
; %bb.116:
	v_lshlrev_b32_e32 v43, 1, v44
	global_load_ubyte v43, v43, s[0:1]
	s_waitcnt vmcnt(0)
	v_xor_b32_e32 v43, -1, v43
	v_and_b32_e32 v43, 1, v43
.LBB3380_117:
	s_or_b64 exec, exec, s[2:3]
	v_or_b32_e32 v44, 0x3200, v0
	v_cmp_gt_u32_e32 vcc, s14, v44
	s_and_saveexec_b64 s[2:3], vcc
	s_cbranch_execz .LBB3380_119
; %bb.118:
	v_lshlrev_b32_e32 v42, 1, v44
	global_load_ubyte v42, v42, s[0:1]
	s_waitcnt vmcnt(0)
	v_xor_b32_e32 v42, -1, v42
	v_and_b32_e32 v42, 1, v42
.LBB3380_119:
	s_or_b64 exec, exec, s[2:3]
	v_or_b32_e32 v46, 0x3400, v0
	v_cmp_gt_u32_e32 vcc, s14, v46
	v_mov_b32_e32 v44, 0
	v_mov_b32_e32 v45, 0
	s_and_saveexec_b64 s[2:3], vcc
	s_cbranch_execz .LBB3380_121
; %bb.120:
	v_lshlrev_b32_e32 v45, 1, v46
	global_load_ubyte v45, v45, s[0:1]
	s_waitcnt vmcnt(0)
	v_xor_b32_e32 v45, -1, v45
	v_and_b32_e32 v45, 1, v45
.LBB3380_121:
	s_or_b64 exec, exec, s[2:3]
	v_or_b32_e32 v46, 0x3600, v0
	v_cmp_gt_u32_e32 vcc, s14, v46
	s_and_saveexec_b64 s[2:3], vcc
	s_cbranch_execz .LBB3380_123
; %bb.122:
	v_lshlrev_b32_e32 v44, 1, v46
	global_load_ubyte v44, v44, s[0:1]
	s_waitcnt vmcnt(0)
	v_xor_b32_e32 v44, -1, v44
	v_and_b32_e32 v44, 1, v44
.LBB3380_123:
	s_or_b64 exec, exec, s[2:3]
	ds_write_b8 v0, v20
	ds_write_b8 v0, v19 offset:512
	ds_write_b8 v0, v22 offset:1024
	;; [unrolled: 1-line block ×27, first 2 shown]
	s_waitcnt lgkmcnt(0)
	s_barrier
.LBB3380_124:
	ds_read2_b32 v[22:23], v1 offset1:1
	ds_read2_b32 v[20:21], v1 offset0:2 offset1:3
	ds_read2_b32 v[18:19], v1 offset0:4 offset1:5
	ds_read_b32 v35, v1 offset:24
	s_cmp_lg_u32 s30, 0
	v_lshrrev_b32_e32 v62, 6, v0
	s_waitcnt lgkmcnt(2)
	v_and_b32_e32 v54, 0xff, v20
	v_lshrrev_b32_e32 v42, 24, v22
	v_bfe_u32 v60, v22, 16, 8
	v_add_u32_sdwa v24, v22, v22 dst_sel:DWORD dst_unused:UNUSED_PAD src0_sel:BYTE_1 src1_sel:BYTE_0
	v_and_b32_e32 v57, 0xff, v23
	v_bfe_u32 v58, v23, 8, 8
	v_add3_u32 v24, v24, v60, v42
	v_lshrrev_b32_e32 v41, 24, v23
	v_bfe_u32 v59, v23, 16, 8
	v_add3_u32 v24, v24, v57, v58
	v_bfe_u32 v55, v20, 8, 8
	v_add3_u32 v24, v24, v59, v41
	v_lshrrev_b32_e32 v40, 24, v20
	v_bfe_u32 v56, v20, 16, 8
	v_add3_u32 v24, v24, v54, v55
	v_and_b32_e32 v51, 0xff, v21
	v_bfe_u32 v52, v21, 8, 8
	v_add3_u32 v24, v24, v56, v40
	v_lshrrev_b32_e32 v39, 24, v21
	v_bfe_u32 v53, v21, 16, 8
	v_add3_u32 v24, v24, v51, v52
	s_waitcnt lgkmcnt(1)
	v_and_b32_e32 v48, 0xff, v18
	v_bfe_u32 v49, v18, 8, 8
	v_add3_u32 v24, v24, v53, v39
	v_lshrrev_b32_e32 v38, 24, v18
	v_bfe_u32 v50, v18, 16, 8
	v_add3_u32 v24, v24, v48, v49
	v_and_b32_e32 v45, 0xff, v19
	v_bfe_u32 v46, v19, 8, 8
	v_add3_u32 v24, v24, v50, v38
	v_lshrrev_b32_e32 v37, 24, v19
	v_bfe_u32 v47, v19, 16, 8
	v_add3_u32 v24, v24, v45, v46
	s_waitcnt lgkmcnt(0)
	v_and_b32_e32 v43, 0xff, v35
	v_bfe_u32 v44, v35, 8, 8
	v_add3_u32 v24, v24, v47, v37
	v_lshrrev_b32_e32 v34, 24, v35
	v_bfe_u32 v36, v35, 16, 8
	v_add3_u32 v24, v24, v43, v44
	v_add3_u32 v63, v24, v36, v34
	v_mbcnt_lo_u32_b32 v24, -1, 0
	v_mbcnt_hi_u32_b32 v61, -1, v24
	v_and_b32_e32 v24, 15, v61
	v_cmp_eq_u32_e64 s[14:15], 0, v24
	v_cmp_lt_u32_e64 s[12:13], 1, v24
	v_cmp_lt_u32_e64 s[10:11], 3, v24
	;; [unrolled: 1-line block ×3, first 2 shown]
	v_and_b32_e32 v24, 16, v61
	v_cmp_eq_u32_e64 s[6:7], 0, v24
	v_or_b32_e32 v24, 63, v0
	v_cmp_lt_u32_e64 s[2:3], 31, v61
	v_cmp_eq_u32_e64 s[4:5], v24, v0
	s_barrier
	s_cbranch_scc0 .LBB3380_151
; %bb.125:
	v_mov_b32_dpp v24, v63 row_shr:1 row_mask:0xf bank_mask:0xf
	v_cndmask_b32_e64 v24, v24, 0, s[14:15]
	v_add_u32_e32 v24, v24, v63
	s_nop 1
	v_mov_b32_dpp v25, v24 row_shr:2 row_mask:0xf bank_mask:0xf
	v_cndmask_b32_e64 v25, 0, v25, s[12:13]
	v_add_u32_e32 v24, v24, v25
	s_nop 1
	;; [unrolled: 4-line block ×4, first 2 shown]
	v_mov_b32_dpp v25, v24 row_bcast:15 row_mask:0xf bank_mask:0xf
	v_cndmask_b32_e64 v25, v25, 0, s[6:7]
	v_add_u32_e32 v24, v24, v25
	s_nop 1
	v_mov_b32_dpp v25, v24 row_bcast:31 row_mask:0xf bank_mask:0xf
	v_cndmask_b32_e64 v25, 0, v25, s[2:3]
	v_add_u32_e32 v24, v24, v25
	s_and_saveexec_b64 s[0:1], s[4:5]
	s_cbranch_execz .LBB3380_127
; %bb.126:
	v_lshlrev_b32_e32 v25, 2, v62
	ds_write_b32 v25, v24
.LBB3380_127:
	s_or_b64 exec, exec, s[0:1]
	v_cmp_gt_u32_e32 vcc, 8, v0
	s_waitcnt lgkmcnt(0)
	s_barrier
	s_and_saveexec_b64 s[0:1], vcc
	s_cbranch_execz .LBB3380_129
; %bb.128:
	v_lshlrev_b32_e32 v25, 2, v0
	ds_read_b32 v26, v25
	v_and_b32_e32 v27, 7, v61
	v_cmp_ne_u32_e32 vcc, 0, v27
	s_waitcnt lgkmcnt(0)
	v_mov_b32_dpp v28, v26 row_shr:1 row_mask:0xf bank_mask:0xf
	v_cndmask_b32_e32 v28, 0, v28, vcc
	v_add_u32_e32 v26, v28, v26
	v_cmp_lt_u32_e32 vcc, 1, v27
	s_nop 0
	v_mov_b32_dpp v28, v26 row_shr:2 row_mask:0xf bank_mask:0xf
	v_cndmask_b32_e32 v28, 0, v28, vcc
	v_add_u32_e32 v26, v26, v28
	v_cmp_lt_u32_e32 vcc, 3, v27
	s_nop 0
	v_mov_b32_dpp v28, v26 row_shr:4 row_mask:0xf bank_mask:0xf
	v_cndmask_b32_e32 v27, 0, v28, vcc
	v_add_u32_e32 v26, v26, v27
	ds_write_b32 v25, v26
.LBB3380_129:
	s_or_b64 exec, exec, s[0:1]
	v_cmp_gt_u32_e32 vcc, 64, v0
	v_cmp_lt_u32_e64 s[0:1], 63, v0
	s_waitcnt lgkmcnt(0)
	s_barrier
	s_waitcnt lgkmcnt(0)
                                        ; implicit-def: $vgpr64
	s_and_saveexec_b64 s[16:17], s[0:1]
	s_cbranch_execz .LBB3380_131
; %bb.130:
	v_lshl_add_u32 v25, v62, 2, -4
	ds_read_b32 v64, v25
	s_waitcnt lgkmcnt(0)
	v_add_u32_e32 v24, v64, v24
.LBB3380_131:
	s_or_b64 exec, exec, s[16:17]
	v_add_u32_e32 v25, -1, v61
	v_and_b32_e32 v26, 64, v61
	v_cmp_lt_i32_e64 s[0:1], v25, v26
	v_cmp_eq_u32_e64 s[16:17], 0, v61
	s_nop 0
	v_cndmask_b32_e64 v25, v25, v61, s[0:1]
	v_lshlrev_b32_e32 v25, 2, v25
	ds_bpermute_b32 v65, v25, v24
	s_and_saveexec_b64 s[0:1], vcc
	s_cbranch_execz .LBB3380_150
; %bb.132:
	v_mov_b32_e32 v31, 0
	ds_read_b32 v24, v31 offset:28
	s_and_saveexec_b64 s[26:27], s[16:17]
	s_cbranch_execz .LBB3380_134
; %bb.133:
	s_add_i32 s28, s30, 64
	s_mov_b32 s29, 0
	s_lshl_b64 s[28:29], s[28:29], 3
	s_add_u32 s28, s24, s28
	v_mov_b32_e32 v25, 1
	s_addc_u32 s29, s25, s29
	s_waitcnt lgkmcnt(0)
	global_store_dwordx2 v31, v[24:25], s[28:29] sc1
.LBB3380_134:
	s_or_b64 exec, exec, s[26:27]
	v_xad_u32 v26, v61, -1, s30
	v_add_u32_e32 v30, 64, v26
	v_lshl_add_u64 v[32:33], v[30:31], 3, s[24:25]
	global_load_dwordx2 v[28:29], v[32:33], off sc1
	s_waitcnt vmcnt(0)
	v_cmp_eq_u16_sdwa s[28:29], v29, v31 src0_sel:BYTE_0 src1_sel:DWORD
	s_and_saveexec_b64 s[26:27], s[28:29]
	s_cbranch_execz .LBB3380_138
; %bb.135:
	s_mov_b64 s[28:29], 0
	v_mov_b32_e32 v25, 0
.LBB3380_136:                           ; =>This Inner Loop Header: Depth=1
	global_load_dwordx2 v[28:29], v[32:33], off sc1
	s_waitcnt vmcnt(0)
	v_cmp_ne_u16_sdwa s[34:35], v29, v25 src0_sel:BYTE_0 src1_sel:DWORD
	s_or_b64 s[28:29], s[34:35], s[28:29]
	s_andn2_b64 exec, exec, s[28:29]
	s_cbranch_execnz .LBB3380_136
; %bb.137:
	s_or_b64 exec, exec, s[28:29]
.LBB3380_138:
	s_or_b64 exec, exec, s[26:27]
	v_and_b32_e32 v67, 63, v61
	v_mov_b32_e32 v66, 2
	v_cmp_ne_u32_e32 vcc, 63, v67
	v_cmp_eq_u16_sdwa s[26:27], v29, v66 src0_sel:BYTE_0 src1_sel:DWORD
	v_lshlrev_b64 v[30:31], v61, -1
	v_addc_co_u32_e32 v32, vcc, 0, v61, vcc
	v_and_b32_e32 v25, s27, v31
	v_lshlrev_b32_e32 v68, 2, v32
	v_or_b32_e32 v25, 0x80000000, v25
	ds_bpermute_b32 v32, v68, v28
	v_and_b32_e32 v27, s26, v30
	v_ffbl_b32_e32 v25, v25
	v_add_u32_e32 v25, 32, v25
	v_ffbl_b32_e32 v27, v27
	v_min_u32_e32 v25, v27, v25
	v_cmp_lt_u32_e32 vcc, v67, v25
	v_add_u32_e32 v70, 2, v67
	v_add_u32_e32 v72, 4, v67
	s_waitcnt lgkmcnt(0)
	v_cndmask_b32_e32 v27, 0, v32, vcc
	v_cmp_gt_u32_e32 vcc, 62, v67
	v_add_u32_e32 v27, v27, v28
	v_add_u32_e32 v74, 8, v67
	v_cndmask_b32_e64 v28, 0, 1, vcc
	v_lshlrev_b32_e32 v28, 1, v28
	v_add_lshl_u32 v69, v28, v61, 2
	ds_bpermute_b32 v28, v69, v27
	v_cmp_le_u32_e32 vcc, v70, v25
	v_add_u32_e32 v76, 16, v67
	v_add_u32_e32 v78, 32, v67
	s_waitcnt lgkmcnt(0)
	v_cndmask_b32_e32 v28, 0, v28, vcc
	v_cmp_gt_u32_e32 vcc, 60, v67
	v_add_u32_e32 v27, v27, v28
	s_nop 0
	v_cndmask_b32_e64 v28, 0, 1, vcc
	v_lshlrev_b32_e32 v28, 2, v28
	v_add_lshl_u32 v71, v28, v61, 2
	ds_bpermute_b32 v28, v71, v27
	v_cmp_le_u32_e32 vcc, v72, v25
	s_waitcnt lgkmcnt(0)
	s_nop 0
	v_cndmask_b32_e32 v28, 0, v28, vcc
	v_cmp_gt_u32_e32 vcc, 56, v67
	v_add_u32_e32 v27, v27, v28
	s_nop 0
	v_cndmask_b32_e64 v28, 0, 1, vcc
	v_lshlrev_b32_e32 v28, 3, v28
	v_add_lshl_u32 v73, v28, v61, 2
	ds_bpermute_b32 v28, v73, v27
	v_cmp_le_u32_e32 vcc, v74, v25
	s_waitcnt lgkmcnt(0)
	s_nop 0
	;; [unrolled: 11-line block ×4, first 2 shown]
	v_cndmask_b32_e32 v25, 0, v28, vcc
	v_add_u32_e32 v28, v27, v25
	v_mov_b32_e32 v27, 0
	s_branch .LBB3380_140
.LBB3380_139:                           ;   in Loop: Header=BB3380_140 Depth=1
	s_or_b64 exec, exec, s[26:27]
	v_cmp_eq_u16_sdwa s[26:27], v29, v66 src0_sel:BYTE_0 src1_sel:DWORD
	ds_bpermute_b32 v79, v68, v28
	v_subrev_u32_e32 v26, 64, v26
	v_and_b32_e32 v32, s27, v31
	v_or_b32_e32 v32, 0x80000000, v32
	v_and_b32_e32 v33, s26, v30
	v_ffbl_b32_e32 v32, v32
	v_add_u32_e32 v32, 32, v32
	v_ffbl_b32_e32 v33, v33
	v_min_u32_e32 v32, v33, v32
	v_cmp_lt_u32_e32 vcc, v67, v32
	s_waitcnt lgkmcnt(0)
	s_nop 0
	v_cndmask_b32_e32 v33, 0, v79, vcc
	v_add_u32_e32 v28, v33, v28
	ds_bpermute_b32 v33, v69, v28
	v_cmp_le_u32_e32 vcc, v70, v32
	s_waitcnt lgkmcnt(0)
	s_nop 0
	v_cndmask_b32_e32 v33, 0, v33, vcc
	v_add_u32_e32 v28, v28, v33
	ds_bpermute_b32 v33, v71, v28
	v_cmp_le_u32_e32 vcc, v72, v32
	;; [unrolled: 6-line block ×5, first 2 shown]
	s_waitcnt lgkmcnt(0)
	s_nop 0
	v_cndmask_b32_e32 v32, 0, v33, vcc
	v_add3_u32 v28, v32, v25, v28
.LBB3380_140:                           ; =>This Loop Header: Depth=1
                                        ;     Child Loop BB3380_143 Depth 2
	v_cmp_ne_u16_sdwa s[26:27], v29, v66 src0_sel:BYTE_0 src1_sel:DWORD
	s_nop 1
	v_cndmask_b32_e64 v25, 0, 1, s[26:27]
	;;#ASMSTART
	;;#ASMEND
	s_nop 0
	v_cmp_ne_u32_e32 vcc, 0, v25
	s_cmp_lg_u64 vcc, exec
	v_mov_b32_e32 v25, v28
	s_cbranch_scc1 .LBB3380_145
; %bb.141:                              ;   in Loop: Header=BB3380_140 Depth=1
	v_lshl_add_u64 v[32:33], v[26:27], 3, s[24:25]
	global_load_dwordx2 v[28:29], v[32:33], off sc1
	s_waitcnt vmcnt(0)
	v_cmp_eq_u16_sdwa s[28:29], v29, v27 src0_sel:BYTE_0 src1_sel:DWORD
	s_and_saveexec_b64 s[26:27], s[28:29]
	s_cbranch_execz .LBB3380_139
; %bb.142:                              ;   in Loop: Header=BB3380_140 Depth=1
	s_mov_b64 s[28:29], 0
.LBB3380_143:                           ;   Parent Loop BB3380_140 Depth=1
                                        ; =>  This Inner Loop Header: Depth=2
	global_load_dwordx2 v[28:29], v[32:33], off sc1
	s_waitcnt vmcnt(0)
	v_cmp_ne_u16_sdwa s[34:35], v29, v27 src0_sel:BYTE_0 src1_sel:DWORD
	s_or_b64 s[28:29], s[34:35], s[28:29]
	s_andn2_b64 exec, exec, s[28:29]
	s_cbranch_execnz .LBB3380_143
; %bb.144:                              ;   in Loop: Header=BB3380_140 Depth=1
	s_or_b64 exec, exec, s[28:29]
	s_branch .LBB3380_139
.LBB3380_145:                           ;   in Loop: Header=BB3380_140 Depth=1
                                        ; implicit-def: $vgpr28
                                        ; implicit-def: $vgpr29
	s_cbranch_execz .LBB3380_140
; %bb.146:
	s_and_saveexec_b64 s[26:27], s[16:17]
	s_cbranch_execz .LBB3380_148
; %bb.147:
	s_add_i32 s28, s30, 64
	s_mov_b32 s29, 0
	s_lshl_b64 s[28:29], s[28:29], 3
	s_add_u32 s28, s24, s28
	v_add_u32_e32 v26, v25, v24
	v_mov_b32_e32 v27, 2
	s_addc_u32 s29, s25, s29
	v_mov_b32_e32 v28, 0
	global_store_dwordx2 v28, v[26:27], s[28:29] sc1
	ds_write_b64 v28, v[24:25] offset:28672
.LBB3380_148:
	s_or_b64 exec, exec, s[26:27]
	s_and_b64 exec, exec, s[18:19]
	s_cbranch_execz .LBB3380_150
; %bb.149:
	v_mov_b32_e32 v24, 0
	ds_write_b32 v24, v25 offset:28
.LBB3380_150:
	s_or_b64 exec, exec, s[0:1]
	v_mov_b32_e32 v24, 0
	s_waitcnt lgkmcnt(0)
	s_barrier
	ds_read_b32 v26, v24 offset:28
	s_waitcnt lgkmcnt(0)
	s_barrier
	ds_read_b64 v[24:25], v24 offset:28672
	v_cndmask_b32_e64 v27, v65, v64, s[16:17]
	v_cndmask_b32_e64 v27, v27, 0, s[18:19]
	v_add_u32_e32 v31, v26, v27
	s_branch .LBB3380_161
.LBB3380_151:
                                        ; implicit-def: $vgpr25
                                        ; implicit-def: $vgpr31
	s_cbranch_execz .LBB3380_161
; %bb.152:
	s_waitcnt lgkmcnt(0)
	v_mov_b32_dpp v24, v63 row_shr:1 row_mask:0xf bank_mask:0xf
	v_cndmask_b32_e64 v24, v24, 0, s[14:15]
	v_add_u32_e32 v24, v24, v63
	s_nop 1
	v_mov_b32_dpp v25, v24 row_shr:2 row_mask:0xf bank_mask:0xf
	v_cndmask_b32_e64 v25, 0, v25, s[12:13]
	v_add_u32_e32 v24, v24, v25
	s_nop 1
	v_mov_b32_dpp v25, v24 row_shr:4 row_mask:0xf bank_mask:0xf
	v_cndmask_b32_e64 v25, 0, v25, s[10:11]
	v_add_u32_e32 v24, v24, v25
	s_nop 1
	v_mov_b32_dpp v25, v24 row_shr:8 row_mask:0xf bank_mask:0xf
	v_cndmask_b32_e64 v25, 0, v25, s[8:9]
	v_add_u32_e32 v24, v24, v25
	s_nop 1
	v_mov_b32_dpp v25, v24 row_bcast:15 row_mask:0xf bank_mask:0xf
	v_cndmask_b32_e64 v25, v25, 0, s[6:7]
	v_add_u32_e32 v24, v24, v25
	s_nop 1
	v_mov_b32_dpp v25, v24 row_bcast:31 row_mask:0xf bank_mask:0xf
	v_cndmask_b32_e64 v25, 0, v25, s[2:3]
	v_add_u32_e32 v24, v24, v25
	s_and_saveexec_b64 s[0:1], s[4:5]
	s_cbranch_execz .LBB3380_154
; %bb.153:
	v_lshlrev_b32_e32 v25, 2, v62
	ds_write_b32 v25, v24
.LBB3380_154:
	s_or_b64 exec, exec, s[0:1]
	v_cmp_gt_u32_e32 vcc, 8, v0
	s_waitcnt lgkmcnt(0)
	s_barrier
	s_and_saveexec_b64 s[0:1], vcc
	s_cbranch_execz .LBB3380_156
; %bb.155:
	v_lshlrev_b32_e32 v25, 2, v0
	ds_read_b32 v26, v25
	v_and_b32_e32 v27, 7, v61
	v_cmp_ne_u32_e32 vcc, 0, v27
	s_waitcnt lgkmcnt(0)
	v_mov_b32_dpp v28, v26 row_shr:1 row_mask:0xf bank_mask:0xf
	v_cndmask_b32_e32 v28, 0, v28, vcc
	v_add_u32_e32 v26, v28, v26
	v_cmp_lt_u32_e32 vcc, 1, v27
	s_nop 0
	v_mov_b32_dpp v28, v26 row_shr:2 row_mask:0xf bank_mask:0xf
	v_cndmask_b32_e32 v28, 0, v28, vcc
	v_add_u32_e32 v26, v26, v28
	v_cmp_lt_u32_e32 vcc, 3, v27
	s_nop 0
	v_mov_b32_dpp v28, v26 row_shr:4 row_mask:0xf bank_mask:0xf
	v_cndmask_b32_e32 v27, 0, v28, vcc
	v_add_u32_e32 v26, v26, v27
	ds_write_b32 v25, v26
.LBB3380_156:
	s_or_b64 exec, exec, s[0:1]
	v_cmp_lt_u32_e32 vcc, 63, v0
	v_mov_b32_e32 v25, 0
	v_mov_b32_e32 v0, 0
	s_waitcnt lgkmcnt(0)
	s_barrier
	s_and_saveexec_b64 s[0:1], vcc
	s_cbranch_execz .LBB3380_158
; %bb.157:
	v_lshl_add_u32 v0, v62, 2, -4
	ds_read_b32 v0, v0
.LBB3380_158:
	s_or_b64 exec, exec, s[0:1]
	v_add_u32_e32 v26, -1, v61
	v_and_b32_e32 v27, 64, v61
	v_cmp_lt_i32_e32 vcc, v26, v27
	s_waitcnt lgkmcnt(0)
	v_add_u32_e32 v24, v0, v24
	v_cndmask_b32_e32 v26, v26, v61, vcc
	v_lshlrev_b32_e32 v26, 2, v26
	ds_bpermute_b32 v26, v26, v24
	ds_read_b32 v24, v25 offset:28
	s_and_saveexec_b64 s[0:1], s[18:19]
	s_cbranch_execz .LBB3380_160
; %bb.159:
	v_mov_b32_e32 v27, 0
	v_mov_b32_e32 v25, 2
	s_waitcnt lgkmcnt(0)
	global_store_dwordx2 v27, v[24:25], s[24:25] offset:512 sc1
.LBB3380_160:
	s_or_b64 exec, exec, s[0:1]
	v_cmp_eq_u32_e32 vcc, 0, v61
	v_mov_b32_e32 v25, 0
	s_waitcnt lgkmcnt(0)
	v_cndmask_b32_e32 v0, v26, v0, vcc
	v_cndmask_b32_e64 v31, v0, 0, s[18:19]
	s_barrier
.LBB3380_161:
	v_add_u32_sdwa v33, v31, v22 dst_sel:DWORD dst_unused:UNUSED_PAD src0_sel:DWORD src1_sel:BYTE_0
	s_waitcnt lgkmcnt(0)
	v_add_u32_e32 v1, v24, v1
	v_sub_u32_e32 v31, v31, v25
	v_and_b32_e32 v69, 1, v22
	v_sub_u32_e32 v68, v1, v31
	v_cmp_eq_u32_e32 vcc, 1, v69
	v_lshrrev_b32_e32 v32, 8, v22
	v_add_u32_sdwa v61, v33, v22 dst_sel:DWORD dst_unused:UNUSED_PAD src0_sel:DWORD src1_sel:BYTE_1
	v_cndmask_b32_e32 v31, v68, v31, vcc
	v_lshlrev_b32_e32 v31, 1, v31
	ds_write_b16 v31, v10
	v_sub_u32_e32 v31, v33, v25
	v_sub_u32_e32 v33, v1, v31
	v_and_b32_e32 v32, 1, v32
	v_add_u32_e32 v33, 1, v33
	v_cmp_eq_u32_e32 vcc, 1, v32
	v_mov_b32_e32 v32, 1
	v_and_b32_sdwa v22, v32, v22 dst_sel:DWORD dst_unused:UNUSED_PAD src0_sel:DWORD src1_sel:WORD_1
	v_cndmask_b32_e32 v31, v33, v31, vcc
	v_lshlrev_b32_e32 v31, 1, v31
	ds_write_b16_d16_hi v31, v10
	v_sub_u32_e32 v10, v61, v25
	v_sub_u32_e32 v31, v1, v10
	v_add_u32_e32 v31, 2, v31
	v_cmp_eq_u32_e32 vcc, 1, v22
	v_add_u32_e32 v60, v61, v60
	v_add_u32_e32 v62, v60, v42
	v_cndmask_b32_e32 v10, v31, v10, vcc
	v_lshlrev_b32_e32 v10, 1, v10
	ds_write_b16 v10, v11
	v_sub_u32_e32 v10, v60, v25
	v_sub_u32_e32 v22, v1, v10
	v_and_b32_e32 v31, 1, v42
	v_add_u32_e32 v22, 3, v22
	v_cmp_eq_u32_e32 vcc, 1, v31
	v_add_u32_e32 v57, v62, v57
	v_lshrrev_b32_e32 v30, 8, v23
	v_cndmask_b32_e32 v10, v22, v10, vcc
	v_lshlrev_b32_e32 v10, 1, v10
	ds_write_b16_d16_hi v10, v11
	v_sub_u32_e32 v10, v62, v25
	v_sub_u32_e32 v11, v1, v10
	v_and_b32_e32 v22, 1, v23
	v_add_u32_e32 v11, 4, v11
	v_cmp_eq_u32_e32 vcc, 1, v22
	v_and_b32_e32 v22, 1, v30
	v_add_u32_e32 v58, v57, v58
	v_cndmask_b32_e32 v10, v11, v10, vcc
	v_lshlrev_b32_e32 v10, 1, v10
	ds_write_b16 v10, v12
	v_sub_u32_e32 v10, v57, v25
	v_sub_u32_e32 v11, v1, v10
	v_add_u32_e32 v11, 5, v11
	v_cmp_eq_u32_e32 vcc, 1, v22
	v_add_u32_e32 v59, v58, v59
	v_add_u32_e32 v63, v59, v41
	v_cndmask_b32_e32 v10, v11, v10, vcc
	v_lshlrev_b32_e32 v10, 1, v10
	ds_write_b16_d16_hi v10, v12
	v_sub_u32_e32 v10, v58, v25
	v_sub_u32_e32 v11, v1, v10
	v_and_b32_sdwa v12, v32, v23 dst_sel:DWORD dst_unused:UNUSED_PAD src0_sel:DWORD src1_sel:WORD_1
	v_add_u32_e32 v11, 6, v11
	v_cmp_eq_u32_e32 vcc, 1, v12
	v_and_b32_e32 v12, 1, v41
	v_add_u32_e32 v54, v63, v54
	v_cndmask_b32_e32 v10, v11, v10, vcc
	v_lshlrev_b32_e32 v10, 1, v10
	ds_write_b16 v10, v13
	v_sub_u32_e32 v10, v59, v25
	v_sub_u32_e32 v11, v1, v10
	v_add_u32_e32 v11, 7, v11
	v_cmp_eq_u32_e32 vcc, 1, v12
	v_and_b32_e32 v12, 1, v20
	v_lshrrev_b32_e32 v29, 8, v20
	v_cndmask_b32_e32 v10, v11, v10, vcc
	v_lshlrev_b32_e32 v10, 1, v10
	ds_write_b16_d16_hi v10, v13
	v_sub_u32_e32 v10, v63, v25
	v_sub_u32_e32 v11, v1, v10
	v_add_u32_e32 v11, 8, v11
	v_cmp_eq_u32_e32 vcc, 1, v12
	v_and_b32_e32 v12, 1, v29
	v_add_u32_e32 v55, v54, v55
	v_cndmask_b32_e32 v10, v11, v10, vcc
	v_lshlrev_b32_e32 v10, 1, v10
	ds_write_b16 v10, v6
	v_sub_u32_e32 v10, v54, v25
	v_sub_u32_e32 v11, v1, v10
	v_add_u32_e32 v11, 9, v11
	v_cmp_eq_u32_e32 vcc, 1, v12
	v_add_u32_e32 v56, v55, v56
	v_add_u32_e32 v64, v56, v40
	v_cndmask_b32_e32 v10, v11, v10, vcc
	v_lshlrev_b32_e32 v10, 1, v10
	ds_write_b16_d16_hi v10, v6
	v_sub_u32_e32 v6, v55, v25
	v_sub_u32_e32 v10, v1, v6
	v_and_b32_sdwa v11, v32, v20 dst_sel:DWORD dst_unused:UNUSED_PAD src0_sel:DWORD src1_sel:WORD_1
	v_add_u32_e32 v10, 10, v10
	v_cmp_eq_u32_e32 vcc, 1, v11
	v_and_b32_e32 v11, 1, v40
	v_add_u32_e32 v51, v64, v51
	v_cndmask_b32_e32 v6, v10, v6, vcc
	v_lshlrev_b32_e32 v6, 1, v6
	ds_write_b16 v6, v7
	v_sub_u32_e32 v6, v56, v25
	v_sub_u32_e32 v10, v1, v6
	v_add_u32_e32 v10, 11, v10
	v_cmp_eq_u32_e32 vcc, 1, v11
	v_lshrrev_b32_e32 v28, 8, v21
	v_add_u32_e32 v52, v51, v52
	v_cndmask_b32_e32 v6, v10, v6, vcc
	v_lshlrev_b32_e32 v6, 1, v6
	ds_write_b16_d16_hi v6, v7
	v_sub_u32_e32 v6, v64, v25
	v_sub_u32_e32 v7, v1, v6
	v_and_b32_e32 v10, 1, v21
	v_add_u32_e32 v7, 12, v7
	v_cmp_eq_u32_e32 vcc, 1, v10
	v_and_b32_e32 v10, 1, v28
	v_add_u32_e32 v53, v52, v53
	v_cndmask_b32_e32 v6, v7, v6, vcc
	v_lshlrev_b32_e32 v6, 1, v6
	ds_write_b16 v6, v8
	v_sub_u32_e32 v6, v51, v25
	v_sub_u32_e32 v7, v1, v6
	v_add_u32_e32 v7, 13, v7
	v_cmp_eq_u32_e32 vcc, 1, v10
	v_add_u32_e32 v65, v53, v39
	v_add_u32_e32 v48, v65, v48
	v_cndmask_b32_e32 v6, v7, v6, vcc
	v_lshlrev_b32_e32 v6, 1, v6
	ds_write_b16_d16_hi v6, v8
	v_sub_u32_e32 v6, v52, v25
	v_sub_u32_e32 v7, v1, v6
	v_and_b32_sdwa v8, v32, v21 dst_sel:DWORD dst_unused:UNUSED_PAD src0_sel:DWORD src1_sel:WORD_1
	v_add_u32_e32 v7, 14, v7
	v_cmp_eq_u32_e32 vcc, 1, v8
	v_and_b32_e32 v8, 1, v39
	v_lshrrev_b32_e32 v27, 8, v18
	v_cndmask_b32_e32 v6, v7, v6, vcc
	v_lshlrev_b32_e32 v6, 1, v6
	ds_write_b16 v6, v9
	v_sub_u32_e32 v6, v53, v25
	v_sub_u32_e32 v7, v1, v6
	v_add_u32_e32 v7, 15, v7
	v_cmp_eq_u32_e32 vcc, 1, v8
	v_and_b32_e32 v8, 1, v18
	v_add_u32_e32 v49, v48, v49
	v_cndmask_b32_e32 v6, v7, v6, vcc
	v_lshlrev_b32_e32 v6, 1, v6
	ds_write_b16_d16_hi v6, v9
	v_sub_u32_e32 v6, v65, v25
	v_sub_u32_e32 v7, v1, v6
	v_add_u32_e32 v7, 16, v7
	v_cmp_eq_u32_e32 vcc, 1, v8
	v_and_b32_e32 v8, 1, v27
	v_add_u32_e32 v50, v49, v50
	v_cndmask_b32_e32 v6, v7, v6, vcc
	v_lshlrev_b32_e32 v6, 1, v6
	ds_write_b16 v6, v2
	v_sub_u32_e32 v6, v48, v25
	v_sub_u32_e32 v7, v1, v6
	v_add_u32_e32 v7, 17, v7
	v_cmp_eq_u32_e32 vcc, 1, v8
	v_add_u32_e32 v66, v50, v38
	v_add_u32_e32 v45, v66, v45
	v_cndmask_b32_e32 v6, v7, v6, vcc
	v_lshlrev_b32_e32 v6, 1, v6
	ds_write_b16_d16_hi v6, v2
	v_sub_u32_e32 v2, v49, v25
	v_sub_u32_e32 v6, v1, v2
	v_and_b32_sdwa v7, v32, v18 dst_sel:DWORD dst_unused:UNUSED_PAD src0_sel:DWORD src1_sel:WORD_1
	v_add_u32_e32 v6, 18, v6
	v_cmp_eq_u32_e32 vcc, 1, v7
	v_and_b32_e32 v7, 1, v38
	v_lshrrev_b32_e32 v26, 8, v19
	v_cndmask_b32_e32 v2, v6, v2, vcc
	v_lshlrev_b32_e32 v2, 1, v2
	ds_write_b16 v2, v3
	v_sub_u32_e32 v2, v50, v25
	v_sub_u32_e32 v6, v1, v2
	v_add_u32_e32 v6, 19, v6
	v_cmp_eq_u32_e32 vcc, 1, v7
	v_add_u32_e32 v46, v45, v46
	v_add_u32_e32 v47, v46, v47
	v_cndmask_b32_e32 v2, v6, v2, vcc
	v_lshlrev_b32_e32 v2, 1, v2
	ds_write_b16_d16_hi v2, v3
	v_sub_u32_e32 v2, v66, v25
	v_sub_u32_e32 v3, v1, v2
	v_and_b32_e32 v6, 1, v19
	v_add_u32_e32 v3, 20, v3
	v_cmp_eq_u32_e32 vcc, 1, v6
	v_and_b32_e32 v6, 1, v26
	v_add_u32_e32 v67, v47, v37
	v_cndmask_b32_e32 v2, v3, v2, vcc
	v_lshlrev_b32_e32 v2, 1, v2
	ds_write_b16 v2, v4
	v_sub_u32_e32 v2, v45, v25
	v_sub_u32_e32 v3, v1, v2
	v_add_u32_e32 v3, 21, v3
	v_cmp_eq_u32_e32 vcc, 1, v6
	v_add_u32_e32 v43, v67, v43
	v_lshrrev_b32_e32 v0, 8, v35
	v_cndmask_b32_e32 v2, v3, v2, vcc
	v_lshlrev_b32_e32 v2, 1, v2
	ds_write_b16_d16_hi v2, v4
	v_sub_u32_e32 v2, v46, v25
	v_sub_u32_e32 v3, v1, v2
	v_and_b32_sdwa v4, v32, v19 dst_sel:DWORD dst_unused:UNUSED_PAD src0_sel:DWORD src1_sel:WORD_1
	v_add_u32_e32 v3, 22, v3
	v_cmp_eq_u32_e32 vcc, 1, v4
	v_and_b32_e32 v4, 1, v37
	v_and_b32_e32 v0, 1, v0
	v_cndmask_b32_e32 v2, v3, v2, vcc
	v_lshlrev_b32_e32 v2, 1, v2
	ds_write_b16 v2, v5
	v_sub_u32_e32 v2, v47, v25
	v_sub_u32_e32 v3, v1, v2
	v_add_u32_e32 v3, 23, v3
	v_cmp_eq_u32_e32 vcc, 1, v4
	v_and_b32_e32 v4, 1, v35
	v_add_u32_e32 v44, v43, v44
	v_cndmask_b32_e32 v2, v3, v2, vcc
	v_lshlrev_b32_e32 v2, 1, v2
	ds_write_b16_d16_hi v2, v5
	v_sub_u32_e32 v2, v67, v25
	v_sub_u32_e32 v3, v1, v2
	v_add_u32_e32 v3, 24, v3
	v_cmp_eq_u32_e32 vcc, 1, v4
	s_and_b64 s[0:1], s[18:19], s[22:23]
	s_nop 0
	v_cndmask_b32_e32 v2, v3, v2, vcc
	v_lshlrev_b32_e32 v2, 1, v2
	ds_write_b16 v2, v16
	v_sub_u32_e32 v2, v43, v25
	v_sub_u32_e32 v3, v1, v2
	v_add_u32_e32 v3, 25, v3
	v_cmp_eq_u32_e32 vcc, 1, v0
	s_nop 1
	v_cndmask_b32_e32 v0, v3, v2, vcc
	v_lshlrev_b32_e32 v0, 1, v0
	ds_write_b16_d16_hi v0, v16
	v_sub_u32_e32 v0, v44, v25
	v_sub_u32_e32 v2, v1, v0
	v_and_b32_sdwa v3, v32, v35 dst_sel:DWORD dst_unused:UNUSED_PAD src0_sel:DWORD src1_sel:WORD_1
	v_add_u32_e32 v2, 26, v2
	v_cmp_eq_u32_e32 vcc, 1, v3
	s_nop 1
	v_cndmask_b32_e32 v0, v2, v0, vcc
	v_lshlrev_b32_e32 v0, 1, v0
	ds_write_b16 v0, v17
	v_sub_u32_e32 v0, v36, v25
	v_add_u32_e32 v0, v44, v0
	v_sub_u32_e32 v1, v1, v0
	v_and_b32_e32 v2, 1, v34
	v_add_u32_e32 v1, 27, v1
	v_cmp_eq_u32_e32 vcc, 1, v2
	s_nop 1
	v_cndmask_b32_e32 v0, v1, v0, vcc
	v_lshlrev_b32_e32 v0, 1, v0
	ds_write_b16_d16_hi v0, v17
	s_waitcnt lgkmcnt(0)
	s_barrier
	s_and_saveexec_b64 s[2:3], s[0:1]
	s_cbranch_execz .LBB3380_163
; %bb.162:
	v_mov_b32_e32 v1, 0
	v_mov_b32_e32 v0, v24
	s_waitcnt vmcnt(0)
	v_lshl_add_u64 v[2:3], v[14:15], 0, v[0:1]
	v_mov_b32_e32 v0, v25
	v_lshl_add_u64 v[2:3], v[2:3], 0, v[0:1]
	global_store_dwordx2 v1, v[2:3], s[20:21]
.LBB3380_163:
	s_endpgm
	.section	.rodata,"a",@progbits
	.p2align	6, 0x0
	.amdhsa_kernel _ZN7rocprim17ROCPRIM_400000_NS6detail17trampoline_kernelINS0_14default_configENS1_25partition_config_selectorILNS1_17partition_subalgoE1EsNS0_10empty_typeEbEEZZNS1_14partition_implILS5_1ELb0ES3_jN6thrust23THRUST_200600_302600_NS6detail15normal_iteratorINSA_10device_ptrIsEEEEPS6_NSA_18transform_iteratorI7is_evenIsESF_NSA_11use_defaultESK_EENS0_5tupleIJNSA_16discard_iteratorISK_EESO_EEENSM_IJSG_SG_EEES6_PlJS6_EEE10hipError_tPvRmT3_T4_T5_T6_T7_T9_mT8_P12ihipStream_tbDpT10_ENKUlT_T0_E_clISt17integral_constantIbLb0EES1A_IbLb1EEEEDaS16_S17_EUlS16_E_NS1_11comp_targetILNS1_3genE5ELNS1_11target_archE942ELNS1_3gpuE9ELNS1_3repE0EEENS1_30default_config_static_selectorELNS0_4arch9wavefront6targetE1EEEvT1_
		.amdhsa_group_segment_fixed_size 28680
		.amdhsa_private_segment_fixed_size 0
		.amdhsa_kernarg_size 160
		.amdhsa_user_sgpr_count 2
		.amdhsa_user_sgpr_dispatch_ptr 0
		.amdhsa_user_sgpr_queue_ptr 0
		.amdhsa_user_sgpr_kernarg_segment_ptr 1
		.amdhsa_user_sgpr_dispatch_id 0
		.amdhsa_user_sgpr_kernarg_preload_length 0
		.amdhsa_user_sgpr_kernarg_preload_offset 0
		.amdhsa_user_sgpr_private_segment_size 0
		.amdhsa_uses_dynamic_stack 0
		.amdhsa_enable_private_segment 0
		.amdhsa_system_sgpr_workgroup_id_x 1
		.amdhsa_system_sgpr_workgroup_id_y 0
		.amdhsa_system_sgpr_workgroup_id_z 0
		.amdhsa_system_sgpr_workgroup_info 0
		.amdhsa_system_vgpr_workitem_id 0
		.amdhsa_next_free_vgpr 80
		.amdhsa_next_free_sgpr 36
		.amdhsa_accum_offset 80
		.amdhsa_reserve_vcc 1
		.amdhsa_float_round_mode_32 0
		.amdhsa_float_round_mode_16_64 0
		.amdhsa_float_denorm_mode_32 3
		.amdhsa_float_denorm_mode_16_64 3
		.amdhsa_dx10_clamp 1
		.amdhsa_ieee_mode 1
		.amdhsa_fp16_overflow 0
		.amdhsa_tg_split 0
		.amdhsa_exception_fp_ieee_invalid_op 0
		.amdhsa_exception_fp_denorm_src 0
		.amdhsa_exception_fp_ieee_div_zero 0
		.amdhsa_exception_fp_ieee_overflow 0
		.amdhsa_exception_fp_ieee_underflow 0
		.amdhsa_exception_fp_ieee_inexact 0
		.amdhsa_exception_int_div_zero 0
	.end_amdhsa_kernel
	.section	.text._ZN7rocprim17ROCPRIM_400000_NS6detail17trampoline_kernelINS0_14default_configENS1_25partition_config_selectorILNS1_17partition_subalgoE1EsNS0_10empty_typeEbEEZZNS1_14partition_implILS5_1ELb0ES3_jN6thrust23THRUST_200600_302600_NS6detail15normal_iteratorINSA_10device_ptrIsEEEEPS6_NSA_18transform_iteratorI7is_evenIsESF_NSA_11use_defaultESK_EENS0_5tupleIJNSA_16discard_iteratorISK_EESO_EEENSM_IJSG_SG_EEES6_PlJS6_EEE10hipError_tPvRmT3_T4_T5_T6_T7_T9_mT8_P12ihipStream_tbDpT10_ENKUlT_T0_E_clISt17integral_constantIbLb0EES1A_IbLb1EEEEDaS16_S17_EUlS16_E_NS1_11comp_targetILNS1_3genE5ELNS1_11target_archE942ELNS1_3gpuE9ELNS1_3repE0EEENS1_30default_config_static_selectorELNS0_4arch9wavefront6targetE1EEEvT1_,"axG",@progbits,_ZN7rocprim17ROCPRIM_400000_NS6detail17trampoline_kernelINS0_14default_configENS1_25partition_config_selectorILNS1_17partition_subalgoE1EsNS0_10empty_typeEbEEZZNS1_14partition_implILS5_1ELb0ES3_jN6thrust23THRUST_200600_302600_NS6detail15normal_iteratorINSA_10device_ptrIsEEEEPS6_NSA_18transform_iteratorI7is_evenIsESF_NSA_11use_defaultESK_EENS0_5tupleIJNSA_16discard_iteratorISK_EESO_EEENSM_IJSG_SG_EEES6_PlJS6_EEE10hipError_tPvRmT3_T4_T5_T6_T7_T9_mT8_P12ihipStream_tbDpT10_ENKUlT_T0_E_clISt17integral_constantIbLb0EES1A_IbLb1EEEEDaS16_S17_EUlS16_E_NS1_11comp_targetILNS1_3genE5ELNS1_11target_archE942ELNS1_3gpuE9ELNS1_3repE0EEENS1_30default_config_static_selectorELNS0_4arch9wavefront6targetE1EEEvT1_,comdat
.Lfunc_end3380:
	.size	_ZN7rocprim17ROCPRIM_400000_NS6detail17trampoline_kernelINS0_14default_configENS1_25partition_config_selectorILNS1_17partition_subalgoE1EsNS0_10empty_typeEbEEZZNS1_14partition_implILS5_1ELb0ES3_jN6thrust23THRUST_200600_302600_NS6detail15normal_iteratorINSA_10device_ptrIsEEEEPS6_NSA_18transform_iteratorI7is_evenIsESF_NSA_11use_defaultESK_EENS0_5tupleIJNSA_16discard_iteratorISK_EESO_EEENSM_IJSG_SG_EEES6_PlJS6_EEE10hipError_tPvRmT3_T4_T5_T6_T7_T9_mT8_P12ihipStream_tbDpT10_ENKUlT_T0_E_clISt17integral_constantIbLb0EES1A_IbLb1EEEEDaS16_S17_EUlS16_E_NS1_11comp_targetILNS1_3genE5ELNS1_11target_archE942ELNS1_3gpuE9ELNS1_3repE0EEENS1_30default_config_static_selectorELNS0_4arch9wavefront6targetE1EEEvT1_, .Lfunc_end3380-_ZN7rocprim17ROCPRIM_400000_NS6detail17trampoline_kernelINS0_14default_configENS1_25partition_config_selectorILNS1_17partition_subalgoE1EsNS0_10empty_typeEbEEZZNS1_14partition_implILS5_1ELb0ES3_jN6thrust23THRUST_200600_302600_NS6detail15normal_iteratorINSA_10device_ptrIsEEEEPS6_NSA_18transform_iteratorI7is_evenIsESF_NSA_11use_defaultESK_EENS0_5tupleIJNSA_16discard_iteratorISK_EESO_EEENSM_IJSG_SG_EEES6_PlJS6_EEE10hipError_tPvRmT3_T4_T5_T6_T7_T9_mT8_P12ihipStream_tbDpT10_ENKUlT_T0_E_clISt17integral_constantIbLb0EES1A_IbLb1EEEEDaS16_S17_EUlS16_E_NS1_11comp_targetILNS1_3genE5ELNS1_11target_archE942ELNS1_3gpuE9ELNS1_3repE0EEENS1_30default_config_static_selectorELNS0_4arch9wavefront6targetE1EEEvT1_
                                        ; -- End function
	.section	.AMDGPU.csdata,"",@progbits
; Kernel info:
; codeLenInByte = 8668
; NumSgprs: 42
; NumVgprs: 80
; NumAgprs: 0
; TotalNumVgprs: 80
; ScratchSize: 0
; MemoryBound: 0
; FloatMode: 240
; IeeeMode: 1
; LDSByteSize: 28680 bytes/workgroup (compile time only)
; SGPRBlocks: 5
; VGPRBlocks: 9
; NumSGPRsForWavesPerEU: 42
; NumVGPRsForWavesPerEU: 80
; AccumOffset: 80
; Occupancy: 4
; WaveLimiterHint : 1
; COMPUTE_PGM_RSRC2:SCRATCH_EN: 0
; COMPUTE_PGM_RSRC2:USER_SGPR: 2
; COMPUTE_PGM_RSRC2:TRAP_HANDLER: 0
; COMPUTE_PGM_RSRC2:TGID_X_EN: 1
; COMPUTE_PGM_RSRC2:TGID_Y_EN: 0
; COMPUTE_PGM_RSRC2:TGID_Z_EN: 0
; COMPUTE_PGM_RSRC2:TIDIG_COMP_CNT: 0
; COMPUTE_PGM_RSRC3_GFX90A:ACCUM_OFFSET: 19
; COMPUTE_PGM_RSRC3_GFX90A:TG_SPLIT: 0
	.section	.text._ZN7rocprim17ROCPRIM_400000_NS6detail17trampoline_kernelINS0_14default_configENS1_25partition_config_selectorILNS1_17partition_subalgoE1EsNS0_10empty_typeEbEEZZNS1_14partition_implILS5_1ELb0ES3_jN6thrust23THRUST_200600_302600_NS6detail15normal_iteratorINSA_10device_ptrIsEEEEPS6_NSA_18transform_iteratorI7is_evenIsESF_NSA_11use_defaultESK_EENS0_5tupleIJNSA_16discard_iteratorISK_EESO_EEENSM_IJSG_SG_EEES6_PlJS6_EEE10hipError_tPvRmT3_T4_T5_T6_T7_T9_mT8_P12ihipStream_tbDpT10_ENKUlT_T0_E_clISt17integral_constantIbLb0EES1A_IbLb1EEEEDaS16_S17_EUlS16_E_NS1_11comp_targetILNS1_3genE4ELNS1_11target_archE910ELNS1_3gpuE8ELNS1_3repE0EEENS1_30default_config_static_selectorELNS0_4arch9wavefront6targetE1EEEvT1_,"axG",@progbits,_ZN7rocprim17ROCPRIM_400000_NS6detail17trampoline_kernelINS0_14default_configENS1_25partition_config_selectorILNS1_17partition_subalgoE1EsNS0_10empty_typeEbEEZZNS1_14partition_implILS5_1ELb0ES3_jN6thrust23THRUST_200600_302600_NS6detail15normal_iteratorINSA_10device_ptrIsEEEEPS6_NSA_18transform_iteratorI7is_evenIsESF_NSA_11use_defaultESK_EENS0_5tupleIJNSA_16discard_iteratorISK_EESO_EEENSM_IJSG_SG_EEES6_PlJS6_EEE10hipError_tPvRmT3_T4_T5_T6_T7_T9_mT8_P12ihipStream_tbDpT10_ENKUlT_T0_E_clISt17integral_constantIbLb0EES1A_IbLb1EEEEDaS16_S17_EUlS16_E_NS1_11comp_targetILNS1_3genE4ELNS1_11target_archE910ELNS1_3gpuE8ELNS1_3repE0EEENS1_30default_config_static_selectorELNS0_4arch9wavefront6targetE1EEEvT1_,comdat
	.protected	_ZN7rocprim17ROCPRIM_400000_NS6detail17trampoline_kernelINS0_14default_configENS1_25partition_config_selectorILNS1_17partition_subalgoE1EsNS0_10empty_typeEbEEZZNS1_14partition_implILS5_1ELb0ES3_jN6thrust23THRUST_200600_302600_NS6detail15normal_iteratorINSA_10device_ptrIsEEEEPS6_NSA_18transform_iteratorI7is_evenIsESF_NSA_11use_defaultESK_EENS0_5tupleIJNSA_16discard_iteratorISK_EESO_EEENSM_IJSG_SG_EEES6_PlJS6_EEE10hipError_tPvRmT3_T4_T5_T6_T7_T9_mT8_P12ihipStream_tbDpT10_ENKUlT_T0_E_clISt17integral_constantIbLb0EES1A_IbLb1EEEEDaS16_S17_EUlS16_E_NS1_11comp_targetILNS1_3genE4ELNS1_11target_archE910ELNS1_3gpuE8ELNS1_3repE0EEENS1_30default_config_static_selectorELNS0_4arch9wavefront6targetE1EEEvT1_ ; -- Begin function _ZN7rocprim17ROCPRIM_400000_NS6detail17trampoline_kernelINS0_14default_configENS1_25partition_config_selectorILNS1_17partition_subalgoE1EsNS0_10empty_typeEbEEZZNS1_14partition_implILS5_1ELb0ES3_jN6thrust23THRUST_200600_302600_NS6detail15normal_iteratorINSA_10device_ptrIsEEEEPS6_NSA_18transform_iteratorI7is_evenIsESF_NSA_11use_defaultESK_EENS0_5tupleIJNSA_16discard_iteratorISK_EESO_EEENSM_IJSG_SG_EEES6_PlJS6_EEE10hipError_tPvRmT3_T4_T5_T6_T7_T9_mT8_P12ihipStream_tbDpT10_ENKUlT_T0_E_clISt17integral_constantIbLb0EES1A_IbLb1EEEEDaS16_S17_EUlS16_E_NS1_11comp_targetILNS1_3genE4ELNS1_11target_archE910ELNS1_3gpuE8ELNS1_3repE0EEENS1_30default_config_static_selectorELNS0_4arch9wavefront6targetE1EEEvT1_
	.globl	_ZN7rocprim17ROCPRIM_400000_NS6detail17trampoline_kernelINS0_14default_configENS1_25partition_config_selectorILNS1_17partition_subalgoE1EsNS0_10empty_typeEbEEZZNS1_14partition_implILS5_1ELb0ES3_jN6thrust23THRUST_200600_302600_NS6detail15normal_iteratorINSA_10device_ptrIsEEEEPS6_NSA_18transform_iteratorI7is_evenIsESF_NSA_11use_defaultESK_EENS0_5tupleIJNSA_16discard_iteratorISK_EESO_EEENSM_IJSG_SG_EEES6_PlJS6_EEE10hipError_tPvRmT3_T4_T5_T6_T7_T9_mT8_P12ihipStream_tbDpT10_ENKUlT_T0_E_clISt17integral_constantIbLb0EES1A_IbLb1EEEEDaS16_S17_EUlS16_E_NS1_11comp_targetILNS1_3genE4ELNS1_11target_archE910ELNS1_3gpuE8ELNS1_3repE0EEENS1_30default_config_static_selectorELNS0_4arch9wavefront6targetE1EEEvT1_
	.p2align	8
	.type	_ZN7rocprim17ROCPRIM_400000_NS6detail17trampoline_kernelINS0_14default_configENS1_25partition_config_selectorILNS1_17partition_subalgoE1EsNS0_10empty_typeEbEEZZNS1_14partition_implILS5_1ELb0ES3_jN6thrust23THRUST_200600_302600_NS6detail15normal_iteratorINSA_10device_ptrIsEEEEPS6_NSA_18transform_iteratorI7is_evenIsESF_NSA_11use_defaultESK_EENS0_5tupleIJNSA_16discard_iteratorISK_EESO_EEENSM_IJSG_SG_EEES6_PlJS6_EEE10hipError_tPvRmT3_T4_T5_T6_T7_T9_mT8_P12ihipStream_tbDpT10_ENKUlT_T0_E_clISt17integral_constantIbLb0EES1A_IbLb1EEEEDaS16_S17_EUlS16_E_NS1_11comp_targetILNS1_3genE4ELNS1_11target_archE910ELNS1_3gpuE8ELNS1_3repE0EEENS1_30default_config_static_selectorELNS0_4arch9wavefront6targetE1EEEvT1_,@function
_ZN7rocprim17ROCPRIM_400000_NS6detail17trampoline_kernelINS0_14default_configENS1_25partition_config_selectorILNS1_17partition_subalgoE1EsNS0_10empty_typeEbEEZZNS1_14partition_implILS5_1ELb0ES3_jN6thrust23THRUST_200600_302600_NS6detail15normal_iteratorINSA_10device_ptrIsEEEEPS6_NSA_18transform_iteratorI7is_evenIsESF_NSA_11use_defaultESK_EENS0_5tupleIJNSA_16discard_iteratorISK_EESO_EEENSM_IJSG_SG_EEES6_PlJS6_EEE10hipError_tPvRmT3_T4_T5_T6_T7_T9_mT8_P12ihipStream_tbDpT10_ENKUlT_T0_E_clISt17integral_constantIbLb0EES1A_IbLb1EEEEDaS16_S17_EUlS16_E_NS1_11comp_targetILNS1_3genE4ELNS1_11target_archE910ELNS1_3gpuE8ELNS1_3repE0EEENS1_30default_config_static_selectorELNS0_4arch9wavefront6targetE1EEEvT1_: ; @_ZN7rocprim17ROCPRIM_400000_NS6detail17trampoline_kernelINS0_14default_configENS1_25partition_config_selectorILNS1_17partition_subalgoE1EsNS0_10empty_typeEbEEZZNS1_14partition_implILS5_1ELb0ES3_jN6thrust23THRUST_200600_302600_NS6detail15normal_iteratorINSA_10device_ptrIsEEEEPS6_NSA_18transform_iteratorI7is_evenIsESF_NSA_11use_defaultESK_EENS0_5tupleIJNSA_16discard_iteratorISK_EESO_EEENSM_IJSG_SG_EEES6_PlJS6_EEE10hipError_tPvRmT3_T4_T5_T6_T7_T9_mT8_P12ihipStream_tbDpT10_ENKUlT_T0_E_clISt17integral_constantIbLb0EES1A_IbLb1EEEEDaS16_S17_EUlS16_E_NS1_11comp_targetILNS1_3genE4ELNS1_11target_archE910ELNS1_3gpuE8ELNS1_3repE0EEENS1_30default_config_static_selectorELNS0_4arch9wavefront6targetE1EEEvT1_
; %bb.0:
	.section	.rodata,"a",@progbits
	.p2align	6, 0x0
	.amdhsa_kernel _ZN7rocprim17ROCPRIM_400000_NS6detail17trampoline_kernelINS0_14default_configENS1_25partition_config_selectorILNS1_17partition_subalgoE1EsNS0_10empty_typeEbEEZZNS1_14partition_implILS5_1ELb0ES3_jN6thrust23THRUST_200600_302600_NS6detail15normal_iteratorINSA_10device_ptrIsEEEEPS6_NSA_18transform_iteratorI7is_evenIsESF_NSA_11use_defaultESK_EENS0_5tupleIJNSA_16discard_iteratorISK_EESO_EEENSM_IJSG_SG_EEES6_PlJS6_EEE10hipError_tPvRmT3_T4_T5_T6_T7_T9_mT8_P12ihipStream_tbDpT10_ENKUlT_T0_E_clISt17integral_constantIbLb0EES1A_IbLb1EEEEDaS16_S17_EUlS16_E_NS1_11comp_targetILNS1_3genE4ELNS1_11target_archE910ELNS1_3gpuE8ELNS1_3repE0EEENS1_30default_config_static_selectorELNS0_4arch9wavefront6targetE1EEEvT1_
		.amdhsa_group_segment_fixed_size 0
		.amdhsa_private_segment_fixed_size 0
		.amdhsa_kernarg_size 160
		.amdhsa_user_sgpr_count 2
		.amdhsa_user_sgpr_dispatch_ptr 0
		.amdhsa_user_sgpr_queue_ptr 0
		.amdhsa_user_sgpr_kernarg_segment_ptr 1
		.amdhsa_user_sgpr_dispatch_id 0
		.amdhsa_user_sgpr_kernarg_preload_length 0
		.amdhsa_user_sgpr_kernarg_preload_offset 0
		.amdhsa_user_sgpr_private_segment_size 0
		.amdhsa_uses_dynamic_stack 0
		.amdhsa_enable_private_segment 0
		.amdhsa_system_sgpr_workgroup_id_x 1
		.amdhsa_system_sgpr_workgroup_id_y 0
		.amdhsa_system_sgpr_workgroup_id_z 0
		.amdhsa_system_sgpr_workgroup_info 0
		.amdhsa_system_vgpr_workitem_id 0
		.amdhsa_next_free_vgpr 1
		.amdhsa_next_free_sgpr 0
		.amdhsa_accum_offset 4
		.amdhsa_reserve_vcc 0
		.amdhsa_float_round_mode_32 0
		.amdhsa_float_round_mode_16_64 0
		.amdhsa_float_denorm_mode_32 3
		.amdhsa_float_denorm_mode_16_64 3
		.amdhsa_dx10_clamp 1
		.amdhsa_ieee_mode 1
		.amdhsa_fp16_overflow 0
		.amdhsa_tg_split 0
		.amdhsa_exception_fp_ieee_invalid_op 0
		.amdhsa_exception_fp_denorm_src 0
		.amdhsa_exception_fp_ieee_div_zero 0
		.amdhsa_exception_fp_ieee_overflow 0
		.amdhsa_exception_fp_ieee_underflow 0
		.amdhsa_exception_fp_ieee_inexact 0
		.amdhsa_exception_int_div_zero 0
	.end_amdhsa_kernel
	.section	.text._ZN7rocprim17ROCPRIM_400000_NS6detail17trampoline_kernelINS0_14default_configENS1_25partition_config_selectorILNS1_17partition_subalgoE1EsNS0_10empty_typeEbEEZZNS1_14partition_implILS5_1ELb0ES3_jN6thrust23THRUST_200600_302600_NS6detail15normal_iteratorINSA_10device_ptrIsEEEEPS6_NSA_18transform_iteratorI7is_evenIsESF_NSA_11use_defaultESK_EENS0_5tupleIJNSA_16discard_iteratorISK_EESO_EEENSM_IJSG_SG_EEES6_PlJS6_EEE10hipError_tPvRmT3_T4_T5_T6_T7_T9_mT8_P12ihipStream_tbDpT10_ENKUlT_T0_E_clISt17integral_constantIbLb0EES1A_IbLb1EEEEDaS16_S17_EUlS16_E_NS1_11comp_targetILNS1_3genE4ELNS1_11target_archE910ELNS1_3gpuE8ELNS1_3repE0EEENS1_30default_config_static_selectorELNS0_4arch9wavefront6targetE1EEEvT1_,"axG",@progbits,_ZN7rocprim17ROCPRIM_400000_NS6detail17trampoline_kernelINS0_14default_configENS1_25partition_config_selectorILNS1_17partition_subalgoE1EsNS0_10empty_typeEbEEZZNS1_14partition_implILS5_1ELb0ES3_jN6thrust23THRUST_200600_302600_NS6detail15normal_iteratorINSA_10device_ptrIsEEEEPS6_NSA_18transform_iteratorI7is_evenIsESF_NSA_11use_defaultESK_EENS0_5tupleIJNSA_16discard_iteratorISK_EESO_EEENSM_IJSG_SG_EEES6_PlJS6_EEE10hipError_tPvRmT3_T4_T5_T6_T7_T9_mT8_P12ihipStream_tbDpT10_ENKUlT_T0_E_clISt17integral_constantIbLb0EES1A_IbLb1EEEEDaS16_S17_EUlS16_E_NS1_11comp_targetILNS1_3genE4ELNS1_11target_archE910ELNS1_3gpuE8ELNS1_3repE0EEENS1_30default_config_static_selectorELNS0_4arch9wavefront6targetE1EEEvT1_,comdat
.Lfunc_end3381:
	.size	_ZN7rocprim17ROCPRIM_400000_NS6detail17trampoline_kernelINS0_14default_configENS1_25partition_config_selectorILNS1_17partition_subalgoE1EsNS0_10empty_typeEbEEZZNS1_14partition_implILS5_1ELb0ES3_jN6thrust23THRUST_200600_302600_NS6detail15normal_iteratorINSA_10device_ptrIsEEEEPS6_NSA_18transform_iteratorI7is_evenIsESF_NSA_11use_defaultESK_EENS0_5tupleIJNSA_16discard_iteratorISK_EESO_EEENSM_IJSG_SG_EEES6_PlJS6_EEE10hipError_tPvRmT3_T4_T5_T6_T7_T9_mT8_P12ihipStream_tbDpT10_ENKUlT_T0_E_clISt17integral_constantIbLb0EES1A_IbLb1EEEEDaS16_S17_EUlS16_E_NS1_11comp_targetILNS1_3genE4ELNS1_11target_archE910ELNS1_3gpuE8ELNS1_3repE0EEENS1_30default_config_static_selectorELNS0_4arch9wavefront6targetE1EEEvT1_, .Lfunc_end3381-_ZN7rocprim17ROCPRIM_400000_NS6detail17trampoline_kernelINS0_14default_configENS1_25partition_config_selectorILNS1_17partition_subalgoE1EsNS0_10empty_typeEbEEZZNS1_14partition_implILS5_1ELb0ES3_jN6thrust23THRUST_200600_302600_NS6detail15normal_iteratorINSA_10device_ptrIsEEEEPS6_NSA_18transform_iteratorI7is_evenIsESF_NSA_11use_defaultESK_EENS0_5tupleIJNSA_16discard_iteratorISK_EESO_EEENSM_IJSG_SG_EEES6_PlJS6_EEE10hipError_tPvRmT3_T4_T5_T6_T7_T9_mT8_P12ihipStream_tbDpT10_ENKUlT_T0_E_clISt17integral_constantIbLb0EES1A_IbLb1EEEEDaS16_S17_EUlS16_E_NS1_11comp_targetILNS1_3genE4ELNS1_11target_archE910ELNS1_3gpuE8ELNS1_3repE0EEENS1_30default_config_static_selectorELNS0_4arch9wavefront6targetE1EEEvT1_
                                        ; -- End function
	.section	.AMDGPU.csdata,"",@progbits
; Kernel info:
; codeLenInByte = 0
; NumSgprs: 6
; NumVgprs: 0
; NumAgprs: 0
; TotalNumVgprs: 0
; ScratchSize: 0
; MemoryBound: 0
; FloatMode: 240
; IeeeMode: 1
; LDSByteSize: 0 bytes/workgroup (compile time only)
; SGPRBlocks: 0
; VGPRBlocks: 0
; NumSGPRsForWavesPerEU: 6
; NumVGPRsForWavesPerEU: 1
; AccumOffset: 4
; Occupancy: 8
; WaveLimiterHint : 0
; COMPUTE_PGM_RSRC2:SCRATCH_EN: 0
; COMPUTE_PGM_RSRC2:USER_SGPR: 2
; COMPUTE_PGM_RSRC2:TRAP_HANDLER: 0
; COMPUTE_PGM_RSRC2:TGID_X_EN: 1
; COMPUTE_PGM_RSRC2:TGID_Y_EN: 0
; COMPUTE_PGM_RSRC2:TGID_Z_EN: 0
; COMPUTE_PGM_RSRC2:TIDIG_COMP_CNT: 0
; COMPUTE_PGM_RSRC3_GFX90A:ACCUM_OFFSET: 0
; COMPUTE_PGM_RSRC3_GFX90A:TG_SPLIT: 0
	.section	.text._ZN7rocprim17ROCPRIM_400000_NS6detail17trampoline_kernelINS0_14default_configENS1_25partition_config_selectorILNS1_17partition_subalgoE1EsNS0_10empty_typeEbEEZZNS1_14partition_implILS5_1ELb0ES3_jN6thrust23THRUST_200600_302600_NS6detail15normal_iteratorINSA_10device_ptrIsEEEEPS6_NSA_18transform_iteratorI7is_evenIsESF_NSA_11use_defaultESK_EENS0_5tupleIJNSA_16discard_iteratorISK_EESO_EEENSM_IJSG_SG_EEES6_PlJS6_EEE10hipError_tPvRmT3_T4_T5_T6_T7_T9_mT8_P12ihipStream_tbDpT10_ENKUlT_T0_E_clISt17integral_constantIbLb0EES1A_IbLb1EEEEDaS16_S17_EUlS16_E_NS1_11comp_targetILNS1_3genE3ELNS1_11target_archE908ELNS1_3gpuE7ELNS1_3repE0EEENS1_30default_config_static_selectorELNS0_4arch9wavefront6targetE1EEEvT1_,"axG",@progbits,_ZN7rocprim17ROCPRIM_400000_NS6detail17trampoline_kernelINS0_14default_configENS1_25partition_config_selectorILNS1_17partition_subalgoE1EsNS0_10empty_typeEbEEZZNS1_14partition_implILS5_1ELb0ES3_jN6thrust23THRUST_200600_302600_NS6detail15normal_iteratorINSA_10device_ptrIsEEEEPS6_NSA_18transform_iteratorI7is_evenIsESF_NSA_11use_defaultESK_EENS0_5tupleIJNSA_16discard_iteratorISK_EESO_EEENSM_IJSG_SG_EEES6_PlJS6_EEE10hipError_tPvRmT3_T4_T5_T6_T7_T9_mT8_P12ihipStream_tbDpT10_ENKUlT_T0_E_clISt17integral_constantIbLb0EES1A_IbLb1EEEEDaS16_S17_EUlS16_E_NS1_11comp_targetILNS1_3genE3ELNS1_11target_archE908ELNS1_3gpuE7ELNS1_3repE0EEENS1_30default_config_static_selectorELNS0_4arch9wavefront6targetE1EEEvT1_,comdat
	.protected	_ZN7rocprim17ROCPRIM_400000_NS6detail17trampoline_kernelINS0_14default_configENS1_25partition_config_selectorILNS1_17partition_subalgoE1EsNS0_10empty_typeEbEEZZNS1_14partition_implILS5_1ELb0ES3_jN6thrust23THRUST_200600_302600_NS6detail15normal_iteratorINSA_10device_ptrIsEEEEPS6_NSA_18transform_iteratorI7is_evenIsESF_NSA_11use_defaultESK_EENS0_5tupleIJNSA_16discard_iteratorISK_EESO_EEENSM_IJSG_SG_EEES6_PlJS6_EEE10hipError_tPvRmT3_T4_T5_T6_T7_T9_mT8_P12ihipStream_tbDpT10_ENKUlT_T0_E_clISt17integral_constantIbLb0EES1A_IbLb1EEEEDaS16_S17_EUlS16_E_NS1_11comp_targetILNS1_3genE3ELNS1_11target_archE908ELNS1_3gpuE7ELNS1_3repE0EEENS1_30default_config_static_selectorELNS0_4arch9wavefront6targetE1EEEvT1_ ; -- Begin function _ZN7rocprim17ROCPRIM_400000_NS6detail17trampoline_kernelINS0_14default_configENS1_25partition_config_selectorILNS1_17partition_subalgoE1EsNS0_10empty_typeEbEEZZNS1_14partition_implILS5_1ELb0ES3_jN6thrust23THRUST_200600_302600_NS6detail15normal_iteratorINSA_10device_ptrIsEEEEPS6_NSA_18transform_iteratorI7is_evenIsESF_NSA_11use_defaultESK_EENS0_5tupleIJNSA_16discard_iteratorISK_EESO_EEENSM_IJSG_SG_EEES6_PlJS6_EEE10hipError_tPvRmT3_T4_T5_T6_T7_T9_mT8_P12ihipStream_tbDpT10_ENKUlT_T0_E_clISt17integral_constantIbLb0EES1A_IbLb1EEEEDaS16_S17_EUlS16_E_NS1_11comp_targetILNS1_3genE3ELNS1_11target_archE908ELNS1_3gpuE7ELNS1_3repE0EEENS1_30default_config_static_selectorELNS0_4arch9wavefront6targetE1EEEvT1_
	.globl	_ZN7rocprim17ROCPRIM_400000_NS6detail17trampoline_kernelINS0_14default_configENS1_25partition_config_selectorILNS1_17partition_subalgoE1EsNS0_10empty_typeEbEEZZNS1_14partition_implILS5_1ELb0ES3_jN6thrust23THRUST_200600_302600_NS6detail15normal_iteratorINSA_10device_ptrIsEEEEPS6_NSA_18transform_iteratorI7is_evenIsESF_NSA_11use_defaultESK_EENS0_5tupleIJNSA_16discard_iteratorISK_EESO_EEENSM_IJSG_SG_EEES6_PlJS6_EEE10hipError_tPvRmT3_T4_T5_T6_T7_T9_mT8_P12ihipStream_tbDpT10_ENKUlT_T0_E_clISt17integral_constantIbLb0EES1A_IbLb1EEEEDaS16_S17_EUlS16_E_NS1_11comp_targetILNS1_3genE3ELNS1_11target_archE908ELNS1_3gpuE7ELNS1_3repE0EEENS1_30default_config_static_selectorELNS0_4arch9wavefront6targetE1EEEvT1_
	.p2align	8
	.type	_ZN7rocprim17ROCPRIM_400000_NS6detail17trampoline_kernelINS0_14default_configENS1_25partition_config_selectorILNS1_17partition_subalgoE1EsNS0_10empty_typeEbEEZZNS1_14partition_implILS5_1ELb0ES3_jN6thrust23THRUST_200600_302600_NS6detail15normal_iteratorINSA_10device_ptrIsEEEEPS6_NSA_18transform_iteratorI7is_evenIsESF_NSA_11use_defaultESK_EENS0_5tupleIJNSA_16discard_iteratorISK_EESO_EEENSM_IJSG_SG_EEES6_PlJS6_EEE10hipError_tPvRmT3_T4_T5_T6_T7_T9_mT8_P12ihipStream_tbDpT10_ENKUlT_T0_E_clISt17integral_constantIbLb0EES1A_IbLb1EEEEDaS16_S17_EUlS16_E_NS1_11comp_targetILNS1_3genE3ELNS1_11target_archE908ELNS1_3gpuE7ELNS1_3repE0EEENS1_30default_config_static_selectorELNS0_4arch9wavefront6targetE1EEEvT1_,@function
_ZN7rocprim17ROCPRIM_400000_NS6detail17trampoline_kernelINS0_14default_configENS1_25partition_config_selectorILNS1_17partition_subalgoE1EsNS0_10empty_typeEbEEZZNS1_14partition_implILS5_1ELb0ES3_jN6thrust23THRUST_200600_302600_NS6detail15normal_iteratorINSA_10device_ptrIsEEEEPS6_NSA_18transform_iteratorI7is_evenIsESF_NSA_11use_defaultESK_EENS0_5tupleIJNSA_16discard_iteratorISK_EESO_EEENSM_IJSG_SG_EEES6_PlJS6_EEE10hipError_tPvRmT3_T4_T5_T6_T7_T9_mT8_P12ihipStream_tbDpT10_ENKUlT_T0_E_clISt17integral_constantIbLb0EES1A_IbLb1EEEEDaS16_S17_EUlS16_E_NS1_11comp_targetILNS1_3genE3ELNS1_11target_archE908ELNS1_3gpuE7ELNS1_3repE0EEENS1_30default_config_static_selectorELNS0_4arch9wavefront6targetE1EEEvT1_: ; @_ZN7rocprim17ROCPRIM_400000_NS6detail17trampoline_kernelINS0_14default_configENS1_25partition_config_selectorILNS1_17partition_subalgoE1EsNS0_10empty_typeEbEEZZNS1_14partition_implILS5_1ELb0ES3_jN6thrust23THRUST_200600_302600_NS6detail15normal_iteratorINSA_10device_ptrIsEEEEPS6_NSA_18transform_iteratorI7is_evenIsESF_NSA_11use_defaultESK_EENS0_5tupleIJNSA_16discard_iteratorISK_EESO_EEENSM_IJSG_SG_EEES6_PlJS6_EEE10hipError_tPvRmT3_T4_T5_T6_T7_T9_mT8_P12ihipStream_tbDpT10_ENKUlT_T0_E_clISt17integral_constantIbLb0EES1A_IbLb1EEEEDaS16_S17_EUlS16_E_NS1_11comp_targetILNS1_3genE3ELNS1_11target_archE908ELNS1_3gpuE7ELNS1_3repE0EEENS1_30default_config_static_selectorELNS0_4arch9wavefront6targetE1EEEvT1_
; %bb.0:
	.section	.rodata,"a",@progbits
	.p2align	6, 0x0
	.amdhsa_kernel _ZN7rocprim17ROCPRIM_400000_NS6detail17trampoline_kernelINS0_14default_configENS1_25partition_config_selectorILNS1_17partition_subalgoE1EsNS0_10empty_typeEbEEZZNS1_14partition_implILS5_1ELb0ES3_jN6thrust23THRUST_200600_302600_NS6detail15normal_iteratorINSA_10device_ptrIsEEEEPS6_NSA_18transform_iteratorI7is_evenIsESF_NSA_11use_defaultESK_EENS0_5tupleIJNSA_16discard_iteratorISK_EESO_EEENSM_IJSG_SG_EEES6_PlJS6_EEE10hipError_tPvRmT3_T4_T5_T6_T7_T9_mT8_P12ihipStream_tbDpT10_ENKUlT_T0_E_clISt17integral_constantIbLb0EES1A_IbLb1EEEEDaS16_S17_EUlS16_E_NS1_11comp_targetILNS1_3genE3ELNS1_11target_archE908ELNS1_3gpuE7ELNS1_3repE0EEENS1_30default_config_static_selectorELNS0_4arch9wavefront6targetE1EEEvT1_
		.amdhsa_group_segment_fixed_size 0
		.amdhsa_private_segment_fixed_size 0
		.amdhsa_kernarg_size 160
		.amdhsa_user_sgpr_count 2
		.amdhsa_user_sgpr_dispatch_ptr 0
		.amdhsa_user_sgpr_queue_ptr 0
		.amdhsa_user_sgpr_kernarg_segment_ptr 1
		.amdhsa_user_sgpr_dispatch_id 0
		.amdhsa_user_sgpr_kernarg_preload_length 0
		.amdhsa_user_sgpr_kernarg_preload_offset 0
		.amdhsa_user_sgpr_private_segment_size 0
		.amdhsa_uses_dynamic_stack 0
		.amdhsa_enable_private_segment 0
		.amdhsa_system_sgpr_workgroup_id_x 1
		.amdhsa_system_sgpr_workgroup_id_y 0
		.amdhsa_system_sgpr_workgroup_id_z 0
		.amdhsa_system_sgpr_workgroup_info 0
		.amdhsa_system_vgpr_workitem_id 0
		.amdhsa_next_free_vgpr 1
		.amdhsa_next_free_sgpr 0
		.amdhsa_accum_offset 4
		.amdhsa_reserve_vcc 0
		.amdhsa_float_round_mode_32 0
		.amdhsa_float_round_mode_16_64 0
		.amdhsa_float_denorm_mode_32 3
		.amdhsa_float_denorm_mode_16_64 3
		.amdhsa_dx10_clamp 1
		.amdhsa_ieee_mode 1
		.amdhsa_fp16_overflow 0
		.amdhsa_tg_split 0
		.amdhsa_exception_fp_ieee_invalid_op 0
		.amdhsa_exception_fp_denorm_src 0
		.amdhsa_exception_fp_ieee_div_zero 0
		.amdhsa_exception_fp_ieee_overflow 0
		.amdhsa_exception_fp_ieee_underflow 0
		.amdhsa_exception_fp_ieee_inexact 0
		.amdhsa_exception_int_div_zero 0
	.end_amdhsa_kernel
	.section	.text._ZN7rocprim17ROCPRIM_400000_NS6detail17trampoline_kernelINS0_14default_configENS1_25partition_config_selectorILNS1_17partition_subalgoE1EsNS0_10empty_typeEbEEZZNS1_14partition_implILS5_1ELb0ES3_jN6thrust23THRUST_200600_302600_NS6detail15normal_iteratorINSA_10device_ptrIsEEEEPS6_NSA_18transform_iteratorI7is_evenIsESF_NSA_11use_defaultESK_EENS0_5tupleIJNSA_16discard_iteratorISK_EESO_EEENSM_IJSG_SG_EEES6_PlJS6_EEE10hipError_tPvRmT3_T4_T5_T6_T7_T9_mT8_P12ihipStream_tbDpT10_ENKUlT_T0_E_clISt17integral_constantIbLb0EES1A_IbLb1EEEEDaS16_S17_EUlS16_E_NS1_11comp_targetILNS1_3genE3ELNS1_11target_archE908ELNS1_3gpuE7ELNS1_3repE0EEENS1_30default_config_static_selectorELNS0_4arch9wavefront6targetE1EEEvT1_,"axG",@progbits,_ZN7rocprim17ROCPRIM_400000_NS6detail17trampoline_kernelINS0_14default_configENS1_25partition_config_selectorILNS1_17partition_subalgoE1EsNS0_10empty_typeEbEEZZNS1_14partition_implILS5_1ELb0ES3_jN6thrust23THRUST_200600_302600_NS6detail15normal_iteratorINSA_10device_ptrIsEEEEPS6_NSA_18transform_iteratorI7is_evenIsESF_NSA_11use_defaultESK_EENS0_5tupleIJNSA_16discard_iteratorISK_EESO_EEENSM_IJSG_SG_EEES6_PlJS6_EEE10hipError_tPvRmT3_T4_T5_T6_T7_T9_mT8_P12ihipStream_tbDpT10_ENKUlT_T0_E_clISt17integral_constantIbLb0EES1A_IbLb1EEEEDaS16_S17_EUlS16_E_NS1_11comp_targetILNS1_3genE3ELNS1_11target_archE908ELNS1_3gpuE7ELNS1_3repE0EEENS1_30default_config_static_selectorELNS0_4arch9wavefront6targetE1EEEvT1_,comdat
.Lfunc_end3382:
	.size	_ZN7rocprim17ROCPRIM_400000_NS6detail17trampoline_kernelINS0_14default_configENS1_25partition_config_selectorILNS1_17partition_subalgoE1EsNS0_10empty_typeEbEEZZNS1_14partition_implILS5_1ELb0ES3_jN6thrust23THRUST_200600_302600_NS6detail15normal_iteratorINSA_10device_ptrIsEEEEPS6_NSA_18transform_iteratorI7is_evenIsESF_NSA_11use_defaultESK_EENS0_5tupleIJNSA_16discard_iteratorISK_EESO_EEENSM_IJSG_SG_EEES6_PlJS6_EEE10hipError_tPvRmT3_T4_T5_T6_T7_T9_mT8_P12ihipStream_tbDpT10_ENKUlT_T0_E_clISt17integral_constantIbLb0EES1A_IbLb1EEEEDaS16_S17_EUlS16_E_NS1_11comp_targetILNS1_3genE3ELNS1_11target_archE908ELNS1_3gpuE7ELNS1_3repE0EEENS1_30default_config_static_selectorELNS0_4arch9wavefront6targetE1EEEvT1_, .Lfunc_end3382-_ZN7rocprim17ROCPRIM_400000_NS6detail17trampoline_kernelINS0_14default_configENS1_25partition_config_selectorILNS1_17partition_subalgoE1EsNS0_10empty_typeEbEEZZNS1_14partition_implILS5_1ELb0ES3_jN6thrust23THRUST_200600_302600_NS6detail15normal_iteratorINSA_10device_ptrIsEEEEPS6_NSA_18transform_iteratorI7is_evenIsESF_NSA_11use_defaultESK_EENS0_5tupleIJNSA_16discard_iteratorISK_EESO_EEENSM_IJSG_SG_EEES6_PlJS6_EEE10hipError_tPvRmT3_T4_T5_T6_T7_T9_mT8_P12ihipStream_tbDpT10_ENKUlT_T0_E_clISt17integral_constantIbLb0EES1A_IbLb1EEEEDaS16_S17_EUlS16_E_NS1_11comp_targetILNS1_3genE3ELNS1_11target_archE908ELNS1_3gpuE7ELNS1_3repE0EEENS1_30default_config_static_selectorELNS0_4arch9wavefront6targetE1EEEvT1_
                                        ; -- End function
	.section	.AMDGPU.csdata,"",@progbits
; Kernel info:
; codeLenInByte = 0
; NumSgprs: 6
; NumVgprs: 0
; NumAgprs: 0
; TotalNumVgprs: 0
; ScratchSize: 0
; MemoryBound: 0
; FloatMode: 240
; IeeeMode: 1
; LDSByteSize: 0 bytes/workgroup (compile time only)
; SGPRBlocks: 0
; VGPRBlocks: 0
; NumSGPRsForWavesPerEU: 6
; NumVGPRsForWavesPerEU: 1
; AccumOffset: 4
; Occupancy: 8
; WaveLimiterHint : 0
; COMPUTE_PGM_RSRC2:SCRATCH_EN: 0
; COMPUTE_PGM_RSRC2:USER_SGPR: 2
; COMPUTE_PGM_RSRC2:TRAP_HANDLER: 0
; COMPUTE_PGM_RSRC2:TGID_X_EN: 1
; COMPUTE_PGM_RSRC2:TGID_Y_EN: 0
; COMPUTE_PGM_RSRC2:TGID_Z_EN: 0
; COMPUTE_PGM_RSRC2:TIDIG_COMP_CNT: 0
; COMPUTE_PGM_RSRC3_GFX90A:ACCUM_OFFSET: 0
; COMPUTE_PGM_RSRC3_GFX90A:TG_SPLIT: 0
	.section	.text._ZN7rocprim17ROCPRIM_400000_NS6detail17trampoline_kernelINS0_14default_configENS1_25partition_config_selectorILNS1_17partition_subalgoE1EsNS0_10empty_typeEbEEZZNS1_14partition_implILS5_1ELb0ES3_jN6thrust23THRUST_200600_302600_NS6detail15normal_iteratorINSA_10device_ptrIsEEEEPS6_NSA_18transform_iteratorI7is_evenIsESF_NSA_11use_defaultESK_EENS0_5tupleIJNSA_16discard_iteratorISK_EESO_EEENSM_IJSG_SG_EEES6_PlJS6_EEE10hipError_tPvRmT3_T4_T5_T6_T7_T9_mT8_P12ihipStream_tbDpT10_ENKUlT_T0_E_clISt17integral_constantIbLb0EES1A_IbLb1EEEEDaS16_S17_EUlS16_E_NS1_11comp_targetILNS1_3genE2ELNS1_11target_archE906ELNS1_3gpuE6ELNS1_3repE0EEENS1_30default_config_static_selectorELNS0_4arch9wavefront6targetE1EEEvT1_,"axG",@progbits,_ZN7rocprim17ROCPRIM_400000_NS6detail17trampoline_kernelINS0_14default_configENS1_25partition_config_selectorILNS1_17partition_subalgoE1EsNS0_10empty_typeEbEEZZNS1_14partition_implILS5_1ELb0ES3_jN6thrust23THRUST_200600_302600_NS6detail15normal_iteratorINSA_10device_ptrIsEEEEPS6_NSA_18transform_iteratorI7is_evenIsESF_NSA_11use_defaultESK_EENS0_5tupleIJNSA_16discard_iteratorISK_EESO_EEENSM_IJSG_SG_EEES6_PlJS6_EEE10hipError_tPvRmT3_T4_T5_T6_T7_T9_mT8_P12ihipStream_tbDpT10_ENKUlT_T0_E_clISt17integral_constantIbLb0EES1A_IbLb1EEEEDaS16_S17_EUlS16_E_NS1_11comp_targetILNS1_3genE2ELNS1_11target_archE906ELNS1_3gpuE6ELNS1_3repE0EEENS1_30default_config_static_selectorELNS0_4arch9wavefront6targetE1EEEvT1_,comdat
	.protected	_ZN7rocprim17ROCPRIM_400000_NS6detail17trampoline_kernelINS0_14default_configENS1_25partition_config_selectorILNS1_17partition_subalgoE1EsNS0_10empty_typeEbEEZZNS1_14partition_implILS5_1ELb0ES3_jN6thrust23THRUST_200600_302600_NS6detail15normal_iteratorINSA_10device_ptrIsEEEEPS6_NSA_18transform_iteratorI7is_evenIsESF_NSA_11use_defaultESK_EENS0_5tupleIJNSA_16discard_iteratorISK_EESO_EEENSM_IJSG_SG_EEES6_PlJS6_EEE10hipError_tPvRmT3_T4_T5_T6_T7_T9_mT8_P12ihipStream_tbDpT10_ENKUlT_T0_E_clISt17integral_constantIbLb0EES1A_IbLb1EEEEDaS16_S17_EUlS16_E_NS1_11comp_targetILNS1_3genE2ELNS1_11target_archE906ELNS1_3gpuE6ELNS1_3repE0EEENS1_30default_config_static_selectorELNS0_4arch9wavefront6targetE1EEEvT1_ ; -- Begin function _ZN7rocprim17ROCPRIM_400000_NS6detail17trampoline_kernelINS0_14default_configENS1_25partition_config_selectorILNS1_17partition_subalgoE1EsNS0_10empty_typeEbEEZZNS1_14partition_implILS5_1ELb0ES3_jN6thrust23THRUST_200600_302600_NS6detail15normal_iteratorINSA_10device_ptrIsEEEEPS6_NSA_18transform_iteratorI7is_evenIsESF_NSA_11use_defaultESK_EENS0_5tupleIJNSA_16discard_iteratorISK_EESO_EEENSM_IJSG_SG_EEES6_PlJS6_EEE10hipError_tPvRmT3_T4_T5_T6_T7_T9_mT8_P12ihipStream_tbDpT10_ENKUlT_T0_E_clISt17integral_constantIbLb0EES1A_IbLb1EEEEDaS16_S17_EUlS16_E_NS1_11comp_targetILNS1_3genE2ELNS1_11target_archE906ELNS1_3gpuE6ELNS1_3repE0EEENS1_30default_config_static_selectorELNS0_4arch9wavefront6targetE1EEEvT1_
	.globl	_ZN7rocprim17ROCPRIM_400000_NS6detail17trampoline_kernelINS0_14default_configENS1_25partition_config_selectorILNS1_17partition_subalgoE1EsNS0_10empty_typeEbEEZZNS1_14partition_implILS5_1ELb0ES3_jN6thrust23THRUST_200600_302600_NS6detail15normal_iteratorINSA_10device_ptrIsEEEEPS6_NSA_18transform_iteratorI7is_evenIsESF_NSA_11use_defaultESK_EENS0_5tupleIJNSA_16discard_iteratorISK_EESO_EEENSM_IJSG_SG_EEES6_PlJS6_EEE10hipError_tPvRmT3_T4_T5_T6_T7_T9_mT8_P12ihipStream_tbDpT10_ENKUlT_T0_E_clISt17integral_constantIbLb0EES1A_IbLb1EEEEDaS16_S17_EUlS16_E_NS1_11comp_targetILNS1_3genE2ELNS1_11target_archE906ELNS1_3gpuE6ELNS1_3repE0EEENS1_30default_config_static_selectorELNS0_4arch9wavefront6targetE1EEEvT1_
	.p2align	8
	.type	_ZN7rocprim17ROCPRIM_400000_NS6detail17trampoline_kernelINS0_14default_configENS1_25partition_config_selectorILNS1_17partition_subalgoE1EsNS0_10empty_typeEbEEZZNS1_14partition_implILS5_1ELb0ES3_jN6thrust23THRUST_200600_302600_NS6detail15normal_iteratorINSA_10device_ptrIsEEEEPS6_NSA_18transform_iteratorI7is_evenIsESF_NSA_11use_defaultESK_EENS0_5tupleIJNSA_16discard_iteratorISK_EESO_EEENSM_IJSG_SG_EEES6_PlJS6_EEE10hipError_tPvRmT3_T4_T5_T6_T7_T9_mT8_P12ihipStream_tbDpT10_ENKUlT_T0_E_clISt17integral_constantIbLb0EES1A_IbLb1EEEEDaS16_S17_EUlS16_E_NS1_11comp_targetILNS1_3genE2ELNS1_11target_archE906ELNS1_3gpuE6ELNS1_3repE0EEENS1_30default_config_static_selectorELNS0_4arch9wavefront6targetE1EEEvT1_,@function
_ZN7rocprim17ROCPRIM_400000_NS6detail17trampoline_kernelINS0_14default_configENS1_25partition_config_selectorILNS1_17partition_subalgoE1EsNS0_10empty_typeEbEEZZNS1_14partition_implILS5_1ELb0ES3_jN6thrust23THRUST_200600_302600_NS6detail15normal_iteratorINSA_10device_ptrIsEEEEPS6_NSA_18transform_iteratorI7is_evenIsESF_NSA_11use_defaultESK_EENS0_5tupleIJNSA_16discard_iteratorISK_EESO_EEENSM_IJSG_SG_EEES6_PlJS6_EEE10hipError_tPvRmT3_T4_T5_T6_T7_T9_mT8_P12ihipStream_tbDpT10_ENKUlT_T0_E_clISt17integral_constantIbLb0EES1A_IbLb1EEEEDaS16_S17_EUlS16_E_NS1_11comp_targetILNS1_3genE2ELNS1_11target_archE906ELNS1_3gpuE6ELNS1_3repE0EEENS1_30default_config_static_selectorELNS0_4arch9wavefront6targetE1EEEvT1_: ; @_ZN7rocprim17ROCPRIM_400000_NS6detail17trampoline_kernelINS0_14default_configENS1_25partition_config_selectorILNS1_17partition_subalgoE1EsNS0_10empty_typeEbEEZZNS1_14partition_implILS5_1ELb0ES3_jN6thrust23THRUST_200600_302600_NS6detail15normal_iteratorINSA_10device_ptrIsEEEEPS6_NSA_18transform_iteratorI7is_evenIsESF_NSA_11use_defaultESK_EENS0_5tupleIJNSA_16discard_iteratorISK_EESO_EEENSM_IJSG_SG_EEES6_PlJS6_EEE10hipError_tPvRmT3_T4_T5_T6_T7_T9_mT8_P12ihipStream_tbDpT10_ENKUlT_T0_E_clISt17integral_constantIbLb0EES1A_IbLb1EEEEDaS16_S17_EUlS16_E_NS1_11comp_targetILNS1_3genE2ELNS1_11target_archE906ELNS1_3gpuE6ELNS1_3repE0EEENS1_30default_config_static_selectorELNS0_4arch9wavefront6targetE1EEEvT1_
; %bb.0:
	.section	.rodata,"a",@progbits
	.p2align	6, 0x0
	.amdhsa_kernel _ZN7rocprim17ROCPRIM_400000_NS6detail17trampoline_kernelINS0_14default_configENS1_25partition_config_selectorILNS1_17partition_subalgoE1EsNS0_10empty_typeEbEEZZNS1_14partition_implILS5_1ELb0ES3_jN6thrust23THRUST_200600_302600_NS6detail15normal_iteratorINSA_10device_ptrIsEEEEPS6_NSA_18transform_iteratorI7is_evenIsESF_NSA_11use_defaultESK_EENS0_5tupleIJNSA_16discard_iteratorISK_EESO_EEENSM_IJSG_SG_EEES6_PlJS6_EEE10hipError_tPvRmT3_T4_T5_T6_T7_T9_mT8_P12ihipStream_tbDpT10_ENKUlT_T0_E_clISt17integral_constantIbLb0EES1A_IbLb1EEEEDaS16_S17_EUlS16_E_NS1_11comp_targetILNS1_3genE2ELNS1_11target_archE906ELNS1_3gpuE6ELNS1_3repE0EEENS1_30default_config_static_selectorELNS0_4arch9wavefront6targetE1EEEvT1_
		.amdhsa_group_segment_fixed_size 0
		.amdhsa_private_segment_fixed_size 0
		.amdhsa_kernarg_size 160
		.amdhsa_user_sgpr_count 2
		.amdhsa_user_sgpr_dispatch_ptr 0
		.amdhsa_user_sgpr_queue_ptr 0
		.amdhsa_user_sgpr_kernarg_segment_ptr 1
		.amdhsa_user_sgpr_dispatch_id 0
		.amdhsa_user_sgpr_kernarg_preload_length 0
		.amdhsa_user_sgpr_kernarg_preload_offset 0
		.amdhsa_user_sgpr_private_segment_size 0
		.amdhsa_uses_dynamic_stack 0
		.amdhsa_enable_private_segment 0
		.amdhsa_system_sgpr_workgroup_id_x 1
		.amdhsa_system_sgpr_workgroup_id_y 0
		.amdhsa_system_sgpr_workgroup_id_z 0
		.amdhsa_system_sgpr_workgroup_info 0
		.amdhsa_system_vgpr_workitem_id 0
		.amdhsa_next_free_vgpr 1
		.amdhsa_next_free_sgpr 0
		.amdhsa_accum_offset 4
		.amdhsa_reserve_vcc 0
		.amdhsa_float_round_mode_32 0
		.amdhsa_float_round_mode_16_64 0
		.amdhsa_float_denorm_mode_32 3
		.amdhsa_float_denorm_mode_16_64 3
		.amdhsa_dx10_clamp 1
		.amdhsa_ieee_mode 1
		.amdhsa_fp16_overflow 0
		.amdhsa_tg_split 0
		.amdhsa_exception_fp_ieee_invalid_op 0
		.amdhsa_exception_fp_denorm_src 0
		.amdhsa_exception_fp_ieee_div_zero 0
		.amdhsa_exception_fp_ieee_overflow 0
		.amdhsa_exception_fp_ieee_underflow 0
		.amdhsa_exception_fp_ieee_inexact 0
		.amdhsa_exception_int_div_zero 0
	.end_amdhsa_kernel
	.section	.text._ZN7rocprim17ROCPRIM_400000_NS6detail17trampoline_kernelINS0_14default_configENS1_25partition_config_selectorILNS1_17partition_subalgoE1EsNS0_10empty_typeEbEEZZNS1_14partition_implILS5_1ELb0ES3_jN6thrust23THRUST_200600_302600_NS6detail15normal_iteratorINSA_10device_ptrIsEEEEPS6_NSA_18transform_iteratorI7is_evenIsESF_NSA_11use_defaultESK_EENS0_5tupleIJNSA_16discard_iteratorISK_EESO_EEENSM_IJSG_SG_EEES6_PlJS6_EEE10hipError_tPvRmT3_T4_T5_T6_T7_T9_mT8_P12ihipStream_tbDpT10_ENKUlT_T0_E_clISt17integral_constantIbLb0EES1A_IbLb1EEEEDaS16_S17_EUlS16_E_NS1_11comp_targetILNS1_3genE2ELNS1_11target_archE906ELNS1_3gpuE6ELNS1_3repE0EEENS1_30default_config_static_selectorELNS0_4arch9wavefront6targetE1EEEvT1_,"axG",@progbits,_ZN7rocprim17ROCPRIM_400000_NS6detail17trampoline_kernelINS0_14default_configENS1_25partition_config_selectorILNS1_17partition_subalgoE1EsNS0_10empty_typeEbEEZZNS1_14partition_implILS5_1ELb0ES3_jN6thrust23THRUST_200600_302600_NS6detail15normal_iteratorINSA_10device_ptrIsEEEEPS6_NSA_18transform_iteratorI7is_evenIsESF_NSA_11use_defaultESK_EENS0_5tupleIJNSA_16discard_iteratorISK_EESO_EEENSM_IJSG_SG_EEES6_PlJS6_EEE10hipError_tPvRmT3_T4_T5_T6_T7_T9_mT8_P12ihipStream_tbDpT10_ENKUlT_T0_E_clISt17integral_constantIbLb0EES1A_IbLb1EEEEDaS16_S17_EUlS16_E_NS1_11comp_targetILNS1_3genE2ELNS1_11target_archE906ELNS1_3gpuE6ELNS1_3repE0EEENS1_30default_config_static_selectorELNS0_4arch9wavefront6targetE1EEEvT1_,comdat
.Lfunc_end3383:
	.size	_ZN7rocprim17ROCPRIM_400000_NS6detail17trampoline_kernelINS0_14default_configENS1_25partition_config_selectorILNS1_17partition_subalgoE1EsNS0_10empty_typeEbEEZZNS1_14partition_implILS5_1ELb0ES3_jN6thrust23THRUST_200600_302600_NS6detail15normal_iteratorINSA_10device_ptrIsEEEEPS6_NSA_18transform_iteratorI7is_evenIsESF_NSA_11use_defaultESK_EENS0_5tupleIJNSA_16discard_iteratorISK_EESO_EEENSM_IJSG_SG_EEES6_PlJS6_EEE10hipError_tPvRmT3_T4_T5_T6_T7_T9_mT8_P12ihipStream_tbDpT10_ENKUlT_T0_E_clISt17integral_constantIbLb0EES1A_IbLb1EEEEDaS16_S17_EUlS16_E_NS1_11comp_targetILNS1_3genE2ELNS1_11target_archE906ELNS1_3gpuE6ELNS1_3repE0EEENS1_30default_config_static_selectorELNS0_4arch9wavefront6targetE1EEEvT1_, .Lfunc_end3383-_ZN7rocprim17ROCPRIM_400000_NS6detail17trampoline_kernelINS0_14default_configENS1_25partition_config_selectorILNS1_17partition_subalgoE1EsNS0_10empty_typeEbEEZZNS1_14partition_implILS5_1ELb0ES3_jN6thrust23THRUST_200600_302600_NS6detail15normal_iteratorINSA_10device_ptrIsEEEEPS6_NSA_18transform_iteratorI7is_evenIsESF_NSA_11use_defaultESK_EENS0_5tupleIJNSA_16discard_iteratorISK_EESO_EEENSM_IJSG_SG_EEES6_PlJS6_EEE10hipError_tPvRmT3_T4_T5_T6_T7_T9_mT8_P12ihipStream_tbDpT10_ENKUlT_T0_E_clISt17integral_constantIbLb0EES1A_IbLb1EEEEDaS16_S17_EUlS16_E_NS1_11comp_targetILNS1_3genE2ELNS1_11target_archE906ELNS1_3gpuE6ELNS1_3repE0EEENS1_30default_config_static_selectorELNS0_4arch9wavefront6targetE1EEEvT1_
                                        ; -- End function
	.section	.AMDGPU.csdata,"",@progbits
; Kernel info:
; codeLenInByte = 0
; NumSgprs: 6
; NumVgprs: 0
; NumAgprs: 0
; TotalNumVgprs: 0
; ScratchSize: 0
; MemoryBound: 0
; FloatMode: 240
; IeeeMode: 1
; LDSByteSize: 0 bytes/workgroup (compile time only)
; SGPRBlocks: 0
; VGPRBlocks: 0
; NumSGPRsForWavesPerEU: 6
; NumVGPRsForWavesPerEU: 1
; AccumOffset: 4
; Occupancy: 8
; WaveLimiterHint : 0
; COMPUTE_PGM_RSRC2:SCRATCH_EN: 0
; COMPUTE_PGM_RSRC2:USER_SGPR: 2
; COMPUTE_PGM_RSRC2:TRAP_HANDLER: 0
; COMPUTE_PGM_RSRC2:TGID_X_EN: 1
; COMPUTE_PGM_RSRC2:TGID_Y_EN: 0
; COMPUTE_PGM_RSRC2:TGID_Z_EN: 0
; COMPUTE_PGM_RSRC2:TIDIG_COMP_CNT: 0
; COMPUTE_PGM_RSRC3_GFX90A:ACCUM_OFFSET: 0
; COMPUTE_PGM_RSRC3_GFX90A:TG_SPLIT: 0
	.section	.text._ZN7rocprim17ROCPRIM_400000_NS6detail17trampoline_kernelINS0_14default_configENS1_25partition_config_selectorILNS1_17partition_subalgoE1EsNS0_10empty_typeEbEEZZNS1_14partition_implILS5_1ELb0ES3_jN6thrust23THRUST_200600_302600_NS6detail15normal_iteratorINSA_10device_ptrIsEEEEPS6_NSA_18transform_iteratorI7is_evenIsESF_NSA_11use_defaultESK_EENS0_5tupleIJNSA_16discard_iteratorISK_EESO_EEENSM_IJSG_SG_EEES6_PlJS6_EEE10hipError_tPvRmT3_T4_T5_T6_T7_T9_mT8_P12ihipStream_tbDpT10_ENKUlT_T0_E_clISt17integral_constantIbLb0EES1A_IbLb1EEEEDaS16_S17_EUlS16_E_NS1_11comp_targetILNS1_3genE10ELNS1_11target_archE1200ELNS1_3gpuE4ELNS1_3repE0EEENS1_30default_config_static_selectorELNS0_4arch9wavefront6targetE1EEEvT1_,"axG",@progbits,_ZN7rocprim17ROCPRIM_400000_NS6detail17trampoline_kernelINS0_14default_configENS1_25partition_config_selectorILNS1_17partition_subalgoE1EsNS0_10empty_typeEbEEZZNS1_14partition_implILS5_1ELb0ES3_jN6thrust23THRUST_200600_302600_NS6detail15normal_iteratorINSA_10device_ptrIsEEEEPS6_NSA_18transform_iteratorI7is_evenIsESF_NSA_11use_defaultESK_EENS0_5tupleIJNSA_16discard_iteratorISK_EESO_EEENSM_IJSG_SG_EEES6_PlJS6_EEE10hipError_tPvRmT3_T4_T5_T6_T7_T9_mT8_P12ihipStream_tbDpT10_ENKUlT_T0_E_clISt17integral_constantIbLb0EES1A_IbLb1EEEEDaS16_S17_EUlS16_E_NS1_11comp_targetILNS1_3genE10ELNS1_11target_archE1200ELNS1_3gpuE4ELNS1_3repE0EEENS1_30default_config_static_selectorELNS0_4arch9wavefront6targetE1EEEvT1_,comdat
	.protected	_ZN7rocprim17ROCPRIM_400000_NS6detail17trampoline_kernelINS0_14default_configENS1_25partition_config_selectorILNS1_17partition_subalgoE1EsNS0_10empty_typeEbEEZZNS1_14partition_implILS5_1ELb0ES3_jN6thrust23THRUST_200600_302600_NS6detail15normal_iteratorINSA_10device_ptrIsEEEEPS6_NSA_18transform_iteratorI7is_evenIsESF_NSA_11use_defaultESK_EENS0_5tupleIJNSA_16discard_iteratorISK_EESO_EEENSM_IJSG_SG_EEES6_PlJS6_EEE10hipError_tPvRmT3_T4_T5_T6_T7_T9_mT8_P12ihipStream_tbDpT10_ENKUlT_T0_E_clISt17integral_constantIbLb0EES1A_IbLb1EEEEDaS16_S17_EUlS16_E_NS1_11comp_targetILNS1_3genE10ELNS1_11target_archE1200ELNS1_3gpuE4ELNS1_3repE0EEENS1_30default_config_static_selectorELNS0_4arch9wavefront6targetE1EEEvT1_ ; -- Begin function _ZN7rocprim17ROCPRIM_400000_NS6detail17trampoline_kernelINS0_14default_configENS1_25partition_config_selectorILNS1_17partition_subalgoE1EsNS0_10empty_typeEbEEZZNS1_14partition_implILS5_1ELb0ES3_jN6thrust23THRUST_200600_302600_NS6detail15normal_iteratorINSA_10device_ptrIsEEEEPS6_NSA_18transform_iteratorI7is_evenIsESF_NSA_11use_defaultESK_EENS0_5tupleIJNSA_16discard_iteratorISK_EESO_EEENSM_IJSG_SG_EEES6_PlJS6_EEE10hipError_tPvRmT3_T4_T5_T6_T7_T9_mT8_P12ihipStream_tbDpT10_ENKUlT_T0_E_clISt17integral_constantIbLb0EES1A_IbLb1EEEEDaS16_S17_EUlS16_E_NS1_11comp_targetILNS1_3genE10ELNS1_11target_archE1200ELNS1_3gpuE4ELNS1_3repE0EEENS1_30default_config_static_selectorELNS0_4arch9wavefront6targetE1EEEvT1_
	.globl	_ZN7rocprim17ROCPRIM_400000_NS6detail17trampoline_kernelINS0_14default_configENS1_25partition_config_selectorILNS1_17partition_subalgoE1EsNS0_10empty_typeEbEEZZNS1_14partition_implILS5_1ELb0ES3_jN6thrust23THRUST_200600_302600_NS6detail15normal_iteratorINSA_10device_ptrIsEEEEPS6_NSA_18transform_iteratorI7is_evenIsESF_NSA_11use_defaultESK_EENS0_5tupleIJNSA_16discard_iteratorISK_EESO_EEENSM_IJSG_SG_EEES6_PlJS6_EEE10hipError_tPvRmT3_T4_T5_T6_T7_T9_mT8_P12ihipStream_tbDpT10_ENKUlT_T0_E_clISt17integral_constantIbLb0EES1A_IbLb1EEEEDaS16_S17_EUlS16_E_NS1_11comp_targetILNS1_3genE10ELNS1_11target_archE1200ELNS1_3gpuE4ELNS1_3repE0EEENS1_30default_config_static_selectorELNS0_4arch9wavefront6targetE1EEEvT1_
	.p2align	8
	.type	_ZN7rocprim17ROCPRIM_400000_NS6detail17trampoline_kernelINS0_14default_configENS1_25partition_config_selectorILNS1_17partition_subalgoE1EsNS0_10empty_typeEbEEZZNS1_14partition_implILS5_1ELb0ES3_jN6thrust23THRUST_200600_302600_NS6detail15normal_iteratorINSA_10device_ptrIsEEEEPS6_NSA_18transform_iteratorI7is_evenIsESF_NSA_11use_defaultESK_EENS0_5tupleIJNSA_16discard_iteratorISK_EESO_EEENSM_IJSG_SG_EEES6_PlJS6_EEE10hipError_tPvRmT3_T4_T5_T6_T7_T9_mT8_P12ihipStream_tbDpT10_ENKUlT_T0_E_clISt17integral_constantIbLb0EES1A_IbLb1EEEEDaS16_S17_EUlS16_E_NS1_11comp_targetILNS1_3genE10ELNS1_11target_archE1200ELNS1_3gpuE4ELNS1_3repE0EEENS1_30default_config_static_selectorELNS0_4arch9wavefront6targetE1EEEvT1_,@function
_ZN7rocprim17ROCPRIM_400000_NS6detail17trampoline_kernelINS0_14default_configENS1_25partition_config_selectorILNS1_17partition_subalgoE1EsNS0_10empty_typeEbEEZZNS1_14partition_implILS5_1ELb0ES3_jN6thrust23THRUST_200600_302600_NS6detail15normal_iteratorINSA_10device_ptrIsEEEEPS6_NSA_18transform_iteratorI7is_evenIsESF_NSA_11use_defaultESK_EENS0_5tupleIJNSA_16discard_iteratorISK_EESO_EEENSM_IJSG_SG_EEES6_PlJS6_EEE10hipError_tPvRmT3_T4_T5_T6_T7_T9_mT8_P12ihipStream_tbDpT10_ENKUlT_T0_E_clISt17integral_constantIbLb0EES1A_IbLb1EEEEDaS16_S17_EUlS16_E_NS1_11comp_targetILNS1_3genE10ELNS1_11target_archE1200ELNS1_3gpuE4ELNS1_3repE0EEENS1_30default_config_static_selectorELNS0_4arch9wavefront6targetE1EEEvT1_: ; @_ZN7rocprim17ROCPRIM_400000_NS6detail17trampoline_kernelINS0_14default_configENS1_25partition_config_selectorILNS1_17partition_subalgoE1EsNS0_10empty_typeEbEEZZNS1_14partition_implILS5_1ELb0ES3_jN6thrust23THRUST_200600_302600_NS6detail15normal_iteratorINSA_10device_ptrIsEEEEPS6_NSA_18transform_iteratorI7is_evenIsESF_NSA_11use_defaultESK_EENS0_5tupleIJNSA_16discard_iteratorISK_EESO_EEENSM_IJSG_SG_EEES6_PlJS6_EEE10hipError_tPvRmT3_T4_T5_T6_T7_T9_mT8_P12ihipStream_tbDpT10_ENKUlT_T0_E_clISt17integral_constantIbLb0EES1A_IbLb1EEEEDaS16_S17_EUlS16_E_NS1_11comp_targetILNS1_3genE10ELNS1_11target_archE1200ELNS1_3gpuE4ELNS1_3repE0EEENS1_30default_config_static_selectorELNS0_4arch9wavefront6targetE1EEEvT1_
; %bb.0:
	.section	.rodata,"a",@progbits
	.p2align	6, 0x0
	.amdhsa_kernel _ZN7rocprim17ROCPRIM_400000_NS6detail17trampoline_kernelINS0_14default_configENS1_25partition_config_selectorILNS1_17partition_subalgoE1EsNS0_10empty_typeEbEEZZNS1_14partition_implILS5_1ELb0ES3_jN6thrust23THRUST_200600_302600_NS6detail15normal_iteratorINSA_10device_ptrIsEEEEPS6_NSA_18transform_iteratorI7is_evenIsESF_NSA_11use_defaultESK_EENS0_5tupleIJNSA_16discard_iteratorISK_EESO_EEENSM_IJSG_SG_EEES6_PlJS6_EEE10hipError_tPvRmT3_T4_T5_T6_T7_T9_mT8_P12ihipStream_tbDpT10_ENKUlT_T0_E_clISt17integral_constantIbLb0EES1A_IbLb1EEEEDaS16_S17_EUlS16_E_NS1_11comp_targetILNS1_3genE10ELNS1_11target_archE1200ELNS1_3gpuE4ELNS1_3repE0EEENS1_30default_config_static_selectorELNS0_4arch9wavefront6targetE1EEEvT1_
		.amdhsa_group_segment_fixed_size 0
		.amdhsa_private_segment_fixed_size 0
		.amdhsa_kernarg_size 160
		.amdhsa_user_sgpr_count 2
		.amdhsa_user_sgpr_dispatch_ptr 0
		.amdhsa_user_sgpr_queue_ptr 0
		.amdhsa_user_sgpr_kernarg_segment_ptr 1
		.amdhsa_user_sgpr_dispatch_id 0
		.amdhsa_user_sgpr_kernarg_preload_length 0
		.amdhsa_user_sgpr_kernarg_preload_offset 0
		.amdhsa_user_sgpr_private_segment_size 0
		.amdhsa_uses_dynamic_stack 0
		.amdhsa_enable_private_segment 0
		.amdhsa_system_sgpr_workgroup_id_x 1
		.amdhsa_system_sgpr_workgroup_id_y 0
		.amdhsa_system_sgpr_workgroup_id_z 0
		.amdhsa_system_sgpr_workgroup_info 0
		.amdhsa_system_vgpr_workitem_id 0
		.amdhsa_next_free_vgpr 1
		.amdhsa_next_free_sgpr 0
		.amdhsa_accum_offset 4
		.amdhsa_reserve_vcc 0
		.amdhsa_float_round_mode_32 0
		.amdhsa_float_round_mode_16_64 0
		.amdhsa_float_denorm_mode_32 3
		.amdhsa_float_denorm_mode_16_64 3
		.amdhsa_dx10_clamp 1
		.amdhsa_ieee_mode 1
		.amdhsa_fp16_overflow 0
		.amdhsa_tg_split 0
		.amdhsa_exception_fp_ieee_invalid_op 0
		.amdhsa_exception_fp_denorm_src 0
		.amdhsa_exception_fp_ieee_div_zero 0
		.amdhsa_exception_fp_ieee_overflow 0
		.amdhsa_exception_fp_ieee_underflow 0
		.amdhsa_exception_fp_ieee_inexact 0
		.amdhsa_exception_int_div_zero 0
	.end_amdhsa_kernel
	.section	.text._ZN7rocprim17ROCPRIM_400000_NS6detail17trampoline_kernelINS0_14default_configENS1_25partition_config_selectorILNS1_17partition_subalgoE1EsNS0_10empty_typeEbEEZZNS1_14partition_implILS5_1ELb0ES3_jN6thrust23THRUST_200600_302600_NS6detail15normal_iteratorINSA_10device_ptrIsEEEEPS6_NSA_18transform_iteratorI7is_evenIsESF_NSA_11use_defaultESK_EENS0_5tupleIJNSA_16discard_iteratorISK_EESO_EEENSM_IJSG_SG_EEES6_PlJS6_EEE10hipError_tPvRmT3_T4_T5_T6_T7_T9_mT8_P12ihipStream_tbDpT10_ENKUlT_T0_E_clISt17integral_constantIbLb0EES1A_IbLb1EEEEDaS16_S17_EUlS16_E_NS1_11comp_targetILNS1_3genE10ELNS1_11target_archE1200ELNS1_3gpuE4ELNS1_3repE0EEENS1_30default_config_static_selectorELNS0_4arch9wavefront6targetE1EEEvT1_,"axG",@progbits,_ZN7rocprim17ROCPRIM_400000_NS6detail17trampoline_kernelINS0_14default_configENS1_25partition_config_selectorILNS1_17partition_subalgoE1EsNS0_10empty_typeEbEEZZNS1_14partition_implILS5_1ELb0ES3_jN6thrust23THRUST_200600_302600_NS6detail15normal_iteratorINSA_10device_ptrIsEEEEPS6_NSA_18transform_iteratorI7is_evenIsESF_NSA_11use_defaultESK_EENS0_5tupleIJNSA_16discard_iteratorISK_EESO_EEENSM_IJSG_SG_EEES6_PlJS6_EEE10hipError_tPvRmT3_T4_T5_T6_T7_T9_mT8_P12ihipStream_tbDpT10_ENKUlT_T0_E_clISt17integral_constantIbLb0EES1A_IbLb1EEEEDaS16_S17_EUlS16_E_NS1_11comp_targetILNS1_3genE10ELNS1_11target_archE1200ELNS1_3gpuE4ELNS1_3repE0EEENS1_30default_config_static_selectorELNS0_4arch9wavefront6targetE1EEEvT1_,comdat
.Lfunc_end3384:
	.size	_ZN7rocprim17ROCPRIM_400000_NS6detail17trampoline_kernelINS0_14default_configENS1_25partition_config_selectorILNS1_17partition_subalgoE1EsNS0_10empty_typeEbEEZZNS1_14partition_implILS5_1ELb0ES3_jN6thrust23THRUST_200600_302600_NS6detail15normal_iteratorINSA_10device_ptrIsEEEEPS6_NSA_18transform_iteratorI7is_evenIsESF_NSA_11use_defaultESK_EENS0_5tupleIJNSA_16discard_iteratorISK_EESO_EEENSM_IJSG_SG_EEES6_PlJS6_EEE10hipError_tPvRmT3_T4_T5_T6_T7_T9_mT8_P12ihipStream_tbDpT10_ENKUlT_T0_E_clISt17integral_constantIbLb0EES1A_IbLb1EEEEDaS16_S17_EUlS16_E_NS1_11comp_targetILNS1_3genE10ELNS1_11target_archE1200ELNS1_3gpuE4ELNS1_3repE0EEENS1_30default_config_static_selectorELNS0_4arch9wavefront6targetE1EEEvT1_, .Lfunc_end3384-_ZN7rocprim17ROCPRIM_400000_NS6detail17trampoline_kernelINS0_14default_configENS1_25partition_config_selectorILNS1_17partition_subalgoE1EsNS0_10empty_typeEbEEZZNS1_14partition_implILS5_1ELb0ES3_jN6thrust23THRUST_200600_302600_NS6detail15normal_iteratorINSA_10device_ptrIsEEEEPS6_NSA_18transform_iteratorI7is_evenIsESF_NSA_11use_defaultESK_EENS0_5tupleIJNSA_16discard_iteratorISK_EESO_EEENSM_IJSG_SG_EEES6_PlJS6_EEE10hipError_tPvRmT3_T4_T5_T6_T7_T9_mT8_P12ihipStream_tbDpT10_ENKUlT_T0_E_clISt17integral_constantIbLb0EES1A_IbLb1EEEEDaS16_S17_EUlS16_E_NS1_11comp_targetILNS1_3genE10ELNS1_11target_archE1200ELNS1_3gpuE4ELNS1_3repE0EEENS1_30default_config_static_selectorELNS0_4arch9wavefront6targetE1EEEvT1_
                                        ; -- End function
	.section	.AMDGPU.csdata,"",@progbits
; Kernel info:
; codeLenInByte = 0
; NumSgprs: 6
; NumVgprs: 0
; NumAgprs: 0
; TotalNumVgprs: 0
; ScratchSize: 0
; MemoryBound: 0
; FloatMode: 240
; IeeeMode: 1
; LDSByteSize: 0 bytes/workgroup (compile time only)
; SGPRBlocks: 0
; VGPRBlocks: 0
; NumSGPRsForWavesPerEU: 6
; NumVGPRsForWavesPerEU: 1
; AccumOffset: 4
; Occupancy: 8
; WaveLimiterHint : 0
; COMPUTE_PGM_RSRC2:SCRATCH_EN: 0
; COMPUTE_PGM_RSRC2:USER_SGPR: 2
; COMPUTE_PGM_RSRC2:TRAP_HANDLER: 0
; COMPUTE_PGM_RSRC2:TGID_X_EN: 1
; COMPUTE_PGM_RSRC2:TGID_Y_EN: 0
; COMPUTE_PGM_RSRC2:TGID_Z_EN: 0
; COMPUTE_PGM_RSRC2:TIDIG_COMP_CNT: 0
; COMPUTE_PGM_RSRC3_GFX90A:ACCUM_OFFSET: 0
; COMPUTE_PGM_RSRC3_GFX90A:TG_SPLIT: 0
	.section	.text._ZN7rocprim17ROCPRIM_400000_NS6detail17trampoline_kernelINS0_14default_configENS1_25partition_config_selectorILNS1_17partition_subalgoE1EsNS0_10empty_typeEbEEZZNS1_14partition_implILS5_1ELb0ES3_jN6thrust23THRUST_200600_302600_NS6detail15normal_iteratorINSA_10device_ptrIsEEEEPS6_NSA_18transform_iteratorI7is_evenIsESF_NSA_11use_defaultESK_EENS0_5tupleIJNSA_16discard_iteratorISK_EESO_EEENSM_IJSG_SG_EEES6_PlJS6_EEE10hipError_tPvRmT3_T4_T5_T6_T7_T9_mT8_P12ihipStream_tbDpT10_ENKUlT_T0_E_clISt17integral_constantIbLb0EES1A_IbLb1EEEEDaS16_S17_EUlS16_E_NS1_11comp_targetILNS1_3genE9ELNS1_11target_archE1100ELNS1_3gpuE3ELNS1_3repE0EEENS1_30default_config_static_selectorELNS0_4arch9wavefront6targetE1EEEvT1_,"axG",@progbits,_ZN7rocprim17ROCPRIM_400000_NS6detail17trampoline_kernelINS0_14default_configENS1_25partition_config_selectorILNS1_17partition_subalgoE1EsNS0_10empty_typeEbEEZZNS1_14partition_implILS5_1ELb0ES3_jN6thrust23THRUST_200600_302600_NS6detail15normal_iteratorINSA_10device_ptrIsEEEEPS6_NSA_18transform_iteratorI7is_evenIsESF_NSA_11use_defaultESK_EENS0_5tupleIJNSA_16discard_iteratorISK_EESO_EEENSM_IJSG_SG_EEES6_PlJS6_EEE10hipError_tPvRmT3_T4_T5_T6_T7_T9_mT8_P12ihipStream_tbDpT10_ENKUlT_T0_E_clISt17integral_constantIbLb0EES1A_IbLb1EEEEDaS16_S17_EUlS16_E_NS1_11comp_targetILNS1_3genE9ELNS1_11target_archE1100ELNS1_3gpuE3ELNS1_3repE0EEENS1_30default_config_static_selectorELNS0_4arch9wavefront6targetE1EEEvT1_,comdat
	.protected	_ZN7rocprim17ROCPRIM_400000_NS6detail17trampoline_kernelINS0_14default_configENS1_25partition_config_selectorILNS1_17partition_subalgoE1EsNS0_10empty_typeEbEEZZNS1_14partition_implILS5_1ELb0ES3_jN6thrust23THRUST_200600_302600_NS6detail15normal_iteratorINSA_10device_ptrIsEEEEPS6_NSA_18transform_iteratorI7is_evenIsESF_NSA_11use_defaultESK_EENS0_5tupleIJNSA_16discard_iteratorISK_EESO_EEENSM_IJSG_SG_EEES6_PlJS6_EEE10hipError_tPvRmT3_T4_T5_T6_T7_T9_mT8_P12ihipStream_tbDpT10_ENKUlT_T0_E_clISt17integral_constantIbLb0EES1A_IbLb1EEEEDaS16_S17_EUlS16_E_NS1_11comp_targetILNS1_3genE9ELNS1_11target_archE1100ELNS1_3gpuE3ELNS1_3repE0EEENS1_30default_config_static_selectorELNS0_4arch9wavefront6targetE1EEEvT1_ ; -- Begin function _ZN7rocprim17ROCPRIM_400000_NS6detail17trampoline_kernelINS0_14default_configENS1_25partition_config_selectorILNS1_17partition_subalgoE1EsNS0_10empty_typeEbEEZZNS1_14partition_implILS5_1ELb0ES3_jN6thrust23THRUST_200600_302600_NS6detail15normal_iteratorINSA_10device_ptrIsEEEEPS6_NSA_18transform_iteratorI7is_evenIsESF_NSA_11use_defaultESK_EENS0_5tupleIJNSA_16discard_iteratorISK_EESO_EEENSM_IJSG_SG_EEES6_PlJS6_EEE10hipError_tPvRmT3_T4_T5_T6_T7_T9_mT8_P12ihipStream_tbDpT10_ENKUlT_T0_E_clISt17integral_constantIbLb0EES1A_IbLb1EEEEDaS16_S17_EUlS16_E_NS1_11comp_targetILNS1_3genE9ELNS1_11target_archE1100ELNS1_3gpuE3ELNS1_3repE0EEENS1_30default_config_static_selectorELNS0_4arch9wavefront6targetE1EEEvT1_
	.globl	_ZN7rocprim17ROCPRIM_400000_NS6detail17trampoline_kernelINS0_14default_configENS1_25partition_config_selectorILNS1_17partition_subalgoE1EsNS0_10empty_typeEbEEZZNS1_14partition_implILS5_1ELb0ES3_jN6thrust23THRUST_200600_302600_NS6detail15normal_iteratorINSA_10device_ptrIsEEEEPS6_NSA_18transform_iteratorI7is_evenIsESF_NSA_11use_defaultESK_EENS0_5tupleIJNSA_16discard_iteratorISK_EESO_EEENSM_IJSG_SG_EEES6_PlJS6_EEE10hipError_tPvRmT3_T4_T5_T6_T7_T9_mT8_P12ihipStream_tbDpT10_ENKUlT_T0_E_clISt17integral_constantIbLb0EES1A_IbLb1EEEEDaS16_S17_EUlS16_E_NS1_11comp_targetILNS1_3genE9ELNS1_11target_archE1100ELNS1_3gpuE3ELNS1_3repE0EEENS1_30default_config_static_selectorELNS0_4arch9wavefront6targetE1EEEvT1_
	.p2align	8
	.type	_ZN7rocprim17ROCPRIM_400000_NS6detail17trampoline_kernelINS0_14default_configENS1_25partition_config_selectorILNS1_17partition_subalgoE1EsNS0_10empty_typeEbEEZZNS1_14partition_implILS5_1ELb0ES3_jN6thrust23THRUST_200600_302600_NS6detail15normal_iteratorINSA_10device_ptrIsEEEEPS6_NSA_18transform_iteratorI7is_evenIsESF_NSA_11use_defaultESK_EENS0_5tupleIJNSA_16discard_iteratorISK_EESO_EEENSM_IJSG_SG_EEES6_PlJS6_EEE10hipError_tPvRmT3_T4_T5_T6_T7_T9_mT8_P12ihipStream_tbDpT10_ENKUlT_T0_E_clISt17integral_constantIbLb0EES1A_IbLb1EEEEDaS16_S17_EUlS16_E_NS1_11comp_targetILNS1_3genE9ELNS1_11target_archE1100ELNS1_3gpuE3ELNS1_3repE0EEENS1_30default_config_static_selectorELNS0_4arch9wavefront6targetE1EEEvT1_,@function
_ZN7rocprim17ROCPRIM_400000_NS6detail17trampoline_kernelINS0_14default_configENS1_25partition_config_selectorILNS1_17partition_subalgoE1EsNS0_10empty_typeEbEEZZNS1_14partition_implILS5_1ELb0ES3_jN6thrust23THRUST_200600_302600_NS6detail15normal_iteratorINSA_10device_ptrIsEEEEPS6_NSA_18transform_iteratorI7is_evenIsESF_NSA_11use_defaultESK_EENS0_5tupleIJNSA_16discard_iteratorISK_EESO_EEENSM_IJSG_SG_EEES6_PlJS6_EEE10hipError_tPvRmT3_T4_T5_T6_T7_T9_mT8_P12ihipStream_tbDpT10_ENKUlT_T0_E_clISt17integral_constantIbLb0EES1A_IbLb1EEEEDaS16_S17_EUlS16_E_NS1_11comp_targetILNS1_3genE9ELNS1_11target_archE1100ELNS1_3gpuE3ELNS1_3repE0EEENS1_30default_config_static_selectorELNS0_4arch9wavefront6targetE1EEEvT1_: ; @_ZN7rocprim17ROCPRIM_400000_NS6detail17trampoline_kernelINS0_14default_configENS1_25partition_config_selectorILNS1_17partition_subalgoE1EsNS0_10empty_typeEbEEZZNS1_14partition_implILS5_1ELb0ES3_jN6thrust23THRUST_200600_302600_NS6detail15normal_iteratorINSA_10device_ptrIsEEEEPS6_NSA_18transform_iteratorI7is_evenIsESF_NSA_11use_defaultESK_EENS0_5tupleIJNSA_16discard_iteratorISK_EESO_EEENSM_IJSG_SG_EEES6_PlJS6_EEE10hipError_tPvRmT3_T4_T5_T6_T7_T9_mT8_P12ihipStream_tbDpT10_ENKUlT_T0_E_clISt17integral_constantIbLb0EES1A_IbLb1EEEEDaS16_S17_EUlS16_E_NS1_11comp_targetILNS1_3genE9ELNS1_11target_archE1100ELNS1_3gpuE3ELNS1_3repE0EEENS1_30default_config_static_selectorELNS0_4arch9wavefront6targetE1EEEvT1_
; %bb.0:
	.section	.rodata,"a",@progbits
	.p2align	6, 0x0
	.amdhsa_kernel _ZN7rocprim17ROCPRIM_400000_NS6detail17trampoline_kernelINS0_14default_configENS1_25partition_config_selectorILNS1_17partition_subalgoE1EsNS0_10empty_typeEbEEZZNS1_14partition_implILS5_1ELb0ES3_jN6thrust23THRUST_200600_302600_NS6detail15normal_iteratorINSA_10device_ptrIsEEEEPS6_NSA_18transform_iteratorI7is_evenIsESF_NSA_11use_defaultESK_EENS0_5tupleIJNSA_16discard_iteratorISK_EESO_EEENSM_IJSG_SG_EEES6_PlJS6_EEE10hipError_tPvRmT3_T4_T5_T6_T7_T9_mT8_P12ihipStream_tbDpT10_ENKUlT_T0_E_clISt17integral_constantIbLb0EES1A_IbLb1EEEEDaS16_S17_EUlS16_E_NS1_11comp_targetILNS1_3genE9ELNS1_11target_archE1100ELNS1_3gpuE3ELNS1_3repE0EEENS1_30default_config_static_selectorELNS0_4arch9wavefront6targetE1EEEvT1_
		.amdhsa_group_segment_fixed_size 0
		.amdhsa_private_segment_fixed_size 0
		.amdhsa_kernarg_size 160
		.amdhsa_user_sgpr_count 2
		.amdhsa_user_sgpr_dispatch_ptr 0
		.amdhsa_user_sgpr_queue_ptr 0
		.amdhsa_user_sgpr_kernarg_segment_ptr 1
		.amdhsa_user_sgpr_dispatch_id 0
		.amdhsa_user_sgpr_kernarg_preload_length 0
		.amdhsa_user_sgpr_kernarg_preload_offset 0
		.amdhsa_user_sgpr_private_segment_size 0
		.amdhsa_uses_dynamic_stack 0
		.amdhsa_enable_private_segment 0
		.amdhsa_system_sgpr_workgroup_id_x 1
		.amdhsa_system_sgpr_workgroup_id_y 0
		.amdhsa_system_sgpr_workgroup_id_z 0
		.amdhsa_system_sgpr_workgroup_info 0
		.amdhsa_system_vgpr_workitem_id 0
		.amdhsa_next_free_vgpr 1
		.amdhsa_next_free_sgpr 0
		.amdhsa_accum_offset 4
		.amdhsa_reserve_vcc 0
		.amdhsa_float_round_mode_32 0
		.amdhsa_float_round_mode_16_64 0
		.amdhsa_float_denorm_mode_32 3
		.amdhsa_float_denorm_mode_16_64 3
		.amdhsa_dx10_clamp 1
		.amdhsa_ieee_mode 1
		.amdhsa_fp16_overflow 0
		.amdhsa_tg_split 0
		.amdhsa_exception_fp_ieee_invalid_op 0
		.amdhsa_exception_fp_denorm_src 0
		.amdhsa_exception_fp_ieee_div_zero 0
		.amdhsa_exception_fp_ieee_overflow 0
		.amdhsa_exception_fp_ieee_underflow 0
		.amdhsa_exception_fp_ieee_inexact 0
		.amdhsa_exception_int_div_zero 0
	.end_amdhsa_kernel
	.section	.text._ZN7rocprim17ROCPRIM_400000_NS6detail17trampoline_kernelINS0_14default_configENS1_25partition_config_selectorILNS1_17partition_subalgoE1EsNS0_10empty_typeEbEEZZNS1_14partition_implILS5_1ELb0ES3_jN6thrust23THRUST_200600_302600_NS6detail15normal_iteratorINSA_10device_ptrIsEEEEPS6_NSA_18transform_iteratorI7is_evenIsESF_NSA_11use_defaultESK_EENS0_5tupleIJNSA_16discard_iteratorISK_EESO_EEENSM_IJSG_SG_EEES6_PlJS6_EEE10hipError_tPvRmT3_T4_T5_T6_T7_T9_mT8_P12ihipStream_tbDpT10_ENKUlT_T0_E_clISt17integral_constantIbLb0EES1A_IbLb1EEEEDaS16_S17_EUlS16_E_NS1_11comp_targetILNS1_3genE9ELNS1_11target_archE1100ELNS1_3gpuE3ELNS1_3repE0EEENS1_30default_config_static_selectorELNS0_4arch9wavefront6targetE1EEEvT1_,"axG",@progbits,_ZN7rocprim17ROCPRIM_400000_NS6detail17trampoline_kernelINS0_14default_configENS1_25partition_config_selectorILNS1_17partition_subalgoE1EsNS0_10empty_typeEbEEZZNS1_14partition_implILS5_1ELb0ES3_jN6thrust23THRUST_200600_302600_NS6detail15normal_iteratorINSA_10device_ptrIsEEEEPS6_NSA_18transform_iteratorI7is_evenIsESF_NSA_11use_defaultESK_EENS0_5tupleIJNSA_16discard_iteratorISK_EESO_EEENSM_IJSG_SG_EEES6_PlJS6_EEE10hipError_tPvRmT3_T4_T5_T6_T7_T9_mT8_P12ihipStream_tbDpT10_ENKUlT_T0_E_clISt17integral_constantIbLb0EES1A_IbLb1EEEEDaS16_S17_EUlS16_E_NS1_11comp_targetILNS1_3genE9ELNS1_11target_archE1100ELNS1_3gpuE3ELNS1_3repE0EEENS1_30default_config_static_selectorELNS0_4arch9wavefront6targetE1EEEvT1_,comdat
.Lfunc_end3385:
	.size	_ZN7rocprim17ROCPRIM_400000_NS6detail17trampoline_kernelINS0_14default_configENS1_25partition_config_selectorILNS1_17partition_subalgoE1EsNS0_10empty_typeEbEEZZNS1_14partition_implILS5_1ELb0ES3_jN6thrust23THRUST_200600_302600_NS6detail15normal_iteratorINSA_10device_ptrIsEEEEPS6_NSA_18transform_iteratorI7is_evenIsESF_NSA_11use_defaultESK_EENS0_5tupleIJNSA_16discard_iteratorISK_EESO_EEENSM_IJSG_SG_EEES6_PlJS6_EEE10hipError_tPvRmT3_T4_T5_T6_T7_T9_mT8_P12ihipStream_tbDpT10_ENKUlT_T0_E_clISt17integral_constantIbLb0EES1A_IbLb1EEEEDaS16_S17_EUlS16_E_NS1_11comp_targetILNS1_3genE9ELNS1_11target_archE1100ELNS1_3gpuE3ELNS1_3repE0EEENS1_30default_config_static_selectorELNS0_4arch9wavefront6targetE1EEEvT1_, .Lfunc_end3385-_ZN7rocprim17ROCPRIM_400000_NS6detail17trampoline_kernelINS0_14default_configENS1_25partition_config_selectorILNS1_17partition_subalgoE1EsNS0_10empty_typeEbEEZZNS1_14partition_implILS5_1ELb0ES3_jN6thrust23THRUST_200600_302600_NS6detail15normal_iteratorINSA_10device_ptrIsEEEEPS6_NSA_18transform_iteratorI7is_evenIsESF_NSA_11use_defaultESK_EENS0_5tupleIJNSA_16discard_iteratorISK_EESO_EEENSM_IJSG_SG_EEES6_PlJS6_EEE10hipError_tPvRmT3_T4_T5_T6_T7_T9_mT8_P12ihipStream_tbDpT10_ENKUlT_T0_E_clISt17integral_constantIbLb0EES1A_IbLb1EEEEDaS16_S17_EUlS16_E_NS1_11comp_targetILNS1_3genE9ELNS1_11target_archE1100ELNS1_3gpuE3ELNS1_3repE0EEENS1_30default_config_static_selectorELNS0_4arch9wavefront6targetE1EEEvT1_
                                        ; -- End function
	.section	.AMDGPU.csdata,"",@progbits
; Kernel info:
; codeLenInByte = 0
; NumSgprs: 6
; NumVgprs: 0
; NumAgprs: 0
; TotalNumVgprs: 0
; ScratchSize: 0
; MemoryBound: 0
; FloatMode: 240
; IeeeMode: 1
; LDSByteSize: 0 bytes/workgroup (compile time only)
; SGPRBlocks: 0
; VGPRBlocks: 0
; NumSGPRsForWavesPerEU: 6
; NumVGPRsForWavesPerEU: 1
; AccumOffset: 4
; Occupancy: 8
; WaveLimiterHint : 0
; COMPUTE_PGM_RSRC2:SCRATCH_EN: 0
; COMPUTE_PGM_RSRC2:USER_SGPR: 2
; COMPUTE_PGM_RSRC2:TRAP_HANDLER: 0
; COMPUTE_PGM_RSRC2:TGID_X_EN: 1
; COMPUTE_PGM_RSRC2:TGID_Y_EN: 0
; COMPUTE_PGM_RSRC2:TGID_Z_EN: 0
; COMPUTE_PGM_RSRC2:TIDIG_COMP_CNT: 0
; COMPUTE_PGM_RSRC3_GFX90A:ACCUM_OFFSET: 0
; COMPUTE_PGM_RSRC3_GFX90A:TG_SPLIT: 0
	.section	.text._ZN7rocprim17ROCPRIM_400000_NS6detail17trampoline_kernelINS0_14default_configENS1_25partition_config_selectorILNS1_17partition_subalgoE1EsNS0_10empty_typeEbEEZZNS1_14partition_implILS5_1ELb0ES3_jN6thrust23THRUST_200600_302600_NS6detail15normal_iteratorINSA_10device_ptrIsEEEEPS6_NSA_18transform_iteratorI7is_evenIsESF_NSA_11use_defaultESK_EENS0_5tupleIJNSA_16discard_iteratorISK_EESO_EEENSM_IJSG_SG_EEES6_PlJS6_EEE10hipError_tPvRmT3_T4_T5_T6_T7_T9_mT8_P12ihipStream_tbDpT10_ENKUlT_T0_E_clISt17integral_constantIbLb0EES1A_IbLb1EEEEDaS16_S17_EUlS16_E_NS1_11comp_targetILNS1_3genE8ELNS1_11target_archE1030ELNS1_3gpuE2ELNS1_3repE0EEENS1_30default_config_static_selectorELNS0_4arch9wavefront6targetE1EEEvT1_,"axG",@progbits,_ZN7rocprim17ROCPRIM_400000_NS6detail17trampoline_kernelINS0_14default_configENS1_25partition_config_selectorILNS1_17partition_subalgoE1EsNS0_10empty_typeEbEEZZNS1_14partition_implILS5_1ELb0ES3_jN6thrust23THRUST_200600_302600_NS6detail15normal_iteratorINSA_10device_ptrIsEEEEPS6_NSA_18transform_iteratorI7is_evenIsESF_NSA_11use_defaultESK_EENS0_5tupleIJNSA_16discard_iteratorISK_EESO_EEENSM_IJSG_SG_EEES6_PlJS6_EEE10hipError_tPvRmT3_T4_T5_T6_T7_T9_mT8_P12ihipStream_tbDpT10_ENKUlT_T0_E_clISt17integral_constantIbLb0EES1A_IbLb1EEEEDaS16_S17_EUlS16_E_NS1_11comp_targetILNS1_3genE8ELNS1_11target_archE1030ELNS1_3gpuE2ELNS1_3repE0EEENS1_30default_config_static_selectorELNS0_4arch9wavefront6targetE1EEEvT1_,comdat
	.protected	_ZN7rocprim17ROCPRIM_400000_NS6detail17trampoline_kernelINS0_14default_configENS1_25partition_config_selectorILNS1_17partition_subalgoE1EsNS0_10empty_typeEbEEZZNS1_14partition_implILS5_1ELb0ES3_jN6thrust23THRUST_200600_302600_NS6detail15normal_iteratorINSA_10device_ptrIsEEEEPS6_NSA_18transform_iteratorI7is_evenIsESF_NSA_11use_defaultESK_EENS0_5tupleIJNSA_16discard_iteratorISK_EESO_EEENSM_IJSG_SG_EEES6_PlJS6_EEE10hipError_tPvRmT3_T4_T5_T6_T7_T9_mT8_P12ihipStream_tbDpT10_ENKUlT_T0_E_clISt17integral_constantIbLb0EES1A_IbLb1EEEEDaS16_S17_EUlS16_E_NS1_11comp_targetILNS1_3genE8ELNS1_11target_archE1030ELNS1_3gpuE2ELNS1_3repE0EEENS1_30default_config_static_selectorELNS0_4arch9wavefront6targetE1EEEvT1_ ; -- Begin function _ZN7rocprim17ROCPRIM_400000_NS6detail17trampoline_kernelINS0_14default_configENS1_25partition_config_selectorILNS1_17partition_subalgoE1EsNS0_10empty_typeEbEEZZNS1_14partition_implILS5_1ELb0ES3_jN6thrust23THRUST_200600_302600_NS6detail15normal_iteratorINSA_10device_ptrIsEEEEPS6_NSA_18transform_iteratorI7is_evenIsESF_NSA_11use_defaultESK_EENS0_5tupleIJNSA_16discard_iteratorISK_EESO_EEENSM_IJSG_SG_EEES6_PlJS6_EEE10hipError_tPvRmT3_T4_T5_T6_T7_T9_mT8_P12ihipStream_tbDpT10_ENKUlT_T0_E_clISt17integral_constantIbLb0EES1A_IbLb1EEEEDaS16_S17_EUlS16_E_NS1_11comp_targetILNS1_3genE8ELNS1_11target_archE1030ELNS1_3gpuE2ELNS1_3repE0EEENS1_30default_config_static_selectorELNS0_4arch9wavefront6targetE1EEEvT1_
	.globl	_ZN7rocprim17ROCPRIM_400000_NS6detail17trampoline_kernelINS0_14default_configENS1_25partition_config_selectorILNS1_17partition_subalgoE1EsNS0_10empty_typeEbEEZZNS1_14partition_implILS5_1ELb0ES3_jN6thrust23THRUST_200600_302600_NS6detail15normal_iteratorINSA_10device_ptrIsEEEEPS6_NSA_18transform_iteratorI7is_evenIsESF_NSA_11use_defaultESK_EENS0_5tupleIJNSA_16discard_iteratorISK_EESO_EEENSM_IJSG_SG_EEES6_PlJS6_EEE10hipError_tPvRmT3_T4_T5_T6_T7_T9_mT8_P12ihipStream_tbDpT10_ENKUlT_T0_E_clISt17integral_constantIbLb0EES1A_IbLb1EEEEDaS16_S17_EUlS16_E_NS1_11comp_targetILNS1_3genE8ELNS1_11target_archE1030ELNS1_3gpuE2ELNS1_3repE0EEENS1_30default_config_static_selectorELNS0_4arch9wavefront6targetE1EEEvT1_
	.p2align	8
	.type	_ZN7rocprim17ROCPRIM_400000_NS6detail17trampoline_kernelINS0_14default_configENS1_25partition_config_selectorILNS1_17partition_subalgoE1EsNS0_10empty_typeEbEEZZNS1_14partition_implILS5_1ELb0ES3_jN6thrust23THRUST_200600_302600_NS6detail15normal_iteratorINSA_10device_ptrIsEEEEPS6_NSA_18transform_iteratorI7is_evenIsESF_NSA_11use_defaultESK_EENS0_5tupleIJNSA_16discard_iteratorISK_EESO_EEENSM_IJSG_SG_EEES6_PlJS6_EEE10hipError_tPvRmT3_T4_T5_T6_T7_T9_mT8_P12ihipStream_tbDpT10_ENKUlT_T0_E_clISt17integral_constantIbLb0EES1A_IbLb1EEEEDaS16_S17_EUlS16_E_NS1_11comp_targetILNS1_3genE8ELNS1_11target_archE1030ELNS1_3gpuE2ELNS1_3repE0EEENS1_30default_config_static_selectorELNS0_4arch9wavefront6targetE1EEEvT1_,@function
_ZN7rocprim17ROCPRIM_400000_NS6detail17trampoline_kernelINS0_14default_configENS1_25partition_config_selectorILNS1_17partition_subalgoE1EsNS0_10empty_typeEbEEZZNS1_14partition_implILS5_1ELb0ES3_jN6thrust23THRUST_200600_302600_NS6detail15normal_iteratorINSA_10device_ptrIsEEEEPS6_NSA_18transform_iteratorI7is_evenIsESF_NSA_11use_defaultESK_EENS0_5tupleIJNSA_16discard_iteratorISK_EESO_EEENSM_IJSG_SG_EEES6_PlJS6_EEE10hipError_tPvRmT3_T4_T5_T6_T7_T9_mT8_P12ihipStream_tbDpT10_ENKUlT_T0_E_clISt17integral_constantIbLb0EES1A_IbLb1EEEEDaS16_S17_EUlS16_E_NS1_11comp_targetILNS1_3genE8ELNS1_11target_archE1030ELNS1_3gpuE2ELNS1_3repE0EEENS1_30default_config_static_selectorELNS0_4arch9wavefront6targetE1EEEvT1_: ; @_ZN7rocprim17ROCPRIM_400000_NS6detail17trampoline_kernelINS0_14default_configENS1_25partition_config_selectorILNS1_17partition_subalgoE1EsNS0_10empty_typeEbEEZZNS1_14partition_implILS5_1ELb0ES3_jN6thrust23THRUST_200600_302600_NS6detail15normal_iteratorINSA_10device_ptrIsEEEEPS6_NSA_18transform_iteratorI7is_evenIsESF_NSA_11use_defaultESK_EENS0_5tupleIJNSA_16discard_iteratorISK_EESO_EEENSM_IJSG_SG_EEES6_PlJS6_EEE10hipError_tPvRmT3_T4_T5_T6_T7_T9_mT8_P12ihipStream_tbDpT10_ENKUlT_T0_E_clISt17integral_constantIbLb0EES1A_IbLb1EEEEDaS16_S17_EUlS16_E_NS1_11comp_targetILNS1_3genE8ELNS1_11target_archE1030ELNS1_3gpuE2ELNS1_3repE0EEENS1_30default_config_static_selectorELNS0_4arch9wavefront6targetE1EEEvT1_
; %bb.0:
	.section	.rodata,"a",@progbits
	.p2align	6, 0x0
	.amdhsa_kernel _ZN7rocprim17ROCPRIM_400000_NS6detail17trampoline_kernelINS0_14default_configENS1_25partition_config_selectorILNS1_17partition_subalgoE1EsNS0_10empty_typeEbEEZZNS1_14partition_implILS5_1ELb0ES3_jN6thrust23THRUST_200600_302600_NS6detail15normal_iteratorINSA_10device_ptrIsEEEEPS6_NSA_18transform_iteratorI7is_evenIsESF_NSA_11use_defaultESK_EENS0_5tupleIJNSA_16discard_iteratorISK_EESO_EEENSM_IJSG_SG_EEES6_PlJS6_EEE10hipError_tPvRmT3_T4_T5_T6_T7_T9_mT8_P12ihipStream_tbDpT10_ENKUlT_T0_E_clISt17integral_constantIbLb0EES1A_IbLb1EEEEDaS16_S17_EUlS16_E_NS1_11comp_targetILNS1_3genE8ELNS1_11target_archE1030ELNS1_3gpuE2ELNS1_3repE0EEENS1_30default_config_static_selectorELNS0_4arch9wavefront6targetE1EEEvT1_
		.amdhsa_group_segment_fixed_size 0
		.amdhsa_private_segment_fixed_size 0
		.amdhsa_kernarg_size 160
		.amdhsa_user_sgpr_count 2
		.amdhsa_user_sgpr_dispatch_ptr 0
		.amdhsa_user_sgpr_queue_ptr 0
		.amdhsa_user_sgpr_kernarg_segment_ptr 1
		.amdhsa_user_sgpr_dispatch_id 0
		.amdhsa_user_sgpr_kernarg_preload_length 0
		.amdhsa_user_sgpr_kernarg_preload_offset 0
		.amdhsa_user_sgpr_private_segment_size 0
		.amdhsa_uses_dynamic_stack 0
		.amdhsa_enable_private_segment 0
		.amdhsa_system_sgpr_workgroup_id_x 1
		.amdhsa_system_sgpr_workgroup_id_y 0
		.amdhsa_system_sgpr_workgroup_id_z 0
		.amdhsa_system_sgpr_workgroup_info 0
		.amdhsa_system_vgpr_workitem_id 0
		.amdhsa_next_free_vgpr 1
		.amdhsa_next_free_sgpr 0
		.amdhsa_accum_offset 4
		.amdhsa_reserve_vcc 0
		.amdhsa_float_round_mode_32 0
		.amdhsa_float_round_mode_16_64 0
		.amdhsa_float_denorm_mode_32 3
		.amdhsa_float_denorm_mode_16_64 3
		.amdhsa_dx10_clamp 1
		.amdhsa_ieee_mode 1
		.amdhsa_fp16_overflow 0
		.amdhsa_tg_split 0
		.amdhsa_exception_fp_ieee_invalid_op 0
		.amdhsa_exception_fp_denorm_src 0
		.amdhsa_exception_fp_ieee_div_zero 0
		.amdhsa_exception_fp_ieee_overflow 0
		.amdhsa_exception_fp_ieee_underflow 0
		.amdhsa_exception_fp_ieee_inexact 0
		.amdhsa_exception_int_div_zero 0
	.end_amdhsa_kernel
	.section	.text._ZN7rocprim17ROCPRIM_400000_NS6detail17trampoline_kernelINS0_14default_configENS1_25partition_config_selectorILNS1_17partition_subalgoE1EsNS0_10empty_typeEbEEZZNS1_14partition_implILS5_1ELb0ES3_jN6thrust23THRUST_200600_302600_NS6detail15normal_iteratorINSA_10device_ptrIsEEEEPS6_NSA_18transform_iteratorI7is_evenIsESF_NSA_11use_defaultESK_EENS0_5tupleIJNSA_16discard_iteratorISK_EESO_EEENSM_IJSG_SG_EEES6_PlJS6_EEE10hipError_tPvRmT3_T4_T5_T6_T7_T9_mT8_P12ihipStream_tbDpT10_ENKUlT_T0_E_clISt17integral_constantIbLb0EES1A_IbLb1EEEEDaS16_S17_EUlS16_E_NS1_11comp_targetILNS1_3genE8ELNS1_11target_archE1030ELNS1_3gpuE2ELNS1_3repE0EEENS1_30default_config_static_selectorELNS0_4arch9wavefront6targetE1EEEvT1_,"axG",@progbits,_ZN7rocprim17ROCPRIM_400000_NS6detail17trampoline_kernelINS0_14default_configENS1_25partition_config_selectorILNS1_17partition_subalgoE1EsNS0_10empty_typeEbEEZZNS1_14partition_implILS5_1ELb0ES3_jN6thrust23THRUST_200600_302600_NS6detail15normal_iteratorINSA_10device_ptrIsEEEEPS6_NSA_18transform_iteratorI7is_evenIsESF_NSA_11use_defaultESK_EENS0_5tupleIJNSA_16discard_iteratorISK_EESO_EEENSM_IJSG_SG_EEES6_PlJS6_EEE10hipError_tPvRmT3_T4_T5_T6_T7_T9_mT8_P12ihipStream_tbDpT10_ENKUlT_T0_E_clISt17integral_constantIbLb0EES1A_IbLb1EEEEDaS16_S17_EUlS16_E_NS1_11comp_targetILNS1_3genE8ELNS1_11target_archE1030ELNS1_3gpuE2ELNS1_3repE0EEENS1_30default_config_static_selectorELNS0_4arch9wavefront6targetE1EEEvT1_,comdat
.Lfunc_end3386:
	.size	_ZN7rocprim17ROCPRIM_400000_NS6detail17trampoline_kernelINS0_14default_configENS1_25partition_config_selectorILNS1_17partition_subalgoE1EsNS0_10empty_typeEbEEZZNS1_14partition_implILS5_1ELb0ES3_jN6thrust23THRUST_200600_302600_NS6detail15normal_iteratorINSA_10device_ptrIsEEEEPS6_NSA_18transform_iteratorI7is_evenIsESF_NSA_11use_defaultESK_EENS0_5tupleIJNSA_16discard_iteratorISK_EESO_EEENSM_IJSG_SG_EEES6_PlJS6_EEE10hipError_tPvRmT3_T4_T5_T6_T7_T9_mT8_P12ihipStream_tbDpT10_ENKUlT_T0_E_clISt17integral_constantIbLb0EES1A_IbLb1EEEEDaS16_S17_EUlS16_E_NS1_11comp_targetILNS1_3genE8ELNS1_11target_archE1030ELNS1_3gpuE2ELNS1_3repE0EEENS1_30default_config_static_selectorELNS0_4arch9wavefront6targetE1EEEvT1_, .Lfunc_end3386-_ZN7rocprim17ROCPRIM_400000_NS6detail17trampoline_kernelINS0_14default_configENS1_25partition_config_selectorILNS1_17partition_subalgoE1EsNS0_10empty_typeEbEEZZNS1_14partition_implILS5_1ELb0ES3_jN6thrust23THRUST_200600_302600_NS6detail15normal_iteratorINSA_10device_ptrIsEEEEPS6_NSA_18transform_iteratorI7is_evenIsESF_NSA_11use_defaultESK_EENS0_5tupleIJNSA_16discard_iteratorISK_EESO_EEENSM_IJSG_SG_EEES6_PlJS6_EEE10hipError_tPvRmT3_T4_T5_T6_T7_T9_mT8_P12ihipStream_tbDpT10_ENKUlT_T0_E_clISt17integral_constantIbLb0EES1A_IbLb1EEEEDaS16_S17_EUlS16_E_NS1_11comp_targetILNS1_3genE8ELNS1_11target_archE1030ELNS1_3gpuE2ELNS1_3repE0EEENS1_30default_config_static_selectorELNS0_4arch9wavefront6targetE1EEEvT1_
                                        ; -- End function
	.section	.AMDGPU.csdata,"",@progbits
; Kernel info:
; codeLenInByte = 0
; NumSgprs: 6
; NumVgprs: 0
; NumAgprs: 0
; TotalNumVgprs: 0
; ScratchSize: 0
; MemoryBound: 0
; FloatMode: 240
; IeeeMode: 1
; LDSByteSize: 0 bytes/workgroup (compile time only)
; SGPRBlocks: 0
; VGPRBlocks: 0
; NumSGPRsForWavesPerEU: 6
; NumVGPRsForWavesPerEU: 1
; AccumOffset: 4
; Occupancy: 8
; WaveLimiterHint : 0
; COMPUTE_PGM_RSRC2:SCRATCH_EN: 0
; COMPUTE_PGM_RSRC2:USER_SGPR: 2
; COMPUTE_PGM_RSRC2:TRAP_HANDLER: 0
; COMPUTE_PGM_RSRC2:TGID_X_EN: 1
; COMPUTE_PGM_RSRC2:TGID_Y_EN: 0
; COMPUTE_PGM_RSRC2:TGID_Z_EN: 0
; COMPUTE_PGM_RSRC2:TIDIG_COMP_CNT: 0
; COMPUTE_PGM_RSRC3_GFX90A:ACCUM_OFFSET: 0
; COMPUTE_PGM_RSRC3_GFX90A:TG_SPLIT: 0
	.section	.text._ZN7rocprim17ROCPRIM_400000_NS6detail17trampoline_kernelINS0_14default_configENS1_25partition_config_selectorILNS1_17partition_subalgoE1EsNS0_10empty_typeEbEEZZNS1_14partition_implILS5_1ELb0ES3_jN6thrust23THRUST_200600_302600_NS6detail15normal_iteratorINSA_10device_ptrIsEEEEPS6_NSA_18transform_iteratorI7is_evenIsESF_NSA_11use_defaultESK_EENS0_5tupleIJSF_NSA_16discard_iteratorISK_EEEEENSM_IJSG_SG_EEES6_PlJS6_EEE10hipError_tPvRmT3_T4_T5_T6_T7_T9_mT8_P12ihipStream_tbDpT10_ENKUlT_T0_E_clISt17integral_constantIbLb0EES1B_EEDaS16_S17_EUlS16_E_NS1_11comp_targetILNS1_3genE0ELNS1_11target_archE4294967295ELNS1_3gpuE0ELNS1_3repE0EEENS1_30default_config_static_selectorELNS0_4arch9wavefront6targetE1EEEvT1_,"axG",@progbits,_ZN7rocprim17ROCPRIM_400000_NS6detail17trampoline_kernelINS0_14default_configENS1_25partition_config_selectorILNS1_17partition_subalgoE1EsNS0_10empty_typeEbEEZZNS1_14partition_implILS5_1ELb0ES3_jN6thrust23THRUST_200600_302600_NS6detail15normal_iteratorINSA_10device_ptrIsEEEEPS6_NSA_18transform_iteratorI7is_evenIsESF_NSA_11use_defaultESK_EENS0_5tupleIJSF_NSA_16discard_iteratorISK_EEEEENSM_IJSG_SG_EEES6_PlJS6_EEE10hipError_tPvRmT3_T4_T5_T6_T7_T9_mT8_P12ihipStream_tbDpT10_ENKUlT_T0_E_clISt17integral_constantIbLb0EES1B_EEDaS16_S17_EUlS16_E_NS1_11comp_targetILNS1_3genE0ELNS1_11target_archE4294967295ELNS1_3gpuE0ELNS1_3repE0EEENS1_30default_config_static_selectorELNS0_4arch9wavefront6targetE1EEEvT1_,comdat
	.protected	_ZN7rocprim17ROCPRIM_400000_NS6detail17trampoline_kernelINS0_14default_configENS1_25partition_config_selectorILNS1_17partition_subalgoE1EsNS0_10empty_typeEbEEZZNS1_14partition_implILS5_1ELb0ES3_jN6thrust23THRUST_200600_302600_NS6detail15normal_iteratorINSA_10device_ptrIsEEEEPS6_NSA_18transform_iteratorI7is_evenIsESF_NSA_11use_defaultESK_EENS0_5tupleIJSF_NSA_16discard_iteratorISK_EEEEENSM_IJSG_SG_EEES6_PlJS6_EEE10hipError_tPvRmT3_T4_T5_T6_T7_T9_mT8_P12ihipStream_tbDpT10_ENKUlT_T0_E_clISt17integral_constantIbLb0EES1B_EEDaS16_S17_EUlS16_E_NS1_11comp_targetILNS1_3genE0ELNS1_11target_archE4294967295ELNS1_3gpuE0ELNS1_3repE0EEENS1_30default_config_static_selectorELNS0_4arch9wavefront6targetE1EEEvT1_ ; -- Begin function _ZN7rocprim17ROCPRIM_400000_NS6detail17trampoline_kernelINS0_14default_configENS1_25partition_config_selectorILNS1_17partition_subalgoE1EsNS0_10empty_typeEbEEZZNS1_14partition_implILS5_1ELb0ES3_jN6thrust23THRUST_200600_302600_NS6detail15normal_iteratorINSA_10device_ptrIsEEEEPS6_NSA_18transform_iteratorI7is_evenIsESF_NSA_11use_defaultESK_EENS0_5tupleIJSF_NSA_16discard_iteratorISK_EEEEENSM_IJSG_SG_EEES6_PlJS6_EEE10hipError_tPvRmT3_T4_T5_T6_T7_T9_mT8_P12ihipStream_tbDpT10_ENKUlT_T0_E_clISt17integral_constantIbLb0EES1B_EEDaS16_S17_EUlS16_E_NS1_11comp_targetILNS1_3genE0ELNS1_11target_archE4294967295ELNS1_3gpuE0ELNS1_3repE0EEENS1_30default_config_static_selectorELNS0_4arch9wavefront6targetE1EEEvT1_
	.globl	_ZN7rocprim17ROCPRIM_400000_NS6detail17trampoline_kernelINS0_14default_configENS1_25partition_config_selectorILNS1_17partition_subalgoE1EsNS0_10empty_typeEbEEZZNS1_14partition_implILS5_1ELb0ES3_jN6thrust23THRUST_200600_302600_NS6detail15normal_iteratorINSA_10device_ptrIsEEEEPS6_NSA_18transform_iteratorI7is_evenIsESF_NSA_11use_defaultESK_EENS0_5tupleIJSF_NSA_16discard_iteratorISK_EEEEENSM_IJSG_SG_EEES6_PlJS6_EEE10hipError_tPvRmT3_T4_T5_T6_T7_T9_mT8_P12ihipStream_tbDpT10_ENKUlT_T0_E_clISt17integral_constantIbLb0EES1B_EEDaS16_S17_EUlS16_E_NS1_11comp_targetILNS1_3genE0ELNS1_11target_archE4294967295ELNS1_3gpuE0ELNS1_3repE0EEENS1_30default_config_static_selectorELNS0_4arch9wavefront6targetE1EEEvT1_
	.p2align	8
	.type	_ZN7rocprim17ROCPRIM_400000_NS6detail17trampoline_kernelINS0_14default_configENS1_25partition_config_selectorILNS1_17partition_subalgoE1EsNS0_10empty_typeEbEEZZNS1_14partition_implILS5_1ELb0ES3_jN6thrust23THRUST_200600_302600_NS6detail15normal_iteratorINSA_10device_ptrIsEEEEPS6_NSA_18transform_iteratorI7is_evenIsESF_NSA_11use_defaultESK_EENS0_5tupleIJSF_NSA_16discard_iteratorISK_EEEEENSM_IJSG_SG_EEES6_PlJS6_EEE10hipError_tPvRmT3_T4_T5_T6_T7_T9_mT8_P12ihipStream_tbDpT10_ENKUlT_T0_E_clISt17integral_constantIbLb0EES1B_EEDaS16_S17_EUlS16_E_NS1_11comp_targetILNS1_3genE0ELNS1_11target_archE4294967295ELNS1_3gpuE0ELNS1_3repE0EEENS1_30default_config_static_selectorELNS0_4arch9wavefront6targetE1EEEvT1_,@function
_ZN7rocprim17ROCPRIM_400000_NS6detail17trampoline_kernelINS0_14default_configENS1_25partition_config_selectorILNS1_17partition_subalgoE1EsNS0_10empty_typeEbEEZZNS1_14partition_implILS5_1ELb0ES3_jN6thrust23THRUST_200600_302600_NS6detail15normal_iteratorINSA_10device_ptrIsEEEEPS6_NSA_18transform_iteratorI7is_evenIsESF_NSA_11use_defaultESK_EENS0_5tupleIJSF_NSA_16discard_iteratorISK_EEEEENSM_IJSG_SG_EEES6_PlJS6_EEE10hipError_tPvRmT3_T4_T5_T6_T7_T9_mT8_P12ihipStream_tbDpT10_ENKUlT_T0_E_clISt17integral_constantIbLb0EES1B_EEDaS16_S17_EUlS16_E_NS1_11comp_targetILNS1_3genE0ELNS1_11target_archE4294967295ELNS1_3gpuE0ELNS1_3repE0EEENS1_30default_config_static_selectorELNS0_4arch9wavefront6targetE1EEEvT1_: ; @_ZN7rocprim17ROCPRIM_400000_NS6detail17trampoline_kernelINS0_14default_configENS1_25partition_config_selectorILNS1_17partition_subalgoE1EsNS0_10empty_typeEbEEZZNS1_14partition_implILS5_1ELb0ES3_jN6thrust23THRUST_200600_302600_NS6detail15normal_iteratorINSA_10device_ptrIsEEEEPS6_NSA_18transform_iteratorI7is_evenIsESF_NSA_11use_defaultESK_EENS0_5tupleIJSF_NSA_16discard_iteratorISK_EEEEENSM_IJSG_SG_EEES6_PlJS6_EEE10hipError_tPvRmT3_T4_T5_T6_T7_T9_mT8_P12ihipStream_tbDpT10_ENKUlT_T0_E_clISt17integral_constantIbLb0EES1B_EEDaS16_S17_EUlS16_E_NS1_11comp_targetILNS1_3genE0ELNS1_11target_archE4294967295ELNS1_3gpuE0ELNS1_3repE0EEENS1_30default_config_static_selectorELNS0_4arch9wavefront6targetE1EEEvT1_
; %bb.0:
	.section	.rodata,"a",@progbits
	.p2align	6, 0x0
	.amdhsa_kernel _ZN7rocprim17ROCPRIM_400000_NS6detail17trampoline_kernelINS0_14default_configENS1_25partition_config_selectorILNS1_17partition_subalgoE1EsNS0_10empty_typeEbEEZZNS1_14partition_implILS5_1ELb0ES3_jN6thrust23THRUST_200600_302600_NS6detail15normal_iteratorINSA_10device_ptrIsEEEEPS6_NSA_18transform_iteratorI7is_evenIsESF_NSA_11use_defaultESK_EENS0_5tupleIJSF_NSA_16discard_iteratorISK_EEEEENSM_IJSG_SG_EEES6_PlJS6_EEE10hipError_tPvRmT3_T4_T5_T6_T7_T9_mT8_P12ihipStream_tbDpT10_ENKUlT_T0_E_clISt17integral_constantIbLb0EES1B_EEDaS16_S17_EUlS16_E_NS1_11comp_targetILNS1_3genE0ELNS1_11target_archE4294967295ELNS1_3gpuE0ELNS1_3repE0EEENS1_30default_config_static_selectorELNS0_4arch9wavefront6targetE1EEEvT1_
		.amdhsa_group_segment_fixed_size 0
		.amdhsa_private_segment_fixed_size 0
		.amdhsa_kernarg_size 136
		.amdhsa_user_sgpr_count 2
		.amdhsa_user_sgpr_dispatch_ptr 0
		.amdhsa_user_sgpr_queue_ptr 0
		.amdhsa_user_sgpr_kernarg_segment_ptr 1
		.amdhsa_user_sgpr_dispatch_id 0
		.amdhsa_user_sgpr_kernarg_preload_length 0
		.amdhsa_user_sgpr_kernarg_preload_offset 0
		.amdhsa_user_sgpr_private_segment_size 0
		.amdhsa_uses_dynamic_stack 0
		.amdhsa_enable_private_segment 0
		.amdhsa_system_sgpr_workgroup_id_x 1
		.amdhsa_system_sgpr_workgroup_id_y 0
		.amdhsa_system_sgpr_workgroup_id_z 0
		.amdhsa_system_sgpr_workgroup_info 0
		.amdhsa_system_vgpr_workitem_id 0
		.amdhsa_next_free_vgpr 1
		.amdhsa_next_free_sgpr 0
		.amdhsa_accum_offset 4
		.amdhsa_reserve_vcc 0
		.amdhsa_float_round_mode_32 0
		.amdhsa_float_round_mode_16_64 0
		.amdhsa_float_denorm_mode_32 3
		.amdhsa_float_denorm_mode_16_64 3
		.amdhsa_dx10_clamp 1
		.amdhsa_ieee_mode 1
		.amdhsa_fp16_overflow 0
		.amdhsa_tg_split 0
		.amdhsa_exception_fp_ieee_invalid_op 0
		.amdhsa_exception_fp_denorm_src 0
		.amdhsa_exception_fp_ieee_div_zero 0
		.amdhsa_exception_fp_ieee_overflow 0
		.amdhsa_exception_fp_ieee_underflow 0
		.amdhsa_exception_fp_ieee_inexact 0
		.amdhsa_exception_int_div_zero 0
	.end_amdhsa_kernel
	.section	.text._ZN7rocprim17ROCPRIM_400000_NS6detail17trampoline_kernelINS0_14default_configENS1_25partition_config_selectorILNS1_17partition_subalgoE1EsNS0_10empty_typeEbEEZZNS1_14partition_implILS5_1ELb0ES3_jN6thrust23THRUST_200600_302600_NS6detail15normal_iteratorINSA_10device_ptrIsEEEEPS6_NSA_18transform_iteratorI7is_evenIsESF_NSA_11use_defaultESK_EENS0_5tupleIJSF_NSA_16discard_iteratorISK_EEEEENSM_IJSG_SG_EEES6_PlJS6_EEE10hipError_tPvRmT3_T4_T5_T6_T7_T9_mT8_P12ihipStream_tbDpT10_ENKUlT_T0_E_clISt17integral_constantIbLb0EES1B_EEDaS16_S17_EUlS16_E_NS1_11comp_targetILNS1_3genE0ELNS1_11target_archE4294967295ELNS1_3gpuE0ELNS1_3repE0EEENS1_30default_config_static_selectorELNS0_4arch9wavefront6targetE1EEEvT1_,"axG",@progbits,_ZN7rocprim17ROCPRIM_400000_NS6detail17trampoline_kernelINS0_14default_configENS1_25partition_config_selectorILNS1_17partition_subalgoE1EsNS0_10empty_typeEbEEZZNS1_14partition_implILS5_1ELb0ES3_jN6thrust23THRUST_200600_302600_NS6detail15normal_iteratorINSA_10device_ptrIsEEEEPS6_NSA_18transform_iteratorI7is_evenIsESF_NSA_11use_defaultESK_EENS0_5tupleIJSF_NSA_16discard_iteratorISK_EEEEENSM_IJSG_SG_EEES6_PlJS6_EEE10hipError_tPvRmT3_T4_T5_T6_T7_T9_mT8_P12ihipStream_tbDpT10_ENKUlT_T0_E_clISt17integral_constantIbLb0EES1B_EEDaS16_S17_EUlS16_E_NS1_11comp_targetILNS1_3genE0ELNS1_11target_archE4294967295ELNS1_3gpuE0ELNS1_3repE0EEENS1_30default_config_static_selectorELNS0_4arch9wavefront6targetE1EEEvT1_,comdat
.Lfunc_end3387:
	.size	_ZN7rocprim17ROCPRIM_400000_NS6detail17trampoline_kernelINS0_14default_configENS1_25partition_config_selectorILNS1_17partition_subalgoE1EsNS0_10empty_typeEbEEZZNS1_14partition_implILS5_1ELb0ES3_jN6thrust23THRUST_200600_302600_NS6detail15normal_iteratorINSA_10device_ptrIsEEEEPS6_NSA_18transform_iteratorI7is_evenIsESF_NSA_11use_defaultESK_EENS0_5tupleIJSF_NSA_16discard_iteratorISK_EEEEENSM_IJSG_SG_EEES6_PlJS6_EEE10hipError_tPvRmT3_T4_T5_T6_T7_T9_mT8_P12ihipStream_tbDpT10_ENKUlT_T0_E_clISt17integral_constantIbLb0EES1B_EEDaS16_S17_EUlS16_E_NS1_11comp_targetILNS1_3genE0ELNS1_11target_archE4294967295ELNS1_3gpuE0ELNS1_3repE0EEENS1_30default_config_static_selectorELNS0_4arch9wavefront6targetE1EEEvT1_, .Lfunc_end3387-_ZN7rocprim17ROCPRIM_400000_NS6detail17trampoline_kernelINS0_14default_configENS1_25partition_config_selectorILNS1_17partition_subalgoE1EsNS0_10empty_typeEbEEZZNS1_14partition_implILS5_1ELb0ES3_jN6thrust23THRUST_200600_302600_NS6detail15normal_iteratorINSA_10device_ptrIsEEEEPS6_NSA_18transform_iteratorI7is_evenIsESF_NSA_11use_defaultESK_EENS0_5tupleIJSF_NSA_16discard_iteratorISK_EEEEENSM_IJSG_SG_EEES6_PlJS6_EEE10hipError_tPvRmT3_T4_T5_T6_T7_T9_mT8_P12ihipStream_tbDpT10_ENKUlT_T0_E_clISt17integral_constantIbLb0EES1B_EEDaS16_S17_EUlS16_E_NS1_11comp_targetILNS1_3genE0ELNS1_11target_archE4294967295ELNS1_3gpuE0ELNS1_3repE0EEENS1_30default_config_static_selectorELNS0_4arch9wavefront6targetE1EEEvT1_
                                        ; -- End function
	.section	.AMDGPU.csdata,"",@progbits
; Kernel info:
; codeLenInByte = 0
; NumSgprs: 6
; NumVgprs: 0
; NumAgprs: 0
; TotalNumVgprs: 0
; ScratchSize: 0
; MemoryBound: 0
; FloatMode: 240
; IeeeMode: 1
; LDSByteSize: 0 bytes/workgroup (compile time only)
; SGPRBlocks: 0
; VGPRBlocks: 0
; NumSGPRsForWavesPerEU: 6
; NumVGPRsForWavesPerEU: 1
; AccumOffset: 4
; Occupancy: 8
; WaveLimiterHint : 0
; COMPUTE_PGM_RSRC2:SCRATCH_EN: 0
; COMPUTE_PGM_RSRC2:USER_SGPR: 2
; COMPUTE_PGM_RSRC2:TRAP_HANDLER: 0
; COMPUTE_PGM_RSRC2:TGID_X_EN: 1
; COMPUTE_PGM_RSRC2:TGID_Y_EN: 0
; COMPUTE_PGM_RSRC2:TGID_Z_EN: 0
; COMPUTE_PGM_RSRC2:TIDIG_COMP_CNT: 0
; COMPUTE_PGM_RSRC3_GFX90A:ACCUM_OFFSET: 0
; COMPUTE_PGM_RSRC3_GFX90A:TG_SPLIT: 0
	.section	.text._ZN7rocprim17ROCPRIM_400000_NS6detail17trampoline_kernelINS0_14default_configENS1_25partition_config_selectorILNS1_17partition_subalgoE1EsNS0_10empty_typeEbEEZZNS1_14partition_implILS5_1ELb0ES3_jN6thrust23THRUST_200600_302600_NS6detail15normal_iteratorINSA_10device_ptrIsEEEEPS6_NSA_18transform_iteratorI7is_evenIsESF_NSA_11use_defaultESK_EENS0_5tupleIJSF_NSA_16discard_iteratorISK_EEEEENSM_IJSG_SG_EEES6_PlJS6_EEE10hipError_tPvRmT3_T4_T5_T6_T7_T9_mT8_P12ihipStream_tbDpT10_ENKUlT_T0_E_clISt17integral_constantIbLb0EES1B_EEDaS16_S17_EUlS16_E_NS1_11comp_targetILNS1_3genE5ELNS1_11target_archE942ELNS1_3gpuE9ELNS1_3repE0EEENS1_30default_config_static_selectorELNS0_4arch9wavefront6targetE1EEEvT1_,"axG",@progbits,_ZN7rocprim17ROCPRIM_400000_NS6detail17trampoline_kernelINS0_14default_configENS1_25partition_config_selectorILNS1_17partition_subalgoE1EsNS0_10empty_typeEbEEZZNS1_14partition_implILS5_1ELb0ES3_jN6thrust23THRUST_200600_302600_NS6detail15normal_iteratorINSA_10device_ptrIsEEEEPS6_NSA_18transform_iteratorI7is_evenIsESF_NSA_11use_defaultESK_EENS0_5tupleIJSF_NSA_16discard_iteratorISK_EEEEENSM_IJSG_SG_EEES6_PlJS6_EEE10hipError_tPvRmT3_T4_T5_T6_T7_T9_mT8_P12ihipStream_tbDpT10_ENKUlT_T0_E_clISt17integral_constantIbLb0EES1B_EEDaS16_S17_EUlS16_E_NS1_11comp_targetILNS1_3genE5ELNS1_11target_archE942ELNS1_3gpuE9ELNS1_3repE0EEENS1_30default_config_static_selectorELNS0_4arch9wavefront6targetE1EEEvT1_,comdat
	.protected	_ZN7rocprim17ROCPRIM_400000_NS6detail17trampoline_kernelINS0_14default_configENS1_25partition_config_selectorILNS1_17partition_subalgoE1EsNS0_10empty_typeEbEEZZNS1_14partition_implILS5_1ELb0ES3_jN6thrust23THRUST_200600_302600_NS6detail15normal_iteratorINSA_10device_ptrIsEEEEPS6_NSA_18transform_iteratorI7is_evenIsESF_NSA_11use_defaultESK_EENS0_5tupleIJSF_NSA_16discard_iteratorISK_EEEEENSM_IJSG_SG_EEES6_PlJS6_EEE10hipError_tPvRmT3_T4_T5_T6_T7_T9_mT8_P12ihipStream_tbDpT10_ENKUlT_T0_E_clISt17integral_constantIbLb0EES1B_EEDaS16_S17_EUlS16_E_NS1_11comp_targetILNS1_3genE5ELNS1_11target_archE942ELNS1_3gpuE9ELNS1_3repE0EEENS1_30default_config_static_selectorELNS0_4arch9wavefront6targetE1EEEvT1_ ; -- Begin function _ZN7rocprim17ROCPRIM_400000_NS6detail17trampoline_kernelINS0_14default_configENS1_25partition_config_selectorILNS1_17partition_subalgoE1EsNS0_10empty_typeEbEEZZNS1_14partition_implILS5_1ELb0ES3_jN6thrust23THRUST_200600_302600_NS6detail15normal_iteratorINSA_10device_ptrIsEEEEPS6_NSA_18transform_iteratorI7is_evenIsESF_NSA_11use_defaultESK_EENS0_5tupleIJSF_NSA_16discard_iteratorISK_EEEEENSM_IJSG_SG_EEES6_PlJS6_EEE10hipError_tPvRmT3_T4_T5_T6_T7_T9_mT8_P12ihipStream_tbDpT10_ENKUlT_T0_E_clISt17integral_constantIbLb0EES1B_EEDaS16_S17_EUlS16_E_NS1_11comp_targetILNS1_3genE5ELNS1_11target_archE942ELNS1_3gpuE9ELNS1_3repE0EEENS1_30default_config_static_selectorELNS0_4arch9wavefront6targetE1EEEvT1_
	.globl	_ZN7rocprim17ROCPRIM_400000_NS6detail17trampoline_kernelINS0_14default_configENS1_25partition_config_selectorILNS1_17partition_subalgoE1EsNS0_10empty_typeEbEEZZNS1_14partition_implILS5_1ELb0ES3_jN6thrust23THRUST_200600_302600_NS6detail15normal_iteratorINSA_10device_ptrIsEEEEPS6_NSA_18transform_iteratorI7is_evenIsESF_NSA_11use_defaultESK_EENS0_5tupleIJSF_NSA_16discard_iteratorISK_EEEEENSM_IJSG_SG_EEES6_PlJS6_EEE10hipError_tPvRmT3_T4_T5_T6_T7_T9_mT8_P12ihipStream_tbDpT10_ENKUlT_T0_E_clISt17integral_constantIbLb0EES1B_EEDaS16_S17_EUlS16_E_NS1_11comp_targetILNS1_3genE5ELNS1_11target_archE942ELNS1_3gpuE9ELNS1_3repE0EEENS1_30default_config_static_selectorELNS0_4arch9wavefront6targetE1EEEvT1_
	.p2align	8
	.type	_ZN7rocprim17ROCPRIM_400000_NS6detail17trampoline_kernelINS0_14default_configENS1_25partition_config_selectorILNS1_17partition_subalgoE1EsNS0_10empty_typeEbEEZZNS1_14partition_implILS5_1ELb0ES3_jN6thrust23THRUST_200600_302600_NS6detail15normal_iteratorINSA_10device_ptrIsEEEEPS6_NSA_18transform_iteratorI7is_evenIsESF_NSA_11use_defaultESK_EENS0_5tupleIJSF_NSA_16discard_iteratorISK_EEEEENSM_IJSG_SG_EEES6_PlJS6_EEE10hipError_tPvRmT3_T4_T5_T6_T7_T9_mT8_P12ihipStream_tbDpT10_ENKUlT_T0_E_clISt17integral_constantIbLb0EES1B_EEDaS16_S17_EUlS16_E_NS1_11comp_targetILNS1_3genE5ELNS1_11target_archE942ELNS1_3gpuE9ELNS1_3repE0EEENS1_30default_config_static_selectorELNS0_4arch9wavefront6targetE1EEEvT1_,@function
_ZN7rocprim17ROCPRIM_400000_NS6detail17trampoline_kernelINS0_14default_configENS1_25partition_config_selectorILNS1_17partition_subalgoE1EsNS0_10empty_typeEbEEZZNS1_14partition_implILS5_1ELb0ES3_jN6thrust23THRUST_200600_302600_NS6detail15normal_iteratorINSA_10device_ptrIsEEEEPS6_NSA_18transform_iteratorI7is_evenIsESF_NSA_11use_defaultESK_EENS0_5tupleIJSF_NSA_16discard_iteratorISK_EEEEENSM_IJSG_SG_EEES6_PlJS6_EEE10hipError_tPvRmT3_T4_T5_T6_T7_T9_mT8_P12ihipStream_tbDpT10_ENKUlT_T0_E_clISt17integral_constantIbLb0EES1B_EEDaS16_S17_EUlS16_E_NS1_11comp_targetILNS1_3genE5ELNS1_11target_archE942ELNS1_3gpuE9ELNS1_3repE0EEENS1_30default_config_static_selectorELNS0_4arch9wavefront6targetE1EEEvT1_: ; @_ZN7rocprim17ROCPRIM_400000_NS6detail17trampoline_kernelINS0_14default_configENS1_25partition_config_selectorILNS1_17partition_subalgoE1EsNS0_10empty_typeEbEEZZNS1_14partition_implILS5_1ELb0ES3_jN6thrust23THRUST_200600_302600_NS6detail15normal_iteratorINSA_10device_ptrIsEEEEPS6_NSA_18transform_iteratorI7is_evenIsESF_NSA_11use_defaultESK_EENS0_5tupleIJSF_NSA_16discard_iteratorISK_EEEEENSM_IJSG_SG_EEES6_PlJS6_EEE10hipError_tPvRmT3_T4_T5_T6_T7_T9_mT8_P12ihipStream_tbDpT10_ENKUlT_T0_E_clISt17integral_constantIbLb0EES1B_EEDaS16_S17_EUlS16_E_NS1_11comp_targetILNS1_3genE5ELNS1_11target_archE942ELNS1_3gpuE9ELNS1_3repE0EEENS1_30default_config_static_selectorELNS0_4arch9wavefront6targetE1EEEvT1_
; %bb.0:
	s_load_dwordx2 s[4:5], s[0:1], 0x68
	s_load_dwordx4 s[12:15], s[0:1], 0x8
	s_load_dwordx2 s[6:7], s[0:1], 0x20
	s_load_dwordx4 s[20:23], s[0:1], 0x58
	s_load_dword s3, s[0:1], 0x80
	s_waitcnt lgkmcnt(0)
	v_mov_b32_e32 v3, s5
	s_lshl_b64 s[8:9], s[14:15], 1
	s_add_u32 s12, s12, s8
	s_addc_u32 s13, s13, s9
	s_add_i32 s16, s3, -1
	s_mulk_i32 s3, 0x3800
	s_add_i32 s5, s3, s14
	s_sub_i32 s33, s4, s5
	s_addk_i32 s33, 0x3800
	v_mov_b32_e32 v2, s4
	s_add_u32 s4, s14, s3
	s_addc_u32 s5, s15, 0
	s_cmp_eq_u32 s2, s16
	s_load_dwordx2 s[22:23], s[22:23], 0x0
	s_cselect_b64 s[24:25], -1, 0
	s_cmp_lg_u32 s2, s16
	s_mul_i32 s10, s2, 0x3800
	s_mov_b32 s11, 0
	v_cmp_lt_u64_e32 vcc, s[4:5], v[2:3]
	s_cselect_b64 s[4:5], -1, 0
	s_or_b64 s[26:27], s[4:5], vcc
	s_lshl_b64 s[10:11], s[10:11], 1
	s_add_u32 s12, s12, s10
	s_addc_u32 s13, s13, s11
	s_mov_b64 s[4:5], -1
	s_and_b64 vcc, exec, s[26:27]
	v_lshlrev_b32_e32 v14, 1, v0
	s_cbranch_vccz .LBB3388_2
; %bb.1:
	v_mov_b32_e32 v15, 0
	v_lshl_add_u64 v[2:3], s[12:13], 0, v[14:15]
	v_add_co_u32_e32 v4, vcc, 0x1000, v2
	s_mov_b64 s[4:5], 0
	s_nop 0
	v_addc_co_u32_e32 v5, vcc, 0, v3, vcc
	flat_load_ushort v1, v[2:3]
	flat_load_ushort v8, v[2:3] offset:1024
	flat_load_ushort v9, v[2:3] offset:2048
	;; [unrolled: 1-line block ×3, first 2 shown]
	flat_load_ushort v11, v[4:5]
	flat_load_ushort v12, v[4:5] offset:1024
	flat_load_ushort v13, v[4:5] offset:2048
	;; [unrolled: 1-line block ×3, first 2 shown]
	v_add_co_u32_e32 v4, vcc, 0x2000, v2
	s_nop 1
	v_addc_co_u32_e32 v5, vcc, 0, v3, vcc
	v_add_co_u32_e32 v6, vcc, 0x3000, v2
	s_nop 1
	v_addc_co_u32_e32 v7, vcc, 0, v3, vcc
	flat_load_ushort v16, v[4:5]
	flat_load_ushort v17, v[4:5] offset:1024
	flat_load_ushort v18, v[4:5] offset:2048
	;; [unrolled: 1-line block ×3, first 2 shown]
	flat_load_ushort v20, v[6:7]
	flat_load_ushort v21, v[6:7] offset:1024
	flat_load_ushort v22, v[6:7] offset:2048
	;; [unrolled: 1-line block ×3, first 2 shown]
	v_add_co_u32_e32 v4, vcc, 0x4000, v2
	s_nop 1
	v_addc_co_u32_e32 v5, vcc, 0, v3, vcc
	v_add_co_u32_e32 v6, vcc, 0x5000, v2
	s_nop 1
	v_addc_co_u32_e32 v7, vcc, 0, v3, vcc
	v_add_co_u32_e32 v2, vcc, 0x6000, v2
	flat_load_ushort v24, v[4:5]
	flat_load_ushort v25, v[4:5] offset:1024
	flat_load_ushort v26, v[4:5] offset:2048
	;; [unrolled: 1-line block ×3, first 2 shown]
	flat_load_ushort v28, v[6:7]
	flat_load_ushort v29, v[6:7] offset:1024
	flat_load_ushort v30, v[6:7] offset:2048
	;; [unrolled: 1-line block ×3, first 2 shown]
	v_addc_co_u32_e32 v3, vcc, 0, v3, vcc
	flat_load_ushort v4, v[2:3]
	flat_load_ushort v5, v[2:3] offset:1024
	flat_load_ushort v6, v[2:3] offset:2048
	;; [unrolled: 1-line block ×3, first 2 shown]
	s_waitcnt vmcnt(0) lgkmcnt(0)
	ds_write_b16 v14, v1
	ds_write_b16 v14, v8 offset:1024
	ds_write_b16 v14, v9 offset:2048
	;; [unrolled: 1-line block ×27, first 2 shown]
	s_waitcnt lgkmcnt(0)
	s_barrier
.LBB3388_2:
	s_andn2_b64 vcc, exec, s[4:5]
	v_cmp_gt_u32_e64 s[4:5], s33, v0
	s_cbranch_vccnz .LBB3388_60
; %bb.3:
                                        ; implicit-def: $vgpr1
	s_and_saveexec_b64 s[14:15], s[4:5]
	s_cbranch_execz .LBB3388_5
; %bb.4:
	v_mov_b32_e32 v15, 0
	v_lshl_add_u64 v[2:3], s[12:13], 0, v[14:15]
	flat_load_ushort v1, v[2:3]
.LBB3388_5:
	s_or_b64 exec, exec, s[14:15]
	v_or_b32_e32 v2, 0x200, v0
	v_cmp_gt_u32_e32 vcc, s33, v2
                                        ; implicit-def: $vgpr2
	s_and_saveexec_b64 s[4:5], vcc
	s_cbranch_execz .LBB3388_7
; %bb.6:
	v_mov_b32_e32 v15, 0
	v_lshl_add_u64 v[2:3], s[12:13], 0, v[14:15]
	flat_load_ushort v2, v[2:3] offset:1024
.LBB3388_7:
	s_or_b64 exec, exec, s[4:5]
	v_or_b32_e32 v3, 0x400, v0
	v_cmp_gt_u32_e32 vcc, s33, v3
                                        ; implicit-def: $vgpr3
	s_and_saveexec_b64 s[4:5], vcc
	s_cbranch_execz .LBB3388_9
; %bb.8:
	v_mov_b32_e32 v15, 0
	v_lshl_add_u64 v[4:5], s[12:13], 0, v[14:15]
	flat_load_ushort v3, v[4:5] offset:2048
.LBB3388_9:
	s_or_b64 exec, exec, s[4:5]
	v_or_b32_e32 v4, 0x600, v0
	v_cmp_gt_u32_e32 vcc, s33, v4
                                        ; implicit-def: $vgpr4
	s_and_saveexec_b64 s[4:5], vcc
	s_cbranch_execz .LBB3388_11
; %bb.10:
	v_mov_b32_e32 v15, 0
	v_lshl_add_u64 v[4:5], s[12:13], 0, v[14:15]
	flat_load_ushort v4, v[4:5] offset:3072
.LBB3388_11:
	s_or_b64 exec, exec, s[4:5]
	v_or_b32_e32 v6, 0x800, v0
	v_cmp_gt_u32_e32 vcc, s33, v6
                                        ; implicit-def: $vgpr5
	s_and_saveexec_b64 s[4:5], vcc
	s_cbranch_execz .LBB3388_13
; %bb.12:
	v_lshlrev_b32_e32 v6, 1, v6
	v_mov_b32_e32 v7, 0
	v_lshl_add_u64 v[6:7], s[12:13], 0, v[6:7]
	flat_load_ushort v5, v[6:7]
.LBB3388_13:
	s_or_b64 exec, exec, s[4:5]
	v_or_b32_e32 v7, 0xa00, v0
	v_cmp_gt_u32_e32 vcc, s33, v7
                                        ; implicit-def: $vgpr6
	s_and_saveexec_b64 s[4:5], vcc
	s_cbranch_execz .LBB3388_15
; %bb.14:
	v_lshlrev_b32_e32 v6, 1, v7
	v_mov_b32_e32 v7, 0
	v_lshl_add_u64 v[6:7], s[12:13], 0, v[6:7]
	flat_load_ushort v6, v[6:7]
.LBB3388_15:
	s_or_b64 exec, exec, s[4:5]
	v_or_b32_e32 v8, 0xc00, v0
	v_cmp_gt_u32_e32 vcc, s33, v8
                                        ; implicit-def: $vgpr7
	s_and_saveexec_b64 s[4:5], vcc
	s_cbranch_execz .LBB3388_17
; %bb.16:
	v_lshlrev_b32_e32 v8, 1, v8
	v_mov_b32_e32 v9, 0
	v_lshl_add_u64 v[8:9], s[12:13], 0, v[8:9]
	flat_load_ushort v7, v[8:9]
.LBB3388_17:
	s_or_b64 exec, exec, s[4:5]
	v_or_b32_e32 v9, 0xe00, v0
	v_cmp_gt_u32_e32 vcc, s33, v9
                                        ; implicit-def: $vgpr8
	s_and_saveexec_b64 s[4:5], vcc
	s_cbranch_execz .LBB3388_19
; %bb.18:
	v_lshlrev_b32_e32 v8, 1, v9
	v_mov_b32_e32 v9, 0
	v_lshl_add_u64 v[8:9], s[12:13], 0, v[8:9]
	flat_load_ushort v8, v[8:9]
.LBB3388_19:
	s_or_b64 exec, exec, s[4:5]
	v_or_b32_e32 v10, 0x1000, v0
	v_cmp_gt_u32_e32 vcc, s33, v10
                                        ; implicit-def: $vgpr9
	s_and_saveexec_b64 s[4:5], vcc
	s_cbranch_execz .LBB3388_21
; %bb.20:
	v_lshlrev_b32_e32 v10, 1, v10
	v_mov_b32_e32 v11, 0
	v_lshl_add_u64 v[10:11], s[12:13], 0, v[10:11]
	flat_load_ushort v9, v[10:11]
.LBB3388_21:
	s_or_b64 exec, exec, s[4:5]
	v_or_b32_e32 v11, 0x1200, v0
	v_cmp_gt_u32_e32 vcc, s33, v11
                                        ; implicit-def: $vgpr10
	s_and_saveexec_b64 s[4:5], vcc
	s_cbranch_execz .LBB3388_23
; %bb.22:
	v_lshlrev_b32_e32 v10, 1, v11
	v_mov_b32_e32 v11, 0
	v_lshl_add_u64 v[10:11], s[12:13], 0, v[10:11]
	flat_load_ushort v10, v[10:11]
.LBB3388_23:
	s_or_b64 exec, exec, s[4:5]
	v_or_b32_e32 v12, 0x1400, v0
	v_cmp_gt_u32_e32 vcc, s33, v12
                                        ; implicit-def: $vgpr11
	s_and_saveexec_b64 s[4:5], vcc
	s_cbranch_execz .LBB3388_25
; %bb.24:
	v_lshlrev_b32_e32 v12, 1, v12
	v_mov_b32_e32 v13, 0
	v_lshl_add_u64 v[12:13], s[12:13], 0, v[12:13]
	flat_load_ushort v11, v[12:13]
.LBB3388_25:
	s_or_b64 exec, exec, s[4:5]
	v_or_b32_e32 v13, 0x1600, v0
	v_cmp_gt_u32_e32 vcc, s33, v13
                                        ; implicit-def: $vgpr12
	s_and_saveexec_b64 s[4:5], vcc
	s_cbranch_execz .LBB3388_27
; %bb.26:
	v_lshlrev_b32_e32 v12, 1, v13
	v_mov_b32_e32 v13, 0
	v_lshl_add_u64 v[12:13], s[12:13], 0, v[12:13]
	flat_load_ushort v12, v[12:13]
.LBB3388_27:
	s_or_b64 exec, exec, s[4:5]
	v_or_b32_e32 v15, 0x1800, v0
	v_cmp_gt_u32_e32 vcc, s33, v15
                                        ; implicit-def: $vgpr13
	s_and_saveexec_b64 s[4:5], vcc
	s_cbranch_execz .LBB3388_29
; %bb.28:
	v_lshlrev_b32_e32 v16, 1, v15
	v_mov_b32_e32 v17, 0
	v_lshl_add_u64 v[16:17], s[12:13], 0, v[16:17]
	flat_load_ushort v13, v[16:17]
.LBB3388_29:
	s_or_b64 exec, exec, s[4:5]
	v_or_b32_e32 v16, 0x1a00, v0
	v_cmp_gt_u32_e32 vcc, s33, v16
                                        ; implicit-def: $vgpr15
	s_and_saveexec_b64 s[4:5], vcc
	s_cbranch_execz .LBB3388_31
; %bb.30:
	v_lshlrev_b32_e32 v16, 1, v16
	v_mov_b32_e32 v17, 0
	v_lshl_add_u64 v[16:17], s[12:13], 0, v[16:17]
	flat_load_ushort v15, v[16:17]
.LBB3388_31:
	s_or_b64 exec, exec, s[4:5]
	v_or_b32_e32 v17, 0x1c00, v0
	v_cmp_gt_u32_e32 vcc, s33, v17
                                        ; implicit-def: $vgpr16
	s_and_saveexec_b64 s[4:5], vcc
	s_cbranch_execz .LBB3388_33
; %bb.32:
	v_lshlrev_b32_e32 v16, 1, v17
	v_mov_b32_e32 v17, 0
	v_lshl_add_u64 v[16:17], s[12:13], 0, v[16:17]
	flat_load_ushort v16, v[16:17]
.LBB3388_33:
	s_or_b64 exec, exec, s[4:5]
	v_or_b32_e32 v18, 0x1e00, v0
	v_cmp_gt_u32_e32 vcc, s33, v18
                                        ; implicit-def: $vgpr17
	s_and_saveexec_b64 s[4:5], vcc
	s_cbranch_execz .LBB3388_35
; %bb.34:
	v_lshlrev_b32_e32 v18, 1, v18
	v_mov_b32_e32 v19, 0
	v_lshl_add_u64 v[18:19], s[12:13], 0, v[18:19]
	flat_load_ushort v17, v[18:19]
.LBB3388_35:
	s_or_b64 exec, exec, s[4:5]
	v_or_b32_e32 v19, 0x2000, v0
	v_cmp_gt_u32_e32 vcc, s33, v19
                                        ; implicit-def: $vgpr18
	s_and_saveexec_b64 s[4:5], vcc
	s_cbranch_execz .LBB3388_37
; %bb.36:
	v_lshlrev_b32_e32 v18, 1, v19
	v_mov_b32_e32 v19, 0
	v_lshl_add_u64 v[18:19], s[12:13], 0, v[18:19]
	flat_load_ushort v18, v[18:19]
.LBB3388_37:
	s_or_b64 exec, exec, s[4:5]
	v_or_b32_e32 v20, 0x2200, v0
	v_cmp_gt_u32_e32 vcc, s33, v20
                                        ; implicit-def: $vgpr19
	s_and_saveexec_b64 s[4:5], vcc
	s_cbranch_execz .LBB3388_39
; %bb.38:
	v_lshlrev_b32_e32 v20, 1, v20
	v_mov_b32_e32 v21, 0
	v_lshl_add_u64 v[20:21], s[12:13], 0, v[20:21]
	flat_load_ushort v19, v[20:21]
.LBB3388_39:
	s_or_b64 exec, exec, s[4:5]
	v_or_b32_e32 v21, 0x2400, v0
	v_cmp_gt_u32_e32 vcc, s33, v21
                                        ; implicit-def: $vgpr20
	s_and_saveexec_b64 s[4:5], vcc
	s_cbranch_execz .LBB3388_41
; %bb.40:
	v_lshlrev_b32_e32 v20, 1, v21
	v_mov_b32_e32 v21, 0
	v_lshl_add_u64 v[20:21], s[12:13], 0, v[20:21]
	flat_load_ushort v20, v[20:21]
.LBB3388_41:
	s_or_b64 exec, exec, s[4:5]
	v_or_b32_e32 v22, 0x2600, v0
	v_cmp_gt_u32_e32 vcc, s33, v22
                                        ; implicit-def: $vgpr21
	s_and_saveexec_b64 s[4:5], vcc
	s_cbranch_execz .LBB3388_43
; %bb.42:
	v_lshlrev_b32_e32 v22, 1, v22
	v_mov_b32_e32 v23, 0
	v_lshl_add_u64 v[22:23], s[12:13], 0, v[22:23]
	flat_load_ushort v21, v[22:23]
.LBB3388_43:
	s_or_b64 exec, exec, s[4:5]
	v_or_b32_e32 v23, 0x2800, v0
	v_cmp_gt_u32_e32 vcc, s33, v23
                                        ; implicit-def: $vgpr22
	s_and_saveexec_b64 s[4:5], vcc
	s_cbranch_execz .LBB3388_45
; %bb.44:
	v_lshlrev_b32_e32 v22, 1, v23
	v_mov_b32_e32 v23, 0
	v_lshl_add_u64 v[22:23], s[12:13], 0, v[22:23]
	flat_load_ushort v22, v[22:23]
.LBB3388_45:
	s_or_b64 exec, exec, s[4:5]
	v_or_b32_e32 v24, 0x2a00, v0
	v_cmp_gt_u32_e32 vcc, s33, v24
                                        ; implicit-def: $vgpr23
	s_and_saveexec_b64 s[4:5], vcc
	s_cbranch_execz .LBB3388_47
; %bb.46:
	v_lshlrev_b32_e32 v24, 1, v24
	v_mov_b32_e32 v25, 0
	v_lshl_add_u64 v[24:25], s[12:13], 0, v[24:25]
	flat_load_ushort v23, v[24:25]
.LBB3388_47:
	s_or_b64 exec, exec, s[4:5]
	v_or_b32_e32 v25, 0x2c00, v0
	v_cmp_gt_u32_e32 vcc, s33, v25
                                        ; implicit-def: $vgpr24
	s_and_saveexec_b64 s[4:5], vcc
	s_cbranch_execz .LBB3388_49
; %bb.48:
	v_lshlrev_b32_e32 v24, 1, v25
	v_mov_b32_e32 v25, 0
	v_lshl_add_u64 v[24:25], s[12:13], 0, v[24:25]
	flat_load_ushort v24, v[24:25]
.LBB3388_49:
	s_or_b64 exec, exec, s[4:5]
	v_or_b32_e32 v26, 0x2e00, v0
	v_cmp_gt_u32_e32 vcc, s33, v26
                                        ; implicit-def: $vgpr25
	s_and_saveexec_b64 s[4:5], vcc
	s_cbranch_execz .LBB3388_51
; %bb.50:
	v_lshlrev_b32_e32 v26, 1, v26
	v_mov_b32_e32 v27, 0
	v_lshl_add_u64 v[26:27], s[12:13], 0, v[26:27]
	flat_load_ushort v25, v[26:27]
.LBB3388_51:
	s_or_b64 exec, exec, s[4:5]
	v_or_b32_e32 v27, 0x3000, v0
	v_cmp_gt_u32_e32 vcc, s33, v27
                                        ; implicit-def: $vgpr26
	s_and_saveexec_b64 s[4:5], vcc
	s_cbranch_execz .LBB3388_53
; %bb.52:
	v_lshlrev_b32_e32 v26, 1, v27
	v_mov_b32_e32 v27, 0
	v_lshl_add_u64 v[26:27], s[12:13], 0, v[26:27]
	flat_load_ushort v26, v[26:27]
.LBB3388_53:
	s_or_b64 exec, exec, s[4:5]
	v_or_b32_e32 v28, 0x3200, v0
	v_cmp_gt_u32_e32 vcc, s33, v28
                                        ; implicit-def: $vgpr27
	s_and_saveexec_b64 s[4:5], vcc
	s_cbranch_execz .LBB3388_55
; %bb.54:
	v_lshlrev_b32_e32 v28, 1, v28
	v_mov_b32_e32 v29, 0
	v_lshl_add_u64 v[28:29], s[12:13], 0, v[28:29]
	flat_load_ushort v27, v[28:29]
.LBB3388_55:
	s_or_b64 exec, exec, s[4:5]
	v_or_b32_e32 v29, 0x3400, v0
	v_cmp_gt_u32_e32 vcc, s33, v29
                                        ; implicit-def: $vgpr28
	s_and_saveexec_b64 s[4:5], vcc
	s_cbranch_execz .LBB3388_57
; %bb.56:
	v_lshlrev_b32_e32 v28, 1, v29
	v_mov_b32_e32 v29, 0
	v_lshl_add_u64 v[28:29], s[12:13], 0, v[28:29]
	flat_load_ushort v28, v[28:29]
.LBB3388_57:
	s_or_b64 exec, exec, s[4:5]
	v_or_b32_e32 v30, 0x3600, v0
	v_cmp_gt_u32_e32 vcc, s33, v30
                                        ; implicit-def: $vgpr29
	s_and_saveexec_b64 s[4:5], vcc
	s_cbranch_execz .LBB3388_59
; %bb.58:
	v_lshlrev_b32_e32 v30, 1, v30
	v_mov_b32_e32 v31, 0
	v_lshl_add_u64 v[30:31], s[12:13], 0, v[30:31]
	flat_load_ushort v29, v[30:31]
.LBB3388_59:
	s_or_b64 exec, exec, s[4:5]
	s_waitcnt vmcnt(0) lgkmcnt(0)
	ds_write_b16 v14, v1
	ds_write_b16 v14, v2 offset:1024
	ds_write_b16 v14, v3 offset:2048
	;; [unrolled: 1-line block ×27, first 2 shown]
	s_waitcnt lgkmcnt(0)
	s_barrier
.LBB3388_60:
	v_mul_u32_u24_e32 v1, 28, v0
	v_lshlrev_b32_e32 v6, 1, v1
	s_waitcnt lgkmcnt(0)
	ds_read_b64 v[16:17], v6 offset:48
	ds_read2_b64 v[2:5], v6 offset0:4 offset1:5
	ds_read2_b64 v[10:13], v6 offset1:1
	ds_read2_b64 v[6:9], v6 offset0:2 offset1:3
	s_add_u32 s3, s6, s8
	s_addc_u32 s5, s7, s9
	s_add_u32 s4, s3, s10
	s_addc_u32 s5, s5, s11
	s_mov_b64 s[6:7], -1
	s_and_b64 vcc, exec, s[26:27]
	s_waitcnt lgkmcnt(0)
	s_barrier
	s_cbranch_vccz .LBB3388_62
; %bb.61:
	v_mov_b32_e32 v15, 0
	v_lshl_add_u64 v[18:19], s[4:5], 0, v[14:15]
	s_movk_i32 s3, 0x1000
	v_add_co_u32_e32 v20, vcc, s3, v18
	s_movk_i32 s3, 0x2000
	s_nop 0
	v_addc_co_u32_e32 v21, vcc, 0, v19, vcc
	v_add_co_u32_e32 v22, vcc, s3, v18
	s_movk_i32 s6, 0x4000
	s_nop 0
	v_addc_co_u32_e32 v23, vcc, 0, v19, vcc
	global_load_ubyte v15, v14, s[4:5]
	global_load_ubyte v24, v14, s[4:5] offset:1024
	global_load_ubyte v25, v14, s[4:5] offset:2048
	;; [unrolled: 1-line block ×3, first 2 shown]
	global_load_ubyte v27, v[20:21], off offset:1024
	global_load_ubyte v28, v[20:21], off offset:2048
	;; [unrolled: 1-line block ×3, first 2 shown]
	global_load_ubyte v30, v[22:23], off offset:-4096
	global_load_ubyte v31, v[22:23], off
	global_load_ubyte v32, v[22:23], off offset:1024
	v_add_co_u32_e32 v20, vcc, s6, v18
	s_movk_i32 s3, 0x3000
	s_nop 0
	v_addc_co_u32_e32 v21, vcc, 0, v19, vcc
	global_load_ubyte v33, v[22:23], off offset:2048
	global_load_ubyte v34, v[22:23], off offset:3072
	global_load_ubyte v35, v[20:21], off offset:-4096
	v_add_co_u32_e32 v22, vcc, s3, v18
	s_movk_i32 s6, 0x6000
	s_nop 0
	v_addc_co_u32_e32 v23, vcc, 0, v19, vcc
	global_load_ubyte v36, v[22:23], off offset:1024
	global_load_ubyte v37, v[22:23], off offset:2048
	;; [unrolled: 1-line block ×3, first 2 shown]
	global_load_ubyte v39, v[20:21], off
	v_add_co_u32_e32 v22, vcc, s6, v18
	s_movk_i32 s3, 0x5000
	s_nop 0
	v_addc_co_u32_e32 v23, vcc, 0, v19, vcc
	v_add_co_u32_e32 v18, vcc, s3, v18
	global_load_ubyte v40, v[20:21], off offset:1024
	global_load_ubyte v41, v[20:21], off offset:2048
	;; [unrolled: 1-line block ×3, first 2 shown]
	global_load_ubyte v43, v[22:23], off offset:-4096
	v_addc_co_u32_e32 v19, vcc, 0, v19, vcc
	global_load_ubyte v20, v[18:19], off offset:1024
	global_load_ubyte v21, v[18:19], off offset:2048
	;; [unrolled: 1-line block ×3, first 2 shown]
	global_load_ubyte v45, v[22:23], off
	global_load_ubyte v46, v[22:23], off offset:1024
	global_load_ubyte v47, v[22:23], off offset:2048
	global_load_ubyte v48, v[22:23], off offset:3072
	s_mov_b64 s[6:7], 0
	s_waitcnt vmcnt(23)
	v_xor_b32_e32 v23, -1, v27
	v_xor_b32_e32 v15, -1, v15
	;; [unrolled: 1-line block ×5, first 2 shown]
	v_and_b32_e32 v15, 1, v15
	s_waitcnt vmcnt(22)
	v_xor_b32_e32 v24, -1, v28
	s_waitcnt vmcnt(21)
	v_xor_b32_e32 v25, -1, v29
	;; [unrolled: 2-line block ×12, first 2 shown]
	v_and_b32_e32 v18, 1, v18
	v_and_b32_e32 v19, 1, v19
	;; [unrolled: 1-line block ×4, first 2 shown]
	s_waitcnt vmcnt(10)
	v_xor_b32_e32 v36, -1, v40
	s_waitcnt vmcnt(9)
	v_xor_b32_e32 v37, -1, v41
	;; [unrolled: 2-line block ×11, first 2 shown]
	v_and_b32_e32 v24, 1, v24
	v_and_b32_e32 v25, 1, v25
	;; [unrolled: 1-line block ×23, first 2 shown]
	ds_write_b8 v0, v15
	ds_write_b8 v0, v18 offset:512
	ds_write_b8 v0, v19 offset:1024
	;; [unrolled: 1-line block ×27, first 2 shown]
	s_waitcnt lgkmcnt(0)
	s_barrier
.LBB3388_62:
	s_load_dwordx2 s[28:29], s[0:1], 0x78
	s_andn2_b64 vcc, exec, s[6:7]
	s_cbranch_vccnz .LBB3388_120
; %bb.63:
	v_cmp_gt_u32_e32 vcc, s33, v0
	v_mov_b32_e32 v15, 0
	v_mov_b32_e32 v18, 0
	s_and_saveexec_b64 s[6:7], vcc
	s_cbranch_execz .LBB3388_65
; %bb.64:
	global_load_ubyte v18, v14, s[4:5]
	s_waitcnt vmcnt(0)
	v_xor_b32_e32 v18, -1, v18
	v_and_b32_e32 v18, 1, v18
.LBB3388_65:
	s_or_b64 exec, exec, s[6:7]
	v_or_b32_e32 v19, 0x200, v0
	v_cmp_gt_u32_e32 vcc, s33, v19
	s_and_saveexec_b64 s[6:7], vcc
	s_cbranch_execz .LBB3388_67
; %bb.66:
	global_load_ubyte v15, v14, s[4:5] offset:1024
	s_waitcnt vmcnt(0)
	v_xor_b32_e32 v15, -1, v15
	v_and_b32_e32 v15, 1, v15
.LBB3388_67:
	s_or_b64 exec, exec, s[6:7]
	v_or_b32_e32 v19, 0x400, v0
	v_cmp_gt_u32_e32 vcc, s33, v19
	v_mov_b32_e32 v19, 0
	v_mov_b32_e32 v20, 0
	s_and_saveexec_b64 s[6:7], vcc
	s_cbranch_execz .LBB3388_69
; %bb.68:
	global_load_ubyte v20, v14, s[4:5] offset:2048
	s_waitcnt vmcnt(0)
	v_xor_b32_e32 v20, -1, v20
	v_and_b32_e32 v20, 1, v20
.LBB3388_69:
	s_or_b64 exec, exec, s[6:7]
	v_or_b32_e32 v21, 0x600, v0
	v_cmp_gt_u32_e32 vcc, s33, v21
	s_and_saveexec_b64 s[6:7], vcc
	s_cbranch_execz .LBB3388_71
; %bb.70:
	global_load_ubyte v19, v14, s[4:5] offset:3072
	s_waitcnt vmcnt(0)
	v_xor_b32_e32 v19, -1, v19
	v_and_b32_e32 v19, 1, v19
.LBB3388_71:
	s_or_b64 exec, exec, s[6:7]
	v_or_b32_e32 v23, 0x800, v0
	v_cmp_gt_u32_e32 vcc, s33, v23
	v_mov_b32_e32 v21, 0
	v_mov_b32_e32 v22, 0
	s_and_saveexec_b64 s[6:7], vcc
	s_cbranch_execz .LBB3388_73
; %bb.72:
	v_lshlrev_b32_e32 v22, 1, v23
	global_load_ubyte v22, v22, s[4:5]
	s_waitcnt vmcnt(0)
	v_xor_b32_e32 v22, -1, v22
	v_and_b32_e32 v22, 1, v22
.LBB3388_73:
	s_or_b64 exec, exec, s[6:7]
	v_or_b32_e32 v23, 0xa00, v0
	v_cmp_gt_u32_e32 vcc, s33, v23
	s_and_saveexec_b64 s[6:7], vcc
	s_cbranch_execz .LBB3388_75
; %bb.74:
	v_lshlrev_b32_e32 v21, 1, v23
	global_load_ubyte v21, v21, s[4:5]
	s_waitcnt vmcnt(0)
	v_xor_b32_e32 v21, -1, v21
	v_and_b32_e32 v21, 1, v21
.LBB3388_75:
	s_or_b64 exec, exec, s[6:7]
	v_or_b32_e32 v25, 0xc00, v0
	v_cmp_gt_u32_e32 vcc, s33, v25
	v_mov_b32_e32 v23, 0
	v_mov_b32_e32 v24, 0
	s_and_saveexec_b64 s[6:7], vcc
	s_cbranch_execz .LBB3388_77
; %bb.76:
	v_lshlrev_b32_e32 v24, 1, v25
	global_load_ubyte v24, v24, s[4:5]
	s_waitcnt vmcnt(0)
	v_xor_b32_e32 v24, -1, v24
	v_and_b32_e32 v24, 1, v24
.LBB3388_77:
	s_or_b64 exec, exec, s[6:7]
	v_or_b32_e32 v25, 0xe00, v0
	v_cmp_gt_u32_e32 vcc, s33, v25
	s_and_saveexec_b64 s[6:7], vcc
	s_cbranch_execz .LBB3388_79
; %bb.78:
	v_lshlrev_b32_e32 v23, 1, v25
	global_load_ubyte v23, v23, s[4:5]
	s_waitcnt vmcnt(0)
	v_xor_b32_e32 v23, -1, v23
	v_and_b32_e32 v23, 1, v23
.LBB3388_79:
	;; [unrolled: 26-line block ×12, first 2 shown]
	s_or_b64 exec, exec, s[6:7]
	ds_write_b8 v0, v18
	ds_write_b8 v0, v15 offset:512
	ds_write_b8 v0, v20 offset:1024
	;; [unrolled: 1-line block ×27, first 2 shown]
	s_waitcnt lgkmcnt(0)
	s_barrier
.LBB3388_120:
	s_waitcnt lgkmcnt(0)
	ds_read2_b32 v[26:27], v1 offset1:1
	ds_read2_b32 v[24:25], v1 offset0:2 offset1:3
	ds_read2_b32 v[22:23], v1 offset0:4 offset1:5
	ds_read_b32 v34, v1 offset:24
	s_cmp_lg_u32 s2, 0
	v_lshrrev_b32_e32 v61, 6, v0
	s_waitcnt lgkmcnt(2)
	v_and_b32_e32 v53, 0xff, v24
	v_lshrrev_b32_e32 v41, 24, v26
	v_bfe_u32 v59, v26, 16, 8
	v_add_u32_sdwa v18, v26, v26 dst_sel:DWORD dst_unused:UNUSED_PAD src0_sel:BYTE_1 src1_sel:BYTE_0
	v_and_b32_e32 v56, 0xff, v27
	v_bfe_u32 v57, v27, 8, 8
	v_add3_u32 v18, v18, v59, v41
	v_lshrrev_b32_e32 v40, 24, v27
	v_bfe_u32 v58, v27, 16, 8
	v_add3_u32 v18, v18, v56, v57
	v_bfe_u32 v54, v24, 8, 8
	v_add3_u32 v18, v18, v58, v40
	v_lshrrev_b32_e32 v39, 24, v24
	v_bfe_u32 v55, v24, 16, 8
	v_add3_u32 v18, v18, v53, v54
	v_and_b32_e32 v50, 0xff, v25
	v_bfe_u32 v51, v25, 8, 8
	v_add3_u32 v18, v18, v55, v39
	v_lshrrev_b32_e32 v38, 24, v25
	v_bfe_u32 v52, v25, 16, 8
	v_add3_u32 v18, v18, v50, v51
	s_waitcnt lgkmcnt(1)
	v_and_b32_e32 v47, 0xff, v22
	v_bfe_u32 v48, v22, 8, 8
	v_add3_u32 v18, v18, v52, v38
	v_lshrrev_b32_e32 v37, 24, v22
	v_bfe_u32 v49, v22, 16, 8
	v_add3_u32 v18, v18, v47, v48
	v_and_b32_e32 v44, 0xff, v23
	v_bfe_u32 v45, v23, 8, 8
	v_add3_u32 v18, v18, v49, v37
	v_lshrrev_b32_e32 v36, 24, v23
	v_bfe_u32 v46, v23, 16, 8
	v_add3_u32 v18, v18, v44, v45
	s_waitcnt lgkmcnt(0)
	v_and_b32_e32 v42, 0xff, v34
	v_bfe_u32 v43, v34, 8, 8
	v_add3_u32 v18, v18, v46, v36
	v_lshrrev_b32_e32 v15, 24, v34
	v_bfe_u32 v35, v34, 16, 8
	v_add3_u32 v18, v18, v42, v43
	v_add3_u32 v62, v18, v35, v15
	v_mbcnt_lo_u32_b32 v18, -1, 0
	v_mbcnt_hi_u32_b32 v60, -1, v18
	v_and_b32_e32 v18, 15, v60
	v_cmp_eq_u32_e64 s[14:15], 0, v18
	v_cmp_lt_u32_e64 s[12:13], 1, v18
	v_cmp_lt_u32_e64 s[10:11], 3, v18
	;; [unrolled: 1-line block ×3, first 2 shown]
	v_and_b32_e32 v18, 16, v60
	v_cmp_eq_u32_e64 s[6:7], 0, v18
	v_or_b32_e32 v18, 63, v0
	v_cmp_lt_u32_e64 s[18:19], 31, v60
	v_cmp_eq_u32_e64 s[4:5], v18, v0
	s_barrier
	s_cbranch_scc0 .LBB3388_147
; %bb.121:
	v_mov_b32_dpp v18, v62 row_shr:1 row_mask:0xf bank_mask:0xf
	v_cndmask_b32_e64 v18, v18, 0, s[14:15]
	v_add_u32_e32 v18, v18, v62
	s_nop 1
	v_mov_b32_dpp v19, v18 row_shr:2 row_mask:0xf bank_mask:0xf
	v_cndmask_b32_e64 v19, 0, v19, s[12:13]
	v_add_u32_e32 v18, v18, v19
	s_nop 1
	;; [unrolled: 4-line block ×4, first 2 shown]
	v_mov_b32_dpp v19, v18 row_bcast:15 row_mask:0xf bank_mask:0xf
	v_cndmask_b32_e64 v19, v19, 0, s[6:7]
	v_add_u32_e32 v18, v18, v19
	s_nop 1
	v_mov_b32_dpp v19, v18 row_bcast:31 row_mask:0xf bank_mask:0xf
	v_cndmask_b32_e64 v19, 0, v19, s[18:19]
	v_add_u32_e32 v18, v18, v19
	s_and_saveexec_b64 s[16:17], s[4:5]
	s_cbranch_execz .LBB3388_123
; %bb.122:
	v_lshlrev_b32_e32 v19, 2, v61
	ds_write_b32 v19, v18
.LBB3388_123:
	s_or_b64 exec, exec, s[16:17]
	v_cmp_gt_u32_e32 vcc, 8, v0
	s_waitcnt lgkmcnt(0)
	s_barrier
	s_and_saveexec_b64 s[16:17], vcc
	s_cbranch_execz .LBB3388_125
; %bb.124:
	v_lshlrev_b32_e32 v19, 2, v0
	ds_read_b32 v20, v19
	v_and_b32_e32 v21, 7, v60
	v_cmp_ne_u32_e32 vcc, 0, v21
	s_waitcnt lgkmcnt(0)
	v_mov_b32_dpp v28, v20 row_shr:1 row_mask:0xf bank_mask:0xf
	v_cndmask_b32_e32 v28, 0, v28, vcc
	v_add_u32_e32 v20, v28, v20
	v_cmp_lt_u32_e32 vcc, 1, v21
	s_nop 0
	v_mov_b32_dpp v28, v20 row_shr:2 row_mask:0xf bank_mask:0xf
	v_cndmask_b32_e32 v28, 0, v28, vcc
	v_add_u32_e32 v20, v20, v28
	v_cmp_lt_u32_e32 vcc, 3, v21
	s_nop 0
	v_mov_b32_dpp v28, v20 row_shr:4 row_mask:0xf bank_mask:0xf
	v_cndmask_b32_e32 v21, 0, v28, vcc
	v_add_u32_e32 v20, v20, v21
	ds_write_b32 v19, v20
.LBB3388_125:
	s_or_b64 exec, exec, s[16:17]
	v_cmp_gt_u32_e32 vcc, 64, v0
	v_cmp_lt_u32_e64 s[16:17], 63, v0
	s_waitcnt lgkmcnt(0)
	s_barrier
	s_waitcnt lgkmcnt(0)
                                        ; implicit-def: $vgpr63
	s_and_saveexec_b64 s[30:31], s[16:17]
	s_cbranch_execz .LBB3388_127
; %bb.126:
	v_lshl_add_u32 v19, v61, 2, -4
	ds_read_b32 v63, v19
	s_waitcnt lgkmcnt(0)
	v_add_u32_e32 v18, v63, v18
.LBB3388_127:
	s_or_b64 exec, exec, s[30:31]
	v_add_u32_e32 v19, -1, v60
	v_and_b32_e32 v20, 64, v60
	v_cmp_lt_i32_e64 s[16:17], v19, v20
	s_nop 1
	v_cndmask_b32_e64 v19, v19, v60, s[16:17]
	v_lshlrev_b32_e32 v19, 2, v19
	ds_bpermute_b32 v64, v19, v18
	v_cmp_eq_u32_e64 s[16:17], 0, v60
	s_and_saveexec_b64 s[30:31], vcc
	s_cbranch_execz .LBB3388_146
; %bb.128:
	v_mov_b32_e32 v31, 0
	ds_read_b32 v18, v31 offset:28
	s_and_saveexec_b64 s[34:35], s[16:17]
	s_cbranch_execz .LBB3388_130
; %bb.129:
	s_add_i32 s36, s2, 64
	s_mov_b32 s37, 0
	s_lshl_b64 s[36:37], s[36:37], 3
	s_add_u32 s36, s28, s36
	v_mov_b32_e32 v19, 1
	s_addc_u32 s37, s29, s37
	s_waitcnt lgkmcnt(0)
	global_store_dwordx2 v31, v[18:19], s[36:37] sc1
.LBB3388_130:
	s_or_b64 exec, exec, s[34:35]
	v_xad_u32 v20, v60, -1, s2
	v_add_u32_e32 v30, 64, v20
	v_lshl_add_u64 v[32:33], v[30:31], 3, s[28:29]
	global_load_dwordx2 v[28:29], v[32:33], off sc1
	s_waitcnt vmcnt(0)
	v_cmp_eq_u16_sdwa s[36:37], v29, v31 src0_sel:BYTE_0 src1_sel:DWORD
	s_and_saveexec_b64 s[34:35], s[36:37]
	s_cbranch_execz .LBB3388_134
; %bb.131:
	s_mov_b64 s[36:37], 0
	v_mov_b32_e32 v19, 0
.LBB3388_132:                           ; =>This Inner Loop Header: Depth=1
	global_load_dwordx2 v[28:29], v[32:33], off sc1
	s_waitcnt vmcnt(0)
	v_cmp_ne_u16_sdwa s[38:39], v29, v19 src0_sel:BYTE_0 src1_sel:DWORD
	s_or_b64 s[36:37], s[38:39], s[36:37]
	s_andn2_b64 exec, exec, s[36:37]
	s_cbranch_execnz .LBB3388_132
; %bb.133:
	s_or_b64 exec, exec, s[36:37]
.LBB3388_134:
	s_or_b64 exec, exec, s[34:35]
	v_and_b32_e32 v66, 63, v60
	v_mov_b32_e32 v65, 2
	v_cmp_ne_u32_e32 vcc, 63, v66
	v_cmp_eq_u16_sdwa s[34:35], v29, v65 src0_sel:BYTE_0 src1_sel:DWORD
	v_lshlrev_b64 v[30:31], v60, -1
	v_addc_co_u32_e32 v32, vcc, 0, v60, vcc
	v_and_b32_e32 v19, s35, v31
	v_lshlrev_b32_e32 v67, 2, v32
	v_or_b32_e32 v19, 0x80000000, v19
	ds_bpermute_b32 v32, v67, v28
	v_and_b32_e32 v21, s34, v30
	v_ffbl_b32_e32 v19, v19
	v_add_u32_e32 v19, 32, v19
	v_ffbl_b32_e32 v21, v21
	v_min_u32_e32 v19, v21, v19
	v_cmp_lt_u32_e32 vcc, v66, v19
	v_add_u32_e32 v69, 2, v66
	v_add_u32_e32 v71, 4, v66
	s_waitcnt lgkmcnt(0)
	v_cndmask_b32_e32 v21, 0, v32, vcc
	v_cmp_gt_u32_e32 vcc, 62, v66
	v_add_u32_e32 v21, v21, v28
	v_add_u32_e32 v73, 8, v66
	v_cndmask_b32_e64 v28, 0, 1, vcc
	v_lshlrev_b32_e32 v28, 1, v28
	v_add_lshl_u32 v68, v28, v60, 2
	ds_bpermute_b32 v28, v68, v21
	v_cmp_le_u32_e32 vcc, v69, v19
	v_add_u32_e32 v75, 16, v66
	v_add_u32_e32 v77, 32, v66
	s_waitcnt lgkmcnt(0)
	v_cndmask_b32_e32 v28, 0, v28, vcc
	v_cmp_gt_u32_e32 vcc, 60, v66
	v_add_u32_e32 v21, v21, v28
	s_nop 0
	v_cndmask_b32_e64 v28, 0, 1, vcc
	v_lshlrev_b32_e32 v28, 2, v28
	v_add_lshl_u32 v70, v28, v60, 2
	ds_bpermute_b32 v28, v70, v21
	v_cmp_le_u32_e32 vcc, v71, v19
	s_waitcnt lgkmcnt(0)
	s_nop 0
	v_cndmask_b32_e32 v28, 0, v28, vcc
	v_cmp_gt_u32_e32 vcc, 56, v66
	v_add_u32_e32 v21, v21, v28
	s_nop 0
	v_cndmask_b32_e64 v28, 0, 1, vcc
	v_lshlrev_b32_e32 v28, 3, v28
	v_add_lshl_u32 v72, v28, v60, 2
	ds_bpermute_b32 v28, v72, v21
	v_cmp_le_u32_e32 vcc, v73, v19
	s_waitcnt lgkmcnt(0)
	s_nop 0
	;; [unrolled: 11-line block ×4, first 2 shown]
	v_cndmask_b32_e32 v19, 0, v28, vcc
	v_add_u32_e32 v28, v21, v19
	v_mov_b32_e32 v21, 0
	s_branch .LBB3388_136
.LBB3388_135:                           ;   in Loop: Header=BB3388_136 Depth=1
	s_or_b64 exec, exec, s[34:35]
	v_cmp_eq_u16_sdwa s[34:35], v29, v65 src0_sel:BYTE_0 src1_sel:DWORD
	ds_bpermute_b32 v78, v67, v28
	v_subrev_u32_e32 v20, 64, v20
	v_and_b32_e32 v32, s35, v31
	v_or_b32_e32 v32, 0x80000000, v32
	v_and_b32_e32 v33, s34, v30
	v_ffbl_b32_e32 v32, v32
	v_add_u32_e32 v32, 32, v32
	v_ffbl_b32_e32 v33, v33
	v_min_u32_e32 v32, v33, v32
	v_cmp_lt_u32_e32 vcc, v66, v32
	s_waitcnt lgkmcnt(0)
	s_nop 0
	v_cndmask_b32_e32 v33, 0, v78, vcc
	v_add_u32_e32 v28, v33, v28
	ds_bpermute_b32 v33, v68, v28
	v_cmp_le_u32_e32 vcc, v69, v32
	s_waitcnt lgkmcnt(0)
	s_nop 0
	v_cndmask_b32_e32 v33, 0, v33, vcc
	v_add_u32_e32 v28, v28, v33
	ds_bpermute_b32 v33, v70, v28
	v_cmp_le_u32_e32 vcc, v71, v32
	;; [unrolled: 6-line block ×5, first 2 shown]
	s_waitcnt lgkmcnt(0)
	s_nop 0
	v_cndmask_b32_e32 v32, 0, v33, vcc
	v_add3_u32 v28, v32, v19, v28
.LBB3388_136:                           ; =>This Loop Header: Depth=1
                                        ;     Child Loop BB3388_139 Depth 2
	v_cmp_ne_u16_sdwa s[34:35], v29, v65 src0_sel:BYTE_0 src1_sel:DWORD
	s_nop 1
	v_cndmask_b32_e64 v19, 0, 1, s[34:35]
	;;#ASMSTART
	;;#ASMEND
	s_nop 0
	v_cmp_ne_u32_e32 vcc, 0, v19
	s_cmp_lg_u64 vcc, exec
	v_mov_b32_e32 v19, v28
	s_cbranch_scc1 .LBB3388_141
; %bb.137:                              ;   in Loop: Header=BB3388_136 Depth=1
	v_lshl_add_u64 v[32:33], v[20:21], 3, s[28:29]
	global_load_dwordx2 v[28:29], v[32:33], off sc1
	s_waitcnt vmcnt(0)
	v_cmp_eq_u16_sdwa s[36:37], v29, v21 src0_sel:BYTE_0 src1_sel:DWORD
	s_and_saveexec_b64 s[34:35], s[36:37]
	s_cbranch_execz .LBB3388_135
; %bb.138:                              ;   in Loop: Header=BB3388_136 Depth=1
	s_mov_b64 s[36:37], 0
.LBB3388_139:                           ;   Parent Loop BB3388_136 Depth=1
                                        ; =>  This Inner Loop Header: Depth=2
	global_load_dwordx2 v[28:29], v[32:33], off sc1
	s_waitcnt vmcnt(0)
	v_cmp_ne_u16_sdwa s[38:39], v29, v21 src0_sel:BYTE_0 src1_sel:DWORD
	s_or_b64 s[36:37], s[38:39], s[36:37]
	s_andn2_b64 exec, exec, s[36:37]
	s_cbranch_execnz .LBB3388_139
; %bb.140:                              ;   in Loop: Header=BB3388_136 Depth=1
	s_or_b64 exec, exec, s[36:37]
	s_branch .LBB3388_135
.LBB3388_141:                           ;   in Loop: Header=BB3388_136 Depth=1
                                        ; implicit-def: $vgpr28
                                        ; implicit-def: $vgpr29
	s_cbranch_execz .LBB3388_136
; %bb.142:
	s_and_saveexec_b64 s[34:35], s[16:17]
	s_cbranch_execz .LBB3388_144
; %bb.143:
	s_add_i32 s2, s2, 64
	s_mov_b32 s3, 0
	s_lshl_b64 s[2:3], s[2:3], 3
	s_add_u32 s2, s28, s2
	v_add_u32_e32 v20, v19, v18
	v_mov_b32_e32 v21, 2
	s_addc_u32 s3, s29, s3
	v_mov_b32_e32 v28, 0
	global_store_dwordx2 v28, v[20:21], s[2:3] sc1
	ds_write_b64 v28, v[18:19] offset:28672
.LBB3388_144:
	s_or_b64 exec, exec, s[34:35]
	v_cmp_eq_u32_e32 vcc, 0, v0
	s_and_b64 exec, exec, vcc
	s_cbranch_execz .LBB3388_146
; %bb.145:
	v_mov_b32_e32 v18, 0
	ds_write_b32 v18, v19 offset:28
.LBB3388_146:
	s_or_b64 exec, exec, s[30:31]
	v_mov_b32_e32 v18, 0
	s_waitcnt lgkmcnt(0)
	s_barrier
	ds_read_b32 v21, v18 offset:28
	s_waitcnt lgkmcnt(0)
	s_barrier
	ds_read_b64 v[18:19], v18 offset:28672
	v_cndmask_b32_e64 v20, v64, v63, s[16:17]
	v_cmp_ne_u32_e32 vcc, 0, v0
	s_nop 1
	v_cndmask_b32_e32 v20, 0, v20, vcc
	v_add_u32_e32 v32, v21, v20
	s_waitcnt lgkmcnt(0)
	v_mov_b32_e32 v20, v19
	s_load_dwordx2 s[2:3], s[0:1], 0x30
	s_branch .LBB3388_157
.LBB3388_147:
                                        ; implicit-def: $vgpr20
                                        ; implicit-def: $vgpr18
                                        ; implicit-def: $vgpr32
	s_load_dwordx2 s[2:3], s[0:1], 0x30
	s_cbranch_execz .LBB3388_157
; %bb.148:
	v_mov_b32_dpp v18, v62 row_shr:1 row_mask:0xf bank_mask:0xf
	v_cndmask_b32_e64 v18, v18, 0, s[14:15]
	v_add_u32_e32 v18, v18, v62
	s_nop 1
	v_mov_b32_dpp v19, v18 row_shr:2 row_mask:0xf bank_mask:0xf
	v_cndmask_b32_e64 v19, 0, v19, s[12:13]
	v_add_u32_e32 v18, v18, v19
	s_nop 1
	;; [unrolled: 4-line block ×4, first 2 shown]
	v_mov_b32_dpp v19, v18 row_bcast:15 row_mask:0xf bank_mask:0xf
	v_cndmask_b32_e64 v19, v19, 0, s[6:7]
	v_add_u32_e32 v18, v18, v19
	s_nop 1
	v_mov_b32_dpp v19, v18 row_bcast:31 row_mask:0xf bank_mask:0xf
	v_cndmask_b32_e64 v19, 0, v19, s[18:19]
	v_add_u32_e32 v18, v18, v19
	s_and_saveexec_b64 s[0:1], s[4:5]
	s_cbranch_execz .LBB3388_150
; %bb.149:
	v_lshlrev_b32_e32 v19, 2, v61
	ds_write_b32 v19, v18
.LBB3388_150:
	s_or_b64 exec, exec, s[0:1]
	v_cmp_gt_u32_e32 vcc, 8, v0
	s_waitcnt lgkmcnt(0)
	s_barrier
	s_and_saveexec_b64 s[0:1], vcc
	s_cbranch_execz .LBB3388_152
; %bb.151:
	v_lshlrev_b32_e32 v19, 2, v0
	ds_read_b32 v20, v19
	v_and_b32_e32 v21, 7, v60
	v_cmp_ne_u32_e32 vcc, 0, v21
	s_waitcnt lgkmcnt(0)
	v_mov_b32_dpp v28, v20 row_shr:1 row_mask:0xf bank_mask:0xf
	v_cndmask_b32_e32 v28, 0, v28, vcc
	v_add_u32_e32 v20, v28, v20
	v_cmp_lt_u32_e32 vcc, 1, v21
	s_nop 0
	v_mov_b32_dpp v28, v20 row_shr:2 row_mask:0xf bank_mask:0xf
	v_cndmask_b32_e32 v28, 0, v28, vcc
	v_add_u32_e32 v20, v20, v28
	v_cmp_lt_u32_e32 vcc, 3, v21
	s_nop 0
	v_mov_b32_dpp v28, v20 row_shr:4 row_mask:0xf bank_mask:0xf
	v_cndmask_b32_e32 v21, 0, v28, vcc
	v_add_u32_e32 v20, v20, v21
	ds_write_b32 v19, v20
.LBB3388_152:
	s_or_b64 exec, exec, s[0:1]
	v_cmp_lt_u32_e32 vcc, 63, v0
	v_mov_b32_e32 v19, 0
	v_mov_b32_e32 v20, 0
	s_waitcnt lgkmcnt(0)
	s_barrier
	s_and_saveexec_b64 s[0:1], vcc
	s_cbranch_execz .LBB3388_154
; %bb.153:
	v_lshl_add_u32 v20, v61, 2, -4
	ds_read_b32 v20, v20
.LBB3388_154:
	s_or_b64 exec, exec, s[0:1]
	v_add_u32_e32 v21, -1, v60
	v_and_b32_e32 v28, 64, v60
	v_cmp_lt_i32_e32 vcc, v21, v28
	s_waitcnt lgkmcnt(0)
	v_add_u32_e32 v18, v20, v18
	v_cndmask_b32_e32 v21, v21, v60, vcc
	v_lshlrev_b32_e32 v21, 2, v21
	ds_bpermute_b32 v21, v21, v18
	ds_read_b32 v18, v19 offset:28
	v_cmp_eq_u32_e32 vcc, 0, v0
	s_and_saveexec_b64 s[0:1], vcc
	s_cbranch_execz .LBB3388_156
; %bb.155:
	v_mov_b32_e32 v28, 0
	v_mov_b32_e32 v19, 2
	s_waitcnt lgkmcnt(0)
	global_store_dwordx2 v28, v[18:19], s[28:29] offset:512 sc1
.LBB3388_156:
	s_or_b64 exec, exec, s[0:1]
	v_cmp_eq_u32_e64 s[0:1], 0, v60
	s_waitcnt lgkmcnt(0)
	s_barrier
	v_cndmask_b32_e64 v19, v21, v20, s[0:1]
	v_mov_b32_e32 v20, 0
	v_cndmask_b32_e64 v32, v19, 0, vcc
.LBB3388_157:
	v_add_u32_sdwa v60, v32, v26 dst_sel:DWORD dst_unused:UNUSED_PAD src0_sel:DWORD src1_sel:BYTE_0
	v_add_u32_e32 v1, v18, v1
	v_sub_u32_e32 v32, v32, v20
	v_and_b32_e32 v69, 1, v26
	v_sub_u32_e32 v68, v1, v32
	v_cmp_eq_u32_e32 vcc, 1, v69
	v_lshrrev_b32_e32 v33, 8, v26
	v_add_u32_sdwa v61, v60, v26 dst_sel:DWORD dst_unused:UNUSED_PAD src0_sel:DWORD src1_sel:BYTE_1
	v_cndmask_b32_e32 v32, v68, v32, vcc
	v_lshlrev_b32_e32 v32, 1, v32
	ds_write_b16 v32, v10
	v_sub_u32_e32 v32, v60, v20
	v_sub_u32_e32 v60, v1, v32
	v_and_b32_e32 v33, 1, v33
	v_add_u32_e32 v60, 1, v60
	v_cmp_eq_u32_e32 vcc, 1, v33
	v_mov_b32_e32 v33, 1
	v_and_b32_sdwa v26, v33, v26 dst_sel:DWORD dst_unused:UNUSED_PAD src0_sel:DWORD src1_sel:WORD_1
	v_cndmask_b32_e32 v32, v60, v32, vcc
	v_lshlrev_b32_e32 v32, 1, v32
	ds_write_b16_d16_hi v32, v10
	v_sub_u32_e32 v10, v61, v20
	v_sub_u32_e32 v32, v1, v10
	v_add_u32_e32 v32, 2, v32
	v_cmp_eq_u32_e32 vcc, 1, v26
	v_add_u32_e32 v59, v61, v59
	v_add_u32_e32 v62, v59, v41
	v_cndmask_b32_e32 v10, v32, v10, vcc
	v_lshlrev_b32_e32 v10, 1, v10
	ds_write_b16 v10, v11
	v_sub_u32_e32 v10, v59, v20
	v_sub_u32_e32 v26, v1, v10
	v_and_b32_e32 v32, 1, v41
	v_add_u32_e32 v26, 3, v26
	v_cmp_eq_u32_e32 vcc, 1, v32
	v_add_u32_e32 v56, v62, v56
	v_lshrrev_b32_e32 v31, 8, v27
	v_cndmask_b32_e32 v10, v26, v10, vcc
	v_lshlrev_b32_e32 v10, 1, v10
	ds_write_b16_d16_hi v10, v11
	v_sub_u32_e32 v10, v62, v20
	v_sub_u32_e32 v11, v1, v10
	v_and_b32_e32 v26, 1, v27
	v_add_u32_e32 v11, 4, v11
	v_cmp_eq_u32_e32 vcc, 1, v26
	v_and_b32_e32 v26, 1, v31
	v_add_u32_e32 v57, v56, v57
	v_cndmask_b32_e32 v10, v11, v10, vcc
	v_lshlrev_b32_e32 v10, 1, v10
	ds_write_b16 v10, v12
	v_sub_u32_e32 v10, v56, v20
	v_sub_u32_e32 v11, v1, v10
	v_add_u32_e32 v11, 5, v11
	v_cmp_eq_u32_e32 vcc, 1, v26
	v_add_u32_e32 v58, v57, v58
	v_add_u32_e32 v63, v58, v40
	v_cndmask_b32_e32 v10, v11, v10, vcc
	v_lshlrev_b32_e32 v10, 1, v10
	ds_write_b16_d16_hi v10, v12
	v_sub_u32_e32 v10, v57, v20
	v_sub_u32_e32 v11, v1, v10
	v_and_b32_sdwa v12, v33, v27 dst_sel:DWORD dst_unused:UNUSED_PAD src0_sel:DWORD src1_sel:WORD_1
	v_add_u32_e32 v11, 6, v11
	v_cmp_eq_u32_e32 vcc, 1, v12
	v_and_b32_e32 v12, 1, v40
	v_add_u32_e32 v53, v63, v53
	v_cndmask_b32_e32 v10, v11, v10, vcc
	v_lshlrev_b32_e32 v10, 1, v10
	ds_write_b16 v10, v13
	v_sub_u32_e32 v10, v58, v20
	v_sub_u32_e32 v11, v1, v10
	v_add_u32_e32 v11, 7, v11
	v_cmp_eq_u32_e32 vcc, 1, v12
	v_and_b32_e32 v12, 1, v24
	v_lshrrev_b32_e32 v30, 8, v24
	v_cndmask_b32_e32 v10, v11, v10, vcc
	v_lshlrev_b32_e32 v10, 1, v10
	ds_write_b16_d16_hi v10, v13
	v_sub_u32_e32 v10, v63, v20
	v_sub_u32_e32 v11, v1, v10
	v_add_u32_e32 v11, 8, v11
	v_cmp_eq_u32_e32 vcc, 1, v12
	v_and_b32_e32 v12, 1, v30
	v_add_u32_e32 v54, v53, v54
	v_cndmask_b32_e32 v10, v11, v10, vcc
	v_lshlrev_b32_e32 v10, 1, v10
	ds_write_b16 v10, v6
	v_sub_u32_e32 v10, v53, v20
	v_sub_u32_e32 v11, v1, v10
	v_add_u32_e32 v11, 9, v11
	v_cmp_eq_u32_e32 vcc, 1, v12
	v_add_u32_e32 v55, v54, v55
	v_add_u32_e32 v64, v55, v39
	v_cndmask_b32_e32 v10, v11, v10, vcc
	v_lshlrev_b32_e32 v10, 1, v10
	ds_write_b16_d16_hi v10, v6
	v_sub_u32_e32 v6, v54, v20
	v_sub_u32_e32 v10, v1, v6
	v_and_b32_sdwa v11, v33, v24 dst_sel:DWORD dst_unused:UNUSED_PAD src0_sel:DWORD src1_sel:WORD_1
	v_add_u32_e32 v10, 10, v10
	v_cmp_eq_u32_e32 vcc, 1, v11
	v_and_b32_e32 v11, 1, v39
	v_add_u32_e32 v50, v64, v50
	v_cndmask_b32_e32 v6, v10, v6, vcc
	v_lshlrev_b32_e32 v6, 1, v6
	ds_write_b16 v6, v7
	v_sub_u32_e32 v6, v55, v20
	v_sub_u32_e32 v10, v1, v6
	v_add_u32_e32 v10, 11, v10
	v_cmp_eq_u32_e32 vcc, 1, v11
	v_lshrrev_b32_e32 v29, 8, v25
	v_add_u32_e32 v51, v50, v51
	v_cndmask_b32_e32 v6, v10, v6, vcc
	v_lshlrev_b32_e32 v6, 1, v6
	ds_write_b16_d16_hi v6, v7
	v_sub_u32_e32 v6, v64, v20
	v_sub_u32_e32 v7, v1, v6
	v_and_b32_e32 v10, 1, v25
	v_add_u32_e32 v7, 12, v7
	v_cmp_eq_u32_e32 vcc, 1, v10
	v_and_b32_e32 v10, 1, v29
	v_add_u32_e32 v52, v51, v52
	v_cndmask_b32_e32 v6, v7, v6, vcc
	v_lshlrev_b32_e32 v6, 1, v6
	ds_write_b16 v6, v8
	v_sub_u32_e32 v6, v50, v20
	v_sub_u32_e32 v7, v1, v6
	v_add_u32_e32 v7, 13, v7
	v_cmp_eq_u32_e32 vcc, 1, v10
	v_add_u32_e32 v65, v52, v38
	v_add_u32_e32 v47, v65, v47
	v_cndmask_b32_e32 v6, v7, v6, vcc
	v_lshlrev_b32_e32 v6, 1, v6
	ds_write_b16_d16_hi v6, v8
	v_sub_u32_e32 v6, v51, v20
	v_sub_u32_e32 v7, v1, v6
	v_and_b32_sdwa v8, v33, v25 dst_sel:DWORD dst_unused:UNUSED_PAD src0_sel:DWORD src1_sel:WORD_1
	v_add_u32_e32 v7, 14, v7
	v_cmp_eq_u32_e32 vcc, 1, v8
	v_and_b32_e32 v8, 1, v38
	v_lshrrev_b32_e32 v28, 8, v22
	v_cndmask_b32_e32 v6, v7, v6, vcc
	v_lshlrev_b32_e32 v6, 1, v6
	ds_write_b16 v6, v9
	v_sub_u32_e32 v6, v52, v20
	v_sub_u32_e32 v7, v1, v6
	v_add_u32_e32 v7, 15, v7
	v_cmp_eq_u32_e32 vcc, 1, v8
	v_and_b32_e32 v8, 1, v22
	v_add_u32_e32 v48, v47, v48
	v_cndmask_b32_e32 v6, v7, v6, vcc
	v_lshlrev_b32_e32 v6, 1, v6
	ds_write_b16_d16_hi v6, v9
	v_sub_u32_e32 v6, v65, v20
	v_sub_u32_e32 v7, v1, v6
	v_add_u32_e32 v7, 16, v7
	v_cmp_eq_u32_e32 vcc, 1, v8
	v_and_b32_e32 v8, 1, v28
	v_add_u32_e32 v49, v48, v49
	v_cndmask_b32_e32 v6, v7, v6, vcc
	v_lshlrev_b32_e32 v6, 1, v6
	ds_write_b16 v6, v2
	v_sub_u32_e32 v6, v47, v20
	v_sub_u32_e32 v7, v1, v6
	v_add_u32_e32 v7, 17, v7
	v_cmp_eq_u32_e32 vcc, 1, v8
	v_add_u32_e32 v66, v49, v37
	v_add_u32_e32 v44, v66, v44
	v_cndmask_b32_e32 v6, v7, v6, vcc
	v_lshlrev_b32_e32 v6, 1, v6
	ds_write_b16_d16_hi v6, v2
	v_sub_u32_e32 v2, v48, v20
	v_sub_u32_e32 v6, v1, v2
	v_and_b32_sdwa v7, v33, v22 dst_sel:DWORD dst_unused:UNUSED_PAD src0_sel:DWORD src1_sel:WORD_1
	v_add_u32_e32 v6, 18, v6
	v_cmp_eq_u32_e32 vcc, 1, v7
	v_and_b32_e32 v7, 1, v37
	v_lshrrev_b32_e32 v21, 8, v23
	v_cndmask_b32_e32 v2, v6, v2, vcc
	v_lshlrev_b32_e32 v2, 1, v2
	ds_write_b16 v2, v3
	v_sub_u32_e32 v2, v49, v20
	v_sub_u32_e32 v6, v1, v2
	v_add_u32_e32 v6, 19, v6
	v_cmp_eq_u32_e32 vcc, 1, v7
	v_add_u32_e32 v45, v44, v45
	v_add_u32_e32 v46, v45, v46
	v_cndmask_b32_e32 v2, v6, v2, vcc
	v_lshlrev_b32_e32 v2, 1, v2
	ds_write_b16_d16_hi v2, v3
	v_sub_u32_e32 v2, v66, v20
	v_sub_u32_e32 v3, v1, v2
	v_and_b32_e32 v6, 1, v23
	v_add_u32_e32 v3, 20, v3
	v_cmp_eq_u32_e32 vcc, 1, v6
	v_and_b32_e32 v6, 1, v21
	v_add_u32_e32 v67, v46, v36
	v_cndmask_b32_e32 v2, v3, v2, vcc
	v_lshlrev_b32_e32 v2, 1, v2
	ds_write_b16 v2, v4
	v_sub_u32_e32 v2, v44, v20
	v_sub_u32_e32 v3, v1, v2
	v_add_u32_e32 v3, 21, v3
	v_cmp_eq_u32_e32 vcc, 1, v6
	v_add_u32_e32 v42, v67, v42
	v_lshrrev_b32_e32 v19, 8, v34
	v_cndmask_b32_e32 v2, v3, v2, vcc
	v_lshlrev_b32_e32 v2, 1, v2
	ds_write_b16_d16_hi v2, v4
	v_sub_u32_e32 v2, v45, v20
	v_sub_u32_e32 v3, v1, v2
	v_and_b32_sdwa v4, v33, v23 dst_sel:DWORD dst_unused:UNUSED_PAD src0_sel:DWORD src1_sel:WORD_1
	v_add_u32_e32 v3, 22, v3
	v_cmp_eq_u32_e32 vcc, 1, v4
	v_and_b32_e32 v4, 1, v36
	v_add_u32_e32 v43, v42, v43
	v_cndmask_b32_e32 v2, v3, v2, vcc
	v_lshlrev_b32_e32 v2, 1, v2
	ds_write_b16 v2, v5
	v_sub_u32_e32 v2, v46, v20
	v_sub_u32_e32 v3, v1, v2
	v_add_u32_e32 v3, 23, v3
	v_cmp_eq_u32_e32 vcc, 1, v4
	v_and_b32_e32 v4, 1, v34
	v_or_b32_e32 v59, 0x200, v0
	v_cndmask_b32_e32 v2, v3, v2, vcc
	v_lshlrev_b32_e32 v2, 1, v2
	ds_write_b16_d16_hi v2, v5
	v_sub_u32_e32 v2, v67, v20
	v_sub_u32_e32 v3, v1, v2
	v_add_u32_e32 v3, 24, v3
	v_cmp_eq_u32_e32 vcc, 1, v4
	v_and_b32_e32 v4, 1, v19
	v_or_b32_e32 v57, 0x400, v0
	v_cndmask_b32_e32 v2, v3, v2, vcc
	v_lshlrev_b32_e32 v2, 1, v2
	ds_write_b16 v2, v16
	v_sub_u32_e32 v2, v42, v20
	v_sub_u32_e32 v3, v1, v2
	v_add_u32_e32 v3, 25, v3
	v_cmp_eq_u32_e32 vcc, 1, v4
	v_and_b32_sdwa v4, v33, v34 dst_sel:DWORD dst_unused:UNUSED_PAD src0_sel:DWORD src1_sel:WORD_1
	v_or_b32_e32 v55, 0x600, v0
	v_cndmask_b32_e32 v2, v3, v2, vcc
	v_lshlrev_b32_e32 v2, 1, v2
	ds_write_b16_d16_hi v2, v16
	v_sub_u32_e32 v2, v43, v20
	v_sub_u32_e32 v3, v1, v2
	v_add_u32_e32 v3, 26, v3
	v_cmp_eq_u32_e32 vcc, 1, v4
	v_or_b32_e32 v53, 0x800, v0
	v_or_b32_e32 v51, 0xa00, v0
	v_cndmask_b32_e32 v2, v3, v2, vcc
	v_lshlrev_b32_e32 v2, 1, v2
	ds_write_b16 v2, v17
	v_sub_u32_e32 v2, v35, v20
	v_add_u32_e32 v2, v43, v2
	v_sub_u32_e32 v1, v1, v2
	v_and_b32_e32 v3, 1, v15
	v_add_u32_e32 v1, 27, v1
	v_cmp_eq_u32_e32 vcc, 1, v3
	v_or_b32_e32 v49, 0xc00, v0
	v_or_b32_e32 v46, 0xe00, v0
	v_cndmask_b32_e32 v1, v1, v2, vcc
	v_lshlrev_b32_e32 v1, 1, v1
	ds_write_b16_d16_hi v1, v17
	s_waitcnt lgkmcnt(0)
	s_barrier
	ds_read_u16 v61, v14
	ds_read_u16 v60, v14 offset:1024
	ds_read_u16 v58, v14 offset:2048
	;; [unrolled: 1-line block ×27, first 2 shown]
	v_or_b32_e32 v45, 0x1000, v0
	v_or_b32_e32 v43, 0x1200, v0
	;; [unrolled: 1-line block ×19, first 2 shown]
	s_andn2_b64 vcc, exec, s[26:27]
	v_or_b32_e32 v4, 0x3600, v0
	s_cbranch_vccnz .LBB3388_187
; %bb.158:
	s_lshl_b64 s[0:1], s[22:23], 1
	v_mov_b32_e32 v21, 0
	s_add_u32 s0, s2, s0
	s_addc_u32 s1, s3, s1
	v_lshlrev_b64 v[2:3], 1, v[20:21]
	v_lshl_add_u64 v[2:3], s[0:1], 0, v[2:3]
	v_cmp_lt_u32_e32 vcc, v0, v18
	s_and_saveexec_b64 s[0:1], vcc
	s_cbranch_execnz .LBB3388_222
; %bb.159:
	s_or_b64 exec, exec, s[0:1]
	v_cmp_lt_u32_e32 vcc, v59, v18
	s_and_saveexec_b64 s[0:1], vcc
	s_cbranch_execnz .LBB3388_223
.LBB3388_160:
	s_or_b64 exec, exec, s[0:1]
	v_cmp_lt_u32_e32 vcc, v57, v18
	s_and_saveexec_b64 s[0:1], vcc
	s_cbranch_execnz .LBB3388_224
.LBB3388_161:
	s_or_b64 exec, exec, s[0:1]
	v_cmp_lt_u32_e32 vcc, v55, v18
	s_and_saveexec_b64 s[0:1], vcc
	s_cbranch_execnz .LBB3388_225
.LBB3388_162:
	s_or_b64 exec, exec, s[0:1]
	v_cmp_lt_u32_e32 vcc, v53, v18
	s_and_saveexec_b64 s[0:1], vcc
	s_cbranch_execnz .LBB3388_226
.LBB3388_163:
	s_or_b64 exec, exec, s[0:1]
	v_cmp_lt_u32_e32 vcc, v51, v18
	s_and_saveexec_b64 s[0:1], vcc
	s_cbranch_execnz .LBB3388_227
.LBB3388_164:
	s_or_b64 exec, exec, s[0:1]
	v_cmp_lt_u32_e32 vcc, v49, v18
	s_and_saveexec_b64 s[0:1], vcc
	s_cbranch_execnz .LBB3388_228
.LBB3388_165:
	s_or_b64 exec, exec, s[0:1]
	v_cmp_lt_u32_e32 vcc, v46, v18
	s_and_saveexec_b64 s[0:1], vcc
	s_cbranch_execnz .LBB3388_229
.LBB3388_166:
	s_or_b64 exec, exec, s[0:1]
	v_cmp_lt_u32_e32 vcc, v45, v18
	s_and_saveexec_b64 s[0:1], vcc
	s_cbranch_execnz .LBB3388_230
.LBB3388_167:
	s_or_b64 exec, exec, s[0:1]
	v_cmp_lt_u32_e32 vcc, v43, v18
	s_and_saveexec_b64 s[0:1], vcc
	s_cbranch_execnz .LBB3388_231
.LBB3388_168:
	s_or_b64 exec, exec, s[0:1]
	v_cmp_lt_u32_e32 vcc, v41, v18
	s_and_saveexec_b64 s[0:1], vcc
	s_cbranch_execnz .LBB3388_232
.LBB3388_169:
	s_or_b64 exec, exec, s[0:1]
	v_cmp_lt_u32_e32 vcc, v39, v18
	s_and_saveexec_b64 s[0:1], vcc
	s_cbranch_execnz .LBB3388_233
.LBB3388_170:
	s_or_b64 exec, exec, s[0:1]
	v_cmp_lt_u32_e32 vcc, v37, v18
	s_and_saveexec_b64 s[0:1], vcc
	s_cbranch_execnz .LBB3388_234
.LBB3388_171:
	s_or_b64 exec, exec, s[0:1]
	v_cmp_lt_u32_e32 vcc, v35, v18
	s_and_saveexec_b64 s[0:1], vcc
	s_cbranch_execnz .LBB3388_235
.LBB3388_172:
	s_or_b64 exec, exec, s[0:1]
	v_cmp_lt_u32_e32 vcc, v33, v18
	s_and_saveexec_b64 s[0:1], vcc
	s_cbranch_execnz .LBB3388_236
.LBB3388_173:
	s_or_b64 exec, exec, s[0:1]
	v_cmp_lt_u32_e32 vcc, v30, v18
	s_and_saveexec_b64 s[0:1], vcc
	s_cbranch_execnz .LBB3388_237
.LBB3388_174:
	s_or_b64 exec, exec, s[0:1]
	v_cmp_lt_u32_e32 vcc, v29, v18
	s_and_saveexec_b64 s[0:1], vcc
	s_cbranch_execnz .LBB3388_238
.LBB3388_175:
	s_or_b64 exec, exec, s[0:1]
	v_cmp_lt_u32_e32 vcc, v27, v18
	s_and_saveexec_b64 s[0:1], vcc
	s_cbranch_execnz .LBB3388_239
.LBB3388_176:
	s_or_b64 exec, exec, s[0:1]
	v_cmp_lt_u32_e32 vcc, v25, v18
	s_and_saveexec_b64 s[0:1], vcc
	s_cbranch_execnz .LBB3388_240
.LBB3388_177:
	s_or_b64 exec, exec, s[0:1]
	v_cmp_lt_u32_e32 vcc, v23, v18
	s_and_saveexec_b64 s[0:1], vcc
	s_cbranch_execnz .LBB3388_241
.LBB3388_178:
	s_or_b64 exec, exec, s[0:1]
	v_cmp_lt_u32_e32 vcc, v19, v18
	s_and_saveexec_b64 s[0:1], vcc
	s_cbranch_execnz .LBB3388_242
.LBB3388_179:
	s_or_b64 exec, exec, s[0:1]
	v_cmp_lt_u32_e32 vcc, v16, v18
	s_and_saveexec_b64 s[0:1], vcc
	s_cbranch_execnz .LBB3388_243
.LBB3388_180:
	s_or_b64 exec, exec, s[0:1]
	v_cmp_lt_u32_e32 vcc, v13, v18
	s_and_saveexec_b64 s[0:1], vcc
	s_cbranch_execnz .LBB3388_244
.LBB3388_181:
	s_or_b64 exec, exec, s[0:1]
	v_cmp_lt_u32_e32 vcc, v11, v18
	s_and_saveexec_b64 s[0:1], vcc
	s_cbranch_execnz .LBB3388_245
.LBB3388_182:
	s_or_b64 exec, exec, s[0:1]
	v_cmp_lt_u32_e32 vcc, v10, v18
	s_and_saveexec_b64 s[0:1], vcc
	s_cbranch_execnz .LBB3388_246
.LBB3388_183:
	s_or_b64 exec, exec, s[0:1]
	v_cmp_lt_u32_e32 vcc, v8, v18
	s_and_saveexec_b64 s[0:1], vcc
	s_cbranch_execnz .LBB3388_247
.LBB3388_184:
	s_or_b64 exec, exec, s[0:1]
	v_cmp_lt_u32_e32 vcc, v6, v18
	s_and_saveexec_b64 s[0:1], vcc
	s_cbranch_execz .LBB3388_186
.LBB3388_185:
	v_lshlrev_b32_e32 v21, 1, v6
	v_readfirstlane_b32 s4, v2
	v_readfirstlane_b32 s5, v3
	s_waitcnt lgkmcnt(1)
	s_nop 3
	global_store_short v21, v5, s[4:5]
.LBB3388_186:
	s_or_b64 exec, exec, s[0:1]
	v_cmp_lt_u32_e64 s[0:1], v4, v18
	s_branch .LBB3388_217
.LBB3388_187:
	s_mov_b64 s[0:1], 0
                                        ; implicit-def: $vgpr2_vgpr3
	s_cbranch_execz .LBB3388_217
; %bb.188:
	s_lshl_b64 s[0:1], s[22:23], 1
	v_mov_b32_e32 v21, 0
	s_add_u32 s0, s2, s0
	v_min_u32_e32 v62, s33, v18
	s_addc_u32 s1, s3, s1
	v_lshlrev_b64 v[2:3], 1, v[20:21]
	v_lshl_add_u64 v[2:3], s[0:1], 0, v[2:3]
	v_cmp_gt_u32_e32 vcc, v62, v0
	s_and_saveexec_b64 s[0:1], vcc
	s_cbranch_execnz .LBB3388_248
; %bb.189:
	s_or_b64 exec, exec, s[0:1]
	v_cmp_lt_u32_e32 vcc, v59, v62
	s_and_saveexec_b64 s[0:1], vcc
	s_cbranch_execnz .LBB3388_249
.LBB3388_190:
	s_or_b64 exec, exec, s[0:1]
	v_cmp_lt_u32_e32 vcc, v57, v62
	s_and_saveexec_b64 s[0:1], vcc
	s_cbranch_execnz .LBB3388_250
.LBB3388_191:
	s_or_b64 exec, exec, s[0:1]
	v_cmp_lt_u32_e32 vcc, v55, v62
	s_and_saveexec_b64 s[0:1], vcc
	s_cbranch_execnz .LBB3388_251
.LBB3388_192:
	s_or_b64 exec, exec, s[0:1]
	v_cmp_lt_u32_e32 vcc, v53, v62
	s_and_saveexec_b64 s[0:1], vcc
	s_cbranch_execnz .LBB3388_252
.LBB3388_193:
	s_or_b64 exec, exec, s[0:1]
	v_cmp_lt_u32_e32 vcc, v51, v62
	s_and_saveexec_b64 s[0:1], vcc
	s_cbranch_execnz .LBB3388_253
.LBB3388_194:
	s_or_b64 exec, exec, s[0:1]
	v_cmp_lt_u32_e32 vcc, v49, v62
	s_and_saveexec_b64 s[0:1], vcc
	s_cbranch_execnz .LBB3388_254
.LBB3388_195:
	s_or_b64 exec, exec, s[0:1]
	v_cmp_lt_u32_e32 vcc, v46, v62
	s_and_saveexec_b64 s[0:1], vcc
	s_cbranch_execnz .LBB3388_255
.LBB3388_196:
	s_or_b64 exec, exec, s[0:1]
	v_cmp_lt_u32_e32 vcc, v45, v62
	s_and_saveexec_b64 s[0:1], vcc
	s_cbranch_execnz .LBB3388_256
.LBB3388_197:
	s_or_b64 exec, exec, s[0:1]
	v_cmp_lt_u32_e32 vcc, v43, v62
	s_and_saveexec_b64 s[0:1], vcc
	s_cbranch_execnz .LBB3388_257
.LBB3388_198:
	s_or_b64 exec, exec, s[0:1]
	v_cmp_lt_u32_e32 vcc, v41, v62
	s_and_saveexec_b64 s[0:1], vcc
	s_cbranch_execnz .LBB3388_258
.LBB3388_199:
	s_or_b64 exec, exec, s[0:1]
	v_cmp_lt_u32_e32 vcc, v39, v62
	s_and_saveexec_b64 s[0:1], vcc
	s_cbranch_execnz .LBB3388_259
.LBB3388_200:
	s_or_b64 exec, exec, s[0:1]
	v_cmp_lt_u32_e32 vcc, v37, v62
	s_and_saveexec_b64 s[0:1], vcc
	s_cbranch_execnz .LBB3388_260
.LBB3388_201:
	s_or_b64 exec, exec, s[0:1]
	v_cmp_lt_u32_e32 vcc, v35, v62
	s_and_saveexec_b64 s[0:1], vcc
	s_cbranch_execnz .LBB3388_261
.LBB3388_202:
	s_or_b64 exec, exec, s[0:1]
	v_cmp_lt_u32_e32 vcc, v33, v62
	s_and_saveexec_b64 s[0:1], vcc
	s_cbranch_execnz .LBB3388_262
.LBB3388_203:
	s_or_b64 exec, exec, s[0:1]
	v_cmp_lt_u32_e32 vcc, v30, v62
	s_and_saveexec_b64 s[0:1], vcc
	s_cbranch_execnz .LBB3388_263
.LBB3388_204:
	s_or_b64 exec, exec, s[0:1]
	v_cmp_lt_u32_e32 vcc, v29, v62
	s_and_saveexec_b64 s[0:1], vcc
	s_cbranch_execnz .LBB3388_264
.LBB3388_205:
	s_or_b64 exec, exec, s[0:1]
	v_cmp_lt_u32_e32 vcc, v27, v62
	s_and_saveexec_b64 s[0:1], vcc
	s_cbranch_execnz .LBB3388_265
.LBB3388_206:
	s_or_b64 exec, exec, s[0:1]
	v_cmp_lt_u32_e32 vcc, v25, v62
	s_and_saveexec_b64 s[0:1], vcc
	s_cbranch_execnz .LBB3388_266
.LBB3388_207:
	s_or_b64 exec, exec, s[0:1]
	v_cmp_lt_u32_e32 vcc, v23, v62
	s_and_saveexec_b64 s[0:1], vcc
	s_cbranch_execnz .LBB3388_267
.LBB3388_208:
	s_or_b64 exec, exec, s[0:1]
	v_cmp_lt_u32_e32 vcc, v19, v62
	s_and_saveexec_b64 s[0:1], vcc
	s_cbranch_execnz .LBB3388_268
.LBB3388_209:
	s_or_b64 exec, exec, s[0:1]
	v_cmp_lt_u32_e32 vcc, v16, v62
	s_and_saveexec_b64 s[0:1], vcc
	s_cbranch_execnz .LBB3388_269
.LBB3388_210:
	s_or_b64 exec, exec, s[0:1]
	v_cmp_lt_u32_e32 vcc, v13, v62
	s_and_saveexec_b64 s[0:1], vcc
	s_cbranch_execnz .LBB3388_270
.LBB3388_211:
	s_or_b64 exec, exec, s[0:1]
	v_cmp_lt_u32_e32 vcc, v11, v62
	s_and_saveexec_b64 s[0:1], vcc
	s_cbranch_execnz .LBB3388_271
.LBB3388_212:
	s_or_b64 exec, exec, s[0:1]
	v_cmp_lt_u32_e32 vcc, v10, v62
	s_and_saveexec_b64 s[0:1], vcc
	s_cbranch_execnz .LBB3388_272
.LBB3388_213:
	s_or_b64 exec, exec, s[0:1]
	v_cmp_lt_u32_e32 vcc, v8, v62
	s_and_saveexec_b64 s[0:1], vcc
	s_cbranch_execnz .LBB3388_273
.LBB3388_214:
	s_or_b64 exec, exec, s[0:1]
	v_cmp_lt_u32_e32 vcc, v6, v62
	s_and_saveexec_b64 s[0:1], vcc
	s_cbranch_execz .LBB3388_216
.LBB3388_215:
	v_lshlrev_b32_e32 v6, 1, v6
	v_readfirstlane_b32 s2, v2
	v_readfirstlane_b32 s3, v3
	s_waitcnt lgkmcnt(1)
	s_nop 3
	global_store_short v6, v5, s[2:3]
.LBB3388_216:
	s_or_b64 exec, exec, s[0:1]
	v_cmp_lt_u32_e64 s[0:1], v4, v62
.LBB3388_217:
	s_and_saveexec_b64 s[2:3], s[0:1]
	s_cbranch_execz .LBB3388_219
; %bb.218:
	v_lshlrev_b32_e32 v4, 1, v4
	v_readfirstlane_b32 s0, v2
	v_readfirstlane_b32 s1, v3
	s_waitcnt lgkmcnt(0)
	s_nop 3
	global_store_short v4, v1, s[0:1]
.LBB3388_219:
	s_or_b64 exec, exec, s[2:3]
	v_cmp_eq_u32_e32 vcc, 0, v0
	s_and_b64 s[0:1], vcc, s[24:25]
	s_and_saveexec_b64 s[2:3], s[0:1]
	s_cbranch_execz .LBB3388_221
; %bb.220:
	v_mov_b32_e32 v19, 0
	s_waitcnt lgkmcnt(0)
	v_lshl_add_u64 v[0:1], s[22:23], 0, v[18:19]
	v_mov_b32_e32 v21, v19
	v_lshl_add_u64 v[0:1], v[0:1], 0, v[20:21]
	global_store_dwordx2 v19, v[0:1], s[20:21]
.LBB3388_221:
	s_endpgm
.LBB3388_222:
	v_readfirstlane_b32 s4, v2
	v_readfirstlane_b32 s5, v3
	s_waitcnt lgkmcnt(14)
	s_nop 3
	global_store_short v14, v61, s[4:5]
	s_or_b64 exec, exec, s[0:1]
	v_cmp_lt_u32_e32 vcc, v59, v18
	s_and_saveexec_b64 s[0:1], vcc
	s_cbranch_execz .LBB3388_160
.LBB3388_223:
	v_readfirstlane_b32 s4, v2
	v_readfirstlane_b32 s5, v3
	s_waitcnt lgkmcnt(14)
	s_nop 3
	global_store_short v14, v60, s[4:5] offset:1024
	s_or_b64 exec, exec, s[0:1]
	v_cmp_lt_u32_e32 vcc, v57, v18
	s_and_saveexec_b64 s[0:1], vcc
	s_cbranch_execz .LBB3388_161
.LBB3388_224:
	v_readfirstlane_b32 s4, v2
	v_readfirstlane_b32 s5, v3
	s_waitcnt lgkmcnt(14)
	s_nop 3
	global_store_short v14, v58, s[4:5] offset:2048
	s_or_b64 exec, exec, s[0:1]
	v_cmp_lt_u32_e32 vcc, v55, v18
	s_and_saveexec_b64 s[0:1], vcc
	s_cbranch_execz .LBB3388_162
.LBB3388_225:
	v_readfirstlane_b32 s4, v2
	v_readfirstlane_b32 s5, v3
	s_waitcnt lgkmcnt(14)
	s_nop 3
	global_store_short v14, v56, s[4:5] offset:3072
	s_or_b64 exec, exec, s[0:1]
	v_cmp_lt_u32_e32 vcc, v53, v18
	s_and_saveexec_b64 s[0:1], vcc
	s_cbranch_execz .LBB3388_163
.LBB3388_226:
	v_lshlrev_b32_e32 v21, 1, v53
	v_readfirstlane_b32 s4, v2
	v_readfirstlane_b32 s5, v3
	s_waitcnt lgkmcnt(14)
	s_nop 3
	global_store_short v21, v54, s[4:5]
	s_or_b64 exec, exec, s[0:1]
	v_cmp_lt_u32_e32 vcc, v51, v18
	s_and_saveexec_b64 s[0:1], vcc
	s_cbranch_execz .LBB3388_164
.LBB3388_227:
	v_lshlrev_b32_e32 v21, 1, v51
	v_readfirstlane_b32 s4, v2
	v_readfirstlane_b32 s5, v3
	s_waitcnt lgkmcnt(14)
	s_nop 3
	global_store_short v21, v52, s[4:5]
	s_or_b64 exec, exec, s[0:1]
	v_cmp_lt_u32_e32 vcc, v49, v18
	s_and_saveexec_b64 s[0:1], vcc
	s_cbranch_execz .LBB3388_165
.LBB3388_228:
	v_lshlrev_b32_e32 v21, 1, v49
	v_readfirstlane_b32 s4, v2
	v_readfirstlane_b32 s5, v3
	s_waitcnt lgkmcnt(14)
	s_nop 3
	global_store_short v21, v50, s[4:5]
	s_or_b64 exec, exec, s[0:1]
	v_cmp_lt_u32_e32 vcc, v46, v18
	s_and_saveexec_b64 s[0:1], vcc
	s_cbranch_execz .LBB3388_166
.LBB3388_229:
	v_lshlrev_b32_e32 v21, 1, v46
	v_readfirstlane_b32 s4, v2
	v_readfirstlane_b32 s5, v3
	s_waitcnt lgkmcnt(14)
	s_nop 3
	global_store_short v21, v47, s[4:5]
	s_or_b64 exec, exec, s[0:1]
	v_cmp_lt_u32_e32 vcc, v45, v18
	s_and_saveexec_b64 s[0:1], vcc
	s_cbranch_execz .LBB3388_167
.LBB3388_230:
	v_lshlrev_b32_e32 v21, 1, v45
	v_readfirstlane_b32 s4, v2
	v_readfirstlane_b32 s5, v3
	s_waitcnt lgkmcnt(14)
	s_nop 3
	global_store_short v21, v48, s[4:5]
	s_or_b64 exec, exec, s[0:1]
	v_cmp_lt_u32_e32 vcc, v43, v18
	s_and_saveexec_b64 s[0:1], vcc
	s_cbranch_execz .LBB3388_168
.LBB3388_231:
	v_lshlrev_b32_e32 v21, 1, v43
	v_readfirstlane_b32 s4, v2
	v_readfirstlane_b32 s5, v3
	s_waitcnt lgkmcnt(14)
	s_nop 3
	global_store_short v21, v44, s[4:5]
	s_or_b64 exec, exec, s[0:1]
	v_cmp_lt_u32_e32 vcc, v41, v18
	s_and_saveexec_b64 s[0:1], vcc
	s_cbranch_execz .LBB3388_169
.LBB3388_232:
	v_lshlrev_b32_e32 v21, 1, v41
	v_readfirstlane_b32 s4, v2
	v_readfirstlane_b32 s5, v3
	s_waitcnt lgkmcnt(14)
	s_nop 3
	global_store_short v21, v42, s[4:5]
	s_or_b64 exec, exec, s[0:1]
	v_cmp_lt_u32_e32 vcc, v39, v18
	s_and_saveexec_b64 s[0:1], vcc
	s_cbranch_execz .LBB3388_170
.LBB3388_233:
	v_lshlrev_b32_e32 v21, 1, v39
	v_readfirstlane_b32 s4, v2
	v_readfirstlane_b32 s5, v3
	s_waitcnt lgkmcnt(14)
	s_nop 3
	global_store_short v21, v40, s[4:5]
	s_or_b64 exec, exec, s[0:1]
	v_cmp_lt_u32_e32 vcc, v37, v18
	s_and_saveexec_b64 s[0:1], vcc
	s_cbranch_execz .LBB3388_171
.LBB3388_234:
	v_lshlrev_b32_e32 v21, 1, v37
	v_readfirstlane_b32 s4, v2
	v_readfirstlane_b32 s5, v3
	s_waitcnt lgkmcnt(14)
	s_nop 3
	global_store_short v21, v38, s[4:5]
	s_or_b64 exec, exec, s[0:1]
	v_cmp_lt_u32_e32 vcc, v35, v18
	s_and_saveexec_b64 s[0:1], vcc
	s_cbranch_execz .LBB3388_172
.LBB3388_235:
	v_lshlrev_b32_e32 v21, 1, v35
	v_readfirstlane_b32 s4, v2
	v_readfirstlane_b32 s5, v3
	s_waitcnt lgkmcnt(14)
	s_nop 3
	global_store_short v21, v36, s[4:5]
	s_or_b64 exec, exec, s[0:1]
	v_cmp_lt_u32_e32 vcc, v33, v18
	s_and_saveexec_b64 s[0:1], vcc
	s_cbranch_execz .LBB3388_173
.LBB3388_236:
	v_lshlrev_b32_e32 v21, 1, v33
	v_readfirstlane_b32 s4, v2
	v_readfirstlane_b32 s5, v3
	s_waitcnt lgkmcnt(13)
	s_nop 3
	global_store_short v21, v34, s[4:5]
	s_or_b64 exec, exec, s[0:1]
	v_cmp_lt_u32_e32 vcc, v30, v18
	s_and_saveexec_b64 s[0:1], vcc
	s_cbranch_execz .LBB3388_174
.LBB3388_237:
	v_lshlrev_b32_e32 v21, 1, v30
	v_readfirstlane_b32 s4, v2
	v_readfirstlane_b32 s5, v3
	s_waitcnt lgkmcnt(12)
	s_nop 3
	global_store_short v21, v31, s[4:5]
	s_or_b64 exec, exec, s[0:1]
	v_cmp_lt_u32_e32 vcc, v29, v18
	s_and_saveexec_b64 s[0:1], vcc
	s_cbranch_execz .LBB3388_175
.LBB3388_238:
	v_lshlrev_b32_e32 v21, 1, v29
	v_readfirstlane_b32 s4, v2
	v_readfirstlane_b32 s5, v3
	s_waitcnt lgkmcnt(11)
	s_nop 3
	global_store_short v21, v32, s[4:5]
	s_or_b64 exec, exec, s[0:1]
	v_cmp_lt_u32_e32 vcc, v27, v18
	s_and_saveexec_b64 s[0:1], vcc
	s_cbranch_execz .LBB3388_176
.LBB3388_239:
	v_lshlrev_b32_e32 v21, 1, v27
	v_readfirstlane_b32 s4, v2
	v_readfirstlane_b32 s5, v3
	s_waitcnt lgkmcnt(10)
	s_nop 3
	global_store_short v21, v28, s[4:5]
	s_or_b64 exec, exec, s[0:1]
	v_cmp_lt_u32_e32 vcc, v25, v18
	s_and_saveexec_b64 s[0:1], vcc
	s_cbranch_execz .LBB3388_177
.LBB3388_240:
	v_lshlrev_b32_e32 v21, 1, v25
	v_readfirstlane_b32 s4, v2
	v_readfirstlane_b32 s5, v3
	s_waitcnt lgkmcnt(9)
	s_nop 3
	global_store_short v21, v26, s[4:5]
	s_or_b64 exec, exec, s[0:1]
	v_cmp_lt_u32_e32 vcc, v23, v18
	s_and_saveexec_b64 s[0:1], vcc
	s_cbranch_execz .LBB3388_178
.LBB3388_241:
	v_lshlrev_b32_e32 v21, 1, v23
	v_readfirstlane_b32 s4, v2
	v_readfirstlane_b32 s5, v3
	s_waitcnt lgkmcnt(8)
	s_nop 3
	global_store_short v21, v24, s[4:5]
	s_or_b64 exec, exec, s[0:1]
	v_cmp_lt_u32_e32 vcc, v19, v18
	s_and_saveexec_b64 s[0:1], vcc
	s_cbranch_execz .LBB3388_179
.LBB3388_242:
	v_lshlrev_b32_e32 v21, 1, v19
	v_readfirstlane_b32 s4, v2
	v_readfirstlane_b32 s5, v3
	s_waitcnt lgkmcnt(7)
	s_nop 3
	global_store_short v21, v22, s[4:5]
	s_or_b64 exec, exec, s[0:1]
	v_cmp_lt_u32_e32 vcc, v16, v18
	s_and_saveexec_b64 s[0:1], vcc
	s_cbranch_execz .LBB3388_180
.LBB3388_243:
	v_lshlrev_b32_e32 v21, 1, v16
	v_readfirstlane_b32 s4, v2
	v_readfirstlane_b32 s5, v3
	s_waitcnt lgkmcnt(6)
	s_nop 3
	global_store_short v21, v17, s[4:5]
	s_or_b64 exec, exec, s[0:1]
	v_cmp_lt_u32_e32 vcc, v13, v18
	s_and_saveexec_b64 s[0:1], vcc
	s_cbranch_execz .LBB3388_181
.LBB3388_244:
	v_lshlrev_b32_e32 v21, 1, v13
	v_readfirstlane_b32 s4, v2
	v_readfirstlane_b32 s5, v3
	s_waitcnt lgkmcnt(5)
	s_nop 3
	global_store_short v21, v15, s[4:5]
	s_or_b64 exec, exec, s[0:1]
	v_cmp_lt_u32_e32 vcc, v11, v18
	s_and_saveexec_b64 s[0:1], vcc
	s_cbranch_execz .LBB3388_182
.LBB3388_245:
	v_lshlrev_b32_e32 v21, 1, v11
	v_readfirstlane_b32 s4, v2
	v_readfirstlane_b32 s5, v3
	s_waitcnt lgkmcnt(4)
	s_nop 3
	global_store_short v21, v12, s[4:5]
	s_or_b64 exec, exec, s[0:1]
	v_cmp_lt_u32_e32 vcc, v10, v18
	s_and_saveexec_b64 s[0:1], vcc
	s_cbranch_execz .LBB3388_183
.LBB3388_246:
	v_lshlrev_b32_e32 v21, 1, v10
	v_readfirstlane_b32 s4, v2
	v_readfirstlane_b32 s5, v3
	s_waitcnt lgkmcnt(3)
	s_nop 3
	global_store_short v21, v9, s[4:5]
	s_or_b64 exec, exec, s[0:1]
	v_cmp_lt_u32_e32 vcc, v8, v18
	s_and_saveexec_b64 s[0:1], vcc
	s_cbranch_execz .LBB3388_184
.LBB3388_247:
	v_lshlrev_b32_e32 v21, 1, v8
	v_readfirstlane_b32 s4, v2
	v_readfirstlane_b32 s5, v3
	s_waitcnt lgkmcnt(2)
	s_nop 3
	global_store_short v21, v7, s[4:5]
	s_or_b64 exec, exec, s[0:1]
	v_cmp_lt_u32_e32 vcc, v6, v18
	s_and_saveexec_b64 s[0:1], vcc
	s_cbranch_execnz .LBB3388_185
	s_branch .LBB3388_186
.LBB3388_248:
	v_readfirstlane_b32 s2, v2
	v_readfirstlane_b32 s3, v3
	s_waitcnt lgkmcnt(14)
	s_nop 3
	global_store_short v14, v61, s[2:3]
	s_or_b64 exec, exec, s[0:1]
	v_cmp_lt_u32_e32 vcc, v59, v62
	s_and_saveexec_b64 s[0:1], vcc
	s_cbranch_execz .LBB3388_190
.LBB3388_249:
	v_readfirstlane_b32 s2, v2
	v_readfirstlane_b32 s3, v3
	s_waitcnt lgkmcnt(14)
	s_nop 3
	global_store_short v14, v60, s[2:3] offset:1024
	s_or_b64 exec, exec, s[0:1]
	v_cmp_lt_u32_e32 vcc, v57, v62
	s_and_saveexec_b64 s[0:1], vcc
	s_cbranch_execz .LBB3388_191
.LBB3388_250:
	v_readfirstlane_b32 s2, v2
	v_readfirstlane_b32 s3, v3
	s_waitcnt lgkmcnt(14)
	s_nop 3
	global_store_short v14, v58, s[2:3] offset:2048
	s_or_b64 exec, exec, s[0:1]
	v_cmp_lt_u32_e32 vcc, v55, v62
	s_and_saveexec_b64 s[0:1], vcc
	s_cbranch_execz .LBB3388_192
.LBB3388_251:
	v_readfirstlane_b32 s2, v2
	v_readfirstlane_b32 s3, v3
	s_waitcnt lgkmcnt(14)
	s_nop 3
	global_store_short v14, v56, s[2:3] offset:3072
	s_or_b64 exec, exec, s[0:1]
	v_cmp_lt_u32_e32 vcc, v53, v62
	s_and_saveexec_b64 s[0:1], vcc
	s_cbranch_execz .LBB3388_193
.LBB3388_252:
	v_lshlrev_b32_e32 v14, 1, v53
	v_readfirstlane_b32 s2, v2
	v_readfirstlane_b32 s3, v3
	s_waitcnt lgkmcnt(14)
	s_nop 3
	global_store_short v14, v54, s[2:3]
	s_or_b64 exec, exec, s[0:1]
	v_cmp_lt_u32_e32 vcc, v51, v62
	s_and_saveexec_b64 s[0:1], vcc
	s_cbranch_execz .LBB3388_194
.LBB3388_253:
	v_lshlrev_b32_e32 v14, 1, v51
	v_readfirstlane_b32 s2, v2
	v_readfirstlane_b32 s3, v3
	s_waitcnt lgkmcnt(14)
	s_nop 3
	global_store_short v14, v52, s[2:3]
	s_or_b64 exec, exec, s[0:1]
	v_cmp_lt_u32_e32 vcc, v49, v62
	s_and_saveexec_b64 s[0:1], vcc
	s_cbranch_execz .LBB3388_195
.LBB3388_254:
	v_lshlrev_b32_e32 v14, 1, v49
	v_readfirstlane_b32 s2, v2
	v_readfirstlane_b32 s3, v3
	s_waitcnt lgkmcnt(14)
	s_nop 3
	global_store_short v14, v50, s[2:3]
	s_or_b64 exec, exec, s[0:1]
	v_cmp_lt_u32_e32 vcc, v46, v62
	s_and_saveexec_b64 s[0:1], vcc
	s_cbranch_execz .LBB3388_196
.LBB3388_255:
	v_lshlrev_b32_e32 v14, 1, v46
	v_readfirstlane_b32 s2, v2
	v_readfirstlane_b32 s3, v3
	s_waitcnt lgkmcnt(14)
	s_nop 3
	global_store_short v14, v47, s[2:3]
	s_or_b64 exec, exec, s[0:1]
	v_cmp_lt_u32_e32 vcc, v45, v62
	s_and_saveexec_b64 s[0:1], vcc
	s_cbranch_execz .LBB3388_197
.LBB3388_256:
	v_lshlrev_b32_e32 v14, 1, v45
	v_readfirstlane_b32 s2, v2
	v_readfirstlane_b32 s3, v3
	s_waitcnt lgkmcnt(14)
	s_nop 3
	global_store_short v14, v48, s[2:3]
	s_or_b64 exec, exec, s[0:1]
	v_cmp_lt_u32_e32 vcc, v43, v62
	s_and_saveexec_b64 s[0:1], vcc
	s_cbranch_execz .LBB3388_198
.LBB3388_257:
	v_lshlrev_b32_e32 v14, 1, v43
	v_readfirstlane_b32 s2, v2
	v_readfirstlane_b32 s3, v3
	s_waitcnt lgkmcnt(14)
	s_nop 3
	global_store_short v14, v44, s[2:3]
	s_or_b64 exec, exec, s[0:1]
	v_cmp_lt_u32_e32 vcc, v41, v62
	s_and_saveexec_b64 s[0:1], vcc
	s_cbranch_execz .LBB3388_199
.LBB3388_258:
	v_lshlrev_b32_e32 v14, 1, v41
	v_readfirstlane_b32 s2, v2
	v_readfirstlane_b32 s3, v3
	s_waitcnt lgkmcnt(14)
	s_nop 3
	global_store_short v14, v42, s[2:3]
	s_or_b64 exec, exec, s[0:1]
	v_cmp_lt_u32_e32 vcc, v39, v62
	s_and_saveexec_b64 s[0:1], vcc
	s_cbranch_execz .LBB3388_200
.LBB3388_259:
	v_lshlrev_b32_e32 v14, 1, v39
	v_readfirstlane_b32 s2, v2
	v_readfirstlane_b32 s3, v3
	s_waitcnt lgkmcnt(14)
	s_nop 3
	global_store_short v14, v40, s[2:3]
	s_or_b64 exec, exec, s[0:1]
	v_cmp_lt_u32_e32 vcc, v37, v62
	s_and_saveexec_b64 s[0:1], vcc
	s_cbranch_execz .LBB3388_201
.LBB3388_260:
	v_lshlrev_b32_e32 v14, 1, v37
	v_readfirstlane_b32 s2, v2
	v_readfirstlane_b32 s3, v3
	s_waitcnt lgkmcnt(14)
	s_nop 3
	global_store_short v14, v38, s[2:3]
	s_or_b64 exec, exec, s[0:1]
	v_cmp_lt_u32_e32 vcc, v35, v62
	s_and_saveexec_b64 s[0:1], vcc
	s_cbranch_execz .LBB3388_202
.LBB3388_261:
	v_lshlrev_b32_e32 v14, 1, v35
	v_readfirstlane_b32 s2, v2
	v_readfirstlane_b32 s3, v3
	s_waitcnt lgkmcnt(14)
	s_nop 3
	global_store_short v14, v36, s[2:3]
	s_or_b64 exec, exec, s[0:1]
	v_cmp_lt_u32_e32 vcc, v33, v62
	s_and_saveexec_b64 s[0:1], vcc
	s_cbranch_execz .LBB3388_203
.LBB3388_262:
	v_lshlrev_b32_e32 v14, 1, v33
	v_readfirstlane_b32 s2, v2
	v_readfirstlane_b32 s3, v3
	s_waitcnt lgkmcnt(13)
	s_nop 3
	global_store_short v14, v34, s[2:3]
	s_or_b64 exec, exec, s[0:1]
	v_cmp_lt_u32_e32 vcc, v30, v62
	s_and_saveexec_b64 s[0:1], vcc
	s_cbranch_execz .LBB3388_204
.LBB3388_263:
	v_lshlrev_b32_e32 v14, 1, v30
	v_readfirstlane_b32 s2, v2
	v_readfirstlane_b32 s3, v3
	s_waitcnt lgkmcnt(12)
	s_nop 3
	global_store_short v14, v31, s[2:3]
	s_or_b64 exec, exec, s[0:1]
	v_cmp_lt_u32_e32 vcc, v29, v62
	s_and_saveexec_b64 s[0:1], vcc
	s_cbranch_execz .LBB3388_205
.LBB3388_264:
	v_lshlrev_b32_e32 v14, 1, v29
	v_readfirstlane_b32 s2, v2
	v_readfirstlane_b32 s3, v3
	s_waitcnt lgkmcnt(11)
	s_nop 3
	global_store_short v14, v32, s[2:3]
	s_or_b64 exec, exec, s[0:1]
	v_cmp_lt_u32_e32 vcc, v27, v62
	s_and_saveexec_b64 s[0:1], vcc
	s_cbranch_execz .LBB3388_206
.LBB3388_265:
	v_lshlrev_b32_e32 v14, 1, v27
	v_readfirstlane_b32 s2, v2
	v_readfirstlane_b32 s3, v3
	s_waitcnt lgkmcnt(10)
	s_nop 3
	global_store_short v14, v28, s[2:3]
	s_or_b64 exec, exec, s[0:1]
	v_cmp_lt_u32_e32 vcc, v25, v62
	s_and_saveexec_b64 s[0:1], vcc
	s_cbranch_execz .LBB3388_207
.LBB3388_266:
	v_lshlrev_b32_e32 v14, 1, v25
	v_readfirstlane_b32 s2, v2
	v_readfirstlane_b32 s3, v3
	s_waitcnt lgkmcnt(9)
	s_nop 3
	global_store_short v14, v26, s[2:3]
	s_or_b64 exec, exec, s[0:1]
	v_cmp_lt_u32_e32 vcc, v23, v62
	s_and_saveexec_b64 s[0:1], vcc
	s_cbranch_execz .LBB3388_208
.LBB3388_267:
	v_lshlrev_b32_e32 v14, 1, v23
	v_readfirstlane_b32 s2, v2
	v_readfirstlane_b32 s3, v3
	s_waitcnt lgkmcnt(8)
	s_nop 3
	global_store_short v14, v24, s[2:3]
	s_or_b64 exec, exec, s[0:1]
	v_cmp_lt_u32_e32 vcc, v19, v62
	s_and_saveexec_b64 s[0:1], vcc
	s_cbranch_execz .LBB3388_209
.LBB3388_268:
	v_lshlrev_b32_e32 v14, 1, v19
	v_readfirstlane_b32 s2, v2
	v_readfirstlane_b32 s3, v3
	s_waitcnt lgkmcnt(7)
	s_nop 3
	global_store_short v14, v22, s[2:3]
	s_or_b64 exec, exec, s[0:1]
	v_cmp_lt_u32_e32 vcc, v16, v62
	s_and_saveexec_b64 s[0:1], vcc
	s_cbranch_execz .LBB3388_210
.LBB3388_269:
	v_lshlrev_b32_e32 v14, 1, v16
	v_readfirstlane_b32 s2, v2
	v_readfirstlane_b32 s3, v3
	s_waitcnt lgkmcnt(6)
	s_nop 3
	global_store_short v14, v17, s[2:3]
	s_or_b64 exec, exec, s[0:1]
	v_cmp_lt_u32_e32 vcc, v13, v62
	s_and_saveexec_b64 s[0:1], vcc
	s_cbranch_execz .LBB3388_211
.LBB3388_270:
	v_lshlrev_b32_e32 v13, 1, v13
	v_readfirstlane_b32 s2, v2
	v_readfirstlane_b32 s3, v3
	s_waitcnt lgkmcnt(5)
	s_nop 3
	global_store_short v13, v15, s[2:3]
	s_or_b64 exec, exec, s[0:1]
	v_cmp_lt_u32_e32 vcc, v11, v62
	s_and_saveexec_b64 s[0:1], vcc
	s_cbranch_execz .LBB3388_212
.LBB3388_271:
	v_lshlrev_b32_e32 v11, 1, v11
	v_readfirstlane_b32 s2, v2
	v_readfirstlane_b32 s3, v3
	s_waitcnt lgkmcnt(4)
	s_nop 3
	global_store_short v11, v12, s[2:3]
	s_or_b64 exec, exec, s[0:1]
	v_cmp_lt_u32_e32 vcc, v10, v62
	s_and_saveexec_b64 s[0:1], vcc
	s_cbranch_execz .LBB3388_213
.LBB3388_272:
	v_lshlrev_b32_e32 v10, 1, v10
	v_readfirstlane_b32 s2, v2
	v_readfirstlane_b32 s3, v3
	s_waitcnt lgkmcnt(3)
	s_nop 3
	global_store_short v10, v9, s[2:3]
	s_or_b64 exec, exec, s[0:1]
	v_cmp_lt_u32_e32 vcc, v8, v62
	s_and_saveexec_b64 s[0:1], vcc
	s_cbranch_execz .LBB3388_214
.LBB3388_273:
	v_lshlrev_b32_e32 v8, 1, v8
	v_readfirstlane_b32 s2, v2
	v_readfirstlane_b32 s3, v3
	s_waitcnt lgkmcnt(2)
	s_nop 3
	global_store_short v8, v7, s[2:3]
	s_or_b64 exec, exec, s[0:1]
	v_cmp_lt_u32_e32 vcc, v6, v62
	s_and_saveexec_b64 s[0:1], vcc
	s_cbranch_execnz .LBB3388_215
	s_branch .LBB3388_216
	.section	.rodata,"a",@progbits
	.p2align	6, 0x0
	.amdhsa_kernel _ZN7rocprim17ROCPRIM_400000_NS6detail17trampoline_kernelINS0_14default_configENS1_25partition_config_selectorILNS1_17partition_subalgoE1EsNS0_10empty_typeEbEEZZNS1_14partition_implILS5_1ELb0ES3_jN6thrust23THRUST_200600_302600_NS6detail15normal_iteratorINSA_10device_ptrIsEEEEPS6_NSA_18transform_iteratorI7is_evenIsESF_NSA_11use_defaultESK_EENS0_5tupleIJSF_NSA_16discard_iteratorISK_EEEEENSM_IJSG_SG_EEES6_PlJS6_EEE10hipError_tPvRmT3_T4_T5_T6_T7_T9_mT8_P12ihipStream_tbDpT10_ENKUlT_T0_E_clISt17integral_constantIbLb0EES1B_EEDaS16_S17_EUlS16_E_NS1_11comp_targetILNS1_3genE5ELNS1_11target_archE942ELNS1_3gpuE9ELNS1_3repE0EEENS1_30default_config_static_selectorELNS0_4arch9wavefront6targetE1EEEvT1_
		.amdhsa_group_segment_fixed_size 28680
		.amdhsa_private_segment_fixed_size 0
		.amdhsa_kernarg_size 136
		.amdhsa_user_sgpr_count 2
		.amdhsa_user_sgpr_dispatch_ptr 0
		.amdhsa_user_sgpr_queue_ptr 0
		.amdhsa_user_sgpr_kernarg_segment_ptr 1
		.amdhsa_user_sgpr_dispatch_id 0
		.amdhsa_user_sgpr_kernarg_preload_length 0
		.amdhsa_user_sgpr_kernarg_preload_offset 0
		.amdhsa_user_sgpr_private_segment_size 0
		.amdhsa_uses_dynamic_stack 0
		.amdhsa_enable_private_segment 0
		.amdhsa_system_sgpr_workgroup_id_x 1
		.amdhsa_system_sgpr_workgroup_id_y 0
		.amdhsa_system_sgpr_workgroup_id_z 0
		.amdhsa_system_sgpr_workgroup_info 0
		.amdhsa_system_vgpr_workitem_id 0
		.amdhsa_next_free_vgpr 79
		.amdhsa_next_free_sgpr 40
		.amdhsa_accum_offset 80
		.amdhsa_reserve_vcc 1
		.amdhsa_float_round_mode_32 0
		.amdhsa_float_round_mode_16_64 0
		.amdhsa_float_denorm_mode_32 3
		.amdhsa_float_denorm_mode_16_64 3
		.amdhsa_dx10_clamp 1
		.amdhsa_ieee_mode 1
		.amdhsa_fp16_overflow 0
		.amdhsa_tg_split 0
		.amdhsa_exception_fp_ieee_invalid_op 0
		.amdhsa_exception_fp_denorm_src 0
		.amdhsa_exception_fp_ieee_div_zero 0
		.amdhsa_exception_fp_ieee_overflow 0
		.amdhsa_exception_fp_ieee_underflow 0
		.amdhsa_exception_fp_ieee_inexact 0
		.amdhsa_exception_int_div_zero 0
	.end_amdhsa_kernel
	.section	.text._ZN7rocprim17ROCPRIM_400000_NS6detail17trampoline_kernelINS0_14default_configENS1_25partition_config_selectorILNS1_17partition_subalgoE1EsNS0_10empty_typeEbEEZZNS1_14partition_implILS5_1ELb0ES3_jN6thrust23THRUST_200600_302600_NS6detail15normal_iteratorINSA_10device_ptrIsEEEEPS6_NSA_18transform_iteratorI7is_evenIsESF_NSA_11use_defaultESK_EENS0_5tupleIJSF_NSA_16discard_iteratorISK_EEEEENSM_IJSG_SG_EEES6_PlJS6_EEE10hipError_tPvRmT3_T4_T5_T6_T7_T9_mT8_P12ihipStream_tbDpT10_ENKUlT_T0_E_clISt17integral_constantIbLb0EES1B_EEDaS16_S17_EUlS16_E_NS1_11comp_targetILNS1_3genE5ELNS1_11target_archE942ELNS1_3gpuE9ELNS1_3repE0EEENS1_30default_config_static_selectorELNS0_4arch9wavefront6targetE1EEEvT1_,"axG",@progbits,_ZN7rocprim17ROCPRIM_400000_NS6detail17trampoline_kernelINS0_14default_configENS1_25partition_config_selectorILNS1_17partition_subalgoE1EsNS0_10empty_typeEbEEZZNS1_14partition_implILS5_1ELb0ES3_jN6thrust23THRUST_200600_302600_NS6detail15normal_iteratorINSA_10device_ptrIsEEEEPS6_NSA_18transform_iteratorI7is_evenIsESF_NSA_11use_defaultESK_EENS0_5tupleIJSF_NSA_16discard_iteratorISK_EEEEENSM_IJSG_SG_EEES6_PlJS6_EEE10hipError_tPvRmT3_T4_T5_T6_T7_T9_mT8_P12ihipStream_tbDpT10_ENKUlT_T0_E_clISt17integral_constantIbLb0EES1B_EEDaS16_S17_EUlS16_E_NS1_11comp_targetILNS1_3genE5ELNS1_11target_archE942ELNS1_3gpuE9ELNS1_3repE0EEENS1_30default_config_static_selectorELNS0_4arch9wavefront6targetE1EEEvT1_,comdat
.Lfunc_end3388:
	.size	_ZN7rocprim17ROCPRIM_400000_NS6detail17trampoline_kernelINS0_14default_configENS1_25partition_config_selectorILNS1_17partition_subalgoE1EsNS0_10empty_typeEbEEZZNS1_14partition_implILS5_1ELb0ES3_jN6thrust23THRUST_200600_302600_NS6detail15normal_iteratorINSA_10device_ptrIsEEEEPS6_NSA_18transform_iteratorI7is_evenIsESF_NSA_11use_defaultESK_EENS0_5tupleIJSF_NSA_16discard_iteratorISK_EEEEENSM_IJSG_SG_EEES6_PlJS6_EEE10hipError_tPvRmT3_T4_T5_T6_T7_T9_mT8_P12ihipStream_tbDpT10_ENKUlT_T0_E_clISt17integral_constantIbLb0EES1B_EEDaS16_S17_EUlS16_E_NS1_11comp_targetILNS1_3genE5ELNS1_11target_archE942ELNS1_3gpuE9ELNS1_3repE0EEENS1_30default_config_static_selectorELNS0_4arch9wavefront6targetE1EEEvT1_, .Lfunc_end3388-_ZN7rocprim17ROCPRIM_400000_NS6detail17trampoline_kernelINS0_14default_configENS1_25partition_config_selectorILNS1_17partition_subalgoE1EsNS0_10empty_typeEbEEZZNS1_14partition_implILS5_1ELb0ES3_jN6thrust23THRUST_200600_302600_NS6detail15normal_iteratorINSA_10device_ptrIsEEEEPS6_NSA_18transform_iteratorI7is_evenIsESF_NSA_11use_defaultESK_EENS0_5tupleIJSF_NSA_16discard_iteratorISK_EEEEENSM_IJSG_SG_EEES6_PlJS6_EEE10hipError_tPvRmT3_T4_T5_T6_T7_T9_mT8_P12ihipStream_tbDpT10_ENKUlT_T0_E_clISt17integral_constantIbLb0EES1B_EEDaS16_S17_EUlS16_E_NS1_11comp_targetILNS1_3genE5ELNS1_11target_archE942ELNS1_3gpuE9ELNS1_3repE0EEENS1_30default_config_static_selectorELNS0_4arch9wavefront6targetE1EEEvT1_
                                        ; -- End function
	.section	.AMDGPU.csdata,"",@progbits
; Kernel info:
; codeLenInByte = 12320
; NumSgprs: 46
; NumVgprs: 79
; NumAgprs: 0
; TotalNumVgprs: 79
; ScratchSize: 0
; MemoryBound: 0
; FloatMode: 240
; IeeeMode: 1
; LDSByteSize: 28680 bytes/workgroup (compile time only)
; SGPRBlocks: 5
; VGPRBlocks: 9
; NumSGPRsForWavesPerEU: 46
; NumVGPRsForWavesPerEU: 79
; AccumOffset: 80
; Occupancy: 4
; WaveLimiterHint : 1
; COMPUTE_PGM_RSRC2:SCRATCH_EN: 0
; COMPUTE_PGM_RSRC2:USER_SGPR: 2
; COMPUTE_PGM_RSRC2:TRAP_HANDLER: 0
; COMPUTE_PGM_RSRC2:TGID_X_EN: 1
; COMPUTE_PGM_RSRC2:TGID_Y_EN: 0
; COMPUTE_PGM_RSRC2:TGID_Z_EN: 0
; COMPUTE_PGM_RSRC2:TIDIG_COMP_CNT: 0
; COMPUTE_PGM_RSRC3_GFX90A:ACCUM_OFFSET: 19
; COMPUTE_PGM_RSRC3_GFX90A:TG_SPLIT: 0
	.section	.text._ZN7rocprim17ROCPRIM_400000_NS6detail17trampoline_kernelINS0_14default_configENS1_25partition_config_selectorILNS1_17partition_subalgoE1EsNS0_10empty_typeEbEEZZNS1_14partition_implILS5_1ELb0ES3_jN6thrust23THRUST_200600_302600_NS6detail15normal_iteratorINSA_10device_ptrIsEEEEPS6_NSA_18transform_iteratorI7is_evenIsESF_NSA_11use_defaultESK_EENS0_5tupleIJSF_NSA_16discard_iteratorISK_EEEEENSM_IJSG_SG_EEES6_PlJS6_EEE10hipError_tPvRmT3_T4_T5_T6_T7_T9_mT8_P12ihipStream_tbDpT10_ENKUlT_T0_E_clISt17integral_constantIbLb0EES1B_EEDaS16_S17_EUlS16_E_NS1_11comp_targetILNS1_3genE4ELNS1_11target_archE910ELNS1_3gpuE8ELNS1_3repE0EEENS1_30default_config_static_selectorELNS0_4arch9wavefront6targetE1EEEvT1_,"axG",@progbits,_ZN7rocprim17ROCPRIM_400000_NS6detail17trampoline_kernelINS0_14default_configENS1_25partition_config_selectorILNS1_17partition_subalgoE1EsNS0_10empty_typeEbEEZZNS1_14partition_implILS5_1ELb0ES3_jN6thrust23THRUST_200600_302600_NS6detail15normal_iteratorINSA_10device_ptrIsEEEEPS6_NSA_18transform_iteratorI7is_evenIsESF_NSA_11use_defaultESK_EENS0_5tupleIJSF_NSA_16discard_iteratorISK_EEEEENSM_IJSG_SG_EEES6_PlJS6_EEE10hipError_tPvRmT3_T4_T5_T6_T7_T9_mT8_P12ihipStream_tbDpT10_ENKUlT_T0_E_clISt17integral_constantIbLb0EES1B_EEDaS16_S17_EUlS16_E_NS1_11comp_targetILNS1_3genE4ELNS1_11target_archE910ELNS1_3gpuE8ELNS1_3repE0EEENS1_30default_config_static_selectorELNS0_4arch9wavefront6targetE1EEEvT1_,comdat
	.protected	_ZN7rocprim17ROCPRIM_400000_NS6detail17trampoline_kernelINS0_14default_configENS1_25partition_config_selectorILNS1_17partition_subalgoE1EsNS0_10empty_typeEbEEZZNS1_14partition_implILS5_1ELb0ES3_jN6thrust23THRUST_200600_302600_NS6detail15normal_iteratorINSA_10device_ptrIsEEEEPS6_NSA_18transform_iteratorI7is_evenIsESF_NSA_11use_defaultESK_EENS0_5tupleIJSF_NSA_16discard_iteratorISK_EEEEENSM_IJSG_SG_EEES6_PlJS6_EEE10hipError_tPvRmT3_T4_T5_T6_T7_T9_mT8_P12ihipStream_tbDpT10_ENKUlT_T0_E_clISt17integral_constantIbLb0EES1B_EEDaS16_S17_EUlS16_E_NS1_11comp_targetILNS1_3genE4ELNS1_11target_archE910ELNS1_3gpuE8ELNS1_3repE0EEENS1_30default_config_static_selectorELNS0_4arch9wavefront6targetE1EEEvT1_ ; -- Begin function _ZN7rocprim17ROCPRIM_400000_NS6detail17trampoline_kernelINS0_14default_configENS1_25partition_config_selectorILNS1_17partition_subalgoE1EsNS0_10empty_typeEbEEZZNS1_14partition_implILS5_1ELb0ES3_jN6thrust23THRUST_200600_302600_NS6detail15normal_iteratorINSA_10device_ptrIsEEEEPS6_NSA_18transform_iteratorI7is_evenIsESF_NSA_11use_defaultESK_EENS0_5tupleIJSF_NSA_16discard_iteratorISK_EEEEENSM_IJSG_SG_EEES6_PlJS6_EEE10hipError_tPvRmT3_T4_T5_T6_T7_T9_mT8_P12ihipStream_tbDpT10_ENKUlT_T0_E_clISt17integral_constantIbLb0EES1B_EEDaS16_S17_EUlS16_E_NS1_11comp_targetILNS1_3genE4ELNS1_11target_archE910ELNS1_3gpuE8ELNS1_3repE0EEENS1_30default_config_static_selectorELNS0_4arch9wavefront6targetE1EEEvT1_
	.globl	_ZN7rocprim17ROCPRIM_400000_NS6detail17trampoline_kernelINS0_14default_configENS1_25partition_config_selectorILNS1_17partition_subalgoE1EsNS0_10empty_typeEbEEZZNS1_14partition_implILS5_1ELb0ES3_jN6thrust23THRUST_200600_302600_NS6detail15normal_iteratorINSA_10device_ptrIsEEEEPS6_NSA_18transform_iteratorI7is_evenIsESF_NSA_11use_defaultESK_EENS0_5tupleIJSF_NSA_16discard_iteratorISK_EEEEENSM_IJSG_SG_EEES6_PlJS6_EEE10hipError_tPvRmT3_T4_T5_T6_T7_T9_mT8_P12ihipStream_tbDpT10_ENKUlT_T0_E_clISt17integral_constantIbLb0EES1B_EEDaS16_S17_EUlS16_E_NS1_11comp_targetILNS1_3genE4ELNS1_11target_archE910ELNS1_3gpuE8ELNS1_3repE0EEENS1_30default_config_static_selectorELNS0_4arch9wavefront6targetE1EEEvT1_
	.p2align	8
	.type	_ZN7rocprim17ROCPRIM_400000_NS6detail17trampoline_kernelINS0_14default_configENS1_25partition_config_selectorILNS1_17partition_subalgoE1EsNS0_10empty_typeEbEEZZNS1_14partition_implILS5_1ELb0ES3_jN6thrust23THRUST_200600_302600_NS6detail15normal_iteratorINSA_10device_ptrIsEEEEPS6_NSA_18transform_iteratorI7is_evenIsESF_NSA_11use_defaultESK_EENS0_5tupleIJSF_NSA_16discard_iteratorISK_EEEEENSM_IJSG_SG_EEES6_PlJS6_EEE10hipError_tPvRmT3_T4_T5_T6_T7_T9_mT8_P12ihipStream_tbDpT10_ENKUlT_T0_E_clISt17integral_constantIbLb0EES1B_EEDaS16_S17_EUlS16_E_NS1_11comp_targetILNS1_3genE4ELNS1_11target_archE910ELNS1_3gpuE8ELNS1_3repE0EEENS1_30default_config_static_selectorELNS0_4arch9wavefront6targetE1EEEvT1_,@function
_ZN7rocprim17ROCPRIM_400000_NS6detail17trampoline_kernelINS0_14default_configENS1_25partition_config_selectorILNS1_17partition_subalgoE1EsNS0_10empty_typeEbEEZZNS1_14partition_implILS5_1ELb0ES3_jN6thrust23THRUST_200600_302600_NS6detail15normal_iteratorINSA_10device_ptrIsEEEEPS6_NSA_18transform_iteratorI7is_evenIsESF_NSA_11use_defaultESK_EENS0_5tupleIJSF_NSA_16discard_iteratorISK_EEEEENSM_IJSG_SG_EEES6_PlJS6_EEE10hipError_tPvRmT3_T4_T5_T6_T7_T9_mT8_P12ihipStream_tbDpT10_ENKUlT_T0_E_clISt17integral_constantIbLb0EES1B_EEDaS16_S17_EUlS16_E_NS1_11comp_targetILNS1_3genE4ELNS1_11target_archE910ELNS1_3gpuE8ELNS1_3repE0EEENS1_30default_config_static_selectorELNS0_4arch9wavefront6targetE1EEEvT1_: ; @_ZN7rocprim17ROCPRIM_400000_NS6detail17trampoline_kernelINS0_14default_configENS1_25partition_config_selectorILNS1_17partition_subalgoE1EsNS0_10empty_typeEbEEZZNS1_14partition_implILS5_1ELb0ES3_jN6thrust23THRUST_200600_302600_NS6detail15normal_iteratorINSA_10device_ptrIsEEEEPS6_NSA_18transform_iteratorI7is_evenIsESF_NSA_11use_defaultESK_EENS0_5tupleIJSF_NSA_16discard_iteratorISK_EEEEENSM_IJSG_SG_EEES6_PlJS6_EEE10hipError_tPvRmT3_T4_T5_T6_T7_T9_mT8_P12ihipStream_tbDpT10_ENKUlT_T0_E_clISt17integral_constantIbLb0EES1B_EEDaS16_S17_EUlS16_E_NS1_11comp_targetILNS1_3genE4ELNS1_11target_archE910ELNS1_3gpuE8ELNS1_3repE0EEENS1_30default_config_static_selectorELNS0_4arch9wavefront6targetE1EEEvT1_
; %bb.0:
	.section	.rodata,"a",@progbits
	.p2align	6, 0x0
	.amdhsa_kernel _ZN7rocprim17ROCPRIM_400000_NS6detail17trampoline_kernelINS0_14default_configENS1_25partition_config_selectorILNS1_17partition_subalgoE1EsNS0_10empty_typeEbEEZZNS1_14partition_implILS5_1ELb0ES3_jN6thrust23THRUST_200600_302600_NS6detail15normal_iteratorINSA_10device_ptrIsEEEEPS6_NSA_18transform_iteratorI7is_evenIsESF_NSA_11use_defaultESK_EENS0_5tupleIJSF_NSA_16discard_iteratorISK_EEEEENSM_IJSG_SG_EEES6_PlJS6_EEE10hipError_tPvRmT3_T4_T5_T6_T7_T9_mT8_P12ihipStream_tbDpT10_ENKUlT_T0_E_clISt17integral_constantIbLb0EES1B_EEDaS16_S17_EUlS16_E_NS1_11comp_targetILNS1_3genE4ELNS1_11target_archE910ELNS1_3gpuE8ELNS1_3repE0EEENS1_30default_config_static_selectorELNS0_4arch9wavefront6targetE1EEEvT1_
		.amdhsa_group_segment_fixed_size 0
		.amdhsa_private_segment_fixed_size 0
		.amdhsa_kernarg_size 136
		.amdhsa_user_sgpr_count 2
		.amdhsa_user_sgpr_dispatch_ptr 0
		.amdhsa_user_sgpr_queue_ptr 0
		.amdhsa_user_sgpr_kernarg_segment_ptr 1
		.amdhsa_user_sgpr_dispatch_id 0
		.amdhsa_user_sgpr_kernarg_preload_length 0
		.amdhsa_user_sgpr_kernarg_preload_offset 0
		.amdhsa_user_sgpr_private_segment_size 0
		.amdhsa_uses_dynamic_stack 0
		.amdhsa_enable_private_segment 0
		.amdhsa_system_sgpr_workgroup_id_x 1
		.amdhsa_system_sgpr_workgroup_id_y 0
		.amdhsa_system_sgpr_workgroup_id_z 0
		.amdhsa_system_sgpr_workgroup_info 0
		.amdhsa_system_vgpr_workitem_id 0
		.amdhsa_next_free_vgpr 1
		.amdhsa_next_free_sgpr 0
		.amdhsa_accum_offset 4
		.amdhsa_reserve_vcc 0
		.amdhsa_float_round_mode_32 0
		.amdhsa_float_round_mode_16_64 0
		.amdhsa_float_denorm_mode_32 3
		.amdhsa_float_denorm_mode_16_64 3
		.amdhsa_dx10_clamp 1
		.amdhsa_ieee_mode 1
		.amdhsa_fp16_overflow 0
		.amdhsa_tg_split 0
		.amdhsa_exception_fp_ieee_invalid_op 0
		.amdhsa_exception_fp_denorm_src 0
		.amdhsa_exception_fp_ieee_div_zero 0
		.amdhsa_exception_fp_ieee_overflow 0
		.amdhsa_exception_fp_ieee_underflow 0
		.amdhsa_exception_fp_ieee_inexact 0
		.amdhsa_exception_int_div_zero 0
	.end_amdhsa_kernel
	.section	.text._ZN7rocprim17ROCPRIM_400000_NS6detail17trampoline_kernelINS0_14default_configENS1_25partition_config_selectorILNS1_17partition_subalgoE1EsNS0_10empty_typeEbEEZZNS1_14partition_implILS5_1ELb0ES3_jN6thrust23THRUST_200600_302600_NS6detail15normal_iteratorINSA_10device_ptrIsEEEEPS6_NSA_18transform_iteratorI7is_evenIsESF_NSA_11use_defaultESK_EENS0_5tupleIJSF_NSA_16discard_iteratorISK_EEEEENSM_IJSG_SG_EEES6_PlJS6_EEE10hipError_tPvRmT3_T4_T5_T6_T7_T9_mT8_P12ihipStream_tbDpT10_ENKUlT_T0_E_clISt17integral_constantIbLb0EES1B_EEDaS16_S17_EUlS16_E_NS1_11comp_targetILNS1_3genE4ELNS1_11target_archE910ELNS1_3gpuE8ELNS1_3repE0EEENS1_30default_config_static_selectorELNS0_4arch9wavefront6targetE1EEEvT1_,"axG",@progbits,_ZN7rocprim17ROCPRIM_400000_NS6detail17trampoline_kernelINS0_14default_configENS1_25partition_config_selectorILNS1_17partition_subalgoE1EsNS0_10empty_typeEbEEZZNS1_14partition_implILS5_1ELb0ES3_jN6thrust23THRUST_200600_302600_NS6detail15normal_iteratorINSA_10device_ptrIsEEEEPS6_NSA_18transform_iteratorI7is_evenIsESF_NSA_11use_defaultESK_EENS0_5tupleIJSF_NSA_16discard_iteratorISK_EEEEENSM_IJSG_SG_EEES6_PlJS6_EEE10hipError_tPvRmT3_T4_T5_T6_T7_T9_mT8_P12ihipStream_tbDpT10_ENKUlT_T0_E_clISt17integral_constantIbLb0EES1B_EEDaS16_S17_EUlS16_E_NS1_11comp_targetILNS1_3genE4ELNS1_11target_archE910ELNS1_3gpuE8ELNS1_3repE0EEENS1_30default_config_static_selectorELNS0_4arch9wavefront6targetE1EEEvT1_,comdat
.Lfunc_end3389:
	.size	_ZN7rocprim17ROCPRIM_400000_NS6detail17trampoline_kernelINS0_14default_configENS1_25partition_config_selectorILNS1_17partition_subalgoE1EsNS0_10empty_typeEbEEZZNS1_14partition_implILS5_1ELb0ES3_jN6thrust23THRUST_200600_302600_NS6detail15normal_iteratorINSA_10device_ptrIsEEEEPS6_NSA_18transform_iteratorI7is_evenIsESF_NSA_11use_defaultESK_EENS0_5tupleIJSF_NSA_16discard_iteratorISK_EEEEENSM_IJSG_SG_EEES6_PlJS6_EEE10hipError_tPvRmT3_T4_T5_T6_T7_T9_mT8_P12ihipStream_tbDpT10_ENKUlT_T0_E_clISt17integral_constantIbLb0EES1B_EEDaS16_S17_EUlS16_E_NS1_11comp_targetILNS1_3genE4ELNS1_11target_archE910ELNS1_3gpuE8ELNS1_3repE0EEENS1_30default_config_static_selectorELNS0_4arch9wavefront6targetE1EEEvT1_, .Lfunc_end3389-_ZN7rocprim17ROCPRIM_400000_NS6detail17trampoline_kernelINS0_14default_configENS1_25partition_config_selectorILNS1_17partition_subalgoE1EsNS0_10empty_typeEbEEZZNS1_14partition_implILS5_1ELb0ES3_jN6thrust23THRUST_200600_302600_NS6detail15normal_iteratorINSA_10device_ptrIsEEEEPS6_NSA_18transform_iteratorI7is_evenIsESF_NSA_11use_defaultESK_EENS0_5tupleIJSF_NSA_16discard_iteratorISK_EEEEENSM_IJSG_SG_EEES6_PlJS6_EEE10hipError_tPvRmT3_T4_T5_T6_T7_T9_mT8_P12ihipStream_tbDpT10_ENKUlT_T0_E_clISt17integral_constantIbLb0EES1B_EEDaS16_S17_EUlS16_E_NS1_11comp_targetILNS1_3genE4ELNS1_11target_archE910ELNS1_3gpuE8ELNS1_3repE0EEENS1_30default_config_static_selectorELNS0_4arch9wavefront6targetE1EEEvT1_
                                        ; -- End function
	.section	.AMDGPU.csdata,"",@progbits
; Kernel info:
; codeLenInByte = 0
; NumSgprs: 6
; NumVgprs: 0
; NumAgprs: 0
; TotalNumVgprs: 0
; ScratchSize: 0
; MemoryBound: 0
; FloatMode: 240
; IeeeMode: 1
; LDSByteSize: 0 bytes/workgroup (compile time only)
; SGPRBlocks: 0
; VGPRBlocks: 0
; NumSGPRsForWavesPerEU: 6
; NumVGPRsForWavesPerEU: 1
; AccumOffset: 4
; Occupancy: 8
; WaveLimiterHint : 0
; COMPUTE_PGM_RSRC2:SCRATCH_EN: 0
; COMPUTE_PGM_RSRC2:USER_SGPR: 2
; COMPUTE_PGM_RSRC2:TRAP_HANDLER: 0
; COMPUTE_PGM_RSRC2:TGID_X_EN: 1
; COMPUTE_PGM_RSRC2:TGID_Y_EN: 0
; COMPUTE_PGM_RSRC2:TGID_Z_EN: 0
; COMPUTE_PGM_RSRC2:TIDIG_COMP_CNT: 0
; COMPUTE_PGM_RSRC3_GFX90A:ACCUM_OFFSET: 0
; COMPUTE_PGM_RSRC3_GFX90A:TG_SPLIT: 0
	.section	.text._ZN7rocprim17ROCPRIM_400000_NS6detail17trampoline_kernelINS0_14default_configENS1_25partition_config_selectorILNS1_17partition_subalgoE1EsNS0_10empty_typeEbEEZZNS1_14partition_implILS5_1ELb0ES3_jN6thrust23THRUST_200600_302600_NS6detail15normal_iteratorINSA_10device_ptrIsEEEEPS6_NSA_18transform_iteratorI7is_evenIsESF_NSA_11use_defaultESK_EENS0_5tupleIJSF_NSA_16discard_iteratorISK_EEEEENSM_IJSG_SG_EEES6_PlJS6_EEE10hipError_tPvRmT3_T4_T5_T6_T7_T9_mT8_P12ihipStream_tbDpT10_ENKUlT_T0_E_clISt17integral_constantIbLb0EES1B_EEDaS16_S17_EUlS16_E_NS1_11comp_targetILNS1_3genE3ELNS1_11target_archE908ELNS1_3gpuE7ELNS1_3repE0EEENS1_30default_config_static_selectorELNS0_4arch9wavefront6targetE1EEEvT1_,"axG",@progbits,_ZN7rocprim17ROCPRIM_400000_NS6detail17trampoline_kernelINS0_14default_configENS1_25partition_config_selectorILNS1_17partition_subalgoE1EsNS0_10empty_typeEbEEZZNS1_14partition_implILS5_1ELb0ES3_jN6thrust23THRUST_200600_302600_NS6detail15normal_iteratorINSA_10device_ptrIsEEEEPS6_NSA_18transform_iteratorI7is_evenIsESF_NSA_11use_defaultESK_EENS0_5tupleIJSF_NSA_16discard_iteratorISK_EEEEENSM_IJSG_SG_EEES6_PlJS6_EEE10hipError_tPvRmT3_T4_T5_T6_T7_T9_mT8_P12ihipStream_tbDpT10_ENKUlT_T0_E_clISt17integral_constantIbLb0EES1B_EEDaS16_S17_EUlS16_E_NS1_11comp_targetILNS1_3genE3ELNS1_11target_archE908ELNS1_3gpuE7ELNS1_3repE0EEENS1_30default_config_static_selectorELNS0_4arch9wavefront6targetE1EEEvT1_,comdat
	.protected	_ZN7rocprim17ROCPRIM_400000_NS6detail17trampoline_kernelINS0_14default_configENS1_25partition_config_selectorILNS1_17partition_subalgoE1EsNS0_10empty_typeEbEEZZNS1_14partition_implILS5_1ELb0ES3_jN6thrust23THRUST_200600_302600_NS6detail15normal_iteratorINSA_10device_ptrIsEEEEPS6_NSA_18transform_iteratorI7is_evenIsESF_NSA_11use_defaultESK_EENS0_5tupleIJSF_NSA_16discard_iteratorISK_EEEEENSM_IJSG_SG_EEES6_PlJS6_EEE10hipError_tPvRmT3_T4_T5_T6_T7_T9_mT8_P12ihipStream_tbDpT10_ENKUlT_T0_E_clISt17integral_constantIbLb0EES1B_EEDaS16_S17_EUlS16_E_NS1_11comp_targetILNS1_3genE3ELNS1_11target_archE908ELNS1_3gpuE7ELNS1_3repE0EEENS1_30default_config_static_selectorELNS0_4arch9wavefront6targetE1EEEvT1_ ; -- Begin function _ZN7rocprim17ROCPRIM_400000_NS6detail17trampoline_kernelINS0_14default_configENS1_25partition_config_selectorILNS1_17partition_subalgoE1EsNS0_10empty_typeEbEEZZNS1_14partition_implILS5_1ELb0ES3_jN6thrust23THRUST_200600_302600_NS6detail15normal_iteratorINSA_10device_ptrIsEEEEPS6_NSA_18transform_iteratorI7is_evenIsESF_NSA_11use_defaultESK_EENS0_5tupleIJSF_NSA_16discard_iteratorISK_EEEEENSM_IJSG_SG_EEES6_PlJS6_EEE10hipError_tPvRmT3_T4_T5_T6_T7_T9_mT8_P12ihipStream_tbDpT10_ENKUlT_T0_E_clISt17integral_constantIbLb0EES1B_EEDaS16_S17_EUlS16_E_NS1_11comp_targetILNS1_3genE3ELNS1_11target_archE908ELNS1_3gpuE7ELNS1_3repE0EEENS1_30default_config_static_selectorELNS0_4arch9wavefront6targetE1EEEvT1_
	.globl	_ZN7rocprim17ROCPRIM_400000_NS6detail17trampoline_kernelINS0_14default_configENS1_25partition_config_selectorILNS1_17partition_subalgoE1EsNS0_10empty_typeEbEEZZNS1_14partition_implILS5_1ELb0ES3_jN6thrust23THRUST_200600_302600_NS6detail15normal_iteratorINSA_10device_ptrIsEEEEPS6_NSA_18transform_iteratorI7is_evenIsESF_NSA_11use_defaultESK_EENS0_5tupleIJSF_NSA_16discard_iteratorISK_EEEEENSM_IJSG_SG_EEES6_PlJS6_EEE10hipError_tPvRmT3_T4_T5_T6_T7_T9_mT8_P12ihipStream_tbDpT10_ENKUlT_T0_E_clISt17integral_constantIbLb0EES1B_EEDaS16_S17_EUlS16_E_NS1_11comp_targetILNS1_3genE3ELNS1_11target_archE908ELNS1_3gpuE7ELNS1_3repE0EEENS1_30default_config_static_selectorELNS0_4arch9wavefront6targetE1EEEvT1_
	.p2align	8
	.type	_ZN7rocprim17ROCPRIM_400000_NS6detail17trampoline_kernelINS0_14default_configENS1_25partition_config_selectorILNS1_17partition_subalgoE1EsNS0_10empty_typeEbEEZZNS1_14partition_implILS5_1ELb0ES3_jN6thrust23THRUST_200600_302600_NS6detail15normal_iteratorINSA_10device_ptrIsEEEEPS6_NSA_18transform_iteratorI7is_evenIsESF_NSA_11use_defaultESK_EENS0_5tupleIJSF_NSA_16discard_iteratorISK_EEEEENSM_IJSG_SG_EEES6_PlJS6_EEE10hipError_tPvRmT3_T4_T5_T6_T7_T9_mT8_P12ihipStream_tbDpT10_ENKUlT_T0_E_clISt17integral_constantIbLb0EES1B_EEDaS16_S17_EUlS16_E_NS1_11comp_targetILNS1_3genE3ELNS1_11target_archE908ELNS1_3gpuE7ELNS1_3repE0EEENS1_30default_config_static_selectorELNS0_4arch9wavefront6targetE1EEEvT1_,@function
_ZN7rocprim17ROCPRIM_400000_NS6detail17trampoline_kernelINS0_14default_configENS1_25partition_config_selectorILNS1_17partition_subalgoE1EsNS0_10empty_typeEbEEZZNS1_14partition_implILS5_1ELb0ES3_jN6thrust23THRUST_200600_302600_NS6detail15normal_iteratorINSA_10device_ptrIsEEEEPS6_NSA_18transform_iteratorI7is_evenIsESF_NSA_11use_defaultESK_EENS0_5tupleIJSF_NSA_16discard_iteratorISK_EEEEENSM_IJSG_SG_EEES6_PlJS6_EEE10hipError_tPvRmT3_T4_T5_T6_T7_T9_mT8_P12ihipStream_tbDpT10_ENKUlT_T0_E_clISt17integral_constantIbLb0EES1B_EEDaS16_S17_EUlS16_E_NS1_11comp_targetILNS1_3genE3ELNS1_11target_archE908ELNS1_3gpuE7ELNS1_3repE0EEENS1_30default_config_static_selectorELNS0_4arch9wavefront6targetE1EEEvT1_: ; @_ZN7rocprim17ROCPRIM_400000_NS6detail17trampoline_kernelINS0_14default_configENS1_25partition_config_selectorILNS1_17partition_subalgoE1EsNS0_10empty_typeEbEEZZNS1_14partition_implILS5_1ELb0ES3_jN6thrust23THRUST_200600_302600_NS6detail15normal_iteratorINSA_10device_ptrIsEEEEPS6_NSA_18transform_iteratorI7is_evenIsESF_NSA_11use_defaultESK_EENS0_5tupleIJSF_NSA_16discard_iteratorISK_EEEEENSM_IJSG_SG_EEES6_PlJS6_EEE10hipError_tPvRmT3_T4_T5_T6_T7_T9_mT8_P12ihipStream_tbDpT10_ENKUlT_T0_E_clISt17integral_constantIbLb0EES1B_EEDaS16_S17_EUlS16_E_NS1_11comp_targetILNS1_3genE3ELNS1_11target_archE908ELNS1_3gpuE7ELNS1_3repE0EEENS1_30default_config_static_selectorELNS0_4arch9wavefront6targetE1EEEvT1_
; %bb.0:
	.section	.rodata,"a",@progbits
	.p2align	6, 0x0
	.amdhsa_kernel _ZN7rocprim17ROCPRIM_400000_NS6detail17trampoline_kernelINS0_14default_configENS1_25partition_config_selectorILNS1_17partition_subalgoE1EsNS0_10empty_typeEbEEZZNS1_14partition_implILS5_1ELb0ES3_jN6thrust23THRUST_200600_302600_NS6detail15normal_iteratorINSA_10device_ptrIsEEEEPS6_NSA_18transform_iteratorI7is_evenIsESF_NSA_11use_defaultESK_EENS0_5tupleIJSF_NSA_16discard_iteratorISK_EEEEENSM_IJSG_SG_EEES6_PlJS6_EEE10hipError_tPvRmT3_T4_T5_T6_T7_T9_mT8_P12ihipStream_tbDpT10_ENKUlT_T0_E_clISt17integral_constantIbLb0EES1B_EEDaS16_S17_EUlS16_E_NS1_11comp_targetILNS1_3genE3ELNS1_11target_archE908ELNS1_3gpuE7ELNS1_3repE0EEENS1_30default_config_static_selectorELNS0_4arch9wavefront6targetE1EEEvT1_
		.amdhsa_group_segment_fixed_size 0
		.amdhsa_private_segment_fixed_size 0
		.amdhsa_kernarg_size 136
		.amdhsa_user_sgpr_count 2
		.amdhsa_user_sgpr_dispatch_ptr 0
		.amdhsa_user_sgpr_queue_ptr 0
		.amdhsa_user_sgpr_kernarg_segment_ptr 1
		.amdhsa_user_sgpr_dispatch_id 0
		.amdhsa_user_sgpr_kernarg_preload_length 0
		.amdhsa_user_sgpr_kernarg_preload_offset 0
		.amdhsa_user_sgpr_private_segment_size 0
		.amdhsa_uses_dynamic_stack 0
		.amdhsa_enable_private_segment 0
		.amdhsa_system_sgpr_workgroup_id_x 1
		.amdhsa_system_sgpr_workgroup_id_y 0
		.amdhsa_system_sgpr_workgroup_id_z 0
		.amdhsa_system_sgpr_workgroup_info 0
		.amdhsa_system_vgpr_workitem_id 0
		.amdhsa_next_free_vgpr 1
		.amdhsa_next_free_sgpr 0
		.amdhsa_accum_offset 4
		.amdhsa_reserve_vcc 0
		.amdhsa_float_round_mode_32 0
		.amdhsa_float_round_mode_16_64 0
		.amdhsa_float_denorm_mode_32 3
		.amdhsa_float_denorm_mode_16_64 3
		.amdhsa_dx10_clamp 1
		.amdhsa_ieee_mode 1
		.amdhsa_fp16_overflow 0
		.amdhsa_tg_split 0
		.amdhsa_exception_fp_ieee_invalid_op 0
		.amdhsa_exception_fp_denorm_src 0
		.amdhsa_exception_fp_ieee_div_zero 0
		.amdhsa_exception_fp_ieee_overflow 0
		.amdhsa_exception_fp_ieee_underflow 0
		.amdhsa_exception_fp_ieee_inexact 0
		.amdhsa_exception_int_div_zero 0
	.end_amdhsa_kernel
	.section	.text._ZN7rocprim17ROCPRIM_400000_NS6detail17trampoline_kernelINS0_14default_configENS1_25partition_config_selectorILNS1_17partition_subalgoE1EsNS0_10empty_typeEbEEZZNS1_14partition_implILS5_1ELb0ES3_jN6thrust23THRUST_200600_302600_NS6detail15normal_iteratorINSA_10device_ptrIsEEEEPS6_NSA_18transform_iteratorI7is_evenIsESF_NSA_11use_defaultESK_EENS0_5tupleIJSF_NSA_16discard_iteratorISK_EEEEENSM_IJSG_SG_EEES6_PlJS6_EEE10hipError_tPvRmT3_T4_T5_T6_T7_T9_mT8_P12ihipStream_tbDpT10_ENKUlT_T0_E_clISt17integral_constantIbLb0EES1B_EEDaS16_S17_EUlS16_E_NS1_11comp_targetILNS1_3genE3ELNS1_11target_archE908ELNS1_3gpuE7ELNS1_3repE0EEENS1_30default_config_static_selectorELNS0_4arch9wavefront6targetE1EEEvT1_,"axG",@progbits,_ZN7rocprim17ROCPRIM_400000_NS6detail17trampoline_kernelINS0_14default_configENS1_25partition_config_selectorILNS1_17partition_subalgoE1EsNS0_10empty_typeEbEEZZNS1_14partition_implILS5_1ELb0ES3_jN6thrust23THRUST_200600_302600_NS6detail15normal_iteratorINSA_10device_ptrIsEEEEPS6_NSA_18transform_iteratorI7is_evenIsESF_NSA_11use_defaultESK_EENS0_5tupleIJSF_NSA_16discard_iteratorISK_EEEEENSM_IJSG_SG_EEES6_PlJS6_EEE10hipError_tPvRmT3_T4_T5_T6_T7_T9_mT8_P12ihipStream_tbDpT10_ENKUlT_T0_E_clISt17integral_constantIbLb0EES1B_EEDaS16_S17_EUlS16_E_NS1_11comp_targetILNS1_3genE3ELNS1_11target_archE908ELNS1_3gpuE7ELNS1_3repE0EEENS1_30default_config_static_selectorELNS0_4arch9wavefront6targetE1EEEvT1_,comdat
.Lfunc_end3390:
	.size	_ZN7rocprim17ROCPRIM_400000_NS6detail17trampoline_kernelINS0_14default_configENS1_25partition_config_selectorILNS1_17partition_subalgoE1EsNS0_10empty_typeEbEEZZNS1_14partition_implILS5_1ELb0ES3_jN6thrust23THRUST_200600_302600_NS6detail15normal_iteratorINSA_10device_ptrIsEEEEPS6_NSA_18transform_iteratorI7is_evenIsESF_NSA_11use_defaultESK_EENS0_5tupleIJSF_NSA_16discard_iteratorISK_EEEEENSM_IJSG_SG_EEES6_PlJS6_EEE10hipError_tPvRmT3_T4_T5_T6_T7_T9_mT8_P12ihipStream_tbDpT10_ENKUlT_T0_E_clISt17integral_constantIbLb0EES1B_EEDaS16_S17_EUlS16_E_NS1_11comp_targetILNS1_3genE3ELNS1_11target_archE908ELNS1_3gpuE7ELNS1_3repE0EEENS1_30default_config_static_selectorELNS0_4arch9wavefront6targetE1EEEvT1_, .Lfunc_end3390-_ZN7rocprim17ROCPRIM_400000_NS6detail17trampoline_kernelINS0_14default_configENS1_25partition_config_selectorILNS1_17partition_subalgoE1EsNS0_10empty_typeEbEEZZNS1_14partition_implILS5_1ELb0ES3_jN6thrust23THRUST_200600_302600_NS6detail15normal_iteratorINSA_10device_ptrIsEEEEPS6_NSA_18transform_iteratorI7is_evenIsESF_NSA_11use_defaultESK_EENS0_5tupleIJSF_NSA_16discard_iteratorISK_EEEEENSM_IJSG_SG_EEES6_PlJS6_EEE10hipError_tPvRmT3_T4_T5_T6_T7_T9_mT8_P12ihipStream_tbDpT10_ENKUlT_T0_E_clISt17integral_constantIbLb0EES1B_EEDaS16_S17_EUlS16_E_NS1_11comp_targetILNS1_3genE3ELNS1_11target_archE908ELNS1_3gpuE7ELNS1_3repE0EEENS1_30default_config_static_selectorELNS0_4arch9wavefront6targetE1EEEvT1_
                                        ; -- End function
	.section	.AMDGPU.csdata,"",@progbits
; Kernel info:
; codeLenInByte = 0
; NumSgprs: 6
; NumVgprs: 0
; NumAgprs: 0
; TotalNumVgprs: 0
; ScratchSize: 0
; MemoryBound: 0
; FloatMode: 240
; IeeeMode: 1
; LDSByteSize: 0 bytes/workgroup (compile time only)
; SGPRBlocks: 0
; VGPRBlocks: 0
; NumSGPRsForWavesPerEU: 6
; NumVGPRsForWavesPerEU: 1
; AccumOffset: 4
; Occupancy: 8
; WaveLimiterHint : 0
; COMPUTE_PGM_RSRC2:SCRATCH_EN: 0
; COMPUTE_PGM_RSRC2:USER_SGPR: 2
; COMPUTE_PGM_RSRC2:TRAP_HANDLER: 0
; COMPUTE_PGM_RSRC2:TGID_X_EN: 1
; COMPUTE_PGM_RSRC2:TGID_Y_EN: 0
; COMPUTE_PGM_RSRC2:TGID_Z_EN: 0
; COMPUTE_PGM_RSRC2:TIDIG_COMP_CNT: 0
; COMPUTE_PGM_RSRC3_GFX90A:ACCUM_OFFSET: 0
; COMPUTE_PGM_RSRC3_GFX90A:TG_SPLIT: 0
	.section	.text._ZN7rocprim17ROCPRIM_400000_NS6detail17trampoline_kernelINS0_14default_configENS1_25partition_config_selectorILNS1_17partition_subalgoE1EsNS0_10empty_typeEbEEZZNS1_14partition_implILS5_1ELb0ES3_jN6thrust23THRUST_200600_302600_NS6detail15normal_iteratorINSA_10device_ptrIsEEEEPS6_NSA_18transform_iteratorI7is_evenIsESF_NSA_11use_defaultESK_EENS0_5tupleIJSF_NSA_16discard_iteratorISK_EEEEENSM_IJSG_SG_EEES6_PlJS6_EEE10hipError_tPvRmT3_T4_T5_T6_T7_T9_mT8_P12ihipStream_tbDpT10_ENKUlT_T0_E_clISt17integral_constantIbLb0EES1B_EEDaS16_S17_EUlS16_E_NS1_11comp_targetILNS1_3genE2ELNS1_11target_archE906ELNS1_3gpuE6ELNS1_3repE0EEENS1_30default_config_static_selectorELNS0_4arch9wavefront6targetE1EEEvT1_,"axG",@progbits,_ZN7rocprim17ROCPRIM_400000_NS6detail17trampoline_kernelINS0_14default_configENS1_25partition_config_selectorILNS1_17partition_subalgoE1EsNS0_10empty_typeEbEEZZNS1_14partition_implILS5_1ELb0ES3_jN6thrust23THRUST_200600_302600_NS6detail15normal_iteratorINSA_10device_ptrIsEEEEPS6_NSA_18transform_iteratorI7is_evenIsESF_NSA_11use_defaultESK_EENS0_5tupleIJSF_NSA_16discard_iteratorISK_EEEEENSM_IJSG_SG_EEES6_PlJS6_EEE10hipError_tPvRmT3_T4_T5_T6_T7_T9_mT8_P12ihipStream_tbDpT10_ENKUlT_T0_E_clISt17integral_constantIbLb0EES1B_EEDaS16_S17_EUlS16_E_NS1_11comp_targetILNS1_3genE2ELNS1_11target_archE906ELNS1_3gpuE6ELNS1_3repE0EEENS1_30default_config_static_selectorELNS0_4arch9wavefront6targetE1EEEvT1_,comdat
	.protected	_ZN7rocprim17ROCPRIM_400000_NS6detail17trampoline_kernelINS0_14default_configENS1_25partition_config_selectorILNS1_17partition_subalgoE1EsNS0_10empty_typeEbEEZZNS1_14partition_implILS5_1ELb0ES3_jN6thrust23THRUST_200600_302600_NS6detail15normal_iteratorINSA_10device_ptrIsEEEEPS6_NSA_18transform_iteratorI7is_evenIsESF_NSA_11use_defaultESK_EENS0_5tupleIJSF_NSA_16discard_iteratorISK_EEEEENSM_IJSG_SG_EEES6_PlJS6_EEE10hipError_tPvRmT3_T4_T5_T6_T7_T9_mT8_P12ihipStream_tbDpT10_ENKUlT_T0_E_clISt17integral_constantIbLb0EES1B_EEDaS16_S17_EUlS16_E_NS1_11comp_targetILNS1_3genE2ELNS1_11target_archE906ELNS1_3gpuE6ELNS1_3repE0EEENS1_30default_config_static_selectorELNS0_4arch9wavefront6targetE1EEEvT1_ ; -- Begin function _ZN7rocprim17ROCPRIM_400000_NS6detail17trampoline_kernelINS0_14default_configENS1_25partition_config_selectorILNS1_17partition_subalgoE1EsNS0_10empty_typeEbEEZZNS1_14partition_implILS5_1ELb0ES3_jN6thrust23THRUST_200600_302600_NS6detail15normal_iteratorINSA_10device_ptrIsEEEEPS6_NSA_18transform_iteratorI7is_evenIsESF_NSA_11use_defaultESK_EENS0_5tupleIJSF_NSA_16discard_iteratorISK_EEEEENSM_IJSG_SG_EEES6_PlJS6_EEE10hipError_tPvRmT3_T4_T5_T6_T7_T9_mT8_P12ihipStream_tbDpT10_ENKUlT_T0_E_clISt17integral_constantIbLb0EES1B_EEDaS16_S17_EUlS16_E_NS1_11comp_targetILNS1_3genE2ELNS1_11target_archE906ELNS1_3gpuE6ELNS1_3repE0EEENS1_30default_config_static_selectorELNS0_4arch9wavefront6targetE1EEEvT1_
	.globl	_ZN7rocprim17ROCPRIM_400000_NS6detail17trampoline_kernelINS0_14default_configENS1_25partition_config_selectorILNS1_17partition_subalgoE1EsNS0_10empty_typeEbEEZZNS1_14partition_implILS5_1ELb0ES3_jN6thrust23THRUST_200600_302600_NS6detail15normal_iteratorINSA_10device_ptrIsEEEEPS6_NSA_18transform_iteratorI7is_evenIsESF_NSA_11use_defaultESK_EENS0_5tupleIJSF_NSA_16discard_iteratorISK_EEEEENSM_IJSG_SG_EEES6_PlJS6_EEE10hipError_tPvRmT3_T4_T5_T6_T7_T9_mT8_P12ihipStream_tbDpT10_ENKUlT_T0_E_clISt17integral_constantIbLb0EES1B_EEDaS16_S17_EUlS16_E_NS1_11comp_targetILNS1_3genE2ELNS1_11target_archE906ELNS1_3gpuE6ELNS1_3repE0EEENS1_30default_config_static_selectorELNS0_4arch9wavefront6targetE1EEEvT1_
	.p2align	8
	.type	_ZN7rocprim17ROCPRIM_400000_NS6detail17trampoline_kernelINS0_14default_configENS1_25partition_config_selectorILNS1_17partition_subalgoE1EsNS0_10empty_typeEbEEZZNS1_14partition_implILS5_1ELb0ES3_jN6thrust23THRUST_200600_302600_NS6detail15normal_iteratorINSA_10device_ptrIsEEEEPS6_NSA_18transform_iteratorI7is_evenIsESF_NSA_11use_defaultESK_EENS0_5tupleIJSF_NSA_16discard_iteratorISK_EEEEENSM_IJSG_SG_EEES6_PlJS6_EEE10hipError_tPvRmT3_T4_T5_T6_T7_T9_mT8_P12ihipStream_tbDpT10_ENKUlT_T0_E_clISt17integral_constantIbLb0EES1B_EEDaS16_S17_EUlS16_E_NS1_11comp_targetILNS1_3genE2ELNS1_11target_archE906ELNS1_3gpuE6ELNS1_3repE0EEENS1_30default_config_static_selectorELNS0_4arch9wavefront6targetE1EEEvT1_,@function
_ZN7rocprim17ROCPRIM_400000_NS6detail17trampoline_kernelINS0_14default_configENS1_25partition_config_selectorILNS1_17partition_subalgoE1EsNS0_10empty_typeEbEEZZNS1_14partition_implILS5_1ELb0ES3_jN6thrust23THRUST_200600_302600_NS6detail15normal_iteratorINSA_10device_ptrIsEEEEPS6_NSA_18transform_iteratorI7is_evenIsESF_NSA_11use_defaultESK_EENS0_5tupleIJSF_NSA_16discard_iteratorISK_EEEEENSM_IJSG_SG_EEES6_PlJS6_EEE10hipError_tPvRmT3_T4_T5_T6_T7_T9_mT8_P12ihipStream_tbDpT10_ENKUlT_T0_E_clISt17integral_constantIbLb0EES1B_EEDaS16_S17_EUlS16_E_NS1_11comp_targetILNS1_3genE2ELNS1_11target_archE906ELNS1_3gpuE6ELNS1_3repE0EEENS1_30default_config_static_selectorELNS0_4arch9wavefront6targetE1EEEvT1_: ; @_ZN7rocprim17ROCPRIM_400000_NS6detail17trampoline_kernelINS0_14default_configENS1_25partition_config_selectorILNS1_17partition_subalgoE1EsNS0_10empty_typeEbEEZZNS1_14partition_implILS5_1ELb0ES3_jN6thrust23THRUST_200600_302600_NS6detail15normal_iteratorINSA_10device_ptrIsEEEEPS6_NSA_18transform_iteratorI7is_evenIsESF_NSA_11use_defaultESK_EENS0_5tupleIJSF_NSA_16discard_iteratorISK_EEEEENSM_IJSG_SG_EEES6_PlJS6_EEE10hipError_tPvRmT3_T4_T5_T6_T7_T9_mT8_P12ihipStream_tbDpT10_ENKUlT_T0_E_clISt17integral_constantIbLb0EES1B_EEDaS16_S17_EUlS16_E_NS1_11comp_targetILNS1_3genE2ELNS1_11target_archE906ELNS1_3gpuE6ELNS1_3repE0EEENS1_30default_config_static_selectorELNS0_4arch9wavefront6targetE1EEEvT1_
; %bb.0:
	.section	.rodata,"a",@progbits
	.p2align	6, 0x0
	.amdhsa_kernel _ZN7rocprim17ROCPRIM_400000_NS6detail17trampoline_kernelINS0_14default_configENS1_25partition_config_selectorILNS1_17partition_subalgoE1EsNS0_10empty_typeEbEEZZNS1_14partition_implILS5_1ELb0ES3_jN6thrust23THRUST_200600_302600_NS6detail15normal_iteratorINSA_10device_ptrIsEEEEPS6_NSA_18transform_iteratorI7is_evenIsESF_NSA_11use_defaultESK_EENS0_5tupleIJSF_NSA_16discard_iteratorISK_EEEEENSM_IJSG_SG_EEES6_PlJS6_EEE10hipError_tPvRmT3_T4_T5_T6_T7_T9_mT8_P12ihipStream_tbDpT10_ENKUlT_T0_E_clISt17integral_constantIbLb0EES1B_EEDaS16_S17_EUlS16_E_NS1_11comp_targetILNS1_3genE2ELNS1_11target_archE906ELNS1_3gpuE6ELNS1_3repE0EEENS1_30default_config_static_selectorELNS0_4arch9wavefront6targetE1EEEvT1_
		.amdhsa_group_segment_fixed_size 0
		.amdhsa_private_segment_fixed_size 0
		.amdhsa_kernarg_size 136
		.amdhsa_user_sgpr_count 2
		.amdhsa_user_sgpr_dispatch_ptr 0
		.amdhsa_user_sgpr_queue_ptr 0
		.amdhsa_user_sgpr_kernarg_segment_ptr 1
		.amdhsa_user_sgpr_dispatch_id 0
		.amdhsa_user_sgpr_kernarg_preload_length 0
		.amdhsa_user_sgpr_kernarg_preload_offset 0
		.amdhsa_user_sgpr_private_segment_size 0
		.amdhsa_uses_dynamic_stack 0
		.amdhsa_enable_private_segment 0
		.amdhsa_system_sgpr_workgroup_id_x 1
		.amdhsa_system_sgpr_workgroup_id_y 0
		.amdhsa_system_sgpr_workgroup_id_z 0
		.amdhsa_system_sgpr_workgroup_info 0
		.amdhsa_system_vgpr_workitem_id 0
		.amdhsa_next_free_vgpr 1
		.amdhsa_next_free_sgpr 0
		.amdhsa_accum_offset 4
		.amdhsa_reserve_vcc 0
		.amdhsa_float_round_mode_32 0
		.amdhsa_float_round_mode_16_64 0
		.amdhsa_float_denorm_mode_32 3
		.amdhsa_float_denorm_mode_16_64 3
		.amdhsa_dx10_clamp 1
		.amdhsa_ieee_mode 1
		.amdhsa_fp16_overflow 0
		.amdhsa_tg_split 0
		.amdhsa_exception_fp_ieee_invalid_op 0
		.amdhsa_exception_fp_denorm_src 0
		.amdhsa_exception_fp_ieee_div_zero 0
		.amdhsa_exception_fp_ieee_overflow 0
		.amdhsa_exception_fp_ieee_underflow 0
		.amdhsa_exception_fp_ieee_inexact 0
		.amdhsa_exception_int_div_zero 0
	.end_amdhsa_kernel
	.section	.text._ZN7rocprim17ROCPRIM_400000_NS6detail17trampoline_kernelINS0_14default_configENS1_25partition_config_selectorILNS1_17partition_subalgoE1EsNS0_10empty_typeEbEEZZNS1_14partition_implILS5_1ELb0ES3_jN6thrust23THRUST_200600_302600_NS6detail15normal_iteratorINSA_10device_ptrIsEEEEPS6_NSA_18transform_iteratorI7is_evenIsESF_NSA_11use_defaultESK_EENS0_5tupleIJSF_NSA_16discard_iteratorISK_EEEEENSM_IJSG_SG_EEES6_PlJS6_EEE10hipError_tPvRmT3_T4_T5_T6_T7_T9_mT8_P12ihipStream_tbDpT10_ENKUlT_T0_E_clISt17integral_constantIbLb0EES1B_EEDaS16_S17_EUlS16_E_NS1_11comp_targetILNS1_3genE2ELNS1_11target_archE906ELNS1_3gpuE6ELNS1_3repE0EEENS1_30default_config_static_selectorELNS0_4arch9wavefront6targetE1EEEvT1_,"axG",@progbits,_ZN7rocprim17ROCPRIM_400000_NS6detail17trampoline_kernelINS0_14default_configENS1_25partition_config_selectorILNS1_17partition_subalgoE1EsNS0_10empty_typeEbEEZZNS1_14partition_implILS5_1ELb0ES3_jN6thrust23THRUST_200600_302600_NS6detail15normal_iteratorINSA_10device_ptrIsEEEEPS6_NSA_18transform_iteratorI7is_evenIsESF_NSA_11use_defaultESK_EENS0_5tupleIJSF_NSA_16discard_iteratorISK_EEEEENSM_IJSG_SG_EEES6_PlJS6_EEE10hipError_tPvRmT3_T4_T5_T6_T7_T9_mT8_P12ihipStream_tbDpT10_ENKUlT_T0_E_clISt17integral_constantIbLb0EES1B_EEDaS16_S17_EUlS16_E_NS1_11comp_targetILNS1_3genE2ELNS1_11target_archE906ELNS1_3gpuE6ELNS1_3repE0EEENS1_30default_config_static_selectorELNS0_4arch9wavefront6targetE1EEEvT1_,comdat
.Lfunc_end3391:
	.size	_ZN7rocprim17ROCPRIM_400000_NS6detail17trampoline_kernelINS0_14default_configENS1_25partition_config_selectorILNS1_17partition_subalgoE1EsNS0_10empty_typeEbEEZZNS1_14partition_implILS5_1ELb0ES3_jN6thrust23THRUST_200600_302600_NS6detail15normal_iteratorINSA_10device_ptrIsEEEEPS6_NSA_18transform_iteratorI7is_evenIsESF_NSA_11use_defaultESK_EENS0_5tupleIJSF_NSA_16discard_iteratorISK_EEEEENSM_IJSG_SG_EEES6_PlJS6_EEE10hipError_tPvRmT3_T4_T5_T6_T7_T9_mT8_P12ihipStream_tbDpT10_ENKUlT_T0_E_clISt17integral_constantIbLb0EES1B_EEDaS16_S17_EUlS16_E_NS1_11comp_targetILNS1_3genE2ELNS1_11target_archE906ELNS1_3gpuE6ELNS1_3repE0EEENS1_30default_config_static_selectorELNS0_4arch9wavefront6targetE1EEEvT1_, .Lfunc_end3391-_ZN7rocprim17ROCPRIM_400000_NS6detail17trampoline_kernelINS0_14default_configENS1_25partition_config_selectorILNS1_17partition_subalgoE1EsNS0_10empty_typeEbEEZZNS1_14partition_implILS5_1ELb0ES3_jN6thrust23THRUST_200600_302600_NS6detail15normal_iteratorINSA_10device_ptrIsEEEEPS6_NSA_18transform_iteratorI7is_evenIsESF_NSA_11use_defaultESK_EENS0_5tupleIJSF_NSA_16discard_iteratorISK_EEEEENSM_IJSG_SG_EEES6_PlJS6_EEE10hipError_tPvRmT3_T4_T5_T6_T7_T9_mT8_P12ihipStream_tbDpT10_ENKUlT_T0_E_clISt17integral_constantIbLb0EES1B_EEDaS16_S17_EUlS16_E_NS1_11comp_targetILNS1_3genE2ELNS1_11target_archE906ELNS1_3gpuE6ELNS1_3repE0EEENS1_30default_config_static_selectorELNS0_4arch9wavefront6targetE1EEEvT1_
                                        ; -- End function
	.section	.AMDGPU.csdata,"",@progbits
; Kernel info:
; codeLenInByte = 0
; NumSgprs: 6
; NumVgprs: 0
; NumAgprs: 0
; TotalNumVgprs: 0
; ScratchSize: 0
; MemoryBound: 0
; FloatMode: 240
; IeeeMode: 1
; LDSByteSize: 0 bytes/workgroup (compile time only)
; SGPRBlocks: 0
; VGPRBlocks: 0
; NumSGPRsForWavesPerEU: 6
; NumVGPRsForWavesPerEU: 1
; AccumOffset: 4
; Occupancy: 8
; WaveLimiterHint : 0
; COMPUTE_PGM_RSRC2:SCRATCH_EN: 0
; COMPUTE_PGM_RSRC2:USER_SGPR: 2
; COMPUTE_PGM_RSRC2:TRAP_HANDLER: 0
; COMPUTE_PGM_RSRC2:TGID_X_EN: 1
; COMPUTE_PGM_RSRC2:TGID_Y_EN: 0
; COMPUTE_PGM_RSRC2:TGID_Z_EN: 0
; COMPUTE_PGM_RSRC2:TIDIG_COMP_CNT: 0
; COMPUTE_PGM_RSRC3_GFX90A:ACCUM_OFFSET: 0
; COMPUTE_PGM_RSRC3_GFX90A:TG_SPLIT: 0
	.section	.text._ZN7rocprim17ROCPRIM_400000_NS6detail17trampoline_kernelINS0_14default_configENS1_25partition_config_selectorILNS1_17partition_subalgoE1EsNS0_10empty_typeEbEEZZNS1_14partition_implILS5_1ELb0ES3_jN6thrust23THRUST_200600_302600_NS6detail15normal_iteratorINSA_10device_ptrIsEEEEPS6_NSA_18transform_iteratorI7is_evenIsESF_NSA_11use_defaultESK_EENS0_5tupleIJSF_NSA_16discard_iteratorISK_EEEEENSM_IJSG_SG_EEES6_PlJS6_EEE10hipError_tPvRmT3_T4_T5_T6_T7_T9_mT8_P12ihipStream_tbDpT10_ENKUlT_T0_E_clISt17integral_constantIbLb0EES1B_EEDaS16_S17_EUlS16_E_NS1_11comp_targetILNS1_3genE10ELNS1_11target_archE1200ELNS1_3gpuE4ELNS1_3repE0EEENS1_30default_config_static_selectorELNS0_4arch9wavefront6targetE1EEEvT1_,"axG",@progbits,_ZN7rocprim17ROCPRIM_400000_NS6detail17trampoline_kernelINS0_14default_configENS1_25partition_config_selectorILNS1_17partition_subalgoE1EsNS0_10empty_typeEbEEZZNS1_14partition_implILS5_1ELb0ES3_jN6thrust23THRUST_200600_302600_NS6detail15normal_iteratorINSA_10device_ptrIsEEEEPS6_NSA_18transform_iteratorI7is_evenIsESF_NSA_11use_defaultESK_EENS0_5tupleIJSF_NSA_16discard_iteratorISK_EEEEENSM_IJSG_SG_EEES6_PlJS6_EEE10hipError_tPvRmT3_T4_T5_T6_T7_T9_mT8_P12ihipStream_tbDpT10_ENKUlT_T0_E_clISt17integral_constantIbLb0EES1B_EEDaS16_S17_EUlS16_E_NS1_11comp_targetILNS1_3genE10ELNS1_11target_archE1200ELNS1_3gpuE4ELNS1_3repE0EEENS1_30default_config_static_selectorELNS0_4arch9wavefront6targetE1EEEvT1_,comdat
	.protected	_ZN7rocprim17ROCPRIM_400000_NS6detail17trampoline_kernelINS0_14default_configENS1_25partition_config_selectorILNS1_17partition_subalgoE1EsNS0_10empty_typeEbEEZZNS1_14partition_implILS5_1ELb0ES3_jN6thrust23THRUST_200600_302600_NS6detail15normal_iteratorINSA_10device_ptrIsEEEEPS6_NSA_18transform_iteratorI7is_evenIsESF_NSA_11use_defaultESK_EENS0_5tupleIJSF_NSA_16discard_iteratorISK_EEEEENSM_IJSG_SG_EEES6_PlJS6_EEE10hipError_tPvRmT3_T4_T5_T6_T7_T9_mT8_P12ihipStream_tbDpT10_ENKUlT_T0_E_clISt17integral_constantIbLb0EES1B_EEDaS16_S17_EUlS16_E_NS1_11comp_targetILNS1_3genE10ELNS1_11target_archE1200ELNS1_3gpuE4ELNS1_3repE0EEENS1_30default_config_static_selectorELNS0_4arch9wavefront6targetE1EEEvT1_ ; -- Begin function _ZN7rocprim17ROCPRIM_400000_NS6detail17trampoline_kernelINS0_14default_configENS1_25partition_config_selectorILNS1_17partition_subalgoE1EsNS0_10empty_typeEbEEZZNS1_14partition_implILS5_1ELb0ES3_jN6thrust23THRUST_200600_302600_NS6detail15normal_iteratorINSA_10device_ptrIsEEEEPS6_NSA_18transform_iteratorI7is_evenIsESF_NSA_11use_defaultESK_EENS0_5tupleIJSF_NSA_16discard_iteratorISK_EEEEENSM_IJSG_SG_EEES6_PlJS6_EEE10hipError_tPvRmT3_T4_T5_T6_T7_T9_mT8_P12ihipStream_tbDpT10_ENKUlT_T0_E_clISt17integral_constantIbLb0EES1B_EEDaS16_S17_EUlS16_E_NS1_11comp_targetILNS1_3genE10ELNS1_11target_archE1200ELNS1_3gpuE4ELNS1_3repE0EEENS1_30default_config_static_selectorELNS0_4arch9wavefront6targetE1EEEvT1_
	.globl	_ZN7rocprim17ROCPRIM_400000_NS6detail17trampoline_kernelINS0_14default_configENS1_25partition_config_selectorILNS1_17partition_subalgoE1EsNS0_10empty_typeEbEEZZNS1_14partition_implILS5_1ELb0ES3_jN6thrust23THRUST_200600_302600_NS6detail15normal_iteratorINSA_10device_ptrIsEEEEPS6_NSA_18transform_iteratorI7is_evenIsESF_NSA_11use_defaultESK_EENS0_5tupleIJSF_NSA_16discard_iteratorISK_EEEEENSM_IJSG_SG_EEES6_PlJS6_EEE10hipError_tPvRmT3_T4_T5_T6_T7_T9_mT8_P12ihipStream_tbDpT10_ENKUlT_T0_E_clISt17integral_constantIbLb0EES1B_EEDaS16_S17_EUlS16_E_NS1_11comp_targetILNS1_3genE10ELNS1_11target_archE1200ELNS1_3gpuE4ELNS1_3repE0EEENS1_30default_config_static_selectorELNS0_4arch9wavefront6targetE1EEEvT1_
	.p2align	8
	.type	_ZN7rocprim17ROCPRIM_400000_NS6detail17trampoline_kernelINS0_14default_configENS1_25partition_config_selectorILNS1_17partition_subalgoE1EsNS0_10empty_typeEbEEZZNS1_14partition_implILS5_1ELb0ES3_jN6thrust23THRUST_200600_302600_NS6detail15normal_iteratorINSA_10device_ptrIsEEEEPS6_NSA_18transform_iteratorI7is_evenIsESF_NSA_11use_defaultESK_EENS0_5tupleIJSF_NSA_16discard_iteratorISK_EEEEENSM_IJSG_SG_EEES6_PlJS6_EEE10hipError_tPvRmT3_T4_T5_T6_T7_T9_mT8_P12ihipStream_tbDpT10_ENKUlT_T0_E_clISt17integral_constantIbLb0EES1B_EEDaS16_S17_EUlS16_E_NS1_11comp_targetILNS1_3genE10ELNS1_11target_archE1200ELNS1_3gpuE4ELNS1_3repE0EEENS1_30default_config_static_selectorELNS0_4arch9wavefront6targetE1EEEvT1_,@function
_ZN7rocprim17ROCPRIM_400000_NS6detail17trampoline_kernelINS0_14default_configENS1_25partition_config_selectorILNS1_17partition_subalgoE1EsNS0_10empty_typeEbEEZZNS1_14partition_implILS5_1ELb0ES3_jN6thrust23THRUST_200600_302600_NS6detail15normal_iteratorINSA_10device_ptrIsEEEEPS6_NSA_18transform_iteratorI7is_evenIsESF_NSA_11use_defaultESK_EENS0_5tupleIJSF_NSA_16discard_iteratorISK_EEEEENSM_IJSG_SG_EEES6_PlJS6_EEE10hipError_tPvRmT3_T4_T5_T6_T7_T9_mT8_P12ihipStream_tbDpT10_ENKUlT_T0_E_clISt17integral_constantIbLb0EES1B_EEDaS16_S17_EUlS16_E_NS1_11comp_targetILNS1_3genE10ELNS1_11target_archE1200ELNS1_3gpuE4ELNS1_3repE0EEENS1_30default_config_static_selectorELNS0_4arch9wavefront6targetE1EEEvT1_: ; @_ZN7rocprim17ROCPRIM_400000_NS6detail17trampoline_kernelINS0_14default_configENS1_25partition_config_selectorILNS1_17partition_subalgoE1EsNS0_10empty_typeEbEEZZNS1_14partition_implILS5_1ELb0ES3_jN6thrust23THRUST_200600_302600_NS6detail15normal_iteratorINSA_10device_ptrIsEEEEPS6_NSA_18transform_iteratorI7is_evenIsESF_NSA_11use_defaultESK_EENS0_5tupleIJSF_NSA_16discard_iteratorISK_EEEEENSM_IJSG_SG_EEES6_PlJS6_EEE10hipError_tPvRmT3_T4_T5_T6_T7_T9_mT8_P12ihipStream_tbDpT10_ENKUlT_T0_E_clISt17integral_constantIbLb0EES1B_EEDaS16_S17_EUlS16_E_NS1_11comp_targetILNS1_3genE10ELNS1_11target_archE1200ELNS1_3gpuE4ELNS1_3repE0EEENS1_30default_config_static_selectorELNS0_4arch9wavefront6targetE1EEEvT1_
; %bb.0:
	.section	.rodata,"a",@progbits
	.p2align	6, 0x0
	.amdhsa_kernel _ZN7rocprim17ROCPRIM_400000_NS6detail17trampoline_kernelINS0_14default_configENS1_25partition_config_selectorILNS1_17partition_subalgoE1EsNS0_10empty_typeEbEEZZNS1_14partition_implILS5_1ELb0ES3_jN6thrust23THRUST_200600_302600_NS6detail15normal_iteratorINSA_10device_ptrIsEEEEPS6_NSA_18transform_iteratorI7is_evenIsESF_NSA_11use_defaultESK_EENS0_5tupleIJSF_NSA_16discard_iteratorISK_EEEEENSM_IJSG_SG_EEES6_PlJS6_EEE10hipError_tPvRmT3_T4_T5_T6_T7_T9_mT8_P12ihipStream_tbDpT10_ENKUlT_T0_E_clISt17integral_constantIbLb0EES1B_EEDaS16_S17_EUlS16_E_NS1_11comp_targetILNS1_3genE10ELNS1_11target_archE1200ELNS1_3gpuE4ELNS1_3repE0EEENS1_30default_config_static_selectorELNS0_4arch9wavefront6targetE1EEEvT1_
		.amdhsa_group_segment_fixed_size 0
		.amdhsa_private_segment_fixed_size 0
		.amdhsa_kernarg_size 136
		.amdhsa_user_sgpr_count 2
		.amdhsa_user_sgpr_dispatch_ptr 0
		.amdhsa_user_sgpr_queue_ptr 0
		.amdhsa_user_sgpr_kernarg_segment_ptr 1
		.amdhsa_user_sgpr_dispatch_id 0
		.amdhsa_user_sgpr_kernarg_preload_length 0
		.amdhsa_user_sgpr_kernarg_preload_offset 0
		.amdhsa_user_sgpr_private_segment_size 0
		.amdhsa_uses_dynamic_stack 0
		.amdhsa_enable_private_segment 0
		.amdhsa_system_sgpr_workgroup_id_x 1
		.amdhsa_system_sgpr_workgroup_id_y 0
		.amdhsa_system_sgpr_workgroup_id_z 0
		.amdhsa_system_sgpr_workgroup_info 0
		.amdhsa_system_vgpr_workitem_id 0
		.amdhsa_next_free_vgpr 1
		.amdhsa_next_free_sgpr 0
		.amdhsa_accum_offset 4
		.amdhsa_reserve_vcc 0
		.amdhsa_float_round_mode_32 0
		.amdhsa_float_round_mode_16_64 0
		.amdhsa_float_denorm_mode_32 3
		.amdhsa_float_denorm_mode_16_64 3
		.amdhsa_dx10_clamp 1
		.amdhsa_ieee_mode 1
		.amdhsa_fp16_overflow 0
		.amdhsa_tg_split 0
		.amdhsa_exception_fp_ieee_invalid_op 0
		.amdhsa_exception_fp_denorm_src 0
		.amdhsa_exception_fp_ieee_div_zero 0
		.amdhsa_exception_fp_ieee_overflow 0
		.amdhsa_exception_fp_ieee_underflow 0
		.amdhsa_exception_fp_ieee_inexact 0
		.amdhsa_exception_int_div_zero 0
	.end_amdhsa_kernel
	.section	.text._ZN7rocprim17ROCPRIM_400000_NS6detail17trampoline_kernelINS0_14default_configENS1_25partition_config_selectorILNS1_17partition_subalgoE1EsNS0_10empty_typeEbEEZZNS1_14partition_implILS5_1ELb0ES3_jN6thrust23THRUST_200600_302600_NS6detail15normal_iteratorINSA_10device_ptrIsEEEEPS6_NSA_18transform_iteratorI7is_evenIsESF_NSA_11use_defaultESK_EENS0_5tupleIJSF_NSA_16discard_iteratorISK_EEEEENSM_IJSG_SG_EEES6_PlJS6_EEE10hipError_tPvRmT3_T4_T5_T6_T7_T9_mT8_P12ihipStream_tbDpT10_ENKUlT_T0_E_clISt17integral_constantIbLb0EES1B_EEDaS16_S17_EUlS16_E_NS1_11comp_targetILNS1_3genE10ELNS1_11target_archE1200ELNS1_3gpuE4ELNS1_3repE0EEENS1_30default_config_static_selectorELNS0_4arch9wavefront6targetE1EEEvT1_,"axG",@progbits,_ZN7rocprim17ROCPRIM_400000_NS6detail17trampoline_kernelINS0_14default_configENS1_25partition_config_selectorILNS1_17partition_subalgoE1EsNS0_10empty_typeEbEEZZNS1_14partition_implILS5_1ELb0ES3_jN6thrust23THRUST_200600_302600_NS6detail15normal_iteratorINSA_10device_ptrIsEEEEPS6_NSA_18transform_iteratorI7is_evenIsESF_NSA_11use_defaultESK_EENS0_5tupleIJSF_NSA_16discard_iteratorISK_EEEEENSM_IJSG_SG_EEES6_PlJS6_EEE10hipError_tPvRmT3_T4_T5_T6_T7_T9_mT8_P12ihipStream_tbDpT10_ENKUlT_T0_E_clISt17integral_constantIbLb0EES1B_EEDaS16_S17_EUlS16_E_NS1_11comp_targetILNS1_3genE10ELNS1_11target_archE1200ELNS1_3gpuE4ELNS1_3repE0EEENS1_30default_config_static_selectorELNS0_4arch9wavefront6targetE1EEEvT1_,comdat
.Lfunc_end3392:
	.size	_ZN7rocprim17ROCPRIM_400000_NS6detail17trampoline_kernelINS0_14default_configENS1_25partition_config_selectorILNS1_17partition_subalgoE1EsNS0_10empty_typeEbEEZZNS1_14partition_implILS5_1ELb0ES3_jN6thrust23THRUST_200600_302600_NS6detail15normal_iteratorINSA_10device_ptrIsEEEEPS6_NSA_18transform_iteratorI7is_evenIsESF_NSA_11use_defaultESK_EENS0_5tupleIJSF_NSA_16discard_iteratorISK_EEEEENSM_IJSG_SG_EEES6_PlJS6_EEE10hipError_tPvRmT3_T4_T5_T6_T7_T9_mT8_P12ihipStream_tbDpT10_ENKUlT_T0_E_clISt17integral_constantIbLb0EES1B_EEDaS16_S17_EUlS16_E_NS1_11comp_targetILNS1_3genE10ELNS1_11target_archE1200ELNS1_3gpuE4ELNS1_3repE0EEENS1_30default_config_static_selectorELNS0_4arch9wavefront6targetE1EEEvT1_, .Lfunc_end3392-_ZN7rocprim17ROCPRIM_400000_NS6detail17trampoline_kernelINS0_14default_configENS1_25partition_config_selectorILNS1_17partition_subalgoE1EsNS0_10empty_typeEbEEZZNS1_14partition_implILS5_1ELb0ES3_jN6thrust23THRUST_200600_302600_NS6detail15normal_iteratorINSA_10device_ptrIsEEEEPS6_NSA_18transform_iteratorI7is_evenIsESF_NSA_11use_defaultESK_EENS0_5tupleIJSF_NSA_16discard_iteratorISK_EEEEENSM_IJSG_SG_EEES6_PlJS6_EEE10hipError_tPvRmT3_T4_T5_T6_T7_T9_mT8_P12ihipStream_tbDpT10_ENKUlT_T0_E_clISt17integral_constantIbLb0EES1B_EEDaS16_S17_EUlS16_E_NS1_11comp_targetILNS1_3genE10ELNS1_11target_archE1200ELNS1_3gpuE4ELNS1_3repE0EEENS1_30default_config_static_selectorELNS0_4arch9wavefront6targetE1EEEvT1_
                                        ; -- End function
	.section	.AMDGPU.csdata,"",@progbits
; Kernel info:
; codeLenInByte = 0
; NumSgprs: 6
; NumVgprs: 0
; NumAgprs: 0
; TotalNumVgprs: 0
; ScratchSize: 0
; MemoryBound: 0
; FloatMode: 240
; IeeeMode: 1
; LDSByteSize: 0 bytes/workgroup (compile time only)
; SGPRBlocks: 0
; VGPRBlocks: 0
; NumSGPRsForWavesPerEU: 6
; NumVGPRsForWavesPerEU: 1
; AccumOffset: 4
; Occupancy: 8
; WaveLimiterHint : 0
; COMPUTE_PGM_RSRC2:SCRATCH_EN: 0
; COMPUTE_PGM_RSRC2:USER_SGPR: 2
; COMPUTE_PGM_RSRC2:TRAP_HANDLER: 0
; COMPUTE_PGM_RSRC2:TGID_X_EN: 1
; COMPUTE_PGM_RSRC2:TGID_Y_EN: 0
; COMPUTE_PGM_RSRC2:TGID_Z_EN: 0
; COMPUTE_PGM_RSRC2:TIDIG_COMP_CNT: 0
; COMPUTE_PGM_RSRC3_GFX90A:ACCUM_OFFSET: 0
; COMPUTE_PGM_RSRC3_GFX90A:TG_SPLIT: 0
	.section	.text._ZN7rocprim17ROCPRIM_400000_NS6detail17trampoline_kernelINS0_14default_configENS1_25partition_config_selectorILNS1_17partition_subalgoE1EsNS0_10empty_typeEbEEZZNS1_14partition_implILS5_1ELb0ES3_jN6thrust23THRUST_200600_302600_NS6detail15normal_iteratorINSA_10device_ptrIsEEEEPS6_NSA_18transform_iteratorI7is_evenIsESF_NSA_11use_defaultESK_EENS0_5tupleIJSF_NSA_16discard_iteratorISK_EEEEENSM_IJSG_SG_EEES6_PlJS6_EEE10hipError_tPvRmT3_T4_T5_T6_T7_T9_mT8_P12ihipStream_tbDpT10_ENKUlT_T0_E_clISt17integral_constantIbLb0EES1B_EEDaS16_S17_EUlS16_E_NS1_11comp_targetILNS1_3genE9ELNS1_11target_archE1100ELNS1_3gpuE3ELNS1_3repE0EEENS1_30default_config_static_selectorELNS0_4arch9wavefront6targetE1EEEvT1_,"axG",@progbits,_ZN7rocprim17ROCPRIM_400000_NS6detail17trampoline_kernelINS0_14default_configENS1_25partition_config_selectorILNS1_17partition_subalgoE1EsNS0_10empty_typeEbEEZZNS1_14partition_implILS5_1ELb0ES3_jN6thrust23THRUST_200600_302600_NS6detail15normal_iteratorINSA_10device_ptrIsEEEEPS6_NSA_18transform_iteratorI7is_evenIsESF_NSA_11use_defaultESK_EENS0_5tupleIJSF_NSA_16discard_iteratorISK_EEEEENSM_IJSG_SG_EEES6_PlJS6_EEE10hipError_tPvRmT3_T4_T5_T6_T7_T9_mT8_P12ihipStream_tbDpT10_ENKUlT_T0_E_clISt17integral_constantIbLb0EES1B_EEDaS16_S17_EUlS16_E_NS1_11comp_targetILNS1_3genE9ELNS1_11target_archE1100ELNS1_3gpuE3ELNS1_3repE0EEENS1_30default_config_static_selectorELNS0_4arch9wavefront6targetE1EEEvT1_,comdat
	.protected	_ZN7rocprim17ROCPRIM_400000_NS6detail17trampoline_kernelINS0_14default_configENS1_25partition_config_selectorILNS1_17partition_subalgoE1EsNS0_10empty_typeEbEEZZNS1_14partition_implILS5_1ELb0ES3_jN6thrust23THRUST_200600_302600_NS6detail15normal_iteratorINSA_10device_ptrIsEEEEPS6_NSA_18transform_iteratorI7is_evenIsESF_NSA_11use_defaultESK_EENS0_5tupleIJSF_NSA_16discard_iteratorISK_EEEEENSM_IJSG_SG_EEES6_PlJS6_EEE10hipError_tPvRmT3_T4_T5_T6_T7_T9_mT8_P12ihipStream_tbDpT10_ENKUlT_T0_E_clISt17integral_constantIbLb0EES1B_EEDaS16_S17_EUlS16_E_NS1_11comp_targetILNS1_3genE9ELNS1_11target_archE1100ELNS1_3gpuE3ELNS1_3repE0EEENS1_30default_config_static_selectorELNS0_4arch9wavefront6targetE1EEEvT1_ ; -- Begin function _ZN7rocprim17ROCPRIM_400000_NS6detail17trampoline_kernelINS0_14default_configENS1_25partition_config_selectorILNS1_17partition_subalgoE1EsNS0_10empty_typeEbEEZZNS1_14partition_implILS5_1ELb0ES3_jN6thrust23THRUST_200600_302600_NS6detail15normal_iteratorINSA_10device_ptrIsEEEEPS6_NSA_18transform_iteratorI7is_evenIsESF_NSA_11use_defaultESK_EENS0_5tupleIJSF_NSA_16discard_iteratorISK_EEEEENSM_IJSG_SG_EEES6_PlJS6_EEE10hipError_tPvRmT3_T4_T5_T6_T7_T9_mT8_P12ihipStream_tbDpT10_ENKUlT_T0_E_clISt17integral_constantIbLb0EES1B_EEDaS16_S17_EUlS16_E_NS1_11comp_targetILNS1_3genE9ELNS1_11target_archE1100ELNS1_3gpuE3ELNS1_3repE0EEENS1_30default_config_static_selectorELNS0_4arch9wavefront6targetE1EEEvT1_
	.globl	_ZN7rocprim17ROCPRIM_400000_NS6detail17trampoline_kernelINS0_14default_configENS1_25partition_config_selectorILNS1_17partition_subalgoE1EsNS0_10empty_typeEbEEZZNS1_14partition_implILS5_1ELb0ES3_jN6thrust23THRUST_200600_302600_NS6detail15normal_iteratorINSA_10device_ptrIsEEEEPS6_NSA_18transform_iteratorI7is_evenIsESF_NSA_11use_defaultESK_EENS0_5tupleIJSF_NSA_16discard_iteratorISK_EEEEENSM_IJSG_SG_EEES6_PlJS6_EEE10hipError_tPvRmT3_T4_T5_T6_T7_T9_mT8_P12ihipStream_tbDpT10_ENKUlT_T0_E_clISt17integral_constantIbLb0EES1B_EEDaS16_S17_EUlS16_E_NS1_11comp_targetILNS1_3genE9ELNS1_11target_archE1100ELNS1_3gpuE3ELNS1_3repE0EEENS1_30default_config_static_selectorELNS0_4arch9wavefront6targetE1EEEvT1_
	.p2align	8
	.type	_ZN7rocprim17ROCPRIM_400000_NS6detail17trampoline_kernelINS0_14default_configENS1_25partition_config_selectorILNS1_17partition_subalgoE1EsNS0_10empty_typeEbEEZZNS1_14partition_implILS5_1ELb0ES3_jN6thrust23THRUST_200600_302600_NS6detail15normal_iteratorINSA_10device_ptrIsEEEEPS6_NSA_18transform_iteratorI7is_evenIsESF_NSA_11use_defaultESK_EENS0_5tupleIJSF_NSA_16discard_iteratorISK_EEEEENSM_IJSG_SG_EEES6_PlJS6_EEE10hipError_tPvRmT3_T4_T5_T6_T7_T9_mT8_P12ihipStream_tbDpT10_ENKUlT_T0_E_clISt17integral_constantIbLb0EES1B_EEDaS16_S17_EUlS16_E_NS1_11comp_targetILNS1_3genE9ELNS1_11target_archE1100ELNS1_3gpuE3ELNS1_3repE0EEENS1_30default_config_static_selectorELNS0_4arch9wavefront6targetE1EEEvT1_,@function
_ZN7rocprim17ROCPRIM_400000_NS6detail17trampoline_kernelINS0_14default_configENS1_25partition_config_selectorILNS1_17partition_subalgoE1EsNS0_10empty_typeEbEEZZNS1_14partition_implILS5_1ELb0ES3_jN6thrust23THRUST_200600_302600_NS6detail15normal_iteratorINSA_10device_ptrIsEEEEPS6_NSA_18transform_iteratorI7is_evenIsESF_NSA_11use_defaultESK_EENS0_5tupleIJSF_NSA_16discard_iteratorISK_EEEEENSM_IJSG_SG_EEES6_PlJS6_EEE10hipError_tPvRmT3_T4_T5_T6_T7_T9_mT8_P12ihipStream_tbDpT10_ENKUlT_T0_E_clISt17integral_constantIbLb0EES1B_EEDaS16_S17_EUlS16_E_NS1_11comp_targetILNS1_3genE9ELNS1_11target_archE1100ELNS1_3gpuE3ELNS1_3repE0EEENS1_30default_config_static_selectorELNS0_4arch9wavefront6targetE1EEEvT1_: ; @_ZN7rocprim17ROCPRIM_400000_NS6detail17trampoline_kernelINS0_14default_configENS1_25partition_config_selectorILNS1_17partition_subalgoE1EsNS0_10empty_typeEbEEZZNS1_14partition_implILS5_1ELb0ES3_jN6thrust23THRUST_200600_302600_NS6detail15normal_iteratorINSA_10device_ptrIsEEEEPS6_NSA_18transform_iteratorI7is_evenIsESF_NSA_11use_defaultESK_EENS0_5tupleIJSF_NSA_16discard_iteratorISK_EEEEENSM_IJSG_SG_EEES6_PlJS6_EEE10hipError_tPvRmT3_T4_T5_T6_T7_T9_mT8_P12ihipStream_tbDpT10_ENKUlT_T0_E_clISt17integral_constantIbLb0EES1B_EEDaS16_S17_EUlS16_E_NS1_11comp_targetILNS1_3genE9ELNS1_11target_archE1100ELNS1_3gpuE3ELNS1_3repE0EEENS1_30default_config_static_selectorELNS0_4arch9wavefront6targetE1EEEvT1_
; %bb.0:
	.section	.rodata,"a",@progbits
	.p2align	6, 0x0
	.amdhsa_kernel _ZN7rocprim17ROCPRIM_400000_NS6detail17trampoline_kernelINS0_14default_configENS1_25partition_config_selectorILNS1_17partition_subalgoE1EsNS0_10empty_typeEbEEZZNS1_14partition_implILS5_1ELb0ES3_jN6thrust23THRUST_200600_302600_NS6detail15normal_iteratorINSA_10device_ptrIsEEEEPS6_NSA_18transform_iteratorI7is_evenIsESF_NSA_11use_defaultESK_EENS0_5tupleIJSF_NSA_16discard_iteratorISK_EEEEENSM_IJSG_SG_EEES6_PlJS6_EEE10hipError_tPvRmT3_T4_T5_T6_T7_T9_mT8_P12ihipStream_tbDpT10_ENKUlT_T0_E_clISt17integral_constantIbLb0EES1B_EEDaS16_S17_EUlS16_E_NS1_11comp_targetILNS1_3genE9ELNS1_11target_archE1100ELNS1_3gpuE3ELNS1_3repE0EEENS1_30default_config_static_selectorELNS0_4arch9wavefront6targetE1EEEvT1_
		.amdhsa_group_segment_fixed_size 0
		.amdhsa_private_segment_fixed_size 0
		.amdhsa_kernarg_size 136
		.amdhsa_user_sgpr_count 2
		.amdhsa_user_sgpr_dispatch_ptr 0
		.amdhsa_user_sgpr_queue_ptr 0
		.amdhsa_user_sgpr_kernarg_segment_ptr 1
		.amdhsa_user_sgpr_dispatch_id 0
		.amdhsa_user_sgpr_kernarg_preload_length 0
		.amdhsa_user_sgpr_kernarg_preload_offset 0
		.amdhsa_user_sgpr_private_segment_size 0
		.amdhsa_uses_dynamic_stack 0
		.amdhsa_enable_private_segment 0
		.amdhsa_system_sgpr_workgroup_id_x 1
		.amdhsa_system_sgpr_workgroup_id_y 0
		.amdhsa_system_sgpr_workgroup_id_z 0
		.amdhsa_system_sgpr_workgroup_info 0
		.amdhsa_system_vgpr_workitem_id 0
		.amdhsa_next_free_vgpr 1
		.amdhsa_next_free_sgpr 0
		.amdhsa_accum_offset 4
		.amdhsa_reserve_vcc 0
		.amdhsa_float_round_mode_32 0
		.amdhsa_float_round_mode_16_64 0
		.amdhsa_float_denorm_mode_32 3
		.amdhsa_float_denorm_mode_16_64 3
		.amdhsa_dx10_clamp 1
		.amdhsa_ieee_mode 1
		.amdhsa_fp16_overflow 0
		.amdhsa_tg_split 0
		.amdhsa_exception_fp_ieee_invalid_op 0
		.amdhsa_exception_fp_denorm_src 0
		.amdhsa_exception_fp_ieee_div_zero 0
		.amdhsa_exception_fp_ieee_overflow 0
		.amdhsa_exception_fp_ieee_underflow 0
		.amdhsa_exception_fp_ieee_inexact 0
		.amdhsa_exception_int_div_zero 0
	.end_amdhsa_kernel
	.section	.text._ZN7rocprim17ROCPRIM_400000_NS6detail17trampoline_kernelINS0_14default_configENS1_25partition_config_selectorILNS1_17partition_subalgoE1EsNS0_10empty_typeEbEEZZNS1_14partition_implILS5_1ELb0ES3_jN6thrust23THRUST_200600_302600_NS6detail15normal_iteratorINSA_10device_ptrIsEEEEPS6_NSA_18transform_iteratorI7is_evenIsESF_NSA_11use_defaultESK_EENS0_5tupleIJSF_NSA_16discard_iteratorISK_EEEEENSM_IJSG_SG_EEES6_PlJS6_EEE10hipError_tPvRmT3_T4_T5_T6_T7_T9_mT8_P12ihipStream_tbDpT10_ENKUlT_T0_E_clISt17integral_constantIbLb0EES1B_EEDaS16_S17_EUlS16_E_NS1_11comp_targetILNS1_3genE9ELNS1_11target_archE1100ELNS1_3gpuE3ELNS1_3repE0EEENS1_30default_config_static_selectorELNS0_4arch9wavefront6targetE1EEEvT1_,"axG",@progbits,_ZN7rocprim17ROCPRIM_400000_NS6detail17trampoline_kernelINS0_14default_configENS1_25partition_config_selectorILNS1_17partition_subalgoE1EsNS0_10empty_typeEbEEZZNS1_14partition_implILS5_1ELb0ES3_jN6thrust23THRUST_200600_302600_NS6detail15normal_iteratorINSA_10device_ptrIsEEEEPS6_NSA_18transform_iteratorI7is_evenIsESF_NSA_11use_defaultESK_EENS0_5tupleIJSF_NSA_16discard_iteratorISK_EEEEENSM_IJSG_SG_EEES6_PlJS6_EEE10hipError_tPvRmT3_T4_T5_T6_T7_T9_mT8_P12ihipStream_tbDpT10_ENKUlT_T0_E_clISt17integral_constantIbLb0EES1B_EEDaS16_S17_EUlS16_E_NS1_11comp_targetILNS1_3genE9ELNS1_11target_archE1100ELNS1_3gpuE3ELNS1_3repE0EEENS1_30default_config_static_selectorELNS0_4arch9wavefront6targetE1EEEvT1_,comdat
.Lfunc_end3393:
	.size	_ZN7rocprim17ROCPRIM_400000_NS6detail17trampoline_kernelINS0_14default_configENS1_25partition_config_selectorILNS1_17partition_subalgoE1EsNS0_10empty_typeEbEEZZNS1_14partition_implILS5_1ELb0ES3_jN6thrust23THRUST_200600_302600_NS6detail15normal_iteratorINSA_10device_ptrIsEEEEPS6_NSA_18transform_iteratorI7is_evenIsESF_NSA_11use_defaultESK_EENS0_5tupleIJSF_NSA_16discard_iteratorISK_EEEEENSM_IJSG_SG_EEES6_PlJS6_EEE10hipError_tPvRmT3_T4_T5_T6_T7_T9_mT8_P12ihipStream_tbDpT10_ENKUlT_T0_E_clISt17integral_constantIbLb0EES1B_EEDaS16_S17_EUlS16_E_NS1_11comp_targetILNS1_3genE9ELNS1_11target_archE1100ELNS1_3gpuE3ELNS1_3repE0EEENS1_30default_config_static_selectorELNS0_4arch9wavefront6targetE1EEEvT1_, .Lfunc_end3393-_ZN7rocprim17ROCPRIM_400000_NS6detail17trampoline_kernelINS0_14default_configENS1_25partition_config_selectorILNS1_17partition_subalgoE1EsNS0_10empty_typeEbEEZZNS1_14partition_implILS5_1ELb0ES3_jN6thrust23THRUST_200600_302600_NS6detail15normal_iteratorINSA_10device_ptrIsEEEEPS6_NSA_18transform_iteratorI7is_evenIsESF_NSA_11use_defaultESK_EENS0_5tupleIJSF_NSA_16discard_iteratorISK_EEEEENSM_IJSG_SG_EEES6_PlJS6_EEE10hipError_tPvRmT3_T4_T5_T6_T7_T9_mT8_P12ihipStream_tbDpT10_ENKUlT_T0_E_clISt17integral_constantIbLb0EES1B_EEDaS16_S17_EUlS16_E_NS1_11comp_targetILNS1_3genE9ELNS1_11target_archE1100ELNS1_3gpuE3ELNS1_3repE0EEENS1_30default_config_static_selectorELNS0_4arch9wavefront6targetE1EEEvT1_
                                        ; -- End function
	.section	.AMDGPU.csdata,"",@progbits
; Kernel info:
; codeLenInByte = 0
; NumSgprs: 6
; NumVgprs: 0
; NumAgprs: 0
; TotalNumVgprs: 0
; ScratchSize: 0
; MemoryBound: 0
; FloatMode: 240
; IeeeMode: 1
; LDSByteSize: 0 bytes/workgroup (compile time only)
; SGPRBlocks: 0
; VGPRBlocks: 0
; NumSGPRsForWavesPerEU: 6
; NumVGPRsForWavesPerEU: 1
; AccumOffset: 4
; Occupancy: 8
; WaveLimiterHint : 0
; COMPUTE_PGM_RSRC2:SCRATCH_EN: 0
; COMPUTE_PGM_RSRC2:USER_SGPR: 2
; COMPUTE_PGM_RSRC2:TRAP_HANDLER: 0
; COMPUTE_PGM_RSRC2:TGID_X_EN: 1
; COMPUTE_PGM_RSRC2:TGID_Y_EN: 0
; COMPUTE_PGM_RSRC2:TGID_Z_EN: 0
; COMPUTE_PGM_RSRC2:TIDIG_COMP_CNT: 0
; COMPUTE_PGM_RSRC3_GFX90A:ACCUM_OFFSET: 0
; COMPUTE_PGM_RSRC3_GFX90A:TG_SPLIT: 0
	.section	.text._ZN7rocprim17ROCPRIM_400000_NS6detail17trampoline_kernelINS0_14default_configENS1_25partition_config_selectorILNS1_17partition_subalgoE1EsNS0_10empty_typeEbEEZZNS1_14partition_implILS5_1ELb0ES3_jN6thrust23THRUST_200600_302600_NS6detail15normal_iteratorINSA_10device_ptrIsEEEEPS6_NSA_18transform_iteratorI7is_evenIsESF_NSA_11use_defaultESK_EENS0_5tupleIJSF_NSA_16discard_iteratorISK_EEEEENSM_IJSG_SG_EEES6_PlJS6_EEE10hipError_tPvRmT3_T4_T5_T6_T7_T9_mT8_P12ihipStream_tbDpT10_ENKUlT_T0_E_clISt17integral_constantIbLb0EES1B_EEDaS16_S17_EUlS16_E_NS1_11comp_targetILNS1_3genE8ELNS1_11target_archE1030ELNS1_3gpuE2ELNS1_3repE0EEENS1_30default_config_static_selectorELNS0_4arch9wavefront6targetE1EEEvT1_,"axG",@progbits,_ZN7rocprim17ROCPRIM_400000_NS6detail17trampoline_kernelINS0_14default_configENS1_25partition_config_selectorILNS1_17partition_subalgoE1EsNS0_10empty_typeEbEEZZNS1_14partition_implILS5_1ELb0ES3_jN6thrust23THRUST_200600_302600_NS6detail15normal_iteratorINSA_10device_ptrIsEEEEPS6_NSA_18transform_iteratorI7is_evenIsESF_NSA_11use_defaultESK_EENS0_5tupleIJSF_NSA_16discard_iteratorISK_EEEEENSM_IJSG_SG_EEES6_PlJS6_EEE10hipError_tPvRmT3_T4_T5_T6_T7_T9_mT8_P12ihipStream_tbDpT10_ENKUlT_T0_E_clISt17integral_constantIbLb0EES1B_EEDaS16_S17_EUlS16_E_NS1_11comp_targetILNS1_3genE8ELNS1_11target_archE1030ELNS1_3gpuE2ELNS1_3repE0EEENS1_30default_config_static_selectorELNS0_4arch9wavefront6targetE1EEEvT1_,comdat
	.protected	_ZN7rocprim17ROCPRIM_400000_NS6detail17trampoline_kernelINS0_14default_configENS1_25partition_config_selectorILNS1_17partition_subalgoE1EsNS0_10empty_typeEbEEZZNS1_14partition_implILS5_1ELb0ES3_jN6thrust23THRUST_200600_302600_NS6detail15normal_iteratorINSA_10device_ptrIsEEEEPS6_NSA_18transform_iteratorI7is_evenIsESF_NSA_11use_defaultESK_EENS0_5tupleIJSF_NSA_16discard_iteratorISK_EEEEENSM_IJSG_SG_EEES6_PlJS6_EEE10hipError_tPvRmT3_T4_T5_T6_T7_T9_mT8_P12ihipStream_tbDpT10_ENKUlT_T0_E_clISt17integral_constantIbLb0EES1B_EEDaS16_S17_EUlS16_E_NS1_11comp_targetILNS1_3genE8ELNS1_11target_archE1030ELNS1_3gpuE2ELNS1_3repE0EEENS1_30default_config_static_selectorELNS0_4arch9wavefront6targetE1EEEvT1_ ; -- Begin function _ZN7rocprim17ROCPRIM_400000_NS6detail17trampoline_kernelINS0_14default_configENS1_25partition_config_selectorILNS1_17partition_subalgoE1EsNS0_10empty_typeEbEEZZNS1_14partition_implILS5_1ELb0ES3_jN6thrust23THRUST_200600_302600_NS6detail15normal_iteratorINSA_10device_ptrIsEEEEPS6_NSA_18transform_iteratorI7is_evenIsESF_NSA_11use_defaultESK_EENS0_5tupleIJSF_NSA_16discard_iteratorISK_EEEEENSM_IJSG_SG_EEES6_PlJS6_EEE10hipError_tPvRmT3_T4_T5_T6_T7_T9_mT8_P12ihipStream_tbDpT10_ENKUlT_T0_E_clISt17integral_constantIbLb0EES1B_EEDaS16_S17_EUlS16_E_NS1_11comp_targetILNS1_3genE8ELNS1_11target_archE1030ELNS1_3gpuE2ELNS1_3repE0EEENS1_30default_config_static_selectorELNS0_4arch9wavefront6targetE1EEEvT1_
	.globl	_ZN7rocprim17ROCPRIM_400000_NS6detail17trampoline_kernelINS0_14default_configENS1_25partition_config_selectorILNS1_17partition_subalgoE1EsNS0_10empty_typeEbEEZZNS1_14partition_implILS5_1ELb0ES3_jN6thrust23THRUST_200600_302600_NS6detail15normal_iteratorINSA_10device_ptrIsEEEEPS6_NSA_18transform_iteratorI7is_evenIsESF_NSA_11use_defaultESK_EENS0_5tupleIJSF_NSA_16discard_iteratorISK_EEEEENSM_IJSG_SG_EEES6_PlJS6_EEE10hipError_tPvRmT3_T4_T5_T6_T7_T9_mT8_P12ihipStream_tbDpT10_ENKUlT_T0_E_clISt17integral_constantIbLb0EES1B_EEDaS16_S17_EUlS16_E_NS1_11comp_targetILNS1_3genE8ELNS1_11target_archE1030ELNS1_3gpuE2ELNS1_3repE0EEENS1_30default_config_static_selectorELNS0_4arch9wavefront6targetE1EEEvT1_
	.p2align	8
	.type	_ZN7rocprim17ROCPRIM_400000_NS6detail17trampoline_kernelINS0_14default_configENS1_25partition_config_selectorILNS1_17partition_subalgoE1EsNS0_10empty_typeEbEEZZNS1_14partition_implILS5_1ELb0ES3_jN6thrust23THRUST_200600_302600_NS6detail15normal_iteratorINSA_10device_ptrIsEEEEPS6_NSA_18transform_iteratorI7is_evenIsESF_NSA_11use_defaultESK_EENS0_5tupleIJSF_NSA_16discard_iteratorISK_EEEEENSM_IJSG_SG_EEES6_PlJS6_EEE10hipError_tPvRmT3_T4_T5_T6_T7_T9_mT8_P12ihipStream_tbDpT10_ENKUlT_T0_E_clISt17integral_constantIbLb0EES1B_EEDaS16_S17_EUlS16_E_NS1_11comp_targetILNS1_3genE8ELNS1_11target_archE1030ELNS1_3gpuE2ELNS1_3repE0EEENS1_30default_config_static_selectorELNS0_4arch9wavefront6targetE1EEEvT1_,@function
_ZN7rocprim17ROCPRIM_400000_NS6detail17trampoline_kernelINS0_14default_configENS1_25partition_config_selectorILNS1_17partition_subalgoE1EsNS0_10empty_typeEbEEZZNS1_14partition_implILS5_1ELb0ES3_jN6thrust23THRUST_200600_302600_NS6detail15normal_iteratorINSA_10device_ptrIsEEEEPS6_NSA_18transform_iteratorI7is_evenIsESF_NSA_11use_defaultESK_EENS0_5tupleIJSF_NSA_16discard_iteratorISK_EEEEENSM_IJSG_SG_EEES6_PlJS6_EEE10hipError_tPvRmT3_T4_T5_T6_T7_T9_mT8_P12ihipStream_tbDpT10_ENKUlT_T0_E_clISt17integral_constantIbLb0EES1B_EEDaS16_S17_EUlS16_E_NS1_11comp_targetILNS1_3genE8ELNS1_11target_archE1030ELNS1_3gpuE2ELNS1_3repE0EEENS1_30default_config_static_selectorELNS0_4arch9wavefront6targetE1EEEvT1_: ; @_ZN7rocprim17ROCPRIM_400000_NS6detail17trampoline_kernelINS0_14default_configENS1_25partition_config_selectorILNS1_17partition_subalgoE1EsNS0_10empty_typeEbEEZZNS1_14partition_implILS5_1ELb0ES3_jN6thrust23THRUST_200600_302600_NS6detail15normal_iteratorINSA_10device_ptrIsEEEEPS6_NSA_18transform_iteratorI7is_evenIsESF_NSA_11use_defaultESK_EENS0_5tupleIJSF_NSA_16discard_iteratorISK_EEEEENSM_IJSG_SG_EEES6_PlJS6_EEE10hipError_tPvRmT3_T4_T5_T6_T7_T9_mT8_P12ihipStream_tbDpT10_ENKUlT_T0_E_clISt17integral_constantIbLb0EES1B_EEDaS16_S17_EUlS16_E_NS1_11comp_targetILNS1_3genE8ELNS1_11target_archE1030ELNS1_3gpuE2ELNS1_3repE0EEENS1_30default_config_static_selectorELNS0_4arch9wavefront6targetE1EEEvT1_
; %bb.0:
	.section	.rodata,"a",@progbits
	.p2align	6, 0x0
	.amdhsa_kernel _ZN7rocprim17ROCPRIM_400000_NS6detail17trampoline_kernelINS0_14default_configENS1_25partition_config_selectorILNS1_17partition_subalgoE1EsNS0_10empty_typeEbEEZZNS1_14partition_implILS5_1ELb0ES3_jN6thrust23THRUST_200600_302600_NS6detail15normal_iteratorINSA_10device_ptrIsEEEEPS6_NSA_18transform_iteratorI7is_evenIsESF_NSA_11use_defaultESK_EENS0_5tupleIJSF_NSA_16discard_iteratorISK_EEEEENSM_IJSG_SG_EEES6_PlJS6_EEE10hipError_tPvRmT3_T4_T5_T6_T7_T9_mT8_P12ihipStream_tbDpT10_ENKUlT_T0_E_clISt17integral_constantIbLb0EES1B_EEDaS16_S17_EUlS16_E_NS1_11comp_targetILNS1_3genE8ELNS1_11target_archE1030ELNS1_3gpuE2ELNS1_3repE0EEENS1_30default_config_static_selectorELNS0_4arch9wavefront6targetE1EEEvT1_
		.amdhsa_group_segment_fixed_size 0
		.amdhsa_private_segment_fixed_size 0
		.amdhsa_kernarg_size 136
		.amdhsa_user_sgpr_count 2
		.amdhsa_user_sgpr_dispatch_ptr 0
		.amdhsa_user_sgpr_queue_ptr 0
		.amdhsa_user_sgpr_kernarg_segment_ptr 1
		.amdhsa_user_sgpr_dispatch_id 0
		.amdhsa_user_sgpr_kernarg_preload_length 0
		.amdhsa_user_sgpr_kernarg_preload_offset 0
		.amdhsa_user_sgpr_private_segment_size 0
		.amdhsa_uses_dynamic_stack 0
		.amdhsa_enable_private_segment 0
		.amdhsa_system_sgpr_workgroup_id_x 1
		.amdhsa_system_sgpr_workgroup_id_y 0
		.amdhsa_system_sgpr_workgroup_id_z 0
		.amdhsa_system_sgpr_workgroup_info 0
		.amdhsa_system_vgpr_workitem_id 0
		.amdhsa_next_free_vgpr 1
		.amdhsa_next_free_sgpr 0
		.amdhsa_accum_offset 4
		.amdhsa_reserve_vcc 0
		.amdhsa_float_round_mode_32 0
		.amdhsa_float_round_mode_16_64 0
		.amdhsa_float_denorm_mode_32 3
		.amdhsa_float_denorm_mode_16_64 3
		.amdhsa_dx10_clamp 1
		.amdhsa_ieee_mode 1
		.amdhsa_fp16_overflow 0
		.amdhsa_tg_split 0
		.amdhsa_exception_fp_ieee_invalid_op 0
		.amdhsa_exception_fp_denorm_src 0
		.amdhsa_exception_fp_ieee_div_zero 0
		.amdhsa_exception_fp_ieee_overflow 0
		.amdhsa_exception_fp_ieee_underflow 0
		.amdhsa_exception_fp_ieee_inexact 0
		.amdhsa_exception_int_div_zero 0
	.end_amdhsa_kernel
	.section	.text._ZN7rocprim17ROCPRIM_400000_NS6detail17trampoline_kernelINS0_14default_configENS1_25partition_config_selectorILNS1_17partition_subalgoE1EsNS0_10empty_typeEbEEZZNS1_14partition_implILS5_1ELb0ES3_jN6thrust23THRUST_200600_302600_NS6detail15normal_iteratorINSA_10device_ptrIsEEEEPS6_NSA_18transform_iteratorI7is_evenIsESF_NSA_11use_defaultESK_EENS0_5tupleIJSF_NSA_16discard_iteratorISK_EEEEENSM_IJSG_SG_EEES6_PlJS6_EEE10hipError_tPvRmT3_T4_T5_T6_T7_T9_mT8_P12ihipStream_tbDpT10_ENKUlT_T0_E_clISt17integral_constantIbLb0EES1B_EEDaS16_S17_EUlS16_E_NS1_11comp_targetILNS1_3genE8ELNS1_11target_archE1030ELNS1_3gpuE2ELNS1_3repE0EEENS1_30default_config_static_selectorELNS0_4arch9wavefront6targetE1EEEvT1_,"axG",@progbits,_ZN7rocprim17ROCPRIM_400000_NS6detail17trampoline_kernelINS0_14default_configENS1_25partition_config_selectorILNS1_17partition_subalgoE1EsNS0_10empty_typeEbEEZZNS1_14partition_implILS5_1ELb0ES3_jN6thrust23THRUST_200600_302600_NS6detail15normal_iteratorINSA_10device_ptrIsEEEEPS6_NSA_18transform_iteratorI7is_evenIsESF_NSA_11use_defaultESK_EENS0_5tupleIJSF_NSA_16discard_iteratorISK_EEEEENSM_IJSG_SG_EEES6_PlJS6_EEE10hipError_tPvRmT3_T4_T5_T6_T7_T9_mT8_P12ihipStream_tbDpT10_ENKUlT_T0_E_clISt17integral_constantIbLb0EES1B_EEDaS16_S17_EUlS16_E_NS1_11comp_targetILNS1_3genE8ELNS1_11target_archE1030ELNS1_3gpuE2ELNS1_3repE0EEENS1_30default_config_static_selectorELNS0_4arch9wavefront6targetE1EEEvT1_,comdat
.Lfunc_end3394:
	.size	_ZN7rocprim17ROCPRIM_400000_NS6detail17trampoline_kernelINS0_14default_configENS1_25partition_config_selectorILNS1_17partition_subalgoE1EsNS0_10empty_typeEbEEZZNS1_14partition_implILS5_1ELb0ES3_jN6thrust23THRUST_200600_302600_NS6detail15normal_iteratorINSA_10device_ptrIsEEEEPS6_NSA_18transform_iteratorI7is_evenIsESF_NSA_11use_defaultESK_EENS0_5tupleIJSF_NSA_16discard_iteratorISK_EEEEENSM_IJSG_SG_EEES6_PlJS6_EEE10hipError_tPvRmT3_T4_T5_T6_T7_T9_mT8_P12ihipStream_tbDpT10_ENKUlT_T0_E_clISt17integral_constantIbLb0EES1B_EEDaS16_S17_EUlS16_E_NS1_11comp_targetILNS1_3genE8ELNS1_11target_archE1030ELNS1_3gpuE2ELNS1_3repE0EEENS1_30default_config_static_selectorELNS0_4arch9wavefront6targetE1EEEvT1_, .Lfunc_end3394-_ZN7rocprim17ROCPRIM_400000_NS6detail17trampoline_kernelINS0_14default_configENS1_25partition_config_selectorILNS1_17partition_subalgoE1EsNS0_10empty_typeEbEEZZNS1_14partition_implILS5_1ELb0ES3_jN6thrust23THRUST_200600_302600_NS6detail15normal_iteratorINSA_10device_ptrIsEEEEPS6_NSA_18transform_iteratorI7is_evenIsESF_NSA_11use_defaultESK_EENS0_5tupleIJSF_NSA_16discard_iteratorISK_EEEEENSM_IJSG_SG_EEES6_PlJS6_EEE10hipError_tPvRmT3_T4_T5_T6_T7_T9_mT8_P12ihipStream_tbDpT10_ENKUlT_T0_E_clISt17integral_constantIbLb0EES1B_EEDaS16_S17_EUlS16_E_NS1_11comp_targetILNS1_3genE8ELNS1_11target_archE1030ELNS1_3gpuE2ELNS1_3repE0EEENS1_30default_config_static_selectorELNS0_4arch9wavefront6targetE1EEEvT1_
                                        ; -- End function
	.section	.AMDGPU.csdata,"",@progbits
; Kernel info:
; codeLenInByte = 0
; NumSgprs: 6
; NumVgprs: 0
; NumAgprs: 0
; TotalNumVgprs: 0
; ScratchSize: 0
; MemoryBound: 0
; FloatMode: 240
; IeeeMode: 1
; LDSByteSize: 0 bytes/workgroup (compile time only)
; SGPRBlocks: 0
; VGPRBlocks: 0
; NumSGPRsForWavesPerEU: 6
; NumVGPRsForWavesPerEU: 1
; AccumOffset: 4
; Occupancy: 8
; WaveLimiterHint : 0
; COMPUTE_PGM_RSRC2:SCRATCH_EN: 0
; COMPUTE_PGM_RSRC2:USER_SGPR: 2
; COMPUTE_PGM_RSRC2:TRAP_HANDLER: 0
; COMPUTE_PGM_RSRC2:TGID_X_EN: 1
; COMPUTE_PGM_RSRC2:TGID_Y_EN: 0
; COMPUTE_PGM_RSRC2:TGID_Z_EN: 0
; COMPUTE_PGM_RSRC2:TIDIG_COMP_CNT: 0
; COMPUTE_PGM_RSRC3_GFX90A:ACCUM_OFFSET: 0
; COMPUTE_PGM_RSRC3_GFX90A:TG_SPLIT: 0
	.section	.text._ZN7rocprim17ROCPRIM_400000_NS6detail17trampoline_kernelINS0_14default_configENS1_25partition_config_selectorILNS1_17partition_subalgoE1EsNS0_10empty_typeEbEEZZNS1_14partition_implILS5_1ELb0ES3_jN6thrust23THRUST_200600_302600_NS6detail15normal_iteratorINSA_10device_ptrIsEEEEPS6_NSA_18transform_iteratorI7is_evenIsESF_NSA_11use_defaultESK_EENS0_5tupleIJSF_NSA_16discard_iteratorISK_EEEEENSM_IJSG_SG_EEES6_PlJS6_EEE10hipError_tPvRmT3_T4_T5_T6_T7_T9_mT8_P12ihipStream_tbDpT10_ENKUlT_T0_E_clISt17integral_constantIbLb1EES1B_EEDaS16_S17_EUlS16_E_NS1_11comp_targetILNS1_3genE0ELNS1_11target_archE4294967295ELNS1_3gpuE0ELNS1_3repE0EEENS1_30default_config_static_selectorELNS0_4arch9wavefront6targetE1EEEvT1_,"axG",@progbits,_ZN7rocprim17ROCPRIM_400000_NS6detail17trampoline_kernelINS0_14default_configENS1_25partition_config_selectorILNS1_17partition_subalgoE1EsNS0_10empty_typeEbEEZZNS1_14partition_implILS5_1ELb0ES3_jN6thrust23THRUST_200600_302600_NS6detail15normal_iteratorINSA_10device_ptrIsEEEEPS6_NSA_18transform_iteratorI7is_evenIsESF_NSA_11use_defaultESK_EENS0_5tupleIJSF_NSA_16discard_iteratorISK_EEEEENSM_IJSG_SG_EEES6_PlJS6_EEE10hipError_tPvRmT3_T4_T5_T6_T7_T9_mT8_P12ihipStream_tbDpT10_ENKUlT_T0_E_clISt17integral_constantIbLb1EES1B_EEDaS16_S17_EUlS16_E_NS1_11comp_targetILNS1_3genE0ELNS1_11target_archE4294967295ELNS1_3gpuE0ELNS1_3repE0EEENS1_30default_config_static_selectorELNS0_4arch9wavefront6targetE1EEEvT1_,comdat
	.protected	_ZN7rocprim17ROCPRIM_400000_NS6detail17trampoline_kernelINS0_14default_configENS1_25partition_config_selectorILNS1_17partition_subalgoE1EsNS0_10empty_typeEbEEZZNS1_14partition_implILS5_1ELb0ES3_jN6thrust23THRUST_200600_302600_NS6detail15normal_iteratorINSA_10device_ptrIsEEEEPS6_NSA_18transform_iteratorI7is_evenIsESF_NSA_11use_defaultESK_EENS0_5tupleIJSF_NSA_16discard_iteratorISK_EEEEENSM_IJSG_SG_EEES6_PlJS6_EEE10hipError_tPvRmT3_T4_T5_T6_T7_T9_mT8_P12ihipStream_tbDpT10_ENKUlT_T0_E_clISt17integral_constantIbLb1EES1B_EEDaS16_S17_EUlS16_E_NS1_11comp_targetILNS1_3genE0ELNS1_11target_archE4294967295ELNS1_3gpuE0ELNS1_3repE0EEENS1_30default_config_static_selectorELNS0_4arch9wavefront6targetE1EEEvT1_ ; -- Begin function _ZN7rocprim17ROCPRIM_400000_NS6detail17trampoline_kernelINS0_14default_configENS1_25partition_config_selectorILNS1_17partition_subalgoE1EsNS0_10empty_typeEbEEZZNS1_14partition_implILS5_1ELb0ES3_jN6thrust23THRUST_200600_302600_NS6detail15normal_iteratorINSA_10device_ptrIsEEEEPS6_NSA_18transform_iteratorI7is_evenIsESF_NSA_11use_defaultESK_EENS0_5tupleIJSF_NSA_16discard_iteratorISK_EEEEENSM_IJSG_SG_EEES6_PlJS6_EEE10hipError_tPvRmT3_T4_T5_T6_T7_T9_mT8_P12ihipStream_tbDpT10_ENKUlT_T0_E_clISt17integral_constantIbLb1EES1B_EEDaS16_S17_EUlS16_E_NS1_11comp_targetILNS1_3genE0ELNS1_11target_archE4294967295ELNS1_3gpuE0ELNS1_3repE0EEENS1_30default_config_static_selectorELNS0_4arch9wavefront6targetE1EEEvT1_
	.globl	_ZN7rocprim17ROCPRIM_400000_NS6detail17trampoline_kernelINS0_14default_configENS1_25partition_config_selectorILNS1_17partition_subalgoE1EsNS0_10empty_typeEbEEZZNS1_14partition_implILS5_1ELb0ES3_jN6thrust23THRUST_200600_302600_NS6detail15normal_iteratorINSA_10device_ptrIsEEEEPS6_NSA_18transform_iteratorI7is_evenIsESF_NSA_11use_defaultESK_EENS0_5tupleIJSF_NSA_16discard_iteratorISK_EEEEENSM_IJSG_SG_EEES6_PlJS6_EEE10hipError_tPvRmT3_T4_T5_T6_T7_T9_mT8_P12ihipStream_tbDpT10_ENKUlT_T0_E_clISt17integral_constantIbLb1EES1B_EEDaS16_S17_EUlS16_E_NS1_11comp_targetILNS1_3genE0ELNS1_11target_archE4294967295ELNS1_3gpuE0ELNS1_3repE0EEENS1_30default_config_static_selectorELNS0_4arch9wavefront6targetE1EEEvT1_
	.p2align	8
	.type	_ZN7rocprim17ROCPRIM_400000_NS6detail17trampoline_kernelINS0_14default_configENS1_25partition_config_selectorILNS1_17partition_subalgoE1EsNS0_10empty_typeEbEEZZNS1_14partition_implILS5_1ELb0ES3_jN6thrust23THRUST_200600_302600_NS6detail15normal_iteratorINSA_10device_ptrIsEEEEPS6_NSA_18transform_iteratorI7is_evenIsESF_NSA_11use_defaultESK_EENS0_5tupleIJSF_NSA_16discard_iteratorISK_EEEEENSM_IJSG_SG_EEES6_PlJS6_EEE10hipError_tPvRmT3_T4_T5_T6_T7_T9_mT8_P12ihipStream_tbDpT10_ENKUlT_T0_E_clISt17integral_constantIbLb1EES1B_EEDaS16_S17_EUlS16_E_NS1_11comp_targetILNS1_3genE0ELNS1_11target_archE4294967295ELNS1_3gpuE0ELNS1_3repE0EEENS1_30default_config_static_selectorELNS0_4arch9wavefront6targetE1EEEvT1_,@function
_ZN7rocprim17ROCPRIM_400000_NS6detail17trampoline_kernelINS0_14default_configENS1_25partition_config_selectorILNS1_17partition_subalgoE1EsNS0_10empty_typeEbEEZZNS1_14partition_implILS5_1ELb0ES3_jN6thrust23THRUST_200600_302600_NS6detail15normal_iteratorINSA_10device_ptrIsEEEEPS6_NSA_18transform_iteratorI7is_evenIsESF_NSA_11use_defaultESK_EENS0_5tupleIJSF_NSA_16discard_iteratorISK_EEEEENSM_IJSG_SG_EEES6_PlJS6_EEE10hipError_tPvRmT3_T4_T5_T6_T7_T9_mT8_P12ihipStream_tbDpT10_ENKUlT_T0_E_clISt17integral_constantIbLb1EES1B_EEDaS16_S17_EUlS16_E_NS1_11comp_targetILNS1_3genE0ELNS1_11target_archE4294967295ELNS1_3gpuE0ELNS1_3repE0EEENS1_30default_config_static_selectorELNS0_4arch9wavefront6targetE1EEEvT1_: ; @_ZN7rocprim17ROCPRIM_400000_NS6detail17trampoline_kernelINS0_14default_configENS1_25partition_config_selectorILNS1_17partition_subalgoE1EsNS0_10empty_typeEbEEZZNS1_14partition_implILS5_1ELb0ES3_jN6thrust23THRUST_200600_302600_NS6detail15normal_iteratorINSA_10device_ptrIsEEEEPS6_NSA_18transform_iteratorI7is_evenIsESF_NSA_11use_defaultESK_EENS0_5tupleIJSF_NSA_16discard_iteratorISK_EEEEENSM_IJSG_SG_EEES6_PlJS6_EEE10hipError_tPvRmT3_T4_T5_T6_T7_T9_mT8_P12ihipStream_tbDpT10_ENKUlT_T0_E_clISt17integral_constantIbLb1EES1B_EEDaS16_S17_EUlS16_E_NS1_11comp_targetILNS1_3genE0ELNS1_11target_archE4294967295ELNS1_3gpuE0ELNS1_3repE0EEENS1_30default_config_static_selectorELNS0_4arch9wavefront6targetE1EEEvT1_
; %bb.0:
	.section	.rodata,"a",@progbits
	.p2align	6, 0x0
	.amdhsa_kernel _ZN7rocprim17ROCPRIM_400000_NS6detail17trampoline_kernelINS0_14default_configENS1_25partition_config_selectorILNS1_17partition_subalgoE1EsNS0_10empty_typeEbEEZZNS1_14partition_implILS5_1ELb0ES3_jN6thrust23THRUST_200600_302600_NS6detail15normal_iteratorINSA_10device_ptrIsEEEEPS6_NSA_18transform_iteratorI7is_evenIsESF_NSA_11use_defaultESK_EENS0_5tupleIJSF_NSA_16discard_iteratorISK_EEEEENSM_IJSG_SG_EEES6_PlJS6_EEE10hipError_tPvRmT3_T4_T5_T6_T7_T9_mT8_P12ihipStream_tbDpT10_ENKUlT_T0_E_clISt17integral_constantIbLb1EES1B_EEDaS16_S17_EUlS16_E_NS1_11comp_targetILNS1_3genE0ELNS1_11target_archE4294967295ELNS1_3gpuE0ELNS1_3repE0EEENS1_30default_config_static_selectorELNS0_4arch9wavefront6targetE1EEEvT1_
		.amdhsa_group_segment_fixed_size 0
		.amdhsa_private_segment_fixed_size 0
		.amdhsa_kernarg_size 152
		.amdhsa_user_sgpr_count 2
		.amdhsa_user_sgpr_dispatch_ptr 0
		.amdhsa_user_sgpr_queue_ptr 0
		.amdhsa_user_sgpr_kernarg_segment_ptr 1
		.amdhsa_user_sgpr_dispatch_id 0
		.amdhsa_user_sgpr_kernarg_preload_length 0
		.amdhsa_user_sgpr_kernarg_preload_offset 0
		.amdhsa_user_sgpr_private_segment_size 0
		.amdhsa_uses_dynamic_stack 0
		.amdhsa_enable_private_segment 0
		.amdhsa_system_sgpr_workgroup_id_x 1
		.amdhsa_system_sgpr_workgroup_id_y 0
		.amdhsa_system_sgpr_workgroup_id_z 0
		.amdhsa_system_sgpr_workgroup_info 0
		.amdhsa_system_vgpr_workitem_id 0
		.amdhsa_next_free_vgpr 1
		.amdhsa_next_free_sgpr 0
		.amdhsa_accum_offset 4
		.amdhsa_reserve_vcc 0
		.amdhsa_float_round_mode_32 0
		.amdhsa_float_round_mode_16_64 0
		.amdhsa_float_denorm_mode_32 3
		.amdhsa_float_denorm_mode_16_64 3
		.amdhsa_dx10_clamp 1
		.amdhsa_ieee_mode 1
		.amdhsa_fp16_overflow 0
		.amdhsa_tg_split 0
		.amdhsa_exception_fp_ieee_invalid_op 0
		.amdhsa_exception_fp_denorm_src 0
		.amdhsa_exception_fp_ieee_div_zero 0
		.amdhsa_exception_fp_ieee_overflow 0
		.amdhsa_exception_fp_ieee_underflow 0
		.amdhsa_exception_fp_ieee_inexact 0
		.amdhsa_exception_int_div_zero 0
	.end_amdhsa_kernel
	.section	.text._ZN7rocprim17ROCPRIM_400000_NS6detail17trampoline_kernelINS0_14default_configENS1_25partition_config_selectorILNS1_17partition_subalgoE1EsNS0_10empty_typeEbEEZZNS1_14partition_implILS5_1ELb0ES3_jN6thrust23THRUST_200600_302600_NS6detail15normal_iteratorINSA_10device_ptrIsEEEEPS6_NSA_18transform_iteratorI7is_evenIsESF_NSA_11use_defaultESK_EENS0_5tupleIJSF_NSA_16discard_iteratorISK_EEEEENSM_IJSG_SG_EEES6_PlJS6_EEE10hipError_tPvRmT3_T4_T5_T6_T7_T9_mT8_P12ihipStream_tbDpT10_ENKUlT_T0_E_clISt17integral_constantIbLb1EES1B_EEDaS16_S17_EUlS16_E_NS1_11comp_targetILNS1_3genE0ELNS1_11target_archE4294967295ELNS1_3gpuE0ELNS1_3repE0EEENS1_30default_config_static_selectorELNS0_4arch9wavefront6targetE1EEEvT1_,"axG",@progbits,_ZN7rocprim17ROCPRIM_400000_NS6detail17trampoline_kernelINS0_14default_configENS1_25partition_config_selectorILNS1_17partition_subalgoE1EsNS0_10empty_typeEbEEZZNS1_14partition_implILS5_1ELb0ES3_jN6thrust23THRUST_200600_302600_NS6detail15normal_iteratorINSA_10device_ptrIsEEEEPS6_NSA_18transform_iteratorI7is_evenIsESF_NSA_11use_defaultESK_EENS0_5tupleIJSF_NSA_16discard_iteratorISK_EEEEENSM_IJSG_SG_EEES6_PlJS6_EEE10hipError_tPvRmT3_T4_T5_T6_T7_T9_mT8_P12ihipStream_tbDpT10_ENKUlT_T0_E_clISt17integral_constantIbLb1EES1B_EEDaS16_S17_EUlS16_E_NS1_11comp_targetILNS1_3genE0ELNS1_11target_archE4294967295ELNS1_3gpuE0ELNS1_3repE0EEENS1_30default_config_static_selectorELNS0_4arch9wavefront6targetE1EEEvT1_,comdat
.Lfunc_end3395:
	.size	_ZN7rocprim17ROCPRIM_400000_NS6detail17trampoline_kernelINS0_14default_configENS1_25partition_config_selectorILNS1_17partition_subalgoE1EsNS0_10empty_typeEbEEZZNS1_14partition_implILS5_1ELb0ES3_jN6thrust23THRUST_200600_302600_NS6detail15normal_iteratorINSA_10device_ptrIsEEEEPS6_NSA_18transform_iteratorI7is_evenIsESF_NSA_11use_defaultESK_EENS0_5tupleIJSF_NSA_16discard_iteratorISK_EEEEENSM_IJSG_SG_EEES6_PlJS6_EEE10hipError_tPvRmT3_T4_T5_T6_T7_T9_mT8_P12ihipStream_tbDpT10_ENKUlT_T0_E_clISt17integral_constantIbLb1EES1B_EEDaS16_S17_EUlS16_E_NS1_11comp_targetILNS1_3genE0ELNS1_11target_archE4294967295ELNS1_3gpuE0ELNS1_3repE0EEENS1_30default_config_static_selectorELNS0_4arch9wavefront6targetE1EEEvT1_, .Lfunc_end3395-_ZN7rocprim17ROCPRIM_400000_NS6detail17trampoline_kernelINS0_14default_configENS1_25partition_config_selectorILNS1_17partition_subalgoE1EsNS0_10empty_typeEbEEZZNS1_14partition_implILS5_1ELb0ES3_jN6thrust23THRUST_200600_302600_NS6detail15normal_iteratorINSA_10device_ptrIsEEEEPS6_NSA_18transform_iteratorI7is_evenIsESF_NSA_11use_defaultESK_EENS0_5tupleIJSF_NSA_16discard_iteratorISK_EEEEENSM_IJSG_SG_EEES6_PlJS6_EEE10hipError_tPvRmT3_T4_T5_T6_T7_T9_mT8_P12ihipStream_tbDpT10_ENKUlT_T0_E_clISt17integral_constantIbLb1EES1B_EEDaS16_S17_EUlS16_E_NS1_11comp_targetILNS1_3genE0ELNS1_11target_archE4294967295ELNS1_3gpuE0ELNS1_3repE0EEENS1_30default_config_static_selectorELNS0_4arch9wavefront6targetE1EEEvT1_
                                        ; -- End function
	.section	.AMDGPU.csdata,"",@progbits
; Kernel info:
; codeLenInByte = 0
; NumSgprs: 6
; NumVgprs: 0
; NumAgprs: 0
; TotalNumVgprs: 0
; ScratchSize: 0
; MemoryBound: 0
; FloatMode: 240
; IeeeMode: 1
; LDSByteSize: 0 bytes/workgroup (compile time only)
; SGPRBlocks: 0
; VGPRBlocks: 0
; NumSGPRsForWavesPerEU: 6
; NumVGPRsForWavesPerEU: 1
; AccumOffset: 4
; Occupancy: 8
; WaveLimiterHint : 0
; COMPUTE_PGM_RSRC2:SCRATCH_EN: 0
; COMPUTE_PGM_RSRC2:USER_SGPR: 2
; COMPUTE_PGM_RSRC2:TRAP_HANDLER: 0
; COMPUTE_PGM_RSRC2:TGID_X_EN: 1
; COMPUTE_PGM_RSRC2:TGID_Y_EN: 0
; COMPUTE_PGM_RSRC2:TGID_Z_EN: 0
; COMPUTE_PGM_RSRC2:TIDIG_COMP_CNT: 0
; COMPUTE_PGM_RSRC3_GFX90A:ACCUM_OFFSET: 0
; COMPUTE_PGM_RSRC3_GFX90A:TG_SPLIT: 0
	.section	.text._ZN7rocprim17ROCPRIM_400000_NS6detail17trampoline_kernelINS0_14default_configENS1_25partition_config_selectorILNS1_17partition_subalgoE1EsNS0_10empty_typeEbEEZZNS1_14partition_implILS5_1ELb0ES3_jN6thrust23THRUST_200600_302600_NS6detail15normal_iteratorINSA_10device_ptrIsEEEEPS6_NSA_18transform_iteratorI7is_evenIsESF_NSA_11use_defaultESK_EENS0_5tupleIJSF_NSA_16discard_iteratorISK_EEEEENSM_IJSG_SG_EEES6_PlJS6_EEE10hipError_tPvRmT3_T4_T5_T6_T7_T9_mT8_P12ihipStream_tbDpT10_ENKUlT_T0_E_clISt17integral_constantIbLb1EES1B_EEDaS16_S17_EUlS16_E_NS1_11comp_targetILNS1_3genE5ELNS1_11target_archE942ELNS1_3gpuE9ELNS1_3repE0EEENS1_30default_config_static_selectorELNS0_4arch9wavefront6targetE1EEEvT1_,"axG",@progbits,_ZN7rocprim17ROCPRIM_400000_NS6detail17trampoline_kernelINS0_14default_configENS1_25partition_config_selectorILNS1_17partition_subalgoE1EsNS0_10empty_typeEbEEZZNS1_14partition_implILS5_1ELb0ES3_jN6thrust23THRUST_200600_302600_NS6detail15normal_iteratorINSA_10device_ptrIsEEEEPS6_NSA_18transform_iteratorI7is_evenIsESF_NSA_11use_defaultESK_EENS0_5tupleIJSF_NSA_16discard_iteratorISK_EEEEENSM_IJSG_SG_EEES6_PlJS6_EEE10hipError_tPvRmT3_T4_T5_T6_T7_T9_mT8_P12ihipStream_tbDpT10_ENKUlT_T0_E_clISt17integral_constantIbLb1EES1B_EEDaS16_S17_EUlS16_E_NS1_11comp_targetILNS1_3genE5ELNS1_11target_archE942ELNS1_3gpuE9ELNS1_3repE0EEENS1_30default_config_static_selectorELNS0_4arch9wavefront6targetE1EEEvT1_,comdat
	.protected	_ZN7rocprim17ROCPRIM_400000_NS6detail17trampoline_kernelINS0_14default_configENS1_25partition_config_selectorILNS1_17partition_subalgoE1EsNS0_10empty_typeEbEEZZNS1_14partition_implILS5_1ELb0ES3_jN6thrust23THRUST_200600_302600_NS6detail15normal_iteratorINSA_10device_ptrIsEEEEPS6_NSA_18transform_iteratorI7is_evenIsESF_NSA_11use_defaultESK_EENS0_5tupleIJSF_NSA_16discard_iteratorISK_EEEEENSM_IJSG_SG_EEES6_PlJS6_EEE10hipError_tPvRmT3_T4_T5_T6_T7_T9_mT8_P12ihipStream_tbDpT10_ENKUlT_T0_E_clISt17integral_constantIbLb1EES1B_EEDaS16_S17_EUlS16_E_NS1_11comp_targetILNS1_3genE5ELNS1_11target_archE942ELNS1_3gpuE9ELNS1_3repE0EEENS1_30default_config_static_selectorELNS0_4arch9wavefront6targetE1EEEvT1_ ; -- Begin function _ZN7rocprim17ROCPRIM_400000_NS6detail17trampoline_kernelINS0_14default_configENS1_25partition_config_selectorILNS1_17partition_subalgoE1EsNS0_10empty_typeEbEEZZNS1_14partition_implILS5_1ELb0ES3_jN6thrust23THRUST_200600_302600_NS6detail15normal_iteratorINSA_10device_ptrIsEEEEPS6_NSA_18transform_iteratorI7is_evenIsESF_NSA_11use_defaultESK_EENS0_5tupleIJSF_NSA_16discard_iteratorISK_EEEEENSM_IJSG_SG_EEES6_PlJS6_EEE10hipError_tPvRmT3_T4_T5_T6_T7_T9_mT8_P12ihipStream_tbDpT10_ENKUlT_T0_E_clISt17integral_constantIbLb1EES1B_EEDaS16_S17_EUlS16_E_NS1_11comp_targetILNS1_3genE5ELNS1_11target_archE942ELNS1_3gpuE9ELNS1_3repE0EEENS1_30default_config_static_selectorELNS0_4arch9wavefront6targetE1EEEvT1_
	.globl	_ZN7rocprim17ROCPRIM_400000_NS6detail17trampoline_kernelINS0_14default_configENS1_25partition_config_selectorILNS1_17partition_subalgoE1EsNS0_10empty_typeEbEEZZNS1_14partition_implILS5_1ELb0ES3_jN6thrust23THRUST_200600_302600_NS6detail15normal_iteratorINSA_10device_ptrIsEEEEPS6_NSA_18transform_iteratorI7is_evenIsESF_NSA_11use_defaultESK_EENS0_5tupleIJSF_NSA_16discard_iteratorISK_EEEEENSM_IJSG_SG_EEES6_PlJS6_EEE10hipError_tPvRmT3_T4_T5_T6_T7_T9_mT8_P12ihipStream_tbDpT10_ENKUlT_T0_E_clISt17integral_constantIbLb1EES1B_EEDaS16_S17_EUlS16_E_NS1_11comp_targetILNS1_3genE5ELNS1_11target_archE942ELNS1_3gpuE9ELNS1_3repE0EEENS1_30default_config_static_selectorELNS0_4arch9wavefront6targetE1EEEvT1_
	.p2align	8
	.type	_ZN7rocprim17ROCPRIM_400000_NS6detail17trampoline_kernelINS0_14default_configENS1_25partition_config_selectorILNS1_17partition_subalgoE1EsNS0_10empty_typeEbEEZZNS1_14partition_implILS5_1ELb0ES3_jN6thrust23THRUST_200600_302600_NS6detail15normal_iteratorINSA_10device_ptrIsEEEEPS6_NSA_18transform_iteratorI7is_evenIsESF_NSA_11use_defaultESK_EENS0_5tupleIJSF_NSA_16discard_iteratorISK_EEEEENSM_IJSG_SG_EEES6_PlJS6_EEE10hipError_tPvRmT3_T4_T5_T6_T7_T9_mT8_P12ihipStream_tbDpT10_ENKUlT_T0_E_clISt17integral_constantIbLb1EES1B_EEDaS16_S17_EUlS16_E_NS1_11comp_targetILNS1_3genE5ELNS1_11target_archE942ELNS1_3gpuE9ELNS1_3repE0EEENS1_30default_config_static_selectorELNS0_4arch9wavefront6targetE1EEEvT1_,@function
_ZN7rocprim17ROCPRIM_400000_NS6detail17trampoline_kernelINS0_14default_configENS1_25partition_config_selectorILNS1_17partition_subalgoE1EsNS0_10empty_typeEbEEZZNS1_14partition_implILS5_1ELb0ES3_jN6thrust23THRUST_200600_302600_NS6detail15normal_iteratorINSA_10device_ptrIsEEEEPS6_NSA_18transform_iteratorI7is_evenIsESF_NSA_11use_defaultESK_EENS0_5tupleIJSF_NSA_16discard_iteratorISK_EEEEENSM_IJSG_SG_EEES6_PlJS6_EEE10hipError_tPvRmT3_T4_T5_T6_T7_T9_mT8_P12ihipStream_tbDpT10_ENKUlT_T0_E_clISt17integral_constantIbLb1EES1B_EEDaS16_S17_EUlS16_E_NS1_11comp_targetILNS1_3genE5ELNS1_11target_archE942ELNS1_3gpuE9ELNS1_3repE0EEENS1_30default_config_static_selectorELNS0_4arch9wavefront6targetE1EEEvT1_: ; @_ZN7rocprim17ROCPRIM_400000_NS6detail17trampoline_kernelINS0_14default_configENS1_25partition_config_selectorILNS1_17partition_subalgoE1EsNS0_10empty_typeEbEEZZNS1_14partition_implILS5_1ELb0ES3_jN6thrust23THRUST_200600_302600_NS6detail15normal_iteratorINSA_10device_ptrIsEEEEPS6_NSA_18transform_iteratorI7is_evenIsESF_NSA_11use_defaultESK_EENS0_5tupleIJSF_NSA_16discard_iteratorISK_EEEEENSM_IJSG_SG_EEES6_PlJS6_EEE10hipError_tPvRmT3_T4_T5_T6_T7_T9_mT8_P12ihipStream_tbDpT10_ENKUlT_T0_E_clISt17integral_constantIbLb1EES1B_EEDaS16_S17_EUlS16_E_NS1_11comp_targetILNS1_3genE5ELNS1_11target_archE942ELNS1_3gpuE9ELNS1_3repE0EEENS1_30default_config_static_selectorELNS0_4arch9wavefront6targetE1EEEvT1_
; %bb.0:
	s_load_dwordx2 s[2:3], s[0:1], 0x20
	s_load_dwordx4 s[20:23], s[0:1], 0x58
	s_load_dwordx2 s[10:11], s[0:1], 0x68
	s_load_dwordx2 s[28:29], s[0:1], 0x78
	v_cmp_eq_u32_e64 s[18:19], 0, v0
	s_and_saveexec_b64 s[4:5], s[18:19]
	s_cbranch_execz .LBB3396_4
; %bb.1:
	s_mov_b64 s[8:9], exec
	v_mbcnt_lo_u32_b32 v1, s8, 0
	v_mbcnt_hi_u32_b32 v1, s9, v1
	v_cmp_eq_u32_e32 vcc, 0, v1
                                        ; implicit-def: $vgpr2
	s_and_saveexec_b64 s[6:7], vcc
	s_cbranch_execz .LBB3396_3
; %bb.2:
	s_load_dwordx2 s[12:13], s[0:1], 0x88
	s_bcnt1_i32_b64 s8, s[8:9]
	v_mov_b32_e32 v2, 0
	v_mov_b32_e32 v3, s8
	s_waitcnt lgkmcnt(0)
	global_atomic_add v2, v2, v3, s[12:13] sc0
.LBB3396_3:
	s_or_b64 exec, exec, s[6:7]
	s_waitcnt vmcnt(0)
	v_readfirstlane_b32 s6, v2
	v_mov_b32_e32 v2, 0
	s_nop 0
	v_add_u32_e32 v1, s6, v1
	ds_write_b32 v2, v1
.LBB3396_4:
	s_or_b64 exec, exec, s[4:5]
	v_mov_b32_e32 v17, 0
	s_load_dwordx4 s[4:7], s[0:1], 0x8
	s_load_dwordx2 s[24:25], s[0:1], 0x30
	s_load_dword s12, s[0:1], 0x80
	s_waitcnt lgkmcnt(0)
	s_barrier
	ds_read_b32 v1, v17
	s_waitcnt lgkmcnt(0)
	s_barrier
	global_load_dwordx2 v[14:15], v17, s[22:23]
	s_lshl_b64 s[8:9], s[6:7], 1
	v_mov_b32_e32 v3, s11
	s_add_u32 s11, s4, s8
	s_mul_i32 s4, s12, 0x3800
	s_addc_u32 s13, s5, s9
	s_add_i32 s1, s4, s6
	s_sub_i32 s33, s10, s1
	s_add_i32 s14, s12, -1
	s_addk_i32 s33, 0x3800
	s_add_u32 s4, s6, s4
	v_readfirstlane_b32 s36, v1
	s_addc_u32 s5, s7, 0
	s_cmp_eq_u32 s36, s14
	v_mov_b32_e32 v2, s10
	s_cselect_b64 s[22:23], -1, 0
	s_cmp_lg_u32 s36, s14
	s_mul_i32 s0, s36, 0x3800
	s_mov_b32 s1, 0
	v_cmp_lt_u64_e32 vcc, s[4:5], v[2:3]
	s_cselect_b64 s[4:5], -1, 0
	s_or_b64 s[26:27], vcc, s[4:5]
	s_lshl_b64 s[4:5], s[0:1], 1
	s_add_u32 s6, s11, s4
	s_addc_u32 s7, s13, s5
	s_mov_b64 s[0:1], -1
	s_and_b64 vcc, exec, s[26:27]
	v_lshlrev_b32_e32 v16, 1, v0
	s_cbranch_vccz .LBB3396_6
; %bb.5:
	v_lshl_add_u64 v[2:3], s[6:7], 0, v[16:17]
	v_add_co_u32_e32 v4, vcc, 0x1000, v2
	s_mov_b64 s[0:1], 0
	s_nop 0
	v_addc_co_u32_e32 v5, vcc, 0, v3, vcc
	flat_load_ushort v1, v[2:3]
	flat_load_ushort v8, v[2:3] offset:1024
	flat_load_ushort v9, v[2:3] offset:2048
	;; [unrolled: 1-line block ×3, first 2 shown]
	flat_load_ushort v11, v[4:5]
	flat_load_ushort v12, v[4:5] offset:1024
	flat_load_ushort v13, v[4:5] offset:2048
	;; [unrolled: 1-line block ×3, first 2 shown]
	v_add_co_u32_e32 v4, vcc, 0x2000, v2
	s_nop 1
	v_addc_co_u32_e32 v5, vcc, 0, v3, vcc
	v_add_co_u32_e32 v6, vcc, 0x3000, v2
	s_nop 1
	v_addc_co_u32_e32 v7, vcc, 0, v3, vcc
	flat_load_ushort v18, v[4:5]
	flat_load_ushort v19, v[4:5] offset:1024
	flat_load_ushort v20, v[4:5] offset:2048
	;; [unrolled: 1-line block ×3, first 2 shown]
	flat_load_ushort v22, v[6:7]
	flat_load_ushort v23, v[6:7] offset:1024
	flat_load_ushort v24, v[6:7] offset:2048
	flat_load_ushort v25, v[6:7] offset:3072
	v_add_co_u32_e32 v4, vcc, 0x4000, v2
	s_nop 1
	v_addc_co_u32_e32 v5, vcc, 0, v3, vcc
	v_add_co_u32_e32 v6, vcc, 0x5000, v2
	s_nop 1
	v_addc_co_u32_e32 v7, vcc, 0, v3, vcc
	v_add_co_u32_e32 v2, vcc, 0x6000, v2
	flat_load_ushort v26, v[4:5]
	flat_load_ushort v27, v[4:5] offset:1024
	flat_load_ushort v28, v[4:5] offset:2048
	;; [unrolled: 1-line block ×3, first 2 shown]
	flat_load_ushort v30, v[6:7]
	flat_load_ushort v31, v[6:7] offset:1024
	flat_load_ushort v32, v[6:7] offset:2048
	;; [unrolled: 1-line block ×3, first 2 shown]
	v_addc_co_u32_e32 v3, vcc, 0, v3, vcc
	flat_load_ushort v4, v[2:3]
	flat_load_ushort v5, v[2:3] offset:1024
	flat_load_ushort v6, v[2:3] offset:2048
	;; [unrolled: 1-line block ×3, first 2 shown]
	s_waitcnt vmcnt(0) lgkmcnt(0)
	ds_write_b16 v16, v1
	ds_write_b16 v16, v8 offset:1024
	ds_write_b16 v16, v9 offset:2048
	;; [unrolled: 1-line block ×27, first 2 shown]
	s_waitcnt lgkmcnt(0)
	s_barrier
.LBB3396_6:
	s_andn2_b64 vcc, exec, s[0:1]
	v_cmp_gt_u32_e64 s[0:1], s33, v0
	s_cbranch_vccnz .LBB3396_64
; %bb.7:
                                        ; implicit-def: $vgpr1
	s_and_saveexec_b64 s[10:11], s[0:1]
	s_cbranch_execz .LBB3396_9
; %bb.8:
	v_mov_b32_e32 v17, 0
	v_lshl_add_u64 v[2:3], s[6:7], 0, v[16:17]
	flat_load_ushort v1, v[2:3]
.LBB3396_9:
	s_or_b64 exec, exec, s[10:11]
	v_or_b32_e32 v2, 0x200, v0
	v_cmp_gt_u32_e32 vcc, s33, v2
                                        ; implicit-def: $vgpr2
	s_and_saveexec_b64 s[0:1], vcc
	s_cbranch_execz .LBB3396_11
; %bb.10:
	v_mov_b32_e32 v17, 0
	v_lshl_add_u64 v[2:3], s[6:7], 0, v[16:17]
	flat_load_ushort v2, v[2:3] offset:1024
.LBB3396_11:
	s_or_b64 exec, exec, s[0:1]
	v_or_b32_e32 v3, 0x400, v0
	v_cmp_gt_u32_e32 vcc, s33, v3
                                        ; implicit-def: $vgpr3
	s_and_saveexec_b64 s[0:1], vcc
	s_cbranch_execz .LBB3396_13
; %bb.12:
	v_mov_b32_e32 v17, 0
	v_lshl_add_u64 v[4:5], s[6:7], 0, v[16:17]
	flat_load_ushort v3, v[4:5] offset:2048
.LBB3396_13:
	s_or_b64 exec, exec, s[0:1]
	v_or_b32_e32 v4, 0x600, v0
	v_cmp_gt_u32_e32 vcc, s33, v4
                                        ; implicit-def: $vgpr4
	s_and_saveexec_b64 s[0:1], vcc
	s_cbranch_execz .LBB3396_15
; %bb.14:
	v_mov_b32_e32 v17, 0
	v_lshl_add_u64 v[4:5], s[6:7], 0, v[16:17]
	flat_load_ushort v4, v[4:5] offset:3072
.LBB3396_15:
	s_or_b64 exec, exec, s[0:1]
	v_or_b32_e32 v6, 0x800, v0
	v_cmp_gt_u32_e32 vcc, s33, v6
                                        ; implicit-def: $vgpr5
	s_and_saveexec_b64 s[0:1], vcc
	s_cbranch_execz .LBB3396_17
; %bb.16:
	v_lshlrev_b32_e32 v6, 1, v6
	v_mov_b32_e32 v7, 0
	v_lshl_add_u64 v[6:7], s[6:7], 0, v[6:7]
	flat_load_ushort v5, v[6:7]
.LBB3396_17:
	s_or_b64 exec, exec, s[0:1]
	v_or_b32_e32 v7, 0xa00, v0
	v_cmp_gt_u32_e32 vcc, s33, v7
                                        ; implicit-def: $vgpr6
	s_and_saveexec_b64 s[0:1], vcc
	s_cbranch_execz .LBB3396_19
; %bb.18:
	v_lshlrev_b32_e32 v6, 1, v7
	v_mov_b32_e32 v7, 0
	v_lshl_add_u64 v[6:7], s[6:7], 0, v[6:7]
	flat_load_ushort v6, v[6:7]
.LBB3396_19:
	s_or_b64 exec, exec, s[0:1]
	v_or_b32_e32 v8, 0xc00, v0
	v_cmp_gt_u32_e32 vcc, s33, v8
                                        ; implicit-def: $vgpr7
	s_and_saveexec_b64 s[0:1], vcc
	s_cbranch_execz .LBB3396_21
; %bb.20:
	v_lshlrev_b32_e32 v8, 1, v8
	v_mov_b32_e32 v9, 0
	v_lshl_add_u64 v[8:9], s[6:7], 0, v[8:9]
	flat_load_ushort v7, v[8:9]
.LBB3396_21:
	s_or_b64 exec, exec, s[0:1]
	v_or_b32_e32 v9, 0xe00, v0
	v_cmp_gt_u32_e32 vcc, s33, v9
                                        ; implicit-def: $vgpr8
	s_and_saveexec_b64 s[0:1], vcc
	s_cbranch_execz .LBB3396_23
; %bb.22:
	v_lshlrev_b32_e32 v8, 1, v9
	v_mov_b32_e32 v9, 0
	v_lshl_add_u64 v[8:9], s[6:7], 0, v[8:9]
	flat_load_ushort v8, v[8:9]
.LBB3396_23:
	s_or_b64 exec, exec, s[0:1]
	v_or_b32_e32 v10, 0x1000, v0
	v_cmp_gt_u32_e32 vcc, s33, v10
                                        ; implicit-def: $vgpr9
	s_and_saveexec_b64 s[0:1], vcc
	s_cbranch_execz .LBB3396_25
; %bb.24:
	v_lshlrev_b32_e32 v10, 1, v10
	v_mov_b32_e32 v11, 0
	v_lshl_add_u64 v[10:11], s[6:7], 0, v[10:11]
	flat_load_ushort v9, v[10:11]
.LBB3396_25:
	s_or_b64 exec, exec, s[0:1]
	v_or_b32_e32 v11, 0x1200, v0
	v_cmp_gt_u32_e32 vcc, s33, v11
                                        ; implicit-def: $vgpr10
	s_and_saveexec_b64 s[0:1], vcc
	s_cbranch_execz .LBB3396_27
; %bb.26:
	v_lshlrev_b32_e32 v10, 1, v11
	v_mov_b32_e32 v11, 0
	v_lshl_add_u64 v[10:11], s[6:7], 0, v[10:11]
	flat_load_ushort v10, v[10:11]
.LBB3396_27:
	s_or_b64 exec, exec, s[0:1]
	v_or_b32_e32 v12, 0x1400, v0
	v_cmp_gt_u32_e32 vcc, s33, v12
                                        ; implicit-def: $vgpr11
	s_and_saveexec_b64 s[0:1], vcc
	s_cbranch_execz .LBB3396_29
; %bb.28:
	v_lshlrev_b32_e32 v12, 1, v12
	v_mov_b32_e32 v13, 0
	v_lshl_add_u64 v[12:13], s[6:7], 0, v[12:13]
	flat_load_ushort v11, v[12:13]
.LBB3396_29:
	s_or_b64 exec, exec, s[0:1]
	v_or_b32_e32 v13, 0x1600, v0
	v_cmp_gt_u32_e32 vcc, s33, v13
                                        ; implicit-def: $vgpr12
	s_and_saveexec_b64 s[0:1], vcc
	s_cbranch_execz .LBB3396_31
; %bb.30:
	v_lshlrev_b32_e32 v12, 1, v13
	v_mov_b32_e32 v13, 0
	v_lshl_add_u64 v[12:13], s[6:7], 0, v[12:13]
	flat_load_ushort v12, v[12:13]
.LBB3396_31:
	s_or_b64 exec, exec, s[0:1]
	v_or_b32_e32 v17, 0x1800, v0
	v_cmp_gt_u32_e32 vcc, s33, v17
                                        ; implicit-def: $vgpr13
	s_and_saveexec_b64 s[0:1], vcc
	s_cbranch_execz .LBB3396_33
; %bb.32:
	v_lshlrev_b32_e32 v18, 1, v17
	v_mov_b32_e32 v19, 0
	v_lshl_add_u64 v[18:19], s[6:7], 0, v[18:19]
	flat_load_ushort v13, v[18:19]
.LBB3396_33:
	s_or_b64 exec, exec, s[0:1]
	v_or_b32_e32 v18, 0x1a00, v0
	v_cmp_gt_u32_e32 vcc, s33, v18
                                        ; implicit-def: $vgpr17
	s_and_saveexec_b64 s[0:1], vcc
	s_cbranch_execz .LBB3396_35
; %bb.34:
	v_lshlrev_b32_e32 v18, 1, v18
	v_mov_b32_e32 v19, 0
	v_lshl_add_u64 v[18:19], s[6:7], 0, v[18:19]
	flat_load_ushort v17, v[18:19]
.LBB3396_35:
	s_or_b64 exec, exec, s[0:1]
	v_or_b32_e32 v19, 0x1c00, v0
	v_cmp_gt_u32_e32 vcc, s33, v19
                                        ; implicit-def: $vgpr18
	s_and_saveexec_b64 s[0:1], vcc
	s_cbranch_execz .LBB3396_37
; %bb.36:
	v_lshlrev_b32_e32 v18, 1, v19
	v_mov_b32_e32 v19, 0
	v_lshl_add_u64 v[18:19], s[6:7], 0, v[18:19]
	flat_load_ushort v18, v[18:19]
.LBB3396_37:
	s_or_b64 exec, exec, s[0:1]
	v_or_b32_e32 v20, 0x1e00, v0
	v_cmp_gt_u32_e32 vcc, s33, v20
                                        ; implicit-def: $vgpr19
	s_and_saveexec_b64 s[0:1], vcc
	s_cbranch_execz .LBB3396_39
; %bb.38:
	v_lshlrev_b32_e32 v20, 1, v20
	v_mov_b32_e32 v21, 0
	v_lshl_add_u64 v[20:21], s[6:7], 0, v[20:21]
	flat_load_ushort v19, v[20:21]
.LBB3396_39:
	s_or_b64 exec, exec, s[0:1]
	v_or_b32_e32 v21, 0x2000, v0
	v_cmp_gt_u32_e32 vcc, s33, v21
                                        ; implicit-def: $vgpr20
	s_and_saveexec_b64 s[0:1], vcc
	s_cbranch_execz .LBB3396_41
; %bb.40:
	v_lshlrev_b32_e32 v20, 1, v21
	v_mov_b32_e32 v21, 0
	v_lshl_add_u64 v[20:21], s[6:7], 0, v[20:21]
	flat_load_ushort v20, v[20:21]
.LBB3396_41:
	s_or_b64 exec, exec, s[0:1]
	v_or_b32_e32 v22, 0x2200, v0
	v_cmp_gt_u32_e32 vcc, s33, v22
                                        ; implicit-def: $vgpr21
	s_and_saveexec_b64 s[0:1], vcc
	s_cbranch_execz .LBB3396_43
; %bb.42:
	v_lshlrev_b32_e32 v22, 1, v22
	v_mov_b32_e32 v23, 0
	v_lshl_add_u64 v[22:23], s[6:7], 0, v[22:23]
	flat_load_ushort v21, v[22:23]
.LBB3396_43:
	s_or_b64 exec, exec, s[0:1]
	v_or_b32_e32 v23, 0x2400, v0
	v_cmp_gt_u32_e32 vcc, s33, v23
                                        ; implicit-def: $vgpr22
	s_and_saveexec_b64 s[0:1], vcc
	s_cbranch_execz .LBB3396_45
; %bb.44:
	v_lshlrev_b32_e32 v22, 1, v23
	v_mov_b32_e32 v23, 0
	v_lshl_add_u64 v[22:23], s[6:7], 0, v[22:23]
	flat_load_ushort v22, v[22:23]
.LBB3396_45:
	s_or_b64 exec, exec, s[0:1]
	v_or_b32_e32 v24, 0x2600, v0
	v_cmp_gt_u32_e32 vcc, s33, v24
                                        ; implicit-def: $vgpr23
	s_and_saveexec_b64 s[0:1], vcc
	s_cbranch_execz .LBB3396_47
; %bb.46:
	v_lshlrev_b32_e32 v24, 1, v24
	v_mov_b32_e32 v25, 0
	v_lshl_add_u64 v[24:25], s[6:7], 0, v[24:25]
	flat_load_ushort v23, v[24:25]
.LBB3396_47:
	s_or_b64 exec, exec, s[0:1]
	v_or_b32_e32 v25, 0x2800, v0
	v_cmp_gt_u32_e32 vcc, s33, v25
                                        ; implicit-def: $vgpr24
	s_and_saveexec_b64 s[0:1], vcc
	s_cbranch_execz .LBB3396_49
; %bb.48:
	v_lshlrev_b32_e32 v24, 1, v25
	v_mov_b32_e32 v25, 0
	v_lshl_add_u64 v[24:25], s[6:7], 0, v[24:25]
	flat_load_ushort v24, v[24:25]
.LBB3396_49:
	s_or_b64 exec, exec, s[0:1]
	v_or_b32_e32 v26, 0x2a00, v0
	v_cmp_gt_u32_e32 vcc, s33, v26
                                        ; implicit-def: $vgpr25
	s_and_saveexec_b64 s[0:1], vcc
	s_cbranch_execz .LBB3396_51
; %bb.50:
	v_lshlrev_b32_e32 v26, 1, v26
	v_mov_b32_e32 v27, 0
	v_lshl_add_u64 v[26:27], s[6:7], 0, v[26:27]
	flat_load_ushort v25, v[26:27]
.LBB3396_51:
	s_or_b64 exec, exec, s[0:1]
	v_or_b32_e32 v27, 0x2c00, v0
	v_cmp_gt_u32_e32 vcc, s33, v27
                                        ; implicit-def: $vgpr26
	s_and_saveexec_b64 s[0:1], vcc
	s_cbranch_execz .LBB3396_53
; %bb.52:
	v_lshlrev_b32_e32 v26, 1, v27
	v_mov_b32_e32 v27, 0
	v_lshl_add_u64 v[26:27], s[6:7], 0, v[26:27]
	flat_load_ushort v26, v[26:27]
.LBB3396_53:
	s_or_b64 exec, exec, s[0:1]
	v_or_b32_e32 v28, 0x2e00, v0
	v_cmp_gt_u32_e32 vcc, s33, v28
                                        ; implicit-def: $vgpr27
	s_and_saveexec_b64 s[0:1], vcc
	s_cbranch_execz .LBB3396_55
; %bb.54:
	v_lshlrev_b32_e32 v28, 1, v28
	v_mov_b32_e32 v29, 0
	v_lshl_add_u64 v[28:29], s[6:7], 0, v[28:29]
	flat_load_ushort v27, v[28:29]
.LBB3396_55:
	s_or_b64 exec, exec, s[0:1]
	v_or_b32_e32 v29, 0x3000, v0
	v_cmp_gt_u32_e32 vcc, s33, v29
                                        ; implicit-def: $vgpr28
	s_and_saveexec_b64 s[0:1], vcc
	s_cbranch_execz .LBB3396_57
; %bb.56:
	v_lshlrev_b32_e32 v28, 1, v29
	v_mov_b32_e32 v29, 0
	v_lshl_add_u64 v[28:29], s[6:7], 0, v[28:29]
	flat_load_ushort v28, v[28:29]
.LBB3396_57:
	s_or_b64 exec, exec, s[0:1]
	v_or_b32_e32 v30, 0x3200, v0
	v_cmp_gt_u32_e32 vcc, s33, v30
                                        ; implicit-def: $vgpr29
	s_and_saveexec_b64 s[0:1], vcc
	s_cbranch_execz .LBB3396_59
; %bb.58:
	v_lshlrev_b32_e32 v30, 1, v30
	v_mov_b32_e32 v31, 0
	v_lshl_add_u64 v[30:31], s[6:7], 0, v[30:31]
	flat_load_ushort v29, v[30:31]
.LBB3396_59:
	s_or_b64 exec, exec, s[0:1]
	v_or_b32_e32 v31, 0x3400, v0
	v_cmp_gt_u32_e32 vcc, s33, v31
                                        ; implicit-def: $vgpr30
	s_and_saveexec_b64 s[0:1], vcc
	s_cbranch_execz .LBB3396_61
; %bb.60:
	v_lshlrev_b32_e32 v30, 1, v31
	v_mov_b32_e32 v31, 0
	v_lshl_add_u64 v[30:31], s[6:7], 0, v[30:31]
	flat_load_ushort v30, v[30:31]
.LBB3396_61:
	s_or_b64 exec, exec, s[0:1]
	v_or_b32_e32 v32, 0x3600, v0
	v_cmp_gt_u32_e32 vcc, s33, v32
                                        ; implicit-def: $vgpr31
	s_and_saveexec_b64 s[0:1], vcc
	s_cbranch_execz .LBB3396_63
; %bb.62:
	v_lshlrev_b32_e32 v32, 1, v32
	v_mov_b32_e32 v33, 0
	v_lshl_add_u64 v[32:33], s[6:7], 0, v[32:33]
	flat_load_ushort v31, v[32:33]
.LBB3396_63:
	s_or_b64 exec, exec, s[0:1]
	s_waitcnt vmcnt(0) lgkmcnt(0)
	ds_write_b16 v16, v1
	ds_write_b16 v16, v2 offset:1024
	ds_write_b16 v16, v3 offset:2048
	;; [unrolled: 1-line block ×27, first 2 shown]
	s_waitcnt lgkmcnt(0)
	s_barrier
.LBB3396_64:
	v_mul_u32_u24_e32 v1, 28, v0
	v_lshlrev_b32_e32 v6, 1, v1
	ds_read_b64 v[18:19], v6 offset:48
	ds_read2_b64 v[2:5], v6 offset0:4 offset1:5
	ds_read2_b64 v[10:13], v6 offset1:1
	ds_read2_b64 v[6:9], v6 offset0:2 offset1:3
	s_add_u32 s0, s2, s8
	s_addc_u32 s1, s3, s9
	s_add_u32 s0, s0, s4
	s_addc_u32 s1, s1, s5
	s_mov_b64 s[2:3], -1
	s_and_b64 vcc, exec, s[26:27]
	s_waitcnt lgkmcnt(0)
	s_barrier
	s_cbranch_vccz .LBB3396_66
; %bb.65:
	v_mov_b32_e32 v17, 0
	v_lshl_add_u64 v[20:21], s[0:1], 0, v[16:17]
	s_movk_i32 s2, 0x1000
	v_add_co_u32_e32 v22, vcc, s2, v20
	s_movk_i32 s2, 0x2000
	s_nop 0
	v_addc_co_u32_e32 v23, vcc, 0, v21, vcc
	v_add_co_u32_e32 v24, vcc, s2, v20
	s_movk_i32 s3, 0x4000
	s_nop 0
	v_addc_co_u32_e32 v25, vcc, 0, v21, vcc
	global_load_ubyte v17, v16, s[0:1]
	global_load_ubyte v26, v16, s[0:1] offset:1024
	global_load_ubyte v27, v16, s[0:1] offset:2048
	;; [unrolled: 1-line block ×3, first 2 shown]
	global_load_ubyte v29, v[22:23], off offset:1024
	global_load_ubyte v30, v[22:23], off offset:2048
	global_load_ubyte v31, v[22:23], off offset:3072
	global_load_ubyte v32, v[24:25], off offset:-4096
	global_load_ubyte v33, v[24:25], off
	global_load_ubyte v34, v[24:25], off offset:1024
	v_add_co_u32_e32 v22, vcc, s3, v20
	s_movk_i32 s2, 0x3000
	s_nop 0
	v_addc_co_u32_e32 v23, vcc, 0, v21, vcc
	global_load_ubyte v35, v[24:25], off offset:2048
	global_load_ubyte v36, v[24:25], off offset:3072
	global_load_ubyte v37, v[22:23], off offset:-4096
	v_add_co_u32_e32 v24, vcc, s2, v20
	s_movk_i32 s3, 0x6000
	s_nop 0
	v_addc_co_u32_e32 v25, vcc, 0, v21, vcc
	global_load_ubyte v38, v[24:25], off offset:1024
	global_load_ubyte v39, v[24:25], off offset:2048
	;; [unrolled: 1-line block ×3, first 2 shown]
	global_load_ubyte v41, v[22:23], off
	v_add_co_u32_e32 v24, vcc, s3, v20
	s_movk_i32 s2, 0x5000
	s_nop 0
	v_addc_co_u32_e32 v25, vcc, 0, v21, vcc
	v_add_co_u32_e32 v20, vcc, s2, v20
	global_load_ubyte v42, v[22:23], off offset:1024
	global_load_ubyte v43, v[22:23], off offset:2048
	;; [unrolled: 1-line block ×3, first 2 shown]
	global_load_ubyte v45, v[24:25], off offset:-4096
	v_addc_co_u32_e32 v21, vcc, 0, v21, vcc
	global_load_ubyte v22, v[20:21], off offset:1024
	global_load_ubyte v23, v[20:21], off offset:2048
	;; [unrolled: 1-line block ×3, first 2 shown]
	global_load_ubyte v47, v[24:25], off
	global_load_ubyte v48, v[24:25], off offset:1024
	global_load_ubyte v49, v[24:25], off offset:2048
	;; [unrolled: 1-line block ×3, first 2 shown]
	s_mov_b64 s[2:3], 0
	s_waitcnt vmcnt(23)
	v_xor_b32_e32 v25, -1, v29
	v_xor_b32_e32 v17, -1, v17
	;; [unrolled: 1-line block ×5, first 2 shown]
	v_and_b32_e32 v17, 1, v17
	s_waitcnt vmcnt(22)
	v_xor_b32_e32 v26, -1, v30
	s_waitcnt vmcnt(21)
	v_xor_b32_e32 v27, -1, v31
	;; [unrolled: 2-line block ×12, first 2 shown]
	v_and_b32_e32 v20, 1, v20
	v_and_b32_e32 v21, 1, v21
	;; [unrolled: 1-line block ×4, first 2 shown]
	s_waitcnt vmcnt(10)
	v_xor_b32_e32 v38, -1, v42
	s_waitcnt vmcnt(9)
	v_xor_b32_e32 v39, -1, v43
	;; [unrolled: 2-line block ×11, first 2 shown]
	v_and_b32_e32 v26, 1, v26
	v_and_b32_e32 v27, 1, v27
	;; [unrolled: 1-line block ×23, first 2 shown]
	ds_write_b8 v0, v17
	ds_write_b8 v0, v20 offset:512
	ds_write_b8 v0, v21 offset:1024
	;; [unrolled: 1-line block ×27, first 2 shown]
	s_waitcnt lgkmcnt(0)
	s_barrier
.LBB3396_66:
	s_andn2_b64 vcc, exec, s[2:3]
	s_cbranch_vccnz .LBB3396_124
; %bb.67:
	v_cmp_gt_u32_e32 vcc, s33, v0
	v_mov_b32_e32 v17, 0
	v_mov_b32_e32 v20, 0
	s_and_saveexec_b64 s[2:3], vcc
	s_cbranch_execz .LBB3396_69
; %bb.68:
	global_load_ubyte v20, v16, s[0:1]
	s_waitcnt vmcnt(0)
	v_xor_b32_e32 v20, -1, v20
	v_and_b32_e32 v20, 1, v20
.LBB3396_69:
	s_or_b64 exec, exec, s[2:3]
	v_or_b32_e32 v21, 0x200, v0
	v_cmp_gt_u32_e32 vcc, s33, v21
	s_and_saveexec_b64 s[2:3], vcc
	s_cbranch_execz .LBB3396_71
; %bb.70:
	global_load_ubyte v17, v16, s[0:1] offset:1024
	s_waitcnt vmcnt(0)
	v_xor_b32_e32 v17, -1, v17
	v_and_b32_e32 v17, 1, v17
.LBB3396_71:
	s_or_b64 exec, exec, s[2:3]
	v_or_b32_e32 v21, 0x400, v0
	v_cmp_gt_u32_e32 vcc, s33, v21
	v_mov_b32_e32 v21, 0
	v_mov_b32_e32 v22, 0
	s_and_saveexec_b64 s[2:3], vcc
	s_cbranch_execz .LBB3396_73
; %bb.72:
	global_load_ubyte v22, v16, s[0:1] offset:2048
	s_waitcnt vmcnt(0)
	v_xor_b32_e32 v22, -1, v22
	v_and_b32_e32 v22, 1, v22
.LBB3396_73:
	s_or_b64 exec, exec, s[2:3]
	v_or_b32_e32 v23, 0x600, v0
	v_cmp_gt_u32_e32 vcc, s33, v23
	s_and_saveexec_b64 s[2:3], vcc
	s_cbranch_execz .LBB3396_75
; %bb.74:
	global_load_ubyte v21, v16, s[0:1] offset:3072
	s_waitcnt vmcnt(0)
	v_xor_b32_e32 v21, -1, v21
	v_and_b32_e32 v21, 1, v21
.LBB3396_75:
	s_or_b64 exec, exec, s[2:3]
	v_or_b32_e32 v25, 0x800, v0
	v_cmp_gt_u32_e32 vcc, s33, v25
	v_mov_b32_e32 v23, 0
	v_mov_b32_e32 v24, 0
	s_and_saveexec_b64 s[2:3], vcc
	s_cbranch_execz .LBB3396_77
; %bb.76:
	v_lshlrev_b32_e32 v24, 1, v25
	global_load_ubyte v24, v24, s[0:1]
	s_waitcnt vmcnt(0)
	v_xor_b32_e32 v24, -1, v24
	v_and_b32_e32 v24, 1, v24
.LBB3396_77:
	s_or_b64 exec, exec, s[2:3]
	v_or_b32_e32 v25, 0xa00, v0
	v_cmp_gt_u32_e32 vcc, s33, v25
	s_and_saveexec_b64 s[2:3], vcc
	s_cbranch_execz .LBB3396_79
; %bb.78:
	v_lshlrev_b32_e32 v23, 1, v25
	global_load_ubyte v23, v23, s[0:1]
	s_waitcnt vmcnt(0)
	v_xor_b32_e32 v23, -1, v23
	v_and_b32_e32 v23, 1, v23
.LBB3396_79:
	s_or_b64 exec, exec, s[2:3]
	v_or_b32_e32 v27, 0xc00, v0
	v_cmp_gt_u32_e32 vcc, s33, v27
	v_mov_b32_e32 v25, 0
	v_mov_b32_e32 v26, 0
	s_and_saveexec_b64 s[2:3], vcc
	s_cbranch_execz .LBB3396_81
; %bb.80:
	v_lshlrev_b32_e32 v26, 1, v27
	global_load_ubyte v26, v26, s[0:1]
	s_waitcnt vmcnt(0)
	v_xor_b32_e32 v26, -1, v26
	v_and_b32_e32 v26, 1, v26
.LBB3396_81:
	s_or_b64 exec, exec, s[2:3]
	v_or_b32_e32 v27, 0xe00, v0
	v_cmp_gt_u32_e32 vcc, s33, v27
	s_and_saveexec_b64 s[2:3], vcc
	s_cbranch_execz .LBB3396_83
; %bb.82:
	v_lshlrev_b32_e32 v25, 1, v27
	global_load_ubyte v25, v25, s[0:1]
	s_waitcnt vmcnt(0)
	v_xor_b32_e32 v25, -1, v25
	v_and_b32_e32 v25, 1, v25
.LBB3396_83:
	s_or_b64 exec, exec, s[2:3]
	v_or_b32_e32 v29, 0x1000, v0
	v_cmp_gt_u32_e32 vcc, s33, v29
	v_mov_b32_e32 v27, 0
	v_mov_b32_e32 v28, 0
	s_and_saveexec_b64 s[2:3], vcc
	s_cbranch_execz .LBB3396_85
; %bb.84:
	v_lshlrev_b32_e32 v28, 1, v29
	global_load_ubyte v28, v28, s[0:1]
	s_waitcnt vmcnt(0)
	v_xor_b32_e32 v28, -1, v28
	v_and_b32_e32 v28, 1, v28
.LBB3396_85:
	s_or_b64 exec, exec, s[2:3]
	v_or_b32_e32 v29, 0x1200, v0
	v_cmp_gt_u32_e32 vcc, s33, v29
	s_and_saveexec_b64 s[2:3], vcc
	s_cbranch_execz .LBB3396_87
; %bb.86:
	v_lshlrev_b32_e32 v27, 1, v29
	global_load_ubyte v27, v27, s[0:1]
	s_waitcnt vmcnt(0)
	v_xor_b32_e32 v27, -1, v27
	v_and_b32_e32 v27, 1, v27
.LBB3396_87:
	s_or_b64 exec, exec, s[2:3]
	v_or_b32_e32 v31, 0x1400, v0
	v_cmp_gt_u32_e32 vcc, s33, v31
	v_mov_b32_e32 v29, 0
	v_mov_b32_e32 v30, 0
	s_and_saveexec_b64 s[2:3], vcc
	s_cbranch_execz .LBB3396_89
; %bb.88:
	v_lshlrev_b32_e32 v30, 1, v31
	global_load_ubyte v30, v30, s[0:1]
	s_waitcnt vmcnt(0)
	v_xor_b32_e32 v30, -1, v30
	v_and_b32_e32 v30, 1, v30
.LBB3396_89:
	s_or_b64 exec, exec, s[2:3]
	v_or_b32_e32 v31, 0x1600, v0
	v_cmp_gt_u32_e32 vcc, s33, v31
	s_and_saveexec_b64 s[2:3], vcc
	s_cbranch_execz .LBB3396_91
; %bb.90:
	v_lshlrev_b32_e32 v29, 1, v31
	global_load_ubyte v29, v29, s[0:1]
	s_waitcnt vmcnt(0)
	v_xor_b32_e32 v29, -1, v29
	v_and_b32_e32 v29, 1, v29
.LBB3396_91:
	s_or_b64 exec, exec, s[2:3]
	v_or_b32_e32 v33, 0x1800, v0
	v_cmp_gt_u32_e32 vcc, s33, v33
	v_mov_b32_e32 v31, 0
	v_mov_b32_e32 v32, 0
	s_and_saveexec_b64 s[2:3], vcc
	s_cbranch_execz .LBB3396_93
; %bb.92:
	v_lshlrev_b32_e32 v32, 1, v33
	global_load_ubyte v32, v32, s[0:1]
	s_waitcnt vmcnt(0)
	v_xor_b32_e32 v32, -1, v32
	v_and_b32_e32 v32, 1, v32
.LBB3396_93:
	s_or_b64 exec, exec, s[2:3]
	v_or_b32_e32 v33, 0x1a00, v0
	v_cmp_gt_u32_e32 vcc, s33, v33
	s_and_saveexec_b64 s[2:3], vcc
	s_cbranch_execz .LBB3396_95
; %bb.94:
	v_lshlrev_b32_e32 v31, 1, v33
	global_load_ubyte v31, v31, s[0:1]
	s_waitcnt vmcnt(0)
	v_xor_b32_e32 v31, -1, v31
	v_and_b32_e32 v31, 1, v31
.LBB3396_95:
	s_or_b64 exec, exec, s[2:3]
	v_or_b32_e32 v35, 0x1c00, v0
	v_cmp_gt_u32_e32 vcc, s33, v35
	v_mov_b32_e32 v33, 0
	v_mov_b32_e32 v34, 0
	s_and_saveexec_b64 s[2:3], vcc
	s_cbranch_execz .LBB3396_97
; %bb.96:
	v_lshlrev_b32_e32 v34, 1, v35
	global_load_ubyte v34, v34, s[0:1]
	s_waitcnt vmcnt(0)
	v_xor_b32_e32 v34, -1, v34
	v_and_b32_e32 v34, 1, v34
.LBB3396_97:
	s_or_b64 exec, exec, s[2:3]
	v_or_b32_e32 v35, 0x1e00, v0
	v_cmp_gt_u32_e32 vcc, s33, v35
	s_and_saveexec_b64 s[2:3], vcc
	s_cbranch_execz .LBB3396_99
; %bb.98:
	v_lshlrev_b32_e32 v33, 1, v35
	global_load_ubyte v33, v33, s[0:1]
	s_waitcnt vmcnt(0)
	v_xor_b32_e32 v33, -1, v33
	v_and_b32_e32 v33, 1, v33
.LBB3396_99:
	s_or_b64 exec, exec, s[2:3]
	v_or_b32_e32 v37, 0x2000, v0
	v_cmp_gt_u32_e32 vcc, s33, v37
	v_mov_b32_e32 v35, 0
	v_mov_b32_e32 v36, 0
	s_and_saveexec_b64 s[2:3], vcc
	s_cbranch_execz .LBB3396_101
; %bb.100:
	v_lshlrev_b32_e32 v36, 1, v37
	global_load_ubyte v36, v36, s[0:1]
	s_waitcnt vmcnt(0)
	v_xor_b32_e32 v36, -1, v36
	v_and_b32_e32 v36, 1, v36
.LBB3396_101:
	s_or_b64 exec, exec, s[2:3]
	v_or_b32_e32 v37, 0x2200, v0
	v_cmp_gt_u32_e32 vcc, s33, v37
	s_and_saveexec_b64 s[2:3], vcc
	s_cbranch_execz .LBB3396_103
; %bb.102:
	v_lshlrev_b32_e32 v35, 1, v37
	global_load_ubyte v35, v35, s[0:1]
	s_waitcnt vmcnt(0)
	v_xor_b32_e32 v35, -1, v35
	v_and_b32_e32 v35, 1, v35
.LBB3396_103:
	s_or_b64 exec, exec, s[2:3]
	v_or_b32_e32 v39, 0x2400, v0
	v_cmp_gt_u32_e32 vcc, s33, v39
	v_mov_b32_e32 v37, 0
	v_mov_b32_e32 v38, 0
	s_and_saveexec_b64 s[2:3], vcc
	s_cbranch_execz .LBB3396_105
; %bb.104:
	v_lshlrev_b32_e32 v38, 1, v39
	global_load_ubyte v38, v38, s[0:1]
	s_waitcnt vmcnt(0)
	v_xor_b32_e32 v38, -1, v38
	v_and_b32_e32 v38, 1, v38
.LBB3396_105:
	s_or_b64 exec, exec, s[2:3]
	v_or_b32_e32 v39, 0x2600, v0
	v_cmp_gt_u32_e32 vcc, s33, v39
	s_and_saveexec_b64 s[2:3], vcc
	s_cbranch_execz .LBB3396_107
; %bb.106:
	v_lshlrev_b32_e32 v37, 1, v39
	global_load_ubyte v37, v37, s[0:1]
	s_waitcnt vmcnt(0)
	v_xor_b32_e32 v37, -1, v37
	v_and_b32_e32 v37, 1, v37
.LBB3396_107:
	s_or_b64 exec, exec, s[2:3]
	v_or_b32_e32 v41, 0x2800, v0
	v_cmp_gt_u32_e32 vcc, s33, v41
	v_mov_b32_e32 v39, 0
	v_mov_b32_e32 v40, 0
	s_and_saveexec_b64 s[2:3], vcc
	s_cbranch_execz .LBB3396_109
; %bb.108:
	v_lshlrev_b32_e32 v40, 1, v41
	global_load_ubyte v40, v40, s[0:1]
	s_waitcnt vmcnt(0)
	v_xor_b32_e32 v40, -1, v40
	v_and_b32_e32 v40, 1, v40
.LBB3396_109:
	s_or_b64 exec, exec, s[2:3]
	v_or_b32_e32 v41, 0x2a00, v0
	v_cmp_gt_u32_e32 vcc, s33, v41
	s_and_saveexec_b64 s[2:3], vcc
	s_cbranch_execz .LBB3396_111
; %bb.110:
	v_lshlrev_b32_e32 v39, 1, v41
	global_load_ubyte v39, v39, s[0:1]
	s_waitcnt vmcnt(0)
	v_xor_b32_e32 v39, -1, v39
	v_and_b32_e32 v39, 1, v39
.LBB3396_111:
	s_or_b64 exec, exec, s[2:3]
	v_or_b32_e32 v43, 0x2c00, v0
	v_cmp_gt_u32_e32 vcc, s33, v43
	v_mov_b32_e32 v41, 0
	v_mov_b32_e32 v42, 0
	s_and_saveexec_b64 s[2:3], vcc
	s_cbranch_execz .LBB3396_113
; %bb.112:
	v_lshlrev_b32_e32 v42, 1, v43
	global_load_ubyte v42, v42, s[0:1]
	s_waitcnt vmcnt(0)
	v_xor_b32_e32 v42, -1, v42
	v_and_b32_e32 v42, 1, v42
.LBB3396_113:
	s_or_b64 exec, exec, s[2:3]
	v_or_b32_e32 v43, 0x2e00, v0
	v_cmp_gt_u32_e32 vcc, s33, v43
	s_and_saveexec_b64 s[2:3], vcc
	s_cbranch_execz .LBB3396_115
; %bb.114:
	v_lshlrev_b32_e32 v41, 1, v43
	global_load_ubyte v41, v41, s[0:1]
	s_waitcnt vmcnt(0)
	v_xor_b32_e32 v41, -1, v41
	v_and_b32_e32 v41, 1, v41
.LBB3396_115:
	s_or_b64 exec, exec, s[2:3]
	v_or_b32_e32 v45, 0x3000, v0
	v_cmp_gt_u32_e32 vcc, s33, v45
	v_mov_b32_e32 v43, 0
	v_mov_b32_e32 v44, 0
	s_and_saveexec_b64 s[2:3], vcc
	s_cbranch_execz .LBB3396_117
; %bb.116:
	v_lshlrev_b32_e32 v44, 1, v45
	global_load_ubyte v44, v44, s[0:1]
	s_waitcnt vmcnt(0)
	v_xor_b32_e32 v44, -1, v44
	v_and_b32_e32 v44, 1, v44
.LBB3396_117:
	s_or_b64 exec, exec, s[2:3]
	v_or_b32_e32 v45, 0x3200, v0
	v_cmp_gt_u32_e32 vcc, s33, v45
	s_and_saveexec_b64 s[2:3], vcc
	s_cbranch_execz .LBB3396_119
; %bb.118:
	v_lshlrev_b32_e32 v43, 1, v45
	global_load_ubyte v43, v43, s[0:1]
	s_waitcnt vmcnt(0)
	v_xor_b32_e32 v43, -1, v43
	v_and_b32_e32 v43, 1, v43
.LBB3396_119:
	s_or_b64 exec, exec, s[2:3]
	v_or_b32_e32 v47, 0x3400, v0
	v_cmp_gt_u32_e32 vcc, s33, v47
	v_mov_b32_e32 v45, 0
	v_mov_b32_e32 v46, 0
	s_and_saveexec_b64 s[2:3], vcc
	s_cbranch_execz .LBB3396_121
; %bb.120:
	v_lshlrev_b32_e32 v46, 1, v47
	global_load_ubyte v46, v46, s[0:1]
	s_waitcnt vmcnt(0)
	v_xor_b32_e32 v46, -1, v46
	v_and_b32_e32 v46, 1, v46
.LBB3396_121:
	s_or_b64 exec, exec, s[2:3]
	v_or_b32_e32 v47, 0x3600, v0
	v_cmp_gt_u32_e32 vcc, s33, v47
	s_and_saveexec_b64 s[2:3], vcc
	s_cbranch_execz .LBB3396_123
; %bb.122:
	v_lshlrev_b32_e32 v45, 1, v47
	global_load_ubyte v45, v45, s[0:1]
	s_waitcnt vmcnt(0)
	v_xor_b32_e32 v45, -1, v45
	v_and_b32_e32 v45, 1, v45
.LBB3396_123:
	s_or_b64 exec, exec, s[2:3]
	ds_write_b8 v0, v20
	ds_write_b8 v0, v17 offset:512
	ds_write_b8 v0, v22 offset:1024
	;; [unrolled: 1-line block ×27, first 2 shown]
	s_waitcnt lgkmcnt(0)
	s_barrier
.LBB3396_124:
	ds_read2_b32 v[28:29], v1 offset1:1
	ds_read2_b32 v[26:27], v1 offset0:2 offset1:3
	ds_read2_b32 v[24:25], v1 offset0:4 offset1:5
	ds_read_b32 v36, v1 offset:24
	s_cmp_lg_u32 s36, 0
	v_lshrrev_b32_e32 v63, 6, v0
	s_waitcnt lgkmcnt(2)
	v_and_b32_e32 v55, 0xff, v26
	v_lshrrev_b32_e32 v43, 24, v28
	v_bfe_u32 v61, v28, 16, 8
	v_add_u32_sdwa v20, v28, v28 dst_sel:DWORD dst_unused:UNUSED_PAD src0_sel:BYTE_1 src1_sel:BYTE_0
	v_and_b32_e32 v58, 0xff, v29
	v_bfe_u32 v59, v29, 8, 8
	v_add3_u32 v20, v20, v61, v43
	v_lshrrev_b32_e32 v42, 24, v29
	v_bfe_u32 v60, v29, 16, 8
	v_add3_u32 v20, v20, v58, v59
	v_bfe_u32 v56, v26, 8, 8
	v_add3_u32 v20, v20, v60, v42
	v_lshrrev_b32_e32 v41, 24, v26
	v_bfe_u32 v57, v26, 16, 8
	v_add3_u32 v20, v20, v55, v56
	v_and_b32_e32 v52, 0xff, v27
	v_bfe_u32 v53, v27, 8, 8
	v_add3_u32 v20, v20, v57, v41
	v_lshrrev_b32_e32 v40, 24, v27
	v_bfe_u32 v54, v27, 16, 8
	v_add3_u32 v20, v20, v52, v53
	s_waitcnt lgkmcnt(1)
	v_and_b32_e32 v49, 0xff, v24
	v_bfe_u32 v50, v24, 8, 8
	v_add3_u32 v20, v20, v54, v40
	v_lshrrev_b32_e32 v39, 24, v24
	v_bfe_u32 v51, v24, 16, 8
	v_add3_u32 v20, v20, v49, v50
	v_and_b32_e32 v46, 0xff, v25
	v_bfe_u32 v47, v25, 8, 8
	v_add3_u32 v20, v20, v51, v39
	v_lshrrev_b32_e32 v38, 24, v25
	v_bfe_u32 v48, v25, 16, 8
	v_add3_u32 v20, v20, v46, v47
	s_waitcnt lgkmcnt(0)
	v_and_b32_e32 v44, 0xff, v36
	v_bfe_u32 v45, v36, 8, 8
	v_add3_u32 v20, v20, v48, v38
	v_lshrrev_b32_e32 v17, 24, v36
	v_bfe_u32 v37, v36, 16, 8
	v_add3_u32 v20, v20, v44, v45
	v_add3_u32 v64, v20, v37, v17
	v_mbcnt_lo_u32_b32 v20, -1, 0
	v_mbcnt_hi_u32_b32 v62, -1, v20
	v_and_b32_e32 v20, 15, v62
	v_cmp_eq_u32_e64 s[14:15], 0, v20
	v_cmp_lt_u32_e64 s[12:13], 1, v20
	v_cmp_lt_u32_e64 s[10:11], 3, v20
	;; [unrolled: 1-line block ×3, first 2 shown]
	v_and_b32_e32 v20, 16, v62
	v_cmp_eq_u32_e64 s[6:7], 0, v20
	v_or_b32_e32 v20, 63, v0
	v_cmp_lt_u32_e64 s[2:3], 31, v62
	v_cmp_eq_u32_e64 s[4:5], v20, v0
	s_barrier
	s_cbranch_scc0 .LBB3396_155
; %bb.125:
	v_mov_b32_dpp v20, v64 row_shr:1 row_mask:0xf bank_mask:0xf
	v_cndmask_b32_e64 v20, v20, 0, s[14:15]
	v_add_u32_e32 v20, v20, v64
	s_nop 1
	v_mov_b32_dpp v21, v20 row_shr:2 row_mask:0xf bank_mask:0xf
	v_cndmask_b32_e64 v21, 0, v21, s[12:13]
	v_add_u32_e32 v20, v20, v21
	s_nop 1
	;; [unrolled: 4-line block ×4, first 2 shown]
	v_mov_b32_dpp v21, v20 row_bcast:15 row_mask:0xf bank_mask:0xf
	v_cndmask_b32_e64 v21, v21, 0, s[6:7]
	v_add_u32_e32 v20, v20, v21
	s_nop 1
	v_mov_b32_dpp v21, v20 row_bcast:31 row_mask:0xf bank_mask:0xf
	v_cndmask_b32_e64 v21, 0, v21, s[2:3]
	v_add_u32_e32 v20, v20, v21
	s_and_saveexec_b64 s[0:1], s[4:5]
	s_cbranch_execz .LBB3396_127
; %bb.126:
	v_lshlrev_b32_e32 v21, 2, v63
	ds_write_b32 v21, v20
.LBB3396_127:
	s_or_b64 exec, exec, s[0:1]
	v_cmp_gt_u32_e32 vcc, 8, v0
	s_waitcnt lgkmcnt(0)
	s_barrier
	s_and_saveexec_b64 s[0:1], vcc
	s_cbranch_execz .LBB3396_129
; %bb.128:
	v_lshlrev_b32_e32 v21, 2, v0
	ds_read_b32 v22, v21
	v_and_b32_e32 v23, 7, v62
	v_cmp_ne_u32_e32 vcc, 0, v23
	s_waitcnt lgkmcnt(0)
	v_mov_b32_dpp v30, v22 row_shr:1 row_mask:0xf bank_mask:0xf
	v_cndmask_b32_e32 v30, 0, v30, vcc
	v_add_u32_e32 v22, v30, v22
	v_cmp_lt_u32_e32 vcc, 1, v23
	s_nop 0
	v_mov_b32_dpp v30, v22 row_shr:2 row_mask:0xf bank_mask:0xf
	v_cndmask_b32_e32 v30, 0, v30, vcc
	v_add_u32_e32 v22, v22, v30
	v_cmp_lt_u32_e32 vcc, 3, v23
	s_nop 0
	v_mov_b32_dpp v30, v22 row_shr:4 row_mask:0xf bank_mask:0xf
	v_cndmask_b32_e32 v23, 0, v30, vcc
	v_add_u32_e32 v22, v22, v23
	ds_write_b32 v21, v22
.LBB3396_129:
	s_or_b64 exec, exec, s[0:1]
	v_cmp_gt_u32_e32 vcc, 64, v0
	v_cmp_lt_u32_e64 s[0:1], 63, v0
	s_waitcnt lgkmcnt(0)
	s_barrier
	s_waitcnt lgkmcnt(0)
                                        ; implicit-def: $vgpr65
	s_and_saveexec_b64 s[16:17], s[0:1]
	s_cbranch_execz .LBB3396_131
; %bb.130:
	v_lshl_add_u32 v21, v63, 2, -4
	ds_read_b32 v65, v21
	s_waitcnt lgkmcnt(0)
	v_add_u32_e32 v20, v65, v20
.LBB3396_131:
	s_or_b64 exec, exec, s[16:17]
	v_add_u32_e32 v21, -1, v62
	v_and_b32_e32 v22, 64, v62
	v_cmp_lt_i32_e64 s[0:1], v21, v22
	v_cmp_eq_u32_e64 s[16:17], 0, v62
	s_nop 0
	v_cndmask_b32_e64 v21, v21, v62, s[0:1]
	v_lshlrev_b32_e32 v21, 2, v21
	ds_bpermute_b32 v66, v21, v20
	s_and_saveexec_b64 s[0:1], vcc
	s_cbranch_execz .LBB3396_154
; %bb.132:
	v_mov_b32_e32 v35, 0
	ds_read_b32 v20, v35 offset:28
	s_and_saveexec_b64 s[30:31], s[16:17]
	s_cbranch_execz .LBB3396_134
; %bb.133:
	s_add_i32 s34, s36, 64
	s_mov_b32 s35, 0
	s_lshl_b64 s[34:35], s[34:35], 3
	s_add_u32 s34, s28, s34
	v_mov_b32_e32 v21, 1
	s_addc_u32 s35, s29, s35
	s_waitcnt lgkmcnt(0)
	global_store_dwordx2 v35, v[20:21], s[34:35] sc1
.LBB3396_134:
	s_or_b64 exec, exec, s[30:31]
	v_xad_u32 v22, v62, -1, s36
	v_add_u32_e32 v34, 64, v22
	v_lshl_add_u64 v[30:31], v[34:35], 3, s[28:29]
	global_load_dwordx2 v[32:33], v[30:31], off sc1
	s_waitcnt vmcnt(0)
	v_cmp_eq_u16_sdwa s[34:35], v33, v35 src0_sel:BYTE_0 src1_sel:DWORD
	s_and_saveexec_b64 s[30:31], s[34:35]
	s_cbranch_execz .LBB3396_140
; %bb.135:
	s_mov_b32 s37, 1
	s_mov_b64 s[34:35], 0
	v_mov_b32_e32 v21, 0
.LBB3396_136:                           ; =>This Loop Header: Depth=1
                                        ;     Child Loop BB3396_137 Depth 2
	s_max_u32 s38, s37, 1
.LBB3396_137:                           ;   Parent Loop BB3396_136 Depth=1
                                        ; =>  This Inner Loop Header: Depth=2
	s_add_i32 s38, s38, -1
	s_cmp_eq_u32 s38, 0
	s_sleep 1
	s_cbranch_scc0 .LBB3396_137
; %bb.138:                              ;   in Loop: Header=BB3396_136 Depth=1
	global_load_dwordx2 v[32:33], v[30:31], off sc1
	s_cmp_lt_u32 s37, 32
	s_cselect_b64 s[38:39], -1, 0
	s_cmp_lg_u64 s[38:39], 0
	s_addc_u32 s37, s37, 0
	s_waitcnt vmcnt(0)
	v_cmp_ne_u16_sdwa s[38:39], v33, v21 src0_sel:BYTE_0 src1_sel:DWORD
	s_or_b64 s[34:35], s[38:39], s[34:35]
	s_andn2_b64 exec, exec, s[34:35]
	s_cbranch_execnz .LBB3396_136
; %bb.139:
	s_or_b64 exec, exec, s[34:35]
.LBB3396_140:
	s_or_b64 exec, exec, s[30:31]
	v_and_b32_e32 v68, 63, v62
	v_mov_b32_e32 v67, 2
	v_cmp_ne_u32_e32 vcc, 63, v68
	v_cmp_eq_u16_sdwa s[30:31], v33, v67 src0_sel:BYTE_0 src1_sel:DWORD
	v_lshlrev_b64 v[30:31], v62, -1
	v_addc_co_u32_e32 v34, vcc, 0, v62, vcc
	v_and_b32_e32 v21, s31, v31
	v_lshlrev_b32_e32 v69, 2, v34
	v_or_b32_e32 v21, 0x80000000, v21
	ds_bpermute_b32 v34, v69, v32
	v_and_b32_e32 v23, s30, v30
	v_ffbl_b32_e32 v21, v21
	v_add_u32_e32 v21, 32, v21
	v_ffbl_b32_e32 v23, v23
	v_min_u32_e32 v21, v23, v21
	v_cmp_lt_u32_e32 vcc, v68, v21
	v_add_u32_e32 v71, 2, v68
	v_add_u32_e32 v73, 4, v68
	s_waitcnt lgkmcnt(0)
	v_cndmask_b32_e32 v23, 0, v34, vcc
	v_cmp_gt_u32_e32 vcc, 62, v68
	v_add_u32_e32 v23, v23, v32
	v_add_u32_e32 v75, 8, v68
	v_cndmask_b32_e64 v32, 0, 1, vcc
	v_lshlrev_b32_e32 v32, 1, v32
	v_add_lshl_u32 v70, v32, v62, 2
	ds_bpermute_b32 v32, v70, v23
	v_cmp_le_u32_e32 vcc, v71, v21
	v_add_u32_e32 v77, 16, v68
	v_add_u32_e32 v79, 32, v68
	s_waitcnt lgkmcnt(0)
	v_cndmask_b32_e32 v32, 0, v32, vcc
	v_cmp_gt_u32_e32 vcc, 60, v68
	v_add_u32_e32 v23, v23, v32
	s_nop 0
	v_cndmask_b32_e64 v32, 0, 1, vcc
	v_lshlrev_b32_e32 v32, 2, v32
	v_add_lshl_u32 v72, v32, v62, 2
	ds_bpermute_b32 v32, v72, v23
	v_cmp_le_u32_e32 vcc, v73, v21
	s_waitcnt lgkmcnt(0)
	s_nop 0
	v_cndmask_b32_e32 v32, 0, v32, vcc
	v_cmp_gt_u32_e32 vcc, 56, v68
	v_add_u32_e32 v23, v23, v32
	s_nop 0
	v_cndmask_b32_e64 v32, 0, 1, vcc
	v_lshlrev_b32_e32 v32, 3, v32
	v_add_lshl_u32 v74, v32, v62, 2
	ds_bpermute_b32 v32, v74, v23
	v_cmp_le_u32_e32 vcc, v75, v21
	s_waitcnt lgkmcnt(0)
	s_nop 0
	;; [unrolled: 11-line block ×4, first 2 shown]
	v_cndmask_b32_e32 v21, 0, v32, vcc
	v_add_u32_e32 v32, v23, v21
	v_mov_b32_e32 v23, 0
	s_branch .LBB3396_142
.LBB3396_141:                           ;   in Loop: Header=BB3396_142 Depth=1
	s_or_b64 exec, exec, s[30:31]
	v_cmp_eq_u16_sdwa s[30:31], v33, v67 src0_sel:BYTE_0 src1_sel:DWORD
	ds_bpermute_b32 v80, v69, v32
	v_subrev_u32_e32 v22, 64, v22
	v_and_b32_e32 v34, s31, v31
	v_or_b32_e32 v34, 0x80000000, v34
	v_and_b32_e32 v35, s30, v30
	v_ffbl_b32_e32 v34, v34
	v_add_u32_e32 v34, 32, v34
	v_ffbl_b32_e32 v35, v35
	v_min_u32_e32 v34, v35, v34
	v_cmp_lt_u32_e32 vcc, v68, v34
	s_waitcnt lgkmcnt(0)
	s_nop 0
	v_cndmask_b32_e32 v35, 0, v80, vcc
	v_add_u32_e32 v32, v35, v32
	ds_bpermute_b32 v35, v70, v32
	v_cmp_le_u32_e32 vcc, v71, v34
	s_waitcnt lgkmcnt(0)
	s_nop 0
	v_cndmask_b32_e32 v35, 0, v35, vcc
	v_add_u32_e32 v32, v32, v35
	ds_bpermute_b32 v35, v72, v32
	v_cmp_le_u32_e32 vcc, v73, v34
	;; [unrolled: 6-line block ×5, first 2 shown]
	s_waitcnt lgkmcnt(0)
	s_nop 0
	v_cndmask_b32_e32 v34, 0, v35, vcc
	v_add3_u32 v32, v34, v21, v32
.LBB3396_142:                           ; =>This Loop Header: Depth=1
                                        ;     Child Loop BB3396_145 Depth 2
                                        ;       Child Loop BB3396_146 Depth 3
	v_cmp_ne_u16_sdwa s[30:31], v33, v67 src0_sel:BYTE_0 src1_sel:DWORD
	s_nop 1
	v_cndmask_b32_e64 v21, 0, 1, s[30:31]
	;;#ASMSTART
	;;#ASMEND
	s_nop 0
	v_cmp_ne_u32_e32 vcc, 0, v21
	s_cmp_lg_u64 vcc, exec
	v_mov_b32_e32 v21, v32
	s_cbranch_scc1 .LBB3396_149
; %bb.143:                              ;   in Loop: Header=BB3396_142 Depth=1
	v_lshl_add_u64 v[34:35], v[22:23], 3, s[28:29]
	global_load_dwordx2 v[32:33], v[34:35], off sc1
	s_waitcnt vmcnt(0)
	v_cmp_eq_u16_sdwa s[34:35], v33, v23 src0_sel:BYTE_0 src1_sel:DWORD
	s_and_saveexec_b64 s[30:31], s[34:35]
	s_cbranch_execz .LBB3396_141
; %bb.144:                              ;   in Loop: Header=BB3396_142 Depth=1
	s_mov_b32 s37, 1
	s_mov_b64 s[34:35], 0
.LBB3396_145:                           ;   Parent Loop BB3396_142 Depth=1
                                        ; =>  This Loop Header: Depth=2
                                        ;       Child Loop BB3396_146 Depth 3
	s_max_u32 s38, s37, 1
.LBB3396_146:                           ;   Parent Loop BB3396_142 Depth=1
                                        ;     Parent Loop BB3396_145 Depth=2
                                        ; =>    This Inner Loop Header: Depth=3
	s_add_i32 s38, s38, -1
	s_cmp_eq_u32 s38, 0
	s_sleep 1
	s_cbranch_scc0 .LBB3396_146
; %bb.147:                              ;   in Loop: Header=BB3396_145 Depth=2
	global_load_dwordx2 v[32:33], v[34:35], off sc1
	s_cmp_lt_u32 s37, 32
	s_cselect_b64 s[38:39], -1, 0
	s_cmp_lg_u64 s[38:39], 0
	s_addc_u32 s37, s37, 0
	s_waitcnt vmcnt(0)
	v_cmp_ne_u16_sdwa s[38:39], v33, v23 src0_sel:BYTE_0 src1_sel:DWORD
	s_or_b64 s[34:35], s[38:39], s[34:35]
	s_andn2_b64 exec, exec, s[34:35]
	s_cbranch_execnz .LBB3396_145
; %bb.148:                              ;   in Loop: Header=BB3396_142 Depth=1
	s_or_b64 exec, exec, s[34:35]
	s_branch .LBB3396_141
.LBB3396_149:                           ;   in Loop: Header=BB3396_142 Depth=1
                                        ; implicit-def: $vgpr32
                                        ; implicit-def: $vgpr33
	s_cbranch_execz .LBB3396_142
; %bb.150:
	s_and_saveexec_b64 s[30:31], s[16:17]
	s_cbranch_execz .LBB3396_152
; %bb.151:
	s_add_i32 s34, s36, 64
	s_mov_b32 s35, 0
	s_lshl_b64 s[34:35], s[34:35], 3
	s_add_u32 s34, s28, s34
	v_add_u32_e32 v22, v21, v20
	v_mov_b32_e32 v23, 2
	s_addc_u32 s35, s29, s35
	v_mov_b32_e32 v30, 0
	global_store_dwordx2 v30, v[22:23], s[34:35] sc1
	ds_write_b64 v30, v[20:21] offset:28672
.LBB3396_152:
	s_or_b64 exec, exec, s[30:31]
	s_and_b64 exec, exec, s[18:19]
	s_cbranch_execz .LBB3396_154
; %bb.153:
	v_mov_b32_e32 v20, 0
	ds_write_b32 v20, v21 offset:28
.LBB3396_154:
	s_or_b64 exec, exec, s[0:1]
	v_mov_b32_e32 v20, 0
	s_waitcnt lgkmcnt(0)
	s_barrier
	ds_read_b32 v22, v20 offset:28
	s_waitcnt lgkmcnt(0)
	s_barrier
	ds_read_b64 v[20:21], v20 offset:28672
	v_cndmask_b32_e64 v23, v66, v65, s[16:17]
	v_cndmask_b32_e64 v23, v23, 0, s[18:19]
	v_add_u32_e32 v34, v22, v23
	s_waitcnt lgkmcnt(0)
	v_mov_b32_e32 v22, v21
	s_branch .LBB3396_165
.LBB3396_155:
                                        ; implicit-def: $vgpr22
                                        ; implicit-def: $vgpr20
                                        ; implicit-def: $vgpr34
	s_cbranch_execz .LBB3396_165
; %bb.156:
	s_nop 0
	v_mov_b32_dpp v20, v64 row_shr:1 row_mask:0xf bank_mask:0xf
	v_cndmask_b32_e64 v20, v20, 0, s[14:15]
	v_add_u32_e32 v20, v20, v64
	s_nop 1
	v_mov_b32_dpp v21, v20 row_shr:2 row_mask:0xf bank_mask:0xf
	v_cndmask_b32_e64 v21, 0, v21, s[12:13]
	v_add_u32_e32 v20, v20, v21
	;; [unrolled: 4-line block ×4, first 2 shown]
	s_nop 1
	v_mov_b32_dpp v21, v20 row_bcast:15 row_mask:0xf bank_mask:0xf
	v_cndmask_b32_e64 v21, v21, 0, s[6:7]
	v_add_u32_e32 v20, v20, v21
	s_nop 1
	v_mov_b32_dpp v21, v20 row_bcast:31 row_mask:0xf bank_mask:0xf
	v_cndmask_b32_e64 v21, 0, v21, s[2:3]
	v_add_u32_e32 v20, v20, v21
	s_and_saveexec_b64 s[0:1], s[4:5]
	s_cbranch_execz .LBB3396_158
; %bb.157:
	v_lshlrev_b32_e32 v21, 2, v63
	ds_write_b32 v21, v20
.LBB3396_158:
	s_or_b64 exec, exec, s[0:1]
	v_cmp_gt_u32_e32 vcc, 8, v0
	s_waitcnt lgkmcnt(0)
	s_barrier
	s_and_saveexec_b64 s[0:1], vcc
	s_cbranch_execz .LBB3396_160
; %bb.159:
	v_lshlrev_b32_e32 v21, 2, v0
	ds_read_b32 v22, v21
	v_and_b32_e32 v23, 7, v62
	v_cmp_ne_u32_e32 vcc, 0, v23
	s_waitcnt lgkmcnt(0)
	v_mov_b32_dpp v30, v22 row_shr:1 row_mask:0xf bank_mask:0xf
	v_cndmask_b32_e32 v30, 0, v30, vcc
	v_add_u32_e32 v22, v30, v22
	v_cmp_lt_u32_e32 vcc, 1, v23
	s_nop 0
	v_mov_b32_dpp v30, v22 row_shr:2 row_mask:0xf bank_mask:0xf
	v_cndmask_b32_e32 v30, 0, v30, vcc
	v_add_u32_e32 v22, v22, v30
	v_cmp_lt_u32_e32 vcc, 3, v23
	s_nop 0
	v_mov_b32_dpp v30, v22 row_shr:4 row_mask:0xf bank_mask:0xf
	v_cndmask_b32_e32 v23, 0, v30, vcc
	v_add_u32_e32 v22, v22, v23
	ds_write_b32 v21, v22
.LBB3396_160:
	s_or_b64 exec, exec, s[0:1]
	v_cmp_lt_u32_e32 vcc, 63, v0
	v_mov_b32_e32 v21, 0
	v_mov_b32_e32 v22, 0
	s_waitcnt lgkmcnt(0)
	s_barrier
	s_and_saveexec_b64 s[0:1], vcc
	s_cbranch_execz .LBB3396_162
; %bb.161:
	v_lshl_add_u32 v22, v63, 2, -4
	ds_read_b32 v22, v22
.LBB3396_162:
	s_or_b64 exec, exec, s[0:1]
	v_add_u32_e32 v23, -1, v62
	v_and_b32_e32 v30, 64, v62
	v_cmp_lt_i32_e32 vcc, v23, v30
	s_waitcnt lgkmcnt(0)
	v_add_u32_e32 v20, v22, v20
	v_cndmask_b32_e32 v23, v23, v62, vcc
	v_lshlrev_b32_e32 v23, 2, v23
	ds_bpermute_b32 v23, v23, v20
	ds_read_b32 v20, v21 offset:28
	s_and_saveexec_b64 s[0:1], s[18:19]
	s_cbranch_execz .LBB3396_164
; %bb.163:
	v_mov_b32_e32 v30, 0
	v_mov_b32_e32 v21, 2
	s_waitcnt lgkmcnt(0)
	global_store_dwordx2 v30, v[20:21], s[28:29] offset:512 sc1
.LBB3396_164:
	s_or_b64 exec, exec, s[0:1]
	v_cmp_eq_u32_e32 vcc, 0, v62
	s_waitcnt lgkmcnt(0)
	s_barrier
	v_cndmask_b32_e32 v21, v23, v22, vcc
	v_mov_b32_e32 v22, 0
	v_cndmask_b32_e64 v34, v21, 0, s[18:19]
.LBB3396_165:
	v_add_u32_sdwa v62, v34, v28 dst_sel:DWORD dst_unused:UNUSED_PAD src0_sel:DWORD src1_sel:BYTE_0
	v_add_u32_e32 v1, v20, v1
	v_sub_u32_e32 v34, v34, v22
	v_and_b32_e32 v71, 1, v28
	v_sub_u32_e32 v70, v1, v34
	v_cmp_eq_u32_e32 vcc, 1, v71
	v_lshrrev_b32_e32 v35, 8, v28
	v_add_u32_sdwa v63, v62, v28 dst_sel:DWORD dst_unused:UNUSED_PAD src0_sel:DWORD src1_sel:BYTE_1
	v_cndmask_b32_e32 v34, v70, v34, vcc
	v_lshlrev_b32_e32 v34, 1, v34
	ds_write_b16 v34, v10
	v_sub_u32_e32 v34, v62, v22
	v_sub_u32_e32 v62, v1, v34
	v_and_b32_e32 v35, 1, v35
	v_add_u32_e32 v62, 1, v62
	v_cmp_eq_u32_e32 vcc, 1, v35
	v_mov_b32_e32 v35, 1
	v_and_b32_sdwa v28, v35, v28 dst_sel:DWORD dst_unused:UNUSED_PAD src0_sel:DWORD src1_sel:WORD_1
	v_cndmask_b32_e32 v34, v62, v34, vcc
	v_lshlrev_b32_e32 v34, 1, v34
	ds_write_b16_d16_hi v34, v10
	v_sub_u32_e32 v10, v63, v22
	v_sub_u32_e32 v34, v1, v10
	v_add_u32_e32 v34, 2, v34
	v_cmp_eq_u32_e32 vcc, 1, v28
	v_add_u32_e32 v61, v63, v61
	v_add_u32_e32 v64, v61, v43
	v_cndmask_b32_e32 v10, v34, v10, vcc
	v_lshlrev_b32_e32 v10, 1, v10
	ds_write_b16 v10, v11
	v_sub_u32_e32 v10, v61, v22
	v_sub_u32_e32 v28, v1, v10
	v_and_b32_e32 v34, 1, v43
	v_add_u32_e32 v28, 3, v28
	v_cmp_eq_u32_e32 vcc, 1, v34
	v_add_u32_e32 v58, v64, v58
	v_lshrrev_b32_e32 v33, 8, v29
	v_cndmask_b32_e32 v10, v28, v10, vcc
	v_lshlrev_b32_e32 v10, 1, v10
	ds_write_b16_d16_hi v10, v11
	v_sub_u32_e32 v10, v64, v22
	v_sub_u32_e32 v11, v1, v10
	v_and_b32_e32 v28, 1, v29
	v_add_u32_e32 v11, 4, v11
	v_cmp_eq_u32_e32 vcc, 1, v28
	v_and_b32_e32 v28, 1, v33
	v_add_u32_e32 v59, v58, v59
	v_cndmask_b32_e32 v10, v11, v10, vcc
	v_lshlrev_b32_e32 v10, 1, v10
	ds_write_b16 v10, v12
	v_sub_u32_e32 v10, v58, v22
	v_sub_u32_e32 v11, v1, v10
	v_add_u32_e32 v11, 5, v11
	v_cmp_eq_u32_e32 vcc, 1, v28
	v_add_u32_e32 v60, v59, v60
	v_add_u32_e32 v65, v60, v42
	v_cndmask_b32_e32 v10, v11, v10, vcc
	v_lshlrev_b32_e32 v10, 1, v10
	ds_write_b16_d16_hi v10, v12
	v_sub_u32_e32 v10, v59, v22
	v_sub_u32_e32 v11, v1, v10
	v_and_b32_sdwa v12, v35, v29 dst_sel:DWORD dst_unused:UNUSED_PAD src0_sel:DWORD src1_sel:WORD_1
	v_add_u32_e32 v11, 6, v11
	v_cmp_eq_u32_e32 vcc, 1, v12
	v_and_b32_e32 v12, 1, v42
	v_add_u32_e32 v55, v65, v55
	v_cndmask_b32_e32 v10, v11, v10, vcc
	v_lshlrev_b32_e32 v10, 1, v10
	ds_write_b16 v10, v13
	v_sub_u32_e32 v10, v60, v22
	v_sub_u32_e32 v11, v1, v10
	v_add_u32_e32 v11, 7, v11
	v_cmp_eq_u32_e32 vcc, 1, v12
	v_and_b32_e32 v12, 1, v26
	v_lshrrev_b32_e32 v32, 8, v26
	v_cndmask_b32_e32 v10, v11, v10, vcc
	v_lshlrev_b32_e32 v10, 1, v10
	ds_write_b16_d16_hi v10, v13
	v_sub_u32_e32 v10, v65, v22
	v_sub_u32_e32 v11, v1, v10
	v_add_u32_e32 v11, 8, v11
	v_cmp_eq_u32_e32 vcc, 1, v12
	v_and_b32_e32 v12, 1, v32
	v_add_u32_e32 v56, v55, v56
	v_cndmask_b32_e32 v10, v11, v10, vcc
	v_lshlrev_b32_e32 v10, 1, v10
	ds_write_b16 v10, v6
	v_sub_u32_e32 v10, v55, v22
	v_sub_u32_e32 v11, v1, v10
	v_add_u32_e32 v11, 9, v11
	v_cmp_eq_u32_e32 vcc, 1, v12
	v_add_u32_e32 v57, v56, v57
	v_add_u32_e32 v66, v57, v41
	v_cndmask_b32_e32 v10, v11, v10, vcc
	v_lshlrev_b32_e32 v10, 1, v10
	ds_write_b16_d16_hi v10, v6
	v_sub_u32_e32 v6, v56, v22
	v_sub_u32_e32 v10, v1, v6
	v_and_b32_sdwa v11, v35, v26 dst_sel:DWORD dst_unused:UNUSED_PAD src0_sel:DWORD src1_sel:WORD_1
	v_add_u32_e32 v10, 10, v10
	v_cmp_eq_u32_e32 vcc, 1, v11
	v_and_b32_e32 v11, 1, v41
	v_add_u32_e32 v52, v66, v52
	v_cndmask_b32_e32 v6, v10, v6, vcc
	v_lshlrev_b32_e32 v6, 1, v6
	ds_write_b16 v6, v7
	v_sub_u32_e32 v6, v57, v22
	v_sub_u32_e32 v10, v1, v6
	v_add_u32_e32 v10, 11, v10
	v_cmp_eq_u32_e32 vcc, 1, v11
	v_lshrrev_b32_e32 v31, 8, v27
	v_add_u32_e32 v53, v52, v53
	v_cndmask_b32_e32 v6, v10, v6, vcc
	v_lshlrev_b32_e32 v6, 1, v6
	ds_write_b16_d16_hi v6, v7
	v_sub_u32_e32 v6, v66, v22
	v_sub_u32_e32 v7, v1, v6
	v_and_b32_e32 v10, 1, v27
	v_add_u32_e32 v7, 12, v7
	v_cmp_eq_u32_e32 vcc, 1, v10
	v_and_b32_e32 v10, 1, v31
	v_add_u32_e32 v54, v53, v54
	v_cndmask_b32_e32 v6, v7, v6, vcc
	v_lshlrev_b32_e32 v6, 1, v6
	ds_write_b16 v6, v8
	v_sub_u32_e32 v6, v52, v22
	v_sub_u32_e32 v7, v1, v6
	v_add_u32_e32 v7, 13, v7
	v_cmp_eq_u32_e32 vcc, 1, v10
	v_add_u32_e32 v67, v54, v40
	v_add_u32_e32 v49, v67, v49
	v_cndmask_b32_e32 v6, v7, v6, vcc
	v_lshlrev_b32_e32 v6, 1, v6
	ds_write_b16_d16_hi v6, v8
	v_sub_u32_e32 v6, v53, v22
	v_sub_u32_e32 v7, v1, v6
	v_and_b32_sdwa v8, v35, v27 dst_sel:DWORD dst_unused:UNUSED_PAD src0_sel:DWORD src1_sel:WORD_1
	v_add_u32_e32 v7, 14, v7
	v_cmp_eq_u32_e32 vcc, 1, v8
	v_and_b32_e32 v8, 1, v40
	v_lshrrev_b32_e32 v30, 8, v24
	v_cndmask_b32_e32 v6, v7, v6, vcc
	v_lshlrev_b32_e32 v6, 1, v6
	ds_write_b16 v6, v9
	v_sub_u32_e32 v6, v54, v22
	v_sub_u32_e32 v7, v1, v6
	v_add_u32_e32 v7, 15, v7
	v_cmp_eq_u32_e32 vcc, 1, v8
	v_and_b32_e32 v8, 1, v24
	v_add_u32_e32 v50, v49, v50
	v_cndmask_b32_e32 v6, v7, v6, vcc
	v_lshlrev_b32_e32 v6, 1, v6
	ds_write_b16_d16_hi v6, v9
	v_sub_u32_e32 v6, v67, v22
	v_sub_u32_e32 v7, v1, v6
	v_add_u32_e32 v7, 16, v7
	v_cmp_eq_u32_e32 vcc, 1, v8
	v_and_b32_e32 v8, 1, v30
	v_add_u32_e32 v51, v50, v51
	v_cndmask_b32_e32 v6, v7, v6, vcc
	v_lshlrev_b32_e32 v6, 1, v6
	ds_write_b16 v6, v2
	v_sub_u32_e32 v6, v49, v22
	v_sub_u32_e32 v7, v1, v6
	v_add_u32_e32 v7, 17, v7
	v_cmp_eq_u32_e32 vcc, 1, v8
	v_add_u32_e32 v68, v51, v39
	v_add_u32_e32 v46, v68, v46
	v_cndmask_b32_e32 v6, v7, v6, vcc
	v_lshlrev_b32_e32 v6, 1, v6
	ds_write_b16_d16_hi v6, v2
	v_sub_u32_e32 v2, v50, v22
	v_sub_u32_e32 v6, v1, v2
	v_and_b32_sdwa v7, v35, v24 dst_sel:DWORD dst_unused:UNUSED_PAD src0_sel:DWORD src1_sel:WORD_1
	v_add_u32_e32 v6, 18, v6
	v_cmp_eq_u32_e32 vcc, 1, v7
	v_and_b32_e32 v7, 1, v39
	v_lshrrev_b32_e32 v23, 8, v25
	v_cndmask_b32_e32 v2, v6, v2, vcc
	v_lshlrev_b32_e32 v2, 1, v2
	ds_write_b16 v2, v3
	v_sub_u32_e32 v2, v51, v22
	v_sub_u32_e32 v6, v1, v2
	v_add_u32_e32 v6, 19, v6
	v_cmp_eq_u32_e32 vcc, 1, v7
	v_add_u32_e32 v47, v46, v47
	v_add_u32_e32 v48, v47, v48
	v_cndmask_b32_e32 v2, v6, v2, vcc
	v_lshlrev_b32_e32 v2, 1, v2
	ds_write_b16_d16_hi v2, v3
	v_sub_u32_e32 v2, v68, v22
	v_sub_u32_e32 v3, v1, v2
	v_and_b32_e32 v6, 1, v25
	v_add_u32_e32 v3, 20, v3
	v_cmp_eq_u32_e32 vcc, 1, v6
	v_and_b32_e32 v6, 1, v23
	v_add_u32_e32 v69, v48, v38
	v_cndmask_b32_e32 v2, v3, v2, vcc
	v_lshlrev_b32_e32 v2, 1, v2
	ds_write_b16 v2, v4
	v_sub_u32_e32 v2, v46, v22
	v_sub_u32_e32 v3, v1, v2
	v_add_u32_e32 v3, 21, v3
	v_cmp_eq_u32_e32 vcc, 1, v6
	v_add_u32_e32 v44, v69, v44
	v_lshrrev_b32_e32 v21, 8, v36
	v_cndmask_b32_e32 v2, v3, v2, vcc
	v_lshlrev_b32_e32 v2, 1, v2
	ds_write_b16_d16_hi v2, v4
	v_sub_u32_e32 v2, v47, v22
	v_sub_u32_e32 v3, v1, v2
	v_and_b32_sdwa v4, v35, v25 dst_sel:DWORD dst_unused:UNUSED_PAD src0_sel:DWORD src1_sel:WORD_1
	v_add_u32_e32 v3, 22, v3
	v_cmp_eq_u32_e32 vcc, 1, v4
	v_and_b32_e32 v4, 1, v38
	v_add_u32_e32 v45, v44, v45
	v_cndmask_b32_e32 v2, v3, v2, vcc
	v_lshlrev_b32_e32 v2, 1, v2
	ds_write_b16 v2, v5
	v_sub_u32_e32 v2, v48, v22
	v_sub_u32_e32 v3, v1, v2
	v_add_u32_e32 v3, 23, v3
	v_cmp_eq_u32_e32 vcc, 1, v4
	v_and_b32_e32 v4, 1, v36
	v_or_b32_e32 v63, 0x200, v0
	v_cndmask_b32_e32 v2, v3, v2, vcc
	v_lshlrev_b32_e32 v2, 1, v2
	ds_write_b16_d16_hi v2, v5
	v_sub_u32_e32 v2, v69, v22
	v_sub_u32_e32 v3, v1, v2
	v_add_u32_e32 v3, 24, v3
	v_cmp_eq_u32_e32 vcc, 1, v4
	v_and_b32_e32 v4, 1, v21
	v_or_b32_e32 v61, 0x400, v0
	v_cndmask_b32_e32 v2, v3, v2, vcc
	v_lshlrev_b32_e32 v2, 1, v2
	ds_write_b16 v2, v18
	v_sub_u32_e32 v2, v44, v22
	v_sub_u32_e32 v3, v1, v2
	v_add_u32_e32 v3, 25, v3
	v_cmp_eq_u32_e32 vcc, 1, v4
	v_and_b32_sdwa v4, v35, v36 dst_sel:DWORD dst_unused:UNUSED_PAD src0_sel:DWORD src1_sel:WORD_1
	v_or_b32_e32 v59, 0x600, v0
	v_cndmask_b32_e32 v2, v3, v2, vcc
	v_lshlrev_b32_e32 v2, 1, v2
	ds_write_b16_d16_hi v2, v18
	v_sub_u32_e32 v2, v45, v22
	v_sub_u32_e32 v3, v1, v2
	v_add_u32_e32 v3, 26, v3
	v_cmp_eq_u32_e32 vcc, 1, v4
	v_or_b32_e32 v57, 0x800, v0
	v_or_b32_e32 v55, 0xa00, v0
	v_cndmask_b32_e32 v2, v3, v2, vcc
	v_lshlrev_b32_e32 v2, 1, v2
	ds_write_b16 v2, v19
	v_sub_u32_e32 v2, v37, v22
	v_add_u32_e32 v2, v45, v2
	v_sub_u32_e32 v1, v1, v2
	v_and_b32_e32 v3, 1, v17
	v_add_u32_e32 v1, 27, v1
	v_cmp_eq_u32_e32 vcc, 1, v3
	v_or_b32_e32 v53, 0xc00, v0
	v_or_b32_e32 v50, 0xe00, v0
	v_cndmask_b32_e32 v1, v1, v2, vcc
	v_lshlrev_b32_e32 v1, 1, v1
	ds_write_b16_d16_hi v1, v19
	s_waitcnt lgkmcnt(0)
	s_barrier
	ds_read_u16 v65, v16
	ds_read_u16 v64, v16 offset:1024
	ds_read_u16 v62, v16 offset:2048
	;; [unrolled: 1-line block ×27, first 2 shown]
	v_or_b32_e32 v49, 0x1000, v0
	v_or_b32_e32 v47, 0x1200, v0
	;; [unrolled: 1-line block ×20, first 2 shown]
	s_andn2_b64 vcc, exec, s[26:27]
	s_waitcnt vmcnt(0)
	v_lshlrev_b64 v[4:5], 1, v[14:15]
	s_cbranch_vccnz .LBB3396_195
; %bb.166:
	v_mov_b32_e32 v23, 0
	v_lshl_add_u64 v[2:3], s[24:25], 0, v[4:5]
	v_lshlrev_b64 v[66:67], 1, v[22:23]
	v_lshl_add_u64 v[2:3], v[2:3], 0, v[66:67]
	v_cmp_lt_u32_e32 vcc, v0, v20
	s_and_saveexec_b64 s[0:1], vcc
	s_cbranch_execnz .LBB3396_230
; %bb.167:
	s_or_b64 exec, exec, s[0:1]
	v_cmp_lt_u32_e32 vcc, v63, v20
	s_and_saveexec_b64 s[0:1], vcc
	s_cbranch_execnz .LBB3396_231
.LBB3396_168:
	s_or_b64 exec, exec, s[0:1]
	v_cmp_lt_u32_e32 vcc, v61, v20
	s_and_saveexec_b64 s[0:1], vcc
	s_cbranch_execnz .LBB3396_232
.LBB3396_169:
	s_or_b64 exec, exec, s[0:1]
	v_cmp_lt_u32_e32 vcc, v59, v20
	s_and_saveexec_b64 s[0:1], vcc
	s_cbranch_execnz .LBB3396_233
.LBB3396_170:
	s_or_b64 exec, exec, s[0:1]
	v_cmp_lt_u32_e32 vcc, v57, v20
	s_and_saveexec_b64 s[0:1], vcc
	s_cbranch_execnz .LBB3396_234
.LBB3396_171:
	s_or_b64 exec, exec, s[0:1]
	v_cmp_lt_u32_e32 vcc, v55, v20
	s_and_saveexec_b64 s[0:1], vcc
	s_cbranch_execnz .LBB3396_235
.LBB3396_172:
	s_or_b64 exec, exec, s[0:1]
	v_cmp_lt_u32_e32 vcc, v53, v20
	s_and_saveexec_b64 s[0:1], vcc
	s_cbranch_execnz .LBB3396_236
.LBB3396_173:
	s_or_b64 exec, exec, s[0:1]
	v_cmp_lt_u32_e32 vcc, v50, v20
	s_and_saveexec_b64 s[0:1], vcc
	s_cbranch_execnz .LBB3396_237
.LBB3396_174:
	s_or_b64 exec, exec, s[0:1]
	v_cmp_lt_u32_e32 vcc, v49, v20
	s_and_saveexec_b64 s[0:1], vcc
	s_cbranch_execnz .LBB3396_238
.LBB3396_175:
	s_or_b64 exec, exec, s[0:1]
	v_cmp_lt_u32_e32 vcc, v47, v20
	s_and_saveexec_b64 s[0:1], vcc
	s_cbranch_execnz .LBB3396_239
.LBB3396_176:
	s_or_b64 exec, exec, s[0:1]
	v_cmp_lt_u32_e32 vcc, v45, v20
	s_and_saveexec_b64 s[0:1], vcc
	s_cbranch_execnz .LBB3396_240
.LBB3396_177:
	s_or_b64 exec, exec, s[0:1]
	v_cmp_lt_u32_e32 vcc, v43, v20
	s_and_saveexec_b64 s[0:1], vcc
	s_cbranch_execnz .LBB3396_241
.LBB3396_178:
	s_or_b64 exec, exec, s[0:1]
	v_cmp_lt_u32_e32 vcc, v41, v20
	s_and_saveexec_b64 s[0:1], vcc
	s_cbranch_execnz .LBB3396_242
.LBB3396_179:
	s_or_b64 exec, exec, s[0:1]
	v_cmp_lt_u32_e32 vcc, v39, v20
	s_and_saveexec_b64 s[0:1], vcc
	s_cbranch_execnz .LBB3396_243
.LBB3396_180:
	s_or_b64 exec, exec, s[0:1]
	v_cmp_lt_u32_e32 vcc, v37, v20
	s_and_saveexec_b64 s[0:1], vcc
	s_cbranch_execnz .LBB3396_244
.LBB3396_181:
	s_or_b64 exec, exec, s[0:1]
	v_cmp_lt_u32_e32 vcc, v34, v20
	s_and_saveexec_b64 s[0:1], vcc
	s_cbranch_execnz .LBB3396_245
.LBB3396_182:
	s_or_b64 exec, exec, s[0:1]
	v_cmp_lt_u32_e32 vcc, v33, v20
	s_and_saveexec_b64 s[0:1], vcc
	s_cbranch_execnz .LBB3396_246
.LBB3396_183:
	s_or_b64 exec, exec, s[0:1]
	v_cmp_lt_u32_e32 vcc, v31, v20
	s_and_saveexec_b64 s[0:1], vcc
	s_cbranch_execnz .LBB3396_247
.LBB3396_184:
	s_or_b64 exec, exec, s[0:1]
	v_cmp_lt_u32_e32 vcc, v29, v20
	s_and_saveexec_b64 s[0:1], vcc
	s_cbranch_execnz .LBB3396_248
.LBB3396_185:
	s_or_b64 exec, exec, s[0:1]
	v_cmp_lt_u32_e32 vcc, v27, v20
	s_and_saveexec_b64 s[0:1], vcc
	s_cbranch_execnz .LBB3396_249
.LBB3396_186:
	s_or_b64 exec, exec, s[0:1]
	v_cmp_lt_u32_e32 vcc, v25, v20
	s_and_saveexec_b64 s[0:1], vcc
	s_cbranch_execnz .LBB3396_250
.LBB3396_187:
	s_or_b64 exec, exec, s[0:1]
	v_cmp_lt_u32_e32 vcc, v21, v20
	s_and_saveexec_b64 s[0:1], vcc
	s_cbranch_execnz .LBB3396_251
.LBB3396_188:
	s_or_b64 exec, exec, s[0:1]
	v_cmp_lt_u32_e32 vcc, v18, v20
	s_and_saveexec_b64 s[0:1], vcc
	s_cbranch_execnz .LBB3396_252
.LBB3396_189:
	s_or_b64 exec, exec, s[0:1]
	v_cmp_lt_u32_e32 vcc, v13, v20
	s_and_saveexec_b64 s[0:1], vcc
	s_cbranch_execnz .LBB3396_253
.LBB3396_190:
	s_or_b64 exec, exec, s[0:1]
	v_cmp_lt_u32_e32 vcc, v11, v20
	s_and_saveexec_b64 s[0:1], vcc
	s_cbranch_execnz .LBB3396_254
.LBB3396_191:
	s_or_b64 exec, exec, s[0:1]
	v_cmp_lt_u32_e32 vcc, v9, v20
	s_and_saveexec_b64 s[0:1], vcc
	s_cbranch_execnz .LBB3396_255
.LBB3396_192:
	s_or_b64 exec, exec, s[0:1]
	v_cmp_lt_u32_e32 vcc, v8, v20
	s_and_saveexec_b64 s[0:1], vcc
	s_cbranch_execz .LBB3396_194
.LBB3396_193:
	v_lshlrev_b32_e32 v23, 1, v8
	v_readfirstlane_b32 s2, v2
	v_readfirstlane_b32 s3, v3
	s_waitcnt lgkmcnt(1)
	s_nop 3
	global_store_short v23, v7, s[2:3]
.LBB3396_194:
	s_or_b64 exec, exec, s[0:1]
	v_cmp_lt_u32_e64 s[0:1], v6, v20
	s_branch .LBB3396_225
.LBB3396_195:
	s_mov_b64 s[0:1], 0
                                        ; implicit-def: $vgpr2_vgpr3
	s_cbranch_execz .LBB3396_225
; %bb.196:
	v_mov_b32_e32 v23, 0
	v_min_u32_e32 v66, s33, v20
	v_lshl_add_u64 v[2:3], s[24:25], 0, v[4:5]
	v_lshlrev_b64 v[4:5], 1, v[22:23]
	v_lshl_add_u64 v[2:3], v[2:3], 0, v[4:5]
	v_cmp_gt_u32_e32 vcc, v66, v0
	s_and_saveexec_b64 s[0:1], vcc
	s_cbranch_execnz .LBB3396_256
; %bb.197:
	s_or_b64 exec, exec, s[0:1]
	v_cmp_lt_u32_e32 vcc, v63, v66
	s_and_saveexec_b64 s[0:1], vcc
	s_cbranch_execnz .LBB3396_257
.LBB3396_198:
	s_or_b64 exec, exec, s[0:1]
	v_cmp_lt_u32_e32 vcc, v61, v66
	s_and_saveexec_b64 s[0:1], vcc
	s_cbranch_execnz .LBB3396_258
.LBB3396_199:
	s_or_b64 exec, exec, s[0:1]
	v_cmp_lt_u32_e32 vcc, v59, v66
	s_and_saveexec_b64 s[0:1], vcc
	s_cbranch_execnz .LBB3396_259
.LBB3396_200:
	s_or_b64 exec, exec, s[0:1]
	v_cmp_lt_u32_e32 vcc, v57, v66
	s_and_saveexec_b64 s[0:1], vcc
	s_cbranch_execnz .LBB3396_260
.LBB3396_201:
	s_or_b64 exec, exec, s[0:1]
	v_cmp_lt_u32_e32 vcc, v55, v66
	s_and_saveexec_b64 s[0:1], vcc
	s_cbranch_execnz .LBB3396_261
.LBB3396_202:
	s_or_b64 exec, exec, s[0:1]
	v_cmp_lt_u32_e32 vcc, v53, v66
	s_and_saveexec_b64 s[0:1], vcc
	s_cbranch_execnz .LBB3396_262
.LBB3396_203:
	s_or_b64 exec, exec, s[0:1]
	v_cmp_lt_u32_e32 vcc, v50, v66
	s_and_saveexec_b64 s[0:1], vcc
	s_cbranch_execnz .LBB3396_263
.LBB3396_204:
	s_or_b64 exec, exec, s[0:1]
	v_cmp_lt_u32_e32 vcc, v49, v66
	s_and_saveexec_b64 s[0:1], vcc
	s_cbranch_execnz .LBB3396_264
.LBB3396_205:
	s_or_b64 exec, exec, s[0:1]
	v_cmp_lt_u32_e32 vcc, v47, v66
	s_and_saveexec_b64 s[0:1], vcc
	s_cbranch_execnz .LBB3396_265
.LBB3396_206:
	s_or_b64 exec, exec, s[0:1]
	v_cmp_lt_u32_e32 vcc, v45, v66
	s_and_saveexec_b64 s[0:1], vcc
	s_cbranch_execnz .LBB3396_266
.LBB3396_207:
	s_or_b64 exec, exec, s[0:1]
	v_cmp_lt_u32_e32 vcc, v43, v66
	s_and_saveexec_b64 s[0:1], vcc
	s_cbranch_execnz .LBB3396_267
.LBB3396_208:
	s_or_b64 exec, exec, s[0:1]
	v_cmp_lt_u32_e32 vcc, v41, v66
	s_and_saveexec_b64 s[0:1], vcc
	s_cbranch_execnz .LBB3396_268
.LBB3396_209:
	s_or_b64 exec, exec, s[0:1]
	v_cmp_lt_u32_e32 vcc, v39, v66
	s_and_saveexec_b64 s[0:1], vcc
	s_cbranch_execnz .LBB3396_269
.LBB3396_210:
	s_or_b64 exec, exec, s[0:1]
	v_cmp_lt_u32_e32 vcc, v37, v66
	s_and_saveexec_b64 s[0:1], vcc
	s_cbranch_execnz .LBB3396_270
.LBB3396_211:
	s_or_b64 exec, exec, s[0:1]
	v_cmp_lt_u32_e32 vcc, v34, v66
	s_and_saveexec_b64 s[0:1], vcc
	s_cbranch_execnz .LBB3396_271
.LBB3396_212:
	s_or_b64 exec, exec, s[0:1]
	v_cmp_lt_u32_e32 vcc, v33, v66
	s_and_saveexec_b64 s[0:1], vcc
	s_cbranch_execnz .LBB3396_272
.LBB3396_213:
	s_or_b64 exec, exec, s[0:1]
	v_cmp_lt_u32_e32 vcc, v31, v66
	s_and_saveexec_b64 s[0:1], vcc
	s_cbranch_execnz .LBB3396_273
.LBB3396_214:
	s_or_b64 exec, exec, s[0:1]
	v_cmp_lt_u32_e32 vcc, v29, v66
	s_and_saveexec_b64 s[0:1], vcc
	s_cbranch_execnz .LBB3396_274
.LBB3396_215:
	s_or_b64 exec, exec, s[0:1]
	v_cmp_lt_u32_e32 vcc, v27, v66
	s_and_saveexec_b64 s[0:1], vcc
	s_cbranch_execnz .LBB3396_275
.LBB3396_216:
	s_or_b64 exec, exec, s[0:1]
	v_cmp_lt_u32_e32 vcc, v25, v66
	s_and_saveexec_b64 s[0:1], vcc
	s_cbranch_execnz .LBB3396_276
.LBB3396_217:
	s_or_b64 exec, exec, s[0:1]
	v_cmp_lt_u32_e32 vcc, v21, v66
	s_and_saveexec_b64 s[0:1], vcc
	s_cbranch_execnz .LBB3396_277
.LBB3396_218:
	s_or_b64 exec, exec, s[0:1]
	v_cmp_lt_u32_e32 vcc, v18, v66
	s_and_saveexec_b64 s[0:1], vcc
	s_cbranch_execnz .LBB3396_278
.LBB3396_219:
	s_or_b64 exec, exec, s[0:1]
	v_cmp_lt_u32_e32 vcc, v13, v66
	s_and_saveexec_b64 s[0:1], vcc
	s_cbranch_execnz .LBB3396_279
.LBB3396_220:
	s_or_b64 exec, exec, s[0:1]
	v_cmp_lt_u32_e32 vcc, v11, v66
	s_and_saveexec_b64 s[0:1], vcc
	s_cbranch_execnz .LBB3396_280
.LBB3396_221:
	s_or_b64 exec, exec, s[0:1]
	v_cmp_lt_u32_e32 vcc, v9, v66
	s_and_saveexec_b64 s[0:1], vcc
	s_cbranch_execnz .LBB3396_281
.LBB3396_222:
	s_or_b64 exec, exec, s[0:1]
	v_cmp_lt_u32_e32 vcc, v8, v66
	s_and_saveexec_b64 s[0:1], vcc
	s_cbranch_execz .LBB3396_224
.LBB3396_223:
	v_lshlrev_b32_e32 v0, 1, v8
	v_readfirstlane_b32 s2, v2
	v_readfirstlane_b32 s3, v3
	s_waitcnt lgkmcnt(1)
	s_nop 3
	global_store_short v0, v7, s[2:3]
.LBB3396_224:
	s_or_b64 exec, exec, s[0:1]
	v_cmp_lt_u32_e64 s[0:1], v6, v66
.LBB3396_225:
	s_and_saveexec_b64 s[2:3], s[0:1]
	s_cbranch_execnz .LBB3396_228
; %bb.226:
	s_or_b64 exec, exec, s[2:3]
	s_and_b64 s[0:1], s[18:19], s[22:23]
	s_and_saveexec_b64 s[2:3], s[0:1]
	s_cbranch_execnz .LBB3396_229
.LBB3396_227:
	s_endpgm
.LBB3396_228:
	v_lshlrev_b32_e32 v0, 1, v6
	v_readfirstlane_b32 s0, v2
	v_readfirstlane_b32 s1, v3
	s_waitcnt lgkmcnt(0)
	s_nop 3
	global_store_short v0, v1, s[0:1]
	s_or_b64 exec, exec, s[2:3]
	s_and_b64 s[0:1], s[18:19], s[22:23]
	s_and_saveexec_b64 s[2:3], s[0:1]
	s_cbranch_execz .LBB3396_227
.LBB3396_229:
	v_mov_b32_e32 v21, 0
	s_waitcnt lgkmcnt(0)
	v_lshl_add_u64 v[0:1], v[14:15], 0, v[20:21]
	v_mov_b32_e32 v23, v21
	v_lshl_add_u64 v[0:1], v[0:1], 0, v[22:23]
	global_store_dwordx2 v21, v[0:1], s[20:21]
	s_endpgm
.LBB3396_230:
	v_readfirstlane_b32 s2, v2
	v_readfirstlane_b32 s3, v3
	s_waitcnt lgkmcnt(14)
	s_nop 3
	global_store_short v16, v65, s[2:3]
	s_or_b64 exec, exec, s[0:1]
	v_cmp_lt_u32_e32 vcc, v63, v20
	s_and_saveexec_b64 s[0:1], vcc
	s_cbranch_execz .LBB3396_168
.LBB3396_231:
	v_readfirstlane_b32 s2, v2
	v_readfirstlane_b32 s3, v3
	s_waitcnt lgkmcnt(14)
	s_nop 3
	global_store_short v16, v64, s[2:3] offset:1024
	s_or_b64 exec, exec, s[0:1]
	v_cmp_lt_u32_e32 vcc, v61, v20
	s_and_saveexec_b64 s[0:1], vcc
	s_cbranch_execz .LBB3396_169
.LBB3396_232:
	v_readfirstlane_b32 s2, v2
	v_readfirstlane_b32 s3, v3
	s_waitcnt lgkmcnt(14)
	s_nop 3
	global_store_short v16, v62, s[2:3] offset:2048
	s_or_b64 exec, exec, s[0:1]
	v_cmp_lt_u32_e32 vcc, v59, v20
	s_and_saveexec_b64 s[0:1], vcc
	s_cbranch_execz .LBB3396_170
.LBB3396_233:
	v_readfirstlane_b32 s2, v2
	v_readfirstlane_b32 s3, v3
	s_waitcnt lgkmcnt(14)
	s_nop 3
	global_store_short v16, v60, s[2:3] offset:3072
	s_or_b64 exec, exec, s[0:1]
	v_cmp_lt_u32_e32 vcc, v57, v20
	s_and_saveexec_b64 s[0:1], vcc
	s_cbranch_execz .LBB3396_171
.LBB3396_234:
	v_lshlrev_b32_e32 v23, 1, v57
	v_readfirstlane_b32 s2, v2
	v_readfirstlane_b32 s3, v3
	s_waitcnt lgkmcnt(14)
	s_nop 3
	global_store_short v23, v58, s[2:3]
	s_or_b64 exec, exec, s[0:1]
	v_cmp_lt_u32_e32 vcc, v55, v20
	s_and_saveexec_b64 s[0:1], vcc
	s_cbranch_execz .LBB3396_172
.LBB3396_235:
	v_lshlrev_b32_e32 v23, 1, v55
	v_readfirstlane_b32 s2, v2
	v_readfirstlane_b32 s3, v3
	s_waitcnt lgkmcnt(14)
	s_nop 3
	global_store_short v23, v56, s[2:3]
	s_or_b64 exec, exec, s[0:1]
	v_cmp_lt_u32_e32 vcc, v53, v20
	s_and_saveexec_b64 s[0:1], vcc
	s_cbranch_execz .LBB3396_173
.LBB3396_236:
	v_lshlrev_b32_e32 v23, 1, v53
	v_readfirstlane_b32 s2, v2
	v_readfirstlane_b32 s3, v3
	s_waitcnt lgkmcnt(14)
	s_nop 3
	global_store_short v23, v54, s[2:3]
	s_or_b64 exec, exec, s[0:1]
	v_cmp_lt_u32_e32 vcc, v50, v20
	s_and_saveexec_b64 s[0:1], vcc
	s_cbranch_execz .LBB3396_174
.LBB3396_237:
	v_lshlrev_b32_e32 v23, 1, v50
	v_readfirstlane_b32 s2, v2
	v_readfirstlane_b32 s3, v3
	s_waitcnt lgkmcnt(14)
	s_nop 3
	global_store_short v23, v51, s[2:3]
	s_or_b64 exec, exec, s[0:1]
	v_cmp_lt_u32_e32 vcc, v49, v20
	s_and_saveexec_b64 s[0:1], vcc
	s_cbranch_execz .LBB3396_175
.LBB3396_238:
	v_lshlrev_b32_e32 v23, 1, v49
	v_readfirstlane_b32 s2, v2
	v_readfirstlane_b32 s3, v3
	s_waitcnt lgkmcnt(14)
	s_nop 3
	global_store_short v23, v52, s[2:3]
	s_or_b64 exec, exec, s[0:1]
	v_cmp_lt_u32_e32 vcc, v47, v20
	s_and_saveexec_b64 s[0:1], vcc
	s_cbranch_execz .LBB3396_176
.LBB3396_239:
	v_lshlrev_b32_e32 v23, 1, v47
	v_readfirstlane_b32 s2, v2
	v_readfirstlane_b32 s3, v3
	s_waitcnt lgkmcnt(14)
	s_nop 3
	global_store_short v23, v48, s[2:3]
	s_or_b64 exec, exec, s[0:1]
	v_cmp_lt_u32_e32 vcc, v45, v20
	s_and_saveexec_b64 s[0:1], vcc
	s_cbranch_execz .LBB3396_177
.LBB3396_240:
	v_lshlrev_b32_e32 v23, 1, v45
	v_readfirstlane_b32 s2, v2
	v_readfirstlane_b32 s3, v3
	s_waitcnt lgkmcnt(14)
	s_nop 3
	global_store_short v23, v46, s[2:3]
	s_or_b64 exec, exec, s[0:1]
	v_cmp_lt_u32_e32 vcc, v43, v20
	s_and_saveexec_b64 s[0:1], vcc
	s_cbranch_execz .LBB3396_178
.LBB3396_241:
	v_lshlrev_b32_e32 v23, 1, v43
	v_readfirstlane_b32 s2, v2
	v_readfirstlane_b32 s3, v3
	s_waitcnt lgkmcnt(14)
	s_nop 3
	global_store_short v23, v44, s[2:3]
	s_or_b64 exec, exec, s[0:1]
	v_cmp_lt_u32_e32 vcc, v41, v20
	s_and_saveexec_b64 s[0:1], vcc
	s_cbranch_execz .LBB3396_179
.LBB3396_242:
	v_lshlrev_b32_e32 v23, 1, v41
	v_readfirstlane_b32 s2, v2
	v_readfirstlane_b32 s3, v3
	s_waitcnt lgkmcnt(14)
	s_nop 3
	global_store_short v23, v42, s[2:3]
	s_or_b64 exec, exec, s[0:1]
	v_cmp_lt_u32_e32 vcc, v39, v20
	s_and_saveexec_b64 s[0:1], vcc
	s_cbranch_execz .LBB3396_180
.LBB3396_243:
	v_lshlrev_b32_e32 v23, 1, v39
	v_readfirstlane_b32 s2, v2
	v_readfirstlane_b32 s3, v3
	s_waitcnt lgkmcnt(14)
	s_nop 3
	global_store_short v23, v40, s[2:3]
	s_or_b64 exec, exec, s[0:1]
	v_cmp_lt_u32_e32 vcc, v37, v20
	s_and_saveexec_b64 s[0:1], vcc
	s_cbranch_execz .LBB3396_181
.LBB3396_244:
	v_lshlrev_b32_e32 v23, 1, v37
	v_readfirstlane_b32 s2, v2
	v_readfirstlane_b32 s3, v3
	s_waitcnt lgkmcnt(13)
	s_nop 3
	global_store_short v23, v38, s[2:3]
	s_or_b64 exec, exec, s[0:1]
	v_cmp_lt_u32_e32 vcc, v34, v20
	s_and_saveexec_b64 s[0:1], vcc
	s_cbranch_execz .LBB3396_182
.LBB3396_245:
	v_lshlrev_b32_e32 v23, 1, v34
	v_readfirstlane_b32 s2, v2
	v_readfirstlane_b32 s3, v3
	s_waitcnt lgkmcnt(12)
	s_nop 3
	global_store_short v23, v35, s[2:3]
	s_or_b64 exec, exec, s[0:1]
	v_cmp_lt_u32_e32 vcc, v33, v20
	s_and_saveexec_b64 s[0:1], vcc
	s_cbranch_execz .LBB3396_183
.LBB3396_246:
	v_lshlrev_b32_e32 v23, 1, v33
	v_readfirstlane_b32 s2, v2
	v_readfirstlane_b32 s3, v3
	s_waitcnt lgkmcnt(11)
	s_nop 3
	global_store_short v23, v36, s[2:3]
	s_or_b64 exec, exec, s[0:1]
	v_cmp_lt_u32_e32 vcc, v31, v20
	s_and_saveexec_b64 s[0:1], vcc
	s_cbranch_execz .LBB3396_184
.LBB3396_247:
	v_lshlrev_b32_e32 v23, 1, v31
	v_readfirstlane_b32 s2, v2
	v_readfirstlane_b32 s3, v3
	s_waitcnt lgkmcnt(10)
	s_nop 3
	global_store_short v23, v32, s[2:3]
	s_or_b64 exec, exec, s[0:1]
	v_cmp_lt_u32_e32 vcc, v29, v20
	s_and_saveexec_b64 s[0:1], vcc
	s_cbranch_execz .LBB3396_185
.LBB3396_248:
	v_lshlrev_b32_e32 v23, 1, v29
	v_readfirstlane_b32 s2, v2
	v_readfirstlane_b32 s3, v3
	s_waitcnt lgkmcnt(9)
	s_nop 3
	global_store_short v23, v30, s[2:3]
	s_or_b64 exec, exec, s[0:1]
	v_cmp_lt_u32_e32 vcc, v27, v20
	s_and_saveexec_b64 s[0:1], vcc
	s_cbranch_execz .LBB3396_186
.LBB3396_249:
	v_lshlrev_b32_e32 v23, 1, v27
	v_readfirstlane_b32 s2, v2
	v_readfirstlane_b32 s3, v3
	s_waitcnt lgkmcnt(8)
	s_nop 3
	global_store_short v23, v28, s[2:3]
	s_or_b64 exec, exec, s[0:1]
	v_cmp_lt_u32_e32 vcc, v25, v20
	s_and_saveexec_b64 s[0:1], vcc
	s_cbranch_execz .LBB3396_187
.LBB3396_250:
	v_lshlrev_b32_e32 v23, 1, v25
	v_readfirstlane_b32 s2, v2
	v_readfirstlane_b32 s3, v3
	s_waitcnt lgkmcnt(7)
	s_nop 3
	global_store_short v23, v26, s[2:3]
	s_or_b64 exec, exec, s[0:1]
	v_cmp_lt_u32_e32 vcc, v21, v20
	s_and_saveexec_b64 s[0:1], vcc
	s_cbranch_execz .LBB3396_188
.LBB3396_251:
	v_lshlrev_b32_e32 v23, 1, v21
	v_readfirstlane_b32 s2, v2
	v_readfirstlane_b32 s3, v3
	s_waitcnt lgkmcnt(6)
	s_nop 3
	global_store_short v23, v24, s[2:3]
	s_or_b64 exec, exec, s[0:1]
	v_cmp_lt_u32_e32 vcc, v18, v20
	s_and_saveexec_b64 s[0:1], vcc
	s_cbranch_execz .LBB3396_189
.LBB3396_252:
	v_lshlrev_b32_e32 v23, 1, v18
	v_readfirstlane_b32 s2, v2
	v_readfirstlane_b32 s3, v3
	s_waitcnt lgkmcnt(5)
	s_nop 3
	global_store_short v23, v19, s[2:3]
	s_or_b64 exec, exec, s[0:1]
	v_cmp_lt_u32_e32 vcc, v13, v20
	s_and_saveexec_b64 s[0:1], vcc
	s_cbranch_execz .LBB3396_190
.LBB3396_253:
	v_lshlrev_b32_e32 v23, 1, v13
	v_readfirstlane_b32 s2, v2
	v_readfirstlane_b32 s3, v3
	s_waitcnt lgkmcnt(4)
	s_nop 3
	global_store_short v23, v17, s[2:3]
	s_or_b64 exec, exec, s[0:1]
	v_cmp_lt_u32_e32 vcc, v11, v20
	s_and_saveexec_b64 s[0:1], vcc
	s_cbranch_execz .LBB3396_191
.LBB3396_254:
	v_lshlrev_b32_e32 v23, 1, v11
	v_readfirstlane_b32 s2, v2
	v_readfirstlane_b32 s3, v3
	s_waitcnt lgkmcnt(3)
	s_nop 3
	global_store_short v23, v12, s[2:3]
	s_or_b64 exec, exec, s[0:1]
	v_cmp_lt_u32_e32 vcc, v9, v20
	s_and_saveexec_b64 s[0:1], vcc
	s_cbranch_execz .LBB3396_192
.LBB3396_255:
	v_lshlrev_b32_e32 v23, 1, v9
	v_readfirstlane_b32 s2, v2
	v_readfirstlane_b32 s3, v3
	s_waitcnt lgkmcnt(2)
	s_nop 3
	global_store_short v23, v10, s[2:3]
	s_or_b64 exec, exec, s[0:1]
	v_cmp_lt_u32_e32 vcc, v8, v20
	s_and_saveexec_b64 s[0:1], vcc
	s_cbranch_execnz .LBB3396_193
	s_branch .LBB3396_194
.LBB3396_256:
	v_readfirstlane_b32 s2, v2
	v_readfirstlane_b32 s3, v3
	s_waitcnt lgkmcnt(14)
	s_nop 3
	global_store_short v16, v65, s[2:3]
	s_or_b64 exec, exec, s[0:1]
	v_cmp_lt_u32_e32 vcc, v63, v66
	s_and_saveexec_b64 s[0:1], vcc
	s_cbranch_execz .LBB3396_198
.LBB3396_257:
	v_readfirstlane_b32 s2, v2
	v_readfirstlane_b32 s3, v3
	s_waitcnt lgkmcnt(14)
	s_nop 3
	global_store_short v16, v64, s[2:3] offset:1024
	s_or_b64 exec, exec, s[0:1]
	v_cmp_lt_u32_e32 vcc, v61, v66
	s_and_saveexec_b64 s[0:1], vcc
	s_cbranch_execz .LBB3396_199
.LBB3396_258:
	v_readfirstlane_b32 s2, v2
	v_readfirstlane_b32 s3, v3
	s_waitcnt lgkmcnt(14)
	s_nop 3
	global_store_short v16, v62, s[2:3] offset:2048
	s_or_b64 exec, exec, s[0:1]
	v_cmp_lt_u32_e32 vcc, v59, v66
	s_and_saveexec_b64 s[0:1], vcc
	s_cbranch_execz .LBB3396_200
.LBB3396_259:
	v_readfirstlane_b32 s2, v2
	v_readfirstlane_b32 s3, v3
	s_waitcnt lgkmcnt(14)
	s_nop 3
	global_store_short v16, v60, s[2:3] offset:3072
	s_or_b64 exec, exec, s[0:1]
	v_cmp_lt_u32_e32 vcc, v57, v66
	s_and_saveexec_b64 s[0:1], vcc
	s_cbranch_execz .LBB3396_201
.LBB3396_260:
	v_lshlrev_b32_e32 v0, 1, v57
	v_readfirstlane_b32 s2, v2
	v_readfirstlane_b32 s3, v3
	s_waitcnt lgkmcnt(14)
	s_nop 3
	global_store_short v0, v58, s[2:3]
	s_or_b64 exec, exec, s[0:1]
	v_cmp_lt_u32_e32 vcc, v55, v66
	s_and_saveexec_b64 s[0:1], vcc
	s_cbranch_execz .LBB3396_202
.LBB3396_261:
	v_lshlrev_b32_e32 v0, 1, v55
	v_readfirstlane_b32 s2, v2
	v_readfirstlane_b32 s3, v3
	s_waitcnt lgkmcnt(14)
	s_nop 3
	global_store_short v0, v56, s[2:3]
	s_or_b64 exec, exec, s[0:1]
	v_cmp_lt_u32_e32 vcc, v53, v66
	s_and_saveexec_b64 s[0:1], vcc
	s_cbranch_execz .LBB3396_203
.LBB3396_262:
	v_lshlrev_b32_e32 v0, 1, v53
	v_readfirstlane_b32 s2, v2
	v_readfirstlane_b32 s3, v3
	s_waitcnt lgkmcnt(14)
	s_nop 3
	global_store_short v0, v54, s[2:3]
	s_or_b64 exec, exec, s[0:1]
	v_cmp_lt_u32_e32 vcc, v50, v66
	s_and_saveexec_b64 s[0:1], vcc
	s_cbranch_execz .LBB3396_204
.LBB3396_263:
	v_lshlrev_b32_e32 v0, 1, v50
	v_readfirstlane_b32 s2, v2
	v_readfirstlane_b32 s3, v3
	s_waitcnt lgkmcnt(14)
	s_nop 3
	global_store_short v0, v51, s[2:3]
	s_or_b64 exec, exec, s[0:1]
	v_cmp_lt_u32_e32 vcc, v49, v66
	s_and_saveexec_b64 s[0:1], vcc
	s_cbranch_execz .LBB3396_205
.LBB3396_264:
	v_lshlrev_b32_e32 v0, 1, v49
	v_readfirstlane_b32 s2, v2
	v_readfirstlane_b32 s3, v3
	s_waitcnt lgkmcnt(14)
	s_nop 3
	global_store_short v0, v52, s[2:3]
	s_or_b64 exec, exec, s[0:1]
	v_cmp_lt_u32_e32 vcc, v47, v66
	s_and_saveexec_b64 s[0:1], vcc
	s_cbranch_execz .LBB3396_206
.LBB3396_265:
	v_lshlrev_b32_e32 v0, 1, v47
	v_readfirstlane_b32 s2, v2
	v_readfirstlane_b32 s3, v3
	s_waitcnt lgkmcnt(14)
	s_nop 3
	global_store_short v0, v48, s[2:3]
	s_or_b64 exec, exec, s[0:1]
	v_cmp_lt_u32_e32 vcc, v45, v66
	s_and_saveexec_b64 s[0:1], vcc
	s_cbranch_execz .LBB3396_207
.LBB3396_266:
	v_lshlrev_b32_e32 v0, 1, v45
	v_readfirstlane_b32 s2, v2
	v_readfirstlane_b32 s3, v3
	s_waitcnt lgkmcnt(14)
	s_nop 3
	global_store_short v0, v46, s[2:3]
	s_or_b64 exec, exec, s[0:1]
	v_cmp_lt_u32_e32 vcc, v43, v66
	s_and_saveexec_b64 s[0:1], vcc
	s_cbranch_execz .LBB3396_208
.LBB3396_267:
	v_lshlrev_b32_e32 v0, 1, v43
	v_readfirstlane_b32 s2, v2
	v_readfirstlane_b32 s3, v3
	s_waitcnt lgkmcnt(14)
	s_nop 3
	global_store_short v0, v44, s[2:3]
	s_or_b64 exec, exec, s[0:1]
	v_cmp_lt_u32_e32 vcc, v41, v66
	s_and_saveexec_b64 s[0:1], vcc
	s_cbranch_execz .LBB3396_209
.LBB3396_268:
	v_lshlrev_b32_e32 v0, 1, v41
	v_readfirstlane_b32 s2, v2
	v_readfirstlane_b32 s3, v3
	s_waitcnt lgkmcnt(14)
	s_nop 3
	global_store_short v0, v42, s[2:3]
	s_or_b64 exec, exec, s[0:1]
	v_cmp_lt_u32_e32 vcc, v39, v66
	s_and_saveexec_b64 s[0:1], vcc
	s_cbranch_execz .LBB3396_210
.LBB3396_269:
	v_lshlrev_b32_e32 v0, 1, v39
	v_readfirstlane_b32 s2, v2
	v_readfirstlane_b32 s3, v3
	s_waitcnt lgkmcnt(14)
	s_nop 3
	global_store_short v0, v40, s[2:3]
	s_or_b64 exec, exec, s[0:1]
	v_cmp_lt_u32_e32 vcc, v37, v66
	s_and_saveexec_b64 s[0:1], vcc
	s_cbranch_execz .LBB3396_211
.LBB3396_270:
	v_lshlrev_b32_e32 v0, 1, v37
	v_readfirstlane_b32 s2, v2
	v_readfirstlane_b32 s3, v3
	s_waitcnt lgkmcnt(13)
	s_nop 3
	global_store_short v0, v38, s[2:3]
	s_or_b64 exec, exec, s[0:1]
	v_cmp_lt_u32_e32 vcc, v34, v66
	s_and_saveexec_b64 s[0:1], vcc
	s_cbranch_execz .LBB3396_212
.LBB3396_271:
	v_lshlrev_b32_e32 v0, 1, v34
	v_readfirstlane_b32 s2, v2
	v_readfirstlane_b32 s3, v3
	s_waitcnt lgkmcnt(12)
	s_nop 3
	global_store_short v0, v35, s[2:3]
	s_or_b64 exec, exec, s[0:1]
	v_cmp_lt_u32_e32 vcc, v33, v66
	s_and_saveexec_b64 s[0:1], vcc
	s_cbranch_execz .LBB3396_213
.LBB3396_272:
	v_lshlrev_b32_e32 v0, 1, v33
	v_readfirstlane_b32 s2, v2
	v_readfirstlane_b32 s3, v3
	s_waitcnt lgkmcnt(11)
	s_nop 3
	global_store_short v0, v36, s[2:3]
	s_or_b64 exec, exec, s[0:1]
	v_cmp_lt_u32_e32 vcc, v31, v66
	s_and_saveexec_b64 s[0:1], vcc
	s_cbranch_execz .LBB3396_214
.LBB3396_273:
	v_lshlrev_b32_e32 v0, 1, v31
	v_readfirstlane_b32 s2, v2
	v_readfirstlane_b32 s3, v3
	s_waitcnt lgkmcnt(10)
	s_nop 3
	global_store_short v0, v32, s[2:3]
	s_or_b64 exec, exec, s[0:1]
	v_cmp_lt_u32_e32 vcc, v29, v66
	s_and_saveexec_b64 s[0:1], vcc
	s_cbranch_execz .LBB3396_215
.LBB3396_274:
	v_lshlrev_b32_e32 v0, 1, v29
	v_readfirstlane_b32 s2, v2
	v_readfirstlane_b32 s3, v3
	s_waitcnt lgkmcnt(9)
	s_nop 3
	global_store_short v0, v30, s[2:3]
	s_or_b64 exec, exec, s[0:1]
	v_cmp_lt_u32_e32 vcc, v27, v66
	s_and_saveexec_b64 s[0:1], vcc
	s_cbranch_execz .LBB3396_216
.LBB3396_275:
	v_lshlrev_b32_e32 v0, 1, v27
	v_readfirstlane_b32 s2, v2
	v_readfirstlane_b32 s3, v3
	s_waitcnt lgkmcnt(8)
	s_nop 3
	global_store_short v0, v28, s[2:3]
	s_or_b64 exec, exec, s[0:1]
	v_cmp_lt_u32_e32 vcc, v25, v66
	s_and_saveexec_b64 s[0:1], vcc
	s_cbranch_execz .LBB3396_217
.LBB3396_276:
	v_lshlrev_b32_e32 v0, 1, v25
	v_readfirstlane_b32 s2, v2
	v_readfirstlane_b32 s3, v3
	s_waitcnt lgkmcnt(7)
	s_nop 3
	global_store_short v0, v26, s[2:3]
	s_or_b64 exec, exec, s[0:1]
	v_cmp_lt_u32_e32 vcc, v21, v66
	s_and_saveexec_b64 s[0:1], vcc
	s_cbranch_execz .LBB3396_218
.LBB3396_277:
	v_lshlrev_b32_e32 v0, 1, v21
	v_readfirstlane_b32 s2, v2
	v_readfirstlane_b32 s3, v3
	s_waitcnt lgkmcnt(6)
	s_nop 3
	global_store_short v0, v24, s[2:3]
	s_or_b64 exec, exec, s[0:1]
	v_cmp_lt_u32_e32 vcc, v18, v66
	s_and_saveexec_b64 s[0:1], vcc
	s_cbranch_execz .LBB3396_219
.LBB3396_278:
	v_lshlrev_b32_e32 v0, 1, v18
	v_readfirstlane_b32 s2, v2
	v_readfirstlane_b32 s3, v3
	s_waitcnt lgkmcnt(5)
	s_nop 3
	global_store_short v0, v19, s[2:3]
	s_or_b64 exec, exec, s[0:1]
	v_cmp_lt_u32_e32 vcc, v13, v66
	s_and_saveexec_b64 s[0:1], vcc
	s_cbranch_execz .LBB3396_220
.LBB3396_279:
	v_lshlrev_b32_e32 v0, 1, v13
	v_readfirstlane_b32 s2, v2
	v_readfirstlane_b32 s3, v3
	s_waitcnt lgkmcnt(4)
	s_nop 3
	global_store_short v0, v17, s[2:3]
	s_or_b64 exec, exec, s[0:1]
	v_cmp_lt_u32_e32 vcc, v11, v66
	s_and_saveexec_b64 s[0:1], vcc
	s_cbranch_execz .LBB3396_221
.LBB3396_280:
	v_lshlrev_b32_e32 v0, 1, v11
	v_readfirstlane_b32 s2, v2
	v_readfirstlane_b32 s3, v3
	s_waitcnt lgkmcnt(3)
	s_nop 3
	global_store_short v0, v12, s[2:3]
	s_or_b64 exec, exec, s[0:1]
	v_cmp_lt_u32_e32 vcc, v9, v66
	s_and_saveexec_b64 s[0:1], vcc
	s_cbranch_execz .LBB3396_222
.LBB3396_281:
	v_lshlrev_b32_e32 v0, 1, v9
	v_readfirstlane_b32 s2, v2
	v_readfirstlane_b32 s3, v3
	s_waitcnt lgkmcnt(2)
	s_nop 3
	global_store_short v0, v10, s[2:3]
	s_or_b64 exec, exec, s[0:1]
	v_cmp_lt_u32_e32 vcc, v8, v66
	s_and_saveexec_b64 s[0:1], vcc
	s_cbranch_execnz .LBB3396_223
	s_branch .LBB3396_224
	.section	.rodata,"a",@progbits
	.p2align	6, 0x0
	.amdhsa_kernel _ZN7rocprim17ROCPRIM_400000_NS6detail17trampoline_kernelINS0_14default_configENS1_25partition_config_selectorILNS1_17partition_subalgoE1EsNS0_10empty_typeEbEEZZNS1_14partition_implILS5_1ELb0ES3_jN6thrust23THRUST_200600_302600_NS6detail15normal_iteratorINSA_10device_ptrIsEEEEPS6_NSA_18transform_iteratorI7is_evenIsESF_NSA_11use_defaultESK_EENS0_5tupleIJSF_NSA_16discard_iteratorISK_EEEEENSM_IJSG_SG_EEES6_PlJS6_EEE10hipError_tPvRmT3_T4_T5_T6_T7_T9_mT8_P12ihipStream_tbDpT10_ENKUlT_T0_E_clISt17integral_constantIbLb1EES1B_EEDaS16_S17_EUlS16_E_NS1_11comp_targetILNS1_3genE5ELNS1_11target_archE942ELNS1_3gpuE9ELNS1_3repE0EEENS1_30default_config_static_selectorELNS0_4arch9wavefront6targetE1EEEvT1_
		.amdhsa_group_segment_fixed_size 28680
		.amdhsa_private_segment_fixed_size 0
		.amdhsa_kernarg_size 152
		.amdhsa_user_sgpr_count 2
		.amdhsa_user_sgpr_dispatch_ptr 0
		.amdhsa_user_sgpr_queue_ptr 0
		.amdhsa_user_sgpr_kernarg_segment_ptr 1
		.amdhsa_user_sgpr_dispatch_id 0
		.amdhsa_user_sgpr_kernarg_preload_length 0
		.amdhsa_user_sgpr_kernarg_preload_offset 0
		.amdhsa_user_sgpr_private_segment_size 0
		.amdhsa_uses_dynamic_stack 0
		.amdhsa_enable_private_segment 0
		.amdhsa_system_sgpr_workgroup_id_x 1
		.amdhsa_system_sgpr_workgroup_id_y 0
		.amdhsa_system_sgpr_workgroup_id_z 0
		.amdhsa_system_sgpr_workgroup_info 0
		.amdhsa_system_vgpr_workitem_id 0
		.amdhsa_next_free_vgpr 81
		.amdhsa_next_free_sgpr 40
		.amdhsa_accum_offset 84
		.amdhsa_reserve_vcc 1
		.amdhsa_float_round_mode_32 0
		.amdhsa_float_round_mode_16_64 0
		.amdhsa_float_denorm_mode_32 3
		.amdhsa_float_denorm_mode_16_64 3
		.amdhsa_dx10_clamp 1
		.amdhsa_ieee_mode 1
		.amdhsa_fp16_overflow 0
		.amdhsa_tg_split 0
		.amdhsa_exception_fp_ieee_invalid_op 0
		.amdhsa_exception_fp_denorm_src 0
		.amdhsa_exception_fp_ieee_div_zero 0
		.amdhsa_exception_fp_ieee_overflow 0
		.amdhsa_exception_fp_ieee_underflow 0
		.amdhsa_exception_fp_ieee_inexact 0
		.amdhsa_exception_int_div_zero 0
	.end_amdhsa_kernel
	.section	.text._ZN7rocprim17ROCPRIM_400000_NS6detail17trampoline_kernelINS0_14default_configENS1_25partition_config_selectorILNS1_17partition_subalgoE1EsNS0_10empty_typeEbEEZZNS1_14partition_implILS5_1ELb0ES3_jN6thrust23THRUST_200600_302600_NS6detail15normal_iteratorINSA_10device_ptrIsEEEEPS6_NSA_18transform_iteratorI7is_evenIsESF_NSA_11use_defaultESK_EENS0_5tupleIJSF_NSA_16discard_iteratorISK_EEEEENSM_IJSG_SG_EEES6_PlJS6_EEE10hipError_tPvRmT3_T4_T5_T6_T7_T9_mT8_P12ihipStream_tbDpT10_ENKUlT_T0_E_clISt17integral_constantIbLb1EES1B_EEDaS16_S17_EUlS16_E_NS1_11comp_targetILNS1_3genE5ELNS1_11target_archE942ELNS1_3gpuE9ELNS1_3repE0EEENS1_30default_config_static_selectorELNS0_4arch9wavefront6targetE1EEEvT1_,"axG",@progbits,_ZN7rocprim17ROCPRIM_400000_NS6detail17trampoline_kernelINS0_14default_configENS1_25partition_config_selectorILNS1_17partition_subalgoE1EsNS0_10empty_typeEbEEZZNS1_14partition_implILS5_1ELb0ES3_jN6thrust23THRUST_200600_302600_NS6detail15normal_iteratorINSA_10device_ptrIsEEEEPS6_NSA_18transform_iteratorI7is_evenIsESF_NSA_11use_defaultESK_EENS0_5tupleIJSF_NSA_16discard_iteratorISK_EEEEENSM_IJSG_SG_EEES6_PlJS6_EEE10hipError_tPvRmT3_T4_T5_T6_T7_T9_mT8_P12ihipStream_tbDpT10_ENKUlT_T0_E_clISt17integral_constantIbLb1EES1B_EEDaS16_S17_EUlS16_E_NS1_11comp_targetILNS1_3genE5ELNS1_11target_archE942ELNS1_3gpuE9ELNS1_3repE0EEENS1_30default_config_static_selectorELNS0_4arch9wavefront6targetE1EEEvT1_,comdat
.Lfunc_end3396:
	.size	_ZN7rocprim17ROCPRIM_400000_NS6detail17trampoline_kernelINS0_14default_configENS1_25partition_config_selectorILNS1_17partition_subalgoE1EsNS0_10empty_typeEbEEZZNS1_14partition_implILS5_1ELb0ES3_jN6thrust23THRUST_200600_302600_NS6detail15normal_iteratorINSA_10device_ptrIsEEEEPS6_NSA_18transform_iteratorI7is_evenIsESF_NSA_11use_defaultESK_EENS0_5tupleIJSF_NSA_16discard_iteratorISK_EEEEENSM_IJSG_SG_EEES6_PlJS6_EEE10hipError_tPvRmT3_T4_T5_T6_T7_T9_mT8_P12ihipStream_tbDpT10_ENKUlT_T0_E_clISt17integral_constantIbLb1EES1B_EEDaS16_S17_EUlS16_E_NS1_11comp_targetILNS1_3genE5ELNS1_11target_archE942ELNS1_3gpuE9ELNS1_3repE0EEENS1_30default_config_static_selectorELNS0_4arch9wavefront6targetE1EEEvT1_, .Lfunc_end3396-_ZN7rocprim17ROCPRIM_400000_NS6detail17trampoline_kernelINS0_14default_configENS1_25partition_config_selectorILNS1_17partition_subalgoE1EsNS0_10empty_typeEbEEZZNS1_14partition_implILS5_1ELb0ES3_jN6thrust23THRUST_200600_302600_NS6detail15normal_iteratorINSA_10device_ptrIsEEEEPS6_NSA_18transform_iteratorI7is_evenIsESF_NSA_11use_defaultESK_EENS0_5tupleIJSF_NSA_16discard_iteratorISK_EEEEENSM_IJSG_SG_EEES6_PlJS6_EEE10hipError_tPvRmT3_T4_T5_T6_T7_T9_mT8_P12ihipStream_tbDpT10_ENKUlT_T0_E_clISt17integral_constantIbLb1EES1B_EEDaS16_S17_EUlS16_E_NS1_11comp_targetILNS1_3genE5ELNS1_11target_archE942ELNS1_3gpuE9ELNS1_3repE0EEENS1_30default_config_static_selectorELNS0_4arch9wavefront6targetE1EEEvT1_
                                        ; -- End function
	.section	.AMDGPU.csdata,"",@progbits
; Kernel info:
; codeLenInByte = 12532
; NumSgprs: 46
; NumVgprs: 81
; NumAgprs: 0
; TotalNumVgprs: 81
; ScratchSize: 0
; MemoryBound: 0
; FloatMode: 240
; IeeeMode: 1
; LDSByteSize: 28680 bytes/workgroup (compile time only)
; SGPRBlocks: 5
; VGPRBlocks: 10
; NumSGPRsForWavesPerEU: 46
; NumVGPRsForWavesPerEU: 81
; AccumOffset: 84
; Occupancy: 4
; WaveLimiterHint : 1
; COMPUTE_PGM_RSRC2:SCRATCH_EN: 0
; COMPUTE_PGM_RSRC2:USER_SGPR: 2
; COMPUTE_PGM_RSRC2:TRAP_HANDLER: 0
; COMPUTE_PGM_RSRC2:TGID_X_EN: 1
; COMPUTE_PGM_RSRC2:TGID_Y_EN: 0
; COMPUTE_PGM_RSRC2:TGID_Z_EN: 0
; COMPUTE_PGM_RSRC2:TIDIG_COMP_CNT: 0
; COMPUTE_PGM_RSRC3_GFX90A:ACCUM_OFFSET: 20
; COMPUTE_PGM_RSRC3_GFX90A:TG_SPLIT: 0
	.section	.text._ZN7rocprim17ROCPRIM_400000_NS6detail17trampoline_kernelINS0_14default_configENS1_25partition_config_selectorILNS1_17partition_subalgoE1EsNS0_10empty_typeEbEEZZNS1_14partition_implILS5_1ELb0ES3_jN6thrust23THRUST_200600_302600_NS6detail15normal_iteratorINSA_10device_ptrIsEEEEPS6_NSA_18transform_iteratorI7is_evenIsESF_NSA_11use_defaultESK_EENS0_5tupleIJSF_NSA_16discard_iteratorISK_EEEEENSM_IJSG_SG_EEES6_PlJS6_EEE10hipError_tPvRmT3_T4_T5_T6_T7_T9_mT8_P12ihipStream_tbDpT10_ENKUlT_T0_E_clISt17integral_constantIbLb1EES1B_EEDaS16_S17_EUlS16_E_NS1_11comp_targetILNS1_3genE4ELNS1_11target_archE910ELNS1_3gpuE8ELNS1_3repE0EEENS1_30default_config_static_selectorELNS0_4arch9wavefront6targetE1EEEvT1_,"axG",@progbits,_ZN7rocprim17ROCPRIM_400000_NS6detail17trampoline_kernelINS0_14default_configENS1_25partition_config_selectorILNS1_17partition_subalgoE1EsNS0_10empty_typeEbEEZZNS1_14partition_implILS5_1ELb0ES3_jN6thrust23THRUST_200600_302600_NS6detail15normal_iteratorINSA_10device_ptrIsEEEEPS6_NSA_18transform_iteratorI7is_evenIsESF_NSA_11use_defaultESK_EENS0_5tupleIJSF_NSA_16discard_iteratorISK_EEEEENSM_IJSG_SG_EEES6_PlJS6_EEE10hipError_tPvRmT3_T4_T5_T6_T7_T9_mT8_P12ihipStream_tbDpT10_ENKUlT_T0_E_clISt17integral_constantIbLb1EES1B_EEDaS16_S17_EUlS16_E_NS1_11comp_targetILNS1_3genE4ELNS1_11target_archE910ELNS1_3gpuE8ELNS1_3repE0EEENS1_30default_config_static_selectorELNS0_4arch9wavefront6targetE1EEEvT1_,comdat
	.protected	_ZN7rocprim17ROCPRIM_400000_NS6detail17trampoline_kernelINS0_14default_configENS1_25partition_config_selectorILNS1_17partition_subalgoE1EsNS0_10empty_typeEbEEZZNS1_14partition_implILS5_1ELb0ES3_jN6thrust23THRUST_200600_302600_NS6detail15normal_iteratorINSA_10device_ptrIsEEEEPS6_NSA_18transform_iteratorI7is_evenIsESF_NSA_11use_defaultESK_EENS0_5tupleIJSF_NSA_16discard_iteratorISK_EEEEENSM_IJSG_SG_EEES6_PlJS6_EEE10hipError_tPvRmT3_T4_T5_T6_T7_T9_mT8_P12ihipStream_tbDpT10_ENKUlT_T0_E_clISt17integral_constantIbLb1EES1B_EEDaS16_S17_EUlS16_E_NS1_11comp_targetILNS1_3genE4ELNS1_11target_archE910ELNS1_3gpuE8ELNS1_3repE0EEENS1_30default_config_static_selectorELNS0_4arch9wavefront6targetE1EEEvT1_ ; -- Begin function _ZN7rocprim17ROCPRIM_400000_NS6detail17trampoline_kernelINS0_14default_configENS1_25partition_config_selectorILNS1_17partition_subalgoE1EsNS0_10empty_typeEbEEZZNS1_14partition_implILS5_1ELb0ES3_jN6thrust23THRUST_200600_302600_NS6detail15normal_iteratorINSA_10device_ptrIsEEEEPS6_NSA_18transform_iteratorI7is_evenIsESF_NSA_11use_defaultESK_EENS0_5tupleIJSF_NSA_16discard_iteratorISK_EEEEENSM_IJSG_SG_EEES6_PlJS6_EEE10hipError_tPvRmT3_T4_T5_T6_T7_T9_mT8_P12ihipStream_tbDpT10_ENKUlT_T0_E_clISt17integral_constantIbLb1EES1B_EEDaS16_S17_EUlS16_E_NS1_11comp_targetILNS1_3genE4ELNS1_11target_archE910ELNS1_3gpuE8ELNS1_3repE0EEENS1_30default_config_static_selectorELNS0_4arch9wavefront6targetE1EEEvT1_
	.globl	_ZN7rocprim17ROCPRIM_400000_NS6detail17trampoline_kernelINS0_14default_configENS1_25partition_config_selectorILNS1_17partition_subalgoE1EsNS0_10empty_typeEbEEZZNS1_14partition_implILS5_1ELb0ES3_jN6thrust23THRUST_200600_302600_NS6detail15normal_iteratorINSA_10device_ptrIsEEEEPS6_NSA_18transform_iteratorI7is_evenIsESF_NSA_11use_defaultESK_EENS0_5tupleIJSF_NSA_16discard_iteratorISK_EEEEENSM_IJSG_SG_EEES6_PlJS6_EEE10hipError_tPvRmT3_T4_T5_T6_T7_T9_mT8_P12ihipStream_tbDpT10_ENKUlT_T0_E_clISt17integral_constantIbLb1EES1B_EEDaS16_S17_EUlS16_E_NS1_11comp_targetILNS1_3genE4ELNS1_11target_archE910ELNS1_3gpuE8ELNS1_3repE0EEENS1_30default_config_static_selectorELNS0_4arch9wavefront6targetE1EEEvT1_
	.p2align	8
	.type	_ZN7rocprim17ROCPRIM_400000_NS6detail17trampoline_kernelINS0_14default_configENS1_25partition_config_selectorILNS1_17partition_subalgoE1EsNS0_10empty_typeEbEEZZNS1_14partition_implILS5_1ELb0ES3_jN6thrust23THRUST_200600_302600_NS6detail15normal_iteratorINSA_10device_ptrIsEEEEPS6_NSA_18transform_iteratorI7is_evenIsESF_NSA_11use_defaultESK_EENS0_5tupleIJSF_NSA_16discard_iteratorISK_EEEEENSM_IJSG_SG_EEES6_PlJS6_EEE10hipError_tPvRmT3_T4_T5_T6_T7_T9_mT8_P12ihipStream_tbDpT10_ENKUlT_T0_E_clISt17integral_constantIbLb1EES1B_EEDaS16_S17_EUlS16_E_NS1_11comp_targetILNS1_3genE4ELNS1_11target_archE910ELNS1_3gpuE8ELNS1_3repE0EEENS1_30default_config_static_selectorELNS0_4arch9wavefront6targetE1EEEvT1_,@function
_ZN7rocprim17ROCPRIM_400000_NS6detail17trampoline_kernelINS0_14default_configENS1_25partition_config_selectorILNS1_17partition_subalgoE1EsNS0_10empty_typeEbEEZZNS1_14partition_implILS5_1ELb0ES3_jN6thrust23THRUST_200600_302600_NS6detail15normal_iteratorINSA_10device_ptrIsEEEEPS6_NSA_18transform_iteratorI7is_evenIsESF_NSA_11use_defaultESK_EENS0_5tupleIJSF_NSA_16discard_iteratorISK_EEEEENSM_IJSG_SG_EEES6_PlJS6_EEE10hipError_tPvRmT3_T4_T5_T6_T7_T9_mT8_P12ihipStream_tbDpT10_ENKUlT_T0_E_clISt17integral_constantIbLb1EES1B_EEDaS16_S17_EUlS16_E_NS1_11comp_targetILNS1_3genE4ELNS1_11target_archE910ELNS1_3gpuE8ELNS1_3repE0EEENS1_30default_config_static_selectorELNS0_4arch9wavefront6targetE1EEEvT1_: ; @_ZN7rocprim17ROCPRIM_400000_NS6detail17trampoline_kernelINS0_14default_configENS1_25partition_config_selectorILNS1_17partition_subalgoE1EsNS0_10empty_typeEbEEZZNS1_14partition_implILS5_1ELb0ES3_jN6thrust23THRUST_200600_302600_NS6detail15normal_iteratorINSA_10device_ptrIsEEEEPS6_NSA_18transform_iteratorI7is_evenIsESF_NSA_11use_defaultESK_EENS0_5tupleIJSF_NSA_16discard_iteratorISK_EEEEENSM_IJSG_SG_EEES6_PlJS6_EEE10hipError_tPvRmT3_T4_T5_T6_T7_T9_mT8_P12ihipStream_tbDpT10_ENKUlT_T0_E_clISt17integral_constantIbLb1EES1B_EEDaS16_S17_EUlS16_E_NS1_11comp_targetILNS1_3genE4ELNS1_11target_archE910ELNS1_3gpuE8ELNS1_3repE0EEENS1_30default_config_static_selectorELNS0_4arch9wavefront6targetE1EEEvT1_
; %bb.0:
	.section	.rodata,"a",@progbits
	.p2align	6, 0x0
	.amdhsa_kernel _ZN7rocprim17ROCPRIM_400000_NS6detail17trampoline_kernelINS0_14default_configENS1_25partition_config_selectorILNS1_17partition_subalgoE1EsNS0_10empty_typeEbEEZZNS1_14partition_implILS5_1ELb0ES3_jN6thrust23THRUST_200600_302600_NS6detail15normal_iteratorINSA_10device_ptrIsEEEEPS6_NSA_18transform_iteratorI7is_evenIsESF_NSA_11use_defaultESK_EENS0_5tupleIJSF_NSA_16discard_iteratorISK_EEEEENSM_IJSG_SG_EEES6_PlJS6_EEE10hipError_tPvRmT3_T4_T5_T6_T7_T9_mT8_P12ihipStream_tbDpT10_ENKUlT_T0_E_clISt17integral_constantIbLb1EES1B_EEDaS16_S17_EUlS16_E_NS1_11comp_targetILNS1_3genE4ELNS1_11target_archE910ELNS1_3gpuE8ELNS1_3repE0EEENS1_30default_config_static_selectorELNS0_4arch9wavefront6targetE1EEEvT1_
		.amdhsa_group_segment_fixed_size 0
		.amdhsa_private_segment_fixed_size 0
		.amdhsa_kernarg_size 152
		.amdhsa_user_sgpr_count 2
		.amdhsa_user_sgpr_dispatch_ptr 0
		.amdhsa_user_sgpr_queue_ptr 0
		.amdhsa_user_sgpr_kernarg_segment_ptr 1
		.amdhsa_user_sgpr_dispatch_id 0
		.amdhsa_user_sgpr_kernarg_preload_length 0
		.amdhsa_user_sgpr_kernarg_preload_offset 0
		.amdhsa_user_sgpr_private_segment_size 0
		.amdhsa_uses_dynamic_stack 0
		.amdhsa_enable_private_segment 0
		.amdhsa_system_sgpr_workgroup_id_x 1
		.amdhsa_system_sgpr_workgroup_id_y 0
		.amdhsa_system_sgpr_workgroup_id_z 0
		.amdhsa_system_sgpr_workgroup_info 0
		.amdhsa_system_vgpr_workitem_id 0
		.amdhsa_next_free_vgpr 1
		.amdhsa_next_free_sgpr 0
		.amdhsa_accum_offset 4
		.amdhsa_reserve_vcc 0
		.amdhsa_float_round_mode_32 0
		.amdhsa_float_round_mode_16_64 0
		.amdhsa_float_denorm_mode_32 3
		.amdhsa_float_denorm_mode_16_64 3
		.amdhsa_dx10_clamp 1
		.amdhsa_ieee_mode 1
		.amdhsa_fp16_overflow 0
		.amdhsa_tg_split 0
		.amdhsa_exception_fp_ieee_invalid_op 0
		.amdhsa_exception_fp_denorm_src 0
		.amdhsa_exception_fp_ieee_div_zero 0
		.amdhsa_exception_fp_ieee_overflow 0
		.amdhsa_exception_fp_ieee_underflow 0
		.amdhsa_exception_fp_ieee_inexact 0
		.amdhsa_exception_int_div_zero 0
	.end_amdhsa_kernel
	.section	.text._ZN7rocprim17ROCPRIM_400000_NS6detail17trampoline_kernelINS0_14default_configENS1_25partition_config_selectorILNS1_17partition_subalgoE1EsNS0_10empty_typeEbEEZZNS1_14partition_implILS5_1ELb0ES3_jN6thrust23THRUST_200600_302600_NS6detail15normal_iteratorINSA_10device_ptrIsEEEEPS6_NSA_18transform_iteratorI7is_evenIsESF_NSA_11use_defaultESK_EENS0_5tupleIJSF_NSA_16discard_iteratorISK_EEEEENSM_IJSG_SG_EEES6_PlJS6_EEE10hipError_tPvRmT3_T4_T5_T6_T7_T9_mT8_P12ihipStream_tbDpT10_ENKUlT_T0_E_clISt17integral_constantIbLb1EES1B_EEDaS16_S17_EUlS16_E_NS1_11comp_targetILNS1_3genE4ELNS1_11target_archE910ELNS1_3gpuE8ELNS1_3repE0EEENS1_30default_config_static_selectorELNS0_4arch9wavefront6targetE1EEEvT1_,"axG",@progbits,_ZN7rocprim17ROCPRIM_400000_NS6detail17trampoline_kernelINS0_14default_configENS1_25partition_config_selectorILNS1_17partition_subalgoE1EsNS0_10empty_typeEbEEZZNS1_14partition_implILS5_1ELb0ES3_jN6thrust23THRUST_200600_302600_NS6detail15normal_iteratorINSA_10device_ptrIsEEEEPS6_NSA_18transform_iteratorI7is_evenIsESF_NSA_11use_defaultESK_EENS0_5tupleIJSF_NSA_16discard_iteratorISK_EEEEENSM_IJSG_SG_EEES6_PlJS6_EEE10hipError_tPvRmT3_T4_T5_T6_T7_T9_mT8_P12ihipStream_tbDpT10_ENKUlT_T0_E_clISt17integral_constantIbLb1EES1B_EEDaS16_S17_EUlS16_E_NS1_11comp_targetILNS1_3genE4ELNS1_11target_archE910ELNS1_3gpuE8ELNS1_3repE0EEENS1_30default_config_static_selectorELNS0_4arch9wavefront6targetE1EEEvT1_,comdat
.Lfunc_end3397:
	.size	_ZN7rocprim17ROCPRIM_400000_NS6detail17trampoline_kernelINS0_14default_configENS1_25partition_config_selectorILNS1_17partition_subalgoE1EsNS0_10empty_typeEbEEZZNS1_14partition_implILS5_1ELb0ES3_jN6thrust23THRUST_200600_302600_NS6detail15normal_iteratorINSA_10device_ptrIsEEEEPS6_NSA_18transform_iteratorI7is_evenIsESF_NSA_11use_defaultESK_EENS0_5tupleIJSF_NSA_16discard_iteratorISK_EEEEENSM_IJSG_SG_EEES6_PlJS6_EEE10hipError_tPvRmT3_T4_T5_T6_T7_T9_mT8_P12ihipStream_tbDpT10_ENKUlT_T0_E_clISt17integral_constantIbLb1EES1B_EEDaS16_S17_EUlS16_E_NS1_11comp_targetILNS1_3genE4ELNS1_11target_archE910ELNS1_3gpuE8ELNS1_3repE0EEENS1_30default_config_static_selectorELNS0_4arch9wavefront6targetE1EEEvT1_, .Lfunc_end3397-_ZN7rocprim17ROCPRIM_400000_NS6detail17trampoline_kernelINS0_14default_configENS1_25partition_config_selectorILNS1_17partition_subalgoE1EsNS0_10empty_typeEbEEZZNS1_14partition_implILS5_1ELb0ES3_jN6thrust23THRUST_200600_302600_NS6detail15normal_iteratorINSA_10device_ptrIsEEEEPS6_NSA_18transform_iteratorI7is_evenIsESF_NSA_11use_defaultESK_EENS0_5tupleIJSF_NSA_16discard_iteratorISK_EEEEENSM_IJSG_SG_EEES6_PlJS6_EEE10hipError_tPvRmT3_T4_T5_T6_T7_T9_mT8_P12ihipStream_tbDpT10_ENKUlT_T0_E_clISt17integral_constantIbLb1EES1B_EEDaS16_S17_EUlS16_E_NS1_11comp_targetILNS1_3genE4ELNS1_11target_archE910ELNS1_3gpuE8ELNS1_3repE0EEENS1_30default_config_static_selectorELNS0_4arch9wavefront6targetE1EEEvT1_
                                        ; -- End function
	.section	.AMDGPU.csdata,"",@progbits
; Kernel info:
; codeLenInByte = 0
; NumSgprs: 6
; NumVgprs: 0
; NumAgprs: 0
; TotalNumVgprs: 0
; ScratchSize: 0
; MemoryBound: 0
; FloatMode: 240
; IeeeMode: 1
; LDSByteSize: 0 bytes/workgroup (compile time only)
; SGPRBlocks: 0
; VGPRBlocks: 0
; NumSGPRsForWavesPerEU: 6
; NumVGPRsForWavesPerEU: 1
; AccumOffset: 4
; Occupancy: 8
; WaveLimiterHint : 0
; COMPUTE_PGM_RSRC2:SCRATCH_EN: 0
; COMPUTE_PGM_RSRC2:USER_SGPR: 2
; COMPUTE_PGM_RSRC2:TRAP_HANDLER: 0
; COMPUTE_PGM_RSRC2:TGID_X_EN: 1
; COMPUTE_PGM_RSRC2:TGID_Y_EN: 0
; COMPUTE_PGM_RSRC2:TGID_Z_EN: 0
; COMPUTE_PGM_RSRC2:TIDIG_COMP_CNT: 0
; COMPUTE_PGM_RSRC3_GFX90A:ACCUM_OFFSET: 0
; COMPUTE_PGM_RSRC3_GFX90A:TG_SPLIT: 0
	.section	.text._ZN7rocprim17ROCPRIM_400000_NS6detail17trampoline_kernelINS0_14default_configENS1_25partition_config_selectorILNS1_17partition_subalgoE1EsNS0_10empty_typeEbEEZZNS1_14partition_implILS5_1ELb0ES3_jN6thrust23THRUST_200600_302600_NS6detail15normal_iteratorINSA_10device_ptrIsEEEEPS6_NSA_18transform_iteratorI7is_evenIsESF_NSA_11use_defaultESK_EENS0_5tupleIJSF_NSA_16discard_iteratorISK_EEEEENSM_IJSG_SG_EEES6_PlJS6_EEE10hipError_tPvRmT3_T4_T5_T6_T7_T9_mT8_P12ihipStream_tbDpT10_ENKUlT_T0_E_clISt17integral_constantIbLb1EES1B_EEDaS16_S17_EUlS16_E_NS1_11comp_targetILNS1_3genE3ELNS1_11target_archE908ELNS1_3gpuE7ELNS1_3repE0EEENS1_30default_config_static_selectorELNS0_4arch9wavefront6targetE1EEEvT1_,"axG",@progbits,_ZN7rocprim17ROCPRIM_400000_NS6detail17trampoline_kernelINS0_14default_configENS1_25partition_config_selectorILNS1_17partition_subalgoE1EsNS0_10empty_typeEbEEZZNS1_14partition_implILS5_1ELb0ES3_jN6thrust23THRUST_200600_302600_NS6detail15normal_iteratorINSA_10device_ptrIsEEEEPS6_NSA_18transform_iteratorI7is_evenIsESF_NSA_11use_defaultESK_EENS0_5tupleIJSF_NSA_16discard_iteratorISK_EEEEENSM_IJSG_SG_EEES6_PlJS6_EEE10hipError_tPvRmT3_T4_T5_T6_T7_T9_mT8_P12ihipStream_tbDpT10_ENKUlT_T0_E_clISt17integral_constantIbLb1EES1B_EEDaS16_S17_EUlS16_E_NS1_11comp_targetILNS1_3genE3ELNS1_11target_archE908ELNS1_3gpuE7ELNS1_3repE0EEENS1_30default_config_static_selectorELNS0_4arch9wavefront6targetE1EEEvT1_,comdat
	.protected	_ZN7rocprim17ROCPRIM_400000_NS6detail17trampoline_kernelINS0_14default_configENS1_25partition_config_selectorILNS1_17partition_subalgoE1EsNS0_10empty_typeEbEEZZNS1_14partition_implILS5_1ELb0ES3_jN6thrust23THRUST_200600_302600_NS6detail15normal_iteratorINSA_10device_ptrIsEEEEPS6_NSA_18transform_iteratorI7is_evenIsESF_NSA_11use_defaultESK_EENS0_5tupleIJSF_NSA_16discard_iteratorISK_EEEEENSM_IJSG_SG_EEES6_PlJS6_EEE10hipError_tPvRmT3_T4_T5_T6_T7_T9_mT8_P12ihipStream_tbDpT10_ENKUlT_T0_E_clISt17integral_constantIbLb1EES1B_EEDaS16_S17_EUlS16_E_NS1_11comp_targetILNS1_3genE3ELNS1_11target_archE908ELNS1_3gpuE7ELNS1_3repE0EEENS1_30default_config_static_selectorELNS0_4arch9wavefront6targetE1EEEvT1_ ; -- Begin function _ZN7rocprim17ROCPRIM_400000_NS6detail17trampoline_kernelINS0_14default_configENS1_25partition_config_selectorILNS1_17partition_subalgoE1EsNS0_10empty_typeEbEEZZNS1_14partition_implILS5_1ELb0ES3_jN6thrust23THRUST_200600_302600_NS6detail15normal_iteratorINSA_10device_ptrIsEEEEPS6_NSA_18transform_iteratorI7is_evenIsESF_NSA_11use_defaultESK_EENS0_5tupleIJSF_NSA_16discard_iteratorISK_EEEEENSM_IJSG_SG_EEES6_PlJS6_EEE10hipError_tPvRmT3_T4_T5_T6_T7_T9_mT8_P12ihipStream_tbDpT10_ENKUlT_T0_E_clISt17integral_constantIbLb1EES1B_EEDaS16_S17_EUlS16_E_NS1_11comp_targetILNS1_3genE3ELNS1_11target_archE908ELNS1_3gpuE7ELNS1_3repE0EEENS1_30default_config_static_selectorELNS0_4arch9wavefront6targetE1EEEvT1_
	.globl	_ZN7rocprim17ROCPRIM_400000_NS6detail17trampoline_kernelINS0_14default_configENS1_25partition_config_selectorILNS1_17partition_subalgoE1EsNS0_10empty_typeEbEEZZNS1_14partition_implILS5_1ELb0ES3_jN6thrust23THRUST_200600_302600_NS6detail15normal_iteratorINSA_10device_ptrIsEEEEPS6_NSA_18transform_iteratorI7is_evenIsESF_NSA_11use_defaultESK_EENS0_5tupleIJSF_NSA_16discard_iteratorISK_EEEEENSM_IJSG_SG_EEES6_PlJS6_EEE10hipError_tPvRmT3_T4_T5_T6_T7_T9_mT8_P12ihipStream_tbDpT10_ENKUlT_T0_E_clISt17integral_constantIbLb1EES1B_EEDaS16_S17_EUlS16_E_NS1_11comp_targetILNS1_3genE3ELNS1_11target_archE908ELNS1_3gpuE7ELNS1_3repE0EEENS1_30default_config_static_selectorELNS0_4arch9wavefront6targetE1EEEvT1_
	.p2align	8
	.type	_ZN7rocprim17ROCPRIM_400000_NS6detail17trampoline_kernelINS0_14default_configENS1_25partition_config_selectorILNS1_17partition_subalgoE1EsNS0_10empty_typeEbEEZZNS1_14partition_implILS5_1ELb0ES3_jN6thrust23THRUST_200600_302600_NS6detail15normal_iteratorINSA_10device_ptrIsEEEEPS6_NSA_18transform_iteratorI7is_evenIsESF_NSA_11use_defaultESK_EENS0_5tupleIJSF_NSA_16discard_iteratorISK_EEEEENSM_IJSG_SG_EEES6_PlJS6_EEE10hipError_tPvRmT3_T4_T5_T6_T7_T9_mT8_P12ihipStream_tbDpT10_ENKUlT_T0_E_clISt17integral_constantIbLb1EES1B_EEDaS16_S17_EUlS16_E_NS1_11comp_targetILNS1_3genE3ELNS1_11target_archE908ELNS1_3gpuE7ELNS1_3repE0EEENS1_30default_config_static_selectorELNS0_4arch9wavefront6targetE1EEEvT1_,@function
_ZN7rocprim17ROCPRIM_400000_NS6detail17trampoline_kernelINS0_14default_configENS1_25partition_config_selectorILNS1_17partition_subalgoE1EsNS0_10empty_typeEbEEZZNS1_14partition_implILS5_1ELb0ES3_jN6thrust23THRUST_200600_302600_NS6detail15normal_iteratorINSA_10device_ptrIsEEEEPS6_NSA_18transform_iteratorI7is_evenIsESF_NSA_11use_defaultESK_EENS0_5tupleIJSF_NSA_16discard_iteratorISK_EEEEENSM_IJSG_SG_EEES6_PlJS6_EEE10hipError_tPvRmT3_T4_T5_T6_T7_T9_mT8_P12ihipStream_tbDpT10_ENKUlT_T0_E_clISt17integral_constantIbLb1EES1B_EEDaS16_S17_EUlS16_E_NS1_11comp_targetILNS1_3genE3ELNS1_11target_archE908ELNS1_3gpuE7ELNS1_3repE0EEENS1_30default_config_static_selectorELNS0_4arch9wavefront6targetE1EEEvT1_: ; @_ZN7rocprim17ROCPRIM_400000_NS6detail17trampoline_kernelINS0_14default_configENS1_25partition_config_selectorILNS1_17partition_subalgoE1EsNS0_10empty_typeEbEEZZNS1_14partition_implILS5_1ELb0ES3_jN6thrust23THRUST_200600_302600_NS6detail15normal_iteratorINSA_10device_ptrIsEEEEPS6_NSA_18transform_iteratorI7is_evenIsESF_NSA_11use_defaultESK_EENS0_5tupleIJSF_NSA_16discard_iteratorISK_EEEEENSM_IJSG_SG_EEES6_PlJS6_EEE10hipError_tPvRmT3_T4_T5_T6_T7_T9_mT8_P12ihipStream_tbDpT10_ENKUlT_T0_E_clISt17integral_constantIbLb1EES1B_EEDaS16_S17_EUlS16_E_NS1_11comp_targetILNS1_3genE3ELNS1_11target_archE908ELNS1_3gpuE7ELNS1_3repE0EEENS1_30default_config_static_selectorELNS0_4arch9wavefront6targetE1EEEvT1_
; %bb.0:
	.section	.rodata,"a",@progbits
	.p2align	6, 0x0
	.amdhsa_kernel _ZN7rocprim17ROCPRIM_400000_NS6detail17trampoline_kernelINS0_14default_configENS1_25partition_config_selectorILNS1_17partition_subalgoE1EsNS0_10empty_typeEbEEZZNS1_14partition_implILS5_1ELb0ES3_jN6thrust23THRUST_200600_302600_NS6detail15normal_iteratorINSA_10device_ptrIsEEEEPS6_NSA_18transform_iteratorI7is_evenIsESF_NSA_11use_defaultESK_EENS0_5tupleIJSF_NSA_16discard_iteratorISK_EEEEENSM_IJSG_SG_EEES6_PlJS6_EEE10hipError_tPvRmT3_T4_T5_T6_T7_T9_mT8_P12ihipStream_tbDpT10_ENKUlT_T0_E_clISt17integral_constantIbLb1EES1B_EEDaS16_S17_EUlS16_E_NS1_11comp_targetILNS1_3genE3ELNS1_11target_archE908ELNS1_3gpuE7ELNS1_3repE0EEENS1_30default_config_static_selectorELNS0_4arch9wavefront6targetE1EEEvT1_
		.amdhsa_group_segment_fixed_size 0
		.amdhsa_private_segment_fixed_size 0
		.amdhsa_kernarg_size 152
		.amdhsa_user_sgpr_count 2
		.amdhsa_user_sgpr_dispatch_ptr 0
		.amdhsa_user_sgpr_queue_ptr 0
		.amdhsa_user_sgpr_kernarg_segment_ptr 1
		.amdhsa_user_sgpr_dispatch_id 0
		.amdhsa_user_sgpr_kernarg_preload_length 0
		.amdhsa_user_sgpr_kernarg_preload_offset 0
		.amdhsa_user_sgpr_private_segment_size 0
		.amdhsa_uses_dynamic_stack 0
		.amdhsa_enable_private_segment 0
		.amdhsa_system_sgpr_workgroup_id_x 1
		.amdhsa_system_sgpr_workgroup_id_y 0
		.amdhsa_system_sgpr_workgroup_id_z 0
		.amdhsa_system_sgpr_workgroup_info 0
		.amdhsa_system_vgpr_workitem_id 0
		.amdhsa_next_free_vgpr 1
		.amdhsa_next_free_sgpr 0
		.amdhsa_accum_offset 4
		.amdhsa_reserve_vcc 0
		.amdhsa_float_round_mode_32 0
		.amdhsa_float_round_mode_16_64 0
		.amdhsa_float_denorm_mode_32 3
		.amdhsa_float_denorm_mode_16_64 3
		.amdhsa_dx10_clamp 1
		.amdhsa_ieee_mode 1
		.amdhsa_fp16_overflow 0
		.amdhsa_tg_split 0
		.amdhsa_exception_fp_ieee_invalid_op 0
		.amdhsa_exception_fp_denorm_src 0
		.amdhsa_exception_fp_ieee_div_zero 0
		.amdhsa_exception_fp_ieee_overflow 0
		.amdhsa_exception_fp_ieee_underflow 0
		.amdhsa_exception_fp_ieee_inexact 0
		.amdhsa_exception_int_div_zero 0
	.end_amdhsa_kernel
	.section	.text._ZN7rocprim17ROCPRIM_400000_NS6detail17trampoline_kernelINS0_14default_configENS1_25partition_config_selectorILNS1_17partition_subalgoE1EsNS0_10empty_typeEbEEZZNS1_14partition_implILS5_1ELb0ES3_jN6thrust23THRUST_200600_302600_NS6detail15normal_iteratorINSA_10device_ptrIsEEEEPS6_NSA_18transform_iteratorI7is_evenIsESF_NSA_11use_defaultESK_EENS0_5tupleIJSF_NSA_16discard_iteratorISK_EEEEENSM_IJSG_SG_EEES6_PlJS6_EEE10hipError_tPvRmT3_T4_T5_T6_T7_T9_mT8_P12ihipStream_tbDpT10_ENKUlT_T0_E_clISt17integral_constantIbLb1EES1B_EEDaS16_S17_EUlS16_E_NS1_11comp_targetILNS1_3genE3ELNS1_11target_archE908ELNS1_3gpuE7ELNS1_3repE0EEENS1_30default_config_static_selectorELNS0_4arch9wavefront6targetE1EEEvT1_,"axG",@progbits,_ZN7rocprim17ROCPRIM_400000_NS6detail17trampoline_kernelINS0_14default_configENS1_25partition_config_selectorILNS1_17partition_subalgoE1EsNS0_10empty_typeEbEEZZNS1_14partition_implILS5_1ELb0ES3_jN6thrust23THRUST_200600_302600_NS6detail15normal_iteratorINSA_10device_ptrIsEEEEPS6_NSA_18transform_iteratorI7is_evenIsESF_NSA_11use_defaultESK_EENS0_5tupleIJSF_NSA_16discard_iteratorISK_EEEEENSM_IJSG_SG_EEES6_PlJS6_EEE10hipError_tPvRmT3_T4_T5_T6_T7_T9_mT8_P12ihipStream_tbDpT10_ENKUlT_T0_E_clISt17integral_constantIbLb1EES1B_EEDaS16_S17_EUlS16_E_NS1_11comp_targetILNS1_3genE3ELNS1_11target_archE908ELNS1_3gpuE7ELNS1_3repE0EEENS1_30default_config_static_selectorELNS0_4arch9wavefront6targetE1EEEvT1_,comdat
.Lfunc_end3398:
	.size	_ZN7rocprim17ROCPRIM_400000_NS6detail17trampoline_kernelINS0_14default_configENS1_25partition_config_selectorILNS1_17partition_subalgoE1EsNS0_10empty_typeEbEEZZNS1_14partition_implILS5_1ELb0ES3_jN6thrust23THRUST_200600_302600_NS6detail15normal_iteratorINSA_10device_ptrIsEEEEPS6_NSA_18transform_iteratorI7is_evenIsESF_NSA_11use_defaultESK_EENS0_5tupleIJSF_NSA_16discard_iteratorISK_EEEEENSM_IJSG_SG_EEES6_PlJS6_EEE10hipError_tPvRmT3_T4_T5_T6_T7_T9_mT8_P12ihipStream_tbDpT10_ENKUlT_T0_E_clISt17integral_constantIbLb1EES1B_EEDaS16_S17_EUlS16_E_NS1_11comp_targetILNS1_3genE3ELNS1_11target_archE908ELNS1_3gpuE7ELNS1_3repE0EEENS1_30default_config_static_selectorELNS0_4arch9wavefront6targetE1EEEvT1_, .Lfunc_end3398-_ZN7rocprim17ROCPRIM_400000_NS6detail17trampoline_kernelINS0_14default_configENS1_25partition_config_selectorILNS1_17partition_subalgoE1EsNS0_10empty_typeEbEEZZNS1_14partition_implILS5_1ELb0ES3_jN6thrust23THRUST_200600_302600_NS6detail15normal_iteratorINSA_10device_ptrIsEEEEPS6_NSA_18transform_iteratorI7is_evenIsESF_NSA_11use_defaultESK_EENS0_5tupleIJSF_NSA_16discard_iteratorISK_EEEEENSM_IJSG_SG_EEES6_PlJS6_EEE10hipError_tPvRmT3_T4_T5_T6_T7_T9_mT8_P12ihipStream_tbDpT10_ENKUlT_T0_E_clISt17integral_constantIbLb1EES1B_EEDaS16_S17_EUlS16_E_NS1_11comp_targetILNS1_3genE3ELNS1_11target_archE908ELNS1_3gpuE7ELNS1_3repE0EEENS1_30default_config_static_selectorELNS0_4arch9wavefront6targetE1EEEvT1_
                                        ; -- End function
	.section	.AMDGPU.csdata,"",@progbits
; Kernel info:
; codeLenInByte = 0
; NumSgprs: 6
; NumVgprs: 0
; NumAgprs: 0
; TotalNumVgprs: 0
; ScratchSize: 0
; MemoryBound: 0
; FloatMode: 240
; IeeeMode: 1
; LDSByteSize: 0 bytes/workgroup (compile time only)
; SGPRBlocks: 0
; VGPRBlocks: 0
; NumSGPRsForWavesPerEU: 6
; NumVGPRsForWavesPerEU: 1
; AccumOffset: 4
; Occupancy: 8
; WaveLimiterHint : 0
; COMPUTE_PGM_RSRC2:SCRATCH_EN: 0
; COMPUTE_PGM_RSRC2:USER_SGPR: 2
; COMPUTE_PGM_RSRC2:TRAP_HANDLER: 0
; COMPUTE_PGM_RSRC2:TGID_X_EN: 1
; COMPUTE_PGM_RSRC2:TGID_Y_EN: 0
; COMPUTE_PGM_RSRC2:TGID_Z_EN: 0
; COMPUTE_PGM_RSRC2:TIDIG_COMP_CNT: 0
; COMPUTE_PGM_RSRC3_GFX90A:ACCUM_OFFSET: 0
; COMPUTE_PGM_RSRC3_GFX90A:TG_SPLIT: 0
	.section	.text._ZN7rocprim17ROCPRIM_400000_NS6detail17trampoline_kernelINS0_14default_configENS1_25partition_config_selectorILNS1_17partition_subalgoE1EsNS0_10empty_typeEbEEZZNS1_14partition_implILS5_1ELb0ES3_jN6thrust23THRUST_200600_302600_NS6detail15normal_iteratorINSA_10device_ptrIsEEEEPS6_NSA_18transform_iteratorI7is_evenIsESF_NSA_11use_defaultESK_EENS0_5tupleIJSF_NSA_16discard_iteratorISK_EEEEENSM_IJSG_SG_EEES6_PlJS6_EEE10hipError_tPvRmT3_T4_T5_T6_T7_T9_mT8_P12ihipStream_tbDpT10_ENKUlT_T0_E_clISt17integral_constantIbLb1EES1B_EEDaS16_S17_EUlS16_E_NS1_11comp_targetILNS1_3genE2ELNS1_11target_archE906ELNS1_3gpuE6ELNS1_3repE0EEENS1_30default_config_static_selectorELNS0_4arch9wavefront6targetE1EEEvT1_,"axG",@progbits,_ZN7rocprim17ROCPRIM_400000_NS6detail17trampoline_kernelINS0_14default_configENS1_25partition_config_selectorILNS1_17partition_subalgoE1EsNS0_10empty_typeEbEEZZNS1_14partition_implILS5_1ELb0ES3_jN6thrust23THRUST_200600_302600_NS6detail15normal_iteratorINSA_10device_ptrIsEEEEPS6_NSA_18transform_iteratorI7is_evenIsESF_NSA_11use_defaultESK_EENS0_5tupleIJSF_NSA_16discard_iteratorISK_EEEEENSM_IJSG_SG_EEES6_PlJS6_EEE10hipError_tPvRmT3_T4_T5_T6_T7_T9_mT8_P12ihipStream_tbDpT10_ENKUlT_T0_E_clISt17integral_constantIbLb1EES1B_EEDaS16_S17_EUlS16_E_NS1_11comp_targetILNS1_3genE2ELNS1_11target_archE906ELNS1_3gpuE6ELNS1_3repE0EEENS1_30default_config_static_selectorELNS0_4arch9wavefront6targetE1EEEvT1_,comdat
	.protected	_ZN7rocprim17ROCPRIM_400000_NS6detail17trampoline_kernelINS0_14default_configENS1_25partition_config_selectorILNS1_17partition_subalgoE1EsNS0_10empty_typeEbEEZZNS1_14partition_implILS5_1ELb0ES3_jN6thrust23THRUST_200600_302600_NS6detail15normal_iteratorINSA_10device_ptrIsEEEEPS6_NSA_18transform_iteratorI7is_evenIsESF_NSA_11use_defaultESK_EENS0_5tupleIJSF_NSA_16discard_iteratorISK_EEEEENSM_IJSG_SG_EEES6_PlJS6_EEE10hipError_tPvRmT3_T4_T5_T6_T7_T9_mT8_P12ihipStream_tbDpT10_ENKUlT_T0_E_clISt17integral_constantIbLb1EES1B_EEDaS16_S17_EUlS16_E_NS1_11comp_targetILNS1_3genE2ELNS1_11target_archE906ELNS1_3gpuE6ELNS1_3repE0EEENS1_30default_config_static_selectorELNS0_4arch9wavefront6targetE1EEEvT1_ ; -- Begin function _ZN7rocprim17ROCPRIM_400000_NS6detail17trampoline_kernelINS0_14default_configENS1_25partition_config_selectorILNS1_17partition_subalgoE1EsNS0_10empty_typeEbEEZZNS1_14partition_implILS5_1ELb0ES3_jN6thrust23THRUST_200600_302600_NS6detail15normal_iteratorINSA_10device_ptrIsEEEEPS6_NSA_18transform_iteratorI7is_evenIsESF_NSA_11use_defaultESK_EENS0_5tupleIJSF_NSA_16discard_iteratorISK_EEEEENSM_IJSG_SG_EEES6_PlJS6_EEE10hipError_tPvRmT3_T4_T5_T6_T7_T9_mT8_P12ihipStream_tbDpT10_ENKUlT_T0_E_clISt17integral_constantIbLb1EES1B_EEDaS16_S17_EUlS16_E_NS1_11comp_targetILNS1_3genE2ELNS1_11target_archE906ELNS1_3gpuE6ELNS1_3repE0EEENS1_30default_config_static_selectorELNS0_4arch9wavefront6targetE1EEEvT1_
	.globl	_ZN7rocprim17ROCPRIM_400000_NS6detail17trampoline_kernelINS0_14default_configENS1_25partition_config_selectorILNS1_17partition_subalgoE1EsNS0_10empty_typeEbEEZZNS1_14partition_implILS5_1ELb0ES3_jN6thrust23THRUST_200600_302600_NS6detail15normal_iteratorINSA_10device_ptrIsEEEEPS6_NSA_18transform_iteratorI7is_evenIsESF_NSA_11use_defaultESK_EENS0_5tupleIJSF_NSA_16discard_iteratorISK_EEEEENSM_IJSG_SG_EEES6_PlJS6_EEE10hipError_tPvRmT3_T4_T5_T6_T7_T9_mT8_P12ihipStream_tbDpT10_ENKUlT_T0_E_clISt17integral_constantIbLb1EES1B_EEDaS16_S17_EUlS16_E_NS1_11comp_targetILNS1_3genE2ELNS1_11target_archE906ELNS1_3gpuE6ELNS1_3repE0EEENS1_30default_config_static_selectorELNS0_4arch9wavefront6targetE1EEEvT1_
	.p2align	8
	.type	_ZN7rocprim17ROCPRIM_400000_NS6detail17trampoline_kernelINS0_14default_configENS1_25partition_config_selectorILNS1_17partition_subalgoE1EsNS0_10empty_typeEbEEZZNS1_14partition_implILS5_1ELb0ES3_jN6thrust23THRUST_200600_302600_NS6detail15normal_iteratorINSA_10device_ptrIsEEEEPS6_NSA_18transform_iteratorI7is_evenIsESF_NSA_11use_defaultESK_EENS0_5tupleIJSF_NSA_16discard_iteratorISK_EEEEENSM_IJSG_SG_EEES6_PlJS6_EEE10hipError_tPvRmT3_T4_T5_T6_T7_T9_mT8_P12ihipStream_tbDpT10_ENKUlT_T0_E_clISt17integral_constantIbLb1EES1B_EEDaS16_S17_EUlS16_E_NS1_11comp_targetILNS1_3genE2ELNS1_11target_archE906ELNS1_3gpuE6ELNS1_3repE0EEENS1_30default_config_static_selectorELNS0_4arch9wavefront6targetE1EEEvT1_,@function
_ZN7rocprim17ROCPRIM_400000_NS6detail17trampoline_kernelINS0_14default_configENS1_25partition_config_selectorILNS1_17partition_subalgoE1EsNS0_10empty_typeEbEEZZNS1_14partition_implILS5_1ELb0ES3_jN6thrust23THRUST_200600_302600_NS6detail15normal_iteratorINSA_10device_ptrIsEEEEPS6_NSA_18transform_iteratorI7is_evenIsESF_NSA_11use_defaultESK_EENS0_5tupleIJSF_NSA_16discard_iteratorISK_EEEEENSM_IJSG_SG_EEES6_PlJS6_EEE10hipError_tPvRmT3_T4_T5_T6_T7_T9_mT8_P12ihipStream_tbDpT10_ENKUlT_T0_E_clISt17integral_constantIbLb1EES1B_EEDaS16_S17_EUlS16_E_NS1_11comp_targetILNS1_3genE2ELNS1_11target_archE906ELNS1_3gpuE6ELNS1_3repE0EEENS1_30default_config_static_selectorELNS0_4arch9wavefront6targetE1EEEvT1_: ; @_ZN7rocprim17ROCPRIM_400000_NS6detail17trampoline_kernelINS0_14default_configENS1_25partition_config_selectorILNS1_17partition_subalgoE1EsNS0_10empty_typeEbEEZZNS1_14partition_implILS5_1ELb0ES3_jN6thrust23THRUST_200600_302600_NS6detail15normal_iteratorINSA_10device_ptrIsEEEEPS6_NSA_18transform_iteratorI7is_evenIsESF_NSA_11use_defaultESK_EENS0_5tupleIJSF_NSA_16discard_iteratorISK_EEEEENSM_IJSG_SG_EEES6_PlJS6_EEE10hipError_tPvRmT3_T4_T5_T6_T7_T9_mT8_P12ihipStream_tbDpT10_ENKUlT_T0_E_clISt17integral_constantIbLb1EES1B_EEDaS16_S17_EUlS16_E_NS1_11comp_targetILNS1_3genE2ELNS1_11target_archE906ELNS1_3gpuE6ELNS1_3repE0EEENS1_30default_config_static_selectorELNS0_4arch9wavefront6targetE1EEEvT1_
; %bb.0:
	.section	.rodata,"a",@progbits
	.p2align	6, 0x0
	.amdhsa_kernel _ZN7rocprim17ROCPRIM_400000_NS6detail17trampoline_kernelINS0_14default_configENS1_25partition_config_selectorILNS1_17partition_subalgoE1EsNS0_10empty_typeEbEEZZNS1_14partition_implILS5_1ELb0ES3_jN6thrust23THRUST_200600_302600_NS6detail15normal_iteratorINSA_10device_ptrIsEEEEPS6_NSA_18transform_iteratorI7is_evenIsESF_NSA_11use_defaultESK_EENS0_5tupleIJSF_NSA_16discard_iteratorISK_EEEEENSM_IJSG_SG_EEES6_PlJS6_EEE10hipError_tPvRmT3_T4_T5_T6_T7_T9_mT8_P12ihipStream_tbDpT10_ENKUlT_T0_E_clISt17integral_constantIbLb1EES1B_EEDaS16_S17_EUlS16_E_NS1_11comp_targetILNS1_3genE2ELNS1_11target_archE906ELNS1_3gpuE6ELNS1_3repE0EEENS1_30default_config_static_selectorELNS0_4arch9wavefront6targetE1EEEvT1_
		.amdhsa_group_segment_fixed_size 0
		.amdhsa_private_segment_fixed_size 0
		.amdhsa_kernarg_size 152
		.amdhsa_user_sgpr_count 2
		.amdhsa_user_sgpr_dispatch_ptr 0
		.amdhsa_user_sgpr_queue_ptr 0
		.amdhsa_user_sgpr_kernarg_segment_ptr 1
		.amdhsa_user_sgpr_dispatch_id 0
		.amdhsa_user_sgpr_kernarg_preload_length 0
		.amdhsa_user_sgpr_kernarg_preload_offset 0
		.amdhsa_user_sgpr_private_segment_size 0
		.amdhsa_uses_dynamic_stack 0
		.amdhsa_enable_private_segment 0
		.amdhsa_system_sgpr_workgroup_id_x 1
		.amdhsa_system_sgpr_workgroup_id_y 0
		.amdhsa_system_sgpr_workgroup_id_z 0
		.amdhsa_system_sgpr_workgroup_info 0
		.amdhsa_system_vgpr_workitem_id 0
		.amdhsa_next_free_vgpr 1
		.amdhsa_next_free_sgpr 0
		.amdhsa_accum_offset 4
		.amdhsa_reserve_vcc 0
		.amdhsa_float_round_mode_32 0
		.amdhsa_float_round_mode_16_64 0
		.amdhsa_float_denorm_mode_32 3
		.amdhsa_float_denorm_mode_16_64 3
		.amdhsa_dx10_clamp 1
		.amdhsa_ieee_mode 1
		.amdhsa_fp16_overflow 0
		.amdhsa_tg_split 0
		.amdhsa_exception_fp_ieee_invalid_op 0
		.amdhsa_exception_fp_denorm_src 0
		.amdhsa_exception_fp_ieee_div_zero 0
		.amdhsa_exception_fp_ieee_overflow 0
		.amdhsa_exception_fp_ieee_underflow 0
		.amdhsa_exception_fp_ieee_inexact 0
		.amdhsa_exception_int_div_zero 0
	.end_amdhsa_kernel
	.section	.text._ZN7rocprim17ROCPRIM_400000_NS6detail17trampoline_kernelINS0_14default_configENS1_25partition_config_selectorILNS1_17partition_subalgoE1EsNS0_10empty_typeEbEEZZNS1_14partition_implILS5_1ELb0ES3_jN6thrust23THRUST_200600_302600_NS6detail15normal_iteratorINSA_10device_ptrIsEEEEPS6_NSA_18transform_iteratorI7is_evenIsESF_NSA_11use_defaultESK_EENS0_5tupleIJSF_NSA_16discard_iteratorISK_EEEEENSM_IJSG_SG_EEES6_PlJS6_EEE10hipError_tPvRmT3_T4_T5_T6_T7_T9_mT8_P12ihipStream_tbDpT10_ENKUlT_T0_E_clISt17integral_constantIbLb1EES1B_EEDaS16_S17_EUlS16_E_NS1_11comp_targetILNS1_3genE2ELNS1_11target_archE906ELNS1_3gpuE6ELNS1_3repE0EEENS1_30default_config_static_selectorELNS0_4arch9wavefront6targetE1EEEvT1_,"axG",@progbits,_ZN7rocprim17ROCPRIM_400000_NS6detail17trampoline_kernelINS0_14default_configENS1_25partition_config_selectorILNS1_17partition_subalgoE1EsNS0_10empty_typeEbEEZZNS1_14partition_implILS5_1ELb0ES3_jN6thrust23THRUST_200600_302600_NS6detail15normal_iteratorINSA_10device_ptrIsEEEEPS6_NSA_18transform_iteratorI7is_evenIsESF_NSA_11use_defaultESK_EENS0_5tupleIJSF_NSA_16discard_iteratorISK_EEEEENSM_IJSG_SG_EEES6_PlJS6_EEE10hipError_tPvRmT3_T4_T5_T6_T7_T9_mT8_P12ihipStream_tbDpT10_ENKUlT_T0_E_clISt17integral_constantIbLb1EES1B_EEDaS16_S17_EUlS16_E_NS1_11comp_targetILNS1_3genE2ELNS1_11target_archE906ELNS1_3gpuE6ELNS1_3repE0EEENS1_30default_config_static_selectorELNS0_4arch9wavefront6targetE1EEEvT1_,comdat
.Lfunc_end3399:
	.size	_ZN7rocprim17ROCPRIM_400000_NS6detail17trampoline_kernelINS0_14default_configENS1_25partition_config_selectorILNS1_17partition_subalgoE1EsNS0_10empty_typeEbEEZZNS1_14partition_implILS5_1ELb0ES3_jN6thrust23THRUST_200600_302600_NS6detail15normal_iteratorINSA_10device_ptrIsEEEEPS6_NSA_18transform_iteratorI7is_evenIsESF_NSA_11use_defaultESK_EENS0_5tupleIJSF_NSA_16discard_iteratorISK_EEEEENSM_IJSG_SG_EEES6_PlJS6_EEE10hipError_tPvRmT3_T4_T5_T6_T7_T9_mT8_P12ihipStream_tbDpT10_ENKUlT_T0_E_clISt17integral_constantIbLb1EES1B_EEDaS16_S17_EUlS16_E_NS1_11comp_targetILNS1_3genE2ELNS1_11target_archE906ELNS1_3gpuE6ELNS1_3repE0EEENS1_30default_config_static_selectorELNS0_4arch9wavefront6targetE1EEEvT1_, .Lfunc_end3399-_ZN7rocprim17ROCPRIM_400000_NS6detail17trampoline_kernelINS0_14default_configENS1_25partition_config_selectorILNS1_17partition_subalgoE1EsNS0_10empty_typeEbEEZZNS1_14partition_implILS5_1ELb0ES3_jN6thrust23THRUST_200600_302600_NS6detail15normal_iteratorINSA_10device_ptrIsEEEEPS6_NSA_18transform_iteratorI7is_evenIsESF_NSA_11use_defaultESK_EENS0_5tupleIJSF_NSA_16discard_iteratorISK_EEEEENSM_IJSG_SG_EEES6_PlJS6_EEE10hipError_tPvRmT3_T4_T5_T6_T7_T9_mT8_P12ihipStream_tbDpT10_ENKUlT_T0_E_clISt17integral_constantIbLb1EES1B_EEDaS16_S17_EUlS16_E_NS1_11comp_targetILNS1_3genE2ELNS1_11target_archE906ELNS1_3gpuE6ELNS1_3repE0EEENS1_30default_config_static_selectorELNS0_4arch9wavefront6targetE1EEEvT1_
                                        ; -- End function
	.section	.AMDGPU.csdata,"",@progbits
; Kernel info:
; codeLenInByte = 0
; NumSgprs: 6
; NumVgprs: 0
; NumAgprs: 0
; TotalNumVgprs: 0
; ScratchSize: 0
; MemoryBound: 0
; FloatMode: 240
; IeeeMode: 1
; LDSByteSize: 0 bytes/workgroup (compile time only)
; SGPRBlocks: 0
; VGPRBlocks: 0
; NumSGPRsForWavesPerEU: 6
; NumVGPRsForWavesPerEU: 1
; AccumOffset: 4
; Occupancy: 8
; WaveLimiterHint : 0
; COMPUTE_PGM_RSRC2:SCRATCH_EN: 0
; COMPUTE_PGM_RSRC2:USER_SGPR: 2
; COMPUTE_PGM_RSRC2:TRAP_HANDLER: 0
; COMPUTE_PGM_RSRC2:TGID_X_EN: 1
; COMPUTE_PGM_RSRC2:TGID_Y_EN: 0
; COMPUTE_PGM_RSRC2:TGID_Z_EN: 0
; COMPUTE_PGM_RSRC2:TIDIG_COMP_CNT: 0
; COMPUTE_PGM_RSRC3_GFX90A:ACCUM_OFFSET: 0
; COMPUTE_PGM_RSRC3_GFX90A:TG_SPLIT: 0
	.section	.text._ZN7rocprim17ROCPRIM_400000_NS6detail17trampoline_kernelINS0_14default_configENS1_25partition_config_selectorILNS1_17partition_subalgoE1EsNS0_10empty_typeEbEEZZNS1_14partition_implILS5_1ELb0ES3_jN6thrust23THRUST_200600_302600_NS6detail15normal_iteratorINSA_10device_ptrIsEEEEPS6_NSA_18transform_iteratorI7is_evenIsESF_NSA_11use_defaultESK_EENS0_5tupleIJSF_NSA_16discard_iteratorISK_EEEEENSM_IJSG_SG_EEES6_PlJS6_EEE10hipError_tPvRmT3_T4_T5_T6_T7_T9_mT8_P12ihipStream_tbDpT10_ENKUlT_T0_E_clISt17integral_constantIbLb1EES1B_EEDaS16_S17_EUlS16_E_NS1_11comp_targetILNS1_3genE10ELNS1_11target_archE1200ELNS1_3gpuE4ELNS1_3repE0EEENS1_30default_config_static_selectorELNS0_4arch9wavefront6targetE1EEEvT1_,"axG",@progbits,_ZN7rocprim17ROCPRIM_400000_NS6detail17trampoline_kernelINS0_14default_configENS1_25partition_config_selectorILNS1_17partition_subalgoE1EsNS0_10empty_typeEbEEZZNS1_14partition_implILS5_1ELb0ES3_jN6thrust23THRUST_200600_302600_NS6detail15normal_iteratorINSA_10device_ptrIsEEEEPS6_NSA_18transform_iteratorI7is_evenIsESF_NSA_11use_defaultESK_EENS0_5tupleIJSF_NSA_16discard_iteratorISK_EEEEENSM_IJSG_SG_EEES6_PlJS6_EEE10hipError_tPvRmT3_T4_T5_T6_T7_T9_mT8_P12ihipStream_tbDpT10_ENKUlT_T0_E_clISt17integral_constantIbLb1EES1B_EEDaS16_S17_EUlS16_E_NS1_11comp_targetILNS1_3genE10ELNS1_11target_archE1200ELNS1_3gpuE4ELNS1_3repE0EEENS1_30default_config_static_selectorELNS0_4arch9wavefront6targetE1EEEvT1_,comdat
	.protected	_ZN7rocprim17ROCPRIM_400000_NS6detail17trampoline_kernelINS0_14default_configENS1_25partition_config_selectorILNS1_17partition_subalgoE1EsNS0_10empty_typeEbEEZZNS1_14partition_implILS5_1ELb0ES3_jN6thrust23THRUST_200600_302600_NS6detail15normal_iteratorINSA_10device_ptrIsEEEEPS6_NSA_18transform_iteratorI7is_evenIsESF_NSA_11use_defaultESK_EENS0_5tupleIJSF_NSA_16discard_iteratorISK_EEEEENSM_IJSG_SG_EEES6_PlJS6_EEE10hipError_tPvRmT3_T4_T5_T6_T7_T9_mT8_P12ihipStream_tbDpT10_ENKUlT_T0_E_clISt17integral_constantIbLb1EES1B_EEDaS16_S17_EUlS16_E_NS1_11comp_targetILNS1_3genE10ELNS1_11target_archE1200ELNS1_3gpuE4ELNS1_3repE0EEENS1_30default_config_static_selectorELNS0_4arch9wavefront6targetE1EEEvT1_ ; -- Begin function _ZN7rocprim17ROCPRIM_400000_NS6detail17trampoline_kernelINS0_14default_configENS1_25partition_config_selectorILNS1_17partition_subalgoE1EsNS0_10empty_typeEbEEZZNS1_14partition_implILS5_1ELb0ES3_jN6thrust23THRUST_200600_302600_NS6detail15normal_iteratorINSA_10device_ptrIsEEEEPS6_NSA_18transform_iteratorI7is_evenIsESF_NSA_11use_defaultESK_EENS0_5tupleIJSF_NSA_16discard_iteratorISK_EEEEENSM_IJSG_SG_EEES6_PlJS6_EEE10hipError_tPvRmT3_T4_T5_T6_T7_T9_mT8_P12ihipStream_tbDpT10_ENKUlT_T0_E_clISt17integral_constantIbLb1EES1B_EEDaS16_S17_EUlS16_E_NS1_11comp_targetILNS1_3genE10ELNS1_11target_archE1200ELNS1_3gpuE4ELNS1_3repE0EEENS1_30default_config_static_selectorELNS0_4arch9wavefront6targetE1EEEvT1_
	.globl	_ZN7rocprim17ROCPRIM_400000_NS6detail17trampoline_kernelINS0_14default_configENS1_25partition_config_selectorILNS1_17partition_subalgoE1EsNS0_10empty_typeEbEEZZNS1_14partition_implILS5_1ELb0ES3_jN6thrust23THRUST_200600_302600_NS6detail15normal_iteratorINSA_10device_ptrIsEEEEPS6_NSA_18transform_iteratorI7is_evenIsESF_NSA_11use_defaultESK_EENS0_5tupleIJSF_NSA_16discard_iteratorISK_EEEEENSM_IJSG_SG_EEES6_PlJS6_EEE10hipError_tPvRmT3_T4_T5_T6_T7_T9_mT8_P12ihipStream_tbDpT10_ENKUlT_T0_E_clISt17integral_constantIbLb1EES1B_EEDaS16_S17_EUlS16_E_NS1_11comp_targetILNS1_3genE10ELNS1_11target_archE1200ELNS1_3gpuE4ELNS1_3repE0EEENS1_30default_config_static_selectorELNS0_4arch9wavefront6targetE1EEEvT1_
	.p2align	8
	.type	_ZN7rocprim17ROCPRIM_400000_NS6detail17trampoline_kernelINS0_14default_configENS1_25partition_config_selectorILNS1_17partition_subalgoE1EsNS0_10empty_typeEbEEZZNS1_14partition_implILS5_1ELb0ES3_jN6thrust23THRUST_200600_302600_NS6detail15normal_iteratorINSA_10device_ptrIsEEEEPS6_NSA_18transform_iteratorI7is_evenIsESF_NSA_11use_defaultESK_EENS0_5tupleIJSF_NSA_16discard_iteratorISK_EEEEENSM_IJSG_SG_EEES6_PlJS6_EEE10hipError_tPvRmT3_T4_T5_T6_T7_T9_mT8_P12ihipStream_tbDpT10_ENKUlT_T0_E_clISt17integral_constantIbLb1EES1B_EEDaS16_S17_EUlS16_E_NS1_11comp_targetILNS1_3genE10ELNS1_11target_archE1200ELNS1_3gpuE4ELNS1_3repE0EEENS1_30default_config_static_selectorELNS0_4arch9wavefront6targetE1EEEvT1_,@function
_ZN7rocprim17ROCPRIM_400000_NS6detail17trampoline_kernelINS0_14default_configENS1_25partition_config_selectorILNS1_17partition_subalgoE1EsNS0_10empty_typeEbEEZZNS1_14partition_implILS5_1ELb0ES3_jN6thrust23THRUST_200600_302600_NS6detail15normal_iteratorINSA_10device_ptrIsEEEEPS6_NSA_18transform_iteratorI7is_evenIsESF_NSA_11use_defaultESK_EENS0_5tupleIJSF_NSA_16discard_iteratorISK_EEEEENSM_IJSG_SG_EEES6_PlJS6_EEE10hipError_tPvRmT3_T4_T5_T6_T7_T9_mT8_P12ihipStream_tbDpT10_ENKUlT_T0_E_clISt17integral_constantIbLb1EES1B_EEDaS16_S17_EUlS16_E_NS1_11comp_targetILNS1_3genE10ELNS1_11target_archE1200ELNS1_3gpuE4ELNS1_3repE0EEENS1_30default_config_static_selectorELNS0_4arch9wavefront6targetE1EEEvT1_: ; @_ZN7rocprim17ROCPRIM_400000_NS6detail17trampoline_kernelINS0_14default_configENS1_25partition_config_selectorILNS1_17partition_subalgoE1EsNS0_10empty_typeEbEEZZNS1_14partition_implILS5_1ELb0ES3_jN6thrust23THRUST_200600_302600_NS6detail15normal_iteratorINSA_10device_ptrIsEEEEPS6_NSA_18transform_iteratorI7is_evenIsESF_NSA_11use_defaultESK_EENS0_5tupleIJSF_NSA_16discard_iteratorISK_EEEEENSM_IJSG_SG_EEES6_PlJS6_EEE10hipError_tPvRmT3_T4_T5_T6_T7_T9_mT8_P12ihipStream_tbDpT10_ENKUlT_T0_E_clISt17integral_constantIbLb1EES1B_EEDaS16_S17_EUlS16_E_NS1_11comp_targetILNS1_3genE10ELNS1_11target_archE1200ELNS1_3gpuE4ELNS1_3repE0EEENS1_30default_config_static_selectorELNS0_4arch9wavefront6targetE1EEEvT1_
; %bb.0:
	.section	.rodata,"a",@progbits
	.p2align	6, 0x0
	.amdhsa_kernel _ZN7rocprim17ROCPRIM_400000_NS6detail17trampoline_kernelINS0_14default_configENS1_25partition_config_selectorILNS1_17partition_subalgoE1EsNS0_10empty_typeEbEEZZNS1_14partition_implILS5_1ELb0ES3_jN6thrust23THRUST_200600_302600_NS6detail15normal_iteratorINSA_10device_ptrIsEEEEPS6_NSA_18transform_iteratorI7is_evenIsESF_NSA_11use_defaultESK_EENS0_5tupleIJSF_NSA_16discard_iteratorISK_EEEEENSM_IJSG_SG_EEES6_PlJS6_EEE10hipError_tPvRmT3_T4_T5_T6_T7_T9_mT8_P12ihipStream_tbDpT10_ENKUlT_T0_E_clISt17integral_constantIbLb1EES1B_EEDaS16_S17_EUlS16_E_NS1_11comp_targetILNS1_3genE10ELNS1_11target_archE1200ELNS1_3gpuE4ELNS1_3repE0EEENS1_30default_config_static_selectorELNS0_4arch9wavefront6targetE1EEEvT1_
		.amdhsa_group_segment_fixed_size 0
		.amdhsa_private_segment_fixed_size 0
		.amdhsa_kernarg_size 152
		.amdhsa_user_sgpr_count 2
		.amdhsa_user_sgpr_dispatch_ptr 0
		.amdhsa_user_sgpr_queue_ptr 0
		.amdhsa_user_sgpr_kernarg_segment_ptr 1
		.amdhsa_user_sgpr_dispatch_id 0
		.amdhsa_user_sgpr_kernarg_preload_length 0
		.amdhsa_user_sgpr_kernarg_preload_offset 0
		.amdhsa_user_sgpr_private_segment_size 0
		.amdhsa_uses_dynamic_stack 0
		.amdhsa_enable_private_segment 0
		.amdhsa_system_sgpr_workgroup_id_x 1
		.amdhsa_system_sgpr_workgroup_id_y 0
		.amdhsa_system_sgpr_workgroup_id_z 0
		.amdhsa_system_sgpr_workgroup_info 0
		.amdhsa_system_vgpr_workitem_id 0
		.amdhsa_next_free_vgpr 1
		.amdhsa_next_free_sgpr 0
		.amdhsa_accum_offset 4
		.amdhsa_reserve_vcc 0
		.amdhsa_float_round_mode_32 0
		.amdhsa_float_round_mode_16_64 0
		.amdhsa_float_denorm_mode_32 3
		.amdhsa_float_denorm_mode_16_64 3
		.amdhsa_dx10_clamp 1
		.amdhsa_ieee_mode 1
		.amdhsa_fp16_overflow 0
		.amdhsa_tg_split 0
		.amdhsa_exception_fp_ieee_invalid_op 0
		.amdhsa_exception_fp_denorm_src 0
		.amdhsa_exception_fp_ieee_div_zero 0
		.amdhsa_exception_fp_ieee_overflow 0
		.amdhsa_exception_fp_ieee_underflow 0
		.amdhsa_exception_fp_ieee_inexact 0
		.amdhsa_exception_int_div_zero 0
	.end_amdhsa_kernel
	.section	.text._ZN7rocprim17ROCPRIM_400000_NS6detail17trampoline_kernelINS0_14default_configENS1_25partition_config_selectorILNS1_17partition_subalgoE1EsNS0_10empty_typeEbEEZZNS1_14partition_implILS5_1ELb0ES3_jN6thrust23THRUST_200600_302600_NS6detail15normal_iteratorINSA_10device_ptrIsEEEEPS6_NSA_18transform_iteratorI7is_evenIsESF_NSA_11use_defaultESK_EENS0_5tupleIJSF_NSA_16discard_iteratorISK_EEEEENSM_IJSG_SG_EEES6_PlJS6_EEE10hipError_tPvRmT3_T4_T5_T6_T7_T9_mT8_P12ihipStream_tbDpT10_ENKUlT_T0_E_clISt17integral_constantIbLb1EES1B_EEDaS16_S17_EUlS16_E_NS1_11comp_targetILNS1_3genE10ELNS1_11target_archE1200ELNS1_3gpuE4ELNS1_3repE0EEENS1_30default_config_static_selectorELNS0_4arch9wavefront6targetE1EEEvT1_,"axG",@progbits,_ZN7rocprim17ROCPRIM_400000_NS6detail17trampoline_kernelINS0_14default_configENS1_25partition_config_selectorILNS1_17partition_subalgoE1EsNS0_10empty_typeEbEEZZNS1_14partition_implILS5_1ELb0ES3_jN6thrust23THRUST_200600_302600_NS6detail15normal_iteratorINSA_10device_ptrIsEEEEPS6_NSA_18transform_iteratorI7is_evenIsESF_NSA_11use_defaultESK_EENS0_5tupleIJSF_NSA_16discard_iteratorISK_EEEEENSM_IJSG_SG_EEES6_PlJS6_EEE10hipError_tPvRmT3_T4_T5_T6_T7_T9_mT8_P12ihipStream_tbDpT10_ENKUlT_T0_E_clISt17integral_constantIbLb1EES1B_EEDaS16_S17_EUlS16_E_NS1_11comp_targetILNS1_3genE10ELNS1_11target_archE1200ELNS1_3gpuE4ELNS1_3repE0EEENS1_30default_config_static_selectorELNS0_4arch9wavefront6targetE1EEEvT1_,comdat
.Lfunc_end3400:
	.size	_ZN7rocprim17ROCPRIM_400000_NS6detail17trampoline_kernelINS0_14default_configENS1_25partition_config_selectorILNS1_17partition_subalgoE1EsNS0_10empty_typeEbEEZZNS1_14partition_implILS5_1ELb0ES3_jN6thrust23THRUST_200600_302600_NS6detail15normal_iteratorINSA_10device_ptrIsEEEEPS6_NSA_18transform_iteratorI7is_evenIsESF_NSA_11use_defaultESK_EENS0_5tupleIJSF_NSA_16discard_iteratorISK_EEEEENSM_IJSG_SG_EEES6_PlJS6_EEE10hipError_tPvRmT3_T4_T5_T6_T7_T9_mT8_P12ihipStream_tbDpT10_ENKUlT_T0_E_clISt17integral_constantIbLb1EES1B_EEDaS16_S17_EUlS16_E_NS1_11comp_targetILNS1_3genE10ELNS1_11target_archE1200ELNS1_3gpuE4ELNS1_3repE0EEENS1_30default_config_static_selectorELNS0_4arch9wavefront6targetE1EEEvT1_, .Lfunc_end3400-_ZN7rocprim17ROCPRIM_400000_NS6detail17trampoline_kernelINS0_14default_configENS1_25partition_config_selectorILNS1_17partition_subalgoE1EsNS0_10empty_typeEbEEZZNS1_14partition_implILS5_1ELb0ES3_jN6thrust23THRUST_200600_302600_NS6detail15normal_iteratorINSA_10device_ptrIsEEEEPS6_NSA_18transform_iteratorI7is_evenIsESF_NSA_11use_defaultESK_EENS0_5tupleIJSF_NSA_16discard_iteratorISK_EEEEENSM_IJSG_SG_EEES6_PlJS6_EEE10hipError_tPvRmT3_T4_T5_T6_T7_T9_mT8_P12ihipStream_tbDpT10_ENKUlT_T0_E_clISt17integral_constantIbLb1EES1B_EEDaS16_S17_EUlS16_E_NS1_11comp_targetILNS1_3genE10ELNS1_11target_archE1200ELNS1_3gpuE4ELNS1_3repE0EEENS1_30default_config_static_selectorELNS0_4arch9wavefront6targetE1EEEvT1_
                                        ; -- End function
	.section	.AMDGPU.csdata,"",@progbits
; Kernel info:
; codeLenInByte = 0
; NumSgprs: 6
; NumVgprs: 0
; NumAgprs: 0
; TotalNumVgprs: 0
; ScratchSize: 0
; MemoryBound: 0
; FloatMode: 240
; IeeeMode: 1
; LDSByteSize: 0 bytes/workgroup (compile time only)
; SGPRBlocks: 0
; VGPRBlocks: 0
; NumSGPRsForWavesPerEU: 6
; NumVGPRsForWavesPerEU: 1
; AccumOffset: 4
; Occupancy: 8
; WaveLimiterHint : 0
; COMPUTE_PGM_RSRC2:SCRATCH_EN: 0
; COMPUTE_PGM_RSRC2:USER_SGPR: 2
; COMPUTE_PGM_RSRC2:TRAP_HANDLER: 0
; COMPUTE_PGM_RSRC2:TGID_X_EN: 1
; COMPUTE_PGM_RSRC2:TGID_Y_EN: 0
; COMPUTE_PGM_RSRC2:TGID_Z_EN: 0
; COMPUTE_PGM_RSRC2:TIDIG_COMP_CNT: 0
; COMPUTE_PGM_RSRC3_GFX90A:ACCUM_OFFSET: 0
; COMPUTE_PGM_RSRC3_GFX90A:TG_SPLIT: 0
	.section	.text._ZN7rocprim17ROCPRIM_400000_NS6detail17trampoline_kernelINS0_14default_configENS1_25partition_config_selectorILNS1_17partition_subalgoE1EsNS0_10empty_typeEbEEZZNS1_14partition_implILS5_1ELb0ES3_jN6thrust23THRUST_200600_302600_NS6detail15normal_iteratorINSA_10device_ptrIsEEEEPS6_NSA_18transform_iteratorI7is_evenIsESF_NSA_11use_defaultESK_EENS0_5tupleIJSF_NSA_16discard_iteratorISK_EEEEENSM_IJSG_SG_EEES6_PlJS6_EEE10hipError_tPvRmT3_T4_T5_T6_T7_T9_mT8_P12ihipStream_tbDpT10_ENKUlT_T0_E_clISt17integral_constantIbLb1EES1B_EEDaS16_S17_EUlS16_E_NS1_11comp_targetILNS1_3genE9ELNS1_11target_archE1100ELNS1_3gpuE3ELNS1_3repE0EEENS1_30default_config_static_selectorELNS0_4arch9wavefront6targetE1EEEvT1_,"axG",@progbits,_ZN7rocprim17ROCPRIM_400000_NS6detail17trampoline_kernelINS0_14default_configENS1_25partition_config_selectorILNS1_17partition_subalgoE1EsNS0_10empty_typeEbEEZZNS1_14partition_implILS5_1ELb0ES3_jN6thrust23THRUST_200600_302600_NS6detail15normal_iteratorINSA_10device_ptrIsEEEEPS6_NSA_18transform_iteratorI7is_evenIsESF_NSA_11use_defaultESK_EENS0_5tupleIJSF_NSA_16discard_iteratorISK_EEEEENSM_IJSG_SG_EEES6_PlJS6_EEE10hipError_tPvRmT3_T4_T5_T6_T7_T9_mT8_P12ihipStream_tbDpT10_ENKUlT_T0_E_clISt17integral_constantIbLb1EES1B_EEDaS16_S17_EUlS16_E_NS1_11comp_targetILNS1_3genE9ELNS1_11target_archE1100ELNS1_3gpuE3ELNS1_3repE0EEENS1_30default_config_static_selectorELNS0_4arch9wavefront6targetE1EEEvT1_,comdat
	.protected	_ZN7rocprim17ROCPRIM_400000_NS6detail17trampoline_kernelINS0_14default_configENS1_25partition_config_selectorILNS1_17partition_subalgoE1EsNS0_10empty_typeEbEEZZNS1_14partition_implILS5_1ELb0ES3_jN6thrust23THRUST_200600_302600_NS6detail15normal_iteratorINSA_10device_ptrIsEEEEPS6_NSA_18transform_iteratorI7is_evenIsESF_NSA_11use_defaultESK_EENS0_5tupleIJSF_NSA_16discard_iteratorISK_EEEEENSM_IJSG_SG_EEES6_PlJS6_EEE10hipError_tPvRmT3_T4_T5_T6_T7_T9_mT8_P12ihipStream_tbDpT10_ENKUlT_T0_E_clISt17integral_constantIbLb1EES1B_EEDaS16_S17_EUlS16_E_NS1_11comp_targetILNS1_3genE9ELNS1_11target_archE1100ELNS1_3gpuE3ELNS1_3repE0EEENS1_30default_config_static_selectorELNS0_4arch9wavefront6targetE1EEEvT1_ ; -- Begin function _ZN7rocprim17ROCPRIM_400000_NS6detail17trampoline_kernelINS0_14default_configENS1_25partition_config_selectorILNS1_17partition_subalgoE1EsNS0_10empty_typeEbEEZZNS1_14partition_implILS5_1ELb0ES3_jN6thrust23THRUST_200600_302600_NS6detail15normal_iteratorINSA_10device_ptrIsEEEEPS6_NSA_18transform_iteratorI7is_evenIsESF_NSA_11use_defaultESK_EENS0_5tupleIJSF_NSA_16discard_iteratorISK_EEEEENSM_IJSG_SG_EEES6_PlJS6_EEE10hipError_tPvRmT3_T4_T5_T6_T7_T9_mT8_P12ihipStream_tbDpT10_ENKUlT_T0_E_clISt17integral_constantIbLb1EES1B_EEDaS16_S17_EUlS16_E_NS1_11comp_targetILNS1_3genE9ELNS1_11target_archE1100ELNS1_3gpuE3ELNS1_3repE0EEENS1_30default_config_static_selectorELNS0_4arch9wavefront6targetE1EEEvT1_
	.globl	_ZN7rocprim17ROCPRIM_400000_NS6detail17trampoline_kernelINS0_14default_configENS1_25partition_config_selectorILNS1_17partition_subalgoE1EsNS0_10empty_typeEbEEZZNS1_14partition_implILS5_1ELb0ES3_jN6thrust23THRUST_200600_302600_NS6detail15normal_iteratorINSA_10device_ptrIsEEEEPS6_NSA_18transform_iteratorI7is_evenIsESF_NSA_11use_defaultESK_EENS0_5tupleIJSF_NSA_16discard_iteratorISK_EEEEENSM_IJSG_SG_EEES6_PlJS6_EEE10hipError_tPvRmT3_T4_T5_T6_T7_T9_mT8_P12ihipStream_tbDpT10_ENKUlT_T0_E_clISt17integral_constantIbLb1EES1B_EEDaS16_S17_EUlS16_E_NS1_11comp_targetILNS1_3genE9ELNS1_11target_archE1100ELNS1_3gpuE3ELNS1_3repE0EEENS1_30default_config_static_selectorELNS0_4arch9wavefront6targetE1EEEvT1_
	.p2align	8
	.type	_ZN7rocprim17ROCPRIM_400000_NS6detail17trampoline_kernelINS0_14default_configENS1_25partition_config_selectorILNS1_17partition_subalgoE1EsNS0_10empty_typeEbEEZZNS1_14partition_implILS5_1ELb0ES3_jN6thrust23THRUST_200600_302600_NS6detail15normal_iteratorINSA_10device_ptrIsEEEEPS6_NSA_18transform_iteratorI7is_evenIsESF_NSA_11use_defaultESK_EENS0_5tupleIJSF_NSA_16discard_iteratorISK_EEEEENSM_IJSG_SG_EEES6_PlJS6_EEE10hipError_tPvRmT3_T4_T5_T6_T7_T9_mT8_P12ihipStream_tbDpT10_ENKUlT_T0_E_clISt17integral_constantIbLb1EES1B_EEDaS16_S17_EUlS16_E_NS1_11comp_targetILNS1_3genE9ELNS1_11target_archE1100ELNS1_3gpuE3ELNS1_3repE0EEENS1_30default_config_static_selectorELNS0_4arch9wavefront6targetE1EEEvT1_,@function
_ZN7rocprim17ROCPRIM_400000_NS6detail17trampoline_kernelINS0_14default_configENS1_25partition_config_selectorILNS1_17partition_subalgoE1EsNS0_10empty_typeEbEEZZNS1_14partition_implILS5_1ELb0ES3_jN6thrust23THRUST_200600_302600_NS6detail15normal_iteratorINSA_10device_ptrIsEEEEPS6_NSA_18transform_iteratorI7is_evenIsESF_NSA_11use_defaultESK_EENS0_5tupleIJSF_NSA_16discard_iteratorISK_EEEEENSM_IJSG_SG_EEES6_PlJS6_EEE10hipError_tPvRmT3_T4_T5_T6_T7_T9_mT8_P12ihipStream_tbDpT10_ENKUlT_T0_E_clISt17integral_constantIbLb1EES1B_EEDaS16_S17_EUlS16_E_NS1_11comp_targetILNS1_3genE9ELNS1_11target_archE1100ELNS1_3gpuE3ELNS1_3repE0EEENS1_30default_config_static_selectorELNS0_4arch9wavefront6targetE1EEEvT1_: ; @_ZN7rocprim17ROCPRIM_400000_NS6detail17trampoline_kernelINS0_14default_configENS1_25partition_config_selectorILNS1_17partition_subalgoE1EsNS0_10empty_typeEbEEZZNS1_14partition_implILS5_1ELb0ES3_jN6thrust23THRUST_200600_302600_NS6detail15normal_iteratorINSA_10device_ptrIsEEEEPS6_NSA_18transform_iteratorI7is_evenIsESF_NSA_11use_defaultESK_EENS0_5tupleIJSF_NSA_16discard_iteratorISK_EEEEENSM_IJSG_SG_EEES6_PlJS6_EEE10hipError_tPvRmT3_T4_T5_T6_T7_T9_mT8_P12ihipStream_tbDpT10_ENKUlT_T0_E_clISt17integral_constantIbLb1EES1B_EEDaS16_S17_EUlS16_E_NS1_11comp_targetILNS1_3genE9ELNS1_11target_archE1100ELNS1_3gpuE3ELNS1_3repE0EEENS1_30default_config_static_selectorELNS0_4arch9wavefront6targetE1EEEvT1_
; %bb.0:
	.section	.rodata,"a",@progbits
	.p2align	6, 0x0
	.amdhsa_kernel _ZN7rocprim17ROCPRIM_400000_NS6detail17trampoline_kernelINS0_14default_configENS1_25partition_config_selectorILNS1_17partition_subalgoE1EsNS0_10empty_typeEbEEZZNS1_14partition_implILS5_1ELb0ES3_jN6thrust23THRUST_200600_302600_NS6detail15normal_iteratorINSA_10device_ptrIsEEEEPS6_NSA_18transform_iteratorI7is_evenIsESF_NSA_11use_defaultESK_EENS0_5tupleIJSF_NSA_16discard_iteratorISK_EEEEENSM_IJSG_SG_EEES6_PlJS6_EEE10hipError_tPvRmT3_T4_T5_T6_T7_T9_mT8_P12ihipStream_tbDpT10_ENKUlT_T0_E_clISt17integral_constantIbLb1EES1B_EEDaS16_S17_EUlS16_E_NS1_11comp_targetILNS1_3genE9ELNS1_11target_archE1100ELNS1_3gpuE3ELNS1_3repE0EEENS1_30default_config_static_selectorELNS0_4arch9wavefront6targetE1EEEvT1_
		.amdhsa_group_segment_fixed_size 0
		.amdhsa_private_segment_fixed_size 0
		.amdhsa_kernarg_size 152
		.amdhsa_user_sgpr_count 2
		.amdhsa_user_sgpr_dispatch_ptr 0
		.amdhsa_user_sgpr_queue_ptr 0
		.amdhsa_user_sgpr_kernarg_segment_ptr 1
		.amdhsa_user_sgpr_dispatch_id 0
		.amdhsa_user_sgpr_kernarg_preload_length 0
		.amdhsa_user_sgpr_kernarg_preload_offset 0
		.amdhsa_user_sgpr_private_segment_size 0
		.amdhsa_uses_dynamic_stack 0
		.amdhsa_enable_private_segment 0
		.amdhsa_system_sgpr_workgroup_id_x 1
		.amdhsa_system_sgpr_workgroup_id_y 0
		.amdhsa_system_sgpr_workgroup_id_z 0
		.amdhsa_system_sgpr_workgroup_info 0
		.amdhsa_system_vgpr_workitem_id 0
		.amdhsa_next_free_vgpr 1
		.amdhsa_next_free_sgpr 0
		.amdhsa_accum_offset 4
		.amdhsa_reserve_vcc 0
		.amdhsa_float_round_mode_32 0
		.amdhsa_float_round_mode_16_64 0
		.amdhsa_float_denorm_mode_32 3
		.amdhsa_float_denorm_mode_16_64 3
		.amdhsa_dx10_clamp 1
		.amdhsa_ieee_mode 1
		.amdhsa_fp16_overflow 0
		.amdhsa_tg_split 0
		.amdhsa_exception_fp_ieee_invalid_op 0
		.amdhsa_exception_fp_denorm_src 0
		.amdhsa_exception_fp_ieee_div_zero 0
		.amdhsa_exception_fp_ieee_overflow 0
		.amdhsa_exception_fp_ieee_underflow 0
		.amdhsa_exception_fp_ieee_inexact 0
		.amdhsa_exception_int_div_zero 0
	.end_amdhsa_kernel
	.section	.text._ZN7rocprim17ROCPRIM_400000_NS6detail17trampoline_kernelINS0_14default_configENS1_25partition_config_selectorILNS1_17partition_subalgoE1EsNS0_10empty_typeEbEEZZNS1_14partition_implILS5_1ELb0ES3_jN6thrust23THRUST_200600_302600_NS6detail15normal_iteratorINSA_10device_ptrIsEEEEPS6_NSA_18transform_iteratorI7is_evenIsESF_NSA_11use_defaultESK_EENS0_5tupleIJSF_NSA_16discard_iteratorISK_EEEEENSM_IJSG_SG_EEES6_PlJS6_EEE10hipError_tPvRmT3_T4_T5_T6_T7_T9_mT8_P12ihipStream_tbDpT10_ENKUlT_T0_E_clISt17integral_constantIbLb1EES1B_EEDaS16_S17_EUlS16_E_NS1_11comp_targetILNS1_3genE9ELNS1_11target_archE1100ELNS1_3gpuE3ELNS1_3repE0EEENS1_30default_config_static_selectorELNS0_4arch9wavefront6targetE1EEEvT1_,"axG",@progbits,_ZN7rocprim17ROCPRIM_400000_NS6detail17trampoline_kernelINS0_14default_configENS1_25partition_config_selectorILNS1_17partition_subalgoE1EsNS0_10empty_typeEbEEZZNS1_14partition_implILS5_1ELb0ES3_jN6thrust23THRUST_200600_302600_NS6detail15normal_iteratorINSA_10device_ptrIsEEEEPS6_NSA_18transform_iteratorI7is_evenIsESF_NSA_11use_defaultESK_EENS0_5tupleIJSF_NSA_16discard_iteratorISK_EEEEENSM_IJSG_SG_EEES6_PlJS6_EEE10hipError_tPvRmT3_T4_T5_T6_T7_T9_mT8_P12ihipStream_tbDpT10_ENKUlT_T0_E_clISt17integral_constantIbLb1EES1B_EEDaS16_S17_EUlS16_E_NS1_11comp_targetILNS1_3genE9ELNS1_11target_archE1100ELNS1_3gpuE3ELNS1_3repE0EEENS1_30default_config_static_selectorELNS0_4arch9wavefront6targetE1EEEvT1_,comdat
.Lfunc_end3401:
	.size	_ZN7rocprim17ROCPRIM_400000_NS6detail17trampoline_kernelINS0_14default_configENS1_25partition_config_selectorILNS1_17partition_subalgoE1EsNS0_10empty_typeEbEEZZNS1_14partition_implILS5_1ELb0ES3_jN6thrust23THRUST_200600_302600_NS6detail15normal_iteratorINSA_10device_ptrIsEEEEPS6_NSA_18transform_iteratorI7is_evenIsESF_NSA_11use_defaultESK_EENS0_5tupleIJSF_NSA_16discard_iteratorISK_EEEEENSM_IJSG_SG_EEES6_PlJS6_EEE10hipError_tPvRmT3_T4_T5_T6_T7_T9_mT8_P12ihipStream_tbDpT10_ENKUlT_T0_E_clISt17integral_constantIbLb1EES1B_EEDaS16_S17_EUlS16_E_NS1_11comp_targetILNS1_3genE9ELNS1_11target_archE1100ELNS1_3gpuE3ELNS1_3repE0EEENS1_30default_config_static_selectorELNS0_4arch9wavefront6targetE1EEEvT1_, .Lfunc_end3401-_ZN7rocprim17ROCPRIM_400000_NS6detail17trampoline_kernelINS0_14default_configENS1_25partition_config_selectorILNS1_17partition_subalgoE1EsNS0_10empty_typeEbEEZZNS1_14partition_implILS5_1ELb0ES3_jN6thrust23THRUST_200600_302600_NS6detail15normal_iteratorINSA_10device_ptrIsEEEEPS6_NSA_18transform_iteratorI7is_evenIsESF_NSA_11use_defaultESK_EENS0_5tupleIJSF_NSA_16discard_iteratorISK_EEEEENSM_IJSG_SG_EEES6_PlJS6_EEE10hipError_tPvRmT3_T4_T5_T6_T7_T9_mT8_P12ihipStream_tbDpT10_ENKUlT_T0_E_clISt17integral_constantIbLb1EES1B_EEDaS16_S17_EUlS16_E_NS1_11comp_targetILNS1_3genE9ELNS1_11target_archE1100ELNS1_3gpuE3ELNS1_3repE0EEENS1_30default_config_static_selectorELNS0_4arch9wavefront6targetE1EEEvT1_
                                        ; -- End function
	.section	.AMDGPU.csdata,"",@progbits
; Kernel info:
; codeLenInByte = 0
; NumSgprs: 6
; NumVgprs: 0
; NumAgprs: 0
; TotalNumVgprs: 0
; ScratchSize: 0
; MemoryBound: 0
; FloatMode: 240
; IeeeMode: 1
; LDSByteSize: 0 bytes/workgroup (compile time only)
; SGPRBlocks: 0
; VGPRBlocks: 0
; NumSGPRsForWavesPerEU: 6
; NumVGPRsForWavesPerEU: 1
; AccumOffset: 4
; Occupancy: 8
; WaveLimiterHint : 0
; COMPUTE_PGM_RSRC2:SCRATCH_EN: 0
; COMPUTE_PGM_RSRC2:USER_SGPR: 2
; COMPUTE_PGM_RSRC2:TRAP_HANDLER: 0
; COMPUTE_PGM_RSRC2:TGID_X_EN: 1
; COMPUTE_PGM_RSRC2:TGID_Y_EN: 0
; COMPUTE_PGM_RSRC2:TGID_Z_EN: 0
; COMPUTE_PGM_RSRC2:TIDIG_COMP_CNT: 0
; COMPUTE_PGM_RSRC3_GFX90A:ACCUM_OFFSET: 0
; COMPUTE_PGM_RSRC3_GFX90A:TG_SPLIT: 0
	.section	.text._ZN7rocprim17ROCPRIM_400000_NS6detail17trampoline_kernelINS0_14default_configENS1_25partition_config_selectorILNS1_17partition_subalgoE1EsNS0_10empty_typeEbEEZZNS1_14partition_implILS5_1ELb0ES3_jN6thrust23THRUST_200600_302600_NS6detail15normal_iteratorINSA_10device_ptrIsEEEEPS6_NSA_18transform_iteratorI7is_evenIsESF_NSA_11use_defaultESK_EENS0_5tupleIJSF_NSA_16discard_iteratorISK_EEEEENSM_IJSG_SG_EEES6_PlJS6_EEE10hipError_tPvRmT3_T4_T5_T6_T7_T9_mT8_P12ihipStream_tbDpT10_ENKUlT_T0_E_clISt17integral_constantIbLb1EES1B_EEDaS16_S17_EUlS16_E_NS1_11comp_targetILNS1_3genE8ELNS1_11target_archE1030ELNS1_3gpuE2ELNS1_3repE0EEENS1_30default_config_static_selectorELNS0_4arch9wavefront6targetE1EEEvT1_,"axG",@progbits,_ZN7rocprim17ROCPRIM_400000_NS6detail17trampoline_kernelINS0_14default_configENS1_25partition_config_selectorILNS1_17partition_subalgoE1EsNS0_10empty_typeEbEEZZNS1_14partition_implILS5_1ELb0ES3_jN6thrust23THRUST_200600_302600_NS6detail15normal_iteratorINSA_10device_ptrIsEEEEPS6_NSA_18transform_iteratorI7is_evenIsESF_NSA_11use_defaultESK_EENS0_5tupleIJSF_NSA_16discard_iteratorISK_EEEEENSM_IJSG_SG_EEES6_PlJS6_EEE10hipError_tPvRmT3_T4_T5_T6_T7_T9_mT8_P12ihipStream_tbDpT10_ENKUlT_T0_E_clISt17integral_constantIbLb1EES1B_EEDaS16_S17_EUlS16_E_NS1_11comp_targetILNS1_3genE8ELNS1_11target_archE1030ELNS1_3gpuE2ELNS1_3repE0EEENS1_30default_config_static_selectorELNS0_4arch9wavefront6targetE1EEEvT1_,comdat
	.protected	_ZN7rocprim17ROCPRIM_400000_NS6detail17trampoline_kernelINS0_14default_configENS1_25partition_config_selectorILNS1_17partition_subalgoE1EsNS0_10empty_typeEbEEZZNS1_14partition_implILS5_1ELb0ES3_jN6thrust23THRUST_200600_302600_NS6detail15normal_iteratorINSA_10device_ptrIsEEEEPS6_NSA_18transform_iteratorI7is_evenIsESF_NSA_11use_defaultESK_EENS0_5tupleIJSF_NSA_16discard_iteratorISK_EEEEENSM_IJSG_SG_EEES6_PlJS6_EEE10hipError_tPvRmT3_T4_T5_T6_T7_T9_mT8_P12ihipStream_tbDpT10_ENKUlT_T0_E_clISt17integral_constantIbLb1EES1B_EEDaS16_S17_EUlS16_E_NS1_11comp_targetILNS1_3genE8ELNS1_11target_archE1030ELNS1_3gpuE2ELNS1_3repE0EEENS1_30default_config_static_selectorELNS0_4arch9wavefront6targetE1EEEvT1_ ; -- Begin function _ZN7rocprim17ROCPRIM_400000_NS6detail17trampoline_kernelINS0_14default_configENS1_25partition_config_selectorILNS1_17partition_subalgoE1EsNS0_10empty_typeEbEEZZNS1_14partition_implILS5_1ELb0ES3_jN6thrust23THRUST_200600_302600_NS6detail15normal_iteratorINSA_10device_ptrIsEEEEPS6_NSA_18transform_iteratorI7is_evenIsESF_NSA_11use_defaultESK_EENS0_5tupleIJSF_NSA_16discard_iteratorISK_EEEEENSM_IJSG_SG_EEES6_PlJS6_EEE10hipError_tPvRmT3_T4_T5_T6_T7_T9_mT8_P12ihipStream_tbDpT10_ENKUlT_T0_E_clISt17integral_constantIbLb1EES1B_EEDaS16_S17_EUlS16_E_NS1_11comp_targetILNS1_3genE8ELNS1_11target_archE1030ELNS1_3gpuE2ELNS1_3repE0EEENS1_30default_config_static_selectorELNS0_4arch9wavefront6targetE1EEEvT1_
	.globl	_ZN7rocprim17ROCPRIM_400000_NS6detail17trampoline_kernelINS0_14default_configENS1_25partition_config_selectorILNS1_17partition_subalgoE1EsNS0_10empty_typeEbEEZZNS1_14partition_implILS5_1ELb0ES3_jN6thrust23THRUST_200600_302600_NS6detail15normal_iteratorINSA_10device_ptrIsEEEEPS6_NSA_18transform_iteratorI7is_evenIsESF_NSA_11use_defaultESK_EENS0_5tupleIJSF_NSA_16discard_iteratorISK_EEEEENSM_IJSG_SG_EEES6_PlJS6_EEE10hipError_tPvRmT3_T4_T5_T6_T7_T9_mT8_P12ihipStream_tbDpT10_ENKUlT_T0_E_clISt17integral_constantIbLb1EES1B_EEDaS16_S17_EUlS16_E_NS1_11comp_targetILNS1_3genE8ELNS1_11target_archE1030ELNS1_3gpuE2ELNS1_3repE0EEENS1_30default_config_static_selectorELNS0_4arch9wavefront6targetE1EEEvT1_
	.p2align	8
	.type	_ZN7rocprim17ROCPRIM_400000_NS6detail17trampoline_kernelINS0_14default_configENS1_25partition_config_selectorILNS1_17partition_subalgoE1EsNS0_10empty_typeEbEEZZNS1_14partition_implILS5_1ELb0ES3_jN6thrust23THRUST_200600_302600_NS6detail15normal_iteratorINSA_10device_ptrIsEEEEPS6_NSA_18transform_iteratorI7is_evenIsESF_NSA_11use_defaultESK_EENS0_5tupleIJSF_NSA_16discard_iteratorISK_EEEEENSM_IJSG_SG_EEES6_PlJS6_EEE10hipError_tPvRmT3_T4_T5_T6_T7_T9_mT8_P12ihipStream_tbDpT10_ENKUlT_T0_E_clISt17integral_constantIbLb1EES1B_EEDaS16_S17_EUlS16_E_NS1_11comp_targetILNS1_3genE8ELNS1_11target_archE1030ELNS1_3gpuE2ELNS1_3repE0EEENS1_30default_config_static_selectorELNS0_4arch9wavefront6targetE1EEEvT1_,@function
_ZN7rocprim17ROCPRIM_400000_NS6detail17trampoline_kernelINS0_14default_configENS1_25partition_config_selectorILNS1_17partition_subalgoE1EsNS0_10empty_typeEbEEZZNS1_14partition_implILS5_1ELb0ES3_jN6thrust23THRUST_200600_302600_NS6detail15normal_iteratorINSA_10device_ptrIsEEEEPS6_NSA_18transform_iteratorI7is_evenIsESF_NSA_11use_defaultESK_EENS0_5tupleIJSF_NSA_16discard_iteratorISK_EEEEENSM_IJSG_SG_EEES6_PlJS6_EEE10hipError_tPvRmT3_T4_T5_T6_T7_T9_mT8_P12ihipStream_tbDpT10_ENKUlT_T0_E_clISt17integral_constantIbLb1EES1B_EEDaS16_S17_EUlS16_E_NS1_11comp_targetILNS1_3genE8ELNS1_11target_archE1030ELNS1_3gpuE2ELNS1_3repE0EEENS1_30default_config_static_selectorELNS0_4arch9wavefront6targetE1EEEvT1_: ; @_ZN7rocprim17ROCPRIM_400000_NS6detail17trampoline_kernelINS0_14default_configENS1_25partition_config_selectorILNS1_17partition_subalgoE1EsNS0_10empty_typeEbEEZZNS1_14partition_implILS5_1ELb0ES3_jN6thrust23THRUST_200600_302600_NS6detail15normal_iteratorINSA_10device_ptrIsEEEEPS6_NSA_18transform_iteratorI7is_evenIsESF_NSA_11use_defaultESK_EENS0_5tupleIJSF_NSA_16discard_iteratorISK_EEEEENSM_IJSG_SG_EEES6_PlJS6_EEE10hipError_tPvRmT3_T4_T5_T6_T7_T9_mT8_P12ihipStream_tbDpT10_ENKUlT_T0_E_clISt17integral_constantIbLb1EES1B_EEDaS16_S17_EUlS16_E_NS1_11comp_targetILNS1_3genE8ELNS1_11target_archE1030ELNS1_3gpuE2ELNS1_3repE0EEENS1_30default_config_static_selectorELNS0_4arch9wavefront6targetE1EEEvT1_
; %bb.0:
	.section	.rodata,"a",@progbits
	.p2align	6, 0x0
	.amdhsa_kernel _ZN7rocprim17ROCPRIM_400000_NS6detail17trampoline_kernelINS0_14default_configENS1_25partition_config_selectorILNS1_17partition_subalgoE1EsNS0_10empty_typeEbEEZZNS1_14partition_implILS5_1ELb0ES3_jN6thrust23THRUST_200600_302600_NS6detail15normal_iteratorINSA_10device_ptrIsEEEEPS6_NSA_18transform_iteratorI7is_evenIsESF_NSA_11use_defaultESK_EENS0_5tupleIJSF_NSA_16discard_iteratorISK_EEEEENSM_IJSG_SG_EEES6_PlJS6_EEE10hipError_tPvRmT3_T4_T5_T6_T7_T9_mT8_P12ihipStream_tbDpT10_ENKUlT_T0_E_clISt17integral_constantIbLb1EES1B_EEDaS16_S17_EUlS16_E_NS1_11comp_targetILNS1_3genE8ELNS1_11target_archE1030ELNS1_3gpuE2ELNS1_3repE0EEENS1_30default_config_static_selectorELNS0_4arch9wavefront6targetE1EEEvT1_
		.amdhsa_group_segment_fixed_size 0
		.amdhsa_private_segment_fixed_size 0
		.amdhsa_kernarg_size 152
		.amdhsa_user_sgpr_count 2
		.amdhsa_user_sgpr_dispatch_ptr 0
		.amdhsa_user_sgpr_queue_ptr 0
		.amdhsa_user_sgpr_kernarg_segment_ptr 1
		.amdhsa_user_sgpr_dispatch_id 0
		.amdhsa_user_sgpr_kernarg_preload_length 0
		.amdhsa_user_sgpr_kernarg_preload_offset 0
		.amdhsa_user_sgpr_private_segment_size 0
		.amdhsa_uses_dynamic_stack 0
		.amdhsa_enable_private_segment 0
		.amdhsa_system_sgpr_workgroup_id_x 1
		.amdhsa_system_sgpr_workgroup_id_y 0
		.amdhsa_system_sgpr_workgroup_id_z 0
		.amdhsa_system_sgpr_workgroup_info 0
		.amdhsa_system_vgpr_workitem_id 0
		.amdhsa_next_free_vgpr 1
		.amdhsa_next_free_sgpr 0
		.amdhsa_accum_offset 4
		.amdhsa_reserve_vcc 0
		.amdhsa_float_round_mode_32 0
		.amdhsa_float_round_mode_16_64 0
		.amdhsa_float_denorm_mode_32 3
		.amdhsa_float_denorm_mode_16_64 3
		.amdhsa_dx10_clamp 1
		.amdhsa_ieee_mode 1
		.amdhsa_fp16_overflow 0
		.amdhsa_tg_split 0
		.amdhsa_exception_fp_ieee_invalid_op 0
		.amdhsa_exception_fp_denorm_src 0
		.amdhsa_exception_fp_ieee_div_zero 0
		.amdhsa_exception_fp_ieee_overflow 0
		.amdhsa_exception_fp_ieee_underflow 0
		.amdhsa_exception_fp_ieee_inexact 0
		.amdhsa_exception_int_div_zero 0
	.end_amdhsa_kernel
	.section	.text._ZN7rocprim17ROCPRIM_400000_NS6detail17trampoline_kernelINS0_14default_configENS1_25partition_config_selectorILNS1_17partition_subalgoE1EsNS0_10empty_typeEbEEZZNS1_14partition_implILS5_1ELb0ES3_jN6thrust23THRUST_200600_302600_NS6detail15normal_iteratorINSA_10device_ptrIsEEEEPS6_NSA_18transform_iteratorI7is_evenIsESF_NSA_11use_defaultESK_EENS0_5tupleIJSF_NSA_16discard_iteratorISK_EEEEENSM_IJSG_SG_EEES6_PlJS6_EEE10hipError_tPvRmT3_T4_T5_T6_T7_T9_mT8_P12ihipStream_tbDpT10_ENKUlT_T0_E_clISt17integral_constantIbLb1EES1B_EEDaS16_S17_EUlS16_E_NS1_11comp_targetILNS1_3genE8ELNS1_11target_archE1030ELNS1_3gpuE2ELNS1_3repE0EEENS1_30default_config_static_selectorELNS0_4arch9wavefront6targetE1EEEvT1_,"axG",@progbits,_ZN7rocprim17ROCPRIM_400000_NS6detail17trampoline_kernelINS0_14default_configENS1_25partition_config_selectorILNS1_17partition_subalgoE1EsNS0_10empty_typeEbEEZZNS1_14partition_implILS5_1ELb0ES3_jN6thrust23THRUST_200600_302600_NS6detail15normal_iteratorINSA_10device_ptrIsEEEEPS6_NSA_18transform_iteratorI7is_evenIsESF_NSA_11use_defaultESK_EENS0_5tupleIJSF_NSA_16discard_iteratorISK_EEEEENSM_IJSG_SG_EEES6_PlJS6_EEE10hipError_tPvRmT3_T4_T5_T6_T7_T9_mT8_P12ihipStream_tbDpT10_ENKUlT_T0_E_clISt17integral_constantIbLb1EES1B_EEDaS16_S17_EUlS16_E_NS1_11comp_targetILNS1_3genE8ELNS1_11target_archE1030ELNS1_3gpuE2ELNS1_3repE0EEENS1_30default_config_static_selectorELNS0_4arch9wavefront6targetE1EEEvT1_,comdat
.Lfunc_end3402:
	.size	_ZN7rocprim17ROCPRIM_400000_NS6detail17trampoline_kernelINS0_14default_configENS1_25partition_config_selectorILNS1_17partition_subalgoE1EsNS0_10empty_typeEbEEZZNS1_14partition_implILS5_1ELb0ES3_jN6thrust23THRUST_200600_302600_NS6detail15normal_iteratorINSA_10device_ptrIsEEEEPS6_NSA_18transform_iteratorI7is_evenIsESF_NSA_11use_defaultESK_EENS0_5tupleIJSF_NSA_16discard_iteratorISK_EEEEENSM_IJSG_SG_EEES6_PlJS6_EEE10hipError_tPvRmT3_T4_T5_T6_T7_T9_mT8_P12ihipStream_tbDpT10_ENKUlT_T0_E_clISt17integral_constantIbLb1EES1B_EEDaS16_S17_EUlS16_E_NS1_11comp_targetILNS1_3genE8ELNS1_11target_archE1030ELNS1_3gpuE2ELNS1_3repE0EEENS1_30default_config_static_selectorELNS0_4arch9wavefront6targetE1EEEvT1_, .Lfunc_end3402-_ZN7rocprim17ROCPRIM_400000_NS6detail17trampoline_kernelINS0_14default_configENS1_25partition_config_selectorILNS1_17partition_subalgoE1EsNS0_10empty_typeEbEEZZNS1_14partition_implILS5_1ELb0ES3_jN6thrust23THRUST_200600_302600_NS6detail15normal_iteratorINSA_10device_ptrIsEEEEPS6_NSA_18transform_iteratorI7is_evenIsESF_NSA_11use_defaultESK_EENS0_5tupleIJSF_NSA_16discard_iteratorISK_EEEEENSM_IJSG_SG_EEES6_PlJS6_EEE10hipError_tPvRmT3_T4_T5_T6_T7_T9_mT8_P12ihipStream_tbDpT10_ENKUlT_T0_E_clISt17integral_constantIbLb1EES1B_EEDaS16_S17_EUlS16_E_NS1_11comp_targetILNS1_3genE8ELNS1_11target_archE1030ELNS1_3gpuE2ELNS1_3repE0EEENS1_30default_config_static_selectorELNS0_4arch9wavefront6targetE1EEEvT1_
                                        ; -- End function
	.section	.AMDGPU.csdata,"",@progbits
; Kernel info:
; codeLenInByte = 0
; NumSgprs: 6
; NumVgprs: 0
; NumAgprs: 0
; TotalNumVgprs: 0
; ScratchSize: 0
; MemoryBound: 0
; FloatMode: 240
; IeeeMode: 1
; LDSByteSize: 0 bytes/workgroup (compile time only)
; SGPRBlocks: 0
; VGPRBlocks: 0
; NumSGPRsForWavesPerEU: 6
; NumVGPRsForWavesPerEU: 1
; AccumOffset: 4
; Occupancy: 8
; WaveLimiterHint : 0
; COMPUTE_PGM_RSRC2:SCRATCH_EN: 0
; COMPUTE_PGM_RSRC2:USER_SGPR: 2
; COMPUTE_PGM_RSRC2:TRAP_HANDLER: 0
; COMPUTE_PGM_RSRC2:TGID_X_EN: 1
; COMPUTE_PGM_RSRC2:TGID_Y_EN: 0
; COMPUTE_PGM_RSRC2:TGID_Z_EN: 0
; COMPUTE_PGM_RSRC2:TIDIG_COMP_CNT: 0
; COMPUTE_PGM_RSRC3_GFX90A:ACCUM_OFFSET: 0
; COMPUTE_PGM_RSRC3_GFX90A:TG_SPLIT: 0
	.section	.text._ZN7rocprim17ROCPRIM_400000_NS6detail17trampoline_kernelINS0_14default_configENS1_25partition_config_selectorILNS1_17partition_subalgoE1EsNS0_10empty_typeEbEEZZNS1_14partition_implILS5_1ELb0ES3_jN6thrust23THRUST_200600_302600_NS6detail15normal_iteratorINSA_10device_ptrIsEEEEPS6_NSA_18transform_iteratorI7is_evenIsESF_NSA_11use_defaultESK_EENS0_5tupleIJSF_NSA_16discard_iteratorISK_EEEEENSM_IJSG_SG_EEES6_PlJS6_EEE10hipError_tPvRmT3_T4_T5_T6_T7_T9_mT8_P12ihipStream_tbDpT10_ENKUlT_T0_E_clISt17integral_constantIbLb1EES1A_IbLb0EEEEDaS16_S17_EUlS16_E_NS1_11comp_targetILNS1_3genE0ELNS1_11target_archE4294967295ELNS1_3gpuE0ELNS1_3repE0EEENS1_30default_config_static_selectorELNS0_4arch9wavefront6targetE1EEEvT1_,"axG",@progbits,_ZN7rocprim17ROCPRIM_400000_NS6detail17trampoline_kernelINS0_14default_configENS1_25partition_config_selectorILNS1_17partition_subalgoE1EsNS0_10empty_typeEbEEZZNS1_14partition_implILS5_1ELb0ES3_jN6thrust23THRUST_200600_302600_NS6detail15normal_iteratorINSA_10device_ptrIsEEEEPS6_NSA_18transform_iteratorI7is_evenIsESF_NSA_11use_defaultESK_EENS0_5tupleIJSF_NSA_16discard_iteratorISK_EEEEENSM_IJSG_SG_EEES6_PlJS6_EEE10hipError_tPvRmT3_T4_T5_T6_T7_T9_mT8_P12ihipStream_tbDpT10_ENKUlT_T0_E_clISt17integral_constantIbLb1EES1A_IbLb0EEEEDaS16_S17_EUlS16_E_NS1_11comp_targetILNS1_3genE0ELNS1_11target_archE4294967295ELNS1_3gpuE0ELNS1_3repE0EEENS1_30default_config_static_selectorELNS0_4arch9wavefront6targetE1EEEvT1_,comdat
	.protected	_ZN7rocprim17ROCPRIM_400000_NS6detail17trampoline_kernelINS0_14default_configENS1_25partition_config_selectorILNS1_17partition_subalgoE1EsNS0_10empty_typeEbEEZZNS1_14partition_implILS5_1ELb0ES3_jN6thrust23THRUST_200600_302600_NS6detail15normal_iteratorINSA_10device_ptrIsEEEEPS6_NSA_18transform_iteratorI7is_evenIsESF_NSA_11use_defaultESK_EENS0_5tupleIJSF_NSA_16discard_iteratorISK_EEEEENSM_IJSG_SG_EEES6_PlJS6_EEE10hipError_tPvRmT3_T4_T5_T6_T7_T9_mT8_P12ihipStream_tbDpT10_ENKUlT_T0_E_clISt17integral_constantIbLb1EES1A_IbLb0EEEEDaS16_S17_EUlS16_E_NS1_11comp_targetILNS1_3genE0ELNS1_11target_archE4294967295ELNS1_3gpuE0ELNS1_3repE0EEENS1_30default_config_static_selectorELNS0_4arch9wavefront6targetE1EEEvT1_ ; -- Begin function _ZN7rocprim17ROCPRIM_400000_NS6detail17trampoline_kernelINS0_14default_configENS1_25partition_config_selectorILNS1_17partition_subalgoE1EsNS0_10empty_typeEbEEZZNS1_14partition_implILS5_1ELb0ES3_jN6thrust23THRUST_200600_302600_NS6detail15normal_iteratorINSA_10device_ptrIsEEEEPS6_NSA_18transform_iteratorI7is_evenIsESF_NSA_11use_defaultESK_EENS0_5tupleIJSF_NSA_16discard_iteratorISK_EEEEENSM_IJSG_SG_EEES6_PlJS6_EEE10hipError_tPvRmT3_T4_T5_T6_T7_T9_mT8_P12ihipStream_tbDpT10_ENKUlT_T0_E_clISt17integral_constantIbLb1EES1A_IbLb0EEEEDaS16_S17_EUlS16_E_NS1_11comp_targetILNS1_3genE0ELNS1_11target_archE4294967295ELNS1_3gpuE0ELNS1_3repE0EEENS1_30default_config_static_selectorELNS0_4arch9wavefront6targetE1EEEvT1_
	.globl	_ZN7rocprim17ROCPRIM_400000_NS6detail17trampoline_kernelINS0_14default_configENS1_25partition_config_selectorILNS1_17partition_subalgoE1EsNS0_10empty_typeEbEEZZNS1_14partition_implILS5_1ELb0ES3_jN6thrust23THRUST_200600_302600_NS6detail15normal_iteratorINSA_10device_ptrIsEEEEPS6_NSA_18transform_iteratorI7is_evenIsESF_NSA_11use_defaultESK_EENS0_5tupleIJSF_NSA_16discard_iteratorISK_EEEEENSM_IJSG_SG_EEES6_PlJS6_EEE10hipError_tPvRmT3_T4_T5_T6_T7_T9_mT8_P12ihipStream_tbDpT10_ENKUlT_T0_E_clISt17integral_constantIbLb1EES1A_IbLb0EEEEDaS16_S17_EUlS16_E_NS1_11comp_targetILNS1_3genE0ELNS1_11target_archE4294967295ELNS1_3gpuE0ELNS1_3repE0EEENS1_30default_config_static_selectorELNS0_4arch9wavefront6targetE1EEEvT1_
	.p2align	8
	.type	_ZN7rocprim17ROCPRIM_400000_NS6detail17trampoline_kernelINS0_14default_configENS1_25partition_config_selectorILNS1_17partition_subalgoE1EsNS0_10empty_typeEbEEZZNS1_14partition_implILS5_1ELb0ES3_jN6thrust23THRUST_200600_302600_NS6detail15normal_iteratorINSA_10device_ptrIsEEEEPS6_NSA_18transform_iteratorI7is_evenIsESF_NSA_11use_defaultESK_EENS0_5tupleIJSF_NSA_16discard_iteratorISK_EEEEENSM_IJSG_SG_EEES6_PlJS6_EEE10hipError_tPvRmT3_T4_T5_T6_T7_T9_mT8_P12ihipStream_tbDpT10_ENKUlT_T0_E_clISt17integral_constantIbLb1EES1A_IbLb0EEEEDaS16_S17_EUlS16_E_NS1_11comp_targetILNS1_3genE0ELNS1_11target_archE4294967295ELNS1_3gpuE0ELNS1_3repE0EEENS1_30default_config_static_selectorELNS0_4arch9wavefront6targetE1EEEvT1_,@function
_ZN7rocprim17ROCPRIM_400000_NS6detail17trampoline_kernelINS0_14default_configENS1_25partition_config_selectorILNS1_17partition_subalgoE1EsNS0_10empty_typeEbEEZZNS1_14partition_implILS5_1ELb0ES3_jN6thrust23THRUST_200600_302600_NS6detail15normal_iteratorINSA_10device_ptrIsEEEEPS6_NSA_18transform_iteratorI7is_evenIsESF_NSA_11use_defaultESK_EENS0_5tupleIJSF_NSA_16discard_iteratorISK_EEEEENSM_IJSG_SG_EEES6_PlJS6_EEE10hipError_tPvRmT3_T4_T5_T6_T7_T9_mT8_P12ihipStream_tbDpT10_ENKUlT_T0_E_clISt17integral_constantIbLb1EES1A_IbLb0EEEEDaS16_S17_EUlS16_E_NS1_11comp_targetILNS1_3genE0ELNS1_11target_archE4294967295ELNS1_3gpuE0ELNS1_3repE0EEENS1_30default_config_static_selectorELNS0_4arch9wavefront6targetE1EEEvT1_: ; @_ZN7rocprim17ROCPRIM_400000_NS6detail17trampoline_kernelINS0_14default_configENS1_25partition_config_selectorILNS1_17partition_subalgoE1EsNS0_10empty_typeEbEEZZNS1_14partition_implILS5_1ELb0ES3_jN6thrust23THRUST_200600_302600_NS6detail15normal_iteratorINSA_10device_ptrIsEEEEPS6_NSA_18transform_iteratorI7is_evenIsESF_NSA_11use_defaultESK_EENS0_5tupleIJSF_NSA_16discard_iteratorISK_EEEEENSM_IJSG_SG_EEES6_PlJS6_EEE10hipError_tPvRmT3_T4_T5_T6_T7_T9_mT8_P12ihipStream_tbDpT10_ENKUlT_T0_E_clISt17integral_constantIbLb1EES1A_IbLb0EEEEDaS16_S17_EUlS16_E_NS1_11comp_targetILNS1_3genE0ELNS1_11target_archE4294967295ELNS1_3gpuE0ELNS1_3repE0EEENS1_30default_config_static_selectorELNS0_4arch9wavefront6targetE1EEEvT1_
; %bb.0:
	.section	.rodata,"a",@progbits
	.p2align	6, 0x0
	.amdhsa_kernel _ZN7rocprim17ROCPRIM_400000_NS6detail17trampoline_kernelINS0_14default_configENS1_25partition_config_selectorILNS1_17partition_subalgoE1EsNS0_10empty_typeEbEEZZNS1_14partition_implILS5_1ELb0ES3_jN6thrust23THRUST_200600_302600_NS6detail15normal_iteratorINSA_10device_ptrIsEEEEPS6_NSA_18transform_iteratorI7is_evenIsESF_NSA_11use_defaultESK_EENS0_5tupleIJSF_NSA_16discard_iteratorISK_EEEEENSM_IJSG_SG_EEES6_PlJS6_EEE10hipError_tPvRmT3_T4_T5_T6_T7_T9_mT8_P12ihipStream_tbDpT10_ENKUlT_T0_E_clISt17integral_constantIbLb1EES1A_IbLb0EEEEDaS16_S17_EUlS16_E_NS1_11comp_targetILNS1_3genE0ELNS1_11target_archE4294967295ELNS1_3gpuE0ELNS1_3repE0EEENS1_30default_config_static_selectorELNS0_4arch9wavefront6targetE1EEEvT1_
		.amdhsa_group_segment_fixed_size 0
		.amdhsa_private_segment_fixed_size 0
		.amdhsa_kernarg_size 136
		.amdhsa_user_sgpr_count 2
		.amdhsa_user_sgpr_dispatch_ptr 0
		.amdhsa_user_sgpr_queue_ptr 0
		.amdhsa_user_sgpr_kernarg_segment_ptr 1
		.amdhsa_user_sgpr_dispatch_id 0
		.amdhsa_user_sgpr_kernarg_preload_length 0
		.amdhsa_user_sgpr_kernarg_preload_offset 0
		.amdhsa_user_sgpr_private_segment_size 0
		.amdhsa_uses_dynamic_stack 0
		.amdhsa_enable_private_segment 0
		.amdhsa_system_sgpr_workgroup_id_x 1
		.amdhsa_system_sgpr_workgroup_id_y 0
		.amdhsa_system_sgpr_workgroup_id_z 0
		.amdhsa_system_sgpr_workgroup_info 0
		.amdhsa_system_vgpr_workitem_id 0
		.amdhsa_next_free_vgpr 1
		.amdhsa_next_free_sgpr 0
		.amdhsa_accum_offset 4
		.amdhsa_reserve_vcc 0
		.amdhsa_float_round_mode_32 0
		.amdhsa_float_round_mode_16_64 0
		.amdhsa_float_denorm_mode_32 3
		.amdhsa_float_denorm_mode_16_64 3
		.amdhsa_dx10_clamp 1
		.amdhsa_ieee_mode 1
		.amdhsa_fp16_overflow 0
		.amdhsa_tg_split 0
		.amdhsa_exception_fp_ieee_invalid_op 0
		.amdhsa_exception_fp_denorm_src 0
		.amdhsa_exception_fp_ieee_div_zero 0
		.amdhsa_exception_fp_ieee_overflow 0
		.amdhsa_exception_fp_ieee_underflow 0
		.amdhsa_exception_fp_ieee_inexact 0
		.amdhsa_exception_int_div_zero 0
	.end_amdhsa_kernel
	.section	.text._ZN7rocprim17ROCPRIM_400000_NS6detail17trampoline_kernelINS0_14default_configENS1_25partition_config_selectorILNS1_17partition_subalgoE1EsNS0_10empty_typeEbEEZZNS1_14partition_implILS5_1ELb0ES3_jN6thrust23THRUST_200600_302600_NS6detail15normal_iteratorINSA_10device_ptrIsEEEEPS6_NSA_18transform_iteratorI7is_evenIsESF_NSA_11use_defaultESK_EENS0_5tupleIJSF_NSA_16discard_iteratorISK_EEEEENSM_IJSG_SG_EEES6_PlJS6_EEE10hipError_tPvRmT3_T4_T5_T6_T7_T9_mT8_P12ihipStream_tbDpT10_ENKUlT_T0_E_clISt17integral_constantIbLb1EES1A_IbLb0EEEEDaS16_S17_EUlS16_E_NS1_11comp_targetILNS1_3genE0ELNS1_11target_archE4294967295ELNS1_3gpuE0ELNS1_3repE0EEENS1_30default_config_static_selectorELNS0_4arch9wavefront6targetE1EEEvT1_,"axG",@progbits,_ZN7rocprim17ROCPRIM_400000_NS6detail17trampoline_kernelINS0_14default_configENS1_25partition_config_selectorILNS1_17partition_subalgoE1EsNS0_10empty_typeEbEEZZNS1_14partition_implILS5_1ELb0ES3_jN6thrust23THRUST_200600_302600_NS6detail15normal_iteratorINSA_10device_ptrIsEEEEPS6_NSA_18transform_iteratorI7is_evenIsESF_NSA_11use_defaultESK_EENS0_5tupleIJSF_NSA_16discard_iteratorISK_EEEEENSM_IJSG_SG_EEES6_PlJS6_EEE10hipError_tPvRmT3_T4_T5_T6_T7_T9_mT8_P12ihipStream_tbDpT10_ENKUlT_T0_E_clISt17integral_constantIbLb1EES1A_IbLb0EEEEDaS16_S17_EUlS16_E_NS1_11comp_targetILNS1_3genE0ELNS1_11target_archE4294967295ELNS1_3gpuE0ELNS1_3repE0EEENS1_30default_config_static_selectorELNS0_4arch9wavefront6targetE1EEEvT1_,comdat
.Lfunc_end3403:
	.size	_ZN7rocprim17ROCPRIM_400000_NS6detail17trampoline_kernelINS0_14default_configENS1_25partition_config_selectorILNS1_17partition_subalgoE1EsNS0_10empty_typeEbEEZZNS1_14partition_implILS5_1ELb0ES3_jN6thrust23THRUST_200600_302600_NS6detail15normal_iteratorINSA_10device_ptrIsEEEEPS6_NSA_18transform_iteratorI7is_evenIsESF_NSA_11use_defaultESK_EENS0_5tupleIJSF_NSA_16discard_iteratorISK_EEEEENSM_IJSG_SG_EEES6_PlJS6_EEE10hipError_tPvRmT3_T4_T5_T6_T7_T9_mT8_P12ihipStream_tbDpT10_ENKUlT_T0_E_clISt17integral_constantIbLb1EES1A_IbLb0EEEEDaS16_S17_EUlS16_E_NS1_11comp_targetILNS1_3genE0ELNS1_11target_archE4294967295ELNS1_3gpuE0ELNS1_3repE0EEENS1_30default_config_static_selectorELNS0_4arch9wavefront6targetE1EEEvT1_, .Lfunc_end3403-_ZN7rocprim17ROCPRIM_400000_NS6detail17trampoline_kernelINS0_14default_configENS1_25partition_config_selectorILNS1_17partition_subalgoE1EsNS0_10empty_typeEbEEZZNS1_14partition_implILS5_1ELb0ES3_jN6thrust23THRUST_200600_302600_NS6detail15normal_iteratorINSA_10device_ptrIsEEEEPS6_NSA_18transform_iteratorI7is_evenIsESF_NSA_11use_defaultESK_EENS0_5tupleIJSF_NSA_16discard_iteratorISK_EEEEENSM_IJSG_SG_EEES6_PlJS6_EEE10hipError_tPvRmT3_T4_T5_T6_T7_T9_mT8_P12ihipStream_tbDpT10_ENKUlT_T0_E_clISt17integral_constantIbLb1EES1A_IbLb0EEEEDaS16_S17_EUlS16_E_NS1_11comp_targetILNS1_3genE0ELNS1_11target_archE4294967295ELNS1_3gpuE0ELNS1_3repE0EEENS1_30default_config_static_selectorELNS0_4arch9wavefront6targetE1EEEvT1_
                                        ; -- End function
	.section	.AMDGPU.csdata,"",@progbits
; Kernel info:
; codeLenInByte = 0
; NumSgprs: 6
; NumVgprs: 0
; NumAgprs: 0
; TotalNumVgprs: 0
; ScratchSize: 0
; MemoryBound: 0
; FloatMode: 240
; IeeeMode: 1
; LDSByteSize: 0 bytes/workgroup (compile time only)
; SGPRBlocks: 0
; VGPRBlocks: 0
; NumSGPRsForWavesPerEU: 6
; NumVGPRsForWavesPerEU: 1
; AccumOffset: 4
; Occupancy: 8
; WaveLimiterHint : 0
; COMPUTE_PGM_RSRC2:SCRATCH_EN: 0
; COMPUTE_PGM_RSRC2:USER_SGPR: 2
; COMPUTE_PGM_RSRC2:TRAP_HANDLER: 0
; COMPUTE_PGM_RSRC2:TGID_X_EN: 1
; COMPUTE_PGM_RSRC2:TGID_Y_EN: 0
; COMPUTE_PGM_RSRC2:TGID_Z_EN: 0
; COMPUTE_PGM_RSRC2:TIDIG_COMP_CNT: 0
; COMPUTE_PGM_RSRC3_GFX90A:ACCUM_OFFSET: 0
; COMPUTE_PGM_RSRC3_GFX90A:TG_SPLIT: 0
	.section	.text._ZN7rocprim17ROCPRIM_400000_NS6detail17trampoline_kernelINS0_14default_configENS1_25partition_config_selectorILNS1_17partition_subalgoE1EsNS0_10empty_typeEbEEZZNS1_14partition_implILS5_1ELb0ES3_jN6thrust23THRUST_200600_302600_NS6detail15normal_iteratorINSA_10device_ptrIsEEEEPS6_NSA_18transform_iteratorI7is_evenIsESF_NSA_11use_defaultESK_EENS0_5tupleIJSF_NSA_16discard_iteratorISK_EEEEENSM_IJSG_SG_EEES6_PlJS6_EEE10hipError_tPvRmT3_T4_T5_T6_T7_T9_mT8_P12ihipStream_tbDpT10_ENKUlT_T0_E_clISt17integral_constantIbLb1EES1A_IbLb0EEEEDaS16_S17_EUlS16_E_NS1_11comp_targetILNS1_3genE5ELNS1_11target_archE942ELNS1_3gpuE9ELNS1_3repE0EEENS1_30default_config_static_selectorELNS0_4arch9wavefront6targetE1EEEvT1_,"axG",@progbits,_ZN7rocprim17ROCPRIM_400000_NS6detail17trampoline_kernelINS0_14default_configENS1_25partition_config_selectorILNS1_17partition_subalgoE1EsNS0_10empty_typeEbEEZZNS1_14partition_implILS5_1ELb0ES3_jN6thrust23THRUST_200600_302600_NS6detail15normal_iteratorINSA_10device_ptrIsEEEEPS6_NSA_18transform_iteratorI7is_evenIsESF_NSA_11use_defaultESK_EENS0_5tupleIJSF_NSA_16discard_iteratorISK_EEEEENSM_IJSG_SG_EEES6_PlJS6_EEE10hipError_tPvRmT3_T4_T5_T6_T7_T9_mT8_P12ihipStream_tbDpT10_ENKUlT_T0_E_clISt17integral_constantIbLb1EES1A_IbLb0EEEEDaS16_S17_EUlS16_E_NS1_11comp_targetILNS1_3genE5ELNS1_11target_archE942ELNS1_3gpuE9ELNS1_3repE0EEENS1_30default_config_static_selectorELNS0_4arch9wavefront6targetE1EEEvT1_,comdat
	.protected	_ZN7rocprim17ROCPRIM_400000_NS6detail17trampoline_kernelINS0_14default_configENS1_25partition_config_selectorILNS1_17partition_subalgoE1EsNS0_10empty_typeEbEEZZNS1_14partition_implILS5_1ELb0ES3_jN6thrust23THRUST_200600_302600_NS6detail15normal_iteratorINSA_10device_ptrIsEEEEPS6_NSA_18transform_iteratorI7is_evenIsESF_NSA_11use_defaultESK_EENS0_5tupleIJSF_NSA_16discard_iteratorISK_EEEEENSM_IJSG_SG_EEES6_PlJS6_EEE10hipError_tPvRmT3_T4_T5_T6_T7_T9_mT8_P12ihipStream_tbDpT10_ENKUlT_T0_E_clISt17integral_constantIbLb1EES1A_IbLb0EEEEDaS16_S17_EUlS16_E_NS1_11comp_targetILNS1_3genE5ELNS1_11target_archE942ELNS1_3gpuE9ELNS1_3repE0EEENS1_30default_config_static_selectorELNS0_4arch9wavefront6targetE1EEEvT1_ ; -- Begin function _ZN7rocprim17ROCPRIM_400000_NS6detail17trampoline_kernelINS0_14default_configENS1_25partition_config_selectorILNS1_17partition_subalgoE1EsNS0_10empty_typeEbEEZZNS1_14partition_implILS5_1ELb0ES3_jN6thrust23THRUST_200600_302600_NS6detail15normal_iteratorINSA_10device_ptrIsEEEEPS6_NSA_18transform_iteratorI7is_evenIsESF_NSA_11use_defaultESK_EENS0_5tupleIJSF_NSA_16discard_iteratorISK_EEEEENSM_IJSG_SG_EEES6_PlJS6_EEE10hipError_tPvRmT3_T4_T5_T6_T7_T9_mT8_P12ihipStream_tbDpT10_ENKUlT_T0_E_clISt17integral_constantIbLb1EES1A_IbLb0EEEEDaS16_S17_EUlS16_E_NS1_11comp_targetILNS1_3genE5ELNS1_11target_archE942ELNS1_3gpuE9ELNS1_3repE0EEENS1_30default_config_static_selectorELNS0_4arch9wavefront6targetE1EEEvT1_
	.globl	_ZN7rocprim17ROCPRIM_400000_NS6detail17trampoline_kernelINS0_14default_configENS1_25partition_config_selectorILNS1_17partition_subalgoE1EsNS0_10empty_typeEbEEZZNS1_14partition_implILS5_1ELb0ES3_jN6thrust23THRUST_200600_302600_NS6detail15normal_iteratorINSA_10device_ptrIsEEEEPS6_NSA_18transform_iteratorI7is_evenIsESF_NSA_11use_defaultESK_EENS0_5tupleIJSF_NSA_16discard_iteratorISK_EEEEENSM_IJSG_SG_EEES6_PlJS6_EEE10hipError_tPvRmT3_T4_T5_T6_T7_T9_mT8_P12ihipStream_tbDpT10_ENKUlT_T0_E_clISt17integral_constantIbLb1EES1A_IbLb0EEEEDaS16_S17_EUlS16_E_NS1_11comp_targetILNS1_3genE5ELNS1_11target_archE942ELNS1_3gpuE9ELNS1_3repE0EEENS1_30default_config_static_selectorELNS0_4arch9wavefront6targetE1EEEvT1_
	.p2align	8
	.type	_ZN7rocprim17ROCPRIM_400000_NS6detail17trampoline_kernelINS0_14default_configENS1_25partition_config_selectorILNS1_17partition_subalgoE1EsNS0_10empty_typeEbEEZZNS1_14partition_implILS5_1ELb0ES3_jN6thrust23THRUST_200600_302600_NS6detail15normal_iteratorINSA_10device_ptrIsEEEEPS6_NSA_18transform_iteratorI7is_evenIsESF_NSA_11use_defaultESK_EENS0_5tupleIJSF_NSA_16discard_iteratorISK_EEEEENSM_IJSG_SG_EEES6_PlJS6_EEE10hipError_tPvRmT3_T4_T5_T6_T7_T9_mT8_P12ihipStream_tbDpT10_ENKUlT_T0_E_clISt17integral_constantIbLb1EES1A_IbLb0EEEEDaS16_S17_EUlS16_E_NS1_11comp_targetILNS1_3genE5ELNS1_11target_archE942ELNS1_3gpuE9ELNS1_3repE0EEENS1_30default_config_static_selectorELNS0_4arch9wavefront6targetE1EEEvT1_,@function
_ZN7rocprim17ROCPRIM_400000_NS6detail17trampoline_kernelINS0_14default_configENS1_25partition_config_selectorILNS1_17partition_subalgoE1EsNS0_10empty_typeEbEEZZNS1_14partition_implILS5_1ELb0ES3_jN6thrust23THRUST_200600_302600_NS6detail15normal_iteratorINSA_10device_ptrIsEEEEPS6_NSA_18transform_iteratorI7is_evenIsESF_NSA_11use_defaultESK_EENS0_5tupleIJSF_NSA_16discard_iteratorISK_EEEEENSM_IJSG_SG_EEES6_PlJS6_EEE10hipError_tPvRmT3_T4_T5_T6_T7_T9_mT8_P12ihipStream_tbDpT10_ENKUlT_T0_E_clISt17integral_constantIbLb1EES1A_IbLb0EEEEDaS16_S17_EUlS16_E_NS1_11comp_targetILNS1_3genE5ELNS1_11target_archE942ELNS1_3gpuE9ELNS1_3repE0EEENS1_30default_config_static_selectorELNS0_4arch9wavefront6targetE1EEEvT1_: ; @_ZN7rocprim17ROCPRIM_400000_NS6detail17trampoline_kernelINS0_14default_configENS1_25partition_config_selectorILNS1_17partition_subalgoE1EsNS0_10empty_typeEbEEZZNS1_14partition_implILS5_1ELb0ES3_jN6thrust23THRUST_200600_302600_NS6detail15normal_iteratorINSA_10device_ptrIsEEEEPS6_NSA_18transform_iteratorI7is_evenIsESF_NSA_11use_defaultESK_EENS0_5tupleIJSF_NSA_16discard_iteratorISK_EEEEENSM_IJSG_SG_EEES6_PlJS6_EEE10hipError_tPvRmT3_T4_T5_T6_T7_T9_mT8_P12ihipStream_tbDpT10_ENKUlT_T0_E_clISt17integral_constantIbLb1EES1A_IbLb0EEEEDaS16_S17_EUlS16_E_NS1_11comp_targetILNS1_3genE5ELNS1_11target_archE942ELNS1_3gpuE9ELNS1_3repE0EEENS1_30default_config_static_selectorELNS0_4arch9wavefront6targetE1EEEvT1_
; %bb.0:
	s_load_dwordx2 s[4:5], s[0:1], 0x68
	s_load_dwordx4 s[12:15], s[0:1], 0x8
	s_load_dwordx2 s[6:7], s[0:1], 0x20
	s_load_dwordx4 s[20:23], s[0:1], 0x58
	s_load_dword s3, s[0:1], 0x80
	s_waitcnt lgkmcnt(0)
	v_mov_b32_e32 v3, s5
	s_lshl_b64 s[8:9], s[14:15], 1
	s_add_u32 s12, s12, s8
	s_addc_u32 s13, s13, s9
	s_add_i32 s16, s3, -1
	s_mulk_i32 s3, 0x3800
	s_add_i32 s5, s3, s14
	s_sub_i32 s33, s4, s5
	s_addk_i32 s33, 0x3800
	v_mov_b32_e32 v2, s4
	s_add_u32 s4, s14, s3
	s_addc_u32 s5, s15, 0
	s_cmp_eq_u32 s2, s16
	s_load_dwordx2 s[22:23], s[22:23], 0x0
	s_cselect_b64 s[24:25], -1, 0
	s_cmp_lg_u32 s2, s16
	s_mul_i32 s10, s2, 0x3800
	s_mov_b32 s11, 0
	v_cmp_lt_u64_e32 vcc, s[4:5], v[2:3]
	s_cselect_b64 s[4:5], -1, 0
	s_or_b64 s[26:27], s[4:5], vcc
	s_lshl_b64 s[10:11], s[10:11], 1
	s_add_u32 s12, s12, s10
	s_addc_u32 s13, s13, s11
	s_mov_b64 s[4:5], -1
	s_and_b64 vcc, exec, s[26:27]
	v_lshlrev_b32_e32 v14, 1, v0
	s_cbranch_vccz .LBB3404_2
; %bb.1:
	v_mov_b32_e32 v15, 0
	v_lshl_add_u64 v[2:3], s[12:13], 0, v[14:15]
	v_add_co_u32_e32 v4, vcc, 0x1000, v2
	s_mov_b64 s[4:5], 0
	s_nop 0
	v_addc_co_u32_e32 v5, vcc, 0, v3, vcc
	flat_load_ushort v1, v[2:3]
	flat_load_ushort v8, v[2:3] offset:1024
	flat_load_ushort v9, v[2:3] offset:2048
	;; [unrolled: 1-line block ×3, first 2 shown]
	flat_load_ushort v11, v[4:5]
	flat_load_ushort v12, v[4:5] offset:1024
	flat_load_ushort v13, v[4:5] offset:2048
	;; [unrolled: 1-line block ×3, first 2 shown]
	v_add_co_u32_e32 v4, vcc, 0x2000, v2
	s_nop 1
	v_addc_co_u32_e32 v5, vcc, 0, v3, vcc
	v_add_co_u32_e32 v6, vcc, 0x3000, v2
	s_nop 1
	v_addc_co_u32_e32 v7, vcc, 0, v3, vcc
	flat_load_ushort v16, v[4:5]
	flat_load_ushort v17, v[4:5] offset:1024
	flat_load_ushort v18, v[4:5] offset:2048
	;; [unrolled: 1-line block ×3, first 2 shown]
	flat_load_ushort v20, v[6:7]
	flat_load_ushort v21, v[6:7] offset:1024
	flat_load_ushort v22, v[6:7] offset:2048
	;; [unrolled: 1-line block ×3, first 2 shown]
	v_add_co_u32_e32 v4, vcc, 0x4000, v2
	s_nop 1
	v_addc_co_u32_e32 v5, vcc, 0, v3, vcc
	v_add_co_u32_e32 v6, vcc, 0x5000, v2
	s_nop 1
	v_addc_co_u32_e32 v7, vcc, 0, v3, vcc
	v_add_co_u32_e32 v2, vcc, 0x6000, v2
	flat_load_ushort v24, v[4:5]
	flat_load_ushort v25, v[4:5] offset:1024
	flat_load_ushort v26, v[4:5] offset:2048
	;; [unrolled: 1-line block ×3, first 2 shown]
	flat_load_ushort v28, v[6:7]
	flat_load_ushort v29, v[6:7] offset:1024
	flat_load_ushort v30, v[6:7] offset:2048
	;; [unrolled: 1-line block ×3, first 2 shown]
	v_addc_co_u32_e32 v3, vcc, 0, v3, vcc
	flat_load_ushort v4, v[2:3]
	flat_load_ushort v5, v[2:3] offset:1024
	flat_load_ushort v6, v[2:3] offset:2048
	;; [unrolled: 1-line block ×3, first 2 shown]
	s_waitcnt vmcnt(0) lgkmcnt(0)
	ds_write_b16 v14, v1
	ds_write_b16 v14, v8 offset:1024
	ds_write_b16 v14, v9 offset:2048
	;; [unrolled: 1-line block ×27, first 2 shown]
	s_waitcnt lgkmcnt(0)
	s_barrier
.LBB3404_2:
	s_andn2_b64 vcc, exec, s[4:5]
	v_cmp_gt_u32_e64 s[4:5], s33, v0
	s_cbranch_vccnz .LBB3404_60
; %bb.3:
                                        ; implicit-def: $vgpr1
	s_and_saveexec_b64 s[14:15], s[4:5]
	s_cbranch_execz .LBB3404_5
; %bb.4:
	v_mov_b32_e32 v15, 0
	v_lshl_add_u64 v[2:3], s[12:13], 0, v[14:15]
	flat_load_ushort v1, v[2:3]
.LBB3404_5:
	s_or_b64 exec, exec, s[14:15]
	v_or_b32_e32 v2, 0x200, v0
	v_cmp_gt_u32_e32 vcc, s33, v2
                                        ; implicit-def: $vgpr2
	s_and_saveexec_b64 s[4:5], vcc
	s_cbranch_execz .LBB3404_7
; %bb.6:
	v_mov_b32_e32 v15, 0
	v_lshl_add_u64 v[2:3], s[12:13], 0, v[14:15]
	flat_load_ushort v2, v[2:3] offset:1024
.LBB3404_7:
	s_or_b64 exec, exec, s[4:5]
	v_or_b32_e32 v3, 0x400, v0
	v_cmp_gt_u32_e32 vcc, s33, v3
                                        ; implicit-def: $vgpr3
	s_and_saveexec_b64 s[4:5], vcc
	s_cbranch_execz .LBB3404_9
; %bb.8:
	v_mov_b32_e32 v15, 0
	v_lshl_add_u64 v[4:5], s[12:13], 0, v[14:15]
	flat_load_ushort v3, v[4:5] offset:2048
.LBB3404_9:
	s_or_b64 exec, exec, s[4:5]
	v_or_b32_e32 v4, 0x600, v0
	v_cmp_gt_u32_e32 vcc, s33, v4
                                        ; implicit-def: $vgpr4
	s_and_saveexec_b64 s[4:5], vcc
	s_cbranch_execz .LBB3404_11
; %bb.10:
	v_mov_b32_e32 v15, 0
	v_lshl_add_u64 v[4:5], s[12:13], 0, v[14:15]
	flat_load_ushort v4, v[4:5] offset:3072
.LBB3404_11:
	s_or_b64 exec, exec, s[4:5]
	v_or_b32_e32 v6, 0x800, v0
	v_cmp_gt_u32_e32 vcc, s33, v6
                                        ; implicit-def: $vgpr5
	s_and_saveexec_b64 s[4:5], vcc
	s_cbranch_execz .LBB3404_13
; %bb.12:
	v_lshlrev_b32_e32 v6, 1, v6
	v_mov_b32_e32 v7, 0
	v_lshl_add_u64 v[6:7], s[12:13], 0, v[6:7]
	flat_load_ushort v5, v[6:7]
.LBB3404_13:
	s_or_b64 exec, exec, s[4:5]
	v_or_b32_e32 v7, 0xa00, v0
	v_cmp_gt_u32_e32 vcc, s33, v7
                                        ; implicit-def: $vgpr6
	s_and_saveexec_b64 s[4:5], vcc
	s_cbranch_execz .LBB3404_15
; %bb.14:
	v_lshlrev_b32_e32 v6, 1, v7
	v_mov_b32_e32 v7, 0
	v_lshl_add_u64 v[6:7], s[12:13], 0, v[6:7]
	flat_load_ushort v6, v[6:7]
.LBB3404_15:
	s_or_b64 exec, exec, s[4:5]
	v_or_b32_e32 v8, 0xc00, v0
	v_cmp_gt_u32_e32 vcc, s33, v8
                                        ; implicit-def: $vgpr7
	s_and_saveexec_b64 s[4:5], vcc
	s_cbranch_execz .LBB3404_17
; %bb.16:
	v_lshlrev_b32_e32 v8, 1, v8
	v_mov_b32_e32 v9, 0
	v_lshl_add_u64 v[8:9], s[12:13], 0, v[8:9]
	flat_load_ushort v7, v[8:9]
.LBB3404_17:
	s_or_b64 exec, exec, s[4:5]
	v_or_b32_e32 v9, 0xe00, v0
	v_cmp_gt_u32_e32 vcc, s33, v9
                                        ; implicit-def: $vgpr8
	s_and_saveexec_b64 s[4:5], vcc
	s_cbranch_execz .LBB3404_19
; %bb.18:
	v_lshlrev_b32_e32 v8, 1, v9
	v_mov_b32_e32 v9, 0
	v_lshl_add_u64 v[8:9], s[12:13], 0, v[8:9]
	flat_load_ushort v8, v[8:9]
.LBB3404_19:
	s_or_b64 exec, exec, s[4:5]
	v_or_b32_e32 v10, 0x1000, v0
	v_cmp_gt_u32_e32 vcc, s33, v10
                                        ; implicit-def: $vgpr9
	s_and_saveexec_b64 s[4:5], vcc
	s_cbranch_execz .LBB3404_21
; %bb.20:
	v_lshlrev_b32_e32 v10, 1, v10
	v_mov_b32_e32 v11, 0
	v_lshl_add_u64 v[10:11], s[12:13], 0, v[10:11]
	flat_load_ushort v9, v[10:11]
.LBB3404_21:
	s_or_b64 exec, exec, s[4:5]
	v_or_b32_e32 v11, 0x1200, v0
	v_cmp_gt_u32_e32 vcc, s33, v11
                                        ; implicit-def: $vgpr10
	s_and_saveexec_b64 s[4:5], vcc
	s_cbranch_execz .LBB3404_23
; %bb.22:
	v_lshlrev_b32_e32 v10, 1, v11
	v_mov_b32_e32 v11, 0
	v_lshl_add_u64 v[10:11], s[12:13], 0, v[10:11]
	flat_load_ushort v10, v[10:11]
.LBB3404_23:
	s_or_b64 exec, exec, s[4:5]
	v_or_b32_e32 v12, 0x1400, v0
	v_cmp_gt_u32_e32 vcc, s33, v12
                                        ; implicit-def: $vgpr11
	s_and_saveexec_b64 s[4:5], vcc
	s_cbranch_execz .LBB3404_25
; %bb.24:
	v_lshlrev_b32_e32 v12, 1, v12
	v_mov_b32_e32 v13, 0
	v_lshl_add_u64 v[12:13], s[12:13], 0, v[12:13]
	flat_load_ushort v11, v[12:13]
.LBB3404_25:
	s_or_b64 exec, exec, s[4:5]
	v_or_b32_e32 v13, 0x1600, v0
	v_cmp_gt_u32_e32 vcc, s33, v13
                                        ; implicit-def: $vgpr12
	s_and_saveexec_b64 s[4:5], vcc
	s_cbranch_execz .LBB3404_27
; %bb.26:
	v_lshlrev_b32_e32 v12, 1, v13
	v_mov_b32_e32 v13, 0
	v_lshl_add_u64 v[12:13], s[12:13], 0, v[12:13]
	flat_load_ushort v12, v[12:13]
.LBB3404_27:
	s_or_b64 exec, exec, s[4:5]
	v_or_b32_e32 v15, 0x1800, v0
	v_cmp_gt_u32_e32 vcc, s33, v15
                                        ; implicit-def: $vgpr13
	s_and_saveexec_b64 s[4:5], vcc
	s_cbranch_execz .LBB3404_29
; %bb.28:
	v_lshlrev_b32_e32 v16, 1, v15
	v_mov_b32_e32 v17, 0
	v_lshl_add_u64 v[16:17], s[12:13], 0, v[16:17]
	flat_load_ushort v13, v[16:17]
.LBB3404_29:
	s_or_b64 exec, exec, s[4:5]
	v_or_b32_e32 v16, 0x1a00, v0
	v_cmp_gt_u32_e32 vcc, s33, v16
                                        ; implicit-def: $vgpr15
	s_and_saveexec_b64 s[4:5], vcc
	s_cbranch_execz .LBB3404_31
; %bb.30:
	v_lshlrev_b32_e32 v16, 1, v16
	v_mov_b32_e32 v17, 0
	v_lshl_add_u64 v[16:17], s[12:13], 0, v[16:17]
	flat_load_ushort v15, v[16:17]
.LBB3404_31:
	s_or_b64 exec, exec, s[4:5]
	v_or_b32_e32 v17, 0x1c00, v0
	v_cmp_gt_u32_e32 vcc, s33, v17
                                        ; implicit-def: $vgpr16
	s_and_saveexec_b64 s[4:5], vcc
	s_cbranch_execz .LBB3404_33
; %bb.32:
	v_lshlrev_b32_e32 v16, 1, v17
	v_mov_b32_e32 v17, 0
	v_lshl_add_u64 v[16:17], s[12:13], 0, v[16:17]
	flat_load_ushort v16, v[16:17]
.LBB3404_33:
	s_or_b64 exec, exec, s[4:5]
	v_or_b32_e32 v18, 0x1e00, v0
	v_cmp_gt_u32_e32 vcc, s33, v18
                                        ; implicit-def: $vgpr17
	s_and_saveexec_b64 s[4:5], vcc
	s_cbranch_execz .LBB3404_35
; %bb.34:
	v_lshlrev_b32_e32 v18, 1, v18
	v_mov_b32_e32 v19, 0
	v_lshl_add_u64 v[18:19], s[12:13], 0, v[18:19]
	flat_load_ushort v17, v[18:19]
.LBB3404_35:
	s_or_b64 exec, exec, s[4:5]
	v_or_b32_e32 v19, 0x2000, v0
	v_cmp_gt_u32_e32 vcc, s33, v19
                                        ; implicit-def: $vgpr18
	s_and_saveexec_b64 s[4:5], vcc
	s_cbranch_execz .LBB3404_37
; %bb.36:
	v_lshlrev_b32_e32 v18, 1, v19
	v_mov_b32_e32 v19, 0
	v_lshl_add_u64 v[18:19], s[12:13], 0, v[18:19]
	flat_load_ushort v18, v[18:19]
.LBB3404_37:
	s_or_b64 exec, exec, s[4:5]
	v_or_b32_e32 v20, 0x2200, v0
	v_cmp_gt_u32_e32 vcc, s33, v20
                                        ; implicit-def: $vgpr19
	s_and_saveexec_b64 s[4:5], vcc
	s_cbranch_execz .LBB3404_39
; %bb.38:
	v_lshlrev_b32_e32 v20, 1, v20
	v_mov_b32_e32 v21, 0
	v_lshl_add_u64 v[20:21], s[12:13], 0, v[20:21]
	flat_load_ushort v19, v[20:21]
.LBB3404_39:
	s_or_b64 exec, exec, s[4:5]
	v_or_b32_e32 v21, 0x2400, v0
	v_cmp_gt_u32_e32 vcc, s33, v21
                                        ; implicit-def: $vgpr20
	s_and_saveexec_b64 s[4:5], vcc
	s_cbranch_execz .LBB3404_41
; %bb.40:
	v_lshlrev_b32_e32 v20, 1, v21
	v_mov_b32_e32 v21, 0
	v_lshl_add_u64 v[20:21], s[12:13], 0, v[20:21]
	flat_load_ushort v20, v[20:21]
.LBB3404_41:
	s_or_b64 exec, exec, s[4:5]
	v_or_b32_e32 v22, 0x2600, v0
	v_cmp_gt_u32_e32 vcc, s33, v22
                                        ; implicit-def: $vgpr21
	s_and_saveexec_b64 s[4:5], vcc
	s_cbranch_execz .LBB3404_43
; %bb.42:
	v_lshlrev_b32_e32 v22, 1, v22
	v_mov_b32_e32 v23, 0
	v_lshl_add_u64 v[22:23], s[12:13], 0, v[22:23]
	flat_load_ushort v21, v[22:23]
.LBB3404_43:
	s_or_b64 exec, exec, s[4:5]
	v_or_b32_e32 v23, 0x2800, v0
	v_cmp_gt_u32_e32 vcc, s33, v23
                                        ; implicit-def: $vgpr22
	s_and_saveexec_b64 s[4:5], vcc
	s_cbranch_execz .LBB3404_45
; %bb.44:
	v_lshlrev_b32_e32 v22, 1, v23
	v_mov_b32_e32 v23, 0
	v_lshl_add_u64 v[22:23], s[12:13], 0, v[22:23]
	flat_load_ushort v22, v[22:23]
.LBB3404_45:
	s_or_b64 exec, exec, s[4:5]
	v_or_b32_e32 v24, 0x2a00, v0
	v_cmp_gt_u32_e32 vcc, s33, v24
                                        ; implicit-def: $vgpr23
	s_and_saveexec_b64 s[4:5], vcc
	s_cbranch_execz .LBB3404_47
; %bb.46:
	v_lshlrev_b32_e32 v24, 1, v24
	v_mov_b32_e32 v25, 0
	v_lshl_add_u64 v[24:25], s[12:13], 0, v[24:25]
	flat_load_ushort v23, v[24:25]
.LBB3404_47:
	s_or_b64 exec, exec, s[4:5]
	v_or_b32_e32 v25, 0x2c00, v0
	v_cmp_gt_u32_e32 vcc, s33, v25
                                        ; implicit-def: $vgpr24
	s_and_saveexec_b64 s[4:5], vcc
	s_cbranch_execz .LBB3404_49
; %bb.48:
	v_lshlrev_b32_e32 v24, 1, v25
	v_mov_b32_e32 v25, 0
	v_lshl_add_u64 v[24:25], s[12:13], 0, v[24:25]
	flat_load_ushort v24, v[24:25]
.LBB3404_49:
	s_or_b64 exec, exec, s[4:5]
	v_or_b32_e32 v26, 0x2e00, v0
	v_cmp_gt_u32_e32 vcc, s33, v26
                                        ; implicit-def: $vgpr25
	s_and_saveexec_b64 s[4:5], vcc
	s_cbranch_execz .LBB3404_51
; %bb.50:
	v_lshlrev_b32_e32 v26, 1, v26
	v_mov_b32_e32 v27, 0
	v_lshl_add_u64 v[26:27], s[12:13], 0, v[26:27]
	flat_load_ushort v25, v[26:27]
.LBB3404_51:
	s_or_b64 exec, exec, s[4:5]
	v_or_b32_e32 v27, 0x3000, v0
	v_cmp_gt_u32_e32 vcc, s33, v27
                                        ; implicit-def: $vgpr26
	s_and_saveexec_b64 s[4:5], vcc
	s_cbranch_execz .LBB3404_53
; %bb.52:
	v_lshlrev_b32_e32 v26, 1, v27
	v_mov_b32_e32 v27, 0
	v_lshl_add_u64 v[26:27], s[12:13], 0, v[26:27]
	flat_load_ushort v26, v[26:27]
.LBB3404_53:
	s_or_b64 exec, exec, s[4:5]
	v_or_b32_e32 v28, 0x3200, v0
	v_cmp_gt_u32_e32 vcc, s33, v28
                                        ; implicit-def: $vgpr27
	s_and_saveexec_b64 s[4:5], vcc
	s_cbranch_execz .LBB3404_55
; %bb.54:
	v_lshlrev_b32_e32 v28, 1, v28
	v_mov_b32_e32 v29, 0
	v_lshl_add_u64 v[28:29], s[12:13], 0, v[28:29]
	flat_load_ushort v27, v[28:29]
.LBB3404_55:
	s_or_b64 exec, exec, s[4:5]
	v_or_b32_e32 v29, 0x3400, v0
	v_cmp_gt_u32_e32 vcc, s33, v29
                                        ; implicit-def: $vgpr28
	s_and_saveexec_b64 s[4:5], vcc
	s_cbranch_execz .LBB3404_57
; %bb.56:
	v_lshlrev_b32_e32 v28, 1, v29
	v_mov_b32_e32 v29, 0
	v_lshl_add_u64 v[28:29], s[12:13], 0, v[28:29]
	flat_load_ushort v28, v[28:29]
.LBB3404_57:
	s_or_b64 exec, exec, s[4:5]
	v_or_b32_e32 v30, 0x3600, v0
	v_cmp_gt_u32_e32 vcc, s33, v30
                                        ; implicit-def: $vgpr29
	s_and_saveexec_b64 s[4:5], vcc
	s_cbranch_execz .LBB3404_59
; %bb.58:
	v_lshlrev_b32_e32 v30, 1, v30
	v_mov_b32_e32 v31, 0
	v_lshl_add_u64 v[30:31], s[12:13], 0, v[30:31]
	flat_load_ushort v29, v[30:31]
.LBB3404_59:
	s_or_b64 exec, exec, s[4:5]
	s_waitcnt vmcnt(0) lgkmcnt(0)
	ds_write_b16 v14, v1
	ds_write_b16 v14, v2 offset:1024
	ds_write_b16 v14, v3 offset:2048
	;; [unrolled: 1-line block ×27, first 2 shown]
	s_waitcnt lgkmcnt(0)
	s_barrier
.LBB3404_60:
	v_mul_u32_u24_e32 v1, 28, v0
	v_lshlrev_b32_e32 v6, 1, v1
	s_waitcnt lgkmcnt(0)
	ds_read_b64 v[16:17], v6 offset:48
	ds_read2_b64 v[2:5], v6 offset0:4 offset1:5
	ds_read2_b64 v[10:13], v6 offset1:1
	ds_read2_b64 v[6:9], v6 offset0:2 offset1:3
	s_add_u32 s3, s6, s8
	s_addc_u32 s5, s7, s9
	s_add_u32 s4, s3, s10
	s_addc_u32 s5, s5, s11
	s_mov_b64 s[6:7], -1
	s_and_b64 vcc, exec, s[26:27]
	s_waitcnt lgkmcnt(0)
	s_barrier
	s_cbranch_vccz .LBB3404_62
; %bb.61:
	v_mov_b32_e32 v15, 0
	v_lshl_add_u64 v[18:19], s[4:5], 0, v[14:15]
	s_movk_i32 s3, 0x1000
	v_add_co_u32_e32 v20, vcc, s3, v18
	s_movk_i32 s3, 0x2000
	s_nop 0
	v_addc_co_u32_e32 v21, vcc, 0, v19, vcc
	v_add_co_u32_e32 v22, vcc, s3, v18
	s_movk_i32 s6, 0x4000
	s_nop 0
	v_addc_co_u32_e32 v23, vcc, 0, v19, vcc
	global_load_ubyte v15, v14, s[4:5]
	global_load_ubyte v24, v14, s[4:5] offset:1024
	global_load_ubyte v25, v14, s[4:5] offset:2048
	;; [unrolled: 1-line block ×3, first 2 shown]
	global_load_ubyte v27, v[20:21], off offset:1024
	global_load_ubyte v28, v[20:21], off offset:2048
	;; [unrolled: 1-line block ×3, first 2 shown]
	global_load_ubyte v30, v[22:23], off offset:-4096
	global_load_ubyte v31, v[22:23], off
	global_load_ubyte v32, v[22:23], off offset:1024
	v_add_co_u32_e32 v20, vcc, s6, v18
	s_movk_i32 s3, 0x3000
	s_nop 0
	v_addc_co_u32_e32 v21, vcc, 0, v19, vcc
	global_load_ubyte v33, v[22:23], off offset:2048
	global_load_ubyte v34, v[22:23], off offset:3072
	global_load_ubyte v35, v[20:21], off offset:-4096
	v_add_co_u32_e32 v22, vcc, s3, v18
	s_movk_i32 s6, 0x6000
	s_nop 0
	v_addc_co_u32_e32 v23, vcc, 0, v19, vcc
	global_load_ubyte v36, v[22:23], off offset:1024
	global_load_ubyte v37, v[22:23], off offset:2048
	global_load_ubyte v38, v[22:23], off offset:3072
	global_load_ubyte v39, v[20:21], off
	v_add_co_u32_e32 v22, vcc, s6, v18
	s_movk_i32 s3, 0x5000
	s_nop 0
	v_addc_co_u32_e32 v23, vcc, 0, v19, vcc
	v_add_co_u32_e32 v18, vcc, s3, v18
	global_load_ubyte v40, v[20:21], off offset:1024
	global_load_ubyte v41, v[20:21], off offset:2048
	;; [unrolled: 1-line block ×3, first 2 shown]
	global_load_ubyte v43, v[22:23], off offset:-4096
	v_addc_co_u32_e32 v19, vcc, 0, v19, vcc
	global_load_ubyte v20, v[18:19], off offset:1024
	global_load_ubyte v21, v[18:19], off offset:2048
	;; [unrolled: 1-line block ×3, first 2 shown]
	global_load_ubyte v45, v[22:23], off
	global_load_ubyte v46, v[22:23], off offset:1024
	global_load_ubyte v47, v[22:23], off offset:2048
	;; [unrolled: 1-line block ×3, first 2 shown]
	s_mov_b64 s[6:7], 0
	s_waitcnt vmcnt(23)
	v_xor_b32_e32 v23, -1, v27
	v_xor_b32_e32 v15, -1, v15
	;; [unrolled: 1-line block ×5, first 2 shown]
	v_and_b32_e32 v15, 1, v15
	s_waitcnt vmcnt(22)
	v_xor_b32_e32 v24, -1, v28
	s_waitcnt vmcnt(21)
	v_xor_b32_e32 v25, -1, v29
	;; [unrolled: 2-line block ×12, first 2 shown]
	v_and_b32_e32 v18, 1, v18
	v_and_b32_e32 v19, 1, v19
	;; [unrolled: 1-line block ×4, first 2 shown]
	s_waitcnt vmcnt(10)
	v_xor_b32_e32 v36, -1, v40
	s_waitcnt vmcnt(9)
	v_xor_b32_e32 v37, -1, v41
	;; [unrolled: 2-line block ×11, first 2 shown]
	v_and_b32_e32 v24, 1, v24
	v_and_b32_e32 v25, 1, v25
	;; [unrolled: 1-line block ×23, first 2 shown]
	ds_write_b8 v0, v15
	ds_write_b8 v0, v18 offset:512
	ds_write_b8 v0, v19 offset:1024
	;; [unrolled: 1-line block ×27, first 2 shown]
	s_waitcnt lgkmcnt(0)
	s_barrier
.LBB3404_62:
	s_load_dwordx2 s[28:29], s[0:1], 0x78
	s_andn2_b64 vcc, exec, s[6:7]
	s_cbranch_vccnz .LBB3404_120
; %bb.63:
	v_cmp_gt_u32_e32 vcc, s33, v0
	v_mov_b32_e32 v15, 0
	v_mov_b32_e32 v18, 0
	s_and_saveexec_b64 s[6:7], vcc
	s_cbranch_execz .LBB3404_65
; %bb.64:
	global_load_ubyte v18, v14, s[4:5]
	s_waitcnt vmcnt(0)
	v_xor_b32_e32 v18, -1, v18
	v_and_b32_e32 v18, 1, v18
.LBB3404_65:
	s_or_b64 exec, exec, s[6:7]
	v_or_b32_e32 v19, 0x200, v0
	v_cmp_gt_u32_e32 vcc, s33, v19
	s_and_saveexec_b64 s[6:7], vcc
	s_cbranch_execz .LBB3404_67
; %bb.66:
	global_load_ubyte v15, v14, s[4:5] offset:1024
	s_waitcnt vmcnt(0)
	v_xor_b32_e32 v15, -1, v15
	v_and_b32_e32 v15, 1, v15
.LBB3404_67:
	s_or_b64 exec, exec, s[6:7]
	v_or_b32_e32 v19, 0x400, v0
	v_cmp_gt_u32_e32 vcc, s33, v19
	v_mov_b32_e32 v19, 0
	v_mov_b32_e32 v20, 0
	s_and_saveexec_b64 s[6:7], vcc
	s_cbranch_execz .LBB3404_69
; %bb.68:
	global_load_ubyte v20, v14, s[4:5] offset:2048
	s_waitcnt vmcnt(0)
	v_xor_b32_e32 v20, -1, v20
	v_and_b32_e32 v20, 1, v20
.LBB3404_69:
	s_or_b64 exec, exec, s[6:7]
	v_or_b32_e32 v21, 0x600, v0
	v_cmp_gt_u32_e32 vcc, s33, v21
	s_and_saveexec_b64 s[6:7], vcc
	s_cbranch_execz .LBB3404_71
; %bb.70:
	global_load_ubyte v19, v14, s[4:5] offset:3072
	s_waitcnt vmcnt(0)
	v_xor_b32_e32 v19, -1, v19
	v_and_b32_e32 v19, 1, v19
.LBB3404_71:
	s_or_b64 exec, exec, s[6:7]
	v_or_b32_e32 v23, 0x800, v0
	v_cmp_gt_u32_e32 vcc, s33, v23
	v_mov_b32_e32 v21, 0
	v_mov_b32_e32 v22, 0
	s_and_saveexec_b64 s[6:7], vcc
	s_cbranch_execz .LBB3404_73
; %bb.72:
	v_lshlrev_b32_e32 v22, 1, v23
	global_load_ubyte v22, v22, s[4:5]
	s_waitcnt vmcnt(0)
	v_xor_b32_e32 v22, -1, v22
	v_and_b32_e32 v22, 1, v22
.LBB3404_73:
	s_or_b64 exec, exec, s[6:7]
	v_or_b32_e32 v23, 0xa00, v0
	v_cmp_gt_u32_e32 vcc, s33, v23
	s_and_saveexec_b64 s[6:7], vcc
	s_cbranch_execz .LBB3404_75
; %bb.74:
	v_lshlrev_b32_e32 v21, 1, v23
	global_load_ubyte v21, v21, s[4:5]
	s_waitcnt vmcnt(0)
	v_xor_b32_e32 v21, -1, v21
	v_and_b32_e32 v21, 1, v21
.LBB3404_75:
	s_or_b64 exec, exec, s[6:7]
	v_or_b32_e32 v25, 0xc00, v0
	v_cmp_gt_u32_e32 vcc, s33, v25
	v_mov_b32_e32 v23, 0
	v_mov_b32_e32 v24, 0
	s_and_saveexec_b64 s[6:7], vcc
	s_cbranch_execz .LBB3404_77
; %bb.76:
	v_lshlrev_b32_e32 v24, 1, v25
	global_load_ubyte v24, v24, s[4:5]
	s_waitcnt vmcnt(0)
	v_xor_b32_e32 v24, -1, v24
	v_and_b32_e32 v24, 1, v24
.LBB3404_77:
	s_or_b64 exec, exec, s[6:7]
	v_or_b32_e32 v25, 0xe00, v0
	v_cmp_gt_u32_e32 vcc, s33, v25
	s_and_saveexec_b64 s[6:7], vcc
	s_cbranch_execz .LBB3404_79
; %bb.78:
	v_lshlrev_b32_e32 v23, 1, v25
	global_load_ubyte v23, v23, s[4:5]
	s_waitcnt vmcnt(0)
	v_xor_b32_e32 v23, -1, v23
	v_and_b32_e32 v23, 1, v23
.LBB3404_79:
	;; [unrolled: 26-line block ×12, first 2 shown]
	s_or_b64 exec, exec, s[6:7]
	ds_write_b8 v0, v18
	ds_write_b8 v0, v15 offset:512
	ds_write_b8 v0, v20 offset:1024
	;; [unrolled: 1-line block ×27, first 2 shown]
	s_waitcnt lgkmcnt(0)
	s_barrier
.LBB3404_120:
	s_waitcnt lgkmcnt(0)
	ds_read2_b32 v[26:27], v1 offset1:1
	ds_read2_b32 v[24:25], v1 offset0:2 offset1:3
	ds_read2_b32 v[22:23], v1 offset0:4 offset1:5
	ds_read_b32 v34, v1 offset:24
	s_cmp_lg_u32 s2, 0
	v_lshrrev_b32_e32 v61, 6, v0
	s_waitcnt lgkmcnt(2)
	v_and_b32_e32 v53, 0xff, v24
	v_lshrrev_b32_e32 v41, 24, v26
	v_bfe_u32 v59, v26, 16, 8
	v_add_u32_sdwa v18, v26, v26 dst_sel:DWORD dst_unused:UNUSED_PAD src0_sel:BYTE_1 src1_sel:BYTE_0
	v_and_b32_e32 v56, 0xff, v27
	v_bfe_u32 v57, v27, 8, 8
	v_add3_u32 v18, v18, v59, v41
	v_lshrrev_b32_e32 v40, 24, v27
	v_bfe_u32 v58, v27, 16, 8
	v_add3_u32 v18, v18, v56, v57
	v_bfe_u32 v54, v24, 8, 8
	v_add3_u32 v18, v18, v58, v40
	v_lshrrev_b32_e32 v39, 24, v24
	v_bfe_u32 v55, v24, 16, 8
	v_add3_u32 v18, v18, v53, v54
	v_and_b32_e32 v50, 0xff, v25
	v_bfe_u32 v51, v25, 8, 8
	v_add3_u32 v18, v18, v55, v39
	v_lshrrev_b32_e32 v38, 24, v25
	v_bfe_u32 v52, v25, 16, 8
	v_add3_u32 v18, v18, v50, v51
	s_waitcnt lgkmcnt(1)
	v_and_b32_e32 v47, 0xff, v22
	v_bfe_u32 v48, v22, 8, 8
	v_add3_u32 v18, v18, v52, v38
	v_lshrrev_b32_e32 v37, 24, v22
	v_bfe_u32 v49, v22, 16, 8
	v_add3_u32 v18, v18, v47, v48
	v_and_b32_e32 v44, 0xff, v23
	v_bfe_u32 v45, v23, 8, 8
	v_add3_u32 v18, v18, v49, v37
	v_lshrrev_b32_e32 v36, 24, v23
	v_bfe_u32 v46, v23, 16, 8
	v_add3_u32 v18, v18, v44, v45
	s_waitcnt lgkmcnt(0)
	v_and_b32_e32 v42, 0xff, v34
	v_bfe_u32 v43, v34, 8, 8
	v_add3_u32 v18, v18, v46, v36
	v_lshrrev_b32_e32 v15, 24, v34
	v_bfe_u32 v35, v34, 16, 8
	v_add3_u32 v18, v18, v42, v43
	v_add3_u32 v62, v18, v35, v15
	v_mbcnt_lo_u32_b32 v18, -1, 0
	v_mbcnt_hi_u32_b32 v60, -1, v18
	v_and_b32_e32 v18, 15, v60
	v_cmp_eq_u32_e64 s[14:15], 0, v18
	v_cmp_lt_u32_e64 s[12:13], 1, v18
	v_cmp_lt_u32_e64 s[10:11], 3, v18
	;; [unrolled: 1-line block ×3, first 2 shown]
	v_and_b32_e32 v18, 16, v60
	v_cmp_eq_u32_e64 s[6:7], 0, v18
	v_or_b32_e32 v18, 63, v0
	v_cmp_lt_u32_e64 s[18:19], 31, v60
	v_cmp_eq_u32_e64 s[4:5], v18, v0
	s_barrier
	s_cbranch_scc0 .LBB3404_151
; %bb.121:
	v_mov_b32_dpp v18, v62 row_shr:1 row_mask:0xf bank_mask:0xf
	v_cndmask_b32_e64 v18, v18, 0, s[14:15]
	v_add_u32_e32 v18, v18, v62
	s_nop 1
	v_mov_b32_dpp v19, v18 row_shr:2 row_mask:0xf bank_mask:0xf
	v_cndmask_b32_e64 v19, 0, v19, s[12:13]
	v_add_u32_e32 v18, v18, v19
	s_nop 1
	;; [unrolled: 4-line block ×4, first 2 shown]
	v_mov_b32_dpp v19, v18 row_bcast:15 row_mask:0xf bank_mask:0xf
	v_cndmask_b32_e64 v19, v19, 0, s[6:7]
	v_add_u32_e32 v18, v18, v19
	s_nop 1
	v_mov_b32_dpp v19, v18 row_bcast:31 row_mask:0xf bank_mask:0xf
	v_cndmask_b32_e64 v19, 0, v19, s[18:19]
	v_add_u32_e32 v18, v18, v19
	s_and_saveexec_b64 s[16:17], s[4:5]
	s_cbranch_execz .LBB3404_123
; %bb.122:
	v_lshlrev_b32_e32 v19, 2, v61
	ds_write_b32 v19, v18
.LBB3404_123:
	s_or_b64 exec, exec, s[16:17]
	v_cmp_gt_u32_e32 vcc, 8, v0
	s_waitcnt lgkmcnt(0)
	s_barrier
	s_and_saveexec_b64 s[16:17], vcc
	s_cbranch_execz .LBB3404_125
; %bb.124:
	v_lshlrev_b32_e32 v19, 2, v0
	ds_read_b32 v20, v19
	v_and_b32_e32 v21, 7, v60
	v_cmp_ne_u32_e32 vcc, 0, v21
	s_waitcnt lgkmcnt(0)
	v_mov_b32_dpp v28, v20 row_shr:1 row_mask:0xf bank_mask:0xf
	v_cndmask_b32_e32 v28, 0, v28, vcc
	v_add_u32_e32 v20, v28, v20
	v_cmp_lt_u32_e32 vcc, 1, v21
	s_nop 0
	v_mov_b32_dpp v28, v20 row_shr:2 row_mask:0xf bank_mask:0xf
	v_cndmask_b32_e32 v28, 0, v28, vcc
	v_add_u32_e32 v20, v20, v28
	v_cmp_lt_u32_e32 vcc, 3, v21
	s_nop 0
	v_mov_b32_dpp v28, v20 row_shr:4 row_mask:0xf bank_mask:0xf
	v_cndmask_b32_e32 v21, 0, v28, vcc
	v_add_u32_e32 v20, v20, v21
	ds_write_b32 v19, v20
.LBB3404_125:
	s_or_b64 exec, exec, s[16:17]
	v_cmp_gt_u32_e32 vcc, 64, v0
	v_cmp_lt_u32_e64 s[16:17], 63, v0
	s_waitcnt lgkmcnt(0)
	s_barrier
	s_waitcnt lgkmcnt(0)
                                        ; implicit-def: $vgpr63
	s_and_saveexec_b64 s[30:31], s[16:17]
	s_cbranch_execz .LBB3404_127
; %bb.126:
	v_lshl_add_u32 v19, v61, 2, -4
	ds_read_b32 v63, v19
	s_waitcnt lgkmcnt(0)
	v_add_u32_e32 v18, v63, v18
.LBB3404_127:
	s_or_b64 exec, exec, s[30:31]
	v_add_u32_e32 v19, -1, v60
	v_and_b32_e32 v20, 64, v60
	v_cmp_lt_i32_e64 s[16:17], v19, v20
	s_nop 1
	v_cndmask_b32_e64 v19, v19, v60, s[16:17]
	v_lshlrev_b32_e32 v19, 2, v19
	ds_bpermute_b32 v64, v19, v18
	v_cmp_eq_u32_e64 s[16:17], 0, v60
	s_and_saveexec_b64 s[30:31], vcc
	s_cbranch_execz .LBB3404_150
; %bb.128:
	v_mov_b32_e32 v33, 0
	ds_read_b32 v18, v33 offset:28
	s_and_saveexec_b64 s[34:35], s[16:17]
	s_cbranch_execz .LBB3404_130
; %bb.129:
	s_add_i32 s36, s2, 64
	s_mov_b32 s37, 0
	s_lshl_b64 s[36:37], s[36:37], 3
	s_add_u32 s36, s28, s36
	v_mov_b32_e32 v19, 1
	s_addc_u32 s37, s29, s37
	s_waitcnt lgkmcnt(0)
	global_store_dwordx2 v33, v[18:19], s[36:37] sc1
.LBB3404_130:
	s_or_b64 exec, exec, s[34:35]
	v_xad_u32 v20, v60, -1, s2
	v_add_u32_e32 v32, 64, v20
	v_lshl_add_u64 v[28:29], v[32:33], 3, s[28:29]
	global_load_dwordx2 v[30:31], v[28:29], off sc1
	s_waitcnt vmcnt(0)
	v_cmp_eq_u16_sdwa s[36:37], v31, v33 src0_sel:BYTE_0 src1_sel:DWORD
	s_and_saveexec_b64 s[34:35], s[36:37]
	s_cbranch_execz .LBB3404_136
; %bb.131:
	s_mov_b32 s3, 1
	s_mov_b64 s[36:37], 0
	v_mov_b32_e32 v19, 0
.LBB3404_132:                           ; =>This Loop Header: Depth=1
                                        ;     Child Loop BB3404_133 Depth 2
	s_max_u32 s38, s3, 1
.LBB3404_133:                           ;   Parent Loop BB3404_132 Depth=1
                                        ; =>  This Inner Loop Header: Depth=2
	s_add_i32 s38, s38, -1
	s_cmp_eq_u32 s38, 0
	s_sleep 1
	s_cbranch_scc0 .LBB3404_133
; %bb.134:                              ;   in Loop: Header=BB3404_132 Depth=1
	global_load_dwordx2 v[30:31], v[28:29], off sc1
	s_cmp_lt_u32 s3, 32
	s_cselect_b64 s[38:39], -1, 0
	s_cmp_lg_u64 s[38:39], 0
	s_addc_u32 s3, s3, 0
	s_waitcnt vmcnt(0)
	v_cmp_ne_u16_sdwa s[38:39], v31, v19 src0_sel:BYTE_0 src1_sel:DWORD
	s_or_b64 s[36:37], s[38:39], s[36:37]
	s_andn2_b64 exec, exec, s[36:37]
	s_cbranch_execnz .LBB3404_132
; %bb.135:
	s_or_b64 exec, exec, s[36:37]
.LBB3404_136:
	s_or_b64 exec, exec, s[34:35]
	v_and_b32_e32 v66, 63, v60
	v_mov_b32_e32 v65, 2
	v_cmp_ne_u32_e32 vcc, 63, v66
	v_cmp_eq_u16_sdwa s[34:35], v31, v65 src0_sel:BYTE_0 src1_sel:DWORD
	v_lshlrev_b64 v[28:29], v60, -1
	v_addc_co_u32_e32 v32, vcc, 0, v60, vcc
	v_and_b32_e32 v19, s35, v29
	v_lshlrev_b32_e32 v67, 2, v32
	v_or_b32_e32 v19, 0x80000000, v19
	ds_bpermute_b32 v32, v67, v30
	v_and_b32_e32 v21, s34, v28
	v_ffbl_b32_e32 v19, v19
	v_add_u32_e32 v19, 32, v19
	v_ffbl_b32_e32 v21, v21
	v_min_u32_e32 v19, v21, v19
	v_cmp_lt_u32_e32 vcc, v66, v19
	v_add_u32_e32 v69, 2, v66
	v_add_u32_e32 v71, 4, v66
	s_waitcnt lgkmcnt(0)
	v_cndmask_b32_e32 v21, 0, v32, vcc
	v_cmp_gt_u32_e32 vcc, 62, v66
	v_add_u32_e32 v21, v21, v30
	v_add_u32_e32 v73, 8, v66
	v_cndmask_b32_e64 v30, 0, 1, vcc
	v_lshlrev_b32_e32 v30, 1, v30
	v_add_lshl_u32 v68, v30, v60, 2
	ds_bpermute_b32 v30, v68, v21
	v_cmp_le_u32_e32 vcc, v69, v19
	v_add_u32_e32 v75, 16, v66
	v_add_u32_e32 v77, 32, v66
	s_waitcnt lgkmcnt(0)
	v_cndmask_b32_e32 v30, 0, v30, vcc
	v_cmp_gt_u32_e32 vcc, 60, v66
	v_add_u32_e32 v21, v21, v30
	s_nop 0
	v_cndmask_b32_e64 v30, 0, 1, vcc
	v_lshlrev_b32_e32 v30, 2, v30
	v_add_lshl_u32 v70, v30, v60, 2
	ds_bpermute_b32 v30, v70, v21
	v_cmp_le_u32_e32 vcc, v71, v19
	s_waitcnt lgkmcnt(0)
	s_nop 0
	v_cndmask_b32_e32 v30, 0, v30, vcc
	v_cmp_gt_u32_e32 vcc, 56, v66
	v_add_u32_e32 v21, v21, v30
	s_nop 0
	v_cndmask_b32_e64 v30, 0, 1, vcc
	v_lshlrev_b32_e32 v30, 3, v30
	v_add_lshl_u32 v72, v30, v60, 2
	ds_bpermute_b32 v30, v72, v21
	v_cmp_le_u32_e32 vcc, v73, v19
	s_waitcnt lgkmcnt(0)
	s_nop 0
	v_cndmask_b32_e32 v30, 0, v30, vcc
	v_cmp_gt_u32_e32 vcc, 48, v66
	v_add_u32_e32 v21, v21, v30
	s_nop 0
	v_cndmask_b32_e64 v30, 0, 1, vcc
	v_lshlrev_b32_e32 v30, 4, v30
	v_add_lshl_u32 v74, v30, v60, 2
	ds_bpermute_b32 v30, v74, v21
	v_cmp_le_u32_e32 vcc, v75, v19
	s_waitcnt lgkmcnt(0)
	s_nop 0
	v_cndmask_b32_e32 v30, 0, v30, vcc
	v_cmp_gt_u32_e32 vcc, 32, v66
	v_add_u32_e32 v21, v21, v30
	s_nop 0
	v_cndmask_b32_e64 v30, 0, 1, vcc
	v_lshlrev_b32_e32 v30, 5, v30
	v_add_lshl_u32 v76, v30, v60, 2
	ds_bpermute_b32 v30, v76, v21
	v_cmp_le_u32_e32 vcc, v77, v19
	s_waitcnt lgkmcnt(0)
	s_nop 0
	v_cndmask_b32_e32 v19, 0, v30, vcc
	v_add_u32_e32 v30, v21, v19
	v_mov_b32_e32 v21, 0
	s_branch .LBB3404_138
.LBB3404_137:                           ;   in Loop: Header=BB3404_138 Depth=1
	s_or_b64 exec, exec, s[34:35]
	v_cmp_eq_u16_sdwa s[34:35], v31, v65 src0_sel:BYTE_0 src1_sel:DWORD
	ds_bpermute_b32 v78, v67, v30
	v_subrev_u32_e32 v20, 64, v20
	v_and_b32_e32 v32, s35, v29
	v_or_b32_e32 v32, 0x80000000, v32
	v_and_b32_e32 v33, s34, v28
	v_ffbl_b32_e32 v32, v32
	v_add_u32_e32 v32, 32, v32
	v_ffbl_b32_e32 v33, v33
	v_min_u32_e32 v32, v33, v32
	v_cmp_lt_u32_e32 vcc, v66, v32
	s_waitcnt lgkmcnt(0)
	s_nop 0
	v_cndmask_b32_e32 v33, 0, v78, vcc
	v_add_u32_e32 v30, v33, v30
	ds_bpermute_b32 v33, v68, v30
	v_cmp_le_u32_e32 vcc, v69, v32
	s_waitcnt lgkmcnt(0)
	s_nop 0
	v_cndmask_b32_e32 v33, 0, v33, vcc
	v_add_u32_e32 v30, v30, v33
	ds_bpermute_b32 v33, v70, v30
	v_cmp_le_u32_e32 vcc, v71, v32
	;; [unrolled: 6-line block ×5, first 2 shown]
	s_waitcnt lgkmcnt(0)
	s_nop 0
	v_cndmask_b32_e32 v32, 0, v33, vcc
	v_add3_u32 v30, v32, v19, v30
.LBB3404_138:                           ; =>This Loop Header: Depth=1
                                        ;     Child Loop BB3404_141 Depth 2
                                        ;       Child Loop BB3404_142 Depth 3
	v_cmp_ne_u16_sdwa s[34:35], v31, v65 src0_sel:BYTE_0 src1_sel:DWORD
	s_nop 1
	v_cndmask_b32_e64 v19, 0, 1, s[34:35]
	;;#ASMSTART
	;;#ASMEND
	s_nop 0
	v_cmp_ne_u32_e32 vcc, 0, v19
	s_cmp_lg_u64 vcc, exec
	v_mov_b32_e32 v19, v30
	s_cbranch_scc1 .LBB3404_145
; %bb.139:                              ;   in Loop: Header=BB3404_138 Depth=1
	v_lshl_add_u64 v[32:33], v[20:21], 3, s[28:29]
	global_load_dwordx2 v[30:31], v[32:33], off sc1
	s_waitcnt vmcnt(0)
	v_cmp_eq_u16_sdwa s[36:37], v31, v21 src0_sel:BYTE_0 src1_sel:DWORD
	s_and_saveexec_b64 s[34:35], s[36:37]
	s_cbranch_execz .LBB3404_137
; %bb.140:                              ;   in Loop: Header=BB3404_138 Depth=1
	s_mov_b32 s3, 1
	s_mov_b64 s[36:37], 0
.LBB3404_141:                           ;   Parent Loop BB3404_138 Depth=1
                                        ; =>  This Loop Header: Depth=2
                                        ;       Child Loop BB3404_142 Depth 3
	s_max_u32 s38, s3, 1
.LBB3404_142:                           ;   Parent Loop BB3404_138 Depth=1
                                        ;     Parent Loop BB3404_141 Depth=2
                                        ; =>    This Inner Loop Header: Depth=3
	s_add_i32 s38, s38, -1
	s_cmp_eq_u32 s38, 0
	s_sleep 1
	s_cbranch_scc0 .LBB3404_142
; %bb.143:                              ;   in Loop: Header=BB3404_141 Depth=2
	global_load_dwordx2 v[30:31], v[32:33], off sc1
	s_cmp_lt_u32 s3, 32
	s_cselect_b64 s[38:39], -1, 0
	s_cmp_lg_u64 s[38:39], 0
	s_addc_u32 s3, s3, 0
	s_waitcnt vmcnt(0)
	v_cmp_ne_u16_sdwa s[38:39], v31, v21 src0_sel:BYTE_0 src1_sel:DWORD
	s_or_b64 s[36:37], s[38:39], s[36:37]
	s_andn2_b64 exec, exec, s[36:37]
	s_cbranch_execnz .LBB3404_141
; %bb.144:                              ;   in Loop: Header=BB3404_138 Depth=1
	s_or_b64 exec, exec, s[36:37]
	s_branch .LBB3404_137
.LBB3404_145:                           ;   in Loop: Header=BB3404_138 Depth=1
                                        ; implicit-def: $vgpr30
                                        ; implicit-def: $vgpr31
	s_cbranch_execz .LBB3404_138
; %bb.146:
	s_and_saveexec_b64 s[34:35], s[16:17]
	s_cbranch_execz .LBB3404_148
; %bb.147:
	s_add_i32 s2, s2, 64
	s_mov_b32 s3, 0
	s_lshl_b64 s[2:3], s[2:3], 3
	s_add_u32 s2, s28, s2
	v_add_u32_e32 v20, v19, v18
	v_mov_b32_e32 v21, 2
	s_addc_u32 s3, s29, s3
	v_mov_b32_e32 v28, 0
	global_store_dwordx2 v28, v[20:21], s[2:3] sc1
	ds_write_b64 v28, v[18:19] offset:28672
.LBB3404_148:
	s_or_b64 exec, exec, s[34:35]
	v_cmp_eq_u32_e32 vcc, 0, v0
	s_and_b64 exec, exec, vcc
	s_cbranch_execz .LBB3404_150
; %bb.149:
	v_mov_b32_e32 v18, 0
	ds_write_b32 v18, v19 offset:28
.LBB3404_150:
	s_or_b64 exec, exec, s[30:31]
	v_mov_b32_e32 v18, 0
	s_waitcnt lgkmcnt(0)
	s_barrier
	ds_read_b32 v21, v18 offset:28
	s_waitcnt lgkmcnt(0)
	s_barrier
	ds_read_b64 v[18:19], v18 offset:28672
	v_cndmask_b32_e64 v20, v64, v63, s[16:17]
	v_cmp_ne_u32_e32 vcc, 0, v0
	s_nop 1
	v_cndmask_b32_e32 v20, 0, v20, vcc
	v_add_u32_e32 v32, v21, v20
	s_waitcnt lgkmcnt(0)
	v_mov_b32_e32 v20, v19
	s_load_dwordx2 s[2:3], s[0:1], 0x30
	s_branch .LBB3404_161
.LBB3404_151:
                                        ; implicit-def: $vgpr20
                                        ; implicit-def: $vgpr18
                                        ; implicit-def: $vgpr32
	s_load_dwordx2 s[2:3], s[0:1], 0x30
	s_cbranch_execz .LBB3404_161
; %bb.152:
	v_mov_b32_dpp v18, v62 row_shr:1 row_mask:0xf bank_mask:0xf
	v_cndmask_b32_e64 v18, v18, 0, s[14:15]
	v_add_u32_e32 v18, v18, v62
	s_nop 1
	v_mov_b32_dpp v19, v18 row_shr:2 row_mask:0xf bank_mask:0xf
	v_cndmask_b32_e64 v19, 0, v19, s[12:13]
	v_add_u32_e32 v18, v18, v19
	s_nop 1
	v_mov_b32_dpp v19, v18 row_shr:4 row_mask:0xf bank_mask:0xf
	v_cndmask_b32_e64 v19, 0, v19, s[10:11]
	v_add_u32_e32 v18, v18, v19
	s_nop 1
	v_mov_b32_dpp v19, v18 row_shr:8 row_mask:0xf bank_mask:0xf
	v_cndmask_b32_e64 v19, 0, v19, s[8:9]
	v_add_u32_e32 v18, v18, v19
	s_nop 1
	v_mov_b32_dpp v19, v18 row_bcast:15 row_mask:0xf bank_mask:0xf
	v_cndmask_b32_e64 v19, v19, 0, s[6:7]
	v_add_u32_e32 v18, v18, v19
	s_nop 1
	v_mov_b32_dpp v19, v18 row_bcast:31 row_mask:0xf bank_mask:0xf
	v_cndmask_b32_e64 v19, 0, v19, s[18:19]
	v_add_u32_e32 v18, v18, v19
	s_and_saveexec_b64 s[0:1], s[4:5]
	s_cbranch_execz .LBB3404_154
; %bb.153:
	v_lshlrev_b32_e32 v19, 2, v61
	ds_write_b32 v19, v18
.LBB3404_154:
	s_or_b64 exec, exec, s[0:1]
	v_cmp_gt_u32_e32 vcc, 8, v0
	s_waitcnt lgkmcnt(0)
	s_barrier
	s_and_saveexec_b64 s[0:1], vcc
	s_cbranch_execz .LBB3404_156
; %bb.155:
	v_lshlrev_b32_e32 v19, 2, v0
	ds_read_b32 v20, v19
	v_and_b32_e32 v21, 7, v60
	v_cmp_ne_u32_e32 vcc, 0, v21
	s_waitcnt lgkmcnt(0)
	v_mov_b32_dpp v28, v20 row_shr:1 row_mask:0xf bank_mask:0xf
	v_cndmask_b32_e32 v28, 0, v28, vcc
	v_add_u32_e32 v20, v28, v20
	v_cmp_lt_u32_e32 vcc, 1, v21
	s_nop 0
	v_mov_b32_dpp v28, v20 row_shr:2 row_mask:0xf bank_mask:0xf
	v_cndmask_b32_e32 v28, 0, v28, vcc
	v_add_u32_e32 v20, v20, v28
	v_cmp_lt_u32_e32 vcc, 3, v21
	s_nop 0
	v_mov_b32_dpp v28, v20 row_shr:4 row_mask:0xf bank_mask:0xf
	v_cndmask_b32_e32 v21, 0, v28, vcc
	v_add_u32_e32 v20, v20, v21
	ds_write_b32 v19, v20
.LBB3404_156:
	s_or_b64 exec, exec, s[0:1]
	v_cmp_lt_u32_e32 vcc, 63, v0
	v_mov_b32_e32 v19, 0
	v_mov_b32_e32 v20, 0
	s_waitcnt lgkmcnt(0)
	s_barrier
	s_and_saveexec_b64 s[0:1], vcc
	s_cbranch_execz .LBB3404_158
; %bb.157:
	v_lshl_add_u32 v20, v61, 2, -4
	ds_read_b32 v20, v20
.LBB3404_158:
	s_or_b64 exec, exec, s[0:1]
	v_add_u32_e32 v21, -1, v60
	v_and_b32_e32 v28, 64, v60
	v_cmp_lt_i32_e32 vcc, v21, v28
	s_waitcnt lgkmcnt(0)
	v_add_u32_e32 v18, v20, v18
	v_cndmask_b32_e32 v21, v21, v60, vcc
	v_lshlrev_b32_e32 v21, 2, v21
	ds_bpermute_b32 v21, v21, v18
	ds_read_b32 v18, v19 offset:28
	v_cmp_eq_u32_e32 vcc, 0, v0
	s_and_saveexec_b64 s[0:1], vcc
	s_cbranch_execz .LBB3404_160
; %bb.159:
	v_mov_b32_e32 v28, 0
	v_mov_b32_e32 v19, 2
	s_waitcnt lgkmcnt(0)
	global_store_dwordx2 v28, v[18:19], s[28:29] offset:512 sc1
.LBB3404_160:
	s_or_b64 exec, exec, s[0:1]
	v_cmp_eq_u32_e64 s[0:1], 0, v60
	s_waitcnt lgkmcnt(0)
	s_barrier
	v_cndmask_b32_e64 v19, v21, v20, s[0:1]
	v_mov_b32_e32 v20, 0
	v_cndmask_b32_e64 v32, v19, 0, vcc
.LBB3404_161:
	v_add_u32_sdwa v60, v32, v26 dst_sel:DWORD dst_unused:UNUSED_PAD src0_sel:DWORD src1_sel:BYTE_0
	v_add_u32_e32 v1, v18, v1
	v_sub_u32_e32 v32, v32, v20
	v_and_b32_e32 v69, 1, v26
	v_sub_u32_e32 v68, v1, v32
	v_cmp_eq_u32_e32 vcc, 1, v69
	v_lshrrev_b32_e32 v33, 8, v26
	v_add_u32_sdwa v61, v60, v26 dst_sel:DWORD dst_unused:UNUSED_PAD src0_sel:DWORD src1_sel:BYTE_1
	v_cndmask_b32_e32 v32, v68, v32, vcc
	v_lshlrev_b32_e32 v32, 1, v32
	ds_write_b16 v32, v10
	v_sub_u32_e32 v32, v60, v20
	v_sub_u32_e32 v60, v1, v32
	v_and_b32_e32 v33, 1, v33
	v_add_u32_e32 v60, 1, v60
	v_cmp_eq_u32_e32 vcc, 1, v33
	v_mov_b32_e32 v33, 1
	v_and_b32_sdwa v26, v33, v26 dst_sel:DWORD dst_unused:UNUSED_PAD src0_sel:DWORD src1_sel:WORD_1
	v_cndmask_b32_e32 v32, v60, v32, vcc
	v_lshlrev_b32_e32 v32, 1, v32
	ds_write_b16_d16_hi v32, v10
	v_sub_u32_e32 v10, v61, v20
	v_sub_u32_e32 v32, v1, v10
	v_add_u32_e32 v32, 2, v32
	v_cmp_eq_u32_e32 vcc, 1, v26
	v_add_u32_e32 v59, v61, v59
	v_add_u32_e32 v62, v59, v41
	v_cndmask_b32_e32 v10, v32, v10, vcc
	v_lshlrev_b32_e32 v10, 1, v10
	ds_write_b16 v10, v11
	v_sub_u32_e32 v10, v59, v20
	v_sub_u32_e32 v26, v1, v10
	v_and_b32_e32 v32, 1, v41
	v_add_u32_e32 v26, 3, v26
	v_cmp_eq_u32_e32 vcc, 1, v32
	v_add_u32_e32 v56, v62, v56
	v_lshrrev_b32_e32 v31, 8, v27
	v_cndmask_b32_e32 v10, v26, v10, vcc
	v_lshlrev_b32_e32 v10, 1, v10
	ds_write_b16_d16_hi v10, v11
	v_sub_u32_e32 v10, v62, v20
	v_sub_u32_e32 v11, v1, v10
	v_and_b32_e32 v26, 1, v27
	v_add_u32_e32 v11, 4, v11
	v_cmp_eq_u32_e32 vcc, 1, v26
	v_and_b32_e32 v26, 1, v31
	v_add_u32_e32 v57, v56, v57
	v_cndmask_b32_e32 v10, v11, v10, vcc
	v_lshlrev_b32_e32 v10, 1, v10
	ds_write_b16 v10, v12
	v_sub_u32_e32 v10, v56, v20
	v_sub_u32_e32 v11, v1, v10
	v_add_u32_e32 v11, 5, v11
	v_cmp_eq_u32_e32 vcc, 1, v26
	v_add_u32_e32 v58, v57, v58
	v_add_u32_e32 v63, v58, v40
	v_cndmask_b32_e32 v10, v11, v10, vcc
	v_lshlrev_b32_e32 v10, 1, v10
	ds_write_b16_d16_hi v10, v12
	v_sub_u32_e32 v10, v57, v20
	v_sub_u32_e32 v11, v1, v10
	v_and_b32_sdwa v12, v33, v27 dst_sel:DWORD dst_unused:UNUSED_PAD src0_sel:DWORD src1_sel:WORD_1
	v_add_u32_e32 v11, 6, v11
	v_cmp_eq_u32_e32 vcc, 1, v12
	v_and_b32_e32 v12, 1, v40
	v_add_u32_e32 v53, v63, v53
	v_cndmask_b32_e32 v10, v11, v10, vcc
	v_lshlrev_b32_e32 v10, 1, v10
	ds_write_b16 v10, v13
	v_sub_u32_e32 v10, v58, v20
	v_sub_u32_e32 v11, v1, v10
	v_add_u32_e32 v11, 7, v11
	v_cmp_eq_u32_e32 vcc, 1, v12
	v_and_b32_e32 v12, 1, v24
	v_lshrrev_b32_e32 v30, 8, v24
	v_cndmask_b32_e32 v10, v11, v10, vcc
	v_lshlrev_b32_e32 v10, 1, v10
	ds_write_b16_d16_hi v10, v13
	v_sub_u32_e32 v10, v63, v20
	v_sub_u32_e32 v11, v1, v10
	v_add_u32_e32 v11, 8, v11
	v_cmp_eq_u32_e32 vcc, 1, v12
	v_and_b32_e32 v12, 1, v30
	v_add_u32_e32 v54, v53, v54
	v_cndmask_b32_e32 v10, v11, v10, vcc
	v_lshlrev_b32_e32 v10, 1, v10
	ds_write_b16 v10, v6
	v_sub_u32_e32 v10, v53, v20
	v_sub_u32_e32 v11, v1, v10
	v_add_u32_e32 v11, 9, v11
	v_cmp_eq_u32_e32 vcc, 1, v12
	v_add_u32_e32 v55, v54, v55
	v_add_u32_e32 v64, v55, v39
	v_cndmask_b32_e32 v10, v11, v10, vcc
	v_lshlrev_b32_e32 v10, 1, v10
	ds_write_b16_d16_hi v10, v6
	v_sub_u32_e32 v6, v54, v20
	v_sub_u32_e32 v10, v1, v6
	v_and_b32_sdwa v11, v33, v24 dst_sel:DWORD dst_unused:UNUSED_PAD src0_sel:DWORD src1_sel:WORD_1
	v_add_u32_e32 v10, 10, v10
	v_cmp_eq_u32_e32 vcc, 1, v11
	v_and_b32_e32 v11, 1, v39
	v_add_u32_e32 v50, v64, v50
	v_cndmask_b32_e32 v6, v10, v6, vcc
	v_lshlrev_b32_e32 v6, 1, v6
	ds_write_b16 v6, v7
	v_sub_u32_e32 v6, v55, v20
	v_sub_u32_e32 v10, v1, v6
	v_add_u32_e32 v10, 11, v10
	v_cmp_eq_u32_e32 vcc, 1, v11
	v_lshrrev_b32_e32 v29, 8, v25
	v_add_u32_e32 v51, v50, v51
	v_cndmask_b32_e32 v6, v10, v6, vcc
	v_lshlrev_b32_e32 v6, 1, v6
	ds_write_b16_d16_hi v6, v7
	v_sub_u32_e32 v6, v64, v20
	v_sub_u32_e32 v7, v1, v6
	v_and_b32_e32 v10, 1, v25
	v_add_u32_e32 v7, 12, v7
	v_cmp_eq_u32_e32 vcc, 1, v10
	v_and_b32_e32 v10, 1, v29
	v_add_u32_e32 v52, v51, v52
	v_cndmask_b32_e32 v6, v7, v6, vcc
	v_lshlrev_b32_e32 v6, 1, v6
	ds_write_b16 v6, v8
	v_sub_u32_e32 v6, v50, v20
	v_sub_u32_e32 v7, v1, v6
	v_add_u32_e32 v7, 13, v7
	v_cmp_eq_u32_e32 vcc, 1, v10
	v_add_u32_e32 v65, v52, v38
	v_add_u32_e32 v47, v65, v47
	v_cndmask_b32_e32 v6, v7, v6, vcc
	v_lshlrev_b32_e32 v6, 1, v6
	ds_write_b16_d16_hi v6, v8
	v_sub_u32_e32 v6, v51, v20
	v_sub_u32_e32 v7, v1, v6
	v_and_b32_sdwa v8, v33, v25 dst_sel:DWORD dst_unused:UNUSED_PAD src0_sel:DWORD src1_sel:WORD_1
	v_add_u32_e32 v7, 14, v7
	v_cmp_eq_u32_e32 vcc, 1, v8
	v_and_b32_e32 v8, 1, v38
	v_lshrrev_b32_e32 v28, 8, v22
	v_cndmask_b32_e32 v6, v7, v6, vcc
	v_lshlrev_b32_e32 v6, 1, v6
	ds_write_b16 v6, v9
	v_sub_u32_e32 v6, v52, v20
	v_sub_u32_e32 v7, v1, v6
	v_add_u32_e32 v7, 15, v7
	v_cmp_eq_u32_e32 vcc, 1, v8
	v_and_b32_e32 v8, 1, v22
	v_add_u32_e32 v48, v47, v48
	v_cndmask_b32_e32 v6, v7, v6, vcc
	v_lshlrev_b32_e32 v6, 1, v6
	ds_write_b16_d16_hi v6, v9
	v_sub_u32_e32 v6, v65, v20
	v_sub_u32_e32 v7, v1, v6
	v_add_u32_e32 v7, 16, v7
	v_cmp_eq_u32_e32 vcc, 1, v8
	v_and_b32_e32 v8, 1, v28
	v_add_u32_e32 v49, v48, v49
	v_cndmask_b32_e32 v6, v7, v6, vcc
	v_lshlrev_b32_e32 v6, 1, v6
	ds_write_b16 v6, v2
	v_sub_u32_e32 v6, v47, v20
	v_sub_u32_e32 v7, v1, v6
	v_add_u32_e32 v7, 17, v7
	v_cmp_eq_u32_e32 vcc, 1, v8
	v_add_u32_e32 v66, v49, v37
	v_add_u32_e32 v44, v66, v44
	v_cndmask_b32_e32 v6, v7, v6, vcc
	v_lshlrev_b32_e32 v6, 1, v6
	ds_write_b16_d16_hi v6, v2
	v_sub_u32_e32 v2, v48, v20
	v_sub_u32_e32 v6, v1, v2
	v_and_b32_sdwa v7, v33, v22 dst_sel:DWORD dst_unused:UNUSED_PAD src0_sel:DWORD src1_sel:WORD_1
	v_add_u32_e32 v6, 18, v6
	v_cmp_eq_u32_e32 vcc, 1, v7
	v_and_b32_e32 v7, 1, v37
	v_lshrrev_b32_e32 v21, 8, v23
	v_cndmask_b32_e32 v2, v6, v2, vcc
	v_lshlrev_b32_e32 v2, 1, v2
	ds_write_b16 v2, v3
	v_sub_u32_e32 v2, v49, v20
	v_sub_u32_e32 v6, v1, v2
	v_add_u32_e32 v6, 19, v6
	v_cmp_eq_u32_e32 vcc, 1, v7
	v_add_u32_e32 v45, v44, v45
	v_add_u32_e32 v46, v45, v46
	v_cndmask_b32_e32 v2, v6, v2, vcc
	v_lshlrev_b32_e32 v2, 1, v2
	ds_write_b16_d16_hi v2, v3
	v_sub_u32_e32 v2, v66, v20
	v_sub_u32_e32 v3, v1, v2
	v_and_b32_e32 v6, 1, v23
	v_add_u32_e32 v3, 20, v3
	v_cmp_eq_u32_e32 vcc, 1, v6
	v_and_b32_e32 v6, 1, v21
	v_add_u32_e32 v67, v46, v36
	v_cndmask_b32_e32 v2, v3, v2, vcc
	v_lshlrev_b32_e32 v2, 1, v2
	ds_write_b16 v2, v4
	v_sub_u32_e32 v2, v44, v20
	v_sub_u32_e32 v3, v1, v2
	v_add_u32_e32 v3, 21, v3
	v_cmp_eq_u32_e32 vcc, 1, v6
	v_add_u32_e32 v42, v67, v42
	v_lshrrev_b32_e32 v19, 8, v34
	v_cndmask_b32_e32 v2, v3, v2, vcc
	v_lshlrev_b32_e32 v2, 1, v2
	ds_write_b16_d16_hi v2, v4
	v_sub_u32_e32 v2, v45, v20
	v_sub_u32_e32 v3, v1, v2
	v_and_b32_sdwa v4, v33, v23 dst_sel:DWORD dst_unused:UNUSED_PAD src0_sel:DWORD src1_sel:WORD_1
	v_add_u32_e32 v3, 22, v3
	v_cmp_eq_u32_e32 vcc, 1, v4
	v_and_b32_e32 v4, 1, v36
	v_add_u32_e32 v43, v42, v43
	v_cndmask_b32_e32 v2, v3, v2, vcc
	v_lshlrev_b32_e32 v2, 1, v2
	ds_write_b16 v2, v5
	v_sub_u32_e32 v2, v46, v20
	v_sub_u32_e32 v3, v1, v2
	v_add_u32_e32 v3, 23, v3
	v_cmp_eq_u32_e32 vcc, 1, v4
	v_and_b32_e32 v4, 1, v34
	v_or_b32_e32 v59, 0x200, v0
	v_cndmask_b32_e32 v2, v3, v2, vcc
	v_lshlrev_b32_e32 v2, 1, v2
	ds_write_b16_d16_hi v2, v5
	v_sub_u32_e32 v2, v67, v20
	v_sub_u32_e32 v3, v1, v2
	v_add_u32_e32 v3, 24, v3
	v_cmp_eq_u32_e32 vcc, 1, v4
	v_and_b32_e32 v4, 1, v19
	v_or_b32_e32 v57, 0x400, v0
	v_cndmask_b32_e32 v2, v3, v2, vcc
	v_lshlrev_b32_e32 v2, 1, v2
	ds_write_b16 v2, v16
	v_sub_u32_e32 v2, v42, v20
	v_sub_u32_e32 v3, v1, v2
	v_add_u32_e32 v3, 25, v3
	v_cmp_eq_u32_e32 vcc, 1, v4
	v_and_b32_sdwa v4, v33, v34 dst_sel:DWORD dst_unused:UNUSED_PAD src0_sel:DWORD src1_sel:WORD_1
	v_or_b32_e32 v55, 0x600, v0
	v_cndmask_b32_e32 v2, v3, v2, vcc
	v_lshlrev_b32_e32 v2, 1, v2
	ds_write_b16_d16_hi v2, v16
	v_sub_u32_e32 v2, v43, v20
	v_sub_u32_e32 v3, v1, v2
	v_add_u32_e32 v3, 26, v3
	v_cmp_eq_u32_e32 vcc, 1, v4
	v_or_b32_e32 v53, 0x800, v0
	v_or_b32_e32 v51, 0xa00, v0
	v_cndmask_b32_e32 v2, v3, v2, vcc
	v_lshlrev_b32_e32 v2, 1, v2
	ds_write_b16 v2, v17
	v_sub_u32_e32 v2, v35, v20
	v_add_u32_e32 v2, v43, v2
	v_sub_u32_e32 v1, v1, v2
	v_and_b32_e32 v3, 1, v15
	v_add_u32_e32 v1, 27, v1
	v_cmp_eq_u32_e32 vcc, 1, v3
	v_or_b32_e32 v49, 0xc00, v0
	v_or_b32_e32 v46, 0xe00, v0
	v_cndmask_b32_e32 v1, v1, v2, vcc
	v_lshlrev_b32_e32 v1, 1, v1
	ds_write_b16_d16_hi v1, v17
	s_waitcnt lgkmcnt(0)
	s_barrier
	ds_read_u16 v61, v14
	ds_read_u16 v60, v14 offset:1024
	ds_read_u16 v58, v14 offset:2048
	;; [unrolled: 1-line block ×27, first 2 shown]
	v_or_b32_e32 v45, 0x1000, v0
	v_or_b32_e32 v43, 0x1200, v0
	;; [unrolled: 1-line block ×19, first 2 shown]
	s_andn2_b64 vcc, exec, s[26:27]
	v_or_b32_e32 v4, 0x3600, v0
	s_cbranch_vccnz .LBB3404_191
; %bb.162:
	s_lshl_b64 s[0:1], s[22:23], 1
	v_mov_b32_e32 v21, 0
	s_add_u32 s0, s2, s0
	s_addc_u32 s1, s3, s1
	v_lshlrev_b64 v[2:3], 1, v[20:21]
	v_lshl_add_u64 v[2:3], s[0:1], 0, v[2:3]
	v_cmp_lt_u32_e32 vcc, v0, v18
	s_and_saveexec_b64 s[0:1], vcc
	s_cbranch_execnz .LBB3404_226
; %bb.163:
	s_or_b64 exec, exec, s[0:1]
	v_cmp_lt_u32_e32 vcc, v59, v18
	s_and_saveexec_b64 s[0:1], vcc
	s_cbranch_execnz .LBB3404_227
.LBB3404_164:
	s_or_b64 exec, exec, s[0:1]
	v_cmp_lt_u32_e32 vcc, v57, v18
	s_and_saveexec_b64 s[0:1], vcc
	s_cbranch_execnz .LBB3404_228
.LBB3404_165:
	s_or_b64 exec, exec, s[0:1]
	v_cmp_lt_u32_e32 vcc, v55, v18
	s_and_saveexec_b64 s[0:1], vcc
	s_cbranch_execnz .LBB3404_229
.LBB3404_166:
	s_or_b64 exec, exec, s[0:1]
	v_cmp_lt_u32_e32 vcc, v53, v18
	s_and_saveexec_b64 s[0:1], vcc
	s_cbranch_execnz .LBB3404_230
.LBB3404_167:
	s_or_b64 exec, exec, s[0:1]
	v_cmp_lt_u32_e32 vcc, v51, v18
	s_and_saveexec_b64 s[0:1], vcc
	s_cbranch_execnz .LBB3404_231
.LBB3404_168:
	s_or_b64 exec, exec, s[0:1]
	v_cmp_lt_u32_e32 vcc, v49, v18
	s_and_saveexec_b64 s[0:1], vcc
	s_cbranch_execnz .LBB3404_232
.LBB3404_169:
	s_or_b64 exec, exec, s[0:1]
	v_cmp_lt_u32_e32 vcc, v46, v18
	s_and_saveexec_b64 s[0:1], vcc
	s_cbranch_execnz .LBB3404_233
.LBB3404_170:
	s_or_b64 exec, exec, s[0:1]
	v_cmp_lt_u32_e32 vcc, v45, v18
	s_and_saveexec_b64 s[0:1], vcc
	s_cbranch_execnz .LBB3404_234
.LBB3404_171:
	s_or_b64 exec, exec, s[0:1]
	v_cmp_lt_u32_e32 vcc, v43, v18
	s_and_saveexec_b64 s[0:1], vcc
	s_cbranch_execnz .LBB3404_235
.LBB3404_172:
	s_or_b64 exec, exec, s[0:1]
	v_cmp_lt_u32_e32 vcc, v41, v18
	s_and_saveexec_b64 s[0:1], vcc
	s_cbranch_execnz .LBB3404_236
.LBB3404_173:
	s_or_b64 exec, exec, s[0:1]
	v_cmp_lt_u32_e32 vcc, v39, v18
	s_and_saveexec_b64 s[0:1], vcc
	s_cbranch_execnz .LBB3404_237
.LBB3404_174:
	s_or_b64 exec, exec, s[0:1]
	v_cmp_lt_u32_e32 vcc, v37, v18
	s_and_saveexec_b64 s[0:1], vcc
	s_cbranch_execnz .LBB3404_238
.LBB3404_175:
	s_or_b64 exec, exec, s[0:1]
	v_cmp_lt_u32_e32 vcc, v35, v18
	s_and_saveexec_b64 s[0:1], vcc
	s_cbranch_execnz .LBB3404_239
.LBB3404_176:
	s_or_b64 exec, exec, s[0:1]
	v_cmp_lt_u32_e32 vcc, v33, v18
	s_and_saveexec_b64 s[0:1], vcc
	s_cbranch_execnz .LBB3404_240
.LBB3404_177:
	s_or_b64 exec, exec, s[0:1]
	v_cmp_lt_u32_e32 vcc, v30, v18
	s_and_saveexec_b64 s[0:1], vcc
	s_cbranch_execnz .LBB3404_241
.LBB3404_178:
	s_or_b64 exec, exec, s[0:1]
	v_cmp_lt_u32_e32 vcc, v29, v18
	s_and_saveexec_b64 s[0:1], vcc
	s_cbranch_execnz .LBB3404_242
.LBB3404_179:
	s_or_b64 exec, exec, s[0:1]
	v_cmp_lt_u32_e32 vcc, v27, v18
	s_and_saveexec_b64 s[0:1], vcc
	s_cbranch_execnz .LBB3404_243
.LBB3404_180:
	s_or_b64 exec, exec, s[0:1]
	v_cmp_lt_u32_e32 vcc, v25, v18
	s_and_saveexec_b64 s[0:1], vcc
	s_cbranch_execnz .LBB3404_244
.LBB3404_181:
	s_or_b64 exec, exec, s[0:1]
	v_cmp_lt_u32_e32 vcc, v23, v18
	s_and_saveexec_b64 s[0:1], vcc
	s_cbranch_execnz .LBB3404_245
.LBB3404_182:
	s_or_b64 exec, exec, s[0:1]
	v_cmp_lt_u32_e32 vcc, v19, v18
	s_and_saveexec_b64 s[0:1], vcc
	s_cbranch_execnz .LBB3404_246
.LBB3404_183:
	s_or_b64 exec, exec, s[0:1]
	v_cmp_lt_u32_e32 vcc, v16, v18
	s_and_saveexec_b64 s[0:1], vcc
	s_cbranch_execnz .LBB3404_247
.LBB3404_184:
	s_or_b64 exec, exec, s[0:1]
	v_cmp_lt_u32_e32 vcc, v13, v18
	s_and_saveexec_b64 s[0:1], vcc
	s_cbranch_execnz .LBB3404_248
.LBB3404_185:
	s_or_b64 exec, exec, s[0:1]
	v_cmp_lt_u32_e32 vcc, v11, v18
	s_and_saveexec_b64 s[0:1], vcc
	s_cbranch_execnz .LBB3404_249
.LBB3404_186:
	s_or_b64 exec, exec, s[0:1]
	v_cmp_lt_u32_e32 vcc, v10, v18
	s_and_saveexec_b64 s[0:1], vcc
	s_cbranch_execnz .LBB3404_250
.LBB3404_187:
	s_or_b64 exec, exec, s[0:1]
	v_cmp_lt_u32_e32 vcc, v8, v18
	s_and_saveexec_b64 s[0:1], vcc
	s_cbranch_execnz .LBB3404_251
.LBB3404_188:
	s_or_b64 exec, exec, s[0:1]
	v_cmp_lt_u32_e32 vcc, v6, v18
	s_and_saveexec_b64 s[0:1], vcc
	s_cbranch_execz .LBB3404_190
.LBB3404_189:
	v_lshlrev_b32_e32 v21, 1, v6
	v_readfirstlane_b32 s4, v2
	v_readfirstlane_b32 s5, v3
	s_waitcnt lgkmcnt(1)
	s_nop 3
	global_store_short v21, v5, s[4:5]
.LBB3404_190:
	s_or_b64 exec, exec, s[0:1]
	v_cmp_lt_u32_e64 s[0:1], v4, v18
	s_branch .LBB3404_221
.LBB3404_191:
	s_mov_b64 s[0:1], 0
                                        ; implicit-def: $vgpr2_vgpr3
	s_cbranch_execz .LBB3404_221
; %bb.192:
	s_lshl_b64 s[0:1], s[22:23], 1
	v_mov_b32_e32 v21, 0
	s_add_u32 s0, s2, s0
	v_min_u32_e32 v62, s33, v18
	s_addc_u32 s1, s3, s1
	v_lshlrev_b64 v[2:3], 1, v[20:21]
	v_lshl_add_u64 v[2:3], s[0:1], 0, v[2:3]
	v_cmp_gt_u32_e32 vcc, v62, v0
	s_and_saveexec_b64 s[0:1], vcc
	s_cbranch_execnz .LBB3404_252
; %bb.193:
	s_or_b64 exec, exec, s[0:1]
	v_cmp_lt_u32_e32 vcc, v59, v62
	s_and_saveexec_b64 s[0:1], vcc
	s_cbranch_execnz .LBB3404_253
.LBB3404_194:
	s_or_b64 exec, exec, s[0:1]
	v_cmp_lt_u32_e32 vcc, v57, v62
	s_and_saveexec_b64 s[0:1], vcc
	s_cbranch_execnz .LBB3404_254
.LBB3404_195:
	s_or_b64 exec, exec, s[0:1]
	v_cmp_lt_u32_e32 vcc, v55, v62
	s_and_saveexec_b64 s[0:1], vcc
	s_cbranch_execnz .LBB3404_255
.LBB3404_196:
	s_or_b64 exec, exec, s[0:1]
	v_cmp_lt_u32_e32 vcc, v53, v62
	s_and_saveexec_b64 s[0:1], vcc
	s_cbranch_execnz .LBB3404_256
.LBB3404_197:
	s_or_b64 exec, exec, s[0:1]
	v_cmp_lt_u32_e32 vcc, v51, v62
	s_and_saveexec_b64 s[0:1], vcc
	s_cbranch_execnz .LBB3404_257
.LBB3404_198:
	s_or_b64 exec, exec, s[0:1]
	v_cmp_lt_u32_e32 vcc, v49, v62
	s_and_saveexec_b64 s[0:1], vcc
	s_cbranch_execnz .LBB3404_258
.LBB3404_199:
	s_or_b64 exec, exec, s[0:1]
	v_cmp_lt_u32_e32 vcc, v46, v62
	s_and_saveexec_b64 s[0:1], vcc
	s_cbranch_execnz .LBB3404_259
.LBB3404_200:
	s_or_b64 exec, exec, s[0:1]
	v_cmp_lt_u32_e32 vcc, v45, v62
	s_and_saveexec_b64 s[0:1], vcc
	s_cbranch_execnz .LBB3404_260
.LBB3404_201:
	s_or_b64 exec, exec, s[0:1]
	v_cmp_lt_u32_e32 vcc, v43, v62
	s_and_saveexec_b64 s[0:1], vcc
	s_cbranch_execnz .LBB3404_261
.LBB3404_202:
	s_or_b64 exec, exec, s[0:1]
	v_cmp_lt_u32_e32 vcc, v41, v62
	s_and_saveexec_b64 s[0:1], vcc
	s_cbranch_execnz .LBB3404_262
.LBB3404_203:
	s_or_b64 exec, exec, s[0:1]
	v_cmp_lt_u32_e32 vcc, v39, v62
	s_and_saveexec_b64 s[0:1], vcc
	s_cbranch_execnz .LBB3404_263
.LBB3404_204:
	s_or_b64 exec, exec, s[0:1]
	v_cmp_lt_u32_e32 vcc, v37, v62
	s_and_saveexec_b64 s[0:1], vcc
	s_cbranch_execnz .LBB3404_264
.LBB3404_205:
	s_or_b64 exec, exec, s[0:1]
	v_cmp_lt_u32_e32 vcc, v35, v62
	s_and_saveexec_b64 s[0:1], vcc
	s_cbranch_execnz .LBB3404_265
.LBB3404_206:
	s_or_b64 exec, exec, s[0:1]
	v_cmp_lt_u32_e32 vcc, v33, v62
	s_and_saveexec_b64 s[0:1], vcc
	s_cbranch_execnz .LBB3404_266
.LBB3404_207:
	s_or_b64 exec, exec, s[0:1]
	v_cmp_lt_u32_e32 vcc, v30, v62
	s_and_saveexec_b64 s[0:1], vcc
	s_cbranch_execnz .LBB3404_267
.LBB3404_208:
	s_or_b64 exec, exec, s[0:1]
	v_cmp_lt_u32_e32 vcc, v29, v62
	s_and_saveexec_b64 s[0:1], vcc
	s_cbranch_execnz .LBB3404_268
.LBB3404_209:
	s_or_b64 exec, exec, s[0:1]
	v_cmp_lt_u32_e32 vcc, v27, v62
	s_and_saveexec_b64 s[0:1], vcc
	s_cbranch_execnz .LBB3404_269
.LBB3404_210:
	s_or_b64 exec, exec, s[0:1]
	v_cmp_lt_u32_e32 vcc, v25, v62
	s_and_saveexec_b64 s[0:1], vcc
	s_cbranch_execnz .LBB3404_270
.LBB3404_211:
	s_or_b64 exec, exec, s[0:1]
	v_cmp_lt_u32_e32 vcc, v23, v62
	s_and_saveexec_b64 s[0:1], vcc
	s_cbranch_execnz .LBB3404_271
.LBB3404_212:
	s_or_b64 exec, exec, s[0:1]
	v_cmp_lt_u32_e32 vcc, v19, v62
	s_and_saveexec_b64 s[0:1], vcc
	s_cbranch_execnz .LBB3404_272
.LBB3404_213:
	s_or_b64 exec, exec, s[0:1]
	v_cmp_lt_u32_e32 vcc, v16, v62
	s_and_saveexec_b64 s[0:1], vcc
	s_cbranch_execnz .LBB3404_273
.LBB3404_214:
	s_or_b64 exec, exec, s[0:1]
	v_cmp_lt_u32_e32 vcc, v13, v62
	s_and_saveexec_b64 s[0:1], vcc
	s_cbranch_execnz .LBB3404_274
.LBB3404_215:
	s_or_b64 exec, exec, s[0:1]
	v_cmp_lt_u32_e32 vcc, v11, v62
	s_and_saveexec_b64 s[0:1], vcc
	s_cbranch_execnz .LBB3404_275
.LBB3404_216:
	s_or_b64 exec, exec, s[0:1]
	v_cmp_lt_u32_e32 vcc, v10, v62
	s_and_saveexec_b64 s[0:1], vcc
	s_cbranch_execnz .LBB3404_276
.LBB3404_217:
	s_or_b64 exec, exec, s[0:1]
	v_cmp_lt_u32_e32 vcc, v8, v62
	s_and_saveexec_b64 s[0:1], vcc
	s_cbranch_execnz .LBB3404_277
.LBB3404_218:
	s_or_b64 exec, exec, s[0:1]
	v_cmp_lt_u32_e32 vcc, v6, v62
	s_and_saveexec_b64 s[0:1], vcc
	s_cbranch_execz .LBB3404_220
.LBB3404_219:
	v_lshlrev_b32_e32 v6, 1, v6
	v_readfirstlane_b32 s2, v2
	v_readfirstlane_b32 s3, v3
	s_waitcnt lgkmcnt(1)
	s_nop 3
	global_store_short v6, v5, s[2:3]
.LBB3404_220:
	s_or_b64 exec, exec, s[0:1]
	v_cmp_lt_u32_e64 s[0:1], v4, v62
.LBB3404_221:
	s_and_saveexec_b64 s[2:3], s[0:1]
	s_cbranch_execz .LBB3404_223
; %bb.222:
	v_lshlrev_b32_e32 v4, 1, v4
	v_readfirstlane_b32 s0, v2
	v_readfirstlane_b32 s1, v3
	s_waitcnt lgkmcnt(0)
	s_nop 3
	global_store_short v4, v1, s[0:1]
.LBB3404_223:
	s_or_b64 exec, exec, s[2:3]
	v_cmp_eq_u32_e32 vcc, 0, v0
	s_and_b64 s[0:1], vcc, s[24:25]
	s_and_saveexec_b64 s[2:3], s[0:1]
	s_cbranch_execz .LBB3404_225
; %bb.224:
	v_mov_b32_e32 v19, 0
	s_waitcnt lgkmcnt(0)
	v_lshl_add_u64 v[0:1], s[22:23], 0, v[18:19]
	v_mov_b32_e32 v21, v19
	v_lshl_add_u64 v[0:1], v[0:1], 0, v[20:21]
	global_store_dwordx2 v19, v[0:1], s[20:21]
.LBB3404_225:
	s_endpgm
.LBB3404_226:
	v_readfirstlane_b32 s4, v2
	v_readfirstlane_b32 s5, v3
	s_waitcnt lgkmcnt(14)
	s_nop 3
	global_store_short v14, v61, s[4:5]
	s_or_b64 exec, exec, s[0:1]
	v_cmp_lt_u32_e32 vcc, v59, v18
	s_and_saveexec_b64 s[0:1], vcc
	s_cbranch_execz .LBB3404_164
.LBB3404_227:
	v_readfirstlane_b32 s4, v2
	v_readfirstlane_b32 s5, v3
	s_waitcnt lgkmcnt(14)
	s_nop 3
	global_store_short v14, v60, s[4:5] offset:1024
	s_or_b64 exec, exec, s[0:1]
	v_cmp_lt_u32_e32 vcc, v57, v18
	s_and_saveexec_b64 s[0:1], vcc
	s_cbranch_execz .LBB3404_165
.LBB3404_228:
	v_readfirstlane_b32 s4, v2
	v_readfirstlane_b32 s5, v3
	s_waitcnt lgkmcnt(14)
	s_nop 3
	global_store_short v14, v58, s[4:5] offset:2048
	s_or_b64 exec, exec, s[0:1]
	v_cmp_lt_u32_e32 vcc, v55, v18
	s_and_saveexec_b64 s[0:1], vcc
	s_cbranch_execz .LBB3404_166
.LBB3404_229:
	v_readfirstlane_b32 s4, v2
	v_readfirstlane_b32 s5, v3
	s_waitcnt lgkmcnt(14)
	s_nop 3
	global_store_short v14, v56, s[4:5] offset:3072
	s_or_b64 exec, exec, s[0:1]
	v_cmp_lt_u32_e32 vcc, v53, v18
	s_and_saveexec_b64 s[0:1], vcc
	s_cbranch_execz .LBB3404_167
.LBB3404_230:
	v_lshlrev_b32_e32 v21, 1, v53
	v_readfirstlane_b32 s4, v2
	v_readfirstlane_b32 s5, v3
	s_waitcnt lgkmcnt(14)
	s_nop 3
	global_store_short v21, v54, s[4:5]
	s_or_b64 exec, exec, s[0:1]
	v_cmp_lt_u32_e32 vcc, v51, v18
	s_and_saveexec_b64 s[0:1], vcc
	s_cbranch_execz .LBB3404_168
.LBB3404_231:
	v_lshlrev_b32_e32 v21, 1, v51
	v_readfirstlane_b32 s4, v2
	v_readfirstlane_b32 s5, v3
	s_waitcnt lgkmcnt(14)
	s_nop 3
	global_store_short v21, v52, s[4:5]
	s_or_b64 exec, exec, s[0:1]
	v_cmp_lt_u32_e32 vcc, v49, v18
	s_and_saveexec_b64 s[0:1], vcc
	s_cbranch_execz .LBB3404_169
.LBB3404_232:
	v_lshlrev_b32_e32 v21, 1, v49
	v_readfirstlane_b32 s4, v2
	v_readfirstlane_b32 s5, v3
	s_waitcnt lgkmcnt(14)
	s_nop 3
	global_store_short v21, v50, s[4:5]
	s_or_b64 exec, exec, s[0:1]
	v_cmp_lt_u32_e32 vcc, v46, v18
	s_and_saveexec_b64 s[0:1], vcc
	s_cbranch_execz .LBB3404_170
.LBB3404_233:
	v_lshlrev_b32_e32 v21, 1, v46
	v_readfirstlane_b32 s4, v2
	v_readfirstlane_b32 s5, v3
	s_waitcnt lgkmcnt(14)
	s_nop 3
	global_store_short v21, v47, s[4:5]
	s_or_b64 exec, exec, s[0:1]
	v_cmp_lt_u32_e32 vcc, v45, v18
	s_and_saveexec_b64 s[0:1], vcc
	s_cbranch_execz .LBB3404_171
.LBB3404_234:
	v_lshlrev_b32_e32 v21, 1, v45
	v_readfirstlane_b32 s4, v2
	v_readfirstlane_b32 s5, v3
	s_waitcnt lgkmcnt(14)
	s_nop 3
	global_store_short v21, v48, s[4:5]
	s_or_b64 exec, exec, s[0:1]
	v_cmp_lt_u32_e32 vcc, v43, v18
	s_and_saveexec_b64 s[0:1], vcc
	s_cbranch_execz .LBB3404_172
.LBB3404_235:
	v_lshlrev_b32_e32 v21, 1, v43
	v_readfirstlane_b32 s4, v2
	v_readfirstlane_b32 s5, v3
	s_waitcnt lgkmcnt(14)
	s_nop 3
	global_store_short v21, v44, s[4:5]
	s_or_b64 exec, exec, s[0:1]
	v_cmp_lt_u32_e32 vcc, v41, v18
	s_and_saveexec_b64 s[0:1], vcc
	s_cbranch_execz .LBB3404_173
.LBB3404_236:
	v_lshlrev_b32_e32 v21, 1, v41
	v_readfirstlane_b32 s4, v2
	v_readfirstlane_b32 s5, v3
	s_waitcnt lgkmcnt(14)
	s_nop 3
	global_store_short v21, v42, s[4:5]
	s_or_b64 exec, exec, s[0:1]
	v_cmp_lt_u32_e32 vcc, v39, v18
	s_and_saveexec_b64 s[0:1], vcc
	s_cbranch_execz .LBB3404_174
.LBB3404_237:
	v_lshlrev_b32_e32 v21, 1, v39
	v_readfirstlane_b32 s4, v2
	v_readfirstlane_b32 s5, v3
	s_waitcnt lgkmcnt(14)
	s_nop 3
	global_store_short v21, v40, s[4:5]
	s_or_b64 exec, exec, s[0:1]
	v_cmp_lt_u32_e32 vcc, v37, v18
	s_and_saveexec_b64 s[0:1], vcc
	s_cbranch_execz .LBB3404_175
.LBB3404_238:
	v_lshlrev_b32_e32 v21, 1, v37
	v_readfirstlane_b32 s4, v2
	v_readfirstlane_b32 s5, v3
	s_waitcnt lgkmcnt(14)
	s_nop 3
	global_store_short v21, v38, s[4:5]
	s_or_b64 exec, exec, s[0:1]
	v_cmp_lt_u32_e32 vcc, v35, v18
	s_and_saveexec_b64 s[0:1], vcc
	s_cbranch_execz .LBB3404_176
.LBB3404_239:
	v_lshlrev_b32_e32 v21, 1, v35
	v_readfirstlane_b32 s4, v2
	v_readfirstlane_b32 s5, v3
	s_waitcnt lgkmcnt(14)
	s_nop 3
	global_store_short v21, v36, s[4:5]
	s_or_b64 exec, exec, s[0:1]
	v_cmp_lt_u32_e32 vcc, v33, v18
	s_and_saveexec_b64 s[0:1], vcc
	s_cbranch_execz .LBB3404_177
.LBB3404_240:
	v_lshlrev_b32_e32 v21, 1, v33
	v_readfirstlane_b32 s4, v2
	v_readfirstlane_b32 s5, v3
	s_waitcnt lgkmcnt(13)
	s_nop 3
	global_store_short v21, v34, s[4:5]
	s_or_b64 exec, exec, s[0:1]
	v_cmp_lt_u32_e32 vcc, v30, v18
	s_and_saveexec_b64 s[0:1], vcc
	s_cbranch_execz .LBB3404_178
.LBB3404_241:
	v_lshlrev_b32_e32 v21, 1, v30
	v_readfirstlane_b32 s4, v2
	v_readfirstlane_b32 s5, v3
	s_waitcnt lgkmcnt(12)
	s_nop 3
	global_store_short v21, v31, s[4:5]
	s_or_b64 exec, exec, s[0:1]
	v_cmp_lt_u32_e32 vcc, v29, v18
	s_and_saveexec_b64 s[0:1], vcc
	s_cbranch_execz .LBB3404_179
.LBB3404_242:
	v_lshlrev_b32_e32 v21, 1, v29
	v_readfirstlane_b32 s4, v2
	v_readfirstlane_b32 s5, v3
	s_waitcnt lgkmcnt(11)
	s_nop 3
	global_store_short v21, v32, s[4:5]
	s_or_b64 exec, exec, s[0:1]
	v_cmp_lt_u32_e32 vcc, v27, v18
	s_and_saveexec_b64 s[0:1], vcc
	s_cbranch_execz .LBB3404_180
.LBB3404_243:
	v_lshlrev_b32_e32 v21, 1, v27
	v_readfirstlane_b32 s4, v2
	v_readfirstlane_b32 s5, v3
	s_waitcnt lgkmcnt(10)
	s_nop 3
	global_store_short v21, v28, s[4:5]
	s_or_b64 exec, exec, s[0:1]
	v_cmp_lt_u32_e32 vcc, v25, v18
	s_and_saveexec_b64 s[0:1], vcc
	s_cbranch_execz .LBB3404_181
.LBB3404_244:
	v_lshlrev_b32_e32 v21, 1, v25
	v_readfirstlane_b32 s4, v2
	v_readfirstlane_b32 s5, v3
	s_waitcnt lgkmcnt(9)
	s_nop 3
	global_store_short v21, v26, s[4:5]
	s_or_b64 exec, exec, s[0:1]
	v_cmp_lt_u32_e32 vcc, v23, v18
	s_and_saveexec_b64 s[0:1], vcc
	s_cbranch_execz .LBB3404_182
.LBB3404_245:
	v_lshlrev_b32_e32 v21, 1, v23
	v_readfirstlane_b32 s4, v2
	v_readfirstlane_b32 s5, v3
	s_waitcnt lgkmcnt(8)
	s_nop 3
	global_store_short v21, v24, s[4:5]
	s_or_b64 exec, exec, s[0:1]
	v_cmp_lt_u32_e32 vcc, v19, v18
	s_and_saveexec_b64 s[0:1], vcc
	s_cbranch_execz .LBB3404_183
.LBB3404_246:
	v_lshlrev_b32_e32 v21, 1, v19
	v_readfirstlane_b32 s4, v2
	v_readfirstlane_b32 s5, v3
	s_waitcnt lgkmcnt(7)
	s_nop 3
	global_store_short v21, v22, s[4:5]
	s_or_b64 exec, exec, s[0:1]
	v_cmp_lt_u32_e32 vcc, v16, v18
	s_and_saveexec_b64 s[0:1], vcc
	s_cbranch_execz .LBB3404_184
.LBB3404_247:
	v_lshlrev_b32_e32 v21, 1, v16
	v_readfirstlane_b32 s4, v2
	v_readfirstlane_b32 s5, v3
	s_waitcnt lgkmcnt(6)
	s_nop 3
	global_store_short v21, v17, s[4:5]
	s_or_b64 exec, exec, s[0:1]
	v_cmp_lt_u32_e32 vcc, v13, v18
	s_and_saveexec_b64 s[0:1], vcc
	s_cbranch_execz .LBB3404_185
.LBB3404_248:
	v_lshlrev_b32_e32 v21, 1, v13
	v_readfirstlane_b32 s4, v2
	v_readfirstlane_b32 s5, v3
	s_waitcnt lgkmcnt(5)
	s_nop 3
	global_store_short v21, v15, s[4:5]
	s_or_b64 exec, exec, s[0:1]
	v_cmp_lt_u32_e32 vcc, v11, v18
	s_and_saveexec_b64 s[0:1], vcc
	s_cbranch_execz .LBB3404_186
.LBB3404_249:
	v_lshlrev_b32_e32 v21, 1, v11
	v_readfirstlane_b32 s4, v2
	v_readfirstlane_b32 s5, v3
	s_waitcnt lgkmcnt(4)
	s_nop 3
	global_store_short v21, v12, s[4:5]
	s_or_b64 exec, exec, s[0:1]
	v_cmp_lt_u32_e32 vcc, v10, v18
	s_and_saveexec_b64 s[0:1], vcc
	s_cbranch_execz .LBB3404_187
.LBB3404_250:
	v_lshlrev_b32_e32 v21, 1, v10
	v_readfirstlane_b32 s4, v2
	v_readfirstlane_b32 s5, v3
	s_waitcnt lgkmcnt(3)
	s_nop 3
	global_store_short v21, v9, s[4:5]
	s_or_b64 exec, exec, s[0:1]
	v_cmp_lt_u32_e32 vcc, v8, v18
	s_and_saveexec_b64 s[0:1], vcc
	s_cbranch_execz .LBB3404_188
.LBB3404_251:
	v_lshlrev_b32_e32 v21, 1, v8
	v_readfirstlane_b32 s4, v2
	v_readfirstlane_b32 s5, v3
	s_waitcnt lgkmcnt(2)
	s_nop 3
	global_store_short v21, v7, s[4:5]
	s_or_b64 exec, exec, s[0:1]
	v_cmp_lt_u32_e32 vcc, v6, v18
	s_and_saveexec_b64 s[0:1], vcc
	s_cbranch_execnz .LBB3404_189
	s_branch .LBB3404_190
.LBB3404_252:
	v_readfirstlane_b32 s2, v2
	v_readfirstlane_b32 s3, v3
	s_waitcnt lgkmcnt(14)
	s_nop 3
	global_store_short v14, v61, s[2:3]
	s_or_b64 exec, exec, s[0:1]
	v_cmp_lt_u32_e32 vcc, v59, v62
	s_and_saveexec_b64 s[0:1], vcc
	s_cbranch_execz .LBB3404_194
.LBB3404_253:
	v_readfirstlane_b32 s2, v2
	v_readfirstlane_b32 s3, v3
	s_waitcnt lgkmcnt(14)
	s_nop 3
	global_store_short v14, v60, s[2:3] offset:1024
	s_or_b64 exec, exec, s[0:1]
	v_cmp_lt_u32_e32 vcc, v57, v62
	s_and_saveexec_b64 s[0:1], vcc
	s_cbranch_execz .LBB3404_195
.LBB3404_254:
	v_readfirstlane_b32 s2, v2
	v_readfirstlane_b32 s3, v3
	s_waitcnt lgkmcnt(14)
	s_nop 3
	global_store_short v14, v58, s[2:3] offset:2048
	s_or_b64 exec, exec, s[0:1]
	v_cmp_lt_u32_e32 vcc, v55, v62
	s_and_saveexec_b64 s[0:1], vcc
	s_cbranch_execz .LBB3404_196
.LBB3404_255:
	v_readfirstlane_b32 s2, v2
	v_readfirstlane_b32 s3, v3
	s_waitcnt lgkmcnt(14)
	s_nop 3
	global_store_short v14, v56, s[2:3] offset:3072
	s_or_b64 exec, exec, s[0:1]
	v_cmp_lt_u32_e32 vcc, v53, v62
	s_and_saveexec_b64 s[0:1], vcc
	s_cbranch_execz .LBB3404_197
.LBB3404_256:
	v_lshlrev_b32_e32 v14, 1, v53
	v_readfirstlane_b32 s2, v2
	v_readfirstlane_b32 s3, v3
	s_waitcnt lgkmcnt(14)
	s_nop 3
	global_store_short v14, v54, s[2:3]
	s_or_b64 exec, exec, s[0:1]
	v_cmp_lt_u32_e32 vcc, v51, v62
	s_and_saveexec_b64 s[0:1], vcc
	s_cbranch_execz .LBB3404_198
.LBB3404_257:
	v_lshlrev_b32_e32 v14, 1, v51
	v_readfirstlane_b32 s2, v2
	v_readfirstlane_b32 s3, v3
	s_waitcnt lgkmcnt(14)
	s_nop 3
	global_store_short v14, v52, s[2:3]
	s_or_b64 exec, exec, s[0:1]
	v_cmp_lt_u32_e32 vcc, v49, v62
	s_and_saveexec_b64 s[0:1], vcc
	s_cbranch_execz .LBB3404_199
.LBB3404_258:
	v_lshlrev_b32_e32 v14, 1, v49
	v_readfirstlane_b32 s2, v2
	v_readfirstlane_b32 s3, v3
	s_waitcnt lgkmcnt(14)
	s_nop 3
	global_store_short v14, v50, s[2:3]
	s_or_b64 exec, exec, s[0:1]
	v_cmp_lt_u32_e32 vcc, v46, v62
	s_and_saveexec_b64 s[0:1], vcc
	s_cbranch_execz .LBB3404_200
.LBB3404_259:
	v_lshlrev_b32_e32 v14, 1, v46
	v_readfirstlane_b32 s2, v2
	v_readfirstlane_b32 s3, v3
	s_waitcnt lgkmcnt(14)
	s_nop 3
	global_store_short v14, v47, s[2:3]
	s_or_b64 exec, exec, s[0:1]
	v_cmp_lt_u32_e32 vcc, v45, v62
	s_and_saveexec_b64 s[0:1], vcc
	s_cbranch_execz .LBB3404_201
.LBB3404_260:
	v_lshlrev_b32_e32 v14, 1, v45
	v_readfirstlane_b32 s2, v2
	v_readfirstlane_b32 s3, v3
	s_waitcnt lgkmcnt(14)
	s_nop 3
	global_store_short v14, v48, s[2:3]
	s_or_b64 exec, exec, s[0:1]
	v_cmp_lt_u32_e32 vcc, v43, v62
	s_and_saveexec_b64 s[0:1], vcc
	s_cbranch_execz .LBB3404_202
.LBB3404_261:
	v_lshlrev_b32_e32 v14, 1, v43
	v_readfirstlane_b32 s2, v2
	v_readfirstlane_b32 s3, v3
	s_waitcnt lgkmcnt(14)
	s_nop 3
	global_store_short v14, v44, s[2:3]
	s_or_b64 exec, exec, s[0:1]
	v_cmp_lt_u32_e32 vcc, v41, v62
	s_and_saveexec_b64 s[0:1], vcc
	s_cbranch_execz .LBB3404_203
.LBB3404_262:
	v_lshlrev_b32_e32 v14, 1, v41
	v_readfirstlane_b32 s2, v2
	v_readfirstlane_b32 s3, v3
	s_waitcnt lgkmcnt(14)
	s_nop 3
	global_store_short v14, v42, s[2:3]
	s_or_b64 exec, exec, s[0:1]
	v_cmp_lt_u32_e32 vcc, v39, v62
	s_and_saveexec_b64 s[0:1], vcc
	s_cbranch_execz .LBB3404_204
.LBB3404_263:
	v_lshlrev_b32_e32 v14, 1, v39
	v_readfirstlane_b32 s2, v2
	v_readfirstlane_b32 s3, v3
	s_waitcnt lgkmcnt(14)
	s_nop 3
	global_store_short v14, v40, s[2:3]
	s_or_b64 exec, exec, s[0:1]
	v_cmp_lt_u32_e32 vcc, v37, v62
	s_and_saveexec_b64 s[0:1], vcc
	s_cbranch_execz .LBB3404_205
.LBB3404_264:
	v_lshlrev_b32_e32 v14, 1, v37
	v_readfirstlane_b32 s2, v2
	v_readfirstlane_b32 s3, v3
	s_waitcnt lgkmcnt(14)
	s_nop 3
	global_store_short v14, v38, s[2:3]
	s_or_b64 exec, exec, s[0:1]
	v_cmp_lt_u32_e32 vcc, v35, v62
	s_and_saveexec_b64 s[0:1], vcc
	s_cbranch_execz .LBB3404_206
.LBB3404_265:
	v_lshlrev_b32_e32 v14, 1, v35
	v_readfirstlane_b32 s2, v2
	v_readfirstlane_b32 s3, v3
	s_waitcnt lgkmcnt(14)
	s_nop 3
	global_store_short v14, v36, s[2:3]
	s_or_b64 exec, exec, s[0:1]
	v_cmp_lt_u32_e32 vcc, v33, v62
	s_and_saveexec_b64 s[0:1], vcc
	s_cbranch_execz .LBB3404_207
.LBB3404_266:
	v_lshlrev_b32_e32 v14, 1, v33
	v_readfirstlane_b32 s2, v2
	v_readfirstlane_b32 s3, v3
	s_waitcnt lgkmcnt(13)
	s_nop 3
	global_store_short v14, v34, s[2:3]
	s_or_b64 exec, exec, s[0:1]
	v_cmp_lt_u32_e32 vcc, v30, v62
	s_and_saveexec_b64 s[0:1], vcc
	s_cbranch_execz .LBB3404_208
.LBB3404_267:
	v_lshlrev_b32_e32 v14, 1, v30
	v_readfirstlane_b32 s2, v2
	v_readfirstlane_b32 s3, v3
	s_waitcnt lgkmcnt(12)
	s_nop 3
	global_store_short v14, v31, s[2:3]
	s_or_b64 exec, exec, s[0:1]
	v_cmp_lt_u32_e32 vcc, v29, v62
	s_and_saveexec_b64 s[0:1], vcc
	s_cbranch_execz .LBB3404_209
.LBB3404_268:
	v_lshlrev_b32_e32 v14, 1, v29
	v_readfirstlane_b32 s2, v2
	v_readfirstlane_b32 s3, v3
	s_waitcnt lgkmcnt(11)
	s_nop 3
	global_store_short v14, v32, s[2:3]
	s_or_b64 exec, exec, s[0:1]
	v_cmp_lt_u32_e32 vcc, v27, v62
	s_and_saveexec_b64 s[0:1], vcc
	s_cbranch_execz .LBB3404_210
.LBB3404_269:
	v_lshlrev_b32_e32 v14, 1, v27
	v_readfirstlane_b32 s2, v2
	v_readfirstlane_b32 s3, v3
	s_waitcnt lgkmcnt(10)
	s_nop 3
	global_store_short v14, v28, s[2:3]
	s_or_b64 exec, exec, s[0:1]
	v_cmp_lt_u32_e32 vcc, v25, v62
	s_and_saveexec_b64 s[0:1], vcc
	s_cbranch_execz .LBB3404_211
.LBB3404_270:
	v_lshlrev_b32_e32 v14, 1, v25
	v_readfirstlane_b32 s2, v2
	v_readfirstlane_b32 s3, v3
	s_waitcnt lgkmcnt(9)
	s_nop 3
	global_store_short v14, v26, s[2:3]
	s_or_b64 exec, exec, s[0:1]
	v_cmp_lt_u32_e32 vcc, v23, v62
	s_and_saveexec_b64 s[0:1], vcc
	s_cbranch_execz .LBB3404_212
.LBB3404_271:
	v_lshlrev_b32_e32 v14, 1, v23
	v_readfirstlane_b32 s2, v2
	v_readfirstlane_b32 s3, v3
	s_waitcnt lgkmcnt(8)
	s_nop 3
	global_store_short v14, v24, s[2:3]
	s_or_b64 exec, exec, s[0:1]
	v_cmp_lt_u32_e32 vcc, v19, v62
	s_and_saveexec_b64 s[0:1], vcc
	s_cbranch_execz .LBB3404_213
.LBB3404_272:
	v_lshlrev_b32_e32 v14, 1, v19
	v_readfirstlane_b32 s2, v2
	v_readfirstlane_b32 s3, v3
	s_waitcnt lgkmcnt(7)
	s_nop 3
	global_store_short v14, v22, s[2:3]
	s_or_b64 exec, exec, s[0:1]
	v_cmp_lt_u32_e32 vcc, v16, v62
	s_and_saveexec_b64 s[0:1], vcc
	s_cbranch_execz .LBB3404_214
.LBB3404_273:
	v_lshlrev_b32_e32 v14, 1, v16
	v_readfirstlane_b32 s2, v2
	v_readfirstlane_b32 s3, v3
	s_waitcnt lgkmcnt(6)
	s_nop 3
	global_store_short v14, v17, s[2:3]
	s_or_b64 exec, exec, s[0:1]
	v_cmp_lt_u32_e32 vcc, v13, v62
	s_and_saveexec_b64 s[0:1], vcc
	s_cbranch_execz .LBB3404_215
.LBB3404_274:
	v_lshlrev_b32_e32 v13, 1, v13
	v_readfirstlane_b32 s2, v2
	v_readfirstlane_b32 s3, v3
	s_waitcnt lgkmcnt(5)
	s_nop 3
	global_store_short v13, v15, s[2:3]
	s_or_b64 exec, exec, s[0:1]
	v_cmp_lt_u32_e32 vcc, v11, v62
	s_and_saveexec_b64 s[0:1], vcc
	s_cbranch_execz .LBB3404_216
.LBB3404_275:
	v_lshlrev_b32_e32 v11, 1, v11
	v_readfirstlane_b32 s2, v2
	v_readfirstlane_b32 s3, v3
	s_waitcnt lgkmcnt(4)
	s_nop 3
	global_store_short v11, v12, s[2:3]
	s_or_b64 exec, exec, s[0:1]
	v_cmp_lt_u32_e32 vcc, v10, v62
	s_and_saveexec_b64 s[0:1], vcc
	s_cbranch_execz .LBB3404_217
.LBB3404_276:
	v_lshlrev_b32_e32 v10, 1, v10
	v_readfirstlane_b32 s2, v2
	v_readfirstlane_b32 s3, v3
	s_waitcnt lgkmcnt(3)
	s_nop 3
	global_store_short v10, v9, s[2:3]
	s_or_b64 exec, exec, s[0:1]
	v_cmp_lt_u32_e32 vcc, v8, v62
	s_and_saveexec_b64 s[0:1], vcc
	s_cbranch_execz .LBB3404_218
.LBB3404_277:
	v_lshlrev_b32_e32 v8, 1, v8
	v_readfirstlane_b32 s2, v2
	v_readfirstlane_b32 s3, v3
	s_waitcnt lgkmcnt(2)
	s_nop 3
	global_store_short v8, v7, s[2:3]
	s_or_b64 exec, exec, s[0:1]
	v_cmp_lt_u32_e32 vcc, v6, v62
	s_and_saveexec_b64 s[0:1], vcc
	s_cbranch_execnz .LBB3404_219
	s_branch .LBB3404_220
	.section	.rodata,"a",@progbits
	.p2align	6, 0x0
	.amdhsa_kernel _ZN7rocprim17ROCPRIM_400000_NS6detail17trampoline_kernelINS0_14default_configENS1_25partition_config_selectorILNS1_17partition_subalgoE1EsNS0_10empty_typeEbEEZZNS1_14partition_implILS5_1ELb0ES3_jN6thrust23THRUST_200600_302600_NS6detail15normal_iteratorINSA_10device_ptrIsEEEEPS6_NSA_18transform_iteratorI7is_evenIsESF_NSA_11use_defaultESK_EENS0_5tupleIJSF_NSA_16discard_iteratorISK_EEEEENSM_IJSG_SG_EEES6_PlJS6_EEE10hipError_tPvRmT3_T4_T5_T6_T7_T9_mT8_P12ihipStream_tbDpT10_ENKUlT_T0_E_clISt17integral_constantIbLb1EES1A_IbLb0EEEEDaS16_S17_EUlS16_E_NS1_11comp_targetILNS1_3genE5ELNS1_11target_archE942ELNS1_3gpuE9ELNS1_3repE0EEENS1_30default_config_static_selectorELNS0_4arch9wavefront6targetE1EEEvT1_
		.amdhsa_group_segment_fixed_size 28680
		.amdhsa_private_segment_fixed_size 0
		.amdhsa_kernarg_size 136
		.amdhsa_user_sgpr_count 2
		.amdhsa_user_sgpr_dispatch_ptr 0
		.amdhsa_user_sgpr_queue_ptr 0
		.amdhsa_user_sgpr_kernarg_segment_ptr 1
		.amdhsa_user_sgpr_dispatch_id 0
		.amdhsa_user_sgpr_kernarg_preload_length 0
		.amdhsa_user_sgpr_kernarg_preload_offset 0
		.amdhsa_user_sgpr_private_segment_size 0
		.amdhsa_uses_dynamic_stack 0
		.amdhsa_enable_private_segment 0
		.amdhsa_system_sgpr_workgroup_id_x 1
		.amdhsa_system_sgpr_workgroup_id_y 0
		.amdhsa_system_sgpr_workgroup_id_z 0
		.amdhsa_system_sgpr_workgroup_info 0
		.amdhsa_system_vgpr_workitem_id 0
		.amdhsa_next_free_vgpr 79
		.amdhsa_next_free_sgpr 40
		.amdhsa_accum_offset 80
		.amdhsa_reserve_vcc 1
		.amdhsa_float_round_mode_32 0
		.amdhsa_float_round_mode_16_64 0
		.amdhsa_float_denorm_mode_32 3
		.amdhsa_float_denorm_mode_16_64 3
		.amdhsa_dx10_clamp 1
		.amdhsa_ieee_mode 1
		.amdhsa_fp16_overflow 0
		.amdhsa_tg_split 0
		.amdhsa_exception_fp_ieee_invalid_op 0
		.amdhsa_exception_fp_denorm_src 0
		.amdhsa_exception_fp_ieee_div_zero 0
		.amdhsa_exception_fp_ieee_overflow 0
		.amdhsa_exception_fp_ieee_underflow 0
		.amdhsa_exception_fp_ieee_inexact 0
		.amdhsa_exception_int_div_zero 0
	.end_amdhsa_kernel
	.section	.text._ZN7rocprim17ROCPRIM_400000_NS6detail17trampoline_kernelINS0_14default_configENS1_25partition_config_selectorILNS1_17partition_subalgoE1EsNS0_10empty_typeEbEEZZNS1_14partition_implILS5_1ELb0ES3_jN6thrust23THRUST_200600_302600_NS6detail15normal_iteratorINSA_10device_ptrIsEEEEPS6_NSA_18transform_iteratorI7is_evenIsESF_NSA_11use_defaultESK_EENS0_5tupleIJSF_NSA_16discard_iteratorISK_EEEEENSM_IJSG_SG_EEES6_PlJS6_EEE10hipError_tPvRmT3_T4_T5_T6_T7_T9_mT8_P12ihipStream_tbDpT10_ENKUlT_T0_E_clISt17integral_constantIbLb1EES1A_IbLb0EEEEDaS16_S17_EUlS16_E_NS1_11comp_targetILNS1_3genE5ELNS1_11target_archE942ELNS1_3gpuE9ELNS1_3repE0EEENS1_30default_config_static_selectorELNS0_4arch9wavefront6targetE1EEEvT1_,"axG",@progbits,_ZN7rocprim17ROCPRIM_400000_NS6detail17trampoline_kernelINS0_14default_configENS1_25partition_config_selectorILNS1_17partition_subalgoE1EsNS0_10empty_typeEbEEZZNS1_14partition_implILS5_1ELb0ES3_jN6thrust23THRUST_200600_302600_NS6detail15normal_iteratorINSA_10device_ptrIsEEEEPS6_NSA_18transform_iteratorI7is_evenIsESF_NSA_11use_defaultESK_EENS0_5tupleIJSF_NSA_16discard_iteratorISK_EEEEENSM_IJSG_SG_EEES6_PlJS6_EEE10hipError_tPvRmT3_T4_T5_T6_T7_T9_mT8_P12ihipStream_tbDpT10_ENKUlT_T0_E_clISt17integral_constantIbLb1EES1A_IbLb0EEEEDaS16_S17_EUlS16_E_NS1_11comp_targetILNS1_3genE5ELNS1_11target_archE942ELNS1_3gpuE9ELNS1_3repE0EEENS1_30default_config_static_selectorELNS0_4arch9wavefront6targetE1EEEvT1_,comdat
.Lfunc_end3404:
	.size	_ZN7rocprim17ROCPRIM_400000_NS6detail17trampoline_kernelINS0_14default_configENS1_25partition_config_selectorILNS1_17partition_subalgoE1EsNS0_10empty_typeEbEEZZNS1_14partition_implILS5_1ELb0ES3_jN6thrust23THRUST_200600_302600_NS6detail15normal_iteratorINSA_10device_ptrIsEEEEPS6_NSA_18transform_iteratorI7is_evenIsESF_NSA_11use_defaultESK_EENS0_5tupleIJSF_NSA_16discard_iteratorISK_EEEEENSM_IJSG_SG_EEES6_PlJS6_EEE10hipError_tPvRmT3_T4_T5_T6_T7_T9_mT8_P12ihipStream_tbDpT10_ENKUlT_T0_E_clISt17integral_constantIbLb1EES1A_IbLb0EEEEDaS16_S17_EUlS16_E_NS1_11comp_targetILNS1_3genE5ELNS1_11target_archE942ELNS1_3gpuE9ELNS1_3repE0EEENS1_30default_config_static_selectorELNS0_4arch9wavefront6targetE1EEEvT1_, .Lfunc_end3404-_ZN7rocprim17ROCPRIM_400000_NS6detail17trampoline_kernelINS0_14default_configENS1_25partition_config_selectorILNS1_17partition_subalgoE1EsNS0_10empty_typeEbEEZZNS1_14partition_implILS5_1ELb0ES3_jN6thrust23THRUST_200600_302600_NS6detail15normal_iteratorINSA_10device_ptrIsEEEEPS6_NSA_18transform_iteratorI7is_evenIsESF_NSA_11use_defaultESK_EENS0_5tupleIJSF_NSA_16discard_iteratorISK_EEEEENSM_IJSG_SG_EEES6_PlJS6_EEE10hipError_tPvRmT3_T4_T5_T6_T7_T9_mT8_P12ihipStream_tbDpT10_ENKUlT_T0_E_clISt17integral_constantIbLb1EES1A_IbLb0EEEEDaS16_S17_EUlS16_E_NS1_11comp_targetILNS1_3genE5ELNS1_11target_archE942ELNS1_3gpuE9ELNS1_3repE0EEENS1_30default_config_static_selectorELNS0_4arch9wavefront6targetE1EEEvT1_
                                        ; -- End function
	.section	.AMDGPU.csdata,"",@progbits
; Kernel info:
; codeLenInByte = 12400
; NumSgprs: 46
; NumVgprs: 79
; NumAgprs: 0
; TotalNumVgprs: 79
; ScratchSize: 0
; MemoryBound: 0
; FloatMode: 240
; IeeeMode: 1
; LDSByteSize: 28680 bytes/workgroup (compile time only)
; SGPRBlocks: 5
; VGPRBlocks: 9
; NumSGPRsForWavesPerEU: 46
; NumVGPRsForWavesPerEU: 79
; AccumOffset: 80
; Occupancy: 4
; WaveLimiterHint : 1
; COMPUTE_PGM_RSRC2:SCRATCH_EN: 0
; COMPUTE_PGM_RSRC2:USER_SGPR: 2
; COMPUTE_PGM_RSRC2:TRAP_HANDLER: 0
; COMPUTE_PGM_RSRC2:TGID_X_EN: 1
; COMPUTE_PGM_RSRC2:TGID_Y_EN: 0
; COMPUTE_PGM_RSRC2:TGID_Z_EN: 0
; COMPUTE_PGM_RSRC2:TIDIG_COMP_CNT: 0
; COMPUTE_PGM_RSRC3_GFX90A:ACCUM_OFFSET: 19
; COMPUTE_PGM_RSRC3_GFX90A:TG_SPLIT: 0
	.section	.text._ZN7rocprim17ROCPRIM_400000_NS6detail17trampoline_kernelINS0_14default_configENS1_25partition_config_selectorILNS1_17partition_subalgoE1EsNS0_10empty_typeEbEEZZNS1_14partition_implILS5_1ELb0ES3_jN6thrust23THRUST_200600_302600_NS6detail15normal_iteratorINSA_10device_ptrIsEEEEPS6_NSA_18transform_iteratorI7is_evenIsESF_NSA_11use_defaultESK_EENS0_5tupleIJSF_NSA_16discard_iteratorISK_EEEEENSM_IJSG_SG_EEES6_PlJS6_EEE10hipError_tPvRmT3_T4_T5_T6_T7_T9_mT8_P12ihipStream_tbDpT10_ENKUlT_T0_E_clISt17integral_constantIbLb1EES1A_IbLb0EEEEDaS16_S17_EUlS16_E_NS1_11comp_targetILNS1_3genE4ELNS1_11target_archE910ELNS1_3gpuE8ELNS1_3repE0EEENS1_30default_config_static_selectorELNS0_4arch9wavefront6targetE1EEEvT1_,"axG",@progbits,_ZN7rocprim17ROCPRIM_400000_NS6detail17trampoline_kernelINS0_14default_configENS1_25partition_config_selectorILNS1_17partition_subalgoE1EsNS0_10empty_typeEbEEZZNS1_14partition_implILS5_1ELb0ES3_jN6thrust23THRUST_200600_302600_NS6detail15normal_iteratorINSA_10device_ptrIsEEEEPS6_NSA_18transform_iteratorI7is_evenIsESF_NSA_11use_defaultESK_EENS0_5tupleIJSF_NSA_16discard_iteratorISK_EEEEENSM_IJSG_SG_EEES6_PlJS6_EEE10hipError_tPvRmT3_T4_T5_T6_T7_T9_mT8_P12ihipStream_tbDpT10_ENKUlT_T0_E_clISt17integral_constantIbLb1EES1A_IbLb0EEEEDaS16_S17_EUlS16_E_NS1_11comp_targetILNS1_3genE4ELNS1_11target_archE910ELNS1_3gpuE8ELNS1_3repE0EEENS1_30default_config_static_selectorELNS0_4arch9wavefront6targetE1EEEvT1_,comdat
	.protected	_ZN7rocprim17ROCPRIM_400000_NS6detail17trampoline_kernelINS0_14default_configENS1_25partition_config_selectorILNS1_17partition_subalgoE1EsNS0_10empty_typeEbEEZZNS1_14partition_implILS5_1ELb0ES3_jN6thrust23THRUST_200600_302600_NS6detail15normal_iteratorINSA_10device_ptrIsEEEEPS6_NSA_18transform_iteratorI7is_evenIsESF_NSA_11use_defaultESK_EENS0_5tupleIJSF_NSA_16discard_iteratorISK_EEEEENSM_IJSG_SG_EEES6_PlJS6_EEE10hipError_tPvRmT3_T4_T5_T6_T7_T9_mT8_P12ihipStream_tbDpT10_ENKUlT_T0_E_clISt17integral_constantIbLb1EES1A_IbLb0EEEEDaS16_S17_EUlS16_E_NS1_11comp_targetILNS1_3genE4ELNS1_11target_archE910ELNS1_3gpuE8ELNS1_3repE0EEENS1_30default_config_static_selectorELNS0_4arch9wavefront6targetE1EEEvT1_ ; -- Begin function _ZN7rocprim17ROCPRIM_400000_NS6detail17trampoline_kernelINS0_14default_configENS1_25partition_config_selectorILNS1_17partition_subalgoE1EsNS0_10empty_typeEbEEZZNS1_14partition_implILS5_1ELb0ES3_jN6thrust23THRUST_200600_302600_NS6detail15normal_iteratorINSA_10device_ptrIsEEEEPS6_NSA_18transform_iteratorI7is_evenIsESF_NSA_11use_defaultESK_EENS0_5tupleIJSF_NSA_16discard_iteratorISK_EEEEENSM_IJSG_SG_EEES6_PlJS6_EEE10hipError_tPvRmT3_T4_T5_T6_T7_T9_mT8_P12ihipStream_tbDpT10_ENKUlT_T0_E_clISt17integral_constantIbLb1EES1A_IbLb0EEEEDaS16_S17_EUlS16_E_NS1_11comp_targetILNS1_3genE4ELNS1_11target_archE910ELNS1_3gpuE8ELNS1_3repE0EEENS1_30default_config_static_selectorELNS0_4arch9wavefront6targetE1EEEvT1_
	.globl	_ZN7rocprim17ROCPRIM_400000_NS6detail17trampoline_kernelINS0_14default_configENS1_25partition_config_selectorILNS1_17partition_subalgoE1EsNS0_10empty_typeEbEEZZNS1_14partition_implILS5_1ELb0ES3_jN6thrust23THRUST_200600_302600_NS6detail15normal_iteratorINSA_10device_ptrIsEEEEPS6_NSA_18transform_iteratorI7is_evenIsESF_NSA_11use_defaultESK_EENS0_5tupleIJSF_NSA_16discard_iteratorISK_EEEEENSM_IJSG_SG_EEES6_PlJS6_EEE10hipError_tPvRmT3_T4_T5_T6_T7_T9_mT8_P12ihipStream_tbDpT10_ENKUlT_T0_E_clISt17integral_constantIbLb1EES1A_IbLb0EEEEDaS16_S17_EUlS16_E_NS1_11comp_targetILNS1_3genE4ELNS1_11target_archE910ELNS1_3gpuE8ELNS1_3repE0EEENS1_30default_config_static_selectorELNS0_4arch9wavefront6targetE1EEEvT1_
	.p2align	8
	.type	_ZN7rocprim17ROCPRIM_400000_NS6detail17trampoline_kernelINS0_14default_configENS1_25partition_config_selectorILNS1_17partition_subalgoE1EsNS0_10empty_typeEbEEZZNS1_14partition_implILS5_1ELb0ES3_jN6thrust23THRUST_200600_302600_NS6detail15normal_iteratorINSA_10device_ptrIsEEEEPS6_NSA_18transform_iteratorI7is_evenIsESF_NSA_11use_defaultESK_EENS0_5tupleIJSF_NSA_16discard_iteratorISK_EEEEENSM_IJSG_SG_EEES6_PlJS6_EEE10hipError_tPvRmT3_T4_T5_T6_T7_T9_mT8_P12ihipStream_tbDpT10_ENKUlT_T0_E_clISt17integral_constantIbLb1EES1A_IbLb0EEEEDaS16_S17_EUlS16_E_NS1_11comp_targetILNS1_3genE4ELNS1_11target_archE910ELNS1_3gpuE8ELNS1_3repE0EEENS1_30default_config_static_selectorELNS0_4arch9wavefront6targetE1EEEvT1_,@function
_ZN7rocprim17ROCPRIM_400000_NS6detail17trampoline_kernelINS0_14default_configENS1_25partition_config_selectorILNS1_17partition_subalgoE1EsNS0_10empty_typeEbEEZZNS1_14partition_implILS5_1ELb0ES3_jN6thrust23THRUST_200600_302600_NS6detail15normal_iteratorINSA_10device_ptrIsEEEEPS6_NSA_18transform_iteratorI7is_evenIsESF_NSA_11use_defaultESK_EENS0_5tupleIJSF_NSA_16discard_iteratorISK_EEEEENSM_IJSG_SG_EEES6_PlJS6_EEE10hipError_tPvRmT3_T4_T5_T6_T7_T9_mT8_P12ihipStream_tbDpT10_ENKUlT_T0_E_clISt17integral_constantIbLb1EES1A_IbLb0EEEEDaS16_S17_EUlS16_E_NS1_11comp_targetILNS1_3genE4ELNS1_11target_archE910ELNS1_3gpuE8ELNS1_3repE0EEENS1_30default_config_static_selectorELNS0_4arch9wavefront6targetE1EEEvT1_: ; @_ZN7rocprim17ROCPRIM_400000_NS6detail17trampoline_kernelINS0_14default_configENS1_25partition_config_selectorILNS1_17partition_subalgoE1EsNS0_10empty_typeEbEEZZNS1_14partition_implILS5_1ELb0ES3_jN6thrust23THRUST_200600_302600_NS6detail15normal_iteratorINSA_10device_ptrIsEEEEPS6_NSA_18transform_iteratorI7is_evenIsESF_NSA_11use_defaultESK_EENS0_5tupleIJSF_NSA_16discard_iteratorISK_EEEEENSM_IJSG_SG_EEES6_PlJS6_EEE10hipError_tPvRmT3_T4_T5_T6_T7_T9_mT8_P12ihipStream_tbDpT10_ENKUlT_T0_E_clISt17integral_constantIbLb1EES1A_IbLb0EEEEDaS16_S17_EUlS16_E_NS1_11comp_targetILNS1_3genE4ELNS1_11target_archE910ELNS1_3gpuE8ELNS1_3repE0EEENS1_30default_config_static_selectorELNS0_4arch9wavefront6targetE1EEEvT1_
; %bb.0:
	.section	.rodata,"a",@progbits
	.p2align	6, 0x0
	.amdhsa_kernel _ZN7rocprim17ROCPRIM_400000_NS6detail17trampoline_kernelINS0_14default_configENS1_25partition_config_selectorILNS1_17partition_subalgoE1EsNS0_10empty_typeEbEEZZNS1_14partition_implILS5_1ELb0ES3_jN6thrust23THRUST_200600_302600_NS6detail15normal_iteratorINSA_10device_ptrIsEEEEPS6_NSA_18transform_iteratorI7is_evenIsESF_NSA_11use_defaultESK_EENS0_5tupleIJSF_NSA_16discard_iteratorISK_EEEEENSM_IJSG_SG_EEES6_PlJS6_EEE10hipError_tPvRmT3_T4_T5_T6_T7_T9_mT8_P12ihipStream_tbDpT10_ENKUlT_T0_E_clISt17integral_constantIbLb1EES1A_IbLb0EEEEDaS16_S17_EUlS16_E_NS1_11comp_targetILNS1_3genE4ELNS1_11target_archE910ELNS1_3gpuE8ELNS1_3repE0EEENS1_30default_config_static_selectorELNS0_4arch9wavefront6targetE1EEEvT1_
		.amdhsa_group_segment_fixed_size 0
		.amdhsa_private_segment_fixed_size 0
		.amdhsa_kernarg_size 136
		.amdhsa_user_sgpr_count 2
		.amdhsa_user_sgpr_dispatch_ptr 0
		.amdhsa_user_sgpr_queue_ptr 0
		.amdhsa_user_sgpr_kernarg_segment_ptr 1
		.amdhsa_user_sgpr_dispatch_id 0
		.amdhsa_user_sgpr_kernarg_preload_length 0
		.amdhsa_user_sgpr_kernarg_preload_offset 0
		.amdhsa_user_sgpr_private_segment_size 0
		.amdhsa_uses_dynamic_stack 0
		.amdhsa_enable_private_segment 0
		.amdhsa_system_sgpr_workgroup_id_x 1
		.amdhsa_system_sgpr_workgroup_id_y 0
		.amdhsa_system_sgpr_workgroup_id_z 0
		.amdhsa_system_sgpr_workgroup_info 0
		.amdhsa_system_vgpr_workitem_id 0
		.amdhsa_next_free_vgpr 1
		.amdhsa_next_free_sgpr 0
		.amdhsa_accum_offset 4
		.amdhsa_reserve_vcc 0
		.amdhsa_float_round_mode_32 0
		.amdhsa_float_round_mode_16_64 0
		.amdhsa_float_denorm_mode_32 3
		.amdhsa_float_denorm_mode_16_64 3
		.amdhsa_dx10_clamp 1
		.amdhsa_ieee_mode 1
		.amdhsa_fp16_overflow 0
		.amdhsa_tg_split 0
		.amdhsa_exception_fp_ieee_invalid_op 0
		.amdhsa_exception_fp_denorm_src 0
		.amdhsa_exception_fp_ieee_div_zero 0
		.amdhsa_exception_fp_ieee_overflow 0
		.amdhsa_exception_fp_ieee_underflow 0
		.amdhsa_exception_fp_ieee_inexact 0
		.amdhsa_exception_int_div_zero 0
	.end_amdhsa_kernel
	.section	.text._ZN7rocprim17ROCPRIM_400000_NS6detail17trampoline_kernelINS0_14default_configENS1_25partition_config_selectorILNS1_17partition_subalgoE1EsNS0_10empty_typeEbEEZZNS1_14partition_implILS5_1ELb0ES3_jN6thrust23THRUST_200600_302600_NS6detail15normal_iteratorINSA_10device_ptrIsEEEEPS6_NSA_18transform_iteratorI7is_evenIsESF_NSA_11use_defaultESK_EENS0_5tupleIJSF_NSA_16discard_iteratorISK_EEEEENSM_IJSG_SG_EEES6_PlJS6_EEE10hipError_tPvRmT3_T4_T5_T6_T7_T9_mT8_P12ihipStream_tbDpT10_ENKUlT_T0_E_clISt17integral_constantIbLb1EES1A_IbLb0EEEEDaS16_S17_EUlS16_E_NS1_11comp_targetILNS1_3genE4ELNS1_11target_archE910ELNS1_3gpuE8ELNS1_3repE0EEENS1_30default_config_static_selectorELNS0_4arch9wavefront6targetE1EEEvT1_,"axG",@progbits,_ZN7rocprim17ROCPRIM_400000_NS6detail17trampoline_kernelINS0_14default_configENS1_25partition_config_selectorILNS1_17partition_subalgoE1EsNS0_10empty_typeEbEEZZNS1_14partition_implILS5_1ELb0ES3_jN6thrust23THRUST_200600_302600_NS6detail15normal_iteratorINSA_10device_ptrIsEEEEPS6_NSA_18transform_iteratorI7is_evenIsESF_NSA_11use_defaultESK_EENS0_5tupleIJSF_NSA_16discard_iteratorISK_EEEEENSM_IJSG_SG_EEES6_PlJS6_EEE10hipError_tPvRmT3_T4_T5_T6_T7_T9_mT8_P12ihipStream_tbDpT10_ENKUlT_T0_E_clISt17integral_constantIbLb1EES1A_IbLb0EEEEDaS16_S17_EUlS16_E_NS1_11comp_targetILNS1_3genE4ELNS1_11target_archE910ELNS1_3gpuE8ELNS1_3repE0EEENS1_30default_config_static_selectorELNS0_4arch9wavefront6targetE1EEEvT1_,comdat
.Lfunc_end3405:
	.size	_ZN7rocprim17ROCPRIM_400000_NS6detail17trampoline_kernelINS0_14default_configENS1_25partition_config_selectorILNS1_17partition_subalgoE1EsNS0_10empty_typeEbEEZZNS1_14partition_implILS5_1ELb0ES3_jN6thrust23THRUST_200600_302600_NS6detail15normal_iteratorINSA_10device_ptrIsEEEEPS6_NSA_18transform_iteratorI7is_evenIsESF_NSA_11use_defaultESK_EENS0_5tupleIJSF_NSA_16discard_iteratorISK_EEEEENSM_IJSG_SG_EEES6_PlJS6_EEE10hipError_tPvRmT3_T4_T5_T6_T7_T9_mT8_P12ihipStream_tbDpT10_ENKUlT_T0_E_clISt17integral_constantIbLb1EES1A_IbLb0EEEEDaS16_S17_EUlS16_E_NS1_11comp_targetILNS1_3genE4ELNS1_11target_archE910ELNS1_3gpuE8ELNS1_3repE0EEENS1_30default_config_static_selectorELNS0_4arch9wavefront6targetE1EEEvT1_, .Lfunc_end3405-_ZN7rocprim17ROCPRIM_400000_NS6detail17trampoline_kernelINS0_14default_configENS1_25partition_config_selectorILNS1_17partition_subalgoE1EsNS0_10empty_typeEbEEZZNS1_14partition_implILS5_1ELb0ES3_jN6thrust23THRUST_200600_302600_NS6detail15normal_iteratorINSA_10device_ptrIsEEEEPS6_NSA_18transform_iteratorI7is_evenIsESF_NSA_11use_defaultESK_EENS0_5tupleIJSF_NSA_16discard_iteratorISK_EEEEENSM_IJSG_SG_EEES6_PlJS6_EEE10hipError_tPvRmT3_T4_T5_T6_T7_T9_mT8_P12ihipStream_tbDpT10_ENKUlT_T0_E_clISt17integral_constantIbLb1EES1A_IbLb0EEEEDaS16_S17_EUlS16_E_NS1_11comp_targetILNS1_3genE4ELNS1_11target_archE910ELNS1_3gpuE8ELNS1_3repE0EEENS1_30default_config_static_selectorELNS0_4arch9wavefront6targetE1EEEvT1_
                                        ; -- End function
	.section	.AMDGPU.csdata,"",@progbits
; Kernel info:
; codeLenInByte = 0
; NumSgprs: 6
; NumVgprs: 0
; NumAgprs: 0
; TotalNumVgprs: 0
; ScratchSize: 0
; MemoryBound: 0
; FloatMode: 240
; IeeeMode: 1
; LDSByteSize: 0 bytes/workgroup (compile time only)
; SGPRBlocks: 0
; VGPRBlocks: 0
; NumSGPRsForWavesPerEU: 6
; NumVGPRsForWavesPerEU: 1
; AccumOffset: 4
; Occupancy: 8
; WaveLimiterHint : 0
; COMPUTE_PGM_RSRC2:SCRATCH_EN: 0
; COMPUTE_PGM_RSRC2:USER_SGPR: 2
; COMPUTE_PGM_RSRC2:TRAP_HANDLER: 0
; COMPUTE_PGM_RSRC2:TGID_X_EN: 1
; COMPUTE_PGM_RSRC2:TGID_Y_EN: 0
; COMPUTE_PGM_RSRC2:TGID_Z_EN: 0
; COMPUTE_PGM_RSRC2:TIDIG_COMP_CNT: 0
; COMPUTE_PGM_RSRC3_GFX90A:ACCUM_OFFSET: 0
; COMPUTE_PGM_RSRC3_GFX90A:TG_SPLIT: 0
	.section	.text._ZN7rocprim17ROCPRIM_400000_NS6detail17trampoline_kernelINS0_14default_configENS1_25partition_config_selectorILNS1_17partition_subalgoE1EsNS0_10empty_typeEbEEZZNS1_14partition_implILS5_1ELb0ES3_jN6thrust23THRUST_200600_302600_NS6detail15normal_iteratorINSA_10device_ptrIsEEEEPS6_NSA_18transform_iteratorI7is_evenIsESF_NSA_11use_defaultESK_EENS0_5tupleIJSF_NSA_16discard_iteratorISK_EEEEENSM_IJSG_SG_EEES6_PlJS6_EEE10hipError_tPvRmT3_T4_T5_T6_T7_T9_mT8_P12ihipStream_tbDpT10_ENKUlT_T0_E_clISt17integral_constantIbLb1EES1A_IbLb0EEEEDaS16_S17_EUlS16_E_NS1_11comp_targetILNS1_3genE3ELNS1_11target_archE908ELNS1_3gpuE7ELNS1_3repE0EEENS1_30default_config_static_selectorELNS0_4arch9wavefront6targetE1EEEvT1_,"axG",@progbits,_ZN7rocprim17ROCPRIM_400000_NS6detail17trampoline_kernelINS0_14default_configENS1_25partition_config_selectorILNS1_17partition_subalgoE1EsNS0_10empty_typeEbEEZZNS1_14partition_implILS5_1ELb0ES3_jN6thrust23THRUST_200600_302600_NS6detail15normal_iteratorINSA_10device_ptrIsEEEEPS6_NSA_18transform_iteratorI7is_evenIsESF_NSA_11use_defaultESK_EENS0_5tupleIJSF_NSA_16discard_iteratorISK_EEEEENSM_IJSG_SG_EEES6_PlJS6_EEE10hipError_tPvRmT3_T4_T5_T6_T7_T9_mT8_P12ihipStream_tbDpT10_ENKUlT_T0_E_clISt17integral_constantIbLb1EES1A_IbLb0EEEEDaS16_S17_EUlS16_E_NS1_11comp_targetILNS1_3genE3ELNS1_11target_archE908ELNS1_3gpuE7ELNS1_3repE0EEENS1_30default_config_static_selectorELNS0_4arch9wavefront6targetE1EEEvT1_,comdat
	.protected	_ZN7rocprim17ROCPRIM_400000_NS6detail17trampoline_kernelINS0_14default_configENS1_25partition_config_selectorILNS1_17partition_subalgoE1EsNS0_10empty_typeEbEEZZNS1_14partition_implILS5_1ELb0ES3_jN6thrust23THRUST_200600_302600_NS6detail15normal_iteratorINSA_10device_ptrIsEEEEPS6_NSA_18transform_iteratorI7is_evenIsESF_NSA_11use_defaultESK_EENS0_5tupleIJSF_NSA_16discard_iteratorISK_EEEEENSM_IJSG_SG_EEES6_PlJS6_EEE10hipError_tPvRmT3_T4_T5_T6_T7_T9_mT8_P12ihipStream_tbDpT10_ENKUlT_T0_E_clISt17integral_constantIbLb1EES1A_IbLb0EEEEDaS16_S17_EUlS16_E_NS1_11comp_targetILNS1_3genE3ELNS1_11target_archE908ELNS1_3gpuE7ELNS1_3repE0EEENS1_30default_config_static_selectorELNS0_4arch9wavefront6targetE1EEEvT1_ ; -- Begin function _ZN7rocprim17ROCPRIM_400000_NS6detail17trampoline_kernelINS0_14default_configENS1_25partition_config_selectorILNS1_17partition_subalgoE1EsNS0_10empty_typeEbEEZZNS1_14partition_implILS5_1ELb0ES3_jN6thrust23THRUST_200600_302600_NS6detail15normal_iteratorINSA_10device_ptrIsEEEEPS6_NSA_18transform_iteratorI7is_evenIsESF_NSA_11use_defaultESK_EENS0_5tupleIJSF_NSA_16discard_iteratorISK_EEEEENSM_IJSG_SG_EEES6_PlJS6_EEE10hipError_tPvRmT3_T4_T5_T6_T7_T9_mT8_P12ihipStream_tbDpT10_ENKUlT_T0_E_clISt17integral_constantIbLb1EES1A_IbLb0EEEEDaS16_S17_EUlS16_E_NS1_11comp_targetILNS1_3genE3ELNS1_11target_archE908ELNS1_3gpuE7ELNS1_3repE0EEENS1_30default_config_static_selectorELNS0_4arch9wavefront6targetE1EEEvT1_
	.globl	_ZN7rocprim17ROCPRIM_400000_NS6detail17trampoline_kernelINS0_14default_configENS1_25partition_config_selectorILNS1_17partition_subalgoE1EsNS0_10empty_typeEbEEZZNS1_14partition_implILS5_1ELb0ES3_jN6thrust23THRUST_200600_302600_NS6detail15normal_iteratorINSA_10device_ptrIsEEEEPS6_NSA_18transform_iteratorI7is_evenIsESF_NSA_11use_defaultESK_EENS0_5tupleIJSF_NSA_16discard_iteratorISK_EEEEENSM_IJSG_SG_EEES6_PlJS6_EEE10hipError_tPvRmT3_T4_T5_T6_T7_T9_mT8_P12ihipStream_tbDpT10_ENKUlT_T0_E_clISt17integral_constantIbLb1EES1A_IbLb0EEEEDaS16_S17_EUlS16_E_NS1_11comp_targetILNS1_3genE3ELNS1_11target_archE908ELNS1_3gpuE7ELNS1_3repE0EEENS1_30default_config_static_selectorELNS0_4arch9wavefront6targetE1EEEvT1_
	.p2align	8
	.type	_ZN7rocprim17ROCPRIM_400000_NS6detail17trampoline_kernelINS0_14default_configENS1_25partition_config_selectorILNS1_17partition_subalgoE1EsNS0_10empty_typeEbEEZZNS1_14partition_implILS5_1ELb0ES3_jN6thrust23THRUST_200600_302600_NS6detail15normal_iteratorINSA_10device_ptrIsEEEEPS6_NSA_18transform_iteratorI7is_evenIsESF_NSA_11use_defaultESK_EENS0_5tupleIJSF_NSA_16discard_iteratorISK_EEEEENSM_IJSG_SG_EEES6_PlJS6_EEE10hipError_tPvRmT3_T4_T5_T6_T7_T9_mT8_P12ihipStream_tbDpT10_ENKUlT_T0_E_clISt17integral_constantIbLb1EES1A_IbLb0EEEEDaS16_S17_EUlS16_E_NS1_11comp_targetILNS1_3genE3ELNS1_11target_archE908ELNS1_3gpuE7ELNS1_3repE0EEENS1_30default_config_static_selectorELNS0_4arch9wavefront6targetE1EEEvT1_,@function
_ZN7rocprim17ROCPRIM_400000_NS6detail17trampoline_kernelINS0_14default_configENS1_25partition_config_selectorILNS1_17partition_subalgoE1EsNS0_10empty_typeEbEEZZNS1_14partition_implILS5_1ELb0ES3_jN6thrust23THRUST_200600_302600_NS6detail15normal_iteratorINSA_10device_ptrIsEEEEPS6_NSA_18transform_iteratorI7is_evenIsESF_NSA_11use_defaultESK_EENS0_5tupleIJSF_NSA_16discard_iteratorISK_EEEEENSM_IJSG_SG_EEES6_PlJS6_EEE10hipError_tPvRmT3_T4_T5_T6_T7_T9_mT8_P12ihipStream_tbDpT10_ENKUlT_T0_E_clISt17integral_constantIbLb1EES1A_IbLb0EEEEDaS16_S17_EUlS16_E_NS1_11comp_targetILNS1_3genE3ELNS1_11target_archE908ELNS1_3gpuE7ELNS1_3repE0EEENS1_30default_config_static_selectorELNS0_4arch9wavefront6targetE1EEEvT1_: ; @_ZN7rocprim17ROCPRIM_400000_NS6detail17trampoline_kernelINS0_14default_configENS1_25partition_config_selectorILNS1_17partition_subalgoE1EsNS0_10empty_typeEbEEZZNS1_14partition_implILS5_1ELb0ES3_jN6thrust23THRUST_200600_302600_NS6detail15normal_iteratorINSA_10device_ptrIsEEEEPS6_NSA_18transform_iteratorI7is_evenIsESF_NSA_11use_defaultESK_EENS0_5tupleIJSF_NSA_16discard_iteratorISK_EEEEENSM_IJSG_SG_EEES6_PlJS6_EEE10hipError_tPvRmT3_T4_T5_T6_T7_T9_mT8_P12ihipStream_tbDpT10_ENKUlT_T0_E_clISt17integral_constantIbLb1EES1A_IbLb0EEEEDaS16_S17_EUlS16_E_NS1_11comp_targetILNS1_3genE3ELNS1_11target_archE908ELNS1_3gpuE7ELNS1_3repE0EEENS1_30default_config_static_selectorELNS0_4arch9wavefront6targetE1EEEvT1_
; %bb.0:
	.section	.rodata,"a",@progbits
	.p2align	6, 0x0
	.amdhsa_kernel _ZN7rocprim17ROCPRIM_400000_NS6detail17trampoline_kernelINS0_14default_configENS1_25partition_config_selectorILNS1_17partition_subalgoE1EsNS0_10empty_typeEbEEZZNS1_14partition_implILS5_1ELb0ES3_jN6thrust23THRUST_200600_302600_NS6detail15normal_iteratorINSA_10device_ptrIsEEEEPS6_NSA_18transform_iteratorI7is_evenIsESF_NSA_11use_defaultESK_EENS0_5tupleIJSF_NSA_16discard_iteratorISK_EEEEENSM_IJSG_SG_EEES6_PlJS6_EEE10hipError_tPvRmT3_T4_T5_T6_T7_T9_mT8_P12ihipStream_tbDpT10_ENKUlT_T0_E_clISt17integral_constantIbLb1EES1A_IbLb0EEEEDaS16_S17_EUlS16_E_NS1_11comp_targetILNS1_3genE3ELNS1_11target_archE908ELNS1_3gpuE7ELNS1_3repE0EEENS1_30default_config_static_selectorELNS0_4arch9wavefront6targetE1EEEvT1_
		.amdhsa_group_segment_fixed_size 0
		.amdhsa_private_segment_fixed_size 0
		.amdhsa_kernarg_size 136
		.amdhsa_user_sgpr_count 2
		.amdhsa_user_sgpr_dispatch_ptr 0
		.amdhsa_user_sgpr_queue_ptr 0
		.amdhsa_user_sgpr_kernarg_segment_ptr 1
		.amdhsa_user_sgpr_dispatch_id 0
		.amdhsa_user_sgpr_kernarg_preload_length 0
		.amdhsa_user_sgpr_kernarg_preload_offset 0
		.amdhsa_user_sgpr_private_segment_size 0
		.amdhsa_uses_dynamic_stack 0
		.amdhsa_enable_private_segment 0
		.amdhsa_system_sgpr_workgroup_id_x 1
		.amdhsa_system_sgpr_workgroup_id_y 0
		.amdhsa_system_sgpr_workgroup_id_z 0
		.amdhsa_system_sgpr_workgroup_info 0
		.amdhsa_system_vgpr_workitem_id 0
		.amdhsa_next_free_vgpr 1
		.amdhsa_next_free_sgpr 0
		.amdhsa_accum_offset 4
		.amdhsa_reserve_vcc 0
		.amdhsa_float_round_mode_32 0
		.amdhsa_float_round_mode_16_64 0
		.amdhsa_float_denorm_mode_32 3
		.amdhsa_float_denorm_mode_16_64 3
		.amdhsa_dx10_clamp 1
		.amdhsa_ieee_mode 1
		.amdhsa_fp16_overflow 0
		.amdhsa_tg_split 0
		.amdhsa_exception_fp_ieee_invalid_op 0
		.amdhsa_exception_fp_denorm_src 0
		.amdhsa_exception_fp_ieee_div_zero 0
		.amdhsa_exception_fp_ieee_overflow 0
		.amdhsa_exception_fp_ieee_underflow 0
		.amdhsa_exception_fp_ieee_inexact 0
		.amdhsa_exception_int_div_zero 0
	.end_amdhsa_kernel
	.section	.text._ZN7rocprim17ROCPRIM_400000_NS6detail17trampoline_kernelINS0_14default_configENS1_25partition_config_selectorILNS1_17partition_subalgoE1EsNS0_10empty_typeEbEEZZNS1_14partition_implILS5_1ELb0ES3_jN6thrust23THRUST_200600_302600_NS6detail15normal_iteratorINSA_10device_ptrIsEEEEPS6_NSA_18transform_iteratorI7is_evenIsESF_NSA_11use_defaultESK_EENS0_5tupleIJSF_NSA_16discard_iteratorISK_EEEEENSM_IJSG_SG_EEES6_PlJS6_EEE10hipError_tPvRmT3_T4_T5_T6_T7_T9_mT8_P12ihipStream_tbDpT10_ENKUlT_T0_E_clISt17integral_constantIbLb1EES1A_IbLb0EEEEDaS16_S17_EUlS16_E_NS1_11comp_targetILNS1_3genE3ELNS1_11target_archE908ELNS1_3gpuE7ELNS1_3repE0EEENS1_30default_config_static_selectorELNS0_4arch9wavefront6targetE1EEEvT1_,"axG",@progbits,_ZN7rocprim17ROCPRIM_400000_NS6detail17trampoline_kernelINS0_14default_configENS1_25partition_config_selectorILNS1_17partition_subalgoE1EsNS0_10empty_typeEbEEZZNS1_14partition_implILS5_1ELb0ES3_jN6thrust23THRUST_200600_302600_NS6detail15normal_iteratorINSA_10device_ptrIsEEEEPS6_NSA_18transform_iteratorI7is_evenIsESF_NSA_11use_defaultESK_EENS0_5tupleIJSF_NSA_16discard_iteratorISK_EEEEENSM_IJSG_SG_EEES6_PlJS6_EEE10hipError_tPvRmT3_T4_T5_T6_T7_T9_mT8_P12ihipStream_tbDpT10_ENKUlT_T0_E_clISt17integral_constantIbLb1EES1A_IbLb0EEEEDaS16_S17_EUlS16_E_NS1_11comp_targetILNS1_3genE3ELNS1_11target_archE908ELNS1_3gpuE7ELNS1_3repE0EEENS1_30default_config_static_selectorELNS0_4arch9wavefront6targetE1EEEvT1_,comdat
.Lfunc_end3406:
	.size	_ZN7rocprim17ROCPRIM_400000_NS6detail17trampoline_kernelINS0_14default_configENS1_25partition_config_selectorILNS1_17partition_subalgoE1EsNS0_10empty_typeEbEEZZNS1_14partition_implILS5_1ELb0ES3_jN6thrust23THRUST_200600_302600_NS6detail15normal_iteratorINSA_10device_ptrIsEEEEPS6_NSA_18transform_iteratorI7is_evenIsESF_NSA_11use_defaultESK_EENS0_5tupleIJSF_NSA_16discard_iteratorISK_EEEEENSM_IJSG_SG_EEES6_PlJS6_EEE10hipError_tPvRmT3_T4_T5_T6_T7_T9_mT8_P12ihipStream_tbDpT10_ENKUlT_T0_E_clISt17integral_constantIbLb1EES1A_IbLb0EEEEDaS16_S17_EUlS16_E_NS1_11comp_targetILNS1_3genE3ELNS1_11target_archE908ELNS1_3gpuE7ELNS1_3repE0EEENS1_30default_config_static_selectorELNS0_4arch9wavefront6targetE1EEEvT1_, .Lfunc_end3406-_ZN7rocprim17ROCPRIM_400000_NS6detail17trampoline_kernelINS0_14default_configENS1_25partition_config_selectorILNS1_17partition_subalgoE1EsNS0_10empty_typeEbEEZZNS1_14partition_implILS5_1ELb0ES3_jN6thrust23THRUST_200600_302600_NS6detail15normal_iteratorINSA_10device_ptrIsEEEEPS6_NSA_18transform_iteratorI7is_evenIsESF_NSA_11use_defaultESK_EENS0_5tupleIJSF_NSA_16discard_iteratorISK_EEEEENSM_IJSG_SG_EEES6_PlJS6_EEE10hipError_tPvRmT3_T4_T5_T6_T7_T9_mT8_P12ihipStream_tbDpT10_ENKUlT_T0_E_clISt17integral_constantIbLb1EES1A_IbLb0EEEEDaS16_S17_EUlS16_E_NS1_11comp_targetILNS1_3genE3ELNS1_11target_archE908ELNS1_3gpuE7ELNS1_3repE0EEENS1_30default_config_static_selectorELNS0_4arch9wavefront6targetE1EEEvT1_
                                        ; -- End function
	.section	.AMDGPU.csdata,"",@progbits
; Kernel info:
; codeLenInByte = 0
; NumSgprs: 6
; NumVgprs: 0
; NumAgprs: 0
; TotalNumVgprs: 0
; ScratchSize: 0
; MemoryBound: 0
; FloatMode: 240
; IeeeMode: 1
; LDSByteSize: 0 bytes/workgroup (compile time only)
; SGPRBlocks: 0
; VGPRBlocks: 0
; NumSGPRsForWavesPerEU: 6
; NumVGPRsForWavesPerEU: 1
; AccumOffset: 4
; Occupancy: 8
; WaveLimiterHint : 0
; COMPUTE_PGM_RSRC2:SCRATCH_EN: 0
; COMPUTE_PGM_RSRC2:USER_SGPR: 2
; COMPUTE_PGM_RSRC2:TRAP_HANDLER: 0
; COMPUTE_PGM_RSRC2:TGID_X_EN: 1
; COMPUTE_PGM_RSRC2:TGID_Y_EN: 0
; COMPUTE_PGM_RSRC2:TGID_Z_EN: 0
; COMPUTE_PGM_RSRC2:TIDIG_COMP_CNT: 0
; COMPUTE_PGM_RSRC3_GFX90A:ACCUM_OFFSET: 0
; COMPUTE_PGM_RSRC3_GFX90A:TG_SPLIT: 0
	.section	.text._ZN7rocprim17ROCPRIM_400000_NS6detail17trampoline_kernelINS0_14default_configENS1_25partition_config_selectorILNS1_17partition_subalgoE1EsNS0_10empty_typeEbEEZZNS1_14partition_implILS5_1ELb0ES3_jN6thrust23THRUST_200600_302600_NS6detail15normal_iteratorINSA_10device_ptrIsEEEEPS6_NSA_18transform_iteratorI7is_evenIsESF_NSA_11use_defaultESK_EENS0_5tupleIJSF_NSA_16discard_iteratorISK_EEEEENSM_IJSG_SG_EEES6_PlJS6_EEE10hipError_tPvRmT3_T4_T5_T6_T7_T9_mT8_P12ihipStream_tbDpT10_ENKUlT_T0_E_clISt17integral_constantIbLb1EES1A_IbLb0EEEEDaS16_S17_EUlS16_E_NS1_11comp_targetILNS1_3genE2ELNS1_11target_archE906ELNS1_3gpuE6ELNS1_3repE0EEENS1_30default_config_static_selectorELNS0_4arch9wavefront6targetE1EEEvT1_,"axG",@progbits,_ZN7rocprim17ROCPRIM_400000_NS6detail17trampoline_kernelINS0_14default_configENS1_25partition_config_selectorILNS1_17partition_subalgoE1EsNS0_10empty_typeEbEEZZNS1_14partition_implILS5_1ELb0ES3_jN6thrust23THRUST_200600_302600_NS6detail15normal_iteratorINSA_10device_ptrIsEEEEPS6_NSA_18transform_iteratorI7is_evenIsESF_NSA_11use_defaultESK_EENS0_5tupleIJSF_NSA_16discard_iteratorISK_EEEEENSM_IJSG_SG_EEES6_PlJS6_EEE10hipError_tPvRmT3_T4_T5_T6_T7_T9_mT8_P12ihipStream_tbDpT10_ENKUlT_T0_E_clISt17integral_constantIbLb1EES1A_IbLb0EEEEDaS16_S17_EUlS16_E_NS1_11comp_targetILNS1_3genE2ELNS1_11target_archE906ELNS1_3gpuE6ELNS1_3repE0EEENS1_30default_config_static_selectorELNS0_4arch9wavefront6targetE1EEEvT1_,comdat
	.protected	_ZN7rocprim17ROCPRIM_400000_NS6detail17trampoline_kernelINS0_14default_configENS1_25partition_config_selectorILNS1_17partition_subalgoE1EsNS0_10empty_typeEbEEZZNS1_14partition_implILS5_1ELb0ES3_jN6thrust23THRUST_200600_302600_NS6detail15normal_iteratorINSA_10device_ptrIsEEEEPS6_NSA_18transform_iteratorI7is_evenIsESF_NSA_11use_defaultESK_EENS0_5tupleIJSF_NSA_16discard_iteratorISK_EEEEENSM_IJSG_SG_EEES6_PlJS6_EEE10hipError_tPvRmT3_T4_T5_T6_T7_T9_mT8_P12ihipStream_tbDpT10_ENKUlT_T0_E_clISt17integral_constantIbLb1EES1A_IbLb0EEEEDaS16_S17_EUlS16_E_NS1_11comp_targetILNS1_3genE2ELNS1_11target_archE906ELNS1_3gpuE6ELNS1_3repE0EEENS1_30default_config_static_selectorELNS0_4arch9wavefront6targetE1EEEvT1_ ; -- Begin function _ZN7rocprim17ROCPRIM_400000_NS6detail17trampoline_kernelINS0_14default_configENS1_25partition_config_selectorILNS1_17partition_subalgoE1EsNS0_10empty_typeEbEEZZNS1_14partition_implILS5_1ELb0ES3_jN6thrust23THRUST_200600_302600_NS6detail15normal_iteratorINSA_10device_ptrIsEEEEPS6_NSA_18transform_iteratorI7is_evenIsESF_NSA_11use_defaultESK_EENS0_5tupleIJSF_NSA_16discard_iteratorISK_EEEEENSM_IJSG_SG_EEES6_PlJS6_EEE10hipError_tPvRmT3_T4_T5_T6_T7_T9_mT8_P12ihipStream_tbDpT10_ENKUlT_T0_E_clISt17integral_constantIbLb1EES1A_IbLb0EEEEDaS16_S17_EUlS16_E_NS1_11comp_targetILNS1_3genE2ELNS1_11target_archE906ELNS1_3gpuE6ELNS1_3repE0EEENS1_30default_config_static_selectorELNS0_4arch9wavefront6targetE1EEEvT1_
	.globl	_ZN7rocprim17ROCPRIM_400000_NS6detail17trampoline_kernelINS0_14default_configENS1_25partition_config_selectorILNS1_17partition_subalgoE1EsNS0_10empty_typeEbEEZZNS1_14partition_implILS5_1ELb0ES3_jN6thrust23THRUST_200600_302600_NS6detail15normal_iteratorINSA_10device_ptrIsEEEEPS6_NSA_18transform_iteratorI7is_evenIsESF_NSA_11use_defaultESK_EENS0_5tupleIJSF_NSA_16discard_iteratorISK_EEEEENSM_IJSG_SG_EEES6_PlJS6_EEE10hipError_tPvRmT3_T4_T5_T6_T7_T9_mT8_P12ihipStream_tbDpT10_ENKUlT_T0_E_clISt17integral_constantIbLb1EES1A_IbLb0EEEEDaS16_S17_EUlS16_E_NS1_11comp_targetILNS1_3genE2ELNS1_11target_archE906ELNS1_3gpuE6ELNS1_3repE0EEENS1_30default_config_static_selectorELNS0_4arch9wavefront6targetE1EEEvT1_
	.p2align	8
	.type	_ZN7rocprim17ROCPRIM_400000_NS6detail17trampoline_kernelINS0_14default_configENS1_25partition_config_selectorILNS1_17partition_subalgoE1EsNS0_10empty_typeEbEEZZNS1_14partition_implILS5_1ELb0ES3_jN6thrust23THRUST_200600_302600_NS6detail15normal_iteratorINSA_10device_ptrIsEEEEPS6_NSA_18transform_iteratorI7is_evenIsESF_NSA_11use_defaultESK_EENS0_5tupleIJSF_NSA_16discard_iteratorISK_EEEEENSM_IJSG_SG_EEES6_PlJS6_EEE10hipError_tPvRmT3_T4_T5_T6_T7_T9_mT8_P12ihipStream_tbDpT10_ENKUlT_T0_E_clISt17integral_constantIbLb1EES1A_IbLb0EEEEDaS16_S17_EUlS16_E_NS1_11comp_targetILNS1_3genE2ELNS1_11target_archE906ELNS1_3gpuE6ELNS1_3repE0EEENS1_30default_config_static_selectorELNS0_4arch9wavefront6targetE1EEEvT1_,@function
_ZN7rocprim17ROCPRIM_400000_NS6detail17trampoline_kernelINS0_14default_configENS1_25partition_config_selectorILNS1_17partition_subalgoE1EsNS0_10empty_typeEbEEZZNS1_14partition_implILS5_1ELb0ES3_jN6thrust23THRUST_200600_302600_NS6detail15normal_iteratorINSA_10device_ptrIsEEEEPS6_NSA_18transform_iteratorI7is_evenIsESF_NSA_11use_defaultESK_EENS0_5tupleIJSF_NSA_16discard_iteratorISK_EEEEENSM_IJSG_SG_EEES6_PlJS6_EEE10hipError_tPvRmT3_T4_T5_T6_T7_T9_mT8_P12ihipStream_tbDpT10_ENKUlT_T0_E_clISt17integral_constantIbLb1EES1A_IbLb0EEEEDaS16_S17_EUlS16_E_NS1_11comp_targetILNS1_3genE2ELNS1_11target_archE906ELNS1_3gpuE6ELNS1_3repE0EEENS1_30default_config_static_selectorELNS0_4arch9wavefront6targetE1EEEvT1_: ; @_ZN7rocprim17ROCPRIM_400000_NS6detail17trampoline_kernelINS0_14default_configENS1_25partition_config_selectorILNS1_17partition_subalgoE1EsNS0_10empty_typeEbEEZZNS1_14partition_implILS5_1ELb0ES3_jN6thrust23THRUST_200600_302600_NS6detail15normal_iteratorINSA_10device_ptrIsEEEEPS6_NSA_18transform_iteratorI7is_evenIsESF_NSA_11use_defaultESK_EENS0_5tupleIJSF_NSA_16discard_iteratorISK_EEEEENSM_IJSG_SG_EEES6_PlJS6_EEE10hipError_tPvRmT3_T4_T5_T6_T7_T9_mT8_P12ihipStream_tbDpT10_ENKUlT_T0_E_clISt17integral_constantIbLb1EES1A_IbLb0EEEEDaS16_S17_EUlS16_E_NS1_11comp_targetILNS1_3genE2ELNS1_11target_archE906ELNS1_3gpuE6ELNS1_3repE0EEENS1_30default_config_static_selectorELNS0_4arch9wavefront6targetE1EEEvT1_
; %bb.0:
	.section	.rodata,"a",@progbits
	.p2align	6, 0x0
	.amdhsa_kernel _ZN7rocprim17ROCPRIM_400000_NS6detail17trampoline_kernelINS0_14default_configENS1_25partition_config_selectorILNS1_17partition_subalgoE1EsNS0_10empty_typeEbEEZZNS1_14partition_implILS5_1ELb0ES3_jN6thrust23THRUST_200600_302600_NS6detail15normal_iteratorINSA_10device_ptrIsEEEEPS6_NSA_18transform_iteratorI7is_evenIsESF_NSA_11use_defaultESK_EENS0_5tupleIJSF_NSA_16discard_iteratorISK_EEEEENSM_IJSG_SG_EEES6_PlJS6_EEE10hipError_tPvRmT3_T4_T5_T6_T7_T9_mT8_P12ihipStream_tbDpT10_ENKUlT_T0_E_clISt17integral_constantIbLb1EES1A_IbLb0EEEEDaS16_S17_EUlS16_E_NS1_11comp_targetILNS1_3genE2ELNS1_11target_archE906ELNS1_3gpuE6ELNS1_3repE0EEENS1_30default_config_static_selectorELNS0_4arch9wavefront6targetE1EEEvT1_
		.amdhsa_group_segment_fixed_size 0
		.amdhsa_private_segment_fixed_size 0
		.amdhsa_kernarg_size 136
		.amdhsa_user_sgpr_count 2
		.amdhsa_user_sgpr_dispatch_ptr 0
		.amdhsa_user_sgpr_queue_ptr 0
		.amdhsa_user_sgpr_kernarg_segment_ptr 1
		.amdhsa_user_sgpr_dispatch_id 0
		.amdhsa_user_sgpr_kernarg_preload_length 0
		.amdhsa_user_sgpr_kernarg_preload_offset 0
		.amdhsa_user_sgpr_private_segment_size 0
		.amdhsa_uses_dynamic_stack 0
		.amdhsa_enable_private_segment 0
		.amdhsa_system_sgpr_workgroup_id_x 1
		.amdhsa_system_sgpr_workgroup_id_y 0
		.amdhsa_system_sgpr_workgroup_id_z 0
		.amdhsa_system_sgpr_workgroup_info 0
		.amdhsa_system_vgpr_workitem_id 0
		.amdhsa_next_free_vgpr 1
		.amdhsa_next_free_sgpr 0
		.amdhsa_accum_offset 4
		.amdhsa_reserve_vcc 0
		.amdhsa_float_round_mode_32 0
		.amdhsa_float_round_mode_16_64 0
		.amdhsa_float_denorm_mode_32 3
		.amdhsa_float_denorm_mode_16_64 3
		.amdhsa_dx10_clamp 1
		.amdhsa_ieee_mode 1
		.amdhsa_fp16_overflow 0
		.amdhsa_tg_split 0
		.amdhsa_exception_fp_ieee_invalid_op 0
		.amdhsa_exception_fp_denorm_src 0
		.amdhsa_exception_fp_ieee_div_zero 0
		.amdhsa_exception_fp_ieee_overflow 0
		.amdhsa_exception_fp_ieee_underflow 0
		.amdhsa_exception_fp_ieee_inexact 0
		.amdhsa_exception_int_div_zero 0
	.end_amdhsa_kernel
	.section	.text._ZN7rocprim17ROCPRIM_400000_NS6detail17trampoline_kernelINS0_14default_configENS1_25partition_config_selectorILNS1_17partition_subalgoE1EsNS0_10empty_typeEbEEZZNS1_14partition_implILS5_1ELb0ES3_jN6thrust23THRUST_200600_302600_NS6detail15normal_iteratorINSA_10device_ptrIsEEEEPS6_NSA_18transform_iteratorI7is_evenIsESF_NSA_11use_defaultESK_EENS0_5tupleIJSF_NSA_16discard_iteratorISK_EEEEENSM_IJSG_SG_EEES6_PlJS6_EEE10hipError_tPvRmT3_T4_T5_T6_T7_T9_mT8_P12ihipStream_tbDpT10_ENKUlT_T0_E_clISt17integral_constantIbLb1EES1A_IbLb0EEEEDaS16_S17_EUlS16_E_NS1_11comp_targetILNS1_3genE2ELNS1_11target_archE906ELNS1_3gpuE6ELNS1_3repE0EEENS1_30default_config_static_selectorELNS0_4arch9wavefront6targetE1EEEvT1_,"axG",@progbits,_ZN7rocprim17ROCPRIM_400000_NS6detail17trampoline_kernelINS0_14default_configENS1_25partition_config_selectorILNS1_17partition_subalgoE1EsNS0_10empty_typeEbEEZZNS1_14partition_implILS5_1ELb0ES3_jN6thrust23THRUST_200600_302600_NS6detail15normal_iteratorINSA_10device_ptrIsEEEEPS6_NSA_18transform_iteratorI7is_evenIsESF_NSA_11use_defaultESK_EENS0_5tupleIJSF_NSA_16discard_iteratorISK_EEEEENSM_IJSG_SG_EEES6_PlJS6_EEE10hipError_tPvRmT3_T4_T5_T6_T7_T9_mT8_P12ihipStream_tbDpT10_ENKUlT_T0_E_clISt17integral_constantIbLb1EES1A_IbLb0EEEEDaS16_S17_EUlS16_E_NS1_11comp_targetILNS1_3genE2ELNS1_11target_archE906ELNS1_3gpuE6ELNS1_3repE0EEENS1_30default_config_static_selectorELNS0_4arch9wavefront6targetE1EEEvT1_,comdat
.Lfunc_end3407:
	.size	_ZN7rocprim17ROCPRIM_400000_NS6detail17trampoline_kernelINS0_14default_configENS1_25partition_config_selectorILNS1_17partition_subalgoE1EsNS0_10empty_typeEbEEZZNS1_14partition_implILS5_1ELb0ES3_jN6thrust23THRUST_200600_302600_NS6detail15normal_iteratorINSA_10device_ptrIsEEEEPS6_NSA_18transform_iteratorI7is_evenIsESF_NSA_11use_defaultESK_EENS0_5tupleIJSF_NSA_16discard_iteratorISK_EEEEENSM_IJSG_SG_EEES6_PlJS6_EEE10hipError_tPvRmT3_T4_T5_T6_T7_T9_mT8_P12ihipStream_tbDpT10_ENKUlT_T0_E_clISt17integral_constantIbLb1EES1A_IbLb0EEEEDaS16_S17_EUlS16_E_NS1_11comp_targetILNS1_3genE2ELNS1_11target_archE906ELNS1_3gpuE6ELNS1_3repE0EEENS1_30default_config_static_selectorELNS0_4arch9wavefront6targetE1EEEvT1_, .Lfunc_end3407-_ZN7rocprim17ROCPRIM_400000_NS6detail17trampoline_kernelINS0_14default_configENS1_25partition_config_selectorILNS1_17partition_subalgoE1EsNS0_10empty_typeEbEEZZNS1_14partition_implILS5_1ELb0ES3_jN6thrust23THRUST_200600_302600_NS6detail15normal_iteratorINSA_10device_ptrIsEEEEPS6_NSA_18transform_iteratorI7is_evenIsESF_NSA_11use_defaultESK_EENS0_5tupleIJSF_NSA_16discard_iteratorISK_EEEEENSM_IJSG_SG_EEES6_PlJS6_EEE10hipError_tPvRmT3_T4_T5_T6_T7_T9_mT8_P12ihipStream_tbDpT10_ENKUlT_T0_E_clISt17integral_constantIbLb1EES1A_IbLb0EEEEDaS16_S17_EUlS16_E_NS1_11comp_targetILNS1_3genE2ELNS1_11target_archE906ELNS1_3gpuE6ELNS1_3repE0EEENS1_30default_config_static_selectorELNS0_4arch9wavefront6targetE1EEEvT1_
                                        ; -- End function
	.section	.AMDGPU.csdata,"",@progbits
; Kernel info:
; codeLenInByte = 0
; NumSgprs: 6
; NumVgprs: 0
; NumAgprs: 0
; TotalNumVgprs: 0
; ScratchSize: 0
; MemoryBound: 0
; FloatMode: 240
; IeeeMode: 1
; LDSByteSize: 0 bytes/workgroup (compile time only)
; SGPRBlocks: 0
; VGPRBlocks: 0
; NumSGPRsForWavesPerEU: 6
; NumVGPRsForWavesPerEU: 1
; AccumOffset: 4
; Occupancy: 8
; WaveLimiterHint : 0
; COMPUTE_PGM_RSRC2:SCRATCH_EN: 0
; COMPUTE_PGM_RSRC2:USER_SGPR: 2
; COMPUTE_PGM_RSRC2:TRAP_HANDLER: 0
; COMPUTE_PGM_RSRC2:TGID_X_EN: 1
; COMPUTE_PGM_RSRC2:TGID_Y_EN: 0
; COMPUTE_PGM_RSRC2:TGID_Z_EN: 0
; COMPUTE_PGM_RSRC2:TIDIG_COMP_CNT: 0
; COMPUTE_PGM_RSRC3_GFX90A:ACCUM_OFFSET: 0
; COMPUTE_PGM_RSRC3_GFX90A:TG_SPLIT: 0
	.section	.text._ZN7rocprim17ROCPRIM_400000_NS6detail17trampoline_kernelINS0_14default_configENS1_25partition_config_selectorILNS1_17partition_subalgoE1EsNS0_10empty_typeEbEEZZNS1_14partition_implILS5_1ELb0ES3_jN6thrust23THRUST_200600_302600_NS6detail15normal_iteratorINSA_10device_ptrIsEEEEPS6_NSA_18transform_iteratorI7is_evenIsESF_NSA_11use_defaultESK_EENS0_5tupleIJSF_NSA_16discard_iteratorISK_EEEEENSM_IJSG_SG_EEES6_PlJS6_EEE10hipError_tPvRmT3_T4_T5_T6_T7_T9_mT8_P12ihipStream_tbDpT10_ENKUlT_T0_E_clISt17integral_constantIbLb1EES1A_IbLb0EEEEDaS16_S17_EUlS16_E_NS1_11comp_targetILNS1_3genE10ELNS1_11target_archE1200ELNS1_3gpuE4ELNS1_3repE0EEENS1_30default_config_static_selectorELNS0_4arch9wavefront6targetE1EEEvT1_,"axG",@progbits,_ZN7rocprim17ROCPRIM_400000_NS6detail17trampoline_kernelINS0_14default_configENS1_25partition_config_selectorILNS1_17partition_subalgoE1EsNS0_10empty_typeEbEEZZNS1_14partition_implILS5_1ELb0ES3_jN6thrust23THRUST_200600_302600_NS6detail15normal_iteratorINSA_10device_ptrIsEEEEPS6_NSA_18transform_iteratorI7is_evenIsESF_NSA_11use_defaultESK_EENS0_5tupleIJSF_NSA_16discard_iteratorISK_EEEEENSM_IJSG_SG_EEES6_PlJS6_EEE10hipError_tPvRmT3_T4_T5_T6_T7_T9_mT8_P12ihipStream_tbDpT10_ENKUlT_T0_E_clISt17integral_constantIbLb1EES1A_IbLb0EEEEDaS16_S17_EUlS16_E_NS1_11comp_targetILNS1_3genE10ELNS1_11target_archE1200ELNS1_3gpuE4ELNS1_3repE0EEENS1_30default_config_static_selectorELNS0_4arch9wavefront6targetE1EEEvT1_,comdat
	.protected	_ZN7rocprim17ROCPRIM_400000_NS6detail17trampoline_kernelINS0_14default_configENS1_25partition_config_selectorILNS1_17partition_subalgoE1EsNS0_10empty_typeEbEEZZNS1_14partition_implILS5_1ELb0ES3_jN6thrust23THRUST_200600_302600_NS6detail15normal_iteratorINSA_10device_ptrIsEEEEPS6_NSA_18transform_iteratorI7is_evenIsESF_NSA_11use_defaultESK_EENS0_5tupleIJSF_NSA_16discard_iteratorISK_EEEEENSM_IJSG_SG_EEES6_PlJS6_EEE10hipError_tPvRmT3_T4_T5_T6_T7_T9_mT8_P12ihipStream_tbDpT10_ENKUlT_T0_E_clISt17integral_constantIbLb1EES1A_IbLb0EEEEDaS16_S17_EUlS16_E_NS1_11comp_targetILNS1_3genE10ELNS1_11target_archE1200ELNS1_3gpuE4ELNS1_3repE0EEENS1_30default_config_static_selectorELNS0_4arch9wavefront6targetE1EEEvT1_ ; -- Begin function _ZN7rocprim17ROCPRIM_400000_NS6detail17trampoline_kernelINS0_14default_configENS1_25partition_config_selectorILNS1_17partition_subalgoE1EsNS0_10empty_typeEbEEZZNS1_14partition_implILS5_1ELb0ES3_jN6thrust23THRUST_200600_302600_NS6detail15normal_iteratorINSA_10device_ptrIsEEEEPS6_NSA_18transform_iteratorI7is_evenIsESF_NSA_11use_defaultESK_EENS0_5tupleIJSF_NSA_16discard_iteratorISK_EEEEENSM_IJSG_SG_EEES6_PlJS6_EEE10hipError_tPvRmT3_T4_T5_T6_T7_T9_mT8_P12ihipStream_tbDpT10_ENKUlT_T0_E_clISt17integral_constantIbLb1EES1A_IbLb0EEEEDaS16_S17_EUlS16_E_NS1_11comp_targetILNS1_3genE10ELNS1_11target_archE1200ELNS1_3gpuE4ELNS1_3repE0EEENS1_30default_config_static_selectorELNS0_4arch9wavefront6targetE1EEEvT1_
	.globl	_ZN7rocprim17ROCPRIM_400000_NS6detail17trampoline_kernelINS0_14default_configENS1_25partition_config_selectorILNS1_17partition_subalgoE1EsNS0_10empty_typeEbEEZZNS1_14partition_implILS5_1ELb0ES3_jN6thrust23THRUST_200600_302600_NS6detail15normal_iteratorINSA_10device_ptrIsEEEEPS6_NSA_18transform_iteratorI7is_evenIsESF_NSA_11use_defaultESK_EENS0_5tupleIJSF_NSA_16discard_iteratorISK_EEEEENSM_IJSG_SG_EEES6_PlJS6_EEE10hipError_tPvRmT3_T4_T5_T6_T7_T9_mT8_P12ihipStream_tbDpT10_ENKUlT_T0_E_clISt17integral_constantIbLb1EES1A_IbLb0EEEEDaS16_S17_EUlS16_E_NS1_11comp_targetILNS1_3genE10ELNS1_11target_archE1200ELNS1_3gpuE4ELNS1_3repE0EEENS1_30default_config_static_selectorELNS0_4arch9wavefront6targetE1EEEvT1_
	.p2align	8
	.type	_ZN7rocprim17ROCPRIM_400000_NS6detail17trampoline_kernelINS0_14default_configENS1_25partition_config_selectorILNS1_17partition_subalgoE1EsNS0_10empty_typeEbEEZZNS1_14partition_implILS5_1ELb0ES3_jN6thrust23THRUST_200600_302600_NS6detail15normal_iteratorINSA_10device_ptrIsEEEEPS6_NSA_18transform_iteratorI7is_evenIsESF_NSA_11use_defaultESK_EENS0_5tupleIJSF_NSA_16discard_iteratorISK_EEEEENSM_IJSG_SG_EEES6_PlJS6_EEE10hipError_tPvRmT3_T4_T5_T6_T7_T9_mT8_P12ihipStream_tbDpT10_ENKUlT_T0_E_clISt17integral_constantIbLb1EES1A_IbLb0EEEEDaS16_S17_EUlS16_E_NS1_11comp_targetILNS1_3genE10ELNS1_11target_archE1200ELNS1_3gpuE4ELNS1_3repE0EEENS1_30default_config_static_selectorELNS0_4arch9wavefront6targetE1EEEvT1_,@function
_ZN7rocprim17ROCPRIM_400000_NS6detail17trampoline_kernelINS0_14default_configENS1_25partition_config_selectorILNS1_17partition_subalgoE1EsNS0_10empty_typeEbEEZZNS1_14partition_implILS5_1ELb0ES3_jN6thrust23THRUST_200600_302600_NS6detail15normal_iteratorINSA_10device_ptrIsEEEEPS6_NSA_18transform_iteratorI7is_evenIsESF_NSA_11use_defaultESK_EENS0_5tupleIJSF_NSA_16discard_iteratorISK_EEEEENSM_IJSG_SG_EEES6_PlJS6_EEE10hipError_tPvRmT3_T4_T5_T6_T7_T9_mT8_P12ihipStream_tbDpT10_ENKUlT_T0_E_clISt17integral_constantIbLb1EES1A_IbLb0EEEEDaS16_S17_EUlS16_E_NS1_11comp_targetILNS1_3genE10ELNS1_11target_archE1200ELNS1_3gpuE4ELNS1_3repE0EEENS1_30default_config_static_selectorELNS0_4arch9wavefront6targetE1EEEvT1_: ; @_ZN7rocprim17ROCPRIM_400000_NS6detail17trampoline_kernelINS0_14default_configENS1_25partition_config_selectorILNS1_17partition_subalgoE1EsNS0_10empty_typeEbEEZZNS1_14partition_implILS5_1ELb0ES3_jN6thrust23THRUST_200600_302600_NS6detail15normal_iteratorINSA_10device_ptrIsEEEEPS6_NSA_18transform_iteratorI7is_evenIsESF_NSA_11use_defaultESK_EENS0_5tupleIJSF_NSA_16discard_iteratorISK_EEEEENSM_IJSG_SG_EEES6_PlJS6_EEE10hipError_tPvRmT3_T4_T5_T6_T7_T9_mT8_P12ihipStream_tbDpT10_ENKUlT_T0_E_clISt17integral_constantIbLb1EES1A_IbLb0EEEEDaS16_S17_EUlS16_E_NS1_11comp_targetILNS1_3genE10ELNS1_11target_archE1200ELNS1_3gpuE4ELNS1_3repE0EEENS1_30default_config_static_selectorELNS0_4arch9wavefront6targetE1EEEvT1_
; %bb.0:
	.section	.rodata,"a",@progbits
	.p2align	6, 0x0
	.amdhsa_kernel _ZN7rocprim17ROCPRIM_400000_NS6detail17trampoline_kernelINS0_14default_configENS1_25partition_config_selectorILNS1_17partition_subalgoE1EsNS0_10empty_typeEbEEZZNS1_14partition_implILS5_1ELb0ES3_jN6thrust23THRUST_200600_302600_NS6detail15normal_iteratorINSA_10device_ptrIsEEEEPS6_NSA_18transform_iteratorI7is_evenIsESF_NSA_11use_defaultESK_EENS0_5tupleIJSF_NSA_16discard_iteratorISK_EEEEENSM_IJSG_SG_EEES6_PlJS6_EEE10hipError_tPvRmT3_T4_T5_T6_T7_T9_mT8_P12ihipStream_tbDpT10_ENKUlT_T0_E_clISt17integral_constantIbLb1EES1A_IbLb0EEEEDaS16_S17_EUlS16_E_NS1_11comp_targetILNS1_3genE10ELNS1_11target_archE1200ELNS1_3gpuE4ELNS1_3repE0EEENS1_30default_config_static_selectorELNS0_4arch9wavefront6targetE1EEEvT1_
		.amdhsa_group_segment_fixed_size 0
		.amdhsa_private_segment_fixed_size 0
		.amdhsa_kernarg_size 136
		.amdhsa_user_sgpr_count 2
		.amdhsa_user_sgpr_dispatch_ptr 0
		.amdhsa_user_sgpr_queue_ptr 0
		.amdhsa_user_sgpr_kernarg_segment_ptr 1
		.amdhsa_user_sgpr_dispatch_id 0
		.amdhsa_user_sgpr_kernarg_preload_length 0
		.amdhsa_user_sgpr_kernarg_preload_offset 0
		.amdhsa_user_sgpr_private_segment_size 0
		.amdhsa_uses_dynamic_stack 0
		.amdhsa_enable_private_segment 0
		.amdhsa_system_sgpr_workgroup_id_x 1
		.amdhsa_system_sgpr_workgroup_id_y 0
		.amdhsa_system_sgpr_workgroup_id_z 0
		.amdhsa_system_sgpr_workgroup_info 0
		.amdhsa_system_vgpr_workitem_id 0
		.amdhsa_next_free_vgpr 1
		.amdhsa_next_free_sgpr 0
		.amdhsa_accum_offset 4
		.amdhsa_reserve_vcc 0
		.amdhsa_float_round_mode_32 0
		.amdhsa_float_round_mode_16_64 0
		.amdhsa_float_denorm_mode_32 3
		.amdhsa_float_denorm_mode_16_64 3
		.amdhsa_dx10_clamp 1
		.amdhsa_ieee_mode 1
		.amdhsa_fp16_overflow 0
		.amdhsa_tg_split 0
		.amdhsa_exception_fp_ieee_invalid_op 0
		.amdhsa_exception_fp_denorm_src 0
		.amdhsa_exception_fp_ieee_div_zero 0
		.amdhsa_exception_fp_ieee_overflow 0
		.amdhsa_exception_fp_ieee_underflow 0
		.amdhsa_exception_fp_ieee_inexact 0
		.amdhsa_exception_int_div_zero 0
	.end_amdhsa_kernel
	.section	.text._ZN7rocprim17ROCPRIM_400000_NS6detail17trampoline_kernelINS0_14default_configENS1_25partition_config_selectorILNS1_17partition_subalgoE1EsNS0_10empty_typeEbEEZZNS1_14partition_implILS5_1ELb0ES3_jN6thrust23THRUST_200600_302600_NS6detail15normal_iteratorINSA_10device_ptrIsEEEEPS6_NSA_18transform_iteratorI7is_evenIsESF_NSA_11use_defaultESK_EENS0_5tupleIJSF_NSA_16discard_iteratorISK_EEEEENSM_IJSG_SG_EEES6_PlJS6_EEE10hipError_tPvRmT3_T4_T5_T6_T7_T9_mT8_P12ihipStream_tbDpT10_ENKUlT_T0_E_clISt17integral_constantIbLb1EES1A_IbLb0EEEEDaS16_S17_EUlS16_E_NS1_11comp_targetILNS1_3genE10ELNS1_11target_archE1200ELNS1_3gpuE4ELNS1_3repE0EEENS1_30default_config_static_selectorELNS0_4arch9wavefront6targetE1EEEvT1_,"axG",@progbits,_ZN7rocprim17ROCPRIM_400000_NS6detail17trampoline_kernelINS0_14default_configENS1_25partition_config_selectorILNS1_17partition_subalgoE1EsNS0_10empty_typeEbEEZZNS1_14partition_implILS5_1ELb0ES3_jN6thrust23THRUST_200600_302600_NS6detail15normal_iteratorINSA_10device_ptrIsEEEEPS6_NSA_18transform_iteratorI7is_evenIsESF_NSA_11use_defaultESK_EENS0_5tupleIJSF_NSA_16discard_iteratorISK_EEEEENSM_IJSG_SG_EEES6_PlJS6_EEE10hipError_tPvRmT3_T4_T5_T6_T7_T9_mT8_P12ihipStream_tbDpT10_ENKUlT_T0_E_clISt17integral_constantIbLb1EES1A_IbLb0EEEEDaS16_S17_EUlS16_E_NS1_11comp_targetILNS1_3genE10ELNS1_11target_archE1200ELNS1_3gpuE4ELNS1_3repE0EEENS1_30default_config_static_selectorELNS0_4arch9wavefront6targetE1EEEvT1_,comdat
.Lfunc_end3408:
	.size	_ZN7rocprim17ROCPRIM_400000_NS6detail17trampoline_kernelINS0_14default_configENS1_25partition_config_selectorILNS1_17partition_subalgoE1EsNS0_10empty_typeEbEEZZNS1_14partition_implILS5_1ELb0ES3_jN6thrust23THRUST_200600_302600_NS6detail15normal_iteratorINSA_10device_ptrIsEEEEPS6_NSA_18transform_iteratorI7is_evenIsESF_NSA_11use_defaultESK_EENS0_5tupleIJSF_NSA_16discard_iteratorISK_EEEEENSM_IJSG_SG_EEES6_PlJS6_EEE10hipError_tPvRmT3_T4_T5_T6_T7_T9_mT8_P12ihipStream_tbDpT10_ENKUlT_T0_E_clISt17integral_constantIbLb1EES1A_IbLb0EEEEDaS16_S17_EUlS16_E_NS1_11comp_targetILNS1_3genE10ELNS1_11target_archE1200ELNS1_3gpuE4ELNS1_3repE0EEENS1_30default_config_static_selectorELNS0_4arch9wavefront6targetE1EEEvT1_, .Lfunc_end3408-_ZN7rocprim17ROCPRIM_400000_NS6detail17trampoline_kernelINS0_14default_configENS1_25partition_config_selectorILNS1_17partition_subalgoE1EsNS0_10empty_typeEbEEZZNS1_14partition_implILS5_1ELb0ES3_jN6thrust23THRUST_200600_302600_NS6detail15normal_iteratorINSA_10device_ptrIsEEEEPS6_NSA_18transform_iteratorI7is_evenIsESF_NSA_11use_defaultESK_EENS0_5tupleIJSF_NSA_16discard_iteratorISK_EEEEENSM_IJSG_SG_EEES6_PlJS6_EEE10hipError_tPvRmT3_T4_T5_T6_T7_T9_mT8_P12ihipStream_tbDpT10_ENKUlT_T0_E_clISt17integral_constantIbLb1EES1A_IbLb0EEEEDaS16_S17_EUlS16_E_NS1_11comp_targetILNS1_3genE10ELNS1_11target_archE1200ELNS1_3gpuE4ELNS1_3repE0EEENS1_30default_config_static_selectorELNS0_4arch9wavefront6targetE1EEEvT1_
                                        ; -- End function
	.section	.AMDGPU.csdata,"",@progbits
; Kernel info:
; codeLenInByte = 0
; NumSgprs: 6
; NumVgprs: 0
; NumAgprs: 0
; TotalNumVgprs: 0
; ScratchSize: 0
; MemoryBound: 0
; FloatMode: 240
; IeeeMode: 1
; LDSByteSize: 0 bytes/workgroup (compile time only)
; SGPRBlocks: 0
; VGPRBlocks: 0
; NumSGPRsForWavesPerEU: 6
; NumVGPRsForWavesPerEU: 1
; AccumOffset: 4
; Occupancy: 8
; WaveLimiterHint : 0
; COMPUTE_PGM_RSRC2:SCRATCH_EN: 0
; COMPUTE_PGM_RSRC2:USER_SGPR: 2
; COMPUTE_PGM_RSRC2:TRAP_HANDLER: 0
; COMPUTE_PGM_RSRC2:TGID_X_EN: 1
; COMPUTE_PGM_RSRC2:TGID_Y_EN: 0
; COMPUTE_PGM_RSRC2:TGID_Z_EN: 0
; COMPUTE_PGM_RSRC2:TIDIG_COMP_CNT: 0
; COMPUTE_PGM_RSRC3_GFX90A:ACCUM_OFFSET: 0
; COMPUTE_PGM_RSRC3_GFX90A:TG_SPLIT: 0
	.section	.text._ZN7rocprim17ROCPRIM_400000_NS6detail17trampoline_kernelINS0_14default_configENS1_25partition_config_selectorILNS1_17partition_subalgoE1EsNS0_10empty_typeEbEEZZNS1_14partition_implILS5_1ELb0ES3_jN6thrust23THRUST_200600_302600_NS6detail15normal_iteratorINSA_10device_ptrIsEEEEPS6_NSA_18transform_iteratorI7is_evenIsESF_NSA_11use_defaultESK_EENS0_5tupleIJSF_NSA_16discard_iteratorISK_EEEEENSM_IJSG_SG_EEES6_PlJS6_EEE10hipError_tPvRmT3_T4_T5_T6_T7_T9_mT8_P12ihipStream_tbDpT10_ENKUlT_T0_E_clISt17integral_constantIbLb1EES1A_IbLb0EEEEDaS16_S17_EUlS16_E_NS1_11comp_targetILNS1_3genE9ELNS1_11target_archE1100ELNS1_3gpuE3ELNS1_3repE0EEENS1_30default_config_static_selectorELNS0_4arch9wavefront6targetE1EEEvT1_,"axG",@progbits,_ZN7rocprim17ROCPRIM_400000_NS6detail17trampoline_kernelINS0_14default_configENS1_25partition_config_selectorILNS1_17partition_subalgoE1EsNS0_10empty_typeEbEEZZNS1_14partition_implILS5_1ELb0ES3_jN6thrust23THRUST_200600_302600_NS6detail15normal_iteratorINSA_10device_ptrIsEEEEPS6_NSA_18transform_iteratorI7is_evenIsESF_NSA_11use_defaultESK_EENS0_5tupleIJSF_NSA_16discard_iteratorISK_EEEEENSM_IJSG_SG_EEES6_PlJS6_EEE10hipError_tPvRmT3_T4_T5_T6_T7_T9_mT8_P12ihipStream_tbDpT10_ENKUlT_T0_E_clISt17integral_constantIbLb1EES1A_IbLb0EEEEDaS16_S17_EUlS16_E_NS1_11comp_targetILNS1_3genE9ELNS1_11target_archE1100ELNS1_3gpuE3ELNS1_3repE0EEENS1_30default_config_static_selectorELNS0_4arch9wavefront6targetE1EEEvT1_,comdat
	.protected	_ZN7rocprim17ROCPRIM_400000_NS6detail17trampoline_kernelINS0_14default_configENS1_25partition_config_selectorILNS1_17partition_subalgoE1EsNS0_10empty_typeEbEEZZNS1_14partition_implILS5_1ELb0ES3_jN6thrust23THRUST_200600_302600_NS6detail15normal_iteratorINSA_10device_ptrIsEEEEPS6_NSA_18transform_iteratorI7is_evenIsESF_NSA_11use_defaultESK_EENS0_5tupleIJSF_NSA_16discard_iteratorISK_EEEEENSM_IJSG_SG_EEES6_PlJS6_EEE10hipError_tPvRmT3_T4_T5_T6_T7_T9_mT8_P12ihipStream_tbDpT10_ENKUlT_T0_E_clISt17integral_constantIbLb1EES1A_IbLb0EEEEDaS16_S17_EUlS16_E_NS1_11comp_targetILNS1_3genE9ELNS1_11target_archE1100ELNS1_3gpuE3ELNS1_3repE0EEENS1_30default_config_static_selectorELNS0_4arch9wavefront6targetE1EEEvT1_ ; -- Begin function _ZN7rocprim17ROCPRIM_400000_NS6detail17trampoline_kernelINS0_14default_configENS1_25partition_config_selectorILNS1_17partition_subalgoE1EsNS0_10empty_typeEbEEZZNS1_14partition_implILS5_1ELb0ES3_jN6thrust23THRUST_200600_302600_NS6detail15normal_iteratorINSA_10device_ptrIsEEEEPS6_NSA_18transform_iteratorI7is_evenIsESF_NSA_11use_defaultESK_EENS0_5tupleIJSF_NSA_16discard_iteratorISK_EEEEENSM_IJSG_SG_EEES6_PlJS6_EEE10hipError_tPvRmT3_T4_T5_T6_T7_T9_mT8_P12ihipStream_tbDpT10_ENKUlT_T0_E_clISt17integral_constantIbLb1EES1A_IbLb0EEEEDaS16_S17_EUlS16_E_NS1_11comp_targetILNS1_3genE9ELNS1_11target_archE1100ELNS1_3gpuE3ELNS1_3repE0EEENS1_30default_config_static_selectorELNS0_4arch9wavefront6targetE1EEEvT1_
	.globl	_ZN7rocprim17ROCPRIM_400000_NS6detail17trampoline_kernelINS0_14default_configENS1_25partition_config_selectorILNS1_17partition_subalgoE1EsNS0_10empty_typeEbEEZZNS1_14partition_implILS5_1ELb0ES3_jN6thrust23THRUST_200600_302600_NS6detail15normal_iteratorINSA_10device_ptrIsEEEEPS6_NSA_18transform_iteratorI7is_evenIsESF_NSA_11use_defaultESK_EENS0_5tupleIJSF_NSA_16discard_iteratorISK_EEEEENSM_IJSG_SG_EEES6_PlJS6_EEE10hipError_tPvRmT3_T4_T5_T6_T7_T9_mT8_P12ihipStream_tbDpT10_ENKUlT_T0_E_clISt17integral_constantIbLb1EES1A_IbLb0EEEEDaS16_S17_EUlS16_E_NS1_11comp_targetILNS1_3genE9ELNS1_11target_archE1100ELNS1_3gpuE3ELNS1_3repE0EEENS1_30default_config_static_selectorELNS0_4arch9wavefront6targetE1EEEvT1_
	.p2align	8
	.type	_ZN7rocprim17ROCPRIM_400000_NS6detail17trampoline_kernelINS0_14default_configENS1_25partition_config_selectorILNS1_17partition_subalgoE1EsNS0_10empty_typeEbEEZZNS1_14partition_implILS5_1ELb0ES3_jN6thrust23THRUST_200600_302600_NS6detail15normal_iteratorINSA_10device_ptrIsEEEEPS6_NSA_18transform_iteratorI7is_evenIsESF_NSA_11use_defaultESK_EENS0_5tupleIJSF_NSA_16discard_iteratorISK_EEEEENSM_IJSG_SG_EEES6_PlJS6_EEE10hipError_tPvRmT3_T4_T5_T6_T7_T9_mT8_P12ihipStream_tbDpT10_ENKUlT_T0_E_clISt17integral_constantIbLb1EES1A_IbLb0EEEEDaS16_S17_EUlS16_E_NS1_11comp_targetILNS1_3genE9ELNS1_11target_archE1100ELNS1_3gpuE3ELNS1_3repE0EEENS1_30default_config_static_selectorELNS0_4arch9wavefront6targetE1EEEvT1_,@function
_ZN7rocprim17ROCPRIM_400000_NS6detail17trampoline_kernelINS0_14default_configENS1_25partition_config_selectorILNS1_17partition_subalgoE1EsNS0_10empty_typeEbEEZZNS1_14partition_implILS5_1ELb0ES3_jN6thrust23THRUST_200600_302600_NS6detail15normal_iteratorINSA_10device_ptrIsEEEEPS6_NSA_18transform_iteratorI7is_evenIsESF_NSA_11use_defaultESK_EENS0_5tupleIJSF_NSA_16discard_iteratorISK_EEEEENSM_IJSG_SG_EEES6_PlJS6_EEE10hipError_tPvRmT3_T4_T5_T6_T7_T9_mT8_P12ihipStream_tbDpT10_ENKUlT_T0_E_clISt17integral_constantIbLb1EES1A_IbLb0EEEEDaS16_S17_EUlS16_E_NS1_11comp_targetILNS1_3genE9ELNS1_11target_archE1100ELNS1_3gpuE3ELNS1_3repE0EEENS1_30default_config_static_selectorELNS0_4arch9wavefront6targetE1EEEvT1_: ; @_ZN7rocprim17ROCPRIM_400000_NS6detail17trampoline_kernelINS0_14default_configENS1_25partition_config_selectorILNS1_17partition_subalgoE1EsNS0_10empty_typeEbEEZZNS1_14partition_implILS5_1ELb0ES3_jN6thrust23THRUST_200600_302600_NS6detail15normal_iteratorINSA_10device_ptrIsEEEEPS6_NSA_18transform_iteratorI7is_evenIsESF_NSA_11use_defaultESK_EENS0_5tupleIJSF_NSA_16discard_iteratorISK_EEEEENSM_IJSG_SG_EEES6_PlJS6_EEE10hipError_tPvRmT3_T4_T5_T6_T7_T9_mT8_P12ihipStream_tbDpT10_ENKUlT_T0_E_clISt17integral_constantIbLb1EES1A_IbLb0EEEEDaS16_S17_EUlS16_E_NS1_11comp_targetILNS1_3genE9ELNS1_11target_archE1100ELNS1_3gpuE3ELNS1_3repE0EEENS1_30default_config_static_selectorELNS0_4arch9wavefront6targetE1EEEvT1_
; %bb.0:
	.section	.rodata,"a",@progbits
	.p2align	6, 0x0
	.amdhsa_kernel _ZN7rocprim17ROCPRIM_400000_NS6detail17trampoline_kernelINS0_14default_configENS1_25partition_config_selectorILNS1_17partition_subalgoE1EsNS0_10empty_typeEbEEZZNS1_14partition_implILS5_1ELb0ES3_jN6thrust23THRUST_200600_302600_NS6detail15normal_iteratorINSA_10device_ptrIsEEEEPS6_NSA_18transform_iteratorI7is_evenIsESF_NSA_11use_defaultESK_EENS0_5tupleIJSF_NSA_16discard_iteratorISK_EEEEENSM_IJSG_SG_EEES6_PlJS6_EEE10hipError_tPvRmT3_T4_T5_T6_T7_T9_mT8_P12ihipStream_tbDpT10_ENKUlT_T0_E_clISt17integral_constantIbLb1EES1A_IbLb0EEEEDaS16_S17_EUlS16_E_NS1_11comp_targetILNS1_3genE9ELNS1_11target_archE1100ELNS1_3gpuE3ELNS1_3repE0EEENS1_30default_config_static_selectorELNS0_4arch9wavefront6targetE1EEEvT1_
		.amdhsa_group_segment_fixed_size 0
		.amdhsa_private_segment_fixed_size 0
		.amdhsa_kernarg_size 136
		.amdhsa_user_sgpr_count 2
		.amdhsa_user_sgpr_dispatch_ptr 0
		.amdhsa_user_sgpr_queue_ptr 0
		.amdhsa_user_sgpr_kernarg_segment_ptr 1
		.amdhsa_user_sgpr_dispatch_id 0
		.amdhsa_user_sgpr_kernarg_preload_length 0
		.amdhsa_user_sgpr_kernarg_preload_offset 0
		.amdhsa_user_sgpr_private_segment_size 0
		.amdhsa_uses_dynamic_stack 0
		.amdhsa_enable_private_segment 0
		.amdhsa_system_sgpr_workgroup_id_x 1
		.amdhsa_system_sgpr_workgroup_id_y 0
		.amdhsa_system_sgpr_workgroup_id_z 0
		.amdhsa_system_sgpr_workgroup_info 0
		.amdhsa_system_vgpr_workitem_id 0
		.amdhsa_next_free_vgpr 1
		.amdhsa_next_free_sgpr 0
		.amdhsa_accum_offset 4
		.amdhsa_reserve_vcc 0
		.amdhsa_float_round_mode_32 0
		.amdhsa_float_round_mode_16_64 0
		.amdhsa_float_denorm_mode_32 3
		.amdhsa_float_denorm_mode_16_64 3
		.amdhsa_dx10_clamp 1
		.amdhsa_ieee_mode 1
		.amdhsa_fp16_overflow 0
		.amdhsa_tg_split 0
		.amdhsa_exception_fp_ieee_invalid_op 0
		.amdhsa_exception_fp_denorm_src 0
		.amdhsa_exception_fp_ieee_div_zero 0
		.amdhsa_exception_fp_ieee_overflow 0
		.amdhsa_exception_fp_ieee_underflow 0
		.amdhsa_exception_fp_ieee_inexact 0
		.amdhsa_exception_int_div_zero 0
	.end_amdhsa_kernel
	.section	.text._ZN7rocprim17ROCPRIM_400000_NS6detail17trampoline_kernelINS0_14default_configENS1_25partition_config_selectorILNS1_17partition_subalgoE1EsNS0_10empty_typeEbEEZZNS1_14partition_implILS5_1ELb0ES3_jN6thrust23THRUST_200600_302600_NS6detail15normal_iteratorINSA_10device_ptrIsEEEEPS6_NSA_18transform_iteratorI7is_evenIsESF_NSA_11use_defaultESK_EENS0_5tupleIJSF_NSA_16discard_iteratorISK_EEEEENSM_IJSG_SG_EEES6_PlJS6_EEE10hipError_tPvRmT3_T4_T5_T6_T7_T9_mT8_P12ihipStream_tbDpT10_ENKUlT_T0_E_clISt17integral_constantIbLb1EES1A_IbLb0EEEEDaS16_S17_EUlS16_E_NS1_11comp_targetILNS1_3genE9ELNS1_11target_archE1100ELNS1_3gpuE3ELNS1_3repE0EEENS1_30default_config_static_selectorELNS0_4arch9wavefront6targetE1EEEvT1_,"axG",@progbits,_ZN7rocprim17ROCPRIM_400000_NS6detail17trampoline_kernelINS0_14default_configENS1_25partition_config_selectorILNS1_17partition_subalgoE1EsNS0_10empty_typeEbEEZZNS1_14partition_implILS5_1ELb0ES3_jN6thrust23THRUST_200600_302600_NS6detail15normal_iteratorINSA_10device_ptrIsEEEEPS6_NSA_18transform_iteratorI7is_evenIsESF_NSA_11use_defaultESK_EENS0_5tupleIJSF_NSA_16discard_iteratorISK_EEEEENSM_IJSG_SG_EEES6_PlJS6_EEE10hipError_tPvRmT3_T4_T5_T6_T7_T9_mT8_P12ihipStream_tbDpT10_ENKUlT_T0_E_clISt17integral_constantIbLb1EES1A_IbLb0EEEEDaS16_S17_EUlS16_E_NS1_11comp_targetILNS1_3genE9ELNS1_11target_archE1100ELNS1_3gpuE3ELNS1_3repE0EEENS1_30default_config_static_selectorELNS0_4arch9wavefront6targetE1EEEvT1_,comdat
.Lfunc_end3409:
	.size	_ZN7rocprim17ROCPRIM_400000_NS6detail17trampoline_kernelINS0_14default_configENS1_25partition_config_selectorILNS1_17partition_subalgoE1EsNS0_10empty_typeEbEEZZNS1_14partition_implILS5_1ELb0ES3_jN6thrust23THRUST_200600_302600_NS6detail15normal_iteratorINSA_10device_ptrIsEEEEPS6_NSA_18transform_iteratorI7is_evenIsESF_NSA_11use_defaultESK_EENS0_5tupleIJSF_NSA_16discard_iteratorISK_EEEEENSM_IJSG_SG_EEES6_PlJS6_EEE10hipError_tPvRmT3_T4_T5_T6_T7_T9_mT8_P12ihipStream_tbDpT10_ENKUlT_T0_E_clISt17integral_constantIbLb1EES1A_IbLb0EEEEDaS16_S17_EUlS16_E_NS1_11comp_targetILNS1_3genE9ELNS1_11target_archE1100ELNS1_3gpuE3ELNS1_3repE0EEENS1_30default_config_static_selectorELNS0_4arch9wavefront6targetE1EEEvT1_, .Lfunc_end3409-_ZN7rocprim17ROCPRIM_400000_NS6detail17trampoline_kernelINS0_14default_configENS1_25partition_config_selectorILNS1_17partition_subalgoE1EsNS0_10empty_typeEbEEZZNS1_14partition_implILS5_1ELb0ES3_jN6thrust23THRUST_200600_302600_NS6detail15normal_iteratorINSA_10device_ptrIsEEEEPS6_NSA_18transform_iteratorI7is_evenIsESF_NSA_11use_defaultESK_EENS0_5tupleIJSF_NSA_16discard_iteratorISK_EEEEENSM_IJSG_SG_EEES6_PlJS6_EEE10hipError_tPvRmT3_T4_T5_T6_T7_T9_mT8_P12ihipStream_tbDpT10_ENKUlT_T0_E_clISt17integral_constantIbLb1EES1A_IbLb0EEEEDaS16_S17_EUlS16_E_NS1_11comp_targetILNS1_3genE9ELNS1_11target_archE1100ELNS1_3gpuE3ELNS1_3repE0EEENS1_30default_config_static_selectorELNS0_4arch9wavefront6targetE1EEEvT1_
                                        ; -- End function
	.section	.AMDGPU.csdata,"",@progbits
; Kernel info:
; codeLenInByte = 0
; NumSgprs: 6
; NumVgprs: 0
; NumAgprs: 0
; TotalNumVgprs: 0
; ScratchSize: 0
; MemoryBound: 0
; FloatMode: 240
; IeeeMode: 1
; LDSByteSize: 0 bytes/workgroup (compile time only)
; SGPRBlocks: 0
; VGPRBlocks: 0
; NumSGPRsForWavesPerEU: 6
; NumVGPRsForWavesPerEU: 1
; AccumOffset: 4
; Occupancy: 8
; WaveLimiterHint : 0
; COMPUTE_PGM_RSRC2:SCRATCH_EN: 0
; COMPUTE_PGM_RSRC2:USER_SGPR: 2
; COMPUTE_PGM_RSRC2:TRAP_HANDLER: 0
; COMPUTE_PGM_RSRC2:TGID_X_EN: 1
; COMPUTE_PGM_RSRC2:TGID_Y_EN: 0
; COMPUTE_PGM_RSRC2:TGID_Z_EN: 0
; COMPUTE_PGM_RSRC2:TIDIG_COMP_CNT: 0
; COMPUTE_PGM_RSRC3_GFX90A:ACCUM_OFFSET: 0
; COMPUTE_PGM_RSRC3_GFX90A:TG_SPLIT: 0
	.section	.text._ZN7rocprim17ROCPRIM_400000_NS6detail17trampoline_kernelINS0_14default_configENS1_25partition_config_selectorILNS1_17partition_subalgoE1EsNS0_10empty_typeEbEEZZNS1_14partition_implILS5_1ELb0ES3_jN6thrust23THRUST_200600_302600_NS6detail15normal_iteratorINSA_10device_ptrIsEEEEPS6_NSA_18transform_iteratorI7is_evenIsESF_NSA_11use_defaultESK_EENS0_5tupleIJSF_NSA_16discard_iteratorISK_EEEEENSM_IJSG_SG_EEES6_PlJS6_EEE10hipError_tPvRmT3_T4_T5_T6_T7_T9_mT8_P12ihipStream_tbDpT10_ENKUlT_T0_E_clISt17integral_constantIbLb1EES1A_IbLb0EEEEDaS16_S17_EUlS16_E_NS1_11comp_targetILNS1_3genE8ELNS1_11target_archE1030ELNS1_3gpuE2ELNS1_3repE0EEENS1_30default_config_static_selectorELNS0_4arch9wavefront6targetE1EEEvT1_,"axG",@progbits,_ZN7rocprim17ROCPRIM_400000_NS6detail17trampoline_kernelINS0_14default_configENS1_25partition_config_selectorILNS1_17partition_subalgoE1EsNS0_10empty_typeEbEEZZNS1_14partition_implILS5_1ELb0ES3_jN6thrust23THRUST_200600_302600_NS6detail15normal_iteratorINSA_10device_ptrIsEEEEPS6_NSA_18transform_iteratorI7is_evenIsESF_NSA_11use_defaultESK_EENS0_5tupleIJSF_NSA_16discard_iteratorISK_EEEEENSM_IJSG_SG_EEES6_PlJS6_EEE10hipError_tPvRmT3_T4_T5_T6_T7_T9_mT8_P12ihipStream_tbDpT10_ENKUlT_T0_E_clISt17integral_constantIbLb1EES1A_IbLb0EEEEDaS16_S17_EUlS16_E_NS1_11comp_targetILNS1_3genE8ELNS1_11target_archE1030ELNS1_3gpuE2ELNS1_3repE0EEENS1_30default_config_static_selectorELNS0_4arch9wavefront6targetE1EEEvT1_,comdat
	.protected	_ZN7rocprim17ROCPRIM_400000_NS6detail17trampoline_kernelINS0_14default_configENS1_25partition_config_selectorILNS1_17partition_subalgoE1EsNS0_10empty_typeEbEEZZNS1_14partition_implILS5_1ELb0ES3_jN6thrust23THRUST_200600_302600_NS6detail15normal_iteratorINSA_10device_ptrIsEEEEPS6_NSA_18transform_iteratorI7is_evenIsESF_NSA_11use_defaultESK_EENS0_5tupleIJSF_NSA_16discard_iteratorISK_EEEEENSM_IJSG_SG_EEES6_PlJS6_EEE10hipError_tPvRmT3_T4_T5_T6_T7_T9_mT8_P12ihipStream_tbDpT10_ENKUlT_T0_E_clISt17integral_constantIbLb1EES1A_IbLb0EEEEDaS16_S17_EUlS16_E_NS1_11comp_targetILNS1_3genE8ELNS1_11target_archE1030ELNS1_3gpuE2ELNS1_3repE0EEENS1_30default_config_static_selectorELNS0_4arch9wavefront6targetE1EEEvT1_ ; -- Begin function _ZN7rocprim17ROCPRIM_400000_NS6detail17trampoline_kernelINS0_14default_configENS1_25partition_config_selectorILNS1_17partition_subalgoE1EsNS0_10empty_typeEbEEZZNS1_14partition_implILS5_1ELb0ES3_jN6thrust23THRUST_200600_302600_NS6detail15normal_iteratorINSA_10device_ptrIsEEEEPS6_NSA_18transform_iteratorI7is_evenIsESF_NSA_11use_defaultESK_EENS0_5tupleIJSF_NSA_16discard_iteratorISK_EEEEENSM_IJSG_SG_EEES6_PlJS6_EEE10hipError_tPvRmT3_T4_T5_T6_T7_T9_mT8_P12ihipStream_tbDpT10_ENKUlT_T0_E_clISt17integral_constantIbLb1EES1A_IbLb0EEEEDaS16_S17_EUlS16_E_NS1_11comp_targetILNS1_3genE8ELNS1_11target_archE1030ELNS1_3gpuE2ELNS1_3repE0EEENS1_30default_config_static_selectorELNS0_4arch9wavefront6targetE1EEEvT1_
	.globl	_ZN7rocprim17ROCPRIM_400000_NS6detail17trampoline_kernelINS0_14default_configENS1_25partition_config_selectorILNS1_17partition_subalgoE1EsNS0_10empty_typeEbEEZZNS1_14partition_implILS5_1ELb0ES3_jN6thrust23THRUST_200600_302600_NS6detail15normal_iteratorINSA_10device_ptrIsEEEEPS6_NSA_18transform_iteratorI7is_evenIsESF_NSA_11use_defaultESK_EENS0_5tupleIJSF_NSA_16discard_iteratorISK_EEEEENSM_IJSG_SG_EEES6_PlJS6_EEE10hipError_tPvRmT3_T4_T5_T6_T7_T9_mT8_P12ihipStream_tbDpT10_ENKUlT_T0_E_clISt17integral_constantIbLb1EES1A_IbLb0EEEEDaS16_S17_EUlS16_E_NS1_11comp_targetILNS1_3genE8ELNS1_11target_archE1030ELNS1_3gpuE2ELNS1_3repE0EEENS1_30default_config_static_selectorELNS0_4arch9wavefront6targetE1EEEvT1_
	.p2align	8
	.type	_ZN7rocprim17ROCPRIM_400000_NS6detail17trampoline_kernelINS0_14default_configENS1_25partition_config_selectorILNS1_17partition_subalgoE1EsNS0_10empty_typeEbEEZZNS1_14partition_implILS5_1ELb0ES3_jN6thrust23THRUST_200600_302600_NS6detail15normal_iteratorINSA_10device_ptrIsEEEEPS6_NSA_18transform_iteratorI7is_evenIsESF_NSA_11use_defaultESK_EENS0_5tupleIJSF_NSA_16discard_iteratorISK_EEEEENSM_IJSG_SG_EEES6_PlJS6_EEE10hipError_tPvRmT3_T4_T5_T6_T7_T9_mT8_P12ihipStream_tbDpT10_ENKUlT_T0_E_clISt17integral_constantIbLb1EES1A_IbLb0EEEEDaS16_S17_EUlS16_E_NS1_11comp_targetILNS1_3genE8ELNS1_11target_archE1030ELNS1_3gpuE2ELNS1_3repE0EEENS1_30default_config_static_selectorELNS0_4arch9wavefront6targetE1EEEvT1_,@function
_ZN7rocprim17ROCPRIM_400000_NS6detail17trampoline_kernelINS0_14default_configENS1_25partition_config_selectorILNS1_17partition_subalgoE1EsNS0_10empty_typeEbEEZZNS1_14partition_implILS5_1ELb0ES3_jN6thrust23THRUST_200600_302600_NS6detail15normal_iteratorINSA_10device_ptrIsEEEEPS6_NSA_18transform_iteratorI7is_evenIsESF_NSA_11use_defaultESK_EENS0_5tupleIJSF_NSA_16discard_iteratorISK_EEEEENSM_IJSG_SG_EEES6_PlJS6_EEE10hipError_tPvRmT3_T4_T5_T6_T7_T9_mT8_P12ihipStream_tbDpT10_ENKUlT_T0_E_clISt17integral_constantIbLb1EES1A_IbLb0EEEEDaS16_S17_EUlS16_E_NS1_11comp_targetILNS1_3genE8ELNS1_11target_archE1030ELNS1_3gpuE2ELNS1_3repE0EEENS1_30default_config_static_selectorELNS0_4arch9wavefront6targetE1EEEvT1_: ; @_ZN7rocprim17ROCPRIM_400000_NS6detail17trampoline_kernelINS0_14default_configENS1_25partition_config_selectorILNS1_17partition_subalgoE1EsNS0_10empty_typeEbEEZZNS1_14partition_implILS5_1ELb0ES3_jN6thrust23THRUST_200600_302600_NS6detail15normal_iteratorINSA_10device_ptrIsEEEEPS6_NSA_18transform_iteratorI7is_evenIsESF_NSA_11use_defaultESK_EENS0_5tupleIJSF_NSA_16discard_iteratorISK_EEEEENSM_IJSG_SG_EEES6_PlJS6_EEE10hipError_tPvRmT3_T4_T5_T6_T7_T9_mT8_P12ihipStream_tbDpT10_ENKUlT_T0_E_clISt17integral_constantIbLb1EES1A_IbLb0EEEEDaS16_S17_EUlS16_E_NS1_11comp_targetILNS1_3genE8ELNS1_11target_archE1030ELNS1_3gpuE2ELNS1_3repE0EEENS1_30default_config_static_selectorELNS0_4arch9wavefront6targetE1EEEvT1_
; %bb.0:
	.section	.rodata,"a",@progbits
	.p2align	6, 0x0
	.amdhsa_kernel _ZN7rocprim17ROCPRIM_400000_NS6detail17trampoline_kernelINS0_14default_configENS1_25partition_config_selectorILNS1_17partition_subalgoE1EsNS0_10empty_typeEbEEZZNS1_14partition_implILS5_1ELb0ES3_jN6thrust23THRUST_200600_302600_NS6detail15normal_iteratorINSA_10device_ptrIsEEEEPS6_NSA_18transform_iteratorI7is_evenIsESF_NSA_11use_defaultESK_EENS0_5tupleIJSF_NSA_16discard_iteratorISK_EEEEENSM_IJSG_SG_EEES6_PlJS6_EEE10hipError_tPvRmT3_T4_T5_T6_T7_T9_mT8_P12ihipStream_tbDpT10_ENKUlT_T0_E_clISt17integral_constantIbLb1EES1A_IbLb0EEEEDaS16_S17_EUlS16_E_NS1_11comp_targetILNS1_3genE8ELNS1_11target_archE1030ELNS1_3gpuE2ELNS1_3repE0EEENS1_30default_config_static_selectorELNS0_4arch9wavefront6targetE1EEEvT1_
		.amdhsa_group_segment_fixed_size 0
		.amdhsa_private_segment_fixed_size 0
		.amdhsa_kernarg_size 136
		.amdhsa_user_sgpr_count 2
		.amdhsa_user_sgpr_dispatch_ptr 0
		.amdhsa_user_sgpr_queue_ptr 0
		.amdhsa_user_sgpr_kernarg_segment_ptr 1
		.amdhsa_user_sgpr_dispatch_id 0
		.amdhsa_user_sgpr_kernarg_preload_length 0
		.amdhsa_user_sgpr_kernarg_preload_offset 0
		.amdhsa_user_sgpr_private_segment_size 0
		.amdhsa_uses_dynamic_stack 0
		.amdhsa_enable_private_segment 0
		.amdhsa_system_sgpr_workgroup_id_x 1
		.amdhsa_system_sgpr_workgroup_id_y 0
		.amdhsa_system_sgpr_workgroup_id_z 0
		.amdhsa_system_sgpr_workgroup_info 0
		.amdhsa_system_vgpr_workitem_id 0
		.amdhsa_next_free_vgpr 1
		.amdhsa_next_free_sgpr 0
		.amdhsa_accum_offset 4
		.amdhsa_reserve_vcc 0
		.amdhsa_float_round_mode_32 0
		.amdhsa_float_round_mode_16_64 0
		.amdhsa_float_denorm_mode_32 3
		.amdhsa_float_denorm_mode_16_64 3
		.amdhsa_dx10_clamp 1
		.amdhsa_ieee_mode 1
		.amdhsa_fp16_overflow 0
		.amdhsa_tg_split 0
		.amdhsa_exception_fp_ieee_invalid_op 0
		.amdhsa_exception_fp_denorm_src 0
		.amdhsa_exception_fp_ieee_div_zero 0
		.amdhsa_exception_fp_ieee_overflow 0
		.amdhsa_exception_fp_ieee_underflow 0
		.amdhsa_exception_fp_ieee_inexact 0
		.amdhsa_exception_int_div_zero 0
	.end_amdhsa_kernel
	.section	.text._ZN7rocprim17ROCPRIM_400000_NS6detail17trampoline_kernelINS0_14default_configENS1_25partition_config_selectorILNS1_17partition_subalgoE1EsNS0_10empty_typeEbEEZZNS1_14partition_implILS5_1ELb0ES3_jN6thrust23THRUST_200600_302600_NS6detail15normal_iteratorINSA_10device_ptrIsEEEEPS6_NSA_18transform_iteratorI7is_evenIsESF_NSA_11use_defaultESK_EENS0_5tupleIJSF_NSA_16discard_iteratorISK_EEEEENSM_IJSG_SG_EEES6_PlJS6_EEE10hipError_tPvRmT3_T4_T5_T6_T7_T9_mT8_P12ihipStream_tbDpT10_ENKUlT_T0_E_clISt17integral_constantIbLb1EES1A_IbLb0EEEEDaS16_S17_EUlS16_E_NS1_11comp_targetILNS1_3genE8ELNS1_11target_archE1030ELNS1_3gpuE2ELNS1_3repE0EEENS1_30default_config_static_selectorELNS0_4arch9wavefront6targetE1EEEvT1_,"axG",@progbits,_ZN7rocprim17ROCPRIM_400000_NS6detail17trampoline_kernelINS0_14default_configENS1_25partition_config_selectorILNS1_17partition_subalgoE1EsNS0_10empty_typeEbEEZZNS1_14partition_implILS5_1ELb0ES3_jN6thrust23THRUST_200600_302600_NS6detail15normal_iteratorINSA_10device_ptrIsEEEEPS6_NSA_18transform_iteratorI7is_evenIsESF_NSA_11use_defaultESK_EENS0_5tupleIJSF_NSA_16discard_iteratorISK_EEEEENSM_IJSG_SG_EEES6_PlJS6_EEE10hipError_tPvRmT3_T4_T5_T6_T7_T9_mT8_P12ihipStream_tbDpT10_ENKUlT_T0_E_clISt17integral_constantIbLb1EES1A_IbLb0EEEEDaS16_S17_EUlS16_E_NS1_11comp_targetILNS1_3genE8ELNS1_11target_archE1030ELNS1_3gpuE2ELNS1_3repE0EEENS1_30default_config_static_selectorELNS0_4arch9wavefront6targetE1EEEvT1_,comdat
.Lfunc_end3410:
	.size	_ZN7rocprim17ROCPRIM_400000_NS6detail17trampoline_kernelINS0_14default_configENS1_25partition_config_selectorILNS1_17partition_subalgoE1EsNS0_10empty_typeEbEEZZNS1_14partition_implILS5_1ELb0ES3_jN6thrust23THRUST_200600_302600_NS6detail15normal_iteratorINSA_10device_ptrIsEEEEPS6_NSA_18transform_iteratorI7is_evenIsESF_NSA_11use_defaultESK_EENS0_5tupleIJSF_NSA_16discard_iteratorISK_EEEEENSM_IJSG_SG_EEES6_PlJS6_EEE10hipError_tPvRmT3_T4_T5_T6_T7_T9_mT8_P12ihipStream_tbDpT10_ENKUlT_T0_E_clISt17integral_constantIbLb1EES1A_IbLb0EEEEDaS16_S17_EUlS16_E_NS1_11comp_targetILNS1_3genE8ELNS1_11target_archE1030ELNS1_3gpuE2ELNS1_3repE0EEENS1_30default_config_static_selectorELNS0_4arch9wavefront6targetE1EEEvT1_, .Lfunc_end3410-_ZN7rocprim17ROCPRIM_400000_NS6detail17trampoline_kernelINS0_14default_configENS1_25partition_config_selectorILNS1_17partition_subalgoE1EsNS0_10empty_typeEbEEZZNS1_14partition_implILS5_1ELb0ES3_jN6thrust23THRUST_200600_302600_NS6detail15normal_iteratorINSA_10device_ptrIsEEEEPS6_NSA_18transform_iteratorI7is_evenIsESF_NSA_11use_defaultESK_EENS0_5tupleIJSF_NSA_16discard_iteratorISK_EEEEENSM_IJSG_SG_EEES6_PlJS6_EEE10hipError_tPvRmT3_T4_T5_T6_T7_T9_mT8_P12ihipStream_tbDpT10_ENKUlT_T0_E_clISt17integral_constantIbLb1EES1A_IbLb0EEEEDaS16_S17_EUlS16_E_NS1_11comp_targetILNS1_3genE8ELNS1_11target_archE1030ELNS1_3gpuE2ELNS1_3repE0EEENS1_30default_config_static_selectorELNS0_4arch9wavefront6targetE1EEEvT1_
                                        ; -- End function
	.section	.AMDGPU.csdata,"",@progbits
; Kernel info:
; codeLenInByte = 0
; NumSgprs: 6
; NumVgprs: 0
; NumAgprs: 0
; TotalNumVgprs: 0
; ScratchSize: 0
; MemoryBound: 0
; FloatMode: 240
; IeeeMode: 1
; LDSByteSize: 0 bytes/workgroup (compile time only)
; SGPRBlocks: 0
; VGPRBlocks: 0
; NumSGPRsForWavesPerEU: 6
; NumVGPRsForWavesPerEU: 1
; AccumOffset: 4
; Occupancy: 8
; WaveLimiterHint : 0
; COMPUTE_PGM_RSRC2:SCRATCH_EN: 0
; COMPUTE_PGM_RSRC2:USER_SGPR: 2
; COMPUTE_PGM_RSRC2:TRAP_HANDLER: 0
; COMPUTE_PGM_RSRC2:TGID_X_EN: 1
; COMPUTE_PGM_RSRC2:TGID_Y_EN: 0
; COMPUTE_PGM_RSRC2:TGID_Z_EN: 0
; COMPUTE_PGM_RSRC2:TIDIG_COMP_CNT: 0
; COMPUTE_PGM_RSRC3_GFX90A:ACCUM_OFFSET: 0
; COMPUTE_PGM_RSRC3_GFX90A:TG_SPLIT: 0
	.section	.text._ZN7rocprim17ROCPRIM_400000_NS6detail17trampoline_kernelINS0_14default_configENS1_25partition_config_selectorILNS1_17partition_subalgoE1EsNS0_10empty_typeEbEEZZNS1_14partition_implILS5_1ELb0ES3_jN6thrust23THRUST_200600_302600_NS6detail15normal_iteratorINSA_10device_ptrIsEEEEPS6_NSA_18transform_iteratorI7is_evenIsESF_NSA_11use_defaultESK_EENS0_5tupleIJSF_NSA_16discard_iteratorISK_EEEEENSM_IJSG_SG_EEES6_PlJS6_EEE10hipError_tPvRmT3_T4_T5_T6_T7_T9_mT8_P12ihipStream_tbDpT10_ENKUlT_T0_E_clISt17integral_constantIbLb0EES1A_IbLb1EEEEDaS16_S17_EUlS16_E_NS1_11comp_targetILNS1_3genE0ELNS1_11target_archE4294967295ELNS1_3gpuE0ELNS1_3repE0EEENS1_30default_config_static_selectorELNS0_4arch9wavefront6targetE1EEEvT1_,"axG",@progbits,_ZN7rocprim17ROCPRIM_400000_NS6detail17trampoline_kernelINS0_14default_configENS1_25partition_config_selectorILNS1_17partition_subalgoE1EsNS0_10empty_typeEbEEZZNS1_14partition_implILS5_1ELb0ES3_jN6thrust23THRUST_200600_302600_NS6detail15normal_iteratorINSA_10device_ptrIsEEEEPS6_NSA_18transform_iteratorI7is_evenIsESF_NSA_11use_defaultESK_EENS0_5tupleIJSF_NSA_16discard_iteratorISK_EEEEENSM_IJSG_SG_EEES6_PlJS6_EEE10hipError_tPvRmT3_T4_T5_T6_T7_T9_mT8_P12ihipStream_tbDpT10_ENKUlT_T0_E_clISt17integral_constantIbLb0EES1A_IbLb1EEEEDaS16_S17_EUlS16_E_NS1_11comp_targetILNS1_3genE0ELNS1_11target_archE4294967295ELNS1_3gpuE0ELNS1_3repE0EEENS1_30default_config_static_selectorELNS0_4arch9wavefront6targetE1EEEvT1_,comdat
	.protected	_ZN7rocprim17ROCPRIM_400000_NS6detail17trampoline_kernelINS0_14default_configENS1_25partition_config_selectorILNS1_17partition_subalgoE1EsNS0_10empty_typeEbEEZZNS1_14partition_implILS5_1ELb0ES3_jN6thrust23THRUST_200600_302600_NS6detail15normal_iteratorINSA_10device_ptrIsEEEEPS6_NSA_18transform_iteratorI7is_evenIsESF_NSA_11use_defaultESK_EENS0_5tupleIJSF_NSA_16discard_iteratorISK_EEEEENSM_IJSG_SG_EEES6_PlJS6_EEE10hipError_tPvRmT3_T4_T5_T6_T7_T9_mT8_P12ihipStream_tbDpT10_ENKUlT_T0_E_clISt17integral_constantIbLb0EES1A_IbLb1EEEEDaS16_S17_EUlS16_E_NS1_11comp_targetILNS1_3genE0ELNS1_11target_archE4294967295ELNS1_3gpuE0ELNS1_3repE0EEENS1_30default_config_static_selectorELNS0_4arch9wavefront6targetE1EEEvT1_ ; -- Begin function _ZN7rocprim17ROCPRIM_400000_NS6detail17trampoline_kernelINS0_14default_configENS1_25partition_config_selectorILNS1_17partition_subalgoE1EsNS0_10empty_typeEbEEZZNS1_14partition_implILS5_1ELb0ES3_jN6thrust23THRUST_200600_302600_NS6detail15normal_iteratorINSA_10device_ptrIsEEEEPS6_NSA_18transform_iteratorI7is_evenIsESF_NSA_11use_defaultESK_EENS0_5tupleIJSF_NSA_16discard_iteratorISK_EEEEENSM_IJSG_SG_EEES6_PlJS6_EEE10hipError_tPvRmT3_T4_T5_T6_T7_T9_mT8_P12ihipStream_tbDpT10_ENKUlT_T0_E_clISt17integral_constantIbLb0EES1A_IbLb1EEEEDaS16_S17_EUlS16_E_NS1_11comp_targetILNS1_3genE0ELNS1_11target_archE4294967295ELNS1_3gpuE0ELNS1_3repE0EEENS1_30default_config_static_selectorELNS0_4arch9wavefront6targetE1EEEvT1_
	.globl	_ZN7rocprim17ROCPRIM_400000_NS6detail17trampoline_kernelINS0_14default_configENS1_25partition_config_selectorILNS1_17partition_subalgoE1EsNS0_10empty_typeEbEEZZNS1_14partition_implILS5_1ELb0ES3_jN6thrust23THRUST_200600_302600_NS6detail15normal_iteratorINSA_10device_ptrIsEEEEPS6_NSA_18transform_iteratorI7is_evenIsESF_NSA_11use_defaultESK_EENS0_5tupleIJSF_NSA_16discard_iteratorISK_EEEEENSM_IJSG_SG_EEES6_PlJS6_EEE10hipError_tPvRmT3_T4_T5_T6_T7_T9_mT8_P12ihipStream_tbDpT10_ENKUlT_T0_E_clISt17integral_constantIbLb0EES1A_IbLb1EEEEDaS16_S17_EUlS16_E_NS1_11comp_targetILNS1_3genE0ELNS1_11target_archE4294967295ELNS1_3gpuE0ELNS1_3repE0EEENS1_30default_config_static_selectorELNS0_4arch9wavefront6targetE1EEEvT1_
	.p2align	8
	.type	_ZN7rocprim17ROCPRIM_400000_NS6detail17trampoline_kernelINS0_14default_configENS1_25partition_config_selectorILNS1_17partition_subalgoE1EsNS0_10empty_typeEbEEZZNS1_14partition_implILS5_1ELb0ES3_jN6thrust23THRUST_200600_302600_NS6detail15normal_iteratorINSA_10device_ptrIsEEEEPS6_NSA_18transform_iteratorI7is_evenIsESF_NSA_11use_defaultESK_EENS0_5tupleIJSF_NSA_16discard_iteratorISK_EEEEENSM_IJSG_SG_EEES6_PlJS6_EEE10hipError_tPvRmT3_T4_T5_T6_T7_T9_mT8_P12ihipStream_tbDpT10_ENKUlT_T0_E_clISt17integral_constantIbLb0EES1A_IbLb1EEEEDaS16_S17_EUlS16_E_NS1_11comp_targetILNS1_3genE0ELNS1_11target_archE4294967295ELNS1_3gpuE0ELNS1_3repE0EEENS1_30default_config_static_selectorELNS0_4arch9wavefront6targetE1EEEvT1_,@function
_ZN7rocprim17ROCPRIM_400000_NS6detail17trampoline_kernelINS0_14default_configENS1_25partition_config_selectorILNS1_17partition_subalgoE1EsNS0_10empty_typeEbEEZZNS1_14partition_implILS5_1ELb0ES3_jN6thrust23THRUST_200600_302600_NS6detail15normal_iteratorINSA_10device_ptrIsEEEEPS6_NSA_18transform_iteratorI7is_evenIsESF_NSA_11use_defaultESK_EENS0_5tupleIJSF_NSA_16discard_iteratorISK_EEEEENSM_IJSG_SG_EEES6_PlJS6_EEE10hipError_tPvRmT3_T4_T5_T6_T7_T9_mT8_P12ihipStream_tbDpT10_ENKUlT_T0_E_clISt17integral_constantIbLb0EES1A_IbLb1EEEEDaS16_S17_EUlS16_E_NS1_11comp_targetILNS1_3genE0ELNS1_11target_archE4294967295ELNS1_3gpuE0ELNS1_3repE0EEENS1_30default_config_static_selectorELNS0_4arch9wavefront6targetE1EEEvT1_: ; @_ZN7rocprim17ROCPRIM_400000_NS6detail17trampoline_kernelINS0_14default_configENS1_25partition_config_selectorILNS1_17partition_subalgoE1EsNS0_10empty_typeEbEEZZNS1_14partition_implILS5_1ELb0ES3_jN6thrust23THRUST_200600_302600_NS6detail15normal_iteratorINSA_10device_ptrIsEEEEPS6_NSA_18transform_iteratorI7is_evenIsESF_NSA_11use_defaultESK_EENS0_5tupleIJSF_NSA_16discard_iteratorISK_EEEEENSM_IJSG_SG_EEES6_PlJS6_EEE10hipError_tPvRmT3_T4_T5_T6_T7_T9_mT8_P12ihipStream_tbDpT10_ENKUlT_T0_E_clISt17integral_constantIbLb0EES1A_IbLb1EEEEDaS16_S17_EUlS16_E_NS1_11comp_targetILNS1_3genE0ELNS1_11target_archE4294967295ELNS1_3gpuE0ELNS1_3repE0EEENS1_30default_config_static_selectorELNS0_4arch9wavefront6targetE1EEEvT1_
; %bb.0:
	.section	.rodata,"a",@progbits
	.p2align	6, 0x0
	.amdhsa_kernel _ZN7rocprim17ROCPRIM_400000_NS6detail17trampoline_kernelINS0_14default_configENS1_25partition_config_selectorILNS1_17partition_subalgoE1EsNS0_10empty_typeEbEEZZNS1_14partition_implILS5_1ELb0ES3_jN6thrust23THRUST_200600_302600_NS6detail15normal_iteratorINSA_10device_ptrIsEEEEPS6_NSA_18transform_iteratorI7is_evenIsESF_NSA_11use_defaultESK_EENS0_5tupleIJSF_NSA_16discard_iteratorISK_EEEEENSM_IJSG_SG_EEES6_PlJS6_EEE10hipError_tPvRmT3_T4_T5_T6_T7_T9_mT8_P12ihipStream_tbDpT10_ENKUlT_T0_E_clISt17integral_constantIbLb0EES1A_IbLb1EEEEDaS16_S17_EUlS16_E_NS1_11comp_targetILNS1_3genE0ELNS1_11target_archE4294967295ELNS1_3gpuE0ELNS1_3repE0EEENS1_30default_config_static_selectorELNS0_4arch9wavefront6targetE1EEEvT1_
		.amdhsa_group_segment_fixed_size 0
		.amdhsa_private_segment_fixed_size 0
		.amdhsa_kernarg_size 152
		.amdhsa_user_sgpr_count 2
		.amdhsa_user_sgpr_dispatch_ptr 0
		.amdhsa_user_sgpr_queue_ptr 0
		.amdhsa_user_sgpr_kernarg_segment_ptr 1
		.amdhsa_user_sgpr_dispatch_id 0
		.amdhsa_user_sgpr_kernarg_preload_length 0
		.amdhsa_user_sgpr_kernarg_preload_offset 0
		.amdhsa_user_sgpr_private_segment_size 0
		.amdhsa_uses_dynamic_stack 0
		.amdhsa_enable_private_segment 0
		.amdhsa_system_sgpr_workgroup_id_x 1
		.amdhsa_system_sgpr_workgroup_id_y 0
		.amdhsa_system_sgpr_workgroup_id_z 0
		.amdhsa_system_sgpr_workgroup_info 0
		.amdhsa_system_vgpr_workitem_id 0
		.amdhsa_next_free_vgpr 1
		.amdhsa_next_free_sgpr 0
		.amdhsa_accum_offset 4
		.amdhsa_reserve_vcc 0
		.amdhsa_float_round_mode_32 0
		.amdhsa_float_round_mode_16_64 0
		.amdhsa_float_denorm_mode_32 3
		.amdhsa_float_denorm_mode_16_64 3
		.amdhsa_dx10_clamp 1
		.amdhsa_ieee_mode 1
		.amdhsa_fp16_overflow 0
		.amdhsa_tg_split 0
		.amdhsa_exception_fp_ieee_invalid_op 0
		.amdhsa_exception_fp_denorm_src 0
		.amdhsa_exception_fp_ieee_div_zero 0
		.amdhsa_exception_fp_ieee_overflow 0
		.amdhsa_exception_fp_ieee_underflow 0
		.amdhsa_exception_fp_ieee_inexact 0
		.amdhsa_exception_int_div_zero 0
	.end_amdhsa_kernel
	.section	.text._ZN7rocprim17ROCPRIM_400000_NS6detail17trampoline_kernelINS0_14default_configENS1_25partition_config_selectorILNS1_17partition_subalgoE1EsNS0_10empty_typeEbEEZZNS1_14partition_implILS5_1ELb0ES3_jN6thrust23THRUST_200600_302600_NS6detail15normal_iteratorINSA_10device_ptrIsEEEEPS6_NSA_18transform_iteratorI7is_evenIsESF_NSA_11use_defaultESK_EENS0_5tupleIJSF_NSA_16discard_iteratorISK_EEEEENSM_IJSG_SG_EEES6_PlJS6_EEE10hipError_tPvRmT3_T4_T5_T6_T7_T9_mT8_P12ihipStream_tbDpT10_ENKUlT_T0_E_clISt17integral_constantIbLb0EES1A_IbLb1EEEEDaS16_S17_EUlS16_E_NS1_11comp_targetILNS1_3genE0ELNS1_11target_archE4294967295ELNS1_3gpuE0ELNS1_3repE0EEENS1_30default_config_static_selectorELNS0_4arch9wavefront6targetE1EEEvT1_,"axG",@progbits,_ZN7rocprim17ROCPRIM_400000_NS6detail17trampoline_kernelINS0_14default_configENS1_25partition_config_selectorILNS1_17partition_subalgoE1EsNS0_10empty_typeEbEEZZNS1_14partition_implILS5_1ELb0ES3_jN6thrust23THRUST_200600_302600_NS6detail15normal_iteratorINSA_10device_ptrIsEEEEPS6_NSA_18transform_iteratorI7is_evenIsESF_NSA_11use_defaultESK_EENS0_5tupleIJSF_NSA_16discard_iteratorISK_EEEEENSM_IJSG_SG_EEES6_PlJS6_EEE10hipError_tPvRmT3_T4_T5_T6_T7_T9_mT8_P12ihipStream_tbDpT10_ENKUlT_T0_E_clISt17integral_constantIbLb0EES1A_IbLb1EEEEDaS16_S17_EUlS16_E_NS1_11comp_targetILNS1_3genE0ELNS1_11target_archE4294967295ELNS1_3gpuE0ELNS1_3repE0EEENS1_30default_config_static_selectorELNS0_4arch9wavefront6targetE1EEEvT1_,comdat
.Lfunc_end3411:
	.size	_ZN7rocprim17ROCPRIM_400000_NS6detail17trampoline_kernelINS0_14default_configENS1_25partition_config_selectorILNS1_17partition_subalgoE1EsNS0_10empty_typeEbEEZZNS1_14partition_implILS5_1ELb0ES3_jN6thrust23THRUST_200600_302600_NS6detail15normal_iteratorINSA_10device_ptrIsEEEEPS6_NSA_18transform_iteratorI7is_evenIsESF_NSA_11use_defaultESK_EENS0_5tupleIJSF_NSA_16discard_iteratorISK_EEEEENSM_IJSG_SG_EEES6_PlJS6_EEE10hipError_tPvRmT3_T4_T5_T6_T7_T9_mT8_P12ihipStream_tbDpT10_ENKUlT_T0_E_clISt17integral_constantIbLb0EES1A_IbLb1EEEEDaS16_S17_EUlS16_E_NS1_11comp_targetILNS1_3genE0ELNS1_11target_archE4294967295ELNS1_3gpuE0ELNS1_3repE0EEENS1_30default_config_static_selectorELNS0_4arch9wavefront6targetE1EEEvT1_, .Lfunc_end3411-_ZN7rocprim17ROCPRIM_400000_NS6detail17trampoline_kernelINS0_14default_configENS1_25partition_config_selectorILNS1_17partition_subalgoE1EsNS0_10empty_typeEbEEZZNS1_14partition_implILS5_1ELb0ES3_jN6thrust23THRUST_200600_302600_NS6detail15normal_iteratorINSA_10device_ptrIsEEEEPS6_NSA_18transform_iteratorI7is_evenIsESF_NSA_11use_defaultESK_EENS0_5tupleIJSF_NSA_16discard_iteratorISK_EEEEENSM_IJSG_SG_EEES6_PlJS6_EEE10hipError_tPvRmT3_T4_T5_T6_T7_T9_mT8_P12ihipStream_tbDpT10_ENKUlT_T0_E_clISt17integral_constantIbLb0EES1A_IbLb1EEEEDaS16_S17_EUlS16_E_NS1_11comp_targetILNS1_3genE0ELNS1_11target_archE4294967295ELNS1_3gpuE0ELNS1_3repE0EEENS1_30default_config_static_selectorELNS0_4arch9wavefront6targetE1EEEvT1_
                                        ; -- End function
	.section	.AMDGPU.csdata,"",@progbits
; Kernel info:
; codeLenInByte = 0
; NumSgprs: 6
; NumVgprs: 0
; NumAgprs: 0
; TotalNumVgprs: 0
; ScratchSize: 0
; MemoryBound: 0
; FloatMode: 240
; IeeeMode: 1
; LDSByteSize: 0 bytes/workgroup (compile time only)
; SGPRBlocks: 0
; VGPRBlocks: 0
; NumSGPRsForWavesPerEU: 6
; NumVGPRsForWavesPerEU: 1
; AccumOffset: 4
; Occupancy: 8
; WaveLimiterHint : 0
; COMPUTE_PGM_RSRC2:SCRATCH_EN: 0
; COMPUTE_PGM_RSRC2:USER_SGPR: 2
; COMPUTE_PGM_RSRC2:TRAP_HANDLER: 0
; COMPUTE_PGM_RSRC2:TGID_X_EN: 1
; COMPUTE_PGM_RSRC2:TGID_Y_EN: 0
; COMPUTE_PGM_RSRC2:TGID_Z_EN: 0
; COMPUTE_PGM_RSRC2:TIDIG_COMP_CNT: 0
; COMPUTE_PGM_RSRC3_GFX90A:ACCUM_OFFSET: 0
; COMPUTE_PGM_RSRC3_GFX90A:TG_SPLIT: 0
	.section	.text._ZN7rocprim17ROCPRIM_400000_NS6detail17trampoline_kernelINS0_14default_configENS1_25partition_config_selectorILNS1_17partition_subalgoE1EsNS0_10empty_typeEbEEZZNS1_14partition_implILS5_1ELb0ES3_jN6thrust23THRUST_200600_302600_NS6detail15normal_iteratorINSA_10device_ptrIsEEEEPS6_NSA_18transform_iteratorI7is_evenIsESF_NSA_11use_defaultESK_EENS0_5tupleIJSF_NSA_16discard_iteratorISK_EEEEENSM_IJSG_SG_EEES6_PlJS6_EEE10hipError_tPvRmT3_T4_T5_T6_T7_T9_mT8_P12ihipStream_tbDpT10_ENKUlT_T0_E_clISt17integral_constantIbLb0EES1A_IbLb1EEEEDaS16_S17_EUlS16_E_NS1_11comp_targetILNS1_3genE5ELNS1_11target_archE942ELNS1_3gpuE9ELNS1_3repE0EEENS1_30default_config_static_selectorELNS0_4arch9wavefront6targetE1EEEvT1_,"axG",@progbits,_ZN7rocprim17ROCPRIM_400000_NS6detail17trampoline_kernelINS0_14default_configENS1_25partition_config_selectorILNS1_17partition_subalgoE1EsNS0_10empty_typeEbEEZZNS1_14partition_implILS5_1ELb0ES3_jN6thrust23THRUST_200600_302600_NS6detail15normal_iteratorINSA_10device_ptrIsEEEEPS6_NSA_18transform_iteratorI7is_evenIsESF_NSA_11use_defaultESK_EENS0_5tupleIJSF_NSA_16discard_iteratorISK_EEEEENSM_IJSG_SG_EEES6_PlJS6_EEE10hipError_tPvRmT3_T4_T5_T6_T7_T9_mT8_P12ihipStream_tbDpT10_ENKUlT_T0_E_clISt17integral_constantIbLb0EES1A_IbLb1EEEEDaS16_S17_EUlS16_E_NS1_11comp_targetILNS1_3genE5ELNS1_11target_archE942ELNS1_3gpuE9ELNS1_3repE0EEENS1_30default_config_static_selectorELNS0_4arch9wavefront6targetE1EEEvT1_,comdat
	.protected	_ZN7rocprim17ROCPRIM_400000_NS6detail17trampoline_kernelINS0_14default_configENS1_25partition_config_selectorILNS1_17partition_subalgoE1EsNS0_10empty_typeEbEEZZNS1_14partition_implILS5_1ELb0ES3_jN6thrust23THRUST_200600_302600_NS6detail15normal_iteratorINSA_10device_ptrIsEEEEPS6_NSA_18transform_iteratorI7is_evenIsESF_NSA_11use_defaultESK_EENS0_5tupleIJSF_NSA_16discard_iteratorISK_EEEEENSM_IJSG_SG_EEES6_PlJS6_EEE10hipError_tPvRmT3_T4_T5_T6_T7_T9_mT8_P12ihipStream_tbDpT10_ENKUlT_T0_E_clISt17integral_constantIbLb0EES1A_IbLb1EEEEDaS16_S17_EUlS16_E_NS1_11comp_targetILNS1_3genE5ELNS1_11target_archE942ELNS1_3gpuE9ELNS1_3repE0EEENS1_30default_config_static_selectorELNS0_4arch9wavefront6targetE1EEEvT1_ ; -- Begin function _ZN7rocprim17ROCPRIM_400000_NS6detail17trampoline_kernelINS0_14default_configENS1_25partition_config_selectorILNS1_17partition_subalgoE1EsNS0_10empty_typeEbEEZZNS1_14partition_implILS5_1ELb0ES3_jN6thrust23THRUST_200600_302600_NS6detail15normal_iteratorINSA_10device_ptrIsEEEEPS6_NSA_18transform_iteratorI7is_evenIsESF_NSA_11use_defaultESK_EENS0_5tupleIJSF_NSA_16discard_iteratorISK_EEEEENSM_IJSG_SG_EEES6_PlJS6_EEE10hipError_tPvRmT3_T4_T5_T6_T7_T9_mT8_P12ihipStream_tbDpT10_ENKUlT_T0_E_clISt17integral_constantIbLb0EES1A_IbLb1EEEEDaS16_S17_EUlS16_E_NS1_11comp_targetILNS1_3genE5ELNS1_11target_archE942ELNS1_3gpuE9ELNS1_3repE0EEENS1_30default_config_static_selectorELNS0_4arch9wavefront6targetE1EEEvT1_
	.globl	_ZN7rocprim17ROCPRIM_400000_NS6detail17trampoline_kernelINS0_14default_configENS1_25partition_config_selectorILNS1_17partition_subalgoE1EsNS0_10empty_typeEbEEZZNS1_14partition_implILS5_1ELb0ES3_jN6thrust23THRUST_200600_302600_NS6detail15normal_iteratorINSA_10device_ptrIsEEEEPS6_NSA_18transform_iteratorI7is_evenIsESF_NSA_11use_defaultESK_EENS0_5tupleIJSF_NSA_16discard_iteratorISK_EEEEENSM_IJSG_SG_EEES6_PlJS6_EEE10hipError_tPvRmT3_T4_T5_T6_T7_T9_mT8_P12ihipStream_tbDpT10_ENKUlT_T0_E_clISt17integral_constantIbLb0EES1A_IbLb1EEEEDaS16_S17_EUlS16_E_NS1_11comp_targetILNS1_3genE5ELNS1_11target_archE942ELNS1_3gpuE9ELNS1_3repE0EEENS1_30default_config_static_selectorELNS0_4arch9wavefront6targetE1EEEvT1_
	.p2align	8
	.type	_ZN7rocprim17ROCPRIM_400000_NS6detail17trampoline_kernelINS0_14default_configENS1_25partition_config_selectorILNS1_17partition_subalgoE1EsNS0_10empty_typeEbEEZZNS1_14partition_implILS5_1ELb0ES3_jN6thrust23THRUST_200600_302600_NS6detail15normal_iteratorINSA_10device_ptrIsEEEEPS6_NSA_18transform_iteratorI7is_evenIsESF_NSA_11use_defaultESK_EENS0_5tupleIJSF_NSA_16discard_iteratorISK_EEEEENSM_IJSG_SG_EEES6_PlJS6_EEE10hipError_tPvRmT3_T4_T5_T6_T7_T9_mT8_P12ihipStream_tbDpT10_ENKUlT_T0_E_clISt17integral_constantIbLb0EES1A_IbLb1EEEEDaS16_S17_EUlS16_E_NS1_11comp_targetILNS1_3genE5ELNS1_11target_archE942ELNS1_3gpuE9ELNS1_3repE0EEENS1_30default_config_static_selectorELNS0_4arch9wavefront6targetE1EEEvT1_,@function
_ZN7rocprim17ROCPRIM_400000_NS6detail17trampoline_kernelINS0_14default_configENS1_25partition_config_selectorILNS1_17partition_subalgoE1EsNS0_10empty_typeEbEEZZNS1_14partition_implILS5_1ELb0ES3_jN6thrust23THRUST_200600_302600_NS6detail15normal_iteratorINSA_10device_ptrIsEEEEPS6_NSA_18transform_iteratorI7is_evenIsESF_NSA_11use_defaultESK_EENS0_5tupleIJSF_NSA_16discard_iteratorISK_EEEEENSM_IJSG_SG_EEES6_PlJS6_EEE10hipError_tPvRmT3_T4_T5_T6_T7_T9_mT8_P12ihipStream_tbDpT10_ENKUlT_T0_E_clISt17integral_constantIbLb0EES1A_IbLb1EEEEDaS16_S17_EUlS16_E_NS1_11comp_targetILNS1_3genE5ELNS1_11target_archE942ELNS1_3gpuE9ELNS1_3repE0EEENS1_30default_config_static_selectorELNS0_4arch9wavefront6targetE1EEEvT1_: ; @_ZN7rocprim17ROCPRIM_400000_NS6detail17trampoline_kernelINS0_14default_configENS1_25partition_config_selectorILNS1_17partition_subalgoE1EsNS0_10empty_typeEbEEZZNS1_14partition_implILS5_1ELb0ES3_jN6thrust23THRUST_200600_302600_NS6detail15normal_iteratorINSA_10device_ptrIsEEEEPS6_NSA_18transform_iteratorI7is_evenIsESF_NSA_11use_defaultESK_EENS0_5tupleIJSF_NSA_16discard_iteratorISK_EEEEENSM_IJSG_SG_EEES6_PlJS6_EEE10hipError_tPvRmT3_T4_T5_T6_T7_T9_mT8_P12ihipStream_tbDpT10_ENKUlT_T0_E_clISt17integral_constantIbLb0EES1A_IbLb1EEEEDaS16_S17_EUlS16_E_NS1_11comp_targetILNS1_3genE5ELNS1_11target_archE942ELNS1_3gpuE9ELNS1_3repE0EEENS1_30default_config_static_selectorELNS0_4arch9wavefront6targetE1EEEvT1_
; %bb.0:
	s_load_dwordx2 s[2:3], s[0:1], 0x20
	s_load_dwordx4 s[20:23], s[0:1], 0x58
	s_load_dwordx2 s[10:11], s[0:1], 0x68
	s_load_dwordx2 s[28:29], s[0:1], 0x78
	v_cmp_eq_u32_e64 s[18:19], 0, v0
	s_and_saveexec_b64 s[4:5], s[18:19]
	s_cbranch_execz .LBB3412_4
; %bb.1:
	s_mov_b64 s[8:9], exec
	v_mbcnt_lo_u32_b32 v1, s8, 0
	v_mbcnt_hi_u32_b32 v1, s9, v1
	v_cmp_eq_u32_e32 vcc, 0, v1
                                        ; implicit-def: $vgpr2
	s_and_saveexec_b64 s[6:7], vcc
	s_cbranch_execz .LBB3412_3
; %bb.2:
	s_load_dwordx2 s[12:13], s[0:1], 0x88
	s_bcnt1_i32_b64 s8, s[8:9]
	v_mov_b32_e32 v2, 0
	v_mov_b32_e32 v3, s8
	s_waitcnt lgkmcnt(0)
	global_atomic_add v2, v2, v3, s[12:13] sc0
.LBB3412_3:
	s_or_b64 exec, exec, s[6:7]
	s_waitcnt vmcnt(0)
	v_readfirstlane_b32 s6, v2
	v_mov_b32_e32 v2, 0
	s_nop 0
	v_add_u32_e32 v1, s6, v1
	ds_write_b32 v2, v1
.LBB3412_4:
	s_or_b64 exec, exec, s[4:5]
	v_mov_b32_e32 v17, 0
	s_load_dwordx4 s[4:7], s[0:1], 0x8
	s_load_dwordx2 s[24:25], s[0:1], 0x30
	s_load_dword s12, s[0:1], 0x80
	s_waitcnt lgkmcnt(0)
	s_barrier
	ds_read_b32 v1, v17
	s_waitcnt lgkmcnt(0)
	s_barrier
	global_load_dwordx2 v[14:15], v17, s[22:23]
	s_lshl_b64 s[8:9], s[6:7], 1
	v_mov_b32_e32 v3, s11
	s_add_u32 s11, s4, s8
	s_mul_i32 s4, s12, 0x3800
	s_addc_u32 s13, s5, s9
	s_add_i32 s1, s4, s6
	s_sub_i32 s33, s10, s1
	s_add_i32 s14, s12, -1
	s_addk_i32 s33, 0x3800
	s_add_u32 s4, s6, s4
	v_readfirstlane_b32 s36, v1
	s_addc_u32 s5, s7, 0
	s_cmp_eq_u32 s36, s14
	v_mov_b32_e32 v2, s10
	s_cselect_b64 s[22:23], -1, 0
	s_cmp_lg_u32 s36, s14
	s_mul_i32 s0, s36, 0x3800
	s_mov_b32 s1, 0
	v_cmp_lt_u64_e32 vcc, s[4:5], v[2:3]
	s_cselect_b64 s[4:5], -1, 0
	s_or_b64 s[26:27], vcc, s[4:5]
	s_lshl_b64 s[4:5], s[0:1], 1
	s_add_u32 s6, s11, s4
	s_addc_u32 s7, s13, s5
	s_mov_b64 s[0:1], -1
	s_and_b64 vcc, exec, s[26:27]
	v_lshlrev_b32_e32 v16, 1, v0
	s_cbranch_vccz .LBB3412_6
; %bb.5:
	v_lshl_add_u64 v[2:3], s[6:7], 0, v[16:17]
	v_add_co_u32_e32 v4, vcc, 0x1000, v2
	s_mov_b64 s[0:1], 0
	s_nop 0
	v_addc_co_u32_e32 v5, vcc, 0, v3, vcc
	flat_load_ushort v1, v[2:3]
	flat_load_ushort v8, v[2:3] offset:1024
	flat_load_ushort v9, v[2:3] offset:2048
	;; [unrolled: 1-line block ×3, first 2 shown]
	flat_load_ushort v11, v[4:5]
	flat_load_ushort v12, v[4:5] offset:1024
	flat_load_ushort v13, v[4:5] offset:2048
	flat_load_ushort v17, v[4:5] offset:3072
	v_add_co_u32_e32 v4, vcc, 0x2000, v2
	s_nop 1
	v_addc_co_u32_e32 v5, vcc, 0, v3, vcc
	v_add_co_u32_e32 v6, vcc, 0x3000, v2
	s_nop 1
	v_addc_co_u32_e32 v7, vcc, 0, v3, vcc
	flat_load_ushort v18, v[4:5]
	flat_load_ushort v19, v[4:5] offset:1024
	flat_load_ushort v20, v[4:5] offset:2048
	;; [unrolled: 1-line block ×3, first 2 shown]
	flat_load_ushort v22, v[6:7]
	flat_load_ushort v23, v[6:7] offset:1024
	flat_load_ushort v24, v[6:7] offset:2048
	;; [unrolled: 1-line block ×3, first 2 shown]
	v_add_co_u32_e32 v4, vcc, 0x4000, v2
	s_nop 1
	v_addc_co_u32_e32 v5, vcc, 0, v3, vcc
	v_add_co_u32_e32 v6, vcc, 0x5000, v2
	s_nop 1
	v_addc_co_u32_e32 v7, vcc, 0, v3, vcc
	v_add_co_u32_e32 v2, vcc, 0x6000, v2
	flat_load_ushort v26, v[4:5]
	flat_load_ushort v27, v[4:5] offset:1024
	flat_load_ushort v28, v[4:5] offset:2048
	;; [unrolled: 1-line block ×3, first 2 shown]
	flat_load_ushort v30, v[6:7]
	flat_load_ushort v31, v[6:7] offset:1024
	flat_load_ushort v32, v[6:7] offset:2048
	;; [unrolled: 1-line block ×3, first 2 shown]
	v_addc_co_u32_e32 v3, vcc, 0, v3, vcc
	flat_load_ushort v4, v[2:3]
	flat_load_ushort v5, v[2:3] offset:1024
	flat_load_ushort v6, v[2:3] offset:2048
	;; [unrolled: 1-line block ×3, first 2 shown]
	s_waitcnt vmcnt(0) lgkmcnt(0)
	ds_write_b16 v16, v1
	ds_write_b16 v16, v8 offset:1024
	ds_write_b16 v16, v9 offset:2048
	;; [unrolled: 1-line block ×27, first 2 shown]
	s_waitcnt lgkmcnt(0)
	s_barrier
.LBB3412_6:
	s_andn2_b64 vcc, exec, s[0:1]
	v_cmp_gt_u32_e64 s[0:1], s33, v0
	s_cbranch_vccnz .LBB3412_64
; %bb.7:
                                        ; implicit-def: $vgpr1
	s_and_saveexec_b64 s[10:11], s[0:1]
	s_cbranch_execz .LBB3412_9
; %bb.8:
	v_mov_b32_e32 v17, 0
	v_lshl_add_u64 v[2:3], s[6:7], 0, v[16:17]
	flat_load_ushort v1, v[2:3]
.LBB3412_9:
	s_or_b64 exec, exec, s[10:11]
	v_or_b32_e32 v2, 0x200, v0
	v_cmp_gt_u32_e32 vcc, s33, v2
                                        ; implicit-def: $vgpr2
	s_and_saveexec_b64 s[0:1], vcc
	s_cbranch_execz .LBB3412_11
; %bb.10:
	v_mov_b32_e32 v17, 0
	v_lshl_add_u64 v[2:3], s[6:7], 0, v[16:17]
	flat_load_ushort v2, v[2:3] offset:1024
.LBB3412_11:
	s_or_b64 exec, exec, s[0:1]
	v_or_b32_e32 v3, 0x400, v0
	v_cmp_gt_u32_e32 vcc, s33, v3
                                        ; implicit-def: $vgpr3
	s_and_saveexec_b64 s[0:1], vcc
	s_cbranch_execz .LBB3412_13
; %bb.12:
	v_mov_b32_e32 v17, 0
	v_lshl_add_u64 v[4:5], s[6:7], 0, v[16:17]
	flat_load_ushort v3, v[4:5] offset:2048
.LBB3412_13:
	s_or_b64 exec, exec, s[0:1]
	v_or_b32_e32 v4, 0x600, v0
	v_cmp_gt_u32_e32 vcc, s33, v4
                                        ; implicit-def: $vgpr4
	s_and_saveexec_b64 s[0:1], vcc
	s_cbranch_execz .LBB3412_15
; %bb.14:
	v_mov_b32_e32 v17, 0
	v_lshl_add_u64 v[4:5], s[6:7], 0, v[16:17]
	flat_load_ushort v4, v[4:5] offset:3072
.LBB3412_15:
	s_or_b64 exec, exec, s[0:1]
	v_or_b32_e32 v6, 0x800, v0
	v_cmp_gt_u32_e32 vcc, s33, v6
                                        ; implicit-def: $vgpr5
	s_and_saveexec_b64 s[0:1], vcc
	s_cbranch_execz .LBB3412_17
; %bb.16:
	v_lshlrev_b32_e32 v6, 1, v6
	v_mov_b32_e32 v7, 0
	v_lshl_add_u64 v[6:7], s[6:7], 0, v[6:7]
	flat_load_ushort v5, v[6:7]
.LBB3412_17:
	s_or_b64 exec, exec, s[0:1]
	v_or_b32_e32 v7, 0xa00, v0
	v_cmp_gt_u32_e32 vcc, s33, v7
                                        ; implicit-def: $vgpr6
	s_and_saveexec_b64 s[0:1], vcc
	s_cbranch_execz .LBB3412_19
; %bb.18:
	v_lshlrev_b32_e32 v6, 1, v7
	v_mov_b32_e32 v7, 0
	v_lshl_add_u64 v[6:7], s[6:7], 0, v[6:7]
	flat_load_ushort v6, v[6:7]
.LBB3412_19:
	s_or_b64 exec, exec, s[0:1]
	v_or_b32_e32 v8, 0xc00, v0
	v_cmp_gt_u32_e32 vcc, s33, v8
                                        ; implicit-def: $vgpr7
	s_and_saveexec_b64 s[0:1], vcc
	s_cbranch_execz .LBB3412_21
; %bb.20:
	v_lshlrev_b32_e32 v8, 1, v8
	v_mov_b32_e32 v9, 0
	v_lshl_add_u64 v[8:9], s[6:7], 0, v[8:9]
	flat_load_ushort v7, v[8:9]
.LBB3412_21:
	s_or_b64 exec, exec, s[0:1]
	v_or_b32_e32 v9, 0xe00, v0
	v_cmp_gt_u32_e32 vcc, s33, v9
                                        ; implicit-def: $vgpr8
	s_and_saveexec_b64 s[0:1], vcc
	s_cbranch_execz .LBB3412_23
; %bb.22:
	v_lshlrev_b32_e32 v8, 1, v9
	v_mov_b32_e32 v9, 0
	v_lshl_add_u64 v[8:9], s[6:7], 0, v[8:9]
	flat_load_ushort v8, v[8:9]
.LBB3412_23:
	s_or_b64 exec, exec, s[0:1]
	v_or_b32_e32 v10, 0x1000, v0
	v_cmp_gt_u32_e32 vcc, s33, v10
                                        ; implicit-def: $vgpr9
	s_and_saveexec_b64 s[0:1], vcc
	s_cbranch_execz .LBB3412_25
; %bb.24:
	v_lshlrev_b32_e32 v10, 1, v10
	v_mov_b32_e32 v11, 0
	v_lshl_add_u64 v[10:11], s[6:7], 0, v[10:11]
	flat_load_ushort v9, v[10:11]
.LBB3412_25:
	s_or_b64 exec, exec, s[0:1]
	v_or_b32_e32 v11, 0x1200, v0
	v_cmp_gt_u32_e32 vcc, s33, v11
                                        ; implicit-def: $vgpr10
	s_and_saveexec_b64 s[0:1], vcc
	s_cbranch_execz .LBB3412_27
; %bb.26:
	v_lshlrev_b32_e32 v10, 1, v11
	v_mov_b32_e32 v11, 0
	v_lshl_add_u64 v[10:11], s[6:7], 0, v[10:11]
	flat_load_ushort v10, v[10:11]
.LBB3412_27:
	s_or_b64 exec, exec, s[0:1]
	v_or_b32_e32 v12, 0x1400, v0
	v_cmp_gt_u32_e32 vcc, s33, v12
                                        ; implicit-def: $vgpr11
	s_and_saveexec_b64 s[0:1], vcc
	s_cbranch_execz .LBB3412_29
; %bb.28:
	v_lshlrev_b32_e32 v12, 1, v12
	v_mov_b32_e32 v13, 0
	v_lshl_add_u64 v[12:13], s[6:7], 0, v[12:13]
	flat_load_ushort v11, v[12:13]
.LBB3412_29:
	s_or_b64 exec, exec, s[0:1]
	v_or_b32_e32 v13, 0x1600, v0
	v_cmp_gt_u32_e32 vcc, s33, v13
                                        ; implicit-def: $vgpr12
	s_and_saveexec_b64 s[0:1], vcc
	s_cbranch_execz .LBB3412_31
; %bb.30:
	v_lshlrev_b32_e32 v12, 1, v13
	v_mov_b32_e32 v13, 0
	v_lshl_add_u64 v[12:13], s[6:7], 0, v[12:13]
	flat_load_ushort v12, v[12:13]
.LBB3412_31:
	s_or_b64 exec, exec, s[0:1]
	v_or_b32_e32 v17, 0x1800, v0
	v_cmp_gt_u32_e32 vcc, s33, v17
                                        ; implicit-def: $vgpr13
	s_and_saveexec_b64 s[0:1], vcc
	s_cbranch_execz .LBB3412_33
; %bb.32:
	v_lshlrev_b32_e32 v18, 1, v17
	v_mov_b32_e32 v19, 0
	v_lshl_add_u64 v[18:19], s[6:7], 0, v[18:19]
	flat_load_ushort v13, v[18:19]
.LBB3412_33:
	s_or_b64 exec, exec, s[0:1]
	v_or_b32_e32 v18, 0x1a00, v0
	v_cmp_gt_u32_e32 vcc, s33, v18
                                        ; implicit-def: $vgpr17
	s_and_saveexec_b64 s[0:1], vcc
	s_cbranch_execz .LBB3412_35
; %bb.34:
	v_lshlrev_b32_e32 v18, 1, v18
	v_mov_b32_e32 v19, 0
	v_lshl_add_u64 v[18:19], s[6:7], 0, v[18:19]
	flat_load_ushort v17, v[18:19]
.LBB3412_35:
	s_or_b64 exec, exec, s[0:1]
	v_or_b32_e32 v19, 0x1c00, v0
	v_cmp_gt_u32_e32 vcc, s33, v19
                                        ; implicit-def: $vgpr18
	s_and_saveexec_b64 s[0:1], vcc
	s_cbranch_execz .LBB3412_37
; %bb.36:
	v_lshlrev_b32_e32 v18, 1, v19
	v_mov_b32_e32 v19, 0
	v_lshl_add_u64 v[18:19], s[6:7], 0, v[18:19]
	flat_load_ushort v18, v[18:19]
.LBB3412_37:
	s_or_b64 exec, exec, s[0:1]
	v_or_b32_e32 v20, 0x1e00, v0
	v_cmp_gt_u32_e32 vcc, s33, v20
                                        ; implicit-def: $vgpr19
	s_and_saveexec_b64 s[0:1], vcc
	s_cbranch_execz .LBB3412_39
; %bb.38:
	v_lshlrev_b32_e32 v20, 1, v20
	v_mov_b32_e32 v21, 0
	v_lshl_add_u64 v[20:21], s[6:7], 0, v[20:21]
	flat_load_ushort v19, v[20:21]
.LBB3412_39:
	s_or_b64 exec, exec, s[0:1]
	v_or_b32_e32 v21, 0x2000, v0
	v_cmp_gt_u32_e32 vcc, s33, v21
                                        ; implicit-def: $vgpr20
	s_and_saveexec_b64 s[0:1], vcc
	s_cbranch_execz .LBB3412_41
; %bb.40:
	v_lshlrev_b32_e32 v20, 1, v21
	v_mov_b32_e32 v21, 0
	v_lshl_add_u64 v[20:21], s[6:7], 0, v[20:21]
	flat_load_ushort v20, v[20:21]
.LBB3412_41:
	s_or_b64 exec, exec, s[0:1]
	v_or_b32_e32 v22, 0x2200, v0
	v_cmp_gt_u32_e32 vcc, s33, v22
                                        ; implicit-def: $vgpr21
	s_and_saveexec_b64 s[0:1], vcc
	s_cbranch_execz .LBB3412_43
; %bb.42:
	v_lshlrev_b32_e32 v22, 1, v22
	v_mov_b32_e32 v23, 0
	v_lshl_add_u64 v[22:23], s[6:7], 0, v[22:23]
	flat_load_ushort v21, v[22:23]
.LBB3412_43:
	s_or_b64 exec, exec, s[0:1]
	v_or_b32_e32 v23, 0x2400, v0
	v_cmp_gt_u32_e32 vcc, s33, v23
                                        ; implicit-def: $vgpr22
	s_and_saveexec_b64 s[0:1], vcc
	s_cbranch_execz .LBB3412_45
; %bb.44:
	v_lshlrev_b32_e32 v22, 1, v23
	v_mov_b32_e32 v23, 0
	v_lshl_add_u64 v[22:23], s[6:7], 0, v[22:23]
	flat_load_ushort v22, v[22:23]
.LBB3412_45:
	s_or_b64 exec, exec, s[0:1]
	v_or_b32_e32 v24, 0x2600, v0
	v_cmp_gt_u32_e32 vcc, s33, v24
                                        ; implicit-def: $vgpr23
	s_and_saveexec_b64 s[0:1], vcc
	s_cbranch_execz .LBB3412_47
; %bb.46:
	v_lshlrev_b32_e32 v24, 1, v24
	v_mov_b32_e32 v25, 0
	v_lshl_add_u64 v[24:25], s[6:7], 0, v[24:25]
	flat_load_ushort v23, v[24:25]
.LBB3412_47:
	s_or_b64 exec, exec, s[0:1]
	v_or_b32_e32 v25, 0x2800, v0
	v_cmp_gt_u32_e32 vcc, s33, v25
                                        ; implicit-def: $vgpr24
	s_and_saveexec_b64 s[0:1], vcc
	s_cbranch_execz .LBB3412_49
; %bb.48:
	v_lshlrev_b32_e32 v24, 1, v25
	v_mov_b32_e32 v25, 0
	v_lshl_add_u64 v[24:25], s[6:7], 0, v[24:25]
	flat_load_ushort v24, v[24:25]
.LBB3412_49:
	s_or_b64 exec, exec, s[0:1]
	v_or_b32_e32 v26, 0x2a00, v0
	v_cmp_gt_u32_e32 vcc, s33, v26
                                        ; implicit-def: $vgpr25
	s_and_saveexec_b64 s[0:1], vcc
	s_cbranch_execz .LBB3412_51
; %bb.50:
	v_lshlrev_b32_e32 v26, 1, v26
	v_mov_b32_e32 v27, 0
	v_lshl_add_u64 v[26:27], s[6:7], 0, v[26:27]
	flat_load_ushort v25, v[26:27]
.LBB3412_51:
	s_or_b64 exec, exec, s[0:1]
	v_or_b32_e32 v27, 0x2c00, v0
	v_cmp_gt_u32_e32 vcc, s33, v27
                                        ; implicit-def: $vgpr26
	s_and_saveexec_b64 s[0:1], vcc
	s_cbranch_execz .LBB3412_53
; %bb.52:
	v_lshlrev_b32_e32 v26, 1, v27
	v_mov_b32_e32 v27, 0
	v_lshl_add_u64 v[26:27], s[6:7], 0, v[26:27]
	flat_load_ushort v26, v[26:27]
.LBB3412_53:
	s_or_b64 exec, exec, s[0:1]
	v_or_b32_e32 v28, 0x2e00, v0
	v_cmp_gt_u32_e32 vcc, s33, v28
                                        ; implicit-def: $vgpr27
	s_and_saveexec_b64 s[0:1], vcc
	s_cbranch_execz .LBB3412_55
; %bb.54:
	v_lshlrev_b32_e32 v28, 1, v28
	v_mov_b32_e32 v29, 0
	v_lshl_add_u64 v[28:29], s[6:7], 0, v[28:29]
	flat_load_ushort v27, v[28:29]
.LBB3412_55:
	s_or_b64 exec, exec, s[0:1]
	v_or_b32_e32 v29, 0x3000, v0
	v_cmp_gt_u32_e32 vcc, s33, v29
                                        ; implicit-def: $vgpr28
	s_and_saveexec_b64 s[0:1], vcc
	s_cbranch_execz .LBB3412_57
; %bb.56:
	v_lshlrev_b32_e32 v28, 1, v29
	v_mov_b32_e32 v29, 0
	v_lshl_add_u64 v[28:29], s[6:7], 0, v[28:29]
	flat_load_ushort v28, v[28:29]
.LBB3412_57:
	s_or_b64 exec, exec, s[0:1]
	v_or_b32_e32 v30, 0x3200, v0
	v_cmp_gt_u32_e32 vcc, s33, v30
                                        ; implicit-def: $vgpr29
	s_and_saveexec_b64 s[0:1], vcc
	s_cbranch_execz .LBB3412_59
; %bb.58:
	v_lshlrev_b32_e32 v30, 1, v30
	v_mov_b32_e32 v31, 0
	v_lshl_add_u64 v[30:31], s[6:7], 0, v[30:31]
	flat_load_ushort v29, v[30:31]
.LBB3412_59:
	s_or_b64 exec, exec, s[0:1]
	v_or_b32_e32 v31, 0x3400, v0
	v_cmp_gt_u32_e32 vcc, s33, v31
                                        ; implicit-def: $vgpr30
	s_and_saveexec_b64 s[0:1], vcc
	s_cbranch_execz .LBB3412_61
; %bb.60:
	v_lshlrev_b32_e32 v30, 1, v31
	v_mov_b32_e32 v31, 0
	v_lshl_add_u64 v[30:31], s[6:7], 0, v[30:31]
	flat_load_ushort v30, v[30:31]
.LBB3412_61:
	s_or_b64 exec, exec, s[0:1]
	v_or_b32_e32 v32, 0x3600, v0
	v_cmp_gt_u32_e32 vcc, s33, v32
                                        ; implicit-def: $vgpr31
	s_and_saveexec_b64 s[0:1], vcc
	s_cbranch_execz .LBB3412_63
; %bb.62:
	v_lshlrev_b32_e32 v32, 1, v32
	v_mov_b32_e32 v33, 0
	v_lshl_add_u64 v[32:33], s[6:7], 0, v[32:33]
	flat_load_ushort v31, v[32:33]
.LBB3412_63:
	s_or_b64 exec, exec, s[0:1]
	s_waitcnt vmcnt(0) lgkmcnt(0)
	ds_write_b16 v16, v1
	ds_write_b16 v16, v2 offset:1024
	ds_write_b16 v16, v3 offset:2048
	;; [unrolled: 1-line block ×27, first 2 shown]
	s_waitcnt lgkmcnt(0)
	s_barrier
.LBB3412_64:
	v_mul_u32_u24_e32 v1, 28, v0
	v_lshlrev_b32_e32 v6, 1, v1
	ds_read_b64 v[18:19], v6 offset:48
	ds_read2_b64 v[2:5], v6 offset0:4 offset1:5
	ds_read2_b64 v[10:13], v6 offset1:1
	ds_read2_b64 v[6:9], v6 offset0:2 offset1:3
	s_add_u32 s0, s2, s8
	s_addc_u32 s1, s3, s9
	s_add_u32 s0, s0, s4
	s_addc_u32 s1, s1, s5
	s_mov_b64 s[2:3], -1
	s_and_b64 vcc, exec, s[26:27]
	s_waitcnt lgkmcnt(0)
	s_barrier
	s_cbranch_vccz .LBB3412_66
; %bb.65:
	v_mov_b32_e32 v17, 0
	v_lshl_add_u64 v[20:21], s[0:1], 0, v[16:17]
	s_movk_i32 s2, 0x1000
	v_add_co_u32_e32 v22, vcc, s2, v20
	s_movk_i32 s2, 0x2000
	s_nop 0
	v_addc_co_u32_e32 v23, vcc, 0, v21, vcc
	v_add_co_u32_e32 v24, vcc, s2, v20
	s_movk_i32 s3, 0x4000
	s_nop 0
	v_addc_co_u32_e32 v25, vcc, 0, v21, vcc
	global_load_ubyte v17, v16, s[0:1]
	global_load_ubyte v26, v16, s[0:1] offset:1024
	global_load_ubyte v27, v16, s[0:1] offset:2048
	;; [unrolled: 1-line block ×3, first 2 shown]
	global_load_ubyte v29, v[22:23], off offset:1024
	global_load_ubyte v30, v[22:23], off offset:2048
	;; [unrolled: 1-line block ×3, first 2 shown]
	global_load_ubyte v32, v[24:25], off offset:-4096
	global_load_ubyte v33, v[24:25], off
	global_load_ubyte v34, v[24:25], off offset:1024
	v_add_co_u32_e32 v22, vcc, s3, v20
	s_movk_i32 s2, 0x3000
	s_nop 0
	v_addc_co_u32_e32 v23, vcc, 0, v21, vcc
	global_load_ubyte v35, v[24:25], off offset:2048
	global_load_ubyte v36, v[24:25], off offset:3072
	global_load_ubyte v37, v[22:23], off offset:-4096
	v_add_co_u32_e32 v24, vcc, s2, v20
	s_movk_i32 s3, 0x6000
	s_nop 0
	v_addc_co_u32_e32 v25, vcc, 0, v21, vcc
	global_load_ubyte v38, v[24:25], off offset:1024
	global_load_ubyte v39, v[24:25], off offset:2048
	;; [unrolled: 1-line block ×3, first 2 shown]
	global_load_ubyte v41, v[22:23], off
	v_add_co_u32_e32 v24, vcc, s3, v20
	s_movk_i32 s2, 0x5000
	s_nop 0
	v_addc_co_u32_e32 v25, vcc, 0, v21, vcc
	v_add_co_u32_e32 v20, vcc, s2, v20
	global_load_ubyte v42, v[22:23], off offset:1024
	global_load_ubyte v43, v[22:23], off offset:2048
	;; [unrolled: 1-line block ×3, first 2 shown]
	global_load_ubyte v45, v[24:25], off offset:-4096
	v_addc_co_u32_e32 v21, vcc, 0, v21, vcc
	global_load_ubyte v22, v[20:21], off offset:1024
	global_load_ubyte v23, v[20:21], off offset:2048
	;; [unrolled: 1-line block ×3, first 2 shown]
	global_load_ubyte v47, v[24:25], off
	global_load_ubyte v48, v[24:25], off offset:1024
	global_load_ubyte v49, v[24:25], off offset:2048
	global_load_ubyte v50, v[24:25], off offset:3072
	s_mov_b64 s[2:3], 0
	s_waitcnt vmcnt(23)
	v_xor_b32_e32 v25, -1, v29
	v_xor_b32_e32 v17, -1, v17
	;; [unrolled: 1-line block ×5, first 2 shown]
	v_and_b32_e32 v17, 1, v17
	s_waitcnt vmcnt(22)
	v_xor_b32_e32 v26, -1, v30
	s_waitcnt vmcnt(21)
	v_xor_b32_e32 v27, -1, v31
	;; [unrolled: 2-line block ×12, first 2 shown]
	v_and_b32_e32 v20, 1, v20
	v_and_b32_e32 v21, 1, v21
	;; [unrolled: 1-line block ×4, first 2 shown]
	s_waitcnt vmcnt(10)
	v_xor_b32_e32 v38, -1, v42
	s_waitcnt vmcnt(9)
	v_xor_b32_e32 v39, -1, v43
	;; [unrolled: 2-line block ×11, first 2 shown]
	v_and_b32_e32 v26, 1, v26
	v_and_b32_e32 v27, 1, v27
	v_and_b32_e32 v28, 1, v28
	v_and_b32_e32 v29, 1, v29
	v_and_b32_e32 v30, 1, v30
	v_and_b32_e32 v31, 1, v31
	v_and_b32_e32 v32, 1, v32
	v_and_b32_e32 v33, 1, v33
	v_and_b32_e32 v34, 1, v34
	v_and_b32_e32 v35, 1, v35
	v_and_b32_e32 v36, 1, v36
	v_and_b32_e32 v37, 1, v37
	v_and_b32_e32 v38, 1, v38
	v_and_b32_e32 v39, 1, v39
	v_and_b32_e32 v40, 1, v40
	v_and_b32_e32 v41, 1, v41
	v_and_b32_e32 v22, 1, v22
	v_and_b32_e32 v23, 1, v23
	v_and_b32_e32 v42, 1, v42
	v_and_b32_e32 v43, 1, v43
	v_and_b32_e32 v44, 1, v44
	v_and_b32_e32 v45, 1, v45
	v_and_b32_e32 v46, 1, v46
	ds_write_b8 v0, v17
	ds_write_b8 v0, v20 offset:512
	ds_write_b8 v0, v21 offset:1024
	;; [unrolled: 1-line block ×27, first 2 shown]
	s_waitcnt lgkmcnt(0)
	s_barrier
.LBB3412_66:
	s_andn2_b64 vcc, exec, s[2:3]
	s_cbranch_vccnz .LBB3412_124
; %bb.67:
	v_cmp_gt_u32_e32 vcc, s33, v0
	v_mov_b32_e32 v17, 0
	v_mov_b32_e32 v20, 0
	s_and_saveexec_b64 s[2:3], vcc
	s_cbranch_execz .LBB3412_69
; %bb.68:
	global_load_ubyte v20, v16, s[0:1]
	s_waitcnt vmcnt(0)
	v_xor_b32_e32 v20, -1, v20
	v_and_b32_e32 v20, 1, v20
.LBB3412_69:
	s_or_b64 exec, exec, s[2:3]
	v_or_b32_e32 v21, 0x200, v0
	v_cmp_gt_u32_e32 vcc, s33, v21
	s_and_saveexec_b64 s[2:3], vcc
	s_cbranch_execz .LBB3412_71
; %bb.70:
	global_load_ubyte v17, v16, s[0:1] offset:1024
	s_waitcnt vmcnt(0)
	v_xor_b32_e32 v17, -1, v17
	v_and_b32_e32 v17, 1, v17
.LBB3412_71:
	s_or_b64 exec, exec, s[2:3]
	v_or_b32_e32 v21, 0x400, v0
	v_cmp_gt_u32_e32 vcc, s33, v21
	v_mov_b32_e32 v21, 0
	v_mov_b32_e32 v22, 0
	s_and_saveexec_b64 s[2:3], vcc
	s_cbranch_execz .LBB3412_73
; %bb.72:
	global_load_ubyte v22, v16, s[0:1] offset:2048
	s_waitcnt vmcnt(0)
	v_xor_b32_e32 v22, -1, v22
	v_and_b32_e32 v22, 1, v22
.LBB3412_73:
	s_or_b64 exec, exec, s[2:3]
	v_or_b32_e32 v23, 0x600, v0
	v_cmp_gt_u32_e32 vcc, s33, v23
	s_and_saveexec_b64 s[2:3], vcc
	s_cbranch_execz .LBB3412_75
; %bb.74:
	global_load_ubyte v21, v16, s[0:1] offset:3072
	s_waitcnt vmcnt(0)
	v_xor_b32_e32 v21, -1, v21
	v_and_b32_e32 v21, 1, v21
.LBB3412_75:
	s_or_b64 exec, exec, s[2:3]
	v_or_b32_e32 v25, 0x800, v0
	v_cmp_gt_u32_e32 vcc, s33, v25
	v_mov_b32_e32 v23, 0
	v_mov_b32_e32 v24, 0
	s_and_saveexec_b64 s[2:3], vcc
	s_cbranch_execz .LBB3412_77
; %bb.76:
	v_lshlrev_b32_e32 v24, 1, v25
	global_load_ubyte v24, v24, s[0:1]
	s_waitcnt vmcnt(0)
	v_xor_b32_e32 v24, -1, v24
	v_and_b32_e32 v24, 1, v24
.LBB3412_77:
	s_or_b64 exec, exec, s[2:3]
	v_or_b32_e32 v25, 0xa00, v0
	v_cmp_gt_u32_e32 vcc, s33, v25
	s_and_saveexec_b64 s[2:3], vcc
	s_cbranch_execz .LBB3412_79
; %bb.78:
	v_lshlrev_b32_e32 v23, 1, v25
	global_load_ubyte v23, v23, s[0:1]
	s_waitcnt vmcnt(0)
	v_xor_b32_e32 v23, -1, v23
	v_and_b32_e32 v23, 1, v23
.LBB3412_79:
	s_or_b64 exec, exec, s[2:3]
	v_or_b32_e32 v27, 0xc00, v0
	v_cmp_gt_u32_e32 vcc, s33, v27
	v_mov_b32_e32 v25, 0
	v_mov_b32_e32 v26, 0
	s_and_saveexec_b64 s[2:3], vcc
	s_cbranch_execz .LBB3412_81
; %bb.80:
	v_lshlrev_b32_e32 v26, 1, v27
	global_load_ubyte v26, v26, s[0:1]
	s_waitcnt vmcnt(0)
	v_xor_b32_e32 v26, -1, v26
	v_and_b32_e32 v26, 1, v26
.LBB3412_81:
	s_or_b64 exec, exec, s[2:3]
	v_or_b32_e32 v27, 0xe00, v0
	v_cmp_gt_u32_e32 vcc, s33, v27
	s_and_saveexec_b64 s[2:3], vcc
	s_cbranch_execz .LBB3412_83
; %bb.82:
	v_lshlrev_b32_e32 v25, 1, v27
	global_load_ubyte v25, v25, s[0:1]
	s_waitcnt vmcnt(0)
	v_xor_b32_e32 v25, -1, v25
	v_and_b32_e32 v25, 1, v25
.LBB3412_83:
	;; [unrolled: 26-line block ×12, first 2 shown]
	s_or_b64 exec, exec, s[2:3]
	ds_write_b8 v0, v20
	ds_write_b8 v0, v17 offset:512
	ds_write_b8 v0, v22 offset:1024
	;; [unrolled: 1-line block ×27, first 2 shown]
	s_waitcnt lgkmcnt(0)
	s_barrier
.LBB3412_124:
	ds_read2_b32 v[28:29], v1 offset1:1
	ds_read2_b32 v[26:27], v1 offset0:2 offset1:3
	ds_read2_b32 v[24:25], v1 offset0:4 offset1:5
	ds_read_b32 v36, v1 offset:24
	s_cmp_lg_u32 s36, 0
	v_lshrrev_b32_e32 v63, 6, v0
	s_waitcnt lgkmcnt(2)
	v_and_b32_e32 v55, 0xff, v26
	v_lshrrev_b32_e32 v43, 24, v28
	v_bfe_u32 v61, v28, 16, 8
	v_add_u32_sdwa v20, v28, v28 dst_sel:DWORD dst_unused:UNUSED_PAD src0_sel:BYTE_1 src1_sel:BYTE_0
	v_and_b32_e32 v58, 0xff, v29
	v_bfe_u32 v59, v29, 8, 8
	v_add3_u32 v20, v20, v61, v43
	v_lshrrev_b32_e32 v42, 24, v29
	v_bfe_u32 v60, v29, 16, 8
	v_add3_u32 v20, v20, v58, v59
	v_bfe_u32 v56, v26, 8, 8
	v_add3_u32 v20, v20, v60, v42
	v_lshrrev_b32_e32 v41, 24, v26
	v_bfe_u32 v57, v26, 16, 8
	v_add3_u32 v20, v20, v55, v56
	v_and_b32_e32 v52, 0xff, v27
	v_bfe_u32 v53, v27, 8, 8
	v_add3_u32 v20, v20, v57, v41
	v_lshrrev_b32_e32 v40, 24, v27
	v_bfe_u32 v54, v27, 16, 8
	v_add3_u32 v20, v20, v52, v53
	s_waitcnt lgkmcnt(1)
	v_and_b32_e32 v49, 0xff, v24
	v_bfe_u32 v50, v24, 8, 8
	v_add3_u32 v20, v20, v54, v40
	v_lshrrev_b32_e32 v39, 24, v24
	v_bfe_u32 v51, v24, 16, 8
	v_add3_u32 v20, v20, v49, v50
	v_and_b32_e32 v46, 0xff, v25
	v_bfe_u32 v47, v25, 8, 8
	v_add3_u32 v20, v20, v51, v39
	v_lshrrev_b32_e32 v38, 24, v25
	v_bfe_u32 v48, v25, 16, 8
	v_add3_u32 v20, v20, v46, v47
	s_waitcnt lgkmcnt(0)
	v_and_b32_e32 v44, 0xff, v36
	v_bfe_u32 v45, v36, 8, 8
	v_add3_u32 v20, v20, v48, v38
	v_lshrrev_b32_e32 v17, 24, v36
	v_bfe_u32 v37, v36, 16, 8
	v_add3_u32 v20, v20, v44, v45
	v_add3_u32 v64, v20, v37, v17
	v_mbcnt_lo_u32_b32 v20, -1, 0
	v_mbcnt_hi_u32_b32 v62, -1, v20
	v_and_b32_e32 v20, 15, v62
	v_cmp_eq_u32_e64 s[14:15], 0, v20
	v_cmp_lt_u32_e64 s[12:13], 1, v20
	v_cmp_lt_u32_e64 s[10:11], 3, v20
	;; [unrolled: 1-line block ×3, first 2 shown]
	v_and_b32_e32 v20, 16, v62
	v_cmp_eq_u32_e64 s[6:7], 0, v20
	v_or_b32_e32 v20, 63, v0
	v_cmp_lt_u32_e64 s[2:3], 31, v62
	v_cmp_eq_u32_e64 s[4:5], v20, v0
	s_barrier
	s_cbranch_scc0 .LBB3412_151
; %bb.125:
	v_mov_b32_dpp v20, v64 row_shr:1 row_mask:0xf bank_mask:0xf
	v_cndmask_b32_e64 v20, v20, 0, s[14:15]
	v_add_u32_e32 v20, v20, v64
	s_nop 1
	v_mov_b32_dpp v21, v20 row_shr:2 row_mask:0xf bank_mask:0xf
	v_cndmask_b32_e64 v21, 0, v21, s[12:13]
	v_add_u32_e32 v20, v20, v21
	s_nop 1
	;; [unrolled: 4-line block ×4, first 2 shown]
	v_mov_b32_dpp v21, v20 row_bcast:15 row_mask:0xf bank_mask:0xf
	v_cndmask_b32_e64 v21, v21, 0, s[6:7]
	v_add_u32_e32 v20, v20, v21
	s_nop 1
	v_mov_b32_dpp v21, v20 row_bcast:31 row_mask:0xf bank_mask:0xf
	v_cndmask_b32_e64 v21, 0, v21, s[2:3]
	v_add_u32_e32 v20, v20, v21
	s_and_saveexec_b64 s[0:1], s[4:5]
	s_cbranch_execz .LBB3412_127
; %bb.126:
	v_lshlrev_b32_e32 v21, 2, v63
	ds_write_b32 v21, v20
.LBB3412_127:
	s_or_b64 exec, exec, s[0:1]
	v_cmp_gt_u32_e32 vcc, 8, v0
	s_waitcnt lgkmcnt(0)
	s_barrier
	s_and_saveexec_b64 s[0:1], vcc
	s_cbranch_execz .LBB3412_129
; %bb.128:
	v_lshlrev_b32_e32 v21, 2, v0
	ds_read_b32 v22, v21
	v_and_b32_e32 v23, 7, v62
	v_cmp_ne_u32_e32 vcc, 0, v23
	s_waitcnt lgkmcnt(0)
	v_mov_b32_dpp v30, v22 row_shr:1 row_mask:0xf bank_mask:0xf
	v_cndmask_b32_e32 v30, 0, v30, vcc
	v_add_u32_e32 v22, v30, v22
	v_cmp_lt_u32_e32 vcc, 1, v23
	s_nop 0
	v_mov_b32_dpp v30, v22 row_shr:2 row_mask:0xf bank_mask:0xf
	v_cndmask_b32_e32 v30, 0, v30, vcc
	v_add_u32_e32 v22, v22, v30
	v_cmp_lt_u32_e32 vcc, 3, v23
	s_nop 0
	v_mov_b32_dpp v30, v22 row_shr:4 row_mask:0xf bank_mask:0xf
	v_cndmask_b32_e32 v23, 0, v30, vcc
	v_add_u32_e32 v22, v22, v23
	ds_write_b32 v21, v22
.LBB3412_129:
	s_or_b64 exec, exec, s[0:1]
	v_cmp_gt_u32_e32 vcc, 64, v0
	v_cmp_lt_u32_e64 s[0:1], 63, v0
	s_waitcnt lgkmcnt(0)
	s_barrier
	s_waitcnt lgkmcnt(0)
                                        ; implicit-def: $vgpr65
	s_and_saveexec_b64 s[16:17], s[0:1]
	s_cbranch_execz .LBB3412_131
; %bb.130:
	v_lshl_add_u32 v21, v63, 2, -4
	ds_read_b32 v65, v21
	s_waitcnt lgkmcnt(0)
	v_add_u32_e32 v20, v65, v20
.LBB3412_131:
	s_or_b64 exec, exec, s[16:17]
	v_add_u32_e32 v21, -1, v62
	v_and_b32_e32 v22, 64, v62
	v_cmp_lt_i32_e64 s[0:1], v21, v22
	v_cmp_eq_u32_e64 s[16:17], 0, v62
	s_nop 0
	v_cndmask_b32_e64 v21, v21, v62, s[0:1]
	v_lshlrev_b32_e32 v21, 2, v21
	ds_bpermute_b32 v66, v21, v20
	s_and_saveexec_b64 s[0:1], vcc
	s_cbranch_execz .LBB3412_150
; %bb.132:
	v_mov_b32_e32 v33, 0
	ds_read_b32 v20, v33 offset:28
	s_and_saveexec_b64 s[30:31], s[16:17]
	s_cbranch_execz .LBB3412_134
; %bb.133:
	s_add_i32 s34, s36, 64
	s_mov_b32 s35, 0
	s_lshl_b64 s[34:35], s[34:35], 3
	s_add_u32 s34, s28, s34
	v_mov_b32_e32 v21, 1
	s_addc_u32 s35, s29, s35
	s_waitcnt lgkmcnt(0)
	global_store_dwordx2 v33, v[20:21], s[34:35] sc1
.LBB3412_134:
	s_or_b64 exec, exec, s[30:31]
	v_xad_u32 v22, v62, -1, s36
	v_add_u32_e32 v32, 64, v22
	v_lshl_add_u64 v[34:35], v[32:33], 3, s[28:29]
	global_load_dwordx2 v[30:31], v[34:35], off sc1
	s_waitcnt vmcnt(0)
	v_cmp_eq_u16_sdwa s[34:35], v31, v33 src0_sel:BYTE_0 src1_sel:DWORD
	s_and_saveexec_b64 s[30:31], s[34:35]
	s_cbranch_execz .LBB3412_138
; %bb.135:
	s_mov_b64 s[34:35], 0
	v_mov_b32_e32 v21, 0
.LBB3412_136:                           ; =>This Inner Loop Header: Depth=1
	global_load_dwordx2 v[30:31], v[34:35], off sc1
	s_waitcnt vmcnt(0)
	v_cmp_ne_u16_sdwa s[38:39], v31, v21 src0_sel:BYTE_0 src1_sel:DWORD
	s_or_b64 s[34:35], s[38:39], s[34:35]
	s_andn2_b64 exec, exec, s[34:35]
	s_cbranch_execnz .LBB3412_136
; %bb.137:
	s_or_b64 exec, exec, s[34:35]
.LBB3412_138:
	s_or_b64 exec, exec, s[30:31]
	v_and_b32_e32 v68, 63, v62
	v_mov_b32_e32 v67, 2
	v_cmp_ne_u32_e32 vcc, 63, v68
	v_cmp_eq_u16_sdwa s[30:31], v31, v67 src0_sel:BYTE_0 src1_sel:DWORD
	v_lshlrev_b64 v[32:33], v62, -1
	v_addc_co_u32_e32 v34, vcc, 0, v62, vcc
	v_and_b32_e32 v21, s31, v33
	v_lshlrev_b32_e32 v69, 2, v34
	v_or_b32_e32 v21, 0x80000000, v21
	ds_bpermute_b32 v34, v69, v30
	v_and_b32_e32 v23, s30, v32
	v_ffbl_b32_e32 v21, v21
	v_add_u32_e32 v21, 32, v21
	v_ffbl_b32_e32 v23, v23
	v_min_u32_e32 v21, v23, v21
	v_cmp_lt_u32_e32 vcc, v68, v21
	v_add_u32_e32 v71, 2, v68
	v_add_u32_e32 v73, 4, v68
	s_waitcnt lgkmcnt(0)
	v_cndmask_b32_e32 v23, 0, v34, vcc
	v_cmp_gt_u32_e32 vcc, 62, v68
	v_add_u32_e32 v23, v23, v30
	v_add_u32_e32 v75, 8, v68
	v_cndmask_b32_e64 v30, 0, 1, vcc
	v_lshlrev_b32_e32 v30, 1, v30
	v_add_lshl_u32 v70, v30, v62, 2
	ds_bpermute_b32 v30, v70, v23
	v_cmp_le_u32_e32 vcc, v71, v21
	v_add_u32_e32 v77, 16, v68
	v_add_u32_e32 v79, 32, v68
	s_waitcnt lgkmcnt(0)
	v_cndmask_b32_e32 v30, 0, v30, vcc
	v_cmp_gt_u32_e32 vcc, 60, v68
	v_add_u32_e32 v23, v23, v30
	s_nop 0
	v_cndmask_b32_e64 v30, 0, 1, vcc
	v_lshlrev_b32_e32 v30, 2, v30
	v_add_lshl_u32 v72, v30, v62, 2
	ds_bpermute_b32 v30, v72, v23
	v_cmp_le_u32_e32 vcc, v73, v21
	s_waitcnt lgkmcnt(0)
	s_nop 0
	v_cndmask_b32_e32 v30, 0, v30, vcc
	v_cmp_gt_u32_e32 vcc, 56, v68
	v_add_u32_e32 v23, v23, v30
	s_nop 0
	v_cndmask_b32_e64 v30, 0, 1, vcc
	v_lshlrev_b32_e32 v30, 3, v30
	v_add_lshl_u32 v74, v30, v62, 2
	ds_bpermute_b32 v30, v74, v23
	v_cmp_le_u32_e32 vcc, v75, v21
	s_waitcnt lgkmcnt(0)
	s_nop 0
	;; [unrolled: 11-line block ×4, first 2 shown]
	v_cndmask_b32_e32 v21, 0, v30, vcc
	v_add_u32_e32 v30, v23, v21
	v_mov_b32_e32 v23, 0
	s_branch .LBB3412_140
.LBB3412_139:                           ;   in Loop: Header=BB3412_140 Depth=1
	s_or_b64 exec, exec, s[30:31]
	v_cmp_eq_u16_sdwa s[30:31], v31, v67 src0_sel:BYTE_0 src1_sel:DWORD
	ds_bpermute_b32 v80, v69, v30
	v_subrev_u32_e32 v22, 64, v22
	v_and_b32_e32 v34, s31, v33
	v_or_b32_e32 v34, 0x80000000, v34
	v_and_b32_e32 v35, s30, v32
	v_ffbl_b32_e32 v34, v34
	v_add_u32_e32 v34, 32, v34
	v_ffbl_b32_e32 v35, v35
	v_min_u32_e32 v34, v35, v34
	v_cmp_lt_u32_e32 vcc, v68, v34
	s_waitcnt lgkmcnt(0)
	s_nop 0
	v_cndmask_b32_e32 v35, 0, v80, vcc
	v_add_u32_e32 v30, v35, v30
	ds_bpermute_b32 v35, v70, v30
	v_cmp_le_u32_e32 vcc, v71, v34
	s_waitcnt lgkmcnt(0)
	s_nop 0
	v_cndmask_b32_e32 v35, 0, v35, vcc
	v_add_u32_e32 v30, v30, v35
	ds_bpermute_b32 v35, v72, v30
	v_cmp_le_u32_e32 vcc, v73, v34
	;; [unrolled: 6-line block ×5, first 2 shown]
	s_waitcnt lgkmcnt(0)
	s_nop 0
	v_cndmask_b32_e32 v34, 0, v35, vcc
	v_add3_u32 v30, v34, v21, v30
.LBB3412_140:                           ; =>This Loop Header: Depth=1
                                        ;     Child Loop BB3412_143 Depth 2
	v_cmp_ne_u16_sdwa s[30:31], v31, v67 src0_sel:BYTE_0 src1_sel:DWORD
	s_nop 1
	v_cndmask_b32_e64 v21, 0, 1, s[30:31]
	;;#ASMSTART
	;;#ASMEND
	s_nop 0
	v_cmp_ne_u32_e32 vcc, 0, v21
	s_cmp_lg_u64 vcc, exec
	v_mov_b32_e32 v21, v30
	s_cbranch_scc1 .LBB3412_145
; %bb.141:                              ;   in Loop: Header=BB3412_140 Depth=1
	v_lshl_add_u64 v[34:35], v[22:23], 3, s[28:29]
	global_load_dwordx2 v[30:31], v[34:35], off sc1
	s_waitcnt vmcnt(0)
	v_cmp_eq_u16_sdwa s[34:35], v31, v23 src0_sel:BYTE_0 src1_sel:DWORD
	s_and_saveexec_b64 s[30:31], s[34:35]
	s_cbranch_execz .LBB3412_139
; %bb.142:                              ;   in Loop: Header=BB3412_140 Depth=1
	s_mov_b64 s[34:35], 0
.LBB3412_143:                           ;   Parent Loop BB3412_140 Depth=1
                                        ; =>  This Inner Loop Header: Depth=2
	global_load_dwordx2 v[30:31], v[34:35], off sc1
	s_waitcnt vmcnt(0)
	v_cmp_ne_u16_sdwa s[38:39], v31, v23 src0_sel:BYTE_0 src1_sel:DWORD
	s_or_b64 s[34:35], s[38:39], s[34:35]
	s_andn2_b64 exec, exec, s[34:35]
	s_cbranch_execnz .LBB3412_143
; %bb.144:                              ;   in Loop: Header=BB3412_140 Depth=1
	s_or_b64 exec, exec, s[34:35]
	s_branch .LBB3412_139
.LBB3412_145:                           ;   in Loop: Header=BB3412_140 Depth=1
                                        ; implicit-def: $vgpr30
                                        ; implicit-def: $vgpr31
	s_cbranch_execz .LBB3412_140
; %bb.146:
	s_and_saveexec_b64 s[30:31], s[16:17]
	s_cbranch_execz .LBB3412_148
; %bb.147:
	s_add_i32 s34, s36, 64
	s_mov_b32 s35, 0
	s_lshl_b64 s[34:35], s[34:35], 3
	s_add_u32 s34, s28, s34
	v_add_u32_e32 v22, v21, v20
	v_mov_b32_e32 v23, 2
	s_addc_u32 s35, s29, s35
	v_mov_b32_e32 v30, 0
	global_store_dwordx2 v30, v[22:23], s[34:35] sc1
	ds_write_b64 v30, v[20:21] offset:28672
.LBB3412_148:
	s_or_b64 exec, exec, s[30:31]
	s_and_b64 exec, exec, s[18:19]
	s_cbranch_execz .LBB3412_150
; %bb.149:
	v_mov_b32_e32 v20, 0
	ds_write_b32 v20, v21 offset:28
.LBB3412_150:
	s_or_b64 exec, exec, s[0:1]
	v_mov_b32_e32 v20, 0
	s_waitcnt lgkmcnt(0)
	s_barrier
	ds_read_b32 v22, v20 offset:28
	s_waitcnt lgkmcnt(0)
	s_barrier
	ds_read_b64 v[20:21], v20 offset:28672
	v_cndmask_b32_e64 v23, v66, v65, s[16:17]
	v_cndmask_b32_e64 v23, v23, 0, s[18:19]
	v_add_u32_e32 v34, v22, v23
	s_waitcnt lgkmcnt(0)
	v_mov_b32_e32 v22, v21
	s_branch .LBB3412_161
.LBB3412_151:
                                        ; implicit-def: $vgpr22
                                        ; implicit-def: $vgpr20
                                        ; implicit-def: $vgpr34
	s_cbranch_execz .LBB3412_161
; %bb.152:
	s_nop 0
	v_mov_b32_dpp v20, v64 row_shr:1 row_mask:0xf bank_mask:0xf
	v_cndmask_b32_e64 v20, v20, 0, s[14:15]
	v_add_u32_e32 v20, v20, v64
	s_nop 1
	v_mov_b32_dpp v21, v20 row_shr:2 row_mask:0xf bank_mask:0xf
	v_cndmask_b32_e64 v21, 0, v21, s[12:13]
	v_add_u32_e32 v20, v20, v21
	;; [unrolled: 4-line block ×4, first 2 shown]
	s_nop 1
	v_mov_b32_dpp v21, v20 row_bcast:15 row_mask:0xf bank_mask:0xf
	v_cndmask_b32_e64 v21, v21, 0, s[6:7]
	v_add_u32_e32 v20, v20, v21
	s_nop 1
	v_mov_b32_dpp v21, v20 row_bcast:31 row_mask:0xf bank_mask:0xf
	v_cndmask_b32_e64 v21, 0, v21, s[2:3]
	v_add_u32_e32 v20, v20, v21
	s_and_saveexec_b64 s[0:1], s[4:5]
	s_cbranch_execz .LBB3412_154
; %bb.153:
	v_lshlrev_b32_e32 v21, 2, v63
	ds_write_b32 v21, v20
.LBB3412_154:
	s_or_b64 exec, exec, s[0:1]
	v_cmp_gt_u32_e32 vcc, 8, v0
	s_waitcnt lgkmcnt(0)
	s_barrier
	s_and_saveexec_b64 s[0:1], vcc
	s_cbranch_execz .LBB3412_156
; %bb.155:
	v_lshlrev_b32_e32 v21, 2, v0
	ds_read_b32 v22, v21
	v_and_b32_e32 v23, 7, v62
	v_cmp_ne_u32_e32 vcc, 0, v23
	s_waitcnt lgkmcnt(0)
	v_mov_b32_dpp v30, v22 row_shr:1 row_mask:0xf bank_mask:0xf
	v_cndmask_b32_e32 v30, 0, v30, vcc
	v_add_u32_e32 v22, v30, v22
	v_cmp_lt_u32_e32 vcc, 1, v23
	s_nop 0
	v_mov_b32_dpp v30, v22 row_shr:2 row_mask:0xf bank_mask:0xf
	v_cndmask_b32_e32 v30, 0, v30, vcc
	v_add_u32_e32 v22, v22, v30
	v_cmp_lt_u32_e32 vcc, 3, v23
	s_nop 0
	v_mov_b32_dpp v30, v22 row_shr:4 row_mask:0xf bank_mask:0xf
	v_cndmask_b32_e32 v23, 0, v30, vcc
	v_add_u32_e32 v22, v22, v23
	ds_write_b32 v21, v22
.LBB3412_156:
	s_or_b64 exec, exec, s[0:1]
	v_cmp_lt_u32_e32 vcc, 63, v0
	v_mov_b32_e32 v21, 0
	v_mov_b32_e32 v22, 0
	s_waitcnt lgkmcnt(0)
	s_barrier
	s_and_saveexec_b64 s[0:1], vcc
	s_cbranch_execz .LBB3412_158
; %bb.157:
	v_lshl_add_u32 v22, v63, 2, -4
	ds_read_b32 v22, v22
.LBB3412_158:
	s_or_b64 exec, exec, s[0:1]
	v_add_u32_e32 v23, -1, v62
	v_and_b32_e32 v30, 64, v62
	v_cmp_lt_i32_e32 vcc, v23, v30
	s_waitcnt lgkmcnt(0)
	v_add_u32_e32 v20, v22, v20
	v_cndmask_b32_e32 v23, v23, v62, vcc
	v_lshlrev_b32_e32 v23, 2, v23
	ds_bpermute_b32 v23, v23, v20
	ds_read_b32 v20, v21 offset:28
	s_and_saveexec_b64 s[0:1], s[18:19]
	s_cbranch_execz .LBB3412_160
; %bb.159:
	v_mov_b32_e32 v30, 0
	v_mov_b32_e32 v21, 2
	s_waitcnt lgkmcnt(0)
	global_store_dwordx2 v30, v[20:21], s[28:29] offset:512 sc1
.LBB3412_160:
	s_or_b64 exec, exec, s[0:1]
	v_cmp_eq_u32_e32 vcc, 0, v62
	s_waitcnt lgkmcnt(0)
	s_barrier
	v_cndmask_b32_e32 v21, v23, v22, vcc
	v_mov_b32_e32 v22, 0
	v_cndmask_b32_e64 v34, v21, 0, s[18:19]
.LBB3412_161:
	v_add_u32_sdwa v62, v34, v28 dst_sel:DWORD dst_unused:UNUSED_PAD src0_sel:DWORD src1_sel:BYTE_0
	v_add_u32_e32 v1, v20, v1
	v_sub_u32_e32 v34, v34, v22
	v_and_b32_e32 v71, 1, v28
	v_sub_u32_e32 v70, v1, v34
	v_cmp_eq_u32_e32 vcc, 1, v71
	v_lshrrev_b32_e32 v35, 8, v28
	v_add_u32_sdwa v63, v62, v28 dst_sel:DWORD dst_unused:UNUSED_PAD src0_sel:DWORD src1_sel:BYTE_1
	v_cndmask_b32_e32 v34, v70, v34, vcc
	v_lshlrev_b32_e32 v34, 1, v34
	ds_write_b16 v34, v10
	v_sub_u32_e32 v34, v62, v22
	v_sub_u32_e32 v62, v1, v34
	v_and_b32_e32 v35, 1, v35
	v_add_u32_e32 v62, 1, v62
	v_cmp_eq_u32_e32 vcc, 1, v35
	v_mov_b32_e32 v35, 1
	v_and_b32_sdwa v28, v35, v28 dst_sel:DWORD dst_unused:UNUSED_PAD src0_sel:DWORD src1_sel:WORD_1
	v_cndmask_b32_e32 v34, v62, v34, vcc
	v_lshlrev_b32_e32 v34, 1, v34
	ds_write_b16_d16_hi v34, v10
	v_sub_u32_e32 v10, v63, v22
	v_sub_u32_e32 v34, v1, v10
	v_add_u32_e32 v34, 2, v34
	v_cmp_eq_u32_e32 vcc, 1, v28
	v_add_u32_e32 v61, v63, v61
	v_add_u32_e32 v64, v61, v43
	v_cndmask_b32_e32 v10, v34, v10, vcc
	v_lshlrev_b32_e32 v10, 1, v10
	ds_write_b16 v10, v11
	v_sub_u32_e32 v10, v61, v22
	v_sub_u32_e32 v28, v1, v10
	v_and_b32_e32 v34, 1, v43
	v_add_u32_e32 v28, 3, v28
	v_cmp_eq_u32_e32 vcc, 1, v34
	v_add_u32_e32 v58, v64, v58
	v_lshrrev_b32_e32 v33, 8, v29
	v_cndmask_b32_e32 v10, v28, v10, vcc
	v_lshlrev_b32_e32 v10, 1, v10
	ds_write_b16_d16_hi v10, v11
	v_sub_u32_e32 v10, v64, v22
	v_sub_u32_e32 v11, v1, v10
	v_and_b32_e32 v28, 1, v29
	v_add_u32_e32 v11, 4, v11
	v_cmp_eq_u32_e32 vcc, 1, v28
	v_and_b32_e32 v28, 1, v33
	v_add_u32_e32 v59, v58, v59
	v_cndmask_b32_e32 v10, v11, v10, vcc
	v_lshlrev_b32_e32 v10, 1, v10
	ds_write_b16 v10, v12
	v_sub_u32_e32 v10, v58, v22
	v_sub_u32_e32 v11, v1, v10
	v_add_u32_e32 v11, 5, v11
	v_cmp_eq_u32_e32 vcc, 1, v28
	v_add_u32_e32 v60, v59, v60
	v_add_u32_e32 v65, v60, v42
	v_cndmask_b32_e32 v10, v11, v10, vcc
	v_lshlrev_b32_e32 v10, 1, v10
	ds_write_b16_d16_hi v10, v12
	v_sub_u32_e32 v10, v59, v22
	v_sub_u32_e32 v11, v1, v10
	v_and_b32_sdwa v12, v35, v29 dst_sel:DWORD dst_unused:UNUSED_PAD src0_sel:DWORD src1_sel:WORD_1
	v_add_u32_e32 v11, 6, v11
	v_cmp_eq_u32_e32 vcc, 1, v12
	v_and_b32_e32 v12, 1, v42
	v_add_u32_e32 v55, v65, v55
	v_cndmask_b32_e32 v10, v11, v10, vcc
	v_lshlrev_b32_e32 v10, 1, v10
	ds_write_b16 v10, v13
	v_sub_u32_e32 v10, v60, v22
	v_sub_u32_e32 v11, v1, v10
	v_add_u32_e32 v11, 7, v11
	v_cmp_eq_u32_e32 vcc, 1, v12
	v_and_b32_e32 v12, 1, v26
	v_lshrrev_b32_e32 v32, 8, v26
	v_cndmask_b32_e32 v10, v11, v10, vcc
	v_lshlrev_b32_e32 v10, 1, v10
	ds_write_b16_d16_hi v10, v13
	v_sub_u32_e32 v10, v65, v22
	v_sub_u32_e32 v11, v1, v10
	v_add_u32_e32 v11, 8, v11
	v_cmp_eq_u32_e32 vcc, 1, v12
	v_and_b32_e32 v12, 1, v32
	v_add_u32_e32 v56, v55, v56
	v_cndmask_b32_e32 v10, v11, v10, vcc
	v_lshlrev_b32_e32 v10, 1, v10
	ds_write_b16 v10, v6
	v_sub_u32_e32 v10, v55, v22
	v_sub_u32_e32 v11, v1, v10
	v_add_u32_e32 v11, 9, v11
	v_cmp_eq_u32_e32 vcc, 1, v12
	v_add_u32_e32 v57, v56, v57
	v_add_u32_e32 v66, v57, v41
	v_cndmask_b32_e32 v10, v11, v10, vcc
	v_lshlrev_b32_e32 v10, 1, v10
	ds_write_b16_d16_hi v10, v6
	v_sub_u32_e32 v6, v56, v22
	v_sub_u32_e32 v10, v1, v6
	v_and_b32_sdwa v11, v35, v26 dst_sel:DWORD dst_unused:UNUSED_PAD src0_sel:DWORD src1_sel:WORD_1
	v_add_u32_e32 v10, 10, v10
	v_cmp_eq_u32_e32 vcc, 1, v11
	v_and_b32_e32 v11, 1, v41
	v_add_u32_e32 v52, v66, v52
	v_cndmask_b32_e32 v6, v10, v6, vcc
	v_lshlrev_b32_e32 v6, 1, v6
	ds_write_b16 v6, v7
	v_sub_u32_e32 v6, v57, v22
	v_sub_u32_e32 v10, v1, v6
	v_add_u32_e32 v10, 11, v10
	v_cmp_eq_u32_e32 vcc, 1, v11
	v_lshrrev_b32_e32 v31, 8, v27
	v_add_u32_e32 v53, v52, v53
	v_cndmask_b32_e32 v6, v10, v6, vcc
	v_lshlrev_b32_e32 v6, 1, v6
	ds_write_b16_d16_hi v6, v7
	v_sub_u32_e32 v6, v66, v22
	v_sub_u32_e32 v7, v1, v6
	v_and_b32_e32 v10, 1, v27
	v_add_u32_e32 v7, 12, v7
	v_cmp_eq_u32_e32 vcc, 1, v10
	v_and_b32_e32 v10, 1, v31
	v_add_u32_e32 v54, v53, v54
	v_cndmask_b32_e32 v6, v7, v6, vcc
	v_lshlrev_b32_e32 v6, 1, v6
	ds_write_b16 v6, v8
	v_sub_u32_e32 v6, v52, v22
	v_sub_u32_e32 v7, v1, v6
	v_add_u32_e32 v7, 13, v7
	v_cmp_eq_u32_e32 vcc, 1, v10
	v_add_u32_e32 v67, v54, v40
	v_add_u32_e32 v49, v67, v49
	v_cndmask_b32_e32 v6, v7, v6, vcc
	v_lshlrev_b32_e32 v6, 1, v6
	ds_write_b16_d16_hi v6, v8
	v_sub_u32_e32 v6, v53, v22
	v_sub_u32_e32 v7, v1, v6
	v_and_b32_sdwa v8, v35, v27 dst_sel:DWORD dst_unused:UNUSED_PAD src0_sel:DWORD src1_sel:WORD_1
	v_add_u32_e32 v7, 14, v7
	v_cmp_eq_u32_e32 vcc, 1, v8
	v_and_b32_e32 v8, 1, v40
	v_lshrrev_b32_e32 v30, 8, v24
	v_cndmask_b32_e32 v6, v7, v6, vcc
	v_lshlrev_b32_e32 v6, 1, v6
	ds_write_b16 v6, v9
	v_sub_u32_e32 v6, v54, v22
	v_sub_u32_e32 v7, v1, v6
	v_add_u32_e32 v7, 15, v7
	v_cmp_eq_u32_e32 vcc, 1, v8
	v_and_b32_e32 v8, 1, v24
	v_add_u32_e32 v50, v49, v50
	v_cndmask_b32_e32 v6, v7, v6, vcc
	v_lshlrev_b32_e32 v6, 1, v6
	ds_write_b16_d16_hi v6, v9
	v_sub_u32_e32 v6, v67, v22
	v_sub_u32_e32 v7, v1, v6
	v_add_u32_e32 v7, 16, v7
	v_cmp_eq_u32_e32 vcc, 1, v8
	v_and_b32_e32 v8, 1, v30
	v_add_u32_e32 v51, v50, v51
	v_cndmask_b32_e32 v6, v7, v6, vcc
	v_lshlrev_b32_e32 v6, 1, v6
	ds_write_b16 v6, v2
	v_sub_u32_e32 v6, v49, v22
	v_sub_u32_e32 v7, v1, v6
	v_add_u32_e32 v7, 17, v7
	v_cmp_eq_u32_e32 vcc, 1, v8
	v_add_u32_e32 v68, v51, v39
	v_add_u32_e32 v46, v68, v46
	v_cndmask_b32_e32 v6, v7, v6, vcc
	v_lshlrev_b32_e32 v6, 1, v6
	ds_write_b16_d16_hi v6, v2
	v_sub_u32_e32 v2, v50, v22
	v_sub_u32_e32 v6, v1, v2
	v_and_b32_sdwa v7, v35, v24 dst_sel:DWORD dst_unused:UNUSED_PAD src0_sel:DWORD src1_sel:WORD_1
	v_add_u32_e32 v6, 18, v6
	v_cmp_eq_u32_e32 vcc, 1, v7
	v_and_b32_e32 v7, 1, v39
	v_lshrrev_b32_e32 v23, 8, v25
	v_cndmask_b32_e32 v2, v6, v2, vcc
	v_lshlrev_b32_e32 v2, 1, v2
	ds_write_b16 v2, v3
	v_sub_u32_e32 v2, v51, v22
	v_sub_u32_e32 v6, v1, v2
	v_add_u32_e32 v6, 19, v6
	v_cmp_eq_u32_e32 vcc, 1, v7
	v_add_u32_e32 v47, v46, v47
	v_add_u32_e32 v48, v47, v48
	v_cndmask_b32_e32 v2, v6, v2, vcc
	v_lshlrev_b32_e32 v2, 1, v2
	ds_write_b16_d16_hi v2, v3
	v_sub_u32_e32 v2, v68, v22
	v_sub_u32_e32 v3, v1, v2
	v_and_b32_e32 v6, 1, v25
	v_add_u32_e32 v3, 20, v3
	v_cmp_eq_u32_e32 vcc, 1, v6
	v_and_b32_e32 v6, 1, v23
	v_add_u32_e32 v69, v48, v38
	v_cndmask_b32_e32 v2, v3, v2, vcc
	v_lshlrev_b32_e32 v2, 1, v2
	ds_write_b16 v2, v4
	v_sub_u32_e32 v2, v46, v22
	v_sub_u32_e32 v3, v1, v2
	v_add_u32_e32 v3, 21, v3
	v_cmp_eq_u32_e32 vcc, 1, v6
	v_add_u32_e32 v44, v69, v44
	v_lshrrev_b32_e32 v21, 8, v36
	v_cndmask_b32_e32 v2, v3, v2, vcc
	v_lshlrev_b32_e32 v2, 1, v2
	ds_write_b16_d16_hi v2, v4
	v_sub_u32_e32 v2, v47, v22
	v_sub_u32_e32 v3, v1, v2
	v_and_b32_sdwa v4, v35, v25 dst_sel:DWORD dst_unused:UNUSED_PAD src0_sel:DWORD src1_sel:WORD_1
	v_add_u32_e32 v3, 22, v3
	v_cmp_eq_u32_e32 vcc, 1, v4
	v_and_b32_e32 v4, 1, v38
	v_add_u32_e32 v45, v44, v45
	v_cndmask_b32_e32 v2, v3, v2, vcc
	v_lshlrev_b32_e32 v2, 1, v2
	ds_write_b16 v2, v5
	v_sub_u32_e32 v2, v48, v22
	v_sub_u32_e32 v3, v1, v2
	v_add_u32_e32 v3, 23, v3
	v_cmp_eq_u32_e32 vcc, 1, v4
	v_and_b32_e32 v4, 1, v36
	v_or_b32_e32 v63, 0x200, v0
	v_cndmask_b32_e32 v2, v3, v2, vcc
	v_lshlrev_b32_e32 v2, 1, v2
	ds_write_b16_d16_hi v2, v5
	v_sub_u32_e32 v2, v69, v22
	v_sub_u32_e32 v3, v1, v2
	v_add_u32_e32 v3, 24, v3
	v_cmp_eq_u32_e32 vcc, 1, v4
	v_and_b32_e32 v4, 1, v21
	v_or_b32_e32 v61, 0x400, v0
	v_cndmask_b32_e32 v2, v3, v2, vcc
	v_lshlrev_b32_e32 v2, 1, v2
	ds_write_b16 v2, v18
	v_sub_u32_e32 v2, v44, v22
	v_sub_u32_e32 v3, v1, v2
	v_add_u32_e32 v3, 25, v3
	v_cmp_eq_u32_e32 vcc, 1, v4
	v_and_b32_sdwa v4, v35, v36 dst_sel:DWORD dst_unused:UNUSED_PAD src0_sel:DWORD src1_sel:WORD_1
	v_or_b32_e32 v59, 0x600, v0
	v_cndmask_b32_e32 v2, v3, v2, vcc
	v_lshlrev_b32_e32 v2, 1, v2
	ds_write_b16_d16_hi v2, v18
	v_sub_u32_e32 v2, v45, v22
	v_sub_u32_e32 v3, v1, v2
	v_add_u32_e32 v3, 26, v3
	v_cmp_eq_u32_e32 vcc, 1, v4
	v_or_b32_e32 v57, 0x800, v0
	v_or_b32_e32 v55, 0xa00, v0
	v_cndmask_b32_e32 v2, v3, v2, vcc
	v_lshlrev_b32_e32 v2, 1, v2
	ds_write_b16 v2, v19
	v_sub_u32_e32 v2, v37, v22
	v_add_u32_e32 v2, v45, v2
	v_sub_u32_e32 v1, v1, v2
	v_and_b32_e32 v3, 1, v17
	v_add_u32_e32 v1, 27, v1
	v_cmp_eq_u32_e32 vcc, 1, v3
	v_or_b32_e32 v53, 0xc00, v0
	v_or_b32_e32 v50, 0xe00, v0
	v_cndmask_b32_e32 v1, v1, v2, vcc
	v_lshlrev_b32_e32 v1, 1, v1
	ds_write_b16_d16_hi v1, v19
	s_waitcnt lgkmcnt(0)
	s_barrier
	ds_read_u16 v65, v16
	ds_read_u16 v64, v16 offset:1024
	ds_read_u16 v62, v16 offset:2048
	;; [unrolled: 1-line block ×27, first 2 shown]
	v_or_b32_e32 v49, 0x1000, v0
	v_or_b32_e32 v47, 0x1200, v0
	v_or_b32_e32 v45, 0x1400, v0
	v_or_b32_e32 v43, 0x1600, v0
	v_or_b32_e32 v41, 0x1800, v0
	v_or_b32_e32 v39, 0x1a00, v0
	v_or_b32_e32 v37, 0x1c00, v0
	v_or_b32_e32 v34, 0x1e00, v0
	v_or_b32_e32 v33, 0x2000, v0
	v_or_b32_e32 v31, 0x2200, v0
	v_or_b32_e32 v29, 0x2400, v0
	v_or_b32_e32 v27, 0x2600, v0
	v_or_b32_e32 v25, 0x2800, v0
	v_or_b32_e32 v21, 0x2a00, v0
	v_or_b32_e32 v18, 0x2c00, v0
	v_or_b32_e32 v13, 0x2e00, v0
	v_or_b32_e32 v11, 0x3000, v0
	v_or_b32_e32 v9, 0x3200, v0
	v_or_b32_e32 v8, 0x3400, v0
	v_or_b32_e32 v6, 0x3600, v0
	s_andn2_b64 vcc, exec, s[26:27]
	s_waitcnt vmcnt(0)
	v_lshlrev_b64 v[4:5], 1, v[14:15]
	s_cbranch_vccnz .LBB3412_191
; %bb.162:
	v_mov_b32_e32 v23, 0
	v_lshl_add_u64 v[2:3], s[24:25], 0, v[4:5]
	v_lshlrev_b64 v[66:67], 1, v[22:23]
	v_lshl_add_u64 v[2:3], v[2:3], 0, v[66:67]
	v_cmp_lt_u32_e32 vcc, v0, v20
	s_and_saveexec_b64 s[0:1], vcc
	s_cbranch_execnz .LBB3412_226
; %bb.163:
	s_or_b64 exec, exec, s[0:1]
	v_cmp_lt_u32_e32 vcc, v63, v20
	s_and_saveexec_b64 s[0:1], vcc
	s_cbranch_execnz .LBB3412_227
.LBB3412_164:
	s_or_b64 exec, exec, s[0:1]
	v_cmp_lt_u32_e32 vcc, v61, v20
	s_and_saveexec_b64 s[0:1], vcc
	s_cbranch_execnz .LBB3412_228
.LBB3412_165:
	s_or_b64 exec, exec, s[0:1]
	v_cmp_lt_u32_e32 vcc, v59, v20
	s_and_saveexec_b64 s[0:1], vcc
	s_cbranch_execnz .LBB3412_229
.LBB3412_166:
	s_or_b64 exec, exec, s[0:1]
	v_cmp_lt_u32_e32 vcc, v57, v20
	s_and_saveexec_b64 s[0:1], vcc
	s_cbranch_execnz .LBB3412_230
.LBB3412_167:
	s_or_b64 exec, exec, s[0:1]
	v_cmp_lt_u32_e32 vcc, v55, v20
	s_and_saveexec_b64 s[0:1], vcc
	s_cbranch_execnz .LBB3412_231
.LBB3412_168:
	s_or_b64 exec, exec, s[0:1]
	v_cmp_lt_u32_e32 vcc, v53, v20
	s_and_saveexec_b64 s[0:1], vcc
	s_cbranch_execnz .LBB3412_232
.LBB3412_169:
	s_or_b64 exec, exec, s[0:1]
	v_cmp_lt_u32_e32 vcc, v50, v20
	s_and_saveexec_b64 s[0:1], vcc
	s_cbranch_execnz .LBB3412_233
.LBB3412_170:
	s_or_b64 exec, exec, s[0:1]
	v_cmp_lt_u32_e32 vcc, v49, v20
	s_and_saveexec_b64 s[0:1], vcc
	s_cbranch_execnz .LBB3412_234
.LBB3412_171:
	s_or_b64 exec, exec, s[0:1]
	v_cmp_lt_u32_e32 vcc, v47, v20
	s_and_saveexec_b64 s[0:1], vcc
	s_cbranch_execnz .LBB3412_235
.LBB3412_172:
	s_or_b64 exec, exec, s[0:1]
	v_cmp_lt_u32_e32 vcc, v45, v20
	s_and_saveexec_b64 s[0:1], vcc
	s_cbranch_execnz .LBB3412_236
.LBB3412_173:
	s_or_b64 exec, exec, s[0:1]
	v_cmp_lt_u32_e32 vcc, v43, v20
	s_and_saveexec_b64 s[0:1], vcc
	s_cbranch_execnz .LBB3412_237
.LBB3412_174:
	s_or_b64 exec, exec, s[0:1]
	v_cmp_lt_u32_e32 vcc, v41, v20
	s_and_saveexec_b64 s[0:1], vcc
	s_cbranch_execnz .LBB3412_238
.LBB3412_175:
	s_or_b64 exec, exec, s[0:1]
	v_cmp_lt_u32_e32 vcc, v39, v20
	s_and_saveexec_b64 s[0:1], vcc
	s_cbranch_execnz .LBB3412_239
.LBB3412_176:
	s_or_b64 exec, exec, s[0:1]
	v_cmp_lt_u32_e32 vcc, v37, v20
	s_and_saveexec_b64 s[0:1], vcc
	s_cbranch_execnz .LBB3412_240
.LBB3412_177:
	s_or_b64 exec, exec, s[0:1]
	v_cmp_lt_u32_e32 vcc, v34, v20
	s_and_saveexec_b64 s[0:1], vcc
	s_cbranch_execnz .LBB3412_241
.LBB3412_178:
	s_or_b64 exec, exec, s[0:1]
	v_cmp_lt_u32_e32 vcc, v33, v20
	s_and_saveexec_b64 s[0:1], vcc
	s_cbranch_execnz .LBB3412_242
.LBB3412_179:
	s_or_b64 exec, exec, s[0:1]
	v_cmp_lt_u32_e32 vcc, v31, v20
	s_and_saveexec_b64 s[0:1], vcc
	s_cbranch_execnz .LBB3412_243
.LBB3412_180:
	s_or_b64 exec, exec, s[0:1]
	v_cmp_lt_u32_e32 vcc, v29, v20
	s_and_saveexec_b64 s[0:1], vcc
	s_cbranch_execnz .LBB3412_244
.LBB3412_181:
	s_or_b64 exec, exec, s[0:1]
	v_cmp_lt_u32_e32 vcc, v27, v20
	s_and_saveexec_b64 s[0:1], vcc
	s_cbranch_execnz .LBB3412_245
.LBB3412_182:
	s_or_b64 exec, exec, s[0:1]
	v_cmp_lt_u32_e32 vcc, v25, v20
	s_and_saveexec_b64 s[0:1], vcc
	s_cbranch_execnz .LBB3412_246
.LBB3412_183:
	s_or_b64 exec, exec, s[0:1]
	v_cmp_lt_u32_e32 vcc, v21, v20
	s_and_saveexec_b64 s[0:1], vcc
	s_cbranch_execnz .LBB3412_247
.LBB3412_184:
	s_or_b64 exec, exec, s[0:1]
	v_cmp_lt_u32_e32 vcc, v18, v20
	s_and_saveexec_b64 s[0:1], vcc
	s_cbranch_execnz .LBB3412_248
.LBB3412_185:
	s_or_b64 exec, exec, s[0:1]
	v_cmp_lt_u32_e32 vcc, v13, v20
	s_and_saveexec_b64 s[0:1], vcc
	s_cbranch_execnz .LBB3412_249
.LBB3412_186:
	s_or_b64 exec, exec, s[0:1]
	v_cmp_lt_u32_e32 vcc, v11, v20
	s_and_saveexec_b64 s[0:1], vcc
	s_cbranch_execnz .LBB3412_250
.LBB3412_187:
	s_or_b64 exec, exec, s[0:1]
	v_cmp_lt_u32_e32 vcc, v9, v20
	s_and_saveexec_b64 s[0:1], vcc
	s_cbranch_execnz .LBB3412_251
.LBB3412_188:
	s_or_b64 exec, exec, s[0:1]
	v_cmp_lt_u32_e32 vcc, v8, v20
	s_and_saveexec_b64 s[0:1], vcc
	s_cbranch_execz .LBB3412_190
.LBB3412_189:
	v_lshlrev_b32_e32 v23, 1, v8
	v_readfirstlane_b32 s2, v2
	v_readfirstlane_b32 s3, v3
	s_waitcnt lgkmcnt(1)
	s_nop 3
	global_store_short v23, v7, s[2:3]
.LBB3412_190:
	s_or_b64 exec, exec, s[0:1]
	v_cmp_lt_u32_e64 s[0:1], v6, v20
	s_branch .LBB3412_221
.LBB3412_191:
	s_mov_b64 s[0:1], 0
                                        ; implicit-def: $vgpr2_vgpr3
	s_cbranch_execz .LBB3412_221
; %bb.192:
	v_mov_b32_e32 v23, 0
	v_min_u32_e32 v66, s33, v20
	v_lshl_add_u64 v[2:3], s[24:25], 0, v[4:5]
	v_lshlrev_b64 v[4:5], 1, v[22:23]
	v_lshl_add_u64 v[2:3], v[2:3], 0, v[4:5]
	v_cmp_gt_u32_e32 vcc, v66, v0
	s_and_saveexec_b64 s[0:1], vcc
	s_cbranch_execnz .LBB3412_252
; %bb.193:
	s_or_b64 exec, exec, s[0:1]
	v_cmp_lt_u32_e32 vcc, v63, v66
	s_and_saveexec_b64 s[0:1], vcc
	s_cbranch_execnz .LBB3412_253
.LBB3412_194:
	s_or_b64 exec, exec, s[0:1]
	v_cmp_lt_u32_e32 vcc, v61, v66
	s_and_saveexec_b64 s[0:1], vcc
	s_cbranch_execnz .LBB3412_254
.LBB3412_195:
	s_or_b64 exec, exec, s[0:1]
	v_cmp_lt_u32_e32 vcc, v59, v66
	s_and_saveexec_b64 s[0:1], vcc
	s_cbranch_execnz .LBB3412_255
.LBB3412_196:
	s_or_b64 exec, exec, s[0:1]
	v_cmp_lt_u32_e32 vcc, v57, v66
	s_and_saveexec_b64 s[0:1], vcc
	s_cbranch_execnz .LBB3412_256
.LBB3412_197:
	s_or_b64 exec, exec, s[0:1]
	v_cmp_lt_u32_e32 vcc, v55, v66
	s_and_saveexec_b64 s[0:1], vcc
	s_cbranch_execnz .LBB3412_257
.LBB3412_198:
	s_or_b64 exec, exec, s[0:1]
	v_cmp_lt_u32_e32 vcc, v53, v66
	s_and_saveexec_b64 s[0:1], vcc
	s_cbranch_execnz .LBB3412_258
.LBB3412_199:
	s_or_b64 exec, exec, s[0:1]
	v_cmp_lt_u32_e32 vcc, v50, v66
	s_and_saveexec_b64 s[0:1], vcc
	s_cbranch_execnz .LBB3412_259
.LBB3412_200:
	s_or_b64 exec, exec, s[0:1]
	v_cmp_lt_u32_e32 vcc, v49, v66
	s_and_saveexec_b64 s[0:1], vcc
	s_cbranch_execnz .LBB3412_260
.LBB3412_201:
	s_or_b64 exec, exec, s[0:1]
	v_cmp_lt_u32_e32 vcc, v47, v66
	s_and_saveexec_b64 s[0:1], vcc
	s_cbranch_execnz .LBB3412_261
.LBB3412_202:
	s_or_b64 exec, exec, s[0:1]
	v_cmp_lt_u32_e32 vcc, v45, v66
	s_and_saveexec_b64 s[0:1], vcc
	s_cbranch_execnz .LBB3412_262
.LBB3412_203:
	s_or_b64 exec, exec, s[0:1]
	v_cmp_lt_u32_e32 vcc, v43, v66
	s_and_saveexec_b64 s[0:1], vcc
	s_cbranch_execnz .LBB3412_263
.LBB3412_204:
	s_or_b64 exec, exec, s[0:1]
	v_cmp_lt_u32_e32 vcc, v41, v66
	s_and_saveexec_b64 s[0:1], vcc
	s_cbranch_execnz .LBB3412_264
.LBB3412_205:
	s_or_b64 exec, exec, s[0:1]
	v_cmp_lt_u32_e32 vcc, v39, v66
	s_and_saveexec_b64 s[0:1], vcc
	s_cbranch_execnz .LBB3412_265
.LBB3412_206:
	s_or_b64 exec, exec, s[0:1]
	v_cmp_lt_u32_e32 vcc, v37, v66
	s_and_saveexec_b64 s[0:1], vcc
	s_cbranch_execnz .LBB3412_266
.LBB3412_207:
	s_or_b64 exec, exec, s[0:1]
	v_cmp_lt_u32_e32 vcc, v34, v66
	s_and_saveexec_b64 s[0:1], vcc
	s_cbranch_execnz .LBB3412_267
.LBB3412_208:
	s_or_b64 exec, exec, s[0:1]
	v_cmp_lt_u32_e32 vcc, v33, v66
	s_and_saveexec_b64 s[0:1], vcc
	s_cbranch_execnz .LBB3412_268
.LBB3412_209:
	s_or_b64 exec, exec, s[0:1]
	v_cmp_lt_u32_e32 vcc, v31, v66
	s_and_saveexec_b64 s[0:1], vcc
	s_cbranch_execnz .LBB3412_269
.LBB3412_210:
	s_or_b64 exec, exec, s[0:1]
	v_cmp_lt_u32_e32 vcc, v29, v66
	s_and_saveexec_b64 s[0:1], vcc
	s_cbranch_execnz .LBB3412_270
.LBB3412_211:
	s_or_b64 exec, exec, s[0:1]
	v_cmp_lt_u32_e32 vcc, v27, v66
	s_and_saveexec_b64 s[0:1], vcc
	s_cbranch_execnz .LBB3412_271
.LBB3412_212:
	s_or_b64 exec, exec, s[0:1]
	v_cmp_lt_u32_e32 vcc, v25, v66
	s_and_saveexec_b64 s[0:1], vcc
	s_cbranch_execnz .LBB3412_272
.LBB3412_213:
	s_or_b64 exec, exec, s[0:1]
	v_cmp_lt_u32_e32 vcc, v21, v66
	s_and_saveexec_b64 s[0:1], vcc
	s_cbranch_execnz .LBB3412_273
.LBB3412_214:
	s_or_b64 exec, exec, s[0:1]
	v_cmp_lt_u32_e32 vcc, v18, v66
	s_and_saveexec_b64 s[0:1], vcc
	s_cbranch_execnz .LBB3412_274
.LBB3412_215:
	s_or_b64 exec, exec, s[0:1]
	v_cmp_lt_u32_e32 vcc, v13, v66
	s_and_saveexec_b64 s[0:1], vcc
	s_cbranch_execnz .LBB3412_275
.LBB3412_216:
	s_or_b64 exec, exec, s[0:1]
	v_cmp_lt_u32_e32 vcc, v11, v66
	s_and_saveexec_b64 s[0:1], vcc
	s_cbranch_execnz .LBB3412_276
.LBB3412_217:
	s_or_b64 exec, exec, s[0:1]
	v_cmp_lt_u32_e32 vcc, v9, v66
	s_and_saveexec_b64 s[0:1], vcc
	s_cbranch_execnz .LBB3412_277
.LBB3412_218:
	s_or_b64 exec, exec, s[0:1]
	v_cmp_lt_u32_e32 vcc, v8, v66
	s_and_saveexec_b64 s[0:1], vcc
	s_cbranch_execz .LBB3412_220
.LBB3412_219:
	v_lshlrev_b32_e32 v0, 1, v8
	v_readfirstlane_b32 s2, v2
	v_readfirstlane_b32 s3, v3
	s_waitcnt lgkmcnt(1)
	s_nop 3
	global_store_short v0, v7, s[2:3]
.LBB3412_220:
	s_or_b64 exec, exec, s[0:1]
	v_cmp_lt_u32_e64 s[0:1], v6, v66
.LBB3412_221:
	s_and_saveexec_b64 s[2:3], s[0:1]
	s_cbranch_execnz .LBB3412_224
; %bb.222:
	s_or_b64 exec, exec, s[2:3]
	s_and_b64 s[0:1], s[18:19], s[22:23]
	s_and_saveexec_b64 s[2:3], s[0:1]
	s_cbranch_execnz .LBB3412_225
.LBB3412_223:
	s_endpgm
.LBB3412_224:
	v_lshlrev_b32_e32 v0, 1, v6
	v_readfirstlane_b32 s0, v2
	v_readfirstlane_b32 s1, v3
	s_waitcnt lgkmcnt(0)
	s_nop 3
	global_store_short v0, v1, s[0:1]
	s_or_b64 exec, exec, s[2:3]
	s_and_b64 s[0:1], s[18:19], s[22:23]
	s_and_saveexec_b64 s[2:3], s[0:1]
	s_cbranch_execz .LBB3412_223
.LBB3412_225:
	v_mov_b32_e32 v21, 0
	s_waitcnt lgkmcnt(0)
	v_lshl_add_u64 v[0:1], v[14:15], 0, v[20:21]
	v_mov_b32_e32 v23, v21
	v_lshl_add_u64 v[0:1], v[0:1], 0, v[22:23]
	global_store_dwordx2 v21, v[0:1], s[20:21]
	s_endpgm
.LBB3412_226:
	v_readfirstlane_b32 s2, v2
	v_readfirstlane_b32 s3, v3
	s_waitcnt lgkmcnt(14)
	s_nop 3
	global_store_short v16, v65, s[2:3]
	s_or_b64 exec, exec, s[0:1]
	v_cmp_lt_u32_e32 vcc, v63, v20
	s_and_saveexec_b64 s[0:1], vcc
	s_cbranch_execz .LBB3412_164
.LBB3412_227:
	v_readfirstlane_b32 s2, v2
	v_readfirstlane_b32 s3, v3
	s_waitcnt lgkmcnt(14)
	s_nop 3
	global_store_short v16, v64, s[2:3] offset:1024
	s_or_b64 exec, exec, s[0:1]
	v_cmp_lt_u32_e32 vcc, v61, v20
	s_and_saveexec_b64 s[0:1], vcc
	s_cbranch_execz .LBB3412_165
.LBB3412_228:
	v_readfirstlane_b32 s2, v2
	v_readfirstlane_b32 s3, v3
	s_waitcnt lgkmcnt(14)
	s_nop 3
	global_store_short v16, v62, s[2:3] offset:2048
	s_or_b64 exec, exec, s[0:1]
	v_cmp_lt_u32_e32 vcc, v59, v20
	s_and_saveexec_b64 s[0:1], vcc
	s_cbranch_execz .LBB3412_166
.LBB3412_229:
	v_readfirstlane_b32 s2, v2
	v_readfirstlane_b32 s3, v3
	s_waitcnt lgkmcnt(14)
	s_nop 3
	global_store_short v16, v60, s[2:3] offset:3072
	s_or_b64 exec, exec, s[0:1]
	v_cmp_lt_u32_e32 vcc, v57, v20
	s_and_saveexec_b64 s[0:1], vcc
	s_cbranch_execz .LBB3412_167
.LBB3412_230:
	v_lshlrev_b32_e32 v23, 1, v57
	v_readfirstlane_b32 s2, v2
	v_readfirstlane_b32 s3, v3
	s_waitcnt lgkmcnt(14)
	s_nop 3
	global_store_short v23, v58, s[2:3]
	s_or_b64 exec, exec, s[0:1]
	v_cmp_lt_u32_e32 vcc, v55, v20
	s_and_saveexec_b64 s[0:1], vcc
	s_cbranch_execz .LBB3412_168
.LBB3412_231:
	v_lshlrev_b32_e32 v23, 1, v55
	v_readfirstlane_b32 s2, v2
	v_readfirstlane_b32 s3, v3
	s_waitcnt lgkmcnt(14)
	s_nop 3
	global_store_short v23, v56, s[2:3]
	s_or_b64 exec, exec, s[0:1]
	v_cmp_lt_u32_e32 vcc, v53, v20
	s_and_saveexec_b64 s[0:1], vcc
	s_cbranch_execz .LBB3412_169
.LBB3412_232:
	v_lshlrev_b32_e32 v23, 1, v53
	v_readfirstlane_b32 s2, v2
	v_readfirstlane_b32 s3, v3
	s_waitcnt lgkmcnt(14)
	s_nop 3
	global_store_short v23, v54, s[2:3]
	s_or_b64 exec, exec, s[0:1]
	v_cmp_lt_u32_e32 vcc, v50, v20
	s_and_saveexec_b64 s[0:1], vcc
	s_cbranch_execz .LBB3412_170
.LBB3412_233:
	v_lshlrev_b32_e32 v23, 1, v50
	v_readfirstlane_b32 s2, v2
	v_readfirstlane_b32 s3, v3
	s_waitcnt lgkmcnt(14)
	s_nop 3
	global_store_short v23, v51, s[2:3]
	s_or_b64 exec, exec, s[0:1]
	v_cmp_lt_u32_e32 vcc, v49, v20
	s_and_saveexec_b64 s[0:1], vcc
	s_cbranch_execz .LBB3412_171
.LBB3412_234:
	v_lshlrev_b32_e32 v23, 1, v49
	v_readfirstlane_b32 s2, v2
	v_readfirstlane_b32 s3, v3
	s_waitcnt lgkmcnt(14)
	s_nop 3
	global_store_short v23, v52, s[2:3]
	s_or_b64 exec, exec, s[0:1]
	v_cmp_lt_u32_e32 vcc, v47, v20
	s_and_saveexec_b64 s[0:1], vcc
	s_cbranch_execz .LBB3412_172
.LBB3412_235:
	v_lshlrev_b32_e32 v23, 1, v47
	v_readfirstlane_b32 s2, v2
	v_readfirstlane_b32 s3, v3
	s_waitcnt lgkmcnt(14)
	s_nop 3
	global_store_short v23, v48, s[2:3]
	s_or_b64 exec, exec, s[0:1]
	v_cmp_lt_u32_e32 vcc, v45, v20
	s_and_saveexec_b64 s[0:1], vcc
	s_cbranch_execz .LBB3412_173
.LBB3412_236:
	v_lshlrev_b32_e32 v23, 1, v45
	v_readfirstlane_b32 s2, v2
	v_readfirstlane_b32 s3, v3
	s_waitcnt lgkmcnt(14)
	s_nop 3
	global_store_short v23, v46, s[2:3]
	s_or_b64 exec, exec, s[0:1]
	v_cmp_lt_u32_e32 vcc, v43, v20
	s_and_saveexec_b64 s[0:1], vcc
	s_cbranch_execz .LBB3412_174
.LBB3412_237:
	v_lshlrev_b32_e32 v23, 1, v43
	v_readfirstlane_b32 s2, v2
	v_readfirstlane_b32 s3, v3
	s_waitcnt lgkmcnt(14)
	s_nop 3
	global_store_short v23, v44, s[2:3]
	s_or_b64 exec, exec, s[0:1]
	v_cmp_lt_u32_e32 vcc, v41, v20
	s_and_saveexec_b64 s[0:1], vcc
	s_cbranch_execz .LBB3412_175
.LBB3412_238:
	v_lshlrev_b32_e32 v23, 1, v41
	v_readfirstlane_b32 s2, v2
	v_readfirstlane_b32 s3, v3
	s_waitcnt lgkmcnt(14)
	s_nop 3
	global_store_short v23, v42, s[2:3]
	s_or_b64 exec, exec, s[0:1]
	v_cmp_lt_u32_e32 vcc, v39, v20
	s_and_saveexec_b64 s[0:1], vcc
	s_cbranch_execz .LBB3412_176
.LBB3412_239:
	v_lshlrev_b32_e32 v23, 1, v39
	v_readfirstlane_b32 s2, v2
	v_readfirstlane_b32 s3, v3
	s_waitcnt lgkmcnt(14)
	s_nop 3
	global_store_short v23, v40, s[2:3]
	s_or_b64 exec, exec, s[0:1]
	v_cmp_lt_u32_e32 vcc, v37, v20
	s_and_saveexec_b64 s[0:1], vcc
	s_cbranch_execz .LBB3412_177
.LBB3412_240:
	v_lshlrev_b32_e32 v23, 1, v37
	v_readfirstlane_b32 s2, v2
	v_readfirstlane_b32 s3, v3
	s_waitcnt lgkmcnt(13)
	s_nop 3
	global_store_short v23, v38, s[2:3]
	s_or_b64 exec, exec, s[0:1]
	v_cmp_lt_u32_e32 vcc, v34, v20
	s_and_saveexec_b64 s[0:1], vcc
	s_cbranch_execz .LBB3412_178
.LBB3412_241:
	v_lshlrev_b32_e32 v23, 1, v34
	v_readfirstlane_b32 s2, v2
	v_readfirstlane_b32 s3, v3
	s_waitcnt lgkmcnt(12)
	s_nop 3
	global_store_short v23, v35, s[2:3]
	s_or_b64 exec, exec, s[0:1]
	v_cmp_lt_u32_e32 vcc, v33, v20
	s_and_saveexec_b64 s[0:1], vcc
	s_cbranch_execz .LBB3412_179
.LBB3412_242:
	v_lshlrev_b32_e32 v23, 1, v33
	v_readfirstlane_b32 s2, v2
	v_readfirstlane_b32 s3, v3
	s_waitcnt lgkmcnt(11)
	s_nop 3
	global_store_short v23, v36, s[2:3]
	s_or_b64 exec, exec, s[0:1]
	v_cmp_lt_u32_e32 vcc, v31, v20
	s_and_saveexec_b64 s[0:1], vcc
	s_cbranch_execz .LBB3412_180
.LBB3412_243:
	v_lshlrev_b32_e32 v23, 1, v31
	v_readfirstlane_b32 s2, v2
	v_readfirstlane_b32 s3, v3
	s_waitcnt lgkmcnt(10)
	s_nop 3
	global_store_short v23, v32, s[2:3]
	s_or_b64 exec, exec, s[0:1]
	v_cmp_lt_u32_e32 vcc, v29, v20
	s_and_saveexec_b64 s[0:1], vcc
	s_cbranch_execz .LBB3412_181
.LBB3412_244:
	v_lshlrev_b32_e32 v23, 1, v29
	v_readfirstlane_b32 s2, v2
	v_readfirstlane_b32 s3, v3
	s_waitcnt lgkmcnt(9)
	s_nop 3
	global_store_short v23, v30, s[2:3]
	s_or_b64 exec, exec, s[0:1]
	v_cmp_lt_u32_e32 vcc, v27, v20
	s_and_saveexec_b64 s[0:1], vcc
	s_cbranch_execz .LBB3412_182
.LBB3412_245:
	v_lshlrev_b32_e32 v23, 1, v27
	v_readfirstlane_b32 s2, v2
	v_readfirstlane_b32 s3, v3
	s_waitcnt lgkmcnt(8)
	s_nop 3
	global_store_short v23, v28, s[2:3]
	s_or_b64 exec, exec, s[0:1]
	v_cmp_lt_u32_e32 vcc, v25, v20
	s_and_saveexec_b64 s[0:1], vcc
	s_cbranch_execz .LBB3412_183
.LBB3412_246:
	v_lshlrev_b32_e32 v23, 1, v25
	v_readfirstlane_b32 s2, v2
	v_readfirstlane_b32 s3, v3
	s_waitcnt lgkmcnt(7)
	s_nop 3
	global_store_short v23, v26, s[2:3]
	s_or_b64 exec, exec, s[0:1]
	v_cmp_lt_u32_e32 vcc, v21, v20
	s_and_saveexec_b64 s[0:1], vcc
	s_cbranch_execz .LBB3412_184
.LBB3412_247:
	v_lshlrev_b32_e32 v23, 1, v21
	v_readfirstlane_b32 s2, v2
	v_readfirstlane_b32 s3, v3
	s_waitcnt lgkmcnt(6)
	s_nop 3
	global_store_short v23, v24, s[2:3]
	s_or_b64 exec, exec, s[0:1]
	v_cmp_lt_u32_e32 vcc, v18, v20
	s_and_saveexec_b64 s[0:1], vcc
	s_cbranch_execz .LBB3412_185
.LBB3412_248:
	v_lshlrev_b32_e32 v23, 1, v18
	v_readfirstlane_b32 s2, v2
	v_readfirstlane_b32 s3, v3
	s_waitcnt lgkmcnt(5)
	s_nop 3
	global_store_short v23, v19, s[2:3]
	s_or_b64 exec, exec, s[0:1]
	v_cmp_lt_u32_e32 vcc, v13, v20
	s_and_saveexec_b64 s[0:1], vcc
	s_cbranch_execz .LBB3412_186
.LBB3412_249:
	v_lshlrev_b32_e32 v23, 1, v13
	v_readfirstlane_b32 s2, v2
	v_readfirstlane_b32 s3, v3
	s_waitcnt lgkmcnt(4)
	s_nop 3
	global_store_short v23, v17, s[2:3]
	s_or_b64 exec, exec, s[0:1]
	v_cmp_lt_u32_e32 vcc, v11, v20
	s_and_saveexec_b64 s[0:1], vcc
	s_cbranch_execz .LBB3412_187
.LBB3412_250:
	v_lshlrev_b32_e32 v23, 1, v11
	v_readfirstlane_b32 s2, v2
	v_readfirstlane_b32 s3, v3
	s_waitcnt lgkmcnt(3)
	s_nop 3
	global_store_short v23, v12, s[2:3]
	s_or_b64 exec, exec, s[0:1]
	v_cmp_lt_u32_e32 vcc, v9, v20
	s_and_saveexec_b64 s[0:1], vcc
	s_cbranch_execz .LBB3412_188
.LBB3412_251:
	v_lshlrev_b32_e32 v23, 1, v9
	v_readfirstlane_b32 s2, v2
	v_readfirstlane_b32 s3, v3
	s_waitcnt lgkmcnt(2)
	s_nop 3
	global_store_short v23, v10, s[2:3]
	s_or_b64 exec, exec, s[0:1]
	v_cmp_lt_u32_e32 vcc, v8, v20
	s_and_saveexec_b64 s[0:1], vcc
	s_cbranch_execnz .LBB3412_189
	s_branch .LBB3412_190
.LBB3412_252:
	v_readfirstlane_b32 s2, v2
	v_readfirstlane_b32 s3, v3
	s_waitcnt lgkmcnt(14)
	s_nop 3
	global_store_short v16, v65, s[2:3]
	s_or_b64 exec, exec, s[0:1]
	v_cmp_lt_u32_e32 vcc, v63, v66
	s_and_saveexec_b64 s[0:1], vcc
	s_cbranch_execz .LBB3412_194
.LBB3412_253:
	v_readfirstlane_b32 s2, v2
	v_readfirstlane_b32 s3, v3
	s_waitcnt lgkmcnt(14)
	s_nop 3
	global_store_short v16, v64, s[2:3] offset:1024
	s_or_b64 exec, exec, s[0:1]
	v_cmp_lt_u32_e32 vcc, v61, v66
	s_and_saveexec_b64 s[0:1], vcc
	s_cbranch_execz .LBB3412_195
.LBB3412_254:
	v_readfirstlane_b32 s2, v2
	v_readfirstlane_b32 s3, v3
	s_waitcnt lgkmcnt(14)
	s_nop 3
	global_store_short v16, v62, s[2:3] offset:2048
	s_or_b64 exec, exec, s[0:1]
	v_cmp_lt_u32_e32 vcc, v59, v66
	s_and_saveexec_b64 s[0:1], vcc
	s_cbranch_execz .LBB3412_196
.LBB3412_255:
	v_readfirstlane_b32 s2, v2
	v_readfirstlane_b32 s3, v3
	s_waitcnt lgkmcnt(14)
	s_nop 3
	global_store_short v16, v60, s[2:3] offset:3072
	s_or_b64 exec, exec, s[0:1]
	v_cmp_lt_u32_e32 vcc, v57, v66
	s_and_saveexec_b64 s[0:1], vcc
	s_cbranch_execz .LBB3412_197
.LBB3412_256:
	v_lshlrev_b32_e32 v0, 1, v57
	v_readfirstlane_b32 s2, v2
	v_readfirstlane_b32 s3, v3
	s_waitcnt lgkmcnt(14)
	s_nop 3
	global_store_short v0, v58, s[2:3]
	s_or_b64 exec, exec, s[0:1]
	v_cmp_lt_u32_e32 vcc, v55, v66
	s_and_saveexec_b64 s[0:1], vcc
	s_cbranch_execz .LBB3412_198
.LBB3412_257:
	v_lshlrev_b32_e32 v0, 1, v55
	v_readfirstlane_b32 s2, v2
	v_readfirstlane_b32 s3, v3
	s_waitcnt lgkmcnt(14)
	s_nop 3
	global_store_short v0, v56, s[2:3]
	s_or_b64 exec, exec, s[0:1]
	v_cmp_lt_u32_e32 vcc, v53, v66
	s_and_saveexec_b64 s[0:1], vcc
	s_cbranch_execz .LBB3412_199
.LBB3412_258:
	v_lshlrev_b32_e32 v0, 1, v53
	v_readfirstlane_b32 s2, v2
	v_readfirstlane_b32 s3, v3
	s_waitcnt lgkmcnt(14)
	s_nop 3
	global_store_short v0, v54, s[2:3]
	s_or_b64 exec, exec, s[0:1]
	v_cmp_lt_u32_e32 vcc, v50, v66
	s_and_saveexec_b64 s[0:1], vcc
	s_cbranch_execz .LBB3412_200
.LBB3412_259:
	v_lshlrev_b32_e32 v0, 1, v50
	v_readfirstlane_b32 s2, v2
	v_readfirstlane_b32 s3, v3
	s_waitcnt lgkmcnt(14)
	s_nop 3
	global_store_short v0, v51, s[2:3]
	s_or_b64 exec, exec, s[0:1]
	v_cmp_lt_u32_e32 vcc, v49, v66
	s_and_saveexec_b64 s[0:1], vcc
	s_cbranch_execz .LBB3412_201
.LBB3412_260:
	v_lshlrev_b32_e32 v0, 1, v49
	v_readfirstlane_b32 s2, v2
	v_readfirstlane_b32 s3, v3
	s_waitcnt lgkmcnt(14)
	s_nop 3
	global_store_short v0, v52, s[2:3]
	s_or_b64 exec, exec, s[0:1]
	v_cmp_lt_u32_e32 vcc, v47, v66
	s_and_saveexec_b64 s[0:1], vcc
	s_cbranch_execz .LBB3412_202
.LBB3412_261:
	v_lshlrev_b32_e32 v0, 1, v47
	v_readfirstlane_b32 s2, v2
	v_readfirstlane_b32 s3, v3
	s_waitcnt lgkmcnt(14)
	s_nop 3
	global_store_short v0, v48, s[2:3]
	s_or_b64 exec, exec, s[0:1]
	v_cmp_lt_u32_e32 vcc, v45, v66
	s_and_saveexec_b64 s[0:1], vcc
	s_cbranch_execz .LBB3412_203
.LBB3412_262:
	v_lshlrev_b32_e32 v0, 1, v45
	v_readfirstlane_b32 s2, v2
	v_readfirstlane_b32 s3, v3
	s_waitcnt lgkmcnt(14)
	s_nop 3
	global_store_short v0, v46, s[2:3]
	s_or_b64 exec, exec, s[0:1]
	v_cmp_lt_u32_e32 vcc, v43, v66
	s_and_saveexec_b64 s[0:1], vcc
	s_cbranch_execz .LBB3412_204
.LBB3412_263:
	v_lshlrev_b32_e32 v0, 1, v43
	v_readfirstlane_b32 s2, v2
	v_readfirstlane_b32 s3, v3
	s_waitcnt lgkmcnt(14)
	s_nop 3
	global_store_short v0, v44, s[2:3]
	s_or_b64 exec, exec, s[0:1]
	v_cmp_lt_u32_e32 vcc, v41, v66
	s_and_saveexec_b64 s[0:1], vcc
	s_cbranch_execz .LBB3412_205
.LBB3412_264:
	v_lshlrev_b32_e32 v0, 1, v41
	v_readfirstlane_b32 s2, v2
	v_readfirstlane_b32 s3, v3
	s_waitcnt lgkmcnt(14)
	s_nop 3
	global_store_short v0, v42, s[2:3]
	s_or_b64 exec, exec, s[0:1]
	v_cmp_lt_u32_e32 vcc, v39, v66
	s_and_saveexec_b64 s[0:1], vcc
	s_cbranch_execz .LBB3412_206
.LBB3412_265:
	v_lshlrev_b32_e32 v0, 1, v39
	v_readfirstlane_b32 s2, v2
	v_readfirstlane_b32 s3, v3
	s_waitcnt lgkmcnt(14)
	s_nop 3
	global_store_short v0, v40, s[2:3]
	s_or_b64 exec, exec, s[0:1]
	v_cmp_lt_u32_e32 vcc, v37, v66
	s_and_saveexec_b64 s[0:1], vcc
	s_cbranch_execz .LBB3412_207
.LBB3412_266:
	v_lshlrev_b32_e32 v0, 1, v37
	v_readfirstlane_b32 s2, v2
	v_readfirstlane_b32 s3, v3
	s_waitcnt lgkmcnt(13)
	s_nop 3
	global_store_short v0, v38, s[2:3]
	s_or_b64 exec, exec, s[0:1]
	v_cmp_lt_u32_e32 vcc, v34, v66
	s_and_saveexec_b64 s[0:1], vcc
	s_cbranch_execz .LBB3412_208
.LBB3412_267:
	v_lshlrev_b32_e32 v0, 1, v34
	v_readfirstlane_b32 s2, v2
	v_readfirstlane_b32 s3, v3
	s_waitcnt lgkmcnt(12)
	s_nop 3
	global_store_short v0, v35, s[2:3]
	s_or_b64 exec, exec, s[0:1]
	v_cmp_lt_u32_e32 vcc, v33, v66
	s_and_saveexec_b64 s[0:1], vcc
	s_cbranch_execz .LBB3412_209
.LBB3412_268:
	v_lshlrev_b32_e32 v0, 1, v33
	v_readfirstlane_b32 s2, v2
	v_readfirstlane_b32 s3, v3
	s_waitcnt lgkmcnt(11)
	s_nop 3
	global_store_short v0, v36, s[2:3]
	s_or_b64 exec, exec, s[0:1]
	v_cmp_lt_u32_e32 vcc, v31, v66
	s_and_saveexec_b64 s[0:1], vcc
	s_cbranch_execz .LBB3412_210
.LBB3412_269:
	v_lshlrev_b32_e32 v0, 1, v31
	v_readfirstlane_b32 s2, v2
	v_readfirstlane_b32 s3, v3
	s_waitcnt lgkmcnt(10)
	s_nop 3
	global_store_short v0, v32, s[2:3]
	s_or_b64 exec, exec, s[0:1]
	v_cmp_lt_u32_e32 vcc, v29, v66
	s_and_saveexec_b64 s[0:1], vcc
	s_cbranch_execz .LBB3412_211
.LBB3412_270:
	v_lshlrev_b32_e32 v0, 1, v29
	v_readfirstlane_b32 s2, v2
	v_readfirstlane_b32 s3, v3
	s_waitcnt lgkmcnt(9)
	s_nop 3
	global_store_short v0, v30, s[2:3]
	s_or_b64 exec, exec, s[0:1]
	v_cmp_lt_u32_e32 vcc, v27, v66
	s_and_saveexec_b64 s[0:1], vcc
	s_cbranch_execz .LBB3412_212
.LBB3412_271:
	v_lshlrev_b32_e32 v0, 1, v27
	v_readfirstlane_b32 s2, v2
	v_readfirstlane_b32 s3, v3
	s_waitcnt lgkmcnt(8)
	s_nop 3
	global_store_short v0, v28, s[2:3]
	s_or_b64 exec, exec, s[0:1]
	v_cmp_lt_u32_e32 vcc, v25, v66
	s_and_saveexec_b64 s[0:1], vcc
	s_cbranch_execz .LBB3412_213
.LBB3412_272:
	v_lshlrev_b32_e32 v0, 1, v25
	v_readfirstlane_b32 s2, v2
	v_readfirstlane_b32 s3, v3
	s_waitcnt lgkmcnt(7)
	s_nop 3
	global_store_short v0, v26, s[2:3]
	s_or_b64 exec, exec, s[0:1]
	v_cmp_lt_u32_e32 vcc, v21, v66
	s_and_saveexec_b64 s[0:1], vcc
	s_cbranch_execz .LBB3412_214
.LBB3412_273:
	v_lshlrev_b32_e32 v0, 1, v21
	v_readfirstlane_b32 s2, v2
	v_readfirstlane_b32 s3, v3
	s_waitcnt lgkmcnt(6)
	s_nop 3
	global_store_short v0, v24, s[2:3]
	s_or_b64 exec, exec, s[0:1]
	v_cmp_lt_u32_e32 vcc, v18, v66
	s_and_saveexec_b64 s[0:1], vcc
	s_cbranch_execz .LBB3412_215
.LBB3412_274:
	v_lshlrev_b32_e32 v0, 1, v18
	v_readfirstlane_b32 s2, v2
	v_readfirstlane_b32 s3, v3
	s_waitcnt lgkmcnt(5)
	s_nop 3
	global_store_short v0, v19, s[2:3]
	s_or_b64 exec, exec, s[0:1]
	v_cmp_lt_u32_e32 vcc, v13, v66
	s_and_saveexec_b64 s[0:1], vcc
	s_cbranch_execz .LBB3412_216
.LBB3412_275:
	v_lshlrev_b32_e32 v0, 1, v13
	v_readfirstlane_b32 s2, v2
	v_readfirstlane_b32 s3, v3
	s_waitcnt lgkmcnt(4)
	s_nop 3
	global_store_short v0, v17, s[2:3]
	s_or_b64 exec, exec, s[0:1]
	v_cmp_lt_u32_e32 vcc, v11, v66
	s_and_saveexec_b64 s[0:1], vcc
	s_cbranch_execz .LBB3412_217
.LBB3412_276:
	v_lshlrev_b32_e32 v0, 1, v11
	v_readfirstlane_b32 s2, v2
	v_readfirstlane_b32 s3, v3
	s_waitcnt lgkmcnt(3)
	s_nop 3
	global_store_short v0, v12, s[2:3]
	s_or_b64 exec, exec, s[0:1]
	v_cmp_lt_u32_e32 vcc, v9, v66
	s_and_saveexec_b64 s[0:1], vcc
	s_cbranch_execz .LBB3412_218
.LBB3412_277:
	v_lshlrev_b32_e32 v0, 1, v9
	v_readfirstlane_b32 s2, v2
	v_readfirstlane_b32 s3, v3
	s_waitcnt lgkmcnt(2)
	s_nop 3
	global_store_short v0, v10, s[2:3]
	s_or_b64 exec, exec, s[0:1]
	v_cmp_lt_u32_e32 vcc, v8, v66
	s_and_saveexec_b64 s[0:1], vcc
	s_cbranch_execnz .LBB3412_219
	s_branch .LBB3412_220
	.section	.rodata,"a",@progbits
	.p2align	6, 0x0
	.amdhsa_kernel _ZN7rocprim17ROCPRIM_400000_NS6detail17trampoline_kernelINS0_14default_configENS1_25partition_config_selectorILNS1_17partition_subalgoE1EsNS0_10empty_typeEbEEZZNS1_14partition_implILS5_1ELb0ES3_jN6thrust23THRUST_200600_302600_NS6detail15normal_iteratorINSA_10device_ptrIsEEEEPS6_NSA_18transform_iteratorI7is_evenIsESF_NSA_11use_defaultESK_EENS0_5tupleIJSF_NSA_16discard_iteratorISK_EEEEENSM_IJSG_SG_EEES6_PlJS6_EEE10hipError_tPvRmT3_T4_T5_T6_T7_T9_mT8_P12ihipStream_tbDpT10_ENKUlT_T0_E_clISt17integral_constantIbLb0EES1A_IbLb1EEEEDaS16_S17_EUlS16_E_NS1_11comp_targetILNS1_3genE5ELNS1_11target_archE942ELNS1_3gpuE9ELNS1_3repE0EEENS1_30default_config_static_selectorELNS0_4arch9wavefront6targetE1EEEvT1_
		.amdhsa_group_segment_fixed_size 28680
		.amdhsa_private_segment_fixed_size 0
		.amdhsa_kernarg_size 152
		.amdhsa_user_sgpr_count 2
		.amdhsa_user_sgpr_dispatch_ptr 0
		.amdhsa_user_sgpr_queue_ptr 0
		.amdhsa_user_sgpr_kernarg_segment_ptr 1
		.amdhsa_user_sgpr_dispatch_id 0
		.amdhsa_user_sgpr_kernarg_preload_length 0
		.amdhsa_user_sgpr_kernarg_preload_offset 0
		.amdhsa_user_sgpr_private_segment_size 0
		.amdhsa_uses_dynamic_stack 0
		.amdhsa_enable_private_segment 0
		.amdhsa_system_sgpr_workgroup_id_x 1
		.amdhsa_system_sgpr_workgroup_id_y 0
		.amdhsa_system_sgpr_workgroup_id_z 0
		.amdhsa_system_sgpr_workgroup_info 0
		.amdhsa_system_vgpr_workitem_id 0
		.amdhsa_next_free_vgpr 81
		.amdhsa_next_free_sgpr 40
		.amdhsa_accum_offset 84
		.amdhsa_reserve_vcc 1
		.amdhsa_float_round_mode_32 0
		.amdhsa_float_round_mode_16_64 0
		.amdhsa_float_denorm_mode_32 3
		.amdhsa_float_denorm_mode_16_64 3
		.amdhsa_dx10_clamp 1
		.amdhsa_ieee_mode 1
		.amdhsa_fp16_overflow 0
		.amdhsa_tg_split 0
		.amdhsa_exception_fp_ieee_invalid_op 0
		.amdhsa_exception_fp_denorm_src 0
		.amdhsa_exception_fp_ieee_div_zero 0
		.amdhsa_exception_fp_ieee_overflow 0
		.amdhsa_exception_fp_ieee_underflow 0
		.amdhsa_exception_fp_ieee_inexact 0
		.amdhsa_exception_int_div_zero 0
	.end_amdhsa_kernel
	.section	.text._ZN7rocprim17ROCPRIM_400000_NS6detail17trampoline_kernelINS0_14default_configENS1_25partition_config_selectorILNS1_17partition_subalgoE1EsNS0_10empty_typeEbEEZZNS1_14partition_implILS5_1ELb0ES3_jN6thrust23THRUST_200600_302600_NS6detail15normal_iteratorINSA_10device_ptrIsEEEEPS6_NSA_18transform_iteratorI7is_evenIsESF_NSA_11use_defaultESK_EENS0_5tupleIJSF_NSA_16discard_iteratorISK_EEEEENSM_IJSG_SG_EEES6_PlJS6_EEE10hipError_tPvRmT3_T4_T5_T6_T7_T9_mT8_P12ihipStream_tbDpT10_ENKUlT_T0_E_clISt17integral_constantIbLb0EES1A_IbLb1EEEEDaS16_S17_EUlS16_E_NS1_11comp_targetILNS1_3genE5ELNS1_11target_archE942ELNS1_3gpuE9ELNS1_3repE0EEENS1_30default_config_static_selectorELNS0_4arch9wavefront6targetE1EEEvT1_,"axG",@progbits,_ZN7rocprim17ROCPRIM_400000_NS6detail17trampoline_kernelINS0_14default_configENS1_25partition_config_selectorILNS1_17partition_subalgoE1EsNS0_10empty_typeEbEEZZNS1_14partition_implILS5_1ELb0ES3_jN6thrust23THRUST_200600_302600_NS6detail15normal_iteratorINSA_10device_ptrIsEEEEPS6_NSA_18transform_iteratorI7is_evenIsESF_NSA_11use_defaultESK_EENS0_5tupleIJSF_NSA_16discard_iteratorISK_EEEEENSM_IJSG_SG_EEES6_PlJS6_EEE10hipError_tPvRmT3_T4_T5_T6_T7_T9_mT8_P12ihipStream_tbDpT10_ENKUlT_T0_E_clISt17integral_constantIbLb0EES1A_IbLb1EEEEDaS16_S17_EUlS16_E_NS1_11comp_targetILNS1_3genE5ELNS1_11target_archE942ELNS1_3gpuE9ELNS1_3repE0EEENS1_30default_config_static_selectorELNS0_4arch9wavefront6targetE1EEEvT1_,comdat
.Lfunc_end3412:
	.size	_ZN7rocprim17ROCPRIM_400000_NS6detail17trampoline_kernelINS0_14default_configENS1_25partition_config_selectorILNS1_17partition_subalgoE1EsNS0_10empty_typeEbEEZZNS1_14partition_implILS5_1ELb0ES3_jN6thrust23THRUST_200600_302600_NS6detail15normal_iteratorINSA_10device_ptrIsEEEEPS6_NSA_18transform_iteratorI7is_evenIsESF_NSA_11use_defaultESK_EENS0_5tupleIJSF_NSA_16discard_iteratorISK_EEEEENSM_IJSG_SG_EEES6_PlJS6_EEE10hipError_tPvRmT3_T4_T5_T6_T7_T9_mT8_P12ihipStream_tbDpT10_ENKUlT_T0_E_clISt17integral_constantIbLb0EES1A_IbLb1EEEEDaS16_S17_EUlS16_E_NS1_11comp_targetILNS1_3genE5ELNS1_11target_archE942ELNS1_3gpuE9ELNS1_3repE0EEENS1_30default_config_static_selectorELNS0_4arch9wavefront6targetE1EEEvT1_, .Lfunc_end3412-_ZN7rocprim17ROCPRIM_400000_NS6detail17trampoline_kernelINS0_14default_configENS1_25partition_config_selectorILNS1_17partition_subalgoE1EsNS0_10empty_typeEbEEZZNS1_14partition_implILS5_1ELb0ES3_jN6thrust23THRUST_200600_302600_NS6detail15normal_iteratorINSA_10device_ptrIsEEEEPS6_NSA_18transform_iteratorI7is_evenIsESF_NSA_11use_defaultESK_EENS0_5tupleIJSF_NSA_16discard_iteratorISK_EEEEENSM_IJSG_SG_EEES6_PlJS6_EEE10hipError_tPvRmT3_T4_T5_T6_T7_T9_mT8_P12ihipStream_tbDpT10_ENKUlT_T0_E_clISt17integral_constantIbLb0EES1A_IbLb1EEEEDaS16_S17_EUlS16_E_NS1_11comp_targetILNS1_3genE5ELNS1_11target_archE942ELNS1_3gpuE9ELNS1_3repE0EEENS1_30default_config_static_selectorELNS0_4arch9wavefront6targetE1EEEvT1_
                                        ; -- End function
	.section	.AMDGPU.csdata,"",@progbits
; Kernel info:
; codeLenInByte = 12452
; NumSgprs: 46
; NumVgprs: 81
; NumAgprs: 0
; TotalNumVgprs: 81
; ScratchSize: 0
; MemoryBound: 0
; FloatMode: 240
; IeeeMode: 1
; LDSByteSize: 28680 bytes/workgroup (compile time only)
; SGPRBlocks: 5
; VGPRBlocks: 10
; NumSGPRsForWavesPerEU: 46
; NumVGPRsForWavesPerEU: 81
; AccumOffset: 84
; Occupancy: 4
; WaveLimiterHint : 1
; COMPUTE_PGM_RSRC2:SCRATCH_EN: 0
; COMPUTE_PGM_RSRC2:USER_SGPR: 2
; COMPUTE_PGM_RSRC2:TRAP_HANDLER: 0
; COMPUTE_PGM_RSRC2:TGID_X_EN: 1
; COMPUTE_PGM_RSRC2:TGID_Y_EN: 0
; COMPUTE_PGM_RSRC2:TGID_Z_EN: 0
; COMPUTE_PGM_RSRC2:TIDIG_COMP_CNT: 0
; COMPUTE_PGM_RSRC3_GFX90A:ACCUM_OFFSET: 20
; COMPUTE_PGM_RSRC3_GFX90A:TG_SPLIT: 0
	.section	.text._ZN7rocprim17ROCPRIM_400000_NS6detail17trampoline_kernelINS0_14default_configENS1_25partition_config_selectorILNS1_17partition_subalgoE1EsNS0_10empty_typeEbEEZZNS1_14partition_implILS5_1ELb0ES3_jN6thrust23THRUST_200600_302600_NS6detail15normal_iteratorINSA_10device_ptrIsEEEEPS6_NSA_18transform_iteratorI7is_evenIsESF_NSA_11use_defaultESK_EENS0_5tupleIJSF_NSA_16discard_iteratorISK_EEEEENSM_IJSG_SG_EEES6_PlJS6_EEE10hipError_tPvRmT3_T4_T5_T6_T7_T9_mT8_P12ihipStream_tbDpT10_ENKUlT_T0_E_clISt17integral_constantIbLb0EES1A_IbLb1EEEEDaS16_S17_EUlS16_E_NS1_11comp_targetILNS1_3genE4ELNS1_11target_archE910ELNS1_3gpuE8ELNS1_3repE0EEENS1_30default_config_static_selectorELNS0_4arch9wavefront6targetE1EEEvT1_,"axG",@progbits,_ZN7rocprim17ROCPRIM_400000_NS6detail17trampoline_kernelINS0_14default_configENS1_25partition_config_selectorILNS1_17partition_subalgoE1EsNS0_10empty_typeEbEEZZNS1_14partition_implILS5_1ELb0ES3_jN6thrust23THRUST_200600_302600_NS6detail15normal_iteratorINSA_10device_ptrIsEEEEPS6_NSA_18transform_iteratorI7is_evenIsESF_NSA_11use_defaultESK_EENS0_5tupleIJSF_NSA_16discard_iteratorISK_EEEEENSM_IJSG_SG_EEES6_PlJS6_EEE10hipError_tPvRmT3_T4_T5_T6_T7_T9_mT8_P12ihipStream_tbDpT10_ENKUlT_T0_E_clISt17integral_constantIbLb0EES1A_IbLb1EEEEDaS16_S17_EUlS16_E_NS1_11comp_targetILNS1_3genE4ELNS1_11target_archE910ELNS1_3gpuE8ELNS1_3repE0EEENS1_30default_config_static_selectorELNS0_4arch9wavefront6targetE1EEEvT1_,comdat
	.protected	_ZN7rocprim17ROCPRIM_400000_NS6detail17trampoline_kernelINS0_14default_configENS1_25partition_config_selectorILNS1_17partition_subalgoE1EsNS0_10empty_typeEbEEZZNS1_14partition_implILS5_1ELb0ES3_jN6thrust23THRUST_200600_302600_NS6detail15normal_iteratorINSA_10device_ptrIsEEEEPS6_NSA_18transform_iteratorI7is_evenIsESF_NSA_11use_defaultESK_EENS0_5tupleIJSF_NSA_16discard_iteratorISK_EEEEENSM_IJSG_SG_EEES6_PlJS6_EEE10hipError_tPvRmT3_T4_T5_T6_T7_T9_mT8_P12ihipStream_tbDpT10_ENKUlT_T0_E_clISt17integral_constantIbLb0EES1A_IbLb1EEEEDaS16_S17_EUlS16_E_NS1_11comp_targetILNS1_3genE4ELNS1_11target_archE910ELNS1_3gpuE8ELNS1_3repE0EEENS1_30default_config_static_selectorELNS0_4arch9wavefront6targetE1EEEvT1_ ; -- Begin function _ZN7rocprim17ROCPRIM_400000_NS6detail17trampoline_kernelINS0_14default_configENS1_25partition_config_selectorILNS1_17partition_subalgoE1EsNS0_10empty_typeEbEEZZNS1_14partition_implILS5_1ELb0ES3_jN6thrust23THRUST_200600_302600_NS6detail15normal_iteratorINSA_10device_ptrIsEEEEPS6_NSA_18transform_iteratorI7is_evenIsESF_NSA_11use_defaultESK_EENS0_5tupleIJSF_NSA_16discard_iteratorISK_EEEEENSM_IJSG_SG_EEES6_PlJS6_EEE10hipError_tPvRmT3_T4_T5_T6_T7_T9_mT8_P12ihipStream_tbDpT10_ENKUlT_T0_E_clISt17integral_constantIbLb0EES1A_IbLb1EEEEDaS16_S17_EUlS16_E_NS1_11comp_targetILNS1_3genE4ELNS1_11target_archE910ELNS1_3gpuE8ELNS1_3repE0EEENS1_30default_config_static_selectorELNS0_4arch9wavefront6targetE1EEEvT1_
	.globl	_ZN7rocprim17ROCPRIM_400000_NS6detail17trampoline_kernelINS0_14default_configENS1_25partition_config_selectorILNS1_17partition_subalgoE1EsNS0_10empty_typeEbEEZZNS1_14partition_implILS5_1ELb0ES3_jN6thrust23THRUST_200600_302600_NS6detail15normal_iteratorINSA_10device_ptrIsEEEEPS6_NSA_18transform_iteratorI7is_evenIsESF_NSA_11use_defaultESK_EENS0_5tupleIJSF_NSA_16discard_iteratorISK_EEEEENSM_IJSG_SG_EEES6_PlJS6_EEE10hipError_tPvRmT3_T4_T5_T6_T7_T9_mT8_P12ihipStream_tbDpT10_ENKUlT_T0_E_clISt17integral_constantIbLb0EES1A_IbLb1EEEEDaS16_S17_EUlS16_E_NS1_11comp_targetILNS1_3genE4ELNS1_11target_archE910ELNS1_3gpuE8ELNS1_3repE0EEENS1_30default_config_static_selectorELNS0_4arch9wavefront6targetE1EEEvT1_
	.p2align	8
	.type	_ZN7rocprim17ROCPRIM_400000_NS6detail17trampoline_kernelINS0_14default_configENS1_25partition_config_selectorILNS1_17partition_subalgoE1EsNS0_10empty_typeEbEEZZNS1_14partition_implILS5_1ELb0ES3_jN6thrust23THRUST_200600_302600_NS6detail15normal_iteratorINSA_10device_ptrIsEEEEPS6_NSA_18transform_iteratorI7is_evenIsESF_NSA_11use_defaultESK_EENS0_5tupleIJSF_NSA_16discard_iteratorISK_EEEEENSM_IJSG_SG_EEES6_PlJS6_EEE10hipError_tPvRmT3_T4_T5_T6_T7_T9_mT8_P12ihipStream_tbDpT10_ENKUlT_T0_E_clISt17integral_constantIbLb0EES1A_IbLb1EEEEDaS16_S17_EUlS16_E_NS1_11comp_targetILNS1_3genE4ELNS1_11target_archE910ELNS1_3gpuE8ELNS1_3repE0EEENS1_30default_config_static_selectorELNS0_4arch9wavefront6targetE1EEEvT1_,@function
_ZN7rocprim17ROCPRIM_400000_NS6detail17trampoline_kernelINS0_14default_configENS1_25partition_config_selectorILNS1_17partition_subalgoE1EsNS0_10empty_typeEbEEZZNS1_14partition_implILS5_1ELb0ES3_jN6thrust23THRUST_200600_302600_NS6detail15normal_iteratorINSA_10device_ptrIsEEEEPS6_NSA_18transform_iteratorI7is_evenIsESF_NSA_11use_defaultESK_EENS0_5tupleIJSF_NSA_16discard_iteratorISK_EEEEENSM_IJSG_SG_EEES6_PlJS6_EEE10hipError_tPvRmT3_T4_T5_T6_T7_T9_mT8_P12ihipStream_tbDpT10_ENKUlT_T0_E_clISt17integral_constantIbLb0EES1A_IbLb1EEEEDaS16_S17_EUlS16_E_NS1_11comp_targetILNS1_3genE4ELNS1_11target_archE910ELNS1_3gpuE8ELNS1_3repE0EEENS1_30default_config_static_selectorELNS0_4arch9wavefront6targetE1EEEvT1_: ; @_ZN7rocprim17ROCPRIM_400000_NS6detail17trampoline_kernelINS0_14default_configENS1_25partition_config_selectorILNS1_17partition_subalgoE1EsNS0_10empty_typeEbEEZZNS1_14partition_implILS5_1ELb0ES3_jN6thrust23THRUST_200600_302600_NS6detail15normal_iteratorINSA_10device_ptrIsEEEEPS6_NSA_18transform_iteratorI7is_evenIsESF_NSA_11use_defaultESK_EENS0_5tupleIJSF_NSA_16discard_iteratorISK_EEEEENSM_IJSG_SG_EEES6_PlJS6_EEE10hipError_tPvRmT3_T4_T5_T6_T7_T9_mT8_P12ihipStream_tbDpT10_ENKUlT_T0_E_clISt17integral_constantIbLb0EES1A_IbLb1EEEEDaS16_S17_EUlS16_E_NS1_11comp_targetILNS1_3genE4ELNS1_11target_archE910ELNS1_3gpuE8ELNS1_3repE0EEENS1_30default_config_static_selectorELNS0_4arch9wavefront6targetE1EEEvT1_
; %bb.0:
	.section	.rodata,"a",@progbits
	.p2align	6, 0x0
	.amdhsa_kernel _ZN7rocprim17ROCPRIM_400000_NS6detail17trampoline_kernelINS0_14default_configENS1_25partition_config_selectorILNS1_17partition_subalgoE1EsNS0_10empty_typeEbEEZZNS1_14partition_implILS5_1ELb0ES3_jN6thrust23THRUST_200600_302600_NS6detail15normal_iteratorINSA_10device_ptrIsEEEEPS6_NSA_18transform_iteratorI7is_evenIsESF_NSA_11use_defaultESK_EENS0_5tupleIJSF_NSA_16discard_iteratorISK_EEEEENSM_IJSG_SG_EEES6_PlJS6_EEE10hipError_tPvRmT3_T4_T5_T6_T7_T9_mT8_P12ihipStream_tbDpT10_ENKUlT_T0_E_clISt17integral_constantIbLb0EES1A_IbLb1EEEEDaS16_S17_EUlS16_E_NS1_11comp_targetILNS1_3genE4ELNS1_11target_archE910ELNS1_3gpuE8ELNS1_3repE0EEENS1_30default_config_static_selectorELNS0_4arch9wavefront6targetE1EEEvT1_
		.amdhsa_group_segment_fixed_size 0
		.amdhsa_private_segment_fixed_size 0
		.amdhsa_kernarg_size 152
		.amdhsa_user_sgpr_count 2
		.amdhsa_user_sgpr_dispatch_ptr 0
		.amdhsa_user_sgpr_queue_ptr 0
		.amdhsa_user_sgpr_kernarg_segment_ptr 1
		.amdhsa_user_sgpr_dispatch_id 0
		.amdhsa_user_sgpr_kernarg_preload_length 0
		.amdhsa_user_sgpr_kernarg_preload_offset 0
		.amdhsa_user_sgpr_private_segment_size 0
		.amdhsa_uses_dynamic_stack 0
		.amdhsa_enable_private_segment 0
		.amdhsa_system_sgpr_workgroup_id_x 1
		.amdhsa_system_sgpr_workgroup_id_y 0
		.amdhsa_system_sgpr_workgroup_id_z 0
		.amdhsa_system_sgpr_workgroup_info 0
		.amdhsa_system_vgpr_workitem_id 0
		.amdhsa_next_free_vgpr 1
		.amdhsa_next_free_sgpr 0
		.amdhsa_accum_offset 4
		.amdhsa_reserve_vcc 0
		.amdhsa_float_round_mode_32 0
		.amdhsa_float_round_mode_16_64 0
		.amdhsa_float_denorm_mode_32 3
		.amdhsa_float_denorm_mode_16_64 3
		.amdhsa_dx10_clamp 1
		.amdhsa_ieee_mode 1
		.amdhsa_fp16_overflow 0
		.amdhsa_tg_split 0
		.amdhsa_exception_fp_ieee_invalid_op 0
		.amdhsa_exception_fp_denorm_src 0
		.amdhsa_exception_fp_ieee_div_zero 0
		.amdhsa_exception_fp_ieee_overflow 0
		.amdhsa_exception_fp_ieee_underflow 0
		.amdhsa_exception_fp_ieee_inexact 0
		.amdhsa_exception_int_div_zero 0
	.end_amdhsa_kernel
	.section	.text._ZN7rocprim17ROCPRIM_400000_NS6detail17trampoline_kernelINS0_14default_configENS1_25partition_config_selectorILNS1_17partition_subalgoE1EsNS0_10empty_typeEbEEZZNS1_14partition_implILS5_1ELb0ES3_jN6thrust23THRUST_200600_302600_NS6detail15normal_iteratorINSA_10device_ptrIsEEEEPS6_NSA_18transform_iteratorI7is_evenIsESF_NSA_11use_defaultESK_EENS0_5tupleIJSF_NSA_16discard_iteratorISK_EEEEENSM_IJSG_SG_EEES6_PlJS6_EEE10hipError_tPvRmT3_T4_T5_T6_T7_T9_mT8_P12ihipStream_tbDpT10_ENKUlT_T0_E_clISt17integral_constantIbLb0EES1A_IbLb1EEEEDaS16_S17_EUlS16_E_NS1_11comp_targetILNS1_3genE4ELNS1_11target_archE910ELNS1_3gpuE8ELNS1_3repE0EEENS1_30default_config_static_selectorELNS0_4arch9wavefront6targetE1EEEvT1_,"axG",@progbits,_ZN7rocprim17ROCPRIM_400000_NS6detail17trampoline_kernelINS0_14default_configENS1_25partition_config_selectorILNS1_17partition_subalgoE1EsNS0_10empty_typeEbEEZZNS1_14partition_implILS5_1ELb0ES3_jN6thrust23THRUST_200600_302600_NS6detail15normal_iteratorINSA_10device_ptrIsEEEEPS6_NSA_18transform_iteratorI7is_evenIsESF_NSA_11use_defaultESK_EENS0_5tupleIJSF_NSA_16discard_iteratorISK_EEEEENSM_IJSG_SG_EEES6_PlJS6_EEE10hipError_tPvRmT3_T4_T5_T6_T7_T9_mT8_P12ihipStream_tbDpT10_ENKUlT_T0_E_clISt17integral_constantIbLb0EES1A_IbLb1EEEEDaS16_S17_EUlS16_E_NS1_11comp_targetILNS1_3genE4ELNS1_11target_archE910ELNS1_3gpuE8ELNS1_3repE0EEENS1_30default_config_static_selectorELNS0_4arch9wavefront6targetE1EEEvT1_,comdat
.Lfunc_end3413:
	.size	_ZN7rocprim17ROCPRIM_400000_NS6detail17trampoline_kernelINS0_14default_configENS1_25partition_config_selectorILNS1_17partition_subalgoE1EsNS0_10empty_typeEbEEZZNS1_14partition_implILS5_1ELb0ES3_jN6thrust23THRUST_200600_302600_NS6detail15normal_iteratorINSA_10device_ptrIsEEEEPS6_NSA_18transform_iteratorI7is_evenIsESF_NSA_11use_defaultESK_EENS0_5tupleIJSF_NSA_16discard_iteratorISK_EEEEENSM_IJSG_SG_EEES6_PlJS6_EEE10hipError_tPvRmT3_T4_T5_T6_T7_T9_mT8_P12ihipStream_tbDpT10_ENKUlT_T0_E_clISt17integral_constantIbLb0EES1A_IbLb1EEEEDaS16_S17_EUlS16_E_NS1_11comp_targetILNS1_3genE4ELNS1_11target_archE910ELNS1_3gpuE8ELNS1_3repE0EEENS1_30default_config_static_selectorELNS0_4arch9wavefront6targetE1EEEvT1_, .Lfunc_end3413-_ZN7rocprim17ROCPRIM_400000_NS6detail17trampoline_kernelINS0_14default_configENS1_25partition_config_selectorILNS1_17partition_subalgoE1EsNS0_10empty_typeEbEEZZNS1_14partition_implILS5_1ELb0ES3_jN6thrust23THRUST_200600_302600_NS6detail15normal_iteratorINSA_10device_ptrIsEEEEPS6_NSA_18transform_iteratorI7is_evenIsESF_NSA_11use_defaultESK_EENS0_5tupleIJSF_NSA_16discard_iteratorISK_EEEEENSM_IJSG_SG_EEES6_PlJS6_EEE10hipError_tPvRmT3_T4_T5_T6_T7_T9_mT8_P12ihipStream_tbDpT10_ENKUlT_T0_E_clISt17integral_constantIbLb0EES1A_IbLb1EEEEDaS16_S17_EUlS16_E_NS1_11comp_targetILNS1_3genE4ELNS1_11target_archE910ELNS1_3gpuE8ELNS1_3repE0EEENS1_30default_config_static_selectorELNS0_4arch9wavefront6targetE1EEEvT1_
                                        ; -- End function
	.section	.AMDGPU.csdata,"",@progbits
; Kernel info:
; codeLenInByte = 0
; NumSgprs: 6
; NumVgprs: 0
; NumAgprs: 0
; TotalNumVgprs: 0
; ScratchSize: 0
; MemoryBound: 0
; FloatMode: 240
; IeeeMode: 1
; LDSByteSize: 0 bytes/workgroup (compile time only)
; SGPRBlocks: 0
; VGPRBlocks: 0
; NumSGPRsForWavesPerEU: 6
; NumVGPRsForWavesPerEU: 1
; AccumOffset: 4
; Occupancy: 8
; WaveLimiterHint : 0
; COMPUTE_PGM_RSRC2:SCRATCH_EN: 0
; COMPUTE_PGM_RSRC2:USER_SGPR: 2
; COMPUTE_PGM_RSRC2:TRAP_HANDLER: 0
; COMPUTE_PGM_RSRC2:TGID_X_EN: 1
; COMPUTE_PGM_RSRC2:TGID_Y_EN: 0
; COMPUTE_PGM_RSRC2:TGID_Z_EN: 0
; COMPUTE_PGM_RSRC2:TIDIG_COMP_CNT: 0
; COMPUTE_PGM_RSRC3_GFX90A:ACCUM_OFFSET: 0
; COMPUTE_PGM_RSRC3_GFX90A:TG_SPLIT: 0
	.section	.text._ZN7rocprim17ROCPRIM_400000_NS6detail17trampoline_kernelINS0_14default_configENS1_25partition_config_selectorILNS1_17partition_subalgoE1EsNS0_10empty_typeEbEEZZNS1_14partition_implILS5_1ELb0ES3_jN6thrust23THRUST_200600_302600_NS6detail15normal_iteratorINSA_10device_ptrIsEEEEPS6_NSA_18transform_iteratorI7is_evenIsESF_NSA_11use_defaultESK_EENS0_5tupleIJSF_NSA_16discard_iteratorISK_EEEEENSM_IJSG_SG_EEES6_PlJS6_EEE10hipError_tPvRmT3_T4_T5_T6_T7_T9_mT8_P12ihipStream_tbDpT10_ENKUlT_T0_E_clISt17integral_constantIbLb0EES1A_IbLb1EEEEDaS16_S17_EUlS16_E_NS1_11comp_targetILNS1_3genE3ELNS1_11target_archE908ELNS1_3gpuE7ELNS1_3repE0EEENS1_30default_config_static_selectorELNS0_4arch9wavefront6targetE1EEEvT1_,"axG",@progbits,_ZN7rocprim17ROCPRIM_400000_NS6detail17trampoline_kernelINS0_14default_configENS1_25partition_config_selectorILNS1_17partition_subalgoE1EsNS0_10empty_typeEbEEZZNS1_14partition_implILS5_1ELb0ES3_jN6thrust23THRUST_200600_302600_NS6detail15normal_iteratorINSA_10device_ptrIsEEEEPS6_NSA_18transform_iteratorI7is_evenIsESF_NSA_11use_defaultESK_EENS0_5tupleIJSF_NSA_16discard_iteratorISK_EEEEENSM_IJSG_SG_EEES6_PlJS6_EEE10hipError_tPvRmT3_T4_T5_T6_T7_T9_mT8_P12ihipStream_tbDpT10_ENKUlT_T0_E_clISt17integral_constantIbLb0EES1A_IbLb1EEEEDaS16_S17_EUlS16_E_NS1_11comp_targetILNS1_3genE3ELNS1_11target_archE908ELNS1_3gpuE7ELNS1_3repE0EEENS1_30default_config_static_selectorELNS0_4arch9wavefront6targetE1EEEvT1_,comdat
	.protected	_ZN7rocprim17ROCPRIM_400000_NS6detail17trampoline_kernelINS0_14default_configENS1_25partition_config_selectorILNS1_17partition_subalgoE1EsNS0_10empty_typeEbEEZZNS1_14partition_implILS5_1ELb0ES3_jN6thrust23THRUST_200600_302600_NS6detail15normal_iteratorINSA_10device_ptrIsEEEEPS6_NSA_18transform_iteratorI7is_evenIsESF_NSA_11use_defaultESK_EENS0_5tupleIJSF_NSA_16discard_iteratorISK_EEEEENSM_IJSG_SG_EEES6_PlJS6_EEE10hipError_tPvRmT3_T4_T5_T6_T7_T9_mT8_P12ihipStream_tbDpT10_ENKUlT_T0_E_clISt17integral_constantIbLb0EES1A_IbLb1EEEEDaS16_S17_EUlS16_E_NS1_11comp_targetILNS1_3genE3ELNS1_11target_archE908ELNS1_3gpuE7ELNS1_3repE0EEENS1_30default_config_static_selectorELNS0_4arch9wavefront6targetE1EEEvT1_ ; -- Begin function _ZN7rocprim17ROCPRIM_400000_NS6detail17trampoline_kernelINS0_14default_configENS1_25partition_config_selectorILNS1_17partition_subalgoE1EsNS0_10empty_typeEbEEZZNS1_14partition_implILS5_1ELb0ES3_jN6thrust23THRUST_200600_302600_NS6detail15normal_iteratorINSA_10device_ptrIsEEEEPS6_NSA_18transform_iteratorI7is_evenIsESF_NSA_11use_defaultESK_EENS0_5tupleIJSF_NSA_16discard_iteratorISK_EEEEENSM_IJSG_SG_EEES6_PlJS6_EEE10hipError_tPvRmT3_T4_T5_T6_T7_T9_mT8_P12ihipStream_tbDpT10_ENKUlT_T0_E_clISt17integral_constantIbLb0EES1A_IbLb1EEEEDaS16_S17_EUlS16_E_NS1_11comp_targetILNS1_3genE3ELNS1_11target_archE908ELNS1_3gpuE7ELNS1_3repE0EEENS1_30default_config_static_selectorELNS0_4arch9wavefront6targetE1EEEvT1_
	.globl	_ZN7rocprim17ROCPRIM_400000_NS6detail17trampoline_kernelINS0_14default_configENS1_25partition_config_selectorILNS1_17partition_subalgoE1EsNS0_10empty_typeEbEEZZNS1_14partition_implILS5_1ELb0ES3_jN6thrust23THRUST_200600_302600_NS6detail15normal_iteratorINSA_10device_ptrIsEEEEPS6_NSA_18transform_iteratorI7is_evenIsESF_NSA_11use_defaultESK_EENS0_5tupleIJSF_NSA_16discard_iteratorISK_EEEEENSM_IJSG_SG_EEES6_PlJS6_EEE10hipError_tPvRmT3_T4_T5_T6_T7_T9_mT8_P12ihipStream_tbDpT10_ENKUlT_T0_E_clISt17integral_constantIbLb0EES1A_IbLb1EEEEDaS16_S17_EUlS16_E_NS1_11comp_targetILNS1_3genE3ELNS1_11target_archE908ELNS1_3gpuE7ELNS1_3repE0EEENS1_30default_config_static_selectorELNS0_4arch9wavefront6targetE1EEEvT1_
	.p2align	8
	.type	_ZN7rocprim17ROCPRIM_400000_NS6detail17trampoline_kernelINS0_14default_configENS1_25partition_config_selectorILNS1_17partition_subalgoE1EsNS0_10empty_typeEbEEZZNS1_14partition_implILS5_1ELb0ES3_jN6thrust23THRUST_200600_302600_NS6detail15normal_iteratorINSA_10device_ptrIsEEEEPS6_NSA_18transform_iteratorI7is_evenIsESF_NSA_11use_defaultESK_EENS0_5tupleIJSF_NSA_16discard_iteratorISK_EEEEENSM_IJSG_SG_EEES6_PlJS6_EEE10hipError_tPvRmT3_T4_T5_T6_T7_T9_mT8_P12ihipStream_tbDpT10_ENKUlT_T0_E_clISt17integral_constantIbLb0EES1A_IbLb1EEEEDaS16_S17_EUlS16_E_NS1_11comp_targetILNS1_3genE3ELNS1_11target_archE908ELNS1_3gpuE7ELNS1_3repE0EEENS1_30default_config_static_selectorELNS0_4arch9wavefront6targetE1EEEvT1_,@function
_ZN7rocprim17ROCPRIM_400000_NS6detail17trampoline_kernelINS0_14default_configENS1_25partition_config_selectorILNS1_17partition_subalgoE1EsNS0_10empty_typeEbEEZZNS1_14partition_implILS5_1ELb0ES3_jN6thrust23THRUST_200600_302600_NS6detail15normal_iteratorINSA_10device_ptrIsEEEEPS6_NSA_18transform_iteratorI7is_evenIsESF_NSA_11use_defaultESK_EENS0_5tupleIJSF_NSA_16discard_iteratorISK_EEEEENSM_IJSG_SG_EEES6_PlJS6_EEE10hipError_tPvRmT3_T4_T5_T6_T7_T9_mT8_P12ihipStream_tbDpT10_ENKUlT_T0_E_clISt17integral_constantIbLb0EES1A_IbLb1EEEEDaS16_S17_EUlS16_E_NS1_11comp_targetILNS1_3genE3ELNS1_11target_archE908ELNS1_3gpuE7ELNS1_3repE0EEENS1_30default_config_static_selectorELNS0_4arch9wavefront6targetE1EEEvT1_: ; @_ZN7rocprim17ROCPRIM_400000_NS6detail17trampoline_kernelINS0_14default_configENS1_25partition_config_selectorILNS1_17partition_subalgoE1EsNS0_10empty_typeEbEEZZNS1_14partition_implILS5_1ELb0ES3_jN6thrust23THRUST_200600_302600_NS6detail15normal_iteratorINSA_10device_ptrIsEEEEPS6_NSA_18transform_iteratorI7is_evenIsESF_NSA_11use_defaultESK_EENS0_5tupleIJSF_NSA_16discard_iteratorISK_EEEEENSM_IJSG_SG_EEES6_PlJS6_EEE10hipError_tPvRmT3_T4_T5_T6_T7_T9_mT8_P12ihipStream_tbDpT10_ENKUlT_T0_E_clISt17integral_constantIbLb0EES1A_IbLb1EEEEDaS16_S17_EUlS16_E_NS1_11comp_targetILNS1_3genE3ELNS1_11target_archE908ELNS1_3gpuE7ELNS1_3repE0EEENS1_30default_config_static_selectorELNS0_4arch9wavefront6targetE1EEEvT1_
; %bb.0:
	.section	.rodata,"a",@progbits
	.p2align	6, 0x0
	.amdhsa_kernel _ZN7rocprim17ROCPRIM_400000_NS6detail17trampoline_kernelINS0_14default_configENS1_25partition_config_selectorILNS1_17partition_subalgoE1EsNS0_10empty_typeEbEEZZNS1_14partition_implILS5_1ELb0ES3_jN6thrust23THRUST_200600_302600_NS6detail15normal_iteratorINSA_10device_ptrIsEEEEPS6_NSA_18transform_iteratorI7is_evenIsESF_NSA_11use_defaultESK_EENS0_5tupleIJSF_NSA_16discard_iteratorISK_EEEEENSM_IJSG_SG_EEES6_PlJS6_EEE10hipError_tPvRmT3_T4_T5_T6_T7_T9_mT8_P12ihipStream_tbDpT10_ENKUlT_T0_E_clISt17integral_constantIbLb0EES1A_IbLb1EEEEDaS16_S17_EUlS16_E_NS1_11comp_targetILNS1_3genE3ELNS1_11target_archE908ELNS1_3gpuE7ELNS1_3repE0EEENS1_30default_config_static_selectorELNS0_4arch9wavefront6targetE1EEEvT1_
		.amdhsa_group_segment_fixed_size 0
		.amdhsa_private_segment_fixed_size 0
		.amdhsa_kernarg_size 152
		.amdhsa_user_sgpr_count 2
		.amdhsa_user_sgpr_dispatch_ptr 0
		.amdhsa_user_sgpr_queue_ptr 0
		.amdhsa_user_sgpr_kernarg_segment_ptr 1
		.amdhsa_user_sgpr_dispatch_id 0
		.amdhsa_user_sgpr_kernarg_preload_length 0
		.amdhsa_user_sgpr_kernarg_preload_offset 0
		.amdhsa_user_sgpr_private_segment_size 0
		.amdhsa_uses_dynamic_stack 0
		.amdhsa_enable_private_segment 0
		.amdhsa_system_sgpr_workgroup_id_x 1
		.amdhsa_system_sgpr_workgroup_id_y 0
		.amdhsa_system_sgpr_workgroup_id_z 0
		.amdhsa_system_sgpr_workgroup_info 0
		.amdhsa_system_vgpr_workitem_id 0
		.amdhsa_next_free_vgpr 1
		.amdhsa_next_free_sgpr 0
		.amdhsa_accum_offset 4
		.amdhsa_reserve_vcc 0
		.amdhsa_float_round_mode_32 0
		.amdhsa_float_round_mode_16_64 0
		.amdhsa_float_denorm_mode_32 3
		.amdhsa_float_denorm_mode_16_64 3
		.amdhsa_dx10_clamp 1
		.amdhsa_ieee_mode 1
		.amdhsa_fp16_overflow 0
		.amdhsa_tg_split 0
		.amdhsa_exception_fp_ieee_invalid_op 0
		.amdhsa_exception_fp_denorm_src 0
		.amdhsa_exception_fp_ieee_div_zero 0
		.amdhsa_exception_fp_ieee_overflow 0
		.amdhsa_exception_fp_ieee_underflow 0
		.amdhsa_exception_fp_ieee_inexact 0
		.amdhsa_exception_int_div_zero 0
	.end_amdhsa_kernel
	.section	.text._ZN7rocprim17ROCPRIM_400000_NS6detail17trampoline_kernelINS0_14default_configENS1_25partition_config_selectorILNS1_17partition_subalgoE1EsNS0_10empty_typeEbEEZZNS1_14partition_implILS5_1ELb0ES3_jN6thrust23THRUST_200600_302600_NS6detail15normal_iteratorINSA_10device_ptrIsEEEEPS6_NSA_18transform_iteratorI7is_evenIsESF_NSA_11use_defaultESK_EENS0_5tupleIJSF_NSA_16discard_iteratorISK_EEEEENSM_IJSG_SG_EEES6_PlJS6_EEE10hipError_tPvRmT3_T4_T5_T6_T7_T9_mT8_P12ihipStream_tbDpT10_ENKUlT_T0_E_clISt17integral_constantIbLb0EES1A_IbLb1EEEEDaS16_S17_EUlS16_E_NS1_11comp_targetILNS1_3genE3ELNS1_11target_archE908ELNS1_3gpuE7ELNS1_3repE0EEENS1_30default_config_static_selectorELNS0_4arch9wavefront6targetE1EEEvT1_,"axG",@progbits,_ZN7rocprim17ROCPRIM_400000_NS6detail17trampoline_kernelINS0_14default_configENS1_25partition_config_selectorILNS1_17partition_subalgoE1EsNS0_10empty_typeEbEEZZNS1_14partition_implILS5_1ELb0ES3_jN6thrust23THRUST_200600_302600_NS6detail15normal_iteratorINSA_10device_ptrIsEEEEPS6_NSA_18transform_iteratorI7is_evenIsESF_NSA_11use_defaultESK_EENS0_5tupleIJSF_NSA_16discard_iteratorISK_EEEEENSM_IJSG_SG_EEES6_PlJS6_EEE10hipError_tPvRmT3_T4_T5_T6_T7_T9_mT8_P12ihipStream_tbDpT10_ENKUlT_T0_E_clISt17integral_constantIbLb0EES1A_IbLb1EEEEDaS16_S17_EUlS16_E_NS1_11comp_targetILNS1_3genE3ELNS1_11target_archE908ELNS1_3gpuE7ELNS1_3repE0EEENS1_30default_config_static_selectorELNS0_4arch9wavefront6targetE1EEEvT1_,comdat
.Lfunc_end3414:
	.size	_ZN7rocprim17ROCPRIM_400000_NS6detail17trampoline_kernelINS0_14default_configENS1_25partition_config_selectorILNS1_17partition_subalgoE1EsNS0_10empty_typeEbEEZZNS1_14partition_implILS5_1ELb0ES3_jN6thrust23THRUST_200600_302600_NS6detail15normal_iteratorINSA_10device_ptrIsEEEEPS6_NSA_18transform_iteratorI7is_evenIsESF_NSA_11use_defaultESK_EENS0_5tupleIJSF_NSA_16discard_iteratorISK_EEEEENSM_IJSG_SG_EEES6_PlJS6_EEE10hipError_tPvRmT3_T4_T5_T6_T7_T9_mT8_P12ihipStream_tbDpT10_ENKUlT_T0_E_clISt17integral_constantIbLb0EES1A_IbLb1EEEEDaS16_S17_EUlS16_E_NS1_11comp_targetILNS1_3genE3ELNS1_11target_archE908ELNS1_3gpuE7ELNS1_3repE0EEENS1_30default_config_static_selectorELNS0_4arch9wavefront6targetE1EEEvT1_, .Lfunc_end3414-_ZN7rocprim17ROCPRIM_400000_NS6detail17trampoline_kernelINS0_14default_configENS1_25partition_config_selectorILNS1_17partition_subalgoE1EsNS0_10empty_typeEbEEZZNS1_14partition_implILS5_1ELb0ES3_jN6thrust23THRUST_200600_302600_NS6detail15normal_iteratorINSA_10device_ptrIsEEEEPS6_NSA_18transform_iteratorI7is_evenIsESF_NSA_11use_defaultESK_EENS0_5tupleIJSF_NSA_16discard_iteratorISK_EEEEENSM_IJSG_SG_EEES6_PlJS6_EEE10hipError_tPvRmT3_T4_T5_T6_T7_T9_mT8_P12ihipStream_tbDpT10_ENKUlT_T0_E_clISt17integral_constantIbLb0EES1A_IbLb1EEEEDaS16_S17_EUlS16_E_NS1_11comp_targetILNS1_3genE3ELNS1_11target_archE908ELNS1_3gpuE7ELNS1_3repE0EEENS1_30default_config_static_selectorELNS0_4arch9wavefront6targetE1EEEvT1_
                                        ; -- End function
	.section	.AMDGPU.csdata,"",@progbits
; Kernel info:
; codeLenInByte = 0
; NumSgprs: 6
; NumVgprs: 0
; NumAgprs: 0
; TotalNumVgprs: 0
; ScratchSize: 0
; MemoryBound: 0
; FloatMode: 240
; IeeeMode: 1
; LDSByteSize: 0 bytes/workgroup (compile time only)
; SGPRBlocks: 0
; VGPRBlocks: 0
; NumSGPRsForWavesPerEU: 6
; NumVGPRsForWavesPerEU: 1
; AccumOffset: 4
; Occupancy: 8
; WaveLimiterHint : 0
; COMPUTE_PGM_RSRC2:SCRATCH_EN: 0
; COMPUTE_PGM_RSRC2:USER_SGPR: 2
; COMPUTE_PGM_RSRC2:TRAP_HANDLER: 0
; COMPUTE_PGM_RSRC2:TGID_X_EN: 1
; COMPUTE_PGM_RSRC2:TGID_Y_EN: 0
; COMPUTE_PGM_RSRC2:TGID_Z_EN: 0
; COMPUTE_PGM_RSRC2:TIDIG_COMP_CNT: 0
; COMPUTE_PGM_RSRC3_GFX90A:ACCUM_OFFSET: 0
; COMPUTE_PGM_RSRC3_GFX90A:TG_SPLIT: 0
	.section	.text._ZN7rocprim17ROCPRIM_400000_NS6detail17trampoline_kernelINS0_14default_configENS1_25partition_config_selectorILNS1_17partition_subalgoE1EsNS0_10empty_typeEbEEZZNS1_14partition_implILS5_1ELb0ES3_jN6thrust23THRUST_200600_302600_NS6detail15normal_iteratorINSA_10device_ptrIsEEEEPS6_NSA_18transform_iteratorI7is_evenIsESF_NSA_11use_defaultESK_EENS0_5tupleIJSF_NSA_16discard_iteratorISK_EEEEENSM_IJSG_SG_EEES6_PlJS6_EEE10hipError_tPvRmT3_T4_T5_T6_T7_T9_mT8_P12ihipStream_tbDpT10_ENKUlT_T0_E_clISt17integral_constantIbLb0EES1A_IbLb1EEEEDaS16_S17_EUlS16_E_NS1_11comp_targetILNS1_3genE2ELNS1_11target_archE906ELNS1_3gpuE6ELNS1_3repE0EEENS1_30default_config_static_selectorELNS0_4arch9wavefront6targetE1EEEvT1_,"axG",@progbits,_ZN7rocprim17ROCPRIM_400000_NS6detail17trampoline_kernelINS0_14default_configENS1_25partition_config_selectorILNS1_17partition_subalgoE1EsNS0_10empty_typeEbEEZZNS1_14partition_implILS5_1ELb0ES3_jN6thrust23THRUST_200600_302600_NS6detail15normal_iteratorINSA_10device_ptrIsEEEEPS6_NSA_18transform_iteratorI7is_evenIsESF_NSA_11use_defaultESK_EENS0_5tupleIJSF_NSA_16discard_iteratorISK_EEEEENSM_IJSG_SG_EEES6_PlJS6_EEE10hipError_tPvRmT3_T4_T5_T6_T7_T9_mT8_P12ihipStream_tbDpT10_ENKUlT_T0_E_clISt17integral_constantIbLb0EES1A_IbLb1EEEEDaS16_S17_EUlS16_E_NS1_11comp_targetILNS1_3genE2ELNS1_11target_archE906ELNS1_3gpuE6ELNS1_3repE0EEENS1_30default_config_static_selectorELNS0_4arch9wavefront6targetE1EEEvT1_,comdat
	.protected	_ZN7rocprim17ROCPRIM_400000_NS6detail17trampoline_kernelINS0_14default_configENS1_25partition_config_selectorILNS1_17partition_subalgoE1EsNS0_10empty_typeEbEEZZNS1_14partition_implILS5_1ELb0ES3_jN6thrust23THRUST_200600_302600_NS6detail15normal_iteratorINSA_10device_ptrIsEEEEPS6_NSA_18transform_iteratorI7is_evenIsESF_NSA_11use_defaultESK_EENS0_5tupleIJSF_NSA_16discard_iteratorISK_EEEEENSM_IJSG_SG_EEES6_PlJS6_EEE10hipError_tPvRmT3_T4_T5_T6_T7_T9_mT8_P12ihipStream_tbDpT10_ENKUlT_T0_E_clISt17integral_constantIbLb0EES1A_IbLb1EEEEDaS16_S17_EUlS16_E_NS1_11comp_targetILNS1_3genE2ELNS1_11target_archE906ELNS1_3gpuE6ELNS1_3repE0EEENS1_30default_config_static_selectorELNS0_4arch9wavefront6targetE1EEEvT1_ ; -- Begin function _ZN7rocprim17ROCPRIM_400000_NS6detail17trampoline_kernelINS0_14default_configENS1_25partition_config_selectorILNS1_17partition_subalgoE1EsNS0_10empty_typeEbEEZZNS1_14partition_implILS5_1ELb0ES3_jN6thrust23THRUST_200600_302600_NS6detail15normal_iteratorINSA_10device_ptrIsEEEEPS6_NSA_18transform_iteratorI7is_evenIsESF_NSA_11use_defaultESK_EENS0_5tupleIJSF_NSA_16discard_iteratorISK_EEEEENSM_IJSG_SG_EEES6_PlJS6_EEE10hipError_tPvRmT3_T4_T5_T6_T7_T9_mT8_P12ihipStream_tbDpT10_ENKUlT_T0_E_clISt17integral_constantIbLb0EES1A_IbLb1EEEEDaS16_S17_EUlS16_E_NS1_11comp_targetILNS1_3genE2ELNS1_11target_archE906ELNS1_3gpuE6ELNS1_3repE0EEENS1_30default_config_static_selectorELNS0_4arch9wavefront6targetE1EEEvT1_
	.globl	_ZN7rocprim17ROCPRIM_400000_NS6detail17trampoline_kernelINS0_14default_configENS1_25partition_config_selectorILNS1_17partition_subalgoE1EsNS0_10empty_typeEbEEZZNS1_14partition_implILS5_1ELb0ES3_jN6thrust23THRUST_200600_302600_NS6detail15normal_iteratorINSA_10device_ptrIsEEEEPS6_NSA_18transform_iteratorI7is_evenIsESF_NSA_11use_defaultESK_EENS0_5tupleIJSF_NSA_16discard_iteratorISK_EEEEENSM_IJSG_SG_EEES6_PlJS6_EEE10hipError_tPvRmT3_T4_T5_T6_T7_T9_mT8_P12ihipStream_tbDpT10_ENKUlT_T0_E_clISt17integral_constantIbLb0EES1A_IbLb1EEEEDaS16_S17_EUlS16_E_NS1_11comp_targetILNS1_3genE2ELNS1_11target_archE906ELNS1_3gpuE6ELNS1_3repE0EEENS1_30default_config_static_selectorELNS0_4arch9wavefront6targetE1EEEvT1_
	.p2align	8
	.type	_ZN7rocprim17ROCPRIM_400000_NS6detail17trampoline_kernelINS0_14default_configENS1_25partition_config_selectorILNS1_17partition_subalgoE1EsNS0_10empty_typeEbEEZZNS1_14partition_implILS5_1ELb0ES3_jN6thrust23THRUST_200600_302600_NS6detail15normal_iteratorINSA_10device_ptrIsEEEEPS6_NSA_18transform_iteratorI7is_evenIsESF_NSA_11use_defaultESK_EENS0_5tupleIJSF_NSA_16discard_iteratorISK_EEEEENSM_IJSG_SG_EEES6_PlJS6_EEE10hipError_tPvRmT3_T4_T5_T6_T7_T9_mT8_P12ihipStream_tbDpT10_ENKUlT_T0_E_clISt17integral_constantIbLb0EES1A_IbLb1EEEEDaS16_S17_EUlS16_E_NS1_11comp_targetILNS1_3genE2ELNS1_11target_archE906ELNS1_3gpuE6ELNS1_3repE0EEENS1_30default_config_static_selectorELNS0_4arch9wavefront6targetE1EEEvT1_,@function
_ZN7rocprim17ROCPRIM_400000_NS6detail17trampoline_kernelINS0_14default_configENS1_25partition_config_selectorILNS1_17partition_subalgoE1EsNS0_10empty_typeEbEEZZNS1_14partition_implILS5_1ELb0ES3_jN6thrust23THRUST_200600_302600_NS6detail15normal_iteratorINSA_10device_ptrIsEEEEPS6_NSA_18transform_iteratorI7is_evenIsESF_NSA_11use_defaultESK_EENS0_5tupleIJSF_NSA_16discard_iteratorISK_EEEEENSM_IJSG_SG_EEES6_PlJS6_EEE10hipError_tPvRmT3_T4_T5_T6_T7_T9_mT8_P12ihipStream_tbDpT10_ENKUlT_T0_E_clISt17integral_constantIbLb0EES1A_IbLb1EEEEDaS16_S17_EUlS16_E_NS1_11comp_targetILNS1_3genE2ELNS1_11target_archE906ELNS1_3gpuE6ELNS1_3repE0EEENS1_30default_config_static_selectorELNS0_4arch9wavefront6targetE1EEEvT1_: ; @_ZN7rocprim17ROCPRIM_400000_NS6detail17trampoline_kernelINS0_14default_configENS1_25partition_config_selectorILNS1_17partition_subalgoE1EsNS0_10empty_typeEbEEZZNS1_14partition_implILS5_1ELb0ES3_jN6thrust23THRUST_200600_302600_NS6detail15normal_iteratorINSA_10device_ptrIsEEEEPS6_NSA_18transform_iteratorI7is_evenIsESF_NSA_11use_defaultESK_EENS0_5tupleIJSF_NSA_16discard_iteratorISK_EEEEENSM_IJSG_SG_EEES6_PlJS6_EEE10hipError_tPvRmT3_T4_T5_T6_T7_T9_mT8_P12ihipStream_tbDpT10_ENKUlT_T0_E_clISt17integral_constantIbLb0EES1A_IbLb1EEEEDaS16_S17_EUlS16_E_NS1_11comp_targetILNS1_3genE2ELNS1_11target_archE906ELNS1_3gpuE6ELNS1_3repE0EEENS1_30default_config_static_selectorELNS0_4arch9wavefront6targetE1EEEvT1_
; %bb.0:
	.section	.rodata,"a",@progbits
	.p2align	6, 0x0
	.amdhsa_kernel _ZN7rocprim17ROCPRIM_400000_NS6detail17trampoline_kernelINS0_14default_configENS1_25partition_config_selectorILNS1_17partition_subalgoE1EsNS0_10empty_typeEbEEZZNS1_14partition_implILS5_1ELb0ES3_jN6thrust23THRUST_200600_302600_NS6detail15normal_iteratorINSA_10device_ptrIsEEEEPS6_NSA_18transform_iteratorI7is_evenIsESF_NSA_11use_defaultESK_EENS0_5tupleIJSF_NSA_16discard_iteratorISK_EEEEENSM_IJSG_SG_EEES6_PlJS6_EEE10hipError_tPvRmT3_T4_T5_T6_T7_T9_mT8_P12ihipStream_tbDpT10_ENKUlT_T0_E_clISt17integral_constantIbLb0EES1A_IbLb1EEEEDaS16_S17_EUlS16_E_NS1_11comp_targetILNS1_3genE2ELNS1_11target_archE906ELNS1_3gpuE6ELNS1_3repE0EEENS1_30default_config_static_selectorELNS0_4arch9wavefront6targetE1EEEvT1_
		.amdhsa_group_segment_fixed_size 0
		.amdhsa_private_segment_fixed_size 0
		.amdhsa_kernarg_size 152
		.amdhsa_user_sgpr_count 2
		.amdhsa_user_sgpr_dispatch_ptr 0
		.amdhsa_user_sgpr_queue_ptr 0
		.amdhsa_user_sgpr_kernarg_segment_ptr 1
		.amdhsa_user_sgpr_dispatch_id 0
		.amdhsa_user_sgpr_kernarg_preload_length 0
		.amdhsa_user_sgpr_kernarg_preload_offset 0
		.amdhsa_user_sgpr_private_segment_size 0
		.amdhsa_uses_dynamic_stack 0
		.amdhsa_enable_private_segment 0
		.amdhsa_system_sgpr_workgroup_id_x 1
		.amdhsa_system_sgpr_workgroup_id_y 0
		.amdhsa_system_sgpr_workgroup_id_z 0
		.amdhsa_system_sgpr_workgroup_info 0
		.amdhsa_system_vgpr_workitem_id 0
		.amdhsa_next_free_vgpr 1
		.amdhsa_next_free_sgpr 0
		.amdhsa_accum_offset 4
		.amdhsa_reserve_vcc 0
		.amdhsa_float_round_mode_32 0
		.amdhsa_float_round_mode_16_64 0
		.amdhsa_float_denorm_mode_32 3
		.amdhsa_float_denorm_mode_16_64 3
		.amdhsa_dx10_clamp 1
		.amdhsa_ieee_mode 1
		.amdhsa_fp16_overflow 0
		.amdhsa_tg_split 0
		.amdhsa_exception_fp_ieee_invalid_op 0
		.amdhsa_exception_fp_denorm_src 0
		.amdhsa_exception_fp_ieee_div_zero 0
		.amdhsa_exception_fp_ieee_overflow 0
		.amdhsa_exception_fp_ieee_underflow 0
		.amdhsa_exception_fp_ieee_inexact 0
		.amdhsa_exception_int_div_zero 0
	.end_amdhsa_kernel
	.section	.text._ZN7rocprim17ROCPRIM_400000_NS6detail17trampoline_kernelINS0_14default_configENS1_25partition_config_selectorILNS1_17partition_subalgoE1EsNS0_10empty_typeEbEEZZNS1_14partition_implILS5_1ELb0ES3_jN6thrust23THRUST_200600_302600_NS6detail15normal_iteratorINSA_10device_ptrIsEEEEPS6_NSA_18transform_iteratorI7is_evenIsESF_NSA_11use_defaultESK_EENS0_5tupleIJSF_NSA_16discard_iteratorISK_EEEEENSM_IJSG_SG_EEES6_PlJS6_EEE10hipError_tPvRmT3_T4_T5_T6_T7_T9_mT8_P12ihipStream_tbDpT10_ENKUlT_T0_E_clISt17integral_constantIbLb0EES1A_IbLb1EEEEDaS16_S17_EUlS16_E_NS1_11comp_targetILNS1_3genE2ELNS1_11target_archE906ELNS1_3gpuE6ELNS1_3repE0EEENS1_30default_config_static_selectorELNS0_4arch9wavefront6targetE1EEEvT1_,"axG",@progbits,_ZN7rocprim17ROCPRIM_400000_NS6detail17trampoline_kernelINS0_14default_configENS1_25partition_config_selectorILNS1_17partition_subalgoE1EsNS0_10empty_typeEbEEZZNS1_14partition_implILS5_1ELb0ES3_jN6thrust23THRUST_200600_302600_NS6detail15normal_iteratorINSA_10device_ptrIsEEEEPS6_NSA_18transform_iteratorI7is_evenIsESF_NSA_11use_defaultESK_EENS0_5tupleIJSF_NSA_16discard_iteratorISK_EEEEENSM_IJSG_SG_EEES6_PlJS6_EEE10hipError_tPvRmT3_T4_T5_T6_T7_T9_mT8_P12ihipStream_tbDpT10_ENKUlT_T0_E_clISt17integral_constantIbLb0EES1A_IbLb1EEEEDaS16_S17_EUlS16_E_NS1_11comp_targetILNS1_3genE2ELNS1_11target_archE906ELNS1_3gpuE6ELNS1_3repE0EEENS1_30default_config_static_selectorELNS0_4arch9wavefront6targetE1EEEvT1_,comdat
.Lfunc_end3415:
	.size	_ZN7rocprim17ROCPRIM_400000_NS6detail17trampoline_kernelINS0_14default_configENS1_25partition_config_selectorILNS1_17partition_subalgoE1EsNS0_10empty_typeEbEEZZNS1_14partition_implILS5_1ELb0ES3_jN6thrust23THRUST_200600_302600_NS6detail15normal_iteratorINSA_10device_ptrIsEEEEPS6_NSA_18transform_iteratorI7is_evenIsESF_NSA_11use_defaultESK_EENS0_5tupleIJSF_NSA_16discard_iteratorISK_EEEEENSM_IJSG_SG_EEES6_PlJS6_EEE10hipError_tPvRmT3_T4_T5_T6_T7_T9_mT8_P12ihipStream_tbDpT10_ENKUlT_T0_E_clISt17integral_constantIbLb0EES1A_IbLb1EEEEDaS16_S17_EUlS16_E_NS1_11comp_targetILNS1_3genE2ELNS1_11target_archE906ELNS1_3gpuE6ELNS1_3repE0EEENS1_30default_config_static_selectorELNS0_4arch9wavefront6targetE1EEEvT1_, .Lfunc_end3415-_ZN7rocprim17ROCPRIM_400000_NS6detail17trampoline_kernelINS0_14default_configENS1_25partition_config_selectorILNS1_17partition_subalgoE1EsNS0_10empty_typeEbEEZZNS1_14partition_implILS5_1ELb0ES3_jN6thrust23THRUST_200600_302600_NS6detail15normal_iteratorINSA_10device_ptrIsEEEEPS6_NSA_18transform_iteratorI7is_evenIsESF_NSA_11use_defaultESK_EENS0_5tupleIJSF_NSA_16discard_iteratorISK_EEEEENSM_IJSG_SG_EEES6_PlJS6_EEE10hipError_tPvRmT3_T4_T5_T6_T7_T9_mT8_P12ihipStream_tbDpT10_ENKUlT_T0_E_clISt17integral_constantIbLb0EES1A_IbLb1EEEEDaS16_S17_EUlS16_E_NS1_11comp_targetILNS1_3genE2ELNS1_11target_archE906ELNS1_3gpuE6ELNS1_3repE0EEENS1_30default_config_static_selectorELNS0_4arch9wavefront6targetE1EEEvT1_
                                        ; -- End function
	.section	.AMDGPU.csdata,"",@progbits
; Kernel info:
; codeLenInByte = 0
; NumSgprs: 6
; NumVgprs: 0
; NumAgprs: 0
; TotalNumVgprs: 0
; ScratchSize: 0
; MemoryBound: 0
; FloatMode: 240
; IeeeMode: 1
; LDSByteSize: 0 bytes/workgroup (compile time only)
; SGPRBlocks: 0
; VGPRBlocks: 0
; NumSGPRsForWavesPerEU: 6
; NumVGPRsForWavesPerEU: 1
; AccumOffset: 4
; Occupancy: 8
; WaveLimiterHint : 0
; COMPUTE_PGM_RSRC2:SCRATCH_EN: 0
; COMPUTE_PGM_RSRC2:USER_SGPR: 2
; COMPUTE_PGM_RSRC2:TRAP_HANDLER: 0
; COMPUTE_PGM_RSRC2:TGID_X_EN: 1
; COMPUTE_PGM_RSRC2:TGID_Y_EN: 0
; COMPUTE_PGM_RSRC2:TGID_Z_EN: 0
; COMPUTE_PGM_RSRC2:TIDIG_COMP_CNT: 0
; COMPUTE_PGM_RSRC3_GFX90A:ACCUM_OFFSET: 0
; COMPUTE_PGM_RSRC3_GFX90A:TG_SPLIT: 0
	.section	.text._ZN7rocprim17ROCPRIM_400000_NS6detail17trampoline_kernelINS0_14default_configENS1_25partition_config_selectorILNS1_17partition_subalgoE1EsNS0_10empty_typeEbEEZZNS1_14partition_implILS5_1ELb0ES3_jN6thrust23THRUST_200600_302600_NS6detail15normal_iteratorINSA_10device_ptrIsEEEEPS6_NSA_18transform_iteratorI7is_evenIsESF_NSA_11use_defaultESK_EENS0_5tupleIJSF_NSA_16discard_iteratorISK_EEEEENSM_IJSG_SG_EEES6_PlJS6_EEE10hipError_tPvRmT3_T4_T5_T6_T7_T9_mT8_P12ihipStream_tbDpT10_ENKUlT_T0_E_clISt17integral_constantIbLb0EES1A_IbLb1EEEEDaS16_S17_EUlS16_E_NS1_11comp_targetILNS1_3genE10ELNS1_11target_archE1200ELNS1_3gpuE4ELNS1_3repE0EEENS1_30default_config_static_selectorELNS0_4arch9wavefront6targetE1EEEvT1_,"axG",@progbits,_ZN7rocprim17ROCPRIM_400000_NS6detail17trampoline_kernelINS0_14default_configENS1_25partition_config_selectorILNS1_17partition_subalgoE1EsNS0_10empty_typeEbEEZZNS1_14partition_implILS5_1ELb0ES3_jN6thrust23THRUST_200600_302600_NS6detail15normal_iteratorINSA_10device_ptrIsEEEEPS6_NSA_18transform_iteratorI7is_evenIsESF_NSA_11use_defaultESK_EENS0_5tupleIJSF_NSA_16discard_iteratorISK_EEEEENSM_IJSG_SG_EEES6_PlJS6_EEE10hipError_tPvRmT3_T4_T5_T6_T7_T9_mT8_P12ihipStream_tbDpT10_ENKUlT_T0_E_clISt17integral_constantIbLb0EES1A_IbLb1EEEEDaS16_S17_EUlS16_E_NS1_11comp_targetILNS1_3genE10ELNS1_11target_archE1200ELNS1_3gpuE4ELNS1_3repE0EEENS1_30default_config_static_selectorELNS0_4arch9wavefront6targetE1EEEvT1_,comdat
	.protected	_ZN7rocprim17ROCPRIM_400000_NS6detail17trampoline_kernelINS0_14default_configENS1_25partition_config_selectorILNS1_17partition_subalgoE1EsNS0_10empty_typeEbEEZZNS1_14partition_implILS5_1ELb0ES3_jN6thrust23THRUST_200600_302600_NS6detail15normal_iteratorINSA_10device_ptrIsEEEEPS6_NSA_18transform_iteratorI7is_evenIsESF_NSA_11use_defaultESK_EENS0_5tupleIJSF_NSA_16discard_iteratorISK_EEEEENSM_IJSG_SG_EEES6_PlJS6_EEE10hipError_tPvRmT3_T4_T5_T6_T7_T9_mT8_P12ihipStream_tbDpT10_ENKUlT_T0_E_clISt17integral_constantIbLb0EES1A_IbLb1EEEEDaS16_S17_EUlS16_E_NS1_11comp_targetILNS1_3genE10ELNS1_11target_archE1200ELNS1_3gpuE4ELNS1_3repE0EEENS1_30default_config_static_selectorELNS0_4arch9wavefront6targetE1EEEvT1_ ; -- Begin function _ZN7rocprim17ROCPRIM_400000_NS6detail17trampoline_kernelINS0_14default_configENS1_25partition_config_selectorILNS1_17partition_subalgoE1EsNS0_10empty_typeEbEEZZNS1_14partition_implILS5_1ELb0ES3_jN6thrust23THRUST_200600_302600_NS6detail15normal_iteratorINSA_10device_ptrIsEEEEPS6_NSA_18transform_iteratorI7is_evenIsESF_NSA_11use_defaultESK_EENS0_5tupleIJSF_NSA_16discard_iteratorISK_EEEEENSM_IJSG_SG_EEES6_PlJS6_EEE10hipError_tPvRmT3_T4_T5_T6_T7_T9_mT8_P12ihipStream_tbDpT10_ENKUlT_T0_E_clISt17integral_constantIbLb0EES1A_IbLb1EEEEDaS16_S17_EUlS16_E_NS1_11comp_targetILNS1_3genE10ELNS1_11target_archE1200ELNS1_3gpuE4ELNS1_3repE0EEENS1_30default_config_static_selectorELNS0_4arch9wavefront6targetE1EEEvT1_
	.globl	_ZN7rocprim17ROCPRIM_400000_NS6detail17trampoline_kernelINS0_14default_configENS1_25partition_config_selectorILNS1_17partition_subalgoE1EsNS0_10empty_typeEbEEZZNS1_14partition_implILS5_1ELb0ES3_jN6thrust23THRUST_200600_302600_NS6detail15normal_iteratorINSA_10device_ptrIsEEEEPS6_NSA_18transform_iteratorI7is_evenIsESF_NSA_11use_defaultESK_EENS0_5tupleIJSF_NSA_16discard_iteratorISK_EEEEENSM_IJSG_SG_EEES6_PlJS6_EEE10hipError_tPvRmT3_T4_T5_T6_T7_T9_mT8_P12ihipStream_tbDpT10_ENKUlT_T0_E_clISt17integral_constantIbLb0EES1A_IbLb1EEEEDaS16_S17_EUlS16_E_NS1_11comp_targetILNS1_3genE10ELNS1_11target_archE1200ELNS1_3gpuE4ELNS1_3repE0EEENS1_30default_config_static_selectorELNS0_4arch9wavefront6targetE1EEEvT1_
	.p2align	8
	.type	_ZN7rocprim17ROCPRIM_400000_NS6detail17trampoline_kernelINS0_14default_configENS1_25partition_config_selectorILNS1_17partition_subalgoE1EsNS0_10empty_typeEbEEZZNS1_14partition_implILS5_1ELb0ES3_jN6thrust23THRUST_200600_302600_NS6detail15normal_iteratorINSA_10device_ptrIsEEEEPS6_NSA_18transform_iteratorI7is_evenIsESF_NSA_11use_defaultESK_EENS0_5tupleIJSF_NSA_16discard_iteratorISK_EEEEENSM_IJSG_SG_EEES6_PlJS6_EEE10hipError_tPvRmT3_T4_T5_T6_T7_T9_mT8_P12ihipStream_tbDpT10_ENKUlT_T0_E_clISt17integral_constantIbLb0EES1A_IbLb1EEEEDaS16_S17_EUlS16_E_NS1_11comp_targetILNS1_3genE10ELNS1_11target_archE1200ELNS1_3gpuE4ELNS1_3repE0EEENS1_30default_config_static_selectorELNS0_4arch9wavefront6targetE1EEEvT1_,@function
_ZN7rocprim17ROCPRIM_400000_NS6detail17trampoline_kernelINS0_14default_configENS1_25partition_config_selectorILNS1_17partition_subalgoE1EsNS0_10empty_typeEbEEZZNS1_14partition_implILS5_1ELb0ES3_jN6thrust23THRUST_200600_302600_NS6detail15normal_iteratorINSA_10device_ptrIsEEEEPS6_NSA_18transform_iteratorI7is_evenIsESF_NSA_11use_defaultESK_EENS0_5tupleIJSF_NSA_16discard_iteratorISK_EEEEENSM_IJSG_SG_EEES6_PlJS6_EEE10hipError_tPvRmT3_T4_T5_T6_T7_T9_mT8_P12ihipStream_tbDpT10_ENKUlT_T0_E_clISt17integral_constantIbLb0EES1A_IbLb1EEEEDaS16_S17_EUlS16_E_NS1_11comp_targetILNS1_3genE10ELNS1_11target_archE1200ELNS1_3gpuE4ELNS1_3repE0EEENS1_30default_config_static_selectorELNS0_4arch9wavefront6targetE1EEEvT1_: ; @_ZN7rocprim17ROCPRIM_400000_NS6detail17trampoline_kernelINS0_14default_configENS1_25partition_config_selectorILNS1_17partition_subalgoE1EsNS0_10empty_typeEbEEZZNS1_14partition_implILS5_1ELb0ES3_jN6thrust23THRUST_200600_302600_NS6detail15normal_iteratorINSA_10device_ptrIsEEEEPS6_NSA_18transform_iteratorI7is_evenIsESF_NSA_11use_defaultESK_EENS0_5tupleIJSF_NSA_16discard_iteratorISK_EEEEENSM_IJSG_SG_EEES6_PlJS6_EEE10hipError_tPvRmT3_T4_T5_T6_T7_T9_mT8_P12ihipStream_tbDpT10_ENKUlT_T0_E_clISt17integral_constantIbLb0EES1A_IbLb1EEEEDaS16_S17_EUlS16_E_NS1_11comp_targetILNS1_3genE10ELNS1_11target_archE1200ELNS1_3gpuE4ELNS1_3repE0EEENS1_30default_config_static_selectorELNS0_4arch9wavefront6targetE1EEEvT1_
; %bb.0:
	.section	.rodata,"a",@progbits
	.p2align	6, 0x0
	.amdhsa_kernel _ZN7rocprim17ROCPRIM_400000_NS6detail17trampoline_kernelINS0_14default_configENS1_25partition_config_selectorILNS1_17partition_subalgoE1EsNS0_10empty_typeEbEEZZNS1_14partition_implILS5_1ELb0ES3_jN6thrust23THRUST_200600_302600_NS6detail15normal_iteratorINSA_10device_ptrIsEEEEPS6_NSA_18transform_iteratorI7is_evenIsESF_NSA_11use_defaultESK_EENS0_5tupleIJSF_NSA_16discard_iteratorISK_EEEEENSM_IJSG_SG_EEES6_PlJS6_EEE10hipError_tPvRmT3_T4_T5_T6_T7_T9_mT8_P12ihipStream_tbDpT10_ENKUlT_T0_E_clISt17integral_constantIbLb0EES1A_IbLb1EEEEDaS16_S17_EUlS16_E_NS1_11comp_targetILNS1_3genE10ELNS1_11target_archE1200ELNS1_3gpuE4ELNS1_3repE0EEENS1_30default_config_static_selectorELNS0_4arch9wavefront6targetE1EEEvT1_
		.amdhsa_group_segment_fixed_size 0
		.amdhsa_private_segment_fixed_size 0
		.amdhsa_kernarg_size 152
		.amdhsa_user_sgpr_count 2
		.amdhsa_user_sgpr_dispatch_ptr 0
		.amdhsa_user_sgpr_queue_ptr 0
		.amdhsa_user_sgpr_kernarg_segment_ptr 1
		.amdhsa_user_sgpr_dispatch_id 0
		.amdhsa_user_sgpr_kernarg_preload_length 0
		.amdhsa_user_sgpr_kernarg_preload_offset 0
		.amdhsa_user_sgpr_private_segment_size 0
		.amdhsa_uses_dynamic_stack 0
		.amdhsa_enable_private_segment 0
		.amdhsa_system_sgpr_workgroup_id_x 1
		.amdhsa_system_sgpr_workgroup_id_y 0
		.amdhsa_system_sgpr_workgroup_id_z 0
		.amdhsa_system_sgpr_workgroup_info 0
		.amdhsa_system_vgpr_workitem_id 0
		.amdhsa_next_free_vgpr 1
		.amdhsa_next_free_sgpr 0
		.amdhsa_accum_offset 4
		.amdhsa_reserve_vcc 0
		.amdhsa_float_round_mode_32 0
		.amdhsa_float_round_mode_16_64 0
		.amdhsa_float_denorm_mode_32 3
		.amdhsa_float_denorm_mode_16_64 3
		.amdhsa_dx10_clamp 1
		.amdhsa_ieee_mode 1
		.amdhsa_fp16_overflow 0
		.amdhsa_tg_split 0
		.amdhsa_exception_fp_ieee_invalid_op 0
		.amdhsa_exception_fp_denorm_src 0
		.amdhsa_exception_fp_ieee_div_zero 0
		.amdhsa_exception_fp_ieee_overflow 0
		.amdhsa_exception_fp_ieee_underflow 0
		.amdhsa_exception_fp_ieee_inexact 0
		.amdhsa_exception_int_div_zero 0
	.end_amdhsa_kernel
	.section	.text._ZN7rocprim17ROCPRIM_400000_NS6detail17trampoline_kernelINS0_14default_configENS1_25partition_config_selectorILNS1_17partition_subalgoE1EsNS0_10empty_typeEbEEZZNS1_14partition_implILS5_1ELb0ES3_jN6thrust23THRUST_200600_302600_NS6detail15normal_iteratorINSA_10device_ptrIsEEEEPS6_NSA_18transform_iteratorI7is_evenIsESF_NSA_11use_defaultESK_EENS0_5tupleIJSF_NSA_16discard_iteratorISK_EEEEENSM_IJSG_SG_EEES6_PlJS6_EEE10hipError_tPvRmT3_T4_T5_T6_T7_T9_mT8_P12ihipStream_tbDpT10_ENKUlT_T0_E_clISt17integral_constantIbLb0EES1A_IbLb1EEEEDaS16_S17_EUlS16_E_NS1_11comp_targetILNS1_3genE10ELNS1_11target_archE1200ELNS1_3gpuE4ELNS1_3repE0EEENS1_30default_config_static_selectorELNS0_4arch9wavefront6targetE1EEEvT1_,"axG",@progbits,_ZN7rocprim17ROCPRIM_400000_NS6detail17trampoline_kernelINS0_14default_configENS1_25partition_config_selectorILNS1_17partition_subalgoE1EsNS0_10empty_typeEbEEZZNS1_14partition_implILS5_1ELb0ES3_jN6thrust23THRUST_200600_302600_NS6detail15normal_iteratorINSA_10device_ptrIsEEEEPS6_NSA_18transform_iteratorI7is_evenIsESF_NSA_11use_defaultESK_EENS0_5tupleIJSF_NSA_16discard_iteratorISK_EEEEENSM_IJSG_SG_EEES6_PlJS6_EEE10hipError_tPvRmT3_T4_T5_T6_T7_T9_mT8_P12ihipStream_tbDpT10_ENKUlT_T0_E_clISt17integral_constantIbLb0EES1A_IbLb1EEEEDaS16_S17_EUlS16_E_NS1_11comp_targetILNS1_3genE10ELNS1_11target_archE1200ELNS1_3gpuE4ELNS1_3repE0EEENS1_30default_config_static_selectorELNS0_4arch9wavefront6targetE1EEEvT1_,comdat
.Lfunc_end3416:
	.size	_ZN7rocprim17ROCPRIM_400000_NS6detail17trampoline_kernelINS0_14default_configENS1_25partition_config_selectorILNS1_17partition_subalgoE1EsNS0_10empty_typeEbEEZZNS1_14partition_implILS5_1ELb0ES3_jN6thrust23THRUST_200600_302600_NS6detail15normal_iteratorINSA_10device_ptrIsEEEEPS6_NSA_18transform_iteratorI7is_evenIsESF_NSA_11use_defaultESK_EENS0_5tupleIJSF_NSA_16discard_iteratorISK_EEEEENSM_IJSG_SG_EEES6_PlJS6_EEE10hipError_tPvRmT3_T4_T5_T6_T7_T9_mT8_P12ihipStream_tbDpT10_ENKUlT_T0_E_clISt17integral_constantIbLb0EES1A_IbLb1EEEEDaS16_S17_EUlS16_E_NS1_11comp_targetILNS1_3genE10ELNS1_11target_archE1200ELNS1_3gpuE4ELNS1_3repE0EEENS1_30default_config_static_selectorELNS0_4arch9wavefront6targetE1EEEvT1_, .Lfunc_end3416-_ZN7rocprim17ROCPRIM_400000_NS6detail17trampoline_kernelINS0_14default_configENS1_25partition_config_selectorILNS1_17partition_subalgoE1EsNS0_10empty_typeEbEEZZNS1_14partition_implILS5_1ELb0ES3_jN6thrust23THRUST_200600_302600_NS6detail15normal_iteratorINSA_10device_ptrIsEEEEPS6_NSA_18transform_iteratorI7is_evenIsESF_NSA_11use_defaultESK_EENS0_5tupleIJSF_NSA_16discard_iteratorISK_EEEEENSM_IJSG_SG_EEES6_PlJS6_EEE10hipError_tPvRmT3_T4_T5_T6_T7_T9_mT8_P12ihipStream_tbDpT10_ENKUlT_T0_E_clISt17integral_constantIbLb0EES1A_IbLb1EEEEDaS16_S17_EUlS16_E_NS1_11comp_targetILNS1_3genE10ELNS1_11target_archE1200ELNS1_3gpuE4ELNS1_3repE0EEENS1_30default_config_static_selectorELNS0_4arch9wavefront6targetE1EEEvT1_
                                        ; -- End function
	.section	.AMDGPU.csdata,"",@progbits
; Kernel info:
; codeLenInByte = 0
; NumSgprs: 6
; NumVgprs: 0
; NumAgprs: 0
; TotalNumVgprs: 0
; ScratchSize: 0
; MemoryBound: 0
; FloatMode: 240
; IeeeMode: 1
; LDSByteSize: 0 bytes/workgroup (compile time only)
; SGPRBlocks: 0
; VGPRBlocks: 0
; NumSGPRsForWavesPerEU: 6
; NumVGPRsForWavesPerEU: 1
; AccumOffset: 4
; Occupancy: 8
; WaveLimiterHint : 0
; COMPUTE_PGM_RSRC2:SCRATCH_EN: 0
; COMPUTE_PGM_RSRC2:USER_SGPR: 2
; COMPUTE_PGM_RSRC2:TRAP_HANDLER: 0
; COMPUTE_PGM_RSRC2:TGID_X_EN: 1
; COMPUTE_PGM_RSRC2:TGID_Y_EN: 0
; COMPUTE_PGM_RSRC2:TGID_Z_EN: 0
; COMPUTE_PGM_RSRC2:TIDIG_COMP_CNT: 0
; COMPUTE_PGM_RSRC3_GFX90A:ACCUM_OFFSET: 0
; COMPUTE_PGM_RSRC3_GFX90A:TG_SPLIT: 0
	.section	.text._ZN7rocprim17ROCPRIM_400000_NS6detail17trampoline_kernelINS0_14default_configENS1_25partition_config_selectorILNS1_17partition_subalgoE1EsNS0_10empty_typeEbEEZZNS1_14partition_implILS5_1ELb0ES3_jN6thrust23THRUST_200600_302600_NS6detail15normal_iteratorINSA_10device_ptrIsEEEEPS6_NSA_18transform_iteratorI7is_evenIsESF_NSA_11use_defaultESK_EENS0_5tupleIJSF_NSA_16discard_iteratorISK_EEEEENSM_IJSG_SG_EEES6_PlJS6_EEE10hipError_tPvRmT3_T4_T5_T6_T7_T9_mT8_P12ihipStream_tbDpT10_ENKUlT_T0_E_clISt17integral_constantIbLb0EES1A_IbLb1EEEEDaS16_S17_EUlS16_E_NS1_11comp_targetILNS1_3genE9ELNS1_11target_archE1100ELNS1_3gpuE3ELNS1_3repE0EEENS1_30default_config_static_selectorELNS0_4arch9wavefront6targetE1EEEvT1_,"axG",@progbits,_ZN7rocprim17ROCPRIM_400000_NS6detail17trampoline_kernelINS0_14default_configENS1_25partition_config_selectorILNS1_17partition_subalgoE1EsNS0_10empty_typeEbEEZZNS1_14partition_implILS5_1ELb0ES3_jN6thrust23THRUST_200600_302600_NS6detail15normal_iteratorINSA_10device_ptrIsEEEEPS6_NSA_18transform_iteratorI7is_evenIsESF_NSA_11use_defaultESK_EENS0_5tupleIJSF_NSA_16discard_iteratorISK_EEEEENSM_IJSG_SG_EEES6_PlJS6_EEE10hipError_tPvRmT3_T4_T5_T6_T7_T9_mT8_P12ihipStream_tbDpT10_ENKUlT_T0_E_clISt17integral_constantIbLb0EES1A_IbLb1EEEEDaS16_S17_EUlS16_E_NS1_11comp_targetILNS1_3genE9ELNS1_11target_archE1100ELNS1_3gpuE3ELNS1_3repE0EEENS1_30default_config_static_selectorELNS0_4arch9wavefront6targetE1EEEvT1_,comdat
	.protected	_ZN7rocprim17ROCPRIM_400000_NS6detail17trampoline_kernelINS0_14default_configENS1_25partition_config_selectorILNS1_17partition_subalgoE1EsNS0_10empty_typeEbEEZZNS1_14partition_implILS5_1ELb0ES3_jN6thrust23THRUST_200600_302600_NS6detail15normal_iteratorINSA_10device_ptrIsEEEEPS6_NSA_18transform_iteratorI7is_evenIsESF_NSA_11use_defaultESK_EENS0_5tupleIJSF_NSA_16discard_iteratorISK_EEEEENSM_IJSG_SG_EEES6_PlJS6_EEE10hipError_tPvRmT3_T4_T5_T6_T7_T9_mT8_P12ihipStream_tbDpT10_ENKUlT_T0_E_clISt17integral_constantIbLb0EES1A_IbLb1EEEEDaS16_S17_EUlS16_E_NS1_11comp_targetILNS1_3genE9ELNS1_11target_archE1100ELNS1_3gpuE3ELNS1_3repE0EEENS1_30default_config_static_selectorELNS0_4arch9wavefront6targetE1EEEvT1_ ; -- Begin function _ZN7rocprim17ROCPRIM_400000_NS6detail17trampoline_kernelINS0_14default_configENS1_25partition_config_selectorILNS1_17partition_subalgoE1EsNS0_10empty_typeEbEEZZNS1_14partition_implILS5_1ELb0ES3_jN6thrust23THRUST_200600_302600_NS6detail15normal_iteratorINSA_10device_ptrIsEEEEPS6_NSA_18transform_iteratorI7is_evenIsESF_NSA_11use_defaultESK_EENS0_5tupleIJSF_NSA_16discard_iteratorISK_EEEEENSM_IJSG_SG_EEES6_PlJS6_EEE10hipError_tPvRmT3_T4_T5_T6_T7_T9_mT8_P12ihipStream_tbDpT10_ENKUlT_T0_E_clISt17integral_constantIbLb0EES1A_IbLb1EEEEDaS16_S17_EUlS16_E_NS1_11comp_targetILNS1_3genE9ELNS1_11target_archE1100ELNS1_3gpuE3ELNS1_3repE0EEENS1_30default_config_static_selectorELNS0_4arch9wavefront6targetE1EEEvT1_
	.globl	_ZN7rocprim17ROCPRIM_400000_NS6detail17trampoline_kernelINS0_14default_configENS1_25partition_config_selectorILNS1_17partition_subalgoE1EsNS0_10empty_typeEbEEZZNS1_14partition_implILS5_1ELb0ES3_jN6thrust23THRUST_200600_302600_NS6detail15normal_iteratorINSA_10device_ptrIsEEEEPS6_NSA_18transform_iteratorI7is_evenIsESF_NSA_11use_defaultESK_EENS0_5tupleIJSF_NSA_16discard_iteratorISK_EEEEENSM_IJSG_SG_EEES6_PlJS6_EEE10hipError_tPvRmT3_T4_T5_T6_T7_T9_mT8_P12ihipStream_tbDpT10_ENKUlT_T0_E_clISt17integral_constantIbLb0EES1A_IbLb1EEEEDaS16_S17_EUlS16_E_NS1_11comp_targetILNS1_3genE9ELNS1_11target_archE1100ELNS1_3gpuE3ELNS1_3repE0EEENS1_30default_config_static_selectorELNS0_4arch9wavefront6targetE1EEEvT1_
	.p2align	8
	.type	_ZN7rocprim17ROCPRIM_400000_NS6detail17trampoline_kernelINS0_14default_configENS1_25partition_config_selectorILNS1_17partition_subalgoE1EsNS0_10empty_typeEbEEZZNS1_14partition_implILS5_1ELb0ES3_jN6thrust23THRUST_200600_302600_NS6detail15normal_iteratorINSA_10device_ptrIsEEEEPS6_NSA_18transform_iteratorI7is_evenIsESF_NSA_11use_defaultESK_EENS0_5tupleIJSF_NSA_16discard_iteratorISK_EEEEENSM_IJSG_SG_EEES6_PlJS6_EEE10hipError_tPvRmT3_T4_T5_T6_T7_T9_mT8_P12ihipStream_tbDpT10_ENKUlT_T0_E_clISt17integral_constantIbLb0EES1A_IbLb1EEEEDaS16_S17_EUlS16_E_NS1_11comp_targetILNS1_3genE9ELNS1_11target_archE1100ELNS1_3gpuE3ELNS1_3repE0EEENS1_30default_config_static_selectorELNS0_4arch9wavefront6targetE1EEEvT1_,@function
_ZN7rocprim17ROCPRIM_400000_NS6detail17trampoline_kernelINS0_14default_configENS1_25partition_config_selectorILNS1_17partition_subalgoE1EsNS0_10empty_typeEbEEZZNS1_14partition_implILS5_1ELb0ES3_jN6thrust23THRUST_200600_302600_NS6detail15normal_iteratorINSA_10device_ptrIsEEEEPS6_NSA_18transform_iteratorI7is_evenIsESF_NSA_11use_defaultESK_EENS0_5tupleIJSF_NSA_16discard_iteratorISK_EEEEENSM_IJSG_SG_EEES6_PlJS6_EEE10hipError_tPvRmT3_T4_T5_T6_T7_T9_mT8_P12ihipStream_tbDpT10_ENKUlT_T0_E_clISt17integral_constantIbLb0EES1A_IbLb1EEEEDaS16_S17_EUlS16_E_NS1_11comp_targetILNS1_3genE9ELNS1_11target_archE1100ELNS1_3gpuE3ELNS1_3repE0EEENS1_30default_config_static_selectorELNS0_4arch9wavefront6targetE1EEEvT1_: ; @_ZN7rocprim17ROCPRIM_400000_NS6detail17trampoline_kernelINS0_14default_configENS1_25partition_config_selectorILNS1_17partition_subalgoE1EsNS0_10empty_typeEbEEZZNS1_14partition_implILS5_1ELb0ES3_jN6thrust23THRUST_200600_302600_NS6detail15normal_iteratorINSA_10device_ptrIsEEEEPS6_NSA_18transform_iteratorI7is_evenIsESF_NSA_11use_defaultESK_EENS0_5tupleIJSF_NSA_16discard_iteratorISK_EEEEENSM_IJSG_SG_EEES6_PlJS6_EEE10hipError_tPvRmT3_T4_T5_T6_T7_T9_mT8_P12ihipStream_tbDpT10_ENKUlT_T0_E_clISt17integral_constantIbLb0EES1A_IbLb1EEEEDaS16_S17_EUlS16_E_NS1_11comp_targetILNS1_3genE9ELNS1_11target_archE1100ELNS1_3gpuE3ELNS1_3repE0EEENS1_30default_config_static_selectorELNS0_4arch9wavefront6targetE1EEEvT1_
; %bb.0:
	.section	.rodata,"a",@progbits
	.p2align	6, 0x0
	.amdhsa_kernel _ZN7rocprim17ROCPRIM_400000_NS6detail17trampoline_kernelINS0_14default_configENS1_25partition_config_selectorILNS1_17partition_subalgoE1EsNS0_10empty_typeEbEEZZNS1_14partition_implILS5_1ELb0ES3_jN6thrust23THRUST_200600_302600_NS6detail15normal_iteratorINSA_10device_ptrIsEEEEPS6_NSA_18transform_iteratorI7is_evenIsESF_NSA_11use_defaultESK_EENS0_5tupleIJSF_NSA_16discard_iteratorISK_EEEEENSM_IJSG_SG_EEES6_PlJS6_EEE10hipError_tPvRmT3_T4_T5_T6_T7_T9_mT8_P12ihipStream_tbDpT10_ENKUlT_T0_E_clISt17integral_constantIbLb0EES1A_IbLb1EEEEDaS16_S17_EUlS16_E_NS1_11comp_targetILNS1_3genE9ELNS1_11target_archE1100ELNS1_3gpuE3ELNS1_3repE0EEENS1_30default_config_static_selectorELNS0_4arch9wavefront6targetE1EEEvT1_
		.amdhsa_group_segment_fixed_size 0
		.amdhsa_private_segment_fixed_size 0
		.amdhsa_kernarg_size 152
		.amdhsa_user_sgpr_count 2
		.amdhsa_user_sgpr_dispatch_ptr 0
		.amdhsa_user_sgpr_queue_ptr 0
		.amdhsa_user_sgpr_kernarg_segment_ptr 1
		.amdhsa_user_sgpr_dispatch_id 0
		.amdhsa_user_sgpr_kernarg_preload_length 0
		.amdhsa_user_sgpr_kernarg_preload_offset 0
		.amdhsa_user_sgpr_private_segment_size 0
		.amdhsa_uses_dynamic_stack 0
		.amdhsa_enable_private_segment 0
		.amdhsa_system_sgpr_workgroup_id_x 1
		.amdhsa_system_sgpr_workgroup_id_y 0
		.amdhsa_system_sgpr_workgroup_id_z 0
		.amdhsa_system_sgpr_workgroup_info 0
		.amdhsa_system_vgpr_workitem_id 0
		.amdhsa_next_free_vgpr 1
		.amdhsa_next_free_sgpr 0
		.amdhsa_accum_offset 4
		.amdhsa_reserve_vcc 0
		.amdhsa_float_round_mode_32 0
		.amdhsa_float_round_mode_16_64 0
		.amdhsa_float_denorm_mode_32 3
		.amdhsa_float_denorm_mode_16_64 3
		.amdhsa_dx10_clamp 1
		.amdhsa_ieee_mode 1
		.amdhsa_fp16_overflow 0
		.amdhsa_tg_split 0
		.amdhsa_exception_fp_ieee_invalid_op 0
		.amdhsa_exception_fp_denorm_src 0
		.amdhsa_exception_fp_ieee_div_zero 0
		.amdhsa_exception_fp_ieee_overflow 0
		.amdhsa_exception_fp_ieee_underflow 0
		.amdhsa_exception_fp_ieee_inexact 0
		.amdhsa_exception_int_div_zero 0
	.end_amdhsa_kernel
	.section	.text._ZN7rocprim17ROCPRIM_400000_NS6detail17trampoline_kernelINS0_14default_configENS1_25partition_config_selectorILNS1_17partition_subalgoE1EsNS0_10empty_typeEbEEZZNS1_14partition_implILS5_1ELb0ES3_jN6thrust23THRUST_200600_302600_NS6detail15normal_iteratorINSA_10device_ptrIsEEEEPS6_NSA_18transform_iteratorI7is_evenIsESF_NSA_11use_defaultESK_EENS0_5tupleIJSF_NSA_16discard_iteratorISK_EEEEENSM_IJSG_SG_EEES6_PlJS6_EEE10hipError_tPvRmT3_T4_T5_T6_T7_T9_mT8_P12ihipStream_tbDpT10_ENKUlT_T0_E_clISt17integral_constantIbLb0EES1A_IbLb1EEEEDaS16_S17_EUlS16_E_NS1_11comp_targetILNS1_3genE9ELNS1_11target_archE1100ELNS1_3gpuE3ELNS1_3repE0EEENS1_30default_config_static_selectorELNS0_4arch9wavefront6targetE1EEEvT1_,"axG",@progbits,_ZN7rocprim17ROCPRIM_400000_NS6detail17trampoline_kernelINS0_14default_configENS1_25partition_config_selectorILNS1_17partition_subalgoE1EsNS0_10empty_typeEbEEZZNS1_14partition_implILS5_1ELb0ES3_jN6thrust23THRUST_200600_302600_NS6detail15normal_iteratorINSA_10device_ptrIsEEEEPS6_NSA_18transform_iteratorI7is_evenIsESF_NSA_11use_defaultESK_EENS0_5tupleIJSF_NSA_16discard_iteratorISK_EEEEENSM_IJSG_SG_EEES6_PlJS6_EEE10hipError_tPvRmT3_T4_T5_T6_T7_T9_mT8_P12ihipStream_tbDpT10_ENKUlT_T0_E_clISt17integral_constantIbLb0EES1A_IbLb1EEEEDaS16_S17_EUlS16_E_NS1_11comp_targetILNS1_3genE9ELNS1_11target_archE1100ELNS1_3gpuE3ELNS1_3repE0EEENS1_30default_config_static_selectorELNS0_4arch9wavefront6targetE1EEEvT1_,comdat
.Lfunc_end3417:
	.size	_ZN7rocprim17ROCPRIM_400000_NS6detail17trampoline_kernelINS0_14default_configENS1_25partition_config_selectorILNS1_17partition_subalgoE1EsNS0_10empty_typeEbEEZZNS1_14partition_implILS5_1ELb0ES3_jN6thrust23THRUST_200600_302600_NS6detail15normal_iteratorINSA_10device_ptrIsEEEEPS6_NSA_18transform_iteratorI7is_evenIsESF_NSA_11use_defaultESK_EENS0_5tupleIJSF_NSA_16discard_iteratorISK_EEEEENSM_IJSG_SG_EEES6_PlJS6_EEE10hipError_tPvRmT3_T4_T5_T6_T7_T9_mT8_P12ihipStream_tbDpT10_ENKUlT_T0_E_clISt17integral_constantIbLb0EES1A_IbLb1EEEEDaS16_S17_EUlS16_E_NS1_11comp_targetILNS1_3genE9ELNS1_11target_archE1100ELNS1_3gpuE3ELNS1_3repE0EEENS1_30default_config_static_selectorELNS0_4arch9wavefront6targetE1EEEvT1_, .Lfunc_end3417-_ZN7rocprim17ROCPRIM_400000_NS6detail17trampoline_kernelINS0_14default_configENS1_25partition_config_selectorILNS1_17partition_subalgoE1EsNS0_10empty_typeEbEEZZNS1_14partition_implILS5_1ELb0ES3_jN6thrust23THRUST_200600_302600_NS6detail15normal_iteratorINSA_10device_ptrIsEEEEPS6_NSA_18transform_iteratorI7is_evenIsESF_NSA_11use_defaultESK_EENS0_5tupleIJSF_NSA_16discard_iteratorISK_EEEEENSM_IJSG_SG_EEES6_PlJS6_EEE10hipError_tPvRmT3_T4_T5_T6_T7_T9_mT8_P12ihipStream_tbDpT10_ENKUlT_T0_E_clISt17integral_constantIbLb0EES1A_IbLb1EEEEDaS16_S17_EUlS16_E_NS1_11comp_targetILNS1_3genE9ELNS1_11target_archE1100ELNS1_3gpuE3ELNS1_3repE0EEENS1_30default_config_static_selectorELNS0_4arch9wavefront6targetE1EEEvT1_
                                        ; -- End function
	.section	.AMDGPU.csdata,"",@progbits
; Kernel info:
; codeLenInByte = 0
; NumSgprs: 6
; NumVgprs: 0
; NumAgprs: 0
; TotalNumVgprs: 0
; ScratchSize: 0
; MemoryBound: 0
; FloatMode: 240
; IeeeMode: 1
; LDSByteSize: 0 bytes/workgroup (compile time only)
; SGPRBlocks: 0
; VGPRBlocks: 0
; NumSGPRsForWavesPerEU: 6
; NumVGPRsForWavesPerEU: 1
; AccumOffset: 4
; Occupancy: 8
; WaveLimiterHint : 0
; COMPUTE_PGM_RSRC2:SCRATCH_EN: 0
; COMPUTE_PGM_RSRC2:USER_SGPR: 2
; COMPUTE_PGM_RSRC2:TRAP_HANDLER: 0
; COMPUTE_PGM_RSRC2:TGID_X_EN: 1
; COMPUTE_PGM_RSRC2:TGID_Y_EN: 0
; COMPUTE_PGM_RSRC2:TGID_Z_EN: 0
; COMPUTE_PGM_RSRC2:TIDIG_COMP_CNT: 0
; COMPUTE_PGM_RSRC3_GFX90A:ACCUM_OFFSET: 0
; COMPUTE_PGM_RSRC3_GFX90A:TG_SPLIT: 0
	.section	.text._ZN7rocprim17ROCPRIM_400000_NS6detail17trampoline_kernelINS0_14default_configENS1_25partition_config_selectorILNS1_17partition_subalgoE1EsNS0_10empty_typeEbEEZZNS1_14partition_implILS5_1ELb0ES3_jN6thrust23THRUST_200600_302600_NS6detail15normal_iteratorINSA_10device_ptrIsEEEEPS6_NSA_18transform_iteratorI7is_evenIsESF_NSA_11use_defaultESK_EENS0_5tupleIJSF_NSA_16discard_iteratorISK_EEEEENSM_IJSG_SG_EEES6_PlJS6_EEE10hipError_tPvRmT3_T4_T5_T6_T7_T9_mT8_P12ihipStream_tbDpT10_ENKUlT_T0_E_clISt17integral_constantIbLb0EES1A_IbLb1EEEEDaS16_S17_EUlS16_E_NS1_11comp_targetILNS1_3genE8ELNS1_11target_archE1030ELNS1_3gpuE2ELNS1_3repE0EEENS1_30default_config_static_selectorELNS0_4arch9wavefront6targetE1EEEvT1_,"axG",@progbits,_ZN7rocprim17ROCPRIM_400000_NS6detail17trampoline_kernelINS0_14default_configENS1_25partition_config_selectorILNS1_17partition_subalgoE1EsNS0_10empty_typeEbEEZZNS1_14partition_implILS5_1ELb0ES3_jN6thrust23THRUST_200600_302600_NS6detail15normal_iteratorINSA_10device_ptrIsEEEEPS6_NSA_18transform_iteratorI7is_evenIsESF_NSA_11use_defaultESK_EENS0_5tupleIJSF_NSA_16discard_iteratorISK_EEEEENSM_IJSG_SG_EEES6_PlJS6_EEE10hipError_tPvRmT3_T4_T5_T6_T7_T9_mT8_P12ihipStream_tbDpT10_ENKUlT_T0_E_clISt17integral_constantIbLb0EES1A_IbLb1EEEEDaS16_S17_EUlS16_E_NS1_11comp_targetILNS1_3genE8ELNS1_11target_archE1030ELNS1_3gpuE2ELNS1_3repE0EEENS1_30default_config_static_selectorELNS0_4arch9wavefront6targetE1EEEvT1_,comdat
	.protected	_ZN7rocprim17ROCPRIM_400000_NS6detail17trampoline_kernelINS0_14default_configENS1_25partition_config_selectorILNS1_17partition_subalgoE1EsNS0_10empty_typeEbEEZZNS1_14partition_implILS5_1ELb0ES3_jN6thrust23THRUST_200600_302600_NS6detail15normal_iteratorINSA_10device_ptrIsEEEEPS6_NSA_18transform_iteratorI7is_evenIsESF_NSA_11use_defaultESK_EENS0_5tupleIJSF_NSA_16discard_iteratorISK_EEEEENSM_IJSG_SG_EEES6_PlJS6_EEE10hipError_tPvRmT3_T4_T5_T6_T7_T9_mT8_P12ihipStream_tbDpT10_ENKUlT_T0_E_clISt17integral_constantIbLb0EES1A_IbLb1EEEEDaS16_S17_EUlS16_E_NS1_11comp_targetILNS1_3genE8ELNS1_11target_archE1030ELNS1_3gpuE2ELNS1_3repE0EEENS1_30default_config_static_selectorELNS0_4arch9wavefront6targetE1EEEvT1_ ; -- Begin function _ZN7rocprim17ROCPRIM_400000_NS6detail17trampoline_kernelINS0_14default_configENS1_25partition_config_selectorILNS1_17partition_subalgoE1EsNS0_10empty_typeEbEEZZNS1_14partition_implILS5_1ELb0ES3_jN6thrust23THRUST_200600_302600_NS6detail15normal_iteratorINSA_10device_ptrIsEEEEPS6_NSA_18transform_iteratorI7is_evenIsESF_NSA_11use_defaultESK_EENS0_5tupleIJSF_NSA_16discard_iteratorISK_EEEEENSM_IJSG_SG_EEES6_PlJS6_EEE10hipError_tPvRmT3_T4_T5_T6_T7_T9_mT8_P12ihipStream_tbDpT10_ENKUlT_T0_E_clISt17integral_constantIbLb0EES1A_IbLb1EEEEDaS16_S17_EUlS16_E_NS1_11comp_targetILNS1_3genE8ELNS1_11target_archE1030ELNS1_3gpuE2ELNS1_3repE0EEENS1_30default_config_static_selectorELNS0_4arch9wavefront6targetE1EEEvT1_
	.globl	_ZN7rocprim17ROCPRIM_400000_NS6detail17trampoline_kernelINS0_14default_configENS1_25partition_config_selectorILNS1_17partition_subalgoE1EsNS0_10empty_typeEbEEZZNS1_14partition_implILS5_1ELb0ES3_jN6thrust23THRUST_200600_302600_NS6detail15normal_iteratorINSA_10device_ptrIsEEEEPS6_NSA_18transform_iteratorI7is_evenIsESF_NSA_11use_defaultESK_EENS0_5tupleIJSF_NSA_16discard_iteratorISK_EEEEENSM_IJSG_SG_EEES6_PlJS6_EEE10hipError_tPvRmT3_T4_T5_T6_T7_T9_mT8_P12ihipStream_tbDpT10_ENKUlT_T0_E_clISt17integral_constantIbLb0EES1A_IbLb1EEEEDaS16_S17_EUlS16_E_NS1_11comp_targetILNS1_3genE8ELNS1_11target_archE1030ELNS1_3gpuE2ELNS1_3repE0EEENS1_30default_config_static_selectorELNS0_4arch9wavefront6targetE1EEEvT1_
	.p2align	8
	.type	_ZN7rocprim17ROCPRIM_400000_NS6detail17trampoline_kernelINS0_14default_configENS1_25partition_config_selectorILNS1_17partition_subalgoE1EsNS0_10empty_typeEbEEZZNS1_14partition_implILS5_1ELb0ES3_jN6thrust23THRUST_200600_302600_NS6detail15normal_iteratorINSA_10device_ptrIsEEEEPS6_NSA_18transform_iteratorI7is_evenIsESF_NSA_11use_defaultESK_EENS0_5tupleIJSF_NSA_16discard_iteratorISK_EEEEENSM_IJSG_SG_EEES6_PlJS6_EEE10hipError_tPvRmT3_T4_T5_T6_T7_T9_mT8_P12ihipStream_tbDpT10_ENKUlT_T0_E_clISt17integral_constantIbLb0EES1A_IbLb1EEEEDaS16_S17_EUlS16_E_NS1_11comp_targetILNS1_3genE8ELNS1_11target_archE1030ELNS1_3gpuE2ELNS1_3repE0EEENS1_30default_config_static_selectorELNS0_4arch9wavefront6targetE1EEEvT1_,@function
_ZN7rocprim17ROCPRIM_400000_NS6detail17trampoline_kernelINS0_14default_configENS1_25partition_config_selectorILNS1_17partition_subalgoE1EsNS0_10empty_typeEbEEZZNS1_14partition_implILS5_1ELb0ES3_jN6thrust23THRUST_200600_302600_NS6detail15normal_iteratorINSA_10device_ptrIsEEEEPS6_NSA_18transform_iteratorI7is_evenIsESF_NSA_11use_defaultESK_EENS0_5tupleIJSF_NSA_16discard_iteratorISK_EEEEENSM_IJSG_SG_EEES6_PlJS6_EEE10hipError_tPvRmT3_T4_T5_T6_T7_T9_mT8_P12ihipStream_tbDpT10_ENKUlT_T0_E_clISt17integral_constantIbLb0EES1A_IbLb1EEEEDaS16_S17_EUlS16_E_NS1_11comp_targetILNS1_3genE8ELNS1_11target_archE1030ELNS1_3gpuE2ELNS1_3repE0EEENS1_30default_config_static_selectorELNS0_4arch9wavefront6targetE1EEEvT1_: ; @_ZN7rocprim17ROCPRIM_400000_NS6detail17trampoline_kernelINS0_14default_configENS1_25partition_config_selectorILNS1_17partition_subalgoE1EsNS0_10empty_typeEbEEZZNS1_14partition_implILS5_1ELb0ES3_jN6thrust23THRUST_200600_302600_NS6detail15normal_iteratorINSA_10device_ptrIsEEEEPS6_NSA_18transform_iteratorI7is_evenIsESF_NSA_11use_defaultESK_EENS0_5tupleIJSF_NSA_16discard_iteratorISK_EEEEENSM_IJSG_SG_EEES6_PlJS6_EEE10hipError_tPvRmT3_T4_T5_T6_T7_T9_mT8_P12ihipStream_tbDpT10_ENKUlT_T0_E_clISt17integral_constantIbLb0EES1A_IbLb1EEEEDaS16_S17_EUlS16_E_NS1_11comp_targetILNS1_3genE8ELNS1_11target_archE1030ELNS1_3gpuE2ELNS1_3repE0EEENS1_30default_config_static_selectorELNS0_4arch9wavefront6targetE1EEEvT1_
; %bb.0:
	.section	.rodata,"a",@progbits
	.p2align	6, 0x0
	.amdhsa_kernel _ZN7rocprim17ROCPRIM_400000_NS6detail17trampoline_kernelINS0_14default_configENS1_25partition_config_selectorILNS1_17partition_subalgoE1EsNS0_10empty_typeEbEEZZNS1_14partition_implILS5_1ELb0ES3_jN6thrust23THRUST_200600_302600_NS6detail15normal_iteratorINSA_10device_ptrIsEEEEPS6_NSA_18transform_iteratorI7is_evenIsESF_NSA_11use_defaultESK_EENS0_5tupleIJSF_NSA_16discard_iteratorISK_EEEEENSM_IJSG_SG_EEES6_PlJS6_EEE10hipError_tPvRmT3_T4_T5_T6_T7_T9_mT8_P12ihipStream_tbDpT10_ENKUlT_T0_E_clISt17integral_constantIbLb0EES1A_IbLb1EEEEDaS16_S17_EUlS16_E_NS1_11comp_targetILNS1_3genE8ELNS1_11target_archE1030ELNS1_3gpuE2ELNS1_3repE0EEENS1_30default_config_static_selectorELNS0_4arch9wavefront6targetE1EEEvT1_
		.amdhsa_group_segment_fixed_size 0
		.amdhsa_private_segment_fixed_size 0
		.amdhsa_kernarg_size 152
		.amdhsa_user_sgpr_count 2
		.amdhsa_user_sgpr_dispatch_ptr 0
		.amdhsa_user_sgpr_queue_ptr 0
		.amdhsa_user_sgpr_kernarg_segment_ptr 1
		.amdhsa_user_sgpr_dispatch_id 0
		.amdhsa_user_sgpr_kernarg_preload_length 0
		.amdhsa_user_sgpr_kernarg_preload_offset 0
		.amdhsa_user_sgpr_private_segment_size 0
		.amdhsa_uses_dynamic_stack 0
		.amdhsa_enable_private_segment 0
		.amdhsa_system_sgpr_workgroup_id_x 1
		.amdhsa_system_sgpr_workgroup_id_y 0
		.amdhsa_system_sgpr_workgroup_id_z 0
		.amdhsa_system_sgpr_workgroup_info 0
		.amdhsa_system_vgpr_workitem_id 0
		.amdhsa_next_free_vgpr 1
		.amdhsa_next_free_sgpr 0
		.amdhsa_accum_offset 4
		.amdhsa_reserve_vcc 0
		.amdhsa_float_round_mode_32 0
		.amdhsa_float_round_mode_16_64 0
		.amdhsa_float_denorm_mode_32 3
		.amdhsa_float_denorm_mode_16_64 3
		.amdhsa_dx10_clamp 1
		.amdhsa_ieee_mode 1
		.amdhsa_fp16_overflow 0
		.amdhsa_tg_split 0
		.amdhsa_exception_fp_ieee_invalid_op 0
		.amdhsa_exception_fp_denorm_src 0
		.amdhsa_exception_fp_ieee_div_zero 0
		.amdhsa_exception_fp_ieee_overflow 0
		.amdhsa_exception_fp_ieee_underflow 0
		.amdhsa_exception_fp_ieee_inexact 0
		.amdhsa_exception_int_div_zero 0
	.end_amdhsa_kernel
	.section	.text._ZN7rocprim17ROCPRIM_400000_NS6detail17trampoline_kernelINS0_14default_configENS1_25partition_config_selectorILNS1_17partition_subalgoE1EsNS0_10empty_typeEbEEZZNS1_14partition_implILS5_1ELb0ES3_jN6thrust23THRUST_200600_302600_NS6detail15normal_iteratorINSA_10device_ptrIsEEEEPS6_NSA_18transform_iteratorI7is_evenIsESF_NSA_11use_defaultESK_EENS0_5tupleIJSF_NSA_16discard_iteratorISK_EEEEENSM_IJSG_SG_EEES6_PlJS6_EEE10hipError_tPvRmT3_T4_T5_T6_T7_T9_mT8_P12ihipStream_tbDpT10_ENKUlT_T0_E_clISt17integral_constantIbLb0EES1A_IbLb1EEEEDaS16_S17_EUlS16_E_NS1_11comp_targetILNS1_3genE8ELNS1_11target_archE1030ELNS1_3gpuE2ELNS1_3repE0EEENS1_30default_config_static_selectorELNS0_4arch9wavefront6targetE1EEEvT1_,"axG",@progbits,_ZN7rocprim17ROCPRIM_400000_NS6detail17trampoline_kernelINS0_14default_configENS1_25partition_config_selectorILNS1_17partition_subalgoE1EsNS0_10empty_typeEbEEZZNS1_14partition_implILS5_1ELb0ES3_jN6thrust23THRUST_200600_302600_NS6detail15normal_iteratorINSA_10device_ptrIsEEEEPS6_NSA_18transform_iteratorI7is_evenIsESF_NSA_11use_defaultESK_EENS0_5tupleIJSF_NSA_16discard_iteratorISK_EEEEENSM_IJSG_SG_EEES6_PlJS6_EEE10hipError_tPvRmT3_T4_T5_T6_T7_T9_mT8_P12ihipStream_tbDpT10_ENKUlT_T0_E_clISt17integral_constantIbLb0EES1A_IbLb1EEEEDaS16_S17_EUlS16_E_NS1_11comp_targetILNS1_3genE8ELNS1_11target_archE1030ELNS1_3gpuE2ELNS1_3repE0EEENS1_30default_config_static_selectorELNS0_4arch9wavefront6targetE1EEEvT1_,comdat
.Lfunc_end3418:
	.size	_ZN7rocprim17ROCPRIM_400000_NS6detail17trampoline_kernelINS0_14default_configENS1_25partition_config_selectorILNS1_17partition_subalgoE1EsNS0_10empty_typeEbEEZZNS1_14partition_implILS5_1ELb0ES3_jN6thrust23THRUST_200600_302600_NS6detail15normal_iteratorINSA_10device_ptrIsEEEEPS6_NSA_18transform_iteratorI7is_evenIsESF_NSA_11use_defaultESK_EENS0_5tupleIJSF_NSA_16discard_iteratorISK_EEEEENSM_IJSG_SG_EEES6_PlJS6_EEE10hipError_tPvRmT3_T4_T5_T6_T7_T9_mT8_P12ihipStream_tbDpT10_ENKUlT_T0_E_clISt17integral_constantIbLb0EES1A_IbLb1EEEEDaS16_S17_EUlS16_E_NS1_11comp_targetILNS1_3genE8ELNS1_11target_archE1030ELNS1_3gpuE2ELNS1_3repE0EEENS1_30default_config_static_selectorELNS0_4arch9wavefront6targetE1EEEvT1_, .Lfunc_end3418-_ZN7rocprim17ROCPRIM_400000_NS6detail17trampoline_kernelINS0_14default_configENS1_25partition_config_selectorILNS1_17partition_subalgoE1EsNS0_10empty_typeEbEEZZNS1_14partition_implILS5_1ELb0ES3_jN6thrust23THRUST_200600_302600_NS6detail15normal_iteratorINSA_10device_ptrIsEEEEPS6_NSA_18transform_iteratorI7is_evenIsESF_NSA_11use_defaultESK_EENS0_5tupleIJSF_NSA_16discard_iteratorISK_EEEEENSM_IJSG_SG_EEES6_PlJS6_EEE10hipError_tPvRmT3_T4_T5_T6_T7_T9_mT8_P12ihipStream_tbDpT10_ENKUlT_T0_E_clISt17integral_constantIbLb0EES1A_IbLb1EEEEDaS16_S17_EUlS16_E_NS1_11comp_targetILNS1_3genE8ELNS1_11target_archE1030ELNS1_3gpuE2ELNS1_3repE0EEENS1_30default_config_static_selectorELNS0_4arch9wavefront6targetE1EEEvT1_
                                        ; -- End function
	.section	.AMDGPU.csdata,"",@progbits
; Kernel info:
; codeLenInByte = 0
; NumSgprs: 6
; NumVgprs: 0
; NumAgprs: 0
; TotalNumVgprs: 0
; ScratchSize: 0
; MemoryBound: 0
; FloatMode: 240
; IeeeMode: 1
; LDSByteSize: 0 bytes/workgroup (compile time only)
; SGPRBlocks: 0
; VGPRBlocks: 0
; NumSGPRsForWavesPerEU: 6
; NumVGPRsForWavesPerEU: 1
; AccumOffset: 4
; Occupancy: 8
; WaveLimiterHint : 0
; COMPUTE_PGM_RSRC2:SCRATCH_EN: 0
; COMPUTE_PGM_RSRC2:USER_SGPR: 2
; COMPUTE_PGM_RSRC2:TRAP_HANDLER: 0
; COMPUTE_PGM_RSRC2:TGID_X_EN: 1
; COMPUTE_PGM_RSRC2:TGID_Y_EN: 0
; COMPUTE_PGM_RSRC2:TGID_Z_EN: 0
; COMPUTE_PGM_RSRC2:TIDIG_COMP_CNT: 0
; COMPUTE_PGM_RSRC3_GFX90A:ACCUM_OFFSET: 0
; COMPUTE_PGM_RSRC3_GFX90A:TG_SPLIT: 0
	.section	.text._ZN7rocprim17ROCPRIM_400000_NS6detail17trampoline_kernelINS0_14default_configENS1_25partition_config_selectorILNS1_17partition_subalgoE1EsNS0_10empty_typeEbEEZZNS1_14partition_implILS5_1ELb0ES3_jN6thrust23THRUST_200600_302600_NS6detail15normal_iteratorINSA_10device_ptrIsEEEEPS6_NSA_18transform_iteratorI7is_evenIsESF_NSA_11use_defaultESK_EENS0_5tupleIJNSA_16discard_iteratorISK_EESF_EEENSM_IJSG_SG_EEES6_PlJS6_EEE10hipError_tPvRmT3_T4_T5_T6_T7_T9_mT8_P12ihipStream_tbDpT10_ENKUlT_T0_E_clISt17integral_constantIbLb0EES1B_EEDaS16_S17_EUlS16_E_NS1_11comp_targetILNS1_3genE0ELNS1_11target_archE4294967295ELNS1_3gpuE0ELNS1_3repE0EEENS1_30default_config_static_selectorELNS0_4arch9wavefront6targetE1EEEvT1_,"axG",@progbits,_ZN7rocprim17ROCPRIM_400000_NS6detail17trampoline_kernelINS0_14default_configENS1_25partition_config_selectorILNS1_17partition_subalgoE1EsNS0_10empty_typeEbEEZZNS1_14partition_implILS5_1ELb0ES3_jN6thrust23THRUST_200600_302600_NS6detail15normal_iteratorINSA_10device_ptrIsEEEEPS6_NSA_18transform_iteratorI7is_evenIsESF_NSA_11use_defaultESK_EENS0_5tupleIJNSA_16discard_iteratorISK_EESF_EEENSM_IJSG_SG_EEES6_PlJS6_EEE10hipError_tPvRmT3_T4_T5_T6_T7_T9_mT8_P12ihipStream_tbDpT10_ENKUlT_T0_E_clISt17integral_constantIbLb0EES1B_EEDaS16_S17_EUlS16_E_NS1_11comp_targetILNS1_3genE0ELNS1_11target_archE4294967295ELNS1_3gpuE0ELNS1_3repE0EEENS1_30default_config_static_selectorELNS0_4arch9wavefront6targetE1EEEvT1_,comdat
	.protected	_ZN7rocprim17ROCPRIM_400000_NS6detail17trampoline_kernelINS0_14default_configENS1_25partition_config_selectorILNS1_17partition_subalgoE1EsNS0_10empty_typeEbEEZZNS1_14partition_implILS5_1ELb0ES3_jN6thrust23THRUST_200600_302600_NS6detail15normal_iteratorINSA_10device_ptrIsEEEEPS6_NSA_18transform_iteratorI7is_evenIsESF_NSA_11use_defaultESK_EENS0_5tupleIJNSA_16discard_iteratorISK_EESF_EEENSM_IJSG_SG_EEES6_PlJS6_EEE10hipError_tPvRmT3_T4_T5_T6_T7_T9_mT8_P12ihipStream_tbDpT10_ENKUlT_T0_E_clISt17integral_constantIbLb0EES1B_EEDaS16_S17_EUlS16_E_NS1_11comp_targetILNS1_3genE0ELNS1_11target_archE4294967295ELNS1_3gpuE0ELNS1_3repE0EEENS1_30default_config_static_selectorELNS0_4arch9wavefront6targetE1EEEvT1_ ; -- Begin function _ZN7rocprim17ROCPRIM_400000_NS6detail17trampoline_kernelINS0_14default_configENS1_25partition_config_selectorILNS1_17partition_subalgoE1EsNS0_10empty_typeEbEEZZNS1_14partition_implILS5_1ELb0ES3_jN6thrust23THRUST_200600_302600_NS6detail15normal_iteratorINSA_10device_ptrIsEEEEPS6_NSA_18transform_iteratorI7is_evenIsESF_NSA_11use_defaultESK_EENS0_5tupleIJNSA_16discard_iteratorISK_EESF_EEENSM_IJSG_SG_EEES6_PlJS6_EEE10hipError_tPvRmT3_T4_T5_T6_T7_T9_mT8_P12ihipStream_tbDpT10_ENKUlT_T0_E_clISt17integral_constantIbLb0EES1B_EEDaS16_S17_EUlS16_E_NS1_11comp_targetILNS1_3genE0ELNS1_11target_archE4294967295ELNS1_3gpuE0ELNS1_3repE0EEENS1_30default_config_static_selectorELNS0_4arch9wavefront6targetE1EEEvT1_
	.globl	_ZN7rocprim17ROCPRIM_400000_NS6detail17trampoline_kernelINS0_14default_configENS1_25partition_config_selectorILNS1_17partition_subalgoE1EsNS0_10empty_typeEbEEZZNS1_14partition_implILS5_1ELb0ES3_jN6thrust23THRUST_200600_302600_NS6detail15normal_iteratorINSA_10device_ptrIsEEEEPS6_NSA_18transform_iteratorI7is_evenIsESF_NSA_11use_defaultESK_EENS0_5tupleIJNSA_16discard_iteratorISK_EESF_EEENSM_IJSG_SG_EEES6_PlJS6_EEE10hipError_tPvRmT3_T4_T5_T6_T7_T9_mT8_P12ihipStream_tbDpT10_ENKUlT_T0_E_clISt17integral_constantIbLb0EES1B_EEDaS16_S17_EUlS16_E_NS1_11comp_targetILNS1_3genE0ELNS1_11target_archE4294967295ELNS1_3gpuE0ELNS1_3repE0EEENS1_30default_config_static_selectorELNS0_4arch9wavefront6targetE1EEEvT1_
	.p2align	8
	.type	_ZN7rocprim17ROCPRIM_400000_NS6detail17trampoline_kernelINS0_14default_configENS1_25partition_config_selectorILNS1_17partition_subalgoE1EsNS0_10empty_typeEbEEZZNS1_14partition_implILS5_1ELb0ES3_jN6thrust23THRUST_200600_302600_NS6detail15normal_iteratorINSA_10device_ptrIsEEEEPS6_NSA_18transform_iteratorI7is_evenIsESF_NSA_11use_defaultESK_EENS0_5tupleIJNSA_16discard_iteratorISK_EESF_EEENSM_IJSG_SG_EEES6_PlJS6_EEE10hipError_tPvRmT3_T4_T5_T6_T7_T9_mT8_P12ihipStream_tbDpT10_ENKUlT_T0_E_clISt17integral_constantIbLb0EES1B_EEDaS16_S17_EUlS16_E_NS1_11comp_targetILNS1_3genE0ELNS1_11target_archE4294967295ELNS1_3gpuE0ELNS1_3repE0EEENS1_30default_config_static_selectorELNS0_4arch9wavefront6targetE1EEEvT1_,@function
_ZN7rocprim17ROCPRIM_400000_NS6detail17trampoline_kernelINS0_14default_configENS1_25partition_config_selectorILNS1_17partition_subalgoE1EsNS0_10empty_typeEbEEZZNS1_14partition_implILS5_1ELb0ES3_jN6thrust23THRUST_200600_302600_NS6detail15normal_iteratorINSA_10device_ptrIsEEEEPS6_NSA_18transform_iteratorI7is_evenIsESF_NSA_11use_defaultESK_EENS0_5tupleIJNSA_16discard_iteratorISK_EESF_EEENSM_IJSG_SG_EEES6_PlJS6_EEE10hipError_tPvRmT3_T4_T5_T6_T7_T9_mT8_P12ihipStream_tbDpT10_ENKUlT_T0_E_clISt17integral_constantIbLb0EES1B_EEDaS16_S17_EUlS16_E_NS1_11comp_targetILNS1_3genE0ELNS1_11target_archE4294967295ELNS1_3gpuE0ELNS1_3repE0EEENS1_30default_config_static_selectorELNS0_4arch9wavefront6targetE1EEEvT1_: ; @_ZN7rocprim17ROCPRIM_400000_NS6detail17trampoline_kernelINS0_14default_configENS1_25partition_config_selectorILNS1_17partition_subalgoE1EsNS0_10empty_typeEbEEZZNS1_14partition_implILS5_1ELb0ES3_jN6thrust23THRUST_200600_302600_NS6detail15normal_iteratorINSA_10device_ptrIsEEEEPS6_NSA_18transform_iteratorI7is_evenIsESF_NSA_11use_defaultESK_EENS0_5tupleIJNSA_16discard_iteratorISK_EESF_EEENSM_IJSG_SG_EEES6_PlJS6_EEE10hipError_tPvRmT3_T4_T5_T6_T7_T9_mT8_P12ihipStream_tbDpT10_ENKUlT_T0_E_clISt17integral_constantIbLb0EES1B_EEDaS16_S17_EUlS16_E_NS1_11comp_targetILNS1_3genE0ELNS1_11target_archE4294967295ELNS1_3gpuE0ELNS1_3repE0EEENS1_30default_config_static_selectorELNS0_4arch9wavefront6targetE1EEEvT1_
; %bb.0:
	.section	.rodata,"a",@progbits
	.p2align	6, 0x0
	.amdhsa_kernel _ZN7rocprim17ROCPRIM_400000_NS6detail17trampoline_kernelINS0_14default_configENS1_25partition_config_selectorILNS1_17partition_subalgoE1EsNS0_10empty_typeEbEEZZNS1_14partition_implILS5_1ELb0ES3_jN6thrust23THRUST_200600_302600_NS6detail15normal_iteratorINSA_10device_ptrIsEEEEPS6_NSA_18transform_iteratorI7is_evenIsESF_NSA_11use_defaultESK_EENS0_5tupleIJNSA_16discard_iteratorISK_EESF_EEENSM_IJSG_SG_EEES6_PlJS6_EEE10hipError_tPvRmT3_T4_T5_T6_T7_T9_mT8_P12ihipStream_tbDpT10_ENKUlT_T0_E_clISt17integral_constantIbLb0EES1B_EEDaS16_S17_EUlS16_E_NS1_11comp_targetILNS1_3genE0ELNS1_11target_archE4294967295ELNS1_3gpuE0ELNS1_3repE0EEENS1_30default_config_static_selectorELNS0_4arch9wavefront6targetE1EEEvT1_
		.amdhsa_group_segment_fixed_size 0
		.amdhsa_private_segment_fixed_size 0
		.amdhsa_kernarg_size 136
		.amdhsa_user_sgpr_count 2
		.amdhsa_user_sgpr_dispatch_ptr 0
		.amdhsa_user_sgpr_queue_ptr 0
		.amdhsa_user_sgpr_kernarg_segment_ptr 1
		.amdhsa_user_sgpr_dispatch_id 0
		.amdhsa_user_sgpr_kernarg_preload_length 0
		.amdhsa_user_sgpr_kernarg_preload_offset 0
		.amdhsa_user_sgpr_private_segment_size 0
		.amdhsa_uses_dynamic_stack 0
		.amdhsa_enable_private_segment 0
		.amdhsa_system_sgpr_workgroup_id_x 1
		.amdhsa_system_sgpr_workgroup_id_y 0
		.amdhsa_system_sgpr_workgroup_id_z 0
		.amdhsa_system_sgpr_workgroup_info 0
		.amdhsa_system_vgpr_workitem_id 0
		.amdhsa_next_free_vgpr 1
		.amdhsa_next_free_sgpr 0
		.amdhsa_accum_offset 4
		.amdhsa_reserve_vcc 0
		.amdhsa_float_round_mode_32 0
		.amdhsa_float_round_mode_16_64 0
		.amdhsa_float_denorm_mode_32 3
		.amdhsa_float_denorm_mode_16_64 3
		.amdhsa_dx10_clamp 1
		.amdhsa_ieee_mode 1
		.amdhsa_fp16_overflow 0
		.amdhsa_tg_split 0
		.amdhsa_exception_fp_ieee_invalid_op 0
		.amdhsa_exception_fp_denorm_src 0
		.amdhsa_exception_fp_ieee_div_zero 0
		.amdhsa_exception_fp_ieee_overflow 0
		.amdhsa_exception_fp_ieee_underflow 0
		.amdhsa_exception_fp_ieee_inexact 0
		.amdhsa_exception_int_div_zero 0
	.end_amdhsa_kernel
	.section	.text._ZN7rocprim17ROCPRIM_400000_NS6detail17trampoline_kernelINS0_14default_configENS1_25partition_config_selectorILNS1_17partition_subalgoE1EsNS0_10empty_typeEbEEZZNS1_14partition_implILS5_1ELb0ES3_jN6thrust23THRUST_200600_302600_NS6detail15normal_iteratorINSA_10device_ptrIsEEEEPS6_NSA_18transform_iteratorI7is_evenIsESF_NSA_11use_defaultESK_EENS0_5tupleIJNSA_16discard_iteratorISK_EESF_EEENSM_IJSG_SG_EEES6_PlJS6_EEE10hipError_tPvRmT3_T4_T5_T6_T7_T9_mT8_P12ihipStream_tbDpT10_ENKUlT_T0_E_clISt17integral_constantIbLb0EES1B_EEDaS16_S17_EUlS16_E_NS1_11comp_targetILNS1_3genE0ELNS1_11target_archE4294967295ELNS1_3gpuE0ELNS1_3repE0EEENS1_30default_config_static_selectorELNS0_4arch9wavefront6targetE1EEEvT1_,"axG",@progbits,_ZN7rocprim17ROCPRIM_400000_NS6detail17trampoline_kernelINS0_14default_configENS1_25partition_config_selectorILNS1_17partition_subalgoE1EsNS0_10empty_typeEbEEZZNS1_14partition_implILS5_1ELb0ES3_jN6thrust23THRUST_200600_302600_NS6detail15normal_iteratorINSA_10device_ptrIsEEEEPS6_NSA_18transform_iteratorI7is_evenIsESF_NSA_11use_defaultESK_EENS0_5tupleIJNSA_16discard_iteratorISK_EESF_EEENSM_IJSG_SG_EEES6_PlJS6_EEE10hipError_tPvRmT3_T4_T5_T6_T7_T9_mT8_P12ihipStream_tbDpT10_ENKUlT_T0_E_clISt17integral_constantIbLb0EES1B_EEDaS16_S17_EUlS16_E_NS1_11comp_targetILNS1_3genE0ELNS1_11target_archE4294967295ELNS1_3gpuE0ELNS1_3repE0EEENS1_30default_config_static_selectorELNS0_4arch9wavefront6targetE1EEEvT1_,comdat
.Lfunc_end3419:
	.size	_ZN7rocprim17ROCPRIM_400000_NS6detail17trampoline_kernelINS0_14default_configENS1_25partition_config_selectorILNS1_17partition_subalgoE1EsNS0_10empty_typeEbEEZZNS1_14partition_implILS5_1ELb0ES3_jN6thrust23THRUST_200600_302600_NS6detail15normal_iteratorINSA_10device_ptrIsEEEEPS6_NSA_18transform_iteratorI7is_evenIsESF_NSA_11use_defaultESK_EENS0_5tupleIJNSA_16discard_iteratorISK_EESF_EEENSM_IJSG_SG_EEES6_PlJS6_EEE10hipError_tPvRmT3_T4_T5_T6_T7_T9_mT8_P12ihipStream_tbDpT10_ENKUlT_T0_E_clISt17integral_constantIbLb0EES1B_EEDaS16_S17_EUlS16_E_NS1_11comp_targetILNS1_3genE0ELNS1_11target_archE4294967295ELNS1_3gpuE0ELNS1_3repE0EEENS1_30default_config_static_selectorELNS0_4arch9wavefront6targetE1EEEvT1_, .Lfunc_end3419-_ZN7rocprim17ROCPRIM_400000_NS6detail17trampoline_kernelINS0_14default_configENS1_25partition_config_selectorILNS1_17partition_subalgoE1EsNS0_10empty_typeEbEEZZNS1_14partition_implILS5_1ELb0ES3_jN6thrust23THRUST_200600_302600_NS6detail15normal_iteratorINSA_10device_ptrIsEEEEPS6_NSA_18transform_iteratorI7is_evenIsESF_NSA_11use_defaultESK_EENS0_5tupleIJNSA_16discard_iteratorISK_EESF_EEENSM_IJSG_SG_EEES6_PlJS6_EEE10hipError_tPvRmT3_T4_T5_T6_T7_T9_mT8_P12ihipStream_tbDpT10_ENKUlT_T0_E_clISt17integral_constantIbLb0EES1B_EEDaS16_S17_EUlS16_E_NS1_11comp_targetILNS1_3genE0ELNS1_11target_archE4294967295ELNS1_3gpuE0ELNS1_3repE0EEENS1_30default_config_static_selectorELNS0_4arch9wavefront6targetE1EEEvT1_
                                        ; -- End function
	.section	.AMDGPU.csdata,"",@progbits
; Kernel info:
; codeLenInByte = 0
; NumSgprs: 6
; NumVgprs: 0
; NumAgprs: 0
; TotalNumVgprs: 0
; ScratchSize: 0
; MemoryBound: 0
; FloatMode: 240
; IeeeMode: 1
; LDSByteSize: 0 bytes/workgroup (compile time only)
; SGPRBlocks: 0
; VGPRBlocks: 0
; NumSGPRsForWavesPerEU: 6
; NumVGPRsForWavesPerEU: 1
; AccumOffset: 4
; Occupancy: 8
; WaveLimiterHint : 0
; COMPUTE_PGM_RSRC2:SCRATCH_EN: 0
; COMPUTE_PGM_RSRC2:USER_SGPR: 2
; COMPUTE_PGM_RSRC2:TRAP_HANDLER: 0
; COMPUTE_PGM_RSRC2:TGID_X_EN: 1
; COMPUTE_PGM_RSRC2:TGID_Y_EN: 0
; COMPUTE_PGM_RSRC2:TGID_Z_EN: 0
; COMPUTE_PGM_RSRC2:TIDIG_COMP_CNT: 0
; COMPUTE_PGM_RSRC3_GFX90A:ACCUM_OFFSET: 0
; COMPUTE_PGM_RSRC3_GFX90A:TG_SPLIT: 0
	.section	.text._ZN7rocprim17ROCPRIM_400000_NS6detail17trampoline_kernelINS0_14default_configENS1_25partition_config_selectorILNS1_17partition_subalgoE1EsNS0_10empty_typeEbEEZZNS1_14partition_implILS5_1ELb0ES3_jN6thrust23THRUST_200600_302600_NS6detail15normal_iteratorINSA_10device_ptrIsEEEEPS6_NSA_18transform_iteratorI7is_evenIsESF_NSA_11use_defaultESK_EENS0_5tupleIJNSA_16discard_iteratorISK_EESF_EEENSM_IJSG_SG_EEES6_PlJS6_EEE10hipError_tPvRmT3_T4_T5_T6_T7_T9_mT8_P12ihipStream_tbDpT10_ENKUlT_T0_E_clISt17integral_constantIbLb0EES1B_EEDaS16_S17_EUlS16_E_NS1_11comp_targetILNS1_3genE5ELNS1_11target_archE942ELNS1_3gpuE9ELNS1_3repE0EEENS1_30default_config_static_selectorELNS0_4arch9wavefront6targetE1EEEvT1_,"axG",@progbits,_ZN7rocprim17ROCPRIM_400000_NS6detail17trampoline_kernelINS0_14default_configENS1_25partition_config_selectorILNS1_17partition_subalgoE1EsNS0_10empty_typeEbEEZZNS1_14partition_implILS5_1ELb0ES3_jN6thrust23THRUST_200600_302600_NS6detail15normal_iteratorINSA_10device_ptrIsEEEEPS6_NSA_18transform_iteratorI7is_evenIsESF_NSA_11use_defaultESK_EENS0_5tupleIJNSA_16discard_iteratorISK_EESF_EEENSM_IJSG_SG_EEES6_PlJS6_EEE10hipError_tPvRmT3_T4_T5_T6_T7_T9_mT8_P12ihipStream_tbDpT10_ENKUlT_T0_E_clISt17integral_constantIbLb0EES1B_EEDaS16_S17_EUlS16_E_NS1_11comp_targetILNS1_3genE5ELNS1_11target_archE942ELNS1_3gpuE9ELNS1_3repE0EEENS1_30default_config_static_selectorELNS0_4arch9wavefront6targetE1EEEvT1_,comdat
	.protected	_ZN7rocprim17ROCPRIM_400000_NS6detail17trampoline_kernelINS0_14default_configENS1_25partition_config_selectorILNS1_17partition_subalgoE1EsNS0_10empty_typeEbEEZZNS1_14partition_implILS5_1ELb0ES3_jN6thrust23THRUST_200600_302600_NS6detail15normal_iteratorINSA_10device_ptrIsEEEEPS6_NSA_18transform_iteratorI7is_evenIsESF_NSA_11use_defaultESK_EENS0_5tupleIJNSA_16discard_iteratorISK_EESF_EEENSM_IJSG_SG_EEES6_PlJS6_EEE10hipError_tPvRmT3_T4_T5_T6_T7_T9_mT8_P12ihipStream_tbDpT10_ENKUlT_T0_E_clISt17integral_constantIbLb0EES1B_EEDaS16_S17_EUlS16_E_NS1_11comp_targetILNS1_3genE5ELNS1_11target_archE942ELNS1_3gpuE9ELNS1_3repE0EEENS1_30default_config_static_selectorELNS0_4arch9wavefront6targetE1EEEvT1_ ; -- Begin function _ZN7rocprim17ROCPRIM_400000_NS6detail17trampoline_kernelINS0_14default_configENS1_25partition_config_selectorILNS1_17partition_subalgoE1EsNS0_10empty_typeEbEEZZNS1_14partition_implILS5_1ELb0ES3_jN6thrust23THRUST_200600_302600_NS6detail15normal_iteratorINSA_10device_ptrIsEEEEPS6_NSA_18transform_iteratorI7is_evenIsESF_NSA_11use_defaultESK_EENS0_5tupleIJNSA_16discard_iteratorISK_EESF_EEENSM_IJSG_SG_EEES6_PlJS6_EEE10hipError_tPvRmT3_T4_T5_T6_T7_T9_mT8_P12ihipStream_tbDpT10_ENKUlT_T0_E_clISt17integral_constantIbLb0EES1B_EEDaS16_S17_EUlS16_E_NS1_11comp_targetILNS1_3genE5ELNS1_11target_archE942ELNS1_3gpuE9ELNS1_3repE0EEENS1_30default_config_static_selectorELNS0_4arch9wavefront6targetE1EEEvT1_
	.globl	_ZN7rocprim17ROCPRIM_400000_NS6detail17trampoline_kernelINS0_14default_configENS1_25partition_config_selectorILNS1_17partition_subalgoE1EsNS0_10empty_typeEbEEZZNS1_14partition_implILS5_1ELb0ES3_jN6thrust23THRUST_200600_302600_NS6detail15normal_iteratorINSA_10device_ptrIsEEEEPS6_NSA_18transform_iteratorI7is_evenIsESF_NSA_11use_defaultESK_EENS0_5tupleIJNSA_16discard_iteratorISK_EESF_EEENSM_IJSG_SG_EEES6_PlJS6_EEE10hipError_tPvRmT3_T4_T5_T6_T7_T9_mT8_P12ihipStream_tbDpT10_ENKUlT_T0_E_clISt17integral_constantIbLb0EES1B_EEDaS16_S17_EUlS16_E_NS1_11comp_targetILNS1_3genE5ELNS1_11target_archE942ELNS1_3gpuE9ELNS1_3repE0EEENS1_30default_config_static_selectorELNS0_4arch9wavefront6targetE1EEEvT1_
	.p2align	8
	.type	_ZN7rocprim17ROCPRIM_400000_NS6detail17trampoline_kernelINS0_14default_configENS1_25partition_config_selectorILNS1_17partition_subalgoE1EsNS0_10empty_typeEbEEZZNS1_14partition_implILS5_1ELb0ES3_jN6thrust23THRUST_200600_302600_NS6detail15normal_iteratorINSA_10device_ptrIsEEEEPS6_NSA_18transform_iteratorI7is_evenIsESF_NSA_11use_defaultESK_EENS0_5tupleIJNSA_16discard_iteratorISK_EESF_EEENSM_IJSG_SG_EEES6_PlJS6_EEE10hipError_tPvRmT3_T4_T5_T6_T7_T9_mT8_P12ihipStream_tbDpT10_ENKUlT_T0_E_clISt17integral_constantIbLb0EES1B_EEDaS16_S17_EUlS16_E_NS1_11comp_targetILNS1_3genE5ELNS1_11target_archE942ELNS1_3gpuE9ELNS1_3repE0EEENS1_30default_config_static_selectorELNS0_4arch9wavefront6targetE1EEEvT1_,@function
_ZN7rocprim17ROCPRIM_400000_NS6detail17trampoline_kernelINS0_14default_configENS1_25partition_config_selectorILNS1_17partition_subalgoE1EsNS0_10empty_typeEbEEZZNS1_14partition_implILS5_1ELb0ES3_jN6thrust23THRUST_200600_302600_NS6detail15normal_iteratorINSA_10device_ptrIsEEEEPS6_NSA_18transform_iteratorI7is_evenIsESF_NSA_11use_defaultESK_EENS0_5tupleIJNSA_16discard_iteratorISK_EESF_EEENSM_IJSG_SG_EEES6_PlJS6_EEE10hipError_tPvRmT3_T4_T5_T6_T7_T9_mT8_P12ihipStream_tbDpT10_ENKUlT_T0_E_clISt17integral_constantIbLb0EES1B_EEDaS16_S17_EUlS16_E_NS1_11comp_targetILNS1_3genE5ELNS1_11target_archE942ELNS1_3gpuE9ELNS1_3repE0EEENS1_30default_config_static_selectorELNS0_4arch9wavefront6targetE1EEEvT1_: ; @_ZN7rocprim17ROCPRIM_400000_NS6detail17trampoline_kernelINS0_14default_configENS1_25partition_config_selectorILNS1_17partition_subalgoE1EsNS0_10empty_typeEbEEZZNS1_14partition_implILS5_1ELb0ES3_jN6thrust23THRUST_200600_302600_NS6detail15normal_iteratorINSA_10device_ptrIsEEEEPS6_NSA_18transform_iteratorI7is_evenIsESF_NSA_11use_defaultESK_EENS0_5tupleIJNSA_16discard_iteratorISK_EESF_EEENSM_IJSG_SG_EEES6_PlJS6_EEE10hipError_tPvRmT3_T4_T5_T6_T7_T9_mT8_P12ihipStream_tbDpT10_ENKUlT_T0_E_clISt17integral_constantIbLb0EES1B_EEDaS16_S17_EUlS16_E_NS1_11comp_targetILNS1_3genE5ELNS1_11target_archE942ELNS1_3gpuE9ELNS1_3repE0EEENS1_30default_config_static_selectorELNS0_4arch9wavefront6targetE1EEEvT1_
; %bb.0:
	s_load_dwordx2 s[4:5], s[0:1], 0x68
	s_load_dwordx4 s[24:27], s[0:1], 0x8
	s_load_dwordx2 s[6:7], s[0:1], 0x20
	s_load_dwordx4 s[20:23], s[0:1], 0x58
	s_load_dword s3, s[0:1], 0x80
	s_waitcnt lgkmcnt(0)
	v_mov_b32_e32 v3, s5
	s_lshl_b64 s[8:9], s[26:27], 1
	s_add_u32 s12, s24, s8
	s_addc_u32 s13, s25, s9
	s_add_i32 s14, s3, -1
	s_mulk_i32 s3, 0x3800
	s_add_i32 s5, s3, s26
	s_sub_i32 s33, s4, s5
	s_addk_i32 s33, 0x3800
	v_mov_b32_e32 v2, s4
	s_add_u32 s4, s26, s3
	s_addc_u32 s5, s27, 0
	s_cmp_eq_u32 s2, s14
	s_load_dwordx2 s[24:25], s[22:23], 0x0
	s_cselect_b64 s[22:23], -1, 0
	s_cmp_lg_u32 s2, s14
	s_mul_i32 s10, s2, 0x3800
	s_mov_b32 s11, 0
	v_cmp_lt_u64_e32 vcc, s[4:5], v[2:3]
	s_cselect_b64 s[4:5], -1, 0
	s_or_b64 s[28:29], s[4:5], vcc
	s_lshl_b64 s[30:31], s[10:11], 1
	s_add_u32 s10, s12, s30
	s_addc_u32 s11, s13, s31
	s_mov_b64 s[4:5], -1
	s_and_b64 vcc, exec, s[28:29]
	v_lshlrev_b32_e32 v14, 1, v0
	s_cbranch_vccz .LBB3420_2
; %bb.1:
	v_mov_b32_e32 v15, 0
	v_lshl_add_u64 v[2:3], s[10:11], 0, v[14:15]
	v_add_co_u32_e32 v4, vcc, 0x1000, v2
	s_mov_b64 s[4:5], 0
	s_nop 0
	v_addc_co_u32_e32 v5, vcc, 0, v3, vcc
	flat_load_ushort v1, v[2:3]
	flat_load_ushort v8, v[2:3] offset:1024
	flat_load_ushort v9, v[2:3] offset:2048
	;; [unrolled: 1-line block ×3, first 2 shown]
	flat_load_ushort v11, v[4:5]
	flat_load_ushort v12, v[4:5] offset:1024
	flat_load_ushort v13, v[4:5] offset:2048
	;; [unrolled: 1-line block ×3, first 2 shown]
	v_add_co_u32_e32 v4, vcc, 0x2000, v2
	s_nop 1
	v_addc_co_u32_e32 v5, vcc, 0, v3, vcc
	v_add_co_u32_e32 v6, vcc, 0x3000, v2
	s_nop 1
	v_addc_co_u32_e32 v7, vcc, 0, v3, vcc
	flat_load_ushort v16, v[4:5]
	flat_load_ushort v17, v[4:5] offset:1024
	flat_load_ushort v18, v[4:5] offset:2048
	;; [unrolled: 1-line block ×3, first 2 shown]
	flat_load_ushort v20, v[6:7]
	flat_load_ushort v21, v[6:7] offset:1024
	flat_load_ushort v22, v[6:7] offset:2048
	;; [unrolled: 1-line block ×3, first 2 shown]
	v_add_co_u32_e32 v4, vcc, 0x4000, v2
	s_nop 1
	v_addc_co_u32_e32 v5, vcc, 0, v3, vcc
	v_add_co_u32_e32 v6, vcc, 0x5000, v2
	s_nop 1
	v_addc_co_u32_e32 v7, vcc, 0, v3, vcc
	v_add_co_u32_e32 v2, vcc, 0x6000, v2
	flat_load_ushort v24, v[4:5]
	flat_load_ushort v25, v[4:5] offset:1024
	flat_load_ushort v26, v[4:5] offset:2048
	;; [unrolled: 1-line block ×3, first 2 shown]
	flat_load_ushort v28, v[6:7]
	flat_load_ushort v29, v[6:7] offset:1024
	flat_load_ushort v30, v[6:7] offset:2048
	;; [unrolled: 1-line block ×3, first 2 shown]
	v_addc_co_u32_e32 v3, vcc, 0, v3, vcc
	flat_load_ushort v4, v[2:3]
	flat_load_ushort v5, v[2:3] offset:1024
	flat_load_ushort v6, v[2:3] offset:2048
	flat_load_ushort v7, v[2:3] offset:3072
	s_waitcnt vmcnt(0) lgkmcnt(0)
	ds_write_b16 v14, v1
	ds_write_b16 v14, v8 offset:1024
	ds_write_b16 v14, v9 offset:2048
	;; [unrolled: 1-line block ×27, first 2 shown]
	s_waitcnt lgkmcnt(0)
	s_barrier
.LBB3420_2:
	s_andn2_b64 vcc, exec, s[4:5]
	v_cmp_gt_u32_e64 s[4:5], s33, v0
	s_cbranch_vccnz .LBB3420_60
; %bb.3:
                                        ; implicit-def: $vgpr1
	s_and_saveexec_b64 s[12:13], s[4:5]
	s_cbranch_execz .LBB3420_5
; %bb.4:
	v_mov_b32_e32 v15, 0
	v_lshl_add_u64 v[2:3], s[10:11], 0, v[14:15]
	flat_load_ushort v1, v[2:3]
.LBB3420_5:
	s_or_b64 exec, exec, s[12:13]
	v_or_b32_e32 v2, 0x200, v0
	v_cmp_gt_u32_e32 vcc, s33, v2
                                        ; implicit-def: $vgpr2
	s_and_saveexec_b64 s[4:5], vcc
	s_cbranch_execz .LBB3420_7
; %bb.6:
	v_mov_b32_e32 v15, 0
	v_lshl_add_u64 v[2:3], s[10:11], 0, v[14:15]
	flat_load_ushort v2, v[2:3] offset:1024
.LBB3420_7:
	s_or_b64 exec, exec, s[4:5]
	v_or_b32_e32 v3, 0x400, v0
	v_cmp_gt_u32_e32 vcc, s33, v3
                                        ; implicit-def: $vgpr3
	s_and_saveexec_b64 s[4:5], vcc
	s_cbranch_execz .LBB3420_9
; %bb.8:
	v_mov_b32_e32 v15, 0
	v_lshl_add_u64 v[4:5], s[10:11], 0, v[14:15]
	flat_load_ushort v3, v[4:5] offset:2048
.LBB3420_9:
	s_or_b64 exec, exec, s[4:5]
	v_or_b32_e32 v4, 0x600, v0
	v_cmp_gt_u32_e32 vcc, s33, v4
                                        ; implicit-def: $vgpr4
	s_and_saveexec_b64 s[4:5], vcc
	s_cbranch_execz .LBB3420_11
; %bb.10:
	v_mov_b32_e32 v15, 0
	v_lshl_add_u64 v[4:5], s[10:11], 0, v[14:15]
	flat_load_ushort v4, v[4:5] offset:3072
.LBB3420_11:
	s_or_b64 exec, exec, s[4:5]
	v_or_b32_e32 v6, 0x800, v0
	v_cmp_gt_u32_e32 vcc, s33, v6
                                        ; implicit-def: $vgpr5
	s_and_saveexec_b64 s[4:5], vcc
	s_cbranch_execz .LBB3420_13
; %bb.12:
	v_lshlrev_b32_e32 v6, 1, v6
	v_mov_b32_e32 v7, 0
	v_lshl_add_u64 v[6:7], s[10:11], 0, v[6:7]
	flat_load_ushort v5, v[6:7]
.LBB3420_13:
	s_or_b64 exec, exec, s[4:5]
	v_or_b32_e32 v7, 0xa00, v0
	v_cmp_gt_u32_e32 vcc, s33, v7
                                        ; implicit-def: $vgpr6
	s_and_saveexec_b64 s[4:5], vcc
	s_cbranch_execz .LBB3420_15
; %bb.14:
	v_lshlrev_b32_e32 v6, 1, v7
	v_mov_b32_e32 v7, 0
	v_lshl_add_u64 v[6:7], s[10:11], 0, v[6:7]
	flat_load_ushort v6, v[6:7]
.LBB3420_15:
	s_or_b64 exec, exec, s[4:5]
	v_or_b32_e32 v8, 0xc00, v0
	v_cmp_gt_u32_e32 vcc, s33, v8
                                        ; implicit-def: $vgpr7
	s_and_saveexec_b64 s[4:5], vcc
	s_cbranch_execz .LBB3420_17
; %bb.16:
	v_lshlrev_b32_e32 v8, 1, v8
	v_mov_b32_e32 v9, 0
	v_lshl_add_u64 v[8:9], s[10:11], 0, v[8:9]
	flat_load_ushort v7, v[8:9]
.LBB3420_17:
	s_or_b64 exec, exec, s[4:5]
	v_or_b32_e32 v9, 0xe00, v0
	v_cmp_gt_u32_e32 vcc, s33, v9
                                        ; implicit-def: $vgpr8
	s_and_saveexec_b64 s[4:5], vcc
	s_cbranch_execz .LBB3420_19
; %bb.18:
	v_lshlrev_b32_e32 v8, 1, v9
	v_mov_b32_e32 v9, 0
	v_lshl_add_u64 v[8:9], s[10:11], 0, v[8:9]
	flat_load_ushort v8, v[8:9]
.LBB3420_19:
	s_or_b64 exec, exec, s[4:5]
	v_or_b32_e32 v10, 0x1000, v0
	v_cmp_gt_u32_e32 vcc, s33, v10
                                        ; implicit-def: $vgpr9
	s_and_saveexec_b64 s[4:5], vcc
	s_cbranch_execz .LBB3420_21
; %bb.20:
	v_lshlrev_b32_e32 v10, 1, v10
	v_mov_b32_e32 v11, 0
	v_lshl_add_u64 v[10:11], s[10:11], 0, v[10:11]
	flat_load_ushort v9, v[10:11]
.LBB3420_21:
	s_or_b64 exec, exec, s[4:5]
	v_or_b32_e32 v11, 0x1200, v0
	v_cmp_gt_u32_e32 vcc, s33, v11
                                        ; implicit-def: $vgpr10
	s_and_saveexec_b64 s[4:5], vcc
	s_cbranch_execz .LBB3420_23
; %bb.22:
	v_lshlrev_b32_e32 v10, 1, v11
	v_mov_b32_e32 v11, 0
	v_lshl_add_u64 v[10:11], s[10:11], 0, v[10:11]
	flat_load_ushort v10, v[10:11]
.LBB3420_23:
	s_or_b64 exec, exec, s[4:5]
	v_or_b32_e32 v12, 0x1400, v0
	v_cmp_gt_u32_e32 vcc, s33, v12
                                        ; implicit-def: $vgpr11
	s_and_saveexec_b64 s[4:5], vcc
	s_cbranch_execz .LBB3420_25
; %bb.24:
	v_lshlrev_b32_e32 v12, 1, v12
	v_mov_b32_e32 v13, 0
	v_lshl_add_u64 v[12:13], s[10:11], 0, v[12:13]
	flat_load_ushort v11, v[12:13]
.LBB3420_25:
	s_or_b64 exec, exec, s[4:5]
	v_or_b32_e32 v13, 0x1600, v0
	v_cmp_gt_u32_e32 vcc, s33, v13
                                        ; implicit-def: $vgpr12
	s_and_saveexec_b64 s[4:5], vcc
	s_cbranch_execz .LBB3420_27
; %bb.26:
	v_lshlrev_b32_e32 v12, 1, v13
	v_mov_b32_e32 v13, 0
	v_lshl_add_u64 v[12:13], s[10:11], 0, v[12:13]
	flat_load_ushort v12, v[12:13]
.LBB3420_27:
	s_or_b64 exec, exec, s[4:5]
	v_or_b32_e32 v15, 0x1800, v0
	v_cmp_gt_u32_e32 vcc, s33, v15
                                        ; implicit-def: $vgpr13
	s_and_saveexec_b64 s[4:5], vcc
	s_cbranch_execz .LBB3420_29
; %bb.28:
	v_lshlrev_b32_e32 v16, 1, v15
	v_mov_b32_e32 v17, 0
	v_lshl_add_u64 v[16:17], s[10:11], 0, v[16:17]
	flat_load_ushort v13, v[16:17]
.LBB3420_29:
	s_or_b64 exec, exec, s[4:5]
	v_or_b32_e32 v16, 0x1a00, v0
	v_cmp_gt_u32_e32 vcc, s33, v16
                                        ; implicit-def: $vgpr15
	s_and_saveexec_b64 s[4:5], vcc
	s_cbranch_execz .LBB3420_31
; %bb.30:
	v_lshlrev_b32_e32 v16, 1, v16
	v_mov_b32_e32 v17, 0
	v_lshl_add_u64 v[16:17], s[10:11], 0, v[16:17]
	flat_load_ushort v15, v[16:17]
.LBB3420_31:
	s_or_b64 exec, exec, s[4:5]
	v_or_b32_e32 v17, 0x1c00, v0
	v_cmp_gt_u32_e32 vcc, s33, v17
                                        ; implicit-def: $vgpr16
	s_and_saveexec_b64 s[4:5], vcc
	s_cbranch_execz .LBB3420_33
; %bb.32:
	v_lshlrev_b32_e32 v16, 1, v17
	v_mov_b32_e32 v17, 0
	v_lshl_add_u64 v[16:17], s[10:11], 0, v[16:17]
	flat_load_ushort v16, v[16:17]
.LBB3420_33:
	s_or_b64 exec, exec, s[4:5]
	v_or_b32_e32 v18, 0x1e00, v0
	v_cmp_gt_u32_e32 vcc, s33, v18
                                        ; implicit-def: $vgpr17
	s_and_saveexec_b64 s[4:5], vcc
	s_cbranch_execz .LBB3420_35
; %bb.34:
	v_lshlrev_b32_e32 v18, 1, v18
	v_mov_b32_e32 v19, 0
	v_lshl_add_u64 v[18:19], s[10:11], 0, v[18:19]
	flat_load_ushort v17, v[18:19]
.LBB3420_35:
	s_or_b64 exec, exec, s[4:5]
	v_or_b32_e32 v19, 0x2000, v0
	v_cmp_gt_u32_e32 vcc, s33, v19
                                        ; implicit-def: $vgpr18
	s_and_saveexec_b64 s[4:5], vcc
	s_cbranch_execz .LBB3420_37
; %bb.36:
	v_lshlrev_b32_e32 v18, 1, v19
	v_mov_b32_e32 v19, 0
	v_lshl_add_u64 v[18:19], s[10:11], 0, v[18:19]
	flat_load_ushort v18, v[18:19]
.LBB3420_37:
	s_or_b64 exec, exec, s[4:5]
	v_or_b32_e32 v20, 0x2200, v0
	v_cmp_gt_u32_e32 vcc, s33, v20
                                        ; implicit-def: $vgpr19
	s_and_saveexec_b64 s[4:5], vcc
	s_cbranch_execz .LBB3420_39
; %bb.38:
	v_lshlrev_b32_e32 v20, 1, v20
	v_mov_b32_e32 v21, 0
	v_lshl_add_u64 v[20:21], s[10:11], 0, v[20:21]
	flat_load_ushort v19, v[20:21]
.LBB3420_39:
	s_or_b64 exec, exec, s[4:5]
	v_or_b32_e32 v21, 0x2400, v0
	v_cmp_gt_u32_e32 vcc, s33, v21
                                        ; implicit-def: $vgpr20
	s_and_saveexec_b64 s[4:5], vcc
	s_cbranch_execz .LBB3420_41
; %bb.40:
	v_lshlrev_b32_e32 v20, 1, v21
	v_mov_b32_e32 v21, 0
	v_lshl_add_u64 v[20:21], s[10:11], 0, v[20:21]
	flat_load_ushort v20, v[20:21]
.LBB3420_41:
	s_or_b64 exec, exec, s[4:5]
	v_or_b32_e32 v22, 0x2600, v0
	v_cmp_gt_u32_e32 vcc, s33, v22
                                        ; implicit-def: $vgpr21
	s_and_saveexec_b64 s[4:5], vcc
	s_cbranch_execz .LBB3420_43
; %bb.42:
	v_lshlrev_b32_e32 v22, 1, v22
	v_mov_b32_e32 v23, 0
	v_lshl_add_u64 v[22:23], s[10:11], 0, v[22:23]
	flat_load_ushort v21, v[22:23]
.LBB3420_43:
	s_or_b64 exec, exec, s[4:5]
	v_or_b32_e32 v23, 0x2800, v0
	v_cmp_gt_u32_e32 vcc, s33, v23
                                        ; implicit-def: $vgpr22
	s_and_saveexec_b64 s[4:5], vcc
	s_cbranch_execz .LBB3420_45
; %bb.44:
	v_lshlrev_b32_e32 v22, 1, v23
	v_mov_b32_e32 v23, 0
	v_lshl_add_u64 v[22:23], s[10:11], 0, v[22:23]
	flat_load_ushort v22, v[22:23]
.LBB3420_45:
	s_or_b64 exec, exec, s[4:5]
	v_or_b32_e32 v24, 0x2a00, v0
	v_cmp_gt_u32_e32 vcc, s33, v24
                                        ; implicit-def: $vgpr23
	s_and_saveexec_b64 s[4:5], vcc
	s_cbranch_execz .LBB3420_47
; %bb.46:
	v_lshlrev_b32_e32 v24, 1, v24
	v_mov_b32_e32 v25, 0
	v_lshl_add_u64 v[24:25], s[10:11], 0, v[24:25]
	flat_load_ushort v23, v[24:25]
.LBB3420_47:
	s_or_b64 exec, exec, s[4:5]
	v_or_b32_e32 v25, 0x2c00, v0
	v_cmp_gt_u32_e32 vcc, s33, v25
                                        ; implicit-def: $vgpr24
	s_and_saveexec_b64 s[4:5], vcc
	s_cbranch_execz .LBB3420_49
; %bb.48:
	v_lshlrev_b32_e32 v24, 1, v25
	v_mov_b32_e32 v25, 0
	v_lshl_add_u64 v[24:25], s[10:11], 0, v[24:25]
	flat_load_ushort v24, v[24:25]
.LBB3420_49:
	s_or_b64 exec, exec, s[4:5]
	v_or_b32_e32 v26, 0x2e00, v0
	v_cmp_gt_u32_e32 vcc, s33, v26
                                        ; implicit-def: $vgpr25
	s_and_saveexec_b64 s[4:5], vcc
	s_cbranch_execz .LBB3420_51
; %bb.50:
	v_lshlrev_b32_e32 v26, 1, v26
	v_mov_b32_e32 v27, 0
	v_lshl_add_u64 v[26:27], s[10:11], 0, v[26:27]
	flat_load_ushort v25, v[26:27]
.LBB3420_51:
	s_or_b64 exec, exec, s[4:5]
	v_or_b32_e32 v27, 0x3000, v0
	v_cmp_gt_u32_e32 vcc, s33, v27
                                        ; implicit-def: $vgpr26
	s_and_saveexec_b64 s[4:5], vcc
	s_cbranch_execz .LBB3420_53
; %bb.52:
	v_lshlrev_b32_e32 v26, 1, v27
	v_mov_b32_e32 v27, 0
	v_lshl_add_u64 v[26:27], s[10:11], 0, v[26:27]
	flat_load_ushort v26, v[26:27]
.LBB3420_53:
	s_or_b64 exec, exec, s[4:5]
	v_or_b32_e32 v28, 0x3200, v0
	v_cmp_gt_u32_e32 vcc, s33, v28
                                        ; implicit-def: $vgpr27
	s_and_saveexec_b64 s[4:5], vcc
	s_cbranch_execz .LBB3420_55
; %bb.54:
	v_lshlrev_b32_e32 v28, 1, v28
	v_mov_b32_e32 v29, 0
	v_lshl_add_u64 v[28:29], s[10:11], 0, v[28:29]
	flat_load_ushort v27, v[28:29]
.LBB3420_55:
	s_or_b64 exec, exec, s[4:5]
	v_or_b32_e32 v29, 0x3400, v0
	v_cmp_gt_u32_e32 vcc, s33, v29
                                        ; implicit-def: $vgpr28
	s_and_saveexec_b64 s[4:5], vcc
	s_cbranch_execz .LBB3420_57
; %bb.56:
	v_lshlrev_b32_e32 v28, 1, v29
	v_mov_b32_e32 v29, 0
	v_lshl_add_u64 v[28:29], s[10:11], 0, v[28:29]
	flat_load_ushort v28, v[28:29]
.LBB3420_57:
	s_or_b64 exec, exec, s[4:5]
	v_or_b32_e32 v30, 0x3600, v0
	v_cmp_gt_u32_e32 vcc, s33, v30
                                        ; implicit-def: $vgpr29
	s_and_saveexec_b64 s[4:5], vcc
	s_cbranch_execz .LBB3420_59
; %bb.58:
	v_lshlrev_b32_e32 v30, 1, v30
	v_mov_b32_e32 v31, 0
	v_lshl_add_u64 v[30:31], s[10:11], 0, v[30:31]
	flat_load_ushort v29, v[30:31]
.LBB3420_59:
	s_or_b64 exec, exec, s[4:5]
	s_waitcnt vmcnt(0) lgkmcnt(0)
	ds_write_b16 v14, v1
	ds_write_b16 v14, v2 offset:1024
	ds_write_b16 v14, v3 offset:2048
	;; [unrolled: 1-line block ×27, first 2 shown]
	s_waitcnt lgkmcnt(0)
	s_barrier
.LBB3420_60:
	v_mul_u32_u24_e32 v1, 28, v0
	v_lshlrev_b32_e32 v6, 1, v1
	s_waitcnt lgkmcnt(0)
	ds_read_b64 v[16:17], v6 offset:48
	ds_read2_b64 v[2:5], v6 offset0:4 offset1:5
	ds_read2_b64 v[10:13], v6 offset1:1
	ds_read2_b64 v[6:9], v6 offset0:2 offset1:3
	s_add_u32 s3, s6, s8
	s_addc_u32 s5, s7, s9
	s_add_u32 s4, s3, s30
	s_addc_u32 s5, s5, s31
	s_mov_b64 s[6:7], -1
	s_and_b64 vcc, exec, s[28:29]
	s_waitcnt lgkmcnt(0)
	s_barrier
	s_cbranch_vccz .LBB3420_62
; %bb.61:
	v_mov_b32_e32 v15, 0
	v_lshl_add_u64 v[18:19], s[4:5], 0, v[14:15]
	s_movk_i32 s3, 0x1000
	v_add_co_u32_e32 v20, vcc, s3, v18
	s_movk_i32 s3, 0x2000
	s_nop 0
	v_addc_co_u32_e32 v21, vcc, 0, v19, vcc
	v_add_co_u32_e32 v22, vcc, s3, v18
	s_movk_i32 s6, 0x4000
	s_nop 0
	v_addc_co_u32_e32 v23, vcc, 0, v19, vcc
	global_load_ubyte v15, v14, s[4:5]
	global_load_ubyte v24, v14, s[4:5] offset:1024
	global_load_ubyte v25, v14, s[4:5] offset:2048
	;; [unrolled: 1-line block ×3, first 2 shown]
	global_load_ubyte v27, v[20:21], off offset:1024
	global_load_ubyte v28, v[20:21], off offset:2048
	;; [unrolled: 1-line block ×3, first 2 shown]
	global_load_ubyte v30, v[22:23], off offset:-4096
	global_load_ubyte v31, v[22:23], off
	global_load_ubyte v32, v[22:23], off offset:1024
	v_add_co_u32_e32 v20, vcc, s6, v18
	s_movk_i32 s3, 0x3000
	s_nop 0
	v_addc_co_u32_e32 v21, vcc, 0, v19, vcc
	global_load_ubyte v33, v[22:23], off offset:2048
	global_load_ubyte v34, v[22:23], off offset:3072
	global_load_ubyte v35, v[20:21], off offset:-4096
	v_add_co_u32_e32 v22, vcc, s3, v18
	s_movk_i32 s6, 0x6000
	s_nop 0
	v_addc_co_u32_e32 v23, vcc, 0, v19, vcc
	global_load_ubyte v36, v[22:23], off offset:1024
	global_load_ubyte v37, v[22:23], off offset:2048
	;; [unrolled: 1-line block ×3, first 2 shown]
	global_load_ubyte v39, v[20:21], off
	v_add_co_u32_e32 v22, vcc, s6, v18
	s_movk_i32 s3, 0x5000
	s_nop 0
	v_addc_co_u32_e32 v23, vcc, 0, v19, vcc
	v_add_co_u32_e32 v18, vcc, s3, v18
	global_load_ubyte v40, v[20:21], off offset:1024
	global_load_ubyte v41, v[20:21], off offset:2048
	;; [unrolled: 1-line block ×3, first 2 shown]
	global_load_ubyte v43, v[22:23], off offset:-4096
	v_addc_co_u32_e32 v19, vcc, 0, v19, vcc
	global_load_ubyte v20, v[18:19], off offset:1024
	global_load_ubyte v21, v[18:19], off offset:2048
	;; [unrolled: 1-line block ×3, first 2 shown]
	global_load_ubyte v45, v[22:23], off
	global_load_ubyte v46, v[22:23], off offset:1024
	global_load_ubyte v47, v[22:23], off offset:2048
	;; [unrolled: 1-line block ×3, first 2 shown]
	s_mov_b64 s[6:7], 0
	s_waitcnt vmcnt(23)
	v_xor_b32_e32 v23, -1, v27
	v_xor_b32_e32 v15, -1, v15
	;; [unrolled: 1-line block ×5, first 2 shown]
	v_and_b32_e32 v15, 1, v15
	s_waitcnt vmcnt(22)
	v_xor_b32_e32 v24, -1, v28
	s_waitcnt vmcnt(21)
	v_xor_b32_e32 v25, -1, v29
	;; [unrolled: 2-line block ×12, first 2 shown]
	v_and_b32_e32 v18, 1, v18
	v_and_b32_e32 v19, 1, v19
	;; [unrolled: 1-line block ×4, first 2 shown]
	s_waitcnt vmcnt(10)
	v_xor_b32_e32 v36, -1, v40
	s_waitcnt vmcnt(9)
	v_xor_b32_e32 v37, -1, v41
	;; [unrolled: 2-line block ×11, first 2 shown]
	v_and_b32_e32 v24, 1, v24
	v_and_b32_e32 v25, 1, v25
	;; [unrolled: 1-line block ×23, first 2 shown]
	ds_write_b8 v0, v15
	ds_write_b8 v0, v18 offset:512
	ds_write_b8 v0, v19 offset:1024
	;; [unrolled: 1-line block ×27, first 2 shown]
	s_waitcnt lgkmcnt(0)
	s_barrier
.LBB3420_62:
	s_load_dwordx2 s[34:35], s[0:1], 0x78
	s_andn2_b64 vcc, exec, s[6:7]
	s_cbranch_vccnz .LBB3420_120
; %bb.63:
	v_cmp_gt_u32_e32 vcc, s33, v0
	v_mov_b32_e32 v15, 0
	v_mov_b32_e32 v18, 0
	s_and_saveexec_b64 s[6:7], vcc
	s_cbranch_execz .LBB3420_65
; %bb.64:
	global_load_ubyte v18, v14, s[4:5]
	s_waitcnt vmcnt(0)
	v_xor_b32_e32 v18, -1, v18
	v_and_b32_e32 v18, 1, v18
.LBB3420_65:
	s_or_b64 exec, exec, s[6:7]
	v_or_b32_e32 v19, 0x200, v0
	v_cmp_gt_u32_e32 vcc, s33, v19
	s_and_saveexec_b64 s[6:7], vcc
	s_cbranch_execz .LBB3420_67
; %bb.66:
	global_load_ubyte v15, v14, s[4:5] offset:1024
	s_waitcnt vmcnt(0)
	v_xor_b32_e32 v15, -1, v15
	v_and_b32_e32 v15, 1, v15
.LBB3420_67:
	s_or_b64 exec, exec, s[6:7]
	v_or_b32_e32 v19, 0x400, v0
	v_cmp_gt_u32_e32 vcc, s33, v19
	v_mov_b32_e32 v19, 0
	v_mov_b32_e32 v20, 0
	s_and_saveexec_b64 s[6:7], vcc
	s_cbranch_execz .LBB3420_69
; %bb.68:
	global_load_ubyte v20, v14, s[4:5] offset:2048
	s_waitcnt vmcnt(0)
	v_xor_b32_e32 v20, -1, v20
	v_and_b32_e32 v20, 1, v20
.LBB3420_69:
	s_or_b64 exec, exec, s[6:7]
	v_or_b32_e32 v21, 0x600, v0
	v_cmp_gt_u32_e32 vcc, s33, v21
	s_and_saveexec_b64 s[6:7], vcc
	s_cbranch_execz .LBB3420_71
; %bb.70:
	global_load_ubyte v19, v14, s[4:5] offset:3072
	s_waitcnt vmcnt(0)
	v_xor_b32_e32 v19, -1, v19
	v_and_b32_e32 v19, 1, v19
.LBB3420_71:
	s_or_b64 exec, exec, s[6:7]
	v_or_b32_e32 v23, 0x800, v0
	v_cmp_gt_u32_e32 vcc, s33, v23
	v_mov_b32_e32 v21, 0
	v_mov_b32_e32 v22, 0
	s_and_saveexec_b64 s[6:7], vcc
	s_cbranch_execz .LBB3420_73
; %bb.72:
	v_lshlrev_b32_e32 v22, 1, v23
	global_load_ubyte v22, v22, s[4:5]
	s_waitcnt vmcnt(0)
	v_xor_b32_e32 v22, -1, v22
	v_and_b32_e32 v22, 1, v22
.LBB3420_73:
	s_or_b64 exec, exec, s[6:7]
	v_or_b32_e32 v23, 0xa00, v0
	v_cmp_gt_u32_e32 vcc, s33, v23
	s_and_saveexec_b64 s[6:7], vcc
	s_cbranch_execz .LBB3420_75
; %bb.74:
	v_lshlrev_b32_e32 v21, 1, v23
	global_load_ubyte v21, v21, s[4:5]
	s_waitcnt vmcnt(0)
	v_xor_b32_e32 v21, -1, v21
	v_and_b32_e32 v21, 1, v21
.LBB3420_75:
	s_or_b64 exec, exec, s[6:7]
	v_or_b32_e32 v25, 0xc00, v0
	v_cmp_gt_u32_e32 vcc, s33, v25
	v_mov_b32_e32 v23, 0
	v_mov_b32_e32 v24, 0
	s_and_saveexec_b64 s[6:7], vcc
	s_cbranch_execz .LBB3420_77
; %bb.76:
	v_lshlrev_b32_e32 v24, 1, v25
	global_load_ubyte v24, v24, s[4:5]
	s_waitcnt vmcnt(0)
	v_xor_b32_e32 v24, -1, v24
	v_and_b32_e32 v24, 1, v24
.LBB3420_77:
	s_or_b64 exec, exec, s[6:7]
	v_or_b32_e32 v25, 0xe00, v0
	v_cmp_gt_u32_e32 vcc, s33, v25
	s_and_saveexec_b64 s[6:7], vcc
	s_cbranch_execz .LBB3420_79
; %bb.78:
	v_lshlrev_b32_e32 v23, 1, v25
	global_load_ubyte v23, v23, s[4:5]
	s_waitcnt vmcnt(0)
	v_xor_b32_e32 v23, -1, v23
	v_and_b32_e32 v23, 1, v23
.LBB3420_79:
	;; [unrolled: 26-line block ×12, first 2 shown]
	s_or_b64 exec, exec, s[6:7]
	ds_write_b8 v0, v18
	ds_write_b8 v0, v15 offset:512
	ds_write_b8 v0, v20 offset:1024
	;; [unrolled: 1-line block ×27, first 2 shown]
	s_waitcnt lgkmcnt(0)
	s_barrier
.LBB3420_120:
	s_waitcnt lgkmcnt(0)
	ds_read2_b32 v[24:25], v1 offset1:1
	ds_read2_b32 v[22:23], v1 offset0:2 offset1:3
	ds_read2_b32 v[20:21], v1 offset0:4 offset1:5
	ds_read_b32 v34, v1 offset:24
	s_cmp_lg_u32 s2, 0
	v_lshrrev_b32_e32 v61, 6, v0
	s_waitcnt lgkmcnt(2)
	v_and_b32_e32 v53, 0xff, v22
	v_lshrrev_b32_e32 v41, 24, v24
	v_bfe_u32 v59, v24, 16, 8
	v_add_u32_sdwa v18, v24, v24 dst_sel:DWORD dst_unused:UNUSED_PAD src0_sel:BYTE_1 src1_sel:BYTE_0
	v_and_b32_e32 v56, 0xff, v25
	v_bfe_u32 v57, v25, 8, 8
	v_add3_u32 v18, v18, v59, v41
	v_lshrrev_b32_e32 v40, 24, v25
	v_bfe_u32 v58, v25, 16, 8
	v_add3_u32 v18, v18, v56, v57
	v_bfe_u32 v54, v22, 8, 8
	v_add3_u32 v18, v18, v58, v40
	v_lshrrev_b32_e32 v39, 24, v22
	v_bfe_u32 v55, v22, 16, 8
	v_add3_u32 v18, v18, v53, v54
	v_and_b32_e32 v50, 0xff, v23
	v_bfe_u32 v51, v23, 8, 8
	v_add3_u32 v18, v18, v55, v39
	v_lshrrev_b32_e32 v38, 24, v23
	v_bfe_u32 v52, v23, 16, 8
	v_add3_u32 v18, v18, v50, v51
	s_waitcnt lgkmcnt(1)
	v_and_b32_e32 v47, 0xff, v20
	v_bfe_u32 v48, v20, 8, 8
	v_add3_u32 v18, v18, v52, v38
	v_lshrrev_b32_e32 v37, 24, v20
	v_bfe_u32 v49, v20, 16, 8
	v_add3_u32 v18, v18, v47, v48
	v_and_b32_e32 v44, 0xff, v21
	v_bfe_u32 v45, v21, 8, 8
	v_add3_u32 v18, v18, v49, v37
	v_lshrrev_b32_e32 v36, 24, v21
	v_bfe_u32 v46, v21, 16, 8
	v_add3_u32 v18, v18, v44, v45
	s_waitcnt lgkmcnt(0)
	v_and_b32_e32 v42, 0xff, v34
	v_bfe_u32 v43, v34, 8, 8
	v_add3_u32 v18, v18, v46, v36
	v_lshrrev_b32_e32 v15, 24, v34
	v_bfe_u32 v35, v34, 16, 8
	v_add3_u32 v18, v18, v42, v43
	v_add3_u32 v62, v18, v35, v15
	v_mbcnt_lo_u32_b32 v18, -1, 0
	v_mbcnt_hi_u32_b32 v60, -1, v18
	v_and_b32_e32 v18, 15, v60
	v_cmp_eq_u32_e64 s[14:15], 0, v18
	v_cmp_lt_u32_e64 s[12:13], 1, v18
	v_cmp_lt_u32_e64 s[10:11], 3, v18
	;; [unrolled: 1-line block ×3, first 2 shown]
	v_and_b32_e32 v18, 16, v60
	v_cmp_eq_u32_e64 s[6:7], 0, v18
	v_or_b32_e32 v18, 63, v0
	v_cmp_lt_u32_e64 s[18:19], 31, v60
	v_cmp_eq_u32_e64 s[4:5], v18, v0
	s_barrier
	s_cbranch_scc0 .LBB3420_147
; %bb.121:
	v_mov_b32_dpp v18, v62 row_shr:1 row_mask:0xf bank_mask:0xf
	v_cndmask_b32_e64 v18, v18, 0, s[14:15]
	v_add_u32_e32 v18, v18, v62
	s_nop 1
	v_mov_b32_dpp v19, v18 row_shr:2 row_mask:0xf bank_mask:0xf
	v_cndmask_b32_e64 v19, 0, v19, s[12:13]
	v_add_u32_e32 v18, v18, v19
	s_nop 1
	;; [unrolled: 4-line block ×4, first 2 shown]
	v_mov_b32_dpp v19, v18 row_bcast:15 row_mask:0xf bank_mask:0xf
	v_cndmask_b32_e64 v19, v19, 0, s[6:7]
	v_add_u32_e32 v18, v18, v19
	s_nop 1
	v_mov_b32_dpp v19, v18 row_bcast:31 row_mask:0xf bank_mask:0xf
	v_cndmask_b32_e64 v19, 0, v19, s[18:19]
	v_add_u32_e32 v18, v18, v19
	s_and_saveexec_b64 s[16:17], s[4:5]
	s_cbranch_execz .LBB3420_123
; %bb.122:
	v_lshlrev_b32_e32 v19, 2, v61
	ds_write_b32 v19, v18
.LBB3420_123:
	s_or_b64 exec, exec, s[16:17]
	v_cmp_gt_u32_e32 vcc, 8, v0
	s_waitcnt lgkmcnt(0)
	s_barrier
	s_and_saveexec_b64 s[16:17], vcc
	s_cbranch_execz .LBB3420_125
; %bb.124:
	v_lshlrev_b32_e32 v19, 2, v0
	ds_read_b32 v26, v19
	v_and_b32_e32 v27, 7, v60
	v_cmp_ne_u32_e32 vcc, 0, v27
	s_waitcnt lgkmcnt(0)
	v_mov_b32_dpp v28, v26 row_shr:1 row_mask:0xf bank_mask:0xf
	v_cndmask_b32_e32 v28, 0, v28, vcc
	v_add_u32_e32 v26, v28, v26
	v_cmp_lt_u32_e32 vcc, 1, v27
	s_nop 0
	v_mov_b32_dpp v28, v26 row_shr:2 row_mask:0xf bank_mask:0xf
	v_cndmask_b32_e32 v28, 0, v28, vcc
	v_add_u32_e32 v26, v26, v28
	v_cmp_lt_u32_e32 vcc, 3, v27
	s_nop 0
	v_mov_b32_dpp v28, v26 row_shr:4 row_mask:0xf bank_mask:0xf
	v_cndmask_b32_e32 v27, 0, v28, vcc
	v_add_u32_e32 v26, v26, v27
	ds_write_b32 v19, v26
.LBB3420_125:
	s_or_b64 exec, exec, s[16:17]
	v_cmp_gt_u32_e32 vcc, 64, v0
	v_cmp_lt_u32_e64 s[16:17], 63, v0
	s_waitcnt lgkmcnt(0)
	s_barrier
	s_waitcnt lgkmcnt(0)
                                        ; implicit-def: $vgpr63
	s_and_saveexec_b64 s[36:37], s[16:17]
	s_cbranch_execz .LBB3420_127
; %bb.126:
	v_lshl_add_u32 v19, v61, 2, -4
	ds_read_b32 v63, v19
	s_waitcnt lgkmcnt(0)
	v_add_u32_e32 v18, v63, v18
.LBB3420_127:
	s_or_b64 exec, exec, s[36:37]
	v_add_u32_e32 v19, -1, v60
	v_and_b32_e32 v26, 64, v60
	v_cmp_lt_i32_e64 s[16:17], v19, v26
	s_nop 1
	v_cndmask_b32_e64 v19, v19, v60, s[16:17]
	v_lshlrev_b32_e32 v19, 2, v19
	ds_bpermute_b32 v64, v19, v18
	v_cmp_eq_u32_e64 s[16:17], 0, v60
	s_and_saveexec_b64 s[36:37], vcc
	s_cbranch_execz .LBB3420_146
; %bb.128:
	v_mov_b32_e32 v31, 0
	ds_read_b32 v18, v31 offset:28
	s_and_saveexec_b64 s[38:39], s[16:17]
	s_cbranch_execz .LBB3420_130
; %bb.129:
	s_add_i32 s40, s2, 64
	s_mov_b32 s41, 0
	s_lshl_b64 s[40:41], s[40:41], 3
	s_add_u32 s40, s34, s40
	v_mov_b32_e32 v19, 1
	s_addc_u32 s41, s35, s41
	s_waitcnt lgkmcnt(0)
	global_store_dwordx2 v31, v[18:19], s[40:41] sc1
.LBB3420_130:
	s_or_b64 exec, exec, s[38:39]
	v_xad_u32 v26, v60, -1, s2
	v_add_u32_e32 v30, 64, v26
	v_lshl_add_u64 v[32:33], v[30:31], 3, s[34:35]
	global_load_dwordx2 v[28:29], v[32:33], off sc1
	s_waitcnt vmcnt(0)
	v_cmp_eq_u16_sdwa s[40:41], v29, v31 src0_sel:BYTE_0 src1_sel:DWORD
	s_and_saveexec_b64 s[38:39], s[40:41]
	s_cbranch_execz .LBB3420_134
; %bb.131:
	s_mov_b64 s[40:41], 0
	v_mov_b32_e32 v19, 0
.LBB3420_132:                           ; =>This Inner Loop Header: Depth=1
	global_load_dwordx2 v[28:29], v[32:33], off sc1
	s_waitcnt vmcnt(0)
	v_cmp_ne_u16_sdwa s[42:43], v29, v19 src0_sel:BYTE_0 src1_sel:DWORD
	s_or_b64 s[40:41], s[42:43], s[40:41]
	s_andn2_b64 exec, exec, s[40:41]
	s_cbranch_execnz .LBB3420_132
; %bb.133:
	s_or_b64 exec, exec, s[40:41]
.LBB3420_134:
	s_or_b64 exec, exec, s[38:39]
	v_and_b32_e32 v66, 63, v60
	v_mov_b32_e32 v65, 2
	v_cmp_ne_u32_e32 vcc, 63, v66
	v_cmp_eq_u16_sdwa s[38:39], v29, v65 src0_sel:BYTE_0 src1_sel:DWORD
	v_lshlrev_b64 v[30:31], v60, -1
	v_addc_co_u32_e32 v32, vcc, 0, v60, vcc
	v_and_b32_e32 v19, s39, v31
	v_lshlrev_b32_e32 v67, 2, v32
	v_or_b32_e32 v19, 0x80000000, v19
	ds_bpermute_b32 v32, v67, v28
	v_and_b32_e32 v27, s38, v30
	v_ffbl_b32_e32 v19, v19
	v_add_u32_e32 v19, 32, v19
	v_ffbl_b32_e32 v27, v27
	v_min_u32_e32 v19, v27, v19
	v_cmp_lt_u32_e32 vcc, v66, v19
	v_add_u32_e32 v69, 2, v66
	v_add_u32_e32 v71, 4, v66
	s_waitcnt lgkmcnt(0)
	v_cndmask_b32_e32 v27, 0, v32, vcc
	v_cmp_gt_u32_e32 vcc, 62, v66
	v_add_u32_e32 v27, v27, v28
	v_add_u32_e32 v73, 8, v66
	v_cndmask_b32_e64 v28, 0, 1, vcc
	v_lshlrev_b32_e32 v28, 1, v28
	v_add_lshl_u32 v68, v28, v60, 2
	ds_bpermute_b32 v28, v68, v27
	v_cmp_le_u32_e32 vcc, v69, v19
	v_add_u32_e32 v75, 16, v66
	v_add_u32_e32 v77, 32, v66
	s_waitcnt lgkmcnt(0)
	v_cndmask_b32_e32 v28, 0, v28, vcc
	v_cmp_gt_u32_e32 vcc, 60, v66
	v_add_u32_e32 v27, v27, v28
	s_nop 0
	v_cndmask_b32_e64 v28, 0, 1, vcc
	v_lshlrev_b32_e32 v28, 2, v28
	v_add_lshl_u32 v70, v28, v60, 2
	ds_bpermute_b32 v28, v70, v27
	v_cmp_le_u32_e32 vcc, v71, v19
	s_waitcnt lgkmcnt(0)
	s_nop 0
	v_cndmask_b32_e32 v28, 0, v28, vcc
	v_cmp_gt_u32_e32 vcc, 56, v66
	v_add_u32_e32 v27, v27, v28
	s_nop 0
	v_cndmask_b32_e64 v28, 0, 1, vcc
	v_lshlrev_b32_e32 v28, 3, v28
	v_add_lshl_u32 v72, v28, v60, 2
	ds_bpermute_b32 v28, v72, v27
	v_cmp_le_u32_e32 vcc, v73, v19
	s_waitcnt lgkmcnt(0)
	s_nop 0
	;; [unrolled: 11-line block ×4, first 2 shown]
	v_cndmask_b32_e32 v19, 0, v28, vcc
	v_add_u32_e32 v28, v27, v19
	v_mov_b32_e32 v27, 0
	s_branch .LBB3420_136
.LBB3420_135:                           ;   in Loop: Header=BB3420_136 Depth=1
	s_or_b64 exec, exec, s[38:39]
	v_cmp_eq_u16_sdwa s[38:39], v29, v65 src0_sel:BYTE_0 src1_sel:DWORD
	ds_bpermute_b32 v78, v67, v28
	v_subrev_u32_e32 v26, 64, v26
	v_and_b32_e32 v32, s39, v31
	v_or_b32_e32 v32, 0x80000000, v32
	v_and_b32_e32 v33, s38, v30
	v_ffbl_b32_e32 v32, v32
	v_add_u32_e32 v32, 32, v32
	v_ffbl_b32_e32 v33, v33
	v_min_u32_e32 v32, v33, v32
	v_cmp_lt_u32_e32 vcc, v66, v32
	s_waitcnt lgkmcnt(0)
	s_nop 0
	v_cndmask_b32_e32 v33, 0, v78, vcc
	v_add_u32_e32 v28, v33, v28
	ds_bpermute_b32 v33, v68, v28
	v_cmp_le_u32_e32 vcc, v69, v32
	s_waitcnt lgkmcnt(0)
	s_nop 0
	v_cndmask_b32_e32 v33, 0, v33, vcc
	v_add_u32_e32 v28, v28, v33
	ds_bpermute_b32 v33, v70, v28
	v_cmp_le_u32_e32 vcc, v71, v32
	;; [unrolled: 6-line block ×5, first 2 shown]
	s_waitcnt lgkmcnt(0)
	s_nop 0
	v_cndmask_b32_e32 v32, 0, v33, vcc
	v_add3_u32 v28, v32, v19, v28
.LBB3420_136:                           ; =>This Loop Header: Depth=1
                                        ;     Child Loop BB3420_139 Depth 2
	v_cmp_ne_u16_sdwa s[38:39], v29, v65 src0_sel:BYTE_0 src1_sel:DWORD
	s_nop 1
	v_cndmask_b32_e64 v19, 0, 1, s[38:39]
	;;#ASMSTART
	;;#ASMEND
	s_nop 0
	v_cmp_ne_u32_e32 vcc, 0, v19
	s_cmp_lg_u64 vcc, exec
	v_mov_b32_e32 v19, v28
	s_cbranch_scc1 .LBB3420_141
; %bb.137:                              ;   in Loop: Header=BB3420_136 Depth=1
	v_lshl_add_u64 v[32:33], v[26:27], 3, s[34:35]
	global_load_dwordx2 v[28:29], v[32:33], off sc1
	s_waitcnt vmcnt(0)
	v_cmp_eq_u16_sdwa s[40:41], v29, v27 src0_sel:BYTE_0 src1_sel:DWORD
	s_and_saveexec_b64 s[38:39], s[40:41]
	s_cbranch_execz .LBB3420_135
; %bb.138:                              ;   in Loop: Header=BB3420_136 Depth=1
	s_mov_b64 s[40:41], 0
.LBB3420_139:                           ;   Parent Loop BB3420_136 Depth=1
                                        ; =>  This Inner Loop Header: Depth=2
	global_load_dwordx2 v[28:29], v[32:33], off sc1
	s_waitcnt vmcnt(0)
	v_cmp_ne_u16_sdwa s[42:43], v29, v27 src0_sel:BYTE_0 src1_sel:DWORD
	s_or_b64 s[40:41], s[42:43], s[40:41]
	s_andn2_b64 exec, exec, s[40:41]
	s_cbranch_execnz .LBB3420_139
; %bb.140:                              ;   in Loop: Header=BB3420_136 Depth=1
	s_or_b64 exec, exec, s[40:41]
	s_branch .LBB3420_135
.LBB3420_141:                           ;   in Loop: Header=BB3420_136 Depth=1
                                        ; implicit-def: $vgpr28
                                        ; implicit-def: $vgpr29
	s_cbranch_execz .LBB3420_136
; %bb.142:
	s_and_saveexec_b64 s[38:39], s[16:17]
	s_cbranch_execz .LBB3420_144
; %bb.143:
	s_add_i32 s2, s2, 64
	s_mov_b32 s3, 0
	s_lshl_b64 s[2:3], s[2:3], 3
	s_add_u32 s2, s34, s2
	v_add_u32_e32 v26, v19, v18
	v_mov_b32_e32 v27, 2
	s_addc_u32 s3, s35, s3
	v_mov_b32_e32 v28, 0
	global_store_dwordx2 v28, v[26:27], s[2:3] sc1
	ds_write_b64 v28, v[18:19] offset:28672
.LBB3420_144:
	s_or_b64 exec, exec, s[38:39]
	v_cmp_eq_u32_e32 vcc, 0, v0
	s_and_b64 exec, exec, vcc
	s_cbranch_execz .LBB3420_146
; %bb.145:
	v_mov_b32_e32 v18, 0
	ds_write_b32 v18, v19 offset:28
.LBB3420_146:
	s_or_b64 exec, exec, s[36:37]
	v_mov_b32_e32 v18, 0
	s_waitcnt lgkmcnt(0)
	s_barrier
	ds_read_b32 v27, v18 offset:28
	s_waitcnt lgkmcnt(0)
	s_barrier
	ds_read_b64 v[18:19], v18 offset:28672
	v_cndmask_b32_e64 v26, v64, v63, s[16:17]
	v_cmp_ne_u32_e32 vcc, 0, v0
	s_nop 1
	v_cndmask_b32_e32 v26, 0, v26, vcc
	v_add_u32_e32 v32, v27, v26
	s_waitcnt lgkmcnt(0)
	v_mov_b32_e32 v26, v19
	s_branch .LBB3420_157
.LBB3420_147:
                                        ; implicit-def: $vgpr26
                                        ; implicit-def: $vgpr18
                                        ; implicit-def: $vgpr32
	s_cbranch_execz .LBB3420_157
; %bb.148:
	s_nop 0
	v_mov_b32_dpp v18, v62 row_shr:1 row_mask:0xf bank_mask:0xf
	v_cndmask_b32_e64 v18, v18, 0, s[14:15]
	v_add_u32_e32 v18, v18, v62
	s_nop 1
	v_mov_b32_dpp v19, v18 row_shr:2 row_mask:0xf bank_mask:0xf
	v_cndmask_b32_e64 v19, 0, v19, s[12:13]
	v_add_u32_e32 v18, v18, v19
	;; [unrolled: 4-line block ×4, first 2 shown]
	s_nop 1
	v_mov_b32_dpp v19, v18 row_bcast:15 row_mask:0xf bank_mask:0xf
	v_cndmask_b32_e64 v19, v19, 0, s[6:7]
	v_add_u32_e32 v18, v18, v19
	s_nop 1
	v_mov_b32_dpp v19, v18 row_bcast:31 row_mask:0xf bank_mask:0xf
	v_cndmask_b32_e64 v19, 0, v19, s[18:19]
	v_add_u32_e32 v18, v18, v19
	s_and_saveexec_b64 s[2:3], s[4:5]
	s_cbranch_execz .LBB3420_150
; %bb.149:
	v_lshlrev_b32_e32 v19, 2, v61
	ds_write_b32 v19, v18
.LBB3420_150:
	s_or_b64 exec, exec, s[2:3]
	v_cmp_gt_u32_e32 vcc, 8, v0
	s_waitcnt lgkmcnt(0)
	s_barrier
	s_and_saveexec_b64 s[2:3], vcc
	s_cbranch_execz .LBB3420_152
; %bb.151:
	v_lshlrev_b32_e32 v19, 2, v0
	ds_read_b32 v26, v19
	v_and_b32_e32 v27, 7, v60
	v_cmp_ne_u32_e32 vcc, 0, v27
	s_waitcnt lgkmcnt(0)
	v_mov_b32_dpp v28, v26 row_shr:1 row_mask:0xf bank_mask:0xf
	v_cndmask_b32_e32 v28, 0, v28, vcc
	v_add_u32_e32 v26, v28, v26
	v_cmp_lt_u32_e32 vcc, 1, v27
	s_nop 0
	v_mov_b32_dpp v28, v26 row_shr:2 row_mask:0xf bank_mask:0xf
	v_cndmask_b32_e32 v28, 0, v28, vcc
	v_add_u32_e32 v26, v26, v28
	v_cmp_lt_u32_e32 vcc, 3, v27
	s_nop 0
	v_mov_b32_dpp v28, v26 row_shr:4 row_mask:0xf bank_mask:0xf
	v_cndmask_b32_e32 v27, 0, v28, vcc
	v_add_u32_e32 v26, v26, v27
	ds_write_b32 v19, v26
.LBB3420_152:
	s_or_b64 exec, exec, s[2:3]
	v_cmp_lt_u32_e32 vcc, 63, v0
	v_mov_b32_e32 v19, 0
	v_mov_b32_e32 v26, 0
	s_waitcnt lgkmcnt(0)
	s_barrier
	s_and_saveexec_b64 s[2:3], vcc
	s_cbranch_execz .LBB3420_154
; %bb.153:
	v_lshl_add_u32 v26, v61, 2, -4
	ds_read_b32 v26, v26
.LBB3420_154:
	s_or_b64 exec, exec, s[2:3]
	v_add_u32_e32 v27, -1, v60
	v_and_b32_e32 v28, 64, v60
	v_cmp_lt_i32_e32 vcc, v27, v28
	s_waitcnt lgkmcnt(0)
	v_add_u32_e32 v18, v26, v18
	v_cndmask_b32_e32 v27, v27, v60, vcc
	v_lshlrev_b32_e32 v27, 2, v27
	ds_bpermute_b32 v27, v27, v18
	ds_read_b32 v18, v19 offset:28
	v_cmp_eq_u32_e32 vcc, 0, v0
	s_and_saveexec_b64 s[2:3], vcc
	s_cbranch_execz .LBB3420_156
; %bb.155:
	v_mov_b32_e32 v28, 0
	v_mov_b32_e32 v19, 2
	s_waitcnt lgkmcnt(0)
	global_store_dwordx2 v28, v[18:19], s[34:35] offset:512 sc1
.LBB3420_156:
	s_or_b64 exec, exec, s[2:3]
	v_cmp_eq_u32_e64 s[2:3], 0, v60
	s_waitcnt lgkmcnt(0)
	s_barrier
	v_cndmask_b32_e64 v19, v27, v26, s[2:3]
	v_mov_b32_e32 v26, 0
	v_cndmask_b32_e64 v32, v19, 0, vcc
.LBB3420_157:
	v_add_u32_sdwa v60, v32, v24 dst_sel:DWORD dst_unused:UNUSED_PAD src0_sel:DWORD src1_sel:BYTE_0
	v_add_u32_e32 v1, v18, v1
	v_sub_u32_e32 v32, v32, v26
	v_and_b32_e32 v69, 1, v24
	v_sub_u32_e32 v68, v1, v32
	v_cmp_eq_u32_e32 vcc, 1, v69
	v_lshrrev_b32_e32 v33, 8, v24
	v_add_u32_sdwa v61, v60, v24 dst_sel:DWORD dst_unused:UNUSED_PAD src0_sel:DWORD src1_sel:BYTE_1
	v_cndmask_b32_e32 v32, v68, v32, vcc
	v_lshlrev_b32_e32 v32, 1, v32
	ds_write_b16 v32, v10
	v_sub_u32_e32 v32, v60, v26
	v_sub_u32_e32 v60, v1, v32
	v_and_b32_e32 v33, 1, v33
	v_add_u32_e32 v60, 1, v60
	v_cmp_eq_u32_e32 vcc, 1, v33
	v_mov_b32_e32 v33, 1
	v_and_b32_sdwa v24, v33, v24 dst_sel:DWORD dst_unused:UNUSED_PAD src0_sel:DWORD src1_sel:WORD_1
	v_cndmask_b32_e32 v32, v60, v32, vcc
	v_lshlrev_b32_e32 v32, 1, v32
	ds_write_b16_d16_hi v32, v10
	v_sub_u32_e32 v10, v61, v26
	v_sub_u32_e32 v32, v1, v10
	v_add_u32_e32 v32, 2, v32
	v_cmp_eq_u32_e32 vcc, 1, v24
	v_add_u32_e32 v59, v61, v59
	v_add_u32_e32 v62, v59, v41
	v_cndmask_b32_e32 v10, v32, v10, vcc
	v_lshlrev_b32_e32 v10, 1, v10
	ds_write_b16 v10, v11
	v_sub_u32_e32 v10, v59, v26
	v_sub_u32_e32 v24, v1, v10
	v_and_b32_e32 v32, 1, v41
	v_add_u32_e32 v24, 3, v24
	v_cmp_eq_u32_e32 vcc, 1, v32
	v_add_u32_e32 v56, v62, v56
	v_lshrrev_b32_e32 v31, 8, v25
	v_cndmask_b32_e32 v10, v24, v10, vcc
	v_lshlrev_b32_e32 v10, 1, v10
	ds_write_b16_d16_hi v10, v11
	v_sub_u32_e32 v10, v62, v26
	v_sub_u32_e32 v11, v1, v10
	v_and_b32_e32 v24, 1, v25
	v_add_u32_e32 v11, 4, v11
	v_cmp_eq_u32_e32 vcc, 1, v24
	v_and_b32_e32 v24, 1, v31
	v_add_u32_e32 v57, v56, v57
	v_cndmask_b32_e32 v10, v11, v10, vcc
	v_lshlrev_b32_e32 v10, 1, v10
	ds_write_b16 v10, v12
	v_sub_u32_e32 v10, v56, v26
	v_sub_u32_e32 v11, v1, v10
	v_add_u32_e32 v11, 5, v11
	v_cmp_eq_u32_e32 vcc, 1, v24
	v_add_u32_e32 v58, v57, v58
	v_add_u32_e32 v63, v58, v40
	v_cndmask_b32_e32 v10, v11, v10, vcc
	v_lshlrev_b32_e32 v10, 1, v10
	ds_write_b16_d16_hi v10, v12
	v_sub_u32_e32 v10, v57, v26
	v_sub_u32_e32 v11, v1, v10
	v_and_b32_sdwa v12, v33, v25 dst_sel:DWORD dst_unused:UNUSED_PAD src0_sel:DWORD src1_sel:WORD_1
	v_add_u32_e32 v11, 6, v11
	v_cmp_eq_u32_e32 vcc, 1, v12
	v_and_b32_e32 v12, 1, v40
	v_add_u32_e32 v53, v63, v53
	v_cndmask_b32_e32 v10, v11, v10, vcc
	v_lshlrev_b32_e32 v10, 1, v10
	ds_write_b16 v10, v13
	v_sub_u32_e32 v10, v58, v26
	v_sub_u32_e32 v11, v1, v10
	v_add_u32_e32 v11, 7, v11
	v_cmp_eq_u32_e32 vcc, 1, v12
	v_and_b32_e32 v12, 1, v22
	v_lshrrev_b32_e32 v30, 8, v22
	v_cndmask_b32_e32 v10, v11, v10, vcc
	v_lshlrev_b32_e32 v10, 1, v10
	ds_write_b16_d16_hi v10, v13
	v_sub_u32_e32 v10, v63, v26
	v_sub_u32_e32 v11, v1, v10
	v_add_u32_e32 v11, 8, v11
	v_cmp_eq_u32_e32 vcc, 1, v12
	v_and_b32_e32 v12, 1, v30
	v_add_u32_e32 v54, v53, v54
	v_cndmask_b32_e32 v10, v11, v10, vcc
	v_lshlrev_b32_e32 v10, 1, v10
	ds_write_b16 v10, v6
	v_sub_u32_e32 v10, v53, v26
	v_sub_u32_e32 v11, v1, v10
	v_add_u32_e32 v11, 9, v11
	v_cmp_eq_u32_e32 vcc, 1, v12
	v_add_u32_e32 v55, v54, v55
	v_add_u32_e32 v64, v55, v39
	v_cndmask_b32_e32 v10, v11, v10, vcc
	v_lshlrev_b32_e32 v10, 1, v10
	ds_write_b16_d16_hi v10, v6
	v_sub_u32_e32 v6, v54, v26
	v_sub_u32_e32 v10, v1, v6
	v_and_b32_sdwa v11, v33, v22 dst_sel:DWORD dst_unused:UNUSED_PAD src0_sel:DWORD src1_sel:WORD_1
	v_add_u32_e32 v10, 10, v10
	v_cmp_eq_u32_e32 vcc, 1, v11
	v_and_b32_e32 v11, 1, v39
	v_add_u32_e32 v50, v64, v50
	v_cndmask_b32_e32 v6, v10, v6, vcc
	v_lshlrev_b32_e32 v6, 1, v6
	ds_write_b16 v6, v7
	v_sub_u32_e32 v6, v55, v26
	v_sub_u32_e32 v10, v1, v6
	v_add_u32_e32 v10, 11, v10
	v_cmp_eq_u32_e32 vcc, 1, v11
	v_lshrrev_b32_e32 v29, 8, v23
	v_add_u32_e32 v51, v50, v51
	v_cndmask_b32_e32 v6, v10, v6, vcc
	v_lshlrev_b32_e32 v6, 1, v6
	ds_write_b16_d16_hi v6, v7
	v_sub_u32_e32 v6, v64, v26
	v_sub_u32_e32 v7, v1, v6
	v_and_b32_e32 v10, 1, v23
	v_add_u32_e32 v7, 12, v7
	v_cmp_eq_u32_e32 vcc, 1, v10
	v_and_b32_e32 v10, 1, v29
	v_add_u32_e32 v52, v51, v52
	v_cndmask_b32_e32 v6, v7, v6, vcc
	v_lshlrev_b32_e32 v6, 1, v6
	ds_write_b16 v6, v8
	v_sub_u32_e32 v6, v50, v26
	v_sub_u32_e32 v7, v1, v6
	v_add_u32_e32 v7, 13, v7
	v_cmp_eq_u32_e32 vcc, 1, v10
	v_add_u32_e32 v65, v52, v38
	v_add_u32_e32 v47, v65, v47
	v_cndmask_b32_e32 v6, v7, v6, vcc
	v_lshlrev_b32_e32 v6, 1, v6
	ds_write_b16_d16_hi v6, v8
	v_sub_u32_e32 v6, v51, v26
	v_sub_u32_e32 v7, v1, v6
	v_and_b32_sdwa v8, v33, v23 dst_sel:DWORD dst_unused:UNUSED_PAD src0_sel:DWORD src1_sel:WORD_1
	v_add_u32_e32 v7, 14, v7
	v_cmp_eq_u32_e32 vcc, 1, v8
	v_and_b32_e32 v8, 1, v38
	v_lshrrev_b32_e32 v28, 8, v20
	v_cndmask_b32_e32 v6, v7, v6, vcc
	v_lshlrev_b32_e32 v6, 1, v6
	ds_write_b16 v6, v9
	v_sub_u32_e32 v6, v52, v26
	v_sub_u32_e32 v7, v1, v6
	v_add_u32_e32 v7, 15, v7
	v_cmp_eq_u32_e32 vcc, 1, v8
	v_and_b32_e32 v8, 1, v20
	v_add_u32_e32 v48, v47, v48
	v_cndmask_b32_e32 v6, v7, v6, vcc
	v_lshlrev_b32_e32 v6, 1, v6
	ds_write_b16_d16_hi v6, v9
	v_sub_u32_e32 v6, v65, v26
	v_sub_u32_e32 v7, v1, v6
	v_add_u32_e32 v7, 16, v7
	v_cmp_eq_u32_e32 vcc, 1, v8
	v_and_b32_e32 v8, 1, v28
	v_add_u32_e32 v49, v48, v49
	v_cndmask_b32_e32 v6, v7, v6, vcc
	v_lshlrev_b32_e32 v6, 1, v6
	ds_write_b16 v6, v2
	v_sub_u32_e32 v6, v47, v26
	v_sub_u32_e32 v7, v1, v6
	v_add_u32_e32 v7, 17, v7
	v_cmp_eq_u32_e32 vcc, 1, v8
	v_add_u32_e32 v66, v49, v37
	v_add_u32_e32 v44, v66, v44
	v_cndmask_b32_e32 v6, v7, v6, vcc
	v_lshlrev_b32_e32 v6, 1, v6
	ds_write_b16_d16_hi v6, v2
	v_sub_u32_e32 v2, v48, v26
	v_sub_u32_e32 v6, v1, v2
	v_and_b32_sdwa v7, v33, v20 dst_sel:DWORD dst_unused:UNUSED_PAD src0_sel:DWORD src1_sel:WORD_1
	v_add_u32_e32 v6, 18, v6
	v_cmp_eq_u32_e32 vcc, 1, v7
	v_and_b32_e32 v7, 1, v37
	v_lshrrev_b32_e32 v27, 8, v21
	v_cndmask_b32_e32 v2, v6, v2, vcc
	v_lshlrev_b32_e32 v2, 1, v2
	ds_write_b16 v2, v3
	v_sub_u32_e32 v2, v49, v26
	v_sub_u32_e32 v6, v1, v2
	v_add_u32_e32 v6, 19, v6
	v_cmp_eq_u32_e32 vcc, 1, v7
	v_add_u32_e32 v45, v44, v45
	v_add_u32_e32 v46, v45, v46
	v_cndmask_b32_e32 v2, v6, v2, vcc
	v_lshlrev_b32_e32 v2, 1, v2
	ds_write_b16_d16_hi v2, v3
	v_sub_u32_e32 v2, v66, v26
	v_sub_u32_e32 v3, v1, v2
	v_and_b32_e32 v6, 1, v21
	v_add_u32_e32 v3, 20, v3
	v_cmp_eq_u32_e32 vcc, 1, v6
	v_and_b32_e32 v6, 1, v27
	v_add_u32_e32 v67, v46, v36
	v_cndmask_b32_e32 v2, v3, v2, vcc
	v_lshlrev_b32_e32 v2, 1, v2
	ds_write_b16 v2, v4
	v_sub_u32_e32 v2, v44, v26
	v_sub_u32_e32 v3, v1, v2
	v_add_u32_e32 v3, 21, v3
	v_cmp_eq_u32_e32 vcc, 1, v6
	v_add_u32_e32 v42, v67, v42
	v_lshrrev_b32_e32 v19, 8, v34
	v_cndmask_b32_e32 v2, v3, v2, vcc
	v_lshlrev_b32_e32 v2, 1, v2
	ds_write_b16_d16_hi v2, v4
	v_sub_u32_e32 v2, v45, v26
	v_sub_u32_e32 v3, v1, v2
	v_and_b32_sdwa v4, v33, v21 dst_sel:DWORD dst_unused:UNUSED_PAD src0_sel:DWORD src1_sel:WORD_1
	v_add_u32_e32 v3, 22, v3
	v_cmp_eq_u32_e32 vcc, 1, v4
	v_and_b32_e32 v4, 1, v36
	v_add_u32_e32 v43, v42, v43
	v_cndmask_b32_e32 v2, v3, v2, vcc
	v_lshlrev_b32_e32 v2, 1, v2
	ds_write_b16 v2, v5
	v_sub_u32_e32 v2, v46, v26
	v_sub_u32_e32 v3, v1, v2
	v_add_u32_e32 v3, 23, v3
	v_cmp_eq_u32_e32 vcc, 1, v4
	v_and_b32_e32 v4, 1, v34
	v_mov_b32_e32 v27, 0
	v_cndmask_b32_e32 v2, v3, v2, vcc
	v_lshlrev_b32_e32 v2, 1, v2
	ds_write_b16_d16_hi v2, v5
	v_sub_u32_e32 v2, v67, v26
	v_sub_u32_e32 v3, v1, v2
	v_add_u32_e32 v3, 24, v3
	v_cmp_eq_u32_e32 vcc, 1, v4
	v_and_b32_e32 v4, 1, v19
	v_mov_b32_e32 v19, v27
	v_cndmask_b32_e32 v2, v3, v2, vcc
	v_lshlrev_b32_e32 v2, 1, v2
	ds_write_b16 v2, v16
	v_sub_u32_e32 v2, v42, v26
	v_sub_u32_e32 v3, v1, v2
	v_add_u32_e32 v3, 25, v3
	v_cmp_eq_u32_e32 vcc, 1, v4
	v_and_b32_sdwa v4, v33, v34 dst_sel:DWORD dst_unused:UNUSED_PAD src0_sel:DWORD src1_sel:WORD_1
	s_load_dwordx2 s[0:1], s[0:1], 0x40
	v_cndmask_b32_e32 v2, v3, v2, vcc
	v_lshlrev_b32_e32 v2, 1, v2
	ds_write_b16_d16_hi v2, v16
	v_sub_u32_e32 v2, v43, v26
	v_sub_u32_e32 v3, v1, v2
	v_add_u32_e32 v3, 26, v3
	v_cmp_eq_u32_e32 vcc, 1, v4
	v_mov_b32_e32 v5, s27
	v_or_b32_e32 v62, 0x200, v0
	v_cndmask_b32_e32 v2, v3, v2, vcc
	v_lshlrev_b32_e32 v2, 1, v2
	ds_write_b16 v2, v17
	v_sub_u32_e32 v2, v35, v26
	v_add_u32_e32 v2, v43, v2
	v_sub_u32_e32 v1, v1, v2
	v_and_b32_e32 v3, 1, v15
	v_add_u32_e32 v1, 27, v1
	v_cmp_eq_u32_e32 vcc, 1, v3
	v_or_b32_e32 v60, 0x400, v0
	v_or_b32_e32 v58, 0x600, v0
	v_cndmask_b32_e32 v1, v1, v2, vcc
	v_lshlrev_b32_e32 v1, 1, v1
	ds_write_b16_d16_hi v1, v17
	s_waitcnt lgkmcnt(0)
	s_barrier
	ds_read_u16 v64, v14
	ds_read_u16 v63, v14 offset:1024
	ds_read_u16 v61, v14 offset:2048
	;; [unrolled: 1-line block ×27, first 2 shown]
	v_lshl_add_u64 v[2:3], s[24:25], 0, v[18:19]
	v_lshl_add_u64 v[2:3], v[2:3], 0, v[26:27]
	v_sub_co_u32_e32 v4, vcc, s26, v2
	v_or_b32_e32 v56, 0x800, v0
	s_nop 0
	v_subb_co_u32_e32 v5, vcc, v5, v3, vcc
	v_lshlrev_b64 v[4:5], 1, v[4:5]
	v_lshl_add_u64 v[4:5], s[0:1], 0, v[4:5]
	v_or_b32_e32 v54, 0xa00, v0
	v_or_b32_e32 v52, 0xc00, v0
	v_or_b32_e32 v49, 0xe00, v0
	v_or_b32_e32 v48, 0x1000, v0
	v_or_b32_e32 v46, 0x1200, v0
	v_or_b32_e32 v44, 0x1400, v0
	v_or_b32_e32 v42, 0x1600, v0
	v_or_b32_e32 v40, 0x1800, v0
	v_or_b32_e32 v38, 0x1a00, v0
	v_or_b32_e32 v36, 0x1c00, v0
	v_or_b32_e32 v33, 0x1e00, v0
	v_or_b32_e32 v32, 0x2000, v0
	v_or_b32_e32 v30, 0x2200, v0
	v_or_b32_e32 v28, 0x2400, v0
	v_or_b32_e32 v24, 0x2600, v0
	v_or_b32_e32 v22, 0x2800, v0
	v_or_b32_e32 v20, 0x2a00, v0
	v_or_b32_e32 v16, 0x2c00, v0
	v_or_b32_e32 v13, 0x2e00, v0
	v_or_b32_e32 v11, 0x3000, v0
	v_or_b32_e32 v9, 0x3200, v0
	v_or_b32_e32 v8, 0x3400, v0
	v_or_b32_e32 v6, 0x3600, v0
	v_lshl_add_u64 v[4:5], v[4:5], 0, s[30:31]
	s_andn2_b64 vcc, exec, s[28:29]
	v_cmp_ge_u32_e64 s[0:1], v0, v18
	s_cbranch_vccnz .LBB3420_187
; %bb.158:
	s_and_saveexec_b64 s[2:3], s[0:1]
	s_cbranch_execnz .LBB3420_248
; %bb.159:
	s_or_b64 exec, exec, s[2:3]
	v_cmp_ge_u32_e32 vcc, v62, v18
	s_and_saveexec_b64 s[0:1], vcc
	s_cbranch_execnz .LBB3420_249
.LBB3420_160:
	s_or_b64 exec, exec, s[0:1]
	v_cmp_ge_u32_e32 vcc, v60, v18
	s_and_saveexec_b64 s[0:1], vcc
	s_cbranch_execnz .LBB3420_250
.LBB3420_161:
	s_or_b64 exec, exec, s[0:1]
	v_cmp_ge_u32_e32 vcc, v58, v18
	s_and_saveexec_b64 s[0:1], vcc
	s_cbranch_execnz .LBB3420_251
.LBB3420_162:
	s_or_b64 exec, exec, s[0:1]
	v_cmp_ge_u32_e32 vcc, v56, v18
	s_and_saveexec_b64 s[0:1], vcc
	s_cbranch_execnz .LBB3420_252
.LBB3420_163:
	s_or_b64 exec, exec, s[0:1]
	v_cmp_ge_u32_e32 vcc, v54, v18
	s_and_saveexec_b64 s[0:1], vcc
	s_cbranch_execnz .LBB3420_253
.LBB3420_164:
	s_or_b64 exec, exec, s[0:1]
	v_cmp_ge_u32_e32 vcc, v52, v18
	s_and_saveexec_b64 s[0:1], vcc
	s_cbranch_execnz .LBB3420_254
.LBB3420_165:
	s_or_b64 exec, exec, s[0:1]
	v_cmp_ge_u32_e32 vcc, v49, v18
	s_and_saveexec_b64 s[0:1], vcc
	s_cbranch_execnz .LBB3420_255
.LBB3420_166:
	s_or_b64 exec, exec, s[0:1]
	v_cmp_ge_u32_e32 vcc, v48, v18
	s_and_saveexec_b64 s[0:1], vcc
	s_cbranch_execnz .LBB3420_256
.LBB3420_167:
	s_or_b64 exec, exec, s[0:1]
	v_cmp_ge_u32_e32 vcc, v46, v18
	s_and_saveexec_b64 s[0:1], vcc
	s_cbranch_execnz .LBB3420_257
.LBB3420_168:
	s_or_b64 exec, exec, s[0:1]
	v_cmp_ge_u32_e32 vcc, v44, v18
	s_and_saveexec_b64 s[0:1], vcc
	s_cbranch_execnz .LBB3420_258
.LBB3420_169:
	s_or_b64 exec, exec, s[0:1]
	v_cmp_ge_u32_e32 vcc, v42, v18
	s_and_saveexec_b64 s[0:1], vcc
	s_cbranch_execnz .LBB3420_259
.LBB3420_170:
	s_or_b64 exec, exec, s[0:1]
	v_cmp_ge_u32_e32 vcc, v40, v18
	s_and_saveexec_b64 s[0:1], vcc
	s_cbranch_execnz .LBB3420_260
.LBB3420_171:
	s_or_b64 exec, exec, s[0:1]
	v_cmp_ge_u32_e32 vcc, v38, v18
	s_and_saveexec_b64 s[0:1], vcc
	s_cbranch_execnz .LBB3420_261
.LBB3420_172:
	s_or_b64 exec, exec, s[0:1]
	v_cmp_ge_u32_e32 vcc, v36, v18
	s_and_saveexec_b64 s[0:1], vcc
	s_cbranch_execnz .LBB3420_262
.LBB3420_173:
	s_or_b64 exec, exec, s[0:1]
	v_cmp_ge_u32_e32 vcc, v33, v18
	s_and_saveexec_b64 s[0:1], vcc
	s_cbranch_execnz .LBB3420_263
.LBB3420_174:
	s_or_b64 exec, exec, s[0:1]
	v_cmp_ge_u32_e32 vcc, v32, v18
	s_and_saveexec_b64 s[0:1], vcc
	s_cbranch_execnz .LBB3420_264
.LBB3420_175:
	s_or_b64 exec, exec, s[0:1]
	v_cmp_ge_u32_e32 vcc, v30, v18
	s_and_saveexec_b64 s[0:1], vcc
	s_cbranch_execnz .LBB3420_265
.LBB3420_176:
	s_or_b64 exec, exec, s[0:1]
	v_cmp_ge_u32_e32 vcc, v28, v18
	s_and_saveexec_b64 s[0:1], vcc
	s_cbranch_execnz .LBB3420_266
.LBB3420_177:
	s_or_b64 exec, exec, s[0:1]
	v_cmp_ge_u32_e32 vcc, v24, v18
	s_and_saveexec_b64 s[0:1], vcc
	s_cbranch_execnz .LBB3420_267
.LBB3420_178:
	s_or_b64 exec, exec, s[0:1]
	v_cmp_ge_u32_e32 vcc, v22, v18
	s_and_saveexec_b64 s[0:1], vcc
	s_cbranch_execnz .LBB3420_268
.LBB3420_179:
	s_or_b64 exec, exec, s[0:1]
	v_cmp_ge_u32_e32 vcc, v20, v18
	s_and_saveexec_b64 s[0:1], vcc
	s_cbranch_execnz .LBB3420_269
.LBB3420_180:
	s_or_b64 exec, exec, s[0:1]
	v_cmp_ge_u32_e32 vcc, v16, v18
	s_and_saveexec_b64 s[0:1], vcc
	s_cbranch_execnz .LBB3420_270
.LBB3420_181:
	s_or_b64 exec, exec, s[0:1]
	v_cmp_ge_u32_e32 vcc, v13, v18
	s_and_saveexec_b64 s[0:1], vcc
	s_cbranch_execnz .LBB3420_271
.LBB3420_182:
	s_or_b64 exec, exec, s[0:1]
	v_cmp_ge_u32_e32 vcc, v11, v18
	s_and_saveexec_b64 s[0:1], vcc
	s_cbranch_execnz .LBB3420_272
.LBB3420_183:
	s_or_b64 exec, exec, s[0:1]
	v_cmp_ge_u32_e32 vcc, v9, v18
	s_and_saveexec_b64 s[0:1], vcc
	s_cbranch_execnz .LBB3420_273
.LBB3420_184:
	s_or_b64 exec, exec, s[0:1]
	v_cmp_ge_u32_e32 vcc, v8, v18
	s_and_saveexec_b64 s[0:1], vcc
	s_cbranch_execz .LBB3420_186
.LBB3420_185:
	v_lshlrev_b32_e32 v19, 1, v8
	v_readfirstlane_b32 s2, v4
	v_readfirstlane_b32 s3, v5
	s_waitcnt lgkmcnt(1)
	s_nop 3
	global_store_short v19, v7, s[2:3]
.LBB3420_186:
	s_or_b64 exec, exec, s[0:1]
	v_cmp_ge_u32_e64 s[0:1], v6, v18
	s_branch .LBB3420_243
.LBB3420_187:
	s_mov_b64 s[0:1], 0
	s_cbranch_execz .LBB3420_243
; %bb.188:
	v_cmp_gt_u32_e32 vcc, s33, v0
	v_cmp_ge_u32_e64 s[0:1], v0, v18
	s_and_b64 s[2:3], vcc, s[0:1]
	s_and_saveexec_b64 s[0:1], s[2:3]
	s_cbranch_execz .LBB3420_190
; %bb.189:
	v_readfirstlane_b32 s2, v4
	v_readfirstlane_b32 s3, v5
	s_waitcnt lgkmcnt(14)
	s_nop 3
	global_store_short v14, v64, s[2:3]
.LBB3420_190:
	s_or_b64 exec, exec, s[0:1]
	v_cmp_gt_u32_e32 vcc, s33, v62
	v_cmp_ge_u32_e64 s[0:1], v62, v18
	s_and_b64 s[2:3], vcc, s[0:1]
	s_and_saveexec_b64 s[0:1], s[2:3]
	s_cbranch_execz .LBB3420_192
; %bb.191:
	v_readfirstlane_b32 s2, v4
	v_readfirstlane_b32 s3, v5
	s_waitcnt lgkmcnt(14)
	s_nop 3
	global_store_short v14, v63, s[2:3] offset:1024
.LBB3420_192:
	s_or_b64 exec, exec, s[0:1]
	v_cmp_gt_u32_e32 vcc, s33, v60
	v_cmp_ge_u32_e64 s[0:1], v60, v18
	s_and_b64 s[2:3], vcc, s[0:1]
	s_and_saveexec_b64 s[0:1], s[2:3]
	s_cbranch_execz .LBB3420_194
; %bb.193:
	v_readfirstlane_b32 s2, v4
	v_readfirstlane_b32 s3, v5
	s_waitcnt lgkmcnt(14)
	s_nop 3
	global_store_short v14, v61, s[2:3] offset:2048
.LBB3420_194:
	;; [unrolled: 13-line block ×3, first 2 shown]
	s_or_b64 exec, exec, s[0:1]
	v_cmp_gt_u32_e32 vcc, s33, v56
	v_cmp_ge_u32_e64 s[0:1], v56, v18
	s_and_b64 s[2:3], vcc, s[0:1]
	s_and_saveexec_b64 s[0:1], s[2:3]
	s_cbranch_execz .LBB3420_198
; %bb.197:
	v_lshlrev_b32_e32 v14, 1, v56
	v_readfirstlane_b32 s2, v4
	v_readfirstlane_b32 s3, v5
	s_waitcnt lgkmcnt(14)
	s_nop 3
	global_store_short v14, v57, s[2:3]
.LBB3420_198:
	s_or_b64 exec, exec, s[0:1]
	v_cmp_gt_u32_e32 vcc, s33, v54
	v_cmp_ge_u32_e64 s[0:1], v54, v18
	s_and_b64 s[2:3], vcc, s[0:1]
	s_and_saveexec_b64 s[0:1], s[2:3]
	s_cbranch_execz .LBB3420_200
; %bb.199:
	v_lshlrev_b32_e32 v14, 1, v54
	v_readfirstlane_b32 s2, v4
	v_readfirstlane_b32 s3, v5
	s_waitcnt lgkmcnt(14)
	s_nop 3
	global_store_short v14, v55, s[2:3]
.LBB3420_200:
	;; [unrolled: 14-line block ×23, first 2 shown]
	s_or_b64 exec, exec, s[0:1]
	v_cmp_gt_u32_e32 vcc, s33, v6
	v_cmp_ge_u32_e64 s[0:1], v6, v18
	s_and_b64 s[0:1], vcc, s[0:1]
.LBB3420_243:
	s_and_saveexec_b64 s[2:3], s[0:1]
	s_cbranch_execz .LBB3420_245
; %bb.244:
	v_lshlrev_b32_e32 v6, 1, v6
	v_readfirstlane_b32 s0, v4
	v_readfirstlane_b32 s1, v5
	s_waitcnt lgkmcnt(0)
	s_nop 3
	global_store_short v6, v1, s[0:1]
.LBB3420_245:
	s_or_b64 exec, exec, s[2:3]
	v_cmp_eq_u32_e32 vcc, 0, v0
	s_and_b64 s[0:1], vcc, s[22:23]
	s_and_saveexec_b64 s[2:3], s[0:1]
	s_cbranch_execz .LBB3420_247
; %bb.246:
	v_mov_b32_e32 v0, 0
	global_store_dwordx2 v0, v[2:3], s[20:21]
.LBB3420_247:
	s_endpgm
.LBB3420_248:
	v_readfirstlane_b32 s0, v4
	v_readfirstlane_b32 s1, v5
	s_waitcnt lgkmcnt(14)
	s_nop 3
	global_store_short v14, v64, s[0:1]
	s_or_b64 exec, exec, s[2:3]
	v_cmp_ge_u32_e32 vcc, v62, v18
	s_and_saveexec_b64 s[0:1], vcc
	s_cbranch_execz .LBB3420_160
.LBB3420_249:
	v_readfirstlane_b32 s2, v4
	v_readfirstlane_b32 s3, v5
	s_waitcnt lgkmcnt(14)
	s_nop 3
	global_store_short v14, v63, s[2:3] offset:1024
	s_or_b64 exec, exec, s[0:1]
	v_cmp_ge_u32_e32 vcc, v60, v18
	s_and_saveexec_b64 s[0:1], vcc
	s_cbranch_execz .LBB3420_161
.LBB3420_250:
	v_readfirstlane_b32 s2, v4
	v_readfirstlane_b32 s3, v5
	s_waitcnt lgkmcnt(14)
	s_nop 3
	global_store_short v14, v61, s[2:3] offset:2048
	s_or_b64 exec, exec, s[0:1]
	v_cmp_ge_u32_e32 vcc, v58, v18
	s_and_saveexec_b64 s[0:1], vcc
	s_cbranch_execz .LBB3420_162
.LBB3420_251:
	v_readfirstlane_b32 s2, v4
	v_readfirstlane_b32 s3, v5
	s_waitcnt lgkmcnt(14)
	s_nop 3
	global_store_short v14, v59, s[2:3] offset:3072
	s_or_b64 exec, exec, s[0:1]
	v_cmp_ge_u32_e32 vcc, v56, v18
	s_and_saveexec_b64 s[0:1], vcc
	s_cbranch_execz .LBB3420_163
.LBB3420_252:
	v_lshlrev_b32_e32 v19, 1, v56
	v_readfirstlane_b32 s2, v4
	v_readfirstlane_b32 s3, v5
	s_waitcnt lgkmcnt(14)
	s_nop 3
	global_store_short v19, v57, s[2:3]
	s_or_b64 exec, exec, s[0:1]
	v_cmp_ge_u32_e32 vcc, v54, v18
	s_and_saveexec_b64 s[0:1], vcc
	s_cbranch_execz .LBB3420_164
.LBB3420_253:
	v_lshlrev_b32_e32 v19, 1, v54
	v_readfirstlane_b32 s2, v4
	v_readfirstlane_b32 s3, v5
	s_waitcnt lgkmcnt(14)
	s_nop 3
	global_store_short v19, v55, s[2:3]
	s_or_b64 exec, exec, s[0:1]
	v_cmp_ge_u32_e32 vcc, v52, v18
	s_and_saveexec_b64 s[0:1], vcc
	s_cbranch_execz .LBB3420_165
.LBB3420_254:
	v_lshlrev_b32_e32 v19, 1, v52
	v_readfirstlane_b32 s2, v4
	v_readfirstlane_b32 s3, v5
	s_waitcnt lgkmcnt(14)
	s_nop 3
	global_store_short v19, v53, s[2:3]
	s_or_b64 exec, exec, s[0:1]
	v_cmp_ge_u32_e32 vcc, v49, v18
	s_and_saveexec_b64 s[0:1], vcc
	s_cbranch_execz .LBB3420_166
.LBB3420_255:
	v_lshlrev_b32_e32 v19, 1, v49
	v_readfirstlane_b32 s2, v4
	v_readfirstlane_b32 s3, v5
	s_waitcnt lgkmcnt(14)
	s_nop 3
	global_store_short v19, v51, s[2:3]
	s_or_b64 exec, exec, s[0:1]
	v_cmp_ge_u32_e32 vcc, v48, v18
	s_and_saveexec_b64 s[0:1], vcc
	s_cbranch_execz .LBB3420_167
.LBB3420_256:
	v_lshlrev_b32_e32 v19, 1, v48
	v_readfirstlane_b32 s2, v4
	v_readfirstlane_b32 s3, v5
	s_waitcnt lgkmcnt(14)
	s_nop 3
	global_store_short v19, v50, s[2:3]
	s_or_b64 exec, exec, s[0:1]
	v_cmp_ge_u32_e32 vcc, v46, v18
	s_and_saveexec_b64 s[0:1], vcc
	s_cbranch_execz .LBB3420_168
.LBB3420_257:
	v_lshlrev_b32_e32 v19, 1, v46
	v_readfirstlane_b32 s2, v4
	v_readfirstlane_b32 s3, v5
	s_waitcnt lgkmcnt(14)
	s_nop 3
	global_store_short v19, v47, s[2:3]
	s_or_b64 exec, exec, s[0:1]
	v_cmp_ge_u32_e32 vcc, v44, v18
	s_and_saveexec_b64 s[0:1], vcc
	s_cbranch_execz .LBB3420_169
.LBB3420_258:
	v_lshlrev_b32_e32 v19, 1, v44
	v_readfirstlane_b32 s2, v4
	v_readfirstlane_b32 s3, v5
	s_waitcnt lgkmcnt(14)
	s_nop 3
	global_store_short v19, v45, s[2:3]
	s_or_b64 exec, exec, s[0:1]
	v_cmp_ge_u32_e32 vcc, v42, v18
	s_and_saveexec_b64 s[0:1], vcc
	s_cbranch_execz .LBB3420_170
.LBB3420_259:
	v_lshlrev_b32_e32 v19, 1, v42
	v_readfirstlane_b32 s2, v4
	v_readfirstlane_b32 s3, v5
	s_waitcnt lgkmcnt(14)
	s_nop 3
	global_store_short v19, v43, s[2:3]
	s_or_b64 exec, exec, s[0:1]
	v_cmp_ge_u32_e32 vcc, v40, v18
	s_and_saveexec_b64 s[0:1], vcc
	s_cbranch_execz .LBB3420_171
.LBB3420_260:
	v_lshlrev_b32_e32 v19, 1, v40
	v_readfirstlane_b32 s2, v4
	v_readfirstlane_b32 s3, v5
	s_waitcnt lgkmcnt(14)
	s_nop 3
	global_store_short v19, v41, s[2:3]
	s_or_b64 exec, exec, s[0:1]
	v_cmp_ge_u32_e32 vcc, v38, v18
	s_and_saveexec_b64 s[0:1], vcc
	s_cbranch_execz .LBB3420_172
.LBB3420_261:
	v_lshlrev_b32_e32 v19, 1, v38
	v_readfirstlane_b32 s2, v4
	v_readfirstlane_b32 s3, v5
	s_waitcnt lgkmcnt(14)
	s_nop 3
	global_store_short v19, v39, s[2:3]
	s_or_b64 exec, exec, s[0:1]
	v_cmp_ge_u32_e32 vcc, v36, v18
	s_and_saveexec_b64 s[0:1], vcc
	s_cbranch_execz .LBB3420_173
.LBB3420_262:
	v_lshlrev_b32_e32 v19, 1, v36
	v_readfirstlane_b32 s2, v4
	v_readfirstlane_b32 s3, v5
	s_waitcnt lgkmcnt(13)
	s_nop 3
	global_store_short v19, v37, s[2:3]
	s_or_b64 exec, exec, s[0:1]
	v_cmp_ge_u32_e32 vcc, v33, v18
	s_and_saveexec_b64 s[0:1], vcc
	s_cbranch_execz .LBB3420_174
.LBB3420_263:
	v_lshlrev_b32_e32 v19, 1, v33
	v_readfirstlane_b32 s2, v4
	v_readfirstlane_b32 s3, v5
	s_waitcnt lgkmcnt(12)
	s_nop 3
	global_store_short v19, v35, s[2:3]
	s_or_b64 exec, exec, s[0:1]
	v_cmp_ge_u32_e32 vcc, v32, v18
	s_and_saveexec_b64 s[0:1], vcc
	s_cbranch_execz .LBB3420_175
.LBB3420_264:
	v_lshlrev_b32_e32 v19, 1, v32
	v_readfirstlane_b32 s2, v4
	v_readfirstlane_b32 s3, v5
	s_waitcnt lgkmcnt(11)
	s_nop 3
	global_store_short v19, v34, s[2:3]
	s_or_b64 exec, exec, s[0:1]
	v_cmp_ge_u32_e32 vcc, v30, v18
	s_and_saveexec_b64 s[0:1], vcc
	s_cbranch_execz .LBB3420_176
.LBB3420_265:
	v_lshlrev_b32_e32 v19, 1, v30
	v_readfirstlane_b32 s2, v4
	v_readfirstlane_b32 s3, v5
	s_waitcnt lgkmcnt(10)
	s_nop 3
	global_store_short v19, v31, s[2:3]
	s_or_b64 exec, exec, s[0:1]
	v_cmp_ge_u32_e32 vcc, v28, v18
	s_and_saveexec_b64 s[0:1], vcc
	s_cbranch_execz .LBB3420_177
.LBB3420_266:
	v_lshlrev_b32_e32 v19, 1, v28
	v_readfirstlane_b32 s2, v4
	v_readfirstlane_b32 s3, v5
	s_waitcnt lgkmcnt(9)
	s_nop 3
	global_store_short v19, v29, s[2:3]
	s_or_b64 exec, exec, s[0:1]
	v_cmp_ge_u32_e32 vcc, v24, v18
	s_and_saveexec_b64 s[0:1], vcc
	s_cbranch_execz .LBB3420_178
.LBB3420_267:
	v_lshlrev_b32_e32 v19, 1, v24
	v_readfirstlane_b32 s2, v4
	v_readfirstlane_b32 s3, v5
	s_waitcnt lgkmcnt(8)
	s_nop 3
	global_store_short v19, v25, s[2:3]
	s_or_b64 exec, exec, s[0:1]
	v_cmp_ge_u32_e32 vcc, v22, v18
	s_and_saveexec_b64 s[0:1], vcc
	s_cbranch_execz .LBB3420_179
.LBB3420_268:
	v_lshlrev_b32_e32 v19, 1, v22
	v_readfirstlane_b32 s2, v4
	v_readfirstlane_b32 s3, v5
	s_waitcnt lgkmcnt(7)
	s_nop 3
	global_store_short v19, v23, s[2:3]
	s_or_b64 exec, exec, s[0:1]
	v_cmp_ge_u32_e32 vcc, v20, v18
	s_and_saveexec_b64 s[0:1], vcc
	s_cbranch_execz .LBB3420_180
.LBB3420_269:
	v_lshlrev_b32_e32 v19, 1, v20
	v_readfirstlane_b32 s2, v4
	v_readfirstlane_b32 s3, v5
	s_waitcnt lgkmcnt(6)
	s_nop 3
	global_store_short v19, v21, s[2:3]
	s_or_b64 exec, exec, s[0:1]
	v_cmp_ge_u32_e32 vcc, v16, v18
	s_and_saveexec_b64 s[0:1], vcc
	s_cbranch_execz .LBB3420_181
.LBB3420_270:
	v_lshlrev_b32_e32 v19, 1, v16
	v_readfirstlane_b32 s2, v4
	v_readfirstlane_b32 s3, v5
	s_waitcnt lgkmcnt(5)
	s_nop 3
	global_store_short v19, v17, s[2:3]
	s_or_b64 exec, exec, s[0:1]
	v_cmp_ge_u32_e32 vcc, v13, v18
	s_and_saveexec_b64 s[0:1], vcc
	s_cbranch_execz .LBB3420_182
.LBB3420_271:
	v_lshlrev_b32_e32 v19, 1, v13
	v_readfirstlane_b32 s2, v4
	v_readfirstlane_b32 s3, v5
	s_waitcnt lgkmcnt(4)
	s_nop 3
	global_store_short v19, v15, s[2:3]
	s_or_b64 exec, exec, s[0:1]
	v_cmp_ge_u32_e32 vcc, v11, v18
	s_and_saveexec_b64 s[0:1], vcc
	s_cbranch_execz .LBB3420_183
.LBB3420_272:
	v_lshlrev_b32_e32 v19, 1, v11
	v_readfirstlane_b32 s2, v4
	v_readfirstlane_b32 s3, v5
	s_waitcnt lgkmcnt(3)
	s_nop 3
	global_store_short v19, v12, s[2:3]
	s_or_b64 exec, exec, s[0:1]
	v_cmp_ge_u32_e32 vcc, v9, v18
	s_and_saveexec_b64 s[0:1], vcc
	s_cbranch_execz .LBB3420_184
.LBB3420_273:
	v_lshlrev_b32_e32 v19, 1, v9
	v_readfirstlane_b32 s2, v4
	v_readfirstlane_b32 s3, v5
	s_waitcnt lgkmcnt(2)
	s_nop 3
	global_store_short v19, v10, s[2:3]
	s_or_b64 exec, exec, s[0:1]
	v_cmp_ge_u32_e32 vcc, v8, v18
	s_and_saveexec_b64 s[0:1], vcc
	s_cbranch_execnz .LBB3420_185
	s_branch .LBB3420_186
	.section	.rodata,"a",@progbits
	.p2align	6, 0x0
	.amdhsa_kernel _ZN7rocprim17ROCPRIM_400000_NS6detail17trampoline_kernelINS0_14default_configENS1_25partition_config_selectorILNS1_17partition_subalgoE1EsNS0_10empty_typeEbEEZZNS1_14partition_implILS5_1ELb0ES3_jN6thrust23THRUST_200600_302600_NS6detail15normal_iteratorINSA_10device_ptrIsEEEEPS6_NSA_18transform_iteratorI7is_evenIsESF_NSA_11use_defaultESK_EENS0_5tupleIJNSA_16discard_iteratorISK_EESF_EEENSM_IJSG_SG_EEES6_PlJS6_EEE10hipError_tPvRmT3_T4_T5_T6_T7_T9_mT8_P12ihipStream_tbDpT10_ENKUlT_T0_E_clISt17integral_constantIbLb0EES1B_EEDaS16_S17_EUlS16_E_NS1_11comp_targetILNS1_3genE5ELNS1_11target_archE942ELNS1_3gpuE9ELNS1_3repE0EEENS1_30default_config_static_selectorELNS0_4arch9wavefront6targetE1EEEvT1_
		.amdhsa_group_segment_fixed_size 28680
		.amdhsa_private_segment_fixed_size 0
		.amdhsa_kernarg_size 136
		.amdhsa_user_sgpr_count 2
		.amdhsa_user_sgpr_dispatch_ptr 0
		.amdhsa_user_sgpr_queue_ptr 0
		.amdhsa_user_sgpr_kernarg_segment_ptr 1
		.amdhsa_user_sgpr_dispatch_id 0
		.amdhsa_user_sgpr_kernarg_preload_length 0
		.amdhsa_user_sgpr_kernarg_preload_offset 0
		.amdhsa_user_sgpr_private_segment_size 0
		.amdhsa_uses_dynamic_stack 0
		.amdhsa_enable_private_segment 0
		.amdhsa_system_sgpr_workgroup_id_x 1
		.amdhsa_system_sgpr_workgroup_id_y 0
		.amdhsa_system_sgpr_workgroup_id_z 0
		.amdhsa_system_sgpr_workgroup_info 0
		.amdhsa_system_vgpr_workitem_id 0
		.amdhsa_next_free_vgpr 79
		.amdhsa_next_free_sgpr 44
		.amdhsa_accum_offset 80
		.amdhsa_reserve_vcc 1
		.amdhsa_float_round_mode_32 0
		.amdhsa_float_round_mode_16_64 0
		.amdhsa_float_denorm_mode_32 3
		.amdhsa_float_denorm_mode_16_64 3
		.amdhsa_dx10_clamp 1
		.amdhsa_ieee_mode 1
		.amdhsa_fp16_overflow 0
		.amdhsa_tg_split 0
		.amdhsa_exception_fp_ieee_invalid_op 0
		.amdhsa_exception_fp_denorm_src 0
		.amdhsa_exception_fp_ieee_div_zero 0
		.amdhsa_exception_fp_ieee_overflow 0
		.amdhsa_exception_fp_ieee_underflow 0
		.amdhsa_exception_fp_ieee_inexact 0
		.amdhsa_exception_int_div_zero 0
	.end_amdhsa_kernel
	.section	.text._ZN7rocprim17ROCPRIM_400000_NS6detail17trampoline_kernelINS0_14default_configENS1_25partition_config_selectorILNS1_17partition_subalgoE1EsNS0_10empty_typeEbEEZZNS1_14partition_implILS5_1ELb0ES3_jN6thrust23THRUST_200600_302600_NS6detail15normal_iteratorINSA_10device_ptrIsEEEEPS6_NSA_18transform_iteratorI7is_evenIsESF_NSA_11use_defaultESK_EENS0_5tupleIJNSA_16discard_iteratorISK_EESF_EEENSM_IJSG_SG_EEES6_PlJS6_EEE10hipError_tPvRmT3_T4_T5_T6_T7_T9_mT8_P12ihipStream_tbDpT10_ENKUlT_T0_E_clISt17integral_constantIbLb0EES1B_EEDaS16_S17_EUlS16_E_NS1_11comp_targetILNS1_3genE5ELNS1_11target_archE942ELNS1_3gpuE9ELNS1_3repE0EEENS1_30default_config_static_selectorELNS0_4arch9wavefront6targetE1EEEvT1_,"axG",@progbits,_ZN7rocprim17ROCPRIM_400000_NS6detail17trampoline_kernelINS0_14default_configENS1_25partition_config_selectorILNS1_17partition_subalgoE1EsNS0_10empty_typeEbEEZZNS1_14partition_implILS5_1ELb0ES3_jN6thrust23THRUST_200600_302600_NS6detail15normal_iteratorINSA_10device_ptrIsEEEEPS6_NSA_18transform_iteratorI7is_evenIsESF_NSA_11use_defaultESK_EENS0_5tupleIJNSA_16discard_iteratorISK_EESF_EEENSM_IJSG_SG_EEES6_PlJS6_EEE10hipError_tPvRmT3_T4_T5_T6_T7_T9_mT8_P12ihipStream_tbDpT10_ENKUlT_T0_E_clISt17integral_constantIbLb0EES1B_EEDaS16_S17_EUlS16_E_NS1_11comp_targetILNS1_3genE5ELNS1_11target_archE942ELNS1_3gpuE9ELNS1_3repE0EEENS1_30default_config_static_selectorELNS0_4arch9wavefront6targetE1EEEvT1_,comdat
.Lfunc_end3420:
	.size	_ZN7rocprim17ROCPRIM_400000_NS6detail17trampoline_kernelINS0_14default_configENS1_25partition_config_selectorILNS1_17partition_subalgoE1EsNS0_10empty_typeEbEEZZNS1_14partition_implILS5_1ELb0ES3_jN6thrust23THRUST_200600_302600_NS6detail15normal_iteratorINSA_10device_ptrIsEEEEPS6_NSA_18transform_iteratorI7is_evenIsESF_NSA_11use_defaultESK_EENS0_5tupleIJNSA_16discard_iteratorISK_EESF_EEENSM_IJSG_SG_EEES6_PlJS6_EEE10hipError_tPvRmT3_T4_T5_T6_T7_T9_mT8_P12ihipStream_tbDpT10_ENKUlT_T0_E_clISt17integral_constantIbLb0EES1B_EEDaS16_S17_EUlS16_E_NS1_11comp_targetILNS1_3genE5ELNS1_11target_archE942ELNS1_3gpuE9ELNS1_3repE0EEENS1_30default_config_static_selectorELNS0_4arch9wavefront6targetE1EEEvT1_, .Lfunc_end3420-_ZN7rocprim17ROCPRIM_400000_NS6detail17trampoline_kernelINS0_14default_configENS1_25partition_config_selectorILNS1_17partition_subalgoE1EsNS0_10empty_typeEbEEZZNS1_14partition_implILS5_1ELb0ES3_jN6thrust23THRUST_200600_302600_NS6detail15normal_iteratorINSA_10device_ptrIsEEEEPS6_NSA_18transform_iteratorI7is_evenIsESF_NSA_11use_defaultESK_EENS0_5tupleIJNSA_16discard_iteratorISK_EESF_EEENSM_IJSG_SG_EEES6_PlJS6_EEE10hipError_tPvRmT3_T4_T5_T6_T7_T9_mT8_P12ihipStream_tbDpT10_ENKUlT_T0_E_clISt17integral_constantIbLb0EES1B_EEDaS16_S17_EUlS16_E_NS1_11comp_targetILNS1_3genE5ELNS1_11target_archE942ELNS1_3gpuE9ELNS1_3repE0EEENS1_30default_config_static_selectorELNS0_4arch9wavefront6targetE1EEEvT1_
                                        ; -- End function
	.section	.AMDGPU.csdata,"",@progbits
; Kernel info:
; codeLenInByte = 12204
; NumSgprs: 50
; NumVgprs: 79
; NumAgprs: 0
; TotalNumVgprs: 79
; ScratchSize: 0
; MemoryBound: 0
; FloatMode: 240
; IeeeMode: 1
; LDSByteSize: 28680 bytes/workgroup (compile time only)
; SGPRBlocks: 6
; VGPRBlocks: 9
; NumSGPRsForWavesPerEU: 50
; NumVGPRsForWavesPerEU: 79
; AccumOffset: 80
; Occupancy: 4
; WaveLimiterHint : 1
; COMPUTE_PGM_RSRC2:SCRATCH_EN: 0
; COMPUTE_PGM_RSRC2:USER_SGPR: 2
; COMPUTE_PGM_RSRC2:TRAP_HANDLER: 0
; COMPUTE_PGM_RSRC2:TGID_X_EN: 1
; COMPUTE_PGM_RSRC2:TGID_Y_EN: 0
; COMPUTE_PGM_RSRC2:TGID_Z_EN: 0
; COMPUTE_PGM_RSRC2:TIDIG_COMP_CNT: 0
; COMPUTE_PGM_RSRC3_GFX90A:ACCUM_OFFSET: 19
; COMPUTE_PGM_RSRC3_GFX90A:TG_SPLIT: 0
	.section	.text._ZN7rocprim17ROCPRIM_400000_NS6detail17trampoline_kernelINS0_14default_configENS1_25partition_config_selectorILNS1_17partition_subalgoE1EsNS0_10empty_typeEbEEZZNS1_14partition_implILS5_1ELb0ES3_jN6thrust23THRUST_200600_302600_NS6detail15normal_iteratorINSA_10device_ptrIsEEEEPS6_NSA_18transform_iteratorI7is_evenIsESF_NSA_11use_defaultESK_EENS0_5tupleIJNSA_16discard_iteratorISK_EESF_EEENSM_IJSG_SG_EEES6_PlJS6_EEE10hipError_tPvRmT3_T4_T5_T6_T7_T9_mT8_P12ihipStream_tbDpT10_ENKUlT_T0_E_clISt17integral_constantIbLb0EES1B_EEDaS16_S17_EUlS16_E_NS1_11comp_targetILNS1_3genE4ELNS1_11target_archE910ELNS1_3gpuE8ELNS1_3repE0EEENS1_30default_config_static_selectorELNS0_4arch9wavefront6targetE1EEEvT1_,"axG",@progbits,_ZN7rocprim17ROCPRIM_400000_NS6detail17trampoline_kernelINS0_14default_configENS1_25partition_config_selectorILNS1_17partition_subalgoE1EsNS0_10empty_typeEbEEZZNS1_14partition_implILS5_1ELb0ES3_jN6thrust23THRUST_200600_302600_NS6detail15normal_iteratorINSA_10device_ptrIsEEEEPS6_NSA_18transform_iteratorI7is_evenIsESF_NSA_11use_defaultESK_EENS0_5tupleIJNSA_16discard_iteratorISK_EESF_EEENSM_IJSG_SG_EEES6_PlJS6_EEE10hipError_tPvRmT3_T4_T5_T6_T7_T9_mT8_P12ihipStream_tbDpT10_ENKUlT_T0_E_clISt17integral_constantIbLb0EES1B_EEDaS16_S17_EUlS16_E_NS1_11comp_targetILNS1_3genE4ELNS1_11target_archE910ELNS1_3gpuE8ELNS1_3repE0EEENS1_30default_config_static_selectorELNS0_4arch9wavefront6targetE1EEEvT1_,comdat
	.protected	_ZN7rocprim17ROCPRIM_400000_NS6detail17trampoline_kernelINS0_14default_configENS1_25partition_config_selectorILNS1_17partition_subalgoE1EsNS0_10empty_typeEbEEZZNS1_14partition_implILS5_1ELb0ES3_jN6thrust23THRUST_200600_302600_NS6detail15normal_iteratorINSA_10device_ptrIsEEEEPS6_NSA_18transform_iteratorI7is_evenIsESF_NSA_11use_defaultESK_EENS0_5tupleIJNSA_16discard_iteratorISK_EESF_EEENSM_IJSG_SG_EEES6_PlJS6_EEE10hipError_tPvRmT3_T4_T5_T6_T7_T9_mT8_P12ihipStream_tbDpT10_ENKUlT_T0_E_clISt17integral_constantIbLb0EES1B_EEDaS16_S17_EUlS16_E_NS1_11comp_targetILNS1_3genE4ELNS1_11target_archE910ELNS1_3gpuE8ELNS1_3repE0EEENS1_30default_config_static_selectorELNS0_4arch9wavefront6targetE1EEEvT1_ ; -- Begin function _ZN7rocprim17ROCPRIM_400000_NS6detail17trampoline_kernelINS0_14default_configENS1_25partition_config_selectorILNS1_17partition_subalgoE1EsNS0_10empty_typeEbEEZZNS1_14partition_implILS5_1ELb0ES3_jN6thrust23THRUST_200600_302600_NS6detail15normal_iteratorINSA_10device_ptrIsEEEEPS6_NSA_18transform_iteratorI7is_evenIsESF_NSA_11use_defaultESK_EENS0_5tupleIJNSA_16discard_iteratorISK_EESF_EEENSM_IJSG_SG_EEES6_PlJS6_EEE10hipError_tPvRmT3_T4_T5_T6_T7_T9_mT8_P12ihipStream_tbDpT10_ENKUlT_T0_E_clISt17integral_constantIbLb0EES1B_EEDaS16_S17_EUlS16_E_NS1_11comp_targetILNS1_3genE4ELNS1_11target_archE910ELNS1_3gpuE8ELNS1_3repE0EEENS1_30default_config_static_selectorELNS0_4arch9wavefront6targetE1EEEvT1_
	.globl	_ZN7rocprim17ROCPRIM_400000_NS6detail17trampoline_kernelINS0_14default_configENS1_25partition_config_selectorILNS1_17partition_subalgoE1EsNS0_10empty_typeEbEEZZNS1_14partition_implILS5_1ELb0ES3_jN6thrust23THRUST_200600_302600_NS6detail15normal_iteratorINSA_10device_ptrIsEEEEPS6_NSA_18transform_iteratorI7is_evenIsESF_NSA_11use_defaultESK_EENS0_5tupleIJNSA_16discard_iteratorISK_EESF_EEENSM_IJSG_SG_EEES6_PlJS6_EEE10hipError_tPvRmT3_T4_T5_T6_T7_T9_mT8_P12ihipStream_tbDpT10_ENKUlT_T0_E_clISt17integral_constantIbLb0EES1B_EEDaS16_S17_EUlS16_E_NS1_11comp_targetILNS1_3genE4ELNS1_11target_archE910ELNS1_3gpuE8ELNS1_3repE0EEENS1_30default_config_static_selectorELNS0_4arch9wavefront6targetE1EEEvT1_
	.p2align	8
	.type	_ZN7rocprim17ROCPRIM_400000_NS6detail17trampoline_kernelINS0_14default_configENS1_25partition_config_selectorILNS1_17partition_subalgoE1EsNS0_10empty_typeEbEEZZNS1_14partition_implILS5_1ELb0ES3_jN6thrust23THRUST_200600_302600_NS6detail15normal_iteratorINSA_10device_ptrIsEEEEPS6_NSA_18transform_iteratorI7is_evenIsESF_NSA_11use_defaultESK_EENS0_5tupleIJNSA_16discard_iteratorISK_EESF_EEENSM_IJSG_SG_EEES6_PlJS6_EEE10hipError_tPvRmT3_T4_T5_T6_T7_T9_mT8_P12ihipStream_tbDpT10_ENKUlT_T0_E_clISt17integral_constantIbLb0EES1B_EEDaS16_S17_EUlS16_E_NS1_11comp_targetILNS1_3genE4ELNS1_11target_archE910ELNS1_3gpuE8ELNS1_3repE0EEENS1_30default_config_static_selectorELNS0_4arch9wavefront6targetE1EEEvT1_,@function
_ZN7rocprim17ROCPRIM_400000_NS6detail17trampoline_kernelINS0_14default_configENS1_25partition_config_selectorILNS1_17partition_subalgoE1EsNS0_10empty_typeEbEEZZNS1_14partition_implILS5_1ELb0ES3_jN6thrust23THRUST_200600_302600_NS6detail15normal_iteratorINSA_10device_ptrIsEEEEPS6_NSA_18transform_iteratorI7is_evenIsESF_NSA_11use_defaultESK_EENS0_5tupleIJNSA_16discard_iteratorISK_EESF_EEENSM_IJSG_SG_EEES6_PlJS6_EEE10hipError_tPvRmT3_T4_T5_T6_T7_T9_mT8_P12ihipStream_tbDpT10_ENKUlT_T0_E_clISt17integral_constantIbLb0EES1B_EEDaS16_S17_EUlS16_E_NS1_11comp_targetILNS1_3genE4ELNS1_11target_archE910ELNS1_3gpuE8ELNS1_3repE0EEENS1_30default_config_static_selectorELNS0_4arch9wavefront6targetE1EEEvT1_: ; @_ZN7rocprim17ROCPRIM_400000_NS6detail17trampoline_kernelINS0_14default_configENS1_25partition_config_selectorILNS1_17partition_subalgoE1EsNS0_10empty_typeEbEEZZNS1_14partition_implILS5_1ELb0ES3_jN6thrust23THRUST_200600_302600_NS6detail15normal_iteratorINSA_10device_ptrIsEEEEPS6_NSA_18transform_iteratorI7is_evenIsESF_NSA_11use_defaultESK_EENS0_5tupleIJNSA_16discard_iteratorISK_EESF_EEENSM_IJSG_SG_EEES6_PlJS6_EEE10hipError_tPvRmT3_T4_T5_T6_T7_T9_mT8_P12ihipStream_tbDpT10_ENKUlT_T0_E_clISt17integral_constantIbLb0EES1B_EEDaS16_S17_EUlS16_E_NS1_11comp_targetILNS1_3genE4ELNS1_11target_archE910ELNS1_3gpuE8ELNS1_3repE0EEENS1_30default_config_static_selectorELNS0_4arch9wavefront6targetE1EEEvT1_
; %bb.0:
	.section	.rodata,"a",@progbits
	.p2align	6, 0x0
	.amdhsa_kernel _ZN7rocprim17ROCPRIM_400000_NS6detail17trampoline_kernelINS0_14default_configENS1_25partition_config_selectorILNS1_17partition_subalgoE1EsNS0_10empty_typeEbEEZZNS1_14partition_implILS5_1ELb0ES3_jN6thrust23THRUST_200600_302600_NS6detail15normal_iteratorINSA_10device_ptrIsEEEEPS6_NSA_18transform_iteratorI7is_evenIsESF_NSA_11use_defaultESK_EENS0_5tupleIJNSA_16discard_iteratorISK_EESF_EEENSM_IJSG_SG_EEES6_PlJS6_EEE10hipError_tPvRmT3_T4_T5_T6_T7_T9_mT8_P12ihipStream_tbDpT10_ENKUlT_T0_E_clISt17integral_constantIbLb0EES1B_EEDaS16_S17_EUlS16_E_NS1_11comp_targetILNS1_3genE4ELNS1_11target_archE910ELNS1_3gpuE8ELNS1_3repE0EEENS1_30default_config_static_selectorELNS0_4arch9wavefront6targetE1EEEvT1_
		.amdhsa_group_segment_fixed_size 0
		.amdhsa_private_segment_fixed_size 0
		.amdhsa_kernarg_size 136
		.amdhsa_user_sgpr_count 2
		.amdhsa_user_sgpr_dispatch_ptr 0
		.amdhsa_user_sgpr_queue_ptr 0
		.amdhsa_user_sgpr_kernarg_segment_ptr 1
		.amdhsa_user_sgpr_dispatch_id 0
		.amdhsa_user_sgpr_kernarg_preload_length 0
		.amdhsa_user_sgpr_kernarg_preload_offset 0
		.amdhsa_user_sgpr_private_segment_size 0
		.amdhsa_uses_dynamic_stack 0
		.amdhsa_enable_private_segment 0
		.amdhsa_system_sgpr_workgroup_id_x 1
		.amdhsa_system_sgpr_workgroup_id_y 0
		.amdhsa_system_sgpr_workgroup_id_z 0
		.amdhsa_system_sgpr_workgroup_info 0
		.amdhsa_system_vgpr_workitem_id 0
		.amdhsa_next_free_vgpr 1
		.amdhsa_next_free_sgpr 0
		.amdhsa_accum_offset 4
		.amdhsa_reserve_vcc 0
		.amdhsa_float_round_mode_32 0
		.amdhsa_float_round_mode_16_64 0
		.amdhsa_float_denorm_mode_32 3
		.amdhsa_float_denorm_mode_16_64 3
		.amdhsa_dx10_clamp 1
		.amdhsa_ieee_mode 1
		.amdhsa_fp16_overflow 0
		.amdhsa_tg_split 0
		.amdhsa_exception_fp_ieee_invalid_op 0
		.amdhsa_exception_fp_denorm_src 0
		.amdhsa_exception_fp_ieee_div_zero 0
		.amdhsa_exception_fp_ieee_overflow 0
		.amdhsa_exception_fp_ieee_underflow 0
		.amdhsa_exception_fp_ieee_inexact 0
		.amdhsa_exception_int_div_zero 0
	.end_amdhsa_kernel
	.section	.text._ZN7rocprim17ROCPRIM_400000_NS6detail17trampoline_kernelINS0_14default_configENS1_25partition_config_selectorILNS1_17partition_subalgoE1EsNS0_10empty_typeEbEEZZNS1_14partition_implILS5_1ELb0ES3_jN6thrust23THRUST_200600_302600_NS6detail15normal_iteratorINSA_10device_ptrIsEEEEPS6_NSA_18transform_iteratorI7is_evenIsESF_NSA_11use_defaultESK_EENS0_5tupleIJNSA_16discard_iteratorISK_EESF_EEENSM_IJSG_SG_EEES6_PlJS6_EEE10hipError_tPvRmT3_T4_T5_T6_T7_T9_mT8_P12ihipStream_tbDpT10_ENKUlT_T0_E_clISt17integral_constantIbLb0EES1B_EEDaS16_S17_EUlS16_E_NS1_11comp_targetILNS1_3genE4ELNS1_11target_archE910ELNS1_3gpuE8ELNS1_3repE0EEENS1_30default_config_static_selectorELNS0_4arch9wavefront6targetE1EEEvT1_,"axG",@progbits,_ZN7rocprim17ROCPRIM_400000_NS6detail17trampoline_kernelINS0_14default_configENS1_25partition_config_selectorILNS1_17partition_subalgoE1EsNS0_10empty_typeEbEEZZNS1_14partition_implILS5_1ELb0ES3_jN6thrust23THRUST_200600_302600_NS6detail15normal_iteratorINSA_10device_ptrIsEEEEPS6_NSA_18transform_iteratorI7is_evenIsESF_NSA_11use_defaultESK_EENS0_5tupleIJNSA_16discard_iteratorISK_EESF_EEENSM_IJSG_SG_EEES6_PlJS6_EEE10hipError_tPvRmT3_T4_T5_T6_T7_T9_mT8_P12ihipStream_tbDpT10_ENKUlT_T0_E_clISt17integral_constantIbLb0EES1B_EEDaS16_S17_EUlS16_E_NS1_11comp_targetILNS1_3genE4ELNS1_11target_archE910ELNS1_3gpuE8ELNS1_3repE0EEENS1_30default_config_static_selectorELNS0_4arch9wavefront6targetE1EEEvT1_,comdat
.Lfunc_end3421:
	.size	_ZN7rocprim17ROCPRIM_400000_NS6detail17trampoline_kernelINS0_14default_configENS1_25partition_config_selectorILNS1_17partition_subalgoE1EsNS0_10empty_typeEbEEZZNS1_14partition_implILS5_1ELb0ES3_jN6thrust23THRUST_200600_302600_NS6detail15normal_iteratorINSA_10device_ptrIsEEEEPS6_NSA_18transform_iteratorI7is_evenIsESF_NSA_11use_defaultESK_EENS0_5tupleIJNSA_16discard_iteratorISK_EESF_EEENSM_IJSG_SG_EEES6_PlJS6_EEE10hipError_tPvRmT3_T4_T5_T6_T7_T9_mT8_P12ihipStream_tbDpT10_ENKUlT_T0_E_clISt17integral_constantIbLb0EES1B_EEDaS16_S17_EUlS16_E_NS1_11comp_targetILNS1_3genE4ELNS1_11target_archE910ELNS1_3gpuE8ELNS1_3repE0EEENS1_30default_config_static_selectorELNS0_4arch9wavefront6targetE1EEEvT1_, .Lfunc_end3421-_ZN7rocprim17ROCPRIM_400000_NS6detail17trampoline_kernelINS0_14default_configENS1_25partition_config_selectorILNS1_17partition_subalgoE1EsNS0_10empty_typeEbEEZZNS1_14partition_implILS5_1ELb0ES3_jN6thrust23THRUST_200600_302600_NS6detail15normal_iteratorINSA_10device_ptrIsEEEEPS6_NSA_18transform_iteratorI7is_evenIsESF_NSA_11use_defaultESK_EENS0_5tupleIJNSA_16discard_iteratorISK_EESF_EEENSM_IJSG_SG_EEES6_PlJS6_EEE10hipError_tPvRmT3_T4_T5_T6_T7_T9_mT8_P12ihipStream_tbDpT10_ENKUlT_T0_E_clISt17integral_constantIbLb0EES1B_EEDaS16_S17_EUlS16_E_NS1_11comp_targetILNS1_3genE4ELNS1_11target_archE910ELNS1_3gpuE8ELNS1_3repE0EEENS1_30default_config_static_selectorELNS0_4arch9wavefront6targetE1EEEvT1_
                                        ; -- End function
	.section	.AMDGPU.csdata,"",@progbits
; Kernel info:
; codeLenInByte = 0
; NumSgprs: 6
; NumVgprs: 0
; NumAgprs: 0
; TotalNumVgprs: 0
; ScratchSize: 0
; MemoryBound: 0
; FloatMode: 240
; IeeeMode: 1
; LDSByteSize: 0 bytes/workgroup (compile time only)
; SGPRBlocks: 0
; VGPRBlocks: 0
; NumSGPRsForWavesPerEU: 6
; NumVGPRsForWavesPerEU: 1
; AccumOffset: 4
; Occupancy: 8
; WaveLimiterHint : 0
; COMPUTE_PGM_RSRC2:SCRATCH_EN: 0
; COMPUTE_PGM_RSRC2:USER_SGPR: 2
; COMPUTE_PGM_RSRC2:TRAP_HANDLER: 0
; COMPUTE_PGM_RSRC2:TGID_X_EN: 1
; COMPUTE_PGM_RSRC2:TGID_Y_EN: 0
; COMPUTE_PGM_RSRC2:TGID_Z_EN: 0
; COMPUTE_PGM_RSRC2:TIDIG_COMP_CNT: 0
; COMPUTE_PGM_RSRC3_GFX90A:ACCUM_OFFSET: 0
; COMPUTE_PGM_RSRC3_GFX90A:TG_SPLIT: 0
	.section	.text._ZN7rocprim17ROCPRIM_400000_NS6detail17trampoline_kernelINS0_14default_configENS1_25partition_config_selectorILNS1_17partition_subalgoE1EsNS0_10empty_typeEbEEZZNS1_14partition_implILS5_1ELb0ES3_jN6thrust23THRUST_200600_302600_NS6detail15normal_iteratorINSA_10device_ptrIsEEEEPS6_NSA_18transform_iteratorI7is_evenIsESF_NSA_11use_defaultESK_EENS0_5tupleIJNSA_16discard_iteratorISK_EESF_EEENSM_IJSG_SG_EEES6_PlJS6_EEE10hipError_tPvRmT3_T4_T5_T6_T7_T9_mT8_P12ihipStream_tbDpT10_ENKUlT_T0_E_clISt17integral_constantIbLb0EES1B_EEDaS16_S17_EUlS16_E_NS1_11comp_targetILNS1_3genE3ELNS1_11target_archE908ELNS1_3gpuE7ELNS1_3repE0EEENS1_30default_config_static_selectorELNS0_4arch9wavefront6targetE1EEEvT1_,"axG",@progbits,_ZN7rocprim17ROCPRIM_400000_NS6detail17trampoline_kernelINS0_14default_configENS1_25partition_config_selectorILNS1_17partition_subalgoE1EsNS0_10empty_typeEbEEZZNS1_14partition_implILS5_1ELb0ES3_jN6thrust23THRUST_200600_302600_NS6detail15normal_iteratorINSA_10device_ptrIsEEEEPS6_NSA_18transform_iteratorI7is_evenIsESF_NSA_11use_defaultESK_EENS0_5tupleIJNSA_16discard_iteratorISK_EESF_EEENSM_IJSG_SG_EEES6_PlJS6_EEE10hipError_tPvRmT3_T4_T5_T6_T7_T9_mT8_P12ihipStream_tbDpT10_ENKUlT_T0_E_clISt17integral_constantIbLb0EES1B_EEDaS16_S17_EUlS16_E_NS1_11comp_targetILNS1_3genE3ELNS1_11target_archE908ELNS1_3gpuE7ELNS1_3repE0EEENS1_30default_config_static_selectorELNS0_4arch9wavefront6targetE1EEEvT1_,comdat
	.protected	_ZN7rocprim17ROCPRIM_400000_NS6detail17trampoline_kernelINS0_14default_configENS1_25partition_config_selectorILNS1_17partition_subalgoE1EsNS0_10empty_typeEbEEZZNS1_14partition_implILS5_1ELb0ES3_jN6thrust23THRUST_200600_302600_NS6detail15normal_iteratorINSA_10device_ptrIsEEEEPS6_NSA_18transform_iteratorI7is_evenIsESF_NSA_11use_defaultESK_EENS0_5tupleIJNSA_16discard_iteratorISK_EESF_EEENSM_IJSG_SG_EEES6_PlJS6_EEE10hipError_tPvRmT3_T4_T5_T6_T7_T9_mT8_P12ihipStream_tbDpT10_ENKUlT_T0_E_clISt17integral_constantIbLb0EES1B_EEDaS16_S17_EUlS16_E_NS1_11comp_targetILNS1_3genE3ELNS1_11target_archE908ELNS1_3gpuE7ELNS1_3repE0EEENS1_30default_config_static_selectorELNS0_4arch9wavefront6targetE1EEEvT1_ ; -- Begin function _ZN7rocprim17ROCPRIM_400000_NS6detail17trampoline_kernelINS0_14default_configENS1_25partition_config_selectorILNS1_17partition_subalgoE1EsNS0_10empty_typeEbEEZZNS1_14partition_implILS5_1ELb0ES3_jN6thrust23THRUST_200600_302600_NS6detail15normal_iteratorINSA_10device_ptrIsEEEEPS6_NSA_18transform_iteratorI7is_evenIsESF_NSA_11use_defaultESK_EENS0_5tupleIJNSA_16discard_iteratorISK_EESF_EEENSM_IJSG_SG_EEES6_PlJS6_EEE10hipError_tPvRmT3_T4_T5_T6_T7_T9_mT8_P12ihipStream_tbDpT10_ENKUlT_T0_E_clISt17integral_constantIbLb0EES1B_EEDaS16_S17_EUlS16_E_NS1_11comp_targetILNS1_3genE3ELNS1_11target_archE908ELNS1_3gpuE7ELNS1_3repE0EEENS1_30default_config_static_selectorELNS0_4arch9wavefront6targetE1EEEvT1_
	.globl	_ZN7rocprim17ROCPRIM_400000_NS6detail17trampoline_kernelINS0_14default_configENS1_25partition_config_selectorILNS1_17partition_subalgoE1EsNS0_10empty_typeEbEEZZNS1_14partition_implILS5_1ELb0ES3_jN6thrust23THRUST_200600_302600_NS6detail15normal_iteratorINSA_10device_ptrIsEEEEPS6_NSA_18transform_iteratorI7is_evenIsESF_NSA_11use_defaultESK_EENS0_5tupleIJNSA_16discard_iteratorISK_EESF_EEENSM_IJSG_SG_EEES6_PlJS6_EEE10hipError_tPvRmT3_T4_T5_T6_T7_T9_mT8_P12ihipStream_tbDpT10_ENKUlT_T0_E_clISt17integral_constantIbLb0EES1B_EEDaS16_S17_EUlS16_E_NS1_11comp_targetILNS1_3genE3ELNS1_11target_archE908ELNS1_3gpuE7ELNS1_3repE0EEENS1_30default_config_static_selectorELNS0_4arch9wavefront6targetE1EEEvT1_
	.p2align	8
	.type	_ZN7rocprim17ROCPRIM_400000_NS6detail17trampoline_kernelINS0_14default_configENS1_25partition_config_selectorILNS1_17partition_subalgoE1EsNS0_10empty_typeEbEEZZNS1_14partition_implILS5_1ELb0ES3_jN6thrust23THRUST_200600_302600_NS6detail15normal_iteratorINSA_10device_ptrIsEEEEPS6_NSA_18transform_iteratorI7is_evenIsESF_NSA_11use_defaultESK_EENS0_5tupleIJNSA_16discard_iteratorISK_EESF_EEENSM_IJSG_SG_EEES6_PlJS6_EEE10hipError_tPvRmT3_T4_T5_T6_T7_T9_mT8_P12ihipStream_tbDpT10_ENKUlT_T0_E_clISt17integral_constantIbLb0EES1B_EEDaS16_S17_EUlS16_E_NS1_11comp_targetILNS1_3genE3ELNS1_11target_archE908ELNS1_3gpuE7ELNS1_3repE0EEENS1_30default_config_static_selectorELNS0_4arch9wavefront6targetE1EEEvT1_,@function
_ZN7rocprim17ROCPRIM_400000_NS6detail17trampoline_kernelINS0_14default_configENS1_25partition_config_selectorILNS1_17partition_subalgoE1EsNS0_10empty_typeEbEEZZNS1_14partition_implILS5_1ELb0ES3_jN6thrust23THRUST_200600_302600_NS6detail15normal_iteratorINSA_10device_ptrIsEEEEPS6_NSA_18transform_iteratorI7is_evenIsESF_NSA_11use_defaultESK_EENS0_5tupleIJNSA_16discard_iteratorISK_EESF_EEENSM_IJSG_SG_EEES6_PlJS6_EEE10hipError_tPvRmT3_T4_T5_T6_T7_T9_mT8_P12ihipStream_tbDpT10_ENKUlT_T0_E_clISt17integral_constantIbLb0EES1B_EEDaS16_S17_EUlS16_E_NS1_11comp_targetILNS1_3genE3ELNS1_11target_archE908ELNS1_3gpuE7ELNS1_3repE0EEENS1_30default_config_static_selectorELNS0_4arch9wavefront6targetE1EEEvT1_: ; @_ZN7rocprim17ROCPRIM_400000_NS6detail17trampoline_kernelINS0_14default_configENS1_25partition_config_selectorILNS1_17partition_subalgoE1EsNS0_10empty_typeEbEEZZNS1_14partition_implILS5_1ELb0ES3_jN6thrust23THRUST_200600_302600_NS6detail15normal_iteratorINSA_10device_ptrIsEEEEPS6_NSA_18transform_iteratorI7is_evenIsESF_NSA_11use_defaultESK_EENS0_5tupleIJNSA_16discard_iteratorISK_EESF_EEENSM_IJSG_SG_EEES6_PlJS6_EEE10hipError_tPvRmT3_T4_T5_T6_T7_T9_mT8_P12ihipStream_tbDpT10_ENKUlT_T0_E_clISt17integral_constantIbLb0EES1B_EEDaS16_S17_EUlS16_E_NS1_11comp_targetILNS1_3genE3ELNS1_11target_archE908ELNS1_3gpuE7ELNS1_3repE0EEENS1_30default_config_static_selectorELNS0_4arch9wavefront6targetE1EEEvT1_
; %bb.0:
	.section	.rodata,"a",@progbits
	.p2align	6, 0x0
	.amdhsa_kernel _ZN7rocprim17ROCPRIM_400000_NS6detail17trampoline_kernelINS0_14default_configENS1_25partition_config_selectorILNS1_17partition_subalgoE1EsNS0_10empty_typeEbEEZZNS1_14partition_implILS5_1ELb0ES3_jN6thrust23THRUST_200600_302600_NS6detail15normal_iteratorINSA_10device_ptrIsEEEEPS6_NSA_18transform_iteratorI7is_evenIsESF_NSA_11use_defaultESK_EENS0_5tupleIJNSA_16discard_iteratorISK_EESF_EEENSM_IJSG_SG_EEES6_PlJS6_EEE10hipError_tPvRmT3_T4_T5_T6_T7_T9_mT8_P12ihipStream_tbDpT10_ENKUlT_T0_E_clISt17integral_constantIbLb0EES1B_EEDaS16_S17_EUlS16_E_NS1_11comp_targetILNS1_3genE3ELNS1_11target_archE908ELNS1_3gpuE7ELNS1_3repE0EEENS1_30default_config_static_selectorELNS0_4arch9wavefront6targetE1EEEvT1_
		.amdhsa_group_segment_fixed_size 0
		.amdhsa_private_segment_fixed_size 0
		.amdhsa_kernarg_size 136
		.amdhsa_user_sgpr_count 2
		.amdhsa_user_sgpr_dispatch_ptr 0
		.amdhsa_user_sgpr_queue_ptr 0
		.amdhsa_user_sgpr_kernarg_segment_ptr 1
		.amdhsa_user_sgpr_dispatch_id 0
		.amdhsa_user_sgpr_kernarg_preload_length 0
		.amdhsa_user_sgpr_kernarg_preload_offset 0
		.amdhsa_user_sgpr_private_segment_size 0
		.amdhsa_uses_dynamic_stack 0
		.amdhsa_enable_private_segment 0
		.amdhsa_system_sgpr_workgroup_id_x 1
		.amdhsa_system_sgpr_workgroup_id_y 0
		.amdhsa_system_sgpr_workgroup_id_z 0
		.amdhsa_system_sgpr_workgroup_info 0
		.amdhsa_system_vgpr_workitem_id 0
		.amdhsa_next_free_vgpr 1
		.amdhsa_next_free_sgpr 0
		.amdhsa_accum_offset 4
		.amdhsa_reserve_vcc 0
		.amdhsa_float_round_mode_32 0
		.amdhsa_float_round_mode_16_64 0
		.amdhsa_float_denorm_mode_32 3
		.amdhsa_float_denorm_mode_16_64 3
		.amdhsa_dx10_clamp 1
		.amdhsa_ieee_mode 1
		.amdhsa_fp16_overflow 0
		.amdhsa_tg_split 0
		.amdhsa_exception_fp_ieee_invalid_op 0
		.amdhsa_exception_fp_denorm_src 0
		.amdhsa_exception_fp_ieee_div_zero 0
		.amdhsa_exception_fp_ieee_overflow 0
		.amdhsa_exception_fp_ieee_underflow 0
		.amdhsa_exception_fp_ieee_inexact 0
		.amdhsa_exception_int_div_zero 0
	.end_amdhsa_kernel
	.section	.text._ZN7rocprim17ROCPRIM_400000_NS6detail17trampoline_kernelINS0_14default_configENS1_25partition_config_selectorILNS1_17partition_subalgoE1EsNS0_10empty_typeEbEEZZNS1_14partition_implILS5_1ELb0ES3_jN6thrust23THRUST_200600_302600_NS6detail15normal_iteratorINSA_10device_ptrIsEEEEPS6_NSA_18transform_iteratorI7is_evenIsESF_NSA_11use_defaultESK_EENS0_5tupleIJNSA_16discard_iteratorISK_EESF_EEENSM_IJSG_SG_EEES6_PlJS6_EEE10hipError_tPvRmT3_T4_T5_T6_T7_T9_mT8_P12ihipStream_tbDpT10_ENKUlT_T0_E_clISt17integral_constantIbLb0EES1B_EEDaS16_S17_EUlS16_E_NS1_11comp_targetILNS1_3genE3ELNS1_11target_archE908ELNS1_3gpuE7ELNS1_3repE0EEENS1_30default_config_static_selectorELNS0_4arch9wavefront6targetE1EEEvT1_,"axG",@progbits,_ZN7rocprim17ROCPRIM_400000_NS6detail17trampoline_kernelINS0_14default_configENS1_25partition_config_selectorILNS1_17partition_subalgoE1EsNS0_10empty_typeEbEEZZNS1_14partition_implILS5_1ELb0ES3_jN6thrust23THRUST_200600_302600_NS6detail15normal_iteratorINSA_10device_ptrIsEEEEPS6_NSA_18transform_iteratorI7is_evenIsESF_NSA_11use_defaultESK_EENS0_5tupleIJNSA_16discard_iteratorISK_EESF_EEENSM_IJSG_SG_EEES6_PlJS6_EEE10hipError_tPvRmT3_T4_T5_T6_T7_T9_mT8_P12ihipStream_tbDpT10_ENKUlT_T0_E_clISt17integral_constantIbLb0EES1B_EEDaS16_S17_EUlS16_E_NS1_11comp_targetILNS1_3genE3ELNS1_11target_archE908ELNS1_3gpuE7ELNS1_3repE0EEENS1_30default_config_static_selectorELNS0_4arch9wavefront6targetE1EEEvT1_,comdat
.Lfunc_end3422:
	.size	_ZN7rocprim17ROCPRIM_400000_NS6detail17trampoline_kernelINS0_14default_configENS1_25partition_config_selectorILNS1_17partition_subalgoE1EsNS0_10empty_typeEbEEZZNS1_14partition_implILS5_1ELb0ES3_jN6thrust23THRUST_200600_302600_NS6detail15normal_iteratorINSA_10device_ptrIsEEEEPS6_NSA_18transform_iteratorI7is_evenIsESF_NSA_11use_defaultESK_EENS0_5tupleIJNSA_16discard_iteratorISK_EESF_EEENSM_IJSG_SG_EEES6_PlJS6_EEE10hipError_tPvRmT3_T4_T5_T6_T7_T9_mT8_P12ihipStream_tbDpT10_ENKUlT_T0_E_clISt17integral_constantIbLb0EES1B_EEDaS16_S17_EUlS16_E_NS1_11comp_targetILNS1_3genE3ELNS1_11target_archE908ELNS1_3gpuE7ELNS1_3repE0EEENS1_30default_config_static_selectorELNS0_4arch9wavefront6targetE1EEEvT1_, .Lfunc_end3422-_ZN7rocprim17ROCPRIM_400000_NS6detail17trampoline_kernelINS0_14default_configENS1_25partition_config_selectorILNS1_17partition_subalgoE1EsNS0_10empty_typeEbEEZZNS1_14partition_implILS5_1ELb0ES3_jN6thrust23THRUST_200600_302600_NS6detail15normal_iteratorINSA_10device_ptrIsEEEEPS6_NSA_18transform_iteratorI7is_evenIsESF_NSA_11use_defaultESK_EENS0_5tupleIJNSA_16discard_iteratorISK_EESF_EEENSM_IJSG_SG_EEES6_PlJS6_EEE10hipError_tPvRmT3_T4_T5_T6_T7_T9_mT8_P12ihipStream_tbDpT10_ENKUlT_T0_E_clISt17integral_constantIbLb0EES1B_EEDaS16_S17_EUlS16_E_NS1_11comp_targetILNS1_3genE3ELNS1_11target_archE908ELNS1_3gpuE7ELNS1_3repE0EEENS1_30default_config_static_selectorELNS0_4arch9wavefront6targetE1EEEvT1_
                                        ; -- End function
	.section	.AMDGPU.csdata,"",@progbits
; Kernel info:
; codeLenInByte = 0
; NumSgprs: 6
; NumVgprs: 0
; NumAgprs: 0
; TotalNumVgprs: 0
; ScratchSize: 0
; MemoryBound: 0
; FloatMode: 240
; IeeeMode: 1
; LDSByteSize: 0 bytes/workgroup (compile time only)
; SGPRBlocks: 0
; VGPRBlocks: 0
; NumSGPRsForWavesPerEU: 6
; NumVGPRsForWavesPerEU: 1
; AccumOffset: 4
; Occupancy: 8
; WaveLimiterHint : 0
; COMPUTE_PGM_RSRC2:SCRATCH_EN: 0
; COMPUTE_PGM_RSRC2:USER_SGPR: 2
; COMPUTE_PGM_RSRC2:TRAP_HANDLER: 0
; COMPUTE_PGM_RSRC2:TGID_X_EN: 1
; COMPUTE_PGM_RSRC2:TGID_Y_EN: 0
; COMPUTE_PGM_RSRC2:TGID_Z_EN: 0
; COMPUTE_PGM_RSRC2:TIDIG_COMP_CNT: 0
; COMPUTE_PGM_RSRC3_GFX90A:ACCUM_OFFSET: 0
; COMPUTE_PGM_RSRC3_GFX90A:TG_SPLIT: 0
	.section	.text._ZN7rocprim17ROCPRIM_400000_NS6detail17trampoline_kernelINS0_14default_configENS1_25partition_config_selectorILNS1_17partition_subalgoE1EsNS0_10empty_typeEbEEZZNS1_14partition_implILS5_1ELb0ES3_jN6thrust23THRUST_200600_302600_NS6detail15normal_iteratorINSA_10device_ptrIsEEEEPS6_NSA_18transform_iteratorI7is_evenIsESF_NSA_11use_defaultESK_EENS0_5tupleIJNSA_16discard_iteratorISK_EESF_EEENSM_IJSG_SG_EEES6_PlJS6_EEE10hipError_tPvRmT3_T4_T5_T6_T7_T9_mT8_P12ihipStream_tbDpT10_ENKUlT_T0_E_clISt17integral_constantIbLb0EES1B_EEDaS16_S17_EUlS16_E_NS1_11comp_targetILNS1_3genE2ELNS1_11target_archE906ELNS1_3gpuE6ELNS1_3repE0EEENS1_30default_config_static_selectorELNS0_4arch9wavefront6targetE1EEEvT1_,"axG",@progbits,_ZN7rocprim17ROCPRIM_400000_NS6detail17trampoline_kernelINS0_14default_configENS1_25partition_config_selectorILNS1_17partition_subalgoE1EsNS0_10empty_typeEbEEZZNS1_14partition_implILS5_1ELb0ES3_jN6thrust23THRUST_200600_302600_NS6detail15normal_iteratorINSA_10device_ptrIsEEEEPS6_NSA_18transform_iteratorI7is_evenIsESF_NSA_11use_defaultESK_EENS0_5tupleIJNSA_16discard_iteratorISK_EESF_EEENSM_IJSG_SG_EEES6_PlJS6_EEE10hipError_tPvRmT3_T4_T5_T6_T7_T9_mT8_P12ihipStream_tbDpT10_ENKUlT_T0_E_clISt17integral_constantIbLb0EES1B_EEDaS16_S17_EUlS16_E_NS1_11comp_targetILNS1_3genE2ELNS1_11target_archE906ELNS1_3gpuE6ELNS1_3repE0EEENS1_30default_config_static_selectorELNS0_4arch9wavefront6targetE1EEEvT1_,comdat
	.protected	_ZN7rocprim17ROCPRIM_400000_NS6detail17trampoline_kernelINS0_14default_configENS1_25partition_config_selectorILNS1_17partition_subalgoE1EsNS0_10empty_typeEbEEZZNS1_14partition_implILS5_1ELb0ES3_jN6thrust23THRUST_200600_302600_NS6detail15normal_iteratorINSA_10device_ptrIsEEEEPS6_NSA_18transform_iteratorI7is_evenIsESF_NSA_11use_defaultESK_EENS0_5tupleIJNSA_16discard_iteratorISK_EESF_EEENSM_IJSG_SG_EEES6_PlJS6_EEE10hipError_tPvRmT3_T4_T5_T6_T7_T9_mT8_P12ihipStream_tbDpT10_ENKUlT_T0_E_clISt17integral_constantIbLb0EES1B_EEDaS16_S17_EUlS16_E_NS1_11comp_targetILNS1_3genE2ELNS1_11target_archE906ELNS1_3gpuE6ELNS1_3repE0EEENS1_30default_config_static_selectorELNS0_4arch9wavefront6targetE1EEEvT1_ ; -- Begin function _ZN7rocprim17ROCPRIM_400000_NS6detail17trampoline_kernelINS0_14default_configENS1_25partition_config_selectorILNS1_17partition_subalgoE1EsNS0_10empty_typeEbEEZZNS1_14partition_implILS5_1ELb0ES3_jN6thrust23THRUST_200600_302600_NS6detail15normal_iteratorINSA_10device_ptrIsEEEEPS6_NSA_18transform_iteratorI7is_evenIsESF_NSA_11use_defaultESK_EENS0_5tupleIJNSA_16discard_iteratorISK_EESF_EEENSM_IJSG_SG_EEES6_PlJS6_EEE10hipError_tPvRmT3_T4_T5_T6_T7_T9_mT8_P12ihipStream_tbDpT10_ENKUlT_T0_E_clISt17integral_constantIbLb0EES1B_EEDaS16_S17_EUlS16_E_NS1_11comp_targetILNS1_3genE2ELNS1_11target_archE906ELNS1_3gpuE6ELNS1_3repE0EEENS1_30default_config_static_selectorELNS0_4arch9wavefront6targetE1EEEvT1_
	.globl	_ZN7rocprim17ROCPRIM_400000_NS6detail17trampoline_kernelINS0_14default_configENS1_25partition_config_selectorILNS1_17partition_subalgoE1EsNS0_10empty_typeEbEEZZNS1_14partition_implILS5_1ELb0ES3_jN6thrust23THRUST_200600_302600_NS6detail15normal_iteratorINSA_10device_ptrIsEEEEPS6_NSA_18transform_iteratorI7is_evenIsESF_NSA_11use_defaultESK_EENS0_5tupleIJNSA_16discard_iteratorISK_EESF_EEENSM_IJSG_SG_EEES6_PlJS6_EEE10hipError_tPvRmT3_T4_T5_T6_T7_T9_mT8_P12ihipStream_tbDpT10_ENKUlT_T0_E_clISt17integral_constantIbLb0EES1B_EEDaS16_S17_EUlS16_E_NS1_11comp_targetILNS1_3genE2ELNS1_11target_archE906ELNS1_3gpuE6ELNS1_3repE0EEENS1_30default_config_static_selectorELNS0_4arch9wavefront6targetE1EEEvT1_
	.p2align	8
	.type	_ZN7rocprim17ROCPRIM_400000_NS6detail17trampoline_kernelINS0_14default_configENS1_25partition_config_selectorILNS1_17partition_subalgoE1EsNS0_10empty_typeEbEEZZNS1_14partition_implILS5_1ELb0ES3_jN6thrust23THRUST_200600_302600_NS6detail15normal_iteratorINSA_10device_ptrIsEEEEPS6_NSA_18transform_iteratorI7is_evenIsESF_NSA_11use_defaultESK_EENS0_5tupleIJNSA_16discard_iteratorISK_EESF_EEENSM_IJSG_SG_EEES6_PlJS6_EEE10hipError_tPvRmT3_T4_T5_T6_T7_T9_mT8_P12ihipStream_tbDpT10_ENKUlT_T0_E_clISt17integral_constantIbLb0EES1B_EEDaS16_S17_EUlS16_E_NS1_11comp_targetILNS1_3genE2ELNS1_11target_archE906ELNS1_3gpuE6ELNS1_3repE0EEENS1_30default_config_static_selectorELNS0_4arch9wavefront6targetE1EEEvT1_,@function
_ZN7rocprim17ROCPRIM_400000_NS6detail17trampoline_kernelINS0_14default_configENS1_25partition_config_selectorILNS1_17partition_subalgoE1EsNS0_10empty_typeEbEEZZNS1_14partition_implILS5_1ELb0ES3_jN6thrust23THRUST_200600_302600_NS6detail15normal_iteratorINSA_10device_ptrIsEEEEPS6_NSA_18transform_iteratorI7is_evenIsESF_NSA_11use_defaultESK_EENS0_5tupleIJNSA_16discard_iteratorISK_EESF_EEENSM_IJSG_SG_EEES6_PlJS6_EEE10hipError_tPvRmT3_T4_T5_T6_T7_T9_mT8_P12ihipStream_tbDpT10_ENKUlT_T0_E_clISt17integral_constantIbLb0EES1B_EEDaS16_S17_EUlS16_E_NS1_11comp_targetILNS1_3genE2ELNS1_11target_archE906ELNS1_3gpuE6ELNS1_3repE0EEENS1_30default_config_static_selectorELNS0_4arch9wavefront6targetE1EEEvT1_: ; @_ZN7rocprim17ROCPRIM_400000_NS6detail17trampoline_kernelINS0_14default_configENS1_25partition_config_selectorILNS1_17partition_subalgoE1EsNS0_10empty_typeEbEEZZNS1_14partition_implILS5_1ELb0ES3_jN6thrust23THRUST_200600_302600_NS6detail15normal_iteratorINSA_10device_ptrIsEEEEPS6_NSA_18transform_iteratorI7is_evenIsESF_NSA_11use_defaultESK_EENS0_5tupleIJNSA_16discard_iteratorISK_EESF_EEENSM_IJSG_SG_EEES6_PlJS6_EEE10hipError_tPvRmT3_T4_T5_T6_T7_T9_mT8_P12ihipStream_tbDpT10_ENKUlT_T0_E_clISt17integral_constantIbLb0EES1B_EEDaS16_S17_EUlS16_E_NS1_11comp_targetILNS1_3genE2ELNS1_11target_archE906ELNS1_3gpuE6ELNS1_3repE0EEENS1_30default_config_static_selectorELNS0_4arch9wavefront6targetE1EEEvT1_
; %bb.0:
	.section	.rodata,"a",@progbits
	.p2align	6, 0x0
	.amdhsa_kernel _ZN7rocprim17ROCPRIM_400000_NS6detail17trampoline_kernelINS0_14default_configENS1_25partition_config_selectorILNS1_17partition_subalgoE1EsNS0_10empty_typeEbEEZZNS1_14partition_implILS5_1ELb0ES3_jN6thrust23THRUST_200600_302600_NS6detail15normal_iteratorINSA_10device_ptrIsEEEEPS6_NSA_18transform_iteratorI7is_evenIsESF_NSA_11use_defaultESK_EENS0_5tupleIJNSA_16discard_iteratorISK_EESF_EEENSM_IJSG_SG_EEES6_PlJS6_EEE10hipError_tPvRmT3_T4_T5_T6_T7_T9_mT8_P12ihipStream_tbDpT10_ENKUlT_T0_E_clISt17integral_constantIbLb0EES1B_EEDaS16_S17_EUlS16_E_NS1_11comp_targetILNS1_3genE2ELNS1_11target_archE906ELNS1_3gpuE6ELNS1_3repE0EEENS1_30default_config_static_selectorELNS0_4arch9wavefront6targetE1EEEvT1_
		.amdhsa_group_segment_fixed_size 0
		.amdhsa_private_segment_fixed_size 0
		.amdhsa_kernarg_size 136
		.amdhsa_user_sgpr_count 2
		.amdhsa_user_sgpr_dispatch_ptr 0
		.amdhsa_user_sgpr_queue_ptr 0
		.amdhsa_user_sgpr_kernarg_segment_ptr 1
		.amdhsa_user_sgpr_dispatch_id 0
		.amdhsa_user_sgpr_kernarg_preload_length 0
		.amdhsa_user_sgpr_kernarg_preload_offset 0
		.amdhsa_user_sgpr_private_segment_size 0
		.amdhsa_uses_dynamic_stack 0
		.amdhsa_enable_private_segment 0
		.amdhsa_system_sgpr_workgroup_id_x 1
		.amdhsa_system_sgpr_workgroup_id_y 0
		.amdhsa_system_sgpr_workgroup_id_z 0
		.amdhsa_system_sgpr_workgroup_info 0
		.amdhsa_system_vgpr_workitem_id 0
		.amdhsa_next_free_vgpr 1
		.amdhsa_next_free_sgpr 0
		.amdhsa_accum_offset 4
		.amdhsa_reserve_vcc 0
		.amdhsa_float_round_mode_32 0
		.amdhsa_float_round_mode_16_64 0
		.amdhsa_float_denorm_mode_32 3
		.amdhsa_float_denorm_mode_16_64 3
		.amdhsa_dx10_clamp 1
		.amdhsa_ieee_mode 1
		.amdhsa_fp16_overflow 0
		.amdhsa_tg_split 0
		.amdhsa_exception_fp_ieee_invalid_op 0
		.amdhsa_exception_fp_denorm_src 0
		.amdhsa_exception_fp_ieee_div_zero 0
		.amdhsa_exception_fp_ieee_overflow 0
		.amdhsa_exception_fp_ieee_underflow 0
		.amdhsa_exception_fp_ieee_inexact 0
		.amdhsa_exception_int_div_zero 0
	.end_amdhsa_kernel
	.section	.text._ZN7rocprim17ROCPRIM_400000_NS6detail17trampoline_kernelINS0_14default_configENS1_25partition_config_selectorILNS1_17partition_subalgoE1EsNS0_10empty_typeEbEEZZNS1_14partition_implILS5_1ELb0ES3_jN6thrust23THRUST_200600_302600_NS6detail15normal_iteratorINSA_10device_ptrIsEEEEPS6_NSA_18transform_iteratorI7is_evenIsESF_NSA_11use_defaultESK_EENS0_5tupleIJNSA_16discard_iteratorISK_EESF_EEENSM_IJSG_SG_EEES6_PlJS6_EEE10hipError_tPvRmT3_T4_T5_T6_T7_T9_mT8_P12ihipStream_tbDpT10_ENKUlT_T0_E_clISt17integral_constantIbLb0EES1B_EEDaS16_S17_EUlS16_E_NS1_11comp_targetILNS1_3genE2ELNS1_11target_archE906ELNS1_3gpuE6ELNS1_3repE0EEENS1_30default_config_static_selectorELNS0_4arch9wavefront6targetE1EEEvT1_,"axG",@progbits,_ZN7rocprim17ROCPRIM_400000_NS6detail17trampoline_kernelINS0_14default_configENS1_25partition_config_selectorILNS1_17partition_subalgoE1EsNS0_10empty_typeEbEEZZNS1_14partition_implILS5_1ELb0ES3_jN6thrust23THRUST_200600_302600_NS6detail15normal_iteratorINSA_10device_ptrIsEEEEPS6_NSA_18transform_iteratorI7is_evenIsESF_NSA_11use_defaultESK_EENS0_5tupleIJNSA_16discard_iteratorISK_EESF_EEENSM_IJSG_SG_EEES6_PlJS6_EEE10hipError_tPvRmT3_T4_T5_T6_T7_T9_mT8_P12ihipStream_tbDpT10_ENKUlT_T0_E_clISt17integral_constantIbLb0EES1B_EEDaS16_S17_EUlS16_E_NS1_11comp_targetILNS1_3genE2ELNS1_11target_archE906ELNS1_3gpuE6ELNS1_3repE0EEENS1_30default_config_static_selectorELNS0_4arch9wavefront6targetE1EEEvT1_,comdat
.Lfunc_end3423:
	.size	_ZN7rocprim17ROCPRIM_400000_NS6detail17trampoline_kernelINS0_14default_configENS1_25partition_config_selectorILNS1_17partition_subalgoE1EsNS0_10empty_typeEbEEZZNS1_14partition_implILS5_1ELb0ES3_jN6thrust23THRUST_200600_302600_NS6detail15normal_iteratorINSA_10device_ptrIsEEEEPS6_NSA_18transform_iteratorI7is_evenIsESF_NSA_11use_defaultESK_EENS0_5tupleIJNSA_16discard_iteratorISK_EESF_EEENSM_IJSG_SG_EEES6_PlJS6_EEE10hipError_tPvRmT3_T4_T5_T6_T7_T9_mT8_P12ihipStream_tbDpT10_ENKUlT_T0_E_clISt17integral_constantIbLb0EES1B_EEDaS16_S17_EUlS16_E_NS1_11comp_targetILNS1_3genE2ELNS1_11target_archE906ELNS1_3gpuE6ELNS1_3repE0EEENS1_30default_config_static_selectorELNS0_4arch9wavefront6targetE1EEEvT1_, .Lfunc_end3423-_ZN7rocprim17ROCPRIM_400000_NS6detail17trampoline_kernelINS0_14default_configENS1_25partition_config_selectorILNS1_17partition_subalgoE1EsNS0_10empty_typeEbEEZZNS1_14partition_implILS5_1ELb0ES3_jN6thrust23THRUST_200600_302600_NS6detail15normal_iteratorINSA_10device_ptrIsEEEEPS6_NSA_18transform_iteratorI7is_evenIsESF_NSA_11use_defaultESK_EENS0_5tupleIJNSA_16discard_iteratorISK_EESF_EEENSM_IJSG_SG_EEES6_PlJS6_EEE10hipError_tPvRmT3_T4_T5_T6_T7_T9_mT8_P12ihipStream_tbDpT10_ENKUlT_T0_E_clISt17integral_constantIbLb0EES1B_EEDaS16_S17_EUlS16_E_NS1_11comp_targetILNS1_3genE2ELNS1_11target_archE906ELNS1_3gpuE6ELNS1_3repE0EEENS1_30default_config_static_selectorELNS0_4arch9wavefront6targetE1EEEvT1_
                                        ; -- End function
	.section	.AMDGPU.csdata,"",@progbits
; Kernel info:
; codeLenInByte = 0
; NumSgprs: 6
; NumVgprs: 0
; NumAgprs: 0
; TotalNumVgprs: 0
; ScratchSize: 0
; MemoryBound: 0
; FloatMode: 240
; IeeeMode: 1
; LDSByteSize: 0 bytes/workgroup (compile time only)
; SGPRBlocks: 0
; VGPRBlocks: 0
; NumSGPRsForWavesPerEU: 6
; NumVGPRsForWavesPerEU: 1
; AccumOffset: 4
; Occupancy: 8
; WaveLimiterHint : 0
; COMPUTE_PGM_RSRC2:SCRATCH_EN: 0
; COMPUTE_PGM_RSRC2:USER_SGPR: 2
; COMPUTE_PGM_RSRC2:TRAP_HANDLER: 0
; COMPUTE_PGM_RSRC2:TGID_X_EN: 1
; COMPUTE_PGM_RSRC2:TGID_Y_EN: 0
; COMPUTE_PGM_RSRC2:TGID_Z_EN: 0
; COMPUTE_PGM_RSRC2:TIDIG_COMP_CNT: 0
; COMPUTE_PGM_RSRC3_GFX90A:ACCUM_OFFSET: 0
; COMPUTE_PGM_RSRC3_GFX90A:TG_SPLIT: 0
	.section	.text._ZN7rocprim17ROCPRIM_400000_NS6detail17trampoline_kernelINS0_14default_configENS1_25partition_config_selectorILNS1_17partition_subalgoE1EsNS0_10empty_typeEbEEZZNS1_14partition_implILS5_1ELb0ES3_jN6thrust23THRUST_200600_302600_NS6detail15normal_iteratorINSA_10device_ptrIsEEEEPS6_NSA_18transform_iteratorI7is_evenIsESF_NSA_11use_defaultESK_EENS0_5tupleIJNSA_16discard_iteratorISK_EESF_EEENSM_IJSG_SG_EEES6_PlJS6_EEE10hipError_tPvRmT3_T4_T5_T6_T7_T9_mT8_P12ihipStream_tbDpT10_ENKUlT_T0_E_clISt17integral_constantIbLb0EES1B_EEDaS16_S17_EUlS16_E_NS1_11comp_targetILNS1_3genE10ELNS1_11target_archE1200ELNS1_3gpuE4ELNS1_3repE0EEENS1_30default_config_static_selectorELNS0_4arch9wavefront6targetE1EEEvT1_,"axG",@progbits,_ZN7rocprim17ROCPRIM_400000_NS6detail17trampoline_kernelINS0_14default_configENS1_25partition_config_selectorILNS1_17partition_subalgoE1EsNS0_10empty_typeEbEEZZNS1_14partition_implILS5_1ELb0ES3_jN6thrust23THRUST_200600_302600_NS6detail15normal_iteratorINSA_10device_ptrIsEEEEPS6_NSA_18transform_iteratorI7is_evenIsESF_NSA_11use_defaultESK_EENS0_5tupleIJNSA_16discard_iteratorISK_EESF_EEENSM_IJSG_SG_EEES6_PlJS6_EEE10hipError_tPvRmT3_T4_T5_T6_T7_T9_mT8_P12ihipStream_tbDpT10_ENKUlT_T0_E_clISt17integral_constantIbLb0EES1B_EEDaS16_S17_EUlS16_E_NS1_11comp_targetILNS1_3genE10ELNS1_11target_archE1200ELNS1_3gpuE4ELNS1_3repE0EEENS1_30default_config_static_selectorELNS0_4arch9wavefront6targetE1EEEvT1_,comdat
	.protected	_ZN7rocprim17ROCPRIM_400000_NS6detail17trampoline_kernelINS0_14default_configENS1_25partition_config_selectorILNS1_17partition_subalgoE1EsNS0_10empty_typeEbEEZZNS1_14partition_implILS5_1ELb0ES3_jN6thrust23THRUST_200600_302600_NS6detail15normal_iteratorINSA_10device_ptrIsEEEEPS6_NSA_18transform_iteratorI7is_evenIsESF_NSA_11use_defaultESK_EENS0_5tupleIJNSA_16discard_iteratorISK_EESF_EEENSM_IJSG_SG_EEES6_PlJS6_EEE10hipError_tPvRmT3_T4_T5_T6_T7_T9_mT8_P12ihipStream_tbDpT10_ENKUlT_T0_E_clISt17integral_constantIbLb0EES1B_EEDaS16_S17_EUlS16_E_NS1_11comp_targetILNS1_3genE10ELNS1_11target_archE1200ELNS1_3gpuE4ELNS1_3repE0EEENS1_30default_config_static_selectorELNS0_4arch9wavefront6targetE1EEEvT1_ ; -- Begin function _ZN7rocprim17ROCPRIM_400000_NS6detail17trampoline_kernelINS0_14default_configENS1_25partition_config_selectorILNS1_17partition_subalgoE1EsNS0_10empty_typeEbEEZZNS1_14partition_implILS5_1ELb0ES3_jN6thrust23THRUST_200600_302600_NS6detail15normal_iteratorINSA_10device_ptrIsEEEEPS6_NSA_18transform_iteratorI7is_evenIsESF_NSA_11use_defaultESK_EENS0_5tupleIJNSA_16discard_iteratorISK_EESF_EEENSM_IJSG_SG_EEES6_PlJS6_EEE10hipError_tPvRmT3_T4_T5_T6_T7_T9_mT8_P12ihipStream_tbDpT10_ENKUlT_T0_E_clISt17integral_constantIbLb0EES1B_EEDaS16_S17_EUlS16_E_NS1_11comp_targetILNS1_3genE10ELNS1_11target_archE1200ELNS1_3gpuE4ELNS1_3repE0EEENS1_30default_config_static_selectorELNS0_4arch9wavefront6targetE1EEEvT1_
	.globl	_ZN7rocprim17ROCPRIM_400000_NS6detail17trampoline_kernelINS0_14default_configENS1_25partition_config_selectorILNS1_17partition_subalgoE1EsNS0_10empty_typeEbEEZZNS1_14partition_implILS5_1ELb0ES3_jN6thrust23THRUST_200600_302600_NS6detail15normal_iteratorINSA_10device_ptrIsEEEEPS6_NSA_18transform_iteratorI7is_evenIsESF_NSA_11use_defaultESK_EENS0_5tupleIJNSA_16discard_iteratorISK_EESF_EEENSM_IJSG_SG_EEES6_PlJS6_EEE10hipError_tPvRmT3_T4_T5_T6_T7_T9_mT8_P12ihipStream_tbDpT10_ENKUlT_T0_E_clISt17integral_constantIbLb0EES1B_EEDaS16_S17_EUlS16_E_NS1_11comp_targetILNS1_3genE10ELNS1_11target_archE1200ELNS1_3gpuE4ELNS1_3repE0EEENS1_30default_config_static_selectorELNS0_4arch9wavefront6targetE1EEEvT1_
	.p2align	8
	.type	_ZN7rocprim17ROCPRIM_400000_NS6detail17trampoline_kernelINS0_14default_configENS1_25partition_config_selectorILNS1_17partition_subalgoE1EsNS0_10empty_typeEbEEZZNS1_14partition_implILS5_1ELb0ES3_jN6thrust23THRUST_200600_302600_NS6detail15normal_iteratorINSA_10device_ptrIsEEEEPS6_NSA_18transform_iteratorI7is_evenIsESF_NSA_11use_defaultESK_EENS0_5tupleIJNSA_16discard_iteratorISK_EESF_EEENSM_IJSG_SG_EEES6_PlJS6_EEE10hipError_tPvRmT3_T4_T5_T6_T7_T9_mT8_P12ihipStream_tbDpT10_ENKUlT_T0_E_clISt17integral_constantIbLb0EES1B_EEDaS16_S17_EUlS16_E_NS1_11comp_targetILNS1_3genE10ELNS1_11target_archE1200ELNS1_3gpuE4ELNS1_3repE0EEENS1_30default_config_static_selectorELNS0_4arch9wavefront6targetE1EEEvT1_,@function
_ZN7rocprim17ROCPRIM_400000_NS6detail17trampoline_kernelINS0_14default_configENS1_25partition_config_selectorILNS1_17partition_subalgoE1EsNS0_10empty_typeEbEEZZNS1_14partition_implILS5_1ELb0ES3_jN6thrust23THRUST_200600_302600_NS6detail15normal_iteratorINSA_10device_ptrIsEEEEPS6_NSA_18transform_iteratorI7is_evenIsESF_NSA_11use_defaultESK_EENS0_5tupleIJNSA_16discard_iteratorISK_EESF_EEENSM_IJSG_SG_EEES6_PlJS6_EEE10hipError_tPvRmT3_T4_T5_T6_T7_T9_mT8_P12ihipStream_tbDpT10_ENKUlT_T0_E_clISt17integral_constantIbLb0EES1B_EEDaS16_S17_EUlS16_E_NS1_11comp_targetILNS1_3genE10ELNS1_11target_archE1200ELNS1_3gpuE4ELNS1_3repE0EEENS1_30default_config_static_selectorELNS0_4arch9wavefront6targetE1EEEvT1_: ; @_ZN7rocprim17ROCPRIM_400000_NS6detail17trampoline_kernelINS0_14default_configENS1_25partition_config_selectorILNS1_17partition_subalgoE1EsNS0_10empty_typeEbEEZZNS1_14partition_implILS5_1ELb0ES3_jN6thrust23THRUST_200600_302600_NS6detail15normal_iteratorINSA_10device_ptrIsEEEEPS6_NSA_18transform_iteratorI7is_evenIsESF_NSA_11use_defaultESK_EENS0_5tupleIJNSA_16discard_iteratorISK_EESF_EEENSM_IJSG_SG_EEES6_PlJS6_EEE10hipError_tPvRmT3_T4_T5_T6_T7_T9_mT8_P12ihipStream_tbDpT10_ENKUlT_T0_E_clISt17integral_constantIbLb0EES1B_EEDaS16_S17_EUlS16_E_NS1_11comp_targetILNS1_3genE10ELNS1_11target_archE1200ELNS1_3gpuE4ELNS1_3repE0EEENS1_30default_config_static_selectorELNS0_4arch9wavefront6targetE1EEEvT1_
; %bb.0:
	.section	.rodata,"a",@progbits
	.p2align	6, 0x0
	.amdhsa_kernel _ZN7rocprim17ROCPRIM_400000_NS6detail17trampoline_kernelINS0_14default_configENS1_25partition_config_selectorILNS1_17partition_subalgoE1EsNS0_10empty_typeEbEEZZNS1_14partition_implILS5_1ELb0ES3_jN6thrust23THRUST_200600_302600_NS6detail15normal_iteratorINSA_10device_ptrIsEEEEPS6_NSA_18transform_iteratorI7is_evenIsESF_NSA_11use_defaultESK_EENS0_5tupleIJNSA_16discard_iteratorISK_EESF_EEENSM_IJSG_SG_EEES6_PlJS6_EEE10hipError_tPvRmT3_T4_T5_T6_T7_T9_mT8_P12ihipStream_tbDpT10_ENKUlT_T0_E_clISt17integral_constantIbLb0EES1B_EEDaS16_S17_EUlS16_E_NS1_11comp_targetILNS1_3genE10ELNS1_11target_archE1200ELNS1_3gpuE4ELNS1_3repE0EEENS1_30default_config_static_selectorELNS0_4arch9wavefront6targetE1EEEvT1_
		.amdhsa_group_segment_fixed_size 0
		.amdhsa_private_segment_fixed_size 0
		.amdhsa_kernarg_size 136
		.amdhsa_user_sgpr_count 2
		.amdhsa_user_sgpr_dispatch_ptr 0
		.amdhsa_user_sgpr_queue_ptr 0
		.amdhsa_user_sgpr_kernarg_segment_ptr 1
		.amdhsa_user_sgpr_dispatch_id 0
		.amdhsa_user_sgpr_kernarg_preload_length 0
		.amdhsa_user_sgpr_kernarg_preload_offset 0
		.amdhsa_user_sgpr_private_segment_size 0
		.amdhsa_uses_dynamic_stack 0
		.amdhsa_enable_private_segment 0
		.amdhsa_system_sgpr_workgroup_id_x 1
		.amdhsa_system_sgpr_workgroup_id_y 0
		.amdhsa_system_sgpr_workgroup_id_z 0
		.amdhsa_system_sgpr_workgroup_info 0
		.amdhsa_system_vgpr_workitem_id 0
		.amdhsa_next_free_vgpr 1
		.amdhsa_next_free_sgpr 0
		.amdhsa_accum_offset 4
		.amdhsa_reserve_vcc 0
		.amdhsa_float_round_mode_32 0
		.amdhsa_float_round_mode_16_64 0
		.amdhsa_float_denorm_mode_32 3
		.amdhsa_float_denorm_mode_16_64 3
		.amdhsa_dx10_clamp 1
		.amdhsa_ieee_mode 1
		.amdhsa_fp16_overflow 0
		.amdhsa_tg_split 0
		.amdhsa_exception_fp_ieee_invalid_op 0
		.amdhsa_exception_fp_denorm_src 0
		.amdhsa_exception_fp_ieee_div_zero 0
		.amdhsa_exception_fp_ieee_overflow 0
		.amdhsa_exception_fp_ieee_underflow 0
		.amdhsa_exception_fp_ieee_inexact 0
		.amdhsa_exception_int_div_zero 0
	.end_amdhsa_kernel
	.section	.text._ZN7rocprim17ROCPRIM_400000_NS6detail17trampoline_kernelINS0_14default_configENS1_25partition_config_selectorILNS1_17partition_subalgoE1EsNS0_10empty_typeEbEEZZNS1_14partition_implILS5_1ELb0ES3_jN6thrust23THRUST_200600_302600_NS6detail15normal_iteratorINSA_10device_ptrIsEEEEPS6_NSA_18transform_iteratorI7is_evenIsESF_NSA_11use_defaultESK_EENS0_5tupleIJNSA_16discard_iteratorISK_EESF_EEENSM_IJSG_SG_EEES6_PlJS6_EEE10hipError_tPvRmT3_T4_T5_T6_T7_T9_mT8_P12ihipStream_tbDpT10_ENKUlT_T0_E_clISt17integral_constantIbLb0EES1B_EEDaS16_S17_EUlS16_E_NS1_11comp_targetILNS1_3genE10ELNS1_11target_archE1200ELNS1_3gpuE4ELNS1_3repE0EEENS1_30default_config_static_selectorELNS0_4arch9wavefront6targetE1EEEvT1_,"axG",@progbits,_ZN7rocprim17ROCPRIM_400000_NS6detail17trampoline_kernelINS0_14default_configENS1_25partition_config_selectorILNS1_17partition_subalgoE1EsNS0_10empty_typeEbEEZZNS1_14partition_implILS5_1ELb0ES3_jN6thrust23THRUST_200600_302600_NS6detail15normal_iteratorINSA_10device_ptrIsEEEEPS6_NSA_18transform_iteratorI7is_evenIsESF_NSA_11use_defaultESK_EENS0_5tupleIJNSA_16discard_iteratorISK_EESF_EEENSM_IJSG_SG_EEES6_PlJS6_EEE10hipError_tPvRmT3_T4_T5_T6_T7_T9_mT8_P12ihipStream_tbDpT10_ENKUlT_T0_E_clISt17integral_constantIbLb0EES1B_EEDaS16_S17_EUlS16_E_NS1_11comp_targetILNS1_3genE10ELNS1_11target_archE1200ELNS1_3gpuE4ELNS1_3repE0EEENS1_30default_config_static_selectorELNS0_4arch9wavefront6targetE1EEEvT1_,comdat
.Lfunc_end3424:
	.size	_ZN7rocprim17ROCPRIM_400000_NS6detail17trampoline_kernelINS0_14default_configENS1_25partition_config_selectorILNS1_17partition_subalgoE1EsNS0_10empty_typeEbEEZZNS1_14partition_implILS5_1ELb0ES3_jN6thrust23THRUST_200600_302600_NS6detail15normal_iteratorINSA_10device_ptrIsEEEEPS6_NSA_18transform_iteratorI7is_evenIsESF_NSA_11use_defaultESK_EENS0_5tupleIJNSA_16discard_iteratorISK_EESF_EEENSM_IJSG_SG_EEES6_PlJS6_EEE10hipError_tPvRmT3_T4_T5_T6_T7_T9_mT8_P12ihipStream_tbDpT10_ENKUlT_T0_E_clISt17integral_constantIbLb0EES1B_EEDaS16_S17_EUlS16_E_NS1_11comp_targetILNS1_3genE10ELNS1_11target_archE1200ELNS1_3gpuE4ELNS1_3repE0EEENS1_30default_config_static_selectorELNS0_4arch9wavefront6targetE1EEEvT1_, .Lfunc_end3424-_ZN7rocprim17ROCPRIM_400000_NS6detail17trampoline_kernelINS0_14default_configENS1_25partition_config_selectorILNS1_17partition_subalgoE1EsNS0_10empty_typeEbEEZZNS1_14partition_implILS5_1ELb0ES3_jN6thrust23THRUST_200600_302600_NS6detail15normal_iteratorINSA_10device_ptrIsEEEEPS6_NSA_18transform_iteratorI7is_evenIsESF_NSA_11use_defaultESK_EENS0_5tupleIJNSA_16discard_iteratorISK_EESF_EEENSM_IJSG_SG_EEES6_PlJS6_EEE10hipError_tPvRmT3_T4_T5_T6_T7_T9_mT8_P12ihipStream_tbDpT10_ENKUlT_T0_E_clISt17integral_constantIbLb0EES1B_EEDaS16_S17_EUlS16_E_NS1_11comp_targetILNS1_3genE10ELNS1_11target_archE1200ELNS1_3gpuE4ELNS1_3repE0EEENS1_30default_config_static_selectorELNS0_4arch9wavefront6targetE1EEEvT1_
                                        ; -- End function
	.section	.AMDGPU.csdata,"",@progbits
; Kernel info:
; codeLenInByte = 0
; NumSgprs: 6
; NumVgprs: 0
; NumAgprs: 0
; TotalNumVgprs: 0
; ScratchSize: 0
; MemoryBound: 0
; FloatMode: 240
; IeeeMode: 1
; LDSByteSize: 0 bytes/workgroup (compile time only)
; SGPRBlocks: 0
; VGPRBlocks: 0
; NumSGPRsForWavesPerEU: 6
; NumVGPRsForWavesPerEU: 1
; AccumOffset: 4
; Occupancy: 8
; WaveLimiterHint : 0
; COMPUTE_PGM_RSRC2:SCRATCH_EN: 0
; COMPUTE_PGM_RSRC2:USER_SGPR: 2
; COMPUTE_PGM_RSRC2:TRAP_HANDLER: 0
; COMPUTE_PGM_RSRC2:TGID_X_EN: 1
; COMPUTE_PGM_RSRC2:TGID_Y_EN: 0
; COMPUTE_PGM_RSRC2:TGID_Z_EN: 0
; COMPUTE_PGM_RSRC2:TIDIG_COMP_CNT: 0
; COMPUTE_PGM_RSRC3_GFX90A:ACCUM_OFFSET: 0
; COMPUTE_PGM_RSRC3_GFX90A:TG_SPLIT: 0
	.section	.text._ZN7rocprim17ROCPRIM_400000_NS6detail17trampoline_kernelINS0_14default_configENS1_25partition_config_selectorILNS1_17partition_subalgoE1EsNS0_10empty_typeEbEEZZNS1_14partition_implILS5_1ELb0ES3_jN6thrust23THRUST_200600_302600_NS6detail15normal_iteratorINSA_10device_ptrIsEEEEPS6_NSA_18transform_iteratorI7is_evenIsESF_NSA_11use_defaultESK_EENS0_5tupleIJNSA_16discard_iteratorISK_EESF_EEENSM_IJSG_SG_EEES6_PlJS6_EEE10hipError_tPvRmT3_T4_T5_T6_T7_T9_mT8_P12ihipStream_tbDpT10_ENKUlT_T0_E_clISt17integral_constantIbLb0EES1B_EEDaS16_S17_EUlS16_E_NS1_11comp_targetILNS1_3genE9ELNS1_11target_archE1100ELNS1_3gpuE3ELNS1_3repE0EEENS1_30default_config_static_selectorELNS0_4arch9wavefront6targetE1EEEvT1_,"axG",@progbits,_ZN7rocprim17ROCPRIM_400000_NS6detail17trampoline_kernelINS0_14default_configENS1_25partition_config_selectorILNS1_17partition_subalgoE1EsNS0_10empty_typeEbEEZZNS1_14partition_implILS5_1ELb0ES3_jN6thrust23THRUST_200600_302600_NS6detail15normal_iteratorINSA_10device_ptrIsEEEEPS6_NSA_18transform_iteratorI7is_evenIsESF_NSA_11use_defaultESK_EENS0_5tupleIJNSA_16discard_iteratorISK_EESF_EEENSM_IJSG_SG_EEES6_PlJS6_EEE10hipError_tPvRmT3_T4_T5_T6_T7_T9_mT8_P12ihipStream_tbDpT10_ENKUlT_T0_E_clISt17integral_constantIbLb0EES1B_EEDaS16_S17_EUlS16_E_NS1_11comp_targetILNS1_3genE9ELNS1_11target_archE1100ELNS1_3gpuE3ELNS1_3repE0EEENS1_30default_config_static_selectorELNS0_4arch9wavefront6targetE1EEEvT1_,comdat
	.protected	_ZN7rocprim17ROCPRIM_400000_NS6detail17trampoline_kernelINS0_14default_configENS1_25partition_config_selectorILNS1_17partition_subalgoE1EsNS0_10empty_typeEbEEZZNS1_14partition_implILS5_1ELb0ES3_jN6thrust23THRUST_200600_302600_NS6detail15normal_iteratorINSA_10device_ptrIsEEEEPS6_NSA_18transform_iteratorI7is_evenIsESF_NSA_11use_defaultESK_EENS0_5tupleIJNSA_16discard_iteratorISK_EESF_EEENSM_IJSG_SG_EEES6_PlJS6_EEE10hipError_tPvRmT3_T4_T5_T6_T7_T9_mT8_P12ihipStream_tbDpT10_ENKUlT_T0_E_clISt17integral_constantIbLb0EES1B_EEDaS16_S17_EUlS16_E_NS1_11comp_targetILNS1_3genE9ELNS1_11target_archE1100ELNS1_3gpuE3ELNS1_3repE0EEENS1_30default_config_static_selectorELNS0_4arch9wavefront6targetE1EEEvT1_ ; -- Begin function _ZN7rocprim17ROCPRIM_400000_NS6detail17trampoline_kernelINS0_14default_configENS1_25partition_config_selectorILNS1_17partition_subalgoE1EsNS0_10empty_typeEbEEZZNS1_14partition_implILS5_1ELb0ES3_jN6thrust23THRUST_200600_302600_NS6detail15normal_iteratorINSA_10device_ptrIsEEEEPS6_NSA_18transform_iteratorI7is_evenIsESF_NSA_11use_defaultESK_EENS0_5tupleIJNSA_16discard_iteratorISK_EESF_EEENSM_IJSG_SG_EEES6_PlJS6_EEE10hipError_tPvRmT3_T4_T5_T6_T7_T9_mT8_P12ihipStream_tbDpT10_ENKUlT_T0_E_clISt17integral_constantIbLb0EES1B_EEDaS16_S17_EUlS16_E_NS1_11comp_targetILNS1_3genE9ELNS1_11target_archE1100ELNS1_3gpuE3ELNS1_3repE0EEENS1_30default_config_static_selectorELNS0_4arch9wavefront6targetE1EEEvT1_
	.globl	_ZN7rocprim17ROCPRIM_400000_NS6detail17trampoline_kernelINS0_14default_configENS1_25partition_config_selectorILNS1_17partition_subalgoE1EsNS0_10empty_typeEbEEZZNS1_14partition_implILS5_1ELb0ES3_jN6thrust23THRUST_200600_302600_NS6detail15normal_iteratorINSA_10device_ptrIsEEEEPS6_NSA_18transform_iteratorI7is_evenIsESF_NSA_11use_defaultESK_EENS0_5tupleIJNSA_16discard_iteratorISK_EESF_EEENSM_IJSG_SG_EEES6_PlJS6_EEE10hipError_tPvRmT3_T4_T5_T6_T7_T9_mT8_P12ihipStream_tbDpT10_ENKUlT_T0_E_clISt17integral_constantIbLb0EES1B_EEDaS16_S17_EUlS16_E_NS1_11comp_targetILNS1_3genE9ELNS1_11target_archE1100ELNS1_3gpuE3ELNS1_3repE0EEENS1_30default_config_static_selectorELNS0_4arch9wavefront6targetE1EEEvT1_
	.p2align	8
	.type	_ZN7rocprim17ROCPRIM_400000_NS6detail17trampoline_kernelINS0_14default_configENS1_25partition_config_selectorILNS1_17partition_subalgoE1EsNS0_10empty_typeEbEEZZNS1_14partition_implILS5_1ELb0ES3_jN6thrust23THRUST_200600_302600_NS6detail15normal_iteratorINSA_10device_ptrIsEEEEPS6_NSA_18transform_iteratorI7is_evenIsESF_NSA_11use_defaultESK_EENS0_5tupleIJNSA_16discard_iteratorISK_EESF_EEENSM_IJSG_SG_EEES6_PlJS6_EEE10hipError_tPvRmT3_T4_T5_T6_T7_T9_mT8_P12ihipStream_tbDpT10_ENKUlT_T0_E_clISt17integral_constantIbLb0EES1B_EEDaS16_S17_EUlS16_E_NS1_11comp_targetILNS1_3genE9ELNS1_11target_archE1100ELNS1_3gpuE3ELNS1_3repE0EEENS1_30default_config_static_selectorELNS0_4arch9wavefront6targetE1EEEvT1_,@function
_ZN7rocprim17ROCPRIM_400000_NS6detail17trampoline_kernelINS0_14default_configENS1_25partition_config_selectorILNS1_17partition_subalgoE1EsNS0_10empty_typeEbEEZZNS1_14partition_implILS5_1ELb0ES3_jN6thrust23THRUST_200600_302600_NS6detail15normal_iteratorINSA_10device_ptrIsEEEEPS6_NSA_18transform_iteratorI7is_evenIsESF_NSA_11use_defaultESK_EENS0_5tupleIJNSA_16discard_iteratorISK_EESF_EEENSM_IJSG_SG_EEES6_PlJS6_EEE10hipError_tPvRmT3_T4_T5_T6_T7_T9_mT8_P12ihipStream_tbDpT10_ENKUlT_T0_E_clISt17integral_constantIbLb0EES1B_EEDaS16_S17_EUlS16_E_NS1_11comp_targetILNS1_3genE9ELNS1_11target_archE1100ELNS1_3gpuE3ELNS1_3repE0EEENS1_30default_config_static_selectorELNS0_4arch9wavefront6targetE1EEEvT1_: ; @_ZN7rocprim17ROCPRIM_400000_NS6detail17trampoline_kernelINS0_14default_configENS1_25partition_config_selectorILNS1_17partition_subalgoE1EsNS0_10empty_typeEbEEZZNS1_14partition_implILS5_1ELb0ES3_jN6thrust23THRUST_200600_302600_NS6detail15normal_iteratorINSA_10device_ptrIsEEEEPS6_NSA_18transform_iteratorI7is_evenIsESF_NSA_11use_defaultESK_EENS0_5tupleIJNSA_16discard_iteratorISK_EESF_EEENSM_IJSG_SG_EEES6_PlJS6_EEE10hipError_tPvRmT3_T4_T5_T6_T7_T9_mT8_P12ihipStream_tbDpT10_ENKUlT_T0_E_clISt17integral_constantIbLb0EES1B_EEDaS16_S17_EUlS16_E_NS1_11comp_targetILNS1_3genE9ELNS1_11target_archE1100ELNS1_3gpuE3ELNS1_3repE0EEENS1_30default_config_static_selectorELNS0_4arch9wavefront6targetE1EEEvT1_
; %bb.0:
	.section	.rodata,"a",@progbits
	.p2align	6, 0x0
	.amdhsa_kernel _ZN7rocprim17ROCPRIM_400000_NS6detail17trampoline_kernelINS0_14default_configENS1_25partition_config_selectorILNS1_17partition_subalgoE1EsNS0_10empty_typeEbEEZZNS1_14partition_implILS5_1ELb0ES3_jN6thrust23THRUST_200600_302600_NS6detail15normal_iteratorINSA_10device_ptrIsEEEEPS6_NSA_18transform_iteratorI7is_evenIsESF_NSA_11use_defaultESK_EENS0_5tupleIJNSA_16discard_iteratorISK_EESF_EEENSM_IJSG_SG_EEES6_PlJS6_EEE10hipError_tPvRmT3_T4_T5_T6_T7_T9_mT8_P12ihipStream_tbDpT10_ENKUlT_T0_E_clISt17integral_constantIbLb0EES1B_EEDaS16_S17_EUlS16_E_NS1_11comp_targetILNS1_3genE9ELNS1_11target_archE1100ELNS1_3gpuE3ELNS1_3repE0EEENS1_30default_config_static_selectorELNS0_4arch9wavefront6targetE1EEEvT1_
		.amdhsa_group_segment_fixed_size 0
		.amdhsa_private_segment_fixed_size 0
		.amdhsa_kernarg_size 136
		.amdhsa_user_sgpr_count 2
		.amdhsa_user_sgpr_dispatch_ptr 0
		.amdhsa_user_sgpr_queue_ptr 0
		.amdhsa_user_sgpr_kernarg_segment_ptr 1
		.amdhsa_user_sgpr_dispatch_id 0
		.amdhsa_user_sgpr_kernarg_preload_length 0
		.amdhsa_user_sgpr_kernarg_preload_offset 0
		.amdhsa_user_sgpr_private_segment_size 0
		.amdhsa_uses_dynamic_stack 0
		.amdhsa_enable_private_segment 0
		.amdhsa_system_sgpr_workgroup_id_x 1
		.amdhsa_system_sgpr_workgroup_id_y 0
		.amdhsa_system_sgpr_workgroup_id_z 0
		.amdhsa_system_sgpr_workgroup_info 0
		.amdhsa_system_vgpr_workitem_id 0
		.amdhsa_next_free_vgpr 1
		.amdhsa_next_free_sgpr 0
		.amdhsa_accum_offset 4
		.amdhsa_reserve_vcc 0
		.amdhsa_float_round_mode_32 0
		.amdhsa_float_round_mode_16_64 0
		.amdhsa_float_denorm_mode_32 3
		.amdhsa_float_denorm_mode_16_64 3
		.amdhsa_dx10_clamp 1
		.amdhsa_ieee_mode 1
		.amdhsa_fp16_overflow 0
		.amdhsa_tg_split 0
		.amdhsa_exception_fp_ieee_invalid_op 0
		.amdhsa_exception_fp_denorm_src 0
		.amdhsa_exception_fp_ieee_div_zero 0
		.amdhsa_exception_fp_ieee_overflow 0
		.amdhsa_exception_fp_ieee_underflow 0
		.amdhsa_exception_fp_ieee_inexact 0
		.amdhsa_exception_int_div_zero 0
	.end_amdhsa_kernel
	.section	.text._ZN7rocprim17ROCPRIM_400000_NS6detail17trampoline_kernelINS0_14default_configENS1_25partition_config_selectorILNS1_17partition_subalgoE1EsNS0_10empty_typeEbEEZZNS1_14partition_implILS5_1ELb0ES3_jN6thrust23THRUST_200600_302600_NS6detail15normal_iteratorINSA_10device_ptrIsEEEEPS6_NSA_18transform_iteratorI7is_evenIsESF_NSA_11use_defaultESK_EENS0_5tupleIJNSA_16discard_iteratorISK_EESF_EEENSM_IJSG_SG_EEES6_PlJS6_EEE10hipError_tPvRmT3_T4_T5_T6_T7_T9_mT8_P12ihipStream_tbDpT10_ENKUlT_T0_E_clISt17integral_constantIbLb0EES1B_EEDaS16_S17_EUlS16_E_NS1_11comp_targetILNS1_3genE9ELNS1_11target_archE1100ELNS1_3gpuE3ELNS1_3repE0EEENS1_30default_config_static_selectorELNS0_4arch9wavefront6targetE1EEEvT1_,"axG",@progbits,_ZN7rocprim17ROCPRIM_400000_NS6detail17trampoline_kernelINS0_14default_configENS1_25partition_config_selectorILNS1_17partition_subalgoE1EsNS0_10empty_typeEbEEZZNS1_14partition_implILS5_1ELb0ES3_jN6thrust23THRUST_200600_302600_NS6detail15normal_iteratorINSA_10device_ptrIsEEEEPS6_NSA_18transform_iteratorI7is_evenIsESF_NSA_11use_defaultESK_EENS0_5tupleIJNSA_16discard_iteratorISK_EESF_EEENSM_IJSG_SG_EEES6_PlJS6_EEE10hipError_tPvRmT3_T4_T5_T6_T7_T9_mT8_P12ihipStream_tbDpT10_ENKUlT_T0_E_clISt17integral_constantIbLb0EES1B_EEDaS16_S17_EUlS16_E_NS1_11comp_targetILNS1_3genE9ELNS1_11target_archE1100ELNS1_3gpuE3ELNS1_3repE0EEENS1_30default_config_static_selectorELNS0_4arch9wavefront6targetE1EEEvT1_,comdat
.Lfunc_end3425:
	.size	_ZN7rocprim17ROCPRIM_400000_NS6detail17trampoline_kernelINS0_14default_configENS1_25partition_config_selectorILNS1_17partition_subalgoE1EsNS0_10empty_typeEbEEZZNS1_14partition_implILS5_1ELb0ES3_jN6thrust23THRUST_200600_302600_NS6detail15normal_iteratorINSA_10device_ptrIsEEEEPS6_NSA_18transform_iteratorI7is_evenIsESF_NSA_11use_defaultESK_EENS0_5tupleIJNSA_16discard_iteratorISK_EESF_EEENSM_IJSG_SG_EEES6_PlJS6_EEE10hipError_tPvRmT3_T4_T5_T6_T7_T9_mT8_P12ihipStream_tbDpT10_ENKUlT_T0_E_clISt17integral_constantIbLb0EES1B_EEDaS16_S17_EUlS16_E_NS1_11comp_targetILNS1_3genE9ELNS1_11target_archE1100ELNS1_3gpuE3ELNS1_3repE0EEENS1_30default_config_static_selectorELNS0_4arch9wavefront6targetE1EEEvT1_, .Lfunc_end3425-_ZN7rocprim17ROCPRIM_400000_NS6detail17trampoline_kernelINS0_14default_configENS1_25partition_config_selectorILNS1_17partition_subalgoE1EsNS0_10empty_typeEbEEZZNS1_14partition_implILS5_1ELb0ES3_jN6thrust23THRUST_200600_302600_NS6detail15normal_iteratorINSA_10device_ptrIsEEEEPS6_NSA_18transform_iteratorI7is_evenIsESF_NSA_11use_defaultESK_EENS0_5tupleIJNSA_16discard_iteratorISK_EESF_EEENSM_IJSG_SG_EEES6_PlJS6_EEE10hipError_tPvRmT3_T4_T5_T6_T7_T9_mT8_P12ihipStream_tbDpT10_ENKUlT_T0_E_clISt17integral_constantIbLb0EES1B_EEDaS16_S17_EUlS16_E_NS1_11comp_targetILNS1_3genE9ELNS1_11target_archE1100ELNS1_3gpuE3ELNS1_3repE0EEENS1_30default_config_static_selectorELNS0_4arch9wavefront6targetE1EEEvT1_
                                        ; -- End function
	.section	.AMDGPU.csdata,"",@progbits
; Kernel info:
; codeLenInByte = 0
; NumSgprs: 6
; NumVgprs: 0
; NumAgprs: 0
; TotalNumVgprs: 0
; ScratchSize: 0
; MemoryBound: 0
; FloatMode: 240
; IeeeMode: 1
; LDSByteSize: 0 bytes/workgroup (compile time only)
; SGPRBlocks: 0
; VGPRBlocks: 0
; NumSGPRsForWavesPerEU: 6
; NumVGPRsForWavesPerEU: 1
; AccumOffset: 4
; Occupancy: 8
; WaveLimiterHint : 0
; COMPUTE_PGM_RSRC2:SCRATCH_EN: 0
; COMPUTE_PGM_RSRC2:USER_SGPR: 2
; COMPUTE_PGM_RSRC2:TRAP_HANDLER: 0
; COMPUTE_PGM_RSRC2:TGID_X_EN: 1
; COMPUTE_PGM_RSRC2:TGID_Y_EN: 0
; COMPUTE_PGM_RSRC2:TGID_Z_EN: 0
; COMPUTE_PGM_RSRC2:TIDIG_COMP_CNT: 0
; COMPUTE_PGM_RSRC3_GFX90A:ACCUM_OFFSET: 0
; COMPUTE_PGM_RSRC3_GFX90A:TG_SPLIT: 0
	.section	.text._ZN7rocprim17ROCPRIM_400000_NS6detail17trampoline_kernelINS0_14default_configENS1_25partition_config_selectorILNS1_17partition_subalgoE1EsNS0_10empty_typeEbEEZZNS1_14partition_implILS5_1ELb0ES3_jN6thrust23THRUST_200600_302600_NS6detail15normal_iteratorINSA_10device_ptrIsEEEEPS6_NSA_18transform_iteratorI7is_evenIsESF_NSA_11use_defaultESK_EENS0_5tupleIJNSA_16discard_iteratorISK_EESF_EEENSM_IJSG_SG_EEES6_PlJS6_EEE10hipError_tPvRmT3_T4_T5_T6_T7_T9_mT8_P12ihipStream_tbDpT10_ENKUlT_T0_E_clISt17integral_constantIbLb0EES1B_EEDaS16_S17_EUlS16_E_NS1_11comp_targetILNS1_3genE8ELNS1_11target_archE1030ELNS1_3gpuE2ELNS1_3repE0EEENS1_30default_config_static_selectorELNS0_4arch9wavefront6targetE1EEEvT1_,"axG",@progbits,_ZN7rocprim17ROCPRIM_400000_NS6detail17trampoline_kernelINS0_14default_configENS1_25partition_config_selectorILNS1_17partition_subalgoE1EsNS0_10empty_typeEbEEZZNS1_14partition_implILS5_1ELb0ES3_jN6thrust23THRUST_200600_302600_NS6detail15normal_iteratorINSA_10device_ptrIsEEEEPS6_NSA_18transform_iteratorI7is_evenIsESF_NSA_11use_defaultESK_EENS0_5tupleIJNSA_16discard_iteratorISK_EESF_EEENSM_IJSG_SG_EEES6_PlJS6_EEE10hipError_tPvRmT3_T4_T5_T6_T7_T9_mT8_P12ihipStream_tbDpT10_ENKUlT_T0_E_clISt17integral_constantIbLb0EES1B_EEDaS16_S17_EUlS16_E_NS1_11comp_targetILNS1_3genE8ELNS1_11target_archE1030ELNS1_3gpuE2ELNS1_3repE0EEENS1_30default_config_static_selectorELNS0_4arch9wavefront6targetE1EEEvT1_,comdat
	.protected	_ZN7rocprim17ROCPRIM_400000_NS6detail17trampoline_kernelINS0_14default_configENS1_25partition_config_selectorILNS1_17partition_subalgoE1EsNS0_10empty_typeEbEEZZNS1_14partition_implILS5_1ELb0ES3_jN6thrust23THRUST_200600_302600_NS6detail15normal_iteratorINSA_10device_ptrIsEEEEPS6_NSA_18transform_iteratorI7is_evenIsESF_NSA_11use_defaultESK_EENS0_5tupleIJNSA_16discard_iteratorISK_EESF_EEENSM_IJSG_SG_EEES6_PlJS6_EEE10hipError_tPvRmT3_T4_T5_T6_T7_T9_mT8_P12ihipStream_tbDpT10_ENKUlT_T0_E_clISt17integral_constantIbLb0EES1B_EEDaS16_S17_EUlS16_E_NS1_11comp_targetILNS1_3genE8ELNS1_11target_archE1030ELNS1_3gpuE2ELNS1_3repE0EEENS1_30default_config_static_selectorELNS0_4arch9wavefront6targetE1EEEvT1_ ; -- Begin function _ZN7rocprim17ROCPRIM_400000_NS6detail17trampoline_kernelINS0_14default_configENS1_25partition_config_selectorILNS1_17partition_subalgoE1EsNS0_10empty_typeEbEEZZNS1_14partition_implILS5_1ELb0ES3_jN6thrust23THRUST_200600_302600_NS6detail15normal_iteratorINSA_10device_ptrIsEEEEPS6_NSA_18transform_iteratorI7is_evenIsESF_NSA_11use_defaultESK_EENS0_5tupleIJNSA_16discard_iteratorISK_EESF_EEENSM_IJSG_SG_EEES6_PlJS6_EEE10hipError_tPvRmT3_T4_T5_T6_T7_T9_mT8_P12ihipStream_tbDpT10_ENKUlT_T0_E_clISt17integral_constantIbLb0EES1B_EEDaS16_S17_EUlS16_E_NS1_11comp_targetILNS1_3genE8ELNS1_11target_archE1030ELNS1_3gpuE2ELNS1_3repE0EEENS1_30default_config_static_selectorELNS0_4arch9wavefront6targetE1EEEvT1_
	.globl	_ZN7rocprim17ROCPRIM_400000_NS6detail17trampoline_kernelINS0_14default_configENS1_25partition_config_selectorILNS1_17partition_subalgoE1EsNS0_10empty_typeEbEEZZNS1_14partition_implILS5_1ELb0ES3_jN6thrust23THRUST_200600_302600_NS6detail15normal_iteratorINSA_10device_ptrIsEEEEPS6_NSA_18transform_iteratorI7is_evenIsESF_NSA_11use_defaultESK_EENS0_5tupleIJNSA_16discard_iteratorISK_EESF_EEENSM_IJSG_SG_EEES6_PlJS6_EEE10hipError_tPvRmT3_T4_T5_T6_T7_T9_mT8_P12ihipStream_tbDpT10_ENKUlT_T0_E_clISt17integral_constantIbLb0EES1B_EEDaS16_S17_EUlS16_E_NS1_11comp_targetILNS1_3genE8ELNS1_11target_archE1030ELNS1_3gpuE2ELNS1_3repE0EEENS1_30default_config_static_selectorELNS0_4arch9wavefront6targetE1EEEvT1_
	.p2align	8
	.type	_ZN7rocprim17ROCPRIM_400000_NS6detail17trampoline_kernelINS0_14default_configENS1_25partition_config_selectorILNS1_17partition_subalgoE1EsNS0_10empty_typeEbEEZZNS1_14partition_implILS5_1ELb0ES3_jN6thrust23THRUST_200600_302600_NS6detail15normal_iteratorINSA_10device_ptrIsEEEEPS6_NSA_18transform_iteratorI7is_evenIsESF_NSA_11use_defaultESK_EENS0_5tupleIJNSA_16discard_iteratorISK_EESF_EEENSM_IJSG_SG_EEES6_PlJS6_EEE10hipError_tPvRmT3_T4_T5_T6_T7_T9_mT8_P12ihipStream_tbDpT10_ENKUlT_T0_E_clISt17integral_constantIbLb0EES1B_EEDaS16_S17_EUlS16_E_NS1_11comp_targetILNS1_3genE8ELNS1_11target_archE1030ELNS1_3gpuE2ELNS1_3repE0EEENS1_30default_config_static_selectorELNS0_4arch9wavefront6targetE1EEEvT1_,@function
_ZN7rocprim17ROCPRIM_400000_NS6detail17trampoline_kernelINS0_14default_configENS1_25partition_config_selectorILNS1_17partition_subalgoE1EsNS0_10empty_typeEbEEZZNS1_14partition_implILS5_1ELb0ES3_jN6thrust23THRUST_200600_302600_NS6detail15normal_iteratorINSA_10device_ptrIsEEEEPS6_NSA_18transform_iteratorI7is_evenIsESF_NSA_11use_defaultESK_EENS0_5tupleIJNSA_16discard_iteratorISK_EESF_EEENSM_IJSG_SG_EEES6_PlJS6_EEE10hipError_tPvRmT3_T4_T5_T6_T7_T9_mT8_P12ihipStream_tbDpT10_ENKUlT_T0_E_clISt17integral_constantIbLb0EES1B_EEDaS16_S17_EUlS16_E_NS1_11comp_targetILNS1_3genE8ELNS1_11target_archE1030ELNS1_3gpuE2ELNS1_3repE0EEENS1_30default_config_static_selectorELNS0_4arch9wavefront6targetE1EEEvT1_: ; @_ZN7rocprim17ROCPRIM_400000_NS6detail17trampoline_kernelINS0_14default_configENS1_25partition_config_selectorILNS1_17partition_subalgoE1EsNS0_10empty_typeEbEEZZNS1_14partition_implILS5_1ELb0ES3_jN6thrust23THRUST_200600_302600_NS6detail15normal_iteratorINSA_10device_ptrIsEEEEPS6_NSA_18transform_iteratorI7is_evenIsESF_NSA_11use_defaultESK_EENS0_5tupleIJNSA_16discard_iteratorISK_EESF_EEENSM_IJSG_SG_EEES6_PlJS6_EEE10hipError_tPvRmT3_T4_T5_T6_T7_T9_mT8_P12ihipStream_tbDpT10_ENKUlT_T0_E_clISt17integral_constantIbLb0EES1B_EEDaS16_S17_EUlS16_E_NS1_11comp_targetILNS1_3genE8ELNS1_11target_archE1030ELNS1_3gpuE2ELNS1_3repE0EEENS1_30default_config_static_selectorELNS0_4arch9wavefront6targetE1EEEvT1_
; %bb.0:
	.section	.rodata,"a",@progbits
	.p2align	6, 0x0
	.amdhsa_kernel _ZN7rocprim17ROCPRIM_400000_NS6detail17trampoline_kernelINS0_14default_configENS1_25partition_config_selectorILNS1_17partition_subalgoE1EsNS0_10empty_typeEbEEZZNS1_14partition_implILS5_1ELb0ES3_jN6thrust23THRUST_200600_302600_NS6detail15normal_iteratorINSA_10device_ptrIsEEEEPS6_NSA_18transform_iteratorI7is_evenIsESF_NSA_11use_defaultESK_EENS0_5tupleIJNSA_16discard_iteratorISK_EESF_EEENSM_IJSG_SG_EEES6_PlJS6_EEE10hipError_tPvRmT3_T4_T5_T6_T7_T9_mT8_P12ihipStream_tbDpT10_ENKUlT_T0_E_clISt17integral_constantIbLb0EES1B_EEDaS16_S17_EUlS16_E_NS1_11comp_targetILNS1_3genE8ELNS1_11target_archE1030ELNS1_3gpuE2ELNS1_3repE0EEENS1_30default_config_static_selectorELNS0_4arch9wavefront6targetE1EEEvT1_
		.amdhsa_group_segment_fixed_size 0
		.amdhsa_private_segment_fixed_size 0
		.amdhsa_kernarg_size 136
		.amdhsa_user_sgpr_count 2
		.amdhsa_user_sgpr_dispatch_ptr 0
		.amdhsa_user_sgpr_queue_ptr 0
		.amdhsa_user_sgpr_kernarg_segment_ptr 1
		.amdhsa_user_sgpr_dispatch_id 0
		.amdhsa_user_sgpr_kernarg_preload_length 0
		.amdhsa_user_sgpr_kernarg_preload_offset 0
		.amdhsa_user_sgpr_private_segment_size 0
		.amdhsa_uses_dynamic_stack 0
		.amdhsa_enable_private_segment 0
		.amdhsa_system_sgpr_workgroup_id_x 1
		.amdhsa_system_sgpr_workgroup_id_y 0
		.amdhsa_system_sgpr_workgroup_id_z 0
		.amdhsa_system_sgpr_workgroup_info 0
		.amdhsa_system_vgpr_workitem_id 0
		.amdhsa_next_free_vgpr 1
		.amdhsa_next_free_sgpr 0
		.amdhsa_accum_offset 4
		.amdhsa_reserve_vcc 0
		.amdhsa_float_round_mode_32 0
		.amdhsa_float_round_mode_16_64 0
		.amdhsa_float_denorm_mode_32 3
		.amdhsa_float_denorm_mode_16_64 3
		.amdhsa_dx10_clamp 1
		.amdhsa_ieee_mode 1
		.amdhsa_fp16_overflow 0
		.amdhsa_tg_split 0
		.amdhsa_exception_fp_ieee_invalid_op 0
		.amdhsa_exception_fp_denorm_src 0
		.amdhsa_exception_fp_ieee_div_zero 0
		.amdhsa_exception_fp_ieee_overflow 0
		.amdhsa_exception_fp_ieee_underflow 0
		.amdhsa_exception_fp_ieee_inexact 0
		.amdhsa_exception_int_div_zero 0
	.end_amdhsa_kernel
	.section	.text._ZN7rocprim17ROCPRIM_400000_NS6detail17trampoline_kernelINS0_14default_configENS1_25partition_config_selectorILNS1_17partition_subalgoE1EsNS0_10empty_typeEbEEZZNS1_14partition_implILS5_1ELb0ES3_jN6thrust23THRUST_200600_302600_NS6detail15normal_iteratorINSA_10device_ptrIsEEEEPS6_NSA_18transform_iteratorI7is_evenIsESF_NSA_11use_defaultESK_EENS0_5tupleIJNSA_16discard_iteratorISK_EESF_EEENSM_IJSG_SG_EEES6_PlJS6_EEE10hipError_tPvRmT3_T4_T5_T6_T7_T9_mT8_P12ihipStream_tbDpT10_ENKUlT_T0_E_clISt17integral_constantIbLb0EES1B_EEDaS16_S17_EUlS16_E_NS1_11comp_targetILNS1_3genE8ELNS1_11target_archE1030ELNS1_3gpuE2ELNS1_3repE0EEENS1_30default_config_static_selectorELNS0_4arch9wavefront6targetE1EEEvT1_,"axG",@progbits,_ZN7rocprim17ROCPRIM_400000_NS6detail17trampoline_kernelINS0_14default_configENS1_25partition_config_selectorILNS1_17partition_subalgoE1EsNS0_10empty_typeEbEEZZNS1_14partition_implILS5_1ELb0ES3_jN6thrust23THRUST_200600_302600_NS6detail15normal_iteratorINSA_10device_ptrIsEEEEPS6_NSA_18transform_iteratorI7is_evenIsESF_NSA_11use_defaultESK_EENS0_5tupleIJNSA_16discard_iteratorISK_EESF_EEENSM_IJSG_SG_EEES6_PlJS6_EEE10hipError_tPvRmT3_T4_T5_T6_T7_T9_mT8_P12ihipStream_tbDpT10_ENKUlT_T0_E_clISt17integral_constantIbLb0EES1B_EEDaS16_S17_EUlS16_E_NS1_11comp_targetILNS1_3genE8ELNS1_11target_archE1030ELNS1_3gpuE2ELNS1_3repE0EEENS1_30default_config_static_selectorELNS0_4arch9wavefront6targetE1EEEvT1_,comdat
.Lfunc_end3426:
	.size	_ZN7rocprim17ROCPRIM_400000_NS6detail17trampoline_kernelINS0_14default_configENS1_25partition_config_selectorILNS1_17partition_subalgoE1EsNS0_10empty_typeEbEEZZNS1_14partition_implILS5_1ELb0ES3_jN6thrust23THRUST_200600_302600_NS6detail15normal_iteratorINSA_10device_ptrIsEEEEPS6_NSA_18transform_iteratorI7is_evenIsESF_NSA_11use_defaultESK_EENS0_5tupleIJNSA_16discard_iteratorISK_EESF_EEENSM_IJSG_SG_EEES6_PlJS6_EEE10hipError_tPvRmT3_T4_T5_T6_T7_T9_mT8_P12ihipStream_tbDpT10_ENKUlT_T0_E_clISt17integral_constantIbLb0EES1B_EEDaS16_S17_EUlS16_E_NS1_11comp_targetILNS1_3genE8ELNS1_11target_archE1030ELNS1_3gpuE2ELNS1_3repE0EEENS1_30default_config_static_selectorELNS0_4arch9wavefront6targetE1EEEvT1_, .Lfunc_end3426-_ZN7rocprim17ROCPRIM_400000_NS6detail17trampoline_kernelINS0_14default_configENS1_25partition_config_selectorILNS1_17partition_subalgoE1EsNS0_10empty_typeEbEEZZNS1_14partition_implILS5_1ELb0ES3_jN6thrust23THRUST_200600_302600_NS6detail15normal_iteratorINSA_10device_ptrIsEEEEPS6_NSA_18transform_iteratorI7is_evenIsESF_NSA_11use_defaultESK_EENS0_5tupleIJNSA_16discard_iteratorISK_EESF_EEENSM_IJSG_SG_EEES6_PlJS6_EEE10hipError_tPvRmT3_T4_T5_T6_T7_T9_mT8_P12ihipStream_tbDpT10_ENKUlT_T0_E_clISt17integral_constantIbLb0EES1B_EEDaS16_S17_EUlS16_E_NS1_11comp_targetILNS1_3genE8ELNS1_11target_archE1030ELNS1_3gpuE2ELNS1_3repE0EEENS1_30default_config_static_selectorELNS0_4arch9wavefront6targetE1EEEvT1_
                                        ; -- End function
	.section	.AMDGPU.csdata,"",@progbits
; Kernel info:
; codeLenInByte = 0
; NumSgprs: 6
; NumVgprs: 0
; NumAgprs: 0
; TotalNumVgprs: 0
; ScratchSize: 0
; MemoryBound: 0
; FloatMode: 240
; IeeeMode: 1
; LDSByteSize: 0 bytes/workgroup (compile time only)
; SGPRBlocks: 0
; VGPRBlocks: 0
; NumSGPRsForWavesPerEU: 6
; NumVGPRsForWavesPerEU: 1
; AccumOffset: 4
; Occupancy: 8
; WaveLimiterHint : 0
; COMPUTE_PGM_RSRC2:SCRATCH_EN: 0
; COMPUTE_PGM_RSRC2:USER_SGPR: 2
; COMPUTE_PGM_RSRC2:TRAP_HANDLER: 0
; COMPUTE_PGM_RSRC2:TGID_X_EN: 1
; COMPUTE_PGM_RSRC2:TGID_Y_EN: 0
; COMPUTE_PGM_RSRC2:TGID_Z_EN: 0
; COMPUTE_PGM_RSRC2:TIDIG_COMP_CNT: 0
; COMPUTE_PGM_RSRC3_GFX90A:ACCUM_OFFSET: 0
; COMPUTE_PGM_RSRC3_GFX90A:TG_SPLIT: 0
	.section	.text._ZN7rocprim17ROCPRIM_400000_NS6detail17trampoline_kernelINS0_14default_configENS1_25partition_config_selectorILNS1_17partition_subalgoE1EsNS0_10empty_typeEbEEZZNS1_14partition_implILS5_1ELb0ES3_jN6thrust23THRUST_200600_302600_NS6detail15normal_iteratorINSA_10device_ptrIsEEEEPS6_NSA_18transform_iteratorI7is_evenIsESF_NSA_11use_defaultESK_EENS0_5tupleIJNSA_16discard_iteratorISK_EESF_EEENSM_IJSG_SG_EEES6_PlJS6_EEE10hipError_tPvRmT3_T4_T5_T6_T7_T9_mT8_P12ihipStream_tbDpT10_ENKUlT_T0_E_clISt17integral_constantIbLb1EES1B_EEDaS16_S17_EUlS16_E_NS1_11comp_targetILNS1_3genE0ELNS1_11target_archE4294967295ELNS1_3gpuE0ELNS1_3repE0EEENS1_30default_config_static_selectorELNS0_4arch9wavefront6targetE1EEEvT1_,"axG",@progbits,_ZN7rocprim17ROCPRIM_400000_NS6detail17trampoline_kernelINS0_14default_configENS1_25partition_config_selectorILNS1_17partition_subalgoE1EsNS0_10empty_typeEbEEZZNS1_14partition_implILS5_1ELb0ES3_jN6thrust23THRUST_200600_302600_NS6detail15normal_iteratorINSA_10device_ptrIsEEEEPS6_NSA_18transform_iteratorI7is_evenIsESF_NSA_11use_defaultESK_EENS0_5tupleIJNSA_16discard_iteratorISK_EESF_EEENSM_IJSG_SG_EEES6_PlJS6_EEE10hipError_tPvRmT3_T4_T5_T6_T7_T9_mT8_P12ihipStream_tbDpT10_ENKUlT_T0_E_clISt17integral_constantIbLb1EES1B_EEDaS16_S17_EUlS16_E_NS1_11comp_targetILNS1_3genE0ELNS1_11target_archE4294967295ELNS1_3gpuE0ELNS1_3repE0EEENS1_30default_config_static_selectorELNS0_4arch9wavefront6targetE1EEEvT1_,comdat
	.protected	_ZN7rocprim17ROCPRIM_400000_NS6detail17trampoline_kernelINS0_14default_configENS1_25partition_config_selectorILNS1_17partition_subalgoE1EsNS0_10empty_typeEbEEZZNS1_14partition_implILS5_1ELb0ES3_jN6thrust23THRUST_200600_302600_NS6detail15normal_iteratorINSA_10device_ptrIsEEEEPS6_NSA_18transform_iteratorI7is_evenIsESF_NSA_11use_defaultESK_EENS0_5tupleIJNSA_16discard_iteratorISK_EESF_EEENSM_IJSG_SG_EEES6_PlJS6_EEE10hipError_tPvRmT3_T4_T5_T6_T7_T9_mT8_P12ihipStream_tbDpT10_ENKUlT_T0_E_clISt17integral_constantIbLb1EES1B_EEDaS16_S17_EUlS16_E_NS1_11comp_targetILNS1_3genE0ELNS1_11target_archE4294967295ELNS1_3gpuE0ELNS1_3repE0EEENS1_30default_config_static_selectorELNS0_4arch9wavefront6targetE1EEEvT1_ ; -- Begin function _ZN7rocprim17ROCPRIM_400000_NS6detail17trampoline_kernelINS0_14default_configENS1_25partition_config_selectorILNS1_17partition_subalgoE1EsNS0_10empty_typeEbEEZZNS1_14partition_implILS5_1ELb0ES3_jN6thrust23THRUST_200600_302600_NS6detail15normal_iteratorINSA_10device_ptrIsEEEEPS6_NSA_18transform_iteratorI7is_evenIsESF_NSA_11use_defaultESK_EENS0_5tupleIJNSA_16discard_iteratorISK_EESF_EEENSM_IJSG_SG_EEES6_PlJS6_EEE10hipError_tPvRmT3_T4_T5_T6_T7_T9_mT8_P12ihipStream_tbDpT10_ENKUlT_T0_E_clISt17integral_constantIbLb1EES1B_EEDaS16_S17_EUlS16_E_NS1_11comp_targetILNS1_3genE0ELNS1_11target_archE4294967295ELNS1_3gpuE0ELNS1_3repE0EEENS1_30default_config_static_selectorELNS0_4arch9wavefront6targetE1EEEvT1_
	.globl	_ZN7rocprim17ROCPRIM_400000_NS6detail17trampoline_kernelINS0_14default_configENS1_25partition_config_selectorILNS1_17partition_subalgoE1EsNS0_10empty_typeEbEEZZNS1_14partition_implILS5_1ELb0ES3_jN6thrust23THRUST_200600_302600_NS6detail15normal_iteratorINSA_10device_ptrIsEEEEPS6_NSA_18transform_iteratorI7is_evenIsESF_NSA_11use_defaultESK_EENS0_5tupleIJNSA_16discard_iteratorISK_EESF_EEENSM_IJSG_SG_EEES6_PlJS6_EEE10hipError_tPvRmT3_T4_T5_T6_T7_T9_mT8_P12ihipStream_tbDpT10_ENKUlT_T0_E_clISt17integral_constantIbLb1EES1B_EEDaS16_S17_EUlS16_E_NS1_11comp_targetILNS1_3genE0ELNS1_11target_archE4294967295ELNS1_3gpuE0ELNS1_3repE0EEENS1_30default_config_static_selectorELNS0_4arch9wavefront6targetE1EEEvT1_
	.p2align	8
	.type	_ZN7rocprim17ROCPRIM_400000_NS6detail17trampoline_kernelINS0_14default_configENS1_25partition_config_selectorILNS1_17partition_subalgoE1EsNS0_10empty_typeEbEEZZNS1_14partition_implILS5_1ELb0ES3_jN6thrust23THRUST_200600_302600_NS6detail15normal_iteratorINSA_10device_ptrIsEEEEPS6_NSA_18transform_iteratorI7is_evenIsESF_NSA_11use_defaultESK_EENS0_5tupleIJNSA_16discard_iteratorISK_EESF_EEENSM_IJSG_SG_EEES6_PlJS6_EEE10hipError_tPvRmT3_T4_T5_T6_T7_T9_mT8_P12ihipStream_tbDpT10_ENKUlT_T0_E_clISt17integral_constantIbLb1EES1B_EEDaS16_S17_EUlS16_E_NS1_11comp_targetILNS1_3genE0ELNS1_11target_archE4294967295ELNS1_3gpuE0ELNS1_3repE0EEENS1_30default_config_static_selectorELNS0_4arch9wavefront6targetE1EEEvT1_,@function
_ZN7rocprim17ROCPRIM_400000_NS6detail17trampoline_kernelINS0_14default_configENS1_25partition_config_selectorILNS1_17partition_subalgoE1EsNS0_10empty_typeEbEEZZNS1_14partition_implILS5_1ELb0ES3_jN6thrust23THRUST_200600_302600_NS6detail15normal_iteratorINSA_10device_ptrIsEEEEPS6_NSA_18transform_iteratorI7is_evenIsESF_NSA_11use_defaultESK_EENS0_5tupleIJNSA_16discard_iteratorISK_EESF_EEENSM_IJSG_SG_EEES6_PlJS6_EEE10hipError_tPvRmT3_T4_T5_T6_T7_T9_mT8_P12ihipStream_tbDpT10_ENKUlT_T0_E_clISt17integral_constantIbLb1EES1B_EEDaS16_S17_EUlS16_E_NS1_11comp_targetILNS1_3genE0ELNS1_11target_archE4294967295ELNS1_3gpuE0ELNS1_3repE0EEENS1_30default_config_static_selectorELNS0_4arch9wavefront6targetE1EEEvT1_: ; @_ZN7rocprim17ROCPRIM_400000_NS6detail17trampoline_kernelINS0_14default_configENS1_25partition_config_selectorILNS1_17partition_subalgoE1EsNS0_10empty_typeEbEEZZNS1_14partition_implILS5_1ELb0ES3_jN6thrust23THRUST_200600_302600_NS6detail15normal_iteratorINSA_10device_ptrIsEEEEPS6_NSA_18transform_iteratorI7is_evenIsESF_NSA_11use_defaultESK_EENS0_5tupleIJNSA_16discard_iteratorISK_EESF_EEENSM_IJSG_SG_EEES6_PlJS6_EEE10hipError_tPvRmT3_T4_T5_T6_T7_T9_mT8_P12ihipStream_tbDpT10_ENKUlT_T0_E_clISt17integral_constantIbLb1EES1B_EEDaS16_S17_EUlS16_E_NS1_11comp_targetILNS1_3genE0ELNS1_11target_archE4294967295ELNS1_3gpuE0ELNS1_3repE0EEENS1_30default_config_static_selectorELNS0_4arch9wavefront6targetE1EEEvT1_
; %bb.0:
	.section	.rodata,"a",@progbits
	.p2align	6, 0x0
	.amdhsa_kernel _ZN7rocprim17ROCPRIM_400000_NS6detail17trampoline_kernelINS0_14default_configENS1_25partition_config_selectorILNS1_17partition_subalgoE1EsNS0_10empty_typeEbEEZZNS1_14partition_implILS5_1ELb0ES3_jN6thrust23THRUST_200600_302600_NS6detail15normal_iteratorINSA_10device_ptrIsEEEEPS6_NSA_18transform_iteratorI7is_evenIsESF_NSA_11use_defaultESK_EENS0_5tupleIJNSA_16discard_iteratorISK_EESF_EEENSM_IJSG_SG_EEES6_PlJS6_EEE10hipError_tPvRmT3_T4_T5_T6_T7_T9_mT8_P12ihipStream_tbDpT10_ENKUlT_T0_E_clISt17integral_constantIbLb1EES1B_EEDaS16_S17_EUlS16_E_NS1_11comp_targetILNS1_3genE0ELNS1_11target_archE4294967295ELNS1_3gpuE0ELNS1_3repE0EEENS1_30default_config_static_selectorELNS0_4arch9wavefront6targetE1EEEvT1_
		.amdhsa_group_segment_fixed_size 0
		.amdhsa_private_segment_fixed_size 0
		.amdhsa_kernarg_size 152
		.amdhsa_user_sgpr_count 2
		.amdhsa_user_sgpr_dispatch_ptr 0
		.amdhsa_user_sgpr_queue_ptr 0
		.amdhsa_user_sgpr_kernarg_segment_ptr 1
		.amdhsa_user_sgpr_dispatch_id 0
		.amdhsa_user_sgpr_kernarg_preload_length 0
		.amdhsa_user_sgpr_kernarg_preload_offset 0
		.amdhsa_user_sgpr_private_segment_size 0
		.amdhsa_uses_dynamic_stack 0
		.amdhsa_enable_private_segment 0
		.amdhsa_system_sgpr_workgroup_id_x 1
		.amdhsa_system_sgpr_workgroup_id_y 0
		.amdhsa_system_sgpr_workgroup_id_z 0
		.amdhsa_system_sgpr_workgroup_info 0
		.amdhsa_system_vgpr_workitem_id 0
		.amdhsa_next_free_vgpr 1
		.amdhsa_next_free_sgpr 0
		.amdhsa_accum_offset 4
		.amdhsa_reserve_vcc 0
		.amdhsa_float_round_mode_32 0
		.amdhsa_float_round_mode_16_64 0
		.amdhsa_float_denorm_mode_32 3
		.amdhsa_float_denorm_mode_16_64 3
		.amdhsa_dx10_clamp 1
		.amdhsa_ieee_mode 1
		.amdhsa_fp16_overflow 0
		.amdhsa_tg_split 0
		.amdhsa_exception_fp_ieee_invalid_op 0
		.amdhsa_exception_fp_denorm_src 0
		.amdhsa_exception_fp_ieee_div_zero 0
		.amdhsa_exception_fp_ieee_overflow 0
		.amdhsa_exception_fp_ieee_underflow 0
		.amdhsa_exception_fp_ieee_inexact 0
		.amdhsa_exception_int_div_zero 0
	.end_amdhsa_kernel
	.section	.text._ZN7rocprim17ROCPRIM_400000_NS6detail17trampoline_kernelINS0_14default_configENS1_25partition_config_selectorILNS1_17partition_subalgoE1EsNS0_10empty_typeEbEEZZNS1_14partition_implILS5_1ELb0ES3_jN6thrust23THRUST_200600_302600_NS6detail15normal_iteratorINSA_10device_ptrIsEEEEPS6_NSA_18transform_iteratorI7is_evenIsESF_NSA_11use_defaultESK_EENS0_5tupleIJNSA_16discard_iteratorISK_EESF_EEENSM_IJSG_SG_EEES6_PlJS6_EEE10hipError_tPvRmT3_T4_T5_T6_T7_T9_mT8_P12ihipStream_tbDpT10_ENKUlT_T0_E_clISt17integral_constantIbLb1EES1B_EEDaS16_S17_EUlS16_E_NS1_11comp_targetILNS1_3genE0ELNS1_11target_archE4294967295ELNS1_3gpuE0ELNS1_3repE0EEENS1_30default_config_static_selectorELNS0_4arch9wavefront6targetE1EEEvT1_,"axG",@progbits,_ZN7rocprim17ROCPRIM_400000_NS6detail17trampoline_kernelINS0_14default_configENS1_25partition_config_selectorILNS1_17partition_subalgoE1EsNS0_10empty_typeEbEEZZNS1_14partition_implILS5_1ELb0ES3_jN6thrust23THRUST_200600_302600_NS6detail15normal_iteratorINSA_10device_ptrIsEEEEPS6_NSA_18transform_iteratorI7is_evenIsESF_NSA_11use_defaultESK_EENS0_5tupleIJNSA_16discard_iteratorISK_EESF_EEENSM_IJSG_SG_EEES6_PlJS6_EEE10hipError_tPvRmT3_T4_T5_T6_T7_T9_mT8_P12ihipStream_tbDpT10_ENKUlT_T0_E_clISt17integral_constantIbLb1EES1B_EEDaS16_S17_EUlS16_E_NS1_11comp_targetILNS1_3genE0ELNS1_11target_archE4294967295ELNS1_3gpuE0ELNS1_3repE0EEENS1_30default_config_static_selectorELNS0_4arch9wavefront6targetE1EEEvT1_,comdat
.Lfunc_end3427:
	.size	_ZN7rocprim17ROCPRIM_400000_NS6detail17trampoline_kernelINS0_14default_configENS1_25partition_config_selectorILNS1_17partition_subalgoE1EsNS0_10empty_typeEbEEZZNS1_14partition_implILS5_1ELb0ES3_jN6thrust23THRUST_200600_302600_NS6detail15normal_iteratorINSA_10device_ptrIsEEEEPS6_NSA_18transform_iteratorI7is_evenIsESF_NSA_11use_defaultESK_EENS0_5tupleIJNSA_16discard_iteratorISK_EESF_EEENSM_IJSG_SG_EEES6_PlJS6_EEE10hipError_tPvRmT3_T4_T5_T6_T7_T9_mT8_P12ihipStream_tbDpT10_ENKUlT_T0_E_clISt17integral_constantIbLb1EES1B_EEDaS16_S17_EUlS16_E_NS1_11comp_targetILNS1_3genE0ELNS1_11target_archE4294967295ELNS1_3gpuE0ELNS1_3repE0EEENS1_30default_config_static_selectorELNS0_4arch9wavefront6targetE1EEEvT1_, .Lfunc_end3427-_ZN7rocprim17ROCPRIM_400000_NS6detail17trampoline_kernelINS0_14default_configENS1_25partition_config_selectorILNS1_17partition_subalgoE1EsNS0_10empty_typeEbEEZZNS1_14partition_implILS5_1ELb0ES3_jN6thrust23THRUST_200600_302600_NS6detail15normal_iteratorINSA_10device_ptrIsEEEEPS6_NSA_18transform_iteratorI7is_evenIsESF_NSA_11use_defaultESK_EENS0_5tupleIJNSA_16discard_iteratorISK_EESF_EEENSM_IJSG_SG_EEES6_PlJS6_EEE10hipError_tPvRmT3_T4_T5_T6_T7_T9_mT8_P12ihipStream_tbDpT10_ENKUlT_T0_E_clISt17integral_constantIbLb1EES1B_EEDaS16_S17_EUlS16_E_NS1_11comp_targetILNS1_3genE0ELNS1_11target_archE4294967295ELNS1_3gpuE0ELNS1_3repE0EEENS1_30default_config_static_selectorELNS0_4arch9wavefront6targetE1EEEvT1_
                                        ; -- End function
	.section	.AMDGPU.csdata,"",@progbits
; Kernel info:
; codeLenInByte = 0
; NumSgprs: 6
; NumVgprs: 0
; NumAgprs: 0
; TotalNumVgprs: 0
; ScratchSize: 0
; MemoryBound: 0
; FloatMode: 240
; IeeeMode: 1
; LDSByteSize: 0 bytes/workgroup (compile time only)
; SGPRBlocks: 0
; VGPRBlocks: 0
; NumSGPRsForWavesPerEU: 6
; NumVGPRsForWavesPerEU: 1
; AccumOffset: 4
; Occupancy: 8
; WaveLimiterHint : 0
; COMPUTE_PGM_RSRC2:SCRATCH_EN: 0
; COMPUTE_PGM_RSRC2:USER_SGPR: 2
; COMPUTE_PGM_RSRC2:TRAP_HANDLER: 0
; COMPUTE_PGM_RSRC2:TGID_X_EN: 1
; COMPUTE_PGM_RSRC2:TGID_Y_EN: 0
; COMPUTE_PGM_RSRC2:TGID_Z_EN: 0
; COMPUTE_PGM_RSRC2:TIDIG_COMP_CNT: 0
; COMPUTE_PGM_RSRC3_GFX90A:ACCUM_OFFSET: 0
; COMPUTE_PGM_RSRC3_GFX90A:TG_SPLIT: 0
	.section	.text._ZN7rocprim17ROCPRIM_400000_NS6detail17trampoline_kernelINS0_14default_configENS1_25partition_config_selectorILNS1_17partition_subalgoE1EsNS0_10empty_typeEbEEZZNS1_14partition_implILS5_1ELb0ES3_jN6thrust23THRUST_200600_302600_NS6detail15normal_iteratorINSA_10device_ptrIsEEEEPS6_NSA_18transform_iteratorI7is_evenIsESF_NSA_11use_defaultESK_EENS0_5tupleIJNSA_16discard_iteratorISK_EESF_EEENSM_IJSG_SG_EEES6_PlJS6_EEE10hipError_tPvRmT3_T4_T5_T6_T7_T9_mT8_P12ihipStream_tbDpT10_ENKUlT_T0_E_clISt17integral_constantIbLb1EES1B_EEDaS16_S17_EUlS16_E_NS1_11comp_targetILNS1_3genE5ELNS1_11target_archE942ELNS1_3gpuE9ELNS1_3repE0EEENS1_30default_config_static_selectorELNS0_4arch9wavefront6targetE1EEEvT1_,"axG",@progbits,_ZN7rocprim17ROCPRIM_400000_NS6detail17trampoline_kernelINS0_14default_configENS1_25partition_config_selectorILNS1_17partition_subalgoE1EsNS0_10empty_typeEbEEZZNS1_14partition_implILS5_1ELb0ES3_jN6thrust23THRUST_200600_302600_NS6detail15normal_iteratorINSA_10device_ptrIsEEEEPS6_NSA_18transform_iteratorI7is_evenIsESF_NSA_11use_defaultESK_EENS0_5tupleIJNSA_16discard_iteratorISK_EESF_EEENSM_IJSG_SG_EEES6_PlJS6_EEE10hipError_tPvRmT3_T4_T5_T6_T7_T9_mT8_P12ihipStream_tbDpT10_ENKUlT_T0_E_clISt17integral_constantIbLb1EES1B_EEDaS16_S17_EUlS16_E_NS1_11comp_targetILNS1_3genE5ELNS1_11target_archE942ELNS1_3gpuE9ELNS1_3repE0EEENS1_30default_config_static_selectorELNS0_4arch9wavefront6targetE1EEEvT1_,comdat
	.protected	_ZN7rocprim17ROCPRIM_400000_NS6detail17trampoline_kernelINS0_14default_configENS1_25partition_config_selectorILNS1_17partition_subalgoE1EsNS0_10empty_typeEbEEZZNS1_14partition_implILS5_1ELb0ES3_jN6thrust23THRUST_200600_302600_NS6detail15normal_iteratorINSA_10device_ptrIsEEEEPS6_NSA_18transform_iteratorI7is_evenIsESF_NSA_11use_defaultESK_EENS0_5tupleIJNSA_16discard_iteratorISK_EESF_EEENSM_IJSG_SG_EEES6_PlJS6_EEE10hipError_tPvRmT3_T4_T5_T6_T7_T9_mT8_P12ihipStream_tbDpT10_ENKUlT_T0_E_clISt17integral_constantIbLb1EES1B_EEDaS16_S17_EUlS16_E_NS1_11comp_targetILNS1_3genE5ELNS1_11target_archE942ELNS1_3gpuE9ELNS1_3repE0EEENS1_30default_config_static_selectorELNS0_4arch9wavefront6targetE1EEEvT1_ ; -- Begin function _ZN7rocprim17ROCPRIM_400000_NS6detail17trampoline_kernelINS0_14default_configENS1_25partition_config_selectorILNS1_17partition_subalgoE1EsNS0_10empty_typeEbEEZZNS1_14partition_implILS5_1ELb0ES3_jN6thrust23THRUST_200600_302600_NS6detail15normal_iteratorINSA_10device_ptrIsEEEEPS6_NSA_18transform_iteratorI7is_evenIsESF_NSA_11use_defaultESK_EENS0_5tupleIJNSA_16discard_iteratorISK_EESF_EEENSM_IJSG_SG_EEES6_PlJS6_EEE10hipError_tPvRmT3_T4_T5_T6_T7_T9_mT8_P12ihipStream_tbDpT10_ENKUlT_T0_E_clISt17integral_constantIbLb1EES1B_EEDaS16_S17_EUlS16_E_NS1_11comp_targetILNS1_3genE5ELNS1_11target_archE942ELNS1_3gpuE9ELNS1_3repE0EEENS1_30default_config_static_selectorELNS0_4arch9wavefront6targetE1EEEvT1_
	.globl	_ZN7rocprim17ROCPRIM_400000_NS6detail17trampoline_kernelINS0_14default_configENS1_25partition_config_selectorILNS1_17partition_subalgoE1EsNS0_10empty_typeEbEEZZNS1_14partition_implILS5_1ELb0ES3_jN6thrust23THRUST_200600_302600_NS6detail15normal_iteratorINSA_10device_ptrIsEEEEPS6_NSA_18transform_iteratorI7is_evenIsESF_NSA_11use_defaultESK_EENS0_5tupleIJNSA_16discard_iteratorISK_EESF_EEENSM_IJSG_SG_EEES6_PlJS6_EEE10hipError_tPvRmT3_T4_T5_T6_T7_T9_mT8_P12ihipStream_tbDpT10_ENKUlT_T0_E_clISt17integral_constantIbLb1EES1B_EEDaS16_S17_EUlS16_E_NS1_11comp_targetILNS1_3genE5ELNS1_11target_archE942ELNS1_3gpuE9ELNS1_3repE0EEENS1_30default_config_static_selectorELNS0_4arch9wavefront6targetE1EEEvT1_
	.p2align	8
	.type	_ZN7rocprim17ROCPRIM_400000_NS6detail17trampoline_kernelINS0_14default_configENS1_25partition_config_selectorILNS1_17partition_subalgoE1EsNS0_10empty_typeEbEEZZNS1_14partition_implILS5_1ELb0ES3_jN6thrust23THRUST_200600_302600_NS6detail15normal_iteratorINSA_10device_ptrIsEEEEPS6_NSA_18transform_iteratorI7is_evenIsESF_NSA_11use_defaultESK_EENS0_5tupleIJNSA_16discard_iteratorISK_EESF_EEENSM_IJSG_SG_EEES6_PlJS6_EEE10hipError_tPvRmT3_T4_T5_T6_T7_T9_mT8_P12ihipStream_tbDpT10_ENKUlT_T0_E_clISt17integral_constantIbLb1EES1B_EEDaS16_S17_EUlS16_E_NS1_11comp_targetILNS1_3genE5ELNS1_11target_archE942ELNS1_3gpuE9ELNS1_3repE0EEENS1_30default_config_static_selectorELNS0_4arch9wavefront6targetE1EEEvT1_,@function
_ZN7rocprim17ROCPRIM_400000_NS6detail17trampoline_kernelINS0_14default_configENS1_25partition_config_selectorILNS1_17partition_subalgoE1EsNS0_10empty_typeEbEEZZNS1_14partition_implILS5_1ELb0ES3_jN6thrust23THRUST_200600_302600_NS6detail15normal_iteratorINSA_10device_ptrIsEEEEPS6_NSA_18transform_iteratorI7is_evenIsESF_NSA_11use_defaultESK_EENS0_5tupleIJNSA_16discard_iteratorISK_EESF_EEENSM_IJSG_SG_EEES6_PlJS6_EEE10hipError_tPvRmT3_T4_T5_T6_T7_T9_mT8_P12ihipStream_tbDpT10_ENKUlT_T0_E_clISt17integral_constantIbLb1EES1B_EEDaS16_S17_EUlS16_E_NS1_11comp_targetILNS1_3genE5ELNS1_11target_archE942ELNS1_3gpuE9ELNS1_3repE0EEENS1_30default_config_static_selectorELNS0_4arch9wavefront6targetE1EEEvT1_: ; @_ZN7rocprim17ROCPRIM_400000_NS6detail17trampoline_kernelINS0_14default_configENS1_25partition_config_selectorILNS1_17partition_subalgoE1EsNS0_10empty_typeEbEEZZNS1_14partition_implILS5_1ELb0ES3_jN6thrust23THRUST_200600_302600_NS6detail15normal_iteratorINSA_10device_ptrIsEEEEPS6_NSA_18transform_iteratorI7is_evenIsESF_NSA_11use_defaultESK_EENS0_5tupleIJNSA_16discard_iteratorISK_EESF_EEENSM_IJSG_SG_EEES6_PlJS6_EEE10hipError_tPvRmT3_T4_T5_T6_T7_T9_mT8_P12ihipStream_tbDpT10_ENKUlT_T0_E_clISt17integral_constantIbLb1EES1B_EEDaS16_S17_EUlS16_E_NS1_11comp_targetILNS1_3genE5ELNS1_11target_archE942ELNS1_3gpuE9ELNS1_3repE0EEENS1_30default_config_static_selectorELNS0_4arch9wavefront6targetE1EEEvT1_
; %bb.0:
	s_load_dwordx2 s[2:3], s[0:1], 0x20
	s_load_dwordx4 s[20:23], s[0:1], 0x58
	s_load_dwordx2 s[6:7], s[0:1], 0x68
	s_load_dwordx2 s[30:31], s[0:1], 0x78
	v_cmp_eq_u32_e64 s[18:19], 0, v0
	s_and_saveexec_b64 s[4:5], s[18:19]
	s_cbranch_execz .LBB3428_4
; %bb.1:
	s_mov_b64 s[10:11], exec
	v_mbcnt_lo_u32_b32 v1, s10, 0
	v_mbcnt_hi_u32_b32 v1, s11, v1
	v_cmp_eq_u32_e32 vcc, 0, v1
                                        ; implicit-def: $vgpr2
	s_and_saveexec_b64 s[8:9], vcc
	s_cbranch_execz .LBB3428_3
; %bb.2:
	s_load_dwordx2 s[12:13], s[0:1], 0x88
	s_bcnt1_i32_b64 s10, s[10:11]
	v_mov_b32_e32 v2, 0
	v_mov_b32_e32 v3, s10
	s_waitcnt lgkmcnt(0)
	global_atomic_add v2, v2, v3, s[12:13] sc0
.LBB3428_3:
	s_or_b64 exec, exec, s[8:9]
	s_waitcnt vmcnt(0)
	v_readfirstlane_b32 s8, v2
	v_mov_b32_e32 v2, 0
	s_nop 0
	v_add_u32_e32 v1, s8, v1
	ds_write_b32 v2, v1
.LBB3428_4:
	s_or_b64 exec, exec, s[4:5]
	v_mov_b32_e32 v15, 0
	s_load_dwordx4 s[24:27], s[0:1], 0x8
	s_load_dwordx2 s[28:29], s[0:1], 0x40
	s_load_dword s8, s[0:1], 0x80
	s_waitcnt lgkmcnt(0)
	s_barrier
	ds_read_b32 v1, v15
	s_waitcnt lgkmcnt(0)
	s_barrier
	global_load_dwordx2 v[16:17], v15, s[22:23]
	v_mov_b32_e32 v3, s7
	s_lshl_b64 s[4:5], s[26:27], 1
	s_movk_i32 s7, 0x3800
	s_add_u32 s0, s24, s4
	v_mul_lo_u32 v14, v1, s7
	s_mul_i32 s7, s8, 0x3800
	s_addc_u32 s1, s25, s5
	s_add_i32 s9, s8, -1
	s_add_i32 s8, s7, s26
	s_sub_i32 s33, s6, s8
	s_addk_i32 s33, 0x3800
	v_mov_b32_e32 v2, s6
	s_add_u32 s6, s26, s7
	v_readfirstlane_b32 s38, v1
	s_addc_u32 s7, s27, 0
	s_cmp_eq_u32 s38, s9
	s_cselect_b64 s[22:23], -1, 0
	s_cmp_lg_u32 s38, s9
	v_cmp_lt_u64_e32 vcc, s[6:7], v[2:3]
	s_cselect_b64 s[6:7], -1, 0
	s_or_b64 s[24:25], vcc, s[6:7]
	v_lshlrev_b64 v[18:19], 1, v[14:15]
	v_lshl_add_u64 v[2:3], s[0:1], 0, v[18:19]
	s_mov_b64 s[0:1], -1
	s_and_b64 vcc, exec, s[24:25]
	v_lshlrev_b32_e32 v14, 1, v0
	s_cbranch_vccz .LBB3428_6
; %bb.5:
	v_lshl_add_u64 v[4:5], v[2:3], 0, v[14:15]
	v_add_co_u32_e32 v6, vcc, 0x1000, v4
	s_mov_b64 s[0:1], 0
	s_nop 0
	v_addc_co_u32_e32 v7, vcc, 0, v5, vcc
	flat_load_ushort v1, v[4:5]
	flat_load_ushort v10, v[4:5] offset:1024
	flat_load_ushort v11, v[4:5] offset:2048
	;; [unrolled: 1-line block ×3, first 2 shown]
	flat_load_ushort v13, v[6:7]
	flat_load_ushort v15, v[6:7] offset:1024
	flat_load_ushort v20, v[6:7] offset:2048
	;; [unrolled: 1-line block ×3, first 2 shown]
	v_add_co_u32_e32 v6, vcc, 0x2000, v4
	s_nop 1
	v_addc_co_u32_e32 v7, vcc, 0, v5, vcc
	v_add_co_u32_e32 v8, vcc, 0x3000, v4
	s_nop 1
	v_addc_co_u32_e32 v9, vcc, 0, v5, vcc
	flat_load_ushort v22, v[6:7]
	flat_load_ushort v23, v[6:7] offset:1024
	flat_load_ushort v24, v[6:7] offset:2048
	;; [unrolled: 1-line block ×3, first 2 shown]
	flat_load_ushort v26, v[8:9]
	flat_load_ushort v27, v[8:9] offset:1024
	flat_load_ushort v28, v[8:9] offset:2048
	;; [unrolled: 1-line block ×3, first 2 shown]
	v_add_co_u32_e32 v6, vcc, 0x4000, v4
	s_nop 1
	v_addc_co_u32_e32 v7, vcc, 0, v5, vcc
	v_add_co_u32_e32 v8, vcc, 0x5000, v4
	s_nop 1
	v_addc_co_u32_e32 v9, vcc, 0, v5, vcc
	v_add_co_u32_e32 v4, vcc, 0x6000, v4
	flat_load_ushort v30, v[6:7]
	flat_load_ushort v31, v[6:7] offset:1024
	flat_load_ushort v32, v[6:7] offset:2048
	;; [unrolled: 1-line block ×3, first 2 shown]
	flat_load_ushort v34, v[8:9]
	flat_load_ushort v35, v[8:9] offset:1024
	flat_load_ushort v36, v[8:9] offset:2048
	;; [unrolled: 1-line block ×3, first 2 shown]
	v_addc_co_u32_e32 v5, vcc, 0, v5, vcc
	flat_load_ushort v6, v[4:5]
	flat_load_ushort v7, v[4:5] offset:1024
	flat_load_ushort v8, v[4:5] offset:2048
	;; [unrolled: 1-line block ×3, first 2 shown]
	s_waitcnt vmcnt(0) lgkmcnt(0)
	ds_write_b16 v14, v1
	ds_write_b16 v14, v10 offset:1024
	ds_write_b16 v14, v11 offset:2048
	;; [unrolled: 1-line block ×27, first 2 shown]
	s_waitcnt lgkmcnt(0)
	s_barrier
.LBB3428_6:
	s_andn2_b64 vcc, exec, s[0:1]
	v_cmp_gt_u32_e64 s[0:1], s33, v0
	s_cbranch_vccnz .LBB3428_64
; %bb.7:
                                        ; implicit-def: $vgpr1
	s_and_saveexec_b64 s[6:7], s[0:1]
	s_cbranch_execz .LBB3428_9
; %bb.8:
	v_mov_b32_e32 v15, 0
	v_lshl_add_u64 v[4:5], v[2:3], 0, v[14:15]
	flat_load_ushort v1, v[4:5]
.LBB3428_9:
	s_or_b64 exec, exec, s[6:7]
	v_or_b32_e32 v4, 0x200, v0
	v_cmp_gt_u32_e32 vcc, s33, v4
                                        ; implicit-def: $vgpr4
	s_and_saveexec_b64 s[0:1], vcc
	s_cbranch_execz .LBB3428_11
; %bb.10:
	v_mov_b32_e32 v15, 0
	v_lshl_add_u64 v[4:5], v[2:3], 0, v[14:15]
	flat_load_ushort v4, v[4:5] offset:1024
.LBB3428_11:
	s_or_b64 exec, exec, s[0:1]
	v_or_b32_e32 v5, 0x400, v0
	v_cmp_gt_u32_e32 vcc, s33, v5
                                        ; implicit-def: $vgpr5
	s_and_saveexec_b64 s[0:1], vcc
	s_cbranch_execz .LBB3428_13
; %bb.12:
	v_mov_b32_e32 v15, 0
	v_lshl_add_u64 v[6:7], v[2:3], 0, v[14:15]
	flat_load_ushort v5, v[6:7] offset:2048
.LBB3428_13:
	s_or_b64 exec, exec, s[0:1]
	v_or_b32_e32 v6, 0x600, v0
	v_cmp_gt_u32_e32 vcc, s33, v6
                                        ; implicit-def: $vgpr6
	s_and_saveexec_b64 s[0:1], vcc
	s_cbranch_execz .LBB3428_15
; %bb.14:
	v_mov_b32_e32 v15, 0
	v_lshl_add_u64 v[6:7], v[2:3], 0, v[14:15]
	flat_load_ushort v6, v[6:7] offset:3072
.LBB3428_15:
	s_or_b64 exec, exec, s[0:1]
	v_or_b32_e32 v8, 0x800, v0
	v_cmp_gt_u32_e32 vcc, s33, v8
                                        ; implicit-def: $vgpr7
	s_and_saveexec_b64 s[0:1], vcc
	s_cbranch_execz .LBB3428_17
; %bb.16:
	v_lshlrev_b32_e32 v8, 1, v8
	v_mov_b32_e32 v9, 0
	v_lshl_add_u64 v[8:9], v[2:3], 0, v[8:9]
	flat_load_ushort v7, v[8:9]
.LBB3428_17:
	s_or_b64 exec, exec, s[0:1]
	v_or_b32_e32 v9, 0xa00, v0
	v_cmp_gt_u32_e32 vcc, s33, v9
                                        ; implicit-def: $vgpr8
	s_and_saveexec_b64 s[0:1], vcc
	s_cbranch_execz .LBB3428_19
; %bb.18:
	v_lshlrev_b32_e32 v8, 1, v9
	v_mov_b32_e32 v9, 0
	v_lshl_add_u64 v[8:9], v[2:3], 0, v[8:9]
	flat_load_ushort v8, v[8:9]
.LBB3428_19:
	s_or_b64 exec, exec, s[0:1]
	v_or_b32_e32 v10, 0xc00, v0
	v_cmp_gt_u32_e32 vcc, s33, v10
                                        ; implicit-def: $vgpr9
	s_and_saveexec_b64 s[0:1], vcc
	s_cbranch_execz .LBB3428_21
; %bb.20:
	v_lshlrev_b32_e32 v10, 1, v10
	v_mov_b32_e32 v11, 0
	v_lshl_add_u64 v[10:11], v[2:3], 0, v[10:11]
	flat_load_ushort v9, v[10:11]
.LBB3428_21:
	s_or_b64 exec, exec, s[0:1]
	v_or_b32_e32 v11, 0xe00, v0
	v_cmp_gt_u32_e32 vcc, s33, v11
                                        ; implicit-def: $vgpr10
	s_and_saveexec_b64 s[0:1], vcc
	s_cbranch_execz .LBB3428_23
; %bb.22:
	v_lshlrev_b32_e32 v10, 1, v11
	v_mov_b32_e32 v11, 0
	v_lshl_add_u64 v[10:11], v[2:3], 0, v[10:11]
	flat_load_ushort v10, v[10:11]
.LBB3428_23:
	s_or_b64 exec, exec, s[0:1]
	v_or_b32_e32 v12, 0x1000, v0
	v_cmp_gt_u32_e32 vcc, s33, v12
                                        ; implicit-def: $vgpr11
	s_and_saveexec_b64 s[0:1], vcc
	s_cbranch_execz .LBB3428_25
; %bb.24:
	v_lshlrev_b32_e32 v12, 1, v12
	v_mov_b32_e32 v13, 0
	v_lshl_add_u64 v[12:13], v[2:3], 0, v[12:13]
	flat_load_ushort v11, v[12:13]
.LBB3428_25:
	s_or_b64 exec, exec, s[0:1]
	v_or_b32_e32 v13, 0x1200, v0
	v_cmp_gt_u32_e32 vcc, s33, v13
                                        ; implicit-def: $vgpr12
	s_and_saveexec_b64 s[0:1], vcc
	s_cbranch_execz .LBB3428_27
; %bb.26:
	v_lshlrev_b32_e32 v12, 1, v13
	v_mov_b32_e32 v13, 0
	v_lshl_add_u64 v[12:13], v[2:3], 0, v[12:13]
	flat_load_ushort v12, v[12:13]
.LBB3428_27:
	s_or_b64 exec, exec, s[0:1]
	v_or_b32_e32 v15, 0x1400, v0
	v_cmp_gt_u32_e32 vcc, s33, v15
                                        ; implicit-def: $vgpr13
	s_and_saveexec_b64 s[0:1], vcc
	s_cbranch_execz .LBB3428_29
; %bb.28:
	v_lshlrev_b32_e32 v20, 1, v15
	v_mov_b32_e32 v21, 0
	v_lshl_add_u64 v[20:21], v[2:3], 0, v[20:21]
	flat_load_ushort v13, v[20:21]
.LBB3428_29:
	s_or_b64 exec, exec, s[0:1]
	v_or_b32_e32 v20, 0x1600, v0
	v_cmp_gt_u32_e32 vcc, s33, v20
                                        ; implicit-def: $vgpr15
	s_and_saveexec_b64 s[0:1], vcc
	s_cbranch_execz .LBB3428_31
; %bb.30:
	v_lshlrev_b32_e32 v20, 1, v20
	v_mov_b32_e32 v21, 0
	v_lshl_add_u64 v[20:21], v[2:3], 0, v[20:21]
	flat_load_ushort v15, v[20:21]
.LBB3428_31:
	s_or_b64 exec, exec, s[0:1]
	v_or_b32_e32 v21, 0x1800, v0
	v_cmp_gt_u32_e32 vcc, s33, v21
                                        ; implicit-def: $vgpr20
	s_and_saveexec_b64 s[0:1], vcc
	s_cbranch_execz .LBB3428_33
; %bb.32:
	v_lshlrev_b32_e32 v20, 1, v21
	v_mov_b32_e32 v21, 0
	v_lshl_add_u64 v[20:21], v[2:3], 0, v[20:21]
	flat_load_ushort v20, v[20:21]
.LBB3428_33:
	s_or_b64 exec, exec, s[0:1]
	v_or_b32_e32 v22, 0x1a00, v0
	v_cmp_gt_u32_e32 vcc, s33, v22
                                        ; implicit-def: $vgpr21
	s_and_saveexec_b64 s[0:1], vcc
	s_cbranch_execz .LBB3428_35
; %bb.34:
	v_lshlrev_b32_e32 v22, 1, v22
	v_mov_b32_e32 v23, 0
	v_lshl_add_u64 v[22:23], v[2:3], 0, v[22:23]
	flat_load_ushort v21, v[22:23]
.LBB3428_35:
	s_or_b64 exec, exec, s[0:1]
	v_or_b32_e32 v23, 0x1c00, v0
	v_cmp_gt_u32_e32 vcc, s33, v23
                                        ; implicit-def: $vgpr22
	s_and_saveexec_b64 s[0:1], vcc
	s_cbranch_execz .LBB3428_37
; %bb.36:
	v_lshlrev_b32_e32 v22, 1, v23
	v_mov_b32_e32 v23, 0
	v_lshl_add_u64 v[22:23], v[2:3], 0, v[22:23]
	flat_load_ushort v22, v[22:23]
.LBB3428_37:
	s_or_b64 exec, exec, s[0:1]
	v_or_b32_e32 v24, 0x1e00, v0
	v_cmp_gt_u32_e32 vcc, s33, v24
                                        ; implicit-def: $vgpr23
	s_and_saveexec_b64 s[0:1], vcc
	s_cbranch_execz .LBB3428_39
; %bb.38:
	v_lshlrev_b32_e32 v24, 1, v24
	v_mov_b32_e32 v25, 0
	v_lshl_add_u64 v[24:25], v[2:3], 0, v[24:25]
	flat_load_ushort v23, v[24:25]
.LBB3428_39:
	s_or_b64 exec, exec, s[0:1]
	v_or_b32_e32 v25, 0x2000, v0
	v_cmp_gt_u32_e32 vcc, s33, v25
                                        ; implicit-def: $vgpr24
	s_and_saveexec_b64 s[0:1], vcc
	s_cbranch_execz .LBB3428_41
; %bb.40:
	v_lshlrev_b32_e32 v24, 1, v25
	v_mov_b32_e32 v25, 0
	v_lshl_add_u64 v[24:25], v[2:3], 0, v[24:25]
	flat_load_ushort v24, v[24:25]
.LBB3428_41:
	s_or_b64 exec, exec, s[0:1]
	v_or_b32_e32 v26, 0x2200, v0
	v_cmp_gt_u32_e32 vcc, s33, v26
                                        ; implicit-def: $vgpr25
	s_and_saveexec_b64 s[0:1], vcc
	s_cbranch_execz .LBB3428_43
; %bb.42:
	v_lshlrev_b32_e32 v26, 1, v26
	v_mov_b32_e32 v27, 0
	v_lshl_add_u64 v[26:27], v[2:3], 0, v[26:27]
	flat_load_ushort v25, v[26:27]
.LBB3428_43:
	s_or_b64 exec, exec, s[0:1]
	v_or_b32_e32 v27, 0x2400, v0
	v_cmp_gt_u32_e32 vcc, s33, v27
                                        ; implicit-def: $vgpr26
	s_and_saveexec_b64 s[0:1], vcc
	s_cbranch_execz .LBB3428_45
; %bb.44:
	v_lshlrev_b32_e32 v26, 1, v27
	v_mov_b32_e32 v27, 0
	v_lshl_add_u64 v[26:27], v[2:3], 0, v[26:27]
	flat_load_ushort v26, v[26:27]
.LBB3428_45:
	s_or_b64 exec, exec, s[0:1]
	v_or_b32_e32 v28, 0x2600, v0
	v_cmp_gt_u32_e32 vcc, s33, v28
                                        ; implicit-def: $vgpr27
	s_and_saveexec_b64 s[0:1], vcc
	s_cbranch_execz .LBB3428_47
; %bb.46:
	v_lshlrev_b32_e32 v28, 1, v28
	v_mov_b32_e32 v29, 0
	v_lshl_add_u64 v[28:29], v[2:3], 0, v[28:29]
	flat_load_ushort v27, v[28:29]
.LBB3428_47:
	s_or_b64 exec, exec, s[0:1]
	v_or_b32_e32 v29, 0x2800, v0
	v_cmp_gt_u32_e32 vcc, s33, v29
                                        ; implicit-def: $vgpr28
	s_and_saveexec_b64 s[0:1], vcc
	s_cbranch_execz .LBB3428_49
; %bb.48:
	v_lshlrev_b32_e32 v28, 1, v29
	v_mov_b32_e32 v29, 0
	v_lshl_add_u64 v[28:29], v[2:3], 0, v[28:29]
	flat_load_ushort v28, v[28:29]
.LBB3428_49:
	s_or_b64 exec, exec, s[0:1]
	v_or_b32_e32 v30, 0x2a00, v0
	v_cmp_gt_u32_e32 vcc, s33, v30
                                        ; implicit-def: $vgpr29
	s_and_saveexec_b64 s[0:1], vcc
	s_cbranch_execz .LBB3428_51
; %bb.50:
	v_lshlrev_b32_e32 v30, 1, v30
	v_mov_b32_e32 v31, 0
	v_lshl_add_u64 v[30:31], v[2:3], 0, v[30:31]
	flat_load_ushort v29, v[30:31]
.LBB3428_51:
	s_or_b64 exec, exec, s[0:1]
	v_or_b32_e32 v31, 0x2c00, v0
	v_cmp_gt_u32_e32 vcc, s33, v31
                                        ; implicit-def: $vgpr30
	s_and_saveexec_b64 s[0:1], vcc
	s_cbranch_execz .LBB3428_53
; %bb.52:
	v_lshlrev_b32_e32 v30, 1, v31
	v_mov_b32_e32 v31, 0
	v_lshl_add_u64 v[30:31], v[2:3], 0, v[30:31]
	flat_load_ushort v30, v[30:31]
.LBB3428_53:
	s_or_b64 exec, exec, s[0:1]
	v_or_b32_e32 v32, 0x2e00, v0
	v_cmp_gt_u32_e32 vcc, s33, v32
                                        ; implicit-def: $vgpr31
	s_and_saveexec_b64 s[0:1], vcc
	s_cbranch_execz .LBB3428_55
; %bb.54:
	v_lshlrev_b32_e32 v32, 1, v32
	v_mov_b32_e32 v33, 0
	v_lshl_add_u64 v[32:33], v[2:3], 0, v[32:33]
	flat_load_ushort v31, v[32:33]
.LBB3428_55:
	s_or_b64 exec, exec, s[0:1]
	v_or_b32_e32 v33, 0x3000, v0
	v_cmp_gt_u32_e32 vcc, s33, v33
                                        ; implicit-def: $vgpr32
	s_and_saveexec_b64 s[0:1], vcc
	s_cbranch_execz .LBB3428_57
; %bb.56:
	v_lshlrev_b32_e32 v32, 1, v33
	v_mov_b32_e32 v33, 0
	v_lshl_add_u64 v[32:33], v[2:3], 0, v[32:33]
	flat_load_ushort v32, v[32:33]
.LBB3428_57:
	s_or_b64 exec, exec, s[0:1]
	v_or_b32_e32 v34, 0x3200, v0
	v_cmp_gt_u32_e32 vcc, s33, v34
                                        ; implicit-def: $vgpr33
	s_and_saveexec_b64 s[0:1], vcc
	s_cbranch_execz .LBB3428_59
; %bb.58:
	v_lshlrev_b32_e32 v34, 1, v34
	v_mov_b32_e32 v35, 0
	v_lshl_add_u64 v[34:35], v[2:3], 0, v[34:35]
	flat_load_ushort v33, v[34:35]
.LBB3428_59:
	s_or_b64 exec, exec, s[0:1]
	v_or_b32_e32 v35, 0x3400, v0
	v_cmp_gt_u32_e32 vcc, s33, v35
                                        ; implicit-def: $vgpr34
	s_and_saveexec_b64 s[0:1], vcc
	s_cbranch_execz .LBB3428_61
; %bb.60:
	v_lshlrev_b32_e32 v34, 1, v35
	v_mov_b32_e32 v35, 0
	v_lshl_add_u64 v[34:35], v[2:3], 0, v[34:35]
	flat_load_ushort v34, v[34:35]
.LBB3428_61:
	s_or_b64 exec, exec, s[0:1]
	v_or_b32_e32 v36, 0x3600, v0
	v_cmp_gt_u32_e32 vcc, s33, v36
                                        ; implicit-def: $vgpr35
	s_and_saveexec_b64 s[0:1], vcc
	s_cbranch_execz .LBB3428_63
; %bb.62:
	v_lshlrev_b32_e32 v36, 1, v36
	v_mov_b32_e32 v37, 0
	v_lshl_add_u64 v[2:3], v[2:3], 0, v[36:37]
	flat_load_ushort v35, v[2:3]
.LBB3428_63:
	s_or_b64 exec, exec, s[0:1]
	s_waitcnt vmcnt(0) lgkmcnt(0)
	ds_write_b16 v14, v1
	ds_write_b16 v14, v4 offset:1024
	ds_write_b16 v14, v5 offset:2048
	;; [unrolled: 1-line block ×27, first 2 shown]
	s_waitcnt lgkmcnt(0)
	s_barrier
.LBB3428_64:
	v_mul_u32_u24_e32 v1, 28, v0
	v_lshlrev_b32_e32 v6, 1, v1
	ds_read_b64 v[20:21], v6 offset:48
	ds_read2_b64 v[2:5], v6 offset0:4 offset1:5
	ds_read2_b64 v[10:13], v6 offset1:1
	ds_read2_b64 v[6:9], v6 offset0:2 offset1:3
	s_add_u32 s0, s2, s4
	s_addc_u32 s1, s3, s5
	v_lshl_add_u64 v[22:23], s[0:1], 0, v[18:19]
	s_mov_b64 s[0:1], -1
	s_and_b64 vcc, exec, s[24:25]
	s_waitcnt lgkmcnt(0)
	s_barrier
	s_cbranch_vccz .LBB3428_66
; %bb.65:
	v_mov_b32_e32 v15, 0
	v_readfirstlane_b32 s0, v22
	v_readfirstlane_b32 s1, v23
	v_lshl_add_u64 v[24:25], v[22:23], 0, v[14:15]
	s_nop 3
	global_load_ubyte v15, v14, s[0:1]
	global_load_ubyte v30, v14, s[0:1] offset:1024
	global_load_ubyte v31, v14, s[0:1] offset:2048
	;; [unrolled: 1-line block ×3, first 2 shown]
	s_movk_i32 s0, 0x1000
	v_add_co_u32_e32 v26, vcc, s0, v24
	s_movk_i32 s0, 0x2000
	s_nop 0
	v_addc_co_u32_e32 v27, vcc, 0, v25, vcc
	v_add_co_u32_e32 v28, vcc, s0, v24
	s_movk_i32 s0, 0x3000
	s_nop 0
	v_addc_co_u32_e32 v29, vcc, 0, v25, vcc
	global_load_ubyte v33, v[26:27], off offset:1024
	global_load_ubyte v34, v[26:27], off offset:2048
	;; [unrolled: 1-line block ×3, first 2 shown]
	global_load_ubyte v36, v[28:29], off offset:-4096
	global_load_ubyte v37, v[28:29], off
	global_load_ubyte v38, v[28:29], off offset:1024
	global_load_ubyte v39, v[28:29], off offset:2048
	;; [unrolled: 1-line block ×3, first 2 shown]
	v_add_co_u32_e32 v26, vcc, s0, v24
	s_movk_i32 s0, 0x4000
	s_nop 0
	v_addc_co_u32_e32 v27, vcc, 0, v25, vcc
	v_add_co_u32_e32 v28, vcc, s0, v24
	s_movk_i32 s1, 0x6000
	s_nop 0
	v_addc_co_u32_e32 v29, vcc, 0, v25, vcc
	global_load_ubyte v41, v[28:29], off offset:-4096
	global_load_ubyte v42, v[26:27], off offset:1024
	global_load_ubyte v43, v[26:27], off offset:2048
	global_load_ubyte v44, v[26:27], off offset:3072
	global_load_ubyte v45, v[28:29], off
	v_add_co_u32_e32 v26, vcc, s1, v24
	s_movk_i32 s0, 0x5000
	s_nop 0
	v_addc_co_u32_e32 v27, vcc, 0, v25, vcc
	v_add_co_u32_e32 v24, vcc, s0, v24
	global_load_ubyte v46, v[28:29], off offset:1024
	global_load_ubyte v47, v[28:29], off offset:2048
	;; [unrolled: 1-line block ×3, first 2 shown]
	global_load_ubyte v49, v[26:27], off offset:-4096
	v_addc_co_u32_e32 v25, vcc, 0, v25, vcc
	global_load_ubyte v28, v[24:25], off offset:1024
	global_load_ubyte v29, v[24:25], off offset:2048
	;; [unrolled: 1-line block ×3, first 2 shown]
	global_load_ubyte v51, v[26:27], off
	global_load_ubyte v52, v[26:27], off offset:1024
	global_load_ubyte v53, v[26:27], off offset:2048
	;; [unrolled: 1-line block ×3, first 2 shown]
	s_mov_b64 s[0:1], 0
	s_waitcnt vmcnt(27)
	v_xor_b32_e32 v15, -1, v15
	s_waitcnt vmcnt(26)
	v_xor_b32_e32 v24, -1, v30
	;; [unrolled: 2-line block ×4, first 2 shown]
	v_and_b32_e32 v15, 1, v15
	v_and_b32_e32 v24, 1, v24
	;; [unrolled: 1-line block ×4, first 2 shown]
	s_waitcnt vmcnt(23)
	v_xor_b32_e32 v30, -1, v33
	s_waitcnt vmcnt(22)
	v_xor_b32_e32 v31, -1, v34
	;; [unrolled: 2-line block ×8, first 2 shown]
	v_and_b32_e32 v27, 1, v27
	v_and_b32_e32 v30, 1, v30
	;; [unrolled: 1-line block ×6, first 2 shown]
	s_waitcnt vmcnt(15)
	v_xor_b32_e32 v37, -1, v41
	s_waitcnt vmcnt(14)
	v_xor_b32_e32 v38, -1, v42
	;; [unrolled: 2-line block ×5, first 2 shown]
	v_and_b32_e32 v35, 1, v35
	v_and_b32_e32 v36, 1, v36
	;; [unrolled: 1-line block ×4, first 2 shown]
	s_waitcnt vmcnt(10)
	v_xor_b32_e32 v42, -1, v46
	s_waitcnt vmcnt(9)
	v_xor_b32_e32 v43, -1, v47
	;; [unrolled: 2-line block ×11, first 2 shown]
	v_and_b32_e32 v39, 1, v39
	v_and_b32_e32 v40, 1, v40
	;; [unrolled: 1-line block ×14, first 2 shown]
	ds_write_b8 v0, v15
	ds_write_b8 v0, v24 offset:512
	ds_write_b8 v0, v25 offset:1024
	;; [unrolled: 1-line block ×27, first 2 shown]
	s_waitcnt lgkmcnt(0)
	s_barrier
.LBB3428_66:
	s_andn2_b64 vcc, exec, s[0:1]
	s_cbranch_vccnz .LBB3428_124
; %bb.67:
	v_cmp_gt_u32_e32 vcc, s33, v0
	v_mov_b32_e32 v15, 0
	v_mov_b32_e32 v24, 0
	s_and_saveexec_b64 s[0:1], vcc
	s_cbranch_execz .LBB3428_69
; %bb.68:
	v_readfirstlane_b32 s2, v22
	v_readfirstlane_b32 s3, v23
	s_nop 4
	global_load_ubyte v24, v14, s[2:3]
	s_waitcnt vmcnt(0)
	v_xor_b32_e32 v24, -1, v24
	v_and_b32_e32 v24, 1, v24
.LBB3428_69:
	s_or_b64 exec, exec, s[0:1]
	v_or_b32_e32 v25, 0x200, v0
	v_cmp_gt_u32_e32 vcc, s33, v25
	s_and_saveexec_b64 s[0:1], vcc
	s_cbranch_execz .LBB3428_71
; %bb.70:
	v_readfirstlane_b32 s2, v22
	v_readfirstlane_b32 s3, v23
	s_nop 4
	global_load_ubyte v15, v14, s[2:3] offset:1024
	s_waitcnt vmcnt(0)
	v_xor_b32_e32 v15, -1, v15
	v_and_b32_e32 v15, 1, v15
.LBB3428_71:
	s_or_b64 exec, exec, s[0:1]
	v_or_b32_e32 v25, 0x400, v0
	v_cmp_gt_u32_e32 vcc, s33, v25
	v_mov_b32_e32 v25, 0
	v_mov_b32_e32 v26, 0
	s_and_saveexec_b64 s[0:1], vcc
	s_cbranch_execz .LBB3428_73
; %bb.72:
	v_readfirstlane_b32 s2, v22
	v_readfirstlane_b32 s3, v23
	s_nop 4
	global_load_ubyte v26, v14, s[2:3] offset:2048
	s_waitcnt vmcnt(0)
	v_xor_b32_e32 v26, -1, v26
	v_and_b32_e32 v26, 1, v26
.LBB3428_73:
	s_or_b64 exec, exec, s[0:1]
	v_or_b32_e32 v27, 0x600, v0
	v_cmp_gt_u32_e32 vcc, s33, v27
	s_and_saveexec_b64 s[0:1], vcc
	s_cbranch_execz .LBB3428_75
; %bb.74:
	v_readfirstlane_b32 s2, v22
	v_readfirstlane_b32 s3, v23
	s_nop 4
	global_load_ubyte v25, v14, s[2:3] offset:3072
	s_waitcnt vmcnt(0)
	v_xor_b32_e32 v25, -1, v25
	v_and_b32_e32 v25, 1, v25
.LBB3428_75:
	s_or_b64 exec, exec, s[0:1]
	v_or_b32_e32 v29, 0x800, v0
	v_cmp_gt_u32_e32 vcc, s33, v29
	v_mov_b32_e32 v27, 0
	v_mov_b32_e32 v28, 0
	s_and_saveexec_b64 s[0:1], vcc
	s_cbranch_execz .LBB3428_77
; %bb.76:
	v_lshlrev_b32_e32 v28, 1, v29
	v_readfirstlane_b32 s2, v22
	v_readfirstlane_b32 s3, v23
	s_nop 4
	global_load_ubyte v28, v28, s[2:3]
	s_waitcnt vmcnt(0)
	v_xor_b32_e32 v28, -1, v28
	v_and_b32_e32 v28, 1, v28
.LBB3428_77:
	s_or_b64 exec, exec, s[0:1]
	v_or_b32_e32 v29, 0xa00, v0
	v_cmp_gt_u32_e32 vcc, s33, v29
	s_and_saveexec_b64 s[0:1], vcc
	s_cbranch_execz .LBB3428_79
; %bb.78:
	v_lshlrev_b32_e32 v27, 1, v29
	v_readfirstlane_b32 s2, v22
	v_readfirstlane_b32 s3, v23
	s_nop 4
	global_load_ubyte v27, v27, s[2:3]
	s_waitcnt vmcnt(0)
	v_xor_b32_e32 v27, -1, v27
	v_and_b32_e32 v27, 1, v27
.LBB3428_79:
	s_or_b64 exec, exec, s[0:1]
	v_or_b32_e32 v31, 0xc00, v0
	v_cmp_gt_u32_e32 vcc, s33, v31
	v_mov_b32_e32 v29, 0
	v_mov_b32_e32 v30, 0
	s_and_saveexec_b64 s[0:1], vcc
	s_cbranch_execz .LBB3428_81
; %bb.80:
	v_lshlrev_b32_e32 v30, 1, v31
	v_readfirstlane_b32 s2, v22
	v_readfirstlane_b32 s3, v23
	s_nop 4
	global_load_ubyte v30, v30, s[2:3]
	s_waitcnt vmcnt(0)
	v_xor_b32_e32 v30, -1, v30
	v_and_b32_e32 v30, 1, v30
.LBB3428_81:
	s_or_b64 exec, exec, s[0:1]
	v_or_b32_e32 v31, 0xe00, v0
	v_cmp_gt_u32_e32 vcc, s33, v31
	s_and_saveexec_b64 s[0:1], vcc
	s_cbranch_execz .LBB3428_83
; %bb.82:
	v_lshlrev_b32_e32 v29, 1, v31
	v_readfirstlane_b32 s2, v22
	v_readfirstlane_b32 s3, v23
	s_nop 4
	global_load_ubyte v29, v29, s[2:3]
	s_waitcnt vmcnt(0)
	v_xor_b32_e32 v29, -1, v29
	v_and_b32_e32 v29, 1, v29
.LBB3428_83:
	;; [unrolled: 32-line block ×12, first 2 shown]
	s_or_b64 exec, exec, s[0:1]
	ds_write_b8 v0, v24
	ds_write_b8 v0, v15 offset:512
	ds_write_b8 v0, v26 offset:1024
	;; [unrolled: 1-line block ×27, first 2 shown]
	s_waitcnt lgkmcnt(0)
	s_barrier
.LBB3428_124:
	ds_read2_b32 v[28:29], v1 offset1:1
	ds_read2_b32 v[26:27], v1 offset0:2 offset1:3
	ds_read2_b32 v[24:25], v1 offset0:4 offset1:5
	ds_read_b32 v38, v1 offset:24
	s_cmp_lg_u32 s38, 0
	v_lshrrev_b32_e32 v65, 6, v0
	s_waitcnt lgkmcnt(2)
	v_and_b32_e32 v57, 0xff, v26
	v_lshrrev_b32_e32 v45, 24, v28
	v_bfe_u32 v63, v28, 16, 8
	v_add_u32_sdwa v22, v28, v28 dst_sel:DWORD dst_unused:UNUSED_PAD src0_sel:BYTE_1 src1_sel:BYTE_0
	v_and_b32_e32 v60, 0xff, v29
	v_bfe_u32 v61, v29, 8, 8
	v_add3_u32 v22, v22, v63, v45
	v_lshrrev_b32_e32 v44, 24, v29
	v_bfe_u32 v62, v29, 16, 8
	v_add3_u32 v22, v22, v60, v61
	v_bfe_u32 v58, v26, 8, 8
	v_add3_u32 v22, v22, v62, v44
	v_lshrrev_b32_e32 v43, 24, v26
	v_bfe_u32 v59, v26, 16, 8
	v_add3_u32 v22, v22, v57, v58
	v_and_b32_e32 v54, 0xff, v27
	v_bfe_u32 v55, v27, 8, 8
	v_add3_u32 v22, v22, v59, v43
	v_lshrrev_b32_e32 v42, 24, v27
	v_bfe_u32 v56, v27, 16, 8
	v_add3_u32 v22, v22, v54, v55
	s_waitcnt lgkmcnt(1)
	v_and_b32_e32 v51, 0xff, v24
	v_bfe_u32 v52, v24, 8, 8
	v_add3_u32 v22, v22, v56, v42
	v_lshrrev_b32_e32 v41, 24, v24
	v_bfe_u32 v53, v24, 16, 8
	v_add3_u32 v22, v22, v51, v52
	v_and_b32_e32 v48, 0xff, v25
	v_bfe_u32 v49, v25, 8, 8
	v_add3_u32 v22, v22, v53, v41
	v_lshrrev_b32_e32 v40, 24, v25
	v_bfe_u32 v50, v25, 16, 8
	v_add3_u32 v22, v22, v48, v49
	s_waitcnt lgkmcnt(0)
	v_and_b32_e32 v46, 0xff, v38
	v_bfe_u32 v47, v38, 8, 8
	v_add3_u32 v22, v22, v50, v40
	v_lshrrev_b32_e32 v15, 24, v38
	v_bfe_u32 v39, v38, 16, 8
	v_add3_u32 v22, v22, v46, v47
	v_add3_u32 v66, v22, v39, v15
	v_mbcnt_lo_u32_b32 v22, -1, 0
	v_mbcnt_hi_u32_b32 v64, -1, v22
	v_and_b32_e32 v22, 15, v64
	v_cmp_eq_u32_e64 s[14:15], 0, v22
	v_cmp_lt_u32_e64 s[12:13], 1, v22
	v_cmp_lt_u32_e64 s[10:11], 3, v22
	;; [unrolled: 1-line block ×3, first 2 shown]
	v_and_b32_e32 v22, 16, v64
	v_cmp_eq_u32_e64 s[6:7], 0, v22
	v_or_b32_e32 v22, 63, v0
	v_cmp_lt_u32_e64 s[2:3], 31, v64
	v_cmp_eq_u32_e64 s[4:5], v22, v0
	s_barrier
	s_cbranch_scc0 .LBB3428_155
; %bb.125:
	v_mov_b32_dpp v22, v66 row_shr:1 row_mask:0xf bank_mask:0xf
	v_cndmask_b32_e64 v22, v22, 0, s[14:15]
	v_add_u32_e32 v22, v22, v66
	s_nop 1
	v_mov_b32_dpp v23, v22 row_shr:2 row_mask:0xf bank_mask:0xf
	v_cndmask_b32_e64 v23, 0, v23, s[12:13]
	v_add_u32_e32 v22, v22, v23
	s_nop 1
	v_mov_b32_dpp v23, v22 row_shr:4 row_mask:0xf bank_mask:0xf
	v_cndmask_b32_e64 v23, 0, v23, s[10:11]
	v_add_u32_e32 v22, v22, v23
	s_nop 1
	v_mov_b32_dpp v23, v22 row_shr:8 row_mask:0xf bank_mask:0xf
	v_cndmask_b32_e64 v23, 0, v23, s[8:9]
	v_add_u32_e32 v22, v22, v23
	s_nop 1
	v_mov_b32_dpp v23, v22 row_bcast:15 row_mask:0xf bank_mask:0xf
	v_cndmask_b32_e64 v23, v23, 0, s[6:7]
	v_add_u32_e32 v22, v22, v23
	s_nop 1
	v_mov_b32_dpp v23, v22 row_bcast:31 row_mask:0xf bank_mask:0xf
	v_cndmask_b32_e64 v23, 0, v23, s[2:3]
	v_add_u32_e32 v22, v22, v23
	s_and_saveexec_b64 s[0:1], s[4:5]
	s_cbranch_execz .LBB3428_127
; %bb.126:
	v_lshlrev_b32_e32 v23, 2, v65
	ds_write_b32 v23, v22
.LBB3428_127:
	s_or_b64 exec, exec, s[0:1]
	v_cmp_gt_u32_e32 vcc, 8, v0
	s_waitcnt lgkmcnt(0)
	s_barrier
	s_and_saveexec_b64 s[0:1], vcc
	s_cbranch_execz .LBB3428_129
; %bb.128:
	v_lshlrev_b32_e32 v23, 2, v0
	ds_read_b32 v30, v23
	v_and_b32_e32 v31, 7, v64
	v_cmp_ne_u32_e32 vcc, 0, v31
	s_waitcnt lgkmcnt(0)
	v_mov_b32_dpp v32, v30 row_shr:1 row_mask:0xf bank_mask:0xf
	v_cndmask_b32_e32 v32, 0, v32, vcc
	v_add_u32_e32 v30, v32, v30
	v_cmp_lt_u32_e32 vcc, 1, v31
	s_nop 0
	v_mov_b32_dpp v32, v30 row_shr:2 row_mask:0xf bank_mask:0xf
	v_cndmask_b32_e32 v32, 0, v32, vcc
	v_add_u32_e32 v30, v30, v32
	v_cmp_lt_u32_e32 vcc, 3, v31
	s_nop 0
	v_mov_b32_dpp v32, v30 row_shr:4 row_mask:0xf bank_mask:0xf
	v_cndmask_b32_e32 v31, 0, v32, vcc
	v_add_u32_e32 v30, v30, v31
	ds_write_b32 v23, v30
.LBB3428_129:
	s_or_b64 exec, exec, s[0:1]
	v_cmp_gt_u32_e32 vcc, 64, v0
	v_cmp_lt_u32_e64 s[0:1], 63, v0
	s_waitcnt lgkmcnt(0)
	s_barrier
	s_waitcnt lgkmcnt(0)
                                        ; implicit-def: $vgpr67
	s_and_saveexec_b64 s[16:17], s[0:1]
	s_cbranch_execz .LBB3428_131
; %bb.130:
	v_lshl_add_u32 v23, v65, 2, -4
	ds_read_b32 v67, v23
	s_waitcnt lgkmcnt(0)
	v_add_u32_e32 v22, v67, v22
.LBB3428_131:
	s_or_b64 exec, exec, s[16:17]
	v_add_u32_e32 v23, -1, v64
	v_and_b32_e32 v30, 64, v64
	v_cmp_lt_i32_e64 s[0:1], v23, v30
	v_cmp_eq_u32_e64 s[16:17], 0, v64
	s_nop 0
	v_cndmask_b32_e64 v23, v23, v64, s[0:1]
	v_lshlrev_b32_e32 v23, 2, v23
	ds_bpermute_b32 v68, v23, v22
	s_and_saveexec_b64 s[0:1], vcc
	s_cbranch_execz .LBB3428_154
; %bb.132:
	v_mov_b32_e32 v37, 0
	ds_read_b32 v22, v37 offset:28
	s_and_saveexec_b64 s[34:35], s[16:17]
	s_cbranch_execz .LBB3428_134
; %bb.133:
	s_add_i32 s36, s38, 64
	s_mov_b32 s37, 0
	s_lshl_b64 s[36:37], s[36:37], 3
	s_add_u32 s36, s30, s36
	v_mov_b32_e32 v23, 1
	s_addc_u32 s37, s31, s37
	s_waitcnt lgkmcnt(0)
	global_store_dwordx2 v37, v[22:23], s[36:37] sc1
.LBB3428_134:
	s_or_b64 exec, exec, s[34:35]
	v_xad_u32 v30, v64, -1, s38
	v_add_u32_e32 v36, 64, v30
	v_lshl_add_u64 v[32:33], v[36:37], 3, s[30:31]
	global_load_dwordx2 v[34:35], v[32:33], off sc1
	s_waitcnt vmcnt(0)
	v_cmp_eq_u16_sdwa s[36:37], v35, v37 src0_sel:BYTE_0 src1_sel:DWORD
	s_and_saveexec_b64 s[34:35], s[36:37]
	s_cbranch_execz .LBB3428_140
; %bb.135:
	s_mov_b32 s39, 1
	s_mov_b64 s[36:37], 0
	v_mov_b32_e32 v23, 0
.LBB3428_136:                           ; =>This Loop Header: Depth=1
                                        ;     Child Loop BB3428_137 Depth 2
	s_max_u32 s40, s39, 1
.LBB3428_137:                           ;   Parent Loop BB3428_136 Depth=1
                                        ; =>  This Inner Loop Header: Depth=2
	s_add_i32 s40, s40, -1
	s_cmp_eq_u32 s40, 0
	s_sleep 1
	s_cbranch_scc0 .LBB3428_137
; %bb.138:                              ;   in Loop: Header=BB3428_136 Depth=1
	global_load_dwordx2 v[34:35], v[32:33], off sc1
	s_cmp_lt_u32 s39, 32
	s_cselect_b64 s[40:41], -1, 0
	s_cmp_lg_u64 s[40:41], 0
	s_addc_u32 s39, s39, 0
	s_waitcnt vmcnt(0)
	v_cmp_ne_u16_sdwa s[40:41], v35, v23 src0_sel:BYTE_0 src1_sel:DWORD
	s_or_b64 s[36:37], s[40:41], s[36:37]
	s_andn2_b64 exec, exec, s[36:37]
	s_cbranch_execnz .LBB3428_136
; %bb.139:
	s_or_b64 exec, exec, s[36:37]
.LBB3428_140:
	s_or_b64 exec, exec, s[34:35]
	v_and_b32_e32 v70, 63, v64
	v_mov_b32_e32 v69, 2
	v_cmp_ne_u32_e32 vcc, 63, v70
	v_cmp_eq_u16_sdwa s[34:35], v35, v69 src0_sel:BYTE_0 src1_sel:DWORD
	v_lshlrev_b64 v[32:33], v64, -1
	v_addc_co_u32_e32 v36, vcc, 0, v64, vcc
	v_and_b32_e32 v23, s35, v33
	v_lshlrev_b32_e32 v71, 2, v36
	v_or_b32_e32 v23, 0x80000000, v23
	ds_bpermute_b32 v36, v71, v34
	v_and_b32_e32 v31, s34, v32
	v_ffbl_b32_e32 v23, v23
	v_add_u32_e32 v23, 32, v23
	v_ffbl_b32_e32 v31, v31
	v_min_u32_e32 v23, v31, v23
	v_cmp_lt_u32_e32 vcc, v70, v23
	v_add_u32_e32 v73, 2, v70
	v_add_u32_e32 v75, 4, v70
	s_waitcnt lgkmcnt(0)
	v_cndmask_b32_e32 v31, 0, v36, vcc
	v_cmp_gt_u32_e32 vcc, 62, v70
	v_add_u32_e32 v31, v31, v34
	v_add_u32_e32 v77, 8, v70
	v_cndmask_b32_e64 v34, 0, 1, vcc
	v_lshlrev_b32_e32 v34, 1, v34
	v_add_lshl_u32 v72, v34, v64, 2
	ds_bpermute_b32 v34, v72, v31
	v_cmp_le_u32_e32 vcc, v73, v23
	v_add_u32_e32 v79, 16, v70
	v_add_u32_e32 v81, 32, v70
	s_waitcnt lgkmcnt(0)
	v_cndmask_b32_e32 v34, 0, v34, vcc
	v_cmp_gt_u32_e32 vcc, 60, v70
	v_add_u32_e32 v31, v31, v34
	s_nop 0
	v_cndmask_b32_e64 v34, 0, 1, vcc
	v_lshlrev_b32_e32 v34, 2, v34
	v_add_lshl_u32 v74, v34, v64, 2
	ds_bpermute_b32 v34, v74, v31
	v_cmp_le_u32_e32 vcc, v75, v23
	s_waitcnt lgkmcnt(0)
	s_nop 0
	v_cndmask_b32_e32 v34, 0, v34, vcc
	v_cmp_gt_u32_e32 vcc, 56, v70
	v_add_u32_e32 v31, v31, v34
	s_nop 0
	v_cndmask_b32_e64 v34, 0, 1, vcc
	v_lshlrev_b32_e32 v34, 3, v34
	v_add_lshl_u32 v76, v34, v64, 2
	ds_bpermute_b32 v34, v76, v31
	v_cmp_le_u32_e32 vcc, v77, v23
	s_waitcnt lgkmcnt(0)
	s_nop 0
	;; [unrolled: 11-line block ×4, first 2 shown]
	v_cndmask_b32_e32 v23, 0, v34, vcc
	v_add_u32_e32 v34, v31, v23
	v_mov_b32_e32 v31, 0
	s_branch .LBB3428_142
.LBB3428_141:                           ;   in Loop: Header=BB3428_142 Depth=1
	s_or_b64 exec, exec, s[34:35]
	v_cmp_eq_u16_sdwa s[34:35], v35, v69 src0_sel:BYTE_0 src1_sel:DWORD
	ds_bpermute_b32 v82, v71, v34
	v_subrev_u32_e32 v30, 64, v30
	v_and_b32_e32 v36, s35, v33
	v_or_b32_e32 v36, 0x80000000, v36
	v_and_b32_e32 v37, s34, v32
	v_ffbl_b32_e32 v36, v36
	v_add_u32_e32 v36, 32, v36
	v_ffbl_b32_e32 v37, v37
	v_min_u32_e32 v36, v37, v36
	v_cmp_lt_u32_e32 vcc, v70, v36
	s_waitcnt lgkmcnt(0)
	s_nop 0
	v_cndmask_b32_e32 v37, 0, v82, vcc
	v_add_u32_e32 v34, v37, v34
	ds_bpermute_b32 v37, v72, v34
	v_cmp_le_u32_e32 vcc, v73, v36
	s_waitcnt lgkmcnt(0)
	s_nop 0
	v_cndmask_b32_e32 v37, 0, v37, vcc
	v_add_u32_e32 v34, v34, v37
	ds_bpermute_b32 v37, v74, v34
	v_cmp_le_u32_e32 vcc, v75, v36
	;; [unrolled: 6-line block ×5, first 2 shown]
	s_waitcnt lgkmcnt(0)
	s_nop 0
	v_cndmask_b32_e32 v36, 0, v37, vcc
	v_add3_u32 v34, v36, v23, v34
.LBB3428_142:                           ; =>This Loop Header: Depth=1
                                        ;     Child Loop BB3428_145 Depth 2
                                        ;       Child Loop BB3428_146 Depth 3
	v_cmp_ne_u16_sdwa s[34:35], v35, v69 src0_sel:BYTE_0 src1_sel:DWORD
	s_nop 1
	v_cndmask_b32_e64 v23, 0, 1, s[34:35]
	;;#ASMSTART
	;;#ASMEND
	s_nop 0
	v_cmp_ne_u32_e32 vcc, 0, v23
	s_cmp_lg_u64 vcc, exec
	v_mov_b32_e32 v23, v34
	s_cbranch_scc1 .LBB3428_149
; %bb.143:                              ;   in Loop: Header=BB3428_142 Depth=1
	v_lshl_add_u64 v[36:37], v[30:31], 3, s[30:31]
	global_load_dwordx2 v[34:35], v[36:37], off sc1
	s_waitcnt vmcnt(0)
	v_cmp_eq_u16_sdwa s[36:37], v35, v31 src0_sel:BYTE_0 src1_sel:DWORD
	s_and_saveexec_b64 s[34:35], s[36:37]
	s_cbranch_execz .LBB3428_141
; %bb.144:                              ;   in Loop: Header=BB3428_142 Depth=1
	s_mov_b32 s39, 1
	s_mov_b64 s[36:37], 0
.LBB3428_145:                           ;   Parent Loop BB3428_142 Depth=1
                                        ; =>  This Loop Header: Depth=2
                                        ;       Child Loop BB3428_146 Depth 3
	s_max_u32 s40, s39, 1
.LBB3428_146:                           ;   Parent Loop BB3428_142 Depth=1
                                        ;     Parent Loop BB3428_145 Depth=2
                                        ; =>    This Inner Loop Header: Depth=3
	s_add_i32 s40, s40, -1
	s_cmp_eq_u32 s40, 0
	s_sleep 1
	s_cbranch_scc0 .LBB3428_146
; %bb.147:                              ;   in Loop: Header=BB3428_145 Depth=2
	global_load_dwordx2 v[34:35], v[36:37], off sc1
	s_cmp_lt_u32 s39, 32
	s_cselect_b64 s[40:41], -1, 0
	s_cmp_lg_u64 s[40:41], 0
	s_addc_u32 s39, s39, 0
	s_waitcnt vmcnt(0)
	v_cmp_ne_u16_sdwa s[40:41], v35, v31 src0_sel:BYTE_0 src1_sel:DWORD
	s_or_b64 s[36:37], s[40:41], s[36:37]
	s_andn2_b64 exec, exec, s[36:37]
	s_cbranch_execnz .LBB3428_145
; %bb.148:                              ;   in Loop: Header=BB3428_142 Depth=1
	s_or_b64 exec, exec, s[36:37]
	s_branch .LBB3428_141
.LBB3428_149:                           ;   in Loop: Header=BB3428_142 Depth=1
                                        ; implicit-def: $vgpr34
                                        ; implicit-def: $vgpr35
	s_cbranch_execz .LBB3428_142
; %bb.150:
	s_and_saveexec_b64 s[34:35], s[16:17]
	s_cbranch_execz .LBB3428_152
; %bb.151:
	s_add_i32 s36, s38, 64
	s_mov_b32 s37, 0
	s_lshl_b64 s[36:37], s[36:37], 3
	s_add_u32 s36, s30, s36
	v_add_u32_e32 v30, v23, v22
	v_mov_b32_e32 v31, 2
	s_addc_u32 s37, s31, s37
	v_mov_b32_e32 v32, 0
	global_store_dwordx2 v32, v[30:31], s[36:37] sc1
	ds_write_b64 v32, v[22:23] offset:28672
.LBB3428_152:
	s_or_b64 exec, exec, s[34:35]
	s_and_b64 exec, exec, s[18:19]
	s_cbranch_execz .LBB3428_154
; %bb.153:
	v_mov_b32_e32 v22, 0
	ds_write_b32 v22, v23 offset:28
.LBB3428_154:
	s_or_b64 exec, exec, s[0:1]
	v_mov_b32_e32 v22, 0
	s_waitcnt lgkmcnt(0)
	s_barrier
	ds_read_b32 v30, v22 offset:28
	s_waitcnt lgkmcnt(0)
	s_barrier
	ds_read_b64 v[22:23], v22 offset:28672
	v_cndmask_b32_e64 v31, v68, v67, s[16:17]
	v_cndmask_b32_e64 v31, v31, 0, s[18:19]
	v_add_u32_e32 v36, v30, v31
	s_waitcnt lgkmcnt(0)
	v_mov_b32_e32 v30, v23
	s_branch .LBB3428_165
.LBB3428_155:
                                        ; implicit-def: $vgpr30
                                        ; implicit-def: $vgpr22
                                        ; implicit-def: $vgpr36
	s_cbranch_execz .LBB3428_165
; %bb.156:
	s_nop 0
	v_mov_b32_dpp v22, v66 row_shr:1 row_mask:0xf bank_mask:0xf
	v_cndmask_b32_e64 v22, v22, 0, s[14:15]
	v_add_u32_e32 v22, v22, v66
	s_nop 1
	v_mov_b32_dpp v23, v22 row_shr:2 row_mask:0xf bank_mask:0xf
	v_cndmask_b32_e64 v23, 0, v23, s[12:13]
	v_add_u32_e32 v22, v22, v23
	;; [unrolled: 4-line block ×4, first 2 shown]
	s_nop 1
	v_mov_b32_dpp v23, v22 row_bcast:15 row_mask:0xf bank_mask:0xf
	v_cndmask_b32_e64 v23, v23, 0, s[6:7]
	v_add_u32_e32 v22, v22, v23
	s_nop 1
	v_mov_b32_dpp v23, v22 row_bcast:31 row_mask:0xf bank_mask:0xf
	v_cndmask_b32_e64 v23, 0, v23, s[2:3]
	v_add_u32_e32 v22, v22, v23
	s_and_saveexec_b64 s[0:1], s[4:5]
	s_cbranch_execz .LBB3428_158
; %bb.157:
	v_lshlrev_b32_e32 v23, 2, v65
	ds_write_b32 v23, v22
.LBB3428_158:
	s_or_b64 exec, exec, s[0:1]
	v_cmp_gt_u32_e32 vcc, 8, v0
	s_waitcnt lgkmcnt(0)
	s_barrier
	s_and_saveexec_b64 s[0:1], vcc
	s_cbranch_execz .LBB3428_160
; %bb.159:
	v_lshlrev_b32_e32 v23, 2, v0
	ds_read_b32 v30, v23
	v_and_b32_e32 v31, 7, v64
	v_cmp_ne_u32_e32 vcc, 0, v31
	s_waitcnt lgkmcnt(0)
	v_mov_b32_dpp v32, v30 row_shr:1 row_mask:0xf bank_mask:0xf
	v_cndmask_b32_e32 v32, 0, v32, vcc
	v_add_u32_e32 v30, v32, v30
	v_cmp_lt_u32_e32 vcc, 1, v31
	s_nop 0
	v_mov_b32_dpp v32, v30 row_shr:2 row_mask:0xf bank_mask:0xf
	v_cndmask_b32_e32 v32, 0, v32, vcc
	v_add_u32_e32 v30, v30, v32
	v_cmp_lt_u32_e32 vcc, 3, v31
	s_nop 0
	v_mov_b32_dpp v32, v30 row_shr:4 row_mask:0xf bank_mask:0xf
	v_cndmask_b32_e32 v31, 0, v32, vcc
	v_add_u32_e32 v30, v30, v31
	ds_write_b32 v23, v30
.LBB3428_160:
	s_or_b64 exec, exec, s[0:1]
	v_cmp_lt_u32_e32 vcc, 63, v0
	v_mov_b32_e32 v23, 0
	v_mov_b32_e32 v30, 0
	s_waitcnt lgkmcnt(0)
	s_barrier
	s_and_saveexec_b64 s[0:1], vcc
	s_cbranch_execz .LBB3428_162
; %bb.161:
	v_lshl_add_u32 v30, v65, 2, -4
	ds_read_b32 v30, v30
.LBB3428_162:
	s_or_b64 exec, exec, s[0:1]
	v_add_u32_e32 v31, -1, v64
	v_and_b32_e32 v32, 64, v64
	v_cmp_lt_i32_e32 vcc, v31, v32
	s_waitcnt lgkmcnt(0)
	v_add_u32_e32 v22, v30, v22
	v_cndmask_b32_e32 v31, v31, v64, vcc
	v_lshlrev_b32_e32 v31, 2, v31
	ds_bpermute_b32 v31, v31, v22
	ds_read_b32 v22, v23 offset:28
	s_and_saveexec_b64 s[0:1], s[18:19]
	s_cbranch_execz .LBB3428_164
; %bb.163:
	v_mov_b32_e32 v32, 0
	v_mov_b32_e32 v23, 2
	s_waitcnt lgkmcnt(0)
	global_store_dwordx2 v32, v[22:23], s[30:31] offset:512 sc1
.LBB3428_164:
	s_or_b64 exec, exec, s[0:1]
	v_cmp_eq_u32_e32 vcc, 0, v64
	s_waitcnt lgkmcnt(0)
	s_barrier
	v_cndmask_b32_e32 v23, v31, v30, vcc
	v_mov_b32_e32 v30, 0
	v_cndmask_b32_e64 v36, v23, 0, s[18:19]
.LBB3428_165:
	v_add_u32_sdwa v64, v36, v28 dst_sel:DWORD dst_unused:UNUSED_PAD src0_sel:DWORD src1_sel:BYTE_0
	v_add_u32_e32 v1, v22, v1
	v_sub_u32_e32 v36, v36, v30
	v_and_b32_e32 v73, 1, v28
	v_sub_u32_e32 v72, v1, v36
	v_cmp_eq_u32_e32 vcc, 1, v73
	v_lshrrev_b32_e32 v37, 8, v28
	v_add_u32_sdwa v65, v64, v28 dst_sel:DWORD dst_unused:UNUSED_PAD src0_sel:DWORD src1_sel:BYTE_1
	v_cndmask_b32_e32 v36, v72, v36, vcc
	v_lshlrev_b32_e32 v36, 1, v36
	ds_write_b16 v36, v10
	v_sub_u32_e32 v36, v64, v30
	v_sub_u32_e32 v64, v1, v36
	v_and_b32_e32 v37, 1, v37
	v_add_u32_e32 v64, 1, v64
	v_cmp_eq_u32_e32 vcc, 1, v37
	v_mov_b32_e32 v37, 1
	v_and_b32_sdwa v28, v37, v28 dst_sel:DWORD dst_unused:UNUSED_PAD src0_sel:DWORD src1_sel:WORD_1
	v_cndmask_b32_e32 v36, v64, v36, vcc
	v_lshlrev_b32_e32 v36, 1, v36
	ds_write_b16_d16_hi v36, v10
	v_sub_u32_e32 v10, v65, v30
	v_sub_u32_e32 v36, v1, v10
	v_add_u32_e32 v36, 2, v36
	v_cmp_eq_u32_e32 vcc, 1, v28
	v_add_u32_e32 v63, v65, v63
	v_add_u32_e32 v66, v63, v45
	v_cndmask_b32_e32 v10, v36, v10, vcc
	v_lshlrev_b32_e32 v10, 1, v10
	ds_write_b16 v10, v11
	v_sub_u32_e32 v10, v63, v30
	v_sub_u32_e32 v28, v1, v10
	v_and_b32_e32 v36, 1, v45
	v_add_u32_e32 v28, 3, v28
	v_cmp_eq_u32_e32 vcc, 1, v36
	v_add_u32_e32 v60, v66, v60
	v_lshrrev_b32_e32 v35, 8, v29
	v_cndmask_b32_e32 v10, v28, v10, vcc
	v_lshlrev_b32_e32 v10, 1, v10
	ds_write_b16_d16_hi v10, v11
	v_sub_u32_e32 v10, v66, v30
	v_sub_u32_e32 v11, v1, v10
	v_and_b32_e32 v28, 1, v29
	v_add_u32_e32 v11, 4, v11
	v_cmp_eq_u32_e32 vcc, 1, v28
	v_and_b32_e32 v28, 1, v35
	v_add_u32_e32 v61, v60, v61
	v_cndmask_b32_e32 v10, v11, v10, vcc
	v_lshlrev_b32_e32 v10, 1, v10
	ds_write_b16 v10, v12
	v_sub_u32_e32 v10, v60, v30
	v_sub_u32_e32 v11, v1, v10
	v_add_u32_e32 v11, 5, v11
	v_cmp_eq_u32_e32 vcc, 1, v28
	v_add_u32_e32 v62, v61, v62
	v_add_u32_e32 v67, v62, v44
	v_cndmask_b32_e32 v10, v11, v10, vcc
	v_lshlrev_b32_e32 v10, 1, v10
	ds_write_b16_d16_hi v10, v12
	v_sub_u32_e32 v10, v61, v30
	v_sub_u32_e32 v11, v1, v10
	v_and_b32_sdwa v12, v37, v29 dst_sel:DWORD dst_unused:UNUSED_PAD src0_sel:DWORD src1_sel:WORD_1
	v_add_u32_e32 v11, 6, v11
	v_cmp_eq_u32_e32 vcc, 1, v12
	v_and_b32_e32 v12, 1, v44
	v_add_u32_e32 v57, v67, v57
	v_cndmask_b32_e32 v10, v11, v10, vcc
	v_lshlrev_b32_e32 v10, 1, v10
	ds_write_b16 v10, v13
	v_sub_u32_e32 v10, v62, v30
	v_sub_u32_e32 v11, v1, v10
	v_add_u32_e32 v11, 7, v11
	v_cmp_eq_u32_e32 vcc, 1, v12
	v_and_b32_e32 v12, 1, v26
	v_lshrrev_b32_e32 v34, 8, v26
	v_cndmask_b32_e32 v10, v11, v10, vcc
	v_lshlrev_b32_e32 v10, 1, v10
	ds_write_b16_d16_hi v10, v13
	v_sub_u32_e32 v10, v67, v30
	v_sub_u32_e32 v11, v1, v10
	v_add_u32_e32 v11, 8, v11
	v_cmp_eq_u32_e32 vcc, 1, v12
	v_and_b32_e32 v12, 1, v34
	v_add_u32_e32 v58, v57, v58
	v_cndmask_b32_e32 v10, v11, v10, vcc
	v_lshlrev_b32_e32 v10, 1, v10
	ds_write_b16 v10, v6
	v_sub_u32_e32 v10, v57, v30
	v_sub_u32_e32 v11, v1, v10
	v_add_u32_e32 v11, 9, v11
	v_cmp_eq_u32_e32 vcc, 1, v12
	v_add_u32_e32 v59, v58, v59
	v_add_u32_e32 v68, v59, v43
	v_cndmask_b32_e32 v10, v11, v10, vcc
	v_lshlrev_b32_e32 v10, 1, v10
	ds_write_b16_d16_hi v10, v6
	v_sub_u32_e32 v6, v58, v30
	v_sub_u32_e32 v10, v1, v6
	v_and_b32_sdwa v11, v37, v26 dst_sel:DWORD dst_unused:UNUSED_PAD src0_sel:DWORD src1_sel:WORD_1
	v_add_u32_e32 v10, 10, v10
	v_cmp_eq_u32_e32 vcc, 1, v11
	v_and_b32_e32 v11, 1, v43
	v_add_u32_e32 v54, v68, v54
	v_cndmask_b32_e32 v6, v10, v6, vcc
	v_lshlrev_b32_e32 v6, 1, v6
	ds_write_b16 v6, v7
	v_sub_u32_e32 v6, v59, v30
	v_sub_u32_e32 v10, v1, v6
	v_add_u32_e32 v10, 11, v10
	v_cmp_eq_u32_e32 vcc, 1, v11
	v_lshrrev_b32_e32 v33, 8, v27
	v_add_u32_e32 v55, v54, v55
	v_cndmask_b32_e32 v6, v10, v6, vcc
	v_lshlrev_b32_e32 v6, 1, v6
	ds_write_b16_d16_hi v6, v7
	v_sub_u32_e32 v6, v68, v30
	v_sub_u32_e32 v7, v1, v6
	v_and_b32_e32 v10, 1, v27
	v_add_u32_e32 v7, 12, v7
	v_cmp_eq_u32_e32 vcc, 1, v10
	v_and_b32_e32 v10, 1, v33
	v_add_u32_e32 v56, v55, v56
	v_cndmask_b32_e32 v6, v7, v6, vcc
	v_lshlrev_b32_e32 v6, 1, v6
	ds_write_b16 v6, v8
	v_sub_u32_e32 v6, v54, v30
	v_sub_u32_e32 v7, v1, v6
	v_add_u32_e32 v7, 13, v7
	v_cmp_eq_u32_e32 vcc, 1, v10
	v_add_u32_e32 v69, v56, v42
	v_add_u32_e32 v51, v69, v51
	v_cndmask_b32_e32 v6, v7, v6, vcc
	v_lshlrev_b32_e32 v6, 1, v6
	ds_write_b16_d16_hi v6, v8
	v_sub_u32_e32 v6, v55, v30
	v_sub_u32_e32 v7, v1, v6
	v_and_b32_sdwa v8, v37, v27 dst_sel:DWORD dst_unused:UNUSED_PAD src0_sel:DWORD src1_sel:WORD_1
	v_add_u32_e32 v7, 14, v7
	v_cmp_eq_u32_e32 vcc, 1, v8
	v_and_b32_e32 v8, 1, v42
	v_lshrrev_b32_e32 v32, 8, v24
	v_cndmask_b32_e32 v6, v7, v6, vcc
	v_lshlrev_b32_e32 v6, 1, v6
	ds_write_b16 v6, v9
	v_sub_u32_e32 v6, v56, v30
	v_sub_u32_e32 v7, v1, v6
	v_add_u32_e32 v7, 15, v7
	v_cmp_eq_u32_e32 vcc, 1, v8
	v_and_b32_e32 v8, 1, v24
	v_add_u32_e32 v52, v51, v52
	v_cndmask_b32_e32 v6, v7, v6, vcc
	v_lshlrev_b32_e32 v6, 1, v6
	ds_write_b16_d16_hi v6, v9
	v_sub_u32_e32 v6, v69, v30
	v_sub_u32_e32 v7, v1, v6
	v_add_u32_e32 v7, 16, v7
	v_cmp_eq_u32_e32 vcc, 1, v8
	v_and_b32_e32 v8, 1, v32
	v_add_u32_e32 v53, v52, v53
	v_cndmask_b32_e32 v6, v7, v6, vcc
	v_lshlrev_b32_e32 v6, 1, v6
	ds_write_b16 v6, v2
	v_sub_u32_e32 v6, v51, v30
	v_sub_u32_e32 v7, v1, v6
	v_add_u32_e32 v7, 17, v7
	v_cmp_eq_u32_e32 vcc, 1, v8
	v_add_u32_e32 v70, v53, v41
	v_add_u32_e32 v48, v70, v48
	v_cndmask_b32_e32 v6, v7, v6, vcc
	v_lshlrev_b32_e32 v6, 1, v6
	ds_write_b16_d16_hi v6, v2
	v_sub_u32_e32 v2, v52, v30
	v_sub_u32_e32 v6, v1, v2
	v_and_b32_sdwa v7, v37, v24 dst_sel:DWORD dst_unused:UNUSED_PAD src0_sel:DWORD src1_sel:WORD_1
	v_add_u32_e32 v6, 18, v6
	v_cmp_eq_u32_e32 vcc, 1, v7
	v_and_b32_e32 v7, 1, v41
	v_lshrrev_b32_e32 v31, 8, v25
	v_cndmask_b32_e32 v2, v6, v2, vcc
	v_lshlrev_b32_e32 v2, 1, v2
	ds_write_b16 v2, v3
	v_sub_u32_e32 v2, v53, v30
	v_sub_u32_e32 v6, v1, v2
	v_add_u32_e32 v6, 19, v6
	v_cmp_eq_u32_e32 vcc, 1, v7
	v_add_u32_e32 v49, v48, v49
	v_add_u32_e32 v50, v49, v50
	v_cndmask_b32_e32 v2, v6, v2, vcc
	v_lshlrev_b32_e32 v2, 1, v2
	ds_write_b16_d16_hi v2, v3
	v_sub_u32_e32 v2, v70, v30
	v_sub_u32_e32 v3, v1, v2
	v_and_b32_e32 v6, 1, v25
	v_add_u32_e32 v3, 20, v3
	v_cmp_eq_u32_e32 vcc, 1, v6
	v_and_b32_e32 v6, 1, v31
	v_add_u32_e32 v71, v50, v40
	v_cndmask_b32_e32 v2, v3, v2, vcc
	v_lshlrev_b32_e32 v2, 1, v2
	ds_write_b16 v2, v4
	v_sub_u32_e32 v2, v48, v30
	v_sub_u32_e32 v3, v1, v2
	v_add_u32_e32 v3, 21, v3
	v_cmp_eq_u32_e32 vcc, 1, v6
	v_add_u32_e32 v46, v71, v46
	v_lshrrev_b32_e32 v23, 8, v38
	v_cndmask_b32_e32 v2, v3, v2, vcc
	v_lshlrev_b32_e32 v2, 1, v2
	ds_write_b16_d16_hi v2, v4
	v_sub_u32_e32 v2, v49, v30
	v_sub_u32_e32 v3, v1, v2
	v_and_b32_sdwa v4, v37, v25 dst_sel:DWORD dst_unused:UNUSED_PAD src0_sel:DWORD src1_sel:WORD_1
	v_add_u32_e32 v3, 22, v3
	v_cmp_eq_u32_e32 vcc, 1, v4
	v_and_b32_e32 v4, 1, v40
	v_add_u32_e32 v47, v46, v47
	v_cndmask_b32_e32 v2, v3, v2, vcc
	v_lshlrev_b32_e32 v2, 1, v2
	ds_write_b16 v2, v5
	v_sub_u32_e32 v2, v50, v30
	v_sub_u32_e32 v3, v1, v2
	v_add_u32_e32 v3, 23, v3
	v_cmp_eq_u32_e32 vcc, 1, v4
	v_and_b32_e32 v4, 1, v38
	v_mov_b32_e32 v31, 0
	v_cndmask_b32_e32 v2, v3, v2, vcc
	v_lshlrev_b32_e32 v2, 1, v2
	ds_write_b16_d16_hi v2, v5
	v_sub_u32_e32 v2, v71, v30
	v_sub_u32_e32 v3, v1, v2
	v_add_u32_e32 v3, 24, v3
	v_cmp_eq_u32_e32 vcc, 1, v4
	v_and_b32_e32 v4, 1, v23
	v_mov_b32_e32 v23, v31
	v_cndmask_b32_e32 v2, v3, v2, vcc
	v_lshlrev_b32_e32 v2, 1, v2
	ds_write_b16 v2, v20
	v_sub_u32_e32 v2, v46, v30
	v_sub_u32_e32 v3, v1, v2
	v_add_u32_e32 v3, 25, v3
	v_cmp_eq_u32_e32 vcc, 1, v4
	v_and_b32_sdwa v4, v37, v38 dst_sel:DWORD dst_unused:UNUSED_PAD src0_sel:DWORD src1_sel:WORD_1
	v_mov_b32_e32 v5, s27
	v_cndmask_b32_e32 v2, v3, v2, vcc
	v_lshlrev_b32_e32 v2, 1, v2
	ds_write_b16_d16_hi v2, v20
	v_sub_u32_e32 v2, v47, v30
	v_sub_u32_e32 v3, v1, v2
	v_add_u32_e32 v3, 26, v3
	v_cmp_eq_u32_e32 vcc, 1, v4
	v_or_b32_e32 v66, 0x200, v0
	v_or_b32_e32 v64, 0x400, v0
	v_cndmask_b32_e32 v2, v3, v2, vcc
	v_lshlrev_b32_e32 v2, 1, v2
	ds_write_b16 v2, v21
	v_sub_u32_e32 v2, v39, v30
	v_add_u32_e32 v2, v47, v2
	v_sub_u32_e32 v1, v1, v2
	v_and_b32_e32 v3, 1, v15
	v_add_u32_e32 v1, 27, v1
	v_cmp_eq_u32_e32 vcc, 1, v3
	v_or_b32_e32 v62, 0x600, v0
	v_or_b32_e32 v60, 0x800, v0
	v_cndmask_b32_e32 v1, v1, v2, vcc
	v_lshlrev_b32_e32 v1, 1, v1
	ds_write_b16_d16_hi v1, v21
	s_waitcnt lgkmcnt(0)
	s_barrier
	ds_read_u16 v68, v14
	ds_read_u16 v67, v14 offset:1024
	ds_read_u16 v65, v14 offset:2048
	;; [unrolled: 1-line block ×27, first 2 shown]
	s_waitcnt vmcnt(0)
	v_lshl_add_u64 v[2:3], v[16:17], 0, v[22:23]
	v_lshl_add_u64 v[2:3], v[2:3], 0, v[30:31]
	v_sub_co_u32_e32 v4, vcc, s26, v2
	v_or_b32_e32 v58, 0xa00, v0
	s_nop 0
	v_subb_co_u32_e32 v5, vcc, v5, v3, vcc
	v_lshlrev_b64 v[4:5], 1, v[4:5]
	v_lshl_add_u64 v[4:5], s[28:29], 0, v[4:5]
	v_or_b32_e32 v56, 0xc00, v0
	v_or_b32_e32 v53, 0xe00, v0
	;; [unrolled: 1-line block ×22, first 2 shown]
	v_lshl_add_u64 v[4:5], v[4:5], 0, v[18:19]
	s_andn2_b64 vcc, exec, s[24:25]
	v_cmp_ge_u32_e64 s[0:1], v0, v22
	s_cbranch_vccnz .LBB3428_195
; %bb.166:
	s_and_saveexec_b64 s[2:3], s[0:1]
	s_cbranch_execnz .LBB3428_256
; %bb.167:
	s_or_b64 exec, exec, s[2:3]
	v_cmp_ge_u32_e32 vcc, v66, v22
	s_and_saveexec_b64 s[0:1], vcc
	s_cbranch_execnz .LBB3428_257
.LBB3428_168:
	s_or_b64 exec, exec, s[0:1]
	v_cmp_ge_u32_e32 vcc, v64, v22
	s_and_saveexec_b64 s[0:1], vcc
	s_cbranch_execnz .LBB3428_258
.LBB3428_169:
	s_or_b64 exec, exec, s[0:1]
	v_cmp_ge_u32_e32 vcc, v62, v22
	s_and_saveexec_b64 s[0:1], vcc
	s_cbranch_execnz .LBB3428_259
.LBB3428_170:
	s_or_b64 exec, exec, s[0:1]
	v_cmp_ge_u32_e32 vcc, v60, v22
	s_and_saveexec_b64 s[0:1], vcc
	s_cbranch_execnz .LBB3428_260
.LBB3428_171:
	s_or_b64 exec, exec, s[0:1]
	v_cmp_ge_u32_e32 vcc, v58, v22
	s_and_saveexec_b64 s[0:1], vcc
	s_cbranch_execnz .LBB3428_261
.LBB3428_172:
	s_or_b64 exec, exec, s[0:1]
	v_cmp_ge_u32_e32 vcc, v56, v22
	s_and_saveexec_b64 s[0:1], vcc
	s_cbranch_execnz .LBB3428_262
.LBB3428_173:
	s_or_b64 exec, exec, s[0:1]
	v_cmp_ge_u32_e32 vcc, v53, v22
	s_and_saveexec_b64 s[0:1], vcc
	s_cbranch_execnz .LBB3428_263
.LBB3428_174:
	s_or_b64 exec, exec, s[0:1]
	v_cmp_ge_u32_e32 vcc, v52, v22
	s_and_saveexec_b64 s[0:1], vcc
	s_cbranch_execnz .LBB3428_264
.LBB3428_175:
	s_or_b64 exec, exec, s[0:1]
	v_cmp_ge_u32_e32 vcc, v50, v22
	s_and_saveexec_b64 s[0:1], vcc
	s_cbranch_execnz .LBB3428_265
.LBB3428_176:
	s_or_b64 exec, exec, s[0:1]
	v_cmp_ge_u32_e32 vcc, v48, v22
	s_and_saveexec_b64 s[0:1], vcc
	s_cbranch_execnz .LBB3428_266
.LBB3428_177:
	s_or_b64 exec, exec, s[0:1]
	v_cmp_ge_u32_e32 vcc, v46, v22
	s_and_saveexec_b64 s[0:1], vcc
	s_cbranch_execnz .LBB3428_267
.LBB3428_178:
	s_or_b64 exec, exec, s[0:1]
	v_cmp_ge_u32_e32 vcc, v44, v22
	s_and_saveexec_b64 s[0:1], vcc
	s_cbranch_execnz .LBB3428_268
.LBB3428_179:
	s_or_b64 exec, exec, s[0:1]
	v_cmp_ge_u32_e32 vcc, v42, v22
	s_and_saveexec_b64 s[0:1], vcc
	s_cbranch_execnz .LBB3428_269
.LBB3428_180:
	s_or_b64 exec, exec, s[0:1]
	v_cmp_ge_u32_e32 vcc, v40, v22
	s_and_saveexec_b64 s[0:1], vcc
	s_cbranch_execnz .LBB3428_270
.LBB3428_181:
	s_or_b64 exec, exec, s[0:1]
	v_cmp_ge_u32_e32 vcc, v37, v22
	s_and_saveexec_b64 s[0:1], vcc
	s_cbranch_execnz .LBB3428_271
.LBB3428_182:
	s_or_b64 exec, exec, s[0:1]
	v_cmp_ge_u32_e32 vcc, v36, v22
	s_and_saveexec_b64 s[0:1], vcc
	s_cbranch_execnz .LBB3428_272
.LBB3428_183:
	s_or_b64 exec, exec, s[0:1]
	v_cmp_ge_u32_e32 vcc, v34, v22
	s_and_saveexec_b64 s[0:1], vcc
	s_cbranch_execnz .LBB3428_273
.LBB3428_184:
	s_or_b64 exec, exec, s[0:1]
	v_cmp_ge_u32_e32 vcc, v32, v22
	s_and_saveexec_b64 s[0:1], vcc
	s_cbranch_execnz .LBB3428_274
.LBB3428_185:
	s_or_b64 exec, exec, s[0:1]
	v_cmp_ge_u32_e32 vcc, v28, v22
	s_and_saveexec_b64 s[0:1], vcc
	s_cbranch_execnz .LBB3428_275
.LBB3428_186:
	s_or_b64 exec, exec, s[0:1]
	v_cmp_ge_u32_e32 vcc, v26, v22
	s_and_saveexec_b64 s[0:1], vcc
	s_cbranch_execnz .LBB3428_276
.LBB3428_187:
	s_or_b64 exec, exec, s[0:1]
	v_cmp_ge_u32_e32 vcc, v24, v22
	s_and_saveexec_b64 s[0:1], vcc
	s_cbranch_execnz .LBB3428_277
.LBB3428_188:
	s_or_b64 exec, exec, s[0:1]
	v_cmp_ge_u32_e32 vcc, v20, v22
	s_and_saveexec_b64 s[0:1], vcc
	s_cbranch_execnz .LBB3428_278
.LBB3428_189:
	s_or_b64 exec, exec, s[0:1]
	v_cmp_ge_u32_e32 vcc, v13, v22
	s_and_saveexec_b64 s[0:1], vcc
	s_cbranch_execnz .LBB3428_279
.LBB3428_190:
	s_or_b64 exec, exec, s[0:1]
	v_cmp_ge_u32_e32 vcc, v11, v22
	s_and_saveexec_b64 s[0:1], vcc
	s_cbranch_execnz .LBB3428_280
.LBB3428_191:
	s_or_b64 exec, exec, s[0:1]
	v_cmp_ge_u32_e32 vcc, v9, v22
	s_and_saveexec_b64 s[0:1], vcc
	s_cbranch_execnz .LBB3428_281
.LBB3428_192:
	s_or_b64 exec, exec, s[0:1]
	v_cmp_ge_u32_e32 vcc, v8, v22
	s_and_saveexec_b64 s[0:1], vcc
	s_cbranch_execz .LBB3428_194
.LBB3428_193:
	v_lshlrev_b32_e32 v16, 1, v8
	v_readfirstlane_b32 s2, v4
	v_readfirstlane_b32 s3, v5
	s_waitcnt lgkmcnt(1)
	s_nop 3
	global_store_short v16, v7, s[2:3]
.LBB3428_194:
	s_or_b64 exec, exec, s[0:1]
	v_cmp_ge_u32_e64 s[0:1], v6, v22
	s_branch .LBB3428_251
.LBB3428_195:
	s_mov_b64 s[0:1], 0
	s_cbranch_execz .LBB3428_251
; %bb.196:
	v_cmp_gt_u32_e32 vcc, s33, v0
	v_cmp_ge_u32_e64 s[0:1], v0, v22
	s_and_b64 s[2:3], vcc, s[0:1]
	s_and_saveexec_b64 s[0:1], s[2:3]
	s_cbranch_execz .LBB3428_198
; %bb.197:
	v_readfirstlane_b32 s2, v4
	v_readfirstlane_b32 s3, v5
	s_waitcnt lgkmcnt(14)
	s_nop 3
	global_store_short v14, v68, s[2:3]
.LBB3428_198:
	s_or_b64 exec, exec, s[0:1]
	v_cmp_gt_u32_e32 vcc, s33, v66
	v_cmp_ge_u32_e64 s[0:1], v66, v22
	s_and_b64 s[2:3], vcc, s[0:1]
	s_and_saveexec_b64 s[0:1], s[2:3]
	s_cbranch_execz .LBB3428_200
; %bb.199:
	v_readfirstlane_b32 s2, v4
	v_readfirstlane_b32 s3, v5
	s_waitcnt lgkmcnt(14)
	s_nop 3
	global_store_short v14, v67, s[2:3] offset:1024
.LBB3428_200:
	s_or_b64 exec, exec, s[0:1]
	v_cmp_gt_u32_e32 vcc, s33, v64
	v_cmp_ge_u32_e64 s[0:1], v64, v22
	s_and_b64 s[2:3], vcc, s[0:1]
	s_and_saveexec_b64 s[0:1], s[2:3]
	s_cbranch_execz .LBB3428_202
; %bb.201:
	v_readfirstlane_b32 s2, v4
	v_readfirstlane_b32 s3, v5
	s_waitcnt lgkmcnt(14)
	s_nop 3
	global_store_short v14, v65, s[2:3] offset:2048
.LBB3428_202:
	;; [unrolled: 13-line block ×3, first 2 shown]
	s_or_b64 exec, exec, s[0:1]
	v_cmp_gt_u32_e32 vcc, s33, v60
	v_cmp_ge_u32_e64 s[0:1], v60, v22
	s_and_b64 s[2:3], vcc, s[0:1]
	s_and_saveexec_b64 s[0:1], s[2:3]
	s_cbranch_execz .LBB3428_206
; %bb.205:
	v_lshlrev_b32_e32 v0, 1, v60
	v_readfirstlane_b32 s2, v4
	v_readfirstlane_b32 s3, v5
	s_waitcnt lgkmcnt(14)
	s_nop 3
	global_store_short v0, v61, s[2:3]
.LBB3428_206:
	s_or_b64 exec, exec, s[0:1]
	v_cmp_gt_u32_e32 vcc, s33, v58
	v_cmp_ge_u32_e64 s[0:1], v58, v22
	s_and_b64 s[2:3], vcc, s[0:1]
	s_and_saveexec_b64 s[0:1], s[2:3]
	s_cbranch_execz .LBB3428_208
; %bb.207:
	v_lshlrev_b32_e32 v0, 1, v58
	v_readfirstlane_b32 s2, v4
	v_readfirstlane_b32 s3, v5
	s_waitcnt lgkmcnt(14)
	s_nop 3
	global_store_short v0, v59, s[2:3]
.LBB3428_208:
	s_or_b64 exec, exec, s[0:1]
	v_cmp_gt_u32_e32 vcc, s33, v56
	v_cmp_ge_u32_e64 s[0:1], v56, v22
	s_and_b64 s[2:3], vcc, s[0:1]
	s_and_saveexec_b64 s[0:1], s[2:3]
	s_cbranch_execz .LBB3428_210
; %bb.209:
	v_lshlrev_b32_e32 v0, 1, v56
	v_readfirstlane_b32 s2, v4
	v_readfirstlane_b32 s3, v5
	s_waitcnt lgkmcnt(14)
	s_nop 3
	global_store_short v0, v57, s[2:3]
.LBB3428_210:
	s_or_b64 exec, exec, s[0:1]
	v_cmp_gt_u32_e32 vcc, s33, v53
	v_cmp_ge_u32_e64 s[0:1], v53, v22
	s_and_b64 s[2:3], vcc, s[0:1]
	s_and_saveexec_b64 s[0:1], s[2:3]
	s_cbranch_execz .LBB3428_212
; %bb.211:
	v_lshlrev_b32_e32 v0, 1, v53
	v_readfirstlane_b32 s2, v4
	v_readfirstlane_b32 s3, v5
	s_waitcnt lgkmcnt(14)
	s_nop 3
	global_store_short v0, v55, s[2:3]
.LBB3428_212:
	s_or_b64 exec, exec, s[0:1]
	v_cmp_gt_u32_e32 vcc, s33, v52
	v_cmp_ge_u32_e64 s[0:1], v52, v22
	s_and_b64 s[2:3], vcc, s[0:1]
	s_and_saveexec_b64 s[0:1], s[2:3]
	s_cbranch_execz .LBB3428_214
; %bb.213:
	v_lshlrev_b32_e32 v0, 1, v52
	v_readfirstlane_b32 s2, v4
	v_readfirstlane_b32 s3, v5
	s_waitcnt lgkmcnt(14)
	s_nop 3
	global_store_short v0, v54, s[2:3]
.LBB3428_214:
	s_or_b64 exec, exec, s[0:1]
	v_cmp_gt_u32_e32 vcc, s33, v50
	v_cmp_ge_u32_e64 s[0:1], v50, v22
	s_and_b64 s[2:3], vcc, s[0:1]
	s_and_saveexec_b64 s[0:1], s[2:3]
	s_cbranch_execz .LBB3428_216
; %bb.215:
	v_lshlrev_b32_e32 v0, 1, v50
	v_readfirstlane_b32 s2, v4
	v_readfirstlane_b32 s3, v5
	s_waitcnt lgkmcnt(14)
	s_nop 3
	global_store_short v0, v51, s[2:3]
.LBB3428_216:
	s_or_b64 exec, exec, s[0:1]
	v_cmp_gt_u32_e32 vcc, s33, v48
	v_cmp_ge_u32_e64 s[0:1], v48, v22
	s_and_b64 s[2:3], vcc, s[0:1]
	s_and_saveexec_b64 s[0:1], s[2:3]
	s_cbranch_execz .LBB3428_218
; %bb.217:
	v_lshlrev_b32_e32 v0, 1, v48
	v_readfirstlane_b32 s2, v4
	v_readfirstlane_b32 s3, v5
	s_waitcnt lgkmcnt(14)
	s_nop 3
	global_store_short v0, v49, s[2:3]
.LBB3428_218:
	s_or_b64 exec, exec, s[0:1]
	v_cmp_gt_u32_e32 vcc, s33, v46
	v_cmp_ge_u32_e64 s[0:1], v46, v22
	s_and_b64 s[2:3], vcc, s[0:1]
	s_and_saveexec_b64 s[0:1], s[2:3]
	s_cbranch_execz .LBB3428_220
; %bb.219:
	v_lshlrev_b32_e32 v0, 1, v46
	v_readfirstlane_b32 s2, v4
	v_readfirstlane_b32 s3, v5
	s_waitcnt lgkmcnt(14)
	s_nop 3
	global_store_short v0, v47, s[2:3]
.LBB3428_220:
	s_or_b64 exec, exec, s[0:1]
	v_cmp_gt_u32_e32 vcc, s33, v44
	v_cmp_ge_u32_e64 s[0:1], v44, v22
	s_and_b64 s[2:3], vcc, s[0:1]
	s_and_saveexec_b64 s[0:1], s[2:3]
	s_cbranch_execz .LBB3428_222
; %bb.221:
	v_lshlrev_b32_e32 v0, 1, v44
	v_readfirstlane_b32 s2, v4
	v_readfirstlane_b32 s3, v5
	s_waitcnt lgkmcnt(14)
	s_nop 3
	global_store_short v0, v45, s[2:3]
.LBB3428_222:
	s_or_b64 exec, exec, s[0:1]
	v_cmp_gt_u32_e32 vcc, s33, v42
	v_cmp_ge_u32_e64 s[0:1], v42, v22
	s_and_b64 s[2:3], vcc, s[0:1]
	s_and_saveexec_b64 s[0:1], s[2:3]
	s_cbranch_execz .LBB3428_224
; %bb.223:
	v_lshlrev_b32_e32 v0, 1, v42
	v_readfirstlane_b32 s2, v4
	v_readfirstlane_b32 s3, v5
	s_waitcnt lgkmcnt(14)
	s_nop 3
	global_store_short v0, v43, s[2:3]
.LBB3428_224:
	s_or_b64 exec, exec, s[0:1]
	v_cmp_gt_u32_e32 vcc, s33, v40
	v_cmp_ge_u32_e64 s[0:1], v40, v22
	s_and_b64 s[2:3], vcc, s[0:1]
	s_and_saveexec_b64 s[0:1], s[2:3]
	s_cbranch_execz .LBB3428_226
; %bb.225:
	v_lshlrev_b32_e32 v0, 1, v40
	v_readfirstlane_b32 s2, v4
	v_readfirstlane_b32 s3, v5
	s_waitcnt lgkmcnt(13)
	s_nop 3
	global_store_short v0, v41, s[2:3]
.LBB3428_226:
	s_or_b64 exec, exec, s[0:1]
	v_cmp_gt_u32_e32 vcc, s33, v37
	v_cmp_ge_u32_e64 s[0:1], v37, v22
	s_and_b64 s[2:3], vcc, s[0:1]
	s_and_saveexec_b64 s[0:1], s[2:3]
	s_cbranch_execz .LBB3428_228
; %bb.227:
	v_lshlrev_b32_e32 v0, 1, v37
	v_readfirstlane_b32 s2, v4
	v_readfirstlane_b32 s3, v5
	s_waitcnt lgkmcnt(12)
	s_nop 3
	global_store_short v0, v39, s[2:3]
.LBB3428_228:
	s_or_b64 exec, exec, s[0:1]
	v_cmp_gt_u32_e32 vcc, s33, v36
	v_cmp_ge_u32_e64 s[0:1], v36, v22
	s_and_b64 s[2:3], vcc, s[0:1]
	s_and_saveexec_b64 s[0:1], s[2:3]
	s_cbranch_execz .LBB3428_230
; %bb.229:
	v_lshlrev_b32_e32 v0, 1, v36
	v_readfirstlane_b32 s2, v4
	v_readfirstlane_b32 s3, v5
	s_waitcnt lgkmcnt(11)
	s_nop 3
	global_store_short v0, v38, s[2:3]
.LBB3428_230:
	s_or_b64 exec, exec, s[0:1]
	v_cmp_gt_u32_e32 vcc, s33, v34
	v_cmp_ge_u32_e64 s[0:1], v34, v22
	s_and_b64 s[2:3], vcc, s[0:1]
	s_and_saveexec_b64 s[0:1], s[2:3]
	s_cbranch_execz .LBB3428_232
; %bb.231:
	v_lshlrev_b32_e32 v0, 1, v34
	v_readfirstlane_b32 s2, v4
	v_readfirstlane_b32 s3, v5
	s_waitcnt lgkmcnt(10)
	s_nop 3
	global_store_short v0, v35, s[2:3]
.LBB3428_232:
	s_or_b64 exec, exec, s[0:1]
	v_cmp_gt_u32_e32 vcc, s33, v32
	v_cmp_ge_u32_e64 s[0:1], v32, v22
	s_and_b64 s[2:3], vcc, s[0:1]
	s_and_saveexec_b64 s[0:1], s[2:3]
	s_cbranch_execz .LBB3428_234
; %bb.233:
	v_lshlrev_b32_e32 v0, 1, v32
	v_readfirstlane_b32 s2, v4
	v_readfirstlane_b32 s3, v5
	s_waitcnt lgkmcnt(9)
	s_nop 3
	global_store_short v0, v33, s[2:3]
.LBB3428_234:
	s_or_b64 exec, exec, s[0:1]
	v_cmp_gt_u32_e32 vcc, s33, v28
	v_cmp_ge_u32_e64 s[0:1], v28, v22
	s_and_b64 s[2:3], vcc, s[0:1]
	s_and_saveexec_b64 s[0:1], s[2:3]
	s_cbranch_execz .LBB3428_236
; %bb.235:
	v_lshlrev_b32_e32 v0, 1, v28
	v_readfirstlane_b32 s2, v4
	v_readfirstlane_b32 s3, v5
	s_waitcnt lgkmcnt(8)
	s_nop 3
	global_store_short v0, v29, s[2:3]
.LBB3428_236:
	s_or_b64 exec, exec, s[0:1]
	v_cmp_gt_u32_e32 vcc, s33, v26
	v_cmp_ge_u32_e64 s[0:1], v26, v22
	s_and_b64 s[2:3], vcc, s[0:1]
	s_and_saveexec_b64 s[0:1], s[2:3]
	s_cbranch_execz .LBB3428_238
; %bb.237:
	v_lshlrev_b32_e32 v0, 1, v26
	v_readfirstlane_b32 s2, v4
	v_readfirstlane_b32 s3, v5
	s_waitcnt lgkmcnt(7)
	s_nop 3
	global_store_short v0, v27, s[2:3]
.LBB3428_238:
	s_or_b64 exec, exec, s[0:1]
	v_cmp_gt_u32_e32 vcc, s33, v24
	v_cmp_ge_u32_e64 s[0:1], v24, v22
	s_and_b64 s[2:3], vcc, s[0:1]
	s_and_saveexec_b64 s[0:1], s[2:3]
	s_cbranch_execz .LBB3428_240
; %bb.239:
	v_lshlrev_b32_e32 v0, 1, v24
	v_readfirstlane_b32 s2, v4
	v_readfirstlane_b32 s3, v5
	s_waitcnt lgkmcnt(6)
	s_nop 3
	global_store_short v0, v25, s[2:3]
.LBB3428_240:
	s_or_b64 exec, exec, s[0:1]
	v_cmp_gt_u32_e32 vcc, s33, v20
	v_cmp_ge_u32_e64 s[0:1], v20, v22
	s_and_b64 s[2:3], vcc, s[0:1]
	s_and_saveexec_b64 s[0:1], s[2:3]
	s_cbranch_execz .LBB3428_242
; %bb.241:
	v_lshlrev_b32_e32 v0, 1, v20
	v_readfirstlane_b32 s2, v4
	v_readfirstlane_b32 s3, v5
	s_waitcnt lgkmcnt(5)
	s_nop 3
	global_store_short v0, v21, s[2:3]
.LBB3428_242:
	s_or_b64 exec, exec, s[0:1]
	v_cmp_gt_u32_e32 vcc, s33, v13
	v_cmp_ge_u32_e64 s[0:1], v13, v22
	s_and_b64 s[2:3], vcc, s[0:1]
	s_and_saveexec_b64 s[0:1], s[2:3]
	s_cbranch_execz .LBB3428_244
; %bb.243:
	v_lshlrev_b32_e32 v0, 1, v13
	v_readfirstlane_b32 s2, v4
	v_readfirstlane_b32 s3, v5
	s_waitcnt lgkmcnt(4)
	s_nop 3
	global_store_short v0, v15, s[2:3]
.LBB3428_244:
	s_or_b64 exec, exec, s[0:1]
	v_cmp_gt_u32_e32 vcc, s33, v11
	v_cmp_ge_u32_e64 s[0:1], v11, v22
	s_and_b64 s[2:3], vcc, s[0:1]
	s_and_saveexec_b64 s[0:1], s[2:3]
	s_cbranch_execz .LBB3428_246
; %bb.245:
	v_lshlrev_b32_e32 v0, 1, v11
	v_readfirstlane_b32 s2, v4
	v_readfirstlane_b32 s3, v5
	s_waitcnt lgkmcnt(3)
	s_nop 3
	global_store_short v0, v12, s[2:3]
.LBB3428_246:
	s_or_b64 exec, exec, s[0:1]
	v_cmp_gt_u32_e32 vcc, s33, v9
	v_cmp_ge_u32_e64 s[0:1], v9, v22
	s_and_b64 s[2:3], vcc, s[0:1]
	s_and_saveexec_b64 s[0:1], s[2:3]
	s_cbranch_execz .LBB3428_248
; %bb.247:
	v_lshlrev_b32_e32 v0, 1, v9
	v_readfirstlane_b32 s2, v4
	v_readfirstlane_b32 s3, v5
	s_waitcnt lgkmcnt(2)
	s_nop 3
	global_store_short v0, v10, s[2:3]
.LBB3428_248:
	s_or_b64 exec, exec, s[0:1]
	v_cmp_gt_u32_e32 vcc, s33, v8
	v_cmp_ge_u32_e64 s[0:1], v8, v22
	s_and_b64 s[2:3], vcc, s[0:1]
	s_and_saveexec_b64 s[0:1], s[2:3]
	s_cbranch_execz .LBB3428_250
; %bb.249:
	v_lshlrev_b32_e32 v0, 1, v8
	v_readfirstlane_b32 s2, v4
	v_readfirstlane_b32 s3, v5
	s_waitcnt lgkmcnt(1)
	s_nop 3
	global_store_short v0, v7, s[2:3]
.LBB3428_250:
	s_or_b64 exec, exec, s[0:1]
	v_cmp_gt_u32_e32 vcc, s33, v6
	v_cmp_ge_u32_e64 s[0:1], v6, v22
	s_and_b64 s[0:1], vcc, s[0:1]
.LBB3428_251:
	s_and_saveexec_b64 s[2:3], s[0:1]
	s_cbranch_execnz .LBB3428_254
; %bb.252:
	s_or_b64 exec, exec, s[2:3]
	s_and_b64 s[0:1], s[18:19], s[22:23]
	s_and_saveexec_b64 s[2:3], s[0:1]
	s_cbranch_execnz .LBB3428_255
.LBB3428_253:
	s_endpgm
.LBB3428_254:
	v_lshlrev_b32_e32 v0, 1, v6
	v_readfirstlane_b32 s0, v4
	v_readfirstlane_b32 s1, v5
	s_waitcnt lgkmcnt(0)
	s_nop 3
	global_store_short v0, v1, s[0:1]
	s_or_b64 exec, exec, s[2:3]
	s_and_b64 s[0:1], s[18:19], s[22:23]
	s_and_saveexec_b64 s[2:3], s[0:1]
	s_cbranch_execz .LBB3428_253
.LBB3428_255:
	v_mov_b32_e32 v0, 0
	global_store_dwordx2 v0, v[2:3], s[20:21]
	s_endpgm
.LBB3428_256:
	v_readfirstlane_b32 s0, v4
	v_readfirstlane_b32 s1, v5
	s_waitcnt lgkmcnt(14)
	s_nop 3
	global_store_short v14, v68, s[0:1]
	s_or_b64 exec, exec, s[2:3]
	v_cmp_ge_u32_e32 vcc, v66, v22
	s_and_saveexec_b64 s[0:1], vcc
	s_cbranch_execz .LBB3428_168
.LBB3428_257:
	v_readfirstlane_b32 s2, v4
	v_readfirstlane_b32 s3, v5
	s_waitcnt lgkmcnt(14)
	s_nop 3
	global_store_short v14, v67, s[2:3] offset:1024
	s_or_b64 exec, exec, s[0:1]
	v_cmp_ge_u32_e32 vcc, v64, v22
	s_and_saveexec_b64 s[0:1], vcc
	s_cbranch_execz .LBB3428_169
.LBB3428_258:
	v_readfirstlane_b32 s2, v4
	v_readfirstlane_b32 s3, v5
	s_waitcnt lgkmcnt(14)
	s_nop 3
	global_store_short v14, v65, s[2:3] offset:2048
	s_or_b64 exec, exec, s[0:1]
	v_cmp_ge_u32_e32 vcc, v62, v22
	s_and_saveexec_b64 s[0:1], vcc
	s_cbranch_execz .LBB3428_170
.LBB3428_259:
	v_readfirstlane_b32 s2, v4
	v_readfirstlane_b32 s3, v5
	s_waitcnt lgkmcnt(14)
	s_nop 3
	global_store_short v14, v63, s[2:3] offset:3072
	s_or_b64 exec, exec, s[0:1]
	v_cmp_ge_u32_e32 vcc, v60, v22
	s_and_saveexec_b64 s[0:1], vcc
	s_cbranch_execz .LBB3428_171
.LBB3428_260:
	v_lshlrev_b32_e32 v16, 1, v60
	v_readfirstlane_b32 s2, v4
	v_readfirstlane_b32 s3, v5
	s_waitcnt lgkmcnt(14)
	s_nop 3
	global_store_short v16, v61, s[2:3]
	s_or_b64 exec, exec, s[0:1]
	v_cmp_ge_u32_e32 vcc, v58, v22
	s_and_saveexec_b64 s[0:1], vcc
	s_cbranch_execz .LBB3428_172
.LBB3428_261:
	v_lshlrev_b32_e32 v16, 1, v58
	v_readfirstlane_b32 s2, v4
	v_readfirstlane_b32 s3, v5
	s_waitcnt lgkmcnt(14)
	s_nop 3
	global_store_short v16, v59, s[2:3]
	s_or_b64 exec, exec, s[0:1]
	v_cmp_ge_u32_e32 vcc, v56, v22
	s_and_saveexec_b64 s[0:1], vcc
	s_cbranch_execz .LBB3428_173
.LBB3428_262:
	v_lshlrev_b32_e32 v16, 1, v56
	v_readfirstlane_b32 s2, v4
	v_readfirstlane_b32 s3, v5
	s_waitcnt lgkmcnt(14)
	s_nop 3
	global_store_short v16, v57, s[2:3]
	s_or_b64 exec, exec, s[0:1]
	v_cmp_ge_u32_e32 vcc, v53, v22
	s_and_saveexec_b64 s[0:1], vcc
	s_cbranch_execz .LBB3428_174
.LBB3428_263:
	v_lshlrev_b32_e32 v16, 1, v53
	v_readfirstlane_b32 s2, v4
	v_readfirstlane_b32 s3, v5
	s_waitcnt lgkmcnt(14)
	s_nop 3
	global_store_short v16, v55, s[2:3]
	s_or_b64 exec, exec, s[0:1]
	v_cmp_ge_u32_e32 vcc, v52, v22
	s_and_saveexec_b64 s[0:1], vcc
	s_cbranch_execz .LBB3428_175
.LBB3428_264:
	v_lshlrev_b32_e32 v16, 1, v52
	v_readfirstlane_b32 s2, v4
	v_readfirstlane_b32 s3, v5
	s_waitcnt lgkmcnt(14)
	s_nop 3
	global_store_short v16, v54, s[2:3]
	s_or_b64 exec, exec, s[0:1]
	v_cmp_ge_u32_e32 vcc, v50, v22
	s_and_saveexec_b64 s[0:1], vcc
	s_cbranch_execz .LBB3428_176
.LBB3428_265:
	v_lshlrev_b32_e32 v16, 1, v50
	v_readfirstlane_b32 s2, v4
	v_readfirstlane_b32 s3, v5
	s_waitcnt lgkmcnt(14)
	s_nop 3
	global_store_short v16, v51, s[2:3]
	s_or_b64 exec, exec, s[0:1]
	v_cmp_ge_u32_e32 vcc, v48, v22
	s_and_saveexec_b64 s[0:1], vcc
	s_cbranch_execz .LBB3428_177
.LBB3428_266:
	v_lshlrev_b32_e32 v16, 1, v48
	v_readfirstlane_b32 s2, v4
	v_readfirstlane_b32 s3, v5
	s_waitcnt lgkmcnt(14)
	s_nop 3
	global_store_short v16, v49, s[2:3]
	s_or_b64 exec, exec, s[0:1]
	v_cmp_ge_u32_e32 vcc, v46, v22
	s_and_saveexec_b64 s[0:1], vcc
	s_cbranch_execz .LBB3428_178
.LBB3428_267:
	v_lshlrev_b32_e32 v16, 1, v46
	v_readfirstlane_b32 s2, v4
	v_readfirstlane_b32 s3, v5
	s_waitcnt lgkmcnt(14)
	s_nop 3
	global_store_short v16, v47, s[2:3]
	s_or_b64 exec, exec, s[0:1]
	v_cmp_ge_u32_e32 vcc, v44, v22
	s_and_saveexec_b64 s[0:1], vcc
	s_cbranch_execz .LBB3428_179
.LBB3428_268:
	v_lshlrev_b32_e32 v16, 1, v44
	v_readfirstlane_b32 s2, v4
	v_readfirstlane_b32 s3, v5
	s_waitcnt lgkmcnt(14)
	s_nop 3
	global_store_short v16, v45, s[2:3]
	s_or_b64 exec, exec, s[0:1]
	v_cmp_ge_u32_e32 vcc, v42, v22
	s_and_saveexec_b64 s[0:1], vcc
	s_cbranch_execz .LBB3428_180
.LBB3428_269:
	v_lshlrev_b32_e32 v16, 1, v42
	v_readfirstlane_b32 s2, v4
	v_readfirstlane_b32 s3, v5
	s_waitcnt lgkmcnt(14)
	s_nop 3
	global_store_short v16, v43, s[2:3]
	s_or_b64 exec, exec, s[0:1]
	v_cmp_ge_u32_e32 vcc, v40, v22
	s_and_saveexec_b64 s[0:1], vcc
	s_cbranch_execz .LBB3428_181
.LBB3428_270:
	v_lshlrev_b32_e32 v16, 1, v40
	v_readfirstlane_b32 s2, v4
	v_readfirstlane_b32 s3, v5
	s_waitcnt lgkmcnt(13)
	s_nop 3
	global_store_short v16, v41, s[2:3]
	s_or_b64 exec, exec, s[0:1]
	v_cmp_ge_u32_e32 vcc, v37, v22
	s_and_saveexec_b64 s[0:1], vcc
	s_cbranch_execz .LBB3428_182
.LBB3428_271:
	v_lshlrev_b32_e32 v16, 1, v37
	v_readfirstlane_b32 s2, v4
	v_readfirstlane_b32 s3, v5
	s_waitcnt lgkmcnt(12)
	s_nop 3
	global_store_short v16, v39, s[2:3]
	s_or_b64 exec, exec, s[0:1]
	v_cmp_ge_u32_e32 vcc, v36, v22
	s_and_saveexec_b64 s[0:1], vcc
	s_cbranch_execz .LBB3428_183
.LBB3428_272:
	v_lshlrev_b32_e32 v16, 1, v36
	v_readfirstlane_b32 s2, v4
	v_readfirstlane_b32 s3, v5
	s_waitcnt lgkmcnt(11)
	s_nop 3
	global_store_short v16, v38, s[2:3]
	s_or_b64 exec, exec, s[0:1]
	v_cmp_ge_u32_e32 vcc, v34, v22
	s_and_saveexec_b64 s[0:1], vcc
	s_cbranch_execz .LBB3428_184
.LBB3428_273:
	v_lshlrev_b32_e32 v16, 1, v34
	v_readfirstlane_b32 s2, v4
	v_readfirstlane_b32 s3, v5
	s_waitcnt lgkmcnt(10)
	s_nop 3
	global_store_short v16, v35, s[2:3]
	s_or_b64 exec, exec, s[0:1]
	v_cmp_ge_u32_e32 vcc, v32, v22
	s_and_saveexec_b64 s[0:1], vcc
	s_cbranch_execz .LBB3428_185
.LBB3428_274:
	v_lshlrev_b32_e32 v16, 1, v32
	v_readfirstlane_b32 s2, v4
	v_readfirstlane_b32 s3, v5
	s_waitcnt lgkmcnt(9)
	s_nop 3
	global_store_short v16, v33, s[2:3]
	s_or_b64 exec, exec, s[0:1]
	v_cmp_ge_u32_e32 vcc, v28, v22
	s_and_saveexec_b64 s[0:1], vcc
	s_cbranch_execz .LBB3428_186
.LBB3428_275:
	v_lshlrev_b32_e32 v16, 1, v28
	v_readfirstlane_b32 s2, v4
	v_readfirstlane_b32 s3, v5
	s_waitcnt lgkmcnt(8)
	s_nop 3
	global_store_short v16, v29, s[2:3]
	s_or_b64 exec, exec, s[0:1]
	v_cmp_ge_u32_e32 vcc, v26, v22
	s_and_saveexec_b64 s[0:1], vcc
	s_cbranch_execz .LBB3428_187
.LBB3428_276:
	v_lshlrev_b32_e32 v16, 1, v26
	v_readfirstlane_b32 s2, v4
	v_readfirstlane_b32 s3, v5
	s_waitcnt lgkmcnt(7)
	s_nop 3
	global_store_short v16, v27, s[2:3]
	s_or_b64 exec, exec, s[0:1]
	v_cmp_ge_u32_e32 vcc, v24, v22
	s_and_saveexec_b64 s[0:1], vcc
	s_cbranch_execz .LBB3428_188
.LBB3428_277:
	v_lshlrev_b32_e32 v16, 1, v24
	v_readfirstlane_b32 s2, v4
	v_readfirstlane_b32 s3, v5
	s_waitcnt lgkmcnt(6)
	s_nop 3
	global_store_short v16, v25, s[2:3]
	s_or_b64 exec, exec, s[0:1]
	v_cmp_ge_u32_e32 vcc, v20, v22
	s_and_saveexec_b64 s[0:1], vcc
	s_cbranch_execz .LBB3428_189
.LBB3428_278:
	v_lshlrev_b32_e32 v16, 1, v20
	v_readfirstlane_b32 s2, v4
	v_readfirstlane_b32 s3, v5
	s_waitcnt lgkmcnt(5)
	s_nop 3
	global_store_short v16, v21, s[2:3]
	s_or_b64 exec, exec, s[0:1]
	v_cmp_ge_u32_e32 vcc, v13, v22
	s_and_saveexec_b64 s[0:1], vcc
	s_cbranch_execz .LBB3428_190
.LBB3428_279:
	v_lshlrev_b32_e32 v16, 1, v13
	v_readfirstlane_b32 s2, v4
	v_readfirstlane_b32 s3, v5
	s_waitcnt lgkmcnt(4)
	s_nop 3
	global_store_short v16, v15, s[2:3]
	s_or_b64 exec, exec, s[0:1]
	v_cmp_ge_u32_e32 vcc, v11, v22
	s_and_saveexec_b64 s[0:1], vcc
	s_cbranch_execz .LBB3428_191
.LBB3428_280:
	v_lshlrev_b32_e32 v16, 1, v11
	v_readfirstlane_b32 s2, v4
	v_readfirstlane_b32 s3, v5
	s_waitcnt lgkmcnt(3)
	s_nop 3
	global_store_short v16, v12, s[2:3]
	s_or_b64 exec, exec, s[0:1]
	v_cmp_ge_u32_e32 vcc, v9, v22
	s_and_saveexec_b64 s[0:1], vcc
	s_cbranch_execz .LBB3428_192
.LBB3428_281:
	v_lshlrev_b32_e32 v16, 1, v9
	v_readfirstlane_b32 s2, v4
	v_readfirstlane_b32 s3, v5
	s_waitcnt lgkmcnt(2)
	s_nop 3
	global_store_short v16, v10, s[2:3]
	s_or_b64 exec, exec, s[0:1]
	v_cmp_ge_u32_e32 vcc, v8, v22
	s_and_saveexec_b64 s[0:1], vcc
	s_cbranch_execnz .LBB3428_193
	s_branch .LBB3428_194
	.section	.rodata,"a",@progbits
	.p2align	6, 0x0
	.amdhsa_kernel _ZN7rocprim17ROCPRIM_400000_NS6detail17trampoline_kernelINS0_14default_configENS1_25partition_config_selectorILNS1_17partition_subalgoE1EsNS0_10empty_typeEbEEZZNS1_14partition_implILS5_1ELb0ES3_jN6thrust23THRUST_200600_302600_NS6detail15normal_iteratorINSA_10device_ptrIsEEEEPS6_NSA_18transform_iteratorI7is_evenIsESF_NSA_11use_defaultESK_EENS0_5tupleIJNSA_16discard_iteratorISK_EESF_EEENSM_IJSG_SG_EEES6_PlJS6_EEE10hipError_tPvRmT3_T4_T5_T6_T7_T9_mT8_P12ihipStream_tbDpT10_ENKUlT_T0_E_clISt17integral_constantIbLb1EES1B_EEDaS16_S17_EUlS16_E_NS1_11comp_targetILNS1_3genE5ELNS1_11target_archE942ELNS1_3gpuE9ELNS1_3repE0EEENS1_30default_config_static_selectorELNS0_4arch9wavefront6targetE1EEEvT1_
		.amdhsa_group_segment_fixed_size 28680
		.amdhsa_private_segment_fixed_size 0
		.amdhsa_kernarg_size 152
		.amdhsa_user_sgpr_count 2
		.amdhsa_user_sgpr_dispatch_ptr 0
		.amdhsa_user_sgpr_queue_ptr 0
		.amdhsa_user_sgpr_kernarg_segment_ptr 1
		.amdhsa_user_sgpr_dispatch_id 0
		.amdhsa_user_sgpr_kernarg_preload_length 0
		.amdhsa_user_sgpr_kernarg_preload_offset 0
		.amdhsa_user_sgpr_private_segment_size 0
		.amdhsa_uses_dynamic_stack 0
		.amdhsa_enable_private_segment 0
		.amdhsa_system_sgpr_workgroup_id_x 1
		.amdhsa_system_sgpr_workgroup_id_y 0
		.amdhsa_system_sgpr_workgroup_id_z 0
		.amdhsa_system_sgpr_workgroup_info 0
		.amdhsa_system_vgpr_workitem_id 0
		.amdhsa_next_free_vgpr 83
		.amdhsa_next_free_sgpr 42
		.amdhsa_accum_offset 84
		.amdhsa_reserve_vcc 1
		.amdhsa_float_round_mode_32 0
		.amdhsa_float_round_mode_16_64 0
		.amdhsa_float_denorm_mode_32 3
		.amdhsa_float_denorm_mode_16_64 3
		.amdhsa_dx10_clamp 1
		.amdhsa_ieee_mode 1
		.amdhsa_fp16_overflow 0
		.amdhsa_tg_split 0
		.amdhsa_exception_fp_ieee_invalid_op 0
		.amdhsa_exception_fp_denorm_src 0
		.amdhsa_exception_fp_ieee_div_zero 0
		.amdhsa_exception_fp_ieee_overflow 0
		.amdhsa_exception_fp_ieee_underflow 0
		.amdhsa_exception_fp_ieee_inexact 0
		.amdhsa_exception_int_div_zero 0
	.end_amdhsa_kernel
	.section	.text._ZN7rocprim17ROCPRIM_400000_NS6detail17trampoline_kernelINS0_14default_configENS1_25partition_config_selectorILNS1_17partition_subalgoE1EsNS0_10empty_typeEbEEZZNS1_14partition_implILS5_1ELb0ES3_jN6thrust23THRUST_200600_302600_NS6detail15normal_iteratorINSA_10device_ptrIsEEEEPS6_NSA_18transform_iteratorI7is_evenIsESF_NSA_11use_defaultESK_EENS0_5tupleIJNSA_16discard_iteratorISK_EESF_EEENSM_IJSG_SG_EEES6_PlJS6_EEE10hipError_tPvRmT3_T4_T5_T6_T7_T9_mT8_P12ihipStream_tbDpT10_ENKUlT_T0_E_clISt17integral_constantIbLb1EES1B_EEDaS16_S17_EUlS16_E_NS1_11comp_targetILNS1_3genE5ELNS1_11target_archE942ELNS1_3gpuE9ELNS1_3repE0EEENS1_30default_config_static_selectorELNS0_4arch9wavefront6targetE1EEEvT1_,"axG",@progbits,_ZN7rocprim17ROCPRIM_400000_NS6detail17trampoline_kernelINS0_14default_configENS1_25partition_config_selectorILNS1_17partition_subalgoE1EsNS0_10empty_typeEbEEZZNS1_14partition_implILS5_1ELb0ES3_jN6thrust23THRUST_200600_302600_NS6detail15normal_iteratorINSA_10device_ptrIsEEEEPS6_NSA_18transform_iteratorI7is_evenIsESF_NSA_11use_defaultESK_EENS0_5tupleIJNSA_16discard_iteratorISK_EESF_EEENSM_IJSG_SG_EEES6_PlJS6_EEE10hipError_tPvRmT3_T4_T5_T6_T7_T9_mT8_P12ihipStream_tbDpT10_ENKUlT_T0_E_clISt17integral_constantIbLb1EES1B_EEDaS16_S17_EUlS16_E_NS1_11comp_targetILNS1_3genE5ELNS1_11target_archE942ELNS1_3gpuE9ELNS1_3repE0EEENS1_30default_config_static_selectorELNS0_4arch9wavefront6targetE1EEEvT1_,comdat
.Lfunc_end3428:
	.size	_ZN7rocprim17ROCPRIM_400000_NS6detail17trampoline_kernelINS0_14default_configENS1_25partition_config_selectorILNS1_17partition_subalgoE1EsNS0_10empty_typeEbEEZZNS1_14partition_implILS5_1ELb0ES3_jN6thrust23THRUST_200600_302600_NS6detail15normal_iteratorINSA_10device_ptrIsEEEEPS6_NSA_18transform_iteratorI7is_evenIsESF_NSA_11use_defaultESK_EENS0_5tupleIJNSA_16discard_iteratorISK_EESF_EEENSM_IJSG_SG_EEES6_PlJS6_EEE10hipError_tPvRmT3_T4_T5_T6_T7_T9_mT8_P12ihipStream_tbDpT10_ENKUlT_T0_E_clISt17integral_constantIbLb1EES1B_EEDaS16_S17_EUlS16_E_NS1_11comp_targetILNS1_3genE5ELNS1_11target_archE942ELNS1_3gpuE9ELNS1_3repE0EEENS1_30default_config_static_selectorELNS0_4arch9wavefront6targetE1EEEvT1_, .Lfunc_end3428-_ZN7rocprim17ROCPRIM_400000_NS6detail17trampoline_kernelINS0_14default_configENS1_25partition_config_selectorILNS1_17partition_subalgoE1EsNS0_10empty_typeEbEEZZNS1_14partition_implILS5_1ELb0ES3_jN6thrust23THRUST_200600_302600_NS6detail15normal_iteratorINSA_10device_ptrIsEEEEPS6_NSA_18transform_iteratorI7is_evenIsESF_NSA_11use_defaultESK_EENS0_5tupleIJNSA_16discard_iteratorISK_EESF_EEENSM_IJSG_SG_EEES6_PlJS6_EEE10hipError_tPvRmT3_T4_T5_T6_T7_T9_mT8_P12ihipStream_tbDpT10_ENKUlT_T0_E_clISt17integral_constantIbLb1EES1B_EEDaS16_S17_EUlS16_E_NS1_11comp_targetILNS1_3genE5ELNS1_11target_archE942ELNS1_3gpuE9ELNS1_3repE0EEENS1_30default_config_static_selectorELNS0_4arch9wavefront6targetE1EEEvT1_
                                        ; -- End function
	.section	.AMDGPU.csdata,"",@progbits
; Kernel info:
; codeLenInByte = 12788
; NumSgprs: 48
; NumVgprs: 83
; NumAgprs: 0
; TotalNumVgprs: 83
; ScratchSize: 0
; MemoryBound: 0
; FloatMode: 240
; IeeeMode: 1
; LDSByteSize: 28680 bytes/workgroup (compile time only)
; SGPRBlocks: 5
; VGPRBlocks: 10
; NumSGPRsForWavesPerEU: 48
; NumVGPRsForWavesPerEU: 83
; AccumOffset: 84
; Occupancy: 4
; WaveLimiterHint : 1
; COMPUTE_PGM_RSRC2:SCRATCH_EN: 0
; COMPUTE_PGM_RSRC2:USER_SGPR: 2
; COMPUTE_PGM_RSRC2:TRAP_HANDLER: 0
; COMPUTE_PGM_RSRC2:TGID_X_EN: 1
; COMPUTE_PGM_RSRC2:TGID_Y_EN: 0
; COMPUTE_PGM_RSRC2:TGID_Z_EN: 0
; COMPUTE_PGM_RSRC2:TIDIG_COMP_CNT: 0
; COMPUTE_PGM_RSRC3_GFX90A:ACCUM_OFFSET: 20
; COMPUTE_PGM_RSRC3_GFX90A:TG_SPLIT: 0
	.section	.text._ZN7rocprim17ROCPRIM_400000_NS6detail17trampoline_kernelINS0_14default_configENS1_25partition_config_selectorILNS1_17partition_subalgoE1EsNS0_10empty_typeEbEEZZNS1_14partition_implILS5_1ELb0ES3_jN6thrust23THRUST_200600_302600_NS6detail15normal_iteratorINSA_10device_ptrIsEEEEPS6_NSA_18transform_iteratorI7is_evenIsESF_NSA_11use_defaultESK_EENS0_5tupleIJNSA_16discard_iteratorISK_EESF_EEENSM_IJSG_SG_EEES6_PlJS6_EEE10hipError_tPvRmT3_T4_T5_T6_T7_T9_mT8_P12ihipStream_tbDpT10_ENKUlT_T0_E_clISt17integral_constantIbLb1EES1B_EEDaS16_S17_EUlS16_E_NS1_11comp_targetILNS1_3genE4ELNS1_11target_archE910ELNS1_3gpuE8ELNS1_3repE0EEENS1_30default_config_static_selectorELNS0_4arch9wavefront6targetE1EEEvT1_,"axG",@progbits,_ZN7rocprim17ROCPRIM_400000_NS6detail17trampoline_kernelINS0_14default_configENS1_25partition_config_selectorILNS1_17partition_subalgoE1EsNS0_10empty_typeEbEEZZNS1_14partition_implILS5_1ELb0ES3_jN6thrust23THRUST_200600_302600_NS6detail15normal_iteratorINSA_10device_ptrIsEEEEPS6_NSA_18transform_iteratorI7is_evenIsESF_NSA_11use_defaultESK_EENS0_5tupleIJNSA_16discard_iteratorISK_EESF_EEENSM_IJSG_SG_EEES6_PlJS6_EEE10hipError_tPvRmT3_T4_T5_T6_T7_T9_mT8_P12ihipStream_tbDpT10_ENKUlT_T0_E_clISt17integral_constantIbLb1EES1B_EEDaS16_S17_EUlS16_E_NS1_11comp_targetILNS1_3genE4ELNS1_11target_archE910ELNS1_3gpuE8ELNS1_3repE0EEENS1_30default_config_static_selectorELNS0_4arch9wavefront6targetE1EEEvT1_,comdat
	.protected	_ZN7rocprim17ROCPRIM_400000_NS6detail17trampoline_kernelINS0_14default_configENS1_25partition_config_selectorILNS1_17partition_subalgoE1EsNS0_10empty_typeEbEEZZNS1_14partition_implILS5_1ELb0ES3_jN6thrust23THRUST_200600_302600_NS6detail15normal_iteratorINSA_10device_ptrIsEEEEPS6_NSA_18transform_iteratorI7is_evenIsESF_NSA_11use_defaultESK_EENS0_5tupleIJNSA_16discard_iteratorISK_EESF_EEENSM_IJSG_SG_EEES6_PlJS6_EEE10hipError_tPvRmT3_T4_T5_T6_T7_T9_mT8_P12ihipStream_tbDpT10_ENKUlT_T0_E_clISt17integral_constantIbLb1EES1B_EEDaS16_S17_EUlS16_E_NS1_11comp_targetILNS1_3genE4ELNS1_11target_archE910ELNS1_3gpuE8ELNS1_3repE0EEENS1_30default_config_static_selectorELNS0_4arch9wavefront6targetE1EEEvT1_ ; -- Begin function _ZN7rocprim17ROCPRIM_400000_NS6detail17trampoline_kernelINS0_14default_configENS1_25partition_config_selectorILNS1_17partition_subalgoE1EsNS0_10empty_typeEbEEZZNS1_14partition_implILS5_1ELb0ES3_jN6thrust23THRUST_200600_302600_NS6detail15normal_iteratorINSA_10device_ptrIsEEEEPS6_NSA_18transform_iteratorI7is_evenIsESF_NSA_11use_defaultESK_EENS0_5tupleIJNSA_16discard_iteratorISK_EESF_EEENSM_IJSG_SG_EEES6_PlJS6_EEE10hipError_tPvRmT3_T4_T5_T6_T7_T9_mT8_P12ihipStream_tbDpT10_ENKUlT_T0_E_clISt17integral_constantIbLb1EES1B_EEDaS16_S17_EUlS16_E_NS1_11comp_targetILNS1_3genE4ELNS1_11target_archE910ELNS1_3gpuE8ELNS1_3repE0EEENS1_30default_config_static_selectorELNS0_4arch9wavefront6targetE1EEEvT1_
	.globl	_ZN7rocprim17ROCPRIM_400000_NS6detail17trampoline_kernelINS0_14default_configENS1_25partition_config_selectorILNS1_17partition_subalgoE1EsNS0_10empty_typeEbEEZZNS1_14partition_implILS5_1ELb0ES3_jN6thrust23THRUST_200600_302600_NS6detail15normal_iteratorINSA_10device_ptrIsEEEEPS6_NSA_18transform_iteratorI7is_evenIsESF_NSA_11use_defaultESK_EENS0_5tupleIJNSA_16discard_iteratorISK_EESF_EEENSM_IJSG_SG_EEES6_PlJS6_EEE10hipError_tPvRmT3_T4_T5_T6_T7_T9_mT8_P12ihipStream_tbDpT10_ENKUlT_T0_E_clISt17integral_constantIbLb1EES1B_EEDaS16_S17_EUlS16_E_NS1_11comp_targetILNS1_3genE4ELNS1_11target_archE910ELNS1_3gpuE8ELNS1_3repE0EEENS1_30default_config_static_selectorELNS0_4arch9wavefront6targetE1EEEvT1_
	.p2align	8
	.type	_ZN7rocprim17ROCPRIM_400000_NS6detail17trampoline_kernelINS0_14default_configENS1_25partition_config_selectorILNS1_17partition_subalgoE1EsNS0_10empty_typeEbEEZZNS1_14partition_implILS5_1ELb0ES3_jN6thrust23THRUST_200600_302600_NS6detail15normal_iteratorINSA_10device_ptrIsEEEEPS6_NSA_18transform_iteratorI7is_evenIsESF_NSA_11use_defaultESK_EENS0_5tupleIJNSA_16discard_iteratorISK_EESF_EEENSM_IJSG_SG_EEES6_PlJS6_EEE10hipError_tPvRmT3_T4_T5_T6_T7_T9_mT8_P12ihipStream_tbDpT10_ENKUlT_T0_E_clISt17integral_constantIbLb1EES1B_EEDaS16_S17_EUlS16_E_NS1_11comp_targetILNS1_3genE4ELNS1_11target_archE910ELNS1_3gpuE8ELNS1_3repE0EEENS1_30default_config_static_selectorELNS0_4arch9wavefront6targetE1EEEvT1_,@function
_ZN7rocprim17ROCPRIM_400000_NS6detail17trampoline_kernelINS0_14default_configENS1_25partition_config_selectorILNS1_17partition_subalgoE1EsNS0_10empty_typeEbEEZZNS1_14partition_implILS5_1ELb0ES3_jN6thrust23THRUST_200600_302600_NS6detail15normal_iteratorINSA_10device_ptrIsEEEEPS6_NSA_18transform_iteratorI7is_evenIsESF_NSA_11use_defaultESK_EENS0_5tupleIJNSA_16discard_iteratorISK_EESF_EEENSM_IJSG_SG_EEES6_PlJS6_EEE10hipError_tPvRmT3_T4_T5_T6_T7_T9_mT8_P12ihipStream_tbDpT10_ENKUlT_T0_E_clISt17integral_constantIbLb1EES1B_EEDaS16_S17_EUlS16_E_NS1_11comp_targetILNS1_3genE4ELNS1_11target_archE910ELNS1_3gpuE8ELNS1_3repE0EEENS1_30default_config_static_selectorELNS0_4arch9wavefront6targetE1EEEvT1_: ; @_ZN7rocprim17ROCPRIM_400000_NS6detail17trampoline_kernelINS0_14default_configENS1_25partition_config_selectorILNS1_17partition_subalgoE1EsNS0_10empty_typeEbEEZZNS1_14partition_implILS5_1ELb0ES3_jN6thrust23THRUST_200600_302600_NS6detail15normal_iteratorINSA_10device_ptrIsEEEEPS6_NSA_18transform_iteratorI7is_evenIsESF_NSA_11use_defaultESK_EENS0_5tupleIJNSA_16discard_iteratorISK_EESF_EEENSM_IJSG_SG_EEES6_PlJS6_EEE10hipError_tPvRmT3_T4_T5_T6_T7_T9_mT8_P12ihipStream_tbDpT10_ENKUlT_T0_E_clISt17integral_constantIbLb1EES1B_EEDaS16_S17_EUlS16_E_NS1_11comp_targetILNS1_3genE4ELNS1_11target_archE910ELNS1_3gpuE8ELNS1_3repE0EEENS1_30default_config_static_selectorELNS0_4arch9wavefront6targetE1EEEvT1_
; %bb.0:
	.section	.rodata,"a",@progbits
	.p2align	6, 0x0
	.amdhsa_kernel _ZN7rocprim17ROCPRIM_400000_NS6detail17trampoline_kernelINS0_14default_configENS1_25partition_config_selectorILNS1_17partition_subalgoE1EsNS0_10empty_typeEbEEZZNS1_14partition_implILS5_1ELb0ES3_jN6thrust23THRUST_200600_302600_NS6detail15normal_iteratorINSA_10device_ptrIsEEEEPS6_NSA_18transform_iteratorI7is_evenIsESF_NSA_11use_defaultESK_EENS0_5tupleIJNSA_16discard_iteratorISK_EESF_EEENSM_IJSG_SG_EEES6_PlJS6_EEE10hipError_tPvRmT3_T4_T5_T6_T7_T9_mT8_P12ihipStream_tbDpT10_ENKUlT_T0_E_clISt17integral_constantIbLb1EES1B_EEDaS16_S17_EUlS16_E_NS1_11comp_targetILNS1_3genE4ELNS1_11target_archE910ELNS1_3gpuE8ELNS1_3repE0EEENS1_30default_config_static_selectorELNS0_4arch9wavefront6targetE1EEEvT1_
		.amdhsa_group_segment_fixed_size 0
		.amdhsa_private_segment_fixed_size 0
		.amdhsa_kernarg_size 152
		.amdhsa_user_sgpr_count 2
		.amdhsa_user_sgpr_dispatch_ptr 0
		.amdhsa_user_sgpr_queue_ptr 0
		.amdhsa_user_sgpr_kernarg_segment_ptr 1
		.amdhsa_user_sgpr_dispatch_id 0
		.amdhsa_user_sgpr_kernarg_preload_length 0
		.amdhsa_user_sgpr_kernarg_preload_offset 0
		.amdhsa_user_sgpr_private_segment_size 0
		.amdhsa_uses_dynamic_stack 0
		.amdhsa_enable_private_segment 0
		.amdhsa_system_sgpr_workgroup_id_x 1
		.amdhsa_system_sgpr_workgroup_id_y 0
		.amdhsa_system_sgpr_workgroup_id_z 0
		.amdhsa_system_sgpr_workgroup_info 0
		.amdhsa_system_vgpr_workitem_id 0
		.amdhsa_next_free_vgpr 1
		.amdhsa_next_free_sgpr 0
		.amdhsa_accum_offset 4
		.amdhsa_reserve_vcc 0
		.amdhsa_float_round_mode_32 0
		.amdhsa_float_round_mode_16_64 0
		.amdhsa_float_denorm_mode_32 3
		.amdhsa_float_denorm_mode_16_64 3
		.amdhsa_dx10_clamp 1
		.amdhsa_ieee_mode 1
		.amdhsa_fp16_overflow 0
		.amdhsa_tg_split 0
		.amdhsa_exception_fp_ieee_invalid_op 0
		.amdhsa_exception_fp_denorm_src 0
		.amdhsa_exception_fp_ieee_div_zero 0
		.amdhsa_exception_fp_ieee_overflow 0
		.amdhsa_exception_fp_ieee_underflow 0
		.amdhsa_exception_fp_ieee_inexact 0
		.amdhsa_exception_int_div_zero 0
	.end_amdhsa_kernel
	.section	.text._ZN7rocprim17ROCPRIM_400000_NS6detail17trampoline_kernelINS0_14default_configENS1_25partition_config_selectorILNS1_17partition_subalgoE1EsNS0_10empty_typeEbEEZZNS1_14partition_implILS5_1ELb0ES3_jN6thrust23THRUST_200600_302600_NS6detail15normal_iteratorINSA_10device_ptrIsEEEEPS6_NSA_18transform_iteratorI7is_evenIsESF_NSA_11use_defaultESK_EENS0_5tupleIJNSA_16discard_iteratorISK_EESF_EEENSM_IJSG_SG_EEES6_PlJS6_EEE10hipError_tPvRmT3_T4_T5_T6_T7_T9_mT8_P12ihipStream_tbDpT10_ENKUlT_T0_E_clISt17integral_constantIbLb1EES1B_EEDaS16_S17_EUlS16_E_NS1_11comp_targetILNS1_3genE4ELNS1_11target_archE910ELNS1_3gpuE8ELNS1_3repE0EEENS1_30default_config_static_selectorELNS0_4arch9wavefront6targetE1EEEvT1_,"axG",@progbits,_ZN7rocprim17ROCPRIM_400000_NS6detail17trampoline_kernelINS0_14default_configENS1_25partition_config_selectorILNS1_17partition_subalgoE1EsNS0_10empty_typeEbEEZZNS1_14partition_implILS5_1ELb0ES3_jN6thrust23THRUST_200600_302600_NS6detail15normal_iteratorINSA_10device_ptrIsEEEEPS6_NSA_18transform_iteratorI7is_evenIsESF_NSA_11use_defaultESK_EENS0_5tupleIJNSA_16discard_iteratorISK_EESF_EEENSM_IJSG_SG_EEES6_PlJS6_EEE10hipError_tPvRmT3_T4_T5_T6_T7_T9_mT8_P12ihipStream_tbDpT10_ENKUlT_T0_E_clISt17integral_constantIbLb1EES1B_EEDaS16_S17_EUlS16_E_NS1_11comp_targetILNS1_3genE4ELNS1_11target_archE910ELNS1_3gpuE8ELNS1_3repE0EEENS1_30default_config_static_selectorELNS0_4arch9wavefront6targetE1EEEvT1_,comdat
.Lfunc_end3429:
	.size	_ZN7rocprim17ROCPRIM_400000_NS6detail17trampoline_kernelINS0_14default_configENS1_25partition_config_selectorILNS1_17partition_subalgoE1EsNS0_10empty_typeEbEEZZNS1_14partition_implILS5_1ELb0ES3_jN6thrust23THRUST_200600_302600_NS6detail15normal_iteratorINSA_10device_ptrIsEEEEPS6_NSA_18transform_iteratorI7is_evenIsESF_NSA_11use_defaultESK_EENS0_5tupleIJNSA_16discard_iteratorISK_EESF_EEENSM_IJSG_SG_EEES6_PlJS6_EEE10hipError_tPvRmT3_T4_T5_T6_T7_T9_mT8_P12ihipStream_tbDpT10_ENKUlT_T0_E_clISt17integral_constantIbLb1EES1B_EEDaS16_S17_EUlS16_E_NS1_11comp_targetILNS1_3genE4ELNS1_11target_archE910ELNS1_3gpuE8ELNS1_3repE0EEENS1_30default_config_static_selectorELNS0_4arch9wavefront6targetE1EEEvT1_, .Lfunc_end3429-_ZN7rocprim17ROCPRIM_400000_NS6detail17trampoline_kernelINS0_14default_configENS1_25partition_config_selectorILNS1_17partition_subalgoE1EsNS0_10empty_typeEbEEZZNS1_14partition_implILS5_1ELb0ES3_jN6thrust23THRUST_200600_302600_NS6detail15normal_iteratorINSA_10device_ptrIsEEEEPS6_NSA_18transform_iteratorI7is_evenIsESF_NSA_11use_defaultESK_EENS0_5tupleIJNSA_16discard_iteratorISK_EESF_EEENSM_IJSG_SG_EEES6_PlJS6_EEE10hipError_tPvRmT3_T4_T5_T6_T7_T9_mT8_P12ihipStream_tbDpT10_ENKUlT_T0_E_clISt17integral_constantIbLb1EES1B_EEDaS16_S17_EUlS16_E_NS1_11comp_targetILNS1_3genE4ELNS1_11target_archE910ELNS1_3gpuE8ELNS1_3repE0EEENS1_30default_config_static_selectorELNS0_4arch9wavefront6targetE1EEEvT1_
                                        ; -- End function
	.section	.AMDGPU.csdata,"",@progbits
; Kernel info:
; codeLenInByte = 0
; NumSgprs: 6
; NumVgprs: 0
; NumAgprs: 0
; TotalNumVgprs: 0
; ScratchSize: 0
; MemoryBound: 0
; FloatMode: 240
; IeeeMode: 1
; LDSByteSize: 0 bytes/workgroup (compile time only)
; SGPRBlocks: 0
; VGPRBlocks: 0
; NumSGPRsForWavesPerEU: 6
; NumVGPRsForWavesPerEU: 1
; AccumOffset: 4
; Occupancy: 8
; WaveLimiterHint : 0
; COMPUTE_PGM_RSRC2:SCRATCH_EN: 0
; COMPUTE_PGM_RSRC2:USER_SGPR: 2
; COMPUTE_PGM_RSRC2:TRAP_HANDLER: 0
; COMPUTE_PGM_RSRC2:TGID_X_EN: 1
; COMPUTE_PGM_RSRC2:TGID_Y_EN: 0
; COMPUTE_PGM_RSRC2:TGID_Z_EN: 0
; COMPUTE_PGM_RSRC2:TIDIG_COMP_CNT: 0
; COMPUTE_PGM_RSRC3_GFX90A:ACCUM_OFFSET: 0
; COMPUTE_PGM_RSRC3_GFX90A:TG_SPLIT: 0
	.section	.text._ZN7rocprim17ROCPRIM_400000_NS6detail17trampoline_kernelINS0_14default_configENS1_25partition_config_selectorILNS1_17partition_subalgoE1EsNS0_10empty_typeEbEEZZNS1_14partition_implILS5_1ELb0ES3_jN6thrust23THRUST_200600_302600_NS6detail15normal_iteratorINSA_10device_ptrIsEEEEPS6_NSA_18transform_iteratorI7is_evenIsESF_NSA_11use_defaultESK_EENS0_5tupleIJNSA_16discard_iteratorISK_EESF_EEENSM_IJSG_SG_EEES6_PlJS6_EEE10hipError_tPvRmT3_T4_T5_T6_T7_T9_mT8_P12ihipStream_tbDpT10_ENKUlT_T0_E_clISt17integral_constantIbLb1EES1B_EEDaS16_S17_EUlS16_E_NS1_11comp_targetILNS1_3genE3ELNS1_11target_archE908ELNS1_3gpuE7ELNS1_3repE0EEENS1_30default_config_static_selectorELNS0_4arch9wavefront6targetE1EEEvT1_,"axG",@progbits,_ZN7rocprim17ROCPRIM_400000_NS6detail17trampoline_kernelINS0_14default_configENS1_25partition_config_selectorILNS1_17partition_subalgoE1EsNS0_10empty_typeEbEEZZNS1_14partition_implILS5_1ELb0ES3_jN6thrust23THRUST_200600_302600_NS6detail15normal_iteratorINSA_10device_ptrIsEEEEPS6_NSA_18transform_iteratorI7is_evenIsESF_NSA_11use_defaultESK_EENS0_5tupleIJNSA_16discard_iteratorISK_EESF_EEENSM_IJSG_SG_EEES6_PlJS6_EEE10hipError_tPvRmT3_T4_T5_T6_T7_T9_mT8_P12ihipStream_tbDpT10_ENKUlT_T0_E_clISt17integral_constantIbLb1EES1B_EEDaS16_S17_EUlS16_E_NS1_11comp_targetILNS1_3genE3ELNS1_11target_archE908ELNS1_3gpuE7ELNS1_3repE0EEENS1_30default_config_static_selectorELNS0_4arch9wavefront6targetE1EEEvT1_,comdat
	.protected	_ZN7rocprim17ROCPRIM_400000_NS6detail17trampoline_kernelINS0_14default_configENS1_25partition_config_selectorILNS1_17partition_subalgoE1EsNS0_10empty_typeEbEEZZNS1_14partition_implILS5_1ELb0ES3_jN6thrust23THRUST_200600_302600_NS6detail15normal_iteratorINSA_10device_ptrIsEEEEPS6_NSA_18transform_iteratorI7is_evenIsESF_NSA_11use_defaultESK_EENS0_5tupleIJNSA_16discard_iteratorISK_EESF_EEENSM_IJSG_SG_EEES6_PlJS6_EEE10hipError_tPvRmT3_T4_T5_T6_T7_T9_mT8_P12ihipStream_tbDpT10_ENKUlT_T0_E_clISt17integral_constantIbLb1EES1B_EEDaS16_S17_EUlS16_E_NS1_11comp_targetILNS1_3genE3ELNS1_11target_archE908ELNS1_3gpuE7ELNS1_3repE0EEENS1_30default_config_static_selectorELNS0_4arch9wavefront6targetE1EEEvT1_ ; -- Begin function _ZN7rocprim17ROCPRIM_400000_NS6detail17trampoline_kernelINS0_14default_configENS1_25partition_config_selectorILNS1_17partition_subalgoE1EsNS0_10empty_typeEbEEZZNS1_14partition_implILS5_1ELb0ES3_jN6thrust23THRUST_200600_302600_NS6detail15normal_iteratorINSA_10device_ptrIsEEEEPS6_NSA_18transform_iteratorI7is_evenIsESF_NSA_11use_defaultESK_EENS0_5tupleIJNSA_16discard_iteratorISK_EESF_EEENSM_IJSG_SG_EEES6_PlJS6_EEE10hipError_tPvRmT3_T4_T5_T6_T7_T9_mT8_P12ihipStream_tbDpT10_ENKUlT_T0_E_clISt17integral_constantIbLb1EES1B_EEDaS16_S17_EUlS16_E_NS1_11comp_targetILNS1_3genE3ELNS1_11target_archE908ELNS1_3gpuE7ELNS1_3repE0EEENS1_30default_config_static_selectorELNS0_4arch9wavefront6targetE1EEEvT1_
	.globl	_ZN7rocprim17ROCPRIM_400000_NS6detail17trampoline_kernelINS0_14default_configENS1_25partition_config_selectorILNS1_17partition_subalgoE1EsNS0_10empty_typeEbEEZZNS1_14partition_implILS5_1ELb0ES3_jN6thrust23THRUST_200600_302600_NS6detail15normal_iteratorINSA_10device_ptrIsEEEEPS6_NSA_18transform_iteratorI7is_evenIsESF_NSA_11use_defaultESK_EENS0_5tupleIJNSA_16discard_iteratorISK_EESF_EEENSM_IJSG_SG_EEES6_PlJS6_EEE10hipError_tPvRmT3_T4_T5_T6_T7_T9_mT8_P12ihipStream_tbDpT10_ENKUlT_T0_E_clISt17integral_constantIbLb1EES1B_EEDaS16_S17_EUlS16_E_NS1_11comp_targetILNS1_3genE3ELNS1_11target_archE908ELNS1_3gpuE7ELNS1_3repE0EEENS1_30default_config_static_selectorELNS0_4arch9wavefront6targetE1EEEvT1_
	.p2align	8
	.type	_ZN7rocprim17ROCPRIM_400000_NS6detail17trampoline_kernelINS0_14default_configENS1_25partition_config_selectorILNS1_17partition_subalgoE1EsNS0_10empty_typeEbEEZZNS1_14partition_implILS5_1ELb0ES3_jN6thrust23THRUST_200600_302600_NS6detail15normal_iteratorINSA_10device_ptrIsEEEEPS6_NSA_18transform_iteratorI7is_evenIsESF_NSA_11use_defaultESK_EENS0_5tupleIJNSA_16discard_iteratorISK_EESF_EEENSM_IJSG_SG_EEES6_PlJS6_EEE10hipError_tPvRmT3_T4_T5_T6_T7_T9_mT8_P12ihipStream_tbDpT10_ENKUlT_T0_E_clISt17integral_constantIbLb1EES1B_EEDaS16_S17_EUlS16_E_NS1_11comp_targetILNS1_3genE3ELNS1_11target_archE908ELNS1_3gpuE7ELNS1_3repE0EEENS1_30default_config_static_selectorELNS0_4arch9wavefront6targetE1EEEvT1_,@function
_ZN7rocprim17ROCPRIM_400000_NS6detail17trampoline_kernelINS0_14default_configENS1_25partition_config_selectorILNS1_17partition_subalgoE1EsNS0_10empty_typeEbEEZZNS1_14partition_implILS5_1ELb0ES3_jN6thrust23THRUST_200600_302600_NS6detail15normal_iteratorINSA_10device_ptrIsEEEEPS6_NSA_18transform_iteratorI7is_evenIsESF_NSA_11use_defaultESK_EENS0_5tupleIJNSA_16discard_iteratorISK_EESF_EEENSM_IJSG_SG_EEES6_PlJS6_EEE10hipError_tPvRmT3_T4_T5_T6_T7_T9_mT8_P12ihipStream_tbDpT10_ENKUlT_T0_E_clISt17integral_constantIbLb1EES1B_EEDaS16_S17_EUlS16_E_NS1_11comp_targetILNS1_3genE3ELNS1_11target_archE908ELNS1_3gpuE7ELNS1_3repE0EEENS1_30default_config_static_selectorELNS0_4arch9wavefront6targetE1EEEvT1_: ; @_ZN7rocprim17ROCPRIM_400000_NS6detail17trampoline_kernelINS0_14default_configENS1_25partition_config_selectorILNS1_17partition_subalgoE1EsNS0_10empty_typeEbEEZZNS1_14partition_implILS5_1ELb0ES3_jN6thrust23THRUST_200600_302600_NS6detail15normal_iteratorINSA_10device_ptrIsEEEEPS6_NSA_18transform_iteratorI7is_evenIsESF_NSA_11use_defaultESK_EENS0_5tupleIJNSA_16discard_iteratorISK_EESF_EEENSM_IJSG_SG_EEES6_PlJS6_EEE10hipError_tPvRmT3_T4_T5_T6_T7_T9_mT8_P12ihipStream_tbDpT10_ENKUlT_T0_E_clISt17integral_constantIbLb1EES1B_EEDaS16_S17_EUlS16_E_NS1_11comp_targetILNS1_3genE3ELNS1_11target_archE908ELNS1_3gpuE7ELNS1_3repE0EEENS1_30default_config_static_selectorELNS0_4arch9wavefront6targetE1EEEvT1_
; %bb.0:
	.section	.rodata,"a",@progbits
	.p2align	6, 0x0
	.amdhsa_kernel _ZN7rocprim17ROCPRIM_400000_NS6detail17trampoline_kernelINS0_14default_configENS1_25partition_config_selectorILNS1_17partition_subalgoE1EsNS0_10empty_typeEbEEZZNS1_14partition_implILS5_1ELb0ES3_jN6thrust23THRUST_200600_302600_NS6detail15normal_iteratorINSA_10device_ptrIsEEEEPS6_NSA_18transform_iteratorI7is_evenIsESF_NSA_11use_defaultESK_EENS0_5tupleIJNSA_16discard_iteratorISK_EESF_EEENSM_IJSG_SG_EEES6_PlJS6_EEE10hipError_tPvRmT3_T4_T5_T6_T7_T9_mT8_P12ihipStream_tbDpT10_ENKUlT_T0_E_clISt17integral_constantIbLb1EES1B_EEDaS16_S17_EUlS16_E_NS1_11comp_targetILNS1_3genE3ELNS1_11target_archE908ELNS1_3gpuE7ELNS1_3repE0EEENS1_30default_config_static_selectorELNS0_4arch9wavefront6targetE1EEEvT1_
		.amdhsa_group_segment_fixed_size 0
		.amdhsa_private_segment_fixed_size 0
		.amdhsa_kernarg_size 152
		.amdhsa_user_sgpr_count 2
		.amdhsa_user_sgpr_dispatch_ptr 0
		.amdhsa_user_sgpr_queue_ptr 0
		.amdhsa_user_sgpr_kernarg_segment_ptr 1
		.amdhsa_user_sgpr_dispatch_id 0
		.amdhsa_user_sgpr_kernarg_preload_length 0
		.amdhsa_user_sgpr_kernarg_preload_offset 0
		.amdhsa_user_sgpr_private_segment_size 0
		.amdhsa_uses_dynamic_stack 0
		.amdhsa_enable_private_segment 0
		.amdhsa_system_sgpr_workgroup_id_x 1
		.amdhsa_system_sgpr_workgroup_id_y 0
		.amdhsa_system_sgpr_workgroup_id_z 0
		.amdhsa_system_sgpr_workgroup_info 0
		.amdhsa_system_vgpr_workitem_id 0
		.amdhsa_next_free_vgpr 1
		.amdhsa_next_free_sgpr 0
		.amdhsa_accum_offset 4
		.amdhsa_reserve_vcc 0
		.amdhsa_float_round_mode_32 0
		.amdhsa_float_round_mode_16_64 0
		.amdhsa_float_denorm_mode_32 3
		.amdhsa_float_denorm_mode_16_64 3
		.amdhsa_dx10_clamp 1
		.amdhsa_ieee_mode 1
		.amdhsa_fp16_overflow 0
		.amdhsa_tg_split 0
		.amdhsa_exception_fp_ieee_invalid_op 0
		.amdhsa_exception_fp_denorm_src 0
		.amdhsa_exception_fp_ieee_div_zero 0
		.amdhsa_exception_fp_ieee_overflow 0
		.amdhsa_exception_fp_ieee_underflow 0
		.amdhsa_exception_fp_ieee_inexact 0
		.amdhsa_exception_int_div_zero 0
	.end_amdhsa_kernel
	.section	.text._ZN7rocprim17ROCPRIM_400000_NS6detail17trampoline_kernelINS0_14default_configENS1_25partition_config_selectorILNS1_17partition_subalgoE1EsNS0_10empty_typeEbEEZZNS1_14partition_implILS5_1ELb0ES3_jN6thrust23THRUST_200600_302600_NS6detail15normal_iteratorINSA_10device_ptrIsEEEEPS6_NSA_18transform_iteratorI7is_evenIsESF_NSA_11use_defaultESK_EENS0_5tupleIJNSA_16discard_iteratorISK_EESF_EEENSM_IJSG_SG_EEES6_PlJS6_EEE10hipError_tPvRmT3_T4_T5_T6_T7_T9_mT8_P12ihipStream_tbDpT10_ENKUlT_T0_E_clISt17integral_constantIbLb1EES1B_EEDaS16_S17_EUlS16_E_NS1_11comp_targetILNS1_3genE3ELNS1_11target_archE908ELNS1_3gpuE7ELNS1_3repE0EEENS1_30default_config_static_selectorELNS0_4arch9wavefront6targetE1EEEvT1_,"axG",@progbits,_ZN7rocprim17ROCPRIM_400000_NS6detail17trampoline_kernelINS0_14default_configENS1_25partition_config_selectorILNS1_17partition_subalgoE1EsNS0_10empty_typeEbEEZZNS1_14partition_implILS5_1ELb0ES3_jN6thrust23THRUST_200600_302600_NS6detail15normal_iteratorINSA_10device_ptrIsEEEEPS6_NSA_18transform_iteratorI7is_evenIsESF_NSA_11use_defaultESK_EENS0_5tupleIJNSA_16discard_iteratorISK_EESF_EEENSM_IJSG_SG_EEES6_PlJS6_EEE10hipError_tPvRmT3_T4_T5_T6_T7_T9_mT8_P12ihipStream_tbDpT10_ENKUlT_T0_E_clISt17integral_constantIbLb1EES1B_EEDaS16_S17_EUlS16_E_NS1_11comp_targetILNS1_3genE3ELNS1_11target_archE908ELNS1_3gpuE7ELNS1_3repE0EEENS1_30default_config_static_selectorELNS0_4arch9wavefront6targetE1EEEvT1_,comdat
.Lfunc_end3430:
	.size	_ZN7rocprim17ROCPRIM_400000_NS6detail17trampoline_kernelINS0_14default_configENS1_25partition_config_selectorILNS1_17partition_subalgoE1EsNS0_10empty_typeEbEEZZNS1_14partition_implILS5_1ELb0ES3_jN6thrust23THRUST_200600_302600_NS6detail15normal_iteratorINSA_10device_ptrIsEEEEPS6_NSA_18transform_iteratorI7is_evenIsESF_NSA_11use_defaultESK_EENS0_5tupleIJNSA_16discard_iteratorISK_EESF_EEENSM_IJSG_SG_EEES6_PlJS6_EEE10hipError_tPvRmT3_T4_T5_T6_T7_T9_mT8_P12ihipStream_tbDpT10_ENKUlT_T0_E_clISt17integral_constantIbLb1EES1B_EEDaS16_S17_EUlS16_E_NS1_11comp_targetILNS1_3genE3ELNS1_11target_archE908ELNS1_3gpuE7ELNS1_3repE0EEENS1_30default_config_static_selectorELNS0_4arch9wavefront6targetE1EEEvT1_, .Lfunc_end3430-_ZN7rocprim17ROCPRIM_400000_NS6detail17trampoline_kernelINS0_14default_configENS1_25partition_config_selectorILNS1_17partition_subalgoE1EsNS0_10empty_typeEbEEZZNS1_14partition_implILS5_1ELb0ES3_jN6thrust23THRUST_200600_302600_NS6detail15normal_iteratorINSA_10device_ptrIsEEEEPS6_NSA_18transform_iteratorI7is_evenIsESF_NSA_11use_defaultESK_EENS0_5tupleIJNSA_16discard_iteratorISK_EESF_EEENSM_IJSG_SG_EEES6_PlJS6_EEE10hipError_tPvRmT3_T4_T5_T6_T7_T9_mT8_P12ihipStream_tbDpT10_ENKUlT_T0_E_clISt17integral_constantIbLb1EES1B_EEDaS16_S17_EUlS16_E_NS1_11comp_targetILNS1_3genE3ELNS1_11target_archE908ELNS1_3gpuE7ELNS1_3repE0EEENS1_30default_config_static_selectorELNS0_4arch9wavefront6targetE1EEEvT1_
                                        ; -- End function
	.section	.AMDGPU.csdata,"",@progbits
; Kernel info:
; codeLenInByte = 0
; NumSgprs: 6
; NumVgprs: 0
; NumAgprs: 0
; TotalNumVgprs: 0
; ScratchSize: 0
; MemoryBound: 0
; FloatMode: 240
; IeeeMode: 1
; LDSByteSize: 0 bytes/workgroup (compile time only)
; SGPRBlocks: 0
; VGPRBlocks: 0
; NumSGPRsForWavesPerEU: 6
; NumVGPRsForWavesPerEU: 1
; AccumOffset: 4
; Occupancy: 8
; WaveLimiterHint : 0
; COMPUTE_PGM_RSRC2:SCRATCH_EN: 0
; COMPUTE_PGM_RSRC2:USER_SGPR: 2
; COMPUTE_PGM_RSRC2:TRAP_HANDLER: 0
; COMPUTE_PGM_RSRC2:TGID_X_EN: 1
; COMPUTE_PGM_RSRC2:TGID_Y_EN: 0
; COMPUTE_PGM_RSRC2:TGID_Z_EN: 0
; COMPUTE_PGM_RSRC2:TIDIG_COMP_CNT: 0
; COMPUTE_PGM_RSRC3_GFX90A:ACCUM_OFFSET: 0
; COMPUTE_PGM_RSRC3_GFX90A:TG_SPLIT: 0
	.section	.text._ZN7rocprim17ROCPRIM_400000_NS6detail17trampoline_kernelINS0_14default_configENS1_25partition_config_selectorILNS1_17partition_subalgoE1EsNS0_10empty_typeEbEEZZNS1_14partition_implILS5_1ELb0ES3_jN6thrust23THRUST_200600_302600_NS6detail15normal_iteratorINSA_10device_ptrIsEEEEPS6_NSA_18transform_iteratorI7is_evenIsESF_NSA_11use_defaultESK_EENS0_5tupleIJNSA_16discard_iteratorISK_EESF_EEENSM_IJSG_SG_EEES6_PlJS6_EEE10hipError_tPvRmT3_T4_T5_T6_T7_T9_mT8_P12ihipStream_tbDpT10_ENKUlT_T0_E_clISt17integral_constantIbLb1EES1B_EEDaS16_S17_EUlS16_E_NS1_11comp_targetILNS1_3genE2ELNS1_11target_archE906ELNS1_3gpuE6ELNS1_3repE0EEENS1_30default_config_static_selectorELNS0_4arch9wavefront6targetE1EEEvT1_,"axG",@progbits,_ZN7rocprim17ROCPRIM_400000_NS6detail17trampoline_kernelINS0_14default_configENS1_25partition_config_selectorILNS1_17partition_subalgoE1EsNS0_10empty_typeEbEEZZNS1_14partition_implILS5_1ELb0ES3_jN6thrust23THRUST_200600_302600_NS6detail15normal_iteratorINSA_10device_ptrIsEEEEPS6_NSA_18transform_iteratorI7is_evenIsESF_NSA_11use_defaultESK_EENS0_5tupleIJNSA_16discard_iteratorISK_EESF_EEENSM_IJSG_SG_EEES6_PlJS6_EEE10hipError_tPvRmT3_T4_T5_T6_T7_T9_mT8_P12ihipStream_tbDpT10_ENKUlT_T0_E_clISt17integral_constantIbLb1EES1B_EEDaS16_S17_EUlS16_E_NS1_11comp_targetILNS1_3genE2ELNS1_11target_archE906ELNS1_3gpuE6ELNS1_3repE0EEENS1_30default_config_static_selectorELNS0_4arch9wavefront6targetE1EEEvT1_,comdat
	.protected	_ZN7rocprim17ROCPRIM_400000_NS6detail17trampoline_kernelINS0_14default_configENS1_25partition_config_selectorILNS1_17partition_subalgoE1EsNS0_10empty_typeEbEEZZNS1_14partition_implILS5_1ELb0ES3_jN6thrust23THRUST_200600_302600_NS6detail15normal_iteratorINSA_10device_ptrIsEEEEPS6_NSA_18transform_iteratorI7is_evenIsESF_NSA_11use_defaultESK_EENS0_5tupleIJNSA_16discard_iteratorISK_EESF_EEENSM_IJSG_SG_EEES6_PlJS6_EEE10hipError_tPvRmT3_T4_T5_T6_T7_T9_mT8_P12ihipStream_tbDpT10_ENKUlT_T0_E_clISt17integral_constantIbLb1EES1B_EEDaS16_S17_EUlS16_E_NS1_11comp_targetILNS1_3genE2ELNS1_11target_archE906ELNS1_3gpuE6ELNS1_3repE0EEENS1_30default_config_static_selectorELNS0_4arch9wavefront6targetE1EEEvT1_ ; -- Begin function _ZN7rocprim17ROCPRIM_400000_NS6detail17trampoline_kernelINS0_14default_configENS1_25partition_config_selectorILNS1_17partition_subalgoE1EsNS0_10empty_typeEbEEZZNS1_14partition_implILS5_1ELb0ES3_jN6thrust23THRUST_200600_302600_NS6detail15normal_iteratorINSA_10device_ptrIsEEEEPS6_NSA_18transform_iteratorI7is_evenIsESF_NSA_11use_defaultESK_EENS0_5tupleIJNSA_16discard_iteratorISK_EESF_EEENSM_IJSG_SG_EEES6_PlJS6_EEE10hipError_tPvRmT3_T4_T5_T6_T7_T9_mT8_P12ihipStream_tbDpT10_ENKUlT_T0_E_clISt17integral_constantIbLb1EES1B_EEDaS16_S17_EUlS16_E_NS1_11comp_targetILNS1_3genE2ELNS1_11target_archE906ELNS1_3gpuE6ELNS1_3repE0EEENS1_30default_config_static_selectorELNS0_4arch9wavefront6targetE1EEEvT1_
	.globl	_ZN7rocprim17ROCPRIM_400000_NS6detail17trampoline_kernelINS0_14default_configENS1_25partition_config_selectorILNS1_17partition_subalgoE1EsNS0_10empty_typeEbEEZZNS1_14partition_implILS5_1ELb0ES3_jN6thrust23THRUST_200600_302600_NS6detail15normal_iteratorINSA_10device_ptrIsEEEEPS6_NSA_18transform_iteratorI7is_evenIsESF_NSA_11use_defaultESK_EENS0_5tupleIJNSA_16discard_iteratorISK_EESF_EEENSM_IJSG_SG_EEES6_PlJS6_EEE10hipError_tPvRmT3_T4_T5_T6_T7_T9_mT8_P12ihipStream_tbDpT10_ENKUlT_T0_E_clISt17integral_constantIbLb1EES1B_EEDaS16_S17_EUlS16_E_NS1_11comp_targetILNS1_3genE2ELNS1_11target_archE906ELNS1_3gpuE6ELNS1_3repE0EEENS1_30default_config_static_selectorELNS0_4arch9wavefront6targetE1EEEvT1_
	.p2align	8
	.type	_ZN7rocprim17ROCPRIM_400000_NS6detail17trampoline_kernelINS0_14default_configENS1_25partition_config_selectorILNS1_17partition_subalgoE1EsNS0_10empty_typeEbEEZZNS1_14partition_implILS5_1ELb0ES3_jN6thrust23THRUST_200600_302600_NS6detail15normal_iteratorINSA_10device_ptrIsEEEEPS6_NSA_18transform_iteratorI7is_evenIsESF_NSA_11use_defaultESK_EENS0_5tupleIJNSA_16discard_iteratorISK_EESF_EEENSM_IJSG_SG_EEES6_PlJS6_EEE10hipError_tPvRmT3_T4_T5_T6_T7_T9_mT8_P12ihipStream_tbDpT10_ENKUlT_T0_E_clISt17integral_constantIbLb1EES1B_EEDaS16_S17_EUlS16_E_NS1_11comp_targetILNS1_3genE2ELNS1_11target_archE906ELNS1_3gpuE6ELNS1_3repE0EEENS1_30default_config_static_selectorELNS0_4arch9wavefront6targetE1EEEvT1_,@function
_ZN7rocprim17ROCPRIM_400000_NS6detail17trampoline_kernelINS0_14default_configENS1_25partition_config_selectorILNS1_17partition_subalgoE1EsNS0_10empty_typeEbEEZZNS1_14partition_implILS5_1ELb0ES3_jN6thrust23THRUST_200600_302600_NS6detail15normal_iteratorINSA_10device_ptrIsEEEEPS6_NSA_18transform_iteratorI7is_evenIsESF_NSA_11use_defaultESK_EENS0_5tupleIJNSA_16discard_iteratorISK_EESF_EEENSM_IJSG_SG_EEES6_PlJS6_EEE10hipError_tPvRmT3_T4_T5_T6_T7_T9_mT8_P12ihipStream_tbDpT10_ENKUlT_T0_E_clISt17integral_constantIbLb1EES1B_EEDaS16_S17_EUlS16_E_NS1_11comp_targetILNS1_3genE2ELNS1_11target_archE906ELNS1_3gpuE6ELNS1_3repE0EEENS1_30default_config_static_selectorELNS0_4arch9wavefront6targetE1EEEvT1_: ; @_ZN7rocprim17ROCPRIM_400000_NS6detail17trampoline_kernelINS0_14default_configENS1_25partition_config_selectorILNS1_17partition_subalgoE1EsNS0_10empty_typeEbEEZZNS1_14partition_implILS5_1ELb0ES3_jN6thrust23THRUST_200600_302600_NS6detail15normal_iteratorINSA_10device_ptrIsEEEEPS6_NSA_18transform_iteratorI7is_evenIsESF_NSA_11use_defaultESK_EENS0_5tupleIJNSA_16discard_iteratorISK_EESF_EEENSM_IJSG_SG_EEES6_PlJS6_EEE10hipError_tPvRmT3_T4_T5_T6_T7_T9_mT8_P12ihipStream_tbDpT10_ENKUlT_T0_E_clISt17integral_constantIbLb1EES1B_EEDaS16_S17_EUlS16_E_NS1_11comp_targetILNS1_3genE2ELNS1_11target_archE906ELNS1_3gpuE6ELNS1_3repE0EEENS1_30default_config_static_selectorELNS0_4arch9wavefront6targetE1EEEvT1_
; %bb.0:
	.section	.rodata,"a",@progbits
	.p2align	6, 0x0
	.amdhsa_kernel _ZN7rocprim17ROCPRIM_400000_NS6detail17trampoline_kernelINS0_14default_configENS1_25partition_config_selectorILNS1_17partition_subalgoE1EsNS0_10empty_typeEbEEZZNS1_14partition_implILS5_1ELb0ES3_jN6thrust23THRUST_200600_302600_NS6detail15normal_iteratorINSA_10device_ptrIsEEEEPS6_NSA_18transform_iteratorI7is_evenIsESF_NSA_11use_defaultESK_EENS0_5tupleIJNSA_16discard_iteratorISK_EESF_EEENSM_IJSG_SG_EEES6_PlJS6_EEE10hipError_tPvRmT3_T4_T5_T6_T7_T9_mT8_P12ihipStream_tbDpT10_ENKUlT_T0_E_clISt17integral_constantIbLb1EES1B_EEDaS16_S17_EUlS16_E_NS1_11comp_targetILNS1_3genE2ELNS1_11target_archE906ELNS1_3gpuE6ELNS1_3repE0EEENS1_30default_config_static_selectorELNS0_4arch9wavefront6targetE1EEEvT1_
		.amdhsa_group_segment_fixed_size 0
		.amdhsa_private_segment_fixed_size 0
		.amdhsa_kernarg_size 152
		.amdhsa_user_sgpr_count 2
		.amdhsa_user_sgpr_dispatch_ptr 0
		.amdhsa_user_sgpr_queue_ptr 0
		.amdhsa_user_sgpr_kernarg_segment_ptr 1
		.amdhsa_user_sgpr_dispatch_id 0
		.amdhsa_user_sgpr_kernarg_preload_length 0
		.amdhsa_user_sgpr_kernarg_preload_offset 0
		.amdhsa_user_sgpr_private_segment_size 0
		.amdhsa_uses_dynamic_stack 0
		.amdhsa_enable_private_segment 0
		.amdhsa_system_sgpr_workgroup_id_x 1
		.amdhsa_system_sgpr_workgroup_id_y 0
		.amdhsa_system_sgpr_workgroup_id_z 0
		.amdhsa_system_sgpr_workgroup_info 0
		.amdhsa_system_vgpr_workitem_id 0
		.amdhsa_next_free_vgpr 1
		.amdhsa_next_free_sgpr 0
		.amdhsa_accum_offset 4
		.amdhsa_reserve_vcc 0
		.amdhsa_float_round_mode_32 0
		.amdhsa_float_round_mode_16_64 0
		.amdhsa_float_denorm_mode_32 3
		.amdhsa_float_denorm_mode_16_64 3
		.amdhsa_dx10_clamp 1
		.amdhsa_ieee_mode 1
		.amdhsa_fp16_overflow 0
		.amdhsa_tg_split 0
		.amdhsa_exception_fp_ieee_invalid_op 0
		.amdhsa_exception_fp_denorm_src 0
		.amdhsa_exception_fp_ieee_div_zero 0
		.amdhsa_exception_fp_ieee_overflow 0
		.amdhsa_exception_fp_ieee_underflow 0
		.amdhsa_exception_fp_ieee_inexact 0
		.amdhsa_exception_int_div_zero 0
	.end_amdhsa_kernel
	.section	.text._ZN7rocprim17ROCPRIM_400000_NS6detail17trampoline_kernelINS0_14default_configENS1_25partition_config_selectorILNS1_17partition_subalgoE1EsNS0_10empty_typeEbEEZZNS1_14partition_implILS5_1ELb0ES3_jN6thrust23THRUST_200600_302600_NS6detail15normal_iteratorINSA_10device_ptrIsEEEEPS6_NSA_18transform_iteratorI7is_evenIsESF_NSA_11use_defaultESK_EENS0_5tupleIJNSA_16discard_iteratorISK_EESF_EEENSM_IJSG_SG_EEES6_PlJS6_EEE10hipError_tPvRmT3_T4_T5_T6_T7_T9_mT8_P12ihipStream_tbDpT10_ENKUlT_T0_E_clISt17integral_constantIbLb1EES1B_EEDaS16_S17_EUlS16_E_NS1_11comp_targetILNS1_3genE2ELNS1_11target_archE906ELNS1_3gpuE6ELNS1_3repE0EEENS1_30default_config_static_selectorELNS0_4arch9wavefront6targetE1EEEvT1_,"axG",@progbits,_ZN7rocprim17ROCPRIM_400000_NS6detail17trampoline_kernelINS0_14default_configENS1_25partition_config_selectorILNS1_17partition_subalgoE1EsNS0_10empty_typeEbEEZZNS1_14partition_implILS5_1ELb0ES3_jN6thrust23THRUST_200600_302600_NS6detail15normal_iteratorINSA_10device_ptrIsEEEEPS6_NSA_18transform_iteratorI7is_evenIsESF_NSA_11use_defaultESK_EENS0_5tupleIJNSA_16discard_iteratorISK_EESF_EEENSM_IJSG_SG_EEES6_PlJS6_EEE10hipError_tPvRmT3_T4_T5_T6_T7_T9_mT8_P12ihipStream_tbDpT10_ENKUlT_T0_E_clISt17integral_constantIbLb1EES1B_EEDaS16_S17_EUlS16_E_NS1_11comp_targetILNS1_3genE2ELNS1_11target_archE906ELNS1_3gpuE6ELNS1_3repE0EEENS1_30default_config_static_selectorELNS0_4arch9wavefront6targetE1EEEvT1_,comdat
.Lfunc_end3431:
	.size	_ZN7rocprim17ROCPRIM_400000_NS6detail17trampoline_kernelINS0_14default_configENS1_25partition_config_selectorILNS1_17partition_subalgoE1EsNS0_10empty_typeEbEEZZNS1_14partition_implILS5_1ELb0ES3_jN6thrust23THRUST_200600_302600_NS6detail15normal_iteratorINSA_10device_ptrIsEEEEPS6_NSA_18transform_iteratorI7is_evenIsESF_NSA_11use_defaultESK_EENS0_5tupleIJNSA_16discard_iteratorISK_EESF_EEENSM_IJSG_SG_EEES6_PlJS6_EEE10hipError_tPvRmT3_T4_T5_T6_T7_T9_mT8_P12ihipStream_tbDpT10_ENKUlT_T0_E_clISt17integral_constantIbLb1EES1B_EEDaS16_S17_EUlS16_E_NS1_11comp_targetILNS1_3genE2ELNS1_11target_archE906ELNS1_3gpuE6ELNS1_3repE0EEENS1_30default_config_static_selectorELNS0_4arch9wavefront6targetE1EEEvT1_, .Lfunc_end3431-_ZN7rocprim17ROCPRIM_400000_NS6detail17trampoline_kernelINS0_14default_configENS1_25partition_config_selectorILNS1_17partition_subalgoE1EsNS0_10empty_typeEbEEZZNS1_14partition_implILS5_1ELb0ES3_jN6thrust23THRUST_200600_302600_NS6detail15normal_iteratorINSA_10device_ptrIsEEEEPS6_NSA_18transform_iteratorI7is_evenIsESF_NSA_11use_defaultESK_EENS0_5tupleIJNSA_16discard_iteratorISK_EESF_EEENSM_IJSG_SG_EEES6_PlJS6_EEE10hipError_tPvRmT3_T4_T5_T6_T7_T9_mT8_P12ihipStream_tbDpT10_ENKUlT_T0_E_clISt17integral_constantIbLb1EES1B_EEDaS16_S17_EUlS16_E_NS1_11comp_targetILNS1_3genE2ELNS1_11target_archE906ELNS1_3gpuE6ELNS1_3repE0EEENS1_30default_config_static_selectorELNS0_4arch9wavefront6targetE1EEEvT1_
                                        ; -- End function
	.section	.AMDGPU.csdata,"",@progbits
; Kernel info:
; codeLenInByte = 0
; NumSgprs: 6
; NumVgprs: 0
; NumAgprs: 0
; TotalNumVgprs: 0
; ScratchSize: 0
; MemoryBound: 0
; FloatMode: 240
; IeeeMode: 1
; LDSByteSize: 0 bytes/workgroup (compile time only)
; SGPRBlocks: 0
; VGPRBlocks: 0
; NumSGPRsForWavesPerEU: 6
; NumVGPRsForWavesPerEU: 1
; AccumOffset: 4
; Occupancy: 8
; WaveLimiterHint : 0
; COMPUTE_PGM_RSRC2:SCRATCH_EN: 0
; COMPUTE_PGM_RSRC2:USER_SGPR: 2
; COMPUTE_PGM_RSRC2:TRAP_HANDLER: 0
; COMPUTE_PGM_RSRC2:TGID_X_EN: 1
; COMPUTE_PGM_RSRC2:TGID_Y_EN: 0
; COMPUTE_PGM_RSRC2:TGID_Z_EN: 0
; COMPUTE_PGM_RSRC2:TIDIG_COMP_CNT: 0
; COMPUTE_PGM_RSRC3_GFX90A:ACCUM_OFFSET: 0
; COMPUTE_PGM_RSRC3_GFX90A:TG_SPLIT: 0
	.section	.text._ZN7rocprim17ROCPRIM_400000_NS6detail17trampoline_kernelINS0_14default_configENS1_25partition_config_selectorILNS1_17partition_subalgoE1EsNS0_10empty_typeEbEEZZNS1_14partition_implILS5_1ELb0ES3_jN6thrust23THRUST_200600_302600_NS6detail15normal_iteratorINSA_10device_ptrIsEEEEPS6_NSA_18transform_iteratorI7is_evenIsESF_NSA_11use_defaultESK_EENS0_5tupleIJNSA_16discard_iteratorISK_EESF_EEENSM_IJSG_SG_EEES6_PlJS6_EEE10hipError_tPvRmT3_T4_T5_T6_T7_T9_mT8_P12ihipStream_tbDpT10_ENKUlT_T0_E_clISt17integral_constantIbLb1EES1B_EEDaS16_S17_EUlS16_E_NS1_11comp_targetILNS1_3genE10ELNS1_11target_archE1200ELNS1_3gpuE4ELNS1_3repE0EEENS1_30default_config_static_selectorELNS0_4arch9wavefront6targetE1EEEvT1_,"axG",@progbits,_ZN7rocprim17ROCPRIM_400000_NS6detail17trampoline_kernelINS0_14default_configENS1_25partition_config_selectorILNS1_17partition_subalgoE1EsNS0_10empty_typeEbEEZZNS1_14partition_implILS5_1ELb0ES3_jN6thrust23THRUST_200600_302600_NS6detail15normal_iteratorINSA_10device_ptrIsEEEEPS6_NSA_18transform_iteratorI7is_evenIsESF_NSA_11use_defaultESK_EENS0_5tupleIJNSA_16discard_iteratorISK_EESF_EEENSM_IJSG_SG_EEES6_PlJS6_EEE10hipError_tPvRmT3_T4_T5_T6_T7_T9_mT8_P12ihipStream_tbDpT10_ENKUlT_T0_E_clISt17integral_constantIbLb1EES1B_EEDaS16_S17_EUlS16_E_NS1_11comp_targetILNS1_3genE10ELNS1_11target_archE1200ELNS1_3gpuE4ELNS1_3repE0EEENS1_30default_config_static_selectorELNS0_4arch9wavefront6targetE1EEEvT1_,comdat
	.protected	_ZN7rocprim17ROCPRIM_400000_NS6detail17trampoline_kernelINS0_14default_configENS1_25partition_config_selectorILNS1_17partition_subalgoE1EsNS0_10empty_typeEbEEZZNS1_14partition_implILS5_1ELb0ES3_jN6thrust23THRUST_200600_302600_NS6detail15normal_iteratorINSA_10device_ptrIsEEEEPS6_NSA_18transform_iteratorI7is_evenIsESF_NSA_11use_defaultESK_EENS0_5tupleIJNSA_16discard_iteratorISK_EESF_EEENSM_IJSG_SG_EEES6_PlJS6_EEE10hipError_tPvRmT3_T4_T5_T6_T7_T9_mT8_P12ihipStream_tbDpT10_ENKUlT_T0_E_clISt17integral_constantIbLb1EES1B_EEDaS16_S17_EUlS16_E_NS1_11comp_targetILNS1_3genE10ELNS1_11target_archE1200ELNS1_3gpuE4ELNS1_3repE0EEENS1_30default_config_static_selectorELNS0_4arch9wavefront6targetE1EEEvT1_ ; -- Begin function _ZN7rocprim17ROCPRIM_400000_NS6detail17trampoline_kernelINS0_14default_configENS1_25partition_config_selectorILNS1_17partition_subalgoE1EsNS0_10empty_typeEbEEZZNS1_14partition_implILS5_1ELb0ES3_jN6thrust23THRUST_200600_302600_NS6detail15normal_iteratorINSA_10device_ptrIsEEEEPS6_NSA_18transform_iteratorI7is_evenIsESF_NSA_11use_defaultESK_EENS0_5tupleIJNSA_16discard_iteratorISK_EESF_EEENSM_IJSG_SG_EEES6_PlJS6_EEE10hipError_tPvRmT3_T4_T5_T6_T7_T9_mT8_P12ihipStream_tbDpT10_ENKUlT_T0_E_clISt17integral_constantIbLb1EES1B_EEDaS16_S17_EUlS16_E_NS1_11comp_targetILNS1_3genE10ELNS1_11target_archE1200ELNS1_3gpuE4ELNS1_3repE0EEENS1_30default_config_static_selectorELNS0_4arch9wavefront6targetE1EEEvT1_
	.globl	_ZN7rocprim17ROCPRIM_400000_NS6detail17trampoline_kernelINS0_14default_configENS1_25partition_config_selectorILNS1_17partition_subalgoE1EsNS0_10empty_typeEbEEZZNS1_14partition_implILS5_1ELb0ES3_jN6thrust23THRUST_200600_302600_NS6detail15normal_iteratorINSA_10device_ptrIsEEEEPS6_NSA_18transform_iteratorI7is_evenIsESF_NSA_11use_defaultESK_EENS0_5tupleIJNSA_16discard_iteratorISK_EESF_EEENSM_IJSG_SG_EEES6_PlJS6_EEE10hipError_tPvRmT3_T4_T5_T6_T7_T9_mT8_P12ihipStream_tbDpT10_ENKUlT_T0_E_clISt17integral_constantIbLb1EES1B_EEDaS16_S17_EUlS16_E_NS1_11comp_targetILNS1_3genE10ELNS1_11target_archE1200ELNS1_3gpuE4ELNS1_3repE0EEENS1_30default_config_static_selectorELNS0_4arch9wavefront6targetE1EEEvT1_
	.p2align	8
	.type	_ZN7rocprim17ROCPRIM_400000_NS6detail17trampoline_kernelINS0_14default_configENS1_25partition_config_selectorILNS1_17partition_subalgoE1EsNS0_10empty_typeEbEEZZNS1_14partition_implILS5_1ELb0ES3_jN6thrust23THRUST_200600_302600_NS6detail15normal_iteratorINSA_10device_ptrIsEEEEPS6_NSA_18transform_iteratorI7is_evenIsESF_NSA_11use_defaultESK_EENS0_5tupleIJNSA_16discard_iteratorISK_EESF_EEENSM_IJSG_SG_EEES6_PlJS6_EEE10hipError_tPvRmT3_T4_T5_T6_T7_T9_mT8_P12ihipStream_tbDpT10_ENKUlT_T0_E_clISt17integral_constantIbLb1EES1B_EEDaS16_S17_EUlS16_E_NS1_11comp_targetILNS1_3genE10ELNS1_11target_archE1200ELNS1_3gpuE4ELNS1_3repE0EEENS1_30default_config_static_selectorELNS0_4arch9wavefront6targetE1EEEvT1_,@function
_ZN7rocprim17ROCPRIM_400000_NS6detail17trampoline_kernelINS0_14default_configENS1_25partition_config_selectorILNS1_17partition_subalgoE1EsNS0_10empty_typeEbEEZZNS1_14partition_implILS5_1ELb0ES3_jN6thrust23THRUST_200600_302600_NS6detail15normal_iteratorINSA_10device_ptrIsEEEEPS6_NSA_18transform_iteratorI7is_evenIsESF_NSA_11use_defaultESK_EENS0_5tupleIJNSA_16discard_iteratorISK_EESF_EEENSM_IJSG_SG_EEES6_PlJS6_EEE10hipError_tPvRmT3_T4_T5_T6_T7_T9_mT8_P12ihipStream_tbDpT10_ENKUlT_T0_E_clISt17integral_constantIbLb1EES1B_EEDaS16_S17_EUlS16_E_NS1_11comp_targetILNS1_3genE10ELNS1_11target_archE1200ELNS1_3gpuE4ELNS1_3repE0EEENS1_30default_config_static_selectorELNS0_4arch9wavefront6targetE1EEEvT1_: ; @_ZN7rocprim17ROCPRIM_400000_NS6detail17trampoline_kernelINS0_14default_configENS1_25partition_config_selectorILNS1_17partition_subalgoE1EsNS0_10empty_typeEbEEZZNS1_14partition_implILS5_1ELb0ES3_jN6thrust23THRUST_200600_302600_NS6detail15normal_iteratorINSA_10device_ptrIsEEEEPS6_NSA_18transform_iteratorI7is_evenIsESF_NSA_11use_defaultESK_EENS0_5tupleIJNSA_16discard_iteratorISK_EESF_EEENSM_IJSG_SG_EEES6_PlJS6_EEE10hipError_tPvRmT3_T4_T5_T6_T7_T9_mT8_P12ihipStream_tbDpT10_ENKUlT_T0_E_clISt17integral_constantIbLb1EES1B_EEDaS16_S17_EUlS16_E_NS1_11comp_targetILNS1_3genE10ELNS1_11target_archE1200ELNS1_3gpuE4ELNS1_3repE0EEENS1_30default_config_static_selectorELNS0_4arch9wavefront6targetE1EEEvT1_
; %bb.0:
	.section	.rodata,"a",@progbits
	.p2align	6, 0x0
	.amdhsa_kernel _ZN7rocprim17ROCPRIM_400000_NS6detail17trampoline_kernelINS0_14default_configENS1_25partition_config_selectorILNS1_17partition_subalgoE1EsNS0_10empty_typeEbEEZZNS1_14partition_implILS5_1ELb0ES3_jN6thrust23THRUST_200600_302600_NS6detail15normal_iteratorINSA_10device_ptrIsEEEEPS6_NSA_18transform_iteratorI7is_evenIsESF_NSA_11use_defaultESK_EENS0_5tupleIJNSA_16discard_iteratorISK_EESF_EEENSM_IJSG_SG_EEES6_PlJS6_EEE10hipError_tPvRmT3_T4_T5_T6_T7_T9_mT8_P12ihipStream_tbDpT10_ENKUlT_T0_E_clISt17integral_constantIbLb1EES1B_EEDaS16_S17_EUlS16_E_NS1_11comp_targetILNS1_3genE10ELNS1_11target_archE1200ELNS1_3gpuE4ELNS1_3repE0EEENS1_30default_config_static_selectorELNS0_4arch9wavefront6targetE1EEEvT1_
		.amdhsa_group_segment_fixed_size 0
		.amdhsa_private_segment_fixed_size 0
		.amdhsa_kernarg_size 152
		.amdhsa_user_sgpr_count 2
		.amdhsa_user_sgpr_dispatch_ptr 0
		.amdhsa_user_sgpr_queue_ptr 0
		.amdhsa_user_sgpr_kernarg_segment_ptr 1
		.amdhsa_user_sgpr_dispatch_id 0
		.amdhsa_user_sgpr_kernarg_preload_length 0
		.amdhsa_user_sgpr_kernarg_preload_offset 0
		.amdhsa_user_sgpr_private_segment_size 0
		.amdhsa_uses_dynamic_stack 0
		.amdhsa_enable_private_segment 0
		.amdhsa_system_sgpr_workgroup_id_x 1
		.amdhsa_system_sgpr_workgroup_id_y 0
		.amdhsa_system_sgpr_workgroup_id_z 0
		.amdhsa_system_sgpr_workgroup_info 0
		.amdhsa_system_vgpr_workitem_id 0
		.amdhsa_next_free_vgpr 1
		.amdhsa_next_free_sgpr 0
		.amdhsa_accum_offset 4
		.amdhsa_reserve_vcc 0
		.amdhsa_float_round_mode_32 0
		.amdhsa_float_round_mode_16_64 0
		.amdhsa_float_denorm_mode_32 3
		.amdhsa_float_denorm_mode_16_64 3
		.amdhsa_dx10_clamp 1
		.amdhsa_ieee_mode 1
		.amdhsa_fp16_overflow 0
		.amdhsa_tg_split 0
		.amdhsa_exception_fp_ieee_invalid_op 0
		.amdhsa_exception_fp_denorm_src 0
		.amdhsa_exception_fp_ieee_div_zero 0
		.amdhsa_exception_fp_ieee_overflow 0
		.amdhsa_exception_fp_ieee_underflow 0
		.amdhsa_exception_fp_ieee_inexact 0
		.amdhsa_exception_int_div_zero 0
	.end_amdhsa_kernel
	.section	.text._ZN7rocprim17ROCPRIM_400000_NS6detail17trampoline_kernelINS0_14default_configENS1_25partition_config_selectorILNS1_17partition_subalgoE1EsNS0_10empty_typeEbEEZZNS1_14partition_implILS5_1ELb0ES3_jN6thrust23THRUST_200600_302600_NS6detail15normal_iteratorINSA_10device_ptrIsEEEEPS6_NSA_18transform_iteratorI7is_evenIsESF_NSA_11use_defaultESK_EENS0_5tupleIJNSA_16discard_iteratorISK_EESF_EEENSM_IJSG_SG_EEES6_PlJS6_EEE10hipError_tPvRmT3_T4_T5_T6_T7_T9_mT8_P12ihipStream_tbDpT10_ENKUlT_T0_E_clISt17integral_constantIbLb1EES1B_EEDaS16_S17_EUlS16_E_NS1_11comp_targetILNS1_3genE10ELNS1_11target_archE1200ELNS1_3gpuE4ELNS1_3repE0EEENS1_30default_config_static_selectorELNS0_4arch9wavefront6targetE1EEEvT1_,"axG",@progbits,_ZN7rocprim17ROCPRIM_400000_NS6detail17trampoline_kernelINS0_14default_configENS1_25partition_config_selectorILNS1_17partition_subalgoE1EsNS0_10empty_typeEbEEZZNS1_14partition_implILS5_1ELb0ES3_jN6thrust23THRUST_200600_302600_NS6detail15normal_iteratorINSA_10device_ptrIsEEEEPS6_NSA_18transform_iteratorI7is_evenIsESF_NSA_11use_defaultESK_EENS0_5tupleIJNSA_16discard_iteratorISK_EESF_EEENSM_IJSG_SG_EEES6_PlJS6_EEE10hipError_tPvRmT3_T4_T5_T6_T7_T9_mT8_P12ihipStream_tbDpT10_ENKUlT_T0_E_clISt17integral_constantIbLb1EES1B_EEDaS16_S17_EUlS16_E_NS1_11comp_targetILNS1_3genE10ELNS1_11target_archE1200ELNS1_3gpuE4ELNS1_3repE0EEENS1_30default_config_static_selectorELNS0_4arch9wavefront6targetE1EEEvT1_,comdat
.Lfunc_end3432:
	.size	_ZN7rocprim17ROCPRIM_400000_NS6detail17trampoline_kernelINS0_14default_configENS1_25partition_config_selectorILNS1_17partition_subalgoE1EsNS0_10empty_typeEbEEZZNS1_14partition_implILS5_1ELb0ES3_jN6thrust23THRUST_200600_302600_NS6detail15normal_iteratorINSA_10device_ptrIsEEEEPS6_NSA_18transform_iteratorI7is_evenIsESF_NSA_11use_defaultESK_EENS0_5tupleIJNSA_16discard_iteratorISK_EESF_EEENSM_IJSG_SG_EEES6_PlJS6_EEE10hipError_tPvRmT3_T4_T5_T6_T7_T9_mT8_P12ihipStream_tbDpT10_ENKUlT_T0_E_clISt17integral_constantIbLb1EES1B_EEDaS16_S17_EUlS16_E_NS1_11comp_targetILNS1_3genE10ELNS1_11target_archE1200ELNS1_3gpuE4ELNS1_3repE0EEENS1_30default_config_static_selectorELNS0_4arch9wavefront6targetE1EEEvT1_, .Lfunc_end3432-_ZN7rocprim17ROCPRIM_400000_NS6detail17trampoline_kernelINS0_14default_configENS1_25partition_config_selectorILNS1_17partition_subalgoE1EsNS0_10empty_typeEbEEZZNS1_14partition_implILS5_1ELb0ES3_jN6thrust23THRUST_200600_302600_NS6detail15normal_iteratorINSA_10device_ptrIsEEEEPS6_NSA_18transform_iteratorI7is_evenIsESF_NSA_11use_defaultESK_EENS0_5tupleIJNSA_16discard_iteratorISK_EESF_EEENSM_IJSG_SG_EEES6_PlJS6_EEE10hipError_tPvRmT3_T4_T5_T6_T7_T9_mT8_P12ihipStream_tbDpT10_ENKUlT_T0_E_clISt17integral_constantIbLb1EES1B_EEDaS16_S17_EUlS16_E_NS1_11comp_targetILNS1_3genE10ELNS1_11target_archE1200ELNS1_3gpuE4ELNS1_3repE0EEENS1_30default_config_static_selectorELNS0_4arch9wavefront6targetE1EEEvT1_
                                        ; -- End function
	.section	.AMDGPU.csdata,"",@progbits
; Kernel info:
; codeLenInByte = 0
; NumSgprs: 6
; NumVgprs: 0
; NumAgprs: 0
; TotalNumVgprs: 0
; ScratchSize: 0
; MemoryBound: 0
; FloatMode: 240
; IeeeMode: 1
; LDSByteSize: 0 bytes/workgroup (compile time only)
; SGPRBlocks: 0
; VGPRBlocks: 0
; NumSGPRsForWavesPerEU: 6
; NumVGPRsForWavesPerEU: 1
; AccumOffset: 4
; Occupancy: 8
; WaveLimiterHint : 0
; COMPUTE_PGM_RSRC2:SCRATCH_EN: 0
; COMPUTE_PGM_RSRC2:USER_SGPR: 2
; COMPUTE_PGM_RSRC2:TRAP_HANDLER: 0
; COMPUTE_PGM_RSRC2:TGID_X_EN: 1
; COMPUTE_PGM_RSRC2:TGID_Y_EN: 0
; COMPUTE_PGM_RSRC2:TGID_Z_EN: 0
; COMPUTE_PGM_RSRC2:TIDIG_COMP_CNT: 0
; COMPUTE_PGM_RSRC3_GFX90A:ACCUM_OFFSET: 0
; COMPUTE_PGM_RSRC3_GFX90A:TG_SPLIT: 0
	.section	.text._ZN7rocprim17ROCPRIM_400000_NS6detail17trampoline_kernelINS0_14default_configENS1_25partition_config_selectorILNS1_17partition_subalgoE1EsNS0_10empty_typeEbEEZZNS1_14partition_implILS5_1ELb0ES3_jN6thrust23THRUST_200600_302600_NS6detail15normal_iteratorINSA_10device_ptrIsEEEEPS6_NSA_18transform_iteratorI7is_evenIsESF_NSA_11use_defaultESK_EENS0_5tupleIJNSA_16discard_iteratorISK_EESF_EEENSM_IJSG_SG_EEES6_PlJS6_EEE10hipError_tPvRmT3_T4_T5_T6_T7_T9_mT8_P12ihipStream_tbDpT10_ENKUlT_T0_E_clISt17integral_constantIbLb1EES1B_EEDaS16_S17_EUlS16_E_NS1_11comp_targetILNS1_3genE9ELNS1_11target_archE1100ELNS1_3gpuE3ELNS1_3repE0EEENS1_30default_config_static_selectorELNS0_4arch9wavefront6targetE1EEEvT1_,"axG",@progbits,_ZN7rocprim17ROCPRIM_400000_NS6detail17trampoline_kernelINS0_14default_configENS1_25partition_config_selectorILNS1_17partition_subalgoE1EsNS0_10empty_typeEbEEZZNS1_14partition_implILS5_1ELb0ES3_jN6thrust23THRUST_200600_302600_NS6detail15normal_iteratorINSA_10device_ptrIsEEEEPS6_NSA_18transform_iteratorI7is_evenIsESF_NSA_11use_defaultESK_EENS0_5tupleIJNSA_16discard_iteratorISK_EESF_EEENSM_IJSG_SG_EEES6_PlJS6_EEE10hipError_tPvRmT3_T4_T5_T6_T7_T9_mT8_P12ihipStream_tbDpT10_ENKUlT_T0_E_clISt17integral_constantIbLb1EES1B_EEDaS16_S17_EUlS16_E_NS1_11comp_targetILNS1_3genE9ELNS1_11target_archE1100ELNS1_3gpuE3ELNS1_3repE0EEENS1_30default_config_static_selectorELNS0_4arch9wavefront6targetE1EEEvT1_,comdat
	.protected	_ZN7rocprim17ROCPRIM_400000_NS6detail17trampoline_kernelINS0_14default_configENS1_25partition_config_selectorILNS1_17partition_subalgoE1EsNS0_10empty_typeEbEEZZNS1_14partition_implILS5_1ELb0ES3_jN6thrust23THRUST_200600_302600_NS6detail15normal_iteratorINSA_10device_ptrIsEEEEPS6_NSA_18transform_iteratorI7is_evenIsESF_NSA_11use_defaultESK_EENS0_5tupleIJNSA_16discard_iteratorISK_EESF_EEENSM_IJSG_SG_EEES6_PlJS6_EEE10hipError_tPvRmT3_T4_T5_T6_T7_T9_mT8_P12ihipStream_tbDpT10_ENKUlT_T0_E_clISt17integral_constantIbLb1EES1B_EEDaS16_S17_EUlS16_E_NS1_11comp_targetILNS1_3genE9ELNS1_11target_archE1100ELNS1_3gpuE3ELNS1_3repE0EEENS1_30default_config_static_selectorELNS0_4arch9wavefront6targetE1EEEvT1_ ; -- Begin function _ZN7rocprim17ROCPRIM_400000_NS6detail17trampoline_kernelINS0_14default_configENS1_25partition_config_selectorILNS1_17partition_subalgoE1EsNS0_10empty_typeEbEEZZNS1_14partition_implILS5_1ELb0ES3_jN6thrust23THRUST_200600_302600_NS6detail15normal_iteratorINSA_10device_ptrIsEEEEPS6_NSA_18transform_iteratorI7is_evenIsESF_NSA_11use_defaultESK_EENS0_5tupleIJNSA_16discard_iteratorISK_EESF_EEENSM_IJSG_SG_EEES6_PlJS6_EEE10hipError_tPvRmT3_T4_T5_T6_T7_T9_mT8_P12ihipStream_tbDpT10_ENKUlT_T0_E_clISt17integral_constantIbLb1EES1B_EEDaS16_S17_EUlS16_E_NS1_11comp_targetILNS1_3genE9ELNS1_11target_archE1100ELNS1_3gpuE3ELNS1_3repE0EEENS1_30default_config_static_selectorELNS0_4arch9wavefront6targetE1EEEvT1_
	.globl	_ZN7rocprim17ROCPRIM_400000_NS6detail17trampoline_kernelINS0_14default_configENS1_25partition_config_selectorILNS1_17partition_subalgoE1EsNS0_10empty_typeEbEEZZNS1_14partition_implILS5_1ELb0ES3_jN6thrust23THRUST_200600_302600_NS6detail15normal_iteratorINSA_10device_ptrIsEEEEPS6_NSA_18transform_iteratorI7is_evenIsESF_NSA_11use_defaultESK_EENS0_5tupleIJNSA_16discard_iteratorISK_EESF_EEENSM_IJSG_SG_EEES6_PlJS6_EEE10hipError_tPvRmT3_T4_T5_T6_T7_T9_mT8_P12ihipStream_tbDpT10_ENKUlT_T0_E_clISt17integral_constantIbLb1EES1B_EEDaS16_S17_EUlS16_E_NS1_11comp_targetILNS1_3genE9ELNS1_11target_archE1100ELNS1_3gpuE3ELNS1_3repE0EEENS1_30default_config_static_selectorELNS0_4arch9wavefront6targetE1EEEvT1_
	.p2align	8
	.type	_ZN7rocprim17ROCPRIM_400000_NS6detail17trampoline_kernelINS0_14default_configENS1_25partition_config_selectorILNS1_17partition_subalgoE1EsNS0_10empty_typeEbEEZZNS1_14partition_implILS5_1ELb0ES3_jN6thrust23THRUST_200600_302600_NS6detail15normal_iteratorINSA_10device_ptrIsEEEEPS6_NSA_18transform_iteratorI7is_evenIsESF_NSA_11use_defaultESK_EENS0_5tupleIJNSA_16discard_iteratorISK_EESF_EEENSM_IJSG_SG_EEES6_PlJS6_EEE10hipError_tPvRmT3_T4_T5_T6_T7_T9_mT8_P12ihipStream_tbDpT10_ENKUlT_T0_E_clISt17integral_constantIbLb1EES1B_EEDaS16_S17_EUlS16_E_NS1_11comp_targetILNS1_3genE9ELNS1_11target_archE1100ELNS1_3gpuE3ELNS1_3repE0EEENS1_30default_config_static_selectorELNS0_4arch9wavefront6targetE1EEEvT1_,@function
_ZN7rocprim17ROCPRIM_400000_NS6detail17trampoline_kernelINS0_14default_configENS1_25partition_config_selectorILNS1_17partition_subalgoE1EsNS0_10empty_typeEbEEZZNS1_14partition_implILS5_1ELb0ES3_jN6thrust23THRUST_200600_302600_NS6detail15normal_iteratorINSA_10device_ptrIsEEEEPS6_NSA_18transform_iteratorI7is_evenIsESF_NSA_11use_defaultESK_EENS0_5tupleIJNSA_16discard_iteratorISK_EESF_EEENSM_IJSG_SG_EEES6_PlJS6_EEE10hipError_tPvRmT3_T4_T5_T6_T7_T9_mT8_P12ihipStream_tbDpT10_ENKUlT_T0_E_clISt17integral_constantIbLb1EES1B_EEDaS16_S17_EUlS16_E_NS1_11comp_targetILNS1_3genE9ELNS1_11target_archE1100ELNS1_3gpuE3ELNS1_3repE0EEENS1_30default_config_static_selectorELNS0_4arch9wavefront6targetE1EEEvT1_: ; @_ZN7rocprim17ROCPRIM_400000_NS6detail17trampoline_kernelINS0_14default_configENS1_25partition_config_selectorILNS1_17partition_subalgoE1EsNS0_10empty_typeEbEEZZNS1_14partition_implILS5_1ELb0ES3_jN6thrust23THRUST_200600_302600_NS6detail15normal_iteratorINSA_10device_ptrIsEEEEPS6_NSA_18transform_iteratorI7is_evenIsESF_NSA_11use_defaultESK_EENS0_5tupleIJNSA_16discard_iteratorISK_EESF_EEENSM_IJSG_SG_EEES6_PlJS6_EEE10hipError_tPvRmT3_T4_T5_T6_T7_T9_mT8_P12ihipStream_tbDpT10_ENKUlT_T0_E_clISt17integral_constantIbLb1EES1B_EEDaS16_S17_EUlS16_E_NS1_11comp_targetILNS1_3genE9ELNS1_11target_archE1100ELNS1_3gpuE3ELNS1_3repE0EEENS1_30default_config_static_selectorELNS0_4arch9wavefront6targetE1EEEvT1_
; %bb.0:
	.section	.rodata,"a",@progbits
	.p2align	6, 0x0
	.amdhsa_kernel _ZN7rocprim17ROCPRIM_400000_NS6detail17trampoline_kernelINS0_14default_configENS1_25partition_config_selectorILNS1_17partition_subalgoE1EsNS0_10empty_typeEbEEZZNS1_14partition_implILS5_1ELb0ES3_jN6thrust23THRUST_200600_302600_NS6detail15normal_iteratorINSA_10device_ptrIsEEEEPS6_NSA_18transform_iteratorI7is_evenIsESF_NSA_11use_defaultESK_EENS0_5tupleIJNSA_16discard_iteratorISK_EESF_EEENSM_IJSG_SG_EEES6_PlJS6_EEE10hipError_tPvRmT3_T4_T5_T6_T7_T9_mT8_P12ihipStream_tbDpT10_ENKUlT_T0_E_clISt17integral_constantIbLb1EES1B_EEDaS16_S17_EUlS16_E_NS1_11comp_targetILNS1_3genE9ELNS1_11target_archE1100ELNS1_3gpuE3ELNS1_3repE0EEENS1_30default_config_static_selectorELNS0_4arch9wavefront6targetE1EEEvT1_
		.amdhsa_group_segment_fixed_size 0
		.amdhsa_private_segment_fixed_size 0
		.amdhsa_kernarg_size 152
		.amdhsa_user_sgpr_count 2
		.amdhsa_user_sgpr_dispatch_ptr 0
		.amdhsa_user_sgpr_queue_ptr 0
		.amdhsa_user_sgpr_kernarg_segment_ptr 1
		.amdhsa_user_sgpr_dispatch_id 0
		.amdhsa_user_sgpr_kernarg_preload_length 0
		.amdhsa_user_sgpr_kernarg_preload_offset 0
		.amdhsa_user_sgpr_private_segment_size 0
		.amdhsa_uses_dynamic_stack 0
		.amdhsa_enable_private_segment 0
		.amdhsa_system_sgpr_workgroup_id_x 1
		.amdhsa_system_sgpr_workgroup_id_y 0
		.amdhsa_system_sgpr_workgroup_id_z 0
		.amdhsa_system_sgpr_workgroup_info 0
		.amdhsa_system_vgpr_workitem_id 0
		.amdhsa_next_free_vgpr 1
		.amdhsa_next_free_sgpr 0
		.amdhsa_accum_offset 4
		.amdhsa_reserve_vcc 0
		.amdhsa_float_round_mode_32 0
		.amdhsa_float_round_mode_16_64 0
		.amdhsa_float_denorm_mode_32 3
		.amdhsa_float_denorm_mode_16_64 3
		.amdhsa_dx10_clamp 1
		.amdhsa_ieee_mode 1
		.amdhsa_fp16_overflow 0
		.amdhsa_tg_split 0
		.amdhsa_exception_fp_ieee_invalid_op 0
		.amdhsa_exception_fp_denorm_src 0
		.amdhsa_exception_fp_ieee_div_zero 0
		.amdhsa_exception_fp_ieee_overflow 0
		.amdhsa_exception_fp_ieee_underflow 0
		.amdhsa_exception_fp_ieee_inexact 0
		.amdhsa_exception_int_div_zero 0
	.end_amdhsa_kernel
	.section	.text._ZN7rocprim17ROCPRIM_400000_NS6detail17trampoline_kernelINS0_14default_configENS1_25partition_config_selectorILNS1_17partition_subalgoE1EsNS0_10empty_typeEbEEZZNS1_14partition_implILS5_1ELb0ES3_jN6thrust23THRUST_200600_302600_NS6detail15normal_iteratorINSA_10device_ptrIsEEEEPS6_NSA_18transform_iteratorI7is_evenIsESF_NSA_11use_defaultESK_EENS0_5tupleIJNSA_16discard_iteratorISK_EESF_EEENSM_IJSG_SG_EEES6_PlJS6_EEE10hipError_tPvRmT3_T4_T5_T6_T7_T9_mT8_P12ihipStream_tbDpT10_ENKUlT_T0_E_clISt17integral_constantIbLb1EES1B_EEDaS16_S17_EUlS16_E_NS1_11comp_targetILNS1_3genE9ELNS1_11target_archE1100ELNS1_3gpuE3ELNS1_3repE0EEENS1_30default_config_static_selectorELNS0_4arch9wavefront6targetE1EEEvT1_,"axG",@progbits,_ZN7rocprim17ROCPRIM_400000_NS6detail17trampoline_kernelINS0_14default_configENS1_25partition_config_selectorILNS1_17partition_subalgoE1EsNS0_10empty_typeEbEEZZNS1_14partition_implILS5_1ELb0ES3_jN6thrust23THRUST_200600_302600_NS6detail15normal_iteratorINSA_10device_ptrIsEEEEPS6_NSA_18transform_iteratorI7is_evenIsESF_NSA_11use_defaultESK_EENS0_5tupleIJNSA_16discard_iteratorISK_EESF_EEENSM_IJSG_SG_EEES6_PlJS6_EEE10hipError_tPvRmT3_T4_T5_T6_T7_T9_mT8_P12ihipStream_tbDpT10_ENKUlT_T0_E_clISt17integral_constantIbLb1EES1B_EEDaS16_S17_EUlS16_E_NS1_11comp_targetILNS1_3genE9ELNS1_11target_archE1100ELNS1_3gpuE3ELNS1_3repE0EEENS1_30default_config_static_selectorELNS0_4arch9wavefront6targetE1EEEvT1_,comdat
.Lfunc_end3433:
	.size	_ZN7rocprim17ROCPRIM_400000_NS6detail17trampoline_kernelINS0_14default_configENS1_25partition_config_selectorILNS1_17partition_subalgoE1EsNS0_10empty_typeEbEEZZNS1_14partition_implILS5_1ELb0ES3_jN6thrust23THRUST_200600_302600_NS6detail15normal_iteratorINSA_10device_ptrIsEEEEPS6_NSA_18transform_iteratorI7is_evenIsESF_NSA_11use_defaultESK_EENS0_5tupleIJNSA_16discard_iteratorISK_EESF_EEENSM_IJSG_SG_EEES6_PlJS6_EEE10hipError_tPvRmT3_T4_T5_T6_T7_T9_mT8_P12ihipStream_tbDpT10_ENKUlT_T0_E_clISt17integral_constantIbLb1EES1B_EEDaS16_S17_EUlS16_E_NS1_11comp_targetILNS1_3genE9ELNS1_11target_archE1100ELNS1_3gpuE3ELNS1_3repE0EEENS1_30default_config_static_selectorELNS0_4arch9wavefront6targetE1EEEvT1_, .Lfunc_end3433-_ZN7rocprim17ROCPRIM_400000_NS6detail17trampoline_kernelINS0_14default_configENS1_25partition_config_selectorILNS1_17partition_subalgoE1EsNS0_10empty_typeEbEEZZNS1_14partition_implILS5_1ELb0ES3_jN6thrust23THRUST_200600_302600_NS6detail15normal_iteratorINSA_10device_ptrIsEEEEPS6_NSA_18transform_iteratorI7is_evenIsESF_NSA_11use_defaultESK_EENS0_5tupleIJNSA_16discard_iteratorISK_EESF_EEENSM_IJSG_SG_EEES6_PlJS6_EEE10hipError_tPvRmT3_T4_T5_T6_T7_T9_mT8_P12ihipStream_tbDpT10_ENKUlT_T0_E_clISt17integral_constantIbLb1EES1B_EEDaS16_S17_EUlS16_E_NS1_11comp_targetILNS1_3genE9ELNS1_11target_archE1100ELNS1_3gpuE3ELNS1_3repE0EEENS1_30default_config_static_selectorELNS0_4arch9wavefront6targetE1EEEvT1_
                                        ; -- End function
	.section	.AMDGPU.csdata,"",@progbits
; Kernel info:
; codeLenInByte = 0
; NumSgprs: 6
; NumVgprs: 0
; NumAgprs: 0
; TotalNumVgprs: 0
; ScratchSize: 0
; MemoryBound: 0
; FloatMode: 240
; IeeeMode: 1
; LDSByteSize: 0 bytes/workgroup (compile time only)
; SGPRBlocks: 0
; VGPRBlocks: 0
; NumSGPRsForWavesPerEU: 6
; NumVGPRsForWavesPerEU: 1
; AccumOffset: 4
; Occupancy: 8
; WaveLimiterHint : 0
; COMPUTE_PGM_RSRC2:SCRATCH_EN: 0
; COMPUTE_PGM_RSRC2:USER_SGPR: 2
; COMPUTE_PGM_RSRC2:TRAP_HANDLER: 0
; COMPUTE_PGM_RSRC2:TGID_X_EN: 1
; COMPUTE_PGM_RSRC2:TGID_Y_EN: 0
; COMPUTE_PGM_RSRC2:TGID_Z_EN: 0
; COMPUTE_PGM_RSRC2:TIDIG_COMP_CNT: 0
; COMPUTE_PGM_RSRC3_GFX90A:ACCUM_OFFSET: 0
; COMPUTE_PGM_RSRC3_GFX90A:TG_SPLIT: 0
	.section	.text._ZN7rocprim17ROCPRIM_400000_NS6detail17trampoline_kernelINS0_14default_configENS1_25partition_config_selectorILNS1_17partition_subalgoE1EsNS0_10empty_typeEbEEZZNS1_14partition_implILS5_1ELb0ES3_jN6thrust23THRUST_200600_302600_NS6detail15normal_iteratorINSA_10device_ptrIsEEEEPS6_NSA_18transform_iteratorI7is_evenIsESF_NSA_11use_defaultESK_EENS0_5tupleIJNSA_16discard_iteratorISK_EESF_EEENSM_IJSG_SG_EEES6_PlJS6_EEE10hipError_tPvRmT3_T4_T5_T6_T7_T9_mT8_P12ihipStream_tbDpT10_ENKUlT_T0_E_clISt17integral_constantIbLb1EES1B_EEDaS16_S17_EUlS16_E_NS1_11comp_targetILNS1_3genE8ELNS1_11target_archE1030ELNS1_3gpuE2ELNS1_3repE0EEENS1_30default_config_static_selectorELNS0_4arch9wavefront6targetE1EEEvT1_,"axG",@progbits,_ZN7rocprim17ROCPRIM_400000_NS6detail17trampoline_kernelINS0_14default_configENS1_25partition_config_selectorILNS1_17partition_subalgoE1EsNS0_10empty_typeEbEEZZNS1_14partition_implILS5_1ELb0ES3_jN6thrust23THRUST_200600_302600_NS6detail15normal_iteratorINSA_10device_ptrIsEEEEPS6_NSA_18transform_iteratorI7is_evenIsESF_NSA_11use_defaultESK_EENS0_5tupleIJNSA_16discard_iteratorISK_EESF_EEENSM_IJSG_SG_EEES6_PlJS6_EEE10hipError_tPvRmT3_T4_T5_T6_T7_T9_mT8_P12ihipStream_tbDpT10_ENKUlT_T0_E_clISt17integral_constantIbLb1EES1B_EEDaS16_S17_EUlS16_E_NS1_11comp_targetILNS1_3genE8ELNS1_11target_archE1030ELNS1_3gpuE2ELNS1_3repE0EEENS1_30default_config_static_selectorELNS0_4arch9wavefront6targetE1EEEvT1_,comdat
	.protected	_ZN7rocprim17ROCPRIM_400000_NS6detail17trampoline_kernelINS0_14default_configENS1_25partition_config_selectorILNS1_17partition_subalgoE1EsNS0_10empty_typeEbEEZZNS1_14partition_implILS5_1ELb0ES3_jN6thrust23THRUST_200600_302600_NS6detail15normal_iteratorINSA_10device_ptrIsEEEEPS6_NSA_18transform_iteratorI7is_evenIsESF_NSA_11use_defaultESK_EENS0_5tupleIJNSA_16discard_iteratorISK_EESF_EEENSM_IJSG_SG_EEES6_PlJS6_EEE10hipError_tPvRmT3_T4_T5_T6_T7_T9_mT8_P12ihipStream_tbDpT10_ENKUlT_T0_E_clISt17integral_constantIbLb1EES1B_EEDaS16_S17_EUlS16_E_NS1_11comp_targetILNS1_3genE8ELNS1_11target_archE1030ELNS1_3gpuE2ELNS1_3repE0EEENS1_30default_config_static_selectorELNS0_4arch9wavefront6targetE1EEEvT1_ ; -- Begin function _ZN7rocprim17ROCPRIM_400000_NS6detail17trampoline_kernelINS0_14default_configENS1_25partition_config_selectorILNS1_17partition_subalgoE1EsNS0_10empty_typeEbEEZZNS1_14partition_implILS5_1ELb0ES3_jN6thrust23THRUST_200600_302600_NS6detail15normal_iteratorINSA_10device_ptrIsEEEEPS6_NSA_18transform_iteratorI7is_evenIsESF_NSA_11use_defaultESK_EENS0_5tupleIJNSA_16discard_iteratorISK_EESF_EEENSM_IJSG_SG_EEES6_PlJS6_EEE10hipError_tPvRmT3_T4_T5_T6_T7_T9_mT8_P12ihipStream_tbDpT10_ENKUlT_T0_E_clISt17integral_constantIbLb1EES1B_EEDaS16_S17_EUlS16_E_NS1_11comp_targetILNS1_3genE8ELNS1_11target_archE1030ELNS1_3gpuE2ELNS1_3repE0EEENS1_30default_config_static_selectorELNS0_4arch9wavefront6targetE1EEEvT1_
	.globl	_ZN7rocprim17ROCPRIM_400000_NS6detail17trampoline_kernelINS0_14default_configENS1_25partition_config_selectorILNS1_17partition_subalgoE1EsNS0_10empty_typeEbEEZZNS1_14partition_implILS5_1ELb0ES3_jN6thrust23THRUST_200600_302600_NS6detail15normal_iteratorINSA_10device_ptrIsEEEEPS6_NSA_18transform_iteratorI7is_evenIsESF_NSA_11use_defaultESK_EENS0_5tupleIJNSA_16discard_iteratorISK_EESF_EEENSM_IJSG_SG_EEES6_PlJS6_EEE10hipError_tPvRmT3_T4_T5_T6_T7_T9_mT8_P12ihipStream_tbDpT10_ENKUlT_T0_E_clISt17integral_constantIbLb1EES1B_EEDaS16_S17_EUlS16_E_NS1_11comp_targetILNS1_3genE8ELNS1_11target_archE1030ELNS1_3gpuE2ELNS1_3repE0EEENS1_30default_config_static_selectorELNS0_4arch9wavefront6targetE1EEEvT1_
	.p2align	8
	.type	_ZN7rocprim17ROCPRIM_400000_NS6detail17trampoline_kernelINS0_14default_configENS1_25partition_config_selectorILNS1_17partition_subalgoE1EsNS0_10empty_typeEbEEZZNS1_14partition_implILS5_1ELb0ES3_jN6thrust23THRUST_200600_302600_NS6detail15normal_iteratorINSA_10device_ptrIsEEEEPS6_NSA_18transform_iteratorI7is_evenIsESF_NSA_11use_defaultESK_EENS0_5tupleIJNSA_16discard_iteratorISK_EESF_EEENSM_IJSG_SG_EEES6_PlJS6_EEE10hipError_tPvRmT3_T4_T5_T6_T7_T9_mT8_P12ihipStream_tbDpT10_ENKUlT_T0_E_clISt17integral_constantIbLb1EES1B_EEDaS16_S17_EUlS16_E_NS1_11comp_targetILNS1_3genE8ELNS1_11target_archE1030ELNS1_3gpuE2ELNS1_3repE0EEENS1_30default_config_static_selectorELNS0_4arch9wavefront6targetE1EEEvT1_,@function
_ZN7rocprim17ROCPRIM_400000_NS6detail17trampoline_kernelINS0_14default_configENS1_25partition_config_selectorILNS1_17partition_subalgoE1EsNS0_10empty_typeEbEEZZNS1_14partition_implILS5_1ELb0ES3_jN6thrust23THRUST_200600_302600_NS6detail15normal_iteratorINSA_10device_ptrIsEEEEPS6_NSA_18transform_iteratorI7is_evenIsESF_NSA_11use_defaultESK_EENS0_5tupleIJNSA_16discard_iteratorISK_EESF_EEENSM_IJSG_SG_EEES6_PlJS6_EEE10hipError_tPvRmT3_T4_T5_T6_T7_T9_mT8_P12ihipStream_tbDpT10_ENKUlT_T0_E_clISt17integral_constantIbLb1EES1B_EEDaS16_S17_EUlS16_E_NS1_11comp_targetILNS1_3genE8ELNS1_11target_archE1030ELNS1_3gpuE2ELNS1_3repE0EEENS1_30default_config_static_selectorELNS0_4arch9wavefront6targetE1EEEvT1_: ; @_ZN7rocprim17ROCPRIM_400000_NS6detail17trampoline_kernelINS0_14default_configENS1_25partition_config_selectorILNS1_17partition_subalgoE1EsNS0_10empty_typeEbEEZZNS1_14partition_implILS5_1ELb0ES3_jN6thrust23THRUST_200600_302600_NS6detail15normal_iteratorINSA_10device_ptrIsEEEEPS6_NSA_18transform_iteratorI7is_evenIsESF_NSA_11use_defaultESK_EENS0_5tupleIJNSA_16discard_iteratorISK_EESF_EEENSM_IJSG_SG_EEES6_PlJS6_EEE10hipError_tPvRmT3_T4_T5_T6_T7_T9_mT8_P12ihipStream_tbDpT10_ENKUlT_T0_E_clISt17integral_constantIbLb1EES1B_EEDaS16_S17_EUlS16_E_NS1_11comp_targetILNS1_3genE8ELNS1_11target_archE1030ELNS1_3gpuE2ELNS1_3repE0EEENS1_30default_config_static_selectorELNS0_4arch9wavefront6targetE1EEEvT1_
; %bb.0:
	.section	.rodata,"a",@progbits
	.p2align	6, 0x0
	.amdhsa_kernel _ZN7rocprim17ROCPRIM_400000_NS6detail17trampoline_kernelINS0_14default_configENS1_25partition_config_selectorILNS1_17partition_subalgoE1EsNS0_10empty_typeEbEEZZNS1_14partition_implILS5_1ELb0ES3_jN6thrust23THRUST_200600_302600_NS6detail15normal_iteratorINSA_10device_ptrIsEEEEPS6_NSA_18transform_iteratorI7is_evenIsESF_NSA_11use_defaultESK_EENS0_5tupleIJNSA_16discard_iteratorISK_EESF_EEENSM_IJSG_SG_EEES6_PlJS6_EEE10hipError_tPvRmT3_T4_T5_T6_T7_T9_mT8_P12ihipStream_tbDpT10_ENKUlT_T0_E_clISt17integral_constantIbLb1EES1B_EEDaS16_S17_EUlS16_E_NS1_11comp_targetILNS1_3genE8ELNS1_11target_archE1030ELNS1_3gpuE2ELNS1_3repE0EEENS1_30default_config_static_selectorELNS0_4arch9wavefront6targetE1EEEvT1_
		.amdhsa_group_segment_fixed_size 0
		.amdhsa_private_segment_fixed_size 0
		.amdhsa_kernarg_size 152
		.amdhsa_user_sgpr_count 2
		.amdhsa_user_sgpr_dispatch_ptr 0
		.amdhsa_user_sgpr_queue_ptr 0
		.amdhsa_user_sgpr_kernarg_segment_ptr 1
		.amdhsa_user_sgpr_dispatch_id 0
		.amdhsa_user_sgpr_kernarg_preload_length 0
		.amdhsa_user_sgpr_kernarg_preload_offset 0
		.amdhsa_user_sgpr_private_segment_size 0
		.amdhsa_uses_dynamic_stack 0
		.amdhsa_enable_private_segment 0
		.amdhsa_system_sgpr_workgroup_id_x 1
		.amdhsa_system_sgpr_workgroup_id_y 0
		.amdhsa_system_sgpr_workgroup_id_z 0
		.amdhsa_system_sgpr_workgroup_info 0
		.amdhsa_system_vgpr_workitem_id 0
		.amdhsa_next_free_vgpr 1
		.amdhsa_next_free_sgpr 0
		.amdhsa_accum_offset 4
		.amdhsa_reserve_vcc 0
		.amdhsa_float_round_mode_32 0
		.amdhsa_float_round_mode_16_64 0
		.amdhsa_float_denorm_mode_32 3
		.amdhsa_float_denorm_mode_16_64 3
		.amdhsa_dx10_clamp 1
		.amdhsa_ieee_mode 1
		.amdhsa_fp16_overflow 0
		.amdhsa_tg_split 0
		.amdhsa_exception_fp_ieee_invalid_op 0
		.amdhsa_exception_fp_denorm_src 0
		.amdhsa_exception_fp_ieee_div_zero 0
		.amdhsa_exception_fp_ieee_overflow 0
		.amdhsa_exception_fp_ieee_underflow 0
		.amdhsa_exception_fp_ieee_inexact 0
		.amdhsa_exception_int_div_zero 0
	.end_amdhsa_kernel
	.section	.text._ZN7rocprim17ROCPRIM_400000_NS6detail17trampoline_kernelINS0_14default_configENS1_25partition_config_selectorILNS1_17partition_subalgoE1EsNS0_10empty_typeEbEEZZNS1_14partition_implILS5_1ELb0ES3_jN6thrust23THRUST_200600_302600_NS6detail15normal_iteratorINSA_10device_ptrIsEEEEPS6_NSA_18transform_iteratorI7is_evenIsESF_NSA_11use_defaultESK_EENS0_5tupleIJNSA_16discard_iteratorISK_EESF_EEENSM_IJSG_SG_EEES6_PlJS6_EEE10hipError_tPvRmT3_T4_T5_T6_T7_T9_mT8_P12ihipStream_tbDpT10_ENKUlT_T0_E_clISt17integral_constantIbLb1EES1B_EEDaS16_S17_EUlS16_E_NS1_11comp_targetILNS1_3genE8ELNS1_11target_archE1030ELNS1_3gpuE2ELNS1_3repE0EEENS1_30default_config_static_selectorELNS0_4arch9wavefront6targetE1EEEvT1_,"axG",@progbits,_ZN7rocprim17ROCPRIM_400000_NS6detail17trampoline_kernelINS0_14default_configENS1_25partition_config_selectorILNS1_17partition_subalgoE1EsNS0_10empty_typeEbEEZZNS1_14partition_implILS5_1ELb0ES3_jN6thrust23THRUST_200600_302600_NS6detail15normal_iteratorINSA_10device_ptrIsEEEEPS6_NSA_18transform_iteratorI7is_evenIsESF_NSA_11use_defaultESK_EENS0_5tupleIJNSA_16discard_iteratorISK_EESF_EEENSM_IJSG_SG_EEES6_PlJS6_EEE10hipError_tPvRmT3_T4_T5_T6_T7_T9_mT8_P12ihipStream_tbDpT10_ENKUlT_T0_E_clISt17integral_constantIbLb1EES1B_EEDaS16_S17_EUlS16_E_NS1_11comp_targetILNS1_3genE8ELNS1_11target_archE1030ELNS1_3gpuE2ELNS1_3repE0EEENS1_30default_config_static_selectorELNS0_4arch9wavefront6targetE1EEEvT1_,comdat
.Lfunc_end3434:
	.size	_ZN7rocprim17ROCPRIM_400000_NS6detail17trampoline_kernelINS0_14default_configENS1_25partition_config_selectorILNS1_17partition_subalgoE1EsNS0_10empty_typeEbEEZZNS1_14partition_implILS5_1ELb0ES3_jN6thrust23THRUST_200600_302600_NS6detail15normal_iteratorINSA_10device_ptrIsEEEEPS6_NSA_18transform_iteratorI7is_evenIsESF_NSA_11use_defaultESK_EENS0_5tupleIJNSA_16discard_iteratorISK_EESF_EEENSM_IJSG_SG_EEES6_PlJS6_EEE10hipError_tPvRmT3_T4_T5_T6_T7_T9_mT8_P12ihipStream_tbDpT10_ENKUlT_T0_E_clISt17integral_constantIbLb1EES1B_EEDaS16_S17_EUlS16_E_NS1_11comp_targetILNS1_3genE8ELNS1_11target_archE1030ELNS1_3gpuE2ELNS1_3repE0EEENS1_30default_config_static_selectorELNS0_4arch9wavefront6targetE1EEEvT1_, .Lfunc_end3434-_ZN7rocprim17ROCPRIM_400000_NS6detail17trampoline_kernelINS0_14default_configENS1_25partition_config_selectorILNS1_17partition_subalgoE1EsNS0_10empty_typeEbEEZZNS1_14partition_implILS5_1ELb0ES3_jN6thrust23THRUST_200600_302600_NS6detail15normal_iteratorINSA_10device_ptrIsEEEEPS6_NSA_18transform_iteratorI7is_evenIsESF_NSA_11use_defaultESK_EENS0_5tupleIJNSA_16discard_iteratorISK_EESF_EEENSM_IJSG_SG_EEES6_PlJS6_EEE10hipError_tPvRmT3_T4_T5_T6_T7_T9_mT8_P12ihipStream_tbDpT10_ENKUlT_T0_E_clISt17integral_constantIbLb1EES1B_EEDaS16_S17_EUlS16_E_NS1_11comp_targetILNS1_3genE8ELNS1_11target_archE1030ELNS1_3gpuE2ELNS1_3repE0EEENS1_30default_config_static_selectorELNS0_4arch9wavefront6targetE1EEEvT1_
                                        ; -- End function
	.section	.AMDGPU.csdata,"",@progbits
; Kernel info:
; codeLenInByte = 0
; NumSgprs: 6
; NumVgprs: 0
; NumAgprs: 0
; TotalNumVgprs: 0
; ScratchSize: 0
; MemoryBound: 0
; FloatMode: 240
; IeeeMode: 1
; LDSByteSize: 0 bytes/workgroup (compile time only)
; SGPRBlocks: 0
; VGPRBlocks: 0
; NumSGPRsForWavesPerEU: 6
; NumVGPRsForWavesPerEU: 1
; AccumOffset: 4
; Occupancy: 8
; WaveLimiterHint : 0
; COMPUTE_PGM_RSRC2:SCRATCH_EN: 0
; COMPUTE_PGM_RSRC2:USER_SGPR: 2
; COMPUTE_PGM_RSRC2:TRAP_HANDLER: 0
; COMPUTE_PGM_RSRC2:TGID_X_EN: 1
; COMPUTE_PGM_RSRC2:TGID_Y_EN: 0
; COMPUTE_PGM_RSRC2:TGID_Z_EN: 0
; COMPUTE_PGM_RSRC2:TIDIG_COMP_CNT: 0
; COMPUTE_PGM_RSRC3_GFX90A:ACCUM_OFFSET: 0
; COMPUTE_PGM_RSRC3_GFX90A:TG_SPLIT: 0
	.section	.text._ZN7rocprim17ROCPRIM_400000_NS6detail17trampoline_kernelINS0_14default_configENS1_25partition_config_selectorILNS1_17partition_subalgoE1EsNS0_10empty_typeEbEEZZNS1_14partition_implILS5_1ELb0ES3_jN6thrust23THRUST_200600_302600_NS6detail15normal_iteratorINSA_10device_ptrIsEEEEPS6_NSA_18transform_iteratorI7is_evenIsESF_NSA_11use_defaultESK_EENS0_5tupleIJNSA_16discard_iteratorISK_EESF_EEENSM_IJSG_SG_EEES6_PlJS6_EEE10hipError_tPvRmT3_T4_T5_T6_T7_T9_mT8_P12ihipStream_tbDpT10_ENKUlT_T0_E_clISt17integral_constantIbLb1EES1A_IbLb0EEEEDaS16_S17_EUlS16_E_NS1_11comp_targetILNS1_3genE0ELNS1_11target_archE4294967295ELNS1_3gpuE0ELNS1_3repE0EEENS1_30default_config_static_selectorELNS0_4arch9wavefront6targetE1EEEvT1_,"axG",@progbits,_ZN7rocprim17ROCPRIM_400000_NS6detail17trampoline_kernelINS0_14default_configENS1_25partition_config_selectorILNS1_17partition_subalgoE1EsNS0_10empty_typeEbEEZZNS1_14partition_implILS5_1ELb0ES3_jN6thrust23THRUST_200600_302600_NS6detail15normal_iteratorINSA_10device_ptrIsEEEEPS6_NSA_18transform_iteratorI7is_evenIsESF_NSA_11use_defaultESK_EENS0_5tupleIJNSA_16discard_iteratorISK_EESF_EEENSM_IJSG_SG_EEES6_PlJS6_EEE10hipError_tPvRmT3_T4_T5_T6_T7_T9_mT8_P12ihipStream_tbDpT10_ENKUlT_T0_E_clISt17integral_constantIbLb1EES1A_IbLb0EEEEDaS16_S17_EUlS16_E_NS1_11comp_targetILNS1_3genE0ELNS1_11target_archE4294967295ELNS1_3gpuE0ELNS1_3repE0EEENS1_30default_config_static_selectorELNS0_4arch9wavefront6targetE1EEEvT1_,comdat
	.protected	_ZN7rocprim17ROCPRIM_400000_NS6detail17trampoline_kernelINS0_14default_configENS1_25partition_config_selectorILNS1_17partition_subalgoE1EsNS0_10empty_typeEbEEZZNS1_14partition_implILS5_1ELb0ES3_jN6thrust23THRUST_200600_302600_NS6detail15normal_iteratorINSA_10device_ptrIsEEEEPS6_NSA_18transform_iteratorI7is_evenIsESF_NSA_11use_defaultESK_EENS0_5tupleIJNSA_16discard_iteratorISK_EESF_EEENSM_IJSG_SG_EEES6_PlJS6_EEE10hipError_tPvRmT3_T4_T5_T6_T7_T9_mT8_P12ihipStream_tbDpT10_ENKUlT_T0_E_clISt17integral_constantIbLb1EES1A_IbLb0EEEEDaS16_S17_EUlS16_E_NS1_11comp_targetILNS1_3genE0ELNS1_11target_archE4294967295ELNS1_3gpuE0ELNS1_3repE0EEENS1_30default_config_static_selectorELNS0_4arch9wavefront6targetE1EEEvT1_ ; -- Begin function _ZN7rocprim17ROCPRIM_400000_NS6detail17trampoline_kernelINS0_14default_configENS1_25partition_config_selectorILNS1_17partition_subalgoE1EsNS0_10empty_typeEbEEZZNS1_14partition_implILS5_1ELb0ES3_jN6thrust23THRUST_200600_302600_NS6detail15normal_iteratorINSA_10device_ptrIsEEEEPS6_NSA_18transform_iteratorI7is_evenIsESF_NSA_11use_defaultESK_EENS0_5tupleIJNSA_16discard_iteratorISK_EESF_EEENSM_IJSG_SG_EEES6_PlJS6_EEE10hipError_tPvRmT3_T4_T5_T6_T7_T9_mT8_P12ihipStream_tbDpT10_ENKUlT_T0_E_clISt17integral_constantIbLb1EES1A_IbLb0EEEEDaS16_S17_EUlS16_E_NS1_11comp_targetILNS1_3genE0ELNS1_11target_archE4294967295ELNS1_3gpuE0ELNS1_3repE0EEENS1_30default_config_static_selectorELNS0_4arch9wavefront6targetE1EEEvT1_
	.globl	_ZN7rocprim17ROCPRIM_400000_NS6detail17trampoline_kernelINS0_14default_configENS1_25partition_config_selectorILNS1_17partition_subalgoE1EsNS0_10empty_typeEbEEZZNS1_14partition_implILS5_1ELb0ES3_jN6thrust23THRUST_200600_302600_NS6detail15normal_iteratorINSA_10device_ptrIsEEEEPS6_NSA_18transform_iteratorI7is_evenIsESF_NSA_11use_defaultESK_EENS0_5tupleIJNSA_16discard_iteratorISK_EESF_EEENSM_IJSG_SG_EEES6_PlJS6_EEE10hipError_tPvRmT3_T4_T5_T6_T7_T9_mT8_P12ihipStream_tbDpT10_ENKUlT_T0_E_clISt17integral_constantIbLb1EES1A_IbLb0EEEEDaS16_S17_EUlS16_E_NS1_11comp_targetILNS1_3genE0ELNS1_11target_archE4294967295ELNS1_3gpuE0ELNS1_3repE0EEENS1_30default_config_static_selectorELNS0_4arch9wavefront6targetE1EEEvT1_
	.p2align	8
	.type	_ZN7rocprim17ROCPRIM_400000_NS6detail17trampoline_kernelINS0_14default_configENS1_25partition_config_selectorILNS1_17partition_subalgoE1EsNS0_10empty_typeEbEEZZNS1_14partition_implILS5_1ELb0ES3_jN6thrust23THRUST_200600_302600_NS6detail15normal_iteratorINSA_10device_ptrIsEEEEPS6_NSA_18transform_iteratorI7is_evenIsESF_NSA_11use_defaultESK_EENS0_5tupleIJNSA_16discard_iteratorISK_EESF_EEENSM_IJSG_SG_EEES6_PlJS6_EEE10hipError_tPvRmT3_T4_T5_T6_T7_T9_mT8_P12ihipStream_tbDpT10_ENKUlT_T0_E_clISt17integral_constantIbLb1EES1A_IbLb0EEEEDaS16_S17_EUlS16_E_NS1_11comp_targetILNS1_3genE0ELNS1_11target_archE4294967295ELNS1_3gpuE0ELNS1_3repE0EEENS1_30default_config_static_selectorELNS0_4arch9wavefront6targetE1EEEvT1_,@function
_ZN7rocprim17ROCPRIM_400000_NS6detail17trampoline_kernelINS0_14default_configENS1_25partition_config_selectorILNS1_17partition_subalgoE1EsNS0_10empty_typeEbEEZZNS1_14partition_implILS5_1ELb0ES3_jN6thrust23THRUST_200600_302600_NS6detail15normal_iteratorINSA_10device_ptrIsEEEEPS6_NSA_18transform_iteratorI7is_evenIsESF_NSA_11use_defaultESK_EENS0_5tupleIJNSA_16discard_iteratorISK_EESF_EEENSM_IJSG_SG_EEES6_PlJS6_EEE10hipError_tPvRmT3_T4_T5_T6_T7_T9_mT8_P12ihipStream_tbDpT10_ENKUlT_T0_E_clISt17integral_constantIbLb1EES1A_IbLb0EEEEDaS16_S17_EUlS16_E_NS1_11comp_targetILNS1_3genE0ELNS1_11target_archE4294967295ELNS1_3gpuE0ELNS1_3repE0EEENS1_30default_config_static_selectorELNS0_4arch9wavefront6targetE1EEEvT1_: ; @_ZN7rocprim17ROCPRIM_400000_NS6detail17trampoline_kernelINS0_14default_configENS1_25partition_config_selectorILNS1_17partition_subalgoE1EsNS0_10empty_typeEbEEZZNS1_14partition_implILS5_1ELb0ES3_jN6thrust23THRUST_200600_302600_NS6detail15normal_iteratorINSA_10device_ptrIsEEEEPS6_NSA_18transform_iteratorI7is_evenIsESF_NSA_11use_defaultESK_EENS0_5tupleIJNSA_16discard_iteratorISK_EESF_EEENSM_IJSG_SG_EEES6_PlJS6_EEE10hipError_tPvRmT3_T4_T5_T6_T7_T9_mT8_P12ihipStream_tbDpT10_ENKUlT_T0_E_clISt17integral_constantIbLb1EES1A_IbLb0EEEEDaS16_S17_EUlS16_E_NS1_11comp_targetILNS1_3genE0ELNS1_11target_archE4294967295ELNS1_3gpuE0ELNS1_3repE0EEENS1_30default_config_static_selectorELNS0_4arch9wavefront6targetE1EEEvT1_
; %bb.0:
	.section	.rodata,"a",@progbits
	.p2align	6, 0x0
	.amdhsa_kernel _ZN7rocprim17ROCPRIM_400000_NS6detail17trampoline_kernelINS0_14default_configENS1_25partition_config_selectorILNS1_17partition_subalgoE1EsNS0_10empty_typeEbEEZZNS1_14partition_implILS5_1ELb0ES3_jN6thrust23THRUST_200600_302600_NS6detail15normal_iteratorINSA_10device_ptrIsEEEEPS6_NSA_18transform_iteratorI7is_evenIsESF_NSA_11use_defaultESK_EENS0_5tupleIJNSA_16discard_iteratorISK_EESF_EEENSM_IJSG_SG_EEES6_PlJS6_EEE10hipError_tPvRmT3_T4_T5_T6_T7_T9_mT8_P12ihipStream_tbDpT10_ENKUlT_T0_E_clISt17integral_constantIbLb1EES1A_IbLb0EEEEDaS16_S17_EUlS16_E_NS1_11comp_targetILNS1_3genE0ELNS1_11target_archE4294967295ELNS1_3gpuE0ELNS1_3repE0EEENS1_30default_config_static_selectorELNS0_4arch9wavefront6targetE1EEEvT1_
		.amdhsa_group_segment_fixed_size 0
		.amdhsa_private_segment_fixed_size 0
		.amdhsa_kernarg_size 136
		.amdhsa_user_sgpr_count 2
		.amdhsa_user_sgpr_dispatch_ptr 0
		.amdhsa_user_sgpr_queue_ptr 0
		.amdhsa_user_sgpr_kernarg_segment_ptr 1
		.amdhsa_user_sgpr_dispatch_id 0
		.amdhsa_user_sgpr_kernarg_preload_length 0
		.amdhsa_user_sgpr_kernarg_preload_offset 0
		.amdhsa_user_sgpr_private_segment_size 0
		.amdhsa_uses_dynamic_stack 0
		.amdhsa_enable_private_segment 0
		.amdhsa_system_sgpr_workgroup_id_x 1
		.amdhsa_system_sgpr_workgroup_id_y 0
		.amdhsa_system_sgpr_workgroup_id_z 0
		.amdhsa_system_sgpr_workgroup_info 0
		.amdhsa_system_vgpr_workitem_id 0
		.amdhsa_next_free_vgpr 1
		.amdhsa_next_free_sgpr 0
		.amdhsa_accum_offset 4
		.amdhsa_reserve_vcc 0
		.amdhsa_float_round_mode_32 0
		.amdhsa_float_round_mode_16_64 0
		.amdhsa_float_denorm_mode_32 3
		.amdhsa_float_denorm_mode_16_64 3
		.amdhsa_dx10_clamp 1
		.amdhsa_ieee_mode 1
		.amdhsa_fp16_overflow 0
		.amdhsa_tg_split 0
		.amdhsa_exception_fp_ieee_invalid_op 0
		.amdhsa_exception_fp_denorm_src 0
		.amdhsa_exception_fp_ieee_div_zero 0
		.amdhsa_exception_fp_ieee_overflow 0
		.amdhsa_exception_fp_ieee_underflow 0
		.amdhsa_exception_fp_ieee_inexact 0
		.amdhsa_exception_int_div_zero 0
	.end_amdhsa_kernel
	.section	.text._ZN7rocprim17ROCPRIM_400000_NS6detail17trampoline_kernelINS0_14default_configENS1_25partition_config_selectorILNS1_17partition_subalgoE1EsNS0_10empty_typeEbEEZZNS1_14partition_implILS5_1ELb0ES3_jN6thrust23THRUST_200600_302600_NS6detail15normal_iteratorINSA_10device_ptrIsEEEEPS6_NSA_18transform_iteratorI7is_evenIsESF_NSA_11use_defaultESK_EENS0_5tupleIJNSA_16discard_iteratorISK_EESF_EEENSM_IJSG_SG_EEES6_PlJS6_EEE10hipError_tPvRmT3_T4_T5_T6_T7_T9_mT8_P12ihipStream_tbDpT10_ENKUlT_T0_E_clISt17integral_constantIbLb1EES1A_IbLb0EEEEDaS16_S17_EUlS16_E_NS1_11comp_targetILNS1_3genE0ELNS1_11target_archE4294967295ELNS1_3gpuE0ELNS1_3repE0EEENS1_30default_config_static_selectorELNS0_4arch9wavefront6targetE1EEEvT1_,"axG",@progbits,_ZN7rocprim17ROCPRIM_400000_NS6detail17trampoline_kernelINS0_14default_configENS1_25partition_config_selectorILNS1_17partition_subalgoE1EsNS0_10empty_typeEbEEZZNS1_14partition_implILS5_1ELb0ES3_jN6thrust23THRUST_200600_302600_NS6detail15normal_iteratorINSA_10device_ptrIsEEEEPS6_NSA_18transform_iteratorI7is_evenIsESF_NSA_11use_defaultESK_EENS0_5tupleIJNSA_16discard_iteratorISK_EESF_EEENSM_IJSG_SG_EEES6_PlJS6_EEE10hipError_tPvRmT3_T4_T5_T6_T7_T9_mT8_P12ihipStream_tbDpT10_ENKUlT_T0_E_clISt17integral_constantIbLb1EES1A_IbLb0EEEEDaS16_S17_EUlS16_E_NS1_11comp_targetILNS1_3genE0ELNS1_11target_archE4294967295ELNS1_3gpuE0ELNS1_3repE0EEENS1_30default_config_static_selectorELNS0_4arch9wavefront6targetE1EEEvT1_,comdat
.Lfunc_end3435:
	.size	_ZN7rocprim17ROCPRIM_400000_NS6detail17trampoline_kernelINS0_14default_configENS1_25partition_config_selectorILNS1_17partition_subalgoE1EsNS0_10empty_typeEbEEZZNS1_14partition_implILS5_1ELb0ES3_jN6thrust23THRUST_200600_302600_NS6detail15normal_iteratorINSA_10device_ptrIsEEEEPS6_NSA_18transform_iteratorI7is_evenIsESF_NSA_11use_defaultESK_EENS0_5tupleIJNSA_16discard_iteratorISK_EESF_EEENSM_IJSG_SG_EEES6_PlJS6_EEE10hipError_tPvRmT3_T4_T5_T6_T7_T9_mT8_P12ihipStream_tbDpT10_ENKUlT_T0_E_clISt17integral_constantIbLb1EES1A_IbLb0EEEEDaS16_S17_EUlS16_E_NS1_11comp_targetILNS1_3genE0ELNS1_11target_archE4294967295ELNS1_3gpuE0ELNS1_3repE0EEENS1_30default_config_static_selectorELNS0_4arch9wavefront6targetE1EEEvT1_, .Lfunc_end3435-_ZN7rocprim17ROCPRIM_400000_NS6detail17trampoline_kernelINS0_14default_configENS1_25partition_config_selectorILNS1_17partition_subalgoE1EsNS0_10empty_typeEbEEZZNS1_14partition_implILS5_1ELb0ES3_jN6thrust23THRUST_200600_302600_NS6detail15normal_iteratorINSA_10device_ptrIsEEEEPS6_NSA_18transform_iteratorI7is_evenIsESF_NSA_11use_defaultESK_EENS0_5tupleIJNSA_16discard_iteratorISK_EESF_EEENSM_IJSG_SG_EEES6_PlJS6_EEE10hipError_tPvRmT3_T4_T5_T6_T7_T9_mT8_P12ihipStream_tbDpT10_ENKUlT_T0_E_clISt17integral_constantIbLb1EES1A_IbLb0EEEEDaS16_S17_EUlS16_E_NS1_11comp_targetILNS1_3genE0ELNS1_11target_archE4294967295ELNS1_3gpuE0ELNS1_3repE0EEENS1_30default_config_static_selectorELNS0_4arch9wavefront6targetE1EEEvT1_
                                        ; -- End function
	.section	.AMDGPU.csdata,"",@progbits
; Kernel info:
; codeLenInByte = 0
; NumSgprs: 6
; NumVgprs: 0
; NumAgprs: 0
; TotalNumVgprs: 0
; ScratchSize: 0
; MemoryBound: 0
; FloatMode: 240
; IeeeMode: 1
; LDSByteSize: 0 bytes/workgroup (compile time only)
; SGPRBlocks: 0
; VGPRBlocks: 0
; NumSGPRsForWavesPerEU: 6
; NumVGPRsForWavesPerEU: 1
; AccumOffset: 4
; Occupancy: 8
; WaveLimiterHint : 0
; COMPUTE_PGM_RSRC2:SCRATCH_EN: 0
; COMPUTE_PGM_RSRC2:USER_SGPR: 2
; COMPUTE_PGM_RSRC2:TRAP_HANDLER: 0
; COMPUTE_PGM_RSRC2:TGID_X_EN: 1
; COMPUTE_PGM_RSRC2:TGID_Y_EN: 0
; COMPUTE_PGM_RSRC2:TGID_Z_EN: 0
; COMPUTE_PGM_RSRC2:TIDIG_COMP_CNT: 0
; COMPUTE_PGM_RSRC3_GFX90A:ACCUM_OFFSET: 0
; COMPUTE_PGM_RSRC3_GFX90A:TG_SPLIT: 0
	.section	.text._ZN7rocprim17ROCPRIM_400000_NS6detail17trampoline_kernelINS0_14default_configENS1_25partition_config_selectorILNS1_17partition_subalgoE1EsNS0_10empty_typeEbEEZZNS1_14partition_implILS5_1ELb0ES3_jN6thrust23THRUST_200600_302600_NS6detail15normal_iteratorINSA_10device_ptrIsEEEEPS6_NSA_18transform_iteratorI7is_evenIsESF_NSA_11use_defaultESK_EENS0_5tupleIJNSA_16discard_iteratorISK_EESF_EEENSM_IJSG_SG_EEES6_PlJS6_EEE10hipError_tPvRmT3_T4_T5_T6_T7_T9_mT8_P12ihipStream_tbDpT10_ENKUlT_T0_E_clISt17integral_constantIbLb1EES1A_IbLb0EEEEDaS16_S17_EUlS16_E_NS1_11comp_targetILNS1_3genE5ELNS1_11target_archE942ELNS1_3gpuE9ELNS1_3repE0EEENS1_30default_config_static_selectorELNS0_4arch9wavefront6targetE1EEEvT1_,"axG",@progbits,_ZN7rocprim17ROCPRIM_400000_NS6detail17trampoline_kernelINS0_14default_configENS1_25partition_config_selectorILNS1_17partition_subalgoE1EsNS0_10empty_typeEbEEZZNS1_14partition_implILS5_1ELb0ES3_jN6thrust23THRUST_200600_302600_NS6detail15normal_iteratorINSA_10device_ptrIsEEEEPS6_NSA_18transform_iteratorI7is_evenIsESF_NSA_11use_defaultESK_EENS0_5tupleIJNSA_16discard_iteratorISK_EESF_EEENSM_IJSG_SG_EEES6_PlJS6_EEE10hipError_tPvRmT3_T4_T5_T6_T7_T9_mT8_P12ihipStream_tbDpT10_ENKUlT_T0_E_clISt17integral_constantIbLb1EES1A_IbLb0EEEEDaS16_S17_EUlS16_E_NS1_11comp_targetILNS1_3genE5ELNS1_11target_archE942ELNS1_3gpuE9ELNS1_3repE0EEENS1_30default_config_static_selectorELNS0_4arch9wavefront6targetE1EEEvT1_,comdat
	.protected	_ZN7rocprim17ROCPRIM_400000_NS6detail17trampoline_kernelINS0_14default_configENS1_25partition_config_selectorILNS1_17partition_subalgoE1EsNS0_10empty_typeEbEEZZNS1_14partition_implILS5_1ELb0ES3_jN6thrust23THRUST_200600_302600_NS6detail15normal_iteratorINSA_10device_ptrIsEEEEPS6_NSA_18transform_iteratorI7is_evenIsESF_NSA_11use_defaultESK_EENS0_5tupleIJNSA_16discard_iteratorISK_EESF_EEENSM_IJSG_SG_EEES6_PlJS6_EEE10hipError_tPvRmT3_T4_T5_T6_T7_T9_mT8_P12ihipStream_tbDpT10_ENKUlT_T0_E_clISt17integral_constantIbLb1EES1A_IbLb0EEEEDaS16_S17_EUlS16_E_NS1_11comp_targetILNS1_3genE5ELNS1_11target_archE942ELNS1_3gpuE9ELNS1_3repE0EEENS1_30default_config_static_selectorELNS0_4arch9wavefront6targetE1EEEvT1_ ; -- Begin function _ZN7rocprim17ROCPRIM_400000_NS6detail17trampoline_kernelINS0_14default_configENS1_25partition_config_selectorILNS1_17partition_subalgoE1EsNS0_10empty_typeEbEEZZNS1_14partition_implILS5_1ELb0ES3_jN6thrust23THRUST_200600_302600_NS6detail15normal_iteratorINSA_10device_ptrIsEEEEPS6_NSA_18transform_iteratorI7is_evenIsESF_NSA_11use_defaultESK_EENS0_5tupleIJNSA_16discard_iteratorISK_EESF_EEENSM_IJSG_SG_EEES6_PlJS6_EEE10hipError_tPvRmT3_T4_T5_T6_T7_T9_mT8_P12ihipStream_tbDpT10_ENKUlT_T0_E_clISt17integral_constantIbLb1EES1A_IbLb0EEEEDaS16_S17_EUlS16_E_NS1_11comp_targetILNS1_3genE5ELNS1_11target_archE942ELNS1_3gpuE9ELNS1_3repE0EEENS1_30default_config_static_selectorELNS0_4arch9wavefront6targetE1EEEvT1_
	.globl	_ZN7rocprim17ROCPRIM_400000_NS6detail17trampoline_kernelINS0_14default_configENS1_25partition_config_selectorILNS1_17partition_subalgoE1EsNS0_10empty_typeEbEEZZNS1_14partition_implILS5_1ELb0ES3_jN6thrust23THRUST_200600_302600_NS6detail15normal_iteratorINSA_10device_ptrIsEEEEPS6_NSA_18transform_iteratorI7is_evenIsESF_NSA_11use_defaultESK_EENS0_5tupleIJNSA_16discard_iteratorISK_EESF_EEENSM_IJSG_SG_EEES6_PlJS6_EEE10hipError_tPvRmT3_T4_T5_T6_T7_T9_mT8_P12ihipStream_tbDpT10_ENKUlT_T0_E_clISt17integral_constantIbLb1EES1A_IbLb0EEEEDaS16_S17_EUlS16_E_NS1_11comp_targetILNS1_3genE5ELNS1_11target_archE942ELNS1_3gpuE9ELNS1_3repE0EEENS1_30default_config_static_selectorELNS0_4arch9wavefront6targetE1EEEvT1_
	.p2align	8
	.type	_ZN7rocprim17ROCPRIM_400000_NS6detail17trampoline_kernelINS0_14default_configENS1_25partition_config_selectorILNS1_17partition_subalgoE1EsNS0_10empty_typeEbEEZZNS1_14partition_implILS5_1ELb0ES3_jN6thrust23THRUST_200600_302600_NS6detail15normal_iteratorINSA_10device_ptrIsEEEEPS6_NSA_18transform_iteratorI7is_evenIsESF_NSA_11use_defaultESK_EENS0_5tupleIJNSA_16discard_iteratorISK_EESF_EEENSM_IJSG_SG_EEES6_PlJS6_EEE10hipError_tPvRmT3_T4_T5_T6_T7_T9_mT8_P12ihipStream_tbDpT10_ENKUlT_T0_E_clISt17integral_constantIbLb1EES1A_IbLb0EEEEDaS16_S17_EUlS16_E_NS1_11comp_targetILNS1_3genE5ELNS1_11target_archE942ELNS1_3gpuE9ELNS1_3repE0EEENS1_30default_config_static_selectorELNS0_4arch9wavefront6targetE1EEEvT1_,@function
_ZN7rocprim17ROCPRIM_400000_NS6detail17trampoline_kernelINS0_14default_configENS1_25partition_config_selectorILNS1_17partition_subalgoE1EsNS0_10empty_typeEbEEZZNS1_14partition_implILS5_1ELb0ES3_jN6thrust23THRUST_200600_302600_NS6detail15normal_iteratorINSA_10device_ptrIsEEEEPS6_NSA_18transform_iteratorI7is_evenIsESF_NSA_11use_defaultESK_EENS0_5tupleIJNSA_16discard_iteratorISK_EESF_EEENSM_IJSG_SG_EEES6_PlJS6_EEE10hipError_tPvRmT3_T4_T5_T6_T7_T9_mT8_P12ihipStream_tbDpT10_ENKUlT_T0_E_clISt17integral_constantIbLb1EES1A_IbLb0EEEEDaS16_S17_EUlS16_E_NS1_11comp_targetILNS1_3genE5ELNS1_11target_archE942ELNS1_3gpuE9ELNS1_3repE0EEENS1_30default_config_static_selectorELNS0_4arch9wavefront6targetE1EEEvT1_: ; @_ZN7rocprim17ROCPRIM_400000_NS6detail17trampoline_kernelINS0_14default_configENS1_25partition_config_selectorILNS1_17partition_subalgoE1EsNS0_10empty_typeEbEEZZNS1_14partition_implILS5_1ELb0ES3_jN6thrust23THRUST_200600_302600_NS6detail15normal_iteratorINSA_10device_ptrIsEEEEPS6_NSA_18transform_iteratorI7is_evenIsESF_NSA_11use_defaultESK_EENS0_5tupleIJNSA_16discard_iteratorISK_EESF_EEENSM_IJSG_SG_EEES6_PlJS6_EEE10hipError_tPvRmT3_T4_T5_T6_T7_T9_mT8_P12ihipStream_tbDpT10_ENKUlT_T0_E_clISt17integral_constantIbLb1EES1A_IbLb0EEEEDaS16_S17_EUlS16_E_NS1_11comp_targetILNS1_3genE5ELNS1_11target_archE942ELNS1_3gpuE9ELNS1_3repE0EEENS1_30default_config_static_selectorELNS0_4arch9wavefront6targetE1EEEvT1_
; %bb.0:
	s_load_dwordx2 s[4:5], s[0:1], 0x68
	s_load_dwordx4 s[24:27], s[0:1], 0x8
	s_load_dwordx2 s[6:7], s[0:1], 0x20
	s_load_dwordx4 s[20:23], s[0:1], 0x58
	s_load_dword s3, s[0:1], 0x80
	s_waitcnt lgkmcnt(0)
	v_mov_b32_e32 v3, s5
	s_lshl_b64 s[8:9], s[26:27], 1
	s_add_u32 s12, s24, s8
	s_addc_u32 s13, s25, s9
	s_add_i32 s14, s3, -1
	s_mulk_i32 s3, 0x3800
	s_add_i32 s5, s3, s26
	s_sub_i32 s33, s4, s5
	s_addk_i32 s33, 0x3800
	v_mov_b32_e32 v2, s4
	s_add_u32 s4, s26, s3
	s_addc_u32 s5, s27, 0
	s_cmp_eq_u32 s2, s14
	s_load_dwordx2 s[24:25], s[22:23], 0x0
	s_cselect_b64 s[22:23], -1, 0
	s_cmp_lg_u32 s2, s14
	s_mul_i32 s10, s2, 0x3800
	s_mov_b32 s11, 0
	v_cmp_lt_u64_e32 vcc, s[4:5], v[2:3]
	s_cselect_b64 s[4:5], -1, 0
	s_or_b64 s[28:29], s[4:5], vcc
	s_lshl_b64 s[30:31], s[10:11], 1
	s_add_u32 s10, s12, s30
	s_addc_u32 s11, s13, s31
	s_mov_b64 s[4:5], -1
	s_and_b64 vcc, exec, s[28:29]
	v_lshlrev_b32_e32 v14, 1, v0
	s_cbranch_vccz .LBB3436_2
; %bb.1:
	v_mov_b32_e32 v15, 0
	v_lshl_add_u64 v[2:3], s[10:11], 0, v[14:15]
	v_add_co_u32_e32 v4, vcc, 0x1000, v2
	s_mov_b64 s[4:5], 0
	s_nop 0
	v_addc_co_u32_e32 v5, vcc, 0, v3, vcc
	flat_load_ushort v1, v[2:3]
	flat_load_ushort v8, v[2:3] offset:1024
	flat_load_ushort v9, v[2:3] offset:2048
	;; [unrolled: 1-line block ×3, first 2 shown]
	flat_load_ushort v11, v[4:5]
	flat_load_ushort v12, v[4:5] offset:1024
	flat_load_ushort v13, v[4:5] offset:2048
	flat_load_ushort v15, v[4:5] offset:3072
	v_add_co_u32_e32 v4, vcc, 0x2000, v2
	s_nop 1
	v_addc_co_u32_e32 v5, vcc, 0, v3, vcc
	v_add_co_u32_e32 v6, vcc, 0x3000, v2
	s_nop 1
	v_addc_co_u32_e32 v7, vcc, 0, v3, vcc
	flat_load_ushort v16, v[4:5]
	flat_load_ushort v17, v[4:5] offset:1024
	flat_load_ushort v18, v[4:5] offset:2048
	;; [unrolled: 1-line block ×3, first 2 shown]
	flat_load_ushort v20, v[6:7]
	flat_load_ushort v21, v[6:7] offset:1024
	flat_load_ushort v22, v[6:7] offset:2048
	;; [unrolled: 1-line block ×3, first 2 shown]
	v_add_co_u32_e32 v4, vcc, 0x4000, v2
	s_nop 1
	v_addc_co_u32_e32 v5, vcc, 0, v3, vcc
	v_add_co_u32_e32 v6, vcc, 0x5000, v2
	s_nop 1
	v_addc_co_u32_e32 v7, vcc, 0, v3, vcc
	v_add_co_u32_e32 v2, vcc, 0x6000, v2
	flat_load_ushort v24, v[4:5]
	flat_load_ushort v25, v[4:5] offset:1024
	flat_load_ushort v26, v[4:5] offset:2048
	;; [unrolled: 1-line block ×3, first 2 shown]
	flat_load_ushort v28, v[6:7]
	flat_load_ushort v29, v[6:7] offset:1024
	flat_load_ushort v30, v[6:7] offset:2048
	;; [unrolled: 1-line block ×3, first 2 shown]
	v_addc_co_u32_e32 v3, vcc, 0, v3, vcc
	flat_load_ushort v4, v[2:3]
	flat_load_ushort v5, v[2:3] offset:1024
	flat_load_ushort v6, v[2:3] offset:2048
	flat_load_ushort v7, v[2:3] offset:3072
	s_waitcnt vmcnt(0) lgkmcnt(0)
	ds_write_b16 v14, v1
	ds_write_b16 v14, v8 offset:1024
	ds_write_b16 v14, v9 offset:2048
	;; [unrolled: 1-line block ×27, first 2 shown]
	s_waitcnt lgkmcnt(0)
	s_barrier
.LBB3436_2:
	s_andn2_b64 vcc, exec, s[4:5]
	v_cmp_gt_u32_e64 s[4:5], s33, v0
	s_cbranch_vccnz .LBB3436_60
; %bb.3:
                                        ; implicit-def: $vgpr1
	s_and_saveexec_b64 s[12:13], s[4:5]
	s_cbranch_execz .LBB3436_5
; %bb.4:
	v_mov_b32_e32 v15, 0
	v_lshl_add_u64 v[2:3], s[10:11], 0, v[14:15]
	flat_load_ushort v1, v[2:3]
.LBB3436_5:
	s_or_b64 exec, exec, s[12:13]
	v_or_b32_e32 v2, 0x200, v0
	v_cmp_gt_u32_e32 vcc, s33, v2
                                        ; implicit-def: $vgpr2
	s_and_saveexec_b64 s[4:5], vcc
	s_cbranch_execz .LBB3436_7
; %bb.6:
	v_mov_b32_e32 v15, 0
	v_lshl_add_u64 v[2:3], s[10:11], 0, v[14:15]
	flat_load_ushort v2, v[2:3] offset:1024
.LBB3436_7:
	s_or_b64 exec, exec, s[4:5]
	v_or_b32_e32 v3, 0x400, v0
	v_cmp_gt_u32_e32 vcc, s33, v3
                                        ; implicit-def: $vgpr3
	s_and_saveexec_b64 s[4:5], vcc
	s_cbranch_execz .LBB3436_9
; %bb.8:
	v_mov_b32_e32 v15, 0
	v_lshl_add_u64 v[4:5], s[10:11], 0, v[14:15]
	flat_load_ushort v3, v[4:5] offset:2048
.LBB3436_9:
	s_or_b64 exec, exec, s[4:5]
	v_or_b32_e32 v4, 0x600, v0
	v_cmp_gt_u32_e32 vcc, s33, v4
                                        ; implicit-def: $vgpr4
	s_and_saveexec_b64 s[4:5], vcc
	s_cbranch_execz .LBB3436_11
; %bb.10:
	v_mov_b32_e32 v15, 0
	v_lshl_add_u64 v[4:5], s[10:11], 0, v[14:15]
	flat_load_ushort v4, v[4:5] offset:3072
.LBB3436_11:
	s_or_b64 exec, exec, s[4:5]
	v_or_b32_e32 v6, 0x800, v0
	v_cmp_gt_u32_e32 vcc, s33, v6
                                        ; implicit-def: $vgpr5
	s_and_saveexec_b64 s[4:5], vcc
	s_cbranch_execz .LBB3436_13
; %bb.12:
	v_lshlrev_b32_e32 v6, 1, v6
	v_mov_b32_e32 v7, 0
	v_lshl_add_u64 v[6:7], s[10:11], 0, v[6:7]
	flat_load_ushort v5, v[6:7]
.LBB3436_13:
	s_or_b64 exec, exec, s[4:5]
	v_or_b32_e32 v7, 0xa00, v0
	v_cmp_gt_u32_e32 vcc, s33, v7
                                        ; implicit-def: $vgpr6
	s_and_saveexec_b64 s[4:5], vcc
	s_cbranch_execz .LBB3436_15
; %bb.14:
	v_lshlrev_b32_e32 v6, 1, v7
	v_mov_b32_e32 v7, 0
	v_lshl_add_u64 v[6:7], s[10:11], 0, v[6:7]
	flat_load_ushort v6, v[6:7]
.LBB3436_15:
	s_or_b64 exec, exec, s[4:5]
	v_or_b32_e32 v8, 0xc00, v0
	v_cmp_gt_u32_e32 vcc, s33, v8
                                        ; implicit-def: $vgpr7
	s_and_saveexec_b64 s[4:5], vcc
	s_cbranch_execz .LBB3436_17
; %bb.16:
	v_lshlrev_b32_e32 v8, 1, v8
	v_mov_b32_e32 v9, 0
	v_lshl_add_u64 v[8:9], s[10:11], 0, v[8:9]
	flat_load_ushort v7, v[8:9]
.LBB3436_17:
	s_or_b64 exec, exec, s[4:5]
	v_or_b32_e32 v9, 0xe00, v0
	v_cmp_gt_u32_e32 vcc, s33, v9
                                        ; implicit-def: $vgpr8
	s_and_saveexec_b64 s[4:5], vcc
	s_cbranch_execz .LBB3436_19
; %bb.18:
	v_lshlrev_b32_e32 v8, 1, v9
	v_mov_b32_e32 v9, 0
	v_lshl_add_u64 v[8:9], s[10:11], 0, v[8:9]
	flat_load_ushort v8, v[8:9]
.LBB3436_19:
	s_or_b64 exec, exec, s[4:5]
	v_or_b32_e32 v10, 0x1000, v0
	v_cmp_gt_u32_e32 vcc, s33, v10
                                        ; implicit-def: $vgpr9
	s_and_saveexec_b64 s[4:5], vcc
	s_cbranch_execz .LBB3436_21
; %bb.20:
	v_lshlrev_b32_e32 v10, 1, v10
	v_mov_b32_e32 v11, 0
	v_lshl_add_u64 v[10:11], s[10:11], 0, v[10:11]
	flat_load_ushort v9, v[10:11]
.LBB3436_21:
	s_or_b64 exec, exec, s[4:5]
	v_or_b32_e32 v11, 0x1200, v0
	v_cmp_gt_u32_e32 vcc, s33, v11
                                        ; implicit-def: $vgpr10
	s_and_saveexec_b64 s[4:5], vcc
	s_cbranch_execz .LBB3436_23
; %bb.22:
	v_lshlrev_b32_e32 v10, 1, v11
	v_mov_b32_e32 v11, 0
	v_lshl_add_u64 v[10:11], s[10:11], 0, v[10:11]
	flat_load_ushort v10, v[10:11]
.LBB3436_23:
	s_or_b64 exec, exec, s[4:5]
	v_or_b32_e32 v12, 0x1400, v0
	v_cmp_gt_u32_e32 vcc, s33, v12
                                        ; implicit-def: $vgpr11
	s_and_saveexec_b64 s[4:5], vcc
	s_cbranch_execz .LBB3436_25
; %bb.24:
	v_lshlrev_b32_e32 v12, 1, v12
	v_mov_b32_e32 v13, 0
	v_lshl_add_u64 v[12:13], s[10:11], 0, v[12:13]
	flat_load_ushort v11, v[12:13]
.LBB3436_25:
	s_or_b64 exec, exec, s[4:5]
	v_or_b32_e32 v13, 0x1600, v0
	v_cmp_gt_u32_e32 vcc, s33, v13
                                        ; implicit-def: $vgpr12
	s_and_saveexec_b64 s[4:5], vcc
	s_cbranch_execz .LBB3436_27
; %bb.26:
	v_lshlrev_b32_e32 v12, 1, v13
	v_mov_b32_e32 v13, 0
	v_lshl_add_u64 v[12:13], s[10:11], 0, v[12:13]
	flat_load_ushort v12, v[12:13]
.LBB3436_27:
	s_or_b64 exec, exec, s[4:5]
	v_or_b32_e32 v15, 0x1800, v0
	v_cmp_gt_u32_e32 vcc, s33, v15
                                        ; implicit-def: $vgpr13
	s_and_saveexec_b64 s[4:5], vcc
	s_cbranch_execz .LBB3436_29
; %bb.28:
	v_lshlrev_b32_e32 v16, 1, v15
	v_mov_b32_e32 v17, 0
	v_lshl_add_u64 v[16:17], s[10:11], 0, v[16:17]
	flat_load_ushort v13, v[16:17]
.LBB3436_29:
	s_or_b64 exec, exec, s[4:5]
	v_or_b32_e32 v16, 0x1a00, v0
	v_cmp_gt_u32_e32 vcc, s33, v16
                                        ; implicit-def: $vgpr15
	s_and_saveexec_b64 s[4:5], vcc
	s_cbranch_execz .LBB3436_31
; %bb.30:
	v_lshlrev_b32_e32 v16, 1, v16
	v_mov_b32_e32 v17, 0
	v_lshl_add_u64 v[16:17], s[10:11], 0, v[16:17]
	flat_load_ushort v15, v[16:17]
.LBB3436_31:
	s_or_b64 exec, exec, s[4:5]
	v_or_b32_e32 v17, 0x1c00, v0
	v_cmp_gt_u32_e32 vcc, s33, v17
                                        ; implicit-def: $vgpr16
	s_and_saveexec_b64 s[4:5], vcc
	s_cbranch_execz .LBB3436_33
; %bb.32:
	v_lshlrev_b32_e32 v16, 1, v17
	v_mov_b32_e32 v17, 0
	v_lshl_add_u64 v[16:17], s[10:11], 0, v[16:17]
	flat_load_ushort v16, v[16:17]
.LBB3436_33:
	s_or_b64 exec, exec, s[4:5]
	v_or_b32_e32 v18, 0x1e00, v0
	v_cmp_gt_u32_e32 vcc, s33, v18
                                        ; implicit-def: $vgpr17
	s_and_saveexec_b64 s[4:5], vcc
	s_cbranch_execz .LBB3436_35
; %bb.34:
	v_lshlrev_b32_e32 v18, 1, v18
	v_mov_b32_e32 v19, 0
	v_lshl_add_u64 v[18:19], s[10:11], 0, v[18:19]
	flat_load_ushort v17, v[18:19]
.LBB3436_35:
	s_or_b64 exec, exec, s[4:5]
	v_or_b32_e32 v19, 0x2000, v0
	v_cmp_gt_u32_e32 vcc, s33, v19
                                        ; implicit-def: $vgpr18
	s_and_saveexec_b64 s[4:5], vcc
	s_cbranch_execz .LBB3436_37
; %bb.36:
	v_lshlrev_b32_e32 v18, 1, v19
	v_mov_b32_e32 v19, 0
	v_lshl_add_u64 v[18:19], s[10:11], 0, v[18:19]
	flat_load_ushort v18, v[18:19]
.LBB3436_37:
	s_or_b64 exec, exec, s[4:5]
	v_or_b32_e32 v20, 0x2200, v0
	v_cmp_gt_u32_e32 vcc, s33, v20
                                        ; implicit-def: $vgpr19
	s_and_saveexec_b64 s[4:5], vcc
	s_cbranch_execz .LBB3436_39
; %bb.38:
	v_lshlrev_b32_e32 v20, 1, v20
	v_mov_b32_e32 v21, 0
	v_lshl_add_u64 v[20:21], s[10:11], 0, v[20:21]
	flat_load_ushort v19, v[20:21]
.LBB3436_39:
	s_or_b64 exec, exec, s[4:5]
	v_or_b32_e32 v21, 0x2400, v0
	v_cmp_gt_u32_e32 vcc, s33, v21
                                        ; implicit-def: $vgpr20
	s_and_saveexec_b64 s[4:5], vcc
	s_cbranch_execz .LBB3436_41
; %bb.40:
	v_lshlrev_b32_e32 v20, 1, v21
	v_mov_b32_e32 v21, 0
	v_lshl_add_u64 v[20:21], s[10:11], 0, v[20:21]
	flat_load_ushort v20, v[20:21]
.LBB3436_41:
	s_or_b64 exec, exec, s[4:5]
	v_or_b32_e32 v22, 0x2600, v0
	v_cmp_gt_u32_e32 vcc, s33, v22
                                        ; implicit-def: $vgpr21
	s_and_saveexec_b64 s[4:5], vcc
	s_cbranch_execz .LBB3436_43
; %bb.42:
	v_lshlrev_b32_e32 v22, 1, v22
	v_mov_b32_e32 v23, 0
	v_lshl_add_u64 v[22:23], s[10:11], 0, v[22:23]
	flat_load_ushort v21, v[22:23]
.LBB3436_43:
	s_or_b64 exec, exec, s[4:5]
	v_or_b32_e32 v23, 0x2800, v0
	v_cmp_gt_u32_e32 vcc, s33, v23
                                        ; implicit-def: $vgpr22
	s_and_saveexec_b64 s[4:5], vcc
	s_cbranch_execz .LBB3436_45
; %bb.44:
	v_lshlrev_b32_e32 v22, 1, v23
	v_mov_b32_e32 v23, 0
	v_lshl_add_u64 v[22:23], s[10:11], 0, v[22:23]
	flat_load_ushort v22, v[22:23]
.LBB3436_45:
	s_or_b64 exec, exec, s[4:5]
	v_or_b32_e32 v24, 0x2a00, v0
	v_cmp_gt_u32_e32 vcc, s33, v24
                                        ; implicit-def: $vgpr23
	s_and_saveexec_b64 s[4:5], vcc
	s_cbranch_execz .LBB3436_47
; %bb.46:
	v_lshlrev_b32_e32 v24, 1, v24
	v_mov_b32_e32 v25, 0
	v_lshl_add_u64 v[24:25], s[10:11], 0, v[24:25]
	flat_load_ushort v23, v[24:25]
.LBB3436_47:
	s_or_b64 exec, exec, s[4:5]
	v_or_b32_e32 v25, 0x2c00, v0
	v_cmp_gt_u32_e32 vcc, s33, v25
                                        ; implicit-def: $vgpr24
	s_and_saveexec_b64 s[4:5], vcc
	s_cbranch_execz .LBB3436_49
; %bb.48:
	v_lshlrev_b32_e32 v24, 1, v25
	v_mov_b32_e32 v25, 0
	v_lshl_add_u64 v[24:25], s[10:11], 0, v[24:25]
	flat_load_ushort v24, v[24:25]
.LBB3436_49:
	s_or_b64 exec, exec, s[4:5]
	v_or_b32_e32 v26, 0x2e00, v0
	v_cmp_gt_u32_e32 vcc, s33, v26
                                        ; implicit-def: $vgpr25
	s_and_saveexec_b64 s[4:5], vcc
	s_cbranch_execz .LBB3436_51
; %bb.50:
	v_lshlrev_b32_e32 v26, 1, v26
	v_mov_b32_e32 v27, 0
	v_lshl_add_u64 v[26:27], s[10:11], 0, v[26:27]
	flat_load_ushort v25, v[26:27]
.LBB3436_51:
	s_or_b64 exec, exec, s[4:5]
	v_or_b32_e32 v27, 0x3000, v0
	v_cmp_gt_u32_e32 vcc, s33, v27
                                        ; implicit-def: $vgpr26
	s_and_saveexec_b64 s[4:5], vcc
	s_cbranch_execz .LBB3436_53
; %bb.52:
	v_lshlrev_b32_e32 v26, 1, v27
	v_mov_b32_e32 v27, 0
	v_lshl_add_u64 v[26:27], s[10:11], 0, v[26:27]
	flat_load_ushort v26, v[26:27]
.LBB3436_53:
	s_or_b64 exec, exec, s[4:5]
	v_or_b32_e32 v28, 0x3200, v0
	v_cmp_gt_u32_e32 vcc, s33, v28
                                        ; implicit-def: $vgpr27
	s_and_saveexec_b64 s[4:5], vcc
	s_cbranch_execz .LBB3436_55
; %bb.54:
	v_lshlrev_b32_e32 v28, 1, v28
	v_mov_b32_e32 v29, 0
	v_lshl_add_u64 v[28:29], s[10:11], 0, v[28:29]
	flat_load_ushort v27, v[28:29]
.LBB3436_55:
	s_or_b64 exec, exec, s[4:5]
	v_or_b32_e32 v29, 0x3400, v0
	v_cmp_gt_u32_e32 vcc, s33, v29
                                        ; implicit-def: $vgpr28
	s_and_saveexec_b64 s[4:5], vcc
	s_cbranch_execz .LBB3436_57
; %bb.56:
	v_lshlrev_b32_e32 v28, 1, v29
	v_mov_b32_e32 v29, 0
	v_lshl_add_u64 v[28:29], s[10:11], 0, v[28:29]
	flat_load_ushort v28, v[28:29]
.LBB3436_57:
	s_or_b64 exec, exec, s[4:5]
	v_or_b32_e32 v30, 0x3600, v0
	v_cmp_gt_u32_e32 vcc, s33, v30
                                        ; implicit-def: $vgpr29
	s_and_saveexec_b64 s[4:5], vcc
	s_cbranch_execz .LBB3436_59
; %bb.58:
	v_lshlrev_b32_e32 v30, 1, v30
	v_mov_b32_e32 v31, 0
	v_lshl_add_u64 v[30:31], s[10:11], 0, v[30:31]
	flat_load_ushort v29, v[30:31]
.LBB3436_59:
	s_or_b64 exec, exec, s[4:5]
	s_waitcnt vmcnt(0) lgkmcnt(0)
	ds_write_b16 v14, v1
	ds_write_b16 v14, v2 offset:1024
	ds_write_b16 v14, v3 offset:2048
	;; [unrolled: 1-line block ×27, first 2 shown]
	s_waitcnt lgkmcnt(0)
	s_barrier
.LBB3436_60:
	v_mul_u32_u24_e32 v1, 28, v0
	v_lshlrev_b32_e32 v6, 1, v1
	s_waitcnt lgkmcnt(0)
	ds_read_b64 v[16:17], v6 offset:48
	ds_read2_b64 v[2:5], v6 offset0:4 offset1:5
	ds_read2_b64 v[10:13], v6 offset1:1
	ds_read2_b64 v[6:9], v6 offset0:2 offset1:3
	s_add_u32 s3, s6, s8
	s_addc_u32 s5, s7, s9
	s_add_u32 s4, s3, s30
	s_addc_u32 s5, s5, s31
	s_mov_b64 s[6:7], -1
	s_and_b64 vcc, exec, s[28:29]
	s_waitcnt lgkmcnt(0)
	s_barrier
	s_cbranch_vccz .LBB3436_62
; %bb.61:
	v_mov_b32_e32 v15, 0
	v_lshl_add_u64 v[18:19], s[4:5], 0, v[14:15]
	s_movk_i32 s3, 0x1000
	v_add_co_u32_e32 v20, vcc, s3, v18
	s_movk_i32 s3, 0x2000
	s_nop 0
	v_addc_co_u32_e32 v21, vcc, 0, v19, vcc
	v_add_co_u32_e32 v22, vcc, s3, v18
	s_movk_i32 s6, 0x4000
	s_nop 0
	v_addc_co_u32_e32 v23, vcc, 0, v19, vcc
	global_load_ubyte v15, v14, s[4:5]
	global_load_ubyte v24, v14, s[4:5] offset:1024
	global_load_ubyte v25, v14, s[4:5] offset:2048
	;; [unrolled: 1-line block ×3, first 2 shown]
	global_load_ubyte v27, v[20:21], off offset:1024
	global_load_ubyte v28, v[20:21], off offset:2048
	;; [unrolled: 1-line block ×3, first 2 shown]
	global_load_ubyte v30, v[22:23], off offset:-4096
	global_load_ubyte v31, v[22:23], off
	global_load_ubyte v32, v[22:23], off offset:1024
	v_add_co_u32_e32 v20, vcc, s6, v18
	s_movk_i32 s3, 0x3000
	s_nop 0
	v_addc_co_u32_e32 v21, vcc, 0, v19, vcc
	global_load_ubyte v33, v[22:23], off offset:2048
	global_load_ubyte v34, v[22:23], off offset:3072
	global_load_ubyte v35, v[20:21], off offset:-4096
	v_add_co_u32_e32 v22, vcc, s3, v18
	s_movk_i32 s6, 0x6000
	s_nop 0
	v_addc_co_u32_e32 v23, vcc, 0, v19, vcc
	global_load_ubyte v36, v[22:23], off offset:1024
	global_load_ubyte v37, v[22:23], off offset:2048
	;; [unrolled: 1-line block ×3, first 2 shown]
	global_load_ubyte v39, v[20:21], off
	v_add_co_u32_e32 v22, vcc, s6, v18
	s_movk_i32 s3, 0x5000
	s_nop 0
	v_addc_co_u32_e32 v23, vcc, 0, v19, vcc
	v_add_co_u32_e32 v18, vcc, s3, v18
	global_load_ubyte v40, v[20:21], off offset:1024
	global_load_ubyte v41, v[20:21], off offset:2048
	;; [unrolled: 1-line block ×3, first 2 shown]
	global_load_ubyte v43, v[22:23], off offset:-4096
	v_addc_co_u32_e32 v19, vcc, 0, v19, vcc
	global_load_ubyte v20, v[18:19], off offset:1024
	global_load_ubyte v21, v[18:19], off offset:2048
	;; [unrolled: 1-line block ×3, first 2 shown]
	global_load_ubyte v45, v[22:23], off
	global_load_ubyte v46, v[22:23], off offset:1024
	global_load_ubyte v47, v[22:23], off offset:2048
	;; [unrolled: 1-line block ×3, first 2 shown]
	s_mov_b64 s[6:7], 0
	s_waitcnt vmcnt(23)
	v_xor_b32_e32 v23, -1, v27
	v_xor_b32_e32 v15, -1, v15
	;; [unrolled: 1-line block ×5, first 2 shown]
	v_and_b32_e32 v15, 1, v15
	s_waitcnt vmcnt(22)
	v_xor_b32_e32 v24, -1, v28
	s_waitcnt vmcnt(21)
	v_xor_b32_e32 v25, -1, v29
	s_waitcnt vmcnt(20)
	v_xor_b32_e32 v26, -1, v30
	s_waitcnt vmcnt(19)
	v_xor_b32_e32 v27, -1, v31
	s_waitcnt vmcnt(18)
	v_xor_b32_e32 v28, -1, v32
	s_waitcnt vmcnt(17)
	v_xor_b32_e32 v29, -1, v33
	s_waitcnt vmcnt(16)
	v_xor_b32_e32 v30, -1, v34
	s_waitcnt vmcnt(15)
	v_xor_b32_e32 v31, -1, v35
	s_waitcnt vmcnt(14)
	v_xor_b32_e32 v32, -1, v36
	s_waitcnt vmcnt(13)
	v_xor_b32_e32 v33, -1, v37
	s_waitcnt vmcnt(12)
	v_xor_b32_e32 v34, -1, v38
	s_waitcnt vmcnt(11)
	v_xor_b32_e32 v35, -1, v39
	v_and_b32_e32 v18, 1, v18
	v_and_b32_e32 v19, 1, v19
	;; [unrolled: 1-line block ×4, first 2 shown]
	s_waitcnt vmcnt(10)
	v_xor_b32_e32 v36, -1, v40
	s_waitcnt vmcnt(9)
	v_xor_b32_e32 v37, -1, v41
	;; [unrolled: 2-line block ×11, first 2 shown]
	v_and_b32_e32 v24, 1, v24
	v_and_b32_e32 v25, 1, v25
	v_and_b32_e32 v26, 1, v26
	v_and_b32_e32 v27, 1, v27
	v_and_b32_e32 v28, 1, v28
	v_and_b32_e32 v29, 1, v29
	v_and_b32_e32 v30, 1, v30
	v_and_b32_e32 v31, 1, v31
	v_and_b32_e32 v32, 1, v32
	v_and_b32_e32 v33, 1, v33
	v_and_b32_e32 v34, 1, v34
	v_and_b32_e32 v35, 1, v35
	v_and_b32_e32 v36, 1, v36
	v_and_b32_e32 v37, 1, v37
	v_and_b32_e32 v38, 1, v38
	v_and_b32_e32 v39, 1, v39
	v_and_b32_e32 v20, 1, v20
	v_and_b32_e32 v21, 1, v21
	v_and_b32_e32 v40, 1, v40
	v_and_b32_e32 v41, 1, v41
	v_and_b32_e32 v42, 1, v42
	v_and_b32_e32 v43, 1, v43
	v_and_b32_e32 v44, 1, v44
	ds_write_b8 v0, v15
	ds_write_b8 v0, v18 offset:512
	ds_write_b8 v0, v19 offset:1024
	;; [unrolled: 1-line block ×27, first 2 shown]
	s_waitcnt lgkmcnt(0)
	s_barrier
.LBB3436_62:
	s_load_dwordx2 s[34:35], s[0:1], 0x78
	s_andn2_b64 vcc, exec, s[6:7]
	s_cbranch_vccnz .LBB3436_120
; %bb.63:
	v_cmp_gt_u32_e32 vcc, s33, v0
	v_mov_b32_e32 v15, 0
	v_mov_b32_e32 v18, 0
	s_and_saveexec_b64 s[6:7], vcc
	s_cbranch_execz .LBB3436_65
; %bb.64:
	global_load_ubyte v18, v14, s[4:5]
	s_waitcnt vmcnt(0)
	v_xor_b32_e32 v18, -1, v18
	v_and_b32_e32 v18, 1, v18
.LBB3436_65:
	s_or_b64 exec, exec, s[6:7]
	v_or_b32_e32 v19, 0x200, v0
	v_cmp_gt_u32_e32 vcc, s33, v19
	s_and_saveexec_b64 s[6:7], vcc
	s_cbranch_execz .LBB3436_67
; %bb.66:
	global_load_ubyte v15, v14, s[4:5] offset:1024
	s_waitcnt vmcnt(0)
	v_xor_b32_e32 v15, -1, v15
	v_and_b32_e32 v15, 1, v15
.LBB3436_67:
	s_or_b64 exec, exec, s[6:7]
	v_or_b32_e32 v19, 0x400, v0
	v_cmp_gt_u32_e32 vcc, s33, v19
	v_mov_b32_e32 v19, 0
	v_mov_b32_e32 v20, 0
	s_and_saveexec_b64 s[6:7], vcc
	s_cbranch_execz .LBB3436_69
; %bb.68:
	global_load_ubyte v20, v14, s[4:5] offset:2048
	s_waitcnt vmcnt(0)
	v_xor_b32_e32 v20, -1, v20
	v_and_b32_e32 v20, 1, v20
.LBB3436_69:
	s_or_b64 exec, exec, s[6:7]
	v_or_b32_e32 v21, 0x600, v0
	v_cmp_gt_u32_e32 vcc, s33, v21
	s_and_saveexec_b64 s[6:7], vcc
	s_cbranch_execz .LBB3436_71
; %bb.70:
	global_load_ubyte v19, v14, s[4:5] offset:3072
	s_waitcnt vmcnt(0)
	v_xor_b32_e32 v19, -1, v19
	v_and_b32_e32 v19, 1, v19
.LBB3436_71:
	s_or_b64 exec, exec, s[6:7]
	v_or_b32_e32 v23, 0x800, v0
	v_cmp_gt_u32_e32 vcc, s33, v23
	v_mov_b32_e32 v21, 0
	v_mov_b32_e32 v22, 0
	s_and_saveexec_b64 s[6:7], vcc
	s_cbranch_execz .LBB3436_73
; %bb.72:
	v_lshlrev_b32_e32 v22, 1, v23
	global_load_ubyte v22, v22, s[4:5]
	s_waitcnt vmcnt(0)
	v_xor_b32_e32 v22, -1, v22
	v_and_b32_e32 v22, 1, v22
.LBB3436_73:
	s_or_b64 exec, exec, s[6:7]
	v_or_b32_e32 v23, 0xa00, v0
	v_cmp_gt_u32_e32 vcc, s33, v23
	s_and_saveexec_b64 s[6:7], vcc
	s_cbranch_execz .LBB3436_75
; %bb.74:
	v_lshlrev_b32_e32 v21, 1, v23
	global_load_ubyte v21, v21, s[4:5]
	s_waitcnt vmcnt(0)
	v_xor_b32_e32 v21, -1, v21
	v_and_b32_e32 v21, 1, v21
.LBB3436_75:
	s_or_b64 exec, exec, s[6:7]
	v_or_b32_e32 v25, 0xc00, v0
	v_cmp_gt_u32_e32 vcc, s33, v25
	v_mov_b32_e32 v23, 0
	v_mov_b32_e32 v24, 0
	s_and_saveexec_b64 s[6:7], vcc
	s_cbranch_execz .LBB3436_77
; %bb.76:
	v_lshlrev_b32_e32 v24, 1, v25
	global_load_ubyte v24, v24, s[4:5]
	s_waitcnt vmcnt(0)
	v_xor_b32_e32 v24, -1, v24
	v_and_b32_e32 v24, 1, v24
.LBB3436_77:
	s_or_b64 exec, exec, s[6:7]
	v_or_b32_e32 v25, 0xe00, v0
	v_cmp_gt_u32_e32 vcc, s33, v25
	s_and_saveexec_b64 s[6:7], vcc
	s_cbranch_execz .LBB3436_79
; %bb.78:
	v_lshlrev_b32_e32 v23, 1, v25
	global_load_ubyte v23, v23, s[4:5]
	s_waitcnt vmcnt(0)
	v_xor_b32_e32 v23, -1, v23
	v_and_b32_e32 v23, 1, v23
.LBB3436_79:
	;; [unrolled: 26-line block ×12, first 2 shown]
	s_or_b64 exec, exec, s[6:7]
	ds_write_b8 v0, v18
	ds_write_b8 v0, v15 offset:512
	ds_write_b8 v0, v20 offset:1024
	;; [unrolled: 1-line block ×27, first 2 shown]
	s_waitcnt lgkmcnt(0)
	s_barrier
.LBB3436_120:
	s_waitcnt lgkmcnt(0)
	ds_read2_b32 v[24:25], v1 offset1:1
	ds_read2_b32 v[22:23], v1 offset0:2 offset1:3
	ds_read2_b32 v[20:21], v1 offset0:4 offset1:5
	ds_read_b32 v34, v1 offset:24
	s_cmp_lg_u32 s2, 0
	v_lshrrev_b32_e32 v61, 6, v0
	s_waitcnt lgkmcnt(2)
	v_and_b32_e32 v53, 0xff, v22
	v_lshrrev_b32_e32 v41, 24, v24
	v_bfe_u32 v59, v24, 16, 8
	v_add_u32_sdwa v18, v24, v24 dst_sel:DWORD dst_unused:UNUSED_PAD src0_sel:BYTE_1 src1_sel:BYTE_0
	v_and_b32_e32 v56, 0xff, v25
	v_bfe_u32 v57, v25, 8, 8
	v_add3_u32 v18, v18, v59, v41
	v_lshrrev_b32_e32 v40, 24, v25
	v_bfe_u32 v58, v25, 16, 8
	v_add3_u32 v18, v18, v56, v57
	v_bfe_u32 v54, v22, 8, 8
	v_add3_u32 v18, v18, v58, v40
	v_lshrrev_b32_e32 v39, 24, v22
	v_bfe_u32 v55, v22, 16, 8
	v_add3_u32 v18, v18, v53, v54
	v_and_b32_e32 v50, 0xff, v23
	v_bfe_u32 v51, v23, 8, 8
	v_add3_u32 v18, v18, v55, v39
	v_lshrrev_b32_e32 v38, 24, v23
	v_bfe_u32 v52, v23, 16, 8
	v_add3_u32 v18, v18, v50, v51
	s_waitcnt lgkmcnt(1)
	v_and_b32_e32 v47, 0xff, v20
	v_bfe_u32 v48, v20, 8, 8
	v_add3_u32 v18, v18, v52, v38
	v_lshrrev_b32_e32 v37, 24, v20
	v_bfe_u32 v49, v20, 16, 8
	v_add3_u32 v18, v18, v47, v48
	v_and_b32_e32 v44, 0xff, v21
	v_bfe_u32 v45, v21, 8, 8
	v_add3_u32 v18, v18, v49, v37
	v_lshrrev_b32_e32 v36, 24, v21
	v_bfe_u32 v46, v21, 16, 8
	v_add3_u32 v18, v18, v44, v45
	s_waitcnt lgkmcnt(0)
	v_and_b32_e32 v42, 0xff, v34
	v_bfe_u32 v43, v34, 8, 8
	v_add3_u32 v18, v18, v46, v36
	v_lshrrev_b32_e32 v15, 24, v34
	v_bfe_u32 v35, v34, 16, 8
	v_add3_u32 v18, v18, v42, v43
	v_add3_u32 v62, v18, v35, v15
	v_mbcnt_lo_u32_b32 v18, -1, 0
	v_mbcnt_hi_u32_b32 v60, -1, v18
	v_and_b32_e32 v18, 15, v60
	v_cmp_eq_u32_e64 s[14:15], 0, v18
	v_cmp_lt_u32_e64 s[12:13], 1, v18
	v_cmp_lt_u32_e64 s[10:11], 3, v18
	;; [unrolled: 1-line block ×3, first 2 shown]
	v_and_b32_e32 v18, 16, v60
	v_cmp_eq_u32_e64 s[6:7], 0, v18
	v_or_b32_e32 v18, 63, v0
	v_cmp_lt_u32_e64 s[18:19], 31, v60
	v_cmp_eq_u32_e64 s[4:5], v18, v0
	s_barrier
	s_cbranch_scc0 .LBB3436_151
; %bb.121:
	v_mov_b32_dpp v18, v62 row_shr:1 row_mask:0xf bank_mask:0xf
	v_cndmask_b32_e64 v18, v18, 0, s[14:15]
	v_add_u32_e32 v18, v18, v62
	s_nop 1
	v_mov_b32_dpp v19, v18 row_shr:2 row_mask:0xf bank_mask:0xf
	v_cndmask_b32_e64 v19, 0, v19, s[12:13]
	v_add_u32_e32 v18, v18, v19
	s_nop 1
	;; [unrolled: 4-line block ×4, first 2 shown]
	v_mov_b32_dpp v19, v18 row_bcast:15 row_mask:0xf bank_mask:0xf
	v_cndmask_b32_e64 v19, v19, 0, s[6:7]
	v_add_u32_e32 v18, v18, v19
	s_nop 1
	v_mov_b32_dpp v19, v18 row_bcast:31 row_mask:0xf bank_mask:0xf
	v_cndmask_b32_e64 v19, 0, v19, s[18:19]
	v_add_u32_e32 v18, v18, v19
	s_and_saveexec_b64 s[16:17], s[4:5]
	s_cbranch_execz .LBB3436_123
; %bb.122:
	v_lshlrev_b32_e32 v19, 2, v61
	ds_write_b32 v19, v18
.LBB3436_123:
	s_or_b64 exec, exec, s[16:17]
	v_cmp_gt_u32_e32 vcc, 8, v0
	s_waitcnt lgkmcnt(0)
	s_barrier
	s_and_saveexec_b64 s[16:17], vcc
	s_cbranch_execz .LBB3436_125
; %bb.124:
	v_lshlrev_b32_e32 v19, 2, v0
	ds_read_b32 v26, v19
	v_and_b32_e32 v27, 7, v60
	v_cmp_ne_u32_e32 vcc, 0, v27
	s_waitcnt lgkmcnt(0)
	v_mov_b32_dpp v28, v26 row_shr:1 row_mask:0xf bank_mask:0xf
	v_cndmask_b32_e32 v28, 0, v28, vcc
	v_add_u32_e32 v26, v28, v26
	v_cmp_lt_u32_e32 vcc, 1, v27
	s_nop 0
	v_mov_b32_dpp v28, v26 row_shr:2 row_mask:0xf bank_mask:0xf
	v_cndmask_b32_e32 v28, 0, v28, vcc
	v_add_u32_e32 v26, v26, v28
	v_cmp_lt_u32_e32 vcc, 3, v27
	s_nop 0
	v_mov_b32_dpp v28, v26 row_shr:4 row_mask:0xf bank_mask:0xf
	v_cndmask_b32_e32 v27, 0, v28, vcc
	v_add_u32_e32 v26, v26, v27
	ds_write_b32 v19, v26
.LBB3436_125:
	s_or_b64 exec, exec, s[16:17]
	v_cmp_gt_u32_e32 vcc, 64, v0
	v_cmp_lt_u32_e64 s[16:17], 63, v0
	s_waitcnt lgkmcnt(0)
	s_barrier
	s_waitcnt lgkmcnt(0)
                                        ; implicit-def: $vgpr63
	s_and_saveexec_b64 s[36:37], s[16:17]
	s_cbranch_execz .LBB3436_127
; %bb.126:
	v_lshl_add_u32 v19, v61, 2, -4
	ds_read_b32 v63, v19
	s_waitcnt lgkmcnt(0)
	v_add_u32_e32 v18, v63, v18
.LBB3436_127:
	s_or_b64 exec, exec, s[36:37]
	v_add_u32_e32 v19, -1, v60
	v_and_b32_e32 v26, 64, v60
	v_cmp_lt_i32_e64 s[16:17], v19, v26
	s_nop 1
	v_cndmask_b32_e64 v19, v19, v60, s[16:17]
	v_lshlrev_b32_e32 v19, 2, v19
	ds_bpermute_b32 v64, v19, v18
	v_cmp_eq_u32_e64 s[16:17], 0, v60
	s_and_saveexec_b64 s[36:37], vcc
	s_cbranch_execz .LBB3436_150
; %bb.128:
	v_mov_b32_e32 v33, 0
	ds_read_b32 v18, v33 offset:28
	s_and_saveexec_b64 s[38:39], s[16:17]
	s_cbranch_execz .LBB3436_130
; %bb.129:
	s_add_i32 s40, s2, 64
	s_mov_b32 s41, 0
	s_lshl_b64 s[40:41], s[40:41], 3
	s_add_u32 s40, s34, s40
	v_mov_b32_e32 v19, 1
	s_addc_u32 s41, s35, s41
	s_waitcnt lgkmcnt(0)
	global_store_dwordx2 v33, v[18:19], s[40:41] sc1
.LBB3436_130:
	s_or_b64 exec, exec, s[38:39]
	v_xad_u32 v26, v60, -1, s2
	v_add_u32_e32 v32, 64, v26
	v_lshl_add_u64 v[28:29], v[32:33], 3, s[34:35]
	global_load_dwordx2 v[30:31], v[28:29], off sc1
	s_waitcnt vmcnt(0)
	v_cmp_eq_u16_sdwa s[40:41], v31, v33 src0_sel:BYTE_0 src1_sel:DWORD
	s_and_saveexec_b64 s[38:39], s[40:41]
	s_cbranch_execz .LBB3436_136
; %bb.131:
	s_mov_b32 s3, 1
	s_mov_b64 s[40:41], 0
	v_mov_b32_e32 v19, 0
.LBB3436_132:                           ; =>This Loop Header: Depth=1
                                        ;     Child Loop BB3436_133 Depth 2
	s_max_u32 s42, s3, 1
.LBB3436_133:                           ;   Parent Loop BB3436_132 Depth=1
                                        ; =>  This Inner Loop Header: Depth=2
	s_add_i32 s42, s42, -1
	s_cmp_eq_u32 s42, 0
	s_sleep 1
	s_cbranch_scc0 .LBB3436_133
; %bb.134:                              ;   in Loop: Header=BB3436_132 Depth=1
	global_load_dwordx2 v[30:31], v[28:29], off sc1
	s_cmp_lt_u32 s3, 32
	s_cselect_b64 s[42:43], -1, 0
	s_cmp_lg_u64 s[42:43], 0
	s_addc_u32 s3, s3, 0
	s_waitcnt vmcnt(0)
	v_cmp_ne_u16_sdwa s[42:43], v31, v19 src0_sel:BYTE_0 src1_sel:DWORD
	s_or_b64 s[40:41], s[42:43], s[40:41]
	s_andn2_b64 exec, exec, s[40:41]
	s_cbranch_execnz .LBB3436_132
; %bb.135:
	s_or_b64 exec, exec, s[40:41]
.LBB3436_136:
	s_or_b64 exec, exec, s[38:39]
	v_and_b32_e32 v66, 63, v60
	v_mov_b32_e32 v65, 2
	v_cmp_ne_u32_e32 vcc, 63, v66
	v_cmp_eq_u16_sdwa s[38:39], v31, v65 src0_sel:BYTE_0 src1_sel:DWORD
	v_lshlrev_b64 v[28:29], v60, -1
	v_addc_co_u32_e32 v32, vcc, 0, v60, vcc
	v_and_b32_e32 v19, s39, v29
	v_lshlrev_b32_e32 v67, 2, v32
	v_or_b32_e32 v19, 0x80000000, v19
	ds_bpermute_b32 v32, v67, v30
	v_and_b32_e32 v27, s38, v28
	v_ffbl_b32_e32 v19, v19
	v_add_u32_e32 v19, 32, v19
	v_ffbl_b32_e32 v27, v27
	v_min_u32_e32 v19, v27, v19
	v_cmp_lt_u32_e32 vcc, v66, v19
	v_add_u32_e32 v69, 2, v66
	v_add_u32_e32 v71, 4, v66
	s_waitcnt lgkmcnt(0)
	v_cndmask_b32_e32 v27, 0, v32, vcc
	v_cmp_gt_u32_e32 vcc, 62, v66
	v_add_u32_e32 v27, v27, v30
	v_add_u32_e32 v73, 8, v66
	v_cndmask_b32_e64 v30, 0, 1, vcc
	v_lshlrev_b32_e32 v30, 1, v30
	v_add_lshl_u32 v68, v30, v60, 2
	ds_bpermute_b32 v30, v68, v27
	v_cmp_le_u32_e32 vcc, v69, v19
	v_add_u32_e32 v75, 16, v66
	v_add_u32_e32 v77, 32, v66
	s_waitcnt lgkmcnt(0)
	v_cndmask_b32_e32 v30, 0, v30, vcc
	v_cmp_gt_u32_e32 vcc, 60, v66
	v_add_u32_e32 v27, v27, v30
	s_nop 0
	v_cndmask_b32_e64 v30, 0, 1, vcc
	v_lshlrev_b32_e32 v30, 2, v30
	v_add_lshl_u32 v70, v30, v60, 2
	ds_bpermute_b32 v30, v70, v27
	v_cmp_le_u32_e32 vcc, v71, v19
	s_waitcnt lgkmcnt(0)
	s_nop 0
	v_cndmask_b32_e32 v30, 0, v30, vcc
	v_cmp_gt_u32_e32 vcc, 56, v66
	v_add_u32_e32 v27, v27, v30
	s_nop 0
	v_cndmask_b32_e64 v30, 0, 1, vcc
	v_lshlrev_b32_e32 v30, 3, v30
	v_add_lshl_u32 v72, v30, v60, 2
	ds_bpermute_b32 v30, v72, v27
	v_cmp_le_u32_e32 vcc, v73, v19
	s_waitcnt lgkmcnt(0)
	s_nop 0
	;; [unrolled: 11-line block ×4, first 2 shown]
	v_cndmask_b32_e32 v19, 0, v30, vcc
	v_add_u32_e32 v30, v27, v19
	v_mov_b32_e32 v27, 0
	s_branch .LBB3436_138
.LBB3436_137:                           ;   in Loop: Header=BB3436_138 Depth=1
	s_or_b64 exec, exec, s[38:39]
	v_cmp_eq_u16_sdwa s[38:39], v31, v65 src0_sel:BYTE_0 src1_sel:DWORD
	ds_bpermute_b32 v78, v67, v30
	v_subrev_u32_e32 v26, 64, v26
	v_and_b32_e32 v32, s39, v29
	v_or_b32_e32 v32, 0x80000000, v32
	v_and_b32_e32 v33, s38, v28
	v_ffbl_b32_e32 v32, v32
	v_add_u32_e32 v32, 32, v32
	v_ffbl_b32_e32 v33, v33
	v_min_u32_e32 v32, v33, v32
	v_cmp_lt_u32_e32 vcc, v66, v32
	s_waitcnt lgkmcnt(0)
	s_nop 0
	v_cndmask_b32_e32 v33, 0, v78, vcc
	v_add_u32_e32 v30, v33, v30
	ds_bpermute_b32 v33, v68, v30
	v_cmp_le_u32_e32 vcc, v69, v32
	s_waitcnt lgkmcnt(0)
	s_nop 0
	v_cndmask_b32_e32 v33, 0, v33, vcc
	v_add_u32_e32 v30, v30, v33
	ds_bpermute_b32 v33, v70, v30
	v_cmp_le_u32_e32 vcc, v71, v32
	;; [unrolled: 6-line block ×5, first 2 shown]
	s_waitcnt lgkmcnt(0)
	s_nop 0
	v_cndmask_b32_e32 v32, 0, v33, vcc
	v_add3_u32 v30, v32, v19, v30
.LBB3436_138:                           ; =>This Loop Header: Depth=1
                                        ;     Child Loop BB3436_141 Depth 2
                                        ;       Child Loop BB3436_142 Depth 3
	v_cmp_ne_u16_sdwa s[38:39], v31, v65 src0_sel:BYTE_0 src1_sel:DWORD
	s_nop 1
	v_cndmask_b32_e64 v19, 0, 1, s[38:39]
	;;#ASMSTART
	;;#ASMEND
	s_nop 0
	v_cmp_ne_u32_e32 vcc, 0, v19
	s_cmp_lg_u64 vcc, exec
	v_mov_b32_e32 v19, v30
	s_cbranch_scc1 .LBB3436_145
; %bb.139:                              ;   in Loop: Header=BB3436_138 Depth=1
	v_lshl_add_u64 v[32:33], v[26:27], 3, s[34:35]
	global_load_dwordx2 v[30:31], v[32:33], off sc1
	s_waitcnt vmcnt(0)
	v_cmp_eq_u16_sdwa s[40:41], v31, v27 src0_sel:BYTE_0 src1_sel:DWORD
	s_and_saveexec_b64 s[38:39], s[40:41]
	s_cbranch_execz .LBB3436_137
; %bb.140:                              ;   in Loop: Header=BB3436_138 Depth=1
	s_mov_b32 s3, 1
	s_mov_b64 s[40:41], 0
.LBB3436_141:                           ;   Parent Loop BB3436_138 Depth=1
                                        ; =>  This Loop Header: Depth=2
                                        ;       Child Loop BB3436_142 Depth 3
	s_max_u32 s42, s3, 1
.LBB3436_142:                           ;   Parent Loop BB3436_138 Depth=1
                                        ;     Parent Loop BB3436_141 Depth=2
                                        ; =>    This Inner Loop Header: Depth=3
	s_add_i32 s42, s42, -1
	s_cmp_eq_u32 s42, 0
	s_sleep 1
	s_cbranch_scc0 .LBB3436_142
; %bb.143:                              ;   in Loop: Header=BB3436_141 Depth=2
	global_load_dwordx2 v[30:31], v[32:33], off sc1
	s_cmp_lt_u32 s3, 32
	s_cselect_b64 s[42:43], -1, 0
	s_cmp_lg_u64 s[42:43], 0
	s_addc_u32 s3, s3, 0
	s_waitcnt vmcnt(0)
	v_cmp_ne_u16_sdwa s[42:43], v31, v27 src0_sel:BYTE_0 src1_sel:DWORD
	s_or_b64 s[40:41], s[42:43], s[40:41]
	s_andn2_b64 exec, exec, s[40:41]
	s_cbranch_execnz .LBB3436_141
; %bb.144:                              ;   in Loop: Header=BB3436_138 Depth=1
	s_or_b64 exec, exec, s[40:41]
	s_branch .LBB3436_137
.LBB3436_145:                           ;   in Loop: Header=BB3436_138 Depth=1
                                        ; implicit-def: $vgpr30
                                        ; implicit-def: $vgpr31
	s_cbranch_execz .LBB3436_138
; %bb.146:
	s_and_saveexec_b64 s[38:39], s[16:17]
	s_cbranch_execz .LBB3436_148
; %bb.147:
	s_add_i32 s2, s2, 64
	s_mov_b32 s3, 0
	s_lshl_b64 s[2:3], s[2:3], 3
	s_add_u32 s2, s34, s2
	v_add_u32_e32 v26, v19, v18
	v_mov_b32_e32 v27, 2
	s_addc_u32 s3, s35, s3
	v_mov_b32_e32 v28, 0
	global_store_dwordx2 v28, v[26:27], s[2:3] sc1
	ds_write_b64 v28, v[18:19] offset:28672
.LBB3436_148:
	s_or_b64 exec, exec, s[38:39]
	v_cmp_eq_u32_e32 vcc, 0, v0
	s_and_b64 exec, exec, vcc
	s_cbranch_execz .LBB3436_150
; %bb.149:
	v_mov_b32_e32 v18, 0
	ds_write_b32 v18, v19 offset:28
.LBB3436_150:
	s_or_b64 exec, exec, s[36:37]
	v_mov_b32_e32 v18, 0
	s_waitcnt lgkmcnt(0)
	s_barrier
	ds_read_b32 v27, v18 offset:28
	s_waitcnt lgkmcnt(0)
	s_barrier
	ds_read_b64 v[18:19], v18 offset:28672
	v_cndmask_b32_e64 v26, v64, v63, s[16:17]
	v_cmp_ne_u32_e32 vcc, 0, v0
	s_nop 1
	v_cndmask_b32_e32 v26, 0, v26, vcc
	v_add_u32_e32 v32, v27, v26
	s_waitcnt lgkmcnt(0)
	v_mov_b32_e32 v26, v19
	s_branch .LBB3436_161
.LBB3436_151:
                                        ; implicit-def: $vgpr26
                                        ; implicit-def: $vgpr18
                                        ; implicit-def: $vgpr32
	s_cbranch_execz .LBB3436_161
; %bb.152:
	s_nop 0
	v_mov_b32_dpp v18, v62 row_shr:1 row_mask:0xf bank_mask:0xf
	v_cndmask_b32_e64 v18, v18, 0, s[14:15]
	v_add_u32_e32 v18, v18, v62
	s_nop 1
	v_mov_b32_dpp v19, v18 row_shr:2 row_mask:0xf bank_mask:0xf
	v_cndmask_b32_e64 v19, 0, v19, s[12:13]
	v_add_u32_e32 v18, v18, v19
	;; [unrolled: 4-line block ×4, first 2 shown]
	s_nop 1
	v_mov_b32_dpp v19, v18 row_bcast:15 row_mask:0xf bank_mask:0xf
	v_cndmask_b32_e64 v19, v19, 0, s[6:7]
	v_add_u32_e32 v18, v18, v19
	s_nop 1
	v_mov_b32_dpp v19, v18 row_bcast:31 row_mask:0xf bank_mask:0xf
	v_cndmask_b32_e64 v19, 0, v19, s[18:19]
	v_add_u32_e32 v18, v18, v19
	s_and_saveexec_b64 s[2:3], s[4:5]
	s_cbranch_execz .LBB3436_154
; %bb.153:
	v_lshlrev_b32_e32 v19, 2, v61
	ds_write_b32 v19, v18
.LBB3436_154:
	s_or_b64 exec, exec, s[2:3]
	v_cmp_gt_u32_e32 vcc, 8, v0
	s_waitcnt lgkmcnt(0)
	s_barrier
	s_and_saveexec_b64 s[2:3], vcc
	s_cbranch_execz .LBB3436_156
; %bb.155:
	v_lshlrev_b32_e32 v19, 2, v0
	ds_read_b32 v26, v19
	v_and_b32_e32 v27, 7, v60
	v_cmp_ne_u32_e32 vcc, 0, v27
	s_waitcnt lgkmcnt(0)
	v_mov_b32_dpp v28, v26 row_shr:1 row_mask:0xf bank_mask:0xf
	v_cndmask_b32_e32 v28, 0, v28, vcc
	v_add_u32_e32 v26, v28, v26
	v_cmp_lt_u32_e32 vcc, 1, v27
	s_nop 0
	v_mov_b32_dpp v28, v26 row_shr:2 row_mask:0xf bank_mask:0xf
	v_cndmask_b32_e32 v28, 0, v28, vcc
	v_add_u32_e32 v26, v26, v28
	v_cmp_lt_u32_e32 vcc, 3, v27
	s_nop 0
	v_mov_b32_dpp v28, v26 row_shr:4 row_mask:0xf bank_mask:0xf
	v_cndmask_b32_e32 v27, 0, v28, vcc
	v_add_u32_e32 v26, v26, v27
	ds_write_b32 v19, v26
.LBB3436_156:
	s_or_b64 exec, exec, s[2:3]
	v_cmp_lt_u32_e32 vcc, 63, v0
	v_mov_b32_e32 v19, 0
	v_mov_b32_e32 v26, 0
	s_waitcnt lgkmcnt(0)
	s_barrier
	s_and_saveexec_b64 s[2:3], vcc
	s_cbranch_execz .LBB3436_158
; %bb.157:
	v_lshl_add_u32 v26, v61, 2, -4
	ds_read_b32 v26, v26
.LBB3436_158:
	s_or_b64 exec, exec, s[2:3]
	v_add_u32_e32 v27, -1, v60
	v_and_b32_e32 v28, 64, v60
	v_cmp_lt_i32_e32 vcc, v27, v28
	s_waitcnt lgkmcnt(0)
	v_add_u32_e32 v18, v26, v18
	v_cndmask_b32_e32 v27, v27, v60, vcc
	v_lshlrev_b32_e32 v27, 2, v27
	ds_bpermute_b32 v27, v27, v18
	ds_read_b32 v18, v19 offset:28
	v_cmp_eq_u32_e32 vcc, 0, v0
	s_and_saveexec_b64 s[2:3], vcc
	s_cbranch_execz .LBB3436_160
; %bb.159:
	v_mov_b32_e32 v28, 0
	v_mov_b32_e32 v19, 2
	s_waitcnt lgkmcnt(0)
	global_store_dwordx2 v28, v[18:19], s[34:35] offset:512 sc1
.LBB3436_160:
	s_or_b64 exec, exec, s[2:3]
	v_cmp_eq_u32_e64 s[2:3], 0, v60
	s_waitcnt lgkmcnt(0)
	s_barrier
	v_cndmask_b32_e64 v19, v27, v26, s[2:3]
	v_mov_b32_e32 v26, 0
	v_cndmask_b32_e64 v32, v19, 0, vcc
.LBB3436_161:
	v_add_u32_sdwa v60, v32, v24 dst_sel:DWORD dst_unused:UNUSED_PAD src0_sel:DWORD src1_sel:BYTE_0
	v_add_u32_e32 v1, v18, v1
	v_sub_u32_e32 v32, v32, v26
	v_and_b32_e32 v69, 1, v24
	v_sub_u32_e32 v68, v1, v32
	v_cmp_eq_u32_e32 vcc, 1, v69
	v_lshrrev_b32_e32 v33, 8, v24
	v_add_u32_sdwa v61, v60, v24 dst_sel:DWORD dst_unused:UNUSED_PAD src0_sel:DWORD src1_sel:BYTE_1
	v_cndmask_b32_e32 v32, v68, v32, vcc
	v_lshlrev_b32_e32 v32, 1, v32
	ds_write_b16 v32, v10
	v_sub_u32_e32 v32, v60, v26
	v_sub_u32_e32 v60, v1, v32
	v_and_b32_e32 v33, 1, v33
	v_add_u32_e32 v60, 1, v60
	v_cmp_eq_u32_e32 vcc, 1, v33
	v_mov_b32_e32 v33, 1
	v_and_b32_sdwa v24, v33, v24 dst_sel:DWORD dst_unused:UNUSED_PAD src0_sel:DWORD src1_sel:WORD_1
	v_cndmask_b32_e32 v32, v60, v32, vcc
	v_lshlrev_b32_e32 v32, 1, v32
	ds_write_b16_d16_hi v32, v10
	v_sub_u32_e32 v10, v61, v26
	v_sub_u32_e32 v32, v1, v10
	v_add_u32_e32 v32, 2, v32
	v_cmp_eq_u32_e32 vcc, 1, v24
	v_add_u32_e32 v59, v61, v59
	v_add_u32_e32 v62, v59, v41
	v_cndmask_b32_e32 v10, v32, v10, vcc
	v_lshlrev_b32_e32 v10, 1, v10
	ds_write_b16 v10, v11
	v_sub_u32_e32 v10, v59, v26
	v_sub_u32_e32 v24, v1, v10
	v_and_b32_e32 v32, 1, v41
	v_add_u32_e32 v24, 3, v24
	v_cmp_eq_u32_e32 vcc, 1, v32
	v_add_u32_e32 v56, v62, v56
	v_lshrrev_b32_e32 v31, 8, v25
	v_cndmask_b32_e32 v10, v24, v10, vcc
	v_lshlrev_b32_e32 v10, 1, v10
	ds_write_b16_d16_hi v10, v11
	v_sub_u32_e32 v10, v62, v26
	v_sub_u32_e32 v11, v1, v10
	v_and_b32_e32 v24, 1, v25
	v_add_u32_e32 v11, 4, v11
	v_cmp_eq_u32_e32 vcc, 1, v24
	v_and_b32_e32 v24, 1, v31
	v_add_u32_e32 v57, v56, v57
	v_cndmask_b32_e32 v10, v11, v10, vcc
	v_lshlrev_b32_e32 v10, 1, v10
	ds_write_b16 v10, v12
	v_sub_u32_e32 v10, v56, v26
	v_sub_u32_e32 v11, v1, v10
	v_add_u32_e32 v11, 5, v11
	v_cmp_eq_u32_e32 vcc, 1, v24
	v_add_u32_e32 v58, v57, v58
	v_add_u32_e32 v63, v58, v40
	v_cndmask_b32_e32 v10, v11, v10, vcc
	v_lshlrev_b32_e32 v10, 1, v10
	ds_write_b16_d16_hi v10, v12
	v_sub_u32_e32 v10, v57, v26
	v_sub_u32_e32 v11, v1, v10
	v_and_b32_sdwa v12, v33, v25 dst_sel:DWORD dst_unused:UNUSED_PAD src0_sel:DWORD src1_sel:WORD_1
	v_add_u32_e32 v11, 6, v11
	v_cmp_eq_u32_e32 vcc, 1, v12
	v_and_b32_e32 v12, 1, v40
	v_add_u32_e32 v53, v63, v53
	v_cndmask_b32_e32 v10, v11, v10, vcc
	v_lshlrev_b32_e32 v10, 1, v10
	ds_write_b16 v10, v13
	v_sub_u32_e32 v10, v58, v26
	v_sub_u32_e32 v11, v1, v10
	v_add_u32_e32 v11, 7, v11
	v_cmp_eq_u32_e32 vcc, 1, v12
	v_and_b32_e32 v12, 1, v22
	v_lshrrev_b32_e32 v30, 8, v22
	v_cndmask_b32_e32 v10, v11, v10, vcc
	v_lshlrev_b32_e32 v10, 1, v10
	ds_write_b16_d16_hi v10, v13
	v_sub_u32_e32 v10, v63, v26
	v_sub_u32_e32 v11, v1, v10
	v_add_u32_e32 v11, 8, v11
	v_cmp_eq_u32_e32 vcc, 1, v12
	v_and_b32_e32 v12, 1, v30
	v_add_u32_e32 v54, v53, v54
	v_cndmask_b32_e32 v10, v11, v10, vcc
	v_lshlrev_b32_e32 v10, 1, v10
	ds_write_b16 v10, v6
	v_sub_u32_e32 v10, v53, v26
	v_sub_u32_e32 v11, v1, v10
	v_add_u32_e32 v11, 9, v11
	v_cmp_eq_u32_e32 vcc, 1, v12
	v_add_u32_e32 v55, v54, v55
	v_add_u32_e32 v64, v55, v39
	v_cndmask_b32_e32 v10, v11, v10, vcc
	v_lshlrev_b32_e32 v10, 1, v10
	ds_write_b16_d16_hi v10, v6
	v_sub_u32_e32 v6, v54, v26
	v_sub_u32_e32 v10, v1, v6
	v_and_b32_sdwa v11, v33, v22 dst_sel:DWORD dst_unused:UNUSED_PAD src0_sel:DWORD src1_sel:WORD_1
	v_add_u32_e32 v10, 10, v10
	v_cmp_eq_u32_e32 vcc, 1, v11
	v_and_b32_e32 v11, 1, v39
	v_add_u32_e32 v50, v64, v50
	v_cndmask_b32_e32 v6, v10, v6, vcc
	v_lshlrev_b32_e32 v6, 1, v6
	ds_write_b16 v6, v7
	v_sub_u32_e32 v6, v55, v26
	v_sub_u32_e32 v10, v1, v6
	v_add_u32_e32 v10, 11, v10
	v_cmp_eq_u32_e32 vcc, 1, v11
	v_lshrrev_b32_e32 v29, 8, v23
	v_add_u32_e32 v51, v50, v51
	v_cndmask_b32_e32 v6, v10, v6, vcc
	v_lshlrev_b32_e32 v6, 1, v6
	ds_write_b16_d16_hi v6, v7
	v_sub_u32_e32 v6, v64, v26
	v_sub_u32_e32 v7, v1, v6
	v_and_b32_e32 v10, 1, v23
	v_add_u32_e32 v7, 12, v7
	v_cmp_eq_u32_e32 vcc, 1, v10
	v_and_b32_e32 v10, 1, v29
	v_add_u32_e32 v52, v51, v52
	v_cndmask_b32_e32 v6, v7, v6, vcc
	v_lshlrev_b32_e32 v6, 1, v6
	ds_write_b16 v6, v8
	v_sub_u32_e32 v6, v50, v26
	v_sub_u32_e32 v7, v1, v6
	v_add_u32_e32 v7, 13, v7
	v_cmp_eq_u32_e32 vcc, 1, v10
	v_add_u32_e32 v65, v52, v38
	v_add_u32_e32 v47, v65, v47
	v_cndmask_b32_e32 v6, v7, v6, vcc
	v_lshlrev_b32_e32 v6, 1, v6
	ds_write_b16_d16_hi v6, v8
	v_sub_u32_e32 v6, v51, v26
	v_sub_u32_e32 v7, v1, v6
	v_and_b32_sdwa v8, v33, v23 dst_sel:DWORD dst_unused:UNUSED_PAD src0_sel:DWORD src1_sel:WORD_1
	v_add_u32_e32 v7, 14, v7
	v_cmp_eq_u32_e32 vcc, 1, v8
	v_and_b32_e32 v8, 1, v38
	v_lshrrev_b32_e32 v28, 8, v20
	v_cndmask_b32_e32 v6, v7, v6, vcc
	v_lshlrev_b32_e32 v6, 1, v6
	ds_write_b16 v6, v9
	v_sub_u32_e32 v6, v52, v26
	v_sub_u32_e32 v7, v1, v6
	v_add_u32_e32 v7, 15, v7
	v_cmp_eq_u32_e32 vcc, 1, v8
	v_and_b32_e32 v8, 1, v20
	v_add_u32_e32 v48, v47, v48
	v_cndmask_b32_e32 v6, v7, v6, vcc
	v_lshlrev_b32_e32 v6, 1, v6
	ds_write_b16_d16_hi v6, v9
	v_sub_u32_e32 v6, v65, v26
	v_sub_u32_e32 v7, v1, v6
	v_add_u32_e32 v7, 16, v7
	v_cmp_eq_u32_e32 vcc, 1, v8
	v_and_b32_e32 v8, 1, v28
	v_add_u32_e32 v49, v48, v49
	v_cndmask_b32_e32 v6, v7, v6, vcc
	v_lshlrev_b32_e32 v6, 1, v6
	ds_write_b16 v6, v2
	v_sub_u32_e32 v6, v47, v26
	v_sub_u32_e32 v7, v1, v6
	v_add_u32_e32 v7, 17, v7
	v_cmp_eq_u32_e32 vcc, 1, v8
	v_add_u32_e32 v66, v49, v37
	v_add_u32_e32 v44, v66, v44
	v_cndmask_b32_e32 v6, v7, v6, vcc
	v_lshlrev_b32_e32 v6, 1, v6
	ds_write_b16_d16_hi v6, v2
	v_sub_u32_e32 v2, v48, v26
	v_sub_u32_e32 v6, v1, v2
	v_and_b32_sdwa v7, v33, v20 dst_sel:DWORD dst_unused:UNUSED_PAD src0_sel:DWORD src1_sel:WORD_1
	v_add_u32_e32 v6, 18, v6
	v_cmp_eq_u32_e32 vcc, 1, v7
	v_and_b32_e32 v7, 1, v37
	v_lshrrev_b32_e32 v27, 8, v21
	v_cndmask_b32_e32 v2, v6, v2, vcc
	v_lshlrev_b32_e32 v2, 1, v2
	ds_write_b16 v2, v3
	v_sub_u32_e32 v2, v49, v26
	v_sub_u32_e32 v6, v1, v2
	v_add_u32_e32 v6, 19, v6
	v_cmp_eq_u32_e32 vcc, 1, v7
	v_add_u32_e32 v45, v44, v45
	v_add_u32_e32 v46, v45, v46
	v_cndmask_b32_e32 v2, v6, v2, vcc
	v_lshlrev_b32_e32 v2, 1, v2
	ds_write_b16_d16_hi v2, v3
	v_sub_u32_e32 v2, v66, v26
	v_sub_u32_e32 v3, v1, v2
	v_and_b32_e32 v6, 1, v21
	v_add_u32_e32 v3, 20, v3
	v_cmp_eq_u32_e32 vcc, 1, v6
	v_and_b32_e32 v6, 1, v27
	v_add_u32_e32 v67, v46, v36
	v_cndmask_b32_e32 v2, v3, v2, vcc
	v_lshlrev_b32_e32 v2, 1, v2
	ds_write_b16 v2, v4
	v_sub_u32_e32 v2, v44, v26
	v_sub_u32_e32 v3, v1, v2
	v_add_u32_e32 v3, 21, v3
	v_cmp_eq_u32_e32 vcc, 1, v6
	v_add_u32_e32 v42, v67, v42
	v_lshrrev_b32_e32 v19, 8, v34
	v_cndmask_b32_e32 v2, v3, v2, vcc
	v_lshlrev_b32_e32 v2, 1, v2
	ds_write_b16_d16_hi v2, v4
	v_sub_u32_e32 v2, v45, v26
	v_sub_u32_e32 v3, v1, v2
	v_and_b32_sdwa v4, v33, v21 dst_sel:DWORD dst_unused:UNUSED_PAD src0_sel:DWORD src1_sel:WORD_1
	v_add_u32_e32 v3, 22, v3
	v_cmp_eq_u32_e32 vcc, 1, v4
	v_and_b32_e32 v4, 1, v36
	v_add_u32_e32 v43, v42, v43
	v_cndmask_b32_e32 v2, v3, v2, vcc
	v_lshlrev_b32_e32 v2, 1, v2
	ds_write_b16 v2, v5
	v_sub_u32_e32 v2, v46, v26
	v_sub_u32_e32 v3, v1, v2
	v_add_u32_e32 v3, 23, v3
	v_cmp_eq_u32_e32 vcc, 1, v4
	v_and_b32_e32 v4, 1, v34
	v_mov_b32_e32 v27, 0
	v_cndmask_b32_e32 v2, v3, v2, vcc
	v_lshlrev_b32_e32 v2, 1, v2
	ds_write_b16_d16_hi v2, v5
	v_sub_u32_e32 v2, v67, v26
	v_sub_u32_e32 v3, v1, v2
	v_add_u32_e32 v3, 24, v3
	v_cmp_eq_u32_e32 vcc, 1, v4
	v_and_b32_e32 v4, 1, v19
	v_mov_b32_e32 v19, v27
	v_cndmask_b32_e32 v2, v3, v2, vcc
	v_lshlrev_b32_e32 v2, 1, v2
	ds_write_b16 v2, v16
	v_sub_u32_e32 v2, v42, v26
	v_sub_u32_e32 v3, v1, v2
	v_add_u32_e32 v3, 25, v3
	v_cmp_eq_u32_e32 vcc, 1, v4
	v_and_b32_sdwa v4, v33, v34 dst_sel:DWORD dst_unused:UNUSED_PAD src0_sel:DWORD src1_sel:WORD_1
	s_load_dwordx2 s[0:1], s[0:1], 0x40
	v_cndmask_b32_e32 v2, v3, v2, vcc
	v_lshlrev_b32_e32 v2, 1, v2
	ds_write_b16_d16_hi v2, v16
	v_sub_u32_e32 v2, v43, v26
	v_sub_u32_e32 v3, v1, v2
	v_add_u32_e32 v3, 26, v3
	v_cmp_eq_u32_e32 vcc, 1, v4
	v_mov_b32_e32 v5, s27
	v_or_b32_e32 v62, 0x200, v0
	v_cndmask_b32_e32 v2, v3, v2, vcc
	v_lshlrev_b32_e32 v2, 1, v2
	ds_write_b16 v2, v17
	v_sub_u32_e32 v2, v35, v26
	v_add_u32_e32 v2, v43, v2
	v_sub_u32_e32 v1, v1, v2
	v_and_b32_e32 v3, 1, v15
	v_add_u32_e32 v1, 27, v1
	v_cmp_eq_u32_e32 vcc, 1, v3
	v_or_b32_e32 v60, 0x400, v0
	v_or_b32_e32 v58, 0x600, v0
	v_cndmask_b32_e32 v1, v1, v2, vcc
	v_lshlrev_b32_e32 v1, 1, v1
	ds_write_b16_d16_hi v1, v17
	s_waitcnt lgkmcnt(0)
	s_barrier
	ds_read_u16 v64, v14
	ds_read_u16 v63, v14 offset:1024
	ds_read_u16 v61, v14 offset:2048
	;; [unrolled: 1-line block ×27, first 2 shown]
	v_lshl_add_u64 v[2:3], s[24:25], 0, v[18:19]
	v_lshl_add_u64 v[2:3], v[2:3], 0, v[26:27]
	v_sub_co_u32_e32 v4, vcc, s26, v2
	v_or_b32_e32 v56, 0x800, v0
	s_nop 0
	v_subb_co_u32_e32 v5, vcc, v5, v3, vcc
	v_lshlrev_b64 v[4:5], 1, v[4:5]
	v_lshl_add_u64 v[4:5], s[0:1], 0, v[4:5]
	v_or_b32_e32 v54, 0xa00, v0
	v_or_b32_e32 v52, 0xc00, v0
	;; [unrolled: 1-line block ×23, first 2 shown]
	v_lshl_add_u64 v[4:5], v[4:5], 0, s[30:31]
	s_andn2_b64 vcc, exec, s[28:29]
	v_cmp_ge_u32_e64 s[0:1], v0, v18
	s_cbranch_vccnz .LBB3436_191
; %bb.162:
	s_and_saveexec_b64 s[2:3], s[0:1]
	s_cbranch_execnz .LBB3436_252
; %bb.163:
	s_or_b64 exec, exec, s[2:3]
	v_cmp_ge_u32_e32 vcc, v62, v18
	s_and_saveexec_b64 s[0:1], vcc
	s_cbranch_execnz .LBB3436_253
.LBB3436_164:
	s_or_b64 exec, exec, s[0:1]
	v_cmp_ge_u32_e32 vcc, v60, v18
	s_and_saveexec_b64 s[0:1], vcc
	s_cbranch_execnz .LBB3436_254
.LBB3436_165:
	s_or_b64 exec, exec, s[0:1]
	v_cmp_ge_u32_e32 vcc, v58, v18
	s_and_saveexec_b64 s[0:1], vcc
	s_cbranch_execnz .LBB3436_255
.LBB3436_166:
	s_or_b64 exec, exec, s[0:1]
	v_cmp_ge_u32_e32 vcc, v56, v18
	s_and_saveexec_b64 s[0:1], vcc
	s_cbranch_execnz .LBB3436_256
.LBB3436_167:
	s_or_b64 exec, exec, s[0:1]
	v_cmp_ge_u32_e32 vcc, v54, v18
	s_and_saveexec_b64 s[0:1], vcc
	s_cbranch_execnz .LBB3436_257
.LBB3436_168:
	s_or_b64 exec, exec, s[0:1]
	v_cmp_ge_u32_e32 vcc, v52, v18
	s_and_saveexec_b64 s[0:1], vcc
	s_cbranch_execnz .LBB3436_258
.LBB3436_169:
	s_or_b64 exec, exec, s[0:1]
	v_cmp_ge_u32_e32 vcc, v49, v18
	s_and_saveexec_b64 s[0:1], vcc
	s_cbranch_execnz .LBB3436_259
.LBB3436_170:
	s_or_b64 exec, exec, s[0:1]
	v_cmp_ge_u32_e32 vcc, v48, v18
	s_and_saveexec_b64 s[0:1], vcc
	s_cbranch_execnz .LBB3436_260
.LBB3436_171:
	s_or_b64 exec, exec, s[0:1]
	v_cmp_ge_u32_e32 vcc, v46, v18
	s_and_saveexec_b64 s[0:1], vcc
	s_cbranch_execnz .LBB3436_261
.LBB3436_172:
	s_or_b64 exec, exec, s[0:1]
	v_cmp_ge_u32_e32 vcc, v44, v18
	s_and_saveexec_b64 s[0:1], vcc
	s_cbranch_execnz .LBB3436_262
.LBB3436_173:
	s_or_b64 exec, exec, s[0:1]
	v_cmp_ge_u32_e32 vcc, v42, v18
	s_and_saveexec_b64 s[0:1], vcc
	s_cbranch_execnz .LBB3436_263
.LBB3436_174:
	s_or_b64 exec, exec, s[0:1]
	v_cmp_ge_u32_e32 vcc, v40, v18
	s_and_saveexec_b64 s[0:1], vcc
	s_cbranch_execnz .LBB3436_264
.LBB3436_175:
	s_or_b64 exec, exec, s[0:1]
	v_cmp_ge_u32_e32 vcc, v38, v18
	s_and_saveexec_b64 s[0:1], vcc
	s_cbranch_execnz .LBB3436_265
.LBB3436_176:
	s_or_b64 exec, exec, s[0:1]
	v_cmp_ge_u32_e32 vcc, v36, v18
	s_and_saveexec_b64 s[0:1], vcc
	s_cbranch_execnz .LBB3436_266
.LBB3436_177:
	s_or_b64 exec, exec, s[0:1]
	v_cmp_ge_u32_e32 vcc, v33, v18
	s_and_saveexec_b64 s[0:1], vcc
	s_cbranch_execnz .LBB3436_267
.LBB3436_178:
	s_or_b64 exec, exec, s[0:1]
	v_cmp_ge_u32_e32 vcc, v32, v18
	s_and_saveexec_b64 s[0:1], vcc
	s_cbranch_execnz .LBB3436_268
.LBB3436_179:
	s_or_b64 exec, exec, s[0:1]
	v_cmp_ge_u32_e32 vcc, v30, v18
	s_and_saveexec_b64 s[0:1], vcc
	s_cbranch_execnz .LBB3436_269
.LBB3436_180:
	s_or_b64 exec, exec, s[0:1]
	v_cmp_ge_u32_e32 vcc, v28, v18
	s_and_saveexec_b64 s[0:1], vcc
	s_cbranch_execnz .LBB3436_270
.LBB3436_181:
	s_or_b64 exec, exec, s[0:1]
	v_cmp_ge_u32_e32 vcc, v24, v18
	s_and_saveexec_b64 s[0:1], vcc
	s_cbranch_execnz .LBB3436_271
.LBB3436_182:
	s_or_b64 exec, exec, s[0:1]
	v_cmp_ge_u32_e32 vcc, v22, v18
	s_and_saveexec_b64 s[0:1], vcc
	s_cbranch_execnz .LBB3436_272
.LBB3436_183:
	s_or_b64 exec, exec, s[0:1]
	v_cmp_ge_u32_e32 vcc, v20, v18
	s_and_saveexec_b64 s[0:1], vcc
	s_cbranch_execnz .LBB3436_273
.LBB3436_184:
	s_or_b64 exec, exec, s[0:1]
	v_cmp_ge_u32_e32 vcc, v16, v18
	s_and_saveexec_b64 s[0:1], vcc
	s_cbranch_execnz .LBB3436_274
.LBB3436_185:
	s_or_b64 exec, exec, s[0:1]
	v_cmp_ge_u32_e32 vcc, v13, v18
	s_and_saveexec_b64 s[0:1], vcc
	s_cbranch_execnz .LBB3436_275
.LBB3436_186:
	s_or_b64 exec, exec, s[0:1]
	v_cmp_ge_u32_e32 vcc, v11, v18
	s_and_saveexec_b64 s[0:1], vcc
	s_cbranch_execnz .LBB3436_276
.LBB3436_187:
	s_or_b64 exec, exec, s[0:1]
	v_cmp_ge_u32_e32 vcc, v9, v18
	s_and_saveexec_b64 s[0:1], vcc
	s_cbranch_execnz .LBB3436_277
.LBB3436_188:
	s_or_b64 exec, exec, s[0:1]
	v_cmp_ge_u32_e32 vcc, v8, v18
	s_and_saveexec_b64 s[0:1], vcc
	s_cbranch_execz .LBB3436_190
.LBB3436_189:
	v_lshlrev_b32_e32 v19, 1, v8
	v_readfirstlane_b32 s2, v4
	v_readfirstlane_b32 s3, v5
	s_waitcnt lgkmcnt(1)
	s_nop 3
	global_store_short v19, v7, s[2:3]
.LBB3436_190:
	s_or_b64 exec, exec, s[0:1]
	v_cmp_ge_u32_e64 s[0:1], v6, v18
	s_branch .LBB3436_247
.LBB3436_191:
	s_mov_b64 s[0:1], 0
	s_cbranch_execz .LBB3436_247
; %bb.192:
	v_cmp_gt_u32_e32 vcc, s33, v0
	v_cmp_ge_u32_e64 s[0:1], v0, v18
	s_and_b64 s[2:3], vcc, s[0:1]
	s_and_saveexec_b64 s[0:1], s[2:3]
	s_cbranch_execz .LBB3436_194
; %bb.193:
	v_readfirstlane_b32 s2, v4
	v_readfirstlane_b32 s3, v5
	s_waitcnt lgkmcnt(14)
	s_nop 3
	global_store_short v14, v64, s[2:3]
.LBB3436_194:
	s_or_b64 exec, exec, s[0:1]
	v_cmp_gt_u32_e32 vcc, s33, v62
	v_cmp_ge_u32_e64 s[0:1], v62, v18
	s_and_b64 s[2:3], vcc, s[0:1]
	s_and_saveexec_b64 s[0:1], s[2:3]
	s_cbranch_execz .LBB3436_196
; %bb.195:
	v_readfirstlane_b32 s2, v4
	v_readfirstlane_b32 s3, v5
	s_waitcnt lgkmcnt(14)
	s_nop 3
	global_store_short v14, v63, s[2:3] offset:1024
.LBB3436_196:
	s_or_b64 exec, exec, s[0:1]
	v_cmp_gt_u32_e32 vcc, s33, v60
	v_cmp_ge_u32_e64 s[0:1], v60, v18
	s_and_b64 s[2:3], vcc, s[0:1]
	s_and_saveexec_b64 s[0:1], s[2:3]
	s_cbranch_execz .LBB3436_198
; %bb.197:
	v_readfirstlane_b32 s2, v4
	v_readfirstlane_b32 s3, v5
	s_waitcnt lgkmcnt(14)
	s_nop 3
	global_store_short v14, v61, s[2:3] offset:2048
.LBB3436_198:
	;; [unrolled: 13-line block ×3, first 2 shown]
	s_or_b64 exec, exec, s[0:1]
	v_cmp_gt_u32_e32 vcc, s33, v56
	v_cmp_ge_u32_e64 s[0:1], v56, v18
	s_and_b64 s[2:3], vcc, s[0:1]
	s_and_saveexec_b64 s[0:1], s[2:3]
	s_cbranch_execz .LBB3436_202
; %bb.201:
	v_lshlrev_b32_e32 v14, 1, v56
	v_readfirstlane_b32 s2, v4
	v_readfirstlane_b32 s3, v5
	s_waitcnt lgkmcnt(14)
	s_nop 3
	global_store_short v14, v57, s[2:3]
.LBB3436_202:
	s_or_b64 exec, exec, s[0:1]
	v_cmp_gt_u32_e32 vcc, s33, v54
	v_cmp_ge_u32_e64 s[0:1], v54, v18
	s_and_b64 s[2:3], vcc, s[0:1]
	s_and_saveexec_b64 s[0:1], s[2:3]
	s_cbranch_execz .LBB3436_204
; %bb.203:
	v_lshlrev_b32_e32 v14, 1, v54
	v_readfirstlane_b32 s2, v4
	v_readfirstlane_b32 s3, v5
	s_waitcnt lgkmcnt(14)
	s_nop 3
	global_store_short v14, v55, s[2:3]
.LBB3436_204:
	s_or_b64 exec, exec, s[0:1]
	v_cmp_gt_u32_e32 vcc, s33, v52
	v_cmp_ge_u32_e64 s[0:1], v52, v18
	s_and_b64 s[2:3], vcc, s[0:1]
	s_and_saveexec_b64 s[0:1], s[2:3]
	s_cbranch_execz .LBB3436_206
; %bb.205:
	v_lshlrev_b32_e32 v14, 1, v52
	v_readfirstlane_b32 s2, v4
	v_readfirstlane_b32 s3, v5
	s_waitcnt lgkmcnt(14)
	s_nop 3
	global_store_short v14, v53, s[2:3]
.LBB3436_206:
	s_or_b64 exec, exec, s[0:1]
	v_cmp_gt_u32_e32 vcc, s33, v49
	v_cmp_ge_u32_e64 s[0:1], v49, v18
	s_and_b64 s[2:3], vcc, s[0:1]
	s_and_saveexec_b64 s[0:1], s[2:3]
	s_cbranch_execz .LBB3436_208
; %bb.207:
	v_lshlrev_b32_e32 v14, 1, v49
	v_readfirstlane_b32 s2, v4
	v_readfirstlane_b32 s3, v5
	s_waitcnt lgkmcnt(14)
	s_nop 3
	global_store_short v14, v51, s[2:3]
.LBB3436_208:
	s_or_b64 exec, exec, s[0:1]
	v_cmp_gt_u32_e32 vcc, s33, v48
	v_cmp_ge_u32_e64 s[0:1], v48, v18
	s_and_b64 s[2:3], vcc, s[0:1]
	s_and_saveexec_b64 s[0:1], s[2:3]
	s_cbranch_execz .LBB3436_210
; %bb.209:
	v_lshlrev_b32_e32 v14, 1, v48
	v_readfirstlane_b32 s2, v4
	v_readfirstlane_b32 s3, v5
	s_waitcnt lgkmcnt(14)
	s_nop 3
	global_store_short v14, v50, s[2:3]
.LBB3436_210:
	s_or_b64 exec, exec, s[0:1]
	v_cmp_gt_u32_e32 vcc, s33, v46
	v_cmp_ge_u32_e64 s[0:1], v46, v18
	s_and_b64 s[2:3], vcc, s[0:1]
	s_and_saveexec_b64 s[0:1], s[2:3]
	s_cbranch_execz .LBB3436_212
; %bb.211:
	v_lshlrev_b32_e32 v14, 1, v46
	v_readfirstlane_b32 s2, v4
	v_readfirstlane_b32 s3, v5
	s_waitcnt lgkmcnt(14)
	s_nop 3
	global_store_short v14, v47, s[2:3]
.LBB3436_212:
	s_or_b64 exec, exec, s[0:1]
	v_cmp_gt_u32_e32 vcc, s33, v44
	v_cmp_ge_u32_e64 s[0:1], v44, v18
	s_and_b64 s[2:3], vcc, s[0:1]
	s_and_saveexec_b64 s[0:1], s[2:3]
	s_cbranch_execz .LBB3436_214
; %bb.213:
	v_lshlrev_b32_e32 v14, 1, v44
	v_readfirstlane_b32 s2, v4
	v_readfirstlane_b32 s3, v5
	s_waitcnt lgkmcnt(14)
	s_nop 3
	global_store_short v14, v45, s[2:3]
.LBB3436_214:
	s_or_b64 exec, exec, s[0:1]
	v_cmp_gt_u32_e32 vcc, s33, v42
	v_cmp_ge_u32_e64 s[0:1], v42, v18
	s_and_b64 s[2:3], vcc, s[0:1]
	s_and_saveexec_b64 s[0:1], s[2:3]
	s_cbranch_execz .LBB3436_216
; %bb.215:
	v_lshlrev_b32_e32 v14, 1, v42
	v_readfirstlane_b32 s2, v4
	v_readfirstlane_b32 s3, v5
	s_waitcnt lgkmcnt(14)
	s_nop 3
	global_store_short v14, v43, s[2:3]
.LBB3436_216:
	s_or_b64 exec, exec, s[0:1]
	v_cmp_gt_u32_e32 vcc, s33, v40
	v_cmp_ge_u32_e64 s[0:1], v40, v18
	s_and_b64 s[2:3], vcc, s[0:1]
	s_and_saveexec_b64 s[0:1], s[2:3]
	s_cbranch_execz .LBB3436_218
; %bb.217:
	v_lshlrev_b32_e32 v14, 1, v40
	v_readfirstlane_b32 s2, v4
	v_readfirstlane_b32 s3, v5
	s_waitcnt lgkmcnt(14)
	s_nop 3
	global_store_short v14, v41, s[2:3]
.LBB3436_218:
	s_or_b64 exec, exec, s[0:1]
	v_cmp_gt_u32_e32 vcc, s33, v38
	v_cmp_ge_u32_e64 s[0:1], v38, v18
	s_and_b64 s[2:3], vcc, s[0:1]
	s_and_saveexec_b64 s[0:1], s[2:3]
	s_cbranch_execz .LBB3436_220
; %bb.219:
	v_lshlrev_b32_e32 v14, 1, v38
	v_readfirstlane_b32 s2, v4
	v_readfirstlane_b32 s3, v5
	s_waitcnt lgkmcnt(14)
	s_nop 3
	global_store_short v14, v39, s[2:3]
.LBB3436_220:
	s_or_b64 exec, exec, s[0:1]
	v_cmp_gt_u32_e32 vcc, s33, v36
	v_cmp_ge_u32_e64 s[0:1], v36, v18
	s_and_b64 s[2:3], vcc, s[0:1]
	s_and_saveexec_b64 s[0:1], s[2:3]
	s_cbranch_execz .LBB3436_222
; %bb.221:
	v_lshlrev_b32_e32 v14, 1, v36
	v_readfirstlane_b32 s2, v4
	v_readfirstlane_b32 s3, v5
	s_waitcnt lgkmcnt(13)
	s_nop 3
	global_store_short v14, v37, s[2:3]
.LBB3436_222:
	s_or_b64 exec, exec, s[0:1]
	v_cmp_gt_u32_e32 vcc, s33, v33
	v_cmp_ge_u32_e64 s[0:1], v33, v18
	s_and_b64 s[2:3], vcc, s[0:1]
	s_and_saveexec_b64 s[0:1], s[2:3]
	s_cbranch_execz .LBB3436_224
; %bb.223:
	v_lshlrev_b32_e32 v14, 1, v33
	v_readfirstlane_b32 s2, v4
	v_readfirstlane_b32 s3, v5
	s_waitcnt lgkmcnt(12)
	s_nop 3
	global_store_short v14, v35, s[2:3]
.LBB3436_224:
	s_or_b64 exec, exec, s[0:1]
	v_cmp_gt_u32_e32 vcc, s33, v32
	v_cmp_ge_u32_e64 s[0:1], v32, v18
	s_and_b64 s[2:3], vcc, s[0:1]
	s_and_saveexec_b64 s[0:1], s[2:3]
	s_cbranch_execz .LBB3436_226
; %bb.225:
	v_lshlrev_b32_e32 v14, 1, v32
	v_readfirstlane_b32 s2, v4
	v_readfirstlane_b32 s3, v5
	s_waitcnt lgkmcnt(11)
	s_nop 3
	global_store_short v14, v34, s[2:3]
.LBB3436_226:
	s_or_b64 exec, exec, s[0:1]
	v_cmp_gt_u32_e32 vcc, s33, v30
	v_cmp_ge_u32_e64 s[0:1], v30, v18
	s_and_b64 s[2:3], vcc, s[0:1]
	s_and_saveexec_b64 s[0:1], s[2:3]
	s_cbranch_execz .LBB3436_228
; %bb.227:
	v_lshlrev_b32_e32 v14, 1, v30
	v_readfirstlane_b32 s2, v4
	v_readfirstlane_b32 s3, v5
	s_waitcnt lgkmcnt(10)
	s_nop 3
	global_store_short v14, v31, s[2:3]
.LBB3436_228:
	s_or_b64 exec, exec, s[0:1]
	v_cmp_gt_u32_e32 vcc, s33, v28
	v_cmp_ge_u32_e64 s[0:1], v28, v18
	s_and_b64 s[2:3], vcc, s[0:1]
	s_and_saveexec_b64 s[0:1], s[2:3]
	s_cbranch_execz .LBB3436_230
; %bb.229:
	v_lshlrev_b32_e32 v14, 1, v28
	v_readfirstlane_b32 s2, v4
	v_readfirstlane_b32 s3, v5
	s_waitcnt lgkmcnt(9)
	s_nop 3
	global_store_short v14, v29, s[2:3]
.LBB3436_230:
	s_or_b64 exec, exec, s[0:1]
	v_cmp_gt_u32_e32 vcc, s33, v24
	v_cmp_ge_u32_e64 s[0:1], v24, v18
	s_and_b64 s[2:3], vcc, s[0:1]
	s_and_saveexec_b64 s[0:1], s[2:3]
	s_cbranch_execz .LBB3436_232
; %bb.231:
	v_lshlrev_b32_e32 v14, 1, v24
	v_readfirstlane_b32 s2, v4
	v_readfirstlane_b32 s3, v5
	s_waitcnt lgkmcnt(8)
	s_nop 3
	global_store_short v14, v25, s[2:3]
.LBB3436_232:
	s_or_b64 exec, exec, s[0:1]
	v_cmp_gt_u32_e32 vcc, s33, v22
	v_cmp_ge_u32_e64 s[0:1], v22, v18
	s_and_b64 s[2:3], vcc, s[0:1]
	s_and_saveexec_b64 s[0:1], s[2:3]
	s_cbranch_execz .LBB3436_234
; %bb.233:
	v_lshlrev_b32_e32 v14, 1, v22
	v_readfirstlane_b32 s2, v4
	v_readfirstlane_b32 s3, v5
	s_waitcnt lgkmcnt(7)
	s_nop 3
	global_store_short v14, v23, s[2:3]
.LBB3436_234:
	s_or_b64 exec, exec, s[0:1]
	v_cmp_gt_u32_e32 vcc, s33, v20
	v_cmp_ge_u32_e64 s[0:1], v20, v18
	s_and_b64 s[2:3], vcc, s[0:1]
	s_and_saveexec_b64 s[0:1], s[2:3]
	s_cbranch_execz .LBB3436_236
; %bb.235:
	v_lshlrev_b32_e32 v14, 1, v20
	v_readfirstlane_b32 s2, v4
	v_readfirstlane_b32 s3, v5
	s_waitcnt lgkmcnt(6)
	s_nop 3
	global_store_short v14, v21, s[2:3]
.LBB3436_236:
	s_or_b64 exec, exec, s[0:1]
	v_cmp_gt_u32_e32 vcc, s33, v16
	v_cmp_ge_u32_e64 s[0:1], v16, v18
	s_and_b64 s[2:3], vcc, s[0:1]
	s_and_saveexec_b64 s[0:1], s[2:3]
	s_cbranch_execz .LBB3436_238
; %bb.237:
	v_lshlrev_b32_e32 v14, 1, v16
	v_readfirstlane_b32 s2, v4
	v_readfirstlane_b32 s3, v5
	s_waitcnt lgkmcnt(5)
	s_nop 3
	global_store_short v14, v17, s[2:3]
.LBB3436_238:
	s_or_b64 exec, exec, s[0:1]
	v_cmp_gt_u32_e32 vcc, s33, v13
	v_cmp_ge_u32_e64 s[0:1], v13, v18
	s_and_b64 s[2:3], vcc, s[0:1]
	s_and_saveexec_b64 s[0:1], s[2:3]
	s_cbranch_execz .LBB3436_240
; %bb.239:
	v_lshlrev_b32_e32 v13, 1, v13
	v_readfirstlane_b32 s2, v4
	v_readfirstlane_b32 s3, v5
	s_waitcnt lgkmcnt(4)
	s_nop 3
	global_store_short v13, v15, s[2:3]
.LBB3436_240:
	s_or_b64 exec, exec, s[0:1]
	v_cmp_gt_u32_e32 vcc, s33, v11
	v_cmp_ge_u32_e64 s[0:1], v11, v18
	s_and_b64 s[2:3], vcc, s[0:1]
	s_and_saveexec_b64 s[0:1], s[2:3]
	s_cbranch_execz .LBB3436_242
; %bb.241:
	v_lshlrev_b32_e32 v11, 1, v11
	v_readfirstlane_b32 s2, v4
	v_readfirstlane_b32 s3, v5
	s_waitcnt lgkmcnt(3)
	s_nop 3
	global_store_short v11, v12, s[2:3]
.LBB3436_242:
	s_or_b64 exec, exec, s[0:1]
	v_cmp_gt_u32_e32 vcc, s33, v9
	v_cmp_ge_u32_e64 s[0:1], v9, v18
	s_and_b64 s[2:3], vcc, s[0:1]
	s_and_saveexec_b64 s[0:1], s[2:3]
	s_cbranch_execz .LBB3436_244
; %bb.243:
	v_lshlrev_b32_e32 v9, 1, v9
	v_readfirstlane_b32 s2, v4
	v_readfirstlane_b32 s3, v5
	s_waitcnt lgkmcnt(2)
	s_nop 3
	global_store_short v9, v10, s[2:3]
.LBB3436_244:
	s_or_b64 exec, exec, s[0:1]
	v_cmp_gt_u32_e32 vcc, s33, v8
	v_cmp_ge_u32_e64 s[0:1], v8, v18
	s_and_b64 s[2:3], vcc, s[0:1]
	s_and_saveexec_b64 s[0:1], s[2:3]
	s_cbranch_execz .LBB3436_246
; %bb.245:
	v_lshlrev_b32_e32 v8, 1, v8
	v_readfirstlane_b32 s2, v4
	v_readfirstlane_b32 s3, v5
	s_waitcnt lgkmcnt(1)
	s_nop 3
	global_store_short v8, v7, s[2:3]
.LBB3436_246:
	s_or_b64 exec, exec, s[0:1]
	v_cmp_gt_u32_e32 vcc, s33, v6
	v_cmp_ge_u32_e64 s[0:1], v6, v18
	s_and_b64 s[0:1], vcc, s[0:1]
.LBB3436_247:
	s_and_saveexec_b64 s[2:3], s[0:1]
	s_cbranch_execz .LBB3436_249
; %bb.248:
	v_lshlrev_b32_e32 v6, 1, v6
	v_readfirstlane_b32 s0, v4
	v_readfirstlane_b32 s1, v5
	s_waitcnt lgkmcnt(0)
	s_nop 3
	global_store_short v6, v1, s[0:1]
.LBB3436_249:
	s_or_b64 exec, exec, s[2:3]
	v_cmp_eq_u32_e32 vcc, 0, v0
	s_and_b64 s[0:1], vcc, s[22:23]
	s_and_saveexec_b64 s[2:3], s[0:1]
	s_cbranch_execz .LBB3436_251
; %bb.250:
	v_mov_b32_e32 v0, 0
	global_store_dwordx2 v0, v[2:3], s[20:21]
.LBB3436_251:
	s_endpgm
.LBB3436_252:
	v_readfirstlane_b32 s0, v4
	v_readfirstlane_b32 s1, v5
	s_waitcnt lgkmcnt(14)
	s_nop 3
	global_store_short v14, v64, s[0:1]
	s_or_b64 exec, exec, s[2:3]
	v_cmp_ge_u32_e32 vcc, v62, v18
	s_and_saveexec_b64 s[0:1], vcc
	s_cbranch_execz .LBB3436_164
.LBB3436_253:
	v_readfirstlane_b32 s2, v4
	v_readfirstlane_b32 s3, v5
	s_waitcnt lgkmcnt(14)
	s_nop 3
	global_store_short v14, v63, s[2:3] offset:1024
	s_or_b64 exec, exec, s[0:1]
	v_cmp_ge_u32_e32 vcc, v60, v18
	s_and_saveexec_b64 s[0:1], vcc
	s_cbranch_execz .LBB3436_165
.LBB3436_254:
	v_readfirstlane_b32 s2, v4
	v_readfirstlane_b32 s3, v5
	s_waitcnt lgkmcnt(14)
	s_nop 3
	global_store_short v14, v61, s[2:3] offset:2048
	s_or_b64 exec, exec, s[0:1]
	v_cmp_ge_u32_e32 vcc, v58, v18
	s_and_saveexec_b64 s[0:1], vcc
	s_cbranch_execz .LBB3436_166
.LBB3436_255:
	v_readfirstlane_b32 s2, v4
	v_readfirstlane_b32 s3, v5
	s_waitcnt lgkmcnt(14)
	s_nop 3
	global_store_short v14, v59, s[2:3] offset:3072
	s_or_b64 exec, exec, s[0:1]
	v_cmp_ge_u32_e32 vcc, v56, v18
	s_and_saveexec_b64 s[0:1], vcc
	s_cbranch_execz .LBB3436_167
.LBB3436_256:
	v_lshlrev_b32_e32 v19, 1, v56
	v_readfirstlane_b32 s2, v4
	v_readfirstlane_b32 s3, v5
	s_waitcnt lgkmcnt(14)
	s_nop 3
	global_store_short v19, v57, s[2:3]
	s_or_b64 exec, exec, s[0:1]
	v_cmp_ge_u32_e32 vcc, v54, v18
	s_and_saveexec_b64 s[0:1], vcc
	s_cbranch_execz .LBB3436_168
.LBB3436_257:
	v_lshlrev_b32_e32 v19, 1, v54
	v_readfirstlane_b32 s2, v4
	v_readfirstlane_b32 s3, v5
	s_waitcnt lgkmcnt(14)
	s_nop 3
	global_store_short v19, v55, s[2:3]
	s_or_b64 exec, exec, s[0:1]
	v_cmp_ge_u32_e32 vcc, v52, v18
	s_and_saveexec_b64 s[0:1], vcc
	s_cbranch_execz .LBB3436_169
.LBB3436_258:
	v_lshlrev_b32_e32 v19, 1, v52
	v_readfirstlane_b32 s2, v4
	v_readfirstlane_b32 s3, v5
	s_waitcnt lgkmcnt(14)
	s_nop 3
	global_store_short v19, v53, s[2:3]
	s_or_b64 exec, exec, s[0:1]
	v_cmp_ge_u32_e32 vcc, v49, v18
	s_and_saveexec_b64 s[0:1], vcc
	s_cbranch_execz .LBB3436_170
.LBB3436_259:
	v_lshlrev_b32_e32 v19, 1, v49
	v_readfirstlane_b32 s2, v4
	v_readfirstlane_b32 s3, v5
	s_waitcnt lgkmcnt(14)
	s_nop 3
	global_store_short v19, v51, s[2:3]
	s_or_b64 exec, exec, s[0:1]
	v_cmp_ge_u32_e32 vcc, v48, v18
	s_and_saveexec_b64 s[0:1], vcc
	s_cbranch_execz .LBB3436_171
.LBB3436_260:
	v_lshlrev_b32_e32 v19, 1, v48
	v_readfirstlane_b32 s2, v4
	v_readfirstlane_b32 s3, v5
	s_waitcnt lgkmcnt(14)
	s_nop 3
	global_store_short v19, v50, s[2:3]
	s_or_b64 exec, exec, s[0:1]
	v_cmp_ge_u32_e32 vcc, v46, v18
	s_and_saveexec_b64 s[0:1], vcc
	s_cbranch_execz .LBB3436_172
.LBB3436_261:
	v_lshlrev_b32_e32 v19, 1, v46
	v_readfirstlane_b32 s2, v4
	v_readfirstlane_b32 s3, v5
	s_waitcnt lgkmcnt(14)
	s_nop 3
	global_store_short v19, v47, s[2:3]
	s_or_b64 exec, exec, s[0:1]
	v_cmp_ge_u32_e32 vcc, v44, v18
	s_and_saveexec_b64 s[0:1], vcc
	s_cbranch_execz .LBB3436_173
.LBB3436_262:
	v_lshlrev_b32_e32 v19, 1, v44
	v_readfirstlane_b32 s2, v4
	v_readfirstlane_b32 s3, v5
	s_waitcnt lgkmcnt(14)
	s_nop 3
	global_store_short v19, v45, s[2:3]
	s_or_b64 exec, exec, s[0:1]
	v_cmp_ge_u32_e32 vcc, v42, v18
	s_and_saveexec_b64 s[0:1], vcc
	s_cbranch_execz .LBB3436_174
.LBB3436_263:
	v_lshlrev_b32_e32 v19, 1, v42
	v_readfirstlane_b32 s2, v4
	v_readfirstlane_b32 s3, v5
	s_waitcnt lgkmcnt(14)
	s_nop 3
	global_store_short v19, v43, s[2:3]
	s_or_b64 exec, exec, s[0:1]
	v_cmp_ge_u32_e32 vcc, v40, v18
	s_and_saveexec_b64 s[0:1], vcc
	s_cbranch_execz .LBB3436_175
.LBB3436_264:
	v_lshlrev_b32_e32 v19, 1, v40
	v_readfirstlane_b32 s2, v4
	v_readfirstlane_b32 s3, v5
	s_waitcnt lgkmcnt(14)
	s_nop 3
	global_store_short v19, v41, s[2:3]
	s_or_b64 exec, exec, s[0:1]
	v_cmp_ge_u32_e32 vcc, v38, v18
	s_and_saveexec_b64 s[0:1], vcc
	s_cbranch_execz .LBB3436_176
.LBB3436_265:
	v_lshlrev_b32_e32 v19, 1, v38
	v_readfirstlane_b32 s2, v4
	v_readfirstlane_b32 s3, v5
	s_waitcnt lgkmcnt(14)
	s_nop 3
	global_store_short v19, v39, s[2:3]
	s_or_b64 exec, exec, s[0:1]
	v_cmp_ge_u32_e32 vcc, v36, v18
	s_and_saveexec_b64 s[0:1], vcc
	s_cbranch_execz .LBB3436_177
.LBB3436_266:
	v_lshlrev_b32_e32 v19, 1, v36
	v_readfirstlane_b32 s2, v4
	v_readfirstlane_b32 s3, v5
	s_waitcnt lgkmcnt(13)
	s_nop 3
	global_store_short v19, v37, s[2:3]
	s_or_b64 exec, exec, s[0:1]
	v_cmp_ge_u32_e32 vcc, v33, v18
	s_and_saveexec_b64 s[0:1], vcc
	s_cbranch_execz .LBB3436_178
.LBB3436_267:
	v_lshlrev_b32_e32 v19, 1, v33
	v_readfirstlane_b32 s2, v4
	v_readfirstlane_b32 s3, v5
	s_waitcnt lgkmcnt(12)
	s_nop 3
	global_store_short v19, v35, s[2:3]
	s_or_b64 exec, exec, s[0:1]
	v_cmp_ge_u32_e32 vcc, v32, v18
	s_and_saveexec_b64 s[0:1], vcc
	s_cbranch_execz .LBB3436_179
.LBB3436_268:
	v_lshlrev_b32_e32 v19, 1, v32
	v_readfirstlane_b32 s2, v4
	v_readfirstlane_b32 s3, v5
	s_waitcnt lgkmcnt(11)
	s_nop 3
	global_store_short v19, v34, s[2:3]
	s_or_b64 exec, exec, s[0:1]
	v_cmp_ge_u32_e32 vcc, v30, v18
	s_and_saveexec_b64 s[0:1], vcc
	s_cbranch_execz .LBB3436_180
.LBB3436_269:
	v_lshlrev_b32_e32 v19, 1, v30
	v_readfirstlane_b32 s2, v4
	v_readfirstlane_b32 s3, v5
	s_waitcnt lgkmcnt(10)
	s_nop 3
	global_store_short v19, v31, s[2:3]
	s_or_b64 exec, exec, s[0:1]
	v_cmp_ge_u32_e32 vcc, v28, v18
	s_and_saveexec_b64 s[0:1], vcc
	s_cbranch_execz .LBB3436_181
.LBB3436_270:
	v_lshlrev_b32_e32 v19, 1, v28
	v_readfirstlane_b32 s2, v4
	v_readfirstlane_b32 s3, v5
	s_waitcnt lgkmcnt(9)
	s_nop 3
	global_store_short v19, v29, s[2:3]
	s_or_b64 exec, exec, s[0:1]
	v_cmp_ge_u32_e32 vcc, v24, v18
	s_and_saveexec_b64 s[0:1], vcc
	s_cbranch_execz .LBB3436_182
.LBB3436_271:
	v_lshlrev_b32_e32 v19, 1, v24
	v_readfirstlane_b32 s2, v4
	v_readfirstlane_b32 s3, v5
	s_waitcnt lgkmcnt(8)
	s_nop 3
	global_store_short v19, v25, s[2:3]
	s_or_b64 exec, exec, s[0:1]
	v_cmp_ge_u32_e32 vcc, v22, v18
	s_and_saveexec_b64 s[0:1], vcc
	s_cbranch_execz .LBB3436_183
.LBB3436_272:
	v_lshlrev_b32_e32 v19, 1, v22
	v_readfirstlane_b32 s2, v4
	v_readfirstlane_b32 s3, v5
	s_waitcnt lgkmcnt(7)
	s_nop 3
	global_store_short v19, v23, s[2:3]
	s_or_b64 exec, exec, s[0:1]
	v_cmp_ge_u32_e32 vcc, v20, v18
	s_and_saveexec_b64 s[0:1], vcc
	s_cbranch_execz .LBB3436_184
.LBB3436_273:
	v_lshlrev_b32_e32 v19, 1, v20
	v_readfirstlane_b32 s2, v4
	v_readfirstlane_b32 s3, v5
	s_waitcnt lgkmcnt(6)
	s_nop 3
	global_store_short v19, v21, s[2:3]
	s_or_b64 exec, exec, s[0:1]
	v_cmp_ge_u32_e32 vcc, v16, v18
	s_and_saveexec_b64 s[0:1], vcc
	s_cbranch_execz .LBB3436_185
.LBB3436_274:
	v_lshlrev_b32_e32 v19, 1, v16
	v_readfirstlane_b32 s2, v4
	v_readfirstlane_b32 s3, v5
	s_waitcnt lgkmcnt(5)
	s_nop 3
	global_store_short v19, v17, s[2:3]
	s_or_b64 exec, exec, s[0:1]
	v_cmp_ge_u32_e32 vcc, v13, v18
	s_and_saveexec_b64 s[0:1], vcc
	s_cbranch_execz .LBB3436_186
.LBB3436_275:
	v_lshlrev_b32_e32 v19, 1, v13
	v_readfirstlane_b32 s2, v4
	v_readfirstlane_b32 s3, v5
	s_waitcnt lgkmcnt(4)
	s_nop 3
	global_store_short v19, v15, s[2:3]
	s_or_b64 exec, exec, s[0:1]
	v_cmp_ge_u32_e32 vcc, v11, v18
	s_and_saveexec_b64 s[0:1], vcc
	s_cbranch_execz .LBB3436_187
.LBB3436_276:
	v_lshlrev_b32_e32 v19, 1, v11
	v_readfirstlane_b32 s2, v4
	v_readfirstlane_b32 s3, v5
	s_waitcnt lgkmcnt(3)
	s_nop 3
	global_store_short v19, v12, s[2:3]
	s_or_b64 exec, exec, s[0:1]
	v_cmp_ge_u32_e32 vcc, v9, v18
	s_and_saveexec_b64 s[0:1], vcc
	s_cbranch_execz .LBB3436_188
.LBB3436_277:
	v_lshlrev_b32_e32 v19, 1, v9
	v_readfirstlane_b32 s2, v4
	v_readfirstlane_b32 s3, v5
	s_waitcnt lgkmcnt(2)
	s_nop 3
	global_store_short v19, v10, s[2:3]
	s_or_b64 exec, exec, s[0:1]
	v_cmp_ge_u32_e32 vcc, v8, v18
	s_and_saveexec_b64 s[0:1], vcc
	s_cbranch_execnz .LBB3436_189
	s_branch .LBB3436_190
	.section	.rodata,"a",@progbits
	.p2align	6, 0x0
	.amdhsa_kernel _ZN7rocprim17ROCPRIM_400000_NS6detail17trampoline_kernelINS0_14default_configENS1_25partition_config_selectorILNS1_17partition_subalgoE1EsNS0_10empty_typeEbEEZZNS1_14partition_implILS5_1ELb0ES3_jN6thrust23THRUST_200600_302600_NS6detail15normal_iteratorINSA_10device_ptrIsEEEEPS6_NSA_18transform_iteratorI7is_evenIsESF_NSA_11use_defaultESK_EENS0_5tupleIJNSA_16discard_iteratorISK_EESF_EEENSM_IJSG_SG_EEES6_PlJS6_EEE10hipError_tPvRmT3_T4_T5_T6_T7_T9_mT8_P12ihipStream_tbDpT10_ENKUlT_T0_E_clISt17integral_constantIbLb1EES1A_IbLb0EEEEDaS16_S17_EUlS16_E_NS1_11comp_targetILNS1_3genE5ELNS1_11target_archE942ELNS1_3gpuE9ELNS1_3repE0EEENS1_30default_config_static_selectorELNS0_4arch9wavefront6targetE1EEEvT1_
		.amdhsa_group_segment_fixed_size 28680
		.amdhsa_private_segment_fixed_size 0
		.amdhsa_kernarg_size 136
		.amdhsa_user_sgpr_count 2
		.amdhsa_user_sgpr_dispatch_ptr 0
		.amdhsa_user_sgpr_queue_ptr 0
		.amdhsa_user_sgpr_kernarg_segment_ptr 1
		.amdhsa_user_sgpr_dispatch_id 0
		.amdhsa_user_sgpr_kernarg_preload_length 0
		.amdhsa_user_sgpr_kernarg_preload_offset 0
		.amdhsa_user_sgpr_private_segment_size 0
		.amdhsa_uses_dynamic_stack 0
		.amdhsa_enable_private_segment 0
		.amdhsa_system_sgpr_workgroup_id_x 1
		.amdhsa_system_sgpr_workgroup_id_y 0
		.amdhsa_system_sgpr_workgroup_id_z 0
		.amdhsa_system_sgpr_workgroup_info 0
		.amdhsa_system_vgpr_workitem_id 0
		.amdhsa_next_free_vgpr 79
		.amdhsa_next_free_sgpr 44
		.amdhsa_accum_offset 80
		.amdhsa_reserve_vcc 1
		.amdhsa_float_round_mode_32 0
		.amdhsa_float_round_mode_16_64 0
		.amdhsa_float_denorm_mode_32 3
		.amdhsa_float_denorm_mode_16_64 3
		.amdhsa_dx10_clamp 1
		.amdhsa_ieee_mode 1
		.amdhsa_fp16_overflow 0
		.amdhsa_tg_split 0
		.amdhsa_exception_fp_ieee_invalid_op 0
		.amdhsa_exception_fp_denorm_src 0
		.amdhsa_exception_fp_ieee_div_zero 0
		.amdhsa_exception_fp_ieee_overflow 0
		.amdhsa_exception_fp_ieee_underflow 0
		.amdhsa_exception_fp_ieee_inexact 0
		.amdhsa_exception_int_div_zero 0
	.end_amdhsa_kernel
	.section	.text._ZN7rocprim17ROCPRIM_400000_NS6detail17trampoline_kernelINS0_14default_configENS1_25partition_config_selectorILNS1_17partition_subalgoE1EsNS0_10empty_typeEbEEZZNS1_14partition_implILS5_1ELb0ES3_jN6thrust23THRUST_200600_302600_NS6detail15normal_iteratorINSA_10device_ptrIsEEEEPS6_NSA_18transform_iteratorI7is_evenIsESF_NSA_11use_defaultESK_EENS0_5tupleIJNSA_16discard_iteratorISK_EESF_EEENSM_IJSG_SG_EEES6_PlJS6_EEE10hipError_tPvRmT3_T4_T5_T6_T7_T9_mT8_P12ihipStream_tbDpT10_ENKUlT_T0_E_clISt17integral_constantIbLb1EES1A_IbLb0EEEEDaS16_S17_EUlS16_E_NS1_11comp_targetILNS1_3genE5ELNS1_11target_archE942ELNS1_3gpuE9ELNS1_3repE0EEENS1_30default_config_static_selectorELNS0_4arch9wavefront6targetE1EEEvT1_,"axG",@progbits,_ZN7rocprim17ROCPRIM_400000_NS6detail17trampoline_kernelINS0_14default_configENS1_25partition_config_selectorILNS1_17partition_subalgoE1EsNS0_10empty_typeEbEEZZNS1_14partition_implILS5_1ELb0ES3_jN6thrust23THRUST_200600_302600_NS6detail15normal_iteratorINSA_10device_ptrIsEEEEPS6_NSA_18transform_iteratorI7is_evenIsESF_NSA_11use_defaultESK_EENS0_5tupleIJNSA_16discard_iteratorISK_EESF_EEENSM_IJSG_SG_EEES6_PlJS6_EEE10hipError_tPvRmT3_T4_T5_T6_T7_T9_mT8_P12ihipStream_tbDpT10_ENKUlT_T0_E_clISt17integral_constantIbLb1EES1A_IbLb0EEEEDaS16_S17_EUlS16_E_NS1_11comp_targetILNS1_3genE5ELNS1_11target_archE942ELNS1_3gpuE9ELNS1_3repE0EEENS1_30default_config_static_selectorELNS0_4arch9wavefront6targetE1EEEvT1_,comdat
.Lfunc_end3436:
	.size	_ZN7rocprim17ROCPRIM_400000_NS6detail17trampoline_kernelINS0_14default_configENS1_25partition_config_selectorILNS1_17partition_subalgoE1EsNS0_10empty_typeEbEEZZNS1_14partition_implILS5_1ELb0ES3_jN6thrust23THRUST_200600_302600_NS6detail15normal_iteratorINSA_10device_ptrIsEEEEPS6_NSA_18transform_iteratorI7is_evenIsESF_NSA_11use_defaultESK_EENS0_5tupleIJNSA_16discard_iteratorISK_EESF_EEENSM_IJSG_SG_EEES6_PlJS6_EEE10hipError_tPvRmT3_T4_T5_T6_T7_T9_mT8_P12ihipStream_tbDpT10_ENKUlT_T0_E_clISt17integral_constantIbLb1EES1A_IbLb0EEEEDaS16_S17_EUlS16_E_NS1_11comp_targetILNS1_3genE5ELNS1_11target_archE942ELNS1_3gpuE9ELNS1_3repE0EEENS1_30default_config_static_selectorELNS0_4arch9wavefront6targetE1EEEvT1_, .Lfunc_end3436-_ZN7rocprim17ROCPRIM_400000_NS6detail17trampoline_kernelINS0_14default_configENS1_25partition_config_selectorILNS1_17partition_subalgoE1EsNS0_10empty_typeEbEEZZNS1_14partition_implILS5_1ELb0ES3_jN6thrust23THRUST_200600_302600_NS6detail15normal_iteratorINSA_10device_ptrIsEEEEPS6_NSA_18transform_iteratorI7is_evenIsESF_NSA_11use_defaultESK_EENS0_5tupleIJNSA_16discard_iteratorISK_EESF_EEENSM_IJSG_SG_EEES6_PlJS6_EEE10hipError_tPvRmT3_T4_T5_T6_T7_T9_mT8_P12ihipStream_tbDpT10_ENKUlT_T0_E_clISt17integral_constantIbLb1EES1A_IbLb0EEEEDaS16_S17_EUlS16_E_NS1_11comp_targetILNS1_3genE5ELNS1_11target_archE942ELNS1_3gpuE9ELNS1_3repE0EEENS1_30default_config_static_selectorELNS0_4arch9wavefront6targetE1EEEvT1_
                                        ; -- End function
	.section	.AMDGPU.csdata,"",@progbits
; Kernel info:
; codeLenInByte = 12284
; NumSgprs: 50
; NumVgprs: 79
; NumAgprs: 0
; TotalNumVgprs: 79
; ScratchSize: 0
; MemoryBound: 0
; FloatMode: 240
; IeeeMode: 1
; LDSByteSize: 28680 bytes/workgroup (compile time only)
; SGPRBlocks: 6
; VGPRBlocks: 9
; NumSGPRsForWavesPerEU: 50
; NumVGPRsForWavesPerEU: 79
; AccumOffset: 80
; Occupancy: 4
; WaveLimiterHint : 1
; COMPUTE_PGM_RSRC2:SCRATCH_EN: 0
; COMPUTE_PGM_RSRC2:USER_SGPR: 2
; COMPUTE_PGM_RSRC2:TRAP_HANDLER: 0
; COMPUTE_PGM_RSRC2:TGID_X_EN: 1
; COMPUTE_PGM_RSRC2:TGID_Y_EN: 0
; COMPUTE_PGM_RSRC2:TGID_Z_EN: 0
; COMPUTE_PGM_RSRC2:TIDIG_COMP_CNT: 0
; COMPUTE_PGM_RSRC3_GFX90A:ACCUM_OFFSET: 19
; COMPUTE_PGM_RSRC3_GFX90A:TG_SPLIT: 0
	.section	.text._ZN7rocprim17ROCPRIM_400000_NS6detail17trampoline_kernelINS0_14default_configENS1_25partition_config_selectorILNS1_17partition_subalgoE1EsNS0_10empty_typeEbEEZZNS1_14partition_implILS5_1ELb0ES3_jN6thrust23THRUST_200600_302600_NS6detail15normal_iteratorINSA_10device_ptrIsEEEEPS6_NSA_18transform_iteratorI7is_evenIsESF_NSA_11use_defaultESK_EENS0_5tupleIJNSA_16discard_iteratorISK_EESF_EEENSM_IJSG_SG_EEES6_PlJS6_EEE10hipError_tPvRmT3_T4_T5_T6_T7_T9_mT8_P12ihipStream_tbDpT10_ENKUlT_T0_E_clISt17integral_constantIbLb1EES1A_IbLb0EEEEDaS16_S17_EUlS16_E_NS1_11comp_targetILNS1_3genE4ELNS1_11target_archE910ELNS1_3gpuE8ELNS1_3repE0EEENS1_30default_config_static_selectorELNS0_4arch9wavefront6targetE1EEEvT1_,"axG",@progbits,_ZN7rocprim17ROCPRIM_400000_NS6detail17trampoline_kernelINS0_14default_configENS1_25partition_config_selectorILNS1_17partition_subalgoE1EsNS0_10empty_typeEbEEZZNS1_14partition_implILS5_1ELb0ES3_jN6thrust23THRUST_200600_302600_NS6detail15normal_iteratorINSA_10device_ptrIsEEEEPS6_NSA_18transform_iteratorI7is_evenIsESF_NSA_11use_defaultESK_EENS0_5tupleIJNSA_16discard_iteratorISK_EESF_EEENSM_IJSG_SG_EEES6_PlJS6_EEE10hipError_tPvRmT3_T4_T5_T6_T7_T9_mT8_P12ihipStream_tbDpT10_ENKUlT_T0_E_clISt17integral_constantIbLb1EES1A_IbLb0EEEEDaS16_S17_EUlS16_E_NS1_11comp_targetILNS1_3genE4ELNS1_11target_archE910ELNS1_3gpuE8ELNS1_3repE0EEENS1_30default_config_static_selectorELNS0_4arch9wavefront6targetE1EEEvT1_,comdat
	.protected	_ZN7rocprim17ROCPRIM_400000_NS6detail17trampoline_kernelINS0_14default_configENS1_25partition_config_selectorILNS1_17partition_subalgoE1EsNS0_10empty_typeEbEEZZNS1_14partition_implILS5_1ELb0ES3_jN6thrust23THRUST_200600_302600_NS6detail15normal_iteratorINSA_10device_ptrIsEEEEPS6_NSA_18transform_iteratorI7is_evenIsESF_NSA_11use_defaultESK_EENS0_5tupleIJNSA_16discard_iteratorISK_EESF_EEENSM_IJSG_SG_EEES6_PlJS6_EEE10hipError_tPvRmT3_T4_T5_T6_T7_T9_mT8_P12ihipStream_tbDpT10_ENKUlT_T0_E_clISt17integral_constantIbLb1EES1A_IbLb0EEEEDaS16_S17_EUlS16_E_NS1_11comp_targetILNS1_3genE4ELNS1_11target_archE910ELNS1_3gpuE8ELNS1_3repE0EEENS1_30default_config_static_selectorELNS0_4arch9wavefront6targetE1EEEvT1_ ; -- Begin function _ZN7rocprim17ROCPRIM_400000_NS6detail17trampoline_kernelINS0_14default_configENS1_25partition_config_selectorILNS1_17partition_subalgoE1EsNS0_10empty_typeEbEEZZNS1_14partition_implILS5_1ELb0ES3_jN6thrust23THRUST_200600_302600_NS6detail15normal_iteratorINSA_10device_ptrIsEEEEPS6_NSA_18transform_iteratorI7is_evenIsESF_NSA_11use_defaultESK_EENS0_5tupleIJNSA_16discard_iteratorISK_EESF_EEENSM_IJSG_SG_EEES6_PlJS6_EEE10hipError_tPvRmT3_T4_T5_T6_T7_T9_mT8_P12ihipStream_tbDpT10_ENKUlT_T0_E_clISt17integral_constantIbLb1EES1A_IbLb0EEEEDaS16_S17_EUlS16_E_NS1_11comp_targetILNS1_3genE4ELNS1_11target_archE910ELNS1_3gpuE8ELNS1_3repE0EEENS1_30default_config_static_selectorELNS0_4arch9wavefront6targetE1EEEvT1_
	.globl	_ZN7rocprim17ROCPRIM_400000_NS6detail17trampoline_kernelINS0_14default_configENS1_25partition_config_selectorILNS1_17partition_subalgoE1EsNS0_10empty_typeEbEEZZNS1_14partition_implILS5_1ELb0ES3_jN6thrust23THRUST_200600_302600_NS6detail15normal_iteratorINSA_10device_ptrIsEEEEPS6_NSA_18transform_iteratorI7is_evenIsESF_NSA_11use_defaultESK_EENS0_5tupleIJNSA_16discard_iteratorISK_EESF_EEENSM_IJSG_SG_EEES6_PlJS6_EEE10hipError_tPvRmT3_T4_T5_T6_T7_T9_mT8_P12ihipStream_tbDpT10_ENKUlT_T0_E_clISt17integral_constantIbLb1EES1A_IbLb0EEEEDaS16_S17_EUlS16_E_NS1_11comp_targetILNS1_3genE4ELNS1_11target_archE910ELNS1_3gpuE8ELNS1_3repE0EEENS1_30default_config_static_selectorELNS0_4arch9wavefront6targetE1EEEvT1_
	.p2align	8
	.type	_ZN7rocprim17ROCPRIM_400000_NS6detail17trampoline_kernelINS0_14default_configENS1_25partition_config_selectorILNS1_17partition_subalgoE1EsNS0_10empty_typeEbEEZZNS1_14partition_implILS5_1ELb0ES3_jN6thrust23THRUST_200600_302600_NS6detail15normal_iteratorINSA_10device_ptrIsEEEEPS6_NSA_18transform_iteratorI7is_evenIsESF_NSA_11use_defaultESK_EENS0_5tupleIJNSA_16discard_iteratorISK_EESF_EEENSM_IJSG_SG_EEES6_PlJS6_EEE10hipError_tPvRmT3_T4_T5_T6_T7_T9_mT8_P12ihipStream_tbDpT10_ENKUlT_T0_E_clISt17integral_constantIbLb1EES1A_IbLb0EEEEDaS16_S17_EUlS16_E_NS1_11comp_targetILNS1_3genE4ELNS1_11target_archE910ELNS1_3gpuE8ELNS1_3repE0EEENS1_30default_config_static_selectorELNS0_4arch9wavefront6targetE1EEEvT1_,@function
_ZN7rocprim17ROCPRIM_400000_NS6detail17trampoline_kernelINS0_14default_configENS1_25partition_config_selectorILNS1_17partition_subalgoE1EsNS0_10empty_typeEbEEZZNS1_14partition_implILS5_1ELb0ES3_jN6thrust23THRUST_200600_302600_NS6detail15normal_iteratorINSA_10device_ptrIsEEEEPS6_NSA_18transform_iteratorI7is_evenIsESF_NSA_11use_defaultESK_EENS0_5tupleIJNSA_16discard_iteratorISK_EESF_EEENSM_IJSG_SG_EEES6_PlJS6_EEE10hipError_tPvRmT3_T4_T5_T6_T7_T9_mT8_P12ihipStream_tbDpT10_ENKUlT_T0_E_clISt17integral_constantIbLb1EES1A_IbLb0EEEEDaS16_S17_EUlS16_E_NS1_11comp_targetILNS1_3genE4ELNS1_11target_archE910ELNS1_3gpuE8ELNS1_3repE0EEENS1_30default_config_static_selectorELNS0_4arch9wavefront6targetE1EEEvT1_: ; @_ZN7rocprim17ROCPRIM_400000_NS6detail17trampoline_kernelINS0_14default_configENS1_25partition_config_selectorILNS1_17partition_subalgoE1EsNS0_10empty_typeEbEEZZNS1_14partition_implILS5_1ELb0ES3_jN6thrust23THRUST_200600_302600_NS6detail15normal_iteratorINSA_10device_ptrIsEEEEPS6_NSA_18transform_iteratorI7is_evenIsESF_NSA_11use_defaultESK_EENS0_5tupleIJNSA_16discard_iteratorISK_EESF_EEENSM_IJSG_SG_EEES6_PlJS6_EEE10hipError_tPvRmT3_T4_T5_T6_T7_T9_mT8_P12ihipStream_tbDpT10_ENKUlT_T0_E_clISt17integral_constantIbLb1EES1A_IbLb0EEEEDaS16_S17_EUlS16_E_NS1_11comp_targetILNS1_3genE4ELNS1_11target_archE910ELNS1_3gpuE8ELNS1_3repE0EEENS1_30default_config_static_selectorELNS0_4arch9wavefront6targetE1EEEvT1_
; %bb.0:
	.section	.rodata,"a",@progbits
	.p2align	6, 0x0
	.amdhsa_kernel _ZN7rocprim17ROCPRIM_400000_NS6detail17trampoline_kernelINS0_14default_configENS1_25partition_config_selectorILNS1_17partition_subalgoE1EsNS0_10empty_typeEbEEZZNS1_14partition_implILS5_1ELb0ES3_jN6thrust23THRUST_200600_302600_NS6detail15normal_iteratorINSA_10device_ptrIsEEEEPS6_NSA_18transform_iteratorI7is_evenIsESF_NSA_11use_defaultESK_EENS0_5tupleIJNSA_16discard_iteratorISK_EESF_EEENSM_IJSG_SG_EEES6_PlJS6_EEE10hipError_tPvRmT3_T4_T5_T6_T7_T9_mT8_P12ihipStream_tbDpT10_ENKUlT_T0_E_clISt17integral_constantIbLb1EES1A_IbLb0EEEEDaS16_S17_EUlS16_E_NS1_11comp_targetILNS1_3genE4ELNS1_11target_archE910ELNS1_3gpuE8ELNS1_3repE0EEENS1_30default_config_static_selectorELNS0_4arch9wavefront6targetE1EEEvT1_
		.amdhsa_group_segment_fixed_size 0
		.amdhsa_private_segment_fixed_size 0
		.amdhsa_kernarg_size 136
		.amdhsa_user_sgpr_count 2
		.amdhsa_user_sgpr_dispatch_ptr 0
		.amdhsa_user_sgpr_queue_ptr 0
		.amdhsa_user_sgpr_kernarg_segment_ptr 1
		.amdhsa_user_sgpr_dispatch_id 0
		.amdhsa_user_sgpr_kernarg_preload_length 0
		.amdhsa_user_sgpr_kernarg_preload_offset 0
		.amdhsa_user_sgpr_private_segment_size 0
		.amdhsa_uses_dynamic_stack 0
		.amdhsa_enable_private_segment 0
		.amdhsa_system_sgpr_workgroup_id_x 1
		.amdhsa_system_sgpr_workgroup_id_y 0
		.amdhsa_system_sgpr_workgroup_id_z 0
		.amdhsa_system_sgpr_workgroup_info 0
		.amdhsa_system_vgpr_workitem_id 0
		.amdhsa_next_free_vgpr 1
		.amdhsa_next_free_sgpr 0
		.amdhsa_accum_offset 4
		.amdhsa_reserve_vcc 0
		.amdhsa_float_round_mode_32 0
		.amdhsa_float_round_mode_16_64 0
		.amdhsa_float_denorm_mode_32 3
		.amdhsa_float_denorm_mode_16_64 3
		.amdhsa_dx10_clamp 1
		.amdhsa_ieee_mode 1
		.amdhsa_fp16_overflow 0
		.amdhsa_tg_split 0
		.amdhsa_exception_fp_ieee_invalid_op 0
		.amdhsa_exception_fp_denorm_src 0
		.amdhsa_exception_fp_ieee_div_zero 0
		.amdhsa_exception_fp_ieee_overflow 0
		.amdhsa_exception_fp_ieee_underflow 0
		.amdhsa_exception_fp_ieee_inexact 0
		.amdhsa_exception_int_div_zero 0
	.end_amdhsa_kernel
	.section	.text._ZN7rocprim17ROCPRIM_400000_NS6detail17trampoline_kernelINS0_14default_configENS1_25partition_config_selectorILNS1_17partition_subalgoE1EsNS0_10empty_typeEbEEZZNS1_14partition_implILS5_1ELb0ES3_jN6thrust23THRUST_200600_302600_NS6detail15normal_iteratorINSA_10device_ptrIsEEEEPS6_NSA_18transform_iteratorI7is_evenIsESF_NSA_11use_defaultESK_EENS0_5tupleIJNSA_16discard_iteratorISK_EESF_EEENSM_IJSG_SG_EEES6_PlJS6_EEE10hipError_tPvRmT3_T4_T5_T6_T7_T9_mT8_P12ihipStream_tbDpT10_ENKUlT_T0_E_clISt17integral_constantIbLb1EES1A_IbLb0EEEEDaS16_S17_EUlS16_E_NS1_11comp_targetILNS1_3genE4ELNS1_11target_archE910ELNS1_3gpuE8ELNS1_3repE0EEENS1_30default_config_static_selectorELNS0_4arch9wavefront6targetE1EEEvT1_,"axG",@progbits,_ZN7rocprim17ROCPRIM_400000_NS6detail17trampoline_kernelINS0_14default_configENS1_25partition_config_selectorILNS1_17partition_subalgoE1EsNS0_10empty_typeEbEEZZNS1_14partition_implILS5_1ELb0ES3_jN6thrust23THRUST_200600_302600_NS6detail15normal_iteratorINSA_10device_ptrIsEEEEPS6_NSA_18transform_iteratorI7is_evenIsESF_NSA_11use_defaultESK_EENS0_5tupleIJNSA_16discard_iteratorISK_EESF_EEENSM_IJSG_SG_EEES6_PlJS6_EEE10hipError_tPvRmT3_T4_T5_T6_T7_T9_mT8_P12ihipStream_tbDpT10_ENKUlT_T0_E_clISt17integral_constantIbLb1EES1A_IbLb0EEEEDaS16_S17_EUlS16_E_NS1_11comp_targetILNS1_3genE4ELNS1_11target_archE910ELNS1_3gpuE8ELNS1_3repE0EEENS1_30default_config_static_selectorELNS0_4arch9wavefront6targetE1EEEvT1_,comdat
.Lfunc_end3437:
	.size	_ZN7rocprim17ROCPRIM_400000_NS6detail17trampoline_kernelINS0_14default_configENS1_25partition_config_selectorILNS1_17partition_subalgoE1EsNS0_10empty_typeEbEEZZNS1_14partition_implILS5_1ELb0ES3_jN6thrust23THRUST_200600_302600_NS6detail15normal_iteratorINSA_10device_ptrIsEEEEPS6_NSA_18transform_iteratorI7is_evenIsESF_NSA_11use_defaultESK_EENS0_5tupleIJNSA_16discard_iteratorISK_EESF_EEENSM_IJSG_SG_EEES6_PlJS6_EEE10hipError_tPvRmT3_T4_T5_T6_T7_T9_mT8_P12ihipStream_tbDpT10_ENKUlT_T0_E_clISt17integral_constantIbLb1EES1A_IbLb0EEEEDaS16_S17_EUlS16_E_NS1_11comp_targetILNS1_3genE4ELNS1_11target_archE910ELNS1_3gpuE8ELNS1_3repE0EEENS1_30default_config_static_selectorELNS0_4arch9wavefront6targetE1EEEvT1_, .Lfunc_end3437-_ZN7rocprim17ROCPRIM_400000_NS6detail17trampoline_kernelINS0_14default_configENS1_25partition_config_selectorILNS1_17partition_subalgoE1EsNS0_10empty_typeEbEEZZNS1_14partition_implILS5_1ELb0ES3_jN6thrust23THRUST_200600_302600_NS6detail15normal_iteratorINSA_10device_ptrIsEEEEPS6_NSA_18transform_iteratorI7is_evenIsESF_NSA_11use_defaultESK_EENS0_5tupleIJNSA_16discard_iteratorISK_EESF_EEENSM_IJSG_SG_EEES6_PlJS6_EEE10hipError_tPvRmT3_T4_T5_T6_T7_T9_mT8_P12ihipStream_tbDpT10_ENKUlT_T0_E_clISt17integral_constantIbLb1EES1A_IbLb0EEEEDaS16_S17_EUlS16_E_NS1_11comp_targetILNS1_3genE4ELNS1_11target_archE910ELNS1_3gpuE8ELNS1_3repE0EEENS1_30default_config_static_selectorELNS0_4arch9wavefront6targetE1EEEvT1_
                                        ; -- End function
	.section	.AMDGPU.csdata,"",@progbits
; Kernel info:
; codeLenInByte = 0
; NumSgprs: 6
; NumVgprs: 0
; NumAgprs: 0
; TotalNumVgprs: 0
; ScratchSize: 0
; MemoryBound: 0
; FloatMode: 240
; IeeeMode: 1
; LDSByteSize: 0 bytes/workgroup (compile time only)
; SGPRBlocks: 0
; VGPRBlocks: 0
; NumSGPRsForWavesPerEU: 6
; NumVGPRsForWavesPerEU: 1
; AccumOffset: 4
; Occupancy: 8
; WaveLimiterHint : 0
; COMPUTE_PGM_RSRC2:SCRATCH_EN: 0
; COMPUTE_PGM_RSRC2:USER_SGPR: 2
; COMPUTE_PGM_RSRC2:TRAP_HANDLER: 0
; COMPUTE_PGM_RSRC2:TGID_X_EN: 1
; COMPUTE_PGM_RSRC2:TGID_Y_EN: 0
; COMPUTE_PGM_RSRC2:TGID_Z_EN: 0
; COMPUTE_PGM_RSRC2:TIDIG_COMP_CNT: 0
; COMPUTE_PGM_RSRC3_GFX90A:ACCUM_OFFSET: 0
; COMPUTE_PGM_RSRC3_GFX90A:TG_SPLIT: 0
	.section	.text._ZN7rocprim17ROCPRIM_400000_NS6detail17trampoline_kernelINS0_14default_configENS1_25partition_config_selectorILNS1_17partition_subalgoE1EsNS0_10empty_typeEbEEZZNS1_14partition_implILS5_1ELb0ES3_jN6thrust23THRUST_200600_302600_NS6detail15normal_iteratorINSA_10device_ptrIsEEEEPS6_NSA_18transform_iteratorI7is_evenIsESF_NSA_11use_defaultESK_EENS0_5tupleIJNSA_16discard_iteratorISK_EESF_EEENSM_IJSG_SG_EEES6_PlJS6_EEE10hipError_tPvRmT3_T4_T5_T6_T7_T9_mT8_P12ihipStream_tbDpT10_ENKUlT_T0_E_clISt17integral_constantIbLb1EES1A_IbLb0EEEEDaS16_S17_EUlS16_E_NS1_11comp_targetILNS1_3genE3ELNS1_11target_archE908ELNS1_3gpuE7ELNS1_3repE0EEENS1_30default_config_static_selectorELNS0_4arch9wavefront6targetE1EEEvT1_,"axG",@progbits,_ZN7rocprim17ROCPRIM_400000_NS6detail17trampoline_kernelINS0_14default_configENS1_25partition_config_selectorILNS1_17partition_subalgoE1EsNS0_10empty_typeEbEEZZNS1_14partition_implILS5_1ELb0ES3_jN6thrust23THRUST_200600_302600_NS6detail15normal_iteratorINSA_10device_ptrIsEEEEPS6_NSA_18transform_iteratorI7is_evenIsESF_NSA_11use_defaultESK_EENS0_5tupleIJNSA_16discard_iteratorISK_EESF_EEENSM_IJSG_SG_EEES6_PlJS6_EEE10hipError_tPvRmT3_T4_T5_T6_T7_T9_mT8_P12ihipStream_tbDpT10_ENKUlT_T0_E_clISt17integral_constantIbLb1EES1A_IbLb0EEEEDaS16_S17_EUlS16_E_NS1_11comp_targetILNS1_3genE3ELNS1_11target_archE908ELNS1_3gpuE7ELNS1_3repE0EEENS1_30default_config_static_selectorELNS0_4arch9wavefront6targetE1EEEvT1_,comdat
	.protected	_ZN7rocprim17ROCPRIM_400000_NS6detail17trampoline_kernelINS0_14default_configENS1_25partition_config_selectorILNS1_17partition_subalgoE1EsNS0_10empty_typeEbEEZZNS1_14partition_implILS5_1ELb0ES3_jN6thrust23THRUST_200600_302600_NS6detail15normal_iteratorINSA_10device_ptrIsEEEEPS6_NSA_18transform_iteratorI7is_evenIsESF_NSA_11use_defaultESK_EENS0_5tupleIJNSA_16discard_iteratorISK_EESF_EEENSM_IJSG_SG_EEES6_PlJS6_EEE10hipError_tPvRmT3_T4_T5_T6_T7_T9_mT8_P12ihipStream_tbDpT10_ENKUlT_T0_E_clISt17integral_constantIbLb1EES1A_IbLb0EEEEDaS16_S17_EUlS16_E_NS1_11comp_targetILNS1_3genE3ELNS1_11target_archE908ELNS1_3gpuE7ELNS1_3repE0EEENS1_30default_config_static_selectorELNS0_4arch9wavefront6targetE1EEEvT1_ ; -- Begin function _ZN7rocprim17ROCPRIM_400000_NS6detail17trampoline_kernelINS0_14default_configENS1_25partition_config_selectorILNS1_17partition_subalgoE1EsNS0_10empty_typeEbEEZZNS1_14partition_implILS5_1ELb0ES3_jN6thrust23THRUST_200600_302600_NS6detail15normal_iteratorINSA_10device_ptrIsEEEEPS6_NSA_18transform_iteratorI7is_evenIsESF_NSA_11use_defaultESK_EENS0_5tupleIJNSA_16discard_iteratorISK_EESF_EEENSM_IJSG_SG_EEES6_PlJS6_EEE10hipError_tPvRmT3_T4_T5_T6_T7_T9_mT8_P12ihipStream_tbDpT10_ENKUlT_T0_E_clISt17integral_constantIbLb1EES1A_IbLb0EEEEDaS16_S17_EUlS16_E_NS1_11comp_targetILNS1_3genE3ELNS1_11target_archE908ELNS1_3gpuE7ELNS1_3repE0EEENS1_30default_config_static_selectorELNS0_4arch9wavefront6targetE1EEEvT1_
	.globl	_ZN7rocprim17ROCPRIM_400000_NS6detail17trampoline_kernelINS0_14default_configENS1_25partition_config_selectorILNS1_17partition_subalgoE1EsNS0_10empty_typeEbEEZZNS1_14partition_implILS5_1ELb0ES3_jN6thrust23THRUST_200600_302600_NS6detail15normal_iteratorINSA_10device_ptrIsEEEEPS6_NSA_18transform_iteratorI7is_evenIsESF_NSA_11use_defaultESK_EENS0_5tupleIJNSA_16discard_iteratorISK_EESF_EEENSM_IJSG_SG_EEES6_PlJS6_EEE10hipError_tPvRmT3_T4_T5_T6_T7_T9_mT8_P12ihipStream_tbDpT10_ENKUlT_T0_E_clISt17integral_constantIbLb1EES1A_IbLb0EEEEDaS16_S17_EUlS16_E_NS1_11comp_targetILNS1_3genE3ELNS1_11target_archE908ELNS1_3gpuE7ELNS1_3repE0EEENS1_30default_config_static_selectorELNS0_4arch9wavefront6targetE1EEEvT1_
	.p2align	8
	.type	_ZN7rocprim17ROCPRIM_400000_NS6detail17trampoline_kernelINS0_14default_configENS1_25partition_config_selectorILNS1_17partition_subalgoE1EsNS0_10empty_typeEbEEZZNS1_14partition_implILS5_1ELb0ES3_jN6thrust23THRUST_200600_302600_NS6detail15normal_iteratorINSA_10device_ptrIsEEEEPS6_NSA_18transform_iteratorI7is_evenIsESF_NSA_11use_defaultESK_EENS0_5tupleIJNSA_16discard_iteratorISK_EESF_EEENSM_IJSG_SG_EEES6_PlJS6_EEE10hipError_tPvRmT3_T4_T5_T6_T7_T9_mT8_P12ihipStream_tbDpT10_ENKUlT_T0_E_clISt17integral_constantIbLb1EES1A_IbLb0EEEEDaS16_S17_EUlS16_E_NS1_11comp_targetILNS1_3genE3ELNS1_11target_archE908ELNS1_3gpuE7ELNS1_3repE0EEENS1_30default_config_static_selectorELNS0_4arch9wavefront6targetE1EEEvT1_,@function
_ZN7rocprim17ROCPRIM_400000_NS6detail17trampoline_kernelINS0_14default_configENS1_25partition_config_selectorILNS1_17partition_subalgoE1EsNS0_10empty_typeEbEEZZNS1_14partition_implILS5_1ELb0ES3_jN6thrust23THRUST_200600_302600_NS6detail15normal_iteratorINSA_10device_ptrIsEEEEPS6_NSA_18transform_iteratorI7is_evenIsESF_NSA_11use_defaultESK_EENS0_5tupleIJNSA_16discard_iteratorISK_EESF_EEENSM_IJSG_SG_EEES6_PlJS6_EEE10hipError_tPvRmT3_T4_T5_T6_T7_T9_mT8_P12ihipStream_tbDpT10_ENKUlT_T0_E_clISt17integral_constantIbLb1EES1A_IbLb0EEEEDaS16_S17_EUlS16_E_NS1_11comp_targetILNS1_3genE3ELNS1_11target_archE908ELNS1_3gpuE7ELNS1_3repE0EEENS1_30default_config_static_selectorELNS0_4arch9wavefront6targetE1EEEvT1_: ; @_ZN7rocprim17ROCPRIM_400000_NS6detail17trampoline_kernelINS0_14default_configENS1_25partition_config_selectorILNS1_17partition_subalgoE1EsNS0_10empty_typeEbEEZZNS1_14partition_implILS5_1ELb0ES3_jN6thrust23THRUST_200600_302600_NS6detail15normal_iteratorINSA_10device_ptrIsEEEEPS6_NSA_18transform_iteratorI7is_evenIsESF_NSA_11use_defaultESK_EENS0_5tupleIJNSA_16discard_iteratorISK_EESF_EEENSM_IJSG_SG_EEES6_PlJS6_EEE10hipError_tPvRmT3_T4_T5_T6_T7_T9_mT8_P12ihipStream_tbDpT10_ENKUlT_T0_E_clISt17integral_constantIbLb1EES1A_IbLb0EEEEDaS16_S17_EUlS16_E_NS1_11comp_targetILNS1_3genE3ELNS1_11target_archE908ELNS1_3gpuE7ELNS1_3repE0EEENS1_30default_config_static_selectorELNS0_4arch9wavefront6targetE1EEEvT1_
; %bb.0:
	.section	.rodata,"a",@progbits
	.p2align	6, 0x0
	.amdhsa_kernel _ZN7rocprim17ROCPRIM_400000_NS6detail17trampoline_kernelINS0_14default_configENS1_25partition_config_selectorILNS1_17partition_subalgoE1EsNS0_10empty_typeEbEEZZNS1_14partition_implILS5_1ELb0ES3_jN6thrust23THRUST_200600_302600_NS6detail15normal_iteratorINSA_10device_ptrIsEEEEPS6_NSA_18transform_iteratorI7is_evenIsESF_NSA_11use_defaultESK_EENS0_5tupleIJNSA_16discard_iteratorISK_EESF_EEENSM_IJSG_SG_EEES6_PlJS6_EEE10hipError_tPvRmT3_T4_T5_T6_T7_T9_mT8_P12ihipStream_tbDpT10_ENKUlT_T0_E_clISt17integral_constantIbLb1EES1A_IbLb0EEEEDaS16_S17_EUlS16_E_NS1_11comp_targetILNS1_3genE3ELNS1_11target_archE908ELNS1_3gpuE7ELNS1_3repE0EEENS1_30default_config_static_selectorELNS0_4arch9wavefront6targetE1EEEvT1_
		.amdhsa_group_segment_fixed_size 0
		.amdhsa_private_segment_fixed_size 0
		.amdhsa_kernarg_size 136
		.amdhsa_user_sgpr_count 2
		.amdhsa_user_sgpr_dispatch_ptr 0
		.amdhsa_user_sgpr_queue_ptr 0
		.amdhsa_user_sgpr_kernarg_segment_ptr 1
		.amdhsa_user_sgpr_dispatch_id 0
		.amdhsa_user_sgpr_kernarg_preload_length 0
		.amdhsa_user_sgpr_kernarg_preload_offset 0
		.amdhsa_user_sgpr_private_segment_size 0
		.amdhsa_uses_dynamic_stack 0
		.amdhsa_enable_private_segment 0
		.amdhsa_system_sgpr_workgroup_id_x 1
		.amdhsa_system_sgpr_workgroup_id_y 0
		.amdhsa_system_sgpr_workgroup_id_z 0
		.amdhsa_system_sgpr_workgroup_info 0
		.amdhsa_system_vgpr_workitem_id 0
		.amdhsa_next_free_vgpr 1
		.amdhsa_next_free_sgpr 0
		.amdhsa_accum_offset 4
		.amdhsa_reserve_vcc 0
		.amdhsa_float_round_mode_32 0
		.amdhsa_float_round_mode_16_64 0
		.amdhsa_float_denorm_mode_32 3
		.amdhsa_float_denorm_mode_16_64 3
		.amdhsa_dx10_clamp 1
		.amdhsa_ieee_mode 1
		.amdhsa_fp16_overflow 0
		.amdhsa_tg_split 0
		.amdhsa_exception_fp_ieee_invalid_op 0
		.amdhsa_exception_fp_denorm_src 0
		.amdhsa_exception_fp_ieee_div_zero 0
		.amdhsa_exception_fp_ieee_overflow 0
		.amdhsa_exception_fp_ieee_underflow 0
		.amdhsa_exception_fp_ieee_inexact 0
		.amdhsa_exception_int_div_zero 0
	.end_amdhsa_kernel
	.section	.text._ZN7rocprim17ROCPRIM_400000_NS6detail17trampoline_kernelINS0_14default_configENS1_25partition_config_selectorILNS1_17partition_subalgoE1EsNS0_10empty_typeEbEEZZNS1_14partition_implILS5_1ELb0ES3_jN6thrust23THRUST_200600_302600_NS6detail15normal_iteratorINSA_10device_ptrIsEEEEPS6_NSA_18transform_iteratorI7is_evenIsESF_NSA_11use_defaultESK_EENS0_5tupleIJNSA_16discard_iteratorISK_EESF_EEENSM_IJSG_SG_EEES6_PlJS6_EEE10hipError_tPvRmT3_T4_T5_T6_T7_T9_mT8_P12ihipStream_tbDpT10_ENKUlT_T0_E_clISt17integral_constantIbLb1EES1A_IbLb0EEEEDaS16_S17_EUlS16_E_NS1_11comp_targetILNS1_3genE3ELNS1_11target_archE908ELNS1_3gpuE7ELNS1_3repE0EEENS1_30default_config_static_selectorELNS0_4arch9wavefront6targetE1EEEvT1_,"axG",@progbits,_ZN7rocprim17ROCPRIM_400000_NS6detail17trampoline_kernelINS0_14default_configENS1_25partition_config_selectorILNS1_17partition_subalgoE1EsNS0_10empty_typeEbEEZZNS1_14partition_implILS5_1ELb0ES3_jN6thrust23THRUST_200600_302600_NS6detail15normal_iteratorINSA_10device_ptrIsEEEEPS6_NSA_18transform_iteratorI7is_evenIsESF_NSA_11use_defaultESK_EENS0_5tupleIJNSA_16discard_iteratorISK_EESF_EEENSM_IJSG_SG_EEES6_PlJS6_EEE10hipError_tPvRmT3_T4_T5_T6_T7_T9_mT8_P12ihipStream_tbDpT10_ENKUlT_T0_E_clISt17integral_constantIbLb1EES1A_IbLb0EEEEDaS16_S17_EUlS16_E_NS1_11comp_targetILNS1_3genE3ELNS1_11target_archE908ELNS1_3gpuE7ELNS1_3repE0EEENS1_30default_config_static_selectorELNS0_4arch9wavefront6targetE1EEEvT1_,comdat
.Lfunc_end3438:
	.size	_ZN7rocprim17ROCPRIM_400000_NS6detail17trampoline_kernelINS0_14default_configENS1_25partition_config_selectorILNS1_17partition_subalgoE1EsNS0_10empty_typeEbEEZZNS1_14partition_implILS5_1ELb0ES3_jN6thrust23THRUST_200600_302600_NS6detail15normal_iteratorINSA_10device_ptrIsEEEEPS6_NSA_18transform_iteratorI7is_evenIsESF_NSA_11use_defaultESK_EENS0_5tupleIJNSA_16discard_iteratorISK_EESF_EEENSM_IJSG_SG_EEES6_PlJS6_EEE10hipError_tPvRmT3_T4_T5_T6_T7_T9_mT8_P12ihipStream_tbDpT10_ENKUlT_T0_E_clISt17integral_constantIbLb1EES1A_IbLb0EEEEDaS16_S17_EUlS16_E_NS1_11comp_targetILNS1_3genE3ELNS1_11target_archE908ELNS1_3gpuE7ELNS1_3repE0EEENS1_30default_config_static_selectorELNS0_4arch9wavefront6targetE1EEEvT1_, .Lfunc_end3438-_ZN7rocprim17ROCPRIM_400000_NS6detail17trampoline_kernelINS0_14default_configENS1_25partition_config_selectorILNS1_17partition_subalgoE1EsNS0_10empty_typeEbEEZZNS1_14partition_implILS5_1ELb0ES3_jN6thrust23THRUST_200600_302600_NS6detail15normal_iteratorINSA_10device_ptrIsEEEEPS6_NSA_18transform_iteratorI7is_evenIsESF_NSA_11use_defaultESK_EENS0_5tupleIJNSA_16discard_iteratorISK_EESF_EEENSM_IJSG_SG_EEES6_PlJS6_EEE10hipError_tPvRmT3_T4_T5_T6_T7_T9_mT8_P12ihipStream_tbDpT10_ENKUlT_T0_E_clISt17integral_constantIbLb1EES1A_IbLb0EEEEDaS16_S17_EUlS16_E_NS1_11comp_targetILNS1_3genE3ELNS1_11target_archE908ELNS1_3gpuE7ELNS1_3repE0EEENS1_30default_config_static_selectorELNS0_4arch9wavefront6targetE1EEEvT1_
                                        ; -- End function
	.section	.AMDGPU.csdata,"",@progbits
; Kernel info:
; codeLenInByte = 0
; NumSgprs: 6
; NumVgprs: 0
; NumAgprs: 0
; TotalNumVgprs: 0
; ScratchSize: 0
; MemoryBound: 0
; FloatMode: 240
; IeeeMode: 1
; LDSByteSize: 0 bytes/workgroup (compile time only)
; SGPRBlocks: 0
; VGPRBlocks: 0
; NumSGPRsForWavesPerEU: 6
; NumVGPRsForWavesPerEU: 1
; AccumOffset: 4
; Occupancy: 8
; WaveLimiterHint : 0
; COMPUTE_PGM_RSRC2:SCRATCH_EN: 0
; COMPUTE_PGM_RSRC2:USER_SGPR: 2
; COMPUTE_PGM_RSRC2:TRAP_HANDLER: 0
; COMPUTE_PGM_RSRC2:TGID_X_EN: 1
; COMPUTE_PGM_RSRC2:TGID_Y_EN: 0
; COMPUTE_PGM_RSRC2:TGID_Z_EN: 0
; COMPUTE_PGM_RSRC2:TIDIG_COMP_CNT: 0
; COMPUTE_PGM_RSRC3_GFX90A:ACCUM_OFFSET: 0
; COMPUTE_PGM_RSRC3_GFX90A:TG_SPLIT: 0
	.section	.text._ZN7rocprim17ROCPRIM_400000_NS6detail17trampoline_kernelINS0_14default_configENS1_25partition_config_selectorILNS1_17partition_subalgoE1EsNS0_10empty_typeEbEEZZNS1_14partition_implILS5_1ELb0ES3_jN6thrust23THRUST_200600_302600_NS6detail15normal_iteratorINSA_10device_ptrIsEEEEPS6_NSA_18transform_iteratorI7is_evenIsESF_NSA_11use_defaultESK_EENS0_5tupleIJNSA_16discard_iteratorISK_EESF_EEENSM_IJSG_SG_EEES6_PlJS6_EEE10hipError_tPvRmT3_T4_T5_T6_T7_T9_mT8_P12ihipStream_tbDpT10_ENKUlT_T0_E_clISt17integral_constantIbLb1EES1A_IbLb0EEEEDaS16_S17_EUlS16_E_NS1_11comp_targetILNS1_3genE2ELNS1_11target_archE906ELNS1_3gpuE6ELNS1_3repE0EEENS1_30default_config_static_selectorELNS0_4arch9wavefront6targetE1EEEvT1_,"axG",@progbits,_ZN7rocprim17ROCPRIM_400000_NS6detail17trampoline_kernelINS0_14default_configENS1_25partition_config_selectorILNS1_17partition_subalgoE1EsNS0_10empty_typeEbEEZZNS1_14partition_implILS5_1ELb0ES3_jN6thrust23THRUST_200600_302600_NS6detail15normal_iteratorINSA_10device_ptrIsEEEEPS6_NSA_18transform_iteratorI7is_evenIsESF_NSA_11use_defaultESK_EENS0_5tupleIJNSA_16discard_iteratorISK_EESF_EEENSM_IJSG_SG_EEES6_PlJS6_EEE10hipError_tPvRmT3_T4_T5_T6_T7_T9_mT8_P12ihipStream_tbDpT10_ENKUlT_T0_E_clISt17integral_constantIbLb1EES1A_IbLb0EEEEDaS16_S17_EUlS16_E_NS1_11comp_targetILNS1_3genE2ELNS1_11target_archE906ELNS1_3gpuE6ELNS1_3repE0EEENS1_30default_config_static_selectorELNS0_4arch9wavefront6targetE1EEEvT1_,comdat
	.protected	_ZN7rocprim17ROCPRIM_400000_NS6detail17trampoline_kernelINS0_14default_configENS1_25partition_config_selectorILNS1_17partition_subalgoE1EsNS0_10empty_typeEbEEZZNS1_14partition_implILS5_1ELb0ES3_jN6thrust23THRUST_200600_302600_NS6detail15normal_iteratorINSA_10device_ptrIsEEEEPS6_NSA_18transform_iteratorI7is_evenIsESF_NSA_11use_defaultESK_EENS0_5tupleIJNSA_16discard_iteratorISK_EESF_EEENSM_IJSG_SG_EEES6_PlJS6_EEE10hipError_tPvRmT3_T4_T5_T6_T7_T9_mT8_P12ihipStream_tbDpT10_ENKUlT_T0_E_clISt17integral_constantIbLb1EES1A_IbLb0EEEEDaS16_S17_EUlS16_E_NS1_11comp_targetILNS1_3genE2ELNS1_11target_archE906ELNS1_3gpuE6ELNS1_3repE0EEENS1_30default_config_static_selectorELNS0_4arch9wavefront6targetE1EEEvT1_ ; -- Begin function _ZN7rocprim17ROCPRIM_400000_NS6detail17trampoline_kernelINS0_14default_configENS1_25partition_config_selectorILNS1_17partition_subalgoE1EsNS0_10empty_typeEbEEZZNS1_14partition_implILS5_1ELb0ES3_jN6thrust23THRUST_200600_302600_NS6detail15normal_iteratorINSA_10device_ptrIsEEEEPS6_NSA_18transform_iteratorI7is_evenIsESF_NSA_11use_defaultESK_EENS0_5tupleIJNSA_16discard_iteratorISK_EESF_EEENSM_IJSG_SG_EEES6_PlJS6_EEE10hipError_tPvRmT3_T4_T5_T6_T7_T9_mT8_P12ihipStream_tbDpT10_ENKUlT_T0_E_clISt17integral_constantIbLb1EES1A_IbLb0EEEEDaS16_S17_EUlS16_E_NS1_11comp_targetILNS1_3genE2ELNS1_11target_archE906ELNS1_3gpuE6ELNS1_3repE0EEENS1_30default_config_static_selectorELNS0_4arch9wavefront6targetE1EEEvT1_
	.globl	_ZN7rocprim17ROCPRIM_400000_NS6detail17trampoline_kernelINS0_14default_configENS1_25partition_config_selectorILNS1_17partition_subalgoE1EsNS0_10empty_typeEbEEZZNS1_14partition_implILS5_1ELb0ES3_jN6thrust23THRUST_200600_302600_NS6detail15normal_iteratorINSA_10device_ptrIsEEEEPS6_NSA_18transform_iteratorI7is_evenIsESF_NSA_11use_defaultESK_EENS0_5tupleIJNSA_16discard_iteratorISK_EESF_EEENSM_IJSG_SG_EEES6_PlJS6_EEE10hipError_tPvRmT3_T4_T5_T6_T7_T9_mT8_P12ihipStream_tbDpT10_ENKUlT_T0_E_clISt17integral_constantIbLb1EES1A_IbLb0EEEEDaS16_S17_EUlS16_E_NS1_11comp_targetILNS1_3genE2ELNS1_11target_archE906ELNS1_3gpuE6ELNS1_3repE0EEENS1_30default_config_static_selectorELNS0_4arch9wavefront6targetE1EEEvT1_
	.p2align	8
	.type	_ZN7rocprim17ROCPRIM_400000_NS6detail17trampoline_kernelINS0_14default_configENS1_25partition_config_selectorILNS1_17partition_subalgoE1EsNS0_10empty_typeEbEEZZNS1_14partition_implILS5_1ELb0ES3_jN6thrust23THRUST_200600_302600_NS6detail15normal_iteratorINSA_10device_ptrIsEEEEPS6_NSA_18transform_iteratorI7is_evenIsESF_NSA_11use_defaultESK_EENS0_5tupleIJNSA_16discard_iteratorISK_EESF_EEENSM_IJSG_SG_EEES6_PlJS6_EEE10hipError_tPvRmT3_T4_T5_T6_T7_T9_mT8_P12ihipStream_tbDpT10_ENKUlT_T0_E_clISt17integral_constantIbLb1EES1A_IbLb0EEEEDaS16_S17_EUlS16_E_NS1_11comp_targetILNS1_3genE2ELNS1_11target_archE906ELNS1_3gpuE6ELNS1_3repE0EEENS1_30default_config_static_selectorELNS0_4arch9wavefront6targetE1EEEvT1_,@function
_ZN7rocprim17ROCPRIM_400000_NS6detail17trampoline_kernelINS0_14default_configENS1_25partition_config_selectorILNS1_17partition_subalgoE1EsNS0_10empty_typeEbEEZZNS1_14partition_implILS5_1ELb0ES3_jN6thrust23THRUST_200600_302600_NS6detail15normal_iteratorINSA_10device_ptrIsEEEEPS6_NSA_18transform_iteratorI7is_evenIsESF_NSA_11use_defaultESK_EENS0_5tupleIJNSA_16discard_iteratorISK_EESF_EEENSM_IJSG_SG_EEES6_PlJS6_EEE10hipError_tPvRmT3_T4_T5_T6_T7_T9_mT8_P12ihipStream_tbDpT10_ENKUlT_T0_E_clISt17integral_constantIbLb1EES1A_IbLb0EEEEDaS16_S17_EUlS16_E_NS1_11comp_targetILNS1_3genE2ELNS1_11target_archE906ELNS1_3gpuE6ELNS1_3repE0EEENS1_30default_config_static_selectorELNS0_4arch9wavefront6targetE1EEEvT1_: ; @_ZN7rocprim17ROCPRIM_400000_NS6detail17trampoline_kernelINS0_14default_configENS1_25partition_config_selectorILNS1_17partition_subalgoE1EsNS0_10empty_typeEbEEZZNS1_14partition_implILS5_1ELb0ES3_jN6thrust23THRUST_200600_302600_NS6detail15normal_iteratorINSA_10device_ptrIsEEEEPS6_NSA_18transform_iteratorI7is_evenIsESF_NSA_11use_defaultESK_EENS0_5tupleIJNSA_16discard_iteratorISK_EESF_EEENSM_IJSG_SG_EEES6_PlJS6_EEE10hipError_tPvRmT3_T4_T5_T6_T7_T9_mT8_P12ihipStream_tbDpT10_ENKUlT_T0_E_clISt17integral_constantIbLb1EES1A_IbLb0EEEEDaS16_S17_EUlS16_E_NS1_11comp_targetILNS1_3genE2ELNS1_11target_archE906ELNS1_3gpuE6ELNS1_3repE0EEENS1_30default_config_static_selectorELNS0_4arch9wavefront6targetE1EEEvT1_
; %bb.0:
	.section	.rodata,"a",@progbits
	.p2align	6, 0x0
	.amdhsa_kernel _ZN7rocprim17ROCPRIM_400000_NS6detail17trampoline_kernelINS0_14default_configENS1_25partition_config_selectorILNS1_17partition_subalgoE1EsNS0_10empty_typeEbEEZZNS1_14partition_implILS5_1ELb0ES3_jN6thrust23THRUST_200600_302600_NS6detail15normal_iteratorINSA_10device_ptrIsEEEEPS6_NSA_18transform_iteratorI7is_evenIsESF_NSA_11use_defaultESK_EENS0_5tupleIJNSA_16discard_iteratorISK_EESF_EEENSM_IJSG_SG_EEES6_PlJS6_EEE10hipError_tPvRmT3_T4_T5_T6_T7_T9_mT8_P12ihipStream_tbDpT10_ENKUlT_T0_E_clISt17integral_constantIbLb1EES1A_IbLb0EEEEDaS16_S17_EUlS16_E_NS1_11comp_targetILNS1_3genE2ELNS1_11target_archE906ELNS1_3gpuE6ELNS1_3repE0EEENS1_30default_config_static_selectorELNS0_4arch9wavefront6targetE1EEEvT1_
		.amdhsa_group_segment_fixed_size 0
		.amdhsa_private_segment_fixed_size 0
		.amdhsa_kernarg_size 136
		.amdhsa_user_sgpr_count 2
		.amdhsa_user_sgpr_dispatch_ptr 0
		.amdhsa_user_sgpr_queue_ptr 0
		.amdhsa_user_sgpr_kernarg_segment_ptr 1
		.amdhsa_user_sgpr_dispatch_id 0
		.amdhsa_user_sgpr_kernarg_preload_length 0
		.amdhsa_user_sgpr_kernarg_preload_offset 0
		.amdhsa_user_sgpr_private_segment_size 0
		.amdhsa_uses_dynamic_stack 0
		.amdhsa_enable_private_segment 0
		.amdhsa_system_sgpr_workgroup_id_x 1
		.amdhsa_system_sgpr_workgroup_id_y 0
		.amdhsa_system_sgpr_workgroup_id_z 0
		.amdhsa_system_sgpr_workgroup_info 0
		.amdhsa_system_vgpr_workitem_id 0
		.amdhsa_next_free_vgpr 1
		.amdhsa_next_free_sgpr 0
		.amdhsa_accum_offset 4
		.amdhsa_reserve_vcc 0
		.amdhsa_float_round_mode_32 0
		.amdhsa_float_round_mode_16_64 0
		.amdhsa_float_denorm_mode_32 3
		.amdhsa_float_denorm_mode_16_64 3
		.amdhsa_dx10_clamp 1
		.amdhsa_ieee_mode 1
		.amdhsa_fp16_overflow 0
		.amdhsa_tg_split 0
		.amdhsa_exception_fp_ieee_invalid_op 0
		.amdhsa_exception_fp_denorm_src 0
		.amdhsa_exception_fp_ieee_div_zero 0
		.amdhsa_exception_fp_ieee_overflow 0
		.amdhsa_exception_fp_ieee_underflow 0
		.amdhsa_exception_fp_ieee_inexact 0
		.amdhsa_exception_int_div_zero 0
	.end_amdhsa_kernel
	.section	.text._ZN7rocprim17ROCPRIM_400000_NS6detail17trampoline_kernelINS0_14default_configENS1_25partition_config_selectorILNS1_17partition_subalgoE1EsNS0_10empty_typeEbEEZZNS1_14partition_implILS5_1ELb0ES3_jN6thrust23THRUST_200600_302600_NS6detail15normal_iteratorINSA_10device_ptrIsEEEEPS6_NSA_18transform_iteratorI7is_evenIsESF_NSA_11use_defaultESK_EENS0_5tupleIJNSA_16discard_iteratorISK_EESF_EEENSM_IJSG_SG_EEES6_PlJS6_EEE10hipError_tPvRmT3_T4_T5_T6_T7_T9_mT8_P12ihipStream_tbDpT10_ENKUlT_T0_E_clISt17integral_constantIbLb1EES1A_IbLb0EEEEDaS16_S17_EUlS16_E_NS1_11comp_targetILNS1_3genE2ELNS1_11target_archE906ELNS1_3gpuE6ELNS1_3repE0EEENS1_30default_config_static_selectorELNS0_4arch9wavefront6targetE1EEEvT1_,"axG",@progbits,_ZN7rocprim17ROCPRIM_400000_NS6detail17trampoline_kernelINS0_14default_configENS1_25partition_config_selectorILNS1_17partition_subalgoE1EsNS0_10empty_typeEbEEZZNS1_14partition_implILS5_1ELb0ES3_jN6thrust23THRUST_200600_302600_NS6detail15normal_iteratorINSA_10device_ptrIsEEEEPS6_NSA_18transform_iteratorI7is_evenIsESF_NSA_11use_defaultESK_EENS0_5tupleIJNSA_16discard_iteratorISK_EESF_EEENSM_IJSG_SG_EEES6_PlJS6_EEE10hipError_tPvRmT3_T4_T5_T6_T7_T9_mT8_P12ihipStream_tbDpT10_ENKUlT_T0_E_clISt17integral_constantIbLb1EES1A_IbLb0EEEEDaS16_S17_EUlS16_E_NS1_11comp_targetILNS1_3genE2ELNS1_11target_archE906ELNS1_3gpuE6ELNS1_3repE0EEENS1_30default_config_static_selectorELNS0_4arch9wavefront6targetE1EEEvT1_,comdat
.Lfunc_end3439:
	.size	_ZN7rocprim17ROCPRIM_400000_NS6detail17trampoline_kernelINS0_14default_configENS1_25partition_config_selectorILNS1_17partition_subalgoE1EsNS0_10empty_typeEbEEZZNS1_14partition_implILS5_1ELb0ES3_jN6thrust23THRUST_200600_302600_NS6detail15normal_iteratorINSA_10device_ptrIsEEEEPS6_NSA_18transform_iteratorI7is_evenIsESF_NSA_11use_defaultESK_EENS0_5tupleIJNSA_16discard_iteratorISK_EESF_EEENSM_IJSG_SG_EEES6_PlJS6_EEE10hipError_tPvRmT3_T4_T5_T6_T7_T9_mT8_P12ihipStream_tbDpT10_ENKUlT_T0_E_clISt17integral_constantIbLb1EES1A_IbLb0EEEEDaS16_S17_EUlS16_E_NS1_11comp_targetILNS1_3genE2ELNS1_11target_archE906ELNS1_3gpuE6ELNS1_3repE0EEENS1_30default_config_static_selectorELNS0_4arch9wavefront6targetE1EEEvT1_, .Lfunc_end3439-_ZN7rocprim17ROCPRIM_400000_NS6detail17trampoline_kernelINS0_14default_configENS1_25partition_config_selectorILNS1_17partition_subalgoE1EsNS0_10empty_typeEbEEZZNS1_14partition_implILS5_1ELb0ES3_jN6thrust23THRUST_200600_302600_NS6detail15normal_iteratorINSA_10device_ptrIsEEEEPS6_NSA_18transform_iteratorI7is_evenIsESF_NSA_11use_defaultESK_EENS0_5tupleIJNSA_16discard_iteratorISK_EESF_EEENSM_IJSG_SG_EEES6_PlJS6_EEE10hipError_tPvRmT3_T4_T5_T6_T7_T9_mT8_P12ihipStream_tbDpT10_ENKUlT_T0_E_clISt17integral_constantIbLb1EES1A_IbLb0EEEEDaS16_S17_EUlS16_E_NS1_11comp_targetILNS1_3genE2ELNS1_11target_archE906ELNS1_3gpuE6ELNS1_3repE0EEENS1_30default_config_static_selectorELNS0_4arch9wavefront6targetE1EEEvT1_
                                        ; -- End function
	.section	.AMDGPU.csdata,"",@progbits
; Kernel info:
; codeLenInByte = 0
; NumSgprs: 6
; NumVgprs: 0
; NumAgprs: 0
; TotalNumVgprs: 0
; ScratchSize: 0
; MemoryBound: 0
; FloatMode: 240
; IeeeMode: 1
; LDSByteSize: 0 bytes/workgroup (compile time only)
; SGPRBlocks: 0
; VGPRBlocks: 0
; NumSGPRsForWavesPerEU: 6
; NumVGPRsForWavesPerEU: 1
; AccumOffset: 4
; Occupancy: 8
; WaveLimiterHint : 0
; COMPUTE_PGM_RSRC2:SCRATCH_EN: 0
; COMPUTE_PGM_RSRC2:USER_SGPR: 2
; COMPUTE_PGM_RSRC2:TRAP_HANDLER: 0
; COMPUTE_PGM_RSRC2:TGID_X_EN: 1
; COMPUTE_PGM_RSRC2:TGID_Y_EN: 0
; COMPUTE_PGM_RSRC2:TGID_Z_EN: 0
; COMPUTE_PGM_RSRC2:TIDIG_COMP_CNT: 0
; COMPUTE_PGM_RSRC3_GFX90A:ACCUM_OFFSET: 0
; COMPUTE_PGM_RSRC3_GFX90A:TG_SPLIT: 0
	.section	.text._ZN7rocprim17ROCPRIM_400000_NS6detail17trampoline_kernelINS0_14default_configENS1_25partition_config_selectorILNS1_17partition_subalgoE1EsNS0_10empty_typeEbEEZZNS1_14partition_implILS5_1ELb0ES3_jN6thrust23THRUST_200600_302600_NS6detail15normal_iteratorINSA_10device_ptrIsEEEEPS6_NSA_18transform_iteratorI7is_evenIsESF_NSA_11use_defaultESK_EENS0_5tupleIJNSA_16discard_iteratorISK_EESF_EEENSM_IJSG_SG_EEES6_PlJS6_EEE10hipError_tPvRmT3_T4_T5_T6_T7_T9_mT8_P12ihipStream_tbDpT10_ENKUlT_T0_E_clISt17integral_constantIbLb1EES1A_IbLb0EEEEDaS16_S17_EUlS16_E_NS1_11comp_targetILNS1_3genE10ELNS1_11target_archE1200ELNS1_3gpuE4ELNS1_3repE0EEENS1_30default_config_static_selectorELNS0_4arch9wavefront6targetE1EEEvT1_,"axG",@progbits,_ZN7rocprim17ROCPRIM_400000_NS6detail17trampoline_kernelINS0_14default_configENS1_25partition_config_selectorILNS1_17partition_subalgoE1EsNS0_10empty_typeEbEEZZNS1_14partition_implILS5_1ELb0ES3_jN6thrust23THRUST_200600_302600_NS6detail15normal_iteratorINSA_10device_ptrIsEEEEPS6_NSA_18transform_iteratorI7is_evenIsESF_NSA_11use_defaultESK_EENS0_5tupleIJNSA_16discard_iteratorISK_EESF_EEENSM_IJSG_SG_EEES6_PlJS6_EEE10hipError_tPvRmT3_T4_T5_T6_T7_T9_mT8_P12ihipStream_tbDpT10_ENKUlT_T0_E_clISt17integral_constantIbLb1EES1A_IbLb0EEEEDaS16_S17_EUlS16_E_NS1_11comp_targetILNS1_3genE10ELNS1_11target_archE1200ELNS1_3gpuE4ELNS1_3repE0EEENS1_30default_config_static_selectorELNS0_4arch9wavefront6targetE1EEEvT1_,comdat
	.protected	_ZN7rocprim17ROCPRIM_400000_NS6detail17trampoline_kernelINS0_14default_configENS1_25partition_config_selectorILNS1_17partition_subalgoE1EsNS0_10empty_typeEbEEZZNS1_14partition_implILS5_1ELb0ES3_jN6thrust23THRUST_200600_302600_NS6detail15normal_iteratorINSA_10device_ptrIsEEEEPS6_NSA_18transform_iteratorI7is_evenIsESF_NSA_11use_defaultESK_EENS0_5tupleIJNSA_16discard_iteratorISK_EESF_EEENSM_IJSG_SG_EEES6_PlJS6_EEE10hipError_tPvRmT3_T4_T5_T6_T7_T9_mT8_P12ihipStream_tbDpT10_ENKUlT_T0_E_clISt17integral_constantIbLb1EES1A_IbLb0EEEEDaS16_S17_EUlS16_E_NS1_11comp_targetILNS1_3genE10ELNS1_11target_archE1200ELNS1_3gpuE4ELNS1_3repE0EEENS1_30default_config_static_selectorELNS0_4arch9wavefront6targetE1EEEvT1_ ; -- Begin function _ZN7rocprim17ROCPRIM_400000_NS6detail17trampoline_kernelINS0_14default_configENS1_25partition_config_selectorILNS1_17partition_subalgoE1EsNS0_10empty_typeEbEEZZNS1_14partition_implILS5_1ELb0ES3_jN6thrust23THRUST_200600_302600_NS6detail15normal_iteratorINSA_10device_ptrIsEEEEPS6_NSA_18transform_iteratorI7is_evenIsESF_NSA_11use_defaultESK_EENS0_5tupleIJNSA_16discard_iteratorISK_EESF_EEENSM_IJSG_SG_EEES6_PlJS6_EEE10hipError_tPvRmT3_T4_T5_T6_T7_T9_mT8_P12ihipStream_tbDpT10_ENKUlT_T0_E_clISt17integral_constantIbLb1EES1A_IbLb0EEEEDaS16_S17_EUlS16_E_NS1_11comp_targetILNS1_3genE10ELNS1_11target_archE1200ELNS1_3gpuE4ELNS1_3repE0EEENS1_30default_config_static_selectorELNS0_4arch9wavefront6targetE1EEEvT1_
	.globl	_ZN7rocprim17ROCPRIM_400000_NS6detail17trampoline_kernelINS0_14default_configENS1_25partition_config_selectorILNS1_17partition_subalgoE1EsNS0_10empty_typeEbEEZZNS1_14partition_implILS5_1ELb0ES3_jN6thrust23THRUST_200600_302600_NS6detail15normal_iteratorINSA_10device_ptrIsEEEEPS6_NSA_18transform_iteratorI7is_evenIsESF_NSA_11use_defaultESK_EENS0_5tupleIJNSA_16discard_iteratorISK_EESF_EEENSM_IJSG_SG_EEES6_PlJS6_EEE10hipError_tPvRmT3_T4_T5_T6_T7_T9_mT8_P12ihipStream_tbDpT10_ENKUlT_T0_E_clISt17integral_constantIbLb1EES1A_IbLb0EEEEDaS16_S17_EUlS16_E_NS1_11comp_targetILNS1_3genE10ELNS1_11target_archE1200ELNS1_3gpuE4ELNS1_3repE0EEENS1_30default_config_static_selectorELNS0_4arch9wavefront6targetE1EEEvT1_
	.p2align	8
	.type	_ZN7rocprim17ROCPRIM_400000_NS6detail17trampoline_kernelINS0_14default_configENS1_25partition_config_selectorILNS1_17partition_subalgoE1EsNS0_10empty_typeEbEEZZNS1_14partition_implILS5_1ELb0ES3_jN6thrust23THRUST_200600_302600_NS6detail15normal_iteratorINSA_10device_ptrIsEEEEPS6_NSA_18transform_iteratorI7is_evenIsESF_NSA_11use_defaultESK_EENS0_5tupleIJNSA_16discard_iteratorISK_EESF_EEENSM_IJSG_SG_EEES6_PlJS6_EEE10hipError_tPvRmT3_T4_T5_T6_T7_T9_mT8_P12ihipStream_tbDpT10_ENKUlT_T0_E_clISt17integral_constantIbLb1EES1A_IbLb0EEEEDaS16_S17_EUlS16_E_NS1_11comp_targetILNS1_3genE10ELNS1_11target_archE1200ELNS1_3gpuE4ELNS1_3repE0EEENS1_30default_config_static_selectorELNS0_4arch9wavefront6targetE1EEEvT1_,@function
_ZN7rocprim17ROCPRIM_400000_NS6detail17trampoline_kernelINS0_14default_configENS1_25partition_config_selectorILNS1_17partition_subalgoE1EsNS0_10empty_typeEbEEZZNS1_14partition_implILS5_1ELb0ES3_jN6thrust23THRUST_200600_302600_NS6detail15normal_iteratorINSA_10device_ptrIsEEEEPS6_NSA_18transform_iteratorI7is_evenIsESF_NSA_11use_defaultESK_EENS0_5tupleIJNSA_16discard_iteratorISK_EESF_EEENSM_IJSG_SG_EEES6_PlJS6_EEE10hipError_tPvRmT3_T4_T5_T6_T7_T9_mT8_P12ihipStream_tbDpT10_ENKUlT_T0_E_clISt17integral_constantIbLb1EES1A_IbLb0EEEEDaS16_S17_EUlS16_E_NS1_11comp_targetILNS1_3genE10ELNS1_11target_archE1200ELNS1_3gpuE4ELNS1_3repE0EEENS1_30default_config_static_selectorELNS0_4arch9wavefront6targetE1EEEvT1_: ; @_ZN7rocprim17ROCPRIM_400000_NS6detail17trampoline_kernelINS0_14default_configENS1_25partition_config_selectorILNS1_17partition_subalgoE1EsNS0_10empty_typeEbEEZZNS1_14partition_implILS5_1ELb0ES3_jN6thrust23THRUST_200600_302600_NS6detail15normal_iteratorINSA_10device_ptrIsEEEEPS6_NSA_18transform_iteratorI7is_evenIsESF_NSA_11use_defaultESK_EENS0_5tupleIJNSA_16discard_iteratorISK_EESF_EEENSM_IJSG_SG_EEES6_PlJS6_EEE10hipError_tPvRmT3_T4_T5_T6_T7_T9_mT8_P12ihipStream_tbDpT10_ENKUlT_T0_E_clISt17integral_constantIbLb1EES1A_IbLb0EEEEDaS16_S17_EUlS16_E_NS1_11comp_targetILNS1_3genE10ELNS1_11target_archE1200ELNS1_3gpuE4ELNS1_3repE0EEENS1_30default_config_static_selectorELNS0_4arch9wavefront6targetE1EEEvT1_
; %bb.0:
	.section	.rodata,"a",@progbits
	.p2align	6, 0x0
	.amdhsa_kernel _ZN7rocprim17ROCPRIM_400000_NS6detail17trampoline_kernelINS0_14default_configENS1_25partition_config_selectorILNS1_17partition_subalgoE1EsNS0_10empty_typeEbEEZZNS1_14partition_implILS5_1ELb0ES3_jN6thrust23THRUST_200600_302600_NS6detail15normal_iteratorINSA_10device_ptrIsEEEEPS6_NSA_18transform_iteratorI7is_evenIsESF_NSA_11use_defaultESK_EENS0_5tupleIJNSA_16discard_iteratorISK_EESF_EEENSM_IJSG_SG_EEES6_PlJS6_EEE10hipError_tPvRmT3_T4_T5_T6_T7_T9_mT8_P12ihipStream_tbDpT10_ENKUlT_T0_E_clISt17integral_constantIbLb1EES1A_IbLb0EEEEDaS16_S17_EUlS16_E_NS1_11comp_targetILNS1_3genE10ELNS1_11target_archE1200ELNS1_3gpuE4ELNS1_3repE0EEENS1_30default_config_static_selectorELNS0_4arch9wavefront6targetE1EEEvT1_
		.amdhsa_group_segment_fixed_size 0
		.amdhsa_private_segment_fixed_size 0
		.amdhsa_kernarg_size 136
		.amdhsa_user_sgpr_count 2
		.amdhsa_user_sgpr_dispatch_ptr 0
		.amdhsa_user_sgpr_queue_ptr 0
		.amdhsa_user_sgpr_kernarg_segment_ptr 1
		.amdhsa_user_sgpr_dispatch_id 0
		.amdhsa_user_sgpr_kernarg_preload_length 0
		.amdhsa_user_sgpr_kernarg_preload_offset 0
		.amdhsa_user_sgpr_private_segment_size 0
		.amdhsa_uses_dynamic_stack 0
		.amdhsa_enable_private_segment 0
		.amdhsa_system_sgpr_workgroup_id_x 1
		.amdhsa_system_sgpr_workgroup_id_y 0
		.amdhsa_system_sgpr_workgroup_id_z 0
		.amdhsa_system_sgpr_workgroup_info 0
		.amdhsa_system_vgpr_workitem_id 0
		.amdhsa_next_free_vgpr 1
		.amdhsa_next_free_sgpr 0
		.amdhsa_accum_offset 4
		.amdhsa_reserve_vcc 0
		.amdhsa_float_round_mode_32 0
		.amdhsa_float_round_mode_16_64 0
		.amdhsa_float_denorm_mode_32 3
		.amdhsa_float_denorm_mode_16_64 3
		.amdhsa_dx10_clamp 1
		.amdhsa_ieee_mode 1
		.amdhsa_fp16_overflow 0
		.amdhsa_tg_split 0
		.amdhsa_exception_fp_ieee_invalid_op 0
		.amdhsa_exception_fp_denorm_src 0
		.amdhsa_exception_fp_ieee_div_zero 0
		.amdhsa_exception_fp_ieee_overflow 0
		.amdhsa_exception_fp_ieee_underflow 0
		.amdhsa_exception_fp_ieee_inexact 0
		.amdhsa_exception_int_div_zero 0
	.end_amdhsa_kernel
	.section	.text._ZN7rocprim17ROCPRIM_400000_NS6detail17trampoline_kernelINS0_14default_configENS1_25partition_config_selectorILNS1_17partition_subalgoE1EsNS0_10empty_typeEbEEZZNS1_14partition_implILS5_1ELb0ES3_jN6thrust23THRUST_200600_302600_NS6detail15normal_iteratorINSA_10device_ptrIsEEEEPS6_NSA_18transform_iteratorI7is_evenIsESF_NSA_11use_defaultESK_EENS0_5tupleIJNSA_16discard_iteratorISK_EESF_EEENSM_IJSG_SG_EEES6_PlJS6_EEE10hipError_tPvRmT3_T4_T5_T6_T7_T9_mT8_P12ihipStream_tbDpT10_ENKUlT_T0_E_clISt17integral_constantIbLb1EES1A_IbLb0EEEEDaS16_S17_EUlS16_E_NS1_11comp_targetILNS1_3genE10ELNS1_11target_archE1200ELNS1_3gpuE4ELNS1_3repE0EEENS1_30default_config_static_selectorELNS0_4arch9wavefront6targetE1EEEvT1_,"axG",@progbits,_ZN7rocprim17ROCPRIM_400000_NS6detail17trampoline_kernelINS0_14default_configENS1_25partition_config_selectorILNS1_17partition_subalgoE1EsNS0_10empty_typeEbEEZZNS1_14partition_implILS5_1ELb0ES3_jN6thrust23THRUST_200600_302600_NS6detail15normal_iteratorINSA_10device_ptrIsEEEEPS6_NSA_18transform_iteratorI7is_evenIsESF_NSA_11use_defaultESK_EENS0_5tupleIJNSA_16discard_iteratorISK_EESF_EEENSM_IJSG_SG_EEES6_PlJS6_EEE10hipError_tPvRmT3_T4_T5_T6_T7_T9_mT8_P12ihipStream_tbDpT10_ENKUlT_T0_E_clISt17integral_constantIbLb1EES1A_IbLb0EEEEDaS16_S17_EUlS16_E_NS1_11comp_targetILNS1_3genE10ELNS1_11target_archE1200ELNS1_3gpuE4ELNS1_3repE0EEENS1_30default_config_static_selectorELNS0_4arch9wavefront6targetE1EEEvT1_,comdat
.Lfunc_end3440:
	.size	_ZN7rocprim17ROCPRIM_400000_NS6detail17trampoline_kernelINS0_14default_configENS1_25partition_config_selectorILNS1_17partition_subalgoE1EsNS0_10empty_typeEbEEZZNS1_14partition_implILS5_1ELb0ES3_jN6thrust23THRUST_200600_302600_NS6detail15normal_iteratorINSA_10device_ptrIsEEEEPS6_NSA_18transform_iteratorI7is_evenIsESF_NSA_11use_defaultESK_EENS0_5tupleIJNSA_16discard_iteratorISK_EESF_EEENSM_IJSG_SG_EEES6_PlJS6_EEE10hipError_tPvRmT3_T4_T5_T6_T7_T9_mT8_P12ihipStream_tbDpT10_ENKUlT_T0_E_clISt17integral_constantIbLb1EES1A_IbLb0EEEEDaS16_S17_EUlS16_E_NS1_11comp_targetILNS1_3genE10ELNS1_11target_archE1200ELNS1_3gpuE4ELNS1_3repE0EEENS1_30default_config_static_selectorELNS0_4arch9wavefront6targetE1EEEvT1_, .Lfunc_end3440-_ZN7rocprim17ROCPRIM_400000_NS6detail17trampoline_kernelINS0_14default_configENS1_25partition_config_selectorILNS1_17partition_subalgoE1EsNS0_10empty_typeEbEEZZNS1_14partition_implILS5_1ELb0ES3_jN6thrust23THRUST_200600_302600_NS6detail15normal_iteratorINSA_10device_ptrIsEEEEPS6_NSA_18transform_iteratorI7is_evenIsESF_NSA_11use_defaultESK_EENS0_5tupleIJNSA_16discard_iteratorISK_EESF_EEENSM_IJSG_SG_EEES6_PlJS6_EEE10hipError_tPvRmT3_T4_T5_T6_T7_T9_mT8_P12ihipStream_tbDpT10_ENKUlT_T0_E_clISt17integral_constantIbLb1EES1A_IbLb0EEEEDaS16_S17_EUlS16_E_NS1_11comp_targetILNS1_3genE10ELNS1_11target_archE1200ELNS1_3gpuE4ELNS1_3repE0EEENS1_30default_config_static_selectorELNS0_4arch9wavefront6targetE1EEEvT1_
                                        ; -- End function
	.section	.AMDGPU.csdata,"",@progbits
; Kernel info:
; codeLenInByte = 0
; NumSgprs: 6
; NumVgprs: 0
; NumAgprs: 0
; TotalNumVgprs: 0
; ScratchSize: 0
; MemoryBound: 0
; FloatMode: 240
; IeeeMode: 1
; LDSByteSize: 0 bytes/workgroup (compile time only)
; SGPRBlocks: 0
; VGPRBlocks: 0
; NumSGPRsForWavesPerEU: 6
; NumVGPRsForWavesPerEU: 1
; AccumOffset: 4
; Occupancy: 8
; WaveLimiterHint : 0
; COMPUTE_PGM_RSRC2:SCRATCH_EN: 0
; COMPUTE_PGM_RSRC2:USER_SGPR: 2
; COMPUTE_PGM_RSRC2:TRAP_HANDLER: 0
; COMPUTE_PGM_RSRC2:TGID_X_EN: 1
; COMPUTE_PGM_RSRC2:TGID_Y_EN: 0
; COMPUTE_PGM_RSRC2:TGID_Z_EN: 0
; COMPUTE_PGM_RSRC2:TIDIG_COMP_CNT: 0
; COMPUTE_PGM_RSRC3_GFX90A:ACCUM_OFFSET: 0
; COMPUTE_PGM_RSRC3_GFX90A:TG_SPLIT: 0
	.section	.text._ZN7rocprim17ROCPRIM_400000_NS6detail17trampoline_kernelINS0_14default_configENS1_25partition_config_selectorILNS1_17partition_subalgoE1EsNS0_10empty_typeEbEEZZNS1_14partition_implILS5_1ELb0ES3_jN6thrust23THRUST_200600_302600_NS6detail15normal_iteratorINSA_10device_ptrIsEEEEPS6_NSA_18transform_iteratorI7is_evenIsESF_NSA_11use_defaultESK_EENS0_5tupleIJNSA_16discard_iteratorISK_EESF_EEENSM_IJSG_SG_EEES6_PlJS6_EEE10hipError_tPvRmT3_T4_T5_T6_T7_T9_mT8_P12ihipStream_tbDpT10_ENKUlT_T0_E_clISt17integral_constantIbLb1EES1A_IbLb0EEEEDaS16_S17_EUlS16_E_NS1_11comp_targetILNS1_3genE9ELNS1_11target_archE1100ELNS1_3gpuE3ELNS1_3repE0EEENS1_30default_config_static_selectorELNS0_4arch9wavefront6targetE1EEEvT1_,"axG",@progbits,_ZN7rocprim17ROCPRIM_400000_NS6detail17trampoline_kernelINS0_14default_configENS1_25partition_config_selectorILNS1_17partition_subalgoE1EsNS0_10empty_typeEbEEZZNS1_14partition_implILS5_1ELb0ES3_jN6thrust23THRUST_200600_302600_NS6detail15normal_iteratorINSA_10device_ptrIsEEEEPS6_NSA_18transform_iteratorI7is_evenIsESF_NSA_11use_defaultESK_EENS0_5tupleIJNSA_16discard_iteratorISK_EESF_EEENSM_IJSG_SG_EEES6_PlJS6_EEE10hipError_tPvRmT3_T4_T5_T6_T7_T9_mT8_P12ihipStream_tbDpT10_ENKUlT_T0_E_clISt17integral_constantIbLb1EES1A_IbLb0EEEEDaS16_S17_EUlS16_E_NS1_11comp_targetILNS1_3genE9ELNS1_11target_archE1100ELNS1_3gpuE3ELNS1_3repE0EEENS1_30default_config_static_selectorELNS0_4arch9wavefront6targetE1EEEvT1_,comdat
	.protected	_ZN7rocprim17ROCPRIM_400000_NS6detail17trampoline_kernelINS0_14default_configENS1_25partition_config_selectorILNS1_17partition_subalgoE1EsNS0_10empty_typeEbEEZZNS1_14partition_implILS5_1ELb0ES3_jN6thrust23THRUST_200600_302600_NS6detail15normal_iteratorINSA_10device_ptrIsEEEEPS6_NSA_18transform_iteratorI7is_evenIsESF_NSA_11use_defaultESK_EENS0_5tupleIJNSA_16discard_iteratorISK_EESF_EEENSM_IJSG_SG_EEES6_PlJS6_EEE10hipError_tPvRmT3_T4_T5_T6_T7_T9_mT8_P12ihipStream_tbDpT10_ENKUlT_T0_E_clISt17integral_constantIbLb1EES1A_IbLb0EEEEDaS16_S17_EUlS16_E_NS1_11comp_targetILNS1_3genE9ELNS1_11target_archE1100ELNS1_3gpuE3ELNS1_3repE0EEENS1_30default_config_static_selectorELNS0_4arch9wavefront6targetE1EEEvT1_ ; -- Begin function _ZN7rocprim17ROCPRIM_400000_NS6detail17trampoline_kernelINS0_14default_configENS1_25partition_config_selectorILNS1_17partition_subalgoE1EsNS0_10empty_typeEbEEZZNS1_14partition_implILS5_1ELb0ES3_jN6thrust23THRUST_200600_302600_NS6detail15normal_iteratorINSA_10device_ptrIsEEEEPS6_NSA_18transform_iteratorI7is_evenIsESF_NSA_11use_defaultESK_EENS0_5tupleIJNSA_16discard_iteratorISK_EESF_EEENSM_IJSG_SG_EEES6_PlJS6_EEE10hipError_tPvRmT3_T4_T5_T6_T7_T9_mT8_P12ihipStream_tbDpT10_ENKUlT_T0_E_clISt17integral_constantIbLb1EES1A_IbLb0EEEEDaS16_S17_EUlS16_E_NS1_11comp_targetILNS1_3genE9ELNS1_11target_archE1100ELNS1_3gpuE3ELNS1_3repE0EEENS1_30default_config_static_selectorELNS0_4arch9wavefront6targetE1EEEvT1_
	.globl	_ZN7rocprim17ROCPRIM_400000_NS6detail17trampoline_kernelINS0_14default_configENS1_25partition_config_selectorILNS1_17partition_subalgoE1EsNS0_10empty_typeEbEEZZNS1_14partition_implILS5_1ELb0ES3_jN6thrust23THRUST_200600_302600_NS6detail15normal_iteratorINSA_10device_ptrIsEEEEPS6_NSA_18transform_iteratorI7is_evenIsESF_NSA_11use_defaultESK_EENS0_5tupleIJNSA_16discard_iteratorISK_EESF_EEENSM_IJSG_SG_EEES6_PlJS6_EEE10hipError_tPvRmT3_T4_T5_T6_T7_T9_mT8_P12ihipStream_tbDpT10_ENKUlT_T0_E_clISt17integral_constantIbLb1EES1A_IbLb0EEEEDaS16_S17_EUlS16_E_NS1_11comp_targetILNS1_3genE9ELNS1_11target_archE1100ELNS1_3gpuE3ELNS1_3repE0EEENS1_30default_config_static_selectorELNS0_4arch9wavefront6targetE1EEEvT1_
	.p2align	8
	.type	_ZN7rocprim17ROCPRIM_400000_NS6detail17trampoline_kernelINS0_14default_configENS1_25partition_config_selectorILNS1_17partition_subalgoE1EsNS0_10empty_typeEbEEZZNS1_14partition_implILS5_1ELb0ES3_jN6thrust23THRUST_200600_302600_NS6detail15normal_iteratorINSA_10device_ptrIsEEEEPS6_NSA_18transform_iteratorI7is_evenIsESF_NSA_11use_defaultESK_EENS0_5tupleIJNSA_16discard_iteratorISK_EESF_EEENSM_IJSG_SG_EEES6_PlJS6_EEE10hipError_tPvRmT3_T4_T5_T6_T7_T9_mT8_P12ihipStream_tbDpT10_ENKUlT_T0_E_clISt17integral_constantIbLb1EES1A_IbLb0EEEEDaS16_S17_EUlS16_E_NS1_11comp_targetILNS1_3genE9ELNS1_11target_archE1100ELNS1_3gpuE3ELNS1_3repE0EEENS1_30default_config_static_selectorELNS0_4arch9wavefront6targetE1EEEvT1_,@function
_ZN7rocprim17ROCPRIM_400000_NS6detail17trampoline_kernelINS0_14default_configENS1_25partition_config_selectorILNS1_17partition_subalgoE1EsNS0_10empty_typeEbEEZZNS1_14partition_implILS5_1ELb0ES3_jN6thrust23THRUST_200600_302600_NS6detail15normal_iteratorINSA_10device_ptrIsEEEEPS6_NSA_18transform_iteratorI7is_evenIsESF_NSA_11use_defaultESK_EENS0_5tupleIJNSA_16discard_iteratorISK_EESF_EEENSM_IJSG_SG_EEES6_PlJS6_EEE10hipError_tPvRmT3_T4_T5_T6_T7_T9_mT8_P12ihipStream_tbDpT10_ENKUlT_T0_E_clISt17integral_constantIbLb1EES1A_IbLb0EEEEDaS16_S17_EUlS16_E_NS1_11comp_targetILNS1_3genE9ELNS1_11target_archE1100ELNS1_3gpuE3ELNS1_3repE0EEENS1_30default_config_static_selectorELNS0_4arch9wavefront6targetE1EEEvT1_: ; @_ZN7rocprim17ROCPRIM_400000_NS6detail17trampoline_kernelINS0_14default_configENS1_25partition_config_selectorILNS1_17partition_subalgoE1EsNS0_10empty_typeEbEEZZNS1_14partition_implILS5_1ELb0ES3_jN6thrust23THRUST_200600_302600_NS6detail15normal_iteratorINSA_10device_ptrIsEEEEPS6_NSA_18transform_iteratorI7is_evenIsESF_NSA_11use_defaultESK_EENS0_5tupleIJNSA_16discard_iteratorISK_EESF_EEENSM_IJSG_SG_EEES6_PlJS6_EEE10hipError_tPvRmT3_T4_T5_T6_T7_T9_mT8_P12ihipStream_tbDpT10_ENKUlT_T0_E_clISt17integral_constantIbLb1EES1A_IbLb0EEEEDaS16_S17_EUlS16_E_NS1_11comp_targetILNS1_3genE9ELNS1_11target_archE1100ELNS1_3gpuE3ELNS1_3repE0EEENS1_30default_config_static_selectorELNS0_4arch9wavefront6targetE1EEEvT1_
; %bb.0:
	.section	.rodata,"a",@progbits
	.p2align	6, 0x0
	.amdhsa_kernel _ZN7rocprim17ROCPRIM_400000_NS6detail17trampoline_kernelINS0_14default_configENS1_25partition_config_selectorILNS1_17partition_subalgoE1EsNS0_10empty_typeEbEEZZNS1_14partition_implILS5_1ELb0ES3_jN6thrust23THRUST_200600_302600_NS6detail15normal_iteratorINSA_10device_ptrIsEEEEPS6_NSA_18transform_iteratorI7is_evenIsESF_NSA_11use_defaultESK_EENS0_5tupleIJNSA_16discard_iteratorISK_EESF_EEENSM_IJSG_SG_EEES6_PlJS6_EEE10hipError_tPvRmT3_T4_T5_T6_T7_T9_mT8_P12ihipStream_tbDpT10_ENKUlT_T0_E_clISt17integral_constantIbLb1EES1A_IbLb0EEEEDaS16_S17_EUlS16_E_NS1_11comp_targetILNS1_3genE9ELNS1_11target_archE1100ELNS1_3gpuE3ELNS1_3repE0EEENS1_30default_config_static_selectorELNS0_4arch9wavefront6targetE1EEEvT1_
		.amdhsa_group_segment_fixed_size 0
		.amdhsa_private_segment_fixed_size 0
		.amdhsa_kernarg_size 136
		.amdhsa_user_sgpr_count 2
		.amdhsa_user_sgpr_dispatch_ptr 0
		.amdhsa_user_sgpr_queue_ptr 0
		.amdhsa_user_sgpr_kernarg_segment_ptr 1
		.amdhsa_user_sgpr_dispatch_id 0
		.amdhsa_user_sgpr_kernarg_preload_length 0
		.amdhsa_user_sgpr_kernarg_preload_offset 0
		.amdhsa_user_sgpr_private_segment_size 0
		.amdhsa_uses_dynamic_stack 0
		.amdhsa_enable_private_segment 0
		.amdhsa_system_sgpr_workgroup_id_x 1
		.amdhsa_system_sgpr_workgroup_id_y 0
		.amdhsa_system_sgpr_workgroup_id_z 0
		.amdhsa_system_sgpr_workgroup_info 0
		.amdhsa_system_vgpr_workitem_id 0
		.amdhsa_next_free_vgpr 1
		.amdhsa_next_free_sgpr 0
		.amdhsa_accum_offset 4
		.amdhsa_reserve_vcc 0
		.amdhsa_float_round_mode_32 0
		.amdhsa_float_round_mode_16_64 0
		.amdhsa_float_denorm_mode_32 3
		.amdhsa_float_denorm_mode_16_64 3
		.amdhsa_dx10_clamp 1
		.amdhsa_ieee_mode 1
		.amdhsa_fp16_overflow 0
		.amdhsa_tg_split 0
		.amdhsa_exception_fp_ieee_invalid_op 0
		.amdhsa_exception_fp_denorm_src 0
		.amdhsa_exception_fp_ieee_div_zero 0
		.amdhsa_exception_fp_ieee_overflow 0
		.amdhsa_exception_fp_ieee_underflow 0
		.amdhsa_exception_fp_ieee_inexact 0
		.amdhsa_exception_int_div_zero 0
	.end_amdhsa_kernel
	.section	.text._ZN7rocprim17ROCPRIM_400000_NS6detail17trampoline_kernelINS0_14default_configENS1_25partition_config_selectorILNS1_17partition_subalgoE1EsNS0_10empty_typeEbEEZZNS1_14partition_implILS5_1ELb0ES3_jN6thrust23THRUST_200600_302600_NS6detail15normal_iteratorINSA_10device_ptrIsEEEEPS6_NSA_18transform_iteratorI7is_evenIsESF_NSA_11use_defaultESK_EENS0_5tupleIJNSA_16discard_iteratorISK_EESF_EEENSM_IJSG_SG_EEES6_PlJS6_EEE10hipError_tPvRmT3_T4_T5_T6_T7_T9_mT8_P12ihipStream_tbDpT10_ENKUlT_T0_E_clISt17integral_constantIbLb1EES1A_IbLb0EEEEDaS16_S17_EUlS16_E_NS1_11comp_targetILNS1_3genE9ELNS1_11target_archE1100ELNS1_3gpuE3ELNS1_3repE0EEENS1_30default_config_static_selectorELNS0_4arch9wavefront6targetE1EEEvT1_,"axG",@progbits,_ZN7rocprim17ROCPRIM_400000_NS6detail17trampoline_kernelINS0_14default_configENS1_25partition_config_selectorILNS1_17partition_subalgoE1EsNS0_10empty_typeEbEEZZNS1_14partition_implILS5_1ELb0ES3_jN6thrust23THRUST_200600_302600_NS6detail15normal_iteratorINSA_10device_ptrIsEEEEPS6_NSA_18transform_iteratorI7is_evenIsESF_NSA_11use_defaultESK_EENS0_5tupleIJNSA_16discard_iteratorISK_EESF_EEENSM_IJSG_SG_EEES6_PlJS6_EEE10hipError_tPvRmT3_T4_T5_T6_T7_T9_mT8_P12ihipStream_tbDpT10_ENKUlT_T0_E_clISt17integral_constantIbLb1EES1A_IbLb0EEEEDaS16_S17_EUlS16_E_NS1_11comp_targetILNS1_3genE9ELNS1_11target_archE1100ELNS1_3gpuE3ELNS1_3repE0EEENS1_30default_config_static_selectorELNS0_4arch9wavefront6targetE1EEEvT1_,comdat
.Lfunc_end3441:
	.size	_ZN7rocprim17ROCPRIM_400000_NS6detail17trampoline_kernelINS0_14default_configENS1_25partition_config_selectorILNS1_17partition_subalgoE1EsNS0_10empty_typeEbEEZZNS1_14partition_implILS5_1ELb0ES3_jN6thrust23THRUST_200600_302600_NS6detail15normal_iteratorINSA_10device_ptrIsEEEEPS6_NSA_18transform_iteratorI7is_evenIsESF_NSA_11use_defaultESK_EENS0_5tupleIJNSA_16discard_iteratorISK_EESF_EEENSM_IJSG_SG_EEES6_PlJS6_EEE10hipError_tPvRmT3_T4_T5_T6_T7_T9_mT8_P12ihipStream_tbDpT10_ENKUlT_T0_E_clISt17integral_constantIbLb1EES1A_IbLb0EEEEDaS16_S17_EUlS16_E_NS1_11comp_targetILNS1_3genE9ELNS1_11target_archE1100ELNS1_3gpuE3ELNS1_3repE0EEENS1_30default_config_static_selectorELNS0_4arch9wavefront6targetE1EEEvT1_, .Lfunc_end3441-_ZN7rocprim17ROCPRIM_400000_NS6detail17trampoline_kernelINS0_14default_configENS1_25partition_config_selectorILNS1_17partition_subalgoE1EsNS0_10empty_typeEbEEZZNS1_14partition_implILS5_1ELb0ES3_jN6thrust23THRUST_200600_302600_NS6detail15normal_iteratorINSA_10device_ptrIsEEEEPS6_NSA_18transform_iteratorI7is_evenIsESF_NSA_11use_defaultESK_EENS0_5tupleIJNSA_16discard_iteratorISK_EESF_EEENSM_IJSG_SG_EEES6_PlJS6_EEE10hipError_tPvRmT3_T4_T5_T6_T7_T9_mT8_P12ihipStream_tbDpT10_ENKUlT_T0_E_clISt17integral_constantIbLb1EES1A_IbLb0EEEEDaS16_S17_EUlS16_E_NS1_11comp_targetILNS1_3genE9ELNS1_11target_archE1100ELNS1_3gpuE3ELNS1_3repE0EEENS1_30default_config_static_selectorELNS0_4arch9wavefront6targetE1EEEvT1_
                                        ; -- End function
	.section	.AMDGPU.csdata,"",@progbits
; Kernel info:
; codeLenInByte = 0
; NumSgprs: 6
; NumVgprs: 0
; NumAgprs: 0
; TotalNumVgprs: 0
; ScratchSize: 0
; MemoryBound: 0
; FloatMode: 240
; IeeeMode: 1
; LDSByteSize: 0 bytes/workgroup (compile time only)
; SGPRBlocks: 0
; VGPRBlocks: 0
; NumSGPRsForWavesPerEU: 6
; NumVGPRsForWavesPerEU: 1
; AccumOffset: 4
; Occupancy: 8
; WaveLimiterHint : 0
; COMPUTE_PGM_RSRC2:SCRATCH_EN: 0
; COMPUTE_PGM_RSRC2:USER_SGPR: 2
; COMPUTE_PGM_RSRC2:TRAP_HANDLER: 0
; COMPUTE_PGM_RSRC2:TGID_X_EN: 1
; COMPUTE_PGM_RSRC2:TGID_Y_EN: 0
; COMPUTE_PGM_RSRC2:TGID_Z_EN: 0
; COMPUTE_PGM_RSRC2:TIDIG_COMP_CNT: 0
; COMPUTE_PGM_RSRC3_GFX90A:ACCUM_OFFSET: 0
; COMPUTE_PGM_RSRC3_GFX90A:TG_SPLIT: 0
	.section	.text._ZN7rocprim17ROCPRIM_400000_NS6detail17trampoline_kernelINS0_14default_configENS1_25partition_config_selectorILNS1_17partition_subalgoE1EsNS0_10empty_typeEbEEZZNS1_14partition_implILS5_1ELb0ES3_jN6thrust23THRUST_200600_302600_NS6detail15normal_iteratorINSA_10device_ptrIsEEEEPS6_NSA_18transform_iteratorI7is_evenIsESF_NSA_11use_defaultESK_EENS0_5tupleIJNSA_16discard_iteratorISK_EESF_EEENSM_IJSG_SG_EEES6_PlJS6_EEE10hipError_tPvRmT3_T4_T5_T6_T7_T9_mT8_P12ihipStream_tbDpT10_ENKUlT_T0_E_clISt17integral_constantIbLb1EES1A_IbLb0EEEEDaS16_S17_EUlS16_E_NS1_11comp_targetILNS1_3genE8ELNS1_11target_archE1030ELNS1_3gpuE2ELNS1_3repE0EEENS1_30default_config_static_selectorELNS0_4arch9wavefront6targetE1EEEvT1_,"axG",@progbits,_ZN7rocprim17ROCPRIM_400000_NS6detail17trampoline_kernelINS0_14default_configENS1_25partition_config_selectorILNS1_17partition_subalgoE1EsNS0_10empty_typeEbEEZZNS1_14partition_implILS5_1ELb0ES3_jN6thrust23THRUST_200600_302600_NS6detail15normal_iteratorINSA_10device_ptrIsEEEEPS6_NSA_18transform_iteratorI7is_evenIsESF_NSA_11use_defaultESK_EENS0_5tupleIJNSA_16discard_iteratorISK_EESF_EEENSM_IJSG_SG_EEES6_PlJS6_EEE10hipError_tPvRmT3_T4_T5_T6_T7_T9_mT8_P12ihipStream_tbDpT10_ENKUlT_T0_E_clISt17integral_constantIbLb1EES1A_IbLb0EEEEDaS16_S17_EUlS16_E_NS1_11comp_targetILNS1_3genE8ELNS1_11target_archE1030ELNS1_3gpuE2ELNS1_3repE0EEENS1_30default_config_static_selectorELNS0_4arch9wavefront6targetE1EEEvT1_,comdat
	.protected	_ZN7rocprim17ROCPRIM_400000_NS6detail17trampoline_kernelINS0_14default_configENS1_25partition_config_selectorILNS1_17partition_subalgoE1EsNS0_10empty_typeEbEEZZNS1_14partition_implILS5_1ELb0ES3_jN6thrust23THRUST_200600_302600_NS6detail15normal_iteratorINSA_10device_ptrIsEEEEPS6_NSA_18transform_iteratorI7is_evenIsESF_NSA_11use_defaultESK_EENS0_5tupleIJNSA_16discard_iteratorISK_EESF_EEENSM_IJSG_SG_EEES6_PlJS6_EEE10hipError_tPvRmT3_T4_T5_T6_T7_T9_mT8_P12ihipStream_tbDpT10_ENKUlT_T0_E_clISt17integral_constantIbLb1EES1A_IbLb0EEEEDaS16_S17_EUlS16_E_NS1_11comp_targetILNS1_3genE8ELNS1_11target_archE1030ELNS1_3gpuE2ELNS1_3repE0EEENS1_30default_config_static_selectorELNS0_4arch9wavefront6targetE1EEEvT1_ ; -- Begin function _ZN7rocprim17ROCPRIM_400000_NS6detail17trampoline_kernelINS0_14default_configENS1_25partition_config_selectorILNS1_17partition_subalgoE1EsNS0_10empty_typeEbEEZZNS1_14partition_implILS5_1ELb0ES3_jN6thrust23THRUST_200600_302600_NS6detail15normal_iteratorINSA_10device_ptrIsEEEEPS6_NSA_18transform_iteratorI7is_evenIsESF_NSA_11use_defaultESK_EENS0_5tupleIJNSA_16discard_iteratorISK_EESF_EEENSM_IJSG_SG_EEES6_PlJS6_EEE10hipError_tPvRmT3_T4_T5_T6_T7_T9_mT8_P12ihipStream_tbDpT10_ENKUlT_T0_E_clISt17integral_constantIbLb1EES1A_IbLb0EEEEDaS16_S17_EUlS16_E_NS1_11comp_targetILNS1_3genE8ELNS1_11target_archE1030ELNS1_3gpuE2ELNS1_3repE0EEENS1_30default_config_static_selectorELNS0_4arch9wavefront6targetE1EEEvT1_
	.globl	_ZN7rocprim17ROCPRIM_400000_NS6detail17trampoline_kernelINS0_14default_configENS1_25partition_config_selectorILNS1_17partition_subalgoE1EsNS0_10empty_typeEbEEZZNS1_14partition_implILS5_1ELb0ES3_jN6thrust23THRUST_200600_302600_NS6detail15normal_iteratorINSA_10device_ptrIsEEEEPS6_NSA_18transform_iteratorI7is_evenIsESF_NSA_11use_defaultESK_EENS0_5tupleIJNSA_16discard_iteratorISK_EESF_EEENSM_IJSG_SG_EEES6_PlJS6_EEE10hipError_tPvRmT3_T4_T5_T6_T7_T9_mT8_P12ihipStream_tbDpT10_ENKUlT_T0_E_clISt17integral_constantIbLb1EES1A_IbLb0EEEEDaS16_S17_EUlS16_E_NS1_11comp_targetILNS1_3genE8ELNS1_11target_archE1030ELNS1_3gpuE2ELNS1_3repE0EEENS1_30default_config_static_selectorELNS0_4arch9wavefront6targetE1EEEvT1_
	.p2align	8
	.type	_ZN7rocprim17ROCPRIM_400000_NS6detail17trampoline_kernelINS0_14default_configENS1_25partition_config_selectorILNS1_17partition_subalgoE1EsNS0_10empty_typeEbEEZZNS1_14partition_implILS5_1ELb0ES3_jN6thrust23THRUST_200600_302600_NS6detail15normal_iteratorINSA_10device_ptrIsEEEEPS6_NSA_18transform_iteratorI7is_evenIsESF_NSA_11use_defaultESK_EENS0_5tupleIJNSA_16discard_iteratorISK_EESF_EEENSM_IJSG_SG_EEES6_PlJS6_EEE10hipError_tPvRmT3_T4_T5_T6_T7_T9_mT8_P12ihipStream_tbDpT10_ENKUlT_T0_E_clISt17integral_constantIbLb1EES1A_IbLb0EEEEDaS16_S17_EUlS16_E_NS1_11comp_targetILNS1_3genE8ELNS1_11target_archE1030ELNS1_3gpuE2ELNS1_3repE0EEENS1_30default_config_static_selectorELNS0_4arch9wavefront6targetE1EEEvT1_,@function
_ZN7rocprim17ROCPRIM_400000_NS6detail17trampoline_kernelINS0_14default_configENS1_25partition_config_selectorILNS1_17partition_subalgoE1EsNS0_10empty_typeEbEEZZNS1_14partition_implILS5_1ELb0ES3_jN6thrust23THRUST_200600_302600_NS6detail15normal_iteratorINSA_10device_ptrIsEEEEPS6_NSA_18transform_iteratorI7is_evenIsESF_NSA_11use_defaultESK_EENS0_5tupleIJNSA_16discard_iteratorISK_EESF_EEENSM_IJSG_SG_EEES6_PlJS6_EEE10hipError_tPvRmT3_T4_T5_T6_T7_T9_mT8_P12ihipStream_tbDpT10_ENKUlT_T0_E_clISt17integral_constantIbLb1EES1A_IbLb0EEEEDaS16_S17_EUlS16_E_NS1_11comp_targetILNS1_3genE8ELNS1_11target_archE1030ELNS1_3gpuE2ELNS1_3repE0EEENS1_30default_config_static_selectorELNS0_4arch9wavefront6targetE1EEEvT1_: ; @_ZN7rocprim17ROCPRIM_400000_NS6detail17trampoline_kernelINS0_14default_configENS1_25partition_config_selectorILNS1_17partition_subalgoE1EsNS0_10empty_typeEbEEZZNS1_14partition_implILS5_1ELb0ES3_jN6thrust23THRUST_200600_302600_NS6detail15normal_iteratorINSA_10device_ptrIsEEEEPS6_NSA_18transform_iteratorI7is_evenIsESF_NSA_11use_defaultESK_EENS0_5tupleIJNSA_16discard_iteratorISK_EESF_EEENSM_IJSG_SG_EEES6_PlJS6_EEE10hipError_tPvRmT3_T4_T5_T6_T7_T9_mT8_P12ihipStream_tbDpT10_ENKUlT_T0_E_clISt17integral_constantIbLb1EES1A_IbLb0EEEEDaS16_S17_EUlS16_E_NS1_11comp_targetILNS1_3genE8ELNS1_11target_archE1030ELNS1_3gpuE2ELNS1_3repE0EEENS1_30default_config_static_selectorELNS0_4arch9wavefront6targetE1EEEvT1_
; %bb.0:
	.section	.rodata,"a",@progbits
	.p2align	6, 0x0
	.amdhsa_kernel _ZN7rocprim17ROCPRIM_400000_NS6detail17trampoline_kernelINS0_14default_configENS1_25partition_config_selectorILNS1_17partition_subalgoE1EsNS0_10empty_typeEbEEZZNS1_14partition_implILS5_1ELb0ES3_jN6thrust23THRUST_200600_302600_NS6detail15normal_iteratorINSA_10device_ptrIsEEEEPS6_NSA_18transform_iteratorI7is_evenIsESF_NSA_11use_defaultESK_EENS0_5tupleIJNSA_16discard_iteratorISK_EESF_EEENSM_IJSG_SG_EEES6_PlJS6_EEE10hipError_tPvRmT3_T4_T5_T6_T7_T9_mT8_P12ihipStream_tbDpT10_ENKUlT_T0_E_clISt17integral_constantIbLb1EES1A_IbLb0EEEEDaS16_S17_EUlS16_E_NS1_11comp_targetILNS1_3genE8ELNS1_11target_archE1030ELNS1_3gpuE2ELNS1_3repE0EEENS1_30default_config_static_selectorELNS0_4arch9wavefront6targetE1EEEvT1_
		.amdhsa_group_segment_fixed_size 0
		.amdhsa_private_segment_fixed_size 0
		.amdhsa_kernarg_size 136
		.amdhsa_user_sgpr_count 2
		.amdhsa_user_sgpr_dispatch_ptr 0
		.amdhsa_user_sgpr_queue_ptr 0
		.amdhsa_user_sgpr_kernarg_segment_ptr 1
		.amdhsa_user_sgpr_dispatch_id 0
		.amdhsa_user_sgpr_kernarg_preload_length 0
		.amdhsa_user_sgpr_kernarg_preload_offset 0
		.amdhsa_user_sgpr_private_segment_size 0
		.amdhsa_uses_dynamic_stack 0
		.amdhsa_enable_private_segment 0
		.amdhsa_system_sgpr_workgroup_id_x 1
		.amdhsa_system_sgpr_workgroup_id_y 0
		.amdhsa_system_sgpr_workgroup_id_z 0
		.amdhsa_system_sgpr_workgroup_info 0
		.amdhsa_system_vgpr_workitem_id 0
		.amdhsa_next_free_vgpr 1
		.amdhsa_next_free_sgpr 0
		.amdhsa_accum_offset 4
		.amdhsa_reserve_vcc 0
		.amdhsa_float_round_mode_32 0
		.amdhsa_float_round_mode_16_64 0
		.amdhsa_float_denorm_mode_32 3
		.amdhsa_float_denorm_mode_16_64 3
		.amdhsa_dx10_clamp 1
		.amdhsa_ieee_mode 1
		.amdhsa_fp16_overflow 0
		.amdhsa_tg_split 0
		.amdhsa_exception_fp_ieee_invalid_op 0
		.amdhsa_exception_fp_denorm_src 0
		.amdhsa_exception_fp_ieee_div_zero 0
		.amdhsa_exception_fp_ieee_overflow 0
		.amdhsa_exception_fp_ieee_underflow 0
		.amdhsa_exception_fp_ieee_inexact 0
		.amdhsa_exception_int_div_zero 0
	.end_amdhsa_kernel
	.section	.text._ZN7rocprim17ROCPRIM_400000_NS6detail17trampoline_kernelINS0_14default_configENS1_25partition_config_selectorILNS1_17partition_subalgoE1EsNS0_10empty_typeEbEEZZNS1_14partition_implILS5_1ELb0ES3_jN6thrust23THRUST_200600_302600_NS6detail15normal_iteratorINSA_10device_ptrIsEEEEPS6_NSA_18transform_iteratorI7is_evenIsESF_NSA_11use_defaultESK_EENS0_5tupleIJNSA_16discard_iteratorISK_EESF_EEENSM_IJSG_SG_EEES6_PlJS6_EEE10hipError_tPvRmT3_T4_T5_T6_T7_T9_mT8_P12ihipStream_tbDpT10_ENKUlT_T0_E_clISt17integral_constantIbLb1EES1A_IbLb0EEEEDaS16_S17_EUlS16_E_NS1_11comp_targetILNS1_3genE8ELNS1_11target_archE1030ELNS1_3gpuE2ELNS1_3repE0EEENS1_30default_config_static_selectorELNS0_4arch9wavefront6targetE1EEEvT1_,"axG",@progbits,_ZN7rocprim17ROCPRIM_400000_NS6detail17trampoline_kernelINS0_14default_configENS1_25partition_config_selectorILNS1_17partition_subalgoE1EsNS0_10empty_typeEbEEZZNS1_14partition_implILS5_1ELb0ES3_jN6thrust23THRUST_200600_302600_NS6detail15normal_iteratorINSA_10device_ptrIsEEEEPS6_NSA_18transform_iteratorI7is_evenIsESF_NSA_11use_defaultESK_EENS0_5tupleIJNSA_16discard_iteratorISK_EESF_EEENSM_IJSG_SG_EEES6_PlJS6_EEE10hipError_tPvRmT3_T4_T5_T6_T7_T9_mT8_P12ihipStream_tbDpT10_ENKUlT_T0_E_clISt17integral_constantIbLb1EES1A_IbLb0EEEEDaS16_S17_EUlS16_E_NS1_11comp_targetILNS1_3genE8ELNS1_11target_archE1030ELNS1_3gpuE2ELNS1_3repE0EEENS1_30default_config_static_selectorELNS0_4arch9wavefront6targetE1EEEvT1_,comdat
.Lfunc_end3442:
	.size	_ZN7rocprim17ROCPRIM_400000_NS6detail17trampoline_kernelINS0_14default_configENS1_25partition_config_selectorILNS1_17partition_subalgoE1EsNS0_10empty_typeEbEEZZNS1_14partition_implILS5_1ELb0ES3_jN6thrust23THRUST_200600_302600_NS6detail15normal_iteratorINSA_10device_ptrIsEEEEPS6_NSA_18transform_iteratorI7is_evenIsESF_NSA_11use_defaultESK_EENS0_5tupleIJNSA_16discard_iteratorISK_EESF_EEENSM_IJSG_SG_EEES6_PlJS6_EEE10hipError_tPvRmT3_T4_T5_T6_T7_T9_mT8_P12ihipStream_tbDpT10_ENKUlT_T0_E_clISt17integral_constantIbLb1EES1A_IbLb0EEEEDaS16_S17_EUlS16_E_NS1_11comp_targetILNS1_3genE8ELNS1_11target_archE1030ELNS1_3gpuE2ELNS1_3repE0EEENS1_30default_config_static_selectorELNS0_4arch9wavefront6targetE1EEEvT1_, .Lfunc_end3442-_ZN7rocprim17ROCPRIM_400000_NS6detail17trampoline_kernelINS0_14default_configENS1_25partition_config_selectorILNS1_17partition_subalgoE1EsNS0_10empty_typeEbEEZZNS1_14partition_implILS5_1ELb0ES3_jN6thrust23THRUST_200600_302600_NS6detail15normal_iteratorINSA_10device_ptrIsEEEEPS6_NSA_18transform_iteratorI7is_evenIsESF_NSA_11use_defaultESK_EENS0_5tupleIJNSA_16discard_iteratorISK_EESF_EEENSM_IJSG_SG_EEES6_PlJS6_EEE10hipError_tPvRmT3_T4_T5_T6_T7_T9_mT8_P12ihipStream_tbDpT10_ENKUlT_T0_E_clISt17integral_constantIbLb1EES1A_IbLb0EEEEDaS16_S17_EUlS16_E_NS1_11comp_targetILNS1_3genE8ELNS1_11target_archE1030ELNS1_3gpuE2ELNS1_3repE0EEENS1_30default_config_static_selectorELNS0_4arch9wavefront6targetE1EEEvT1_
                                        ; -- End function
	.section	.AMDGPU.csdata,"",@progbits
; Kernel info:
; codeLenInByte = 0
; NumSgprs: 6
; NumVgprs: 0
; NumAgprs: 0
; TotalNumVgprs: 0
; ScratchSize: 0
; MemoryBound: 0
; FloatMode: 240
; IeeeMode: 1
; LDSByteSize: 0 bytes/workgroup (compile time only)
; SGPRBlocks: 0
; VGPRBlocks: 0
; NumSGPRsForWavesPerEU: 6
; NumVGPRsForWavesPerEU: 1
; AccumOffset: 4
; Occupancy: 8
; WaveLimiterHint : 0
; COMPUTE_PGM_RSRC2:SCRATCH_EN: 0
; COMPUTE_PGM_RSRC2:USER_SGPR: 2
; COMPUTE_PGM_RSRC2:TRAP_HANDLER: 0
; COMPUTE_PGM_RSRC2:TGID_X_EN: 1
; COMPUTE_PGM_RSRC2:TGID_Y_EN: 0
; COMPUTE_PGM_RSRC2:TGID_Z_EN: 0
; COMPUTE_PGM_RSRC2:TIDIG_COMP_CNT: 0
; COMPUTE_PGM_RSRC3_GFX90A:ACCUM_OFFSET: 0
; COMPUTE_PGM_RSRC3_GFX90A:TG_SPLIT: 0
	.section	.text._ZN7rocprim17ROCPRIM_400000_NS6detail17trampoline_kernelINS0_14default_configENS1_25partition_config_selectorILNS1_17partition_subalgoE1EsNS0_10empty_typeEbEEZZNS1_14partition_implILS5_1ELb0ES3_jN6thrust23THRUST_200600_302600_NS6detail15normal_iteratorINSA_10device_ptrIsEEEEPS6_NSA_18transform_iteratorI7is_evenIsESF_NSA_11use_defaultESK_EENS0_5tupleIJNSA_16discard_iteratorISK_EESF_EEENSM_IJSG_SG_EEES6_PlJS6_EEE10hipError_tPvRmT3_T4_T5_T6_T7_T9_mT8_P12ihipStream_tbDpT10_ENKUlT_T0_E_clISt17integral_constantIbLb0EES1A_IbLb1EEEEDaS16_S17_EUlS16_E_NS1_11comp_targetILNS1_3genE0ELNS1_11target_archE4294967295ELNS1_3gpuE0ELNS1_3repE0EEENS1_30default_config_static_selectorELNS0_4arch9wavefront6targetE1EEEvT1_,"axG",@progbits,_ZN7rocprim17ROCPRIM_400000_NS6detail17trampoline_kernelINS0_14default_configENS1_25partition_config_selectorILNS1_17partition_subalgoE1EsNS0_10empty_typeEbEEZZNS1_14partition_implILS5_1ELb0ES3_jN6thrust23THRUST_200600_302600_NS6detail15normal_iteratorINSA_10device_ptrIsEEEEPS6_NSA_18transform_iteratorI7is_evenIsESF_NSA_11use_defaultESK_EENS0_5tupleIJNSA_16discard_iteratorISK_EESF_EEENSM_IJSG_SG_EEES6_PlJS6_EEE10hipError_tPvRmT3_T4_T5_T6_T7_T9_mT8_P12ihipStream_tbDpT10_ENKUlT_T0_E_clISt17integral_constantIbLb0EES1A_IbLb1EEEEDaS16_S17_EUlS16_E_NS1_11comp_targetILNS1_3genE0ELNS1_11target_archE4294967295ELNS1_3gpuE0ELNS1_3repE0EEENS1_30default_config_static_selectorELNS0_4arch9wavefront6targetE1EEEvT1_,comdat
	.protected	_ZN7rocprim17ROCPRIM_400000_NS6detail17trampoline_kernelINS0_14default_configENS1_25partition_config_selectorILNS1_17partition_subalgoE1EsNS0_10empty_typeEbEEZZNS1_14partition_implILS5_1ELb0ES3_jN6thrust23THRUST_200600_302600_NS6detail15normal_iteratorINSA_10device_ptrIsEEEEPS6_NSA_18transform_iteratorI7is_evenIsESF_NSA_11use_defaultESK_EENS0_5tupleIJNSA_16discard_iteratorISK_EESF_EEENSM_IJSG_SG_EEES6_PlJS6_EEE10hipError_tPvRmT3_T4_T5_T6_T7_T9_mT8_P12ihipStream_tbDpT10_ENKUlT_T0_E_clISt17integral_constantIbLb0EES1A_IbLb1EEEEDaS16_S17_EUlS16_E_NS1_11comp_targetILNS1_3genE0ELNS1_11target_archE4294967295ELNS1_3gpuE0ELNS1_3repE0EEENS1_30default_config_static_selectorELNS0_4arch9wavefront6targetE1EEEvT1_ ; -- Begin function _ZN7rocprim17ROCPRIM_400000_NS6detail17trampoline_kernelINS0_14default_configENS1_25partition_config_selectorILNS1_17partition_subalgoE1EsNS0_10empty_typeEbEEZZNS1_14partition_implILS5_1ELb0ES3_jN6thrust23THRUST_200600_302600_NS6detail15normal_iteratorINSA_10device_ptrIsEEEEPS6_NSA_18transform_iteratorI7is_evenIsESF_NSA_11use_defaultESK_EENS0_5tupleIJNSA_16discard_iteratorISK_EESF_EEENSM_IJSG_SG_EEES6_PlJS6_EEE10hipError_tPvRmT3_T4_T5_T6_T7_T9_mT8_P12ihipStream_tbDpT10_ENKUlT_T0_E_clISt17integral_constantIbLb0EES1A_IbLb1EEEEDaS16_S17_EUlS16_E_NS1_11comp_targetILNS1_3genE0ELNS1_11target_archE4294967295ELNS1_3gpuE0ELNS1_3repE0EEENS1_30default_config_static_selectorELNS0_4arch9wavefront6targetE1EEEvT1_
	.globl	_ZN7rocprim17ROCPRIM_400000_NS6detail17trampoline_kernelINS0_14default_configENS1_25partition_config_selectorILNS1_17partition_subalgoE1EsNS0_10empty_typeEbEEZZNS1_14partition_implILS5_1ELb0ES3_jN6thrust23THRUST_200600_302600_NS6detail15normal_iteratorINSA_10device_ptrIsEEEEPS6_NSA_18transform_iteratorI7is_evenIsESF_NSA_11use_defaultESK_EENS0_5tupleIJNSA_16discard_iteratorISK_EESF_EEENSM_IJSG_SG_EEES6_PlJS6_EEE10hipError_tPvRmT3_T4_T5_T6_T7_T9_mT8_P12ihipStream_tbDpT10_ENKUlT_T0_E_clISt17integral_constantIbLb0EES1A_IbLb1EEEEDaS16_S17_EUlS16_E_NS1_11comp_targetILNS1_3genE0ELNS1_11target_archE4294967295ELNS1_3gpuE0ELNS1_3repE0EEENS1_30default_config_static_selectorELNS0_4arch9wavefront6targetE1EEEvT1_
	.p2align	8
	.type	_ZN7rocprim17ROCPRIM_400000_NS6detail17trampoline_kernelINS0_14default_configENS1_25partition_config_selectorILNS1_17partition_subalgoE1EsNS0_10empty_typeEbEEZZNS1_14partition_implILS5_1ELb0ES3_jN6thrust23THRUST_200600_302600_NS6detail15normal_iteratorINSA_10device_ptrIsEEEEPS6_NSA_18transform_iteratorI7is_evenIsESF_NSA_11use_defaultESK_EENS0_5tupleIJNSA_16discard_iteratorISK_EESF_EEENSM_IJSG_SG_EEES6_PlJS6_EEE10hipError_tPvRmT3_T4_T5_T6_T7_T9_mT8_P12ihipStream_tbDpT10_ENKUlT_T0_E_clISt17integral_constantIbLb0EES1A_IbLb1EEEEDaS16_S17_EUlS16_E_NS1_11comp_targetILNS1_3genE0ELNS1_11target_archE4294967295ELNS1_3gpuE0ELNS1_3repE0EEENS1_30default_config_static_selectorELNS0_4arch9wavefront6targetE1EEEvT1_,@function
_ZN7rocprim17ROCPRIM_400000_NS6detail17trampoline_kernelINS0_14default_configENS1_25partition_config_selectorILNS1_17partition_subalgoE1EsNS0_10empty_typeEbEEZZNS1_14partition_implILS5_1ELb0ES3_jN6thrust23THRUST_200600_302600_NS6detail15normal_iteratorINSA_10device_ptrIsEEEEPS6_NSA_18transform_iteratorI7is_evenIsESF_NSA_11use_defaultESK_EENS0_5tupleIJNSA_16discard_iteratorISK_EESF_EEENSM_IJSG_SG_EEES6_PlJS6_EEE10hipError_tPvRmT3_T4_T5_T6_T7_T9_mT8_P12ihipStream_tbDpT10_ENKUlT_T0_E_clISt17integral_constantIbLb0EES1A_IbLb1EEEEDaS16_S17_EUlS16_E_NS1_11comp_targetILNS1_3genE0ELNS1_11target_archE4294967295ELNS1_3gpuE0ELNS1_3repE0EEENS1_30default_config_static_selectorELNS0_4arch9wavefront6targetE1EEEvT1_: ; @_ZN7rocprim17ROCPRIM_400000_NS6detail17trampoline_kernelINS0_14default_configENS1_25partition_config_selectorILNS1_17partition_subalgoE1EsNS0_10empty_typeEbEEZZNS1_14partition_implILS5_1ELb0ES3_jN6thrust23THRUST_200600_302600_NS6detail15normal_iteratorINSA_10device_ptrIsEEEEPS6_NSA_18transform_iteratorI7is_evenIsESF_NSA_11use_defaultESK_EENS0_5tupleIJNSA_16discard_iteratorISK_EESF_EEENSM_IJSG_SG_EEES6_PlJS6_EEE10hipError_tPvRmT3_T4_T5_T6_T7_T9_mT8_P12ihipStream_tbDpT10_ENKUlT_T0_E_clISt17integral_constantIbLb0EES1A_IbLb1EEEEDaS16_S17_EUlS16_E_NS1_11comp_targetILNS1_3genE0ELNS1_11target_archE4294967295ELNS1_3gpuE0ELNS1_3repE0EEENS1_30default_config_static_selectorELNS0_4arch9wavefront6targetE1EEEvT1_
; %bb.0:
	.section	.rodata,"a",@progbits
	.p2align	6, 0x0
	.amdhsa_kernel _ZN7rocprim17ROCPRIM_400000_NS6detail17trampoline_kernelINS0_14default_configENS1_25partition_config_selectorILNS1_17partition_subalgoE1EsNS0_10empty_typeEbEEZZNS1_14partition_implILS5_1ELb0ES3_jN6thrust23THRUST_200600_302600_NS6detail15normal_iteratorINSA_10device_ptrIsEEEEPS6_NSA_18transform_iteratorI7is_evenIsESF_NSA_11use_defaultESK_EENS0_5tupleIJNSA_16discard_iteratorISK_EESF_EEENSM_IJSG_SG_EEES6_PlJS6_EEE10hipError_tPvRmT3_T4_T5_T6_T7_T9_mT8_P12ihipStream_tbDpT10_ENKUlT_T0_E_clISt17integral_constantIbLb0EES1A_IbLb1EEEEDaS16_S17_EUlS16_E_NS1_11comp_targetILNS1_3genE0ELNS1_11target_archE4294967295ELNS1_3gpuE0ELNS1_3repE0EEENS1_30default_config_static_selectorELNS0_4arch9wavefront6targetE1EEEvT1_
		.amdhsa_group_segment_fixed_size 0
		.amdhsa_private_segment_fixed_size 0
		.amdhsa_kernarg_size 152
		.amdhsa_user_sgpr_count 2
		.amdhsa_user_sgpr_dispatch_ptr 0
		.amdhsa_user_sgpr_queue_ptr 0
		.amdhsa_user_sgpr_kernarg_segment_ptr 1
		.amdhsa_user_sgpr_dispatch_id 0
		.amdhsa_user_sgpr_kernarg_preload_length 0
		.amdhsa_user_sgpr_kernarg_preload_offset 0
		.amdhsa_user_sgpr_private_segment_size 0
		.amdhsa_uses_dynamic_stack 0
		.amdhsa_enable_private_segment 0
		.amdhsa_system_sgpr_workgroup_id_x 1
		.amdhsa_system_sgpr_workgroup_id_y 0
		.amdhsa_system_sgpr_workgroup_id_z 0
		.amdhsa_system_sgpr_workgroup_info 0
		.amdhsa_system_vgpr_workitem_id 0
		.amdhsa_next_free_vgpr 1
		.amdhsa_next_free_sgpr 0
		.amdhsa_accum_offset 4
		.amdhsa_reserve_vcc 0
		.amdhsa_float_round_mode_32 0
		.amdhsa_float_round_mode_16_64 0
		.amdhsa_float_denorm_mode_32 3
		.amdhsa_float_denorm_mode_16_64 3
		.amdhsa_dx10_clamp 1
		.amdhsa_ieee_mode 1
		.amdhsa_fp16_overflow 0
		.amdhsa_tg_split 0
		.amdhsa_exception_fp_ieee_invalid_op 0
		.amdhsa_exception_fp_denorm_src 0
		.amdhsa_exception_fp_ieee_div_zero 0
		.amdhsa_exception_fp_ieee_overflow 0
		.amdhsa_exception_fp_ieee_underflow 0
		.amdhsa_exception_fp_ieee_inexact 0
		.amdhsa_exception_int_div_zero 0
	.end_amdhsa_kernel
	.section	.text._ZN7rocprim17ROCPRIM_400000_NS6detail17trampoline_kernelINS0_14default_configENS1_25partition_config_selectorILNS1_17partition_subalgoE1EsNS0_10empty_typeEbEEZZNS1_14partition_implILS5_1ELb0ES3_jN6thrust23THRUST_200600_302600_NS6detail15normal_iteratorINSA_10device_ptrIsEEEEPS6_NSA_18transform_iteratorI7is_evenIsESF_NSA_11use_defaultESK_EENS0_5tupleIJNSA_16discard_iteratorISK_EESF_EEENSM_IJSG_SG_EEES6_PlJS6_EEE10hipError_tPvRmT3_T4_T5_T6_T7_T9_mT8_P12ihipStream_tbDpT10_ENKUlT_T0_E_clISt17integral_constantIbLb0EES1A_IbLb1EEEEDaS16_S17_EUlS16_E_NS1_11comp_targetILNS1_3genE0ELNS1_11target_archE4294967295ELNS1_3gpuE0ELNS1_3repE0EEENS1_30default_config_static_selectorELNS0_4arch9wavefront6targetE1EEEvT1_,"axG",@progbits,_ZN7rocprim17ROCPRIM_400000_NS6detail17trampoline_kernelINS0_14default_configENS1_25partition_config_selectorILNS1_17partition_subalgoE1EsNS0_10empty_typeEbEEZZNS1_14partition_implILS5_1ELb0ES3_jN6thrust23THRUST_200600_302600_NS6detail15normal_iteratorINSA_10device_ptrIsEEEEPS6_NSA_18transform_iteratorI7is_evenIsESF_NSA_11use_defaultESK_EENS0_5tupleIJNSA_16discard_iteratorISK_EESF_EEENSM_IJSG_SG_EEES6_PlJS6_EEE10hipError_tPvRmT3_T4_T5_T6_T7_T9_mT8_P12ihipStream_tbDpT10_ENKUlT_T0_E_clISt17integral_constantIbLb0EES1A_IbLb1EEEEDaS16_S17_EUlS16_E_NS1_11comp_targetILNS1_3genE0ELNS1_11target_archE4294967295ELNS1_3gpuE0ELNS1_3repE0EEENS1_30default_config_static_selectorELNS0_4arch9wavefront6targetE1EEEvT1_,comdat
.Lfunc_end3443:
	.size	_ZN7rocprim17ROCPRIM_400000_NS6detail17trampoline_kernelINS0_14default_configENS1_25partition_config_selectorILNS1_17partition_subalgoE1EsNS0_10empty_typeEbEEZZNS1_14partition_implILS5_1ELb0ES3_jN6thrust23THRUST_200600_302600_NS6detail15normal_iteratorINSA_10device_ptrIsEEEEPS6_NSA_18transform_iteratorI7is_evenIsESF_NSA_11use_defaultESK_EENS0_5tupleIJNSA_16discard_iteratorISK_EESF_EEENSM_IJSG_SG_EEES6_PlJS6_EEE10hipError_tPvRmT3_T4_T5_T6_T7_T9_mT8_P12ihipStream_tbDpT10_ENKUlT_T0_E_clISt17integral_constantIbLb0EES1A_IbLb1EEEEDaS16_S17_EUlS16_E_NS1_11comp_targetILNS1_3genE0ELNS1_11target_archE4294967295ELNS1_3gpuE0ELNS1_3repE0EEENS1_30default_config_static_selectorELNS0_4arch9wavefront6targetE1EEEvT1_, .Lfunc_end3443-_ZN7rocprim17ROCPRIM_400000_NS6detail17trampoline_kernelINS0_14default_configENS1_25partition_config_selectorILNS1_17partition_subalgoE1EsNS0_10empty_typeEbEEZZNS1_14partition_implILS5_1ELb0ES3_jN6thrust23THRUST_200600_302600_NS6detail15normal_iteratorINSA_10device_ptrIsEEEEPS6_NSA_18transform_iteratorI7is_evenIsESF_NSA_11use_defaultESK_EENS0_5tupleIJNSA_16discard_iteratorISK_EESF_EEENSM_IJSG_SG_EEES6_PlJS6_EEE10hipError_tPvRmT3_T4_T5_T6_T7_T9_mT8_P12ihipStream_tbDpT10_ENKUlT_T0_E_clISt17integral_constantIbLb0EES1A_IbLb1EEEEDaS16_S17_EUlS16_E_NS1_11comp_targetILNS1_3genE0ELNS1_11target_archE4294967295ELNS1_3gpuE0ELNS1_3repE0EEENS1_30default_config_static_selectorELNS0_4arch9wavefront6targetE1EEEvT1_
                                        ; -- End function
	.section	.AMDGPU.csdata,"",@progbits
; Kernel info:
; codeLenInByte = 0
; NumSgprs: 6
; NumVgprs: 0
; NumAgprs: 0
; TotalNumVgprs: 0
; ScratchSize: 0
; MemoryBound: 0
; FloatMode: 240
; IeeeMode: 1
; LDSByteSize: 0 bytes/workgroup (compile time only)
; SGPRBlocks: 0
; VGPRBlocks: 0
; NumSGPRsForWavesPerEU: 6
; NumVGPRsForWavesPerEU: 1
; AccumOffset: 4
; Occupancy: 8
; WaveLimiterHint : 0
; COMPUTE_PGM_RSRC2:SCRATCH_EN: 0
; COMPUTE_PGM_RSRC2:USER_SGPR: 2
; COMPUTE_PGM_RSRC2:TRAP_HANDLER: 0
; COMPUTE_PGM_RSRC2:TGID_X_EN: 1
; COMPUTE_PGM_RSRC2:TGID_Y_EN: 0
; COMPUTE_PGM_RSRC2:TGID_Z_EN: 0
; COMPUTE_PGM_RSRC2:TIDIG_COMP_CNT: 0
; COMPUTE_PGM_RSRC3_GFX90A:ACCUM_OFFSET: 0
; COMPUTE_PGM_RSRC3_GFX90A:TG_SPLIT: 0
	.section	.text._ZN7rocprim17ROCPRIM_400000_NS6detail17trampoline_kernelINS0_14default_configENS1_25partition_config_selectorILNS1_17partition_subalgoE1EsNS0_10empty_typeEbEEZZNS1_14partition_implILS5_1ELb0ES3_jN6thrust23THRUST_200600_302600_NS6detail15normal_iteratorINSA_10device_ptrIsEEEEPS6_NSA_18transform_iteratorI7is_evenIsESF_NSA_11use_defaultESK_EENS0_5tupleIJNSA_16discard_iteratorISK_EESF_EEENSM_IJSG_SG_EEES6_PlJS6_EEE10hipError_tPvRmT3_T4_T5_T6_T7_T9_mT8_P12ihipStream_tbDpT10_ENKUlT_T0_E_clISt17integral_constantIbLb0EES1A_IbLb1EEEEDaS16_S17_EUlS16_E_NS1_11comp_targetILNS1_3genE5ELNS1_11target_archE942ELNS1_3gpuE9ELNS1_3repE0EEENS1_30default_config_static_selectorELNS0_4arch9wavefront6targetE1EEEvT1_,"axG",@progbits,_ZN7rocprim17ROCPRIM_400000_NS6detail17trampoline_kernelINS0_14default_configENS1_25partition_config_selectorILNS1_17partition_subalgoE1EsNS0_10empty_typeEbEEZZNS1_14partition_implILS5_1ELb0ES3_jN6thrust23THRUST_200600_302600_NS6detail15normal_iteratorINSA_10device_ptrIsEEEEPS6_NSA_18transform_iteratorI7is_evenIsESF_NSA_11use_defaultESK_EENS0_5tupleIJNSA_16discard_iteratorISK_EESF_EEENSM_IJSG_SG_EEES6_PlJS6_EEE10hipError_tPvRmT3_T4_T5_T6_T7_T9_mT8_P12ihipStream_tbDpT10_ENKUlT_T0_E_clISt17integral_constantIbLb0EES1A_IbLb1EEEEDaS16_S17_EUlS16_E_NS1_11comp_targetILNS1_3genE5ELNS1_11target_archE942ELNS1_3gpuE9ELNS1_3repE0EEENS1_30default_config_static_selectorELNS0_4arch9wavefront6targetE1EEEvT1_,comdat
	.protected	_ZN7rocprim17ROCPRIM_400000_NS6detail17trampoline_kernelINS0_14default_configENS1_25partition_config_selectorILNS1_17partition_subalgoE1EsNS0_10empty_typeEbEEZZNS1_14partition_implILS5_1ELb0ES3_jN6thrust23THRUST_200600_302600_NS6detail15normal_iteratorINSA_10device_ptrIsEEEEPS6_NSA_18transform_iteratorI7is_evenIsESF_NSA_11use_defaultESK_EENS0_5tupleIJNSA_16discard_iteratorISK_EESF_EEENSM_IJSG_SG_EEES6_PlJS6_EEE10hipError_tPvRmT3_T4_T5_T6_T7_T9_mT8_P12ihipStream_tbDpT10_ENKUlT_T0_E_clISt17integral_constantIbLb0EES1A_IbLb1EEEEDaS16_S17_EUlS16_E_NS1_11comp_targetILNS1_3genE5ELNS1_11target_archE942ELNS1_3gpuE9ELNS1_3repE0EEENS1_30default_config_static_selectorELNS0_4arch9wavefront6targetE1EEEvT1_ ; -- Begin function _ZN7rocprim17ROCPRIM_400000_NS6detail17trampoline_kernelINS0_14default_configENS1_25partition_config_selectorILNS1_17partition_subalgoE1EsNS0_10empty_typeEbEEZZNS1_14partition_implILS5_1ELb0ES3_jN6thrust23THRUST_200600_302600_NS6detail15normal_iteratorINSA_10device_ptrIsEEEEPS6_NSA_18transform_iteratorI7is_evenIsESF_NSA_11use_defaultESK_EENS0_5tupleIJNSA_16discard_iteratorISK_EESF_EEENSM_IJSG_SG_EEES6_PlJS6_EEE10hipError_tPvRmT3_T4_T5_T6_T7_T9_mT8_P12ihipStream_tbDpT10_ENKUlT_T0_E_clISt17integral_constantIbLb0EES1A_IbLb1EEEEDaS16_S17_EUlS16_E_NS1_11comp_targetILNS1_3genE5ELNS1_11target_archE942ELNS1_3gpuE9ELNS1_3repE0EEENS1_30default_config_static_selectorELNS0_4arch9wavefront6targetE1EEEvT1_
	.globl	_ZN7rocprim17ROCPRIM_400000_NS6detail17trampoline_kernelINS0_14default_configENS1_25partition_config_selectorILNS1_17partition_subalgoE1EsNS0_10empty_typeEbEEZZNS1_14partition_implILS5_1ELb0ES3_jN6thrust23THRUST_200600_302600_NS6detail15normal_iteratorINSA_10device_ptrIsEEEEPS6_NSA_18transform_iteratorI7is_evenIsESF_NSA_11use_defaultESK_EENS0_5tupleIJNSA_16discard_iteratorISK_EESF_EEENSM_IJSG_SG_EEES6_PlJS6_EEE10hipError_tPvRmT3_T4_T5_T6_T7_T9_mT8_P12ihipStream_tbDpT10_ENKUlT_T0_E_clISt17integral_constantIbLb0EES1A_IbLb1EEEEDaS16_S17_EUlS16_E_NS1_11comp_targetILNS1_3genE5ELNS1_11target_archE942ELNS1_3gpuE9ELNS1_3repE0EEENS1_30default_config_static_selectorELNS0_4arch9wavefront6targetE1EEEvT1_
	.p2align	8
	.type	_ZN7rocprim17ROCPRIM_400000_NS6detail17trampoline_kernelINS0_14default_configENS1_25partition_config_selectorILNS1_17partition_subalgoE1EsNS0_10empty_typeEbEEZZNS1_14partition_implILS5_1ELb0ES3_jN6thrust23THRUST_200600_302600_NS6detail15normal_iteratorINSA_10device_ptrIsEEEEPS6_NSA_18transform_iteratorI7is_evenIsESF_NSA_11use_defaultESK_EENS0_5tupleIJNSA_16discard_iteratorISK_EESF_EEENSM_IJSG_SG_EEES6_PlJS6_EEE10hipError_tPvRmT3_T4_T5_T6_T7_T9_mT8_P12ihipStream_tbDpT10_ENKUlT_T0_E_clISt17integral_constantIbLb0EES1A_IbLb1EEEEDaS16_S17_EUlS16_E_NS1_11comp_targetILNS1_3genE5ELNS1_11target_archE942ELNS1_3gpuE9ELNS1_3repE0EEENS1_30default_config_static_selectorELNS0_4arch9wavefront6targetE1EEEvT1_,@function
_ZN7rocprim17ROCPRIM_400000_NS6detail17trampoline_kernelINS0_14default_configENS1_25partition_config_selectorILNS1_17partition_subalgoE1EsNS0_10empty_typeEbEEZZNS1_14partition_implILS5_1ELb0ES3_jN6thrust23THRUST_200600_302600_NS6detail15normal_iteratorINSA_10device_ptrIsEEEEPS6_NSA_18transform_iteratorI7is_evenIsESF_NSA_11use_defaultESK_EENS0_5tupleIJNSA_16discard_iteratorISK_EESF_EEENSM_IJSG_SG_EEES6_PlJS6_EEE10hipError_tPvRmT3_T4_T5_T6_T7_T9_mT8_P12ihipStream_tbDpT10_ENKUlT_T0_E_clISt17integral_constantIbLb0EES1A_IbLb1EEEEDaS16_S17_EUlS16_E_NS1_11comp_targetILNS1_3genE5ELNS1_11target_archE942ELNS1_3gpuE9ELNS1_3repE0EEENS1_30default_config_static_selectorELNS0_4arch9wavefront6targetE1EEEvT1_: ; @_ZN7rocprim17ROCPRIM_400000_NS6detail17trampoline_kernelINS0_14default_configENS1_25partition_config_selectorILNS1_17partition_subalgoE1EsNS0_10empty_typeEbEEZZNS1_14partition_implILS5_1ELb0ES3_jN6thrust23THRUST_200600_302600_NS6detail15normal_iteratorINSA_10device_ptrIsEEEEPS6_NSA_18transform_iteratorI7is_evenIsESF_NSA_11use_defaultESK_EENS0_5tupleIJNSA_16discard_iteratorISK_EESF_EEENSM_IJSG_SG_EEES6_PlJS6_EEE10hipError_tPvRmT3_T4_T5_T6_T7_T9_mT8_P12ihipStream_tbDpT10_ENKUlT_T0_E_clISt17integral_constantIbLb0EES1A_IbLb1EEEEDaS16_S17_EUlS16_E_NS1_11comp_targetILNS1_3genE5ELNS1_11target_archE942ELNS1_3gpuE9ELNS1_3repE0EEENS1_30default_config_static_selectorELNS0_4arch9wavefront6targetE1EEEvT1_
; %bb.0:
	s_load_dwordx2 s[2:3], s[0:1], 0x20
	s_load_dwordx4 s[20:23], s[0:1], 0x58
	s_load_dwordx2 s[6:7], s[0:1], 0x68
	s_load_dwordx2 s[30:31], s[0:1], 0x78
	v_cmp_eq_u32_e64 s[18:19], 0, v0
	s_and_saveexec_b64 s[4:5], s[18:19]
	s_cbranch_execz .LBB3444_4
; %bb.1:
	s_mov_b64 s[10:11], exec
	v_mbcnt_lo_u32_b32 v1, s10, 0
	v_mbcnt_hi_u32_b32 v1, s11, v1
	v_cmp_eq_u32_e32 vcc, 0, v1
                                        ; implicit-def: $vgpr2
	s_and_saveexec_b64 s[8:9], vcc
	s_cbranch_execz .LBB3444_3
; %bb.2:
	s_load_dwordx2 s[12:13], s[0:1], 0x88
	s_bcnt1_i32_b64 s10, s[10:11]
	v_mov_b32_e32 v2, 0
	v_mov_b32_e32 v3, s10
	s_waitcnt lgkmcnt(0)
	global_atomic_add v2, v2, v3, s[12:13] sc0
.LBB3444_3:
	s_or_b64 exec, exec, s[8:9]
	s_waitcnt vmcnt(0)
	v_readfirstlane_b32 s8, v2
	v_mov_b32_e32 v2, 0
	s_nop 0
	v_add_u32_e32 v1, s8, v1
	ds_write_b32 v2, v1
.LBB3444_4:
	s_or_b64 exec, exec, s[4:5]
	v_mov_b32_e32 v15, 0
	s_load_dwordx4 s[24:27], s[0:1], 0x8
	s_load_dwordx2 s[28:29], s[0:1], 0x40
	s_load_dword s8, s[0:1], 0x80
	s_waitcnt lgkmcnt(0)
	s_barrier
	ds_read_b32 v1, v15
	s_waitcnt lgkmcnt(0)
	s_barrier
	global_load_dwordx2 v[16:17], v15, s[22:23]
	v_mov_b32_e32 v3, s7
	s_lshl_b64 s[4:5], s[26:27], 1
	s_movk_i32 s7, 0x3800
	s_add_u32 s0, s24, s4
	v_mul_lo_u32 v14, v1, s7
	s_mul_i32 s7, s8, 0x3800
	s_addc_u32 s1, s25, s5
	s_add_i32 s9, s8, -1
	s_add_i32 s8, s7, s26
	s_sub_i32 s33, s6, s8
	s_addk_i32 s33, 0x3800
	v_mov_b32_e32 v2, s6
	s_add_u32 s6, s26, s7
	v_readfirstlane_b32 s38, v1
	s_addc_u32 s7, s27, 0
	s_cmp_eq_u32 s38, s9
	s_cselect_b64 s[22:23], -1, 0
	s_cmp_lg_u32 s38, s9
	v_cmp_lt_u64_e32 vcc, s[6:7], v[2:3]
	s_cselect_b64 s[6:7], -1, 0
	s_or_b64 s[24:25], vcc, s[6:7]
	v_lshlrev_b64 v[18:19], 1, v[14:15]
	v_lshl_add_u64 v[2:3], s[0:1], 0, v[18:19]
	s_mov_b64 s[0:1], -1
	s_and_b64 vcc, exec, s[24:25]
	v_lshlrev_b32_e32 v14, 1, v0
	s_cbranch_vccz .LBB3444_6
; %bb.5:
	v_lshl_add_u64 v[4:5], v[2:3], 0, v[14:15]
	v_add_co_u32_e32 v6, vcc, 0x1000, v4
	s_mov_b64 s[0:1], 0
	s_nop 0
	v_addc_co_u32_e32 v7, vcc, 0, v5, vcc
	flat_load_ushort v1, v[4:5]
	flat_load_ushort v10, v[4:5] offset:1024
	flat_load_ushort v11, v[4:5] offset:2048
	;; [unrolled: 1-line block ×3, first 2 shown]
	flat_load_ushort v13, v[6:7]
	flat_load_ushort v15, v[6:7] offset:1024
	flat_load_ushort v20, v[6:7] offset:2048
	;; [unrolled: 1-line block ×3, first 2 shown]
	v_add_co_u32_e32 v6, vcc, 0x2000, v4
	s_nop 1
	v_addc_co_u32_e32 v7, vcc, 0, v5, vcc
	v_add_co_u32_e32 v8, vcc, 0x3000, v4
	s_nop 1
	v_addc_co_u32_e32 v9, vcc, 0, v5, vcc
	flat_load_ushort v22, v[6:7]
	flat_load_ushort v23, v[6:7] offset:1024
	flat_load_ushort v24, v[6:7] offset:2048
	;; [unrolled: 1-line block ×3, first 2 shown]
	flat_load_ushort v26, v[8:9]
	flat_load_ushort v27, v[8:9] offset:1024
	flat_load_ushort v28, v[8:9] offset:2048
	;; [unrolled: 1-line block ×3, first 2 shown]
	v_add_co_u32_e32 v6, vcc, 0x4000, v4
	s_nop 1
	v_addc_co_u32_e32 v7, vcc, 0, v5, vcc
	v_add_co_u32_e32 v8, vcc, 0x5000, v4
	s_nop 1
	v_addc_co_u32_e32 v9, vcc, 0, v5, vcc
	v_add_co_u32_e32 v4, vcc, 0x6000, v4
	flat_load_ushort v30, v[6:7]
	flat_load_ushort v31, v[6:7] offset:1024
	flat_load_ushort v32, v[6:7] offset:2048
	;; [unrolled: 1-line block ×3, first 2 shown]
	flat_load_ushort v34, v[8:9]
	flat_load_ushort v35, v[8:9] offset:1024
	flat_load_ushort v36, v[8:9] offset:2048
	;; [unrolled: 1-line block ×3, first 2 shown]
	v_addc_co_u32_e32 v5, vcc, 0, v5, vcc
	flat_load_ushort v6, v[4:5]
	flat_load_ushort v7, v[4:5] offset:1024
	flat_load_ushort v8, v[4:5] offset:2048
	;; [unrolled: 1-line block ×3, first 2 shown]
	s_waitcnt vmcnt(0) lgkmcnt(0)
	ds_write_b16 v14, v1
	ds_write_b16 v14, v10 offset:1024
	ds_write_b16 v14, v11 offset:2048
	;; [unrolled: 1-line block ×27, first 2 shown]
	s_waitcnt lgkmcnt(0)
	s_barrier
.LBB3444_6:
	s_andn2_b64 vcc, exec, s[0:1]
	v_cmp_gt_u32_e64 s[0:1], s33, v0
	s_cbranch_vccnz .LBB3444_64
; %bb.7:
                                        ; implicit-def: $vgpr1
	s_and_saveexec_b64 s[6:7], s[0:1]
	s_cbranch_execz .LBB3444_9
; %bb.8:
	v_mov_b32_e32 v15, 0
	v_lshl_add_u64 v[4:5], v[2:3], 0, v[14:15]
	flat_load_ushort v1, v[4:5]
.LBB3444_9:
	s_or_b64 exec, exec, s[6:7]
	v_or_b32_e32 v4, 0x200, v0
	v_cmp_gt_u32_e32 vcc, s33, v4
                                        ; implicit-def: $vgpr4
	s_and_saveexec_b64 s[0:1], vcc
	s_cbranch_execz .LBB3444_11
; %bb.10:
	v_mov_b32_e32 v15, 0
	v_lshl_add_u64 v[4:5], v[2:3], 0, v[14:15]
	flat_load_ushort v4, v[4:5] offset:1024
.LBB3444_11:
	s_or_b64 exec, exec, s[0:1]
	v_or_b32_e32 v5, 0x400, v0
	v_cmp_gt_u32_e32 vcc, s33, v5
                                        ; implicit-def: $vgpr5
	s_and_saveexec_b64 s[0:1], vcc
	s_cbranch_execz .LBB3444_13
; %bb.12:
	v_mov_b32_e32 v15, 0
	v_lshl_add_u64 v[6:7], v[2:3], 0, v[14:15]
	flat_load_ushort v5, v[6:7] offset:2048
.LBB3444_13:
	s_or_b64 exec, exec, s[0:1]
	v_or_b32_e32 v6, 0x600, v0
	v_cmp_gt_u32_e32 vcc, s33, v6
                                        ; implicit-def: $vgpr6
	s_and_saveexec_b64 s[0:1], vcc
	s_cbranch_execz .LBB3444_15
; %bb.14:
	v_mov_b32_e32 v15, 0
	v_lshl_add_u64 v[6:7], v[2:3], 0, v[14:15]
	flat_load_ushort v6, v[6:7] offset:3072
.LBB3444_15:
	s_or_b64 exec, exec, s[0:1]
	v_or_b32_e32 v8, 0x800, v0
	v_cmp_gt_u32_e32 vcc, s33, v8
                                        ; implicit-def: $vgpr7
	s_and_saveexec_b64 s[0:1], vcc
	s_cbranch_execz .LBB3444_17
; %bb.16:
	v_lshlrev_b32_e32 v8, 1, v8
	v_mov_b32_e32 v9, 0
	v_lshl_add_u64 v[8:9], v[2:3], 0, v[8:9]
	flat_load_ushort v7, v[8:9]
.LBB3444_17:
	s_or_b64 exec, exec, s[0:1]
	v_or_b32_e32 v9, 0xa00, v0
	v_cmp_gt_u32_e32 vcc, s33, v9
                                        ; implicit-def: $vgpr8
	s_and_saveexec_b64 s[0:1], vcc
	s_cbranch_execz .LBB3444_19
; %bb.18:
	v_lshlrev_b32_e32 v8, 1, v9
	v_mov_b32_e32 v9, 0
	v_lshl_add_u64 v[8:9], v[2:3], 0, v[8:9]
	flat_load_ushort v8, v[8:9]
.LBB3444_19:
	s_or_b64 exec, exec, s[0:1]
	v_or_b32_e32 v10, 0xc00, v0
	v_cmp_gt_u32_e32 vcc, s33, v10
                                        ; implicit-def: $vgpr9
	s_and_saveexec_b64 s[0:1], vcc
	s_cbranch_execz .LBB3444_21
; %bb.20:
	v_lshlrev_b32_e32 v10, 1, v10
	v_mov_b32_e32 v11, 0
	v_lshl_add_u64 v[10:11], v[2:3], 0, v[10:11]
	flat_load_ushort v9, v[10:11]
.LBB3444_21:
	s_or_b64 exec, exec, s[0:1]
	v_or_b32_e32 v11, 0xe00, v0
	v_cmp_gt_u32_e32 vcc, s33, v11
                                        ; implicit-def: $vgpr10
	s_and_saveexec_b64 s[0:1], vcc
	s_cbranch_execz .LBB3444_23
; %bb.22:
	v_lshlrev_b32_e32 v10, 1, v11
	v_mov_b32_e32 v11, 0
	v_lshl_add_u64 v[10:11], v[2:3], 0, v[10:11]
	flat_load_ushort v10, v[10:11]
.LBB3444_23:
	s_or_b64 exec, exec, s[0:1]
	v_or_b32_e32 v12, 0x1000, v0
	v_cmp_gt_u32_e32 vcc, s33, v12
                                        ; implicit-def: $vgpr11
	s_and_saveexec_b64 s[0:1], vcc
	s_cbranch_execz .LBB3444_25
; %bb.24:
	v_lshlrev_b32_e32 v12, 1, v12
	v_mov_b32_e32 v13, 0
	v_lshl_add_u64 v[12:13], v[2:3], 0, v[12:13]
	flat_load_ushort v11, v[12:13]
.LBB3444_25:
	s_or_b64 exec, exec, s[0:1]
	v_or_b32_e32 v13, 0x1200, v0
	v_cmp_gt_u32_e32 vcc, s33, v13
                                        ; implicit-def: $vgpr12
	s_and_saveexec_b64 s[0:1], vcc
	s_cbranch_execz .LBB3444_27
; %bb.26:
	v_lshlrev_b32_e32 v12, 1, v13
	v_mov_b32_e32 v13, 0
	v_lshl_add_u64 v[12:13], v[2:3], 0, v[12:13]
	flat_load_ushort v12, v[12:13]
.LBB3444_27:
	s_or_b64 exec, exec, s[0:1]
	v_or_b32_e32 v15, 0x1400, v0
	v_cmp_gt_u32_e32 vcc, s33, v15
                                        ; implicit-def: $vgpr13
	s_and_saveexec_b64 s[0:1], vcc
	s_cbranch_execz .LBB3444_29
; %bb.28:
	v_lshlrev_b32_e32 v20, 1, v15
	v_mov_b32_e32 v21, 0
	v_lshl_add_u64 v[20:21], v[2:3], 0, v[20:21]
	flat_load_ushort v13, v[20:21]
.LBB3444_29:
	s_or_b64 exec, exec, s[0:1]
	v_or_b32_e32 v20, 0x1600, v0
	v_cmp_gt_u32_e32 vcc, s33, v20
                                        ; implicit-def: $vgpr15
	s_and_saveexec_b64 s[0:1], vcc
	s_cbranch_execz .LBB3444_31
; %bb.30:
	v_lshlrev_b32_e32 v20, 1, v20
	v_mov_b32_e32 v21, 0
	v_lshl_add_u64 v[20:21], v[2:3], 0, v[20:21]
	flat_load_ushort v15, v[20:21]
.LBB3444_31:
	s_or_b64 exec, exec, s[0:1]
	v_or_b32_e32 v21, 0x1800, v0
	v_cmp_gt_u32_e32 vcc, s33, v21
                                        ; implicit-def: $vgpr20
	s_and_saveexec_b64 s[0:1], vcc
	s_cbranch_execz .LBB3444_33
; %bb.32:
	v_lshlrev_b32_e32 v20, 1, v21
	v_mov_b32_e32 v21, 0
	v_lshl_add_u64 v[20:21], v[2:3], 0, v[20:21]
	flat_load_ushort v20, v[20:21]
.LBB3444_33:
	s_or_b64 exec, exec, s[0:1]
	v_or_b32_e32 v22, 0x1a00, v0
	v_cmp_gt_u32_e32 vcc, s33, v22
                                        ; implicit-def: $vgpr21
	s_and_saveexec_b64 s[0:1], vcc
	s_cbranch_execz .LBB3444_35
; %bb.34:
	v_lshlrev_b32_e32 v22, 1, v22
	v_mov_b32_e32 v23, 0
	v_lshl_add_u64 v[22:23], v[2:3], 0, v[22:23]
	flat_load_ushort v21, v[22:23]
.LBB3444_35:
	s_or_b64 exec, exec, s[0:1]
	v_or_b32_e32 v23, 0x1c00, v0
	v_cmp_gt_u32_e32 vcc, s33, v23
                                        ; implicit-def: $vgpr22
	s_and_saveexec_b64 s[0:1], vcc
	s_cbranch_execz .LBB3444_37
; %bb.36:
	v_lshlrev_b32_e32 v22, 1, v23
	v_mov_b32_e32 v23, 0
	v_lshl_add_u64 v[22:23], v[2:3], 0, v[22:23]
	flat_load_ushort v22, v[22:23]
.LBB3444_37:
	s_or_b64 exec, exec, s[0:1]
	v_or_b32_e32 v24, 0x1e00, v0
	v_cmp_gt_u32_e32 vcc, s33, v24
                                        ; implicit-def: $vgpr23
	s_and_saveexec_b64 s[0:1], vcc
	s_cbranch_execz .LBB3444_39
; %bb.38:
	v_lshlrev_b32_e32 v24, 1, v24
	v_mov_b32_e32 v25, 0
	v_lshl_add_u64 v[24:25], v[2:3], 0, v[24:25]
	flat_load_ushort v23, v[24:25]
.LBB3444_39:
	s_or_b64 exec, exec, s[0:1]
	v_or_b32_e32 v25, 0x2000, v0
	v_cmp_gt_u32_e32 vcc, s33, v25
                                        ; implicit-def: $vgpr24
	s_and_saveexec_b64 s[0:1], vcc
	s_cbranch_execz .LBB3444_41
; %bb.40:
	v_lshlrev_b32_e32 v24, 1, v25
	v_mov_b32_e32 v25, 0
	v_lshl_add_u64 v[24:25], v[2:3], 0, v[24:25]
	flat_load_ushort v24, v[24:25]
.LBB3444_41:
	s_or_b64 exec, exec, s[0:1]
	v_or_b32_e32 v26, 0x2200, v0
	v_cmp_gt_u32_e32 vcc, s33, v26
                                        ; implicit-def: $vgpr25
	s_and_saveexec_b64 s[0:1], vcc
	s_cbranch_execz .LBB3444_43
; %bb.42:
	v_lshlrev_b32_e32 v26, 1, v26
	v_mov_b32_e32 v27, 0
	v_lshl_add_u64 v[26:27], v[2:3], 0, v[26:27]
	flat_load_ushort v25, v[26:27]
.LBB3444_43:
	s_or_b64 exec, exec, s[0:1]
	v_or_b32_e32 v27, 0x2400, v0
	v_cmp_gt_u32_e32 vcc, s33, v27
                                        ; implicit-def: $vgpr26
	s_and_saveexec_b64 s[0:1], vcc
	s_cbranch_execz .LBB3444_45
; %bb.44:
	v_lshlrev_b32_e32 v26, 1, v27
	v_mov_b32_e32 v27, 0
	v_lshl_add_u64 v[26:27], v[2:3], 0, v[26:27]
	flat_load_ushort v26, v[26:27]
.LBB3444_45:
	s_or_b64 exec, exec, s[0:1]
	v_or_b32_e32 v28, 0x2600, v0
	v_cmp_gt_u32_e32 vcc, s33, v28
                                        ; implicit-def: $vgpr27
	s_and_saveexec_b64 s[0:1], vcc
	s_cbranch_execz .LBB3444_47
; %bb.46:
	v_lshlrev_b32_e32 v28, 1, v28
	v_mov_b32_e32 v29, 0
	v_lshl_add_u64 v[28:29], v[2:3], 0, v[28:29]
	flat_load_ushort v27, v[28:29]
.LBB3444_47:
	s_or_b64 exec, exec, s[0:1]
	v_or_b32_e32 v29, 0x2800, v0
	v_cmp_gt_u32_e32 vcc, s33, v29
                                        ; implicit-def: $vgpr28
	s_and_saveexec_b64 s[0:1], vcc
	s_cbranch_execz .LBB3444_49
; %bb.48:
	v_lshlrev_b32_e32 v28, 1, v29
	v_mov_b32_e32 v29, 0
	v_lshl_add_u64 v[28:29], v[2:3], 0, v[28:29]
	flat_load_ushort v28, v[28:29]
.LBB3444_49:
	s_or_b64 exec, exec, s[0:1]
	v_or_b32_e32 v30, 0x2a00, v0
	v_cmp_gt_u32_e32 vcc, s33, v30
                                        ; implicit-def: $vgpr29
	s_and_saveexec_b64 s[0:1], vcc
	s_cbranch_execz .LBB3444_51
; %bb.50:
	v_lshlrev_b32_e32 v30, 1, v30
	v_mov_b32_e32 v31, 0
	v_lshl_add_u64 v[30:31], v[2:3], 0, v[30:31]
	flat_load_ushort v29, v[30:31]
.LBB3444_51:
	s_or_b64 exec, exec, s[0:1]
	v_or_b32_e32 v31, 0x2c00, v0
	v_cmp_gt_u32_e32 vcc, s33, v31
                                        ; implicit-def: $vgpr30
	s_and_saveexec_b64 s[0:1], vcc
	s_cbranch_execz .LBB3444_53
; %bb.52:
	v_lshlrev_b32_e32 v30, 1, v31
	v_mov_b32_e32 v31, 0
	v_lshl_add_u64 v[30:31], v[2:3], 0, v[30:31]
	flat_load_ushort v30, v[30:31]
.LBB3444_53:
	s_or_b64 exec, exec, s[0:1]
	v_or_b32_e32 v32, 0x2e00, v0
	v_cmp_gt_u32_e32 vcc, s33, v32
                                        ; implicit-def: $vgpr31
	s_and_saveexec_b64 s[0:1], vcc
	s_cbranch_execz .LBB3444_55
; %bb.54:
	v_lshlrev_b32_e32 v32, 1, v32
	v_mov_b32_e32 v33, 0
	v_lshl_add_u64 v[32:33], v[2:3], 0, v[32:33]
	flat_load_ushort v31, v[32:33]
.LBB3444_55:
	s_or_b64 exec, exec, s[0:1]
	v_or_b32_e32 v33, 0x3000, v0
	v_cmp_gt_u32_e32 vcc, s33, v33
                                        ; implicit-def: $vgpr32
	s_and_saveexec_b64 s[0:1], vcc
	s_cbranch_execz .LBB3444_57
; %bb.56:
	v_lshlrev_b32_e32 v32, 1, v33
	v_mov_b32_e32 v33, 0
	v_lshl_add_u64 v[32:33], v[2:3], 0, v[32:33]
	flat_load_ushort v32, v[32:33]
.LBB3444_57:
	s_or_b64 exec, exec, s[0:1]
	v_or_b32_e32 v34, 0x3200, v0
	v_cmp_gt_u32_e32 vcc, s33, v34
                                        ; implicit-def: $vgpr33
	s_and_saveexec_b64 s[0:1], vcc
	s_cbranch_execz .LBB3444_59
; %bb.58:
	v_lshlrev_b32_e32 v34, 1, v34
	v_mov_b32_e32 v35, 0
	v_lshl_add_u64 v[34:35], v[2:3], 0, v[34:35]
	flat_load_ushort v33, v[34:35]
.LBB3444_59:
	s_or_b64 exec, exec, s[0:1]
	v_or_b32_e32 v35, 0x3400, v0
	v_cmp_gt_u32_e32 vcc, s33, v35
                                        ; implicit-def: $vgpr34
	s_and_saveexec_b64 s[0:1], vcc
	s_cbranch_execz .LBB3444_61
; %bb.60:
	v_lshlrev_b32_e32 v34, 1, v35
	v_mov_b32_e32 v35, 0
	v_lshl_add_u64 v[34:35], v[2:3], 0, v[34:35]
	flat_load_ushort v34, v[34:35]
.LBB3444_61:
	s_or_b64 exec, exec, s[0:1]
	v_or_b32_e32 v36, 0x3600, v0
	v_cmp_gt_u32_e32 vcc, s33, v36
                                        ; implicit-def: $vgpr35
	s_and_saveexec_b64 s[0:1], vcc
	s_cbranch_execz .LBB3444_63
; %bb.62:
	v_lshlrev_b32_e32 v36, 1, v36
	v_mov_b32_e32 v37, 0
	v_lshl_add_u64 v[2:3], v[2:3], 0, v[36:37]
	flat_load_ushort v35, v[2:3]
.LBB3444_63:
	s_or_b64 exec, exec, s[0:1]
	s_waitcnt vmcnt(0) lgkmcnt(0)
	ds_write_b16 v14, v1
	ds_write_b16 v14, v4 offset:1024
	ds_write_b16 v14, v5 offset:2048
	;; [unrolled: 1-line block ×27, first 2 shown]
	s_waitcnt lgkmcnt(0)
	s_barrier
.LBB3444_64:
	v_mul_u32_u24_e32 v1, 28, v0
	v_lshlrev_b32_e32 v6, 1, v1
	ds_read_b64 v[20:21], v6 offset:48
	ds_read2_b64 v[2:5], v6 offset0:4 offset1:5
	ds_read2_b64 v[10:13], v6 offset1:1
	ds_read2_b64 v[6:9], v6 offset0:2 offset1:3
	s_add_u32 s0, s2, s4
	s_addc_u32 s1, s3, s5
	v_lshl_add_u64 v[22:23], s[0:1], 0, v[18:19]
	s_mov_b64 s[0:1], -1
	s_and_b64 vcc, exec, s[24:25]
	s_waitcnt lgkmcnt(0)
	s_barrier
	s_cbranch_vccz .LBB3444_66
; %bb.65:
	v_mov_b32_e32 v15, 0
	v_readfirstlane_b32 s0, v22
	v_readfirstlane_b32 s1, v23
	v_lshl_add_u64 v[24:25], v[22:23], 0, v[14:15]
	s_nop 3
	global_load_ubyte v15, v14, s[0:1]
	global_load_ubyte v30, v14, s[0:1] offset:1024
	global_load_ubyte v31, v14, s[0:1] offset:2048
	;; [unrolled: 1-line block ×3, first 2 shown]
	s_movk_i32 s0, 0x1000
	v_add_co_u32_e32 v26, vcc, s0, v24
	s_movk_i32 s0, 0x2000
	s_nop 0
	v_addc_co_u32_e32 v27, vcc, 0, v25, vcc
	v_add_co_u32_e32 v28, vcc, s0, v24
	s_movk_i32 s0, 0x3000
	s_nop 0
	v_addc_co_u32_e32 v29, vcc, 0, v25, vcc
	global_load_ubyte v33, v[26:27], off offset:1024
	global_load_ubyte v34, v[26:27], off offset:2048
	;; [unrolled: 1-line block ×3, first 2 shown]
	global_load_ubyte v36, v[28:29], off offset:-4096
	global_load_ubyte v37, v[28:29], off
	global_load_ubyte v38, v[28:29], off offset:1024
	global_load_ubyte v39, v[28:29], off offset:2048
	;; [unrolled: 1-line block ×3, first 2 shown]
	v_add_co_u32_e32 v26, vcc, s0, v24
	s_movk_i32 s0, 0x4000
	s_nop 0
	v_addc_co_u32_e32 v27, vcc, 0, v25, vcc
	v_add_co_u32_e32 v28, vcc, s0, v24
	s_movk_i32 s1, 0x6000
	s_nop 0
	v_addc_co_u32_e32 v29, vcc, 0, v25, vcc
	global_load_ubyte v41, v[28:29], off offset:-4096
	global_load_ubyte v42, v[26:27], off offset:1024
	global_load_ubyte v43, v[26:27], off offset:2048
	;; [unrolled: 1-line block ×3, first 2 shown]
	global_load_ubyte v45, v[28:29], off
	v_add_co_u32_e32 v26, vcc, s1, v24
	s_movk_i32 s0, 0x5000
	s_nop 0
	v_addc_co_u32_e32 v27, vcc, 0, v25, vcc
	v_add_co_u32_e32 v24, vcc, s0, v24
	global_load_ubyte v46, v[28:29], off offset:1024
	global_load_ubyte v47, v[28:29], off offset:2048
	;; [unrolled: 1-line block ×3, first 2 shown]
	global_load_ubyte v49, v[26:27], off offset:-4096
	v_addc_co_u32_e32 v25, vcc, 0, v25, vcc
	global_load_ubyte v28, v[24:25], off offset:1024
	global_load_ubyte v29, v[24:25], off offset:2048
	;; [unrolled: 1-line block ×3, first 2 shown]
	global_load_ubyte v51, v[26:27], off
	global_load_ubyte v52, v[26:27], off offset:1024
	global_load_ubyte v53, v[26:27], off offset:2048
	;; [unrolled: 1-line block ×3, first 2 shown]
	s_mov_b64 s[0:1], 0
	s_waitcnt vmcnt(27)
	v_xor_b32_e32 v15, -1, v15
	s_waitcnt vmcnt(26)
	v_xor_b32_e32 v24, -1, v30
	;; [unrolled: 2-line block ×4, first 2 shown]
	v_and_b32_e32 v15, 1, v15
	v_and_b32_e32 v24, 1, v24
	;; [unrolled: 1-line block ×4, first 2 shown]
	s_waitcnt vmcnt(23)
	v_xor_b32_e32 v30, -1, v33
	s_waitcnt vmcnt(22)
	v_xor_b32_e32 v31, -1, v34
	s_waitcnt vmcnt(21)
	v_xor_b32_e32 v32, -1, v35
	s_waitcnt vmcnt(20)
	v_xor_b32_e32 v27, -1, v36
	s_waitcnt vmcnt(19)
	v_xor_b32_e32 v33, -1, v37
	s_waitcnt vmcnt(18)
	v_xor_b32_e32 v34, -1, v38
	s_waitcnt vmcnt(17)
	v_xor_b32_e32 v35, -1, v39
	s_waitcnt vmcnt(16)
	v_xor_b32_e32 v36, -1, v40
	v_and_b32_e32 v27, 1, v27
	v_and_b32_e32 v30, 1, v30
	;; [unrolled: 1-line block ×6, first 2 shown]
	s_waitcnt vmcnt(15)
	v_xor_b32_e32 v37, -1, v41
	s_waitcnt vmcnt(14)
	v_xor_b32_e32 v38, -1, v42
	;; [unrolled: 2-line block ×5, first 2 shown]
	v_and_b32_e32 v35, 1, v35
	v_and_b32_e32 v36, 1, v36
	;; [unrolled: 1-line block ×4, first 2 shown]
	s_waitcnt vmcnt(10)
	v_xor_b32_e32 v42, -1, v46
	s_waitcnt vmcnt(9)
	v_xor_b32_e32 v43, -1, v47
	s_waitcnt vmcnt(8)
	v_xor_b32_e32 v44, -1, v48
	s_waitcnt vmcnt(7)
	v_xor_b32_e32 v45, -1, v49
	s_waitcnt vmcnt(6)
	v_xor_b32_e32 v28, -1, v28
	s_waitcnt vmcnt(5)
	v_xor_b32_e32 v29, -1, v29
	s_waitcnt vmcnt(4)
	v_xor_b32_e32 v46, -1, v50
	s_waitcnt vmcnt(3)
	v_xor_b32_e32 v47, -1, v51
	s_waitcnt vmcnt(2)
	v_xor_b32_e32 v48, -1, v52
	s_waitcnt vmcnt(1)
	v_xor_b32_e32 v49, -1, v53
	s_waitcnt vmcnt(0)
	v_xor_b32_e32 v50, -1, v54
	v_and_b32_e32 v39, 1, v39
	v_and_b32_e32 v40, 1, v40
	;; [unrolled: 1-line block ×14, first 2 shown]
	ds_write_b8 v0, v15
	ds_write_b8 v0, v24 offset:512
	ds_write_b8 v0, v25 offset:1024
	;; [unrolled: 1-line block ×27, first 2 shown]
	s_waitcnt lgkmcnt(0)
	s_barrier
.LBB3444_66:
	s_andn2_b64 vcc, exec, s[0:1]
	s_cbranch_vccnz .LBB3444_124
; %bb.67:
	v_cmp_gt_u32_e32 vcc, s33, v0
	v_mov_b32_e32 v15, 0
	v_mov_b32_e32 v24, 0
	s_and_saveexec_b64 s[0:1], vcc
	s_cbranch_execz .LBB3444_69
; %bb.68:
	v_readfirstlane_b32 s2, v22
	v_readfirstlane_b32 s3, v23
	s_nop 4
	global_load_ubyte v24, v14, s[2:3]
	s_waitcnt vmcnt(0)
	v_xor_b32_e32 v24, -1, v24
	v_and_b32_e32 v24, 1, v24
.LBB3444_69:
	s_or_b64 exec, exec, s[0:1]
	v_or_b32_e32 v25, 0x200, v0
	v_cmp_gt_u32_e32 vcc, s33, v25
	s_and_saveexec_b64 s[0:1], vcc
	s_cbranch_execz .LBB3444_71
; %bb.70:
	v_readfirstlane_b32 s2, v22
	v_readfirstlane_b32 s3, v23
	s_nop 4
	global_load_ubyte v15, v14, s[2:3] offset:1024
	s_waitcnt vmcnt(0)
	v_xor_b32_e32 v15, -1, v15
	v_and_b32_e32 v15, 1, v15
.LBB3444_71:
	s_or_b64 exec, exec, s[0:1]
	v_or_b32_e32 v25, 0x400, v0
	v_cmp_gt_u32_e32 vcc, s33, v25
	v_mov_b32_e32 v25, 0
	v_mov_b32_e32 v26, 0
	s_and_saveexec_b64 s[0:1], vcc
	s_cbranch_execz .LBB3444_73
; %bb.72:
	v_readfirstlane_b32 s2, v22
	v_readfirstlane_b32 s3, v23
	s_nop 4
	global_load_ubyte v26, v14, s[2:3] offset:2048
	s_waitcnt vmcnt(0)
	v_xor_b32_e32 v26, -1, v26
	v_and_b32_e32 v26, 1, v26
.LBB3444_73:
	s_or_b64 exec, exec, s[0:1]
	v_or_b32_e32 v27, 0x600, v0
	v_cmp_gt_u32_e32 vcc, s33, v27
	s_and_saveexec_b64 s[0:1], vcc
	s_cbranch_execz .LBB3444_75
; %bb.74:
	v_readfirstlane_b32 s2, v22
	v_readfirstlane_b32 s3, v23
	s_nop 4
	global_load_ubyte v25, v14, s[2:3] offset:3072
	s_waitcnt vmcnt(0)
	v_xor_b32_e32 v25, -1, v25
	v_and_b32_e32 v25, 1, v25
.LBB3444_75:
	s_or_b64 exec, exec, s[0:1]
	v_or_b32_e32 v29, 0x800, v0
	v_cmp_gt_u32_e32 vcc, s33, v29
	v_mov_b32_e32 v27, 0
	v_mov_b32_e32 v28, 0
	s_and_saveexec_b64 s[0:1], vcc
	s_cbranch_execz .LBB3444_77
; %bb.76:
	v_lshlrev_b32_e32 v28, 1, v29
	v_readfirstlane_b32 s2, v22
	v_readfirstlane_b32 s3, v23
	s_nop 4
	global_load_ubyte v28, v28, s[2:3]
	s_waitcnt vmcnt(0)
	v_xor_b32_e32 v28, -1, v28
	v_and_b32_e32 v28, 1, v28
.LBB3444_77:
	s_or_b64 exec, exec, s[0:1]
	v_or_b32_e32 v29, 0xa00, v0
	v_cmp_gt_u32_e32 vcc, s33, v29
	s_and_saveexec_b64 s[0:1], vcc
	s_cbranch_execz .LBB3444_79
; %bb.78:
	v_lshlrev_b32_e32 v27, 1, v29
	v_readfirstlane_b32 s2, v22
	v_readfirstlane_b32 s3, v23
	s_nop 4
	global_load_ubyte v27, v27, s[2:3]
	s_waitcnt vmcnt(0)
	v_xor_b32_e32 v27, -1, v27
	v_and_b32_e32 v27, 1, v27
.LBB3444_79:
	s_or_b64 exec, exec, s[0:1]
	v_or_b32_e32 v31, 0xc00, v0
	v_cmp_gt_u32_e32 vcc, s33, v31
	v_mov_b32_e32 v29, 0
	v_mov_b32_e32 v30, 0
	s_and_saveexec_b64 s[0:1], vcc
	s_cbranch_execz .LBB3444_81
; %bb.80:
	v_lshlrev_b32_e32 v30, 1, v31
	v_readfirstlane_b32 s2, v22
	v_readfirstlane_b32 s3, v23
	s_nop 4
	global_load_ubyte v30, v30, s[2:3]
	s_waitcnt vmcnt(0)
	v_xor_b32_e32 v30, -1, v30
	v_and_b32_e32 v30, 1, v30
.LBB3444_81:
	s_or_b64 exec, exec, s[0:1]
	v_or_b32_e32 v31, 0xe00, v0
	v_cmp_gt_u32_e32 vcc, s33, v31
	s_and_saveexec_b64 s[0:1], vcc
	s_cbranch_execz .LBB3444_83
; %bb.82:
	v_lshlrev_b32_e32 v29, 1, v31
	v_readfirstlane_b32 s2, v22
	v_readfirstlane_b32 s3, v23
	s_nop 4
	global_load_ubyte v29, v29, s[2:3]
	s_waitcnt vmcnt(0)
	v_xor_b32_e32 v29, -1, v29
	v_and_b32_e32 v29, 1, v29
.LBB3444_83:
	;; [unrolled: 32-line block ×12, first 2 shown]
	s_or_b64 exec, exec, s[0:1]
	ds_write_b8 v0, v24
	ds_write_b8 v0, v15 offset:512
	ds_write_b8 v0, v26 offset:1024
	;; [unrolled: 1-line block ×27, first 2 shown]
	s_waitcnt lgkmcnt(0)
	s_barrier
.LBB3444_124:
	ds_read2_b32 v[28:29], v1 offset1:1
	ds_read2_b32 v[26:27], v1 offset0:2 offset1:3
	ds_read2_b32 v[24:25], v1 offset0:4 offset1:5
	ds_read_b32 v38, v1 offset:24
	s_cmp_lg_u32 s38, 0
	v_lshrrev_b32_e32 v65, 6, v0
	s_waitcnt lgkmcnt(2)
	v_and_b32_e32 v57, 0xff, v26
	v_lshrrev_b32_e32 v45, 24, v28
	v_bfe_u32 v63, v28, 16, 8
	v_add_u32_sdwa v22, v28, v28 dst_sel:DWORD dst_unused:UNUSED_PAD src0_sel:BYTE_1 src1_sel:BYTE_0
	v_and_b32_e32 v60, 0xff, v29
	v_bfe_u32 v61, v29, 8, 8
	v_add3_u32 v22, v22, v63, v45
	v_lshrrev_b32_e32 v44, 24, v29
	v_bfe_u32 v62, v29, 16, 8
	v_add3_u32 v22, v22, v60, v61
	v_bfe_u32 v58, v26, 8, 8
	v_add3_u32 v22, v22, v62, v44
	v_lshrrev_b32_e32 v43, 24, v26
	v_bfe_u32 v59, v26, 16, 8
	v_add3_u32 v22, v22, v57, v58
	v_and_b32_e32 v54, 0xff, v27
	v_bfe_u32 v55, v27, 8, 8
	v_add3_u32 v22, v22, v59, v43
	v_lshrrev_b32_e32 v42, 24, v27
	v_bfe_u32 v56, v27, 16, 8
	v_add3_u32 v22, v22, v54, v55
	s_waitcnt lgkmcnt(1)
	v_and_b32_e32 v51, 0xff, v24
	v_bfe_u32 v52, v24, 8, 8
	v_add3_u32 v22, v22, v56, v42
	v_lshrrev_b32_e32 v41, 24, v24
	v_bfe_u32 v53, v24, 16, 8
	v_add3_u32 v22, v22, v51, v52
	v_and_b32_e32 v48, 0xff, v25
	v_bfe_u32 v49, v25, 8, 8
	v_add3_u32 v22, v22, v53, v41
	v_lshrrev_b32_e32 v40, 24, v25
	v_bfe_u32 v50, v25, 16, 8
	v_add3_u32 v22, v22, v48, v49
	s_waitcnt lgkmcnt(0)
	v_and_b32_e32 v46, 0xff, v38
	v_bfe_u32 v47, v38, 8, 8
	v_add3_u32 v22, v22, v50, v40
	v_lshrrev_b32_e32 v15, 24, v38
	v_bfe_u32 v39, v38, 16, 8
	v_add3_u32 v22, v22, v46, v47
	v_add3_u32 v66, v22, v39, v15
	v_mbcnt_lo_u32_b32 v22, -1, 0
	v_mbcnt_hi_u32_b32 v64, -1, v22
	v_and_b32_e32 v22, 15, v64
	v_cmp_eq_u32_e64 s[14:15], 0, v22
	v_cmp_lt_u32_e64 s[12:13], 1, v22
	v_cmp_lt_u32_e64 s[10:11], 3, v22
	;; [unrolled: 1-line block ×3, first 2 shown]
	v_and_b32_e32 v22, 16, v64
	v_cmp_eq_u32_e64 s[6:7], 0, v22
	v_or_b32_e32 v22, 63, v0
	v_cmp_lt_u32_e64 s[2:3], 31, v64
	v_cmp_eq_u32_e64 s[4:5], v22, v0
	s_barrier
	s_cbranch_scc0 .LBB3444_151
; %bb.125:
	v_mov_b32_dpp v22, v66 row_shr:1 row_mask:0xf bank_mask:0xf
	v_cndmask_b32_e64 v22, v22, 0, s[14:15]
	v_add_u32_e32 v22, v22, v66
	s_nop 1
	v_mov_b32_dpp v23, v22 row_shr:2 row_mask:0xf bank_mask:0xf
	v_cndmask_b32_e64 v23, 0, v23, s[12:13]
	v_add_u32_e32 v22, v22, v23
	s_nop 1
	;; [unrolled: 4-line block ×4, first 2 shown]
	v_mov_b32_dpp v23, v22 row_bcast:15 row_mask:0xf bank_mask:0xf
	v_cndmask_b32_e64 v23, v23, 0, s[6:7]
	v_add_u32_e32 v22, v22, v23
	s_nop 1
	v_mov_b32_dpp v23, v22 row_bcast:31 row_mask:0xf bank_mask:0xf
	v_cndmask_b32_e64 v23, 0, v23, s[2:3]
	v_add_u32_e32 v22, v22, v23
	s_and_saveexec_b64 s[0:1], s[4:5]
	s_cbranch_execz .LBB3444_127
; %bb.126:
	v_lshlrev_b32_e32 v23, 2, v65
	ds_write_b32 v23, v22
.LBB3444_127:
	s_or_b64 exec, exec, s[0:1]
	v_cmp_gt_u32_e32 vcc, 8, v0
	s_waitcnt lgkmcnt(0)
	s_barrier
	s_and_saveexec_b64 s[0:1], vcc
	s_cbranch_execz .LBB3444_129
; %bb.128:
	v_lshlrev_b32_e32 v23, 2, v0
	ds_read_b32 v30, v23
	v_and_b32_e32 v31, 7, v64
	v_cmp_ne_u32_e32 vcc, 0, v31
	s_waitcnt lgkmcnt(0)
	v_mov_b32_dpp v32, v30 row_shr:1 row_mask:0xf bank_mask:0xf
	v_cndmask_b32_e32 v32, 0, v32, vcc
	v_add_u32_e32 v30, v32, v30
	v_cmp_lt_u32_e32 vcc, 1, v31
	s_nop 0
	v_mov_b32_dpp v32, v30 row_shr:2 row_mask:0xf bank_mask:0xf
	v_cndmask_b32_e32 v32, 0, v32, vcc
	v_add_u32_e32 v30, v30, v32
	v_cmp_lt_u32_e32 vcc, 3, v31
	s_nop 0
	v_mov_b32_dpp v32, v30 row_shr:4 row_mask:0xf bank_mask:0xf
	v_cndmask_b32_e32 v31, 0, v32, vcc
	v_add_u32_e32 v30, v30, v31
	ds_write_b32 v23, v30
.LBB3444_129:
	s_or_b64 exec, exec, s[0:1]
	v_cmp_gt_u32_e32 vcc, 64, v0
	v_cmp_lt_u32_e64 s[0:1], 63, v0
	s_waitcnt lgkmcnt(0)
	s_barrier
	s_waitcnt lgkmcnt(0)
                                        ; implicit-def: $vgpr67
	s_and_saveexec_b64 s[16:17], s[0:1]
	s_cbranch_execz .LBB3444_131
; %bb.130:
	v_lshl_add_u32 v23, v65, 2, -4
	ds_read_b32 v67, v23
	s_waitcnt lgkmcnt(0)
	v_add_u32_e32 v22, v67, v22
.LBB3444_131:
	s_or_b64 exec, exec, s[16:17]
	v_add_u32_e32 v23, -1, v64
	v_and_b32_e32 v30, 64, v64
	v_cmp_lt_i32_e64 s[0:1], v23, v30
	v_cmp_eq_u32_e64 s[16:17], 0, v64
	s_nop 0
	v_cndmask_b32_e64 v23, v23, v64, s[0:1]
	v_lshlrev_b32_e32 v23, 2, v23
	ds_bpermute_b32 v68, v23, v22
	s_and_saveexec_b64 s[0:1], vcc
	s_cbranch_execz .LBB3444_150
; %bb.132:
	v_mov_b32_e32 v35, 0
	ds_read_b32 v22, v35 offset:28
	s_and_saveexec_b64 s[34:35], s[16:17]
	s_cbranch_execz .LBB3444_134
; %bb.133:
	s_add_i32 s36, s38, 64
	s_mov_b32 s37, 0
	s_lshl_b64 s[36:37], s[36:37], 3
	s_add_u32 s36, s30, s36
	v_mov_b32_e32 v23, 1
	s_addc_u32 s37, s31, s37
	s_waitcnt lgkmcnt(0)
	global_store_dwordx2 v35, v[22:23], s[36:37] sc1
.LBB3444_134:
	s_or_b64 exec, exec, s[34:35]
	v_xad_u32 v30, v64, -1, s38
	v_add_u32_e32 v34, 64, v30
	v_lshl_add_u64 v[36:37], v[34:35], 3, s[30:31]
	global_load_dwordx2 v[32:33], v[36:37], off sc1
	s_waitcnt vmcnt(0)
	v_cmp_eq_u16_sdwa s[36:37], v33, v35 src0_sel:BYTE_0 src1_sel:DWORD
	s_and_saveexec_b64 s[34:35], s[36:37]
	s_cbranch_execz .LBB3444_138
; %bb.135:
	s_mov_b64 s[36:37], 0
	v_mov_b32_e32 v23, 0
.LBB3444_136:                           ; =>This Inner Loop Header: Depth=1
	global_load_dwordx2 v[32:33], v[36:37], off sc1
	s_waitcnt vmcnt(0)
	v_cmp_ne_u16_sdwa s[40:41], v33, v23 src0_sel:BYTE_0 src1_sel:DWORD
	s_or_b64 s[36:37], s[40:41], s[36:37]
	s_andn2_b64 exec, exec, s[36:37]
	s_cbranch_execnz .LBB3444_136
; %bb.137:
	s_or_b64 exec, exec, s[36:37]
.LBB3444_138:
	s_or_b64 exec, exec, s[34:35]
	v_and_b32_e32 v70, 63, v64
	v_mov_b32_e32 v69, 2
	v_cmp_ne_u32_e32 vcc, 63, v70
	v_cmp_eq_u16_sdwa s[34:35], v33, v69 src0_sel:BYTE_0 src1_sel:DWORD
	v_lshlrev_b64 v[34:35], v64, -1
	v_addc_co_u32_e32 v36, vcc, 0, v64, vcc
	v_and_b32_e32 v23, s35, v35
	v_lshlrev_b32_e32 v71, 2, v36
	v_or_b32_e32 v23, 0x80000000, v23
	ds_bpermute_b32 v36, v71, v32
	v_and_b32_e32 v31, s34, v34
	v_ffbl_b32_e32 v23, v23
	v_add_u32_e32 v23, 32, v23
	v_ffbl_b32_e32 v31, v31
	v_min_u32_e32 v23, v31, v23
	v_cmp_lt_u32_e32 vcc, v70, v23
	v_add_u32_e32 v73, 2, v70
	v_add_u32_e32 v75, 4, v70
	s_waitcnt lgkmcnt(0)
	v_cndmask_b32_e32 v31, 0, v36, vcc
	v_cmp_gt_u32_e32 vcc, 62, v70
	v_add_u32_e32 v31, v31, v32
	v_add_u32_e32 v77, 8, v70
	v_cndmask_b32_e64 v32, 0, 1, vcc
	v_lshlrev_b32_e32 v32, 1, v32
	v_add_lshl_u32 v72, v32, v64, 2
	ds_bpermute_b32 v32, v72, v31
	v_cmp_le_u32_e32 vcc, v73, v23
	v_add_u32_e32 v79, 16, v70
	v_add_u32_e32 v81, 32, v70
	s_waitcnt lgkmcnt(0)
	v_cndmask_b32_e32 v32, 0, v32, vcc
	v_cmp_gt_u32_e32 vcc, 60, v70
	v_add_u32_e32 v31, v31, v32
	s_nop 0
	v_cndmask_b32_e64 v32, 0, 1, vcc
	v_lshlrev_b32_e32 v32, 2, v32
	v_add_lshl_u32 v74, v32, v64, 2
	ds_bpermute_b32 v32, v74, v31
	v_cmp_le_u32_e32 vcc, v75, v23
	s_waitcnt lgkmcnt(0)
	s_nop 0
	v_cndmask_b32_e32 v32, 0, v32, vcc
	v_cmp_gt_u32_e32 vcc, 56, v70
	v_add_u32_e32 v31, v31, v32
	s_nop 0
	v_cndmask_b32_e64 v32, 0, 1, vcc
	v_lshlrev_b32_e32 v32, 3, v32
	v_add_lshl_u32 v76, v32, v64, 2
	ds_bpermute_b32 v32, v76, v31
	v_cmp_le_u32_e32 vcc, v77, v23
	s_waitcnt lgkmcnt(0)
	s_nop 0
	v_cndmask_b32_e32 v32, 0, v32, vcc
	v_cmp_gt_u32_e32 vcc, 48, v70
	v_add_u32_e32 v31, v31, v32
	s_nop 0
	v_cndmask_b32_e64 v32, 0, 1, vcc
	v_lshlrev_b32_e32 v32, 4, v32
	v_add_lshl_u32 v78, v32, v64, 2
	ds_bpermute_b32 v32, v78, v31
	v_cmp_le_u32_e32 vcc, v79, v23
	s_waitcnt lgkmcnt(0)
	s_nop 0
	v_cndmask_b32_e32 v32, 0, v32, vcc
	v_cmp_gt_u32_e32 vcc, 32, v70
	v_add_u32_e32 v31, v31, v32
	s_nop 0
	v_cndmask_b32_e64 v32, 0, 1, vcc
	v_lshlrev_b32_e32 v32, 5, v32
	v_add_lshl_u32 v80, v32, v64, 2
	ds_bpermute_b32 v32, v80, v31
	v_cmp_le_u32_e32 vcc, v81, v23
	s_waitcnt lgkmcnt(0)
	s_nop 0
	v_cndmask_b32_e32 v23, 0, v32, vcc
	v_add_u32_e32 v32, v31, v23
	v_mov_b32_e32 v31, 0
	s_branch .LBB3444_140
.LBB3444_139:                           ;   in Loop: Header=BB3444_140 Depth=1
	s_or_b64 exec, exec, s[34:35]
	v_cmp_eq_u16_sdwa s[34:35], v33, v69 src0_sel:BYTE_0 src1_sel:DWORD
	ds_bpermute_b32 v82, v71, v32
	v_subrev_u32_e32 v30, 64, v30
	v_and_b32_e32 v36, s35, v35
	v_or_b32_e32 v36, 0x80000000, v36
	v_and_b32_e32 v37, s34, v34
	v_ffbl_b32_e32 v36, v36
	v_add_u32_e32 v36, 32, v36
	v_ffbl_b32_e32 v37, v37
	v_min_u32_e32 v36, v37, v36
	v_cmp_lt_u32_e32 vcc, v70, v36
	s_waitcnt lgkmcnt(0)
	s_nop 0
	v_cndmask_b32_e32 v37, 0, v82, vcc
	v_add_u32_e32 v32, v37, v32
	ds_bpermute_b32 v37, v72, v32
	v_cmp_le_u32_e32 vcc, v73, v36
	s_waitcnt lgkmcnt(0)
	s_nop 0
	v_cndmask_b32_e32 v37, 0, v37, vcc
	v_add_u32_e32 v32, v32, v37
	ds_bpermute_b32 v37, v74, v32
	v_cmp_le_u32_e32 vcc, v75, v36
	;; [unrolled: 6-line block ×5, first 2 shown]
	s_waitcnt lgkmcnt(0)
	s_nop 0
	v_cndmask_b32_e32 v36, 0, v37, vcc
	v_add3_u32 v32, v36, v23, v32
.LBB3444_140:                           ; =>This Loop Header: Depth=1
                                        ;     Child Loop BB3444_143 Depth 2
	v_cmp_ne_u16_sdwa s[34:35], v33, v69 src0_sel:BYTE_0 src1_sel:DWORD
	s_nop 1
	v_cndmask_b32_e64 v23, 0, 1, s[34:35]
	;;#ASMSTART
	;;#ASMEND
	s_nop 0
	v_cmp_ne_u32_e32 vcc, 0, v23
	s_cmp_lg_u64 vcc, exec
	v_mov_b32_e32 v23, v32
	s_cbranch_scc1 .LBB3444_145
; %bb.141:                              ;   in Loop: Header=BB3444_140 Depth=1
	v_lshl_add_u64 v[36:37], v[30:31], 3, s[30:31]
	global_load_dwordx2 v[32:33], v[36:37], off sc1
	s_waitcnt vmcnt(0)
	v_cmp_eq_u16_sdwa s[36:37], v33, v31 src0_sel:BYTE_0 src1_sel:DWORD
	s_and_saveexec_b64 s[34:35], s[36:37]
	s_cbranch_execz .LBB3444_139
; %bb.142:                              ;   in Loop: Header=BB3444_140 Depth=1
	s_mov_b64 s[36:37], 0
.LBB3444_143:                           ;   Parent Loop BB3444_140 Depth=1
                                        ; =>  This Inner Loop Header: Depth=2
	global_load_dwordx2 v[32:33], v[36:37], off sc1
	s_waitcnt vmcnt(0)
	v_cmp_ne_u16_sdwa s[40:41], v33, v31 src0_sel:BYTE_0 src1_sel:DWORD
	s_or_b64 s[36:37], s[40:41], s[36:37]
	s_andn2_b64 exec, exec, s[36:37]
	s_cbranch_execnz .LBB3444_143
; %bb.144:                              ;   in Loop: Header=BB3444_140 Depth=1
	s_or_b64 exec, exec, s[36:37]
	s_branch .LBB3444_139
.LBB3444_145:                           ;   in Loop: Header=BB3444_140 Depth=1
                                        ; implicit-def: $vgpr32
                                        ; implicit-def: $vgpr33
	s_cbranch_execz .LBB3444_140
; %bb.146:
	s_and_saveexec_b64 s[34:35], s[16:17]
	s_cbranch_execz .LBB3444_148
; %bb.147:
	s_add_i32 s36, s38, 64
	s_mov_b32 s37, 0
	s_lshl_b64 s[36:37], s[36:37], 3
	s_add_u32 s36, s30, s36
	v_add_u32_e32 v30, v23, v22
	v_mov_b32_e32 v31, 2
	s_addc_u32 s37, s31, s37
	v_mov_b32_e32 v32, 0
	global_store_dwordx2 v32, v[30:31], s[36:37] sc1
	ds_write_b64 v32, v[22:23] offset:28672
.LBB3444_148:
	s_or_b64 exec, exec, s[34:35]
	s_and_b64 exec, exec, s[18:19]
	s_cbranch_execz .LBB3444_150
; %bb.149:
	v_mov_b32_e32 v22, 0
	ds_write_b32 v22, v23 offset:28
.LBB3444_150:
	s_or_b64 exec, exec, s[0:1]
	v_mov_b32_e32 v22, 0
	s_waitcnt lgkmcnt(0)
	s_barrier
	ds_read_b32 v30, v22 offset:28
	s_waitcnt lgkmcnt(0)
	s_barrier
	ds_read_b64 v[22:23], v22 offset:28672
	v_cndmask_b32_e64 v31, v68, v67, s[16:17]
	v_cndmask_b32_e64 v31, v31, 0, s[18:19]
	v_add_u32_e32 v36, v30, v31
	s_waitcnt lgkmcnt(0)
	v_mov_b32_e32 v30, v23
	s_branch .LBB3444_161
.LBB3444_151:
                                        ; implicit-def: $vgpr30
                                        ; implicit-def: $vgpr22
                                        ; implicit-def: $vgpr36
	s_cbranch_execz .LBB3444_161
; %bb.152:
	s_nop 0
	v_mov_b32_dpp v22, v66 row_shr:1 row_mask:0xf bank_mask:0xf
	v_cndmask_b32_e64 v22, v22, 0, s[14:15]
	v_add_u32_e32 v22, v22, v66
	s_nop 1
	v_mov_b32_dpp v23, v22 row_shr:2 row_mask:0xf bank_mask:0xf
	v_cndmask_b32_e64 v23, 0, v23, s[12:13]
	v_add_u32_e32 v22, v22, v23
	;; [unrolled: 4-line block ×4, first 2 shown]
	s_nop 1
	v_mov_b32_dpp v23, v22 row_bcast:15 row_mask:0xf bank_mask:0xf
	v_cndmask_b32_e64 v23, v23, 0, s[6:7]
	v_add_u32_e32 v22, v22, v23
	s_nop 1
	v_mov_b32_dpp v23, v22 row_bcast:31 row_mask:0xf bank_mask:0xf
	v_cndmask_b32_e64 v23, 0, v23, s[2:3]
	v_add_u32_e32 v22, v22, v23
	s_and_saveexec_b64 s[0:1], s[4:5]
	s_cbranch_execz .LBB3444_154
; %bb.153:
	v_lshlrev_b32_e32 v23, 2, v65
	ds_write_b32 v23, v22
.LBB3444_154:
	s_or_b64 exec, exec, s[0:1]
	v_cmp_gt_u32_e32 vcc, 8, v0
	s_waitcnt lgkmcnt(0)
	s_barrier
	s_and_saveexec_b64 s[0:1], vcc
	s_cbranch_execz .LBB3444_156
; %bb.155:
	v_lshlrev_b32_e32 v23, 2, v0
	ds_read_b32 v30, v23
	v_and_b32_e32 v31, 7, v64
	v_cmp_ne_u32_e32 vcc, 0, v31
	s_waitcnt lgkmcnt(0)
	v_mov_b32_dpp v32, v30 row_shr:1 row_mask:0xf bank_mask:0xf
	v_cndmask_b32_e32 v32, 0, v32, vcc
	v_add_u32_e32 v30, v32, v30
	v_cmp_lt_u32_e32 vcc, 1, v31
	s_nop 0
	v_mov_b32_dpp v32, v30 row_shr:2 row_mask:0xf bank_mask:0xf
	v_cndmask_b32_e32 v32, 0, v32, vcc
	v_add_u32_e32 v30, v30, v32
	v_cmp_lt_u32_e32 vcc, 3, v31
	s_nop 0
	v_mov_b32_dpp v32, v30 row_shr:4 row_mask:0xf bank_mask:0xf
	v_cndmask_b32_e32 v31, 0, v32, vcc
	v_add_u32_e32 v30, v30, v31
	ds_write_b32 v23, v30
.LBB3444_156:
	s_or_b64 exec, exec, s[0:1]
	v_cmp_lt_u32_e32 vcc, 63, v0
	v_mov_b32_e32 v23, 0
	v_mov_b32_e32 v30, 0
	s_waitcnt lgkmcnt(0)
	s_barrier
	s_and_saveexec_b64 s[0:1], vcc
	s_cbranch_execz .LBB3444_158
; %bb.157:
	v_lshl_add_u32 v30, v65, 2, -4
	ds_read_b32 v30, v30
.LBB3444_158:
	s_or_b64 exec, exec, s[0:1]
	v_add_u32_e32 v31, -1, v64
	v_and_b32_e32 v32, 64, v64
	v_cmp_lt_i32_e32 vcc, v31, v32
	s_waitcnt lgkmcnt(0)
	v_add_u32_e32 v22, v30, v22
	v_cndmask_b32_e32 v31, v31, v64, vcc
	v_lshlrev_b32_e32 v31, 2, v31
	ds_bpermute_b32 v31, v31, v22
	ds_read_b32 v22, v23 offset:28
	s_and_saveexec_b64 s[0:1], s[18:19]
	s_cbranch_execz .LBB3444_160
; %bb.159:
	v_mov_b32_e32 v32, 0
	v_mov_b32_e32 v23, 2
	s_waitcnt lgkmcnt(0)
	global_store_dwordx2 v32, v[22:23], s[30:31] offset:512 sc1
.LBB3444_160:
	s_or_b64 exec, exec, s[0:1]
	v_cmp_eq_u32_e32 vcc, 0, v64
	s_waitcnt lgkmcnt(0)
	s_barrier
	v_cndmask_b32_e32 v23, v31, v30, vcc
	v_mov_b32_e32 v30, 0
	v_cndmask_b32_e64 v36, v23, 0, s[18:19]
.LBB3444_161:
	v_add_u32_sdwa v64, v36, v28 dst_sel:DWORD dst_unused:UNUSED_PAD src0_sel:DWORD src1_sel:BYTE_0
	v_add_u32_e32 v1, v22, v1
	v_sub_u32_e32 v36, v36, v30
	v_and_b32_e32 v73, 1, v28
	v_sub_u32_e32 v72, v1, v36
	v_cmp_eq_u32_e32 vcc, 1, v73
	v_lshrrev_b32_e32 v37, 8, v28
	v_add_u32_sdwa v65, v64, v28 dst_sel:DWORD dst_unused:UNUSED_PAD src0_sel:DWORD src1_sel:BYTE_1
	v_cndmask_b32_e32 v36, v72, v36, vcc
	v_lshlrev_b32_e32 v36, 1, v36
	ds_write_b16 v36, v10
	v_sub_u32_e32 v36, v64, v30
	v_sub_u32_e32 v64, v1, v36
	v_and_b32_e32 v37, 1, v37
	v_add_u32_e32 v64, 1, v64
	v_cmp_eq_u32_e32 vcc, 1, v37
	v_mov_b32_e32 v37, 1
	v_and_b32_sdwa v28, v37, v28 dst_sel:DWORD dst_unused:UNUSED_PAD src0_sel:DWORD src1_sel:WORD_1
	v_cndmask_b32_e32 v36, v64, v36, vcc
	v_lshlrev_b32_e32 v36, 1, v36
	ds_write_b16_d16_hi v36, v10
	v_sub_u32_e32 v10, v65, v30
	v_sub_u32_e32 v36, v1, v10
	v_add_u32_e32 v36, 2, v36
	v_cmp_eq_u32_e32 vcc, 1, v28
	v_add_u32_e32 v63, v65, v63
	v_add_u32_e32 v66, v63, v45
	v_cndmask_b32_e32 v10, v36, v10, vcc
	v_lshlrev_b32_e32 v10, 1, v10
	ds_write_b16 v10, v11
	v_sub_u32_e32 v10, v63, v30
	v_sub_u32_e32 v28, v1, v10
	v_and_b32_e32 v36, 1, v45
	v_add_u32_e32 v28, 3, v28
	v_cmp_eq_u32_e32 vcc, 1, v36
	v_add_u32_e32 v60, v66, v60
	v_lshrrev_b32_e32 v35, 8, v29
	v_cndmask_b32_e32 v10, v28, v10, vcc
	v_lshlrev_b32_e32 v10, 1, v10
	ds_write_b16_d16_hi v10, v11
	v_sub_u32_e32 v10, v66, v30
	v_sub_u32_e32 v11, v1, v10
	v_and_b32_e32 v28, 1, v29
	v_add_u32_e32 v11, 4, v11
	v_cmp_eq_u32_e32 vcc, 1, v28
	v_and_b32_e32 v28, 1, v35
	v_add_u32_e32 v61, v60, v61
	v_cndmask_b32_e32 v10, v11, v10, vcc
	v_lshlrev_b32_e32 v10, 1, v10
	ds_write_b16 v10, v12
	v_sub_u32_e32 v10, v60, v30
	v_sub_u32_e32 v11, v1, v10
	v_add_u32_e32 v11, 5, v11
	v_cmp_eq_u32_e32 vcc, 1, v28
	v_add_u32_e32 v62, v61, v62
	v_add_u32_e32 v67, v62, v44
	v_cndmask_b32_e32 v10, v11, v10, vcc
	v_lshlrev_b32_e32 v10, 1, v10
	ds_write_b16_d16_hi v10, v12
	v_sub_u32_e32 v10, v61, v30
	v_sub_u32_e32 v11, v1, v10
	v_and_b32_sdwa v12, v37, v29 dst_sel:DWORD dst_unused:UNUSED_PAD src0_sel:DWORD src1_sel:WORD_1
	v_add_u32_e32 v11, 6, v11
	v_cmp_eq_u32_e32 vcc, 1, v12
	v_and_b32_e32 v12, 1, v44
	v_add_u32_e32 v57, v67, v57
	v_cndmask_b32_e32 v10, v11, v10, vcc
	v_lshlrev_b32_e32 v10, 1, v10
	ds_write_b16 v10, v13
	v_sub_u32_e32 v10, v62, v30
	v_sub_u32_e32 v11, v1, v10
	v_add_u32_e32 v11, 7, v11
	v_cmp_eq_u32_e32 vcc, 1, v12
	v_and_b32_e32 v12, 1, v26
	v_lshrrev_b32_e32 v34, 8, v26
	v_cndmask_b32_e32 v10, v11, v10, vcc
	v_lshlrev_b32_e32 v10, 1, v10
	ds_write_b16_d16_hi v10, v13
	v_sub_u32_e32 v10, v67, v30
	v_sub_u32_e32 v11, v1, v10
	v_add_u32_e32 v11, 8, v11
	v_cmp_eq_u32_e32 vcc, 1, v12
	v_and_b32_e32 v12, 1, v34
	v_add_u32_e32 v58, v57, v58
	v_cndmask_b32_e32 v10, v11, v10, vcc
	v_lshlrev_b32_e32 v10, 1, v10
	ds_write_b16 v10, v6
	v_sub_u32_e32 v10, v57, v30
	v_sub_u32_e32 v11, v1, v10
	v_add_u32_e32 v11, 9, v11
	v_cmp_eq_u32_e32 vcc, 1, v12
	v_add_u32_e32 v59, v58, v59
	v_add_u32_e32 v68, v59, v43
	v_cndmask_b32_e32 v10, v11, v10, vcc
	v_lshlrev_b32_e32 v10, 1, v10
	ds_write_b16_d16_hi v10, v6
	v_sub_u32_e32 v6, v58, v30
	v_sub_u32_e32 v10, v1, v6
	v_and_b32_sdwa v11, v37, v26 dst_sel:DWORD dst_unused:UNUSED_PAD src0_sel:DWORD src1_sel:WORD_1
	v_add_u32_e32 v10, 10, v10
	v_cmp_eq_u32_e32 vcc, 1, v11
	v_and_b32_e32 v11, 1, v43
	v_add_u32_e32 v54, v68, v54
	v_cndmask_b32_e32 v6, v10, v6, vcc
	v_lshlrev_b32_e32 v6, 1, v6
	ds_write_b16 v6, v7
	v_sub_u32_e32 v6, v59, v30
	v_sub_u32_e32 v10, v1, v6
	v_add_u32_e32 v10, 11, v10
	v_cmp_eq_u32_e32 vcc, 1, v11
	v_lshrrev_b32_e32 v33, 8, v27
	v_add_u32_e32 v55, v54, v55
	v_cndmask_b32_e32 v6, v10, v6, vcc
	v_lshlrev_b32_e32 v6, 1, v6
	ds_write_b16_d16_hi v6, v7
	v_sub_u32_e32 v6, v68, v30
	v_sub_u32_e32 v7, v1, v6
	v_and_b32_e32 v10, 1, v27
	v_add_u32_e32 v7, 12, v7
	v_cmp_eq_u32_e32 vcc, 1, v10
	v_and_b32_e32 v10, 1, v33
	v_add_u32_e32 v56, v55, v56
	v_cndmask_b32_e32 v6, v7, v6, vcc
	v_lshlrev_b32_e32 v6, 1, v6
	ds_write_b16 v6, v8
	v_sub_u32_e32 v6, v54, v30
	v_sub_u32_e32 v7, v1, v6
	v_add_u32_e32 v7, 13, v7
	v_cmp_eq_u32_e32 vcc, 1, v10
	v_add_u32_e32 v69, v56, v42
	v_add_u32_e32 v51, v69, v51
	v_cndmask_b32_e32 v6, v7, v6, vcc
	v_lshlrev_b32_e32 v6, 1, v6
	ds_write_b16_d16_hi v6, v8
	v_sub_u32_e32 v6, v55, v30
	v_sub_u32_e32 v7, v1, v6
	v_and_b32_sdwa v8, v37, v27 dst_sel:DWORD dst_unused:UNUSED_PAD src0_sel:DWORD src1_sel:WORD_1
	v_add_u32_e32 v7, 14, v7
	v_cmp_eq_u32_e32 vcc, 1, v8
	v_and_b32_e32 v8, 1, v42
	v_lshrrev_b32_e32 v32, 8, v24
	v_cndmask_b32_e32 v6, v7, v6, vcc
	v_lshlrev_b32_e32 v6, 1, v6
	ds_write_b16 v6, v9
	v_sub_u32_e32 v6, v56, v30
	v_sub_u32_e32 v7, v1, v6
	v_add_u32_e32 v7, 15, v7
	v_cmp_eq_u32_e32 vcc, 1, v8
	v_and_b32_e32 v8, 1, v24
	v_add_u32_e32 v52, v51, v52
	v_cndmask_b32_e32 v6, v7, v6, vcc
	v_lshlrev_b32_e32 v6, 1, v6
	ds_write_b16_d16_hi v6, v9
	v_sub_u32_e32 v6, v69, v30
	v_sub_u32_e32 v7, v1, v6
	v_add_u32_e32 v7, 16, v7
	v_cmp_eq_u32_e32 vcc, 1, v8
	v_and_b32_e32 v8, 1, v32
	v_add_u32_e32 v53, v52, v53
	v_cndmask_b32_e32 v6, v7, v6, vcc
	v_lshlrev_b32_e32 v6, 1, v6
	ds_write_b16 v6, v2
	v_sub_u32_e32 v6, v51, v30
	v_sub_u32_e32 v7, v1, v6
	v_add_u32_e32 v7, 17, v7
	v_cmp_eq_u32_e32 vcc, 1, v8
	v_add_u32_e32 v70, v53, v41
	v_add_u32_e32 v48, v70, v48
	v_cndmask_b32_e32 v6, v7, v6, vcc
	v_lshlrev_b32_e32 v6, 1, v6
	ds_write_b16_d16_hi v6, v2
	v_sub_u32_e32 v2, v52, v30
	v_sub_u32_e32 v6, v1, v2
	v_and_b32_sdwa v7, v37, v24 dst_sel:DWORD dst_unused:UNUSED_PAD src0_sel:DWORD src1_sel:WORD_1
	v_add_u32_e32 v6, 18, v6
	v_cmp_eq_u32_e32 vcc, 1, v7
	v_and_b32_e32 v7, 1, v41
	v_lshrrev_b32_e32 v31, 8, v25
	v_cndmask_b32_e32 v2, v6, v2, vcc
	v_lshlrev_b32_e32 v2, 1, v2
	ds_write_b16 v2, v3
	v_sub_u32_e32 v2, v53, v30
	v_sub_u32_e32 v6, v1, v2
	v_add_u32_e32 v6, 19, v6
	v_cmp_eq_u32_e32 vcc, 1, v7
	v_add_u32_e32 v49, v48, v49
	v_add_u32_e32 v50, v49, v50
	v_cndmask_b32_e32 v2, v6, v2, vcc
	v_lshlrev_b32_e32 v2, 1, v2
	ds_write_b16_d16_hi v2, v3
	v_sub_u32_e32 v2, v70, v30
	v_sub_u32_e32 v3, v1, v2
	v_and_b32_e32 v6, 1, v25
	v_add_u32_e32 v3, 20, v3
	v_cmp_eq_u32_e32 vcc, 1, v6
	v_and_b32_e32 v6, 1, v31
	v_add_u32_e32 v71, v50, v40
	v_cndmask_b32_e32 v2, v3, v2, vcc
	v_lshlrev_b32_e32 v2, 1, v2
	ds_write_b16 v2, v4
	v_sub_u32_e32 v2, v48, v30
	v_sub_u32_e32 v3, v1, v2
	v_add_u32_e32 v3, 21, v3
	v_cmp_eq_u32_e32 vcc, 1, v6
	v_add_u32_e32 v46, v71, v46
	v_lshrrev_b32_e32 v23, 8, v38
	v_cndmask_b32_e32 v2, v3, v2, vcc
	v_lshlrev_b32_e32 v2, 1, v2
	ds_write_b16_d16_hi v2, v4
	v_sub_u32_e32 v2, v49, v30
	v_sub_u32_e32 v3, v1, v2
	v_and_b32_sdwa v4, v37, v25 dst_sel:DWORD dst_unused:UNUSED_PAD src0_sel:DWORD src1_sel:WORD_1
	v_add_u32_e32 v3, 22, v3
	v_cmp_eq_u32_e32 vcc, 1, v4
	v_and_b32_e32 v4, 1, v40
	v_add_u32_e32 v47, v46, v47
	v_cndmask_b32_e32 v2, v3, v2, vcc
	v_lshlrev_b32_e32 v2, 1, v2
	ds_write_b16 v2, v5
	v_sub_u32_e32 v2, v50, v30
	v_sub_u32_e32 v3, v1, v2
	v_add_u32_e32 v3, 23, v3
	v_cmp_eq_u32_e32 vcc, 1, v4
	v_and_b32_e32 v4, 1, v38
	v_mov_b32_e32 v31, 0
	v_cndmask_b32_e32 v2, v3, v2, vcc
	v_lshlrev_b32_e32 v2, 1, v2
	ds_write_b16_d16_hi v2, v5
	v_sub_u32_e32 v2, v71, v30
	v_sub_u32_e32 v3, v1, v2
	v_add_u32_e32 v3, 24, v3
	v_cmp_eq_u32_e32 vcc, 1, v4
	v_and_b32_e32 v4, 1, v23
	v_mov_b32_e32 v23, v31
	v_cndmask_b32_e32 v2, v3, v2, vcc
	v_lshlrev_b32_e32 v2, 1, v2
	ds_write_b16 v2, v20
	v_sub_u32_e32 v2, v46, v30
	v_sub_u32_e32 v3, v1, v2
	v_add_u32_e32 v3, 25, v3
	v_cmp_eq_u32_e32 vcc, 1, v4
	v_and_b32_sdwa v4, v37, v38 dst_sel:DWORD dst_unused:UNUSED_PAD src0_sel:DWORD src1_sel:WORD_1
	v_mov_b32_e32 v5, s27
	v_cndmask_b32_e32 v2, v3, v2, vcc
	v_lshlrev_b32_e32 v2, 1, v2
	ds_write_b16_d16_hi v2, v20
	v_sub_u32_e32 v2, v47, v30
	v_sub_u32_e32 v3, v1, v2
	v_add_u32_e32 v3, 26, v3
	v_cmp_eq_u32_e32 vcc, 1, v4
	v_or_b32_e32 v66, 0x200, v0
	v_or_b32_e32 v64, 0x400, v0
	v_cndmask_b32_e32 v2, v3, v2, vcc
	v_lshlrev_b32_e32 v2, 1, v2
	ds_write_b16 v2, v21
	v_sub_u32_e32 v2, v39, v30
	v_add_u32_e32 v2, v47, v2
	v_sub_u32_e32 v1, v1, v2
	v_and_b32_e32 v3, 1, v15
	v_add_u32_e32 v1, 27, v1
	v_cmp_eq_u32_e32 vcc, 1, v3
	v_or_b32_e32 v62, 0x600, v0
	v_or_b32_e32 v60, 0x800, v0
	v_cndmask_b32_e32 v1, v1, v2, vcc
	v_lshlrev_b32_e32 v1, 1, v1
	ds_write_b16_d16_hi v1, v21
	s_waitcnt lgkmcnt(0)
	s_barrier
	ds_read_u16 v68, v14
	ds_read_u16 v67, v14 offset:1024
	ds_read_u16 v65, v14 offset:2048
	;; [unrolled: 1-line block ×27, first 2 shown]
	s_waitcnt vmcnt(0)
	v_lshl_add_u64 v[2:3], v[16:17], 0, v[22:23]
	v_lshl_add_u64 v[2:3], v[2:3], 0, v[30:31]
	v_sub_co_u32_e32 v4, vcc, s26, v2
	v_or_b32_e32 v58, 0xa00, v0
	s_nop 0
	v_subb_co_u32_e32 v5, vcc, v5, v3, vcc
	v_lshlrev_b64 v[4:5], 1, v[4:5]
	v_lshl_add_u64 v[4:5], s[28:29], 0, v[4:5]
	v_or_b32_e32 v56, 0xc00, v0
	v_or_b32_e32 v53, 0xe00, v0
	;; [unrolled: 1-line block ×22, first 2 shown]
	v_lshl_add_u64 v[4:5], v[4:5], 0, v[18:19]
	s_andn2_b64 vcc, exec, s[24:25]
	v_cmp_ge_u32_e64 s[0:1], v0, v22
	s_cbranch_vccnz .LBB3444_191
; %bb.162:
	s_and_saveexec_b64 s[2:3], s[0:1]
	s_cbranch_execnz .LBB3444_252
; %bb.163:
	s_or_b64 exec, exec, s[2:3]
	v_cmp_ge_u32_e32 vcc, v66, v22
	s_and_saveexec_b64 s[0:1], vcc
	s_cbranch_execnz .LBB3444_253
.LBB3444_164:
	s_or_b64 exec, exec, s[0:1]
	v_cmp_ge_u32_e32 vcc, v64, v22
	s_and_saveexec_b64 s[0:1], vcc
	s_cbranch_execnz .LBB3444_254
.LBB3444_165:
	s_or_b64 exec, exec, s[0:1]
	v_cmp_ge_u32_e32 vcc, v62, v22
	s_and_saveexec_b64 s[0:1], vcc
	s_cbranch_execnz .LBB3444_255
.LBB3444_166:
	s_or_b64 exec, exec, s[0:1]
	v_cmp_ge_u32_e32 vcc, v60, v22
	s_and_saveexec_b64 s[0:1], vcc
	s_cbranch_execnz .LBB3444_256
.LBB3444_167:
	s_or_b64 exec, exec, s[0:1]
	v_cmp_ge_u32_e32 vcc, v58, v22
	s_and_saveexec_b64 s[0:1], vcc
	s_cbranch_execnz .LBB3444_257
.LBB3444_168:
	s_or_b64 exec, exec, s[0:1]
	v_cmp_ge_u32_e32 vcc, v56, v22
	s_and_saveexec_b64 s[0:1], vcc
	s_cbranch_execnz .LBB3444_258
.LBB3444_169:
	s_or_b64 exec, exec, s[0:1]
	v_cmp_ge_u32_e32 vcc, v53, v22
	s_and_saveexec_b64 s[0:1], vcc
	s_cbranch_execnz .LBB3444_259
.LBB3444_170:
	s_or_b64 exec, exec, s[0:1]
	v_cmp_ge_u32_e32 vcc, v52, v22
	s_and_saveexec_b64 s[0:1], vcc
	s_cbranch_execnz .LBB3444_260
.LBB3444_171:
	s_or_b64 exec, exec, s[0:1]
	v_cmp_ge_u32_e32 vcc, v50, v22
	s_and_saveexec_b64 s[0:1], vcc
	s_cbranch_execnz .LBB3444_261
.LBB3444_172:
	s_or_b64 exec, exec, s[0:1]
	v_cmp_ge_u32_e32 vcc, v48, v22
	s_and_saveexec_b64 s[0:1], vcc
	s_cbranch_execnz .LBB3444_262
.LBB3444_173:
	s_or_b64 exec, exec, s[0:1]
	v_cmp_ge_u32_e32 vcc, v46, v22
	s_and_saveexec_b64 s[0:1], vcc
	s_cbranch_execnz .LBB3444_263
.LBB3444_174:
	s_or_b64 exec, exec, s[0:1]
	v_cmp_ge_u32_e32 vcc, v44, v22
	s_and_saveexec_b64 s[0:1], vcc
	s_cbranch_execnz .LBB3444_264
.LBB3444_175:
	s_or_b64 exec, exec, s[0:1]
	v_cmp_ge_u32_e32 vcc, v42, v22
	s_and_saveexec_b64 s[0:1], vcc
	s_cbranch_execnz .LBB3444_265
.LBB3444_176:
	s_or_b64 exec, exec, s[0:1]
	v_cmp_ge_u32_e32 vcc, v40, v22
	s_and_saveexec_b64 s[0:1], vcc
	s_cbranch_execnz .LBB3444_266
.LBB3444_177:
	s_or_b64 exec, exec, s[0:1]
	v_cmp_ge_u32_e32 vcc, v37, v22
	s_and_saveexec_b64 s[0:1], vcc
	s_cbranch_execnz .LBB3444_267
.LBB3444_178:
	s_or_b64 exec, exec, s[0:1]
	v_cmp_ge_u32_e32 vcc, v36, v22
	s_and_saveexec_b64 s[0:1], vcc
	s_cbranch_execnz .LBB3444_268
.LBB3444_179:
	s_or_b64 exec, exec, s[0:1]
	v_cmp_ge_u32_e32 vcc, v34, v22
	s_and_saveexec_b64 s[0:1], vcc
	s_cbranch_execnz .LBB3444_269
.LBB3444_180:
	s_or_b64 exec, exec, s[0:1]
	v_cmp_ge_u32_e32 vcc, v32, v22
	s_and_saveexec_b64 s[0:1], vcc
	s_cbranch_execnz .LBB3444_270
.LBB3444_181:
	s_or_b64 exec, exec, s[0:1]
	v_cmp_ge_u32_e32 vcc, v28, v22
	s_and_saveexec_b64 s[0:1], vcc
	s_cbranch_execnz .LBB3444_271
.LBB3444_182:
	s_or_b64 exec, exec, s[0:1]
	v_cmp_ge_u32_e32 vcc, v26, v22
	s_and_saveexec_b64 s[0:1], vcc
	s_cbranch_execnz .LBB3444_272
.LBB3444_183:
	s_or_b64 exec, exec, s[0:1]
	v_cmp_ge_u32_e32 vcc, v24, v22
	s_and_saveexec_b64 s[0:1], vcc
	s_cbranch_execnz .LBB3444_273
.LBB3444_184:
	s_or_b64 exec, exec, s[0:1]
	v_cmp_ge_u32_e32 vcc, v20, v22
	s_and_saveexec_b64 s[0:1], vcc
	s_cbranch_execnz .LBB3444_274
.LBB3444_185:
	s_or_b64 exec, exec, s[0:1]
	v_cmp_ge_u32_e32 vcc, v13, v22
	s_and_saveexec_b64 s[0:1], vcc
	s_cbranch_execnz .LBB3444_275
.LBB3444_186:
	s_or_b64 exec, exec, s[0:1]
	v_cmp_ge_u32_e32 vcc, v11, v22
	s_and_saveexec_b64 s[0:1], vcc
	s_cbranch_execnz .LBB3444_276
.LBB3444_187:
	s_or_b64 exec, exec, s[0:1]
	v_cmp_ge_u32_e32 vcc, v9, v22
	s_and_saveexec_b64 s[0:1], vcc
	s_cbranch_execnz .LBB3444_277
.LBB3444_188:
	s_or_b64 exec, exec, s[0:1]
	v_cmp_ge_u32_e32 vcc, v8, v22
	s_and_saveexec_b64 s[0:1], vcc
	s_cbranch_execz .LBB3444_190
.LBB3444_189:
	v_lshlrev_b32_e32 v16, 1, v8
	v_readfirstlane_b32 s2, v4
	v_readfirstlane_b32 s3, v5
	s_waitcnt lgkmcnt(1)
	s_nop 3
	global_store_short v16, v7, s[2:3]
.LBB3444_190:
	s_or_b64 exec, exec, s[0:1]
	v_cmp_ge_u32_e64 s[0:1], v6, v22
	s_branch .LBB3444_247
.LBB3444_191:
	s_mov_b64 s[0:1], 0
	s_cbranch_execz .LBB3444_247
; %bb.192:
	v_cmp_gt_u32_e32 vcc, s33, v0
	v_cmp_ge_u32_e64 s[0:1], v0, v22
	s_and_b64 s[2:3], vcc, s[0:1]
	s_and_saveexec_b64 s[0:1], s[2:3]
	s_cbranch_execz .LBB3444_194
; %bb.193:
	v_readfirstlane_b32 s2, v4
	v_readfirstlane_b32 s3, v5
	s_waitcnt lgkmcnt(14)
	s_nop 3
	global_store_short v14, v68, s[2:3]
.LBB3444_194:
	s_or_b64 exec, exec, s[0:1]
	v_cmp_gt_u32_e32 vcc, s33, v66
	v_cmp_ge_u32_e64 s[0:1], v66, v22
	s_and_b64 s[2:3], vcc, s[0:1]
	s_and_saveexec_b64 s[0:1], s[2:3]
	s_cbranch_execz .LBB3444_196
; %bb.195:
	v_readfirstlane_b32 s2, v4
	v_readfirstlane_b32 s3, v5
	s_waitcnt lgkmcnt(14)
	s_nop 3
	global_store_short v14, v67, s[2:3] offset:1024
.LBB3444_196:
	s_or_b64 exec, exec, s[0:1]
	v_cmp_gt_u32_e32 vcc, s33, v64
	v_cmp_ge_u32_e64 s[0:1], v64, v22
	s_and_b64 s[2:3], vcc, s[0:1]
	s_and_saveexec_b64 s[0:1], s[2:3]
	s_cbranch_execz .LBB3444_198
; %bb.197:
	v_readfirstlane_b32 s2, v4
	v_readfirstlane_b32 s3, v5
	s_waitcnt lgkmcnt(14)
	s_nop 3
	global_store_short v14, v65, s[2:3] offset:2048
.LBB3444_198:
	;; [unrolled: 13-line block ×3, first 2 shown]
	s_or_b64 exec, exec, s[0:1]
	v_cmp_gt_u32_e32 vcc, s33, v60
	v_cmp_ge_u32_e64 s[0:1], v60, v22
	s_and_b64 s[2:3], vcc, s[0:1]
	s_and_saveexec_b64 s[0:1], s[2:3]
	s_cbranch_execz .LBB3444_202
; %bb.201:
	v_lshlrev_b32_e32 v0, 1, v60
	v_readfirstlane_b32 s2, v4
	v_readfirstlane_b32 s3, v5
	s_waitcnt lgkmcnt(14)
	s_nop 3
	global_store_short v0, v61, s[2:3]
.LBB3444_202:
	s_or_b64 exec, exec, s[0:1]
	v_cmp_gt_u32_e32 vcc, s33, v58
	v_cmp_ge_u32_e64 s[0:1], v58, v22
	s_and_b64 s[2:3], vcc, s[0:1]
	s_and_saveexec_b64 s[0:1], s[2:3]
	s_cbranch_execz .LBB3444_204
; %bb.203:
	v_lshlrev_b32_e32 v0, 1, v58
	v_readfirstlane_b32 s2, v4
	v_readfirstlane_b32 s3, v5
	s_waitcnt lgkmcnt(14)
	s_nop 3
	global_store_short v0, v59, s[2:3]
.LBB3444_204:
	;; [unrolled: 14-line block ×23, first 2 shown]
	s_or_b64 exec, exec, s[0:1]
	v_cmp_gt_u32_e32 vcc, s33, v6
	v_cmp_ge_u32_e64 s[0:1], v6, v22
	s_and_b64 s[0:1], vcc, s[0:1]
.LBB3444_247:
	s_and_saveexec_b64 s[2:3], s[0:1]
	s_cbranch_execnz .LBB3444_250
; %bb.248:
	s_or_b64 exec, exec, s[2:3]
	s_and_b64 s[0:1], s[18:19], s[22:23]
	s_and_saveexec_b64 s[2:3], s[0:1]
	s_cbranch_execnz .LBB3444_251
.LBB3444_249:
	s_endpgm
.LBB3444_250:
	v_lshlrev_b32_e32 v0, 1, v6
	v_readfirstlane_b32 s0, v4
	v_readfirstlane_b32 s1, v5
	s_waitcnt lgkmcnt(0)
	s_nop 3
	global_store_short v0, v1, s[0:1]
	s_or_b64 exec, exec, s[2:3]
	s_and_b64 s[0:1], s[18:19], s[22:23]
	s_and_saveexec_b64 s[2:3], s[0:1]
	s_cbranch_execz .LBB3444_249
.LBB3444_251:
	v_mov_b32_e32 v0, 0
	global_store_dwordx2 v0, v[2:3], s[20:21]
	s_endpgm
.LBB3444_252:
	v_readfirstlane_b32 s0, v4
	v_readfirstlane_b32 s1, v5
	s_waitcnt lgkmcnt(14)
	s_nop 3
	global_store_short v14, v68, s[0:1]
	s_or_b64 exec, exec, s[2:3]
	v_cmp_ge_u32_e32 vcc, v66, v22
	s_and_saveexec_b64 s[0:1], vcc
	s_cbranch_execz .LBB3444_164
.LBB3444_253:
	v_readfirstlane_b32 s2, v4
	v_readfirstlane_b32 s3, v5
	s_waitcnt lgkmcnt(14)
	s_nop 3
	global_store_short v14, v67, s[2:3] offset:1024
	s_or_b64 exec, exec, s[0:1]
	v_cmp_ge_u32_e32 vcc, v64, v22
	s_and_saveexec_b64 s[0:1], vcc
	s_cbranch_execz .LBB3444_165
.LBB3444_254:
	v_readfirstlane_b32 s2, v4
	v_readfirstlane_b32 s3, v5
	s_waitcnt lgkmcnt(14)
	s_nop 3
	global_store_short v14, v65, s[2:3] offset:2048
	s_or_b64 exec, exec, s[0:1]
	v_cmp_ge_u32_e32 vcc, v62, v22
	s_and_saveexec_b64 s[0:1], vcc
	s_cbranch_execz .LBB3444_166
.LBB3444_255:
	v_readfirstlane_b32 s2, v4
	v_readfirstlane_b32 s3, v5
	s_waitcnt lgkmcnt(14)
	s_nop 3
	global_store_short v14, v63, s[2:3] offset:3072
	s_or_b64 exec, exec, s[0:1]
	v_cmp_ge_u32_e32 vcc, v60, v22
	s_and_saveexec_b64 s[0:1], vcc
	s_cbranch_execz .LBB3444_167
.LBB3444_256:
	v_lshlrev_b32_e32 v16, 1, v60
	v_readfirstlane_b32 s2, v4
	v_readfirstlane_b32 s3, v5
	s_waitcnt lgkmcnt(14)
	s_nop 3
	global_store_short v16, v61, s[2:3]
	s_or_b64 exec, exec, s[0:1]
	v_cmp_ge_u32_e32 vcc, v58, v22
	s_and_saveexec_b64 s[0:1], vcc
	s_cbranch_execz .LBB3444_168
.LBB3444_257:
	v_lshlrev_b32_e32 v16, 1, v58
	v_readfirstlane_b32 s2, v4
	v_readfirstlane_b32 s3, v5
	s_waitcnt lgkmcnt(14)
	s_nop 3
	global_store_short v16, v59, s[2:3]
	s_or_b64 exec, exec, s[0:1]
	v_cmp_ge_u32_e32 vcc, v56, v22
	s_and_saveexec_b64 s[0:1], vcc
	s_cbranch_execz .LBB3444_169
.LBB3444_258:
	v_lshlrev_b32_e32 v16, 1, v56
	v_readfirstlane_b32 s2, v4
	v_readfirstlane_b32 s3, v5
	s_waitcnt lgkmcnt(14)
	s_nop 3
	global_store_short v16, v57, s[2:3]
	s_or_b64 exec, exec, s[0:1]
	v_cmp_ge_u32_e32 vcc, v53, v22
	s_and_saveexec_b64 s[0:1], vcc
	s_cbranch_execz .LBB3444_170
.LBB3444_259:
	v_lshlrev_b32_e32 v16, 1, v53
	v_readfirstlane_b32 s2, v4
	v_readfirstlane_b32 s3, v5
	s_waitcnt lgkmcnt(14)
	s_nop 3
	global_store_short v16, v55, s[2:3]
	s_or_b64 exec, exec, s[0:1]
	v_cmp_ge_u32_e32 vcc, v52, v22
	s_and_saveexec_b64 s[0:1], vcc
	s_cbranch_execz .LBB3444_171
.LBB3444_260:
	v_lshlrev_b32_e32 v16, 1, v52
	v_readfirstlane_b32 s2, v4
	v_readfirstlane_b32 s3, v5
	s_waitcnt lgkmcnt(14)
	s_nop 3
	global_store_short v16, v54, s[2:3]
	s_or_b64 exec, exec, s[0:1]
	v_cmp_ge_u32_e32 vcc, v50, v22
	s_and_saveexec_b64 s[0:1], vcc
	s_cbranch_execz .LBB3444_172
.LBB3444_261:
	v_lshlrev_b32_e32 v16, 1, v50
	v_readfirstlane_b32 s2, v4
	v_readfirstlane_b32 s3, v5
	s_waitcnt lgkmcnt(14)
	s_nop 3
	global_store_short v16, v51, s[2:3]
	s_or_b64 exec, exec, s[0:1]
	v_cmp_ge_u32_e32 vcc, v48, v22
	s_and_saveexec_b64 s[0:1], vcc
	s_cbranch_execz .LBB3444_173
.LBB3444_262:
	v_lshlrev_b32_e32 v16, 1, v48
	v_readfirstlane_b32 s2, v4
	v_readfirstlane_b32 s3, v5
	s_waitcnt lgkmcnt(14)
	s_nop 3
	global_store_short v16, v49, s[2:3]
	s_or_b64 exec, exec, s[0:1]
	v_cmp_ge_u32_e32 vcc, v46, v22
	s_and_saveexec_b64 s[0:1], vcc
	s_cbranch_execz .LBB3444_174
.LBB3444_263:
	v_lshlrev_b32_e32 v16, 1, v46
	v_readfirstlane_b32 s2, v4
	v_readfirstlane_b32 s3, v5
	s_waitcnt lgkmcnt(14)
	s_nop 3
	global_store_short v16, v47, s[2:3]
	s_or_b64 exec, exec, s[0:1]
	v_cmp_ge_u32_e32 vcc, v44, v22
	s_and_saveexec_b64 s[0:1], vcc
	s_cbranch_execz .LBB3444_175
.LBB3444_264:
	v_lshlrev_b32_e32 v16, 1, v44
	v_readfirstlane_b32 s2, v4
	v_readfirstlane_b32 s3, v5
	s_waitcnt lgkmcnt(14)
	s_nop 3
	global_store_short v16, v45, s[2:3]
	s_or_b64 exec, exec, s[0:1]
	v_cmp_ge_u32_e32 vcc, v42, v22
	s_and_saveexec_b64 s[0:1], vcc
	s_cbranch_execz .LBB3444_176
.LBB3444_265:
	v_lshlrev_b32_e32 v16, 1, v42
	v_readfirstlane_b32 s2, v4
	v_readfirstlane_b32 s3, v5
	s_waitcnt lgkmcnt(14)
	s_nop 3
	global_store_short v16, v43, s[2:3]
	s_or_b64 exec, exec, s[0:1]
	v_cmp_ge_u32_e32 vcc, v40, v22
	s_and_saveexec_b64 s[0:1], vcc
	s_cbranch_execz .LBB3444_177
.LBB3444_266:
	v_lshlrev_b32_e32 v16, 1, v40
	v_readfirstlane_b32 s2, v4
	v_readfirstlane_b32 s3, v5
	s_waitcnt lgkmcnt(13)
	s_nop 3
	global_store_short v16, v41, s[2:3]
	s_or_b64 exec, exec, s[0:1]
	v_cmp_ge_u32_e32 vcc, v37, v22
	s_and_saveexec_b64 s[0:1], vcc
	s_cbranch_execz .LBB3444_178
.LBB3444_267:
	v_lshlrev_b32_e32 v16, 1, v37
	v_readfirstlane_b32 s2, v4
	v_readfirstlane_b32 s3, v5
	s_waitcnt lgkmcnt(12)
	s_nop 3
	global_store_short v16, v39, s[2:3]
	s_or_b64 exec, exec, s[0:1]
	v_cmp_ge_u32_e32 vcc, v36, v22
	s_and_saveexec_b64 s[0:1], vcc
	s_cbranch_execz .LBB3444_179
.LBB3444_268:
	v_lshlrev_b32_e32 v16, 1, v36
	v_readfirstlane_b32 s2, v4
	v_readfirstlane_b32 s3, v5
	s_waitcnt lgkmcnt(11)
	s_nop 3
	global_store_short v16, v38, s[2:3]
	s_or_b64 exec, exec, s[0:1]
	v_cmp_ge_u32_e32 vcc, v34, v22
	s_and_saveexec_b64 s[0:1], vcc
	s_cbranch_execz .LBB3444_180
.LBB3444_269:
	v_lshlrev_b32_e32 v16, 1, v34
	v_readfirstlane_b32 s2, v4
	v_readfirstlane_b32 s3, v5
	s_waitcnt lgkmcnt(10)
	s_nop 3
	global_store_short v16, v35, s[2:3]
	s_or_b64 exec, exec, s[0:1]
	v_cmp_ge_u32_e32 vcc, v32, v22
	s_and_saveexec_b64 s[0:1], vcc
	s_cbranch_execz .LBB3444_181
.LBB3444_270:
	v_lshlrev_b32_e32 v16, 1, v32
	v_readfirstlane_b32 s2, v4
	v_readfirstlane_b32 s3, v5
	s_waitcnt lgkmcnt(9)
	s_nop 3
	global_store_short v16, v33, s[2:3]
	s_or_b64 exec, exec, s[0:1]
	v_cmp_ge_u32_e32 vcc, v28, v22
	s_and_saveexec_b64 s[0:1], vcc
	s_cbranch_execz .LBB3444_182
.LBB3444_271:
	v_lshlrev_b32_e32 v16, 1, v28
	v_readfirstlane_b32 s2, v4
	v_readfirstlane_b32 s3, v5
	s_waitcnt lgkmcnt(8)
	s_nop 3
	global_store_short v16, v29, s[2:3]
	s_or_b64 exec, exec, s[0:1]
	v_cmp_ge_u32_e32 vcc, v26, v22
	s_and_saveexec_b64 s[0:1], vcc
	s_cbranch_execz .LBB3444_183
.LBB3444_272:
	v_lshlrev_b32_e32 v16, 1, v26
	v_readfirstlane_b32 s2, v4
	v_readfirstlane_b32 s3, v5
	s_waitcnt lgkmcnt(7)
	s_nop 3
	global_store_short v16, v27, s[2:3]
	s_or_b64 exec, exec, s[0:1]
	v_cmp_ge_u32_e32 vcc, v24, v22
	s_and_saveexec_b64 s[0:1], vcc
	s_cbranch_execz .LBB3444_184
.LBB3444_273:
	v_lshlrev_b32_e32 v16, 1, v24
	v_readfirstlane_b32 s2, v4
	v_readfirstlane_b32 s3, v5
	s_waitcnt lgkmcnt(6)
	s_nop 3
	global_store_short v16, v25, s[2:3]
	s_or_b64 exec, exec, s[0:1]
	v_cmp_ge_u32_e32 vcc, v20, v22
	s_and_saveexec_b64 s[0:1], vcc
	s_cbranch_execz .LBB3444_185
.LBB3444_274:
	v_lshlrev_b32_e32 v16, 1, v20
	v_readfirstlane_b32 s2, v4
	v_readfirstlane_b32 s3, v5
	s_waitcnt lgkmcnt(5)
	s_nop 3
	global_store_short v16, v21, s[2:3]
	s_or_b64 exec, exec, s[0:1]
	v_cmp_ge_u32_e32 vcc, v13, v22
	s_and_saveexec_b64 s[0:1], vcc
	s_cbranch_execz .LBB3444_186
.LBB3444_275:
	v_lshlrev_b32_e32 v16, 1, v13
	v_readfirstlane_b32 s2, v4
	v_readfirstlane_b32 s3, v5
	s_waitcnt lgkmcnt(4)
	s_nop 3
	global_store_short v16, v15, s[2:3]
	s_or_b64 exec, exec, s[0:1]
	v_cmp_ge_u32_e32 vcc, v11, v22
	s_and_saveexec_b64 s[0:1], vcc
	s_cbranch_execz .LBB3444_187
.LBB3444_276:
	v_lshlrev_b32_e32 v16, 1, v11
	v_readfirstlane_b32 s2, v4
	v_readfirstlane_b32 s3, v5
	s_waitcnt lgkmcnt(3)
	s_nop 3
	global_store_short v16, v12, s[2:3]
	s_or_b64 exec, exec, s[0:1]
	v_cmp_ge_u32_e32 vcc, v9, v22
	s_and_saveexec_b64 s[0:1], vcc
	s_cbranch_execz .LBB3444_188
.LBB3444_277:
	v_lshlrev_b32_e32 v16, 1, v9
	v_readfirstlane_b32 s2, v4
	v_readfirstlane_b32 s3, v5
	s_waitcnt lgkmcnt(2)
	s_nop 3
	global_store_short v16, v10, s[2:3]
	s_or_b64 exec, exec, s[0:1]
	v_cmp_ge_u32_e32 vcc, v8, v22
	s_and_saveexec_b64 s[0:1], vcc
	s_cbranch_execnz .LBB3444_189
	s_branch .LBB3444_190
	.section	.rodata,"a",@progbits
	.p2align	6, 0x0
	.amdhsa_kernel _ZN7rocprim17ROCPRIM_400000_NS6detail17trampoline_kernelINS0_14default_configENS1_25partition_config_selectorILNS1_17partition_subalgoE1EsNS0_10empty_typeEbEEZZNS1_14partition_implILS5_1ELb0ES3_jN6thrust23THRUST_200600_302600_NS6detail15normal_iteratorINSA_10device_ptrIsEEEEPS6_NSA_18transform_iteratorI7is_evenIsESF_NSA_11use_defaultESK_EENS0_5tupleIJNSA_16discard_iteratorISK_EESF_EEENSM_IJSG_SG_EEES6_PlJS6_EEE10hipError_tPvRmT3_T4_T5_T6_T7_T9_mT8_P12ihipStream_tbDpT10_ENKUlT_T0_E_clISt17integral_constantIbLb0EES1A_IbLb1EEEEDaS16_S17_EUlS16_E_NS1_11comp_targetILNS1_3genE5ELNS1_11target_archE942ELNS1_3gpuE9ELNS1_3repE0EEENS1_30default_config_static_selectorELNS0_4arch9wavefront6targetE1EEEvT1_
		.amdhsa_group_segment_fixed_size 28680
		.amdhsa_private_segment_fixed_size 0
		.amdhsa_kernarg_size 152
		.amdhsa_user_sgpr_count 2
		.amdhsa_user_sgpr_dispatch_ptr 0
		.amdhsa_user_sgpr_queue_ptr 0
		.amdhsa_user_sgpr_kernarg_segment_ptr 1
		.amdhsa_user_sgpr_dispatch_id 0
		.amdhsa_user_sgpr_kernarg_preload_length 0
		.amdhsa_user_sgpr_kernarg_preload_offset 0
		.amdhsa_user_sgpr_private_segment_size 0
		.amdhsa_uses_dynamic_stack 0
		.amdhsa_enable_private_segment 0
		.amdhsa_system_sgpr_workgroup_id_x 1
		.amdhsa_system_sgpr_workgroup_id_y 0
		.amdhsa_system_sgpr_workgroup_id_z 0
		.amdhsa_system_sgpr_workgroup_info 0
		.amdhsa_system_vgpr_workitem_id 0
		.amdhsa_next_free_vgpr 83
		.amdhsa_next_free_sgpr 42
		.amdhsa_accum_offset 84
		.amdhsa_reserve_vcc 1
		.amdhsa_float_round_mode_32 0
		.amdhsa_float_round_mode_16_64 0
		.amdhsa_float_denorm_mode_32 3
		.amdhsa_float_denorm_mode_16_64 3
		.amdhsa_dx10_clamp 1
		.amdhsa_ieee_mode 1
		.amdhsa_fp16_overflow 0
		.amdhsa_tg_split 0
		.amdhsa_exception_fp_ieee_invalid_op 0
		.amdhsa_exception_fp_denorm_src 0
		.amdhsa_exception_fp_ieee_div_zero 0
		.amdhsa_exception_fp_ieee_overflow 0
		.amdhsa_exception_fp_ieee_underflow 0
		.amdhsa_exception_fp_ieee_inexact 0
		.amdhsa_exception_int_div_zero 0
	.end_amdhsa_kernel
	.section	.text._ZN7rocprim17ROCPRIM_400000_NS6detail17trampoline_kernelINS0_14default_configENS1_25partition_config_selectorILNS1_17partition_subalgoE1EsNS0_10empty_typeEbEEZZNS1_14partition_implILS5_1ELb0ES3_jN6thrust23THRUST_200600_302600_NS6detail15normal_iteratorINSA_10device_ptrIsEEEEPS6_NSA_18transform_iteratorI7is_evenIsESF_NSA_11use_defaultESK_EENS0_5tupleIJNSA_16discard_iteratorISK_EESF_EEENSM_IJSG_SG_EEES6_PlJS6_EEE10hipError_tPvRmT3_T4_T5_T6_T7_T9_mT8_P12ihipStream_tbDpT10_ENKUlT_T0_E_clISt17integral_constantIbLb0EES1A_IbLb1EEEEDaS16_S17_EUlS16_E_NS1_11comp_targetILNS1_3genE5ELNS1_11target_archE942ELNS1_3gpuE9ELNS1_3repE0EEENS1_30default_config_static_selectorELNS0_4arch9wavefront6targetE1EEEvT1_,"axG",@progbits,_ZN7rocprim17ROCPRIM_400000_NS6detail17trampoline_kernelINS0_14default_configENS1_25partition_config_selectorILNS1_17partition_subalgoE1EsNS0_10empty_typeEbEEZZNS1_14partition_implILS5_1ELb0ES3_jN6thrust23THRUST_200600_302600_NS6detail15normal_iteratorINSA_10device_ptrIsEEEEPS6_NSA_18transform_iteratorI7is_evenIsESF_NSA_11use_defaultESK_EENS0_5tupleIJNSA_16discard_iteratorISK_EESF_EEENSM_IJSG_SG_EEES6_PlJS6_EEE10hipError_tPvRmT3_T4_T5_T6_T7_T9_mT8_P12ihipStream_tbDpT10_ENKUlT_T0_E_clISt17integral_constantIbLb0EES1A_IbLb1EEEEDaS16_S17_EUlS16_E_NS1_11comp_targetILNS1_3genE5ELNS1_11target_archE942ELNS1_3gpuE9ELNS1_3repE0EEENS1_30default_config_static_selectorELNS0_4arch9wavefront6targetE1EEEvT1_,comdat
.Lfunc_end3444:
	.size	_ZN7rocprim17ROCPRIM_400000_NS6detail17trampoline_kernelINS0_14default_configENS1_25partition_config_selectorILNS1_17partition_subalgoE1EsNS0_10empty_typeEbEEZZNS1_14partition_implILS5_1ELb0ES3_jN6thrust23THRUST_200600_302600_NS6detail15normal_iteratorINSA_10device_ptrIsEEEEPS6_NSA_18transform_iteratorI7is_evenIsESF_NSA_11use_defaultESK_EENS0_5tupleIJNSA_16discard_iteratorISK_EESF_EEENSM_IJSG_SG_EEES6_PlJS6_EEE10hipError_tPvRmT3_T4_T5_T6_T7_T9_mT8_P12ihipStream_tbDpT10_ENKUlT_T0_E_clISt17integral_constantIbLb0EES1A_IbLb1EEEEDaS16_S17_EUlS16_E_NS1_11comp_targetILNS1_3genE5ELNS1_11target_archE942ELNS1_3gpuE9ELNS1_3repE0EEENS1_30default_config_static_selectorELNS0_4arch9wavefront6targetE1EEEvT1_, .Lfunc_end3444-_ZN7rocprim17ROCPRIM_400000_NS6detail17trampoline_kernelINS0_14default_configENS1_25partition_config_selectorILNS1_17partition_subalgoE1EsNS0_10empty_typeEbEEZZNS1_14partition_implILS5_1ELb0ES3_jN6thrust23THRUST_200600_302600_NS6detail15normal_iteratorINSA_10device_ptrIsEEEEPS6_NSA_18transform_iteratorI7is_evenIsESF_NSA_11use_defaultESK_EENS0_5tupleIJNSA_16discard_iteratorISK_EESF_EEENSM_IJSG_SG_EEES6_PlJS6_EEE10hipError_tPvRmT3_T4_T5_T6_T7_T9_mT8_P12ihipStream_tbDpT10_ENKUlT_T0_E_clISt17integral_constantIbLb0EES1A_IbLb1EEEEDaS16_S17_EUlS16_E_NS1_11comp_targetILNS1_3genE5ELNS1_11target_archE942ELNS1_3gpuE9ELNS1_3repE0EEENS1_30default_config_static_selectorELNS0_4arch9wavefront6targetE1EEEvT1_
                                        ; -- End function
	.section	.AMDGPU.csdata,"",@progbits
; Kernel info:
; codeLenInByte = 12708
; NumSgprs: 48
; NumVgprs: 83
; NumAgprs: 0
; TotalNumVgprs: 83
; ScratchSize: 0
; MemoryBound: 0
; FloatMode: 240
; IeeeMode: 1
; LDSByteSize: 28680 bytes/workgroup (compile time only)
; SGPRBlocks: 5
; VGPRBlocks: 10
; NumSGPRsForWavesPerEU: 48
; NumVGPRsForWavesPerEU: 83
; AccumOffset: 84
; Occupancy: 4
; WaveLimiterHint : 1
; COMPUTE_PGM_RSRC2:SCRATCH_EN: 0
; COMPUTE_PGM_RSRC2:USER_SGPR: 2
; COMPUTE_PGM_RSRC2:TRAP_HANDLER: 0
; COMPUTE_PGM_RSRC2:TGID_X_EN: 1
; COMPUTE_PGM_RSRC2:TGID_Y_EN: 0
; COMPUTE_PGM_RSRC2:TGID_Z_EN: 0
; COMPUTE_PGM_RSRC2:TIDIG_COMP_CNT: 0
; COMPUTE_PGM_RSRC3_GFX90A:ACCUM_OFFSET: 20
; COMPUTE_PGM_RSRC3_GFX90A:TG_SPLIT: 0
	.section	.text._ZN7rocprim17ROCPRIM_400000_NS6detail17trampoline_kernelINS0_14default_configENS1_25partition_config_selectorILNS1_17partition_subalgoE1EsNS0_10empty_typeEbEEZZNS1_14partition_implILS5_1ELb0ES3_jN6thrust23THRUST_200600_302600_NS6detail15normal_iteratorINSA_10device_ptrIsEEEEPS6_NSA_18transform_iteratorI7is_evenIsESF_NSA_11use_defaultESK_EENS0_5tupleIJNSA_16discard_iteratorISK_EESF_EEENSM_IJSG_SG_EEES6_PlJS6_EEE10hipError_tPvRmT3_T4_T5_T6_T7_T9_mT8_P12ihipStream_tbDpT10_ENKUlT_T0_E_clISt17integral_constantIbLb0EES1A_IbLb1EEEEDaS16_S17_EUlS16_E_NS1_11comp_targetILNS1_3genE4ELNS1_11target_archE910ELNS1_3gpuE8ELNS1_3repE0EEENS1_30default_config_static_selectorELNS0_4arch9wavefront6targetE1EEEvT1_,"axG",@progbits,_ZN7rocprim17ROCPRIM_400000_NS6detail17trampoline_kernelINS0_14default_configENS1_25partition_config_selectorILNS1_17partition_subalgoE1EsNS0_10empty_typeEbEEZZNS1_14partition_implILS5_1ELb0ES3_jN6thrust23THRUST_200600_302600_NS6detail15normal_iteratorINSA_10device_ptrIsEEEEPS6_NSA_18transform_iteratorI7is_evenIsESF_NSA_11use_defaultESK_EENS0_5tupleIJNSA_16discard_iteratorISK_EESF_EEENSM_IJSG_SG_EEES6_PlJS6_EEE10hipError_tPvRmT3_T4_T5_T6_T7_T9_mT8_P12ihipStream_tbDpT10_ENKUlT_T0_E_clISt17integral_constantIbLb0EES1A_IbLb1EEEEDaS16_S17_EUlS16_E_NS1_11comp_targetILNS1_3genE4ELNS1_11target_archE910ELNS1_3gpuE8ELNS1_3repE0EEENS1_30default_config_static_selectorELNS0_4arch9wavefront6targetE1EEEvT1_,comdat
	.protected	_ZN7rocprim17ROCPRIM_400000_NS6detail17trampoline_kernelINS0_14default_configENS1_25partition_config_selectorILNS1_17partition_subalgoE1EsNS0_10empty_typeEbEEZZNS1_14partition_implILS5_1ELb0ES3_jN6thrust23THRUST_200600_302600_NS6detail15normal_iteratorINSA_10device_ptrIsEEEEPS6_NSA_18transform_iteratorI7is_evenIsESF_NSA_11use_defaultESK_EENS0_5tupleIJNSA_16discard_iteratorISK_EESF_EEENSM_IJSG_SG_EEES6_PlJS6_EEE10hipError_tPvRmT3_T4_T5_T6_T7_T9_mT8_P12ihipStream_tbDpT10_ENKUlT_T0_E_clISt17integral_constantIbLb0EES1A_IbLb1EEEEDaS16_S17_EUlS16_E_NS1_11comp_targetILNS1_3genE4ELNS1_11target_archE910ELNS1_3gpuE8ELNS1_3repE0EEENS1_30default_config_static_selectorELNS0_4arch9wavefront6targetE1EEEvT1_ ; -- Begin function _ZN7rocprim17ROCPRIM_400000_NS6detail17trampoline_kernelINS0_14default_configENS1_25partition_config_selectorILNS1_17partition_subalgoE1EsNS0_10empty_typeEbEEZZNS1_14partition_implILS5_1ELb0ES3_jN6thrust23THRUST_200600_302600_NS6detail15normal_iteratorINSA_10device_ptrIsEEEEPS6_NSA_18transform_iteratorI7is_evenIsESF_NSA_11use_defaultESK_EENS0_5tupleIJNSA_16discard_iteratorISK_EESF_EEENSM_IJSG_SG_EEES6_PlJS6_EEE10hipError_tPvRmT3_T4_T5_T6_T7_T9_mT8_P12ihipStream_tbDpT10_ENKUlT_T0_E_clISt17integral_constantIbLb0EES1A_IbLb1EEEEDaS16_S17_EUlS16_E_NS1_11comp_targetILNS1_3genE4ELNS1_11target_archE910ELNS1_3gpuE8ELNS1_3repE0EEENS1_30default_config_static_selectorELNS0_4arch9wavefront6targetE1EEEvT1_
	.globl	_ZN7rocprim17ROCPRIM_400000_NS6detail17trampoline_kernelINS0_14default_configENS1_25partition_config_selectorILNS1_17partition_subalgoE1EsNS0_10empty_typeEbEEZZNS1_14partition_implILS5_1ELb0ES3_jN6thrust23THRUST_200600_302600_NS6detail15normal_iteratorINSA_10device_ptrIsEEEEPS6_NSA_18transform_iteratorI7is_evenIsESF_NSA_11use_defaultESK_EENS0_5tupleIJNSA_16discard_iteratorISK_EESF_EEENSM_IJSG_SG_EEES6_PlJS6_EEE10hipError_tPvRmT3_T4_T5_T6_T7_T9_mT8_P12ihipStream_tbDpT10_ENKUlT_T0_E_clISt17integral_constantIbLb0EES1A_IbLb1EEEEDaS16_S17_EUlS16_E_NS1_11comp_targetILNS1_3genE4ELNS1_11target_archE910ELNS1_3gpuE8ELNS1_3repE0EEENS1_30default_config_static_selectorELNS0_4arch9wavefront6targetE1EEEvT1_
	.p2align	8
	.type	_ZN7rocprim17ROCPRIM_400000_NS6detail17trampoline_kernelINS0_14default_configENS1_25partition_config_selectorILNS1_17partition_subalgoE1EsNS0_10empty_typeEbEEZZNS1_14partition_implILS5_1ELb0ES3_jN6thrust23THRUST_200600_302600_NS6detail15normal_iteratorINSA_10device_ptrIsEEEEPS6_NSA_18transform_iteratorI7is_evenIsESF_NSA_11use_defaultESK_EENS0_5tupleIJNSA_16discard_iteratorISK_EESF_EEENSM_IJSG_SG_EEES6_PlJS6_EEE10hipError_tPvRmT3_T4_T5_T6_T7_T9_mT8_P12ihipStream_tbDpT10_ENKUlT_T0_E_clISt17integral_constantIbLb0EES1A_IbLb1EEEEDaS16_S17_EUlS16_E_NS1_11comp_targetILNS1_3genE4ELNS1_11target_archE910ELNS1_3gpuE8ELNS1_3repE0EEENS1_30default_config_static_selectorELNS0_4arch9wavefront6targetE1EEEvT1_,@function
_ZN7rocprim17ROCPRIM_400000_NS6detail17trampoline_kernelINS0_14default_configENS1_25partition_config_selectorILNS1_17partition_subalgoE1EsNS0_10empty_typeEbEEZZNS1_14partition_implILS5_1ELb0ES3_jN6thrust23THRUST_200600_302600_NS6detail15normal_iteratorINSA_10device_ptrIsEEEEPS6_NSA_18transform_iteratorI7is_evenIsESF_NSA_11use_defaultESK_EENS0_5tupleIJNSA_16discard_iteratorISK_EESF_EEENSM_IJSG_SG_EEES6_PlJS6_EEE10hipError_tPvRmT3_T4_T5_T6_T7_T9_mT8_P12ihipStream_tbDpT10_ENKUlT_T0_E_clISt17integral_constantIbLb0EES1A_IbLb1EEEEDaS16_S17_EUlS16_E_NS1_11comp_targetILNS1_3genE4ELNS1_11target_archE910ELNS1_3gpuE8ELNS1_3repE0EEENS1_30default_config_static_selectorELNS0_4arch9wavefront6targetE1EEEvT1_: ; @_ZN7rocprim17ROCPRIM_400000_NS6detail17trampoline_kernelINS0_14default_configENS1_25partition_config_selectorILNS1_17partition_subalgoE1EsNS0_10empty_typeEbEEZZNS1_14partition_implILS5_1ELb0ES3_jN6thrust23THRUST_200600_302600_NS6detail15normal_iteratorINSA_10device_ptrIsEEEEPS6_NSA_18transform_iteratorI7is_evenIsESF_NSA_11use_defaultESK_EENS0_5tupleIJNSA_16discard_iteratorISK_EESF_EEENSM_IJSG_SG_EEES6_PlJS6_EEE10hipError_tPvRmT3_T4_T5_T6_T7_T9_mT8_P12ihipStream_tbDpT10_ENKUlT_T0_E_clISt17integral_constantIbLb0EES1A_IbLb1EEEEDaS16_S17_EUlS16_E_NS1_11comp_targetILNS1_3genE4ELNS1_11target_archE910ELNS1_3gpuE8ELNS1_3repE0EEENS1_30default_config_static_selectorELNS0_4arch9wavefront6targetE1EEEvT1_
; %bb.0:
	.section	.rodata,"a",@progbits
	.p2align	6, 0x0
	.amdhsa_kernel _ZN7rocprim17ROCPRIM_400000_NS6detail17trampoline_kernelINS0_14default_configENS1_25partition_config_selectorILNS1_17partition_subalgoE1EsNS0_10empty_typeEbEEZZNS1_14partition_implILS5_1ELb0ES3_jN6thrust23THRUST_200600_302600_NS6detail15normal_iteratorINSA_10device_ptrIsEEEEPS6_NSA_18transform_iteratorI7is_evenIsESF_NSA_11use_defaultESK_EENS0_5tupleIJNSA_16discard_iteratorISK_EESF_EEENSM_IJSG_SG_EEES6_PlJS6_EEE10hipError_tPvRmT3_T4_T5_T6_T7_T9_mT8_P12ihipStream_tbDpT10_ENKUlT_T0_E_clISt17integral_constantIbLb0EES1A_IbLb1EEEEDaS16_S17_EUlS16_E_NS1_11comp_targetILNS1_3genE4ELNS1_11target_archE910ELNS1_3gpuE8ELNS1_3repE0EEENS1_30default_config_static_selectorELNS0_4arch9wavefront6targetE1EEEvT1_
		.amdhsa_group_segment_fixed_size 0
		.amdhsa_private_segment_fixed_size 0
		.amdhsa_kernarg_size 152
		.amdhsa_user_sgpr_count 2
		.amdhsa_user_sgpr_dispatch_ptr 0
		.amdhsa_user_sgpr_queue_ptr 0
		.amdhsa_user_sgpr_kernarg_segment_ptr 1
		.amdhsa_user_sgpr_dispatch_id 0
		.amdhsa_user_sgpr_kernarg_preload_length 0
		.amdhsa_user_sgpr_kernarg_preload_offset 0
		.amdhsa_user_sgpr_private_segment_size 0
		.amdhsa_uses_dynamic_stack 0
		.amdhsa_enable_private_segment 0
		.amdhsa_system_sgpr_workgroup_id_x 1
		.amdhsa_system_sgpr_workgroup_id_y 0
		.amdhsa_system_sgpr_workgroup_id_z 0
		.amdhsa_system_sgpr_workgroup_info 0
		.amdhsa_system_vgpr_workitem_id 0
		.amdhsa_next_free_vgpr 1
		.amdhsa_next_free_sgpr 0
		.amdhsa_accum_offset 4
		.amdhsa_reserve_vcc 0
		.amdhsa_float_round_mode_32 0
		.amdhsa_float_round_mode_16_64 0
		.amdhsa_float_denorm_mode_32 3
		.amdhsa_float_denorm_mode_16_64 3
		.amdhsa_dx10_clamp 1
		.amdhsa_ieee_mode 1
		.amdhsa_fp16_overflow 0
		.amdhsa_tg_split 0
		.amdhsa_exception_fp_ieee_invalid_op 0
		.amdhsa_exception_fp_denorm_src 0
		.amdhsa_exception_fp_ieee_div_zero 0
		.amdhsa_exception_fp_ieee_overflow 0
		.amdhsa_exception_fp_ieee_underflow 0
		.amdhsa_exception_fp_ieee_inexact 0
		.amdhsa_exception_int_div_zero 0
	.end_amdhsa_kernel
	.section	.text._ZN7rocprim17ROCPRIM_400000_NS6detail17trampoline_kernelINS0_14default_configENS1_25partition_config_selectorILNS1_17partition_subalgoE1EsNS0_10empty_typeEbEEZZNS1_14partition_implILS5_1ELb0ES3_jN6thrust23THRUST_200600_302600_NS6detail15normal_iteratorINSA_10device_ptrIsEEEEPS6_NSA_18transform_iteratorI7is_evenIsESF_NSA_11use_defaultESK_EENS0_5tupleIJNSA_16discard_iteratorISK_EESF_EEENSM_IJSG_SG_EEES6_PlJS6_EEE10hipError_tPvRmT3_T4_T5_T6_T7_T9_mT8_P12ihipStream_tbDpT10_ENKUlT_T0_E_clISt17integral_constantIbLb0EES1A_IbLb1EEEEDaS16_S17_EUlS16_E_NS1_11comp_targetILNS1_3genE4ELNS1_11target_archE910ELNS1_3gpuE8ELNS1_3repE0EEENS1_30default_config_static_selectorELNS0_4arch9wavefront6targetE1EEEvT1_,"axG",@progbits,_ZN7rocprim17ROCPRIM_400000_NS6detail17trampoline_kernelINS0_14default_configENS1_25partition_config_selectorILNS1_17partition_subalgoE1EsNS0_10empty_typeEbEEZZNS1_14partition_implILS5_1ELb0ES3_jN6thrust23THRUST_200600_302600_NS6detail15normal_iteratorINSA_10device_ptrIsEEEEPS6_NSA_18transform_iteratorI7is_evenIsESF_NSA_11use_defaultESK_EENS0_5tupleIJNSA_16discard_iteratorISK_EESF_EEENSM_IJSG_SG_EEES6_PlJS6_EEE10hipError_tPvRmT3_T4_T5_T6_T7_T9_mT8_P12ihipStream_tbDpT10_ENKUlT_T0_E_clISt17integral_constantIbLb0EES1A_IbLb1EEEEDaS16_S17_EUlS16_E_NS1_11comp_targetILNS1_3genE4ELNS1_11target_archE910ELNS1_3gpuE8ELNS1_3repE0EEENS1_30default_config_static_selectorELNS0_4arch9wavefront6targetE1EEEvT1_,comdat
.Lfunc_end3445:
	.size	_ZN7rocprim17ROCPRIM_400000_NS6detail17trampoline_kernelINS0_14default_configENS1_25partition_config_selectorILNS1_17partition_subalgoE1EsNS0_10empty_typeEbEEZZNS1_14partition_implILS5_1ELb0ES3_jN6thrust23THRUST_200600_302600_NS6detail15normal_iteratorINSA_10device_ptrIsEEEEPS6_NSA_18transform_iteratorI7is_evenIsESF_NSA_11use_defaultESK_EENS0_5tupleIJNSA_16discard_iteratorISK_EESF_EEENSM_IJSG_SG_EEES6_PlJS6_EEE10hipError_tPvRmT3_T4_T5_T6_T7_T9_mT8_P12ihipStream_tbDpT10_ENKUlT_T0_E_clISt17integral_constantIbLb0EES1A_IbLb1EEEEDaS16_S17_EUlS16_E_NS1_11comp_targetILNS1_3genE4ELNS1_11target_archE910ELNS1_3gpuE8ELNS1_3repE0EEENS1_30default_config_static_selectorELNS0_4arch9wavefront6targetE1EEEvT1_, .Lfunc_end3445-_ZN7rocprim17ROCPRIM_400000_NS6detail17trampoline_kernelINS0_14default_configENS1_25partition_config_selectorILNS1_17partition_subalgoE1EsNS0_10empty_typeEbEEZZNS1_14partition_implILS5_1ELb0ES3_jN6thrust23THRUST_200600_302600_NS6detail15normal_iteratorINSA_10device_ptrIsEEEEPS6_NSA_18transform_iteratorI7is_evenIsESF_NSA_11use_defaultESK_EENS0_5tupleIJNSA_16discard_iteratorISK_EESF_EEENSM_IJSG_SG_EEES6_PlJS6_EEE10hipError_tPvRmT3_T4_T5_T6_T7_T9_mT8_P12ihipStream_tbDpT10_ENKUlT_T0_E_clISt17integral_constantIbLb0EES1A_IbLb1EEEEDaS16_S17_EUlS16_E_NS1_11comp_targetILNS1_3genE4ELNS1_11target_archE910ELNS1_3gpuE8ELNS1_3repE0EEENS1_30default_config_static_selectorELNS0_4arch9wavefront6targetE1EEEvT1_
                                        ; -- End function
	.section	.AMDGPU.csdata,"",@progbits
; Kernel info:
; codeLenInByte = 0
; NumSgprs: 6
; NumVgprs: 0
; NumAgprs: 0
; TotalNumVgprs: 0
; ScratchSize: 0
; MemoryBound: 0
; FloatMode: 240
; IeeeMode: 1
; LDSByteSize: 0 bytes/workgroup (compile time only)
; SGPRBlocks: 0
; VGPRBlocks: 0
; NumSGPRsForWavesPerEU: 6
; NumVGPRsForWavesPerEU: 1
; AccumOffset: 4
; Occupancy: 8
; WaveLimiterHint : 0
; COMPUTE_PGM_RSRC2:SCRATCH_EN: 0
; COMPUTE_PGM_RSRC2:USER_SGPR: 2
; COMPUTE_PGM_RSRC2:TRAP_HANDLER: 0
; COMPUTE_PGM_RSRC2:TGID_X_EN: 1
; COMPUTE_PGM_RSRC2:TGID_Y_EN: 0
; COMPUTE_PGM_RSRC2:TGID_Z_EN: 0
; COMPUTE_PGM_RSRC2:TIDIG_COMP_CNT: 0
; COMPUTE_PGM_RSRC3_GFX90A:ACCUM_OFFSET: 0
; COMPUTE_PGM_RSRC3_GFX90A:TG_SPLIT: 0
	.section	.text._ZN7rocprim17ROCPRIM_400000_NS6detail17trampoline_kernelINS0_14default_configENS1_25partition_config_selectorILNS1_17partition_subalgoE1EsNS0_10empty_typeEbEEZZNS1_14partition_implILS5_1ELb0ES3_jN6thrust23THRUST_200600_302600_NS6detail15normal_iteratorINSA_10device_ptrIsEEEEPS6_NSA_18transform_iteratorI7is_evenIsESF_NSA_11use_defaultESK_EENS0_5tupleIJNSA_16discard_iteratorISK_EESF_EEENSM_IJSG_SG_EEES6_PlJS6_EEE10hipError_tPvRmT3_T4_T5_T6_T7_T9_mT8_P12ihipStream_tbDpT10_ENKUlT_T0_E_clISt17integral_constantIbLb0EES1A_IbLb1EEEEDaS16_S17_EUlS16_E_NS1_11comp_targetILNS1_3genE3ELNS1_11target_archE908ELNS1_3gpuE7ELNS1_3repE0EEENS1_30default_config_static_selectorELNS0_4arch9wavefront6targetE1EEEvT1_,"axG",@progbits,_ZN7rocprim17ROCPRIM_400000_NS6detail17trampoline_kernelINS0_14default_configENS1_25partition_config_selectorILNS1_17partition_subalgoE1EsNS0_10empty_typeEbEEZZNS1_14partition_implILS5_1ELb0ES3_jN6thrust23THRUST_200600_302600_NS6detail15normal_iteratorINSA_10device_ptrIsEEEEPS6_NSA_18transform_iteratorI7is_evenIsESF_NSA_11use_defaultESK_EENS0_5tupleIJNSA_16discard_iteratorISK_EESF_EEENSM_IJSG_SG_EEES6_PlJS6_EEE10hipError_tPvRmT3_T4_T5_T6_T7_T9_mT8_P12ihipStream_tbDpT10_ENKUlT_T0_E_clISt17integral_constantIbLb0EES1A_IbLb1EEEEDaS16_S17_EUlS16_E_NS1_11comp_targetILNS1_3genE3ELNS1_11target_archE908ELNS1_3gpuE7ELNS1_3repE0EEENS1_30default_config_static_selectorELNS0_4arch9wavefront6targetE1EEEvT1_,comdat
	.protected	_ZN7rocprim17ROCPRIM_400000_NS6detail17trampoline_kernelINS0_14default_configENS1_25partition_config_selectorILNS1_17partition_subalgoE1EsNS0_10empty_typeEbEEZZNS1_14partition_implILS5_1ELb0ES3_jN6thrust23THRUST_200600_302600_NS6detail15normal_iteratorINSA_10device_ptrIsEEEEPS6_NSA_18transform_iteratorI7is_evenIsESF_NSA_11use_defaultESK_EENS0_5tupleIJNSA_16discard_iteratorISK_EESF_EEENSM_IJSG_SG_EEES6_PlJS6_EEE10hipError_tPvRmT3_T4_T5_T6_T7_T9_mT8_P12ihipStream_tbDpT10_ENKUlT_T0_E_clISt17integral_constantIbLb0EES1A_IbLb1EEEEDaS16_S17_EUlS16_E_NS1_11comp_targetILNS1_3genE3ELNS1_11target_archE908ELNS1_3gpuE7ELNS1_3repE0EEENS1_30default_config_static_selectorELNS0_4arch9wavefront6targetE1EEEvT1_ ; -- Begin function _ZN7rocprim17ROCPRIM_400000_NS6detail17trampoline_kernelINS0_14default_configENS1_25partition_config_selectorILNS1_17partition_subalgoE1EsNS0_10empty_typeEbEEZZNS1_14partition_implILS5_1ELb0ES3_jN6thrust23THRUST_200600_302600_NS6detail15normal_iteratorINSA_10device_ptrIsEEEEPS6_NSA_18transform_iteratorI7is_evenIsESF_NSA_11use_defaultESK_EENS0_5tupleIJNSA_16discard_iteratorISK_EESF_EEENSM_IJSG_SG_EEES6_PlJS6_EEE10hipError_tPvRmT3_T4_T5_T6_T7_T9_mT8_P12ihipStream_tbDpT10_ENKUlT_T0_E_clISt17integral_constantIbLb0EES1A_IbLb1EEEEDaS16_S17_EUlS16_E_NS1_11comp_targetILNS1_3genE3ELNS1_11target_archE908ELNS1_3gpuE7ELNS1_3repE0EEENS1_30default_config_static_selectorELNS0_4arch9wavefront6targetE1EEEvT1_
	.globl	_ZN7rocprim17ROCPRIM_400000_NS6detail17trampoline_kernelINS0_14default_configENS1_25partition_config_selectorILNS1_17partition_subalgoE1EsNS0_10empty_typeEbEEZZNS1_14partition_implILS5_1ELb0ES3_jN6thrust23THRUST_200600_302600_NS6detail15normal_iteratorINSA_10device_ptrIsEEEEPS6_NSA_18transform_iteratorI7is_evenIsESF_NSA_11use_defaultESK_EENS0_5tupleIJNSA_16discard_iteratorISK_EESF_EEENSM_IJSG_SG_EEES6_PlJS6_EEE10hipError_tPvRmT3_T4_T5_T6_T7_T9_mT8_P12ihipStream_tbDpT10_ENKUlT_T0_E_clISt17integral_constantIbLb0EES1A_IbLb1EEEEDaS16_S17_EUlS16_E_NS1_11comp_targetILNS1_3genE3ELNS1_11target_archE908ELNS1_3gpuE7ELNS1_3repE0EEENS1_30default_config_static_selectorELNS0_4arch9wavefront6targetE1EEEvT1_
	.p2align	8
	.type	_ZN7rocprim17ROCPRIM_400000_NS6detail17trampoline_kernelINS0_14default_configENS1_25partition_config_selectorILNS1_17partition_subalgoE1EsNS0_10empty_typeEbEEZZNS1_14partition_implILS5_1ELb0ES3_jN6thrust23THRUST_200600_302600_NS6detail15normal_iteratorINSA_10device_ptrIsEEEEPS6_NSA_18transform_iteratorI7is_evenIsESF_NSA_11use_defaultESK_EENS0_5tupleIJNSA_16discard_iteratorISK_EESF_EEENSM_IJSG_SG_EEES6_PlJS6_EEE10hipError_tPvRmT3_T4_T5_T6_T7_T9_mT8_P12ihipStream_tbDpT10_ENKUlT_T0_E_clISt17integral_constantIbLb0EES1A_IbLb1EEEEDaS16_S17_EUlS16_E_NS1_11comp_targetILNS1_3genE3ELNS1_11target_archE908ELNS1_3gpuE7ELNS1_3repE0EEENS1_30default_config_static_selectorELNS0_4arch9wavefront6targetE1EEEvT1_,@function
_ZN7rocprim17ROCPRIM_400000_NS6detail17trampoline_kernelINS0_14default_configENS1_25partition_config_selectorILNS1_17partition_subalgoE1EsNS0_10empty_typeEbEEZZNS1_14partition_implILS5_1ELb0ES3_jN6thrust23THRUST_200600_302600_NS6detail15normal_iteratorINSA_10device_ptrIsEEEEPS6_NSA_18transform_iteratorI7is_evenIsESF_NSA_11use_defaultESK_EENS0_5tupleIJNSA_16discard_iteratorISK_EESF_EEENSM_IJSG_SG_EEES6_PlJS6_EEE10hipError_tPvRmT3_T4_T5_T6_T7_T9_mT8_P12ihipStream_tbDpT10_ENKUlT_T0_E_clISt17integral_constantIbLb0EES1A_IbLb1EEEEDaS16_S17_EUlS16_E_NS1_11comp_targetILNS1_3genE3ELNS1_11target_archE908ELNS1_3gpuE7ELNS1_3repE0EEENS1_30default_config_static_selectorELNS0_4arch9wavefront6targetE1EEEvT1_: ; @_ZN7rocprim17ROCPRIM_400000_NS6detail17trampoline_kernelINS0_14default_configENS1_25partition_config_selectorILNS1_17partition_subalgoE1EsNS0_10empty_typeEbEEZZNS1_14partition_implILS5_1ELb0ES3_jN6thrust23THRUST_200600_302600_NS6detail15normal_iteratorINSA_10device_ptrIsEEEEPS6_NSA_18transform_iteratorI7is_evenIsESF_NSA_11use_defaultESK_EENS0_5tupleIJNSA_16discard_iteratorISK_EESF_EEENSM_IJSG_SG_EEES6_PlJS6_EEE10hipError_tPvRmT3_T4_T5_T6_T7_T9_mT8_P12ihipStream_tbDpT10_ENKUlT_T0_E_clISt17integral_constantIbLb0EES1A_IbLb1EEEEDaS16_S17_EUlS16_E_NS1_11comp_targetILNS1_3genE3ELNS1_11target_archE908ELNS1_3gpuE7ELNS1_3repE0EEENS1_30default_config_static_selectorELNS0_4arch9wavefront6targetE1EEEvT1_
; %bb.0:
	.section	.rodata,"a",@progbits
	.p2align	6, 0x0
	.amdhsa_kernel _ZN7rocprim17ROCPRIM_400000_NS6detail17trampoline_kernelINS0_14default_configENS1_25partition_config_selectorILNS1_17partition_subalgoE1EsNS0_10empty_typeEbEEZZNS1_14partition_implILS5_1ELb0ES3_jN6thrust23THRUST_200600_302600_NS6detail15normal_iteratorINSA_10device_ptrIsEEEEPS6_NSA_18transform_iteratorI7is_evenIsESF_NSA_11use_defaultESK_EENS0_5tupleIJNSA_16discard_iteratorISK_EESF_EEENSM_IJSG_SG_EEES6_PlJS6_EEE10hipError_tPvRmT3_T4_T5_T6_T7_T9_mT8_P12ihipStream_tbDpT10_ENKUlT_T0_E_clISt17integral_constantIbLb0EES1A_IbLb1EEEEDaS16_S17_EUlS16_E_NS1_11comp_targetILNS1_3genE3ELNS1_11target_archE908ELNS1_3gpuE7ELNS1_3repE0EEENS1_30default_config_static_selectorELNS0_4arch9wavefront6targetE1EEEvT1_
		.amdhsa_group_segment_fixed_size 0
		.amdhsa_private_segment_fixed_size 0
		.amdhsa_kernarg_size 152
		.amdhsa_user_sgpr_count 2
		.amdhsa_user_sgpr_dispatch_ptr 0
		.amdhsa_user_sgpr_queue_ptr 0
		.amdhsa_user_sgpr_kernarg_segment_ptr 1
		.amdhsa_user_sgpr_dispatch_id 0
		.amdhsa_user_sgpr_kernarg_preload_length 0
		.amdhsa_user_sgpr_kernarg_preload_offset 0
		.amdhsa_user_sgpr_private_segment_size 0
		.amdhsa_uses_dynamic_stack 0
		.amdhsa_enable_private_segment 0
		.amdhsa_system_sgpr_workgroup_id_x 1
		.amdhsa_system_sgpr_workgroup_id_y 0
		.amdhsa_system_sgpr_workgroup_id_z 0
		.amdhsa_system_sgpr_workgroup_info 0
		.amdhsa_system_vgpr_workitem_id 0
		.amdhsa_next_free_vgpr 1
		.amdhsa_next_free_sgpr 0
		.amdhsa_accum_offset 4
		.amdhsa_reserve_vcc 0
		.amdhsa_float_round_mode_32 0
		.amdhsa_float_round_mode_16_64 0
		.amdhsa_float_denorm_mode_32 3
		.amdhsa_float_denorm_mode_16_64 3
		.amdhsa_dx10_clamp 1
		.amdhsa_ieee_mode 1
		.amdhsa_fp16_overflow 0
		.amdhsa_tg_split 0
		.amdhsa_exception_fp_ieee_invalid_op 0
		.amdhsa_exception_fp_denorm_src 0
		.amdhsa_exception_fp_ieee_div_zero 0
		.amdhsa_exception_fp_ieee_overflow 0
		.amdhsa_exception_fp_ieee_underflow 0
		.amdhsa_exception_fp_ieee_inexact 0
		.amdhsa_exception_int_div_zero 0
	.end_amdhsa_kernel
	.section	.text._ZN7rocprim17ROCPRIM_400000_NS6detail17trampoline_kernelINS0_14default_configENS1_25partition_config_selectorILNS1_17partition_subalgoE1EsNS0_10empty_typeEbEEZZNS1_14partition_implILS5_1ELb0ES3_jN6thrust23THRUST_200600_302600_NS6detail15normal_iteratorINSA_10device_ptrIsEEEEPS6_NSA_18transform_iteratorI7is_evenIsESF_NSA_11use_defaultESK_EENS0_5tupleIJNSA_16discard_iteratorISK_EESF_EEENSM_IJSG_SG_EEES6_PlJS6_EEE10hipError_tPvRmT3_T4_T5_T6_T7_T9_mT8_P12ihipStream_tbDpT10_ENKUlT_T0_E_clISt17integral_constantIbLb0EES1A_IbLb1EEEEDaS16_S17_EUlS16_E_NS1_11comp_targetILNS1_3genE3ELNS1_11target_archE908ELNS1_3gpuE7ELNS1_3repE0EEENS1_30default_config_static_selectorELNS0_4arch9wavefront6targetE1EEEvT1_,"axG",@progbits,_ZN7rocprim17ROCPRIM_400000_NS6detail17trampoline_kernelINS0_14default_configENS1_25partition_config_selectorILNS1_17partition_subalgoE1EsNS0_10empty_typeEbEEZZNS1_14partition_implILS5_1ELb0ES3_jN6thrust23THRUST_200600_302600_NS6detail15normal_iteratorINSA_10device_ptrIsEEEEPS6_NSA_18transform_iteratorI7is_evenIsESF_NSA_11use_defaultESK_EENS0_5tupleIJNSA_16discard_iteratorISK_EESF_EEENSM_IJSG_SG_EEES6_PlJS6_EEE10hipError_tPvRmT3_T4_T5_T6_T7_T9_mT8_P12ihipStream_tbDpT10_ENKUlT_T0_E_clISt17integral_constantIbLb0EES1A_IbLb1EEEEDaS16_S17_EUlS16_E_NS1_11comp_targetILNS1_3genE3ELNS1_11target_archE908ELNS1_3gpuE7ELNS1_3repE0EEENS1_30default_config_static_selectorELNS0_4arch9wavefront6targetE1EEEvT1_,comdat
.Lfunc_end3446:
	.size	_ZN7rocprim17ROCPRIM_400000_NS6detail17trampoline_kernelINS0_14default_configENS1_25partition_config_selectorILNS1_17partition_subalgoE1EsNS0_10empty_typeEbEEZZNS1_14partition_implILS5_1ELb0ES3_jN6thrust23THRUST_200600_302600_NS6detail15normal_iteratorINSA_10device_ptrIsEEEEPS6_NSA_18transform_iteratorI7is_evenIsESF_NSA_11use_defaultESK_EENS0_5tupleIJNSA_16discard_iteratorISK_EESF_EEENSM_IJSG_SG_EEES6_PlJS6_EEE10hipError_tPvRmT3_T4_T5_T6_T7_T9_mT8_P12ihipStream_tbDpT10_ENKUlT_T0_E_clISt17integral_constantIbLb0EES1A_IbLb1EEEEDaS16_S17_EUlS16_E_NS1_11comp_targetILNS1_3genE3ELNS1_11target_archE908ELNS1_3gpuE7ELNS1_3repE0EEENS1_30default_config_static_selectorELNS0_4arch9wavefront6targetE1EEEvT1_, .Lfunc_end3446-_ZN7rocprim17ROCPRIM_400000_NS6detail17trampoline_kernelINS0_14default_configENS1_25partition_config_selectorILNS1_17partition_subalgoE1EsNS0_10empty_typeEbEEZZNS1_14partition_implILS5_1ELb0ES3_jN6thrust23THRUST_200600_302600_NS6detail15normal_iteratorINSA_10device_ptrIsEEEEPS6_NSA_18transform_iteratorI7is_evenIsESF_NSA_11use_defaultESK_EENS0_5tupleIJNSA_16discard_iteratorISK_EESF_EEENSM_IJSG_SG_EEES6_PlJS6_EEE10hipError_tPvRmT3_T4_T5_T6_T7_T9_mT8_P12ihipStream_tbDpT10_ENKUlT_T0_E_clISt17integral_constantIbLb0EES1A_IbLb1EEEEDaS16_S17_EUlS16_E_NS1_11comp_targetILNS1_3genE3ELNS1_11target_archE908ELNS1_3gpuE7ELNS1_3repE0EEENS1_30default_config_static_selectorELNS0_4arch9wavefront6targetE1EEEvT1_
                                        ; -- End function
	.section	.AMDGPU.csdata,"",@progbits
; Kernel info:
; codeLenInByte = 0
; NumSgprs: 6
; NumVgprs: 0
; NumAgprs: 0
; TotalNumVgprs: 0
; ScratchSize: 0
; MemoryBound: 0
; FloatMode: 240
; IeeeMode: 1
; LDSByteSize: 0 bytes/workgroup (compile time only)
; SGPRBlocks: 0
; VGPRBlocks: 0
; NumSGPRsForWavesPerEU: 6
; NumVGPRsForWavesPerEU: 1
; AccumOffset: 4
; Occupancy: 8
; WaveLimiterHint : 0
; COMPUTE_PGM_RSRC2:SCRATCH_EN: 0
; COMPUTE_PGM_RSRC2:USER_SGPR: 2
; COMPUTE_PGM_RSRC2:TRAP_HANDLER: 0
; COMPUTE_PGM_RSRC2:TGID_X_EN: 1
; COMPUTE_PGM_RSRC2:TGID_Y_EN: 0
; COMPUTE_PGM_RSRC2:TGID_Z_EN: 0
; COMPUTE_PGM_RSRC2:TIDIG_COMP_CNT: 0
; COMPUTE_PGM_RSRC3_GFX90A:ACCUM_OFFSET: 0
; COMPUTE_PGM_RSRC3_GFX90A:TG_SPLIT: 0
	.section	.text._ZN7rocprim17ROCPRIM_400000_NS6detail17trampoline_kernelINS0_14default_configENS1_25partition_config_selectorILNS1_17partition_subalgoE1EsNS0_10empty_typeEbEEZZNS1_14partition_implILS5_1ELb0ES3_jN6thrust23THRUST_200600_302600_NS6detail15normal_iteratorINSA_10device_ptrIsEEEEPS6_NSA_18transform_iteratorI7is_evenIsESF_NSA_11use_defaultESK_EENS0_5tupleIJNSA_16discard_iteratorISK_EESF_EEENSM_IJSG_SG_EEES6_PlJS6_EEE10hipError_tPvRmT3_T4_T5_T6_T7_T9_mT8_P12ihipStream_tbDpT10_ENKUlT_T0_E_clISt17integral_constantIbLb0EES1A_IbLb1EEEEDaS16_S17_EUlS16_E_NS1_11comp_targetILNS1_3genE2ELNS1_11target_archE906ELNS1_3gpuE6ELNS1_3repE0EEENS1_30default_config_static_selectorELNS0_4arch9wavefront6targetE1EEEvT1_,"axG",@progbits,_ZN7rocprim17ROCPRIM_400000_NS6detail17trampoline_kernelINS0_14default_configENS1_25partition_config_selectorILNS1_17partition_subalgoE1EsNS0_10empty_typeEbEEZZNS1_14partition_implILS5_1ELb0ES3_jN6thrust23THRUST_200600_302600_NS6detail15normal_iteratorINSA_10device_ptrIsEEEEPS6_NSA_18transform_iteratorI7is_evenIsESF_NSA_11use_defaultESK_EENS0_5tupleIJNSA_16discard_iteratorISK_EESF_EEENSM_IJSG_SG_EEES6_PlJS6_EEE10hipError_tPvRmT3_T4_T5_T6_T7_T9_mT8_P12ihipStream_tbDpT10_ENKUlT_T0_E_clISt17integral_constantIbLb0EES1A_IbLb1EEEEDaS16_S17_EUlS16_E_NS1_11comp_targetILNS1_3genE2ELNS1_11target_archE906ELNS1_3gpuE6ELNS1_3repE0EEENS1_30default_config_static_selectorELNS0_4arch9wavefront6targetE1EEEvT1_,comdat
	.protected	_ZN7rocprim17ROCPRIM_400000_NS6detail17trampoline_kernelINS0_14default_configENS1_25partition_config_selectorILNS1_17partition_subalgoE1EsNS0_10empty_typeEbEEZZNS1_14partition_implILS5_1ELb0ES3_jN6thrust23THRUST_200600_302600_NS6detail15normal_iteratorINSA_10device_ptrIsEEEEPS6_NSA_18transform_iteratorI7is_evenIsESF_NSA_11use_defaultESK_EENS0_5tupleIJNSA_16discard_iteratorISK_EESF_EEENSM_IJSG_SG_EEES6_PlJS6_EEE10hipError_tPvRmT3_T4_T5_T6_T7_T9_mT8_P12ihipStream_tbDpT10_ENKUlT_T0_E_clISt17integral_constantIbLb0EES1A_IbLb1EEEEDaS16_S17_EUlS16_E_NS1_11comp_targetILNS1_3genE2ELNS1_11target_archE906ELNS1_3gpuE6ELNS1_3repE0EEENS1_30default_config_static_selectorELNS0_4arch9wavefront6targetE1EEEvT1_ ; -- Begin function _ZN7rocprim17ROCPRIM_400000_NS6detail17trampoline_kernelINS0_14default_configENS1_25partition_config_selectorILNS1_17partition_subalgoE1EsNS0_10empty_typeEbEEZZNS1_14partition_implILS5_1ELb0ES3_jN6thrust23THRUST_200600_302600_NS6detail15normal_iteratorINSA_10device_ptrIsEEEEPS6_NSA_18transform_iteratorI7is_evenIsESF_NSA_11use_defaultESK_EENS0_5tupleIJNSA_16discard_iteratorISK_EESF_EEENSM_IJSG_SG_EEES6_PlJS6_EEE10hipError_tPvRmT3_T4_T5_T6_T7_T9_mT8_P12ihipStream_tbDpT10_ENKUlT_T0_E_clISt17integral_constantIbLb0EES1A_IbLb1EEEEDaS16_S17_EUlS16_E_NS1_11comp_targetILNS1_3genE2ELNS1_11target_archE906ELNS1_3gpuE6ELNS1_3repE0EEENS1_30default_config_static_selectorELNS0_4arch9wavefront6targetE1EEEvT1_
	.globl	_ZN7rocprim17ROCPRIM_400000_NS6detail17trampoline_kernelINS0_14default_configENS1_25partition_config_selectorILNS1_17partition_subalgoE1EsNS0_10empty_typeEbEEZZNS1_14partition_implILS5_1ELb0ES3_jN6thrust23THRUST_200600_302600_NS6detail15normal_iteratorINSA_10device_ptrIsEEEEPS6_NSA_18transform_iteratorI7is_evenIsESF_NSA_11use_defaultESK_EENS0_5tupleIJNSA_16discard_iteratorISK_EESF_EEENSM_IJSG_SG_EEES6_PlJS6_EEE10hipError_tPvRmT3_T4_T5_T6_T7_T9_mT8_P12ihipStream_tbDpT10_ENKUlT_T0_E_clISt17integral_constantIbLb0EES1A_IbLb1EEEEDaS16_S17_EUlS16_E_NS1_11comp_targetILNS1_3genE2ELNS1_11target_archE906ELNS1_3gpuE6ELNS1_3repE0EEENS1_30default_config_static_selectorELNS0_4arch9wavefront6targetE1EEEvT1_
	.p2align	8
	.type	_ZN7rocprim17ROCPRIM_400000_NS6detail17trampoline_kernelINS0_14default_configENS1_25partition_config_selectorILNS1_17partition_subalgoE1EsNS0_10empty_typeEbEEZZNS1_14partition_implILS5_1ELb0ES3_jN6thrust23THRUST_200600_302600_NS6detail15normal_iteratorINSA_10device_ptrIsEEEEPS6_NSA_18transform_iteratorI7is_evenIsESF_NSA_11use_defaultESK_EENS0_5tupleIJNSA_16discard_iteratorISK_EESF_EEENSM_IJSG_SG_EEES6_PlJS6_EEE10hipError_tPvRmT3_T4_T5_T6_T7_T9_mT8_P12ihipStream_tbDpT10_ENKUlT_T0_E_clISt17integral_constantIbLb0EES1A_IbLb1EEEEDaS16_S17_EUlS16_E_NS1_11comp_targetILNS1_3genE2ELNS1_11target_archE906ELNS1_3gpuE6ELNS1_3repE0EEENS1_30default_config_static_selectorELNS0_4arch9wavefront6targetE1EEEvT1_,@function
_ZN7rocprim17ROCPRIM_400000_NS6detail17trampoline_kernelINS0_14default_configENS1_25partition_config_selectorILNS1_17partition_subalgoE1EsNS0_10empty_typeEbEEZZNS1_14partition_implILS5_1ELb0ES3_jN6thrust23THRUST_200600_302600_NS6detail15normal_iteratorINSA_10device_ptrIsEEEEPS6_NSA_18transform_iteratorI7is_evenIsESF_NSA_11use_defaultESK_EENS0_5tupleIJNSA_16discard_iteratorISK_EESF_EEENSM_IJSG_SG_EEES6_PlJS6_EEE10hipError_tPvRmT3_T4_T5_T6_T7_T9_mT8_P12ihipStream_tbDpT10_ENKUlT_T0_E_clISt17integral_constantIbLb0EES1A_IbLb1EEEEDaS16_S17_EUlS16_E_NS1_11comp_targetILNS1_3genE2ELNS1_11target_archE906ELNS1_3gpuE6ELNS1_3repE0EEENS1_30default_config_static_selectorELNS0_4arch9wavefront6targetE1EEEvT1_: ; @_ZN7rocprim17ROCPRIM_400000_NS6detail17trampoline_kernelINS0_14default_configENS1_25partition_config_selectorILNS1_17partition_subalgoE1EsNS0_10empty_typeEbEEZZNS1_14partition_implILS5_1ELb0ES3_jN6thrust23THRUST_200600_302600_NS6detail15normal_iteratorINSA_10device_ptrIsEEEEPS6_NSA_18transform_iteratorI7is_evenIsESF_NSA_11use_defaultESK_EENS0_5tupleIJNSA_16discard_iteratorISK_EESF_EEENSM_IJSG_SG_EEES6_PlJS6_EEE10hipError_tPvRmT3_T4_T5_T6_T7_T9_mT8_P12ihipStream_tbDpT10_ENKUlT_T0_E_clISt17integral_constantIbLb0EES1A_IbLb1EEEEDaS16_S17_EUlS16_E_NS1_11comp_targetILNS1_3genE2ELNS1_11target_archE906ELNS1_3gpuE6ELNS1_3repE0EEENS1_30default_config_static_selectorELNS0_4arch9wavefront6targetE1EEEvT1_
; %bb.0:
	.section	.rodata,"a",@progbits
	.p2align	6, 0x0
	.amdhsa_kernel _ZN7rocprim17ROCPRIM_400000_NS6detail17trampoline_kernelINS0_14default_configENS1_25partition_config_selectorILNS1_17partition_subalgoE1EsNS0_10empty_typeEbEEZZNS1_14partition_implILS5_1ELb0ES3_jN6thrust23THRUST_200600_302600_NS6detail15normal_iteratorINSA_10device_ptrIsEEEEPS6_NSA_18transform_iteratorI7is_evenIsESF_NSA_11use_defaultESK_EENS0_5tupleIJNSA_16discard_iteratorISK_EESF_EEENSM_IJSG_SG_EEES6_PlJS6_EEE10hipError_tPvRmT3_T4_T5_T6_T7_T9_mT8_P12ihipStream_tbDpT10_ENKUlT_T0_E_clISt17integral_constantIbLb0EES1A_IbLb1EEEEDaS16_S17_EUlS16_E_NS1_11comp_targetILNS1_3genE2ELNS1_11target_archE906ELNS1_3gpuE6ELNS1_3repE0EEENS1_30default_config_static_selectorELNS0_4arch9wavefront6targetE1EEEvT1_
		.amdhsa_group_segment_fixed_size 0
		.amdhsa_private_segment_fixed_size 0
		.amdhsa_kernarg_size 152
		.amdhsa_user_sgpr_count 2
		.amdhsa_user_sgpr_dispatch_ptr 0
		.amdhsa_user_sgpr_queue_ptr 0
		.amdhsa_user_sgpr_kernarg_segment_ptr 1
		.amdhsa_user_sgpr_dispatch_id 0
		.amdhsa_user_sgpr_kernarg_preload_length 0
		.amdhsa_user_sgpr_kernarg_preload_offset 0
		.amdhsa_user_sgpr_private_segment_size 0
		.amdhsa_uses_dynamic_stack 0
		.amdhsa_enable_private_segment 0
		.amdhsa_system_sgpr_workgroup_id_x 1
		.amdhsa_system_sgpr_workgroup_id_y 0
		.amdhsa_system_sgpr_workgroup_id_z 0
		.amdhsa_system_sgpr_workgroup_info 0
		.amdhsa_system_vgpr_workitem_id 0
		.amdhsa_next_free_vgpr 1
		.amdhsa_next_free_sgpr 0
		.amdhsa_accum_offset 4
		.amdhsa_reserve_vcc 0
		.amdhsa_float_round_mode_32 0
		.amdhsa_float_round_mode_16_64 0
		.amdhsa_float_denorm_mode_32 3
		.amdhsa_float_denorm_mode_16_64 3
		.amdhsa_dx10_clamp 1
		.amdhsa_ieee_mode 1
		.amdhsa_fp16_overflow 0
		.amdhsa_tg_split 0
		.amdhsa_exception_fp_ieee_invalid_op 0
		.amdhsa_exception_fp_denorm_src 0
		.amdhsa_exception_fp_ieee_div_zero 0
		.amdhsa_exception_fp_ieee_overflow 0
		.amdhsa_exception_fp_ieee_underflow 0
		.amdhsa_exception_fp_ieee_inexact 0
		.amdhsa_exception_int_div_zero 0
	.end_amdhsa_kernel
	.section	.text._ZN7rocprim17ROCPRIM_400000_NS6detail17trampoline_kernelINS0_14default_configENS1_25partition_config_selectorILNS1_17partition_subalgoE1EsNS0_10empty_typeEbEEZZNS1_14partition_implILS5_1ELb0ES3_jN6thrust23THRUST_200600_302600_NS6detail15normal_iteratorINSA_10device_ptrIsEEEEPS6_NSA_18transform_iteratorI7is_evenIsESF_NSA_11use_defaultESK_EENS0_5tupleIJNSA_16discard_iteratorISK_EESF_EEENSM_IJSG_SG_EEES6_PlJS6_EEE10hipError_tPvRmT3_T4_T5_T6_T7_T9_mT8_P12ihipStream_tbDpT10_ENKUlT_T0_E_clISt17integral_constantIbLb0EES1A_IbLb1EEEEDaS16_S17_EUlS16_E_NS1_11comp_targetILNS1_3genE2ELNS1_11target_archE906ELNS1_3gpuE6ELNS1_3repE0EEENS1_30default_config_static_selectorELNS0_4arch9wavefront6targetE1EEEvT1_,"axG",@progbits,_ZN7rocprim17ROCPRIM_400000_NS6detail17trampoline_kernelINS0_14default_configENS1_25partition_config_selectorILNS1_17partition_subalgoE1EsNS0_10empty_typeEbEEZZNS1_14partition_implILS5_1ELb0ES3_jN6thrust23THRUST_200600_302600_NS6detail15normal_iteratorINSA_10device_ptrIsEEEEPS6_NSA_18transform_iteratorI7is_evenIsESF_NSA_11use_defaultESK_EENS0_5tupleIJNSA_16discard_iteratorISK_EESF_EEENSM_IJSG_SG_EEES6_PlJS6_EEE10hipError_tPvRmT3_T4_T5_T6_T7_T9_mT8_P12ihipStream_tbDpT10_ENKUlT_T0_E_clISt17integral_constantIbLb0EES1A_IbLb1EEEEDaS16_S17_EUlS16_E_NS1_11comp_targetILNS1_3genE2ELNS1_11target_archE906ELNS1_3gpuE6ELNS1_3repE0EEENS1_30default_config_static_selectorELNS0_4arch9wavefront6targetE1EEEvT1_,comdat
.Lfunc_end3447:
	.size	_ZN7rocprim17ROCPRIM_400000_NS6detail17trampoline_kernelINS0_14default_configENS1_25partition_config_selectorILNS1_17partition_subalgoE1EsNS0_10empty_typeEbEEZZNS1_14partition_implILS5_1ELb0ES3_jN6thrust23THRUST_200600_302600_NS6detail15normal_iteratorINSA_10device_ptrIsEEEEPS6_NSA_18transform_iteratorI7is_evenIsESF_NSA_11use_defaultESK_EENS0_5tupleIJNSA_16discard_iteratorISK_EESF_EEENSM_IJSG_SG_EEES6_PlJS6_EEE10hipError_tPvRmT3_T4_T5_T6_T7_T9_mT8_P12ihipStream_tbDpT10_ENKUlT_T0_E_clISt17integral_constantIbLb0EES1A_IbLb1EEEEDaS16_S17_EUlS16_E_NS1_11comp_targetILNS1_3genE2ELNS1_11target_archE906ELNS1_3gpuE6ELNS1_3repE0EEENS1_30default_config_static_selectorELNS0_4arch9wavefront6targetE1EEEvT1_, .Lfunc_end3447-_ZN7rocprim17ROCPRIM_400000_NS6detail17trampoline_kernelINS0_14default_configENS1_25partition_config_selectorILNS1_17partition_subalgoE1EsNS0_10empty_typeEbEEZZNS1_14partition_implILS5_1ELb0ES3_jN6thrust23THRUST_200600_302600_NS6detail15normal_iteratorINSA_10device_ptrIsEEEEPS6_NSA_18transform_iteratorI7is_evenIsESF_NSA_11use_defaultESK_EENS0_5tupleIJNSA_16discard_iteratorISK_EESF_EEENSM_IJSG_SG_EEES6_PlJS6_EEE10hipError_tPvRmT3_T4_T5_T6_T7_T9_mT8_P12ihipStream_tbDpT10_ENKUlT_T0_E_clISt17integral_constantIbLb0EES1A_IbLb1EEEEDaS16_S17_EUlS16_E_NS1_11comp_targetILNS1_3genE2ELNS1_11target_archE906ELNS1_3gpuE6ELNS1_3repE0EEENS1_30default_config_static_selectorELNS0_4arch9wavefront6targetE1EEEvT1_
                                        ; -- End function
	.section	.AMDGPU.csdata,"",@progbits
; Kernel info:
; codeLenInByte = 0
; NumSgprs: 6
; NumVgprs: 0
; NumAgprs: 0
; TotalNumVgprs: 0
; ScratchSize: 0
; MemoryBound: 0
; FloatMode: 240
; IeeeMode: 1
; LDSByteSize: 0 bytes/workgroup (compile time only)
; SGPRBlocks: 0
; VGPRBlocks: 0
; NumSGPRsForWavesPerEU: 6
; NumVGPRsForWavesPerEU: 1
; AccumOffset: 4
; Occupancy: 8
; WaveLimiterHint : 0
; COMPUTE_PGM_RSRC2:SCRATCH_EN: 0
; COMPUTE_PGM_RSRC2:USER_SGPR: 2
; COMPUTE_PGM_RSRC2:TRAP_HANDLER: 0
; COMPUTE_PGM_RSRC2:TGID_X_EN: 1
; COMPUTE_PGM_RSRC2:TGID_Y_EN: 0
; COMPUTE_PGM_RSRC2:TGID_Z_EN: 0
; COMPUTE_PGM_RSRC2:TIDIG_COMP_CNT: 0
; COMPUTE_PGM_RSRC3_GFX90A:ACCUM_OFFSET: 0
; COMPUTE_PGM_RSRC3_GFX90A:TG_SPLIT: 0
	.section	.text._ZN7rocprim17ROCPRIM_400000_NS6detail17trampoline_kernelINS0_14default_configENS1_25partition_config_selectorILNS1_17partition_subalgoE1EsNS0_10empty_typeEbEEZZNS1_14partition_implILS5_1ELb0ES3_jN6thrust23THRUST_200600_302600_NS6detail15normal_iteratorINSA_10device_ptrIsEEEEPS6_NSA_18transform_iteratorI7is_evenIsESF_NSA_11use_defaultESK_EENS0_5tupleIJNSA_16discard_iteratorISK_EESF_EEENSM_IJSG_SG_EEES6_PlJS6_EEE10hipError_tPvRmT3_T4_T5_T6_T7_T9_mT8_P12ihipStream_tbDpT10_ENKUlT_T0_E_clISt17integral_constantIbLb0EES1A_IbLb1EEEEDaS16_S17_EUlS16_E_NS1_11comp_targetILNS1_3genE10ELNS1_11target_archE1200ELNS1_3gpuE4ELNS1_3repE0EEENS1_30default_config_static_selectorELNS0_4arch9wavefront6targetE1EEEvT1_,"axG",@progbits,_ZN7rocprim17ROCPRIM_400000_NS6detail17trampoline_kernelINS0_14default_configENS1_25partition_config_selectorILNS1_17partition_subalgoE1EsNS0_10empty_typeEbEEZZNS1_14partition_implILS5_1ELb0ES3_jN6thrust23THRUST_200600_302600_NS6detail15normal_iteratorINSA_10device_ptrIsEEEEPS6_NSA_18transform_iteratorI7is_evenIsESF_NSA_11use_defaultESK_EENS0_5tupleIJNSA_16discard_iteratorISK_EESF_EEENSM_IJSG_SG_EEES6_PlJS6_EEE10hipError_tPvRmT3_T4_T5_T6_T7_T9_mT8_P12ihipStream_tbDpT10_ENKUlT_T0_E_clISt17integral_constantIbLb0EES1A_IbLb1EEEEDaS16_S17_EUlS16_E_NS1_11comp_targetILNS1_3genE10ELNS1_11target_archE1200ELNS1_3gpuE4ELNS1_3repE0EEENS1_30default_config_static_selectorELNS0_4arch9wavefront6targetE1EEEvT1_,comdat
	.protected	_ZN7rocprim17ROCPRIM_400000_NS6detail17trampoline_kernelINS0_14default_configENS1_25partition_config_selectorILNS1_17partition_subalgoE1EsNS0_10empty_typeEbEEZZNS1_14partition_implILS5_1ELb0ES3_jN6thrust23THRUST_200600_302600_NS6detail15normal_iteratorINSA_10device_ptrIsEEEEPS6_NSA_18transform_iteratorI7is_evenIsESF_NSA_11use_defaultESK_EENS0_5tupleIJNSA_16discard_iteratorISK_EESF_EEENSM_IJSG_SG_EEES6_PlJS6_EEE10hipError_tPvRmT3_T4_T5_T6_T7_T9_mT8_P12ihipStream_tbDpT10_ENKUlT_T0_E_clISt17integral_constantIbLb0EES1A_IbLb1EEEEDaS16_S17_EUlS16_E_NS1_11comp_targetILNS1_3genE10ELNS1_11target_archE1200ELNS1_3gpuE4ELNS1_3repE0EEENS1_30default_config_static_selectorELNS0_4arch9wavefront6targetE1EEEvT1_ ; -- Begin function _ZN7rocprim17ROCPRIM_400000_NS6detail17trampoline_kernelINS0_14default_configENS1_25partition_config_selectorILNS1_17partition_subalgoE1EsNS0_10empty_typeEbEEZZNS1_14partition_implILS5_1ELb0ES3_jN6thrust23THRUST_200600_302600_NS6detail15normal_iteratorINSA_10device_ptrIsEEEEPS6_NSA_18transform_iteratorI7is_evenIsESF_NSA_11use_defaultESK_EENS0_5tupleIJNSA_16discard_iteratorISK_EESF_EEENSM_IJSG_SG_EEES6_PlJS6_EEE10hipError_tPvRmT3_T4_T5_T6_T7_T9_mT8_P12ihipStream_tbDpT10_ENKUlT_T0_E_clISt17integral_constantIbLb0EES1A_IbLb1EEEEDaS16_S17_EUlS16_E_NS1_11comp_targetILNS1_3genE10ELNS1_11target_archE1200ELNS1_3gpuE4ELNS1_3repE0EEENS1_30default_config_static_selectorELNS0_4arch9wavefront6targetE1EEEvT1_
	.globl	_ZN7rocprim17ROCPRIM_400000_NS6detail17trampoline_kernelINS0_14default_configENS1_25partition_config_selectorILNS1_17partition_subalgoE1EsNS0_10empty_typeEbEEZZNS1_14partition_implILS5_1ELb0ES3_jN6thrust23THRUST_200600_302600_NS6detail15normal_iteratorINSA_10device_ptrIsEEEEPS6_NSA_18transform_iteratorI7is_evenIsESF_NSA_11use_defaultESK_EENS0_5tupleIJNSA_16discard_iteratorISK_EESF_EEENSM_IJSG_SG_EEES6_PlJS6_EEE10hipError_tPvRmT3_T4_T5_T6_T7_T9_mT8_P12ihipStream_tbDpT10_ENKUlT_T0_E_clISt17integral_constantIbLb0EES1A_IbLb1EEEEDaS16_S17_EUlS16_E_NS1_11comp_targetILNS1_3genE10ELNS1_11target_archE1200ELNS1_3gpuE4ELNS1_3repE0EEENS1_30default_config_static_selectorELNS0_4arch9wavefront6targetE1EEEvT1_
	.p2align	8
	.type	_ZN7rocprim17ROCPRIM_400000_NS6detail17trampoline_kernelINS0_14default_configENS1_25partition_config_selectorILNS1_17partition_subalgoE1EsNS0_10empty_typeEbEEZZNS1_14partition_implILS5_1ELb0ES3_jN6thrust23THRUST_200600_302600_NS6detail15normal_iteratorINSA_10device_ptrIsEEEEPS6_NSA_18transform_iteratorI7is_evenIsESF_NSA_11use_defaultESK_EENS0_5tupleIJNSA_16discard_iteratorISK_EESF_EEENSM_IJSG_SG_EEES6_PlJS6_EEE10hipError_tPvRmT3_T4_T5_T6_T7_T9_mT8_P12ihipStream_tbDpT10_ENKUlT_T0_E_clISt17integral_constantIbLb0EES1A_IbLb1EEEEDaS16_S17_EUlS16_E_NS1_11comp_targetILNS1_3genE10ELNS1_11target_archE1200ELNS1_3gpuE4ELNS1_3repE0EEENS1_30default_config_static_selectorELNS0_4arch9wavefront6targetE1EEEvT1_,@function
_ZN7rocprim17ROCPRIM_400000_NS6detail17trampoline_kernelINS0_14default_configENS1_25partition_config_selectorILNS1_17partition_subalgoE1EsNS0_10empty_typeEbEEZZNS1_14partition_implILS5_1ELb0ES3_jN6thrust23THRUST_200600_302600_NS6detail15normal_iteratorINSA_10device_ptrIsEEEEPS6_NSA_18transform_iteratorI7is_evenIsESF_NSA_11use_defaultESK_EENS0_5tupleIJNSA_16discard_iteratorISK_EESF_EEENSM_IJSG_SG_EEES6_PlJS6_EEE10hipError_tPvRmT3_T4_T5_T6_T7_T9_mT8_P12ihipStream_tbDpT10_ENKUlT_T0_E_clISt17integral_constantIbLb0EES1A_IbLb1EEEEDaS16_S17_EUlS16_E_NS1_11comp_targetILNS1_3genE10ELNS1_11target_archE1200ELNS1_3gpuE4ELNS1_3repE0EEENS1_30default_config_static_selectorELNS0_4arch9wavefront6targetE1EEEvT1_: ; @_ZN7rocprim17ROCPRIM_400000_NS6detail17trampoline_kernelINS0_14default_configENS1_25partition_config_selectorILNS1_17partition_subalgoE1EsNS0_10empty_typeEbEEZZNS1_14partition_implILS5_1ELb0ES3_jN6thrust23THRUST_200600_302600_NS6detail15normal_iteratorINSA_10device_ptrIsEEEEPS6_NSA_18transform_iteratorI7is_evenIsESF_NSA_11use_defaultESK_EENS0_5tupleIJNSA_16discard_iteratorISK_EESF_EEENSM_IJSG_SG_EEES6_PlJS6_EEE10hipError_tPvRmT3_T4_T5_T6_T7_T9_mT8_P12ihipStream_tbDpT10_ENKUlT_T0_E_clISt17integral_constantIbLb0EES1A_IbLb1EEEEDaS16_S17_EUlS16_E_NS1_11comp_targetILNS1_3genE10ELNS1_11target_archE1200ELNS1_3gpuE4ELNS1_3repE0EEENS1_30default_config_static_selectorELNS0_4arch9wavefront6targetE1EEEvT1_
; %bb.0:
	.section	.rodata,"a",@progbits
	.p2align	6, 0x0
	.amdhsa_kernel _ZN7rocprim17ROCPRIM_400000_NS6detail17trampoline_kernelINS0_14default_configENS1_25partition_config_selectorILNS1_17partition_subalgoE1EsNS0_10empty_typeEbEEZZNS1_14partition_implILS5_1ELb0ES3_jN6thrust23THRUST_200600_302600_NS6detail15normal_iteratorINSA_10device_ptrIsEEEEPS6_NSA_18transform_iteratorI7is_evenIsESF_NSA_11use_defaultESK_EENS0_5tupleIJNSA_16discard_iteratorISK_EESF_EEENSM_IJSG_SG_EEES6_PlJS6_EEE10hipError_tPvRmT3_T4_T5_T6_T7_T9_mT8_P12ihipStream_tbDpT10_ENKUlT_T0_E_clISt17integral_constantIbLb0EES1A_IbLb1EEEEDaS16_S17_EUlS16_E_NS1_11comp_targetILNS1_3genE10ELNS1_11target_archE1200ELNS1_3gpuE4ELNS1_3repE0EEENS1_30default_config_static_selectorELNS0_4arch9wavefront6targetE1EEEvT1_
		.amdhsa_group_segment_fixed_size 0
		.amdhsa_private_segment_fixed_size 0
		.amdhsa_kernarg_size 152
		.amdhsa_user_sgpr_count 2
		.amdhsa_user_sgpr_dispatch_ptr 0
		.amdhsa_user_sgpr_queue_ptr 0
		.amdhsa_user_sgpr_kernarg_segment_ptr 1
		.amdhsa_user_sgpr_dispatch_id 0
		.amdhsa_user_sgpr_kernarg_preload_length 0
		.amdhsa_user_sgpr_kernarg_preload_offset 0
		.amdhsa_user_sgpr_private_segment_size 0
		.amdhsa_uses_dynamic_stack 0
		.amdhsa_enable_private_segment 0
		.amdhsa_system_sgpr_workgroup_id_x 1
		.amdhsa_system_sgpr_workgroup_id_y 0
		.amdhsa_system_sgpr_workgroup_id_z 0
		.amdhsa_system_sgpr_workgroup_info 0
		.amdhsa_system_vgpr_workitem_id 0
		.amdhsa_next_free_vgpr 1
		.amdhsa_next_free_sgpr 0
		.amdhsa_accum_offset 4
		.amdhsa_reserve_vcc 0
		.amdhsa_float_round_mode_32 0
		.amdhsa_float_round_mode_16_64 0
		.amdhsa_float_denorm_mode_32 3
		.amdhsa_float_denorm_mode_16_64 3
		.amdhsa_dx10_clamp 1
		.amdhsa_ieee_mode 1
		.amdhsa_fp16_overflow 0
		.amdhsa_tg_split 0
		.amdhsa_exception_fp_ieee_invalid_op 0
		.amdhsa_exception_fp_denorm_src 0
		.amdhsa_exception_fp_ieee_div_zero 0
		.amdhsa_exception_fp_ieee_overflow 0
		.amdhsa_exception_fp_ieee_underflow 0
		.amdhsa_exception_fp_ieee_inexact 0
		.amdhsa_exception_int_div_zero 0
	.end_amdhsa_kernel
	.section	.text._ZN7rocprim17ROCPRIM_400000_NS6detail17trampoline_kernelINS0_14default_configENS1_25partition_config_selectorILNS1_17partition_subalgoE1EsNS0_10empty_typeEbEEZZNS1_14partition_implILS5_1ELb0ES3_jN6thrust23THRUST_200600_302600_NS6detail15normal_iteratorINSA_10device_ptrIsEEEEPS6_NSA_18transform_iteratorI7is_evenIsESF_NSA_11use_defaultESK_EENS0_5tupleIJNSA_16discard_iteratorISK_EESF_EEENSM_IJSG_SG_EEES6_PlJS6_EEE10hipError_tPvRmT3_T4_T5_T6_T7_T9_mT8_P12ihipStream_tbDpT10_ENKUlT_T0_E_clISt17integral_constantIbLb0EES1A_IbLb1EEEEDaS16_S17_EUlS16_E_NS1_11comp_targetILNS1_3genE10ELNS1_11target_archE1200ELNS1_3gpuE4ELNS1_3repE0EEENS1_30default_config_static_selectorELNS0_4arch9wavefront6targetE1EEEvT1_,"axG",@progbits,_ZN7rocprim17ROCPRIM_400000_NS6detail17trampoline_kernelINS0_14default_configENS1_25partition_config_selectorILNS1_17partition_subalgoE1EsNS0_10empty_typeEbEEZZNS1_14partition_implILS5_1ELb0ES3_jN6thrust23THRUST_200600_302600_NS6detail15normal_iteratorINSA_10device_ptrIsEEEEPS6_NSA_18transform_iteratorI7is_evenIsESF_NSA_11use_defaultESK_EENS0_5tupleIJNSA_16discard_iteratorISK_EESF_EEENSM_IJSG_SG_EEES6_PlJS6_EEE10hipError_tPvRmT3_T4_T5_T6_T7_T9_mT8_P12ihipStream_tbDpT10_ENKUlT_T0_E_clISt17integral_constantIbLb0EES1A_IbLb1EEEEDaS16_S17_EUlS16_E_NS1_11comp_targetILNS1_3genE10ELNS1_11target_archE1200ELNS1_3gpuE4ELNS1_3repE0EEENS1_30default_config_static_selectorELNS0_4arch9wavefront6targetE1EEEvT1_,comdat
.Lfunc_end3448:
	.size	_ZN7rocprim17ROCPRIM_400000_NS6detail17trampoline_kernelINS0_14default_configENS1_25partition_config_selectorILNS1_17partition_subalgoE1EsNS0_10empty_typeEbEEZZNS1_14partition_implILS5_1ELb0ES3_jN6thrust23THRUST_200600_302600_NS6detail15normal_iteratorINSA_10device_ptrIsEEEEPS6_NSA_18transform_iteratorI7is_evenIsESF_NSA_11use_defaultESK_EENS0_5tupleIJNSA_16discard_iteratorISK_EESF_EEENSM_IJSG_SG_EEES6_PlJS6_EEE10hipError_tPvRmT3_T4_T5_T6_T7_T9_mT8_P12ihipStream_tbDpT10_ENKUlT_T0_E_clISt17integral_constantIbLb0EES1A_IbLb1EEEEDaS16_S17_EUlS16_E_NS1_11comp_targetILNS1_3genE10ELNS1_11target_archE1200ELNS1_3gpuE4ELNS1_3repE0EEENS1_30default_config_static_selectorELNS0_4arch9wavefront6targetE1EEEvT1_, .Lfunc_end3448-_ZN7rocprim17ROCPRIM_400000_NS6detail17trampoline_kernelINS0_14default_configENS1_25partition_config_selectorILNS1_17partition_subalgoE1EsNS0_10empty_typeEbEEZZNS1_14partition_implILS5_1ELb0ES3_jN6thrust23THRUST_200600_302600_NS6detail15normal_iteratorINSA_10device_ptrIsEEEEPS6_NSA_18transform_iteratorI7is_evenIsESF_NSA_11use_defaultESK_EENS0_5tupleIJNSA_16discard_iteratorISK_EESF_EEENSM_IJSG_SG_EEES6_PlJS6_EEE10hipError_tPvRmT3_T4_T5_T6_T7_T9_mT8_P12ihipStream_tbDpT10_ENKUlT_T0_E_clISt17integral_constantIbLb0EES1A_IbLb1EEEEDaS16_S17_EUlS16_E_NS1_11comp_targetILNS1_3genE10ELNS1_11target_archE1200ELNS1_3gpuE4ELNS1_3repE0EEENS1_30default_config_static_selectorELNS0_4arch9wavefront6targetE1EEEvT1_
                                        ; -- End function
	.section	.AMDGPU.csdata,"",@progbits
; Kernel info:
; codeLenInByte = 0
; NumSgprs: 6
; NumVgprs: 0
; NumAgprs: 0
; TotalNumVgprs: 0
; ScratchSize: 0
; MemoryBound: 0
; FloatMode: 240
; IeeeMode: 1
; LDSByteSize: 0 bytes/workgroup (compile time only)
; SGPRBlocks: 0
; VGPRBlocks: 0
; NumSGPRsForWavesPerEU: 6
; NumVGPRsForWavesPerEU: 1
; AccumOffset: 4
; Occupancy: 8
; WaveLimiterHint : 0
; COMPUTE_PGM_RSRC2:SCRATCH_EN: 0
; COMPUTE_PGM_RSRC2:USER_SGPR: 2
; COMPUTE_PGM_RSRC2:TRAP_HANDLER: 0
; COMPUTE_PGM_RSRC2:TGID_X_EN: 1
; COMPUTE_PGM_RSRC2:TGID_Y_EN: 0
; COMPUTE_PGM_RSRC2:TGID_Z_EN: 0
; COMPUTE_PGM_RSRC2:TIDIG_COMP_CNT: 0
; COMPUTE_PGM_RSRC3_GFX90A:ACCUM_OFFSET: 0
; COMPUTE_PGM_RSRC3_GFX90A:TG_SPLIT: 0
	.section	.text._ZN7rocprim17ROCPRIM_400000_NS6detail17trampoline_kernelINS0_14default_configENS1_25partition_config_selectorILNS1_17partition_subalgoE1EsNS0_10empty_typeEbEEZZNS1_14partition_implILS5_1ELb0ES3_jN6thrust23THRUST_200600_302600_NS6detail15normal_iteratorINSA_10device_ptrIsEEEEPS6_NSA_18transform_iteratorI7is_evenIsESF_NSA_11use_defaultESK_EENS0_5tupleIJNSA_16discard_iteratorISK_EESF_EEENSM_IJSG_SG_EEES6_PlJS6_EEE10hipError_tPvRmT3_T4_T5_T6_T7_T9_mT8_P12ihipStream_tbDpT10_ENKUlT_T0_E_clISt17integral_constantIbLb0EES1A_IbLb1EEEEDaS16_S17_EUlS16_E_NS1_11comp_targetILNS1_3genE9ELNS1_11target_archE1100ELNS1_3gpuE3ELNS1_3repE0EEENS1_30default_config_static_selectorELNS0_4arch9wavefront6targetE1EEEvT1_,"axG",@progbits,_ZN7rocprim17ROCPRIM_400000_NS6detail17trampoline_kernelINS0_14default_configENS1_25partition_config_selectorILNS1_17partition_subalgoE1EsNS0_10empty_typeEbEEZZNS1_14partition_implILS5_1ELb0ES3_jN6thrust23THRUST_200600_302600_NS6detail15normal_iteratorINSA_10device_ptrIsEEEEPS6_NSA_18transform_iteratorI7is_evenIsESF_NSA_11use_defaultESK_EENS0_5tupleIJNSA_16discard_iteratorISK_EESF_EEENSM_IJSG_SG_EEES6_PlJS6_EEE10hipError_tPvRmT3_T4_T5_T6_T7_T9_mT8_P12ihipStream_tbDpT10_ENKUlT_T0_E_clISt17integral_constantIbLb0EES1A_IbLb1EEEEDaS16_S17_EUlS16_E_NS1_11comp_targetILNS1_3genE9ELNS1_11target_archE1100ELNS1_3gpuE3ELNS1_3repE0EEENS1_30default_config_static_selectorELNS0_4arch9wavefront6targetE1EEEvT1_,comdat
	.protected	_ZN7rocprim17ROCPRIM_400000_NS6detail17trampoline_kernelINS0_14default_configENS1_25partition_config_selectorILNS1_17partition_subalgoE1EsNS0_10empty_typeEbEEZZNS1_14partition_implILS5_1ELb0ES3_jN6thrust23THRUST_200600_302600_NS6detail15normal_iteratorINSA_10device_ptrIsEEEEPS6_NSA_18transform_iteratorI7is_evenIsESF_NSA_11use_defaultESK_EENS0_5tupleIJNSA_16discard_iteratorISK_EESF_EEENSM_IJSG_SG_EEES6_PlJS6_EEE10hipError_tPvRmT3_T4_T5_T6_T7_T9_mT8_P12ihipStream_tbDpT10_ENKUlT_T0_E_clISt17integral_constantIbLb0EES1A_IbLb1EEEEDaS16_S17_EUlS16_E_NS1_11comp_targetILNS1_3genE9ELNS1_11target_archE1100ELNS1_3gpuE3ELNS1_3repE0EEENS1_30default_config_static_selectorELNS0_4arch9wavefront6targetE1EEEvT1_ ; -- Begin function _ZN7rocprim17ROCPRIM_400000_NS6detail17trampoline_kernelINS0_14default_configENS1_25partition_config_selectorILNS1_17partition_subalgoE1EsNS0_10empty_typeEbEEZZNS1_14partition_implILS5_1ELb0ES3_jN6thrust23THRUST_200600_302600_NS6detail15normal_iteratorINSA_10device_ptrIsEEEEPS6_NSA_18transform_iteratorI7is_evenIsESF_NSA_11use_defaultESK_EENS0_5tupleIJNSA_16discard_iteratorISK_EESF_EEENSM_IJSG_SG_EEES6_PlJS6_EEE10hipError_tPvRmT3_T4_T5_T6_T7_T9_mT8_P12ihipStream_tbDpT10_ENKUlT_T0_E_clISt17integral_constantIbLb0EES1A_IbLb1EEEEDaS16_S17_EUlS16_E_NS1_11comp_targetILNS1_3genE9ELNS1_11target_archE1100ELNS1_3gpuE3ELNS1_3repE0EEENS1_30default_config_static_selectorELNS0_4arch9wavefront6targetE1EEEvT1_
	.globl	_ZN7rocprim17ROCPRIM_400000_NS6detail17trampoline_kernelINS0_14default_configENS1_25partition_config_selectorILNS1_17partition_subalgoE1EsNS0_10empty_typeEbEEZZNS1_14partition_implILS5_1ELb0ES3_jN6thrust23THRUST_200600_302600_NS6detail15normal_iteratorINSA_10device_ptrIsEEEEPS6_NSA_18transform_iteratorI7is_evenIsESF_NSA_11use_defaultESK_EENS0_5tupleIJNSA_16discard_iteratorISK_EESF_EEENSM_IJSG_SG_EEES6_PlJS6_EEE10hipError_tPvRmT3_T4_T5_T6_T7_T9_mT8_P12ihipStream_tbDpT10_ENKUlT_T0_E_clISt17integral_constantIbLb0EES1A_IbLb1EEEEDaS16_S17_EUlS16_E_NS1_11comp_targetILNS1_3genE9ELNS1_11target_archE1100ELNS1_3gpuE3ELNS1_3repE0EEENS1_30default_config_static_selectorELNS0_4arch9wavefront6targetE1EEEvT1_
	.p2align	8
	.type	_ZN7rocprim17ROCPRIM_400000_NS6detail17trampoline_kernelINS0_14default_configENS1_25partition_config_selectorILNS1_17partition_subalgoE1EsNS0_10empty_typeEbEEZZNS1_14partition_implILS5_1ELb0ES3_jN6thrust23THRUST_200600_302600_NS6detail15normal_iteratorINSA_10device_ptrIsEEEEPS6_NSA_18transform_iteratorI7is_evenIsESF_NSA_11use_defaultESK_EENS0_5tupleIJNSA_16discard_iteratorISK_EESF_EEENSM_IJSG_SG_EEES6_PlJS6_EEE10hipError_tPvRmT3_T4_T5_T6_T7_T9_mT8_P12ihipStream_tbDpT10_ENKUlT_T0_E_clISt17integral_constantIbLb0EES1A_IbLb1EEEEDaS16_S17_EUlS16_E_NS1_11comp_targetILNS1_3genE9ELNS1_11target_archE1100ELNS1_3gpuE3ELNS1_3repE0EEENS1_30default_config_static_selectorELNS0_4arch9wavefront6targetE1EEEvT1_,@function
_ZN7rocprim17ROCPRIM_400000_NS6detail17trampoline_kernelINS0_14default_configENS1_25partition_config_selectorILNS1_17partition_subalgoE1EsNS0_10empty_typeEbEEZZNS1_14partition_implILS5_1ELb0ES3_jN6thrust23THRUST_200600_302600_NS6detail15normal_iteratorINSA_10device_ptrIsEEEEPS6_NSA_18transform_iteratorI7is_evenIsESF_NSA_11use_defaultESK_EENS0_5tupleIJNSA_16discard_iteratorISK_EESF_EEENSM_IJSG_SG_EEES6_PlJS6_EEE10hipError_tPvRmT3_T4_T5_T6_T7_T9_mT8_P12ihipStream_tbDpT10_ENKUlT_T0_E_clISt17integral_constantIbLb0EES1A_IbLb1EEEEDaS16_S17_EUlS16_E_NS1_11comp_targetILNS1_3genE9ELNS1_11target_archE1100ELNS1_3gpuE3ELNS1_3repE0EEENS1_30default_config_static_selectorELNS0_4arch9wavefront6targetE1EEEvT1_: ; @_ZN7rocprim17ROCPRIM_400000_NS6detail17trampoline_kernelINS0_14default_configENS1_25partition_config_selectorILNS1_17partition_subalgoE1EsNS0_10empty_typeEbEEZZNS1_14partition_implILS5_1ELb0ES3_jN6thrust23THRUST_200600_302600_NS6detail15normal_iteratorINSA_10device_ptrIsEEEEPS6_NSA_18transform_iteratorI7is_evenIsESF_NSA_11use_defaultESK_EENS0_5tupleIJNSA_16discard_iteratorISK_EESF_EEENSM_IJSG_SG_EEES6_PlJS6_EEE10hipError_tPvRmT3_T4_T5_T6_T7_T9_mT8_P12ihipStream_tbDpT10_ENKUlT_T0_E_clISt17integral_constantIbLb0EES1A_IbLb1EEEEDaS16_S17_EUlS16_E_NS1_11comp_targetILNS1_3genE9ELNS1_11target_archE1100ELNS1_3gpuE3ELNS1_3repE0EEENS1_30default_config_static_selectorELNS0_4arch9wavefront6targetE1EEEvT1_
; %bb.0:
	.section	.rodata,"a",@progbits
	.p2align	6, 0x0
	.amdhsa_kernel _ZN7rocprim17ROCPRIM_400000_NS6detail17trampoline_kernelINS0_14default_configENS1_25partition_config_selectorILNS1_17partition_subalgoE1EsNS0_10empty_typeEbEEZZNS1_14partition_implILS5_1ELb0ES3_jN6thrust23THRUST_200600_302600_NS6detail15normal_iteratorINSA_10device_ptrIsEEEEPS6_NSA_18transform_iteratorI7is_evenIsESF_NSA_11use_defaultESK_EENS0_5tupleIJNSA_16discard_iteratorISK_EESF_EEENSM_IJSG_SG_EEES6_PlJS6_EEE10hipError_tPvRmT3_T4_T5_T6_T7_T9_mT8_P12ihipStream_tbDpT10_ENKUlT_T0_E_clISt17integral_constantIbLb0EES1A_IbLb1EEEEDaS16_S17_EUlS16_E_NS1_11comp_targetILNS1_3genE9ELNS1_11target_archE1100ELNS1_3gpuE3ELNS1_3repE0EEENS1_30default_config_static_selectorELNS0_4arch9wavefront6targetE1EEEvT1_
		.amdhsa_group_segment_fixed_size 0
		.amdhsa_private_segment_fixed_size 0
		.amdhsa_kernarg_size 152
		.amdhsa_user_sgpr_count 2
		.amdhsa_user_sgpr_dispatch_ptr 0
		.amdhsa_user_sgpr_queue_ptr 0
		.amdhsa_user_sgpr_kernarg_segment_ptr 1
		.amdhsa_user_sgpr_dispatch_id 0
		.amdhsa_user_sgpr_kernarg_preload_length 0
		.amdhsa_user_sgpr_kernarg_preload_offset 0
		.amdhsa_user_sgpr_private_segment_size 0
		.amdhsa_uses_dynamic_stack 0
		.amdhsa_enable_private_segment 0
		.amdhsa_system_sgpr_workgroup_id_x 1
		.amdhsa_system_sgpr_workgroup_id_y 0
		.amdhsa_system_sgpr_workgroup_id_z 0
		.amdhsa_system_sgpr_workgroup_info 0
		.amdhsa_system_vgpr_workitem_id 0
		.amdhsa_next_free_vgpr 1
		.amdhsa_next_free_sgpr 0
		.amdhsa_accum_offset 4
		.amdhsa_reserve_vcc 0
		.amdhsa_float_round_mode_32 0
		.amdhsa_float_round_mode_16_64 0
		.amdhsa_float_denorm_mode_32 3
		.amdhsa_float_denorm_mode_16_64 3
		.amdhsa_dx10_clamp 1
		.amdhsa_ieee_mode 1
		.amdhsa_fp16_overflow 0
		.amdhsa_tg_split 0
		.amdhsa_exception_fp_ieee_invalid_op 0
		.amdhsa_exception_fp_denorm_src 0
		.amdhsa_exception_fp_ieee_div_zero 0
		.amdhsa_exception_fp_ieee_overflow 0
		.amdhsa_exception_fp_ieee_underflow 0
		.amdhsa_exception_fp_ieee_inexact 0
		.amdhsa_exception_int_div_zero 0
	.end_amdhsa_kernel
	.section	.text._ZN7rocprim17ROCPRIM_400000_NS6detail17trampoline_kernelINS0_14default_configENS1_25partition_config_selectorILNS1_17partition_subalgoE1EsNS0_10empty_typeEbEEZZNS1_14partition_implILS5_1ELb0ES3_jN6thrust23THRUST_200600_302600_NS6detail15normal_iteratorINSA_10device_ptrIsEEEEPS6_NSA_18transform_iteratorI7is_evenIsESF_NSA_11use_defaultESK_EENS0_5tupleIJNSA_16discard_iteratorISK_EESF_EEENSM_IJSG_SG_EEES6_PlJS6_EEE10hipError_tPvRmT3_T4_T5_T6_T7_T9_mT8_P12ihipStream_tbDpT10_ENKUlT_T0_E_clISt17integral_constantIbLb0EES1A_IbLb1EEEEDaS16_S17_EUlS16_E_NS1_11comp_targetILNS1_3genE9ELNS1_11target_archE1100ELNS1_3gpuE3ELNS1_3repE0EEENS1_30default_config_static_selectorELNS0_4arch9wavefront6targetE1EEEvT1_,"axG",@progbits,_ZN7rocprim17ROCPRIM_400000_NS6detail17trampoline_kernelINS0_14default_configENS1_25partition_config_selectorILNS1_17partition_subalgoE1EsNS0_10empty_typeEbEEZZNS1_14partition_implILS5_1ELb0ES3_jN6thrust23THRUST_200600_302600_NS6detail15normal_iteratorINSA_10device_ptrIsEEEEPS6_NSA_18transform_iteratorI7is_evenIsESF_NSA_11use_defaultESK_EENS0_5tupleIJNSA_16discard_iteratorISK_EESF_EEENSM_IJSG_SG_EEES6_PlJS6_EEE10hipError_tPvRmT3_T4_T5_T6_T7_T9_mT8_P12ihipStream_tbDpT10_ENKUlT_T0_E_clISt17integral_constantIbLb0EES1A_IbLb1EEEEDaS16_S17_EUlS16_E_NS1_11comp_targetILNS1_3genE9ELNS1_11target_archE1100ELNS1_3gpuE3ELNS1_3repE0EEENS1_30default_config_static_selectorELNS0_4arch9wavefront6targetE1EEEvT1_,comdat
.Lfunc_end3449:
	.size	_ZN7rocprim17ROCPRIM_400000_NS6detail17trampoline_kernelINS0_14default_configENS1_25partition_config_selectorILNS1_17partition_subalgoE1EsNS0_10empty_typeEbEEZZNS1_14partition_implILS5_1ELb0ES3_jN6thrust23THRUST_200600_302600_NS6detail15normal_iteratorINSA_10device_ptrIsEEEEPS6_NSA_18transform_iteratorI7is_evenIsESF_NSA_11use_defaultESK_EENS0_5tupleIJNSA_16discard_iteratorISK_EESF_EEENSM_IJSG_SG_EEES6_PlJS6_EEE10hipError_tPvRmT3_T4_T5_T6_T7_T9_mT8_P12ihipStream_tbDpT10_ENKUlT_T0_E_clISt17integral_constantIbLb0EES1A_IbLb1EEEEDaS16_S17_EUlS16_E_NS1_11comp_targetILNS1_3genE9ELNS1_11target_archE1100ELNS1_3gpuE3ELNS1_3repE0EEENS1_30default_config_static_selectorELNS0_4arch9wavefront6targetE1EEEvT1_, .Lfunc_end3449-_ZN7rocprim17ROCPRIM_400000_NS6detail17trampoline_kernelINS0_14default_configENS1_25partition_config_selectorILNS1_17partition_subalgoE1EsNS0_10empty_typeEbEEZZNS1_14partition_implILS5_1ELb0ES3_jN6thrust23THRUST_200600_302600_NS6detail15normal_iteratorINSA_10device_ptrIsEEEEPS6_NSA_18transform_iteratorI7is_evenIsESF_NSA_11use_defaultESK_EENS0_5tupleIJNSA_16discard_iteratorISK_EESF_EEENSM_IJSG_SG_EEES6_PlJS6_EEE10hipError_tPvRmT3_T4_T5_T6_T7_T9_mT8_P12ihipStream_tbDpT10_ENKUlT_T0_E_clISt17integral_constantIbLb0EES1A_IbLb1EEEEDaS16_S17_EUlS16_E_NS1_11comp_targetILNS1_3genE9ELNS1_11target_archE1100ELNS1_3gpuE3ELNS1_3repE0EEENS1_30default_config_static_selectorELNS0_4arch9wavefront6targetE1EEEvT1_
                                        ; -- End function
	.section	.AMDGPU.csdata,"",@progbits
; Kernel info:
; codeLenInByte = 0
; NumSgprs: 6
; NumVgprs: 0
; NumAgprs: 0
; TotalNumVgprs: 0
; ScratchSize: 0
; MemoryBound: 0
; FloatMode: 240
; IeeeMode: 1
; LDSByteSize: 0 bytes/workgroup (compile time only)
; SGPRBlocks: 0
; VGPRBlocks: 0
; NumSGPRsForWavesPerEU: 6
; NumVGPRsForWavesPerEU: 1
; AccumOffset: 4
; Occupancy: 8
; WaveLimiterHint : 0
; COMPUTE_PGM_RSRC2:SCRATCH_EN: 0
; COMPUTE_PGM_RSRC2:USER_SGPR: 2
; COMPUTE_PGM_RSRC2:TRAP_HANDLER: 0
; COMPUTE_PGM_RSRC2:TGID_X_EN: 1
; COMPUTE_PGM_RSRC2:TGID_Y_EN: 0
; COMPUTE_PGM_RSRC2:TGID_Z_EN: 0
; COMPUTE_PGM_RSRC2:TIDIG_COMP_CNT: 0
; COMPUTE_PGM_RSRC3_GFX90A:ACCUM_OFFSET: 0
; COMPUTE_PGM_RSRC3_GFX90A:TG_SPLIT: 0
	.section	.text._ZN7rocprim17ROCPRIM_400000_NS6detail17trampoline_kernelINS0_14default_configENS1_25partition_config_selectorILNS1_17partition_subalgoE1EsNS0_10empty_typeEbEEZZNS1_14partition_implILS5_1ELb0ES3_jN6thrust23THRUST_200600_302600_NS6detail15normal_iteratorINSA_10device_ptrIsEEEEPS6_NSA_18transform_iteratorI7is_evenIsESF_NSA_11use_defaultESK_EENS0_5tupleIJNSA_16discard_iteratorISK_EESF_EEENSM_IJSG_SG_EEES6_PlJS6_EEE10hipError_tPvRmT3_T4_T5_T6_T7_T9_mT8_P12ihipStream_tbDpT10_ENKUlT_T0_E_clISt17integral_constantIbLb0EES1A_IbLb1EEEEDaS16_S17_EUlS16_E_NS1_11comp_targetILNS1_3genE8ELNS1_11target_archE1030ELNS1_3gpuE2ELNS1_3repE0EEENS1_30default_config_static_selectorELNS0_4arch9wavefront6targetE1EEEvT1_,"axG",@progbits,_ZN7rocprim17ROCPRIM_400000_NS6detail17trampoline_kernelINS0_14default_configENS1_25partition_config_selectorILNS1_17partition_subalgoE1EsNS0_10empty_typeEbEEZZNS1_14partition_implILS5_1ELb0ES3_jN6thrust23THRUST_200600_302600_NS6detail15normal_iteratorINSA_10device_ptrIsEEEEPS6_NSA_18transform_iteratorI7is_evenIsESF_NSA_11use_defaultESK_EENS0_5tupleIJNSA_16discard_iteratorISK_EESF_EEENSM_IJSG_SG_EEES6_PlJS6_EEE10hipError_tPvRmT3_T4_T5_T6_T7_T9_mT8_P12ihipStream_tbDpT10_ENKUlT_T0_E_clISt17integral_constantIbLb0EES1A_IbLb1EEEEDaS16_S17_EUlS16_E_NS1_11comp_targetILNS1_3genE8ELNS1_11target_archE1030ELNS1_3gpuE2ELNS1_3repE0EEENS1_30default_config_static_selectorELNS0_4arch9wavefront6targetE1EEEvT1_,comdat
	.protected	_ZN7rocprim17ROCPRIM_400000_NS6detail17trampoline_kernelINS0_14default_configENS1_25partition_config_selectorILNS1_17partition_subalgoE1EsNS0_10empty_typeEbEEZZNS1_14partition_implILS5_1ELb0ES3_jN6thrust23THRUST_200600_302600_NS6detail15normal_iteratorINSA_10device_ptrIsEEEEPS6_NSA_18transform_iteratorI7is_evenIsESF_NSA_11use_defaultESK_EENS0_5tupleIJNSA_16discard_iteratorISK_EESF_EEENSM_IJSG_SG_EEES6_PlJS6_EEE10hipError_tPvRmT3_T4_T5_T6_T7_T9_mT8_P12ihipStream_tbDpT10_ENKUlT_T0_E_clISt17integral_constantIbLb0EES1A_IbLb1EEEEDaS16_S17_EUlS16_E_NS1_11comp_targetILNS1_3genE8ELNS1_11target_archE1030ELNS1_3gpuE2ELNS1_3repE0EEENS1_30default_config_static_selectorELNS0_4arch9wavefront6targetE1EEEvT1_ ; -- Begin function _ZN7rocprim17ROCPRIM_400000_NS6detail17trampoline_kernelINS0_14default_configENS1_25partition_config_selectorILNS1_17partition_subalgoE1EsNS0_10empty_typeEbEEZZNS1_14partition_implILS5_1ELb0ES3_jN6thrust23THRUST_200600_302600_NS6detail15normal_iteratorINSA_10device_ptrIsEEEEPS6_NSA_18transform_iteratorI7is_evenIsESF_NSA_11use_defaultESK_EENS0_5tupleIJNSA_16discard_iteratorISK_EESF_EEENSM_IJSG_SG_EEES6_PlJS6_EEE10hipError_tPvRmT3_T4_T5_T6_T7_T9_mT8_P12ihipStream_tbDpT10_ENKUlT_T0_E_clISt17integral_constantIbLb0EES1A_IbLb1EEEEDaS16_S17_EUlS16_E_NS1_11comp_targetILNS1_3genE8ELNS1_11target_archE1030ELNS1_3gpuE2ELNS1_3repE0EEENS1_30default_config_static_selectorELNS0_4arch9wavefront6targetE1EEEvT1_
	.globl	_ZN7rocprim17ROCPRIM_400000_NS6detail17trampoline_kernelINS0_14default_configENS1_25partition_config_selectorILNS1_17partition_subalgoE1EsNS0_10empty_typeEbEEZZNS1_14partition_implILS5_1ELb0ES3_jN6thrust23THRUST_200600_302600_NS6detail15normal_iteratorINSA_10device_ptrIsEEEEPS6_NSA_18transform_iteratorI7is_evenIsESF_NSA_11use_defaultESK_EENS0_5tupleIJNSA_16discard_iteratorISK_EESF_EEENSM_IJSG_SG_EEES6_PlJS6_EEE10hipError_tPvRmT3_T4_T5_T6_T7_T9_mT8_P12ihipStream_tbDpT10_ENKUlT_T0_E_clISt17integral_constantIbLb0EES1A_IbLb1EEEEDaS16_S17_EUlS16_E_NS1_11comp_targetILNS1_3genE8ELNS1_11target_archE1030ELNS1_3gpuE2ELNS1_3repE0EEENS1_30default_config_static_selectorELNS0_4arch9wavefront6targetE1EEEvT1_
	.p2align	8
	.type	_ZN7rocprim17ROCPRIM_400000_NS6detail17trampoline_kernelINS0_14default_configENS1_25partition_config_selectorILNS1_17partition_subalgoE1EsNS0_10empty_typeEbEEZZNS1_14partition_implILS5_1ELb0ES3_jN6thrust23THRUST_200600_302600_NS6detail15normal_iteratorINSA_10device_ptrIsEEEEPS6_NSA_18transform_iteratorI7is_evenIsESF_NSA_11use_defaultESK_EENS0_5tupleIJNSA_16discard_iteratorISK_EESF_EEENSM_IJSG_SG_EEES6_PlJS6_EEE10hipError_tPvRmT3_T4_T5_T6_T7_T9_mT8_P12ihipStream_tbDpT10_ENKUlT_T0_E_clISt17integral_constantIbLb0EES1A_IbLb1EEEEDaS16_S17_EUlS16_E_NS1_11comp_targetILNS1_3genE8ELNS1_11target_archE1030ELNS1_3gpuE2ELNS1_3repE0EEENS1_30default_config_static_selectorELNS0_4arch9wavefront6targetE1EEEvT1_,@function
_ZN7rocprim17ROCPRIM_400000_NS6detail17trampoline_kernelINS0_14default_configENS1_25partition_config_selectorILNS1_17partition_subalgoE1EsNS0_10empty_typeEbEEZZNS1_14partition_implILS5_1ELb0ES3_jN6thrust23THRUST_200600_302600_NS6detail15normal_iteratorINSA_10device_ptrIsEEEEPS6_NSA_18transform_iteratorI7is_evenIsESF_NSA_11use_defaultESK_EENS0_5tupleIJNSA_16discard_iteratorISK_EESF_EEENSM_IJSG_SG_EEES6_PlJS6_EEE10hipError_tPvRmT3_T4_T5_T6_T7_T9_mT8_P12ihipStream_tbDpT10_ENKUlT_T0_E_clISt17integral_constantIbLb0EES1A_IbLb1EEEEDaS16_S17_EUlS16_E_NS1_11comp_targetILNS1_3genE8ELNS1_11target_archE1030ELNS1_3gpuE2ELNS1_3repE0EEENS1_30default_config_static_selectorELNS0_4arch9wavefront6targetE1EEEvT1_: ; @_ZN7rocprim17ROCPRIM_400000_NS6detail17trampoline_kernelINS0_14default_configENS1_25partition_config_selectorILNS1_17partition_subalgoE1EsNS0_10empty_typeEbEEZZNS1_14partition_implILS5_1ELb0ES3_jN6thrust23THRUST_200600_302600_NS6detail15normal_iteratorINSA_10device_ptrIsEEEEPS6_NSA_18transform_iteratorI7is_evenIsESF_NSA_11use_defaultESK_EENS0_5tupleIJNSA_16discard_iteratorISK_EESF_EEENSM_IJSG_SG_EEES6_PlJS6_EEE10hipError_tPvRmT3_T4_T5_T6_T7_T9_mT8_P12ihipStream_tbDpT10_ENKUlT_T0_E_clISt17integral_constantIbLb0EES1A_IbLb1EEEEDaS16_S17_EUlS16_E_NS1_11comp_targetILNS1_3genE8ELNS1_11target_archE1030ELNS1_3gpuE2ELNS1_3repE0EEENS1_30default_config_static_selectorELNS0_4arch9wavefront6targetE1EEEvT1_
; %bb.0:
	.section	.rodata,"a",@progbits
	.p2align	6, 0x0
	.amdhsa_kernel _ZN7rocprim17ROCPRIM_400000_NS6detail17trampoline_kernelINS0_14default_configENS1_25partition_config_selectorILNS1_17partition_subalgoE1EsNS0_10empty_typeEbEEZZNS1_14partition_implILS5_1ELb0ES3_jN6thrust23THRUST_200600_302600_NS6detail15normal_iteratorINSA_10device_ptrIsEEEEPS6_NSA_18transform_iteratorI7is_evenIsESF_NSA_11use_defaultESK_EENS0_5tupleIJNSA_16discard_iteratorISK_EESF_EEENSM_IJSG_SG_EEES6_PlJS6_EEE10hipError_tPvRmT3_T4_T5_T6_T7_T9_mT8_P12ihipStream_tbDpT10_ENKUlT_T0_E_clISt17integral_constantIbLb0EES1A_IbLb1EEEEDaS16_S17_EUlS16_E_NS1_11comp_targetILNS1_3genE8ELNS1_11target_archE1030ELNS1_3gpuE2ELNS1_3repE0EEENS1_30default_config_static_selectorELNS0_4arch9wavefront6targetE1EEEvT1_
		.amdhsa_group_segment_fixed_size 0
		.amdhsa_private_segment_fixed_size 0
		.amdhsa_kernarg_size 152
		.amdhsa_user_sgpr_count 2
		.amdhsa_user_sgpr_dispatch_ptr 0
		.amdhsa_user_sgpr_queue_ptr 0
		.amdhsa_user_sgpr_kernarg_segment_ptr 1
		.amdhsa_user_sgpr_dispatch_id 0
		.amdhsa_user_sgpr_kernarg_preload_length 0
		.amdhsa_user_sgpr_kernarg_preload_offset 0
		.amdhsa_user_sgpr_private_segment_size 0
		.amdhsa_uses_dynamic_stack 0
		.amdhsa_enable_private_segment 0
		.amdhsa_system_sgpr_workgroup_id_x 1
		.amdhsa_system_sgpr_workgroup_id_y 0
		.amdhsa_system_sgpr_workgroup_id_z 0
		.amdhsa_system_sgpr_workgroup_info 0
		.amdhsa_system_vgpr_workitem_id 0
		.amdhsa_next_free_vgpr 1
		.amdhsa_next_free_sgpr 0
		.amdhsa_accum_offset 4
		.amdhsa_reserve_vcc 0
		.amdhsa_float_round_mode_32 0
		.amdhsa_float_round_mode_16_64 0
		.amdhsa_float_denorm_mode_32 3
		.amdhsa_float_denorm_mode_16_64 3
		.amdhsa_dx10_clamp 1
		.amdhsa_ieee_mode 1
		.amdhsa_fp16_overflow 0
		.amdhsa_tg_split 0
		.amdhsa_exception_fp_ieee_invalid_op 0
		.amdhsa_exception_fp_denorm_src 0
		.amdhsa_exception_fp_ieee_div_zero 0
		.amdhsa_exception_fp_ieee_overflow 0
		.amdhsa_exception_fp_ieee_underflow 0
		.amdhsa_exception_fp_ieee_inexact 0
		.amdhsa_exception_int_div_zero 0
	.end_amdhsa_kernel
	.section	.text._ZN7rocprim17ROCPRIM_400000_NS6detail17trampoline_kernelINS0_14default_configENS1_25partition_config_selectorILNS1_17partition_subalgoE1EsNS0_10empty_typeEbEEZZNS1_14partition_implILS5_1ELb0ES3_jN6thrust23THRUST_200600_302600_NS6detail15normal_iteratorINSA_10device_ptrIsEEEEPS6_NSA_18transform_iteratorI7is_evenIsESF_NSA_11use_defaultESK_EENS0_5tupleIJNSA_16discard_iteratorISK_EESF_EEENSM_IJSG_SG_EEES6_PlJS6_EEE10hipError_tPvRmT3_T4_T5_T6_T7_T9_mT8_P12ihipStream_tbDpT10_ENKUlT_T0_E_clISt17integral_constantIbLb0EES1A_IbLb1EEEEDaS16_S17_EUlS16_E_NS1_11comp_targetILNS1_3genE8ELNS1_11target_archE1030ELNS1_3gpuE2ELNS1_3repE0EEENS1_30default_config_static_selectorELNS0_4arch9wavefront6targetE1EEEvT1_,"axG",@progbits,_ZN7rocprim17ROCPRIM_400000_NS6detail17trampoline_kernelINS0_14default_configENS1_25partition_config_selectorILNS1_17partition_subalgoE1EsNS0_10empty_typeEbEEZZNS1_14partition_implILS5_1ELb0ES3_jN6thrust23THRUST_200600_302600_NS6detail15normal_iteratorINSA_10device_ptrIsEEEEPS6_NSA_18transform_iteratorI7is_evenIsESF_NSA_11use_defaultESK_EENS0_5tupleIJNSA_16discard_iteratorISK_EESF_EEENSM_IJSG_SG_EEES6_PlJS6_EEE10hipError_tPvRmT3_T4_T5_T6_T7_T9_mT8_P12ihipStream_tbDpT10_ENKUlT_T0_E_clISt17integral_constantIbLb0EES1A_IbLb1EEEEDaS16_S17_EUlS16_E_NS1_11comp_targetILNS1_3genE8ELNS1_11target_archE1030ELNS1_3gpuE2ELNS1_3repE0EEENS1_30default_config_static_selectorELNS0_4arch9wavefront6targetE1EEEvT1_,comdat
.Lfunc_end3450:
	.size	_ZN7rocprim17ROCPRIM_400000_NS6detail17trampoline_kernelINS0_14default_configENS1_25partition_config_selectorILNS1_17partition_subalgoE1EsNS0_10empty_typeEbEEZZNS1_14partition_implILS5_1ELb0ES3_jN6thrust23THRUST_200600_302600_NS6detail15normal_iteratorINSA_10device_ptrIsEEEEPS6_NSA_18transform_iteratorI7is_evenIsESF_NSA_11use_defaultESK_EENS0_5tupleIJNSA_16discard_iteratorISK_EESF_EEENSM_IJSG_SG_EEES6_PlJS6_EEE10hipError_tPvRmT3_T4_T5_T6_T7_T9_mT8_P12ihipStream_tbDpT10_ENKUlT_T0_E_clISt17integral_constantIbLb0EES1A_IbLb1EEEEDaS16_S17_EUlS16_E_NS1_11comp_targetILNS1_3genE8ELNS1_11target_archE1030ELNS1_3gpuE2ELNS1_3repE0EEENS1_30default_config_static_selectorELNS0_4arch9wavefront6targetE1EEEvT1_, .Lfunc_end3450-_ZN7rocprim17ROCPRIM_400000_NS6detail17trampoline_kernelINS0_14default_configENS1_25partition_config_selectorILNS1_17partition_subalgoE1EsNS0_10empty_typeEbEEZZNS1_14partition_implILS5_1ELb0ES3_jN6thrust23THRUST_200600_302600_NS6detail15normal_iteratorINSA_10device_ptrIsEEEEPS6_NSA_18transform_iteratorI7is_evenIsESF_NSA_11use_defaultESK_EENS0_5tupleIJNSA_16discard_iteratorISK_EESF_EEENSM_IJSG_SG_EEES6_PlJS6_EEE10hipError_tPvRmT3_T4_T5_T6_T7_T9_mT8_P12ihipStream_tbDpT10_ENKUlT_T0_E_clISt17integral_constantIbLb0EES1A_IbLb1EEEEDaS16_S17_EUlS16_E_NS1_11comp_targetILNS1_3genE8ELNS1_11target_archE1030ELNS1_3gpuE2ELNS1_3repE0EEENS1_30default_config_static_selectorELNS0_4arch9wavefront6targetE1EEEvT1_
                                        ; -- End function
	.section	.AMDGPU.csdata,"",@progbits
; Kernel info:
; codeLenInByte = 0
; NumSgprs: 6
; NumVgprs: 0
; NumAgprs: 0
; TotalNumVgprs: 0
; ScratchSize: 0
; MemoryBound: 0
; FloatMode: 240
; IeeeMode: 1
; LDSByteSize: 0 bytes/workgroup (compile time only)
; SGPRBlocks: 0
; VGPRBlocks: 0
; NumSGPRsForWavesPerEU: 6
; NumVGPRsForWavesPerEU: 1
; AccumOffset: 4
; Occupancy: 8
; WaveLimiterHint : 0
; COMPUTE_PGM_RSRC2:SCRATCH_EN: 0
; COMPUTE_PGM_RSRC2:USER_SGPR: 2
; COMPUTE_PGM_RSRC2:TRAP_HANDLER: 0
; COMPUTE_PGM_RSRC2:TGID_X_EN: 1
; COMPUTE_PGM_RSRC2:TGID_Y_EN: 0
; COMPUTE_PGM_RSRC2:TGID_Z_EN: 0
; COMPUTE_PGM_RSRC2:TIDIG_COMP_CNT: 0
; COMPUTE_PGM_RSRC3_GFX90A:ACCUM_OFFSET: 0
; COMPUTE_PGM_RSRC3_GFX90A:TG_SPLIT: 0
	.section	.text._ZN6thrust23THRUST_200600_302600_NS11hip_rocprim14__parallel_for6kernelILj256ENS1_10for_each_fINS0_7pointerINS0_5tupleIxxNS0_9null_typeES7_S7_S7_S7_S7_S7_S7_EENS1_3tagENS0_11use_defaultESA_EENS0_6detail16wrapped_functionINSC_23allocator_traits_detail24construct1_via_allocatorINSC_18no_throw_allocatorINSC_19temporary_allocatorIS8_S9_EEEEEEvEEEEmLj1EEEvT0_T1_SO_,"axG",@progbits,_ZN6thrust23THRUST_200600_302600_NS11hip_rocprim14__parallel_for6kernelILj256ENS1_10for_each_fINS0_7pointerINS0_5tupleIxxNS0_9null_typeES7_S7_S7_S7_S7_S7_S7_EENS1_3tagENS0_11use_defaultESA_EENS0_6detail16wrapped_functionINSC_23allocator_traits_detail24construct1_via_allocatorINSC_18no_throw_allocatorINSC_19temporary_allocatorIS8_S9_EEEEEEvEEEEmLj1EEEvT0_T1_SO_,comdat
	.protected	_ZN6thrust23THRUST_200600_302600_NS11hip_rocprim14__parallel_for6kernelILj256ENS1_10for_each_fINS0_7pointerINS0_5tupleIxxNS0_9null_typeES7_S7_S7_S7_S7_S7_S7_EENS1_3tagENS0_11use_defaultESA_EENS0_6detail16wrapped_functionINSC_23allocator_traits_detail24construct1_via_allocatorINSC_18no_throw_allocatorINSC_19temporary_allocatorIS8_S9_EEEEEEvEEEEmLj1EEEvT0_T1_SO_ ; -- Begin function _ZN6thrust23THRUST_200600_302600_NS11hip_rocprim14__parallel_for6kernelILj256ENS1_10for_each_fINS0_7pointerINS0_5tupleIxxNS0_9null_typeES7_S7_S7_S7_S7_S7_S7_EENS1_3tagENS0_11use_defaultESA_EENS0_6detail16wrapped_functionINSC_23allocator_traits_detail24construct1_via_allocatorINSC_18no_throw_allocatorINSC_19temporary_allocatorIS8_S9_EEEEEEvEEEEmLj1EEEvT0_T1_SO_
	.globl	_ZN6thrust23THRUST_200600_302600_NS11hip_rocprim14__parallel_for6kernelILj256ENS1_10for_each_fINS0_7pointerINS0_5tupleIxxNS0_9null_typeES7_S7_S7_S7_S7_S7_S7_EENS1_3tagENS0_11use_defaultESA_EENS0_6detail16wrapped_functionINSC_23allocator_traits_detail24construct1_via_allocatorINSC_18no_throw_allocatorINSC_19temporary_allocatorIS8_S9_EEEEEEvEEEEmLj1EEEvT0_T1_SO_
	.p2align	8
	.type	_ZN6thrust23THRUST_200600_302600_NS11hip_rocprim14__parallel_for6kernelILj256ENS1_10for_each_fINS0_7pointerINS0_5tupleIxxNS0_9null_typeES7_S7_S7_S7_S7_S7_S7_EENS1_3tagENS0_11use_defaultESA_EENS0_6detail16wrapped_functionINSC_23allocator_traits_detail24construct1_via_allocatorINSC_18no_throw_allocatorINSC_19temporary_allocatorIS8_S9_EEEEEEvEEEEmLj1EEEvT0_T1_SO_,@function
_ZN6thrust23THRUST_200600_302600_NS11hip_rocprim14__parallel_for6kernelILj256ENS1_10for_each_fINS0_7pointerINS0_5tupleIxxNS0_9null_typeES7_S7_S7_S7_S7_S7_S7_EENS1_3tagENS0_11use_defaultESA_EENS0_6detail16wrapped_functionINSC_23allocator_traits_detail24construct1_via_allocatorINSC_18no_throw_allocatorINSC_19temporary_allocatorIS8_S9_EEEEEEvEEEEmLj1EEEvT0_T1_SO_: ; @_ZN6thrust23THRUST_200600_302600_NS11hip_rocprim14__parallel_for6kernelILj256ENS1_10for_each_fINS0_7pointerINS0_5tupleIxxNS0_9null_typeES7_S7_S7_S7_S7_S7_S7_EENS1_3tagENS0_11use_defaultESA_EENS0_6detail16wrapped_functionINSC_23allocator_traits_detail24construct1_via_allocatorINSC_18no_throw_allocatorINSC_19temporary_allocatorIS8_S9_EEEEEEvEEEEmLj1EEEvT0_T1_SO_
; %bb.0:
	s_load_dwordx4 s[8:11], s[0:1], 0x10
	s_load_dwordx2 s[4:5], s[0:1], 0x0
	s_lshl_b32 s0, s2, 8
	v_mov_b64_e32 v[2:3], 0x100
	s_waitcnt lgkmcnt(0)
	s_add_u32 s2, s0, s10
	s_addc_u32 s3, 0, s11
	s_sub_u32 s0, s8, s2
	s_subb_u32 s1, s9, s3
	v_cmp_lt_u64_e32 vcc, s[0:1], v[2:3]
	s_cbranch_vccz .LBB3451_4
; %bb.1:
	v_cmp_gt_u32_e32 vcc, s0, v0
	s_mov_b64 s[6:7], 0
	s_mov_b64 s[0:1], 0
                                        ; implicit-def: $vgpr2_vgpr3
	s_and_saveexec_b64 s[8:9], vcc
	s_xor_b64 s[8:9], exec, s[8:9]
; %bb.2:
	s_lshl_b64 s[10:11], s[2:3], 4
	s_add_u32 s10, s4, s10
	s_addc_u32 s11, s5, s11
	v_lshlrev_b32_e32 v2, 4, v0
	v_mov_b32_e32 v3, 0
	s_mov_b64 s[0:1], exec
	v_lshl_add_u64 v[2:3], s[10:11], 0, v[2:3]
; %bb.3:
	s_or_b64 exec, exec, s[8:9]
	s_and_b64 vcc, exec, s[6:7]
	s_cbranch_vccnz .LBB3451_5
	s_branch .LBB3451_6
.LBB3451_4:
	s_mov_b64 s[0:1], 0
                                        ; implicit-def: $vgpr2_vgpr3
	s_cbranch_execz .LBB3451_6
.LBB3451_5:
	s_lshl_b64 s[2:3], s[2:3], 4
	s_add_u32 s2, s4, s2
	s_addc_u32 s3, s5, s3
	v_lshlrev_b32_e32 v0, 4, v0
	v_mov_b32_e32 v1, 0
	v_lshl_add_u64 v[2:3], s[2:3], 0, v[0:1]
	s_or_b64 s[0:1], s[0:1], exec
.LBB3451_6:
	s_and_saveexec_b64 s[2:3], s[0:1]
	s_cbranch_execnz .LBB3451_8
; %bb.7:
	s_endpgm
.LBB3451_8:
	v_mov_b32_e32 v4, 0
	v_mov_b32_e32 v5, v4
	;; [unrolled: 1-line block ×4, first 2 shown]
	flat_store_dwordx4 v[2:3], v[4:7]
	s_endpgm
	.section	.rodata,"a",@progbits
	.p2align	6, 0x0
	.amdhsa_kernel _ZN6thrust23THRUST_200600_302600_NS11hip_rocprim14__parallel_for6kernelILj256ENS1_10for_each_fINS0_7pointerINS0_5tupleIxxNS0_9null_typeES7_S7_S7_S7_S7_S7_S7_EENS1_3tagENS0_11use_defaultESA_EENS0_6detail16wrapped_functionINSC_23allocator_traits_detail24construct1_via_allocatorINSC_18no_throw_allocatorINSC_19temporary_allocatorIS8_S9_EEEEEEvEEEEmLj1EEEvT0_T1_SO_
		.amdhsa_group_segment_fixed_size 0
		.amdhsa_private_segment_fixed_size 0
		.amdhsa_kernarg_size 32
		.amdhsa_user_sgpr_count 2
		.amdhsa_user_sgpr_dispatch_ptr 0
		.amdhsa_user_sgpr_queue_ptr 0
		.amdhsa_user_sgpr_kernarg_segment_ptr 1
		.amdhsa_user_sgpr_dispatch_id 0
		.amdhsa_user_sgpr_kernarg_preload_length 0
		.amdhsa_user_sgpr_kernarg_preload_offset 0
		.amdhsa_user_sgpr_private_segment_size 0
		.amdhsa_uses_dynamic_stack 0
		.amdhsa_enable_private_segment 0
		.amdhsa_system_sgpr_workgroup_id_x 1
		.amdhsa_system_sgpr_workgroup_id_y 0
		.amdhsa_system_sgpr_workgroup_id_z 0
		.amdhsa_system_sgpr_workgroup_info 0
		.amdhsa_system_vgpr_workitem_id 0
		.amdhsa_next_free_vgpr 8
		.amdhsa_next_free_sgpr 12
		.amdhsa_accum_offset 8
		.amdhsa_reserve_vcc 1
		.amdhsa_float_round_mode_32 0
		.amdhsa_float_round_mode_16_64 0
		.amdhsa_float_denorm_mode_32 3
		.amdhsa_float_denorm_mode_16_64 3
		.amdhsa_dx10_clamp 1
		.amdhsa_ieee_mode 1
		.amdhsa_fp16_overflow 0
		.amdhsa_tg_split 0
		.amdhsa_exception_fp_ieee_invalid_op 0
		.amdhsa_exception_fp_denorm_src 0
		.amdhsa_exception_fp_ieee_div_zero 0
		.amdhsa_exception_fp_ieee_overflow 0
		.amdhsa_exception_fp_ieee_underflow 0
		.amdhsa_exception_fp_ieee_inexact 0
		.amdhsa_exception_int_div_zero 0
	.end_amdhsa_kernel
	.section	.text._ZN6thrust23THRUST_200600_302600_NS11hip_rocprim14__parallel_for6kernelILj256ENS1_10for_each_fINS0_7pointerINS0_5tupleIxxNS0_9null_typeES7_S7_S7_S7_S7_S7_S7_EENS1_3tagENS0_11use_defaultESA_EENS0_6detail16wrapped_functionINSC_23allocator_traits_detail24construct1_via_allocatorINSC_18no_throw_allocatorINSC_19temporary_allocatorIS8_S9_EEEEEEvEEEEmLj1EEEvT0_T1_SO_,"axG",@progbits,_ZN6thrust23THRUST_200600_302600_NS11hip_rocprim14__parallel_for6kernelILj256ENS1_10for_each_fINS0_7pointerINS0_5tupleIxxNS0_9null_typeES7_S7_S7_S7_S7_S7_S7_EENS1_3tagENS0_11use_defaultESA_EENS0_6detail16wrapped_functionINSC_23allocator_traits_detail24construct1_via_allocatorINSC_18no_throw_allocatorINSC_19temporary_allocatorIS8_S9_EEEEEEvEEEEmLj1EEEvT0_T1_SO_,comdat
.Lfunc_end3451:
	.size	_ZN6thrust23THRUST_200600_302600_NS11hip_rocprim14__parallel_for6kernelILj256ENS1_10for_each_fINS0_7pointerINS0_5tupleIxxNS0_9null_typeES7_S7_S7_S7_S7_S7_S7_EENS1_3tagENS0_11use_defaultESA_EENS0_6detail16wrapped_functionINSC_23allocator_traits_detail24construct1_via_allocatorINSC_18no_throw_allocatorINSC_19temporary_allocatorIS8_S9_EEEEEEvEEEEmLj1EEEvT0_T1_SO_, .Lfunc_end3451-_ZN6thrust23THRUST_200600_302600_NS11hip_rocprim14__parallel_for6kernelILj256ENS1_10for_each_fINS0_7pointerINS0_5tupleIxxNS0_9null_typeES7_S7_S7_S7_S7_S7_S7_EENS1_3tagENS0_11use_defaultESA_EENS0_6detail16wrapped_functionINSC_23allocator_traits_detail24construct1_via_allocatorINSC_18no_throw_allocatorINSC_19temporary_allocatorIS8_S9_EEEEEEvEEEEmLj1EEEvT0_T1_SO_
                                        ; -- End function
	.section	.AMDGPU.csdata,"",@progbits
; Kernel info:
; codeLenInByte = 204
; NumSgprs: 18
; NumVgprs: 8
; NumAgprs: 0
; TotalNumVgprs: 8
; ScratchSize: 0
; MemoryBound: 0
; FloatMode: 240
; IeeeMode: 1
; LDSByteSize: 0 bytes/workgroup (compile time only)
; SGPRBlocks: 2
; VGPRBlocks: 0
; NumSGPRsForWavesPerEU: 18
; NumVGPRsForWavesPerEU: 8
; AccumOffset: 8
; Occupancy: 8
; WaveLimiterHint : 0
; COMPUTE_PGM_RSRC2:SCRATCH_EN: 0
; COMPUTE_PGM_RSRC2:USER_SGPR: 2
; COMPUTE_PGM_RSRC2:TRAP_HANDLER: 0
; COMPUTE_PGM_RSRC2:TGID_X_EN: 1
; COMPUTE_PGM_RSRC2:TGID_Y_EN: 0
; COMPUTE_PGM_RSRC2:TGID_Z_EN: 0
; COMPUTE_PGM_RSRC2:TIDIG_COMP_CNT: 0
; COMPUTE_PGM_RSRC3_GFX90A:ACCUM_OFFSET: 1
; COMPUTE_PGM_RSRC3_GFX90A:TG_SPLIT: 0
	.section	.text._ZN6thrust23THRUST_200600_302600_NS11hip_rocprim14__parallel_for6kernelILj256ENS1_10for_each_fINS0_7pointerINS0_5tupleIxxNS0_9null_typeES7_S7_S7_S7_S7_S7_S7_EENS1_3tagENS0_11use_defaultESA_EENS0_6detail16wrapped_functionINSC_23allocator_traits_detail5gozerEvEEEElLj1EEEvT0_T1_SJ_,"axG",@progbits,_ZN6thrust23THRUST_200600_302600_NS11hip_rocprim14__parallel_for6kernelILj256ENS1_10for_each_fINS0_7pointerINS0_5tupleIxxNS0_9null_typeES7_S7_S7_S7_S7_S7_S7_EENS1_3tagENS0_11use_defaultESA_EENS0_6detail16wrapped_functionINSC_23allocator_traits_detail5gozerEvEEEElLj1EEEvT0_T1_SJ_,comdat
	.protected	_ZN6thrust23THRUST_200600_302600_NS11hip_rocprim14__parallel_for6kernelILj256ENS1_10for_each_fINS0_7pointerINS0_5tupleIxxNS0_9null_typeES7_S7_S7_S7_S7_S7_S7_EENS1_3tagENS0_11use_defaultESA_EENS0_6detail16wrapped_functionINSC_23allocator_traits_detail5gozerEvEEEElLj1EEEvT0_T1_SJ_ ; -- Begin function _ZN6thrust23THRUST_200600_302600_NS11hip_rocprim14__parallel_for6kernelILj256ENS1_10for_each_fINS0_7pointerINS0_5tupleIxxNS0_9null_typeES7_S7_S7_S7_S7_S7_S7_EENS1_3tagENS0_11use_defaultESA_EENS0_6detail16wrapped_functionINSC_23allocator_traits_detail5gozerEvEEEElLj1EEEvT0_T1_SJ_
	.globl	_ZN6thrust23THRUST_200600_302600_NS11hip_rocprim14__parallel_for6kernelILj256ENS1_10for_each_fINS0_7pointerINS0_5tupleIxxNS0_9null_typeES7_S7_S7_S7_S7_S7_S7_EENS1_3tagENS0_11use_defaultESA_EENS0_6detail16wrapped_functionINSC_23allocator_traits_detail5gozerEvEEEElLj1EEEvT0_T1_SJ_
	.p2align	8
	.type	_ZN6thrust23THRUST_200600_302600_NS11hip_rocprim14__parallel_for6kernelILj256ENS1_10for_each_fINS0_7pointerINS0_5tupleIxxNS0_9null_typeES7_S7_S7_S7_S7_S7_S7_EENS1_3tagENS0_11use_defaultESA_EENS0_6detail16wrapped_functionINSC_23allocator_traits_detail5gozerEvEEEElLj1EEEvT0_T1_SJ_,@function
_ZN6thrust23THRUST_200600_302600_NS11hip_rocprim14__parallel_for6kernelILj256ENS1_10for_each_fINS0_7pointerINS0_5tupleIxxNS0_9null_typeES7_S7_S7_S7_S7_S7_S7_EENS1_3tagENS0_11use_defaultESA_EENS0_6detail16wrapped_functionINSC_23allocator_traits_detail5gozerEvEEEElLj1EEEvT0_T1_SJ_: ; @_ZN6thrust23THRUST_200600_302600_NS11hip_rocprim14__parallel_for6kernelILj256ENS1_10for_each_fINS0_7pointerINS0_5tupleIxxNS0_9null_typeES7_S7_S7_S7_S7_S7_S7_EENS1_3tagENS0_11use_defaultESA_EENS0_6detail16wrapped_functionINSC_23allocator_traits_detail5gozerEvEEEElLj1EEEvT0_T1_SJ_
; %bb.0:
	s_endpgm
	.section	.rodata,"a",@progbits
	.p2align	6, 0x0
	.amdhsa_kernel _ZN6thrust23THRUST_200600_302600_NS11hip_rocprim14__parallel_for6kernelILj256ENS1_10for_each_fINS0_7pointerINS0_5tupleIxxNS0_9null_typeES7_S7_S7_S7_S7_S7_S7_EENS1_3tagENS0_11use_defaultESA_EENS0_6detail16wrapped_functionINSC_23allocator_traits_detail5gozerEvEEEElLj1EEEvT0_T1_SJ_
		.amdhsa_group_segment_fixed_size 0
		.amdhsa_private_segment_fixed_size 0
		.amdhsa_kernarg_size 32
		.amdhsa_user_sgpr_count 2
		.amdhsa_user_sgpr_dispatch_ptr 0
		.amdhsa_user_sgpr_queue_ptr 0
		.amdhsa_user_sgpr_kernarg_segment_ptr 1
		.amdhsa_user_sgpr_dispatch_id 0
		.amdhsa_user_sgpr_kernarg_preload_length 0
		.amdhsa_user_sgpr_kernarg_preload_offset 0
		.amdhsa_user_sgpr_private_segment_size 0
		.amdhsa_uses_dynamic_stack 0
		.amdhsa_enable_private_segment 0
		.amdhsa_system_sgpr_workgroup_id_x 1
		.amdhsa_system_sgpr_workgroup_id_y 0
		.amdhsa_system_sgpr_workgroup_id_z 0
		.amdhsa_system_sgpr_workgroup_info 0
		.amdhsa_system_vgpr_workitem_id 0
		.amdhsa_next_free_vgpr 1
		.amdhsa_next_free_sgpr 0
		.amdhsa_accum_offset 4
		.amdhsa_reserve_vcc 0
		.amdhsa_float_round_mode_32 0
		.amdhsa_float_round_mode_16_64 0
		.amdhsa_float_denorm_mode_32 3
		.amdhsa_float_denorm_mode_16_64 3
		.amdhsa_dx10_clamp 1
		.amdhsa_ieee_mode 1
		.amdhsa_fp16_overflow 0
		.amdhsa_tg_split 0
		.amdhsa_exception_fp_ieee_invalid_op 0
		.amdhsa_exception_fp_denorm_src 0
		.amdhsa_exception_fp_ieee_div_zero 0
		.amdhsa_exception_fp_ieee_overflow 0
		.amdhsa_exception_fp_ieee_underflow 0
		.amdhsa_exception_fp_ieee_inexact 0
		.amdhsa_exception_int_div_zero 0
	.end_amdhsa_kernel
	.section	.text._ZN6thrust23THRUST_200600_302600_NS11hip_rocprim14__parallel_for6kernelILj256ENS1_10for_each_fINS0_7pointerINS0_5tupleIxxNS0_9null_typeES7_S7_S7_S7_S7_S7_S7_EENS1_3tagENS0_11use_defaultESA_EENS0_6detail16wrapped_functionINSC_23allocator_traits_detail5gozerEvEEEElLj1EEEvT0_T1_SJ_,"axG",@progbits,_ZN6thrust23THRUST_200600_302600_NS11hip_rocprim14__parallel_for6kernelILj256ENS1_10for_each_fINS0_7pointerINS0_5tupleIxxNS0_9null_typeES7_S7_S7_S7_S7_S7_S7_EENS1_3tagENS0_11use_defaultESA_EENS0_6detail16wrapped_functionINSC_23allocator_traits_detail5gozerEvEEEElLj1EEEvT0_T1_SJ_,comdat
.Lfunc_end3452:
	.size	_ZN6thrust23THRUST_200600_302600_NS11hip_rocprim14__parallel_for6kernelILj256ENS1_10for_each_fINS0_7pointerINS0_5tupleIxxNS0_9null_typeES7_S7_S7_S7_S7_S7_S7_EENS1_3tagENS0_11use_defaultESA_EENS0_6detail16wrapped_functionINSC_23allocator_traits_detail5gozerEvEEEElLj1EEEvT0_T1_SJ_, .Lfunc_end3452-_ZN6thrust23THRUST_200600_302600_NS11hip_rocprim14__parallel_for6kernelILj256ENS1_10for_each_fINS0_7pointerINS0_5tupleIxxNS0_9null_typeES7_S7_S7_S7_S7_S7_S7_EENS1_3tagENS0_11use_defaultESA_EENS0_6detail16wrapped_functionINSC_23allocator_traits_detail5gozerEvEEEElLj1EEEvT0_T1_SJ_
                                        ; -- End function
	.section	.AMDGPU.csdata,"",@progbits
; Kernel info:
; codeLenInByte = 4
; NumSgprs: 6
; NumVgprs: 0
; NumAgprs: 0
; TotalNumVgprs: 0
; ScratchSize: 0
; MemoryBound: 0
; FloatMode: 240
; IeeeMode: 1
; LDSByteSize: 0 bytes/workgroup (compile time only)
; SGPRBlocks: 0
; VGPRBlocks: 0
; NumSGPRsForWavesPerEU: 6
; NumVGPRsForWavesPerEU: 1
; AccumOffset: 4
; Occupancy: 8
; WaveLimiterHint : 0
; COMPUTE_PGM_RSRC2:SCRATCH_EN: 0
; COMPUTE_PGM_RSRC2:USER_SGPR: 2
; COMPUTE_PGM_RSRC2:TRAP_HANDLER: 0
; COMPUTE_PGM_RSRC2:TGID_X_EN: 1
; COMPUTE_PGM_RSRC2:TGID_Y_EN: 0
; COMPUTE_PGM_RSRC2:TGID_Z_EN: 0
; COMPUTE_PGM_RSRC2:TIDIG_COMP_CNT: 0
; COMPUTE_PGM_RSRC3_GFX90A:ACCUM_OFFSET: 0
; COMPUTE_PGM_RSRC3_GFX90A:TG_SPLIT: 0
	.section	.text._ZN6thrust23THRUST_200600_302600_NS11hip_rocprim14__parallel_for6kernelILj256ENS1_20__uninitialized_copy7functorINS0_12zip_iteratorINS0_5tupleINS0_6detail15normal_iteratorINS0_10device_ptrIxEEEESC_NS0_9null_typeESD_SD_SD_SD_SD_SD_SD_EEEENS9_INS0_7pointerINS7_IxxSD_SD_SD_SD_SD_SD_SD_SD_EENS1_3tagENS0_11use_defaultESJ_EEEEEElLj1EEEvT0_T1_SO_,"axG",@progbits,_ZN6thrust23THRUST_200600_302600_NS11hip_rocprim14__parallel_for6kernelILj256ENS1_20__uninitialized_copy7functorINS0_12zip_iteratorINS0_5tupleINS0_6detail15normal_iteratorINS0_10device_ptrIxEEEESC_NS0_9null_typeESD_SD_SD_SD_SD_SD_SD_EEEENS9_INS0_7pointerINS7_IxxSD_SD_SD_SD_SD_SD_SD_SD_EENS1_3tagENS0_11use_defaultESJ_EEEEEElLj1EEEvT0_T1_SO_,comdat
	.protected	_ZN6thrust23THRUST_200600_302600_NS11hip_rocprim14__parallel_for6kernelILj256ENS1_20__uninitialized_copy7functorINS0_12zip_iteratorINS0_5tupleINS0_6detail15normal_iteratorINS0_10device_ptrIxEEEESC_NS0_9null_typeESD_SD_SD_SD_SD_SD_SD_EEEENS9_INS0_7pointerINS7_IxxSD_SD_SD_SD_SD_SD_SD_SD_EENS1_3tagENS0_11use_defaultESJ_EEEEEElLj1EEEvT0_T1_SO_ ; -- Begin function _ZN6thrust23THRUST_200600_302600_NS11hip_rocprim14__parallel_for6kernelILj256ENS1_20__uninitialized_copy7functorINS0_12zip_iteratorINS0_5tupleINS0_6detail15normal_iteratorINS0_10device_ptrIxEEEESC_NS0_9null_typeESD_SD_SD_SD_SD_SD_SD_EEEENS9_INS0_7pointerINS7_IxxSD_SD_SD_SD_SD_SD_SD_SD_EENS1_3tagENS0_11use_defaultESJ_EEEEEElLj1EEEvT0_T1_SO_
	.globl	_ZN6thrust23THRUST_200600_302600_NS11hip_rocprim14__parallel_for6kernelILj256ENS1_20__uninitialized_copy7functorINS0_12zip_iteratorINS0_5tupleINS0_6detail15normal_iteratorINS0_10device_ptrIxEEEESC_NS0_9null_typeESD_SD_SD_SD_SD_SD_SD_EEEENS9_INS0_7pointerINS7_IxxSD_SD_SD_SD_SD_SD_SD_SD_EENS1_3tagENS0_11use_defaultESJ_EEEEEElLj1EEEvT0_T1_SO_
	.p2align	8
	.type	_ZN6thrust23THRUST_200600_302600_NS11hip_rocprim14__parallel_for6kernelILj256ENS1_20__uninitialized_copy7functorINS0_12zip_iteratorINS0_5tupleINS0_6detail15normal_iteratorINS0_10device_ptrIxEEEESC_NS0_9null_typeESD_SD_SD_SD_SD_SD_SD_EEEENS9_INS0_7pointerINS7_IxxSD_SD_SD_SD_SD_SD_SD_SD_EENS1_3tagENS0_11use_defaultESJ_EEEEEElLj1EEEvT0_T1_SO_,@function
_ZN6thrust23THRUST_200600_302600_NS11hip_rocprim14__parallel_for6kernelILj256ENS1_20__uninitialized_copy7functorINS0_12zip_iteratorINS0_5tupleINS0_6detail15normal_iteratorINS0_10device_ptrIxEEEESC_NS0_9null_typeESD_SD_SD_SD_SD_SD_SD_EEEENS9_INS0_7pointerINS7_IxxSD_SD_SD_SD_SD_SD_SD_SD_EENS1_3tagENS0_11use_defaultESJ_EEEEEElLj1EEEvT0_T1_SO_: ; @_ZN6thrust23THRUST_200600_302600_NS11hip_rocprim14__parallel_for6kernelILj256ENS1_20__uninitialized_copy7functorINS0_12zip_iteratorINS0_5tupleINS0_6detail15normal_iteratorINS0_10device_ptrIxEEEESC_NS0_9null_typeESD_SD_SD_SD_SD_SD_SD_EEEENS9_INS0_7pointerINS7_IxxSD_SD_SD_SD_SD_SD_SD_SD_EENS1_3tagENS0_11use_defaultESJ_EEEEEElLj1EEEvT0_T1_SO_
; %bb.0:
	s_load_dwordx2 s[12:13], s[0:1], 0x20
	s_load_dwordx8 s[4:11], s[0:1], 0x0
	s_lshl_b32 s0, s2, 8
	v_mov_b64_e32 v[2:3], 0x100
	s_waitcnt lgkmcnt(0)
	s_add_u32 s0, s0, s12
	s_addc_u32 s1, 0, s13
	s_sub_u32 s2, s10, s0
	s_subb_u32 s3, s11, s1
	v_cmp_lt_i64_e32 vcc, s[2:3], v[2:3]
	s_and_b64 s[10:11], vcc, exec
	s_cselect_b32 s10, s2, 0x100
	s_cmpk_lg_i32 s10, 0x100
	s_mov_b64 s[2:3], -1
	s_cbranch_scc1 .LBB3453_3
; %bb.1:
	s_andn2_b64 vcc, exec, s[2:3]
	s_cbranch_vccz .LBB3453_6
.LBB3453_2:
	s_endpgm
.LBB3453_3:
	v_cmp_gt_u32_e32 vcc, s10, v0
	s_and_saveexec_b64 s[2:3], vcc
	s_cbranch_execz .LBB3453_5
; %bb.4:
	v_mov_b32_e32 v1, 0
	v_lshl_add_u64 v[6:7], s[0:1], 0, v[0:1]
	v_lshlrev_b64 v[2:3], 3, v[6:7]
	v_lshl_add_u64 v[10:11], s[4:5], 0, v[2:3]
	v_lshl_add_u64 v[8:9], s[6:7], 0, v[2:3]
	global_load_dwordx2 v[2:3], v[10:11], off
	global_load_dwordx2 v[4:5], v[8:9], off
	v_lshl_add_u64 v[6:7], v[6:7], 4, s[8:9]
	s_waitcnt vmcnt(0)
	flat_store_dwordx4 v[6:7], v[2:5]
.LBB3453_5:
	s_or_b64 exec, exec, s[2:3]
	s_cbranch_execnz .LBB3453_2
.LBB3453_6:
	v_mov_b32_e32 v1, 0
	v_lshl_add_u64 v[4:5], s[0:1], 0, v[0:1]
	v_lshlrev_b64 v[0:1], 3, v[4:5]
	v_lshl_add_u64 v[6:7], s[4:5], 0, v[0:1]
	v_lshl_add_u64 v[8:9], s[6:7], 0, v[0:1]
	global_load_dwordx2 v[0:1], v[6:7], off
	global_load_dwordx2 v[2:3], v[8:9], off
	v_lshl_add_u64 v[4:5], v[4:5], 4, s[8:9]
	s_waitcnt vmcnt(0)
	flat_store_dwordx4 v[4:5], v[0:3]
	s_endpgm
	.section	.rodata,"a",@progbits
	.p2align	6, 0x0
	.amdhsa_kernel _ZN6thrust23THRUST_200600_302600_NS11hip_rocprim14__parallel_for6kernelILj256ENS1_20__uninitialized_copy7functorINS0_12zip_iteratorINS0_5tupleINS0_6detail15normal_iteratorINS0_10device_ptrIxEEEESC_NS0_9null_typeESD_SD_SD_SD_SD_SD_SD_EEEENS9_INS0_7pointerINS7_IxxSD_SD_SD_SD_SD_SD_SD_SD_EENS1_3tagENS0_11use_defaultESJ_EEEEEElLj1EEEvT0_T1_SO_
		.amdhsa_group_segment_fixed_size 0
		.amdhsa_private_segment_fixed_size 0
		.amdhsa_kernarg_size 40
		.amdhsa_user_sgpr_count 2
		.amdhsa_user_sgpr_dispatch_ptr 0
		.amdhsa_user_sgpr_queue_ptr 0
		.amdhsa_user_sgpr_kernarg_segment_ptr 1
		.amdhsa_user_sgpr_dispatch_id 0
		.amdhsa_user_sgpr_kernarg_preload_length 0
		.amdhsa_user_sgpr_kernarg_preload_offset 0
		.amdhsa_user_sgpr_private_segment_size 0
		.amdhsa_uses_dynamic_stack 0
		.amdhsa_enable_private_segment 0
		.amdhsa_system_sgpr_workgroup_id_x 1
		.amdhsa_system_sgpr_workgroup_id_y 0
		.amdhsa_system_sgpr_workgroup_id_z 0
		.amdhsa_system_sgpr_workgroup_info 0
		.amdhsa_system_vgpr_workitem_id 0
		.amdhsa_next_free_vgpr 12
		.amdhsa_next_free_sgpr 14
		.amdhsa_accum_offset 12
		.amdhsa_reserve_vcc 1
		.amdhsa_float_round_mode_32 0
		.amdhsa_float_round_mode_16_64 0
		.amdhsa_float_denorm_mode_32 3
		.amdhsa_float_denorm_mode_16_64 3
		.amdhsa_dx10_clamp 1
		.amdhsa_ieee_mode 1
		.amdhsa_fp16_overflow 0
		.amdhsa_tg_split 0
		.amdhsa_exception_fp_ieee_invalid_op 0
		.amdhsa_exception_fp_denorm_src 0
		.amdhsa_exception_fp_ieee_div_zero 0
		.amdhsa_exception_fp_ieee_overflow 0
		.amdhsa_exception_fp_ieee_underflow 0
		.amdhsa_exception_fp_ieee_inexact 0
		.amdhsa_exception_int_div_zero 0
	.end_amdhsa_kernel
	.section	.text._ZN6thrust23THRUST_200600_302600_NS11hip_rocprim14__parallel_for6kernelILj256ENS1_20__uninitialized_copy7functorINS0_12zip_iteratorINS0_5tupleINS0_6detail15normal_iteratorINS0_10device_ptrIxEEEESC_NS0_9null_typeESD_SD_SD_SD_SD_SD_SD_EEEENS9_INS0_7pointerINS7_IxxSD_SD_SD_SD_SD_SD_SD_SD_EENS1_3tagENS0_11use_defaultESJ_EEEEEElLj1EEEvT0_T1_SO_,"axG",@progbits,_ZN6thrust23THRUST_200600_302600_NS11hip_rocprim14__parallel_for6kernelILj256ENS1_20__uninitialized_copy7functorINS0_12zip_iteratorINS0_5tupleINS0_6detail15normal_iteratorINS0_10device_ptrIxEEEESC_NS0_9null_typeESD_SD_SD_SD_SD_SD_SD_EEEENS9_INS0_7pointerINS7_IxxSD_SD_SD_SD_SD_SD_SD_SD_EENS1_3tagENS0_11use_defaultESJ_EEEEEElLj1EEEvT0_T1_SO_,comdat
.Lfunc_end3453:
	.size	_ZN6thrust23THRUST_200600_302600_NS11hip_rocprim14__parallel_for6kernelILj256ENS1_20__uninitialized_copy7functorINS0_12zip_iteratorINS0_5tupleINS0_6detail15normal_iteratorINS0_10device_ptrIxEEEESC_NS0_9null_typeESD_SD_SD_SD_SD_SD_SD_EEEENS9_INS0_7pointerINS7_IxxSD_SD_SD_SD_SD_SD_SD_SD_EENS1_3tagENS0_11use_defaultESJ_EEEEEElLj1EEEvT0_T1_SO_, .Lfunc_end3453-_ZN6thrust23THRUST_200600_302600_NS11hip_rocprim14__parallel_for6kernelILj256ENS1_20__uninitialized_copy7functorINS0_12zip_iteratorINS0_5tupleINS0_6detail15normal_iteratorINS0_10device_ptrIxEEEESC_NS0_9null_typeESD_SD_SD_SD_SD_SD_SD_EEEENS9_INS0_7pointerINS7_IxxSD_SD_SD_SD_SD_SD_SD_SD_EENS1_3tagENS0_11use_defaultESJ_EEEEEElLj1EEEvT0_T1_SO_
                                        ; -- End function
	.section	.AMDGPU.csdata,"",@progbits
; Kernel info:
; codeLenInByte = 256
; NumSgprs: 20
; NumVgprs: 12
; NumAgprs: 0
; TotalNumVgprs: 12
; ScratchSize: 0
; MemoryBound: 0
; FloatMode: 240
; IeeeMode: 1
; LDSByteSize: 0 bytes/workgroup (compile time only)
; SGPRBlocks: 2
; VGPRBlocks: 1
; NumSGPRsForWavesPerEU: 20
; NumVGPRsForWavesPerEU: 12
; AccumOffset: 12
; Occupancy: 8
; WaveLimiterHint : 0
; COMPUTE_PGM_RSRC2:SCRATCH_EN: 0
; COMPUTE_PGM_RSRC2:USER_SGPR: 2
; COMPUTE_PGM_RSRC2:TRAP_HANDLER: 0
; COMPUTE_PGM_RSRC2:TGID_X_EN: 1
; COMPUTE_PGM_RSRC2:TGID_Y_EN: 0
; COMPUTE_PGM_RSRC2:TGID_Z_EN: 0
; COMPUTE_PGM_RSRC2:TIDIG_COMP_CNT: 0
; COMPUTE_PGM_RSRC3_GFX90A:ACCUM_OFFSET: 2
; COMPUTE_PGM_RSRC3_GFX90A:TG_SPLIT: 0
	.section	.text._ZN7rocprim17ROCPRIM_400000_NS6detail17trampoline_kernelINS0_14default_configENS1_25partition_config_selectorILNS1_17partition_subalgoE3EN6thrust23THRUST_200600_302600_NS5tupleIxxNS7_9null_typeES9_S9_S9_S9_S9_S9_S9_EENS0_10empty_typeEbEEZZNS1_14partition_implILS5_3ELb0ES3_jNS7_6detail15normal_iteratorINS7_7pointerISA_NS7_11hip_rocprim3tagENS7_11use_defaultESJ_EEEEPSB_SM_NS0_5tupleIJPSA_SM_EEENSN_IJSM_SM_EEESB_PlJ10is_orderedEEE10hipError_tPvRmT3_T4_T5_T6_T7_T9_mT8_P12ihipStream_tbDpT10_ENKUlT_T0_E_clISt17integral_constantIbLb0EES1C_EEDaS17_S18_EUlS17_E_NS1_11comp_targetILNS1_3genE0ELNS1_11target_archE4294967295ELNS1_3gpuE0ELNS1_3repE0EEENS1_30default_config_static_selectorELNS0_4arch9wavefront6targetE1EEEvT1_,"axG",@progbits,_ZN7rocprim17ROCPRIM_400000_NS6detail17trampoline_kernelINS0_14default_configENS1_25partition_config_selectorILNS1_17partition_subalgoE3EN6thrust23THRUST_200600_302600_NS5tupleIxxNS7_9null_typeES9_S9_S9_S9_S9_S9_S9_EENS0_10empty_typeEbEEZZNS1_14partition_implILS5_3ELb0ES3_jNS7_6detail15normal_iteratorINS7_7pointerISA_NS7_11hip_rocprim3tagENS7_11use_defaultESJ_EEEEPSB_SM_NS0_5tupleIJPSA_SM_EEENSN_IJSM_SM_EEESB_PlJ10is_orderedEEE10hipError_tPvRmT3_T4_T5_T6_T7_T9_mT8_P12ihipStream_tbDpT10_ENKUlT_T0_E_clISt17integral_constantIbLb0EES1C_EEDaS17_S18_EUlS17_E_NS1_11comp_targetILNS1_3genE0ELNS1_11target_archE4294967295ELNS1_3gpuE0ELNS1_3repE0EEENS1_30default_config_static_selectorELNS0_4arch9wavefront6targetE1EEEvT1_,comdat
	.protected	_ZN7rocprim17ROCPRIM_400000_NS6detail17trampoline_kernelINS0_14default_configENS1_25partition_config_selectorILNS1_17partition_subalgoE3EN6thrust23THRUST_200600_302600_NS5tupleIxxNS7_9null_typeES9_S9_S9_S9_S9_S9_S9_EENS0_10empty_typeEbEEZZNS1_14partition_implILS5_3ELb0ES3_jNS7_6detail15normal_iteratorINS7_7pointerISA_NS7_11hip_rocprim3tagENS7_11use_defaultESJ_EEEEPSB_SM_NS0_5tupleIJPSA_SM_EEENSN_IJSM_SM_EEESB_PlJ10is_orderedEEE10hipError_tPvRmT3_T4_T5_T6_T7_T9_mT8_P12ihipStream_tbDpT10_ENKUlT_T0_E_clISt17integral_constantIbLb0EES1C_EEDaS17_S18_EUlS17_E_NS1_11comp_targetILNS1_3genE0ELNS1_11target_archE4294967295ELNS1_3gpuE0ELNS1_3repE0EEENS1_30default_config_static_selectorELNS0_4arch9wavefront6targetE1EEEvT1_ ; -- Begin function _ZN7rocprim17ROCPRIM_400000_NS6detail17trampoline_kernelINS0_14default_configENS1_25partition_config_selectorILNS1_17partition_subalgoE3EN6thrust23THRUST_200600_302600_NS5tupleIxxNS7_9null_typeES9_S9_S9_S9_S9_S9_S9_EENS0_10empty_typeEbEEZZNS1_14partition_implILS5_3ELb0ES3_jNS7_6detail15normal_iteratorINS7_7pointerISA_NS7_11hip_rocprim3tagENS7_11use_defaultESJ_EEEEPSB_SM_NS0_5tupleIJPSA_SM_EEENSN_IJSM_SM_EEESB_PlJ10is_orderedEEE10hipError_tPvRmT3_T4_T5_T6_T7_T9_mT8_P12ihipStream_tbDpT10_ENKUlT_T0_E_clISt17integral_constantIbLb0EES1C_EEDaS17_S18_EUlS17_E_NS1_11comp_targetILNS1_3genE0ELNS1_11target_archE4294967295ELNS1_3gpuE0ELNS1_3repE0EEENS1_30default_config_static_selectorELNS0_4arch9wavefront6targetE1EEEvT1_
	.globl	_ZN7rocprim17ROCPRIM_400000_NS6detail17trampoline_kernelINS0_14default_configENS1_25partition_config_selectorILNS1_17partition_subalgoE3EN6thrust23THRUST_200600_302600_NS5tupleIxxNS7_9null_typeES9_S9_S9_S9_S9_S9_S9_EENS0_10empty_typeEbEEZZNS1_14partition_implILS5_3ELb0ES3_jNS7_6detail15normal_iteratorINS7_7pointerISA_NS7_11hip_rocprim3tagENS7_11use_defaultESJ_EEEEPSB_SM_NS0_5tupleIJPSA_SM_EEENSN_IJSM_SM_EEESB_PlJ10is_orderedEEE10hipError_tPvRmT3_T4_T5_T6_T7_T9_mT8_P12ihipStream_tbDpT10_ENKUlT_T0_E_clISt17integral_constantIbLb0EES1C_EEDaS17_S18_EUlS17_E_NS1_11comp_targetILNS1_3genE0ELNS1_11target_archE4294967295ELNS1_3gpuE0ELNS1_3repE0EEENS1_30default_config_static_selectorELNS0_4arch9wavefront6targetE1EEEvT1_
	.p2align	8
	.type	_ZN7rocprim17ROCPRIM_400000_NS6detail17trampoline_kernelINS0_14default_configENS1_25partition_config_selectorILNS1_17partition_subalgoE3EN6thrust23THRUST_200600_302600_NS5tupleIxxNS7_9null_typeES9_S9_S9_S9_S9_S9_S9_EENS0_10empty_typeEbEEZZNS1_14partition_implILS5_3ELb0ES3_jNS7_6detail15normal_iteratorINS7_7pointerISA_NS7_11hip_rocprim3tagENS7_11use_defaultESJ_EEEEPSB_SM_NS0_5tupleIJPSA_SM_EEENSN_IJSM_SM_EEESB_PlJ10is_orderedEEE10hipError_tPvRmT3_T4_T5_T6_T7_T9_mT8_P12ihipStream_tbDpT10_ENKUlT_T0_E_clISt17integral_constantIbLb0EES1C_EEDaS17_S18_EUlS17_E_NS1_11comp_targetILNS1_3genE0ELNS1_11target_archE4294967295ELNS1_3gpuE0ELNS1_3repE0EEENS1_30default_config_static_selectorELNS0_4arch9wavefront6targetE1EEEvT1_,@function
_ZN7rocprim17ROCPRIM_400000_NS6detail17trampoline_kernelINS0_14default_configENS1_25partition_config_selectorILNS1_17partition_subalgoE3EN6thrust23THRUST_200600_302600_NS5tupleIxxNS7_9null_typeES9_S9_S9_S9_S9_S9_S9_EENS0_10empty_typeEbEEZZNS1_14partition_implILS5_3ELb0ES3_jNS7_6detail15normal_iteratorINS7_7pointerISA_NS7_11hip_rocprim3tagENS7_11use_defaultESJ_EEEEPSB_SM_NS0_5tupleIJPSA_SM_EEENSN_IJSM_SM_EEESB_PlJ10is_orderedEEE10hipError_tPvRmT3_T4_T5_T6_T7_T9_mT8_P12ihipStream_tbDpT10_ENKUlT_T0_E_clISt17integral_constantIbLb0EES1C_EEDaS17_S18_EUlS17_E_NS1_11comp_targetILNS1_3genE0ELNS1_11target_archE4294967295ELNS1_3gpuE0ELNS1_3repE0EEENS1_30default_config_static_selectorELNS0_4arch9wavefront6targetE1EEEvT1_: ; @_ZN7rocprim17ROCPRIM_400000_NS6detail17trampoline_kernelINS0_14default_configENS1_25partition_config_selectorILNS1_17partition_subalgoE3EN6thrust23THRUST_200600_302600_NS5tupleIxxNS7_9null_typeES9_S9_S9_S9_S9_S9_S9_EENS0_10empty_typeEbEEZZNS1_14partition_implILS5_3ELb0ES3_jNS7_6detail15normal_iteratorINS7_7pointerISA_NS7_11hip_rocprim3tagENS7_11use_defaultESJ_EEEEPSB_SM_NS0_5tupleIJPSA_SM_EEENSN_IJSM_SM_EEESB_PlJ10is_orderedEEE10hipError_tPvRmT3_T4_T5_T6_T7_T9_mT8_P12ihipStream_tbDpT10_ENKUlT_T0_E_clISt17integral_constantIbLb0EES1C_EEDaS17_S18_EUlS17_E_NS1_11comp_targetILNS1_3genE0ELNS1_11target_archE4294967295ELNS1_3gpuE0ELNS1_3repE0EEENS1_30default_config_static_selectorELNS0_4arch9wavefront6targetE1EEEvT1_
; %bb.0:
	.section	.rodata,"a",@progbits
	.p2align	6, 0x0
	.amdhsa_kernel _ZN7rocprim17ROCPRIM_400000_NS6detail17trampoline_kernelINS0_14default_configENS1_25partition_config_selectorILNS1_17partition_subalgoE3EN6thrust23THRUST_200600_302600_NS5tupleIxxNS7_9null_typeES9_S9_S9_S9_S9_S9_S9_EENS0_10empty_typeEbEEZZNS1_14partition_implILS5_3ELb0ES3_jNS7_6detail15normal_iteratorINS7_7pointerISA_NS7_11hip_rocprim3tagENS7_11use_defaultESJ_EEEEPSB_SM_NS0_5tupleIJPSA_SM_EEENSN_IJSM_SM_EEESB_PlJ10is_orderedEEE10hipError_tPvRmT3_T4_T5_T6_T7_T9_mT8_P12ihipStream_tbDpT10_ENKUlT_T0_E_clISt17integral_constantIbLb0EES1C_EEDaS17_S18_EUlS17_E_NS1_11comp_targetILNS1_3genE0ELNS1_11target_archE4294967295ELNS1_3gpuE0ELNS1_3repE0EEENS1_30default_config_static_selectorELNS0_4arch9wavefront6targetE1EEEvT1_
		.amdhsa_group_segment_fixed_size 0
		.amdhsa_private_segment_fixed_size 0
		.amdhsa_kernarg_size 120
		.amdhsa_user_sgpr_count 2
		.amdhsa_user_sgpr_dispatch_ptr 0
		.amdhsa_user_sgpr_queue_ptr 0
		.amdhsa_user_sgpr_kernarg_segment_ptr 1
		.amdhsa_user_sgpr_dispatch_id 0
		.amdhsa_user_sgpr_kernarg_preload_length 0
		.amdhsa_user_sgpr_kernarg_preload_offset 0
		.amdhsa_user_sgpr_private_segment_size 0
		.amdhsa_uses_dynamic_stack 0
		.amdhsa_enable_private_segment 0
		.amdhsa_system_sgpr_workgroup_id_x 1
		.amdhsa_system_sgpr_workgroup_id_y 0
		.amdhsa_system_sgpr_workgroup_id_z 0
		.amdhsa_system_sgpr_workgroup_info 0
		.amdhsa_system_vgpr_workitem_id 0
		.amdhsa_next_free_vgpr 1
		.amdhsa_next_free_sgpr 0
		.amdhsa_accum_offset 4
		.amdhsa_reserve_vcc 0
		.amdhsa_float_round_mode_32 0
		.amdhsa_float_round_mode_16_64 0
		.amdhsa_float_denorm_mode_32 3
		.amdhsa_float_denorm_mode_16_64 3
		.amdhsa_dx10_clamp 1
		.amdhsa_ieee_mode 1
		.amdhsa_fp16_overflow 0
		.amdhsa_tg_split 0
		.amdhsa_exception_fp_ieee_invalid_op 0
		.amdhsa_exception_fp_denorm_src 0
		.amdhsa_exception_fp_ieee_div_zero 0
		.amdhsa_exception_fp_ieee_overflow 0
		.amdhsa_exception_fp_ieee_underflow 0
		.amdhsa_exception_fp_ieee_inexact 0
		.amdhsa_exception_int_div_zero 0
	.end_amdhsa_kernel
	.section	.text._ZN7rocprim17ROCPRIM_400000_NS6detail17trampoline_kernelINS0_14default_configENS1_25partition_config_selectorILNS1_17partition_subalgoE3EN6thrust23THRUST_200600_302600_NS5tupleIxxNS7_9null_typeES9_S9_S9_S9_S9_S9_S9_EENS0_10empty_typeEbEEZZNS1_14partition_implILS5_3ELb0ES3_jNS7_6detail15normal_iteratorINS7_7pointerISA_NS7_11hip_rocprim3tagENS7_11use_defaultESJ_EEEEPSB_SM_NS0_5tupleIJPSA_SM_EEENSN_IJSM_SM_EEESB_PlJ10is_orderedEEE10hipError_tPvRmT3_T4_T5_T6_T7_T9_mT8_P12ihipStream_tbDpT10_ENKUlT_T0_E_clISt17integral_constantIbLb0EES1C_EEDaS17_S18_EUlS17_E_NS1_11comp_targetILNS1_3genE0ELNS1_11target_archE4294967295ELNS1_3gpuE0ELNS1_3repE0EEENS1_30default_config_static_selectorELNS0_4arch9wavefront6targetE1EEEvT1_,"axG",@progbits,_ZN7rocprim17ROCPRIM_400000_NS6detail17trampoline_kernelINS0_14default_configENS1_25partition_config_selectorILNS1_17partition_subalgoE3EN6thrust23THRUST_200600_302600_NS5tupleIxxNS7_9null_typeES9_S9_S9_S9_S9_S9_S9_EENS0_10empty_typeEbEEZZNS1_14partition_implILS5_3ELb0ES3_jNS7_6detail15normal_iteratorINS7_7pointerISA_NS7_11hip_rocprim3tagENS7_11use_defaultESJ_EEEEPSB_SM_NS0_5tupleIJPSA_SM_EEENSN_IJSM_SM_EEESB_PlJ10is_orderedEEE10hipError_tPvRmT3_T4_T5_T6_T7_T9_mT8_P12ihipStream_tbDpT10_ENKUlT_T0_E_clISt17integral_constantIbLb0EES1C_EEDaS17_S18_EUlS17_E_NS1_11comp_targetILNS1_3genE0ELNS1_11target_archE4294967295ELNS1_3gpuE0ELNS1_3repE0EEENS1_30default_config_static_selectorELNS0_4arch9wavefront6targetE1EEEvT1_,comdat
.Lfunc_end3454:
	.size	_ZN7rocprim17ROCPRIM_400000_NS6detail17trampoline_kernelINS0_14default_configENS1_25partition_config_selectorILNS1_17partition_subalgoE3EN6thrust23THRUST_200600_302600_NS5tupleIxxNS7_9null_typeES9_S9_S9_S9_S9_S9_S9_EENS0_10empty_typeEbEEZZNS1_14partition_implILS5_3ELb0ES3_jNS7_6detail15normal_iteratorINS7_7pointerISA_NS7_11hip_rocprim3tagENS7_11use_defaultESJ_EEEEPSB_SM_NS0_5tupleIJPSA_SM_EEENSN_IJSM_SM_EEESB_PlJ10is_orderedEEE10hipError_tPvRmT3_T4_T5_T6_T7_T9_mT8_P12ihipStream_tbDpT10_ENKUlT_T0_E_clISt17integral_constantIbLb0EES1C_EEDaS17_S18_EUlS17_E_NS1_11comp_targetILNS1_3genE0ELNS1_11target_archE4294967295ELNS1_3gpuE0ELNS1_3repE0EEENS1_30default_config_static_selectorELNS0_4arch9wavefront6targetE1EEEvT1_, .Lfunc_end3454-_ZN7rocprim17ROCPRIM_400000_NS6detail17trampoline_kernelINS0_14default_configENS1_25partition_config_selectorILNS1_17partition_subalgoE3EN6thrust23THRUST_200600_302600_NS5tupleIxxNS7_9null_typeES9_S9_S9_S9_S9_S9_S9_EENS0_10empty_typeEbEEZZNS1_14partition_implILS5_3ELb0ES3_jNS7_6detail15normal_iteratorINS7_7pointerISA_NS7_11hip_rocprim3tagENS7_11use_defaultESJ_EEEEPSB_SM_NS0_5tupleIJPSA_SM_EEENSN_IJSM_SM_EEESB_PlJ10is_orderedEEE10hipError_tPvRmT3_T4_T5_T6_T7_T9_mT8_P12ihipStream_tbDpT10_ENKUlT_T0_E_clISt17integral_constantIbLb0EES1C_EEDaS17_S18_EUlS17_E_NS1_11comp_targetILNS1_3genE0ELNS1_11target_archE4294967295ELNS1_3gpuE0ELNS1_3repE0EEENS1_30default_config_static_selectorELNS0_4arch9wavefront6targetE1EEEvT1_
                                        ; -- End function
	.section	.AMDGPU.csdata,"",@progbits
; Kernel info:
; codeLenInByte = 0
; NumSgprs: 6
; NumVgprs: 0
; NumAgprs: 0
; TotalNumVgprs: 0
; ScratchSize: 0
; MemoryBound: 0
; FloatMode: 240
; IeeeMode: 1
; LDSByteSize: 0 bytes/workgroup (compile time only)
; SGPRBlocks: 0
; VGPRBlocks: 0
; NumSGPRsForWavesPerEU: 6
; NumVGPRsForWavesPerEU: 1
; AccumOffset: 4
; Occupancy: 8
; WaveLimiterHint : 0
; COMPUTE_PGM_RSRC2:SCRATCH_EN: 0
; COMPUTE_PGM_RSRC2:USER_SGPR: 2
; COMPUTE_PGM_RSRC2:TRAP_HANDLER: 0
; COMPUTE_PGM_RSRC2:TGID_X_EN: 1
; COMPUTE_PGM_RSRC2:TGID_Y_EN: 0
; COMPUTE_PGM_RSRC2:TGID_Z_EN: 0
; COMPUTE_PGM_RSRC2:TIDIG_COMP_CNT: 0
; COMPUTE_PGM_RSRC3_GFX90A:ACCUM_OFFSET: 0
; COMPUTE_PGM_RSRC3_GFX90A:TG_SPLIT: 0
	.section	.text._ZN7rocprim17ROCPRIM_400000_NS6detail17trampoline_kernelINS0_14default_configENS1_25partition_config_selectorILNS1_17partition_subalgoE3EN6thrust23THRUST_200600_302600_NS5tupleIxxNS7_9null_typeES9_S9_S9_S9_S9_S9_S9_EENS0_10empty_typeEbEEZZNS1_14partition_implILS5_3ELb0ES3_jNS7_6detail15normal_iteratorINS7_7pointerISA_NS7_11hip_rocprim3tagENS7_11use_defaultESJ_EEEEPSB_SM_NS0_5tupleIJPSA_SM_EEENSN_IJSM_SM_EEESB_PlJ10is_orderedEEE10hipError_tPvRmT3_T4_T5_T6_T7_T9_mT8_P12ihipStream_tbDpT10_ENKUlT_T0_E_clISt17integral_constantIbLb0EES1C_EEDaS17_S18_EUlS17_E_NS1_11comp_targetILNS1_3genE5ELNS1_11target_archE942ELNS1_3gpuE9ELNS1_3repE0EEENS1_30default_config_static_selectorELNS0_4arch9wavefront6targetE1EEEvT1_,"axG",@progbits,_ZN7rocprim17ROCPRIM_400000_NS6detail17trampoline_kernelINS0_14default_configENS1_25partition_config_selectorILNS1_17partition_subalgoE3EN6thrust23THRUST_200600_302600_NS5tupleIxxNS7_9null_typeES9_S9_S9_S9_S9_S9_S9_EENS0_10empty_typeEbEEZZNS1_14partition_implILS5_3ELb0ES3_jNS7_6detail15normal_iteratorINS7_7pointerISA_NS7_11hip_rocprim3tagENS7_11use_defaultESJ_EEEEPSB_SM_NS0_5tupleIJPSA_SM_EEENSN_IJSM_SM_EEESB_PlJ10is_orderedEEE10hipError_tPvRmT3_T4_T5_T6_T7_T9_mT8_P12ihipStream_tbDpT10_ENKUlT_T0_E_clISt17integral_constantIbLb0EES1C_EEDaS17_S18_EUlS17_E_NS1_11comp_targetILNS1_3genE5ELNS1_11target_archE942ELNS1_3gpuE9ELNS1_3repE0EEENS1_30default_config_static_selectorELNS0_4arch9wavefront6targetE1EEEvT1_,comdat
	.protected	_ZN7rocprim17ROCPRIM_400000_NS6detail17trampoline_kernelINS0_14default_configENS1_25partition_config_selectorILNS1_17partition_subalgoE3EN6thrust23THRUST_200600_302600_NS5tupleIxxNS7_9null_typeES9_S9_S9_S9_S9_S9_S9_EENS0_10empty_typeEbEEZZNS1_14partition_implILS5_3ELb0ES3_jNS7_6detail15normal_iteratorINS7_7pointerISA_NS7_11hip_rocprim3tagENS7_11use_defaultESJ_EEEEPSB_SM_NS0_5tupleIJPSA_SM_EEENSN_IJSM_SM_EEESB_PlJ10is_orderedEEE10hipError_tPvRmT3_T4_T5_T6_T7_T9_mT8_P12ihipStream_tbDpT10_ENKUlT_T0_E_clISt17integral_constantIbLb0EES1C_EEDaS17_S18_EUlS17_E_NS1_11comp_targetILNS1_3genE5ELNS1_11target_archE942ELNS1_3gpuE9ELNS1_3repE0EEENS1_30default_config_static_selectorELNS0_4arch9wavefront6targetE1EEEvT1_ ; -- Begin function _ZN7rocprim17ROCPRIM_400000_NS6detail17trampoline_kernelINS0_14default_configENS1_25partition_config_selectorILNS1_17partition_subalgoE3EN6thrust23THRUST_200600_302600_NS5tupleIxxNS7_9null_typeES9_S9_S9_S9_S9_S9_S9_EENS0_10empty_typeEbEEZZNS1_14partition_implILS5_3ELb0ES3_jNS7_6detail15normal_iteratorINS7_7pointerISA_NS7_11hip_rocprim3tagENS7_11use_defaultESJ_EEEEPSB_SM_NS0_5tupleIJPSA_SM_EEENSN_IJSM_SM_EEESB_PlJ10is_orderedEEE10hipError_tPvRmT3_T4_T5_T6_T7_T9_mT8_P12ihipStream_tbDpT10_ENKUlT_T0_E_clISt17integral_constantIbLb0EES1C_EEDaS17_S18_EUlS17_E_NS1_11comp_targetILNS1_3genE5ELNS1_11target_archE942ELNS1_3gpuE9ELNS1_3repE0EEENS1_30default_config_static_selectorELNS0_4arch9wavefront6targetE1EEEvT1_
	.globl	_ZN7rocprim17ROCPRIM_400000_NS6detail17trampoline_kernelINS0_14default_configENS1_25partition_config_selectorILNS1_17partition_subalgoE3EN6thrust23THRUST_200600_302600_NS5tupleIxxNS7_9null_typeES9_S9_S9_S9_S9_S9_S9_EENS0_10empty_typeEbEEZZNS1_14partition_implILS5_3ELb0ES3_jNS7_6detail15normal_iteratorINS7_7pointerISA_NS7_11hip_rocprim3tagENS7_11use_defaultESJ_EEEEPSB_SM_NS0_5tupleIJPSA_SM_EEENSN_IJSM_SM_EEESB_PlJ10is_orderedEEE10hipError_tPvRmT3_T4_T5_T6_T7_T9_mT8_P12ihipStream_tbDpT10_ENKUlT_T0_E_clISt17integral_constantIbLb0EES1C_EEDaS17_S18_EUlS17_E_NS1_11comp_targetILNS1_3genE5ELNS1_11target_archE942ELNS1_3gpuE9ELNS1_3repE0EEENS1_30default_config_static_selectorELNS0_4arch9wavefront6targetE1EEEvT1_
	.p2align	8
	.type	_ZN7rocprim17ROCPRIM_400000_NS6detail17trampoline_kernelINS0_14default_configENS1_25partition_config_selectorILNS1_17partition_subalgoE3EN6thrust23THRUST_200600_302600_NS5tupleIxxNS7_9null_typeES9_S9_S9_S9_S9_S9_S9_EENS0_10empty_typeEbEEZZNS1_14partition_implILS5_3ELb0ES3_jNS7_6detail15normal_iteratorINS7_7pointerISA_NS7_11hip_rocprim3tagENS7_11use_defaultESJ_EEEEPSB_SM_NS0_5tupleIJPSA_SM_EEENSN_IJSM_SM_EEESB_PlJ10is_orderedEEE10hipError_tPvRmT3_T4_T5_T6_T7_T9_mT8_P12ihipStream_tbDpT10_ENKUlT_T0_E_clISt17integral_constantIbLb0EES1C_EEDaS17_S18_EUlS17_E_NS1_11comp_targetILNS1_3genE5ELNS1_11target_archE942ELNS1_3gpuE9ELNS1_3repE0EEENS1_30default_config_static_selectorELNS0_4arch9wavefront6targetE1EEEvT1_,@function
_ZN7rocprim17ROCPRIM_400000_NS6detail17trampoline_kernelINS0_14default_configENS1_25partition_config_selectorILNS1_17partition_subalgoE3EN6thrust23THRUST_200600_302600_NS5tupleIxxNS7_9null_typeES9_S9_S9_S9_S9_S9_S9_EENS0_10empty_typeEbEEZZNS1_14partition_implILS5_3ELb0ES3_jNS7_6detail15normal_iteratorINS7_7pointerISA_NS7_11hip_rocprim3tagENS7_11use_defaultESJ_EEEEPSB_SM_NS0_5tupleIJPSA_SM_EEENSN_IJSM_SM_EEESB_PlJ10is_orderedEEE10hipError_tPvRmT3_T4_T5_T6_T7_T9_mT8_P12ihipStream_tbDpT10_ENKUlT_T0_E_clISt17integral_constantIbLb0EES1C_EEDaS17_S18_EUlS17_E_NS1_11comp_targetILNS1_3genE5ELNS1_11target_archE942ELNS1_3gpuE9ELNS1_3repE0EEENS1_30default_config_static_selectorELNS0_4arch9wavefront6targetE1EEEvT1_: ; @_ZN7rocprim17ROCPRIM_400000_NS6detail17trampoline_kernelINS0_14default_configENS1_25partition_config_selectorILNS1_17partition_subalgoE3EN6thrust23THRUST_200600_302600_NS5tupleIxxNS7_9null_typeES9_S9_S9_S9_S9_S9_S9_EENS0_10empty_typeEbEEZZNS1_14partition_implILS5_3ELb0ES3_jNS7_6detail15normal_iteratorINS7_7pointerISA_NS7_11hip_rocprim3tagENS7_11use_defaultESJ_EEEEPSB_SM_NS0_5tupleIJPSA_SM_EEENSN_IJSM_SM_EEESB_PlJ10is_orderedEEE10hipError_tPvRmT3_T4_T5_T6_T7_T9_mT8_P12ihipStream_tbDpT10_ENKUlT_T0_E_clISt17integral_constantIbLb0EES1C_EEDaS17_S18_EUlS17_E_NS1_11comp_targetILNS1_3genE5ELNS1_11target_archE942ELNS1_3gpuE9ELNS1_3repE0EEENS1_30default_config_static_selectorELNS0_4arch9wavefront6targetE1EEEvT1_
; %bb.0:
	s_load_dwordx4 s[20:23], s[0:1], 0x8
	s_load_dwordx4 s[24:27], s[0:1], 0x48
	s_load_dwordx2 s[28:29], s[0:1], 0x58
	s_load_dword s3, s[0:1], 0x70
	s_mov_b32 s35, 0
	s_waitcnt lgkmcnt(0)
	s_lshl_b64 s[4:5], s[22:23], 4
	s_add_u32 s8, s20, s4
	s_addc_u32 s9, s21, s5
	s_add_i32 s6, s3, -1
	s_mulk_i32 s3, 0x600
	s_add_i32 s4, s3, s22
	s_sub_i32 s33, s28, s4
	s_addk_i32 s33, 0x600
	s_add_u32 s4, s22, s3
	s_addc_u32 s5, s23, 0
	s_cmp_eq_u32 s2, s6
	s_load_dwordx2 s[30:31], s[26:27], 0x0
	s_cselect_b64 s[26:27], -1, 0
	s_cmp_lg_u32 s2, s6
	v_mov_b64_e32 v[2:3], s[28:29]
	s_cselect_b64 s[6:7], -1, 0
	s_mul_i32 s34, s2, 0x600
	v_cmp_lt_u64_e32 vcc, s[4:5], v[2:3]
	s_or_b64 s[6:7], s[6:7], vcc
	s_lshl_b64 s[4:5], s[34:35], 4
	s_add_u32 s8, s8, s4
	s_addc_u32 s9, s9, s5
	s_mov_b64 s[4:5], -1
	s_and_b64 vcc, exec, s[6:7]
	v_lshlrev_b32_e32 v18, 4, v0
	v_lshrrev_b32_e32 v1, 1, v0
	s_cbranch_vccz .LBB3455_2
; %bb.1:
	v_mov_b32_e32 v19, 0
	v_lshl_add_u64 v[10:11], s[8:9], 0, v[18:19]
	v_add_co_u32_e32 v12, vcc, 0x1000, v10
	v_and_b32_e32 v19, 0xf0, v1
	s_nop 0
	v_addc_co_u32_e32 v13, vcc, 0, v11, vcc
	v_add_co_u32_e32 v20, vcc, 0x3000, v10
	flat_load_dwordx4 v[2:5], v[10:11]
	flat_load_dwordx4 v[6:9], v[12:13] offset:2048
	v_addc_co_u32_e32 v21, vcc, 0, v11, vcc
	v_add_co_u32_e32 v22, vcc, 0x4000, v10
	v_add_u32_e32 v19, v19, v18
	s_nop 0
	v_addc_co_u32_e32 v23, vcc, 0, v11, vcc
	flat_load_dwordx4 v[10:13], v[20:21]
	flat_load_dwordx4 v[14:17], v[22:23] offset:2048
	v_add_u32_e32 v20, 0x180, v0
	v_add_u32_e32 v21, 0x300, v0
	;; [unrolled: 1-line block ×3, first 2 shown]
	v_lshrrev_b32_e32 v20, 1, v20
	v_lshrrev_b32_e32 v21, 1, v21
	;; [unrolled: 1-line block ×3, first 2 shown]
	v_and_b32_e32 v20, 0x1f0, v20
	v_and_b32_e32 v21, 0x3f0, v21
	;; [unrolled: 1-line block ×3, first 2 shown]
	v_add_u32_e32 v20, v20, v18
	v_add_u32_e32 v21, v21, v18
	v_add_u32_e32 v22, v22, v18
	s_mov_b64 s[4:5], 0
	s_waitcnt vmcnt(0) lgkmcnt(0)
	ds_write_b128 v19, v[2:5]
	ds_write_b128 v20, v[6:9] offset:6144
	ds_write_b128 v21, v[10:13] offset:12288
	ds_write_b128 v22, v[14:17] offset:18432
	s_waitcnt lgkmcnt(0)
	s_barrier
.LBB3455_2:
	s_andn2_b64 vcc, exec, s[4:5]
	v_cmp_gt_u32_e64 s[4:5], s33, v0
	s_cbranch_vccnz .LBB3455_12
; %bb.3:
	v_mov_b64_e32 v[4:5], 0
	v_mov_b64_e32 v[8:9], v[4:5]
	;; [unrolled: 1-line block ×3, first 2 shown]
	s_and_saveexec_b64 s[10:11], s[4:5]
	s_cbranch_execz .LBB3455_5
; %bb.4:
	v_mov_b32_e32 v19, 0
	v_lshl_add_u64 v[2:3], s[8:9], 0, v[18:19]
	flat_load_dwordx4 v[6:9], v[2:3]
.LBB3455_5:
	s_or_b64 exec, exec, s[10:11]
	v_add_u32_e32 v19, 0x180, v0
	v_cmp_gt_u32_e32 vcc, s33, v19
	v_mov_b64_e32 v[2:3], v[4:5]
	s_and_saveexec_b64 s[4:5], vcc
	s_cbranch_execz .LBB3455_7
; %bb.6:
	v_lshlrev_b32_e32 v2, 4, v19
	v_mov_b32_e32 v3, 0
	v_lshl_add_u64 v[2:3], s[8:9], 0, v[2:3]
	flat_load_dwordx4 v[2:5], v[2:3]
.LBB3455_7:
	s_or_b64 exec, exec, s[4:5]
	v_add_u32_e32 v20, 0x300, v0
	v_mov_b64_e32 v[12:13], 0
	v_cmp_gt_u32_e32 vcc, s33, v20
	v_mov_b64_e32 v[16:17], v[12:13]
	v_mov_b64_e32 v[14:15], v[12:13]
	s_and_saveexec_b64 s[4:5], vcc
	s_cbranch_execz .LBB3455_9
; %bb.8:
	v_lshlrev_b32_e32 v10, 4, v20
	v_mov_b32_e32 v11, 0
	v_lshl_add_u64 v[10:11], s[8:9], 0, v[10:11]
	flat_load_dwordx4 v[14:17], v[10:11]
.LBB3455_9:
	s_or_b64 exec, exec, s[4:5]
	v_add_u32_e32 v21, 0x480, v0
	v_cmp_gt_u32_e32 vcc, s33, v21
	v_mov_b64_e32 v[10:11], v[12:13]
	s_and_saveexec_b64 s[4:5], vcc
	s_cbranch_execz .LBB3455_11
; %bb.10:
	v_lshlrev_b32_e32 v10, 4, v21
	v_mov_b32_e32 v11, 0
	v_lshl_add_u64 v[10:11], s[8:9], 0, v[10:11]
	flat_load_dwordx4 v[10:13], v[10:11]
.LBB3455_11:
	s_or_b64 exec, exec, s[4:5]
	v_and_b32_e32 v1, 0xf0, v1
	v_add_u32_e32 v1, v1, v18
	s_waitcnt vmcnt(0) lgkmcnt(0)
	ds_write_b128 v1, v[6:9]
	v_lshrrev_b32_e32 v1, 1, v19
	v_and_b32_e32 v1, 0x1f0, v1
	v_add_u32_e32 v1, v1, v18
	ds_write_b128 v1, v[2:5] offset:6144
	v_lshrrev_b32_e32 v1, 1, v20
	v_and_b32_e32 v1, 0x3f0, v1
	v_add_u32_e32 v1, v1, v18
	ds_write_b128 v1, v[14:17] offset:12288
	;; [unrolled: 4-line block ×3, first 2 shown]
	s_waitcnt lgkmcnt(0)
	s_barrier
.LBB3455_12:
	v_lshlrev_b32_e32 v1, 2, v0
	v_lshrrev_b32_e32 v2, 3, v0
	v_add_lshl_u32 v2, v2, v1, 4
	s_waitcnt lgkmcnt(0)
	ds_read_b128 v[14:17], v2
	ds_read_b128 v[10:13], v2 offset:16
	ds_read_b128 v[6:9], v2 offset:32
	;; [unrolled: 1-line block ×3, first 2 shown]
	v_cndmask_b32_e64 v19, 0, 1, s[6:7]
	v_cmp_ne_u32_e64 s[20:21], 1, v19
	s_andn2_b64 vcc, exec, s[6:7]
	s_waitcnt lgkmcnt(3)
	v_cmp_le_i64_e64 s[8:9], v[14:15], v[16:17]
	s_waitcnt lgkmcnt(2)
	v_cmp_le_i64_e64 s[10:11], v[10:11], v[12:13]
	;; [unrolled: 2-line block ×4, first 2 shown]
	s_barrier
	s_cbranch_vccnz .LBB3455_14
; %bb.13:
	v_cndmask_b32_e64 v20, 0, 1, s[10:11]
	v_cndmask_b32_e64 v19, 0, 1, s[8:9]
	v_lshlrev_b16_e32 v20, 8, v20
	v_or_b32_e32 v19, v19, v20
	v_and_b32_e32 v19, 0xffff, v19
	v_cndmask_b32_e64 v20, 0, 1, s[6:7]
	v_lshl_or_b32 v19, v20, 16, v19
	s_and_b64 s[36:37], s[4:5], exec
	s_load_dwordx2 s[38:39], s[0:1], 0x68
	s_cbranch_execz .LBB3455_15
	s_branch .LBB3455_16
.LBB3455_14:
                                        ; implicit-def: $sgpr36_sgpr37
                                        ; implicit-def: $vgpr19
	s_load_dwordx2 s[38:39], s[0:1], 0x68
.LBB3455_15:
	v_cmp_gt_u32_e32 vcc, s33, v1
	v_cmp_le_i64_e64 s[4:5], v[14:15], v[16:17]
	s_and_b64 s[4:5], vcc, s[4:5]
	v_or_b32_e32 v20, 1, v1
	v_cndmask_b32_e64 v19, 0, 1, s[4:5]
	v_cmp_gt_u32_e32 vcc, s33, v20
	v_cmp_le_i64_e64 s[4:5], v[10:11], v[12:13]
	s_and_b64 s[4:5], vcc, s[4:5]
	v_or_b32_e32 v21, 2, v1
	v_cndmask_b32_e64 v20, 0, 1, s[4:5]
	v_cmp_gt_u32_e32 vcc, s33, v21
	v_cmp_le_i64_e64 s[4:5], v[6:7], v[8:9]
	v_lshlrev_b16_e32 v20, 8, v20
	v_or_b32_e32 v19, v19, v20
	s_and_b64 s[4:5], vcc, s[4:5]
	v_and_b32_e32 v19, 0xffff, v19
	v_cndmask_b32_e64 v20, 0, 1, s[4:5]
	v_lshl_or_b32 v19, v20, 16, v19
	v_or_b32_e32 v20, 3, v1
	v_cmp_gt_u32_e32 vcc, s33, v20
	v_cmp_le_i64_e64 s[4:5], v[2:3], v[4:5]
	s_and_b64 s[4:5], vcc, s[4:5]
	s_andn2_b64 s[6:7], s[36:37], exec
	s_and_b64 s[4:5], s[4:5], exec
	s_or_b64 s[36:37], s[6:7], s[4:5]
.LBB3455_16:
	v_cndmask_b32_e64 v20, 0, 1, s[36:37]
	v_bfe_u32 v30, v19, 8, 8
	v_bfe_u32 v31, v19, 16, 8
	v_add_u32_sdwa v20, v19, v20 dst_sel:DWORD dst_unused:UNUSED_PAD src0_sel:BYTE_0 src1_sel:DWORD
	v_add3_u32 v34, v20, v30, v31
	v_mbcnt_lo_u32_b32 v20, -1, 0
	v_mbcnt_hi_u32_b32 v32, -1, v20
	v_and_b32_e32 v20, 15, v32
	v_cmp_eq_u32_e64 s[16:17], 0, v20
	v_cmp_lt_u32_e64 s[14:15], 1, v20
	v_cmp_lt_u32_e64 s[12:13], 3, v20
	;; [unrolled: 1-line block ×3, first 2 shown]
	v_and_b32_e32 v20, 16, v32
	v_cmp_eq_u32_e64 s[6:7], 0, v20
	v_and_b32_e32 v20, 0x1c0, v0
	v_min_u32_e32 v20, 0x140, v20
	v_or_b32_e32 v20, 63, v20
	s_cmp_lg_u32 s2, 0
	v_cmp_lt_u32_e64 s[4:5], 31, v32
	v_lshrrev_b32_e32 v33, 6, v0
	v_cmp_eq_u32_e64 s[8:9], v20, v0
	s_cbranch_scc0 .LBB3455_43
; %bb.17:
	v_mov_b32_dpp v20, v34 row_shr:1 row_mask:0xf bank_mask:0xf
	v_cndmask_b32_e64 v20, v20, 0, s[16:17]
	v_add_u32_e32 v20, v20, v34
	s_nop 1
	v_mov_b32_dpp v21, v20 row_shr:2 row_mask:0xf bank_mask:0xf
	v_cndmask_b32_e64 v21, 0, v21, s[14:15]
	v_add_u32_e32 v20, v20, v21
	s_nop 1
	;; [unrolled: 4-line block ×4, first 2 shown]
	v_mov_b32_dpp v21, v20 row_bcast:15 row_mask:0xf bank_mask:0xf
	v_cndmask_b32_e64 v21, v21, 0, s[6:7]
	v_add_u32_e32 v20, v20, v21
	s_nop 1
	v_mov_b32_dpp v21, v20 row_bcast:31 row_mask:0xf bank_mask:0xf
	v_cndmask_b32_e64 v21, 0, v21, s[4:5]
	v_add_u32_e32 v20, v20, v21
	s_and_saveexec_b64 s[18:19], s[8:9]
	s_cbranch_execz .LBB3455_19
; %bb.18:
	v_lshlrev_b32_e32 v21, 2, v33
	ds_write_b32 v21, v20
.LBB3455_19:
	s_or_b64 exec, exec, s[18:19]
	v_cmp_gt_u32_e32 vcc, 6, v0
	s_waitcnt lgkmcnt(0)
	s_barrier
	s_and_saveexec_b64 s[18:19], vcc
	s_cbranch_execz .LBB3455_21
; %bb.20:
	ds_read_b32 v21, v1
	v_and_b32_e32 v22, 7, v32
	v_cmp_ne_u32_e32 vcc, 0, v22
	s_waitcnt lgkmcnt(0)
	v_mov_b32_dpp v23, v21 row_shr:1 row_mask:0xf bank_mask:0xf
	v_cndmask_b32_e32 v23, 0, v23, vcc
	v_add_u32_e32 v21, v23, v21
	v_cmp_lt_u32_e32 vcc, 1, v22
	s_nop 0
	v_mov_b32_dpp v23, v21 row_shr:2 row_mask:0xf bank_mask:0xf
	v_cndmask_b32_e32 v23, 0, v23, vcc
	v_add_u32_e32 v21, v21, v23
	v_cmp_lt_u32_e32 vcc, 3, v22
	s_nop 0
	v_mov_b32_dpp v23, v21 row_shr:4 row_mask:0xf bank_mask:0xf
	v_cndmask_b32_e32 v22, 0, v23, vcc
	v_add_u32_e32 v21, v21, v22
	ds_write_b32 v1, v21
.LBB3455_21:
	s_or_b64 exec, exec, s[18:19]
	v_cmp_gt_u32_e32 vcc, 64, v0
	v_cmp_lt_u32_e64 s[18:19], 63, v0
	s_waitcnt lgkmcnt(0)
	s_barrier
	s_waitcnt lgkmcnt(0)
                                        ; implicit-def: $vgpr35
	s_and_saveexec_b64 s[40:41], s[18:19]
	s_cbranch_execz .LBB3455_23
; %bb.22:
	v_lshl_add_u32 v21, v33, 2, -4
	ds_read_b32 v35, v21
	s_waitcnt lgkmcnt(0)
	v_add_u32_e32 v20, v35, v20
.LBB3455_23:
	s_or_b64 exec, exec, s[40:41]
	v_add_u32_e32 v21, -1, v32
	v_and_b32_e32 v22, 64, v32
	v_cmp_lt_i32_e64 s[18:19], v21, v22
	s_nop 1
	v_cndmask_b32_e64 v21, v21, v32, s[18:19]
	v_lshlrev_b32_e32 v21, 2, v21
	ds_bpermute_b32 v36, v21, v20
	v_cmp_eq_u32_e64 s[18:19], 0, v32
	s_and_saveexec_b64 s[40:41], vcc
	s_cbranch_execz .LBB3455_42
; %bb.24:
	v_mov_b32_e32 v27, 0
	ds_read_b32 v20, v27 offset:20
	s_and_saveexec_b64 s[42:43], s[18:19]
	s_cbranch_execz .LBB3455_26
; %bb.25:
	s_add_i32 s44, s2, 64
	s_mov_b32 s45, 0
	s_lshl_b64 s[44:45], s[44:45], 3
	s_add_u32 s44, s38, s44
	v_mov_b32_e32 v21, 1
	s_addc_u32 s45, s39, s45
	s_waitcnt lgkmcnt(0)
	global_store_dwordx2 v27, v[20:21], s[44:45] sc1
.LBB3455_26:
	s_or_b64 exec, exec, s[42:43]
	v_xad_u32 v22, v32, -1, s2
	v_add_u32_e32 v26, 64, v22
	v_lshl_add_u64 v[28:29], v[26:27], 3, s[38:39]
	global_load_dwordx2 v[24:25], v[28:29], off sc1
	s_waitcnt vmcnt(0)
	v_cmp_eq_u16_sdwa s[44:45], v25, v27 src0_sel:BYTE_0 src1_sel:DWORD
	s_and_saveexec_b64 s[42:43], s[44:45]
	s_cbranch_execz .LBB3455_30
; %bb.27:
	s_mov_b64 s[44:45], 0
	v_mov_b32_e32 v21, 0
.LBB3455_28:                            ; =>This Inner Loop Header: Depth=1
	global_load_dwordx2 v[24:25], v[28:29], off sc1
	s_waitcnt vmcnt(0)
	v_cmp_ne_u16_sdwa s[46:47], v25, v21 src0_sel:BYTE_0 src1_sel:DWORD
	s_or_b64 s[44:45], s[46:47], s[44:45]
	s_andn2_b64 exec, exec, s[44:45]
	s_cbranch_execnz .LBB3455_28
; %bb.29:
	s_or_b64 exec, exec, s[44:45]
.LBB3455_30:
	s_or_b64 exec, exec, s[42:43]
	v_and_b32_e32 v38, 63, v32
	v_mov_b32_e32 v37, 2
	v_cmp_ne_u32_e32 vcc, 63, v38
	v_cmp_eq_u16_sdwa s[42:43], v25, v37 src0_sel:BYTE_0 src1_sel:DWORD
	v_lshlrev_b64 v[26:27], v32, -1
	v_addc_co_u32_e32 v28, vcc, 0, v32, vcc
	v_and_b32_e32 v21, s43, v27
	v_lshlrev_b32_e32 v39, 2, v28
	v_or_b32_e32 v21, 0x80000000, v21
	ds_bpermute_b32 v28, v39, v24
	v_and_b32_e32 v23, s42, v26
	v_ffbl_b32_e32 v21, v21
	v_add_u32_e32 v21, 32, v21
	v_ffbl_b32_e32 v23, v23
	v_min_u32_e32 v21, v23, v21
	v_cmp_lt_u32_e32 vcc, v38, v21
	v_add_u32_e32 v41, 2, v38
	v_add_u32_e32 v43, 4, v38
	s_waitcnt lgkmcnt(0)
	v_cndmask_b32_e32 v23, 0, v28, vcc
	v_cmp_gt_u32_e32 vcc, 62, v38
	v_add_u32_e32 v23, v23, v24
	v_add_u32_e32 v45, 8, v38
	v_cndmask_b32_e64 v24, 0, 1, vcc
	v_lshlrev_b32_e32 v24, 1, v24
	v_add_lshl_u32 v40, v24, v32, 2
	ds_bpermute_b32 v24, v40, v23
	v_cmp_le_u32_e32 vcc, v41, v21
	v_add_u32_e32 v47, 16, v38
	v_add_u32_e32 v49, 32, v38
	s_waitcnt lgkmcnt(0)
	v_cndmask_b32_e32 v24, 0, v24, vcc
	v_cmp_gt_u32_e32 vcc, 60, v38
	v_add_u32_e32 v23, v23, v24
	s_nop 0
	v_cndmask_b32_e64 v24, 0, 1, vcc
	v_lshlrev_b32_e32 v24, 2, v24
	v_add_lshl_u32 v42, v24, v32, 2
	ds_bpermute_b32 v24, v42, v23
	v_cmp_le_u32_e32 vcc, v43, v21
	s_waitcnt lgkmcnt(0)
	s_nop 0
	v_cndmask_b32_e32 v24, 0, v24, vcc
	v_cmp_gt_u32_e32 vcc, 56, v38
	v_add_u32_e32 v23, v23, v24
	s_nop 0
	v_cndmask_b32_e64 v24, 0, 1, vcc
	v_lshlrev_b32_e32 v24, 3, v24
	v_add_lshl_u32 v44, v24, v32, 2
	ds_bpermute_b32 v24, v44, v23
	v_cmp_le_u32_e32 vcc, v45, v21
	s_waitcnt lgkmcnt(0)
	s_nop 0
	;; [unrolled: 11-line block ×4, first 2 shown]
	v_cndmask_b32_e32 v21, 0, v24, vcc
	v_add_u32_e32 v24, v23, v21
	v_mov_b32_e32 v23, 0
	s_branch .LBB3455_32
.LBB3455_31:                            ;   in Loop: Header=BB3455_32 Depth=1
	s_or_b64 exec, exec, s[42:43]
	v_cmp_eq_u16_sdwa s[42:43], v25, v37 src0_sel:BYTE_0 src1_sel:DWORD
	ds_bpermute_b32 v50, v39, v24
	v_subrev_u32_e32 v22, 64, v22
	v_and_b32_e32 v28, s43, v27
	v_or_b32_e32 v28, 0x80000000, v28
	v_and_b32_e32 v29, s42, v26
	v_ffbl_b32_e32 v28, v28
	v_add_u32_e32 v28, 32, v28
	v_ffbl_b32_e32 v29, v29
	v_min_u32_e32 v28, v29, v28
	v_cmp_lt_u32_e32 vcc, v38, v28
	s_waitcnt lgkmcnt(0)
	s_nop 0
	v_cndmask_b32_e32 v29, 0, v50, vcc
	v_add_u32_e32 v24, v29, v24
	ds_bpermute_b32 v29, v40, v24
	v_cmp_le_u32_e32 vcc, v41, v28
	s_waitcnt lgkmcnt(0)
	s_nop 0
	v_cndmask_b32_e32 v29, 0, v29, vcc
	v_add_u32_e32 v24, v24, v29
	ds_bpermute_b32 v29, v42, v24
	v_cmp_le_u32_e32 vcc, v43, v28
	;; [unrolled: 6-line block ×5, first 2 shown]
	s_waitcnt lgkmcnt(0)
	s_nop 0
	v_cndmask_b32_e32 v28, 0, v29, vcc
	v_add3_u32 v24, v28, v21, v24
.LBB3455_32:                            ; =>This Loop Header: Depth=1
                                        ;     Child Loop BB3455_35 Depth 2
	v_cmp_ne_u16_sdwa s[42:43], v25, v37 src0_sel:BYTE_0 src1_sel:DWORD
	s_nop 1
	v_cndmask_b32_e64 v21, 0, 1, s[42:43]
	;;#ASMSTART
	;;#ASMEND
	s_nop 0
	v_cmp_ne_u32_e32 vcc, 0, v21
	s_cmp_lg_u64 vcc, exec
	v_mov_b32_e32 v21, v24
	s_cbranch_scc1 .LBB3455_37
; %bb.33:                               ;   in Loop: Header=BB3455_32 Depth=1
	v_lshl_add_u64 v[28:29], v[22:23], 3, s[38:39]
	global_load_dwordx2 v[24:25], v[28:29], off sc1
	s_waitcnt vmcnt(0)
	v_cmp_eq_u16_sdwa s[44:45], v25, v23 src0_sel:BYTE_0 src1_sel:DWORD
	s_and_saveexec_b64 s[42:43], s[44:45]
	s_cbranch_execz .LBB3455_31
; %bb.34:                               ;   in Loop: Header=BB3455_32 Depth=1
	s_mov_b64 s[44:45], 0
.LBB3455_35:                            ;   Parent Loop BB3455_32 Depth=1
                                        ; =>  This Inner Loop Header: Depth=2
	global_load_dwordx2 v[24:25], v[28:29], off sc1
	s_waitcnt vmcnt(0)
	v_cmp_ne_u16_sdwa s[46:47], v25, v23 src0_sel:BYTE_0 src1_sel:DWORD
	s_or_b64 s[44:45], s[46:47], s[44:45]
	s_andn2_b64 exec, exec, s[44:45]
	s_cbranch_execnz .LBB3455_35
; %bb.36:                               ;   in Loop: Header=BB3455_32 Depth=1
	s_or_b64 exec, exec, s[44:45]
	s_branch .LBB3455_31
.LBB3455_37:                            ;   in Loop: Header=BB3455_32 Depth=1
                                        ; implicit-def: $vgpr24
                                        ; implicit-def: $vgpr25
	s_cbranch_execz .LBB3455_32
; %bb.38:
	s_and_saveexec_b64 s[42:43], s[18:19]
	s_cbranch_execz .LBB3455_40
; %bb.39:
	s_add_i32 s2, s2, 64
	s_mov_b32 s3, 0
	s_lshl_b64 s[2:3], s[2:3], 3
	s_add_u32 s2, s38, s2
	v_add_u32_e32 v22, v21, v20
	v_mov_b32_e32 v23, 2
	s_addc_u32 s3, s39, s3
	v_mov_b32_e32 v24, 0
	global_store_dwordx2 v24, v[22:23], s[2:3] sc1
	ds_write_b64 v24, v[20:21] offset:25344
.LBB3455_40:
	s_or_b64 exec, exec, s[42:43]
	v_cmp_eq_u32_e32 vcc, 0, v0
	s_and_b64 exec, exec, vcc
	s_cbranch_execz .LBB3455_42
; %bb.41:
	v_mov_b32_e32 v20, 0
	ds_write_b32 v20, v21 offset:20
.LBB3455_42:
	s_or_b64 exec, exec, s[40:41]
	v_mov_b32_e32 v20, 0
	s_waitcnt lgkmcnt(0)
	s_barrier
	ds_read_b32 v21, v20 offset:20
	v_cndmask_b32_e64 v22, v36, v35, s[18:19]
	v_cmp_ne_u32_e32 vcc, 0, v0
	s_waitcnt lgkmcnt(0)
	s_barrier
	v_cndmask_b32_e32 v22, 0, v22, vcc
	v_add_u32_e32 v26, v21, v22
	ds_read_b64 v[20:21], v20 offset:25344
	v_add_u32_sdwa v25, v26, v19 dst_sel:DWORD dst_unused:UNUSED_PAD src0_sel:DWORD src1_sel:BYTE_0
	v_add_u32_e32 v23, v25, v30
	v_add_u32_e32 v22, v23, v31
	s_waitcnt lgkmcnt(0)
	v_mov_b32_e32 v24, v21
	s_load_dwordx2 s[2:3], s[0:1], 0x28
	s_branch .LBB3455_53
.LBB3455_43:
                                        ; implicit-def: $vgpr24
                                        ; implicit-def: $vgpr20
                                        ; implicit-def: $vgpr22
                                        ; implicit-def: $vgpr23
                                        ; implicit-def: $vgpr25
                                        ; implicit-def: $vgpr26
	s_load_dwordx2 s[2:3], s[0:1], 0x28
	s_cbranch_execz .LBB3455_53
; %bb.44:
	v_mov_b32_dpp v20, v34 row_shr:1 row_mask:0xf bank_mask:0xf
	v_cndmask_b32_e64 v20, v20, 0, s[16:17]
	v_add_u32_e32 v20, v20, v34
	s_nop 1
	v_mov_b32_dpp v21, v20 row_shr:2 row_mask:0xf bank_mask:0xf
	v_cndmask_b32_e64 v21, 0, v21, s[14:15]
	v_add_u32_e32 v20, v20, v21
	s_nop 1
	;; [unrolled: 4-line block ×4, first 2 shown]
	v_mov_b32_dpp v21, v20 row_bcast:15 row_mask:0xf bank_mask:0xf
	v_cndmask_b32_e64 v21, v21, 0, s[6:7]
	v_add_u32_e32 v20, v20, v21
	s_nop 1
	v_mov_b32_dpp v21, v20 row_bcast:31 row_mask:0xf bank_mask:0xf
	v_cndmask_b32_e64 v21, 0, v21, s[4:5]
	v_add_u32_e32 v20, v20, v21
	s_and_saveexec_b64 s[0:1], s[8:9]
	s_cbranch_execz .LBB3455_46
; %bb.45:
	v_lshlrev_b32_e32 v21, 2, v33
	ds_write_b32 v21, v20
.LBB3455_46:
	s_or_b64 exec, exec, s[0:1]
	v_cmp_gt_u32_e32 vcc, 6, v0
	s_waitcnt lgkmcnt(0)
	s_barrier
	s_and_saveexec_b64 s[0:1], vcc
	s_cbranch_execz .LBB3455_48
; %bb.47:
	ds_read_b32 v21, v1
	v_and_b32_e32 v22, 7, v32
	v_cmp_ne_u32_e32 vcc, 0, v22
	s_waitcnt lgkmcnt(0)
	v_mov_b32_dpp v23, v21 row_shr:1 row_mask:0xf bank_mask:0xf
	v_cndmask_b32_e32 v23, 0, v23, vcc
	v_add_u32_e32 v21, v23, v21
	v_cmp_lt_u32_e32 vcc, 1, v22
	s_nop 0
	v_mov_b32_dpp v23, v21 row_shr:2 row_mask:0xf bank_mask:0xf
	v_cndmask_b32_e32 v23, 0, v23, vcc
	v_add_u32_e32 v21, v21, v23
	v_cmp_lt_u32_e32 vcc, 3, v22
	s_nop 0
	v_mov_b32_dpp v23, v21 row_shr:4 row_mask:0xf bank_mask:0xf
	v_cndmask_b32_e32 v22, 0, v23, vcc
	v_add_u32_e32 v21, v21, v22
	ds_write_b32 v1, v21
.LBB3455_48:
	s_or_b64 exec, exec, s[0:1]
	v_cmp_lt_u32_e32 vcc, 63, v0
	v_mov_b32_e32 v21, 0
	v_mov_b32_e32 v22, 0
	s_waitcnt lgkmcnt(0)
	s_barrier
	s_and_saveexec_b64 s[0:1], vcc
	s_cbranch_execz .LBB3455_50
; %bb.49:
	v_lshl_add_u32 v22, v33, 2, -4
	ds_read_b32 v22, v22
.LBB3455_50:
	s_or_b64 exec, exec, s[0:1]
	v_add_u32_e32 v23, -1, v32
	v_and_b32_e32 v24, 64, v32
	v_cmp_lt_i32_e32 vcc, v23, v24
	s_waitcnt lgkmcnt(0)
	v_add_u32_e32 v20, v22, v20
	v_cndmask_b32_e32 v23, v23, v32, vcc
	v_lshlrev_b32_e32 v23, 2, v23
	ds_bpermute_b32 v23, v23, v20
	ds_read_b32 v20, v21 offset:20
	v_cmp_eq_u32_e32 vcc, 0, v0
	s_and_saveexec_b64 s[0:1], vcc
	s_cbranch_execz .LBB3455_52
; %bb.51:
	v_mov_b32_e32 v24, 0
	v_mov_b32_e32 v21, 2
	s_waitcnt lgkmcnt(0)
	global_store_dwordx2 v24, v[20:21], s[38:39] offset:512 sc1
.LBB3455_52:
	s_or_b64 exec, exec, s[0:1]
	v_cmp_eq_u32_e64 s[0:1], 0, v32
	v_mov_b32_e32 v24, 0
	s_waitcnt lgkmcnt(0)
	v_cndmask_b32_e64 v21, v23, v22, s[0:1]
	v_cndmask_b32_e64 v26, v21, 0, vcc
	v_add_u32_sdwa v25, v26, v19 dst_sel:DWORD dst_unused:UNUSED_PAD src0_sel:DWORD src1_sel:BYTE_0
	v_add_u32_e32 v23, v25, v30
	v_add_u32_e32 v22, v23, v31
	s_barrier
.LBB3455_53:
	v_add_u32_e32 v1, v20, v1
	v_sub_u32_e32 v26, v26, v24
	v_and_b32_e32 v28, 1, v19
	v_sub_u32_e32 v27, v1, v26
	v_cmp_eq_u32_e32 vcc, 1, v28
	v_lshrrev_b32_e32 v21, 8, v19
	s_add_u32 s0, s22, s34
	v_cndmask_b32_e32 v26, v27, v26, vcc
	v_lshlrev_b32_e32 v26, 4, v26
	ds_write_b128 v26, v[14:17]
	v_sub_u32_e32 v14, v25, v24
	v_sub_u32_e32 v15, v1, v14
	v_and_b32_e32 v16, 1, v21
	v_add_u32_e32 v15, 1, v15
	v_cmp_eq_u32_e32 vcc, 1, v16
	s_addc_u32 s1, s23, 0
	s_sub_u32 s0, s28, s0
	v_cndmask_b32_e32 v14, v15, v14, vcc
	v_lshlrev_b32_e32 v14, 4, v14
	ds_write_b128 v14, v[10:13]
	v_sub_u32_e32 v10, v23, v24
	v_mov_b32_e32 v12, 1
	v_sub_u32_e32 v11, v1, v10
	v_and_b32_sdwa v12, v12, v19 dst_sel:DWORD dst_unused:UNUSED_PAD src0_sel:DWORD src1_sel:WORD_1
	v_add_u32_e32 v11, 2, v11
	v_cmp_eq_u32_e32 vcc, 1, v12
	s_subb_u32 s1, s29, s1
	v_add_u32_e32 v28, 0x180, v0
	v_cndmask_b32_e32 v10, v11, v10, vcc
	v_lshlrev_b32_e32 v10, 4, v10
	ds_write_b128 v10, v[6:9]
	v_sub_u32_e32 v6, v22, v24
	v_sub_u32_e32 v1, v1, v6
	v_add_u32_e32 v1, 3, v1
	v_cndmask_b32_e64 v1, v1, v6, s[36:37]
	v_lshlrev_b32_e32 v1, 4, v1
	ds_write_b128 v1, v[2:5]
	s_waitcnt lgkmcnt(0)
	s_barrier
	ds_read_b128 v[14:17], v18
	ds_read_b128 v[10:13], v18 offset:6144
	ds_read_b128 v[6:9], v18 offset:12288
	;; [unrolled: 1-line block ×3, first 2 shown]
	v_mov_b32_e32 v1, 0
	v_mov_b32_e32 v25, v1
	;; [unrolled: 1-line block ×3, first 2 shown]
	v_lshl_add_u64 v[18:19], s[30:31], 0, v[24:25]
	v_lshl_add_u64 v[24:25], s[0:1], 0, v[20:21]
	v_mov_b32_e32 v29, v1
	v_add_u32_e32 v26, 0x300, v0
	v_mov_b32_e32 v27, v1
	v_add_u32_e32 v22, 0x480, v0
	v_mov_b32_e32 v23, v1
	s_and_b64 vcc, exec, s[20:21]
	v_lshl_add_u64 v[24:25], v[24:25], 0, v[18:19]
	s_cbranch_vccnz .LBB3455_71
; %bb.54:
	v_cmp_ge_u32_e32 vcc, v0, v20
                                        ; implicit-def: $vgpr30_vgpr31
	s_and_saveexec_b64 s[0:1], vcc
	s_xor_b64 s[0:1], exec, s[0:1]
; %bb.55:
	v_not_b32_e32 v30, v0
	v_ashrrev_i32_e32 v31, 31, v30
	v_lshl_add_u64 v[30:31], v[24:25], 0, v[30:31]
; %bb.56:
	s_andn2_saveexec_b64 s[0:1], s[0:1]
; %bb.57:
	v_lshl_add_u64 v[30:31], v[18:19], 0, v[0:1]
; %bb.58:
	s_or_b64 exec, exec, s[0:1]
	v_lshl_add_u64 v[30:31], v[30:31], 4, s[2:3]
	v_cmp_ge_u32_e32 vcc, v28, v20
	s_waitcnt lgkmcnt(3)
	global_store_dwordx4 v[30:31], v[14:17], off
                                        ; implicit-def: $vgpr30_vgpr31
	s_and_saveexec_b64 s[0:1], vcc
	s_xor_b64 s[0:1], exec, s[0:1]
; %bb.59:
	v_sub_u32_e32 v30, 0xfffffe7f, v0
	v_ashrrev_i32_e32 v31, 31, v30
	v_lshl_add_u64 v[30:31], v[24:25], 0, v[30:31]
; %bb.60:
	s_andn2_saveexec_b64 s[0:1], s[0:1]
; %bb.61:
	v_lshl_add_u64 v[30:31], v[18:19], 0, v[28:29]
; %bb.62:
	s_or_b64 exec, exec, s[0:1]
	v_lshl_add_u64 v[30:31], v[30:31], 4, s[2:3]
	v_cmp_ge_u32_e32 vcc, v26, v20
	s_waitcnt lgkmcnt(2)
	global_store_dwordx4 v[30:31], v[10:13], off
                                        ; implicit-def: $vgpr30_vgpr31
	s_and_saveexec_b64 s[0:1], vcc
	s_xor_b64 s[0:1], exec, s[0:1]
; %bb.63:
	v_sub_u32_e32 v30, 0xfffffcff, v0
	;; [unrolled: 17-line block ×3, first 2 shown]
	v_ashrrev_i32_e32 v31, 31, v30
	v_lshl_add_u64 v[30:31], v[24:25], 0, v[30:31]
; %bb.68:
	s_andn2_saveexec_b64 s[0:1], s[0:1]
; %bb.69:
	v_lshl_add_u64 v[30:31], v[18:19], 0, v[22:23]
; %bb.70:
	s_or_b64 exec, exec, s[0:1]
	s_mov_b64 s[0:1], -1
	s_branch .LBB3455_97
.LBB3455_71:
	s_mov_b64 s[0:1], 0
                                        ; implicit-def: $vgpr30_vgpr31
	s_cbranch_execz .LBB3455_97
; %bb.72:
	v_cmp_gt_u32_e32 vcc, s33, v0
	s_and_saveexec_b64 s[4:5], vcc
	s_cbranch_execz .LBB3455_80
; %bb.73:
	v_cmp_ge_u32_e32 vcc, v0, v20
                                        ; implicit-def: $vgpr30_vgpr31
	s_and_saveexec_b64 s[6:7], vcc
	s_xor_b64 s[6:7], exec, s[6:7]
; %bb.74:
	v_not_b32_e32 v30, v0
	v_ashrrev_i32_e32 v31, 31, v30
	v_lshl_add_u64 v[30:31], v[24:25], 0, v[30:31]
; %bb.75:
	s_andn2_saveexec_b64 s[6:7], s[6:7]
; %bb.76:
	v_lshl_add_u64 v[30:31], v[18:19], 0, v[0:1]
; %bb.77:
	s_or_b64 exec, exec, s[6:7]
	v_lshl_add_u64 v[30:31], v[30:31], 4, s[2:3]
	s_waitcnt lgkmcnt(3)
	global_store_dwordx4 v[30:31], v[14:17], off
	s_or_b64 exec, exec, s[4:5]
	v_cmp_gt_u32_e32 vcc, s33, v28
	s_and_saveexec_b64 s[4:5], vcc
	s_cbranch_execnz .LBB3455_81
.LBB3455_78:
	s_or_b64 exec, exec, s[4:5]
	v_cmp_gt_u32_e32 vcc, s33, v26
	s_and_saveexec_b64 s[4:5], vcc
	s_cbranch_execnz .LBB3455_86
.LBB3455_79:
	s_or_b64 exec, exec, s[4:5]
	v_cmp_gt_u32_e32 vcc, s33, v22
                                        ; implicit-def: $vgpr30_vgpr31
	s_and_saveexec_b64 s[4:5], vcc
	s_cbranch_execz .LBB3455_96
	s_branch .LBB3455_91
.LBB3455_80:
	s_or_b64 exec, exec, s[4:5]
	v_cmp_gt_u32_e32 vcc, s33, v28
	s_and_saveexec_b64 s[4:5], vcc
	s_cbranch_execz .LBB3455_78
.LBB3455_81:
	v_cmp_ge_u32_e32 vcc, v28, v20
                                        ; implicit-def: $vgpr14_vgpr15
	s_and_saveexec_b64 s[6:7], vcc
	s_xor_b64 s[6:7], exec, s[6:7]
	s_cbranch_execz .LBB3455_83
; %bb.82:
	s_waitcnt lgkmcnt(3)
	v_sub_u32_e32 v14, 0xfffffe7f, v0
	v_ashrrev_i32_e32 v15, 31, v14
	v_lshl_add_u64 v[14:15], v[24:25], 0, v[14:15]
                                        ; implicit-def: $vgpr28_vgpr29
.LBB3455_83:
	s_andn2_saveexec_b64 s[6:7], s[6:7]
	s_cbranch_execz .LBB3455_85
; %bb.84:
	s_waitcnt lgkmcnt(3)
	v_lshl_add_u64 v[14:15], v[18:19], 0, v[28:29]
.LBB3455_85:
	s_or_b64 exec, exec, s[6:7]
	s_waitcnt lgkmcnt(3)
	v_lshl_add_u64 v[14:15], v[14:15], 4, s[2:3]
	s_waitcnt lgkmcnt(2)
	global_store_dwordx4 v[14:15], v[10:13], off
	s_or_b64 exec, exec, s[4:5]
	v_cmp_gt_u32_e32 vcc, s33, v26
	s_and_saveexec_b64 s[4:5], vcc
	s_cbranch_execz .LBB3455_79
.LBB3455_86:
	v_cmp_ge_u32_e32 vcc, v26, v20
                                        ; implicit-def: $vgpr10_vgpr11
	s_and_saveexec_b64 s[6:7], vcc
	s_xor_b64 s[6:7], exec, s[6:7]
	s_cbranch_execz .LBB3455_88
; %bb.87:
	s_waitcnt lgkmcnt(2)
	v_sub_u32_e32 v10, 0xfffffcff, v0
	v_ashrrev_i32_e32 v11, 31, v10
	v_lshl_add_u64 v[10:11], v[24:25], 0, v[10:11]
                                        ; implicit-def: $vgpr26_vgpr27
.LBB3455_88:
	s_andn2_saveexec_b64 s[6:7], s[6:7]
	s_cbranch_execz .LBB3455_90
; %bb.89:
	s_waitcnt lgkmcnt(2)
	v_lshl_add_u64 v[10:11], v[18:19], 0, v[26:27]
.LBB3455_90:
	s_or_b64 exec, exec, s[6:7]
	s_waitcnt lgkmcnt(2)
	v_lshl_add_u64 v[10:11], v[10:11], 4, s[2:3]
	s_waitcnt lgkmcnt(1)
	global_store_dwordx4 v[10:11], v[6:9], off
	s_or_b64 exec, exec, s[4:5]
	v_cmp_gt_u32_e32 vcc, s33, v22
                                        ; implicit-def: $vgpr30_vgpr31
	s_and_saveexec_b64 s[4:5], vcc
	s_cbranch_execz .LBB3455_96
.LBB3455_91:
	v_cmp_ge_u32_e32 vcc, v22, v20
                                        ; implicit-def: $vgpr30_vgpr31
	s_and_saveexec_b64 s[6:7], vcc
	s_xor_b64 s[6:7], exec, s[6:7]
	s_cbranch_execz .LBB3455_93
; %bb.92:
	s_waitcnt lgkmcnt(1)
	v_sub_u32_e32 v6, 0xfffffb7f, v0
	v_ashrrev_i32_e32 v7, 31, v6
	v_lshl_add_u64 v[30:31], v[24:25], 0, v[6:7]
                                        ; implicit-def: $vgpr22_vgpr23
.LBB3455_93:
	s_andn2_saveexec_b64 s[6:7], s[6:7]
; %bb.94:
	v_lshl_add_u64 v[30:31], v[18:19], 0, v[22:23]
; %bb.95:
	s_or_b64 exec, exec, s[6:7]
	s_or_b64 s[0:1], s[0:1], exec
.LBB3455_96:
	s_or_b64 exec, exec, s[4:5]
.LBB3455_97:
	s_and_saveexec_b64 s[4:5], s[0:1]
	s_cbranch_execz .LBB3455_99
; %bb.98:
	s_waitcnt lgkmcnt(1)
	v_lshl_add_u64 v[6:7], v[30:31], 4, s[2:3]
	s_waitcnt lgkmcnt(0)
	global_store_dwordx4 v[6:7], v[2:5], off
.LBB3455_99:
	s_or_b64 exec, exec, s[4:5]
	v_cmp_eq_u32_e32 vcc, 0, v0
	s_and_b64 s[0:1], vcc, s[26:27]
	s_and_saveexec_b64 s[2:3], s[0:1]
	s_cbranch_execz .LBB3455_101
; %bb.100:
	s_waitcnt lgkmcnt(0)
	v_mov_b32_e32 v2, 0
	v_lshl_add_u64 v[0:1], v[18:19], 0, v[20:21]
	global_store_dwordx2 v2, v[0:1], s[24:25]
.LBB3455_101:
	s_endpgm
	.section	.rodata,"a",@progbits
	.p2align	6, 0x0
	.amdhsa_kernel _ZN7rocprim17ROCPRIM_400000_NS6detail17trampoline_kernelINS0_14default_configENS1_25partition_config_selectorILNS1_17partition_subalgoE3EN6thrust23THRUST_200600_302600_NS5tupleIxxNS7_9null_typeES9_S9_S9_S9_S9_S9_S9_EENS0_10empty_typeEbEEZZNS1_14partition_implILS5_3ELb0ES3_jNS7_6detail15normal_iteratorINS7_7pointerISA_NS7_11hip_rocprim3tagENS7_11use_defaultESJ_EEEEPSB_SM_NS0_5tupleIJPSA_SM_EEENSN_IJSM_SM_EEESB_PlJ10is_orderedEEE10hipError_tPvRmT3_T4_T5_T6_T7_T9_mT8_P12ihipStream_tbDpT10_ENKUlT_T0_E_clISt17integral_constantIbLb0EES1C_EEDaS17_S18_EUlS17_E_NS1_11comp_targetILNS1_3genE5ELNS1_11target_archE942ELNS1_3gpuE9ELNS1_3repE0EEENS1_30default_config_static_selectorELNS0_4arch9wavefront6targetE1EEEvT1_
		.amdhsa_group_segment_fixed_size 25352
		.amdhsa_private_segment_fixed_size 0
		.amdhsa_kernarg_size 120
		.amdhsa_user_sgpr_count 2
		.amdhsa_user_sgpr_dispatch_ptr 0
		.amdhsa_user_sgpr_queue_ptr 0
		.amdhsa_user_sgpr_kernarg_segment_ptr 1
		.amdhsa_user_sgpr_dispatch_id 0
		.amdhsa_user_sgpr_kernarg_preload_length 0
		.amdhsa_user_sgpr_kernarg_preload_offset 0
		.amdhsa_user_sgpr_private_segment_size 0
		.amdhsa_uses_dynamic_stack 0
		.amdhsa_enable_private_segment 0
		.amdhsa_system_sgpr_workgroup_id_x 1
		.amdhsa_system_sgpr_workgroup_id_y 0
		.amdhsa_system_sgpr_workgroup_id_z 0
		.amdhsa_system_sgpr_workgroup_info 0
		.amdhsa_system_vgpr_workitem_id 0
		.amdhsa_next_free_vgpr 51
		.amdhsa_next_free_sgpr 48
		.amdhsa_accum_offset 52
		.amdhsa_reserve_vcc 1
		.amdhsa_float_round_mode_32 0
		.amdhsa_float_round_mode_16_64 0
		.amdhsa_float_denorm_mode_32 3
		.amdhsa_float_denorm_mode_16_64 3
		.amdhsa_dx10_clamp 1
		.amdhsa_ieee_mode 1
		.amdhsa_fp16_overflow 0
		.amdhsa_tg_split 0
		.amdhsa_exception_fp_ieee_invalid_op 0
		.amdhsa_exception_fp_denorm_src 0
		.amdhsa_exception_fp_ieee_div_zero 0
		.amdhsa_exception_fp_ieee_overflow 0
		.amdhsa_exception_fp_ieee_underflow 0
		.amdhsa_exception_fp_ieee_inexact 0
		.amdhsa_exception_int_div_zero 0
	.end_amdhsa_kernel
	.section	.text._ZN7rocprim17ROCPRIM_400000_NS6detail17trampoline_kernelINS0_14default_configENS1_25partition_config_selectorILNS1_17partition_subalgoE3EN6thrust23THRUST_200600_302600_NS5tupleIxxNS7_9null_typeES9_S9_S9_S9_S9_S9_S9_EENS0_10empty_typeEbEEZZNS1_14partition_implILS5_3ELb0ES3_jNS7_6detail15normal_iteratorINS7_7pointerISA_NS7_11hip_rocprim3tagENS7_11use_defaultESJ_EEEEPSB_SM_NS0_5tupleIJPSA_SM_EEENSN_IJSM_SM_EEESB_PlJ10is_orderedEEE10hipError_tPvRmT3_T4_T5_T6_T7_T9_mT8_P12ihipStream_tbDpT10_ENKUlT_T0_E_clISt17integral_constantIbLb0EES1C_EEDaS17_S18_EUlS17_E_NS1_11comp_targetILNS1_3genE5ELNS1_11target_archE942ELNS1_3gpuE9ELNS1_3repE0EEENS1_30default_config_static_selectorELNS0_4arch9wavefront6targetE1EEEvT1_,"axG",@progbits,_ZN7rocprim17ROCPRIM_400000_NS6detail17trampoline_kernelINS0_14default_configENS1_25partition_config_selectorILNS1_17partition_subalgoE3EN6thrust23THRUST_200600_302600_NS5tupleIxxNS7_9null_typeES9_S9_S9_S9_S9_S9_S9_EENS0_10empty_typeEbEEZZNS1_14partition_implILS5_3ELb0ES3_jNS7_6detail15normal_iteratorINS7_7pointerISA_NS7_11hip_rocprim3tagENS7_11use_defaultESJ_EEEEPSB_SM_NS0_5tupleIJPSA_SM_EEENSN_IJSM_SM_EEESB_PlJ10is_orderedEEE10hipError_tPvRmT3_T4_T5_T6_T7_T9_mT8_P12ihipStream_tbDpT10_ENKUlT_T0_E_clISt17integral_constantIbLb0EES1C_EEDaS17_S18_EUlS17_E_NS1_11comp_targetILNS1_3genE5ELNS1_11target_archE942ELNS1_3gpuE9ELNS1_3repE0EEENS1_30default_config_static_selectorELNS0_4arch9wavefront6targetE1EEEvT1_,comdat
.Lfunc_end3455:
	.size	_ZN7rocprim17ROCPRIM_400000_NS6detail17trampoline_kernelINS0_14default_configENS1_25partition_config_selectorILNS1_17partition_subalgoE3EN6thrust23THRUST_200600_302600_NS5tupleIxxNS7_9null_typeES9_S9_S9_S9_S9_S9_S9_EENS0_10empty_typeEbEEZZNS1_14partition_implILS5_3ELb0ES3_jNS7_6detail15normal_iteratorINS7_7pointerISA_NS7_11hip_rocprim3tagENS7_11use_defaultESJ_EEEEPSB_SM_NS0_5tupleIJPSA_SM_EEENSN_IJSM_SM_EEESB_PlJ10is_orderedEEE10hipError_tPvRmT3_T4_T5_T6_T7_T9_mT8_P12ihipStream_tbDpT10_ENKUlT_T0_E_clISt17integral_constantIbLb0EES1C_EEDaS17_S18_EUlS17_E_NS1_11comp_targetILNS1_3genE5ELNS1_11target_archE942ELNS1_3gpuE9ELNS1_3repE0EEENS1_30default_config_static_selectorELNS0_4arch9wavefront6targetE1EEEvT1_, .Lfunc_end3455-_ZN7rocprim17ROCPRIM_400000_NS6detail17trampoline_kernelINS0_14default_configENS1_25partition_config_selectorILNS1_17partition_subalgoE3EN6thrust23THRUST_200600_302600_NS5tupleIxxNS7_9null_typeES9_S9_S9_S9_S9_S9_S9_EENS0_10empty_typeEbEEZZNS1_14partition_implILS5_3ELb0ES3_jNS7_6detail15normal_iteratorINS7_7pointerISA_NS7_11hip_rocprim3tagENS7_11use_defaultESJ_EEEEPSB_SM_NS0_5tupleIJPSA_SM_EEENSN_IJSM_SM_EEESB_PlJ10is_orderedEEE10hipError_tPvRmT3_T4_T5_T6_T7_T9_mT8_P12ihipStream_tbDpT10_ENKUlT_T0_E_clISt17integral_constantIbLb0EES1C_EEDaS17_S18_EUlS17_E_NS1_11comp_targetILNS1_3genE5ELNS1_11target_archE942ELNS1_3gpuE9ELNS1_3repE0EEENS1_30default_config_static_selectorELNS0_4arch9wavefront6targetE1EEEvT1_
                                        ; -- End function
	.section	.AMDGPU.csdata,"",@progbits
; Kernel info:
; codeLenInByte = 4184
; NumSgprs: 54
; NumVgprs: 51
; NumAgprs: 0
; TotalNumVgprs: 51
; ScratchSize: 0
; MemoryBound: 1
; FloatMode: 240
; IeeeMode: 1
; LDSByteSize: 25352 bytes/workgroup (compile time only)
; SGPRBlocks: 6
; VGPRBlocks: 6
; NumSGPRsForWavesPerEU: 54
; NumVGPRsForWavesPerEU: 51
; AccumOffset: 52
; Occupancy: 3
; WaveLimiterHint : 1
; COMPUTE_PGM_RSRC2:SCRATCH_EN: 0
; COMPUTE_PGM_RSRC2:USER_SGPR: 2
; COMPUTE_PGM_RSRC2:TRAP_HANDLER: 0
; COMPUTE_PGM_RSRC2:TGID_X_EN: 1
; COMPUTE_PGM_RSRC2:TGID_Y_EN: 0
; COMPUTE_PGM_RSRC2:TGID_Z_EN: 0
; COMPUTE_PGM_RSRC2:TIDIG_COMP_CNT: 0
; COMPUTE_PGM_RSRC3_GFX90A:ACCUM_OFFSET: 12
; COMPUTE_PGM_RSRC3_GFX90A:TG_SPLIT: 0
	.section	.text._ZN6thrust23THRUST_200600_302600_NS11hip_rocprim14__parallel_for6kernelILj256ENS1_20__uninitialized_copy7functorINS0_7pointerINS0_5tupleIxxNS0_9null_typeES8_S8_S8_S8_S8_S8_S8_EENS1_3tagENS0_11use_defaultESB_EESC_EEmLj1EEEvT0_T1_SF_,"axG",@progbits,_ZN6thrust23THRUST_200600_302600_NS11hip_rocprim14__parallel_for6kernelILj256ENS1_20__uninitialized_copy7functorINS0_7pointerINS0_5tupleIxxNS0_9null_typeES8_S8_S8_S8_S8_S8_S8_EENS1_3tagENS0_11use_defaultESB_EESC_EEmLj1EEEvT0_T1_SF_,comdat
	.protected	_ZN6thrust23THRUST_200600_302600_NS11hip_rocprim14__parallel_for6kernelILj256ENS1_20__uninitialized_copy7functorINS0_7pointerINS0_5tupleIxxNS0_9null_typeES8_S8_S8_S8_S8_S8_S8_EENS1_3tagENS0_11use_defaultESB_EESC_EEmLj1EEEvT0_T1_SF_ ; -- Begin function _ZN6thrust23THRUST_200600_302600_NS11hip_rocprim14__parallel_for6kernelILj256ENS1_20__uninitialized_copy7functorINS0_7pointerINS0_5tupleIxxNS0_9null_typeES8_S8_S8_S8_S8_S8_S8_EENS1_3tagENS0_11use_defaultESB_EESC_EEmLj1EEEvT0_T1_SF_
	.globl	_ZN6thrust23THRUST_200600_302600_NS11hip_rocprim14__parallel_for6kernelILj256ENS1_20__uninitialized_copy7functorINS0_7pointerINS0_5tupleIxxNS0_9null_typeES8_S8_S8_S8_S8_S8_S8_EENS1_3tagENS0_11use_defaultESB_EESC_EEmLj1EEEvT0_T1_SF_
	.p2align	8
	.type	_ZN6thrust23THRUST_200600_302600_NS11hip_rocprim14__parallel_for6kernelILj256ENS1_20__uninitialized_copy7functorINS0_7pointerINS0_5tupleIxxNS0_9null_typeES8_S8_S8_S8_S8_S8_S8_EENS1_3tagENS0_11use_defaultESB_EESC_EEmLj1EEEvT0_T1_SF_,@function
_ZN6thrust23THRUST_200600_302600_NS11hip_rocprim14__parallel_for6kernelILj256ENS1_20__uninitialized_copy7functorINS0_7pointerINS0_5tupleIxxNS0_9null_typeES8_S8_S8_S8_S8_S8_S8_EENS1_3tagENS0_11use_defaultESB_EESC_EEmLj1EEEvT0_T1_SF_: ; @_ZN6thrust23THRUST_200600_302600_NS11hip_rocprim14__parallel_for6kernelILj256ENS1_20__uninitialized_copy7functorINS0_7pointerINS0_5tupleIxxNS0_9null_typeES8_S8_S8_S8_S8_S8_S8_EENS1_3tagENS0_11use_defaultESB_EESC_EEmLj1EEEvT0_T1_SF_
; %bb.0:
	s_load_dwordx8 s[4:11], s[0:1], 0x0
	s_lshl_b32 s0, s2, 8
	v_mov_b64_e32 v[2:3], 0x100
	s_mov_b64 s[2:3], -1
	s_waitcnt lgkmcnt(0)
	s_add_u32 s0, s0, s10
	s_addc_u32 s1, 0, s11
	s_sub_u32 s8, s8, s0
	s_subb_u32 s9, s9, s1
	v_cmp_lt_u64_e32 vcc, s[8:9], v[2:3]
	s_cbranch_vccnz .LBB3456_3
; %bb.1:
	s_andn2_b64 vcc, exec, s[2:3]
	s_cbranch_vccz .LBB3456_6
.LBB3456_2:
	s_endpgm
.LBB3456_3:
	v_cmp_gt_u32_e32 vcc, s8, v0
	s_and_saveexec_b64 s[2:3], vcc
	s_cbranch_execz .LBB3456_5
; %bb.4:
	v_mov_b32_e32 v1, 0
	v_lshl_add_u64 v[2:3], s[0:1], 0, v[0:1]
	v_lshlrev_b64 v[6:7], 4, v[2:3]
	v_lshl_add_u64 v[2:3], s[4:5], 0, v[6:7]
	flat_load_dwordx4 v[2:5], v[2:3]
	v_lshl_add_u64 v[6:7], s[6:7], 0, v[6:7]
	s_waitcnt vmcnt(0) lgkmcnt(0)
	flat_store_dwordx4 v[6:7], v[2:5]
.LBB3456_5:
	s_or_b64 exec, exec, s[2:3]
	s_cbranch_execnz .LBB3456_2
.LBB3456_6:
	v_mov_b32_e32 v1, 0
	v_lshl_add_u64 v[0:1], s[0:1], 0, v[0:1]
	v_lshlrev_b64 v[4:5], 4, v[0:1]
	v_lshl_add_u64 v[0:1], s[4:5], 0, v[4:5]
	flat_load_dwordx4 v[0:3], v[0:1]
	v_lshl_add_u64 v[4:5], s[6:7], 0, v[4:5]
	s_waitcnt vmcnt(0) lgkmcnt(0)
	flat_store_dwordx4 v[4:5], v[0:3]
	s_endpgm
	.section	.rodata,"a",@progbits
	.p2align	6, 0x0
	.amdhsa_kernel _ZN6thrust23THRUST_200600_302600_NS11hip_rocprim14__parallel_for6kernelILj256ENS1_20__uninitialized_copy7functorINS0_7pointerINS0_5tupleIxxNS0_9null_typeES8_S8_S8_S8_S8_S8_S8_EENS1_3tagENS0_11use_defaultESB_EESC_EEmLj1EEEvT0_T1_SF_
		.amdhsa_group_segment_fixed_size 0
		.amdhsa_private_segment_fixed_size 0
		.amdhsa_kernarg_size 32
		.amdhsa_user_sgpr_count 2
		.amdhsa_user_sgpr_dispatch_ptr 0
		.amdhsa_user_sgpr_queue_ptr 0
		.amdhsa_user_sgpr_kernarg_segment_ptr 1
		.amdhsa_user_sgpr_dispatch_id 0
		.amdhsa_user_sgpr_kernarg_preload_length 0
		.amdhsa_user_sgpr_kernarg_preload_offset 0
		.amdhsa_user_sgpr_private_segment_size 0
		.amdhsa_uses_dynamic_stack 0
		.amdhsa_enable_private_segment 0
		.amdhsa_system_sgpr_workgroup_id_x 1
		.amdhsa_system_sgpr_workgroup_id_y 0
		.amdhsa_system_sgpr_workgroup_id_z 0
		.amdhsa_system_sgpr_workgroup_info 0
		.amdhsa_system_vgpr_workitem_id 0
		.amdhsa_next_free_vgpr 8
		.amdhsa_next_free_sgpr 12
		.amdhsa_accum_offset 8
		.amdhsa_reserve_vcc 1
		.amdhsa_float_round_mode_32 0
		.amdhsa_float_round_mode_16_64 0
		.amdhsa_float_denorm_mode_32 3
		.amdhsa_float_denorm_mode_16_64 3
		.amdhsa_dx10_clamp 1
		.amdhsa_ieee_mode 1
		.amdhsa_fp16_overflow 0
		.amdhsa_tg_split 0
		.amdhsa_exception_fp_ieee_invalid_op 0
		.amdhsa_exception_fp_denorm_src 0
		.amdhsa_exception_fp_ieee_div_zero 0
		.amdhsa_exception_fp_ieee_overflow 0
		.amdhsa_exception_fp_ieee_underflow 0
		.amdhsa_exception_fp_ieee_inexact 0
		.amdhsa_exception_int_div_zero 0
	.end_amdhsa_kernel
	.section	.text._ZN6thrust23THRUST_200600_302600_NS11hip_rocprim14__parallel_for6kernelILj256ENS1_20__uninitialized_copy7functorINS0_7pointerINS0_5tupleIxxNS0_9null_typeES8_S8_S8_S8_S8_S8_S8_EENS1_3tagENS0_11use_defaultESB_EESC_EEmLj1EEEvT0_T1_SF_,"axG",@progbits,_ZN6thrust23THRUST_200600_302600_NS11hip_rocprim14__parallel_for6kernelILj256ENS1_20__uninitialized_copy7functorINS0_7pointerINS0_5tupleIxxNS0_9null_typeES8_S8_S8_S8_S8_S8_S8_EENS1_3tagENS0_11use_defaultESB_EESC_EEmLj1EEEvT0_T1_SF_,comdat
.Lfunc_end3456:
	.size	_ZN6thrust23THRUST_200600_302600_NS11hip_rocprim14__parallel_for6kernelILj256ENS1_20__uninitialized_copy7functorINS0_7pointerINS0_5tupleIxxNS0_9null_typeES8_S8_S8_S8_S8_S8_S8_EENS1_3tagENS0_11use_defaultESB_EESC_EEmLj1EEEvT0_T1_SF_, .Lfunc_end3456-_ZN6thrust23THRUST_200600_302600_NS11hip_rocprim14__parallel_for6kernelILj256ENS1_20__uninitialized_copy7functorINS0_7pointerINS0_5tupleIxxNS0_9null_typeES8_S8_S8_S8_S8_S8_S8_EENS1_3tagENS0_11use_defaultESB_EESC_EEmLj1EEEvT0_T1_SF_
                                        ; -- End function
	.section	.AMDGPU.csdata,"",@progbits
; Kernel info:
; codeLenInByte = 200
; NumSgprs: 18
; NumVgprs: 8
; NumAgprs: 0
; TotalNumVgprs: 8
; ScratchSize: 0
; MemoryBound: 0
; FloatMode: 240
; IeeeMode: 1
; LDSByteSize: 0 bytes/workgroup (compile time only)
; SGPRBlocks: 2
; VGPRBlocks: 0
; NumSGPRsForWavesPerEU: 18
; NumVGPRsForWavesPerEU: 8
; AccumOffset: 8
; Occupancy: 8
; WaveLimiterHint : 0
; COMPUTE_PGM_RSRC2:SCRATCH_EN: 0
; COMPUTE_PGM_RSRC2:USER_SGPR: 2
; COMPUTE_PGM_RSRC2:TRAP_HANDLER: 0
; COMPUTE_PGM_RSRC2:TGID_X_EN: 1
; COMPUTE_PGM_RSRC2:TGID_Y_EN: 0
; COMPUTE_PGM_RSRC2:TGID_Z_EN: 0
; COMPUTE_PGM_RSRC2:TIDIG_COMP_CNT: 0
; COMPUTE_PGM_RSRC3_GFX90A:ACCUM_OFFSET: 1
; COMPUTE_PGM_RSRC3_GFX90A:TG_SPLIT: 0
	.section	.text._ZN7rocprim17ROCPRIM_400000_NS6detail17trampoline_kernelINS0_14default_configENS1_25partition_config_selectorILNS1_17partition_subalgoE3EN6thrust23THRUST_200600_302600_NS5tupleIxxNS7_9null_typeES9_S9_S9_S9_S9_S9_S9_EENS0_10empty_typeEbEEZZNS1_14partition_implILS5_3ELb0ES3_jNS7_6detail15normal_iteratorINS7_7pointerISA_NS7_11hip_rocprim3tagENS7_11use_defaultESJ_EEEEPSB_SM_NS0_5tupleIJPSA_SM_EEENSN_IJSM_SM_EEESB_PlJ10is_orderedEEE10hipError_tPvRmT3_T4_T5_T6_T7_T9_mT8_P12ihipStream_tbDpT10_ENKUlT_T0_E_clISt17integral_constantIbLb0EES1C_EEDaS17_S18_EUlS17_E_NS1_11comp_targetILNS1_3genE4ELNS1_11target_archE910ELNS1_3gpuE8ELNS1_3repE0EEENS1_30default_config_static_selectorELNS0_4arch9wavefront6targetE1EEEvT1_,"axG",@progbits,_ZN7rocprim17ROCPRIM_400000_NS6detail17trampoline_kernelINS0_14default_configENS1_25partition_config_selectorILNS1_17partition_subalgoE3EN6thrust23THRUST_200600_302600_NS5tupleIxxNS7_9null_typeES9_S9_S9_S9_S9_S9_S9_EENS0_10empty_typeEbEEZZNS1_14partition_implILS5_3ELb0ES3_jNS7_6detail15normal_iteratorINS7_7pointerISA_NS7_11hip_rocprim3tagENS7_11use_defaultESJ_EEEEPSB_SM_NS0_5tupleIJPSA_SM_EEENSN_IJSM_SM_EEESB_PlJ10is_orderedEEE10hipError_tPvRmT3_T4_T5_T6_T7_T9_mT8_P12ihipStream_tbDpT10_ENKUlT_T0_E_clISt17integral_constantIbLb0EES1C_EEDaS17_S18_EUlS17_E_NS1_11comp_targetILNS1_3genE4ELNS1_11target_archE910ELNS1_3gpuE8ELNS1_3repE0EEENS1_30default_config_static_selectorELNS0_4arch9wavefront6targetE1EEEvT1_,comdat
	.protected	_ZN7rocprim17ROCPRIM_400000_NS6detail17trampoline_kernelINS0_14default_configENS1_25partition_config_selectorILNS1_17partition_subalgoE3EN6thrust23THRUST_200600_302600_NS5tupleIxxNS7_9null_typeES9_S9_S9_S9_S9_S9_S9_EENS0_10empty_typeEbEEZZNS1_14partition_implILS5_3ELb0ES3_jNS7_6detail15normal_iteratorINS7_7pointerISA_NS7_11hip_rocprim3tagENS7_11use_defaultESJ_EEEEPSB_SM_NS0_5tupleIJPSA_SM_EEENSN_IJSM_SM_EEESB_PlJ10is_orderedEEE10hipError_tPvRmT3_T4_T5_T6_T7_T9_mT8_P12ihipStream_tbDpT10_ENKUlT_T0_E_clISt17integral_constantIbLb0EES1C_EEDaS17_S18_EUlS17_E_NS1_11comp_targetILNS1_3genE4ELNS1_11target_archE910ELNS1_3gpuE8ELNS1_3repE0EEENS1_30default_config_static_selectorELNS0_4arch9wavefront6targetE1EEEvT1_ ; -- Begin function _ZN7rocprim17ROCPRIM_400000_NS6detail17trampoline_kernelINS0_14default_configENS1_25partition_config_selectorILNS1_17partition_subalgoE3EN6thrust23THRUST_200600_302600_NS5tupleIxxNS7_9null_typeES9_S9_S9_S9_S9_S9_S9_EENS0_10empty_typeEbEEZZNS1_14partition_implILS5_3ELb0ES3_jNS7_6detail15normal_iteratorINS7_7pointerISA_NS7_11hip_rocprim3tagENS7_11use_defaultESJ_EEEEPSB_SM_NS0_5tupleIJPSA_SM_EEENSN_IJSM_SM_EEESB_PlJ10is_orderedEEE10hipError_tPvRmT3_T4_T5_T6_T7_T9_mT8_P12ihipStream_tbDpT10_ENKUlT_T0_E_clISt17integral_constantIbLb0EES1C_EEDaS17_S18_EUlS17_E_NS1_11comp_targetILNS1_3genE4ELNS1_11target_archE910ELNS1_3gpuE8ELNS1_3repE0EEENS1_30default_config_static_selectorELNS0_4arch9wavefront6targetE1EEEvT1_
	.globl	_ZN7rocprim17ROCPRIM_400000_NS6detail17trampoline_kernelINS0_14default_configENS1_25partition_config_selectorILNS1_17partition_subalgoE3EN6thrust23THRUST_200600_302600_NS5tupleIxxNS7_9null_typeES9_S9_S9_S9_S9_S9_S9_EENS0_10empty_typeEbEEZZNS1_14partition_implILS5_3ELb0ES3_jNS7_6detail15normal_iteratorINS7_7pointerISA_NS7_11hip_rocprim3tagENS7_11use_defaultESJ_EEEEPSB_SM_NS0_5tupleIJPSA_SM_EEENSN_IJSM_SM_EEESB_PlJ10is_orderedEEE10hipError_tPvRmT3_T4_T5_T6_T7_T9_mT8_P12ihipStream_tbDpT10_ENKUlT_T0_E_clISt17integral_constantIbLb0EES1C_EEDaS17_S18_EUlS17_E_NS1_11comp_targetILNS1_3genE4ELNS1_11target_archE910ELNS1_3gpuE8ELNS1_3repE0EEENS1_30default_config_static_selectorELNS0_4arch9wavefront6targetE1EEEvT1_
	.p2align	8
	.type	_ZN7rocprim17ROCPRIM_400000_NS6detail17trampoline_kernelINS0_14default_configENS1_25partition_config_selectorILNS1_17partition_subalgoE3EN6thrust23THRUST_200600_302600_NS5tupleIxxNS7_9null_typeES9_S9_S9_S9_S9_S9_S9_EENS0_10empty_typeEbEEZZNS1_14partition_implILS5_3ELb0ES3_jNS7_6detail15normal_iteratorINS7_7pointerISA_NS7_11hip_rocprim3tagENS7_11use_defaultESJ_EEEEPSB_SM_NS0_5tupleIJPSA_SM_EEENSN_IJSM_SM_EEESB_PlJ10is_orderedEEE10hipError_tPvRmT3_T4_T5_T6_T7_T9_mT8_P12ihipStream_tbDpT10_ENKUlT_T0_E_clISt17integral_constantIbLb0EES1C_EEDaS17_S18_EUlS17_E_NS1_11comp_targetILNS1_3genE4ELNS1_11target_archE910ELNS1_3gpuE8ELNS1_3repE0EEENS1_30default_config_static_selectorELNS0_4arch9wavefront6targetE1EEEvT1_,@function
_ZN7rocprim17ROCPRIM_400000_NS6detail17trampoline_kernelINS0_14default_configENS1_25partition_config_selectorILNS1_17partition_subalgoE3EN6thrust23THRUST_200600_302600_NS5tupleIxxNS7_9null_typeES9_S9_S9_S9_S9_S9_S9_EENS0_10empty_typeEbEEZZNS1_14partition_implILS5_3ELb0ES3_jNS7_6detail15normal_iteratorINS7_7pointerISA_NS7_11hip_rocprim3tagENS7_11use_defaultESJ_EEEEPSB_SM_NS0_5tupleIJPSA_SM_EEENSN_IJSM_SM_EEESB_PlJ10is_orderedEEE10hipError_tPvRmT3_T4_T5_T6_T7_T9_mT8_P12ihipStream_tbDpT10_ENKUlT_T0_E_clISt17integral_constantIbLb0EES1C_EEDaS17_S18_EUlS17_E_NS1_11comp_targetILNS1_3genE4ELNS1_11target_archE910ELNS1_3gpuE8ELNS1_3repE0EEENS1_30default_config_static_selectorELNS0_4arch9wavefront6targetE1EEEvT1_: ; @_ZN7rocprim17ROCPRIM_400000_NS6detail17trampoline_kernelINS0_14default_configENS1_25partition_config_selectorILNS1_17partition_subalgoE3EN6thrust23THRUST_200600_302600_NS5tupleIxxNS7_9null_typeES9_S9_S9_S9_S9_S9_S9_EENS0_10empty_typeEbEEZZNS1_14partition_implILS5_3ELb0ES3_jNS7_6detail15normal_iteratorINS7_7pointerISA_NS7_11hip_rocprim3tagENS7_11use_defaultESJ_EEEEPSB_SM_NS0_5tupleIJPSA_SM_EEENSN_IJSM_SM_EEESB_PlJ10is_orderedEEE10hipError_tPvRmT3_T4_T5_T6_T7_T9_mT8_P12ihipStream_tbDpT10_ENKUlT_T0_E_clISt17integral_constantIbLb0EES1C_EEDaS17_S18_EUlS17_E_NS1_11comp_targetILNS1_3genE4ELNS1_11target_archE910ELNS1_3gpuE8ELNS1_3repE0EEENS1_30default_config_static_selectorELNS0_4arch9wavefront6targetE1EEEvT1_
; %bb.0:
	.section	.rodata,"a",@progbits
	.p2align	6, 0x0
	.amdhsa_kernel _ZN7rocprim17ROCPRIM_400000_NS6detail17trampoline_kernelINS0_14default_configENS1_25partition_config_selectorILNS1_17partition_subalgoE3EN6thrust23THRUST_200600_302600_NS5tupleIxxNS7_9null_typeES9_S9_S9_S9_S9_S9_S9_EENS0_10empty_typeEbEEZZNS1_14partition_implILS5_3ELb0ES3_jNS7_6detail15normal_iteratorINS7_7pointerISA_NS7_11hip_rocprim3tagENS7_11use_defaultESJ_EEEEPSB_SM_NS0_5tupleIJPSA_SM_EEENSN_IJSM_SM_EEESB_PlJ10is_orderedEEE10hipError_tPvRmT3_T4_T5_T6_T7_T9_mT8_P12ihipStream_tbDpT10_ENKUlT_T0_E_clISt17integral_constantIbLb0EES1C_EEDaS17_S18_EUlS17_E_NS1_11comp_targetILNS1_3genE4ELNS1_11target_archE910ELNS1_3gpuE8ELNS1_3repE0EEENS1_30default_config_static_selectorELNS0_4arch9wavefront6targetE1EEEvT1_
		.amdhsa_group_segment_fixed_size 0
		.amdhsa_private_segment_fixed_size 0
		.amdhsa_kernarg_size 120
		.amdhsa_user_sgpr_count 2
		.amdhsa_user_sgpr_dispatch_ptr 0
		.amdhsa_user_sgpr_queue_ptr 0
		.amdhsa_user_sgpr_kernarg_segment_ptr 1
		.amdhsa_user_sgpr_dispatch_id 0
		.amdhsa_user_sgpr_kernarg_preload_length 0
		.amdhsa_user_sgpr_kernarg_preload_offset 0
		.amdhsa_user_sgpr_private_segment_size 0
		.amdhsa_uses_dynamic_stack 0
		.amdhsa_enable_private_segment 0
		.amdhsa_system_sgpr_workgroup_id_x 1
		.amdhsa_system_sgpr_workgroup_id_y 0
		.amdhsa_system_sgpr_workgroup_id_z 0
		.amdhsa_system_sgpr_workgroup_info 0
		.amdhsa_system_vgpr_workitem_id 0
		.amdhsa_next_free_vgpr 1
		.amdhsa_next_free_sgpr 0
		.amdhsa_accum_offset 4
		.amdhsa_reserve_vcc 0
		.amdhsa_float_round_mode_32 0
		.amdhsa_float_round_mode_16_64 0
		.amdhsa_float_denorm_mode_32 3
		.amdhsa_float_denorm_mode_16_64 3
		.amdhsa_dx10_clamp 1
		.amdhsa_ieee_mode 1
		.amdhsa_fp16_overflow 0
		.amdhsa_tg_split 0
		.amdhsa_exception_fp_ieee_invalid_op 0
		.amdhsa_exception_fp_denorm_src 0
		.amdhsa_exception_fp_ieee_div_zero 0
		.amdhsa_exception_fp_ieee_overflow 0
		.amdhsa_exception_fp_ieee_underflow 0
		.amdhsa_exception_fp_ieee_inexact 0
		.amdhsa_exception_int_div_zero 0
	.end_amdhsa_kernel
	.section	.text._ZN7rocprim17ROCPRIM_400000_NS6detail17trampoline_kernelINS0_14default_configENS1_25partition_config_selectorILNS1_17partition_subalgoE3EN6thrust23THRUST_200600_302600_NS5tupleIxxNS7_9null_typeES9_S9_S9_S9_S9_S9_S9_EENS0_10empty_typeEbEEZZNS1_14partition_implILS5_3ELb0ES3_jNS7_6detail15normal_iteratorINS7_7pointerISA_NS7_11hip_rocprim3tagENS7_11use_defaultESJ_EEEEPSB_SM_NS0_5tupleIJPSA_SM_EEENSN_IJSM_SM_EEESB_PlJ10is_orderedEEE10hipError_tPvRmT3_T4_T5_T6_T7_T9_mT8_P12ihipStream_tbDpT10_ENKUlT_T0_E_clISt17integral_constantIbLb0EES1C_EEDaS17_S18_EUlS17_E_NS1_11comp_targetILNS1_3genE4ELNS1_11target_archE910ELNS1_3gpuE8ELNS1_3repE0EEENS1_30default_config_static_selectorELNS0_4arch9wavefront6targetE1EEEvT1_,"axG",@progbits,_ZN7rocprim17ROCPRIM_400000_NS6detail17trampoline_kernelINS0_14default_configENS1_25partition_config_selectorILNS1_17partition_subalgoE3EN6thrust23THRUST_200600_302600_NS5tupleIxxNS7_9null_typeES9_S9_S9_S9_S9_S9_S9_EENS0_10empty_typeEbEEZZNS1_14partition_implILS5_3ELb0ES3_jNS7_6detail15normal_iteratorINS7_7pointerISA_NS7_11hip_rocprim3tagENS7_11use_defaultESJ_EEEEPSB_SM_NS0_5tupleIJPSA_SM_EEENSN_IJSM_SM_EEESB_PlJ10is_orderedEEE10hipError_tPvRmT3_T4_T5_T6_T7_T9_mT8_P12ihipStream_tbDpT10_ENKUlT_T0_E_clISt17integral_constantIbLb0EES1C_EEDaS17_S18_EUlS17_E_NS1_11comp_targetILNS1_3genE4ELNS1_11target_archE910ELNS1_3gpuE8ELNS1_3repE0EEENS1_30default_config_static_selectorELNS0_4arch9wavefront6targetE1EEEvT1_,comdat
.Lfunc_end3457:
	.size	_ZN7rocprim17ROCPRIM_400000_NS6detail17trampoline_kernelINS0_14default_configENS1_25partition_config_selectorILNS1_17partition_subalgoE3EN6thrust23THRUST_200600_302600_NS5tupleIxxNS7_9null_typeES9_S9_S9_S9_S9_S9_S9_EENS0_10empty_typeEbEEZZNS1_14partition_implILS5_3ELb0ES3_jNS7_6detail15normal_iteratorINS7_7pointerISA_NS7_11hip_rocprim3tagENS7_11use_defaultESJ_EEEEPSB_SM_NS0_5tupleIJPSA_SM_EEENSN_IJSM_SM_EEESB_PlJ10is_orderedEEE10hipError_tPvRmT3_T4_T5_T6_T7_T9_mT8_P12ihipStream_tbDpT10_ENKUlT_T0_E_clISt17integral_constantIbLb0EES1C_EEDaS17_S18_EUlS17_E_NS1_11comp_targetILNS1_3genE4ELNS1_11target_archE910ELNS1_3gpuE8ELNS1_3repE0EEENS1_30default_config_static_selectorELNS0_4arch9wavefront6targetE1EEEvT1_, .Lfunc_end3457-_ZN7rocprim17ROCPRIM_400000_NS6detail17trampoline_kernelINS0_14default_configENS1_25partition_config_selectorILNS1_17partition_subalgoE3EN6thrust23THRUST_200600_302600_NS5tupleIxxNS7_9null_typeES9_S9_S9_S9_S9_S9_S9_EENS0_10empty_typeEbEEZZNS1_14partition_implILS5_3ELb0ES3_jNS7_6detail15normal_iteratorINS7_7pointerISA_NS7_11hip_rocprim3tagENS7_11use_defaultESJ_EEEEPSB_SM_NS0_5tupleIJPSA_SM_EEENSN_IJSM_SM_EEESB_PlJ10is_orderedEEE10hipError_tPvRmT3_T4_T5_T6_T7_T9_mT8_P12ihipStream_tbDpT10_ENKUlT_T0_E_clISt17integral_constantIbLb0EES1C_EEDaS17_S18_EUlS17_E_NS1_11comp_targetILNS1_3genE4ELNS1_11target_archE910ELNS1_3gpuE8ELNS1_3repE0EEENS1_30default_config_static_selectorELNS0_4arch9wavefront6targetE1EEEvT1_
                                        ; -- End function
	.section	.AMDGPU.csdata,"",@progbits
; Kernel info:
; codeLenInByte = 0
; NumSgprs: 6
; NumVgprs: 0
; NumAgprs: 0
; TotalNumVgprs: 0
; ScratchSize: 0
; MemoryBound: 0
; FloatMode: 240
; IeeeMode: 1
; LDSByteSize: 0 bytes/workgroup (compile time only)
; SGPRBlocks: 0
; VGPRBlocks: 0
; NumSGPRsForWavesPerEU: 6
; NumVGPRsForWavesPerEU: 1
; AccumOffset: 4
; Occupancy: 8
; WaveLimiterHint : 0
; COMPUTE_PGM_RSRC2:SCRATCH_EN: 0
; COMPUTE_PGM_RSRC2:USER_SGPR: 2
; COMPUTE_PGM_RSRC2:TRAP_HANDLER: 0
; COMPUTE_PGM_RSRC2:TGID_X_EN: 1
; COMPUTE_PGM_RSRC2:TGID_Y_EN: 0
; COMPUTE_PGM_RSRC2:TGID_Z_EN: 0
; COMPUTE_PGM_RSRC2:TIDIG_COMP_CNT: 0
; COMPUTE_PGM_RSRC3_GFX90A:ACCUM_OFFSET: 0
; COMPUTE_PGM_RSRC3_GFX90A:TG_SPLIT: 0
	.section	.text._ZN7rocprim17ROCPRIM_400000_NS6detail17trampoline_kernelINS0_14default_configENS1_25partition_config_selectorILNS1_17partition_subalgoE3EN6thrust23THRUST_200600_302600_NS5tupleIxxNS7_9null_typeES9_S9_S9_S9_S9_S9_S9_EENS0_10empty_typeEbEEZZNS1_14partition_implILS5_3ELb0ES3_jNS7_6detail15normal_iteratorINS7_7pointerISA_NS7_11hip_rocprim3tagENS7_11use_defaultESJ_EEEEPSB_SM_NS0_5tupleIJPSA_SM_EEENSN_IJSM_SM_EEESB_PlJ10is_orderedEEE10hipError_tPvRmT3_T4_T5_T6_T7_T9_mT8_P12ihipStream_tbDpT10_ENKUlT_T0_E_clISt17integral_constantIbLb0EES1C_EEDaS17_S18_EUlS17_E_NS1_11comp_targetILNS1_3genE3ELNS1_11target_archE908ELNS1_3gpuE7ELNS1_3repE0EEENS1_30default_config_static_selectorELNS0_4arch9wavefront6targetE1EEEvT1_,"axG",@progbits,_ZN7rocprim17ROCPRIM_400000_NS6detail17trampoline_kernelINS0_14default_configENS1_25partition_config_selectorILNS1_17partition_subalgoE3EN6thrust23THRUST_200600_302600_NS5tupleIxxNS7_9null_typeES9_S9_S9_S9_S9_S9_S9_EENS0_10empty_typeEbEEZZNS1_14partition_implILS5_3ELb0ES3_jNS7_6detail15normal_iteratorINS7_7pointerISA_NS7_11hip_rocprim3tagENS7_11use_defaultESJ_EEEEPSB_SM_NS0_5tupleIJPSA_SM_EEENSN_IJSM_SM_EEESB_PlJ10is_orderedEEE10hipError_tPvRmT3_T4_T5_T6_T7_T9_mT8_P12ihipStream_tbDpT10_ENKUlT_T0_E_clISt17integral_constantIbLb0EES1C_EEDaS17_S18_EUlS17_E_NS1_11comp_targetILNS1_3genE3ELNS1_11target_archE908ELNS1_3gpuE7ELNS1_3repE0EEENS1_30default_config_static_selectorELNS0_4arch9wavefront6targetE1EEEvT1_,comdat
	.protected	_ZN7rocprim17ROCPRIM_400000_NS6detail17trampoline_kernelINS0_14default_configENS1_25partition_config_selectorILNS1_17partition_subalgoE3EN6thrust23THRUST_200600_302600_NS5tupleIxxNS7_9null_typeES9_S9_S9_S9_S9_S9_S9_EENS0_10empty_typeEbEEZZNS1_14partition_implILS5_3ELb0ES3_jNS7_6detail15normal_iteratorINS7_7pointerISA_NS7_11hip_rocprim3tagENS7_11use_defaultESJ_EEEEPSB_SM_NS0_5tupleIJPSA_SM_EEENSN_IJSM_SM_EEESB_PlJ10is_orderedEEE10hipError_tPvRmT3_T4_T5_T6_T7_T9_mT8_P12ihipStream_tbDpT10_ENKUlT_T0_E_clISt17integral_constantIbLb0EES1C_EEDaS17_S18_EUlS17_E_NS1_11comp_targetILNS1_3genE3ELNS1_11target_archE908ELNS1_3gpuE7ELNS1_3repE0EEENS1_30default_config_static_selectorELNS0_4arch9wavefront6targetE1EEEvT1_ ; -- Begin function _ZN7rocprim17ROCPRIM_400000_NS6detail17trampoline_kernelINS0_14default_configENS1_25partition_config_selectorILNS1_17partition_subalgoE3EN6thrust23THRUST_200600_302600_NS5tupleIxxNS7_9null_typeES9_S9_S9_S9_S9_S9_S9_EENS0_10empty_typeEbEEZZNS1_14partition_implILS5_3ELb0ES3_jNS7_6detail15normal_iteratorINS7_7pointerISA_NS7_11hip_rocprim3tagENS7_11use_defaultESJ_EEEEPSB_SM_NS0_5tupleIJPSA_SM_EEENSN_IJSM_SM_EEESB_PlJ10is_orderedEEE10hipError_tPvRmT3_T4_T5_T6_T7_T9_mT8_P12ihipStream_tbDpT10_ENKUlT_T0_E_clISt17integral_constantIbLb0EES1C_EEDaS17_S18_EUlS17_E_NS1_11comp_targetILNS1_3genE3ELNS1_11target_archE908ELNS1_3gpuE7ELNS1_3repE0EEENS1_30default_config_static_selectorELNS0_4arch9wavefront6targetE1EEEvT1_
	.globl	_ZN7rocprim17ROCPRIM_400000_NS6detail17trampoline_kernelINS0_14default_configENS1_25partition_config_selectorILNS1_17partition_subalgoE3EN6thrust23THRUST_200600_302600_NS5tupleIxxNS7_9null_typeES9_S9_S9_S9_S9_S9_S9_EENS0_10empty_typeEbEEZZNS1_14partition_implILS5_3ELb0ES3_jNS7_6detail15normal_iteratorINS7_7pointerISA_NS7_11hip_rocprim3tagENS7_11use_defaultESJ_EEEEPSB_SM_NS0_5tupleIJPSA_SM_EEENSN_IJSM_SM_EEESB_PlJ10is_orderedEEE10hipError_tPvRmT3_T4_T5_T6_T7_T9_mT8_P12ihipStream_tbDpT10_ENKUlT_T0_E_clISt17integral_constantIbLb0EES1C_EEDaS17_S18_EUlS17_E_NS1_11comp_targetILNS1_3genE3ELNS1_11target_archE908ELNS1_3gpuE7ELNS1_3repE0EEENS1_30default_config_static_selectorELNS0_4arch9wavefront6targetE1EEEvT1_
	.p2align	8
	.type	_ZN7rocprim17ROCPRIM_400000_NS6detail17trampoline_kernelINS0_14default_configENS1_25partition_config_selectorILNS1_17partition_subalgoE3EN6thrust23THRUST_200600_302600_NS5tupleIxxNS7_9null_typeES9_S9_S9_S9_S9_S9_S9_EENS0_10empty_typeEbEEZZNS1_14partition_implILS5_3ELb0ES3_jNS7_6detail15normal_iteratorINS7_7pointerISA_NS7_11hip_rocprim3tagENS7_11use_defaultESJ_EEEEPSB_SM_NS0_5tupleIJPSA_SM_EEENSN_IJSM_SM_EEESB_PlJ10is_orderedEEE10hipError_tPvRmT3_T4_T5_T6_T7_T9_mT8_P12ihipStream_tbDpT10_ENKUlT_T0_E_clISt17integral_constantIbLb0EES1C_EEDaS17_S18_EUlS17_E_NS1_11comp_targetILNS1_3genE3ELNS1_11target_archE908ELNS1_3gpuE7ELNS1_3repE0EEENS1_30default_config_static_selectorELNS0_4arch9wavefront6targetE1EEEvT1_,@function
_ZN7rocprim17ROCPRIM_400000_NS6detail17trampoline_kernelINS0_14default_configENS1_25partition_config_selectorILNS1_17partition_subalgoE3EN6thrust23THRUST_200600_302600_NS5tupleIxxNS7_9null_typeES9_S9_S9_S9_S9_S9_S9_EENS0_10empty_typeEbEEZZNS1_14partition_implILS5_3ELb0ES3_jNS7_6detail15normal_iteratorINS7_7pointerISA_NS7_11hip_rocprim3tagENS7_11use_defaultESJ_EEEEPSB_SM_NS0_5tupleIJPSA_SM_EEENSN_IJSM_SM_EEESB_PlJ10is_orderedEEE10hipError_tPvRmT3_T4_T5_T6_T7_T9_mT8_P12ihipStream_tbDpT10_ENKUlT_T0_E_clISt17integral_constantIbLb0EES1C_EEDaS17_S18_EUlS17_E_NS1_11comp_targetILNS1_3genE3ELNS1_11target_archE908ELNS1_3gpuE7ELNS1_3repE0EEENS1_30default_config_static_selectorELNS0_4arch9wavefront6targetE1EEEvT1_: ; @_ZN7rocprim17ROCPRIM_400000_NS6detail17trampoline_kernelINS0_14default_configENS1_25partition_config_selectorILNS1_17partition_subalgoE3EN6thrust23THRUST_200600_302600_NS5tupleIxxNS7_9null_typeES9_S9_S9_S9_S9_S9_S9_EENS0_10empty_typeEbEEZZNS1_14partition_implILS5_3ELb0ES3_jNS7_6detail15normal_iteratorINS7_7pointerISA_NS7_11hip_rocprim3tagENS7_11use_defaultESJ_EEEEPSB_SM_NS0_5tupleIJPSA_SM_EEENSN_IJSM_SM_EEESB_PlJ10is_orderedEEE10hipError_tPvRmT3_T4_T5_T6_T7_T9_mT8_P12ihipStream_tbDpT10_ENKUlT_T0_E_clISt17integral_constantIbLb0EES1C_EEDaS17_S18_EUlS17_E_NS1_11comp_targetILNS1_3genE3ELNS1_11target_archE908ELNS1_3gpuE7ELNS1_3repE0EEENS1_30default_config_static_selectorELNS0_4arch9wavefront6targetE1EEEvT1_
; %bb.0:
	.section	.rodata,"a",@progbits
	.p2align	6, 0x0
	.amdhsa_kernel _ZN7rocprim17ROCPRIM_400000_NS6detail17trampoline_kernelINS0_14default_configENS1_25partition_config_selectorILNS1_17partition_subalgoE3EN6thrust23THRUST_200600_302600_NS5tupleIxxNS7_9null_typeES9_S9_S9_S9_S9_S9_S9_EENS0_10empty_typeEbEEZZNS1_14partition_implILS5_3ELb0ES3_jNS7_6detail15normal_iteratorINS7_7pointerISA_NS7_11hip_rocprim3tagENS7_11use_defaultESJ_EEEEPSB_SM_NS0_5tupleIJPSA_SM_EEENSN_IJSM_SM_EEESB_PlJ10is_orderedEEE10hipError_tPvRmT3_T4_T5_T6_T7_T9_mT8_P12ihipStream_tbDpT10_ENKUlT_T0_E_clISt17integral_constantIbLb0EES1C_EEDaS17_S18_EUlS17_E_NS1_11comp_targetILNS1_3genE3ELNS1_11target_archE908ELNS1_3gpuE7ELNS1_3repE0EEENS1_30default_config_static_selectorELNS0_4arch9wavefront6targetE1EEEvT1_
		.amdhsa_group_segment_fixed_size 0
		.amdhsa_private_segment_fixed_size 0
		.amdhsa_kernarg_size 120
		.amdhsa_user_sgpr_count 2
		.amdhsa_user_sgpr_dispatch_ptr 0
		.amdhsa_user_sgpr_queue_ptr 0
		.amdhsa_user_sgpr_kernarg_segment_ptr 1
		.amdhsa_user_sgpr_dispatch_id 0
		.amdhsa_user_sgpr_kernarg_preload_length 0
		.amdhsa_user_sgpr_kernarg_preload_offset 0
		.amdhsa_user_sgpr_private_segment_size 0
		.amdhsa_uses_dynamic_stack 0
		.amdhsa_enable_private_segment 0
		.amdhsa_system_sgpr_workgroup_id_x 1
		.amdhsa_system_sgpr_workgroup_id_y 0
		.amdhsa_system_sgpr_workgroup_id_z 0
		.amdhsa_system_sgpr_workgroup_info 0
		.amdhsa_system_vgpr_workitem_id 0
		.amdhsa_next_free_vgpr 1
		.amdhsa_next_free_sgpr 0
		.amdhsa_accum_offset 4
		.amdhsa_reserve_vcc 0
		.amdhsa_float_round_mode_32 0
		.amdhsa_float_round_mode_16_64 0
		.amdhsa_float_denorm_mode_32 3
		.amdhsa_float_denorm_mode_16_64 3
		.amdhsa_dx10_clamp 1
		.amdhsa_ieee_mode 1
		.amdhsa_fp16_overflow 0
		.amdhsa_tg_split 0
		.amdhsa_exception_fp_ieee_invalid_op 0
		.amdhsa_exception_fp_denorm_src 0
		.amdhsa_exception_fp_ieee_div_zero 0
		.amdhsa_exception_fp_ieee_overflow 0
		.amdhsa_exception_fp_ieee_underflow 0
		.amdhsa_exception_fp_ieee_inexact 0
		.amdhsa_exception_int_div_zero 0
	.end_amdhsa_kernel
	.section	.text._ZN7rocprim17ROCPRIM_400000_NS6detail17trampoline_kernelINS0_14default_configENS1_25partition_config_selectorILNS1_17partition_subalgoE3EN6thrust23THRUST_200600_302600_NS5tupleIxxNS7_9null_typeES9_S9_S9_S9_S9_S9_S9_EENS0_10empty_typeEbEEZZNS1_14partition_implILS5_3ELb0ES3_jNS7_6detail15normal_iteratorINS7_7pointerISA_NS7_11hip_rocprim3tagENS7_11use_defaultESJ_EEEEPSB_SM_NS0_5tupleIJPSA_SM_EEENSN_IJSM_SM_EEESB_PlJ10is_orderedEEE10hipError_tPvRmT3_T4_T5_T6_T7_T9_mT8_P12ihipStream_tbDpT10_ENKUlT_T0_E_clISt17integral_constantIbLb0EES1C_EEDaS17_S18_EUlS17_E_NS1_11comp_targetILNS1_3genE3ELNS1_11target_archE908ELNS1_3gpuE7ELNS1_3repE0EEENS1_30default_config_static_selectorELNS0_4arch9wavefront6targetE1EEEvT1_,"axG",@progbits,_ZN7rocprim17ROCPRIM_400000_NS6detail17trampoline_kernelINS0_14default_configENS1_25partition_config_selectorILNS1_17partition_subalgoE3EN6thrust23THRUST_200600_302600_NS5tupleIxxNS7_9null_typeES9_S9_S9_S9_S9_S9_S9_EENS0_10empty_typeEbEEZZNS1_14partition_implILS5_3ELb0ES3_jNS7_6detail15normal_iteratorINS7_7pointerISA_NS7_11hip_rocprim3tagENS7_11use_defaultESJ_EEEEPSB_SM_NS0_5tupleIJPSA_SM_EEENSN_IJSM_SM_EEESB_PlJ10is_orderedEEE10hipError_tPvRmT3_T4_T5_T6_T7_T9_mT8_P12ihipStream_tbDpT10_ENKUlT_T0_E_clISt17integral_constantIbLb0EES1C_EEDaS17_S18_EUlS17_E_NS1_11comp_targetILNS1_3genE3ELNS1_11target_archE908ELNS1_3gpuE7ELNS1_3repE0EEENS1_30default_config_static_selectorELNS0_4arch9wavefront6targetE1EEEvT1_,comdat
.Lfunc_end3458:
	.size	_ZN7rocprim17ROCPRIM_400000_NS6detail17trampoline_kernelINS0_14default_configENS1_25partition_config_selectorILNS1_17partition_subalgoE3EN6thrust23THRUST_200600_302600_NS5tupleIxxNS7_9null_typeES9_S9_S9_S9_S9_S9_S9_EENS0_10empty_typeEbEEZZNS1_14partition_implILS5_3ELb0ES3_jNS7_6detail15normal_iteratorINS7_7pointerISA_NS7_11hip_rocprim3tagENS7_11use_defaultESJ_EEEEPSB_SM_NS0_5tupleIJPSA_SM_EEENSN_IJSM_SM_EEESB_PlJ10is_orderedEEE10hipError_tPvRmT3_T4_T5_T6_T7_T9_mT8_P12ihipStream_tbDpT10_ENKUlT_T0_E_clISt17integral_constantIbLb0EES1C_EEDaS17_S18_EUlS17_E_NS1_11comp_targetILNS1_3genE3ELNS1_11target_archE908ELNS1_3gpuE7ELNS1_3repE0EEENS1_30default_config_static_selectorELNS0_4arch9wavefront6targetE1EEEvT1_, .Lfunc_end3458-_ZN7rocprim17ROCPRIM_400000_NS6detail17trampoline_kernelINS0_14default_configENS1_25partition_config_selectorILNS1_17partition_subalgoE3EN6thrust23THRUST_200600_302600_NS5tupleIxxNS7_9null_typeES9_S9_S9_S9_S9_S9_S9_EENS0_10empty_typeEbEEZZNS1_14partition_implILS5_3ELb0ES3_jNS7_6detail15normal_iteratorINS7_7pointerISA_NS7_11hip_rocprim3tagENS7_11use_defaultESJ_EEEEPSB_SM_NS0_5tupleIJPSA_SM_EEENSN_IJSM_SM_EEESB_PlJ10is_orderedEEE10hipError_tPvRmT3_T4_T5_T6_T7_T9_mT8_P12ihipStream_tbDpT10_ENKUlT_T0_E_clISt17integral_constantIbLb0EES1C_EEDaS17_S18_EUlS17_E_NS1_11comp_targetILNS1_3genE3ELNS1_11target_archE908ELNS1_3gpuE7ELNS1_3repE0EEENS1_30default_config_static_selectorELNS0_4arch9wavefront6targetE1EEEvT1_
                                        ; -- End function
	.section	.AMDGPU.csdata,"",@progbits
; Kernel info:
; codeLenInByte = 0
; NumSgprs: 6
; NumVgprs: 0
; NumAgprs: 0
; TotalNumVgprs: 0
; ScratchSize: 0
; MemoryBound: 0
; FloatMode: 240
; IeeeMode: 1
; LDSByteSize: 0 bytes/workgroup (compile time only)
; SGPRBlocks: 0
; VGPRBlocks: 0
; NumSGPRsForWavesPerEU: 6
; NumVGPRsForWavesPerEU: 1
; AccumOffset: 4
; Occupancy: 8
; WaveLimiterHint : 0
; COMPUTE_PGM_RSRC2:SCRATCH_EN: 0
; COMPUTE_PGM_RSRC2:USER_SGPR: 2
; COMPUTE_PGM_RSRC2:TRAP_HANDLER: 0
; COMPUTE_PGM_RSRC2:TGID_X_EN: 1
; COMPUTE_PGM_RSRC2:TGID_Y_EN: 0
; COMPUTE_PGM_RSRC2:TGID_Z_EN: 0
; COMPUTE_PGM_RSRC2:TIDIG_COMP_CNT: 0
; COMPUTE_PGM_RSRC3_GFX90A:ACCUM_OFFSET: 0
; COMPUTE_PGM_RSRC3_GFX90A:TG_SPLIT: 0
	.section	.text._ZN7rocprim17ROCPRIM_400000_NS6detail17trampoline_kernelINS0_14default_configENS1_25partition_config_selectorILNS1_17partition_subalgoE3EN6thrust23THRUST_200600_302600_NS5tupleIxxNS7_9null_typeES9_S9_S9_S9_S9_S9_S9_EENS0_10empty_typeEbEEZZNS1_14partition_implILS5_3ELb0ES3_jNS7_6detail15normal_iteratorINS7_7pointerISA_NS7_11hip_rocprim3tagENS7_11use_defaultESJ_EEEEPSB_SM_NS0_5tupleIJPSA_SM_EEENSN_IJSM_SM_EEESB_PlJ10is_orderedEEE10hipError_tPvRmT3_T4_T5_T6_T7_T9_mT8_P12ihipStream_tbDpT10_ENKUlT_T0_E_clISt17integral_constantIbLb0EES1C_EEDaS17_S18_EUlS17_E_NS1_11comp_targetILNS1_3genE2ELNS1_11target_archE906ELNS1_3gpuE6ELNS1_3repE0EEENS1_30default_config_static_selectorELNS0_4arch9wavefront6targetE1EEEvT1_,"axG",@progbits,_ZN7rocprim17ROCPRIM_400000_NS6detail17trampoline_kernelINS0_14default_configENS1_25partition_config_selectorILNS1_17partition_subalgoE3EN6thrust23THRUST_200600_302600_NS5tupleIxxNS7_9null_typeES9_S9_S9_S9_S9_S9_S9_EENS0_10empty_typeEbEEZZNS1_14partition_implILS5_3ELb0ES3_jNS7_6detail15normal_iteratorINS7_7pointerISA_NS7_11hip_rocprim3tagENS7_11use_defaultESJ_EEEEPSB_SM_NS0_5tupleIJPSA_SM_EEENSN_IJSM_SM_EEESB_PlJ10is_orderedEEE10hipError_tPvRmT3_T4_T5_T6_T7_T9_mT8_P12ihipStream_tbDpT10_ENKUlT_T0_E_clISt17integral_constantIbLb0EES1C_EEDaS17_S18_EUlS17_E_NS1_11comp_targetILNS1_3genE2ELNS1_11target_archE906ELNS1_3gpuE6ELNS1_3repE0EEENS1_30default_config_static_selectorELNS0_4arch9wavefront6targetE1EEEvT1_,comdat
	.protected	_ZN7rocprim17ROCPRIM_400000_NS6detail17trampoline_kernelINS0_14default_configENS1_25partition_config_selectorILNS1_17partition_subalgoE3EN6thrust23THRUST_200600_302600_NS5tupleIxxNS7_9null_typeES9_S9_S9_S9_S9_S9_S9_EENS0_10empty_typeEbEEZZNS1_14partition_implILS5_3ELb0ES3_jNS7_6detail15normal_iteratorINS7_7pointerISA_NS7_11hip_rocprim3tagENS7_11use_defaultESJ_EEEEPSB_SM_NS0_5tupleIJPSA_SM_EEENSN_IJSM_SM_EEESB_PlJ10is_orderedEEE10hipError_tPvRmT3_T4_T5_T6_T7_T9_mT8_P12ihipStream_tbDpT10_ENKUlT_T0_E_clISt17integral_constantIbLb0EES1C_EEDaS17_S18_EUlS17_E_NS1_11comp_targetILNS1_3genE2ELNS1_11target_archE906ELNS1_3gpuE6ELNS1_3repE0EEENS1_30default_config_static_selectorELNS0_4arch9wavefront6targetE1EEEvT1_ ; -- Begin function _ZN7rocprim17ROCPRIM_400000_NS6detail17trampoline_kernelINS0_14default_configENS1_25partition_config_selectorILNS1_17partition_subalgoE3EN6thrust23THRUST_200600_302600_NS5tupleIxxNS7_9null_typeES9_S9_S9_S9_S9_S9_S9_EENS0_10empty_typeEbEEZZNS1_14partition_implILS5_3ELb0ES3_jNS7_6detail15normal_iteratorINS7_7pointerISA_NS7_11hip_rocprim3tagENS7_11use_defaultESJ_EEEEPSB_SM_NS0_5tupleIJPSA_SM_EEENSN_IJSM_SM_EEESB_PlJ10is_orderedEEE10hipError_tPvRmT3_T4_T5_T6_T7_T9_mT8_P12ihipStream_tbDpT10_ENKUlT_T0_E_clISt17integral_constantIbLb0EES1C_EEDaS17_S18_EUlS17_E_NS1_11comp_targetILNS1_3genE2ELNS1_11target_archE906ELNS1_3gpuE6ELNS1_3repE0EEENS1_30default_config_static_selectorELNS0_4arch9wavefront6targetE1EEEvT1_
	.globl	_ZN7rocprim17ROCPRIM_400000_NS6detail17trampoline_kernelINS0_14default_configENS1_25partition_config_selectorILNS1_17partition_subalgoE3EN6thrust23THRUST_200600_302600_NS5tupleIxxNS7_9null_typeES9_S9_S9_S9_S9_S9_S9_EENS0_10empty_typeEbEEZZNS1_14partition_implILS5_3ELb0ES3_jNS7_6detail15normal_iteratorINS7_7pointerISA_NS7_11hip_rocprim3tagENS7_11use_defaultESJ_EEEEPSB_SM_NS0_5tupleIJPSA_SM_EEENSN_IJSM_SM_EEESB_PlJ10is_orderedEEE10hipError_tPvRmT3_T4_T5_T6_T7_T9_mT8_P12ihipStream_tbDpT10_ENKUlT_T0_E_clISt17integral_constantIbLb0EES1C_EEDaS17_S18_EUlS17_E_NS1_11comp_targetILNS1_3genE2ELNS1_11target_archE906ELNS1_3gpuE6ELNS1_3repE0EEENS1_30default_config_static_selectorELNS0_4arch9wavefront6targetE1EEEvT1_
	.p2align	8
	.type	_ZN7rocprim17ROCPRIM_400000_NS6detail17trampoline_kernelINS0_14default_configENS1_25partition_config_selectorILNS1_17partition_subalgoE3EN6thrust23THRUST_200600_302600_NS5tupleIxxNS7_9null_typeES9_S9_S9_S9_S9_S9_S9_EENS0_10empty_typeEbEEZZNS1_14partition_implILS5_3ELb0ES3_jNS7_6detail15normal_iteratorINS7_7pointerISA_NS7_11hip_rocprim3tagENS7_11use_defaultESJ_EEEEPSB_SM_NS0_5tupleIJPSA_SM_EEENSN_IJSM_SM_EEESB_PlJ10is_orderedEEE10hipError_tPvRmT3_T4_T5_T6_T7_T9_mT8_P12ihipStream_tbDpT10_ENKUlT_T0_E_clISt17integral_constantIbLb0EES1C_EEDaS17_S18_EUlS17_E_NS1_11comp_targetILNS1_3genE2ELNS1_11target_archE906ELNS1_3gpuE6ELNS1_3repE0EEENS1_30default_config_static_selectorELNS0_4arch9wavefront6targetE1EEEvT1_,@function
_ZN7rocprim17ROCPRIM_400000_NS6detail17trampoline_kernelINS0_14default_configENS1_25partition_config_selectorILNS1_17partition_subalgoE3EN6thrust23THRUST_200600_302600_NS5tupleIxxNS7_9null_typeES9_S9_S9_S9_S9_S9_S9_EENS0_10empty_typeEbEEZZNS1_14partition_implILS5_3ELb0ES3_jNS7_6detail15normal_iteratorINS7_7pointerISA_NS7_11hip_rocprim3tagENS7_11use_defaultESJ_EEEEPSB_SM_NS0_5tupleIJPSA_SM_EEENSN_IJSM_SM_EEESB_PlJ10is_orderedEEE10hipError_tPvRmT3_T4_T5_T6_T7_T9_mT8_P12ihipStream_tbDpT10_ENKUlT_T0_E_clISt17integral_constantIbLb0EES1C_EEDaS17_S18_EUlS17_E_NS1_11comp_targetILNS1_3genE2ELNS1_11target_archE906ELNS1_3gpuE6ELNS1_3repE0EEENS1_30default_config_static_selectorELNS0_4arch9wavefront6targetE1EEEvT1_: ; @_ZN7rocprim17ROCPRIM_400000_NS6detail17trampoline_kernelINS0_14default_configENS1_25partition_config_selectorILNS1_17partition_subalgoE3EN6thrust23THRUST_200600_302600_NS5tupleIxxNS7_9null_typeES9_S9_S9_S9_S9_S9_S9_EENS0_10empty_typeEbEEZZNS1_14partition_implILS5_3ELb0ES3_jNS7_6detail15normal_iteratorINS7_7pointerISA_NS7_11hip_rocprim3tagENS7_11use_defaultESJ_EEEEPSB_SM_NS0_5tupleIJPSA_SM_EEENSN_IJSM_SM_EEESB_PlJ10is_orderedEEE10hipError_tPvRmT3_T4_T5_T6_T7_T9_mT8_P12ihipStream_tbDpT10_ENKUlT_T0_E_clISt17integral_constantIbLb0EES1C_EEDaS17_S18_EUlS17_E_NS1_11comp_targetILNS1_3genE2ELNS1_11target_archE906ELNS1_3gpuE6ELNS1_3repE0EEENS1_30default_config_static_selectorELNS0_4arch9wavefront6targetE1EEEvT1_
; %bb.0:
	.section	.rodata,"a",@progbits
	.p2align	6, 0x0
	.amdhsa_kernel _ZN7rocprim17ROCPRIM_400000_NS6detail17trampoline_kernelINS0_14default_configENS1_25partition_config_selectorILNS1_17partition_subalgoE3EN6thrust23THRUST_200600_302600_NS5tupleIxxNS7_9null_typeES9_S9_S9_S9_S9_S9_S9_EENS0_10empty_typeEbEEZZNS1_14partition_implILS5_3ELb0ES3_jNS7_6detail15normal_iteratorINS7_7pointerISA_NS7_11hip_rocprim3tagENS7_11use_defaultESJ_EEEEPSB_SM_NS0_5tupleIJPSA_SM_EEENSN_IJSM_SM_EEESB_PlJ10is_orderedEEE10hipError_tPvRmT3_T4_T5_T6_T7_T9_mT8_P12ihipStream_tbDpT10_ENKUlT_T0_E_clISt17integral_constantIbLb0EES1C_EEDaS17_S18_EUlS17_E_NS1_11comp_targetILNS1_3genE2ELNS1_11target_archE906ELNS1_3gpuE6ELNS1_3repE0EEENS1_30default_config_static_selectorELNS0_4arch9wavefront6targetE1EEEvT1_
		.amdhsa_group_segment_fixed_size 0
		.amdhsa_private_segment_fixed_size 0
		.amdhsa_kernarg_size 120
		.amdhsa_user_sgpr_count 2
		.amdhsa_user_sgpr_dispatch_ptr 0
		.amdhsa_user_sgpr_queue_ptr 0
		.amdhsa_user_sgpr_kernarg_segment_ptr 1
		.amdhsa_user_sgpr_dispatch_id 0
		.amdhsa_user_sgpr_kernarg_preload_length 0
		.amdhsa_user_sgpr_kernarg_preload_offset 0
		.amdhsa_user_sgpr_private_segment_size 0
		.amdhsa_uses_dynamic_stack 0
		.amdhsa_enable_private_segment 0
		.amdhsa_system_sgpr_workgroup_id_x 1
		.amdhsa_system_sgpr_workgroup_id_y 0
		.amdhsa_system_sgpr_workgroup_id_z 0
		.amdhsa_system_sgpr_workgroup_info 0
		.amdhsa_system_vgpr_workitem_id 0
		.amdhsa_next_free_vgpr 1
		.amdhsa_next_free_sgpr 0
		.amdhsa_accum_offset 4
		.amdhsa_reserve_vcc 0
		.amdhsa_float_round_mode_32 0
		.amdhsa_float_round_mode_16_64 0
		.amdhsa_float_denorm_mode_32 3
		.amdhsa_float_denorm_mode_16_64 3
		.amdhsa_dx10_clamp 1
		.amdhsa_ieee_mode 1
		.amdhsa_fp16_overflow 0
		.amdhsa_tg_split 0
		.amdhsa_exception_fp_ieee_invalid_op 0
		.amdhsa_exception_fp_denorm_src 0
		.amdhsa_exception_fp_ieee_div_zero 0
		.amdhsa_exception_fp_ieee_overflow 0
		.amdhsa_exception_fp_ieee_underflow 0
		.amdhsa_exception_fp_ieee_inexact 0
		.amdhsa_exception_int_div_zero 0
	.end_amdhsa_kernel
	.section	.text._ZN7rocprim17ROCPRIM_400000_NS6detail17trampoline_kernelINS0_14default_configENS1_25partition_config_selectorILNS1_17partition_subalgoE3EN6thrust23THRUST_200600_302600_NS5tupleIxxNS7_9null_typeES9_S9_S9_S9_S9_S9_S9_EENS0_10empty_typeEbEEZZNS1_14partition_implILS5_3ELb0ES3_jNS7_6detail15normal_iteratorINS7_7pointerISA_NS7_11hip_rocprim3tagENS7_11use_defaultESJ_EEEEPSB_SM_NS0_5tupleIJPSA_SM_EEENSN_IJSM_SM_EEESB_PlJ10is_orderedEEE10hipError_tPvRmT3_T4_T5_T6_T7_T9_mT8_P12ihipStream_tbDpT10_ENKUlT_T0_E_clISt17integral_constantIbLb0EES1C_EEDaS17_S18_EUlS17_E_NS1_11comp_targetILNS1_3genE2ELNS1_11target_archE906ELNS1_3gpuE6ELNS1_3repE0EEENS1_30default_config_static_selectorELNS0_4arch9wavefront6targetE1EEEvT1_,"axG",@progbits,_ZN7rocprim17ROCPRIM_400000_NS6detail17trampoline_kernelINS0_14default_configENS1_25partition_config_selectorILNS1_17partition_subalgoE3EN6thrust23THRUST_200600_302600_NS5tupleIxxNS7_9null_typeES9_S9_S9_S9_S9_S9_S9_EENS0_10empty_typeEbEEZZNS1_14partition_implILS5_3ELb0ES3_jNS7_6detail15normal_iteratorINS7_7pointerISA_NS7_11hip_rocprim3tagENS7_11use_defaultESJ_EEEEPSB_SM_NS0_5tupleIJPSA_SM_EEENSN_IJSM_SM_EEESB_PlJ10is_orderedEEE10hipError_tPvRmT3_T4_T5_T6_T7_T9_mT8_P12ihipStream_tbDpT10_ENKUlT_T0_E_clISt17integral_constantIbLb0EES1C_EEDaS17_S18_EUlS17_E_NS1_11comp_targetILNS1_3genE2ELNS1_11target_archE906ELNS1_3gpuE6ELNS1_3repE0EEENS1_30default_config_static_selectorELNS0_4arch9wavefront6targetE1EEEvT1_,comdat
.Lfunc_end3459:
	.size	_ZN7rocprim17ROCPRIM_400000_NS6detail17trampoline_kernelINS0_14default_configENS1_25partition_config_selectorILNS1_17partition_subalgoE3EN6thrust23THRUST_200600_302600_NS5tupleIxxNS7_9null_typeES9_S9_S9_S9_S9_S9_S9_EENS0_10empty_typeEbEEZZNS1_14partition_implILS5_3ELb0ES3_jNS7_6detail15normal_iteratorINS7_7pointerISA_NS7_11hip_rocprim3tagENS7_11use_defaultESJ_EEEEPSB_SM_NS0_5tupleIJPSA_SM_EEENSN_IJSM_SM_EEESB_PlJ10is_orderedEEE10hipError_tPvRmT3_T4_T5_T6_T7_T9_mT8_P12ihipStream_tbDpT10_ENKUlT_T0_E_clISt17integral_constantIbLb0EES1C_EEDaS17_S18_EUlS17_E_NS1_11comp_targetILNS1_3genE2ELNS1_11target_archE906ELNS1_3gpuE6ELNS1_3repE0EEENS1_30default_config_static_selectorELNS0_4arch9wavefront6targetE1EEEvT1_, .Lfunc_end3459-_ZN7rocprim17ROCPRIM_400000_NS6detail17trampoline_kernelINS0_14default_configENS1_25partition_config_selectorILNS1_17partition_subalgoE3EN6thrust23THRUST_200600_302600_NS5tupleIxxNS7_9null_typeES9_S9_S9_S9_S9_S9_S9_EENS0_10empty_typeEbEEZZNS1_14partition_implILS5_3ELb0ES3_jNS7_6detail15normal_iteratorINS7_7pointerISA_NS7_11hip_rocprim3tagENS7_11use_defaultESJ_EEEEPSB_SM_NS0_5tupleIJPSA_SM_EEENSN_IJSM_SM_EEESB_PlJ10is_orderedEEE10hipError_tPvRmT3_T4_T5_T6_T7_T9_mT8_P12ihipStream_tbDpT10_ENKUlT_T0_E_clISt17integral_constantIbLb0EES1C_EEDaS17_S18_EUlS17_E_NS1_11comp_targetILNS1_3genE2ELNS1_11target_archE906ELNS1_3gpuE6ELNS1_3repE0EEENS1_30default_config_static_selectorELNS0_4arch9wavefront6targetE1EEEvT1_
                                        ; -- End function
	.section	.AMDGPU.csdata,"",@progbits
; Kernel info:
; codeLenInByte = 0
; NumSgprs: 6
; NumVgprs: 0
; NumAgprs: 0
; TotalNumVgprs: 0
; ScratchSize: 0
; MemoryBound: 0
; FloatMode: 240
; IeeeMode: 1
; LDSByteSize: 0 bytes/workgroup (compile time only)
; SGPRBlocks: 0
; VGPRBlocks: 0
; NumSGPRsForWavesPerEU: 6
; NumVGPRsForWavesPerEU: 1
; AccumOffset: 4
; Occupancy: 8
; WaveLimiterHint : 0
; COMPUTE_PGM_RSRC2:SCRATCH_EN: 0
; COMPUTE_PGM_RSRC2:USER_SGPR: 2
; COMPUTE_PGM_RSRC2:TRAP_HANDLER: 0
; COMPUTE_PGM_RSRC2:TGID_X_EN: 1
; COMPUTE_PGM_RSRC2:TGID_Y_EN: 0
; COMPUTE_PGM_RSRC2:TGID_Z_EN: 0
; COMPUTE_PGM_RSRC2:TIDIG_COMP_CNT: 0
; COMPUTE_PGM_RSRC3_GFX90A:ACCUM_OFFSET: 0
; COMPUTE_PGM_RSRC3_GFX90A:TG_SPLIT: 0
	.section	.text._ZN7rocprim17ROCPRIM_400000_NS6detail17trampoline_kernelINS0_14default_configENS1_25partition_config_selectorILNS1_17partition_subalgoE3EN6thrust23THRUST_200600_302600_NS5tupleIxxNS7_9null_typeES9_S9_S9_S9_S9_S9_S9_EENS0_10empty_typeEbEEZZNS1_14partition_implILS5_3ELb0ES3_jNS7_6detail15normal_iteratorINS7_7pointerISA_NS7_11hip_rocprim3tagENS7_11use_defaultESJ_EEEEPSB_SM_NS0_5tupleIJPSA_SM_EEENSN_IJSM_SM_EEESB_PlJ10is_orderedEEE10hipError_tPvRmT3_T4_T5_T6_T7_T9_mT8_P12ihipStream_tbDpT10_ENKUlT_T0_E_clISt17integral_constantIbLb0EES1C_EEDaS17_S18_EUlS17_E_NS1_11comp_targetILNS1_3genE10ELNS1_11target_archE1200ELNS1_3gpuE4ELNS1_3repE0EEENS1_30default_config_static_selectorELNS0_4arch9wavefront6targetE1EEEvT1_,"axG",@progbits,_ZN7rocprim17ROCPRIM_400000_NS6detail17trampoline_kernelINS0_14default_configENS1_25partition_config_selectorILNS1_17partition_subalgoE3EN6thrust23THRUST_200600_302600_NS5tupleIxxNS7_9null_typeES9_S9_S9_S9_S9_S9_S9_EENS0_10empty_typeEbEEZZNS1_14partition_implILS5_3ELb0ES3_jNS7_6detail15normal_iteratorINS7_7pointerISA_NS7_11hip_rocprim3tagENS7_11use_defaultESJ_EEEEPSB_SM_NS0_5tupleIJPSA_SM_EEENSN_IJSM_SM_EEESB_PlJ10is_orderedEEE10hipError_tPvRmT3_T4_T5_T6_T7_T9_mT8_P12ihipStream_tbDpT10_ENKUlT_T0_E_clISt17integral_constantIbLb0EES1C_EEDaS17_S18_EUlS17_E_NS1_11comp_targetILNS1_3genE10ELNS1_11target_archE1200ELNS1_3gpuE4ELNS1_3repE0EEENS1_30default_config_static_selectorELNS0_4arch9wavefront6targetE1EEEvT1_,comdat
	.protected	_ZN7rocprim17ROCPRIM_400000_NS6detail17trampoline_kernelINS0_14default_configENS1_25partition_config_selectorILNS1_17partition_subalgoE3EN6thrust23THRUST_200600_302600_NS5tupleIxxNS7_9null_typeES9_S9_S9_S9_S9_S9_S9_EENS0_10empty_typeEbEEZZNS1_14partition_implILS5_3ELb0ES3_jNS7_6detail15normal_iteratorINS7_7pointerISA_NS7_11hip_rocprim3tagENS7_11use_defaultESJ_EEEEPSB_SM_NS0_5tupleIJPSA_SM_EEENSN_IJSM_SM_EEESB_PlJ10is_orderedEEE10hipError_tPvRmT3_T4_T5_T6_T7_T9_mT8_P12ihipStream_tbDpT10_ENKUlT_T0_E_clISt17integral_constantIbLb0EES1C_EEDaS17_S18_EUlS17_E_NS1_11comp_targetILNS1_3genE10ELNS1_11target_archE1200ELNS1_3gpuE4ELNS1_3repE0EEENS1_30default_config_static_selectorELNS0_4arch9wavefront6targetE1EEEvT1_ ; -- Begin function _ZN7rocprim17ROCPRIM_400000_NS6detail17trampoline_kernelINS0_14default_configENS1_25partition_config_selectorILNS1_17partition_subalgoE3EN6thrust23THRUST_200600_302600_NS5tupleIxxNS7_9null_typeES9_S9_S9_S9_S9_S9_S9_EENS0_10empty_typeEbEEZZNS1_14partition_implILS5_3ELb0ES3_jNS7_6detail15normal_iteratorINS7_7pointerISA_NS7_11hip_rocprim3tagENS7_11use_defaultESJ_EEEEPSB_SM_NS0_5tupleIJPSA_SM_EEENSN_IJSM_SM_EEESB_PlJ10is_orderedEEE10hipError_tPvRmT3_T4_T5_T6_T7_T9_mT8_P12ihipStream_tbDpT10_ENKUlT_T0_E_clISt17integral_constantIbLb0EES1C_EEDaS17_S18_EUlS17_E_NS1_11comp_targetILNS1_3genE10ELNS1_11target_archE1200ELNS1_3gpuE4ELNS1_3repE0EEENS1_30default_config_static_selectorELNS0_4arch9wavefront6targetE1EEEvT1_
	.globl	_ZN7rocprim17ROCPRIM_400000_NS6detail17trampoline_kernelINS0_14default_configENS1_25partition_config_selectorILNS1_17partition_subalgoE3EN6thrust23THRUST_200600_302600_NS5tupleIxxNS7_9null_typeES9_S9_S9_S9_S9_S9_S9_EENS0_10empty_typeEbEEZZNS1_14partition_implILS5_3ELb0ES3_jNS7_6detail15normal_iteratorINS7_7pointerISA_NS7_11hip_rocprim3tagENS7_11use_defaultESJ_EEEEPSB_SM_NS0_5tupleIJPSA_SM_EEENSN_IJSM_SM_EEESB_PlJ10is_orderedEEE10hipError_tPvRmT3_T4_T5_T6_T7_T9_mT8_P12ihipStream_tbDpT10_ENKUlT_T0_E_clISt17integral_constantIbLb0EES1C_EEDaS17_S18_EUlS17_E_NS1_11comp_targetILNS1_3genE10ELNS1_11target_archE1200ELNS1_3gpuE4ELNS1_3repE0EEENS1_30default_config_static_selectorELNS0_4arch9wavefront6targetE1EEEvT1_
	.p2align	8
	.type	_ZN7rocprim17ROCPRIM_400000_NS6detail17trampoline_kernelINS0_14default_configENS1_25partition_config_selectorILNS1_17partition_subalgoE3EN6thrust23THRUST_200600_302600_NS5tupleIxxNS7_9null_typeES9_S9_S9_S9_S9_S9_S9_EENS0_10empty_typeEbEEZZNS1_14partition_implILS5_3ELb0ES3_jNS7_6detail15normal_iteratorINS7_7pointerISA_NS7_11hip_rocprim3tagENS7_11use_defaultESJ_EEEEPSB_SM_NS0_5tupleIJPSA_SM_EEENSN_IJSM_SM_EEESB_PlJ10is_orderedEEE10hipError_tPvRmT3_T4_T5_T6_T7_T9_mT8_P12ihipStream_tbDpT10_ENKUlT_T0_E_clISt17integral_constantIbLb0EES1C_EEDaS17_S18_EUlS17_E_NS1_11comp_targetILNS1_3genE10ELNS1_11target_archE1200ELNS1_3gpuE4ELNS1_3repE0EEENS1_30default_config_static_selectorELNS0_4arch9wavefront6targetE1EEEvT1_,@function
_ZN7rocprim17ROCPRIM_400000_NS6detail17trampoline_kernelINS0_14default_configENS1_25partition_config_selectorILNS1_17partition_subalgoE3EN6thrust23THRUST_200600_302600_NS5tupleIxxNS7_9null_typeES9_S9_S9_S9_S9_S9_S9_EENS0_10empty_typeEbEEZZNS1_14partition_implILS5_3ELb0ES3_jNS7_6detail15normal_iteratorINS7_7pointerISA_NS7_11hip_rocprim3tagENS7_11use_defaultESJ_EEEEPSB_SM_NS0_5tupleIJPSA_SM_EEENSN_IJSM_SM_EEESB_PlJ10is_orderedEEE10hipError_tPvRmT3_T4_T5_T6_T7_T9_mT8_P12ihipStream_tbDpT10_ENKUlT_T0_E_clISt17integral_constantIbLb0EES1C_EEDaS17_S18_EUlS17_E_NS1_11comp_targetILNS1_3genE10ELNS1_11target_archE1200ELNS1_3gpuE4ELNS1_3repE0EEENS1_30default_config_static_selectorELNS0_4arch9wavefront6targetE1EEEvT1_: ; @_ZN7rocprim17ROCPRIM_400000_NS6detail17trampoline_kernelINS0_14default_configENS1_25partition_config_selectorILNS1_17partition_subalgoE3EN6thrust23THRUST_200600_302600_NS5tupleIxxNS7_9null_typeES9_S9_S9_S9_S9_S9_S9_EENS0_10empty_typeEbEEZZNS1_14partition_implILS5_3ELb0ES3_jNS7_6detail15normal_iteratorINS7_7pointerISA_NS7_11hip_rocprim3tagENS7_11use_defaultESJ_EEEEPSB_SM_NS0_5tupleIJPSA_SM_EEENSN_IJSM_SM_EEESB_PlJ10is_orderedEEE10hipError_tPvRmT3_T4_T5_T6_T7_T9_mT8_P12ihipStream_tbDpT10_ENKUlT_T0_E_clISt17integral_constantIbLb0EES1C_EEDaS17_S18_EUlS17_E_NS1_11comp_targetILNS1_3genE10ELNS1_11target_archE1200ELNS1_3gpuE4ELNS1_3repE0EEENS1_30default_config_static_selectorELNS0_4arch9wavefront6targetE1EEEvT1_
; %bb.0:
	.section	.rodata,"a",@progbits
	.p2align	6, 0x0
	.amdhsa_kernel _ZN7rocprim17ROCPRIM_400000_NS6detail17trampoline_kernelINS0_14default_configENS1_25partition_config_selectorILNS1_17partition_subalgoE3EN6thrust23THRUST_200600_302600_NS5tupleIxxNS7_9null_typeES9_S9_S9_S9_S9_S9_S9_EENS0_10empty_typeEbEEZZNS1_14partition_implILS5_3ELb0ES3_jNS7_6detail15normal_iteratorINS7_7pointerISA_NS7_11hip_rocprim3tagENS7_11use_defaultESJ_EEEEPSB_SM_NS0_5tupleIJPSA_SM_EEENSN_IJSM_SM_EEESB_PlJ10is_orderedEEE10hipError_tPvRmT3_T4_T5_T6_T7_T9_mT8_P12ihipStream_tbDpT10_ENKUlT_T0_E_clISt17integral_constantIbLb0EES1C_EEDaS17_S18_EUlS17_E_NS1_11comp_targetILNS1_3genE10ELNS1_11target_archE1200ELNS1_3gpuE4ELNS1_3repE0EEENS1_30default_config_static_selectorELNS0_4arch9wavefront6targetE1EEEvT1_
		.amdhsa_group_segment_fixed_size 0
		.amdhsa_private_segment_fixed_size 0
		.amdhsa_kernarg_size 120
		.amdhsa_user_sgpr_count 2
		.amdhsa_user_sgpr_dispatch_ptr 0
		.amdhsa_user_sgpr_queue_ptr 0
		.amdhsa_user_sgpr_kernarg_segment_ptr 1
		.amdhsa_user_sgpr_dispatch_id 0
		.amdhsa_user_sgpr_kernarg_preload_length 0
		.amdhsa_user_sgpr_kernarg_preload_offset 0
		.amdhsa_user_sgpr_private_segment_size 0
		.amdhsa_uses_dynamic_stack 0
		.amdhsa_enable_private_segment 0
		.amdhsa_system_sgpr_workgroup_id_x 1
		.amdhsa_system_sgpr_workgroup_id_y 0
		.amdhsa_system_sgpr_workgroup_id_z 0
		.amdhsa_system_sgpr_workgroup_info 0
		.amdhsa_system_vgpr_workitem_id 0
		.amdhsa_next_free_vgpr 1
		.amdhsa_next_free_sgpr 0
		.amdhsa_accum_offset 4
		.amdhsa_reserve_vcc 0
		.amdhsa_float_round_mode_32 0
		.amdhsa_float_round_mode_16_64 0
		.amdhsa_float_denorm_mode_32 3
		.amdhsa_float_denorm_mode_16_64 3
		.amdhsa_dx10_clamp 1
		.amdhsa_ieee_mode 1
		.amdhsa_fp16_overflow 0
		.amdhsa_tg_split 0
		.amdhsa_exception_fp_ieee_invalid_op 0
		.amdhsa_exception_fp_denorm_src 0
		.amdhsa_exception_fp_ieee_div_zero 0
		.amdhsa_exception_fp_ieee_overflow 0
		.amdhsa_exception_fp_ieee_underflow 0
		.amdhsa_exception_fp_ieee_inexact 0
		.amdhsa_exception_int_div_zero 0
	.end_amdhsa_kernel
	.section	.text._ZN7rocprim17ROCPRIM_400000_NS6detail17trampoline_kernelINS0_14default_configENS1_25partition_config_selectorILNS1_17partition_subalgoE3EN6thrust23THRUST_200600_302600_NS5tupleIxxNS7_9null_typeES9_S9_S9_S9_S9_S9_S9_EENS0_10empty_typeEbEEZZNS1_14partition_implILS5_3ELb0ES3_jNS7_6detail15normal_iteratorINS7_7pointerISA_NS7_11hip_rocprim3tagENS7_11use_defaultESJ_EEEEPSB_SM_NS0_5tupleIJPSA_SM_EEENSN_IJSM_SM_EEESB_PlJ10is_orderedEEE10hipError_tPvRmT3_T4_T5_T6_T7_T9_mT8_P12ihipStream_tbDpT10_ENKUlT_T0_E_clISt17integral_constantIbLb0EES1C_EEDaS17_S18_EUlS17_E_NS1_11comp_targetILNS1_3genE10ELNS1_11target_archE1200ELNS1_3gpuE4ELNS1_3repE0EEENS1_30default_config_static_selectorELNS0_4arch9wavefront6targetE1EEEvT1_,"axG",@progbits,_ZN7rocprim17ROCPRIM_400000_NS6detail17trampoline_kernelINS0_14default_configENS1_25partition_config_selectorILNS1_17partition_subalgoE3EN6thrust23THRUST_200600_302600_NS5tupleIxxNS7_9null_typeES9_S9_S9_S9_S9_S9_S9_EENS0_10empty_typeEbEEZZNS1_14partition_implILS5_3ELb0ES3_jNS7_6detail15normal_iteratorINS7_7pointerISA_NS7_11hip_rocprim3tagENS7_11use_defaultESJ_EEEEPSB_SM_NS0_5tupleIJPSA_SM_EEENSN_IJSM_SM_EEESB_PlJ10is_orderedEEE10hipError_tPvRmT3_T4_T5_T6_T7_T9_mT8_P12ihipStream_tbDpT10_ENKUlT_T0_E_clISt17integral_constantIbLb0EES1C_EEDaS17_S18_EUlS17_E_NS1_11comp_targetILNS1_3genE10ELNS1_11target_archE1200ELNS1_3gpuE4ELNS1_3repE0EEENS1_30default_config_static_selectorELNS0_4arch9wavefront6targetE1EEEvT1_,comdat
.Lfunc_end3460:
	.size	_ZN7rocprim17ROCPRIM_400000_NS6detail17trampoline_kernelINS0_14default_configENS1_25partition_config_selectorILNS1_17partition_subalgoE3EN6thrust23THRUST_200600_302600_NS5tupleIxxNS7_9null_typeES9_S9_S9_S9_S9_S9_S9_EENS0_10empty_typeEbEEZZNS1_14partition_implILS5_3ELb0ES3_jNS7_6detail15normal_iteratorINS7_7pointerISA_NS7_11hip_rocprim3tagENS7_11use_defaultESJ_EEEEPSB_SM_NS0_5tupleIJPSA_SM_EEENSN_IJSM_SM_EEESB_PlJ10is_orderedEEE10hipError_tPvRmT3_T4_T5_T6_T7_T9_mT8_P12ihipStream_tbDpT10_ENKUlT_T0_E_clISt17integral_constantIbLb0EES1C_EEDaS17_S18_EUlS17_E_NS1_11comp_targetILNS1_3genE10ELNS1_11target_archE1200ELNS1_3gpuE4ELNS1_3repE0EEENS1_30default_config_static_selectorELNS0_4arch9wavefront6targetE1EEEvT1_, .Lfunc_end3460-_ZN7rocprim17ROCPRIM_400000_NS6detail17trampoline_kernelINS0_14default_configENS1_25partition_config_selectorILNS1_17partition_subalgoE3EN6thrust23THRUST_200600_302600_NS5tupleIxxNS7_9null_typeES9_S9_S9_S9_S9_S9_S9_EENS0_10empty_typeEbEEZZNS1_14partition_implILS5_3ELb0ES3_jNS7_6detail15normal_iteratorINS7_7pointerISA_NS7_11hip_rocprim3tagENS7_11use_defaultESJ_EEEEPSB_SM_NS0_5tupleIJPSA_SM_EEENSN_IJSM_SM_EEESB_PlJ10is_orderedEEE10hipError_tPvRmT3_T4_T5_T6_T7_T9_mT8_P12ihipStream_tbDpT10_ENKUlT_T0_E_clISt17integral_constantIbLb0EES1C_EEDaS17_S18_EUlS17_E_NS1_11comp_targetILNS1_3genE10ELNS1_11target_archE1200ELNS1_3gpuE4ELNS1_3repE0EEENS1_30default_config_static_selectorELNS0_4arch9wavefront6targetE1EEEvT1_
                                        ; -- End function
	.section	.AMDGPU.csdata,"",@progbits
; Kernel info:
; codeLenInByte = 0
; NumSgprs: 6
; NumVgprs: 0
; NumAgprs: 0
; TotalNumVgprs: 0
; ScratchSize: 0
; MemoryBound: 0
; FloatMode: 240
; IeeeMode: 1
; LDSByteSize: 0 bytes/workgroup (compile time only)
; SGPRBlocks: 0
; VGPRBlocks: 0
; NumSGPRsForWavesPerEU: 6
; NumVGPRsForWavesPerEU: 1
; AccumOffset: 4
; Occupancy: 8
; WaveLimiterHint : 0
; COMPUTE_PGM_RSRC2:SCRATCH_EN: 0
; COMPUTE_PGM_RSRC2:USER_SGPR: 2
; COMPUTE_PGM_RSRC2:TRAP_HANDLER: 0
; COMPUTE_PGM_RSRC2:TGID_X_EN: 1
; COMPUTE_PGM_RSRC2:TGID_Y_EN: 0
; COMPUTE_PGM_RSRC2:TGID_Z_EN: 0
; COMPUTE_PGM_RSRC2:TIDIG_COMP_CNT: 0
; COMPUTE_PGM_RSRC3_GFX90A:ACCUM_OFFSET: 0
; COMPUTE_PGM_RSRC3_GFX90A:TG_SPLIT: 0
	.section	.text._ZN7rocprim17ROCPRIM_400000_NS6detail17trampoline_kernelINS0_14default_configENS1_25partition_config_selectorILNS1_17partition_subalgoE3EN6thrust23THRUST_200600_302600_NS5tupleIxxNS7_9null_typeES9_S9_S9_S9_S9_S9_S9_EENS0_10empty_typeEbEEZZNS1_14partition_implILS5_3ELb0ES3_jNS7_6detail15normal_iteratorINS7_7pointerISA_NS7_11hip_rocprim3tagENS7_11use_defaultESJ_EEEEPSB_SM_NS0_5tupleIJPSA_SM_EEENSN_IJSM_SM_EEESB_PlJ10is_orderedEEE10hipError_tPvRmT3_T4_T5_T6_T7_T9_mT8_P12ihipStream_tbDpT10_ENKUlT_T0_E_clISt17integral_constantIbLb0EES1C_EEDaS17_S18_EUlS17_E_NS1_11comp_targetILNS1_3genE9ELNS1_11target_archE1100ELNS1_3gpuE3ELNS1_3repE0EEENS1_30default_config_static_selectorELNS0_4arch9wavefront6targetE1EEEvT1_,"axG",@progbits,_ZN7rocprim17ROCPRIM_400000_NS6detail17trampoline_kernelINS0_14default_configENS1_25partition_config_selectorILNS1_17partition_subalgoE3EN6thrust23THRUST_200600_302600_NS5tupleIxxNS7_9null_typeES9_S9_S9_S9_S9_S9_S9_EENS0_10empty_typeEbEEZZNS1_14partition_implILS5_3ELb0ES3_jNS7_6detail15normal_iteratorINS7_7pointerISA_NS7_11hip_rocprim3tagENS7_11use_defaultESJ_EEEEPSB_SM_NS0_5tupleIJPSA_SM_EEENSN_IJSM_SM_EEESB_PlJ10is_orderedEEE10hipError_tPvRmT3_T4_T5_T6_T7_T9_mT8_P12ihipStream_tbDpT10_ENKUlT_T0_E_clISt17integral_constantIbLb0EES1C_EEDaS17_S18_EUlS17_E_NS1_11comp_targetILNS1_3genE9ELNS1_11target_archE1100ELNS1_3gpuE3ELNS1_3repE0EEENS1_30default_config_static_selectorELNS0_4arch9wavefront6targetE1EEEvT1_,comdat
	.protected	_ZN7rocprim17ROCPRIM_400000_NS6detail17trampoline_kernelINS0_14default_configENS1_25partition_config_selectorILNS1_17partition_subalgoE3EN6thrust23THRUST_200600_302600_NS5tupleIxxNS7_9null_typeES9_S9_S9_S9_S9_S9_S9_EENS0_10empty_typeEbEEZZNS1_14partition_implILS5_3ELb0ES3_jNS7_6detail15normal_iteratorINS7_7pointerISA_NS7_11hip_rocprim3tagENS7_11use_defaultESJ_EEEEPSB_SM_NS0_5tupleIJPSA_SM_EEENSN_IJSM_SM_EEESB_PlJ10is_orderedEEE10hipError_tPvRmT3_T4_T5_T6_T7_T9_mT8_P12ihipStream_tbDpT10_ENKUlT_T0_E_clISt17integral_constantIbLb0EES1C_EEDaS17_S18_EUlS17_E_NS1_11comp_targetILNS1_3genE9ELNS1_11target_archE1100ELNS1_3gpuE3ELNS1_3repE0EEENS1_30default_config_static_selectorELNS0_4arch9wavefront6targetE1EEEvT1_ ; -- Begin function _ZN7rocprim17ROCPRIM_400000_NS6detail17trampoline_kernelINS0_14default_configENS1_25partition_config_selectorILNS1_17partition_subalgoE3EN6thrust23THRUST_200600_302600_NS5tupleIxxNS7_9null_typeES9_S9_S9_S9_S9_S9_S9_EENS0_10empty_typeEbEEZZNS1_14partition_implILS5_3ELb0ES3_jNS7_6detail15normal_iteratorINS7_7pointerISA_NS7_11hip_rocprim3tagENS7_11use_defaultESJ_EEEEPSB_SM_NS0_5tupleIJPSA_SM_EEENSN_IJSM_SM_EEESB_PlJ10is_orderedEEE10hipError_tPvRmT3_T4_T5_T6_T7_T9_mT8_P12ihipStream_tbDpT10_ENKUlT_T0_E_clISt17integral_constantIbLb0EES1C_EEDaS17_S18_EUlS17_E_NS1_11comp_targetILNS1_3genE9ELNS1_11target_archE1100ELNS1_3gpuE3ELNS1_3repE0EEENS1_30default_config_static_selectorELNS0_4arch9wavefront6targetE1EEEvT1_
	.globl	_ZN7rocprim17ROCPRIM_400000_NS6detail17trampoline_kernelINS0_14default_configENS1_25partition_config_selectorILNS1_17partition_subalgoE3EN6thrust23THRUST_200600_302600_NS5tupleIxxNS7_9null_typeES9_S9_S9_S9_S9_S9_S9_EENS0_10empty_typeEbEEZZNS1_14partition_implILS5_3ELb0ES3_jNS7_6detail15normal_iteratorINS7_7pointerISA_NS7_11hip_rocprim3tagENS7_11use_defaultESJ_EEEEPSB_SM_NS0_5tupleIJPSA_SM_EEENSN_IJSM_SM_EEESB_PlJ10is_orderedEEE10hipError_tPvRmT3_T4_T5_T6_T7_T9_mT8_P12ihipStream_tbDpT10_ENKUlT_T0_E_clISt17integral_constantIbLb0EES1C_EEDaS17_S18_EUlS17_E_NS1_11comp_targetILNS1_3genE9ELNS1_11target_archE1100ELNS1_3gpuE3ELNS1_3repE0EEENS1_30default_config_static_selectorELNS0_4arch9wavefront6targetE1EEEvT1_
	.p2align	8
	.type	_ZN7rocprim17ROCPRIM_400000_NS6detail17trampoline_kernelINS0_14default_configENS1_25partition_config_selectorILNS1_17partition_subalgoE3EN6thrust23THRUST_200600_302600_NS5tupleIxxNS7_9null_typeES9_S9_S9_S9_S9_S9_S9_EENS0_10empty_typeEbEEZZNS1_14partition_implILS5_3ELb0ES3_jNS7_6detail15normal_iteratorINS7_7pointerISA_NS7_11hip_rocprim3tagENS7_11use_defaultESJ_EEEEPSB_SM_NS0_5tupleIJPSA_SM_EEENSN_IJSM_SM_EEESB_PlJ10is_orderedEEE10hipError_tPvRmT3_T4_T5_T6_T7_T9_mT8_P12ihipStream_tbDpT10_ENKUlT_T0_E_clISt17integral_constantIbLb0EES1C_EEDaS17_S18_EUlS17_E_NS1_11comp_targetILNS1_3genE9ELNS1_11target_archE1100ELNS1_3gpuE3ELNS1_3repE0EEENS1_30default_config_static_selectorELNS0_4arch9wavefront6targetE1EEEvT1_,@function
_ZN7rocprim17ROCPRIM_400000_NS6detail17trampoline_kernelINS0_14default_configENS1_25partition_config_selectorILNS1_17partition_subalgoE3EN6thrust23THRUST_200600_302600_NS5tupleIxxNS7_9null_typeES9_S9_S9_S9_S9_S9_S9_EENS0_10empty_typeEbEEZZNS1_14partition_implILS5_3ELb0ES3_jNS7_6detail15normal_iteratorINS7_7pointerISA_NS7_11hip_rocprim3tagENS7_11use_defaultESJ_EEEEPSB_SM_NS0_5tupleIJPSA_SM_EEENSN_IJSM_SM_EEESB_PlJ10is_orderedEEE10hipError_tPvRmT3_T4_T5_T6_T7_T9_mT8_P12ihipStream_tbDpT10_ENKUlT_T0_E_clISt17integral_constantIbLb0EES1C_EEDaS17_S18_EUlS17_E_NS1_11comp_targetILNS1_3genE9ELNS1_11target_archE1100ELNS1_3gpuE3ELNS1_3repE0EEENS1_30default_config_static_selectorELNS0_4arch9wavefront6targetE1EEEvT1_: ; @_ZN7rocprim17ROCPRIM_400000_NS6detail17trampoline_kernelINS0_14default_configENS1_25partition_config_selectorILNS1_17partition_subalgoE3EN6thrust23THRUST_200600_302600_NS5tupleIxxNS7_9null_typeES9_S9_S9_S9_S9_S9_S9_EENS0_10empty_typeEbEEZZNS1_14partition_implILS5_3ELb0ES3_jNS7_6detail15normal_iteratorINS7_7pointerISA_NS7_11hip_rocprim3tagENS7_11use_defaultESJ_EEEEPSB_SM_NS0_5tupleIJPSA_SM_EEENSN_IJSM_SM_EEESB_PlJ10is_orderedEEE10hipError_tPvRmT3_T4_T5_T6_T7_T9_mT8_P12ihipStream_tbDpT10_ENKUlT_T0_E_clISt17integral_constantIbLb0EES1C_EEDaS17_S18_EUlS17_E_NS1_11comp_targetILNS1_3genE9ELNS1_11target_archE1100ELNS1_3gpuE3ELNS1_3repE0EEENS1_30default_config_static_selectorELNS0_4arch9wavefront6targetE1EEEvT1_
; %bb.0:
	.section	.rodata,"a",@progbits
	.p2align	6, 0x0
	.amdhsa_kernel _ZN7rocprim17ROCPRIM_400000_NS6detail17trampoline_kernelINS0_14default_configENS1_25partition_config_selectorILNS1_17partition_subalgoE3EN6thrust23THRUST_200600_302600_NS5tupleIxxNS7_9null_typeES9_S9_S9_S9_S9_S9_S9_EENS0_10empty_typeEbEEZZNS1_14partition_implILS5_3ELb0ES3_jNS7_6detail15normal_iteratorINS7_7pointerISA_NS7_11hip_rocprim3tagENS7_11use_defaultESJ_EEEEPSB_SM_NS0_5tupleIJPSA_SM_EEENSN_IJSM_SM_EEESB_PlJ10is_orderedEEE10hipError_tPvRmT3_T4_T5_T6_T7_T9_mT8_P12ihipStream_tbDpT10_ENKUlT_T0_E_clISt17integral_constantIbLb0EES1C_EEDaS17_S18_EUlS17_E_NS1_11comp_targetILNS1_3genE9ELNS1_11target_archE1100ELNS1_3gpuE3ELNS1_3repE0EEENS1_30default_config_static_selectorELNS0_4arch9wavefront6targetE1EEEvT1_
		.amdhsa_group_segment_fixed_size 0
		.amdhsa_private_segment_fixed_size 0
		.amdhsa_kernarg_size 120
		.amdhsa_user_sgpr_count 2
		.amdhsa_user_sgpr_dispatch_ptr 0
		.amdhsa_user_sgpr_queue_ptr 0
		.amdhsa_user_sgpr_kernarg_segment_ptr 1
		.amdhsa_user_sgpr_dispatch_id 0
		.amdhsa_user_sgpr_kernarg_preload_length 0
		.amdhsa_user_sgpr_kernarg_preload_offset 0
		.amdhsa_user_sgpr_private_segment_size 0
		.amdhsa_uses_dynamic_stack 0
		.amdhsa_enable_private_segment 0
		.amdhsa_system_sgpr_workgroup_id_x 1
		.amdhsa_system_sgpr_workgroup_id_y 0
		.amdhsa_system_sgpr_workgroup_id_z 0
		.amdhsa_system_sgpr_workgroup_info 0
		.amdhsa_system_vgpr_workitem_id 0
		.amdhsa_next_free_vgpr 1
		.amdhsa_next_free_sgpr 0
		.amdhsa_accum_offset 4
		.amdhsa_reserve_vcc 0
		.amdhsa_float_round_mode_32 0
		.amdhsa_float_round_mode_16_64 0
		.amdhsa_float_denorm_mode_32 3
		.amdhsa_float_denorm_mode_16_64 3
		.amdhsa_dx10_clamp 1
		.amdhsa_ieee_mode 1
		.amdhsa_fp16_overflow 0
		.amdhsa_tg_split 0
		.amdhsa_exception_fp_ieee_invalid_op 0
		.amdhsa_exception_fp_denorm_src 0
		.amdhsa_exception_fp_ieee_div_zero 0
		.amdhsa_exception_fp_ieee_overflow 0
		.amdhsa_exception_fp_ieee_underflow 0
		.amdhsa_exception_fp_ieee_inexact 0
		.amdhsa_exception_int_div_zero 0
	.end_amdhsa_kernel
	.section	.text._ZN7rocprim17ROCPRIM_400000_NS6detail17trampoline_kernelINS0_14default_configENS1_25partition_config_selectorILNS1_17partition_subalgoE3EN6thrust23THRUST_200600_302600_NS5tupleIxxNS7_9null_typeES9_S9_S9_S9_S9_S9_S9_EENS0_10empty_typeEbEEZZNS1_14partition_implILS5_3ELb0ES3_jNS7_6detail15normal_iteratorINS7_7pointerISA_NS7_11hip_rocprim3tagENS7_11use_defaultESJ_EEEEPSB_SM_NS0_5tupleIJPSA_SM_EEENSN_IJSM_SM_EEESB_PlJ10is_orderedEEE10hipError_tPvRmT3_T4_T5_T6_T7_T9_mT8_P12ihipStream_tbDpT10_ENKUlT_T0_E_clISt17integral_constantIbLb0EES1C_EEDaS17_S18_EUlS17_E_NS1_11comp_targetILNS1_3genE9ELNS1_11target_archE1100ELNS1_3gpuE3ELNS1_3repE0EEENS1_30default_config_static_selectorELNS0_4arch9wavefront6targetE1EEEvT1_,"axG",@progbits,_ZN7rocprim17ROCPRIM_400000_NS6detail17trampoline_kernelINS0_14default_configENS1_25partition_config_selectorILNS1_17partition_subalgoE3EN6thrust23THRUST_200600_302600_NS5tupleIxxNS7_9null_typeES9_S9_S9_S9_S9_S9_S9_EENS0_10empty_typeEbEEZZNS1_14partition_implILS5_3ELb0ES3_jNS7_6detail15normal_iteratorINS7_7pointerISA_NS7_11hip_rocprim3tagENS7_11use_defaultESJ_EEEEPSB_SM_NS0_5tupleIJPSA_SM_EEENSN_IJSM_SM_EEESB_PlJ10is_orderedEEE10hipError_tPvRmT3_T4_T5_T6_T7_T9_mT8_P12ihipStream_tbDpT10_ENKUlT_T0_E_clISt17integral_constantIbLb0EES1C_EEDaS17_S18_EUlS17_E_NS1_11comp_targetILNS1_3genE9ELNS1_11target_archE1100ELNS1_3gpuE3ELNS1_3repE0EEENS1_30default_config_static_selectorELNS0_4arch9wavefront6targetE1EEEvT1_,comdat
.Lfunc_end3461:
	.size	_ZN7rocprim17ROCPRIM_400000_NS6detail17trampoline_kernelINS0_14default_configENS1_25partition_config_selectorILNS1_17partition_subalgoE3EN6thrust23THRUST_200600_302600_NS5tupleIxxNS7_9null_typeES9_S9_S9_S9_S9_S9_S9_EENS0_10empty_typeEbEEZZNS1_14partition_implILS5_3ELb0ES3_jNS7_6detail15normal_iteratorINS7_7pointerISA_NS7_11hip_rocprim3tagENS7_11use_defaultESJ_EEEEPSB_SM_NS0_5tupleIJPSA_SM_EEENSN_IJSM_SM_EEESB_PlJ10is_orderedEEE10hipError_tPvRmT3_T4_T5_T6_T7_T9_mT8_P12ihipStream_tbDpT10_ENKUlT_T0_E_clISt17integral_constantIbLb0EES1C_EEDaS17_S18_EUlS17_E_NS1_11comp_targetILNS1_3genE9ELNS1_11target_archE1100ELNS1_3gpuE3ELNS1_3repE0EEENS1_30default_config_static_selectorELNS0_4arch9wavefront6targetE1EEEvT1_, .Lfunc_end3461-_ZN7rocprim17ROCPRIM_400000_NS6detail17trampoline_kernelINS0_14default_configENS1_25partition_config_selectorILNS1_17partition_subalgoE3EN6thrust23THRUST_200600_302600_NS5tupleIxxNS7_9null_typeES9_S9_S9_S9_S9_S9_S9_EENS0_10empty_typeEbEEZZNS1_14partition_implILS5_3ELb0ES3_jNS7_6detail15normal_iteratorINS7_7pointerISA_NS7_11hip_rocprim3tagENS7_11use_defaultESJ_EEEEPSB_SM_NS0_5tupleIJPSA_SM_EEENSN_IJSM_SM_EEESB_PlJ10is_orderedEEE10hipError_tPvRmT3_T4_T5_T6_T7_T9_mT8_P12ihipStream_tbDpT10_ENKUlT_T0_E_clISt17integral_constantIbLb0EES1C_EEDaS17_S18_EUlS17_E_NS1_11comp_targetILNS1_3genE9ELNS1_11target_archE1100ELNS1_3gpuE3ELNS1_3repE0EEENS1_30default_config_static_selectorELNS0_4arch9wavefront6targetE1EEEvT1_
                                        ; -- End function
	.section	.AMDGPU.csdata,"",@progbits
; Kernel info:
; codeLenInByte = 0
; NumSgprs: 6
; NumVgprs: 0
; NumAgprs: 0
; TotalNumVgprs: 0
; ScratchSize: 0
; MemoryBound: 0
; FloatMode: 240
; IeeeMode: 1
; LDSByteSize: 0 bytes/workgroup (compile time only)
; SGPRBlocks: 0
; VGPRBlocks: 0
; NumSGPRsForWavesPerEU: 6
; NumVGPRsForWavesPerEU: 1
; AccumOffset: 4
; Occupancy: 8
; WaveLimiterHint : 0
; COMPUTE_PGM_RSRC2:SCRATCH_EN: 0
; COMPUTE_PGM_RSRC2:USER_SGPR: 2
; COMPUTE_PGM_RSRC2:TRAP_HANDLER: 0
; COMPUTE_PGM_RSRC2:TGID_X_EN: 1
; COMPUTE_PGM_RSRC2:TGID_Y_EN: 0
; COMPUTE_PGM_RSRC2:TGID_Z_EN: 0
; COMPUTE_PGM_RSRC2:TIDIG_COMP_CNT: 0
; COMPUTE_PGM_RSRC3_GFX90A:ACCUM_OFFSET: 0
; COMPUTE_PGM_RSRC3_GFX90A:TG_SPLIT: 0
	.section	.text._ZN7rocprim17ROCPRIM_400000_NS6detail17trampoline_kernelINS0_14default_configENS1_25partition_config_selectorILNS1_17partition_subalgoE3EN6thrust23THRUST_200600_302600_NS5tupleIxxNS7_9null_typeES9_S9_S9_S9_S9_S9_S9_EENS0_10empty_typeEbEEZZNS1_14partition_implILS5_3ELb0ES3_jNS7_6detail15normal_iteratorINS7_7pointerISA_NS7_11hip_rocprim3tagENS7_11use_defaultESJ_EEEEPSB_SM_NS0_5tupleIJPSA_SM_EEENSN_IJSM_SM_EEESB_PlJ10is_orderedEEE10hipError_tPvRmT3_T4_T5_T6_T7_T9_mT8_P12ihipStream_tbDpT10_ENKUlT_T0_E_clISt17integral_constantIbLb0EES1C_EEDaS17_S18_EUlS17_E_NS1_11comp_targetILNS1_3genE8ELNS1_11target_archE1030ELNS1_3gpuE2ELNS1_3repE0EEENS1_30default_config_static_selectorELNS0_4arch9wavefront6targetE1EEEvT1_,"axG",@progbits,_ZN7rocprim17ROCPRIM_400000_NS6detail17trampoline_kernelINS0_14default_configENS1_25partition_config_selectorILNS1_17partition_subalgoE3EN6thrust23THRUST_200600_302600_NS5tupleIxxNS7_9null_typeES9_S9_S9_S9_S9_S9_S9_EENS0_10empty_typeEbEEZZNS1_14partition_implILS5_3ELb0ES3_jNS7_6detail15normal_iteratorINS7_7pointerISA_NS7_11hip_rocprim3tagENS7_11use_defaultESJ_EEEEPSB_SM_NS0_5tupleIJPSA_SM_EEENSN_IJSM_SM_EEESB_PlJ10is_orderedEEE10hipError_tPvRmT3_T4_T5_T6_T7_T9_mT8_P12ihipStream_tbDpT10_ENKUlT_T0_E_clISt17integral_constantIbLb0EES1C_EEDaS17_S18_EUlS17_E_NS1_11comp_targetILNS1_3genE8ELNS1_11target_archE1030ELNS1_3gpuE2ELNS1_3repE0EEENS1_30default_config_static_selectorELNS0_4arch9wavefront6targetE1EEEvT1_,comdat
	.protected	_ZN7rocprim17ROCPRIM_400000_NS6detail17trampoline_kernelINS0_14default_configENS1_25partition_config_selectorILNS1_17partition_subalgoE3EN6thrust23THRUST_200600_302600_NS5tupleIxxNS7_9null_typeES9_S9_S9_S9_S9_S9_S9_EENS0_10empty_typeEbEEZZNS1_14partition_implILS5_3ELb0ES3_jNS7_6detail15normal_iteratorINS7_7pointerISA_NS7_11hip_rocprim3tagENS7_11use_defaultESJ_EEEEPSB_SM_NS0_5tupleIJPSA_SM_EEENSN_IJSM_SM_EEESB_PlJ10is_orderedEEE10hipError_tPvRmT3_T4_T5_T6_T7_T9_mT8_P12ihipStream_tbDpT10_ENKUlT_T0_E_clISt17integral_constantIbLb0EES1C_EEDaS17_S18_EUlS17_E_NS1_11comp_targetILNS1_3genE8ELNS1_11target_archE1030ELNS1_3gpuE2ELNS1_3repE0EEENS1_30default_config_static_selectorELNS0_4arch9wavefront6targetE1EEEvT1_ ; -- Begin function _ZN7rocprim17ROCPRIM_400000_NS6detail17trampoline_kernelINS0_14default_configENS1_25partition_config_selectorILNS1_17partition_subalgoE3EN6thrust23THRUST_200600_302600_NS5tupleIxxNS7_9null_typeES9_S9_S9_S9_S9_S9_S9_EENS0_10empty_typeEbEEZZNS1_14partition_implILS5_3ELb0ES3_jNS7_6detail15normal_iteratorINS7_7pointerISA_NS7_11hip_rocprim3tagENS7_11use_defaultESJ_EEEEPSB_SM_NS0_5tupleIJPSA_SM_EEENSN_IJSM_SM_EEESB_PlJ10is_orderedEEE10hipError_tPvRmT3_T4_T5_T6_T7_T9_mT8_P12ihipStream_tbDpT10_ENKUlT_T0_E_clISt17integral_constantIbLb0EES1C_EEDaS17_S18_EUlS17_E_NS1_11comp_targetILNS1_3genE8ELNS1_11target_archE1030ELNS1_3gpuE2ELNS1_3repE0EEENS1_30default_config_static_selectorELNS0_4arch9wavefront6targetE1EEEvT1_
	.globl	_ZN7rocprim17ROCPRIM_400000_NS6detail17trampoline_kernelINS0_14default_configENS1_25partition_config_selectorILNS1_17partition_subalgoE3EN6thrust23THRUST_200600_302600_NS5tupleIxxNS7_9null_typeES9_S9_S9_S9_S9_S9_S9_EENS0_10empty_typeEbEEZZNS1_14partition_implILS5_3ELb0ES3_jNS7_6detail15normal_iteratorINS7_7pointerISA_NS7_11hip_rocprim3tagENS7_11use_defaultESJ_EEEEPSB_SM_NS0_5tupleIJPSA_SM_EEENSN_IJSM_SM_EEESB_PlJ10is_orderedEEE10hipError_tPvRmT3_T4_T5_T6_T7_T9_mT8_P12ihipStream_tbDpT10_ENKUlT_T0_E_clISt17integral_constantIbLb0EES1C_EEDaS17_S18_EUlS17_E_NS1_11comp_targetILNS1_3genE8ELNS1_11target_archE1030ELNS1_3gpuE2ELNS1_3repE0EEENS1_30default_config_static_selectorELNS0_4arch9wavefront6targetE1EEEvT1_
	.p2align	8
	.type	_ZN7rocprim17ROCPRIM_400000_NS6detail17trampoline_kernelINS0_14default_configENS1_25partition_config_selectorILNS1_17partition_subalgoE3EN6thrust23THRUST_200600_302600_NS5tupleIxxNS7_9null_typeES9_S9_S9_S9_S9_S9_S9_EENS0_10empty_typeEbEEZZNS1_14partition_implILS5_3ELb0ES3_jNS7_6detail15normal_iteratorINS7_7pointerISA_NS7_11hip_rocprim3tagENS7_11use_defaultESJ_EEEEPSB_SM_NS0_5tupleIJPSA_SM_EEENSN_IJSM_SM_EEESB_PlJ10is_orderedEEE10hipError_tPvRmT3_T4_T5_T6_T7_T9_mT8_P12ihipStream_tbDpT10_ENKUlT_T0_E_clISt17integral_constantIbLb0EES1C_EEDaS17_S18_EUlS17_E_NS1_11comp_targetILNS1_3genE8ELNS1_11target_archE1030ELNS1_3gpuE2ELNS1_3repE0EEENS1_30default_config_static_selectorELNS0_4arch9wavefront6targetE1EEEvT1_,@function
_ZN7rocprim17ROCPRIM_400000_NS6detail17trampoline_kernelINS0_14default_configENS1_25partition_config_selectorILNS1_17partition_subalgoE3EN6thrust23THRUST_200600_302600_NS5tupleIxxNS7_9null_typeES9_S9_S9_S9_S9_S9_S9_EENS0_10empty_typeEbEEZZNS1_14partition_implILS5_3ELb0ES3_jNS7_6detail15normal_iteratorINS7_7pointerISA_NS7_11hip_rocprim3tagENS7_11use_defaultESJ_EEEEPSB_SM_NS0_5tupleIJPSA_SM_EEENSN_IJSM_SM_EEESB_PlJ10is_orderedEEE10hipError_tPvRmT3_T4_T5_T6_T7_T9_mT8_P12ihipStream_tbDpT10_ENKUlT_T0_E_clISt17integral_constantIbLb0EES1C_EEDaS17_S18_EUlS17_E_NS1_11comp_targetILNS1_3genE8ELNS1_11target_archE1030ELNS1_3gpuE2ELNS1_3repE0EEENS1_30default_config_static_selectorELNS0_4arch9wavefront6targetE1EEEvT1_: ; @_ZN7rocprim17ROCPRIM_400000_NS6detail17trampoline_kernelINS0_14default_configENS1_25partition_config_selectorILNS1_17partition_subalgoE3EN6thrust23THRUST_200600_302600_NS5tupleIxxNS7_9null_typeES9_S9_S9_S9_S9_S9_S9_EENS0_10empty_typeEbEEZZNS1_14partition_implILS5_3ELb0ES3_jNS7_6detail15normal_iteratorINS7_7pointerISA_NS7_11hip_rocprim3tagENS7_11use_defaultESJ_EEEEPSB_SM_NS0_5tupleIJPSA_SM_EEENSN_IJSM_SM_EEESB_PlJ10is_orderedEEE10hipError_tPvRmT3_T4_T5_T6_T7_T9_mT8_P12ihipStream_tbDpT10_ENKUlT_T0_E_clISt17integral_constantIbLb0EES1C_EEDaS17_S18_EUlS17_E_NS1_11comp_targetILNS1_3genE8ELNS1_11target_archE1030ELNS1_3gpuE2ELNS1_3repE0EEENS1_30default_config_static_selectorELNS0_4arch9wavefront6targetE1EEEvT1_
; %bb.0:
	.section	.rodata,"a",@progbits
	.p2align	6, 0x0
	.amdhsa_kernel _ZN7rocprim17ROCPRIM_400000_NS6detail17trampoline_kernelINS0_14default_configENS1_25partition_config_selectorILNS1_17partition_subalgoE3EN6thrust23THRUST_200600_302600_NS5tupleIxxNS7_9null_typeES9_S9_S9_S9_S9_S9_S9_EENS0_10empty_typeEbEEZZNS1_14partition_implILS5_3ELb0ES3_jNS7_6detail15normal_iteratorINS7_7pointerISA_NS7_11hip_rocprim3tagENS7_11use_defaultESJ_EEEEPSB_SM_NS0_5tupleIJPSA_SM_EEENSN_IJSM_SM_EEESB_PlJ10is_orderedEEE10hipError_tPvRmT3_T4_T5_T6_T7_T9_mT8_P12ihipStream_tbDpT10_ENKUlT_T0_E_clISt17integral_constantIbLb0EES1C_EEDaS17_S18_EUlS17_E_NS1_11comp_targetILNS1_3genE8ELNS1_11target_archE1030ELNS1_3gpuE2ELNS1_3repE0EEENS1_30default_config_static_selectorELNS0_4arch9wavefront6targetE1EEEvT1_
		.amdhsa_group_segment_fixed_size 0
		.amdhsa_private_segment_fixed_size 0
		.amdhsa_kernarg_size 120
		.amdhsa_user_sgpr_count 2
		.amdhsa_user_sgpr_dispatch_ptr 0
		.amdhsa_user_sgpr_queue_ptr 0
		.amdhsa_user_sgpr_kernarg_segment_ptr 1
		.amdhsa_user_sgpr_dispatch_id 0
		.amdhsa_user_sgpr_kernarg_preload_length 0
		.amdhsa_user_sgpr_kernarg_preload_offset 0
		.amdhsa_user_sgpr_private_segment_size 0
		.amdhsa_uses_dynamic_stack 0
		.amdhsa_enable_private_segment 0
		.amdhsa_system_sgpr_workgroup_id_x 1
		.amdhsa_system_sgpr_workgroup_id_y 0
		.amdhsa_system_sgpr_workgroup_id_z 0
		.amdhsa_system_sgpr_workgroup_info 0
		.amdhsa_system_vgpr_workitem_id 0
		.amdhsa_next_free_vgpr 1
		.amdhsa_next_free_sgpr 0
		.amdhsa_accum_offset 4
		.amdhsa_reserve_vcc 0
		.amdhsa_float_round_mode_32 0
		.amdhsa_float_round_mode_16_64 0
		.amdhsa_float_denorm_mode_32 3
		.amdhsa_float_denorm_mode_16_64 3
		.amdhsa_dx10_clamp 1
		.amdhsa_ieee_mode 1
		.amdhsa_fp16_overflow 0
		.amdhsa_tg_split 0
		.amdhsa_exception_fp_ieee_invalid_op 0
		.amdhsa_exception_fp_denorm_src 0
		.amdhsa_exception_fp_ieee_div_zero 0
		.amdhsa_exception_fp_ieee_overflow 0
		.amdhsa_exception_fp_ieee_underflow 0
		.amdhsa_exception_fp_ieee_inexact 0
		.amdhsa_exception_int_div_zero 0
	.end_amdhsa_kernel
	.section	.text._ZN7rocprim17ROCPRIM_400000_NS6detail17trampoline_kernelINS0_14default_configENS1_25partition_config_selectorILNS1_17partition_subalgoE3EN6thrust23THRUST_200600_302600_NS5tupleIxxNS7_9null_typeES9_S9_S9_S9_S9_S9_S9_EENS0_10empty_typeEbEEZZNS1_14partition_implILS5_3ELb0ES3_jNS7_6detail15normal_iteratorINS7_7pointerISA_NS7_11hip_rocprim3tagENS7_11use_defaultESJ_EEEEPSB_SM_NS0_5tupleIJPSA_SM_EEENSN_IJSM_SM_EEESB_PlJ10is_orderedEEE10hipError_tPvRmT3_T4_T5_T6_T7_T9_mT8_P12ihipStream_tbDpT10_ENKUlT_T0_E_clISt17integral_constantIbLb0EES1C_EEDaS17_S18_EUlS17_E_NS1_11comp_targetILNS1_3genE8ELNS1_11target_archE1030ELNS1_3gpuE2ELNS1_3repE0EEENS1_30default_config_static_selectorELNS0_4arch9wavefront6targetE1EEEvT1_,"axG",@progbits,_ZN7rocprim17ROCPRIM_400000_NS6detail17trampoline_kernelINS0_14default_configENS1_25partition_config_selectorILNS1_17partition_subalgoE3EN6thrust23THRUST_200600_302600_NS5tupleIxxNS7_9null_typeES9_S9_S9_S9_S9_S9_S9_EENS0_10empty_typeEbEEZZNS1_14partition_implILS5_3ELb0ES3_jNS7_6detail15normal_iteratorINS7_7pointerISA_NS7_11hip_rocprim3tagENS7_11use_defaultESJ_EEEEPSB_SM_NS0_5tupleIJPSA_SM_EEENSN_IJSM_SM_EEESB_PlJ10is_orderedEEE10hipError_tPvRmT3_T4_T5_T6_T7_T9_mT8_P12ihipStream_tbDpT10_ENKUlT_T0_E_clISt17integral_constantIbLb0EES1C_EEDaS17_S18_EUlS17_E_NS1_11comp_targetILNS1_3genE8ELNS1_11target_archE1030ELNS1_3gpuE2ELNS1_3repE0EEENS1_30default_config_static_selectorELNS0_4arch9wavefront6targetE1EEEvT1_,comdat
.Lfunc_end3462:
	.size	_ZN7rocprim17ROCPRIM_400000_NS6detail17trampoline_kernelINS0_14default_configENS1_25partition_config_selectorILNS1_17partition_subalgoE3EN6thrust23THRUST_200600_302600_NS5tupleIxxNS7_9null_typeES9_S9_S9_S9_S9_S9_S9_EENS0_10empty_typeEbEEZZNS1_14partition_implILS5_3ELb0ES3_jNS7_6detail15normal_iteratorINS7_7pointerISA_NS7_11hip_rocprim3tagENS7_11use_defaultESJ_EEEEPSB_SM_NS0_5tupleIJPSA_SM_EEENSN_IJSM_SM_EEESB_PlJ10is_orderedEEE10hipError_tPvRmT3_T4_T5_T6_T7_T9_mT8_P12ihipStream_tbDpT10_ENKUlT_T0_E_clISt17integral_constantIbLb0EES1C_EEDaS17_S18_EUlS17_E_NS1_11comp_targetILNS1_3genE8ELNS1_11target_archE1030ELNS1_3gpuE2ELNS1_3repE0EEENS1_30default_config_static_selectorELNS0_4arch9wavefront6targetE1EEEvT1_, .Lfunc_end3462-_ZN7rocprim17ROCPRIM_400000_NS6detail17trampoline_kernelINS0_14default_configENS1_25partition_config_selectorILNS1_17partition_subalgoE3EN6thrust23THRUST_200600_302600_NS5tupleIxxNS7_9null_typeES9_S9_S9_S9_S9_S9_S9_EENS0_10empty_typeEbEEZZNS1_14partition_implILS5_3ELb0ES3_jNS7_6detail15normal_iteratorINS7_7pointerISA_NS7_11hip_rocprim3tagENS7_11use_defaultESJ_EEEEPSB_SM_NS0_5tupleIJPSA_SM_EEENSN_IJSM_SM_EEESB_PlJ10is_orderedEEE10hipError_tPvRmT3_T4_T5_T6_T7_T9_mT8_P12ihipStream_tbDpT10_ENKUlT_T0_E_clISt17integral_constantIbLb0EES1C_EEDaS17_S18_EUlS17_E_NS1_11comp_targetILNS1_3genE8ELNS1_11target_archE1030ELNS1_3gpuE2ELNS1_3repE0EEENS1_30default_config_static_selectorELNS0_4arch9wavefront6targetE1EEEvT1_
                                        ; -- End function
	.section	.AMDGPU.csdata,"",@progbits
; Kernel info:
; codeLenInByte = 0
; NumSgprs: 6
; NumVgprs: 0
; NumAgprs: 0
; TotalNumVgprs: 0
; ScratchSize: 0
; MemoryBound: 0
; FloatMode: 240
; IeeeMode: 1
; LDSByteSize: 0 bytes/workgroup (compile time only)
; SGPRBlocks: 0
; VGPRBlocks: 0
; NumSGPRsForWavesPerEU: 6
; NumVGPRsForWavesPerEU: 1
; AccumOffset: 4
; Occupancy: 8
; WaveLimiterHint : 0
; COMPUTE_PGM_RSRC2:SCRATCH_EN: 0
; COMPUTE_PGM_RSRC2:USER_SGPR: 2
; COMPUTE_PGM_RSRC2:TRAP_HANDLER: 0
; COMPUTE_PGM_RSRC2:TGID_X_EN: 1
; COMPUTE_PGM_RSRC2:TGID_Y_EN: 0
; COMPUTE_PGM_RSRC2:TGID_Z_EN: 0
; COMPUTE_PGM_RSRC2:TIDIG_COMP_CNT: 0
; COMPUTE_PGM_RSRC3_GFX90A:ACCUM_OFFSET: 0
; COMPUTE_PGM_RSRC3_GFX90A:TG_SPLIT: 0
	.section	.text._ZN7rocprim17ROCPRIM_400000_NS6detail17trampoline_kernelINS0_14default_configENS1_25partition_config_selectorILNS1_17partition_subalgoE3EN6thrust23THRUST_200600_302600_NS5tupleIxxNS7_9null_typeES9_S9_S9_S9_S9_S9_S9_EENS0_10empty_typeEbEEZZNS1_14partition_implILS5_3ELb0ES3_jNS7_6detail15normal_iteratorINS7_7pointerISA_NS7_11hip_rocprim3tagENS7_11use_defaultESJ_EEEEPSB_SM_NS0_5tupleIJPSA_SM_EEENSN_IJSM_SM_EEESB_PlJ10is_orderedEEE10hipError_tPvRmT3_T4_T5_T6_T7_T9_mT8_P12ihipStream_tbDpT10_ENKUlT_T0_E_clISt17integral_constantIbLb1EES1C_EEDaS17_S18_EUlS17_E_NS1_11comp_targetILNS1_3genE0ELNS1_11target_archE4294967295ELNS1_3gpuE0ELNS1_3repE0EEENS1_30default_config_static_selectorELNS0_4arch9wavefront6targetE1EEEvT1_,"axG",@progbits,_ZN7rocprim17ROCPRIM_400000_NS6detail17trampoline_kernelINS0_14default_configENS1_25partition_config_selectorILNS1_17partition_subalgoE3EN6thrust23THRUST_200600_302600_NS5tupleIxxNS7_9null_typeES9_S9_S9_S9_S9_S9_S9_EENS0_10empty_typeEbEEZZNS1_14partition_implILS5_3ELb0ES3_jNS7_6detail15normal_iteratorINS7_7pointerISA_NS7_11hip_rocprim3tagENS7_11use_defaultESJ_EEEEPSB_SM_NS0_5tupleIJPSA_SM_EEENSN_IJSM_SM_EEESB_PlJ10is_orderedEEE10hipError_tPvRmT3_T4_T5_T6_T7_T9_mT8_P12ihipStream_tbDpT10_ENKUlT_T0_E_clISt17integral_constantIbLb1EES1C_EEDaS17_S18_EUlS17_E_NS1_11comp_targetILNS1_3genE0ELNS1_11target_archE4294967295ELNS1_3gpuE0ELNS1_3repE0EEENS1_30default_config_static_selectorELNS0_4arch9wavefront6targetE1EEEvT1_,comdat
	.protected	_ZN7rocprim17ROCPRIM_400000_NS6detail17trampoline_kernelINS0_14default_configENS1_25partition_config_selectorILNS1_17partition_subalgoE3EN6thrust23THRUST_200600_302600_NS5tupleIxxNS7_9null_typeES9_S9_S9_S9_S9_S9_S9_EENS0_10empty_typeEbEEZZNS1_14partition_implILS5_3ELb0ES3_jNS7_6detail15normal_iteratorINS7_7pointerISA_NS7_11hip_rocprim3tagENS7_11use_defaultESJ_EEEEPSB_SM_NS0_5tupleIJPSA_SM_EEENSN_IJSM_SM_EEESB_PlJ10is_orderedEEE10hipError_tPvRmT3_T4_T5_T6_T7_T9_mT8_P12ihipStream_tbDpT10_ENKUlT_T0_E_clISt17integral_constantIbLb1EES1C_EEDaS17_S18_EUlS17_E_NS1_11comp_targetILNS1_3genE0ELNS1_11target_archE4294967295ELNS1_3gpuE0ELNS1_3repE0EEENS1_30default_config_static_selectorELNS0_4arch9wavefront6targetE1EEEvT1_ ; -- Begin function _ZN7rocprim17ROCPRIM_400000_NS6detail17trampoline_kernelINS0_14default_configENS1_25partition_config_selectorILNS1_17partition_subalgoE3EN6thrust23THRUST_200600_302600_NS5tupleIxxNS7_9null_typeES9_S9_S9_S9_S9_S9_S9_EENS0_10empty_typeEbEEZZNS1_14partition_implILS5_3ELb0ES3_jNS7_6detail15normal_iteratorINS7_7pointerISA_NS7_11hip_rocprim3tagENS7_11use_defaultESJ_EEEEPSB_SM_NS0_5tupleIJPSA_SM_EEENSN_IJSM_SM_EEESB_PlJ10is_orderedEEE10hipError_tPvRmT3_T4_T5_T6_T7_T9_mT8_P12ihipStream_tbDpT10_ENKUlT_T0_E_clISt17integral_constantIbLb1EES1C_EEDaS17_S18_EUlS17_E_NS1_11comp_targetILNS1_3genE0ELNS1_11target_archE4294967295ELNS1_3gpuE0ELNS1_3repE0EEENS1_30default_config_static_selectorELNS0_4arch9wavefront6targetE1EEEvT1_
	.globl	_ZN7rocprim17ROCPRIM_400000_NS6detail17trampoline_kernelINS0_14default_configENS1_25partition_config_selectorILNS1_17partition_subalgoE3EN6thrust23THRUST_200600_302600_NS5tupleIxxNS7_9null_typeES9_S9_S9_S9_S9_S9_S9_EENS0_10empty_typeEbEEZZNS1_14partition_implILS5_3ELb0ES3_jNS7_6detail15normal_iteratorINS7_7pointerISA_NS7_11hip_rocprim3tagENS7_11use_defaultESJ_EEEEPSB_SM_NS0_5tupleIJPSA_SM_EEENSN_IJSM_SM_EEESB_PlJ10is_orderedEEE10hipError_tPvRmT3_T4_T5_T6_T7_T9_mT8_P12ihipStream_tbDpT10_ENKUlT_T0_E_clISt17integral_constantIbLb1EES1C_EEDaS17_S18_EUlS17_E_NS1_11comp_targetILNS1_3genE0ELNS1_11target_archE4294967295ELNS1_3gpuE0ELNS1_3repE0EEENS1_30default_config_static_selectorELNS0_4arch9wavefront6targetE1EEEvT1_
	.p2align	8
	.type	_ZN7rocprim17ROCPRIM_400000_NS6detail17trampoline_kernelINS0_14default_configENS1_25partition_config_selectorILNS1_17partition_subalgoE3EN6thrust23THRUST_200600_302600_NS5tupleIxxNS7_9null_typeES9_S9_S9_S9_S9_S9_S9_EENS0_10empty_typeEbEEZZNS1_14partition_implILS5_3ELb0ES3_jNS7_6detail15normal_iteratorINS7_7pointerISA_NS7_11hip_rocprim3tagENS7_11use_defaultESJ_EEEEPSB_SM_NS0_5tupleIJPSA_SM_EEENSN_IJSM_SM_EEESB_PlJ10is_orderedEEE10hipError_tPvRmT3_T4_T5_T6_T7_T9_mT8_P12ihipStream_tbDpT10_ENKUlT_T0_E_clISt17integral_constantIbLb1EES1C_EEDaS17_S18_EUlS17_E_NS1_11comp_targetILNS1_3genE0ELNS1_11target_archE4294967295ELNS1_3gpuE0ELNS1_3repE0EEENS1_30default_config_static_selectorELNS0_4arch9wavefront6targetE1EEEvT1_,@function
_ZN7rocprim17ROCPRIM_400000_NS6detail17trampoline_kernelINS0_14default_configENS1_25partition_config_selectorILNS1_17partition_subalgoE3EN6thrust23THRUST_200600_302600_NS5tupleIxxNS7_9null_typeES9_S9_S9_S9_S9_S9_S9_EENS0_10empty_typeEbEEZZNS1_14partition_implILS5_3ELb0ES3_jNS7_6detail15normal_iteratorINS7_7pointerISA_NS7_11hip_rocprim3tagENS7_11use_defaultESJ_EEEEPSB_SM_NS0_5tupleIJPSA_SM_EEENSN_IJSM_SM_EEESB_PlJ10is_orderedEEE10hipError_tPvRmT3_T4_T5_T6_T7_T9_mT8_P12ihipStream_tbDpT10_ENKUlT_T0_E_clISt17integral_constantIbLb1EES1C_EEDaS17_S18_EUlS17_E_NS1_11comp_targetILNS1_3genE0ELNS1_11target_archE4294967295ELNS1_3gpuE0ELNS1_3repE0EEENS1_30default_config_static_selectorELNS0_4arch9wavefront6targetE1EEEvT1_: ; @_ZN7rocprim17ROCPRIM_400000_NS6detail17trampoline_kernelINS0_14default_configENS1_25partition_config_selectorILNS1_17partition_subalgoE3EN6thrust23THRUST_200600_302600_NS5tupleIxxNS7_9null_typeES9_S9_S9_S9_S9_S9_S9_EENS0_10empty_typeEbEEZZNS1_14partition_implILS5_3ELb0ES3_jNS7_6detail15normal_iteratorINS7_7pointerISA_NS7_11hip_rocprim3tagENS7_11use_defaultESJ_EEEEPSB_SM_NS0_5tupleIJPSA_SM_EEENSN_IJSM_SM_EEESB_PlJ10is_orderedEEE10hipError_tPvRmT3_T4_T5_T6_T7_T9_mT8_P12ihipStream_tbDpT10_ENKUlT_T0_E_clISt17integral_constantIbLb1EES1C_EEDaS17_S18_EUlS17_E_NS1_11comp_targetILNS1_3genE0ELNS1_11target_archE4294967295ELNS1_3gpuE0ELNS1_3repE0EEENS1_30default_config_static_selectorELNS0_4arch9wavefront6targetE1EEEvT1_
; %bb.0:
	.section	.rodata,"a",@progbits
	.p2align	6, 0x0
	.amdhsa_kernel _ZN7rocprim17ROCPRIM_400000_NS6detail17trampoline_kernelINS0_14default_configENS1_25partition_config_selectorILNS1_17partition_subalgoE3EN6thrust23THRUST_200600_302600_NS5tupleIxxNS7_9null_typeES9_S9_S9_S9_S9_S9_S9_EENS0_10empty_typeEbEEZZNS1_14partition_implILS5_3ELb0ES3_jNS7_6detail15normal_iteratorINS7_7pointerISA_NS7_11hip_rocprim3tagENS7_11use_defaultESJ_EEEEPSB_SM_NS0_5tupleIJPSA_SM_EEENSN_IJSM_SM_EEESB_PlJ10is_orderedEEE10hipError_tPvRmT3_T4_T5_T6_T7_T9_mT8_P12ihipStream_tbDpT10_ENKUlT_T0_E_clISt17integral_constantIbLb1EES1C_EEDaS17_S18_EUlS17_E_NS1_11comp_targetILNS1_3genE0ELNS1_11target_archE4294967295ELNS1_3gpuE0ELNS1_3repE0EEENS1_30default_config_static_selectorELNS0_4arch9wavefront6targetE1EEEvT1_
		.amdhsa_group_segment_fixed_size 0
		.amdhsa_private_segment_fixed_size 0
		.amdhsa_kernarg_size 136
		.amdhsa_user_sgpr_count 2
		.amdhsa_user_sgpr_dispatch_ptr 0
		.amdhsa_user_sgpr_queue_ptr 0
		.amdhsa_user_sgpr_kernarg_segment_ptr 1
		.amdhsa_user_sgpr_dispatch_id 0
		.amdhsa_user_sgpr_kernarg_preload_length 0
		.amdhsa_user_sgpr_kernarg_preload_offset 0
		.amdhsa_user_sgpr_private_segment_size 0
		.amdhsa_uses_dynamic_stack 0
		.amdhsa_enable_private_segment 0
		.amdhsa_system_sgpr_workgroup_id_x 1
		.amdhsa_system_sgpr_workgroup_id_y 0
		.amdhsa_system_sgpr_workgroup_id_z 0
		.amdhsa_system_sgpr_workgroup_info 0
		.amdhsa_system_vgpr_workitem_id 0
		.amdhsa_next_free_vgpr 1
		.amdhsa_next_free_sgpr 0
		.amdhsa_accum_offset 4
		.amdhsa_reserve_vcc 0
		.amdhsa_float_round_mode_32 0
		.amdhsa_float_round_mode_16_64 0
		.amdhsa_float_denorm_mode_32 3
		.amdhsa_float_denorm_mode_16_64 3
		.amdhsa_dx10_clamp 1
		.amdhsa_ieee_mode 1
		.amdhsa_fp16_overflow 0
		.amdhsa_tg_split 0
		.amdhsa_exception_fp_ieee_invalid_op 0
		.amdhsa_exception_fp_denorm_src 0
		.amdhsa_exception_fp_ieee_div_zero 0
		.amdhsa_exception_fp_ieee_overflow 0
		.amdhsa_exception_fp_ieee_underflow 0
		.amdhsa_exception_fp_ieee_inexact 0
		.amdhsa_exception_int_div_zero 0
	.end_amdhsa_kernel
	.section	.text._ZN7rocprim17ROCPRIM_400000_NS6detail17trampoline_kernelINS0_14default_configENS1_25partition_config_selectorILNS1_17partition_subalgoE3EN6thrust23THRUST_200600_302600_NS5tupleIxxNS7_9null_typeES9_S9_S9_S9_S9_S9_S9_EENS0_10empty_typeEbEEZZNS1_14partition_implILS5_3ELb0ES3_jNS7_6detail15normal_iteratorINS7_7pointerISA_NS7_11hip_rocprim3tagENS7_11use_defaultESJ_EEEEPSB_SM_NS0_5tupleIJPSA_SM_EEENSN_IJSM_SM_EEESB_PlJ10is_orderedEEE10hipError_tPvRmT3_T4_T5_T6_T7_T9_mT8_P12ihipStream_tbDpT10_ENKUlT_T0_E_clISt17integral_constantIbLb1EES1C_EEDaS17_S18_EUlS17_E_NS1_11comp_targetILNS1_3genE0ELNS1_11target_archE4294967295ELNS1_3gpuE0ELNS1_3repE0EEENS1_30default_config_static_selectorELNS0_4arch9wavefront6targetE1EEEvT1_,"axG",@progbits,_ZN7rocprim17ROCPRIM_400000_NS6detail17trampoline_kernelINS0_14default_configENS1_25partition_config_selectorILNS1_17partition_subalgoE3EN6thrust23THRUST_200600_302600_NS5tupleIxxNS7_9null_typeES9_S9_S9_S9_S9_S9_S9_EENS0_10empty_typeEbEEZZNS1_14partition_implILS5_3ELb0ES3_jNS7_6detail15normal_iteratorINS7_7pointerISA_NS7_11hip_rocprim3tagENS7_11use_defaultESJ_EEEEPSB_SM_NS0_5tupleIJPSA_SM_EEENSN_IJSM_SM_EEESB_PlJ10is_orderedEEE10hipError_tPvRmT3_T4_T5_T6_T7_T9_mT8_P12ihipStream_tbDpT10_ENKUlT_T0_E_clISt17integral_constantIbLb1EES1C_EEDaS17_S18_EUlS17_E_NS1_11comp_targetILNS1_3genE0ELNS1_11target_archE4294967295ELNS1_3gpuE0ELNS1_3repE0EEENS1_30default_config_static_selectorELNS0_4arch9wavefront6targetE1EEEvT1_,comdat
.Lfunc_end3463:
	.size	_ZN7rocprim17ROCPRIM_400000_NS6detail17trampoline_kernelINS0_14default_configENS1_25partition_config_selectorILNS1_17partition_subalgoE3EN6thrust23THRUST_200600_302600_NS5tupleIxxNS7_9null_typeES9_S9_S9_S9_S9_S9_S9_EENS0_10empty_typeEbEEZZNS1_14partition_implILS5_3ELb0ES3_jNS7_6detail15normal_iteratorINS7_7pointerISA_NS7_11hip_rocprim3tagENS7_11use_defaultESJ_EEEEPSB_SM_NS0_5tupleIJPSA_SM_EEENSN_IJSM_SM_EEESB_PlJ10is_orderedEEE10hipError_tPvRmT3_T4_T5_T6_T7_T9_mT8_P12ihipStream_tbDpT10_ENKUlT_T0_E_clISt17integral_constantIbLb1EES1C_EEDaS17_S18_EUlS17_E_NS1_11comp_targetILNS1_3genE0ELNS1_11target_archE4294967295ELNS1_3gpuE0ELNS1_3repE0EEENS1_30default_config_static_selectorELNS0_4arch9wavefront6targetE1EEEvT1_, .Lfunc_end3463-_ZN7rocprim17ROCPRIM_400000_NS6detail17trampoline_kernelINS0_14default_configENS1_25partition_config_selectorILNS1_17partition_subalgoE3EN6thrust23THRUST_200600_302600_NS5tupleIxxNS7_9null_typeES9_S9_S9_S9_S9_S9_S9_EENS0_10empty_typeEbEEZZNS1_14partition_implILS5_3ELb0ES3_jNS7_6detail15normal_iteratorINS7_7pointerISA_NS7_11hip_rocprim3tagENS7_11use_defaultESJ_EEEEPSB_SM_NS0_5tupleIJPSA_SM_EEENSN_IJSM_SM_EEESB_PlJ10is_orderedEEE10hipError_tPvRmT3_T4_T5_T6_T7_T9_mT8_P12ihipStream_tbDpT10_ENKUlT_T0_E_clISt17integral_constantIbLb1EES1C_EEDaS17_S18_EUlS17_E_NS1_11comp_targetILNS1_3genE0ELNS1_11target_archE4294967295ELNS1_3gpuE0ELNS1_3repE0EEENS1_30default_config_static_selectorELNS0_4arch9wavefront6targetE1EEEvT1_
                                        ; -- End function
	.section	.AMDGPU.csdata,"",@progbits
; Kernel info:
; codeLenInByte = 0
; NumSgprs: 6
; NumVgprs: 0
; NumAgprs: 0
; TotalNumVgprs: 0
; ScratchSize: 0
; MemoryBound: 0
; FloatMode: 240
; IeeeMode: 1
; LDSByteSize: 0 bytes/workgroup (compile time only)
; SGPRBlocks: 0
; VGPRBlocks: 0
; NumSGPRsForWavesPerEU: 6
; NumVGPRsForWavesPerEU: 1
; AccumOffset: 4
; Occupancy: 8
; WaveLimiterHint : 0
; COMPUTE_PGM_RSRC2:SCRATCH_EN: 0
; COMPUTE_PGM_RSRC2:USER_SGPR: 2
; COMPUTE_PGM_RSRC2:TRAP_HANDLER: 0
; COMPUTE_PGM_RSRC2:TGID_X_EN: 1
; COMPUTE_PGM_RSRC2:TGID_Y_EN: 0
; COMPUTE_PGM_RSRC2:TGID_Z_EN: 0
; COMPUTE_PGM_RSRC2:TIDIG_COMP_CNT: 0
; COMPUTE_PGM_RSRC3_GFX90A:ACCUM_OFFSET: 0
; COMPUTE_PGM_RSRC3_GFX90A:TG_SPLIT: 0
	.section	.text._ZN7rocprim17ROCPRIM_400000_NS6detail17trampoline_kernelINS0_14default_configENS1_25partition_config_selectorILNS1_17partition_subalgoE3EN6thrust23THRUST_200600_302600_NS5tupleIxxNS7_9null_typeES9_S9_S9_S9_S9_S9_S9_EENS0_10empty_typeEbEEZZNS1_14partition_implILS5_3ELb0ES3_jNS7_6detail15normal_iteratorINS7_7pointerISA_NS7_11hip_rocprim3tagENS7_11use_defaultESJ_EEEEPSB_SM_NS0_5tupleIJPSA_SM_EEENSN_IJSM_SM_EEESB_PlJ10is_orderedEEE10hipError_tPvRmT3_T4_T5_T6_T7_T9_mT8_P12ihipStream_tbDpT10_ENKUlT_T0_E_clISt17integral_constantIbLb1EES1C_EEDaS17_S18_EUlS17_E_NS1_11comp_targetILNS1_3genE5ELNS1_11target_archE942ELNS1_3gpuE9ELNS1_3repE0EEENS1_30default_config_static_selectorELNS0_4arch9wavefront6targetE1EEEvT1_,"axG",@progbits,_ZN7rocprim17ROCPRIM_400000_NS6detail17trampoline_kernelINS0_14default_configENS1_25partition_config_selectorILNS1_17partition_subalgoE3EN6thrust23THRUST_200600_302600_NS5tupleIxxNS7_9null_typeES9_S9_S9_S9_S9_S9_S9_EENS0_10empty_typeEbEEZZNS1_14partition_implILS5_3ELb0ES3_jNS7_6detail15normal_iteratorINS7_7pointerISA_NS7_11hip_rocprim3tagENS7_11use_defaultESJ_EEEEPSB_SM_NS0_5tupleIJPSA_SM_EEENSN_IJSM_SM_EEESB_PlJ10is_orderedEEE10hipError_tPvRmT3_T4_T5_T6_T7_T9_mT8_P12ihipStream_tbDpT10_ENKUlT_T0_E_clISt17integral_constantIbLb1EES1C_EEDaS17_S18_EUlS17_E_NS1_11comp_targetILNS1_3genE5ELNS1_11target_archE942ELNS1_3gpuE9ELNS1_3repE0EEENS1_30default_config_static_selectorELNS0_4arch9wavefront6targetE1EEEvT1_,comdat
	.protected	_ZN7rocprim17ROCPRIM_400000_NS6detail17trampoline_kernelINS0_14default_configENS1_25partition_config_selectorILNS1_17partition_subalgoE3EN6thrust23THRUST_200600_302600_NS5tupleIxxNS7_9null_typeES9_S9_S9_S9_S9_S9_S9_EENS0_10empty_typeEbEEZZNS1_14partition_implILS5_3ELb0ES3_jNS7_6detail15normal_iteratorINS7_7pointerISA_NS7_11hip_rocprim3tagENS7_11use_defaultESJ_EEEEPSB_SM_NS0_5tupleIJPSA_SM_EEENSN_IJSM_SM_EEESB_PlJ10is_orderedEEE10hipError_tPvRmT3_T4_T5_T6_T7_T9_mT8_P12ihipStream_tbDpT10_ENKUlT_T0_E_clISt17integral_constantIbLb1EES1C_EEDaS17_S18_EUlS17_E_NS1_11comp_targetILNS1_3genE5ELNS1_11target_archE942ELNS1_3gpuE9ELNS1_3repE0EEENS1_30default_config_static_selectorELNS0_4arch9wavefront6targetE1EEEvT1_ ; -- Begin function _ZN7rocprim17ROCPRIM_400000_NS6detail17trampoline_kernelINS0_14default_configENS1_25partition_config_selectorILNS1_17partition_subalgoE3EN6thrust23THRUST_200600_302600_NS5tupleIxxNS7_9null_typeES9_S9_S9_S9_S9_S9_S9_EENS0_10empty_typeEbEEZZNS1_14partition_implILS5_3ELb0ES3_jNS7_6detail15normal_iteratorINS7_7pointerISA_NS7_11hip_rocprim3tagENS7_11use_defaultESJ_EEEEPSB_SM_NS0_5tupleIJPSA_SM_EEENSN_IJSM_SM_EEESB_PlJ10is_orderedEEE10hipError_tPvRmT3_T4_T5_T6_T7_T9_mT8_P12ihipStream_tbDpT10_ENKUlT_T0_E_clISt17integral_constantIbLb1EES1C_EEDaS17_S18_EUlS17_E_NS1_11comp_targetILNS1_3genE5ELNS1_11target_archE942ELNS1_3gpuE9ELNS1_3repE0EEENS1_30default_config_static_selectorELNS0_4arch9wavefront6targetE1EEEvT1_
	.globl	_ZN7rocprim17ROCPRIM_400000_NS6detail17trampoline_kernelINS0_14default_configENS1_25partition_config_selectorILNS1_17partition_subalgoE3EN6thrust23THRUST_200600_302600_NS5tupleIxxNS7_9null_typeES9_S9_S9_S9_S9_S9_S9_EENS0_10empty_typeEbEEZZNS1_14partition_implILS5_3ELb0ES3_jNS7_6detail15normal_iteratorINS7_7pointerISA_NS7_11hip_rocprim3tagENS7_11use_defaultESJ_EEEEPSB_SM_NS0_5tupleIJPSA_SM_EEENSN_IJSM_SM_EEESB_PlJ10is_orderedEEE10hipError_tPvRmT3_T4_T5_T6_T7_T9_mT8_P12ihipStream_tbDpT10_ENKUlT_T0_E_clISt17integral_constantIbLb1EES1C_EEDaS17_S18_EUlS17_E_NS1_11comp_targetILNS1_3genE5ELNS1_11target_archE942ELNS1_3gpuE9ELNS1_3repE0EEENS1_30default_config_static_selectorELNS0_4arch9wavefront6targetE1EEEvT1_
	.p2align	8
	.type	_ZN7rocprim17ROCPRIM_400000_NS6detail17trampoline_kernelINS0_14default_configENS1_25partition_config_selectorILNS1_17partition_subalgoE3EN6thrust23THRUST_200600_302600_NS5tupleIxxNS7_9null_typeES9_S9_S9_S9_S9_S9_S9_EENS0_10empty_typeEbEEZZNS1_14partition_implILS5_3ELb0ES3_jNS7_6detail15normal_iteratorINS7_7pointerISA_NS7_11hip_rocprim3tagENS7_11use_defaultESJ_EEEEPSB_SM_NS0_5tupleIJPSA_SM_EEENSN_IJSM_SM_EEESB_PlJ10is_orderedEEE10hipError_tPvRmT3_T4_T5_T6_T7_T9_mT8_P12ihipStream_tbDpT10_ENKUlT_T0_E_clISt17integral_constantIbLb1EES1C_EEDaS17_S18_EUlS17_E_NS1_11comp_targetILNS1_3genE5ELNS1_11target_archE942ELNS1_3gpuE9ELNS1_3repE0EEENS1_30default_config_static_selectorELNS0_4arch9wavefront6targetE1EEEvT1_,@function
_ZN7rocprim17ROCPRIM_400000_NS6detail17trampoline_kernelINS0_14default_configENS1_25partition_config_selectorILNS1_17partition_subalgoE3EN6thrust23THRUST_200600_302600_NS5tupleIxxNS7_9null_typeES9_S9_S9_S9_S9_S9_S9_EENS0_10empty_typeEbEEZZNS1_14partition_implILS5_3ELb0ES3_jNS7_6detail15normal_iteratorINS7_7pointerISA_NS7_11hip_rocprim3tagENS7_11use_defaultESJ_EEEEPSB_SM_NS0_5tupleIJPSA_SM_EEENSN_IJSM_SM_EEESB_PlJ10is_orderedEEE10hipError_tPvRmT3_T4_T5_T6_T7_T9_mT8_P12ihipStream_tbDpT10_ENKUlT_T0_E_clISt17integral_constantIbLb1EES1C_EEDaS17_S18_EUlS17_E_NS1_11comp_targetILNS1_3genE5ELNS1_11target_archE942ELNS1_3gpuE9ELNS1_3repE0EEENS1_30default_config_static_selectorELNS0_4arch9wavefront6targetE1EEEvT1_: ; @_ZN7rocprim17ROCPRIM_400000_NS6detail17trampoline_kernelINS0_14default_configENS1_25partition_config_selectorILNS1_17partition_subalgoE3EN6thrust23THRUST_200600_302600_NS5tupleIxxNS7_9null_typeES9_S9_S9_S9_S9_S9_S9_EENS0_10empty_typeEbEEZZNS1_14partition_implILS5_3ELb0ES3_jNS7_6detail15normal_iteratorINS7_7pointerISA_NS7_11hip_rocprim3tagENS7_11use_defaultESJ_EEEEPSB_SM_NS0_5tupleIJPSA_SM_EEENSN_IJSM_SM_EEESB_PlJ10is_orderedEEE10hipError_tPvRmT3_T4_T5_T6_T7_T9_mT8_P12ihipStream_tbDpT10_ENKUlT_T0_E_clISt17integral_constantIbLb1EES1C_EEDaS17_S18_EUlS17_E_NS1_11comp_targetILNS1_3genE5ELNS1_11target_archE942ELNS1_3gpuE9ELNS1_3repE0EEENS1_30default_config_static_selectorELNS0_4arch9wavefront6targetE1EEEvT1_
; %bb.0:
	s_load_dwordx2 s[22:23], s[0:1], 0x28
	s_load_dwordx4 s[24:27], s[0:1], 0x48
	s_load_dwordx2 s[34:35], s[0:1], 0x58
	s_load_dwordx2 s[36:37], s[0:1], 0x68
	v_cmp_eq_u32_e64 s[20:21], 0, v0
	s_and_saveexec_b64 s[2:3], s[20:21]
	s_cbranch_execz .LBB3464_4
; %bb.1:
	s_mov_b64 s[6:7], exec
	v_mbcnt_lo_u32_b32 v1, s6, 0
	v_mbcnt_hi_u32_b32 v1, s7, v1
	v_cmp_eq_u32_e32 vcc, 0, v1
                                        ; implicit-def: $vgpr2
	s_and_saveexec_b64 s[4:5], vcc
	s_cbranch_execz .LBB3464_3
; %bb.2:
	s_load_dwordx2 s[8:9], s[0:1], 0x78
	s_bcnt1_i32_b64 s6, s[6:7]
	v_mov_b32_e32 v2, 0
	v_mov_b32_e32 v3, s6
	s_waitcnt lgkmcnt(0)
	global_atomic_add v2, v2, v3, s[8:9] sc0
.LBB3464_3:
	s_or_b64 exec, exec, s[4:5]
	s_waitcnt vmcnt(0)
	v_readfirstlane_b32 s4, v2
	v_mov_b32_e32 v2, 0
	s_nop 0
	v_add_u32_e32 v1, s4, v1
	ds_write_b32 v2, v1
.LBB3464_4:
	s_or_b64 exec, exec, s[2:3]
	v_mov_b32_e32 v19, 0
	s_load_dwordx4 s[28:31], s[0:1], 0x8
	s_load_dword s2, s[0:1], 0x70
	s_waitcnt lgkmcnt(0)
	s_barrier
	ds_read_b32 v1, v19
	s_waitcnt lgkmcnt(0)
	s_barrier
	global_load_dwordx2 v[20:21], v19, s[26:27]
	s_lshl_b64 s[0:1], s[30:31], 4
	s_add_u32 s0, s28, s0
	s_addc_u32 s1, s29, s1
	s_add_i32 s4, s2, -1
	s_mulk_i32 s2, 0x600
	s_add_i32 s3, s2, s30
	s_sub_i32 s33, s34, s3
	s_addk_i32 s33, 0x600
	s_add_u32 s2, s30, s2
	v_readfirstlane_b32 s42, v1
	s_addc_u32 s3, s31, 0
	s_cmp_eq_u32 s42, s4
	s_movk_i32 s6, 0x600
	s_cselect_b64 s[26:27], -1, 0
	s_cmp_lg_u32 s42, s4
	v_mov_b64_e32 v[2:3], s[34:35]
	s_cselect_b64 s[4:5], -1, 0
	v_mul_lo_u32 v18, v1, s6
	v_cmp_lt_u64_e32 vcc, s[2:3], v[2:3]
	s_or_b64 s[4:5], vcc, s[4:5]
	v_lshlrev_b64 v[2:3], 4, v[18:19]
	v_lshl_add_u64 v[24:25], s[0:1], 0, v[2:3]
	s_mov_b64 s[0:1], -1
	s_and_b64 vcc, exec, s[4:5]
	v_lshlrev_b32_e32 v22, 4, v0
	v_lshrrev_b32_e32 v1, 1, v0
	s_cbranch_vccz .LBB3464_6
; %bb.5:
	v_mov_b32_e32 v23, v19
	v_lshl_add_u64 v[10:11], v[24:25], 0, v[22:23]
	v_add_co_u32_e32 v12, vcc, 0x1000, v10
	v_and_b32_e32 v23, 0xf0, v1
	s_nop 0
	v_addc_co_u32_e32 v13, vcc, 0, v11, vcc
	v_add_co_u32_e32 v26, vcc, 0x3000, v10
	flat_load_dwordx4 v[2:5], v[10:11]
	flat_load_dwordx4 v[6:9], v[12:13] offset:2048
	v_addc_co_u32_e32 v27, vcc, 0, v11, vcc
	v_add_co_u32_e32 v28, vcc, 0x4000, v10
	v_add_u32_e32 v23, v23, v22
	s_nop 0
	v_addc_co_u32_e32 v29, vcc, 0, v11, vcc
	flat_load_dwordx4 v[10:13], v[26:27]
	flat_load_dwordx4 v[14:17], v[28:29] offset:2048
	v_add_u32_e32 v26, 0x180, v0
	v_add_u32_e32 v27, 0x300, v0
	;; [unrolled: 1-line block ×3, first 2 shown]
	v_lshrrev_b32_e32 v26, 1, v26
	v_lshrrev_b32_e32 v27, 1, v27
	v_lshrrev_b32_e32 v28, 1, v28
	v_and_b32_e32 v26, 0x1f0, v26
	v_and_b32_e32 v27, 0x3f0, v27
	v_and_b32_e32 v28, 0x3f0, v28
	v_add_u32_e32 v26, v26, v22
	v_add_u32_e32 v27, v27, v22
	;; [unrolled: 1-line block ×3, first 2 shown]
	s_mov_b64 s[0:1], 0
	s_waitcnt vmcnt(0) lgkmcnt(0)
	ds_write_b128 v23, v[2:5]
	ds_write_b128 v26, v[6:9] offset:6144
	ds_write_b128 v27, v[10:13] offset:12288
	;; [unrolled: 1-line block ×3, first 2 shown]
	s_waitcnt lgkmcnt(0)
	s_barrier
.LBB3464_6:
	s_andn2_b64 vcc, exec, s[0:1]
	v_cmp_gt_u32_e64 s[0:1], s33, v0
	s_cbranch_vccnz .LBB3464_16
; %bb.7:
	v_mov_b64_e32 v[4:5], 0
	v_mov_b64_e32 v[8:9], v[4:5]
	;; [unrolled: 1-line block ×3, first 2 shown]
	s_and_saveexec_b64 s[2:3], s[0:1]
	s_cbranch_execz .LBB3464_9
; %bb.8:
	v_mov_b32_e32 v23, 0
	v_lshl_add_u64 v[2:3], v[24:25], 0, v[22:23]
	flat_load_dwordx4 v[6:9], v[2:3]
.LBB3464_9:
	s_or_b64 exec, exec, s[2:3]
	v_add_u32_e32 v23, 0x180, v0
	v_cmp_gt_u32_e32 vcc, s33, v23
	v_mov_b64_e32 v[2:3], v[4:5]
	s_and_saveexec_b64 s[0:1], vcc
	s_cbranch_execz .LBB3464_11
; %bb.10:
	v_lshlrev_b32_e32 v2, 4, v23
	v_mov_b32_e32 v3, 0
	v_lshl_add_u64 v[2:3], v[24:25], 0, v[2:3]
	flat_load_dwordx4 v[2:5], v[2:3]
.LBB3464_11:
	s_or_b64 exec, exec, s[0:1]
	v_add_u32_e32 v26, 0x300, v0
	v_mov_b64_e32 v[12:13], 0
	v_cmp_gt_u32_e32 vcc, s33, v26
	v_mov_b64_e32 v[16:17], v[12:13]
	v_mov_b64_e32 v[14:15], v[12:13]
	s_and_saveexec_b64 s[0:1], vcc
	s_cbranch_execz .LBB3464_13
; %bb.12:
	v_lshlrev_b32_e32 v10, 4, v26
	v_mov_b32_e32 v11, 0
	v_lshl_add_u64 v[10:11], v[24:25], 0, v[10:11]
	flat_load_dwordx4 v[14:17], v[10:11]
.LBB3464_13:
	s_or_b64 exec, exec, s[0:1]
	v_add_u32_e32 v27, 0x480, v0
	v_cmp_gt_u32_e32 vcc, s33, v27
	v_mov_b64_e32 v[10:11], v[12:13]
	s_and_saveexec_b64 s[0:1], vcc
	s_cbranch_execz .LBB3464_15
; %bb.14:
	v_lshlrev_b32_e32 v10, 4, v27
	v_mov_b32_e32 v11, 0
	v_lshl_add_u64 v[10:11], v[24:25], 0, v[10:11]
	flat_load_dwordx4 v[10:13], v[10:11]
.LBB3464_15:
	s_or_b64 exec, exec, s[0:1]
	v_and_b32_e32 v1, 0xf0, v1
	v_add_u32_e32 v1, v1, v22
	s_waitcnt vmcnt(0) lgkmcnt(0)
	ds_write_b128 v1, v[6:9]
	v_lshrrev_b32_e32 v1, 1, v23
	v_and_b32_e32 v1, 0x1f0, v1
	v_add_u32_e32 v1, v1, v22
	ds_write_b128 v1, v[2:5] offset:6144
	v_lshrrev_b32_e32 v1, 1, v26
	v_and_b32_e32 v1, 0x3f0, v1
	v_add_u32_e32 v1, v1, v22
	ds_write_b128 v1, v[14:17] offset:12288
	;; [unrolled: 4-line block ×3, first 2 shown]
	s_waitcnt lgkmcnt(0)
	s_barrier
.LBB3464_16:
	v_lshlrev_b32_e32 v1, 2, v0
	v_lshrrev_b32_e32 v2, 3, v0
	v_add_lshl_u32 v2, v2, v1, 4
	ds_read_b128 v[14:17], v2
	ds_read_b128 v[10:13], v2 offset:16
	ds_read_b128 v[6:9], v2 offset:32
	;; [unrolled: 1-line block ×3, first 2 shown]
	v_cndmask_b32_e64 v23, 0, 1, s[4:5]
	v_cmp_ne_u32_e64 s[2:3], 1, v23
	s_andn2_b64 vcc, exec, s[4:5]
	s_waitcnt lgkmcnt(3)
	v_cmp_le_i64_e64 s[6:7], v[14:15], v[16:17]
	s_waitcnt lgkmcnt(2)
	v_cmp_le_i64_e64 s[8:9], v[10:11], v[12:13]
	;; [unrolled: 2-line block ×4, first 2 shown]
	s_barrier
	s_cbranch_vccnz .LBB3464_18
; %bb.17:
	v_cndmask_b32_e64 v24, 0, 1, s[8:9]
	v_cndmask_b32_e64 v23, 0, 1, s[6:7]
	v_lshlrev_b16_e32 v24, 8, v24
	v_or_b32_e32 v23, v23, v24
	v_and_b32_e32 v23, 0xffff, v23
	v_cndmask_b32_e64 v24, 0, 1, s[4:5]
	v_lshl_or_b32 v23, v24, 16, v23
	s_and_b64 s[28:29], s[0:1], exec
	s_cbranch_execz .LBB3464_19
	s_branch .LBB3464_20
.LBB3464_18:
                                        ; implicit-def: $sgpr28_sgpr29
                                        ; implicit-def: $vgpr23
.LBB3464_19:
	v_cmp_gt_u32_e32 vcc, s33, v1
	v_cmp_le_i64_e64 s[0:1], v[14:15], v[16:17]
	s_and_b64 s[0:1], vcc, s[0:1]
	v_or_b32_e32 v24, 1, v1
	v_cndmask_b32_e64 v23, 0, 1, s[0:1]
	v_cmp_gt_u32_e32 vcc, s33, v24
	v_cmp_le_i64_e64 s[0:1], v[10:11], v[12:13]
	s_and_b64 s[0:1], vcc, s[0:1]
	v_or_b32_e32 v25, 2, v1
	v_cndmask_b32_e64 v24, 0, 1, s[0:1]
	v_cmp_gt_u32_e32 vcc, s33, v25
	v_cmp_le_i64_e64 s[0:1], v[6:7], v[8:9]
	v_lshlrev_b16_e32 v24, 8, v24
	v_or_b32_e32 v23, v23, v24
	s_and_b64 s[0:1], vcc, s[0:1]
	v_and_b32_e32 v23, 0xffff, v23
	v_cndmask_b32_e64 v24, 0, 1, s[0:1]
	v_lshl_or_b32 v23, v24, 16, v23
	v_or_b32_e32 v24, 3, v1
	v_cmp_gt_u32_e32 vcc, s33, v24
	v_cmp_le_i64_e64 s[0:1], v[2:3], v[4:5]
	s_and_b64 s[0:1], vcc, s[0:1]
	s_andn2_b64 s[4:5], s[28:29], exec
	s_and_b64 s[0:1], s[0:1], exec
	s_or_b64 s[28:29], s[4:5], s[0:1]
.LBB3464_20:
	v_cndmask_b32_e64 v24, 0, 1, s[28:29]
	v_bfe_u32 v34, v23, 8, 8
	v_bfe_u32 v35, v23, 16, 8
	v_add_u32_sdwa v24, v23, v24 dst_sel:DWORD dst_unused:UNUSED_PAD src0_sel:BYTE_0 src1_sel:DWORD
	v_add3_u32 v38, v24, v34, v35
	v_mbcnt_lo_u32_b32 v24, -1, 0
	v_mbcnt_hi_u32_b32 v36, -1, v24
	v_and_b32_e32 v24, 15, v36
	v_cmp_eq_u32_e64 s[16:17], 0, v24
	v_cmp_lt_u32_e64 s[14:15], 1, v24
	v_cmp_lt_u32_e64 s[12:13], 3, v24
	;; [unrolled: 1-line block ×3, first 2 shown]
	v_and_b32_e32 v24, 16, v36
	v_cmp_eq_u32_e64 s[6:7], 0, v24
	v_and_b32_e32 v24, 0x1c0, v0
	v_min_u32_e32 v24, 0x140, v24
	v_or_b32_e32 v24, 63, v24
	s_cmp_lg_u32 s42, 0
	v_cmp_lt_u32_e64 s[4:5], 31, v36
	v_lshrrev_b32_e32 v37, 6, v0
	v_cmp_eq_u32_e64 s[8:9], v24, v0
	s_cbranch_scc0 .LBB3464_51
; %bb.21:
	v_mov_b32_dpp v24, v38 row_shr:1 row_mask:0xf bank_mask:0xf
	v_cndmask_b32_e64 v24, v24, 0, s[16:17]
	v_add_u32_e32 v24, v24, v38
	s_nop 1
	v_mov_b32_dpp v25, v24 row_shr:2 row_mask:0xf bank_mask:0xf
	v_cndmask_b32_e64 v25, 0, v25, s[14:15]
	v_add_u32_e32 v24, v24, v25
	s_nop 1
	;; [unrolled: 4-line block ×4, first 2 shown]
	v_mov_b32_dpp v25, v24 row_bcast:15 row_mask:0xf bank_mask:0xf
	v_cndmask_b32_e64 v25, v25, 0, s[6:7]
	v_add_u32_e32 v24, v24, v25
	s_nop 1
	v_mov_b32_dpp v25, v24 row_bcast:31 row_mask:0xf bank_mask:0xf
	v_cndmask_b32_e64 v25, 0, v25, s[4:5]
	v_add_u32_e32 v24, v24, v25
	s_and_saveexec_b64 s[0:1], s[8:9]
	s_cbranch_execz .LBB3464_23
; %bb.22:
	v_lshlrev_b32_e32 v25, 2, v37
	ds_write_b32 v25, v24
.LBB3464_23:
	s_or_b64 exec, exec, s[0:1]
	v_cmp_gt_u32_e32 vcc, 6, v0
	s_waitcnt lgkmcnt(0)
	s_barrier
	s_and_saveexec_b64 s[0:1], vcc
	s_cbranch_execz .LBB3464_25
; %bb.24:
	ds_read_b32 v25, v1
	v_and_b32_e32 v26, 7, v36
	v_cmp_ne_u32_e32 vcc, 0, v26
	s_waitcnt lgkmcnt(0)
	v_mov_b32_dpp v27, v25 row_shr:1 row_mask:0xf bank_mask:0xf
	v_cndmask_b32_e32 v27, 0, v27, vcc
	v_add_u32_e32 v25, v27, v25
	v_cmp_lt_u32_e32 vcc, 1, v26
	s_nop 0
	v_mov_b32_dpp v27, v25 row_shr:2 row_mask:0xf bank_mask:0xf
	v_cndmask_b32_e32 v27, 0, v27, vcc
	v_add_u32_e32 v25, v25, v27
	v_cmp_lt_u32_e32 vcc, 3, v26
	s_nop 0
	v_mov_b32_dpp v27, v25 row_shr:4 row_mask:0xf bank_mask:0xf
	v_cndmask_b32_e32 v26, 0, v27, vcc
	v_add_u32_e32 v25, v25, v26
	ds_write_b32 v1, v25
.LBB3464_25:
	s_or_b64 exec, exec, s[0:1]
	v_cmp_gt_u32_e32 vcc, 64, v0
	v_cmp_lt_u32_e64 s[0:1], 63, v0
	s_waitcnt lgkmcnt(0)
	s_barrier
	s_waitcnt lgkmcnt(0)
                                        ; implicit-def: $vgpr39
	s_and_saveexec_b64 s[18:19], s[0:1]
	s_cbranch_execz .LBB3464_27
; %bb.26:
	v_lshl_add_u32 v25, v37, 2, -4
	ds_read_b32 v39, v25
	s_waitcnt lgkmcnt(0)
	v_add_u32_e32 v24, v39, v24
.LBB3464_27:
	s_or_b64 exec, exec, s[18:19]
	v_add_u32_e32 v25, -1, v36
	v_and_b32_e32 v26, 64, v36
	v_cmp_lt_i32_e64 s[0:1], v25, v26
	v_cmp_eq_u32_e64 s[18:19], 0, v36
	s_nop 0
	v_cndmask_b32_e64 v25, v25, v36, s[0:1]
	v_lshlrev_b32_e32 v25, 2, v25
	ds_bpermute_b32 v40, v25, v24
	s_and_saveexec_b64 s[0:1], vcc
	s_cbranch_execz .LBB3464_50
; %bb.28:
	v_mov_b32_e32 v33, 0
	ds_read_b32 v24, v33 offset:20
	s_and_saveexec_b64 s[38:39], s[18:19]
	s_cbranch_execz .LBB3464_30
; %bb.29:
	s_add_i32 s40, s42, 64
	s_mov_b32 s41, 0
	s_lshl_b64 s[40:41], s[40:41], 3
	s_add_u32 s40, s36, s40
	v_mov_b32_e32 v25, 1
	s_addc_u32 s41, s37, s41
	s_waitcnt lgkmcnt(0)
	global_store_dwordx2 v33, v[24:25], s[40:41] sc1
.LBB3464_30:
	s_or_b64 exec, exec, s[38:39]
	v_xad_u32 v26, v36, -1, s42
	v_add_u32_e32 v32, 64, v26
	v_lshl_add_u64 v[28:29], v[32:33], 3, s[36:37]
	global_load_dwordx2 v[30:31], v[28:29], off sc1
	s_waitcnt vmcnt(0)
	v_cmp_eq_u16_sdwa s[40:41], v31, v33 src0_sel:BYTE_0 src1_sel:DWORD
	s_and_saveexec_b64 s[38:39], s[40:41]
	s_cbranch_execz .LBB3464_36
; %bb.31:
	s_mov_b32 s43, 1
	s_mov_b64 s[40:41], 0
	v_mov_b32_e32 v25, 0
.LBB3464_32:                            ; =>This Loop Header: Depth=1
                                        ;     Child Loop BB3464_33 Depth 2
	s_max_u32 s44, s43, 1
.LBB3464_33:                            ;   Parent Loop BB3464_32 Depth=1
                                        ; =>  This Inner Loop Header: Depth=2
	s_add_i32 s44, s44, -1
	s_cmp_eq_u32 s44, 0
	s_sleep 1
	s_cbranch_scc0 .LBB3464_33
; %bb.34:                               ;   in Loop: Header=BB3464_32 Depth=1
	global_load_dwordx2 v[30:31], v[28:29], off sc1
	s_cmp_lt_u32 s43, 32
	s_cselect_b64 s[44:45], -1, 0
	s_cmp_lg_u64 s[44:45], 0
	s_addc_u32 s43, s43, 0
	s_waitcnt vmcnt(0)
	v_cmp_ne_u16_sdwa s[44:45], v31, v25 src0_sel:BYTE_0 src1_sel:DWORD
	s_or_b64 s[40:41], s[44:45], s[40:41]
	s_andn2_b64 exec, exec, s[40:41]
	s_cbranch_execnz .LBB3464_32
; %bb.35:
	s_or_b64 exec, exec, s[40:41]
.LBB3464_36:
	s_or_b64 exec, exec, s[38:39]
	v_and_b32_e32 v42, 63, v36
	v_mov_b32_e32 v41, 2
	v_cmp_ne_u32_e32 vcc, 63, v42
	v_cmp_eq_u16_sdwa s[38:39], v31, v41 src0_sel:BYTE_0 src1_sel:DWORD
	v_lshlrev_b64 v[28:29], v36, -1
	v_addc_co_u32_e32 v32, vcc, 0, v36, vcc
	v_and_b32_e32 v25, s39, v29
	v_lshlrev_b32_e32 v43, 2, v32
	v_or_b32_e32 v25, 0x80000000, v25
	ds_bpermute_b32 v32, v43, v30
	v_and_b32_e32 v27, s38, v28
	v_ffbl_b32_e32 v25, v25
	v_add_u32_e32 v25, 32, v25
	v_ffbl_b32_e32 v27, v27
	v_min_u32_e32 v25, v27, v25
	v_cmp_lt_u32_e32 vcc, v42, v25
	v_add_u32_e32 v45, 2, v42
	v_add_u32_e32 v47, 4, v42
	s_waitcnt lgkmcnt(0)
	v_cndmask_b32_e32 v27, 0, v32, vcc
	v_cmp_gt_u32_e32 vcc, 62, v42
	v_add_u32_e32 v27, v27, v30
	v_add_u32_e32 v49, 8, v42
	v_cndmask_b32_e64 v30, 0, 1, vcc
	v_lshlrev_b32_e32 v30, 1, v30
	v_add_lshl_u32 v44, v30, v36, 2
	ds_bpermute_b32 v30, v44, v27
	v_cmp_le_u32_e32 vcc, v45, v25
	v_add_u32_e32 v51, 16, v42
	v_add_u32_e32 v53, 32, v42
	s_waitcnt lgkmcnt(0)
	v_cndmask_b32_e32 v30, 0, v30, vcc
	v_cmp_gt_u32_e32 vcc, 60, v42
	v_add_u32_e32 v27, v27, v30
	s_nop 0
	v_cndmask_b32_e64 v30, 0, 1, vcc
	v_lshlrev_b32_e32 v30, 2, v30
	v_add_lshl_u32 v46, v30, v36, 2
	ds_bpermute_b32 v30, v46, v27
	v_cmp_le_u32_e32 vcc, v47, v25
	s_waitcnt lgkmcnt(0)
	s_nop 0
	v_cndmask_b32_e32 v30, 0, v30, vcc
	v_cmp_gt_u32_e32 vcc, 56, v42
	v_add_u32_e32 v27, v27, v30
	s_nop 0
	v_cndmask_b32_e64 v30, 0, 1, vcc
	v_lshlrev_b32_e32 v30, 3, v30
	v_add_lshl_u32 v48, v30, v36, 2
	ds_bpermute_b32 v30, v48, v27
	v_cmp_le_u32_e32 vcc, v49, v25
	s_waitcnt lgkmcnt(0)
	s_nop 0
	;; [unrolled: 11-line block ×4, first 2 shown]
	v_cndmask_b32_e32 v25, 0, v30, vcc
	v_add_u32_e32 v30, v27, v25
	v_mov_b32_e32 v27, 0
	s_branch .LBB3464_38
.LBB3464_37:                            ;   in Loop: Header=BB3464_38 Depth=1
	s_or_b64 exec, exec, s[38:39]
	v_cmp_eq_u16_sdwa s[38:39], v31, v41 src0_sel:BYTE_0 src1_sel:DWORD
	ds_bpermute_b32 v54, v43, v30
	v_subrev_u32_e32 v26, 64, v26
	v_and_b32_e32 v32, s39, v29
	v_or_b32_e32 v32, 0x80000000, v32
	v_and_b32_e32 v33, s38, v28
	v_ffbl_b32_e32 v32, v32
	v_add_u32_e32 v32, 32, v32
	v_ffbl_b32_e32 v33, v33
	v_min_u32_e32 v32, v33, v32
	v_cmp_lt_u32_e32 vcc, v42, v32
	s_waitcnt lgkmcnt(0)
	s_nop 0
	v_cndmask_b32_e32 v33, 0, v54, vcc
	v_add_u32_e32 v30, v33, v30
	ds_bpermute_b32 v33, v44, v30
	v_cmp_le_u32_e32 vcc, v45, v32
	s_waitcnt lgkmcnt(0)
	s_nop 0
	v_cndmask_b32_e32 v33, 0, v33, vcc
	v_add_u32_e32 v30, v30, v33
	ds_bpermute_b32 v33, v46, v30
	v_cmp_le_u32_e32 vcc, v47, v32
	;; [unrolled: 6-line block ×5, first 2 shown]
	s_waitcnt lgkmcnt(0)
	s_nop 0
	v_cndmask_b32_e32 v32, 0, v33, vcc
	v_add3_u32 v30, v32, v25, v30
.LBB3464_38:                            ; =>This Loop Header: Depth=1
                                        ;     Child Loop BB3464_41 Depth 2
                                        ;       Child Loop BB3464_42 Depth 3
	v_cmp_ne_u16_sdwa s[38:39], v31, v41 src0_sel:BYTE_0 src1_sel:DWORD
	s_nop 1
	v_cndmask_b32_e64 v25, 0, 1, s[38:39]
	;;#ASMSTART
	;;#ASMEND
	s_nop 0
	v_cmp_ne_u32_e32 vcc, 0, v25
	s_cmp_lg_u64 vcc, exec
	v_mov_b32_e32 v25, v30
	s_cbranch_scc1 .LBB3464_45
; %bb.39:                               ;   in Loop: Header=BB3464_38 Depth=1
	v_lshl_add_u64 v[32:33], v[26:27], 3, s[36:37]
	global_load_dwordx2 v[30:31], v[32:33], off sc1
	s_waitcnt vmcnt(0)
	v_cmp_eq_u16_sdwa s[40:41], v31, v27 src0_sel:BYTE_0 src1_sel:DWORD
	s_and_saveexec_b64 s[38:39], s[40:41]
	s_cbranch_execz .LBB3464_37
; %bb.40:                               ;   in Loop: Header=BB3464_38 Depth=1
	s_mov_b32 s43, 1
	s_mov_b64 s[40:41], 0
.LBB3464_41:                            ;   Parent Loop BB3464_38 Depth=1
                                        ; =>  This Loop Header: Depth=2
                                        ;       Child Loop BB3464_42 Depth 3
	s_max_u32 s44, s43, 1
.LBB3464_42:                            ;   Parent Loop BB3464_38 Depth=1
                                        ;     Parent Loop BB3464_41 Depth=2
                                        ; =>    This Inner Loop Header: Depth=3
	s_add_i32 s44, s44, -1
	s_cmp_eq_u32 s44, 0
	s_sleep 1
	s_cbranch_scc0 .LBB3464_42
; %bb.43:                               ;   in Loop: Header=BB3464_41 Depth=2
	global_load_dwordx2 v[30:31], v[32:33], off sc1
	s_cmp_lt_u32 s43, 32
	s_cselect_b64 s[44:45], -1, 0
	s_cmp_lg_u64 s[44:45], 0
	s_addc_u32 s43, s43, 0
	s_waitcnt vmcnt(0)
	v_cmp_ne_u16_sdwa s[44:45], v31, v27 src0_sel:BYTE_0 src1_sel:DWORD
	s_or_b64 s[40:41], s[44:45], s[40:41]
	s_andn2_b64 exec, exec, s[40:41]
	s_cbranch_execnz .LBB3464_41
; %bb.44:                               ;   in Loop: Header=BB3464_38 Depth=1
	s_or_b64 exec, exec, s[40:41]
	s_branch .LBB3464_37
.LBB3464_45:                            ;   in Loop: Header=BB3464_38 Depth=1
                                        ; implicit-def: $vgpr30
                                        ; implicit-def: $vgpr31
	s_cbranch_execz .LBB3464_38
; %bb.46:
	s_and_saveexec_b64 s[38:39], s[18:19]
	s_cbranch_execz .LBB3464_48
; %bb.47:
	s_add_i32 s40, s42, 64
	s_mov_b32 s41, 0
	s_lshl_b64 s[40:41], s[40:41], 3
	s_add_u32 s40, s36, s40
	v_add_u32_e32 v26, v25, v24
	v_mov_b32_e32 v27, 2
	s_addc_u32 s41, s37, s41
	v_mov_b32_e32 v28, 0
	global_store_dwordx2 v28, v[26:27], s[40:41] sc1
	ds_write_b64 v28, v[24:25] offset:25344
.LBB3464_48:
	s_or_b64 exec, exec, s[38:39]
	s_and_b64 exec, exec, s[20:21]
	s_cbranch_execz .LBB3464_50
; %bb.49:
	v_mov_b32_e32 v24, 0
	ds_write_b32 v24, v25 offset:20
.LBB3464_50:
	s_or_b64 exec, exec, s[0:1]
	v_mov_b32_e32 v24, 0
	s_waitcnt lgkmcnt(0)
	s_barrier
	ds_read_b32 v25, v24 offset:20
	v_cndmask_b32_e64 v26, v40, v39, s[18:19]
	v_cndmask_b32_e64 v26, v26, 0, s[20:21]
	s_waitcnt lgkmcnt(0)
	s_barrier
	v_add_u32_e32 v29, v25, v26
	ds_read_b64 v[24:25], v24 offset:25344
	v_add_u32_sdwa v28, v29, v23 dst_sel:DWORD dst_unused:UNUSED_PAD src0_sel:DWORD src1_sel:BYTE_0
	v_add_u32_e32 v27, v28, v34
	v_add_u32_e32 v26, v27, v35
	s_waitcnt lgkmcnt(0)
	v_mov_b32_e32 v32, v25
	s_branch .LBB3464_61
.LBB3464_51:
                                        ; implicit-def: $vgpr32
                                        ; implicit-def: $vgpr24
                                        ; implicit-def: $vgpr26
                                        ; implicit-def: $vgpr27
                                        ; implicit-def: $vgpr28
                                        ; implicit-def: $vgpr29
	s_cbranch_execz .LBB3464_61
; %bb.52:
	s_nop 0
	v_mov_b32_dpp v24, v38 row_shr:1 row_mask:0xf bank_mask:0xf
	v_cndmask_b32_e64 v24, v24, 0, s[16:17]
	v_add_u32_e32 v24, v24, v38
	s_nop 1
	v_mov_b32_dpp v25, v24 row_shr:2 row_mask:0xf bank_mask:0xf
	v_cndmask_b32_e64 v25, 0, v25, s[14:15]
	v_add_u32_e32 v24, v24, v25
	;; [unrolled: 4-line block ×4, first 2 shown]
	s_nop 1
	v_mov_b32_dpp v25, v24 row_bcast:15 row_mask:0xf bank_mask:0xf
	v_cndmask_b32_e64 v25, v25, 0, s[6:7]
	v_add_u32_e32 v24, v24, v25
	s_nop 1
	v_mov_b32_dpp v25, v24 row_bcast:31 row_mask:0xf bank_mask:0xf
	v_cndmask_b32_e64 v25, 0, v25, s[4:5]
	v_add_u32_e32 v24, v24, v25
	s_and_saveexec_b64 s[0:1], s[8:9]
	s_cbranch_execz .LBB3464_54
; %bb.53:
	v_lshlrev_b32_e32 v25, 2, v37
	ds_write_b32 v25, v24
.LBB3464_54:
	s_or_b64 exec, exec, s[0:1]
	v_cmp_gt_u32_e32 vcc, 6, v0
	s_waitcnt lgkmcnt(0)
	s_barrier
	s_and_saveexec_b64 s[0:1], vcc
	s_cbranch_execz .LBB3464_56
; %bb.55:
	ds_read_b32 v25, v1
	v_and_b32_e32 v26, 7, v36
	v_cmp_ne_u32_e32 vcc, 0, v26
	s_waitcnt lgkmcnt(0)
	v_mov_b32_dpp v27, v25 row_shr:1 row_mask:0xf bank_mask:0xf
	v_cndmask_b32_e32 v27, 0, v27, vcc
	v_add_u32_e32 v25, v27, v25
	v_cmp_lt_u32_e32 vcc, 1, v26
	s_nop 0
	v_mov_b32_dpp v27, v25 row_shr:2 row_mask:0xf bank_mask:0xf
	v_cndmask_b32_e32 v27, 0, v27, vcc
	v_add_u32_e32 v25, v25, v27
	v_cmp_lt_u32_e32 vcc, 3, v26
	s_nop 0
	v_mov_b32_dpp v27, v25 row_shr:4 row_mask:0xf bank_mask:0xf
	v_cndmask_b32_e32 v26, 0, v27, vcc
	v_add_u32_e32 v25, v25, v26
	ds_write_b32 v1, v25
.LBB3464_56:
	s_or_b64 exec, exec, s[0:1]
	v_cmp_lt_u32_e32 vcc, 63, v0
	v_mov_b32_e32 v25, 0
	v_mov_b32_e32 v26, 0
	s_waitcnt lgkmcnt(0)
	s_barrier
	s_and_saveexec_b64 s[0:1], vcc
	s_cbranch_execz .LBB3464_58
; %bb.57:
	v_lshl_add_u32 v26, v37, 2, -4
	ds_read_b32 v26, v26
.LBB3464_58:
	s_or_b64 exec, exec, s[0:1]
	v_add_u32_e32 v27, -1, v36
	v_and_b32_e32 v28, 64, v36
	v_cmp_lt_i32_e32 vcc, v27, v28
	s_waitcnt lgkmcnt(0)
	v_add_u32_e32 v24, v26, v24
	v_cndmask_b32_e32 v27, v27, v36, vcc
	v_lshlrev_b32_e32 v27, 2, v27
	ds_bpermute_b32 v27, v27, v24
	ds_read_b32 v24, v25 offset:20
	s_and_saveexec_b64 s[0:1], s[20:21]
	s_cbranch_execz .LBB3464_60
; %bb.59:
	v_mov_b32_e32 v28, 0
	v_mov_b32_e32 v25, 2
	s_waitcnt lgkmcnt(0)
	global_store_dwordx2 v28, v[24:25], s[36:37] offset:512 sc1
.LBB3464_60:
	s_or_b64 exec, exec, s[0:1]
	v_cmp_eq_u32_e32 vcc, 0, v36
	v_mov_b32_e32 v32, 0
	s_waitcnt lgkmcnt(0)
	v_cndmask_b32_e32 v25, v27, v26, vcc
	v_cndmask_b32_e64 v29, v25, 0, s[20:21]
	v_add_u32_sdwa v28, v29, v23 dst_sel:DWORD dst_unused:UNUSED_PAD src0_sel:DWORD src1_sel:BYTE_0
	v_add_u32_e32 v27, v28, v34
	v_add_u32_e32 v26, v27, v35
	s_barrier
.LBB3464_61:
	v_add_u32_e32 v1, v24, v1
	v_sub_u32_e32 v29, v29, v32
	v_and_b32_e32 v31, 1, v23
	v_sub_u32_e32 v30, v1, v29
	v_cmp_eq_u32_e32 vcc, 1, v31
	v_lshrrev_b32_e32 v25, 8, v23
	v_lshl_add_u64 v[18:19], s[30:31], 0, v[18:19]
	v_cndmask_b32_e32 v29, v30, v29, vcc
	v_lshlrev_b32_e32 v29, 4, v29
	ds_write_b128 v29, v[14:17]
	v_sub_u32_e32 v14, v28, v32
	v_sub_u32_e32 v15, v1, v14
	v_and_b32_e32 v16, 1, v25
	v_add_u32_e32 v15, 1, v15
	v_cmp_eq_u32_e32 vcc, 1, v16
	v_add_u32_e32 v30, 0x180, v0
	v_add_u32_e32 v28, 0x300, v0
	v_cndmask_b32_e32 v14, v15, v14, vcc
	v_lshlrev_b32_e32 v14, 4, v14
	ds_write_b128 v14, v[10:13]
	v_sub_u32_e32 v10, v27, v32
	v_mov_b32_e32 v12, 1
	v_sub_u32_e32 v11, v1, v10
	v_and_b32_sdwa v12, v12, v23 dst_sel:DWORD dst_unused:UNUSED_PAD src0_sel:DWORD src1_sel:WORD_1
	v_add_u32_e32 v11, 2, v11
	v_cmp_eq_u32_e32 vcc, 1, v12
	s_nop 1
	v_cndmask_b32_e32 v10, v11, v10, vcc
	v_lshlrev_b32_e32 v10, 4, v10
	ds_write_b128 v10, v[6:9]
	v_sub_u32_e32 v6, v26, v32
	v_sub_u32_e32 v1, v1, v6
	v_add_u32_e32 v1, 3, v1
	v_cndmask_b32_e64 v1, v1, v6, s[28:29]
	v_lshlrev_b32_e32 v1, 4, v1
	ds_write_b128 v1, v[2:5]
	s_waitcnt lgkmcnt(0)
	s_barrier
	ds_read_b128 v[14:17], v22
	ds_read_b128 v[10:13], v22 offset:6144
	ds_read_b128 v[6:9], v22 offset:12288
	;; [unrolled: 1-line block ×3, first 2 shown]
	v_mov_b32_e32 v1, 0
	v_mov_b32_e32 v22, s35
	v_sub_co_u32_e32 v18, vcc, s34, v18
	v_mov_b32_e32 v33, v1
	v_mov_b32_e32 v25, v1
	v_subb_co_u32_e32 v19, vcc, v22, v19, vcc
	s_waitcnt vmcnt(0)
	v_lshl_add_u64 v[20:21], v[20:21], 0, v[32:33]
	v_lshl_add_u64 v[18:19], v[18:19], 0, v[24:25]
	v_mov_b32_e32 v31, v1
	v_mov_b32_e32 v29, v1
	v_add_u32_e32 v26, 0x480, v0
	v_mov_b32_e32 v27, v1
	s_and_b64 vcc, exec, s[2:3]
	v_lshl_add_u64 v[18:19], v[18:19], 0, v[20:21]
	s_cbranch_vccnz .LBB3464_82
; %bb.62:
	v_cmp_ge_u32_e32 vcc, v0, v24
                                        ; implicit-def: $vgpr22_vgpr23
	s_and_saveexec_b64 s[0:1], vcc
	s_xor_b64 s[0:1], exec, s[0:1]
; %bb.63:
	v_not_b32_e32 v22, v0
	v_ashrrev_i32_e32 v23, 31, v22
	v_lshl_add_u64 v[22:23], v[18:19], 0, v[22:23]
; %bb.64:
	s_andn2_saveexec_b64 s[0:1], s[0:1]
; %bb.65:
	v_lshl_add_u64 v[22:23], v[20:21], 0, v[0:1]
; %bb.66:
	s_or_b64 exec, exec, s[0:1]
	v_lshl_add_u64 v[22:23], v[22:23], 4, s[22:23]
	v_cmp_ge_u32_e32 vcc, v30, v24
	s_waitcnt lgkmcnt(3)
	global_store_dwordx4 v[22:23], v[14:17], off
                                        ; implicit-def: $vgpr22_vgpr23
	s_and_saveexec_b64 s[0:1], vcc
	s_xor_b64 s[0:1], exec, s[0:1]
; %bb.67:
	v_sub_u32_e32 v22, 0xfffffe7f, v0
	v_ashrrev_i32_e32 v23, 31, v22
	v_lshl_add_u64 v[22:23], v[18:19], 0, v[22:23]
; %bb.68:
	s_andn2_saveexec_b64 s[0:1], s[0:1]
; %bb.69:
	v_lshl_add_u64 v[22:23], v[20:21], 0, v[30:31]
; %bb.70:
	s_or_b64 exec, exec, s[0:1]
	v_lshl_add_u64 v[22:23], v[22:23], 4, s[22:23]
	v_cmp_ge_u32_e32 vcc, v28, v24
	s_waitcnt lgkmcnt(2)
	global_store_dwordx4 v[22:23], v[10:13], off
                                        ; implicit-def: $vgpr22_vgpr23
	s_and_saveexec_b64 s[0:1], vcc
	s_xor_b64 s[0:1], exec, s[0:1]
; %bb.71:
	v_sub_u32_e32 v22, 0xfffffcff, v0
	;; [unrolled: 17-line block ×3, first 2 shown]
	v_ashrrev_i32_e32 v23, 31, v22
	v_lshl_add_u64 v[22:23], v[18:19], 0, v[22:23]
; %bb.76:
	s_andn2_saveexec_b64 s[0:1], s[0:1]
; %bb.77:
	v_lshl_add_u64 v[22:23], v[20:21], 0, v[26:27]
; %bb.78:
	s_or_b64 exec, exec, s[0:1]
	s_mov_b64 s[0:1], -1
.LBB3464_79:
	s_and_saveexec_b64 s[2:3], s[0:1]
	s_cbranch_execz .LBB3464_92
.LBB3464_80:
	v_lshl_add_u64 v[0:1], v[22:23], 4, s[22:23]
	s_waitcnt lgkmcnt(0)
	global_store_dwordx4 v[0:1], v[2:5], off
	s_or_b64 exec, exec, s[2:3]
	s_and_b64 s[0:1], s[20:21], s[26:27]
	s_and_saveexec_b64 s[2:3], s[0:1]
	s_cbranch_execnz .LBB3464_93
.LBB3464_81:
	s_endpgm
.LBB3464_82:
	s_mov_b64 s[0:1], 0
                                        ; implicit-def: $vgpr22_vgpr23
	s_cbranch_execz .LBB3464_79
; %bb.83:
	v_cmp_gt_u32_e32 vcc, s33, v0
	s_and_saveexec_b64 s[2:3], vcc
	s_cbranch_execz .LBB3464_94
; %bb.84:
	v_cmp_ge_u32_e32 vcc, v0, v24
                                        ; implicit-def: $vgpr22_vgpr23
	s_and_saveexec_b64 s[4:5], vcc
	s_xor_b64 s[4:5], exec, s[4:5]
; %bb.85:
	v_not_b32_e32 v22, v0
	v_ashrrev_i32_e32 v23, 31, v22
	v_lshl_add_u64 v[22:23], v[18:19], 0, v[22:23]
; %bb.86:
	s_andn2_saveexec_b64 s[4:5], s[4:5]
; %bb.87:
	v_lshl_add_u64 v[22:23], v[20:21], 0, v[0:1]
; %bb.88:
	s_or_b64 exec, exec, s[4:5]
	v_lshl_add_u64 v[22:23], v[22:23], 4, s[22:23]
	s_waitcnt lgkmcnt(3)
	global_store_dwordx4 v[22:23], v[14:17], off
	s_or_b64 exec, exec, s[2:3]
	v_cmp_gt_u32_e32 vcc, s33, v30
	s_and_saveexec_b64 s[2:3], vcc
	s_cbranch_execnz .LBB3464_95
.LBB3464_89:
	s_or_b64 exec, exec, s[2:3]
	v_cmp_gt_u32_e32 vcc, s33, v28
	s_and_saveexec_b64 s[2:3], vcc
	s_cbranch_execnz .LBB3464_100
.LBB3464_90:
	s_or_b64 exec, exec, s[2:3]
	v_cmp_gt_u32_e32 vcc, s33, v26
                                        ; implicit-def: $vgpr22_vgpr23
	s_and_saveexec_b64 s[2:3], vcc
	s_cbranch_execnz .LBB3464_105
.LBB3464_91:
	s_or_b64 exec, exec, s[2:3]
	s_and_saveexec_b64 s[2:3], s[0:1]
	s_cbranch_execnz .LBB3464_80
.LBB3464_92:
	s_or_b64 exec, exec, s[2:3]
	s_and_b64 s[0:1], s[20:21], s[26:27]
	s_and_saveexec_b64 s[2:3], s[0:1]
	s_cbranch_execz .LBB3464_81
.LBB3464_93:
	s_waitcnt lgkmcnt(0)
	v_mov_b32_e32 v2, 0
	v_lshl_add_u64 v[0:1], v[20:21], 0, v[24:25]
	global_store_dwordx2 v2, v[0:1], s[24:25]
	s_endpgm
.LBB3464_94:
	s_or_b64 exec, exec, s[2:3]
	v_cmp_gt_u32_e32 vcc, s33, v30
	s_and_saveexec_b64 s[2:3], vcc
	s_cbranch_execz .LBB3464_89
.LBB3464_95:
	v_cmp_ge_u32_e32 vcc, v30, v24
                                        ; implicit-def: $vgpr14_vgpr15
	s_and_saveexec_b64 s[4:5], vcc
	s_xor_b64 s[4:5], exec, s[4:5]
	s_cbranch_execz .LBB3464_97
; %bb.96:
	s_waitcnt lgkmcnt(3)
	v_sub_u32_e32 v14, 0xfffffe7f, v0
	v_ashrrev_i32_e32 v15, 31, v14
	v_lshl_add_u64 v[14:15], v[18:19], 0, v[14:15]
                                        ; implicit-def: $vgpr30_vgpr31
.LBB3464_97:
	s_andn2_saveexec_b64 s[4:5], s[4:5]
	s_cbranch_execz .LBB3464_99
; %bb.98:
	s_waitcnt lgkmcnt(3)
	v_lshl_add_u64 v[14:15], v[20:21], 0, v[30:31]
.LBB3464_99:
	s_or_b64 exec, exec, s[4:5]
	s_waitcnt lgkmcnt(3)
	v_lshl_add_u64 v[14:15], v[14:15], 4, s[22:23]
	s_waitcnt lgkmcnt(2)
	global_store_dwordx4 v[14:15], v[10:13], off
	s_or_b64 exec, exec, s[2:3]
	v_cmp_gt_u32_e32 vcc, s33, v28
	s_and_saveexec_b64 s[2:3], vcc
	s_cbranch_execz .LBB3464_90
.LBB3464_100:
	v_cmp_ge_u32_e32 vcc, v28, v24
                                        ; implicit-def: $vgpr10_vgpr11
	s_and_saveexec_b64 s[4:5], vcc
	s_xor_b64 s[4:5], exec, s[4:5]
	s_cbranch_execz .LBB3464_102
; %bb.101:
	s_waitcnt lgkmcnt(2)
	v_sub_u32_e32 v10, 0xfffffcff, v0
	v_ashrrev_i32_e32 v11, 31, v10
	v_lshl_add_u64 v[10:11], v[18:19], 0, v[10:11]
                                        ; implicit-def: $vgpr28_vgpr29
.LBB3464_102:
	s_andn2_saveexec_b64 s[4:5], s[4:5]
	s_cbranch_execz .LBB3464_104
; %bb.103:
	s_waitcnt lgkmcnt(2)
	v_lshl_add_u64 v[10:11], v[20:21], 0, v[28:29]
.LBB3464_104:
	s_or_b64 exec, exec, s[4:5]
	s_waitcnt lgkmcnt(2)
	v_lshl_add_u64 v[10:11], v[10:11], 4, s[22:23]
	s_waitcnt lgkmcnt(1)
	global_store_dwordx4 v[10:11], v[6:9], off
	s_or_b64 exec, exec, s[2:3]
	v_cmp_gt_u32_e32 vcc, s33, v26
                                        ; implicit-def: $vgpr22_vgpr23
	s_and_saveexec_b64 s[2:3], vcc
	s_cbranch_execz .LBB3464_91
.LBB3464_105:
	v_cmp_ge_u32_e32 vcc, v26, v24
                                        ; implicit-def: $vgpr22_vgpr23
	s_and_saveexec_b64 s[4:5], vcc
	s_xor_b64 s[4:5], exec, s[4:5]
; %bb.106:
	v_sub_u32_e32 v0, 0xfffffb7f, v0
	v_ashrrev_i32_e32 v1, 31, v0
	v_lshl_add_u64 v[22:23], v[18:19], 0, v[0:1]
                                        ; implicit-def: $vgpr26_vgpr27
; %bb.107:
	s_andn2_saveexec_b64 s[4:5], s[4:5]
; %bb.108:
	v_lshl_add_u64 v[22:23], v[20:21], 0, v[26:27]
; %bb.109:
	s_or_b64 exec, exec, s[4:5]
	s_or_b64 s[0:1], s[0:1], exec
	s_or_b64 exec, exec, s[2:3]
	s_and_saveexec_b64 s[2:3], s[0:1]
	s_cbranch_execnz .LBB3464_80
	s_branch .LBB3464_92
	.section	.rodata,"a",@progbits
	.p2align	6, 0x0
	.amdhsa_kernel _ZN7rocprim17ROCPRIM_400000_NS6detail17trampoline_kernelINS0_14default_configENS1_25partition_config_selectorILNS1_17partition_subalgoE3EN6thrust23THRUST_200600_302600_NS5tupleIxxNS7_9null_typeES9_S9_S9_S9_S9_S9_S9_EENS0_10empty_typeEbEEZZNS1_14partition_implILS5_3ELb0ES3_jNS7_6detail15normal_iteratorINS7_7pointerISA_NS7_11hip_rocprim3tagENS7_11use_defaultESJ_EEEEPSB_SM_NS0_5tupleIJPSA_SM_EEENSN_IJSM_SM_EEESB_PlJ10is_orderedEEE10hipError_tPvRmT3_T4_T5_T6_T7_T9_mT8_P12ihipStream_tbDpT10_ENKUlT_T0_E_clISt17integral_constantIbLb1EES1C_EEDaS17_S18_EUlS17_E_NS1_11comp_targetILNS1_3genE5ELNS1_11target_archE942ELNS1_3gpuE9ELNS1_3repE0EEENS1_30default_config_static_selectorELNS0_4arch9wavefront6targetE1EEEvT1_
		.amdhsa_group_segment_fixed_size 25352
		.amdhsa_private_segment_fixed_size 0
		.amdhsa_kernarg_size 136
		.amdhsa_user_sgpr_count 2
		.amdhsa_user_sgpr_dispatch_ptr 0
		.amdhsa_user_sgpr_queue_ptr 0
		.amdhsa_user_sgpr_kernarg_segment_ptr 1
		.amdhsa_user_sgpr_dispatch_id 0
		.amdhsa_user_sgpr_kernarg_preload_length 0
		.amdhsa_user_sgpr_kernarg_preload_offset 0
		.amdhsa_user_sgpr_private_segment_size 0
		.amdhsa_uses_dynamic_stack 0
		.amdhsa_enable_private_segment 0
		.amdhsa_system_sgpr_workgroup_id_x 1
		.amdhsa_system_sgpr_workgroup_id_y 0
		.amdhsa_system_sgpr_workgroup_id_z 0
		.amdhsa_system_sgpr_workgroup_info 0
		.amdhsa_system_vgpr_workitem_id 0
		.amdhsa_next_free_vgpr 55
		.amdhsa_next_free_sgpr 46
		.amdhsa_accum_offset 56
		.amdhsa_reserve_vcc 1
		.amdhsa_float_round_mode_32 0
		.amdhsa_float_round_mode_16_64 0
		.amdhsa_float_denorm_mode_32 3
		.amdhsa_float_denorm_mode_16_64 3
		.amdhsa_dx10_clamp 1
		.amdhsa_ieee_mode 1
		.amdhsa_fp16_overflow 0
		.amdhsa_tg_split 0
		.amdhsa_exception_fp_ieee_invalid_op 0
		.amdhsa_exception_fp_denorm_src 0
		.amdhsa_exception_fp_ieee_div_zero 0
		.amdhsa_exception_fp_ieee_overflow 0
		.amdhsa_exception_fp_ieee_underflow 0
		.amdhsa_exception_fp_ieee_inexact 0
		.amdhsa_exception_int_div_zero 0
	.end_amdhsa_kernel
	.section	.text._ZN7rocprim17ROCPRIM_400000_NS6detail17trampoline_kernelINS0_14default_configENS1_25partition_config_selectorILNS1_17partition_subalgoE3EN6thrust23THRUST_200600_302600_NS5tupleIxxNS7_9null_typeES9_S9_S9_S9_S9_S9_S9_EENS0_10empty_typeEbEEZZNS1_14partition_implILS5_3ELb0ES3_jNS7_6detail15normal_iteratorINS7_7pointerISA_NS7_11hip_rocprim3tagENS7_11use_defaultESJ_EEEEPSB_SM_NS0_5tupleIJPSA_SM_EEENSN_IJSM_SM_EEESB_PlJ10is_orderedEEE10hipError_tPvRmT3_T4_T5_T6_T7_T9_mT8_P12ihipStream_tbDpT10_ENKUlT_T0_E_clISt17integral_constantIbLb1EES1C_EEDaS17_S18_EUlS17_E_NS1_11comp_targetILNS1_3genE5ELNS1_11target_archE942ELNS1_3gpuE9ELNS1_3repE0EEENS1_30default_config_static_selectorELNS0_4arch9wavefront6targetE1EEEvT1_,"axG",@progbits,_ZN7rocprim17ROCPRIM_400000_NS6detail17trampoline_kernelINS0_14default_configENS1_25partition_config_selectorILNS1_17partition_subalgoE3EN6thrust23THRUST_200600_302600_NS5tupleIxxNS7_9null_typeES9_S9_S9_S9_S9_S9_S9_EENS0_10empty_typeEbEEZZNS1_14partition_implILS5_3ELb0ES3_jNS7_6detail15normal_iteratorINS7_7pointerISA_NS7_11hip_rocprim3tagENS7_11use_defaultESJ_EEEEPSB_SM_NS0_5tupleIJPSA_SM_EEENSN_IJSM_SM_EEESB_PlJ10is_orderedEEE10hipError_tPvRmT3_T4_T5_T6_T7_T9_mT8_P12ihipStream_tbDpT10_ENKUlT_T0_E_clISt17integral_constantIbLb1EES1C_EEDaS17_S18_EUlS17_E_NS1_11comp_targetILNS1_3genE5ELNS1_11target_archE942ELNS1_3gpuE9ELNS1_3repE0EEENS1_30default_config_static_selectorELNS0_4arch9wavefront6targetE1EEEvT1_,comdat
.Lfunc_end3464:
	.size	_ZN7rocprim17ROCPRIM_400000_NS6detail17trampoline_kernelINS0_14default_configENS1_25partition_config_selectorILNS1_17partition_subalgoE3EN6thrust23THRUST_200600_302600_NS5tupleIxxNS7_9null_typeES9_S9_S9_S9_S9_S9_S9_EENS0_10empty_typeEbEEZZNS1_14partition_implILS5_3ELb0ES3_jNS7_6detail15normal_iteratorINS7_7pointerISA_NS7_11hip_rocprim3tagENS7_11use_defaultESJ_EEEEPSB_SM_NS0_5tupleIJPSA_SM_EEENSN_IJSM_SM_EEESB_PlJ10is_orderedEEE10hipError_tPvRmT3_T4_T5_T6_T7_T9_mT8_P12ihipStream_tbDpT10_ENKUlT_T0_E_clISt17integral_constantIbLb1EES1C_EEDaS17_S18_EUlS17_E_NS1_11comp_targetILNS1_3genE5ELNS1_11target_archE942ELNS1_3gpuE9ELNS1_3repE0EEENS1_30default_config_static_selectorELNS0_4arch9wavefront6targetE1EEEvT1_, .Lfunc_end3464-_ZN7rocprim17ROCPRIM_400000_NS6detail17trampoline_kernelINS0_14default_configENS1_25partition_config_selectorILNS1_17partition_subalgoE3EN6thrust23THRUST_200600_302600_NS5tupleIxxNS7_9null_typeES9_S9_S9_S9_S9_S9_S9_EENS0_10empty_typeEbEEZZNS1_14partition_implILS5_3ELb0ES3_jNS7_6detail15normal_iteratorINS7_7pointerISA_NS7_11hip_rocprim3tagENS7_11use_defaultESJ_EEEEPSB_SM_NS0_5tupleIJPSA_SM_EEENSN_IJSM_SM_EEESB_PlJ10is_orderedEEE10hipError_tPvRmT3_T4_T5_T6_T7_T9_mT8_P12ihipStream_tbDpT10_ENKUlT_T0_E_clISt17integral_constantIbLb1EES1C_EEDaS17_S18_EUlS17_E_NS1_11comp_targetILNS1_3genE5ELNS1_11target_archE942ELNS1_3gpuE9ELNS1_3repE0EEENS1_30default_config_static_selectorELNS0_4arch9wavefront6targetE1EEEvT1_
                                        ; -- End function
	.section	.AMDGPU.csdata,"",@progbits
; Kernel info:
; codeLenInByte = 4412
; NumSgprs: 52
; NumVgprs: 55
; NumAgprs: 0
; TotalNumVgprs: 55
; ScratchSize: 0
; MemoryBound: 1
; FloatMode: 240
; IeeeMode: 1
; LDSByteSize: 25352 bytes/workgroup (compile time only)
; SGPRBlocks: 6
; VGPRBlocks: 6
; NumSGPRsForWavesPerEU: 52
; NumVGPRsForWavesPerEU: 55
; AccumOffset: 56
; Occupancy: 3
; WaveLimiterHint : 1
; COMPUTE_PGM_RSRC2:SCRATCH_EN: 0
; COMPUTE_PGM_RSRC2:USER_SGPR: 2
; COMPUTE_PGM_RSRC2:TRAP_HANDLER: 0
; COMPUTE_PGM_RSRC2:TGID_X_EN: 1
; COMPUTE_PGM_RSRC2:TGID_Y_EN: 0
; COMPUTE_PGM_RSRC2:TGID_Z_EN: 0
; COMPUTE_PGM_RSRC2:TIDIG_COMP_CNT: 0
; COMPUTE_PGM_RSRC3_GFX90A:ACCUM_OFFSET: 13
; COMPUTE_PGM_RSRC3_GFX90A:TG_SPLIT: 0
	.section	.text._ZN7rocprim17ROCPRIM_400000_NS6detail17trampoline_kernelINS0_14default_configENS1_25partition_config_selectorILNS1_17partition_subalgoE3EN6thrust23THRUST_200600_302600_NS5tupleIxxNS7_9null_typeES9_S9_S9_S9_S9_S9_S9_EENS0_10empty_typeEbEEZZNS1_14partition_implILS5_3ELb0ES3_jNS7_6detail15normal_iteratorINS7_7pointerISA_NS7_11hip_rocprim3tagENS7_11use_defaultESJ_EEEEPSB_SM_NS0_5tupleIJPSA_SM_EEENSN_IJSM_SM_EEESB_PlJ10is_orderedEEE10hipError_tPvRmT3_T4_T5_T6_T7_T9_mT8_P12ihipStream_tbDpT10_ENKUlT_T0_E_clISt17integral_constantIbLb1EES1C_EEDaS17_S18_EUlS17_E_NS1_11comp_targetILNS1_3genE4ELNS1_11target_archE910ELNS1_3gpuE8ELNS1_3repE0EEENS1_30default_config_static_selectorELNS0_4arch9wavefront6targetE1EEEvT1_,"axG",@progbits,_ZN7rocprim17ROCPRIM_400000_NS6detail17trampoline_kernelINS0_14default_configENS1_25partition_config_selectorILNS1_17partition_subalgoE3EN6thrust23THRUST_200600_302600_NS5tupleIxxNS7_9null_typeES9_S9_S9_S9_S9_S9_S9_EENS0_10empty_typeEbEEZZNS1_14partition_implILS5_3ELb0ES3_jNS7_6detail15normal_iteratorINS7_7pointerISA_NS7_11hip_rocprim3tagENS7_11use_defaultESJ_EEEEPSB_SM_NS0_5tupleIJPSA_SM_EEENSN_IJSM_SM_EEESB_PlJ10is_orderedEEE10hipError_tPvRmT3_T4_T5_T6_T7_T9_mT8_P12ihipStream_tbDpT10_ENKUlT_T0_E_clISt17integral_constantIbLb1EES1C_EEDaS17_S18_EUlS17_E_NS1_11comp_targetILNS1_3genE4ELNS1_11target_archE910ELNS1_3gpuE8ELNS1_3repE0EEENS1_30default_config_static_selectorELNS0_4arch9wavefront6targetE1EEEvT1_,comdat
	.protected	_ZN7rocprim17ROCPRIM_400000_NS6detail17trampoline_kernelINS0_14default_configENS1_25partition_config_selectorILNS1_17partition_subalgoE3EN6thrust23THRUST_200600_302600_NS5tupleIxxNS7_9null_typeES9_S9_S9_S9_S9_S9_S9_EENS0_10empty_typeEbEEZZNS1_14partition_implILS5_3ELb0ES3_jNS7_6detail15normal_iteratorINS7_7pointerISA_NS7_11hip_rocprim3tagENS7_11use_defaultESJ_EEEEPSB_SM_NS0_5tupleIJPSA_SM_EEENSN_IJSM_SM_EEESB_PlJ10is_orderedEEE10hipError_tPvRmT3_T4_T5_T6_T7_T9_mT8_P12ihipStream_tbDpT10_ENKUlT_T0_E_clISt17integral_constantIbLb1EES1C_EEDaS17_S18_EUlS17_E_NS1_11comp_targetILNS1_3genE4ELNS1_11target_archE910ELNS1_3gpuE8ELNS1_3repE0EEENS1_30default_config_static_selectorELNS0_4arch9wavefront6targetE1EEEvT1_ ; -- Begin function _ZN7rocprim17ROCPRIM_400000_NS6detail17trampoline_kernelINS0_14default_configENS1_25partition_config_selectorILNS1_17partition_subalgoE3EN6thrust23THRUST_200600_302600_NS5tupleIxxNS7_9null_typeES9_S9_S9_S9_S9_S9_S9_EENS0_10empty_typeEbEEZZNS1_14partition_implILS5_3ELb0ES3_jNS7_6detail15normal_iteratorINS7_7pointerISA_NS7_11hip_rocprim3tagENS7_11use_defaultESJ_EEEEPSB_SM_NS0_5tupleIJPSA_SM_EEENSN_IJSM_SM_EEESB_PlJ10is_orderedEEE10hipError_tPvRmT3_T4_T5_T6_T7_T9_mT8_P12ihipStream_tbDpT10_ENKUlT_T0_E_clISt17integral_constantIbLb1EES1C_EEDaS17_S18_EUlS17_E_NS1_11comp_targetILNS1_3genE4ELNS1_11target_archE910ELNS1_3gpuE8ELNS1_3repE0EEENS1_30default_config_static_selectorELNS0_4arch9wavefront6targetE1EEEvT1_
	.globl	_ZN7rocprim17ROCPRIM_400000_NS6detail17trampoline_kernelINS0_14default_configENS1_25partition_config_selectorILNS1_17partition_subalgoE3EN6thrust23THRUST_200600_302600_NS5tupleIxxNS7_9null_typeES9_S9_S9_S9_S9_S9_S9_EENS0_10empty_typeEbEEZZNS1_14partition_implILS5_3ELb0ES3_jNS7_6detail15normal_iteratorINS7_7pointerISA_NS7_11hip_rocprim3tagENS7_11use_defaultESJ_EEEEPSB_SM_NS0_5tupleIJPSA_SM_EEENSN_IJSM_SM_EEESB_PlJ10is_orderedEEE10hipError_tPvRmT3_T4_T5_T6_T7_T9_mT8_P12ihipStream_tbDpT10_ENKUlT_T0_E_clISt17integral_constantIbLb1EES1C_EEDaS17_S18_EUlS17_E_NS1_11comp_targetILNS1_3genE4ELNS1_11target_archE910ELNS1_3gpuE8ELNS1_3repE0EEENS1_30default_config_static_selectorELNS0_4arch9wavefront6targetE1EEEvT1_
	.p2align	8
	.type	_ZN7rocprim17ROCPRIM_400000_NS6detail17trampoline_kernelINS0_14default_configENS1_25partition_config_selectorILNS1_17partition_subalgoE3EN6thrust23THRUST_200600_302600_NS5tupleIxxNS7_9null_typeES9_S9_S9_S9_S9_S9_S9_EENS0_10empty_typeEbEEZZNS1_14partition_implILS5_3ELb0ES3_jNS7_6detail15normal_iteratorINS7_7pointerISA_NS7_11hip_rocprim3tagENS7_11use_defaultESJ_EEEEPSB_SM_NS0_5tupleIJPSA_SM_EEENSN_IJSM_SM_EEESB_PlJ10is_orderedEEE10hipError_tPvRmT3_T4_T5_T6_T7_T9_mT8_P12ihipStream_tbDpT10_ENKUlT_T0_E_clISt17integral_constantIbLb1EES1C_EEDaS17_S18_EUlS17_E_NS1_11comp_targetILNS1_3genE4ELNS1_11target_archE910ELNS1_3gpuE8ELNS1_3repE0EEENS1_30default_config_static_selectorELNS0_4arch9wavefront6targetE1EEEvT1_,@function
_ZN7rocprim17ROCPRIM_400000_NS6detail17trampoline_kernelINS0_14default_configENS1_25partition_config_selectorILNS1_17partition_subalgoE3EN6thrust23THRUST_200600_302600_NS5tupleIxxNS7_9null_typeES9_S9_S9_S9_S9_S9_S9_EENS0_10empty_typeEbEEZZNS1_14partition_implILS5_3ELb0ES3_jNS7_6detail15normal_iteratorINS7_7pointerISA_NS7_11hip_rocprim3tagENS7_11use_defaultESJ_EEEEPSB_SM_NS0_5tupleIJPSA_SM_EEENSN_IJSM_SM_EEESB_PlJ10is_orderedEEE10hipError_tPvRmT3_T4_T5_T6_T7_T9_mT8_P12ihipStream_tbDpT10_ENKUlT_T0_E_clISt17integral_constantIbLb1EES1C_EEDaS17_S18_EUlS17_E_NS1_11comp_targetILNS1_3genE4ELNS1_11target_archE910ELNS1_3gpuE8ELNS1_3repE0EEENS1_30default_config_static_selectorELNS0_4arch9wavefront6targetE1EEEvT1_: ; @_ZN7rocprim17ROCPRIM_400000_NS6detail17trampoline_kernelINS0_14default_configENS1_25partition_config_selectorILNS1_17partition_subalgoE3EN6thrust23THRUST_200600_302600_NS5tupleIxxNS7_9null_typeES9_S9_S9_S9_S9_S9_S9_EENS0_10empty_typeEbEEZZNS1_14partition_implILS5_3ELb0ES3_jNS7_6detail15normal_iteratorINS7_7pointerISA_NS7_11hip_rocprim3tagENS7_11use_defaultESJ_EEEEPSB_SM_NS0_5tupleIJPSA_SM_EEENSN_IJSM_SM_EEESB_PlJ10is_orderedEEE10hipError_tPvRmT3_T4_T5_T6_T7_T9_mT8_P12ihipStream_tbDpT10_ENKUlT_T0_E_clISt17integral_constantIbLb1EES1C_EEDaS17_S18_EUlS17_E_NS1_11comp_targetILNS1_3genE4ELNS1_11target_archE910ELNS1_3gpuE8ELNS1_3repE0EEENS1_30default_config_static_selectorELNS0_4arch9wavefront6targetE1EEEvT1_
; %bb.0:
	.section	.rodata,"a",@progbits
	.p2align	6, 0x0
	.amdhsa_kernel _ZN7rocprim17ROCPRIM_400000_NS6detail17trampoline_kernelINS0_14default_configENS1_25partition_config_selectorILNS1_17partition_subalgoE3EN6thrust23THRUST_200600_302600_NS5tupleIxxNS7_9null_typeES9_S9_S9_S9_S9_S9_S9_EENS0_10empty_typeEbEEZZNS1_14partition_implILS5_3ELb0ES3_jNS7_6detail15normal_iteratorINS7_7pointerISA_NS7_11hip_rocprim3tagENS7_11use_defaultESJ_EEEEPSB_SM_NS0_5tupleIJPSA_SM_EEENSN_IJSM_SM_EEESB_PlJ10is_orderedEEE10hipError_tPvRmT3_T4_T5_T6_T7_T9_mT8_P12ihipStream_tbDpT10_ENKUlT_T0_E_clISt17integral_constantIbLb1EES1C_EEDaS17_S18_EUlS17_E_NS1_11comp_targetILNS1_3genE4ELNS1_11target_archE910ELNS1_3gpuE8ELNS1_3repE0EEENS1_30default_config_static_selectorELNS0_4arch9wavefront6targetE1EEEvT1_
		.amdhsa_group_segment_fixed_size 0
		.amdhsa_private_segment_fixed_size 0
		.amdhsa_kernarg_size 136
		.amdhsa_user_sgpr_count 2
		.amdhsa_user_sgpr_dispatch_ptr 0
		.amdhsa_user_sgpr_queue_ptr 0
		.amdhsa_user_sgpr_kernarg_segment_ptr 1
		.amdhsa_user_sgpr_dispatch_id 0
		.amdhsa_user_sgpr_kernarg_preload_length 0
		.amdhsa_user_sgpr_kernarg_preload_offset 0
		.amdhsa_user_sgpr_private_segment_size 0
		.amdhsa_uses_dynamic_stack 0
		.amdhsa_enable_private_segment 0
		.amdhsa_system_sgpr_workgroup_id_x 1
		.amdhsa_system_sgpr_workgroup_id_y 0
		.amdhsa_system_sgpr_workgroup_id_z 0
		.amdhsa_system_sgpr_workgroup_info 0
		.amdhsa_system_vgpr_workitem_id 0
		.amdhsa_next_free_vgpr 1
		.amdhsa_next_free_sgpr 0
		.amdhsa_accum_offset 4
		.amdhsa_reserve_vcc 0
		.amdhsa_float_round_mode_32 0
		.amdhsa_float_round_mode_16_64 0
		.amdhsa_float_denorm_mode_32 3
		.amdhsa_float_denorm_mode_16_64 3
		.amdhsa_dx10_clamp 1
		.amdhsa_ieee_mode 1
		.amdhsa_fp16_overflow 0
		.amdhsa_tg_split 0
		.amdhsa_exception_fp_ieee_invalid_op 0
		.amdhsa_exception_fp_denorm_src 0
		.amdhsa_exception_fp_ieee_div_zero 0
		.amdhsa_exception_fp_ieee_overflow 0
		.amdhsa_exception_fp_ieee_underflow 0
		.amdhsa_exception_fp_ieee_inexact 0
		.amdhsa_exception_int_div_zero 0
	.end_amdhsa_kernel
	.section	.text._ZN7rocprim17ROCPRIM_400000_NS6detail17trampoline_kernelINS0_14default_configENS1_25partition_config_selectorILNS1_17partition_subalgoE3EN6thrust23THRUST_200600_302600_NS5tupleIxxNS7_9null_typeES9_S9_S9_S9_S9_S9_S9_EENS0_10empty_typeEbEEZZNS1_14partition_implILS5_3ELb0ES3_jNS7_6detail15normal_iteratorINS7_7pointerISA_NS7_11hip_rocprim3tagENS7_11use_defaultESJ_EEEEPSB_SM_NS0_5tupleIJPSA_SM_EEENSN_IJSM_SM_EEESB_PlJ10is_orderedEEE10hipError_tPvRmT3_T4_T5_T6_T7_T9_mT8_P12ihipStream_tbDpT10_ENKUlT_T0_E_clISt17integral_constantIbLb1EES1C_EEDaS17_S18_EUlS17_E_NS1_11comp_targetILNS1_3genE4ELNS1_11target_archE910ELNS1_3gpuE8ELNS1_3repE0EEENS1_30default_config_static_selectorELNS0_4arch9wavefront6targetE1EEEvT1_,"axG",@progbits,_ZN7rocprim17ROCPRIM_400000_NS6detail17trampoline_kernelINS0_14default_configENS1_25partition_config_selectorILNS1_17partition_subalgoE3EN6thrust23THRUST_200600_302600_NS5tupleIxxNS7_9null_typeES9_S9_S9_S9_S9_S9_S9_EENS0_10empty_typeEbEEZZNS1_14partition_implILS5_3ELb0ES3_jNS7_6detail15normal_iteratorINS7_7pointerISA_NS7_11hip_rocprim3tagENS7_11use_defaultESJ_EEEEPSB_SM_NS0_5tupleIJPSA_SM_EEENSN_IJSM_SM_EEESB_PlJ10is_orderedEEE10hipError_tPvRmT3_T4_T5_T6_T7_T9_mT8_P12ihipStream_tbDpT10_ENKUlT_T0_E_clISt17integral_constantIbLb1EES1C_EEDaS17_S18_EUlS17_E_NS1_11comp_targetILNS1_3genE4ELNS1_11target_archE910ELNS1_3gpuE8ELNS1_3repE0EEENS1_30default_config_static_selectorELNS0_4arch9wavefront6targetE1EEEvT1_,comdat
.Lfunc_end3465:
	.size	_ZN7rocprim17ROCPRIM_400000_NS6detail17trampoline_kernelINS0_14default_configENS1_25partition_config_selectorILNS1_17partition_subalgoE3EN6thrust23THRUST_200600_302600_NS5tupleIxxNS7_9null_typeES9_S9_S9_S9_S9_S9_S9_EENS0_10empty_typeEbEEZZNS1_14partition_implILS5_3ELb0ES3_jNS7_6detail15normal_iteratorINS7_7pointerISA_NS7_11hip_rocprim3tagENS7_11use_defaultESJ_EEEEPSB_SM_NS0_5tupleIJPSA_SM_EEENSN_IJSM_SM_EEESB_PlJ10is_orderedEEE10hipError_tPvRmT3_T4_T5_T6_T7_T9_mT8_P12ihipStream_tbDpT10_ENKUlT_T0_E_clISt17integral_constantIbLb1EES1C_EEDaS17_S18_EUlS17_E_NS1_11comp_targetILNS1_3genE4ELNS1_11target_archE910ELNS1_3gpuE8ELNS1_3repE0EEENS1_30default_config_static_selectorELNS0_4arch9wavefront6targetE1EEEvT1_, .Lfunc_end3465-_ZN7rocprim17ROCPRIM_400000_NS6detail17trampoline_kernelINS0_14default_configENS1_25partition_config_selectorILNS1_17partition_subalgoE3EN6thrust23THRUST_200600_302600_NS5tupleIxxNS7_9null_typeES9_S9_S9_S9_S9_S9_S9_EENS0_10empty_typeEbEEZZNS1_14partition_implILS5_3ELb0ES3_jNS7_6detail15normal_iteratorINS7_7pointerISA_NS7_11hip_rocprim3tagENS7_11use_defaultESJ_EEEEPSB_SM_NS0_5tupleIJPSA_SM_EEENSN_IJSM_SM_EEESB_PlJ10is_orderedEEE10hipError_tPvRmT3_T4_T5_T6_T7_T9_mT8_P12ihipStream_tbDpT10_ENKUlT_T0_E_clISt17integral_constantIbLb1EES1C_EEDaS17_S18_EUlS17_E_NS1_11comp_targetILNS1_3genE4ELNS1_11target_archE910ELNS1_3gpuE8ELNS1_3repE0EEENS1_30default_config_static_selectorELNS0_4arch9wavefront6targetE1EEEvT1_
                                        ; -- End function
	.section	.AMDGPU.csdata,"",@progbits
; Kernel info:
; codeLenInByte = 0
; NumSgprs: 6
; NumVgprs: 0
; NumAgprs: 0
; TotalNumVgprs: 0
; ScratchSize: 0
; MemoryBound: 0
; FloatMode: 240
; IeeeMode: 1
; LDSByteSize: 0 bytes/workgroup (compile time only)
; SGPRBlocks: 0
; VGPRBlocks: 0
; NumSGPRsForWavesPerEU: 6
; NumVGPRsForWavesPerEU: 1
; AccumOffset: 4
; Occupancy: 8
; WaveLimiterHint : 0
; COMPUTE_PGM_RSRC2:SCRATCH_EN: 0
; COMPUTE_PGM_RSRC2:USER_SGPR: 2
; COMPUTE_PGM_RSRC2:TRAP_HANDLER: 0
; COMPUTE_PGM_RSRC2:TGID_X_EN: 1
; COMPUTE_PGM_RSRC2:TGID_Y_EN: 0
; COMPUTE_PGM_RSRC2:TGID_Z_EN: 0
; COMPUTE_PGM_RSRC2:TIDIG_COMP_CNT: 0
; COMPUTE_PGM_RSRC3_GFX90A:ACCUM_OFFSET: 0
; COMPUTE_PGM_RSRC3_GFX90A:TG_SPLIT: 0
	.section	.text._ZN7rocprim17ROCPRIM_400000_NS6detail17trampoline_kernelINS0_14default_configENS1_25partition_config_selectorILNS1_17partition_subalgoE3EN6thrust23THRUST_200600_302600_NS5tupleIxxNS7_9null_typeES9_S9_S9_S9_S9_S9_S9_EENS0_10empty_typeEbEEZZNS1_14partition_implILS5_3ELb0ES3_jNS7_6detail15normal_iteratorINS7_7pointerISA_NS7_11hip_rocprim3tagENS7_11use_defaultESJ_EEEEPSB_SM_NS0_5tupleIJPSA_SM_EEENSN_IJSM_SM_EEESB_PlJ10is_orderedEEE10hipError_tPvRmT3_T4_T5_T6_T7_T9_mT8_P12ihipStream_tbDpT10_ENKUlT_T0_E_clISt17integral_constantIbLb1EES1C_EEDaS17_S18_EUlS17_E_NS1_11comp_targetILNS1_3genE3ELNS1_11target_archE908ELNS1_3gpuE7ELNS1_3repE0EEENS1_30default_config_static_selectorELNS0_4arch9wavefront6targetE1EEEvT1_,"axG",@progbits,_ZN7rocprim17ROCPRIM_400000_NS6detail17trampoline_kernelINS0_14default_configENS1_25partition_config_selectorILNS1_17partition_subalgoE3EN6thrust23THRUST_200600_302600_NS5tupleIxxNS7_9null_typeES9_S9_S9_S9_S9_S9_S9_EENS0_10empty_typeEbEEZZNS1_14partition_implILS5_3ELb0ES3_jNS7_6detail15normal_iteratorINS7_7pointerISA_NS7_11hip_rocprim3tagENS7_11use_defaultESJ_EEEEPSB_SM_NS0_5tupleIJPSA_SM_EEENSN_IJSM_SM_EEESB_PlJ10is_orderedEEE10hipError_tPvRmT3_T4_T5_T6_T7_T9_mT8_P12ihipStream_tbDpT10_ENKUlT_T0_E_clISt17integral_constantIbLb1EES1C_EEDaS17_S18_EUlS17_E_NS1_11comp_targetILNS1_3genE3ELNS1_11target_archE908ELNS1_3gpuE7ELNS1_3repE0EEENS1_30default_config_static_selectorELNS0_4arch9wavefront6targetE1EEEvT1_,comdat
	.protected	_ZN7rocprim17ROCPRIM_400000_NS6detail17trampoline_kernelINS0_14default_configENS1_25partition_config_selectorILNS1_17partition_subalgoE3EN6thrust23THRUST_200600_302600_NS5tupleIxxNS7_9null_typeES9_S9_S9_S9_S9_S9_S9_EENS0_10empty_typeEbEEZZNS1_14partition_implILS5_3ELb0ES3_jNS7_6detail15normal_iteratorINS7_7pointerISA_NS7_11hip_rocprim3tagENS7_11use_defaultESJ_EEEEPSB_SM_NS0_5tupleIJPSA_SM_EEENSN_IJSM_SM_EEESB_PlJ10is_orderedEEE10hipError_tPvRmT3_T4_T5_T6_T7_T9_mT8_P12ihipStream_tbDpT10_ENKUlT_T0_E_clISt17integral_constantIbLb1EES1C_EEDaS17_S18_EUlS17_E_NS1_11comp_targetILNS1_3genE3ELNS1_11target_archE908ELNS1_3gpuE7ELNS1_3repE0EEENS1_30default_config_static_selectorELNS0_4arch9wavefront6targetE1EEEvT1_ ; -- Begin function _ZN7rocprim17ROCPRIM_400000_NS6detail17trampoline_kernelINS0_14default_configENS1_25partition_config_selectorILNS1_17partition_subalgoE3EN6thrust23THRUST_200600_302600_NS5tupleIxxNS7_9null_typeES9_S9_S9_S9_S9_S9_S9_EENS0_10empty_typeEbEEZZNS1_14partition_implILS5_3ELb0ES3_jNS7_6detail15normal_iteratorINS7_7pointerISA_NS7_11hip_rocprim3tagENS7_11use_defaultESJ_EEEEPSB_SM_NS0_5tupleIJPSA_SM_EEENSN_IJSM_SM_EEESB_PlJ10is_orderedEEE10hipError_tPvRmT3_T4_T5_T6_T7_T9_mT8_P12ihipStream_tbDpT10_ENKUlT_T0_E_clISt17integral_constantIbLb1EES1C_EEDaS17_S18_EUlS17_E_NS1_11comp_targetILNS1_3genE3ELNS1_11target_archE908ELNS1_3gpuE7ELNS1_3repE0EEENS1_30default_config_static_selectorELNS0_4arch9wavefront6targetE1EEEvT1_
	.globl	_ZN7rocprim17ROCPRIM_400000_NS6detail17trampoline_kernelINS0_14default_configENS1_25partition_config_selectorILNS1_17partition_subalgoE3EN6thrust23THRUST_200600_302600_NS5tupleIxxNS7_9null_typeES9_S9_S9_S9_S9_S9_S9_EENS0_10empty_typeEbEEZZNS1_14partition_implILS5_3ELb0ES3_jNS7_6detail15normal_iteratorINS7_7pointerISA_NS7_11hip_rocprim3tagENS7_11use_defaultESJ_EEEEPSB_SM_NS0_5tupleIJPSA_SM_EEENSN_IJSM_SM_EEESB_PlJ10is_orderedEEE10hipError_tPvRmT3_T4_T5_T6_T7_T9_mT8_P12ihipStream_tbDpT10_ENKUlT_T0_E_clISt17integral_constantIbLb1EES1C_EEDaS17_S18_EUlS17_E_NS1_11comp_targetILNS1_3genE3ELNS1_11target_archE908ELNS1_3gpuE7ELNS1_3repE0EEENS1_30default_config_static_selectorELNS0_4arch9wavefront6targetE1EEEvT1_
	.p2align	8
	.type	_ZN7rocprim17ROCPRIM_400000_NS6detail17trampoline_kernelINS0_14default_configENS1_25partition_config_selectorILNS1_17partition_subalgoE3EN6thrust23THRUST_200600_302600_NS5tupleIxxNS7_9null_typeES9_S9_S9_S9_S9_S9_S9_EENS0_10empty_typeEbEEZZNS1_14partition_implILS5_3ELb0ES3_jNS7_6detail15normal_iteratorINS7_7pointerISA_NS7_11hip_rocprim3tagENS7_11use_defaultESJ_EEEEPSB_SM_NS0_5tupleIJPSA_SM_EEENSN_IJSM_SM_EEESB_PlJ10is_orderedEEE10hipError_tPvRmT3_T4_T5_T6_T7_T9_mT8_P12ihipStream_tbDpT10_ENKUlT_T0_E_clISt17integral_constantIbLb1EES1C_EEDaS17_S18_EUlS17_E_NS1_11comp_targetILNS1_3genE3ELNS1_11target_archE908ELNS1_3gpuE7ELNS1_3repE0EEENS1_30default_config_static_selectorELNS0_4arch9wavefront6targetE1EEEvT1_,@function
_ZN7rocprim17ROCPRIM_400000_NS6detail17trampoline_kernelINS0_14default_configENS1_25partition_config_selectorILNS1_17partition_subalgoE3EN6thrust23THRUST_200600_302600_NS5tupleIxxNS7_9null_typeES9_S9_S9_S9_S9_S9_S9_EENS0_10empty_typeEbEEZZNS1_14partition_implILS5_3ELb0ES3_jNS7_6detail15normal_iteratorINS7_7pointerISA_NS7_11hip_rocprim3tagENS7_11use_defaultESJ_EEEEPSB_SM_NS0_5tupleIJPSA_SM_EEENSN_IJSM_SM_EEESB_PlJ10is_orderedEEE10hipError_tPvRmT3_T4_T5_T6_T7_T9_mT8_P12ihipStream_tbDpT10_ENKUlT_T0_E_clISt17integral_constantIbLb1EES1C_EEDaS17_S18_EUlS17_E_NS1_11comp_targetILNS1_3genE3ELNS1_11target_archE908ELNS1_3gpuE7ELNS1_3repE0EEENS1_30default_config_static_selectorELNS0_4arch9wavefront6targetE1EEEvT1_: ; @_ZN7rocprim17ROCPRIM_400000_NS6detail17trampoline_kernelINS0_14default_configENS1_25partition_config_selectorILNS1_17partition_subalgoE3EN6thrust23THRUST_200600_302600_NS5tupleIxxNS7_9null_typeES9_S9_S9_S9_S9_S9_S9_EENS0_10empty_typeEbEEZZNS1_14partition_implILS5_3ELb0ES3_jNS7_6detail15normal_iteratorINS7_7pointerISA_NS7_11hip_rocprim3tagENS7_11use_defaultESJ_EEEEPSB_SM_NS0_5tupleIJPSA_SM_EEENSN_IJSM_SM_EEESB_PlJ10is_orderedEEE10hipError_tPvRmT3_T4_T5_T6_T7_T9_mT8_P12ihipStream_tbDpT10_ENKUlT_T0_E_clISt17integral_constantIbLb1EES1C_EEDaS17_S18_EUlS17_E_NS1_11comp_targetILNS1_3genE3ELNS1_11target_archE908ELNS1_3gpuE7ELNS1_3repE0EEENS1_30default_config_static_selectorELNS0_4arch9wavefront6targetE1EEEvT1_
; %bb.0:
	.section	.rodata,"a",@progbits
	.p2align	6, 0x0
	.amdhsa_kernel _ZN7rocprim17ROCPRIM_400000_NS6detail17trampoline_kernelINS0_14default_configENS1_25partition_config_selectorILNS1_17partition_subalgoE3EN6thrust23THRUST_200600_302600_NS5tupleIxxNS7_9null_typeES9_S9_S9_S9_S9_S9_S9_EENS0_10empty_typeEbEEZZNS1_14partition_implILS5_3ELb0ES3_jNS7_6detail15normal_iteratorINS7_7pointerISA_NS7_11hip_rocprim3tagENS7_11use_defaultESJ_EEEEPSB_SM_NS0_5tupleIJPSA_SM_EEENSN_IJSM_SM_EEESB_PlJ10is_orderedEEE10hipError_tPvRmT3_T4_T5_T6_T7_T9_mT8_P12ihipStream_tbDpT10_ENKUlT_T0_E_clISt17integral_constantIbLb1EES1C_EEDaS17_S18_EUlS17_E_NS1_11comp_targetILNS1_3genE3ELNS1_11target_archE908ELNS1_3gpuE7ELNS1_3repE0EEENS1_30default_config_static_selectorELNS0_4arch9wavefront6targetE1EEEvT1_
		.amdhsa_group_segment_fixed_size 0
		.amdhsa_private_segment_fixed_size 0
		.amdhsa_kernarg_size 136
		.amdhsa_user_sgpr_count 2
		.amdhsa_user_sgpr_dispatch_ptr 0
		.amdhsa_user_sgpr_queue_ptr 0
		.amdhsa_user_sgpr_kernarg_segment_ptr 1
		.amdhsa_user_sgpr_dispatch_id 0
		.amdhsa_user_sgpr_kernarg_preload_length 0
		.amdhsa_user_sgpr_kernarg_preload_offset 0
		.amdhsa_user_sgpr_private_segment_size 0
		.amdhsa_uses_dynamic_stack 0
		.amdhsa_enable_private_segment 0
		.amdhsa_system_sgpr_workgroup_id_x 1
		.amdhsa_system_sgpr_workgroup_id_y 0
		.amdhsa_system_sgpr_workgroup_id_z 0
		.amdhsa_system_sgpr_workgroup_info 0
		.amdhsa_system_vgpr_workitem_id 0
		.amdhsa_next_free_vgpr 1
		.amdhsa_next_free_sgpr 0
		.amdhsa_accum_offset 4
		.amdhsa_reserve_vcc 0
		.amdhsa_float_round_mode_32 0
		.amdhsa_float_round_mode_16_64 0
		.amdhsa_float_denorm_mode_32 3
		.amdhsa_float_denorm_mode_16_64 3
		.amdhsa_dx10_clamp 1
		.amdhsa_ieee_mode 1
		.amdhsa_fp16_overflow 0
		.amdhsa_tg_split 0
		.amdhsa_exception_fp_ieee_invalid_op 0
		.amdhsa_exception_fp_denorm_src 0
		.amdhsa_exception_fp_ieee_div_zero 0
		.amdhsa_exception_fp_ieee_overflow 0
		.amdhsa_exception_fp_ieee_underflow 0
		.amdhsa_exception_fp_ieee_inexact 0
		.amdhsa_exception_int_div_zero 0
	.end_amdhsa_kernel
	.section	.text._ZN7rocprim17ROCPRIM_400000_NS6detail17trampoline_kernelINS0_14default_configENS1_25partition_config_selectorILNS1_17partition_subalgoE3EN6thrust23THRUST_200600_302600_NS5tupleIxxNS7_9null_typeES9_S9_S9_S9_S9_S9_S9_EENS0_10empty_typeEbEEZZNS1_14partition_implILS5_3ELb0ES3_jNS7_6detail15normal_iteratorINS7_7pointerISA_NS7_11hip_rocprim3tagENS7_11use_defaultESJ_EEEEPSB_SM_NS0_5tupleIJPSA_SM_EEENSN_IJSM_SM_EEESB_PlJ10is_orderedEEE10hipError_tPvRmT3_T4_T5_T6_T7_T9_mT8_P12ihipStream_tbDpT10_ENKUlT_T0_E_clISt17integral_constantIbLb1EES1C_EEDaS17_S18_EUlS17_E_NS1_11comp_targetILNS1_3genE3ELNS1_11target_archE908ELNS1_3gpuE7ELNS1_3repE0EEENS1_30default_config_static_selectorELNS0_4arch9wavefront6targetE1EEEvT1_,"axG",@progbits,_ZN7rocprim17ROCPRIM_400000_NS6detail17trampoline_kernelINS0_14default_configENS1_25partition_config_selectorILNS1_17partition_subalgoE3EN6thrust23THRUST_200600_302600_NS5tupleIxxNS7_9null_typeES9_S9_S9_S9_S9_S9_S9_EENS0_10empty_typeEbEEZZNS1_14partition_implILS5_3ELb0ES3_jNS7_6detail15normal_iteratorINS7_7pointerISA_NS7_11hip_rocprim3tagENS7_11use_defaultESJ_EEEEPSB_SM_NS0_5tupleIJPSA_SM_EEENSN_IJSM_SM_EEESB_PlJ10is_orderedEEE10hipError_tPvRmT3_T4_T5_T6_T7_T9_mT8_P12ihipStream_tbDpT10_ENKUlT_T0_E_clISt17integral_constantIbLb1EES1C_EEDaS17_S18_EUlS17_E_NS1_11comp_targetILNS1_3genE3ELNS1_11target_archE908ELNS1_3gpuE7ELNS1_3repE0EEENS1_30default_config_static_selectorELNS0_4arch9wavefront6targetE1EEEvT1_,comdat
.Lfunc_end3466:
	.size	_ZN7rocprim17ROCPRIM_400000_NS6detail17trampoline_kernelINS0_14default_configENS1_25partition_config_selectorILNS1_17partition_subalgoE3EN6thrust23THRUST_200600_302600_NS5tupleIxxNS7_9null_typeES9_S9_S9_S9_S9_S9_S9_EENS0_10empty_typeEbEEZZNS1_14partition_implILS5_3ELb0ES3_jNS7_6detail15normal_iteratorINS7_7pointerISA_NS7_11hip_rocprim3tagENS7_11use_defaultESJ_EEEEPSB_SM_NS0_5tupleIJPSA_SM_EEENSN_IJSM_SM_EEESB_PlJ10is_orderedEEE10hipError_tPvRmT3_T4_T5_T6_T7_T9_mT8_P12ihipStream_tbDpT10_ENKUlT_T0_E_clISt17integral_constantIbLb1EES1C_EEDaS17_S18_EUlS17_E_NS1_11comp_targetILNS1_3genE3ELNS1_11target_archE908ELNS1_3gpuE7ELNS1_3repE0EEENS1_30default_config_static_selectorELNS0_4arch9wavefront6targetE1EEEvT1_, .Lfunc_end3466-_ZN7rocprim17ROCPRIM_400000_NS6detail17trampoline_kernelINS0_14default_configENS1_25partition_config_selectorILNS1_17partition_subalgoE3EN6thrust23THRUST_200600_302600_NS5tupleIxxNS7_9null_typeES9_S9_S9_S9_S9_S9_S9_EENS0_10empty_typeEbEEZZNS1_14partition_implILS5_3ELb0ES3_jNS7_6detail15normal_iteratorINS7_7pointerISA_NS7_11hip_rocprim3tagENS7_11use_defaultESJ_EEEEPSB_SM_NS0_5tupleIJPSA_SM_EEENSN_IJSM_SM_EEESB_PlJ10is_orderedEEE10hipError_tPvRmT3_T4_T5_T6_T7_T9_mT8_P12ihipStream_tbDpT10_ENKUlT_T0_E_clISt17integral_constantIbLb1EES1C_EEDaS17_S18_EUlS17_E_NS1_11comp_targetILNS1_3genE3ELNS1_11target_archE908ELNS1_3gpuE7ELNS1_3repE0EEENS1_30default_config_static_selectorELNS0_4arch9wavefront6targetE1EEEvT1_
                                        ; -- End function
	.section	.AMDGPU.csdata,"",@progbits
; Kernel info:
; codeLenInByte = 0
; NumSgprs: 6
; NumVgprs: 0
; NumAgprs: 0
; TotalNumVgprs: 0
; ScratchSize: 0
; MemoryBound: 0
; FloatMode: 240
; IeeeMode: 1
; LDSByteSize: 0 bytes/workgroup (compile time only)
; SGPRBlocks: 0
; VGPRBlocks: 0
; NumSGPRsForWavesPerEU: 6
; NumVGPRsForWavesPerEU: 1
; AccumOffset: 4
; Occupancy: 8
; WaveLimiterHint : 0
; COMPUTE_PGM_RSRC2:SCRATCH_EN: 0
; COMPUTE_PGM_RSRC2:USER_SGPR: 2
; COMPUTE_PGM_RSRC2:TRAP_HANDLER: 0
; COMPUTE_PGM_RSRC2:TGID_X_EN: 1
; COMPUTE_PGM_RSRC2:TGID_Y_EN: 0
; COMPUTE_PGM_RSRC2:TGID_Z_EN: 0
; COMPUTE_PGM_RSRC2:TIDIG_COMP_CNT: 0
; COMPUTE_PGM_RSRC3_GFX90A:ACCUM_OFFSET: 0
; COMPUTE_PGM_RSRC3_GFX90A:TG_SPLIT: 0
	.section	.text._ZN7rocprim17ROCPRIM_400000_NS6detail17trampoline_kernelINS0_14default_configENS1_25partition_config_selectorILNS1_17partition_subalgoE3EN6thrust23THRUST_200600_302600_NS5tupleIxxNS7_9null_typeES9_S9_S9_S9_S9_S9_S9_EENS0_10empty_typeEbEEZZNS1_14partition_implILS5_3ELb0ES3_jNS7_6detail15normal_iteratorINS7_7pointerISA_NS7_11hip_rocprim3tagENS7_11use_defaultESJ_EEEEPSB_SM_NS0_5tupleIJPSA_SM_EEENSN_IJSM_SM_EEESB_PlJ10is_orderedEEE10hipError_tPvRmT3_T4_T5_T6_T7_T9_mT8_P12ihipStream_tbDpT10_ENKUlT_T0_E_clISt17integral_constantIbLb1EES1C_EEDaS17_S18_EUlS17_E_NS1_11comp_targetILNS1_3genE2ELNS1_11target_archE906ELNS1_3gpuE6ELNS1_3repE0EEENS1_30default_config_static_selectorELNS0_4arch9wavefront6targetE1EEEvT1_,"axG",@progbits,_ZN7rocprim17ROCPRIM_400000_NS6detail17trampoline_kernelINS0_14default_configENS1_25partition_config_selectorILNS1_17partition_subalgoE3EN6thrust23THRUST_200600_302600_NS5tupleIxxNS7_9null_typeES9_S9_S9_S9_S9_S9_S9_EENS0_10empty_typeEbEEZZNS1_14partition_implILS5_3ELb0ES3_jNS7_6detail15normal_iteratorINS7_7pointerISA_NS7_11hip_rocprim3tagENS7_11use_defaultESJ_EEEEPSB_SM_NS0_5tupleIJPSA_SM_EEENSN_IJSM_SM_EEESB_PlJ10is_orderedEEE10hipError_tPvRmT3_T4_T5_T6_T7_T9_mT8_P12ihipStream_tbDpT10_ENKUlT_T0_E_clISt17integral_constantIbLb1EES1C_EEDaS17_S18_EUlS17_E_NS1_11comp_targetILNS1_3genE2ELNS1_11target_archE906ELNS1_3gpuE6ELNS1_3repE0EEENS1_30default_config_static_selectorELNS0_4arch9wavefront6targetE1EEEvT1_,comdat
	.protected	_ZN7rocprim17ROCPRIM_400000_NS6detail17trampoline_kernelINS0_14default_configENS1_25partition_config_selectorILNS1_17partition_subalgoE3EN6thrust23THRUST_200600_302600_NS5tupleIxxNS7_9null_typeES9_S9_S9_S9_S9_S9_S9_EENS0_10empty_typeEbEEZZNS1_14partition_implILS5_3ELb0ES3_jNS7_6detail15normal_iteratorINS7_7pointerISA_NS7_11hip_rocprim3tagENS7_11use_defaultESJ_EEEEPSB_SM_NS0_5tupleIJPSA_SM_EEENSN_IJSM_SM_EEESB_PlJ10is_orderedEEE10hipError_tPvRmT3_T4_T5_T6_T7_T9_mT8_P12ihipStream_tbDpT10_ENKUlT_T0_E_clISt17integral_constantIbLb1EES1C_EEDaS17_S18_EUlS17_E_NS1_11comp_targetILNS1_3genE2ELNS1_11target_archE906ELNS1_3gpuE6ELNS1_3repE0EEENS1_30default_config_static_selectorELNS0_4arch9wavefront6targetE1EEEvT1_ ; -- Begin function _ZN7rocprim17ROCPRIM_400000_NS6detail17trampoline_kernelINS0_14default_configENS1_25partition_config_selectorILNS1_17partition_subalgoE3EN6thrust23THRUST_200600_302600_NS5tupleIxxNS7_9null_typeES9_S9_S9_S9_S9_S9_S9_EENS0_10empty_typeEbEEZZNS1_14partition_implILS5_3ELb0ES3_jNS7_6detail15normal_iteratorINS7_7pointerISA_NS7_11hip_rocprim3tagENS7_11use_defaultESJ_EEEEPSB_SM_NS0_5tupleIJPSA_SM_EEENSN_IJSM_SM_EEESB_PlJ10is_orderedEEE10hipError_tPvRmT3_T4_T5_T6_T7_T9_mT8_P12ihipStream_tbDpT10_ENKUlT_T0_E_clISt17integral_constantIbLb1EES1C_EEDaS17_S18_EUlS17_E_NS1_11comp_targetILNS1_3genE2ELNS1_11target_archE906ELNS1_3gpuE6ELNS1_3repE0EEENS1_30default_config_static_selectorELNS0_4arch9wavefront6targetE1EEEvT1_
	.globl	_ZN7rocprim17ROCPRIM_400000_NS6detail17trampoline_kernelINS0_14default_configENS1_25partition_config_selectorILNS1_17partition_subalgoE3EN6thrust23THRUST_200600_302600_NS5tupleIxxNS7_9null_typeES9_S9_S9_S9_S9_S9_S9_EENS0_10empty_typeEbEEZZNS1_14partition_implILS5_3ELb0ES3_jNS7_6detail15normal_iteratorINS7_7pointerISA_NS7_11hip_rocprim3tagENS7_11use_defaultESJ_EEEEPSB_SM_NS0_5tupleIJPSA_SM_EEENSN_IJSM_SM_EEESB_PlJ10is_orderedEEE10hipError_tPvRmT3_T4_T5_T6_T7_T9_mT8_P12ihipStream_tbDpT10_ENKUlT_T0_E_clISt17integral_constantIbLb1EES1C_EEDaS17_S18_EUlS17_E_NS1_11comp_targetILNS1_3genE2ELNS1_11target_archE906ELNS1_3gpuE6ELNS1_3repE0EEENS1_30default_config_static_selectorELNS0_4arch9wavefront6targetE1EEEvT1_
	.p2align	8
	.type	_ZN7rocprim17ROCPRIM_400000_NS6detail17trampoline_kernelINS0_14default_configENS1_25partition_config_selectorILNS1_17partition_subalgoE3EN6thrust23THRUST_200600_302600_NS5tupleIxxNS7_9null_typeES9_S9_S9_S9_S9_S9_S9_EENS0_10empty_typeEbEEZZNS1_14partition_implILS5_3ELb0ES3_jNS7_6detail15normal_iteratorINS7_7pointerISA_NS7_11hip_rocprim3tagENS7_11use_defaultESJ_EEEEPSB_SM_NS0_5tupleIJPSA_SM_EEENSN_IJSM_SM_EEESB_PlJ10is_orderedEEE10hipError_tPvRmT3_T4_T5_T6_T7_T9_mT8_P12ihipStream_tbDpT10_ENKUlT_T0_E_clISt17integral_constantIbLb1EES1C_EEDaS17_S18_EUlS17_E_NS1_11comp_targetILNS1_3genE2ELNS1_11target_archE906ELNS1_3gpuE6ELNS1_3repE0EEENS1_30default_config_static_selectorELNS0_4arch9wavefront6targetE1EEEvT1_,@function
_ZN7rocprim17ROCPRIM_400000_NS6detail17trampoline_kernelINS0_14default_configENS1_25partition_config_selectorILNS1_17partition_subalgoE3EN6thrust23THRUST_200600_302600_NS5tupleIxxNS7_9null_typeES9_S9_S9_S9_S9_S9_S9_EENS0_10empty_typeEbEEZZNS1_14partition_implILS5_3ELb0ES3_jNS7_6detail15normal_iteratorINS7_7pointerISA_NS7_11hip_rocprim3tagENS7_11use_defaultESJ_EEEEPSB_SM_NS0_5tupleIJPSA_SM_EEENSN_IJSM_SM_EEESB_PlJ10is_orderedEEE10hipError_tPvRmT3_T4_T5_T6_T7_T9_mT8_P12ihipStream_tbDpT10_ENKUlT_T0_E_clISt17integral_constantIbLb1EES1C_EEDaS17_S18_EUlS17_E_NS1_11comp_targetILNS1_3genE2ELNS1_11target_archE906ELNS1_3gpuE6ELNS1_3repE0EEENS1_30default_config_static_selectorELNS0_4arch9wavefront6targetE1EEEvT1_: ; @_ZN7rocprim17ROCPRIM_400000_NS6detail17trampoline_kernelINS0_14default_configENS1_25partition_config_selectorILNS1_17partition_subalgoE3EN6thrust23THRUST_200600_302600_NS5tupleIxxNS7_9null_typeES9_S9_S9_S9_S9_S9_S9_EENS0_10empty_typeEbEEZZNS1_14partition_implILS5_3ELb0ES3_jNS7_6detail15normal_iteratorINS7_7pointerISA_NS7_11hip_rocprim3tagENS7_11use_defaultESJ_EEEEPSB_SM_NS0_5tupleIJPSA_SM_EEENSN_IJSM_SM_EEESB_PlJ10is_orderedEEE10hipError_tPvRmT3_T4_T5_T6_T7_T9_mT8_P12ihipStream_tbDpT10_ENKUlT_T0_E_clISt17integral_constantIbLb1EES1C_EEDaS17_S18_EUlS17_E_NS1_11comp_targetILNS1_3genE2ELNS1_11target_archE906ELNS1_3gpuE6ELNS1_3repE0EEENS1_30default_config_static_selectorELNS0_4arch9wavefront6targetE1EEEvT1_
; %bb.0:
	.section	.rodata,"a",@progbits
	.p2align	6, 0x0
	.amdhsa_kernel _ZN7rocprim17ROCPRIM_400000_NS6detail17trampoline_kernelINS0_14default_configENS1_25partition_config_selectorILNS1_17partition_subalgoE3EN6thrust23THRUST_200600_302600_NS5tupleIxxNS7_9null_typeES9_S9_S9_S9_S9_S9_S9_EENS0_10empty_typeEbEEZZNS1_14partition_implILS5_3ELb0ES3_jNS7_6detail15normal_iteratorINS7_7pointerISA_NS7_11hip_rocprim3tagENS7_11use_defaultESJ_EEEEPSB_SM_NS0_5tupleIJPSA_SM_EEENSN_IJSM_SM_EEESB_PlJ10is_orderedEEE10hipError_tPvRmT3_T4_T5_T6_T7_T9_mT8_P12ihipStream_tbDpT10_ENKUlT_T0_E_clISt17integral_constantIbLb1EES1C_EEDaS17_S18_EUlS17_E_NS1_11comp_targetILNS1_3genE2ELNS1_11target_archE906ELNS1_3gpuE6ELNS1_3repE0EEENS1_30default_config_static_selectorELNS0_4arch9wavefront6targetE1EEEvT1_
		.amdhsa_group_segment_fixed_size 0
		.amdhsa_private_segment_fixed_size 0
		.amdhsa_kernarg_size 136
		.amdhsa_user_sgpr_count 2
		.amdhsa_user_sgpr_dispatch_ptr 0
		.amdhsa_user_sgpr_queue_ptr 0
		.amdhsa_user_sgpr_kernarg_segment_ptr 1
		.amdhsa_user_sgpr_dispatch_id 0
		.amdhsa_user_sgpr_kernarg_preload_length 0
		.amdhsa_user_sgpr_kernarg_preload_offset 0
		.amdhsa_user_sgpr_private_segment_size 0
		.amdhsa_uses_dynamic_stack 0
		.amdhsa_enable_private_segment 0
		.amdhsa_system_sgpr_workgroup_id_x 1
		.amdhsa_system_sgpr_workgroup_id_y 0
		.amdhsa_system_sgpr_workgroup_id_z 0
		.amdhsa_system_sgpr_workgroup_info 0
		.amdhsa_system_vgpr_workitem_id 0
		.amdhsa_next_free_vgpr 1
		.amdhsa_next_free_sgpr 0
		.amdhsa_accum_offset 4
		.amdhsa_reserve_vcc 0
		.amdhsa_float_round_mode_32 0
		.amdhsa_float_round_mode_16_64 0
		.amdhsa_float_denorm_mode_32 3
		.amdhsa_float_denorm_mode_16_64 3
		.amdhsa_dx10_clamp 1
		.amdhsa_ieee_mode 1
		.amdhsa_fp16_overflow 0
		.amdhsa_tg_split 0
		.amdhsa_exception_fp_ieee_invalid_op 0
		.amdhsa_exception_fp_denorm_src 0
		.amdhsa_exception_fp_ieee_div_zero 0
		.amdhsa_exception_fp_ieee_overflow 0
		.amdhsa_exception_fp_ieee_underflow 0
		.amdhsa_exception_fp_ieee_inexact 0
		.amdhsa_exception_int_div_zero 0
	.end_amdhsa_kernel
	.section	.text._ZN7rocprim17ROCPRIM_400000_NS6detail17trampoline_kernelINS0_14default_configENS1_25partition_config_selectorILNS1_17partition_subalgoE3EN6thrust23THRUST_200600_302600_NS5tupleIxxNS7_9null_typeES9_S9_S9_S9_S9_S9_S9_EENS0_10empty_typeEbEEZZNS1_14partition_implILS5_3ELb0ES3_jNS7_6detail15normal_iteratorINS7_7pointerISA_NS7_11hip_rocprim3tagENS7_11use_defaultESJ_EEEEPSB_SM_NS0_5tupleIJPSA_SM_EEENSN_IJSM_SM_EEESB_PlJ10is_orderedEEE10hipError_tPvRmT3_T4_T5_T6_T7_T9_mT8_P12ihipStream_tbDpT10_ENKUlT_T0_E_clISt17integral_constantIbLb1EES1C_EEDaS17_S18_EUlS17_E_NS1_11comp_targetILNS1_3genE2ELNS1_11target_archE906ELNS1_3gpuE6ELNS1_3repE0EEENS1_30default_config_static_selectorELNS0_4arch9wavefront6targetE1EEEvT1_,"axG",@progbits,_ZN7rocprim17ROCPRIM_400000_NS6detail17trampoline_kernelINS0_14default_configENS1_25partition_config_selectorILNS1_17partition_subalgoE3EN6thrust23THRUST_200600_302600_NS5tupleIxxNS7_9null_typeES9_S9_S9_S9_S9_S9_S9_EENS0_10empty_typeEbEEZZNS1_14partition_implILS5_3ELb0ES3_jNS7_6detail15normal_iteratorINS7_7pointerISA_NS7_11hip_rocprim3tagENS7_11use_defaultESJ_EEEEPSB_SM_NS0_5tupleIJPSA_SM_EEENSN_IJSM_SM_EEESB_PlJ10is_orderedEEE10hipError_tPvRmT3_T4_T5_T6_T7_T9_mT8_P12ihipStream_tbDpT10_ENKUlT_T0_E_clISt17integral_constantIbLb1EES1C_EEDaS17_S18_EUlS17_E_NS1_11comp_targetILNS1_3genE2ELNS1_11target_archE906ELNS1_3gpuE6ELNS1_3repE0EEENS1_30default_config_static_selectorELNS0_4arch9wavefront6targetE1EEEvT1_,comdat
.Lfunc_end3467:
	.size	_ZN7rocprim17ROCPRIM_400000_NS6detail17trampoline_kernelINS0_14default_configENS1_25partition_config_selectorILNS1_17partition_subalgoE3EN6thrust23THRUST_200600_302600_NS5tupleIxxNS7_9null_typeES9_S9_S9_S9_S9_S9_S9_EENS0_10empty_typeEbEEZZNS1_14partition_implILS5_3ELb0ES3_jNS7_6detail15normal_iteratorINS7_7pointerISA_NS7_11hip_rocprim3tagENS7_11use_defaultESJ_EEEEPSB_SM_NS0_5tupleIJPSA_SM_EEENSN_IJSM_SM_EEESB_PlJ10is_orderedEEE10hipError_tPvRmT3_T4_T5_T6_T7_T9_mT8_P12ihipStream_tbDpT10_ENKUlT_T0_E_clISt17integral_constantIbLb1EES1C_EEDaS17_S18_EUlS17_E_NS1_11comp_targetILNS1_3genE2ELNS1_11target_archE906ELNS1_3gpuE6ELNS1_3repE0EEENS1_30default_config_static_selectorELNS0_4arch9wavefront6targetE1EEEvT1_, .Lfunc_end3467-_ZN7rocprim17ROCPRIM_400000_NS6detail17trampoline_kernelINS0_14default_configENS1_25partition_config_selectorILNS1_17partition_subalgoE3EN6thrust23THRUST_200600_302600_NS5tupleIxxNS7_9null_typeES9_S9_S9_S9_S9_S9_S9_EENS0_10empty_typeEbEEZZNS1_14partition_implILS5_3ELb0ES3_jNS7_6detail15normal_iteratorINS7_7pointerISA_NS7_11hip_rocprim3tagENS7_11use_defaultESJ_EEEEPSB_SM_NS0_5tupleIJPSA_SM_EEENSN_IJSM_SM_EEESB_PlJ10is_orderedEEE10hipError_tPvRmT3_T4_T5_T6_T7_T9_mT8_P12ihipStream_tbDpT10_ENKUlT_T0_E_clISt17integral_constantIbLb1EES1C_EEDaS17_S18_EUlS17_E_NS1_11comp_targetILNS1_3genE2ELNS1_11target_archE906ELNS1_3gpuE6ELNS1_3repE0EEENS1_30default_config_static_selectorELNS0_4arch9wavefront6targetE1EEEvT1_
                                        ; -- End function
	.section	.AMDGPU.csdata,"",@progbits
; Kernel info:
; codeLenInByte = 0
; NumSgprs: 6
; NumVgprs: 0
; NumAgprs: 0
; TotalNumVgprs: 0
; ScratchSize: 0
; MemoryBound: 0
; FloatMode: 240
; IeeeMode: 1
; LDSByteSize: 0 bytes/workgroup (compile time only)
; SGPRBlocks: 0
; VGPRBlocks: 0
; NumSGPRsForWavesPerEU: 6
; NumVGPRsForWavesPerEU: 1
; AccumOffset: 4
; Occupancy: 8
; WaveLimiterHint : 0
; COMPUTE_PGM_RSRC2:SCRATCH_EN: 0
; COMPUTE_PGM_RSRC2:USER_SGPR: 2
; COMPUTE_PGM_RSRC2:TRAP_HANDLER: 0
; COMPUTE_PGM_RSRC2:TGID_X_EN: 1
; COMPUTE_PGM_RSRC2:TGID_Y_EN: 0
; COMPUTE_PGM_RSRC2:TGID_Z_EN: 0
; COMPUTE_PGM_RSRC2:TIDIG_COMP_CNT: 0
; COMPUTE_PGM_RSRC3_GFX90A:ACCUM_OFFSET: 0
; COMPUTE_PGM_RSRC3_GFX90A:TG_SPLIT: 0
	.section	.text._ZN7rocprim17ROCPRIM_400000_NS6detail17trampoline_kernelINS0_14default_configENS1_25partition_config_selectorILNS1_17partition_subalgoE3EN6thrust23THRUST_200600_302600_NS5tupleIxxNS7_9null_typeES9_S9_S9_S9_S9_S9_S9_EENS0_10empty_typeEbEEZZNS1_14partition_implILS5_3ELb0ES3_jNS7_6detail15normal_iteratorINS7_7pointerISA_NS7_11hip_rocprim3tagENS7_11use_defaultESJ_EEEEPSB_SM_NS0_5tupleIJPSA_SM_EEENSN_IJSM_SM_EEESB_PlJ10is_orderedEEE10hipError_tPvRmT3_T4_T5_T6_T7_T9_mT8_P12ihipStream_tbDpT10_ENKUlT_T0_E_clISt17integral_constantIbLb1EES1C_EEDaS17_S18_EUlS17_E_NS1_11comp_targetILNS1_3genE10ELNS1_11target_archE1200ELNS1_3gpuE4ELNS1_3repE0EEENS1_30default_config_static_selectorELNS0_4arch9wavefront6targetE1EEEvT1_,"axG",@progbits,_ZN7rocprim17ROCPRIM_400000_NS6detail17trampoline_kernelINS0_14default_configENS1_25partition_config_selectorILNS1_17partition_subalgoE3EN6thrust23THRUST_200600_302600_NS5tupleIxxNS7_9null_typeES9_S9_S9_S9_S9_S9_S9_EENS0_10empty_typeEbEEZZNS1_14partition_implILS5_3ELb0ES3_jNS7_6detail15normal_iteratorINS7_7pointerISA_NS7_11hip_rocprim3tagENS7_11use_defaultESJ_EEEEPSB_SM_NS0_5tupleIJPSA_SM_EEENSN_IJSM_SM_EEESB_PlJ10is_orderedEEE10hipError_tPvRmT3_T4_T5_T6_T7_T9_mT8_P12ihipStream_tbDpT10_ENKUlT_T0_E_clISt17integral_constantIbLb1EES1C_EEDaS17_S18_EUlS17_E_NS1_11comp_targetILNS1_3genE10ELNS1_11target_archE1200ELNS1_3gpuE4ELNS1_3repE0EEENS1_30default_config_static_selectorELNS0_4arch9wavefront6targetE1EEEvT1_,comdat
	.protected	_ZN7rocprim17ROCPRIM_400000_NS6detail17trampoline_kernelINS0_14default_configENS1_25partition_config_selectorILNS1_17partition_subalgoE3EN6thrust23THRUST_200600_302600_NS5tupleIxxNS7_9null_typeES9_S9_S9_S9_S9_S9_S9_EENS0_10empty_typeEbEEZZNS1_14partition_implILS5_3ELb0ES3_jNS7_6detail15normal_iteratorINS7_7pointerISA_NS7_11hip_rocprim3tagENS7_11use_defaultESJ_EEEEPSB_SM_NS0_5tupleIJPSA_SM_EEENSN_IJSM_SM_EEESB_PlJ10is_orderedEEE10hipError_tPvRmT3_T4_T5_T6_T7_T9_mT8_P12ihipStream_tbDpT10_ENKUlT_T0_E_clISt17integral_constantIbLb1EES1C_EEDaS17_S18_EUlS17_E_NS1_11comp_targetILNS1_3genE10ELNS1_11target_archE1200ELNS1_3gpuE4ELNS1_3repE0EEENS1_30default_config_static_selectorELNS0_4arch9wavefront6targetE1EEEvT1_ ; -- Begin function _ZN7rocprim17ROCPRIM_400000_NS6detail17trampoline_kernelINS0_14default_configENS1_25partition_config_selectorILNS1_17partition_subalgoE3EN6thrust23THRUST_200600_302600_NS5tupleIxxNS7_9null_typeES9_S9_S9_S9_S9_S9_S9_EENS0_10empty_typeEbEEZZNS1_14partition_implILS5_3ELb0ES3_jNS7_6detail15normal_iteratorINS7_7pointerISA_NS7_11hip_rocprim3tagENS7_11use_defaultESJ_EEEEPSB_SM_NS0_5tupleIJPSA_SM_EEENSN_IJSM_SM_EEESB_PlJ10is_orderedEEE10hipError_tPvRmT3_T4_T5_T6_T7_T9_mT8_P12ihipStream_tbDpT10_ENKUlT_T0_E_clISt17integral_constantIbLb1EES1C_EEDaS17_S18_EUlS17_E_NS1_11comp_targetILNS1_3genE10ELNS1_11target_archE1200ELNS1_3gpuE4ELNS1_3repE0EEENS1_30default_config_static_selectorELNS0_4arch9wavefront6targetE1EEEvT1_
	.globl	_ZN7rocprim17ROCPRIM_400000_NS6detail17trampoline_kernelINS0_14default_configENS1_25partition_config_selectorILNS1_17partition_subalgoE3EN6thrust23THRUST_200600_302600_NS5tupleIxxNS7_9null_typeES9_S9_S9_S9_S9_S9_S9_EENS0_10empty_typeEbEEZZNS1_14partition_implILS5_3ELb0ES3_jNS7_6detail15normal_iteratorINS7_7pointerISA_NS7_11hip_rocprim3tagENS7_11use_defaultESJ_EEEEPSB_SM_NS0_5tupleIJPSA_SM_EEENSN_IJSM_SM_EEESB_PlJ10is_orderedEEE10hipError_tPvRmT3_T4_T5_T6_T7_T9_mT8_P12ihipStream_tbDpT10_ENKUlT_T0_E_clISt17integral_constantIbLb1EES1C_EEDaS17_S18_EUlS17_E_NS1_11comp_targetILNS1_3genE10ELNS1_11target_archE1200ELNS1_3gpuE4ELNS1_3repE0EEENS1_30default_config_static_selectorELNS0_4arch9wavefront6targetE1EEEvT1_
	.p2align	8
	.type	_ZN7rocprim17ROCPRIM_400000_NS6detail17trampoline_kernelINS0_14default_configENS1_25partition_config_selectorILNS1_17partition_subalgoE3EN6thrust23THRUST_200600_302600_NS5tupleIxxNS7_9null_typeES9_S9_S9_S9_S9_S9_S9_EENS0_10empty_typeEbEEZZNS1_14partition_implILS5_3ELb0ES3_jNS7_6detail15normal_iteratorINS7_7pointerISA_NS7_11hip_rocprim3tagENS7_11use_defaultESJ_EEEEPSB_SM_NS0_5tupleIJPSA_SM_EEENSN_IJSM_SM_EEESB_PlJ10is_orderedEEE10hipError_tPvRmT3_T4_T5_T6_T7_T9_mT8_P12ihipStream_tbDpT10_ENKUlT_T0_E_clISt17integral_constantIbLb1EES1C_EEDaS17_S18_EUlS17_E_NS1_11comp_targetILNS1_3genE10ELNS1_11target_archE1200ELNS1_3gpuE4ELNS1_3repE0EEENS1_30default_config_static_selectorELNS0_4arch9wavefront6targetE1EEEvT1_,@function
_ZN7rocprim17ROCPRIM_400000_NS6detail17trampoline_kernelINS0_14default_configENS1_25partition_config_selectorILNS1_17partition_subalgoE3EN6thrust23THRUST_200600_302600_NS5tupleIxxNS7_9null_typeES9_S9_S9_S9_S9_S9_S9_EENS0_10empty_typeEbEEZZNS1_14partition_implILS5_3ELb0ES3_jNS7_6detail15normal_iteratorINS7_7pointerISA_NS7_11hip_rocprim3tagENS7_11use_defaultESJ_EEEEPSB_SM_NS0_5tupleIJPSA_SM_EEENSN_IJSM_SM_EEESB_PlJ10is_orderedEEE10hipError_tPvRmT3_T4_T5_T6_T7_T9_mT8_P12ihipStream_tbDpT10_ENKUlT_T0_E_clISt17integral_constantIbLb1EES1C_EEDaS17_S18_EUlS17_E_NS1_11comp_targetILNS1_3genE10ELNS1_11target_archE1200ELNS1_3gpuE4ELNS1_3repE0EEENS1_30default_config_static_selectorELNS0_4arch9wavefront6targetE1EEEvT1_: ; @_ZN7rocprim17ROCPRIM_400000_NS6detail17trampoline_kernelINS0_14default_configENS1_25partition_config_selectorILNS1_17partition_subalgoE3EN6thrust23THRUST_200600_302600_NS5tupleIxxNS7_9null_typeES9_S9_S9_S9_S9_S9_S9_EENS0_10empty_typeEbEEZZNS1_14partition_implILS5_3ELb0ES3_jNS7_6detail15normal_iteratorINS7_7pointerISA_NS7_11hip_rocprim3tagENS7_11use_defaultESJ_EEEEPSB_SM_NS0_5tupleIJPSA_SM_EEENSN_IJSM_SM_EEESB_PlJ10is_orderedEEE10hipError_tPvRmT3_T4_T5_T6_T7_T9_mT8_P12ihipStream_tbDpT10_ENKUlT_T0_E_clISt17integral_constantIbLb1EES1C_EEDaS17_S18_EUlS17_E_NS1_11comp_targetILNS1_3genE10ELNS1_11target_archE1200ELNS1_3gpuE4ELNS1_3repE0EEENS1_30default_config_static_selectorELNS0_4arch9wavefront6targetE1EEEvT1_
; %bb.0:
	.section	.rodata,"a",@progbits
	.p2align	6, 0x0
	.amdhsa_kernel _ZN7rocprim17ROCPRIM_400000_NS6detail17trampoline_kernelINS0_14default_configENS1_25partition_config_selectorILNS1_17partition_subalgoE3EN6thrust23THRUST_200600_302600_NS5tupleIxxNS7_9null_typeES9_S9_S9_S9_S9_S9_S9_EENS0_10empty_typeEbEEZZNS1_14partition_implILS5_3ELb0ES3_jNS7_6detail15normal_iteratorINS7_7pointerISA_NS7_11hip_rocprim3tagENS7_11use_defaultESJ_EEEEPSB_SM_NS0_5tupleIJPSA_SM_EEENSN_IJSM_SM_EEESB_PlJ10is_orderedEEE10hipError_tPvRmT3_T4_T5_T6_T7_T9_mT8_P12ihipStream_tbDpT10_ENKUlT_T0_E_clISt17integral_constantIbLb1EES1C_EEDaS17_S18_EUlS17_E_NS1_11comp_targetILNS1_3genE10ELNS1_11target_archE1200ELNS1_3gpuE4ELNS1_3repE0EEENS1_30default_config_static_selectorELNS0_4arch9wavefront6targetE1EEEvT1_
		.amdhsa_group_segment_fixed_size 0
		.amdhsa_private_segment_fixed_size 0
		.amdhsa_kernarg_size 136
		.amdhsa_user_sgpr_count 2
		.amdhsa_user_sgpr_dispatch_ptr 0
		.amdhsa_user_sgpr_queue_ptr 0
		.amdhsa_user_sgpr_kernarg_segment_ptr 1
		.amdhsa_user_sgpr_dispatch_id 0
		.amdhsa_user_sgpr_kernarg_preload_length 0
		.amdhsa_user_sgpr_kernarg_preload_offset 0
		.amdhsa_user_sgpr_private_segment_size 0
		.amdhsa_uses_dynamic_stack 0
		.amdhsa_enable_private_segment 0
		.amdhsa_system_sgpr_workgroup_id_x 1
		.amdhsa_system_sgpr_workgroup_id_y 0
		.amdhsa_system_sgpr_workgroup_id_z 0
		.amdhsa_system_sgpr_workgroup_info 0
		.amdhsa_system_vgpr_workitem_id 0
		.amdhsa_next_free_vgpr 1
		.amdhsa_next_free_sgpr 0
		.amdhsa_accum_offset 4
		.amdhsa_reserve_vcc 0
		.amdhsa_float_round_mode_32 0
		.amdhsa_float_round_mode_16_64 0
		.amdhsa_float_denorm_mode_32 3
		.amdhsa_float_denorm_mode_16_64 3
		.amdhsa_dx10_clamp 1
		.amdhsa_ieee_mode 1
		.amdhsa_fp16_overflow 0
		.amdhsa_tg_split 0
		.amdhsa_exception_fp_ieee_invalid_op 0
		.amdhsa_exception_fp_denorm_src 0
		.amdhsa_exception_fp_ieee_div_zero 0
		.amdhsa_exception_fp_ieee_overflow 0
		.amdhsa_exception_fp_ieee_underflow 0
		.amdhsa_exception_fp_ieee_inexact 0
		.amdhsa_exception_int_div_zero 0
	.end_amdhsa_kernel
	.section	.text._ZN7rocprim17ROCPRIM_400000_NS6detail17trampoline_kernelINS0_14default_configENS1_25partition_config_selectorILNS1_17partition_subalgoE3EN6thrust23THRUST_200600_302600_NS5tupleIxxNS7_9null_typeES9_S9_S9_S9_S9_S9_S9_EENS0_10empty_typeEbEEZZNS1_14partition_implILS5_3ELb0ES3_jNS7_6detail15normal_iteratorINS7_7pointerISA_NS7_11hip_rocprim3tagENS7_11use_defaultESJ_EEEEPSB_SM_NS0_5tupleIJPSA_SM_EEENSN_IJSM_SM_EEESB_PlJ10is_orderedEEE10hipError_tPvRmT3_T4_T5_T6_T7_T9_mT8_P12ihipStream_tbDpT10_ENKUlT_T0_E_clISt17integral_constantIbLb1EES1C_EEDaS17_S18_EUlS17_E_NS1_11comp_targetILNS1_3genE10ELNS1_11target_archE1200ELNS1_3gpuE4ELNS1_3repE0EEENS1_30default_config_static_selectorELNS0_4arch9wavefront6targetE1EEEvT1_,"axG",@progbits,_ZN7rocprim17ROCPRIM_400000_NS6detail17trampoline_kernelINS0_14default_configENS1_25partition_config_selectorILNS1_17partition_subalgoE3EN6thrust23THRUST_200600_302600_NS5tupleIxxNS7_9null_typeES9_S9_S9_S9_S9_S9_S9_EENS0_10empty_typeEbEEZZNS1_14partition_implILS5_3ELb0ES3_jNS7_6detail15normal_iteratorINS7_7pointerISA_NS7_11hip_rocprim3tagENS7_11use_defaultESJ_EEEEPSB_SM_NS0_5tupleIJPSA_SM_EEENSN_IJSM_SM_EEESB_PlJ10is_orderedEEE10hipError_tPvRmT3_T4_T5_T6_T7_T9_mT8_P12ihipStream_tbDpT10_ENKUlT_T0_E_clISt17integral_constantIbLb1EES1C_EEDaS17_S18_EUlS17_E_NS1_11comp_targetILNS1_3genE10ELNS1_11target_archE1200ELNS1_3gpuE4ELNS1_3repE0EEENS1_30default_config_static_selectorELNS0_4arch9wavefront6targetE1EEEvT1_,comdat
.Lfunc_end3468:
	.size	_ZN7rocprim17ROCPRIM_400000_NS6detail17trampoline_kernelINS0_14default_configENS1_25partition_config_selectorILNS1_17partition_subalgoE3EN6thrust23THRUST_200600_302600_NS5tupleIxxNS7_9null_typeES9_S9_S9_S9_S9_S9_S9_EENS0_10empty_typeEbEEZZNS1_14partition_implILS5_3ELb0ES3_jNS7_6detail15normal_iteratorINS7_7pointerISA_NS7_11hip_rocprim3tagENS7_11use_defaultESJ_EEEEPSB_SM_NS0_5tupleIJPSA_SM_EEENSN_IJSM_SM_EEESB_PlJ10is_orderedEEE10hipError_tPvRmT3_T4_T5_T6_T7_T9_mT8_P12ihipStream_tbDpT10_ENKUlT_T0_E_clISt17integral_constantIbLb1EES1C_EEDaS17_S18_EUlS17_E_NS1_11comp_targetILNS1_3genE10ELNS1_11target_archE1200ELNS1_3gpuE4ELNS1_3repE0EEENS1_30default_config_static_selectorELNS0_4arch9wavefront6targetE1EEEvT1_, .Lfunc_end3468-_ZN7rocprim17ROCPRIM_400000_NS6detail17trampoline_kernelINS0_14default_configENS1_25partition_config_selectorILNS1_17partition_subalgoE3EN6thrust23THRUST_200600_302600_NS5tupleIxxNS7_9null_typeES9_S9_S9_S9_S9_S9_S9_EENS0_10empty_typeEbEEZZNS1_14partition_implILS5_3ELb0ES3_jNS7_6detail15normal_iteratorINS7_7pointerISA_NS7_11hip_rocprim3tagENS7_11use_defaultESJ_EEEEPSB_SM_NS0_5tupleIJPSA_SM_EEENSN_IJSM_SM_EEESB_PlJ10is_orderedEEE10hipError_tPvRmT3_T4_T5_T6_T7_T9_mT8_P12ihipStream_tbDpT10_ENKUlT_T0_E_clISt17integral_constantIbLb1EES1C_EEDaS17_S18_EUlS17_E_NS1_11comp_targetILNS1_3genE10ELNS1_11target_archE1200ELNS1_3gpuE4ELNS1_3repE0EEENS1_30default_config_static_selectorELNS0_4arch9wavefront6targetE1EEEvT1_
                                        ; -- End function
	.section	.AMDGPU.csdata,"",@progbits
; Kernel info:
; codeLenInByte = 0
; NumSgprs: 6
; NumVgprs: 0
; NumAgprs: 0
; TotalNumVgprs: 0
; ScratchSize: 0
; MemoryBound: 0
; FloatMode: 240
; IeeeMode: 1
; LDSByteSize: 0 bytes/workgroup (compile time only)
; SGPRBlocks: 0
; VGPRBlocks: 0
; NumSGPRsForWavesPerEU: 6
; NumVGPRsForWavesPerEU: 1
; AccumOffset: 4
; Occupancy: 8
; WaveLimiterHint : 0
; COMPUTE_PGM_RSRC2:SCRATCH_EN: 0
; COMPUTE_PGM_RSRC2:USER_SGPR: 2
; COMPUTE_PGM_RSRC2:TRAP_HANDLER: 0
; COMPUTE_PGM_RSRC2:TGID_X_EN: 1
; COMPUTE_PGM_RSRC2:TGID_Y_EN: 0
; COMPUTE_PGM_RSRC2:TGID_Z_EN: 0
; COMPUTE_PGM_RSRC2:TIDIG_COMP_CNT: 0
; COMPUTE_PGM_RSRC3_GFX90A:ACCUM_OFFSET: 0
; COMPUTE_PGM_RSRC3_GFX90A:TG_SPLIT: 0
	.section	.text._ZN7rocprim17ROCPRIM_400000_NS6detail17trampoline_kernelINS0_14default_configENS1_25partition_config_selectorILNS1_17partition_subalgoE3EN6thrust23THRUST_200600_302600_NS5tupleIxxNS7_9null_typeES9_S9_S9_S9_S9_S9_S9_EENS0_10empty_typeEbEEZZNS1_14partition_implILS5_3ELb0ES3_jNS7_6detail15normal_iteratorINS7_7pointerISA_NS7_11hip_rocprim3tagENS7_11use_defaultESJ_EEEEPSB_SM_NS0_5tupleIJPSA_SM_EEENSN_IJSM_SM_EEESB_PlJ10is_orderedEEE10hipError_tPvRmT3_T4_T5_T6_T7_T9_mT8_P12ihipStream_tbDpT10_ENKUlT_T0_E_clISt17integral_constantIbLb1EES1C_EEDaS17_S18_EUlS17_E_NS1_11comp_targetILNS1_3genE9ELNS1_11target_archE1100ELNS1_3gpuE3ELNS1_3repE0EEENS1_30default_config_static_selectorELNS0_4arch9wavefront6targetE1EEEvT1_,"axG",@progbits,_ZN7rocprim17ROCPRIM_400000_NS6detail17trampoline_kernelINS0_14default_configENS1_25partition_config_selectorILNS1_17partition_subalgoE3EN6thrust23THRUST_200600_302600_NS5tupleIxxNS7_9null_typeES9_S9_S9_S9_S9_S9_S9_EENS0_10empty_typeEbEEZZNS1_14partition_implILS5_3ELb0ES3_jNS7_6detail15normal_iteratorINS7_7pointerISA_NS7_11hip_rocprim3tagENS7_11use_defaultESJ_EEEEPSB_SM_NS0_5tupleIJPSA_SM_EEENSN_IJSM_SM_EEESB_PlJ10is_orderedEEE10hipError_tPvRmT3_T4_T5_T6_T7_T9_mT8_P12ihipStream_tbDpT10_ENKUlT_T0_E_clISt17integral_constantIbLb1EES1C_EEDaS17_S18_EUlS17_E_NS1_11comp_targetILNS1_3genE9ELNS1_11target_archE1100ELNS1_3gpuE3ELNS1_3repE0EEENS1_30default_config_static_selectorELNS0_4arch9wavefront6targetE1EEEvT1_,comdat
	.protected	_ZN7rocprim17ROCPRIM_400000_NS6detail17trampoline_kernelINS0_14default_configENS1_25partition_config_selectorILNS1_17partition_subalgoE3EN6thrust23THRUST_200600_302600_NS5tupleIxxNS7_9null_typeES9_S9_S9_S9_S9_S9_S9_EENS0_10empty_typeEbEEZZNS1_14partition_implILS5_3ELb0ES3_jNS7_6detail15normal_iteratorINS7_7pointerISA_NS7_11hip_rocprim3tagENS7_11use_defaultESJ_EEEEPSB_SM_NS0_5tupleIJPSA_SM_EEENSN_IJSM_SM_EEESB_PlJ10is_orderedEEE10hipError_tPvRmT3_T4_T5_T6_T7_T9_mT8_P12ihipStream_tbDpT10_ENKUlT_T0_E_clISt17integral_constantIbLb1EES1C_EEDaS17_S18_EUlS17_E_NS1_11comp_targetILNS1_3genE9ELNS1_11target_archE1100ELNS1_3gpuE3ELNS1_3repE0EEENS1_30default_config_static_selectorELNS0_4arch9wavefront6targetE1EEEvT1_ ; -- Begin function _ZN7rocprim17ROCPRIM_400000_NS6detail17trampoline_kernelINS0_14default_configENS1_25partition_config_selectorILNS1_17partition_subalgoE3EN6thrust23THRUST_200600_302600_NS5tupleIxxNS7_9null_typeES9_S9_S9_S9_S9_S9_S9_EENS0_10empty_typeEbEEZZNS1_14partition_implILS5_3ELb0ES3_jNS7_6detail15normal_iteratorINS7_7pointerISA_NS7_11hip_rocprim3tagENS7_11use_defaultESJ_EEEEPSB_SM_NS0_5tupleIJPSA_SM_EEENSN_IJSM_SM_EEESB_PlJ10is_orderedEEE10hipError_tPvRmT3_T4_T5_T6_T7_T9_mT8_P12ihipStream_tbDpT10_ENKUlT_T0_E_clISt17integral_constantIbLb1EES1C_EEDaS17_S18_EUlS17_E_NS1_11comp_targetILNS1_3genE9ELNS1_11target_archE1100ELNS1_3gpuE3ELNS1_3repE0EEENS1_30default_config_static_selectorELNS0_4arch9wavefront6targetE1EEEvT1_
	.globl	_ZN7rocprim17ROCPRIM_400000_NS6detail17trampoline_kernelINS0_14default_configENS1_25partition_config_selectorILNS1_17partition_subalgoE3EN6thrust23THRUST_200600_302600_NS5tupleIxxNS7_9null_typeES9_S9_S9_S9_S9_S9_S9_EENS0_10empty_typeEbEEZZNS1_14partition_implILS5_3ELb0ES3_jNS7_6detail15normal_iteratorINS7_7pointerISA_NS7_11hip_rocprim3tagENS7_11use_defaultESJ_EEEEPSB_SM_NS0_5tupleIJPSA_SM_EEENSN_IJSM_SM_EEESB_PlJ10is_orderedEEE10hipError_tPvRmT3_T4_T5_T6_T7_T9_mT8_P12ihipStream_tbDpT10_ENKUlT_T0_E_clISt17integral_constantIbLb1EES1C_EEDaS17_S18_EUlS17_E_NS1_11comp_targetILNS1_3genE9ELNS1_11target_archE1100ELNS1_3gpuE3ELNS1_3repE0EEENS1_30default_config_static_selectorELNS0_4arch9wavefront6targetE1EEEvT1_
	.p2align	8
	.type	_ZN7rocprim17ROCPRIM_400000_NS6detail17trampoline_kernelINS0_14default_configENS1_25partition_config_selectorILNS1_17partition_subalgoE3EN6thrust23THRUST_200600_302600_NS5tupleIxxNS7_9null_typeES9_S9_S9_S9_S9_S9_S9_EENS0_10empty_typeEbEEZZNS1_14partition_implILS5_3ELb0ES3_jNS7_6detail15normal_iteratorINS7_7pointerISA_NS7_11hip_rocprim3tagENS7_11use_defaultESJ_EEEEPSB_SM_NS0_5tupleIJPSA_SM_EEENSN_IJSM_SM_EEESB_PlJ10is_orderedEEE10hipError_tPvRmT3_T4_T5_T6_T7_T9_mT8_P12ihipStream_tbDpT10_ENKUlT_T0_E_clISt17integral_constantIbLb1EES1C_EEDaS17_S18_EUlS17_E_NS1_11comp_targetILNS1_3genE9ELNS1_11target_archE1100ELNS1_3gpuE3ELNS1_3repE0EEENS1_30default_config_static_selectorELNS0_4arch9wavefront6targetE1EEEvT1_,@function
_ZN7rocprim17ROCPRIM_400000_NS6detail17trampoline_kernelINS0_14default_configENS1_25partition_config_selectorILNS1_17partition_subalgoE3EN6thrust23THRUST_200600_302600_NS5tupleIxxNS7_9null_typeES9_S9_S9_S9_S9_S9_S9_EENS0_10empty_typeEbEEZZNS1_14partition_implILS5_3ELb0ES3_jNS7_6detail15normal_iteratorINS7_7pointerISA_NS7_11hip_rocprim3tagENS7_11use_defaultESJ_EEEEPSB_SM_NS0_5tupleIJPSA_SM_EEENSN_IJSM_SM_EEESB_PlJ10is_orderedEEE10hipError_tPvRmT3_T4_T5_T6_T7_T9_mT8_P12ihipStream_tbDpT10_ENKUlT_T0_E_clISt17integral_constantIbLb1EES1C_EEDaS17_S18_EUlS17_E_NS1_11comp_targetILNS1_3genE9ELNS1_11target_archE1100ELNS1_3gpuE3ELNS1_3repE0EEENS1_30default_config_static_selectorELNS0_4arch9wavefront6targetE1EEEvT1_: ; @_ZN7rocprim17ROCPRIM_400000_NS6detail17trampoline_kernelINS0_14default_configENS1_25partition_config_selectorILNS1_17partition_subalgoE3EN6thrust23THRUST_200600_302600_NS5tupleIxxNS7_9null_typeES9_S9_S9_S9_S9_S9_S9_EENS0_10empty_typeEbEEZZNS1_14partition_implILS5_3ELb0ES3_jNS7_6detail15normal_iteratorINS7_7pointerISA_NS7_11hip_rocprim3tagENS7_11use_defaultESJ_EEEEPSB_SM_NS0_5tupleIJPSA_SM_EEENSN_IJSM_SM_EEESB_PlJ10is_orderedEEE10hipError_tPvRmT3_T4_T5_T6_T7_T9_mT8_P12ihipStream_tbDpT10_ENKUlT_T0_E_clISt17integral_constantIbLb1EES1C_EEDaS17_S18_EUlS17_E_NS1_11comp_targetILNS1_3genE9ELNS1_11target_archE1100ELNS1_3gpuE3ELNS1_3repE0EEENS1_30default_config_static_selectorELNS0_4arch9wavefront6targetE1EEEvT1_
; %bb.0:
	.section	.rodata,"a",@progbits
	.p2align	6, 0x0
	.amdhsa_kernel _ZN7rocprim17ROCPRIM_400000_NS6detail17trampoline_kernelINS0_14default_configENS1_25partition_config_selectorILNS1_17partition_subalgoE3EN6thrust23THRUST_200600_302600_NS5tupleIxxNS7_9null_typeES9_S9_S9_S9_S9_S9_S9_EENS0_10empty_typeEbEEZZNS1_14partition_implILS5_3ELb0ES3_jNS7_6detail15normal_iteratorINS7_7pointerISA_NS7_11hip_rocprim3tagENS7_11use_defaultESJ_EEEEPSB_SM_NS0_5tupleIJPSA_SM_EEENSN_IJSM_SM_EEESB_PlJ10is_orderedEEE10hipError_tPvRmT3_T4_T5_T6_T7_T9_mT8_P12ihipStream_tbDpT10_ENKUlT_T0_E_clISt17integral_constantIbLb1EES1C_EEDaS17_S18_EUlS17_E_NS1_11comp_targetILNS1_3genE9ELNS1_11target_archE1100ELNS1_3gpuE3ELNS1_3repE0EEENS1_30default_config_static_selectorELNS0_4arch9wavefront6targetE1EEEvT1_
		.amdhsa_group_segment_fixed_size 0
		.amdhsa_private_segment_fixed_size 0
		.amdhsa_kernarg_size 136
		.amdhsa_user_sgpr_count 2
		.amdhsa_user_sgpr_dispatch_ptr 0
		.amdhsa_user_sgpr_queue_ptr 0
		.amdhsa_user_sgpr_kernarg_segment_ptr 1
		.amdhsa_user_sgpr_dispatch_id 0
		.amdhsa_user_sgpr_kernarg_preload_length 0
		.amdhsa_user_sgpr_kernarg_preload_offset 0
		.amdhsa_user_sgpr_private_segment_size 0
		.amdhsa_uses_dynamic_stack 0
		.amdhsa_enable_private_segment 0
		.amdhsa_system_sgpr_workgroup_id_x 1
		.amdhsa_system_sgpr_workgroup_id_y 0
		.amdhsa_system_sgpr_workgroup_id_z 0
		.amdhsa_system_sgpr_workgroup_info 0
		.amdhsa_system_vgpr_workitem_id 0
		.amdhsa_next_free_vgpr 1
		.amdhsa_next_free_sgpr 0
		.amdhsa_accum_offset 4
		.amdhsa_reserve_vcc 0
		.amdhsa_float_round_mode_32 0
		.amdhsa_float_round_mode_16_64 0
		.amdhsa_float_denorm_mode_32 3
		.amdhsa_float_denorm_mode_16_64 3
		.amdhsa_dx10_clamp 1
		.amdhsa_ieee_mode 1
		.amdhsa_fp16_overflow 0
		.amdhsa_tg_split 0
		.amdhsa_exception_fp_ieee_invalid_op 0
		.amdhsa_exception_fp_denorm_src 0
		.amdhsa_exception_fp_ieee_div_zero 0
		.amdhsa_exception_fp_ieee_overflow 0
		.amdhsa_exception_fp_ieee_underflow 0
		.amdhsa_exception_fp_ieee_inexact 0
		.amdhsa_exception_int_div_zero 0
	.end_amdhsa_kernel
	.section	.text._ZN7rocprim17ROCPRIM_400000_NS6detail17trampoline_kernelINS0_14default_configENS1_25partition_config_selectorILNS1_17partition_subalgoE3EN6thrust23THRUST_200600_302600_NS5tupleIxxNS7_9null_typeES9_S9_S9_S9_S9_S9_S9_EENS0_10empty_typeEbEEZZNS1_14partition_implILS5_3ELb0ES3_jNS7_6detail15normal_iteratorINS7_7pointerISA_NS7_11hip_rocprim3tagENS7_11use_defaultESJ_EEEEPSB_SM_NS0_5tupleIJPSA_SM_EEENSN_IJSM_SM_EEESB_PlJ10is_orderedEEE10hipError_tPvRmT3_T4_T5_T6_T7_T9_mT8_P12ihipStream_tbDpT10_ENKUlT_T0_E_clISt17integral_constantIbLb1EES1C_EEDaS17_S18_EUlS17_E_NS1_11comp_targetILNS1_3genE9ELNS1_11target_archE1100ELNS1_3gpuE3ELNS1_3repE0EEENS1_30default_config_static_selectorELNS0_4arch9wavefront6targetE1EEEvT1_,"axG",@progbits,_ZN7rocprim17ROCPRIM_400000_NS6detail17trampoline_kernelINS0_14default_configENS1_25partition_config_selectorILNS1_17partition_subalgoE3EN6thrust23THRUST_200600_302600_NS5tupleIxxNS7_9null_typeES9_S9_S9_S9_S9_S9_S9_EENS0_10empty_typeEbEEZZNS1_14partition_implILS5_3ELb0ES3_jNS7_6detail15normal_iteratorINS7_7pointerISA_NS7_11hip_rocprim3tagENS7_11use_defaultESJ_EEEEPSB_SM_NS0_5tupleIJPSA_SM_EEENSN_IJSM_SM_EEESB_PlJ10is_orderedEEE10hipError_tPvRmT3_T4_T5_T6_T7_T9_mT8_P12ihipStream_tbDpT10_ENKUlT_T0_E_clISt17integral_constantIbLb1EES1C_EEDaS17_S18_EUlS17_E_NS1_11comp_targetILNS1_3genE9ELNS1_11target_archE1100ELNS1_3gpuE3ELNS1_3repE0EEENS1_30default_config_static_selectorELNS0_4arch9wavefront6targetE1EEEvT1_,comdat
.Lfunc_end3469:
	.size	_ZN7rocprim17ROCPRIM_400000_NS6detail17trampoline_kernelINS0_14default_configENS1_25partition_config_selectorILNS1_17partition_subalgoE3EN6thrust23THRUST_200600_302600_NS5tupleIxxNS7_9null_typeES9_S9_S9_S9_S9_S9_S9_EENS0_10empty_typeEbEEZZNS1_14partition_implILS5_3ELb0ES3_jNS7_6detail15normal_iteratorINS7_7pointerISA_NS7_11hip_rocprim3tagENS7_11use_defaultESJ_EEEEPSB_SM_NS0_5tupleIJPSA_SM_EEENSN_IJSM_SM_EEESB_PlJ10is_orderedEEE10hipError_tPvRmT3_T4_T5_T6_T7_T9_mT8_P12ihipStream_tbDpT10_ENKUlT_T0_E_clISt17integral_constantIbLb1EES1C_EEDaS17_S18_EUlS17_E_NS1_11comp_targetILNS1_3genE9ELNS1_11target_archE1100ELNS1_3gpuE3ELNS1_3repE0EEENS1_30default_config_static_selectorELNS0_4arch9wavefront6targetE1EEEvT1_, .Lfunc_end3469-_ZN7rocprim17ROCPRIM_400000_NS6detail17trampoline_kernelINS0_14default_configENS1_25partition_config_selectorILNS1_17partition_subalgoE3EN6thrust23THRUST_200600_302600_NS5tupleIxxNS7_9null_typeES9_S9_S9_S9_S9_S9_S9_EENS0_10empty_typeEbEEZZNS1_14partition_implILS5_3ELb0ES3_jNS7_6detail15normal_iteratorINS7_7pointerISA_NS7_11hip_rocprim3tagENS7_11use_defaultESJ_EEEEPSB_SM_NS0_5tupleIJPSA_SM_EEENSN_IJSM_SM_EEESB_PlJ10is_orderedEEE10hipError_tPvRmT3_T4_T5_T6_T7_T9_mT8_P12ihipStream_tbDpT10_ENKUlT_T0_E_clISt17integral_constantIbLb1EES1C_EEDaS17_S18_EUlS17_E_NS1_11comp_targetILNS1_3genE9ELNS1_11target_archE1100ELNS1_3gpuE3ELNS1_3repE0EEENS1_30default_config_static_selectorELNS0_4arch9wavefront6targetE1EEEvT1_
                                        ; -- End function
	.section	.AMDGPU.csdata,"",@progbits
; Kernel info:
; codeLenInByte = 0
; NumSgprs: 6
; NumVgprs: 0
; NumAgprs: 0
; TotalNumVgprs: 0
; ScratchSize: 0
; MemoryBound: 0
; FloatMode: 240
; IeeeMode: 1
; LDSByteSize: 0 bytes/workgroup (compile time only)
; SGPRBlocks: 0
; VGPRBlocks: 0
; NumSGPRsForWavesPerEU: 6
; NumVGPRsForWavesPerEU: 1
; AccumOffset: 4
; Occupancy: 8
; WaveLimiterHint : 0
; COMPUTE_PGM_RSRC2:SCRATCH_EN: 0
; COMPUTE_PGM_RSRC2:USER_SGPR: 2
; COMPUTE_PGM_RSRC2:TRAP_HANDLER: 0
; COMPUTE_PGM_RSRC2:TGID_X_EN: 1
; COMPUTE_PGM_RSRC2:TGID_Y_EN: 0
; COMPUTE_PGM_RSRC2:TGID_Z_EN: 0
; COMPUTE_PGM_RSRC2:TIDIG_COMP_CNT: 0
; COMPUTE_PGM_RSRC3_GFX90A:ACCUM_OFFSET: 0
; COMPUTE_PGM_RSRC3_GFX90A:TG_SPLIT: 0
	.section	.text._ZN7rocprim17ROCPRIM_400000_NS6detail17trampoline_kernelINS0_14default_configENS1_25partition_config_selectorILNS1_17partition_subalgoE3EN6thrust23THRUST_200600_302600_NS5tupleIxxNS7_9null_typeES9_S9_S9_S9_S9_S9_S9_EENS0_10empty_typeEbEEZZNS1_14partition_implILS5_3ELb0ES3_jNS7_6detail15normal_iteratorINS7_7pointerISA_NS7_11hip_rocprim3tagENS7_11use_defaultESJ_EEEEPSB_SM_NS0_5tupleIJPSA_SM_EEENSN_IJSM_SM_EEESB_PlJ10is_orderedEEE10hipError_tPvRmT3_T4_T5_T6_T7_T9_mT8_P12ihipStream_tbDpT10_ENKUlT_T0_E_clISt17integral_constantIbLb1EES1C_EEDaS17_S18_EUlS17_E_NS1_11comp_targetILNS1_3genE8ELNS1_11target_archE1030ELNS1_3gpuE2ELNS1_3repE0EEENS1_30default_config_static_selectorELNS0_4arch9wavefront6targetE1EEEvT1_,"axG",@progbits,_ZN7rocprim17ROCPRIM_400000_NS6detail17trampoline_kernelINS0_14default_configENS1_25partition_config_selectorILNS1_17partition_subalgoE3EN6thrust23THRUST_200600_302600_NS5tupleIxxNS7_9null_typeES9_S9_S9_S9_S9_S9_S9_EENS0_10empty_typeEbEEZZNS1_14partition_implILS5_3ELb0ES3_jNS7_6detail15normal_iteratorINS7_7pointerISA_NS7_11hip_rocprim3tagENS7_11use_defaultESJ_EEEEPSB_SM_NS0_5tupleIJPSA_SM_EEENSN_IJSM_SM_EEESB_PlJ10is_orderedEEE10hipError_tPvRmT3_T4_T5_T6_T7_T9_mT8_P12ihipStream_tbDpT10_ENKUlT_T0_E_clISt17integral_constantIbLb1EES1C_EEDaS17_S18_EUlS17_E_NS1_11comp_targetILNS1_3genE8ELNS1_11target_archE1030ELNS1_3gpuE2ELNS1_3repE0EEENS1_30default_config_static_selectorELNS0_4arch9wavefront6targetE1EEEvT1_,comdat
	.protected	_ZN7rocprim17ROCPRIM_400000_NS6detail17trampoline_kernelINS0_14default_configENS1_25partition_config_selectorILNS1_17partition_subalgoE3EN6thrust23THRUST_200600_302600_NS5tupleIxxNS7_9null_typeES9_S9_S9_S9_S9_S9_S9_EENS0_10empty_typeEbEEZZNS1_14partition_implILS5_3ELb0ES3_jNS7_6detail15normal_iteratorINS7_7pointerISA_NS7_11hip_rocprim3tagENS7_11use_defaultESJ_EEEEPSB_SM_NS0_5tupleIJPSA_SM_EEENSN_IJSM_SM_EEESB_PlJ10is_orderedEEE10hipError_tPvRmT3_T4_T5_T6_T7_T9_mT8_P12ihipStream_tbDpT10_ENKUlT_T0_E_clISt17integral_constantIbLb1EES1C_EEDaS17_S18_EUlS17_E_NS1_11comp_targetILNS1_3genE8ELNS1_11target_archE1030ELNS1_3gpuE2ELNS1_3repE0EEENS1_30default_config_static_selectorELNS0_4arch9wavefront6targetE1EEEvT1_ ; -- Begin function _ZN7rocprim17ROCPRIM_400000_NS6detail17trampoline_kernelINS0_14default_configENS1_25partition_config_selectorILNS1_17partition_subalgoE3EN6thrust23THRUST_200600_302600_NS5tupleIxxNS7_9null_typeES9_S9_S9_S9_S9_S9_S9_EENS0_10empty_typeEbEEZZNS1_14partition_implILS5_3ELb0ES3_jNS7_6detail15normal_iteratorINS7_7pointerISA_NS7_11hip_rocprim3tagENS7_11use_defaultESJ_EEEEPSB_SM_NS0_5tupleIJPSA_SM_EEENSN_IJSM_SM_EEESB_PlJ10is_orderedEEE10hipError_tPvRmT3_T4_T5_T6_T7_T9_mT8_P12ihipStream_tbDpT10_ENKUlT_T0_E_clISt17integral_constantIbLb1EES1C_EEDaS17_S18_EUlS17_E_NS1_11comp_targetILNS1_3genE8ELNS1_11target_archE1030ELNS1_3gpuE2ELNS1_3repE0EEENS1_30default_config_static_selectorELNS0_4arch9wavefront6targetE1EEEvT1_
	.globl	_ZN7rocprim17ROCPRIM_400000_NS6detail17trampoline_kernelINS0_14default_configENS1_25partition_config_selectorILNS1_17partition_subalgoE3EN6thrust23THRUST_200600_302600_NS5tupleIxxNS7_9null_typeES9_S9_S9_S9_S9_S9_S9_EENS0_10empty_typeEbEEZZNS1_14partition_implILS5_3ELb0ES3_jNS7_6detail15normal_iteratorINS7_7pointerISA_NS7_11hip_rocprim3tagENS7_11use_defaultESJ_EEEEPSB_SM_NS0_5tupleIJPSA_SM_EEENSN_IJSM_SM_EEESB_PlJ10is_orderedEEE10hipError_tPvRmT3_T4_T5_T6_T7_T9_mT8_P12ihipStream_tbDpT10_ENKUlT_T0_E_clISt17integral_constantIbLb1EES1C_EEDaS17_S18_EUlS17_E_NS1_11comp_targetILNS1_3genE8ELNS1_11target_archE1030ELNS1_3gpuE2ELNS1_3repE0EEENS1_30default_config_static_selectorELNS0_4arch9wavefront6targetE1EEEvT1_
	.p2align	8
	.type	_ZN7rocprim17ROCPRIM_400000_NS6detail17trampoline_kernelINS0_14default_configENS1_25partition_config_selectorILNS1_17partition_subalgoE3EN6thrust23THRUST_200600_302600_NS5tupleIxxNS7_9null_typeES9_S9_S9_S9_S9_S9_S9_EENS0_10empty_typeEbEEZZNS1_14partition_implILS5_3ELb0ES3_jNS7_6detail15normal_iteratorINS7_7pointerISA_NS7_11hip_rocprim3tagENS7_11use_defaultESJ_EEEEPSB_SM_NS0_5tupleIJPSA_SM_EEENSN_IJSM_SM_EEESB_PlJ10is_orderedEEE10hipError_tPvRmT3_T4_T5_T6_T7_T9_mT8_P12ihipStream_tbDpT10_ENKUlT_T0_E_clISt17integral_constantIbLb1EES1C_EEDaS17_S18_EUlS17_E_NS1_11comp_targetILNS1_3genE8ELNS1_11target_archE1030ELNS1_3gpuE2ELNS1_3repE0EEENS1_30default_config_static_selectorELNS0_4arch9wavefront6targetE1EEEvT1_,@function
_ZN7rocprim17ROCPRIM_400000_NS6detail17trampoline_kernelINS0_14default_configENS1_25partition_config_selectorILNS1_17partition_subalgoE3EN6thrust23THRUST_200600_302600_NS5tupleIxxNS7_9null_typeES9_S9_S9_S9_S9_S9_S9_EENS0_10empty_typeEbEEZZNS1_14partition_implILS5_3ELb0ES3_jNS7_6detail15normal_iteratorINS7_7pointerISA_NS7_11hip_rocprim3tagENS7_11use_defaultESJ_EEEEPSB_SM_NS0_5tupleIJPSA_SM_EEENSN_IJSM_SM_EEESB_PlJ10is_orderedEEE10hipError_tPvRmT3_T4_T5_T6_T7_T9_mT8_P12ihipStream_tbDpT10_ENKUlT_T0_E_clISt17integral_constantIbLb1EES1C_EEDaS17_S18_EUlS17_E_NS1_11comp_targetILNS1_3genE8ELNS1_11target_archE1030ELNS1_3gpuE2ELNS1_3repE0EEENS1_30default_config_static_selectorELNS0_4arch9wavefront6targetE1EEEvT1_: ; @_ZN7rocprim17ROCPRIM_400000_NS6detail17trampoline_kernelINS0_14default_configENS1_25partition_config_selectorILNS1_17partition_subalgoE3EN6thrust23THRUST_200600_302600_NS5tupleIxxNS7_9null_typeES9_S9_S9_S9_S9_S9_S9_EENS0_10empty_typeEbEEZZNS1_14partition_implILS5_3ELb0ES3_jNS7_6detail15normal_iteratorINS7_7pointerISA_NS7_11hip_rocprim3tagENS7_11use_defaultESJ_EEEEPSB_SM_NS0_5tupleIJPSA_SM_EEENSN_IJSM_SM_EEESB_PlJ10is_orderedEEE10hipError_tPvRmT3_T4_T5_T6_T7_T9_mT8_P12ihipStream_tbDpT10_ENKUlT_T0_E_clISt17integral_constantIbLb1EES1C_EEDaS17_S18_EUlS17_E_NS1_11comp_targetILNS1_3genE8ELNS1_11target_archE1030ELNS1_3gpuE2ELNS1_3repE0EEENS1_30default_config_static_selectorELNS0_4arch9wavefront6targetE1EEEvT1_
; %bb.0:
	.section	.rodata,"a",@progbits
	.p2align	6, 0x0
	.amdhsa_kernel _ZN7rocprim17ROCPRIM_400000_NS6detail17trampoline_kernelINS0_14default_configENS1_25partition_config_selectorILNS1_17partition_subalgoE3EN6thrust23THRUST_200600_302600_NS5tupleIxxNS7_9null_typeES9_S9_S9_S9_S9_S9_S9_EENS0_10empty_typeEbEEZZNS1_14partition_implILS5_3ELb0ES3_jNS7_6detail15normal_iteratorINS7_7pointerISA_NS7_11hip_rocprim3tagENS7_11use_defaultESJ_EEEEPSB_SM_NS0_5tupleIJPSA_SM_EEENSN_IJSM_SM_EEESB_PlJ10is_orderedEEE10hipError_tPvRmT3_T4_T5_T6_T7_T9_mT8_P12ihipStream_tbDpT10_ENKUlT_T0_E_clISt17integral_constantIbLb1EES1C_EEDaS17_S18_EUlS17_E_NS1_11comp_targetILNS1_3genE8ELNS1_11target_archE1030ELNS1_3gpuE2ELNS1_3repE0EEENS1_30default_config_static_selectorELNS0_4arch9wavefront6targetE1EEEvT1_
		.amdhsa_group_segment_fixed_size 0
		.amdhsa_private_segment_fixed_size 0
		.amdhsa_kernarg_size 136
		.amdhsa_user_sgpr_count 2
		.amdhsa_user_sgpr_dispatch_ptr 0
		.amdhsa_user_sgpr_queue_ptr 0
		.amdhsa_user_sgpr_kernarg_segment_ptr 1
		.amdhsa_user_sgpr_dispatch_id 0
		.amdhsa_user_sgpr_kernarg_preload_length 0
		.amdhsa_user_sgpr_kernarg_preload_offset 0
		.amdhsa_user_sgpr_private_segment_size 0
		.amdhsa_uses_dynamic_stack 0
		.amdhsa_enable_private_segment 0
		.amdhsa_system_sgpr_workgroup_id_x 1
		.amdhsa_system_sgpr_workgroup_id_y 0
		.amdhsa_system_sgpr_workgroup_id_z 0
		.amdhsa_system_sgpr_workgroup_info 0
		.amdhsa_system_vgpr_workitem_id 0
		.amdhsa_next_free_vgpr 1
		.amdhsa_next_free_sgpr 0
		.amdhsa_accum_offset 4
		.amdhsa_reserve_vcc 0
		.amdhsa_float_round_mode_32 0
		.amdhsa_float_round_mode_16_64 0
		.amdhsa_float_denorm_mode_32 3
		.amdhsa_float_denorm_mode_16_64 3
		.amdhsa_dx10_clamp 1
		.amdhsa_ieee_mode 1
		.amdhsa_fp16_overflow 0
		.amdhsa_tg_split 0
		.amdhsa_exception_fp_ieee_invalid_op 0
		.amdhsa_exception_fp_denorm_src 0
		.amdhsa_exception_fp_ieee_div_zero 0
		.amdhsa_exception_fp_ieee_overflow 0
		.amdhsa_exception_fp_ieee_underflow 0
		.amdhsa_exception_fp_ieee_inexact 0
		.amdhsa_exception_int_div_zero 0
	.end_amdhsa_kernel
	.section	.text._ZN7rocprim17ROCPRIM_400000_NS6detail17trampoline_kernelINS0_14default_configENS1_25partition_config_selectorILNS1_17partition_subalgoE3EN6thrust23THRUST_200600_302600_NS5tupleIxxNS7_9null_typeES9_S9_S9_S9_S9_S9_S9_EENS0_10empty_typeEbEEZZNS1_14partition_implILS5_3ELb0ES3_jNS7_6detail15normal_iteratorINS7_7pointerISA_NS7_11hip_rocprim3tagENS7_11use_defaultESJ_EEEEPSB_SM_NS0_5tupleIJPSA_SM_EEENSN_IJSM_SM_EEESB_PlJ10is_orderedEEE10hipError_tPvRmT3_T4_T5_T6_T7_T9_mT8_P12ihipStream_tbDpT10_ENKUlT_T0_E_clISt17integral_constantIbLb1EES1C_EEDaS17_S18_EUlS17_E_NS1_11comp_targetILNS1_3genE8ELNS1_11target_archE1030ELNS1_3gpuE2ELNS1_3repE0EEENS1_30default_config_static_selectorELNS0_4arch9wavefront6targetE1EEEvT1_,"axG",@progbits,_ZN7rocprim17ROCPRIM_400000_NS6detail17trampoline_kernelINS0_14default_configENS1_25partition_config_selectorILNS1_17partition_subalgoE3EN6thrust23THRUST_200600_302600_NS5tupleIxxNS7_9null_typeES9_S9_S9_S9_S9_S9_S9_EENS0_10empty_typeEbEEZZNS1_14partition_implILS5_3ELb0ES3_jNS7_6detail15normal_iteratorINS7_7pointerISA_NS7_11hip_rocprim3tagENS7_11use_defaultESJ_EEEEPSB_SM_NS0_5tupleIJPSA_SM_EEENSN_IJSM_SM_EEESB_PlJ10is_orderedEEE10hipError_tPvRmT3_T4_T5_T6_T7_T9_mT8_P12ihipStream_tbDpT10_ENKUlT_T0_E_clISt17integral_constantIbLb1EES1C_EEDaS17_S18_EUlS17_E_NS1_11comp_targetILNS1_3genE8ELNS1_11target_archE1030ELNS1_3gpuE2ELNS1_3repE0EEENS1_30default_config_static_selectorELNS0_4arch9wavefront6targetE1EEEvT1_,comdat
.Lfunc_end3470:
	.size	_ZN7rocprim17ROCPRIM_400000_NS6detail17trampoline_kernelINS0_14default_configENS1_25partition_config_selectorILNS1_17partition_subalgoE3EN6thrust23THRUST_200600_302600_NS5tupleIxxNS7_9null_typeES9_S9_S9_S9_S9_S9_S9_EENS0_10empty_typeEbEEZZNS1_14partition_implILS5_3ELb0ES3_jNS7_6detail15normal_iteratorINS7_7pointerISA_NS7_11hip_rocprim3tagENS7_11use_defaultESJ_EEEEPSB_SM_NS0_5tupleIJPSA_SM_EEENSN_IJSM_SM_EEESB_PlJ10is_orderedEEE10hipError_tPvRmT3_T4_T5_T6_T7_T9_mT8_P12ihipStream_tbDpT10_ENKUlT_T0_E_clISt17integral_constantIbLb1EES1C_EEDaS17_S18_EUlS17_E_NS1_11comp_targetILNS1_3genE8ELNS1_11target_archE1030ELNS1_3gpuE2ELNS1_3repE0EEENS1_30default_config_static_selectorELNS0_4arch9wavefront6targetE1EEEvT1_, .Lfunc_end3470-_ZN7rocprim17ROCPRIM_400000_NS6detail17trampoline_kernelINS0_14default_configENS1_25partition_config_selectorILNS1_17partition_subalgoE3EN6thrust23THRUST_200600_302600_NS5tupleIxxNS7_9null_typeES9_S9_S9_S9_S9_S9_S9_EENS0_10empty_typeEbEEZZNS1_14partition_implILS5_3ELb0ES3_jNS7_6detail15normal_iteratorINS7_7pointerISA_NS7_11hip_rocprim3tagENS7_11use_defaultESJ_EEEEPSB_SM_NS0_5tupleIJPSA_SM_EEENSN_IJSM_SM_EEESB_PlJ10is_orderedEEE10hipError_tPvRmT3_T4_T5_T6_T7_T9_mT8_P12ihipStream_tbDpT10_ENKUlT_T0_E_clISt17integral_constantIbLb1EES1C_EEDaS17_S18_EUlS17_E_NS1_11comp_targetILNS1_3genE8ELNS1_11target_archE1030ELNS1_3gpuE2ELNS1_3repE0EEENS1_30default_config_static_selectorELNS0_4arch9wavefront6targetE1EEEvT1_
                                        ; -- End function
	.section	.AMDGPU.csdata,"",@progbits
; Kernel info:
; codeLenInByte = 0
; NumSgprs: 6
; NumVgprs: 0
; NumAgprs: 0
; TotalNumVgprs: 0
; ScratchSize: 0
; MemoryBound: 0
; FloatMode: 240
; IeeeMode: 1
; LDSByteSize: 0 bytes/workgroup (compile time only)
; SGPRBlocks: 0
; VGPRBlocks: 0
; NumSGPRsForWavesPerEU: 6
; NumVGPRsForWavesPerEU: 1
; AccumOffset: 4
; Occupancy: 8
; WaveLimiterHint : 0
; COMPUTE_PGM_RSRC2:SCRATCH_EN: 0
; COMPUTE_PGM_RSRC2:USER_SGPR: 2
; COMPUTE_PGM_RSRC2:TRAP_HANDLER: 0
; COMPUTE_PGM_RSRC2:TGID_X_EN: 1
; COMPUTE_PGM_RSRC2:TGID_Y_EN: 0
; COMPUTE_PGM_RSRC2:TGID_Z_EN: 0
; COMPUTE_PGM_RSRC2:TIDIG_COMP_CNT: 0
; COMPUTE_PGM_RSRC3_GFX90A:ACCUM_OFFSET: 0
; COMPUTE_PGM_RSRC3_GFX90A:TG_SPLIT: 0
	.section	.text._ZN7rocprim17ROCPRIM_400000_NS6detail17trampoline_kernelINS0_14default_configENS1_25partition_config_selectorILNS1_17partition_subalgoE3EN6thrust23THRUST_200600_302600_NS5tupleIxxNS7_9null_typeES9_S9_S9_S9_S9_S9_S9_EENS0_10empty_typeEbEEZZNS1_14partition_implILS5_3ELb0ES3_jNS7_6detail15normal_iteratorINS7_7pointerISA_NS7_11hip_rocprim3tagENS7_11use_defaultESJ_EEEEPSB_SM_NS0_5tupleIJPSA_SM_EEENSN_IJSM_SM_EEESB_PlJ10is_orderedEEE10hipError_tPvRmT3_T4_T5_T6_T7_T9_mT8_P12ihipStream_tbDpT10_ENKUlT_T0_E_clISt17integral_constantIbLb1EES1B_IbLb0EEEEDaS17_S18_EUlS17_E_NS1_11comp_targetILNS1_3genE0ELNS1_11target_archE4294967295ELNS1_3gpuE0ELNS1_3repE0EEENS1_30default_config_static_selectorELNS0_4arch9wavefront6targetE1EEEvT1_,"axG",@progbits,_ZN7rocprim17ROCPRIM_400000_NS6detail17trampoline_kernelINS0_14default_configENS1_25partition_config_selectorILNS1_17partition_subalgoE3EN6thrust23THRUST_200600_302600_NS5tupleIxxNS7_9null_typeES9_S9_S9_S9_S9_S9_S9_EENS0_10empty_typeEbEEZZNS1_14partition_implILS5_3ELb0ES3_jNS7_6detail15normal_iteratorINS7_7pointerISA_NS7_11hip_rocprim3tagENS7_11use_defaultESJ_EEEEPSB_SM_NS0_5tupleIJPSA_SM_EEENSN_IJSM_SM_EEESB_PlJ10is_orderedEEE10hipError_tPvRmT3_T4_T5_T6_T7_T9_mT8_P12ihipStream_tbDpT10_ENKUlT_T0_E_clISt17integral_constantIbLb1EES1B_IbLb0EEEEDaS17_S18_EUlS17_E_NS1_11comp_targetILNS1_3genE0ELNS1_11target_archE4294967295ELNS1_3gpuE0ELNS1_3repE0EEENS1_30default_config_static_selectorELNS0_4arch9wavefront6targetE1EEEvT1_,comdat
	.protected	_ZN7rocprim17ROCPRIM_400000_NS6detail17trampoline_kernelINS0_14default_configENS1_25partition_config_selectorILNS1_17partition_subalgoE3EN6thrust23THRUST_200600_302600_NS5tupleIxxNS7_9null_typeES9_S9_S9_S9_S9_S9_S9_EENS0_10empty_typeEbEEZZNS1_14partition_implILS5_3ELb0ES3_jNS7_6detail15normal_iteratorINS7_7pointerISA_NS7_11hip_rocprim3tagENS7_11use_defaultESJ_EEEEPSB_SM_NS0_5tupleIJPSA_SM_EEENSN_IJSM_SM_EEESB_PlJ10is_orderedEEE10hipError_tPvRmT3_T4_T5_T6_T7_T9_mT8_P12ihipStream_tbDpT10_ENKUlT_T0_E_clISt17integral_constantIbLb1EES1B_IbLb0EEEEDaS17_S18_EUlS17_E_NS1_11comp_targetILNS1_3genE0ELNS1_11target_archE4294967295ELNS1_3gpuE0ELNS1_3repE0EEENS1_30default_config_static_selectorELNS0_4arch9wavefront6targetE1EEEvT1_ ; -- Begin function _ZN7rocprim17ROCPRIM_400000_NS6detail17trampoline_kernelINS0_14default_configENS1_25partition_config_selectorILNS1_17partition_subalgoE3EN6thrust23THRUST_200600_302600_NS5tupleIxxNS7_9null_typeES9_S9_S9_S9_S9_S9_S9_EENS0_10empty_typeEbEEZZNS1_14partition_implILS5_3ELb0ES3_jNS7_6detail15normal_iteratorINS7_7pointerISA_NS7_11hip_rocprim3tagENS7_11use_defaultESJ_EEEEPSB_SM_NS0_5tupleIJPSA_SM_EEENSN_IJSM_SM_EEESB_PlJ10is_orderedEEE10hipError_tPvRmT3_T4_T5_T6_T7_T9_mT8_P12ihipStream_tbDpT10_ENKUlT_T0_E_clISt17integral_constantIbLb1EES1B_IbLb0EEEEDaS17_S18_EUlS17_E_NS1_11comp_targetILNS1_3genE0ELNS1_11target_archE4294967295ELNS1_3gpuE0ELNS1_3repE0EEENS1_30default_config_static_selectorELNS0_4arch9wavefront6targetE1EEEvT1_
	.globl	_ZN7rocprim17ROCPRIM_400000_NS6detail17trampoline_kernelINS0_14default_configENS1_25partition_config_selectorILNS1_17partition_subalgoE3EN6thrust23THRUST_200600_302600_NS5tupleIxxNS7_9null_typeES9_S9_S9_S9_S9_S9_S9_EENS0_10empty_typeEbEEZZNS1_14partition_implILS5_3ELb0ES3_jNS7_6detail15normal_iteratorINS7_7pointerISA_NS7_11hip_rocprim3tagENS7_11use_defaultESJ_EEEEPSB_SM_NS0_5tupleIJPSA_SM_EEENSN_IJSM_SM_EEESB_PlJ10is_orderedEEE10hipError_tPvRmT3_T4_T5_T6_T7_T9_mT8_P12ihipStream_tbDpT10_ENKUlT_T0_E_clISt17integral_constantIbLb1EES1B_IbLb0EEEEDaS17_S18_EUlS17_E_NS1_11comp_targetILNS1_3genE0ELNS1_11target_archE4294967295ELNS1_3gpuE0ELNS1_3repE0EEENS1_30default_config_static_selectorELNS0_4arch9wavefront6targetE1EEEvT1_
	.p2align	8
	.type	_ZN7rocprim17ROCPRIM_400000_NS6detail17trampoline_kernelINS0_14default_configENS1_25partition_config_selectorILNS1_17partition_subalgoE3EN6thrust23THRUST_200600_302600_NS5tupleIxxNS7_9null_typeES9_S9_S9_S9_S9_S9_S9_EENS0_10empty_typeEbEEZZNS1_14partition_implILS5_3ELb0ES3_jNS7_6detail15normal_iteratorINS7_7pointerISA_NS7_11hip_rocprim3tagENS7_11use_defaultESJ_EEEEPSB_SM_NS0_5tupleIJPSA_SM_EEENSN_IJSM_SM_EEESB_PlJ10is_orderedEEE10hipError_tPvRmT3_T4_T5_T6_T7_T9_mT8_P12ihipStream_tbDpT10_ENKUlT_T0_E_clISt17integral_constantIbLb1EES1B_IbLb0EEEEDaS17_S18_EUlS17_E_NS1_11comp_targetILNS1_3genE0ELNS1_11target_archE4294967295ELNS1_3gpuE0ELNS1_3repE0EEENS1_30default_config_static_selectorELNS0_4arch9wavefront6targetE1EEEvT1_,@function
_ZN7rocprim17ROCPRIM_400000_NS6detail17trampoline_kernelINS0_14default_configENS1_25partition_config_selectorILNS1_17partition_subalgoE3EN6thrust23THRUST_200600_302600_NS5tupleIxxNS7_9null_typeES9_S9_S9_S9_S9_S9_S9_EENS0_10empty_typeEbEEZZNS1_14partition_implILS5_3ELb0ES3_jNS7_6detail15normal_iteratorINS7_7pointerISA_NS7_11hip_rocprim3tagENS7_11use_defaultESJ_EEEEPSB_SM_NS0_5tupleIJPSA_SM_EEENSN_IJSM_SM_EEESB_PlJ10is_orderedEEE10hipError_tPvRmT3_T4_T5_T6_T7_T9_mT8_P12ihipStream_tbDpT10_ENKUlT_T0_E_clISt17integral_constantIbLb1EES1B_IbLb0EEEEDaS17_S18_EUlS17_E_NS1_11comp_targetILNS1_3genE0ELNS1_11target_archE4294967295ELNS1_3gpuE0ELNS1_3repE0EEENS1_30default_config_static_selectorELNS0_4arch9wavefront6targetE1EEEvT1_: ; @_ZN7rocprim17ROCPRIM_400000_NS6detail17trampoline_kernelINS0_14default_configENS1_25partition_config_selectorILNS1_17partition_subalgoE3EN6thrust23THRUST_200600_302600_NS5tupleIxxNS7_9null_typeES9_S9_S9_S9_S9_S9_S9_EENS0_10empty_typeEbEEZZNS1_14partition_implILS5_3ELb0ES3_jNS7_6detail15normal_iteratorINS7_7pointerISA_NS7_11hip_rocprim3tagENS7_11use_defaultESJ_EEEEPSB_SM_NS0_5tupleIJPSA_SM_EEENSN_IJSM_SM_EEESB_PlJ10is_orderedEEE10hipError_tPvRmT3_T4_T5_T6_T7_T9_mT8_P12ihipStream_tbDpT10_ENKUlT_T0_E_clISt17integral_constantIbLb1EES1B_IbLb0EEEEDaS17_S18_EUlS17_E_NS1_11comp_targetILNS1_3genE0ELNS1_11target_archE4294967295ELNS1_3gpuE0ELNS1_3repE0EEENS1_30default_config_static_selectorELNS0_4arch9wavefront6targetE1EEEvT1_
; %bb.0:
	.section	.rodata,"a",@progbits
	.p2align	6, 0x0
	.amdhsa_kernel _ZN7rocprim17ROCPRIM_400000_NS6detail17trampoline_kernelINS0_14default_configENS1_25partition_config_selectorILNS1_17partition_subalgoE3EN6thrust23THRUST_200600_302600_NS5tupleIxxNS7_9null_typeES9_S9_S9_S9_S9_S9_S9_EENS0_10empty_typeEbEEZZNS1_14partition_implILS5_3ELb0ES3_jNS7_6detail15normal_iteratorINS7_7pointerISA_NS7_11hip_rocprim3tagENS7_11use_defaultESJ_EEEEPSB_SM_NS0_5tupleIJPSA_SM_EEENSN_IJSM_SM_EEESB_PlJ10is_orderedEEE10hipError_tPvRmT3_T4_T5_T6_T7_T9_mT8_P12ihipStream_tbDpT10_ENKUlT_T0_E_clISt17integral_constantIbLb1EES1B_IbLb0EEEEDaS17_S18_EUlS17_E_NS1_11comp_targetILNS1_3genE0ELNS1_11target_archE4294967295ELNS1_3gpuE0ELNS1_3repE0EEENS1_30default_config_static_selectorELNS0_4arch9wavefront6targetE1EEEvT1_
		.amdhsa_group_segment_fixed_size 0
		.amdhsa_private_segment_fixed_size 0
		.amdhsa_kernarg_size 120
		.amdhsa_user_sgpr_count 2
		.amdhsa_user_sgpr_dispatch_ptr 0
		.amdhsa_user_sgpr_queue_ptr 0
		.amdhsa_user_sgpr_kernarg_segment_ptr 1
		.amdhsa_user_sgpr_dispatch_id 0
		.amdhsa_user_sgpr_kernarg_preload_length 0
		.amdhsa_user_sgpr_kernarg_preload_offset 0
		.amdhsa_user_sgpr_private_segment_size 0
		.amdhsa_uses_dynamic_stack 0
		.amdhsa_enable_private_segment 0
		.amdhsa_system_sgpr_workgroup_id_x 1
		.amdhsa_system_sgpr_workgroup_id_y 0
		.amdhsa_system_sgpr_workgroup_id_z 0
		.amdhsa_system_sgpr_workgroup_info 0
		.amdhsa_system_vgpr_workitem_id 0
		.amdhsa_next_free_vgpr 1
		.amdhsa_next_free_sgpr 0
		.amdhsa_accum_offset 4
		.amdhsa_reserve_vcc 0
		.amdhsa_float_round_mode_32 0
		.amdhsa_float_round_mode_16_64 0
		.amdhsa_float_denorm_mode_32 3
		.amdhsa_float_denorm_mode_16_64 3
		.amdhsa_dx10_clamp 1
		.amdhsa_ieee_mode 1
		.amdhsa_fp16_overflow 0
		.amdhsa_tg_split 0
		.amdhsa_exception_fp_ieee_invalid_op 0
		.amdhsa_exception_fp_denorm_src 0
		.amdhsa_exception_fp_ieee_div_zero 0
		.amdhsa_exception_fp_ieee_overflow 0
		.amdhsa_exception_fp_ieee_underflow 0
		.amdhsa_exception_fp_ieee_inexact 0
		.amdhsa_exception_int_div_zero 0
	.end_amdhsa_kernel
	.section	.text._ZN7rocprim17ROCPRIM_400000_NS6detail17trampoline_kernelINS0_14default_configENS1_25partition_config_selectorILNS1_17partition_subalgoE3EN6thrust23THRUST_200600_302600_NS5tupleIxxNS7_9null_typeES9_S9_S9_S9_S9_S9_S9_EENS0_10empty_typeEbEEZZNS1_14partition_implILS5_3ELb0ES3_jNS7_6detail15normal_iteratorINS7_7pointerISA_NS7_11hip_rocprim3tagENS7_11use_defaultESJ_EEEEPSB_SM_NS0_5tupleIJPSA_SM_EEENSN_IJSM_SM_EEESB_PlJ10is_orderedEEE10hipError_tPvRmT3_T4_T5_T6_T7_T9_mT8_P12ihipStream_tbDpT10_ENKUlT_T0_E_clISt17integral_constantIbLb1EES1B_IbLb0EEEEDaS17_S18_EUlS17_E_NS1_11comp_targetILNS1_3genE0ELNS1_11target_archE4294967295ELNS1_3gpuE0ELNS1_3repE0EEENS1_30default_config_static_selectorELNS0_4arch9wavefront6targetE1EEEvT1_,"axG",@progbits,_ZN7rocprim17ROCPRIM_400000_NS6detail17trampoline_kernelINS0_14default_configENS1_25partition_config_selectorILNS1_17partition_subalgoE3EN6thrust23THRUST_200600_302600_NS5tupleIxxNS7_9null_typeES9_S9_S9_S9_S9_S9_S9_EENS0_10empty_typeEbEEZZNS1_14partition_implILS5_3ELb0ES3_jNS7_6detail15normal_iteratorINS7_7pointerISA_NS7_11hip_rocprim3tagENS7_11use_defaultESJ_EEEEPSB_SM_NS0_5tupleIJPSA_SM_EEENSN_IJSM_SM_EEESB_PlJ10is_orderedEEE10hipError_tPvRmT3_T4_T5_T6_T7_T9_mT8_P12ihipStream_tbDpT10_ENKUlT_T0_E_clISt17integral_constantIbLb1EES1B_IbLb0EEEEDaS17_S18_EUlS17_E_NS1_11comp_targetILNS1_3genE0ELNS1_11target_archE4294967295ELNS1_3gpuE0ELNS1_3repE0EEENS1_30default_config_static_selectorELNS0_4arch9wavefront6targetE1EEEvT1_,comdat
.Lfunc_end3471:
	.size	_ZN7rocprim17ROCPRIM_400000_NS6detail17trampoline_kernelINS0_14default_configENS1_25partition_config_selectorILNS1_17partition_subalgoE3EN6thrust23THRUST_200600_302600_NS5tupleIxxNS7_9null_typeES9_S9_S9_S9_S9_S9_S9_EENS0_10empty_typeEbEEZZNS1_14partition_implILS5_3ELb0ES3_jNS7_6detail15normal_iteratorINS7_7pointerISA_NS7_11hip_rocprim3tagENS7_11use_defaultESJ_EEEEPSB_SM_NS0_5tupleIJPSA_SM_EEENSN_IJSM_SM_EEESB_PlJ10is_orderedEEE10hipError_tPvRmT3_T4_T5_T6_T7_T9_mT8_P12ihipStream_tbDpT10_ENKUlT_T0_E_clISt17integral_constantIbLb1EES1B_IbLb0EEEEDaS17_S18_EUlS17_E_NS1_11comp_targetILNS1_3genE0ELNS1_11target_archE4294967295ELNS1_3gpuE0ELNS1_3repE0EEENS1_30default_config_static_selectorELNS0_4arch9wavefront6targetE1EEEvT1_, .Lfunc_end3471-_ZN7rocprim17ROCPRIM_400000_NS6detail17trampoline_kernelINS0_14default_configENS1_25partition_config_selectorILNS1_17partition_subalgoE3EN6thrust23THRUST_200600_302600_NS5tupleIxxNS7_9null_typeES9_S9_S9_S9_S9_S9_S9_EENS0_10empty_typeEbEEZZNS1_14partition_implILS5_3ELb0ES3_jNS7_6detail15normal_iteratorINS7_7pointerISA_NS7_11hip_rocprim3tagENS7_11use_defaultESJ_EEEEPSB_SM_NS0_5tupleIJPSA_SM_EEENSN_IJSM_SM_EEESB_PlJ10is_orderedEEE10hipError_tPvRmT3_T4_T5_T6_T7_T9_mT8_P12ihipStream_tbDpT10_ENKUlT_T0_E_clISt17integral_constantIbLb1EES1B_IbLb0EEEEDaS17_S18_EUlS17_E_NS1_11comp_targetILNS1_3genE0ELNS1_11target_archE4294967295ELNS1_3gpuE0ELNS1_3repE0EEENS1_30default_config_static_selectorELNS0_4arch9wavefront6targetE1EEEvT1_
                                        ; -- End function
	.section	.AMDGPU.csdata,"",@progbits
; Kernel info:
; codeLenInByte = 0
; NumSgprs: 6
; NumVgprs: 0
; NumAgprs: 0
; TotalNumVgprs: 0
; ScratchSize: 0
; MemoryBound: 0
; FloatMode: 240
; IeeeMode: 1
; LDSByteSize: 0 bytes/workgroup (compile time only)
; SGPRBlocks: 0
; VGPRBlocks: 0
; NumSGPRsForWavesPerEU: 6
; NumVGPRsForWavesPerEU: 1
; AccumOffset: 4
; Occupancy: 8
; WaveLimiterHint : 0
; COMPUTE_PGM_RSRC2:SCRATCH_EN: 0
; COMPUTE_PGM_RSRC2:USER_SGPR: 2
; COMPUTE_PGM_RSRC2:TRAP_HANDLER: 0
; COMPUTE_PGM_RSRC2:TGID_X_EN: 1
; COMPUTE_PGM_RSRC2:TGID_Y_EN: 0
; COMPUTE_PGM_RSRC2:TGID_Z_EN: 0
; COMPUTE_PGM_RSRC2:TIDIG_COMP_CNT: 0
; COMPUTE_PGM_RSRC3_GFX90A:ACCUM_OFFSET: 0
; COMPUTE_PGM_RSRC3_GFX90A:TG_SPLIT: 0
	.section	.text._ZN7rocprim17ROCPRIM_400000_NS6detail17trampoline_kernelINS0_14default_configENS1_25partition_config_selectorILNS1_17partition_subalgoE3EN6thrust23THRUST_200600_302600_NS5tupleIxxNS7_9null_typeES9_S9_S9_S9_S9_S9_S9_EENS0_10empty_typeEbEEZZNS1_14partition_implILS5_3ELb0ES3_jNS7_6detail15normal_iteratorINS7_7pointerISA_NS7_11hip_rocprim3tagENS7_11use_defaultESJ_EEEEPSB_SM_NS0_5tupleIJPSA_SM_EEENSN_IJSM_SM_EEESB_PlJ10is_orderedEEE10hipError_tPvRmT3_T4_T5_T6_T7_T9_mT8_P12ihipStream_tbDpT10_ENKUlT_T0_E_clISt17integral_constantIbLb1EES1B_IbLb0EEEEDaS17_S18_EUlS17_E_NS1_11comp_targetILNS1_3genE5ELNS1_11target_archE942ELNS1_3gpuE9ELNS1_3repE0EEENS1_30default_config_static_selectorELNS0_4arch9wavefront6targetE1EEEvT1_,"axG",@progbits,_ZN7rocprim17ROCPRIM_400000_NS6detail17trampoline_kernelINS0_14default_configENS1_25partition_config_selectorILNS1_17partition_subalgoE3EN6thrust23THRUST_200600_302600_NS5tupleIxxNS7_9null_typeES9_S9_S9_S9_S9_S9_S9_EENS0_10empty_typeEbEEZZNS1_14partition_implILS5_3ELb0ES3_jNS7_6detail15normal_iteratorINS7_7pointerISA_NS7_11hip_rocprim3tagENS7_11use_defaultESJ_EEEEPSB_SM_NS0_5tupleIJPSA_SM_EEENSN_IJSM_SM_EEESB_PlJ10is_orderedEEE10hipError_tPvRmT3_T4_T5_T6_T7_T9_mT8_P12ihipStream_tbDpT10_ENKUlT_T0_E_clISt17integral_constantIbLb1EES1B_IbLb0EEEEDaS17_S18_EUlS17_E_NS1_11comp_targetILNS1_3genE5ELNS1_11target_archE942ELNS1_3gpuE9ELNS1_3repE0EEENS1_30default_config_static_selectorELNS0_4arch9wavefront6targetE1EEEvT1_,comdat
	.protected	_ZN7rocprim17ROCPRIM_400000_NS6detail17trampoline_kernelINS0_14default_configENS1_25partition_config_selectorILNS1_17partition_subalgoE3EN6thrust23THRUST_200600_302600_NS5tupleIxxNS7_9null_typeES9_S9_S9_S9_S9_S9_S9_EENS0_10empty_typeEbEEZZNS1_14partition_implILS5_3ELb0ES3_jNS7_6detail15normal_iteratorINS7_7pointerISA_NS7_11hip_rocprim3tagENS7_11use_defaultESJ_EEEEPSB_SM_NS0_5tupleIJPSA_SM_EEENSN_IJSM_SM_EEESB_PlJ10is_orderedEEE10hipError_tPvRmT3_T4_T5_T6_T7_T9_mT8_P12ihipStream_tbDpT10_ENKUlT_T0_E_clISt17integral_constantIbLb1EES1B_IbLb0EEEEDaS17_S18_EUlS17_E_NS1_11comp_targetILNS1_3genE5ELNS1_11target_archE942ELNS1_3gpuE9ELNS1_3repE0EEENS1_30default_config_static_selectorELNS0_4arch9wavefront6targetE1EEEvT1_ ; -- Begin function _ZN7rocprim17ROCPRIM_400000_NS6detail17trampoline_kernelINS0_14default_configENS1_25partition_config_selectorILNS1_17partition_subalgoE3EN6thrust23THRUST_200600_302600_NS5tupleIxxNS7_9null_typeES9_S9_S9_S9_S9_S9_S9_EENS0_10empty_typeEbEEZZNS1_14partition_implILS5_3ELb0ES3_jNS7_6detail15normal_iteratorINS7_7pointerISA_NS7_11hip_rocprim3tagENS7_11use_defaultESJ_EEEEPSB_SM_NS0_5tupleIJPSA_SM_EEENSN_IJSM_SM_EEESB_PlJ10is_orderedEEE10hipError_tPvRmT3_T4_T5_T6_T7_T9_mT8_P12ihipStream_tbDpT10_ENKUlT_T0_E_clISt17integral_constantIbLb1EES1B_IbLb0EEEEDaS17_S18_EUlS17_E_NS1_11comp_targetILNS1_3genE5ELNS1_11target_archE942ELNS1_3gpuE9ELNS1_3repE0EEENS1_30default_config_static_selectorELNS0_4arch9wavefront6targetE1EEEvT1_
	.globl	_ZN7rocprim17ROCPRIM_400000_NS6detail17trampoline_kernelINS0_14default_configENS1_25partition_config_selectorILNS1_17partition_subalgoE3EN6thrust23THRUST_200600_302600_NS5tupleIxxNS7_9null_typeES9_S9_S9_S9_S9_S9_S9_EENS0_10empty_typeEbEEZZNS1_14partition_implILS5_3ELb0ES3_jNS7_6detail15normal_iteratorINS7_7pointerISA_NS7_11hip_rocprim3tagENS7_11use_defaultESJ_EEEEPSB_SM_NS0_5tupleIJPSA_SM_EEENSN_IJSM_SM_EEESB_PlJ10is_orderedEEE10hipError_tPvRmT3_T4_T5_T6_T7_T9_mT8_P12ihipStream_tbDpT10_ENKUlT_T0_E_clISt17integral_constantIbLb1EES1B_IbLb0EEEEDaS17_S18_EUlS17_E_NS1_11comp_targetILNS1_3genE5ELNS1_11target_archE942ELNS1_3gpuE9ELNS1_3repE0EEENS1_30default_config_static_selectorELNS0_4arch9wavefront6targetE1EEEvT1_
	.p2align	8
	.type	_ZN7rocprim17ROCPRIM_400000_NS6detail17trampoline_kernelINS0_14default_configENS1_25partition_config_selectorILNS1_17partition_subalgoE3EN6thrust23THRUST_200600_302600_NS5tupleIxxNS7_9null_typeES9_S9_S9_S9_S9_S9_S9_EENS0_10empty_typeEbEEZZNS1_14partition_implILS5_3ELb0ES3_jNS7_6detail15normal_iteratorINS7_7pointerISA_NS7_11hip_rocprim3tagENS7_11use_defaultESJ_EEEEPSB_SM_NS0_5tupleIJPSA_SM_EEENSN_IJSM_SM_EEESB_PlJ10is_orderedEEE10hipError_tPvRmT3_T4_T5_T6_T7_T9_mT8_P12ihipStream_tbDpT10_ENKUlT_T0_E_clISt17integral_constantIbLb1EES1B_IbLb0EEEEDaS17_S18_EUlS17_E_NS1_11comp_targetILNS1_3genE5ELNS1_11target_archE942ELNS1_3gpuE9ELNS1_3repE0EEENS1_30default_config_static_selectorELNS0_4arch9wavefront6targetE1EEEvT1_,@function
_ZN7rocprim17ROCPRIM_400000_NS6detail17trampoline_kernelINS0_14default_configENS1_25partition_config_selectorILNS1_17partition_subalgoE3EN6thrust23THRUST_200600_302600_NS5tupleIxxNS7_9null_typeES9_S9_S9_S9_S9_S9_S9_EENS0_10empty_typeEbEEZZNS1_14partition_implILS5_3ELb0ES3_jNS7_6detail15normal_iteratorINS7_7pointerISA_NS7_11hip_rocprim3tagENS7_11use_defaultESJ_EEEEPSB_SM_NS0_5tupleIJPSA_SM_EEENSN_IJSM_SM_EEESB_PlJ10is_orderedEEE10hipError_tPvRmT3_T4_T5_T6_T7_T9_mT8_P12ihipStream_tbDpT10_ENKUlT_T0_E_clISt17integral_constantIbLb1EES1B_IbLb0EEEEDaS17_S18_EUlS17_E_NS1_11comp_targetILNS1_3genE5ELNS1_11target_archE942ELNS1_3gpuE9ELNS1_3repE0EEENS1_30default_config_static_selectorELNS0_4arch9wavefront6targetE1EEEvT1_: ; @_ZN7rocprim17ROCPRIM_400000_NS6detail17trampoline_kernelINS0_14default_configENS1_25partition_config_selectorILNS1_17partition_subalgoE3EN6thrust23THRUST_200600_302600_NS5tupleIxxNS7_9null_typeES9_S9_S9_S9_S9_S9_S9_EENS0_10empty_typeEbEEZZNS1_14partition_implILS5_3ELb0ES3_jNS7_6detail15normal_iteratorINS7_7pointerISA_NS7_11hip_rocprim3tagENS7_11use_defaultESJ_EEEEPSB_SM_NS0_5tupleIJPSA_SM_EEENSN_IJSM_SM_EEESB_PlJ10is_orderedEEE10hipError_tPvRmT3_T4_T5_T6_T7_T9_mT8_P12ihipStream_tbDpT10_ENKUlT_T0_E_clISt17integral_constantIbLb1EES1B_IbLb0EEEEDaS17_S18_EUlS17_E_NS1_11comp_targetILNS1_3genE5ELNS1_11target_archE942ELNS1_3gpuE9ELNS1_3repE0EEENS1_30default_config_static_selectorELNS0_4arch9wavefront6targetE1EEEvT1_
; %bb.0:
	s_load_dwordx4 s[20:23], s[0:1], 0x8
	s_load_dwordx4 s[24:27], s[0:1], 0x48
	s_load_dwordx2 s[28:29], s[0:1], 0x58
	s_load_dword s3, s[0:1], 0x70
	s_mov_b32 s35, 0
	s_waitcnt lgkmcnt(0)
	s_lshl_b64 s[4:5], s[22:23], 4
	s_add_u32 s8, s20, s4
	s_addc_u32 s9, s21, s5
	s_add_i32 s6, s3, -1
	s_mulk_i32 s3, 0x600
	s_add_i32 s4, s3, s22
	s_sub_i32 s33, s28, s4
	s_addk_i32 s33, 0x600
	s_add_u32 s4, s22, s3
	s_addc_u32 s5, s23, 0
	s_cmp_eq_u32 s2, s6
	s_load_dwordx2 s[30:31], s[26:27], 0x0
	s_cselect_b64 s[26:27], -1, 0
	s_cmp_lg_u32 s2, s6
	v_mov_b64_e32 v[2:3], s[28:29]
	s_cselect_b64 s[6:7], -1, 0
	s_mul_i32 s34, s2, 0x600
	v_cmp_lt_u64_e32 vcc, s[4:5], v[2:3]
	s_or_b64 s[6:7], s[6:7], vcc
	s_lshl_b64 s[4:5], s[34:35], 4
	s_add_u32 s8, s8, s4
	s_addc_u32 s9, s9, s5
	s_mov_b64 s[4:5], -1
	s_and_b64 vcc, exec, s[6:7]
	v_lshlrev_b32_e32 v18, 4, v0
	v_lshrrev_b32_e32 v1, 1, v0
	s_cbranch_vccz .LBB3472_2
; %bb.1:
	v_mov_b32_e32 v19, 0
	v_lshl_add_u64 v[10:11], s[8:9], 0, v[18:19]
	v_add_co_u32_e32 v12, vcc, 0x1000, v10
	v_and_b32_e32 v19, 0xf0, v1
	s_nop 0
	v_addc_co_u32_e32 v13, vcc, 0, v11, vcc
	v_add_co_u32_e32 v20, vcc, 0x3000, v10
	flat_load_dwordx4 v[2:5], v[10:11]
	flat_load_dwordx4 v[6:9], v[12:13] offset:2048
	v_addc_co_u32_e32 v21, vcc, 0, v11, vcc
	v_add_co_u32_e32 v22, vcc, 0x4000, v10
	v_add_u32_e32 v19, v19, v18
	s_nop 0
	v_addc_co_u32_e32 v23, vcc, 0, v11, vcc
	flat_load_dwordx4 v[10:13], v[20:21]
	flat_load_dwordx4 v[14:17], v[22:23] offset:2048
	v_add_u32_e32 v20, 0x180, v0
	v_add_u32_e32 v21, 0x300, v0
	;; [unrolled: 1-line block ×3, first 2 shown]
	v_lshrrev_b32_e32 v20, 1, v20
	v_lshrrev_b32_e32 v21, 1, v21
	;; [unrolled: 1-line block ×3, first 2 shown]
	v_and_b32_e32 v20, 0x1f0, v20
	v_and_b32_e32 v21, 0x3f0, v21
	;; [unrolled: 1-line block ×3, first 2 shown]
	v_add_u32_e32 v20, v20, v18
	v_add_u32_e32 v21, v21, v18
	;; [unrolled: 1-line block ×3, first 2 shown]
	s_mov_b64 s[4:5], 0
	s_waitcnt vmcnt(0) lgkmcnt(0)
	ds_write_b128 v19, v[2:5]
	ds_write_b128 v20, v[6:9] offset:6144
	ds_write_b128 v21, v[10:13] offset:12288
	;; [unrolled: 1-line block ×3, first 2 shown]
	s_waitcnt lgkmcnt(0)
	s_barrier
.LBB3472_2:
	s_andn2_b64 vcc, exec, s[4:5]
	v_cmp_gt_u32_e64 s[4:5], s33, v0
	s_cbranch_vccnz .LBB3472_12
; %bb.3:
	v_mov_b64_e32 v[4:5], 0
	v_mov_b64_e32 v[8:9], v[4:5]
	;; [unrolled: 1-line block ×3, first 2 shown]
	s_and_saveexec_b64 s[10:11], s[4:5]
	s_cbranch_execz .LBB3472_5
; %bb.4:
	v_mov_b32_e32 v19, 0
	v_lshl_add_u64 v[2:3], s[8:9], 0, v[18:19]
	flat_load_dwordx4 v[6:9], v[2:3]
.LBB3472_5:
	s_or_b64 exec, exec, s[10:11]
	v_add_u32_e32 v19, 0x180, v0
	v_cmp_gt_u32_e32 vcc, s33, v19
	v_mov_b64_e32 v[2:3], v[4:5]
	s_and_saveexec_b64 s[4:5], vcc
	s_cbranch_execz .LBB3472_7
; %bb.6:
	v_lshlrev_b32_e32 v2, 4, v19
	v_mov_b32_e32 v3, 0
	v_lshl_add_u64 v[2:3], s[8:9], 0, v[2:3]
	flat_load_dwordx4 v[2:5], v[2:3]
.LBB3472_7:
	s_or_b64 exec, exec, s[4:5]
	v_add_u32_e32 v20, 0x300, v0
	v_mov_b64_e32 v[12:13], 0
	v_cmp_gt_u32_e32 vcc, s33, v20
	v_mov_b64_e32 v[16:17], v[12:13]
	v_mov_b64_e32 v[14:15], v[12:13]
	s_and_saveexec_b64 s[4:5], vcc
	s_cbranch_execz .LBB3472_9
; %bb.8:
	v_lshlrev_b32_e32 v10, 4, v20
	v_mov_b32_e32 v11, 0
	v_lshl_add_u64 v[10:11], s[8:9], 0, v[10:11]
	flat_load_dwordx4 v[14:17], v[10:11]
.LBB3472_9:
	s_or_b64 exec, exec, s[4:5]
	v_add_u32_e32 v21, 0x480, v0
	v_cmp_gt_u32_e32 vcc, s33, v21
	v_mov_b64_e32 v[10:11], v[12:13]
	s_and_saveexec_b64 s[4:5], vcc
	s_cbranch_execz .LBB3472_11
; %bb.10:
	v_lshlrev_b32_e32 v10, 4, v21
	v_mov_b32_e32 v11, 0
	v_lshl_add_u64 v[10:11], s[8:9], 0, v[10:11]
	flat_load_dwordx4 v[10:13], v[10:11]
.LBB3472_11:
	s_or_b64 exec, exec, s[4:5]
	v_and_b32_e32 v1, 0xf0, v1
	v_add_u32_e32 v1, v1, v18
	s_waitcnt vmcnt(0) lgkmcnt(0)
	ds_write_b128 v1, v[6:9]
	v_lshrrev_b32_e32 v1, 1, v19
	v_and_b32_e32 v1, 0x1f0, v1
	v_add_u32_e32 v1, v1, v18
	ds_write_b128 v1, v[2:5] offset:6144
	v_lshrrev_b32_e32 v1, 1, v20
	v_and_b32_e32 v1, 0x3f0, v1
	v_add_u32_e32 v1, v1, v18
	ds_write_b128 v1, v[14:17] offset:12288
	;; [unrolled: 4-line block ×3, first 2 shown]
	s_waitcnt lgkmcnt(0)
	s_barrier
.LBB3472_12:
	v_lshlrev_b32_e32 v1, 2, v0
	v_lshrrev_b32_e32 v2, 3, v0
	v_add_lshl_u32 v2, v2, v1, 4
	s_waitcnt lgkmcnt(0)
	ds_read_b128 v[14:17], v2
	ds_read_b128 v[10:13], v2 offset:16
	ds_read_b128 v[6:9], v2 offset:32
	;; [unrolled: 1-line block ×3, first 2 shown]
	v_cndmask_b32_e64 v19, 0, 1, s[6:7]
	v_cmp_ne_u32_e64 s[20:21], 1, v19
	s_andn2_b64 vcc, exec, s[6:7]
	s_waitcnt lgkmcnt(3)
	v_cmp_le_i64_e64 s[8:9], v[14:15], v[16:17]
	s_waitcnt lgkmcnt(2)
	v_cmp_le_i64_e64 s[10:11], v[10:11], v[12:13]
	;; [unrolled: 2-line block ×4, first 2 shown]
	s_barrier
	s_cbranch_vccnz .LBB3472_14
; %bb.13:
	v_cndmask_b32_e64 v20, 0, 1, s[10:11]
	v_cndmask_b32_e64 v19, 0, 1, s[8:9]
	v_lshlrev_b16_e32 v20, 8, v20
	v_or_b32_e32 v19, v19, v20
	v_and_b32_e32 v19, 0xffff, v19
	v_cndmask_b32_e64 v20, 0, 1, s[6:7]
	v_lshl_or_b32 v19, v20, 16, v19
	s_and_b64 s[36:37], s[4:5], exec
	s_load_dwordx2 s[38:39], s[0:1], 0x68
	s_cbranch_execz .LBB3472_15
	s_branch .LBB3472_16
.LBB3472_14:
                                        ; implicit-def: $sgpr36_sgpr37
                                        ; implicit-def: $vgpr19
	s_load_dwordx2 s[38:39], s[0:1], 0x68
.LBB3472_15:
	v_cmp_gt_u32_e32 vcc, s33, v1
	v_cmp_le_i64_e64 s[4:5], v[14:15], v[16:17]
	s_and_b64 s[4:5], vcc, s[4:5]
	v_or_b32_e32 v20, 1, v1
	v_cndmask_b32_e64 v19, 0, 1, s[4:5]
	v_cmp_gt_u32_e32 vcc, s33, v20
	v_cmp_le_i64_e64 s[4:5], v[10:11], v[12:13]
	s_and_b64 s[4:5], vcc, s[4:5]
	v_or_b32_e32 v21, 2, v1
	v_cndmask_b32_e64 v20, 0, 1, s[4:5]
	v_cmp_gt_u32_e32 vcc, s33, v21
	v_cmp_le_i64_e64 s[4:5], v[6:7], v[8:9]
	v_lshlrev_b16_e32 v20, 8, v20
	v_or_b32_e32 v19, v19, v20
	s_and_b64 s[4:5], vcc, s[4:5]
	v_and_b32_e32 v19, 0xffff, v19
	v_cndmask_b32_e64 v20, 0, 1, s[4:5]
	v_lshl_or_b32 v19, v20, 16, v19
	v_or_b32_e32 v20, 3, v1
	v_cmp_gt_u32_e32 vcc, s33, v20
	v_cmp_le_i64_e64 s[4:5], v[2:3], v[4:5]
	s_and_b64 s[4:5], vcc, s[4:5]
	s_andn2_b64 s[6:7], s[36:37], exec
	s_and_b64 s[4:5], s[4:5], exec
	s_or_b64 s[36:37], s[6:7], s[4:5]
.LBB3472_16:
	v_cndmask_b32_e64 v20, 0, 1, s[36:37]
	v_bfe_u32 v30, v19, 8, 8
	v_bfe_u32 v31, v19, 16, 8
	v_add_u32_sdwa v20, v19, v20 dst_sel:DWORD dst_unused:UNUSED_PAD src0_sel:BYTE_0 src1_sel:DWORD
	v_add3_u32 v34, v20, v30, v31
	v_mbcnt_lo_u32_b32 v20, -1, 0
	v_mbcnt_hi_u32_b32 v32, -1, v20
	v_and_b32_e32 v20, 15, v32
	v_cmp_eq_u32_e64 s[16:17], 0, v20
	v_cmp_lt_u32_e64 s[14:15], 1, v20
	v_cmp_lt_u32_e64 s[12:13], 3, v20
	;; [unrolled: 1-line block ×3, first 2 shown]
	v_and_b32_e32 v20, 16, v32
	v_cmp_eq_u32_e64 s[6:7], 0, v20
	v_and_b32_e32 v20, 0x1c0, v0
	v_min_u32_e32 v20, 0x140, v20
	v_or_b32_e32 v20, 63, v20
	s_cmp_lg_u32 s2, 0
	v_cmp_lt_u32_e64 s[4:5], 31, v32
	v_lshrrev_b32_e32 v33, 6, v0
	v_cmp_eq_u32_e64 s[8:9], v20, v0
	s_cbranch_scc0 .LBB3472_47
; %bb.17:
	v_mov_b32_dpp v20, v34 row_shr:1 row_mask:0xf bank_mask:0xf
	v_cndmask_b32_e64 v20, v20, 0, s[16:17]
	v_add_u32_e32 v20, v20, v34
	s_nop 1
	v_mov_b32_dpp v21, v20 row_shr:2 row_mask:0xf bank_mask:0xf
	v_cndmask_b32_e64 v21, 0, v21, s[14:15]
	v_add_u32_e32 v20, v20, v21
	s_nop 1
	v_mov_b32_dpp v21, v20 row_shr:4 row_mask:0xf bank_mask:0xf
	v_cndmask_b32_e64 v21, 0, v21, s[12:13]
	v_add_u32_e32 v20, v20, v21
	s_nop 1
	v_mov_b32_dpp v21, v20 row_shr:8 row_mask:0xf bank_mask:0xf
	v_cndmask_b32_e64 v21, 0, v21, s[10:11]
	v_add_u32_e32 v20, v20, v21
	s_nop 1
	v_mov_b32_dpp v21, v20 row_bcast:15 row_mask:0xf bank_mask:0xf
	v_cndmask_b32_e64 v21, v21, 0, s[6:7]
	v_add_u32_e32 v20, v20, v21
	s_nop 1
	v_mov_b32_dpp v21, v20 row_bcast:31 row_mask:0xf bank_mask:0xf
	v_cndmask_b32_e64 v21, 0, v21, s[4:5]
	v_add_u32_e32 v20, v20, v21
	s_and_saveexec_b64 s[18:19], s[8:9]
	s_cbranch_execz .LBB3472_19
; %bb.18:
	v_lshlrev_b32_e32 v21, 2, v33
	ds_write_b32 v21, v20
.LBB3472_19:
	s_or_b64 exec, exec, s[18:19]
	v_cmp_gt_u32_e32 vcc, 6, v0
	s_waitcnt lgkmcnt(0)
	s_barrier
	s_and_saveexec_b64 s[18:19], vcc
	s_cbranch_execz .LBB3472_21
; %bb.20:
	ds_read_b32 v21, v1
	v_and_b32_e32 v22, 7, v32
	v_cmp_ne_u32_e32 vcc, 0, v22
	s_waitcnt lgkmcnt(0)
	v_mov_b32_dpp v23, v21 row_shr:1 row_mask:0xf bank_mask:0xf
	v_cndmask_b32_e32 v23, 0, v23, vcc
	v_add_u32_e32 v21, v23, v21
	v_cmp_lt_u32_e32 vcc, 1, v22
	s_nop 0
	v_mov_b32_dpp v23, v21 row_shr:2 row_mask:0xf bank_mask:0xf
	v_cndmask_b32_e32 v23, 0, v23, vcc
	v_add_u32_e32 v21, v21, v23
	v_cmp_lt_u32_e32 vcc, 3, v22
	s_nop 0
	v_mov_b32_dpp v23, v21 row_shr:4 row_mask:0xf bank_mask:0xf
	v_cndmask_b32_e32 v22, 0, v23, vcc
	v_add_u32_e32 v21, v21, v22
	ds_write_b32 v1, v21
.LBB3472_21:
	s_or_b64 exec, exec, s[18:19]
	v_cmp_gt_u32_e32 vcc, 64, v0
	v_cmp_lt_u32_e64 s[18:19], 63, v0
	s_waitcnt lgkmcnt(0)
	s_barrier
	s_waitcnt lgkmcnt(0)
                                        ; implicit-def: $vgpr35
	s_and_saveexec_b64 s[40:41], s[18:19]
	s_cbranch_execz .LBB3472_23
; %bb.22:
	v_lshl_add_u32 v21, v33, 2, -4
	ds_read_b32 v35, v21
	s_waitcnt lgkmcnt(0)
	v_add_u32_e32 v20, v35, v20
.LBB3472_23:
	s_or_b64 exec, exec, s[40:41]
	v_add_u32_e32 v21, -1, v32
	v_and_b32_e32 v22, 64, v32
	v_cmp_lt_i32_e64 s[18:19], v21, v22
	s_nop 1
	v_cndmask_b32_e64 v21, v21, v32, s[18:19]
	v_lshlrev_b32_e32 v21, 2, v21
	ds_bpermute_b32 v36, v21, v20
	v_cmp_eq_u32_e64 s[18:19], 0, v32
	s_and_saveexec_b64 s[40:41], vcc
	s_cbranch_execz .LBB3472_46
; %bb.24:
	v_mov_b32_e32 v29, 0
	ds_read_b32 v20, v29 offset:20
	s_and_saveexec_b64 s[42:43], s[18:19]
	s_cbranch_execz .LBB3472_26
; %bb.25:
	s_add_i32 s44, s2, 64
	s_mov_b32 s45, 0
	s_lshl_b64 s[44:45], s[44:45], 3
	s_add_u32 s44, s38, s44
	v_mov_b32_e32 v21, 1
	s_addc_u32 s45, s39, s45
	s_waitcnt lgkmcnt(0)
	global_store_dwordx2 v29, v[20:21], s[44:45] sc1
.LBB3472_26:
	s_or_b64 exec, exec, s[42:43]
	v_xad_u32 v22, v32, -1, s2
	v_add_u32_e32 v28, 64, v22
	v_lshl_add_u64 v[24:25], v[28:29], 3, s[38:39]
	global_load_dwordx2 v[26:27], v[24:25], off sc1
	s_waitcnt vmcnt(0)
	v_cmp_eq_u16_sdwa s[44:45], v27, v29 src0_sel:BYTE_0 src1_sel:DWORD
	s_and_saveexec_b64 s[42:43], s[44:45]
	s_cbranch_execz .LBB3472_32
; %bb.27:
	s_mov_b32 s3, 1
	s_mov_b64 s[44:45], 0
	v_mov_b32_e32 v21, 0
.LBB3472_28:                            ; =>This Loop Header: Depth=1
                                        ;     Child Loop BB3472_29 Depth 2
	s_max_u32 s35, s3, 1
.LBB3472_29:                            ;   Parent Loop BB3472_28 Depth=1
                                        ; =>  This Inner Loop Header: Depth=2
	s_add_i32 s35, s35, -1
	s_cmp_eq_u32 s35, 0
	s_sleep 1
	s_cbranch_scc0 .LBB3472_29
; %bb.30:                               ;   in Loop: Header=BB3472_28 Depth=1
	global_load_dwordx2 v[26:27], v[24:25], off sc1
	s_cmp_lt_u32 s3, 32
	s_cselect_b64 s[46:47], -1, 0
	s_cmp_lg_u64 s[46:47], 0
	s_addc_u32 s3, s3, 0
	s_waitcnt vmcnt(0)
	v_cmp_ne_u16_sdwa s[46:47], v27, v21 src0_sel:BYTE_0 src1_sel:DWORD
	s_or_b64 s[44:45], s[46:47], s[44:45]
	s_andn2_b64 exec, exec, s[44:45]
	s_cbranch_execnz .LBB3472_28
; %bb.31:
	s_or_b64 exec, exec, s[44:45]
.LBB3472_32:
	s_or_b64 exec, exec, s[42:43]
	v_and_b32_e32 v38, 63, v32
	v_mov_b32_e32 v37, 2
	v_cmp_ne_u32_e32 vcc, 63, v38
	v_cmp_eq_u16_sdwa s[42:43], v27, v37 src0_sel:BYTE_0 src1_sel:DWORD
	v_lshlrev_b64 v[24:25], v32, -1
	v_addc_co_u32_e32 v28, vcc, 0, v32, vcc
	v_and_b32_e32 v21, s43, v25
	v_lshlrev_b32_e32 v39, 2, v28
	v_or_b32_e32 v21, 0x80000000, v21
	ds_bpermute_b32 v28, v39, v26
	v_and_b32_e32 v23, s42, v24
	v_ffbl_b32_e32 v21, v21
	v_add_u32_e32 v21, 32, v21
	v_ffbl_b32_e32 v23, v23
	v_min_u32_e32 v21, v23, v21
	v_cmp_lt_u32_e32 vcc, v38, v21
	v_add_u32_e32 v41, 2, v38
	v_add_u32_e32 v43, 4, v38
	s_waitcnt lgkmcnt(0)
	v_cndmask_b32_e32 v23, 0, v28, vcc
	v_cmp_gt_u32_e32 vcc, 62, v38
	v_add_u32_e32 v23, v23, v26
	v_add_u32_e32 v45, 8, v38
	v_cndmask_b32_e64 v26, 0, 1, vcc
	v_lshlrev_b32_e32 v26, 1, v26
	v_add_lshl_u32 v40, v26, v32, 2
	ds_bpermute_b32 v26, v40, v23
	v_cmp_le_u32_e32 vcc, v41, v21
	v_add_u32_e32 v47, 16, v38
	v_add_u32_e32 v49, 32, v38
	s_waitcnt lgkmcnt(0)
	v_cndmask_b32_e32 v26, 0, v26, vcc
	v_cmp_gt_u32_e32 vcc, 60, v38
	v_add_u32_e32 v23, v23, v26
	s_nop 0
	v_cndmask_b32_e64 v26, 0, 1, vcc
	v_lshlrev_b32_e32 v26, 2, v26
	v_add_lshl_u32 v42, v26, v32, 2
	ds_bpermute_b32 v26, v42, v23
	v_cmp_le_u32_e32 vcc, v43, v21
	s_waitcnt lgkmcnt(0)
	s_nop 0
	v_cndmask_b32_e32 v26, 0, v26, vcc
	v_cmp_gt_u32_e32 vcc, 56, v38
	v_add_u32_e32 v23, v23, v26
	s_nop 0
	v_cndmask_b32_e64 v26, 0, 1, vcc
	v_lshlrev_b32_e32 v26, 3, v26
	v_add_lshl_u32 v44, v26, v32, 2
	ds_bpermute_b32 v26, v44, v23
	v_cmp_le_u32_e32 vcc, v45, v21
	s_waitcnt lgkmcnt(0)
	s_nop 0
	v_cndmask_b32_e32 v26, 0, v26, vcc
	v_cmp_gt_u32_e32 vcc, 48, v38
	v_add_u32_e32 v23, v23, v26
	s_nop 0
	v_cndmask_b32_e64 v26, 0, 1, vcc
	v_lshlrev_b32_e32 v26, 4, v26
	v_add_lshl_u32 v46, v26, v32, 2
	ds_bpermute_b32 v26, v46, v23
	v_cmp_le_u32_e32 vcc, v47, v21
	s_waitcnt lgkmcnt(0)
	s_nop 0
	v_cndmask_b32_e32 v26, 0, v26, vcc
	v_cmp_gt_u32_e32 vcc, 32, v38
	v_add_u32_e32 v23, v23, v26
	s_nop 0
	v_cndmask_b32_e64 v26, 0, 1, vcc
	v_lshlrev_b32_e32 v26, 5, v26
	v_add_lshl_u32 v48, v26, v32, 2
	ds_bpermute_b32 v26, v48, v23
	v_cmp_le_u32_e32 vcc, v49, v21
	s_waitcnt lgkmcnt(0)
	s_nop 0
	v_cndmask_b32_e32 v21, 0, v26, vcc
	v_add_u32_e32 v26, v23, v21
	v_mov_b32_e32 v23, 0
	s_branch .LBB3472_34
.LBB3472_33:                            ;   in Loop: Header=BB3472_34 Depth=1
	s_or_b64 exec, exec, s[42:43]
	v_cmp_eq_u16_sdwa s[42:43], v27, v37 src0_sel:BYTE_0 src1_sel:DWORD
	ds_bpermute_b32 v50, v39, v26
	v_subrev_u32_e32 v22, 64, v22
	v_and_b32_e32 v28, s43, v25
	v_or_b32_e32 v28, 0x80000000, v28
	v_and_b32_e32 v29, s42, v24
	v_ffbl_b32_e32 v28, v28
	v_add_u32_e32 v28, 32, v28
	v_ffbl_b32_e32 v29, v29
	v_min_u32_e32 v28, v29, v28
	v_cmp_lt_u32_e32 vcc, v38, v28
	s_waitcnt lgkmcnt(0)
	s_nop 0
	v_cndmask_b32_e32 v29, 0, v50, vcc
	v_add_u32_e32 v26, v29, v26
	ds_bpermute_b32 v29, v40, v26
	v_cmp_le_u32_e32 vcc, v41, v28
	s_waitcnt lgkmcnt(0)
	s_nop 0
	v_cndmask_b32_e32 v29, 0, v29, vcc
	v_add_u32_e32 v26, v26, v29
	ds_bpermute_b32 v29, v42, v26
	v_cmp_le_u32_e32 vcc, v43, v28
	;; [unrolled: 6-line block ×5, first 2 shown]
	s_waitcnt lgkmcnt(0)
	s_nop 0
	v_cndmask_b32_e32 v28, 0, v29, vcc
	v_add3_u32 v26, v28, v21, v26
.LBB3472_34:                            ; =>This Loop Header: Depth=1
                                        ;     Child Loop BB3472_37 Depth 2
                                        ;       Child Loop BB3472_38 Depth 3
	v_cmp_ne_u16_sdwa s[42:43], v27, v37 src0_sel:BYTE_0 src1_sel:DWORD
	s_nop 1
	v_cndmask_b32_e64 v21, 0, 1, s[42:43]
	;;#ASMSTART
	;;#ASMEND
	s_nop 0
	v_cmp_ne_u32_e32 vcc, 0, v21
	s_cmp_lg_u64 vcc, exec
	v_mov_b32_e32 v21, v26
	s_cbranch_scc1 .LBB3472_41
; %bb.35:                               ;   in Loop: Header=BB3472_34 Depth=1
	v_lshl_add_u64 v[28:29], v[22:23], 3, s[38:39]
	global_load_dwordx2 v[26:27], v[28:29], off sc1
	s_waitcnt vmcnt(0)
	v_cmp_eq_u16_sdwa s[44:45], v27, v23 src0_sel:BYTE_0 src1_sel:DWORD
	s_and_saveexec_b64 s[42:43], s[44:45]
	s_cbranch_execz .LBB3472_33
; %bb.36:                               ;   in Loop: Header=BB3472_34 Depth=1
	s_mov_b32 s3, 1
	s_mov_b64 s[44:45], 0
.LBB3472_37:                            ;   Parent Loop BB3472_34 Depth=1
                                        ; =>  This Loop Header: Depth=2
                                        ;       Child Loop BB3472_38 Depth 3
	s_max_u32 s35, s3, 1
.LBB3472_38:                            ;   Parent Loop BB3472_34 Depth=1
                                        ;     Parent Loop BB3472_37 Depth=2
                                        ; =>    This Inner Loop Header: Depth=3
	s_add_i32 s35, s35, -1
	s_cmp_eq_u32 s35, 0
	s_sleep 1
	s_cbranch_scc0 .LBB3472_38
; %bb.39:                               ;   in Loop: Header=BB3472_37 Depth=2
	global_load_dwordx2 v[26:27], v[28:29], off sc1
	s_cmp_lt_u32 s3, 32
	s_cselect_b64 s[46:47], -1, 0
	s_cmp_lg_u64 s[46:47], 0
	s_addc_u32 s3, s3, 0
	s_waitcnt vmcnt(0)
	v_cmp_ne_u16_sdwa s[46:47], v27, v23 src0_sel:BYTE_0 src1_sel:DWORD
	s_or_b64 s[44:45], s[46:47], s[44:45]
	s_andn2_b64 exec, exec, s[44:45]
	s_cbranch_execnz .LBB3472_37
; %bb.40:                               ;   in Loop: Header=BB3472_34 Depth=1
	s_or_b64 exec, exec, s[44:45]
	s_branch .LBB3472_33
.LBB3472_41:                            ;   in Loop: Header=BB3472_34 Depth=1
                                        ; implicit-def: $vgpr26
                                        ; implicit-def: $vgpr27
	s_cbranch_execz .LBB3472_34
; %bb.42:
	s_and_saveexec_b64 s[42:43], s[18:19]
	s_cbranch_execz .LBB3472_44
; %bb.43:
	s_add_i32 s2, s2, 64
	s_mov_b32 s3, 0
	s_lshl_b64 s[2:3], s[2:3], 3
	s_add_u32 s2, s38, s2
	v_add_u32_e32 v22, v21, v20
	v_mov_b32_e32 v23, 2
	s_addc_u32 s3, s39, s3
	v_mov_b32_e32 v24, 0
	global_store_dwordx2 v24, v[22:23], s[2:3] sc1
	ds_write_b64 v24, v[20:21] offset:25344
.LBB3472_44:
	s_or_b64 exec, exec, s[42:43]
	v_cmp_eq_u32_e32 vcc, 0, v0
	s_and_b64 exec, exec, vcc
	s_cbranch_execz .LBB3472_46
; %bb.45:
	v_mov_b32_e32 v20, 0
	ds_write_b32 v20, v21 offset:20
.LBB3472_46:
	s_or_b64 exec, exec, s[40:41]
	v_mov_b32_e32 v20, 0
	s_waitcnt lgkmcnt(0)
	s_barrier
	ds_read_b32 v21, v20 offset:20
	v_cndmask_b32_e64 v22, v36, v35, s[18:19]
	v_cmp_ne_u32_e32 vcc, 0, v0
	s_waitcnt lgkmcnt(0)
	s_barrier
	v_cndmask_b32_e32 v22, 0, v22, vcc
	v_add_u32_e32 v26, v21, v22
	ds_read_b64 v[20:21], v20 offset:25344
	v_add_u32_sdwa v25, v26, v19 dst_sel:DWORD dst_unused:UNUSED_PAD src0_sel:DWORD src1_sel:BYTE_0
	v_add_u32_e32 v23, v25, v30
	v_add_u32_e32 v22, v23, v31
	s_waitcnt lgkmcnt(0)
	v_mov_b32_e32 v24, v21
	s_load_dwordx2 s[2:3], s[0:1], 0x28
	s_branch .LBB3472_57
.LBB3472_47:
                                        ; implicit-def: $vgpr24
                                        ; implicit-def: $vgpr20
                                        ; implicit-def: $vgpr22
                                        ; implicit-def: $vgpr23
                                        ; implicit-def: $vgpr25
                                        ; implicit-def: $vgpr26
	s_load_dwordx2 s[2:3], s[0:1], 0x28
	s_cbranch_execz .LBB3472_57
; %bb.48:
	v_mov_b32_dpp v20, v34 row_shr:1 row_mask:0xf bank_mask:0xf
	v_cndmask_b32_e64 v20, v20, 0, s[16:17]
	v_add_u32_e32 v20, v20, v34
	s_nop 1
	v_mov_b32_dpp v21, v20 row_shr:2 row_mask:0xf bank_mask:0xf
	v_cndmask_b32_e64 v21, 0, v21, s[14:15]
	v_add_u32_e32 v20, v20, v21
	s_nop 1
	;; [unrolled: 4-line block ×4, first 2 shown]
	v_mov_b32_dpp v21, v20 row_bcast:15 row_mask:0xf bank_mask:0xf
	v_cndmask_b32_e64 v21, v21, 0, s[6:7]
	v_add_u32_e32 v20, v20, v21
	s_nop 1
	v_mov_b32_dpp v21, v20 row_bcast:31 row_mask:0xf bank_mask:0xf
	v_cndmask_b32_e64 v21, 0, v21, s[4:5]
	v_add_u32_e32 v20, v20, v21
	s_and_saveexec_b64 s[0:1], s[8:9]
	s_cbranch_execz .LBB3472_50
; %bb.49:
	v_lshlrev_b32_e32 v21, 2, v33
	ds_write_b32 v21, v20
.LBB3472_50:
	s_or_b64 exec, exec, s[0:1]
	v_cmp_gt_u32_e32 vcc, 6, v0
	s_waitcnt lgkmcnt(0)
	s_barrier
	s_and_saveexec_b64 s[0:1], vcc
	s_cbranch_execz .LBB3472_52
; %bb.51:
	ds_read_b32 v21, v1
	v_and_b32_e32 v22, 7, v32
	v_cmp_ne_u32_e32 vcc, 0, v22
	s_waitcnt lgkmcnt(0)
	v_mov_b32_dpp v23, v21 row_shr:1 row_mask:0xf bank_mask:0xf
	v_cndmask_b32_e32 v23, 0, v23, vcc
	v_add_u32_e32 v21, v23, v21
	v_cmp_lt_u32_e32 vcc, 1, v22
	s_nop 0
	v_mov_b32_dpp v23, v21 row_shr:2 row_mask:0xf bank_mask:0xf
	v_cndmask_b32_e32 v23, 0, v23, vcc
	v_add_u32_e32 v21, v21, v23
	v_cmp_lt_u32_e32 vcc, 3, v22
	s_nop 0
	v_mov_b32_dpp v23, v21 row_shr:4 row_mask:0xf bank_mask:0xf
	v_cndmask_b32_e32 v22, 0, v23, vcc
	v_add_u32_e32 v21, v21, v22
	ds_write_b32 v1, v21
.LBB3472_52:
	s_or_b64 exec, exec, s[0:1]
	v_cmp_lt_u32_e32 vcc, 63, v0
	v_mov_b32_e32 v21, 0
	v_mov_b32_e32 v22, 0
	s_waitcnt lgkmcnt(0)
	s_barrier
	s_and_saveexec_b64 s[0:1], vcc
	s_cbranch_execz .LBB3472_54
; %bb.53:
	v_lshl_add_u32 v22, v33, 2, -4
	ds_read_b32 v22, v22
.LBB3472_54:
	s_or_b64 exec, exec, s[0:1]
	v_add_u32_e32 v23, -1, v32
	v_and_b32_e32 v24, 64, v32
	v_cmp_lt_i32_e32 vcc, v23, v24
	s_waitcnt lgkmcnt(0)
	v_add_u32_e32 v20, v22, v20
	v_cndmask_b32_e32 v23, v23, v32, vcc
	v_lshlrev_b32_e32 v23, 2, v23
	ds_bpermute_b32 v23, v23, v20
	ds_read_b32 v20, v21 offset:20
	v_cmp_eq_u32_e32 vcc, 0, v0
	s_and_saveexec_b64 s[0:1], vcc
	s_cbranch_execz .LBB3472_56
; %bb.55:
	v_mov_b32_e32 v24, 0
	v_mov_b32_e32 v21, 2
	s_waitcnt lgkmcnt(0)
	global_store_dwordx2 v24, v[20:21], s[38:39] offset:512 sc1
.LBB3472_56:
	s_or_b64 exec, exec, s[0:1]
	v_cmp_eq_u32_e64 s[0:1], 0, v32
	v_mov_b32_e32 v24, 0
	s_waitcnt lgkmcnt(0)
	v_cndmask_b32_e64 v21, v23, v22, s[0:1]
	v_cndmask_b32_e64 v26, v21, 0, vcc
	v_add_u32_sdwa v25, v26, v19 dst_sel:DWORD dst_unused:UNUSED_PAD src0_sel:DWORD src1_sel:BYTE_0
	v_add_u32_e32 v23, v25, v30
	v_add_u32_e32 v22, v23, v31
	s_barrier
.LBB3472_57:
	v_add_u32_e32 v1, v20, v1
	v_sub_u32_e32 v26, v26, v24
	v_and_b32_e32 v28, 1, v19
	v_sub_u32_e32 v27, v1, v26
	v_cmp_eq_u32_e32 vcc, 1, v28
	v_lshrrev_b32_e32 v21, 8, v19
	s_add_u32 s0, s22, s34
	v_cndmask_b32_e32 v26, v27, v26, vcc
	v_lshlrev_b32_e32 v26, 4, v26
	ds_write_b128 v26, v[14:17]
	v_sub_u32_e32 v14, v25, v24
	v_sub_u32_e32 v15, v1, v14
	v_and_b32_e32 v16, 1, v21
	v_add_u32_e32 v15, 1, v15
	v_cmp_eq_u32_e32 vcc, 1, v16
	s_addc_u32 s1, s23, 0
	s_sub_u32 s0, s28, s0
	v_cndmask_b32_e32 v14, v15, v14, vcc
	v_lshlrev_b32_e32 v14, 4, v14
	ds_write_b128 v14, v[10:13]
	v_sub_u32_e32 v10, v23, v24
	v_mov_b32_e32 v12, 1
	v_sub_u32_e32 v11, v1, v10
	v_and_b32_sdwa v12, v12, v19 dst_sel:DWORD dst_unused:UNUSED_PAD src0_sel:DWORD src1_sel:WORD_1
	v_add_u32_e32 v11, 2, v11
	v_cmp_eq_u32_e32 vcc, 1, v12
	s_subb_u32 s1, s29, s1
	v_add_u32_e32 v28, 0x180, v0
	v_cndmask_b32_e32 v10, v11, v10, vcc
	v_lshlrev_b32_e32 v10, 4, v10
	ds_write_b128 v10, v[6:9]
	v_sub_u32_e32 v6, v22, v24
	v_sub_u32_e32 v1, v1, v6
	v_add_u32_e32 v1, 3, v1
	v_cndmask_b32_e64 v1, v1, v6, s[36:37]
	v_lshlrev_b32_e32 v1, 4, v1
	ds_write_b128 v1, v[2:5]
	s_waitcnt lgkmcnt(0)
	s_barrier
	ds_read_b128 v[14:17], v18
	ds_read_b128 v[10:13], v18 offset:6144
	ds_read_b128 v[6:9], v18 offset:12288
	;; [unrolled: 1-line block ×3, first 2 shown]
	v_mov_b32_e32 v1, 0
	v_mov_b32_e32 v25, v1
	;; [unrolled: 1-line block ×3, first 2 shown]
	v_lshl_add_u64 v[18:19], s[30:31], 0, v[24:25]
	v_lshl_add_u64 v[24:25], s[0:1], 0, v[20:21]
	v_mov_b32_e32 v29, v1
	v_add_u32_e32 v26, 0x300, v0
	v_mov_b32_e32 v27, v1
	v_add_u32_e32 v22, 0x480, v0
	v_mov_b32_e32 v23, v1
	s_and_b64 vcc, exec, s[20:21]
	v_lshl_add_u64 v[24:25], v[24:25], 0, v[18:19]
	s_cbranch_vccnz .LBB3472_75
; %bb.58:
	v_cmp_ge_u32_e32 vcc, v0, v20
                                        ; implicit-def: $vgpr30_vgpr31
	s_and_saveexec_b64 s[0:1], vcc
	s_xor_b64 s[0:1], exec, s[0:1]
; %bb.59:
	v_not_b32_e32 v30, v0
	v_ashrrev_i32_e32 v31, 31, v30
	v_lshl_add_u64 v[30:31], v[24:25], 0, v[30:31]
; %bb.60:
	s_andn2_saveexec_b64 s[0:1], s[0:1]
; %bb.61:
	v_lshl_add_u64 v[30:31], v[18:19], 0, v[0:1]
; %bb.62:
	s_or_b64 exec, exec, s[0:1]
	v_lshl_add_u64 v[30:31], v[30:31], 4, s[2:3]
	v_cmp_ge_u32_e32 vcc, v28, v20
	s_waitcnt lgkmcnt(3)
	global_store_dwordx4 v[30:31], v[14:17], off
                                        ; implicit-def: $vgpr30_vgpr31
	s_and_saveexec_b64 s[0:1], vcc
	s_xor_b64 s[0:1], exec, s[0:1]
; %bb.63:
	v_sub_u32_e32 v30, 0xfffffe7f, v0
	v_ashrrev_i32_e32 v31, 31, v30
	v_lshl_add_u64 v[30:31], v[24:25], 0, v[30:31]
; %bb.64:
	s_andn2_saveexec_b64 s[0:1], s[0:1]
; %bb.65:
	v_lshl_add_u64 v[30:31], v[18:19], 0, v[28:29]
; %bb.66:
	s_or_b64 exec, exec, s[0:1]
	v_lshl_add_u64 v[30:31], v[30:31], 4, s[2:3]
	v_cmp_ge_u32_e32 vcc, v26, v20
	s_waitcnt lgkmcnt(2)
	global_store_dwordx4 v[30:31], v[10:13], off
                                        ; implicit-def: $vgpr30_vgpr31
	s_and_saveexec_b64 s[0:1], vcc
	s_xor_b64 s[0:1], exec, s[0:1]
; %bb.67:
	v_sub_u32_e32 v30, 0xfffffcff, v0
	;; [unrolled: 17-line block ×3, first 2 shown]
	v_ashrrev_i32_e32 v31, 31, v30
	v_lshl_add_u64 v[30:31], v[24:25], 0, v[30:31]
; %bb.72:
	s_andn2_saveexec_b64 s[0:1], s[0:1]
; %bb.73:
	v_lshl_add_u64 v[30:31], v[18:19], 0, v[22:23]
; %bb.74:
	s_or_b64 exec, exec, s[0:1]
	s_mov_b64 s[0:1], -1
	s_branch .LBB3472_101
.LBB3472_75:
	s_mov_b64 s[0:1], 0
                                        ; implicit-def: $vgpr30_vgpr31
	s_cbranch_execz .LBB3472_101
; %bb.76:
	v_cmp_gt_u32_e32 vcc, s33, v0
	s_and_saveexec_b64 s[4:5], vcc
	s_cbranch_execz .LBB3472_84
; %bb.77:
	v_cmp_ge_u32_e32 vcc, v0, v20
                                        ; implicit-def: $vgpr30_vgpr31
	s_and_saveexec_b64 s[6:7], vcc
	s_xor_b64 s[6:7], exec, s[6:7]
; %bb.78:
	v_not_b32_e32 v30, v0
	v_ashrrev_i32_e32 v31, 31, v30
	v_lshl_add_u64 v[30:31], v[24:25], 0, v[30:31]
; %bb.79:
	s_andn2_saveexec_b64 s[6:7], s[6:7]
; %bb.80:
	v_lshl_add_u64 v[30:31], v[18:19], 0, v[0:1]
; %bb.81:
	s_or_b64 exec, exec, s[6:7]
	v_lshl_add_u64 v[30:31], v[30:31], 4, s[2:3]
	s_waitcnt lgkmcnt(3)
	global_store_dwordx4 v[30:31], v[14:17], off
	s_or_b64 exec, exec, s[4:5]
	v_cmp_gt_u32_e32 vcc, s33, v28
	s_and_saveexec_b64 s[4:5], vcc
	s_cbranch_execnz .LBB3472_85
.LBB3472_82:
	s_or_b64 exec, exec, s[4:5]
	v_cmp_gt_u32_e32 vcc, s33, v26
	s_and_saveexec_b64 s[4:5], vcc
	s_cbranch_execnz .LBB3472_90
.LBB3472_83:
	s_or_b64 exec, exec, s[4:5]
	v_cmp_gt_u32_e32 vcc, s33, v22
                                        ; implicit-def: $vgpr30_vgpr31
	s_and_saveexec_b64 s[4:5], vcc
	s_cbranch_execz .LBB3472_100
	s_branch .LBB3472_95
.LBB3472_84:
	s_or_b64 exec, exec, s[4:5]
	v_cmp_gt_u32_e32 vcc, s33, v28
	s_and_saveexec_b64 s[4:5], vcc
	s_cbranch_execz .LBB3472_82
.LBB3472_85:
	v_cmp_ge_u32_e32 vcc, v28, v20
                                        ; implicit-def: $vgpr14_vgpr15
	s_and_saveexec_b64 s[6:7], vcc
	s_xor_b64 s[6:7], exec, s[6:7]
	s_cbranch_execz .LBB3472_87
; %bb.86:
	s_waitcnt lgkmcnt(3)
	v_sub_u32_e32 v14, 0xfffffe7f, v0
	v_ashrrev_i32_e32 v15, 31, v14
	v_lshl_add_u64 v[14:15], v[24:25], 0, v[14:15]
                                        ; implicit-def: $vgpr28_vgpr29
.LBB3472_87:
	s_andn2_saveexec_b64 s[6:7], s[6:7]
	s_cbranch_execz .LBB3472_89
; %bb.88:
	s_waitcnt lgkmcnt(3)
	v_lshl_add_u64 v[14:15], v[18:19], 0, v[28:29]
.LBB3472_89:
	s_or_b64 exec, exec, s[6:7]
	s_waitcnt lgkmcnt(3)
	v_lshl_add_u64 v[14:15], v[14:15], 4, s[2:3]
	s_waitcnt lgkmcnt(2)
	global_store_dwordx4 v[14:15], v[10:13], off
	s_or_b64 exec, exec, s[4:5]
	v_cmp_gt_u32_e32 vcc, s33, v26
	s_and_saveexec_b64 s[4:5], vcc
	s_cbranch_execz .LBB3472_83
.LBB3472_90:
	v_cmp_ge_u32_e32 vcc, v26, v20
                                        ; implicit-def: $vgpr10_vgpr11
	s_and_saveexec_b64 s[6:7], vcc
	s_xor_b64 s[6:7], exec, s[6:7]
	s_cbranch_execz .LBB3472_92
; %bb.91:
	s_waitcnt lgkmcnt(2)
	v_sub_u32_e32 v10, 0xfffffcff, v0
	v_ashrrev_i32_e32 v11, 31, v10
	v_lshl_add_u64 v[10:11], v[24:25], 0, v[10:11]
                                        ; implicit-def: $vgpr26_vgpr27
.LBB3472_92:
	s_andn2_saveexec_b64 s[6:7], s[6:7]
	s_cbranch_execz .LBB3472_94
; %bb.93:
	s_waitcnt lgkmcnt(2)
	v_lshl_add_u64 v[10:11], v[18:19], 0, v[26:27]
.LBB3472_94:
	s_or_b64 exec, exec, s[6:7]
	s_waitcnt lgkmcnt(2)
	v_lshl_add_u64 v[10:11], v[10:11], 4, s[2:3]
	s_waitcnt lgkmcnt(1)
	global_store_dwordx4 v[10:11], v[6:9], off
	s_or_b64 exec, exec, s[4:5]
	v_cmp_gt_u32_e32 vcc, s33, v22
                                        ; implicit-def: $vgpr30_vgpr31
	s_and_saveexec_b64 s[4:5], vcc
	s_cbranch_execz .LBB3472_100
.LBB3472_95:
	v_cmp_ge_u32_e32 vcc, v22, v20
                                        ; implicit-def: $vgpr30_vgpr31
	s_and_saveexec_b64 s[6:7], vcc
	s_xor_b64 s[6:7], exec, s[6:7]
	s_cbranch_execz .LBB3472_97
; %bb.96:
	s_waitcnt lgkmcnt(1)
	v_sub_u32_e32 v6, 0xfffffb7f, v0
	v_ashrrev_i32_e32 v7, 31, v6
	v_lshl_add_u64 v[30:31], v[24:25], 0, v[6:7]
                                        ; implicit-def: $vgpr22_vgpr23
.LBB3472_97:
	s_andn2_saveexec_b64 s[6:7], s[6:7]
; %bb.98:
	v_lshl_add_u64 v[30:31], v[18:19], 0, v[22:23]
; %bb.99:
	s_or_b64 exec, exec, s[6:7]
	s_or_b64 s[0:1], s[0:1], exec
.LBB3472_100:
	s_or_b64 exec, exec, s[4:5]
.LBB3472_101:
	s_and_saveexec_b64 s[4:5], s[0:1]
	s_cbranch_execz .LBB3472_103
; %bb.102:
	s_waitcnt lgkmcnt(1)
	v_lshl_add_u64 v[6:7], v[30:31], 4, s[2:3]
	s_waitcnt lgkmcnt(0)
	global_store_dwordx4 v[6:7], v[2:5], off
.LBB3472_103:
	s_or_b64 exec, exec, s[4:5]
	v_cmp_eq_u32_e32 vcc, 0, v0
	s_and_b64 s[0:1], vcc, s[26:27]
	s_and_saveexec_b64 s[2:3], s[0:1]
	s_cbranch_execz .LBB3472_105
; %bb.104:
	s_waitcnt lgkmcnt(0)
	v_mov_b32_e32 v2, 0
	v_lshl_add_u64 v[0:1], v[18:19], 0, v[20:21]
	global_store_dwordx2 v2, v[0:1], s[24:25]
.LBB3472_105:
	s_endpgm
	.section	.rodata,"a",@progbits
	.p2align	6, 0x0
	.amdhsa_kernel _ZN7rocprim17ROCPRIM_400000_NS6detail17trampoline_kernelINS0_14default_configENS1_25partition_config_selectorILNS1_17partition_subalgoE3EN6thrust23THRUST_200600_302600_NS5tupleIxxNS7_9null_typeES9_S9_S9_S9_S9_S9_S9_EENS0_10empty_typeEbEEZZNS1_14partition_implILS5_3ELb0ES3_jNS7_6detail15normal_iteratorINS7_7pointerISA_NS7_11hip_rocprim3tagENS7_11use_defaultESJ_EEEEPSB_SM_NS0_5tupleIJPSA_SM_EEENSN_IJSM_SM_EEESB_PlJ10is_orderedEEE10hipError_tPvRmT3_T4_T5_T6_T7_T9_mT8_P12ihipStream_tbDpT10_ENKUlT_T0_E_clISt17integral_constantIbLb1EES1B_IbLb0EEEEDaS17_S18_EUlS17_E_NS1_11comp_targetILNS1_3genE5ELNS1_11target_archE942ELNS1_3gpuE9ELNS1_3repE0EEENS1_30default_config_static_selectorELNS0_4arch9wavefront6targetE1EEEvT1_
		.amdhsa_group_segment_fixed_size 25352
		.amdhsa_private_segment_fixed_size 0
		.amdhsa_kernarg_size 120
		.amdhsa_user_sgpr_count 2
		.amdhsa_user_sgpr_dispatch_ptr 0
		.amdhsa_user_sgpr_queue_ptr 0
		.amdhsa_user_sgpr_kernarg_segment_ptr 1
		.amdhsa_user_sgpr_dispatch_id 0
		.amdhsa_user_sgpr_kernarg_preload_length 0
		.amdhsa_user_sgpr_kernarg_preload_offset 0
		.amdhsa_user_sgpr_private_segment_size 0
		.amdhsa_uses_dynamic_stack 0
		.amdhsa_enable_private_segment 0
		.amdhsa_system_sgpr_workgroup_id_x 1
		.amdhsa_system_sgpr_workgroup_id_y 0
		.amdhsa_system_sgpr_workgroup_id_z 0
		.amdhsa_system_sgpr_workgroup_info 0
		.amdhsa_system_vgpr_workitem_id 0
		.amdhsa_next_free_vgpr 51
		.amdhsa_next_free_sgpr 48
		.amdhsa_accum_offset 52
		.amdhsa_reserve_vcc 1
		.amdhsa_float_round_mode_32 0
		.amdhsa_float_round_mode_16_64 0
		.amdhsa_float_denorm_mode_32 3
		.amdhsa_float_denorm_mode_16_64 3
		.amdhsa_dx10_clamp 1
		.amdhsa_ieee_mode 1
		.amdhsa_fp16_overflow 0
		.amdhsa_tg_split 0
		.amdhsa_exception_fp_ieee_invalid_op 0
		.amdhsa_exception_fp_denorm_src 0
		.amdhsa_exception_fp_ieee_div_zero 0
		.amdhsa_exception_fp_ieee_overflow 0
		.amdhsa_exception_fp_ieee_underflow 0
		.amdhsa_exception_fp_ieee_inexact 0
		.amdhsa_exception_int_div_zero 0
	.end_amdhsa_kernel
	.section	.text._ZN7rocprim17ROCPRIM_400000_NS6detail17trampoline_kernelINS0_14default_configENS1_25partition_config_selectorILNS1_17partition_subalgoE3EN6thrust23THRUST_200600_302600_NS5tupleIxxNS7_9null_typeES9_S9_S9_S9_S9_S9_S9_EENS0_10empty_typeEbEEZZNS1_14partition_implILS5_3ELb0ES3_jNS7_6detail15normal_iteratorINS7_7pointerISA_NS7_11hip_rocprim3tagENS7_11use_defaultESJ_EEEEPSB_SM_NS0_5tupleIJPSA_SM_EEENSN_IJSM_SM_EEESB_PlJ10is_orderedEEE10hipError_tPvRmT3_T4_T5_T6_T7_T9_mT8_P12ihipStream_tbDpT10_ENKUlT_T0_E_clISt17integral_constantIbLb1EES1B_IbLb0EEEEDaS17_S18_EUlS17_E_NS1_11comp_targetILNS1_3genE5ELNS1_11target_archE942ELNS1_3gpuE9ELNS1_3repE0EEENS1_30default_config_static_selectorELNS0_4arch9wavefront6targetE1EEEvT1_,"axG",@progbits,_ZN7rocprim17ROCPRIM_400000_NS6detail17trampoline_kernelINS0_14default_configENS1_25partition_config_selectorILNS1_17partition_subalgoE3EN6thrust23THRUST_200600_302600_NS5tupleIxxNS7_9null_typeES9_S9_S9_S9_S9_S9_S9_EENS0_10empty_typeEbEEZZNS1_14partition_implILS5_3ELb0ES3_jNS7_6detail15normal_iteratorINS7_7pointerISA_NS7_11hip_rocprim3tagENS7_11use_defaultESJ_EEEEPSB_SM_NS0_5tupleIJPSA_SM_EEENSN_IJSM_SM_EEESB_PlJ10is_orderedEEE10hipError_tPvRmT3_T4_T5_T6_T7_T9_mT8_P12ihipStream_tbDpT10_ENKUlT_T0_E_clISt17integral_constantIbLb1EES1B_IbLb0EEEEDaS17_S18_EUlS17_E_NS1_11comp_targetILNS1_3genE5ELNS1_11target_archE942ELNS1_3gpuE9ELNS1_3repE0EEENS1_30default_config_static_selectorELNS0_4arch9wavefront6targetE1EEEvT1_,comdat
.Lfunc_end3472:
	.size	_ZN7rocprim17ROCPRIM_400000_NS6detail17trampoline_kernelINS0_14default_configENS1_25partition_config_selectorILNS1_17partition_subalgoE3EN6thrust23THRUST_200600_302600_NS5tupleIxxNS7_9null_typeES9_S9_S9_S9_S9_S9_S9_EENS0_10empty_typeEbEEZZNS1_14partition_implILS5_3ELb0ES3_jNS7_6detail15normal_iteratorINS7_7pointerISA_NS7_11hip_rocprim3tagENS7_11use_defaultESJ_EEEEPSB_SM_NS0_5tupleIJPSA_SM_EEENSN_IJSM_SM_EEESB_PlJ10is_orderedEEE10hipError_tPvRmT3_T4_T5_T6_T7_T9_mT8_P12ihipStream_tbDpT10_ENKUlT_T0_E_clISt17integral_constantIbLb1EES1B_IbLb0EEEEDaS17_S18_EUlS17_E_NS1_11comp_targetILNS1_3genE5ELNS1_11target_archE942ELNS1_3gpuE9ELNS1_3repE0EEENS1_30default_config_static_selectorELNS0_4arch9wavefront6targetE1EEEvT1_, .Lfunc_end3472-_ZN7rocprim17ROCPRIM_400000_NS6detail17trampoline_kernelINS0_14default_configENS1_25partition_config_selectorILNS1_17partition_subalgoE3EN6thrust23THRUST_200600_302600_NS5tupleIxxNS7_9null_typeES9_S9_S9_S9_S9_S9_S9_EENS0_10empty_typeEbEEZZNS1_14partition_implILS5_3ELb0ES3_jNS7_6detail15normal_iteratorINS7_7pointerISA_NS7_11hip_rocprim3tagENS7_11use_defaultESJ_EEEEPSB_SM_NS0_5tupleIJPSA_SM_EEENSN_IJSM_SM_EEESB_PlJ10is_orderedEEE10hipError_tPvRmT3_T4_T5_T6_T7_T9_mT8_P12ihipStream_tbDpT10_ENKUlT_T0_E_clISt17integral_constantIbLb1EES1B_IbLb0EEEEDaS17_S18_EUlS17_E_NS1_11comp_targetILNS1_3genE5ELNS1_11target_archE942ELNS1_3gpuE9ELNS1_3repE0EEENS1_30default_config_static_selectorELNS0_4arch9wavefront6targetE1EEEvT1_
                                        ; -- End function
	.section	.AMDGPU.csdata,"",@progbits
; Kernel info:
; codeLenInByte = 4264
; NumSgprs: 54
; NumVgprs: 51
; NumAgprs: 0
; TotalNumVgprs: 51
; ScratchSize: 0
; MemoryBound: 1
; FloatMode: 240
; IeeeMode: 1
; LDSByteSize: 25352 bytes/workgroup (compile time only)
; SGPRBlocks: 6
; VGPRBlocks: 6
; NumSGPRsForWavesPerEU: 54
; NumVGPRsForWavesPerEU: 51
; AccumOffset: 52
; Occupancy: 3
; WaveLimiterHint : 1
; COMPUTE_PGM_RSRC2:SCRATCH_EN: 0
; COMPUTE_PGM_RSRC2:USER_SGPR: 2
; COMPUTE_PGM_RSRC2:TRAP_HANDLER: 0
; COMPUTE_PGM_RSRC2:TGID_X_EN: 1
; COMPUTE_PGM_RSRC2:TGID_Y_EN: 0
; COMPUTE_PGM_RSRC2:TGID_Z_EN: 0
; COMPUTE_PGM_RSRC2:TIDIG_COMP_CNT: 0
; COMPUTE_PGM_RSRC3_GFX90A:ACCUM_OFFSET: 12
; COMPUTE_PGM_RSRC3_GFX90A:TG_SPLIT: 0
	.section	.text._ZN7rocprim17ROCPRIM_400000_NS6detail17trampoline_kernelINS0_14default_configENS1_25partition_config_selectorILNS1_17partition_subalgoE3EN6thrust23THRUST_200600_302600_NS5tupleIxxNS7_9null_typeES9_S9_S9_S9_S9_S9_S9_EENS0_10empty_typeEbEEZZNS1_14partition_implILS5_3ELb0ES3_jNS7_6detail15normal_iteratorINS7_7pointerISA_NS7_11hip_rocprim3tagENS7_11use_defaultESJ_EEEEPSB_SM_NS0_5tupleIJPSA_SM_EEENSN_IJSM_SM_EEESB_PlJ10is_orderedEEE10hipError_tPvRmT3_T4_T5_T6_T7_T9_mT8_P12ihipStream_tbDpT10_ENKUlT_T0_E_clISt17integral_constantIbLb1EES1B_IbLb0EEEEDaS17_S18_EUlS17_E_NS1_11comp_targetILNS1_3genE4ELNS1_11target_archE910ELNS1_3gpuE8ELNS1_3repE0EEENS1_30default_config_static_selectorELNS0_4arch9wavefront6targetE1EEEvT1_,"axG",@progbits,_ZN7rocprim17ROCPRIM_400000_NS6detail17trampoline_kernelINS0_14default_configENS1_25partition_config_selectorILNS1_17partition_subalgoE3EN6thrust23THRUST_200600_302600_NS5tupleIxxNS7_9null_typeES9_S9_S9_S9_S9_S9_S9_EENS0_10empty_typeEbEEZZNS1_14partition_implILS5_3ELb0ES3_jNS7_6detail15normal_iteratorINS7_7pointerISA_NS7_11hip_rocprim3tagENS7_11use_defaultESJ_EEEEPSB_SM_NS0_5tupleIJPSA_SM_EEENSN_IJSM_SM_EEESB_PlJ10is_orderedEEE10hipError_tPvRmT3_T4_T5_T6_T7_T9_mT8_P12ihipStream_tbDpT10_ENKUlT_T0_E_clISt17integral_constantIbLb1EES1B_IbLb0EEEEDaS17_S18_EUlS17_E_NS1_11comp_targetILNS1_3genE4ELNS1_11target_archE910ELNS1_3gpuE8ELNS1_3repE0EEENS1_30default_config_static_selectorELNS0_4arch9wavefront6targetE1EEEvT1_,comdat
	.protected	_ZN7rocprim17ROCPRIM_400000_NS6detail17trampoline_kernelINS0_14default_configENS1_25partition_config_selectorILNS1_17partition_subalgoE3EN6thrust23THRUST_200600_302600_NS5tupleIxxNS7_9null_typeES9_S9_S9_S9_S9_S9_S9_EENS0_10empty_typeEbEEZZNS1_14partition_implILS5_3ELb0ES3_jNS7_6detail15normal_iteratorINS7_7pointerISA_NS7_11hip_rocprim3tagENS7_11use_defaultESJ_EEEEPSB_SM_NS0_5tupleIJPSA_SM_EEENSN_IJSM_SM_EEESB_PlJ10is_orderedEEE10hipError_tPvRmT3_T4_T5_T6_T7_T9_mT8_P12ihipStream_tbDpT10_ENKUlT_T0_E_clISt17integral_constantIbLb1EES1B_IbLb0EEEEDaS17_S18_EUlS17_E_NS1_11comp_targetILNS1_3genE4ELNS1_11target_archE910ELNS1_3gpuE8ELNS1_3repE0EEENS1_30default_config_static_selectorELNS0_4arch9wavefront6targetE1EEEvT1_ ; -- Begin function _ZN7rocprim17ROCPRIM_400000_NS6detail17trampoline_kernelINS0_14default_configENS1_25partition_config_selectorILNS1_17partition_subalgoE3EN6thrust23THRUST_200600_302600_NS5tupleIxxNS7_9null_typeES9_S9_S9_S9_S9_S9_S9_EENS0_10empty_typeEbEEZZNS1_14partition_implILS5_3ELb0ES3_jNS7_6detail15normal_iteratorINS7_7pointerISA_NS7_11hip_rocprim3tagENS7_11use_defaultESJ_EEEEPSB_SM_NS0_5tupleIJPSA_SM_EEENSN_IJSM_SM_EEESB_PlJ10is_orderedEEE10hipError_tPvRmT3_T4_T5_T6_T7_T9_mT8_P12ihipStream_tbDpT10_ENKUlT_T0_E_clISt17integral_constantIbLb1EES1B_IbLb0EEEEDaS17_S18_EUlS17_E_NS1_11comp_targetILNS1_3genE4ELNS1_11target_archE910ELNS1_3gpuE8ELNS1_3repE0EEENS1_30default_config_static_selectorELNS0_4arch9wavefront6targetE1EEEvT1_
	.globl	_ZN7rocprim17ROCPRIM_400000_NS6detail17trampoline_kernelINS0_14default_configENS1_25partition_config_selectorILNS1_17partition_subalgoE3EN6thrust23THRUST_200600_302600_NS5tupleIxxNS7_9null_typeES9_S9_S9_S9_S9_S9_S9_EENS0_10empty_typeEbEEZZNS1_14partition_implILS5_3ELb0ES3_jNS7_6detail15normal_iteratorINS7_7pointerISA_NS7_11hip_rocprim3tagENS7_11use_defaultESJ_EEEEPSB_SM_NS0_5tupleIJPSA_SM_EEENSN_IJSM_SM_EEESB_PlJ10is_orderedEEE10hipError_tPvRmT3_T4_T5_T6_T7_T9_mT8_P12ihipStream_tbDpT10_ENKUlT_T0_E_clISt17integral_constantIbLb1EES1B_IbLb0EEEEDaS17_S18_EUlS17_E_NS1_11comp_targetILNS1_3genE4ELNS1_11target_archE910ELNS1_3gpuE8ELNS1_3repE0EEENS1_30default_config_static_selectorELNS0_4arch9wavefront6targetE1EEEvT1_
	.p2align	8
	.type	_ZN7rocprim17ROCPRIM_400000_NS6detail17trampoline_kernelINS0_14default_configENS1_25partition_config_selectorILNS1_17partition_subalgoE3EN6thrust23THRUST_200600_302600_NS5tupleIxxNS7_9null_typeES9_S9_S9_S9_S9_S9_S9_EENS0_10empty_typeEbEEZZNS1_14partition_implILS5_3ELb0ES3_jNS7_6detail15normal_iteratorINS7_7pointerISA_NS7_11hip_rocprim3tagENS7_11use_defaultESJ_EEEEPSB_SM_NS0_5tupleIJPSA_SM_EEENSN_IJSM_SM_EEESB_PlJ10is_orderedEEE10hipError_tPvRmT3_T4_T5_T6_T7_T9_mT8_P12ihipStream_tbDpT10_ENKUlT_T0_E_clISt17integral_constantIbLb1EES1B_IbLb0EEEEDaS17_S18_EUlS17_E_NS1_11comp_targetILNS1_3genE4ELNS1_11target_archE910ELNS1_3gpuE8ELNS1_3repE0EEENS1_30default_config_static_selectorELNS0_4arch9wavefront6targetE1EEEvT1_,@function
_ZN7rocprim17ROCPRIM_400000_NS6detail17trampoline_kernelINS0_14default_configENS1_25partition_config_selectorILNS1_17partition_subalgoE3EN6thrust23THRUST_200600_302600_NS5tupleIxxNS7_9null_typeES9_S9_S9_S9_S9_S9_S9_EENS0_10empty_typeEbEEZZNS1_14partition_implILS5_3ELb0ES3_jNS7_6detail15normal_iteratorINS7_7pointerISA_NS7_11hip_rocprim3tagENS7_11use_defaultESJ_EEEEPSB_SM_NS0_5tupleIJPSA_SM_EEENSN_IJSM_SM_EEESB_PlJ10is_orderedEEE10hipError_tPvRmT3_T4_T5_T6_T7_T9_mT8_P12ihipStream_tbDpT10_ENKUlT_T0_E_clISt17integral_constantIbLb1EES1B_IbLb0EEEEDaS17_S18_EUlS17_E_NS1_11comp_targetILNS1_3genE4ELNS1_11target_archE910ELNS1_3gpuE8ELNS1_3repE0EEENS1_30default_config_static_selectorELNS0_4arch9wavefront6targetE1EEEvT1_: ; @_ZN7rocprim17ROCPRIM_400000_NS6detail17trampoline_kernelINS0_14default_configENS1_25partition_config_selectorILNS1_17partition_subalgoE3EN6thrust23THRUST_200600_302600_NS5tupleIxxNS7_9null_typeES9_S9_S9_S9_S9_S9_S9_EENS0_10empty_typeEbEEZZNS1_14partition_implILS5_3ELb0ES3_jNS7_6detail15normal_iteratorINS7_7pointerISA_NS7_11hip_rocprim3tagENS7_11use_defaultESJ_EEEEPSB_SM_NS0_5tupleIJPSA_SM_EEENSN_IJSM_SM_EEESB_PlJ10is_orderedEEE10hipError_tPvRmT3_T4_T5_T6_T7_T9_mT8_P12ihipStream_tbDpT10_ENKUlT_T0_E_clISt17integral_constantIbLb1EES1B_IbLb0EEEEDaS17_S18_EUlS17_E_NS1_11comp_targetILNS1_3genE4ELNS1_11target_archE910ELNS1_3gpuE8ELNS1_3repE0EEENS1_30default_config_static_selectorELNS0_4arch9wavefront6targetE1EEEvT1_
; %bb.0:
	.section	.rodata,"a",@progbits
	.p2align	6, 0x0
	.amdhsa_kernel _ZN7rocprim17ROCPRIM_400000_NS6detail17trampoline_kernelINS0_14default_configENS1_25partition_config_selectorILNS1_17partition_subalgoE3EN6thrust23THRUST_200600_302600_NS5tupleIxxNS7_9null_typeES9_S9_S9_S9_S9_S9_S9_EENS0_10empty_typeEbEEZZNS1_14partition_implILS5_3ELb0ES3_jNS7_6detail15normal_iteratorINS7_7pointerISA_NS7_11hip_rocprim3tagENS7_11use_defaultESJ_EEEEPSB_SM_NS0_5tupleIJPSA_SM_EEENSN_IJSM_SM_EEESB_PlJ10is_orderedEEE10hipError_tPvRmT3_T4_T5_T6_T7_T9_mT8_P12ihipStream_tbDpT10_ENKUlT_T0_E_clISt17integral_constantIbLb1EES1B_IbLb0EEEEDaS17_S18_EUlS17_E_NS1_11comp_targetILNS1_3genE4ELNS1_11target_archE910ELNS1_3gpuE8ELNS1_3repE0EEENS1_30default_config_static_selectorELNS0_4arch9wavefront6targetE1EEEvT1_
		.amdhsa_group_segment_fixed_size 0
		.amdhsa_private_segment_fixed_size 0
		.amdhsa_kernarg_size 120
		.amdhsa_user_sgpr_count 2
		.amdhsa_user_sgpr_dispatch_ptr 0
		.amdhsa_user_sgpr_queue_ptr 0
		.amdhsa_user_sgpr_kernarg_segment_ptr 1
		.amdhsa_user_sgpr_dispatch_id 0
		.amdhsa_user_sgpr_kernarg_preload_length 0
		.amdhsa_user_sgpr_kernarg_preload_offset 0
		.amdhsa_user_sgpr_private_segment_size 0
		.amdhsa_uses_dynamic_stack 0
		.amdhsa_enable_private_segment 0
		.amdhsa_system_sgpr_workgroup_id_x 1
		.amdhsa_system_sgpr_workgroup_id_y 0
		.amdhsa_system_sgpr_workgroup_id_z 0
		.amdhsa_system_sgpr_workgroup_info 0
		.amdhsa_system_vgpr_workitem_id 0
		.amdhsa_next_free_vgpr 1
		.amdhsa_next_free_sgpr 0
		.amdhsa_accum_offset 4
		.amdhsa_reserve_vcc 0
		.amdhsa_float_round_mode_32 0
		.amdhsa_float_round_mode_16_64 0
		.amdhsa_float_denorm_mode_32 3
		.amdhsa_float_denorm_mode_16_64 3
		.amdhsa_dx10_clamp 1
		.amdhsa_ieee_mode 1
		.amdhsa_fp16_overflow 0
		.amdhsa_tg_split 0
		.amdhsa_exception_fp_ieee_invalid_op 0
		.amdhsa_exception_fp_denorm_src 0
		.amdhsa_exception_fp_ieee_div_zero 0
		.amdhsa_exception_fp_ieee_overflow 0
		.amdhsa_exception_fp_ieee_underflow 0
		.amdhsa_exception_fp_ieee_inexact 0
		.amdhsa_exception_int_div_zero 0
	.end_amdhsa_kernel
	.section	.text._ZN7rocprim17ROCPRIM_400000_NS6detail17trampoline_kernelINS0_14default_configENS1_25partition_config_selectorILNS1_17partition_subalgoE3EN6thrust23THRUST_200600_302600_NS5tupleIxxNS7_9null_typeES9_S9_S9_S9_S9_S9_S9_EENS0_10empty_typeEbEEZZNS1_14partition_implILS5_3ELb0ES3_jNS7_6detail15normal_iteratorINS7_7pointerISA_NS7_11hip_rocprim3tagENS7_11use_defaultESJ_EEEEPSB_SM_NS0_5tupleIJPSA_SM_EEENSN_IJSM_SM_EEESB_PlJ10is_orderedEEE10hipError_tPvRmT3_T4_T5_T6_T7_T9_mT8_P12ihipStream_tbDpT10_ENKUlT_T0_E_clISt17integral_constantIbLb1EES1B_IbLb0EEEEDaS17_S18_EUlS17_E_NS1_11comp_targetILNS1_3genE4ELNS1_11target_archE910ELNS1_3gpuE8ELNS1_3repE0EEENS1_30default_config_static_selectorELNS0_4arch9wavefront6targetE1EEEvT1_,"axG",@progbits,_ZN7rocprim17ROCPRIM_400000_NS6detail17trampoline_kernelINS0_14default_configENS1_25partition_config_selectorILNS1_17partition_subalgoE3EN6thrust23THRUST_200600_302600_NS5tupleIxxNS7_9null_typeES9_S9_S9_S9_S9_S9_S9_EENS0_10empty_typeEbEEZZNS1_14partition_implILS5_3ELb0ES3_jNS7_6detail15normal_iteratorINS7_7pointerISA_NS7_11hip_rocprim3tagENS7_11use_defaultESJ_EEEEPSB_SM_NS0_5tupleIJPSA_SM_EEENSN_IJSM_SM_EEESB_PlJ10is_orderedEEE10hipError_tPvRmT3_T4_T5_T6_T7_T9_mT8_P12ihipStream_tbDpT10_ENKUlT_T0_E_clISt17integral_constantIbLb1EES1B_IbLb0EEEEDaS17_S18_EUlS17_E_NS1_11comp_targetILNS1_3genE4ELNS1_11target_archE910ELNS1_3gpuE8ELNS1_3repE0EEENS1_30default_config_static_selectorELNS0_4arch9wavefront6targetE1EEEvT1_,comdat
.Lfunc_end3473:
	.size	_ZN7rocprim17ROCPRIM_400000_NS6detail17trampoline_kernelINS0_14default_configENS1_25partition_config_selectorILNS1_17partition_subalgoE3EN6thrust23THRUST_200600_302600_NS5tupleIxxNS7_9null_typeES9_S9_S9_S9_S9_S9_S9_EENS0_10empty_typeEbEEZZNS1_14partition_implILS5_3ELb0ES3_jNS7_6detail15normal_iteratorINS7_7pointerISA_NS7_11hip_rocprim3tagENS7_11use_defaultESJ_EEEEPSB_SM_NS0_5tupleIJPSA_SM_EEENSN_IJSM_SM_EEESB_PlJ10is_orderedEEE10hipError_tPvRmT3_T4_T5_T6_T7_T9_mT8_P12ihipStream_tbDpT10_ENKUlT_T0_E_clISt17integral_constantIbLb1EES1B_IbLb0EEEEDaS17_S18_EUlS17_E_NS1_11comp_targetILNS1_3genE4ELNS1_11target_archE910ELNS1_3gpuE8ELNS1_3repE0EEENS1_30default_config_static_selectorELNS0_4arch9wavefront6targetE1EEEvT1_, .Lfunc_end3473-_ZN7rocprim17ROCPRIM_400000_NS6detail17trampoline_kernelINS0_14default_configENS1_25partition_config_selectorILNS1_17partition_subalgoE3EN6thrust23THRUST_200600_302600_NS5tupleIxxNS7_9null_typeES9_S9_S9_S9_S9_S9_S9_EENS0_10empty_typeEbEEZZNS1_14partition_implILS5_3ELb0ES3_jNS7_6detail15normal_iteratorINS7_7pointerISA_NS7_11hip_rocprim3tagENS7_11use_defaultESJ_EEEEPSB_SM_NS0_5tupleIJPSA_SM_EEENSN_IJSM_SM_EEESB_PlJ10is_orderedEEE10hipError_tPvRmT3_T4_T5_T6_T7_T9_mT8_P12ihipStream_tbDpT10_ENKUlT_T0_E_clISt17integral_constantIbLb1EES1B_IbLb0EEEEDaS17_S18_EUlS17_E_NS1_11comp_targetILNS1_3genE4ELNS1_11target_archE910ELNS1_3gpuE8ELNS1_3repE0EEENS1_30default_config_static_selectorELNS0_4arch9wavefront6targetE1EEEvT1_
                                        ; -- End function
	.section	.AMDGPU.csdata,"",@progbits
; Kernel info:
; codeLenInByte = 0
; NumSgprs: 6
; NumVgprs: 0
; NumAgprs: 0
; TotalNumVgprs: 0
; ScratchSize: 0
; MemoryBound: 0
; FloatMode: 240
; IeeeMode: 1
; LDSByteSize: 0 bytes/workgroup (compile time only)
; SGPRBlocks: 0
; VGPRBlocks: 0
; NumSGPRsForWavesPerEU: 6
; NumVGPRsForWavesPerEU: 1
; AccumOffset: 4
; Occupancy: 8
; WaveLimiterHint : 0
; COMPUTE_PGM_RSRC2:SCRATCH_EN: 0
; COMPUTE_PGM_RSRC2:USER_SGPR: 2
; COMPUTE_PGM_RSRC2:TRAP_HANDLER: 0
; COMPUTE_PGM_RSRC2:TGID_X_EN: 1
; COMPUTE_PGM_RSRC2:TGID_Y_EN: 0
; COMPUTE_PGM_RSRC2:TGID_Z_EN: 0
; COMPUTE_PGM_RSRC2:TIDIG_COMP_CNT: 0
; COMPUTE_PGM_RSRC3_GFX90A:ACCUM_OFFSET: 0
; COMPUTE_PGM_RSRC3_GFX90A:TG_SPLIT: 0
	.section	.text._ZN7rocprim17ROCPRIM_400000_NS6detail17trampoline_kernelINS0_14default_configENS1_25partition_config_selectorILNS1_17partition_subalgoE3EN6thrust23THRUST_200600_302600_NS5tupleIxxNS7_9null_typeES9_S9_S9_S9_S9_S9_S9_EENS0_10empty_typeEbEEZZNS1_14partition_implILS5_3ELb0ES3_jNS7_6detail15normal_iteratorINS7_7pointerISA_NS7_11hip_rocprim3tagENS7_11use_defaultESJ_EEEEPSB_SM_NS0_5tupleIJPSA_SM_EEENSN_IJSM_SM_EEESB_PlJ10is_orderedEEE10hipError_tPvRmT3_T4_T5_T6_T7_T9_mT8_P12ihipStream_tbDpT10_ENKUlT_T0_E_clISt17integral_constantIbLb1EES1B_IbLb0EEEEDaS17_S18_EUlS17_E_NS1_11comp_targetILNS1_3genE3ELNS1_11target_archE908ELNS1_3gpuE7ELNS1_3repE0EEENS1_30default_config_static_selectorELNS0_4arch9wavefront6targetE1EEEvT1_,"axG",@progbits,_ZN7rocprim17ROCPRIM_400000_NS6detail17trampoline_kernelINS0_14default_configENS1_25partition_config_selectorILNS1_17partition_subalgoE3EN6thrust23THRUST_200600_302600_NS5tupleIxxNS7_9null_typeES9_S9_S9_S9_S9_S9_S9_EENS0_10empty_typeEbEEZZNS1_14partition_implILS5_3ELb0ES3_jNS7_6detail15normal_iteratorINS7_7pointerISA_NS7_11hip_rocprim3tagENS7_11use_defaultESJ_EEEEPSB_SM_NS0_5tupleIJPSA_SM_EEENSN_IJSM_SM_EEESB_PlJ10is_orderedEEE10hipError_tPvRmT3_T4_T5_T6_T7_T9_mT8_P12ihipStream_tbDpT10_ENKUlT_T0_E_clISt17integral_constantIbLb1EES1B_IbLb0EEEEDaS17_S18_EUlS17_E_NS1_11comp_targetILNS1_3genE3ELNS1_11target_archE908ELNS1_3gpuE7ELNS1_3repE0EEENS1_30default_config_static_selectorELNS0_4arch9wavefront6targetE1EEEvT1_,comdat
	.protected	_ZN7rocprim17ROCPRIM_400000_NS6detail17trampoline_kernelINS0_14default_configENS1_25partition_config_selectorILNS1_17partition_subalgoE3EN6thrust23THRUST_200600_302600_NS5tupleIxxNS7_9null_typeES9_S9_S9_S9_S9_S9_S9_EENS0_10empty_typeEbEEZZNS1_14partition_implILS5_3ELb0ES3_jNS7_6detail15normal_iteratorINS7_7pointerISA_NS7_11hip_rocprim3tagENS7_11use_defaultESJ_EEEEPSB_SM_NS0_5tupleIJPSA_SM_EEENSN_IJSM_SM_EEESB_PlJ10is_orderedEEE10hipError_tPvRmT3_T4_T5_T6_T7_T9_mT8_P12ihipStream_tbDpT10_ENKUlT_T0_E_clISt17integral_constantIbLb1EES1B_IbLb0EEEEDaS17_S18_EUlS17_E_NS1_11comp_targetILNS1_3genE3ELNS1_11target_archE908ELNS1_3gpuE7ELNS1_3repE0EEENS1_30default_config_static_selectorELNS0_4arch9wavefront6targetE1EEEvT1_ ; -- Begin function _ZN7rocprim17ROCPRIM_400000_NS6detail17trampoline_kernelINS0_14default_configENS1_25partition_config_selectorILNS1_17partition_subalgoE3EN6thrust23THRUST_200600_302600_NS5tupleIxxNS7_9null_typeES9_S9_S9_S9_S9_S9_S9_EENS0_10empty_typeEbEEZZNS1_14partition_implILS5_3ELb0ES3_jNS7_6detail15normal_iteratorINS7_7pointerISA_NS7_11hip_rocprim3tagENS7_11use_defaultESJ_EEEEPSB_SM_NS0_5tupleIJPSA_SM_EEENSN_IJSM_SM_EEESB_PlJ10is_orderedEEE10hipError_tPvRmT3_T4_T5_T6_T7_T9_mT8_P12ihipStream_tbDpT10_ENKUlT_T0_E_clISt17integral_constantIbLb1EES1B_IbLb0EEEEDaS17_S18_EUlS17_E_NS1_11comp_targetILNS1_3genE3ELNS1_11target_archE908ELNS1_3gpuE7ELNS1_3repE0EEENS1_30default_config_static_selectorELNS0_4arch9wavefront6targetE1EEEvT1_
	.globl	_ZN7rocprim17ROCPRIM_400000_NS6detail17trampoline_kernelINS0_14default_configENS1_25partition_config_selectorILNS1_17partition_subalgoE3EN6thrust23THRUST_200600_302600_NS5tupleIxxNS7_9null_typeES9_S9_S9_S9_S9_S9_S9_EENS0_10empty_typeEbEEZZNS1_14partition_implILS5_3ELb0ES3_jNS7_6detail15normal_iteratorINS7_7pointerISA_NS7_11hip_rocprim3tagENS7_11use_defaultESJ_EEEEPSB_SM_NS0_5tupleIJPSA_SM_EEENSN_IJSM_SM_EEESB_PlJ10is_orderedEEE10hipError_tPvRmT3_T4_T5_T6_T7_T9_mT8_P12ihipStream_tbDpT10_ENKUlT_T0_E_clISt17integral_constantIbLb1EES1B_IbLb0EEEEDaS17_S18_EUlS17_E_NS1_11comp_targetILNS1_3genE3ELNS1_11target_archE908ELNS1_3gpuE7ELNS1_3repE0EEENS1_30default_config_static_selectorELNS0_4arch9wavefront6targetE1EEEvT1_
	.p2align	8
	.type	_ZN7rocprim17ROCPRIM_400000_NS6detail17trampoline_kernelINS0_14default_configENS1_25partition_config_selectorILNS1_17partition_subalgoE3EN6thrust23THRUST_200600_302600_NS5tupleIxxNS7_9null_typeES9_S9_S9_S9_S9_S9_S9_EENS0_10empty_typeEbEEZZNS1_14partition_implILS5_3ELb0ES3_jNS7_6detail15normal_iteratorINS7_7pointerISA_NS7_11hip_rocprim3tagENS7_11use_defaultESJ_EEEEPSB_SM_NS0_5tupleIJPSA_SM_EEENSN_IJSM_SM_EEESB_PlJ10is_orderedEEE10hipError_tPvRmT3_T4_T5_T6_T7_T9_mT8_P12ihipStream_tbDpT10_ENKUlT_T0_E_clISt17integral_constantIbLb1EES1B_IbLb0EEEEDaS17_S18_EUlS17_E_NS1_11comp_targetILNS1_3genE3ELNS1_11target_archE908ELNS1_3gpuE7ELNS1_3repE0EEENS1_30default_config_static_selectorELNS0_4arch9wavefront6targetE1EEEvT1_,@function
_ZN7rocprim17ROCPRIM_400000_NS6detail17trampoline_kernelINS0_14default_configENS1_25partition_config_selectorILNS1_17partition_subalgoE3EN6thrust23THRUST_200600_302600_NS5tupleIxxNS7_9null_typeES9_S9_S9_S9_S9_S9_S9_EENS0_10empty_typeEbEEZZNS1_14partition_implILS5_3ELb0ES3_jNS7_6detail15normal_iteratorINS7_7pointerISA_NS7_11hip_rocprim3tagENS7_11use_defaultESJ_EEEEPSB_SM_NS0_5tupleIJPSA_SM_EEENSN_IJSM_SM_EEESB_PlJ10is_orderedEEE10hipError_tPvRmT3_T4_T5_T6_T7_T9_mT8_P12ihipStream_tbDpT10_ENKUlT_T0_E_clISt17integral_constantIbLb1EES1B_IbLb0EEEEDaS17_S18_EUlS17_E_NS1_11comp_targetILNS1_3genE3ELNS1_11target_archE908ELNS1_3gpuE7ELNS1_3repE0EEENS1_30default_config_static_selectorELNS0_4arch9wavefront6targetE1EEEvT1_: ; @_ZN7rocprim17ROCPRIM_400000_NS6detail17trampoline_kernelINS0_14default_configENS1_25partition_config_selectorILNS1_17partition_subalgoE3EN6thrust23THRUST_200600_302600_NS5tupleIxxNS7_9null_typeES9_S9_S9_S9_S9_S9_S9_EENS0_10empty_typeEbEEZZNS1_14partition_implILS5_3ELb0ES3_jNS7_6detail15normal_iteratorINS7_7pointerISA_NS7_11hip_rocprim3tagENS7_11use_defaultESJ_EEEEPSB_SM_NS0_5tupleIJPSA_SM_EEENSN_IJSM_SM_EEESB_PlJ10is_orderedEEE10hipError_tPvRmT3_T4_T5_T6_T7_T9_mT8_P12ihipStream_tbDpT10_ENKUlT_T0_E_clISt17integral_constantIbLb1EES1B_IbLb0EEEEDaS17_S18_EUlS17_E_NS1_11comp_targetILNS1_3genE3ELNS1_11target_archE908ELNS1_3gpuE7ELNS1_3repE0EEENS1_30default_config_static_selectorELNS0_4arch9wavefront6targetE1EEEvT1_
; %bb.0:
	.section	.rodata,"a",@progbits
	.p2align	6, 0x0
	.amdhsa_kernel _ZN7rocprim17ROCPRIM_400000_NS6detail17trampoline_kernelINS0_14default_configENS1_25partition_config_selectorILNS1_17partition_subalgoE3EN6thrust23THRUST_200600_302600_NS5tupleIxxNS7_9null_typeES9_S9_S9_S9_S9_S9_S9_EENS0_10empty_typeEbEEZZNS1_14partition_implILS5_3ELb0ES3_jNS7_6detail15normal_iteratorINS7_7pointerISA_NS7_11hip_rocprim3tagENS7_11use_defaultESJ_EEEEPSB_SM_NS0_5tupleIJPSA_SM_EEENSN_IJSM_SM_EEESB_PlJ10is_orderedEEE10hipError_tPvRmT3_T4_T5_T6_T7_T9_mT8_P12ihipStream_tbDpT10_ENKUlT_T0_E_clISt17integral_constantIbLb1EES1B_IbLb0EEEEDaS17_S18_EUlS17_E_NS1_11comp_targetILNS1_3genE3ELNS1_11target_archE908ELNS1_3gpuE7ELNS1_3repE0EEENS1_30default_config_static_selectorELNS0_4arch9wavefront6targetE1EEEvT1_
		.amdhsa_group_segment_fixed_size 0
		.amdhsa_private_segment_fixed_size 0
		.amdhsa_kernarg_size 120
		.amdhsa_user_sgpr_count 2
		.amdhsa_user_sgpr_dispatch_ptr 0
		.amdhsa_user_sgpr_queue_ptr 0
		.amdhsa_user_sgpr_kernarg_segment_ptr 1
		.amdhsa_user_sgpr_dispatch_id 0
		.amdhsa_user_sgpr_kernarg_preload_length 0
		.amdhsa_user_sgpr_kernarg_preload_offset 0
		.amdhsa_user_sgpr_private_segment_size 0
		.amdhsa_uses_dynamic_stack 0
		.amdhsa_enable_private_segment 0
		.amdhsa_system_sgpr_workgroup_id_x 1
		.amdhsa_system_sgpr_workgroup_id_y 0
		.amdhsa_system_sgpr_workgroup_id_z 0
		.amdhsa_system_sgpr_workgroup_info 0
		.amdhsa_system_vgpr_workitem_id 0
		.amdhsa_next_free_vgpr 1
		.amdhsa_next_free_sgpr 0
		.amdhsa_accum_offset 4
		.amdhsa_reserve_vcc 0
		.amdhsa_float_round_mode_32 0
		.amdhsa_float_round_mode_16_64 0
		.amdhsa_float_denorm_mode_32 3
		.amdhsa_float_denorm_mode_16_64 3
		.amdhsa_dx10_clamp 1
		.amdhsa_ieee_mode 1
		.amdhsa_fp16_overflow 0
		.amdhsa_tg_split 0
		.amdhsa_exception_fp_ieee_invalid_op 0
		.amdhsa_exception_fp_denorm_src 0
		.amdhsa_exception_fp_ieee_div_zero 0
		.amdhsa_exception_fp_ieee_overflow 0
		.amdhsa_exception_fp_ieee_underflow 0
		.amdhsa_exception_fp_ieee_inexact 0
		.amdhsa_exception_int_div_zero 0
	.end_amdhsa_kernel
	.section	.text._ZN7rocprim17ROCPRIM_400000_NS6detail17trampoline_kernelINS0_14default_configENS1_25partition_config_selectorILNS1_17partition_subalgoE3EN6thrust23THRUST_200600_302600_NS5tupleIxxNS7_9null_typeES9_S9_S9_S9_S9_S9_S9_EENS0_10empty_typeEbEEZZNS1_14partition_implILS5_3ELb0ES3_jNS7_6detail15normal_iteratorINS7_7pointerISA_NS7_11hip_rocprim3tagENS7_11use_defaultESJ_EEEEPSB_SM_NS0_5tupleIJPSA_SM_EEENSN_IJSM_SM_EEESB_PlJ10is_orderedEEE10hipError_tPvRmT3_T4_T5_T6_T7_T9_mT8_P12ihipStream_tbDpT10_ENKUlT_T0_E_clISt17integral_constantIbLb1EES1B_IbLb0EEEEDaS17_S18_EUlS17_E_NS1_11comp_targetILNS1_3genE3ELNS1_11target_archE908ELNS1_3gpuE7ELNS1_3repE0EEENS1_30default_config_static_selectorELNS0_4arch9wavefront6targetE1EEEvT1_,"axG",@progbits,_ZN7rocprim17ROCPRIM_400000_NS6detail17trampoline_kernelINS0_14default_configENS1_25partition_config_selectorILNS1_17partition_subalgoE3EN6thrust23THRUST_200600_302600_NS5tupleIxxNS7_9null_typeES9_S9_S9_S9_S9_S9_S9_EENS0_10empty_typeEbEEZZNS1_14partition_implILS5_3ELb0ES3_jNS7_6detail15normal_iteratorINS7_7pointerISA_NS7_11hip_rocprim3tagENS7_11use_defaultESJ_EEEEPSB_SM_NS0_5tupleIJPSA_SM_EEENSN_IJSM_SM_EEESB_PlJ10is_orderedEEE10hipError_tPvRmT3_T4_T5_T6_T7_T9_mT8_P12ihipStream_tbDpT10_ENKUlT_T0_E_clISt17integral_constantIbLb1EES1B_IbLb0EEEEDaS17_S18_EUlS17_E_NS1_11comp_targetILNS1_3genE3ELNS1_11target_archE908ELNS1_3gpuE7ELNS1_3repE0EEENS1_30default_config_static_selectorELNS0_4arch9wavefront6targetE1EEEvT1_,comdat
.Lfunc_end3474:
	.size	_ZN7rocprim17ROCPRIM_400000_NS6detail17trampoline_kernelINS0_14default_configENS1_25partition_config_selectorILNS1_17partition_subalgoE3EN6thrust23THRUST_200600_302600_NS5tupleIxxNS7_9null_typeES9_S9_S9_S9_S9_S9_S9_EENS0_10empty_typeEbEEZZNS1_14partition_implILS5_3ELb0ES3_jNS7_6detail15normal_iteratorINS7_7pointerISA_NS7_11hip_rocprim3tagENS7_11use_defaultESJ_EEEEPSB_SM_NS0_5tupleIJPSA_SM_EEENSN_IJSM_SM_EEESB_PlJ10is_orderedEEE10hipError_tPvRmT3_T4_T5_T6_T7_T9_mT8_P12ihipStream_tbDpT10_ENKUlT_T0_E_clISt17integral_constantIbLb1EES1B_IbLb0EEEEDaS17_S18_EUlS17_E_NS1_11comp_targetILNS1_3genE3ELNS1_11target_archE908ELNS1_3gpuE7ELNS1_3repE0EEENS1_30default_config_static_selectorELNS0_4arch9wavefront6targetE1EEEvT1_, .Lfunc_end3474-_ZN7rocprim17ROCPRIM_400000_NS6detail17trampoline_kernelINS0_14default_configENS1_25partition_config_selectorILNS1_17partition_subalgoE3EN6thrust23THRUST_200600_302600_NS5tupleIxxNS7_9null_typeES9_S9_S9_S9_S9_S9_S9_EENS0_10empty_typeEbEEZZNS1_14partition_implILS5_3ELb0ES3_jNS7_6detail15normal_iteratorINS7_7pointerISA_NS7_11hip_rocprim3tagENS7_11use_defaultESJ_EEEEPSB_SM_NS0_5tupleIJPSA_SM_EEENSN_IJSM_SM_EEESB_PlJ10is_orderedEEE10hipError_tPvRmT3_T4_T5_T6_T7_T9_mT8_P12ihipStream_tbDpT10_ENKUlT_T0_E_clISt17integral_constantIbLb1EES1B_IbLb0EEEEDaS17_S18_EUlS17_E_NS1_11comp_targetILNS1_3genE3ELNS1_11target_archE908ELNS1_3gpuE7ELNS1_3repE0EEENS1_30default_config_static_selectorELNS0_4arch9wavefront6targetE1EEEvT1_
                                        ; -- End function
	.section	.AMDGPU.csdata,"",@progbits
; Kernel info:
; codeLenInByte = 0
; NumSgprs: 6
; NumVgprs: 0
; NumAgprs: 0
; TotalNumVgprs: 0
; ScratchSize: 0
; MemoryBound: 0
; FloatMode: 240
; IeeeMode: 1
; LDSByteSize: 0 bytes/workgroup (compile time only)
; SGPRBlocks: 0
; VGPRBlocks: 0
; NumSGPRsForWavesPerEU: 6
; NumVGPRsForWavesPerEU: 1
; AccumOffset: 4
; Occupancy: 8
; WaveLimiterHint : 0
; COMPUTE_PGM_RSRC2:SCRATCH_EN: 0
; COMPUTE_PGM_RSRC2:USER_SGPR: 2
; COMPUTE_PGM_RSRC2:TRAP_HANDLER: 0
; COMPUTE_PGM_RSRC2:TGID_X_EN: 1
; COMPUTE_PGM_RSRC2:TGID_Y_EN: 0
; COMPUTE_PGM_RSRC2:TGID_Z_EN: 0
; COMPUTE_PGM_RSRC2:TIDIG_COMP_CNT: 0
; COMPUTE_PGM_RSRC3_GFX90A:ACCUM_OFFSET: 0
; COMPUTE_PGM_RSRC3_GFX90A:TG_SPLIT: 0
	.section	.text._ZN7rocprim17ROCPRIM_400000_NS6detail17trampoline_kernelINS0_14default_configENS1_25partition_config_selectorILNS1_17partition_subalgoE3EN6thrust23THRUST_200600_302600_NS5tupleIxxNS7_9null_typeES9_S9_S9_S9_S9_S9_S9_EENS0_10empty_typeEbEEZZNS1_14partition_implILS5_3ELb0ES3_jNS7_6detail15normal_iteratorINS7_7pointerISA_NS7_11hip_rocprim3tagENS7_11use_defaultESJ_EEEEPSB_SM_NS0_5tupleIJPSA_SM_EEENSN_IJSM_SM_EEESB_PlJ10is_orderedEEE10hipError_tPvRmT3_T4_T5_T6_T7_T9_mT8_P12ihipStream_tbDpT10_ENKUlT_T0_E_clISt17integral_constantIbLb1EES1B_IbLb0EEEEDaS17_S18_EUlS17_E_NS1_11comp_targetILNS1_3genE2ELNS1_11target_archE906ELNS1_3gpuE6ELNS1_3repE0EEENS1_30default_config_static_selectorELNS0_4arch9wavefront6targetE1EEEvT1_,"axG",@progbits,_ZN7rocprim17ROCPRIM_400000_NS6detail17trampoline_kernelINS0_14default_configENS1_25partition_config_selectorILNS1_17partition_subalgoE3EN6thrust23THRUST_200600_302600_NS5tupleIxxNS7_9null_typeES9_S9_S9_S9_S9_S9_S9_EENS0_10empty_typeEbEEZZNS1_14partition_implILS5_3ELb0ES3_jNS7_6detail15normal_iteratorINS7_7pointerISA_NS7_11hip_rocprim3tagENS7_11use_defaultESJ_EEEEPSB_SM_NS0_5tupleIJPSA_SM_EEENSN_IJSM_SM_EEESB_PlJ10is_orderedEEE10hipError_tPvRmT3_T4_T5_T6_T7_T9_mT8_P12ihipStream_tbDpT10_ENKUlT_T0_E_clISt17integral_constantIbLb1EES1B_IbLb0EEEEDaS17_S18_EUlS17_E_NS1_11comp_targetILNS1_3genE2ELNS1_11target_archE906ELNS1_3gpuE6ELNS1_3repE0EEENS1_30default_config_static_selectorELNS0_4arch9wavefront6targetE1EEEvT1_,comdat
	.protected	_ZN7rocprim17ROCPRIM_400000_NS6detail17trampoline_kernelINS0_14default_configENS1_25partition_config_selectorILNS1_17partition_subalgoE3EN6thrust23THRUST_200600_302600_NS5tupleIxxNS7_9null_typeES9_S9_S9_S9_S9_S9_S9_EENS0_10empty_typeEbEEZZNS1_14partition_implILS5_3ELb0ES3_jNS7_6detail15normal_iteratorINS7_7pointerISA_NS7_11hip_rocprim3tagENS7_11use_defaultESJ_EEEEPSB_SM_NS0_5tupleIJPSA_SM_EEENSN_IJSM_SM_EEESB_PlJ10is_orderedEEE10hipError_tPvRmT3_T4_T5_T6_T7_T9_mT8_P12ihipStream_tbDpT10_ENKUlT_T0_E_clISt17integral_constantIbLb1EES1B_IbLb0EEEEDaS17_S18_EUlS17_E_NS1_11comp_targetILNS1_3genE2ELNS1_11target_archE906ELNS1_3gpuE6ELNS1_3repE0EEENS1_30default_config_static_selectorELNS0_4arch9wavefront6targetE1EEEvT1_ ; -- Begin function _ZN7rocprim17ROCPRIM_400000_NS6detail17trampoline_kernelINS0_14default_configENS1_25partition_config_selectorILNS1_17partition_subalgoE3EN6thrust23THRUST_200600_302600_NS5tupleIxxNS7_9null_typeES9_S9_S9_S9_S9_S9_S9_EENS0_10empty_typeEbEEZZNS1_14partition_implILS5_3ELb0ES3_jNS7_6detail15normal_iteratorINS7_7pointerISA_NS7_11hip_rocprim3tagENS7_11use_defaultESJ_EEEEPSB_SM_NS0_5tupleIJPSA_SM_EEENSN_IJSM_SM_EEESB_PlJ10is_orderedEEE10hipError_tPvRmT3_T4_T5_T6_T7_T9_mT8_P12ihipStream_tbDpT10_ENKUlT_T0_E_clISt17integral_constantIbLb1EES1B_IbLb0EEEEDaS17_S18_EUlS17_E_NS1_11comp_targetILNS1_3genE2ELNS1_11target_archE906ELNS1_3gpuE6ELNS1_3repE0EEENS1_30default_config_static_selectorELNS0_4arch9wavefront6targetE1EEEvT1_
	.globl	_ZN7rocprim17ROCPRIM_400000_NS6detail17trampoline_kernelINS0_14default_configENS1_25partition_config_selectorILNS1_17partition_subalgoE3EN6thrust23THRUST_200600_302600_NS5tupleIxxNS7_9null_typeES9_S9_S9_S9_S9_S9_S9_EENS0_10empty_typeEbEEZZNS1_14partition_implILS5_3ELb0ES3_jNS7_6detail15normal_iteratorINS7_7pointerISA_NS7_11hip_rocprim3tagENS7_11use_defaultESJ_EEEEPSB_SM_NS0_5tupleIJPSA_SM_EEENSN_IJSM_SM_EEESB_PlJ10is_orderedEEE10hipError_tPvRmT3_T4_T5_T6_T7_T9_mT8_P12ihipStream_tbDpT10_ENKUlT_T0_E_clISt17integral_constantIbLb1EES1B_IbLb0EEEEDaS17_S18_EUlS17_E_NS1_11comp_targetILNS1_3genE2ELNS1_11target_archE906ELNS1_3gpuE6ELNS1_3repE0EEENS1_30default_config_static_selectorELNS0_4arch9wavefront6targetE1EEEvT1_
	.p2align	8
	.type	_ZN7rocprim17ROCPRIM_400000_NS6detail17trampoline_kernelINS0_14default_configENS1_25partition_config_selectorILNS1_17partition_subalgoE3EN6thrust23THRUST_200600_302600_NS5tupleIxxNS7_9null_typeES9_S9_S9_S9_S9_S9_S9_EENS0_10empty_typeEbEEZZNS1_14partition_implILS5_3ELb0ES3_jNS7_6detail15normal_iteratorINS7_7pointerISA_NS7_11hip_rocprim3tagENS7_11use_defaultESJ_EEEEPSB_SM_NS0_5tupleIJPSA_SM_EEENSN_IJSM_SM_EEESB_PlJ10is_orderedEEE10hipError_tPvRmT3_T4_T5_T6_T7_T9_mT8_P12ihipStream_tbDpT10_ENKUlT_T0_E_clISt17integral_constantIbLb1EES1B_IbLb0EEEEDaS17_S18_EUlS17_E_NS1_11comp_targetILNS1_3genE2ELNS1_11target_archE906ELNS1_3gpuE6ELNS1_3repE0EEENS1_30default_config_static_selectorELNS0_4arch9wavefront6targetE1EEEvT1_,@function
_ZN7rocprim17ROCPRIM_400000_NS6detail17trampoline_kernelINS0_14default_configENS1_25partition_config_selectorILNS1_17partition_subalgoE3EN6thrust23THRUST_200600_302600_NS5tupleIxxNS7_9null_typeES9_S9_S9_S9_S9_S9_S9_EENS0_10empty_typeEbEEZZNS1_14partition_implILS5_3ELb0ES3_jNS7_6detail15normal_iteratorINS7_7pointerISA_NS7_11hip_rocprim3tagENS7_11use_defaultESJ_EEEEPSB_SM_NS0_5tupleIJPSA_SM_EEENSN_IJSM_SM_EEESB_PlJ10is_orderedEEE10hipError_tPvRmT3_T4_T5_T6_T7_T9_mT8_P12ihipStream_tbDpT10_ENKUlT_T0_E_clISt17integral_constantIbLb1EES1B_IbLb0EEEEDaS17_S18_EUlS17_E_NS1_11comp_targetILNS1_3genE2ELNS1_11target_archE906ELNS1_3gpuE6ELNS1_3repE0EEENS1_30default_config_static_selectorELNS0_4arch9wavefront6targetE1EEEvT1_: ; @_ZN7rocprim17ROCPRIM_400000_NS6detail17trampoline_kernelINS0_14default_configENS1_25partition_config_selectorILNS1_17partition_subalgoE3EN6thrust23THRUST_200600_302600_NS5tupleIxxNS7_9null_typeES9_S9_S9_S9_S9_S9_S9_EENS0_10empty_typeEbEEZZNS1_14partition_implILS5_3ELb0ES3_jNS7_6detail15normal_iteratorINS7_7pointerISA_NS7_11hip_rocprim3tagENS7_11use_defaultESJ_EEEEPSB_SM_NS0_5tupleIJPSA_SM_EEENSN_IJSM_SM_EEESB_PlJ10is_orderedEEE10hipError_tPvRmT3_T4_T5_T6_T7_T9_mT8_P12ihipStream_tbDpT10_ENKUlT_T0_E_clISt17integral_constantIbLb1EES1B_IbLb0EEEEDaS17_S18_EUlS17_E_NS1_11comp_targetILNS1_3genE2ELNS1_11target_archE906ELNS1_3gpuE6ELNS1_3repE0EEENS1_30default_config_static_selectorELNS0_4arch9wavefront6targetE1EEEvT1_
; %bb.0:
	.section	.rodata,"a",@progbits
	.p2align	6, 0x0
	.amdhsa_kernel _ZN7rocprim17ROCPRIM_400000_NS6detail17trampoline_kernelINS0_14default_configENS1_25partition_config_selectorILNS1_17partition_subalgoE3EN6thrust23THRUST_200600_302600_NS5tupleIxxNS7_9null_typeES9_S9_S9_S9_S9_S9_S9_EENS0_10empty_typeEbEEZZNS1_14partition_implILS5_3ELb0ES3_jNS7_6detail15normal_iteratorINS7_7pointerISA_NS7_11hip_rocprim3tagENS7_11use_defaultESJ_EEEEPSB_SM_NS0_5tupleIJPSA_SM_EEENSN_IJSM_SM_EEESB_PlJ10is_orderedEEE10hipError_tPvRmT3_T4_T5_T6_T7_T9_mT8_P12ihipStream_tbDpT10_ENKUlT_T0_E_clISt17integral_constantIbLb1EES1B_IbLb0EEEEDaS17_S18_EUlS17_E_NS1_11comp_targetILNS1_3genE2ELNS1_11target_archE906ELNS1_3gpuE6ELNS1_3repE0EEENS1_30default_config_static_selectorELNS0_4arch9wavefront6targetE1EEEvT1_
		.amdhsa_group_segment_fixed_size 0
		.amdhsa_private_segment_fixed_size 0
		.amdhsa_kernarg_size 120
		.amdhsa_user_sgpr_count 2
		.amdhsa_user_sgpr_dispatch_ptr 0
		.amdhsa_user_sgpr_queue_ptr 0
		.amdhsa_user_sgpr_kernarg_segment_ptr 1
		.amdhsa_user_sgpr_dispatch_id 0
		.amdhsa_user_sgpr_kernarg_preload_length 0
		.amdhsa_user_sgpr_kernarg_preload_offset 0
		.amdhsa_user_sgpr_private_segment_size 0
		.amdhsa_uses_dynamic_stack 0
		.amdhsa_enable_private_segment 0
		.amdhsa_system_sgpr_workgroup_id_x 1
		.amdhsa_system_sgpr_workgroup_id_y 0
		.amdhsa_system_sgpr_workgroup_id_z 0
		.amdhsa_system_sgpr_workgroup_info 0
		.amdhsa_system_vgpr_workitem_id 0
		.amdhsa_next_free_vgpr 1
		.amdhsa_next_free_sgpr 0
		.amdhsa_accum_offset 4
		.amdhsa_reserve_vcc 0
		.amdhsa_float_round_mode_32 0
		.amdhsa_float_round_mode_16_64 0
		.amdhsa_float_denorm_mode_32 3
		.amdhsa_float_denorm_mode_16_64 3
		.amdhsa_dx10_clamp 1
		.amdhsa_ieee_mode 1
		.amdhsa_fp16_overflow 0
		.amdhsa_tg_split 0
		.amdhsa_exception_fp_ieee_invalid_op 0
		.amdhsa_exception_fp_denorm_src 0
		.amdhsa_exception_fp_ieee_div_zero 0
		.amdhsa_exception_fp_ieee_overflow 0
		.amdhsa_exception_fp_ieee_underflow 0
		.amdhsa_exception_fp_ieee_inexact 0
		.amdhsa_exception_int_div_zero 0
	.end_amdhsa_kernel
	.section	.text._ZN7rocprim17ROCPRIM_400000_NS6detail17trampoline_kernelINS0_14default_configENS1_25partition_config_selectorILNS1_17partition_subalgoE3EN6thrust23THRUST_200600_302600_NS5tupleIxxNS7_9null_typeES9_S9_S9_S9_S9_S9_S9_EENS0_10empty_typeEbEEZZNS1_14partition_implILS5_3ELb0ES3_jNS7_6detail15normal_iteratorINS7_7pointerISA_NS7_11hip_rocprim3tagENS7_11use_defaultESJ_EEEEPSB_SM_NS0_5tupleIJPSA_SM_EEENSN_IJSM_SM_EEESB_PlJ10is_orderedEEE10hipError_tPvRmT3_T4_T5_T6_T7_T9_mT8_P12ihipStream_tbDpT10_ENKUlT_T0_E_clISt17integral_constantIbLb1EES1B_IbLb0EEEEDaS17_S18_EUlS17_E_NS1_11comp_targetILNS1_3genE2ELNS1_11target_archE906ELNS1_3gpuE6ELNS1_3repE0EEENS1_30default_config_static_selectorELNS0_4arch9wavefront6targetE1EEEvT1_,"axG",@progbits,_ZN7rocprim17ROCPRIM_400000_NS6detail17trampoline_kernelINS0_14default_configENS1_25partition_config_selectorILNS1_17partition_subalgoE3EN6thrust23THRUST_200600_302600_NS5tupleIxxNS7_9null_typeES9_S9_S9_S9_S9_S9_S9_EENS0_10empty_typeEbEEZZNS1_14partition_implILS5_3ELb0ES3_jNS7_6detail15normal_iteratorINS7_7pointerISA_NS7_11hip_rocprim3tagENS7_11use_defaultESJ_EEEEPSB_SM_NS0_5tupleIJPSA_SM_EEENSN_IJSM_SM_EEESB_PlJ10is_orderedEEE10hipError_tPvRmT3_T4_T5_T6_T7_T9_mT8_P12ihipStream_tbDpT10_ENKUlT_T0_E_clISt17integral_constantIbLb1EES1B_IbLb0EEEEDaS17_S18_EUlS17_E_NS1_11comp_targetILNS1_3genE2ELNS1_11target_archE906ELNS1_3gpuE6ELNS1_3repE0EEENS1_30default_config_static_selectorELNS0_4arch9wavefront6targetE1EEEvT1_,comdat
.Lfunc_end3475:
	.size	_ZN7rocprim17ROCPRIM_400000_NS6detail17trampoline_kernelINS0_14default_configENS1_25partition_config_selectorILNS1_17partition_subalgoE3EN6thrust23THRUST_200600_302600_NS5tupleIxxNS7_9null_typeES9_S9_S9_S9_S9_S9_S9_EENS0_10empty_typeEbEEZZNS1_14partition_implILS5_3ELb0ES3_jNS7_6detail15normal_iteratorINS7_7pointerISA_NS7_11hip_rocprim3tagENS7_11use_defaultESJ_EEEEPSB_SM_NS0_5tupleIJPSA_SM_EEENSN_IJSM_SM_EEESB_PlJ10is_orderedEEE10hipError_tPvRmT3_T4_T5_T6_T7_T9_mT8_P12ihipStream_tbDpT10_ENKUlT_T0_E_clISt17integral_constantIbLb1EES1B_IbLb0EEEEDaS17_S18_EUlS17_E_NS1_11comp_targetILNS1_3genE2ELNS1_11target_archE906ELNS1_3gpuE6ELNS1_3repE0EEENS1_30default_config_static_selectorELNS0_4arch9wavefront6targetE1EEEvT1_, .Lfunc_end3475-_ZN7rocprim17ROCPRIM_400000_NS6detail17trampoline_kernelINS0_14default_configENS1_25partition_config_selectorILNS1_17partition_subalgoE3EN6thrust23THRUST_200600_302600_NS5tupleIxxNS7_9null_typeES9_S9_S9_S9_S9_S9_S9_EENS0_10empty_typeEbEEZZNS1_14partition_implILS5_3ELb0ES3_jNS7_6detail15normal_iteratorINS7_7pointerISA_NS7_11hip_rocprim3tagENS7_11use_defaultESJ_EEEEPSB_SM_NS0_5tupleIJPSA_SM_EEENSN_IJSM_SM_EEESB_PlJ10is_orderedEEE10hipError_tPvRmT3_T4_T5_T6_T7_T9_mT8_P12ihipStream_tbDpT10_ENKUlT_T0_E_clISt17integral_constantIbLb1EES1B_IbLb0EEEEDaS17_S18_EUlS17_E_NS1_11comp_targetILNS1_3genE2ELNS1_11target_archE906ELNS1_3gpuE6ELNS1_3repE0EEENS1_30default_config_static_selectorELNS0_4arch9wavefront6targetE1EEEvT1_
                                        ; -- End function
	.section	.AMDGPU.csdata,"",@progbits
; Kernel info:
; codeLenInByte = 0
; NumSgprs: 6
; NumVgprs: 0
; NumAgprs: 0
; TotalNumVgprs: 0
; ScratchSize: 0
; MemoryBound: 0
; FloatMode: 240
; IeeeMode: 1
; LDSByteSize: 0 bytes/workgroup (compile time only)
; SGPRBlocks: 0
; VGPRBlocks: 0
; NumSGPRsForWavesPerEU: 6
; NumVGPRsForWavesPerEU: 1
; AccumOffset: 4
; Occupancy: 8
; WaveLimiterHint : 0
; COMPUTE_PGM_RSRC2:SCRATCH_EN: 0
; COMPUTE_PGM_RSRC2:USER_SGPR: 2
; COMPUTE_PGM_RSRC2:TRAP_HANDLER: 0
; COMPUTE_PGM_RSRC2:TGID_X_EN: 1
; COMPUTE_PGM_RSRC2:TGID_Y_EN: 0
; COMPUTE_PGM_RSRC2:TGID_Z_EN: 0
; COMPUTE_PGM_RSRC2:TIDIG_COMP_CNT: 0
; COMPUTE_PGM_RSRC3_GFX90A:ACCUM_OFFSET: 0
; COMPUTE_PGM_RSRC3_GFX90A:TG_SPLIT: 0
	.section	.text._ZN7rocprim17ROCPRIM_400000_NS6detail17trampoline_kernelINS0_14default_configENS1_25partition_config_selectorILNS1_17partition_subalgoE3EN6thrust23THRUST_200600_302600_NS5tupleIxxNS7_9null_typeES9_S9_S9_S9_S9_S9_S9_EENS0_10empty_typeEbEEZZNS1_14partition_implILS5_3ELb0ES3_jNS7_6detail15normal_iteratorINS7_7pointerISA_NS7_11hip_rocprim3tagENS7_11use_defaultESJ_EEEEPSB_SM_NS0_5tupleIJPSA_SM_EEENSN_IJSM_SM_EEESB_PlJ10is_orderedEEE10hipError_tPvRmT3_T4_T5_T6_T7_T9_mT8_P12ihipStream_tbDpT10_ENKUlT_T0_E_clISt17integral_constantIbLb1EES1B_IbLb0EEEEDaS17_S18_EUlS17_E_NS1_11comp_targetILNS1_3genE10ELNS1_11target_archE1200ELNS1_3gpuE4ELNS1_3repE0EEENS1_30default_config_static_selectorELNS0_4arch9wavefront6targetE1EEEvT1_,"axG",@progbits,_ZN7rocprim17ROCPRIM_400000_NS6detail17trampoline_kernelINS0_14default_configENS1_25partition_config_selectorILNS1_17partition_subalgoE3EN6thrust23THRUST_200600_302600_NS5tupleIxxNS7_9null_typeES9_S9_S9_S9_S9_S9_S9_EENS0_10empty_typeEbEEZZNS1_14partition_implILS5_3ELb0ES3_jNS7_6detail15normal_iteratorINS7_7pointerISA_NS7_11hip_rocprim3tagENS7_11use_defaultESJ_EEEEPSB_SM_NS0_5tupleIJPSA_SM_EEENSN_IJSM_SM_EEESB_PlJ10is_orderedEEE10hipError_tPvRmT3_T4_T5_T6_T7_T9_mT8_P12ihipStream_tbDpT10_ENKUlT_T0_E_clISt17integral_constantIbLb1EES1B_IbLb0EEEEDaS17_S18_EUlS17_E_NS1_11comp_targetILNS1_3genE10ELNS1_11target_archE1200ELNS1_3gpuE4ELNS1_3repE0EEENS1_30default_config_static_selectorELNS0_4arch9wavefront6targetE1EEEvT1_,comdat
	.protected	_ZN7rocprim17ROCPRIM_400000_NS6detail17trampoline_kernelINS0_14default_configENS1_25partition_config_selectorILNS1_17partition_subalgoE3EN6thrust23THRUST_200600_302600_NS5tupleIxxNS7_9null_typeES9_S9_S9_S9_S9_S9_S9_EENS0_10empty_typeEbEEZZNS1_14partition_implILS5_3ELb0ES3_jNS7_6detail15normal_iteratorINS7_7pointerISA_NS7_11hip_rocprim3tagENS7_11use_defaultESJ_EEEEPSB_SM_NS0_5tupleIJPSA_SM_EEENSN_IJSM_SM_EEESB_PlJ10is_orderedEEE10hipError_tPvRmT3_T4_T5_T6_T7_T9_mT8_P12ihipStream_tbDpT10_ENKUlT_T0_E_clISt17integral_constantIbLb1EES1B_IbLb0EEEEDaS17_S18_EUlS17_E_NS1_11comp_targetILNS1_3genE10ELNS1_11target_archE1200ELNS1_3gpuE4ELNS1_3repE0EEENS1_30default_config_static_selectorELNS0_4arch9wavefront6targetE1EEEvT1_ ; -- Begin function _ZN7rocprim17ROCPRIM_400000_NS6detail17trampoline_kernelINS0_14default_configENS1_25partition_config_selectorILNS1_17partition_subalgoE3EN6thrust23THRUST_200600_302600_NS5tupleIxxNS7_9null_typeES9_S9_S9_S9_S9_S9_S9_EENS0_10empty_typeEbEEZZNS1_14partition_implILS5_3ELb0ES3_jNS7_6detail15normal_iteratorINS7_7pointerISA_NS7_11hip_rocprim3tagENS7_11use_defaultESJ_EEEEPSB_SM_NS0_5tupleIJPSA_SM_EEENSN_IJSM_SM_EEESB_PlJ10is_orderedEEE10hipError_tPvRmT3_T4_T5_T6_T7_T9_mT8_P12ihipStream_tbDpT10_ENKUlT_T0_E_clISt17integral_constantIbLb1EES1B_IbLb0EEEEDaS17_S18_EUlS17_E_NS1_11comp_targetILNS1_3genE10ELNS1_11target_archE1200ELNS1_3gpuE4ELNS1_3repE0EEENS1_30default_config_static_selectorELNS0_4arch9wavefront6targetE1EEEvT1_
	.globl	_ZN7rocprim17ROCPRIM_400000_NS6detail17trampoline_kernelINS0_14default_configENS1_25partition_config_selectorILNS1_17partition_subalgoE3EN6thrust23THRUST_200600_302600_NS5tupleIxxNS7_9null_typeES9_S9_S9_S9_S9_S9_S9_EENS0_10empty_typeEbEEZZNS1_14partition_implILS5_3ELb0ES3_jNS7_6detail15normal_iteratorINS7_7pointerISA_NS7_11hip_rocprim3tagENS7_11use_defaultESJ_EEEEPSB_SM_NS0_5tupleIJPSA_SM_EEENSN_IJSM_SM_EEESB_PlJ10is_orderedEEE10hipError_tPvRmT3_T4_T5_T6_T7_T9_mT8_P12ihipStream_tbDpT10_ENKUlT_T0_E_clISt17integral_constantIbLb1EES1B_IbLb0EEEEDaS17_S18_EUlS17_E_NS1_11comp_targetILNS1_3genE10ELNS1_11target_archE1200ELNS1_3gpuE4ELNS1_3repE0EEENS1_30default_config_static_selectorELNS0_4arch9wavefront6targetE1EEEvT1_
	.p2align	8
	.type	_ZN7rocprim17ROCPRIM_400000_NS6detail17trampoline_kernelINS0_14default_configENS1_25partition_config_selectorILNS1_17partition_subalgoE3EN6thrust23THRUST_200600_302600_NS5tupleIxxNS7_9null_typeES9_S9_S9_S9_S9_S9_S9_EENS0_10empty_typeEbEEZZNS1_14partition_implILS5_3ELb0ES3_jNS7_6detail15normal_iteratorINS7_7pointerISA_NS7_11hip_rocprim3tagENS7_11use_defaultESJ_EEEEPSB_SM_NS0_5tupleIJPSA_SM_EEENSN_IJSM_SM_EEESB_PlJ10is_orderedEEE10hipError_tPvRmT3_T4_T5_T6_T7_T9_mT8_P12ihipStream_tbDpT10_ENKUlT_T0_E_clISt17integral_constantIbLb1EES1B_IbLb0EEEEDaS17_S18_EUlS17_E_NS1_11comp_targetILNS1_3genE10ELNS1_11target_archE1200ELNS1_3gpuE4ELNS1_3repE0EEENS1_30default_config_static_selectorELNS0_4arch9wavefront6targetE1EEEvT1_,@function
_ZN7rocprim17ROCPRIM_400000_NS6detail17trampoline_kernelINS0_14default_configENS1_25partition_config_selectorILNS1_17partition_subalgoE3EN6thrust23THRUST_200600_302600_NS5tupleIxxNS7_9null_typeES9_S9_S9_S9_S9_S9_S9_EENS0_10empty_typeEbEEZZNS1_14partition_implILS5_3ELb0ES3_jNS7_6detail15normal_iteratorINS7_7pointerISA_NS7_11hip_rocprim3tagENS7_11use_defaultESJ_EEEEPSB_SM_NS0_5tupleIJPSA_SM_EEENSN_IJSM_SM_EEESB_PlJ10is_orderedEEE10hipError_tPvRmT3_T4_T5_T6_T7_T9_mT8_P12ihipStream_tbDpT10_ENKUlT_T0_E_clISt17integral_constantIbLb1EES1B_IbLb0EEEEDaS17_S18_EUlS17_E_NS1_11comp_targetILNS1_3genE10ELNS1_11target_archE1200ELNS1_3gpuE4ELNS1_3repE0EEENS1_30default_config_static_selectorELNS0_4arch9wavefront6targetE1EEEvT1_: ; @_ZN7rocprim17ROCPRIM_400000_NS6detail17trampoline_kernelINS0_14default_configENS1_25partition_config_selectorILNS1_17partition_subalgoE3EN6thrust23THRUST_200600_302600_NS5tupleIxxNS7_9null_typeES9_S9_S9_S9_S9_S9_S9_EENS0_10empty_typeEbEEZZNS1_14partition_implILS5_3ELb0ES3_jNS7_6detail15normal_iteratorINS7_7pointerISA_NS7_11hip_rocprim3tagENS7_11use_defaultESJ_EEEEPSB_SM_NS0_5tupleIJPSA_SM_EEENSN_IJSM_SM_EEESB_PlJ10is_orderedEEE10hipError_tPvRmT3_T4_T5_T6_T7_T9_mT8_P12ihipStream_tbDpT10_ENKUlT_T0_E_clISt17integral_constantIbLb1EES1B_IbLb0EEEEDaS17_S18_EUlS17_E_NS1_11comp_targetILNS1_3genE10ELNS1_11target_archE1200ELNS1_3gpuE4ELNS1_3repE0EEENS1_30default_config_static_selectorELNS0_4arch9wavefront6targetE1EEEvT1_
; %bb.0:
	.section	.rodata,"a",@progbits
	.p2align	6, 0x0
	.amdhsa_kernel _ZN7rocprim17ROCPRIM_400000_NS6detail17trampoline_kernelINS0_14default_configENS1_25partition_config_selectorILNS1_17partition_subalgoE3EN6thrust23THRUST_200600_302600_NS5tupleIxxNS7_9null_typeES9_S9_S9_S9_S9_S9_S9_EENS0_10empty_typeEbEEZZNS1_14partition_implILS5_3ELb0ES3_jNS7_6detail15normal_iteratorINS7_7pointerISA_NS7_11hip_rocprim3tagENS7_11use_defaultESJ_EEEEPSB_SM_NS0_5tupleIJPSA_SM_EEENSN_IJSM_SM_EEESB_PlJ10is_orderedEEE10hipError_tPvRmT3_T4_T5_T6_T7_T9_mT8_P12ihipStream_tbDpT10_ENKUlT_T0_E_clISt17integral_constantIbLb1EES1B_IbLb0EEEEDaS17_S18_EUlS17_E_NS1_11comp_targetILNS1_3genE10ELNS1_11target_archE1200ELNS1_3gpuE4ELNS1_3repE0EEENS1_30default_config_static_selectorELNS0_4arch9wavefront6targetE1EEEvT1_
		.amdhsa_group_segment_fixed_size 0
		.amdhsa_private_segment_fixed_size 0
		.amdhsa_kernarg_size 120
		.amdhsa_user_sgpr_count 2
		.amdhsa_user_sgpr_dispatch_ptr 0
		.amdhsa_user_sgpr_queue_ptr 0
		.amdhsa_user_sgpr_kernarg_segment_ptr 1
		.amdhsa_user_sgpr_dispatch_id 0
		.amdhsa_user_sgpr_kernarg_preload_length 0
		.amdhsa_user_sgpr_kernarg_preload_offset 0
		.amdhsa_user_sgpr_private_segment_size 0
		.amdhsa_uses_dynamic_stack 0
		.amdhsa_enable_private_segment 0
		.amdhsa_system_sgpr_workgroup_id_x 1
		.amdhsa_system_sgpr_workgroup_id_y 0
		.amdhsa_system_sgpr_workgroup_id_z 0
		.amdhsa_system_sgpr_workgroup_info 0
		.amdhsa_system_vgpr_workitem_id 0
		.amdhsa_next_free_vgpr 1
		.amdhsa_next_free_sgpr 0
		.amdhsa_accum_offset 4
		.amdhsa_reserve_vcc 0
		.amdhsa_float_round_mode_32 0
		.amdhsa_float_round_mode_16_64 0
		.amdhsa_float_denorm_mode_32 3
		.amdhsa_float_denorm_mode_16_64 3
		.amdhsa_dx10_clamp 1
		.amdhsa_ieee_mode 1
		.amdhsa_fp16_overflow 0
		.amdhsa_tg_split 0
		.amdhsa_exception_fp_ieee_invalid_op 0
		.amdhsa_exception_fp_denorm_src 0
		.amdhsa_exception_fp_ieee_div_zero 0
		.amdhsa_exception_fp_ieee_overflow 0
		.amdhsa_exception_fp_ieee_underflow 0
		.amdhsa_exception_fp_ieee_inexact 0
		.amdhsa_exception_int_div_zero 0
	.end_amdhsa_kernel
	.section	.text._ZN7rocprim17ROCPRIM_400000_NS6detail17trampoline_kernelINS0_14default_configENS1_25partition_config_selectorILNS1_17partition_subalgoE3EN6thrust23THRUST_200600_302600_NS5tupleIxxNS7_9null_typeES9_S9_S9_S9_S9_S9_S9_EENS0_10empty_typeEbEEZZNS1_14partition_implILS5_3ELb0ES3_jNS7_6detail15normal_iteratorINS7_7pointerISA_NS7_11hip_rocprim3tagENS7_11use_defaultESJ_EEEEPSB_SM_NS0_5tupleIJPSA_SM_EEENSN_IJSM_SM_EEESB_PlJ10is_orderedEEE10hipError_tPvRmT3_T4_T5_T6_T7_T9_mT8_P12ihipStream_tbDpT10_ENKUlT_T0_E_clISt17integral_constantIbLb1EES1B_IbLb0EEEEDaS17_S18_EUlS17_E_NS1_11comp_targetILNS1_3genE10ELNS1_11target_archE1200ELNS1_3gpuE4ELNS1_3repE0EEENS1_30default_config_static_selectorELNS0_4arch9wavefront6targetE1EEEvT1_,"axG",@progbits,_ZN7rocprim17ROCPRIM_400000_NS6detail17trampoline_kernelINS0_14default_configENS1_25partition_config_selectorILNS1_17partition_subalgoE3EN6thrust23THRUST_200600_302600_NS5tupleIxxNS7_9null_typeES9_S9_S9_S9_S9_S9_S9_EENS0_10empty_typeEbEEZZNS1_14partition_implILS5_3ELb0ES3_jNS7_6detail15normal_iteratorINS7_7pointerISA_NS7_11hip_rocprim3tagENS7_11use_defaultESJ_EEEEPSB_SM_NS0_5tupleIJPSA_SM_EEENSN_IJSM_SM_EEESB_PlJ10is_orderedEEE10hipError_tPvRmT3_T4_T5_T6_T7_T9_mT8_P12ihipStream_tbDpT10_ENKUlT_T0_E_clISt17integral_constantIbLb1EES1B_IbLb0EEEEDaS17_S18_EUlS17_E_NS1_11comp_targetILNS1_3genE10ELNS1_11target_archE1200ELNS1_3gpuE4ELNS1_3repE0EEENS1_30default_config_static_selectorELNS0_4arch9wavefront6targetE1EEEvT1_,comdat
.Lfunc_end3476:
	.size	_ZN7rocprim17ROCPRIM_400000_NS6detail17trampoline_kernelINS0_14default_configENS1_25partition_config_selectorILNS1_17partition_subalgoE3EN6thrust23THRUST_200600_302600_NS5tupleIxxNS7_9null_typeES9_S9_S9_S9_S9_S9_S9_EENS0_10empty_typeEbEEZZNS1_14partition_implILS5_3ELb0ES3_jNS7_6detail15normal_iteratorINS7_7pointerISA_NS7_11hip_rocprim3tagENS7_11use_defaultESJ_EEEEPSB_SM_NS0_5tupleIJPSA_SM_EEENSN_IJSM_SM_EEESB_PlJ10is_orderedEEE10hipError_tPvRmT3_T4_T5_T6_T7_T9_mT8_P12ihipStream_tbDpT10_ENKUlT_T0_E_clISt17integral_constantIbLb1EES1B_IbLb0EEEEDaS17_S18_EUlS17_E_NS1_11comp_targetILNS1_3genE10ELNS1_11target_archE1200ELNS1_3gpuE4ELNS1_3repE0EEENS1_30default_config_static_selectorELNS0_4arch9wavefront6targetE1EEEvT1_, .Lfunc_end3476-_ZN7rocprim17ROCPRIM_400000_NS6detail17trampoline_kernelINS0_14default_configENS1_25partition_config_selectorILNS1_17partition_subalgoE3EN6thrust23THRUST_200600_302600_NS5tupleIxxNS7_9null_typeES9_S9_S9_S9_S9_S9_S9_EENS0_10empty_typeEbEEZZNS1_14partition_implILS5_3ELb0ES3_jNS7_6detail15normal_iteratorINS7_7pointerISA_NS7_11hip_rocprim3tagENS7_11use_defaultESJ_EEEEPSB_SM_NS0_5tupleIJPSA_SM_EEENSN_IJSM_SM_EEESB_PlJ10is_orderedEEE10hipError_tPvRmT3_T4_T5_T6_T7_T9_mT8_P12ihipStream_tbDpT10_ENKUlT_T0_E_clISt17integral_constantIbLb1EES1B_IbLb0EEEEDaS17_S18_EUlS17_E_NS1_11comp_targetILNS1_3genE10ELNS1_11target_archE1200ELNS1_3gpuE4ELNS1_3repE0EEENS1_30default_config_static_selectorELNS0_4arch9wavefront6targetE1EEEvT1_
                                        ; -- End function
	.section	.AMDGPU.csdata,"",@progbits
; Kernel info:
; codeLenInByte = 0
; NumSgprs: 6
; NumVgprs: 0
; NumAgprs: 0
; TotalNumVgprs: 0
; ScratchSize: 0
; MemoryBound: 0
; FloatMode: 240
; IeeeMode: 1
; LDSByteSize: 0 bytes/workgroup (compile time only)
; SGPRBlocks: 0
; VGPRBlocks: 0
; NumSGPRsForWavesPerEU: 6
; NumVGPRsForWavesPerEU: 1
; AccumOffset: 4
; Occupancy: 8
; WaveLimiterHint : 0
; COMPUTE_PGM_RSRC2:SCRATCH_EN: 0
; COMPUTE_PGM_RSRC2:USER_SGPR: 2
; COMPUTE_PGM_RSRC2:TRAP_HANDLER: 0
; COMPUTE_PGM_RSRC2:TGID_X_EN: 1
; COMPUTE_PGM_RSRC2:TGID_Y_EN: 0
; COMPUTE_PGM_RSRC2:TGID_Z_EN: 0
; COMPUTE_PGM_RSRC2:TIDIG_COMP_CNT: 0
; COMPUTE_PGM_RSRC3_GFX90A:ACCUM_OFFSET: 0
; COMPUTE_PGM_RSRC3_GFX90A:TG_SPLIT: 0
	.section	.text._ZN7rocprim17ROCPRIM_400000_NS6detail17trampoline_kernelINS0_14default_configENS1_25partition_config_selectorILNS1_17partition_subalgoE3EN6thrust23THRUST_200600_302600_NS5tupleIxxNS7_9null_typeES9_S9_S9_S9_S9_S9_S9_EENS0_10empty_typeEbEEZZNS1_14partition_implILS5_3ELb0ES3_jNS7_6detail15normal_iteratorINS7_7pointerISA_NS7_11hip_rocprim3tagENS7_11use_defaultESJ_EEEEPSB_SM_NS0_5tupleIJPSA_SM_EEENSN_IJSM_SM_EEESB_PlJ10is_orderedEEE10hipError_tPvRmT3_T4_T5_T6_T7_T9_mT8_P12ihipStream_tbDpT10_ENKUlT_T0_E_clISt17integral_constantIbLb1EES1B_IbLb0EEEEDaS17_S18_EUlS17_E_NS1_11comp_targetILNS1_3genE9ELNS1_11target_archE1100ELNS1_3gpuE3ELNS1_3repE0EEENS1_30default_config_static_selectorELNS0_4arch9wavefront6targetE1EEEvT1_,"axG",@progbits,_ZN7rocprim17ROCPRIM_400000_NS6detail17trampoline_kernelINS0_14default_configENS1_25partition_config_selectorILNS1_17partition_subalgoE3EN6thrust23THRUST_200600_302600_NS5tupleIxxNS7_9null_typeES9_S9_S9_S9_S9_S9_S9_EENS0_10empty_typeEbEEZZNS1_14partition_implILS5_3ELb0ES3_jNS7_6detail15normal_iteratorINS7_7pointerISA_NS7_11hip_rocprim3tagENS7_11use_defaultESJ_EEEEPSB_SM_NS0_5tupleIJPSA_SM_EEENSN_IJSM_SM_EEESB_PlJ10is_orderedEEE10hipError_tPvRmT3_T4_T5_T6_T7_T9_mT8_P12ihipStream_tbDpT10_ENKUlT_T0_E_clISt17integral_constantIbLb1EES1B_IbLb0EEEEDaS17_S18_EUlS17_E_NS1_11comp_targetILNS1_3genE9ELNS1_11target_archE1100ELNS1_3gpuE3ELNS1_3repE0EEENS1_30default_config_static_selectorELNS0_4arch9wavefront6targetE1EEEvT1_,comdat
	.protected	_ZN7rocprim17ROCPRIM_400000_NS6detail17trampoline_kernelINS0_14default_configENS1_25partition_config_selectorILNS1_17partition_subalgoE3EN6thrust23THRUST_200600_302600_NS5tupleIxxNS7_9null_typeES9_S9_S9_S9_S9_S9_S9_EENS0_10empty_typeEbEEZZNS1_14partition_implILS5_3ELb0ES3_jNS7_6detail15normal_iteratorINS7_7pointerISA_NS7_11hip_rocprim3tagENS7_11use_defaultESJ_EEEEPSB_SM_NS0_5tupleIJPSA_SM_EEENSN_IJSM_SM_EEESB_PlJ10is_orderedEEE10hipError_tPvRmT3_T4_T5_T6_T7_T9_mT8_P12ihipStream_tbDpT10_ENKUlT_T0_E_clISt17integral_constantIbLb1EES1B_IbLb0EEEEDaS17_S18_EUlS17_E_NS1_11comp_targetILNS1_3genE9ELNS1_11target_archE1100ELNS1_3gpuE3ELNS1_3repE0EEENS1_30default_config_static_selectorELNS0_4arch9wavefront6targetE1EEEvT1_ ; -- Begin function _ZN7rocprim17ROCPRIM_400000_NS6detail17trampoline_kernelINS0_14default_configENS1_25partition_config_selectorILNS1_17partition_subalgoE3EN6thrust23THRUST_200600_302600_NS5tupleIxxNS7_9null_typeES9_S9_S9_S9_S9_S9_S9_EENS0_10empty_typeEbEEZZNS1_14partition_implILS5_3ELb0ES3_jNS7_6detail15normal_iteratorINS7_7pointerISA_NS7_11hip_rocprim3tagENS7_11use_defaultESJ_EEEEPSB_SM_NS0_5tupleIJPSA_SM_EEENSN_IJSM_SM_EEESB_PlJ10is_orderedEEE10hipError_tPvRmT3_T4_T5_T6_T7_T9_mT8_P12ihipStream_tbDpT10_ENKUlT_T0_E_clISt17integral_constantIbLb1EES1B_IbLb0EEEEDaS17_S18_EUlS17_E_NS1_11comp_targetILNS1_3genE9ELNS1_11target_archE1100ELNS1_3gpuE3ELNS1_3repE0EEENS1_30default_config_static_selectorELNS0_4arch9wavefront6targetE1EEEvT1_
	.globl	_ZN7rocprim17ROCPRIM_400000_NS6detail17trampoline_kernelINS0_14default_configENS1_25partition_config_selectorILNS1_17partition_subalgoE3EN6thrust23THRUST_200600_302600_NS5tupleIxxNS7_9null_typeES9_S9_S9_S9_S9_S9_S9_EENS0_10empty_typeEbEEZZNS1_14partition_implILS5_3ELb0ES3_jNS7_6detail15normal_iteratorINS7_7pointerISA_NS7_11hip_rocprim3tagENS7_11use_defaultESJ_EEEEPSB_SM_NS0_5tupleIJPSA_SM_EEENSN_IJSM_SM_EEESB_PlJ10is_orderedEEE10hipError_tPvRmT3_T4_T5_T6_T7_T9_mT8_P12ihipStream_tbDpT10_ENKUlT_T0_E_clISt17integral_constantIbLb1EES1B_IbLb0EEEEDaS17_S18_EUlS17_E_NS1_11comp_targetILNS1_3genE9ELNS1_11target_archE1100ELNS1_3gpuE3ELNS1_3repE0EEENS1_30default_config_static_selectorELNS0_4arch9wavefront6targetE1EEEvT1_
	.p2align	8
	.type	_ZN7rocprim17ROCPRIM_400000_NS6detail17trampoline_kernelINS0_14default_configENS1_25partition_config_selectorILNS1_17partition_subalgoE3EN6thrust23THRUST_200600_302600_NS5tupleIxxNS7_9null_typeES9_S9_S9_S9_S9_S9_S9_EENS0_10empty_typeEbEEZZNS1_14partition_implILS5_3ELb0ES3_jNS7_6detail15normal_iteratorINS7_7pointerISA_NS7_11hip_rocprim3tagENS7_11use_defaultESJ_EEEEPSB_SM_NS0_5tupleIJPSA_SM_EEENSN_IJSM_SM_EEESB_PlJ10is_orderedEEE10hipError_tPvRmT3_T4_T5_T6_T7_T9_mT8_P12ihipStream_tbDpT10_ENKUlT_T0_E_clISt17integral_constantIbLb1EES1B_IbLb0EEEEDaS17_S18_EUlS17_E_NS1_11comp_targetILNS1_3genE9ELNS1_11target_archE1100ELNS1_3gpuE3ELNS1_3repE0EEENS1_30default_config_static_selectorELNS0_4arch9wavefront6targetE1EEEvT1_,@function
_ZN7rocprim17ROCPRIM_400000_NS6detail17trampoline_kernelINS0_14default_configENS1_25partition_config_selectorILNS1_17partition_subalgoE3EN6thrust23THRUST_200600_302600_NS5tupleIxxNS7_9null_typeES9_S9_S9_S9_S9_S9_S9_EENS0_10empty_typeEbEEZZNS1_14partition_implILS5_3ELb0ES3_jNS7_6detail15normal_iteratorINS7_7pointerISA_NS7_11hip_rocprim3tagENS7_11use_defaultESJ_EEEEPSB_SM_NS0_5tupleIJPSA_SM_EEENSN_IJSM_SM_EEESB_PlJ10is_orderedEEE10hipError_tPvRmT3_T4_T5_T6_T7_T9_mT8_P12ihipStream_tbDpT10_ENKUlT_T0_E_clISt17integral_constantIbLb1EES1B_IbLb0EEEEDaS17_S18_EUlS17_E_NS1_11comp_targetILNS1_3genE9ELNS1_11target_archE1100ELNS1_3gpuE3ELNS1_3repE0EEENS1_30default_config_static_selectorELNS0_4arch9wavefront6targetE1EEEvT1_: ; @_ZN7rocprim17ROCPRIM_400000_NS6detail17trampoline_kernelINS0_14default_configENS1_25partition_config_selectorILNS1_17partition_subalgoE3EN6thrust23THRUST_200600_302600_NS5tupleIxxNS7_9null_typeES9_S9_S9_S9_S9_S9_S9_EENS0_10empty_typeEbEEZZNS1_14partition_implILS5_3ELb0ES3_jNS7_6detail15normal_iteratorINS7_7pointerISA_NS7_11hip_rocprim3tagENS7_11use_defaultESJ_EEEEPSB_SM_NS0_5tupleIJPSA_SM_EEENSN_IJSM_SM_EEESB_PlJ10is_orderedEEE10hipError_tPvRmT3_T4_T5_T6_T7_T9_mT8_P12ihipStream_tbDpT10_ENKUlT_T0_E_clISt17integral_constantIbLb1EES1B_IbLb0EEEEDaS17_S18_EUlS17_E_NS1_11comp_targetILNS1_3genE9ELNS1_11target_archE1100ELNS1_3gpuE3ELNS1_3repE0EEENS1_30default_config_static_selectorELNS0_4arch9wavefront6targetE1EEEvT1_
; %bb.0:
	.section	.rodata,"a",@progbits
	.p2align	6, 0x0
	.amdhsa_kernel _ZN7rocprim17ROCPRIM_400000_NS6detail17trampoline_kernelINS0_14default_configENS1_25partition_config_selectorILNS1_17partition_subalgoE3EN6thrust23THRUST_200600_302600_NS5tupleIxxNS7_9null_typeES9_S9_S9_S9_S9_S9_S9_EENS0_10empty_typeEbEEZZNS1_14partition_implILS5_3ELb0ES3_jNS7_6detail15normal_iteratorINS7_7pointerISA_NS7_11hip_rocprim3tagENS7_11use_defaultESJ_EEEEPSB_SM_NS0_5tupleIJPSA_SM_EEENSN_IJSM_SM_EEESB_PlJ10is_orderedEEE10hipError_tPvRmT3_T4_T5_T6_T7_T9_mT8_P12ihipStream_tbDpT10_ENKUlT_T0_E_clISt17integral_constantIbLb1EES1B_IbLb0EEEEDaS17_S18_EUlS17_E_NS1_11comp_targetILNS1_3genE9ELNS1_11target_archE1100ELNS1_3gpuE3ELNS1_3repE0EEENS1_30default_config_static_selectorELNS0_4arch9wavefront6targetE1EEEvT1_
		.amdhsa_group_segment_fixed_size 0
		.amdhsa_private_segment_fixed_size 0
		.amdhsa_kernarg_size 120
		.amdhsa_user_sgpr_count 2
		.amdhsa_user_sgpr_dispatch_ptr 0
		.amdhsa_user_sgpr_queue_ptr 0
		.amdhsa_user_sgpr_kernarg_segment_ptr 1
		.amdhsa_user_sgpr_dispatch_id 0
		.amdhsa_user_sgpr_kernarg_preload_length 0
		.amdhsa_user_sgpr_kernarg_preload_offset 0
		.amdhsa_user_sgpr_private_segment_size 0
		.amdhsa_uses_dynamic_stack 0
		.amdhsa_enable_private_segment 0
		.amdhsa_system_sgpr_workgroup_id_x 1
		.amdhsa_system_sgpr_workgroup_id_y 0
		.amdhsa_system_sgpr_workgroup_id_z 0
		.amdhsa_system_sgpr_workgroup_info 0
		.amdhsa_system_vgpr_workitem_id 0
		.amdhsa_next_free_vgpr 1
		.amdhsa_next_free_sgpr 0
		.amdhsa_accum_offset 4
		.amdhsa_reserve_vcc 0
		.amdhsa_float_round_mode_32 0
		.amdhsa_float_round_mode_16_64 0
		.amdhsa_float_denorm_mode_32 3
		.amdhsa_float_denorm_mode_16_64 3
		.amdhsa_dx10_clamp 1
		.amdhsa_ieee_mode 1
		.amdhsa_fp16_overflow 0
		.amdhsa_tg_split 0
		.amdhsa_exception_fp_ieee_invalid_op 0
		.amdhsa_exception_fp_denorm_src 0
		.amdhsa_exception_fp_ieee_div_zero 0
		.amdhsa_exception_fp_ieee_overflow 0
		.amdhsa_exception_fp_ieee_underflow 0
		.amdhsa_exception_fp_ieee_inexact 0
		.amdhsa_exception_int_div_zero 0
	.end_amdhsa_kernel
	.section	.text._ZN7rocprim17ROCPRIM_400000_NS6detail17trampoline_kernelINS0_14default_configENS1_25partition_config_selectorILNS1_17partition_subalgoE3EN6thrust23THRUST_200600_302600_NS5tupleIxxNS7_9null_typeES9_S9_S9_S9_S9_S9_S9_EENS0_10empty_typeEbEEZZNS1_14partition_implILS5_3ELb0ES3_jNS7_6detail15normal_iteratorINS7_7pointerISA_NS7_11hip_rocprim3tagENS7_11use_defaultESJ_EEEEPSB_SM_NS0_5tupleIJPSA_SM_EEENSN_IJSM_SM_EEESB_PlJ10is_orderedEEE10hipError_tPvRmT3_T4_T5_T6_T7_T9_mT8_P12ihipStream_tbDpT10_ENKUlT_T0_E_clISt17integral_constantIbLb1EES1B_IbLb0EEEEDaS17_S18_EUlS17_E_NS1_11comp_targetILNS1_3genE9ELNS1_11target_archE1100ELNS1_3gpuE3ELNS1_3repE0EEENS1_30default_config_static_selectorELNS0_4arch9wavefront6targetE1EEEvT1_,"axG",@progbits,_ZN7rocprim17ROCPRIM_400000_NS6detail17trampoline_kernelINS0_14default_configENS1_25partition_config_selectorILNS1_17partition_subalgoE3EN6thrust23THRUST_200600_302600_NS5tupleIxxNS7_9null_typeES9_S9_S9_S9_S9_S9_S9_EENS0_10empty_typeEbEEZZNS1_14partition_implILS5_3ELb0ES3_jNS7_6detail15normal_iteratorINS7_7pointerISA_NS7_11hip_rocprim3tagENS7_11use_defaultESJ_EEEEPSB_SM_NS0_5tupleIJPSA_SM_EEENSN_IJSM_SM_EEESB_PlJ10is_orderedEEE10hipError_tPvRmT3_T4_T5_T6_T7_T9_mT8_P12ihipStream_tbDpT10_ENKUlT_T0_E_clISt17integral_constantIbLb1EES1B_IbLb0EEEEDaS17_S18_EUlS17_E_NS1_11comp_targetILNS1_3genE9ELNS1_11target_archE1100ELNS1_3gpuE3ELNS1_3repE0EEENS1_30default_config_static_selectorELNS0_4arch9wavefront6targetE1EEEvT1_,comdat
.Lfunc_end3477:
	.size	_ZN7rocprim17ROCPRIM_400000_NS6detail17trampoline_kernelINS0_14default_configENS1_25partition_config_selectorILNS1_17partition_subalgoE3EN6thrust23THRUST_200600_302600_NS5tupleIxxNS7_9null_typeES9_S9_S9_S9_S9_S9_S9_EENS0_10empty_typeEbEEZZNS1_14partition_implILS5_3ELb0ES3_jNS7_6detail15normal_iteratorINS7_7pointerISA_NS7_11hip_rocprim3tagENS7_11use_defaultESJ_EEEEPSB_SM_NS0_5tupleIJPSA_SM_EEENSN_IJSM_SM_EEESB_PlJ10is_orderedEEE10hipError_tPvRmT3_T4_T5_T6_T7_T9_mT8_P12ihipStream_tbDpT10_ENKUlT_T0_E_clISt17integral_constantIbLb1EES1B_IbLb0EEEEDaS17_S18_EUlS17_E_NS1_11comp_targetILNS1_3genE9ELNS1_11target_archE1100ELNS1_3gpuE3ELNS1_3repE0EEENS1_30default_config_static_selectorELNS0_4arch9wavefront6targetE1EEEvT1_, .Lfunc_end3477-_ZN7rocprim17ROCPRIM_400000_NS6detail17trampoline_kernelINS0_14default_configENS1_25partition_config_selectorILNS1_17partition_subalgoE3EN6thrust23THRUST_200600_302600_NS5tupleIxxNS7_9null_typeES9_S9_S9_S9_S9_S9_S9_EENS0_10empty_typeEbEEZZNS1_14partition_implILS5_3ELb0ES3_jNS7_6detail15normal_iteratorINS7_7pointerISA_NS7_11hip_rocprim3tagENS7_11use_defaultESJ_EEEEPSB_SM_NS0_5tupleIJPSA_SM_EEENSN_IJSM_SM_EEESB_PlJ10is_orderedEEE10hipError_tPvRmT3_T4_T5_T6_T7_T9_mT8_P12ihipStream_tbDpT10_ENKUlT_T0_E_clISt17integral_constantIbLb1EES1B_IbLb0EEEEDaS17_S18_EUlS17_E_NS1_11comp_targetILNS1_3genE9ELNS1_11target_archE1100ELNS1_3gpuE3ELNS1_3repE0EEENS1_30default_config_static_selectorELNS0_4arch9wavefront6targetE1EEEvT1_
                                        ; -- End function
	.section	.AMDGPU.csdata,"",@progbits
; Kernel info:
; codeLenInByte = 0
; NumSgprs: 6
; NumVgprs: 0
; NumAgprs: 0
; TotalNumVgprs: 0
; ScratchSize: 0
; MemoryBound: 0
; FloatMode: 240
; IeeeMode: 1
; LDSByteSize: 0 bytes/workgroup (compile time only)
; SGPRBlocks: 0
; VGPRBlocks: 0
; NumSGPRsForWavesPerEU: 6
; NumVGPRsForWavesPerEU: 1
; AccumOffset: 4
; Occupancy: 8
; WaveLimiterHint : 0
; COMPUTE_PGM_RSRC2:SCRATCH_EN: 0
; COMPUTE_PGM_RSRC2:USER_SGPR: 2
; COMPUTE_PGM_RSRC2:TRAP_HANDLER: 0
; COMPUTE_PGM_RSRC2:TGID_X_EN: 1
; COMPUTE_PGM_RSRC2:TGID_Y_EN: 0
; COMPUTE_PGM_RSRC2:TGID_Z_EN: 0
; COMPUTE_PGM_RSRC2:TIDIG_COMP_CNT: 0
; COMPUTE_PGM_RSRC3_GFX90A:ACCUM_OFFSET: 0
; COMPUTE_PGM_RSRC3_GFX90A:TG_SPLIT: 0
	.section	.text._ZN7rocprim17ROCPRIM_400000_NS6detail17trampoline_kernelINS0_14default_configENS1_25partition_config_selectorILNS1_17partition_subalgoE3EN6thrust23THRUST_200600_302600_NS5tupleIxxNS7_9null_typeES9_S9_S9_S9_S9_S9_S9_EENS0_10empty_typeEbEEZZNS1_14partition_implILS5_3ELb0ES3_jNS7_6detail15normal_iteratorINS7_7pointerISA_NS7_11hip_rocprim3tagENS7_11use_defaultESJ_EEEEPSB_SM_NS0_5tupleIJPSA_SM_EEENSN_IJSM_SM_EEESB_PlJ10is_orderedEEE10hipError_tPvRmT3_T4_T5_T6_T7_T9_mT8_P12ihipStream_tbDpT10_ENKUlT_T0_E_clISt17integral_constantIbLb1EES1B_IbLb0EEEEDaS17_S18_EUlS17_E_NS1_11comp_targetILNS1_3genE8ELNS1_11target_archE1030ELNS1_3gpuE2ELNS1_3repE0EEENS1_30default_config_static_selectorELNS0_4arch9wavefront6targetE1EEEvT1_,"axG",@progbits,_ZN7rocprim17ROCPRIM_400000_NS6detail17trampoline_kernelINS0_14default_configENS1_25partition_config_selectorILNS1_17partition_subalgoE3EN6thrust23THRUST_200600_302600_NS5tupleIxxNS7_9null_typeES9_S9_S9_S9_S9_S9_S9_EENS0_10empty_typeEbEEZZNS1_14partition_implILS5_3ELb0ES3_jNS7_6detail15normal_iteratorINS7_7pointerISA_NS7_11hip_rocprim3tagENS7_11use_defaultESJ_EEEEPSB_SM_NS0_5tupleIJPSA_SM_EEENSN_IJSM_SM_EEESB_PlJ10is_orderedEEE10hipError_tPvRmT3_T4_T5_T6_T7_T9_mT8_P12ihipStream_tbDpT10_ENKUlT_T0_E_clISt17integral_constantIbLb1EES1B_IbLb0EEEEDaS17_S18_EUlS17_E_NS1_11comp_targetILNS1_3genE8ELNS1_11target_archE1030ELNS1_3gpuE2ELNS1_3repE0EEENS1_30default_config_static_selectorELNS0_4arch9wavefront6targetE1EEEvT1_,comdat
	.protected	_ZN7rocprim17ROCPRIM_400000_NS6detail17trampoline_kernelINS0_14default_configENS1_25partition_config_selectorILNS1_17partition_subalgoE3EN6thrust23THRUST_200600_302600_NS5tupleIxxNS7_9null_typeES9_S9_S9_S9_S9_S9_S9_EENS0_10empty_typeEbEEZZNS1_14partition_implILS5_3ELb0ES3_jNS7_6detail15normal_iteratorINS7_7pointerISA_NS7_11hip_rocprim3tagENS7_11use_defaultESJ_EEEEPSB_SM_NS0_5tupleIJPSA_SM_EEENSN_IJSM_SM_EEESB_PlJ10is_orderedEEE10hipError_tPvRmT3_T4_T5_T6_T7_T9_mT8_P12ihipStream_tbDpT10_ENKUlT_T0_E_clISt17integral_constantIbLb1EES1B_IbLb0EEEEDaS17_S18_EUlS17_E_NS1_11comp_targetILNS1_3genE8ELNS1_11target_archE1030ELNS1_3gpuE2ELNS1_3repE0EEENS1_30default_config_static_selectorELNS0_4arch9wavefront6targetE1EEEvT1_ ; -- Begin function _ZN7rocprim17ROCPRIM_400000_NS6detail17trampoline_kernelINS0_14default_configENS1_25partition_config_selectorILNS1_17partition_subalgoE3EN6thrust23THRUST_200600_302600_NS5tupleIxxNS7_9null_typeES9_S9_S9_S9_S9_S9_S9_EENS0_10empty_typeEbEEZZNS1_14partition_implILS5_3ELb0ES3_jNS7_6detail15normal_iteratorINS7_7pointerISA_NS7_11hip_rocprim3tagENS7_11use_defaultESJ_EEEEPSB_SM_NS0_5tupleIJPSA_SM_EEENSN_IJSM_SM_EEESB_PlJ10is_orderedEEE10hipError_tPvRmT3_T4_T5_T6_T7_T9_mT8_P12ihipStream_tbDpT10_ENKUlT_T0_E_clISt17integral_constantIbLb1EES1B_IbLb0EEEEDaS17_S18_EUlS17_E_NS1_11comp_targetILNS1_3genE8ELNS1_11target_archE1030ELNS1_3gpuE2ELNS1_3repE0EEENS1_30default_config_static_selectorELNS0_4arch9wavefront6targetE1EEEvT1_
	.globl	_ZN7rocprim17ROCPRIM_400000_NS6detail17trampoline_kernelINS0_14default_configENS1_25partition_config_selectorILNS1_17partition_subalgoE3EN6thrust23THRUST_200600_302600_NS5tupleIxxNS7_9null_typeES9_S9_S9_S9_S9_S9_S9_EENS0_10empty_typeEbEEZZNS1_14partition_implILS5_3ELb0ES3_jNS7_6detail15normal_iteratorINS7_7pointerISA_NS7_11hip_rocprim3tagENS7_11use_defaultESJ_EEEEPSB_SM_NS0_5tupleIJPSA_SM_EEENSN_IJSM_SM_EEESB_PlJ10is_orderedEEE10hipError_tPvRmT3_T4_T5_T6_T7_T9_mT8_P12ihipStream_tbDpT10_ENKUlT_T0_E_clISt17integral_constantIbLb1EES1B_IbLb0EEEEDaS17_S18_EUlS17_E_NS1_11comp_targetILNS1_3genE8ELNS1_11target_archE1030ELNS1_3gpuE2ELNS1_3repE0EEENS1_30default_config_static_selectorELNS0_4arch9wavefront6targetE1EEEvT1_
	.p2align	8
	.type	_ZN7rocprim17ROCPRIM_400000_NS6detail17trampoline_kernelINS0_14default_configENS1_25partition_config_selectorILNS1_17partition_subalgoE3EN6thrust23THRUST_200600_302600_NS5tupleIxxNS7_9null_typeES9_S9_S9_S9_S9_S9_S9_EENS0_10empty_typeEbEEZZNS1_14partition_implILS5_3ELb0ES3_jNS7_6detail15normal_iteratorINS7_7pointerISA_NS7_11hip_rocprim3tagENS7_11use_defaultESJ_EEEEPSB_SM_NS0_5tupleIJPSA_SM_EEENSN_IJSM_SM_EEESB_PlJ10is_orderedEEE10hipError_tPvRmT3_T4_T5_T6_T7_T9_mT8_P12ihipStream_tbDpT10_ENKUlT_T0_E_clISt17integral_constantIbLb1EES1B_IbLb0EEEEDaS17_S18_EUlS17_E_NS1_11comp_targetILNS1_3genE8ELNS1_11target_archE1030ELNS1_3gpuE2ELNS1_3repE0EEENS1_30default_config_static_selectorELNS0_4arch9wavefront6targetE1EEEvT1_,@function
_ZN7rocprim17ROCPRIM_400000_NS6detail17trampoline_kernelINS0_14default_configENS1_25partition_config_selectorILNS1_17partition_subalgoE3EN6thrust23THRUST_200600_302600_NS5tupleIxxNS7_9null_typeES9_S9_S9_S9_S9_S9_S9_EENS0_10empty_typeEbEEZZNS1_14partition_implILS5_3ELb0ES3_jNS7_6detail15normal_iteratorINS7_7pointerISA_NS7_11hip_rocprim3tagENS7_11use_defaultESJ_EEEEPSB_SM_NS0_5tupleIJPSA_SM_EEENSN_IJSM_SM_EEESB_PlJ10is_orderedEEE10hipError_tPvRmT3_T4_T5_T6_T7_T9_mT8_P12ihipStream_tbDpT10_ENKUlT_T0_E_clISt17integral_constantIbLb1EES1B_IbLb0EEEEDaS17_S18_EUlS17_E_NS1_11comp_targetILNS1_3genE8ELNS1_11target_archE1030ELNS1_3gpuE2ELNS1_3repE0EEENS1_30default_config_static_selectorELNS0_4arch9wavefront6targetE1EEEvT1_: ; @_ZN7rocprim17ROCPRIM_400000_NS6detail17trampoline_kernelINS0_14default_configENS1_25partition_config_selectorILNS1_17partition_subalgoE3EN6thrust23THRUST_200600_302600_NS5tupleIxxNS7_9null_typeES9_S9_S9_S9_S9_S9_S9_EENS0_10empty_typeEbEEZZNS1_14partition_implILS5_3ELb0ES3_jNS7_6detail15normal_iteratorINS7_7pointerISA_NS7_11hip_rocprim3tagENS7_11use_defaultESJ_EEEEPSB_SM_NS0_5tupleIJPSA_SM_EEENSN_IJSM_SM_EEESB_PlJ10is_orderedEEE10hipError_tPvRmT3_T4_T5_T6_T7_T9_mT8_P12ihipStream_tbDpT10_ENKUlT_T0_E_clISt17integral_constantIbLb1EES1B_IbLb0EEEEDaS17_S18_EUlS17_E_NS1_11comp_targetILNS1_3genE8ELNS1_11target_archE1030ELNS1_3gpuE2ELNS1_3repE0EEENS1_30default_config_static_selectorELNS0_4arch9wavefront6targetE1EEEvT1_
; %bb.0:
	.section	.rodata,"a",@progbits
	.p2align	6, 0x0
	.amdhsa_kernel _ZN7rocprim17ROCPRIM_400000_NS6detail17trampoline_kernelINS0_14default_configENS1_25partition_config_selectorILNS1_17partition_subalgoE3EN6thrust23THRUST_200600_302600_NS5tupleIxxNS7_9null_typeES9_S9_S9_S9_S9_S9_S9_EENS0_10empty_typeEbEEZZNS1_14partition_implILS5_3ELb0ES3_jNS7_6detail15normal_iteratorINS7_7pointerISA_NS7_11hip_rocprim3tagENS7_11use_defaultESJ_EEEEPSB_SM_NS0_5tupleIJPSA_SM_EEENSN_IJSM_SM_EEESB_PlJ10is_orderedEEE10hipError_tPvRmT3_T4_T5_T6_T7_T9_mT8_P12ihipStream_tbDpT10_ENKUlT_T0_E_clISt17integral_constantIbLb1EES1B_IbLb0EEEEDaS17_S18_EUlS17_E_NS1_11comp_targetILNS1_3genE8ELNS1_11target_archE1030ELNS1_3gpuE2ELNS1_3repE0EEENS1_30default_config_static_selectorELNS0_4arch9wavefront6targetE1EEEvT1_
		.amdhsa_group_segment_fixed_size 0
		.amdhsa_private_segment_fixed_size 0
		.amdhsa_kernarg_size 120
		.amdhsa_user_sgpr_count 2
		.amdhsa_user_sgpr_dispatch_ptr 0
		.amdhsa_user_sgpr_queue_ptr 0
		.amdhsa_user_sgpr_kernarg_segment_ptr 1
		.amdhsa_user_sgpr_dispatch_id 0
		.amdhsa_user_sgpr_kernarg_preload_length 0
		.amdhsa_user_sgpr_kernarg_preload_offset 0
		.amdhsa_user_sgpr_private_segment_size 0
		.amdhsa_uses_dynamic_stack 0
		.amdhsa_enable_private_segment 0
		.amdhsa_system_sgpr_workgroup_id_x 1
		.amdhsa_system_sgpr_workgroup_id_y 0
		.amdhsa_system_sgpr_workgroup_id_z 0
		.amdhsa_system_sgpr_workgroup_info 0
		.amdhsa_system_vgpr_workitem_id 0
		.amdhsa_next_free_vgpr 1
		.amdhsa_next_free_sgpr 0
		.amdhsa_accum_offset 4
		.amdhsa_reserve_vcc 0
		.amdhsa_float_round_mode_32 0
		.amdhsa_float_round_mode_16_64 0
		.amdhsa_float_denorm_mode_32 3
		.amdhsa_float_denorm_mode_16_64 3
		.amdhsa_dx10_clamp 1
		.amdhsa_ieee_mode 1
		.amdhsa_fp16_overflow 0
		.amdhsa_tg_split 0
		.amdhsa_exception_fp_ieee_invalid_op 0
		.amdhsa_exception_fp_denorm_src 0
		.amdhsa_exception_fp_ieee_div_zero 0
		.amdhsa_exception_fp_ieee_overflow 0
		.amdhsa_exception_fp_ieee_underflow 0
		.amdhsa_exception_fp_ieee_inexact 0
		.amdhsa_exception_int_div_zero 0
	.end_amdhsa_kernel
	.section	.text._ZN7rocprim17ROCPRIM_400000_NS6detail17trampoline_kernelINS0_14default_configENS1_25partition_config_selectorILNS1_17partition_subalgoE3EN6thrust23THRUST_200600_302600_NS5tupleIxxNS7_9null_typeES9_S9_S9_S9_S9_S9_S9_EENS0_10empty_typeEbEEZZNS1_14partition_implILS5_3ELb0ES3_jNS7_6detail15normal_iteratorINS7_7pointerISA_NS7_11hip_rocprim3tagENS7_11use_defaultESJ_EEEEPSB_SM_NS0_5tupleIJPSA_SM_EEENSN_IJSM_SM_EEESB_PlJ10is_orderedEEE10hipError_tPvRmT3_T4_T5_T6_T7_T9_mT8_P12ihipStream_tbDpT10_ENKUlT_T0_E_clISt17integral_constantIbLb1EES1B_IbLb0EEEEDaS17_S18_EUlS17_E_NS1_11comp_targetILNS1_3genE8ELNS1_11target_archE1030ELNS1_3gpuE2ELNS1_3repE0EEENS1_30default_config_static_selectorELNS0_4arch9wavefront6targetE1EEEvT1_,"axG",@progbits,_ZN7rocprim17ROCPRIM_400000_NS6detail17trampoline_kernelINS0_14default_configENS1_25partition_config_selectorILNS1_17partition_subalgoE3EN6thrust23THRUST_200600_302600_NS5tupleIxxNS7_9null_typeES9_S9_S9_S9_S9_S9_S9_EENS0_10empty_typeEbEEZZNS1_14partition_implILS5_3ELb0ES3_jNS7_6detail15normal_iteratorINS7_7pointerISA_NS7_11hip_rocprim3tagENS7_11use_defaultESJ_EEEEPSB_SM_NS0_5tupleIJPSA_SM_EEENSN_IJSM_SM_EEESB_PlJ10is_orderedEEE10hipError_tPvRmT3_T4_T5_T6_T7_T9_mT8_P12ihipStream_tbDpT10_ENKUlT_T0_E_clISt17integral_constantIbLb1EES1B_IbLb0EEEEDaS17_S18_EUlS17_E_NS1_11comp_targetILNS1_3genE8ELNS1_11target_archE1030ELNS1_3gpuE2ELNS1_3repE0EEENS1_30default_config_static_selectorELNS0_4arch9wavefront6targetE1EEEvT1_,comdat
.Lfunc_end3478:
	.size	_ZN7rocprim17ROCPRIM_400000_NS6detail17trampoline_kernelINS0_14default_configENS1_25partition_config_selectorILNS1_17partition_subalgoE3EN6thrust23THRUST_200600_302600_NS5tupleIxxNS7_9null_typeES9_S9_S9_S9_S9_S9_S9_EENS0_10empty_typeEbEEZZNS1_14partition_implILS5_3ELb0ES3_jNS7_6detail15normal_iteratorINS7_7pointerISA_NS7_11hip_rocprim3tagENS7_11use_defaultESJ_EEEEPSB_SM_NS0_5tupleIJPSA_SM_EEENSN_IJSM_SM_EEESB_PlJ10is_orderedEEE10hipError_tPvRmT3_T4_T5_T6_T7_T9_mT8_P12ihipStream_tbDpT10_ENKUlT_T0_E_clISt17integral_constantIbLb1EES1B_IbLb0EEEEDaS17_S18_EUlS17_E_NS1_11comp_targetILNS1_3genE8ELNS1_11target_archE1030ELNS1_3gpuE2ELNS1_3repE0EEENS1_30default_config_static_selectorELNS0_4arch9wavefront6targetE1EEEvT1_, .Lfunc_end3478-_ZN7rocprim17ROCPRIM_400000_NS6detail17trampoline_kernelINS0_14default_configENS1_25partition_config_selectorILNS1_17partition_subalgoE3EN6thrust23THRUST_200600_302600_NS5tupleIxxNS7_9null_typeES9_S9_S9_S9_S9_S9_S9_EENS0_10empty_typeEbEEZZNS1_14partition_implILS5_3ELb0ES3_jNS7_6detail15normal_iteratorINS7_7pointerISA_NS7_11hip_rocprim3tagENS7_11use_defaultESJ_EEEEPSB_SM_NS0_5tupleIJPSA_SM_EEENSN_IJSM_SM_EEESB_PlJ10is_orderedEEE10hipError_tPvRmT3_T4_T5_T6_T7_T9_mT8_P12ihipStream_tbDpT10_ENKUlT_T0_E_clISt17integral_constantIbLb1EES1B_IbLb0EEEEDaS17_S18_EUlS17_E_NS1_11comp_targetILNS1_3genE8ELNS1_11target_archE1030ELNS1_3gpuE2ELNS1_3repE0EEENS1_30default_config_static_selectorELNS0_4arch9wavefront6targetE1EEEvT1_
                                        ; -- End function
	.section	.AMDGPU.csdata,"",@progbits
; Kernel info:
; codeLenInByte = 0
; NumSgprs: 6
; NumVgprs: 0
; NumAgprs: 0
; TotalNumVgprs: 0
; ScratchSize: 0
; MemoryBound: 0
; FloatMode: 240
; IeeeMode: 1
; LDSByteSize: 0 bytes/workgroup (compile time only)
; SGPRBlocks: 0
; VGPRBlocks: 0
; NumSGPRsForWavesPerEU: 6
; NumVGPRsForWavesPerEU: 1
; AccumOffset: 4
; Occupancy: 8
; WaveLimiterHint : 0
; COMPUTE_PGM_RSRC2:SCRATCH_EN: 0
; COMPUTE_PGM_RSRC2:USER_SGPR: 2
; COMPUTE_PGM_RSRC2:TRAP_HANDLER: 0
; COMPUTE_PGM_RSRC2:TGID_X_EN: 1
; COMPUTE_PGM_RSRC2:TGID_Y_EN: 0
; COMPUTE_PGM_RSRC2:TGID_Z_EN: 0
; COMPUTE_PGM_RSRC2:TIDIG_COMP_CNT: 0
; COMPUTE_PGM_RSRC3_GFX90A:ACCUM_OFFSET: 0
; COMPUTE_PGM_RSRC3_GFX90A:TG_SPLIT: 0
	.section	.text._ZN7rocprim17ROCPRIM_400000_NS6detail17trampoline_kernelINS0_14default_configENS1_25partition_config_selectorILNS1_17partition_subalgoE3EN6thrust23THRUST_200600_302600_NS5tupleIxxNS7_9null_typeES9_S9_S9_S9_S9_S9_S9_EENS0_10empty_typeEbEEZZNS1_14partition_implILS5_3ELb0ES3_jNS7_6detail15normal_iteratorINS7_7pointerISA_NS7_11hip_rocprim3tagENS7_11use_defaultESJ_EEEEPSB_SM_NS0_5tupleIJPSA_SM_EEENSN_IJSM_SM_EEESB_PlJ10is_orderedEEE10hipError_tPvRmT3_T4_T5_T6_T7_T9_mT8_P12ihipStream_tbDpT10_ENKUlT_T0_E_clISt17integral_constantIbLb0EES1B_IbLb1EEEEDaS17_S18_EUlS17_E_NS1_11comp_targetILNS1_3genE0ELNS1_11target_archE4294967295ELNS1_3gpuE0ELNS1_3repE0EEENS1_30default_config_static_selectorELNS0_4arch9wavefront6targetE1EEEvT1_,"axG",@progbits,_ZN7rocprim17ROCPRIM_400000_NS6detail17trampoline_kernelINS0_14default_configENS1_25partition_config_selectorILNS1_17partition_subalgoE3EN6thrust23THRUST_200600_302600_NS5tupleIxxNS7_9null_typeES9_S9_S9_S9_S9_S9_S9_EENS0_10empty_typeEbEEZZNS1_14partition_implILS5_3ELb0ES3_jNS7_6detail15normal_iteratorINS7_7pointerISA_NS7_11hip_rocprim3tagENS7_11use_defaultESJ_EEEEPSB_SM_NS0_5tupleIJPSA_SM_EEENSN_IJSM_SM_EEESB_PlJ10is_orderedEEE10hipError_tPvRmT3_T4_T5_T6_T7_T9_mT8_P12ihipStream_tbDpT10_ENKUlT_T0_E_clISt17integral_constantIbLb0EES1B_IbLb1EEEEDaS17_S18_EUlS17_E_NS1_11comp_targetILNS1_3genE0ELNS1_11target_archE4294967295ELNS1_3gpuE0ELNS1_3repE0EEENS1_30default_config_static_selectorELNS0_4arch9wavefront6targetE1EEEvT1_,comdat
	.protected	_ZN7rocprim17ROCPRIM_400000_NS6detail17trampoline_kernelINS0_14default_configENS1_25partition_config_selectorILNS1_17partition_subalgoE3EN6thrust23THRUST_200600_302600_NS5tupleIxxNS7_9null_typeES9_S9_S9_S9_S9_S9_S9_EENS0_10empty_typeEbEEZZNS1_14partition_implILS5_3ELb0ES3_jNS7_6detail15normal_iteratorINS7_7pointerISA_NS7_11hip_rocprim3tagENS7_11use_defaultESJ_EEEEPSB_SM_NS0_5tupleIJPSA_SM_EEENSN_IJSM_SM_EEESB_PlJ10is_orderedEEE10hipError_tPvRmT3_T4_T5_T6_T7_T9_mT8_P12ihipStream_tbDpT10_ENKUlT_T0_E_clISt17integral_constantIbLb0EES1B_IbLb1EEEEDaS17_S18_EUlS17_E_NS1_11comp_targetILNS1_3genE0ELNS1_11target_archE4294967295ELNS1_3gpuE0ELNS1_3repE0EEENS1_30default_config_static_selectorELNS0_4arch9wavefront6targetE1EEEvT1_ ; -- Begin function _ZN7rocprim17ROCPRIM_400000_NS6detail17trampoline_kernelINS0_14default_configENS1_25partition_config_selectorILNS1_17partition_subalgoE3EN6thrust23THRUST_200600_302600_NS5tupleIxxNS7_9null_typeES9_S9_S9_S9_S9_S9_S9_EENS0_10empty_typeEbEEZZNS1_14partition_implILS5_3ELb0ES3_jNS7_6detail15normal_iteratorINS7_7pointerISA_NS7_11hip_rocprim3tagENS7_11use_defaultESJ_EEEEPSB_SM_NS0_5tupleIJPSA_SM_EEENSN_IJSM_SM_EEESB_PlJ10is_orderedEEE10hipError_tPvRmT3_T4_T5_T6_T7_T9_mT8_P12ihipStream_tbDpT10_ENKUlT_T0_E_clISt17integral_constantIbLb0EES1B_IbLb1EEEEDaS17_S18_EUlS17_E_NS1_11comp_targetILNS1_3genE0ELNS1_11target_archE4294967295ELNS1_3gpuE0ELNS1_3repE0EEENS1_30default_config_static_selectorELNS0_4arch9wavefront6targetE1EEEvT1_
	.globl	_ZN7rocprim17ROCPRIM_400000_NS6detail17trampoline_kernelINS0_14default_configENS1_25partition_config_selectorILNS1_17partition_subalgoE3EN6thrust23THRUST_200600_302600_NS5tupleIxxNS7_9null_typeES9_S9_S9_S9_S9_S9_S9_EENS0_10empty_typeEbEEZZNS1_14partition_implILS5_3ELb0ES3_jNS7_6detail15normal_iteratorINS7_7pointerISA_NS7_11hip_rocprim3tagENS7_11use_defaultESJ_EEEEPSB_SM_NS0_5tupleIJPSA_SM_EEENSN_IJSM_SM_EEESB_PlJ10is_orderedEEE10hipError_tPvRmT3_T4_T5_T6_T7_T9_mT8_P12ihipStream_tbDpT10_ENKUlT_T0_E_clISt17integral_constantIbLb0EES1B_IbLb1EEEEDaS17_S18_EUlS17_E_NS1_11comp_targetILNS1_3genE0ELNS1_11target_archE4294967295ELNS1_3gpuE0ELNS1_3repE0EEENS1_30default_config_static_selectorELNS0_4arch9wavefront6targetE1EEEvT1_
	.p2align	8
	.type	_ZN7rocprim17ROCPRIM_400000_NS6detail17trampoline_kernelINS0_14default_configENS1_25partition_config_selectorILNS1_17partition_subalgoE3EN6thrust23THRUST_200600_302600_NS5tupleIxxNS7_9null_typeES9_S9_S9_S9_S9_S9_S9_EENS0_10empty_typeEbEEZZNS1_14partition_implILS5_3ELb0ES3_jNS7_6detail15normal_iteratorINS7_7pointerISA_NS7_11hip_rocprim3tagENS7_11use_defaultESJ_EEEEPSB_SM_NS0_5tupleIJPSA_SM_EEENSN_IJSM_SM_EEESB_PlJ10is_orderedEEE10hipError_tPvRmT3_T4_T5_T6_T7_T9_mT8_P12ihipStream_tbDpT10_ENKUlT_T0_E_clISt17integral_constantIbLb0EES1B_IbLb1EEEEDaS17_S18_EUlS17_E_NS1_11comp_targetILNS1_3genE0ELNS1_11target_archE4294967295ELNS1_3gpuE0ELNS1_3repE0EEENS1_30default_config_static_selectorELNS0_4arch9wavefront6targetE1EEEvT1_,@function
_ZN7rocprim17ROCPRIM_400000_NS6detail17trampoline_kernelINS0_14default_configENS1_25partition_config_selectorILNS1_17partition_subalgoE3EN6thrust23THRUST_200600_302600_NS5tupleIxxNS7_9null_typeES9_S9_S9_S9_S9_S9_S9_EENS0_10empty_typeEbEEZZNS1_14partition_implILS5_3ELb0ES3_jNS7_6detail15normal_iteratorINS7_7pointerISA_NS7_11hip_rocprim3tagENS7_11use_defaultESJ_EEEEPSB_SM_NS0_5tupleIJPSA_SM_EEENSN_IJSM_SM_EEESB_PlJ10is_orderedEEE10hipError_tPvRmT3_T4_T5_T6_T7_T9_mT8_P12ihipStream_tbDpT10_ENKUlT_T0_E_clISt17integral_constantIbLb0EES1B_IbLb1EEEEDaS17_S18_EUlS17_E_NS1_11comp_targetILNS1_3genE0ELNS1_11target_archE4294967295ELNS1_3gpuE0ELNS1_3repE0EEENS1_30default_config_static_selectorELNS0_4arch9wavefront6targetE1EEEvT1_: ; @_ZN7rocprim17ROCPRIM_400000_NS6detail17trampoline_kernelINS0_14default_configENS1_25partition_config_selectorILNS1_17partition_subalgoE3EN6thrust23THRUST_200600_302600_NS5tupleIxxNS7_9null_typeES9_S9_S9_S9_S9_S9_S9_EENS0_10empty_typeEbEEZZNS1_14partition_implILS5_3ELb0ES3_jNS7_6detail15normal_iteratorINS7_7pointerISA_NS7_11hip_rocprim3tagENS7_11use_defaultESJ_EEEEPSB_SM_NS0_5tupleIJPSA_SM_EEENSN_IJSM_SM_EEESB_PlJ10is_orderedEEE10hipError_tPvRmT3_T4_T5_T6_T7_T9_mT8_P12ihipStream_tbDpT10_ENKUlT_T0_E_clISt17integral_constantIbLb0EES1B_IbLb1EEEEDaS17_S18_EUlS17_E_NS1_11comp_targetILNS1_3genE0ELNS1_11target_archE4294967295ELNS1_3gpuE0ELNS1_3repE0EEENS1_30default_config_static_selectorELNS0_4arch9wavefront6targetE1EEEvT1_
; %bb.0:
	.section	.rodata,"a",@progbits
	.p2align	6, 0x0
	.amdhsa_kernel _ZN7rocprim17ROCPRIM_400000_NS6detail17trampoline_kernelINS0_14default_configENS1_25partition_config_selectorILNS1_17partition_subalgoE3EN6thrust23THRUST_200600_302600_NS5tupleIxxNS7_9null_typeES9_S9_S9_S9_S9_S9_S9_EENS0_10empty_typeEbEEZZNS1_14partition_implILS5_3ELb0ES3_jNS7_6detail15normal_iteratorINS7_7pointerISA_NS7_11hip_rocprim3tagENS7_11use_defaultESJ_EEEEPSB_SM_NS0_5tupleIJPSA_SM_EEENSN_IJSM_SM_EEESB_PlJ10is_orderedEEE10hipError_tPvRmT3_T4_T5_T6_T7_T9_mT8_P12ihipStream_tbDpT10_ENKUlT_T0_E_clISt17integral_constantIbLb0EES1B_IbLb1EEEEDaS17_S18_EUlS17_E_NS1_11comp_targetILNS1_3genE0ELNS1_11target_archE4294967295ELNS1_3gpuE0ELNS1_3repE0EEENS1_30default_config_static_selectorELNS0_4arch9wavefront6targetE1EEEvT1_
		.amdhsa_group_segment_fixed_size 0
		.amdhsa_private_segment_fixed_size 0
		.amdhsa_kernarg_size 136
		.amdhsa_user_sgpr_count 2
		.amdhsa_user_sgpr_dispatch_ptr 0
		.amdhsa_user_sgpr_queue_ptr 0
		.amdhsa_user_sgpr_kernarg_segment_ptr 1
		.amdhsa_user_sgpr_dispatch_id 0
		.amdhsa_user_sgpr_kernarg_preload_length 0
		.amdhsa_user_sgpr_kernarg_preload_offset 0
		.amdhsa_user_sgpr_private_segment_size 0
		.amdhsa_uses_dynamic_stack 0
		.amdhsa_enable_private_segment 0
		.amdhsa_system_sgpr_workgroup_id_x 1
		.amdhsa_system_sgpr_workgroup_id_y 0
		.amdhsa_system_sgpr_workgroup_id_z 0
		.amdhsa_system_sgpr_workgroup_info 0
		.amdhsa_system_vgpr_workitem_id 0
		.amdhsa_next_free_vgpr 1
		.amdhsa_next_free_sgpr 0
		.amdhsa_accum_offset 4
		.amdhsa_reserve_vcc 0
		.amdhsa_float_round_mode_32 0
		.amdhsa_float_round_mode_16_64 0
		.amdhsa_float_denorm_mode_32 3
		.amdhsa_float_denorm_mode_16_64 3
		.amdhsa_dx10_clamp 1
		.amdhsa_ieee_mode 1
		.amdhsa_fp16_overflow 0
		.amdhsa_tg_split 0
		.amdhsa_exception_fp_ieee_invalid_op 0
		.amdhsa_exception_fp_denorm_src 0
		.amdhsa_exception_fp_ieee_div_zero 0
		.amdhsa_exception_fp_ieee_overflow 0
		.amdhsa_exception_fp_ieee_underflow 0
		.amdhsa_exception_fp_ieee_inexact 0
		.amdhsa_exception_int_div_zero 0
	.end_amdhsa_kernel
	.section	.text._ZN7rocprim17ROCPRIM_400000_NS6detail17trampoline_kernelINS0_14default_configENS1_25partition_config_selectorILNS1_17partition_subalgoE3EN6thrust23THRUST_200600_302600_NS5tupleIxxNS7_9null_typeES9_S9_S9_S9_S9_S9_S9_EENS0_10empty_typeEbEEZZNS1_14partition_implILS5_3ELb0ES3_jNS7_6detail15normal_iteratorINS7_7pointerISA_NS7_11hip_rocprim3tagENS7_11use_defaultESJ_EEEEPSB_SM_NS0_5tupleIJPSA_SM_EEENSN_IJSM_SM_EEESB_PlJ10is_orderedEEE10hipError_tPvRmT3_T4_T5_T6_T7_T9_mT8_P12ihipStream_tbDpT10_ENKUlT_T0_E_clISt17integral_constantIbLb0EES1B_IbLb1EEEEDaS17_S18_EUlS17_E_NS1_11comp_targetILNS1_3genE0ELNS1_11target_archE4294967295ELNS1_3gpuE0ELNS1_3repE0EEENS1_30default_config_static_selectorELNS0_4arch9wavefront6targetE1EEEvT1_,"axG",@progbits,_ZN7rocprim17ROCPRIM_400000_NS6detail17trampoline_kernelINS0_14default_configENS1_25partition_config_selectorILNS1_17partition_subalgoE3EN6thrust23THRUST_200600_302600_NS5tupleIxxNS7_9null_typeES9_S9_S9_S9_S9_S9_S9_EENS0_10empty_typeEbEEZZNS1_14partition_implILS5_3ELb0ES3_jNS7_6detail15normal_iteratorINS7_7pointerISA_NS7_11hip_rocprim3tagENS7_11use_defaultESJ_EEEEPSB_SM_NS0_5tupleIJPSA_SM_EEENSN_IJSM_SM_EEESB_PlJ10is_orderedEEE10hipError_tPvRmT3_T4_T5_T6_T7_T9_mT8_P12ihipStream_tbDpT10_ENKUlT_T0_E_clISt17integral_constantIbLb0EES1B_IbLb1EEEEDaS17_S18_EUlS17_E_NS1_11comp_targetILNS1_3genE0ELNS1_11target_archE4294967295ELNS1_3gpuE0ELNS1_3repE0EEENS1_30default_config_static_selectorELNS0_4arch9wavefront6targetE1EEEvT1_,comdat
.Lfunc_end3479:
	.size	_ZN7rocprim17ROCPRIM_400000_NS6detail17trampoline_kernelINS0_14default_configENS1_25partition_config_selectorILNS1_17partition_subalgoE3EN6thrust23THRUST_200600_302600_NS5tupleIxxNS7_9null_typeES9_S9_S9_S9_S9_S9_S9_EENS0_10empty_typeEbEEZZNS1_14partition_implILS5_3ELb0ES3_jNS7_6detail15normal_iteratorINS7_7pointerISA_NS7_11hip_rocprim3tagENS7_11use_defaultESJ_EEEEPSB_SM_NS0_5tupleIJPSA_SM_EEENSN_IJSM_SM_EEESB_PlJ10is_orderedEEE10hipError_tPvRmT3_T4_T5_T6_T7_T9_mT8_P12ihipStream_tbDpT10_ENKUlT_T0_E_clISt17integral_constantIbLb0EES1B_IbLb1EEEEDaS17_S18_EUlS17_E_NS1_11comp_targetILNS1_3genE0ELNS1_11target_archE4294967295ELNS1_3gpuE0ELNS1_3repE0EEENS1_30default_config_static_selectorELNS0_4arch9wavefront6targetE1EEEvT1_, .Lfunc_end3479-_ZN7rocprim17ROCPRIM_400000_NS6detail17trampoline_kernelINS0_14default_configENS1_25partition_config_selectorILNS1_17partition_subalgoE3EN6thrust23THRUST_200600_302600_NS5tupleIxxNS7_9null_typeES9_S9_S9_S9_S9_S9_S9_EENS0_10empty_typeEbEEZZNS1_14partition_implILS5_3ELb0ES3_jNS7_6detail15normal_iteratorINS7_7pointerISA_NS7_11hip_rocprim3tagENS7_11use_defaultESJ_EEEEPSB_SM_NS0_5tupleIJPSA_SM_EEENSN_IJSM_SM_EEESB_PlJ10is_orderedEEE10hipError_tPvRmT3_T4_T5_T6_T7_T9_mT8_P12ihipStream_tbDpT10_ENKUlT_T0_E_clISt17integral_constantIbLb0EES1B_IbLb1EEEEDaS17_S18_EUlS17_E_NS1_11comp_targetILNS1_3genE0ELNS1_11target_archE4294967295ELNS1_3gpuE0ELNS1_3repE0EEENS1_30default_config_static_selectorELNS0_4arch9wavefront6targetE1EEEvT1_
                                        ; -- End function
	.section	.AMDGPU.csdata,"",@progbits
; Kernel info:
; codeLenInByte = 0
; NumSgprs: 6
; NumVgprs: 0
; NumAgprs: 0
; TotalNumVgprs: 0
; ScratchSize: 0
; MemoryBound: 0
; FloatMode: 240
; IeeeMode: 1
; LDSByteSize: 0 bytes/workgroup (compile time only)
; SGPRBlocks: 0
; VGPRBlocks: 0
; NumSGPRsForWavesPerEU: 6
; NumVGPRsForWavesPerEU: 1
; AccumOffset: 4
; Occupancy: 8
; WaveLimiterHint : 0
; COMPUTE_PGM_RSRC2:SCRATCH_EN: 0
; COMPUTE_PGM_RSRC2:USER_SGPR: 2
; COMPUTE_PGM_RSRC2:TRAP_HANDLER: 0
; COMPUTE_PGM_RSRC2:TGID_X_EN: 1
; COMPUTE_PGM_RSRC2:TGID_Y_EN: 0
; COMPUTE_PGM_RSRC2:TGID_Z_EN: 0
; COMPUTE_PGM_RSRC2:TIDIG_COMP_CNT: 0
; COMPUTE_PGM_RSRC3_GFX90A:ACCUM_OFFSET: 0
; COMPUTE_PGM_RSRC3_GFX90A:TG_SPLIT: 0
	.section	.text._ZN7rocprim17ROCPRIM_400000_NS6detail17trampoline_kernelINS0_14default_configENS1_25partition_config_selectorILNS1_17partition_subalgoE3EN6thrust23THRUST_200600_302600_NS5tupleIxxNS7_9null_typeES9_S9_S9_S9_S9_S9_S9_EENS0_10empty_typeEbEEZZNS1_14partition_implILS5_3ELb0ES3_jNS7_6detail15normal_iteratorINS7_7pointerISA_NS7_11hip_rocprim3tagENS7_11use_defaultESJ_EEEEPSB_SM_NS0_5tupleIJPSA_SM_EEENSN_IJSM_SM_EEESB_PlJ10is_orderedEEE10hipError_tPvRmT3_T4_T5_T6_T7_T9_mT8_P12ihipStream_tbDpT10_ENKUlT_T0_E_clISt17integral_constantIbLb0EES1B_IbLb1EEEEDaS17_S18_EUlS17_E_NS1_11comp_targetILNS1_3genE5ELNS1_11target_archE942ELNS1_3gpuE9ELNS1_3repE0EEENS1_30default_config_static_selectorELNS0_4arch9wavefront6targetE1EEEvT1_,"axG",@progbits,_ZN7rocprim17ROCPRIM_400000_NS6detail17trampoline_kernelINS0_14default_configENS1_25partition_config_selectorILNS1_17partition_subalgoE3EN6thrust23THRUST_200600_302600_NS5tupleIxxNS7_9null_typeES9_S9_S9_S9_S9_S9_S9_EENS0_10empty_typeEbEEZZNS1_14partition_implILS5_3ELb0ES3_jNS7_6detail15normal_iteratorINS7_7pointerISA_NS7_11hip_rocprim3tagENS7_11use_defaultESJ_EEEEPSB_SM_NS0_5tupleIJPSA_SM_EEENSN_IJSM_SM_EEESB_PlJ10is_orderedEEE10hipError_tPvRmT3_T4_T5_T6_T7_T9_mT8_P12ihipStream_tbDpT10_ENKUlT_T0_E_clISt17integral_constantIbLb0EES1B_IbLb1EEEEDaS17_S18_EUlS17_E_NS1_11comp_targetILNS1_3genE5ELNS1_11target_archE942ELNS1_3gpuE9ELNS1_3repE0EEENS1_30default_config_static_selectorELNS0_4arch9wavefront6targetE1EEEvT1_,comdat
	.protected	_ZN7rocprim17ROCPRIM_400000_NS6detail17trampoline_kernelINS0_14default_configENS1_25partition_config_selectorILNS1_17partition_subalgoE3EN6thrust23THRUST_200600_302600_NS5tupleIxxNS7_9null_typeES9_S9_S9_S9_S9_S9_S9_EENS0_10empty_typeEbEEZZNS1_14partition_implILS5_3ELb0ES3_jNS7_6detail15normal_iteratorINS7_7pointerISA_NS7_11hip_rocprim3tagENS7_11use_defaultESJ_EEEEPSB_SM_NS0_5tupleIJPSA_SM_EEENSN_IJSM_SM_EEESB_PlJ10is_orderedEEE10hipError_tPvRmT3_T4_T5_T6_T7_T9_mT8_P12ihipStream_tbDpT10_ENKUlT_T0_E_clISt17integral_constantIbLb0EES1B_IbLb1EEEEDaS17_S18_EUlS17_E_NS1_11comp_targetILNS1_3genE5ELNS1_11target_archE942ELNS1_3gpuE9ELNS1_3repE0EEENS1_30default_config_static_selectorELNS0_4arch9wavefront6targetE1EEEvT1_ ; -- Begin function _ZN7rocprim17ROCPRIM_400000_NS6detail17trampoline_kernelINS0_14default_configENS1_25partition_config_selectorILNS1_17partition_subalgoE3EN6thrust23THRUST_200600_302600_NS5tupleIxxNS7_9null_typeES9_S9_S9_S9_S9_S9_S9_EENS0_10empty_typeEbEEZZNS1_14partition_implILS5_3ELb0ES3_jNS7_6detail15normal_iteratorINS7_7pointerISA_NS7_11hip_rocprim3tagENS7_11use_defaultESJ_EEEEPSB_SM_NS0_5tupleIJPSA_SM_EEENSN_IJSM_SM_EEESB_PlJ10is_orderedEEE10hipError_tPvRmT3_T4_T5_T6_T7_T9_mT8_P12ihipStream_tbDpT10_ENKUlT_T0_E_clISt17integral_constantIbLb0EES1B_IbLb1EEEEDaS17_S18_EUlS17_E_NS1_11comp_targetILNS1_3genE5ELNS1_11target_archE942ELNS1_3gpuE9ELNS1_3repE0EEENS1_30default_config_static_selectorELNS0_4arch9wavefront6targetE1EEEvT1_
	.globl	_ZN7rocprim17ROCPRIM_400000_NS6detail17trampoline_kernelINS0_14default_configENS1_25partition_config_selectorILNS1_17partition_subalgoE3EN6thrust23THRUST_200600_302600_NS5tupleIxxNS7_9null_typeES9_S9_S9_S9_S9_S9_S9_EENS0_10empty_typeEbEEZZNS1_14partition_implILS5_3ELb0ES3_jNS7_6detail15normal_iteratorINS7_7pointerISA_NS7_11hip_rocprim3tagENS7_11use_defaultESJ_EEEEPSB_SM_NS0_5tupleIJPSA_SM_EEENSN_IJSM_SM_EEESB_PlJ10is_orderedEEE10hipError_tPvRmT3_T4_T5_T6_T7_T9_mT8_P12ihipStream_tbDpT10_ENKUlT_T0_E_clISt17integral_constantIbLb0EES1B_IbLb1EEEEDaS17_S18_EUlS17_E_NS1_11comp_targetILNS1_3genE5ELNS1_11target_archE942ELNS1_3gpuE9ELNS1_3repE0EEENS1_30default_config_static_selectorELNS0_4arch9wavefront6targetE1EEEvT1_
	.p2align	8
	.type	_ZN7rocprim17ROCPRIM_400000_NS6detail17trampoline_kernelINS0_14default_configENS1_25partition_config_selectorILNS1_17partition_subalgoE3EN6thrust23THRUST_200600_302600_NS5tupleIxxNS7_9null_typeES9_S9_S9_S9_S9_S9_S9_EENS0_10empty_typeEbEEZZNS1_14partition_implILS5_3ELb0ES3_jNS7_6detail15normal_iteratorINS7_7pointerISA_NS7_11hip_rocprim3tagENS7_11use_defaultESJ_EEEEPSB_SM_NS0_5tupleIJPSA_SM_EEENSN_IJSM_SM_EEESB_PlJ10is_orderedEEE10hipError_tPvRmT3_T4_T5_T6_T7_T9_mT8_P12ihipStream_tbDpT10_ENKUlT_T0_E_clISt17integral_constantIbLb0EES1B_IbLb1EEEEDaS17_S18_EUlS17_E_NS1_11comp_targetILNS1_3genE5ELNS1_11target_archE942ELNS1_3gpuE9ELNS1_3repE0EEENS1_30default_config_static_selectorELNS0_4arch9wavefront6targetE1EEEvT1_,@function
_ZN7rocprim17ROCPRIM_400000_NS6detail17trampoline_kernelINS0_14default_configENS1_25partition_config_selectorILNS1_17partition_subalgoE3EN6thrust23THRUST_200600_302600_NS5tupleIxxNS7_9null_typeES9_S9_S9_S9_S9_S9_S9_EENS0_10empty_typeEbEEZZNS1_14partition_implILS5_3ELb0ES3_jNS7_6detail15normal_iteratorINS7_7pointerISA_NS7_11hip_rocprim3tagENS7_11use_defaultESJ_EEEEPSB_SM_NS0_5tupleIJPSA_SM_EEENSN_IJSM_SM_EEESB_PlJ10is_orderedEEE10hipError_tPvRmT3_T4_T5_T6_T7_T9_mT8_P12ihipStream_tbDpT10_ENKUlT_T0_E_clISt17integral_constantIbLb0EES1B_IbLb1EEEEDaS17_S18_EUlS17_E_NS1_11comp_targetILNS1_3genE5ELNS1_11target_archE942ELNS1_3gpuE9ELNS1_3repE0EEENS1_30default_config_static_selectorELNS0_4arch9wavefront6targetE1EEEvT1_: ; @_ZN7rocprim17ROCPRIM_400000_NS6detail17trampoline_kernelINS0_14default_configENS1_25partition_config_selectorILNS1_17partition_subalgoE3EN6thrust23THRUST_200600_302600_NS5tupleIxxNS7_9null_typeES9_S9_S9_S9_S9_S9_S9_EENS0_10empty_typeEbEEZZNS1_14partition_implILS5_3ELb0ES3_jNS7_6detail15normal_iteratorINS7_7pointerISA_NS7_11hip_rocprim3tagENS7_11use_defaultESJ_EEEEPSB_SM_NS0_5tupleIJPSA_SM_EEENSN_IJSM_SM_EEESB_PlJ10is_orderedEEE10hipError_tPvRmT3_T4_T5_T6_T7_T9_mT8_P12ihipStream_tbDpT10_ENKUlT_T0_E_clISt17integral_constantIbLb0EES1B_IbLb1EEEEDaS17_S18_EUlS17_E_NS1_11comp_targetILNS1_3genE5ELNS1_11target_archE942ELNS1_3gpuE9ELNS1_3repE0EEENS1_30default_config_static_selectorELNS0_4arch9wavefront6targetE1EEEvT1_
; %bb.0:
	s_load_dwordx2 s[22:23], s[0:1], 0x28
	s_load_dwordx4 s[24:27], s[0:1], 0x48
	s_load_dwordx2 s[34:35], s[0:1], 0x58
	s_load_dwordx2 s[36:37], s[0:1], 0x68
	v_cmp_eq_u32_e64 s[20:21], 0, v0
	s_and_saveexec_b64 s[2:3], s[20:21]
	s_cbranch_execz .LBB3480_4
; %bb.1:
	s_mov_b64 s[6:7], exec
	v_mbcnt_lo_u32_b32 v1, s6, 0
	v_mbcnt_hi_u32_b32 v1, s7, v1
	v_cmp_eq_u32_e32 vcc, 0, v1
                                        ; implicit-def: $vgpr2
	s_and_saveexec_b64 s[4:5], vcc
	s_cbranch_execz .LBB3480_3
; %bb.2:
	s_load_dwordx2 s[8:9], s[0:1], 0x78
	s_bcnt1_i32_b64 s6, s[6:7]
	v_mov_b32_e32 v2, 0
	v_mov_b32_e32 v3, s6
	s_waitcnt lgkmcnt(0)
	global_atomic_add v2, v2, v3, s[8:9] sc0
.LBB3480_3:
	s_or_b64 exec, exec, s[4:5]
	s_waitcnt vmcnt(0)
	v_readfirstlane_b32 s4, v2
	v_mov_b32_e32 v2, 0
	s_nop 0
	v_add_u32_e32 v1, s4, v1
	ds_write_b32 v2, v1
.LBB3480_4:
	s_or_b64 exec, exec, s[2:3]
	v_mov_b32_e32 v19, 0
	s_load_dwordx4 s[28:31], s[0:1], 0x8
	s_load_dword s2, s[0:1], 0x70
	s_waitcnt lgkmcnt(0)
	s_barrier
	ds_read_b32 v1, v19
	s_waitcnt lgkmcnt(0)
	s_barrier
	global_load_dwordx2 v[20:21], v19, s[26:27]
	s_lshl_b64 s[0:1], s[30:31], 4
	s_add_u32 s0, s28, s0
	s_addc_u32 s1, s29, s1
	s_add_i32 s4, s2, -1
	s_mulk_i32 s2, 0x600
	s_add_i32 s3, s2, s30
	s_sub_i32 s33, s34, s3
	s_addk_i32 s33, 0x600
	s_add_u32 s2, s30, s2
	v_readfirstlane_b32 s42, v1
	s_addc_u32 s3, s31, 0
	s_cmp_eq_u32 s42, s4
	s_movk_i32 s6, 0x600
	s_cselect_b64 s[26:27], -1, 0
	s_cmp_lg_u32 s42, s4
	v_mov_b64_e32 v[2:3], s[34:35]
	s_cselect_b64 s[4:5], -1, 0
	v_mul_lo_u32 v18, v1, s6
	v_cmp_lt_u64_e32 vcc, s[2:3], v[2:3]
	s_or_b64 s[4:5], vcc, s[4:5]
	v_lshlrev_b64 v[2:3], 4, v[18:19]
	v_lshl_add_u64 v[24:25], s[0:1], 0, v[2:3]
	s_mov_b64 s[0:1], -1
	s_and_b64 vcc, exec, s[4:5]
	v_lshlrev_b32_e32 v22, 4, v0
	v_lshrrev_b32_e32 v1, 1, v0
	s_cbranch_vccz .LBB3480_6
; %bb.5:
	v_mov_b32_e32 v23, v19
	v_lshl_add_u64 v[10:11], v[24:25], 0, v[22:23]
	v_add_co_u32_e32 v12, vcc, 0x1000, v10
	v_and_b32_e32 v23, 0xf0, v1
	s_nop 0
	v_addc_co_u32_e32 v13, vcc, 0, v11, vcc
	v_add_co_u32_e32 v26, vcc, 0x3000, v10
	flat_load_dwordx4 v[2:5], v[10:11]
	flat_load_dwordx4 v[6:9], v[12:13] offset:2048
	v_addc_co_u32_e32 v27, vcc, 0, v11, vcc
	v_add_co_u32_e32 v28, vcc, 0x4000, v10
	v_add_u32_e32 v23, v23, v22
	s_nop 0
	v_addc_co_u32_e32 v29, vcc, 0, v11, vcc
	flat_load_dwordx4 v[10:13], v[26:27]
	flat_load_dwordx4 v[14:17], v[28:29] offset:2048
	v_add_u32_e32 v26, 0x180, v0
	v_add_u32_e32 v27, 0x300, v0
	;; [unrolled: 1-line block ×3, first 2 shown]
	v_lshrrev_b32_e32 v26, 1, v26
	v_lshrrev_b32_e32 v27, 1, v27
	;; [unrolled: 1-line block ×3, first 2 shown]
	v_and_b32_e32 v26, 0x1f0, v26
	v_and_b32_e32 v27, 0x3f0, v27
	;; [unrolled: 1-line block ×3, first 2 shown]
	v_add_u32_e32 v26, v26, v22
	v_add_u32_e32 v27, v27, v22
	;; [unrolled: 1-line block ×3, first 2 shown]
	s_mov_b64 s[0:1], 0
	s_waitcnt vmcnt(0) lgkmcnt(0)
	ds_write_b128 v23, v[2:5]
	ds_write_b128 v26, v[6:9] offset:6144
	ds_write_b128 v27, v[10:13] offset:12288
	;; [unrolled: 1-line block ×3, first 2 shown]
	s_waitcnt lgkmcnt(0)
	s_barrier
.LBB3480_6:
	s_andn2_b64 vcc, exec, s[0:1]
	v_cmp_gt_u32_e64 s[0:1], s33, v0
	s_cbranch_vccnz .LBB3480_16
; %bb.7:
	v_mov_b64_e32 v[4:5], 0
	v_mov_b64_e32 v[8:9], v[4:5]
	;; [unrolled: 1-line block ×3, first 2 shown]
	s_and_saveexec_b64 s[2:3], s[0:1]
	s_cbranch_execz .LBB3480_9
; %bb.8:
	v_mov_b32_e32 v23, 0
	v_lshl_add_u64 v[2:3], v[24:25], 0, v[22:23]
	flat_load_dwordx4 v[6:9], v[2:3]
.LBB3480_9:
	s_or_b64 exec, exec, s[2:3]
	v_add_u32_e32 v23, 0x180, v0
	v_cmp_gt_u32_e32 vcc, s33, v23
	v_mov_b64_e32 v[2:3], v[4:5]
	s_and_saveexec_b64 s[0:1], vcc
	s_cbranch_execz .LBB3480_11
; %bb.10:
	v_lshlrev_b32_e32 v2, 4, v23
	v_mov_b32_e32 v3, 0
	v_lshl_add_u64 v[2:3], v[24:25], 0, v[2:3]
	flat_load_dwordx4 v[2:5], v[2:3]
.LBB3480_11:
	s_or_b64 exec, exec, s[0:1]
	v_add_u32_e32 v26, 0x300, v0
	v_mov_b64_e32 v[12:13], 0
	v_cmp_gt_u32_e32 vcc, s33, v26
	v_mov_b64_e32 v[16:17], v[12:13]
	v_mov_b64_e32 v[14:15], v[12:13]
	s_and_saveexec_b64 s[0:1], vcc
	s_cbranch_execz .LBB3480_13
; %bb.12:
	v_lshlrev_b32_e32 v10, 4, v26
	v_mov_b32_e32 v11, 0
	v_lshl_add_u64 v[10:11], v[24:25], 0, v[10:11]
	flat_load_dwordx4 v[14:17], v[10:11]
.LBB3480_13:
	s_or_b64 exec, exec, s[0:1]
	v_add_u32_e32 v27, 0x480, v0
	v_cmp_gt_u32_e32 vcc, s33, v27
	v_mov_b64_e32 v[10:11], v[12:13]
	s_and_saveexec_b64 s[0:1], vcc
	s_cbranch_execz .LBB3480_15
; %bb.14:
	v_lshlrev_b32_e32 v10, 4, v27
	v_mov_b32_e32 v11, 0
	v_lshl_add_u64 v[10:11], v[24:25], 0, v[10:11]
	flat_load_dwordx4 v[10:13], v[10:11]
.LBB3480_15:
	s_or_b64 exec, exec, s[0:1]
	v_and_b32_e32 v1, 0xf0, v1
	v_add_u32_e32 v1, v1, v22
	s_waitcnt vmcnt(0) lgkmcnt(0)
	ds_write_b128 v1, v[6:9]
	v_lshrrev_b32_e32 v1, 1, v23
	v_and_b32_e32 v1, 0x1f0, v1
	v_add_u32_e32 v1, v1, v22
	ds_write_b128 v1, v[2:5] offset:6144
	v_lshrrev_b32_e32 v1, 1, v26
	v_and_b32_e32 v1, 0x3f0, v1
	v_add_u32_e32 v1, v1, v22
	ds_write_b128 v1, v[14:17] offset:12288
	;; [unrolled: 4-line block ×3, first 2 shown]
	s_waitcnt lgkmcnt(0)
	s_barrier
.LBB3480_16:
	v_lshlrev_b32_e32 v1, 2, v0
	v_lshrrev_b32_e32 v2, 3, v0
	v_add_lshl_u32 v2, v2, v1, 4
	ds_read_b128 v[14:17], v2
	ds_read_b128 v[10:13], v2 offset:16
	ds_read_b128 v[6:9], v2 offset:32
	;; [unrolled: 1-line block ×3, first 2 shown]
	v_cndmask_b32_e64 v23, 0, 1, s[4:5]
	v_cmp_ne_u32_e64 s[2:3], 1, v23
	s_andn2_b64 vcc, exec, s[4:5]
	s_waitcnt lgkmcnt(3)
	v_cmp_le_i64_e64 s[6:7], v[14:15], v[16:17]
	s_waitcnt lgkmcnt(2)
	v_cmp_le_i64_e64 s[8:9], v[10:11], v[12:13]
	;; [unrolled: 2-line block ×4, first 2 shown]
	s_barrier
	s_cbranch_vccnz .LBB3480_18
; %bb.17:
	v_cndmask_b32_e64 v24, 0, 1, s[8:9]
	v_cndmask_b32_e64 v23, 0, 1, s[6:7]
	v_lshlrev_b16_e32 v24, 8, v24
	v_or_b32_e32 v23, v23, v24
	v_and_b32_e32 v23, 0xffff, v23
	v_cndmask_b32_e64 v24, 0, 1, s[4:5]
	v_lshl_or_b32 v23, v24, 16, v23
	s_and_b64 s[28:29], s[0:1], exec
	s_cbranch_execz .LBB3480_19
	s_branch .LBB3480_20
.LBB3480_18:
                                        ; implicit-def: $sgpr28_sgpr29
                                        ; implicit-def: $vgpr23
.LBB3480_19:
	v_cmp_gt_u32_e32 vcc, s33, v1
	v_cmp_le_i64_e64 s[0:1], v[14:15], v[16:17]
	s_and_b64 s[0:1], vcc, s[0:1]
	v_or_b32_e32 v24, 1, v1
	v_cndmask_b32_e64 v23, 0, 1, s[0:1]
	v_cmp_gt_u32_e32 vcc, s33, v24
	v_cmp_le_i64_e64 s[0:1], v[10:11], v[12:13]
	s_and_b64 s[0:1], vcc, s[0:1]
	v_or_b32_e32 v25, 2, v1
	v_cndmask_b32_e64 v24, 0, 1, s[0:1]
	v_cmp_gt_u32_e32 vcc, s33, v25
	v_cmp_le_i64_e64 s[0:1], v[6:7], v[8:9]
	v_lshlrev_b16_e32 v24, 8, v24
	v_or_b32_e32 v23, v23, v24
	s_and_b64 s[0:1], vcc, s[0:1]
	v_and_b32_e32 v23, 0xffff, v23
	v_cndmask_b32_e64 v24, 0, 1, s[0:1]
	v_lshl_or_b32 v23, v24, 16, v23
	v_or_b32_e32 v24, 3, v1
	v_cmp_gt_u32_e32 vcc, s33, v24
	v_cmp_le_i64_e64 s[0:1], v[2:3], v[4:5]
	s_and_b64 s[0:1], vcc, s[0:1]
	s_andn2_b64 s[4:5], s[28:29], exec
	s_and_b64 s[0:1], s[0:1], exec
	s_or_b64 s[28:29], s[4:5], s[0:1]
.LBB3480_20:
	v_cndmask_b32_e64 v24, 0, 1, s[28:29]
	v_bfe_u32 v34, v23, 8, 8
	v_bfe_u32 v35, v23, 16, 8
	v_add_u32_sdwa v24, v23, v24 dst_sel:DWORD dst_unused:UNUSED_PAD src0_sel:BYTE_0 src1_sel:DWORD
	v_add3_u32 v38, v24, v34, v35
	v_mbcnt_lo_u32_b32 v24, -1, 0
	v_mbcnt_hi_u32_b32 v36, -1, v24
	v_and_b32_e32 v24, 15, v36
	v_cmp_eq_u32_e64 s[16:17], 0, v24
	v_cmp_lt_u32_e64 s[14:15], 1, v24
	v_cmp_lt_u32_e64 s[12:13], 3, v24
	;; [unrolled: 1-line block ×3, first 2 shown]
	v_and_b32_e32 v24, 16, v36
	v_cmp_eq_u32_e64 s[6:7], 0, v24
	v_and_b32_e32 v24, 0x1c0, v0
	v_min_u32_e32 v24, 0x140, v24
	v_or_b32_e32 v24, 63, v24
	s_cmp_lg_u32 s42, 0
	v_cmp_lt_u32_e64 s[4:5], 31, v36
	v_lshrrev_b32_e32 v37, 6, v0
	v_cmp_eq_u32_e64 s[8:9], v24, v0
	s_cbranch_scc0 .LBB3480_47
; %bb.21:
	v_mov_b32_dpp v24, v38 row_shr:1 row_mask:0xf bank_mask:0xf
	v_cndmask_b32_e64 v24, v24, 0, s[16:17]
	v_add_u32_e32 v24, v24, v38
	s_nop 1
	v_mov_b32_dpp v25, v24 row_shr:2 row_mask:0xf bank_mask:0xf
	v_cndmask_b32_e64 v25, 0, v25, s[14:15]
	v_add_u32_e32 v24, v24, v25
	s_nop 1
	;; [unrolled: 4-line block ×4, first 2 shown]
	v_mov_b32_dpp v25, v24 row_bcast:15 row_mask:0xf bank_mask:0xf
	v_cndmask_b32_e64 v25, v25, 0, s[6:7]
	v_add_u32_e32 v24, v24, v25
	s_nop 1
	v_mov_b32_dpp v25, v24 row_bcast:31 row_mask:0xf bank_mask:0xf
	v_cndmask_b32_e64 v25, 0, v25, s[4:5]
	v_add_u32_e32 v24, v24, v25
	s_and_saveexec_b64 s[0:1], s[8:9]
	s_cbranch_execz .LBB3480_23
; %bb.22:
	v_lshlrev_b32_e32 v25, 2, v37
	ds_write_b32 v25, v24
.LBB3480_23:
	s_or_b64 exec, exec, s[0:1]
	v_cmp_gt_u32_e32 vcc, 6, v0
	s_waitcnt lgkmcnt(0)
	s_barrier
	s_and_saveexec_b64 s[0:1], vcc
	s_cbranch_execz .LBB3480_25
; %bb.24:
	ds_read_b32 v25, v1
	v_and_b32_e32 v26, 7, v36
	v_cmp_ne_u32_e32 vcc, 0, v26
	s_waitcnt lgkmcnt(0)
	v_mov_b32_dpp v27, v25 row_shr:1 row_mask:0xf bank_mask:0xf
	v_cndmask_b32_e32 v27, 0, v27, vcc
	v_add_u32_e32 v25, v27, v25
	v_cmp_lt_u32_e32 vcc, 1, v26
	s_nop 0
	v_mov_b32_dpp v27, v25 row_shr:2 row_mask:0xf bank_mask:0xf
	v_cndmask_b32_e32 v27, 0, v27, vcc
	v_add_u32_e32 v25, v25, v27
	v_cmp_lt_u32_e32 vcc, 3, v26
	s_nop 0
	v_mov_b32_dpp v27, v25 row_shr:4 row_mask:0xf bank_mask:0xf
	v_cndmask_b32_e32 v26, 0, v27, vcc
	v_add_u32_e32 v25, v25, v26
	ds_write_b32 v1, v25
.LBB3480_25:
	s_or_b64 exec, exec, s[0:1]
	v_cmp_gt_u32_e32 vcc, 64, v0
	v_cmp_lt_u32_e64 s[0:1], 63, v0
	s_waitcnt lgkmcnt(0)
	s_barrier
	s_waitcnt lgkmcnt(0)
                                        ; implicit-def: $vgpr39
	s_and_saveexec_b64 s[18:19], s[0:1]
	s_cbranch_execz .LBB3480_27
; %bb.26:
	v_lshl_add_u32 v25, v37, 2, -4
	ds_read_b32 v39, v25
	s_waitcnt lgkmcnt(0)
	v_add_u32_e32 v24, v39, v24
.LBB3480_27:
	s_or_b64 exec, exec, s[18:19]
	v_add_u32_e32 v25, -1, v36
	v_and_b32_e32 v26, 64, v36
	v_cmp_lt_i32_e64 s[0:1], v25, v26
	v_cmp_eq_u32_e64 s[18:19], 0, v36
	s_nop 0
	v_cndmask_b32_e64 v25, v25, v36, s[0:1]
	v_lshlrev_b32_e32 v25, 2, v25
	ds_bpermute_b32 v40, v25, v24
	s_and_saveexec_b64 s[0:1], vcc
	s_cbranch_execz .LBB3480_46
; %bb.28:
	v_mov_b32_e32 v31, 0
	ds_read_b32 v24, v31 offset:20
	s_and_saveexec_b64 s[38:39], s[18:19]
	s_cbranch_execz .LBB3480_30
; %bb.29:
	s_add_i32 s40, s42, 64
	s_mov_b32 s41, 0
	s_lshl_b64 s[40:41], s[40:41], 3
	s_add_u32 s40, s36, s40
	v_mov_b32_e32 v25, 1
	s_addc_u32 s41, s37, s41
	s_waitcnt lgkmcnt(0)
	global_store_dwordx2 v31, v[24:25], s[40:41] sc1
.LBB3480_30:
	s_or_b64 exec, exec, s[38:39]
	v_xad_u32 v26, v36, -1, s42
	v_add_u32_e32 v30, 64, v26
	v_lshl_add_u64 v[32:33], v[30:31], 3, s[36:37]
	global_load_dwordx2 v[28:29], v[32:33], off sc1
	s_waitcnt vmcnt(0)
	v_cmp_eq_u16_sdwa s[40:41], v29, v31 src0_sel:BYTE_0 src1_sel:DWORD
	s_and_saveexec_b64 s[38:39], s[40:41]
	s_cbranch_execz .LBB3480_34
; %bb.31:
	s_mov_b64 s[40:41], 0
	v_mov_b32_e32 v25, 0
.LBB3480_32:                            ; =>This Inner Loop Header: Depth=1
	global_load_dwordx2 v[28:29], v[32:33], off sc1
	s_waitcnt vmcnt(0)
	v_cmp_ne_u16_sdwa s[44:45], v29, v25 src0_sel:BYTE_0 src1_sel:DWORD
	s_or_b64 s[40:41], s[44:45], s[40:41]
	s_andn2_b64 exec, exec, s[40:41]
	s_cbranch_execnz .LBB3480_32
; %bb.33:
	s_or_b64 exec, exec, s[40:41]
.LBB3480_34:
	s_or_b64 exec, exec, s[38:39]
	v_and_b32_e32 v42, 63, v36
	v_mov_b32_e32 v41, 2
	v_cmp_ne_u32_e32 vcc, 63, v42
	v_cmp_eq_u16_sdwa s[38:39], v29, v41 src0_sel:BYTE_0 src1_sel:DWORD
	v_lshlrev_b64 v[30:31], v36, -1
	v_addc_co_u32_e32 v32, vcc, 0, v36, vcc
	v_and_b32_e32 v25, s39, v31
	v_lshlrev_b32_e32 v43, 2, v32
	v_or_b32_e32 v25, 0x80000000, v25
	ds_bpermute_b32 v32, v43, v28
	v_and_b32_e32 v27, s38, v30
	v_ffbl_b32_e32 v25, v25
	v_add_u32_e32 v25, 32, v25
	v_ffbl_b32_e32 v27, v27
	v_min_u32_e32 v25, v27, v25
	v_cmp_lt_u32_e32 vcc, v42, v25
	v_add_u32_e32 v45, 2, v42
	v_add_u32_e32 v47, 4, v42
	s_waitcnt lgkmcnt(0)
	v_cndmask_b32_e32 v27, 0, v32, vcc
	v_cmp_gt_u32_e32 vcc, 62, v42
	v_add_u32_e32 v27, v27, v28
	v_add_u32_e32 v49, 8, v42
	v_cndmask_b32_e64 v28, 0, 1, vcc
	v_lshlrev_b32_e32 v28, 1, v28
	v_add_lshl_u32 v44, v28, v36, 2
	ds_bpermute_b32 v28, v44, v27
	v_cmp_le_u32_e32 vcc, v45, v25
	v_add_u32_e32 v51, 16, v42
	v_add_u32_e32 v53, 32, v42
	s_waitcnt lgkmcnt(0)
	v_cndmask_b32_e32 v28, 0, v28, vcc
	v_cmp_gt_u32_e32 vcc, 60, v42
	v_add_u32_e32 v27, v27, v28
	s_nop 0
	v_cndmask_b32_e64 v28, 0, 1, vcc
	v_lshlrev_b32_e32 v28, 2, v28
	v_add_lshl_u32 v46, v28, v36, 2
	ds_bpermute_b32 v28, v46, v27
	v_cmp_le_u32_e32 vcc, v47, v25
	s_waitcnt lgkmcnt(0)
	s_nop 0
	v_cndmask_b32_e32 v28, 0, v28, vcc
	v_cmp_gt_u32_e32 vcc, 56, v42
	v_add_u32_e32 v27, v27, v28
	s_nop 0
	v_cndmask_b32_e64 v28, 0, 1, vcc
	v_lshlrev_b32_e32 v28, 3, v28
	v_add_lshl_u32 v48, v28, v36, 2
	ds_bpermute_b32 v28, v48, v27
	v_cmp_le_u32_e32 vcc, v49, v25
	s_waitcnt lgkmcnt(0)
	s_nop 0
	;; [unrolled: 11-line block ×4, first 2 shown]
	v_cndmask_b32_e32 v25, 0, v28, vcc
	v_add_u32_e32 v28, v27, v25
	v_mov_b32_e32 v27, 0
	s_branch .LBB3480_36
.LBB3480_35:                            ;   in Loop: Header=BB3480_36 Depth=1
	s_or_b64 exec, exec, s[38:39]
	v_cmp_eq_u16_sdwa s[38:39], v29, v41 src0_sel:BYTE_0 src1_sel:DWORD
	ds_bpermute_b32 v54, v43, v28
	v_subrev_u32_e32 v26, 64, v26
	v_and_b32_e32 v32, s39, v31
	v_or_b32_e32 v32, 0x80000000, v32
	v_and_b32_e32 v33, s38, v30
	v_ffbl_b32_e32 v32, v32
	v_add_u32_e32 v32, 32, v32
	v_ffbl_b32_e32 v33, v33
	v_min_u32_e32 v32, v33, v32
	v_cmp_lt_u32_e32 vcc, v42, v32
	s_waitcnt lgkmcnt(0)
	s_nop 0
	v_cndmask_b32_e32 v33, 0, v54, vcc
	v_add_u32_e32 v28, v33, v28
	ds_bpermute_b32 v33, v44, v28
	v_cmp_le_u32_e32 vcc, v45, v32
	s_waitcnt lgkmcnt(0)
	s_nop 0
	v_cndmask_b32_e32 v33, 0, v33, vcc
	v_add_u32_e32 v28, v28, v33
	ds_bpermute_b32 v33, v46, v28
	v_cmp_le_u32_e32 vcc, v47, v32
	;; [unrolled: 6-line block ×5, first 2 shown]
	s_waitcnt lgkmcnt(0)
	s_nop 0
	v_cndmask_b32_e32 v32, 0, v33, vcc
	v_add3_u32 v28, v32, v25, v28
.LBB3480_36:                            ; =>This Loop Header: Depth=1
                                        ;     Child Loop BB3480_39 Depth 2
	v_cmp_ne_u16_sdwa s[38:39], v29, v41 src0_sel:BYTE_0 src1_sel:DWORD
	s_nop 1
	v_cndmask_b32_e64 v25, 0, 1, s[38:39]
	;;#ASMSTART
	;;#ASMEND
	s_nop 0
	v_cmp_ne_u32_e32 vcc, 0, v25
	s_cmp_lg_u64 vcc, exec
	v_mov_b32_e32 v25, v28
	s_cbranch_scc1 .LBB3480_41
; %bb.37:                               ;   in Loop: Header=BB3480_36 Depth=1
	v_lshl_add_u64 v[32:33], v[26:27], 3, s[36:37]
	global_load_dwordx2 v[28:29], v[32:33], off sc1
	s_waitcnt vmcnt(0)
	v_cmp_eq_u16_sdwa s[40:41], v29, v27 src0_sel:BYTE_0 src1_sel:DWORD
	s_and_saveexec_b64 s[38:39], s[40:41]
	s_cbranch_execz .LBB3480_35
; %bb.38:                               ;   in Loop: Header=BB3480_36 Depth=1
	s_mov_b64 s[40:41], 0
.LBB3480_39:                            ;   Parent Loop BB3480_36 Depth=1
                                        ; =>  This Inner Loop Header: Depth=2
	global_load_dwordx2 v[28:29], v[32:33], off sc1
	s_waitcnt vmcnt(0)
	v_cmp_ne_u16_sdwa s[44:45], v29, v27 src0_sel:BYTE_0 src1_sel:DWORD
	s_or_b64 s[40:41], s[44:45], s[40:41]
	s_andn2_b64 exec, exec, s[40:41]
	s_cbranch_execnz .LBB3480_39
; %bb.40:                               ;   in Loop: Header=BB3480_36 Depth=1
	s_or_b64 exec, exec, s[40:41]
	s_branch .LBB3480_35
.LBB3480_41:                            ;   in Loop: Header=BB3480_36 Depth=1
                                        ; implicit-def: $vgpr28
                                        ; implicit-def: $vgpr29
	s_cbranch_execz .LBB3480_36
; %bb.42:
	s_and_saveexec_b64 s[38:39], s[18:19]
	s_cbranch_execz .LBB3480_44
; %bb.43:
	s_add_i32 s40, s42, 64
	s_mov_b32 s41, 0
	s_lshl_b64 s[40:41], s[40:41], 3
	s_add_u32 s40, s36, s40
	v_add_u32_e32 v26, v25, v24
	v_mov_b32_e32 v27, 2
	s_addc_u32 s41, s37, s41
	v_mov_b32_e32 v28, 0
	global_store_dwordx2 v28, v[26:27], s[40:41] sc1
	ds_write_b64 v28, v[24:25] offset:25344
.LBB3480_44:
	s_or_b64 exec, exec, s[38:39]
	s_and_b64 exec, exec, s[20:21]
	s_cbranch_execz .LBB3480_46
; %bb.45:
	v_mov_b32_e32 v24, 0
	ds_write_b32 v24, v25 offset:20
.LBB3480_46:
	s_or_b64 exec, exec, s[0:1]
	v_mov_b32_e32 v24, 0
	s_waitcnt lgkmcnt(0)
	s_barrier
	ds_read_b32 v25, v24 offset:20
	v_cndmask_b32_e64 v26, v40, v39, s[18:19]
	v_cndmask_b32_e64 v26, v26, 0, s[20:21]
	s_waitcnt lgkmcnt(0)
	s_barrier
	v_add_u32_e32 v29, v25, v26
	ds_read_b64 v[24:25], v24 offset:25344
	v_add_u32_sdwa v28, v29, v23 dst_sel:DWORD dst_unused:UNUSED_PAD src0_sel:DWORD src1_sel:BYTE_0
	v_add_u32_e32 v27, v28, v34
	v_add_u32_e32 v26, v27, v35
	s_waitcnt lgkmcnt(0)
	v_mov_b32_e32 v32, v25
	s_branch .LBB3480_57
.LBB3480_47:
                                        ; implicit-def: $vgpr32
                                        ; implicit-def: $vgpr24
                                        ; implicit-def: $vgpr26
                                        ; implicit-def: $vgpr27
                                        ; implicit-def: $vgpr28
                                        ; implicit-def: $vgpr29
	s_cbranch_execz .LBB3480_57
; %bb.48:
	s_nop 0
	v_mov_b32_dpp v24, v38 row_shr:1 row_mask:0xf bank_mask:0xf
	v_cndmask_b32_e64 v24, v24, 0, s[16:17]
	v_add_u32_e32 v24, v24, v38
	s_nop 1
	v_mov_b32_dpp v25, v24 row_shr:2 row_mask:0xf bank_mask:0xf
	v_cndmask_b32_e64 v25, 0, v25, s[14:15]
	v_add_u32_e32 v24, v24, v25
	;; [unrolled: 4-line block ×4, first 2 shown]
	s_nop 1
	v_mov_b32_dpp v25, v24 row_bcast:15 row_mask:0xf bank_mask:0xf
	v_cndmask_b32_e64 v25, v25, 0, s[6:7]
	v_add_u32_e32 v24, v24, v25
	s_nop 1
	v_mov_b32_dpp v25, v24 row_bcast:31 row_mask:0xf bank_mask:0xf
	v_cndmask_b32_e64 v25, 0, v25, s[4:5]
	v_add_u32_e32 v24, v24, v25
	s_and_saveexec_b64 s[0:1], s[8:9]
	s_cbranch_execz .LBB3480_50
; %bb.49:
	v_lshlrev_b32_e32 v25, 2, v37
	ds_write_b32 v25, v24
.LBB3480_50:
	s_or_b64 exec, exec, s[0:1]
	v_cmp_gt_u32_e32 vcc, 6, v0
	s_waitcnt lgkmcnt(0)
	s_barrier
	s_and_saveexec_b64 s[0:1], vcc
	s_cbranch_execz .LBB3480_52
; %bb.51:
	ds_read_b32 v25, v1
	v_and_b32_e32 v26, 7, v36
	v_cmp_ne_u32_e32 vcc, 0, v26
	s_waitcnt lgkmcnt(0)
	v_mov_b32_dpp v27, v25 row_shr:1 row_mask:0xf bank_mask:0xf
	v_cndmask_b32_e32 v27, 0, v27, vcc
	v_add_u32_e32 v25, v27, v25
	v_cmp_lt_u32_e32 vcc, 1, v26
	s_nop 0
	v_mov_b32_dpp v27, v25 row_shr:2 row_mask:0xf bank_mask:0xf
	v_cndmask_b32_e32 v27, 0, v27, vcc
	v_add_u32_e32 v25, v25, v27
	v_cmp_lt_u32_e32 vcc, 3, v26
	s_nop 0
	v_mov_b32_dpp v27, v25 row_shr:4 row_mask:0xf bank_mask:0xf
	v_cndmask_b32_e32 v26, 0, v27, vcc
	v_add_u32_e32 v25, v25, v26
	ds_write_b32 v1, v25
.LBB3480_52:
	s_or_b64 exec, exec, s[0:1]
	v_cmp_lt_u32_e32 vcc, 63, v0
	v_mov_b32_e32 v25, 0
	v_mov_b32_e32 v26, 0
	s_waitcnt lgkmcnt(0)
	s_barrier
	s_and_saveexec_b64 s[0:1], vcc
	s_cbranch_execz .LBB3480_54
; %bb.53:
	v_lshl_add_u32 v26, v37, 2, -4
	ds_read_b32 v26, v26
.LBB3480_54:
	s_or_b64 exec, exec, s[0:1]
	v_add_u32_e32 v27, -1, v36
	v_and_b32_e32 v28, 64, v36
	v_cmp_lt_i32_e32 vcc, v27, v28
	s_waitcnt lgkmcnt(0)
	v_add_u32_e32 v24, v26, v24
	v_cndmask_b32_e32 v27, v27, v36, vcc
	v_lshlrev_b32_e32 v27, 2, v27
	ds_bpermute_b32 v27, v27, v24
	ds_read_b32 v24, v25 offset:20
	s_and_saveexec_b64 s[0:1], s[20:21]
	s_cbranch_execz .LBB3480_56
; %bb.55:
	v_mov_b32_e32 v28, 0
	v_mov_b32_e32 v25, 2
	s_waitcnt lgkmcnt(0)
	global_store_dwordx2 v28, v[24:25], s[36:37] offset:512 sc1
.LBB3480_56:
	s_or_b64 exec, exec, s[0:1]
	v_cmp_eq_u32_e32 vcc, 0, v36
	v_mov_b32_e32 v32, 0
	s_waitcnt lgkmcnt(0)
	v_cndmask_b32_e32 v25, v27, v26, vcc
	v_cndmask_b32_e64 v29, v25, 0, s[20:21]
	v_add_u32_sdwa v28, v29, v23 dst_sel:DWORD dst_unused:UNUSED_PAD src0_sel:DWORD src1_sel:BYTE_0
	v_add_u32_e32 v27, v28, v34
	v_add_u32_e32 v26, v27, v35
	s_barrier
.LBB3480_57:
	v_add_u32_e32 v1, v24, v1
	v_sub_u32_e32 v29, v29, v32
	v_and_b32_e32 v31, 1, v23
	v_sub_u32_e32 v30, v1, v29
	v_cmp_eq_u32_e32 vcc, 1, v31
	v_lshrrev_b32_e32 v25, 8, v23
	v_lshl_add_u64 v[18:19], s[30:31], 0, v[18:19]
	v_cndmask_b32_e32 v29, v30, v29, vcc
	v_lshlrev_b32_e32 v29, 4, v29
	ds_write_b128 v29, v[14:17]
	v_sub_u32_e32 v14, v28, v32
	v_sub_u32_e32 v15, v1, v14
	v_and_b32_e32 v16, 1, v25
	v_add_u32_e32 v15, 1, v15
	v_cmp_eq_u32_e32 vcc, 1, v16
	v_add_u32_e32 v30, 0x180, v0
	v_add_u32_e32 v28, 0x300, v0
	v_cndmask_b32_e32 v14, v15, v14, vcc
	v_lshlrev_b32_e32 v14, 4, v14
	ds_write_b128 v14, v[10:13]
	v_sub_u32_e32 v10, v27, v32
	v_mov_b32_e32 v12, 1
	v_sub_u32_e32 v11, v1, v10
	v_and_b32_sdwa v12, v12, v23 dst_sel:DWORD dst_unused:UNUSED_PAD src0_sel:DWORD src1_sel:WORD_1
	v_add_u32_e32 v11, 2, v11
	v_cmp_eq_u32_e32 vcc, 1, v12
	s_nop 1
	v_cndmask_b32_e32 v10, v11, v10, vcc
	v_lshlrev_b32_e32 v10, 4, v10
	ds_write_b128 v10, v[6:9]
	v_sub_u32_e32 v6, v26, v32
	v_sub_u32_e32 v1, v1, v6
	v_add_u32_e32 v1, 3, v1
	v_cndmask_b32_e64 v1, v1, v6, s[28:29]
	v_lshlrev_b32_e32 v1, 4, v1
	ds_write_b128 v1, v[2:5]
	s_waitcnt lgkmcnt(0)
	s_barrier
	ds_read_b128 v[14:17], v22
	ds_read_b128 v[10:13], v22 offset:6144
	ds_read_b128 v[6:9], v22 offset:12288
	;; [unrolled: 1-line block ×3, first 2 shown]
	v_mov_b32_e32 v1, 0
	v_mov_b32_e32 v22, s35
	v_sub_co_u32_e32 v18, vcc, s34, v18
	v_mov_b32_e32 v33, v1
	v_mov_b32_e32 v25, v1
	v_subb_co_u32_e32 v19, vcc, v22, v19, vcc
	s_waitcnt vmcnt(0)
	v_lshl_add_u64 v[20:21], v[20:21], 0, v[32:33]
	v_lshl_add_u64 v[18:19], v[18:19], 0, v[24:25]
	v_mov_b32_e32 v31, v1
	v_mov_b32_e32 v29, v1
	v_add_u32_e32 v26, 0x480, v0
	v_mov_b32_e32 v27, v1
	s_and_b64 vcc, exec, s[2:3]
	v_lshl_add_u64 v[18:19], v[18:19], 0, v[20:21]
	s_cbranch_vccnz .LBB3480_78
; %bb.58:
	v_cmp_ge_u32_e32 vcc, v0, v24
                                        ; implicit-def: $vgpr22_vgpr23
	s_and_saveexec_b64 s[0:1], vcc
	s_xor_b64 s[0:1], exec, s[0:1]
; %bb.59:
	v_not_b32_e32 v22, v0
	v_ashrrev_i32_e32 v23, 31, v22
	v_lshl_add_u64 v[22:23], v[18:19], 0, v[22:23]
; %bb.60:
	s_andn2_saveexec_b64 s[0:1], s[0:1]
; %bb.61:
	v_lshl_add_u64 v[22:23], v[20:21], 0, v[0:1]
; %bb.62:
	s_or_b64 exec, exec, s[0:1]
	v_lshl_add_u64 v[22:23], v[22:23], 4, s[22:23]
	v_cmp_ge_u32_e32 vcc, v30, v24
	s_waitcnt lgkmcnt(3)
	global_store_dwordx4 v[22:23], v[14:17], off
                                        ; implicit-def: $vgpr22_vgpr23
	s_and_saveexec_b64 s[0:1], vcc
	s_xor_b64 s[0:1], exec, s[0:1]
; %bb.63:
	v_sub_u32_e32 v22, 0xfffffe7f, v0
	v_ashrrev_i32_e32 v23, 31, v22
	v_lshl_add_u64 v[22:23], v[18:19], 0, v[22:23]
; %bb.64:
	s_andn2_saveexec_b64 s[0:1], s[0:1]
; %bb.65:
	v_lshl_add_u64 v[22:23], v[20:21], 0, v[30:31]
; %bb.66:
	s_or_b64 exec, exec, s[0:1]
	v_lshl_add_u64 v[22:23], v[22:23], 4, s[22:23]
	v_cmp_ge_u32_e32 vcc, v28, v24
	s_waitcnt lgkmcnt(2)
	global_store_dwordx4 v[22:23], v[10:13], off
                                        ; implicit-def: $vgpr22_vgpr23
	s_and_saveexec_b64 s[0:1], vcc
	s_xor_b64 s[0:1], exec, s[0:1]
; %bb.67:
	v_sub_u32_e32 v22, 0xfffffcff, v0
	;; [unrolled: 17-line block ×3, first 2 shown]
	v_ashrrev_i32_e32 v23, 31, v22
	v_lshl_add_u64 v[22:23], v[18:19], 0, v[22:23]
; %bb.72:
	s_andn2_saveexec_b64 s[0:1], s[0:1]
; %bb.73:
	v_lshl_add_u64 v[22:23], v[20:21], 0, v[26:27]
; %bb.74:
	s_or_b64 exec, exec, s[0:1]
	s_mov_b64 s[0:1], -1
.LBB3480_75:
	s_and_saveexec_b64 s[2:3], s[0:1]
	s_cbranch_execz .LBB3480_88
.LBB3480_76:
	v_lshl_add_u64 v[0:1], v[22:23], 4, s[22:23]
	s_waitcnt lgkmcnt(0)
	global_store_dwordx4 v[0:1], v[2:5], off
	s_or_b64 exec, exec, s[2:3]
	s_and_b64 s[0:1], s[20:21], s[26:27]
	s_and_saveexec_b64 s[2:3], s[0:1]
	s_cbranch_execnz .LBB3480_89
.LBB3480_77:
	s_endpgm
.LBB3480_78:
	s_mov_b64 s[0:1], 0
                                        ; implicit-def: $vgpr22_vgpr23
	s_cbranch_execz .LBB3480_75
; %bb.79:
	v_cmp_gt_u32_e32 vcc, s33, v0
	s_and_saveexec_b64 s[2:3], vcc
	s_cbranch_execz .LBB3480_90
; %bb.80:
	v_cmp_ge_u32_e32 vcc, v0, v24
                                        ; implicit-def: $vgpr22_vgpr23
	s_and_saveexec_b64 s[4:5], vcc
	s_xor_b64 s[4:5], exec, s[4:5]
; %bb.81:
	v_not_b32_e32 v22, v0
	v_ashrrev_i32_e32 v23, 31, v22
	v_lshl_add_u64 v[22:23], v[18:19], 0, v[22:23]
; %bb.82:
	s_andn2_saveexec_b64 s[4:5], s[4:5]
; %bb.83:
	v_lshl_add_u64 v[22:23], v[20:21], 0, v[0:1]
; %bb.84:
	s_or_b64 exec, exec, s[4:5]
	v_lshl_add_u64 v[22:23], v[22:23], 4, s[22:23]
	s_waitcnt lgkmcnt(3)
	global_store_dwordx4 v[22:23], v[14:17], off
	s_or_b64 exec, exec, s[2:3]
	v_cmp_gt_u32_e32 vcc, s33, v30
	s_and_saveexec_b64 s[2:3], vcc
	s_cbranch_execnz .LBB3480_91
.LBB3480_85:
	s_or_b64 exec, exec, s[2:3]
	v_cmp_gt_u32_e32 vcc, s33, v28
	s_and_saveexec_b64 s[2:3], vcc
	s_cbranch_execnz .LBB3480_96
.LBB3480_86:
	s_or_b64 exec, exec, s[2:3]
	v_cmp_gt_u32_e32 vcc, s33, v26
                                        ; implicit-def: $vgpr22_vgpr23
	s_and_saveexec_b64 s[2:3], vcc
	s_cbranch_execnz .LBB3480_101
.LBB3480_87:
	s_or_b64 exec, exec, s[2:3]
	s_and_saveexec_b64 s[2:3], s[0:1]
	s_cbranch_execnz .LBB3480_76
.LBB3480_88:
	s_or_b64 exec, exec, s[2:3]
	s_and_b64 s[0:1], s[20:21], s[26:27]
	s_and_saveexec_b64 s[2:3], s[0:1]
	s_cbranch_execz .LBB3480_77
.LBB3480_89:
	s_waitcnt lgkmcnt(0)
	v_mov_b32_e32 v2, 0
	v_lshl_add_u64 v[0:1], v[20:21], 0, v[24:25]
	global_store_dwordx2 v2, v[0:1], s[24:25]
	s_endpgm
.LBB3480_90:
	s_or_b64 exec, exec, s[2:3]
	v_cmp_gt_u32_e32 vcc, s33, v30
	s_and_saveexec_b64 s[2:3], vcc
	s_cbranch_execz .LBB3480_85
.LBB3480_91:
	v_cmp_ge_u32_e32 vcc, v30, v24
                                        ; implicit-def: $vgpr14_vgpr15
	s_and_saveexec_b64 s[4:5], vcc
	s_xor_b64 s[4:5], exec, s[4:5]
	s_cbranch_execz .LBB3480_93
; %bb.92:
	s_waitcnt lgkmcnt(3)
	v_sub_u32_e32 v14, 0xfffffe7f, v0
	v_ashrrev_i32_e32 v15, 31, v14
	v_lshl_add_u64 v[14:15], v[18:19], 0, v[14:15]
                                        ; implicit-def: $vgpr30_vgpr31
.LBB3480_93:
	s_andn2_saveexec_b64 s[4:5], s[4:5]
	s_cbranch_execz .LBB3480_95
; %bb.94:
	s_waitcnt lgkmcnt(3)
	v_lshl_add_u64 v[14:15], v[20:21], 0, v[30:31]
.LBB3480_95:
	s_or_b64 exec, exec, s[4:5]
	s_waitcnt lgkmcnt(3)
	v_lshl_add_u64 v[14:15], v[14:15], 4, s[22:23]
	s_waitcnt lgkmcnt(2)
	global_store_dwordx4 v[14:15], v[10:13], off
	s_or_b64 exec, exec, s[2:3]
	v_cmp_gt_u32_e32 vcc, s33, v28
	s_and_saveexec_b64 s[2:3], vcc
	s_cbranch_execz .LBB3480_86
.LBB3480_96:
	v_cmp_ge_u32_e32 vcc, v28, v24
                                        ; implicit-def: $vgpr10_vgpr11
	s_and_saveexec_b64 s[4:5], vcc
	s_xor_b64 s[4:5], exec, s[4:5]
	s_cbranch_execz .LBB3480_98
; %bb.97:
	s_waitcnt lgkmcnt(2)
	v_sub_u32_e32 v10, 0xfffffcff, v0
	v_ashrrev_i32_e32 v11, 31, v10
	v_lshl_add_u64 v[10:11], v[18:19], 0, v[10:11]
                                        ; implicit-def: $vgpr28_vgpr29
.LBB3480_98:
	s_andn2_saveexec_b64 s[4:5], s[4:5]
	s_cbranch_execz .LBB3480_100
; %bb.99:
	s_waitcnt lgkmcnt(2)
	v_lshl_add_u64 v[10:11], v[20:21], 0, v[28:29]
.LBB3480_100:
	s_or_b64 exec, exec, s[4:5]
	s_waitcnt lgkmcnt(2)
	v_lshl_add_u64 v[10:11], v[10:11], 4, s[22:23]
	s_waitcnt lgkmcnt(1)
	global_store_dwordx4 v[10:11], v[6:9], off
	s_or_b64 exec, exec, s[2:3]
	v_cmp_gt_u32_e32 vcc, s33, v26
                                        ; implicit-def: $vgpr22_vgpr23
	s_and_saveexec_b64 s[2:3], vcc
	s_cbranch_execz .LBB3480_87
.LBB3480_101:
	v_cmp_ge_u32_e32 vcc, v26, v24
                                        ; implicit-def: $vgpr22_vgpr23
	s_and_saveexec_b64 s[4:5], vcc
	s_xor_b64 s[4:5], exec, s[4:5]
; %bb.102:
	v_sub_u32_e32 v0, 0xfffffb7f, v0
	v_ashrrev_i32_e32 v1, 31, v0
	v_lshl_add_u64 v[22:23], v[18:19], 0, v[0:1]
                                        ; implicit-def: $vgpr26_vgpr27
; %bb.103:
	s_andn2_saveexec_b64 s[4:5], s[4:5]
; %bb.104:
	v_lshl_add_u64 v[22:23], v[20:21], 0, v[26:27]
; %bb.105:
	s_or_b64 exec, exec, s[4:5]
	s_or_b64 s[0:1], s[0:1], exec
	s_or_b64 exec, exec, s[2:3]
	s_and_saveexec_b64 s[2:3], s[0:1]
	s_cbranch_execnz .LBB3480_76
	s_branch .LBB3480_88
	.section	.rodata,"a",@progbits
	.p2align	6, 0x0
	.amdhsa_kernel _ZN7rocprim17ROCPRIM_400000_NS6detail17trampoline_kernelINS0_14default_configENS1_25partition_config_selectorILNS1_17partition_subalgoE3EN6thrust23THRUST_200600_302600_NS5tupleIxxNS7_9null_typeES9_S9_S9_S9_S9_S9_S9_EENS0_10empty_typeEbEEZZNS1_14partition_implILS5_3ELb0ES3_jNS7_6detail15normal_iteratorINS7_7pointerISA_NS7_11hip_rocprim3tagENS7_11use_defaultESJ_EEEEPSB_SM_NS0_5tupleIJPSA_SM_EEENSN_IJSM_SM_EEESB_PlJ10is_orderedEEE10hipError_tPvRmT3_T4_T5_T6_T7_T9_mT8_P12ihipStream_tbDpT10_ENKUlT_T0_E_clISt17integral_constantIbLb0EES1B_IbLb1EEEEDaS17_S18_EUlS17_E_NS1_11comp_targetILNS1_3genE5ELNS1_11target_archE942ELNS1_3gpuE9ELNS1_3repE0EEENS1_30default_config_static_selectorELNS0_4arch9wavefront6targetE1EEEvT1_
		.amdhsa_group_segment_fixed_size 25352
		.amdhsa_private_segment_fixed_size 0
		.amdhsa_kernarg_size 136
		.amdhsa_user_sgpr_count 2
		.amdhsa_user_sgpr_dispatch_ptr 0
		.amdhsa_user_sgpr_queue_ptr 0
		.amdhsa_user_sgpr_kernarg_segment_ptr 1
		.amdhsa_user_sgpr_dispatch_id 0
		.amdhsa_user_sgpr_kernarg_preload_length 0
		.amdhsa_user_sgpr_kernarg_preload_offset 0
		.amdhsa_user_sgpr_private_segment_size 0
		.amdhsa_uses_dynamic_stack 0
		.amdhsa_enable_private_segment 0
		.amdhsa_system_sgpr_workgroup_id_x 1
		.amdhsa_system_sgpr_workgroup_id_y 0
		.amdhsa_system_sgpr_workgroup_id_z 0
		.amdhsa_system_sgpr_workgroup_info 0
		.amdhsa_system_vgpr_workitem_id 0
		.amdhsa_next_free_vgpr 55
		.amdhsa_next_free_sgpr 46
		.amdhsa_accum_offset 56
		.amdhsa_reserve_vcc 1
		.amdhsa_float_round_mode_32 0
		.amdhsa_float_round_mode_16_64 0
		.amdhsa_float_denorm_mode_32 3
		.amdhsa_float_denorm_mode_16_64 3
		.amdhsa_dx10_clamp 1
		.amdhsa_ieee_mode 1
		.amdhsa_fp16_overflow 0
		.amdhsa_tg_split 0
		.amdhsa_exception_fp_ieee_invalid_op 0
		.amdhsa_exception_fp_denorm_src 0
		.amdhsa_exception_fp_ieee_div_zero 0
		.amdhsa_exception_fp_ieee_overflow 0
		.amdhsa_exception_fp_ieee_underflow 0
		.amdhsa_exception_fp_ieee_inexact 0
		.amdhsa_exception_int_div_zero 0
	.end_amdhsa_kernel
	.section	.text._ZN7rocprim17ROCPRIM_400000_NS6detail17trampoline_kernelINS0_14default_configENS1_25partition_config_selectorILNS1_17partition_subalgoE3EN6thrust23THRUST_200600_302600_NS5tupleIxxNS7_9null_typeES9_S9_S9_S9_S9_S9_S9_EENS0_10empty_typeEbEEZZNS1_14partition_implILS5_3ELb0ES3_jNS7_6detail15normal_iteratorINS7_7pointerISA_NS7_11hip_rocprim3tagENS7_11use_defaultESJ_EEEEPSB_SM_NS0_5tupleIJPSA_SM_EEENSN_IJSM_SM_EEESB_PlJ10is_orderedEEE10hipError_tPvRmT3_T4_T5_T6_T7_T9_mT8_P12ihipStream_tbDpT10_ENKUlT_T0_E_clISt17integral_constantIbLb0EES1B_IbLb1EEEEDaS17_S18_EUlS17_E_NS1_11comp_targetILNS1_3genE5ELNS1_11target_archE942ELNS1_3gpuE9ELNS1_3repE0EEENS1_30default_config_static_selectorELNS0_4arch9wavefront6targetE1EEEvT1_,"axG",@progbits,_ZN7rocprim17ROCPRIM_400000_NS6detail17trampoline_kernelINS0_14default_configENS1_25partition_config_selectorILNS1_17partition_subalgoE3EN6thrust23THRUST_200600_302600_NS5tupleIxxNS7_9null_typeES9_S9_S9_S9_S9_S9_S9_EENS0_10empty_typeEbEEZZNS1_14partition_implILS5_3ELb0ES3_jNS7_6detail15normal_iteratorINS7_7pointerISA_NS7_11hip_rocprim3tagENS7_11use_defaultESJ_EEEEPSB_SM_NS0_5tupleIJPSA_SM_EEENSN_IJSM_SM_EEESB_PlJ10is_orderedEEE10hipError_tPvRmT3_T4_T5_T6_T7_T9_mT8_P12ihipStream_tbDpT10_ENKUlT_T0_E_clISt17integral_constantIbLb0EES1B_IbLb1EEEEDaS17_S18_EUlS17_E_NS1_11comp_targetILNS1_3genE5ELNS1_11target_archE942ELNS1_3gpuE9ELNS1_3repE0EEENS1_30default_config_static_selectorELNS0_4arch9wavefront6targetE1EEEvT1_,comdat
.Lfunc_end3480:
	.size	_ZN7rocprim17ROCPRIM_400000_NS6detail17trampoline_kernelINS0_14default_configENS1_25partition_config_selectorILNS1_17partition_subalgoE3EN6thrust23THRUST_200600_302600_NS5tupleIxxNS7_9null_typeES9_S9_S9_S9_S9_S9_S9_EENS0_10empty_typeEbEEZZNS1_14partition_implILS5_3ELb0ES3_jNS7_6detail15normal_iteratorINS7_7pointerISA_NS7_11hip_rocprim3tagENS7_11use_defaultESJ_EEEEPSB_SM_NS0_5tupleIJPSA_SM_EEENSN_IJSM_SM_EEESB_PlJ10is_orderedEEE10hipError_tPvRmT3_T4_T5_T6_T7_T9_mT8_P12ihipStream_tbDpT10_ENKUlT_T0_E_clISt17integral_constantIbLb0EES1B_IbLb1EEEEDaS17_S18_EUlS17_E_NS1_11comp_targetILNS1_3genE5ELNS1_11target_archE942ELNS1_3gpuE9ELNS1_3repE0EEENS1_30default_config_static_selectorELNS0_4arch9wavefront6targetE1EEEvT1_, .Lfunc_end3480-_ZN7rocprim17ROCPRIM_400000_NS6detail17trampoline_kernelINS0_14default_configENS1_25partition_config_selectorILNS1_17partition_subalgoE3EN6thrust23THRUST_200600_302600_NS5tupleIxxNS7_9null_typeES9_S9_S9_S9_S9_S9_S9_EENS0_10empty_typeEbEEZZNS1_14partition_implILS5_3ELb0ES3_jNS7_6detail15normal_iteratorINS7_7pointerISA_NS7_11hip_rocprim3tagENS7_11use_defaultESJ_EEEEPSB_SM_NS0_5tupleIJPSA_SM_EEENSN_IJSM_SM_EEESB_PlJ10is_orderedEEE10hipError_tPvRmT3_T4_T5_T6_T7_T9_mT8_P12ihipStream_tbDpT10_ENKUlT_T0_E_clISt17integral_constantIbLb0EES1B_IbLb1EEEEDaS17_S18_EUlS17_E_NS1_11comp_targetILNS1_3genE5ELNS1_11target_archE942ELNS1_3gpuE9ELNS1_3repE0EEENS1_30default_config_static_selectorELNS0_4arch9wavefront6targetE1EEEvT1_
                                        ; -- End function
	.section	.AMDGPU.csdata,"",@progbits
; Kernel info:
; codeLenInByte = 4332
; NumSgprs: 52
; NumVgprs: 55
; NumAgprs: 0
; TotalNumVgprs: 55
; ScratchSize: 0
; MemoryBound: 1
; FloatMode: 240
; IeeeMode: 1
; LDSByteSize: 25352 bytes/workgroup (compile time only)
; SGPRBlocks: 6
; VGPRBlocks: 6
; NumSGPRsForWavesPerEU: 52
; NumVGPRsForWavesPerEU: 55
; AccumOffset: 56
; Occupancy: 3
; WaveLimiterHint : 1
; COMPUTE_PGM_RSRC2:SCRATCH_EN: 0
; COMPUTE_PGM_RSRC2:USER_SGPR: 2
; COMPUTE_PGM_RSRC2:TRAP_HANDLER: 0
; COMPUTE_PGM_RSRC2:TGID_X_EN: 1
; COMPUTE_PGM_RSRC2:TGID_Y_EN: 0
; COMPUTE_PGM_RSRC2:TGID_Z_EN: 0
; COMPUTE_PGM_RSRC2:TIDIG_COMP_CNT: 0
; COMPUTE_PGM_RSRC3_GFX90A:ACCUM_OFFSET: 13
; COMPUTE_PGM_RSRC3_GFX90A:TG_SPLIT: 0
	.section	.text._ZN7rocprim17ROCPRIM_400000_NS6detail17trampoline_kernelINS0_14default_configENS1_25partition_config_selectorILNS1_17partition_subalgoE3EN6thrust23THRUST_200600_302600_NS5tupleIxxNS7_9null_typeES9_S9_S9_S9_S9_S9_S9_EENS0_10empty_typeEbEEZZNS1_14partition_implILS5_3ELb0ES3_jNS7_6detail15normal_iteratorINS7_7pointerISA_NS7_11hip_rocprim3tagENS7_11use_defaultESJ_EEEEPSB_SM_NS0_5tupleIJPSA_SM_EEENSN_IJSM_SM_EEESB_PlJ10is_orderedEEE10hipError_tPvRmT3_T4_T5_T6_T7_T9_mT8_P12ihipStream_tbDpT10_ENKUlT_T0_E_clISt17integral_constantIbLb0EES1B_IbLb1EEEEDaS17_S18_EUlS17_E_NS1_11comp_targetILNS1_3genE4ELNS1_11target_archE910ELNS1_3gpuE8ELNS1_3repE0EEENS1_30default_config_static_selectorELNS0_4arch9wavefront6targetE1EEEvT1_,"axG",@progbits,_ZN7rocprim17ROCPRIM_400000_NS6detail17trampoline_kernelINS0_14default_configENS1_25partition_config_selectorILNS1_17partition_subalgoE3EN6thrust23THRUST_200600_302600_NS5tupleIxxNS7_9null_typeES9_S9_S9_S9_S9_S9_S9_EENS0_10empty_typeEbEEZZNS1_14partition_implILS5_3ELb0ES3_jNS7_6detail15normal_iteratorINS7_7pointerISA_NS7_11hip_rocprim3tagENS7_11use_defaultESJ_EEEEPSB_SM_NS0_5tupleIJPSA_SM_EEENSN_IJSM_SM_EEESB_PlJ10is_orderedEEE10hipError_tPvRmT3_T4_T5_T6_T7_T9_mT8_P12ihipStream_tbDpT10_ENKUlT_T0_E_clISt17integral_constantIbLb0EES1B_IbLb1EEEEDaS17_S18_EUlS17_E_NS1_11comp_targetILNS1_3genE4ELNS1_11target_archE910ELNS1_3gpuE8ELNS1_3repE0EEENS1_30default_config_static_selectorELNS0_4arch9wavefront6targetE1EEEvT1_,comdat
	.protected	_ZN7rocprim17ROCPRIM_400000_NS6detail17trampoline_kernelINS0_14default_configENS1_25partition_config_selectorILNS1_17partition_subalgoE3EN6thrust23THRUST_200600_302600_NS5tupleIxxNS7_9null_typeES9_S9_S9_S9_S9_S9_S9_EENS0_10empty_typeEbEEZZNS1_14partition_implILS5_3ELb0ES3_jNS7_6detail15normal_iteratorINS7_7pointerISA_NS7_11hip_rocprim3tagENS7_11use_defaultESJ_EEEEPSB_SM_NS0_5tupleIJPSA_SM_EEENSN_IJSM_SM_EEESB_PlJ10is_orderedEEE10hipError_tPvRmT3_T4_T5_T6_T7_T9_mT8_P12ihipStream_tbDpT10_ENKUlT_T0_E_clISt17integral_constantIbLb0EES1B_IbLb1EEEEDaS17_S18_EUlS17_E_NS1_11comp_targetILNS1_3genE4ELNS1_11target_archE910ELNS1_3gpuE8ELNS1_3repE0EEENS1_30default_config_static_selectorELNS0_4arch9wavefront6targetE1EEEvT1_ ; -- Begin function _ZN7rocprim17ROCPRIM_400000_NS6detail17trampoline_kernelINS0_14default_configENS1_25partition_config_selectorILNS1_17partition_subalgoE3EN6thrust23THRUST_200600_302600_NS5tupleIxxNS7_9null_typeES9_S9_S9_S9_S9_S9_S9_EENS0_10empty_typeEbEEZZNS1_14partition_implILS5_3ELb0ES3_jNS7_6detail15normal_iteratorINS7_7pointerISA_NS7_11hip_rocprim3tagENS7_11use_defaultESJ_EEEEPSB_SM_NS0_5tupleIJPSA_SM_EEENSN_IJSM_SM_EEESB_PlJ10is_orderedEEE10hipError_tPvRmT3_T4_T5_T6_T7_T9_mT8_P12ihipStream_tbDpT10_ENKUlT_T0_E_clISt17integral_constantIbLb0EES1B_IbLb1EEEEDaS17_S18_EUlS17_E_NS1_11comp_targetILNS1_3genE4ELNS1_11target_archE910ELNS1_3gpuE8ELNS1_3repE0EEENS1_30default_config_static_selectorELNS0_4arch9wavefront6targetE1EEEvT1_
	.globl	_ZN7rocprim17ROCPRIM_400000_NS6detail17trampoline_kernelINS0_14default_configENS1_25partition_config_selectorILNS1_17partition_subalgoE3EN6thrust23THRUST_200600_302600_NS5tupleIxxNS7_9null_typeES9_S9_S9_S9_S9_S9_S9_EENS0_10empty_typeEbEEZZNS1_14partition_implILS5_3ELb0ES3_jNS7_6detail15normal_iteratorINS7_7pointerISA_NS7_11hip_rocprim3tagENS7_11use_defaultESJ_EEEEPSB_SM_NS0_5tupleIJPSA_SM_EEENSN_IJSM_SM_EEESB_PlJ10is_orderedEEE10hipError_tPvRmT3_T4_T5_T6_T7_T9_mT8_P12ihipStream_tbDpT10_ENKUlT_T0_E_clISt17integral_constantIbLb0EES1B_IbLb1EEEEDaS17_S18_EUlS17_E_NS1_11comp_targetILNS1_3genE4ELNS1_11target_archE910ELNS1_3gpuE8ELNS1_3repE0EEENS1_30default_config_static_selectorELNS0_4arch9wavefront6targetE1EEEvT1_
	.p2align	8
	.type	_ZN7rocprim17ROCPRIM_400000_NS6detail17trampoline_kernelINS0_14default_configENS1_25partition_config_selectorILNS1_17partition_subalgoE3EN6thrust23THRUST_200600_302600_NS5tupleIxxNS7_9null_typeES9_S9_S9_S9_S9_S9_S9_EENS0_10empty_typeEbEEZZNS1_14partition_implILS5_3ELb0ES3_jNS7_6detail15normal_iteratorINS7_7pointerISA_NS7_11hip_rocprim3tagENS7_11use_defaultESJ_EEEEPSB_SM_NS0_5tupleIJPSA_SM_EEENSN_IJSM_SM_EEESB_PlJ10is_orderedEEE10hipError_tPvRmT3_T4_T5_T6_T7_T9_mT8_P12ihipStream_tbDpT10_ENKUlT_T0_E_clISt17integral_constantIbLb0EES1B_IbLb1EEEEDaS17_S18_EUlS17_E_NS1_11comp_targetILNS1_3genE4ELNS1_11target_archE910ELNS1_3gpuE8ELNS1_3repE0EEENS1_30default_config_static_selectorELNS0_4arch9wavefront6targetE1EEEvT1_,@function
_ZN7rocprim17ROCPRIM_400000_NS6detail17trampoline_kernelINS0_14default_configENS1_25partition_config_selectorILNS1_17partition_subalgoE3EN6thrust23THRUST_200600_302600_NS5tupleIxxNS7_9null_typeES9_S9_S9_S9_S9_S9_S9_EENS0_10empty_typeEbEEZZNS1_14partition_implILS5_3ELb0ES3_jNS7_6detail15normal_iteratorINS7_7pointerISA_NS7_11hip_rocprim3tagENS7_11use_defaultESJ_EEEEPSB_SM_NS0_5tupleIJPSA_SM_EEENSN_IJSM_SM_EEESB_PlJ10is_orderedEEE10hipError_tPvRmT3_T4_T5_T6_T7_T9_mT8_P12ihipStream_tbDpT10_ENKUlT_T0_E_clISt17integral_constantIbLb0EES1B_IbLb1EEEEDaS17_S18_EUlS17_E_NS1_11comp_targetILNS1_3genE4ELNS1_11target_archE910ELNS1_3gpuE8ELNS1_3repE0EEENS1_30default_config_static_selectorELNS0_4arch9wavefront6targetE1EEEvT1_: ; @_ZN7rocprim17ROCPRIM_400000_NS6detail17trampoline_kernelINS0_14default_configENS1_25partition_config_selectorILNS1_17partition_subalgoE3EN6thrust23THRUST_200600_302600_NS5tupleIxxNS7_9null_typeES9_S9_S9_S9_S9_S9_S9_EENS0_10empty_typeEbEEZZNS1_14partition_implILS5_3ELb0ES3_jNS7_6detail15normal_iteratorINS7_7pointerISA_NS7_11hip_rocprim3tagENS7_11use_defaultESJ_EEEEPSB_SM_NS0_5tupleIJPSA_SM_EEENSN_IJSM_SM_EEESB_PlJ10is_orderedEEE10hipError_tPvRmT3_T4_T5_T6_T7_T9_mT8_P12ihipStream_tbDpT10_ENKUlT_T0_E_clISt17integral_constantIbLb0EES1B_IbLb1EEEEDaS17_S18_EUlS17_E_NS1_11comp_targetILNS1_3genE4ELNS1_11target_archE910ELNS1_3gpuE8ELNS1_3repE0EEENS1_30default_config_static_selectorELNS0_4arch9wavefront6targetE1EEEvT1_
; %bb.0:
	.section	.rodata,"a",@progbits
	.p2align	6, 0x0
	.amdhsa_kernel _ZN7rocprim17ROCPRIM_400000_NS6detail17trampoline_kernelINS0_14default_configENS1_25partition_config_selectorILNS1_17partition_subalgoE3EN6thrust23THRUST_200600_302600_NS5tupleIxxNS7_9null_typeES9_S9_S9_S9_S9_S9_S9_EENS0_10empty_typeEbEEZZNS1_14partition_implILS5_3ELb0ES3_jNS7_6detail15normal_iteratorINS7_7pointerISA_NS7_11hip_rocprim3tagENS7_11use_defaultESJ_EEEEPSB_SM_NS0_5tupleIJPSA_SM_EEENSN_IJSM_SM_EEESB_PlJ10is_orderedEEE10hipError_tPvRmT3_T4_T5_T6_T7_T9_mT8_P12ihipStream_tbDpT10_ENKUlT_T0_E_clISt17integral_constantIbLb0EES1B_IbLb1EEEEDaS17_S18_EUlS17_E_NS1_11comp_targetILNS1_3genE4ELNS1_11target_archE910ELNS1_3gpuE8ELNS1_3repE0EEENS1_30default_config_static_selectorELNS0_4arch9wavefront6targetE1EEEvT1_
		.amdhsa_group_segment_fixed_size 0
		.amdhsa_private_segment_fixed_size 0
		.amdhsa_kernarg_size 136
		.amdhsa_user_sgpr_count 2
		.amdhsa_user_sgpr_dispatch_ptr 0
		.amdhsa_user_sgpr_queue_ptr 0
		.amdhsa_user_sgpr_kernarg_segment_ptr 1
		.amdhsa_user_sgpr_dispatch_id 0
		.amdhsa_user_sgpr_kernarg_preload_length 0
		.amdhsa_user_sgpr_kernarg_preload_offset 0
		.amdhsa_user_sgpr_private_segment_size 0
		.amdhsa_uses_dynamic_stack 0
		.amdhsa_enable_private_segment 0
		.amdhsa_system_sgpr_workgroup_id_x 1
		.amdhsa_system_sgpr_workgroup_id_y 0
		.amdhsa_system_sgpr_workgroup_id_z 0
		.amdhsa_system_sgpr_workgroup_info 0
		.amdhsa_system_vgpr_workitem_id 0
		.amdhsa_next_free_vgpr 1
		.amdhsa_next_free_sgpr 0
		.amdhsa_accum_offset 4
		.amdhsa_reserve_vcc 0
		.amdhsa_float_round_mode_32 0
		.amdhsa_float_round_mode_16_64 0
		.amdhsa_float_denorm_mode_32 3
		.amdhsa_float_denorm_mode_16_64 3
		.amdhsa_dx10_clamp 1
		.amdhsa_ieee_mode 1
		.amdhsa_fp16_overflow 0
		.amdhsa_tg_split 0
		.amdhsa_exception_fp_ieee_invalid_op 0
		.amdhsa_exception_fp_denorm_src 0
		.amdhsa_exception_fp_ieee_div_zero 0
		.amdhsa_exception_fp_ieee_overflow 0
		.amdhsa_exception_fp_ieee_underflow 0
		.amdhsa_exception_fp_ieee_inexact 0
		.amdhsa_exception_int_div_zero 0
	.end_amdhsa_kernel
	.section	.text._ZN7rocprim17ROCPRIM_400000_NS6detail17trampoline_kernelINS0_14default_configENS1_25partition_config_selectorILNS1_17partition_subalgoE3EN6thrust23THRUST_200600_302600_NS5tupleIxxNS7_9null_typeES9_S9_S9_S9_S9_S9_S9_EENS0_10empty_typeEbEEZZNS1_14partition_implILS5_3ELb0ES3_jNS7_6detail15normal_iteratorINS7_7pointerISA_NS7_11hip_rocprim3tagENS7_11use_defaultESJ_EEEEPSB_SM_NS0_5tupleIJPSA_SM_EEENSN_IJSM_SM_EEESB_PlJ10is_orderedEEE10hipError_tPvRmT3_T4_T5_T6_T7_T9_mT8_P12ihipStream_tbDpT10_ENKUlT_T0_E_clISt17integral_constantIbLb0EES1B_IbLb1EEEEDaS17_S18_EUlS17_E_NS1_11comp_targetILNS1_3genE4ELNS1_11target_archE910ELNS1_3gpuE8ELNS1_3repE0EEENS1_30default_config_static_selectorELNS0_4arch9wavefront6targetE1EEEvT1_,"axG",@progbits,_ZN7rocprim17ROCPRIM_400000_NS6detail17trampoline_kernelINS0_14default_configENS1_25partition_config_selectorILNS1_17partition_subalgoE3EN6thrust23THRUST_200600_302600_NS5tupleIxxNS7_9null_typeES9_S9_S9_S9_S9_S9_S9_EENS0_10empty_typeEbEEZZNS1_14partition_implILS5_3ELb0ES3_jNS7_6detail15normal_iteratorINS7_7pointerISA_NS7_11hip_rocprim3tagENS7_11use_defaultESJ_EEEEPSB_SM_NS0_5tupleIJPSA_SM_EEENSN_IJSM_SM_EEESB_PlJ10is_orderedEEE10hipError_tPvRmT3_T4_T5_T6_T7_T9_mT8_P12ihipStream_tbDpT10_ENKUlT_T0_E_clISt17integral_constantIbLb0EES1B_IbLb1EEEEDaS17_S18_EUlS17_E_NS1_11comp_targetILNS1_3genE4ELNS1_11target_archE910ELNS1_3gpuE8ELNS1_3repE0EEENS1_30default_config_static_selectorELNS0_4arch9wavefront6targetE1EEEvT1_,comdat
.Lfunc_end3481:
	.size	_ZN7rocprim17ROCPRIM_400000_NS6detail17trampoline_kernelINS0_14default_configENS1_25partition_config_selectorILNS1_17partition_subalgoE3EN6thrust23THRUST_200600_302600_NS5tupleIxxNS7_9null_typeES9_S9_S9_S9_S9_S9_S9_EENS0_10empty_typeEbEEZZNS1_14partition_implILS5_3ELb0ES3_jNS7_6detail15normal_iteratorINS7_7pointerISA_NS7_11hip_rocprim3tagENS7_11use_defaultESJ_EEEEPSB_SM_NS0_5tupleIJPSA_SM_EEENSN_IJSM_SM_EEESB_PlJ10is_orderedEEE10hipError_tPvRmT3_T4_T5_T6_T7_T9_mT8_P12ihipStream_tbDpT10_ENKUlT_T0_E_clISt17integral_constantIbLb0EES1B_IbLb1EEEEDaS17_S18_EUlS17_E_NS1_11comp_targetILNS1_3genE4ELNS1_11target_archE910ELNS1_3gpuE8ELNS1_3repE0EEENS1_30default_config_static_selectorELNS0_4arch9wavefront6targetE1EEEvT1_, .Lfunc_end3481-_ZN7rocprim17ROCPRIM_400000_NS6detail17trampoline_kernelINS0_14default_configENS1_25partition_config_selectorILNS1_17partition_subalgoE3EN6thrust23THRUST_200600_302600_NS5tupleIxxNS7_9null_typeES9_S9_S9_S9_S9_S9_S9_EENS0_10empty_typeEbEEZZNS1_14partition_implILS5_3ELb0ES3_jNS7_6detail15normal_iteratorINS7_7pointerISA_NS7_11hip_rocprim3tagENS7_11use_defaultESJ_EEEEPSB_SM_NS0_5tupleIJPSA_SM_EEENSN_IJSM_SM_EEESB_PlJ10is_orderedEEE10hipError_tPvRmT3_T4_T5_T6_T7_T9_mT8_P12ihipStream_tbDpT10_ENKUlT_T0_E_clISt17integral_constantIbLb0EES1B_IbLb1EEEEDaS17_S18_EUlS17_E_NS1_11comp_targetILNS1_3genE4ELNS1_11target_archE910ELNS1_3gpuE8ELNS1_3repE0EEENS1_30default_config_static_selectorELNS0_4arch9wavefront6targetE1EEEvT1_
                                        ; -- End function
	.section	.AMDGPU.csdata,"",@progbits
; Kernel info:
; codeLenInByte = 0
; NumSgprs: 6
; NumVgprs: 0
; NumAgprs: 0
; TotalNumVgprs: 0
; ScratchSize: 0
; MemoryBound: 0
; FloatMode: 240
; IeeeMode: 1
; LDSByteSize: 0 bytes/workgroup (compile time only)
; SGPRBlocks: 0
; VGPRBlocks: 0
; NumSGPRsForWavesPerEU: 6
; NumVGPRsForWavesPerEU: 1
; AccumOffset: 4
; Occupancy: 8
; WaveLimiterHint : 0
; COMPUTE_PGM_RSRC2:SCRATCH_EN: 0
; COMPUTE_PGM_RSRC2:USER_SGPR: 2
; COMPUTE_PGM_RSRC2:TRAP_HANDLER: 0
; COMPUTE_PGM_RSRC2:TGID_X_EN: 1
; COMPUTE_PGM_RSRC2:TGID_Y_EN: 0
; COMPUTE_PGM_RSRC2:TGID_Z_EN: 0
; COMPUTE_PGM_RSRC2:TIDIG_COMP_CNT: 0
; COMPUTE_PGM_RSRC3_GFX90A:ACCUM_OFFSET: 0
; COMPUTE_PGM_RSRC3_GFX90A:TG_SPLIT: 0
	.section	.text._ZN7rocprim17ROCPRIM_400000_NS6detail17trampoline_kernelINS0_14default_configENS1_25partition_config_selectorILNS1_17partition_subalgoE3EN6thrust23THRUST_200600_302600_NS5tupleIxxNS7_9null_typeES9_S9_S9_S9_S9_S9_S9_EENS0_10empty_typeEbEEZZNS1_14partition_implILS5_3ELb0ES3_jNS7_6detail15normal_iteratorINS7_7pointerISA_NS7_11hip_rocprim3tagENS7_11use_defaultESJ_EEEEPSB_SM_NS0_5tupleIJPSA_SM_EEENSN_IJSM_SM_EEESB_PlJ10is_orderedEEE10hipError_tPvRmT3_T4_T5_T6_T7_T9_mT8_P12ihipStream_tbDpT10_ENKUlT_T0_E_clISt17integral_constantIbLb0EES1B_IbLb1EEEEDaS17_S18_EUlS17_E_NS1_11comp_targetILNS1_3genE3ELNS1_11target_archE908ELNS1_3gpuE7ELNS1_3repE0EEENS1_30default_config_static_selectorELNS0_4arch9wavefront6targetE1EEEvT1_,"axG",@progbits,_ZN7rocprim17ROCPRIM_400000_NS6detail17trampoline_kernelINS0_14default_configENS1_25partition_config_selectorILNS1_17partition_subalgoE3EN6thrust23THRUST_200600_302600_NS5tupleIxxNS7_9null_typeES9_S9_S9_S9_S9_S9_S9_EENS0_10empty_typeEbEEZZNS1_14partition_implILS5_3ELb0ES3_jNS7_6detail15normal_iteratorINS7_7pointerISA_NS7_11hip_rocprim3tagENS7_11use_defaultESJ_EEEEPSB_SM_NS0_5tupleIJPSA_SM_EEENSN_IJSM_SM_EEESB_PlJ10is_orderedEEE10hipError_tPvRmT3_T4_T5_T6_T7_T9_mT8_P12ihipStream_tbDpT10_ENKUlT_T0_E_clISt17integral_constantIbLb0EES1B_IbLb1EEEEDaS17_S18_EUlS17_E_NS1_11comp_targetILNS1_3genE3ELNS1_11target_archE908ELNS1_3gpuE7ELNS1_3repE0EEENS1_30default_config_static_selectorELNS0_4arch9wavefront6targetE1EEEvT1_,comdat
	.protected	_ZN7rocprim17ROCPRIM_400000_NS6detail17trampoline_kernelINS0_14default_configENS1_25partition_config_selectorILNS1_17partition_subalgoE3EN6thrust23THRUST_200600_302600_NS5tupleIxxNS7_9null_typeES9_S9_S9_S9_S9_S9_S9_EENS0_10empty_typeEbEEZZNS1_14partition_implILS5_3ELb0ES3_jNS7_6detail15normal_iteratorINS7_7pointerISA_NS7_11hip_rocprim3tagENS7_11use_defaultESJ_EEEEPSB_SM_NS0_5tupleIJPSA_SM_EEENSN_IJSM_SM_EEESB_PlJ10is_orderedEEE10hipError_tPvRmT3_T4_T5_T6_T7_T9_mT8_P12ihipStream_tbDpT10_ENKUlT_T0_E_clISt17integral_constantIbLb0EES1B_IbLb1EEEEDaS17_S18_EUlS17_E_NS1_11comp_targetILNS1_3genE3ELNS1_11target_archE908ELNS1_3gpuE7ELNS1_3repE0EEENS1_30default_config_static_selectorELNS0_4arch9wavefront6targetE1EEEvT1_ ; -- Begin function _ZN7rocprim17ROCPRIM_400000_NS6detail17trampoline_kernelINS0_14default_configENS1_25partition_config_selectorILNS1_17partition_subalgoE3EN6thrust23THRUST_200600_302600_NS5tupleIxxNS7_9null_typeES9_S9_S9_S9_S9_S9_S9_EENS0_10empty_typeEbEEZZNS1_14partition_implILS5_3ELb0ES3_jNS7_6detail15normal_iteratorINS7_7pointerISA_NS7_11hip_rocprim3tagENS7_11use_defaultESJ_EEEEPSB_SM_NS0_5tupleIJPSA_SM_EEENSN_IJSM_SM_EEESB_PlJ10is_orderedEEE10hipError_tPvRmT3_T4_T5_T6_T7_T9_mT8_P12ihipStream_tbDpT10_ENKUlT_T0_E_clISt17integral_constantIbLb0EES1B_IbLb1EEEEDaS17_S18_EUlS17_E_NS1_11comp_targetILNS1_3genE3ELNS1_11target_archE908ELNS1_3gpuE7ELNS1_3repE0EEENS1_30default_config_static_selectorELNS0_4arch9wavefront6targetE1EEEvT1_
	.globl	_ZN7rocprim17ROCPRIM_400000_NS6detail17trampoline_kernelINS0_14default_configENS1_25partition_config_selectorILNS1_17partition_subalgoE3EN6thrust23THRUST_200600_302600_NS5tupleIxxNS7_9null_typeES9_S9_S9_S9_S9_S9_S9_EENS0_10empty_typeEbEEZZNS1_14partition_implILS5_3ELb0ES3_jNS7_6detail15normal_iteratorINS7_7pointerISA_NS7_11hip_rocprim3tagENS7_11use_defaultESJ_EEEEPSB_SM_NS0_5tupleIJPSA_SM_EEENSN_IJSM_SM_EEESB_PlJ10is_orderedEEE10hipError_tPvRmT3_T4_T5_T6_T7_T9_mT8_P12ihipStream_tbDpT10_ENKUlT_T0_E_clISt17integral_constantIbLb0EES1B_IbLb1EEEEDaS17_S18_EUlS17_E_NS1_11comp_targetILNS1_3genE3ELNS1_11target_archE908ELNS1_3gpuE7ELNS1_3repE0EEENS1_30default_config_static_selectorELNS0_4arch9wavefront6targetE1EEEvT1_
	.p2align	8
	.type	_ZN7rocprim17ROCPRIM_400000_NS6detail17trampoline_kernelINS0_14default_configENS1_25partition_config_selectorILNS1_17partition_subalgoE3EN6thrust23THRUST_200600_302600_NS5tupleIxxNS7_9null_typeES9_S9_S9_S9_S9_S9_S9_EENS0_10empty_typeEbEEZZNS1_14partition_implILS5_3ELb0ES3_jNS7_6detail15normal_iteratorINS7_7pointerISA_NS7_11hip_rocprim3tagENS7_11use_defaultESJ_EEEEPSB_SM_NS0_5tupleIJPSA_SM_EEENSN_IJSM_SM_EEESB_PlJ10is_orderedEEE10hipError_tPvRmT3_T4_T5_T6_T7_T9_mT8_P12ihipStream_tbDpT10_ENKUlT_T0_E_clISt17integral_constantIbLb0EES1B_IbLb1EEEEDaS17_S18_EUlS17_E_NS1_11comp_targetILNS1_3genE3ELNS1_11target_archE908ELNS1_3gpuE7ELNS1_3repE0EEENS1_30default_config_static_selectorELNS0_4arch9wavefront6targetE1EEEvT1_,@function
_ZN7rocprim17ROCPRIM_400000_NS6detail17trampoline_kernelINS0_14default_configENS1_25partition_config_selectorILNS1_17partition_subalgoE3EN6thrust23THRUST_200600_302600_NS5tupleIxxNS7_9null_typeES9_S9_S9_S9_S9_S9_S9_EENS0_10empty_typeEbEEZZNS1_14partition_implILS5_3ELb0ES3_jNS7_6detail15normal_iteratorINS7_7pointerISA_NS7_11hip_rocprim3tagENS7_11use_defaultESJ_EEEEPSB_SM_NS0_5tupleIJPSA_SM_EEENSN_IJSM_SM_EEESB_PlJ10is_orderedEEE10hipError_tPvRmT3_T4_T5_T6_T7_T9_mT8_P12ihipStream_tbDpT10_ENKUlT_T0_E_clISt17integral_constantIbLb0EES1B_IbLb1EEEEDaS17_S18_EUlS17_E_NS1_11comp_targetILNS1_3genE3ELNS1_11target_archE908ELNS1_3gpuE7ELNS1_3repE0EEENS1_30default_config_static_selectorELNS0_4arch9wavefront6targetE1EEEvT1_: ; @_ZN7rocprim17ROCPRIM_400000_NS6detail17trampoline_kernelINS0_14default_configENS1_25partition_config_selectorILNS1_17partition_subalgoE3EN6thrust23THRUST_200600_302600_NS5tupleIxxNS7_9null_typeES9_S9_S9_S9_S9_S9_S9_EENS0_10empty_typeEbEEZZNS1_14partition_implILS5_3ELb0ES3_jNS7_6detail15normal_iteratorINS7_7pointerISA_NS7_11hip_rocprim3tagENS7_11use_defaultESJ_EEEEPSB_SM_NS0_5tupleIJPSA_SM_EEENSN_IJSM_SM_EEESB_PlJ10is_orderedEEE10hipError_tPvRmT3_T4_T5_T6_T7_T9_mT8_P12ihipStream_tbDpT10_ENKUlT_T0_E_clISt17integral_constantIbLb0EES1B_IbLb1EEEEDaS17_S18_EUlS17_E_NS1_11comp_targetILNS1_3genE3ELNS1_11target_archE908ELNS1_3gpuE7ELNS1_3repE0EEENS1_30default_config_static_selectorELNS0_4arch9wavefront6targetE1EEEvT1_
; %bb.0:
	.section	.rodata,"a",@progbits
	.p2align	6, 0x0
	.amdhsa_kernel _ZN7rocprim17ROCPRIM_400000_NS6detail17trampoline_kernelINS0_14default_configENS1_25partition_config_selectorILNS1_17partition_subalgoE3EN6thrust23THRUST_200600_302600_NS5tupleIxxNS7_9null_typeES9_S9_S9_S9_S9_S9_S9_EENS0_10empty_typeEbEEZZNS1_14partition_implILS5_3ELb0ES3_jNS7_6detail15normal_iteratorINS7_7pointerISA_NS7_11hip_rocprim3tagENS7_11use_defaultESJ_EEEEPSB_SM_NS0_5tupleIJPSA_SM_EEENSN_IJSM_SM_EEESB_PlJ10is_orderedEEE10hipError_tPvRmT3_T4_T5_T6_T7_T9_mT8_P12ihipStream_tbDpT10_ENKUlT_T0_E_clISt17integral_constantIbLb0EES1B_IbLb1EEEEDaS17_S18_EUlS17_E_NS1_11comp_targetILNS1_3genE3ELNS1_11target_archE908ELNS1_3gpuE7ELNS1_3repE0EEENS1_30default_config_static_selectorELNS0_4arch9wavefront6targetE1EEEvT1_
		.amdhsa_group_segment_fixed_size 0
		.amdhsa_private_segment_fixed_size 0
		.amdhsa_kernarg_size 136
		.amdhsa_user_sgpr_count 2
		.amdhsa_user_sgpr_dispatch_ptr 0
		.amdhsa_user_sgpr_queue_ptr 0
		.amdhsa_user_sgpr_kernarg_segment_ptr 1
		.amdhsa_user_sgpr_dispatch_id 0
		.amdhsa_user_sgpr_kernarg_preload_length 0
		.amdhsa_user_sgpr_kernarg_preload_offset 0
		.amdhsa_user_sgpr_private_segment_size 0
		.amdhsa_uses_dynamic_stack 0
		.amdhsa_enable_private_segment 0
		.amdhsa_system_sgpr_workgroup_id_x 1
		.amdhsa_system_sgpr_workgroup_id_y 0
		.amdhsa_system_sgpr_workgroup_id_z 0
		.amdhsa_system_sgpr_workgroup_info 0
		.amdhsa_system_vgpr_workitem_id 0
		.amdhsa_next_free_vgpr 1
		.amdhsa_next_free_sgpr 0
		.amdhsa_accum_offset 4
		.amdhsa_reserve_vcc 0
		.amdhsa_float_round_mode_32 0
		.amdhsa_float_round_mode_16_64 0
		.amdhsa_float_denorm_mode_32 3
		.amdhsa_float_denorm_mode_16_64 3
		.amdhsa_dx10_clamp 1
		.amdhsa_ieee_mode 1
		.amdhsa_fp16_overflow 0
		.amdhsa_tg_split 0
		.amdhsa_exception_fp_ieee_invalid_op 0
		.amdhsa_exception_fp_denorm_src 0
		.amdhsa_exception_fp_ieee_div_zero 0
		.amdhsa_exception_fp_ieee_overflow 0
		.amdhsa_exception_fp_ieee_underflow 0
		.amdhsa_exception_fp_ieee_inexact 0
		.amdhsa_exception_int_div_zero 0
	.end_amdhsa_kernel
	.section	.text._ZN7rocprim17ROCPRIM_400000_NS6detail17trampoline_kernelINS0_14default_configENS1_25partition_config_selectorILNS1_17partition_subalgoE3EN6thrust23THRUST_200600_302600_NS5tupleIxxNS7_9null_typeES9_S9_S9_S9_S9_S9_S9_EENS0_10empty_typeEbEEZZNS1_14partition_implILS5_3ELb0ES3_jNS7_6detail15normal_iteratorINS7_7pointerISA_NS7_11hip_rocprim3tagENS7_11use_defaultESJ_EEEEPSB_SM_NS0_5tupleIJPSA_SM_EEENSN_IJSM_SM_EEESB_PlJ10is_orderedEEE10hipError_tPvRmT3_T4_T5_T6_T7_T9_mT8_P12ihipStream_tbDpT10_ENKUlT_T0_E_clISt17integral_constantIbLb0EES1B_IbLb1EEEEDaS17_S18_EUlS17_E_NS1_11comp_targetILNS1_3genE3ELNS1_11target_archE908ELNS1_3gpuE7ELNS1_3repE0EEENS1_30default_config_static_selectorELNS0_4arch9wavefront6targetE1EEEvT1_,"axG",@progbits,_ZN7rocprim17ROCPRIM_400000_NS6detail17trampoline_kernelINS0_14default_configENS1_25partition_config_selectorILNS1_17partition_subalgoE3EN6thrust23THRUST_200600_302600_NS5tupleIxxNS7_9null_typeES9_S9_S9_S9_S9_S9_S9_EENS0_10empty_typeEbEEZZNS1_14partition_implILS5_3ELb0ES3_jNS7_6detail15normal_iteratorINS7_7pointerISA_NS7_11hip_rocprim3tagENS7_11use_defaultESJ_EEEEPSB_SM_NS0_5tupleIJPSA_SM_EEENSN_IJSM_SM_EEESB_PlJ10is_orderedEEE10hipError_tPvRmT3_T4_T5_T6_T7_T9_mT8_P12ihipStream_tbDpT10_ENKUlT_T0_E_clISt17integral_constantIbLb0EES1B_IbLb1EEEEDaS17_S18_EUlS17_E_NS1_11comp_targetILNS1_3genE3ELNS1_11target_archE908ELNS1_3gpuE7ELNS1_3repE0EEENS1_30default_config_static_selectorELNS0_4arch9wavefront6targetE1EEEvT1_,comdat
.Lfunc_end3482:
	.size	_ZN7rocprim17ROCPRIM_400000_NS6detail17trampoline_kernelINS0_14default_configENS1_25partition_config_selectorILNS1_17partition_subalgoE3EN6thrust23THRUST_200600_302600_NS5tupleIxxNS7_9null_typeES9_S9_S9_S9_S9_S9_S9_EENS0_10empty_typeEbEEZZNS1_14partition_implILS5_3ELb0ES3_jNS7_6detail15normal_iteratorINS7_7pointerISA_NS7_11hip_rocprim3tagENS7_11use_defaultESJ_EEEEPSB_SM_NS0_5tupleIJPSA_SM_EEENSN_IJSM_SM_EEESB_PlJ10is_orderedEEE10hipError_tPvRmT3_T4_T5_T6_T7_T9_mT8_P12ihipStream_tbDpT10_ENKUlT_T0_E_clISt17integral_constantIbLb0EES1B_IbLb1EEEEDaS17_S18_EUlS17_E_NS1_11comp_targetILNS1_3genE3ELNS1_11target_archE908ELNS1_3gpuE7ELNS1_3repE0EEENS1_30default_config_static_selectorELNS0_4arch9wavefront6targetE1EEEvT1_, .Lfunc_end3482-_ZN7rocprim17ROCPRIM_400000_NS6detail17trampoline_kernelINS0_14default_configENS1_25partition_config_selectorILNS1_17partition_subalgoE3EN6thrust23THRUST_200600_302600_NS5tupleIxxNS7_9null_typeES9_S9_S9_S9_S9_S9_S9_EENS0_10empty_typeEbEEZZNS1_14partition_implILS5_3ELb0ES3_jNS7_6detail15normal_iteratorINS7_7pointerISA_NS7_11hip_rocprim3tagENS7_11use_defaultESJ_EEEEPSB_SM_NS0_5tupleIJPSA_SM_EEENSN_IJSM_SM_EEESB_PlJ10is_orderedEEE10hipError_tPvRmT3_T4_T5_T6_T7_T9_mT8_P12ihipStream_tbDpT10_ENKUlT_T0_E_clISt17integral_constantIbLb0EES1B_IbLb1EEEEDaS17_S18_EUlS17_E_NS1_11comp_targetILNS1_3genE3ELNS1_11target_archE908ELNS1_3gpuE7ELNS1_3repE0EEENS1_30default_config_static_selectorELNS0_4arch9wavefront6targetE1EEEvT1_
                                        ; -- End function
	.section	.AMDGPU.csdata,"",@progbits
; Kernel info:
; codeLenInByte = 0
; NumSgprs: 6
; NumVgprs: 0
; NumAgprs: 0
; TotalNumVgprs: 0
; ScratchSize: 0
; MemoryBound: 0
; FloatMode: 240
; IeeeMode: 1
; LDSByteSize: 0 bytes/workgroup (compile time only)
; SGPRBlocks: 0
; VGPRBlocks: 0
; NumSGPRsForWavesPerEU: 6
; NumVGPRsForWavesPerEU: 1
; AccumOffset: 4
; Occupancy: 8
; WaveLimiterHint : 0
; COMPUTE_PGM_RSRC2:SCRATCH_EN: 0
; COMPUTE_PGM_RSRC2:USER_SGPR: 2
; COMPUTE_PGM_RSRC2:TRAP_HANDLER: 0
; COMPUTE_PGM_RSRC2:TGID_X_EN: 1
; COMPUTE_PGM_RSRC2:TGID_Y_EN: 0
; COMPUTE_PGM_RSRC2:TGID_Z_EN: 0
; COMPUTE_PGM_RSRC2:TIDIG_COMP_CNT: 0
; COMPUTE_PGM_RSRC3_GFX90A:ACCUM_OFFSET: 0
; COMPUTE_PGM_RSRC3_GFX90A:TG_SPLIT: 0
	.section	.text._ZN7rocprim17ROCPRIM_400000_NS6detail17trampoline_kernelINS0_14default_configENS1_25partition_config_selectorILNS1_17partition_subalgoE3EN6thrust23THRUST_200600_302600_NS5tupleIxxNS7_9null_typeES9_S9_S9_S9_S9_S9_S9_EENS0_10empty_typeEbEEZZNS1_14partition_implILS5_3ELb0ES3_jNS7_6detail15normal_iteratorINS7_7pointerISA_NS7_11hip_rocprim3tagENS7_11use_defaultESJ_EEEEPSB_SM_NS0_5tupleIJPSA_SM_EEENSN_IJSM_SM_EEESB_PlJ10is_orderedEEE10hipError_tPvRmT3_T4_T5_T6_T7_T9_mT8_P12ihipStream_tbDpT10_ENKUlT_T0_E_clISt17integral_constantIbLb0EES1B_IbLb1EEEEDaS17_S18_EUlS17_E_NS1_11comp_targetILNS1_3genE2ELNS1_11target_archE906ELNS1_3gpuE6ELNS1_3repE0EEENS1_30default_config_static_selectorELNS0_4arch9wavefront6targetE1EEEvT1_,"axG",@progbits,_ZN7rocprim17ROCPRIM_400000_NS6detail17trampoline_kernelINS0_14default_configENS1_25partition_config_selectorILNS1_17partition_subalgoE3EN6thrust23THRUST_200600_302600_NS5tupleIxxNS7_9null_typeES9_S9_S9_S9_S9_S9_S9_EENS0_10empty_typeEbEEZZNS1_14partition_implILS5_3ELb0ES3_jNS7_6detail15normal_iteratorINS7_7pointerISA_NS7_11hip_rocprim3tagENS7_11use_defaultESJ_EEEEPSB_SM_NS0_5tupleIJPSA_SM_EEENSN_IJSM_SM_EEESB_PlJ10is_orderedEEE10hipError_tPvRmT3_T4_T5_T6_T7_T9_mT8_P12ihipStream_tbDpT10_ENKUlT_T0_E_clISt17integral_constantIbLb0EES1B_IbLb1EEEEDaS17_S18_EUlS17_E_NS1_11comp_targetILNS1_3genE2ELNS1_11target_archE906ELNS1_3gpuE6ELNS1_3repE0EEENS1_30default_config_static_selectorELNS0_4arch9wavefront6targetE1EEEvT1_,comdat
	.protected	_ZN7rocprim17ROCPRIM_400000_NS6detail17trampoline_kernelINS0_14default_configENS1_25partition_config_selectorILNS1_17partition_subalgoE3EN6thrust23THRUST_200600_302600_NS5tupleIxxNS7_9null_typeES9_S9_S9_S9_S9_S9_S9_EENS0_10empty_typeEbEEZZNS1_14partition_implILS5_3ELb0ES3_jNS7_6detail15normal_iteratorINS7_7pointerISA_NS7_11hip_rocprim3tagENS7_11use_defaultESJ_EEEEPSB_SM_NS0_5tupleIJPSA_SM_EEENSN_IJSM_SM_EEESB_PlJ10is_orderedEEE10hipError_tPvRmT3_T4_T5_T6_T7_T9_mT8_P12ihipStream_tbDpT10_ENKUlT_T0_E_clISt17integral_constantIbLb0EES1B_IbLb1EEEEDaS17_S18_EUlS17_E_NS1_11comp_targetILNS1_3genE2ELNS1_11target_archE906ELNS1_3gpuE6ELNS1_3repE0EEENS1_30default_config_static_selectorELNS0_4arch9wavefront6targetE1EEEvT1_ ; -- Begin function _ZN7rocprim17ROCPRIM_400000_NS6detail17trampoline_kernelINS0_14default_configENS1_25partition_config_selectorILNS1_17partition_subalgoE3EN6thrust23THRUST_200600_302600_NS5tupleIxxNS7_9null_typeES9_S9_S9_S9_S9_S9_S9_EENS0_10empty_typeEbEEZZNS1_14partition_implILS5_3ELb0ES3_jNS7_6detail15normal_iteratorINS7_7pointerISA_NS7_11hip_rocprim3tagENS7_11use_defaultESJ_EEEEPSB_SM_NS0_5tupleIJPSA_SM_EEENSN_IJSM_SM_EEESB_PlJ10is_orderedEEE10hipError_tPvRmT3_T4_T5_T6_T7_T9_mT8_P12ihipStream_tbDpT10_ENKUlT_T0_E_clISt17integral_constantIbLb0EES1B_IbLb1EEEEDaS17_S18_EUlS17_E_NS1_11comp_targetILNS1_3genE2ELNS1_11target_archE906ELNS1_3gpuE6ELNS1_3repE0EEENS1_30default_config_static_selectorELNS0_4arch9wavefront6targetE1EEEvT1_
	.globl	_ZN7rocprim17ROCPRIM_400000_NS6detail17trampoline_kernelINS0_14default_configENS1_25partition_config_selectorILNS1_17partition_subalgoE3EN6thrust23THRUST_200600_302600_NS5tupleIxxNS7_9null_typeES9_S9_S9_S9_S9_S9_S9_EENS0_10empty_typeEbEEZZNS1_14partition_implILS5_3ELb0ES3_jNS7_6detail15normal_iteratorINS7_7pointerISA_NS7_11hip_rocprim3tagENS7_11use_defaultESJ_EEEEPSB_SM_NS0_5tupleIJPSA_SM_EEENSN_IJSM_SM_EEESB_PlJ10is_orderedEEE10hipError_tPvRmT3_T4_T5_T6_T7_T9_mT8_P12ihipStream_tbDpT10_ENKUlT_T0_E_clISt17integral_constantIbLb0EES1B_IbLb1EEEEDaS17_S18_EUlS17_E_NS1_11comp_targetILNS1_3genE2ELNS1_11target_archE906ELNS1_3gpuE6ELNS1_3repE0EEENS1_30default_config_static_selectorELNS0_4arch9wavefront6targetE1EEEvT1_
	.p2align	8
	.type	_ZN7rocprim17ROCPRIM_400000_NS6detail17trampoline_kernelINS0_14default_configENS1_25partition_config_selectorILNS1_17partition_subalgoE3EN6thrust23THRUST_200600_302600_NS5tupleIxxNS7_9null_typeES9_S9_S9_S9_S9_S9_S9_EENS0_10empty_typeEbEEZZNS1_14partition_implILS5_3ELb0ES3_jNS7_6detail15normal_iteratorINS7_7pointerISA_NS7_11hip_rocprim3tagENS7_11use_defaultESJ_EEEEPSB_SM_NS0_5tupleIJPSA_SM_EEENSN_IJSM_SM_EEESB_PlJ10is_orderedEEE10hipError_tPvRmT3_T4_T5_T6_T7_T9_mT8_P12ihipStream_tbDpT10_ENKUlT_T0_E_clISt17integral_constantIbLb0EES1B_IbLb1EEEEDaS17_S18_EUlS17_E_NS1_11comp_targetILNS1_3genE2ELNS1_11target_archE906ELNS1_3gpuE6ELNS1_3repE0EEENS1_30default_config_static_selectorELNS0_4arch9wavefront6targetE1EEEvT1_,@function
_ZN7rocprim17ROCPRIM_400000_NS6detail17trampoline_kernelINS0_14default_configENS1_25partition_config_selectorILNS1_17partition_subalgoE3EN6thrust23THRUST_200600_302600_NS5tupleIxxNS7_9null_typeES9_S9_S9_S9_S9_S9_S9_EENS0_10empty_typeEbEEZZNS1_14partition_implILS5_3ELb0ES3_jNS7_6detail15normal_iteratorINS7_7pointerISA_NS7_11hip_rocprim3tagENS7_11use_defaultESJ_EEEEPSB_SM_NS0_5tupleIJPSA_SM_EEENSN_IJSM_SM_EEESB_PlJ10is_orderedEEE10hipError_tPvRmT3_T4_T5_T6_T7_T9_mT8_P12ihipStream_tbDpT10_ENKUlT_T0_E_clISt17integral_constantIbLb0EES1B_IbLb1EEEEDaS17_S18_EUlS17_E_NS1_11comp_targetILNS1_3genE2ELNS1_11target_archE906ELNS1_3gpuE6ELNS1_3repE0EEENS1_30default_config_static_selectorELNS0_4arch9wavefront6targetE1EEEvT1_: ; @_ZN7rocprim17ROCPRIM_400000_NS6detail17trampoline_kernelINS0_14default_configENS1_25partition_config_selectorILNS1_17partition_subalgoE3EN6thrust23THRUST_200600_302600_NS5tupleIxxNS7_9null_typeES9_S9_S9_S9_S9_S9_S9_EENS0_10empty_typeEbEEZZNS1_14partition_implILS5_3ELb0ES3_jNS7_6detail15normal_iteratorINS7_7pointerISA_NS7_11hip_rocprim3tagENS7_11use_defaultESJ_EEEEPSB_SM_NS0_5tupleIJPSA_SM_EEENSN_IJSM_SM_EEESB_PlJ10is_orderedEEE10hipError_tPvRmT3_T4_T5_T6_T7_T9_mT8_P12ihipStream_tbDpT10_ENKUlT_T0_E_clISt17integral_constantIbLb0EES1B_IbLb1EEEEDaS17_S18_EUlS17_E_NS1_11comp_targetILNS1_3genE2ELNS1_11target_archE906ELNS1_3gpuE6ELNS1_3repE0EEENS1_30default_config_static_selectorELNS0_4arch9wavefront6targetE1EEEvT1_
; %bb.0:
	.section	.rodata,"a",@progbits
	.p2align	6, 0x0
	.amdhsa_kernel _ZN7rocprim17ROCPRIM_400000_NS6detail17trampoline_kernelINS0_14default_configENS1_25partition_config_selectorILNS1_17partition_subalgoE3EN6thrust23THRUST_200600_302600_NS5tupleIxxNS7_9null_typeES9_S9_S9_S9_S9_S9_S9_EENS0_10empty_typeEbEEZZNS1_14partition_implILS5_3ELb0ES3_jNS7_6detail15normal_iteratorINS7_7pointerISA_NS7_11hip_rocprim3tagENS7_11use_defaultESJ_EEEEPSB_SM_NS0_5tupleIJPSA_SM_EEENSN_IJSM_SM_EEESB_PlJ10is_orderedEEE10hipError_tPvRmT3_T4_T5_T6_T7_T9_mT8_P12ihipStream_tbDpT10_ENKUlT_T0_E_clISt17integral_constantIbLb0EES1B_IbLb1EEEEDaS17_S18_EUlS17_E_NS1_11comp_targetILNS1_3genE2ELNS1_11target_archE906ELNS1_3gpuE6ELNS1_3repE0EEENS1_30default_config_static_selectorELNS0_4arch9wavefront6targetE1EEEvT1_
		.amdhsa_group_segment_fixed_size 0
		.amdhsa_private_segment_fixed_size 0
		.amdhsa_kernarg_size 136
		.amdhsa_user_sgpr_count 2
		.amdhsa_user_sgpr_dispatch_ptr 0
		.amdhsa_user_sgpr_queue_ptr 0
		.amdhsa_user_sgpr_kernarg_segment_ptr 1
		.amdhsa_user_sgpr_dispatch_id 0
		.amdhsa_user_sgpr_kernarg_preload_length 0
		.amdhsa_user_sgpr_kernarg_preload_offset 0
		.amdhsa_user_sgpr_private_segment_size 0
		.amdhsa_uses_dynamic_stack 0
		.amdhsa_enable_private_segment 0
		.amdhsa_system_sgpr_workgroup_id_x 1
		.amdhsa_system_sgpr_workgroup_id_y 0
		.amdhsa_system_sgpr_workgroup_id_z 0
		.amdhsa_system_sgpr_workgroup_info 0
		.amdhsa_system_vgpr_workitem_id 0
		.amdhsa_next_free_vgpr 1
		.amdhsa_next_free_sgpr 0
		.amdhsa_accum_offset 4
		.amdhsa_reserve_vcc 0
		.amdhsa_float_round_mode_32 0
		.amdhsa_float_round_mode_16_64 0
		.amdhsa_float_denorm_mode_32 3
		.amdhsa_float_denorm_mode_16_64 3
		.amdhsa_dx10_clamp 1
		.amdhsa_ieee_mode 1
		.amdhsa_fp16_overflow 0
		.amdhsa_tg_split 0
		.amdhsa_exception_fp_ieee_invalid_op 0
		.amdhsa_exception_fp_denorm_src 0
		.amdhsa_exception_fp_ieee_div_zero 0
		.amdhsa_exception_fp_ieee_overflow 0
		.amdhsa_exception_fp_ieee_underflow 0
		.amdhsa_exception_fp_ieee_inexact 0
		.amdhsa_exception_int_div_zero 0
	.end_amdhsa_kernel
	.section	.text._ZN7rocprim17ROCPRIM_400000_NS6detail17trampoline_kernelINS0_14default_configENS1_25partition_config_selectorILNS1_17partition_subalgoE3EN6thrust23THRUST_200600_302600_NS5tupleIxxNS7_9null_typeES9_S9_S9_S9_S9_S9_S9_EENS0_10empty_typeEbEEZZNS1_14partition_implILS5_3ELb0ES3_jNS7_6detail15normal_iteratorINS7_7pointerISA_NS7_11hip_rocprim3tagENS7_11use_defaultESJ_EEEEPSB_SM_NS0_5tupleIJPSA_SM_EEENSN_IJSM_SM_EEESB_PlJ10is_orderedEEE10hipError_tPvRmT3_T4_T5_T6_T7_T9_mT8_P12ihipStream_tbDpT10_ENKUlT_T0_E_clISt17integral_constantIbLb0EES1B_IbLb1EEEEDaS17_S18_EUlS17_E_NS1_11comp_targetILNS1_3genE2ELNS1_11target_archE906ELNS1_3gpuE6ELNS1_3repE0EEENS1_30default_config_static_selectorELNS0_4arch9wavefront6targetE1EEEvT1_,"axG",@progbits,_ZN7rocprim17ROCPRIM_400000_NS6detail17trampoline_kernelINS0_14default_configENS1_25partition_config_selectorILNS1_17partition_subalgoE3EN6thrust23THRUST_200600_302600_NS5tupleIxxNS7_9null_typeES9_S9_S9_S9_S9_S9_S9_EENS0_10empty_typeEbEEZZNS1_14partition_implILS5_3ELb0ES3_jNS7_6detail15normal_iteratorINS7_7pointerISA_NS7_11hip_rocprim3tagENS7_11use_defaultESJ_EEEEPSB_SM_NS0_5tupleIJPSA_SM_EEENSN_IJSM_SM_EEESB_PlJ10is_orderedEEE10hipError_tPvRmT3_T4_T5_T6_T7_T9_mT8_P12ihipStream_tbDpT10_ENKUlT_T0_E_clISt17integral_constantIbLb0EES1B_IbLb1EEEEDaS17_S18_EUlS17_E_NS1_11comp_targetILNS1_3genE2ELNS1_11target_archE906ELNS1_3gpuE6ELNS1_3repE0EEENS1_30default_config_static_selectorELNS0_4arch9wavefront6targetE1EEEvT1_,comdat
.Lfunc_end3483:
	.size	_ZN7rocprim17ROCPRIM_400000_NS6detail17trampoline_kernelINS0_14default_configENS1_25partition_config_selectorILNS1_17partition_subalgoE3EN6thrust23THRUST_200600_302600_NS5tupleIxxNS7_9null_typeES9_S9_S9_S9_S9_S9_S9_EENS0_10empty_typeEbEEZZNS1_14partition_implILS5_3ELb0ES3_jNS7_6detail15normal_iteratorINS7_7pointerISA_NS7_11hip_rocprim3tagENS7_11use_defaultESJ_EEEEPSB_SM_NS0_5tupleIJPSA_SM_EEENSN_IJSM_SM_EEESB_PlJ10is_orderedEEE10hipError_tPvRmT3_T4_T5_T6_T7_T9_mT8_P12ihipStream_tbDpT10_ENKUlT_T0_E_clISt17integral_constantIbLb0EES1B_IbLb1EEEEDaS17_S18_EUlS17_E_NS1_11comp_targetILNS1_3genE2ELNS1_11target_archE906ELNS1_3gpuE6ELNS1_3repE0EEENS1_30default_config_static_selectorELNS0_4arch9wavefront6targetE1EEEvT1_, .Lfunc_end3483-_ZN7rocprim17ROCPRIM_400000_NS6detail17trampoline_kernelINS0_14default_configENS1_25partition_config_selectorILNS1_17partition_subalgoE3EN6thrust23THRUST_200600_302600_NS5tupleIxxNS7_9null_typeES9_S9_S9_S9_S9_S9_S9_EENS0_10empty_typeEbEEZZNS1_14partition_implILS5_3ELb0ES3_jNS7_6detail15normal_iteratorINS7_7pointerISA_NS7_11hip_rocprim3tagENS7_11use_defaultESJ_EEEEPSB_SM_NS0_5tupleIJPSA_SM_EEENSN_IJSM_SM_EEESB_PlJ10is_orderedEEE10hipError_tPvRmT3_T4_T5_T6_T7_T9_mT8_P12ihipStream_tbDpT10_ENKUlT_T0_E_clISt17integral_constantIbLb0EES1B_IbLb1EEEEDaS17_S18_EUlS17_E_NS1_11comp_targetILNS1_3genE2ELNS1_11target_archE906ELNS1_3gpuE6ELNS1_3repE0EEENS1_30default_config_static_selectorELNS0_4arch9wavefront6targetE1EEEvT1_
                                        ; -- End function
	.section	.AMDGPU.csdata,"",@progbits
; Kernel info:
; codeLenInByte = 0
; NumSgprs: 6
; NumVgprs: 0
; NumAgprs: 0
; TotalNumVgprs: 0
; ScratchSize: 0
; MemoryBound: 0
; FloatMode: 240
; IeeeMode: 1
; LDSByteSize: 0 bytes/workgroup (compile time only)
; SGPRBlocks: 0
; VGPRBlocks: 0
; NumSGPRsForWavesPerEU: 6
; NumVGPRsForWavesPerEU: 1
; AccumOffset: 4
; Occupancy: 8
; WaveLimiterHint : 0
; COMPUTE_PGM_RSRC2:SCRATCH_EN: 0
; COMPUTE_PGM_RSRC2:USER_SGPR: 2
; COMPUTE_PGM_RSRC2:TRAP_HANDLER: 0
; COMPUTE_PGM_RSRC2:TGID_X_EN: 1
; COMPUTE_PGM_RSRC2:TGID_Y_EN: 0
; COMPUTE_PGM_RSRC2:TGID_Z_EN: 0
; COMPUTE_PGM_RSRC2:TIDIG_COMP_CNT: 0
; COMPUTE_PGM_RSRC3_GFX90A:ACCUM_OFFSET: 0
; COMPUTE_PGM_RSRC3_GFX90A:TG_SPLIT: 0
	.section	.text._ZN7rocprim17ROCPRIM_400000_NS6detail17trampoline_kernelINS0_14default_configENS1_25partition_config_selectorILNS1_17partition_subalgoE3EN6thrust23THRUST_200600_302600_NS5tupleIxxNS7_9null_typeES9_S9_S9_S9_S9_S9_S9_EENS0_10empty_typeEbEEZZNS1_14partition_implILS5_3ELb0ES3_jNS7_6detail15normal_iteratorINS7_7pointerISA_NS7_11hip_rocprim3tagENS7_11use_defaultESJ_EEEEPSB_SM_NS0_5tupleIJPSA_SM_EEENSN_IJSM_SM_EEESB_PlJ10is_orderedEEE10hipError_tPvRmT3_T4_T5_T6_T7_T9_mT8_P12ihipStream_tbDpT10_ENKUlT_T0_E_clISt17integral_constantIbLb0EES1B_IbLb1EEEEDaS17_S18_EUlS17_E_NS1_11comp_targetILNS1_3genE10ELNS1_11target_archE1200ELNS1_3gpuE4ELNS1_3repE0EEENS1_30default_config_static_selectorELNS0_4arch9wavefront6targetE1EEEvT1_,"axG",@progbits,_ZN7rocprim17ROCPRIM_400000_NS6detail17trampoline_kernelINS0_14default_configENS1_25partition_config_selectorILNS1_17partition_subalgoE3EN6thrust23THRUST_200600_302600_NS5tupleIxxNS7_9null_typeES9_S9_S9_S9_S9_S9_S9_EENS0_10empty_typeEbEEZZNS1_14partition_implILS5_3ELb0ES3_jNS7_6detail15normal_iteratorINS7_7pointerISA_NS7_11hip_rocprim3tagENS7_11use_defaultESJ_EEEEPSB_SM_NS0_5tupleIJPSA_SM_EEENSN_IJSM_SM_EEESB_PlJ10is_orderedEEE10hipError_tPvRmT3_T4_T5_T6_T7_T9_mT8_P12ihipStream_tbDpT10_ENKUlT_T0_E_clISt17integral_constantIbLb0EES1B_IbLb1EEEEDaS17_S18_EUlS17_E_NS1_11comp_targetILNS1_3genE10ELNS1_11target_archE1200ELNS1_3gpuE4ELNS1_3repE0EEENS1_30default_config_static_selectorELNS0_4arch9wavefront6targetE1EEEvT1_,comdat
	.protected	_ZN7rocprim17ROCPRIM_400000_NS6detail17trampoline_kernelINS0_14default_configENS1_25partition_config_selectorILNS1_17partition_subalgoE3EN6thrust23THRUST_200600_302600_NS5tupleIxxNS7_9null_typeES9_S9_S9_S9_S9_S9_S9_EENS0_10empty_typeEbEEZZNS1_14partition_implILS5_3ELb0ES3_jNS7_6detail15normal_iteratorINS7_7pointerISA_NS7_11hip_rocprim3tagENS7_11use_defaultESJ_EEEEPSB_SM_NS0_5tupleIJPSA_SM_EEENSN_IJSM_SM_EEESB_PlJ10is_orderedEEE10hipError_tPvRmT3_T4_T5_T6_T7_T9_mT8_P12ihipStream_tbDpT10_ENKUlT_T0_E_clISt17integral_constantIbLb0EES1B_IbLb1EEEEDaS17_S18_EUlS17_E_NS1_11comp_targetILNS1_3genE10ELNS1_11target_archE1200ELNS1_3gpuE4ELNS1_3repE0EEENS1_30default_config_static_selectorELNS0_4arch9wavefront6targetE1EEEvT1_ ; -- Begin function _ZN7rocprim17ROCPRIM_400000_NS6detail17trampoline_kernelINS0_14default_configENS1_25partition_config_selectorILNS1_17partition_subalgoE3EN6thrust23THRUST_200600_302600_NS5tupleIxxNS7_9null_typeES9_S9_S9_S9_S9_S9_S9_EENS0_10empty_typeEbEEZZNS1_14partition_implILS5_3ELb0ES3_jNS7_6detail15normal_iteratorINS7_7pointerISA_NS7_11hip_rocprim3tagENS7_11use_defaultESJ_EEEEPSB_SM_NS0_5tupleIJPSA_SM_EEENSN_IJSM_SM_EEESB_PlJ10is_orderedEEE10hipError_tPvRmT3_T4_T5_T6_T7_T9_mT8_P12ihipStream_tbDpT10_ENKUlT_T0_E_clISt17integral_constantIbLb0EES1B_IbLb1EEEEDaS17_S18_EUlS17_E_NS1_11comp_targetILNS1_3genE10ELNS1_11target_archE1200ELNS1_3gpuE4ELNS1_3repE0EEENS1_30default_config_static_selectorELNS0_4arch9wavefront6targetE1EEEvT1_
	.globl	_ZN7rocprim17ROCPRIM_400000_NS6detail17trampoline_kernelINS0_14default_configENS1_25partition_config_selectorILNS1_17partition_subalgoE3EN6thrust23THRUST_200600_302600_NS5tupleIxxNS7_9null_typeES9_S9_S9_S9_S9_S9_S9_EENS0_10empty_typeEbEEZZNS1_14partition_implILS5_3ELb0ES3_jNS7_6detail15normal_iteratorINS7_7pointerISA_NS7_11hip_rocprim3tagENS7_11use_defaultESJ_EEEEPSB_SM_NS0_5tupleIJPSA_SM_EEENSN_IJSM_SM_EEESB_PlJ10is_orderedEEE10hipError_tPvRmT3_T4_T5_T6_T7_T9_mT8_P12ihipStream_tbDpT10_ENKUlT_T0_E_clISt17integral_constantIbLb0EES1B_IbLb1EEEEDaS17_S18_EUlS17_E_NS1_11comp_targetILNS1_3genE10ELNS1_11target_archE1200ELNS1_3gpuE4ELNS1_3repE0EEENS1_30default_config_static_selectorELNS0_4arch9wavefront6targetE1EEEvT1_
	.p2align	8
	.type	_ZN7rocprim17ROCPRIM_400000_NS6detail17trampoline_kernelINS0_14default_configENS1_25partition_config_selectorILNS1_17partition_subalgoE3EN6thrust23THRUST_200600_302600_NS5tupleIxxNS7_9null_typeES9_S9_S9_S9_S9_S9_S9_EENS0_10empty_typeEbEEZZNS1_14partition_implILS5_3ELb0ES3_jNS7_6detail15normal_iteratorINS7_7pointerISA_NS7_11hip_rocprim3tagENS7_11use_defaultESJ_EEEEPSB_SM_NS0_5tupleIJPSA_SM_EEENSN_IJSM_SM_EEESB_PlJ10is_orderedEEE10hipError_tPvRmT3_T4_T5_T6_T7_T9_mT8_P12ihipStream_tbDpT10_ENKUlT_T0_E_clISt17integral_constantIbLb0EES1B_IbLb1EEEEDaS17_S18_EUlS17_E_NS1_11comp_targetILNS1_3genE10ELNS1_11target_archE1200ELNS1_3gpuE4ELNS1_3repE0EEENS1_30default_config_static_selectorELNS0_4arch9wavefront6targetE1EEEvT1_,@function
_ZN7rocprim17ROCPRIM_400000_NS6detail17trampoline_kernelINS0_14default_configENS1_25partition_config_selectorILNS1_17partition_subalgoE3EN6thrust23THRUST_200600_302600_NS5tupleIxxNS7_9null_typeES9_S9_S9_S9_S9_S9_S9_EENS0_10empty_typeEbEEZZNS1_14partition_implILS5_3ELb0ES3_jNS7_6detail15normal_iteratorINS7_7pointerISA_NS7_11hip_rocprim3tagENS7_11use_defaultESJ_EEEEPSB_SM_NS0_5tupleIJPSA_SM_EEENSN_IJSM_SM_EEESB_PlJ10is_orderedEEE10hipError_tPvRmT3_T4_T5_T6_T7_T9_mT8_P12ihipStream_tbDpT10_ENKUlT_T0_E_clISt17integral_constantIbLb0EES1B_IbLb1EEEEDaS17_S18_EUlS17_E_NS1_11comp_targetILNS1_3genE10ELNS1_11target_archE1200ELNS1_3gpuE4ELNS1_3repE0EEENS1_30default_config_static_selectorELNS0_4arch9wavefront6targetE1EEEvT1_: ; @_ZN7rocprim17ROCPRIM_400000_NS6detail17trampoline_kernelINS0_14default_configENS1_25partition_config_selectorILNS1_17partition_subalgoE3EN6thrust23THRUST_200600_302600_NS5tupleIxxNS7_9null_typeES9_S9_S9_S9_S9_S9_S9_EENS0_10empty_typeEbEEZZNS1_14partition_implILS5_3ELb0ES3_jNS7_6detail15normal_iteratorINS7_7pointerISA_NS7_11hip_rocprim3tagENS7_11use_defaultESJ_EEEEPSB_SM_NS0_5tupleIJPSA_SM_EEENSN_IJSM_SM_EEESB_PlJ10is_orderedEEE10hipError_tPvRmT3_T4_T5_T6_T7_T9_mT8_P12ihipStream_tbDpT10_ENKUlT_T0_E_clISt17integral_constantIbLb0EES1B_IbLb1EEEEDaS17_S18_EUlS17_E_NS1_11comp_targetILNS1_3genE10ELNS1_11target_archE1200ELNS1_3gpuE4ELNS1_3repE0EEENS1_30default_config_static_selectorELNS0_4arch9wavefront6targetE1EEEvT1_
; %bb.0:
	.section	.rodata,"a",@progbits
	.p2align	6, 0x0
	.amdhsa_kernel _ZN7rocprim17ROCPRIM_400000_NS6detail17trampoline_kernelINS0_14default_configENS1_25partition_config_selectorILNS1_17partition_subalgoE3EN6thrust23THRUST_200600_302600_NS5tupleIxxNS7_9null_typeES9_S9_S9_S9_S9_S9_S9_EENS0_10empty_typeEbEEZZNS1_14partition_implILS5_3ELb0ES3_jNS7_6detail15normal_iteratorINS7_7pointerISA_NS7_11hip_rocprim3tagENS7_11use_defaultESJ_EEEEPSB_SM_NS0_5tupleIJPSA_SM_EEENSN_IJSM_SM_EEESB_PlJ10is_orderedEEE10hipError_tPvRmT3_T4_T5_T6_T7_T9_mT8_P12ihipStream_tbDpT10_ENKUlT_T0_E_clISt17integral_constantIbLb0EES1B_IbLb1EEEEDaS17_S18_EUlS17_E_NS1_11comp_targetILNS1_3genE10ELNS1_11target_archE1200ELNS1_3gpuE4ELNS1_3repE0EEENS1_30default_config_static_selectorELNS0_4arch9wavefront6targetE1EEEvT1_
		.amdhsa_group_segment_fixed_size 0
		.amdhsa_private_segment_fixed_size 0
		.amdhsa_kernarg_size 136
		.amdhsa_user_sgpr_count 2
		.amdhsa_user_sgpr_dispatch_ptr 0
		.amdhsa_user_sgpr_queue_ptr 0
		.amdhsa_user_sgpr_kernarg_segment_ptr 1
		.amdhsa_user_sgpr_dispatch_id 0
		.amdhsa_user_sgpr_kernarg_preload_length 0
		.amdhsa_user_sgpr_kernarg_preload_offset 0
		.amdhsa_user_sgpr_private_segment_size 0
		.amdhsa_uses_dynamic_stack 0
		.amdhsa_enable_private_segment 0
		.amdhsa_system_sgpr_workgroup_id_x 1
		.amdhsa_system_sgpr_workgroup_id_y 0
		.amdhsa_system_sgpr_workgroup_id_z 0
		.amdhsa_system_sgpr_workgroup_info 0
		.amdhsa_system_vgpr_workitem_id 0
		.amdhsa_next_free_vgpr 1
		.amdhsa_next_free_sgpr 0
		.amdhsa_accum_offset 4
		.amdhsa_reserve_vcc 0
		.amdhsa_float_round_mode_32 0
		.amdhsa_float_round_mode_16_64 0
		.amdhsa_float_denorm_mode_32 3
		.amdhsa_float_denorm_mode_16_64 3
		.amdhsa_dx10_clamp 1
		.amdhsa_ieee_mode 1
		.amdhsa_fp16_overflow 0
		.amdhsa_tg_split 0
		.amdhsa_exception_fp_ieee_invalid_op 0
		.amdhsa_exception_fp_denorm_src 0
		.amdhsa_exception_fp_ieee_div_zero 0
		.amdhsa_exception_fp_ieee_overflow 0
		.amdhsa_exception_fp_ieee_underflow 0
		.amdhsa_exception_fp_ieee_inexact 0
		.amdhsa_exception_int_div_zero 0
	.end_amdhsa_kernel
	.section	.text._ZN7rocprim17ROCPRIM_400000_NS6detail17trampoline_kernelINS0_14default_configENS1_25partition_config_selectorILNS1_17partition_subalgoE3EN6thrust23THRUST_200600_302600_NS5tupleIxxNS7_9null_typeES9_S9_S9_S9_S9_S9_S9_EENS0_10empty_typeEbEEZZNS1_14partition_implILS5_3ELb0ES3_jNS7_6detail15normal_iteratorINS7_7pointerISA_NS7_11hip_rocprim3tagENS7_11use_defaultESJ_EEEEPSB_SM_NS0_5tupleIJPSA_SM_EEENSN_IJSM_SM_EEESB_PlJ10is_orderedEEE10hipError_tPvRmT3_T4_T5_T6_T7_T9_mT8_P12ihipStream_tbDpT10_ENKUlT_T0_E_clISt17integral_constantIbLb0EES1B_IbLb1EEEEDaS17_S18_EUlS17_E_NS1_11comp_targetILNS1_3genE10ELNS1_11target_archE1200ELNS1_3gpuE4ELNS1_3repE0EEENS1_30default_config_static_selectorELNS0_4arch9wavefront6targetE1EEEvT1_,"axG",@progbits,_ZN7rocprim17ROCPRIM_400000_NS6detail17trampoline_kernelINS0_14default_configENS1_25partition_config_selectorILNS1_17partition_subalgoE3EN6thrust23THRUST_200600_302600_NS5tupleIxxNS7_9null_typeES9_S9_S9_S9_S9_S9_S9_EENS0_10empty_typeEbEEZZNS1_14partition_implILS5_3ELb0ES3_jNS7_6detail15normal_iteratorINS7_7pointerISA_NS7_11hip_rocprim3tagENS7_11use_defaultESJ_EEEEPSB_SM_NS0_5tupleIJPSA_SM_EEENSN_IJSM_SM_EEESB_PlJ10is_orderedEEE10hipError_tPvRmT3_T4_T5_T6_T7_T9_mT8_P12ihipStream_tbDpT10_ENKUlT_T0_E_clISt17integral_constantIbLb0EES1B_IbLb1EEEEDaS17_S18_EUlS17_E_NS1_11comp_targetILNS1_3genE10ELNS1_11target_archE1200ELNS1_3gpuE4ELNS1_3repE0EEENS1_30default_config_static_selectorELNS0_4arch9wavefront6targetE1EEEvT1_,comdat
.Lfunc_end3484:
	.size	_ZN7rocprim17ROCPRIM_400000_NS6detail17trampoline_kernelINS0_14default_configENS1_25partition_config_selectorILNS1_17partition_subalgoE3EN6thrust23THRUST_200600_302600_NS5tupleIxxNS7_9null_typeES9_S9_S9_S9_S9_S9_S9_EENS0_10empty_typeEbEEZZNS1_14partition_implILS5_3ELb0ES3_jNS7_6detail15normal_iteratorINS7_7pointerISA_NS7_11hip_rocprim3tagENS7_11use_defaultESJ_EEEEPSB_SM_NS0_5tupleIJPSA_SM_EEENSN_IJSM_SM_EEESB_PlJ10is_orderedEEE10hipError_tPvRmT3_T4_T5_T6_T7_T9_mT8_P12ihipStream_tbDpT10_ENKUlT_T0_E_clISt17integral_constantIbLb0EES1B_IbLb1EEEEDaS17_S18_EUlS17_E_NS1_11comp_targetILNS1_3genE10ELNS1_11target_archE1200ELNS1_3gpuE4ELNS1_3repE0EEENS1_30default_config_static_selectorELNS0_4arch9wavefront6targetE1EEEvT1_, .Lfunc_end3484-_ZN7rocprim17ROCPRIM_400000_NS6detail17trampoline_kernelINS0_14default_configENS1_25partition_config_selectorILNS1_17partition_subalgoE3EN6thrust23THRUST_200600_302600_NS5tupleIxxNS7_9null_typeES9_S9_S9_S9_S9_S9_S9_EENS0_10empty_typeEbEEZZNS1_14partition_implILS5_3ELb0ES3_jNS7_6detail15normal_iteratorINS7_7pointerISA_NS7_11hip_rocprim3tagENS7_11use_defaultESJ_EEEEPSB_SM_NS0_5tupleIJPSA_SM_EEENSN_IJSM_SM_EEESB_PlJ10is_orderedEEE10hipError_tPvRmT3_T4_T5_T6_T7_T9_mT8_P12ihipStream_tbDpT10_ENKUlT_T0_E_clISt17integral_constantIbLb0EES1B_IbLb1EEEEDaS17_S18_EUlS17_E_NS1_11comp_targetILNS1_3genE10ELNS1_11target_archE1200ELNS1_3gpuE4ELNS1_3repE0EEENS1_30default_config_static_selectorELNS0_4arch9wavefront6targetE1EEEvT1_
                                        ; -- End function
	.section	.AMDGPU.csdata,"",@progbits
; Kernel info:
; codeLenInByte = 0
; NumSgprs: 6
; NumVgprs: 0
; NumAgprs: 0
; TotalNumVgprs: 0
; ScratchSize: 0
; MemoryBound: 0
; FloatMode: 240
; IeeeMode: 1
; LDSByteSize: 0 bytes/workgroup (compile time only)
; SGPRBlocks: 0
; VGPRBlocks: 0
; NumSGPRsForWavesPerEU: 6
; NumVGPRsForWavesPerEU: 1
; AccumOffset: 4
; Occupancy: 8
; WaveLimiterHint : 0
; COMPUTE_PGM_RSRC2:SCRATCH_EN: 0
; COMPUTE_PGM_RSRC2:USER_SGPR: 2
; COMPUTE_PGM_RSRC2:TRAP_HANDLER: 0
; COMPUTE_PGM_RSRC2:TGID_X_EN: 1
; COMPUTE_PGM_RSRC2:TGID_Y_EN: 0
; COMPUTE_PGM_RSRC2:TGID_Z_EN: 0
; COMPUTE_PGM_RSRC2:TIDIG_COMP_CNT: 0
; COMPUTE_PGM_RSRC3_GFX90A:ACCUM_OFFSET: 0
; COMPUTE_PGM_RSRC3_GFX90A:TG_SPLIT: 0
	.section	.text._ZN7rocprim17ROCPRIM_400000_NS6detail17trampoline_kernelINS0_14default_configENS1_25partition_config_selectorILNS1_17partition_subalgoE3EN6thrust23THRUST_200600_302600_NS5tupleIxxNS7_9null_typeES9_S9_S9_S9_S9_S9_S9_EENS0_10empty_typeEbEEZZNS1_14partition_implILS5_3ELb0ES3_jNS7_6detail15normal_iteratorINS7_7pointerISA_NS7_11hip_rocprim3tagENS7_11use_defaultESJ_EEEEPSB_SM_NS0_5tupleIJPSA_SM_EEENSN_IJSM_SM_EEESB_PlJ10is_orderedEEE10hipError_tPvRmT3_T4_T5_T6_T7_T9_mT8_P12ihipStream_tbDpT10_ENKUlT_T0_E_clISt17integral_constantIbLb0EES1B_IbLb1EEEEDaS17_S18_EUlS17_E_NS1_11comp_targetILNS1_3genE9ELNS1_11target_archE1100ELNS1_3gpuE3ELNS1_3repE0EEENS1_30default_config_static_selectorELNS0_4arch9wavefront6targetE1EEEvT1_,"axG",@progbits,_ZN7rocprim17ROCPRIM_400000_NS6detail17trampoline_kernelINS0_14default_configENS1_25partition_config_selectorILNS1_17partition_subalgoE3EN6thrust23THRUST_200600_302600_NS5tupleIxxNS7_9null_typeES9_S9_S9_S9_S9_S9_S9_EENS0_10empty_typeEbEEZZNS1_14partition_implILS5_3ELb0ES3_jNS7_6detail15normal_iteratorINS7_7pointerISA_NS7_11hip_rocprim3tagENS7_11use_defaultESJ_EEEEPSB_SM_NS0_5tupleIJPSA_SM_EEENSN_IJSM_SM_EEESB_PlJ10is_orderedEEE10hipError_tPvRmT3_T4_T5_T6_T7_T9_mT8_P12ihipStream_tbDpT10_ENKUlT_T0_E_clISt17integral_constantIbLb0EES1B_IbLb1EEEEDaS17_S18_EUlS17_E_NS1_11comp_targetILNS1_3genE9ELNS1_11target_archE1100ELNS1_3gpuE3ELNS1_3repE0EEENS1_30default_config_static_selectorELNS0_4arch9wavefront6targetE1EEEvT1_,comdat
	.protected	_ZN7rocprim17ROCPRIM_400000_NS6detail17trampoline_kernelINS0_14default_configENS1_25partition_config_selectorILNS1_17partition_subalgoE3EN6thrust23THRUST_200600_302600_NS5tupleIxxNS7_9null_typeES9_S9_S9_S9_S9_S9_S9_EENS0_10empty_typeEbEEZZNS1_14partition_implILS5_3ELb0ES3_jNS7_6detail15normal_iteratorINS7_7pointerISA_NS7_11hip_rocprim3tagENS7_11use_defaultESJ_EEEEPSB_SM_NS0_5tupleIJPSA_SM_EEENSN_IJSM_SM_EEESB_PlJ10is_orderedEEE10hipError_tPvRmT3_T4_T5_T6_T7_T9_mT8_P12ihipStream_tbDpT10_ENKUlT_T0_E_clISt17integral_constantIbLb0EES1B_IbLb1EEEEDaS17_S18_EUlS17_E_NS1_11comp_targetILNS1_3genE9ELNS1_11target_archE1100ELNS1_3gpuE3ELNS1_3repE0EEENS1_30default_config_static_selectorELNS0_4arch9wavefront6targetE1EEEvT1_ ; -- Begin function _ZN7rocprim17ROCPRIM_400000_NS6detail17trampoline_kernelINS0_14default_configENS1_25partition_config_selectorILNS1_17partition_subalgoE3EN6thrust23THRUST_200600_302600_NS5tupleIxxNS7_9null_typeES9_S9_S9_S9_S9_S9_S9_EENS0_10empty_typeEbEEZZNS1_14partition_implILS5_3ELb0ES3_jNS7_6detail15normal_iteratorINS7_7pointerISA_NS7_11hip_rocprim3tagENS7_11use_defaultESJ_EEEEPSB_SM_NS0_5tupleIJPSA_SM_EEENSN_IJSM_SM_EEESB_PlJ10is_orderedEEE10hipError_tPvRmT3_T4_T5_T6_T7_T9_mT8_P12ihipStream_tbDpT10_ENKUlT_T0_E_clISt17integral_constantIbLb0EES1B_IbLb1EEEEDaS17_S18_EUlS17_E_NS1_11comp_targetILNS1_3genE9ELNS1_11target_archE1100ELNS1_3gpuE3ELNS1_3repE0EEENS1_30default_config_static_selectorELNS0_4arch9wavefront6targetE1EEEvT1_
	.globl	_ZN7rocprim17ROCPRIM_400000_NS6detail17trampoline_kernelINS0_14default_configENS1_25partition_config_selectorILNS1_17partition_subalgoE3EN6thrust23THRUST_200600_302600_NS5tupleIxxNS7_9null_typeES9_S9_S9_S9_S9_S9_S9_EENS0_10empty_typeEbEEZZNS1_14partition_implILS5_3ELb0ES3_jNS7_6detail15normal_iteratorINS7_7pointerISA_NS7_11hip_rocprim3tagENS7_11use_defaultESJ_EEEEPSB_SM_NS0_5tupleIJPSA_SM_EEENSN_IJSM_SM_EEESB_PlJ10is_orderedEEE10hipError_tPvRmT3_T4_T5_T6_T7_T9_mT8_P12ihipStream_tbDpT10_ENKUlT_T0_E_clISt17integral_constantIbLb0EES1B_IbLb1EEEEDaS17_S18_EUlS17_E_NS1_11comp_targetILNS1_3genE9ELNS1_11target_archE1100ELNS1_3gpuE3ELNS1_3repE0EEENS1_30default_config_static_selectorELNS0_4arch9wavefront6targetE1EEEvT1_
	.p2align	8
	.type	_ZN7rocprim17ROCPRIM_400000_NS6detail17trampoline_kernelINS0_14default_configENS1_25partition_config_selectorILNS1_17partition_subalgoE3EN6thrust23THRUST_200600_302600_NS5tupleIxxNS7_9null_typeES9_S9_S9_S9_S9_S9_S9_EENS0_10empty_typeEbEEZZNS1_14partition_implILS5_3ELb0ES3_jNS7_6detail15normal_iteratorINS7_7pointerISA_NS7_11hip_rocprim3tagENS7_11use_defaultESJ_EEEEPSB_SM_NS0_5tupleIJPSA_SM_EEENSN_IJSM_SM_EEESB_PlJ10is_orderedEEE10hipError_tPvRmT3_T4_T5_T6_T7_T9_mT8_P12ihipStream_tbDpT10_ENKUlT_T0_E_clISt17integral_constantIbLb0EES1B_IbLb1EEEEDaS17_S18_EUlS17_E_NS1_11comp_targetILNS1_3genE9ELNS1_11target_archE1100ELNS1_3gpuE3ELNS1_3repE0EEENS1_30default_config_static_selectorELNS0_4arch9wavefront6targetE1EEEvT1_,@function
_ZN7rocprim17ROCPRIM_400000_NS6detail17trampoline_kernelINS0_14default_configENS1_25partition_config_selectorILNS1_17partition_subalgoE3EN6thrust23THRUST_200600_302600_NS5tupleIxxNS7_9null_typeES9_S9_S9_S9_S9_S9_S9_EENS0_10empty_typeEbEEZZNS1_14partition_implILS5_3ELb0ES3_jNS7_6detail15normal_iteratorINS7_7pointerISA_NS7_11hip_rocprim3tagENS7_11use_defaultESJ_EEEEPSB_SM_NS0_5tupleIJPSA_SM_EEENSN_IJSM_SM_EEESB_PlJ10is_orderedEEE10hipError_tPvRmT3_T4_T5_T6_T7_T9_mT8_P12ihipStream_tbDpT10_ENKUlT_T0_E_clISt17integral_constantIbLb0EES1B_IbLb1EEEEDaS17_S18_EUlS17_E_NS1_11comp_targetILNS1_3genE9ELNS1_11target_archE1100ELNS1_3gpuE3ELNS1_3repE0EEENS1_30default_config_static_selectorELNS0_4arch9wavefront6targetE1EEEvT1_: ; @_ZN7rocprim17ROCPRIM_400000_NS6detail17trampoline_kernelINS0_14default_configENS1_25partition_config_selectorILNS1_17partition_subalgoE3EN6thrust23THRUST_200600_302600_NS5tupleIxxNS7_9null_typeES9_S9_S9_S9_S9_S9_S9_EENS0_10empty_typeEbEEZZNS1_14partition_implILS5_3ELb0ES3_jNS7_6detail15normal_iteratorINS7_7pointerISA_NS7_11hip_rocprim3tagENS7_11use_defaultESJ_EEEEPSB_SM_NS0_5tupleIJPSA_SM_EEENSN_IJSM_SM_EEESB_PlJ10is_orderedEEE10hipError_tPvRmT3_T4_T5_T6_T7_T9_mT8_P12ihipStream_tbDpT10_ENKUlT_T0_E_clISt17integral_constantIbLb0EES1B_IbLb1EEEEDaS17_S18_EUlS17_E_NS1_11comp_targetILNS1_3genE9ELNS1_11target_archE1100ELNS1_3gpuE3ELNS1_3repE0EEENS1_30default_config_static_selectorELNS0_4arch9wavefront6targetE1EEEvT1_
; %bb.0:
	.section	.rodata,"a",@progbits
	.p2align	6, 0x0
	.amdhsa_kernel _ZN7rocprim17ROCPRIM_400000_NS6detail17trampoline_kernelINS0_14default_configENS1_25partition_config_selectorILNS1_17partition_subalgoE3EN6thrust23THRUST_200600_302600_NS5tupleIxxNS7_9null_typeES9_S9_S9_S9_S9_S9_S9_EENS0_10empty_typeEbEEZZNS1_14partition_implILS5_3ELb0ES3_jNS7_6detail15normal_iteratorINS7_7pointerISA_NS7_11hip_rocprim3tagENS7_11use_defaultESJ_EEEEPSB_SM_NS0_5tupleIJPSA_SM_EEENSN_IJSM_SM_EEESB_PlJ10is_orderedEEE10hipError_tPvRmT3_T4_T5_T6_T7_T9_mT8_P12ihipStream_tbDpT10_ENKUlT_T0_E_clISt17integral_constantIbLb0EES1B_IbLb1EEEEDaS17_S18_EUlS17_E_NS1_11comp_targetILNS1_3genE9ELNS1_11target_archE1100ELNS1_3gpuE3ELNS1_3repE0EEENS1_30default_config_static_selectorELNS0_4arch9wavefront6targetE1EEEvT1_
		.amdhsa_group_segment_fixed_size 0
		.amdhsa_private_segment_fixed_size 0
		.amdhsa_kernarg_size 136
		.amdhsa_user_sgpr_count 2
		.amdhsa_user_sgpr_dispatch_ptr 0
		.amdhsa_user_sgpr_queue_ptr 0
		.amdhsa_user_sgpr_kernarg_segment_ptr 1
		.amdhsa_user_sgpr_dispatch_id 0
		.amdhsa_user_sgpr_kernarg_preload_length 0
		.amdhsa_user_sgpr_kernarg_preload_offset 0
		.amdhsa_user_sgpr_private_segment_size 0
		.amdhsa_uses_dynamic_stack 0
		.amdhsa_enable_private_segment 0
		.amdhsa_system_sgpr_workgroup_id_x 1
		.amdhsa_system_sgpr_workgroup_id_y 0
		.amdhsa_system_sgpr_workgroup_id_z 0
		.amdhsa_system_sgpr_workgroup_info 0
		.amdhsa_system_vgpr_workitem_id 0
		.amdhsa_next_free_vgpr 1
		.amdhsa_next_free_sgpr 0
		.amdhsa_accum_offset 4
		.amdhsa_reserve_vcc 0
		.amdhsa_float_round_mode_32 0
		.amdhsa_float_round_mode_16_64 0
		.amdhsa_float_denorm_mode_32 3
		.amdhsa_float_denorm_mode_16_64 3
		.amdhsa_dx10_clamp 1
		.amdhsa_ieee_mode 1
		.amdhsa_fp16_overflow 0
		.amdhsa_tg_split 0
		.amdhsa_exception_fp_ieee_invalid_op 0
		.amdhsa_exception_fp_denorm_src 0
		.amdhsa_exception_fp_ieee_div_zero 0
		.amdhsa_exception_fp_ieee_overflow 0
		.amdhsa_exception_fp_ieee_underflow 0
		.amdhsa_exception_fp_ieee_inexact 0
		.amdhsa_exception_int_div_zero 0
	.end_amdhsa_kernel
	.section	.text._ZN7rocprim17ROCPRIM_400000_NS6detail17trampoline_kernelINS0_14default_configENS1_25partition_config_selectorILNS1_17partition_subalgoE3EN6thrust23THRUST_200600_302600_NS5tupleIxxNS7_9null_typeES9_S9_S9_S9_S9_S9_S9_EENS0_10empty_typeEbEEZZNS1_14partition_implILS5_3ELb0ES3_jNS7_6detail15normal_iteratorINS7_7pointerISA_NS7_11hip_rocprim3tagENS7_11use_defaultESJ_EEEEPSB_SM_NS0_5tupleIJPSA_SM_EEENSN_IJSM_SM_EEESB_PlJ10is_orderedEEE10hipError_tPvRmT3_T4_T5_T6_T7_T9_mT8_P12ihipStream_tbDpT10_ENKUlT_T0_E_clISt17integral_constantIbLb0EES1B_IbLb1EEEEDaS17_S18_EUlS17_E_NS1_11comp_targetILNS1_3genE9ELNS1_11target_archE1100ELNS1_3gpuE3ELNS1_3repE0EEENS1_30default_config_static_selectorELNS0_4arch9wavefront6targetE1EEEvT1_,"axG",@progbits,_ZN7rocprim17ROCPRIM_400000_NS6detail17trampoline_kernelINS0_14default_configENS1_25partition_config_selectorILNS1_17partition_subalgoE3EN6thrust23THRUST_200600_302600_NS5tupleIxxNS7_9null_typeES9_S9_S9_S9_S9_S9_S9_EENS0_10empty_typeEbEEZZNS1_14partition_implILS5_3ELb0ES3_jNS7_6detail15normal_iteratorINS7_7pointerISA_NS7_11hip_rocprim3tagENS7_11use_defaultESJ_EEEEPSB_SM_NS0_5tupleIJPSA_SM_EEENSN_IJSM_SM_EEESB_PlJ10is_orderedEEE10hipError_tPvRmT3_T4_T5_T6_T7_T9_mT8_P12ihipStream_tbDpT10_ENKUlT_T0_E_clISt17integral_constantIbLb0EES1B_IbLb1EEEEDaS17_S18_EUlS17_E_NS1_11comp_targetILNS1_3genE9ELNS1_11target_archE1100ELNS1_3gpuE3ELNS1_3repE0EEENS1_30default_config_static_selectorELNS0_4arch9wavefront6targetE1EEEvT1_,comdat
.Lfunc_end3485:
	.size	_ZN7rocprim17ROCPRIM_400000_NS6detail17trampoline_kernelINS0_14default_configENS1_25partition_config_selectorILNS1_17partition_subalgoE3EN6thrust23THRUST_200600_302600_NS5tupleIxxNS7_9null_typeES9_S9_S9_S9_S9_S9_S9_EENS0_10empty_typeEbEEZZNS1_14partition_implILS5_3ELb0ES3_jNS7_6detail15normal_iteratorINS7_7pointerISA_NS7_11hip_rocprim3tagENS7_11use_defaultESJ_EEEEPSB_SM_NS0_5tupleIJPSA_SM_EEENSN_IJSM_SM_EEESB_PlJ10is_orderedEEE10hipError_tPvRmT3_T4_T5_T6_T7_T9_mT8_P12ihipStream_tbDpT10_ENKUlT_T0_E_clISt17integral_constantIbLb0EES1B_IbLb1EEEEDaS17_S18_EUlS17_E_NS1_11comp_targetILNS1_3genE9ELNS1_11target_archE1100ELNS1_3gpuE3ELNS1_3repE0EEENS1_30default_config_static_selectorELNS0_4arch9wavefront6targetE1EEEvT1_, .Lfunc_end3485-_ZN7rocprim17ROCPRIM_400000_NS6detail17trampoline_kernelINS0_14default_configENS1_25partition_config_selectorILNS1_17partition_subalgoE3EN6thrust23THRUST_200600_302600_NS5tupleIxxNS7_9null_typeES9_S9_S9_S9_S9_S9_S9_EENS0_10empty_typeEbEEZZNS1_14partition_implILS5_3ELb0ES3_jNS7_6detail15normal_iteratorINS7_7pointerISA_NS7_11hip_rocprim3tagENS7_11use_defaultESJ_EEEEPSB_SM_NS0_5tupleIJPSA_SM_EEENSN_IJSM_SM_EEESB_PlJ10is_orderedEEE10hipError_tPvRmT3_T4_T5_T6_T7_T9_mT8_P12ihipStream_tbDpT10_ENKUlT_T0_E_clISt17integral_constantIbLb0EES1B_IbLb1EEEEDaS17_S18_EUlS17_E_NS1_11comp_targetILNS1_3genE9ELNS1_11target_archE1100ELNS1_3gpuE3ELNS1_3repE0EEENS1_30default_config_static_selectorELNS0_4arch9wavefront6targetE1EEEvT1_
                                        ; -- End function
	.section	.AMDGPU.csdata,"",@progbits
; Kernel info:
; codeLenInByte = 0
; NumSgprs: 6
; NumVgprs: 0
; NumAgprs: 0
; TotalNumVgprs: 0
; ScratchSize: 0
; MemoryBound: 0
; FloatMode: 240
; IeeeMode: 1
; LDSByteSize: 0 bytes/workgroup (compile time only)
; SGPRBlocks: 0
; VGPRBlocks: 0
; NumSGPRsForWavesPerEU: 6
; NumVGPRsForWavesPerEU: 1
; AccumOffset: 4
; Occupancy: 8
; WaveLimiterHint : 0
; COMPUTE_PGM_RSRC2:SCRATCH_EN: 0
; COMPUTE_PGM_RSRC2:USER_SGPR: 2
; COMPUTE_PGM_RSRC2:TRAP_HANDLER: 0
; COMPUTE_PGM_RSRC2:TGID_X_EN: 1
; COMPUTE_PGM_RSRC2:TGID_Y_EN: 0
; COMPUTE_PGM_RSRC2:TGID_Z_EN: 0
; COMPUTE_PGM_RSRC2:TIDIG_COMP_CNT: 0
; COMPUTE_PGM_RSRC3_GFX90A:ACCUM_OFFSET: 0
; COMPUTE_PGM_RSRC3_GFX90A:TG_SPLIT: 0
	.section	.text._ZN7rocprim17ROCPRIM_400000_NS6detail17trampoline_kernelINS0_14default_configENS1_25partition_config_selectorILNS1_17partition_subalgoE3EN6thrust23THRUST_200600_302600_NS5tupleIxxNS7_9null_typeES9_S9_S9_S9_S9_S9_S9_EENS0_10empty_typeEbEEZZNS1_14partition_implILS5_3ELb0ES3_jNS7_6detail15normal_iteratorINS7_7pointerISA_NS7_11hip_rocprim3tagENS7_11use_defaultESJ_EEEEPSB_SM_NS0_5tupleIJPSA_SM_EEENSN_IJSM_SM_EEESB_PlJ10is_orderedEEE10hipError_tPvRmT3_T4_T5_T6_T7_T9_mT8_P12ihipStream_tbDpT10_ENKUlT_T0_E_clISt17integral_constantIbLb0EES1B_IbLb1EEEEDaS17_S18_EUlS17_E_NS1_11comp_targetILNS1_3genE8ELNS1_11target_archE1030ELNS1_3gpuE2ELNS1_3repE0EEENS1_30default_config_static_selectorELNS0_4arch9wavefront6targetE1EEEvT1_,"axG",@progbits,_ZN7rocprim17ROCPRIM_400000_NS6detail17trampoline_kernelINS0_14default_configENS1_25partition_config_selectorILNS1_17partition_subalgoE3EN6thrust23THRUST_200600_302600_NS5tupleIxxNS7_9null_typeES9_S9_S9_S9_S9_S9_S9_EENS0_10empty_typeEbEEZZNS1_14partition_implILS5_3ELb0ES3_jNS7_6detail15normal_iteratorINS7_7pointerISA_NS7_11hip_rocprim3tagENS7_11use_defaultESJ_EEEEPSB_SM_NS0_5tupleIJPSA_SM_EEENSN_IJSM_SM_EEESB_PlJ10is_orderedEEE10hipError_tPvRmT3_T4_T5_T6_T7_T9_mT8_P12ihipStream_tbDpT10_ENKUlT_T0_E_clISt17integral_constantIbLb0EES1B_IbLb1EEEEDaS17_S18_EUlS17_E_NS1_11comp_targetILNS1_3genE8ELNS1_11target_archE1030ELNS1_3gpuE2ELNS1_3repE0EEENS1_30default_config_static_selectorELNS0_4arch9wavefront6targetE1EEEvT1_,comdat
	.protected	_ZN7rocprim17ROCPRIM_400000_NS6detail17trampoline_kernelINS0_14default_configENS1_25partition_config_selectorILNS1_17partition_subalgoE3EN6thrust23THRUST_200600_302600_NS5tupleIxxNS7_9null_typeES9_S9_S9_S9_S9_S9_S9_EENS0_10empty_typeEbEEZZNS1_14partition_implILS5_3ELb0ES3_jNS7_6detail15normal_iteratorINS7_7pointerISA_NS7_11hip_rocprim3tagENS7_11use_defaultESJ_EEEEPSB_SM_NS0_5tupleIJPSA_SM_EEENSN_IJSM_SM_EEESB_PlJ10is_orderedEEE10hipError_tPvRmT3_T4_T5_T6_T7_T9_mT8_P12ihipStream_tbDpT10_ENKUlT_T0_E_clISt17integral_constantIbLb0EES1B_IbLb1EEEEDaS17_S18_EUlS17_E_NS1_11comp_targetILNS1_3genE8ELNS1_11target_archE1030ELNS1_3gpuE2ELNS1_3repE0EEENS1_30default_config_static_selectorELNS0_4arch9wavefront6targetE1EEEvT1_ ; -- Begin function _ZN7rocprim17ROCPRIM_400000_NS6detail17trampoline_kernelINS0_14default_configENS1_25partition_config_selectorILNS1_17partition_subalgoE3EN6thrust23THRUST_200600_302600_NS5tupleIxxNS7_9null_typeES9_S9_S9_S9_S9_S9_S9_EENS0_10empty_typeEbEEZZNS1_14partition_implILS5_3ELb0ES3_jNS7_6detail15normal_iteratorINS7_7pointerISA_NS7_11hip_rocprim3tagENS7_11use_defaultESJ_EEEEPSB_SM_NS0_5tupleIJPSA_SM_EEENSN_IJSM_SM_EEESB_PlJ10is_orderedEEE10hipError_tPvRmT3_T4_T5_T6_T7_T9_mT8_P12ihipStream_tbDpT10_ENKUlT_T0_E_clISt17integral_constantIbLb0EES1B_IbLb1EEEEDaS17_S18_EUlS17_E_NS1_11comp_targetILNS1_3genE8ELNS1_11target_archE1030ELNS1_3gpuE2ELNS1_3repE0EEENS1_30default_config_static_selectorELNS0_4arch9wavefront6targetE1EEEvT1_
	.globl	_ZN7rocprim17ROCPRIM_400000_NS6detail17trampoline_kernelINS0_14default_configENS1_25partition_config_selectorILNS1_17partition_subalgoE3EN6thrust23THRUST_200600_302600_NS5tupleIxxNS7_9null_typeES9_S9_S9_S9_S9_S9_S9_EENS0_10empty_typeEbEEZZNS1_14partition_implILS5_3ELb0ES3_jNS7_6detail15normal_iteratorINS7_7pointerISA_NS7_11hip_rocprim3tagENS7_11use_defaultESJ_EEEEPSB_SM_NS0_5tupleIJPSA_SM_EEENSN_IJSM_SM_EEESB_PlJ10is_orderedEEE10hipError_tPvRmT3_T4_T5_T6_T7_T9_mT8_P12ihipStream_tbDpT10_ENKUlT_T0_E_clISt17integral_constantIbLb0EES1B_IbLb1EEEEDaS17_S18_EUlS17_E_NS1_11comp_targetILNS1_3genE8ELNS1_11target_archE1030ELNS1_3gpuE2ELNS1_3repE0EEENS1_30default_config_static_selectorELNS0_4arch9wavefront6targetE1EEEvT1_
	.p2align	8
	.type	_ZN7rocprim17ROCPRIM_400000_NS6detail17trampoline_kernelINS0_14default_configENS1_25partition_config_selectorILNS1_17partition_subalgoE3EN6thrust23THRUST_200600_302600_NS5tupleIxxNS7_9null_typeES9_S9_S9_S9_S9_S9_S9_EENS0_10empty_typeEbEEZZNS1_14partition_implILS5_3ELb0ES3_jNS7_6detail15normal_iteratorINS7_7pointerISA_NS7_11hip_rocprim3tagENS7_11use_defaultESJ_EEEEPSB_SM_NS0_5tupleIJPSA_SM_EEENSN_IJSM_SM_EEESB_PlJ10is_orderedEEE10hipError_tPvRmT3_T4_T5_T6_T7_T9_mT8_P12ihipStream_tbDpT10_ENKUlT_T0_E_clISt17integral_constantIbLb0EES1B_IbLb1EEEEDaS17_S18_EUlS17_E_NS1_11comp_targetILNS1_3genE8ELNS1_11target_archE1030ELNS1_3gpuE2ELNS1_3repE0EEENS1_30default_config_static_selectorELNS0_4arch9wavefront6targetE1EEEvT1_,@function
_ZN7rocprim17ROCPRIM_400000_NS6detail17trampoline_kernelINS0_14default_configENS1_25partition_config_selectorILNS1_17partition_subalgoE3EN6thrust23THRUST_200600_302600_NS5tupleIxxNS7_9null_typeES9_S9_S9_S9_S9_S9_S9_EENS0_10empty_typeEbEEZZNS1_14partition_implILS5_3ELb0ES3_jNS7_6detail15normal_iteratorINS7_7pointerISA_NS7_11hip_rocprim3tagENS7_11use_defaultESJ_EEEEPSB_SM_NS0_5tupleIJPSA_SM_EEENSN_IJSM_SM_EEESB_PlJ10is_orderedEEE10hipError_tPvRmT3_T4_T5_T6_T7_T9_mT8_P12ihipStream_tbDpT10_ENKUlT_T0_E_clISt17integral_constantIbLb0EES1B_IbLb1EEEEDaS17_S18_EUlS17_E_NS1_11comp_targetILNS1_3genE8ELNS1_11target_archE1030ELNS1_3gpuE2ELNS1_3repE0EEENS1_30default_config_static_selectorELNS0_4arch9wavefront6targetE1EEEvT1_: ; @_ZN7rocprim17ROCPRIM_400000_NS6detail17trampoline_kernelINS0_14default_configENS1_25partition_config_selectorILNS1_17partition_subalgoE3EN6thrust23THRUST_200600_302600_NS5tupleIxxNS7_9null_typeES9_S9_S9_S9_S9_S9_S9_EENS0_10empty_typeEbEEZZNS1_14partition_implILS5_3ELb0ES3_jNS7_6detail15normal_iteratorINS7_7pointerISA_NS7_11hip_rocprim3tagENS7_11use_defaultESJ_EEEEPSB_SM_NS0_5tupleIJPSA_SM_EEENSN_IJSM_SM_EEESB_PlJ10is_orderedEEE10hipError_tPvRmT3_T4_T5_T6_T7_T9_mT8_P12ihipStream_tbDpT10_ENKUlT_T0_E_clISt17integral_constantIbLb0EES1B_IbLb1EEEEDaS17_S18_EUlS17_E_NS1_11comp_targetILNS1_3genE8ELNS1_11target_archE1030ELNS1_3gpuE2ELNS1_3repE0EEENS1_30default_config_static_selectorELNS0_4arch9wavefront6targetE1EEEvT1_
; %bb.0:
	.section	.rodata,"a",@progbits
	.p2align	6, 0x0
	.amdhsa_kernel _ZN7rocprim17ROCPRIM_400000_NS6detail17trampoline_kernelINS0_14default_configENS1_25partition_config_selectorILNS1_17partition_subalgoE3EN6thrust23THRUST_200600_302600_NS5tupleIxxNS7_9null_typeES9_S9_S9_S9_S9_S9_S9_EENS0_10empty_typeEbEEZZNS1_14partition_implILS5_3ELb0ES3_jNS7_6detail15normal_iteratorINS7_7pointerISA_NS7_11hip_rocprim3tagENS7_11use_defaultESJ_EEEEPSB_SM_NS0_5tupleIJPSA_SM_EEENSN_IJSM_SM_EEESB_PlJ10is_orderedEEE10hipError_tPvRmT3_T4_T5_T6_T7_T9_mT8_P12ihipStream_tbDpT10_ENKUlT_T0_E_clISt17integral_constantIbLb0EES1B_IbLb1EEEEDaS17_S18_EUlS17_E_NS1_11comp_targetILNS1_3genE8ELNS1_11target_archE1030ELNS1_3gpuE2ELNS1_3repE0EEENS1_30default_config_static_selectorELNS0_4arch9wavefront6targetE1EEEvT1_
		.amdhsa_group_segment_fixed_size 0
		.amdhsa_private_segment_fixed_size 0
		.amdhsa_kernarg_size 136
		.amdhsa_user_sgpr_count 2
		.amdhsa_user_sgpr_dispatch_ptr 0
		.amdhsa_user_sgpr_queue_ptr 0
		.amdhsa_user_sgpr_kernarg_segment_ptr 1
		.amdhsa_user_sgpr_dispatch_id 0
		.amdhsa_user_sgpr_kernarg_preload_length 0
		.amdhsa_user_sgpr_kernarg_preload_offset 0
		.amdhsa_user_sgpr_private_segment_size 0
		.amdhsa_uses_dynamic_stack 0
		.amdhsa_enable_private_segment 0
		.amdhsa_system_sgpr_workgroup_id_x 1
		.amdhsa_system_sgpr_workgroup_id_y 0
		.amdhsa_system_sgpr_workgroup_id_z 0
		.amdhsa_system_sgpr_workgroup_info 0
		.amdhsa_system_vgpr_workitem_id 0
		.amdhsa_next_free_vgpr 1
		.amdhsa_next_free_sgpr 0
		.amdhsa_accum_offset 4
		.amdhsa_reserve_vcc 0
		.amdhsa_float_round_mode_32 0
		.amdhsa_float_round_mode_16_64 0
		.amdhsa_float_denorm_mode_32 3
		.amdhsa_float_denorm_mode_16_64 3
		.amdhsa_dx10_clamp 1
		.amdhsa_ieee_mode 1
		.amdhsa_fp16_overflow 0
		.amdhsa_tg_split 0
		.amdhsa_exception_fp_ieee_invalid_op 0
		.amdhsa_exception_fp_denorm_src 0
		.amdhsa_exception_fp_ieee_div_zero 0
		.amdhsa_exception_fp_ieee_overflow 0
		.amdhsa_exception_fp_ieee_underflow 0
		.amdhsa_exception_fp_ieee_inexact 0
		.amdhsa_exception_int_div_zero 0
	.end_amdhsa_kernel
	.section	.text._ZN7rocprim17ROCPRIM_400000_NS6detail17trampoline_kernelINS0_14default_configENS1_25partition_config_selectorILNS1_17partition_subalgoE3EN6thrust23THRUST_200600_302600_NS5tupleIxxNS7_9null_typeES9_S9_S9_S9_S9_S9_S9_EENS0_10empty_typeEbEEZZNS1_14partition_implILS5_3ELb0ES3_jNS7_6detail15normal_iteratorINS7_7pointerISA_NS7_11hip_rocprim3tagENS7_11use_defaultESJ_EEEEPSB_SM_NS0_5tupleIJPSA_SM_EEENSN_IJSM_SM_EEESB_PlJ10is_orderedEEE10hipError_tPvRmT3_T4_T5_T6_T7_T9_mT8_P12ihipStream_tbDpT10_ENKUlT_T0_E_clISt17integral_constantIbLb0EES1B_IbLb1EEEEDaS17_S18_EUlS17_E_NS1_11comp_targetILNS1_3genE8ELNS1_11target_archE1030ELNS1_3gpuE2ELNS1_3repE0EEENS1_30default_config_static_selectorELNS0_4arch9wavefront6targetE1EEEvT1_,"axG",@progbits,_ZN7rocprim17ROCPRIM_400000_NS6detail17trampoline_kernelINS0_14default_configENS1_25partition_config_selectorILNS1_17partition_subalgoE3EN6thrust23THRUST_200600_302600_NS5tupleIxxNS7_9null_typeES9_S9_S9_S9_S9_S9_S9_EENS0_10empty_typeEbEEZZNS1_14partition_implILS5_3ELb0ES3_jNS7_6detail15normal_iteratorINS7_7pointerISA_NS7_11hip_rocprim3tagENS7_11use_defaultESJ_EEEEPSB_SM_NS0_5tupleIJPSA_SM_EEENSN_IJSM_SM_EEESB_PlJ10is_orderedEEE10hipError_tPvRmT3_T4_T5_T6_T7_T9_mT8_P12ihipStream_tbDpT10_ENKUlT_T0_E_clISt17integral_constantIbLb0EES1B_IbLb1EEEEDaS17_S18_EUlS17_E_NS1_11comp_targetILNS1_3genE8ELNS1_11target_archE1030ELNS1_3gpuE2ELNS1_3repE0EEENS1_30default_config_static_selectorELNS0_4arch9wavefront6targetE1EEEvT1_,comdat
.Lfunc_end3486:
	.size	_ZN7rocprim17ROCPRIM_400000_NS6detail17trampoline_kernelINS0_14default_configENS1_25partition_config_selectorILNS1_17partition_subalgoE3EN6thrust23THRUST_200600_302600_NS5tupleIxxNS7_9null_typeES9_S9_S9_S9_S9_S9_S9_EENS0_10empty_typeEbEEZZNS1_14partition_implILS5_3ELb0ES3_jNS7_6detail15normal_iteratorINS7_7pointerISA_NS7_11hip_rocprim3tagENS7_11use_defaultESJ_EEEEPSB_SM_NS0_5tupleIJPSA_SM_EEENSN_IJSM_SM_EEESB_PlJ10is_orderedEEE10hipError_tPvRmT3_T4_T5_T6_T7_T9_mT8_P12ihipStream_tbDpT10_ENKUlT_T0_E_clISt17integral_constantIbLb0EES1B_IbLb1EEEEDaS17_S18_EUlS17_E_NS1_11comp_targetILNS1_3genE8ELNS1_11target_archE1030ELNS1_3gpuE2ELNS1_3repE0EEENS1_30default_config_static_selectorELNS0_4arch9wavefront6targetE1EEEvT1_, .Lfunc_end3486-_ZN7rocprim17ROCPRIM_400000_NS6detail17trampoline_kernelINS0_14default_configENS1_25partition_config_selectorILNS1_17partition_subalgoE3EN6thrust23THRUST_200600_302600_NS5tupleIxxNS7_9null_typeES9_S9_S9_S9_S9_S9_S9_EENS0_10empty_typeEbEEZZNS1_14partition_implILS5_3ELb0ES3_jNS7_6detail15normal_iteratorINS7_7pointerISA_NS7_11hip_rocprim3tagENS7_11use_defaultESJ_EEEEPSB_SM_NS0_5tupleIJPSA_SM_EEENSN_IJSM_SM_EEESB_PlJ10is_orderedEEE10hipError_tPvRmT3_T4_T5_T6_T7_T9_mT8_P12ihipStream_tbDpT10_ENKUlT_T0_E_clISt17integral_constantIbLb0EES1B_IbLb1EEEEDaS17_S18_EUlS17_E_NS1_11comp_targetILNS1_3genE8ELNS1_11target_archE1030ELNS1_3gpuE2ELNS1_3repE0EEENS1_30default_config_static_selectorELNS0_4arch9wavefront6targetE1EEEvT1_
                                        ; -- End function
	.section	.AMDGPU.csdata,"",@progbits
; Kernel info:
; codeLenInByte = 0
; NumSgprs: 6
; NumVgprs: 0
; NumAgprs: 0
; TotalNumVgprs: 0
; ScratchSize: 0
; MemoryBound: 0
; FloatMode: 240
; IeeeMode: 1
; LDSByteSize: 0 bytes/workgroup (compile time only)
; SGPRBlocks: 0
; VGPRBlocks: 0
; NumSGPRsForWavesPerEU: 6
; NumVGPRsForWavesPerEU: 1
; AccumOffset: 4
; Occupancy: 8
; WaveLimiterHint : 0
; COMPUTE_PGM_RSRC2:SCRATCH_EN: 0
; COMPUTE_PGM_RSRC2:USER_SGPR: 2
; COMPUTE_PGM_RSRC2:TRAP_HANDLER: 0
; COMPUTE_PGM_RSRC2:TGID_X_EN: 1
; COMPUTE_PGM_RSRC2:TGID_Y_EN: 0
; COMPUTE_PGM_RSRC2:TGID_Z_EN: 0
; COMPUTE_PGM_RSRC2:TIDIG_COMP_CNT: 0
; COMPUTE_PGM_RSRC3_GFX90A:ACCUM_OFFSET: 0
; COMPUTE_PGM_RSRC3_GFX90A:TG_SPLIT: 0
	.section	.text._ZN6thrust23THRUST_200600_302600_NS11hip_rocprim14__parallel_for6kernelILj256ENS1_11__transform17unary_transform_fIPNS0_5tupleIxxNS0_9null_typeES7_S7_S7_S7_S7_S7_S7_EENS0_12zip_iteratorINS6_INS0_6detail15normal_iteratorINS0_10device_ptrIxEEEESF_S7_S7_S7_S7_S7_S7_S7_S7_EEEENS4_14no_stencil_tagENS0_8identityIS8_EENS4_21always_true_predicateEEElLj1EEEvT0_T1_SO_,"axG",@progbits,_ZN6thrust23THRUST_200600_302600_NS11hip_rocprim14__parallel_for6kernelILj256ENS1_11__transform17unary_transform_fIPNS0_5tupleIxxNS0_9null_typeES7_S7_S7_S7_S7_S7_S7_EENS0_12zip_iteratorINS6_INS0_6detail15normal_iteratorINS0_10device_ptrIxEEEESF_S7_S7_S7_S7_S7_S7_S7_S7_EEEENS4_14no_stencil_tagENS0_8identityIS8_EENS4_21always_true_predicateEEElLj1EEEvT0_T1_SO_,comdat
	.protected	_ZN6thrust23THRUST_200600_302600_NS11hip_rocprim14__parallel_for6kernelILj256ENS1_11__transform17unary_transform_fIPNS0_5tupleIxxNS0_9null_typeES7_S7_S7_S7_S7_S7_S7_EENS0_12zip_iteratorINS6_INS0_6detail15normal_iteratorINS0_10device_ptrIxEEEESF_S7_S7_S7_S7_S7_S7_S7_S7_EEEENS4_14no_stencil_tagENS0_8identityIS8_EENS4_21always_true_predicateEEElLj1EEEvT0_T1_SO_ ; -- Begin function _ZN6thrust23THRUST_200600_302600_NS11hip_rocprim14__parallel_for6kernelILj256ENS1_11__transform17unary_transform_fIPNS0_5tupleIxxNS0_9null_typeES7_S7_S7_S7_S7_S7_S7_EENS0_12zip_iteratorINS6_INS0_6detail15normal_iteratorINS0_10device_ptrIxEEEESF_S7_S7_S7_S7_S7_S7_S7_S7_EEEENS4_14no_stencil_tagENS0_8identityIS8_EENS4_21always_true_predicateEEElLj1EEEvT0_T1_SO_
	.globl	_ZN6thrust23THRUST_200600_302600_NS11hip_rocprim14__parallel_for6kernelILj256ENS1_11__transform17unary_transform_fIPNS0_5tupleIxxNS0_9null_typeES7_S7_S7_S7_S7_S7_S7_EENS0_12zip_iteratorINS6_INS0_6detail15normal_iteratorINS0_10device_ptrIxEEEESF_S7_S7_S7_S7_S7_S7_S7_S7_EEEENS4_14no_stencil_tagENS0_8identityIS8_EENS4_21always_true_predicateEEElLj1EEEvT0_T1_SO_
	.p2align	8
	.type	_ZN6thrust23THRUST_200600_302600_NS11hip_rocprim14__parallel_for6kernelILj256ENS1_11__transform17unary_transform_fIPNS0_5tupleIxxNS0_9null_typeES7_S7_S7_S7_S7_S7_S7_EENS0_12zip_iteratorINS6_INS0_6detail15normal_iteratorINS0_10device_ptrIxEEEESF_S7_S7_S7_S7_S7_S7_S7_S7_EEEENS4_14no_stencil_tagENS0_8identityIS8_EENS4_21always_true_predicateEEElLj1EEEvT0_T1_SO_,@function
_ZN6thrust23THRUST_200600_302600_NS11hip_rocprim14__parallel_for6kernelILj256ENS1_11__transform17unary_transform_fIPNS0_5tupleIxxNS0_9null_typeES7_S7_S7_S7_S7_S7_S7_EENS0_12zip_iteratorINS6_INS0_6detail15normal_iteratorINS0_10device_ptrIxEEEESF_S7_S7_S7_S7_S7_S7_S7_S7_EEEENS4_14no_stencil_tagENS0_8identityIS8_EENS4_21always_true_predicateEEElLj1EEEvT0_T1_SO_: ; @_ZN6thrust23THRUST_200600_302600_NS11hip_rocprim14__parallel_for6kernelILj256ENS1_11__transform17unary_transform_fIPNS0_5tupleIxxNS0_9null_typeES7_S7_S7_S7_S7_S7_S7_EENS0_12zip_iteratorINS6_INS0_6detail15normal_iteratorINS0_10device_ptrIxEEEESF_S7_S7_S7_S7_S7_S7_S7_S7_EEEENS4_14no_stencil_tagENS0_8identityIS8_EENS4_21always_true_predicateEEElLj1EEEvT0_T1_SO_
; %bb.0:
	s_load_dwordx4 s[4:7], s[0:1], 0x20
	s_lshl_b32 s2, s2, 8
	v_mov_b64_e32 v[2:3], 0x100
	s_waitcnt lgkmcnt(0)
	s_add_u32 s2, s2, s6
	s_addc_u32 s3, 0, s7
	s_sub_u32 s4, s4, s2
	s_subb_u32 s5, s5, s3
	v_cmp_lt_i64_e32 vcc, s[4:5], v[2:3]
	s_and_b64 s[6:7], vcc, exec
	s_cselect_b32 s6, s4, 0x100
	s_cmpk_eq_i32 s6, 0x100
	s_cselect_b64 s[4:5], -1, 0
	v_cmp_gt_u32_e32 vcc, s6, v0
	s_or_b64 s[4:5], s[4:5], vcc
	s_and_saveexec_b64 s[6:7], s[4:5]
	s_cbranch_execz .LBB3487_2
; %bb.1:
	s_load_dwordx4 s[4:7], s[0:1], 0x0
	s_load_dwordx2 s[8:9], s[0:1], 0x10
	v_mov_b32_e32 v1, 0
	v_lshl_add_u64 v[0:1], s[2:3], 0, v[0:1]
	s_waitcnt lgkmcnt(0)
	v_mov_b32_e32 v2, s4
	v_mov_b32_e32 v3, s5
	v_lshl_add_u64 v[2:3], v[0:1], 4, v[2:3]
	global_load_dwordx2 v[4:5], v[2:3], off
	v_lshlrev_b64 v[0:1], 3, v[0:1]
	v_lshl_add_u64 v[6:7], s[6:7], 0, v[0:1]
	v_lshl_add_u64 v[0:1], s[8:9], 0, v[0:1]
	s_waitcnt vmcnt(0)
	global_store_dwordx2 v[6:7], v[4:5], off
	global_load_dwordx2 v[2:3], v[2:3], off offset:8
	s_waitcnt vmcnt(0)
	global_store_dwordx2 v[0:1], v[2:3], off
.LBB3487_2:
	s_endpgm
	.section	.rodata,"a",@progbits
	.p2align	6, 0x0
	.amdhsa_kernel _ZN6thrust23THRUST_200600_302600_NS11hip_rocprim14__parallel_for6kernelILj256ENS1_11__transform17unary_transform_fIPNS0_5tupleIxxNS0_9null_typeES7_S7_S7_S7_S7_S7_S7_EENS0_12zip_iteratorINS6_INS0_6detail15normal_iteratorINS0_10device_ptrIxEEEESF_S7_S7_S7_S7_S7_S7_S7_S7_EEEENS4_14no_stencil_tagENS0_8identityIS8_EENS4_21always_true_predicateEEElLj1EEEvT0_T1_SO_
		.amdhsa_group_segment_fixed_size 0
		.amdhsa_private_segment_fixed_size 0
		.amdhsa_kernarg_size 48
		.amdhsa_user_sgpr_count 2
		.amdhsa_user_sgpr_dispatch_ptr 0
		.amdhsa_user_sgpr_queue_ptr 0
		.amdhsa_user_sgpr_kernarg_segment_ptr 1
		.amdhsa_user_sgpr_dispatch_id 0
		.amdhsa_user_sgpr_kernarg_preload_length 0
		.amdhsa_user_sgpr_kernarg_preload_offset 0
		.amdhsa_user_sgpr_private_segment_size 0
		.amdhsa_uses_dynamic_stack 0
		.amdhsa_enable_private_segment 0
		.amdhsa_system_sgpr_workgroup_id_x 1
		.amdhsa_system_sgpr_workgroup_id_y 0
		.amdhsa_system_sgpr_workgroup_id_z 0
		.amdhsa_system_sgpr_workgroup_info 0
		.amdhsa_system_vgpr_workitem_id 0
		.amdhsa_next_free_vgpr 8
		.amdhsa_next_free_sgpr 10
		.amdhsa_accum_offset 8
		.amdhsa_reserve_vcc 1
		.amdhsa_float_round_mode_32 0
		.amdhsa_float_round_mode_16_64 0
		.amdhsa_float_denorm_mode_32 3
		.amdhsa_float_denorm_mode_16_64 3
		.amdhsa_dx10_clamp 1
		.amdhsa_ieee_mode 1
		.amdhsa_fp16_overflow 0
		.amdhsa_tg_split 0
		.amdhsa_exception_fp_ieee_invalid_op 0
		.amdhsa_exception_fp_denorm_src 0
		.amdhsa_exception_fp_ieee_div_zero 0
		.amdhsa_exception_fp_ieee_overflow 0
		.amdhsa_exception_fp_ieee_underflow 0
		.amdhsa_exception_fp_ieee_inexact 0
		.amdhsa_exception_int_div_zero 0
	.end_amdhsa_kernel
	.section	.text._ZN6thrust23THRUST_200600_302600_NS11hip_rocprim14__parallel_for6kernelILj256ENS1_11__transform17unary_transform_fIPNS0_5tupleIxxNS0_9null_typeES7_S7_S7_S7_S7_S7_S7_EENS0_12zip_iteratorINS6_INS0_6detail15normal_iteratorINS0_10device_ptrIxEEEESF_S7_S7_S7_S7_S7_S7_S7_S7_EEEENS4_14no_stencil_tagENS0_8identityIS8_EENS4_21always_true_predicateEEElLj1EEEvT0_T1_SO_,"axG",@progbits,_ZN6thrust23THRUST_200600_302600_NS11hip_rocprim14__parallel_for6kernelILj256ENS1_11__transform17unary_transform_fIPNS0_5tupleIxxNS0_9null_typeES7_S7_S7_S7_S7_S7_S7_EENS0_12zip_iteratorINS6_INS0_6detail15normal_iteratorINS0_10device_ptrIxEEEESF_S7_S7_S7_S7_S7_S7_S7_S7_EEEENS4_14no_stencil_tagENS0_8identityIS8_EENS4_21always_true_predicateEEElLj1EEEvT0_T1_SO_,comdat
.Lfunc_end3487:
	.size	_ZN6thrust23THRUST_200600_302600_NS11hip_rocprim14__parallel_for6kernelILj256ENS1_11__transform17unary_transform_fIPNS0_5tupleIxxNS0_9null_typeES7_S7_S7_S7_S7_S7_S7_EENS0_12zip_iteratorINS6_INS0_6detail15normal_iteratorINS0_10device_ptrIxEEEESF_S7_S7_S7_S7_S7_S7_S7_S7_EEEENS4_14no_stencil_tagENS0_8identityIS8_EENS4_21always_true_predicateEEElLj1EEEvT0_T1_SO_, .Lfunc_end3487-_ZN6thrust23THRUST_200600_302600_NS11hip_rocprim14__parallel_for6kernelILj256ENS1_11__transform17unary_transform_fIPNS0_5tupleIxxNS0_9null_typeES7_S7_S7_S7_S7_S7_S7_EENS0_12zip_iteratorINS6_INS0_6detail15normal_iteratorINS0_10device_ptrIxEEEESF_S7_S7_S7_S7_S7_S7_S7_S7_EEEENS4_14no_stencil_tagENS0_8identityIS8_EENS4_21always_true_predicateEEElLj1EEEvT0_T1_SO_
                                        ; -- End function
	.section	.AMDGPU.csdata,"",@progbits
; Kernel info:
; codeLenInByte = 196
; NumSgprs: 16
; NumVgprs: 8
; NumAgprs: 0
; TotalNumVgprs: 8
; ScratchSize: 0
; MemoryBound: 0
; FloatMode: 240
; IeeeMode: 1
; LDSByteSize: 0 bytes/workgroup (compile time only)
; SGPRBlocks: 1
; VGPRBlocks: 0
; NumSGPRsForWavesPerEU: 16
; NumVGPRsForWavesPerEU: 8
; AccumOffset: 8
; Occupancy: 8
; WaveLimiterHint : 0
; COMPUTE_PGM_RSRC2:SCRATCH_EN: 0
; COMPUTE_PGM_RSRC2:USER_SGPR: 2
; COMPUTE_PGM_RSRC2:TRAP_HANDLER: 0
; COMPUTE_PGM_RSRC2:TGID_X_EN: 1
; COMPUTE_PGM_RSRC2:TGID_Y_EN: 0
; COMPUTE_PGM_RSRC2:TGID_Z_EN: 0
; COMPUTE_PGM_RSRC2:TIDIG_COMP_CNT: 0
; COMPUTE_PGM_RSRC3_GFX90A:ACCUM_OFFSET: 1
; COMPUTE_PGM_RSRC3_GFX90A:TG_SPLIT: 0
	.section	.text._ZN6thrust23THRUST_200600_302600_NS11hip_rocprim14__parallel_for6kernelILj256ENS1_10for_each_fINS0_7pointerINS0_5tupleIiiNS0_9null_typeES7_S7_S7_S7_S7_S7_S7_EENS1_3tagENS0_11use_defaultESA_EENS0_6detail16wrapped_functionINSC_23allocator_traits_detail24construct1_via_allocatorINSC_18no_throw_allocatorINSC_19temporary_allocatorIS8_S9_EEEEEEvEEEEmLj1EEEvT0_T1_SO_,"axG",@progbits,_ZN6thrust23THRUST_200600_302600_NS11hip_rocprim14__parallel_for6kernelILj256ENS1_10for_each_fINS0_7pointerINS0_5tupleIiiNS0_9null_typeES7_S7_S7_S7_S7_S7_S7_EENS1_3tagENS0_11use_defaultESA_EENS0_6detail16wrapped_functionINSC_23allocator_traits_detail24construct1_via_allocatorINSC_18no_throw_allocatorINSC_19temporary_allocatorIS8_S9_EEEEEEvEEEEmLj1EEEvT0_T1_SO_,comdat
	.protected	_ZN6thrust23THRUST_200600_302600_NS11hip_rocprim14__parallel_for6kernelILj256ENS1_10for_each_fINS0_7pointerINS0_5tupleIiiNS0_9null_typeES7_S7_S7_S7_S7_S7_S7_EENS1_3tagENS0_11use_defaultESA_EENS0_6detail16wrapped_functionINSC_23allocator_traits_detail24construct1_via_allocatorINSC_18no_throw_allocatorINSC_19temporary_allocatorIS8_S9_EEEEEEvEEEEmLj1EEEvT0_T1_SO_ ; -- Begin function _ZN6thrust23THRUST_200600_302600_NS11hip_rocprim14__parallel_for6kernelILj256ENS1_10for_each_fINS0_7pointerINS0_5tupleIiiNS0_9null_typeES7_S7_S7_S7_S7_S7_S7_EENS1_3tagENS0_11use_defaultESA_EENS0_6detail16wrapped_functionINSC_23allocator_traits_detail24construct1_via_allocatorINSC_18no_throw_allocatorINSC_19temporary_allocatorIS8_S9_EEEEEEvEEEEmLj1EEEvT0_T1_SO_
	.globl	_ZN6thrust23THRUST_200600_302600_NS11hip_rocprim14__parallel_for6kernelILj256ENS1_10for_each_fINS0_7pointerINS0_5tupleIiiNS0_9null_typeES7_S7_S7_S7_S7_S7_S7_EENS1_3tagENS0_11use_defaultESA_EENS0_6detail16wrapped_functionINSC_23allocator_traits_detail24construct1_via_allocatorINSC_18no_throw_allocatorINSC_19temporary_allocatorIS8_S9_EEEEEEvEEEEmLj1EEEvT0_T1_SO_
	.p2align	8
	.type	_ZN6thrust23THRUST_200600_302600_NS11hip_rocprim14__parallel_for6kernelILj256ENS1_10for_each_fINS0_7pointerINS0_5tupleIiiNS0_9null_typeES7_S7_S7_S7_S7_S7_S7_EENS1_3tagENS0_11use_defaultESA_EENS0_6detail16wrapped_functionINSC_23allocator_traits_detail24construct1_via_allocatorINSC_18no_throw_allocatorINSC_19temporary_allocatorIS8_S9_EEEEEEvEEEEmLj1EEEvT0_T1_SO_,@function
_ZN6thrust23THRUST_200600_302600_NS11hip_rocprim14__parallel_for6kernelILj256ENS1_10for_each_fINS0_7pointerINS0_5tupleIiiNS0_9null_typeES7_S7_S7_S7_S7_S7_S7_EENS1_3tagENS0_11use_defaultESA_EENS0_6detail16wrapped_functionINSC_23allocator_traits_detail24construct1_via_allocatorINSC_18no_throw_allocatorINSC_19temporary_allocatorIS8_S9_EEEEEEvEEEEmLj1EEEvT0_T1_SO_: ; @_ZN6thrust23THRUST_200600_302600_NS11hip_rocprim14__parallel_for6kernelILj256ENS1_10for_each_fINS0_7pointerINS0_5tupleIiiNS0_9null_typeES7_S7_S7_S7_S7_S7_S7_EENS1_3tagENS0_11use_defaultESA_EENS0_6detail16wrapped_functionINSC_23allocator_traits_detail24construct1_via_allocatorINSC_18no_throw_allocatorINSC_19temporary_allocatorIS8_S9_EEEEEEvEEEEmLj1EEEvT0_T1_SO_
; %bb.0:
	s_load_dwordx4 s[8:11], s[0:1], 0x10
	s_load_dwordx2 s[4:5], s[0:1], 0x0
	s_lshl_b32 s0, s2, 8
	v_mov_b64_e32 v[2:3], 0x100
	s_waitcnt lgkmcnt(0)
	s_add_u32 s2, s0, s10
	s_addc_u32 s3, 0, s11
	s_sub_u32 s0, s8, s2
	s_subb_u32 s1, s9, s3
	v_cmp_lt_u64_e32 vcc, s[0:1], v[2:3]
	s_cbranch_vccz .LBB3488_4
; %bb.1:
	v_cmp_gt_u32_e32 vcc, s0, v0
	s_mov_b64 s[6:7], 0
	s_mov_b64 s[0:1], 0
                                        ; implicit-def: $vgpr2_vgpr3
	s_and_saveexec_b64 s[8:9], vcc
	s_xor_b64 s[8:9], exec, s[8:9]
; %bb.2:
	s_lshl_b64 s[10:11], s[2:3], 3
	s_add_u32 s10, s4, s10
	s_addc_u32 s11, s5, s11
	v_lshlrev_b32_e32 v2, 3, v0
	v_mov_b32_e32 v3, 0
	s_mov_b64 s[0:1], exec
	v_lshl_add_u64 v[2:3], s[10:11], 0, v[2:3]
; %bb.3:
	s_or_b64 exec, exec, s[8:9]
	s_and_b64 vcc, exec, s[6:7]
	s_cbranch_vccnz .LBB3488_5
	s_branch .LBB3488_6
.LBB3488_4:
	s_mov_b64 s[0:1], 0
                                        ; implicit-def: $vgpr2_vgpr3
	s_cbranch_execz .LBB3488_6
.LBB3488_5:
	s_lshl_b64 s[2:3], s[2:3], 3
	s_add_u32 s2, s4, s2
	s_addc_u32 s3, s5, s3
	v_lshlrev_b32_e32 v0, 3, v0
	v_mov_b32_e32 v1, 0
	v_lshl_add_u64 v[2:3], s[2:3], 0, v[0:1]
	s_or_b64 s[0:1], s[0:1], exec
.LBB3488_6:
	s_and_saveexec_b64 s[2:3], s[0:1]
	s_cbranch_execnz .LBB3488_8
; %bb.7:
	s_endpgm
.LBB3488_8:
	v_mov_b32_e32 v0, 0
	v_mov_b32_e32 v1, v0
	flat_store_dwordx2 v[2:3], v[0:1]
	s_endpgm
	.section	.rodata,"a",@progbits
	.p2align	6, 0x0
	.amdhsa_kernel _ZN6thrust23THRUST_200600_302600_NS11hip_rocprim14__parallel_for6kernelILj256ENS1_10for_each_fINS0_7pointerINS0_5tupleIiiNS0_9null_typeES7_S7_S7_S7_S7_S7_S7_EENS1_3tagENS0_11use_defaultESA_EENS0_6detail16wrapped_functionINSC_23allocator_traits_detail24construct1_via_allocatorINSC_18no_throw_allocatorINSC_19temporary_allocatorIS8_S9_EEEEEEvEEEEmLj1EEEvT0_T1_SO_
		.amdhsa_group_segment_fixed_size 0
		.amdhsa_private_segment_fixed_size 0
		.amdhsa_kernarg_size 32
		.amdhsa_user_sgpr_count 2
		.amdhsa_user_sgpr_dispatch_ptr 0
		.amdhsa_user_sgpr_queue_ptr 0
		.amdhsa_user_sgpr_kernarg_segment_ptr 1
		.amdhsa_user_sgpr_dispatch_id 0
		.amdhsa_user_sgpr_kernarg_preload_length 0
		.amdhsa_user_sgpr_kernarg_preload_offset 0
		.amdhsa_user_sgpr_private_segment_size 0
		.amdhsa_uses_dynamic_stack 0
		.amdhsa_enable_private_segment 0
		.amdhsa_system_sgpr_workgroup_id_x 1
		.amdhsa_system_sgpr_workgroup_id_y 0
		.amdhsa_system_sgpr_workgroup_id_z 0
		.amdhsa_system_sgpr_workgroup_info 0
		.amdhsa_system_vgpr_workitem_id 0
		.amdhsa_next_free_vgpr 4
		.amdhsa_next_free_sgpr 12
		.amdhsa_accum_offset 4
		.amdhsa_reserve_vcc 1
		.amdhsa_float_round_mode_32 0
		.amdhsa_float_round_mode_16_64 0
		.amdhsa_float_denorm_mode_32 3
		.amdhsa_float_denorm_mode_16_64 3
		.amdhsa_dx10_clamp 1
		.amdhsa_ieee_mode 1
		.amdhsa_fp16_overflow 0
		.amdhsa_tg_split 0
		.amdhsa_exception_fp_ieee_invalid_op 0
		.amdhsa_exception_fp_denorm_src 0
		.amdhsa_exception_fp_ieee_div_zero 0
		.amdhsa_exception_fp_ieee_overflow 0
		.amdhsa_exception_fp_ieee_underflow 0
		.amdhsa_exception_fp_ieee_inexact 0
		.amdhsa_exception_int_div_zero 0
	.end_amdhsa_kernel
	.section	.text._ZN6thrust23THRUST_200600_302600_NS11hip_rocprim14__parallel_for6kernelILj256ENS1_10for_each_fINS0_7pointerINS0_5tupleIiiNS0_9null_typeES7_S7_S7_S7_S7_S7_S7_EENS1_3tagENS0_11use_defaultESA_EENS0_6detail16wrapped_functionINSC_23allocator_traits_detail24construct1_via_allocatorINSC_18no_throw_allocatorINSC_19temporary_allocatorIS8_S9_EEEEEEvEEEEmLj1EEEvT0_T1_SO_,"axG",@progbits,_ZN6thrust23THRUST_200600_302600_NS11hip_rocprim14__parallel_for6kernelILj256ENS1_10for_each_fINS0_7pointerINS0_5tupleIiiNS0_9null_typeES7_S7_S7_S7_S7_S7_S7_EENS1_3tagENS0_11use_defaultESA_EENS0_6detail16wrapped_functionINSC_23allocator_traits_detail24construct1_via_allocatorINSC_18no_throw_allocatorINSC_19temporary_allocatorIS8_S9_EEEEEEvEEEEmLj1EEEvT0_T1_SO_,comdat
.Lfunc_end3488:
	.size	_ZN6thrust23THRUST_200600_302600_NS11hip_rocprim14__parallel_for6kernelILj256ENS1_10for_each_fINS0_7pointerINS0_5tupleIiiNS0_9null_typeES7_S7_S7_S7_S7_S7_S7_EENS1_3tagENS0_11use_defaultESA_EENS0_6detail16wrapped_functionINSC_23allocator_traits_detail24construct1_via_allocatorINSC_18no_throw_allocatorINSC_19temporary_allocatorIS8_S9_EEEEEEvEEEEmLj1EEEvT0_T1_SO_, .Lfunc_end3488-_ZN6thrust23THRUST_200600_302600_NS11hip_rocprim14__parallel_for6kernelILj256ENS1_10for_each_fINS0_7pointerINS0_5tupleIiiNS0_9null_typeES7_S7_S7_S7_S7_S7_S7_EENS1_3tagENS0_11use_defaultESA_EENS0_6detail16wrapped_functionINSC_23allocator_traits_detail24construct1_via_allocatorINSC_18no_throw_allocatorINSC_19temporary_allocatorIS8_S9_EEEEEEvEEEEmLj1EEEvT0_T1_SO_
                                        ; -- End function
	.section	.AMDGPU.csdata,"",@progbits
; Kernel info:
; codeLenInByte = 196
; NumSgprs: 18
; NumVgprs: 4
; NumAgprs: 0
; TotalNumVgprs: 4
; ScratchSize: 0
; MemoryBound: 0
; FloatMode: 240
; IeeeMode: 1
; LDSByteSize: 0 bytes/workgroup (compile time only)
; SGPRBlocks: 2
; VGPRBlocks: 0
; NumSGPRsForWavesPerEU: 18
; NumVGPRsForWavesPerEU: 4
; AccumOffset: 4
; Occupancy: 8
; WaveLimiterHint : 0
; COMPUTE_PGM_RSRC2:SCRATCH_EN: 0
; COMPUTE_PGM_RSRC2:USER_SGPR: 2
; COMPUTE_PGM_RSRC2:TRAP_HANDLER: 0
; COMPUTE_PGM_RSRC2:TGID_X_EN: 1
; COMPUTE_PGM_RSRC2:TGID_Y_EN: 0
; COMPUTE_PGM_RSRC2:TGID_Z_EN: 0
; COMPUTE_PGM_RSRC2:TIDIG_COMP_CNT: 0
; COMPUTE_PGM_RSRC3_GFX90A:ACCUM_OFFSET: 0
; COMPUTE_PGM_RSRC3_GFX90A:TG_SPLIT: 0
	.section	.text._ZN6thrust23THRUST_200600_302600_NS11hip_rocprim14__parallel_for6kernelILj256ENS1_10for_each_fINS0_7pointerINS0_5tupleIiiNS0_9null_typeES7_S7_S7_S7_S7_S7_S7_EENS1_3tagENS0_11use_defaultESA_EENS0_6detail16wrapped_functionINSC_23allocator_traits_detail5gozerEvEEEElLj1EEEvT0_T1_SJ_,"axG",@progbits,_ZN6thrust23THRUST_200600_302600_NS11hip_rocprim14__parallel_for6kernelILj256ENS1_10for_each_fINS0_7pointerINS0_5tupleIiiNS0_9null_typeES7_S7_S7_S7_S7_S7_S7_EENS1_3tagENS0_11use_defaultESA_EENS0_6detail16wrapped_functionINSC_23allocator_traits_detail5gozerEvEEEElLj1EEEvT0_T1_SJ_,comdat
	.protected	_ZN6thrust23THRUST_200600_302600_NS11hip_rocprim14__parallel_for6kernelILj256ENS1_10for_each_fINS0_7pointerINS0_5tupleIiiNS0_9null_typeES7_S7_S7_S7_S7_S7_S7_EENS1_3tagENS0_11use_defaultESA_EENS0_6detail16wrapped_functionINSC_23allocator_traits_detail5gozerEvEEEElLj1EEEvT0_T1_SJ_ ; -- Begin function _ZN6thrust23THRUST_200600_302600_NS11hip_rocprim14__parallel_for6kernelILj256ENS1_10for_each_fINS0_7pointerINS0_5tupleIiiNS0_9null_typeES7_S7_S7_S7_S7_S7_S7_EENS1_3tagENS0_11use_defaultESA_EENS0_6detail16wrapped_functionINSC_23allocator_traits_detail5gozerEvEEEElLj1EEEvT0_T1_SJ_
	.globl	_ZN6thrust23THRUST_200600_302600_NS11hip_rocprim14__parallel_for6kernelILj256ENS1_10for_each_fINS0_7pointerINS0_5tupleIiiNS0_9null_typeES7_S7_S7_S7_S7_S7_S7_EENS1_3tagENS0_11use_defaultESA_EENS0_6detail16wrapped_functionINSC_23allocator_traits_detail5gozerEvEEEElLj1EEEvT0_T1_SJ_
	.p2align	8
	.type	_ZN6thrust23THRUST_200600_302600_NS11hip_rocprim14__parallel_for6kernelILj256ENS1_10for_each_fINS0_7pointerINS0_5tupleIiiNS0_9null_typeES7_S7_S7_S7_S7_S7_S7_EENS1_3tagENS0_11use_defaultESA_EENS0_6detail16wrapped_functionINSC_23allocator_traits_detail5gozerEvEEEElLj1EEEvT0_T1_SJ_,@function
_ZN6thrust23THRUST_200600_302600_NS11hip_rocprim14__parallel_for6kernelILj256ENS1_10for_each_fINS0_7pointerINS0_5tupleIiiNS0_9null_typeES7_S7_S7_S7_S7_S7_S7_EENS1_3tagENS0_11use_defaultESA_EENS0_6detail16wrapped_functionINSC_23allocator_traits_detail5gozerEvEEEElLj1EEEvT0_T1_SJ_: ; @_ZN6thrust23THRUST_200600_302600_NS11hip_rocprim14__parallel_for6kernelILj256ENS1_10for_each_fINS0_7pointerINS0_5tupleIiiNS0_9null_typeES7_S7_S7_S7_S7_S7_S7_EENS1_3tagENS0_11use_defaultESA_EENS0_6detail16wrapped_functionINSC_23allocator_traits_detail5gozerEvEEEElLj1EEEvT0_T1_SJ_
; %bb.0:
	s_endpgm
	.section	.rodata,"a",@progbits
	.p2align	6, 0x0
	.amdhsa_kernel _ZN6thrust23THRUST_200600_302600_NS11hip_rocprim14__parallel_for6kernelILj256ENS1_10for_each_fINS0_7pointerINS0_5tupleIiiNS0_9null_typeES7_S7_S7_S7_S7_S7_S7_EENS1_3tagENS0_11use_defaultESA_EENS0_6detail16wrapped_functionINSC_23allocator_traits_detail5gozerEvEEEElLj1EEEvT0_T1_SJ_
		.amdhsa_group_segment_fixed_size 0
		.amdhsa_private_segment_fixed_size 0
		.amdhsa_kernarg_size 32
		.amdhsa_user_sgpr_count 2
		.amdhsa_user_sgpr_dispatch_ptr 0
		.amdhsa_user_sgpr_queue_ptr 0
		.amdhsa_user_sgpr_kernarg_segment_ptr 1
		.amdhsa_user_sgpr_dispatch_id 0
		.amdhsa_user_sgpr_kernarg_preload_length 0
		.amdhsa_user_sgpr_kernarg_preload_offset 0
		.amdhsa_user_sgpr_private_segment_size 0
		.amdhsa_uses_dynamic_stack 0
		.amdhsa_enable_private_segment 0
		.amdhsa_system_sgpr_workgroup_id_x 1
		.amdhsa_system_sgpr_workgroup_id_y 0
		.amdhsa_system_sgpr_workgroup_id_z 0
		.amdhsa_system_sgpr_workgroup_info 0
		.amdhsa_system_vgpr_workitem_id 0
		.amdhsa_next_free_vgpr 1
		.amdhsa_next_free_sgpr 0
		.amdhsa_accum_offset 4
		.amdhsa_reserve_vcc 0
		.amdhsa_float_round_mode_32 0
		.amdhsa_float_round_mode_16_64 0
		.amdhsa_float_denorm_mode_32 3
		.amdhsa_float_denorm_mode_16_64 3
		.amdhsa_dx10_clamp 1
		.amdhsa_ieee_mode 1
		.amdhsa_fp16_overflow 0
		.amdhsa_tg_split 0
		.amdhsa_exception_fp_ieee_invalid_op 0
		.amdhsa_exception_fp_denorm_src 0
		.amdhsa_exception_fp_ieee_div_zero 0
		.amdhsa_exception_fp_ieee_overflow 0
		.amdhsa_exception_fp_ieee_underflow 0
		.amdhsa_exception_fp_ieee_inexact 0
		.amdhsa_exception_int_div_zero 0
	.end_amdhsa_kernel
	.section	.text._ZN6thrust23THRUST_200600_302600_NS11hip_rocprim14__parallel_for6kernelILj256ENS1_10for_each_fINS0_7pointerINS0_5tupleIiiNS0_9null_typeES7_S7_S7_S7_S7_S7_S7_EENS1_3tagENS0_11use_defaultESA_EENS0_6detail16wrapped_functionINSC_23allocator_traits_detail5gozerEvEEEElLj1EEEvT0_T1_SJ_,"axG",@progbits,_ZN6thrust23THRUST_200600_302600_NS11hip_rocprim14__parallel_for6kernelILj256ENS1_10for_each_fINS0_7pointerINS0_5tupleIiiNS0_9null_typeES7_S7_S7_S7_S7_S7_S7_EENS1_3tagENS0_11use_defaultESA_EENS0_6detail16wrapped_functionINSC_23allocator_traits_detail5gozerEvEEEElLj1EEEvT0_T1_SJ_,comdat
.Lfunc_end3489:
	.size	_ZN6thrust23THRUST_200600_302600_NS11hip_rocprim14__parallel_for6kernelILj256ENS1_10for_each_fINS0_7pointerINS0_5tupleIiiNS0_9null_typeES7_S7_S7_S7_S7_S7_S7_EENS1_3tagENS0_11use_defaultESA_EENS0_6detail16wrapped_functionINSC_23allocator_traits_detail5gozerEvEEEElLj1EEEvT0_T1_SJ_, .Lfunc_end3489-_ZN6thrust23THRUST_200600_302600_NS11hip_rocprim14__parallel_for6kernelILj256ENS1_10for_each_fINS0_7pointerINS0_5tupleIiiNS0_9null_typeES7_S7_S7_S7_S7_S7_S7_EENS1_3tagENS0_11use_defaultESA_EENS0_6detail16wrapped_functionINSC_23allocator_traits_detail5gozerEvEEEElLj1EEEvT0_T1_SJ_
                                        ; -- End function
	.section	.AMDGPU.csdata,"",@progbits
; Kernel info:
; codeLenInByte = 4
; NumSgprs: 6
; NumVgprs: 0
; NumAgprs: 0
; TotalNumVgprs: 0
; ScratchSize: 0
; MemoryBound: 0
; FloatMode: 240
; IeeeMode: 1
; LDSByteSize: 0 bytes/workgroup (compile time only)
; SGPRBlocks: 0
; VGPRBlocks: 0
; NumSGPRsForWavesPerEU: 6
; NumVGPRsForWavesPerEU: 1
; AccumOffset: 4
; Occupancy: 8
; WaveLimiterHint : 0
; COMPUTE_PGM_RSRC2:SCRATCH_EN: 0
; COMPUTE_PGM_RSRC2:USER_SGPR: 2
; COMPUTE_PGM_RSRC2:TRAP_HANDLER: 0
; COMPUTE_PGM_RSRC2:TGID_X_EN: 1
; COMPUTE_PGM_RSRC2:TGID_Y_EN: 0
; COMPUTE_PGM_RSRC2:TGID_Z_EN: 0
; COMPUTE_PGM_RSRC2:TIDIG_COMP_CNT: 0
; COMPUTE_PGM_RSRC3_GFX90A:ACCUM_OFFSET: 0
; COMPUTE_PGM_RSRC3_GFX90A:TG_SPLIT: 0
	.section	.text._ZN6thrust23THRUST_200600_302600_NS11hip_rocprim14__parallel_for6kernelILj256ENS1_20__uninitialized_copy7functorINS0_12zip_iteratorINS0_5tupleINS0_6detail15normal_iteratorINS0_10device_ptrIiEEEESC_NS0_9null_typeESD_SD_SD_SD_SD_SD_SD_EEEENS9_INS0_7pointerINS7_IiiSD_SD_SD_SD_SD_SD_SD_SD_EENS1_3tagENS0_11use_defaultESJ_EEEEEElLj1EEEvT0_T1_SO_,"axG",@progbits,_ZN6thrust23THRUST_200600_302600_NS11hip_rocprim14__parallel_for6kernelILj256ENS1_20__uninitialized_copy7functorINS0_12zip_iteratorINS0_5tupleINS0_6detail15normal_iteratorINS0_10device_ptrIiEEEESC_NS0_9null_typeESD_SD_SD_SD_SD_SD_SD_EEEENS9_INS0_7pointerINS7_IiiSD_SD_SD_SD_SD_SD_SD_SD_EENS1_3tagENS0_11use_defaultESJ_EEEEEElLj1EEEvT0_T1_SO_,comdat
	.protected	_ZN6thrust23THRUST_200600_302600_NS11hip_rocprim14__parallel_for6kernelILj256ENS1_20__uninitialized_copy7functorINS0_12zip_iteratorINS0_5tupleINS0_6detail15normal_iteratorINS0_10device_ptrIiEEEESC_NS0_9null_typeESD_SD_SD_SD_SD_SD_SD_EEEENS9_INS0_7pointerINS7_IiiSD_SD_SD_SD_SD_SD_SD_SD_EENS1_3tagENS0_11use_defaultESJ_EEEEEElLj1EEEvT0_T1_SO_ ; -- Begin function _ZN6thrust23THRUST_200600_302600_NS11hip_rocprim14__parallel_for6kernelILj256ENS1_20__uninitialized_copy7functorINS0_12zip_iteratorINS0_5tupleINS0_6detail15normal_iteratorINS0_10device_ptrIiEEEESC_NS0_9null_typeESD_SD_SD_SD_SD_SD_SD_EEEENS9_INS0_7pointerINS7_IiiSD_SD_SD_SD_SD_SD_SD_SD_EENS1_3tagENS0_11use_defaultESJ_EEEEEElLj1EEEvT0_T1_SO_
	.globl	_ZN6thrust23THRUST_200600_302600_NS11hip_rocprim14__parallel_for6kernelILj256ENS1_20__uninitialized_copy7functorINS0_12zip_iteratorINS0_5tupleINS0_6detail15normal_iteratorINS0_10device_ptrIiEEEESC_NS0_9null_typeESD_SD_SD_SD_SD_SD_SD_EEEENS9_INS0_7pointerINS7_IiiSD_SD_SD_SD_SD_SD_SD_SD_EENS1_3tagENS0_11use_defaultESJ_EEEEEElLj1EEEvT0_T1_SO_
	.p2align	8
	.type	_ZN6thrust23THRUST_200600_302600_NS11hip_rocprim14__parallel_for6kernelILj256ENS1_20__uninitialized_copy7functorINS0_12zip_iteratorINS0_5tupleINS0_6detail15normal_iteratorINS0_10device_ptrIiEEEESC_NS0_9null_typeESD_SD_SD_SD_SD_SD_SD_EEEENS9_INS0_7pointerINS7_IiiSD_SD_SD_SD_SD_SD_SD_SD_EENS1_3tagENS0_11use_defaultESJ_EEEEEElLj1EEEvT0_T1_SO_,@function
_ZN6thrust23THRUST_200600_302600_NS11hip_rocprim14__parallel_for6kernelILj256ENS1_20__uninitialized_copy7functorINS0_12zip_iteratorINS0_5tupleINS0_6detail15normal_iteratorINS0_10device_ptrIiEEEESC_NS0_9null_typeESD_SD_SD_SD_SD_SD_SD_EEEENS9_INS0_7pointerINS7_IiiSD_SD_SD_SD_SD_SD_SD_SD_EENS1_3tagENS0_11use_defaultESJ_EEEEEElLj1EEEvT0_T1_SO_: ; @_ZN6thrust23THRUST_200600_302600_NS11hip_rocprim14__parallel_for6kernelILj256ENS1_20__uninitialized_copy7functorINS0_12zip_iteratorINS0_5tupleINS0_6detail15normal_iteratorINS0_10device_ptrIiEEEESC_NS0_9null_typeESD_SD_SD_SD_SD_SD_SD_EEEENS9_INS0_7pointerINS7_IiiSD_SD_SD_SD_SD_SD_SD_SD_EENS1_3tagENS0_11use_defaultESJ_EEEEEElLj1EEEvT0_T1_SO_
; %bb.0:
	s_load_dwordx4 s[4:7], s[0:1], 0x18
	s_lshl_b32 s2, s2, 8
	v_mov_b64_e32 v[2:3], 0x100
	s_waitcnt lgkmcnt(0)
	s_add_u32 s2, s2, s6
	s_addc_u32 s3, 0, s7
	s_sub_u32 s4, s4, s2
	s_subb_u32 s5, s5, s3
	v_cmp_lt_i64_e32 vcc, s[4:5], v[2:3]
	s_and_b64 s[6:7], vcc, exec
	s_cselect_b32 s6, s4, 0x100
	s_cmpk_eq_i32 s6, 0x100
	s_cselect_b64 s[4:5], -1, 0
	v_cmp_gt_u32_e32 vcc, s6, v0
	s_or_b64 s[4:5], s[4:5], vcc
	s_and_saveexec_b64 s[6:7], s[4:5]
	s_cbranch_execz .LBB3490_2
; %bb.1:
	s_load_dwordx4 s[4:7], s[0:1], 0x0
	s_load_dwordx2 s[8:9], s[0:1], 0x10
	v_mov_b32_e32 v1, 0
	v_lshl_add_u64 v[0:1], s[2:3], 0, v[0:1]
	v_lshlrev_b64 v[2:3], 2, v[0:1]
	s_waitcnt lgkmcnt(0)
	v_lshl_add_u64 v[4:5], s[4:5], 0, v[2:3]
	v_lshl_add_u64 v[2:3], s[6:7], 0, v[2:3]
	global_load_dword v6, v[4:5], off
	global_load_dword v7, v[2:3], off
	v_mov_b32_e32 v2, s8
	v_mov_b32_e32 v3, s9
	v_lshl_add_u64 v[0:1], v[0:1], 3, v[2:3]
	s_waitcnt vmcnt(0)
	flat_store_dwordx2 v[0:1], v[6:7]
.LBB3490_2:
	s_endpgm
	.section	.rodata,"a",@progbits
	.p2align	6, 0x0
	.amdhsa_kernel _ZN6thrust23THRUST_200600_302600_NS11hip_rocprim14__parallel_for6kernelILj256ENS1_20__uninitialized_copy7functorINS0_12zip_iteratorINS0_5tupleINS0_6detail15normal_iteratorINS0_10device_ptrIiEEEESC_NS0_9null_typeESD_SD_SD_SD_SD_SD_SD_EEEENS9_INS0_7pointerINS7_IiiSD_SD_SD_SD_SD_SD_SD_SD_EENS1_3tagENS0_11use_defaultESJ_EEEEEElLj1EEEvT0_T1_SO_
		.amdhsa_group_segment_fixed_size 0
		.amdhsa_private_segment_fixed_size 0
		.amdhsa_kernarg_size 40
		.amdhsa_user_sgpr_count 2
		.amdhsa_user_sgpr_dispatch_ptr 0
		.amdhsa_user_sgpr_queue_ptr 0
		.amdhsa_user_sgpr_kernarg_segment_ptr 1
		.amdhsa_user_sgpr_dispatch_id 0
		.amdhsa_user_sgpr_kernarg_preload_length 0
		.amdhsa_user_sgpr_kernarg_preload_offset 0
		.amdhsa_user_sgpr_private_segment_size 0
		.amdhsa_uses_dynamic_stack 0
		.amdhsa_enable_private_segment 0
		.amdhsa_system_sgpr_workgroup_id_x 1
		.amdhsa_system_sgpr_workgroup_id_y 0
		.amdhsa_system_sgpr_workgroup_id_z 0
		.amdhsa_system_sgpr_workgroup_info 0
		.amdhsa_system_vgpr_workitem_id 0
		.amdhsa_next_free_vgpr 8
		.amdhsa_next_free_sgpr 10
		.amdhsa_accum_offset 8
		.amdhsa_reserve_vcc 1
		.amdhsa_float_round_mode_32 0
		.amdhsa_float_round_mode_16_64 0
		.amdhsa_float_denorm_mode_32 3
		.amdhsa_float_denorm_mode_16_64 3
		.amdhsa_dx10_clamp 1
		.amdhsa_ieee_mode 1
		.amdhsa_fp16_overflow 0
		.amdhsa_tg_split 0
		.amdhsa_exception_fp_ieee_invalid_op 0
		.amdhsa_exception_fp_denorm_src 0
		.amdhsa_exception_fp_ieee_div_zero 0
		.amdhsa_exception_fp_ieee_overflow 0
		.amdhsa_exception_fp_ieee_underflow 0
		.amdhsa_exception_fp_ieee_inexact 0
		.amdhsa_exception_int_div_zero 0
	.end_amdhsa_kernel
	.section	.text._ZN6thrust23THRUST_200600_302600_NS11hip_rocprim14__parallel_for6kernelILj256ENS1_20__uninitialized_copy7functorINS0_12zip_iteratorINS0_5tupleINS0_6detail15normal_iteratorINS0_10device_ptrIiEEEESC_NS0_9null_typeESD_SD_SD_SD_SD_SD_SD_EEEENS9_INS0_7pointerINS7_IiiSD_SD_SD_SD_SD_SD_SD_SD_EENS1_3tagENS0_11use_defaultESJ_EEEEEElLj1EEEvT0_T1_SO_,"axG",@progbits,_ZN6thrust23THRUST_200600_302600_NS11hip_rocprim14__parallel_for6kernelILj256ENS1_20__uninitialized_copy7functorINS0_12zip_iteratorINS0_5tupleINS0_6detail15normal_iteratorINS0_10device_ptrIiEEEESC_NS0_9null_typeESD_SD_SD_SD_SD_SD_SD_EEEENS9_INS0_7pointerINS7_IiiSD_SD_SD_SD_SD_SD_SD_SD_EENS1_3tagENS0_11use_defaultESJ_EEEEEElLj1EEEvT0_T1_SO_,comdat
.Lfunc_end3490:
	.size	_ZN6thrust23THRUST_200600_302600_NS11hip_rocprim14__parallel_for6kernelILj256ENS1_20__uninitialized_copy7functorINS0_12zip_iteratorINS0_5tupleINS0_6detail15normal_iteratorINS0_10device_ptrIiEEEESC_NS0_9null_typeESD_SD_SD_SD_SD_SD_SD_EEEENS9_INS0_7pointerINS7_IiiSD_SD_SD_SD_SD_SD_SD_SD_EENS1_3tagENS0_11use_defaultESJ_EEEEEElLj1EEEvT0_T1_SO_, .Lfunc_end3490-_ZN6thrust23THRUST_200600_302600_NS11hip_rocprim14__parallel_for6kernelILj256ENS1_20__uninitialized_copy7functorINS0_12zip_iteratorINS0_5tupleINS0_6detail15normal_iteratorINS0_10device_ptrIiEEEESC_NS0_9null_typeESD_SD_SD_SD_SD_SD_SD_EEEENS9_INS0_7pointerINS7_IiiSD_SD_SD_SD_SD_SD_SD_SD_EENS1_3tagENS0_11use_defaultESJ_EEEEEElLj1EEEvT0_T1_SO_
                                        ; -- End function
	.section	.AMDGPU.csdata,"",@progbits
; Kernel info:
; codeLenInByte = 184
; NumSgprs: 16
; NumVgprs: 8
; NumAgprs: 0
; TotalNumVgprs: 8
; ScratchSize: 0
; MemoryBound: 0
; FloatMode: 240
; IeeeMode: 1
; LDSByteSize: 0 bytes/workgroup (compile time only)
; SGPRBlocks: 1
; VGPRBlocks: 0
; NumSGPRsForWavesPerEU: 16
; NumVGPRsForWavesPerEU: 8
; AccumOffset: 8
; Occupancy: 8
; WaveLimiterHint : 0
; COMPUTE_PGM_RSRC2:SCRATCH_EN: 0
; COMPUTE_PGM_RSRC2:USER_SGPR: 2
; COMPUTE_PGM_RSRC2:TRAP_HANDLER: 0
; COMPUTE_PGM_RSRC2:TGID_X_EN: 1
; COMPUTE_PGM_RSRC2:TGID_Y_EN: 0
; COMPUTE_PGM_RSRC2:TGID_Z_EN: 0
; COMPUTE_PGM_RSRC2:TIDIG_COMP_CNT: 0
; COMPUTE_PGM_RSRC3_GFX90A:ACCUM_OFFSET: 1
; COMPUTE_PGM_RSRC3_GFX90A:TG_SPLIT: 0
	.section	.text._ZN7rocprim17ROCPRIM_400000_NS6detail17trampoline_kernelINS0_14default_configENS1_25partition_config_selectorILNS1_17partition_subalgoE3EN6thrust23THRUST_200600_302600_NS5tupleIiiNS7_9null_typeES9_S9_S9_S9_S9_S9_S9_EENS0_10empty_typeEbEEZZNS1_14partition_implILS5_3ELb0ES3_jNS7_6detail15normal_iteratorINS7_7pointerISA_NS7_11hip_rocprim3tagENS7_11use_defaultESJ_EEEEPSB_SM_NS0_5tupleIJPSA_SM_EEENSN_IJSM_SM_EEESB_PlJ10is_orderedEEE10hipError_tPvRmT3_T4_T5_T6_T7_T9_mT8_P12ihipStream_tbDpT10_ENKUlT_T0_E_clISt17integral_constantIbLb0EES1C_EEDaS17_S18_EUlS17_E_NS1_11comp_targetILNS1_3genE0ELNS1_11target_archE4294967295ELNS1_3gpuE0ELNS1_3repE0EEENS1_30default_config_static_selectorELNS0_4arch9wavefront6targetE1EEEvT1_,"axG",@progbits,_ZN7rocprim17ROCPRIM_400000_NS6detail17trampoline_kernelINS0_14default_configENS1_25partition_config_selectorILNS1_17partition_subalgoE3EN6thrust23THRUST_200600_302600_NS5tupleIiiNS7_9null_typeES9_S9_S9_S9_S9_S9_S9_EENS0_10empty_typeEbEEZZNS1_14partition_implILS5_3ELb0ES3_jNS7_6detail15normal_iteratorINS7_7pointerISA_NS7_11hip_rocprim3tagENS7_11use_defaultESJ_EEEEPSB_SM_NS0_5tupleIJPSA_SM_EEENSN_IJSM_SM_EEESB_PlJ10is_orderedEEE10hipError_tPvRmT3_T4_T5_T6_T7_T9_mT8_P12ihipStream_tbDpT10_ENKUlT_T0_E_clISt17integral_constantIbLb0EES1C_EEDaS17_S18_EUlS17_E_NS1_11comp_targetILNS1_3genE0ELNS1_11target_archE4294967295ELNS1_3gpuE0ELNS1_3repE0EEENS1_30default_config_static_selectorELNS0_4arch9wavefront6targetE1EEEvT1_,comdat
	.protected	_ZN7rocprim17ROCPRIM_400000_NS6detail17trampoline_kernelINS0_14default_configENS1_25partition_config_selectorILNS1_17partition_subalgoE3EN6thrust23THRUST_200600_302600_NS5tupleIiiNS7_9null_typeES9_S9_S9_S9_S9_S9_S9_EENS0_10empty_typeEbEEZZNS1_14partition_implILS5_3ELb0ES3_jNS7_6detail15normal_iteratorINS7_7pointerISA_NS7_11hip_rocprim3tagENS7_11use_defaultESJ_EEEEPSB_SM_NS0_5tupleIJPSA_SM_EEENSN_IJSM_SM_EEESB_PlJ10is_orderedEEE10hipError_tPvRmT3_T4_T5_T6_T7_T9_mT8_P12ihipStream_tbDpT10_ENKUlT_T0_E_clISt17integral_constantIbLb0EES1C_EEDaS17_S18_EUlS17_E_NS1_11comp_targetILNS1_3genE0ELNS1_11target_archE4294967295ELNS1_3gpuE0ELNS1_3repE0EEENS1_30default_config_static_selectorELNS0_4arch9wavefront6targetE1EEEvT1_ ; -- Begin function _ZN7rocprim17ROCPRIM_400000_NS6detail17trampoline_kernelINS0_14default_configENS1_25partition_config_selectorILNS1_17partition_subalgoE3EN6thrust23THRUST_200600_302600_NS5tupleIiiNS7_9null_typeES9_S9_S9_S9_S9_S9_S9_EENS0_10empty_typeEbEEZZNS1_14partition_implILS5_3ELb0ES3_jNS7_6detail15normal_iteratorINS7_7pointerISA_NS7_11hip_rocprim3tagENS7_11use_defaultESJ_EEEEPSB_SM_NS0_5tupleIJPSA_SM_EEENSN_IJSM_SM_EEESB_PlJ10is_orderedEEE10hipError_tPvRmT3_T4_T5_T6_T7_T9_mT8_P12ihipStream_tbDpT10_ENKUlT_T0_E_clISt17integral_constantIbLb0EES1C_EEDaS17_S18_EUlS17_E_NS1_11comp_targetILNS1_3genE0ELNS1_11target_archE4294967295ELNS1_3gpuE0ELNS1_3repE0EEENS1_30default_config_static_selectorELNS0_4arch9wavefront6targetE1EEEvT1_
	.globl	_ZN7rocprim17ROCPRIM_400000_NS6detail17trampoline_kernelINS0_14default_configENS1_25partition_config_selectorILNS1_17partition_subalgoE3EN6thrust23THRUST_200600_302600_NS5tupleIiiNS7_9null_typeES9_S9_S9_S9_S9_S9_S9_EENS0_10empty_typeEbEEZZNS1_14partition_implILS5_3ELb0ES3_jNS7_6detail15normal_iteratorINS7_7pointerISA_NS7_11hip_rocprim3tagENS7_11use_defaultESJ_EEEEPSB_SM_NS0_5tupleIJPSA_SM_EEENSN_IJSM_SM_EEESB_PlJ10is_orderedEEE10hipError_tPvRmT3_T4_T5_T6_T7_T9_mT8_P12ihipStream_tbDpT10_ENKUlT_T0_E_clISt17integral_constantIbLb0EES1C_EEDaS17_S18_EUlS17_E_NS1_11comp_targetILNS1_3genE0ELNS1_11target_archE4294967295ELNS1_3gpuE0ELNS1_3repE0EEENS1_30default_config_static_selectorELNS0_4arch9wavefront6targetE1EEEvT1_
	.p2align	8
	.type	_ZN7rocprim17ROCPRIM_400000_NS6detail17trampoline_kernelINS0_14default_configENS1_25partition_config_selectorILNS1_17partition_subalgoE3EN6thrust23THRUST_200600_302600_NS5tupleIiiNS7_9null_typeES9_S9_S9_S9_S9_S9_S9_EENS0_10empty_typeEbEEZZNS1_14partition_implILS5_3ELb0ES3_jNS7_6detail15normal_iteratorINS7_7pointerISA_NS7_11hip_rocprim3tagENS7_11use_defaultESJ_EEEEPSB_SM_NS0_5tupleIJPSA_SM_EEENSN_IJSM_SM_EEESB_PlJ10is_orderedEEE10hipError_tPvRmT3_T4_T5_T6_T7_T9_mT8_P12ihipStream_tbDpT10_ENKUlT_T0_E_clISt17integral_constantIbLb0EES1C_EEDaS17_S18_EUlS17_E_NS1_11comp_targetILNS1_3genE0ELNS1_11target_archE4294967295ELNS1_3gpuE0ELNS1_3repE0EEENS1_30default_config_static_selectorELNS0_4arch9wavefront6targetE1EEEvT1_,@function
_ZN7rocprim17ROCPRIM_400000_NS6detail17trampoline_kernelINS0_14default_configENS1_25partition_config_selectorILNS1_17partition_subalgoE3EN6thrust23THRUST_200600_302600_NS5tupleIiiNS7_9null_typeES9_S9_S9_S9_S9_S9_S9_EENS0_10empty_typeEbEEZZNS1_14partition_implILS5_3ELb0ES3_jNS7_6detail15normal_iteratorINS7_7pointerISA_NS7_11hip_rocprim3tagENS7_11use_defaultESJ_EEEEPSB_SM_NS0_5tupleIJPSA_SM_EEENSN_IJSM_SM_EEESB_PlJ10is_orderedEEE10hipError_tPvRmT3_T4_T5_T6_T7_T9_mT8_P12ihipStream_tbDpT10_ENKUlT_T0_E_clISt17integral_constantIbLb0EES1C_EEDaS17_S18_EUlS17_E_NS1_11comp_targetILNS1_3genE0ELNS1_11target_archE4294967295ELNS1_3gpuE0ELNS1_3repE0EEENS1_30default_config_static_selectorELNS0_4arch9wavefront6targetE1EEEvT1_: ; @_ZN7rocprim17ROCPRIM_400000_NS6detail17trampoline_kernelINS0_14default_configENS1_25partition_config_selectorILNS1_17partition_subalgoE3EN6thrust23THRUST_200600_302600_NS5tupleIiiNS7_9null_typeES9_S9_S9_S9_S9_S9_S9_EENS0_10empty_typeEbEEZZNS1_14partition_implILS5_3ELb0ES3_jNS7_6detail15normal_iteratorINS7_7pointerISA_NS7_11hip_rocprim3tagENS7_11use_defaultESJ_EEEEPSB_SM_NS0_5tupleIJPSA_SM_EEENSN_IJSM_SM_EEESB_PlJ10is_orderedEEE10hipError_tPvRmT3_T4_T5_T6_T7_T9_mT8_P12ihipStream_tbDpT10_ENKUlT_T0_E_clISt17integral_constantIbLb0EES1C_EEDaS17_S18_EUlS17_E_NS1_11comp_targetILNS1_3genE0ELNS1_11target_archE4294967295ELNS1_3gpuE0ELNS1_3repE0EEENS1_30default_config_static_selectorELNS0_4arch9wavefront6targetE1EEEvT1_
; %bb.0:
	.section	.rodata,"a",@progbits
	.p2align	6, 0x0
	.amdhsa_kernel _ZN7rocprim17ROCPRIM_400000_NS6detail17trampoline_kernelINS0_14default_configENS1_25partition_config_selectorILNS1_17partition_subalgoE3EN6thrust23THRUST_200600_302600_NS5tupleIiiNS7_9null_typeES9_S9_S9_S9_S9_S9_S9_EENS0_10empty_typeEbEEZZNS1_14partition_implILS5_3ELb0ES3_jNS7_6detail15normal_iteratorINS7_7pointerISA_NS7_11hip_rocprim3tagENS7_11use_defaultESJ_EEEEPSB_SM_NS0_5tupleIJPSA_SM_EEENSN_IJSM_SM_EEESB_PlJ10is_orderedEEE10hipError_tPvRmT3_T4_T5_T6_T7_T9_mT8_P12ihipStream_tbDpT10_ENKUlT_T0_E_clISt17integral_constantIbLb0EES1C_EEDaS17_S18_EUlS17_E_NS1_11comp_targetILNS1_3genE0ELNS1_11target_archE4294967295ELNS1_3gpuE0ELNS1_3repE0EEENS1_30default_config_static_selectorELNS0_4arch9wavefront6targetE1EEEvT1_
		.amdhsa_group_segment_fixed_size 0
		.amdhsa_private_segment_fixed_size 0
		.amdhsa_kernarg_size 120
		.amdhsa_user_sgpr_count 2
		.amdhsa_user_sgpr_dispatch_ptr 0
		.amdhsa_user_sgpr_queue_ptr 0
		.amdhsa_user_sgpr_kernarg_segment_ptr 1
		.amdhsa_user_sgpr_dispatch_id 0
		.amdhsa_user_sgpr_kernarg_preload_length 0
		.amdhsa_user_sgpr_kernarg_preload_offset 0
		.amdhsa_user_sgpr_private_segment_size 0
		.amdhsa_uses_dynamic_stack 0
		.amdhsa_enable_private_segment 0
		.amdhsa_system_sgpr_workgroup_id_x 1
		.amdhsa_system_sgpr_workgroup_id_y 0
		.amdhsa_system_sgpr_workgroup_id_z 0
		.amdhsa_system_sgpr_workgroup_info 0
		.amdhsa_system_vgpr_workitem_id 0
		.amdhsa_next_free_vgpr 1
		.amdhsa_next_free_sgpr 0
		.amdhsa_accum_offset 4
		.amdhsa_reserve_vcc 0
		.amdhsa_float_round_mode_32 0
		.amdhsa_float_round_mode_16_64 0
		.amdhsa_float_denorm_mode_32 3
		.amdhsa_float_denorm_mode_16_64 3
		.amdhsa_dx10_clamp 1
		.amdhsa_ieee_mode 1
		.amdhsa_fp16_overflow 0
		.amdhsa_tg_split 0
		.amdhsa_exception_fp_ieee_invalid_op 0
		.amdhsa_exception_fp_denorm_src 0
		.amdhsa_exception_fp_ieee_div_zero 0
		.amdhsa_exception_fp_ieee_overflow 0
		.amdhsa_exception_fp_ieee_underflow 0
		.amdhsa_exception_fp_ieee_inexact 0
		.amdhsa_exception_int_div_zero 0
	.end_amdhsa_kernel
	.section	.text._ZN7rocprim17ROCPRIM_400000_NS6detail17trampoline_kernelINS0_14default_configENS1_25partition_config_selectorILNS1_17partition_subalgoE3EN6thrust23THRUST_200600_302600_NS5tupleIiiNS7_9null_typeES9_S9_S9_S9_S9_S9_S9_EENS0_10empty_typeEbEEZZNS1_14partition_implILS5_3ELb0ES3_jNS7_6detail15normal_iteratorINS7_7pointerISA_NS7_11hip_rocprim3tagENS7_11use_defaultESJ_EEEEPSB_SM_NS0_5tupleIJPSA_SM_EEENSN_IJSM_SM_EEESB_PlJ10is_orderedEEE10hipError_tPvRmT3_T4_T5_T6_T7_T9_mT8_P12ihipStream_tbDpT10_ENKUlT_T0_E_clISt17integral_constantIbLb0EES1C_EEDaS17_S18_EUlS17_E_NS1_11comp_targetILNS1_3genE0ELNS1_11target_archE4294967295ELNS1_3gpuE0ELNS1_3repE0EEENS1_30default_config_static_selectorELNS0_4arch9wavefront6targetE1EEEvT1_,"axG",@progbits,_ZN7rocprim17ROCPRIM_400000_NS6detail17trampoline_kernelINS0_14default_configENS1_25partition_config_selectorILNS1_17partition_subalgoE3EN6thrust23THRUST_200600_302600_NS5tupleIiiNS7_9null_typeES9_S9_S9_S9_S9_S9_S9_EENS0_10empty_typeEbEEZZNS1_14partition_implILS5_3ELb0ES3_jNS7_6detail15normal_iteratorINS7_7pointerISA_NS7_11hip_rocprim3tagENS7_11use_defaultESJ_EEEEPSB_SM_NS0_5tupleIJPSA_SM_EEENSN_IJSM_SM_EEESB_PlJ10is_orderedEEE10hipError_tPvRmT3_T4_T5_T6_T7_T9_mT8_P12ihipStream_tbDpT10_ENKUlT_T0_E_clISt17integral_constantIbLb0EES1C_EEDaS17_S18_EUlS17_E_NS1_11comp_targetILNS1_3genE0ELNS1_11target_archE4294967295ELNS1_3gpuE0ELNS1_3repE0EEENS1_30default_config_static_selectorELNS0_4arch9wavefront6targetE1EEEvT1_,comdat
.Lfunc_end3491:
	.size	_ZN7rocprim17ROCPRIM_400000_NS6detail17trampoline_kernelINS0_14default_configENS1_25partition_config_selectorILNS1_17partition_subalgoE3EN6thrust23THRUST_200600_302600_NS5tupleIiiNS7_9null_typeES9_S9_S9_S9_S9_S9_S9_EENS0_10empty_typeEbEEZZNS1_14partition_implILS5_3ELb0ES3_jNS7_6detail15normal_iteratorINS7_7pointerISA_NS7_11hip_rocprim3tagENS7_11use_defaultESJ_EEEEPSB_SM_NS0_5tupleIJPSA_SM_EEENSN_IJSM_SM_EEESB_PlJ10is_orderedEEE10hipError_tPvRmT3_T4_T5_T6_T7_T9_mT8_P12ihipStream_tbDpT10_ENKUlT_T0_E_clISt17integral_constantIbLb0EES1C_EEDaS17_S18_EUlS17_E_NS1_11comp_targetILNS1_3genE0ELNS1_11target_archE4294967295ELNS1_3gpuE0ELNS1_3repE0EEENS1_30default_config_static_selectorELNS0_4arch9wavefront6targetE1EEEvT1_, .Lfunc_end3491-_ZN7rocprim17ROCPRIM_400000_NS6detail17trampoline_kernelINS0_14default_configENS1_25partition_config_selectorILNS1_17partition_subalgoE3EN6thrust23THRUST_200600_302600_NS5tupleIiiNS7_9null_typeES9_S9_S9_S9_S9_S9_S9_EENS0_10empty_typeEbEEZZNS1_14partition_implILS5_3ELb0ES3_jNS7_6detail15normal_iteratorINS7_7pointerISA_NS7_11hip_rocprim3tagENS7_11use_defaultESJ_EEEEPSB_SM_NS0_5tupleIJPSA_SM_EEENSN_IJSM_SM_EEESB_PlJ10is_orderedEEE10hipError_tPvRmT3_T4_T5_T6_T7_T9_mT8_P12ihipStream_tbDpT10_ENKUlT_T0_E_clISt17integral_constantIbLb0EES1C_EEDaS17_S18_EUlS17_E_NS1_11comp_targetILNS1_3genE0ELNS1_11target_archE4294967295ELNS1_3gpuE0ELNS1_3repE0EEENS1_30default_config_static_selectorELNS0_4arch9wavefront6targetE1EEEvT1_
                                        ; -- End function
	.section	.AMDGPU.csdata,"",@progbits
; Kernel info:
; codeLenInByte = 0
; NumSgprs: 6
; NumVgprs: 0
; NumAgprs: 0
; TotalNumVgprs: 0
; ScratchSize: 0
; MemoryBound: 0
; FloatMode: 240
; IeeeMode: 1
; LDSByteSize: 0 bytes/workgroup (compile time only)
; SGPRBlocks: 0
; VGPRBlocks: 0
; NumSGPRsForWavesPerEU: 6
; NumVGPRsForWavesPerEU: 1
; AccumOffset: 4
; Occupancy: 8
; WaveLimiterHint : 0
; COMPUTE_PGM_RSRC2:SCRATCH_EN: 0
; COMPUTE_PGM_RSRC2:USER_SGPR: 2
; COMPUTE_PGM_RSRC2:TRAP_HANDLER: 0
; COMPUTE_PGM_RSRC2:TGID_X_EN: 1
; COMPUTE_PGM_RSRC2:TGID_Y_EN: 0
; COMPUTE_PGM_RSRC2:TGID_Z_EN: 0
; COMPUTE_PGM_RSRC2:TIDIG_COMP_CNT: 0
; COMPUTE_PGM_RSRC3_GFX90A:ACCUM_OFFSET: 0
; COMPUTE_PGM_RSRC3_GFX90A:TG_SPLIT: 0
	.section	.text._ZN7rocprim17ROCPRIM_400000_NS6detail17trampoline_kernelINS0_14default_configENS1_25partition_config_selectorILNS1_17partition_subalgoE3EN6thrust23THRUST_200600_302600_NS5tupleIiiNS7_9null_typeES9_S9_S9_S9_S9_S9_S9_EENS0_10empty_typeEbEEZZNS1_14partition_implILS5_3ELb0ES3_jNS7_6detail15normal_iteratorINS7_7pointerISA_NS7_11hip_rocprim3tagENS7_11use_defaultESJ_EEEEPSB_SM_NS0_5tupleIJPSA_SM_EEENSN_IJSM_SM_EEESB_PlJ10is_orderedEEE10hipError_tPvRmT3_T4_T5_T6_T7_T9_mT8_P12ihipStream_tbDpT10_ENKUlT_T0_E_clISt17integral_constantIbLb0EES1C_EEDaS17_S18_EUlS17_E_NS1_11comp_targetILNS1_3genE5ELNS1_11target_archE942ELNS1_3gpuE9ELNS1_3repE0EEENS1_30default_config_static_selectorELNS0_4arch9wavefront6targetE1EEEvT1_,"axG",@progbits,_ZN7rocprim17ROCPRIM_400000_NS6detail17trampoline_kernelINS0_14default_configENS1_25partition_config_selectorILNS1_17partition_subalgoE3EN6thrust23THRUST_200600_302600_NS5tupleIiiNS7_9null_typeES9_S9_S9_S9_S9_S9_S9_EENS0_10empty_typeEbEEZZNS1_14partition_implILS5_3ELb0ES3_jNS7_6detail15normal_iteratorINS7_7pointerISA_NS7_11hip_rocprim3tagENS7_11use_defaultESJ_EEEEPSB_SM_NS0_5tupleIJPSA_SM_EEENSN_IJSM_SM_EEESB_PlJ10is_orderedEEE10hipError_tPvRmT3_T4_T5_T6_T7_T9_mT8_P12ihipStream_tbDpT10_ENKUlT_T0_E_clISt17integral_constantIbLb0EES1C_EEDaS17_S18_EUlS17_E_NS1_11comp_targetILNS1_3genE5ELNS1_11target_archE942ELNS1_3gpuE9ELNS1_3repE0EEENS1_30default_config_static_selectorELNS0_4arch9wavefront6targetE1EEEvT1_,comdat
	.protected	_ZN7rocprim17ROCPRIM_400000_NS6detail17trampoline_kernelINS0_14default_configENS1_25partition_config_selectorILNS1_17partition_subalgoE3EN6thrust23THRUST_200600_302600_NS5tupleIiiNS7_9null_typeES9_S9_S9_S9_S9_S9_S9_EENS0_10empty_typeEbEEZZNS1_14partition_implILS5_3ELb0ES3_jNS7_6detail15normal_iteratorINS7_7pointerISA_NS7_11hip_rocprim3tagENS7_11use_defaultESJ_EEEEPSB_SM_NS0_5tupleIJPSA_SM_EEENSN_IJSM_SM_EEESB_PlJ10is_orderedEEE10hipError_tPvRmT3_T4_T5_T6_T7_T9_mT8_P12ihipStream_tbDpT10_ENKUlT_T0_E_clISt17integral_constantIbLb0EES1C_EEDaS17_S18_EUlS17_E_NS1_11comp_targetILNS1_3genE5ELNS1_11target_archE942ELNS1_3gpuE9ELNS1_3repE0EEENS1_30default_config_static_selectorELNS0_4arch9wavefront6targetE1EEEvT1_ ; -- Begin function _ZN7rocprim17ROCPRIM_400000_NS6detail17trampoline_kernelINS0_14default_configENS1_25partition_config_selectorILNS1_17partition_subalgoE3EN6thrust23THRUST_200600_302600_NS5tupleIiiNS7_9null_typeES9_S9_S9_S9_S9_S9_S9_EENS0_10empty_typeEbEEZZNS1_14partition_implILS5_3ELb0ES3_jNS7_6detail15normal_iteratorINS7_7pointerISA_NS7_11hip_rocprim3tagENS7_11use_defaultESJ_EEEEPSB_SM_NS0_5tupleIJPSA_SM_EEENSN_IJSM_SM_EEESB_PlJ10is_orderedEEE10hipError_tPvRmT3_T4_T5_T6_T7_T9_mT8_P12ihipStream_tbDpT10_ENKUlT_T0_E_clISt17integral_constantIbLb0EES1C_EEDaS17_S18_EUlS17_E_NS1_11comp_targetILNS1_3genE5ELNS1_11target_archE942ELNS1_3gpuE9ELNS1_3repE0EEENS1_30default_config_static_selectorELNS0_4arch9wavefront6targetE1EEEvT1_
	.globl	_ZN7rocprim17ROCPRIM_400000_NS6detail17trampoline_kernelINS0_14default_configENS1_25partition_config_selectorILNS1_17partition_subalgoE3EN6thrust23THRUST_200600_302600_NS5tupleIiiNS7_9null_typeES9_S9_S9_S9_S9_S9_S9_EENS0_10empty_typeEbEEZZNS1_14partition_implILS5_3ELb0ES3_jNS7_6detail15normal_iteratorINS7_7pointerISA_NS7_11hip_rocprim3tagENS7_11use_defaultESJ_EEEEPSB_SM_NS0_5tupleIJPSA_SM_EEENSN_IJSM_SM_EEESB_PlJ10is_orderedEEE10hipError_tPvRmT3_T4_T5_T6_T7_T9_mT8_P12ihipStream_tbDpT10_ENKUlT_T0_E_clISt17integral_constantIbLb0EES1C_EEDaS17_S18_EUlS17_E_NS1_11comp_targetILNS1_3genE5ELNS1_11target_archE942ELNS1_3gpuE9ELNS1_3repE0EEENS1_30default_config_static_selectorELNS0_4arch9wavefront6targetE1EEEvT1_
	.p2align	8
	.type	_ZN7rocprim17ROCPRIM_400000_NS6detail17trampoline_kernelINS0_14default_configENS1_25partition_config_selectorILNS1_17partition_subalgoE3EN6thrust23THRUST_200600_302600_NS5tupleIiiNS7_9null_typeES9_S9_S9_S9_S9_S9_S9_EENS0_10empty_typeEbEEZZNS1_14partition_implILS5_3ELb0ES3_jNS7_6detail15normal_iteratorINS7_7pointerISA_NS7_11hip_rocprim3tagENS7_11use_defaultESJ_EEEEPSB_SM_NS0_5tupleIJPSA_SM_EEENSN_IJSM_SM_EEESB_PlJ10is_orderedEEE10hipError_tPvRmT3_T4_T5_T6_T7_T9_mT8_P12ihipStream_tbDpT10_ENKUlT_T0_E_clISt17integral_constantIbLb0EES1C_EEDaS17_S18_EUlS17_E_NS1_11comp_targetILNS1_3genE5ELNS1_11target_archE942ELNS1_3gpuE9ELNS1_3repE0EEENS1_30default_config_static_selectorELNS0_4arch9wavefront6targetE1EEEvT1_,@function
_ZN7rocprim17ROCPRIM_400000_NS6detail17trampoline_kernelINS0_14default_configENS1_25partition_config_selectorILNS1_17partition_subalgoE3EN6thrust23THRUST_200600_302600_NS5tupleIiiNS7_9null_typeES9_S9_S9_S9_S9_S9_S9_EENS0_10empty_typeEbEEZZNS1_14partition_implILS5_3ELb0ES3_jNS7_6detail15normal_iteratorINS7_7pointerISA_NS7_11hip_rocprim3tagENS7_11use_defaultESJ_EEEEPSB_SM_NS0_5tupleIJPSA_SM_EEENSN_IJSM_SM_EEESB_PlJ10is_orderedEEE10hipError_tPvRmT3_T4_T5_T6_T7_T9_mT8_P12ihipStream_tbDpT10_ENKUlT_T0_E_clISt17integral_constantIbLb0EES1C_EEDaS17_S18_EUlS17_E_NS1_11comp_targetILNS1_3genE5ELNS1_11target_archE942ELNS1_3gpuE9ELNS1_3repE0EEENS1_30default_config_static_selectorELNS0_4arch9wavefront6targetE1EEEvT1_: ; @_ZN7rocprim17ROCPRIM_400000_NS6detail17trampoline_kernelINS0_14default_configENS1_25partition_config_selectorILNS1_17partition_subalgoE3EN6thrust23THRUST_200600_302600_NS5tupleIiiNS7_9null_typeES9_S9_S9_S9_S9_S9_S9_EENS0_10empty_typeEbEEZZNS1_14partition_implILS5_3ELb0ES3_jNS7_6detail15normal_iteratorINS7_7pointerISA_NS7_11hip_rocprim3tagENS7_11use_defaultESJ_EEEEPSB_SM_NS0_5tupleIJPSA_SM_EEENSN_IJSM_SM_EEESB_PlJ10is_orderedEEE10hipError_tPvRmT3_T4_T5_T6_T7_T9_mT8_P12ihipStream_tbDpT10_ENKUlT_T0_E_clISt17integral_constantIbLb0EES1C_EEDaS17_S18_EUlS17_E_NS1_11comp_targetILNS1_3genE5ELNS1_11target_archE942ELNS1_3gpuE9ELNS1_3repE0EEENS1_30default_config_static_selectorELNS0_4arch9wavefront6targetE1EEEvT1_
; %bb.0:
	s_load_dwordx4 s[20:23], s[0:1], 0x8
	s_load_dwordx4 s[24:27], s[0:1], 0x48
	s_load_dwordx2 s[28:29], s[0:1], 0x58
	s_load_dword s3, s[0:1], 0x70
	s_mov_b32 s35, 0
	s_waitcnt lgkmcnt(0)
	s_lshl_b64 s[4:5], s[22:23], 3
	s_add_u32 s8, s20, s4
	s_addc_u32 s9, s21, s5
	s_add_i32 s6, s3, -1
	s_mulk_i32 s3, 0xe00
	s_add_i32 s4, s3, s22
	s_sub_i32 s33, s28, s4
	s_addk_i32 s33, 0xe00
	s_add_u32 s4, s22, s3
	s_addc_u32 s5, s23, 0
	s_cmp_eq_u32 s2, s6
	s_load_dwordx2 s[30:31], s[26:27], 0x0
	s_cselect_b64 s[26:27], -1, 0
	s_cmp_lg_u32 s2, s6
	v_mov_b64_e32 v[2:3], s[28:29]
	s_cselect_b64 s[6:7], -1, 0
	s_mul_i32 s34, s2, 0xe00
	v_cmp_lt_u64_e32 vcc, s[4:5], v[2:3]
	s_or_b64 s[6:7], s[6:7], vcc
	s_lshl_b64 s[4:5], s[34:35], 3
	s_add_u32 s8, s8, s4
	s_addc_u32 s9, s9, s5
	s_mov_b64 s[4:5], -1
	s_and_b64 vcc, exec, s[6:7]
	v_lshlrev_b32_e32 v14, 3, v0
	s_cbranch_vccz .LBB3492_2
; %bb.1:
	v_mov_b32_e32 v15, 0
	v_lshl_add_u64 v[2:3], s[8:9], 0, v[14:15]
	v_add_co_u32_e32 v4, vcc, 0x1000, v2
	s_mov_b64 s[4:5], 0
	s_nop 0
	v_addc_co_u32_e32 v5, vcc, 0, v3, vcc
	v_add_co_u32_e32 v6, vcc, 0x2000, v2
	s_nop 1
	v_addc_co_u32_e32 v7, vcc, 0, v3, vcc
	v_add_co_u32_e32 v8, vcc, 0x3000, v2
	s_nop 1
	v_addc_co_u32_e32 v9, vcc, 0, v3, vcc
	flat_load_dwordx2 v[10:11], v[2:3]
	flat_load_dwordx2 v[12:13], v[4:5]
	;; [unrolled: 1-line block ×4, first 2 shown]
	v_add_co_u32_e32 v4, vcc, 0x4000, v2
	s_nop 1
	v_addc_co_u32_e32 v5, vcc, 0, v3, vcc
	v_add_co_u32_e32 v6, vcc, 0x5000, v2
	s_nop 1
	v_addc_co_u32_e32 v7, vcc, 0, v3, vcc
	v_add_co_u32_e32 v2, vcc, 0x6000, v2
	s_nop 1
	v_addc_co_u32_e32 v3, vcc, 0, v3, vcc
	flat_load_dwordx2 v[8:9], v[4:5]
	flat_load_dwordx2 v[20:21], v[6:7]
	;; [unrolled: 1-line block ×3, first 2 shown]
	s_waitcnt vmcnt(0) lgkmcnt(0)
	ds_write2st64_b64 v14, v[10:11], v[12:13] offset1:8
	ds_write2st64_b64 v14, v[16:17], v[18:19] offset0:16 offset1:24
	ds_write2st64_b64 v14, v[8:9], v[20:21] offset0:32 offset1:40
	ds_write_b64 v14, v[22:23] offset:24576
	s_waitcnt lgkmcnt(0)
	s_barrier
.LBB3492_2:
	s_andn2_b64 vcc, exec, s[4:5]
	v_cmp_gt_u32_e64 s[4:5], s33, v0
	s_cbranch_vccnz .LBB3492_18
; %bb.3:
	v_mov_b64_e32 v[4:5], 0
	v_mov_b64_e32 v[2:3], v[4:5]
	s_and_saveexec_b64 s[10:11], s[4:5]
	s_cbranch_execz .LBB3492_5
; %bb.4:
	v_mov_b32_e32 v15, 0
	v_lshl_add_u64 v[2:3], s[8:9], 0, v[14:15]
	flat_load_dwordx2 v[2:3], v[2:3]
.LBB3492_5:
	s_or_b64 exec, exec, s[10:11]
	v_or_b32_e32 v1, 0x200, v0
	v_cmp_gt_u32_e32 vcc, s33, v1
	s_and_saveexec_b64 s[4:5], vcc
	s_cbranch_execz .LBB3492_7
; %bb.6:
	v_lshlrev_b32_e32 v4, 3, v1
	v_mov_b32_e32 v5, 0
	v_lshl_add_u64 v[4:5], s[8:9], 0, v[4:5]
	flat_load_dwordx2 v[4:5], v[4:5]
.LBB3492_7:
	s_or_b64 exec, exec, s[4:5]
	v_or_b32_e32 v1, 0x400, v0
	v_mov_b64_e32 v[6:7], 0
	v_cmp_gt_u32_e32 vcc, s33, v1
	v_mov_b64_e32 v[8:9], v[6:7]
	s_and_saveexec_b64 s[4:5], vcc
	s_cbranch_execz .LBB3492_9
; %bb.8:
	v_lshlrev_b32_e32 v8, 3, v1
	v_mov_b32_e32 v9, 0
	v_lshl_add_u64 v[8:9], s[8:9], 0, v[8:9]
	flat_load_dwordx2 v[8:9], v[8:9]
.LBB3492_9:
	s_or_b64 exec, exec, s[4:5]
	v_or_b32_e32 v1, 0x600, v0
	v_cmp_gt_u32_e32 vcc, s33, v1
	s_and_saveexec_b64 s[4:5], vcc
	s_cbranch_execz .LBB3492_11
; %bb.10:
	v_lshlrev_b32_e32 v6, 3, v1
	v_mov_b32_e32 v7, 0
	v_lshl_add_u64 v[6:7], s[8:9], 0, v[6:7]
	flat_load_dwordx2 v[6:7], v[6:7]
.LBB3492_11:
	s_or_b64 exec, exec, s[4:5]
	v_or_b32_e32 v1, 0x800, v0
	v_mov_b64_e32 v[10:11], 0
	v_cmp_gt_u32_e32 vcc, s33, v1
	v_mov_b64_e32 v[12:13], v[10:11]
	s_and_saveexec_b64 s[4:5], vcc
	s_cbranch_execz .LBB3492_13
; %bb.12:
	v_lshlrev_b32_e32 v12, 3, v1
	v_mov_b32_e32 v13, 0
	v_lshl_add_u64 v[12:13], s[8:9], 0, v[12:13]
	flat_load_dwordx2 v[12:13], v[12:13]
.LBB3492_13:
	s_or_b64 exec, exec, s[4:5]
	v_or_b32_e32 v1, 0xa00, v0
	v_cmp_gt_u32_e32 vcc, s33, v1
	s_and_saveexec_b64 s[4:5], vcc
	s_cbranch_execz .LBB3492_15
; %bb.14:
	v_lshlrev_b32_e32 v10, 3, v1
	v_mov_b32_e32 v11, 0
	v_lshl_add_u64 v[10:11], s[8:9], 0, v[10:11]
	flat_load_dwordx2 v[10:11], v[10:11]
.LBB3492_15:
	s_or_b64 exec, exec, s[4:5]
	v_or_b32_e32 v1, 0xc00, v0
	v_cmp_gt_u32_e32 vcc, s33, v1
	v_mov_b64_e32 v[16:17], 0
	s_and_saveexec_b64 s[4:5], vcc
	s_cbranch_execz .LBB3492_17
; %bb.16:
	v_lshlrev_b32_e32 v16, 3, v1
	v_mov_b32_e32 v17, 0
	v_lshl_add_u64 v[16:17], s[8:9], 0, v[16:17]
	flat_load_dwordx2 v[16:17], v[16:17]
.LBB3492_17:
	s_or_b64 exec, exec, s[4:5]
	s_waitcnt vmcnt(0) lgkmcnt(0)
	ds_write2st64_b64 v14, v[2:3], v[4:5] offset1:8
	ds_write2st64_b64 v14, v[8:9], v[6:7] offset0:16 offset1:24
	ds_write2st64_b64 v14, v[12:13], v[10:11] offset0:32 offset1:40
	ds_write_b64 v14, v[16:17] offset:24576
	s_waitcnt lgkmcnt(0)
	s_barrier
.LBB3492_18:
	v_mul_u32_u24_e32 v1, 7, v0
	v_lshlrev_b32_e32 v30, 3, v1
	s_waitcnt lgkmcnt(0)
	ds_read2_b64 v[10:13], v30 offset1:1
	ds_read2_b64 v[6:9], v30 offset0:2 offset1:3
	ds_read2_b64 v[2:5], v30 offset0:4 offset1:5
	ds_read_b64 v[18:19], v30 offset:48
	v_cndmask_b32_e64 v15, 0, 1, s[6:7]
	v_cmp_ne_u32_e64 s[20:21], 1, v15
	s_andn2_b64 vcc, exec, s[6:7]
	s_waitcnt lgkmcnt(3)
	v_cmp_le_i32_e64 s[6:7], v10, v11
	v_cmp_le_i32_e64 s[8:9], v12, v13
	s_waitcnt lgkmcnt(2)
	v_cmp_le_i32_e64 s[10:11], v6, v7
	v_cmp_le_i32_e64 s[12:13], v8, v9
	;; [unrolled: 3-line block ×3, first 2 shown]
	s_waitcnt lgkmcnt(0)
	v_cmp_le_i32_e64 s[4:5], v18, v19
	s_barrier
	s_cbranch_vccnz .LBB3492_20
; %bb.19:
	v_cndmask_b32_e64 v17, 0, 1, s[8:9]
	v_cndmask_b32_e64 v16, 0, 1, s[6:7]
	;; [unrolled: 1-line block ×3, first 2 shown]
	v_lshlrev_b16_e32 v17, 8, v17
	v_cndmask_b32_e64 v20, 0, 1, s[10:11]
	v_or_b32_e32 v16, v16, v17
	v_lshlrev_b16_e32 v17, 8, v21
	v_or_b32_sdwa v17, v20, v17 dst_sel:WORD_1 dst_unused:UNUSED_PAD src0_sel:DWORD src1_sel:DWORD
	v_cndmask_b32_e64 v28, 0, 1, s[14:15]
	v_cndmask_b32_e64 v15, 0, 1, s[16:17]
	v_or_b32_sdwa v29, v16, v17 dst_sel:DWORD dst_unused:UNUSED_PAD src0_sel:WORD_0 src1_sel:DWORD
	s_and_b64 s[36:37], s[4:5], exec
	s_load_dwordx2 s[38:39], s[0:1], 0x68
	s_cbranch_execz .LBB3492_21
	s_branch .LBB3492_22
.LBB3492_20:
                                        ; implicit-def: $sgpr36_sgpr37
                                        ; implicit-def: $vgpr15
                                        ; implicit-def: $vgpr28
                                        ; implicit-def: $vgpr29
	s_load_dwordx2 s[38:39], s[0:1], 0x68
.LBB3492_21:
	v_cmp_gt_u32_e32 vcc, s33, v1
	v_cmp_le_i32_e64 s[4:5], v10, v11
	v_add_u32_e32 v15, 1, v1
	s_and_b64 s[4:5], vcc, s[4:5]
	v_cndmask_b32_e64 v23, 0, 1, s[4:5]
	v_cmp_gt_u32_e32 vcc, s33, v15
	v_cmp_le_i32_e64 s[4:5], v12, v13
	v_add_u32_e32 v16, 2, v1
	s_and_b64 s[4:5], vcc, s[4:5]
	v_cndmask_b32_e64 v24, 0, 1, s[4:5]
	;; [unrolled: 5-line block ×6, first 2 shown]
	v_cmp_gt_u32_e32 vcc, s33, v22
	v_cmp_le_i32_e64 s[4:5], v18, v19
	s_and_b64 s[4:5], vcc, s[4:5]
	v_lshlrev_b16_e32 v20, 8, v24
	v_lshlrev_b16_e32 v17, 8, v17
	v_or_b32_e32 v20, v23, v20
	v_or_b32_sdwa v16, v16, v17 dst_sel:WORD_1 dst_unused:UNUSED_PAD src0_sel:DWORD src1_sel:DWORD
	s_andn2_b64 s[6:7], s[36:37], exec
	s_and_b64 s[4:5], s[4:5], exec
	v_or_b32_sdwa v29, v20, v16 dst_sel:DWORD dst_unused:UNUSED_PAD src0_sel:WORD_0 src1_sel:DWORD
	s_or_b64 s[36:37], s[6:7], s[4:5]
.LBB3492_22:
	v_and_b32_e32 v32, 0xff, v29
	v_bfe_u32 v33, v29, 8, 8
	v_cndmask_b32_e64 v16, 0, 1, s[36:37]
	v_bfe_u32 v34, v29, 16, 8
	v_lshrrev_b32_e32 v31, 24, v29
	v_add3_u32 v16, v32, v16, v33
	v_and_b32_e32 v35, 0xff, v28
	v_and_b32_e32 v36, 0xff, v15
	v_add3_u32 v16, v16, v34, v31
	v_add3_u32 v39, v16, v35, v36
	v_mbcnt_lo_u32_b32 v16, -1, 0
	v_mbcnt_hi_u32_b32 v37, -1, v16
	v_and_b32_e32 v16, 15, v37
	v_cmp_eq_u32_e64 s[16:17], 0, v16
	v_cmp_lt_u32_e64 s[14:15], 1, v16
	v_cmp_lt_u32_e64 s[12:13], 3, v16
	;; [unrolled: 1-line block ×3, first 2 shown]
	v_and_b32_e32 v16, 16, v37
	v_cmp_eq_u32_e64 s[8:9], 0, v16
	v_or_b32_e32 v16, 63, v0
	s_cmp_lg_u32 s2, 0
	v_cmp_lt_u32_e64 s[4:5], 31, v37
	v_lshrrev_b32_e32 v38, 6, v0
	v_cmp_eq_u32_e64 s[6:7], v16, v0
	s_cbranch_scc0 .LBB3492_49
; %bb.23:
	v_mov_b32_dpp v16, v39 row_shr:1 row_mask:0xf bank_mask:0xf
	v_cndmask_b32_e64 v16, v16, 0, s[16:17]
	v_add_u32_e32 v16, v16, v39
	s_nop 1
	v_mov_b32_dpp v17, v16 row_shr:2 row_mask:0xf bank_mask:0xf
	v_cndmask_b32_e64 v17, 0, v17, s[14:15]
	v_add_u32_e32 v16, v16, v17
	s_nop 1
	;; [unrolled: 4-line block ×4, first 2 shown]
	v_mov_b32_dpp v17, v16 row_bcast:15 row_mask:0xf bank_mask:0xf
	v_cndmask_b32_e64 v17, v17, 0, s[8:9]
	v_add_u32_e32 v16, v16, v17
	s_nop 1
	v_mov_b32_dpp v17, v16 row_bcast:31 row_mask:0xf bank_mask:0xf
	v_cndmask_b32_e64 v17, 0, v17, s[4:5]
	v_add_u32_e32 v16, v16, v17
	s_and_saveexec_b64 s[18:19], s[6:7]
	s_cbranch_execz .LBB3492_25
; %bb.24:
	v_lshlrev_b32_e32 v17, 2, v38
	ds_write_b32 v17, v16
.LBB3492_25:
	s_or_b64 exec, exec, s[18:19]
	v_cmp_gt_u32_e32 vcc, 8, v0
	s_waitcnt lgkmcnt(0)
	s_barrier
	s_and_saveexec_b64 s[18:19], vcc
	s_cbranch_execz .LBB3492_27
; %bb.26:
	v_lshlrev_b32_e32 v17, 2, v0
	ds_read_b32 v20, v17
	v_and_b32_e32 v21, 7, v37
	v_cmp_ne_u32_e32 vcc, 0, v21
	s_waitcnt lgkmcnt(0)
	v_mov_b32_dpp v22, v20 row_shr:1 row_mask:0xf bank_mask:0xf
	v_cndmask_b32_e32 v22, 0, v22, vcc
	v_add_u32_e32 v20, v22, v20
	v_cmp_lt_u32_e32 vcc, 1, v21
	s_nop 0
	v_mov_b32_dpp v22, v20 row_shr:2 row_mask:0xf bank_mask:0xf
	v_cndmask_b32_e32 v22, 0, v22, vcc
	v_add_u32_e32 v20, v20, v22
	v_cmp_lt_u32_e32 vcc, 3, v21
	s_nop 0
	v_mov_b32_dpp v22, v20 row_shr:4 row_mask:0xf bank_mask:0xf
	v_cndmask_b32_e32 v21, 0, v22, vcc
	v_add_u32_e32 v20, v20, v21
	ds_write_b32 v17, v20
.LBB3492_27:
	s_or_b64 exec, exec, s[18:19]
	v_cmp_gt_u32_e32 vcc, 64, v0
	v_cmp_lt_u32_e64 s[18:19], 63, v0
	s_waitcnt lgkmcnt(0)
	s_barrier
	s_waitcnt lgkmcnt(0)
                                        ; implicit-def: $vgpr40
	s_and_saveexec_b64 s[40:41], s[18:19]
	s_cbranch_execz .LBB3492_29
; %bb.28:
	v_lshl_add_u32 v17, v38, 2, -4
	ds_read_b32 v40, v17
	s_waitcnt lgkmcnt(0)
	v_add_u32_e32 v16, v40, v16
.LBB3492_29:
	s_or_b64 exec, exec, s[40:41]
	v_add_u32_e32 v17, -1, v37
	v_and_b32_e32 v20, 64, v37
	v_cmp_lt_i32_e64 s[18:19], v17, v20
	s_nop 1
	v_cndmask_b32_e64 v17, v17, v37, s[18:19]
	v_lshlrev_b32_e32 v17, 2, v17
	ds_bpermute_b32 v41, v17, v16
	v_cmp_eq_u32_e64 s[18:19], 0, v37
	s_and_saveexec_b64 s[40:41], vcc
	s_cbranch_execz .LBB3492_48
; %bb.30:
	v_mov_b32_e32 v25, 0
	ds_read_b32 v16, v25 offset:28
	s_and_saveexec_b64 s[42:43], s[18:19]
	s_cbranch_execz .LBB3492_32
; %bb.31:
	s_add_i32 s44, s2, 64
	s_mov_b32 s45, 0
	s_lshl_b64 s[44:45], s[44:45], 3
	s_add_u32 s44, s38, s44
	v_mov_b32_e32 v17, 1
	s_addc_u32 s45, s39, s45
	s_waitcnt lgkmcnt(0)
	global_store_dwordx2 v25, v[16:17], s[44:45] sc1
.LBB3492_32:
	s_or_b64 exec, exec, s[42:43]
	v_xad_u32 v20, v37, -1, s2
	v_add_u32_e32 v24, 64, v20
	v_lshl_add_u64 v[26:27], v[24:25], 3, s[38:39]
	global_load_dwordx2 v[22:23], v[26:27], off sc1
	s_waitcnt vmcnt(0)
	v_cmp_eq_u16_sdwa s[44:45], v23, v25 src0_sel:BYTE_0 src1_sel:DWORD
	s_and_saveexec_b64 s[42:43], s[44:45]
	s_cbranch_execz .LBB3492_36
; %bb.33:
	s_mov_b64 s[44:45], 0
	v_mov_b32_e32 v17, 0
.LBB3492_34:                            ; =>This Inner Loop Header: Depth=1
	global_load_dwordx2 v[22:23], v[26:27], off sc1
	s_waitcnt vmcnt(0)
	v_cmp_ne_u16_sdwa s[46:47], v23, v17 src0_sel:BYTE_0 src1_sel:DWORD
	s_or_b64 s[44:45], s[46:47], s[44:45]
	s_andn2_b64 exec, exec, s[44:45]
	s_cbranch_execnz .LBB3492_34
; %bb.35:
	s_or_b64 exec, exec, s[44:45]
.LBB3492_36:
	s_or_b64 exec, exec, s[42:43]
	v_and_b32_e32 v43, 63, v37
	v_mov_b32_e32 v42, 2
	v_cmp_ne_u32_e32 vcc, 63, v43
	v_cmp_eq_u16_sdwa s[42:43], v23, v42 src0_sel:BYTE_0 src1_sel:DWORD
	v_lshlrev_b64 v[24:25], v37, -1
	v_addc_co_u32_e32 v26, vcc, 0, v37, vcc
	v_and_b32_e32 v17, s43, v25
	v_lshlrev_b32_e32 v44, 2, v26
	v_or_b32_e32 v17, 0x80000000, v17
	ds_bpermute_b32 v26, v44, v22
	v_and_b32_e32 v21, s42, v24
	v_ffbl_b32_e32 v17, v17
	v_add_u32_e32 v17, 32, v17
	v_ffbl_b32_e32 v21, v21
	v_min_u32_e32 v17, v21, v17
	v_cmp_lt_u32_e32 vcc, v43, v17
	v_add_u32_e32 v46, 2, v43
	v_add_u32_e32 v48, 4, v43
	s_waitcnt lgkmcnt(0)
	v_cndmask_b32_e32 v21, 0, v26, vcc
	v_cmp_gt_u32_e32 vcc, 62, v43
	v_add_u32_e32 v21, v21, v22
	v_add_u32_e32 v50, 8, v43
	v_cndmask_b32_e64 v22, 0, 1, vcc
	v_lshlrev_b32_e32 v22, 1, v22
	v_add_lshl_u32 v45, v22, v37, 2
	ds_bpermute_b32 v22, v45, v21
	v_cmp_le_u32_e32 vcc, v46, v17
	v_add_u32_e32 v52, 16, v43
	v_add_u32_e32 v54, 32, v43
	s_waitcnt lgkmcnt(0)
	v_cndmask_b32_e32 v22, 0, v22, vcc
	v_cmp_gt_u32_e32 vcc, 60, v43
	v_add_u32_e32 v21, v21, v22
	s_nop 0
	v_cndmask_b32_e64 v22, 0, 1, vcc
	v_lshlrev_b32_e32 v22, 2, v22
	v_add_lshl_u32 v47, v22, v37, 2
	ds_bpermute_b32 v22, v47, v21
	v_cmp_le_u32_e32 vcc, v48, v17
	s_waitcnt lgkmcnt(0)
	s_nop 0
	v_cndmask_b32_e32 v22, 0, v22, vcc
	v_cmp_gt_u32_e32 vcc, 56, v43
	v_add_u32_e32 v21, v21, v22
	s_nop 0
	v_cndmask_b32_e64 v22, 0, 1, vcc
	v_lshlrev_b32_e32 v22, 3, v22
	v_add_lshl_u32 v49, v22, v37, 2
	ds_bpermute_b32 v22, v49, v21
	v_cmp_le_u32_e32 vcc, v50, v17
	s_waitcnt lgkmcnt(0)
	s_nop 0
	;; [unrolled: 11-line block ×4, first 2 shown]
	v_cndmask_b32_e32 v17, 0, v22, vcc
	v_add_u32_e32 v22, v21, v17
	v_mov_b32_e32 v21, 0
	s_branch .LBB3492_38
.LBB3492_37:                            ;   in Loop: Header=BB3492_38 Depth=1
	s_or_b64 exec, exec, s[42:43]
	v_cmp_eq_u16_sdwa s[42:43], v23, v42 src0_sel:BYTE_0 src1_sel:DWORD
	ds_bpermute_b32 v55, v44, v22
	v_subrev_u32_e32 v20, 64, v20
	v_and_b32_e32 v26, s43, v25
	v_or_b32_e32 v26, 0x80000000, v26
	v_and_b32_e32 v27, s42, v24
	v_ffbl_b32_e32 v26, v26
	v_add_u32_e32 v26, 32, v26
	v_ffbl_b32_e32 v27, v27
	v_min_u32_e32 v26, v27, v26
	v_cmp_lt_u32_e32 vcc, v43, v26
	s_waitcnt lgkmcnt(0)
	s_nop 0
	v_cndmask_b32_e32 v27, 0, v55, vcc
	v_add_u32_e32 v22, v27, v22
	ds_bpermute_b32 v27, v45, v22
	v_cmp_le_u32_e32 vcc, v46, v26
	s_waitcnt lgkmcnt(0)
	s_nop 0
	v_cndmask_b32_e32 v27, 0, v27, vcc
	v_add_u32_e32 v22, v22, v27
	ds_bpermute_b32 v27, v47, v22
	v_cmp_le_u32_e32 vcc, v48, v26
	s_waitcnt lgkmcnt(0)
	s_nop 0
	v_cndmask_b32_e32 v27, 0, v27, vcc
	v_add_u32_e32 v22, v22, v27
	ds_bpermute_b32 v27, v49, v22
	v_cmp_le_u32_e32 vcc, v50, v26
	s_waitcnt lgkmcnt(0)
	s_nop 0
	v_cndmask_b32_e32 v27, 0, v27, vcc
	v_add_u32_e32 v22, v22, v27
	ds_bpermute_b32 v27, v51, v22
	v_cmp_le_u32_e32 vcc, v52, v26
	s_waitcnt lgkmcnt(0)
	s_nop 0
	v_cndmask_b32_e32 v27, 0, v27, vcc
	v_add_u32_e32 v22, v22, v27
	ds_bpermute_b32 v27, v53, v22
	v_cmp_le_u32_e32 vcc, v54, v26
	s_waitcnt lgkmcnt(0)
	s_nop 0
	v_cndmask_b32_e32 v26, 0, v27, vcc
	v_add3_u32 v22, v26, v17, v22
.LBB3492_38:                            ; =>This Loop Header: Depth=1
                                        ;     Child Loop BB3492_41 Depth 2
	v_cmp_ne_u16_sdwa s[42:43], v23, v42 src0_sel:BYTE_0 src1_sel:DWORD
	s_nop 1
	v_cndmask_b32_e64 v17, 0, 1, s[42:43]
	;;#ASMSTART
	;;#ASMEND
	s_nop 0
	v_cmp_ne_u32_e32 vcc, 0, v17
	s_cmp_lg_u64 vcc, exec
	v_mov_b32_e32 v17, v22
	s_cbranch_scc1 .LBB3492_43
; %bb.39:                               ;   in Loop: Header=BB3492_38 Depth=1
	v_lshl_add_u64 v[26:27], v[20:21], 3, s[38:39]
	global_load_dwordx2 v[22:23], v[26:27], off sc1
	s_waitcnt vmcnt(0)
	v_cmp_eq_u16_sdwa s[44:45], v23, v21 src0_sel:BYTE_0 src1_sel:DWORD
	s_and_saveexec_b64 s[42:43], s[44:45]
	s_cbranch_execz .LBB3492_37
; %bb.40:                               ;   in Loop: Header=BB3492_38 Depth=1
	s_mov_b64 s[44:45], 0
.LBB3492_41:                            ;   Parent Loop BB3492_38 Depth=1
                                        ; =>  This Inner Loop Header: Depth=2
	global_load_dwordx2 v[22:23], v[26:27], off sc1
	s_waitcnt vmcnt(0)
	v_cmp_ne_u16_sdwa s[46:47], v23, v21 src0_sel:BYTE_0 src1_sel:DWORD
	s_or_b64 s[44:45], s[46:47], s[44:45]
	s_andn2_b64 exec, exec, s[44:45]
	s_cbranch_execnz .LBB3492_41
; %bb.42:                               ;   in Loop: Header=BB3492_38 Depth=1
	s_or_b64 exec, exec, s[44:45]
	s_branch .LBB3492_37
.LBB3492_43:                            ;   in Loop: Header=BB3492_38 Depth=1
                                        ; implicit-def: $vgpr22
                                        ; implicit-def: $vgpr23
	s_cbranch_execz .LBB3492_38
; %bb.44:
	s_and_saveexec_b64 s[42:43], s[18:19]
	s_cbranch_execz .LBB3492_46
; %bb.45:
	s_add_i32 s2, s2, 64
	s_mov_b32 s3, 0
	s_lshl_b64 s[2:3], s[2:3], 3
	s_add_u32 s2, s38, s2
	v_add_u32_e32 v20, v17, v16
	v_mov_b32_e32 v21, 2
	s_addc_u32 s3, s39, s3
	v_mov_b32_e32 v22, 0
	global_store_dwordx2 v22, v[20:21], s[2:3] sc1
	ds_write_b64 v22, v[16:17] offset:28672
.LBB3492_46:
	s_or_b64 exec, exec, s[42:43]
	v_cmp_eq_u32_e32 vcc, 0, v0
	s_and_b64 exec, exec, vcc
	s_cbranch_execz .LBB3492_48
; %bb.47:
	v_mov_b32_e32 v16, 0
	ds_write_b32 v16, v17 offset:28
.LBB3492_48:
	s_or_b64 exec, exec, s[40:41]
	v_mov_b32_e32 v16, 0
	s_waitcnt lgkmcnt(0)
	s_barrier
	ds_read_b32 v17, v16 offset:28
	v_cndmask_b32_e64 v20, v41, v40, s[18:19]
	v_cmp_ne_u32_e32 vcc, 0, v0
	s_waitcnt lgkmcnt(0)
	s_barrier
	v_cndmask_b32_e32 v20, 0, v20, vcc
	v_add_u32_e32 v27, v17, v20
	v_add_u32_e32 v26, v27, v32
	ds_read_b64 v[16:17], v16 offset:28672
	v_add_u32_e32 v25, v26, v33
	v_add_u32_e32 v24, v25, v34
	v_add_u32_e32 v23, v24, v31
	v_add_u32_e32 v21, v23, v35
	v_add_u32_e32 v20, v21, v36
	s_waitcnt lgkmcnt(0)
	v_mov_b32_e32 v22, v17
	s_load_dwordx2 s[2:3], s[0:1], 0x28
	s_branch .LBB3492_59
.LBB3492_49:
                                        ; implicit-def: $vgpr22
                                        ; implicit-def: $vgpr16
                                        ; implicit-def: $vgpr20
                                        ; implicit-def: $vgpr21
                                        ; implicit-def: $vgpr23
                                        ; implicit-def: $vgpr24
                                        ; implicit-def: $vgpr25
                                        ; implicit-def: $vgpr26
                                        ; implicit-def: $vgpr27
	s_load_dwordx2 s[2:3], s[0:1], 0x28
	s_cbranch_execz .LBB3492_59
; %bb.50:
	v_mov_b32_dpp v16, v39 row_shr:1 row_mask:0xf bank_mask:0xf
	v_cndmask_b32_e64 v16, v16, 0, s[16:17]
	v_add_u32_e32 v16, v16, v39
	s_nop 1
	v_mov_b32_dpp v17, v16 row_shr:2 row_mask:0xf bank_mask:0xf
	v_cndmask_b32_e64 v17, 0, v17, s[14:15]
	v_add_u32_e32 v16, v16, v17
	s_nop 1
	;; [unrolled: 4-line block ×4, first 2 shown]
	v_mov_b32_dpp v17, v16 row_bcast:15 row_mask:0xf bank_mask:0xf
	v_cndmask_b32_e64 v17, v17, 0, s[8:9]
	v_add_u32_e32 v16, v16, v17
	s_nop 1
	v_mov_b32_dpp v17, v16 row_bcast:31 row_mask:0xf bank_mask:0xf
	v_cndmask_b32_e64 v17, 0, v17, s[4:5]
	v_add_u32_e32 v16, v16, v17
	s_and_saveexec_b64 s[0:1], s[6:7]
	s_cbranch_execz .LBB3492_52
; %bb.51:
	v_lshlrev_b32_e32 v17, 2, v38
	ds_write_b32 v17, v16
.LBB3492_52:
	s_or_b64 exec, exec, s[0:1]
	v_cmp_gt_u32_e32 vcc, 8, v0
	s_waitcnt lgkmcnt(0)
	s_barrier
	s_and_saveexec_b64 s[0:1], vcc
	s_cbranch_execz .LBB3492_54
; %bb.53:
	s_movk_i32 s4, 0xffcc
	v_mad_i32_i24 v17, v0, s4, v30
	ds_read_b32 v20, v17
	v_and_b32_e32 v21, 7, v37
	v_cmp_ne_u32_e32 vcc, 0, v21
	s_waitcnt lgkmcnt(0)
	v_mov_b32_dpp v22, v20 row_shr:1 row_mask:0xf bank_mask:0xf
	v_cndmask_b32_e32 v22, 0, v22, vcc
	v_add_u32_e32 v20, v22, v20
	v_cmp_lt_u32_e32 vcc, 1, v21
	s_nop 0
	v_mov_b32_dpp v22, v20 row_shr:2 row_mask:0xf bank_mask:0xf
	v_cndmask_b32_e32 v22, 0, v22, vcc
	v_add_u32_e32 v20, v20, v22
	v_cmp_lt_u32_e32 vcc, 3, v21
	s_nop 0
	v_mov_b32_dpp v22, v20 row_shr:4 row_mask:0xf bank_mask:0xf
	v_cndmask_b32_e32 v21, 0, v22, vcc
	v_add_u32_e32 v20, v20, v21
	ds_write_b32 v17, v20
.LBB3492_54:
	s_or_b64 exec, exec, s[0:1]
	v_cmp_lt_u32_e32 vcc, 63, v0
	v_mov_b32_e32 v17, 0
	v_mov_b32_e32 v20, 0
	s_waitcnt lgkmcnt(0)
	s_barrier
	s_and_saveexec_b64 s[0:1], vcc
	s_cbranch_execz .LBB3492_56
; %bb.55:
	v_lshl_add_u32 v20, v38, 2, -4
	ds_read_b32 v20, v20
.LBB3492_56:
	s_or_b64 exec, exec, s[0:1]
	v_add_u32_e32 v21, -1, v37
	v_and_b32_e32 v22, 64, v37
	v_cmp_lt_i32_e32 vcc, v21, v22
	s_waitcnt lgkmcnt(0)
	v_add_u32_e32 v16, v20, v16
	v_cndmask_b32_e32 v21, v21, v37, vcc
	v_lshlrev_b32_e32 v21, 2, v21
	ds_bpermute_b32 v21, v21, v16
	ds_read_b32 v16, v17 offset:28
	v_cmp_eq_u32_e32 vcc, 0, v0
	s_and_saveexec_b64 s[0:1], vcc
	s_cbranch_execz .LBB3492_58
; %bb.57:
	v_mov_b32_e32 v22, 0
	v_mov_b32_e32 v17, 2
	s_waitcnt lgkmcnt(0)
	global_store_dwordx2 v22, v[16:17], s[38:39] offset:512 sc1
.LBB3492_58:
	s_or_b64 exec, exec, s[0:1]
	v_cmp_eq_u32_e64 s[0:1], 0, v37
	v_mov_b32_e32 v22, 0
	s_waitcnt lgkmcnt(0)
	v_cndmask_b32_e64 v17, v21, v20, s[0:1]
	v_cndmask_b32_e64 v27, v17, 0, vcc
	v_add_u32_e32 v26, v27, v32
	v_add_u32_e32 v25, v26, v33
	;; [unrolled: 1-line block ×6, first 2 shown]
	s_barrier
.LBB3492_59:
	v_add_u32_e32 v1, v16, v1
	v_sub_u32_e32 v27, v27, v22
	v_and_b32_e32 v32, 1, v29
	v_sub_u32_e32 v30, v1, v27
	v_cmp_eq_u32_e32 vcc, 1, v32
	v_lshrrev_b32_e32 v17, 8, v29
	v_and_b32_e32 v17, 1, v17
	v_cndmask_b32_e32 v27, v30, v27, vcc
	v_lshlrev_b32_e32 v27, 3, v27
	ds_write_b64 v27, v[10:11]
	v_sub_u32_e32 v10, v26, v22
	v_sub_u32_e32 v11, v1, v10
	v_add_u32_e32 v11, 1, v11
	v_cmp_eq_u32_e32 vcc, 1, v17
	s_add_u32 s0, s22, s34
	s_addc_u32 s1, s23, 0
	v_cndmask_b32_e32 v10, v11, v10, vcc
	v_lshlrev_b32_e32 v10, 3, v10
	ds_write_b64 v10, v[12:13]
	v_sub_u32_e32 v10, v25, v22
	v_mov_b32_e32 v12, 1
	v_sub_u32_e32 v11, v1, v10
	v_and_b32_sdwa v12, v12, v29 dst_sel:DWORD dst_unused:UNUSED_PAD src0_sel:DWORD src1_sel:WORD_1
	v_add_u32_e32 v11, 2, v11
	v_cmp_eq_u32_e32 vcc, 1, v12
	s_sub_u32 s0, s28, s0
	s_subb_u32 s1, s29, s1
	v_cndmask_b32_e32 v10, v11, v10, vcc
	v_lshlrev_b32_e32 v10, 3, v10
	ds_write_b64 v10, v[6:7]
	v_sub_u32_e32 v6, v24, v22
	v_sub_u32_e32 v7, v1, v6
	v_and_b32_e32 v10, 1, v31
	v_add_u32_e32 v7, 3, v7
	v_cmp_eq_u32_e32 vcc, 1, v10
	v_or_b32_e32 v32, 0x200, v0
	v_or_b32_e32 v30, 0x400, v0
	v_cndmask_b32_e32 v6, v7, v6, vcc
	v_lshlrev_b32_e32 v6, 3, v6
	ds_write_b64 v6, v[8:9]
	v_sub_u32_e32 v6, v23, v22
	v_sub_u32_e32 v7, v1, v6
	v_and_b32_e32 v8, 1, v28
	v_add_u32_e32 v7, 4, v7
	v_cmp_eq_u32_e32 vcc, 1, v8
	v_or_b32_e32 v28, 0x600, v0
	v_or_b32_e32 v26, 0x800, v0
	v_cndmask_b32_e32 v6, v7, v6, vcc
	v_lshlrev_b32_e32 v6, 3, v6
	ds_write_b64 v6, v[2:3]
	v_sub_u32_e32 v2, v21, v22
	v_sub_u32_e32 v3, v1, v2
	v_and_b32_e32 v6, 1, v15
	v_add_u32_e32 v3, 5, v3
	v_cmp_eq_u32_e32 vcc, 1, v6
	v_or_b32_e32 v24, 0xa00, v0
	s_nop 0
	v_cndmask_b32_e32 v2, v3, v2, vcc
	v_lshlrev_b32_e32 v2, 3, v2
	ds_write_b64 v2, v[4:5]
	v_sub_u32_e32 v2, v20, v22
	v_sub_u32_e32 v1, v1, v2
	v_add_u32_e32 v1, 6, v1
	v_cndmask_b32_e64 v1, v1, v2, s[36:37]
	v_lshlrev_b32_e32 v1, 3, v1
	ds_write_b64 v1, v[18:19]
	s_waitcnt lgkmcnt(0)
	s_barrier
	ds_read2st64_b64 v[10:13], v14 offset1:8
	ds_read2st64_b64 v[6:9], v14 offset0:16 offset1:24
	ds_read2st64_b64 v[2:5], v14 offset0:32 offset1:40
	ds_read_b64 v[18:19], v14 offset:24576
	v_mov_b32_e32 v1, 0
	v_mov_b32_e32 v23, v1
	;; [unrolled: 1-line block ×3, first 2 shown]
	v_lshl_add_u64 v[14:15], s[30:31], 0, v[22:23]
	v_lshl_add_u64 v[22:23], s[0:1], 0, v[16:17]
	v_mov_b32_e32 v33, v1
	v_mov_b32_e32 v31, v1
	;; [unrolled: 1-line block ×5, first 2 shown]
	v_or_b32_e32 v20, 0xc00, v0
	v_mov_b32_e32 v21, v1
	s_and_b64 vcc, exec, s[20:21]
	v_lshl_add_u64 v[22:23], v[22:23], 0, v[14:15]
	s_cbranch_vccnz .LBB3492_89
; %bb.60:
	v_cmp_ge_u32_e32 vcc, v0, v16
                                        ; implicit-def: $vgpr34_vgpr35
	s_and_saveexec_b64 s[0:1], vcc
	s_xor_b64 s[0:1], exec, s[0:1]
; %bb.61:
	v_not_b32_e32 v34, v0
	v_ashrrev_i32_e32 v35, 31, v34
	v_lshl_add_u64 v[34:35], v[22:23], 0, v[34:35]
; %bb.62:
	s_andn2_saveexec_b64 s[0:1], s[0:1]
; %bb.63:
	v_lshl_add_u64 v[34:35], v[14:15], 0, v[0:1]
; %bb.64:
	s_or_b64 exec, exec, s[0:1]
	v_lshl_add_u64 v[34:35], v[34:35], 3, s[2:3]
	v_cmp_ge_u32_e32 vcc, v32, v16
	s_waitcnt lgkmcnt(3)
	global_store_dwordx2 v[34:35], v[10:11], off
                                        ; implicit-def: $vgpr34_vgpr35
	s_and_saveexec_b64 s[0:1], vcc
	s_xor_b64 s[0:1], exec, s[0:1]
; %bb.65:
	v_xor_b32_e32 v34, 0xfffffdff, v0
	v_ashrrev_i32_e32 v35, 31, v34
	v_lshl_add_u64 v[34:35], v[22:23], 0, v[34:35]
; %bb.66:
	s_andn2_saveexec_b64 s[0:1], s[0:1]
; %bb.67:
	v_lshl_add_u64 v[34:35], v[14:15], 0, v[32:33]
; %bb.68:
	s_or_b64 exec, exec, s[0:1]
	v_lshl_add_u64 v[34:35], v[34:35], 3, s[2:3]
	v_cmp_ge_u32_e32 vcc, v30, v16
	global_store_dwordx2 v[34:35], v[12:13], off
                                        ; implicit-def: $vgpr34_vgpr35
	s_and_saveexec_b64 s[0:1], vcc
	s_xor_b64 s[0:1], exec, s[0:1]
; %bb.69:
	v_xor_b32_e32 v34, 0xfffffbff, v0
	v_ashrrev_i32_e32 v35, 31, v34
	v_lshl_add_u64 v[34:35], v[22:23], 0, v[34:35]
; %bb.70:
	s_andn2_saveexec_b64 s[0:1], s[0:1]
; %bb.71:
	v_lshl_add_u64 v[34:35], v[14:15], 0, v[30:31]
; %bb.72:
	s_or_b64 exec, exec, s[0:1]
	v_lshl_add_u64 v[34:35], v[34:35], 3, s[2:3]
	v_cmp_ge_u32_e32 vcc, v28, v16
	s_waitcnt lgkmcnt(2)
	global_store_dwordx2 v[34:35], v[6:7], off
                                        ; implicit-def: $vgpr34_vgpr35
	s_and_saveexec_b64 s[0:1], vcc
	s_xor_b64 s[0:1], exec, s[0:1]
; %bb.73:
	v_xor_b32_e32 v34, 0xfffff9ff, v0
	v_ashrrev_i32_e32 v35, 31, v34
	v_lshl_add_u64 v[34:35], v[22:23], 0, v[34:35]
; %bb.74:
	s_andn2_saveexec_b64 s[0:1], s[0:1]
; %bb.75:
	v_lshl_add_u64 v[34:35], v[14:15], 0, v[28:29]
; %bb.76:
	s_or_b64 exec, exec, s[0:1]
	v_lshl_add_u64 v[34:35], v[34:35], 3, s[2:3]
	v_cmp_ge_u32_e32 vcc, v26, v16
	global_store_dwordx2 v[34:35], v[8:9], off
                                        ; implicit-def: $vgpr34_vgpr35
	s_and_saveexec_b64 s[0:1], vcc
	s_xor_b64 s[0:1], exec, s[0:1]
; %bb.77:
	v_xor_b32_e32 v34, 0xfffff7ff, v0
	v_ashrrev_i32_e32 v35, 31, v34
	v_lshl_add_u64 v[34:35], v[22:23], 0, v[34:35]
; %bb.78:
	s_andn2_saveexec_b64 s[0:1], s[0:1]
; %bb.79:
	v_lshl_add_u64 v[34:35], v[14:15], 0, v[26:27]
; %bb.80:
	s_or_b64 exec, exec, s[0:1]
	v_lshl_add_u64 v[34:35], v[34:35], 3, s[2:3]
	v_cmp_ge_u32_e32 vcc, v24, v16
	s_waitcnt lgkmcnt(1)
	global_store_dwordx2 v[34:35], v[2:3], off
                                        ; implicit-def: $vgpr34_vgpr35
	s_and_saveexec_b64 s[0:1], vcc
	s_xor_b64 s[0:1], exec, s[0:1]
; %bb.81:
	v_xor_b32_e32 v34, 0xfffff5ff, v0
	v_ashrrev_i32_e32 v35, 31, v34
	v_lshl_add_u64 v[34:35], v[22:23], 0, v[34:35]
; %bb.82:
	s_andn2_saveexec_b64 s[0:1], s[0:1]
; %bb.83:
	v_lshl_add_u64 v[34:35], v[14:15], 0, v[24:25]
; %bb.84:
	s_or_b64 exec, exec, s[0:1]
	v_lshl_add_u64 v[34:35], v[34:35], 3, s[2:3]
	v_cmp_ge_u32_e32 vcc, v20, v16
	global_store_dwordx2 v[34:35], v[4:5], off
                                        ; implicit-def: $vgpr34_vgpr35
	s_and_saveexec_b64 s[0:1], vcc
	s_xor_b64 s[0:1], exec, s[0:1]
; %bb.85:
	v_xor_b32_e32 v34, 0xfffff3ff, v0
	v_ashrrev_i32_e32 v35, 31, v34
	v_lshl_add_u64 v[34:35], v[22:23], 0, v[34:35]
; %bb.86:
	s_andn2_saveexec_b64 s[0:1], s[0:1]
; %bb.87:
	v_lshl_add_u64 v[34:35], v[14:15], 0, v[20:21]
; %bb.88:
	s_or_b64 exec, exec, s[0:1]
	s_mov_b64 s[0:1], -1
	s_branch .LBB3492_133
.LBB3492_89:
	s_mov_b64 s[0:1], 0
                                        ; implicit-def: $vgpr34_vgpr35
	s_cbranch_execz .LBB3492_133
; %bb.90:
	v_cmp_gt_u32_e32 vcc, s33, v0
	s_and_saveexec_b64 s[4:5], vcc
	s_cbranch_execz .LBB3492_108
; %bb.91:
	v_cmp_ge_u32_e32 vcc, v0, v16
                                        ; implicit-def: $vgpr34_vgpr35
	s_and_saveexec_b64 s[6:7], vcc
	s_xor_b64 s[6:7], exec, s[6:7]
; %bb.92:
	v_not_b32_e32 v34, v0
	v_ashrrev_i32_e32 v35, 31, v34
	v_lshl_add_u64 v[34:35], v[22:23], 0, v[34:35]
; %bb.93:
	s_andn2_saveexec_b64 s[6:7], s[6:7]
; %bb.94:
	v_lshl_add_u64 v[34:35], v[14:15], 0, v[0:1]
; %bb.95:
	s_or_b64 exec, exec, s[6:7]
	v_lshl_add_u64 v[34:35], v[34:35], 3, s[2:3]
	s_waitcnt lgkmcnt(3)
	global_store_dwordx2 v[34:35], v[10:11], off
	s_or_b64 exec, exec, s[4:5]
	v_cmp_gt_u32_e32 vcc, s33, v32
	s_and_saveexec_b64 s[4:5], vcc
	s_cbranch_execnz .LBB3492_109
.LBB3492_96:
	s_or_b64 exec, exec, s[4:5]
	v_cmp_gt_u32_e32 vcc, s33, v30
	s_and_saveexec_b64 s[4:5], vcc
	s_cbranch_execz .LBB3492_114
.LBB3492_97:
	v_cmp_ge_u32_e32 vcc, v30, v16
                                        ; implicit-def: $vgpr10_vgpr11
	s_and_saveexec_b64 s[6:7], vcc
	s_xor_b64 s[6:7], exec, s[6:7]
	s_cbranch_execz .LBB3492_99
; %bb.98:
	s_waitcnt lgkmcnt(3)
	v_xor_b32_e32 v10, 0xfffffbff, v0
	v_ashrrev_i32_e32 v11, 31, v10
	v_lshl_add_u64 v[10:11], v[22:23], 0, v[10:11]
                                        ; implicit-def: $vgpr30_vgpr31
.LBB3492_99:
	s_andn2_saveexec_b64 s[6:7], s[6:7]
	s_cbranch_execz .LBB3492_101
; %bb.100:
	s_waitcnt lgkmcnt(3)
	v_lshl_add_u64 v[10:11], v[14:15], 0, v[30:31]
.LBB3492_101:
	s_or_b64 exec, exec, s[6:7]
	s_waitcnt lgkmcnt(3)
	v_lshl_add_u64 v[10:11], v[10:11], 3, s[2:3]
	s_waitcnt lgkmcnt(2)
	global_store_dwordx2 v[10:11], v[6:7], off
	s_or_b64 exec, exec, s[4:5]
	v_cmp_gt_u32_e32 vcc, s33, v28
	s_and_saveexec_b64 s[4:5], vcc
	s_cbranch_execnz .LBB3492_115
.LBB3492_102:
	s_or_b64 exec, exec, s[4:5]
	v_cmp_gt_u32_e32 vcc, s33, v26
	s_and_saveexec_b64 s[4:5], vcc
	s_cbranch_execz .LBB3492_120
.LBB3492_103:
	v_cmp_ge_u32_e32 vcc, v26, v16
                                        ; implicit-def: $vgpr6_vgpr7
	s_and_saveexec_b64 s[6:7], vcc
	s_xor_b64 s[6:7], exec, s[6:7]
	s_cbranch_execz .LBB3492_105
; %bb.104:
	s_waitcnt lgkmcnt(2)
	v_xor_b32_e32 v6, 0xfffff7ff, v0
	v_ashrrev_i32_e32 v7, 31, v6
	v_lshl_add_u64 v[6:7], v[22:23], 0, v[6:7]
                                        ; implicit-def: $vgpr26_vgpr27
.LBB3492_105:
	s_andn2_saveexec_b64 s[6:7], s[6:7]
	s_cbranch_execz .LBB3492_107
; %bb.106:
	s_waitcnt lgkmcnt(2)
	v_lshl_add_u64 v[6:7], v[14:15], 0, v[26:27]
.LBB3492_107:
	s_or_b64 exec, exec, s[6:7]
	s_waitcnt lgkmcnt(2)
	v_lshl_add_u64 v[6:7], v[6:7], 3, s[2:3]
	s_waitcnt lgkmcnt(1)
	global_store_dwordx2 v[6:7], v[2:3], off
	s_or_b64 exec, exec, s[4:5]
	v_cmp_gt_u32_e32 vcc, s33, v24
	s_and_saveexec_b64 s[4:5], vcc
	s_cbranch_execz .LBB3492_126
	s_branch .LBB3492_121
.LBB3492_108:
	s_or_b64 exec, exec, s[4:5]
	v_cmp_gt_u32_e32 vcc, s33, v32
	s_and_saveexec_b64 s[4:5], vcc
	s_cbranch_execz .LBB3492_96
.LBB3492_109:
	v_cmp_ge_u32_e32 vcc, v32, v16
                                        ; implicit-def: $vgpr10_vgpr11
	s_and_saveexec_b64 s[6:7], vcc
	s_xor_b64 s[6:7], exec, s[6:7]
	s_cbranch_execz .LBB3492_111
; %bb.110:
	s_waitcnt lgkmcnt(3)
	v_xor_b32_e32 v10, 0xfffffdff, v0
	v_ashrrev_i32_e32 v11, 31, v10
	v_lshl_add_u64 v[10:11], v[22:23], 0, v[10:11]
                                        ; implicit-def: $vgpr32_vgpr33
.LBB3492_111:
	s_andn2_saveexec_b64 s[6:7], s[6:7]
	s_cbranch_execz .LBB3492_113
; %bb.112:
	s_waitcnt lgkmcnt(3)
	v_lshl_add_u64 v[10:11], v[14:15], 0, v[32:33]
.LBB3492_113:
	s_or_b64 exec, exec, s[6:7]
	s_waitcnt lgkmcnt(3)
	v_lshl_add_u64 v[10:11], v[10:11], 3, s[2:3]
	global_store_dwordx2 v[10:11], v[12:13], off
	s_or_b64 exec, exec, s[4:5]
	v_cmp_gt_u32_e32 vcc, s33, v30
	s_and_saveexec_b64 s[4:5], vcc
	s_cbranch_execnz .LBB3492_97
.LBB3492_114:
	s_or_b64 exec, exec, s[4:5]
	v_cmp_gt_u32_e32 vcc, s33, v28
	s_and_saveexec_b64 s[4:5], vcc
	s_cbranch_execz .LBB3492_102
.LBB3492_115:
	v_cmp_ge_u32_e32 vcc, v28, v16
                                        ; implicit-def: $vgpr6_vgpr7
	s_and_saveexec_b64 s[6:7], vcc
	s_xor_b64 s[6:7], exec, s[6:7]
	s_cbranch_execz .LBB3492_117
; %bb.116:
	s_waitcnt lgkmcnt(2)
	v_xor_b32_e32 v6, 0xfffff9ff, v0
	v_ashrrev_i32_e32 v7, 31, v6
	v_lshl_add_u64 v[6:7], v[22:23], 0, v[6:7]
                                        ; implicit-def: $vgpr28_vgpr29
.LBB3492_117:
	s_andn2_saveexec_b64 s[6:7], s[6:7]
	s_cbranch_execz .LBB3492_119
; %bb.118:
	s_waitcnt lgkmcnt(2)
	v_lshl_add_u64 v[6:7], v[14:15], 0, v[28:29]
.LBB3492_119:
	s_or_b64 exec, exec, s[6:7]
	s_waitcnt lgkmcnt(2)
	v_lshl_add_u64 v[6:7], v[6:7], 3, s[2:3]
	global_store_dwordx2 v[6:7], v[8:9], off
	s_or_b64 exec, exec, s[4:5]
	v_cmp_gt_u32_e32 vcc, s33, v26
	s_and_saveexec_b64 s[4:5], vcc
	s_cbranch_execnz .LBB3492_103
.LBB3492_120:
	s_or_b64 exec, exec, s[4:5]
	v_cmp_gt_u32_e32 vcc, s33, v24
	s_and_saveexec_b64 s[4:5], vcc
	s_cbranch_execz .LBB3492_126
.LBB3492_121:
	v_cmp_ge_u32_e32 vcc, v24, v16
                                        ; implicit-def: $vgpr2_vgpr3
	s_and_saveexec_b64 s[6:7], vcc
	s_xor_b64 s[6:7], exec, s[6:7]
	s_cbranch_execz .LBB3492_123
; %bb.122:
	s_waitcnt lgkmcnt(1)
	v_xor_b32_e32 v2, 0xfffff5ff, v0
	v_ashrrev_i32_e32 v3, 31, v2
	v_lshl_add_u64 v[2:3], v[22:23], 0, v[2:3]
                                        ; implicit-def: $vgpr24_vgpr25
.LBB3492_123:
	s_andn2_saveexec_b64 s[6:7], s[6:7]
	s_cbranch_execz .LBB3492_125
; %bb.124:
	s_waitcnt lgkmcnt(1)
	v_lshl_add_u64 v[2:3], v[14:15], 0, v[24:25]
.LBB3492_125:
	s_or_b64 exec, exec, s[6:7]
	s_waitcnt lgkmcnt(1)
	v_lshl_add_u64 v[2:3], v[2:3], 3, s[2:3]
	global_store_dwordx2 v[2:3], v[4:5], off
.LBB3492_126:
	s_or_b64 exec, exec, s[4:5]
	v_cmp_gt_u32_e32 vcc, s33, v20
                                        ; implicit-def: $vgpr34_vgpr35
	s_and_saveexec_b64 s[4:5], vcc
	s_cbranch_execz .LBB3492_132
; %bb.127:
	v_cmp_ge_u32_e32 vcc, v20, v16
                                        ; implicit-def: $vgpr34_vgpr35
	s_and_saveexec_b64 s[6:7], vcc
	s_xor_b64 s[6:7], exec, s[6:7]
	s_cbranch_execz .LBB3492_129
; %bb.128:
	s_waitcnt lgkmcnt(1)
	v_xor_b32_e32 v2, 0xfffff3ff, v0
	v_ashrrev_i32_e32 v3, 31, v2
	v_lshl_add_u64 v[34:35], v[22:23], 0, v[2:3]
                                        ; implicit-def: $vgpr20_vgpr21
.LBB3492_129:
	s_andn2_saveexec_b64 s[6:7], s[6:7]
; %bb.130:
	v_lshl_add_u64 v[34:35], v[14:15], 0, v[20:21]
; %bb.131:
	s_or_b64 exec, exec, s[6:7]
	s_or_b64 s[0:1], s[0:1], exec
.LBB3492_132:
	s_or_b64 exec, exec, s[4:5]
.LBB3492_133:
	s_and_saveexec_b64 s[4:5], s[0:1]
	s_cbranch_execz .LBB3492_135
; %bb.134:
	s_waitcnt lgkmcnt(1)
	v_lshl_add_u64 v[2:3], v[34:35], 3, s[2:3]
	s_waitcnt lgkmcnt(0)
	global_store_dwordx2 v[2:3], v[18:19], off
.LBB3492_135:
	s_or_b64 exec, exec, s[4:5]
	v_cmp_eq_u32_e32 vcc, 0, v0
	s_and_b64 s[0:1], vcc, s[26:27]
	s_and_saveexec_b64 s[2:3], s[0:1]
	s_cbranch_execz .LBB3492_137
; %bb.136:
	s_waitcnt lgkmcnt(1)
	v_mov_b32_e32 v2, 0
	v_lshl_add_u64 v[0:1], v[14:15], 0, v[16:17]
	global_store_dwordx2 v2, v[0:1], s[24:25]
.LBB3492_137:
	s_endpgm
	.section	.rodata,"a",@progbits
	.p2align	6, 0x0
	.amdhsa_kernel _ZN7rocprim17ROCPRIM_400000_NS6detail17trampoline_kernelINS0_14default_configENS1_25partition_config_selectorILNS1_17partition_subalgoE3EN6thrust23THRUST_200600_302600_NS5tupleIiiNS7_9null_typeES9_S9_S9_S9_S9_S9_S9_EENS0_10empty_typeEbEEZZNS1_14partition_implILS5_3ELb0ES3_jNS7_6detail15normal_iteratorINS7_7pointerISA_NS7_11hip_rocprim3tagENS7_11use_defaultESJ_EEEEPSB_SM_NS0_5tupleIJPSA_SM_EEENSN_IJSM_SM_EEESB_PlJ10is_orderedEEE10hipError_tPvRmT3_T4_T5_T6_T7_T9_mT8_P12ihipStream_tbDpT10_ENKUlT_T0_E_clISt17integral_constantIbLb0EES1C_EEDaS17_S18_EUlS17_E_NS1_11comp_targetILNS1_3genE5ELNS1_11target_archE942ELNS1_3gpuE9ELNS1_3repE0EEENS1_30default_config_static_selectorELNS0_4arch9wavefront6targetE1EEEvT1_
		.amdhsa_group_segment_fixed_size 28680
		.amdhsa_private_segment_fixed_size 0
		.amdhsa_kernarg_size 120
		.amdhsa_user_sgpr_count 2
		.amdhsa_user_sgpr_dispatch_ptr 0
		.amdhsa_user_sgpr_queue_ptr 0
		.amdhsa_user_sgpr_kernarg_segment_ptr 1
		.amdhsa_user_sgpr_dispatch_id 0
		.amdhsa_user_sgpr_kernarg_preload_length 0
		.amdhsa_user_sgpr_kernarg_preload_offset 0
		.amdhsa_user_sgpr_private_segment_size 0
		.amdhsa_uses_dynamic_stack 0
		.amdhsa_enable_private_segment 0
		.amdhsa_system_sgpr_workgroup_id_x 1
		.amdhsa_system_sgpr_workgroup_id_y 0
		.amdhsa_system_sgpr_workgroup_id_z 0
		.amdhsa_system_sgpr_workgroup_info 0
		.amdhsa_system_vgpr_workitem_id 0
		.amdhsa_next_free_vgpr 56
		.amdhsa_next_free_sgpr 48
		.amdhsa_accum_offset 56
		.amdhsa_reserve_vcc 1
		.amdhsa_float_round_mode_32 0
		.amdhsa_float_round_mode_16_64 0
		.amdhsa_float_denorm_mode_32 3
		.amdhsa_float_denorm_mode_16_64 3
		.amdhsa_dx10_clamp 1
		.amdhsa_ieee_mode 1
		.amdhsa_fp16_overflow 0
		.amdhsa_tg_split 0
		.amdhsa_exception_fp_ieee_invalid_op 0
		.amdhsa_exception_fp_denorm_src 0
		.amdhsa_exception_fp_ieee_div_zero 0
		.amdhsa_exception_fp_ieee_overflow 0
		.amdhsa_exception_fp_ieee_underflow 0
		.amdhsa_exception_fp_ieee_inexact 0
		.amdhsa_exception_int_div_zero 0
	.end_amdhsa_kernel
	.section	.text._ZN7rocprim17ROCPRIM_400000_NS6detail17trampoline_kernelINS0_14default_configENS1_25partition_config_selectorILNS1_17partition_subalgoE3EN6thrust23THRUST_200600_302600_NS5tupleIiiNS7_9null_typeES9_S9_S9_S9_S9_S9_S9_EENS0_10empty_typeEbEEZZNS1_14partition_implILS5_3ELb0ES3_jNS7_6detail15normal_iteratorINS7_7pointerISA_NS7_11hip_rocprim3tagENS7_11use_defaultESJ_EEEEPSB_SM_NS0_5tupleIJPSA_SM_EEENSN_IJSM_SM_EEESB_PlJ10is_orderedEEE10hipError_tPvRmT3_T4_T5_T6_T7_T9_mT8_P12ihipStream_tbDpT10_ENKUlT_T0_E_clISt17integral_constantIbLb0EES1C_EEDaS17_S18_EUlS17_E_NS1_11comp_targetILNS1_3genE5ELNS1_11target_archE942ELNS1_3gpuE9ELNS1_3repE0EEENS1_30default_config_static_selectorELNS0_4arch9wavefront6targetE1EEEvT1_,"axG",@progbits,_ZN7rocprim17ROCPRIM_400000_NS6detail17trampoline_kernelINS0_14default_configENS1_25partition_config_selectorILNS1_17partition_subalgoE3EN6thrust23THRUST_200600_302600_NS5tupleIiiNS7_9null_typeES9_S9_S9_S9_S9_S9_S9_EENS0_10empty_typeEbEEZZNS1_14partition_implILS5_3ELb0ES3_jNS7_6detail15normal_iteratorINS7_7pointerISA_NS7_11hip_rocprim3tagENS7_11use_defaultESJ_EEEEPSB_SM_NS0_5tupleIJPSA_SM_EEENSN_IJSM_SM_EEESB_PlJ10is_orderedEEE10hipError_tPvRmT3_T4_T5_T6_T7_T9_mT8_P12ihipStream_tbDpT10_ENKUlT_T0_E_clISt17integral_constantIbLb0EES1C_EEDaS17_S18_EUlS17_E_NS1_11comp_targetILNS1_3genE5ELNS1_11target_archE942ELNS1_3gpuE9ELNS1_3repE0EEENS1_30default_config_static_selectorELNS0_4arch9wavefront6targetE1EEEvT1_,comdat
.Lfunc_end3492:
	.size	_ZN7rocprim17ROCPRIM_400000_NS6detail17trampoline_kernelINS0_14default_configENS1_25partition_config_selectorILNS1_17partition_subalgoE3EN6thrust23THRUST_200600_302600_NS5tupleIiiNS7_9null_typeES9_S9_S9_S9_S9_S9_S9_EENS0_10empty_typeEbEEZZNS1_14partition_implILS5_3ELb0ES3_jNS7_6detail15normal_iteratorINS7_7pointerISA_NS7_11hip_rocprim3tagENS7_11use_defaultESJ_EEEEPSB_SM_NS0_5tupleIJPSA_SM_EEENSN_IJSM_SM_EEESB_PlJ10is_orderedEEE10hipError_tPvRmT3_T4_T5_T6_T7_T9_mT8_P12ihipStream_tbDpT10_ENKUlT_T0_E_clISt17integral_constantIbLb0EES1C_EEDaS17_S18_EUlS17_E_NS1_11comp_targetILNS1_3genE5ELNS1_11target_archE942ELNS1_3gpuE9ELNS1_3repE0EEENS1_30default_config_static_selectorELNS0_4arch9wavefront6targetE1EEEvT1_, .Lfunc_end3492-_ZN7rocprim17ROCPRIM_400000_NS6detail17trampoline_kernelINS0_14default_configENS1_25partition_config_selectorILNS1_17partition_subalgoE3EN6thrust23THRUST_200600_302600_NS5tupleIiiNS7_9null_typeES9_S9_S9_S9_S9_S9_S9_EENS0_10empty_typeEbEEZZNS1_14partition_implILS5_3ELb0ES3_jNS7_6detail15normal_iteratorINS7_7pointerISA_NS7_11hip_rocprim3tagENS7_11use_defaultESJ_EEEEPSB_SM_NS0_5tupleIJPSA_SM_EEENSN_IJSM_SM_EEESB_PlJ10is_orderedEEE10hipError_tPvRmT3_T4_T5_T6_T7_T9_mT8_P12ihipStream_tbDpT10_ENKUlT_T0_E_clISt17integral_constantIbLb0EES1C_EEDaS17_S18_EUlS17_E_NS1_11comp_targetILNS1_3genE5ELNS1_11target_archE942ELNS1_3gpuE9ELNS1_3repE0EEENS1_30default_config_static_selectorELNS0_4arch9wavefront6targetE1EEEvT1_
                                        ; -- End function
	.section	.AMDGPU.csdata,"",@progbits
; Kernel info:
; codeLenInByte = 5108
; NumSgprs: 54
; NumVgprs: 56
; NumAgprs: 0
; TotalNumVgprs: 56
; ScratchSize: 0
; MemoryBound: 0
; FloatMode: 240
; IeeeMode: 1
; LDSByteSize: 28680 bytes/workgroup (compile time only)
; SGPRBlocks: 6
; VGPRBlocks: 6
; NumSGPRsForWavesPerEU: 54
; NumVGPRsForWavesPerEU: 56
; AccumOffset: 56
; Occupancy: 4
; WaveLimiterHint : 1
; COMPUTE_PGM_RSRC2:SCRATCH_EN: 0
; COMPUTE_PGM_RSRC2:USER_SGPR: 2
; COMPUTE_PGM_RSRC2:TRAP_HANDLER: 0
; COMPUTE_PGM_RSRC2:TGID_X_EN: 1
; COMPUTE_PGM_RSRC2:TGID_Y_EN: 0
; COMPUTE_PGM_RSRC2:TGID_Z_EN: 0
; COMPUTE_PGM_RSRC2:TIDIG_COMP_CNT: 0
; COMPUTE_PGM_RSRC3_GFX90A:ACCUM_OFFSET: 13
; COMPUTE_PGM_RSRC3_GFX90A:TG_SPLIT: 0
	.section	.text._ZN6thrust23THRUST_200600_302600_NS11hip_rocprim14__parallel_for6kernelILj256ENS1_20__uninitialized_copy7functorINS0_7pointerINS0_5tupleIiiNS0_9null_typeES8_S8_S8_S8_S8_S8_S8_EENS1_3tagENS0_11use_defaultESB_EESC_EEmLj1EEEvT0_T1_SF_,"axG",@progbits,_ZN6thrust23THRUST_200600_302600_NS11hip_rocprim14__parallel_for6kernelILj256ENS1_20__uninitialized_copy7functorINS0_7pointerINS0_5tupleIiiNS0_9null_typeES8_S8_S8_S8_S8_S8_S8_EENS1_3tagENS0_11use_defaultESB_EESC_EEmLj1EEEvT0_T1_SF_,comdat
	.protected	_ZN6thrust23THRUST_200600_302600_NS11hip_rocprim14__parallel_for6kernelILj256ENS1_20__uninitialized_copy7functorINS0_7pointerINS0_5tupleIiiNS0_9null_typeES8_S8_S8_S8_S8_S8_S8_EENS1_3tagENS0_11use_defaultESB_EESC_EEmLj1EEEvT0_T1_SF_ ; -- Begin function _ZN6thrust23THRUST_200600_302600_NS11hip_rocprim14__parallel_for6kernelILj256ENS1_20__uninitialized_copy7functorINS0_7pointerINS0_5tupleIiiNS0_9null_typeES8_S8_S8_S8_S8_S8_S8_EENS1_3tagENS0_11use_defaultESB_EESC_EEmLj1EEEvT0_T1_SF_
	.globl	_ZN6thrust23THRUST_200600_302600_NS11hip_rocprim14__parallel_for6kernelILj256ENS1_20__uninitialized_copy7functorINS0_7pointerINS0_5tupleIiiNS0_9null_typeES8_S8_S8_S8_S8_S8_S8_EENS1_3tagENS0_11use_defaultESB_EESC_EEmLj1EEEvT0_T1_SF_
	.p2align	8
	.type	_ZN6thrust23THRUST_200600_302600_NS11hip_rocprim14__parallel_for6kernelILj256ENS1_20__uninitialized_copy7functorINS0_7pointerINS0_5tupleIiiNS0_9null_typeES8_S8_S8_S8_S8_S8_S8_EENS1_3tagENS0_11use_defaultESB_EESC_EEmLj1EEEvT0_T1_SF_,@function
_ZN6thrust23THRUST_200600_302600_NS11hip_rocprim14__parallel_for6kernelILj256ENS1_20__uninitialized_copy7functorINS0_7pointerINS0_5tupleIiiNS0_9null_typeES8_S8_S8_S8_S8_S8_S8_EENS1_3tagENS0_11use_defaultESB_EESC_EEmLj1EEEvT0_T1_SF_: ; @_ZN6thrust23THRUST_200600_302600_NS11hip_rocprim14__parallel_for6kernelILj256ENS1_20__uninitialized_copy7functorINS0_7pointerINS0_5tupleIiiNS0_9null_typeES8_S8_S8_S8_S8_S8_S8_EENS1_3tagENS0_11use_defaultESB_EESC_EEmLj1EEEvT0_T1_SF_
; %bb.0:
	s_load_dwordx8 s[4:11], s[0:1], 0x0
	s_lshl_b32 s0, s2, 8
	v_mov_b64_e32 v[2:3], 0x100
	s_waitcnt lgkmcnt(0)
	s_add_u32 s0, s0, s10
	s_addc_u32 s1, 0, s11
	s_sub_u32 s2, s8, s0
	s_subb_u32 s3, s9, s1
	v_cmp_lt_u64_e32 vcc, s[2:3], v[2:3]
	s_cbranch_vccz .LBB3493_4
; %bb.1:
	v_cmp_gt_u32_e32 vcc, s2, v0
	s_mov_b64 s[8:9], 0
	s_mov_b64 s[2:3], 0
                                        ; implicit-def: $vgpr2_vgpr3
                                        ; implicit-def: $vgpr4_vgpr5
	s_and_saveexec_b64 s[10:11], vcc
	s_xor_b64 s[10:11], exec, s[10:11]
; %bb.2:
	v_mov_b32_e32 v1, 0
	v_lshl_add_u64 v[2:3], s[0:1], 0, v[0:1]
	v_lshlrev_b64 v[4:5], 3, v[2:3]
	s_mov_b64 s[2:3], exec
	v_lshl_add_u64 v[2:3], s[6:7], 0, v[4:5]
	v_lshl_add_u64 v[4:5], s[4:5], 0, v[4:5]
; %bb.3:
	s_or_b64 exec, exec, s[10:11]
	s_and_b64 vcc, exec, s[8:9]
	s_cbranch_vccnz .LBB3493_5
	s_branch .LBB3493_6
.LBB3493_4:
	s_mov_b64 s[2:3], 0
                                        ; implicit-def: $vgpr2_vgpr3
                                        ; implicit-def: $vgpr4_vgpr5
	s_cbranch_execz .LBB3493_6
.LBB3493_5:
	v_mov_b32_e32 v1, 0
	v_lshl_add_u64 v[0:1], s[0:1], 0, v[0:1]
	v_lshlrev_b64 v[0:1], 3, v[0:1]
	v_lshl_add_u64 v[4:5], s[4:5], 0, v[0:1]
	v_lshl_add_u64 v[2:3], s[6:7], 0, v[0:1]
	s_or_b64 s[2:3], s[2:3], exec
.LBB3493_6:
	s_and_saveexec_b64 s[0:1], s[2:3]
	s_cbranch_execnz .LBB3493_8
; %bb.7:
	s_endpgm
.LBB3493_8:
	flat_load_dwordx2 v[0:1], v[4:5]
	s_waitcnt vmcnt(0) lgkmcnt(0)
	flat_store_dwordx2 v[2:3], v[0:1]
	s_endpgm
	.section	.rodata,"a",@progbits
	.p2align	6, 0x0
	.amdhsa_kernel _ZN6thrust23THRUST_200600_302600_NS11hip_rocprim14__parallel_for6kernelILj256ENS1_20__uninitialized_copy7functorINS0_7pointerINS0_5tupleIiiNS0_9null_typeES8_S8_S8_S8_S8_S8_S8_EENS1_3tagENS0_11use_defaultESB_EESC_EEmLj1EEEvT0_T1_SF_
		.amdhsa_group_segment_fixed_size 0
		.amdhsa_private_segment_fixed_size 0
		.amdhsa_kernarg_size 32
		.amdhsa_user_sgpr_count 2
		.amdhsa_user_sgpr_dispatch_ptr 0
		.amdhsa_user_sgpr_queue_ptr 0
		.amdhsa_user_sgpr_kernarg_segment_ptr 1
		.amdhsa_user_sgpr_dispatch_id 0
		.amdhsa_user_sgpr_kernarg_preload_length 0
		.amdhsa_user_sgpr_kernarg_preload_offset 0
		.amdhsa_user_sgpr_private_segment_size 0
		.amdhsa_uses_dynamic_stack 0
		.amdhsa_enable_private_segment 0
		.amdhsa_system_sgpr_workgroup_id_x 1
		.amdhsa_system_sgpr_workgroup_id_y 0
		.amdhsa_system_sgpr_workgroup_id_z 0
		.amdhsa_system_sgpr_workgroup_info 0
		.amdhsa_system_vgpr_workitem_id 0
		.amdhsa_next_free_vgpr 6
		.amdhsa_next_free_sgpr 12
		.amdhsa_accum_offset 8
		.amdhsa_reserve_vcc 1
		.amdhsa_float_round_mode_32 0
		.amdhsa_float_round_mode_16_64 0
		.amdhsa_float_denorm_mode_32 3
		.amdhsa_float_denorm_mode_16_64 3
		.amdhsa_dx10_clamp 1
		.amdhsa_ieee_mode 1
		.amdhsa_fp16_overflow 0
		.amdhsa_tg_split 0
		.amdhsa_exception_fp_ieee_invalid_op 0
		.amdhsa_exception_fp_denorm_src 0
		.amdhsa_exception_fp_ieee_div_zero 0
		.amdhsa_exception_fp_ieee_overflow 0
		.amdhsa_exception_fp_ieee_underflow 0
		.amdhsa_exception_fp_ieee_inexact 0
		.amdhsa_exception_int_div_zero 0
	.end_amdhsa_kernel
	.section	.text._ZN6thrust23THRUST_200600_302600_NS11hip_rocprim14__parallel_for6kernelILj256ENS1_20__uninitialized_copy7functorINS0_7pointerINS0_5tupleIiiNS0_9null_typeES8_S8_S8_S8_S8_S8_S8_EENS1_3tagENS0_11use_defaultESB_EESC_EEmLj1EEEvT0_T1_SF_,"axG",@progbits,_ZN6thrust23THRUST_200600_302600_NS11hip_rocprim14__parallel_for6kernelILj256ENS1_20__uninitialized_copy7functorINS0_7pointerINS0_5tupleIiiNS0_9null_typeES8_S8_S8_S8_S8_S8_S8_EENS1_3tagENS0_11use_defaultESB_EESC_EEmLj1EEEvT0_T1_SF_,comdat
.Lfunc_end3493:
	.size	_ZN6thrust23THRUST_200600_302600_NS11hip_rocprim14__parallel_for6kernelILj256ENS1_20__uninitialized_copy7functorINS0_7pointerINS0_5tupleIiiNS0_9null_typeES8_S8_S8_S8_S8_S8_S8_EENS1_3tagENS0_11use_defaultESB_EESC_EEmLj1EEEvT0_T1_SF_, .Lfunc_end3493-_ZN6thrust23THRUST_200600_302600_NS11hip_rocprim14__parallel_for6kernelILj256ENS1_20__uninitialized_copy7functorINS0_7pointerINS0_5tupleIiiNS0_9null_typeES8_S8_S8_S8_S8_S8_S8_EENS1_3tagENS0_11use_defaultESB_EESC_EEmLj1EEEvT0_T1_SF_
                                        ; -- End function
	.section	.AMDGPU.csdata,"",@progbits
; Kernel info:
; codeLenInByte = 208
; NumSgprs: 18
; NumVgprs: 6
; NumAgprs: 0
; TotalNumVgprs: 6
; ScratchSize: 0
; MemoryBound: 1
; FloatMode: 240
; IeeeMode: 1
; LDSByteSize: 0 bytes/workgroup (compile time only)
; SGPRBlocks: 2
; VGPRBlocks: 0
; NumSGPRsForWavesPerEU: 18
; NumVGPRsForWavesPerEU: 6
; AccumOffset: 8
; Occupancy: 8
; WaveLimiterHint : 0
; COMPUTE_PGM_RSRC2:SCRATCH_EN: 0
; COMPUTE_PGM_RSRC2:USER_SGPR: 2
; COMPUTE_PGM_RSRC2:TRAP_HANDLER: 0
; COMPUTE_PGM_RSRC2:TGID_X_EN: 1
; COMPUTE_PGM_RSRC2:TGID_Y_EN: 0
; COMPUTE_PGM_RSRC2:TGID_Z_EN: 0
; COMPUTE_PGM_RSRC2:TIDIG_COMP_CNT: 0
; COMPUTE_PGM_RSRC3_GFX90A:ACCUM_OFFSET: 1
; COMPUTE_PGM_RSRC3_GFX90A:TG_SPLIT: 0
	.section	.text._ZN7rocprim17ROCPRIM_400000_NS6detail17trampoline_kernelINS0_14default_configENS1_25partition_config_selectorILNS1_17partition_subalgoE3EN6thrust23THRUST_200600_302600_NS5tupleIiiNS7_9null_typeES9_S9_S9_S9_S9_S9_S9_EENS0_10empty_typeEbEEZZNS1_14partition_implILS5_3ELb0ES3_jNS7_6detail15normal_iteratorINS7_7pointerISA_NS7_11hip_rocprim3tagENS7_11use_defaultESJ_EEEEPSB_SM_NS0_5tupleIJPSA_SM_EEENSN_IJSM_SM_EEESB_PlJ10is_orderedEEE10hipError_tPvRmT3_T4_T5_T6_T7_T9_mT8_P12ihipStream_tbDpT10_ENKUlT_T0_E_clISt17integral_constantIbLb0EES1C_EEDaS17_S18_EUlS17_E_NS1_11comp_targetILNS1_3genE4ELNS1_11target_archE910ELNS1_3gpuE8ELNS1_3repE0EEENS1_30default_config_static_selectorELNS0_4arch9wavefront6targetE1EEEvT1_,"axG",@progbits,_ZN7rocprim17ROCPRIM_400000_NS6detail17trampoline_kernelINS0_14default_configENS1_25partition_config_selectorILNS1_17partition_subalgoE3EN6thrust23THRUST_200600_302600_NS5tupleIiiNS7_9null_typeES9_S9_S9_S9_S9_S9_S9_EENS0_10empty_typeEbEEZZNS1_14partition_implILS5_3ELb0ES3_jNS7_6detail15normal_iteratorINS7_7pointerISA_NS7_11hip_rocprim3tagENS7_11use_defaultESJ_EEEEPSB_SM_NS0_5tupleIJPSA_SM_EEENSN_IJSM_SM_EEESB_PlJ10is_orderedEEE10hipError_tPvRmT3_T4_T5_T6_T7_T9_mT8_P12ihipStream_tbDpT10_ENKUlT_T0_E_clISt17integral_constantIbLb0EES1C_EEDaS17_S18_EUlS17_E_NS1_11comp_targetILNS1_3genE4ELNS1_11target_archE910ELNS1_3gpuE8ELNS1_3repE0EEENS1_30default_config_static_selectorELNS0_4arch9wavefront6targetE1EEEvT1_,comdat
	.protected	_ZN7rocprim17ROCPRIM_400000_NS6detail17trampoline_kernelINS0_14default_configENS1_25partition_config_selectorILNS1_17partition_subalgoE3EN6thrust23THRUST_200600_302600_NS5tupleIiiNS7_9null_typeES9_S9_S9_S9_S9_S9_S9_EENS0_10empty_typeEbEEZZNS1_14partition_implILS5_3ELb0ES3_jNS7_6detail15normal_iteratorINS7_7pointerISA_NS7_11hip_rocprim3tagENS7_11use_defaultESJ_EEEEPSB_SM_NS0_5tupleIJPSA_SM_EEENSN_IJSM_SM_EEESB_PlJ10is_orderedEEE10hipError_tPvRmT3_T4_T5_T6_T7_T9_mT8_P12ihipStream_tbDpT10_ENKUlT_T0_E_clISt17integral_constantIbLb0EES1C_EEDaS17_S18_EUlS17_E_NS1_11comp_targetILNS1_3genE4ELNS1_11target_archE910ELNS1_3gpuE8ELNS1_3repE0EEENS1_30default_config_static_selectorELNS0_4arch9wavefront6targetE1EEEvT1_ ; -- Begin function _ZN7rocprim17ROCPRIM_400000_NS6detail17trampoline_kernelINS0_14default_configENS1_25partition_config_selectorILNS1_17partition_subalgoE3EN6thrust23THRUST_200600_302600_NS5tupleIiiNS7_9null_typeES9_S9_S9_S9_S9_S9_S9_EENS0_10empty_typeEbEEZZNS1_14partition_implILS5_3ELb0ES3_jNS7_6detail15normal_iteratorINS7_7pointerISA_NS7_11hip_rocprim3tagENS7_11use_defaultESJ_EEEEPSB_SM_NS0_5tupleIJPSA_SM_EEENSN_IJSM_SM_EEESB_PlJ10is_orderedEEE10hipError_tPvRmT3_T4_T5_T6_T7_T9_mT8_P12ihipStream_tbDpT10_ENKUlT_T0_E_clISt17integral_constantIbLb0EES1C_EEDaS17_S18_EUlS17_E_NS1_11comp_targetILNS1_3genE4ELNS1_11target_archE910ELNS1_3gpuE8ELNS1_3repE0EEENS1_30default_config_static_selectorELNS0_4arch9wavefront6targetE1EEEvT1_
	.globl	_ZN7rocprim17ROCPRIM_400000_NS6detail17trampoline_kernelINS0_14default_configENS1_25partition_config_selectorILNS1_17partition_subalgoE3EN6thrust23THRUST_200600_302600_NS5tupleIiiNS7_9null_typeES9_S9_S9_S9_S9_S9_S9_EENS0_10empty_typeEbEEZZNS1_14partition_implILS5_3ELb0ES3_jNS7_6detail15normal_iteratorINS7_7pointerISA_NS7_11hip_rocprim3tagENS7_11use_defaultESJ_EEEEPSB_SM_NS0_5tupleIJPSA_SM_EEENSN_IJSM_SM_EEESB_PlJ10is_orderedEEE10hipError_tPvRmT3_T4_T5_T6_T7_T9_mT8_P12ihipStream_tbDpT10_ENKUlT_T0_E_clISt17integral_constantIbLb0EES1C_EEDaS17_S18_EUlS17_E_NS1_11comp_targetILNS1_3genE4ELNS1_11target_archE910ELNS1_3gpuE8ELNS1_3repE0EEENS1_30default_config_static_selectorELNS0_4arch9wavefront6targetE1EEEvT1_
	.p2align	8
	.type	_ZN7rocprim17ROCPRIM_400000_NS6detail17trampoline_kernelINS0_14default_configENS1_25partition_config_selectorILNS1_17partition_subalgoE3EN6thrust23THRUST_200600_302600_NS5tupleIiiNS7_9null_typeES9_S9_S9_S9_S9_S9_S9_EENS0_10empty_typeEbEEZZNS1_14partition_implILS5_3ELb0ES3_jNS7_6detail15normal_iteratorINS7_7pointerISA_NS7_11hip_rocprim3tagENS7_11use_defaultESJ_EEEEPSB_SM_NS0_5tupleIJPSA_SM_EEENSN_IJSM_SM_EEESB_PlJ10is_orderedEEE10hipError_tPvRmT3_T4_T5_T6_T7_T9_mT8_P12ihipStream_tbDpT10_ENKUlT_T0_E_clISt17integral_constantIbLb0EES1C_EEDaS17_S18_EUlS17_E_NS1_11comp_targetILNS1_3genE4ELNS1_11target_archE910ELNS1_3gpuE8ELNS1_3repE0EEENS1_30default_config_static_selectorELNS0_4arch9wavefront6targetE1EEEvT1_,@function
_ZN7rocprim17ROCPRIM_400000_NS6detail17trampoline_kernelINS0_14default_configENS1_25partition_config_selectorILNS1_17partition_subalgoE3EN6thrust23THRUST_200600_302600_NS5tupleIiiNS7_9null_typeES9_S9_S9_S9_S9_S9_S9_EENS0_10empty_typeEbEEZZNS1_14partition_implILS5_3ELb0ES3_jNS7_6detail15normal_iteratorINS7_7pointerISA_NS7_11hip_rocprim3tagENS7_11use_defaultESJ_EEEEPSB_SM_NS0_5tupleIJPSA_SM_EEENSN_IJSM_SM_EEESB_PlJ10is_orderedEEE10hipError_tPvRmT3_T4_T5_T6_T7_T9_mT8_P12ihipStream_tbDpT10_ENKUlT_T0_E_clISt17integral_constantIbLb0EES1C_EEDaS17_S18_EUlS17_E_NS1_11comp_targetILNS1_3genE4ELNS1_11target_archE910ELNS1_3gpuE8ELNS1_3repE0EEENS1_30default_config_static_selectorELNS0_4arch9wavefront6targetE1EEEvT1_: ; @_ZN7rocprim17ROCPRIM_400000_NS6detail17trampoline_kernelINS0_14default_configENS1_25partition_config_selectorILNS1_17partition_subalgoE3EN6thrust23THRUST_200600_302600_NS5tupleIiiNS7_9null_typeES9_S9_S9_S9_S9_S9_S9_EENS0_10empty_typeEbEEZZNS1_14partition_implILS5_3ELb0ES3_jNS7_6detail15normal_iteratorINS7_7pointerISA_NS7_11hip_rocprim3tagENS7_11use_defaultESJ_EEEEPSB_SM_NS0_5tupleIJPSA_SM_EEENSN_IJSM_SM_EEESB_PlJ10is_orderedEEE10hipError_tPvRmT3_T4_T5_T6_T7_T9_mT8_P12ihipStream_tbDpT10_ENKUlT_T0_E_clISt17integral_constantIbLb0EES1C_EEDaS17_S18_EUlS17_E_NS1_11comp_targetILNS1_3genE4ELNS1_11target_archE910ELNS1_3gpuE8ELNS1_3repE0EEENS1_30default_config_static_selectorELNS0_4arch9wavefront6targetE1EEEvT1_
; %bb.0:
	.section	.rodata,"a",@progbits
	.p2align	6, 0x0
	.amdhsa_kernel _ZN7rocprim17ROCPRIM_400000_NS6detail17trampoline_kernelINS0_14default_configENS1_25partition_config_selectorILNS1_17partition_subalgoE3EN6thrust23THRUST_200600_302600_NS5tupleIiiNS7_9null_typeES9_S9_S9_S9_S9_S9_S9_EENS0_10empty_typeEbEEZZNS1_14partition_implILS5_3ELb0ES3_jNS7_6detail15normal_iteratorINS7_7pointerISA_NS7_11hip_rocprim3tagENS7_11use_defaultESJ_EEEEPSB_SM_NS0_5tupleIJPSA_SM_EEENSN_IJSM_SM_EEESB_PlJ10is_orderedEEE10hipError_tPvRmT3_T4_T5_T6_T7_T9_mT8_P12ihipStream_tbDpT10_ENKUlT_T0_E_clISt17integral_constantIbLb0EES1C_EEDaS17_S18_EUlS17_E_NS1_11comp_targetILNS1_3genE4ELNS1_11target_archE910ELNS1_3gpuE8ELNS1_3repE0EEENS1_30default_config_static_selectorELNS0_4arch9wavefront6targetE1EEEvT1_
		.amdhsa_group_segment_fixed_size 0
		.amdhsa_private_segment_fixed_size 0
		.amdhsa_kernarg_size 120
		.amdhsa_user_sgpr_count 2
		.amdhsa_user_sgpr_dispatch_ptr 0
		.amdhsa_user_sgpr_queue_ptr 0
		.amdhsa_user_sgpr_kernarg_segment_ptr 1
		.amdhsa_user_sgpr_dispatch_id 0
		.amdhsa_user_sgpr_kernarg_preload_length 0
		.amdhsa_user_sgpr_kernarg_preload_offset 0
		.amdhsa_user_sgpr_private_segment_size 0
		.amdhsa_uses_dynamic_stack 0
		.amdhsa_enable_private_segment 0
		.amdhsa_system_sgpr_workgroup_id_x 1
		.amdhsa_system_sgpr_workgroup_id_y 0
		.amdhsa_system_sgpr_workgroup_id_z 0
		.amdhsa_system_sgpr_workgroup_info 0
		.amdhsa_system_vgpr_workitem_id 0
		.amdhsa_next_free_vgpr 1
		.amdhsa_next_free_sgpr 0
		.amdhsa_accum_offset 4
		.amdhsa_reserve_vcc 0
		.amdhsa_float_round_mode_32 0
		.amdhsa_float_round_mode_16_64 0
		.amdhsa_float_denorm_mode_32 3
		.amdhsa_float_denorm_mode_16_64 3
		.amdhsa_dx10_clamp 1
		.amdhsa_ieee_mode 1
		.amdhsa_fp16_overflow 0
		.amdhsa_tg_split 0
		.amdhsa_exception_fp_ieee_invalid_op 0
		.amdhsa_exception_fp_denorm_src 0
		.amdhsa_exception_fp_ieee_div_zero 0
		.amdhsa_exception_fp_ieee_overflow 0
		.amdhsa_exception_fp_ieee_underflow 0
		.amdhsa_exception_fp_ieee_inexact 0
		.amdhsa_exception_int_div_zero 0
	.end_amdhsa_kernel
	.section	.text._ZN7rocprim17ROCPRIM_400000_NS6detail17trampoline_kernelINS0_14default_configENS1_25partition_config_selectorILNS1_17partition_subalgoE3EN6thrust23THRUST_200600_302600_NS5tupleIiiNS7_9null_typeES9_S9_S9_S9_S9_S9_S9_EENS0_10empty_typeEbEEZZNS1_14partition_implILS5_3ELb0ES3_jNS7_6detail15normal_iteratorINS7_7pointerISA_NS7_11hip_rocprim3tagENS7_11use_defaultESJ_EEEEPSB_SM_NS0_5tupleIJPSA_SM_EEENSN_IJSM_SM_EEESB_PlJ10is_orderedEEE10hipError_tPvRmT3_T4_T5_T6_T7_T9_mT8_P12ihipStream_tbDpT10_ENKUlT_T0_E_clISt17integral_constantIbLb0EES1C_EEDaS17_S18_EUlS17_E_NS1_11comp_targetILNS1_3genE4ELNS1_11target_archE910ELNS1_3gpuE8ELNS1_3repE0EEENS1_30default_config_static_selectorELNS0_4arch9wavefront6targetE1EEEvT1_,"axG",@progbits,_ZN7rocprim17ROCPRIM_400000_NS6detail17trampoline_kernelINS0_14default_configENS1_25partition_config_selectorILNS1_17partition_subalgoE3EN6thrust23THRUST_200600_302600_NS5tupleIiiNS7_9null_typeES9_S9_S9_S9_S9_S9_S9_EENS0_10empty_typeEbEEZZNS1_14partition_implILS5_3ELb0ES3_jNS7_6detail15normal_iteratorINS7_7pointerISA_NS7_11hip_rocprim3tagENS7_11use_defaultESJ_EEEEPSB_SM_NS0_5tupleIJPSA_SM_EEENSN_IJSM_SM_EEESB_PlJ10is_orderedEEE10hipError_tPvRmT3_T4_T5_T6_T7_T9_mT8_P12ihipStream_tbDpT10_ENKUlT_T0_E_clISt17integral_constantIbLb0EES1C_EEDaS17_S18_EUlS17_E_NS1_11comp_targetILNS1_3genE4ELNS1_11target_archE910ELNS1_3gpuE8ELNS1_3repE0EEENS1_30default_config_static_selectorELNS0_4arch9wavefront6targetE1EEEvT1_,comdat
.Lfunc_end3494:
	.size	_ZN7rocprim17ROCPRIM_400000_NS6detail17trampoline_kernelINS0_14default_configENS1_25partition_config_selectorILNS1_17partition_subalgoE3EN6thrust23THRUST_200600_302600_NS5tupleIiiNS7_9null_typeES9_S9_S9_S9_S9_S9_S9_EENS0_10empty_typeEbEEZZNS1_14partition_implILS5_3ELb0ES3_jNS7_6detail15normal_iteratorINS7_7pointerISA_NS7_11hip_rocprim3tagENS7_11use_defaultESJ_EEEEPSB_SM_NS0_5tupleIJPSA_SM_EEENSN_IJSM_SM_EEESB_PlJ10is_orderedEEE10hipError_tPvRmT3_T4_T5_T6_T7_T9_mT8_P12ihipStream_tbDpT10_ENKUlT_T0_E_clISt17integral_constantIbLb0EES1C_EEDaS17_S18_EUlS17_E_NS1_11comp_targetILNS1_3genE4ELNS1_11target_archE910ELNS1_3gpuE8ELNS1_3repE0EEENS1_30default_config_static_selectorELNS0_4arch9wavefront6targetE1EEEvT1_, .Lfunc_end3494-_ZN7rocprim17ROCPRIM_400000_NS6detail17trampoline_kernelINS0_14default_configENS1_25partition_config_selectorILNS1_17partition_subalgoE3EN6thrust23THRUST_200600_302600_NS5tupleIiiNS7_9null_typeES9_S9_S9_S9_S9_S9_S9_EENS0_10empty_typeEbEEZZNS1_14partition_implILS5_3ELb0ES3_jNS7_6detail15normal_iteratorINS7_7pointerISA_NS7_11hip_rocprim3tagENS7_11use_defaultESJ_EEEEPSB_SM_NS0_5tupleIJPSA_SM_EEENSN_IJSM_SM_EEESB_PlJ10is_orderedEEE10hipError_tPvRmT3_T4_T5_T6_T7_T9_mT8_P12ihipStream_tbDpT10_ENKUlT_T0_E_clISt17integral_constantIbLb0EES1C_EEDaS17_S18_EUlS17_E_NS1_11comp_targetILNS1_3genE4ELNS1_11target_archE910ELNS1_3gpuE8ELNS1_3repE0EEENS1_30default_config_static_selectorELNS0_4arch9wavefront6targetE1EEEvT1_
                                        ; -- End function
	.section	.AMDGPU.csdata,"",@progbits
; Kernel info:
; codeLenInByte = 0
; NumSgprs: 6
; NumVgprs: 0
; NumAgprs: 0
; TotalNumVgprs: 0
; ScratchSize: 0
; MemoryBound: 0
; FloatMode: 240
; IeeeMode: 1
; LDSByteSize: 0 bytes/workgroup (compile time only)
; SGPRBlocks: 0
; VGPRBlocks: 0
; NumSGPRsForWavesPerEU: 6
; NumVGPRsForWavesPerEU: 1
; AccumOffset: 4
; Occupancy: 8
; WaveLimiterHint : 0
; COMPUTE_PGM_RSRC2:SCRATCH_EN: 0
; COMPUTE_PGM_RSRC2:USER_SGPR: 2
; COMPUTE_PGM_RSRC2:TRAP_HANDLER: 0
; COMPUTE_PGM_RSRC2:TGID_X_EN: 1
; COMPUTE_PGM_RSRC2:TGID_Y_EN: 0
; COMPUTE_PGM_RSRC2:TGID_Z_EN: 0
; COMPUTE_PGM_RSRC2:TIDIG_COMP_CNT: 0
; COMPUTE_PGM_RSRC3_GFX90A:ACCUM_OFFSET: 0
; COMPUTE_PGM_RSRC3_GFX90A:TG_SPLIT: 0
	.section	.text._ZN7rocprim17ROCPRIM_400000_NS6detail17trampoline_kernelINS0_14default_configENS1_25partition_config_selectorILNS1_17partition_subalgoE3EN6thrust23THRUST_200600_302600_NS5tupleIiiNS7_9null_typeES9_S9_S9_S9_S9_S9_S9_EENS0_10empty_typeEbEEZZNS1_14partition_implILS5_3ELb0ES3_jNS7_6detail15normal_iteratorINS7_7pointerISA_NS7_11hip_rocprim3tagENS7_11use_defaultESJ_EEEEPSB_SM_NS0_5tupleIJPSA_SM_EEENSN_IJSM_SM_EEESB_PlJ10is_orderedEEE10hipError_tPvRmT3_T4_T5_T6_T7_T9_mT8_P12ihipStream_tbDpT10_ENKUlT_T0_E_clISt17integral_constantIbLb0EES1C_EEDaS17_S18_EUlS17_E_NS1_11comp_targetILNS1_3genE3ELNS1_11target_archE908ELNS1_3gpuE7ELNS1_3repE0EEENS1_30default_config_static_selectorELNS0_4arch9wavefront6targetE1EEEvT1_,"axG",@progbits,_ZN7rocprim17ROCPRIM_400000_NS6detail17trampoline_kernelINS0_14default_configENS1_25partition_config_selectorILNS1_17partition_subalgoE3EN6thrust23THRUST_200600_302600_NS5tupleIiiNS7_9null_typeES9_S9_S9_S9_S9_S9_S9_EENS0_10empty_typeEbEEZZNS1_14partition_implILS5_3ELb0ES3_jNS7_6detail15normal_iteratorINS7_7pointerISA_NS7_11hip_rocprim3tagENS7_11use_defaultESJ_EEEEPSB_SM_NS0_5tupleIJPSA_SM_EEENSN_IJSM_SM_EEESB_PlJ10is_orderedEEE10hipError_tPvRmT3_T4_T5_T6_T7_T9_mT8_P12ihipStream_tbDpT10_ENKUlT_T0_E_clISt17integral_constantIbLb0EES1C_EEDaS17_S18_EUlS17_E_NS1_11comp_targetILNS1_3genE3ELNS1_11target_archE908ELNS1_3gpuE7ELNS1_3repE0EEENS1_30default_config_static_selectorELNS0_4arch9wavefront6targetE1EEEvT1_,comdat
	.protected	_ZN7rocprim17ROCPRIM_400000_NS6detail17trampoline_kernelINS0_14default_configENS1_25partition_config_selectorILNS1_17partition_subalgoE3EN6thrust23THRUST_200600_302600_NS5tupleIiiNS7_9null_typeES9_S9_S9_S9_S9_S9_S9_EENS0_10empty_typeEbEEZZNS1_14partition_implILS5_3ELb0ES3_jNS7_6detail15normal_iteratorINS7_7pointerISA_NS7_11hip_rocprim3tagENS7_11use_defaultESJ_EEEEPSB_SM_NS0_5tupleIJPSA_SM_EEENSN_IJSM_SM_EEESB_PlJ10is_orderedEEE10hipError_tPvRmT3_T4_T5_T6_T7_T9_mT8_P12ihipStream_tbDpT10_ENKUlT_T0_E_clISt17integral_constantIbLb0EES1C_EEDaS17_S18_EUlS17_E_NS1_11comp_targetILNS1_3genE3ELNS1_11target_archE908ELNS1_3gpuE7ELNS1_3repE0EEENS1_30default_config_static_selectorELNS0_4arch9wavefront6targetE1EEEvT1_ ; -- Begin function _ZN7rocprim17ROCPRIM_400000_NS6detail17trampoline_kernelINS0_14default_configENS1_25partition_config_selectorILNS1_17partition_subalgoE3EN6thrust23THRUST_200600_302600_NS5tupleIiiNS7_9null_typeES9_S9_S9_S9_S9_S9_S9_EENS0_10empty_typeEbEEZZNS1_14partition_implILS5_3ELb0ES3_jNS7_6detail15normal_iteratorINS7_7pointerISA_NS7_11hip_rocprim3tagENS7_11use_defaultESJ_EEEEPSB_SM_NS0_5tupleIJPSA_SM_EEENSN_IJSM_SM_EEESB_PlJ10is_orderedEEE10hipError_tPvRmT3_T4_T5_T6_T7_T9_mT8_P12ihipStream_tbDpT10_ENKUlT_T0_E_clISt17integral_constantIbLb0EES1C_EEDaS17_S18_EUlS17_E_NS1_11comp_targetILNS1_3genE3ELNS1_11target_archE908ELNS1_3gpuE7ELNS1_3repE0EEENS1_30default_config_static_selectorELNS0_4arch9wavefront6targetE1EEEvT1_
	.globl	_ZN7rocprim17ROCPRIM_400000_NS6detail17trampoline_kernelINS0_14default_configENS1_25partition_config_selectorILNS1_17partition_subalgoE3EN6thrust23THRUST_200600_302600_NS5tupleIiiNS7_9null_typeES9_S9_S9_S9_S9_S9_S9_EENS0_10empty_typeEbEEZZNS1_14partition_implILS5_3ELb0ES3_jNS7_6detail15normal_iteratorINS7_7pointerISA_NS7_11hip_rocprim3tagENS7_11use_defaultESJ_EEEEPSB_SM_NS0_5tupleIJPSA_SM_EEENSN_IJSM_SM_EEESB_PlJ10is_orderedEEE10hipError_tPvRmT3_T4_T5_T6_T7_T9_mT8_P12ihipStream_tbDpT10_ENKUlT_T0_E_clISt17integral_constantIbLb0EES1C_EEDaS17_S18_EUlS17_E_NS1_11comp_targetILNS1_3genE3ELNS1_11target_archE908ELNS1_3gpuE7ELNS1_3repE0EEENS1_30default_config_static_selectorELNS0_4arch9wavefront6targetE1EEEvT1_
	.p2align	8
	.type	_ZN7rocprim17ROCPRIM_400000_NS6detail17trampoline_kernelINS0_14default_configENS1_25partition_config_selectorILNS1_17partition_subalgoE3EN6thrust23THRUST_200600_302600_NS5tupleIiiNS7_9null_typeES9_S9_S9_S9_S9_S9_S9_EENS0_10empty_typeEbEEZZNS1_14partition_implILS5_3ELb0ES3_jNS7_6detail15normal_iteratorINS7_7pointerISA_NS7_11hip_rocprim3tagENS7_11use_defaultESJ_EEEEPSB_SM_NS0_5tupleIJPSA_SM_EEENSN_IJSM_SM_EEESB_PlJ10is_orderedEEE10hipError_tPvRmT3_T4_T5_T6_T7_T9_mT8_P12ihipStream_tbDpT10_ENKUlT_T0_E_clISt17integral_constantIbLb0EES1C_EEDaS17_S18_EUlS17_E_NS1_11comp_targetILNS1_3genE3ELNS1_11target_archE908ELNS1_3gpuE7ELNS1_3repE0EEENS1_30default_config_static_selectorELNS0_4arch9wavefront6targetE1EEEvT1_,@function
_ZN7rocprim17ROCPRIM_400000_NS6detail17trampoline_kernelINS0_14default_configENS1_25partition_config_selectorILNS1_17partition_subalgoE3EN6thrust23THRUST_200600_302600_NS5tupleIiiNS7_9null_typeES9_S9_S9_S9_S9_S9_S9_EENS0_10empty_typeEbEEZZNS1_14partition_implILS5_3ELb0ES3_jNS7_6detail15normal_iteratorINS7_7pointerISA_NS7_11hip_rocprim3tagENS7_11use_defaultESJ_EEEEPSB_SM_NS0_5tupleIJPSA_SM_EEENSN_IJSM_SM_EEESB_PlJ10is_orderedEEE10hipError_tPvRmT3_T4_T5_T6_T7_T9_mT8_P12ihipStream_tbDpT10_ENKUlT_T0_E_clISt17integral_constantIbLb0EES1C_EEDaS17_S18_EUlS17_E_NS1_11comp_targetILNS1_3genE3ELNS1_11target_archE908ELNS1_3gpuE7ELNS1_3repE0EEENS1_30default_config_static_selectorELNS0_4arch9wavefront6targetE1EEEvT1_: ; @_ZN7rocprim17ROCPRIM_400000_NS6detail17trampoline_kernelINS0_14default_configENS1_25partition_config_selectorILNS1_17partition_subalgoE3EN6thrust23THRUST_200600_302600_NS5tupleIiiNS7_9null_typeES9_S9_S9_S9_S9_S9_S9_EENS0_10empty_typeEbEEZZNS1_14partition_implILS5_3ELb0ES3_jNS7_6detail15normal_iteratorINS7_7pointerISA_NS7_11hip_rocprim3tagENS7_11use_defaultESJ_EEEEPSB_SM_NS0_5tupleIJPSA_SM_EEENSN_IJSM_SM_EEESB_PlJ10is_orderedEEE10hipError_tPvRmT3_T4_T5_T6_T7_T9_mT8_P12ihipStream_tbDpT10_ENKUlT_T0_E_clISt17integral_constantIbLb0EES1C_EEDaS17_S18_EUlS17_E_NS1_11comp_targetILNS1_3genE3ELNS1_11target_archE908ELNS1_3gpuE7ELNS1_3repE0EEENS1_30default_config_static_selectorELNS0_4arch9wavefront6targetE1EEEvT1_
; %bb.0:
	.section	.rodata,"a",@progbits
	.p2align	6, 0x0
	.amdhsa_kernel _ZN7rocprim17ROCPRIM_400000_NS6detail17trampoline_kernelINS0_14default_configENS1_25partition_config_selectorILNS1_17partition_subalgoE3EN6thrust23THRUST_200600_302600_NS5tupleIiiNS7_9null_typeES9_S9_S9_S9_S9_S9_S9_EENS0_10empty_typeEbEEZZNS1_14partition_implILS5_3ELb0ES3_jNS7_6detail15normal_iteratorINS7_7pointerISA_NS7_11hip_rocprim3tagENS7_11use_defaultESJ_EEEEPSB_SM_NS0_5tupleIJPSA_SM_EEENSN_IJSM_SM_EEESB_PlJ10is_orderedEEE10hipError_tPvRmT3_T4_T5_T6_T7_T9_mT8_P12ihipStream_tbDpT10_ENKUlT_T0_E_clISt17integral_constantIbLb0EES1C_EEDaS17_S18_EUlS17_E_NS1_11comp_targetILNS1_3genE3ELNS1_11target_archE908ELNS1_3gpuE7ELNS1_3repE0EEENS1_30default_config_static_selectorELNS0_4arch9wavefront6targetE1EEEvT1_
		.amdhsa_group_segment_fixed_size 0
		.amdhsa_private_segment_fixed_size 0
		.amdhsa_kernarg_size 120
		.amdhsa_user_sgpr_count 2
		.amdhsa_user_sgpr_dispatch_ptr 0
		.amdhsa_user_sgpr_queue_ptr 0
		.amdhsa_user_sgpr_kernarg_segment_ptr 1
		.amdhsa_user_sgpr_dispatch_id 0
		.amdhsa_user_sgpr_kernarg_preload_length 0
		.amdhsa_user_sgpr_kernarg_preload_offset 0
		.amdhsa_user_sgpr_private_segment_size 0
		.amdhsa_uses_dynamic_stack 0
		.amdhsa_enable_private_segment 0
		.amdhsa_system_sgpr_workgroup_id_x 1
		.amdhsa_system_sgpr_workgroup_id_y 0
		.amdhsa_system_sgpr_workgroup_id_z 0
		.amdhsa_system_sgpr_workgroup_info 0
		.amdhsa_system_vgpr_workitem_id 0
		.amdhsa_next_free_vgpr 1
		.amdhsa_next_free_sgpr 0
		.amdhsa_accum_offset 4
		.amdhsa_reserve_vcc 0
		.amdhsa_float_round_mode_32 0
		.amdhsa_float_round_mode_16_64 0
		.amdhsa_float_denorm_mode_32 3
		.amdhsa_float_denorm_mode_16_64 3
		.amdhsa_dx10_clamp 1
		.amdhsa_ieee_mode 1
		.amdhsa_fp16_overflow 0
		.amdhsa_tg_split 0
		.amdhsa_exception_fp_ieee_invalid_op 0
		.amdhsa_exception_fp_denorm_src 0
		.amdhsa_exception_fp_ieee_div_zero 0
		.amdhsa_exception_fp_ieee_overflow 0
		.amdhsa_exception_fp_ieee_underflow 0
		.amdhsa_exception_fp_ieee_inexact 0
		.amdhsa_exception_int_div_zero 0
	.end_amdhsa_kernel
	.section	.text._ZN7rocprim17ROCPRIM_400000_NS6detail17trampoline_kernelINS0_14default_configENS1_25partition_config_selectorILNS1_17partition_subalgoE3EN6thrust23THRUST_200600_302600_NS5tupleIiiNS7_9null_typeES9_S9_S9_S9_S9_S9_S9_EENS0_10empty_typeEbEEZZNS1_14partition_implILS5_3ELb0ES3_jNS7_6detail15normal_iteratorINS7_7pointerISA_NS7_11hip_rocprim3tagENS7_11use_defaultESJ_EEEEPSB_SM_NS0_5tupleIJPSA_SM_EEENSN_IJSM_SM_EEESB_PlJ10is_orderedEEE10hipError_tPvRmT3_T4_T5_T6_T7_T9_mT8_P12ihipStream_tbDpT10_ENKUlT_T0_E_clISt17integral_constantIbLb0EES1C_EEDaS17_S18_EUlS17_E_NS1_11comp_targetILNS1_3genE3ELNS1_11target_archE908ELNS1_3gpuE7ELNS1_3repE0EEENS1_30default_config_static_selectorELNS0_4arch9wavefront6targetE1EEEvT1_,"axG",@progbits,_ZN7rocprim17ROCPRIM_400000_NS6detail17trampoline_kernelINS0_14default_configENS1_25partition_config_selectorILNS1_17partition_subalgoE3EN6thrust23THRUST_200600_302600_NS5tupleIiiNS7_9null_typeES9_S9_S9_S9_S9_S9_S9_EENS0_10empty_typeEbEEZZNS1_14partition_implILS5_3ELb0ES3_jNS7_6detail15normal_iteratorINS7_7pointerISA_NS7_11hip_rocprim3tagENS7_11use_defaultESJ_EEEEPSB_SM_NS0_5tupleIJPSA_SM_EEENSN_IJSM_SM_EEESB_PlJ10is_orderedEEE10hipError_tPvRmT3_T4_T5_T6_T7_T9_mT8_P12ihipStream_tbDpT10_ENKUlT_T0_E_clISt17integral_constantIbLb0EES1C_EEDaS17_S18_EUlS17_E_NS1_11comp_targetILNS1_3genE3ELNS1_11target_archE908ELNS1_3gpuE7ELNS1_3repE0EEENS1_30default_config_static_selectorELNS0_4arch9wavefront6targetE1EEEvT1_,comdat
.Lfunc_end3495:
	.size	_ZN7rocprim17ROCPRIM_400000_NS6detail17trampoline_kernelINS0_14default_configENS1_25partition_config_selectorILNS1_17partition_subalgoE3EN6thrust23THRUST_200600_302600_NS5tupleIiiNS7_9null_typeES9_S9_S9_S9_S9_S9_S9_EENS0_10empty_typeEbEEZZNS1_14partition_implILS5_3ELb0ES3_jNS7_6detail15normal_iteratorINS7_7pointerISA_NS7_11hip_rocprim3tagENS7_11use_defaultESJ_EEEEPSB_SM_NS0_5tupleIJPSA_SM_EEENSN_IJSM_SM_EEESB_PlJ10is_orderedEEE10hipError_tPvRmT3_T4_T5_T6_T7_T9_mT8_P12ihipStream_tbDpT10_ENKUlT_T0_E_clISt17integral_constantIbLb0EES1C_EEDaS17_S18_EUlS17_E_NS1_11comp_targetILNS1_3genE3ELNS1_11target_archE908ELNS1_3gpuE7ELNS1_3repE0EEENS1_30default_config_static_selectorELNS0_4arch9wavefront6targetE1EEEvT1_, .Lfunc_end3495-_ZN7rocprim17ROCPRIM_400000_NS6detail17trampoline_kernelINS0_14default_configENS1_25partition_config_selectorILNS1_17partition_subalgoE3EN6thrust23THRUST_200600_302600_NS5tupleIiiNS7_9null_typeES9_S9_S9_S9_S9_S9_S9_EENS0_10empty_typeEbEEZZNS1_14partition_implILS5_3ELb0ES3_jNS7_6detail15normal_iteratorINS7_7pointerISA_NS7_11hip_rocprim3tagENS7_11use_defaultESJ_EEEEPSB_SM_NS0_5tupleIJPSA_SM_EEENSN_IJSM_SM_EEESB_PlJ10is_orderedEEE10hipError_tPvRmT3_T4_T5_T6_T7_T9_mT8_P12ihipStream_tbDpT10_ENKUlT_T0_E_clISt17integral_constantIbLb0EES1C_EEDaS17_S18_EUlS17_E_NS1_11comp_targetILNS1_3genE3ELNS1_11target_archE908ELNS1_3gpuE7ELNS1_3repE0EEENS1_30default_config_static_selectorELNS0_4arch9wavefront6targetE1EEEvT1_
                                        ; -- End function
	.section	.AMDGPU.csdata,"",@progbits
; Kernel info:
; codeLenInByte = 0
; NumSgprs: 6
; NumVgprs: 0
; NumAgprs: 0
; TotalNumVgprs: 0
; ScratchSize: 0
; MemoryBound: 0
; FloatMode: 240
; IeeeMode: 1
; LDSByteSize: 0 bytes/workgroup (compile time only)
; SGPRBlocks: 0
; VGPRBlocks: 0
; NumSGPRsForWavesPerEU: 6
; NumVGPRsForWavesPerEU: 1
; AccumOffset: 4
; Occupancy: 8
; WaveLimiterHint : 0
; COMPUTE_PGM_RSRC2:SCRATCH_EN: 0
; COMPUTE_PGM_RSRC2:USER_SGPR: 2
; COMPUTE_PGM_RSRC2:TRAP_HANDLER: 0
; COMPUTE_PGM_RSRC2:TGID_X_EN: 1
; COMPUTE_PGM_RSRC2:TGID_Y_EN: 0
; COMPUTE_PGM_RSRC2:TGID_Z_EN: 0
; COMPUTE_PGM_RSRC2:TIDIG_COMP_CNT: 0
; COMPUTE_PGM_RSRC3_GFX90A:ACCUM_OFFSET: 0
; COMPUTE_PGM_RSRC3_GFX90A:TG_SPLIT: 0
	.section	.text._ZN7rocprim17ROCPRIM_400000_NS6detail17trampoline_kernelINS0_14default_configENS1_25partition_config_selectorILNS1_17partition_subalgoE3EN6thrust23THRUST_200600_302600_NS5tupleIiiNS7_9null_typeES9_S9_S9_S9_S9_S9_S9_EENS0_10empty_typeEbEEZZNS1_14partition_implILS5_3ELb0ES3_jNS7_6detail15normal_iteratorINS7_7pointerISA_NS7_11hip_rocprim3tagENS7_11use_defaultESJ_EEEEPSB_SM_NS0_5tupleIJPSA_SM_EEENSN_IJSM_SM_EEESB_PlJ10is_orderedEEE10hipError_tPvRmT3_T4_T5_T6_T7_T9_mT8_P12ihipStream_tbDpT10_ENKUlT_T0_E_clISt17integral_constantIbLb0EES1C_EEDaS17_S18_EUlS17_E_NS1_11comp_targetILNS1_3genE2ELNS1_11target_archE906ELNS1_3gpuE6ELNS1_3repE0EEENS1_30default_config_static_selectorELNS0_4arch9wavefront6targetE1EEEvT1_,"axG",@progbits,_ZN7rocprim17ROCPRIM_400000_NS6detail17trampoline_kernelINS0_14default_configENS1_25partition_config_selectorILNS1_17partition_subalgoE3EN6thrust23THRUST_200600_302600_NS5tupleIiiNS7_9null_typeES9_S9_S9_S9_S9_S9_S9_EENS0_10empty_typeEbEEZZNS1_14partition_implILS5_3ELb0ES3_jNS7_6detail15normal_iteratorINS7_7pointerISA_NS7_11hip_rocprim3tagENS7_11use_defaultESJ_EEEEPSB_SM_NS0_5tupleIJPSA_SM_EEENSN_IJSM_SM_EEESB_PlJ10is_orderedEEE10hipError_tPvRmT3_T4_T5_T6_T7_T9_mT8_P12ihipStream_tbDpT10_ENKUlT_T0_E_clISt17integral_constantIbLb0EES1C_EEDaS17_S18_EUlS17_E_NS1_11comp_targetILNS1_3genE2ELNS1_11target_archE906ELNS1_3gpuE6ELNS1_3repE0EEENS1_30default_config_static_selectorELNS0_4arch9wavefront6targetE1EEEvT1_,comdat
	.protected	_ZN7rocprim17ROCPRIM_400000_NS6detail17trampoline_kernelINS0_14default_configENS1_25partition_config_selectorILNS1_17partition_subalgoE3EN6thrust23THRUST_200600_302600_NS5tupleIiiNS7_9null_typeES9_S9_S9_S9_S9_S9_S9_EENS0_10empty_typeEbEEZZNS1_14partition_implILS5_3ELb0ES3_jNS7_6detail15normal_iteratorINS7_7pointerISA_NS7_11hip_rocprim3tagENS7_11use_defaultESJ_EEEEPSB_SM_NS0_5tupleIJPSA_SM_EEENSN_IJSM_SM_EEESB_PlJ10is_orderedEEE10hipError_tPvRmT3_T4_T5_T6_T7_T9_mT8_P12ihipStream_tbDpT10_ENKUlT_T0_E_clISt17integral_constantIbLb0EES1C_EEDaS17_S18_EUlS17_E_NS1_11comp_targetILNS1_3genE2ELNS1_11target_archE906ELNS1_3gpuE6ELNS1_3repE0EEENS1_30default_config_static_selectorELNS0_4arch9wavefront6targetE1EEEvT1_ ; -- Begin function _ZN7rocprim17ROCPRIM_400000_NS6detail17trampoline_kernelINS0_14default_configENS1_25partition_config_selectorILNS1_17partition_subalgoE3EN6thrust23THRUST_200600_302600_NS5tupleIiiNS7_9null_typeES9_S9_S9_S9_S9_S9_S9_EENS0_10empty_typeEbEEZZNS1_14partition_implILS5_3ELb0ES3_jNS7_6detail15normal_iteratorINS7_7pointerISA_NS7_11hip_rocprim3tagENS7_11use_defaultESJ_EEEEPSB_SM_NS0_5tupleIJPSA_SM_EEENSN_IJSM_SM_EEESB_PlJ10is_orderedEEE10hipError_tPvRmT3_T4_T5_T6_T7_T9_mT8_P12ihipStream_tbDpT10_ENKUlT_T0_E_clISt17integral_constantIbLb0EES1C_EEDaS17_S18_EUlS17_E_NS1_11comp_targetILNS1_3genE2ELNS1_11target_archE906ELNS1_3gpuE6ELNS1_3repE0EEENS1_30default_config_static_selectorELNS0_4arch9wavefront6targetE1EEEvT1_
	.globl	_ZN7rocprim17ROCPRIM_400000_NS6detail17trampoline_kernelINS0_14default_configENS1_25partition_config_selectorILNS1_17partition_subalgoE3EN6thrust23THRUST_200600_302600_NS5tupleIiiNS7_9null_typeES9_S9_S9_S9_S9_S9_S9_EENS0_10empty_typeEbEEZZNS1_14partition_implILS5_3ELb0ES3_jNS7_6detail15normal_iteratorINS7_7pointerISA_NS7_11hip_rocprim3tagENS7_11use_defaultESJ_EEEEPSB_SM_NS0_5tupleIJPSA_SM_EEENSN_IJSM_SM_EEESB_PlJ10is_orderedEEE10hipError_tPvRmT3_T4_T5_T6_T7_T9_mT8_P12ihipStream_tbDpT10_ENKUlT_T0_E_clISt17integral_constantIbLb0EES1C_EEDaS17_S18_EUlS17_E_NS1_11comp_targetILNS1_3genE2ELNS1_11target_archE906ELNS1_3gpuE6ELNS1_3repE0EEENS1_30default_config_static_selectorELNS0_4arch9wavefront6targetE1EEEvT1_
	.p2align	8
	.type	_ZN7rocprim17ROCPRIM_400000_NS6detail17trampoline_kernelINS0_14default_configENS1_25partition_config_selectorILNS1_17partition_subalgoE3EN6thrust23THRUST_200600_302600_NS5tupleIiiNS7_9null_typeES9_S9_S9_S9_S9_S9_S9_EENS0_10empty_typeEbEEZZNS1_14partition_implILS5_3ELb0ES3_jNS7_6detail15normal_iteratorINS7_7pointerISA_NS7_11hip_rocprim3tagENS7_11use_defaultESJ_EEEEPSB_SM_NS0_5tupleIJPSA_SM_EEENSN_IJSM_SM_EEESB_PlJ10is_orderedEEE10hipError_tPvRmT3_T4_T5_T6_T7_T9_mT8_P12ihipStream_tbDpT10_ENKUlT_T0_E_clISt17integral_constantIbLb0EES1C_EEDaS17_S18_EUlS17_E_NS1_11comp_targetILNS1_3genE2ELNS1_11target_archE906ELNS1_3gpuE6ELNS1_3repE0EEENS1_30default_config_static_selectorELNS0_4arch9wavefront6targetE1EEEvT1_,@function
_ZN7rocprim17ROCPRIM_400000_NS6detail17trampoline_kernelINS0_14default_configENS1_25partition_config_selectorILNS1_17partition_subalgoE3EN6thrust23THRUST_200600_302600_NS5tupleIiiNS7_9null_typeES9_S9_S9_S9_S9_S9_S9_EENS0_10empty_typeEbEEZZNS1_14partition_implILS5_3ELb0ES3_jNS7_6detail15normal_iteratorINS7_7pointerISA_NS7_11hip_rocprim3tagENS7_11use_defaultESJ_EEEEPSB_SM_NS0_5tupleIJPSA_SM_EEENSN_IJSM_SM_EEESB_PlJ10is_orderedEEE10hipError_tPvRmT3_T4_T5_T6_T7_T9_mT8_P12ihipStream_tbDpT10_ENKUlT_T0_E_clISt17integral_constantIbLb0EES1C_EEDaS17_S18_EUlS17_E_NS1_11comp_targetILNS1_3genE2ELNS1_11target_archE906ELNS1_3gpuE6ELNS1_3repE0EEENS1_30default_config_static_selectorELNS0_4arch9wavefront6targetE1EEEvT1_: ; @_ZN7rocprim17ROCPRIM_400000_NS6detail17trampoline_kernelINS0_14default_configENS1_25partition_config_selectorILNS1_17partition_subalgoE3EN6thrust23THRUST_200600_302600_NS5tupleIiiNS7_9null_typeES9_S9_S9_S9_S9_S9_S9_EENS0_10empty_typeEbEEZZNS1_14partition_implILS5_3ELb0ES3_jNS7_6detail15normal_iteratorINS7_7pointerISA_NS7_11hip_rocprim3tagENS7_11use_defaultESJ_EEEEPSB_SM_NS0_5tupleIJPSA_SM_EEENSN_IJSM_SM_EEESB_PlJ10is_orderedEEE10hipError_tPvRmT3_T4_T5_T6_T7_T9_mT8_P12ihipStream_tbDpT10_ENKUlT_T0_E_clISt17integral_constantIbLb0EES1C_EEDaS17_S18_EUlS17_E_NS1_11comp_targetILNS1_3genE2ELNS1_11target_archE906ELNS1_3gpuE6ELNS1_3repE0EEENS1_30default_config_static_selectorELNS0_4arch9wavefront6targetE1EEEvT1_
; %bb.0:
	.section	.rodata,"a",@progbits
	.p2align	6, 0x0
	.amdhsa_kernel _ZN7rocprim17ROCPRIM_400000_NS6detail17trampoline_kernelINS0_14default_configENS1_25partition_config_selectorILNS1_17partition_subalgoE3EN6thrust23THRUST_200600_302600_NS5tupleIiiNS7_9null_typeES9_S9_S9_S9_S9_S9_S9_EENS0_10empty_typeEbEEZZNS1_14partition_implILS5_3ELb0ES3_jNS7_6detail15normal_iteratorINS7_7pointerISA_NS7_11hip_rocprim3tagENS7_11use_defaultESJ_EEEEPSB_SM_NS0_5tupleIJPSA_SM_EEENSN_IJSM_SM_EEESB_PlJ10is_orderedEEE10hipError_tPvRmT3_T4_T5_T6_T7_T9_mT8_P12ihipStream_tbDpT10_ENKUlT_T0_E_clISt17integral_constantIbLb0EES1C_EEDaS17_S18_EUlS17_E_NS1_11comp_targetILNS1_3genE2ELNS1_11target_archE906ELNS1_3gpuE6ELNS1_3repE0EEENS1_30default_config_static_selectorELNS0_4arch9wavefront6targetE1EEEvT1_
		.amdhsa_group_segment_fixed_size 0
		.amdhsa_private_segment_fixed_size 0
		.amdhsa_kernarg_size 120
		.amdhsa_user_sgpr_count 2
		.amdhsa_user_sgpr_dispatch_ptr 0
		.amdhsa_user_sgpr_queue_ptr 0
		.amdhsa_user_sgpr_kernarg_segment_ptr 1
		.amdhsa_user_sgpr_dispatch_id 0
		.amdhsa_user_sgpr_kernarg_preload_length 0
		.amdhsa_user_sgpr_kernarg_preload_offset 0
		.amdhsa_user_sgpr_private_segment_size 0
		.amdhsa_uses_dynamic_stack 0
		.amdhsa_enable_private_segment 0
		.amdhsa_system_sgpr_workgroup_id_x 1
		.amdhsa_system_sgpr_workgroup_id_y 0
		.amdhsa_system_sgpr_workgroup_id_z 0
		.amdhsa_system_sgpr_workgroup_info 0
		.amdhsa_system_vgpr_workitem_id 0
		.amdhsa_next_free_vgpr 1
		.amdhsa_next_free_sgpr 0
		.amdhsa_accum_offset 4
		.amdhsa_reserve_vcc 0
		.amdhsa_float_round_mode_32 0
		.amdhsa_float_round_mode_16_64 0
		.amdhsa_float_denorm_mode_32 3
		.amdhsa_float_denorm_mode_16_64 3
		.amdhsa_dx10_clamp 1
		.amdhsa_ieee_mode 1
		.amdhsa_fp16_overflow 0
		.amdhsa_tg_split 0
		.amdhsa_exception_fp_ieee_invalid_op 0
		.amdhsa_exception_fp_denorm_src 0
		.amdhsa_exception_fp_ieee_div_zero 0
		.amdhsa_exception_fp_ieee_overflow 0
		.amdhsa_exception_fp_ieee_underflow 0
		.amdhsa_exception_fp_ieee_inexact 0
		.amdhsa_exception_int_div_zero 0
	.end_amdhsa_kernel
	.section	.text._ZN7rocprim17ROCPRIM_400000_NS6detail17trampoline_kernelINS0_14default_configENS1_25partition_config_selectorILNS1_17partition_subalgoE3EN6thrust23THRUST_200600_302600_NS5tupleIiiNS7_9null_typeES9_S9_S9_S9_S9_S9_S9_EENS0_10empty_typeEbEEZZNS1_14partition_implILS5_3ELb0ES3_jNS7_6detail15normal_iteratorINS7_7pointerISA_NS7_11hip_rocprim3tagENS7_11use_defaultESJ_EEEEPSB_SM_NS0_5tupleIJPSA_SM_EEENSN_IJSM_SM_EEESB_PlJ10is_orderedEEE10hipError_tPvRmT3_T4_T5_T6_T7_T9_mT8_P12ihipStream_tbDpT10_ENKUlT_T0_E_clISt17integral_constantIbLb0EES1C_EEDaS17_S18_EUlS17_E_NS1_11comp_targetILNS1_3genE2ELNS1_11target_archE906ELNS1_3gpuE6ELNS1_3repE0EEENS1_30default_config_static_selectorELNS0_4arch9wavefront6targetE1EEEvT1_,"axG",@progbits,_ZN7rocprim17ROCPRIM_400000_NS6detail17trampoline_kernelINS0_14default_configENS1_25partition_config_selectorILNS1_17partition_subalgoE3EN6thrust23THRUST_200600_302600_NS5tupleIiiNS7_9null_typeES9_S9_S9_S9_S9_S9_S9_EENS0_10empty_typeEbEEZZNS1_14partition_implILS5_3ELb0ES3_jNS7_6detail15normal_iteratorINS7_7pointerISA_NS7_11hip_rocprim3tagENS7_11use_defaultESJ_EEEEPSB_SM_NS0_5tupleIJPSA_SM_EEENSN_IJSM_SM_EEESB_PlJ10is_orderedEEE10hipError_tPvRmT3_T4_T5_T6_T7_T9_mT8_P12ihipStream_tbDpT10_ENKUlT_T0_E_clISt17integral_constantIbLb0EES1C_EEDaS17_S18_EUlS17_E_NS1_11comp_targetILNS1_3genE2ELNS1_11target_archE906ELNS1_3gpuE6ELNS1_3repE0EEENS1_30default_config_static_selectorELNS0_4arch9wavefront6targetE1EEEvT1_,comdat
.Lfunc_end3496:
	.size	_ZN7rocprim17ROCPRIM_400000_NS6detail17trampoline_kernelINS0_14default_configENS1_25partition_config_selectorILNS1_17partition_subalgoE3EN6thrust23THRUST_200600_302600_NS5tupleIiiNS7_9null_typeES9_S9_S9_S9_S9_S9_S9_EENS0_10empty_typeEbEEZZNS1_14partition_implILS5_3ELb0ES3_jNS7_6detail15normal_iteratorINS7_7pointerISA_NS7_11hip_rocprim3tagENS7_11use_defaultESJ_EEEEPSB_SM_NS0_5tupleIJPSA_SM_EEENSN_IJSM_SM_EEESB_PlJ10is_orderedEEE10hipError_tPvRmT3_T4_T5_T6_T7_T9_mT8_P12ihipStream_tbDpT10_ENKUlT_T0_E_clISt17integral_constantIbLb0EES1C_EEDaS17_S18_EUlS17_E_NS1_11comp_targetILNS1_3genE2ELNS1_11target_archE906ELNS1_3gpuE6ELNS1_3repE0EEENS1_30default_config_static_selectorELNS0_4arch9wavefront6targetE1EEEvT1_, .Lfunc_end3496-_ZN7rocprim17ROCPRIM_400000_NS6detail17trampoline_kernelINS0_14default_configENS1_25partition_config_selectorILNS1_17partition_subalgoE3EN6thrust23THRUST_200600_302600_NS5tupleIiiNS7_9null_typeES9_S9_S9_S9_S9_S9_S9_EENS0_10empty_typeEbEEZZNS1_14partition_implILS5_3ELb0ES3_jNS7_6detail15normal_iteratorINS7_7pointerISA_NS7_11hip_rocprim3tagENS7_11use_defaultESJ_EEEEPSB_SM_NS0_5tupleIJPSA_SM_EEENSN_IJSM_SM_EEESB_PlJ10is_orderedEEE10hipError_tPvRmT3_T4_T5_T6_T7_T9_mT8_P12ihipStream_tbDpT10_ENKUlT_T0_E_clISt17integral_constantIbLb0EES1C_EEDaS17_S18_EUlS17_E_NS1_11comp_targetILNS1_3genE2ELNS1_11target_archE906ELNS1_3gpuE6ELNS1_3repE0EEENS1_30default_config_static_selectorELNS0_4arch9wavefront6targetE1EEEvT1_
                                        ; -- End function
	.section	.AMDGPU.csdata,"",@progbits
; Kernel info:
; codeLenInByte = 0
; NumSgprs: 6
; NumVgprs: 0
; NumAgprs: 0
; TotalNumVgprs: 0
; ScratchSize: 0
; MemoryBound: 0
; FloatMode: 240
; IeeeMode: 1
; LDSByteSize: 0 bytes/workgroup (compile time only)
; SGPRBlocks: 0
; VGPRBlocks: 0
; NumSGPRsForWavesPerEU: 6
; NumVGPRsForWavesPerEU: 1
; AccumOffset: 4
; Occupancy: 8
; WaveLimiterHint : 0
; COMPUTE_PGM_RSRC2:SCRATCH_EN: 0
; COMPUTE_PGM_RSRC2:USER_SGPR: 2
; COMPUTE_PGM_RSRC2:TRAP_HANDLER: 0
; COMPUTE_PGM_RSRC2:TGID_X_EN: 1
; COMPUTE_PGM_RSRC2:TGID_Y_EN: 0
; COMPUTE_PGM_RSRC2:TGID_Z_EN: 0
; COMPUTE_PGM_RSRC2:TIDIG_COMP_CNT: 0
; COMPUTE_PGM_RSRC3_GFX90A:ACCUM_OFFSET: 0
; COMPUTE_PGM_RSRC3_GFX90A:TG_SPLIT: 0
	.section	.text._ZN7rocprim17ROCPRIM_400000_NS6detail17trampoline_kernelINS0_14default_configENS1_25partition_config_selectorILNS1_17partition_subalgoE3EN6thrust23THRUST_200600_302600_NS5tupleIiiNS7_9null_typeES9_S9_S9_S9_S9_S9_S9_EENS0_10empty_typeEbEEZZNS1_14partition_implILS5_3ELb0ES3_jNS7_6detail15normal_iteratorINS7_7pointerISA_NS7_11hip_rocprim3tagENS7_11use_defaultESJ_EEEEPSB_SM_NS0_5tupleIJPSA_SM_EEENSN_IJSM_SM_EEESB_PlJ10is_orderedEEE10hipError_tPvRmT3_T4_T5_T6_T7_T9_mT8_P12ihipStream_tbDpT10_ENKUlT_T0_E_clISt17integral_constantIbLb0EES1C_EEDaS17_S18_EUlS17_E_NS1_11comp_targetILNS1_3genE10ELNS1_11target_archE1200ELNS1_3gpuE4ELNS1_3repE0EEENS1_30default_config_static_selectorELNS0_4arch9wavefront6targetE1EEEvT1_,"axG",@progbits,_ZN7rocprim17ROCPRIM_400000_NS6detail17trampoline_kernelINS0_14default_configENS1_25partition_config_selectorILNS1_17partition_subalgoE3EN6thrust23THRUST_200600_302600_NS5tupleIiiNS7_9null_typeES9_S9_S9_S9_S9_S9_S9_EENS0_10empty_typeEbEEZZNS1_14partition_implILS5_3ELb0ES3_jNS7_6detail15normal_iteratorINS7_7pointerISA_NS7_11hip_rocprim3tagENS7_11use_defaultESJ_EEEEPSB_SM_NS0_5tupleIJPSA_SM_EEENSN_IJSM_SM_EEESB_PlJ10is_orderedEEE10hipError_tPvRmT3_T4_T5_T6_T7_T9_mT8_P12ihipStream_tbDpT10_ENKUlT_T0_E_clISt17integral_constantIbLb0EES1C_EEDaS17_S18_EUlS17_E_NS1_11comp_targetILNS1_3genE10ELNS1_11target_archE1200ELNS1_3gpuE4ELNS1_3repE0EEENS1_30default_config_static_selectorELNS0_4arch9wavefront6targetE1EEEvT1_,comdat
	.protected	_ZN7rocprim17ROCPRIM_400000_NS6detail17trampoline_kernelINS0_14default_configENS1_25partition_config_selectorILNS1_17partition_subalgoE3EN6thrust23THRUST_200600_302600_NS5tupleIiiNS7_9null_typeES9_S9_S9_S9_S9_S9_S9_EENS0_10empty_typeEbEEZZNS1_14partition_implILS5_3ELb0ES3_jNS7_6detail15normal_iteratorINS7_7pointerISA_NS7_11hip_rocprim3tagENS7_11use_defaultESJ_EEEEPSB_SM_NS0_5tupleIJPSA_SM_EEENSN_IJSM_SM_EEESB_PlJ10is_orderedEEE10hipError_tPvRmT3_T4_T5_T6_T7_T9_mT8_P12ihipStream_tbDpT10_ENKUlT_T0_E_clISt17integral_constantIbLb0EES1C_EEDaS17_S18_EUlS17_E_NS1_11comp_targetILNS1_3genE10ELNS1_11target_archE1200ELNS1_3gpuE4ELNS1_3repE0EEENS1_30default_config_static_selectorELNS0_4arch9wavefront6targetE1EEEvT1_ ; -- Begin function _ZN7rocprim17ROCPRIM_400000_NS6detail17trampoline_kernelINS0_14default_configENS1_25partition_config_selectorILNS1_17partition_subalgoE3EN6thrust23THRUST_200600_302600_NS5tupleIiiNS7_9null_typeES9_S9_S9_S9_S9_S9_S9_EENS0_10empty_typeEbEEZZNS1_14partition_implILS5_3ELb0ES3_jNS7_6detail15normal_iteratorINS7_7pointerISA_NS7_11hip_rocprim3tagENS7_11use_defaultESJ_EEEEPSB_SM_NS0_5tupleIJPSA_SM_EEENSN_IJSM_SM_EEESB_PlJ10is_orderedEEE10hipError_tPvRmT3_T4_T5_T6_T7_T9_mT8_P12ihipStream_tbDpT10_ENKUlT_T0_E_clISt17integral_constantIbLb0EES1C_EEDaS17_S18_EUlS17_E_NS1_11comp_targetILNS1_3genE10ELNS1_11target_archE1200ELNS1_3gpuE4ELNS1_3repE0EEENS1_30default_config_static_selectorELNS0_4arch9wavefront6targetE1EEEvT1_
	.globl	_ZN7rocprim17ROCPRIM_400000_NS6detail17trampoline_kernelINS0_14default_configENS1_25partition_config_selectorILNS1_17partition_subalgoE3EN6thrust23THRUST_200600_302600_NS5tupleIiiNS7_9null_typeES9_S9_S9_S9_S9_S9_S9_EENS0_10empty_typeEbEEZZNS1_14partition_implILS5_3ELb0ES3_jNS7_6detail15normal_iteratorINS7_7pointerISA_NS7_11hip_rocprim3tagENS7_11use_defaultESJ_EEEEPSB_SM_NS0_5tupleIJPSA_SM_EEENSN_IJSM_SM_EEESB_PlJ10is_orderedEEE10hipError_tPvRmT3_T4_T5_T6_T7_T9_mT8_P12ihipStream_tbDpT10_ENKUlT_T0_E_clISt17integral_constantIbLb0EES1C_EEDaS17_S18_EUlS17_E_NS1_11comp_targetILNS1_3genE10ELNS1_11target_archE1200ELNS1_3gpuE4ELNS1_3repE0EEENS1_30default_config_static_selectorELNS0_4arch9wavefront6targetE1EEEvT1_
	.p2align	8
	.type	_ZN7rocprim17ROCPRIM_400000_NS6detail17trampoline_kernelINS0_14default_configENS1_25partition_config_selectorILNS1_17partition_subalgoE3EN6thrust23THRUST_200600_302600_NS5tupleIiiNS7_9null_typeES9_S9_S9_S9_S9_S9_S9_EENS0_10empty_typeEbEEZZNS1_14partition_implILS5_3ELb0ES3_jNS7_6detail15normal_iteratorINS7_7pointerISA_NS7_11hip_rocprim3tagENS7_11use_defaultESJ_EEEEPSB_SM_NS0_5tupleIJPSA_SM_EEENSN_IJSM_SM_EEESB_PlJ10is_orderedEEE10hipError_tPvRmT3_T4_T5_T6_T7_T9_mT8_P12ihipStream_tbDpT10_ENKUlT_T0_E_clISt17integral_constantIbLb0EES1C_EEDaS17_S18_EUlS17_E_NS1_11comp_targetILNS1_3genE10ELNS1_11target_archE1200ELNS1_3gpuE4ELNS1_3repE0EEENS1_30default_config_static_selectorELNS0_4arch9wavefront6targetE1EEEvT1_,@function
_ZN7rocprim17ROCPRIM_400000_NS6detail17trampoline_kernelINS0_14default_configENS1_25partition_config_selectorILNS1_17partition_subalgoE3EN6thrust23THRUST_200600_302600_NS5tupleIiiNS7_9null_typeES9_S9_S9_S9_S9_S9_S9_EENS0_10empty_typeEbEEZZNS1_14partition_implILS5_3ELb0ES3_jNS7_6detail15normal_iteratorINS7_7pointerISA_NS7_11hip_rocprim3tagENS7_11use_defaultESJ_EEEEPSB_SM_NS0_5tupleIJPSA_SM_EEENSN_IJSM_SM_EEESB_PlJ10is_orderedEEE10hipError_tPvRmT3_T4_T5_T6_T7_T9_mT8_P12ihipStream_tbDpT10_ENKUlT_T0_E_clISt17integral_constantIbLb0EES1C_EEDaS17_S18_EUlS17_E_NS1_11comp_targetILNS1_3genE10ELNS1_11target_archE1200ELNS1_3gpuE4ELNS1_3repE0EEENS1_30default_config_static_selectorELNS0_4arch9wavefront6targetE1EEEvT1_: ; @_ZN7rocprim17ROCPRIM_400000_NS6detail17trampoline_kernelINS0_14default_configENS1_25partition_config_selectorILNS1_17partition_subalgoE3EN6thrust23THRUST_200600_302600_NS5tupleIiiNS7_9null_typeES9_S9_S9_S9_S9_S9_S9_EENS0_10empty_typeEbEEZZNS1_14partition_implILS5_3ELb0ES3_jNS7_6detail15normal_iteratorINS7_7pointerISA_NS7_11hip_rocprim3tagENS7_11use_defaultESJ_EEEEPSB_SM_NS0_5tupleIJPSA_SM_EEENSN_IJSM_SM_EEESB_PlJ10is_orderedEEE10hipError_tPvRmT3_T4_T5_T6_T7_T9_mT8_P12ihipStream_tbDpT10_ENKUlT_T0_E_clISt17integral_constantIbLb0EES1C_EEDaS17_S18_EUlS17_E_NS1_11comp_targetILNS1_3genE10ELNS1_11target_archE1200ELNS1_3gpuE4ELNS1_3repE0EEENS1_30default_config_static_selectorELNS0_4arch9wavefront6targetE1EEEvT1_
; %bb.0:
	.section	.rodata,"a",@progbits
	.p2align	6, 0x0
	.amdhsa_kernel _ZN7rocprim17ROCPRIM_400000_NS6detail17trampoline_kernelINS0_14default_configENS1_25partition_config_selectorILNS1_17partition_subalgoE3EN6thrust23THRUST_200600_302600_NS5tupleIiiNS7_9null_typeES9_S9_S9_S9_S9_S9_S9_EENS0_10empty_typeEbEEZZNS1_14partition_implILS5_3ELb0ES3_jNS7_6detail15normal_iteratorINS7_7pointerISA_NS7_11hip_rocprim3tagENS7_11use_defaultESJ_EEEEPSB_SM_NS0_5tupleIJPSA_SM_EEENSN_IJSM_SM_EEESB_PlJ10is_orderedEEE10hipError_tPvRmT3_T4_T5_T6_T7_T9_mT8_P12ihipStream_tbDpT10_ENKUlT_T0_E_clISt17integral_constantIbLb0EES1C_EEDaS17_S18_EUlS17_E_NS1_11comp_targetILNS1_3genE10ELNS1_11target_archE1200ELNS1_3gpuE4ELNS1_3repE0EEENS1_30default_config_static_selectorELNS0_4arch9wavefront6targetE1EEEvT1_
		.amdhsa_group_segment_fixed_size 0
		.amdhsa_private_segment_fixed_size 0
		.amdhsa_kernarg_size 120
		.amdhsa_user_sgpr_count 2
		.amdhsa_user_sgpr_dispatch_ptr 0
		.amdhsa_user_sgpr_queue_ptr 0
		.amdhsa_user_sgpr_kernarg_segment_ptr 1
		.amdhsa_user_sgpr_dispatch_id 0
		.amdhsa_user_sgpr_kernarg_preload_length 0
		.amdhsa_user_sgpr_kernarg_preload_offset 0
		.amdhsa_user_sgpr_private_segment_size 0
		.amdhsa_uses_dynamic_stack 0
		.amdhsa_enable_private_segment 0
		.amdhsa_system_sgpr_workgroup_id_x 1
		.amdhsa_system_sgpr_workgroup_id_y 0
		.amdhsa_system_sgpr_workgroup_id_z 0
		.amdhsa_system_sgpr_workgroup_info 0
		.amdhsa_system_vgpr_workitem_id 0
		.amdhsa_next_free_vgpr 1
		.amdhsa_next_free_sgpr 0
		.amdhsa_accum_offset 4
		.amdhsa_reserve_vcc 0
		.amdhsa_float_round_mode_32 0
		.amdhsa_float_round_mode_16_64 0
		.amdhsa_float_denorm_mode_32 3
		.amdhsa_float_denorm_mode_16_64 3
		.amdhsa_dx10_clamp 1
		.amdhsa_ieee_mode 1
		.amdhsa_fp16_overflow 0
		.amdhsa_tg_split 0
		.amdhsa_exception_fp_ieee_invalid_op 0
		.amdhsa_exception_fp_denorm_src 0
		.amdhsa_exception_fp_ieee_div_zero 0
		.amdhsa_exception_fp_ieee_overflow 0
		.amdhsa_exception_fp_ieee_underflow 0
		.amdhsa_exception_fp_ieee_inexact 0
		.amdhsa_exception_int_div_zero 0
	.end_amdhsa_kernel
	.section	.text._ZN7rocprim17ROCPRIM_400000_NS6detail17trampoline_kernelINS0_14default_configENS1_25partition_config_selectorILNS1_17partition_subalgoE3EN6thrust23THRUST_200600_302600_NS5tupleIiiNS7_9null_typeES9_S9_S9_S9_S9_S9_S9_EENS0_10empty_typeEbEEZZNS1_14partition_implILS5_3ELb0ES3_jNS7_6detail15normal_iteratorINS7_7pointerISA_NS7_11hip_rocprim3tagENS7_11use_defaultESJ_EEEEPSB_SM_NS0_5tupleIJPSA_SM_EEENSN_IJSM_SM_EEESB_PlJ10is_orderedEEE10hipError_tPvRmT3_T4_T5_T6_T7_T9_mT8_P12ihipStream_tbDpT10_ENKUlT_T0_E_clISt17integral_constantIbLb0EES1C_EEDaS17_S18_EUlS17_E_NS1_11comp_targetILNS1_3genE10ELNS1_11target_archE1200ELNS1_3gpuE4ELNS1_3repE0EEENS1_30default_config_static_selectorELNS0_4arch9wavefront6targetE1EEEvT1_,"axG",@progbits,_ZN7rocprim17ROCPRIM_400000_NS6detail17trampoline_kernelINS0_14default_configENS1_25partition_config_selectorILNS1_17partition_subalgoE3EN6thrust23THRUST_200600_302600_NS5tupleIiiNS7_9null_typeES9_S9_S9_S9_S9_S9_S9_EENS0_10empty_typeEbEEZZNS1_14partition_implILS5_3ELb0ES3_jNS7_6detail15normal_iteratorINS7_7pointerISA_NS7_11hip_rocprim3tagENS7_11use_defaultESJ_EEEEPSB_SM_NS0_5tupleIJPSA_SM_EEENSN_IJSM_SM_EEESB_PlJ10is_orderedEEE10hipError_tPvRmT3_T4_T5_T6_T7_T9_mT8_P12ihipStream_tbDpT10_ENKUlT_T0_E_clISt17integral_constantIbLb0EES1C_EEDaS17_S18_EUlS17_E_NS1_11comp_targetILNS1_3genE10ELNS1_11target_archE1200ELNS1_3gpuE4ELNS1_3repE0EEENS1_30default_config_static_selectorELNS0_4arch9wavefront6targetE1EEEvT1_,comdat
.Lfunc_end3497:
	.size	_ZN7rocprim17ROCPRIM_400000_NS6detail17trampoline_kernelINS0_14default_configENS1_25partition_config_selectorILNS1_17partition_subalgoE3EN6thrust23THRUST_200600_302600_NS5tupleIiiNS7_9null_typeES9_S9_S9_S9_S9_S9_S9_EENS0_10empty_typeEbEEZZNS1_14partition_implILS5_3ELb0ES3_jNS7_6detail15normal_iteratorINS7_7pointerISA_NS7_11hip_rocprim3tagENS7_11use_defaultESJ_EEEEPSB_SM_NS0_5tupleIJPSA_SM_EEENSN_IJSM_SM_EEESB_PlJ10is_orderedEEE10hipError_tPvRmT3_T4_T5_T6_T7_T9_mT8_P12ihipStream_tbDpT10_ENKUlT_T0_E_clISt17integral_constantIbLb0EES1C_EEDaS17_S18_EUlS17_E_NS1_11comp_targetILNS1_3genE10ELNS1_11target_archE1200ELNS1_3gpuE4ELNS1_3repE0EEENS1_30default_config_static_selectorELNS0_4arch9wavefront6targetE1EEEvT1_, .Lfunc_end3497-_ZN7rocprim17ROCPRIM_400000_NS6detail17trampoline_kernelINS0_14default_configENS1_25partition_config_selectorILNS1_17partition_subalgoE3EN6thrust23THRUST_200600_302600_NS5tupleIiiNS7_9null_typeES9_S9_S9_S9_S9_S9_S9_EENS0_10empty_typeEbEEZZNS1_14partition_implILS5_3ELb0ES3_jNS7_6detail15normal_iteratorINS7_7pointerISA_NS7_11hip_rocprim3tagENS7_11use_defaultESJ_EEEEPSB_SM_NS0_5tupleIJPSA_SM_EEENSN_IJSM_SM_EEESB_PlJ10is_orderedEEE10hipError_tPvRmT3_T4_T5_T6_T7_T9_mT8_P12ihipStream_tbDpT10_ENKUlT_T0_E_clISt17integral_constantIbLb0EES1C_EEDaS17_S18_EUlS17_E_NS1_11comp_targetILNS1_3genE10ELNS1_11target_archE1200ELNS1_3gpuE4ELNS1_3repE0EEENS1_30default_config_static_selectorELNS0_4arch9wavefront6targetE1EEEvT1_
                                        ; -- End function
	.section	.AMDGPU.csdata,"",@progbits
; Kernel info:
; codeLenInByte = 0
; NumSgprs: 6
; NumVgprs: 0
; NumAgprs: 0
; TotalNumVgprs: 0
; ScratchSize: 0
; MemoryBound: 0
; FloatMode: 240
; IeeeMode: 1
; LDSByteSize: 0 bytes/workgroup (compile time only)
; SGPRBlocks: 0
; VGPRBlocks: 0
; NumSGPRsForWavesPerEU: 6
; NumVGPRsForWavesPerEU: 1
; AccumOffset: 4
; Occupancy: 8
; WaveLimiterHint : 0
; COMPUTE_PGM_RSRC2:SCRATCH_EN: 0
; COMPUTE_PGM_RSRC2:USER_SGPR: 2
; COMPUTE_PGM_RSRC2:TRAP_HANDLER: 0
; COMPUTE_PGM_RSRC2:TGID_X_EN: 1
; COMPUTE_PGM_RSRC2:TGID_Y_EN: 0
; COMPUTE_PGM_RSRC2:TGID_Z_EN: 0
; COMPUTE_PGM_RSRC2:TIDIG_COMP_CNT: 0
; COMPUTE_PGM_RSRC3_GFX90A:ACCUM_OFFSET: 0
; COMPUTE_PGM_RSRC3_GFX90A:TG_SPLIT: 0
	.section	.text._ZN7rocprim17ROCPRIM_400000_NS6detail17trampoline_kernelINS0_14default_configENS1_25partition_config_selectorILNS1_17partition_subalgoE3EN6thrust23THRUST_200600_302600_NS5tupleIiiNS7_9null_typeES9_S9_S9_S9_S9_S9_S9_EENS0_10empty_typeEbEEZZNS1_14partition_implILS5_3ELb0ES3_jNS7_6detail15normal_iteratorINS7_7pointerISA_NS7_11hip_rocprim3tagENS7_11use_defaultESJ_EEEEPSB_SM_NS0_5tupleIJPSA_SM_EEENSN_IJSM_SM_EEESB_PlJ10is_orderedEEE10hipError_tPvRmT3_T4_T5_T6_T7_T9_mT8_P12ihipStream_tbDpT10_ENKUlT_T0_E_clISt17integral_constantIbLb0EES1C_EEDaS17_S18_EUlS17_E_NS1_11comp_targetILNS1_3genE9ELNS1_11target_archE1100ELNS1_3gpuE3ELNS1_3repE0EEENS1_30default_config_static_selectorELNS0_4arch9wavefront6targetE1EEEvT1_,"axG",@progbits,_ZN7rocprim17ROCPRIM_400000_NS6detail17trampoline_kernelINS0_14default_configENS1_25partition_config_selectorILNS1_17partition_subalgoE3EN6thrust23THRUST_200600_302600_NS5tupleIiiNS7_9null_typeES9_S9_S9_S9_S9_S9_S9_EENS0_10empty_typeEbEEZZNS1_14partition_implILS5_3ELb0ES3_jNS7_6detail15normal_iteratorINS7_7pointerISA_NS7_11hip_rocprim3tagENS7_11use_defaultESJ_EEEEPSB_SM_NS0_5tupleIJPSA_SM_EEENSN_IJSM_SM_EEESB_PlJ10is_orderedEEE10hipError_tPvRmT3_T4_T5_T6_T7_T9_mT8_P12ihipStream_tbDpT10_ENKUlT_T0_E_clISt17integral_constantIbLb0EES1C_EEDaS17_S18_EUlS17_E_NS1_11comp_targetILNS1_3genE9ELNS1_11target_archE1100ELNS1_3gpuE3ELNS1_3repE0EEENS1_30default_config_static_selectorELNS0_4arch9wavefront6targetE1EEEvT1_,comdat
	.protected	_ZN7rocprim17ROCPRIM_400000_NS6detail17trampoline_kernelINS0_14default_configENS1_25partition_config_selectorILNS1_17partition_subalgoE3EN6thrust23THRUST_200600_302600_NS5tupleIiiNS7_9null_typeES9_S9_S9_S9_S9_S9_S9_EENS0_10empty_typeEbEEZZNS1_14partition_implILS5_3ELb0ES3_jNS7_6detail15normal_iteratorINS7_7pointerISA_NS7_11hip_rocprim3tagENS7_11use_defaultESJ_EEEEPSB_SM_NS0_5tupleIJPSA_SM_EEENSN_IJSM_SM_EEESB_PlJ10is_orderedEEE10hipError_tPvRmT3_T4_T5_T6_T7_T9_mT8_P12ihipStream_tbDpT10_ENKUlT_T0_E_clISt17integral_constantIbLb0EES1C_EEDaS17_S18_EUlS17_E_NS1_11comp_targetILNS1_3genE9ELNS1_11target_archE1100ELNS1_3gpuE3ELNS1_3repE0EEENS1_30default_config_static_selectorELNS0_4arch9wavefront6targetE1EEEvT1_ ; -- Begin function _ZN7rocprim17ROCPRIM_400000_NS6detail17trampoline_kernelINS0_14default_configENS1_25partition_config_selectorILNS1_17partition_subalgoE3EN6thrust23THRUST_200600_302600_NS5tupleIiiNS7_9null_typeES9_S9_S9_S9_S9_S9_S9_EENS0_10empty_typeEbEEZZNS1_14partition_implILS5_3ELb0ES3_jNS7_6detail15normal_iteratorINS7_7pointerISA_NS7_11hip_rocprim3tagENS7_11use_defaultESJ_EEEEPSB_SM_NS0_5tupleIJPSA_SM_EEENSN_IJSM_SM_EEESB_PlJ10is_orderedEEE10hipError_tPvRmT3_T4_T5_T6_T7_T9_mT8_P12ihipStream_tbDpT10_ENKUlT_T0_E_clISt17integral_constantIbLb0EES1C_EEDaS17_S18_EUlS17_E_NS1_11comp_targetILNS1_3genE9ELNS1_11target_archE1100ELNS1_3gpuE3ELNS1_3repE0EEENS1_30default_config_static_selectorELNS0_4arch9wavefront6targetE1EEEvT1_
	.globl	_ZN7rocprim17ROCPRIM_400000_NS6detail17trampoline_kernelINS0_14default_configENS1_25partition_config_selectorILNS1_17partition_subalgoE3EN6thrust23THRUST_200600_302600_NS5tupleIiiNS7_9null_typeES9_S9_S9_S9_S9_S9_S9_EENS0_10empty_typeEbEEZZNS1_14partition_implILS5_3ELb0ES3_jNS7_6detail15normal_iteratorINS7_7pointerISA_NS7_11hip_rocprim3tagENS7_11use_defaultESJ_EEEEPSB_SM_NS0_5tupleIJPSA_SM_EEENSN_IJSM_SM_EEESB_PlJ10is_orderedEEE10hipError_tPvRmT3_T4_T5_T6_T7_T9_mT8_P12ihipStream_tbDpT10_ENKUlT_T0_E_clISt17integral_constantIbLb0EES1C_EEDaS17_S18_EUlS17_E_NS1_11comp_targetILNS1_3genE9ELNS1_11target_archE1100ELNS1_3gpuE3ELNS1_3repE0EEENS1_30default_config_static_selectorELNS0_4arch9wavefront6targetE1EEEvT1_
	.p2align	8
	.type	_ZN7rocprim17ROCPRIM_400000_NS6detail17trampoline_kernelINS0_14default_configENS1_25partition_config_selectorILNS1_17partition_subalgoE3EN6thrust23THRUST_200600_302600_NS5tupleIiiNS7_9null_typeES9_S9_S9_S9_S9_S9_S9_EENS0_10empty_typeEbEEZZNS1_14partition_implILS5_3ELb0ES3_jNS7_6detail15normal_iteratorINS7_7pointerISA_NS7_11hip_rocprim3tagENS7_11use_defaultESJ_EEEEPSB_SM_NS0_5tupleIJPSA_SM_EEENSN_IJSM_SM_EEESB_PlJ10is_orderedEEE10hipError_tPvRmT3_T4_T5_T6_T7_T9_mT8_P12ihipStream_tbDpT10_ENKUlT_T0_E_clISt17integral_constantIbLb0EES1C_EEDaS17_S18_EUlS17_E_NS1_11comp_targetILNS1_3genE9ELNS1_11target_archE1100ELNS1_3gpuE3ELNS1_3repE0EEENS1_30default_config_static_selectorELNS0_4arch9wavefront6targetE1EEEvT1_,@function
_ZN7rocprim17ROCPRIM_400000_NS6detail17trampoline_kernelINS0_14default_configENS1_25partition_config_selectorILNS1_17partition_subalgoE3EN6thrust23THRUST_200600_302600_NS5tupleIiiNS7_9null_typeES9_S9_S9_S9_S9_S9_S9_EENS0_10empty_typeEbEEZZNS1_14partition_implILS5_3ELb0ES3_jNS7_6detail15normal_iteratorINS7_7pointerISA_NS7_11hip_rocprim3tagENS7_11use_defaultESJ_EEEEPSB_SM_NS0_5tupleIJPSA_SM_EEENSN_IJSM_SM_EEESB_PlJ10is_orderedEEE10hipError_tPvRmT3_T4_T5_T6_T7_T9_mT8_P12ihipStream_tbDpT10_ENKUlT_T0_E_clISt17integral_constantIbLb0EES1C_EEDaS17_S18_EUlS17_E_NS1_11comp_targetILNS1_3genE9ELNS1_11target_archE1100ELNS1_3gpuE3ELNS1_3repE0EEENS1_30default_config_static_selectorELNS0_4arch9wavefront6targetE1EEEvT1_: ; @_ZN7rocprim17ROCPRIM_400000_NS6detail17trampoline_kernelINS0_14default_configENS1_25partition_config_selectorILNS1_17partition_subalgoE3EN6thrust23THRUST_200600_302600_NS5tupleIiiNS7_9null_typeES9_S9_S9_S9_S9_S9_S9_EENS0_10empty_typeEbEEZZNS1_14partition_implILS5_3ELb0ES3_jNS7_6detail15normal_iteratorINS7_7pointerISA_NS7_11hip_rocprim3tagENS7_11use_defaultESJ_EEEEPSB_SM_NS0_5tupleIJPSA_SM_EEENSN_IJSM_SM_EEESB_PlJ10is_orderedEEE10hipError_tPvRmT3_T4_T5_T6_T7_T9_mT8_P12ihipStream_tbDpT10_ENKUlT_T0_E_clISt17integral_constantIbLb0EES1C_EEDaS17_S18_EUlS17_E_NS1_11comp_targetILNS1_3genE9ELNS1_11target_archE1100ELNS1_3gpuE3ELNS1_3repE0EEENS1_30default_config_static_selectorELNS0_4arch9wavefront6targetE1EEEvT1_
; %bb.0:
	.section	.rodata,"a",@progbits
	.p2align	6, 0x0
	.amdhsa_kernel _ZN7rocprim17ROCPRIM_400000_NS6detail17trampoline_kernelINS0_14default_configENS1_25partition_config_selectorILNS1_17partition_subalgoE3EN6thrust23THRUST_200600_302600_NS5tupleIiiNS7_9null_typeES9_S9_S9_S9_S9_S9_S9_EENS0_10empty_typeEbEEZZNS1_14partition_implILS5_3ELb0ES3_jNS7_6detail15normal_iteratorINS7_7pointerISA_NS7_11hip_rocprim3tagENS7_11use_defaultESJ_EEEEPSB_SM_NS0_5tupleIJPSA_SM_EEENSN_IJSM_SM_EEESB_PlJ10is_orderedEEE10hipError_tPvRmT3_T4_T5_T6_T7_T9_mT8_P12ihipStream_tbDpT10_ENKUlT_T0_E_clISt17integral_constantIbLb0EES1C_EEDaS17_S18_EUlS17_E_NS1_11comp_targetILNS1_3genE9ELNS1_11target_archE1100ELNS1_3gpuE3ELNS1_3repE0EEENS1_30default_config_static_selectorELNS0_4arch9wavefront6targetE1EEEvT1_
		.amdhsa_group_segment_fixed_size 0
		.amdhsa_private_segment_fixed_size 0
		.amdhsa_kernarg_size 120
		.amdhsa_user_sgpr_count 2
		.amdhsa_user_sgpr_dispatch_ptr 0
		.amdhsa_user_sgpr_queue_ptr 0
		.amdhsa_user_sgpr_kernarg_segment_ptr 1
		.amdhsa_user_sgpr_dispatch_id 0
		.amdhsa_user_sgpr_kernarg_preload_length 0
		.amdhsa_user_sgpr_kernarg_preload_offset 0
		.amdhsa_user_sgpr_private_segment_size 0
		.amdhsa_uses_dynamic_stack 0
		.amdhsa_enable_private_segment 0
		.amdhsa_system_sgpr_workgroup_id_x 1
		.amdhsa_system_sgpr_workgroup_id_y 0
		.amdhsa_system_sgpr_workgroup_id_z 0
		.amdhsa_system_sgpr_workgroup_info 0
		.amdhsa_system_vgpr_workitem_id 0
		.amdhsa_next_free_vgpr 1
		.amdhsa_next_free_sgpr 0
		.amdhsa_accum_offset 4
		.amdhsa_reserve_vcc 0
		.amdhsa_float_round_mode_32 0
		.amdhsa_float_round_mode_16_64 0
		.amdhsa_float_denorm_mode_32 3
		.amdhsa_float_denorm_mode_16_64 3
		.amdhsa_dx10_clamp 1
		.amdhsa_ieee_mode 1
		.amdhsa_fp16_overflow 0
		.amdhsa_tg_split 0
		.amdhsa_exception_fp_ieee_invalid_op 0
		.amdhsa_exception_fp_denorm_src 0
		.amdhsa_exception_fp_ieee_div_zero 0
		.amdhsa_exception_fp_ieee_overflow 0
		.amdhsa_exception_fp_ieee_underflow 0
		.amdhsa_exception_fp_ieee_inexact 0
		.amdhsa_exception_int_div_zero 0
	.end_amdhsa_kernel
	.section	.text._ZN7rocprim17ROCPRIM_400000_NS6detail17trampoline_kernelINS0_14default_configENS1_25partition_config_selectorILNS1_17partition_subalgoE3EN6thrust23THRUST_200600_302600_NS5tupleIiiNS7_9null_typeES9_S9_S9_S9_S9_S9_S9_EENS0_10empty_typeEbEEZZNS1_14partition_implILS5_3ELb0ES3_jNS7_6detail15normal_iteratorINS7_7pointerISA_NS7_11hip_rocprim3tagENS7_11use_defaultESJ_EEEEPSB_SM_NS0_5tupleIJPSA_SM_EEENSN_IJSM_SM_EEESB_PlJ10is_orderedEEE10hipError_tPvRmT3_T4_T5_T6_T7_T9_mT8_P12ihipStream_tbDpT10_ENKUlT_T0_E_clISt17integral_constantIbLb0EES1C_EEDaS17_S18_EUlS17_E_NS1_11comp_targetILNS1_3genE9ELNS1_11target_archE1100ELNS1_3gpuE3ELNS1_3repE0EEENS1_30default_config_static_selectorELNS0_4arch9wavefront6targetE1EEEvT1_,"axG",@progbits,_ZN7rocprim17ROCPRIM_400000_NS6detail17trampoline_kernelINS0_14default_configENS1_25partition_config_selectorILNS1_17partition_subalgoE3EN6thrust23THRUST_200600_302600_NS5tupleIiiNS7_9null_typeES9_S9_S9_S9_S9_S9_S9_EENS0_10empty_typeEbEEZZNS1_14partition_implILS5_3ELb0ES3_jNS7_6detail15normal_iteratorINS7_7pointerISA_NS7_11hip_rocprim3tagENS7_11use_defaultESJ_EEEEPSB_SM_NS0_5tupleIJPSA_SM_EEENSN_IJSM_SM_EEESB_PlJ10is_orderedEEE10hipError_tPvRmT3_T4_T5_T6_T7_T9_mT8_P12ihipStream_tbDpT10_ENKUlT_T0_E_clISt17integral_constantIbLb0EES1C_EEDaS17_S18_EUlS17_E_NS1_11comp_targetILNS1_3genE9ELNS1_11target_archE1100ELNS1_3gpuE3ELNS1_3repE0EEENS1_30default_config_static_selectorELNS0_4arch9wavefront6targetE1EEEvT1_,comdat
.Lfunc_end3498:
	.size	_ZN7rocprim17ROCPRIM_400000_NS6detail17trampoline_kernelINS0_14default_configENS1_25partition_config_selectorILNS1_17partition_subalgoE3EN6thrust23THRUST_200600_302600_NS5tupleIiiNS7_9null_typeES9_S9_S9_S9_S9_S9_S9_EENS0_10empty_typeEbEEZZNS1_14partition_implILS5_3ELb0ES3_jNS7_6detail15normal_iteratorINS7_7pointerISA_NS7_11hip_rocprim3tagENS7_11use_defaultESJ_EEEEPSB_SM_NS0_5tupleIJPSA_SM_EEENSN_IJSM_SM_EEESB_PlJ10is_orderedEEE10hipError_tPvRmT3_T4_T5_T6_T7_T9_mT8_P12ihipStream_tbDpT10_ENKUlT_T0_E_clISt17integral_constantIbLb0EES1C_EEDaS17_S18_EUlS17_E_NS1_11comp_targetILNS1_3genE9ELNS1_11target_archE1100ELNS1_3gpuE3ELNS1_3repE0EEENS1_30default_config_static_selectorELNS0_4arch9wavefront6targetE1EEEvT1_, .Lfunc_end3498-_ZN7rocprim17ROCPRIM_400000_NS6detail17trampoline_kernelINS0_14default_configENS1_25partition_config_selectorILNS1_17partition_subalgoE3EN6thrust23THRUST_200600_302600_NS5tupleIiiNS7_9null_typeES9_S9_S9_S9_S9_S9_S9_EENS0_10empty_typeEbEEZZNS1_14partition_implILS5_3ELb0ES3_jNS7_6detail15normal_iteratorINS7_7pointerISA_NS7_11hip_rocprim3tagENS7_11use_defaultESJ_EEEEPSB_SM_NS0_5tupleIJPSA_SM_EEENSN_IJSM_SM_EEESB_PlJ10is_orderedEEE10hipError_tPvRmT3_T4_T5_T6_T7_T9_mT8_P12ihipStream_tbDpT10_ENKUlT_T0_E_clISt17integral_constantIbLb0EES1C_EEDaS17_S18_EUlS17_E_NS1_11comp_targetILNS1_3genE9ELNS1_11target_archE1100ELNS1_3gpuE3ELNS1_3repE0EEENS1_30default_config_static_selectorELNS0_4arch9wavefront6targetE1EEEvT1_
                                        ; -- End function
	.section	.AMDGPU.csdata,"",@progbits
; Kernel info:
; codeLenInByte = 0
; NumSgprs: 6
; NumVgprs: 0
; NumAgprs: 0
; TotalNumVgprs: 0
; ScratchSize: 0
; MemoryBound: 0
; FloatMode: 240
; IeeeMode: 1
; LDSByteSize: 0 bytes/workgroup (compile time only)
; SGPRBlocks: 0
; VGPRBlocks: 0
; NumSGPRsForWavesPerEU: 6
; NumVGPRsForWavesPerEU: 1
; AccumOffset: 4
; Occupancy: 8
; WaveLimiterHint : 0
; COMPUTE_PGM_RSRC2:SCRATCH_EN: 0
; COMPUTE_PGM_RSRC2:USER_SGPR: 2
; COMPUTE_PGM_RSRC2:TRAP_HANDLER: 0
; COMPUTE_PGM_RSRC2:TGID_X_EN: 1
; COMPUTE_PGM_RSRC2:TGID_Y_EN: 0
; COMPUTE_PGM_RSRC2:TGID_Z_EN: 0
; COMPUTE_PGM_RSRC2:TIDIG_COMP_CNT: 0
; COMPUTE_PGM_RSRC3_GFX90A:ACCUM_OFFSET: 0
; COMPUTE_PGM_RSRC3_GFX90A:TG_SPLIT: 0
	.section	.text._ZN7rocprim17ROCPRIM_400000_NS6detail17trampoline_kernelINS0_14default_configENS1_25partition_config_selectorILNS1_17partition_subalgoE3EN6thrust23THRUST_200600_302600_NS5tupleIiiNS7_9null_typeES9_S9_S9_S9_S9_S9_S9_EENS0_10empty_typeEbEEZZNS1_14partition_implILS5_3ELb0ES3_jNS7_6detail15normal_iteratorINS7_7pointerISA_NS7_11hip_rocprim3tagENS7_11use_defaultESJ_EEEEPSB_SM_NS0_5tupleIJPSA_SM_EEENSN_IJSM_SM_EEESB_PlJ10is_orderedEEE10hipError_tPvRmT3_T4_T5_T6_T7_T9_mT8_P12ihipStream_tbDpT10_ENKUlT_T0_E_clISt17integral_constantIbLb0EES1C_EEDaS17_S18_EUlS17_E_NS1_11comp_targetILNS1_3genE8ELNS1_11target_archE1030ELNS1_3gpuE2ELNS1_3repE0EEENS1_30default_config_static_selectorELNS0_4arch9wavefront6targetE1EEEvT1_,"axG",@progbits,_ZN7rocprim17ROCPRIM_400000_NS6detail17trampoline_kernelINS0_14default_configENS1_25partition_config_selectorILNS1_17partition_subalgoE3EN6thrust23THRUST_200600_302600_NS5tupleIiiNS7_9null_typeES9_S9_S9_S9_S9_S9_S9_EENS0_10empty_typeEbEEZZNS1_14partition_implILS5_3ELb0ES3_jNS7_6detail15normal_iteratorINS7_7pointerISA_NS7_11hip_rocprim3tagENS7_11use_defaultESJ_EEEEPSB_SM_NS0_5tupleIJPSA_SM_EEENSN_IJSM_SM_EEESB_PlJ10is_orderedEEE10hipError_tPvRmT3_T4_T5_T6_T7_T9_mT8_P12ihipStream_tbDpT10_ENKUlT_T0_E_clISt17integral_constantIbLb0EES1C_EEDaS17_S18_EUlS17_E_NS1_11comp_targetILNS1_3genE8ELNS1_11target_archE1030ELNS1_3gpuE2ELNS1_3repE0EEENS1_30default_config_static_selectorELNS0_4arch9wavefront6targetE1EEEvT1_,comdat
	.protected	_ZN7rocprim17ROCPRIM_400000_NS6detail17trampoline_kernelINS0_14default_configENS1_25partition_config_selectorILNS1_17partition_subalgoE3EN6thrust23THRUST_200600_302600_NS5tupleIiiNS7_9null_typeES9_S9_S9_S9_S9_S9_S9_EENS0_10empty_typeEbEEZZNS1_14partition_implILS5_3ELb0ES3_jNS7_6detail15normal_iteratorINS7_7pointerISA_NS7_11hip_rocprim3tagENS7_11use_defaultESJ_EEEEPSB_SM_NS0_5tupleIJPSA_SM_EEENSN_IJSM_SM_EEESB_PlJ10is_orderedEEE10hipError_tPvRmT3_T4_T5_T6_T7_T9_mT8_P12ihipStream_tbDpT10_ENKUlT_T0_E_clISt17integral_constantIbLb0EES1C_EEDaS17_S18_EUlS17_E_NS1_11comp_targetILNS1_3genE8ELNS1_11target_archE1030ELNS1_3gpuE2ELNS1_3repE0EEENS1_30default_config_static_selectorELNS0_4arch9wavefront6targetE1EEEvT1_ ; -- Begin function _ZN7rocprim17ROCPRIM_400000_NS6detail17trampoline_kernelINS0_14default_configENS1_25partition_config_selectorILNS1_17partition_subalgoE3EN6thrust23THRUST_200600_302600_NS5tupleIiiNS7_9null_typeES9_S9_S9_S9_S9_S9_S9_EENS0_10empty_typeEbEEZZNS1_14partition_implILS5_3ELb0ES3_jNS7_6detail15normal_iteratorINS7_7pointerISA_NS7_11hip_rocprim3tagENS7_11use_defaultESJ_EEEEPSB_SM_NS0_5tupleIJPSA_SM_EEENSN_IJSM_SM_EEESB_PlJ10is_orderedEEE10hipError_tPvRmT3_T4_T5_T6_T7_T9_mT8_P12ihipStream_tbDpT10_ENKUlT_T0_E_clISt17integral_constantIbLb0EES1C_EEDaS17_S18_EUlS17_E_NS1_11comp_targetILNS1_3genE8ELNS1_11target_archE1030ELNS1_3gpuE2ELNS1_3repE0EEENS1_30default_config_static_selectorELNS0_4arch9wavefront6targetE1EEEvT1_
	.globl	_ZN7rocprim17ROCPRIM_400000_NS6detail17trampoline_kernelINS0_14default_configENS1_25partition_config_selectorILNS1_17partition_subalgoE3EN6thrust23THRUST_200600_302600_NS5tupleIiiNS7_9null_typeES9_S9_S9_S9_S9_S9_S9_EENS0_10empty_typeEbEEZZNS1_14partition_implILS5_3ELb0ES3_jNS7_6detail15normal_iteratorINS7_7pointerISA_NS7_11hip_rocprim3tagENS7_11use_defaultESJ_EEEEPSB_SM_NS0_5tupleIJPSA_SM_EEENSN_IJSM_SM_EEESB_PlJ10is_orderedEEE10hipError_tPvRmT3_T4_T5_T6_T7_T9_mT8_P12ihipStream_tbDpT10_ENKUlT_T0_E_clISt17integral_constantIbLb0EES1C_EEDaS17_S18_EUlS17_E_NS1_11comp_targetILNS1_3genE8ELNS1_11target_archE1030ELNS1_3gpuE2ELNS1_3repE0EEENS1_30default_config_static_selectorELNS0_4arch9wavefront6targetE1EEEvT1_
	.p2align	8
	.type	_ZN7rocprim17ROCPRIM_400000_NS6detail17trampoline_kernelINS0_14default_configENS1_25partition_config_selectorILNS1_17partition_subalgoE3EN6thrust23THRUST_200600_302600_NS5tupleIiiNS7_9null_typeES9_S9_S9_S9_S9_S9_S9_EENS0_10empty_typeEbEEZZNS1_14partition_implILS5_3ELb0ES3_jNS7_6detail15normal_iteratorINS7_7pointerISA_NS7_11hip_rocprim3tagENS7_11use_defaultESJ_EEEEPSB_SM_NS0_5tupleIJPSA_SM_EEENSN_IJSM_SM_EEESB_PlJ10is_orderedEEE10hipError_tPvRmT3_T4_T5_T6_T7_T9_mT8_P12ihipStream_tbDpT10_ENKUlT_T0_E_clISt17integral_constantIbLb0EES1C_EEDaS17_S18_EUlS17_E_NS1_11comp_targetILNS1_3genE8ELNS1_11target_archE1030ELNS1_3gpuE2ELNS1_3repE0EEENS1_30default_config_static_selectorELNS0_4arch9wavefront6targetE1EEEvT1_,@function
_ZN7rocprim17ROCPRIM_400000_NS6detail17trampoline_kernelINS0_14default_configENS1_25partition_config_selectorILNS1_17partition_subalgoE3EN6thrust23THRUST_200600_302600_NS5tupleIiiNS7_9null_typeES9_S9_S9_S9_S9_S9_S9_EENS0_10empty_typeEbEEZZNS1_14partition_implILS5_3ELb0ES3_jNS7_6detail15normal_iteratorINS7_7pointerISA_NS7_11hip_rocprim3tagENS7_11use_defaultESJ_EEEEPSB_SM_NS0_5tupleIJPSA_SM_EEENSN_IJSM_SM_EEESB_PlJ10is_orderedEEE10hipError_tPvRmT3_T4_T5_T6_T7_T9_mT8_P12ihipStream_tbDpT10_ENKUlT_T0_E_clISt17integral_constantIbLb0EES1C_EEDaS17_S18_EUlS17_E_NS1_11comp_targetILNS1_3genE8ELNS1_11target_archE1030ELNS1_3gpuE2ELNS1_3repE0EEENS1_30default_config_static_selectorELNS0_4arch9wavefront6targetE1EEEvT1_: ; @_ZN7rocprim17ROCPRIM_400000_NS6detail17trampoline_kernelINS0_14default_configENS1_25partition_config_selectorILNS1_17partition_subalgoE3EN6thrust23THRUST_200600_302600_NS5tupleIiiNS7_9null_typeES9_S9_S9_S9_S9_S9_S9_EENS0_10empty_typeEbEEZZNS1_14partition_implILS5_3ELb0ES3_jNS7_6detail15normal_iteratorINS7_7pointerISA_NS7_11hip_rocprim3tagENS7_11use_defaultESJ_EEEEPSB_SM_NS0_5tupleIJPSA_SM_EEENSN_IJSM_SM_EEESB_PlJ10is_orderedEEE10hipError_tPvRmT3_T4_T5_T6_T7_T9_mT8_P12ihipStream_tbDpT10_ENKUlT_T0_E_clISt17integral_constantIbLb0EES1C_EEDaS17_S18_EUlS17_E_NS1_11comp_targetILNS1_3genE8ELNS1_11target_archE1030ELNS1_3gpuE2ELNS1_3repE0EEENS1_30default_config_static_selectorELNS0_4arch9wavefront6targetE1EEEvT1_
; %bb.0:
	.section	.rodata,"a",@progbits
	.p2align	6, 0x0
	.amdhsa_kernel _ZN7rocprim17ROCPRIM_400000_NS6detail17trampoline_kernelINS0_14default_configENS1_25partition_config_selectorILNS1_17partition_subalgoE3EN6thrust23THRUST_200600_302600_NS5tupleIiiNS7_9null_typeES9_S9_S9_S9_S9_S9_S9_EENS0_10empty_typeEbEEZZNS1_14partition_implILS5_3ELb0ES3_jNS7_6detail15normal_iteratorINS7_7pointerISA_NS7_11hip_rocprim3tagENS7_11use_defaultESJ_EEEEPSB_SM_NS0_5tupleIJPSA_SM_EEENSN_IJSM_SM_EEESB_PlJ10is_orderedEEE10hipError_tPvRmT3_T4_T5_T6_T7_T9_mT8_P12ihipStream_tbDpT10_ENKUlT_T0_E_clISt17integral_constantIbLb0EES1C_EEDaS17_S18_EUlS17_E_NS1_11comp_targetILNS1_3genE8ELNS1_11target_archE1030ELNS1_3gpuE2ELNS1_3repE0EEENS1_30default_config_static_selectorELNS0_4arch9wavefront6targetE1EEEvT1_
		.amdhsa_group_segment_fixed_size 0
		.amdhsa_private_segment_fixed_size 0
		.amdhsa_kernarg_size 120
		.amdhsa_user_sgpr_count 2
		.amdhsa_user_sgpr_dispatch_ptr 0
		.amdhsa_user_sgpr_queue_ptr 0
		.amdhsa_user_sgpr_kernarg_segment_ptr 1
		.amdhsa_user_sgpr_dispatch_id 0
		.amdhsa_user_sgpr_kernarg_preload_length 0
		.amdhsa_user_sgpr_kernarg_preload_offset 0
		.amdhsa_user_sgpr_private_segment_size 0
		.amdhsa_uses_dynamic_stack 0
		.amdhsa_enable_private_segment 0
		.amdhsa_system_sgpr_workgroup_id_x 1
		.amdhsa_system_sgpr_workgroup_id_y 0
		.amdhsa_system_sgpr_workgroup_id_z 0
		.amdhsa_system_sgpr_workgroup_info 0
		.amdhsa_system_vgpr_workitem_id 0
		.amdhsa_next_free_vgpr 1
		.amdhsa_next_free_sgpr 0
		.amdhsa_accum_offset 4
		.amdhsa_reserve_vcc 0
		.amdhsa_float_round_mode_32 0
		.amdhsa_float_round_mode_16_64 0
		.amdhsa_float_denorm_mode_32 3
		.amdhsa_float_denorm_mode_16_64 3
		.amdhsa_dx10_clamp 1
		.amdhsa_ieee_mode 1
		.amdhsa_fp16_overflow 0
		.amdhsa_tg_split 0
		.amdhsa_exception_fp_ieee_invalid_op 0
		.amdhsa_exception_fp_denorm_src 0
		.amdhsa_exception_fp_ieee_div_zero 0
		.amdhsa_exception_fp_ieee_overflow 0
		.amdhsa_exception_fp_ieee_underflow 0
		.amdhsa_exception_fp_ieee_inexact 0
		.amdhsa_exception_int_div_zero 0
	.end_amdhsa_kernel
	.section	.text._ZN7rocprim17ROCPRIM_400000_NS6detail17trampoline_kernelINS0_14default_configENS1_25partition_config_selectorILNS1_17partition_subalgoE3EN6thrust23THRUST_200600_302600_NS5tupleIiiNS7_9null_typeES9_S9_S9_S9_S9_S9_S9_EENS0_10empty_typeEbEEZZNS1_14partition_implILS5_3ELb0ES3_jNS7_6detail15normal_iteratorINS7_7pointerISA_NS7_11hip_rocprim3tagENS7_11use_defaultESJ_EEEEPSB_SM_NS0_5tupleIJPSA_SM_EEENSN_IJSM_SM_EEESB_PlJ10is_orderedEEE10hipError_tPvRmT3_T4_T5_T6_T7_T9_mT8_P12ihipStream_tbDpT10_ENKUlT_T0_E_clISt17integral_constantIbLb0EES1C_EEDaS17_S18_EUlS17_E_NS1_11comp_targetILNS1_3genE8ELNS1_11target_archE1030ELNS1_3gpuE2ELNS1_3repE0EEENS1_30default_config_static_selectorELNS0_4arch9wavefront6targetE1EEEvT1_,"axG",@progbits,_ZN7rocprim17ROCPRIM_400000_NS6detail17trampoline_kernelINS0_14default_configENS1_25partition_config_selectorILNS1_17partition_subalgoE3EN6thrust23THRUST_200600_302600_NS5tupleIiiNS7_9null_typeES9_S9_S9_S9_S9_S9_S9_EENS0_10empty_typeEbEEZZNS1_14partition_implILS5_3ELb0ES3_jNS7_6detail15normal_iteratorINS7_7pointerISA_NS7_11hip_rocprim3tagENS7_11use_defaultESJ_EEEEPSB_SM_NS0_5tupleIJPSA_SM_EEENSN_IJSM_SM_EEESB_PlJ10is_orderedEEE10hipError_tPvRmT3_T4_T5_T6_T7_T9_mT8_P12ihipStream_tbDpT10_ENKUlT_T0_E_clISt17integral_constantIbLb0EES1C_EEDaS17_S18_EUlS17_E_NS1_11comp_targetILNS1_3genE8ELNS1_11target_archE1030ELNS1_3gpuE2ELNS1_3repE0EEENS1_30default_config_static_selectorELNS0_4arch9wavefront6targetE1EEEvT1_,comdat
.Lfunc_end3499:
	.size	_ZN7rocprim17ROCPRIM_400000_NS6detail17trampoline_kernelINS0_14default_configENS1_25partition_config_selectorILNS1_17partition_subalgoE3EN6thrust23THRUST_200600_302600_NS5tupleIiiNS7_9null_typeES9_S9_S9_S9_S9_S9_S9_EENS0_10empty_typeEbEEZZNS1_14partition_implILS5_3ELb0ES3_jNS7_6detail15normal_iteratorINS7_7pointerISA_NS7_11hip_rocprim3tagENS7_11use_defaultESJ_EEEEPSB_SM_NS0_5tupleIJPSA_SM_EEENSN_IJSM_SM_EEESB_PlJ10is_orderedEEE10hipError_tPvRmT3_T4_T5_T6_T7_T9_mT8_P12ihipStream_tbDpT10_ENKUlT_T0_E_clISt17integral_constantIbLb0EES1C_EEDaS17_S18_EUlS17_E_NS1_11comp_targetILNS1_3genE8ELNS1_11target_archE1030ELNS1_3gpuE2ELNS1_3repE0EEENS1_30default_config_static_selectorELNS0_4arch9wavefront6targetE1EEEvT1_, .Lfunc_end3499-_ZN7rocprim17ROCPRIM_400000_NS6detail17trampoline_kernelINS0_14default_configENS1_25partition_config_selectorILNS1_17partition_subalgoE3EN6thrust23THRUST_200600_302600_NS5tupleIiiNS7_9null_typeES9_S9_S9_S9_S9_S9_S9_EENS0_10empty_typeEbEEZZNS1_14partition_implILS5_3ELb0ES3_jNS7_6detail15normal_iteratorINS7_7pointerISA_NS7_11hip_rocprim3tagENS7_11use_defaultESJ_EEEEPSB_SM_NS0_5tupleIJPSA_SM_EEENSN_IJSM_SM_EEESB_PlJ10is_orderedEEE10hipError_tPvRmT3_T4_T5_T6_T7_T9_mT8_P12ihipStream_tbDpT10_ENKUlT_T0_E_clISt17integral_constantIbLb0EES1C_EEDaS17_S18_EUlS17_E_NS1_11comp_targetILNS1_3genE8ELNS1_11target_archE1030ELNS1_3gpuE2ELNS1_3repE0EEENS1_30default_config_static_selectorELNS0_4arch9wavefront6targetE1EEEvT1_
                                        ; -- End function
	.section	.AMDGPU.csdata,"",@progbits
; Kernel info:
; codeLenInByte = 0
; NumSgprs: 6
; NumVgprs: 0
; NumAgprs: 0
; TotalNumVgprs: 0
; ScratchSize: 0
; MemoryBound: 0
; FloatMode: 240
; IeeeMode: 1
; LDSByteSize: 0 bytes/workgroup (compile time only)
; SGPRBlocks: 0
; VGPRBlocks: 0
; NumSGPRsForWavesPerEU: 6
; NumVGPRsForWavesPerEU: 1
; AccumOffset: 4
; Occupancy: 8
; WaveLimiterHint : 0
; COMPUTE_PGM_RSRC2:SCRATCH_EN: 0
; COMPUTE_PGM_RSRC2:USER_SGPR: 2
; COMPUTE_PGM_RSRC2:TRAP_HANDLER: 0
; COMPUTE_PGM_RSRC2:TGID_X_EN: 1
; COMPUTE_PGM_RSRC2:TGID_Y_EN: 0
; COMPUTE_PGM_RSRC2:TGID_Z_EN: 0
; COMPUTE_PGM_RSRC2:TIDIG_COMP_CNT: 0
; COMPUTE_PGM_RSRC3_GFX90A:ACCUM_OFFSET: 0
; COMPUTE_PGM_RSRC3_GFX90A:TG_SPLIT: 0
	.section	.text._ZN7rocprim17ROCPRIM_400000_NS6detail17trampoline_kernelINS0_14default_configENS1_25partition_config_selectorILNS1_17partition_subalgoE3EN6thrust23THRUST_200600_302600_NS5tupleIiiNS7_9null_typeES9_S9_S9_S9_S9_S9_S9_EENS0_10empty_typeEbEEZZNS1_14partition_implILS5_3ELb0ES3_jNS7_6detail15normal_iteratorINS7_7pointerISA_NS7_11hip_rocprim3tagENS7_11use_defaultESJ_EEEEPSB_SM_NS0_5tupleIJPSA_SM_EEENSN_IJSM_SM_EEESB_PlJ10is_orderedEEE10hipError_tPvRmT3_T4_T5_T6_T7_T9_mT8_P12ihipStream_tbDpT10_ENKUlT_T0_E_clISt17integral_constantIbLb1EES1C_EEDaS17_S18_EUlS17_E_NS1_11comp_targetILNS1_3genE0ELNS1_11target_archE4294967295ELNS1_3gpuE0ELNS1_3repE0EEENS1_30default_config_static_selectorELNS0_4arch9wavefront6targetE1EEEvT1_,"axG",@progbits,_ZN7rocprim17ROCPRIM_400000_NS6detail17trampoline_kernelINS0_14default_configENS1_25partition_config_selectorILNS1_17partition_subalgoE3EN6thrust23THRUST_200600_302600_NS5tupleIiiNS7_9null_typeES9_S9_S9_S9_S9_S9_S9_EENS0_10empty_typeEbEEZZNS1_14partition_implILS5_3ELb0ES3_jNS7_6detail15normal_iteratorINS7_7pointerISA_NS7_11hip_rocprim3tagENS7_11use_defaultESJ_EEEEPSB_SM_NS0_5tupleIJPSA_SM_EEENSN_IJSM_SM_EEESB_PlJ10is_orderedEEE10hipError_tPvRmT3_T4_T5_T6_T7_T9_mT8_P12ihipStream_tbDpT10_ENKUlT_T0_E_clISt17integral_constantIbLb1EES1C_EEDaS17_S18_EUlS17_E_NS1_11comp_targetILNS1_3genE0ELNS1_11target_archE4294967295ELNS1_3gpuE0ELNS1_3repE0EEENS1_30default_config_static_selectorELNS0_4arch9wavefront6targetE1EEEvT1_,comdat
	.protected	_ZN7rocprim17ROCPRIM_400000_NS6detail17trampoline_kernelINS0_14default_configENS1_25partition_config_selectorILNS1_17partition_subalgoE3EN6thrust23THRUST_200600_302600_NS5tupleIiiNS7_9null_typeES9_S9_S9_S9_S9_S9_S9_EENS0_10empty_typeEbEEZZNS1_14partition_implILS5_3ELb0ES3_jNS7_6detail15normal_iteratorINS7_7pointerISA_NS7_11hip_rocprim3tagENS7_11use_defaultESJ_EEEEPSB_SM_NS0_5tupleIJPSA_SM_EEENSN_IJSM_SM_EEESB_PlJ10is_orderedEEE10hipError_tPvRmT3_T4_T5_T6_T7_T9_mT8_P12ihipStream_tbDpT10_ENKUlT_T0_E_clISt17integral_constantIbLb1EES1C_EEDaS17_S18_EUlS17_E_NS1_11comp_targetILNS1_3genE0ELNS1_11target_archE4294967295ELNS1_3gpuE0ELNS1_3repE0EEENS1_30default_config_static_selectorELNS0_4arch9wavefront6targetE1EEEvT1_ ; -- Begin function _ZN7rocprim17ROCPRIM_400000_NS6detail17trampoline_kernelINS0_14default_configENS1_25partition_config_selectorILNS1_17partition_subalgoE3EN6thrust23THRUST_200600_302600_NS5tupleIiiNS7_9null_typeES9_S9_S9_S9_S9_S9_S9_EENS0_10empty_typeEbEEZZNS1_14partition_implILS5_3ELb0ES3_jNS7_6detail15normal_iteratorINS7_7pointerISA_NS7_11hip_rocprim3tagENS7_11use_defaultESJ_EEEEPSB_SM_NS0_5tupleIJPSA_SM_EEENSN_IJSM_SM_EEESB_PlJ10is_orderedEEE10hipError_tPvRmT3_T4_T5_T6_T7_T9_mT8_P12ihipStream_tbDpT10_ENKUlT_T0_E_clISt17integral_constantIbLb1EES1C_EEDaS17_S18_EUlS17_E_NS1_11comp_targetILNS1_3genE0ELNS1_11target_archE4294967295ELNS1_3gpuE0ELNS1_3repE0EEENS1_30default_config_static_selectorELNS0_4arch9wavefront6targetE1EEEvT1_
	.globl	_ZN7rocprim17ROCPRIM_400000_NS6detail17trampoline_kernelINS0_14default_configENS1_25partition_config_selectorILNS1_17partition_subalgoE3EN6thrust23THRUST_200600_302600_NS5tupleIiiNS7_9null_typeES9_S9_S9_S9_S9_S9_S9_EENS0_10empty_typeEbEEZZNS1_14partition_implILS5_3ELb0ES3_jNS7_6detail15normal_iteratorINS7_7pointerISA_NS7_11hip_rocprim3tagENS7_11use_defaultESJ_EEEEPSB_SM_NS0_5tupleIJPSA_SM_EEENSN_IJSM_SM_EEESB_PlJ10is_orderedEEE10hipError_tPvRmT3_T4_T5_T6_T7_T9_mT8_P12ihipStream_tbDpT10_ENKUlT_T0_E_clISt17integral_constantIbLb1EES1C_EEDaS17_S18_EUlS17_E_NS1_11comp_targetILNS1_3genE0ELNS1_11target_archE4294967295ELNS1_3gpuE0ELNS1_3repE0EEENS1_30default_config_static_selectorELNS0_4arch9wavefront6targetE1EEEvT1_
	.p2align	8
	.type	_ZN7rocprim17ROCPRIM_400000_NS6detail17trampoline_kernelINS0_14default_configENS1_25partition_config_selectorILNS1_17partition_subalgoE3EN6thrust23THRUST_200600_302600_NS5tupleIiiNS7_9null_typeES9_S9_S9_S9_S9_S9_S9_EENS0_10empty_typeEbEEZZNS1_14partition_implILS5_3ELb0ES3_jNS7_6detail15normal_iteratorINS7_7pointerISA_NS7_11hip_rocprim3tagENS7_11use_defaultESJ_EEEEPSB_SM_NS0_5tupleIJPSA_SM_EEENSN_IJSM_SM_EEESB_PlJ10is_orderedEEE10hipError_tPvRmT3_T4_T5_T6_T7_T9_mT8_P12ihipStream_tbDpT10_ENKUlT_T0_E_clISt17integral_constantIbLb1EES1C_EEDaS17_S18_EUlS17_E_NS1_11comp_targetILNS1_3genE0ELNS1_11target_archE4294967295ELNS1_3gpuE0ELNS1_3repE0EEENS1_30default_config_static_selectorELNS0_4arch9wavefront6targetE1EEEvT1_,@function
_ZN7rocprim17ROCPRIM_400000_NS6detail17trampoline_kernelINS0_14default_configENS1_25partition_config_selectorILNS1_17partition_subalgoE3EN6thrust23THRUST_200600_302600_NS5tupleIiiNS7_9null_typeES9_S9_S9_S9_S9_S9_S9_EENS0_10empty_typeEbEEZZNS1_14partition_implILS5_3ELb0ES3_jNS7_6detail15normal_iteratorINS7_7pointerISA_NS7_11hip_rocprim3tagENS7_11use_defaultESJ_EEEEPSB_SM_NS0_5tupleIJPSA_SM_EEENSN_IJSM_SM_EEESB_PlJ10is_orderedEEE10hipError_tPvRmT3_T4_T5_T6_T7_T9_mT8_P12ihipStream_tbDpT10_ENKUlT_T0_E_clISt17integral_constantIbLb1EES1C_EEDaS17_S18_EUlS17_E_NS1_11comp_targetILNS1_3genE0ELNS1_11target_archE4294967295ELNS1_3gpuE0ELNS1_3repE0EEENS1_30default_config_static_selectorELNS0_4arch9wavefront6targetE1EEEvT1_: ; @_ZN7rocprim17ROCPRIM_400000_NS6detail17trampoline_kernelINS0_14default_configENS1_25partition_config_selectorILNS1_17partition_subalgoE3EN6thrust23THRUST_200600_302600_NS5tupleIiiNS7_9null_typeES9_S9_S9_S9_S9_S9_S9_EENS0_10empty_typeEbEEZZNS1_14partition_implILS5_3ELb0ES3_jNS7_6detail15normal_iteratorINS7_7pointerISA_NS7_11hip_rocprim3tagENS7_11use_defaultESJ_EEEEPSB_SM_NS0_5tupleIJPSA_SM_EEENSN_IJSM_SM_EEESB_PlJ10is_orderedEEE10hipError_tPvRmT3_T4_T5_T6_T7_T9_mT8_P12ihipStream_tbDpT10_ENKUlT_T0_E_clISt17integral_constantIbLb1EES1C_EEDaS17_S18_EUlS17_E_NS1_11comp_targetILNS1_3genE0ELNS1_11target_archE4294967295ELNS1_3gpuE0ELNS1_3repE0EEENS1_30default_config_static_selectorELNS0_4arch9wavefront6targetE1EEEvT1_
; %bb.0:
	.section	.rodata,"a",@progbits
	.p2align	6, 0x0
	.amdhsa_kernel _ZN7rocprim17ROCPRIM_400000_NS6detail17trampoline_kernelINS0_14default_configENS1_25partition_config_selectorILNS1_17partition_subalgoE3EN6thrust23THRUST_200600_302600_NS5tupleIiiNS7_9null_typeES9_S9_S9_S9_S9_S9_S9_EENS0_10empty_typeEbEEZZNS1_14partition_implILS5_3ELb0ES3_jNS7_6detail15normal_iteratorINS7_7pointerISA_NS7_11hip_rocprim3tagENS7_11use_defaultESJ_EEEEPSB_SM_NS0_5tupleIJPSA_SM_EEENSN_IJSM_SM_EEESB_PlJ10is_orderedEEE10hipError_tPvRmT3_T4_T5_T6_T7_T9_mT8_P12ihipStream_tbDpT10_ENKUlT_T0_E_clISt17integral_constantIbLb1EES1C_EEDaS17_S18_EUlS17_E_NS1_11comp_targetILNS1_3genE0ELNS1_11target_archE4294967295ELNS1_3gpuE0ELNS1_3repE0EEENS1_30default_config_static_selectorELNS0_4arch9wavefront6targetE1EEEvT1_
		.amdhsa_group_segment_fixed_size 0
		.amdhsa_private_segment_fixed_size 0
		.amdhsa_kernarg_size 136
		.amdhsa_user_sgpr_count 2
		.amdhsa_user_sgpr_dispatch_ptr 0
		.amdhsa_user_sgpr_queue_ptr 0
		.amdhsa_user_sgpr_kernarg_segment_ptr 1
		.amdhsa_user_sgpr_dispatch_id 0
		.amdhsa_user_sgpr_kernarg_preload_length 0
		.amdhsa_user_sgpr_kernarg_preload_offset 0
		.amdhsa_user_sgpr_private_segment_size 0
		.amdhsa_uses_dynamic_stack 0
		.amdhsa_enable_private_segment 0
		.amdhsa_system_sgpr_workgroup_id_x 1
		.amdhsa_system_sgpr_workgroup_id_y 0
		.amdhsa_system_sgpr_workgroup_id_z 0
		.amdhsa_system_sgpr_workgroup_info 0
		.amdhsa_system_vgpr_workitem_id 0
		.amdhsa_next_free_vgpr 1
		.amdhsa_next_free_sgpr 0
		.amdhsa_accum_offset 4
		.amdhsa_reserve_vcc 0
		.amdhsa_float_round_mode_32 0
		.amdhsa_float_round_mode_16_64 0
		.amdhsa_float_denorm_mode_32 3
		.amdhsa_float_denorm_mode_16_64 3
		.amdhsa_dx10_clamp 1
		.amdhsa_ieee_mode 1
		.amdhsa_fp16_overflow 0
		.amdhsa_tg_split 0
		.amdhsa_exception_fp_ieee_invalid_op 0
		.amdhsa_exception_fp_denorm_src 0
		.amdhsa_exception_fp_ieee_div_zero 0
		.amdhsa_exception_fp_ieee_overflow 0
		.amdhsa_exception_fp_ieee_underflow 0
		.amdhsa_exception_fp_ieee_inexact 0
		.amdhsa_exception_int_div_zero 0
	.end_amdhsa_kernel
	.section	.text._ZN7rocprim17ROCPRIM_400000_NS6detail17trampoline_kernelINS0_14default_configENS1_25partition_config_selectorILNS1_17partition_subalgoE3EN6thrust23THRUST_200600_302600_NS5tupleIiiNS7_9null_typeES9_S9_S9_S9_S9_S9_S9_EENS0_10empty_typeEbEEZZNS1_14partition_implILS5_3ELb0ES3_jNS7_6detail15normal_iteratorINS7_7pointerISA_NS7_11hip_rocprim3tagENS7_11use_defaultESJ_EEEEPSB_SM_NS0_5tupleIJPSA_SM_EEENSN_IJSM_SM_EEESB_PlJ10is_orderedEEE10hipError_tPvRmT3_T4_T5_T6_T7_T9_mT8_P12ihipStream_tbDpT10_ENKUlT_T0_E_clISt17integral_constantIbLb1EES1C_EEDaS17_S18_EUlS17_E_NS1_11comp_targetILNS1_3genE0ELNS1_11target_archE4294967295ELNS1_3gpuE0ELNS1_3repE0EEENS1_30default_config_static_selectorELNS0_4arch9wavefront6targetE1EEEvT1_,"axG",@progbits,_ZN7rocprim17ROCPRIM_400000_NS6detail17trampoline_kernelINS0_14default_configENS1_25partition_config_selectorILNS1_17partition_subalgoE3EN6thrust23THRUST_200600_302600_NS5tupleIiiNS7_9null_typeES9_S9_S9_S9_S9_S9_S9_EENS0_10empty_typeEbEEZZNS1_14partition_implILS5_3ELb0ES3_jNS7_6detail15normal_iteratorINS7_7pointerISA_NS7_11hip_rocprim3tagENS7_11use_defaultESJ_EEEEPSB_SM_NS0_5tupleIJPSA_SM_EEENSN_IJSM_SM_EEESB_PlJ10is_orderedEEE10hipError_tPvRmT3_T4_T5_T6_T7_T9_mT8_P12ihipStream_tbDpT10_ENKUlT_T0_E_clISt17integral_constantIbLb1EES1C_EEDaS17_S18_EUlS17_E_NS1_11comp_targetILNS1_3genE0ELNS1_11target_archE4294967295ELNS1_3gpuE0ELNS1_3repE0EEENS1_30default_config_static_selectorELNS0_4arch9wavefront6targetE1EEEvT1_,comdat
.Lfunc_end3500:
	.size	_ZN7rocprim17ROCPRIM_400000_NS6detail17trampoline_kernelINS0_14default_configENS1_25partition_config_selectorILNS1_17partition_subalgoE3EN6thrust23THRUST_200600_302600_NS5tupleIiiNS7_9null_typeES9_S9_S9_S9_S9_S9_S9_EENS0_10empty_typeEbEEZZNS1_14partition_implILS5_3ELb0ES3_jNS7_6detail15normal_iteratorINS7_7pointerISA_NS7_11hip_rocprim3tagENS7_11use_defaultESJ_EEEEPSB_SM_NS0_5tupleIJPSA_SM_EEENSN_IJSM_SM_EEESB_PlJ10is_orderedEEE10hipError_tPvRmT3_T4_T5_T6_T7_T9_mT8_P12ihipStream_tbDpT10_ENKUlT_T0_E_clISt17integral_constantIbLb1EES1C_EEDaS17_S18_EUlS17_E_NS1_11comp_targetILNS1_3genE0ELNS1_11target_archE4294967295ELNS1_3gpuE0ELNS1_3repE0EEENS1_30default_config_static_selectorELNS0_4arch9wavefront6targetE1EEEvT1_, .Lfunc_end3500-_ZN7rocprim17ROCPRIM_400000_NS6detail17trampoline_kernelINS0_14default_configENS1_25partition_config_selectorILNS1_17partition_subalgoE3EN6thrust23THRUST_200600_302600_NS5tupleIiiNS7_9null_typeES9_S9_S9_S9_S9_S9_S9_EENS0_10empty_typeEbEEZZNS1_14partition_implILS5_3ELb0ES3_jNS7_6detail15normal_iteratorINS7_7pointerISA_NS7_11hip_rocprim3tagENS7_11use_defaultESJ_EEEEPSB_SM_NS0_5tupleIJPSA_SM_EEENSN_IJSM_SM_EEESB_PlJ10is_orderedEEE10hipError_tPvRmT3_T4_T5_T6_T7_T9_mT8_P12ihipStream_tbDpT10_ENKUlT_T0_E_clISt17integral_constantIbLb1EES1C_EEDaS17_S18_EUlS17_E_NS1_11comp_targetILNS1_3genE0ELNS1_11target_archE4294967295ELNS1_3gpuE0ELNS1_3repE0EEENS1_30default_config_static_selectorELNS0_4arch9wavefront6targetE1EEEvT1_
                                        ; -- End function
	.section	.AMDGPU.csdata,"",@progbits
; Kernel info:
; codeLenInByte = 0
; NumSgprs: 6
; NumVgprs: 0
; NumAgprs: 0
; TotalNumVgprs: 0
; ScratchSize: 0
; MemoryBound: 0
; FloatMode: 240
; IeeeMode: 1
; LDSByteSize: 0 bytes/workgroup (compile time only)
; SGPRBlocks: 0
; VGPRBlocks: 0
; NumSGPRsForWavesPerEU: 6
; NumVGPRsForWavesPerEU: 1
; AccumOffset: 4
; Occupancy: 8
; WaveLimiterHint : 0
; COMPUTE_PGM_RSRC2:SCRATCH_EN: 0
; COMPUTE_PGM_RSRC2:USER_SGPR: 2
; COMPUTE_PGM_RSRC2:TRAP_HANDLER: 0
; COMPUTE_PGM_RSRC2:TGID_X_EN: 1
; COMPUTE_PGM_RSRC2:TGID_Y_EN: 0
; COMPUTE_PGM_RSRC2:TGID_Z_EN: 0
; COMPUTE_PGM_RSRC2:TIDIG_COMP_CNT: 0
; COMPUTE_PGM_RSRC3_GFX90A:ACCUM_OFFSET: 0
; COMPUTE_PGM_RSRC3_GFX90A:TG_SPLIT: 0
	.section	.text._ZN7rocprim17ROCPRIM_400000_NS6detail17trampoline_kernelINS0_14default_configENS1_25partition_config_selectorILNS1_17partition_subalgoE3EN6thrust23THRUST_200600_302600_NS5tupleIiiNS7_9null_typeES9_S9_S9_S9_S9_S9_S9_EENS0_10empty_typeEbEEZZNS1_14partition_implILS5_3ELb0ES3_jNS7_6detail15normal_iteratorINS7_7pointerISA_NS7_11hip_rocprim3tagENS7_11use_defaultESJ_EEEEPSB_SM_NS0_5tupleIJPSA_SM_EEENSN_IJSM_SM_EEESB_PlJ10is_orderedEEE10hipError_tPvRmT3_T4_T5_T6_T7_T9_mT8_P12ihipStream_tbDpT10_ENKUlT_T0_E_clISt17integral_constantIbLb1EES1C_EEDaS17_S18_EUlS17_E_NS1_11comp_targetILNS1_3genE5ELNS1_11target_archE942ELNS1_3gpuE9ELNS1_3repE0EEENS1_30default_config_static_selectorELNS0_4arch9wavefront6targetE1EEEvT1_,"axG",@progbits,_ZN7rocprim17ROCPRIM_400000_NS6detail17trampoline_kernelINS0_14default_configENS1_25partition_config_selectorILNS1_17partition_subalgoE3EN6thrust23THRUST_200600_302600_NS5tupleIiiNS7_9null_typeES9_S9_S9_S9_S9_S9_S9_EENS0_10empty_typeEbEEZZNS1_14partition_implILS5_3ELb0ES3_jNS7_6detail15normal_iteratorINS7_7pointerISA_NS7_11hip_rocprim3tagENS7_11use_defaultESJ_EEEEPSB_SM_NS0_5tupleIJPSA_SM_EEENSN_IJSM_SM_EEESB_PlJ10is_orderedEEE10hipError_tPvRmT3_T4_T5_T6_T7_T9_mT8_P12ihipStream_tbDpT10_ENKUlT_T0_E_clISt17integral_constantIbLb1EES1C_EEDaS17_S18_EUlS17_E_NS1_11comp_targetILNS1_3genE5ELNS1_11target_archE942ELNS1_3gpuE9ELNS1_3repE0EEENS1_30default_config_static_selectorELNS0_4arch9wavefront6targetE1EEEvT1_,comdat
	.protected	_ZN7rocprim17ROCPRIM_400000_NS6detail17trampoline_kernelINS0_14default_configENS1_25partition_config_selectorILNS1_17partition_subalgoE3EN6thrust23THRUST_200600_302600_NS5tupleIiiNS7_9null_typeES9_S9_S9_S9_S9_S9_S9_EENS0_10empty_typeEbEEZZNS1_14partition_implILS5_3ELb0ES3_jNS7_6detail15normal_iteratorINS7_7pointerISA_NS7_11hip_rocprim3tagENS7_11use_defaultESJ_EEEEPSB_SM_NS0_5tupleIJPSA_SM_EEENSN_IJSM_SM_EEESB_PlJ10is_orderedEEE10hipError_tPvRmT3_T4_T5_T6_T7_T9_mT8_P12ihipStream_tbDpT10_ENKUlT_T0_E_clISt17integral_constantIbLb1EES1C_EEDaS17_S18_EUlS17_E_NS1_11comp_targetILNS1_3genE5ELNS1_11target_archE942ELNS1_3gpuE9ELNS1_3repE0EEENS1_30default_config_static_selectorELNS0_4arch9wavefront6targetE1EEEvT1_ ; -- Begin function _ZN7rocprim17ROCPRIM_400000_NS6detail17trampoline_kernelINS0_14default_configENS1_25partition_config_selectorILNS1_17partition_subalgoE3EN6thrust23THRUST_200600_302600_NS5tupleIiiNS7_9null_typeES9_S9_S9_S9_S9_S9_S9_EENS0_10empty_typeEbEEZZNS1_14partition_implILS5_3ELb0ES3_jNS7_6detail15normal_iteratorINS7_7pointerISA_NS7_11hip_rocprim3tagENS7_11use_defaultESJ_EEEEPSB_SM_NS0_5tupleIJPSA_SM_EEENSN_IJSM_SM_EEESB_PlJ10is_orderedEEE10hipError_tPvRmT3_T4_T5_T6_T7_T9_mT8_P12ihipStream_tbDpT10_ENKUlT_T0_E_clISt17integral_constantIbLb1EES1C_EEDaS17_S18_EUlS17_E_NS1_11comp_targetILNS1_3genE5ELNS1_11target_archE942ELNS1_3gpuE9ELNS1_3repE0EEENS1_30default_config_static_selectorELNS0_4arch9wavefront6targetE1EEEvT1_
	.globl	_ZN7rocprim17ROCPRIM_400000_NS6detail17trampoline_kernelINS0_14default_configENS1_25partition_config_selectorILNS1_17partition_subalgoE3EN6thrust23THRUST_200600_302600_NS5tupleIiiNS7_9null_typeES9_S9_S9_S9_S9_S9_S9_EENS0_10empty_typeEbEEZZNS1_14partition_implILS5_3ELb0ES3_jNS7_6detail15normal_iteratorINS7_7pointerISA_NS7_11hip_rocprim3tagENS7_11use_defaultESJ_EEEEPSB_SM_NS0_5tupleIJPSA_SM_EEENSN_IJSM_SM_EEESB_PlJ10is_orderedEEE10hipError_tPvRmT3_T4_T5_T6_T7_T9_mT8_P12ihipStream_tbDpT10_ENKUlT_T0_E_clISt17integral_constantIbLb1EES1C_EEDaS17_S18_EUlS17_E_NS1_11comp_targetILNS1_3genE5ELNS1_11target_archE942ELNS1_3gpuE9ELNS1_3repE0EEENS1_30default_config_static_selectorELNS0_4arch9wavefront6targetE1EEEvT1_
	.p2align	8
	.type	_ZN7rocprim17ROCPRIM_400000_NS6detail17trampoline_kernelINS0_14default_configENS1_25partition_config_selectorILNS1_17partition_subalgoE3EN6thrust23THRUST_200600_302600_NS5tupleIiiNS7_9null_typeES9_S9_S9_S9_S9_S9_S9_EENS0_10empty_typeEbEEZZNS1_14partition_implILS5_3ELb0ES3_jNS7_6detail15normal_iteratorINS7_7pointerISA_NS7_11hip_rocprim3tagENS7_11use_defaultESJ_EEEEPSB_SM_NS0_5tupleIJPSA_SM_EEENSN_IJSM_SM_EEESB_PlJ10is_orderedEEE10hipError_tPvRmT3_T4_T5_T6_T7_T9_mT8_P12ihipStream_tbDpT10_ENKUlT_T0_E_clISt17integral_constantIbLb1EES1C_EEDaS17_S18_EUlS17_E_NS1_11comp_targetILNS1_3genE5ELNS1_11target_archE942ELNS1_3gpuE9ELNS1_3repE0EEENS1_30default_config_static_selectorELNS0_4arch9wavefront6targetE1EEEvT1_,@function
_ZN7rocprim17ROCPRIM_400000_NS6detail17trampoline_kernelINS0_14default_configENS1_25partition_config_selectorILNS1_17partition_subalgoE3EN6thrust23THRUST_200600_302600_NS5tupleIiiNS7_9null_typeES9_S9_S9_S9_S9_S9_S9_EENS0_10empty_typeEbEEZZNS1_14partition_implILS5_3ELb0ES3_jNS7_6detail15normal_iteratorINS7_7pointerISA_NS7_11hip_rocprim3tagENS7_11use_defaultESJ_EEEEPSB_SM_NS0_5tupleIJPSA_SM_EEENSN_IJSM_SM_EEESB_PlJ10is_orderedEEE10hipError_tPvRmT3_T4_T5_T6_T7_T9_mT8_P12ihipStream_tbDpT10_ENKUlT_T0_E_clISt17integral_constantIbLb1EES1C_EEDaS17_S18_EUlS17_E_NS1_11comp_targetILNS1_3genE5ELNS1_11target_archE942ELNS1_3gpuE9ELNS1_3repE0EEENS1_30default_config_static_selectorELNS0_4arch9wavefront6targetE1EEEvT1_: ; @_ZN7rocprim17ROCPRIM_400000_NS6detail17trampoline_kernelINS0_14default_configENS1_25partition_config_selectorILNS1_17partition_subalgoE3EN6thrust23THRUST_200600_302600_NS5tupleIiiNS7_9null_typeES9_S9_S9_S9_S9_S9_S9_EENS0_10empty_typeEbEEZZNS1_14partition_implILS5_3ELb0ES3_jNS7_6detail15normal_iteratorINS7_7pointerISA_NS7_11hip_rocprim3tagENS7_11use_defaultESJ_EEEEPSB_SM_NS0_5tupleIJPSA_SM_EEENSN_IJSM_SM_EEESB_PlJ10is_orderedEEE10hipError_tPvRmT3_T4_T5_T6_T7_T9_mT8_P12ihipStream_tbDpT10_ENKUlT_T0_E_clISt17integral_constantIbLb1EES1C_EEDaS17_S18_EUlS17_E_NS1_11comp_targetILNS1_3genE5ELNS1_11target_archE942ELNS1_3gpuE9ELNS1_3repE0EEENS1_30default_config_static_selectorELNS0_4arch9wavefront6targetE1EEEvT1_
; %bb.0:
	s_load_dwordx2 s[22:23], s[0:1], 0x28
	s_load_dwordx4 s[24:27], s[0:1], 0x48
	s_load_dwordx2 s[34:35], s[0:1], 0x58
	s_load_dwordx2 s[36:37], s[0:1], 0x68
	v_cmp_eq_u32_e64 s[20:21], 0, v0
	s_and_saveexec_b64 s[2:3], s[20:21]
	s_cbranch_execz .LBB3501_4
; %bb.1:
	s_mov_b64 s[6:7], exec
	v_mbcnt_lo_u32_b32 v1, s6, 0
	v_mbcnt_hi_u32_b32 v1, s7, v1
	v_cmp_eq_u32_e32 vcc, 0, v1
                                        ; implicit-def: $vgpr2
	s_and_saveexec_b64 s[4:5], vcc
	s_cbranch_execz .LBB3501_3
; %bb.2:
	s_load_dwordx2 s[8:9], s[0:1], 0x78
	s_bcnt1_i32_b64 s6, s[6:7]
	v_mov_b32_e32 v2, 0
	v_mov_b32_e32 v3, s6
	s_waitcnt lgkmcnt(0)
	global_atomic_add v2, v2, v3, s[8:9] sc0
.LBB3501_3:
	s_or_b64 exec, exec, s[4:5]
	s_waitcnt vmcnt(0)
	v_readfirstlane_b32 s4, v2
	v_mov_b32_e32 v2, 0
	s_nop 0
	v_add_u32_e32 v1, s4, v1
	ds_write_b32 v2, v1
.LBB3501_4:
	s_or_b64 exec, exec, s[2:3]
	v_mov_b32_e32 v15, 0
	s_load_dwordx4 s[28:31], s[0:1], 0x8
	s_load_dword s2, s[0:1], 0x70
	s_waitcnt lgkmcnt(0)
	s_barrier
	ds_read_b32 v1, v15
	s_waitcnt lgkmcnt(0)
	s_barrier
	global_load_dwordx2 v[16:17], v15, s[26:27]
	s_lshl_b64 s[0:1], s[30:31], 3
	s_add_u32 s0, s28, s0
	s_addc_u32 s1, s29, s1
	s_add_i32 s4, s2, -1
	s_mulk_i32 s2, 0xe00
	s_add_i32 s3, s2, s30
	s_sub_i32 s33, s34, s3
	s_addk_i32 s33, 0xe00
	s_add_u32 s2, s30, s2
	v_readfirstlane_b32 s42, v1
	s_addc_u32 s3, s31, 0
	s_cmp_eq_u32 s42, s4
	s_movk_i32 s6, 0xe00
	s_cselect_b64 s[26:27], -1, 0
	s_cmp_lg_u32 s42, s4
	v_mov_b64_e32 v[2:3], s[34:35]
	s_cselect_b64 s[4:5], -1, 0
	v_mul_lo_u32 v14, v1, s6
	v_cmp_lt_u64_e32 vcc, s[2:3], v[2:3]
	s_or_b64 s[4:5], vcc, s[4:5]
	v_lshlrev_b64 v[2:3], 3, v[14:15]
	v_lshl_add_u64 v[2:3], s[0:1], 0, v[2:3]
	s_mov_b64 s[0:1], -1
	s_and_b64 vcc, exec, s[4:5]
	v_lshlrev_b32_e32 v18, 3, v0
	s_cbranch_vccz .LBB3501_6
; %bb.5:
	v_mov_b32_e32 v19, v15
	v_lshl_add_u64 v[4:5], v[2:3], 0, v[18:19]
	v_add_co_u32_e32 v6, vcc, 0x1000, v4
	s_mov_b64 s[0:1], 0
	s_nop 0
	v_addc_co_u32_e32 v7, vcc, 0, v5, vcc
	v_add_co_u32_e32 v8, vcc, 0x2000, v4
	s_nop 1
	v_addc_co_u32_e32 v9, vcc, 0, v5, vcc
	v_add_co_u32_e32 v10, vcc, 0x3000, v4
	s_nop 1
	v_addc_co_u32_e32 v11, vcc, 0, v5, vcc
	flat_load_dwordx2 v[12:13], v[4:5]
	flat_load_dwordx2 v[20:21], v[6:7]
	;; [unrolled: 1-line block ×4, first 2 shown]
	v_add_co_u32_e32 v6, vcc, 0x4000, v4
	s_nop 1
	v_addc_co_u32_e32 v7, vcc, 0, v5, vcc
	v_add_co_u32_e32 v8, vcc, 0x5000, v4
	s_nop 1
	v_addc_co_u32_e32 v9, vcc, 0, v5, vcc
	;; [unrolled: 3-line block ×3, first 2 shown]
	flat_load_dwordx2 v[10:11], v[6:7]
	flat_load_dwordx2 v[26:27], v[8:9]
	;; [unrolled: 1-line block ×3, first 2 shown]
	s_waitcnt vmcnt(0) lgkmcnt(0)
	ds_write2st64_b64 v18, v[12:13], v[20:21] offset1:8
	ds_write2st64_b64 v18, v[22:23], v[24:25] offset0:16 offset1:24
	ds_write2st64_b64 v18, v[10:11], v[26:27] offset0:32 offset1:40
	ds_write_b64 v18, v[28:29] offset:24576
	s_waitcnt lgkmcnt(0)
	s_barrier
.LBB3501_6:
	s_andn2_b64 vcc, exec, s[0:1]
	v_cmp_gt_u32_e64 s[0:1], s33, v0
	s_cbranch_vccnz .LBB3501_22
; %bb.7:
	v_mov_b64_e32 v[6:7], 0
	v_mov_b64_e32 v[4:5], v[6:7]
	s_and_saveexec_b64 s[2:3], s[0:1]
	s_cbranch_execz .LBB3501_9
; %bb.8:
	v_mov_b32_e32 v19, 0
	v_lshl_add_u64 v[4:5], v[2:3], 0, v[18:19]
	flat_load_dwordx2 v[4:5], v[4:5]
.LBB3501_9:
	s_or_b64 exec, exec, s[2:3]
	v_or_b32_e32 v1, 0x200, v0
	v_cmp_gt_u32_e32 vcc, s33, v1
	s_and_saveexec_b64 s[0:1], vcc
	s_cbranch_execz .LBB3501_11
; %bb.10:
	v_lshlrev_b32_e32 v6, 3, v1
	v_mov_b32_e32 v7, 0
	v_lshl_add_u64 v[6:7], v[2:3], 0, v[6:7]
	flat_load_dwordx2 v[6:7], v[6:7]
.LBB3501_11:
	s_or_b64 exec, exec, s[0:1]
	v_or_b32_e32 v1, 0x400, v0
	v_mov_b64_e32 v[8:9], 0
	v_cmp_gt_u32_e32 vcc, s33, v1
	v_mov_b64_e32 v[10:11], v[8:9]
	s_and_saveexec_b64 s[0:1], vcc
	s_cbranch_execz .LBB3501_13
; %bb.12:
	v_lshlrev_b32_e32 v10, 3, v1
	v_mov_b32_e32 v11, 0
	v_lshl_add_u64 v[10:11], v[2:3], 0, v[10:11]
	flat_load_dwordx2 v[10:11], v[10:11]
.LBB3501_13:
	s_or_b64 exec, exec, s[0:1]
	v_or_b32_e32 v1, 0x600, v0
	v_cmp_gt_u32_e32 vcc, s33, v1
	s_and_saveexec_b64 s[0:1], vcc
	s_cbranch_execz .LBB3501_15
; %bb.14:
	v_lshlrev_b32_e32 v8, 3, v1
	v_mov_b32_e32 v9, 0
	v_lshl_add_u64 v[8:9], v[2:3], 0, v[8:9]
	flat_load_dwordx2 v[8:9], v[8:9]
.LBB3501_15:
	s_or_b64 exec, exec, s[0:1]
	v_or_b32_e32 v1, 0x800, v0
	v_mov_b64_e32 v[12:13], 0
	v_cmp_gt_u32_e32 vcc, s33, v1
	v_mov_b64_e32 v[20:21], v[12:13]
	s_and_saveexec_b64 s[0:1], vcc
	s_cbranch_execz .LBB3501_17
; %bb.16:
	v_lshlrev_b32_e32 v20, 3, v1
	v_mov_b32_e32 v21, 0
	v_lshl_add_u64 v[20:21], v[2:3], 0, v[20:21]
	flat_load_dwordx2 v[20:21], v[20:21]
.LBB3501_17:
	s_or_b64 exec, exec, s[0:1]
	v_or_b32_e32 v1, 0xa00, v0
	v_cmp_gt_u32_e32 vcc, s33, v1
	s_and_saveexec_b64 s[0:1], vcc
	s_cbranch_execz .LBB3501_19
; %bb.18:
	v_lshlrev_b32_e32 v12, 3, v1
	v_mov_b32_e32 v13, 0
	v_lshl_add_u64 v[12:13], v[2:3], 0, v[12:13]
	flat_load_dwordx2 v[12:13], v[12:13]
.LBB3501_19:
	s_or_b64 exec, exec, s[0:1]
	v_or_b32_e32 v1, 0xc00, v0
	v_cmp_gt_u32_e32 vcc, s33, v1
	v_mov_b64_e32 v[22:23], 0
	s_and_saveexec_b64 s[0:1], vcc
	s_cbranch_execz .LBB3501_21
; %bb.20:
	v_lshlrev_b32_e32 v22, 3, v1
	v_mov_b32_e32 v23, 0
	v_lshl_add_u64 v[2:3], v[2:3], 0, v[22:23]
	flat_load_dwordx2 v[22:23], v[2:3]
.LBB3501_21:
	s_or_b64 exec, exec, s[0:1]
	s_waitcnt vmcnt(0) lgkmcnt(0)
	ds_write2st64_b64 v18, v[4:5], v[6:7] offset1:8
	ds_write2st64_b64 v18, v[10:11], v[8:9] offset0:16 offset1:24
	ds_write2st64_b64 v18, v[20:21], v[12:13] offset0:32 offset1:40
	ds_write_b64 v18, v[22:23] offset:24576
	s_waitcnt lgkmcnt(0)
	s_barrier
.LBB3501_22:
	v_mul_u32_u24_e32 v1, 7, v0
	v_lshlrev_b32_e32 v35, 3, v1
	ds_read2_b64 v[10:13], v35 offset1:1
	ds_read2_b64 v[6:9], v35 offset0:2 offset1:3
	ds_read2_b64 v[2:5], v35 offset0:4 offset1:5
	ds_read_b64 v[20:21], v35 offset:48
	v_cndmask_b32_e64 v19, 0, 1, s[4:5]
	v_cmp_ne_u32_e64 s[2:3], 1, v19
	s_andn2_b64 vcc, exec, s[4:5]
	s_waitcnt lgkmcnt(3)
	v_cmp_le_i32_e64 s[4:5], v10, v11
	v_cmp_le_i32_e64 s[6:7], v12, v13
	s_waitcnt lgkmcnt(2)
	v_cmp_le_i32_e64 s[8:9], v6, v7
	v_cmp_le_i32_e64 s[10:11], v8, v9
	;; [unrolled: 3-line block ×3, first 2 shown]
	s_waitcnt lgkmcnt(0)
	v_cmp_le_i32_e64 s[0:1], v20, v21
	s_barrier
	s_cbranch_vccnz .LBB3501_24
; %bb.23:
	v_cndmask_b32_e64 v23, 0, 1, s[6:7]
	v_cndmask_b32_e64 v22, 0, 1, s[4:5]
	;; [unrolled: 1-line block ×3, first 2 shown]
	v_lshlrev_b16_e32 v23, 8, v23
	v_cndmask_b32_e64 v24, 0, 1, s[8:9]
	v_or_b32_e32 v22, v22, v23
	v_lshlrev_b16_e32 v23, 8, v25
	v_or_b32_sdwa v23, v24, v23 dst_sel:WORD_1 dst_unused:UNUSED_PAD src0_sel:DWORD src1_sel:DWORD
	v_cndmask_b32_e64 v32, 0, 1, s[12:13]
	v_cndmask_b32_e64 v19, 0, 1, s[14:15]
	v_or_b32_sdwa v33, v22, v23 dst_sel:DWORD dst_unused:UNUSED_PAD src0_sel:WORD_0 src1_sel:DWORD
	s_and_b64 s[28:29], s[0:1], exec
	s_cbranch_execz .LBB3501_25
	s_branch .LBB3501_26
.LBB3501_24:
                                        ; implicit-def: $sgpr28_sgpr29
                                        ; implicit-def: $vgpr19
                                        ; implicit-def: $vgpr32
                                        ; implicit-def: $vgpr33
.LBB3501_25:
	v_cmp_gt_u32_e32 vcc, s33, v1
	v_cmp_le_i32_e64 s[0:1], v10, v11
	v_add_u32_e32 v19, 1, v1
	s_and_b64 s[0:1], vcc, s[0:1]
	v_cndmask_b32_e64 v27, 0, 1, s[0:1]
	v_cmp_gt_u32_e32 vcc, s33, v19
	v_cmp_le_i32_e64 s[0:1], v12, v13
	v_add_u32_e32 v22, 2, v1
	s_and_b64 s[0:1], vcc, s[0:1]
	v_cndmask_b32_e64 v28, 0, 1, s[0:1]
	;; [unrolled: 5-line block ×6, first 2 shown]
	v_cmp_gt_u32_e32 vcc, s33, v26
	v_cmp_le_i32_e64 s[0:1], v20, v21
	s_and_b64 s[0:1], vcc, s[0:1]
	v_lshlrev_b16_e32 v24, 8, v28
	v_lshlrev_b16_e32 v23, 8, v23
	v_or_b32_e32 v24, v27, v24
	v_or_b32_sdwa v22, v22, v23 dst_sel:WORD_1 dst_unused:UNUSED_PAD src0_sel:DWORD src1_sel:DWORD
	s_andn2_b64 s[4:5], s[28:29], exec
	s_and_b64 s[0:1], s[0:1], exec
	v_or_b32_sdwa v33, v24, v22 dst_sel:DWORD dst_unused:UNUSED_PAD src0_sel:WORD_0 src1_sel:DWORD
	s_or_b64 s[28:29], s[4:5], s[0:1]
.LBB3501_26:
	v_and_b32_e32 v37, 0xff, v33
	v_bfe_u32 v38, v33, 8, 8
	v_cndmask_b32_e64 v22, 0, 1, s[28:29]
	v_bfe_u32 v39, v33, 16, 8
	v_lshrrev_b32_e32 v36, 24, v33
	v_add3_u32 v22, v37, v22, v38
	v_and_b32_e32 v40, 0xff, v32
	v_and_b32_e32 v41, 0xff, v19
	v_add3_u32 v22, v22, v39, v36
	v_add3_u32 v44, v22, v40, v41
	v_mbcnt_lo_u32_b32 v22, -1, 0
	v_mbcnt_hi_u32_b32 v42, -1, v22
	v_and_b32_e32 v22, 15, v42
	v_cmp_eq_u32_e64 s[16:17], 0, v22
	v_cmp_lt_u32_e64 s[14:15], 1, v22
	v_cmp_lt_u32_e64 s[12:13], 3, v22
	;; [unrolled: 1-line block ×3, first 2 shown]
	v_and_b32_e32 v22, 16, v42
	v_cmp_eq_u32_e64 s[8:9], 0, v22
	v_or_b32_e32 v22, 63, v0
	s_cmp_lg_u32 s42, 0
	v_cmp_lt_u32_e64 s[4:5], 31, v42
	v_lshrrev_b32_e32 v43, 6, v0
	v_cmp_eq_u32_e64 s[6:7], v22, v0
	s_cbranch_scc0 .LBB3501_57
; %bb.27:
	v_mov_b32_dpp v22, v44 row_shr:1 row_mask:0xf bank_mask:0xf
	v_cndmask_b32_e64 v22, v22, 0, s[16:17]
	v_add_u32_e32 v22, v22, v44
	s_nop 1
	v_mov_b32_dpp v23, v22 row_shr:2 row_mask:0xf bank_mask:0xf
	v_cndmask_b32_e64 v23, 0, v23, s[14:15]
	v_add_u32_e32 v22, v22, v23
	s_nop 1
	;; [unrolled: 4-line block ×4, first 2 shown]
	v_mov_b32_dpp v23, v22 row_bcast:15 row_mask:0xf bank_mask:0xf
	v_cndmask_b32_e64 v23, v23, 0, s[8:9]
	v_add_u32_e32 v22, v22, v23
	s_nop 1
	v_mov_b32_dpp v23, v22 row_bcast:31 row_mask:0xf bank_mask:0xf
	v_cndmask_b32_e64 v23, 0, v23, s[4:5]
	v_add_u32_e32 v22, v22, v23
	s_and_saveexec_b64 s[0:1], s[6:7]
	s_cbranch_execz .LBB3501_29
; %bb.28:
	v_lshlrev_b32_e32 v23, 2, v43
	ds_write_b32 v23, v22
.LBB3501_29:
	s_or_b64 exec, exec, s[0:1]
	v_cmp_gt_u32_e32 vcc, 8, v0
	s_waitcnt lgkmcnt(0)
	s_barrier
	s_and_saveexec_b64 s[0:1], vcc
	s_cbranch_execz .LBB3501_31
; %bb.30:
	v_lshlrev_b32_e32 v23, 2, v0
	ds_read_b32 v24, v23
	v_and_b32_e32 v25, 7, v42
	v_cmp_ne_u32_e32 vcc, 0, v25
	s_waitcnt lgkmcnt(0)
	v_mov_b32_dpp v26, v24 row_shr:1 row_mask:0xf bank_mask:0xf
	v_cndmask_b32_e32 v26, 0, v26, vcc
	v_add_u32_e32 v24, v26, v24
	v_cmp_lt_u32_e32 vcc, 1, v25
	s_nop 0
	v_mov_b32_dpp v26, v24 row_shr:2 row_mask:0xf bank_mask:0xf
	v_cndmask_b32_e32 v26, 0, v26, vcc
	v_add_u32_e32 v24, v24, v26
	v_cmp_lt_u32_e32 vcc, 3, v25
	s_nop 0
	v_mov_b32_dpp v26, v24 row_shr:4 row_mask:0xf bank_mask:0xf
	v_cndmask_b32_e32 v25, 0, v26, vcc
	v_add_u32_e32 v24, v24, v25
	ds_write_b32 v23, v24
.LBB3501_31:
	s_or_b64 exec, exec, s[0:1]
	v_cmp_gt_u32_e32 vcc, 64, v0
	v_cmp_lt_u32_e64 s[0:1], 63, v0
	s_waitcnt lgkmcnt(0)
	s_barrier
	s_waitcnt lgkmcnt(0)
                                        ; implicit-def: $vgpr34
	s_and_saveexec_b64 s[18:19], s[0:1]
	s_cbranch_execz .LBB3501_33
; %bb.32:
	v_lshl_add_u32 v23, v43, 2, -4
	ds_read_b32 v34, v23
	s_waitcnt lgkmcnt(0)
	v_add_u32_e32 v22, v34, v22
.LBB3501_33:
	s_or_b64 exec, exec, s[18:19]
	v_add_u32_e32 v23, -1, v42
	v_and_b32_e32 v24, 64, v42
	v_cmp_lt_i32_e64 s[0:1], v23, v24
	v_cmp_eq_u32_e64 s[18:19], 0, v42
	s_nop 0
	v_cndmask_b32_e64 v23, v23, v42, s[0:1]
	v_lshlrev_b32_e32 v23, 2, v23
	ds_bpermute_b32 v45, v23, v22
	s_and_saveexec_b64 s[0:1], vcc
	s_cbranch_execz .LBB3501_56
; %bb.34:
	v_mov_b32_e32 v31, 0
	ds_read_b32 v22, v31 offset:28
	s_and_saveexec_b64 s[38:39], s[18:19]
	s_cbranch_execz .LBB3501_36
; %bb.35:
	s_add_i32 s40, s42, 64
	s_mov_b32 s41, 0
	s_lshl_b64 s[40:41], s[40:41], 3
	s_add_u32 s40, s36, s40
	v_mov_b32_e32 v23, 1
	s_addc_u32 s41, s37, s41
	s_waitcnt lgkmcnt(0)
	global_store_dwordx2 v31, v[22:23], s[40:41] sc1
.LBB3501_36:
	s_or_b64 exec, exec, s[38:39]
	v_xad_u32 v24, v42, -1, s42
	v_add_u32_e32 v30, 64, v24
	v_lshl_add_u64 v[26:27], v[30:31], 3, s[36:37]
	global_load_dwordx2 v[28:29], v[26:27], off sc1
	s_waitcnt vmcnt(0)
	v_cmp_eq_u16_sdwa s[40:41], v29, v31 src0_sel:BYTE_0 src1_sel:DWORD
	s_and_saveexec_b64 s[38:39], s[40:41]
	s_cbranch_execz .LBB3501_42
; %bb.37:
	s_mov_b32 s43, 1
	s_mov_b64 s[40:41], 0
	v_mov_b32_e32 v23, 0
.LBB3501_38:                            ; =>This Loop Header: Depth=1
                                        ;     Child Loop BB3501_39 Depth 2
	s_max_u32 s44, s43, 1
.LBB3501_39:                            ;   Parent Loop BB3501_38 Depth=1
                                        ; =>  This Inner Loop Header: Depth=2
	s_add_i32 s44, s44, -1
	s_cmp_eq_u32 s44, 0
	s_sleep 1
	s_cbranch_scc0 .LBB3501_39
; %bb.40:                               ;   in Loop: Header=BB3501_38 Depth=1
	global_load_dwordx2 v[28:29], v[26:27], off sc1
	s_cmp_lt_u32 s43, 32
	s_cselect_b64 s[44:45], -1, 0
	s_cmp_lg_u64 s[44:45], 0
	s_addc_u32 s43, s43, 0
	s_waitcnt vmcnt(0)
	v_cmp_ne_u16_sdwa s[44:45], v29, v23 src0_sel:BYTE_0 src1_sel:DWORD
	s_or_b64 s[40:41], s[44:45], s[40:41]
	s_andn2_b64 exec, exec, s[40:41]
	s_cbranch_execnz .LBB3501_38
; %bb.41:
	s_or_b64 exec, exec, s[40:41]
.LBB3501_42:
	s_or_b64 exec, exec, s[38:39]
	v_and_b32_e32 v47, 63, v42
	v_mov_b32_e32 v46, 2
	v_cmp_ne_u32_e32 vcc, 63, v47
	v_cmp_eq_u16_sdwa s[38:39], v29, v46 src0_sel:BYTE_0 src1_sel:DWORD
	v_lshlrev_b64 v[26:27], v42, -1
	v_addc_co_u32_e32 v30, vcc, 0, v42, vcc
	v_and_b32_e32 v23, s39, v27
	v_lshlrev_b32_e32 v48, 2, v30
	v_or_b32_e32 v23, 0x80000000, v23
	ds_bpermute_b32 v30, v48, v28
	v_and_b32_e32 v25, s38, v26
	v_ffbl_b32_e32 v23, v23
	v_add_u32_e32 v23, 32, v23
	v_ffbl_b32_e32 v25, v25
	v_min_u32_e32 v23, v25, v23
	v_cmp_lt_u32_e32 vcc, v47, v23
	v_add_u32_e32 v50, 2, v47
	v_add_u32_e32 v52, 4, v47
	s_waitcnt lgkmcnt(0)
	v_cndmask_b32_e32 v25, 0, v30, vcc
	v_cmp_gt_u32_e32 vcc, 62, v47
	v_add_u32_e32 v25, v25, v28
	v_add_u32_e32 v54, 8, v47
	v_cndmask_b32_e64 v28, 0, 1, vcc
	v_lshlrev_b32_e32 v28, 1, v28
	v_add_lshl_u32 v49, v28, v42, 2
	ds_bpermute_b32 v28, v49, v25
	v_cmp_le_u32_e32 vcc, v50, v23
	v_add_u32_e32 v56, 16, v47
	v_add_u32_e32 v58, 32, v47
	s_waitcnt lgkmcnt(0)
	v_cndmask_b32_e32 v28, 0, v28, vcc
	v_cmp_gt_u32_e32 vcc, 60, v47
	v_add_u32_e32 v25, v25, v28
	s_nop 0
	v_cndmask_b32_e64 v28, 0, 1, vcc
	v_lshlrev_b32_e32 v28, 2, v28
	v_add_lshl_u32 v51, v28, v42, 2
	ds_bpermute_b32 v28, v51, v25
	v_cmp_le_u32_e32 vcc, v52, v23
	s_waitcnt lgkmcnt(0)
	s_nop 0
	v_cndmask_b32_e32 v28, 0, v28, vcc
	v_cmp_gt_u32_e32 vcc, 56, v47
	v_add_u32_e32 v25, v25, v28
	s_nop 0
	v_cndmask_b32_e64 v28, 0, 1, vcc
	v_lshlrev_b32_e32 v28, 3, v28
	v_add_lshl_u32 v53, v28, v42, 2
	ds_bpermute_b32 v28, v53, v25
	v_cmp_le_u32_e32 vcc, v54, v23
	s_waitcnt lgkmcnt(0)
	s_nop 0
	;; [unrolled: 11-line block ×4, first 2 shown]
	v_cndmask_b32_e32 v23, 0, v28, vcc
	v_add_u32_e32 v28, v25, v23
	v_mov_b32_e32 v25, 0
	s_branch .LBB3501_44
.LBB3501_43:                            ;   in Loop: Header=BB3501_44 Depth=1
	s_or_b64 exec, exec, s[38:39]
	v_cmp_eq_u16_sdwa s[38:39], v29, v46 src0_sel:BYTE_0 src1_sel:DWORD
	ds_bpermute_b32 v59, v48, v28
	v_subrev_u32_e32 v24, 64, v24
	v_and_b32_e32 v30, s39, v27
	v_or_b32_e32 v30, 0x80000000, v30
	v_and_b32_e32 v31, s38, v26
	v_ffbl_b32_e32 v30, v30
	v_add_u32_e32 v30, 32, v30
	v_ffbl_b32_e32 v31, v31
	v_min_u32_e32 v30, v31, v30
	v_cmp_lt_u32_e32 vcc, v47, v30
	s_waitcnt lgkmcnt(0)
	s_nop 0
	v_cndmask_b32_e32 v31, 0, v59, vcc
	v_add_u32_e32 v28, v31, v28
	ds_bpermute_b32 v31, v49, v28
	v_cmp_le_u32_e32 vcc, v50, v30
	s_waitcnt lgkmcnt(0)
	s_nop 0
	v_cndmask_b32_e32 v31, 0, v31, vcc
	v_add_u32_e32 v28, v28, v31
	ds_bpermute_b32 v31, v51, v28
	v_cmp_le_u32_e32 vcc, v52, v30
	;; [unrolled: 6-line block ×5, first 2 shown]
	s_waitcnt lgkmcnt(0)
	s_nop 0
	v_cndmask_b32_e32 v30, 0, v31, vcc
	v_add3_u32 v28, v30, v23, v28
.LBB3501_44:                            ; =>This Loop Header: Depth=1
                                        ;     Child Loop BB3501_47 Depth 2
                                        ;       Child Loop BB3501_48 Depth 3
	v_cmp_ne_u16_sdwa s[38:39], v29, v46 src0_sel:BYTE_0 src1_sel:DWORD
	s_nop 1
	v_cndmask_b32_e64 v23, 0, 1, s[38:39]
	;;#ASMSTART
	;;#ASMEND
	s_nop 0
	v_cmp_ne_u32_e32 vcc, 0, v23
	s_cmp_lg_u64 vcc, exec
	v_mov_b32_e32 v23, v28
	s_cbranch_scc1 .LBB3501_51
; %bb.45:                               ;   in Loop: Header=BB3501_44 Depth=1
	v_lshl_add_u64 v[30:31], v[24:25], 3, s[36:37]
	global_load_dwordx2 v[28:29], v[30:31], off sc1
	s_waitcnt vmcnt(0)
	v_cmp_eq_u16_sdwa s[40:41], v29, v25 src0_sel:BYTE_0 src1_sel:DWORD
	s_and_saveexec_b64 s[38:39], s[40:41]
	s_cbranch_execz .LBB3501_43
; %bb.46:                               ;   in Loop: Header=BB3501_44 Depth=1
	s_mov_b32 s43, 1
	s_mov_b64 s[40:41], 0
.LBB3501_47:                            ;   Parent Loop BB3501_44 Depth=1
                                        ; =>  This Loop Header: Depth=2
                                        ;       Child Loop BB3501_48 Depth 3
	s_max_u32 s44, s43, 1
.LBB3501_48:                            ;   Parent Loop BB3501_44 Depth=1
                                        ;     Parent Loop BB3501_47 Depth=2
                                        ; =>    This Inner Loop Header: Depth=3
	s_add_i32 s44, s44, -1
	s_cmp_eq_u32 s44, 0
	s_sleep 1
	s_cbranch_scc0 .LBB3501_48
; %bb.49:                               ;   in Loop: Header=BB3501_47 Depth=2
	global_load_dwordx2 v[28:29], v[30:31], off sc1
	s_cmp_lt_u32 s43, 32
	s_cselect_b64 s[44:45], -1, 0
	s_cmp_lg_u64 s[44:45], 0
	s_addc_u32 s43, s43, 0
	s_waitcnt vmcnt(0)
	v_cmp_ne_u16_sdwa s[44:45], v29, v25 src0_sel:BYTE_0 src1_sel:DWORD
	s_or_b64 s[40:41], s[44:45], s[40:41]
	s_andn2_b64 exec, exec, s[40:41]
	s_cbranch_execnz .LBB3501_47
; %bb.50:                               ;   in Loop: Header=BB3501_44 Depth=1
	s_or_b64 exec, exec, s[40:41]
	s_branch .LBB3501_43
.LBB3501_51:                            ;   in Loop: Header=BB3501_44 Depth=1
                                        ; implicit-def: $vgpr28
                                        ; implicit-def: $vgpr29
	s_cbranch_execz .LBB3501_44
; %bb.52:
	s_and_saveexec_b64 s[38:39], s[18:19]
	s_cbranch_execz .LBB3501_54
; %bb.53:
	s_add_i32 s40, s42, 64
	s_mov_b32 s41, 0
	s_lshl_b64 s[40:41], s[40:41], 3
	s_add_u32 s40, s36, s40
	v_add_u32_e32 v24, v23, v22
	v_mov_b32_e32 v25, 2
	s_addc_u32 s41, s37, s41
	v_mov_b32_e32 v26, 0
	global_store_dwordx2 v26, v[24:25], s[40:41] sc1
	ds_write_b64 v26, v[22:23] offset:28672
.LBB3501_54:
	s_or_b64 exec, exec, s[38:39]
	s_and_b64 exec, exec, s[20:21]
	s_cbranch_execz .LBB3501_56
; %bb.55:
	v_mov_b32_e32 v22, 0
	ds_write_b32 v22, v23 offset:28
.LBB3501_56:
	s_or_b64 exec, exec, s[0:1]
	v_mov_b32_e32 v22, 0
	s_waitcnt lgkmcnt(0)
	s_barrier
	ds_read_b32 v23, v22 offset:28
	v_cndmask_b32_e64 v24, v45, v34, s[18:19]
	v_cndmask_b32_e64 v24, v24, 0, s[20:21]
	s_waitcnt lgkmcnt(0)
	s_barrier
	v_add_u32_e32 v30, v23, v24
	v_add_u32_e32 v29, v30, v37
	ds_read_b64 v[22:23], v22 offset:28672
	v_add_u32_e32 v28, v29, v38
	v_add_u32_e32 v27, v28, v39
	;; [unrolled: 1-line block ×5, first 2 shown]
	s_waitcnt lgkmcnt(0)
	v_mov_b32_e32 v34, v23
	s_branch .LBB3501_67
.LBB3501_57:
                                        ; implicit-def: $vgpr34
                                        ; implicit-def: $vgpr22
                                        ; implicit-def: $vgpr24
                                        ; implicit-def: $vgpr25
                                        ; implicit-def: $vgpr26
                                        ; implicit-def: $vgpr27
                                        ; implicit-def: $vgpr28
                                        ; implicit-def: $vgpr29
                                        ; implicit-def: $vgpr30
	s_cbranch_execz .LBB3501_67
; %bb.58:
	s_nop 0
	v_mov_b32_dpp v22, v44 row_shr:1 row_mask:0xf bank_mask:0xf
	v_cndmask_b32_e64 v22, v22, 0, s[16:17]
	v_add_u32_e32 v22, v22, v44
	s_nop 1
	v_mov_b32_dpp v23, v22 row_shr:2 row_mask:0xf bank_mask:0xf
	v_cndmask_b32_e64 v23, 0, v23, s[14:15]
	v_add_u32_e32 v22, v22, v23
	;; [unrolled: 4-line block ×4, first 2 shown]
	s_nop 1
	v_mov_b32_dpp v23, v22 row_bcast:15 row_mask:0xf bank_mask:0xf
	v_cndmask_b32_e64 v23, v23, 0, s[8:9]
	v_add_u32_e32 v22, v22, v23
	s_nop 1
	v_mov_b32_dpp v23, v22 row_bcast:31 row_mask:0xf bank_mask:0xf
	v_cndmask_b32_e64 v23, 0, v23, s[4:5]
	v_add_u32_e32 v22, v22, v23
	s_and_saveexec_b64 s[0:1], s[6:7]
	s_cbranch_execz .LBB3501_60
; %bb.59:
	v_lshlrev_b32_e32 v23, 2, v43
	ds_write_b32 v23, v22
.LBB3501_60:
	s_or_b64 exec, exec, s[0:1]
	v_cmp_gt_u32_e32 vcc, 8, v0
	s_waitcnt lgkmcnt(0)
	s_barrier
	s_and_saveexec_b64 s[0:1], vcc
	s_cbranch_execz .LBB3501_62
; %bb.61:
	s_movk_i32 s4, 0xffcc
	v_mad_i32_i24 v23, v0, s4, v35
	ds_read_b32 v24, v23
	v_and_b32_e32 v25, 7, v42
	v_cmp_ne_u32_e32 vcc, 0, v25
	s_waitcnt lgkmcnt(0)
	v_mov_b32_dpp v26, v24 row_shr:1 row_mask:0xf bank_mask:0xf
	v_cndmask_b32_e32 v26, 0, v26, vcc
	v_add_u32_e32 v24, v26, v24
	v_cmp_lt_u32_e32 vcc, 1, v25
	s_nop 0
	v_mov_b32_dpp v26, v24 row_shr:2 row_mask:0xf bank_mask:0xf
	v_cndmask_b32_e32 v26, 0, v26, vcc
	v_add_u32_e32 v24, v24, v26
	v_cmp_lt_u32_e32 vcc, 3, v25
	s_nop 0
	v_mov_b32_dpp v26, v24 row_shr:4 row_mask:0xf bank_mask:0xf
	v_cndmask_b32_e32 v25, 0, v26, vcc
	v_add_u32_e32 v24, v24, v25
	ds_write_b32 v23, v24
.LBB3501_62:
	s_or_b64 exec, exec, s[0:1]
	v_cmp_lt_u32_e32 vcc, 63, v0
	v_mov_b32_e32 v23, 0
	v_mov_b32_e32 v24, 0
	s_waitcnt lgkmcnt(0)
	s_barrier
	s_and_saveexec_b64 s[0:1], vcc
	s_cbranch_execz .LBB3501_64
; %bb.63:
	v_lshl_add_u32 v24, v43, 2, -4
	ds_read_b32 v24, v24
.LBB3501_64:
	s_or_b64 exec, exec, s[0:1]
	v_add_u32_e32 v25, -1, v42
	v_and_b32_e32 v26, 64, v42
	v_cmp_lt_i32_e32 vcc, v25, v26
	s_waitcnt lgkmcnt(0)
	v_add_u32_e32 v22, v24, v22
	v_cndmask_b32_e32 v25, v25, v42, vcc
	v_lshlrev_b32_e32 v25, 2, v25
	ds_bpermute_b32 v25, v25, v22
	ds_read_b32 v22, v23 offset:28
	s_and_saveexec_b64 s[0:1], s[20:21]
	s_cbranch_execz .LBB3501_66
; %bb.65:
	v_mov_b32_e32 v26, 0
	v_mov_b32_e32 v23, 2
	s_waitcnt lgkmcnt(0)
	global_store_dwordx2 v26, v[22:23], s[36:37] offset:512 sc1
.LBB3501_66:
	s_or_b64 exec, exec, s[0:1]
	v_cmp_eq_u32_e32 vcc, 0, v42
	v_mov_b32_e32 v34, 0
	s_waitcnt lgkmcnt(0)
	v_cndmask_b32_e32 v23, v25, v24, vcc
	v_cndmask_b32_e64 v30, v23, 0, s[20:21]
	v_add_u32_e32 v29, v30, v37
	v_add_u32_e32 v28, v29, v38
	;; [unrolled: 1-line block ×6, first 2 shown]
	s_barrier
.LBB3501_67:
	v_add_u32_e32 v1, v22, v1
	v_sub_u32_e32 v30, v30, v34
	v_and_b32_e32 v35, 1, v33
	v_sub_u32_e32 v31, v1, v30
	v_cmp_eq_u32_e32 vcc, 1, v35
	v_lshrrev_b32_e32 v23, 8, v33
	v_and_b32_e32 v23, 1, v23
	v_cndmask_b32_e32 v30, v31, v30, vcc
	v_lshlrev_b32_e32 v30, 3, v30
	ds_write_b64 v30, v[10:11]
	v_sub_u32_e32 v10, v29, v34
	v_sub_u32_e32 v11, v1, v10
	v_add_u32_e32 v11, 1, v11
	v_cmp_eq_u32_e32 vcc, 1, v23
	v_lshl_add_u64 v[14:15], s[30:31], 0, v[14:15]
	v_or_b32_e32 v30, 0x400, v0
	v_cndmask_b32_e32 v10, v11, v10, vcc
	v_lshlrev_b32_e32 v10, 3, v10
	ds_write_b64 v10, v[12:13]
	v_sub_u32_e32 v10, v28, v34
	v_mov_b32_e32 v12, 1
	v_sub_u32_e32 v11, v1, v10
	v_and_b32_sdwa v12, v12, v33 dst_sel:DWORD dst_unused:UNUSED_PAD src0_sel:DWORD src1_sel:WORD_1
	v_add_u32_e32 v11, 2, v11
	v_cmp_eq_u32_e32 vcc, 1, v12
	v_or_b32_e32 v28, 0x600, v0
	s_nop 0
	v_cndmask_b32_e32 v10, v11, v10, vcc
	v_lshlrev_b32_e32 v10, 3, v10
	ds_write_b64 v10, v[6:7]
	v_sub_u32_e32 v6, v27, v34
	v_sub_u32_e32 v7, v1, v6
	v_and_b32_e32 v10, 1, v36
	v_add_u32_e32 v7, 3, v7
	v_cmp_eq_u32_e32 vcc, 1, v10
	s_nop 1
	v_cndmask_b32_e32 v6, v7, v6, vcc
	v_lshlrev_b32_e32 v6, 3, v6
	ds_write_b64 v6, v[8:9]
	v_sub_u32_e32 v6, v26, v34
	v_sub_u32_e32 v7, v1, v6
	v_and_b32_e32 v8, 1, v32
	v_add_u32_e32 v7, 4, v7
	v_cmp_eq_u32_e32 vcc, 1, v8
	v_or_b32_e32 v32, 0x200, v0
	v_or_b32_e32 v26, 0x800, v0
	v_cndmask_b32_e32 v6, v7, v6, vcc
	v_lshlrev_b32_e32 v6, 3, v6
	ds_write_b64 v6, v[2:3]
	v_sub_u32_e32 v2, v25, v34
	v_sub_u32_e32 v3, v1, v2
	v_and_b32_e32 v6, 1, v19
	v_add_u32_e32 v3, 5, v3
	v_cmp_eq_u32_e32 vcc, 1, v6
	s_nop 1
	v_cndmask_b32_e32 v2, v3, v2, vcc
	v_lshlrev_b32_e32 v2, 3, v2
	ds_write_b64 v2, v[4:5]
	v_sub_u32_e32 v2, v24, v34
	v_sub_u32_e32 v1, v1, v2
	v_add_u32_e32 v1, 6, v1
	v_cndmask_b32_e64 v1, v1, v2, s[28:29]
	v_lshlrev_b32_e32 v1, 3, v1
	ds_write_b64 v1, v[20:21]
	v_mov_b32_e32 v1, 0
	s_waitcnt lgkmcnt(0)
	s_barrier
	ds_read2st64_b64 v[10:13], v18 offset1:8
	ds_read2st64_b64 v[6:9], v18 offset0:16 offset1:24
	ds_read2st64_b64 v[2:5], v18 offset0:32 offset1:40
	ds_read_b64 v[18:19], v18 offset:24576
	v_mov_b32_e32 v35, v1
	s_waitcnt vmcnt(0)
	v_lshl_add_u64 v[16:17], v[16:17], 0, v[34:35]
	v_mov_b32_e32 v34, s35
	v_sub_co_u32_e32 v14, vcc, s34, v14
	v_mov_b32_e32 v23, v1
	s_nop 0
	v_subb_co_u32_e32 v15, vcc, v34, v15, vcc
	v_lshl_add_u64 v[14:15], v[14:15], 0, v[22:23]
	v_mov_b32_e32 v33, v1
	v_mov_b32_e32 v31, v1
	;; [unrolled: 1-line block ×4, first 2 shown]
	v_or_b32_e32 v24, 0xa00, v0
	v_mov_b32_e32 v25, v1
	v_or_b32_e32 v20, 0xc00, v0
	v_mov_b32_e32 v21, v1
	s_and_b64 vcc, exec, s[2:3]
	v_lshl_add_u64 v[14:15], v[14:15], 0, v[16:17]
	s_cbranch_vccnz .LBB3501_100
; %bb.68:
	v_cmp_ge_u32_e32 vcc, v0, v22
                                        ; implicit-def: $vgpr34_vgpr35
	s_and_saveexec_b64 s[0:1], vcc
	s_xor_b64 s[0:1], exec, s[0:1]
; %bb.69:
	v_not_b32_e32 v34, v0
	v_ashrrev_i32_e32 v35, 31, v34
	v_lshl_add_u64 v[34:35], v[14:15], 0, v[34:35]
; %bb.70:
	s_andn2_saveexec_b64 s[0:1], s[0:1]
; %bb.71:
	v_lshl_add_u64 v[34:35], v[16:17], 0, v[0:1]
; %bb.72:
	s_or_b64 exec, exec, s[0:1]
	v_lshl_add_u64 v[34:35], v[34:35], 3, s[22:23]
	v_cmp_ge_u32_e32 vcc, v32, v22
	s_waitcnt lgkmcnt(3)
	global_store_dwordx2 v[34:35], v[10:11], off
                                        ; implicit-def: $vgpr34_vgpr35
	s_and_saveexec_b64 s[0:1], vcc
	s_xor_b64 s[0:1], exec, s[0:1]
; %bb.73:
	v_xor_b32_e32 v34, 0xfffffdff, v0
	v_ashrrev_i32_e32 v35, 31, v34
	v_lshl_add_u64 v[34:35], v[14:15], 0, v[34:35]
; %bb.74:
	s_andn2_saveexec_b64 s[0:1], s[0:1]
; %bb.75:
	v_lshl_add_u64 v[34:35], v[16:17], 0, v[32:33]
; %bb.76:
	s_or_b64 exec, exec, s[0:1]
	v_lshl_add_u64 v[34:35], v[34:35], 3, s[22:23]
	v_cmp_ge_u32_e32 vcc, v30, v22
	global_store_dwordx2 v[34:35], v[12:13], off
                                        ; implicit-def: $vgpr34_vgpr35
	s_and_saveexec_b64 s[0:1], vcc
	s_xor_b64 s[0:1], exec, s[0:1]
; %bb.77:
	v_xor_b32_e32 v34, 0xfffffbff, v0
	v_ashrrev_i32_e32 v35, 31, v34
	v_lshl_add_u64 v[34:35], v[14:15], 0, v[34:35]
; %bb.78:
	s_andn2_saveexec_b64 s[0:1], s[0:1]
; %bb.79:
	v_lshl_add_u64 v[34:35], v[16:17], 0, v[30:31]
; %bb.80:
	s_or_b64 exec, exec, s[0:1]
	v_lshl_add_u64 v[34:35], v[34:35], 3, s[22:23]
	v_cmp_ge_u32_e32 vcc, v28, v22
	s_waitcnt lgkmcnt(2)
	global_store_dwordx2 v[34:35], v[6:7], off
                                        ; implicit-def: $vgpr34_vgpr35
	s_and_saveexec_b64 s[0:1], vcc
	s_xor_b64 s[0:1], exec, s[0:1]
; %bb.81:
	v_xor_b32_e32 v34, 0xfffff9ff, v0
	v_ashrrev_i32_e32 v35, 31, v34
	v_lshl_add_u64 v[34:35], v[14:15], 0, v[34:35]
; %bb.82:
	s_andn2_saveexec_b64 s[0:1], s[0:1]
; %bb.83:
	v_lshl_add_u64 v[34:35], v[16:17], 0, v[28:29]
; %bb.84:
	s_or_b64 exec, exec, s[0:1]
	v_lshl_add_u64 v[34:35], v[34:35], 3, s[22:23]
	v_cmp_ge_u32_e32 vcc, v26, v22
	global_store_dwordx2 v[34:35], v[8:9], off
                                        ; implicit-def: $vgpr34_vgpr35
	s_and_saveexec_b64 s[0:1], vcc
	s_xor_b64 s[0:1], exec, s[0:1]
; %bb.85:
	v_xor_b32_e32 v34, 0xfffff7ff, v0
	;; [unrolled: 33-line block ×3, first 2 shown]
	v_ashrrev_i32_e32 v35, 31, v34
	v_lshl_add_u64 v[34:35], v[14:15], 0, v[34:35]
; %bb.94:
	s_andn2_saveexec_b64 s[0:1], s[0:1]
; %bb.95:
	v_lshl_add_u64 v[34:35], v[16:17], 0, v[20:21]
; %bb.96:
	s_or_b64 exec, exec, s[0:1]
	s_mov_b64 s[0:1], -1
.LBB3501_97:
	s_and_saveexec_b64 s[2:3], s[0:1]
	s_cbranch_execz .LBB3501_144
.LBB3501_98:
	v_lshl_add_u64 v[0:1], v[34:35], 3, s[22:23]
	s_waitcnt lgkmcnt(0)
	global_store_dwordx2 v[0:1], v[18:19], off
	s_or_b64 exec, exec, s[2:3]
	s_and_b64 s[0:1], s[20:21], s[26:27]
	s_and_saveexec_b64 s[2:3], s[0:1]
	s_cbranch_execnz .LBB3501_145
.LBB3501_99:
	s_endpgm
.LBB3501_100:
	s_mov_b64 s[0:1], 0
                                        ; implicit-def: $vgpr34_vgpr35
	s_cbranch_execz .LBB3501_97
; %bb.101:
	v_cmp_gt_u32_e32 vcc, s33, v0
	s_and_saveexec_b64 s[2:3], vcc
	s_cbranch_execz .LBB3501_119
; %bb.102:
	v_cmp_ge_u32_e32 vcc, v0, v22
                                        ; implicit-def: $vgpr34_vgpr35
	s_and_saveexec_b64 s[4:5], vcc
	s_xor_b64 s[4:5], exec, s[4:5]
; %bb.103:
	v_not_b32_e32 v34, v0
	v_ashrrev_i32_e32 v35, 31, v34
	v_lshl_add_u64 v[34:35], v[14:15], 0, v[34:35]
; %bb.104:
	s_andn2_saveexec_b64 s[4:5], s[4:5]
; %bb.105:
	v_lshl_add_u64 v[34:35], v[16:17], 0, v[0:1]
; %bb.106:
	s_or_b64 exec, exec, s[4:5]
	v_lshl_add_u64 v[34:35], v[34:35], 3, s[22:23]
	s_waitcnt lgkmcnt(3)
	global_store_dwordx2 v[34:35], v[10:11], off
	s_or_b64 exec, exec, s[2:3]
	v_cmp_gt_u32_e32 vcc, s33, v32
	s_and_saveexec_b64 s[2:3], vcc
	s_cbranch_execnz .LBB3501_120
.LBB3501_107:
	s_or_b64 exec, exec, s[2:3]
	v_cmp_gt_u32_e32 vcc, s33, v30
	s_and_saveexec_b64 s[2:3], vcc
	s_cbranch_execz .LBB3501_125
.LBB3501_108:
	v_cmp_ge_u32_e32 vcc, v30, v22
                                        ; implicit-def: $vgpr10_vgpr11
	s_and_saveexec_b64 s[4:5], vcc
	s_xor_b64 s[4:5], exec, s[4:5]
	s_cbranch_execz .LBB3501_110
; %bb.109:
	s_waitcnt lgkmcnt(3)
	v_xor_b32_e32 v10, 0xfffffbff, v0
	v_ashrrev_i32_e32 v11, 31, v10
	v_lshl_add_u64 v[10:11], v[14:15], 0, v[10:11]
                                        ; implicit-def: $vgpr30_vgpr31
.LBB3501_110:
	s_andn2_saveexec_b64 s[4:5], s[4:5]
	s_cbranch_execz .LBB3501_112
; %bb.111:
	s_waitcnt lgkmcnt(3)
	v_lshl_add_u64 v[10:11], v[16:17], 0, v[30:31]
.LBB3501_112:
	s_or_b64 exec, exec, s[4:5]
	s_waitcnt lgkmcnt(3)
	v_lshl_add_u64 v[10:11], v[10:11], 3, s[22:23]
	s_waitcnt lgkmcnt(2)
	global_store_dwordx2 v[10:11], v[6:7], off
	s_or_b64 exec, exec, s[2:3]
	v_cmp_gt_u32_e32 vcc, s33, v28
	s_and_saveexec_b64 s[2:3], vcc
	s_cbranch_execnz .LBB3501_126
.LBB3501_113:
	s_or_b64 exec, exec, s[2:3]
	v_cmp_gt_u32_e32 vcc, s33, v26
	s_and_saveexec_b64 s[2:3], vcc
	s_cbranch_execz .LBB3501_131
.LBB3501_114:
	v_cmp_ge_u32_e32 vcc, v26, v22
                                        ; implicit-def: $vgpr6_vgpr7
	s_and_saveexec_b64 s[4:5], vcc
	s_xor_b64 s[4:5], exec, s[4:5]
	s_cbranch_execz .LBB3501_116
; %bb.115:
	s_waitcnt lgkmcnt(2)
	v_xor_b32_e32 v6, 0xfffff7ff, v0
	v_ashrrev_i32_e32 v7, 31, v6
	v_lshl_add_u64 v[6:7], v[14:15], 0, v[6:7]
                                        ; implicit-def: $vgpr26_vgpr27
.LBB3501_116:
	s_andn2_saveexec_b64 s[4:5], s[4:5]
	s_cbranch_execz .LBB3501_118
; %bb.117:
	s_waitcnt lgkmcnt(2)
	v_lshl_add_u64 v[6:7], v[16:17], 0, v[26:27]
.LBB3501_118:
	s_or_b64 exec, exec, s[4:5]
	s_waitcnt lgkmcnt(2)
	v_lshl_add_u64 v[6:7], v[6:7], 3, s[22:23]
	s_waitcnt lgkmcnt(1)
	global_store_dwordx2 v[6:7], v[2:3], off
	s_or_b64 exec, exec, s[2:3]
	v_cmp_gt_u32_e32 vcc, s33, v24
	s_and_saveexec_b64 s[2:3], vcc
	s_cbranch_execz .LBB3501_137
	s_branch .LBB3501_132
.LBB3501_119:
	s_or_b64 exec, exec, s[2:3]
	v_cmp_gt_u32_e32 vcc, s33, v32
	s_and_saveexec_b64 s[2:3], vcc
	s_cbranch_execz .LBB3501_107
.LBB3501_120:
	v_cmp_ge_u32_e32 vcc, v32, v22
                                        ; implicit-def: $vgpr10_vgpr11
	s_and_saveexec_b64 s[4:5], vcc
	s_xor_b64 s[4:5], exec, s[4:5]
	s_cbranch_execz .LBB3501_122
; %bb.121:
	s_waitcnt lgkmcnt(3)
	v_xor_b32_e32 v10, 0xfffffdff, v0
	v_ashrrev_i32_e32 v11, 31, v10
	v_lshl_add_u64 v[10:11], v[14:15], 0, v[10:11]
                                        ; implicit-def: $vgpr32_vgpr33
.LBB3501_122:
	s_andn2_saveexec_b64 s[4:5], s[4:5]
	s_cbranch_execz .LBB3501_124
; %bb.123:
	s_waitcnt lgkmcnt(3)
	v_lshl_add_u64 v[10:11], v[16:17], 0, v[32:33]
.LBB3501_124:
	s_or_b64 exec, exec, s[4:5]
	s_waitcnt lgkmcnt(3)
	v_lshl_add_u64 v[10:11], v[10:11], 3, s[22:23]
	global_store_dwordx2 v[10:11], v[12:13], off
	s_or_b64 exec, exec, s[2:3]
	v_cmp_gt_u32_e32 vcc, s33, v30
	s_and_saveexec_b64 s[2:3], vcc
	s_cbranch_execnz .LBB3501_108
.LBB3501_125:
	s_or_b64 exec, exec, s[2:3]
	v_cmp_gt_u32_e32 vcc, s33, v28
	s_and_saveexec_b64 s[2:3], vcc
	s_cbranch_execz .LBB3501_113
.LBB3501_126:
	v_cmp_ge_u32_e32 vcc, v28, v22
                                        ; implicit-def: $vgpr6_vgpr7
	s_and_saveexec_b64 s[4:5], vcc
	s_xor_b64 s[4:5], exec, s[4:5]
	s_cbranch_execz .LBB3501_128
; %bb.127:
	s_waitcnt lgkmcnt(2)
	v_xor_b32_e32 v6, 0xfffff9ff, v0
	v_ashrrev_i32_e32 v7, 31, v6
	v_lshl_add_u64 v[6:7], v[14:15], 0, v[6:7]
                                        ; implicit-def: $vgpr28_vgpr29
.LBB3501_128:
	s_andn2_saveexec_b64 s[4:5], s[4:5]
	s_cbranch_execz .LBB3501_130
; %bb.129:
	s_waitcnt lgkmcnt(2)
	v_lshl_add_u64 v[6:7], v[16:17], 0, v[28:29]
.LBB3501_130:
	s_or_b64 exec, exec, s[4:5]
	s_waitcnt lgkmcnt(2)
	v_lshl_add_u64 v[6:7], v[6:7], 3, s[22:23]
	global_store_dwordx2 v[6:7], v[8:9], off
	s_or_b64 exec, exec, s[2:3]
	v_cmp_gt_u32_e32 vcc, s33, v26
	s_and_saveexec_b64 s[2:3], vcc
	s_cbranch_execnz .LBB3501_114
.LBB3501_131:
	s_or_b64 exec, exec, s[2:3]
	v_cmp_gt_u32_e32 vcc, s33, v24
	s_and_saveexec_b64 s[2:3], vcc
	s_cbranch_execz .LBB3501_137
.LBB3501_132:
	v_cmp_ge_u32_e32 vcc, v24, v22
                                        ; implicit-def: $vgpr2_vgpr3
	s_and_saveexec_b64 s[4:5], vcc
	s_xor_b64 s[4:5], exec, s[4:5]
	s_cbranch_execz .LBB3501_134
; %bb.133:
	s_waitcnt lgkmcnt(1)
	v_xor_b32_e32 v2, 0xfffff5ff, v0
	v_ashrrev_i32_e32 v3, 31, v2
	v_lshl_add_u64 v[2:3], v[14:15], 0, v[2:3]
                                        ; implicit-def: $vgpr24_vgpr25
.LBB3501_134:
	s_andn2_saveexec_b64 s[4:5], s[4:5]
	s_cbranch_execz .LBB3501_136
; %bb.135:
	s_waitcnt lgkmcnt(1)
	v_lshl_add_u64 v[2:3], v[16:17], 0, v[24:25]
.LBB3501_136:
	s_or_b64 exec, exec, s[4:5]
	s_waitcnt lgkmcnt(1)
	v_lshl_add_u64 v[2:3], v[2:3], 3, s[22:23]
	global_store_dwordx2 v[2:3], v[4:5], off
.LBB3501_137:
	s_or_b64 exec, exec, s[2:3]
	v_cmp_gt_u32_e32 vcc, s33, v20
                                        ; implicit-def: $vgpr34_vgpr35
	s_and_saveexec_b64 s[2:3], vcc
	s_cbranch_execz .LBB3501_143
; %bb.138:
	v_cmp_ge_u32_e32 vcc, v20, v22
                                        ; implicit-def: $vgpr34_vgpr35
	s_and_saveexec_b64 s[4:5], vcc
	s_xor_b64 s[4:5], exec, s[4:5]
; %bb.139:
	v_xor_b32_e32 v0, 0xfffff3ff, v0
	v_ashrrev_i32_e32 v1, 31, v0
	v_lshl_add_u64 v[34:35], v[14:15], 0, v[0:1]
                                        ; implicit-def: $vgpr20_vgpr21
; %bb.140:
	s_andn2_saveexec_b64 s[4:5], s[4:5]
; %bb.141:
	v_lshl_add_u64 v[34:35], v[16:17], 0, v[20:21]
; %bb.142:
	s_or_b64 exec, exec, s[4:5]
	s_or_b64 s[0:1], s[0:1], exec
.LBB3501_143:
	s_or_b64 exec, exec, s[2:3]
	s_and_saveexec_b64 s[2:3], s[0:1]
	s_cbranch_execnz .LBB3501_98
.LBB3501_144:
	s_or_b64 exec, exec, s[2:3]
	s_and_b64 s[0:1], s[20:21], s[26:27]
	s_and_saveexec_b64 s[2:3], s[0:1]
	s_cbranch_execz .LBB3501_99
.LBB3501_145:
	s_waitcnt lgkmcnt(1)
	v_mov_b32_e32 v2, 0
	v_lshl_add_u64 v[0:1], v[16:17], 0, v[22:23]
	global_store_dwordx2 v2, v[0:1], s[24:25]
	s_endpgm
	.section	.rodata,"a",@progbits
	.p2align	6, 0x0
	.amdhsa_kernel _ZN7rocprim17ROCPRIM_400000_NS6detail17trampoline_kernelINS0_14default_configENS1_25partition_config_selectorILNS1_17partition_subalgoE3EN6thrust23THRUST_200600_302600_NS5tupleIiiNS7_9null_typeES9_S9_S9_S9_S9_S9_S9_EENS0_10empty_typeEbEEZZNS1_14partition_implILS5_3ELb0ES3_jNS7_6detail15normal_iteratorINS7_7pointerISA_NS7_11hip_rocprim3tagENS7_11use_defaultESJ_EEEEPSB_SM_NS0_5tupleIJPSA_SM_EEENSN_IJSM_SM_EEESB_PlJ10is_orderedEEE10hipError_tPvRmT3_T4_T5_T6_T7_T9_mT8_P12ihipStream_tbDpT10_ENKUlT_T0_E_clISt17integral_constantIbLb1EES1C_EEDaS17_S18_EUlS17_E_NS1_11comp_targetILNS1_3genE5ELNS1_11target_archE942ELNS1_3gpuE9ELNS1_3repE0EEENS1_30default_config_static_selectorELNS0_4arch9wavefront6targetE1EEEvT1_
		.amdhsa_group_segment_fixed_size 28680
		.amdhsa_private_segment_fixed_size 0
		.amdhsa_kernarg_size 136
		.amdhsa_user_sgpr_count 2
		.amdhsa_user_sgpr_dispatch_ptr 0
		.amdhsa_user_sgpr_queue_ptr 0
		.amdhsa_user_sgpr_kernarg_segment_ptr 1
		.amdhsa_user_sgpr_dispatch_id 0
		.amdhsa_user_sgpr_kernarg_preload_length 0
		.amdhsa_user_sgpr_kernarg_preload_offset 0
		.amdhsa_user_sgpr_private_segment_size 0
		.amdhsa_uses_dynamic_stack 0
		.amdhsa_enable_private_segment 0
		.amdhsa_system_sgpr_workgroup_id_x 1
		.amdhsa_system_sgpr_workgroup_id_y 0
		.amdhsa_system_sgpr_workgroup_id_z 0
		.amdhsa_system_sgpr_workgroup_info 0
		.amdhsa_system_vgpr_workitem_id 0
		.amdhsa_next_free_vgpr 60
		.amdhsa_next_free_sgpr 46
		.amdhsa_accum_offset 60
		.amdhsa_reserve_vcc 1
		.amdhsa_float_round_mode_32 0
		.amdhsa_float_round_mode_16_64 0
		.amdhsa_float_denorm_mode_32 3
		.amdhsa_float_denorm_mode_16_64 3
		.amdhsa_dx10_clamp 1
		.amdhsa_ieee_mode 1
		.amdhsa_fp16_overflow 0
		.amdhsa_tg_split 0
		.amdhsa_exception_fp_ieee_invalid_op 0
		.amdhsa_exception_fp_denorm_src 0
		.amdhsa_exception_fp_ieee_div_zero 0
		.amdhsa_exception_fp_ieee_overflow 0
		.amdhsa_exception_fp_ieee_underflow 0
		.amdhsa_exception_fp_ieee_inexact 0
		.amdhsa_exception_int_div_zero 0
	.end_amdhsa_kernel
	.section	.text._ZN7rocprim17ROCPRIM_400000_NS6detail17trampoline_kernelINS0_14default_configENS1_25partition_config_selectorILNS1_17partition_subalgoE3EN6thrust23THRUST_200600_302600_NS5tupleIiiNS7_9null_typeES9_S9_S9_S9_S9_S9_S9_EENS0_10empty_typeEbEEZZNS1_14partition_implILS5_3ELb0ES3_jNS7_6detail15normal_iteratorINS7_7pointerISA_NS7_11hip_rocprim3tagENS7_11use_defaultESJ_EEEEPSB_SM_NS0_5tupleIJPSA_SM_EEENSN_IJSM_SM_EEESB_PlJ10is_orderedEEE10hipError_tPvRmT3_T4_T5_T6_T7_T9_mT8_P12ihipStream_tbDpT10_ENKUlT_T0_E_clISt17integral_constantIbLb1EES1C_EEDaS17_S18_EUlS17_E_NS1_11comp_targetILNS1_3genE5ELNS1_11target_archE942ELNS1_3gpuE9ELNS1_3repE0EEENS1_30default_config_static_selectorELNS0_4arch9wavefront6targetE1EEEvT1_,"axG",@progbits,_ZN7rocprim17ROCPRIM_400000_NS6detail17trampoline_kernelINS0_14default_configENS1_25partition_config_selectorILNS1_17partition_subalgoE3EN6thrust23THRUST_200600_302600_NS5tupleIiiNS7_9null_typeES9_S9_S9_S9_S9_S9_S9_EENS0_10empty_typeEbEEZZNS1_14partition_implILS5_3ELb0ES3_jNS7_6detail15normal_iteratorINS7_7pointerISA_NS7_11hip_rocprim3tagENS7_11use_defaultESJ_EEEEPSB_SM_NS0_5tupleIJPSA_SM_EEENSN_IJSM_SM_EEESB_PlJ10is_orderedEEE10hipError_tPvRmT3_T4_T5_T6_T7_T9_mT8_P12ihipStream_tbDpT10_ENKUlT_T0_E_clISt17integral_constantIbLb1EES1C_EEDaS17_S18_EUlS17_E_NS1_11comp_targetILNS1_3genE5ELNS1_11target_archE942ELNS1_3gpuE9ELNS1_3repE0EEENS1_30default_config_static_selectorELNS0_4arch9wavefront6targetE1EEEvT1_,comdat
.Lfunc_end3501:
	.size	_ZN7rocprim17ROCPRIM_400000_NS6detail17trampoline_kernelINS0_14default_configENS1_25partition_config_selectorILNS1_17partition_subalgoE3EN6thrust23THRUST_200600_302600_NS5tupleIiiNS7_9null_typeES9_S9_S9_S9_S9_S9_S9_EENS0_10empty_typeEbEEZZNS1_14partition_implILS5_3ELb0ES3_jNS7_6detail15normal_iteratorINS7_7pointerISA_NS7_11hip_rocprim3tagENS7_11use_defaultESJ_EEEEPSB_SM_NS0_5tupleIJPSA_SM_EEENSN_IJSM_SM_EEESB_PlJ10is_orderedEEE10hipError_tPvRmT3_T4_T5_T6_T7_T9_mT8_P12ihipStream_tbDpT10_ENKUlT_T0_E_clISt17integral_constantIbLb1EES1C_EEDaS17_S18_EUlS17_E_NS1_11comp_targetILNS1_3genE5ELNS1_11target_archE942ELNS1_3gpuE9ELNS1_3repE0EEENS1_30default_config_static_selectorELNS0_4arch9wavefront6targetE1EEEvT1_, .Lfunc_end3501-_ZN7rocprim17ROCPRIM_400000_NS6detail17trampoline_kernelINS0_14default_configENS1_25partition_config_selectorILNS1_17partition_subalgoE3EN6thrust23THRUST_200600_302600_NS5tupleIiiNS7_9null_typeES9_S9_S9_S9_S9_S9_S9_EENS0_10empty_typeEbEEZZNS1_14partition_implILS5_3ELb0ES3_jNS7_6detail15normal_iteratorINS7_7pointerISA_NS7_11hip_rocprim3tagENS7_11use_defaultESJ_EEEEPSB_SM_NS0_5tupleIJPSA_SM_EEENSN_IJSM_SM_EEESB_PlJ10is_orderedEEE10hipError_tPvRmT3_T4_T5_T6_T7_T9_mT8_P12ihipStream_tbDpT10_ENKUlT_T0_E_clISt17integral_constantIbLb1EES1C_EEDaS17_S18_EUlS17_E_NS1_11comp_targetILNS1_3genE5ELNS1_11target_archE942ELNS1_3gpuE9ELNS1_3repE0EEENS1_30default_config_static_selectorELNS0_4arch9wavefront6targetE1EEEvT1_
                                        ; -- End function
	.section	.AMDGPU.csdata,"",@progbits
; Kernel info:
; codeLenInByte = 5332
; NumSgprs: 52
; NumVgprs: 60
; NumAgprs: 0
; TotalNumVgprs: 60
; ScratchSize: 0
; MemoryBound: 0
; FloatMode: 240
; IeeeMode: 1
; LDSByteSize: 28680 bytes/workgroup (compile time only)
; SGPRBlocks: 6
; VGPRBlocks: 7
; NumSGPRsForWavesPerEU: 52
; NumVGPRsForWavesPerEU: 60
; AccumOffset: 60
; Occupancy: 4
; WaveLimiterHint : 1
; COMPUTE_PGM_RSRC2:SCRATCH_EN: 0
; COMPUTE_PGM_RSRC2:USER_SGPR: 2
; COMPUTE_PGM_RSRC2:TRAP_HANDLER: 0
; COMPUTE_PGM_RSRC2:TGID_X_EN: 1
; COMPUTE_PGM_RSRC2:TGID_Y_EN: 0
; COMPUTE_PGM_RSRC2:TGID_Z_EN: 0
; COMPUTE_PGM_RSRC2:TIDIG_COMP_CNT: 0
; COMPUTE_PGM_RSRC3_GFX90A:ACCUM_OFFSET: 14
; COMPUTE_PGM_RSRC3_GFX90A:TG_SPLIT: 0
	.section	.text._ZN7rocprim17ROCPRIM_400000_NS6detail17trampoline_kernelINS0_14default_configENS1_25partition_config_selectorILNS1_17partition_subalgoE3EN6thrust23THRUST_200600_302600_NS5tupleIiiNS7_9null_typeES9_S9_S9_S9_S9_S9_S9_EENS0_10empty_typeEbEEZZNS1_14partition_implILS5_3ELb0ES3_jNS7_6detail15normal_iteratorINS7_7pointerISA_NS7_11hip_rocprim3tagENS7_11use_defaultESJ_EEEEPSB_SM_NS0_5tupleIJPSA_SM_EEENSN_IJSM_SM_EEESB_PlJ10is_orderedEEE10hipError_tPvRmT3_T4_T5_T6_T7_T9_mT8_P12ihipStream_tbDpT10_ENKUlT_T0_E_clISt17integral_constantIbLb1EES1C_EEDaS17_S18_EUlS17_E_NS1_11comp_targetILNS1_3genE4ELNS1_11target_archE910ELNS1_3gpuE8ELNS1_3repE0EEENS1_30default_config_static_selectorELNS0_4arch9wavefront6targetE1EEEvT1_,"axG",@progbits,_ZN7rocprim17ROCPRIM_400000_NS6detail17trampoline_kernelINS0_14default_configENS1_25partition_config_selectorILNS1_17partition_subalgoE3EN6thrust23THRUST_200600_302600_NS5tupleIiiNS7_9null_typeES9_S9_S9_S9_S9_S9_S9_EENS0_10empty_typeEbEEZZNS1_14partition_implILS5_3ELb0ES3_jNS7_6detail15normal_iteratorINS7_7pointerISA_NS7_11hip_rocprim3tagENS7_11use_defaultESJ_EEEEPSB_SM_NS0_5tupleIJPSA_SM_EEENSN_IJSM_SM_EEESB_PlJ10is_orderedEEE10hipError_tPvRmT3_T4_T5_T6_T7_T9_mT8_P12ihipStream_tbDpT10_ENKUlT_T0_E_clISt17integral_constantIbLb1EES1C_EEDaS17_S18_EUlS17_E_NS1_11comp_targetILNS1_3genE4ELNS1_11target_archE910ELNS1_3gpuE8ELNS1_3repE0EEENS1_30default_config_static_selectorELNS0_4arch9wavefront6targetE1EEEvT1_,comdat
	.protected	_ZN7rocprim17ROCPRIM_400000_NS6detail17trampoline_kernelINS0_14default_configENS1_25partition_config_selectorILNS1_17partition_subalgoE3EN6thrust23THRUST_200600_302600_NS5tupleIiiNS7_9null_typeES9_S9_S9_S9_S9_S9_S9_EENS0_10empty_typeEbEEZZNS1_14partition_implILS5_3ELb0ES3_jNS7_6detail15normal_iteratorINS7_7pointerISA_NS7_11hip_rocprim3tagENS7_11use_defaultESJ_EEEEPSB_SM_NS0_5tupleIJPSA_SM_EEENSN_IJSM_SM_EEESB_PlJ10is_orderedEEE10hipError_tPvRmT3_T4_T5_T6_T7_T9_mT8_P12ihipStream_tbDpT10_ENKUlT_T0_E_clISt17integral_constantIbLb1EES1C_EEDaS17_S18_EUlS17_E_NS1_11comp_targetILNS1_3genE4ELNS1_11target_archE910ELNS1_3gpuE8ELNS1_3repE0EEENS1_30default_config_static_selectorELNS0_4arch9wavefront6targetE1EEEvT1_ ; -- Begin function _ZN7rocprim17ROCPRIM_400000_NS6detail17trampoline_kernelINS0_14default_configENS1_25partition_config_selectorILNS1_17partition_subalgoE3EN6thrust23THRUST_200600_302600_NS5tupleIiiNS7_9null_typeES9_S9_S9_S9_S9_S9_S9_EENS0_10empty_typeEbEEZZNS1_14partition_implILS5_3ELb0ES3_jNS7_6detail15normal_iteratorINS7_7pointerISA_NS7_11hip_rocprim3tagENS7_11use_defaultESJ_EEEEPSB_SM_NS0_5tupleIJPSA_SM_EEENSN_IJSM_SM_EEESB_PlJ10is_orderedEEE10hipError_tPvRmT3_T4_T5_T6_T7_T9_mT8_P12ihipStream_tbDpT10_ENKUlT_T0_E_clISt17integral_constantIbLb1EES1C_EEDaS17_S18_EUlS17_E_NS1_11comp_targetILNS1_3genE4ELNS1_11target_archE910ELNS1_3gpuE8ELNS1_3repE0EEENS1_30default_config_static_selectorELNS0_4arch9wavefront6targetE1EEEvT1_
	.globl	_ZN7rocprim17ROCPRIM_400000_NS6detail17trampoline_kernelINS0_14default_configENS1_25partition_config_selectorILNS1_17partition_subalgoE3EN6thrust23THRUST_200600_302600_NS5tupleIiiNS7_9null_typeES9_S9_S9_S9_S9_S9_S9_EENS0_10empty_typeEbEEZZNS1_14partition_implILS5_3ELb0ES3_jNS7_6detail15normal_iteratorINS7_7pointerISA_NS7_11hip_rocprim3tagENS7_11use_defaultESJ_EEEEPSB_SM_NS0_5tupleIJPSA_SM_EEENSN_IJSM_SM_EEESB_PlJ10is_orderedEEE10hipError_tPvRmT3_T4_T5_T6_T7_T9_mT8_P12ihipStream_tbDpT10_ENKUlT_T0_E_clISt17integral_constantIbLb1EES1C_EEDaS17_S18_EUlS17_E_NS1_11comp_targetILNS1_3genE4ELNS1_11target_archE910ELNS1_3gpuE8ELNS1_3repE0EEENS1_30default_config_static_selectorELNS0_4arch9wavefront6targetE1EEEvT1_
	.p2align	8
	.type	_ZN7rocprim17ROCPRIM_400000_NS6detail17trampoline_kernelINS0_14default_configENS1_25partition_config_selectorILNS1_17partition_subalgoE3EN6thrust23THRUST_200600_302600_NS5tupleIiiNS7_9null_typeES9_S9_S9_S9_S9_S9_S9_EENS0_10empty_typeEbEEZZNS1_14partition_implILS5_3ELb0ES3_jNS7_6detail15normal_iteratorINS7_7pointerISA_NS7_11hip_rocprim3tagENS7_11use_defaultESJ_EEEEPSB_SM_NS0_5tupleIJPSA_SM_EEENSN_IJSM_SM_EEESB_PlJ10is_orderedEEE10hipError_tPvRmT3_T4_T5_T6_T7_T9_mT8_P12ihipStream_tbDpT10_ENKUlT_T0_E_clISt17integral_constantIbLb1EES1C_EEDaS17_S18_EUlS17_E_NS1_11comp_targetILNS1_3genE4ELNS1_11target_archE910ELNS1_3gpuE8ELNS1_3repE0EEENS1_30default_config_static_selectorELNS0_4arch9wavefront6targetE1EEEvT1_,@function
_ZN7rocprim17ROCPRIM_400000_NS6detail17trampoline_kernelINS0_14default_configENS1_25partition_config_selectorILNS1_17partition_subalgoE3EN6thrust23THRUST_200600_302600_NS5tupleIiiNS7_9null_typeES9_S9_S9_S9_S9_S9_S9_EENS0_10empty_typeEbEEZZNS1_14partition_implILS5_3ELb0ES3_jNS7_6detail15normal_iteratorINS7_7pointerISA_NS7_11hip_rocprim3tagENS7_11use_defaultESJ_EEEEPSB_SM_NS0_5tupleIJPSA_SM_EEENSN_IJSM_SM_EEESB_PlJ10is_orderedEEE10hipError_tPvRmT3_T4_T5_T6_T7_T9_mT8_P12ihipStream_tbDpT10_ENKUlT_T0_E_clISt17integral_constantIbLb1EES1C_EEDaS17_S18_EUlS17_E_NS1_11comp_targetILNS1_3genE4ELNS1_11target_archE910ELNS1_3gpuE8ELNS1_3repE0EEENS1_30default_config_static_selectorELNS0_4arch9wavefront6targetE1EEEvT1_: ; @_ZN7rocprim17ROCPRIM_400000_NS6detail17trampoline_kernelINS0_14default_configENS1_25partition_config_selectorILNS1_17partition_subalgoE3EN6thrust23THRUST_200600_302600_NS5tupleIiiNS7_9null_typeES9_S9_S9_S9_S9_S9_S9_EENS0_10empty_typeEbEEZZNS1_14partition_implILS5_3ELb0ES3_jNS7_6detail15normal_iteratorINS7_7pointerISA_NS7_11hip_rocprim3tagENS7_11use_defaultESJ_EEEEPSB_SM_NS0_5tupleIJPSA_SM_EEENSN_IJSM_SM_EEESB_PlJ10is_orderedEEE10hipError_tPvRmT3_T4_T5_T6_T7_T9_mT8_P12ihipStream_tbDpT10_ENKUlT_T0_E_clISt17integral_constantIbLb1EES1C_EEDaS17_S18_EUlS17_E_NS1_11comp_targetILNS1_3genE4ELNS1_11target_archE910ELNS1_3gpuE8ELNS1_3repE0EEENS1_30default_config_static_selectorELNS0_4arch9wavefront6targetE1EEEvT1_
; %bb.0:
	.section	.rodata,"a",@progbits
	.p2align	6, 0x0
	.amdhsa_kernel _ZN7rocprim17ROCPRIM_400000_NS6detail17trampoline_kernelINS0_14default_configENS1_25partition_config_selectorILNS1_17partition_subalgoE3EN6thrust23THRUST_200600_302600_NS5tupleIiiNS7_9null_typeES9_S9_S9_S9_S9_S9_S9_EENS0_10empty_typeEbEEZZNS1_14partition_implILS5_3ELb0ES3_jNS7_6detail15normal_iteratorINS7_7pointerISA_NS7_11hip_rocprim3tagENS7_11use_defaultESJ_EEEEPSB_SM_NS0_5tupleIJPSA_SM_EEENSN_IJSM_SM_EEESB_PlJ10is_orderedEEE10hipError_tPvRmT3_T4_T5_T6_T7_T9_mT8_P12ihipStream_tbDpT10_ENKUlT_T0_E_clISt17integral_constantIbLb1EES1C_EEDaS17_S18_EUlS17_E_NS1_11comp_targetILNS1_3genE4ELNS1_11target_archE910ELNS1_3gpuE8ELNS1_3repE0EEENS1_30default_config_static_selectorELNS0_4arch9wavefront6targetE1EEEvT1_
		.amdhsa_group_segment_fixed_size 0
		.amdhsa_private_segment_fixed_size 0
		.amdhsa_kernarg_size 136
		.amdhsa_user_sgpr_count 2
		.amdhsa_user_sgpr_dispatch_ptr 0
		.amdhsa_user_sgpr_queue_ptr 0
		.amdhsa_user_sgpr_kernarg_segment_ptr 1
		.amdhsa_user_sgpr_dispatch_id 0
		.amdhsa_user_sgpr_kernarg_preload_length 0
		.amdhsa_user_sgpr_kernarg_preload_offset 0
		.amdhsa_user_sgpr_private_segment_size 0
		.amdhsa_uses_dynamic_stack 0
		.amdhsa_enable_private_segment 0
		.amdhsa_system_sgpr_workgroup_id_x 1
		.amdhsa_system_sgpr_workgroup_id_y 0
		.amdhsa_system_sgpr_workgroup_id_z 0
		.amdhsa_system_sgpr_workgroup_info 0
		.amdhsa_system_vgpr_workitem_id 0
		.amdhsa_next_free_vgpr 1
		.amdhsa_next_free_sgpr 0
		.amdhsa_accum_offset 4
		.amdhsa_reserve_vcc 0
		.amdhsa_float_round_mode_32 0
		.amdhsa_float_round_mode_16_64 0
		.amdhsa_float_denorm_mode_32 3
		.amdhsa_float_denorm_mode_16_64 3
		.amdhsa_dx10_clamp 1
		.amdhsa_ieee_mode 1
		.amdhsa_fp16_overflow 0
		.amdhsa_tg_split 0
		.amdhsa_exception_fp_ieee_invalid_op 0
		.amdhsa_exception_fp_denorm_src 0
		.amdhsa_exception_fp_ieee_div_zero 0
		.amdhsa_exception_fp_ieee_overflow 0
		.amdhsa_exception_fp_ieee_underflow 0
		.amdhsa_exception_fp_ieee_inexact 0
		.amdhsa_exception_int_div_zero 0
	.end_amdhsa_kernel
	.section	.text._ZN7rocprim17ROCPRIM_400000_NS6detail17trampoline_kernelINS0_14default_configENS1_25partition_config_selectorILNS1_17partition_subalgoE3EN6thrust23THRUST_200600_302600_NS5tupleIiiNS7_9null_typeES9_S9_S9_S9_S9_S9_S9_EENS0_10empty_typeEbEEZZNS1_14partition_implILS5_3ELb0ES3_jNS7_6detail15normal_iteratorINS7_7pointerISA_NS7_11hip_rocprim3tagENS7_11use_defaultESJ_EEEEPSB_SM_NS0_5tupleIJPSA_SM_EEENSN_IJSM_SM_EEESB_PlJ10is_orderedEEE10hipError_tPvRmT3_T4_T5_T6_T7_T9_mT8_P12ihipStream_tbDpT10_ENKUlT_T0_E_clISt17integral_constantIbLb1EES1C_EEDaS17_S18_EUlS17_E_NS1_11comp_targetILNS1_3genE4ELNS1_11target_archE910ELNS1_3gpuE8ELNS1_3repE0EEENS1_30default_config_static_selectorELNS0_4arch9wavefront6targetE1EEEvT1_,"axG",@progbits,_ZN7rocprim17ROCPRIM_400000_NS6detail17trampoline_kernelINS0_14default_configENS1_25partition_config_selectorILNS1_17partition_subalgoE3EN6thrust23THRUST_200600_302600_NS5tupleIiiNS7_9null_typeES9_S9_S9_S9_S9_S9_S9_EENS0_10empty_typeEbEEZZNS1_14partition_implILS5_3ELb0ES3_jNS7_6detail15normal_iteratorINS7_7pointerISA_NS7_11hip_rocprim3tagENS7_11use_defaultESJ_EEEEPSB_SM_NS0_5tupleIJPSA_SM_EEENSN_IJSM_SM_EEESB_PlJ10is_orderedEEE10hipError_tPvRmT3_T4_T5_T6_T7_T9_mT8_P12ihipStream_tbDpT10_ENKUlT_T0_E_clISt17integral_constantIbLb1EES1C_EEDaS17_S18_EUlS17_E_NS1_11comp_targetILNS1_3genE4ELNS1_11target_archE910ELNS1_3gpuE8ELNS1_3repE0EEENS1_30default_config_static_selectorELNS0_4arch9wavefront6targetE1EEEvT1_,comdat
.Lfunc_end3502:
	.size	_ZN7rocprim17ROCPRIM_400000_NS6detail17trampoline_kernelINS0_14default_configENS1_25partition_config_selectorILNS1_17partition_subalgoE3EN6thrust23THRUST_200600_302600_NS5tupleIiiNS7_9null_typeES9_S9_S9_S9_S9_S9_S9_EENS0_10empty_typeEbEEZZNS1_14partition_implILS5_3ELb0ES3_jNS7_6detail15normal_iteratorINS7_7pointerISA_NS7_11hip_rocprim3tagENS7_11use_defaultESJ_EEEEPSB_SM_NS0_5tupleIJPSA_SM_EEENSN_IJSM_SM_EEESB_PlJ10is_orderedEEE10hipError_tPvRmT3_T4_T5_T6_T7_T9_mT8_P12ihipStream_tbDpT10_ENKUlT_T0_E_clISt17integral_constantIbLb1EES1C_EEDaS17_S18_EUlS17_E_NS1_11comp_targetILNS1_3genE4ELNS1_11target_archE910ELNS1_3gpuE8ELNS1_3repE0EEENS1_30default_config_static_selectorELNS0_4arch9wavefront6targetE1EEEvT1_, .Lfunc_end3502-_ZN7rocprim17ROCPRIM_400000_NS6detail17trampoline_kernelINS0_14default_configENS1_25partition_config_selectorILNS1_17partition_subalgoE3EN6thrust23THRUST_200600_302600_NS5tupleIiiNS7_9null_typeES9_S9_S9_S9_S9_S9_S9_EENS0_10empty_typeEbEEZZNS1_14partition_implILS5_3ELb0ES3_jNS7_6detail15normal_iteratorINS7_7pointerISA_NS7_11hip_rocprim3tagENS7_11use_defaultESJ_EEEEPSB_SM_NS0_5tupleIJPSA_SM_EEENSN_IJSM_SM_EEESB_PlJ10is_orderedEEE10hipError_tPvRmT3_T4_T5_T6_T7_T9_mT8_P12ihipStream_tbDpT10_ENKUlT_T0_E_clISt17integral_constantIbLb1EES1C_EEDaS17_S18_EUlS17_E_NS1_11comp_targetILNS1_3genE4ELNS1_11target_archE910ELNS1_3gpuE8ELNS1_3repE0EEENS1_30default_config_static_selectorELNS0_4arch9wavefront6targetE1EEEvT1_
                                        ; -- End function
	.section	.AMDGPU.csdata,"",@progbits
; Kernel info:
; codeLenInByte = 0
; NumSgprs: 6
; NumVgprs: 0
; NumAgprs: 0
; TotalNumVgprs: 0
; ScratchSize: 0
; MemoryBound: 0
; FloatMode: 240
; IeeeMode: 1
; LDSByteSize: 0 bytes/workgroup (compile time only)
; SGPRBlocks: 0
; VGPRBlocks: 0
; NumSGPRsForWavesPerEU: 6
; NumVGPRsForWavesPerEU: 1
; AccumOffset: 4
; Occupancy: 8
; WaveLimiterHint : 0
; COMPUTE_PGM_RSRC2:SCRATCH_EN: 0
; COMPUTE_PGM_RSRC2:USER_SGPR: 2
; COMPUTE_PGM_RSRC2:TRAP_HANDLER: 0
; COMPUTE_PGM_RSRC2:TGID_X_EN: 1
; COMPUTE_PGM_RSRC2:TGID_Y_EN: 0
; COMPUTE_PGM_RSRC2:TGID_Z_EN: 0
; COMPUTE_PGM_RSRC2:TIDIG_COMP_CNT: 0
; COMPUTE_PGM_RSRC3_GFX90A:ACCUM_OFFSET: 0
; COMPUTE_PGM_RSRC3_GFX90A:TG_SPLIT: 0
	.section	.text._ZN7rocprim17ROCPRIM_400000_NS6detail17trampoline_kernelINS0_14default_configENS1_25partition_config_selectorILNS1_17partition_subalgoE3EN6thrust23THRUST_200600_302600_NS5tupleIiiNS7_9null_typeES9_S9_S9_S9_S9_S9_S9_EENS0_10empty_typeEbEEZZNS1_14partition_implILS5_3ELb0ES3_jNS7_6detail15normal_iteratorINS7_7pointerISA_NS7_11hip_rocprim3tagENS7_11use_defaultESJ_EEEEPSB_SM_NS0_5tupleIJPSA_SM_EEENSN_IJSM_SM_EEESB_PlJ10is_orderedEEE10hipError_tPvRmT3_T4_T5_T6_T7_T9_mT8_P12ihipStream_tbDpT10_ENKUlT_T0_E_clISt17integral_constantIbLb1EES1C_EEDaS17_S18_EUlS17_E_NS1_11comp_targetILNS1_3genE3ELNS1_11target_archE908ELNS1_3gpuE7ELNS1_3repE0EEENS1_30default_config_static_selectorELNS0_4arch9wavefront6targetE1EEEvT1_,"axG",@progbits,_ZN7rocprim17ROCPRIM_400000_NS6detail17trampoline_kernelINS0_14default_configENS1_25partition_config_selectorILNS1_17partition_subalgoE3EN6thrust23THRUST_200600_302600_NS5tupleIiiNS7_9null_typeES9_S9_S9_S9_S9_S9_S9_EENS0_10empty_typeEbEEZZNS1_14partition_implILS5_3ELb0ES3_jNS7_6detail15normal_iteratorINS7_7pointerISA_NS7_11hip_rocprim3tagENS7_11use_defaultESJ_EEEEPSB_SM_NS0_5tupleIJPSA_SM_EEENSN_IJSM_SM_EEESB_PlJ10is_orderedEEE10hipError_tPvRmT3_T4_T5_T6_T7_T9_mT8_P12ihipStream_tbDpT10_ENKUlT_T0_E_clISt17integral_constantIbLb1EES1C_EEDaS17_S18_EUlS17_E_NS1_11comp_targetILNS1_3genE3ELNS1_11target_archE908ELNS1_3gpuE7ELNS1_3repE0EEENS1_30default_config_static_selectorELNS0_4arch9wavefront6targetE1EEEvT1_,comdat
	.protected	_ZN7rocprim17ROCPRIM_400000_NS6detail17trampoline_kernelINS0_14default_configENS1_25partition_config_selectorILNS1_17partition_subalgoE3EN6thrust23THRUST_200600_302600_NS5tupleIiiNS7_9null_typeES9_S9_S9_S9_S9_S9_S9_EENS0_10empty_typeEbEEZZNS1_14partition_implILS5_3ELb0ES3_jNS7_6detail15normal_iteratorINS7_7pointerISA_NS7_11hip_rocprim3tagENS7_11use_defaultESJ_EEEEPSB_SM_NS0_5tupleIJPSA_SM_EEENSN_IJSM_SM_EEESB_PlJ10is_orderedEEE10hipError_tPvRmT3_T4_T5_T6_T7_T9_mT8_P12ihipStream_tbDpT10_ENKUlT_T0_E_clISt17integral_constantIbLb1EES1C_EEDaS17_S18_EUlS17_E_NS1_11comp_targetILNS1_3genE3ELNS1_11target_archE908ELNS1_3gpuE7ELNS1_3repE0EEENS1_30default_config_static_selectorELNS0_4arch9wavefront6targetE1EEEvT1_ ; -- Begin function _ZN7rocprim17ROCPRIM_400000_NS6detail17trampoline_kernelINS0_14default_configENS1_25partition_config_selectorILNS1_17partition_subalgoE3EN6thrust23THRUST_200600_302600_NS5tupleIiiNS7_9null_typeES9_S9_S9_S9_S9_S9_S9_EENS0_10empty_typeEbEEZZNS1_14partition_implILS5_3ELb0ES3_jNS7_6detail15normal_iteratorINS7_7pointerISA_NS7_11hip_rocprim3tagENS7_11use_defaultESJ_EEEEPSB_SM_NS0_5tupleIJPSA_SM_EEENSN_IJSM_SM_EEESB_PlJ10is_orderedEEE10hipError_tPvRmT3_T4_T5_T6_T7_T9_mT8_P12ihipStream_tbDpT10_ENKUlT_T0_E_clISt17integral_constantIbLb1EES1C_EEDaS17_S18_EUlS17_E_NS1_11comp_targetILNS1_3genE3ELNS1_11target_archE908ELNS1_3gpuE7ELNS1_3repE0EEENS1_30default_config_static_selectorELNS0_4arch9wavefront6targetE1EEEvT1_
	.globl	_ZN7rocprim17ROCPRIM_400000_NS6detail17trampoline_kernelINS0_14default_configENS1_25partition_config_selectorILNS1_17partition_subalgoE3EN6thrust23THRUST_200600_302600_NS5tupleIiiNS7_9null_typeES9_S9_S9_S9_S9_S9_S9_EENS0_10empty_typeEbEEZZNS1_14partition_implILS5_3ELb0ES3_jNS7_6detail15normal_iteratorINS7_7pointerISA_NS7_11hip_rocprim3tagENS7_11use_defaultESJ_EEEEPSB_SM_NS0_5tupleIJPSA_SM_EEENSN_IJSM_SM_EEESB_PlJ10is_orderedEEE10hipError_tPvRmT3_T4_T5_T6_T7_T9_mT8_P12ihipStream_tbDpT10_ENKUlT_T0_E_clISt17integral_constantIbLb1EES1C_EEDaS17_S18_EUlS17_E_NS1_11comp_targetILNS1_3genE3ELNS1_11target_archE908ELNS1_3gpuE7ELNS1_3repE0EEENS1_30default_config_static_selectorELNS0_4arch9wavefront6targetE1EEEvT1_
	.p2align	8
	.type	_ZN7rocprim17ROCPRIM_400000_NS6detail17trampoline_kernelINS0_14default_configENS1_25partition_config_selectorILNS1_17partition_subalgoE3EN6thrust23THRUST_200600_302600_NS5tupleIiiNS7_9null_typeES9_S9_S9_S9_S9_S9_S9_EENS0_10empty_typeEbEEZZNS1_14partition_implILS5_3ELb0ES3_jNS7_6detail15normal_iteratorINS7_7pointerISA_NS7_11hip_rocprim3tagENS7_11use_defaultESJ_EEEEPSB_SM_NS0_5tupleIJPSA_SM_EEENSN_IJSM_SM_EEESB_PlJ10is_orderedEEE10hipError_tPvRmT3_T4_T5_T6_T7_T9_mT8_P12ihipStream_tbDpT10_ENKUlT_T0_E_clISt17integral_constantIbLb1EES1C_EEDaS17_S18_EUlS17_E_NS1_11comp_targetILNS1_3genE3ELNS1_11target_archE908ELNS1_3gpuE7ELNS1_3repE0EEENS1_30default_config_static_selectorELNS0_4arch9wavefront6targetE1EEEvT1_,@function
_ZN7rocprim17ROCPRIM_400000_NS6detail17trampoline_kernelINS0_14default_configENS1_25partition_config_selectorILNS1_17partition_subalgoE3EN6thrust23THRUST_200600_302600_NS5tupleIiiNS7_9null_typeES9_S9_S9_S9_S9_S9_S9_EENS0_10empty_typeEbEEZZNS1_14partition_implILS5_3ELb0ES3_jNS7_6detail15normal_iteratorINS7_7pointerISA_NS7_11hip_rocprim3tagENS7_11use_defaultESJ_EEEEPSB_SM_NS0_5tupleIJPSA_SM_EEENSN_IJSM_SM_EEESB_PlJ10is_orderedEEE10hipError_tPvRmT3_T4_T5_T6_T7_T9_mT8_P12ihipStream_tbDpT10_ENKUlT_T0_E_clISt17integral_constantIbLb1EES1C_EEDaS17_S18_EUlS17_E_NS1_11comp_targetILNS1_3genE3ELNS1_11target_archE908ELNS1_3gpuE7ELNS1_3repE0EEENS1_30default_config_static_selectorELNS0_4arch9wavefront6targetE1EEEvT1_: ; @_ZN7rocprim17ROCPRIM_400000_NS6detail17trampoline_kernelINS0_14default_configENS1_25partition_config_selectorILNS1_17partition_subalgoE3EN6thrust23THRUST_200600_302600_NS5tupleIiiNS7_9null_typeES9_S9_S9_S9_S9_S9_S9_EENS0_10empty_typeEbEEZZNS1_14partition_implILS5_3ELb0ES3_jNS7_6detail15normal_iteratorINS7_7pointerISA_NS7_11hip_rocprim3tagENS7_11use_defaultESJ_EEEEPSB_SM_NS0_5tupleIJPSA_SM_EEENSN_IJSM_SM_EEESB_PlJ10is_orderedEEE10hipError_tPvRmT3_T4_T5_T6_T7_T9_mT8_P12ihipStream_tbDpT10_ENKUlT_T0_E_clISt17integral_constantIbLb1EES1C_EEDaS17_S18_EUlS17_E_NS1_11comp_targetILNS1_3genE3ELNS1_11target_archE908ELNS1_3gpuE7ELNS1_3repE0EEENS1_30default_config_static_selectorELNS0_4arch9wavefront6targetE1EEEvT1_
; %bb.0:
	.section	.rodata,"a",@progbits
	.p2align	6, 0x0
	.amdhsa_kernel _ZN7rocprim17ROCPRIM_400000_NS6detail17trampoline_kernelINS0_14default_configENS1_25partition_config_selectorILNS1_17partition_subalgoE3EN6thrust23THRUST_200600_302600_NS5tupleIiiNS7_9null_typeES9_S9_S9_S9_S9_S9_S9_EENS0_10empty_typeEbEEZZNS1_14partition_implILS5_3ELb0ES3_jNS7_6detail15normal_iteratorINS7_7pointerISA_NS7_11hip_rocprim3tagENS7_11use_defaultESJ_EEEEPSB_SM_NS0_5tupleIJPSA_SM_EEENSN_IJSM_SM_EEESB_PlJ10is_orderedEEE10hipError_tPvRmT3_T4_T5_T6_T7_T9_mT8_P12ihipStream_tbDpT10_ENKUlT_T0_E_clISt17integral_constantIbLb1EES1C_EEDaS17_S18_EUlS17_E_NS1_11comp_targetILNS1_3genE3ELNS1_11target_archE908ELNS1_3gpuE7ELNS1_3repE0EEENS1_30default_config_static_selectorELNS0_4arch9wavefront6targetE1EEEvT1_
		.amdhsa_group_segment_fixed_size 0
		.amdhsa_private_segment_fixed_size 0
		.amdhsa_kernarg_size 136
		.amdhsa_user_sgpr_count 2
		.amdhsa_user_sgpr_dispatch_ptr 0
		.amdhsa_user_sgpr_queue_ptr 0
		.amdhsa_user_sgpr_kernarg_segment_ptr 1
		.amdhsa_user_sgpr_dispatch_id 0
		.amdhsa_user_sgpr_kernarg_preload_length 0
		.amdhsa_user_sgpr_kernarg_preload_offset 0
		.amdhsa_user_sgpr_private_segment_size 0
		.amdhsa_uses_dynamic_stack 0
		.amdhsa_enable_private_segment 0
		.amdhsa_system_sgpr_workgroup_id_x 1
		.amdhsa_system_sgpr_workgroup_id_y 0
		.amdhsa_system_sgpr_workgroup_id_z 0
		.amdhsa_system_sgpr_workgroup_info 0
		.amdhsa_system_vgpr_workitem_id 0
		.amdhsa_next_free_vgpr 1
		.amdhsa_next_free_sgpr 0
		.amdhsa_accum_offset 4
		.amdhsa_reserve_vcc 0
		.amdhsa_float_round_mode_32 0
		.amdhsa_float_round_mode_16_64 0
		.amdhsa_float_denorm_mode_32 3
		.amdhsa_float_denorm_mode_16_64 3
		.amdhsa_dx10_clamp 1
		.amdhsa_ieee_mode 1
		.amdhsa_fp16_overflow 0
		.amdhsa_tg_split 0
		.amdhsa_exception_fp_ieee_invalid_op 0
		.amdhsa_exception_fp_denorm_src 0
		.amdhsa_exception_fp_ieee_div_zero 0
		.amdhsa_exception_fp_ieee_overflow 0
		.amdhsa_exception_fp_ieee_underflow 0
		.amdhsa_exception_fp_ieee_inexact 0
		.amdhsa_exception_int_div_zero 0
	.end_amdhsa_kernel
	.section	.text._ZN7rocprim17ROCPRIM_400000_NS6detail17trampoline_kernelINS0_14default_configENS1_25partition_config_selectorILNS1_17partition_subalgoE3EN6thrust23THRUST_200600_302600_NS5tupleIiiNS7_9null_typeES9_S9_S9_S9_S9_S9_S9_EENS0_10empty_typeEbEEZZNS1_14partition_implILS5_3ELb0ES3_jNS7_6detail15normal_iteratorINS7_7pointerISA_NS7_11hip_rocprim3tagENS7_11use_defaultESJ_EEEEPSB_SM_NS0_5tupleIJPSA_SM_EEENSN_IJSM_SM_EEESB_PlJ10is_orderedEEE10hipError_tPvRmT3_T4_T5_T6_T7_T9_mT8_P12ihipStream_tbDpT10_ENKUlT_T0_E_clISt17integral_constantIbLb1EES1C_EEDaS17_S18_EUlS17_E_NS1_11comp_targetILNS1_3genE3ELNS1_11target_archE908ELNS1_3gpuE7ELNS1_3repE0EEENS1_30default_config_static_selectorELNS0_4arch9wavefront6targetE1EEEvT1_,"axG",@progbits,_ZN7rocprim17ROCPRIM_400000_NS6detail17trampoline_kernelINS0_14default_configENS1_25partition_config_selectorILNS1_17partition_subalgoE3EN6thrust23THRUST_200600_302600_NS5tupleIiiNS7_9null_typeES9_S9_S9_S9_S9_S9_S9_EENS0_10empty_typeEbEEZZNS1_14partition_implILS5_3ELb0ES3_jNS7_6detail15normal_iteratorINS7_7pointerISA_NS7_11hip_rocprim3tagENS7_11use_defaultESJ_EEEEPSB_SM_NS0_5tupleIJPSA_SM_EEENSN_IJSM_SM_EEESB_PlJ10is_orderedEEE10hipError_tPvRmT3_T4_T5_T6_T7_T9_mT8_P12ihipStream_tbDpT10_ENKUlT_T0_E_clISt17integral_constantIbLb1EES1C_EEDaS17_S18_EUlS17_E_NS1_11comp_targetILNS1_3genE3ELNS1_11target_archE908ELNS1_3gpuE7ELNS1_3repE0EEENS1_30default_config_static_selectorELNS0_4arch9wavefront6targetE1EEEvT1_,comdat
.Lfunc_end3503:
	.size	_ZN7rocprim17ROCPRIM_400000_NS6detail17trampoline_kernelINS0_14default_configENS1_25partition_config_selectorILNS1_17partition_subalgoE3EN6thrust23THRUST_200600_302600_NS5tupleIiiNS7_9null_typeES9_S9_S9_S9_S9_S9_S9_EENS0_10empty_typeEbEEZZNS1_14partition_implILS5_3ELb0ES3_jNS7_6detail15normal_iteratorINS7_7pointerISA_NS7_11hip_rocprim3tagENS7_11use_defaultESJ_EEEEPSB_SM_NS0_5tupleIJPSA_SM_EEENSN_IJSM_SM_EEESB_PlJ10is_orderedEEE10hipError_tPvRmT3_T4_T5_T6_T7_T9_mT8_P12ihipStream_tbDpT10_ENKUlT_T0_E_clISt17integral_constantIbLb1EES1C_EEDaS17_S18_EUlS17_E_NS1_11comp_targetILNS1_3genE3ELNS1_11target_archE908ELNS1_3gpuE7ELNS1_3repE0EEENS1_30default_config_static_selectorELNS0_4arch9wavefront6targetE1EEEvT1_, .Lfunc_end3503-_ZN7rocprim17ROCPRIM_400000_NS6detail17trampoline_kernelINS0_14default_configENS1_25partition_config_selectorILNS1_17partition_subalgoE3EN6thrust23THRUST_200600_302600_NS5tupleIiiNS7_9null_typeES9_S9_S9_S9_S9_S9_S9_EENS0_10empty_typeEbEEZZNS1_14partition_implILS5_3ELb0ES3_jNS7_6detail15normal_iteratorINS7_7pointerISA_NS7_11hip_rocprim3tagENS7_11use_defaultESJ_EEEEPSB_SM_NS0_5tupleIJPSA_SM_EEENSN_IJSM_SM_EEESB_PlJ10is_orderedEEE10hipError_tPvRmT3_T4_T5_T6_T7_T9_mT8_P12ihipStream_tbDpT10_ENKUlT_T0_E_clISt17integral_constantIbLb1EES1C_EEDaS17_S18_EUlS17_E_NS1_11comp_targetILNS1_3genE3ELNS1_11target_archE908ELNS1_3gpuE7ELNS1_3repE0EEENS1_30default_config_static_selectorELNS0_4arch9wavefront6targetE1EEEvT1_
                                        ; -- End function
	.section	.AMDGPU.csdata,"",@progbits
; Kernel info:
; codeLenInByte = 0
; NumSgprs: 6
; NumVgprs: 0
; NumAgprs: 0
; TotalNumVgprs: 0
; ScratchSize: 0
; MemoryBound: 0
; FloatMode: 240
; IeeeMode: 1
; LDSByteSize: 0 bytes/workgroup (compile time only)
; SGPRBlocks: 0
; VGPRBlocks: 0
; NumSGPRsForWavesPerEU: 6
; NumVGPRsForWavesPerEU: 1
; AccumOffset: 4
; Occupancy: 8
; WaveLimiterHint : 0
; COMPUTE_PGM_RSRC2:SCRATCH_EN: 0
; COMPUTE_PGM_RSRC2:USER_SGPR: 2
; COMPUTE_PGM_RSRC2:TRAP_HANDLER: 0
; COMPUTE_PGM_RSRC2:TGID_X_EN: 1
; COMPUTE_PGM_RSRC2:TGID_Y_EN: 0
; COMPUTE_PGM_RSRC2:TGID_Z_EN: 0
; COMPUTE_PGM_RSRC2:TIDIG_COMP_CNT: 0
; COMPUTE_PGM_RSRC3_GFX90A:ACCUM_OFFSET: 0
; COMPUTE_PGM_RSRC3_GFX90A:TG_SPLIT: 0
	.section	.text._ZN7rocprim17ROCPRIM_400000_NS6detail17trampoline_kernelINS0_14default_configENS1_25partition_config_selectorILNS1_17partition_subalgoE3EN6thrust23THRUST_200600_302600_NS5tupleIiiNS7_9null_typeES9_S9_S9_S9_S9_S9_S9_EENS0_10empty_typeEbEEZZNS1_14partition_implILS5_3ELb0ES3_jNS7_6detail15normal_iteratorINS7_7pointerISA_NS7_11hip_rocprim3tagENS7_11use_defaultESJ_EEEEPSB_SM_NS0_5tupleIJPSA_SM_EEENSN_IJSM_SM_EEESB_PlJ10is_orderedEEE10hipError_tPvRmT3_T4_T5_T6_T7_T9_mT8_P12ihipStream_tbDpT10_ENKUlT_T0_E_clISt17integral_constantIbLb1EES1C_EEDaS17_S18_EUlS17_E_NS1_11comp_targetILNS1_3genE2ELNS1_11target_archE906ELNS1_3gpuE6ELNS1_3repE0EEENS1_30default_config_static_selectorELNS0_4arch9wavefront6targetE1EEEvT1_,"axG",@progbits,_ZN7rocprim17ROCPRIM_400000_NS6detail17trampoline_kernelINS0_14default_configENS1_25partition_config_selectorILNS1_17partition_subalgoE3EN6thrust23THRUST_200600_302600_NS5tupleIiiNS7_9null_typeES9_S9_S9_S9_S9_S9_S9_EENS0_10empty_typeEbEEZZNS1_14partition_implILS5_3ELb0ES3_jNS7_6detail15normal_iteratorINS7_7pointerISA_NS7_11hip_rocprim3tagENS7_11use_defaultESJ_EEEEPSB_SM_NS0_5tupleIJPSA_SM_EEENSN_IJSM_SM_EEESB_PlJ10is_orderedEEE10hipError_tPvRmT3_T4_T5_T6_T7_T9_mT8_P12ihipStream_tbDpT10_ENKUlT_T0_E_clISt17integral_constantIbLb1EES1C_EEDaS17_S18_EUlS17_E_NS1_11comp_targetILNS1_3genE2ELNS1_11target_archE906ELNS1_3gpuE6ELNS1_3repE0EEENS1_30default_config_static_selectorELNS0_4arch9wavefront6targetE1EEEvT1_,comdat
	.protected	_ZN7rocprim17ROCPRIM_400000_NS6detail17trampoline_kernelINS0_14default_configENS1_25partition_config_selectorILNS1_17partition_subalgoE3EN6thrust23THRUST_200600_302600_NS5tupleIiiNS7_9null_typeES9_S9_S9_S9_S9_S9_S9_EENS0_10empty_typeEbEEZZNS1_14partition_implILS5_3ELb0ES3_jNS7_6detail15normal_iteratorINS7_7pointerISA_NS7_11hip_rocprim3tagENS7_11use_defaultESJ_EEEEPSB_SM_NS0_5tupleIJPSA_SM_EEENSN_IJSM_SM_EEESB_PlJ10is_orderedEEE10hipError_tPvRmT3_T4_T5_T6_T7_T9_mT8_P12ihipStream_tbDpT10_ENKUlT_T0_E_clISt17integral_constantIbLb1EES1C_EEDaS17_S18_EUlS17_E_NS1_11comp_targetILNS1_3genE2ELNS1_11target_archE906ELNS1_3gpuE6ELNS1_3repE0EEENS1_30default_config_static_selectorELNS0_4arch9wavefront6targetE1EEEvT1_ ; -- Begin function _ZN7rocprim17ROCPRIM_400000_NS6detail17trampoline_kernelINS0_14default_configENS1_25partition_config_selectorILNS1_17partition_subalgoE3EN6thrust23THRUST_200600_302600_NS5tupleIiiNS7_9null_typeES9_S9_S9_S9_S9_S9_S9_EENS0_10empty_typeEbEEZZNS1_14partition_implILS5_3ELb0ES3_jNS7_6detail15normal_iteratorINS7_7pointerISA_NS7_11hip_rocprim3tagENS7_11use_defaultESJ_EEEEPSB_SM_NS0_5tupleIJPSA_SM_EEENSN_IJSM_SM_EEESB_PlJ10is_orderedEEE10hipError_tPvRmT3_T4_T5_T6_T7_T9_mT8_P12ihipStream_tbDpT10_ENKUlT_T0_E_clISt17integral_constantIbLb1EES1C_EEDaS17_S18_EUlS17_E_NS1_11comp_targetILNS1_3genE2ELNS1_11target_archE906ELNS1_3gpuE6ELNS1_3repE0EEENS1_30default_config_static_selectorELNS0_4arch9wavefront6targetE1EEEvT1_
	.globl	_ZN7rocprim17ROCPRIM_400000_NS6detail17trampoline_kernelINS0_14default_configENS1_25partition_config_selectorILNS1_17partition_subalgoE3EN6thrust23THRUST_200600_302600_NS5tupleIiiNS7_9null_typeES9_S9_S9_S9_S9_S9_S9_EENS0_10empty_typeEbEEZZNS1_14partition_implILS5_3ELb0ES3_jNS7_6detail15normal_iteratorINS7_7pointerISA_NS7_11hip_rocprim3tagENS7_11use_defaultESJ_EEEEPSB_SM_NS0_5tupleIJPSA_SM_EEENSN_IJSM_SM_EEESB_PlJ10is_orderedEEE10hipError_tPvRmT3_T4_T5_T6_T7_T9_mT8_P12ihipStream_tbDpT10_ENKUlT_T0_E_clISt17integral_constantIbLb1EES1C_EEDaS17_S18_EUlS17_E_NS1_11comp_targetILNS1_3genE2ELNS1_11target_archE906ELNS1_3gpuE6ELNS1_3repE0EEENS1_30default_config_static_selectorELNS0_4arch9wavefront6targetE1EEEvT1_
	.p2align	8
	.type	_ZN7rocprim17ROCPRIM_400000_NS6detail17trampoline_kernelINS0_14default_configENS1_25partition_config_selectorILNS1_17partition_subalgoE3EN6thrust23THRUST_200600_302600_NS5tupleIiiNS7_9null_typeES9_S9_S9_S9_S9_S9_S9_EENS0_10empty_typeEbEEZZNS1_14partition_implILS5_3ELb0ES3_jNS7_6detail15normal_iteratorINS7_7pointerISA_NS7_11hip_rocprim3tagENS7_11use_defaultESJ_EEEEPSB_SM_NS0_5tupleIJPSA_SM_EEENSN_IJSM_SM_EEESB_PlJ10is_orderedEEE10hipError_tPvRmT3_T4_T5_T6_T7_T9_mT8_P12ihipStream_tbDpT10_ENKUlT_T0_E_clISt17integral_constantIbLb1EES1C_EEDaS17_S18_EUlS17_E_NS1_11comp_targetILNS1_3genE2ELNS1_11target_archE906ELNS1_3gpuE6ELNS1_3repE0EEENS1_30default_config_static_selectorELNS0_4arch9wavefront6targetE1EEEvT1_,@function
_ZN7rocprim17ROCPRIM_400000_NS6detail17trampoline_kernelINS0_14default_configENS1_25partition_config_selectorILNS1_17partition_subalgoE3EN6thrust23THRUST_200600_302600_NS5tupleIiiNS7_9null_typeES9_S9_S9_S9_S9_S9_S9_EENS0_10empty_typeEbEEZZNS1_14partition_implILS5_3ELb0ES3_jNS7_6detail15normal_iteratorINS7_7pointerISA_NS7_11hip_rocprim3tagENS7_11use_defaultESJ_EEEEPSB_SM_NS0_5tupleIJPSA_SM_EEENSN_IJSM_SM_EEESB_PlJ10is_orderedEEE10hipError_tPvRmT3_T4_T5_T6_T7_T9_mT8_P12ihipStream_tbDpT10_ENKUlT_T0_E_clISt17integral_constantIbLb1EES1C_EEDaS17_S18_EUlS17_E_NS1_11comp_targetILNS1_3genE2ELNS1_11target_archE906ELNS1_3gpuE6ELNS1_3repE0EEENS1_30default_config_static_selectorELNS0_4arch9wavefront6targetE1EEEvT1_: ; @_ZN7rocprim17ROCPRIM_400000_NS6detail17trampoline_kernelINS0_14default_configENS1_25partition_config_selectorILNS1_17partition_subalgoE3EN6thrust23THRUST_200600_302600_NS5tupleIiiNS7_9null_typeES9_S9_S9_S9_S9_S9_S9_EENS0_10empty_typeEbEEZZNS1_14partition_implILS5_3ELb0ES3_jNS7_6detail15normal_iteratorINS7_7pointerISA_NS7_11hip_rocprim3tagENS7_11use_defaultESJ_EEEEPSB_SM_NS0_5tupleIJPSA_SM_EEENSN_IJSM_SM_EEESB_PlJ10is_orderedEEE10hipError_tPvRmT3_T4_T5_T6_T7_T9_mT8_P12ihipStream_tbDpT10_ENKUlT_T0_E_clISt17integral_constantIbLb1EES1C_EEDaS17_S18_EUlS17_E_NS1_11comp_targetILNS1_3genE2ELNS1_11target_archE906ELNS1_3gpuE6ELNS1_3repE0EEENS1_30default_config_static_selectorELNS0_4arch9wavefront6targetE1EEEvT1_
; %bb.0:
	.section	.rodata,"a",@progbits
	.p2align	6, 0x0
	.amdhsa_kernel _ZN7rocprim17ROCPRIM_400000_NS6detail17trampoline_kernelINS0_14default_configENS1_25partition_config_selectorILNS1_17partition_subalgoE3EN6thrust23THRUST_200600_302600_NS5tupleIiiNS7_9null_typeES9_S9_S9_S9_S9_S9_S9_EENS0_10empty_typeEbEEZZNS1_14partition_implILS5_3ELb0ES3_jNS7_6detail15normal_iteratorINS7_7pointerISA_NS7_11hip_rocprim3tagENS7_11use_defaultESJ_EEEEPSB_SM_NS0_5tupleIJPSA_SM_EEENSN_IJSM_SM_EEESB_PlJ10is_orderedEEE10hipError_tPvRmT3_T4_T5_T6_T7_T9_mT8_P12ihipStream_tbDpT10_ENKUlT_T0_E_clISt17integral_constantIbLb1EES1C_EEDaS17_S18_EUlS17_E_NS1_11comp_targetILNS1_3genE2ELNS1_11target_archE906ELNS1_3gpuE6ELNS1_3repE0EEENS1_30default_config_static_selectorELNS0_4arch9wavefront6targetE1EEEvT1_
		.amdhsa_group_segment_fixed_size 0
		.amdhsa_private_segment_fixed_size 0
		.amdhsa_kernarg_size 136
		.amdhsa_user_sgpr_count 2
		.amdhsa_user_sgpr_dispatch_ptr 0
		.amdhsa_user_sgpr_queue_ptr 0
		.amdhsa_user_sgpr_kernarg_segment_ptr 1
		.amdhsa_user_sgpr_dispatch_id 0
		.amdhsa_user_sgpr_kernarg_preload_length 0
		.amdhsa_user_sgpr_kernarg_preload_offset 0
		.amdhsa_user_sgpr_private_segment_size 0
		.amdhsa_uses_dynamic_stack 0
		.amdhsa_enable_private_segment 0
		.amdhsa_system_sgpr_workgroup_id_x 1
		.amdhsa_system_sgpr_workgroup_id_y 0
		.amdhsa_system_sgpr_workgroup_id_z 0
		.amdhsa_system_sgpr_workgroup_info 0
		.amdhsa_system_vgpr_workitem_id 0
		.amdhsa_next_free_vgpr 1
		.amdhsa_next_free_sgpr 0
		.amdhsa_accum_offset 4
		.amdhsa_reserve_vcc 0
		.amdhsa_float_round_mode_32 0
		.amdhsa_float_round_mode_16_64 0
		.amdhsa_float_denorm_mode_32 3
		.amdhsa_float_denorm_mode_16_64 3
		.amdhsa_dx10_clamp 1
		.amdhsa_ieee_mode 1
		.amdhsa_fp16_overflow 0
		.amdhsa_tg_split 0
		.amdhsa_exception_fp_ieee_invalid_op 0
		.amdhsa_exception_fp_denorm_src 0
		.amdhsa_exception_fp_ieee_div_zero 0
		.amdhsa_exception_fp_ieee_overflow 0
		.amdhsa_exception_fp_ieee_underflow 0
		.amdhsa_exception_fp_ieee_inexact 0
		.amdhsa_exception_int_div_zero 0
	.end_amdhsa_kernel
	.section	.text._ZN7rocprim17ROCPRIM_400000_NS6detail17trampoline_kernelINS0_14default_configENS1_25partition_config_selectorILNS1_17partition_subalgoE3EN6thrust23THRUST_200600_302600_NS5tupleIiiNS7_9null_typeES9_S9_S9_S9_S9_S9_S9_EENS0_10empty_typeEbEEZZNS1_14partition_implILS5_3ELb0ES3_jNS7_6detail15normal_iteratorINS7_7pointerISA_NS7_11hip_rocprim3tagENS7_11use_defaultESJ_EEEEPSB_SM_NS0_5tupleIJPSA_SM_EEENSN_IJSM_SM_EEESB_PlJ10is_orderedEEE10hipError_tPvRmT3_T4_T5_T6_T7_T9_mT8_P12ihipStream_tbDpT10_ENKUlT_T0_E_clISt17integral_constantIbLb1EES1C_EEDaS17_S18_EUlS17_E_NS1_11comp_targetILNS1_3genE2ELNS1_11target_archE906ELNS1_3gpuE6ELNS1_3repE0EEENS1_30default_config_static_selectorELNS0_4arch9wavefront6targetE1EEEvT1_,"axG",@progbits,_ZN7rocprim17ROCPRIM_400000_NS6detail17trampoline_kernelINS0_14default_configENS1_25partition_config_selectorILNS1_17partition_subalgoE3EN6thrust23THRUST_200600_302600_NS5tupleIiiNS7_9null_typeES9_S9_S9_S9_S9_S9_S9_EENS0_10empty_typeEbEEZZNS1_14partition_implILS5_3ELb0ES3_jNS7_6detail15normal_iteratorINS7_7pointerISA_NS7_11hip_rocprim3tagENS7_11use_defaultESJ_EEEEPSB_SM_NS0_5tupleIJPSA_SM_EEENSN_IJSM_SM_EEESB_PlJ10is_orderedEEE10hipError_tPvRmT3_T4_T5_T6_T7_T9_mT8_P12ihipStream_tbDpT10_ENKUlT_T0_E_clISt17integral_constantIbLb1EES1C_EEDaS17_S18_EUlS17_E_NS1_11comp_targetILNS1_3genE2ELNS1_11target_archE906ELNS1_3gpuE6ELNS1_3repE0EEENS1_30default_config_static_selectorELNS0_4arch9wavefront6targetE1EEEvT1_,comdat
.Lfunc_end3504:
	.size	_ZN7rocprim17ROCPRIM_400000_NS6detail17trampoline_kernelINS0_14default_configENS1_25partition_config_selectorILNS1_17partition_subalgoE3EN6thrust23THRUST_200600_302600_NS5tupleIiiNS7_9null_typeES9_S9_S9_S9_S9_S9_S9_EENS0_10empty_typeEbEEZZNS1_14partition_implILS5_3ELb0ES3_jNS7_6detail15normal_iteratorINS7_7pointerISA_NS7_11hip_rocprim3tagENS7_11use_defaultESJ_EEEEPSB_SM_NS0_5tupleIJPSA_SM_EEENSN_IJSM_SM_EEESB_PlJ10is_orderedEEE10hipError_tPvRmT3_T4_T5_T6_T7_T9_mT8_P12ihipStream_tbDpT10_ENKUlT_T0_E_clISt17integral_constantIbLb1EES1C_EEDaS17_S18_EUlS17_E_NS1_11comp_targetILNS1_3genE2ELNS1_11target_archE906ELNS1_3gpuE6ELNS1_3repE0EEENS1_30default_config_static_selectorELNS0_4arch9wavefront6targetE1EEEvT1_, .Lfunc_end3504-_ZN7rocprim17ROCPRIM_400000_NS6detail17trampoline_kernelINS0_14default_configENS1_25partition_config_selectorILNS1_17partition_subalgoE3EN6thrust23THRUST_200600_302600_NS5tupleIiiNS7_9null_typeES9_S9_S9_S9_S9_S9_S9_EENS0_10empty_typeEbEEZZNS1_14partition_implILS5_3ELb0ES3_jNS7_6detail15normal_iteratorINS7_7pointerISA_NS7_11hip_rocprim3tagENS7_11use_defaultESJ_EEEEPSB_SM_NS0_5tupleIJPSA_SM_EEENSN_IJSM_SM_EEESB_PlJ10is_orderedEEE10hipError_tPvRmT3_T4_T5_T6_T7_T9_mT8_P12ihipStream_tbDpT10_ENKUlT_T0_E_clISt17integral_constantIbLb1EES1C_EEDaS17_S18_EUlS17_E_NS1_11comp_targetILNS1_3genE2ELNS1_11target_archE906ELNS1_3gpuE6ELNS1_3repE0EEENS1_30default_config_static_selectorELNS0_4arch9wavefront6targetE1EEEvT1_
                                        ; -- End function
	.section	.AMDGPU.csdata,"",@progbits
; Kernel info:
; codeLenInByte = 0
; NumSgprs: 6
; NumVgprs: 0
; NumAgprs: 0
; TotalNumVgprs: 0
; ScratchSize: 0
; MemoryBound: 0
; FloatMode: 240
; IeeeMode: 1
; LDSByteSize: 0 bytes/workgroup (compile time only)
; SGPRBlocks: 0
; VGPRBlocks: 0
; NumSGPRsForWavesPerEU: 6
; NumVGPRsForWavesPerEU: 1
; AccumOffset: 4
; Occupancy: 8
; WaveLimiterHint : 0
; COMPUTE_PGM_RSRC2:SCRATCH_EN: 0
; COMPUTE_PGM_RSRC2:USER_SGPR: 2
; COMPUTE_PGM_RSRC2:TRAP_HANDLER: 0
; COMPUTE_PGM_RSRC2:TGID_X_EN: 1
; COMPUTE_PGM_RSRC2:TGID_Y_EN: 0
; COMPUTE_PGM_RSRC2:TGID_Z_EN: 0
; COMPUTE_PGM_RSRC2:TIDIG_COMP_CNT: 0
; COMPUTE_PGM_RSRC3_GFX90A:ACCUM_OFFSET: 0
; COMPUTE_PGM_RSRC3_GFX90A:TG_SPLIT: 0
	.section	.text._ZN7rocprim17ROCPRIM_400000_NS6detail17trampoline_kernelINS0_14default_configENS1_25partition_config_selectorILNS1_17partition_subalgoE3EN6thrust23THRUST_200600_302600_NS5tupleIiiNS7_9null_typeES9_S9_S9_S9_S9_S9_S9_EENS0_10empty_typeEbEEZZNS1_14partition_implILS5_3ELb0ES3_jNS7_6detail15normal_iteratorINS7_7pointerISA_NS7_11hip_rocprim3tagENS7_11use_defaultESJ_EEEEPSB_SM_NS0_5tupleIJPSA_SM_EEENSN_IJSM_SM_EEESB_PlJ10is_orderedEEE10hipError_tPvRmT3_T4_T5_T6_T7_T9_mT8_P12ihipStream_tbDpT10_ENKUlT_T0_E_clISt17integral_constantIbLb1EES1C_EEDaS17_S18_EUlS17_E_NS1_11comp_targetILNS1_3genE10ELNS1_11target_archE1200ELNS1_3gpuE4ELNS1_3repE0EEENS1_30default_config_static_selectorELNS0_4arch9wavefront6targetE1EEEvT1_,"axG",@progbits,_ZN7rocprim17ROCPRIM_400000_NS6detail17trampoline_kernelINS0_14default_configENS1_25partition_config_selectorILNS1_17partition_subalgoE3EN6thrust23THRUST_200600_302600_NS5tupleIiiNS7_9null_typeES9_S9_S9_S9_S9_S9_S9_EENS0_10empty_typeEbEEZZNS1_14partition_implILS5_3ELb0ES3_jNS7_6detail15normal_iteratorINS7_7pointerISA_NS7_11hip_rocprim3tagENS7_11use_defaultESJ_EEEEPSB_SM_NS0_5tupleIJPSA_SM_EEENSN_IJSM_SM_EEESB_PlJ10is_orderedEEE10hipError_tPvRmT3_T4_T5_T6_T7_T9_mT8_P12ihipStream_tbDpT10_ENKUlT_T0_E_clISt17integral_constantIbLb1EES1C_EEDaS17_S18_EUlS17_E_NS1_11comp_targetILNS1_3genE10ELNS1_11target_archE1200ELNS1_3gpuE4ELNS1_3repE0EEENS1_30default_config_static_selectorELNS0_4arch9wavefront6targetE1EEEvT1_,comdat
	.protected	_ZN7rocprim17ROCPRIM_400000_NS6detail17trampoline_kernelINS0_14default_configENS1_25partition_config_selectorILNS1_17partition_subalgoE3EN6thrust23THRUST_200600_302600_NS5tupleIiiNS7_9null_typeES9_S9_S9_S9_S9_S9_S9_EENS0_10empty_typeEbEEZZNS1_14partition_implILS5_3ELb0ES3_jNS7_6detail15normal_iteratorINS7_7pointerISA_NS7_11hip_rocprim3tagENS7_11use_defaultESJ_EEEEPSB_SM_NS0_5tupleIJPSA_SM_EEENSN_IJSM_SM_EEESB_PlJ10is_orderedEEE10hipError_tPvRmT3_T4_T5_T6_T7_T9_mT8_P12ihipStream_tbDpT10_ENKUlT_T0_E_clISt17integral_constantIbLb1EES1C_EEDaS17_S18_EUlS17_E_NS1_11comp_targetILNS1_3genE10ELNS1_11target_archE1200ELNS1_3gpuE4ELNS1_3repE0EEENS1_30default_config_static_selectorELNS0_4arch9wavefront6targetE1EEEvT1_ ; -- Begin function _ZN7rocprim17ROCPRIM_400000_NS6detail17trampoline_kernelINS0_14default_configENS1_25partition_config_selectorILNS1_17partition_subalgoE3EN6thrust23THRUST_200600_302600_NS5tupleIiiNS7_9null_typeES9_S9_S9_S9_S9_S9_S9_EENS0_10empty_typeEbEEZZNS1_14partition_implILS5_3ELb0ES3_jNS7_6detail15normal_iteratorINS7_7pointerISA_NS7_11hip_rocprim3tagENS7_11use_defaultESJ_EEEEPSB_SM_NS0_5tupleIJPSA_SM_EEENSN_IJSM_SM_EEESB_PlJ10is_orderedEEE10hipError_tPvRmT3_T4_T5_T6_T7_T9_mT8_P12ihipStream_tbDpT10_ENKUlT_T0_E_clISt17integral_constantIbLb1EES1C_EEDaS17_S18_EUlS17_E_NS1_11comp_targetILNS1_3genE10ELNS1_11target_archE1200ELNS1_3gpuE4ELNS1_3repE0EEENS1_30default_config_static_selectorELNS0_4arch9wavefront6targetE1EEEvT1_
	.globl	_ZN7rocprim17ROCPRIM_400000_NS6detail17trampoline_kernelINS0_14default_configENS1_25partition_config_selectorILNS1_17partition_subalgoE3EN6thrust23THRUST_200600_302600_NS5tupleIiiNS7_9null_typeES9_S9_S9_S9_S9_S9_S9_EENS0_10empty_typeEbEEZZNS1_14partition_implILS5_3ELb0ES3_jNS7_6detail15normal_iteratorINS7_7pointerISA_NS7_11hip_rocprim3tagENS7_11use_defaultESJ_EEEEPSB_SM_NS0_5tupleIJPSA_SM_EEENSN_IJSM_SM_EEESB_PlJ10is_orderedEEE10hipError_tPvRmT3_T4_T5_T6_T7_T9_mT8_P12ihipStream_tbDpT10_ENKUlT_T0_E_clISt17integral_constantIbLb1EES1C_EEDaS17_S18_EUlS17_E_NS1_11comp_targetILNS1_3genE10ELNS1_11target_archE1200ELNS1_3gpuE4ELNS1_3repE0EEENS1_30default_config_static_selectorELNS0_4arch9wavefront6targetE1EEEvT1_
	.p2align	8
	.type	_ZN7rocprim17ROCPRIM_400000_NS6detail17trampoline_kernelINS0_14default_configENS1_25partition_config_selectorILNS1_17partition_subalgoE3EN6thrust23THRUST_200600_302600_NS5tupleIiiNS7_9null_typeES9_S9_S9_S9_S9_S9_S9_EENS0_10empty_typeEbEEZZNS1_14partition_implILS5_3ELb0ES3_jNS7_6detail15normal_iteratorINS7_7pointerISA_NS7_11hip_rocprim3tagENS7_11use_defaultESJ_EEEEPSB_SM_NS0_5tupleIJPSA_SM_EEENSN_IJSM_SM_EEESB_PlJ10is_orderedEEE10hipError_tPvRmT3_T4_T5_T6_T7_T9_mT8_P12ihipStream_tbDpT10_ENKUlT_T0_E_clISt17integral_constantIbLb1EES1C_EEDaS17_S18_EUlS17_E_NS1_11comp_targetILNS1_3genE10ELNS1_11target_archE1200ELNS1_3gpuE4ELNS1_3repE0EEENS1_30default_config_static_selectorELNS0_4arch9wavefront6targetE1EEEvT1_,@function
_ZN7rocprim17ROCPRIM_400000_NS6detail17trampoline_kernelINS0_14default_configENS1_25partition_config_selectorILNS1_17partition_subalgoE3EN6thrust23THRUST_200600_302600_NS5tupleIiiNS7_9null_typeES9_S9_S9_S9_S9_S9_S9_EENS0_10empty_typeEbEEZZNS1_14partition_implILS5_3ELb0ES3_jNS7_6detail15normal_iteratorINS7_7pointerISA_NS7_11hip_rocprim3tagENS7_11use_defaultESJ_EEEEPSB_SM_NS0_5tupleIJPSA_SM_EEENSN_IJSM_SM_EEESB_PlJ10is_orderedEEE10hipError_tPvRmT3_T4_T5_T6_T7_T9_mT8_P12ihipStream_tbDpT10_ENKUlT_T0_E_clISt17integral_constantIbLb1EES1C_EEDaS17_S18_EUlS17_E_NS1_11comp_targetILNS1_3genE10ELNS1_11target_archE1200ELNS1_3gpuE4ELNS1_3repE0EEENS1_30default_config_static_selectorELNS0_4arch9wavefront6targetE1EEEvT1_: ; @_ZN7rocprim17ROCPRIM_400000_NS6detail17trampoline_kernelINS0_14default_configENS1_25partition_config_selectorILNS1_17partition_subalgoE3EN6thrust23THRUST_200600_302600_NS5tupleIiiNS7_9null_typeES9_S9_S9_S9_S9_S9_S9_EENS0_10empty_typeEbEEZZNS1_14partition_implILS5_3ELb0ES3_jNS7_6detail15normal_iteratorINS7_7pointerISA_NS7_11hip_rocprim3tagENS7_11use_defaultESJ_EEEEPSB_SM_NS0_5tupleIJPSA_SM_EEENSN_IJSM_SM_EEESB_PlJ10is_orderedEEE10hipError_tPvRmT3_T4_T5_T6_T7_T9_mT8_P12ihipStream_tbDpT10_ENKUlT_T0_E_clISt17integral_constantIbLb1EES1C_EEDaS17_S18_EUlS17_E_NS1_11comp_targetILNS1_3genE10ELNS1_11target_archE1200ELNS1_3gpuE4ELNS1_3repE0EEENS1_30default_config_static_selectorELNS0_4arch9wavefront6targetE1EEEvT1_
; %bb.0:
	.section	.rodata,"a",@progbits
	.p2align	6, 0x0
	.amdhsa_kernel _ZN7rocprim17ROCPRIM_400000_NS6detail17trampoline_kernelINS0_14default_configENS1_25partition_config_selectorILNS1_17partition_subalgoE3EN6thrust23THRUST_200600_302600_NS5tupleIiiNS7_9null_typeES9_S9_S9_S9_S9_S9_S9_EENS0_10empty_typeEbEEZZNS1_14partition_implILS5_3ELb0ES3_jNS7_6detail15normal_iteratorINS7_7pointerISA_NS7_11hip_rocprim3tagENS7_11use_defaultESJ_EEEEPSB_SM_NS0_5tupleIJPSA_SM_EEENSN_IJSM_SM_EEESB_PlJ10is_orderedEEE10hipError_tPvRmT3_T4_T5_T6_T7_T9_mT8_P12ihipStream_tbDpT10_ENKUlT_T0_E_clISt17integral_constantIbLb1EES1C_EEDaS17_S18_EUlS17_E_NS1_11comp_targetILNS1_3genE10ELNS1_11target_archE1200ELNS1_3gpuE4ELNS1_3repE0EEENS1_30default_config_static_selectorELNS0_4arch9wavefront6targetE1EEEvT1_
		.amdhsa_group_segment_fixed_size 0
		.amdhsa_private_segment_fixed_size 0
		.amdhsa_kernarg_size 136
		.amdhsa_user_sgpr_count 2
		.amdhsa_user_sgpr_dispatch_ptr 0
		.amdhsa_user_sgpr_queue_ptr 0
		.amdhsa_user_sgpr_kernarg_segment_ptr 1
		.amdhsa_user_sgpr_dispatch_id 0
		.amdhsa_user_sgpr_kernarg_preload_length 0
		.amdhsa_user_sgpr_kernarg_preload_offset 0
		.amdhsa_user_sgpr_private_segment_size 0
		.amdhsa_uses_dynamic_stack 0
		.amdhsa_enable_private_segment 0
		.amdhsa_system_sgpr_workgroup_id_x 1
		.amdhsa_system_sgpr_workgroup_id_y 0
		.amdhsa_system_sgpr_workgroup_id_z 0
		.amdhsa_system_sgpr_workgroup_info 0
		.amdhsa_system_vgpr_workitem_id 0
		.amdhsa_next_free_vgpr 1
		.amdhsa_next_free_sgpr 0
		.amdhsa_accum_offset 4
		.amdhsa_reserve_vcc 0
		.amdhsa_float_round_mode_32 0
		.amdhsa_float_round_mode_16_64 0
		.amdhsa_float_denorm_mode_32 3
		.amdhsa_float_denorm_mode_16_64 3
		.amdhsa_dx10_clamp 1
		.amdhsa_ieee_mode 1
		.amdhsa_fp16_overflow 0
		.amdhsa_tg_split 0
		.amdhsa_exception_fp_ieee_invalid_op 0
		.amdhsa_exception_fp_denorm_src 0
		.amdhsa_exception_fp_ieee_div_zero 0
		.amdhsa_exception_fp_ieee_overflow 0
		.amdhsa_exception_fp_ieee_underflow 0
		.amdhsa_exception_fp_ieee_inexact 0
		.amdhsa_exception_int_div_zero 0
	.end_amdhsa_kernel
	.section	.text._ZN7rocprim17ROCPRIM_400000_NS6detail17trampoline_kernelINS0_14default_configENS1_25partition_config_selectorILNS1_17partition_subalgoE3EN6thrust23THRUST_200600_302600_NS5tupleIiiNS7_9null_typeES9_S9_S9_S9_S9_S9_S9_EENS0_10empty_typeEbEEZZNS1_14partition_implILS5_3ELb0ES3_jNS7_6detail15normal_iteratorINS7_7pointerISA_NS7_11hip_rocprim3tagENS7_11use_defaultESJ_EEEEPSB_SM_NS0_5tupleIJPSA_SM_EEENSN_IJSM_SM_EEESB_PlJ10is_orderedEEE10hipError_tPvRmT3_T4_T5_T6_T7_T9_mT8_P12ihipStream_tbDpT10_ENKUlT_T0_E_clISt17integral_constantIbLb1EES1C_EEDaS17_S18_EUlS17_E_NS1_11comp_targetILNS1_3genE10ELNS1_11target_archE1200ELNS1_3gpuE4ELNS1_3repE0EEENS1_30default_config_static_selectorELNS0_4arch9wavefront6targetE1EEEvT1_,"axG",@progbits,_ZN7rocprim17ROCPRIM_400000_NS6detail17trampoline_kernelINS0_14default_configENS1_25partition_config_selectorILNS1_17partition_subalgoE3EN6thrust23THRUST_200600_302600_NS5tupleIiiNS7_9null_typeES9_S9_S9_S9_S9_S9_S9_EENS0_10empty_typeEbEEZZNS1_14partition_implILS5_3ELb0ES3_jNS7_6detail15normal_iteratorINS7_7pointerISA_NS7_11hip_rocprim3tagENS7_11use_defaultESJ_EEEEPSB_SM_NS0_5tupleIJPSA_SM_EEENSN_IJSM_SM_EEESB_PlJ10is_orderedEEE10hipError_tPvRmT3_T4_T5_T6_T7_T9_mT8_P12ihipStream_tbDpT10_ENKUlT_T0_E_clISt17integral_constantIbLb1EES1C_EEDaS17_S18_EUlS17_E_NS1_11comp_targetILNS1_3genE10ELNS1_11target_archE1200ELNS1_3gpuE4ELNS1_3repE0EEENS1_30default_config_static_selectorELNS0_4arch9wavefront6targetE1EEEvT1_,comdat
.Lfunc_end3505:
	.size	_ZN7rocprim17ROCPRIM_400000_NS6detail17trampoline_kernelINS0_14default_configENS1_25partition_config_selectorILNS1_17partition_subalgoE3EN6thrust23THRUST_200600_302600_NS5tupleIiiNS7_9null_typeES9_S9_S9_S9_S9_S9_S9_EENS0_10empty_typeEbEEZZNS1_14partition_implILS5_3ELb0ES3_jNS7_6detail15normal_iteratorINS7_7pointerISA_NS7_11hip_rocprim3tagENS7_11use_defaultESJ_EEEEPSB_SM_NS0_5tupleIJPSA_SM_EEENSN_IJSM_SM_EEESB_PlJ10is_orderedEEE10hipError_tPvRmT3_T4_T5_T6_T7_T9_mT8_P12ihipStream_tbDpT10_ENKUlT_T0_E_clISt17integral_constantIbLb1EES1C_EEDaS17_S18_EUlS17_E_NS1_11comp_targetILNS1_3genE10ELNS1_11target_archE1200ELNS1_3gpuE4ELNS1_3repE0EEENS1_30default_config_static_selectorELNS0_4arch9wavefront6targetE1EEEvT1_, .Lfunc_end3505-_ZN7rocprim17ROCPRIM_400000_NS6detail17trampoline_kernelINS0_14default_configENS1_25partition_config_selectorILNS1_17partition_subalgoE3EN6thrust23THRUST_200600_302600_NS5tupleIiiNS7_9null_typeES9_S9_S9_S9_S9_S9_S9_EENS0_10empty_typeEbEEZZNS1_14partition_implILS5_3ELb0ES3_jNS7_6detail15normal_iteratorINS7_7pointerISA_NS7_11hip_rocprim3tagENS7_11use_defaultESJ_EEEEPSB_SM_NS0_5tupleIJPSA_SM_EEENSN_IJSM_SM_EEESB_PlJ10is_orderedEEE10hipError_tPvRmT3_T4_T5_T6_T7_T9_mT8_P12ihipStream_tbDpT10_ENKUlT_T0_E_clISt17integral_constantIbLb1EES1C_EEDaS17_S18_EUlS17_E_NS1_11comp_targetILNS1_3genE10ELNS1_11target_archE1200ELNS1_3gpuE4ELNS1_3repE0EEENS1_30default_config_static_selectorELNS0_4arch9wavefront6targetE1EEEvT1_
                                        ; -- End function
	.section	.AMDGPU.csdata,"",@progbits
; Kernel info:
; codeLenInByte = 0
; NumSgprs: 6
; NumVgprs: 0
; NumAgprs: 0
; TotalNumVgprs: 0
; ScratchSize: 0
; MemoryBound: 0
; FloatMode: 240
; IeeeMode: 1
; LDSByteSize: 0 bytes/workgroup (compile time only)
; SGPRBlocks: 0
; VGPRBlocks: 0
; NumSGPRsForWavesPerEU: 6
; NumVGPRsForWavesPerEU: 1
; AccumOffset: 4
; Occupancy: 8
; WaveLimiterHint : 0
; COMPUTE_PGM_RSRC2:SCRATCH_EN: 0
; COMPUTE_PGM_RSRC2:USER_SGPR: 2
; COMPUTE_PGM_RSRC2:TRAP_HANDLER: 0
; COMPUTE_PGM_RSRC2:TGID_X_EN: 1
; COMPUTE_PGM_RSRC2:TGID_Y_EN: 0
; COMPUTE_PGM_RSRC2:TGID_Z_EN: 0
; COMPUTE_PGM_RSRC2:TIDIG_COMP_CNT: 0
; COMPUTE_PGM_RSRC3_GFX90A:ACCUM_OFFSET: 0
; COMPUTE_PGM_RSRC3_GFX90A:TG_SPLIT: 0
	.section	.text._ZN7rocprim17ROCPRIM_400000_NS6detail17trampoline_kernelINS0_14default_configENS1_25partition_config_selectorILNS1_17partition_subalgoE3EN6thrust23THRUST_200600_302600_NS5tupleIiiNS7_9null_typeES9_S9_S9_S9_S9_S9_S9_EENS0_10empty_typeEbEEZZNS1_14partition_implILS5_3ELb0ES3_jNS7_6detail15normal_iteratorINS7_7pointerISA_NS7_11hip_rocprim3tagENS7_11use_defaultESJ_EEEEPSB_SM_NS0_5tupleIJPSA_SM_EEENSN_IJSM_SM_EEESB_PlJ10is_orderedEEE10hipError_tPvRmT3_T4_T5_T6_T7_T9_mT8_P12ihipStream_tbDpT10_ENKUlT_T0_E_clISt17integral_constantIbLb1EES1C_EEDaS17_S18_EUlS17_E_NS1_11comp_targetILNS1_3genE9ELNS1_11target_archE1100ELNS1_3gpuE3ELNS1_3repE0EEENS1_30default_config_static_selectorELNS0_4arch9wavefront6targetE1EEEvT1_,"axG",@progbits,_ZN7rocprim17ROCPRIM_400000_NS6detail17trampoline_kernelINS0_14default_configENS1_25partition_config_selectorILNS1_17partition_subalgoE3EN6thrust23THRUST_200600_302600_NS5tupleIiiNS7_9null_typeES9_S9_S9_S9_S9_S9_S9_EENS0_10empty_typeEbEEZZNS1_14partition_implILS5_3ELb0ES3_jNS7_6detail15normal_iteratorINS7_7pointerISA_NS7_11hip_rocprim3tagENS7_11use_defaultESJ_EEEEPSB_SM_NS0_5tupleIJPSA_SM_EEENSN_IJSM_SM_EEESB_PlJ10is_orderedEEE10hipError_tPvRmT3_T4_T5_T6_T7_T9_mT8_P12ihipStream_tbDpT10_ENKUlT_T0_E_clISt17integral_constantIbLb1EES1C_EEDaS17_S18_EUlS17_E_NS1_11comp_targetILNS1_3genE9ELNS1_11target_archE1100ELNS1_3gpuE3ELNS1_3repE0EEENS1_30default_config_static_selectorELNS0_4arch9wavefront6targetE1EEEvT1_,comdat
	.protected	_ZN7rocprim17ROCPRIM_400000_NS6detail17trampoline_kernelINS0_14default_configENS1_25partition_config_selectorILNS1_17partition_subalgoE3EN6thrust23THRUST_200600_302600_NS5tupleIiiNS7_9null_typeES9_S9_S9_S9_S9_S9_S9_EENS0_10empty_typeEbEEZZNS1_14partition_implILS5_3ELb0ES3_jNS7_6detail15normal_iteratorINS7_7pointerISA_NS7_11hip_rocprim3tagENS7_11use_defaultESJ_EEEEPSB_SM_NS0_5tupleIJPSA_SM_EEENSN_IJSM_SM_EEESB_PlJ10is_orderedEEE10hipError_tPvRmT3_T4_T5_T6_T7_T9_mT8_P12ihipStream_tbDpT10_ENKUlT_T0_E_clISt17integral_constantIbLb1EES1C_EEDaS17_S18_EUlS17_E_NS1_11comp_targetILNS1_3genE9ELNS1_11target_archE1100ELNS1_3gpuE3ELNS1_3repE0EEENS1_30default_config_static_selectorELNS0_4arch9wavefront6targetE1EEEvT1_ ; -- Begin function _ZN7rocprim17ROCPRIM_400000_NS6detail17trampoline_kernelINS0_14default_configENS1_25partition_config_selectorILNS1_17partition_subalgoE3EN6thrust23THRUST_200600_302600_NS5tupleIiiNS7_9null_typeES9_S9_S9_S9_S9_S9_S9_EENS0_10empty_typeEbEEZZNS1_14partition_implILS5_3ELb0ES3_jNS7_6detail15normal_iteratorINS7_7pointerISA_NS7_11hip_rocprim3tagENS7_11use_defaultESJ_EEEEPSB_SM_NS0_5tupleIJPSA_SM_EEENSN_IJSM_SM_EEESB_PlJ10is_orderedEEE10hipError_tPvRmT3_T4_T5_T6_T7_T9_mT8_P12ihipStream_tbDpT10_ENKUlT_T0_E_clISt17integral_constantIbLb1EES1C_EEDaS17_S18_EUlS17_E_NS1_11comp_targetILNS1_3genE9ELNS1_11target_archE1100ELNS1_3gpuE3ELNS1_3repE0EEENS1_30default_config_static_selectorELNS0_4arch9wavefront6targetE1EEEvT1_
	.globl	_ZN7rocprim17ROCPRIM_400000_NS6detail17trampoline_kernelINS0_14default_configENS1_25partition_config_selectorILNS1_17partition_subalgoE3EN6thrust23THRUST_200600_302600_NS5tupleIiiNS7_9null_typeES9_S9_S9_S9_S9_S9_S9_EENS0_10empty_typeEbEEZZNS1_14partition_implILS5_3ELb0ES3_jNS7_6detail15normal_iteratorINS7_7pointerISA_NS7_11hip_rocprim3tagENS7_11use_defaultESJ_EEEEPSB_SM_NS0_5tupleIJPSA_SM_EEENSN_IJSM_SM_EEESB_PlJ10is_orderedEEE10hipError_tPvRmT3_T4_T5_T6_T7_T9_mT8_P12ihipStream_tbDpT10_ENKUlT_T0_E_clISt17integral_constantIbLb1EES1C_EEDaS17_S18_EUlS17_E_NS1_11comp_targetILNS1_3genE9ELNS1_11target_archE1100ELNS1_3gpuE3ELNS1_3repE0EEENS1_30default_config_static_selectorELNS0_4arch9wavefront6targetE1EEEvT1_
	.p2align	8
	.type	_ZN7rocprim17ROCPRIM_400000_NS6detail17trampoline_kernelINS0_14default_configENS1_25partition_config_selectorILNS1_17partition_subalgoE3EN6thrust23THRUST_200600_302600_NS5tupleIiiNS7_9null_typeES9_S9_S9_S9_S9_S9_S9_EENS0_10empty_typeEbEEZZNS1_14partition_implILS5_3ELb0ES3_jNS7_6detail15normal_iteratorINS7_7pointerISA_NS7_11hip_rocprim3tagENS7_11use_defaultESJ_EEEEPSB_SM_NS0_5tupleIJPSA_SM_EEENSN_IJSM_SM_EEESB_PlJ10is_orderedEEE10hipError_tPvRmT3_T4_T5_T6_T7_T9_mT8_P12ihipStream_tbDpT10_ENKUlT_T0_E_clISt17integral_constantIbLb1EES1C_EEDaS17_S18_EUlS17_E_NS1_11comp_targetILNS1_3genE9ELNS1_11target_archE1100ELNS1_3gpuE3ELNS1_3repE0EEENS1_30default_config_static_selectorELNS0_4arch9wavefront6targetE1EEEvT1_,@function
_ZN7rocprim17ROCPRIM_400000_NS6detail17trampoline_kernelINS0_14default_configENS1_25partition_config_selectorILNS1_17partition_subalgoE3EN6thrust23THRUST_200600_302600_NS5tupleIiiNS7_9null_typeES9_S9_S9_S9_S9_S9_S9_EENS0_10empty_typeEbEEZZNS1_14partition_implILS5_3ELb0ES3_jNS7_6detail15normal_iteratorINS7_7pointerISA_NS7_11hip_rocprim3tagENS7_11use_defaultESJ_EEEEPSB_SM_NS0_5tupleIJPSA_SM_EEENSN_IJSM_SM_EEESB_PlJ10is_orderedEEE10hipError_tPvRmT3_T4_T5_T6_T7_T9_mT8_P12ihipStream_tbDpT10_ENKUlT_T0_E_clISt17integral_constantIbLb1EES1C_EEDaS17_S18_EUlS17_E_NS1_11comp_targetILNS1_3genE9ELNS1_11target_archE1100ELNS1_3gpuE3ELNS1_3repE0EEENS1_30default_config_static_selectorELNS0_4arch9wavefront6targetE1EEEvT1_: ; @_ZN7rocprim17ROCPRIM_400000_NS6detail17trampoline_kernelINS0_14default_configENS1_25partition_config_selectorILNS1_17partition_subalgoE3EN6thrust23THRUST_200600_302600_NS5tupleIiiNS7_9null_typeES9_S9_S9_S9_S9_S9_S9_EENS0_10empty_typeEbEEZZNS1_14partition_implILS5_3ELb0ES3_jNS7_6detail15normal_iteratorINS7_7pointerISA_NS7_11hip_rocprim3tagENS7_11use_defaultESJ_EEEEPSB_SM_NS0_5tupleIJPSA_SM_EEENSN_IJSM_SM_EEESB_PlJ10is_orderedEEE10hipError_tPvRmT3_T4_T5_T6_T7_T9_mT8_P12ihipStream_tbDpT10_ENKUlT_T0_E_clISt17integral_constantIbLb1EES1C_EEDaS17_S18_EUlS17_E_NS1_11comp_targetILNS1_3genE9ELNS1_11target_archE1100ELNS1_3gpuE3ELNS1_3repE0EEENS1_30default_config_static_selectorELNS0_4arch9wavefront6targetE1EEEvT1_
; %bb.0:
	.section	.rodata,"a",@progbits
	.p2align	6, 0x0
	.amdhsa_kernel _ZN7rocprim17ROCPRIM_400000_NS6detail17trampoline_kernelINS0_14default_configENS1_25partition_config_selectorILNS1_17partition_subalgoE3EN6thrust23THRUST_200600_302600_NS5tupleIiiNS7_9null_typeES9_S9_S9_S9_S9_S9_S9_EENS0_10empty_typeEbEEZZNS1_14partition_implILS5_3ELb0ES3_jNS7_6detail15normal_iteratorINS7_7pointerISA_NS7_11hip_rocprim3tagENS7_11use_defaultESJ_EEEEPSB_SM_NS0_5tupleIJPSA_SM_EEENSN_IJSM_SM_EEESB_PlJ10is_orderedEEE10hipError_tPvRmT3_T4_T5_T6_T7_T9_mT8_P12ihipStream_tbDpT10_ENKUlT_T0_E_clISt17integral_constantIbLb1EES1C_EEDaS17_S18_EUlS17_E_NS1_11comp_targetILNS1_3genE9ELNS1_11target_archE1100ELNS1_3gpuE3ELNS1_3repE0EEENS1_30default_config_static_selectorELNS0_4arch9wavefront6targetE1EEEvT1_
		.amdhsa_group_segment_fixed_size 0
		.amdhsa_private_segment_fixed_size 0
		.amdhsa_kernarg_size 136
		.amdhsa_user_sgpr_count 2
		.amdhsa_user_sgpr_dispatch_ptr 0
		.amdhsa_user_sgpr_queue_ptr 0
		.amdhsa_user_sgpr_kernarg_segment_ptr 1
		.amdhsa_user_sgpr_dispatch_id 0
		.amdhsa_user_sgpr_kernarg_preload_length 0
		.amdhsa_user_sgpr_kernarg_preload_offset 0
		.amdhsa_user_sgpr_private_segment_size 0
		.amdhsa_uses_dynamic_stack 0
		.amdhsa_enable_private_segment 0
		.amdhsa_system_sgpr_workgroup_id_x 1
		.amdhsa_system_sgpr_workgroup_id_y 0
		.amdhsa_system_sgpr_workgroup_id_z 0
		.amdhsa_system_sgpr_workgroup_info 0
		.amdhsa_system_vgpr_workitem_id 0
		.amdhsa_next_free_vgpr 1
		.amdhsa_next_free_sgpr 0
		.amdhsa_accum_offset 4
		.amdhsa_reserve_vcc 0
		.amdhsa_float_round_mode_32 0
		.amdhsa_float_round_mode_16_64 0
		.amdhsa_float_denorm_mode_32 3
		.amdhsa_float_denorm_mode_16_64 3
		.amdhsa_dx10_clamp 1
		.amdhsa_ieee_mode 1
		.amdhsa_fp16_overflow 0
		.amdhsa_tg_split 0
		.amdhsa_exception_fp_ieee_invalid_op 0
		.amdhsa_exception_fp_denorm_src 0
		.amdhsa_exception_fp_ieee_div_zero 0
		.amdhsa_exception_fp_ieee_overflow 0
		.amdhsa_exception_fp_ieee_underflow 0
		.amdhsa_exception_fp_ieee_inexact 0
		.amdhsa_exception_int_div_zero 0
	.end_amdhsa_kernel
	.section	.text._ZN7rocprim17ROCPRIM_400000_NS6detail17trampoline_kernelINS0_14default_configENS1_25partition_config_selectorILNS1_17partition_subalgoE3EN6thrust23THRUST_200600_302600_NS5tupleIiiNS7_9null_typeES9_S9_S9_S9_S9_S9_S9_EENS0_10empty_typeEbEEZZNS1_14partition_implILS5_3ELb0ES3_jNS7_6detail15normal_iteratorINS7_7pointerISA_NS7_11hip_rocprim3tagENS7_11use_defaultESJ_EEEEPSB_SM_NS0_5tupleIJPSA_SM_EEENSN_IJSM_SM_EEESB_PlJ10is_orderedEEE10hipError_tPvRmT3_T4_T5_T6_T7_T9_mT8_P12ihipStream_tbDpT10_ENKUlT_T0_E_clISt17integral_constantIbLb1EES1C_EEDaS17_S18_EUlS17_E_NS1_11comp_targetILNS1_3genE9ELNS1_11target_archE1100ELNS1_3gpuE3ELNS1_3repE0EEENS1_30default_config_static_selectorELNS0_4arch9wavefront6targetE1EEEvT1_,"axG",@progbits,_ZN7rocprim17ROCPRIM_400000_NS6detail17trampoline_kernelINS0_14default_configENS1_25partition_config_selectorILNS1_17partition_subalgoE3EN6thrust23THRUST_200600_302600_NS5tupleIiiNS7_9null_typeES9_S9_S9_S9_S9_S9_S9_EENS0_10empty_typeEbEEZZNS1_14partition_implILS5_3ELb0ES3_jNS7_6detail15normal_iteratorINS7_7pointerISA_NS7_11hip_rocprim3tagENS7_11use_defaultESJ_EEEEPSB_SM_NS0_5tupleIJPSA_SM_EEENSN_IJSM_SM_EEESB_PlJ10is_orderedEEE10hipError_tPvRmT3_T4_T5_T6_T7_T9_mT8_P12ihipStream_tbDpT10_ENKUlT_T0_E_clISt17integral_constantIbLb1EES1C_EEDaS17_S18_EUlS17_E_NS1_11comp_targetILNS1_3genE9ELNS1_11target_archE1100ELNS1_3gpuE3ELNS1_3repE0EEENS1_30default_config_static_selectorELNS0_4arch9wavefront6targetE1EEEvT1_,comdat
.Lfunc_end3506:
	.size	_ZN7rocprim17ROCPRIM_400000_NS6detail17trampoline_kernelINS0_14default_configENS1_25partition_config_selectorILNS1_17partition_subalgoE3EN6thrust23THRUST_200600_302600_NS5tupleIiiNS7_9null_typeES9_S9_S9_S9_S9_S9_S9_EENS0_10empty_typeEbEEZZNS1_14partition_implILS5_3ELb0ES3_jNS7_6detail15normal_iteratorINS7_7pointerISA_NS7_11hip_rocprim3tagENS7_11use_defaultESJ_EEEEPSB_SM_NS0_5tupleIJPSA_SM_EEENSN_IJSM_SM_EEESB_PlJ10is_orderedEEE10hipError_tPvRmT3_T4_T5_T6_T7_T9_mT8_P12ihipStream_tbDpT10_ENKUlT_T0_E_clISt17integral_constantIbLb1EES1C_EEDaS17_S18_EUlS17_E_NS1_11comp_targetILNS1_3genE9ELNS1_11target_archE1100ELNS1_3gpuE3ELNS1_3repE0EEENS1_30default_config_static_selectorELNS0_4arch9wavefront6targetE1EEEvT1_, .Lfunc_end3506-_ZN7rocprim17ROCPRIM_400000_NS6detail17trampoline_kernelINS0_14default_configENS1_25partition_config_selectorILNS1_17partition_subalgoE3EN6thrust23THRUST_200600_302600_NS5tupleIiiNS7_9null_typeES9_S9_S9_S9_S9_S9_S9_EENS0_10empty_typeEbEEZZNS1_14partition_implILS5_3ELb0ES3_jNS7_6detail15normal_iteratorINS7_7pointerISA_NS7_11hip_rocprim3tagENS7_11use_defaultESJ_EEEEPSB_SM_NS0_5tupleIJPSA_SM_EEENSN_IJSM_SM_EEESB_PlJ10is_orderedEEE10hipError_tPvRmT3_T4_T5_T6_T7_T9_mT8_P12ihipStream_tbDpT10_ENKUlT_T0_E_clISt17integral_constantIbLb1EES1C_EEDaS17_S18_EUlS17_E_NS1_11comp_targetILNS1_3genE9ELNS1_11target_archE1100ELNS1_3gpuE3ELNS1_3repE0EEENS1_30default_config_static_selectorELNS0_4arch9wavefront6targetE1EEEvT1_
                                        ; -- End function
	.section	.AMDGPU.csdata,"",@progbits
; Kernel info:
; codeLenInByte = 0
; NumSgprs: 6
; NumVgprs: 0
; NumAgprs: 0
; TotalNumVgprs: 0
; ScratchSize: 0
; MemoryBound: 0
; FloatMode: 240
; IeeeMode: 1
; LDSByteSize: 0 bytes/workgroup (compile time only)
; SGPRBlocks: 0
; VGPRBlocks: 0
; NumSGPRsForWavesPerEU: 6
; NumVGPRsForWavesPerEU: 1
; AccumOffset: 4
; Occupancy: 8
; WaveLimiterHint : 0
; COMPUTE_PGM_RSRC2:SCRATCH_EN: 0
; COMPUTE_PGM_RSRC2:USER_SGPR: 2
; COMPUTE_PGM_RSRC2:TRAP_HANDLER: 0
; COMPUTE_PGM_RSRC2:TGID_X_EN: 1
; COMPUTE_PGM_RSRC2:TGID_Y_EN: 0
; COMPUTE_PGM_RSRC2:TGID_Z_EN: 0
; COMPUTE_PGM_RSRC2:TIDIG_COMP_CNT: 0
; COMPUTE_PGM_RSRC3_GFX90A:ACCUM_OFFSET: 0
; COMPUTE_PGM_RSRC3_GFX90A:TG_SPLIT: 0
	.section	.text._ZN7rocprim17ROCPRIM_400000_NS6detail17trampoline_kernelINS0_14default_configENS1_25partition_config_selectorILNS1_17partition_subalgoE3EN6thrust23THRUST_200600_302600_NS5tupleIiiNS7_9null_typeES9_S9_S9_S9_S9_S9_S9_EENS0_10empty_typeEbEEZZNS1_14partition_implILS5_3ELb0ES3_jNS7_6detail15normal_iteratorINS7_7pointerISA_NS7_11hip_rocprim3tagENS7_11use_defaultESJ_EEEEPSB_SM_NS0_5tupleIJPSA_SM_EEENSN_IJSM_SM_EEESB_PlJ10is_orderedEEE10hipError_tPvRmT3_T4_T5_T6_T7_T9_mT8_P12ihipStream_tbDpT10_ENKUlT_T0_E_clISt17integral_constantIbLb1EES1C_EEDaS17_S18_EUlS17_E_NS1_11comp_targetILNS1_3genE8ELNS1_11target_archE1030ELNS1_3gpuE2ELNS1_3repE0EEENS1_30default_config_static_selectorELNS0_4arch9wavefront6targetE1EEEvT1_,"axG",@progbits,_ZN7rocprim17ROCPRIM_400000_NS6detail17trampoline_kernelINS0_14default_configENS1_25partition_config_selectorILNS1_17partition_subalgoE3EN6thrust23THRUST_200600_302600_NS5tupleIiiNS7_9null_typeES9_S9_S9_S9_S9_S9_S9_EENS0_10empty_typeEbEEZZNS1_14partition_implILS5_3ELb0ES3_jNS7_6detail15normal_iteratorINS7_7pointerISA_NS7_11hip_rocprim3tagENS7_11use_defaultESJ_EEEEPSB_SM_NS0_5tupleIJPSA_SM_EEENSN_IJSM_SM_EEESB_PlJ10is_orderedEEE10hipError_tPvRmT3_T4_T5_T6_T7_T9_mT8_P12ihipStream_tbDpT10_ENKUlT_T0_E_clISt17integral_constantIbLb1EES1C_EEDaS17_S18_EUlS17_E_NS1_11comp_targetILNS1_3genE8ELNS1_11target_archE1030ELNS1_3gpuE2ELNS1_3repE0EEENS1_30default_config_static_selectorELNS0_4arch9wavefront6targetE1EEEvT1_,comdat
	.protected	_ZN7rocprim17ROCPRIM_400000_NS6detail17trampoline_kernelINS0_14default_configENS1_25partition_config_selectorILNS1_17partition_subalgoE3EN6thrust23THRUST_200600_302600_NS5tupleIiiNS7_9null_typeES9_S9_S9_S9_S9_S9_S9_EENS0_10empty_typeEbEEZZNS1_14partition_implILS5_3ELb0ES3_jNS7_6detail15normal_iteratorINS7_7pointerISA_NS7_11hip_rocprim3tagENS7_11use_defaultESJ_EEEEPSB_SM_NS0_5tupleIJPSA_SM_EEENSN_IJSM_SM_EEESB_PlJ10is_orderedEEE10hipError_tPvRmT3_T4_T5_T6_T7_T9_mT8_P12ihipStream_tbDpT10_ENKUlT_T0_E_clISt17integral_constantIbLb1EES1C_EEDaS17_S18_EUlS17_E_NS1_11comp_targetILNS1_3genE8ELNS1_11target_archE1030ELNS1_3gpuE2ELNS1_3repE0EEENS1_30default_config_static_selectorELNS0_4arch9wavefront6targetE1EEEvT1_ ; -- Begin function _ZN7rocprim17ROCPRIM_400000_NS6detail17trampoline_kernelINS0_14default_configENS1_25partition_config_selectorILNS1_17partition_subalgoE3EN6thrust23THRUST_200600_302600_NS5tupleIiiNS7_9null_typeES9_S9_S9_S9_S9_S9_S9_EENS0_10empty_typeEbEEZZNS1_14partition_implILS5_3ELb0ES3_jNS7_6detail15normal_iteratorINS7_7pointerISA_NS7_11hip_rocprim3tagENS7_11use_defaultESJ_EEEEPSB_SM_NS0_5tupleIJPSA_SM_EEENSN_IJSM_SM_EEESB_PlJ10is_orderedEEE10hipError_tPvRmT3_T4_T5_T6_T7_T9_mT8_P12ihipStream_tbDpT10_ENKUlT_T0_E_clISt17integral_constantIbLb1EES1C_EEDaS17_S18_EUlS17_E_NS1_11comp_targetILNS1_3genE8ELNS1_11target_archE1030ELNS1_3gpuE2ELNS1_3repE0EEENS1_30default_config_static_selectorELNS0_4arch9wavefront6targetE1EEEvT1_
	.globl	_ZN7rocprim17ROCPRIM_400000_NS6detail17trampoline_kernelINS0_14default_configENS1_25partition_config_selectorILNS1_17partition_subalgoE3EN6thrust23THRUST_200600_302600_NS5tupleIiiNS7_9null_typeES9_S9_S9_S9_S9_S9_S9_EENS0_10empty_typeEbEEZZNS1_14partition_implILS5_3ELb0ES3_jNS7_6detail15normal_iteratorINS7_7pointerISA_NS7_11hip_rocprim3tagENS7_11use_defaultESJ_EEEEPSB_SM_NS0_5tupleIJPSA_SM_EEENSN_IJSM_SM_EEESB_PlJ10is_orderedEEE10hipError_tPvRmT3_T4_T5_T6_T7_T9_mT8_P12ihipStream_tbDpT10_ENKUlT_T0_E_clISt17integral_constantIbLb1EES1C_EEDaS17_S18_EUlS17_E_NS1_11comp_targetILNS1_3genE8ELNS1_11target_archE1030ELNS1_3gpuE2ELNS1_3repE0EEENS1_30default_config_static_selectorELNS0_4arch9wavefront6targetE1EEEvT1_
	.p2align	8
	.type	_ZN7rocprim17ROCPRIM_400000_NS6detail17trampoline_kernelINS0_14default_configENS1_25partition_config_selectorILNS1_17partition_subalgoE3EN6thrust23THRUST_200600_302600_NS5tupleIiiNS7_9null_typeES9_S9_S9_S9_S9_S9_S9_EENS0_10empty_typeEbEEZZNS1_14partition_implILS5_3ELb0ES3_jNS7_6detail15normal_iteratorINS7_7pointerISA_NS7_11hip_rocprim3tagENS7_11use_defaultESJ_EEEEPSB_SM_NS0_5tupleIJPSA_SM_EEENSN_IJSM_SM_EEESB_PlJ10is_orderedEEE10hipError_tPvRmT3_T4_T5_T6_T7_T9_mT8_P12ihipStream_tbDpT10_ENKUlT_T0_E_clISt17integral_constantIbLb1EES1C_EEDaS17_S18_EUlS17_E_NS1_11comp_targetILNS1_3genE8ELNS1_11target_archE1030ELNS1_3gpuE2ELNS1_3repE0EEENS1_30default_config_static_selectorELNS0_4arch9wavefront6targetE1EEEvT1_,@function
_ZN7rocprim17ROCPRIM_400000_NS6detail17trampoline_kernelINS0_14default_configENS1_25partition_config_selectorILNS1_17partition_subalgoE3EN6thrust23THRUST_200600_302600_NS5tupleIiiNS7_9null_typeES9_S9_S9_S9_S9_S9_S9_EENS0_10empty_typeEbEEZZNS1_14partition_implILS5_3ELb0ES3_jNS7_6detail15normal_iteratorINS7_7pointerISA_NS7_11hip_rocprim3tagENS7_11use_defaultESJ_EEEEPSB_SM_NS0_5tupleIJPSA_SM_EEENSN_IJSM_SM_EEESB_PlJ10is_orderedEEE10hipError_tPvRmT3_T4_T5_T6_T7_T9_mT8_P12ihipStream_tbDpT10_ENKUlT_T0_E_clISt17integral_constantIbLb1EES1C_EEDaS17_S18_EUlS17_E_NS1_11comp_targetILNS1_3genE8ELNS1_11target_archE1030ELNS1_3gpuE2ELNS1_3repE0EEENS1_30default_config_static_selectorELNS0_4arch9wavefront6targetE1EEEvT1_: ; @_ZN7rocprim17ROCPRIM_400000_NS6detail17trampoline_kernelINS0_14default_configENS1_25partition_config_selectorILNS1_17partition_subalgoE3EN6thrust23THRUST_200600_302600_NS5tupleIiiNS7_9null_typeES9_S9_S9_S9_S9_S9_S9_EENS0_10empty_typeEbEEZZNS1_14partition_implILS5_3ELb0ES3_jNS7_6detail15normal_iteratorINS7_7pointerISA_NS7_11hip_rocprim3tagENS7_11use_defaultESJ_EEEEPSB_SM_NS0_5tupleIJPSA_SM_EEENSN_IJSM_SM_EEESB_PlJ10is_orderedEEE10hipError_tPvRmT3_T4_T5_T6_T7_T9_mT8_P12ihipStream_tbDpT10_ENKUlT_T0_E_clISt17integral_constantIbLb1EES1C_EEDaS17_S18_EUlS17_E_NS1_11comp_targetILNS1_3genE8ELNS1_11target_archE1030ELNS1_3gpuE2ELNS1_3repE0EEENS1_30default_config_static_selectorELNS0_4arch9wavefront6targetE1EEEvT1_
; %bb.0:
	.section	.rodata,"a",@progbits
	.p2align	6, 0x0
	.amdhsa_kernel _ZN7rocprim17ROCPRIM_400000_NS6detail17trampoline_kernelINS0_14default_configENS1_25partition_config_selectorILNS1_17partition_subalgoE3EN6thrust23THRUST_200600_302600_NS5tupleIiiNS7_9null_typeES9_S9_S9_S9_S9_S9_S9_EENS0_10empty_typeEbEEZZNS1_14partition_implILS5_3ELb0ES3_jNS7_6detail15normal_iteratorINS7_7pointerISA_NS7_11hip_rocprim3tagENS7_11use_defaultESJ_EEEEPSB_SM_NS0_5tupleIJPSA_SM_EEENSN_IJSM_SM_EEESB_PlJ10is_orderedEEE10hipError_tPvRmT3_T4_T5_T6_T7_T9_mT8_P12ihipStream_tbDpT10_ENKUlT_T0_E_clISt17integral_constantIbLb1EES1C_EEDaS17_S18_EUlS17_E_NS1_11comp_targetILNS1_3genE8ELNS1_11target_archE1030ELNS1_3gpuE2ELNS1_3repE0EEENS1_30default_config_static_selectorELNS0_4arch9wavefront6targetE1EEEvT1_
		.amdhsa_group_segment_fixed_size 0
		.amdhsa_private_segment_fixed_size 0
		.amdhsa_kernarg_size 136
		.amdhsa_user_sgpr_count 2
		.amdhsa_user_sgpr_dispatch_ptr 0
		.amdhsa_user_sgpr_queue_ptr 0
		.amdhsa_user_sgpr_kernarg_segment_ptr 1
		.amdhsa_user_sgpr_dispatch_id 0
		.amdhsa_user_sgpr_kernarg_preload_length 0
		.amdhsa_user_sgpr_kernarg_preload_offset 0
		.amdhsa_user_sgpr_private_segment_size 0
		.amdhsa_uses_dynamic_stack 0
		.amdhsa_enable_private_segment 0
		.amdhsa_system_sgpr_workgroup_id_x 1
		.amdhsa_system_sgpr_workgroup_id_y 0
		.amdhsa_system_sgpr_workgroup_id_z 0
		.amdhsa_system_sgpr_workgroup_info 0
		.amdhsa_system_vgpr_workitem_id 0
		.amdhsa_next_free_vgpr 1
		.amdhsa_next_free_sgpr 0
		.amdhsa_accum_offset 4
		.amdhsa_reserve_vcc 0
		.amdhsa_float_round_mode_32 0
		.amdhsa_float_round_mode_16_64 0
		.amdhsa_float_denorm_mode_32 3
		.amdhsa_float_denorm_mode_16_64 3
		.amdhsa_dx10_clamp 1
		.amdhsa_ieee_mode 1
		.amdhsa_fp16_overflow 0
		.amdhsa_tg_split 0
		.amdhsa_exception_fp_ieee_invalid_op 0
		.amdhsa_exception_fp_denorm_src 0
		.amdhsa_exception_fp_ieee_div_zero 0
		.amdhsa_exception_fp_ieee_overflow 0
		.amdhsa_exception_fp_ieee_underflow 0
		.amdhsa_exception_fp_ieee_inexact 0
		.amdhsa_exception_int_div_zero 0
	.end_amdhsa_kernel
	.section	.text._ZN7rocprim17ROCPRIM_400000_NS6detail17trampoline_kernelINS0_14default_configENS1_25partition_config_selectorILNS1_17partition_subalgoE3EN6thrust23THRUST_200600_302600_NS5tupleIiiNS7_9null_typeES9_S9_S9_S9_S9_S9_S9_EENS0_10empty_typeEbEEZZNS1_14partition_implILS5_3ELb0ES3_jNS7_6detail15normal_iteratorINS7_7pointerISA_NS7_11hip_rocprim3tagENS7_11use_defaultESJ_EEEEPSB_SM_NS0_5tupleIJPSA_SM_EEENSN_IJSM_SM_EEESB_PlJ10is_orderedEEE10hipError_tPvRmT3_T4_T5_T6_T7_T9_mT8_P12ihipStream_tbDpT10_ENKUlT_T0_E_clISt17integral_constantIbLb1EES1C_EEDaS17_S18_EUlS17_E_NS1_11comp_targetILNS1_3genE8ELNS1_11target_archE1030ELNS1_3gpuE2ELNS1_3repE0EEENS1_30default_config_static_selectorELNS0_4arch9wavefront6targetE1EEEvT1_,"axG",@progbits,_ZN7rocprim17ROCPRIM_400000_NS6detail17trampoline_kernelINS0_14default_configENS1_25partition_config_selectorILNS1_17partition_subalgoE3EN6thrust23THRUST_200600_302600_NS5tupleIiiNS7_9null_typeES9_S9_S9_S9_S9_S9_S9_EENS0_10empty_typeEbEEZZNS1_14partition_implILS5_3ELb0ES3_jNS7_6detail15normal_iteratorINS7_7pointerISA_NS7_11hip_rocprim3tagENS7_11use_defaultESJ_EEEEPSB_SM_NS0_5tupleIJPSA_SM_EEENSN_IJSM_SM_EEESB_PlJ10is_orderedEEE10hipError_tPvRmT3_T4_T5_T6_T7_T9_mT8_P12ihipStream_tbDpT10_ENKUlT_T0_E_clISt17integral_constantIbLb1EES1C_EEDaS17_S18_EUlS17_E_NS1_11comp_targetILNS1_3genE8ELNS1_11target_archE1030ELNS1_3gpuE2ELNS1_3repE0EEENS1_30default_config_static_selectorELNS0_4arch9wavefront6targetE1EEEvT1_,comdat
.Lfunc_end3507:
	.size	_ZN7rocprim17ROCPRIM_400000_NS6detail17trampoline_kernelINS0_14default_configENS1_25partition_config_selectorILNS1_17partition_subalgoE3EN6thrust23THRUST_200600_302600_NS5tupleIiiNS7_9null_typeES9_S9_S9_S9_S9_S9_S9_EENS0_10empty_typeEbEEZZNS1_14partition_implILS5_3ELb0ES3_jNS7_6detail15normal_iteratorINS7_7pointerISA_NS7_11hip_rocprim3tagENS7_11use_defaultESJ_EEEEPSB_SM_NS0_5tupleIJPSA_SM_EEENSN_IJSM_SM_EEESB_PlJ10is_orderedEEE10hipError_tPvRmT3_T4_T5_T6_T7_T9_mT8_P12ihipStream_tbDpT10_ENKUlT_T0_E_clISt17integral_constantIbLb1EES1C_EEDaS17_S18_EUlS17_E_NS1_11comp_targetILNS1_3genE8ELNS1_11target_archE1030ELNS1_3gpuE2ELNS1_3repE0EEENS1_30default_config_static_selectorELNS0_4arch9wavefront6targetE1EEEvT1_, .Lfunc_end3507-_ZN7rocprim17ROCPRIM_400000_NS6detail17trampoline_kernelINS0_14default_configENS1_25partition_config_selectorILNS1_17partition_subalgoE3EN6thrust23THRUST_200600_302600_NS5tupleIiiNS7_9null_typeES9_S9_S9_S9_S9_S9_S9_EENS0_10empty_typeEbEEZZNS1_14partition_implILS5_3ELb0ES3_jNS7_6detail15normal_iteratorINS7_7pointerISA_NS7_11hip_rocprim3tagENS7_11use_defaultESJ_EEEEPSB_SM_NS0_5tupleIJPSA_SM_EEENSN_IJSM_SM_EEESB_PlJ10is_orderedEEE10hipError_tPvRmT3_T4_T5_T6_T7_T9_mT8_P12ihipStream_tbDpT10_ENKUlT_T0_E_clISt17integral_constantIbLb1EES1C_EEDaS17_S18_EUlS17_E_NS1_11comp_targetILNS1_3genE8ELNS1_11target_archE1030ELNS1_3gpuE2ELNS1_3repE0EEENS1_30default_config_static_selectorELNS0_4arch9wavefront6targetE1EEEvT1_
                                        ; -- End function
	.section	.AMDGPU.csdata,"",@progbits
; Kernel info:
; codeLenInByte = 0
; NumSgprs: 6
; NumVgprs: 0
; NumAgprs: 0
; TotalNumVgprs: 0
; ScratchSize: 0
; MemoryBound: 0
; FloatMode: 240
; IeeeMode: 1
; LDSByteSize: 0 bytes/workgroup (compile time only)
; SGPRBlocks: 0
; VGPRBlocks: 0
; NumSGPRsForWavesPerEU: 6
; NumVGPRsForWavesPerEU: 1
; AccumOffset: 4
; Occupancy: 8
; WaveLimiterHint : 0
; COMPUTE_PGM_RSRC2:SCRATCH_EN: 0
; COMPUTE_PGM_RSRC2:USER_SGPR: 2
; COMPUTE_PGM_RSRC2:TRAP_HANDLER: 0
; COMPUTE_PGM_RSRC2:TGID_X_EN: 1
; COMPUTE_PGM_RSRC2:TGID_Y_EN: 0
; COMPUTE_PGM_RSRC2:TGID_Z_EN: 0
; COMPUTE_PGM_RSRC2:TIDIG_COMP_CNT: 0
; COMPUTE_PGM_RSRC3_GFX90A:ACCUM_OFFSET: 0
; COMPUTE_PGM_RSRC3_GFX90A:TG_SPLIT: 0
	.section	.text._ZN7rocprim17ROCPRIM_400000_NS6detail17trampoline_kernelINS0_14default_configENS1_25partition_config_selectorILNS1_17partition_subalgoE3EN6thrust23THRUST_200600_302600_NS5tupleIiiNS7_9null_typeES9_S9_S9_S9_S9_S9_S9_EENS0_10empty_typeEbEEZZNS1_14partition_implILS5_3ELb0ES3_jNS7_6detail15normal_iteratorINS7_7pointerISA_NS7_11hip_rocprim3tagENS7_11use_defaultESJ_EEEEPSB_SM_NS0_5tupleIJPSA_SM_EEENSN_IJSM_SM_EEESB_PlJ10is_orderedEEE10hipError_tPvRmT3_T4_T5_T6_T7_T9_mT8_P12ihipStream_tbDpT10_ENKUlT_T0_E_clISt17integral_constantIbLb1EES1B_IbLb0EEEEDaS17_S18_EUlS17_E_NS1_11comp_targetILNS1_3genE0ELNS1_11target_archE4294967295ELNS1_3gpuE0ELNS1_3repE0EEENS1_30default_config_static_selectorELNS0_4arch9wavefront6targetE1EEEvT1_,"axG",@progbits,_ZN7rocprim17ROCPRIM_400000_NS6detail17trampoline_kernelINS0_14default_configENS1_25partition_config_selectorILNS1_17partition_subalgoE3EN6thrust23THRUST_200600_302600_NS5tupleIiiNS7_9null_typeES9_S9_S9_S9_S9_S9_S9_EENS0_10empty_typeEbEEZZNS1_14partition_implILS5_3ELb0ES3_jNS7_6detail15normal_iteratorINS7_7pointerISA_NS7_11hip_rocprim3tagENS7_11use_defaultESJ_EEEEPSB_SM_NS0_5tupleIJPSA_SM_EEENSN_IJSM_SM_EEESB_PlJ10is_orderedEEE10hipError_tPvRmT3_T4_T5_T6_T7_T9_mT8_P12ihipStream_tbDpT10_ENKUlT_T0_E_clISt17integral_constantIbLb1EES1B_IbLb0EEEEDaS17_S18_EUlS17_E_NS1_11comp_targetILNS1_3genE0ELNS1_11target_archE4294967295ELNS1_3gpuE0ELNS1_3repE0EEENS1_30default_config_static_selectorELNS0_4arch9wavefront6targetE1EEEvT1_,comdat
	.protected	_ZN7rocprim17ROCPRIM_400000_NS6detail17trampoline_kernelINS0_14default_configENS1_25partition_config_selectorILNS1_17partition_subalgoE3EN6thrust23THRUST_200600_302600_NS5tupleIiiNS7_9null_typeES9_S9_S9_S9_S9_S9_S9_EENS0_10empty_typeEbEEZZNS1_14partition_implILS5_3ELb0ES3_jNS7_6detail15normal_iteratorINS7_7pointerISA_NS7_11hip_rocprim3tagENS7_11use_defaultESJ_EEEEPSB_SM_NS0_5tupleIJPSA_SM_EEENSN_IJSM_SM_EEESB_PlJ10is_orderedEEE10hipError_tPvRmT3_T4_T5_T6_T7_T9_mT8_P12ihipStream_tbDpT10_ENKUlT_T0_E_clISt17integral_constantIbLb1EES1B_IbLb0EEEEDaS17_S18_EUlS17_E_NS1_11comp_targetILNS1_3genE0ELNS1_11target_archE4294967295ELNS1_3gpuE0ELNS1_3repE0EEENS1_30default_config_static_selectorELNS0_4arch9wavefront6targetE1EEEvT1_ ; -- Begin function _ZN7rocprim17ROCPRIM_400000_NS6detail17trampoline_kernelINS0_14default_configENS1_25partition_config_selectorILNS1_17partition_subalgoE3EN6thrust23THRUST_200600_302600_NS5tupleIiiNS7_9null_typeES9_S9_S9_S9_S9_S9_S9_EENS0_10empty_typeEbEEZZNS1_14partition_implILS5_3ELb0ES3_jNS7_6detail15normal_iteratorINS7_7pointerISA_NS7_11hip_rocprim3tagENS7_11use_defaultESJ_EEEEPSB_SM_NS0_5tupleIJPSA_SM_EEENSN_IJSM_SM_EEESB_PlJ10is_orderedEEE10hipError_tPvRmT3_T4_T5_T6_T7_T9_mT8_P12ihipStream_tbDpT10_ENKUlT_T0_E_clISt17integral_constantIbLb1EES1B_IbLb0EEEEDaS17_S18_EUlS17_E_NS1_11comp_targetILNS1_3genE0ELNS1_11target_archE4294967295ELNS1_3gpuE0ELNS1_3repE0EEENS1_30default_config_static_selectorELNS0_4arch9wavefront6targetE1EEEvT1_
	.globl	_ZN7rocprim17ROCPRIM_400000_NS6detail17trampoline_kernelINS0_14default_configENS1_25partition_config_selectorILNS1_17partition_subalgoE3EN6thrust23THRUST_200600_302600_NS5tupleIiiNS7_9null_typeES9_S9_S9_S9_S9_S9_S9_EENS0_10empty_typeEbEEZZNS1_14partition_implILS5_3ELb0ES3_jNS7_6detail15normal_iteratorINS7_7pointerISA_NS7_11hip_rocprim3tagENS7_11use_defaultESJ_EEEEPSB_SM_NS0_5tupleIJPSA_SM_EEENSN_IJSM_SM_EEESB_PlJ10is_orderedEEE10hipError_tPvRmT3_T4_T5_T6_T7_T9_mT8_P12ihipStream_tbDpT10_ENKUlT_T0_E_clISt17integral_constantIbLb1EES1B_IbLb0EEEEDaS17_S18_EUlS17_E_NS1_11comp_targetILNS1_3genE0ELNS1_11target_archE4294967295ELNS1_3gpuE0ELNS1_3repE0EEENS1_30default_config_static_selectorELNS0_4arch9wavefront6targetE1EEEvT1_
	.p2align	8
	.type	_ZN7rocprim17ROCPRIM_400000_NS6detail17trampoline_kernelINS0_14default_configENS1_25partition_config_selectorILNS1_17partition_subalgoE3EN6thrust23THRUST_200600_302600_NS5tupleIiiNS7_9null_typeES9_S9_S9_S9_S9_S9_S9_EENS0_10empty_typeEbEEZZNS1_14partition_implILS5_3ELb0ES3_jNS7_6detail15normal_iteratorINS7_7pointerISA_NS7_11hip_rocprim3tagENS7_11use_defaultESJ_EEEEPSB_SM_NS0_5tupleIJPSA_SM_EEENSN_IJSM_SM_EEESB_PlJ10is_orderedEEE10hipError_tPvRmT3_T4_T5_T6_T7_T9_mT8_P12ihipStream_tbDpT10_ENKUlT_T0_E_clISt17integral_constantIbLb1EES1B_IbLb0EEEEDaS17_S18_EUlS17_E_NS1_11comp_targetILNS1_3genE0ELNS1_11target_archE4294967295ELNS1_3gpuE0ELNS1_3repE0EEENS1_30default_config_static_selectorELNS0_4arch9wavefront6targetE1EEEvT1_,@function
_ZN7rocprim17ROCPRIM_400000_NS6detail17trampoline_kernelINS0_14default_configENS1_25partition_config_selectorILNS1_17partition_subalgoE3EN6thrust23THRUST_200600_302600_NS5tupleIiiNS7_9null_typeES9_S9_S9_S9_S9_S9_S9_EENS0_10empty_typeEbEEZZNS1_14partition_implILS5_3ELb0ES3_jNS7_6detail15normal_iteratorINS7_7pointerISA_NS7_11hip_rocprim3tagENS7_11use_defaultESJ_EEEEPSB_SM_NS0_5tupleIJPSA_SM_EEENSN_IJSM_SM_EEESB_PlJ10is_orderedEEE10hipError_tPvRmT3_T4_T5_T6_T7_T9_mT8_P12ihipStream_tbDpT10_ENKUlT_T0_E_clISt17integral_constantIbLb1EES1B_IbLb0EEEEDaS17_S18_EUlS17_E_NS1_11comp_targetILNS1_3genE0ELNS1_11target_archE4294967295ELNS1_3gpuE0ELNS1_3repE0EEENS1_30default_config_static_selectorELNS0_4arch9wavefront6targetE1EEEvT1_: ; @_ZN7rocprim17ROCPRIM_400000_NS6detail17trampoline_kernelINS0_14default_configENS1_25partition_config_selectorILNS1_17partition_subalgoE3EN6thrust23THRUST_200600_302600_NS5tupleIiiNS7_9null_typeES9_S9_S9_S9_S9_S9_S9_EENS0_10empty_typeEbEEZZNS1_14partition_implILS5_3ELb0ES3_jNS7_6detail15normal_iteratorINS7_7pointerISA_NS7_11hip_rocprim3tagENS7_11use_defaultESJ_EEEEPSB_SM_NS0_5tupleIJPSA_SM_EEENSN_IJSM_SM_EEESB_PlJ10is_orderedEEE10hipError_tPvRmT3_T4_T5_T6_T7_T9_mT8_P12ihipStream_tbDpT10_ENKUlT_T0_E_clISt17integral_constantIbLb1EES1B_IbLb0EEEEDaS17_S18_EUlS17_E_NS1_11comp_targetILNS1_3genE0ELNS1_11target_archE4294967295ELNS1_3gpuE0ELNS1_3repE0EEENS1_30default_config_static_selectorELNS0_4arch9wavefront6targetE1EEEvT1_
; %bb.0:
	.section	.rodata,"a",@progbits
	.p2align	6, 0x0
	.amdhsa_kernel _ZN7rocprim17ROCPRIM_400000_NS6detail17trampoline_kernelINS0_14default_configENS1_25partition_config_selectorILNS1_17partition_subalgoE3EN6thrust23THRUST_200600_302600_NS5tupleIiiNS7_9null_typeES9_S9_S9_S9_S9_S9_S9_EENS0_10empty_typeEbEEZZNS1_14partition_implILS5_3ELb0ES3_jNS7_6detail15normal_iteratorINS7_7pointerISA_NS7_11hip_rocprim3tagENS7_11use_defaultESJ_EEEEPSB_SM_NS0_5tupleIJPSA_SM_EEENSN_IJSM_SM_EEESB_PlJ10is_orderedEEE10hipError_tPvRmT3_T4_T5_T6_T7_T9_mT8_P12ihipStream_tbDpT10_ENKUlT_T0_E_clISt17integral_constantIbLb1EES1B_IbLb0EEEEDaS17_S18_EUlS17_E_NS1_11comp_targetILNS1_3genE0ELNS1_11target_archE4294967295ELNS1_3gpuE0ELNS1_3repE0EEENS1_30default_config_static_selectorELNS0_4arch9wavefront6targetE1EEEvT1_
		.amdhsa_group_segment_fixed_size 0
		.amdhsa_private_segment_fixed_size 0
		.amdhsa_kernarg_size 120
		.amdhsa_user_sgpr_count 2
		.amdhsa_user_sgpr_dispatch_ptr 0
		.amdhsa_user_sgpr_queue_ptr 0
		.amdhsa_user_sgpr_kernarg_segment_ptr 1
		.amdhsa_user_sgpr_dispatch_id 0
		.amdhsa_user_sgpr_kernarg_preload_length 0
		.amdhsa_user_sgpr_kernarg_preload_offset 0
		.amdhsa_user_sgpr_private_segment_size 0
		.amdhsa_uses_dynamic_stack 0
		.amdhsa_enable_private_segment 0
		.amdhsa_system_sgpr_workgroup_id_x 1
		.amdhsa_system_sgpr_workgroup_id_y 0
		.amdhsa_system_sgpr_workgroup_id_z 0
		.amdhsa_system_sgpr_workgroup_info 0
		.amdhsa_system_vgpr_workitem_id 0
		.amdhsa_next_free_vgpr 1
		.amdhsa_next_free_sgpr 0
		.amdhsa_accum_offset 4
		.amdhsa_reserve_vcc 0
		.amdhsa_float_round_mode_32 0
		.amdhsa_float_round_mode_16_64 0
		.amdhsa_float_denorm_mode_32 3
		.amdhsa_float_denorm_mode_16_64 3
		.amdhsa_dx10_clamp 1
		.amdhsa_ieee_mode 1
		.amdhsa_fp16_overflow 0
		.amdhsa_tg_split 0
		.amdhsa_exception_fp_ieee_invalid_op 0
		.amdhsa_exception_fp_denorm_src 0
		.amdhsa_exception_fp_ieee_div_zero 0
		.amdhsa_exception_fp_ieee_overflow 0
		.amdhsa_exception_fp_ieee_underflow 0
		.amdhsa_exception_fp_ieee_inexact 0
		.amdhsa_exception_int_div_zero 0
	.end_amdhsa_kernel
	.section	.text._ZN7rocprim17ROCPRIM_400000_NS6detail17trampoline_kernelINS0_14default_configENS1_25partition_config_selectorILNS1_17partition_subalgoE3EN6thrust23THRUST_200600_302600_NS5tupleIiiNS7_9null_typeES9_S9_S9_S9_S9_S9_S9_EENS0_10empty_typeEbEEZZNS1_14partition_implILS5_3ELb0ES3_jNS7_6detail15normal_iteratorINS7_7pointerISA_NS7_11hip_rocprim3tagENS7_11use_defaultESJ_EEEEPSB_SM_NS0_5tupleIJPSA_SM_EEENSN_IJSM_SM_EEESB_PlJ10is_orderedEEE10hipError_tPvRmT3_T4_T5_T6_T7_T9_mT8_P12ihipStream_tbDpT10_ENKUlT_T0_E_clISt17integral_constantIbLb1EES1B_IbLb0EEEEDaS17_S18_EUlS17_E_NS1_11comp_targetILNS1_3genE0ELNS1_11target_archE4294967295ELNS1_3gpuE0ELNS1_3repE0EEENS1_30default_config_static_selectorELNS0_4arch9wavefront6targetE1EEEvT1_,"axG",@progbits,_ZN7rocprim17ROCPRIM_400000_NS6detail17trampoline_kernelINS0_14default_configENS1_25partition_config_selectorILNS1_17partition_subalgoE3EN6thrust23THRUST_200600_302600_NS5tupleIiiNS7_9null_typeES9_S9_S9_S9_S9_S9_S9_EENS0_10empty_typeEbEEZZNS1_14partition_implILS5_3ELb0ES3_jNS7_6detail15normal_iteratorINS7_7pointerISA_NS7_11hip_rocprim3tagENS7_11use_defaultESJ_EEEEPSB_SM_NS0_5tupleIJPSA_SM_EEENSN_IJSM_SM_EEESB_PlJ10is_orderedEEE10hipError_tPvRmT3_T4_T5_T6_T7_T9_mT8_P12ihipStream_tbDpT10_ENKUlT_T0_E_clISt17integral_constantIbLb1EES1B_IbLb0EEEEDaS17_S18_EUlS17_E_NS1_11comp_targetILNS1_3genE0ELNS1_11target_archE4294967295ELNS1_3gpuE0ELNS1_3repE0EEENS1_30default_config_static_selectorELNS0_4arch9wavefront6targetE1EEEvT1_,comdat
.Lfunc_end3508:
	.size	_ZN7rocprim17ROCPRIM_400000_NS6detail17trampoline_kernelINS0_14default_configENS1_25partition_config_selectorILNS1_17partition_subalgoE3EN6thrust23THRUST_200600_302600_NS5tupleIiiNS7_9null_typeES9_S9_S9_S9_S9_S9_S9_EENS0_10empty_typeEbEEZZNS1_14partition_implILS5_3ELb0ES3_jNS7_6detail15normal_iteratorINS7_7pointerISA_NS7_11hip_rocprim3tagENS7_11use_defaultESJ_EEEEPSB_SM_NS0_5tupleIJPSA_SM_EEENSN_IJSM_SM_EEESB_PlJ10is_orderedEEE10hipError_tPvRmT3_T4_T5_T6_T7_T9_mT8_P12ihipStream_tbDpT10_ENKUlT_T0_E_clISt17integral_constantIbLb1EES1B_IbLb0EEEEDaS17_S18_EUlS17_E_NS1_11comp_targetILNS1_3genE0ELNS1_11target_archE4294967295ELNS1_3gpuE0ELNS1_3repE0EEENS1_30default_config_static_selectorELNS0_4arch9wavefront6targetE1EEEvT1_, .Lfunc_end3508-_ZN7rocprim17ROCPRIM_400000_NS6detail17trampoline_kernelINS0_14default_configENS1_25partition_config_selectorILNS1_17partition_subalgoE3EN6thrust23THRUST_200600_302600_NS5tupleIiiNS7_9null_typeES9_S9_S9_S9_S9_S9_S9_EENS0_10empty_typeEbEEZZNS1_14partition_implILS5_3ELb0ES3_jNS7_6detail15normal_iteratorINS7_7pointerISA_NS7_11hip_rocprim3tagENS7_11use_defaultESJ_EEEEPSB_SM_NS0_5tupleIJPSA_SM_EEENSN_IJSM_SM_EEESB_PlJ10is_orderedEEE10hipError_tPvRmT3_T4_T5_T6_T7_T9_mT8_P12ihipStream_tbDpT10_ENKUlT_T0_E_clISt17integral_constantIbLb1EES1B_IbLb0EEEEDaS17_S18_EUlS17_E_NS1_11comp_targetILNS1_3genE0ELNS1_11target_archE4294967295ELNS1_3gpuE0ELNS1_3repE0EEENS1_30default_config_static_selectorELNS0_4arch9wavefront6targetE1EEEvT1_
                                        ; -- End function
	.section	.AMDGPU.csdata,"",@progbits
; Kernel info:
; codeLenInByte = 0
; NumSgprs: 6
; NumVgprs: 0
; NumAgprs: 0
; TotalNumVgprs: 0
; ScratchSize: 0
; MemoryBound: 0
; FloatMode: 240
; IeeeMode: 1
; LDSByteSize: 0 bytes/workgroup (compile time only)
; SGPRBlocks: 0
; VGPRBlocks: 0
; NumSGPRsForWavesPerEU: 6
; NumVGPRsForWavesPerEU: 1
; AccumOffset: 4
; Occupancy: 8
; WaveLimiterHint : 0
; COMPUTE_PGM_RSRC2:SCRATCH_EN: 0
; COMPUTE_PGM_RSRC2:USER_SGPR: 2
; COMPUTE_PGM_RSRC2:TRAP_HANDLER: 0
; COMPUTE_PGM_RSRC2:TGID_X_EN: 1
; COMPUTE_PGM_RSRC2:TGID_Y_EN: 0
; COMPUTE_PGM_RSRC2:TGID_Z_EN: 0
; COMPUTE_PGM_RSRC2:TIDIG_COMP_CNT: 0
; COMPUTE_PGM_RSRC3_GFX90A:ACCUM_OFFSET: 0
; COMPUTE_PGM_RSRC3_GFX90A:TG_SPLIT: 0
	.section	.text._ZN7rocprim17ROCPRIM_400000_NS6detail17trampoline_kernelINS0_14default_configENS1_25partition_config_selectorILNS1_17partition_subalgoE3EN6thrust23THRUST_200600_302600_NS5tupleIiiNS7_9null_typeES9_S9_S9_S9_S9_S9_S9_EENS0_10empty_typeEbEEZZNS1_14partition_implILS5_3ELb0ES3_jNS7_6detail15normal_iteratorINS7_7pointerISA_NS7_11hip_rocprim3tagENS7_11use_defaultESJ_EEEEPSB_SM_NS0_5tupleIJPSA_SM_EEENSN_IJSM_SM_EEESB_PlJ10is_orderedEEE10hipError_tPvRmT3_T4_T5_T6_T7_T9_mT8_P12ihipStream_tbDpT10_ENKUlT_T0_E_clISt17integral_constantIbLb1EES1B_IbLb0EEEEDaS17_S18_EUlS17_E_NS1_11comp_targetILNS1_3genE5ELNS1_11target_archE942ELNS1_3gpuE9ELNS1_3repE0EEENS1_30default_config_static_selectorELNS0_4arch9wavefront6targetE1EEEvT1_,"axG",@progbits,_ZN7rocprim17ROCPRIM_400000_NS6detail17trampoline_kernelINS0_14default_configENS1_25partition_config_selectorILNS1_17partition_subalgoE3EN6thrust23THRUST_200600_302600_NS5tupleIiiNS7_9null_typeES9_S9_S9_S9_S9_S9_S9_EENS0_10empty_typeEbEEZZNS1_14partition_implILS5_3ELb0ES3_jNS7_6detail15normal_iteratorINS7_7pointerISA_NS7_11hip_rocprim3tagENS7_11use_defaultESJ_EEEEPSB_SM_NS0_5tupleIJPSA_SM_EEENSN_IJSM_SM_EEESB_PlJ10is_orderedEEE10hipError_tPvRmT3_T4_T5_T6_T7_T9_mT8_P12ihipStream_tbDpT10_ENKUlT_T0_E_clISt17integral_constantIbLb1EES1B_IbLb0EEEEDaS17_S18_EUlS17_E_NS1_11comp_targetILNS1_3genE5ELNS1_11target_archE942ELNS1_3gpuE9ELNS1_3repE0EEENS1_30default_config_static_selectorELNS0_4arch9wavefront6targetE1EEEvT1_,comdat
	.protected	_ZN7rocprim17ROCPRIM_400000_NS6detail17trampoline_kernelINS0_14default_configENS1_25partition_config_selectorILNS1_17partition_subalgoE3EN6thrust23THRUST_200600_302600_NS5tupleIiiNS7_9null_typeES9_S9_S9_S9_S9_S9_S9_EENS0_10empty_typeEbEEZZNS1_14partition_implILS5_3ELb0ES3_jNS7_6detail15normal_iteratorINS7_7pointerISA_NS7_11hip_rocprim3tagENS7_11use_defaultESJ_EEEEPSB_SM_NS0_5tupleIJPSA_SM_EEENSN_IJSM_SM_EEESB_PlJ10is_orderedEEE10hipError_tPvRmT3_T4_T5_T6_T7_T9_mT8_P12ihipStream_tbDpT10_ENKUlT_T0_E_clISt17integral_constantIbLb1EES1B_IbLb0EEEEDaS17_S18_EUlS17_E_NS1_11comp_targetILNS1_3genE5ELNS1_11target_archE942ELNS1_3gpuE9ELNS1_3repE0EEENS1_30default_config_static_selectorELNS0_4arch9wavefront6targetE1EEEvT1_ ; -- Begin function _ZN7rocprim17ROCPRIM_400000_NS6detail17trampoline_kernelINS0_14default_configENS1_25partition_config_selectorILNS1_17partition_subalgoE3EN6thrust23THRUST_200600_302600_NS5tupleIiiNS7_9null_typeES9_S9_S9_S9_S9_S9_S9_EENS0_10empty_typeEbEEZZNS1_14partition_implILS5_3ELb0ES3_jNS7_6detail15normal_iteratorINS7_7pointerISA_NS7_11hip_rocprim3tagENS7_11use_defaultESJ_EEEEPSB_SM_NS0_5tupleIJPSA_SM_EEENSN_IJSM_SM_EEESB_PlJ10is_orderedEEE10hipError_tPvRmT3_T4_T5_T6_T7_T9_mT8_P12ihipStream_tbDpT10_ENKUlT_T0_E_clISt17integral_constantIbLb1EES1B_IbLb0EEEEDaS17_S18_EUlS17_E_NS1_11comp_targetILNS1_3genE5ELNS1_11target_archE942ELNS1_3gpuE9ELNS1_3repE0EEENS1_30default_config_static_selectorELNS0_4arch9wavefront6targetE1EEEvT1_
	.globl	_ZN7rocprim17ROCPRIM_400000_NS6detail17trampoline_kernelINS0_14default_configENS1_25partition_config_selectorILNS1_17partition_subalgoE3EN6thrust23THRUST_200600_302600_NS5tupleIiiNS7_9null_typeES9_S9_S9_S9_S9_S9_S9_EENS0_10empty_typeEbEEZZNS1_14partition_implILS5_3ELb0ES3_jNS7_6detail15normal_iteratorINS7_7pointerISA_NS7_11hip_rocprim3tagENS7_11use_defaultESJ_EEEEPSB_SM_NS0_5tupleIJPSA_SM_EEENSN_IJSM_SM_EEESB_PlJ10is_orderedEEE10hipError_tPvRmT3_T4_T5_T6_T7_T9_mT8_P12ihipStream_tbDpT10_ENKUlT_T0_E_clISt17integral_constantIbLb1EES1B_IbLb0EEEEDaS17_S18_EUlS17_E_NS1_11comp_targetILNS1_3genE5ELNS1_11target_archE942ELNS1_3gpuE9ELNS1_3repE0EEENS1_30default_config_static_selectorELNS0_4arch9wavefront6targetE1EEEvT1_
	.p2align	8
	.type	_ZN7rocprim17ROCPRIM_400000_NS6detail17trampoline_kernelINS0_14default_configENS1_25partition_config_selectorILNS1_17partition_subalgoE3EN6thrust23THRUST_200600_302600_NS5tupleIiiNS7_9null_typeES9_S9_S9_S9_S9_S9_S9_EENS0_10empty_typeEbEEZZNS1_14partition_implILS5_3ELb0ES3_jNS7_6detail15normal_iteratorINS7_7pointerISA_NS7_11hip_rocprim3tagENS7_11use_defaultESJ_EEEEPSB_SM_NS0_5tupleIJPSA_SM_EEENSN_IJSM_SM_EEESB_PlJ10is_orderedEEE10hipError_tPvRmT3_T4_T5_T6_T7_T9_mT8_P12ihipStream_tbDpT10_ENKUlT_T0_E_clISt17integral_constantIbLb1EES1B_IbLb0EEEEDaS17_S18_EUlS17_E_NS1_11comp_targetILNS1_3genE5ELNS1_11target_archE942ELNS1_3gpuE9ELNS1_3repE0EEENS1_30default_config_static_selectorELNS0_4arch9wavefront6targetE1EEEvT1_,@function
_ZN7rocprim17ROCPRIM_400000_NS6detail17trampoline_kernelINS0_14default_configENS1_25partition_config_selectorILNS1_17partition_subalgoE3EN6thrust23THRUST_200600_302600_NS5tupleIiiNS7_9null_typeES9_S9_S9_S9_S9_S9_S9_EENS0_10empty_typeEbEEZZNS1_14partition_implILS5_3ELb0ES3_jNS7_6detail15normal_iteratorINS7_7pointerISA_NS7_11hip_rocprim3tagENS7_11use_defaultESJ_EEEEPSB_SM_NS0_5tupleIJPSA_SM_EEENSN_IJSM_SM_EEESB_PlJ10is_orderedEEE10hipError_tPvRmT3_T4_T5_T6_T7_T9_mT8_P12ihipStream_tbDpT10_ENKUlT_T0_E_clISt17integral_constantIbLb1EES1B_IbLb0EEEEDaS17_S18_EUlS17_E_NS1_11comp_targetILNS1_3genE5ELNS1_11target_archE942ELNS1_3gpuE9ELNS1_3repE0EEENS1_30default_config_static_selectorELNS0_4arch9wavefront6targetE1EEEvT1_: ; @_ZN7rocprim17ROCPRIM_400000_NS6detail17trampoline_kernelINS0_14default_configENS1_25partition_config_selectorILNS1_17partition_subalgoE3EN6thrust23THRUST_200600_302600_NS5tupleIiiNS7_9null_typeES9_S9_S9_S9_S9_S9_S9_EENS0_10empty_typeEbEEZZNS1_14partition_implILS5_3ELb0ES3_jNS7_6detail15normal_iteratorINS7_7pointerISA_NS7_11hip_rocprim3tagENS7_11use_defaultESJ_EEEEPSB_SM_NS0_5tupleIJPSA_SM_EEENSN_IJSM_SM_EEESB_PlJ10is_orderedEEE10hipError_tPvRmT3_T4_T5_T6_T7_T9_mT8_P12ihipStream_tbDpT10_ENKUlT_T0_E_clISt17integral_constantIbLb1EES1B_IbLb0EEEEDaS17_S18_EUlS17_E_NS1_11comp_targetILNS1_3genE5ELNS1_11target_archE942ELNS1_3gpuE9ELNS1_3repE0EEENS1_30default_config_static_selectorELNS0_4arch9wavefront6targetE1EEEvT1_
; %bb.0:
	s_load_dwordx4 s[20:23], s[0:1], 0x8
	s_load_dwordx4 s[24:27], s[0:1], 0x48
	s_load_dwordx2 s[28:29], s[0:1], 0x58
	s_load_dword s3, s[0:1], 0x70
	s_mov_b32 s35, 0
	s_waitcnt lgkmcnt(0)
	s_lshl_b64 s[4:5], s[22:23], 3
	s_add_u32 s8, s20, s4
	s_addc_u32 s9, s21, s5
	s_add_i32 s6, s3, -1
	s_mulk_i32 s3, 0xe00
	s_add_i32 s4, s3, s22
	s_sub_i32 s33, s28, s4
	s_addk_i32 s33, 0xe00
	s_add_u32 s4, s22, s3
	s_addc_u32 s5, s23, 0
	s_cmp_eq_u32 s2, s6
	s_load_dwordx2 s[30:31], s[26:27], 0x0
	s_cselect_b64 s[26:27], -1, 0
	s_cmp_lg_u32 s2, s6
	v_mov_b64_e32 v[2:3], s[28:29]
	s_cselect_b64 s[6:7], -1, 0
	s_mul_i32 s34, s2, 0xe00
	v_cmp_lt_u64_e32 vcc, s[4:5], v[2:3]
	s_or_b64 s[6:7], s[6:7], vcc
	s_lshl_b64 s[4:5], s[34:35], 3
	s_add_u32 s8, s8, s4
	s_addc_u32 s9, s9, s5
	s_mov_b64 s[4:5], -1
	s_and_b64 vcc, exec, s[6:7]
	v_lshlrev_b32_e32 v14, 3, v0
	s_cbranch_vccz .LBB3509_2
; %bb.1:
	v_mov_b32_e32 v15, 0
	v_lshl_add_u64 v[2:3], s[8:9], 0, v[14:15]
	v_add_co_u32_e32 v4, vcc, 0x1000, v2
	s_mov_b64 s[4:5], 0
	s_nop 0
	v_addc_co_u32_e32 v5, vcc, 0, v3, vcc
	v_add_co_u32_e32 v6, vcc, 0x2000, v2
	s_nop 1
	v_addc_co_u32_e32 v7, vcc, 0, v3, vcc
	v_add_co_u32_e32 v8, vcc, 0x3000, v2
	s_nop 1
	v_addc_co_u32_e32 v9, vcc, 0, v3, vcc
	flat_load_dwordx2 v[10:11], v[2:3]
	flat_load_dwordx2 v[12:13], v[4:5]
	;; [unrolled: 1-line block ×4, first 2 shown]
	v_add_co_u32_e32 v4, vcc, 0x4000, v2
	s_nop 1
	v_addc_co_u32_e32 v5, vcc, 0, v3, vcc
	v_add_co_u32_e32 v6, vcc, 0x5000, v2
	s_nop 1
	v_addc_co_u32_e32 v7, vcc, 0, v3, vcc
	;; [unrolled: 3-line block ×3, first 2 shown]
	flat_load_dwordx2 v[8:9], v[4:5]
	flat_load_dwordx2 v[20:21], v[6:7]
	;; [unrolled: 1-line block ×3, first 2 shown]
	s_waitcnt vmcnt(0) lgkmcnt(0)
	ds_write2st64_b64 v14, v[10:11], v[12:13] offset1:8
	ds_write2st64_b64 v14, v[16:17], v[18:19] offset0:16 offset1:24
	ds_write2st64_b64 v14, v[8:9], v[20:21] offset0:32 offset1:40
	ds_write_b64 v14, v[22:23] offset:24576
	s_waitcnt lgkmcnt(0)
	s_barrier
.LBB3509_2:
	s_andn2_b64 vcc, exec, s[4:5]
	v_cmp_gt_u32_e64 s[4:5], s33, v0
	s_cbranch_vccnz .LBB3509_18
; %bb.3:
	v_mov_b64_e32 v[4:5], 0
	v_mov_b64_e32 v[2:3], v[4:5]
	s_and_saveexec_b64 s[10:11], s[4:5]
	s_cbranch_execz .LBB3509_5
; %bb.4:
	v_mov_b32_e32 v15, 0
	v_lshl_add_u64 v[2:3], s[8:9], 0, v[14:15]
	flat_load_dwordx2 v[2:3], v[2:3]
.LBB3509_5:
	s_or_b64 exec, exec, s[10:11]
	v_or_b32_e32 v1, 0x200, v0
	v_cmp_gt_u32_e32 vcc, s33, v1
	s_and_saveexec_b64 s[4:5], vcc
	s_cbranch_execz .LBB3509_7
; %bb.6:
	v_lshlrev_b32_e32 v4, 3, v1
	v_mov_b32_e32 v5, 0
	v_lshl_add_u64 v[4:5], s[8:9], 0, v[4:5]
	flat_load_dwordx2 v[4:5], v[4:5]
.LBB3509_7:
	s_or_b64 exec, exec, s[4:5]
	v_or_b32_e32 v1, 0x400, v0
	v_mov_b64_e32 v[6:7], 0
	v_cmp_gt_u32_e32 vcc, s33, v1
	v_mov_b64_e32 v[8:9], v[6:7]
	s_and_saveexec_b64 s[4:5], vcc
	s_cbranch_execz .LBB3509_9
; %bb.8:
	v_lshlrev_b32_e32 v8, 3, v1
	v_mov_b32_e32 v9, 0
	v_lshl_add_u64 v[8:9], s[8:9], 0, v[8:9]
	flat_load_dwordx2 v[8:9], v[8:9]
.LBB3509_9:
	s_or_b64 exec, exec, s[4:5]
	v_or_b32_e32 v1, 0x600, v0
	v_cmp_gt_u32_e32 vcc, s33, v1
	s_and_saveexec_b64 s[4:5], vcc
	s_cbranch_execz .LBB3509_11
; %bb.10:
	v_lshlrev_b32_e32 v6, 3, v1
	v_mov_b32_e32 v7, 0
	v_lshl_add_u64 v[6:7], s[8:9], 0, v[6:7]
	flat_load_dwordx2 v[6:7], v[6:7]
.LBB3509_11:
	s_or_b64 exec, exec, s[4:5]
	v_or_b32_e32 v1, 0x800, v0
	v_mov_b64_e32 v[10:11], 0
	v_cmp_gt_u32_e32 vcc, s33, v1
	v_mov_b64_e32 v[12:13], v[10:11]
	s_and_saveexec_b64 s[4:5], vcc
	s_cbranch_execz .LBB3509_13
; %bb.12:
	v_lshlrev_b32_e32 v12, 3, v1
	v_mov_b32_e32 v13, 0
	v_lshl_add_u64 v[12:13], s[8:9], 0, v[12:13]
	flat_load_dwordx2 v[12:13], v[12:13]
.LBB3509_13:
	s_or_b64 exec, exec, s[4:5]
	v_or_b32_e32 v1, 0xa00, v0
	v_cmp_gt_u32_e32 vcc, s33, v1
	s_and_saveexec_b64 s[4:5], vcc
	s_cbranch_execz .LBB3509_15
; %bb.14:
	v_lshlrev_b32_e32 v10, 3, v1
	v_mov_b32_e32 v11, 0
	v_lshl_add_u64 v[10:11], s[8:9], 0, v[10:11]
	flat_load_dwordx2 v[10:11], v[10:11]
.LBB3509_15:
	s_or_b64 exec, exec, s[4:5]
	v_or_b32_e32 v1, 0xc00, v0
	v_cmp_gt_u32_e32 vcc, s33, v1
	v_mov_b64_e32 v[16:17], 0
	s_and_saveexec_b64 s[4:5], vcc
	s_cbranch_execz .LBB3509_17
; %bb.16:
	v_lshlrev_b32_e32 v16, 3, v1
	v_mov_b32_e32 v17, 0
	v_lshl_add_u64 v[16:17], s[8:9], 0, v[16:17]
	flat_load_dwordx2 v[16:17], v[16:17]
.LBB3509_17:
	s_or_b64 exec, exec, s[4:5]
	s_waitcnt vmcnt(0) lgkmcnt(0)
	ds_write2st64_b64 v14, v[2:3], v[4:5] offset1:8
	ds_write2st64_b64 v14, v[8:9], v[6:7] offset0:16 offset1:24
	ds_write2st64_b64 v14, v[12:13], v[10:11] offset0:32 offset1:40
	ds_write_b64 v14, v[16:17] offset:24576
	s_waitcnt lgkmcnt(0)
	s_barrier
.LBB3509_18:
	v_mul_u32_u24_e32 v1, 7, v0
	v_lshlrev_b32_e32 v30, 3, v1
	s_waitcnt lgkmcnt(0)
	ds_read2_b64 v[10:13], v30 offset1:1
	ds_read2_b64 v[6:9], v30 offset0:2 offset1:3
	ds_read2_b64 v[2:5], v30 offset0:4 offset1:5
	ds_read_b64 v[16:17], v30 offset:48
	v_cndmask_b32_e64 v15, 0, 1, s[6:7]
	v_cmp_ne_u32_e64 s[20:21], 1, v15
	s_andn2_b64 vcc, exec, s[6:7]
	s_waitcnt lgkmcnt(3)
	v_cmp_le_i32_e64 s[6:7], v10, v11
	v_cmp_le_i32_e64 s[8:9], v12, v13
	s_waitcnt lgkmcnt(2)
	v_cmp_le_i32_e64 s[10:11], v6, v7
	v_cmp_le_i32_e64 s[12:13], v8, v9
	;; [unrolled: 3-line block ×3, first 2 shown]
	s_waitcnt lgkmcnt(0)
	v_cmp_le_i32_e64 s[4:5], v16, v17
	s_barrier
	s_cbranch_vccnz .LBB3509_20
; %bb.19:
	v_cndmask_b32_e64 v19, 0, 1, s[8:9]
	v_cndmask_b32_e64 v18, 0, 1, s[6:7]
	v_cndmask_b32_e64 v21, 0, 1, s[12:13]
	v_lshlrev_b16_e32 v19, 8, v19
	v_cndmask_b32_e64 v20, 0, 1, s[10:11]
	v_or_b32_e32 v18, v18, v19
	v_lshlrev_b16_e32 v19, 8, v21
	v_or_b32_sdwa v19, v20, v19 dst_sel:WORD_1 dst_unused:UNUSED_PAD src0_sel:DWORD src1_sel:DWORD
	v_cndmask_b32_e64 v28, 0, 1, s[14:15]
	v_cndmask_b32_e64 v15, 0, 1, s[16:17]
	v_or_b32_sdwa v29, v18, v19 dst_sel:DWORD dst_unused:UNUSED_PAD src0_sel:WORD_0 src1_sel:DWORD
	s_and_b64 s[36:37], s[4:5], exec
	s_load_dwordx2 s[38:39], s[0:1], 0x68
	s_cbranch_execz .LBB3509_21
	s_branch .LBB3509_22
.LBB3509_20:
                                        ; implicit-def: $sgpr36_sgpr37
                                        ; implicit-def: $vgpr15
                                        ; implicit-def: $vgpr28
                                        ; implicit-def: $vgpr29
	s_load_dwordx2 s[38:39], s[0:1], 0x68
.LBB3509_21:
	v_cmp_gt_u32_e32 vcc, s33, v1
	v_cmp_le_i32_e64 s[4:5], v10, v11
	v_add_u32_e32 v15, 1, v1
	s_and_b64 s[4:5], vcc, s[4:5]
	v_cndmask_b32_e64 v23, 0, 1, s[4:5]
	v_cmp_gt_u32_e32 vcc, s33, v15
	v_cmp_le_i32_e64 s[4:5], v12, v13
	v_add_u32_e32 v18, 2, v1
	s_and_b64 s[4:5], vcc, s[4:5]
	v_cndmask_b32_e64 v24, 0, 1, s[4:5]
	;; [unrolled: 5-line block ×6, first 2 shown]
	v_cmp_gt_u32_e32 vcc, s33, v22
	v_cmp_le_i32_e64 s[4:5], v16, v17
	s_and_b64 s[4:5], vcc, s[4:5]
	v_lshlrev_b16_e32 v20, 8, v24
	v_lshlrev_b16_e32 v19, 8, v19
	v_or_b32_e32 v20, v23, v20
	v_or_b32_sdwa v18, v18, v19 dst_sel:WORD_1 dst_unused:UNUSED_PAD src0_sel:DWORD src1_sel:DWORD
	s_andn2_b64 s[6:7], s[36:37], exec
	s_and_b64 s[4:5], s[4:5], exec
	v_or_b32_sdwa v29, v20, v18 dst_sel:DWORD dst_unused:UNUSED_PAD src0_sel:WORD_0 src1_sel:DWORD
	s_or_b64 s[36:37], s[6:7], s[4:5]
.LBB3509_22:
	v_and_b32_e32 v32, 0xff, v29
	v_bfe_u32 v33, v29, 8, 8
	v_cndmask_b32_e64 v18, 0, 1, s[36:37]
	v_bfe_u32 v34, v29, 16, 8
	v_lshrrev_b32_e32 v31, 24, v29
	v_add3_u32 v18, v32, v18, v33
	v_and_b32_e32 v35, 0xff, v28
	v_and_b32_e32 v36, 0xff, v15
	v_add3_u32 v18, v18, v34, v31
	v_add3_u32 v39, v18, v35, v36
	v_mbcnt_lo_u32_b32 v18, -1, 0
	v_mbcnt_hi_u32_b32 v37, -1, v18
	v_and_b32_e32 v18, 15, v37
	v_cmp_eq_u32_e64 s[16:17], 0, v18
	v_cmp_lt_u32_e64 s[14:15], 1, v18
	v_cmp_lt_u32_e64 s[12:13], 3, v18
	;; [unrolled: 1-line block ×3, first 2 shown]
	v_and_b32_e32 v18, 16, v37
	v_cmp_eq_u32_e64 s[8:9], 0, v18
	v_or_b32_e32 v18, 63, v0
	s_cmp_lg_u32 s2, 0
	v_cmp_lt_u32_e64 s[4:5], 31, v37
	v_lshrrev_b32_e32 v38, 6, v0
	v_cmp_eq_u32_e64 s[6:7], v18, v0
	s_cbranch_scc0 .LBB3509_53
; %bb.23:
	v_mov_b32_dpp v18, v39 row_shr:1 row_mask:0xf bank_mask:0xf
	v_cndmask_b32_e64 v18, v18, 0, s[16:17]
	v_add_u32_e32 v18, v18, v39
	s_nop 1
	v_mov_b32_dpp v19, v18 row_shr:2 row_mask:0xf bank_mask:0xf
	v_cndmask_b32_e64 v19, 0, v19, s[14:15]
	v_add_u32_e32 v18, v18, v19
	s_nop 1
	;; [unrolled: 4-line block ×4, first 2 shown]
	v_mov_b32_dpp v19, v18 row_bcast:15 row_mask:0xf bank_mask:0xf
	v_cndmask_b32_e64 v19, v19, 0, s[8:9]
	v_add_u32_e32 v18, v18, v19
	s_nop 1
	v_mov_b32_dpp v19, v18 row_bcast:31 row_mask:0xf bank_mask:0xf
	v_cndmask_b32_e64 v19, 0, v19, s[4:5]
	v_add_u32_e32 v18, v18, v19
	s_and_saveexec_b64 s[18:19], s[6:7]
	s_cbranch_execz .LBB3509_25
; %bb.24:
	v_lshlrev_b32_e32 v19, 2, v38
	ds_write_b32 v19, v18
.LBB3509_25:
	s_or_b64 exec, exec, s[18:19]
	v_cmp_gt_u32_e32 vcc, 8, v0
	s_waitcnt lgkmcnt(0)
	s_barrier
	s_and_saveexec_b64 s[18:19], vcc
	s_cbranch_execz .LBB3509_27
; %bb.26:
	v_lshlrev_b32_e32 v19, 2, v0
	ds_read_b32 v20, v19
	v_and_b32_e32 v21, 7, v37
	v_cmp_ne_u32_e32 vcc, 0, v21
	s_waitcnt lgkmcnt(0)
	v_mov_b32_dpp v22, v20 row_shr:1 row_mask:0xf bank_mask:0xf
	v_cndmask_b32_e32 v22, 0, v22, vcc
	v_add_u32_e32 v20, v22, v20
	v_cmp_lt_u32_e32 vcc, 1, v21
	s_nop 0
	v_mov_b32_dpp v22, v20 row_shr:2 row_mask:0xf bank_mask:0xf
	v_cndmask_b32_e32 v22, 0, v22, vcc
	v_add_u32_e32 v20, v20, v22
	v_cmp_lt_u32_e32 vcc, 3, v21
	s_nop 0
	v_mov_b32_dpp v22, v20 row_shr:4 row_mask:0xf bank_mask:0xf
	v_cndmask_b32_e32 v21, 0, v22, vcc
	v_add_u32_e32 v20, v20, v21
	ds_write_b32 v19, v20
.LBB3509_27:
	s_or_b64 exec, exec, s[18:19]
	v_cmp_gt_u32_e32 vcc, 64, v0
	v_cmp_lt_u32_e64 s[18:19], 63, v0
	s_waitcnt lgkmcnt(0)
	s_barrier
	s_waitcnt lgkmcnt(0)
                                        ; implicit-def: $vgpr40
	s_and_saveexec_b64 s[40:41], s[18:19]
	s_cbranch_execz .LBB3509_29
; %bb.28:
	v_lshl_add_u32 v19, v38, 2, -4
	ds_read_b32 v40, v19
	s_waitcnt lgkmcnt(0)
	v_add_u32_e32 v18, v40, v18
.LBB3509_29:
	s_or_b64 exec, exec, s[40:41]
	v_add_u32_e32 v19, -1, v37
	v_and_b32_e32 v20, 64, v37
	v_cmp_lt_i32_e64 s[18:19], v19, v20
	s_nop 1
	v_cndmask_b32_e64 v19, v19, v37, s[18:19]
	v_lshlrev_b32_e32 v19, 2, v19
	ds_bpermute_b32 v41, v19, v18
	v_cmp_eq_u32_e64 s[18:19], 0, v37
	s_and_saveexec_b64 s[40:41], vcc
	s_cbranch_execz .LBB3509_52
; %bb.30:
	v_mov_b32_e32 v27, 0
	ds_read_b32 v18, v27 offset:28
	s_and_saveexec_b64 s[42:43], s[18:19]
	s_cbranch_execz .LBB3509_32
; %bb.31:
	s_add_i32 s44, s2, 64
	s_mov_b32 s45, 0
	s_lshl_b64 s[44:45], s[44:45], 3
	s_add_u32 s44, s38, s44
	v_mov_b32_e32 v19, 1
	s_addc_u32 s45, s39, s45
	s_waitcnt lgkmcnt(0)
	global_store_dwordx2 v27, v[18:19], s[44:45] sc1
.LBB3509_32:
	s_or_b64 exec, exec, s[42:43]
	v_xad_u32 v20, v37, -1, s2
	v_add_u32_e32 v26, 64, v20
	v_lshl_add_u64 v[22:23], v[26:27], 3, s[38:39]
	global_load_dwordx2 v[24:25], v[22:23], off sc1
	s_waitcnt vmcnt(0)
	v_cmp_eq_u16_sdwa s[44:45], v25, v27 src0_sel:BYTE_0 src1_sel:DWORD
	s_and_saveexec_b64 s[42:43], s[44:45]
	s_cbranch_execz .LBB3509_38
; %bb.33:
	s_mov_b32 s3, 1
	s_mov_b64 s[44:45], 0
	v_mov_b32_e32 v19, 0
.LBB3509_34:                            ; =>This Loop Header: Depth=1
                                        ;     Child Loop BB3509_35 Depth 2
	s_max_u32 s35, s3, 1
.LBB3509_35:                            ;   Parent Loop BB3509_34 Depth=1
                                        ; =>  This Inner Loop Header: Depth=2
	s_add_i32 s35, s35, -1
	s_cmp_eq_u32 s35, 0
	s_sleep 1
	s_cbranch_scc0 .LBB3509_35
; %bb.36:                               ;   in Loop: Header=BB3509_34 Depth=1
	global_load_dwordx2 v[24:25], v[22:23], off sc1
	s_cmp_lt_u32 s3, 32
	s_cselect_b64 s[46:47], -1, 0
	s_cmp_lg_u64 s[46:47], 0
	s_addc_u32 s3, s3, 0
	s_waitcnt vmcnt(0)
	v_cmp_ne_u16_sdwa s[46:47], v25, v19 src0_sel:BYTE_0 src1_sel:DWORD
	s_or_b64 s[44:45], s[46:47], s[44:45]
	s_andn2_b64 exec, exec, s[44:45]
	s_cbranch_execnz .LBB3509_34
; %bb.37:
	s_or_b64 exec, exec, s[44:45]
.LBB3509_38:
	s_or_b64 exec, exec, s[42:43]
	v_and_b32_e32 v43, 63, v37
	v_mov_b32_e32 v42, 2
	v_cmp_ne_u32_e32 vcc, 63, v43
	v_cmp_eq_u16_sdwa s[42:43], v25, v42 src0_sel:BYTE_0 src1_sel:DWORD
	v_lshlrev_b64 v[22:23], v37, -1
	v_addc_co_u32_e32 v26, vcc, 0, v37, vcc
	v_and_b32_e32 v19, s43, v23
	v_lshlrev_b32_e32 v44, 2, v26
	v_or_b32_e32 v19, 0x80000000, v19
	ds_bpermute_b32 v26, v44, v24
	v_and_b32_e32 v21, s42, v22
	v_ffbl_b32_e32 v19, v19
	v_add_u32_e32 v19, 32, v19
	v_ffbl_b32_e32 v21, v21
	v_min_u32_e32 v19, v21, v19
	v_cmp_lt_u32_e32 vcc, v43, v19
	v_add_u32_e32 v46, 2, v43
	v_add_u32_e32 v48, 4, v43
	s_waitcnt lgkmcnt(0)
	v_cndmask_b32_e32 v21, 0, v26, vcc
	v_cmp_gt_u32_e32 vcc, 62, v43
	v_add_u32_e32 v21, v21, v24
	v_add_u32_e32 v50, 8, v43
	v_cndmask_b32_e64 v24, 0, 1, vcc
	v_lshlrev_b32_e32 v24, 1, v24
	v_add_lshl_u32 v45, v24, v37, 2
	ds_bpermute_b32 v24, v45, v21
	v_cmp_le_u32_e32 vcc, v46, v19
	v_add_u32_e32 v52, 16, v43
	v_add_u32_e32 v54, 32, v43
	s_waitcnt lgkmcnt(0)
	v_cndmask_b32_e32 v24, 0, v24, vcc
	v_cmp_gt_u32_e32 vcc, 60, v43
	v_add_u32_e32 v21, v21, v24
	s_nop 0
	v_cndmask_b32_e64 v24, 0, 1, vcc
	v_lshlrev_b32_e32 v24, 2, v24
	v_add_lshl_u32 v47, v24, v37, 2
	ds_bpermute_b32 v24, v47, v21
	v_cmp_le_u32_e32 vcc, v48, v19
	s_waitcnt lgkmcnt(0)
	s_nop 0
	v_cndmask_b32_e32 v24, 0, v24, vcc
	v_cmp_gt_u32_e32 vcc, 56, v43
	v_add_u32_e32 v21, v21, v24
	s_nop 0
	v_cndmask_b32_e64 v24, 0, 1, vcc
	v_lshlrev_b32_e32 v24, 3, v24
	v_add_lshl_u32 v49, v24, v37, 2
	ds_bpermute_b32 v24, v49, v21
	v_cmp_le_u32_e32 vcc, v50, v19
	s_waitcnt lgkmcnt(0)
	s_nop 0
	;; [unrolled: 11-line block ×4, first 2 shown]
	v_cndmask_b32_e32 v19, 0, v24, vcc
	v_add_u32_e32 v24, v21, v19
	v_mov_b32_e32 v21, 0
	s_branch .LBB3509_40
.LBB3509_39:                            ;   in Loop: Header=BB3509_40 Depth=1
	s_or_b64 exec, exec, s[42:43]
	v_cmp_eq_u16_sdwa s[42:43], v25, v42 src0_sel:BYTE_0 src1_sel:DWORD
	ds_bpermute_b32 v55, v44, v24
	v_subrev_u32_e32 v20, 64, v20
	v_and_b32_e32 v26, s43, v23
	v_or_b32_e32 v26, 0x80000000, v26
	v_and_b32_e32 v27, s42, v22
	v_ffbl_b32_e32 v26, v26
	v_add_u32_e32 v26, 32, v26
	v_ffbl_b32_e32 v27, v27
	v_min_u32_e32 v26, v27, v26
	v_cmp_lt_u32_e32 vcc, v43, v26
	s_waitcnt lgkmcnt(0)
	s_nop 0
	v_cndmask_b32_e32 v27, 0, v55, vcc
	v_add_u32_e32 v24, v27, v24
	ds_bpermute_b32 v27, v45, v24
	v_cmp_le_u32_e32 vcc, v46, v26
	s_waitcnt lgkmcnt(0)
	s_nop 0
	v_cndmask_b32_e32 v27, 0, v27, vcc
	v_add_u32_e32 v24, v24, v27
	ds_bpermute_b32 v27, v47, v24
	v_cmp_le_u32_e32 vcc, v48, v26
	;; [unrolled: 6-line block ×5, first 2 shown]
	s_waitcnt lgkmcnt(0)
	s_nop 0
	v_cndmask_b32_e32 v26, 0, v27, vcc
	v_add3_u32 v24, v26, v19, v24
.LBB3509_40:                            ; =>This Loop Header: Depth=1
                                        ;     Child Loop BB3509_43 Depth 2
                                        ;       Child Loop BB3509_44 Depth 3
	v_cmp_ne_u16_sdwa s[42:43], v25, v42 src0_sel:BYTE_0 src1_sel:DWORD
	s_nop 1
	v_cndmask_b32_e64 v19, 0, 1, s[42:43]
	;;#ASMSTART
	;;#ASMEND
	s_nop 0
	v_cmp_ne_u32_e32 vcc, 0, v19
	s_cmp_lg_u64 vcc, exec
	v_mov_b32_e32 v19, v24
	s_cbranch_scc1 .LBB3509_47
; %bb.41:                               ;   in Loop: Header=BB3509_40 Depth=1
	v_lshl_add_u64 v[26:27], v[20:21], 3, s[38:39]
	global_load_dwordx2 v[24:25], v[26:27], off sc1
	s_waitcnt vmcnt(0)
	v_cmp_eq_u16_sdwa s[44:45], v25, v21 src0_sel:BYTE_0 src1_sel:DWORD
	s_and_saveexec_b64 s[42:43], s[44:45]
	s_cbranch_execz .LBB3509_39
; %bb.42:                               ;   in Loop: Header=BB3509_40 Depth=1
	s_mov_b32 s3, 1
	s_mov_b64 s[44:45], 0
.LBB3509_43:                            ;   Parent Loop BB3509_40 Depth=1
                                        ; =>  This Loop Header: Depth=2
                                        ;       Child Loop BB3509_44 Depth 3
	s_max_u32 s35, s3, 1
.LBB3509_44:                            ;   Parent Loop BB3509_40 Depth=1
                                        ;     Parent Loop BB3509_43 Depth=2
                                        ; =>    This Inner Loop Header: Depth=3
	s_add_i32 s35, s35, -1
	s_cmp_eq_u32 s35, 0
	s_sleep 1
	s_cbranch_scc0 .LBB3509_44
; %bb.45:                               ;   in Loop: Header=BB3509_43 Depth=2
	global_load_dwordx2 v[24:25], v[26:27], off sc1
	s_cmp_lt_u32 s3, 32
	s_cselect_b64 s[46:47], -1, 0
	s_cmp_lg_u64 s[46:47], 0
	s_addc_u32 s3, s3, 0
	s_waitcnt vmcnt(0)
	v_cmp_ne_u16_sdwa s[46:47], v25, v21 src0_sel:BYTE_0 src1_sel:DWORD
	s_or_b64 s[44:45], s[46:47], s[44:45]
	s_andn2_b64 exec, exec, s[44:45]
	s_cbranch_execnz .LBB3509_43
; %bb.46:                               ;   in Loop: Header=BB3509_40 Depth=1
	s_or_b64 exec, exec, s[44:45]
	s_branch .LBB3509_39
.LBB3509_47:                            ;   in Loop: Header=BB3509_40 Depth=1
                                        ; implicit-def: $vgpr24
                                        ; implicit-def: $vgpr25
	s_cbranch_execz .LBB3509_40
; %bb.48:
	s_and_saveexec_b64 s[42:43], s[18:19]
	s_cbranch_execz .LBB3509_50
; %bb.49:
	s_add_i32 s2, s2, 64
	s_mov_b32 s3, 0
	s_lshl_b64 s[2:3], s[2:3], 3
	s_add_u32 s2, s38, s2
	v_add_u32_e32 v20, v19, v18
	v_mov_b32_e32 v21, 2
	s_addc_u32 s3, s39, s3
	v_mov_b32_e32 v22, 0
	global_store_dwordx2 v22, v[20:21], s[2:3] sc1
	ds_write_b64 v22, v[18:19] offset:28672
.LBB3509_50:
	s_or_b64 exec, exec, s[42:43]
	v_cmp_eq_u32_e32 vcc, 0, v0
	s_and_b64 exec, exec, vcc
	s_cbranch_execz .LBB3509_52
; %bb.51:
	v_mov_b32_e32 v18, 0
	ds_write_b32 v18, v19 offset:28
.LBB3509_52:
	s_or_b64 exec, exec, s[40:41]
	v_mov_b32_e32 v18, 0
	s_waitcnt lgkmcnt(0)
	s_barrier
	ds_read_b32 v19, v18 offset:28
	v_cndmask_b32_e64 v20, v41, v40, s[18:19]
	v_cmp_ne_u32_e32 vcc, 0, v0
	s_waitcnt lgkmcnt(0)
	s_barrier
	v_cndmask_b32_e32 v20, 0, v20, vcc
	v_add_u32_e32 v27, v19, v20
	v_add_u32_e32 v26, v27, v32
	ds_read_b64 v[18:19], v18 offset:28672
	v_add_u32_e32 v25, v26, v33
	v_add_u32_e32 v24, v25, v34
	;; [unrolled: 1-line block ×5, first 2 shown]
	s_waitcnt lgkmcnt(0)
	v_mov_b32_e32 v22, v19
	s_load_dwordx2 s[2:3], s[0:1], 0x28
	s_branch .LBB3509_63
.LBB3509_53:
                                        ; implicit-def: $vgpr22
                                        ; implicit-def: $vgpr18
                                        ; implicit-def: $vgpr20
                                        ; implicit-def: $vgpr21
                                        ; implicit-def: $vgpr23
                                        ; implicit-def: $vgpr24
                                        ; implicit-def: $vgpr25
                                        ; implicit-def: $vgpr26
                                        ; implicit-def: $vgpr27
	s_load_dwordx2 s[2:3], s[0:1], 0x28
	s_cbranch_execz .LBB3509_63
; %bb.54:
	v_mov_b32_dpp v18, v39 row_shr:1 row_mask:0xf bank_mask:0xf
	v_cndmask_b32_e64 v18, v18, 0, s[16:17]
	v_add_u32_e32 v18, v18, v39
	s_nop 1
	v_mov_b32_dpp v19, v18 row_shr:2 row_mask:0xf bank_mask:0xf
	v_cndmask_b32_e64 v19, 0, v19, s[14:15]
	v_add_u32_e32 v18, v18, v19
	s_nop 1
	;; [unrolled: 4-line block ×4, first 2 shown]
	v_mov_b32_dpp v19, v18 row_bcast:15 row_mask:0xf bank_mask:0xf
	v_cndmask_b32_e64 v19, v19, 0, s[8:9]
	v_add_u32_e32 v18, v18, v19
	s_nop 1
	v_mov_b32_dpp v19, v18 row_bcast:31 row_mask:0xf bank_mask:0xf
	v_cndmask_b32_e64 v19, 0, v19, s[4:5]
	v_add_u32_e32 v18, v18, v19
	s_and_saveexec_b64 s[0:1], s[6:7]
	s_cbranch_execz .LBB3509_56
; %bb.55:
	v_lshlrev_b32_e32 v19, 2, v38
	ds_write_b32 v19, v18
.LBB3509_56:
	s_or_b64 exec, exec, s[0:1]
	v_cmp_gt_u32_e32 vcc, 8, v0
	s_waitcnt lgkmcnt(0)
	s_barrier
	s_and_saveexec_b64 s[0:1], vcc
	s_cbranch_execz .LBB3509_58
; %bb.57:
	s_movk_i32 s4, 0xffcc
	v_mad_i32_i24 v19, v0, s4, v30
	ds_read_b32 v20, v19
	v_and_b32_e32 v21, 7, v37
	v_cmp_ne_u32_e32 vcc, 0, v21
	s_waitcnt lgkmcnt(0)
	v_mov_b32_dpp v22, v20 row_shr:1 row_mask:0xf bank_mask:0xf
	v_cndmask_b32_e32 v22, 0, v22, vcc
	v_add_u32_e32 v20, v22, v20
	v_cmp_lt_u32_e32 vcc, 1, v21
	s_nop 0
	v_mov_b32_dpp v22, v20 row_shr:2 row_mask:0xf bank_mask:0xf
	v_cndmask_b32_e32 v22, 0, v22, vcc
	v_add_u32_e32 v20, v20, v22
	v_cmp_lt_u32_e32 vcc, 3, v21
	s_nop 0
	v_mov_b32_dpp v22, v20 row_shr:4 row_mask:0xf bank_mask:0xf
	v_cndmask_b32_e32 v21, 0, v22, vcc
	v_add_u32_e32 v20, v20, v21
	ds_write_b32 v19, v20
.LBB3509_58:
	s_or_b64 exec, exec, s[0:1]
	v_cmp_lt_u32_e32 vcc, 63, v0
	v_mov_b32_e32 v19, 0
	v_mov_b32_e32 v20, 0
	s_waitcnt lgkmcnt(0)
	s_barrier
	s_and_saveexec_b64 s[0:1], vcc
	s_cbranch_execz .LBB3509_60
; %bb.59:
	v_lshl_add_u32 v20, v38, 2, -4
	ds_read_b32 v20, v20
.LBB3509_60:
	s_or_b64 exec, exec, s[0:1]
	v_add_u32_e32 v21, -1, v37
	v_and_b32_e32 v22, 64, v37
	v_cmp_lt_i32_e32 vcc, v21, v22
	s_waitcnt lgkmcnt(0)
	v_add_u32_e32 v18, v20, v18
	v_cndmask_b32_e32 v21, v21, v37, vcc
	v_lshlrev_b32_e32 v21, 2, v21
	ds_bpermute_b32 v21, v21, v18
	ds_read_b32 v18, v19 offset:28
	v_cmp_eq_u32_e32 vcc, 0, v0
	s_and_saveexec_b64 s[0:1], vcc
	s_cbranch_execz .LBB3509_62
; %bb.61:
	v_mov_b32_e32 v22, 0
	v_mov_b32_e32 v19, 2
	s_waitcnt lgkmcnt(0)
	global_store_dwordx2 v22, v[18:19], s[38:39] offset:512 sc1
.LBB3509_62:
	s_or_b64 exec, exec, s[0:1]
	v_cmp_eq_u32_e64 s[0:1], 0, v37
	v_mov_b32_e32 v22, 0
	s_waitcnt lgkmcnt(0)
	v_cndmask_b32_e64 v19, v21, v20, s[0:1]
	v_cndmask_b32_e64 v27, v19, 0, vcc
	v_add_u32_e32 v26, v27, v32
	v_add_u32_e32 v25, v26, v33
	v_add_u32_e32 v24, v25, v34
	v_add_u32_e32 v23, v24, v31
	v_add_u32_e32 v21, v23, v35
	v_add_u32_e32 v20, v21, v36
	s_barrier
.LBB3509_63:
	v_add_u32_e32 v1, v18, v1
	v_sub_u32_e32 v27, v27, v22
	v_and_b32_e32 v32, 1, v29
	v_sub_u32_e32 v30, v1, v27
	v_cmp_eq_u32_e32 vcc, 1, v32
	v_lshrrev_b32_e32 v19, 8, v29
	v_and_b32_e32 v19, 1, v19
	v_cndmask_b32_e32 v27, v30, v27, vcc
	v_lshlrev_b32_e32 v27, 3, v27
	ds_write_b64 v27, v[10:11]
	v_sub_u32_e32 v10, v26, v22
	v_sub_u32_e32 v11, v1, v10
	v_add_u32_e32 v11, 1, v11
	v_cmp_eq_u32_e32 vcc, 1, v19
	s_add_u32 s0, s22, s34
	s_addc_u32 s1, s23, 0
	v_cndmask_b32_e32 v10, v11, v10, vcc
	v_lshlrev_b32_e32 v10, 3, v10
	ds_write_b64 v10, v[12:13]
	v_sub_u32_e32 v10, v25, v22
	v_mov_b32_e32 v12, 1
	v_sub_u32_e32 v11, v1, v10
	v_and_b32_sdwa v12, v12, v29 dst_sel:DWORD dst_unused:UNUSED_PAD src0_sel:DWORD src1_sel:WORD_1
	v_add_u32_e32 v11, 2, v11
	v_cmp_eq_u32_e32 vcc, 1, v12
	s_sub_u32 s0, s28, s0
	s_subb_u32 s1, s29, s1
	v_cndmask_b32_e32 v10, v11, v10, vcc
	v_lshlrev_b32_e32 v10, 3, v10
	ds_write_b64 v10, v[6:7]
	v_sub_u32_e32 v6, v24, v22
	v_sub_u32_e32 v7, v1, v6
	v_and_b32_e32 v10, 1, v31
	v_add_u32_e32 v7, 3, v7
	v_cmp_eq_u32_e32 vcc, 1, v10
	v_or_b32_e32 v32, 0x200, v0
	v_or_b32_e32 v30, 0x400, v0
	v_cndmask_b32_e32 v6, v7, v6, vcc
	v_lshlrev_b32_e32 v6, 3, v6
	ds_write_b64 v6, v[8:9]
	v_sub_u32_e32 v6, v23, v22
	v_sub_u32_e32 v7, v1, v6
	v_and_b32_e32 v8, 1, v28
	v_add_u32_e32 v7, 4, v7
	v_cmp_eq_u32_e32 vcc, 1, v8
	v_or_b32_e32 v28, 0x600, v0
	v_or_b32_e32 v26, 0x800, v0
	v_cndmask_b32_e32 v6, v7, v6, vcc
	v_lshlrev_b32_e32 v6, 3, v6
	ds_write_b64 v6, v[2:3]
	v_sub_u32_e32 v2, v21, v22
	v_sub_u32_e32 v3, v1, v2
	v_and_b32_e32 v6, 1, v15
	v_add_u32_e32 v3, 5, v3
	v_cmp_eq_u32_e32 vcc, 1, v6
	v_or_b32_e32 v24, 0xa00, v0
	s_nop 0
	v_cndmask_b32_e32 v2, v3, v2, vcc
	v_lshlrev_b32_e32 v2, 3, v2
	ds_write_b64 v2, v[4:5]
	v_sub_u32_e32 v2, v20, v22
	v_sub_u32_e32 v1, v1, v2
	v_add_u32_e32 v1, 6, v1
	v_cndmask_b32_e64 v1, v1, v2, s[36:37]
	v_lshlrev_b32_e32 v1, 3, v1
	ds_write_b64 v1, v[16:17]
	s_waitcnt lgkmcnt(0)
	s_barrier
	ds_read2st64_b64 v[10:13], v14 offset1:8
	ds_read2st64_b64 v[6:9], v14 offset0:16 offset1:24
	ds_read2st64_b64 v[2:5], v14 offset0:32 offset1:40
	ds_read_b64 v[16:17], v14 offset:24576
	v_mov_b32_e32 v1, 0
	v_mov_b32_e32 v23, v1
	;; [unrolled: 1-line block ×3, first 2 shown]
	v_lshl_add_u64 v[14:15], s[30:31], 0, v[22:23]
	v_lshl_add_u64 v[22:23], s[0:1], 0, v[18:19]
	v_mov_b32_e32 v33, v1
	v_mov_b32_e32 v31, v1
	;; [unrolled: 1-line block ×5, first 2 shown]
	v_or_b32_e32 v20, 0xc00, v0
	v_mov_b32_e32 v21, v1
	s_and_b64 vcc, exec, s[20:21]
	v_lshl_add_u64 v[22:23], v[22:23], 0, v[14:15]
	s_cbranch_vccnz .LBB3509_93
; %bb.64:
	v_cmp_ge_u32_e32 vcc, v0, v18
                                        ; implicit-def: $vgpr34_vgpr35
	s_and_saveexec_b64 s[0:1], vcc
	s_xor_b64 s[0:1], exec, s[0:1]
; %bb.65:
	v_not_b32_e32 v34, v0
	v_ashrrev_i32_e32 v35, 31, v34
	v_lshl_add_u64 v[34:35], v[22:23], 0, v[34:35]
; %bb.66:
	s_andn2_saveexec_b64 s[0:1], s[0:1]
; %bb.67:
	v_lshl_add_u64 v[34:35], v[14:15], 0, v[0:1]
; %bb.68:
	s_or_b64 exec, exec, s[0:1]
	v_lshl_add_u64 v[34:35], v[34:35], 3, s[2:3]
	v_cmp_ge_u32_e32 vcc, v32, v18
	s_waitcnt lgkmcnt(3)
	global_store_dwordx2 v[34:35], v[10:11], off
                                        ; implicit-def: $vgpr34_vgpr35
	s_and_saveexec_b64 s[0:1], vcc
	s_xor_b64 s[0:1], exec, s[0:1]
; %bb.69:
	v_xor_b32_e32 v34, 0xfffffdff, v0
	v_ashrrev_i32_e32 v35, 31, v34
	v_lshl_add_u64 v[34:35], v[22:23], 0, v[34:35]
; %bb.70:
	s_andn2_saveexec_b64 s[0:1], s[0:1]
; %bb.71:
	v_lshl_add_u64 v[34:35], v[14:15], 0, v[32:33]
; %bb.72:
	s_or_b64 exec, exec, s[0:1]
	v_lshl_add_u64 v[34:35], v[34:35], 3, s[2:3]
	v_cmp_ge_u32_e32 vcc, v30, v18
	global_store_dwordx2 v[34:35], v[12:13], off
                                        ; implicit-def: $vgpr34_vgpr35
	s_and_saveexec_b64 s[0:1], vcc
	s_xor_b64 s[0:1], exec, s[0:1]
; %bb.73:
	v_xor_b32_e32 v34, 0xfffffbff, v0
	v_ashrrev_i32_e32 v35, 31, v34
	v_lshl_add_u64 v[34:35], v[22:23], 0, v[34:35]
; %bb.74:
	s_andn2_saveexec_b64 s[0:1], s[0:1]
; %bb.75:
	v_lshl_add_u64 v[34:35], v[14:15], 0, v[30:31]
; %bb.76:
	s_or_b64 exec, exec, s[0:1]
	v_lshl_add_u64 v[34:35], v[34:35], 3, s[2:3]
	v_cmp_ge_u32_e32 vcc, v28, v18
	s_waitcnt lgkmcnt(2)
	global_store_dwordx2 v[34:35], v[6:7], off
                                        ; implicit-def: $vgpr34_vgpr35
	s_and_saveexec_b64 s[0:1], vcc
	s_xor_b64 s[0:1], exec, s[0:1]
; %bb.77:
	v_xor_b32_e32 v34, 0xfffff9ff, v0
	v_ashrrev_i32_e32 v35, 31, v34
	v_lshl_add_u64 v[34:35], v[22:23], 0, v[34:35]
; %bb.78:
	s_andn2_saveexec_b64 s[0:1], s[0:1]
; %bb.79:
	v_lshl_add_u64 v[34:35], v[14:15], 0, v[28:29]
; %bb.80:
	s_or_b64 exec, exec, s[0:1]
	v_lshl_add_u64 v[34:35], v[34:35], 3, s[2:3]
	v_cmp_ge_u32_e32 vcc, v26, v18
	global_store_dwordx2 v[34:35], v[8:9], off
                                        ; implicit-def: $vgpr34_vgpr35
	s_and_saveexec_b64 s[0:1], vcc
	s_xor_b64 s[0:1], exec, s[0:1]
; %bb.81:
	v_xor_b32_e32 v34, 0xfffff7ff, v0
	;; [unrolled: 33-line block ×3, first 2 shown]
	v_ashrrev_i32_e32 v35, 31, v34
	v_lshl_add_u64 v[34:35], v[22:23], 0, v[34:35]
; %bb.90:
	s_andn2_saveexec_b64 s[0:1], s[0:1]
; %bb.91:
	v_lshl_add_u64 v[34:35], v[14:15], 0, v[20:21]
; %bb.92:
	s_or_b64 exec, exec, s[0:1]
	s_mov_b64 s[0:1], -1
	s_branch .LBB3509_137
.LBB3509_93:
	s_mov_b64 s[0:1], 0
                                        ; implicit-def: $vgpr34_vgpr35
	s_cbranch_execz .LBB3509_137
; %bb.94:
	v_cmp_gt_u32_e32 vcc, s33, v0
	s_and_saveexec_b64 s[4:5], vcc
	s_cbranch_execz .LBB3509_112
; %bb.95:
	v_cmp_ge_u32_e32 vcc, v0, v18
                                        ; implicit-def: $vgpr34_vgpr35
	s_and_saveexec_b64 s[6:7], vcc
	s_xor_b64 s[6:7], exec, s[6:7]
; %bb.96:
	v_not_b32_e32 v34, v0
	v_ashrrev_i32_e32 v35, 31, v34
	v_lshl_add_u64 v[34:35], v[22:23], 0, v[34:35]
; %bb.97:
	s_andn2_saveexec_b64 s[6:7], s[6:7]
; %bb.98:
	v_lshl_add_u64 v[34:35], v[14:15], 0, v[0:1]
; %bb.99:
	s_or_b64 exec, exec, s[6:7]
	v_lshl_add_u64 v[34:35], v[34:35], 3, s[2:3]
	s_waitcnt lgkmcnt(3)
	global_store_dwordx2 v[34:35], v[10:11], off
	s_or_b64 exec, exec, s[4:5]
	v_cmp_gt_u32_e32 vcc, s33, v32
	s_and_saveexec_b64 s[4:5], vcc
	s_cbranch_execnz .LBB3509_113
.LBB3509_100:
	s_or_b64 exec, exec, s[4:5]
	v_cmp_gt_u32_e32 vcc, s33, v30
	s_and_saveexec_b64 s[4:5], vcc
	s_cbranch_execz .LBB3509_118
.LBB3509_101:
	v_cmp_ge_u32_e32 vcc, v30, v18
                                        ; implicit-def: $vgpr10_vgpr11
	s_and_saveexec_b64 s[6:7], vcc
	s_xor_b64 s[6:7], exec, s[6:7]
	s_cbranch_execz .LBB3509_103
; %bb.102:
	s_waitcnt lgkmcnt(3)
	v_xor_b32_e32 v10, 0xfffffbff, v0
	v_ashrrev_i32_e32 v11, 31, v10
	v_lshl_add_u64 v[10:11], v[22:23], 0, v[10:11]
                                        ; implicit-def: $vgpr30_vgpr31
.LBB3509_103:
	s_andn2_saveexec_b64 s[6:7], s[6:7]
	s_cbranch_execz .LBB3509_105
; %bb.104:
	s_waitcnt lgkmcnt(3)
	v_lshl_add_u64 v[10:11], v[14:15], 0, v[30:31]
.LBB3509_105:
	s_or_b64 exec, exec, s[6:7]
	s_waitcnt lgkmcnt(3)
	v_lshl_add_u64 v[10:11], v[10:11], 3, s[2:3]
	s_waitcnt lgkmcnt(2)
	global_store_dwordx2 v[10:11], v[6:7], off
	s_or_b64 exec, exec, s[4:5]
	v_cmp_gt_u32_e32 vcc, s33, v28
	s_and_saveexec_b64 s[4:5], vcc
	s_cbranch_execnz .LBB3509_119
.LBB3509_106:
	s_or_b64 exec, exec, s[4:5]
	v_cmp_gt_u32_e32 vcc, s33, v26
	s_and_saveexec_b64 s[4:5], vcc
	s_cbranch_execz .LBB3509_124
.LBB3509_107:
	v_cmp_ge_u32_e32 vcc, v26, v18
                                        ; implicit-def: $vgpr6_vgpr7
	s_and_saveexec_b64 s[6:7], vcc
	s_xor_b64 s[6:7], exec, s[6:7]
	s_cbranch_execz .LBB3509_109
; %bb.108:
	s_waitcnt lgkmcnt(2)
	v_xor_b32_e32 v6, 0xfffff7ff, v0
	v_ashrrev_i32_e32 v7, 31, v6
	v_lshl_add_u64 v[6:7], v[22:23], 0, v[6:7]
                                        ; implicit-def: $vgpr26_vgpr27
.LBB3509_109:
	s_andn2_saveexec_b64 s[6:7], s[6:7]
	s_cbranch_execz .LBB3509_111
; %bb.110:
	s_waitcnt lgkmcnt(2)
	v_lshl_add_u64 v[6:7], v[14:15], 0, v[26:27]
.LBB3509_111:
	s_or_b64 exec, exec, s[6:7]
	s_waitcnt lgkmcnt(2)
	v_lshl_add_u64 v[6:7], v[6:7], 3, s[2:3]
	s_waitcnt lgkmcnt(1)
	global_store_dwordx2 v[6:7], v[2:3], off
	s_or_b64 exec, exec, s[4:5]
	v_cmp_gt_u32_e32 vcc, s33, v24
	s_and_saveexec_b64 s[4:5], vcc
	s_cbranch_execz .LBB3509_130
	s_branch .LBB3509_125
.LBB3509_112:
	s_or_b64 exec, exec, s[4:5]
	v_cmp_gt_u32_e32 vcc, s33, v32
	s_and_saveexec_b64 s[4:5], vcc
	s_cbranch_execz .LBB3509_100
.LBB3509_113:
	v_cmp_ge_u32_e32 vcc, v32, v18
                                        ; implicit-def: $vgpr10_vgpr11
	s_and_saveexec_b64 s[6:7], vcc
	s_xor_b64 s[6:7], exec, s[6:7]
	s_cbranch_execz .LBB3509_115
; %bb.114:
	s_waitcnt lgkmcnt(3)
	v_xor_b32_e32 v10, 0xfffffdff, v0
	v_ashrrev_i32_e32 v11, 31, v10
	v_lshl_add_u64 v[10:11], v[22:23], 0, v[10:11]
                                        ; implicit-def: $vgpr32_vgpr33
.LBB3509_115:
	s_andn2_saveexec_b64 s[6:7], s[6:7]
	s_cbranch_execz .LBB3509_117
; %bb.116:
	s_waitcnt lgkmcnt(3)
	v_lshl_add_u64 v[10:11], v[14:15], 0, v[32:33]
.LBB3509_117:
	s_or_b64 exec, exec, s[6:7]
	s_waitcnt lgkmcnt(3)
	v_lshl_add_u64 v[10:11], v[10:11], 3, s[2:3]
	global_store_dwordx2 v[10:11], v[12:13], off
	s_or_b64 exec, exec, s[4:5]
	v_cmp_gt_u32_e32 vcc, s33, v30
	s_and_saveexec_b64 s[4:5], vcc
	s_cbranch_execnz .LBB3509_101
.LBB3509_118:
	s_or_b64 exec, exec, s[4:5]
	v_cmp_gt_u32_e32 vcc, s33, v28
	s_and_saveexec_b64 s[4:5], vcc
	s_cbranch_execz .LBB3509_106
.LBB3509_119:
	v_cmp_ge_u32_e32 vcc, v28, v18
                                        ; implicit-def: $vgpr6_vgpr7
	s_and_saveexec_b64 s[6:7], vcc
	s_xor_b64 s[6:7], exec, s[6:7]
	s_cbranch_execz .LBB3509_121
; %bb.120:
	s_waitcnt lgkmcnt(2)
	v_xor_b32_e32 v6, 0xfffff9ff, v0
	v_ashrrev_i32_e32 v7, 31, v6
	v_lshl_add_u64 v[6:7], v[22:23], 0, v[6:7]
                                        ; implicit-def: $vgpr28_vgpr29
.LBB3509_121:
	s_andn2_saveexec_b64 s[6:7], s[6:7]
	s_cbranch_execz .LBB3509_123
; %bb.122:
	s_waitcnt lgkmcnt(2)
	v_lshl_add_u64 v[6:7], v[14:15], 0, v[28:29]
.LBB3509_123:
	s_or_b64 exec, exec, s[6:7]
	s_waitcnt lgkmcnt(2)
	v_lshl_add_u64 v[6:7], v[6:7], 3, s[2:3]
	global_store_dwordx2 v[6:7], v[8:9], off
	s_or_b64 exec, exec, s[4:5]
	v_cmp_gt_u32_e32 vcc, s33, v26
	s_and_saveexec_b64 s[4:5], vcc
	s_cbranch_execnz .LBB3509_107
.LBB3509_124:
	s_or_b64 exec, exec, s[4:5]
	v_cmp_gt_u32_e32 vcc, s33, v24
	s_and_saveexec_b64 s[4:5], vcc
	s_cbranch_execz .LBB3509_130
.LBB3509_125:
	v_cmp_ge_u32_e32 vcc, v24, v18
                                        ; implicit-def: $vgpr2_vgpr3
	s_and_saveexec_b64 s[6:7], vcc
	s_xor_b64 s[6:7], exec, s[6:7]
	s_cbranch_execz .LBB3509_127
; %bb.126:
	s_waitcnt lgkmcnt(1)
	v_xor_b32_e32 v2, 0xfffff5ff, v0
	v_ashrrev_i32_e32 v3, 31, v2
	v_lshl_add_u64 v[2:3], v[22:23], 0, v[2:3]
                                        ; implicit-def: $vgpr24_vgpr25
.LBB3509_127:
	s_andn2_saveexec_b64 s[6:7], s[6:7]
	s_cbranch_execz .LBB3509_129
; %bb.128:
	s_waitcnt lgkmcnt(1)
	v_lshl_add_u64 v[2:3], v[14:15], 0, v[24:25]
.LBB3509_129:
	s_or_b64 exec, exec, s[6:7]
	s_waitcnt lgkmcnt(1)
	v_lshl_add_u64 v[2:3], v[2:3], 3, s[2:3]
	global_store_dwordx2 v[2:3], v[4:5], off
.LBB3509_130:
	s_or_b64 exec, exec, s[4:5]
	v_cmp_gt_u32_e32 vcc, s33, v20
                                        ; implicit-def: $vgpr34_vgpr35
	s_and_saveexec_b64 s[4:5], vcc
	s_cbranch_execz .LBB3509_136
; %bb.131:
	v_cmp_ge_u32_e32 vcc, v20, v18
                                        ; implicit-def: $vgpr34_vgpr35
	s_and_saveexec_b64 s[6:7], vcc
	s_xor_b64 s[6:7], exec, s[6:7]
	s_cbranch_execz .LBB3509_133
; %bb.132:
	s_waitcnt lgkmcnt(1)
	v_xor_b32_e32 v2, 0xfffff3ff, v0
	v_ashrrev_i32_e32 v3, 31, v2
	v_lshl_add_u64 v[34:35], v[22:23], 0, v[2:3]
                                        ; implicit-def: $vgpr20_vgpr21
.LBB3509_133:
	s_andn2_saveexec_b64 s[6:7], s[6:7]
; %bb.134:
	v_lshl_add_u64 v[34:35], v[14:15], 0, v[20:21]
; %bb.135:
	s_or_b64 exec, exec, s[6:7]
	s_or_b64 s[0:1], s[0:1], exec
.LBB3509_136:
	s_or_b64 exec, exec, s[4:5]
.LBB3509_137:
	s_and_saveexec_b64 s[4:5], s[0:1]
	s_cbranch_execz .LBB3509_139
; %bb.138:
	s_waitcnt lgkmcnt(1)
	v_lshl_add_u64 v[2:3], v[34:35], 3, s[2:3]
	s_waitcnt lgkmcnt(0)
	global_store_dwordx2 v[2:3], v[16:17], off
.LBB3509_139:
	s_or_b64 exec, exec, s[4:5]
	v_cmp_eq_u32_e32 vcc, 0, v0
	s_and_b64 s[0:1], vcc, s[26:27]
	s_and_saveexec_b64 s[2:3], s[0:1]
	s_cbranch_execz .LBB3509_141
; %bb.140:
	s_waitcnt lgkmcnt(1)
	v_mov_b32_e32 v2, 0
	v_lshl_add_u64 v[0:1], v[14:15], 0, v[18:19]
	global_store_dwordx2 v2, v[0:1], s[24:25]
.LBB3509_141:
	s_endpgm
	.section	.rodata,"a",@progbits
	.p2align	6, 0x0
	.amdhsa_kernel _ZN7rocprim17ROCPRIM_400000_NS6detail17trampoline_kernelINS0_14default_configENS1_25partition_config_selectorILNS1_17partition_subalgoE3EN6thrust23THRUST_200600_302600_NS5tupleIiiNS7_9null_typeES9_S9_S9_S9_S9_S9_S9_EENS0_10empty_typeEbEEZZNS1_14partition_implILS5_3ELb0ES3_jNS7_6detail15normal_iteratorINS7_7pointerISA_NS7_11hip_rocprim3tagENS7_11use_defaultESJ_EEEEPSB_SM_NS0_5tupleIJPSA_SM_EEENSN_IJSM_SM_EEESB_PlJ10is_orderedEEE10hipError_tPvRmT3_T4_T5_T6_T7_T9_mT8_P12ihipStream_tbDpT10_ENKUlT_T0_E_clISt17integral_constantIbLb1EES1B_IbLb0EEEEDaS17_S18_EUlS17_E_NS1_11comp_targetILNS1_3genE5ELNS1_11target_archE942ELNS1_3gpuE9ELNS1_3repE0EEENS1_30default_config_static_selectorELNS0_4arch9wavefront6targetE1EEEvT1_
		.amdhsa_group_segment_fixed_size 28680
		.amdhsa_private_segment_fixed_size 0
		.amdhsa_kernarg_size 120
		.amdhsa_user_sgpr_count 2
		.amdhsa_user_sgpr_dispatch_ptr 0
		.amdhsa_user_sgpr_queue_ptr 0
		.amdhsa_user_sgpr_kernarg_segment_ptr 1
		.amdhsa_user_sgpr_dispatch_id 0
		.amdhsa_user_sgpr_kernarg_preload_length 0
		.amdhsa_user_sgpr_kernarg_preload_offset 0
		.amdhsa_user_sgpr_private_segment_size 0
		.amdhsa_uses_dynamic_stack 0
		.amdhsa_enable_private_segment 0
		.amdhsa_system_sgpr_workgroup_id_x 1
		.amdhsa_system_sgpr_workgroup_id_y 0
		.amdhsa_system_sgpr_workgroup_id_z 0
		.amdhsa_system_sgpr_workgroup_info 0
		.amdhsa_system_vgpr_workitem_id 0
		.amdhsa_next_free_vgpr 56
		.amdhsa_next_free_sgpr 48
		.amdhsa_accum_offset 56
		.amdhsa_reserve_vcc 1
		.amdhsa_float_round_mode_32 0
		.amdhsa_float_round_mode_16_64 0
		.amdhsa_float_denorm_mode_32 3
		.amdhsa_float_denorm_mode_16_64 3
		.amdhsa_dx10_clamp 1
		.amdhsa_ieee_mode 1
		.amdhsa_fp16_overflow 0
		.amdhsa_tg_split 0
		.amdhsa_exception_fp_ieee_invalid_op 0
		.amdhsa_exception_fp_denorm_src 0
		.amdhsa_exception_fp_ieee_div_zero 0
		.amdhsa_exception_fp_ieee_overflow 0
		.amdhsa_exception_fp_ieee_underflow 0
		.amdhsa_exception_fp_ieee_inexact 0
		.amdhsa_exception_int_div_zero 0
	.end_amdhsa_kernel
	.section	.text._ZN7rocprim17ROCPRIM_400000_NS6detail17trampoline_kernelINS0_14default_configENS1_25partition_config_selectorILNS1_17partition_subalgoE3EN6thrust23THRUST_200600_302600_NS5tupleIiiNS7_9null_typeES9_S9_S9_S9_S9_S9_S9_EENS0_10empty_typeEbEEZZNS1_14partition_implILS5_3ELb0ES3_jNS7_6detail15normal_iteratorINS7_7pointerISA_NS7_11hip_rocprim3tagENS7_11use_defaultESJ_EEEEPSB_SM_NS0_5tupleIJPSA_SM_EEENSN_IJSM_SM_EEESB_PlJ10is_orderedEEE10hipError_tPvRmT3_T4_T5_T6_T7_T9_mT8_P12ihipStream_tbDpT10_ENKUlT_T0_E_clISt17integral_constantIbLb1EES1B_IbLb0EEEEDaS17_S18_EUlS17_E_NS1_11comp_targetILNS1_3genE5ELNS1_11target_archE942ELNS1_3gpuE9ELNS1_3repE0EEENS1_30default_config_static_selectorELNS0_4arch9wavefront6targetE1EEEvT1_,"axG",@progbits,_ZN7rocprim17ROCPRIM_400000_NS6detail17trampoline_kernelINS0_14default_configENS1_25partition_config_selectorILNS1_17partition_subalgoE3EN6thrust23THRUST_200600_302600_NS5tupleIiiNS7_9null_typeES9_S9_S9_S9_S9_S9_S9_EENS0_10empty_typeEbEEZZNS1_14partition_implILS5_3ELb0ES3_jNS7_6detail15normal_iteratorINS7_7pointerISA_NS7_11hip_rocprim3tagENS7_11use_defaultESJ_EEEEPSB_SM_NS0_5tupleIJPSA_SM_EEENSN_IJSM_SM_EEESB_PlJ10is_orderedEEE10hipError_tPvRmT3_T4_T5_T6_T7_T9_mT8_P12ihipStream_tbDpT10_ENKUlT_T0_E_clISt17integral_constantIbLb1EES1B_IbLb0EEEEDaS17_S18_EUlS17_E_NS1_11comp_targetILNS1_3genE5ELNS1_11target_archE942ELNS1_3gpuE9ELNS1_3repE0EEENS1_30default_config_static_selectorELNS0_4arch9wavefront6targetE1EEEvT1_,comdat
.Lfunc_end3509:
	.size	_ZN7rocprim17ROCPRIM_400000_NS6detail17trampoline_kernelINS0_14default_configENS1_25partition_config_selectorILNS1_17partition_subalgoE3EN6thrust23THRUST_200600_302600_NS5tupleIiiNS7_9null_typeES9_S9_S9_S9_S9_S9_S9_EENS0_10empty_typeEbEEZZNS1_14partition_implILS5_3ELb0ES3_jNS7_6detail15normal_iteratorINS7_7pointerISA_NS7_11hip_rocprim3tagENS7_11use_defaultESJ_EEEEPSB_SM_NS0_5tupleIJPSA_SM_EEENSN_IJSM_SM_EEESB_PlJ10is_orderedEEE10hipError_tPvRmT3_T4_T5_T6_T7_T9_mT8_P12ihipStream_tbDpT10_ENKUlT_T0_E_clISt17integral_constantIbLb1EES1B_IbLb0EEEEDaS17_S18_EUlS17_E_NS1_11comp_targetILNS1_3genE5ELNS1_11target_archE942ELNS1_3gpuE9ELNS1_3repE0EEENS1_30default_config_static_selectorELNS0_4arch9wavefront6targetE1EEEvT1_, .Lfunc_end3509-_ZN7rocprim17ROCPRIM_400000_NS6detail17trampoline_kernelINS0_14default_configENS1_25partition_config_selectorILNS1_17partition_subalgoE3EN6thrust23THRUST_200600_302600_NS5tupleIiiNS7_9null_typeES9_S9_S9_S9_S9_S9_S9_EENS0_10empty_typeEbEEZZNS1_14partition_implILS5_3ELb0ES3_jNS7_6detail15normal_iteratorINS7_7pointerISA_NS7_11hip_rocprim3tagENS7_11use_defaultESJ_EEEEPSB_SM_NS0_5tupleIJPSA_SM_EEENSN_IJSM_SM_EEESB_PlJ10is_orderedEEE10hipError_tPvRmT3_T4_T5_T6_T7_T9_mT8_P12ihipStream_tbDpT10_ENKUlT_T0_E_clISt17integral_constantIbLb1EES1B_IbLb0EEEEDaS17_S18_EUlS17_E_NS1_11comp_targetILNS1_3genE5ELNS1_11target_archE942ELNS1_3gpuE9ELNS1_3repE0EEENS1_30default_config_static_selectorELNS0_4arch9wavefront6targetE1EEEvT1_
                                        ; -- End function
	.section	.AMDGPU.csdata,"",@progbits
; Kernel info:
; codeLenInByte = 5188
; NumSgprs: 54
; NumVgprs: 56
; NumAgprs: 0
; TotalNumVgprs: 56
; ScratchSize: 0
; MemoryBound: 0
; FloatMode: 240
; IeeeMode: 1
; LDSByteSize: 28680 bytes/workgroup (compile time only)
; SGPRBlocks: 6
; VGPRBlocks: 6
; NumSGPRsForWavesPerEU: 54
; NumVGPRsForWavesPerEU: 56
; AccumOffset: 56
; Occupancy: 4
; WaveLimiterHint : 1
; COMPUTE_PGM_RSRC2:SCRATCH_EN: 0
; COMPUTE_PGM_RSRC2:USER_SGPR: 2
; COMPUTE_PGM_RSRC2:TRAP_HANDLER: 0
; COMPUTE_PGM_RSRC2:TGID_X_EN: 1
; COMPUTE_PGM_RSRC2:TGID_Y_EN: 0
; COMPUTE_PGM_RSRC2:TGID_Z_EN: 0
; COMPUTE_PGM_RSRC2:TIDIG_COMP_CNT: 0
; COMPUTE_PGM_RSRC3_GFX90A:ACCUM_OFFSET: 13
; COMPUTE_PGM_RSRC3_GFX90A:TG_SPLIT: 0
	.section	.text._ZN7rocprim17ROCPRIM_400000_NS6detail17trampoline_kernelINS0_14default_configENS1_25partition_config_selectorILNS1_17partition_subalgoE3EN6thrust23THRUST_200600_302600_NS5tupleIiiNS7_9null_typeES9_S9_S9_S9_S9_S9_S9_EENS0_10empty_typeEbEEZZNS1_14partition_implILS5_3ELb0ES3_jNS7_6detail15normal_iteratorINS7_7pointerISA_NS7_11hip_rocprim3tagENS7_11use_defaultESJ_EEEEPSB_SM_NS0_5tupleIJPSA_SM_EEENSN_IJSM_SM_EEESB_PlJ10is_orderedEEE10hipError_tPvRmT3_T4_T5_T6_T7_T9_mT8_P12ihipStream_tbDpT10_ENKUlT_T0_E_clISt17integral_constantIbLb1EES1B_IbLb0EEEEDaS17_S18_EUlS17_E_NS1_11comp_targetILNS1_3genE4ELNS1_11target_archE910ELNS1_3gpuE8ELNS1_3repE0EEENS1_30default_config_static_selectorELNS0_4arch9wavefront6targetE1EEEvT1_,"axG",@progbits,_ZN7rocprim17ROCPRIM_400000_NS6detail17trampoline_kernelINS0_14default_configENS1_25partition_config_selectorILNS1_17partition_subalgoE3EN6thrust23THRUST_200600_302600_NS5tupleIiiNS7_9null_typeES9_S9_S9_S9_S9_S9_S9_EENS0_10empty_typeEbEEZZNS1_14partition_implILS5_3ELb0ES3_jNS7_6detail15normal_iteratorINS7_7pointerISA_NS7_11hip_rocprim3tagENS7_11use_defaultESJ_EEEEPSB_SM_NS0_5tupleIJPSA_SM_EEENSN_IJSM_SM_EEESB_PlJ10is_orderedEEE10hipError_tPvRmT3_T4_T5_T6_T7_T9_mT8_P12ihipStream_tbDpT10_ENKUlT_T0_E_clISt17integral_constantIbLb1EES1B_IbLb0EEEEDaS17_S18_EUlS17_E_NS1_11comp_targetILNS1_3genE4ELNS1_11target_archE910ELNS1_3gpuE8ELNS1_3repE0EEENS1_30default_config_static_selectorELNS0_4arch9wavefront6targetE1EEEvT1_,comdat
	.protected	_ZN7rocprim17ROCPRIM_400000_NS6detail17trampoline_kernelINS0_14default_configENS1_25partition_config_selectorILNS1_17partition_subalgoE3EN6thrust23THRUST_200600_302600_NS5tupleIiiNS7_9null_typeES9_S9_S9_S9_S9_S9_S9_EENS0_10empty_typeEbEEZZNS1_14partition_implILS5_3ELb0ES3_jNS7_6detail15normal_iteratorINS7_7pointerISA_NS7_11hip_rocprim3tagENS7_11use_defaultESJ_EEEEPSB_SM_NS0_5tupleIJPSA_SM_EEENSN_IJSM_SM_EEESB_PlJ10is_orderedEEE10hipError_tPvRmT3_T4_T5_T6_T7_T9_mT8_P12ihipStream_tbDpT10_ENKUlT_T0_E_clISt17integral_constantIbLb1EES1B_IbLb0EEEEDaS17_S18_EUlS17_E_NS1_11comp_targetILNS1_3genE4ELNS1_11target_archE910ELNS1_3gpuE8ELNS1_3repE0EEENS1_30default_config_static_selectorELNS0_4arch9wavefront6targetE1EEEvT1_ ; -- Begin function _ZN7rocprim17ROCPRIM_400000_NS6detail17trampoline_kernelINS0_14default_configENS1_25partition_config_selectorILNS1_17partition_subalgoE3EN6thrust23THRUST_200600_302600_NS5tupleIiiNS7_9null_typeES9_S9_S9_S9_S9_S9_S9_EENS0_10empty_typeEbEEZZNS1_14partition_implILS5_3ELb0ES3_jNS7_6detail15normal_iteratorINS7_7pointerISA_NS7_11hip_rocprim3tagENS7_11use_defaultESJ_EEEEPSB_SM_NS0_5tupleIJPSA_SM_EEENSN_IJSM_SM_EEESB_PlJ10is_orderedEEE10hipError_tPvRmT3_T4_T5_T6_T7_T9_mT8_P12ihipStream_tbDpT10_ENKUlT_T0_E_clISt17integral_constantIbLb1EES1B_IbLb0EEEEDaS17_S18_EUlS17_E_NS1_11comp_targetILNS1_3genE4ELNS1_11target_archE910ELNS1_3gpuE8ELNS1_3repE0EEENS1_30default_config_static_selectorELNS0_4arch9wavefront6targetE1EEEvT1_
	.globl	_ZN7rocprim17ROCPRIM_400000_NS6detail17trampoline_kernelINS0_14default_configENS1_25partition_config_selectorILNS1_17partition_subalgoE3EN6thrust23THRUST_200600_302600_NS5tupleIiiNS7_9null_typeES9_S9_S9_S9_S9_S9_S9_EENS0_10empty_typeEbEEZZNS1_14partition_implILS5_3ELb0ES3_jNS7_6detail15normal_iteratorINS7_7pointerISA_NS7_11hip_rocprim3tagENS7_11use_defaultESJ_EEEEPSB_SM_NS0_5tupleIJPSA_SM_EEENSN_IJSM_SM_EEESB_PlJ10is_orderedEEE10hipError_tPvRmT3_T4_T5_T6_T7_T9_mT8_P12ihipStream_tbDpT10_ENKUlT_T0_E_clISt17integral_constantIbLb1EES1B_IbLb0EEEEDaS17_S18_EUlS17_E_NS1_11comp_targetILNS1_3genE4ELNS1_11target_archE910ELNS1_3gpuE8ELNS1_3repE0EEENS1_30default_config_static_selectorELNS0_4arch9wavefront6targetE1EEEvT1_
	.p2align	8
	.type	_ZN7rocprim17ROCPRIM_400000_NS6detail17trampoline_kernelINS0_14default_configENS1_25partition_config_selectorILNS1_17partition_subalgoE3EN6thrust23THRUST_200600_302600_NS5tupleIiiNS7_9null_typeES9_S9_S9_S9_S9_S9_S9_EENS0_10empty_typeEbEEZZNS1_14partition_implILS5_3ELb0ES3_jNS7_6detail15normal_iteratorINS7_7pointerISA_NS7_11hip_rocprim3tagENS7_11use_defaultESJ_EEEEPSB_SM_NS0_5tupleIJPSA_SM_EEENSN_IJSM_SM_EEESB_PlJ10is_orderedEEE10hipError_tPvRmT3_T4_T5_T6_T7_T9_mT8_P12ihipStream_tbDpT10_ENKUlT_T0_E_clISt17integral_constantIbLb1EES1B_IbLb0EEEEDaS17_S18_EUlS17_E_NS1_11comp_targetILNS1_3genE4ELNS1_11target_archE910ELNS1_3gpuE8ELNS1_3repE0EEENS1_30default_config_static_selectorELNS0_4arch9wavefront6targetE1EEEvT1_,@function
_ZN7rocprim17ROCPRIM_400000_NS6detail17trampoline_kernelINS0_14default_configENS1_25partition_config_selectorILNS1_17partition_subalgoE3EN6thrust23THRUST_200600_302600_NS5tupleIiiNS7_9null_typeES9_S9_S9_S9_S9_S9_S9_EENS0_10empty_typeEbEEZZNS1_14partition_implILS5_3ELb0ES3_jNS7_6detail15normal_iteratorINS7_7pointerISA_NS7_11hip_rocprim3tagENS7_11use_defaultESJ_EEEEPSB_SM_NS0_5tupleIJPSA_SM_EEENSN_IJSM_SM_EEESB_PlJ10is_orderedEEE10hipError_tPvRmT3_T4_T5_T6_T7_T9_mT8_P12ihipStream_tbDpT10_ENKUlT_T0_E_clISt17integral_constantIbLb1EES1B_IbLb0EEEEDaS17_S18_EUlS17_E_NS1_11comp_targetILNS1_3genE4ELNS1_11target_archE910ELNS1_3gpuE8ELNS1_3repE0EEENS1_30default_config_static_selectorELNS0_4arch9wavefront6targetE1EEEvT1_: ; @_ZN7rocprim17ROCPRIM_400000_NS6detail17trampoline_kernelINS0_14default_configENS1_25partition_config_selectorILNS1_17partition_subalgoE3EN6thrust23THRUST_200600_302600_NS5tupleIiiNS7_9null_typeES9_S9_S9_S9_S9_S9_S9_EENS0_10empty_typeEbEEZZNS1_14partition_implILS5_3ELb0ES3_jNS7_6detail15normal_iteratorINS7_7pointerISA_NS7_11hip_rocprim3tagENS7_11use_defaultESJ_EEEEPSB_SM_NS0_5tupleIJPSA_SM_EEENSN_IJSM_SM_EEESB_PlJ10is_orderedEEE10hipError_tPvRmT3_T4_T5_T6_T7_T9_mT8_P12ihipStream_tbDpT10_ENKUlT_T0_E_clISt17integral_constantIbLb1EES1B_IbLb0EEEEDaS17_S18_EUlS17_E_NS1_11comp_targetILNS1_3genE4ELNS1_11target_archE910ELNS1_3gpuE8ELNS1_3repE0EEENS1_30default_config_static_selectorELNS0_4arch9wavefront6targetE1EEEvT1_
; %bb.0:
	.section	.rodata,"a",@progbits
	.p2align	6, 0x0
	.amdhsa_kernel _ZN7rocprim17ROCPRIM_400000_NS6detail17trampoline_kernelINS0_14default_configENS1_25partition_config_selectorILNS1_17partition_subalgoE3EN6thrust23THRUST_200600_302600_NS5tupleIiiNS7_9null_typeES9_S9_S9_S9_S9_S9_S9_EENS0_10empty_typeEbEEZZNS1_14partition_implILS5_3ELb0ES3_jNS7_6detail15normal_iteratorINS7_7pointerISA_NS7_11hip_rocprim3tagENS7_11use_defaultESJ_EEEEPSB_SM_NS0_5tupleIJPSA_SM_EEENSN_IJSM_SM_EEESB_PlJ10is_orderedEEE10hipError_tPvRmT3_T4_T5_T6_T7_T9_mT8_P12ihipStream_tbDpT10_ENKUlT_T0_E_clISt17integral_constantIbLb1EES1B_IbLb0EEEEDaS17_S18_EUlS17_E_NS1_11comp_targetILNS1_3genE4ELNS1_11target_archE910ELNS1_3gpuE8ELNS1_3repE0EEENS1_30default_config_static_selectorELNS0_4arch9wavefront6targetE1EEEvT1_
		.amdhsa_group_segment_fixed_size 0
		.amdhsa_private_segment_fixed_size 0
		.amdhsa_kernarg_size 120
		.amdhsa_user_sgpr_count 2
		.amdhsa_user_sgpr_dispatch_ptr 0
		.amdhsa_user_sgpr_queue_ptr 0
		.amdhsa_user_sgpr_kernarg_segment_ptr 1
		.amdhsa_user_sgpr_dispatch_id 0
		.amdhsa_user_sgpr_kernarg_preload_length 0
		.amdhsa_user_sgpr_kernarg_preload_offset 0
		.amdhsa_user_sgpr_private_segment_size 0
		.amdhsa_uses_dynamic_stack 0
		.amdhsa_enable_private_segment 0
		.amdhsa_system_sgpr_workgroup_id_x 1
		.amdhsa_system_sgpr_workgroup_id_y 0
		.amdhsa_system_sgpr_workgroup_id_z 0
		.amdhsa_system_sgpr_workgroup_info 0
		.amdhsa_system_vgpr_workitem_id 0
		.amdhsa_next_free_vgpr 1
		.amdhsa_next_free_sgpr 0
		.amdhsa_accum_offset 4
		.amdhsa_reserve_vcc 0
		.amdhsa_float_round_mode_32 0
		.amdhsa_float_round_mode_16_64 0
		.amdhsa_float_denorm_mode_32 3
		.amdhsa_float_denorm_mode_16_64 3
		.amdhsa_dx10_clamp 1
		.amdhsa_ieee_mode 1
		.amdhsa_fp16_overflow 0
		.amdhsa_tg_split 0
		.amdhsa_exception_fp_ieee_invalid_op 0
		.amdhsa_exception_fp_denorm_src 0
		.amdhsa_exception_fp_ieee_div_zero 0
		.amdhsa_exception_fp_ieee_overflow 0
		.amdhsa_exception_fp_ieee_underflow 0
		.amdhsa_exception_fp_ieee_inexact 0
		.amdhsa_exception_int_div_zero 0
	.end_amdhsa_kernel
	.section	.text._ZN7rocprim17ROCPRIM_400000_NS6detail17trampoline_kernelINS0_14default_configENS1_25partition_config_selectorILNS1_17partition_subalgoE3EN6thrust23THRUST_200600_302600_NS5tupleIiiNS7_9null_typeES9_S9_S9_S9_S9_S9_S9_EENS0_10empty_typeEbEEZZNS1_14partition_implILS5_3ELb0ES3_jNS7_6detail15normal_iteratorINS7_7pointerISA_NS7_11hip_rocprim3tagENS7_11use_defaultESJ_EEEEPSB_SM_NS0_5tupleIJPSA_SM_EEENSN_IJSM_SM_EEESB_PlJ10is_orderedEEE10hipError_tPvRmT3_T4_T5_T6_T7_T9_mT8_P12ihipStream_tbDpT10_ENKUlT_T0_E_clISt17integral_constantIbLb1EES1B_IbLb0EEEEDaS17_S18_EUlS17_E_NS1_11comp_targetILNS1_3genE4ELNS1_11target_archE910ELNS1_3gpuE8ELNS1_3repE0EEENS1_30default_config_static_selectorELNS0_4arch9wavefront6targetE1EEEvT1_,"axG",@progbits,_ZN7rocprim17ROCPRIM_400000_NS6detail17trampoline_kernelINS0_14default_configENS1_25partition_config_selectorILNS1_17partition_subalgoE3EN6thrust23THRUST_200600_302600_NS5tupleIiiNS7_9null_typeES9_S9_S9_S9_S9_S9_S9_EENS0_10empty_typeEbEEZZNS1_14partition_implILS5_3ELb0ES3_jNS7_6detail15normal_iteratorINS7_7pointerISA_NS7_11hip_rocprim3tagENS7_11use_defaultESJ_EEEEPSB_SM_NS0_5tupleIJPSA_SM_EEENSN_IJSM_SM_EEESB_PlJ10is_orderedEEE10hipError_tPvRmT3_T4_T5_T6_T7_T9_mT8_P12ihipStream_tbDpT10_ENKUlT_T0_E_clISt17integral_constantIbLb1EES1B_IbLb0EEEEDaS17_S18_EUlS17_E_NS1_11comp_targetILNS1_3genE4ELNS1_11target_archE910ELNS1_3gpuE8ELNS1_3repE0EEENS1_30default_config_static_selectorELNS0_4arch9wavefront6targetE1EEEvT1_,comdat
.Lfunc_end3510:
	.size	_ZN7rocprim17ROCPRIM_400000_NS6detail17trampoline_kernelINS0_14default_configENS1_25partition_config_selectorILNS1_17partition_subalgoE3EN6thrust23THRUST_200600_302600_NS5tupleIiiNS7_9null_typeES9_S9_S9_S9_S9_S9_S9_EENS0_10empty_typeEbEEZZNS1_14partition_implILS5_3ELb0ES3_jNS7_6detail15normal_iteratorINS7_7pointerISA_NS7_11hip_rocprim3tagENS7_11use_defaultESJ_EEEEPSB_SM_NS0_5tupleIJPSA_SM_EEENSN_IJSM_SM_EEESB_PlJ10is_orderedEEE10hipError_tPvRmT3_T4_T5_T6_T7_T9_mT8_P12ihipStream_tbDpT10_ENKUlT_T0_E_clISt17integral_constantIbLb1EES1B_IbLb0EEEEDaS17_S18_EUlS17_E_NS1_11comp_targetILNS1_3genE4ELNS1_11target_archE910ELNS1_3gpuE8ELNS1_3repE0EEENS1_30default_config_static_selectorELNS0_4arch9wavefront6targetE1EEEvT1_, .Lfunc_end3510-_ZN7rocprim17ROCPRIM_400000_NS6detail17trampoline_kernelINS0_14default_configENS1_25partition_config_selectorILNS1_17partition_subalgoE3EN6thrust23THRUST_200600_302600_NS5tupleIiiNS7_9null_typeES9_S9_S9_S9_S9_S9_S9_EENS0_10empty_typeEbEEZZNS1_14partition_implILS5_3ELb0ES3_jNS7_6detail15normal_iteratorINS7_7pointerISA_NS7_11hip_rocprim3tagENS7_11use_defaultESJ_EEEEPSB_SM_NS0_5tupleIJPSA_SM_EEENSN_IJSM_SM_EEESB_PlJ10is_orderedEEE10hipError_tPvRmT3_T4_T5_T6_T7_T9_mT8_P12ihipStream_tbDpT10_ENKUlT_T0_E_clISt17integral_constantIbLb1EES1B_IbLb0EEEEDaS17_S18_EUlS17_E_NS1_11comp_targetILNS1_3genE4ELNS1_11target_archE910ELNS1_3gpuE8ELNS1_3repE0EEENS1_30default_config_static_selectorELNS0_4arch9wavefront6targetE1EEEvT1_
                                        ; -- End function
	.section	.AMDGPU.csdata,"",@progbits
; Kernel info:
; codeLenInByte = 0
; NumSgprs: 6
; NumVgprs: 0
; NumAgprs: 0
; TotalNumVgprs: 0
; ScratchSize: 0
; MemoryBound: 0
; FloatMode: 240
; IeeeMode: 1
; LDSByteSize: 0 bytes/workgroup (compile time only)
; SGPRBlocks: 0
; VGPRBlocks: 0
; NumSGPRsForWavesPerEU: 6
; NumVGPRsForWavesPerEU: 1
; AccumOffset: 4
; Occupancy: 8
; WaveLimiterHint : 0
; COMPUTE_PGM_RSRC2:SCRATCH_EN: 0
; COMPUTE_PGM_RSRC2:USER_SGPR: 2
; COMPUTE_PGM_RSRC2:TRAP_HANDLER: 0
; COMPUTE_PGM_RSRC2:TGID_X_EN: 1
; COMPUTE_PGM_RSRC2:TGID_Y_EN: 0
; COMPUTE_PGM_RSRC2:TGID_Z_EN: 0
; COMPUTE_PGM_RSRC2:TIDIG_COMP_CNT: 0
; COMPUTE_PGM_RSRC3_GFX90A:ACCUM_OFFSET: 0
; COMPUTE_PGM_RSRC3_GFX90A:TG_SPLIT: 0
	.section	.text._ZN7rocprim17ROCPRIM_400000_NS6detail17trampoline_kernelINS0_14default_configENS1_25partition_config_selectorILNS1_17partition_subalgoE3EN6thrust23THRUST_200600_302600_NS5tupleIiiNS7_9null_typeES9_S9_S9_S9_S9_S9_S9_EENS0_10empty_typeEbEEZZNS1_14partition_implILS5_3ELb0ES3_jNS7_6detail15normal_iteratorINS7_7pointerISA_NS7_11hip_rocprim3tagENS7_11use_defaultESJ_EEEEPSB_SM_NS0_5tupleIJPSA_SM_EEENSN_IJSM_SM_EEESB_PlJ10is_orderedEEE10hipError_tPvRmT3_T4_T5_T6_T7_T9_mT8_P12ihipStream_tbDpT10_ENKUlT_T0_E_clISt17integral_constantIbLb1EES1B_IbLb0EEEEDaS17_S18_EUlS17_E_NS1_11comp_targetILNS1_3genE3ELNS1_11target_archE908ELNS1_3gpuE7ELNS1_3repE0EEENS1_30default_config_static_selectorELNS0_4arch9wavefront6targetE1EEEvT1_,"axG",@progbits,_ZN7rocprim17ROCPRIM_400000_NS6detail17trampoline_kernelINS0_14default_configENS1_25partition_config_selectorILNS1_17partition_subalgoE3EN6thrust23THRUST_200600_302600_NS5tupleIiiNS7_9null_typeES9_S9_S9_S9_S9_S9_S9_EENS0_10empty_typeEbEEZZNS1_14partition_implILS5_3ELb0ES3_jNS7_6detail15normal_iteratorINS7_7pointerISA_NS7_11hip_rocprim3tagENS7_11use_defaultESJ_EEEEPSB_SM_NS0_5tupleIJPSA_SM_EEENSN_IJSM_SM_EEESB_PlJ10is_orderedEEE10hipError_tPvRmT3_T4_T5_T6_T7_T9_mT8_P12ihipStream_tbDpT10_ENKUlT_T0_E_clISt17integral_constantIbLb1EES1B_IbLb0EEEEDaS17_S18_EUlS17_E_NS1_11comp_targetILNS1_3genE3ELNS1_11target_archE908ELNS1_3gpuE7ELNS1_3repE0EEENS1_30default_config_static_selectorELNS0_4arch9wavefront6targetE1EEEvT1_,comdat
	.protected	_ZN7rocprim17ROCPRIM_400000_NS6detail17trampoline_kernelINS0_14default_configENS1_25partition_config_selectorILNS1_17partition_subalgoE3EN6thrust23THRUST_200600_302600_NS5tupleIiiNS7_9null_typeES9_S9_S9_S9_S9_S9_S9_EENS0_10empty_typeEbEEZZNS1_14partition_implILS5_3ELb0ES3_jNS7_6detail15normal_iteratorINS7_7pointerISA_NS7_11hip_rocprim3tagENS7_11use_defaultESJ_EEEEPSB_SM_NS0_5tupleIJPSA_SM_EEENSN_IJSM_SM_EEESB_PlJ10is_orderedEEE10hipError_tPvRmT3_T4_T5_T6_T7_T9_mT8_P12ihipStream_tbDpT10_ENKUlT_T0_E_clISt17integral_constantIbLb1EES1B_IbLb0EEEEDaS17_S18_EUlS17_E_NS1_11comp_targetILNS1_3genE3ELNS1_11target_archE908ELNS1_3gpuE7ELNS1_3repE0EEENS1_30default_config_static_selectorELNS0_4arch9wavefront6targetE1EEEvT1_ ; -- Begin function _ZN7rocprim17ROCPRIM_400000_NS6detail17trampoline_kernelINS0_14default_configENS1_25partition_config_selectorILNS1_17partition_subalgoE3EN6thrust23THRUST_200600_302600_NS5tupleIiiNS7_9null_typeES9_S9_S9_S9_S9_S9_S9_EENS0_10empty_typeEbEEZZNS1_14partition_implILS5_3ELb0ES3_jNS7_6detail15normal_iteratorINS7_7pointerISA_NS7_11hip_rocprim3tagENS7_11use_defaultESJ_EEEEPSB_SM_NS0_5tupleIJPSA_SM_EEENSN_IJSM_SM_EEESB_PlJ10is_orderedEEE10hipError_tPvRmT3_T4_T5_T6_T7_T9_mT8_P12ihipStream_tbDpT10_ENKUlT_T0_E_clISt17integral_constantIbLb1EES1B_IbLb0EEEEDaS17_S18_EUlS17_E_NS1_11comp_targetILNS1_3genE3ELNS1_11target_archE908ELNS1_3gpuE7ELNS1_3repE0EEENS1_30default_config_static_selectorELNS0_4arch9wavefront6targetE1EEEvT1_
	.globl	_ZN7rocprim17ROCPRIM_400000_NS6detail17trampoline_kernelINS0_14default_configENS1_25partition_config_selectorILNS1_17partition_subalgoE3EN6thrust23THRUST_200600_302600_NS5tupleIiiNS7_9null_typeES9_S9_S9_S9_S9_S9_S9_EENS0_10empty_typeEbEEZZNS1_14partition_implILS5_3ELb0ES3_jNS7_6detail15normal_iteratorINS7_7pointerISA_NS7_11hip_rocprim3tagENS7_11use_defaultESJ_EEEEPSB_SM_NS0_5tupleIJPSA_SM_EEENSN_IJSM_SM_EEESB_PlJ10is_orderedEEE10hipError_tPvRmT3_T4_T5_T6_T7_T9_mT8_P12ihipStream_tbDpT10_ENKUlT_T0_E_clISt17integral_constantIbLb1EES1B_IbLb0EEEEDaS17_S18_EUlS17_E_NS1_11comp_targetILNS1_3genE3ELNS1_11target_archE908ELNS1_3gpuE7ELNS1_3repE0EEENS1_30default_config_static_selectorELNS0_4arch9wavefront6targetE1EEEvT1_
	.p2align	8
	.type	_ZN7rocprim17ROCPRIM_400000_NS6detail17trampoline_kernelINS0_14default_configENS1_25partition_config_selectorILNS1_17partition_subalgoE3EN6thrust23THRUST_200600_302600_NS5tupleIiiNS7_9null_typeES9_S9_S9_S9_S9_S9_S9_EENS0_10empty_typeEbEEZZNS1_14partition_implILS5_3ELb0ES3_jNS7_6detail15normal_iteratorINS7_7pointerISA_NS7_11hip_rocprim3tagENS7_11use_defaultESJ_EEEEPSB_SM_NS0_5tupleIJPSA_SM_EEENSN_IJSM_SM_EEESB_PlJ10is_orderedEEE10hipError_tPvRmT3_T4_T5_T6_T7_T9_mT8_P12ihipStream_tbDpT10_ENKUlT_T0_E_clISt17integral_constantIbLb1EES1B_IbLb0EEEEDaS17_S18_EUlS17_E_NS1_11comp_targetILNS1_3genE3ELNS1_11target_archE908ELNS1_3gpuE7ELNS1_3repE0EEENS1_30default_config_static_selectorELNS0_4arch9wavefront6targetE1EEEvT1_,@function
_ZN7rocprim17ROCPRIM_400000_NS6detail17trampoline_kernelINS0_14default_configENS1_25partition_config_selectorILNS1_17partition_subalgoE3EN6thrust23THRUST_200600_302600_NS5tupleIiiNS7_9null_typeES9_S9_S9_S9_S9_S9_S9_EENS0_10empty_typeEbEEZZNS1_14partition_implILS5_3ELb0ES3_jNS7_6detail15normal_iteratorINS7_7pointerISA_NS7_11hip_rocprim3tagENS7_11use_defaultESJ_EEEEPSB_SM_NS0_5tupleIJPSA_SM_EEENSN_IJSM_SM_EEESB_PlJ10is_orderedEEE10hipError_tPvRmT3_T4_T5_T6_T7_T9_mT8_P12ihipStream_tbDpT10_ENKUlT_T0_E_clISt17integral_constantIbLb1EES1B_IbLb0EEEEDaS17_S18_EUlS17_E_NS1_11comp_targetILNS1_3genE3ELNS1_11target_archE908ELNS1_3gpuE7ELNS1_3repE0EEENS1_30default_config_static_selectorELNS0_4arch9wavefront6targetE1EEEvT1_: ; @_ZN7rocprim17ROCPRIM_400000_NS6detail17trampoline_kernelINS0_14default_configENS1_25partition_config_selectorILNS1_17partition_subalgoE3EN6thrust23THRUST_200600_302600_NS5tupleIiiNS7_9null_typeES9_S9_S9_S9_S9_S9_S9_EENS0_10empty_typeEbEEZZNS1_14partition_implILS5_3ELb0ES3_jNS7_6detail15normal_iteratorINS7_7pointerISA_NS7_11hip_rocprim3tagENS7_11use_defaultESJ_EEEEPSB_SM_NS0_5tupleIJPSA_SM_EEENSN_IJSM_SM_EEESB_PlJ10is_orderedEEE10hipError_tPvRmT3_T4_T5_T6_T7_T9_mT8_P12ihipStream_tbDpT10_ENKUlT_T0_E_clISt17integral_constantIbLb1EES1B_IbLb0EEEEDaS17_S18_EUlS17_E_NS1_11comp_targetILNS1_3genE3ELNS1_11target_archE908ELNS1_3gpuE7ELNS1_3repE0EEENS1_30default_config_static_selectorELNS0_4arch9wavefront6targetE1EEEvT1_
; %bb.0:
	.section	.rodata,"a",@progbits
	.p2align	6, 0x0
	.amdhsa_kernel _ZN7rocprim17ROCPRIM_400000_NS6detail17trampoline_kernelINS0_14default_configENS1_25partition_config_selectorILNS1_17partition_subalgoE3EN6thrust23THRUST_200600_302600_NS5tupleIiiNS7_9null_typeES9_S9_S9_S9_S9_S9_S9_EENS0_10empty_typeEbEEZZNS1_14partition_implILS5_3ELb0ES3_jNS7_6detail15normal_iteratorINS7_7pointerISA_NS7_11hip_rocprim3tagENS7_11use_defaultESJ_EEEEPSB_SM_NS0_5tupleIJPSA_SM_EEENSN_IJSM_SM_EEESB_PlJ10is_orderedEEE10hipError_tPvRmT3_T4_T5_T6_T7_T9_mT8_P12ihipStream_tbDpT10_ENKUlT_T0_E_clISt17integral_constantIbLb1EES1B_IbLb0EEEEDaS17_S18_EUlS17_E_NS1_11comp_targetILNS1_3genE3ELNS1_11target_archE908ELNS1_3gpuE7ELNS1_3repE0EEENS1_30default_config_static_selectorELNS0_4arch9wavefront6targetE1EEEvT1_
		.amdhsa_group_segment_fixed_size 0
		.amdhsa_private_segment_fixed_size 0
		.amdhsa_kernarg_size 120
		.amdhsa_user_sgpr_count 2
		.amdhsa_user_sgpr_dispatch_ptr 0
		.amdhsa_user_sgpr_queue_ptr 0
		.amdhsa_user_sgpr_kernarg_segment_ptr 1
		.amdhsa_user_sgpr_dispatch_id 0
		.amdhsa_user_sgpr_kernarg_preload_length 0
		.amdhsa_user_sgpr_kernarg_preload_offset 0
		.amdhsa_user_sgpr_private_segment_size 0
		.amdhsa_uses_dynamic_stack 0
		.amdhsa_enable_private_segment 0
		.amdhsa_system_sgpr_workgroup_id_x 1
		.amdhsa_system_sgpr_workgroup_id_y 0
		.amdhsa_system_sgpr_workgroup_id_z 0
		.amdhsa_system_sgpr_workgroup_info 0
		.amdhsa_system_vgpr_workitem_id 0
		.amdhsa_next_free_vgpr 1
		.amdhsa_next_free_sgpr 0
		.amdhsa_accum_offset 4
		.amdhsa_reserve_vcc 0
		.amdhsa_float_round_mode_32 0
		.amdhsa_float_round_mode_16_64 0
		.amdhsa_float_denorm_mode_32 3
		.amdhsa_float_denorm_mode_16_64 3
		.amdhsa_dx10_clamp 1
		.amdhsa_ieee_mode 1
		.amdhsa_fp16_overflow 0
		.amdhsa_tg_split 0
		.amdhsa_exception_fp_ieee_invalid_op 0
		.amdhsa_exception_fp_denorm_src 0
		.amdhsa_exception_fp_ieee_div_zero 0
		.amdhsa_exception_fp_ieee_overflow 0
		.amdhsa_exception_fp_ieee_underflow 0
		.amdhsa_exception_fp_ieee_inexact 0
		.amdhsa_exception_int_div_zero 0
	.end_amdhsa_kernel
	.section	.text._ZN7rocprim17ROCPRIM_400000_NS6detail17trampoline_kernelINS0_14default_configENS1_25partition_config_selectorILNS1_17partition_subalgoE3EN6thrust23THRUST_200600_302600_NS5tupleIiiNS7_9null_typeES9_S9_S9_S9_S9_S9_S9_EENS0_10empty_typeEbEEZZNS1_14partition_implILS5_3ELb0ES3_jNS7_6detail15normal_iteratorINS7_7pointerISA_NS7_11hip_rocprim3tagENS7_11use_defaultESJ_EEEEPSB_SM_NS0_5tupleIJPSA_SM_EEENSN_IJSM_SM_EEESB_PlJ10is_orderedEEE10hipError_tPvRmT3_T4_T5_T6_T7_T9_mT8_P12ihipStream_tbDpT10_ENKUlT_T0_E_clISt17integral_constantIbLb1EES1B_IbLb0EEEEDaS17_S18_EUlS17_E_NS1_11comp_targetILNS1_3genE3ELNS1_11target_archE908ELNS1_3gpuE7ELNS1_3repE0EEENS1_30default_config_static_selectorELNS0_4arch9wavefront6targetE1EEEvT1_,"axG",@progbits,_ZN7rocprim17ROCPRIM_400000_NS6detail17trampoline_kernelINS0_14default_configENS1_25partition_config_selectorILNS1_17partition_subalgoE3EN6thrust23THRUST_200600_302600_NS5tupleIiiNS7_9null_typeES9_S9_S9_S9_S9_S9_S9_EENS0_10empty_typeEbEEZZNS1_14partition_implILS5_3ELb0ES3_jNS7_6detail15normal_iteratorINS7_7pointerISA_NS7_11hip_rocprim3tagENS7_11use_defaultESJ_EEEEPSB_SM_NS0_5tupleIJPSA_SM_EEENSN_IJSM_SM_EEESB_PlJ10is_orderedEEE10hipError_tPvRmT3_T4_T5_T6_T7_T9_mT8_P12ihipStream_tbDpT10_ENKUlT_T0_E_clISt17integral_constantIbLb1EES1B_IbLb0EEEEDaS17_S18_EUlS17_E_NS1_11comp_targetILNS1_3genE3ELNS1_11target_archE908ELNS1_3gpuE7ELNS1_3repE0EEENS1_30default_config_static_selectorELNS0_4arch9wavefront6targetE1EEEvT1_,comdat
.Lfunc_end3511:
	.size	_ZN7rocprim17ROCPRIM_400000_NS6detail17trampoline_kernelINS0_14default_configENS1_25partition_config_selectorILNS1_17partition_subalgoE3EN6thrust23THRUST_200600_302600_NS5tupleIiiNS7_9null_typeES9_S9_S9_S9_S9_S9_S9_EENS0_10empty_typeEbEEZZNS1_14partition_implILS5_3ELb0ES3_jNS7_6detail15normal_iteratorINS7_7pointerISA_NS7_11hip_rocprim3tagENS7_11use_defaultESJ_EEEEPSB_SM_NS0_5tupleIJPSA_SM_EEENSN_IJSM_SM_EEESB_PlJ10is_orderedEEE10hipError_tPvRmT3_T4_T5_T6_T7_T9_mT8_P12ihipStream_tbDpT10_ENKUlT_T0_E_clISt17integral_constantIbLb1EES1B_IbLb0EEEEDaS17_S18_EUlS17_E_NS1_11comp_targetILNS1_3genE3ELNS1_11target_archE908ELNS1_3gpuE7ELNS1_3repE0EEENS1_30default_config_static_selectorELNS0_4arch9wavefront6targetE1EEEvT1_, .Lfunc_end3511-_ZN7rocprim17ROCPRIM_400000_NS6detail17trampoline_kernelINS0_14default_configENS1_25partition_config_selectorILNS1_17partition_subalgoE3EN6thrust23THRUST_200600_302600_NS5tupleIiiNS7_9null_typeES9_S9_S9_S9_S9_S9_S9_EENS0_10empty_typeEbEEZZNS1_14partition_implILS5_3ELb0ES3_jNS7_6detail15normal_iteratorINS7_7pointerISA_NS7_11hip_rocprim3tagENS7_11use_defaultESJ_EEEEPSB_SM_NS0_5tupleIJPSA_SM_EEENSN_IJSM_SM_EEESB_PlJ10is_orderedEEE10hipError_tPvRmT3_T4_T5_T6_T7_T9_mT8_P12ihipStream_tbDpT10_ENKUlT_T0_E_clISt17integral_constantIbLb1EES1B_IbLb0EEEEDaS17_S18_EUlS17_E_NS1_11comp_targetILNS1_3genE3ELNS1_11target_archE908ELNS1_3gpuE7ELNS1_3repE0EEENS1_30default_config_static_selectorELNS0_4arch9wavefront6targetE1EEEvT1_
                                        ; -- End function
	.section	.AMDGPU.csdata,"",@progbits
; Kernel info:
; codeLenInByte = 0
; NumSgprs: 6
; NumVgprs: 0
; NumAgprs: 0
; TotalNumVgprs: 0
; ScratchSize: 0
; MemoryBound: 0
; FloatMode: 240
; IeeeMode: 1
; LDSByteSize: 0 bytes/workgroup (compile time only)
; SGPRBlocks: 0
; VGPRBlocks: 0
; NumSGPRsForWavesPerEU: 6
; NumVGPRsForWavesPerEU: 1
; AccumOffset: 4
; Occupancy: 8
; WaveLimiterHint : 0
; COMPUTE_PGM_RSRC2:SCRATCH_EN: 0
; COMPUTE_PGM_RSRC2:USER_SGPR: 2
; COMPUTE_PGM_RSRC2:TRAP_HANDLER: 0
; COMPUTE_PGM_RSRC2:TGID_X_EN: 1
; COMPUTE_PGM_RSRC2:TGID_Y_EN: 0
; COMPUTE_PGM_RSRC2:TGID_Z_EN: 0
; COMPUTE_PGM_RSRC2:TIDIG_COMP_CNT: 0
; COMPUTE_PGM_RSRC3_GFX90A:ACCUM_OFFSET: 0
; COMPUTE_PGM_RSRC3_GFX90A:TG_SPLIT: 0
	.section	.text._ZN7rocprim17ROCPRIM_400000_NS6detail17trampoline_kernelINS0_14default_configENS1_25partition_config_selectorILNS1_17partition_subalgoE3EN6thrust23THRUST_200600_302600_NS5tupleIiiNS7_9null_typeES9_S9_S9_S9_S9_S9_S9_EENS0_10empty_typeEbEEZZNS1_14partition_implILS5_3ELb0ES3_jNS7_6detail15normal_iteratorINS7_7pointerISA_NS7_11hip_rocprim3tagENS7_11use_defaultESJ_EEEEPSB_SM_NS0_5tupleIJPSA_SM_EEENSN_IJSM_SM_EEESB_PlJ10is_orderedEEE10hipError_tPvRmT3_T4_T5_T6_T7_T9_mT8_P12ihipStream_tbDpT10_ENKUlT_T0_E_clISt17integral_constantIbLb1EES1B_IbLb0EEEEDaS17_S18_EUlS17_E_NS1_11comp_targetILNS1_3genE2ELNS1_11target_archE906ELNS1_3gpuE6ELNS1_3repE0EEENS1_30default_config_static_selectorELNS0_4arch9wavefront6targetE1EEEvT1_,"axG",@progbits,_ZN7rocprim17ROCPRIM_400000_NS6detail17trampoline_kernelINS0_14default_configENS1_25partition_config_selectorILNS1_17partition_subalgoE3EN6thrust23THRUST_200600_302600_NS5tupleIiiNS7_9null_typeES9_S9_S9_S9_S9_S9_S9_EENS0_10empty_typeEbEEZZNS1_14partition_implILS5_3ELb0ES3_jNS7_6detail15normal_iteratorINS7_7pointerISA_NS7_11hip_rocprim3tagENS7_11use_defaultESJ_EEEEPSB_SM_NS0_5tupleIJPSA_SM_EEENSN_IJSM_SM_EEESB_PlJ10is_orderedEEE10hipError_tPvRmT3_T4_T5_T6_T7_T9_mT8_P12ihipStream_tbDpT10_ENKUlT_T0_E_clISt17integral_constantIbLb1EES1B_IbLb0EEEEDaS17_S18_EUlS17_E_NS1_11comp_targetILNS1_3genE2ELNS1_11target_archE906ELNS1_3gpuE6ELNS1_3repE0EEENS1_30default_config_static_selectorELNS0_4arch9wavefront6targetE1EEEvT1_,comdat
	.protected	_ZN7rocprim17ROCPRIM_400000_NS6detail17trampoline_kernelINS0_14default_configENS1_25partition_config_selectorILNS1_17partition_subalgoE3EN6thrust23THRUST_200600_302600_NS5tupleIiiNS7_9null_typeES9_S9_S9_S9_S9_S9_S9_EENS0_10empty_typeEbEEZZNS1_14partition_implILS5_3ELb0ES3_jNS7_6detail15normal_iteratorINS7_7pointerISA_NS7_11hip_rocprim3tagENS7_11use_defaultESJ_EEEEPSB_SM_NS0_5tupleIJPSA_SM_EEENSN_IJSM_SM_EEESB_PlJ10is_orderedEEE10hipError_tPvRmT3_T4_T5_T6_T7_T9_mT8_P12ihipStream_tbDpT10_ENKUlT_T0_E_clISt17integral_constantIbLb1EES1B_IbLb0EEEEDaS17_S18_EUlS17_E_NS1_11comp_targetILNS1_3genE2ELNS1_11target_archE906ELNS1_3gpuE6ELNS1_3repE0EEENS1_30default_config_static_selectorELNS0_4arch9wavefront6targetE1EEEvT1_ ; -- Begin function _ZN7rocprim17ROCPRIM_400000_NS6detail17trampoline_kernelINS0_14default_configENS1_25partition_config_selectorILNS1_17partition_subalgoE3EN6thrust23THRUST_200600_302600_NS5tupleIiiNS7_9null_typeES9_S9_S9_S9_S9_S9_S9_EENS0_10empty_typeEbEEZZNS1_14partition_implILS5_3ELb0ES3_jNS7_6detail15normal_iteratorINS7_7pointerISA_NS7_11hip_rocprim3tagENS7_11use_defaultESJ_EEEEPSB_SM_NS0_5tupleIJPSA_SM_EEENSN_IJSM_SM_EEESB_PlJ10is_orderedEEE10hipError_tPvRmT3_T4_T5_T6_T7_T9_mT8_P12ihipStream_tbDpT10_ENKUlT_T0_E_clISt17integral_constantIbLb1EES1B_IbLb0EEEEDaS17_S18_EUlS17_E_NS1_11comp_targetILNS1_3genE2ELNS1_11target_archE906ELNS1_3gpuE6ELNS1_3repE0EEENS1_30default_config_static_selectorELNS0_4arch9wavefront6targetE1EEEvT1_
	.globl	_ZN7rocprim17ROCPRIM_400000_NS6detail17trampoline_kernelINS0_14default_configENS1_25partition_config_selectorILNS1_17partition_subalgoE3EN6thrust23THRUST_200600_302600_NS5tupleIiiNS7_9null_typeES9_S9_S9_S9_S9_S9_S9_EENS0_10empty_typeEbEEZZNS1_14partition_implILS5_3ELb0ES3_jNS7_6detail15normal_iteratorINS7_7pointerISA_NS7_11hip_rocprim3tagENS7_11use_defaultESJ_EEEEPSB_SM_NS0_5tupleIJPSA_SM_EEENSN_IJSM_SM_EEESB_PlJ10is_orderedEEE10hipError_tPvRmT3_T4_T5_T6_T7_T9_mT8_P12ihipStream_tbDpT10_ENKUlT_T0_E_clISt17integral_constantIbLb1EES1B_IbLb0EEEEDaS17_S18_EUlS17_E_NS1_11comp_targetILNS1_3genE2ELNS1_11target_archE906ELNS1_3gpuE6ELNS1_3repE0EEENS1_30default_config_static_selectorELNS0_4arch9wavefront6targetE1EEEvT1_
	.p2align	8
	.type	_ZN7rocprim17ROCPRIM_400000_NS6detail17trampoline_kernelINS0_14default_configENS1_25partition_config_selectorILNS1_17partition_subalgoE3EN6thrust23THRUST_200600_302600_NS5tupleIiiNS7_9null_typeES9_S9_S9_S9_S9_S9_S9_EENS0_10empty_typeEbEEZZNS1_14partition_implILS5_3ELb0ES3_jNS7_6detail15normal_iteratorINS7_7pointerISA_NS7_11hip_rocprim3tagENS7_11use_defaultESJ_EEEEPSB_SM_NS0_5tupleIJPSA_SM_EEENSN_IJSM_SM_EEESB_PlJ10is_orderedEEE10hipError_tPvRmT3_T4_T5_T6_T7_T9_mT8_P12ihipStream_tbDpT10_ENKUlT_T0_E_clISt17integral_constantIbLb1EES1B_IbLb0EEEEDaS17_S18_EUlS17_E_NS1_11comp_targetILNS1_3genE2ELNS1_11target_archE906ELNS1_3gpuE6ELNS1_3repE0EEENS1_30default_config_static_selectorELNS0_4arch9wavefront6targetE1EEEvT1_,@function
_ZN7rocprim17ROCPRIM_400000_NS6detail17trampoline_kernelINS0_14default_configENS1_25partition_config_selectorILNS1_17partition_subalgoE3EN6thrust23THRUST_200600_302600_NS5tupleIiiNS7_9null_typeES9_S9_S9_S9_S9_S9_S9_EENS0_10empty_typeEbEEZZNS1_14partition_implILS5_3ELb0ES3_jNS7_6detail15normal_iteratorINS7_7pointerISA_NS7_11hip_rocprim3tagENS7_11use_defaultESJ_EEEEPSB_SM_NS0_5tupleIJPSA_SM_EEENSN_IJSM_SM_EEESB_PlJ10is_orderedEEE10hipError_tPvRmT3_T4_T5_T6_T7_T9_mT8_P12ihipStream_tbDpT10_ENKUlT_T0_E_clISt17integral_constantIbLb1EES1B_IbLb0EEEEDaS17_S18_EUlS17_E_NS1_11comp_targetILNS1_3genE2ELNS1_11target_archE906ELNS1_3gpuE6ELNS1_3repE0EEENS1_30default_config_static_selectorELNS0_4arch9wavefront6targetE1EEEvT1_: ; @_ZN7rocprim17ROCPRIM_400000_NS6detail17trampoline_kernelINS0_14default_configENS1_25partition_config_selectorILNS1_17partition_subalgoE3EN6thrust23THRUST_200600_302600_NS5tupleIiiNS7_9null_typeES9_S9_S9_S9_S9_S9_S9_EENS0_10empty_typeEbEEZZNS1_14partition_implILS5_3ELb0ES3_jNS7_6detail15normal_iteratorINS7_7pointerISA_NS7_11hip_rocprim3tagENS7_11use_defaultESJ_EEEEPSB_SM_NS0_5tupleIJPSA_SM_EEENSN_IJSM_SM_EEESB_PlJ10is_orderedEEE10hipError_tPvRmT3_T4_T5_T6_T7_T9_mT8_P12ihipStream_tbDpT10_ENKUlT_T0_E_clISt17integral_constantIbLb1EES1B_IbLb0EEEEDaS17_S18_EUlS17_E_NS1_11comp_targetILNS1_3genE2ELNS1_11target_archE906ELNS1_3gpuE6ELNS1_3repE0EEENS1_30default_config_static_selectorELNS0_4arch9wavefront6targetE1EEEvT1_
; %bb.0:
	.section	.rodata,"a",@progbits
	.p2align	6, 0x0
	.amdhsa_kernel _ZN7rocprim17ROCPRIM_400000_NS6detail17trampoline_kernelINS0_14default_configENS1_25partition_config_selectorILNS1_17partition_subalgoE3EN6thrust23THRUST_200600_302600_NS5tupleIiiNS7_9null_typeES9_S9_S9_S9_S9_S9_S9_EENS0_10empty_typeEbEEZZNS1_14partition_implILS5_3ELb0ES3_jNS7_6detail15normal_iteratorINS7_7pointerISA_NS7_11hip_rocprim3tagENS7_11use_defaultESJ_EEEEPSB_SM_NS0_5tupleIJPSA_SM_EEENSN_IJSM_SM_EEESB_PlJ10is_orderedEEE10hipError_tPvRmT3_T4_T5_T6_T7_T9_mT8_P12ihipStream_tbDpT10_ENKUlT_T0_E_clISt17integral_constantIbLb1EES1B_IbLb0EEEEDaS17_S18_EUlS17_E_NS1_11comp_targetILNS1_3genE2ELNS1_11target_archE906ELNS1_3gpuE6ELNS1_3repE0EEENS1_30default_config_static_selectorELNS0_4arch9wavefront6targetE1EEEvT1_
		.amdhsa_group_segment_fixed_size 0
		.amdhsa_private_segment_fixed_size 0
		.amdhsa_kernarg_size 120
		.amdhsa_user_sgpr_count 2
		.amdhsa_user_sgpr_dispatch_ptr 0
		.amdhsa_user_sgpr_queue_ptr 0
		.amdhsa_user_sgpr_kernarg_segment_ptr 1
		.amdhsa_user_sgpr_dispatch_id 0
		.amdhsa_user_sgpr_kernarg_preload_length 0
		.amdhsa_user_sgpr_kernarg_preload_offset 0
		.amdhsa_user_sgpr_private_segment_size 0
		.amdhsa_uses_dynamic_stack 0
		.amdhsa_enable_private_segment 0
		.amdhsa_system_sgpr_workgroup_id_x 1
		.amdhsa_system_sgpr_workgroup_id_y 0
		.amdhsa_system_sgpr_workgroup_id_z 0
		.amdhsa_system_sgpr_workgroup_info 0
		.amdhsa_system_vgpr_workitem_id 0
		.amdhsa_next_free_vgpr 1
		.amdhsa_next_free_sgpr 0
		.amdhsa_accum_offset 4
		.amdhsa_reserve_vcc 0
		.amdhsa_float_round_mode_32 0
		.amdhsa_float_round_mode_16_64 0
		.amdhsa_float_denorm_mode_32 3
		.amdhsa_float_denorm_mode_16_64 3
		.amdhsa_dx10_clamp 1
		.amdhsa_ieee_mode 1
		.amdhsa_fp16_overflow 0
		.amdhsa_tg_split 0
		.amdhsa_exception_fp_ieee_invalid_op 0
		.amdhsa_exception_fp_denorm_src 0
		.amdhsa_exception_fp_ieee_div_zero 0
		.amdhsa_exception_fp_ieee_overflow 0
		.amdhsa_exception_fp_ieee_underflow 0
		.amdhsa_exception_fp_ieee_inexact 0
		.amdhsa_exception_int_div_zero 0
	.end_amdhsa_kernel
	.section	.text._ZN7rocprim17ROCPRIM_400000_NS6detail17trampoline_kernelINS0_14default_configENS1_25partition_config_selectorILNS1_17partition_subalgoE3EN6thrust23THRUST_200600_302600_NS5tupleIiiNS7_9null_typeES9_S9_S9_S9_S9_S9_S9_EENS0_10empty_typeEbEEZZNS1_14partition_implILS5_3ELb0ES3_jNS7_6detail15normal_iteratorINS7_7pointerISA_NS7_11hip_rocprim3tagENS7_11use_defaultESJ_EEEEPSB_SM_NS0_5tupleIJPSA_SM_EEENSN_IJSM_SM_EEESB_PlJ10is_orderedEEE10hipError_tPvRmT3_T4_T5_T6_T7_T9_mT8_P12ihipStream_tbDpT10_ENKUlT_T0_E_clISt17integral_constantIbLb1EES1B_IbLb0EEEEDaS17_S18_EUlS17_E_NS1_11comp_targetILNS1_3genE2ELNS1_11target_archE906ELNS1_3gpuE6ELNS1_3repE0EEENS1_30default_config_static_selectorELNS0_4arch9wavefront6targetE1EEEvT1_,"axG",@progbits,_ZN7rocprim17ROCPRIM_400000_NS6detail17trampoline_kernelINS0_14default_configENS1_25partition_config_selectorILNS1_17partition_subalgoE3EN6thrust23THRUST_200600_302600_NS5tupleIiiNS7_9null_typeES9_S9_S9_S9_S9_S9_S9_EENS0_10empty_typeEbEEZZNS1_14partition_implILS5_3ELb0ES3_jNS7_6detail15normal_iteratorINS7_7pointerISA_NS7_11hip_rocprim3tagENS7_11use_defaultESJ_EEEEPSB_SM_NS0_5tupleIJPSA_SM_EEENSN_IJSM_SM_EEESB_PlJ10is_orderedEEE10hipError_tPvRmT3_T4_T5_T6_T7_T9_mT8_P12ihipStream_tbDpT10_ENKUlT_T0_E_clISt17integral_constantIbLb1EES1B_IbLb0EEEEDaS17_S18_EUlS17_E_NS1_11comp_targetILNS1_3genE2ELNS1_11target_archE906ELNS1_3gpuE6ELNS1_3repE0EEENS1_30default_config_static_selectorELNS0_4arch9wavefront6targetE1EEEvT1_,comdat
.Lfunc_end3512:
	.size	_ZN7rocprim17ROCPRIM_400000_NS6detail17trampoline_kernelINS0_14default_configENS1_25partition_config_selectorILNS1_17partition_subalgoE3EN6thrust23THRUST_200600_302600_NS5tupleIiiNS7_9null_typeES9_S9_S9_S9_S9_S9_S9_EENS0_10empty_typeEbEEZZNS1_14partition_implILS5_3ELb0ES3_jNS7_6detail15normal_iteratorINS7_7pointerISA_NS7_11hip_rocprim3tagENS7_11use_defaultESJ_EEEEPSB_SM_NS0_5tupleIJPSA_SM_EEENSN_IJSM_SM_EEESB_PlJ10is_orderedEEE10hipError_tPvRmT3_T4_T5_T6_T7_T9_mT8_P12ihipStream_tbDpT10_ENKUlT_T0_E_clISt17integral_constantIbLb1EES1B_IbLb0EEEEDaS17_S18_EUlS17_E_NS1_11comp_targetILNS1_3genE2ELNS1_11target_archE906ELNS1_3gpuE6ELNS1_3repE0EEENS1_30default_config_static_selectorELNS0_4arch9wavefront6targetE1EEEvT1_, .Lfunc_end3512-_ZN7rocprim17ROCPRIM_400000_NS6detail17trampoline_kernelINS0_14default_configENS1_25partition_config_selectorILNS1_17partition_subalgoE3EN6thrust23THRUST_200600_302600_NS5tupleIiiNS7_9null_typeES9_S9_S9_S9_S9_S9_S9_EENS0_10empty_typeEbEEZZNS1_14partition_implILS5_3ELb0ES3_jNS7_6detail15normal_iteratorINS7_7pointerISA_NS7_11hip_rocprim3tagENS7_11use_defaultESJ_EEEEPSB_SM_NS0_5tupleIJPSA_SM_EEENSN_IJSM_SM_EEESB_PlJ10is_orderedEEE10hipError_tPvRmT3_T4_T5_T6_T7_T9_mT8_P12ihipStream_tbDpT10_ENKUlT_T0_E_clISt17integral_constantIbLb1EES1B_IbLb0EEEEDaS17_S18_EUlS17_E_NS1_11comp_targetILNS1_3genE2ELNS1_11target_archE906ELNS1_3gpuE6ELNS1_3repE0EEENS1_30default_config_static_selectorELNS0_4arch9wavefront6targetE1EEEvT1_
                                        ; -- End function
	.section	.AMDGPU.csdata,"",@progbits
; Kernel info:
; codeLenInByte = 0
; NumSgprs: 6
; NumVgprs: 0
; NumAgprs: 0
; TotalNumVgprs: 0
; ScratchSize: 0
; MemoryBound: 0
; FloatMode: 240
; IeeeMode: 1
; LDSByteSize: 0 bytes/workgroup (compile time only)
; SGPRBlocks: 0
; VGPRBlocks: 0
; NumSGPRsForWavesPerEU: 6
; NumVGPRsForWavesPerEU: 1
; AccumOffset: 4
; Occupancy: 8
; WaveLimiterHint : 0
; COMPUTE_PGM_RSRC2:SCRATCH_EN: 0
; COMPUTE_PGM_RSRC2:USER_SGPR: 2
; COMPUTE_PGM_RSRC2:TRAP_HANDLER: 0
; COMPUTE_PGM_RSRC2:TGID_X_EN: 1
; COMPUTE_PGM_RSRC2:TGID_Y_EN: 0
; COMPUTE_PGM_RSRC2:TGID_Z_EN: 0
; COMPUTE_PGM_RSRC2:TIDIG_COMP_CNT: 0
; COMPUTE_PGM_RSRC3_GFX90A:ACCUM_OFFSET: 0
; COMPUTE_PGM_RSRC3_GFX90A:TG_SPLIT: 0
	.section	.text._ZN7rocprim17ROCPRIM_400000_NS6detail17trampoline_kernelINS0_14default_configENS1_25partition_config_selectorILNS1_17partition_subalgoE3EN6thrust23THRUST_200600_302600_NS5tupleIiiNS7_9null_typeES9_S9_S9_S9_S9_S9_S9_EENS0_10empty_typeEbEEZZNS1_14partition_implILS5_3ELb0ES3_jNS7_6detail15normal_iteratorINS7_7pointerISA_NS7_11hip_rocprim3tagENS7_11use_defaultESJ_EEEEPSB_SM_NS0_5tupleIJPSA_SM_EEENSN_IJSM_SM_EEESB_PlJ10is_orderedEEE10hipError_tPvRmT3_T4_T5_T6_T7_T9_mT8_P12ihipStream_tbDpT10_ENKUlT_T0_E_clISt17integral_constantIbLb1EES1B_IbLb0EEEEDaS17_S18_EUlS17_E_NS1_11comp_targetILNS1_3genE10ELNS1_11target_archE1200ELNS1_3gpuE4ELNS1_3repE0EEENS1_30default_config_static_selectorELNS0_4arch9wavefront6targetE1EEEvT1_,"axG",@progbits,_ZN7rocprim17ROCPRIM_400000_NS6detail17trampoline_kernelINS0_14default_configENS1_25partition_config_selectorILNS1_17partition_subalgoE3EN6thrust23THRUST_200600_302600_NS5tupleIiiNS7_9null_typeES9_S9_S9_S9_S9_S9_S9_EENS0_10empty_typeEbEEZZNS1_14partition_implILS5_3ELb0ES3_jNS7_6detail15normal_iteratorINS7_7pointerISA_NS7_11hip_rocprim3tagENS7_11use_defaultESJ_EEEEPSB_SM_NS0_5tupleIJPSA_SM_EEENSN_IJSM_SM_EEESB_PlJ10is_orderedEEE10hipError_tPvRmT3_T4_T5_T6_T7_T9_mT8_P12ihipStream_tbDpT10_ENKUlT_T0_E_clISt17integral_constantIbLb1EES1B_IbLb0EEEEDaS17_S18_EUlS17_E_NS1_11comp_targetILNS1_3genE10ELNS1_11target_archE1200ELNS1_3gpuE4ELNS1_3repE0EEENS1_30default_config_static_selectorELNS0_4arch9wavefront6targetE1EEEvT1_,comdat
	.protected	_ZN7rocprim17ROCPRIM_400000_NS6detail17trampoline_kernelINS0_14default_configENS1_25partition_config_selectorILNS1_17partition_subalgoE3EN6thrust23THRUST_200600_302600_NS5tupleIiiNS7_9null_typeES9_S9_S9_S9_S9_S9_S9_EENS0_10empty_typeEbEEZZNS1_14partition_implILS5_3ELb0ES3_jNS7_6detail15normal_iteratorINS7_7pointerISA_NS7_11hip_rocprim3tagENS7_11use_defaultESJ_EEEEPSB_SM_NS0_5tupleIJPSA_SM_EEENSN_IJSM_SM_EEESB_PlJ10is_orderedEEE10hipError_tPvRmT3_T4_T5_T6_T7_T9_mT8_P12ihipStream_tbDpT10_ENKUlT_T0_E_clISt17integral_constantIbLb1EES1B_IbLb0EEEEDaS17_S18_EUlS17_E_NS1_11comp_targetILNS1_3genE10ELNS1_11target_archE1200ELNS1_3gpuE4ELNS1_3repE0EEENS1_30default_config_static_selectorELNS0_4arch9wavefront6targetE1EEEvT1_ ; -- Begin function _ZN7rocprim17ROCPRIM_400000_NS6detail17trampoline_kernelINS0_14default_configENS1_25partition_config_selectorILNS1_17partition_subalgoE3EN6thrust23THRUST_200600_302600_NS5tupleIiiNS7_9null_typeES9_S9_S9_S9_S9_S9_S9_EENS0_10empty_typeEbEEZZNS1_14partition_implILS5_3ELb0ES3_jNS7_6detail15normal_iteratorINS7_7pointerISA_NS7_11hip_rocprim3tagENS7_11use_defaultESJ_EEEEPSB_SM_NS0_5tupleIJPSA_SM_EEENSN_IJSM_SM_EEESB_PlJ10is_orderedEEE10hipError_tPvRmT3_T4_T5_T6_T7_T9_mT8_P12ihipStream_tbDpT10_ENKUlT_T0_E_clISt17integral_constantIbLb1EES1B_IbLb0EEEEDaS17_S18_EUlS17_E_NS1_11comp_targetILNS1_3genE10ELNS1_11target_archE1200ELNS1_3gpuE4ELNS1_3repE0EEENS1_30default_config_static_selectorELNS0_4arch9wavefront6targetE1EEEvT1_
	.globl	_ZN7rocprim17ROCPRIM_400000_NS6detail17trampoline_kernelINS0_14default_configENS1_25partition_config_selectorILNS1_17partition_subalgoE3EN6thrust23THRUST_200600_302600_NS5tupleIiiNS7_9null_typeES9_S9_S9_S9_S9_S9_S9_EENS0_10empty_typeEbEEZZNS1_14partition_implILS5_3ELb0ES3_jNS7_6detail15normal_iteratorINS7_7pointerISA_NS7_11hip_rocprim3tagENS7_11use_defaultESJ_EEEEPSB_SM_NS0_5tupleIJPSA_SM_EEENSN_IJSM_SM_EEESB_PlJ10is_orderedEEE10hipError_tPvRmT3_T4_T5_T6_T7_T9_mT8_P12ihipStream_tbDpT10_ENKUlT_T0_E_clISt17integral_constantIbLb1EES1B_IbLb0EEEEDaS17_S18_EUlS17_E_NS1_11comp_targetILNS1_3genE10ELNS1_11target_archE1200ELNS1_3gpuE4ELNS1_3repE0EEENS1_30default_config_static_selectorELNS0_4arch9wavefront6targetE1EEEvT1_
	.p2align	8
	.type	_ZN7rocprim17ROCPRIM_400000_NS6detail17trampoline_kernelINS0_14default_configENS1_25partition_config_selectorILNS1_17partition_subalgoE3EN6thrust23THRUST_200600_302600_NS5tupleIiiNS7_9null_typeES9_S9_S9_S9_S9_S9_S9_EENS0_10empty_typeEbEEZZNS1_14partition_implILS5_3ELb0ES3_jNS7_6detail15normal_iteratorINS7_7pointerISA_NS7_11hip_rocprim3tagENS7_11use_defaultESJ_EEEEPSB_SM_NS0_5tupleIJPSA_SM_EEENSN_IJSM_SM_EEESB_PlJ10is_orderedEEE10hipError_tPvRmT3_T4_T5_T6_T7_T9_mT8_P12ihipStream_tbDpT10_ENKUlT_T0_E_clISt17integral_constantIbLb1EES1B_IbLb0EEEEDaS17_S18_EUlS17_E_NS1_11comp_targetILNS1_3genE10ELNS1_11target_archE1200ELNS1_3gpuE4ELNS1_3repE0EEENS1_30default_config_static_selectorELNS0_4arch9wavefront6targetE1EEEvT1_,@function
_ZN7rocprim17ROCPRIM_400000_NS6detail17trampoline_kernelINS0_14default_configENS1_25partition_config_selectorILNS1_17partition_subalgoE3EN6thrust23THRUST_200600_302600_NS5tupleIiiNS7_9null_typeES9_S9_S9_S9_S9_S9_S9_EENS0_10empty_typeEbEEZZNS1_14partition_implILS5_3ELb0ES3_jNS7_6detail15normal_iteratorINS7_7pointerISA_NS7_11hip_rocprim3tagENS7_11use_defaultESJ_EEEEPSB_SM_NS0_5tupleIJPSA_SM_EEENSN_IJSM_SM_EEESB_PlJ10is_orderedEEE10hipError_tPvRmT3_T4_T5_T6_T7_T9_mT8_P12ihipStream_tbDpT10_ENKUlT_T0_E_clISt17integral_constantIbLb1EES1B_IbLb0EEEEDaS17_S18_EUlS17_E_NS1_11comp_targetILNS1_3genE10ELNS1_11target_archE1200ELNS1_3gpuE4ELNS1_3repE0EEENS1_30default_config_static_selectorELNS0_4arch9wavefront6targetE1EEEvT1_: ; @_ZN7rocprim17ROCPRIM_400000_NS6detail17trampoline_kernelINS0_14default_configENS1_25partition_config_selectorILNS1_17partition_subalgoE3EN6thrust23THRUST_200600_302600_NS5tupleIiiNS7_9null_typeES9_S9_S9_S9_S9_S9_S9_EENS0_10empty_typeEbEEZZNS1_14partition_implILS5_3ELb0ES3_jNS7_6detail15normal_iteratorINS7_7pointerISA_NS7_11hip_rocprim3tagENS7_11use_defaultESJ_EEEEPSB_SM_NS0_5tupleIJPSA_SM_EEENSN_IJSM_SM_EEESB_PlJ10is_orderedEEE10hipError_tPvRmT3_T4_T5_T6_T7_T9_mT8_P12ihipStream_tbDpT10_ENKUlT_T0_E_clISt17integral_constantIbLb1EES1B_IbLb0EEEEDaS17_S18_EUlS17_E_NS1_11comp_targetILNS1_3genE10ELNS1_11target_archE1200ELNS1_3gpuE4ELNS1_3repE0EEENS1_30default_config_static_selectorELNS0_4arch9wavefront6targetE1EEEvT1_
; %bb.0:
	.section	.rodata,"a",@progbits
	.p2align	6, 0x0
	.amdhsa_kernel _ZN7rocprim17ROCPRIM_400000_NS6detail17trampoline_kernelINS0_14default_configENS1_25partition_config_selectorILNS1_17partition_subalgoE3EN6thrust23THRUST_200600_302600_NS5tupleIiiNS7_9null_typeES9_S9_S9_S9_S9_S9_S9_EENS0_10empty_typeEbEEZZNS1_14partition_implILS5_3ELb0ES3_jNS7_6detail15normal_iteratorINS7_7pointerISA_NS7_11hip_rocprim3tagENS7_11use_defaultESJ_EEEEPSB_SM_NS0_5tupleIJPSA_SM_EEENSN_IJSM_SM_EEESB_PlJ10is_orderedEEE10hipError_tPvRmT3_T4_T5_T6_T7_T9_mT8_P12ihipStream_tbDpT10_ENKUlT_T0_E_clISt17integral_constantIbLb1EES1B_IbLb0EEEEDaS17_S18_EUlS17_E_NS1_11comp_targetILNS1_3genE10ELNS1_11target_archE1200ELNS1_3gpuE4ELNS1_3repE0EEENS1_30default_config_static_selectorELNS0_4arch9wavefront6targetE1EEEvT1_
		.amdhsa_group_segment_fixed_size 0
		.amdhsa_private_segment_fixed_size 0
		.amdhsa_kernarg_size 120
		.amdhsa_user_sgpr_count 2
		.amdhsa_user_sgpr_dispatch_ptr 0
		.amdhsa_user_sgpr_queue_ptr 0
		.amdhsa_user_sgpr_kernarg_segment_ptr 1
		.amdhsa_user_sgpr_dispatch_id 0
		.amdhsa_user_sgpr_kernarg_preload_length 0
		.amdhsa_user_sgpr_kernarg_preload_offset 0
		.amdhsa_user_sgpr_private_segment_size 0
		.amdhsa_uses_dynamic_stack 0
		.amdhsa_enable_private_segment 0
		.amdhsa_system_sgpr_workgroup_id_x 1
		.amdhsa_system_sgpr_workgroup_id_y 0
		.amdhsa_system_sgpr_workgroup_id_z 0
		.amdhsa_system_sgpr_workgroup_info 0
		.amdhsa_system_vgpr_workitem_id 0
		.amdhsa_next_free_vgpr 1
		.amdhsa_next_free_sgpr 0
		.amdhsa_accum_offset 4
		.amdhsa_reserve_vcc 0
		.amdhsa_float_round_mode_32 0
		.amdhsa_float_round_mode_16_64 0
		.amdhsa_float_denorm_mode_32 3
		.amdhsa_float_denorm_mode_16_64 3
		.amdhsa_dx10_clamp 1
		.amdhsa_ieee_mode 1
		.amdhsa_fp16_overflow 0
		.amdhsa_tg_split 0
		.amdhsa_exception_fp_ieee_invalid_op 0
		.amdhsa_exception_fp_denorm_src 0
		.amdhsa_exception_fp_ieee_div_zero 0
		.amdhsa_exception_fp_ieee_overflow 0
		.amdhsa_exception_fp_ieee_underflow 0
		.amdhsa_exception_fp_ieee_inexact 0
		.amdhsa_exception_int_div_zero 0
	.end_amdhsa_kernel
	.section	.text._ZN7rocprim17ROCPRIM_400000_NS6detail17trampoline_kernelINS0_14default_configENS1_25partition_config_selectorILNS1_17partition_subalgoE3EN6thrust23THRUST_200600_302600_NS5tupleIiiNS7_9null_typeES9_S9_S9_S9_S9_S9_S9_EENS0_10empty_typeEbEEZZNS1_14partition_implILS5_3ELb0ES3_jNS7_6detail15normal_iteratorINS7_7pointerISA_NS7_11hip_rocprim3tagENS7_11use_defaultESJ_EEEEPSB_SM_NS0_5tupleIJPSA_SM_EEENSN_IJSM_SM_EEESB_PlJ10is_orderedEEE10hipError_tPvRmT3_T4_T5_T6_T7_T9_mT8_P12ihipStream_tbDpT10_ENKUlT_T0_E_clISt17integral_constantIbLb1EES1B_IbLb0EEEEDaS17_S18_EUlS17_E_NS1_11comp_targetILNS1_3genE10ELNS1_11target_archE1200ELNS1_3gpuE4ELNS1_3repE0EEENS1_30default_config_static_selectorELNS0_4arch9wavefront6targetE1EEEvT1_,"axG",@progbits,_ZN7rocprim17ROCPRIM_400000_NS6detail17trampoline_kernelINS0_14default_configENS1_25partition_config_selectorILNS1_17partition_subalgoE3EN6thrust23THRUST_200600_302600_NS5tupleIiiNS7_9null_typeES9_S9_S9_S9_S9_S9_S9_EENS0_10empty_typeEbEEZZNS1_14partition_implILS5_3ELb0ES3_jNS7_6detail15normal_iteratorINS7_7pointerISA_NS7_11hip_rocprim3tagENS7_11use_defaultESJ_EEEEPSB_SM_NS0_5tupleIJPSA_SM_EEENSN_IJSM_SM_EEESB_PlJ10is_orderedEEE10hipError_tPvRmT3_T4_T5_T6_T7_T9_mT8_P12ihipStream_tbDpT10_ENKUlT_T0_E_clISt17integral_constantIbLb1EES1B_IbLb0EEEEDaS17_S18_EUlS17_E_NS1_11comp_targetILNS1_3genE10ELNS1_11target_archE1200ELNS1_3gpuE4ELNS1_3repE0EEENS1_30default_config_static_selectorELNS0_4arch9wavefront6targetE1EEEvT1_,comdat
.Lfunc_end3513:
	.size	_ZN7rocprim17ROCPRIM_400000_NS6detail17trampoline_kernelINS0_14default_configENS1_25partition_config_selectorILNS1_17partition_subalgoE3EN6thrust23THRUST_200600_302600_NS5tupleIiiNS7_9null_typeES9_S9_S9_S9_S9_S9_S9_EENS0_10empty_typeEbEEZZNS1_14partition_implILS5_3ELb0ES3_jNS7_6detail15normal_iteratorINS7_7pointerISA_NS7_11hip_rocprim3tagENS7_11use_defaultESJ_EEEEPSB_SM_NS0_5tupleIJPSA_SM_EEENSN_IJSM_SM_EEESB_PlJ10is_orderedEEE10hipError_tPvRmT3_T4_T5_T6_T7_T9_mT8_P12ihipStream_tbDpT10_ENKUlT_T0_E_clISt17integral_constantIbLb1EES1B_IbLb0EEEEDaS17_S18_EUlS17_E_NS1_11comp_targetILNS1_3genE10ELNS1_11target_archE1200ELNS1_3gpuE4ELNS1_3repE0EEENS1_30default_config_static_selectorELNS0_4arch9wavefront6targetE1EEEvT1_, .Lfunc_end3513-_ZN7rocprim17ROCPRIM_400000_NS6detail17trampoline_kernelINS0_14default_configENS1_25partition_config_selectorILNS1_17partition_subalgoE3EN6thrust23THRUST_200600_302600_NS5tupleIiiNS7_9null_typeES9_S9_S9_S9_S9_S9_S9_EENS0_10empty_typeEbEEZZNS1_14partition_implILS5_3ELb0ES3_jNS7_6detail15normal_iteratorINS7_7pointerISA_NS7_11hip_rocprim3tagENS7_11use_defaultESJ_EEEEPSB_SM_NS0_5tupleIJPSA_SM_EEENSN_IJSM_SM_EEESB_PlJ10is_orderedEEE10hipError_tPvRmT3_T4_T5_T6_T7_T9_mT8_P12ihipStream_tbDpT10_ENKUlT_T0_E_clISt17integral_constantIbLb1EES1B_IbLb0EEEEDaS17_S18_EUlS17_E_NS1_11comp_targetILNS1_3genE10ELNS1_11target_archE1200ELNS1_3gpuE4ELNS1_3repE0EEENS1_30default_config_static_selectorELNS0_4arch9wavefront6targetE1EEEvT1_
                                        ; -- End function
	.section	.AMDGPU.csdata,"",@progbits
; Kernel info:
; codeLenInByte = 0
; NumSgprs: 6
; NumVgprs: 0
; NumAgprs: 0
; TotalNumVgprs: 0
; ScratchSize: 0
; MemoryBound: 0
; FloatMode: 240
; IeeeMode: 1
; LDSByteSize: 0 bytes/workgroup (compile time only)
; SGPRBlocks: 0
; VGPRBlocks: 0
; NumSGPRsForWavesPerEU: 6
; NumVGPRsForWavesPerEU: 1
; AccumOffset: 4
; Occupancy: 8
; WaveLimiterHint : 0
; COMPUTE_PGM_RSRC2:SCRATCH_EN: 0
; COMPUTE_PGM_RSRC2:USER_SGPR: 2
; COMPUTE_PGM_RSRC2:TRAP_HANDLER: 0
; COMPUTE_PGM_RSRC2:TGID_X_EN: 1
; COMPUTE_PGM_RSRC2:TGID_Y_EN: 0
; COMPUTE_PGM_RSRC2:TGID_Z_EN: 0
; COMPUTE_PGM_RSRC2:TIDIG_COMP_CNT: 0
; COMPUTE_PGM_RSRC3_GFX90A:ACCUM_OFFSET: 0
; COMPUTE_PGM_RSRC3_GFX90A:TG_SPLIT: 0
	.section	.text._ZN7rocprim17ROCPRIM_400000_NS6detail17trampoline_kernelINS0_14default_configENS1_25partition_config_selectorILNS1_17partition_subalgoE3EN6thrust23THRUST_200600_302600_NS5tupleIiiNS7_9null_typeES9_S9_S9_S9_S9_S9_S9_EENS0_10empty_typeEbEEZZNS1_14partition_implILS5_3ELb0ES3_jNS7_6detail15normal_iteratorINS7_7pointerISA_NS7_11hip_rocprim3tagENS7_11use_defaultESJ_EEEEPSB_SM_NS0_5tupleIJPSA_SM_EEENSN_IJSM_SM_EEESB_PlJ10is_orderedEEE10hipError_tPvRmT3_T4_T5_T6_T7_T9_mT8_P12ihipStream_tbDpT10_ENKUlT_T0_E_clISt17integral_constantIbLb1EES1B_IbLb0EEEEDaS17_S18_EUlS17_E_NS1_11comp_targetILNS1_3genE9ELNS1_11target_archE1100ELNS1_3gpuE3ELNS1_3repE0EEENS1_30default_config_static_selectorELNS0_4arch9wavefront6targetE1EEEvT1_,"axG",@progbits,_ZN7rocprim17ROCPRIM_400000_NS6detail17trampoline_kernelINS0_14default_configENS1_25partition_config_selectorILNS1_17partition_subalgoE3EN6thrust23THRUST_200600_302600_NS5tupleIiiNS7_9null_typeES9_S9_S9_S9_S9_S9_S9_EENS0_10empty_typeEbEEZZNS1_14partition_implILS5_3ELb0ES3_jNS7_6detail15normal_iteratorINS7_7pointerISA_NS7_11hip_rocprim3tagENS7_11use_defaultESJ_EEEEPSB_SM_NS0_5tupleIJPSA_SM_EEENSN_IJSM_SM_EEESB_PlJ10is_orderedEEE10hipError_tPvRmT3_T4_T5_T6_T7_T9_mT8_P12ihipStream_tbDpT10_ENKUlT_T0_E_clISt17integral_constantIbLb1EES1B_IbLb0EEEEDaS17_S18_EUlS17_E_NS1_11comp_targetILNS1_3genE9ELNS1_11target_archE1100ELNS1_3gpuE3ELNS1_3repE0EEENS1_30default_config_static_selectorELNS0_4arch9wavefront6targetE1EEEvT1_,comdat
	.protected	_ZN7rocprim17ROCPRIM_400000_NS6detail17trampoline_kernelINS0_14default_configENS1_25partition_config_selectorILNS1_17partition_subalgoE3EN6thrust23THRUST_200600_302600_NS5tupleIiiNS7_9null_typeES9_S9_S9_S9_S9_S9_S9_EENS0_10empty_typeEbEEZZNS1_14partition_implILS5_3ELb0ES3_jNS7_6detail15normal_iteratorINS7_7pointerISA_NS7_11hip_rocprim3tagENS7_11use_defaultESJ_EEEEPSB_SM_NS0_5tupleIJPSA_SM_EEENSN_IJSM_SM_EEESB_PlJ10is_orderedEEE10hipError_tPvRmT3_T4_T5_T6_T7_T9_mT8_P12ihipStream_tbDpT10_ENKUlT_T0_E_clISt17integral_constantIbLb1EES1B_IbLb0EEEEDaS17_S18_EUlS17_E_NS1_11comp_targetILNS1_3genE9ELNS1_11target_archE1100ELNS1_3gpuE3ELNS1_3repE0EEENS1_30default_config_static_selectorELNS0_4arch9wavefront6targetE1EEEvT1_ ; -- Begin function _ZN7rocprim17ROCPRIM_400000_NS6detail17trampoline_kernelINS0_14default_configENS1_25partition_config_selectorILNS1_17partition_subalgoE3EN6thrust23THRUST_200600_302600_NS5tupleIiiNS7_9null_typeES9_S9_S9_S9_S9_S9_S9_EENS0_10empty_typeEbEEZZNS1_14partition_implILS5_3ELb0ES3_jNS7_6detail15normal_iteratorINS7_7pointerISA_NS7_11hip_rocprim3tagENS7_11use_defaultESJ_EEEEPSB_SM_NS0_5tupleIJPSA_SM_EEENSN_IJSM_SM_EEESB_PlJ10is_orderedEEE10hipError_tPvRmT3_T4_T5_T6_T7_T9_mT8_P12ihipStream_tbDpT10_ENKUlT_T0_E_clISt17integral_constantIbLb1EES1B_IbLb0EEEEDaS17_S18_EUlS17_E_NS1_11comp_targetILNS1_3genE9ELNS1_11target_archE1100ELNS1_3gpuE3ELNS1_3repE0EEENS1_30default_config_static_selectorELNS0_4arch9wavefront6targetE1EEEvT1_
	.globl	_ZN7rocprim17ROCPRIM_400000_NS6detail17trampoline_kernelINS0_14default_configENS1_25partition_config_selectorILNS1_17partition_subalgoE3EN6thrust23THRUST_200600_302600_NS5tupleIiiNS7_9null_typeES9_S9_S9_S9_S9_S9_S9_EENS0_10empty_typeEbEEZZNS1_14partition_implILS5_3ELb0ES3_jNS7_6detail15normal_iteratorINS7_7pointerISA_NS7_11hip_rocprim3tagENS7_11use_defaultESJ_EEEEPSB_SM_NS0_5tupleIJPSA_SM_EEENSN_IJSM_SM_EEESB_PlJ10is_orderedEEE10hipError_tPvRmT3_T4_T5_T6_T7_T9_mT8_P12ihipStream_tbDpT10_ENKUlT_T0_E_clISt17integral_constantIbLb1EES1B_IbLb0EEEEDaS17_S18_EUlS17_E_NS1_11comp_targetILNS1_3genE9ELNS1_11target_archE1100ELNS1_3gpuE3ELNS1_3repE0EEENS1_30default_config_static_selectorELNS0_4arch9wavefront6targetE1EEEvT1_
	.p2align	8
	.type	_ZN7rocprim17ROCPRIM_400000_NS6detail17trampoline_kernelINS0_14default_configENS1_25partition_config_selectorILNS1_17partition_subalgoE3EN6thrust23THRUST_200600_302600_NS5tupleIiiNS7_9null_typeES9_S9_S9_S9_S9_S9_S9_EENS0_10empty_typeEbEEZZNS1_14partition_implILS5_3ELb0ES3_jNS7_6detail15normal_iteratorINS7_7pointerISA_NS7_11hip_rocprim3tagENS7_11use_defaultESJ_EEEEPSB_SM_NS0_5tupleIJPSA_SM_EEENSN_IJSM_SM_EEESB_PlJ10is_orderedEEE10hipError_tPvRmT3_T4_T5_T6_T7_T9_mT8_P12ihipStream_tbDpT10_ENKUlT_T0_E_clISt17integral_constantIbLb1EES1B_IbLb0EEEEDaS17_S18_EUlS17_E_NS1_11comp_targetILNS1_3genE9ELNS1_11target_archE1100ELNS1_3gpuE3ELNS1_3repE0EEENS1_30default_config_static_selectorELNS0_4arch9wavefront6targetE1EEEvT1_,@function
_ZN7rocprim17ROCPRIM_400000_NS6detail17trampoline_kernelINS0_14default_configENS1_25partition_config_selectorILNS1_17partition_subalgoE3EN6thrust23THRUST_200600_302600_NS5tupleIiiNS7_9null_typeES9_S9_S9_S9_S9_S9_S9_EENS0_10empty_typeEbEEZZNS1_14partition_implILS5_3ELb0ES3_jNS7_6detail15normal_iteratorINS7_7pointerISA_NS7_11hip_rocprim3tagENS7_11use_defaultESJ_EEEEPSB_SM_NS0_5tupleIJPSA_SM_EEENSN_IJSM_SM_EEESB_PlJ10is_orderedEEE10hipError_tPvRmT3_T4_T5_T6_T7_T9_mT8_P12ihipStream_tbDpT10_ENKUlT_T0_E_clISt17integral_constantIbLb1EES1B_IbLb0EEEEDaS17_S18_EUlS17_E_NS1_11comp_targetILNS1_3genE9ELNS1_11target_archE1100ELNS1_3gpuE3ELNS1_3repE0EEENS1_30default_config_static_selectorELNS0_4arch9wavefront6targetE1EEEvT1_: ; @_ZN7rocprim17ROCPRIM_400000_NS6detail17trampoline_kernelINS0_14default_configENS1_25partition_config_selectorILNS1_17partition_subalgoE3EN6thrust23THRUST_200600_302600_NS5tupleIiiNS7_9null_typeES9_S9_S9_S9_S9_S9_S9_EENS0_10empty_typeEbEEZZNS1_14partition_implILS5_3ELb0ES3_jNS7_6detail15normal_iteratorINS7_7pointerISA_NS7_11hip_rocprim3tagENS7_11use_defaultESJ_EEEEPSB_SM_NS0_5tupleIJPSA_SM_EEENSN_IJSM_SM_EEESB_PlJ10is_orderedEEE10hipError_tPvRmT3_T4_T5_T6_T7_T9_mT8_P12ihipStream_tbDpT10_ENKUlT_T0_E_clISt17integral_constantIbLb1EES1B_IbLb0EEEEDaS17_S18_EUlS17_E_NS1_11comp_targetILNS1_3genE9ELNS1_11target_archE1100ELNS1_3gpuE3ELNS1_3repE0EEENS1_30default_config_static_selectorELNS0_4arch9wavefront6targetE1EEEvT1_
; %bb.0:
	.section	.rodata,"a",@progbits
	.p2align	6, 0x0
	.amdhsa_kernel _ZN7rocprim17ROCPRIM_400000_NS6detail17trampoline_kernelINS0_14default_configENS1_25partition_config_selectorILNS1_17partition_subalgoE3EN6thrust23THRUST_200600_302600_NS5tupleIiiNS7_9null_typeES9_S9_S9_S9_S9_S9_S9_EENS0_10empty_typeEbEEZZNS1_14partition_implILS5_3ELb0ES3_jNS7_6detail15normal_iteratorINS7_7pointerISA_NS7_11hip_rocprim3tagENS7_11use_defaultESJ_EEEEPSB_SM_NS0_5tupleIJPSA_SM_EEENSN_IJSM_SM_EEESB_PlJ10is_orderedEEE10hipError_tPvRmT3_T4_T5_T6_T7_T9_mT8_P12ihipStream_tbDpT10_ENKUlT_T0_E_clISt17integral_constantIbLb1EES1B_IbLb0EEEEDaS17_S18_EUlS17_E_NS1_11comp_targetILNS1_3genE9ELNS1_11target_archE1100ELNS1_3gpuE3ELNS1_3repE0EEENS1_30default_config_static_selectorELNS0_4arch9wavefront6targetE1EEEvT1_
		.amdhsa_group_segment_fixed_size 0
		.amdhsa_private_segment_fixed_size 0
		.amdhsa_kernarg_size 120
		.amdhsa_user_sgpr_count 2
		.amdhsa_user_sgpr_dispatch_ptr 0
		.amdhsa_user_sgpr_queue_ptr 0
		.amdhsa_user_sgpr_kernarg_segment_ptr 1
		.amdhsa_user_sgpr_dispatch_id 0
		.amdhsa_user_sgpr_kernarg_preload_length 0
		.amdhsa_user_sgpr_kernarg_preload_offset 0
		.amdhsa_user_sgpr_private_segment_size 0
		.amdhsa_uses_dynamic_stack 0
		.amdhsa_enable_private_segment 0
		.amdhsa_system_sgpr_workgroup_id_x 1
		.amdhsa_system_sgpr_workgroup_id_y 0
		.amdhsa_system_sgpr_workgroup_id_z 0
		.amdhsa_system_sgpr_workgroup_info 0
		.amdhsa_system_vgpr_workitem_id 0
		.amdhsa_next_free_vgpr 1
		.amdhsa_next_free_sgpr 0
		.amdhsa_accum_offset 4
		.amdhsa_reserve_vcc 0
		.amdhsa_float_round_mode_32 0
		.amdhsa_float_round_mode_16_64 0
		.amdhsa_float_denorm_mode_32 3
		.amdhsa_float_denorm_mode_16_64 3
		.amdhsa_dx10_clamp 1
		.amdhsa_ieee_mode 1
		.amdhsa_fp16_overflow 0
		.amdhsa_tg_split 0
		.amdhsa_exception_fp_ieee_invalid_op 0
		.amdhsa_exception_fp_denorm_src 0
		.amdhsa_exception_fp_ieee_div_zero 0
		.amdhsa_exception_fp_ieee_overflow 0
		.amdhsa_exception_fp_ieee_underflow 0
		.amdhsa_exception_fp_ieee_inexact 0
		.amdhsa_exception_int_div_zero 0
	.end_amdhsa_kernel
	.section	.text._ZN7rocprim17ROCPRIM_400000_NS6detail17trampoline_kernelINS0_14default_configENS1_25partition_config_selectorILNS1_17partition_subalgoE3EN6thrust23THRUST_200600_302600_NS5tupleIiiNS7_9null_typeES9_S9_S9_S9_S9_S9_S9_EENS0_10empty_typeEbEEZZNS1_14partition_implILS5_3ELb0ES3_jNS7_6detail15normal_iteratorINS7_7pointerISA_NS7_11hip_rocprim3tagENS7_11use_defaultESJ_EEEEPSB_SM_NS0_5tupleIJPSA_SM_EEENSN_IJSM_SM_EEESB_PlJ10is_orderedEEE10hipError_tPvRmT3_T4_T5_T6_T7_T9_mT8_P12ihipStream_tbDpT10_ENKUlT_T0_E_clISt17integral_constantIbLb1EES1B_IbLb0EEEEDaS17_S18_EUlS17_E_NS1_11comp_targetILNS1_3genE9ELNS1_11target_archE1100ELNS1_3gpuE3ELNS1_3repE0EEENS1_30default_config_static_selectorELNS0_4arch9wavefront6targetE1EEEvT1_,"axG",@progbits,_ZN7rocprim17ROCPRIM_400000_NS6detail17trampoline_kernelINS0_14default_configENS1_25partition_config_selectorILNS1_17partition_subalgoE3EN6thrust23THRUST_200600_302600_NS5tupleIiiNS7_9null_typeES9_S9_S9_S9_S9_S9_S9_EENS0_10empty_typeEbEEZZNS1_14partition_implILS5_3ELb0ES3_jNS7_6detail15normal_iteratorINS7_7pointerISA_NS7_11hip_rocprim3tagENS7_11use_defaultESJ_EEEEPSB_SM_NS0_5tupleIJPSA_SM_EEENSN_IJSM_SM_EEESB_PlJ10is_orderedEEE10hipError_tPvRmT3_T4_T5_T6_T7_T9_mT8_P12ihipStream_tbDpT10_ENKUlT_T0_E_clISt17integral_constantIbLb1EES1B_IbLb0EEEEDaS17_S18_EUlS17_E_NS1_11comp_targetILNS1_3genE9ELNS1_11target_archE1100ELNS1_3gpuE3ELNS1_3repE0EEENS1_30default_config_static_selectorELNS0_4arch9wavefront6targetE1EEEvT1_,comdat
.Lfunc_end3514:
	.size	_ZN7rocprim17ROCPRIM_400000_NS6detail17trampoline_kernelINS0_14default_configENS1_25partition_config_selectorILNS1_17partition_subalgoE3EN6thrust23THRUST_200600_302600_NS5tupleIiiNS7_9null_typeES9_S9_S9_S9_S9_S9_S9_EENS0_10empty_typeEbEEZZNS1_14partition_implILS5_3ELb0ES3_jNS7_6detail15normal_iteratorINS7_7pointerISA_NS7_11hip_rocprim3tagENS7_11use_defaultESJ_EEEEPSB_SM_NS0_5tupleIJPSA_SM_EEENSN_IJSM_SM_EEESB_PlJ10is_orderedEEE10hipError_tPvRmT3_T4_T5_T6_T7_T9_mT8_P12ihipStream_tbDpT10_ENKUlT_T0_E_clISt17integral_constantIbLb1EES1B_IbLb0EEEEDaS17_S18_EUlS17_E_NS1_11comp_targetILNS1_3genE9ELNS1_11target_archE1100ELNS1_3gpuE3ELNS1_3repE0EEENS1_30default_config_static_selectorELNS0_4arch9wavefront6targetE1EEEvT1_, .Lfunc_end3514-_ZN7rocprim17ROCPRIM_400000_NS6detail17trampoline_kernelINS0_14default_configENS1_25partition_config_selectorILNS1_17partition_subalgoE3EN6thrust23THRUST_200600_302600_NS5tupleIiiNS7_9null_typeES9_S9_S9_S9_S9_S9_S9_EENS0_10empty_typeEbEEZZNS1_14partition_implILS5_3ELb0ES3_jNS7_6detail15normal_iteratorINS7_7pointerISA_NS7_11hip_rocprim3tagENS7_11use_defaultESJ_EEEEPSB_SM_NS0_5tupleIJPSA_SM_EEENSN_IJSM_SM_EEESB_PlJ10is_orderedEEE10hipError_tPvRmT3_T4_T5_T6_T7_T9_mT8_P12ihipStream_tbDpT10_ENKUlT_T0_E_clISt17integral_constantIbLb1EES1B_IbLb0EEEEDaS17_S18_EUlS17_E_NS1_11comp_targetILNS1_3genE9ELNS1_11target_archE1100ELNS1_3gpuE3ELNS1_3repE0EEENS1_30default_config_static_selectorELNS0_4arch9wavefront6targetE1EEEvT1_
                                        ; -- End function
	.section	.AMDGPU.csdata,"",@progbits
; Kernel info:
; codeLenInByte = 0
; NumSgprs: 6
; NumVgprs: 0
; NumAgprs: 0
; TotalNumVgprs: 0
; ScratchSize: 0
; MemoryBound: 0
; FloatMode: 240
; IeeeMode: 1
; LDSByteSize: 0 bytes/workgroup (compile time only)
; SGPRBlocks: 0
; VGPRBlocks: 0
; NumSGPRsForWavesPerEU: 6
; NumVGPRsForWavesPerEU: 1
; AccumOffset: 4
; Occupancy: 8
; WaveLimiterHint : 0
; COMPUTE_PGM_RSRC2:SCRATCH_EN: 0
; COMPUTE_PGM_RSRC2:USER_SGPR: 2
; COMPUTE_PGM_RSRC2:TRAP_HANDLER: 0
; COMPUTE_PGM_RSRC2:TGID_X_EN: 1
; COMPUTE_PGM_RSRC2:TGID_Y_EN: 0
; COMPUTE_PGM_RSRC2:TGID_Z_EN: 0
; COMPUTE_PGM_RSRC2:TIDIG_COMP_CNT: 0
; COMPUTE_PGM_RSRC3_GFX90A:ACCUM_OFFSET: 0
; COMPUTE_PGM_RSRC3_GFX90A:TG_SPLIT: 0
	.section	.text._ZN7rocprim17ROCPRIM_400000_NS6detail17trampoline_kernelINS0_14default_configENS1_25partition_config_selectorILNS1_17partition_subalgoE3EN6thrust23THRUST_200600_302600_NS5tupleIiiNS7_9null_typeES9_S9_S9_S9_S9_S9_S9_EENS0_10empty_typeEbEEZZNS1_14partition_implILS5_3ELb0ES3_jNS7_6detail15normal_iteratorINS7_7pointerISA_NS7_11hip_rocprim3tagENS7_11use_defaultESJ_EEEEPSB_SM_NS0_5tupleIJPSA_SM_EEENSN_IJSM_SM_EEESB_PlJ10is_orderedEEE10hipError_tPvRmT3_T4_T5_T6_T7_T9_mT8_P12ihipStream_tbDpT10_ENKUlT_T0_E_clISt17integral_constantIbLb1EES1B_IbLb0EEEEDaS17_S18_EUlS17_E_NS1_11comp_targetILNS1_3genE8ELNS1_11target_archE1030ELNS1_3gpuE2ELNS1_3repE0EEENS1_30default_config_static_selectorELNS0_4arch9wavefront6targetE1EEEvT1_,"axG",@progbits,_ZN7rocprim17ROCPRIM_400000_NS6detail17trampoline_kernelINS0_14default_configENS1_25partition_config_selectorILNS1_17partition_subalgoE3EN6thrust23THRUST_200600_302600_NS5tupleIiiNS7_9null_typeES9_S9_S9_S9_S9_S9_S9_EENS0_10empty_typeEbEEZZNS1_14partition_implILS5_3ELb0ES3_jNS7_6detail15normal_iteratorINS7_7pointerISA_NS7_11hip_rocprim3tagENS7_11use_defaultESJ_EEEEPSB_SM_NS0_5tupleIJPSA_SM_EEENSN_IJSM_SM_EEESB_PlJ10is_orderedEEE10hipError_tPvRmT3_T4_T5_T6_T7_T9_mT8_P12ihipStream_tbDpT10_ENKUlT_T0_E_clISt17integral_constantIbLb1EES1B_IbLb0EEEEDaS17_S18_EUlS17_E_NS1_11comp_targetILNS1_3genE8ELNS1_11target_archE1030ELNS1_3gpuE2ELNS1_3repE0EEENS1_30default_config_static_selectorELNS0_4arch9wavefront6targetE1EEEvT1_,comdat
	.protected	_ZN7rocprim17ROCPRIM_400000_NS6detail17trampoline_kernelINS0_14default_configENS1_25partition_config_selectorILNS1_17partition_subalgoE3EN6thrust23THRUST_200600_302600_NS5tupleIiiNS7_9null_typeES9_S9_S9_S9_S9_S9_S9_EENS0_10empty_typeEbEEZZNS1_14partition_implILS5_3ELb0ES3_jNS7_6detail15normal_iteratorINS7_7pointerISA_NS7_11hip_rocprim3tagENS7_11use_defaultESJ_EEEEPSB_SM_NS0_5tupleIJPSA_SM_EEENSN_IJSM_SM_EEESB_PlJ10is_orderedEEE10hipError_tPvRmT3_T4_T5_T6_T7_T9_mT8_P12ihipStream_tbDpT10_ENKUlT_T0_E_clISt17integral_constantIbLb1EES1B_IbLb0EEEEDaS17_S18_EUlS17_E_NS1_11comp_targetILNS1_3genE8ELNS1_11target_archE1030ELNS1_3gpuE2ELNS1_3repE0EEENS1_30default_config_static_selectorELNS0_4arch9wavefront6targetE1EEEvT1_ ; -- Begin function _ZN7rocprim17ROCPRIM_400000_NS6detail17trampoline_kernelINS0_14default_configENS1_25partition_config_selectorILNS1_17partition_subalgoE3EN6thrust23THRUST_200600_302600_NS5tupleIiiNS7_9null_typeES9_S9_S9_S9_S9_S9_S9_EENS0_10empty_typeEbEEZZNS1_14partition_implILS5_3ELb0ES3_jNS7_6detail15normal_iteratorINS7_7pointerISA_NS7_11hip_rocprim3tagENS7_11use_defaultESJ_EEEEPSB_SM_NS0_5tupleIJPSA_SM_EEENSN_IJSM_SM_EEESB_PlJ10is_orderedEEE10hipError_tPvRmT3_T4_T5_T6_T7_T9_mT8_P12ihipStream_tbDpT10_ENKUlT_T0_E_clISt17integral_constantIbLb1EES1B_IbLb0EEEEDaS17_S18_EUlS17_E_NS1_11comp_targetILNS1_3genE8ELNS1_11target_archE1030ELNS1_3gpuE2ELNS1_3repE0EEENS1_30default_config_static_selectorELNS0_4arch9wavefront6targetE1EEEvT1_
	.globl	_ZN7rocprim17ROCPRIM_400000_NS6detail17trampoline_kernelINS0_14default_configENS1_25partition_config_selectorILNS1_17partition_subalgoE3EN6thrust23THRUST_200600_302600_NS5tupleIiiNS7_9null_typeES9_S9_S9_S9_S9_S9_S9_EENS0_10empty_typeEbEEZZNS1_14partition_implILS5_3ELb0ES3_jNS7_6detail15normal_iteratorINS7_7pointerISA_NS7_11hip_rocprim3tagENS7_11use_defaultESJ_EEEEPSB_SM_NS0_5tupleIJPSA_SM_EEENSN_IJSM_SM_EEESB_PlJ10is_orderedEEE10hipError_tPvRmT3_T4_T5_T6_T7_T9_mT8_P12ihipStream_tbDpT10_ENKUlT_T0_E_clISt17integral_constantIbLb1EES1B_IbLb0EEEEDaS17_S18_EUlS17_E_NS1_11comp_targetILNS1_3genE8ELNS1_11target_archE1030ELNS1_3gpuE2ELNS1_3repE0EEENS1_30default_config_static_selectorELNS0_4arch9wavefront6targetE1EEEvT1_
	.p2align	8
	.type	_ZN7rocprim17ROCPRIM_400000_NS6detail17trampoline_kernelINS0_14default_configENS1_25partition_config_selectorILNS1_17partition_subalgoE3EN6thrust23THRUST_200600_302600_NS5tupleIiiNS7_9null_typeES9_S9_S9_S9_S9_S9_S9_EENS0_10empty_typeEbEEZZNS1_14partition_implILS5_3ELb0ES3_jNS7_6detail15normal_iteratorINS7_7pointerISA_NS7_11hip_rocprim3tagENS7_11use_defaultESJ_EEEEPSB_SM_NS0_5tupleIJPSA_SM_EEENSN_IJSM_SM_EEESB_PlJ10is_orderedEEE10hipError_tPvRmT3_T4_T5_T6_T7_T9_mT8_P12ihipStream_tbDpT10_ENKUlT_T0_E_clISt17integral_constantIbLb1EES1B_IbLb0EEEEDaS17_S18_EUlS17_E_NS1_11comp_targetILNS1_3genE8ELNS1_11target_archE1030ELNS1_3gpuE2ELNS1_3repE0EEENS1_30default_config_static_selectorELNS0_4arch9wavefront6targetE1EEEvT1_,@function
_ZN7rocprim17ROCPRIM_400000_NS6detail17trampoline_kernelINS0_14default_configENS1_25partition_config_selectorILNS1_17partition_subalgoE3EN6thrust23THRUST_200600_302600_NS5tupleIiiNS7_9null_typeES9_S9_S9_S9_S9_S9_S9_EENS0_10empty_typeEbEEZZNS1_14partition_implILS5_3ELb0ES3_jNS7_6detail15normal_iteratorINS7_7pointerISA_NS7_11hip_rocprim3tagENS7_11use_defaultESJ_EEEEPSB_SM_NS0_5tupleIJPSA_SM_EEENSN_IJSM_SM_EEESB_PlJ10is_orderedEEE10hipError_tPvRmT3_T4_T5_T6_T7_T9_mT8_P12ihipStream_tbDpT10_ENKUlT_T0_E_clISt17integral_constantIbLb1EES1B_IbLb0EEEEDaS17_S18_EUlS17_E_NS1_11comp_targetILNS1_3genE8ELNS1_11target_archE1030ELNS1_3gpuE2ELNS1_3repE0EEENS1_30default_config_static_selectorELNS0_4arch9wavefront6targetE1EEEvT1_: ; @_ZN7rocprim17ROCPRIM_400000_NS6detail17trampoline_kernelINS0_14default_configENS1_25partition_config_selectorILNS1_17partition_subalgoE3EN6thrust23THRUST_200600_302600_NS5tupleIiiNS7_9null_typeES9_S9_S9_S9_S9_S9_S9_EENS0_10empty_typeEbEEZZNS1_14partition_implILS5_3ELb0ES3_jNS7_6detail15normal_iteratorINS7_7pointerISA_NS7_11hip_rocprim3tagENS7_11use_defaultESJ_EEEEPSB_SM_NS0_5tupleIJPSA_SM_EEENSN_IJSM_SM_EEESB_PlJ10is_orderedEEE10hipError_tPvRmT3_T4_T5_T6_T7_T9_mT8_P12ihipStream_tbDpT10_ENKUlT_T0_E_clISt17integral_constantIbLb1EES1B_IbLb0EEEEDaS17_S18_EUlS17_E_NS1_11comp_targetILNS1_3genE8ELNS1_11target_archE1030ELNS1_3gpuE2ELNS1_3repE0EEENS1_30default_config_static_selectorELNS0_4arch9wavefront6targetE1EEEvT1_
; %bb.0:
	.section	.rodata,"a",@progbits
	.p2align	6, 0x0
	.amdhsa_kernel _ZN7rocprim17ROCPRIM_400000_NS6detail17trampoline_kernelINS0_14default_configENS1_25partition_config_selectorILNS1_17partition_subalgoE3EN6thrust23THRUST_200600_302600_NS5tupleIiiNS7_9null_typeES9_S9_S9_S9_S9_S9_S9_EENS0_10empty_typeEbEEZZNS1_14partition_implILS5_3ELb0ES3_jNS7_6detail15normal_iteratorINS7_7pointerISA_NS7_11hip_rocprim3tagENS7_11use_defaultESJ_EEEEPSB_SM_NS0_5tupleIJPSA_SM_EEENSN_IJSM_SM_EEESB_PlJ10is_orderedEEE10hipError_tPvRmT3_T4_T5_T6_T7_T9_mT8_P12ihipStream_tbDpT10_ENKUlT_T0_E_clISt17integral_constantIbLb1EES1B_IbLb0EEEEDaS17_S18_EUlS17_E_NS1_11comp_targetILNS1_3genE8ELNS1_11target_archE1030ELNS1_3gpuE2ELNS1_3repE0EEENS1_30default_config_static_selectorELNS0_4arch9wavefront6targetE1EEEvT1_
		.amdhsa_group_segment_fixed_size 0
		.amdhsa_private_segment_fixed_size 0
		.amdhsa_kernarg_size 120
		.amdhsa_user_sgpr_count 2
		.amdhsa_user_sgpr_dispatch_ptr 0
		.amdhsa_user_sgpr_queue_ptr 0
		.amdhsa_user_sgpr_kernarg_segment_ptr 1
		.amdhsa_user_sgpr_dispatch_id 0
		.amdhsa_user_sgpr_kernarg_preload_length 0
		.amdhsa_user_sgpr_kernarg_preload_offset 0
		.amdhsa_user_sgpr_private_segment_size 0
		.amdhsa_uses_dynamic_stack 0
		.amdhsa_enable_private_segment 0
		.amdhsa_system_sgpr_workgroup_id_x 1
		.amdhsa_system_sgpr_workgroup_id_y 0
		.amdhsa_system_sgpr_workgroup_id_z 0
		.amdhsa_system_sgpr_workgroup_info 0
		.amdhsa_system_vgpr_workitem_id 0
		.amdhsa_next_free_vgpr 1
		.amdhsa_next_free_sgpr 0
		.amdhsa_accum_offset 4
		.amdhsa_reserve_vcc 0
		.amdhsa_float_round_mode_32 0
		.amdhsa_float_round_mode_16_64 0
		.amdhsa_float_denorm_mode_32 3
		.amdhsa_float_denorm_mode_16_64 3
		.amdhsa_dx10_clamp 1
		.amdhsa_ieee_mode 1
		.amdhsa_fp16_overflow 0
		.amdhsa_tg_split 0
		.amdhsa_exception_fp_ieee_invalid_op 0
		.amdhsa_exception_fp_denorm_src 0
		.amdhsa_exception_fp_ieee_div_zero 0
		.amdhsa_exception_fp_ieee_overflow 0
		.amdhsa_exception_fp_ieee_underflow 0
		.amdhsa_exception_fp_ieee_inexact 0
		.amdhsa_exception_int_div_zero 0
	.end_amdhsa_kernel
	.section	.text._ZN7rocprim17ROCPRIM_400000_NS6detail17trampoline_kernelINS0_14default_configENS1_25partition_config_selectorILNS1_17partition_subalgoE3EN6thrust23THRUST_200600_302600_NS5tupleIiiNS7_9null_typeES9_S9_S9_S9_S9_S9_S9_EENS0_10empty_typeEbEEZZNS1_14partition_implILS5_3ELb0ES3_jNS7_6detail15normal_iteratorINS7_7pointerISA_NS7_11hip_rocprim3tagENS7_11use_defaultESJ_EEEEPSB_SM_NS0_5tupleIJPSA_SM_EEENSN_IJSM_SM_EEESB_PlJ10is_orderedEEE10hipError_tPvRmT3_T4_T5_T6_T7_T9_mT8_P12ihipStream_tbDpT10_ENKUlT_T0_E_clISt17integral_constantIbLb1EES1B_IbLb0EEEEDaS17_S18_EUlS17_E_NS1_11comp_targetILNS1_3genE8ELNS1_11target_archE1030ELNS1_3gpuE2ELNS1_3repE0EEENS1_30default_config_static_selectorELNS0_4arch9wavefront6targetE1EEEvT1_,"axG",@progbits,_ZN7rocprim17ROCPRIM_400000_NS6detail17trampoline_kernelINS0_14default_configENS1_25partition_config_selectorILNS1_17partition_subalgoE3EN6thrust23THRUST_200600_302600_NS5tupleIiiNS7_9null_typeES9_S9_S9_S9_S9_S9_S9_EENS0_10empty_typeEbEEZZNS1_14partition_implILS5_3ELb0ES3_jNS7_6detail15normal_iteratorINS7_7pointerISA_NS7_11hip_rocprim3tagENS7_11use_defaultESJ_EEEEPSB_SM_NS0_5tupleIJPSA_SM_EEENSN_IJSM_SM_EEESB_PlJ10is_orderedEEE10hipError_tPvRmT3_T4_T5_T6_T7_T9_mT8_P12ihipStream_tbDpT10_ENKUlT_T0_E_clISt17integral_constantIbLb1EES1B_IbLb0EEEEDaS17_S18_EUlS17_E_NS1_11comp_targetILNS1_3genE8ELNS1_11target_archE1030ELNS1_3gpuE2ELNS1_3repE0EEENS1_30default_config_static_selectorELNS0_4arch9wavefront6targetE1EEEvT1_,comdat
.Lfunc_end3515:
	.size	_ZN7rocprim17ROCPRIM_400000_NS6detail17trampoline_kernelINS0_14default_configENS1_25partition_config_selectorILNS1_17partition_subalgoE3EN6thrust23THRUST_200600_302600_NS5tupleIiiNS7_9null_typeES9_S9_S9_S9_S9_S9_S9_EENS0_10empty_typeEbEEZZNS1_14partition_implILS5_3ELb0ES3_jNS7_6detail15normal_iteratorINS7_7pointerISA_NS7_11hip_rocprim3tagENS7_11use_defaultESJ_EEEEPSB_SM_NS0_5tupleIJPSA_SM_EEENSN_IJSM_SM_EEESB_PlJ10is_orderedEEE10hipError_tPvRmT3_T4_T5_T6_T7_T9_mT8_P12ihipStream_tbDpT10_ENKUlT_T0_E_clISt17integral_constantIbLb1EES1B_IbLb0EEEEDaS17_S18_EUlS17_E_NS1_11comp_targetILNS1_3genE8ELNS1_11target_archE1030ELNS1_3gpuE2ELNS1_3repE0EEENS1_30default_config_static_selectorELNS0_4arch9wavefront6targetE1EEEvT1_, .Lfunc_end3515-_ZN7rocprim17ROCPRIM_400000_NS6detail17trampoline_kernelINS0_14default_configENS1_25partition_config_selectorILNS1_17partition_subalgoE3EN6thrust23THRUST_200600_302600_NS5tupleIiiNS7_9null_typeES9_S9_S9_S9_S9_S9_S9_EENS0_10empty_typeEbEEZZNS1_14partition_implILS5_3ELb0ES3_jNS7_6detail15normal_iteratorINS7_7pointerISA_NS7_11hip_rocprim3tagENS7_11use_defaultESJ_EEEEPSB_SM_NS0_5tupleIJPSA_SM_EEENSN_IJSM_SM_EEESB_PlJ10is_orderedEEE10hipError_tPvRmT3_T4_T5_T6_T7_T9_mT8_P12ihipStream_tbDpT10_ENKUlT_T0_E_clISt17integral_constantIbLb1EES1B_IbLb0EEEEDaS17_S18_EUlS17_E_NS1_11comp_targetILNS1_3genE8ELNS1_11target_archE1030ELNS1_3gpuE2ELNS1_3repE0EEENS1_30default_config_static_selectorELNS0_4arch9wavefront6targetE1EEEvT1_
                                        ; -- End function
	.section	.AMDGPU.csdata,"",@progbits
; Kernel info:
; codeLenInByte = 0
; NumSgprs: 6
; NumVgprs: 0
; NumAgprs: 0
; TotalNumVgprs: 0
; ScratchSize: 0
; MemoryBound: 0
; FloatMode: 240
; IeeeMode: 1
; LDSByteSize: 0 bytes/workgroup (compile time only)
; SGPRBlocks: 0
; VGPRBlocks: 0
; NumSGPRsForWavesPerEU: 6
; NumVGPRsForWavesPerEU: 1
; AccumOffset: 4
; Occupancy: 8
; WaveLimiterHint : 0
; COMPUTE_PGM_RSRC2:SCRATCH_EN: 0
; COMPUTE_PGM_RSRC2:USER_SGPR: 2
; COMPUTE_PGM_RSRC2:TRAP_HANDLER: 0
; COMPUTE_PGM_RSRC2:TGID_X_EN: 1
; COMPUTE_PGM_RSRC2:TGID_Y_EN: 0
; COMPUTE_PGM_RSRC2:TGID_Z_EN: 0
; COMPUTE_PGM_RSRC2:TIDIG_COMP_CNT: 0
; COMPUTE_PGM_RSRC3_GFX90A:ACCUM_OFFSET: 0
; COMPUTE_PGM_RSRC3_GFX90A:TG_SPLIT: 0
	.section	.text._ZN7rocprim17ROCPRIM_400000_NS6detail17trampoline_kernelINS0_14default_configENS1_25partition_config_selectorILNS1_17partition_subalgoE3EN6thrust23THRUST_200600_302600_NS5tupleIiiNS7_9null_typeES9_S9_S9_S9_S9_S9_S9_EENS0_10empty_typeEbEEZZNS1_14partition_implILS5_3ELb0ES3_jNS7_6detail15normal_iteratorINS7_7pointerISA_NS7_11hip_rocprim3tagENS7_11use_defaultESJ_EEEEPSB_SM_NS0_5tupleIJPSA_SM_EEENSN_IJSM_SM_EEESB_PlJ10is_orderedEEE10hipError_tPvRmT3_T4_T5_T6_T7_T9_mT8_P12ihipStream_tbDpT10_ENKUlT_T0_E_clISt17integral_constantIbLb0EES1B_IbLb1EEEEDaS17_S18_EUlS17_E_NS1_11comp_targetILNS1_3genE0ELNS1_11target_archE4294967295ELNS1_3gpuE0ELNS1_3repE0EEENS1_30default_config_static_selectorELNS0_4arch9wavefront6targetE1EEEvT1_,"axG",@progbits,_ZN7rocprim17ROCPRIM_400000_NS6detail17trampoline_kernelINS0_14default_configENS1_25partition_config_selectorILNS1_17partition_subalgoE3EN6thrust23THRUST_200600_302600_NS5tupleIiiNS7_9null_typeES9_S9_S9_S9_S9_S9_S9_EENS0_10empty_typeEbEEZZNS1_14partition_implILS5_3ELb0ES3_jNS7_6detail15normal_iteratorINS7_7pointerISA_NS7_11hip_rocprim3tagENS7_11use_defaultESJ_EEEEPSB_SM_NS0_5tupleIJPSA_SM_EEENSN_IJSM_SM_EEESB_PlJ10is_orderedEEE10hipError_tPvRmT3_T4_T5_T6_T7_T9_mT8_P12ihipStream_tbDpT10_ENKUlT_T0_E_clISt17integral_constantIbLb0EES1B_IbLb1EEEEDaS17_S18_EUlS17_E_NS1_11comp_targetILNS1_3genE0ELNS1_11target_archE4294967295ELNS1_3gpuE0ELNS1_3repE0EEENS1_30default_config_static_selectorELNS0_4arch9wavefront6targetE1EEEvT1_,comdat
	.protected	_ZN7rocprim17ROCPRIM_400000_NS6detail17trampoline_kernelINS0_14default_configENS1_25partition_config_selectorILNS1_17partition_subalgoE3EN6thrust23THRUST_200600_302600_NS5tupleIiiNS7_9null_typeES9_S9_S9_S9_S9_S9_S9_EENS0_10empty_typeEbEEZZNS1_14partition_implILS5_3ELb0ES3_jNS7_6detail15normal_iteratorINS7_7pointerISA_NS7_11hip_rocprim3tagENS7_11use_defaultESJ_EEEEPSB_SM_NS0_5tupleIJPSA_SM_EEENSN_IJSM_SM_EEESB_PlJ10is_orderedEEE10hipError_tPvRmT3_T4_T5_T6_T7_T9_mT8_P12ihipStream_tbDpT10_ENKUlT_T0_E_clISt17integral_constantIbLb0EES1B_IbLb1EEEEDaS17_S18_EUlS17_E_NS1_11comp_targetILNS1_3genE0ELNS1_11target_archE4294967295ELNS1_3gpuE0ELNS1_3repE0EEENS1_30default_config_static_selectorELNS0_4arch9wavefront6targetE1EEEvT1_ ; -- Begin function _ZN7rocprim17ROCPRIM_400000_NS6detail17trampoline_kernelINS0_14default_configENS1_25partition_config_selectorILNS1_17partition_subalgoE3EN6thrust23THRUST_200600_302600_NS5tupleIiiNS7_9null_typeES9_S9_S9_S9_S9_S9_S9_EENS0_10empty_typeEbEEZZNS1_14partition_implILS5_3ELb0ES3_jNS7_6detail15normal_iteratorINS7_7pointerISA_NS7_11hip_rocprim3tagENS7_11use_defaultESJ_EEEEPSB_SM_NS0_5tupleIJPSA_SM_EEENSN_IJSM_SM_EEESB_PlJ10is_orderedEEE10hipError_tPvRmT3_T4_T5_T6_T7_T9_mT8_P12ihipStream_tbDpT10_ENKUlT_T0_E_clISt17integral_constantIbLb0EES1B_IbLb1EEEEDaS17_S18_EUlS17_E_NS1_11comp_targetILNS1_3genE0ELNS1_11target_archE4294967295ELNS1_3gpuE0ELNS1_3repE0EEENS1_30default_config_static_selectorELNS0_4arch9wavefront6targetE1EEEvT1_
	.globl	_ZN7rocprim17ROCPRIM_400000_NS6detail17trampoline_kernelINS0_14default_configENS1_25partition_config_selectorILNS1_17partition_subalgoE3EN6thrust23THRUST_200600_302600_NS5tupleIiiNS7_9null_typeES9_S9_S9_S9_S9_S9_S9_EENS0_10empty_typeEbEEZZNS1_14partition_implILS5_3ELb0ES3_jNS7_6detail15normal_iteratorINS7_7pointerISA_NS7_11hip_rocprim3tagENS7_11use_defaultESJ_EEEEPSB_SM_NS0_5tupleIJPSA_SM_EEENSN_IJSM_SM_EEESB_PlJ10is_orderedEEE10hipError_tPvRmT3_T4_T5_T6_T7_T9_mT8_P12ihipStream_tbDpT10_ENKUlT_T0_E_clISt17integral_constantIbLb0EES1B_IbLb1EEEEDaS17_S18_EUlS17_E_NS1_11comp_targetILNS1_3genE0ELNS1_11target_archE4294967295ELNS1_3gpuE0ELNS1_3repE0EEENS1_30default_config_static_selectorELNS0_4arch9wavefront6targetE1EEEvT1_
	.p2align	8
	.type	_ZN7rocprim17ROCPRIM_400000_NS6detail17trampoline_kernelINS0_14default_configENS1_25partition_config_selectorILNS1_17partition_subalgoE3EN6thrust23THRUST_200600_302600_NS5tupleIiiNS7_9null_typeES9_S9_S9_S9_S9_S9_S9_EENS0_10empty_typeEbEEZZNS1_14partition_implILS5_3ELb0ES3_jNS7_6detail15normal_iteratorINS7_7pointerISA_NS7_11hip_rocprim3tagENS7_11use_defaultESJ_EEEEPSB_SM_NS0_5tupleIJPSA_SM_EEENSN_IJSM_SM_EEESB_PlJ10is_orderedEEE10hipError_tPvRmT3_T4_T5_T6_T7_T9_mT8_P12ihipStream_tbDpT10_ENKUlT_T0_E_clISt17integral_constantIbLb0EES1B_IbLb1EEEEDaS17_S18_EUlS17_E_NS1_11comp_targetILNS1_3genE0ELNS1_11target_archE4294967295ELNS1_3gpuE0ELNS1_3repE0EEENS1_30default_config_static_selectorELNS0_4arch9wavefront6targetE1EEEvT1_,@function
_ZN7rocprim17ROCPRIM_400000_NS6detail17trampoline_kernelINS0_14default_configENS1_25partition_config_selectorILNS1_17partition_subalgoE3EN6thrust23THRUST_200600_302600_NS5tupleIiiNS7_9null_typeES9_S9_S9_S9_S9_S9_S9_EENS0_10empty_typeEbEEZZNS1_14partition_implILS5_3ELb0ES3_jNS7_6detail15normal_iteratorINS7_7pointerISA_NS7_11hip_rocprim3tagENS7_11use_defaultESJ_EEEEPSB_SM_NS0_5tupleIJPSA_SM_EEENSN_IJSM_SM_EEESB_PlJ10is_orderedEEE10hipError_tPvRmT3_T4_T5_T6_T7_T9_mT8_P12ihipStream_tbDpT10_ENKUlT_T0_E_clISt17integral_constantIbLb0EES1B_IbLb1EEEEDaS17_S18_EUlS17_E_NS1_11comp_targetILNS1_3genE0ELNS1_11target_archE4294967295ELNS1_3gpuE0ELNS1_3repE0EEENS1_30default_config_static_selectorELNS0_4arch9wavefront6targetE1EEEvT1_: ; @_ZN7rocprim17ROCPRIM_400000_NS6detail17trampoline_kernelINS0_14default_configENS1_25partition_config_selectorILNS1_17partition_subalgoE3EN6thrust23THRUST_200600_302600_NS5tupleIiiNS7_9null_typeES9_S9_S9_S9_S9_S9_S9_EENS0_10empty_typeEbEEZZNS1_14partition_implILS5_3ELb0ES3_jNS7_6detail15normal_iteratorINS7_7pointerISA_NS7_11hip_rocprim3tagENS7_11use_defaultESJ_EEEEPSB_SM_NS0_5tupleIJPSA_SM_EEENSN_IJSM_SM_EEESB_PlJ10is_orderedEEE10hipError_tPvRmT3_T4_T5_T6_T7_T9_mT8_P12ihipStream_tbDpT10_ENKUlT_T0_E_clISt17integral_constantIbLb0EES1B_IbLb1EEEEDaS17_S18_EUlS17_E_NS1_11comp_targetILNS1_3genE0ELNS1_11target_archE4294967295ELNS1_3gpuE0ELNS1_3repE0EEENS1_30default_config_static_selectorELNS0_4arch9wavefront6targetE1EEEvT1_
; %bb.0:
	.section	.rodata,"a",@progbits
	.p2align	6, 0x0
	.amdhsa_kernel _ZN7rocprim17ROCPRIM_400000_NS6detail17trampoline_kernelINS0_14default_configENS1_25partition_config_selectorILNS1_17partition_subalgoE3EN6thrust23THRUST_200600_302600_NS5tupleIiiNS7_9null_typeES9_S9_S9_S9_S9_S9_S9_EENS0_10empty_typeEbEEZZNS1_14partition_implILS5_3ELb0ES3_jNS7_6detail15normal_iteratorINS7_7pointerISA_NS7_11hip_rocprim3tagENS7_11use_defaultESJ_EEEEPSB_SM_NS0_5tupleIJPSA_SM_EEENSN_IJSM_SM_EEESB_PlJ10is_orderedEEE10hipError_tPvRmT3_T4_T5_T6_T7_T9_mT8_P12ihipStream_tbDpT10_ENKUlT_T0_E_clISt17integral_constantIbLb0EES1B_IbLb1EEEEDaS17_S18_EUlS17_E_NS1_11comp_targetILNS1_3genE0ELNS1_11target_archE4294967295ELNS1_3gpuE0ELNS1_3repE0EEENS1_30default_config_static_selectorELNS0_4arch9wavefront6targetE1EEEvT1_
		.amdhsa_group_segment_fixed_size 0
		.amdhsa_private_segment_fixed_size 0
		.amdhsa_kernarg_size 136
		.amdhsa_user_sgpr_count 2
		.amdhsa_user_sgpr_dispatch_ptr 0
		.amdhsa_user_sgpr_queue_ptr 0
		.amdhsa_user_sgpr_kernarg_segment_ptr 1
		.amdhsa_user_sgpr_dispatch_id 0
		.amdhsa_user_sgpr_kernarg_preload_length 0
		.amdhsa_user_sgpr_kernarg_preload_offset 0
		.amdhsa_user_sgpr_private_segment_size 0
		.amdhsa_uses_dynamic_stack 0
		.amdhsa_enable_private_segment 0
		.amdhsa_system_sgpr_workgroup_id_x 1
		.amdhsa_system_sgpr_workgroup_id_y 0
		.amdhsa_system_sgpr_workgroup_id_z 0
		.amdhsa_system_sgpr_workgroup_info 0
		.amdhsa_system_vgpr_workitem_id 0
		.amdhsa_next_free_vgpr 1
		.amdhsa_next_free_sgpr 0
		.amdhsa_accum_offset 4
		.amdhsa_reserve_vcc 0
		.amdhsa_float_round_mode_32 0
		.amdhsa_float_round_mode_16_64 0
		.amdhsa_float_denorm_mode_32 3
		.amdhsa_float_denorm_mode_16_64 3
		.amdhsa_dx10_clamp 1
		.amdhsa_ieee_mode 1
		.amdhsa_fp16_overflow 0
		.amdhsa_tg_split 0
		.amdhsa_exception_fp_ieee_invalid_op 0
		.amdhsa_exception_fp_denorm_src 0
		.amdhsa_exception_fp_ieee_div_zero 0
		.amdhsa_exception_fp_ieee_overflow 0
		.amdhsa_exception_fp_ieee_underflow 0
		.amdhsa_exception_fp_ieee_inexact 0
		.amdhsa_exception_int_div_zero 0
	.end_amdhsa_kernel
	.section	.text._ZN7rocprim17ROCPRIM_400000_NS6detail17trampoline_kernelINS0_14default_configENS1_25partition_config_selectorILNS1_17partition_subalgoE3EN6thrust23THRUST_200600_302600_NS5tupleIiiNS7_9null_typeES9_S9_S9_S9_S9_S9_S9_EENS0_10empty_typeEbEEZZNS1_14partition_implILS5_3ELb0ES3_jNS7_6detail15normal_iteratorINS7_7pointerISA_NS7_11hip_rocprim3tagENS7_11use_defaultESJ_EEEEPSB_SM_NS0_5tupleIJPSA_SM_EEENSN_IJSM_SM_EEESB_PlJ10is_orderedEEE10hipError_tPvRmT3_T4_T5_T6_T7_T9_mT8_P12ihipStream_tbDpT10_ENKUlT_T0_E_clISt17integral_constantIbLb0EES1B_IbLb1EEEEDaS17_S18_EUlS17_E_NS1_11comp_targetILNS1_3genE0ELNS1_11target_archE4294967295ELNS1_3gpuE0ELNS1_3repE0EEENS1_30default_config_static_selectorELNS0_4arch9wavefront6targetE1EEEvT1_,"axG",@progbits,_ZN7rocprim17ROCPRIM_400000_NS6detail17trampoline_kernelINS0_14default_configENS1_25partition_config_selectorILNS1_17partition_subalgoE3EN6thrust23THRUST_200600_302600_NS5tupleIiiNS7_9null_typeES9_S9_S9_S9_S9_S9_S9_EENS0_10empty_typeEbEEZZNS1_14partition_implILS5_3ELb0ES3_jNS7_6detail15normal_iteratorINS7_7pointerISA_NS7_11hip_rocprim3tagENS7_11use_defaultESJ_EEEEPSB_SM_NS0_5tupleIJPSA_SM_EEENSN_IJSM_SM_EEESB_PlJ10is_orderedEEE10hipError_tPvRmT3_T4_T5_T6_T7_T9_mT8_P12ihipStream_tbDpT10_ENKUlT_T0_E_clISt17integral_constantIbLb0EES1B_IbLb1EEEEDaS17_S18_EUlS17_E_NS1_11comp_targetILNS1_3genE0ELNS1_11target_archE4294967295ELNS1_3gpuE0ELNS1_3repE0EEENS1_30default_config_static_selectorELNS0_4arch9wavefront6targetE1EEEvT1_,comdat
.Lfunc_end3516:
	.size	_ZN7rocprim17ROCPRIM_400000_NS6detail17trampoline_kernelINS0_14default_configENS1_25partition_config_selectorILNS1_17partition_subalgoE3EN6thrust23THRUST_200600_302600_NS5tupleIiiNS7_9null_typeES9_S9_S9_S9_S9_S9_S9_EENS0_10empty_typeEbEEZZNS1_14partition_implILS5_3ELb0ES3_jNS7_6detail15normal_iteratorINS7_7pointerISA_NS7_11hip_rocprim3tagENS7_11use_defaultESJ_EEEEPSB_SM_NS0_5tupleIJPSA_SM_EEENSN_IJSM_SM_EEESB_PlJ10is_orderedEEE10hipError_tPvRmT3_T4_T5_T6_T7_T9_mT8_P12ihipStream_tbDpT10_ENKUlT_T0_E_clISt17integral_constantIbLb0EES1B_IbLb1EEEEDaS17_S18_EUlS17_E_NS1_11comp_targetILNS1_3genE0ELNS1_11target_archE4294967295ELNS1_3gpuE0ELNS1_3repE0EEENS1_30default_config_static_selectorELNS0_4arch9wavefront6targetE1EEEvT1_, .Lfunc_end3516-_ZN7rocprim17ROCPRIM_400000_NS6detail17trampoline_kernelINS0_14default_configENS1_25partition_config_selectorILNS1_17partition_subalgoE3EN6thrust23THRUST_200600_302600_NS5tupleIiiNS7_9null_typeES9_S9_S9_S9_S9_S9_S9_EENS0_10empty_typeEbEEZZNS1_14partition_implILS5_3ELb0ES3_jNS7_6detail15normal_iteratorINS7_7pointerISA_NS7_11hip_rocprim3tagENS7_11use_defaultESJ_EEEEPSB_SM_NS0_5tupleIJPSA_SM_EEENSN_IJSM_SM_EEESB_PlJ10is_orderedEEE10hipError_tPvRmT3_T4_T5_T6_T7_T9_mT8_P12ihipStream_tbDpT10_ENKUlT_T0_E_clISt17integral_constantIbLb0EES1B_IbLb1EEEEDaS17_S18_EUlS17_E_NS1_11comp_targetILNS1_3genE0ELNS1_11target_archE4294967295ELNS1_3gpuE0ELNS1_3repE0EEENS1_30default_config_static_selectorELNS0_4arch9wavefront6targetE1EEEvT1_
                                        ; -- End function
	.section	.AMDGPU.csdata,"",@progbits
; Kernel info:
; codeLenInByte = 0
; NumSgprs: 6
; NumVgprs: 0
; NumAgprs: 0
; TotalNumVgprs: 0
; ScratchSize: 0
; MemoryBound: 0
; FloatMode: 240
; IeeeMode: 1
; LDSByteSize: 0 bytes/workgroup (compile time only)
; SGPRBlocks: 0
; VGPRBlocks: 0
; NumSGPRsForWavesPerEU: 6
; NumVGPRsForWavesPerEU: 1
; AccumOffset: 4
; Occupancy: 8
; WaveLimiterHint : 0
; COMPUTE_PGM_RSRC2:SCRATCH_EN: 0
; COMPUTE_PGM_RSRC2:USER_SGPR: 2
; COMPUTE_PGM_RSRC2:TRAP_HANDLER: 0
; COMPUTE_PGM_RSRC2:TGID_X_EN: 1
; COMPUTE_PGM_RSRC2:TGID_Y_EN: 0
; COMPUTE_PGM_RSRC2:TGID_Z_EN: 0
; COMPUTE_PGM_RSRC2:TIDIG_COMP_CNT: 0
; COMPUTE_PGM_RSRC3_GFX90A:ACCUM_OFFSET: 0
; COMPUTE_PGM_RSRC3_GFX90A:TG_SPLIT: 0
	.section	.text._ZN7rocprim17ROCPRIM_400000_NS6detail17trampoline_kernelINS0_14default_configENS1_25partition_config_selectorILNS1_17partition_subalgoE3EN6thrust23THRUST_200600_302600_NS5tupleIiiNS7_9null_typeES9_S9_S9_S9_S9_S9_S9_EENS0_10empty_typeEbEEZZNS1_14partition_implILS5_3ELb0ES3_jNS7_6detail15normal_iteratorINS7_7pointerISA_NS7_11hip_rocprim3tagENS7_11use_defaultESJ_EEEEPSB_SM_NS0_5tupleIJPSA_SM_EEENSN_IJSM_SM_EEESB_PlJ10is_orderedEEE10hipError_tPvRmT3_T4_T5_T6_T7_T9_mT8_P12ihipStream_tbDpT10_ENKUlT_T0_E_clISt17integral_constantIbLb0EES1B_IbLb1EEEEDaS17_S18_EUlS17_E_NS1_11comp_targetILNS1_3genE5ELNS1_11target_archE942ELNS1_3gpuE9ELNS1_3repE0EEENS1_30default_config_static_selectorELNS0_4arch9wavefront6targetE1EEEvT1_,"axG",@progbits,_ZN7rocprim17ROCPRIM_400000_NS6detail17trampoline_kernelINS0_14default_configENS1_25partition_config_selectorILNS1_17partition_subalgoE3EN6thrust23THRUST_200600_302600_NS5tupleIiiNS7_9null_typeES9_S9_S9_S9_S9_S9_S9_EENS0_10empty_typeEbEEZZNS1_14partition_implILS5_3ELb0ES3_jNS7_6detail15normal_iteratorINS7_7pointerISA_NS7_11hip_rocprim3tagENS7_11use_defaultESJ_EEEEPSB_SM_NS0_5tupleIJPSA_SM_EEENSN_IJSM_SM_EEESB_PlJ10is_orderedEEE10hipError_tPvRmT3_T4_T5_T6_T7_T9_mT8_P12ihipStream_tbDpT10_ENKUlT_T0_E_clISt17integral_constantIbLb0EES1B_IbLb1EEEEDaS17_S18_EUlS17_E_NS1_11comp_targetILNS1_3genE5ELNS1_11target_archE942ELNS1_3gpuE9ELNS1_3repE0EEENS1_30default_config_static_selectorELNS0_4arch9wavefront6targetE1EEEvT1_,comdat
	.protected	_ZN7rocprim17ROCPRIM_400000_NS6detail17trampoline_kernelINS0_14default_configENS1_25partition_config_selectorILNS1_17partition_subalgoE3EN6thrust23THRUST_200600_302600_NS5tupleIiiNS7_9null_typeES9_S9_S9_S9_S9_S9_S9_EENS0_10empty_typeEbEEZZNS1_14partition_implILS5_3ELb0ES3_jNS7_6detail15normal_iteratorINS7_7pointerISA_NS7_11hip_rocprim3tagENS7_11use_defaultESJ_EEEEPSB_SM_NS0_5tupleIJPSA_SM_EEENSN_IJSM_SM_EEESB_PlJ10is_orderedEEE10hipError_tPvRmT3_T4_T5_T6_T7_T9_mT8_P12ihipStream_tbDpT10_ENKUlT_T0_E_clISt17integral_constantIbLb0EES1B_IbLb1EEEEDaS17_S18_EUlS17_E_NS1_11comp_targetILNS1_3genE5ELNS1_11target_archE942ELNS1_3gpuE9ELNS1_3repE0EEENS1_30default_config_static_selectorELNS0_4arch9wavefront6targetE1EEEvT1_ ; -- Begin function _ZN7rocprim17ROCPRIM_400000_NS6detail17trampoline_kernelINS0_14default_configENS1_25partition_config_selectorILNS1_17partition_subalgoE3EN6thrust23THRUST_200600_302600_NS5tupleIiiNS7_9null_typeES9_S9_S9_S9_S9_S9_S9_EENS0_10empty_typeEbEEZZNS1_14partition_implILS5_3ELb0ES3_jNS7_6detail15normal_iteratorINS7_7pointerISA_NS7_11hip_rocprim3tagENS7_11use_defaultESJ_EEEEPSB_SM_NS0_5tupleIJPSA_SM_EEENSN_IJSM_SM_EEESB_PlJ10is_orderedEEE10hipError_tPvRmT3_T4_T5_T6_T7_T9_mT8_P12ihipStream_tbDpT10_ENKUlT_T0_E_clISt17integral_constantIbLb0EES1B_IbLb1EEEEDaS17_S18_EUlS17_E_NS1_11comp_targetILNS1_3genE5ELNS1_11target_archE942ELNS1_3gpuE9ELNS1_3repE0EEENS1_30default_config_static_selectorELNS0_4arch9wavefront6targetE1EEEvT1_
	.globl	_ZN7rocprim17ROCPRIM_400000_NS6detail17trampoline_kernelINS0_14default_configENS1_25partition_config_selectorILNS1_17partition_subalgoE3EN6thrust23THRUST_200600_302600_NS5tupleIiiNS7_9null_typeES9_S9_S9_S9_S9_S9_S9_EENS0_10empty_typeEbEEZZNS1_14partition_implILS5_3ELb0ES3_jNS7_6detail15normal_iteratorINS7_7pointerISA_NS7_11hip_rocprim3tagENS7_11use_defaultESJ_EEEEPSB_SM_NS0_5tupleIJPSA_SM_EEENSN_IJSM_SM_EEESB_PlJ10is_orderedEEE10hipError_tPvRmT3_T4_T5_T6_T7_T9_mT8_P12ihipStream_tbDpT10_ENKUlT_T0_E_clISt17integral_constantIbLb0EES1B_IbLb1EEEEDaS17_S18_EUlS17_E_NS1_11comp_targetILNS1_3genE5ELNS1_11target_archE942ELNS1_3gpuE9ELNS1_3repE0EEENS1_30default_config_static_selectorELNS0_4arch9wavefront6targetE1EEEvT1_
	.p2align	8
	.type	_ZN7rocprim17ROCPRIM_400000_NS6detail17trampoline_kernelINS0_14default_configENS1_25partition_config_selectorILNS1_17partition_subalgoE3EN6thrust23THRUST_200600_302600_NS5tupleIiiNS7_9null_typeES9_S9_S9_S9_S9_S9_S9_EENS0_10empty_typeEbEEZZNS1_14partition_implILS5_3ELb0ES3_jNS7_6detail15normal_iteratorINS7_7pointerISA_NS7_11hip_rocprim3tagENS7_11use_defaultESJ_EEEEPSB_SM_NS0_5tupleIJPSA_SM_EEENSN_IJSM_SM_EEESB_PlJ10is_orderedEEE10hipError_tPvRmT3_T4_T5_T6_T7_T9_mT8_P12ihipStream_tbDpT10_ENKUlT_T0_E_clISt17integral_constantIbLb0EES1B_IbLb1EEEEDaS17_S18_EUlS17_E_NS1_11comp_targetILNS1_3genE5ELNS1_11target_archE942ELNS1_3gpuE9ELNS1_3repE0EEENS1_30default_config_static_selectorELNS0_4arch9wavefront6targetE1EEEvT1_,@function
_ZN7rocprim17ROCPRIM_400000_NS6detail17trampoline_kernelINS0_14default_configENS1_25partition_config_selectorILNS1_17partition_subalgoE3EN6thrust23THRUST_200600_302600_NS5tupleIiiNS7_9null_typeES9_S9_S9_S9_S9_S9_S9_EENS0_10empty_typeEbEEZZNS1_14partition_implILS5_3ELb0ES3_jNS7_6detail15normal_iteratorINS7_7pointerISA_NS7_11hip_rocprim3tagENS7_11use_defaultESJ_EEEEPSB_SM_NS0_5tupleIJPSA_SM_EEENSN_IJSM_SM_EEESB_PlJ10is_orderedEEE10hipError_tPvRmT3_T4_T5_T6_T7_T9_mT8_P12ihipStream_tbDpT10_ENKUlT_T0_E_clISt17integral_constantIbLb0EES1B_IbLb1EEEEDaS17_S18_EUlS17_E_NS1_11comp_targetILNS1_3genE5ELNS1_11target_archE942ELNS1_3gpuE9ELNS1_3repE0EEENS1_30default_config_static_selectorELNS0_4arch9wavefront6targetE1EEEvT1_: ; @_ZN7rocprim17ROCPRIM_400000_NS6detail17trampoline_kernelINS0_14default_configENS1_25partition_config_selectorILNS1_17partition_subalgoE3EN6thrust23THRUST_200600_302600_NS5tupleIiiNS7_9null_typeES9_S9_S9_S9_S9_S9_S9_EENS0_10empty_typeEbEEZZNS1_14partition_implILS5_3ELb0ES3_jNS7_6detail15normal_iteratorINS7_7pointerISA_NS7_11hip_rocprim3tagENS7_11use_defaultESJ_EEEEPSB_SM_NS0_5tupleIJPSA_SM_EEENSN_IJSM_SM_EEESB_PlJ10is_orderedEEE10hipError_tPvRmT3_T4_T5_T6_T7_T9_mT8_P12ihipStream_tbDpT10_ENKUlT_T0_E_clISt17integral_constantIbLb0EES1B_IbLb1EEEEDaS17_S18_EUlS17_E_NS1_11comp_targetILNS1_3genE5ELNS1_11target_archE942ELNS1_3gpuE9ELNS1_3repE0EEENS1_30default_config_static_selectorELNS0_4arch9wavefront6targetE1EEEvT1_
; %bb.0:
	s_load_dwordx2 s[22:23], s[0:1], 0x28
	s_load_dwordx4 s[24:27], s[0:1], 0x48
	s_load_dwordx2 s[34:35], s[0:1], 0x58
	s_load_dwordx2 s[36:37], s[0:1], 0x68
	v_cmp_eq_u32_e64 s[20:21], 0, v0
	s_and_saveexec_b64 s[2:3], s[20:21]
	s_cbranch_execz .LBB3517_4
; %bb.1:
	s_mov_b64 s[6:7], exec
	v_mbcnt_lo_u32_b32 v1, s6, 0
	v_mbcnt_hi_u32_b32 v1, s7, v1
	v_cmp_eq_u32_e32 vcc, 0, v1
                                        ; implicit-def: $vgpr2
	s_and_saveexec_b64 s[4:5], vcc
	s_cbranch_execz .LBB3517_3
; %bb.2:
	s_load_dwordx2 s[8:9], s[0:1], 0x78
	s_bcnt1_i32_b64 s6, s[6:7]
	v_mov_b32_e32 v2, 0
	v_mov_b32_e32 v3, s6
	s_waitcnt lgkmcnt(0)
	global_atomic_add v2, v2, v3, s[8:9] sc0
.LBB3517_3:
	s_or_b64 exec, exec, s[4:5]
	s_waitcnt vmcnt(0)
	v_readfirstlane_b32 s4, v2
	v_mov_b32_e32 v2, 0
	s_nop 0
	v_add_u32_e32 v1, s4, v1
	ds_write_b32 v2, v1
.LBB3517_4:
	s_or_b64 exec, exec, s[2:3]
	v_mov_b32_e32 v15, 0
	s_load_dwordx4 s[28:31], s[0:1], 0x8
	s_load_dword s2, s[0:1], 0x70
	s_waitcnt lgkmcnt(0)
	s_barrier
	ds_read_b32 v1, v15
	s_waitcnt lgkmcnt(0)
	s_barrier
	global_load_dwordx2 v[16:17], v15, s[26:27]
	s_lshl_b64 s[0:1], s[30:31], 3
	s_add_u32 s0, s28, s0
	s_addc_u32 s1, s29, s1
	s_add_i32 s4, s2, -1
	s_mulk_i32 s2, 0xe00
	s_add_i32 s3, s2, s30
	s_sub_i32 s33, s34, s3
	s_addk_i32 s33, 0xe00
	s_add_u32 s2, s30, s2
	v_readfirstlane_b32 s42, v1
	s_addc_u32 s3, s31, 0
	s_cmp_eq_u32 s42, s4
	s_movk_i32 s6, 0xe00
	s_cselect_b64 s[26:27], -1, 0
	s_cmp_lg_u32 s42, s4
	v_mov_b64_e32 v[2:3], s[34:35]
	s_cselect_b64 s[4:5], -1, 0
	v_mul_lo_u32 v14, v1, s6
	v_cmp_lt_u64_e32 vcc, s[2:3], v[2:3]
	s_or_b64 s[4:5], vcc, s[4:5]
	v_lshlrev_b64 v[2:3], 3, v[14:15]
	v_lshl_add_u64 v[2:3], s[0:1], 0, v[2:3]
	s_mov_b64 s[0:1], -1
	s_and_b64 vcc, exec, s[4:5]
	v_lshlrev_b32_e32 v18, 3, v0
	s_cbranch_vccz .LBB3517_6
; %bb.5:
	v_mov_b32_e32 v19, v15
	v_lshl_add_u64 v[4:5], v[2:3], 0, v[18:19]
	v_add_co_u32_e32 v6, vcc, 0x1000, v4
	s_mov_b64 s[0:1], 0
	s_nop 0
	v_addc_co_u32_e32 v7, vcc, 0, v5, vcc
	v_add_co_u32_e32 v8, vcc, 0x2000, v4
	s_nop 1
	v_addc_co_u32_e32 v9, vcc, 0, v5, vcc
	v_add_co_u32_e32 v10, vcc, 0x3000, v4
	s_nop 1
	v_addc_co_u32_e32 v11, vcc, 0, v5, vcc
	flat_load_dwordx2 v[12:13], v[4:5]
	flat_load_dwordx2 v[20:21], v[6:7]
	;; [unrolled: 1-line block ×4, first 2 shown]
	v_add_co_u32_e32 v6, vcc, 0x4000, v4
	s_nop 1
	v_addc_co_u32_e32 v7, vcc, 0, v5, vcc
	v_add_co_u32_e32 v8, vcc, 0x5000, v4
	s_nop 1
	v_addc_co_u32_e32 v9, vcc, 0, v5, vcc
	;; [unrolled: 3-line block ×3, first 2 shown]
	flat_load_dwordx2 v[10:11], v[6:7]
	flat_load_dwordx2 v[26:27], v[8:9]
	;; [unrolled: 1-line block ×3, first 2 shown]
	s_waitcnt vmcnt(0) lgkmcnt(0)
	ds_write2st64_b64 v18, v[12:13], v[20:21] offset1:8
	ds_write2st64_b64 v18, v[22:23], v[24:25] offset0:16 offset1:24
	ds_write2st64_b64 v18, v[10:11], v[26:27] offset0:32 offset1:40
	ds_write_b64 v18, v[28:29] offset:24576
	s_waitcnt lgkmcnt(0)
	s_barrier
.LBB3517_6:
	s_andn2_b64 vcc, exec, s[0:1]
	v_cmp_gt_u32_e64 s[0:1], s33, v0
	s_cbranch_vccnz .LBB3517_22
; %bb.7:
	v_mov_b64_e32 v[6:7], 0
	v_mov_b64_e32 v[4:5], v[6:7]
	s_and_saveexec_b64 s[2:3], s[0:1]
	s_cbranch_execz .LBB3517_9
; %bb.8:
	v_mov_b32_e32 v19, 0
	v_lshl_add_u64 v[4:5], v[2:3], 0, v[18:19]
	flat_load_dwordx2 v[4:5], v[4:5]
.LBB3517_9:
	s_or_b64 exec, exec, s[2:3]
	v_or_b32_e32 v1, 0x200, v0
	v_cmp_gt_u32_e32 vcc, s33, v1
	s_and_saveexec_b64 s[0:1], vcc
	s_cbranch_execz .LBB3517_11
; %bb.10:
	v_lshlrev_b32_e32 v6, 3, v1
	v_mov_b32_e32 v7, 0
	v_lshl_add_u64 v[6:7], v[2:3], 0, v[6:7]
	flat_load_dwordx2 v[6:7], v[6:7]
.LBB3517_11:
	s_or_b64 exec, exec, s[0:1]
	v_or_b32_e32 v1, 0x400, v0
	v_mov_b64_e32 v[8:9], 0
	v_cmp_gt_u32_e32 vcc, s33, v1
	v_mov_b64_e32 v[10:11], v[8:9]
	s_and_saveexec_b64 s[0:1], vcc
	s_cbranch_execz .LBB3517_13
; %bb.12:
	v_lshlrev_b32_e32 v10, 3, v1
	v_mov_b32_e32 v11, 0
	v_lshl_add_u64 v[10:11], v[2:3], 0, v[10:11]
	flat_load_dwordx2 v[10:11], v[10:11]
.LBB3517_13:
	s_or_b64 exec, exec, s[0:1]
	v_or_b32_e32 v1, 0x600, v0
	v_cmp_gt_u32_e32 vcc, s33, v1
	s_and_saveexec_b64 s[0:1], vcc
	s_cbranch_execz .LBB3517_15
; %bb.14:
	v_lshlrev_b32_e32 v8, 3, v1
	v_mov_b32_e32 v9, 0
	v_lshl_add_u64 v[8:9], v[2:3], 0, v[8:9]
	flat_load_dwordx2 v[8:9], v[8:9]
.LBB3517_15:
	s_or_b64 exec, exec, s[0:1]
	v_or_b32_e32 v1, 0x800, v0
	v_mov_b64_e32 v[12:13], 0
	v_cmp_gt_u32_e32 vcc, s33, v1
	v_mov_b64_e32 v[20:21], v[12:13]
	s_and_saveexec_b64 s[0:1], vcc
	s_cbranch_execz .LBB3517_17
; %bb.16:
	v_lshlrev_b32_e32 v20, 3, v1
	v_mov_b32_e32 v21, 0
	v_lshl_add_u64 v[20:21], v[2:3], 0, v[20:21]
	flat_load_dwordx2 v[20:21], v[20:21]
.LBB3517_17:
	s_or_b64 exec, exec, s[0:1]
	v_or_b32_e32 v1, 0xa00, v0
	v_cmp_gt_u32_e32 vcc, s33, v1
	s_and_saveexec_b64 s[0:1], vcc
	s_cbranch_execz .LBB3517_19
; %bb.18:
	v_lshlrev_b32_e32 v12, 3, v1
	v_mov_b32_e32 v13, 0
	v_lshl_add_u64 v[12:13], v[2:3], 0, v[12:13]
	flat_load_dwordx2 v[12:13], v[12:13]
.LBB3517_19:
	s_or_b64 exec, exec, s[0:1]
	v_or_b32_e32 v1, 0xc00, v0
	v_cmp_gt_u32_e32 vcc, s33, v1
	v_mov_b64_e32 v[22:23], 0
	s_and_saveexec_b64 s[0:1], vcc
	s_cbranch_execz .LBB3517_21
; %bb.20:
	v_lshlrev_b32_e32 v22, 3, v1
	v_mov_b32_e32 v23, 0
	v_lshl_add_u64 v[2:3], v[2:3], 0, v[22:23]
	flat_load_dwordx2 v[22:23], v[2:3]
.LBB3517_21:
	s_or_b64 exec, exec, s[0:1]
	s_waitcnt vmcnt(0) lgkmcnt(0)
	ds_write2st64_b64 v18, v[4:5], v[6:7] offset1:8
	ds_write2st64_b64 v18, v[10:11], v[8:9] offset0:16 offset1:24
	ds_write2st64_b64 v18, v[20:21], v[12:13] offset0:32 offset1:40
	ds_write_b64 v18, v[22:23] offset:24576
	s_waitcnt lgkmcnt(0)
	s_barrier
.LBB3517_22:
	v_mul_u32_u24_e32 v1, 7, v0
	v_lshlrev_b32_e32 v35, 3, v1
	ds_read2_b64 v[10:13], v35 offset1:1
	ds_read2_b64 v[6:9], v35 offset0:2 offset1:3
	ds_read2_b64 v[2:5], v35 offset0:4 offset1:5
	ds_read_b64 v[22:23], v35 offset:48
	v_cndmask_b32_e64 v19, 0, 1, s[4:5]
	v_cmp_ne_u32_e64 s[2:3], 1, v19
	s_andn2_b64 vcc, exec, s[4:5]
	s_waitcnt lgkmcnt(3)
	v_cmp_le_i32_e64 s[4:5], v10, v11
	v_cmp_le_i32_e64 s[6:7], v12, v13
	s_waitcnt lgkmcnt(2)
	v_cmp_le_i32_e64 s[8:9], v6, v7
	v_cmp_le_i32_e64 s[10:11], v8, v9
	;; [unrolled: 3-line block ×3, first 2 shown]
	s_waitcnt lgkmcnt(0)
	v_cmp_le_i32_e64 s[0:1], v22, v23
	s_barrier
	s_cbranch_vccnz .LBB3517_24
; %bb.23:
	v_cndmask_b32_e64 v21, 0, 1, s[6:7]
	v_cndmask_b32_e64 v20, 0, 1, s[4:5]
	;; [unrolled: 1-line block ×3, first 2 shown]
	v_lshlrev_b16_e32 v21, 8, v21
	v_cndmask_b32_e64 v24, 0, 1, s[8:9]
	v_or_b32_e32 v20, v20, v21
	v_lshlrev_b16_e32 v21, 8, v25
	v_or_b32_sdwa v21, v24, v21 dst_sel:WORD_1 dst_unused:UNUSED_PAD src0_sel:DWORD src1_sel:DWORD
	v_cndmask_b32_e64 v32, 0, 1, s[12:13]
	v_cndmask_b32_e64 v19, 0, 1, s[14:15]
	v_or_b32_sdwa v33, v20, v21 dst_sel:DWORD dst_unused:UNUSED_PAD src0_sel:WORD_0 src1_sel:DWORD
	s_and_b64 s[28:29], s[0:1], exec
	s_cbranch_execz .LBB3517_25
	s_branch .LBB3517_26
.LBB3517_24:
                                        ; implicit-def: $sgpr28_sgpr29
                                        ; implicit-def: $vgpr19
                                        ; implicit-def: $vgpr32
                                        ; implicit-def: $vgpr33
.LBB3517_25:
	v_cmp_gt_u32_e32 vcc, s33, v1
	v_cmp_le_i32_e64 s[0:1], v10, v11
	v_add_u32_e32 v19, 1, v1
	s_and_b64 s[0:1], vcc, s[0:1]
	v_cndmask_b32_e64 v27, 0, 1, s[0:1]
	v_cmp_gt_u32_e32 vcc, s33, v19
	v_cmp_le_i32_e64 s[0:1], v12, v13
	v_add_u32_e32 v20, 2, v1
	s_and_b64 s[0:1], vcc, s[0:1]
	v_cndmask_b32_e64 v28, 0, 1, s[0:1]
	;; [unrolled: 5-line block ×6, first 2 shown]
	v_cmp_gt_u32_e32 vcc, s33, v26
	v_cmp_le_i32_e64 s[0:1], v22, v23
	s_and_b64 s[0:1], vcc, s[0:1]
	v_lshlrev_b16_e32 v24, 8, v28
	v_lshlrev_b16_e32 v21, 8, v21
	v_or_b32_e32 v24, v27, v24
	v_or_b32_sdwa v20, v20, v21 dst_sel:WORD_1 dst_unused:UNUSED_PAD src0_sel:DWORD src1_sel:DWORD
	s_andn2_b64 s[4:5], s[28:29], exec
	s_and_b64 s[0:1], s[0:1], exec
	v_or_b32_sdwa v33, v24, v20 dst_sel:DWORD dst_unused:UNUSED_PAD src0_sel:WORD_0 src1_sel:DWORD
	s_or_b64 s[28:29], s[4:5], s[0:1]
.LBB3517_26:
	v_and_b32_e32 v37, 0xff, v33
	v_bfe_u32 v38, v33, 8, 8
	v_cndmask_b32_e64 v20, 0, 1, s[28:29]
	v_bfe_u32 v39, v33, 16, 8
	v_lshrrev_b32_e32 v36, 24, v33
	v_add3_u32 v20, v37, v20, v38
	v_and_b32_e32 v40, 0xff, v32
	v_and_b32_e32 v41, 0xff, v19
	v_add3_u32 v20, v20, v39, v36
	v_add3_u32 v44, v20, v40, v41
	v_mbcnt_lo_u32_b32 v20, -1, 0
	v_mbcnt_hi_u32_b32 v42, -1, v20
	v_and_b32_e32 v20, 15, v42
	v_cmp_eq_u32_e64 s[16:17], 0, v20
	v_cmp_lt_u32_e64 s[14:15], 1, v20
	v_cmp_lt_u32_e64 s[12:13], 3, v20
	;; [unrolled: 1-line block ×3, first 2 shown]
	v_and_b32_e32 v20, 16, v42
	v_cmp_eq_u32_e64 s[8:9], 0, v20
	v_or_b32_e32 v20, 63, v0
	s_cmp_lg_u32 s42, 0
	v_cmp_lt_u32_e64 s[4:5], 31, v42
	v_lshrrev_b32_e32 v43, 6, v0
	v_cmp_eq_u32_e64 s[6:7], v20, v0
	s_cbranch_scc0 .LBB3517_53
; %bb.27:
	v_mov_b32_dpp v20, v44 row_shr:1 row_mask:0xf bank_mask:0xf
	v_cndmask_b32_e64 v20, v20, 0, s[16:17]
	v_add_u32_e32 v20, v20, v44
	s_nop 1
	v_mov_b32_dpp v21, v20 row_shr:2 row_mask:0xf bank_mask:0xf
	v_cndmask_b32_e64 v21, 0, v21, s[14:15]
	v_add_u32_e32 v20, v20, v21
	s_nop 1
	;; [unrolled: 4-line block ×4, first 2 shown]
	v_mov_b32_dpp v21, v20 row_bcast:15 row_mask:0xf bank_mask:0xf
	v_cndmask_b32_e64 v21, v21, 0, s[8:9]
	v_add_u32_e32 v20, v20, v21
	s_nop 1
	v_mov_b32_dpp v21, v20 row_bcast:31 row_mask:0xf bank_mask:0xf
	v_cndmask_b32_e64 v21, 0, v21, s[4:5]
	v_add_u32_e32 v20, v20, v21
	s_and_saveexec_b64 s[0:1], s[6:7]
	s_cbranch_execz .LBB3517_29
; %bb.28:
	v_lshlrev_b32_e32 v21, 2, v43
	ds_write_b32 v21, v20
.LBB3517_29:
	s_or_b64 exec, exec, s[0:1]
	v_cmp_gt_u32_e32 vcc, 8, v0
	s_waitcnt lgkmcnt(0)
	s_barrier
	s_and_saveexec_b64 s[0:1], vcc
	s_cbranch_execz .LBB3517_31
; %bb.30:
	v_lshlrev_b32_e32 v21, 2, v0
	ds_read_b32 v24, v21
	v_and_b32_e32 v25, 7, v42
	v_cmp_ne_u32_e32 vcc, 0, v25
	s_waitcnt lgkmcnt(0)
	v_mov_b32_dpp v26, v24 row_shr:1 row_mask:0xf bank_mask:0xf
	v_cndmask_b32_e32 v26, 0, v26, vcc
	v_add_u32_e32 v24, v26, v24
	v_cmp_lt_u32_e32 vcc, 1, v25
	s_nop 0
	v_mov_b32_dpp v26, v24 row_shr:2 row_mask:0xf bank_mask:0xf
	v_cndmask_b32_e32 v26, 0, v26, vcc
	v_add_u32_e32 v24, v24, v26
	v_cmp_lt_u32_e32 vcc, 3, v25
	s_nop 0
	v_mov_b32_dpp v26, v24 row_shr:4 row_mask:0xf bank_mask:0xf
	v_cndmask_b32_e32 v25, 0, v26, vcc
	v_add_u32_e32 v24, v24, v25
	ds_write_b32 v21, v24
.LBB3517_31:
	s_or_b64 exec, exec, s[0:1]
	v_cmp_gt_u32_e32 vcc, 64, v0
	v_cmp_lt_u32_e64 s[0:1], 63, v0
	s_waitcnt lgkmcnt(0)
	s_barrier
	s_waitcnt lgkmcnt(0)
                                        ; implicit-def: $vgpr34
	s_and_saveexec_b64 s[18:19], s[0:1]
	s_cbranch_execz .LBB3517_33
; %bb.32:
	v_lshl_add_u32 v21, v43, 2, -4
	ds_read_b32 v34, v21
	s_waitcnt lgkmcnt(0)
	v_add_u32_e32 v20, v34, v20
.LBB3517_33:
	s_or_b64 exec, exec, s[18:19]
	v_add_u32_e32 v21, -1, v42
	v_and_b32_e32 v24, 64, v42
	v_cmp_lt_i32_e64 s[0:1], v21, v24
	v_cmp_eq_u32_e64 s[18:19], 0, v42
	s_nop 0
	v_cndmask_b32_e64 v21, v21, v42, s[0:1]
	v_lshlrev_b32_e32 v21, 2, v21
	ds_bpermute_b32 v45, v21, v20
	s_and_saveexec_b64 s[0:1], vcc
	s_cbranch_execz .LBB3517_52
; %bb.34:
	v_mov_b32_e32 v29, 0
	ds_read_b32 v20, v29 offset:28
	s_and_saveexec_b64 s[38:39], s[18:19]
	s_cbranch_execz .LBB3517_36
; %bb.35:
	s_add_i32 s40, s42, 64
	s_mov_b32 s41, 0
	s_lshl_b64 s[40:41], s[40:41], 3
	s_add_u32 s40, s36, s40
	v_mov_b32_e32 v21, 1
	s_addc_u32 s41, s37, s41
	s_waitcnt lgkmcnt(0)
	global_store_dwordx2 v29, v[20:21], s[40:41] sc1
.LBB3517_36:
	s_or_b64 exec, exec, s[38:39]
	v_xad_u32 v24, v42, -1, s42
	v_add_u32_e32 v28, 64, v24
	v_lshl_add_u64 v[30:31], v[28:29], 3, s[36:37]
	global_load_dwordx2 v[26:27], v[30:31], off sc1
	s_waitcnt vmcnt(0)
	v_cmp_eq_u16_sdwa s[40:41], v27, v29 src0_sel:BYTE_0 src1_sel:DWORD
	s_and_saveexec_b64 s[38:39], s[40:41]
	s_cbranch_execz .LBB3517_40
; %bb.37:
	s_mov_b64 s[40:41], 0
	v_mov_b32_e32 v21, 0
.LBB3517_38:                            ; =>This Inner Loop Header: Depth=1
	global_load_dwordx2 v[26:27], v[30:31], off sc1
	s_waitcnt vmcnt(0)
	v_cmp_ne_u16_sdwa s[44:45], v27, v21 src0_sel:BYTE_0 src1_sel:DWORD
	s_or_b64 s[40:41], s[44:45], s[40:41]
	s_andn2_b64 exec, exec, s[40:41]
	s_cbranch_execnz .LBB3517_38
; %bb.39:
	s_or_b64 exec, exec, s[40:41]
.LBB3517_40:
	s_or_b64 exec, exec, s[38:39]
	v_and_b32_e32 v47, 63, v42
	v_mov_b32_e32 v46, 2
	v_cmp_ne_u32_e32 vcc, 63, v47
	v_cmp_eq_u16_sdwa s[38:39], v27, v46 src0_sel:BYTE_0 src1_sel:DWORD
	v_lshlrev_b64 v[28:29], v42, -1
	v_addc_co_u32_e32 v30, vcc, 0, v42, vcc
	v_and_b32_e32 v21, s39, v29
	v_lshlrev_b32_e32 v48, 2, v30
	v_or_b32_e32 v21, 0x80000000, v21
	ds_bpermute_b32 v30, v48, v26
	v_and_b32_e32 v25, s38, v28
	v_ffbl_b32_e32 v21, v21
	v_add_u32_e32 v21, 32, v21
	v_ffbl_b32_e32 v25, v25
	v_min_u32_e32 v21, v25, v21
	v_cmp_lt_u32_e32 vcc, v47, v21
	v_add_u32_e32 v50, 2, v47
	v_add_u32_e32 v52, 4, v47
	s_waitcnt lgkmcnt(0)
	v_cndmask_b32_e32 v25, 0, v30, vcc
	v_cmp_gt_u32_e32 vcc, 62, v47
	v_add_u32_e32 v25, v25, v26
	v_add_u32_e32 v54, 8, v47
	v_cndmask_b32_e64 v26, 0, 1, vcc
	v_lshlrev_b32_e32 v26, 1, v26
	v_add_lshl_u32 v49, v26, v42, 2
	ds_bpermute_b32 v26, v49, v25
	v_cmp_le_u32_e32 vcc, v50, v21
	v_add_u32_e32 v56, 16, v47
	v_add_u32_e32 v58, 32, v47
	s_waitcnt lgkmcnt(0)
	v_cndmask_b32_e32 v26, 0, v26, vcc
	v_cmp_gt_u32_e32 vcc, 60, v47
	v_add_u32_e32 v25, v25, v26
	s_nop 0
	v_cndmask_b32_e64 v26, 0, 1, vcc
	v_lshlrev_b32_e32 v26, 2, v26
	v_add_lshl_u32 v51, v26, v42, 2
	ds_bpermute_b32 v26, v51, v25
	v_cmp_le_u32_e32 vcc, v52, v21
	s_waitcnt lgkmcnt(0)
	s_nop 0
	v_cndmask_b32_e32 v26, 0, v26, vcc
	v_cmp_gt_u32_e32 vcc, 56, v47
	v_add_u32_e32 v25, v25, v26
	s_nop 0
	v_cndmask_b32_e64 v26, 0, 1, vcc
	v_lshlrev_b32_e32 v26, 3, v26
	v_add_lshl_u32 v53, v26, v42, 2
	ds_bpermute_b32 v26, v53, v25
	v_cmp_le_u32_e32 vcc, v54, v21
	s_waitcnt lgkmcnt(0)
	s_nop 0
	;; [unrolled: 11-line block ×4, first 2 shown]
	v_cndmask_b32_e32 v21, 0, v26, vcc
	v_add_u32_e32 v26, v25, v21
	v_mov_b32_e32 v25, 0
	s_branch .LBB3517_42
.LBB3517_41:                            ;   in Loop: Header=BB3517_42 Depth=1
	s_or_b64 exec, exec, s[38:39]
	v_cmp_eq_u16_sdwa s[38:39], v27, v46 src0_sel:BYTE_0 src1_sel:DWORD
	ds_bpermute_b32 v59, v48, v26
	v_subrev_u32_e32 v24, 64, v24
	v_and_b32_e32 v30, s39, v29
	v_or_b32_e32 v30, 0x80000000, v30
	v_and_b32_e32 v31, s38, v28
	v_ffbl_b32_e32 v30, v30
	v_add_u32_e32 v30, 32, v30
	v_ffbl_b32_e32 v31, v31
	v_min_u32_e32 v30, v31, v30
	v_cmp_lt_u32_e32 vcc, v47, v30
	s_waitcnt lgkmcnt(0)
	s_nop 0
	v_cndmask_b32_e32 v31, 0, v59, vcc
	v_add_u32_e32 v26, v31, v26
	ds_bpermute_b32 v31, v49, v26
	v_cmp_le_u32_e32 vcc, v50, v30
	s_waitcnt lgkmcnt(0)
	s_nop 0
	v_cndmask_b32_e32 v31, 0, v31, vcc
	v_add_u32_e32 v26, v26, v31
	ds_bpermute_b32 v31, v51, v26
	v_cmp_le_u32_e32 vcc, v52, v30
	;; [unrolled: 6-line block ×5, first 2 shown]
	s_waitcnt lgkmcnt(0)
	s_nop 0
	v_cndmask_b32_e32 v30, 0, v31, vcc
	v_add3_u32 v26, v30, v21, v26
.LBB3517_42:                            ; =>This Loop Header: Depth=1
                                        ;     Child Loop BB3517_45 Depth 2
	v_cmp_ne_u16_sdwa s[38:39], v27, v46 src0_sel:BYTE_0 src1_sel:DWORD
	s_nop 1
	v_cndmask_b32_e64 v21, 0, 1, s[38:39]
	;;#ASMSTART
	;;#ASMEND
	s_nop 0
	v_cmp_ne_u32_e32 vcc, 0, v21
	s_cmp_lg_u64 vcc, exec
	v_mov_b32_e32 v21, v26
	s_cbranch_scc1 .LBB3517_47
; %bb.43:                               ;   in Loop: Header=BB3517_42 Depth=1
	v_lshl_add_u64 v[30:31], v[24:25], 3, s[36:37]
	global_load_dwordx2 v[26:27], v[30:31], off sc1
	s_waitcnt vmcnt(0)
	v_cmp_eq_u16_sdwa s[40:41], v27, v25 src0_sel:BYTE_0 src1_sel:DWORD
	s_and_saveexec_b64 s[38:39], s[40:41]
	s_cbranch_execz .LBB3517_41
; %bb.44:                               ;   in Loop: Header=BB3517_42 Depth=1
	s_mov_b64 s[40:41], 0
.LBB3517_45:                            ;   Parent Loop BB3517_42 Depth=1
                                        ; =>  This Inner Loop Header: Depth=2
	global_load_dwordx2 v[26:27], v[30:31], off sc1
	s_waitcnt vmcnt(0)
	v_cmp_ne_u16_sdwa s[44:45], v27, v25 src0_sel:BYTE_0 src1_sel:DWORD
	s_or_b64 s[40:41], s[44:45], s[40:41]
	s_andn2_b64 exec, exec, s[40:41]
	s_cbranch_execnz .LBB3517_45
; %bb.46:                               ;   in Loop: Header=BB3517_42 Depth=1
	s_or_b64 exec, exec, s[40:41]
	s_branch .LBB3517_41
.LBB3517_47:                            ;   in Loop: Header=BB3517_42 Depth=1
                                        ; implicit-def: $vgpr26
                                        ; implicit-def: $vgpr27
	s_cbranch_execz .LBB3517_42
; %bb.48:
	s_and_saveexec_b64 s[38:39], s[18:19]
	s_cbranch_execz .LBB3517_50
; %bb.49:
	s_add_i32 s40, s42, 64
	s_mov_b32 s41, 0
	s_lshl_b64 s[40:41], s[40:41], 3
	s_add_u32 s40, s36, s40
	v_add_u32_e32 v24, v21, v20
	v_mov_b32_e32 v25, 2
	s_addc_u32 s41, s37, s41
	v_mov_b32_e32 v26, 0
	global_store_dwordx2 v26, v[24:25], s[40:41] sc1
	ds_write_b64 v26, v[20:21] offset:28672
.LBB3517_50:
	s_or_b64 exec, exec, s[38:39]
	s_and_b64 exec, exec, s[20:21]
	s_cbranch_execz .LBB3517_52
; %bb.51:
	v_mov_b32_e32 v20, 0
	ds_write_b32 v20, v21 offset:28
.LBB3517_52:
	s_or_b64 exec, exec, s[0:1]
	v_mov_b32_e32 v20, 0
	s_waitcnt lgkmcnt(0)
	s_barrier
	ds_read_b32 v21, v20 offset:28
	v_cndmask_b32_e64 v24, v45, v34, s[18:19]
	v_cndmask_b32_e64 v24, v24, 0, s[20:21]
	s_waitcnt lgkmcnt(0)
	s_barrier
	v_add_u32_e32 v30, v21, v24
	v_add_u32_e32 v29, v30, v37
	ds_read_b64 v[20:21], v20 offset:28672
	v_add_u32_e32 v28, v29, v38
	v_add_u32_e32 v27, v28, v39
	;; [unrolled: 1-line block ×5, first 2 shown]
	s_waitcnt lgkmcnt(0)
	v_mov_b32_e32 v34, v21
	s_branch .LBB3517_63
.LBB3517_53:
                                        ; implicit-def: $vgpr34
                                        ; implicit-def: $vgpr20
                                        ; implicit-def: $vgpr24
                                        ; implicit-def: $vgpr25
                                        ; implicit-def: $vgpr26
                                        ; implicit-def: $vgpr27
                                        ; implicit-def: $vgpr28
                                        ; implicit-def: $vgpr29
                                        ; implicit-def: $vgpr30
	s_cbranch_execz .LBB3517_63
; %bb.54:
	s_nop 0
	v_mov_b32_dpp v20, v44 row_shr:1 row_mask:0xf bank_mask:0xf
	v_cndmask_b32_e64 v20, v20, 0, s[16:17]
	v_add_u32_e32 v20, v20, v44
	s_nop 1
	v_mov_b32_dpp v21, v20 row_shr:2 row_mask:0xf bank_mask:0xf
	v_cndmask_b32_e64 v21, 0, v21, s[14:15]
	v_add_u32_e32 v20, v20, v21
	;; [unrolled: 4-line block ×4, first 2 shown]
	s_nop 1
	v_mov_b32_dpp v21, v20 row_bcast:15 row_mask:0xf bank_mask:0xf
	v_cndmask_b32_e64 v21, v21, 0, s[8:9]
	v_add_u32_e32 v20, v20, v21
	s_nop 1
	v_mov_b32_dpp v21, v20 row_bcast:31 row_mask:0xf bank_mask:0xf
	v_cndmask_b32_e64 v21, 0, v21, s[4:5]
	v_add_u32_e32 v20, v20, v21
	s_and_saveexec_b64 s[0:1], s[6:7]
	s_cbranch_execz .LBB3517_56
; %bb.55:
	v_lshlrev_b32_e32 v21, 2, v43
	ds_write_b32 v21, v20
.LBB3517_56:
	s_or_b64 exec, exec, s[0:1]
	v_cmp_gt_u32_e32 vcc, 8, v0
	s_waitcnt lgkmcnt(0)
	s_barrier
	s_and_saveexec_b64 s[0:1], vcc
	s_cbranch_execz .LBB3517_58
; %bb.57:
	s_movk_i32 s4, 0xffcc
	v_mad_i32_i24 v21, v0, s4, v35
	ds_read_b32 v24, v21
	v_and_b32_e32 v25, 7, v42
	v_cmp_ne_u32_e32 vcc, 0, v25
	s_waitcnt lgkmcnt(0)
	v_mov_b32_dpp v26, v24 row_shr:1 row_mask:0xf bank_mask:0xf
	v_cndmask_b32_e32 v26, 0, v26, vcc
	v_add_u32_e32 v24, v26, v24
	v_cmp_lt_u32_e32 vcc, 1, v25
	s_nop 0
	v_mov_b32_dpp v26, v24 row_shr:2 row_mask:0xf bank_mask:0xf
	v_cndmask_b32_e32 v26, 0, v26, vcc
	v_add_u32_e32 v24, v24, v26
	v_cmp_lt_u32_e32 vcc, 3, v25
	s_nop 0
	v_mov_b32_dpp v26, v24 row_shr:4 row_mask:0xf bank_mask:0xf
	v_cndmask_b32_e32 v25, 0, v26, vcc
	v_add_u32_e32 v24, v24, v25
	ds_write_b32 v21, v24
.LBB3517_58:
	s_or_b64 exec, exec, s[0:1]
	v_cmp_lt_u32_e32 vcc, 63, v0
	v_mov_b32_e32 v21, 0
	v_mov_b32_e32 v24, 0
	s_waitcnt lgkmcnt(0)
	s_barrier
	s_and_saveexec_b64 s[0:1], vcc
	s_cbranch_execz .LBB3517_60
; %bb.59:
	v_lshl_add_u32 v24, v43, 2, -4
	ds_read_b32 v24, v24
.LBB3517_60:
	s_or_b64 exec, exec, s[0:1]
	v_add_u32_e32 v25, -1, v42
	v_and_b32_e32 v26, 64, v42
	v_cmp_lt_i32_e32 vcc, v25, v26
	s_waitcnt lgkmcnt(0)
	v_add_u32_e32 v20, v24, v20
	v_cndmask_b32_e32 v25, v25, v42, vcc
	v_lshlrev_b32_e32 v25, 2, v25
	ds_bpermute_b32 v25, v25, v20
	ds_read_b32 v20, v21 offset:28
	s_and_saveexec_b64 s[0:1], s[20:21]
	s_cbranch_execz .LBB3517_62
; %bb.61:
	v_mov_b32_e32 v26, 0
	v_mov_b32_e32 v21, 2
	s_waitcnt lgkmcnt(0)
	global_store_dwordx2 v26, v[20:21], s[36:37] offset:512 sc1
.LBB3517_62:
	s_or_b64 exec, exec, s[0:1]
	v_cmp_eq_u32_e32 vcc, 0, v42
	v_mov_b32_e32 v34, 0
	s_waitcnt lgkmcnt(0)
	v_cndmask_b32_e32 v21, v25, v24, vcc
	v_cndmask_b32_e64 v30, v21, 0, s[20:21]
	v_add_u32_e32 v29, v30, v37
	v_add_u32_e32 v28, v29, v38
	v_add_u32_e32 v27, v28, v39
	v_add_u32_e32 v26, v27, v36
	v_add_u32_e32 v25, v26, v40
	v_add_u32_e32 v24, v25, v41
	s_barrier
.LBB3517_63:
	v_add_u32_e32 v1, v20, v1
	v_sub_u32_e32 v30, v30, v34
	v_and_b32_e32 v35, 1, v33
	v_sub_u32_e32 v31, v1, v30
	v_cmp_eq_u32_e32 vcc, 1, v35
	v_lshrrev_b32_e32 v21, 8, v33
	v_and_b32_e32 v21, 1, v21
	v_cndmask_b32_e32 v30, v31, v30, vcc
	v_lshlrev_b32_e32 v30, 3, v30
	ds_write_b64 v30, v[10:11]
	v_sub_u32_e32 v10, v29, v34
	v_sub_u32_e32 v11, v1, v10
	v_add_u32_e32 v11, 1, v11
	v_cmp_eq_u32_e32 vcc, 1, v21
	v_lshl_add_u64 v[14:15], s[30:31], 0, v[14:15]
	v_or_b32_e32 v30, 0x400, v0
	v_cndmask_b32_e32 v10, v11, v10, vcc
	v_lshlrev_b32_e32 v10, 3, v10
	ds_write_b64 v10, v[12:13]
	v_sub_u32_e32 v10, v28, v34
	v_mov_b32_e32 v12, 1
	v_sub_u32_e32 v11, v1, v10
	v_and_b32_sdwa v12, v12, v33 dst_sel:DWORD dst_unused:UNUSED_PAD src0_sel:DWORD src1_sel:WORD_1
	v_add_u32_e32 v11, 2, v11
	v_cmp_eq_u32_e32 vcc, 1, v12
	v_or_b32_e32 v28, 0x600, v0
	s_nop 0
	v_cndmask_b32_e32 v10, v11, v10, vcc
	v_lshlrev_b32_e32 v10, 3, v10
	ds_write_b64 v10, v[6:7]
	v_sub_u32_e32 v6, v27, v34
	v_sub_u32_e32 v7, v1, v6
	v_and_b32_e32 v10, 1, v36
	v_add_u32_e32 v7, 3, v7
	v_cmp_eq_u32_e32 vcc, 1, v10
	s_nop 1
	v_cndmask_b32_e32 v6, v7, v6, vcc
	v_lshlrev_b32_e32 v6, 3, v6
	ds_write_b64 v6, v[8:9]
	v_sub_u32_e32 v6, v26, v34
	v_sub_u32_e32 v7, v1, v6
	v_and_b32_e32 v8, 1, v32
	v_add_u32_e32 v7, 4, v7
	v_cmp_eq_u32_e32 vcc, 1, v8
	v_or_b32_e32 v32, 0x200, v0
	v_or_b32_e32 v26, 0x800, v0
	v_cndmask_b32_e32 v6, v7, v6, vcc
	v_lshlrev_b32_e32 v6, 3, v6
	ds_write_b64 v6, v[2:3]
	v_sub_u32_e32 v2, v25, v34
	v_sub_u32_e32 v3, v1, v2
	v_and_b32_e32 v6, 1, v19
	v_add_u32_e32 v3, 5, v3
	v_cmp_eq_u32_e32 vcc, 1, v6
	s_nop 1
	v_cndmask_b32_e32 v2, v3, v2, vcc
	v_lshlrev_b32_e32 v2, 3, v2
	ds_write_b64 v2, v[4:5]
	v_sub_u32_e32 v2, v24, v34
	v_sub_u32_e32 v1, v1, v2
	v_add_u32_e32 v1, 6, v1
	v_cndmask_b32_e64 v1, v1, v2, s[28:29]
	v_lshlrev_b32_e32 v1, 3, v1
	ds_write_b64 v1, v[22:23]
	v_mov_b32_e32 v1, 0
	s_waitcnt lgkmcnt(0)
	s_barrier
	ds_read2st64_b64 v[10:13], v18 offset1:8
	ds_read2st64_b64 v[6:9], v18 offset0:16 offset1:24
	ds_read2st64_b64 v[2:5], v18 offset0:32 offset1:40
	ds_read_b64 v[18:19], v18 offset:24576
	v_mov_b32_e32 v35, v1
	s_waitcnt vmcnt(0)
	v_lshl_add_u64 v[16:17], v[16:17], 0, v[34:35]
	v_mov_b32_e32 v34, s35
	v_sub_co_u32_e32 v14, vcc, s34, v14
	v_mov_b32_e32 v21, v1
	s_nop 0
	v_subb_co_u32_e32 v15, vcc, v34, v15, vcc
	v_lshl_add_u64 v[14:15], v[14:15], 0, v[20:21]
	v_mov_b32_e32 v33, v1
	v_mov_b32_e32 v31, v1
	;; [unrolled: 1-line block ×4, first 2 shown]
	v_or_b32_e32 v24, 0xa00, v0
	v_mov_b32_e32 v25, v1
	v_or_b32_e32 v22, 0xc00, v0
	v_mov_b32_e32 v23, v1
	s_and_b64 vcc, exec, s[2:3]
	v_lshl_add_u64 v[14:15], v[14:15], 0, v[16:17]
	s_cbranch_vccnz .LBB3517_96
; %bb.64:
	v_cmp_ge_u32_e32 vcc, v0, v20
                                        ; implicit-def: $vgpr34_vgpr35
	s_and_saveexec_b64 s[0:1], vcc
	s_xor_b64 s[0:1], exec, s[0:1]
; %bb.65:
	v_not_b32_e32 v34, v0
	v_ashrrev_i32_e32 v35, 31, v34
	v_lshl_add_u64 v[34:35], v[14:15], 0, v[34:35]
; %bb.66:
	s_andn2_saveexec_b64 s[0:1], s[0:1]
; %bb.67:
	v_lshl_add_u64 v[34:35], v[16:17], 0, v[0:1]
; %bb.68:
	s_or_b64 exec, exec, s[0:1]
	v_lshl_add_u64 v[34:35], v[34:35], 3, s[22:23]
	v_cmp_ge_u32_e32 vcc, v32, v20
	s_waitcnt lgkmcnt(3)
	global_store_dwordx2 v[34:35], v[10:11], off
                                        ; implicit-def: $vgpr34_vgpr35
	s_and_saveexec_b64 s[0:1], vcc
	s_xor_b64 s[0:1], exec, s[0:1]
; %bb.69:
	v_xor_b32_e32 v34, 0xfffffdff, v0
	v_ashrrev_i32_e32 v35, 31, v34
	v_lshl_add_u64 v[34:35], v[14:15], 0, v[34:35]
; %bb.70:
	s_andn2_saveexec_b64 s[0:1], s[0:1]
; %bb.71:
	v_lshl_add_u64 v[34:35], v[16:17], 0, v[32:33]
; %bb.72:
	s_or_b64 exec, exec, s[0:1]
	v_lshl_add_u64 v[34:35], v[34:35], 3, s[22:23]
	v_cmp_ge_u32_e32 vcc, v30, v20
	global_store_dwordx2 v[34:35], v[12:13], off
                                        ; implicit-def: $vgpr34_vgpr35
	s_and_saveexec_b64 s[0:1], vcc
	s_xor_b64 s[0:1], exec, s[0:1]
; %bb.73:
	v_xor_b32_e32 v34, 0xfffffbff, v0
	v_ashrrev_i32_e32 v35, 31, v34
	v_lshl_add_u64 v[34:35], v[14:15], 0, v[34:35]
; %bb.74:
	s_andn2_saveexec_b64 s[0:1], s[0:1]
; %bb.75:
	v_lshl_add_u64 v[34:35], v[16:17], 0, v[30:31]
; %bb.76:
	s_or_b64 exec, exec, s[0:1]
	v_lshl_add_u64 v[34:35], v[34:35], 3, s[22:23]
	v_cmp_ge_u32_e32 vcc, v28, v20
	s_waitcnt lgkmcnt(2)
	global_store_dwordx2 v[34:35], v[6:7], off
                                        ; implicit-def: $vgpr34_vgpr35
	s_and_saveexec_b64 s[0:1], vcc
	s_xor_b64 s[0:1], exec, s[0:1]
; %bb.77:
	v_xor_b32_e32 v34, 0xfffff9ff, v0
	v_ashrrev_i32_e32 v35, 31, v34
	v_lshl_add_u64 v[34:35], v[14:15], 0, v[34:35]
; %bb.78:
	s_andn2_saveexec_b64 s[0:1], s[0:1]
; %bb.79:
	v_lshl_add_u64 v[34:35], v[16:17], 0, v[28:29]
; %bb.80:
	s_or_b64 exec, exec, s[0:1]
	v_lshl_add_u64 v[34:35], v[34:35], 3, s[22:23]
	v_cmp_ge_u32_e32 vcc, v26, v20
	global_store_dwordx2 v[34:35], v[8:9], off
                                        ; implicit-def: $vgpr34_vgpr35
	s_and_saveexec_b64 s[0:1], vcc
	s_xor_b64 s[0:1], exec, s[0:1]
; %bb.81:
	v_xor_b32_e32 v34, 0xfffff7ff, v0
	;; [unrolled: 33-line block ×3, first 2 shown]
	v_ashrrev_i32_e32 v35, 31, v34
	v_lshl_add_u64 v[34:35], v[14:15], 0, v[34:35]
; %bb.90:
	s_andn2_saveexec_b64 s[0:1], s[0:1]
; %bb.91:
	v_lshl_add_u64 v[34:35], v[16:17], 0, v[22:23]
; %bb.92:
	s_or_b64 exec, exec, s[0:1]
	s_mov_b64 s[0:1], -1
.LBB3517_93:
	s_and_saveexec_b64 s[2:3], s[0:1]
	s_cbranch_execz .LBB3517_140
.LBB3517_94:
	v_lshl_add_u64 v[0:1], v[34:35], 3, s[22:23]
	s_waitcnt lgkmcnt(0)
	global_store_dwordx2 v[0:1], v[18:19], off
	s_or_b64 exec, exec, s[2:3]
	s_and_b64 s[0:1], s[20:21], s[26:27]
	s_and_saveexec_b64 s[2:3], s[0:1]
	s_cbranch_execnz .LBB3517_141
.LBB3517_95:
	s_endpgm
.LBB3517_96:
	s_mov_b64 s[0:1], 0
                                        ; implicit-def: $vgpr34_vgpr35
	s_cbranch_execz .LBB3517_93
; %bb.97:
	v_cmp_gt_u32_e32 vcc, s33, v0
	s_and_saveexec_b64 s[2:3], vcc
	s_cbranch_execz .LBB3517_115
; %bb.98:
	v_cmp_ge_u32_e32 vcc, v0, v20
                                        ; implicit-def: $vgpr34_vgpr35
	s_and_saveexec_b64 s[4:5], vcc
	s_xor_b64 s[4:5], exec, s[4:5]
; %bb.99:
	v_not_b32_e32 v34, v0
	v_ashrrev_i32_e32 v35, 31, v34
	v_lshl_add_u64 v[34:35], v[14:15], 0, v[34:35]
; %bb.100:
	s_andn2_saveexec_b64 s[4:5], s[4:5]
; %bb.101:
	v_lshl_add_u64 v[34:35], v[16:17], 0, v[0:1]
; %bb.102:
	s_or_b64 exec, exec, s[4:5]
	v_lshl_add_u64 v[34:35], v[34:35], 3, s[22:23]
	s_waitcnt lgkmcnt(3)
	global_store_dwordx2 v[34:35], v[10:11], off
	s_or_b64 exec, exec, s[2:3]
	v_cmp_gt_u32_e32 vcc, s33, v32
	s_and_saveexec_b64 s[2:3], vcc
	s_cbranch_execnz .LBB3517_116
.LBB3517_103:
	s_or_b64 exec, exec, s[2:3]
	v_cmp_gt_u32_e32 vcc, s33, v30
	s_and_saveexec_b64 s[2:3], vcc
	s_cbranch_execz .LBB3517_121
.LBB3517_104:
	v_cmp_ge_u32_e32 vcc, v30, v20
                                        ; implicit-def: $vgpr10_vgpr11
	s_and_saveexec_b64 s[4:5], vcc
	s_xor_b64 s[4:5], exec, s[4:5]
	s_cbranch_execz .LBB3517_106
; %bb.105:
	s_waitcnt lgkmcnt(3)
	v_xor_b32_e32 v10, 0xfffffbff, v0
	v_ashrrev_i32_e32 v11, 31, v10
	v_lshl_add_u64 v[10:11], v[14:15], 0, v[10:11]
                                        ; implicit-def: $vgpr30_vgpr31
.LBB3517_106:
	s_andn2_saveexec_b64 s[4:5], s[4:5]
	s_cbranch_execz .LBB3517_108
; %bb.107:
	s_waitcnt lgkmcnt(3)
	v_lshl_add_u64 v[10:11], v[16:17], 0, v[30:31]
.LBB3517_108:
	s_or_b64 exec, exec, s[4:5]
	s_waitcnt lgkmcnt(3)
	v_lshl_add_u64 v[10:11], v[10:11], 3, s[22:23]
	s_waitcnt lgkmcnt(2)
	global_store_dwordx2 v[10:11], v[6:7], off
	s_or_b64 exec, exec, s[2:3]
	v_cmp_gt_u32_e32 vcc, s33, v28
	s_and_saveexec_b64 s[2:3], vcc
	s_cbranch_execnz .LBB3517_122
.LBB3517_109:
	s_or_b64 exec, exec, s[2:3]
	v_cmp_gt_u32_e32 vcc, s33, v26
	s_and_saveexec_b64 s[2:3], vcc
	s_cbranch_execz .LBB3517_127
.LBB3517_110:
	v_cmp_ge_u32_e32 vcc, v26, v20
                                        ; implicit-def: $vgpr6_vgpr7
	s_and_saveexec_b64 s[4:5], vcc
	s_xor_b64 s[4:5], exec, s[4:5]
	s_cbranch_execz .LBB3517_112
; %bb.111:
	s_waitcnt lgkmcnt(2)
	v_xor_b32_e32 v6, 0xfffff7ff, v0
	v_ashrrev_i32_e32 v7, 31, v6
	v_lshl_add_u64 v[6:7], v[14:15], 0, v[6:7]
                                        ; implicit-def: $vgpr26_vgpr27
.LBB3517_112:
	s_andn2_saveexec_b64 s[4:5], s[4:5]
	s_cbranch_execz .LBB3517_114
; %bb.113:
	s_waitcnt lgkmcnt(2)
	v_lshl_add_u64 v[6:7], v[16:17], 0, v[26:27]
.LBB3517_114:
	s_or_b64 exec, exec, s[4:5]
	s_waitcnt lgkmcnt(2)
	v_lshl_add_u64 v[6:7], v[6:7], 3, s[22:23]
	s_waitcnt lgkmcnt(1)
	global_store_dwordx2 v[6:7], v[2:3], off
	s_or_b64 exec, exec, s[2:3]
	v_cmp_gt_u32_e32 vcc, s33, v24
	s_and_saveexec_b64 s[2:3], vcc
	s_cbranch_execz .LBB3517_133
	s_branch .LBB3517_128
.LBB3517_115:
	s_or_b64 exec, exec, s[2:3]
	v_cmp_gt_u32_e32 vcc, s33, v32
	s_and_saveexec_b64 s[2:3], vcc
	s_cbranch_execz .LBB3517_103
.LBB3517_116:
	v_cmp_ge_u32_e32 vcc, v32, v20
                                        ; implicit-def: $vgpr10_vgpr11
	s_and_saveexec_b64 s[4:5], vcc
	s_xor_b64 s[4:5], exec, s[4:5]
	s_cbranch_execz .LBB3517_118
; %bb.117:
	s_waitcnt lgkmcnt(3)
	v_xor_b32_e32 v10, 0xfffffdff, v0
	v_ashrrev_i32_e32 v11, 31, v10
	v_lshl_add_u64 v[10:11], v[14:15], 0, v[10:11]
                                        ; implicit-def: $vgpr32_vgpr33
.LBB3517_118:
	s_andn2_saveexec_b64 s[4:5], s[4:5]
	s_cbranch_execz .LBB3517_120
; %bb.119:
	s_waitcnt lgkmcnt(3)
	v_lshl_add_u64 v[10:11], v[16:17], 0, v[32:33]
.LBB3517_120:
	s_or_b64 exec, exec, s[4:5]
	s_waitcnt lgkmcnt(3)
	v_lshl_add_u64 v[10:11], v[10:11], 3, s[22:23]
	global_store_dwordx2 v[10:11], v[12:13], off
	s_or_b64 exec, exec, s[2:3]
	v_cmp_gt_u32_e32 vcc, s33, v30
	s_and_saveexec_b64 s[2:3], vcc
	s_cbranch_execnz .LBB3517_104
.LBB3517_121:
	s_or_b64 exec, exec, s[2:3]
	v_cmp_gt_u32_e32 vcc, s33, v28
	s_and_saveexec_b64 s[2:3], vcc
	s_cbranch_execz .LBB3517_109
.LBB3517_122:
	v_cmp_ge_u32_e32 vcc, v28, v20
                                        ; implicit-def: $vgpr6_vgpr7
	s_and_saveexec_b64 s[4:5], vcc
	s_xor_b64 s[4:5], exec, s[4:5]
	s_cbranch_execz .LBB3517_124
; %bb.123:
	s_waitcnt lgkmcnt(2)
	v_xor_b32_e32 v6, 0xfffff9ff, v0
	v_ashrrev_i32_e32 v7, 31, v6
	v_lshl_add_u64 v[6:7], v[14:15], 0, v[6:7]
                                        ; implicit-def: $vgpr28_vgpr29
.LBB3517_124:
	s_andn2_saveexec_b64 s[4:5], s[4:5]
	s_cbranch_execz .LBB3517_126
; %bb.125:
	s_waitcnt lgkmcnt(2)
	v_lshl_add_u64 v[6:7], v[16:17], 0, v[28:29]
.LBB3517_126:
	s_or_b64 exec, exec, s[4:5]
	s_waitcnt lgkmcnt(2)
	v_lshl_add_u64 v[6:7], v[6:7], 3, s[22:23]
	global_store_dwordx2 v[6:7], v[8:9], off
	s_or_b64 exec, exec, s[2:3]
	v_cmp_gt_u32_e32 vcc, s33, v26
	s_and_saveexec_b64 s[2:3], vcc
	s_cbranch_execnz .LBB3517_110
.LBB3517_127:
	s_or_b64 exec, exec, s[2:3]
	v_cmp_gt_u32_e32 vcc, s33, v24
	s_and_saveexec_b64 s[2:3], vcc
	s_cbranch_execz .LBB3517_133
.LBB3517_128:
	v_cmp_ge_u32_e32 vcc, v24, v20
                                        ; implicit-def: $vgpr2_vgpr3
	s_and_saveexec_b64 s[4:5], vcc
	s_xor_b64 s[4:5], exec, s[4:5]
	s_cbranch_execz .LBB3517_130
; %bb.129:
	s_waitcnt lgkmcnt(1)
	v_xor_b32_e32 v2, 0xfffff5ff, v0
	v_ashrrev_i32_e32 v3, 31, v2
	v_lshl_add_u64 v[2:3], v[14:15], 0, v[2:3]
                                        ; implicit-def: $vgpr24_vgpr25
.LBB3517_130:
	s_andn2_saveexec_b64 s[4:5], s[4:5]
	s_cbranch_execz .LBB3517_132
; %bb.131:
	s_waitcnt lgkmcnt(1)
	v_lshl_add_u64 v[2:3], v[16:17], 0, v[24:25]
.LBB3517_132:
	s_or_b64 exec, exec, s[4:5]
	s_waitcnt lgkmcnt(1)
	v_lshl_add_u64 v[2:3], v[2:3], 3, s[22:23]
	global_store_dwordx2 v[2:3], v[4:5], off
.LBB3517_133:
	s_or_b64 exec, exec, s[2:3]
	v_cmp_gt_u32_e32 vcc, s33, v22
                                        ; implicit-def: $vgpr34_vgpr35
	s_and_saveexec_b64 s[2:3], vcc
	s_cbranch_execz .LBB3517_139
; %bb.134:
	v_cmp_ge_u32_e32 vcc, v22, v20
                                        ; implicit-def: $vgpr34_vgpr35
	s_and_saveexec_b64 s[4:5], vcc
	s_xor_b64 s[4:5], exec, s[4:5]
; %bb.135:
	v_xor_b32_e32 v0, 0xfffff3ff, v0
	v_ashrrev_i32_e32 v1, 31, v0
	v_lshl_add_u64 v[34:35], v[14:15], 0, v[0:1]
                                        ; implicit-def: $vgpr22_vgpr23
; %bb.136:
	s_andn2_saveexec_b64 s[4:5], s[4:5]
; %bb.137:
	v_lshl_add_u64 v[34:35], v[16:17], 0, v[22:23]
; %bb.138:
	s_or_b64 exec, exec, s[4:5]
	s_or_b64 s[0:1], s[0:1], exec
.LBB3517_139:
	s_or_b64 exec, exec, s[2:3]
	s_and_saveexec_b64 s[2:3], s[0:1]
	s_cbranch_execnz .LBB3517_94
.LBB3517_140:
	s_or_b64 exec, exec, s[2:3]
	s_and_b64 s[0:1], s[20:21], s[26:27]
	s_and_saveexec_b64 s[2:3], s[0:1]
	s_cbranch_execz .LBB3517_95
.LBB3517_141:
	s_waitcnt lgkmcnt(1)
	v_mov_b32_e32 v2, 0
	v_lshl_add_u64 v[0:1], v[16:17], 0, v[20:21]
	global_store_dwordx2 v2, v[0:1], s[24:25]
	s_endpgm
	.section	.rodata,"a",@progbits
	.p2align	6, 0x0
	.amdhsa_kernel _ZN7rocprim17ROCPRIM_400000_NS6detail17trampoline_kernelINS0_14default_configENS1_25partition_config_selectorILNS1_17partition_subalgoE3EN6thrust23THRUST_200600_302600_NS5tupleIiiNS7_9null_typeES9_S9_S9_S9_S9_S9_S9_EENS0_10empty_typeEbEEZZNS1_14partition_implILS5_3ELb0ES3_jNS7_6detail15normal_iteratorINS7_7pointerISA_NS7_11hip_rocprim3tagENS7_11use_defaultESJ_EEEEPSB_SM_NS0_5tupleIJPSA_SM_EEENSN_IJSM_SM_EEESB_PlJ10is_orderedEEE10hipError_tPvRmT3_T4_T5_T6_T7_T9_mT8_P12ihipStream_tbDpT10_ENKUlT_T0_E_clISt17integral_constantIbLb0EES1B_IbLb1EEEEDaS17_S18_EUlS17_E_NS1_11comp_targetILNS1_3genE5ELNS1_11target_archE942ELNS1_3gpuE9ELNS1_3repE0EEENS1_30default_config_static_selectorELNS0_4arch9wavefront6targetE1EEEvT1_
		.amdhsa_group_segment_fixed_size 28680
		.amdhsa_private_segment_fixed_size 0
		.amdhsa_kernarg_size 136
		.amdhsa_user_sgpr_count 2
		.amdhsa_user_sgpr_dispatch_ptr 0
		.amdhsa_user_sgpr_queue_ptr 0
		.amdhsa_user_sgpr_kernarg_segment_ptr 1
		.amdhsa_user_sgpr_dispatch_id 0
		.amdhsa_user_sgpr_kernarg_preload_length 0
		.amdhsa_user_sgpr_kernarg_preload_offset 0
		.amdhsa_user_sgpr_private_segment_size 0
		.amdhsa_uses_dynamic_stack 0
		.amdhsa_enable_private_segment 0
		.amdhsa_system_sgpr_workgroup_id_x 1
		.amdhsa_system_sgpr_workgroup_id_y 0
		.amdhsa_system_sgpr_workgroup_id_z 0
		.amdhsa_system_sgpr_workgroup_info 0
		.amdhsa_system_vgpr_workitem_id 0
		.amdhsa_next_free_vgpr 60
		.amdhsa_next_free_sgpr 46
		.amdhsa_accum_offset 60
		.amdhsa_reserve_vcc 1
		.amdhsa_float_round_mode_32 0
		.amdhsa_float_round_mode_16_64 0
		.amdhsa_float_denorm_mode_32 3
		.amdhsa_float_denorm_mode_16_64 3
		.amdhsa_dx10_clamp 1
		.amdhsa_ieee_mode 1
		.amdhsa_fp16_overflow 0
		.amdhsa_tg_split 0
		.amdhsa_exception_fp_ieee_invalid_op 0
		.amdhsa_exception_fp_denorm_src 0
		.amdhsa_exception_fp_ieee_div_zero 0
		.amdhsa_exception_fp_ieee_overflow 0
		.amdhsa_exception_fp_ieee_underflow 0
		.amdhsa_exception_fp_ieee_inexact 0
		.amdhsa_exception_int_div_zero 0
	.end_amdhsa_kernel
	.section	.text._ZN7rocprim17ROCPRIM_400000_NS6detail17trampoline_kernelINS0_14default_configENS1_25partition_config_selectorILNS1_17partition_subalgoE3EN6thrust23THRUST_200600_302600_NS5tupleIiiNS7_9null_typeES9_S9_S9_S9_S9_S9_S9_EENS0_10empty_typeEbEEZZNS1_14partition_implILS5_3ELb0ES3_jNS7_6detail15normal_iteratorINS7_7pointerISA_NS7_11hip_rocprim3tagENS7_11use_defaultESJ_EEEEPSB_SM_NS0_5tupleIJPSA_SM_EEENSN_IJSM_SM_EEESB_PlJ10is_orderedEEE10hipError_tPvRmT3_T4_T5_T6_T7_T9_mT8_P12ihipStream_tbDpT10_ENKUlT_T0_E_clISt17integral_constantIbLb0EES1B_IbLb1EEEEDaS17_S18_EUlS17_E_NS1_11comp_targetILNS1_3genE5ELNS1_11target_archE942ELNS1_3gpuE9ELNS1_3repE0EEENS1_30default_config_static_selectorELNS0_4arch9wavefront6targetE1EEEvT1_,"axG",@progbits,_ZN7rocprim17ROCPRIM_400000_NS6detail17trampoline_kernelINS0_14default_configENS1_25partition_config_selectorILNS1_17partition_subalgoE3EN6thrust23THRUST_200600_302600_NS5tupleIiiNS7_9null_typeES9_S9_S9_S9_S9_S9_S9_EENS0_10empty_typeEbEEZZNS1_14partition_implILS5_3ELb0ES3_jNS7_6detail15normal_iteratorINS7_7pointerISA_NS7_11hip_rocprim3tagENS7_11use_defaultESJ_EEEEPSB_SM_NS0_5tupleIJPSA_SM_EEENSN_IJSM_SM_EEESB_PlJ10is_orderedEEE10hipError_tPvRmT3_T4_T5_T6_T7_T9_mT8_P12ihipStream_tbDpT10_ENKUlT_T0_E_clISt17integral_constantIbLb0EES1B_IbLb1EEEEDaS17_S18_EUlS17_E_NS1_11comp_targetILNS1_3genE5ELNS1_11target_archE942ELNS1_3gpuE9ELNS1_3repE0EEENS1_30default_config_static_selectorELNS0_4arch9wavefront6targetE1EEEvT1_,comdat
.Lfunc_end3517:
	.size	_ZN7rocprim17ROCPRIM_400000_NS6detail17trampoline_kernelINS0_14default_configENS1_25partition_config_selectorILNS1_17partition_subalgoE3EN6thrust23THRUST_200600_302600_NS5tupleIiiNS7_9null_typeES9_S9_S9_S9_S9_S9_S9_EENS0_10empty_typeEbEEZZNS1_14partition_implILS5_3ELb0ES3_jNS7_6detail15normal_iteratorINS7_7pointerISA_NS7_11hip_rocprim3tagENS7_11use_defaultESJ_EEEEPSB_SM_NS0_5tupleIJPSA_SM_EEENSN_IJSM_SM_EEESB_PlJ10is_orderedEEE10hipError_tPvRmT3_T4_T5_T6_T7_T9_mT8_P12ihipStream_tbDpT10_ENKUlT_T0_E_clISt17integral_constantIbLb0EES1B_IbLb1EEEEDaS17_S18_EUlS17_E_NS1_11comp_targetILNS1_3genE5ELNS1_11target_archE942ELNS1_3gpuE9ELNS1_3repE0EEENS1_30default_config_static_selectorELNS0_4arch9wavefront6targetE1EEEvT1_, .Lfunc_end3517-_ZN7rocprim17ROCPRIM_400000_NS6detail17trampoline_kernelINS0_14default_configENS1_25partition_config_selectorILNS1_17partition_subalgoE3EN6thrust23THRUST_200600_302600_NS5tupleIiiNS7_9null_typeES9_S9_S9_S9_S9_S9_S9_EENS0_10empty_typeEbEEZZNS1_14partition_implILS5_3ELb0ES3_jNS7_6detail15normal_iteratorINS7_7pointerISA_NS7_11hip_rocprim3tagENS7_11use_defaultESJ_EEEEPSB_SM_NS0_5tupleIJPSA_SM_EEENSN_IJSM_SM_EEESB_PlJ10is_orderedEEE10hipError_tPvRmT3_T4_T5_T6_T7_T9_mT8_P12ihipStream_tbDpT10_ENKUlT_T0_E_clISt17integral_constantIbLb0EES1B_IbLb1EEEEDaS17_S18_EUlS17_E_NS1_11comp_targetILNS1_3genE5ELNS1_11target_archE942ELNS1_3gpuE9ELNS1_3repE0EEENS1_30default_config_static_selectorELNS0_4arch9wavefront6targetE1EEEvT1_
                                        ; -- End function
	.section	.AMDGPU.csdata,"",@progbits
; Kernel info:
; codeLenInByte = 5252
; NumSgprs: 52
; NumVgprs: 60
; NumAgprs: 0
; TotalNumVgprs: 60
; ScratchSize: 0
; MemoryBound: 0
; FloatMode: 240
; IeeeMode: 1
; LDSByteSize: 28680 bytes/workgroup (compile time only)
; SGPRBlocks: 6
; VGPRBlocks: 7
; NumSGPRsForWavesPerEU: 52
; NumVGPRsForWavesPerEU: 60
; AccumOffset: 60
; Occupancy: 4
; WaveLimiterHint : 1
; COMPUTE_PGM_RSRC2:SCRATCH_EN: 0
; COMPUTE_PGM_RSRC2:USER_SGPR: 2
; COMPUTE_PGM_RSRC2:TRAP_HANDLER: 0
; COMPUTE_PGM_RSRC2:TGID_X_EN: 1
; COMPUTE_PGM_RSRC2:TGID_Y_EN: 0
; COMPUTE_PGM_RSRC2:TGID_Z_EN: 0
; COMPUTE_PGM_RSRC2:TIDIG_COMP_CNT: 0
; COMPUTE_PGM_RSRC3_GFX90A:ACCUM_OFFSET: 14
; COMPUTE_PGM_RSRC3_GFX90A:TG_SPLIT: 0
	.section	.text._ZN7rocprim17ROCPRIM_400000_NS6detail17trampoline_kernelINS0_14default_configENS1_25partition_config_selectorILNS1_17partition_subalgoE3EN6thrust23THRUST_200600_302600_NS5tupleIiiNS7_9null_typeES9_S9_S9_S9_S9_S9_S9_EENS0_10empty_typeEbEEZZNS1_14partition_implILS5_3ELb0ES3_jNS7_6detail15normal_iteratorINS7_7pointerISA_NS7_11hip_rocprim3tagENS7_11use_defaultESJ_EEEEPSB_SM_NS0_5tupleIJPSA_SM_EEENSN_IJSM_SM_EEESB_PlJ10is_orderedEEE10hipError_tPvRmT3_T4_T5_T6_T7_T9_mT8_P12ihipStream_tbDpT10_ENKUlT_T0_E_clISt17integral_constantIbLb0EES1B_IbLb1EEEEDaS17_S18_EUlS17_E_NS1_11comp_targetILNS1_3genE4ELNS1_11target_archE910ELNS1_3gpuE8ELNS1_3repE0EEENS1_30default_config_static_selectorELNS0_4arch9wavefront6targetE1EEEvT1_,"axG",@progbits,_ZN7rocprim17ROCPRIM_400000_NS6detail17trampoline_kernelINS0_14default_configENS1_25partition_config_selectorILNS1_17partition_subalgoE3EN6thrust23THRUST_200600_302600_NS5tupleIiiNS7_9null_typeES9_S9_S9_S9_S9_S9_S9_EENS0_10empty_typeEbEEZZNS1_14partition_implILS5_3ELb0ES3_jNS7_6detail15normal_iteratorINS7_7pointerISA_NS7_11hip_rocprim3tagENS7_11use_defaultESJ_EEEEPSB_SM_NS0_5tupleIJPSA_SM_EEENSN_IJSM_SM_EEESB_PlJ10is_orderedEEE10hipError_tPvRmT3_T4_T5_T6_T7_T9_mT8_P12ihipStream_tbDpT10_ENKUlT_T0_E_clISt17integral_constantIbLb0EES1B_IbLb1EEEEDaS17_S18_EUlS17_E_NS1_11comp_targetILNS1_3genE4ELNS1_11target_archE910ELNS1_3gpuE8ELNS1_3repE0EEENS1_30default_config_static_selectorELNS0_4arch9wavefront6targetE1EEEvT1_,comdat
	.protected	_ZN7rocprim17ROCPRIM_400000_NS6detail17trampoline_kernelINS0_14default_configENS1_25partition_config_selectorILNS1_17partition_subalgoE3EN6thrust23THRUST_200600_302600_NS5tupleIiiNS7_9null_typeES9_S9_S9_S9_S9_S9_S9_EENS0_10empty_typeEbEEZZNS1_14partition_implILS5_3ELb0ES3_jNS7_6detail15normal_iteratorINS7_7pointerISA_NS7_11hip_rocprim3tagENS7_11use_defaultESJ_EEEEPSB_SM_NS0_5tupleIJPSA_SM_EEENSN_IJSM_SM_EEESB_PlJ10is_orderedEEE10hipError_tPvRmT3_T4_T5_T6_T7_T9_mT8_P12ihipStream_tbDpT10_ENKUlT_T0_E_clISt17integral_constantIbLb0EES1B_IbLb1EEEEDaS17_S18_EUlS17_E_NS1_11comp_targetILNS1_3genE4ELNS1_11target_archE910ELNS1_3gpuE8ELNS1_3repE0EEENS1_30default_config_static_selectorELNS0_4arch9wavefront6targetE1EEEvT1_ ; -- Begin function _ZN7rocprim17ROCPRIM_400000_NS6detail17trampoline_kernelINS0_14default_configENS1_25partition_config_selectorILNS1_17partition_subalgoE3EN6thrust23THRUST_200600_302600_NS5tupleIiiNS7_9null_typeES9_S9_S9_S9_S9_S9_S9_EENS0_10empty_typeEbEEZZNS1_14partition_implILS5_3ELb0ES3_jNS7_6detail15normal_iteratorINS7_7pointerISA_NS7_11hip_rocprim3tagENS7_11use_defaultESJ_EEEEPSB_SM_NS0_5tupleIJPSA_SM_EEENSN_IJSM_SM_EEESB_PlJ10is_orderedEEE10hipError_tPvRmT3_T4_T5_T6_T7_T9_mT8_P12ihipStream_tbDpT10_ENKUlT_T0_E_clISt17integral_constantIbLb0EES1B_IbLb1EEEEDaS17_S18_EUlS17_E_NS1_11comp_targetILNS1_3genE4ELNS1_11target_archE910ELNS1_3gpuE8ELNS1_3repE0EEENS1_30default_config_static_selectorELNS0_4arch9wavefront6targetE1EEEvT1_
	.globl	_ZN7rocprim17ROCPRIM_400000_NS6detail17trampoline_kernelINS0_14default_configENS1_25partition_config_selectorILNS1_17partition_subalgoE3EN6thrust23THRUST_200600_302600_NS5tupleIiiNS7_9null_typeES9_S9_S9_S9_S9_S9_S9_EENS0_10empty_typeEbEEZZNS1_14partition_implILS5_3ELb0ES3_jNS7_6detail15normal_iteratorINS7_7pointerISA_NS7_11hip_rocprim3tagENS7_11use_defaultESJ_EEEEPSB_SM_NS0_5tupleIJPSA_SM_EEENSN_IJSM_SM_EEESB_PlJ10is_orderedEEE10hipError_tPvRmT3_T4_T5_T6_T7_T9_mT8_P12ihipStream_tbDpT10_ENKUlT_T0_E_clISt17integral_constantIbLb0EES1B_IbLb1EEEEDaS17_S18_EUlS17_E_NS1_11comp_targetILNS1_3genE4ELNS1_11target_archE910ELNS1_3gpuE8ELNS1_3repE0EEENS1_30default_config_static_selectorELNS0_4arch9wavefront6targetE1EEEvT1_
	.p2align	8
	.type	_ZN7rocprim17ROCPRIM_400000_NS6detail17trampoline_kernelINS0_14default_configENS1_25partition_config_selectorILNS1_17partition_subalgoE3EN6thrust23THRUST_200600_302600_NS5tupleIiiNS7_9null_typeES9_S9_S9_S9_S9_S9_S9_EENS0_10empty_typeEbEEZZNS1_14partition_implILS5_3ELb0ES3_jNS7_6detail15normal_iteratorINS7_7pointerISA_NS7_11hip_rocprim3tagENS7_11use_defaultESJ_EEEEPSB_SM_NS0_5tupleIJPSA_SM_EEENSN_IJSM_SM_EEESB_PlJ10is_orderedEEE10hipError_tPvRmT3_T4_T5_T6_T7_T9_mT8_P12ihipStream_tbDpT10_ENKUlT_T0_E_clISt17integral_constantIbLb0EES1B_IbLb1EEEEDaS17_S18_EUlS17_E_NS1_11comp_targetILNS1_3genE4ELNS1_11target_archE910ELNS1_3gpuE8ELNS1_3repE0EEENS1_30default_config_static_selectorELNS0_4arch9wavefront6targetE1EEEvT1_,@function
_ZN7rocprim17ROCPRIM_400000_NS6detail17trampoline_kernelINS0_14default_configENS1_25partition_config_selectorILNS1_17partition_subalgoE3EN6thrust23THRUST_200600_302600_NS5tupleIiiNS7_9null_typeES9_S9_S9_S9_S9_S9_S9_EENS0_10empty_typeEbEEZZNS1_14partition_implILS5_3ELb0ES3_jNS7_6detail15normal_iteratorINS7_7pointerISA_NS7_11hip_rocprim3tagENS7_11use_defaultESJ_EEEEPSB_SM_NS0_5tupleIJPSA_SM_EEENSN_IJSM_SM_EEESB_PlJ10is_orderedEEE10hipError_tPvRmT3_T4_T5_T6_T7_T9_mT8_P12ihipStream_tbDpT10_ENKUlT_T0_E_clISt17integral_constantIbLb0EES1B_IbLb1EEEEDaS17_S18_EUlS17_E_NS1_11comp_targetILNS1_3genE4ELNS1_11target_archE910ELNS1_3gpuE8ELNS1_3repE0EEENS1_30default_config_static_selectorELNS0_4arch9wavefront6targetE1EEEvT1_: ; @_ZN7rocprim17ROCPRIM_400000_NS6detail17trampoline_kernelINS0_14default_configENS1_25partition_config_selectorILNS1_17partition_subalgoE3EN6thrust23THRUST_200600_302600_NS5tupleIiiNS7_9null_typeES9_S9_S9_S9_S9_S9_S9_EENS0_10empty_typeEbEEZZNS1_14partition_implILS5_3ELb0ES3_jNS7_6detail15normal_iteratorINS7_7pointerISA_NS7_11hip_rocprim3tagENS7_11use_defaultESJ_EEEEPSB_SM_NS0_5tupleIJPSA_SM_EEENSN_IJSM_SM_EEESB_PlJ10is_orderedEEE10hipError_tPvRmT3_T4_T5_T6_T7_T9_mT8_P12ihipStream_tbDpT10_ENKUlT_T0_E_clISt17integral_constantIbLb0EES1B_IbLb1EEEEDaS17_S18_EUlS17_E_NS1_11comp_targetILNS1_3genE4ELNS1_11target_archE910ELNS1_3gpuE8ELNS1_3repE0EEENS1_30default_config_static_selectorELNS0_4arch9wavefront6targetE1EEEvT1_
; %bb.0:
	.section	.rodata,"a",@progbits
	.p2align	6, 0x0
	.amdhsa_kernel _ZN7rocprim17ROCPRIM_400000_NS6detail17trampoline_kernelINS0_14default_configENS1_25partition_config_selectorILNS1_17partition_subalgoE3EN6thrust23THRUST_200600_302600_NS5tupleIiiNS7_9null_typeES9_S9_S9_S9_S9_S9_S9_EENS0_10empty_typeEbEEZZNS1_14partition_implILS5_3ELb0ES3_jNS7_6detail15normal_iteratorINS7_7pointerISA_NS7_11hip_rocprim3tagENS7_11use_defaultESJ_EEEEPSB_SM_NS0_5tupleIJPSA_SM_EEENSN_IJSM_SM_EEESB_PlJ10is_orderedEEE10hipError_tPvRmT3_T4_T5_T6_T7_T9_mT8_P12ihipStream_tbDpT10_ENKUlT_T0_E_clISt17integral_constantIbLb0EES1B_IbLb1EEEEDaS17_S18_EUlS17_E_NS1_11comp_targetILNS1_3genE4ELNS1_11target_archE910ELNS1_3gpuE8ELNS1_3repE0EEENS1_30default_config_static_selectorELNS0_4arch9wavefront6targetE1EEEvT1_
		.amdhsa_group_segment_fixed_size 0
		.amdhsa_private_segment_fixed_size 0
		.amdhsa_kernarg_size 136
		.amdhsa_user_sgpr_count 2
		.amdhsa_user_sgpr_dispatch_ptr 0
		.amdhsa_user_sgpr_queue_ptr 0
		.amdhsa_user_sgpr_kernarg_segment_ptr 1
		.amdhsa_user_sgpr_dispatch_id 0
		.amdhsa_user_sgpr_kernarg_preload_length 0
		.amdhsa_user_sgpr_kernarg_preload_offset 0
		.amdhsa_user_sgpr_private_segment_size 0
		.amdhsa_uses_dynamic_stack 0
		.amdhsa_enable_private_segment 0
		.amdhsa_system_sgpr_workgroup_id_x 1
		.amdhsa_system_sgpr_workgroup_id_y 0
		.amdhsa_system_sgpr_workgroup_id_z 0
		.amdhsa_system_sgpr_workgroup_info 0
		.amdhsa_system_vgpr_workitem_id 0
		.amdhsa_next_free_vgpr 1
		.amdhsa_next_free_sgpr 0
		.amdhsa_accum_offset 4
		.amdhsa_reserve_vcc 0
		.amdhsa_float_round_mode_32 0
		.amdhsa_float_round_mode_16_64 0
		.amdhsa_float_denorm_mode_32 3
		.amdhsa_float_denorm_mode_16_64 3
		.amdhsa_dx10_clamp 1
		.amdhsa_ieee_mode 1
		.amdhsa_fp16_overflow 0
		.amdhsa_tg_split 0
		.amdhsa_exception_fp_ieee_invalid_op 0
		.amdhsa_exception_fp_denorm_src 0
		.amdhsa_exception_fp_ieee_div_zero 0
		.amdhsa_exception_fp_ieee_overflow 0
		.amdhsa_exception_fp_ieee_underflow 0
		.amdhsa_exception_fp_ieee_inexact 0
		.amdhsa_exception_int_div_zero 0
	.end_amdhsa_kernel
	.section	.text._ZN7rocprim17ROCPRIM_400000_NS6detail17trampoline_kernelINS0_14default_configENS1_25partition_config_selectorILNS1_17partition_subalgoE3EN6thrust23THRUST_200600_302600_NS5tupleIiiNS7_9null_typeES9_S9_S9_S9_S9_S9_S9_EENS0_10empty_typeEbEEZZNS1_14partition_implILS5_3ELb0ES3_jNS7_6detail15normal_iteratorINS7_7pointerISA_NS7_11hip_rocprim3tagENS7_11use_defaultESJ_EEEEPSB_SM_NS0_5tupleIJPSA_SM_EEENSN_IJSM_SM_EEESB_PlJ10is_orderedEEE10hipError_tPvRmT3_T4_T5_T6_T7_T9_mT8_P12ihipStream_tbDpT10_ENKUlT_T0_E_clISt17integral_constantIbLb0EES1B_IbLb1EEEEDaS17_S18_EUlS17_E_NS1_11comp_targetILNS1_3genE4ELNS1_11target_archE910ELNS1_3gpuE8ELNS1_3repE0EEENS1_30default_config_static_selectorELNS0_4arch9wavefront6targetE1EEEvT1_,"axG",@progbits,_ZN7rocprim17ROCPRIM_400000_NS6detail17trampoline_kernelINS0_14default_configENS1_25partition_config_selectorILNS1_17partition_subalgoE3EN6thrust23THRUST_200600_302600_NS5tupleIiiNS7_9null_typeES9_S9_S9_S9_S9_S9_S9_EENS0_10empty_typeEbEEZZNS1_14partition_implILS5_3ELb0ES3_jNS7_6detail15normal_iteratorINS7_7pointerISA_NS7_11hip_rocprim3tagENS7_11use_defaultESJ_EEEEPSB_SM_NS0_5tupleIJPSA_SM_EEENSN_IJSM_SM_EEESB_PlJ10is_orderedEEE10hipError_tPvRmT3_T4_T5_T6_T7_T9_mT8_P12ihipStream_tbDpT10_ENKUlT_T0_E_clISt17integral_constantIbLb0EES1B_IbLb1EEEEDaS17_S18_EUlS17_E_NS1_11comp_targetILNS1_3genE4ELNS1_11target_archE910ELNS1_3gpuE8ELNS1_3repE0EEENS1_30default_config_static_selectorELNS0_4arch9wavefront6targetE1EEEvT1_,comdat
.Lfunc_end3518:
	.size	_ZN7rocprim17ROCPRIM_400000_NS6detail17trampoline_kernelINS0_14default_configENS1_25partition_config_selectorILNS1_17partition_subalgoE3EN6thrust23THRUST_200600_302600_NS5tupleIiiNS7_9null_typeES9_S9_S9_S9_S9_S9_S9_EENS0_10empty_typeEbEEZZNS1_14partition_implILS5_3ELb0ES3_jNS7_6detail15normal_iteratorINS7_7pointerISA_NS7_11hip_rocprim3tagENS7_11use_defaultESJ_EEEEPSB_SM_NS0_5tupleIJPSA_SM_EEENSN_IJSM_SM_EEESB_PlJ10is_orderedEEE10hipError_tPvRmT3_T4_T5_T6_T7_T9_mT8_P12ihipStream_tbDpT10_ENKUlT_T0_E_clISt17integral_constantIbLb0EES1B_IbLb1EEEEDaS17_S18_EUlS17_E_NS1_11comp_targetILNS1_3genE4ELNS1_11target_archE910ELNS1_3gpuE8ELNS1_3repE0EEENS1_30default_config_static_selectorELNS0_4arch9wavefront6targetE1EEEvT1_, .Lfunc_end3518-_ZN7rocprim17ROCPRIM_400000_NS6detail17trampoline_kernelINS0_14default_configENS1_25partition_config_selectorILNS1_17partition_subalgoE3EN6thrust23THRUST_200600_302600_NS5tupleIiiNS7_9null_typeES9_S9_S9_S9_S9_S9_S9_EENS0_10empty_typeEbEEZZNS1_14partition_implILS5_3ELb0ES3_jNS7_6detail15normal_iteratorINS7_7pointerISA_NS7_11hip_rocprim3tagENS7_11use_defaultESJ_EEEEPSB_SM_NS0_5tupleIJPSA_SM_EEENSN_IJSM_SM_EEESB_PlJ10is_orderedEEE10hipError_tPvRmT3_T4_T5_T6_T7_T9_mT8_P12ihipStream_tbDpT10_ENKUlT_T0_E_clISt17integral_constantIbLb0EES1B_IbLb1EEEEDaS17_S18_EUlS17_E_NS1_11comp_targetILNS1_3genE4ELNS1_11target_archE910ELNS1_3gpuE8ELNS1_3repE0EEENS1_30default_config_static_selectorELNS0_4arch9wavefront6targetE1EEEvT1_
                                        ; -- End function
	.section	.AMDGPU.csdata,"",@progbits
; Kernel info:
; codeLenInByte = 0
; NumSgprs: 6
; NumVgprs: 0
; NumAgprs: 0
; TotalNumVgprs: 0
; ScratchSize: 0
; MemoryBound: 0
; FloatMode: 240
; IeeeMode: 1
; LDSByteSize: 0 bytes/workgroup (compile time only)
; SGPRBlocks: 0
; VGPRBlocks: 0
; NumSGPRsForWavesPerEU: 6
; NumVGPRsForWavesPerEU: 1
; AccumOffset: 4
; Occupancy: 8
; WaveLimiterHint : 0
; COMPUTE_PGM_RSRC2:SCRATCH_EN: 0
; COMPUTE_PGM_RSRC2:USER_SGPR: 2
; COMPUTE_PGM_RSRC2:TRAP_HANDLER: 0
; COMPUTE_PGM_RSRC2:TGID_X_EN: 1
; COMPUTE_PGM_RSRC2:TGID_Y_EN: 0
; COMPUTE_PGM_RSRC2:TGID_Z_EN: 0
; COMPUTE_PGM_RSRC2:TIDIG_COMP_CNT: 0
; COMPUTE_PGM_RSRC3_GFX90A:ACCUM_OFFSET: 0
; COMPUTE_PGM_RSRC3_GFX90A:TG_SPLIT: 0
	.section	.text._ZN7rocprim17ROCPRIM_400000_NS6detail17trampoline_kernelINS0_14default_configENS1_25partition_config_selectorILNS1_17partition_subalgoE3EN6thrust23THRUST_200600_302600_NS5tupleIiiNS7_9null_typeES9_S9_S9_S9_S9_S9_S9_EENS0_10empty_typeEbEEZZNS1_14partition_implILS5_3ELb0ES3_jNS7_6detail15normal_iteratorINS7_7pointerISA_NS7_11hip_rocprim3tagENS7_11use_defaultESJ_EEEEPSB_SM_NS0_5tupleIJPSA_SM_EEENSN_IJSM_SM_EEESB_PlJ10is_orderedEEE10hipError_tPvRmT3_T4_T5_T6_T7_T9_mT8_P12ihipStream_tbDpT10_ENKUlT_T0_E_clISt17integral_constantIbLb0EES1B_IbLb1EEEEDaS17_S18_EUlS17_E_NS1_11comp_targetILNS1_3genE3ELNS1_11target_archE908ELNS1_3gpuE7ELNS1_3repE0EEENS1_30default_config_static_selectorELNS0_4arch9wavefront6targetE1EEEvT1_,"axG",@progbits,_ZN7rocprim17ROCPRIM_400000_NS6detail17trampoline_kernelINS0_14default_configENS1_25partition_config_selectorILNS1_17partition_subalgoE3EN6thrust23THRUST_200600_302600_NS5tupleIiiNS7_9null_typeES9_S9_S9_S9_S9_S9_S9_EENS0_10empty_typeEbEEZZNS1_14partition_implILS5_3ELb0ES3_jNS7_6detail15normal_iteratorINS7_7pointerISA_NS7_11hip_rocprim3tagENS7_11use_defaultESJ_EEEEPSB_SM_NS0_5tupleIJPSA_SM_EEENSN_IJSM_SM_EEESB_PlJ10is_orderedEEE10hipError_tPvRmT3_T4_T5_T6_T7_T9_mT8_P12ihipStream_tbDpT10_ENKUlT_T0_E_clISt17integral_constantIbLb0EES1B_IbLb1EEEEDaS17_S18_EUlS17_E_NS1_11comp_targetILNS1_3genE3ELNS1_11target_archE908ELNS1_3gpuE7ELNS1_3repE0EEENS1_30default_config_static_selectorELNS0_4arch9wavefront6targetE1EEEvT1_,comdat
	.protected	_ZN7rocprim17ROCPRIM_400000_NS6detail17trampoline_kernelINS0_14default_configENS1_25partition_config_selectorILNS1_17partition_subalgoE3EN6thrust23THRUST_200600_302600_NS5tupleIiiNS7_9null_typeES9_S9_S9_S9_S9_S9_S9_EENS0_10empty_typeEbEEZZNS1_14partition_implILS5_3ELb0ES3_jNS7_6detail15normal_iteratorINS7_7pointerISA_NS7_11hip_rocprim3tagENS7_11use_defaultESJ_EEEEPSB_SM_NS0_5tupleIJPSA_SM_EEENSN_IJSM_SM_EEESB_PlJ10is_orderedEEE10hipError_tPvRmT3_T4_T5_T6_T7_T9_mT8_P12ihipStream_tbDpT10_ENKUlT_T0_E_clISt17integral_constantIbLb0EES1B_IbLb1EEEEDaS17_S18_EUlS17_E_NS1_11comp_targetILNS1_3genE3ELNS1_11target_archE908ELNS1_3gpuE7ELNS1_3repE0EEENS1_30default_config_static_selectorELNS0_4arch9wavefront6targetE1EEEvT1_ ; -- Begin function _ZN7rocprim17ROCPRIM_400000_NS6detail17trampoline_kernelINS0_14default_configENS1_25partition_config_selectorILNS1_17partition_subalgoE3EN6thrust23THRUST_200600_302600_NS5tupleIiiNS7_9null_typeES9_S9_S9_S9_S9_S9_S9_EENS0_10empty_typeEbEEZZNS1_14partition_implILS5_3ELb0ES3_jNS7_6detail15normal_iteratorINS7_7pointerISA_NS7_11hip_rocprim3tagENS7_11use_defaultESJ_EEEEPSB_SM_NS0_5tupleIJPSA_SM_EEENSN_IJSM_SM_EEESB_PlJ10is_orderedEEE10hipError_tPvRmT3_T4_T5_T6_T7_T9_mT8_P12ihipStream_tbDpT10_ENKUlT_T0_E_clISt17integral_constantIbLb0EES1B_IbLb1EEEEDaS17_S18_EUlS17_E_NS1_11comp_targetILNS1_3genE3ELNS1_11target_archE908ELNS1_3gpuE7ELNS1_3repE0EEENS1_30default_config_static_selectorELNS0_4arch9wavefront6targetE1EEEvT1_
	.globl	_ZN7rocprim17ROCPRIM_400000_NS6detail17trampoline_kernelINS0_14default_configENS1_25partition_config_selectorILNS1_17partition_subalgoE3EN6thrust23THRUST_200600_302600_NS5tupleIiiNS7_9null_typeES9_S9_S9_S9_S9_S9_S9_EENS0_10empty_typeEbEEZZNS1_14partition_implILS5_3ELb0ES3_jNS7_6detail15normal_iteratorINS7_7pointerISA_NS7_11hip_rocprim3tagENS7_11use_defaultESJ_EEEEPSB_SM_NS0_5tupleIJPSA_SM_EEENSN_IJSM_SM_EEESB_PlJ10is_orderedEEE10hipError_tPvRmT3_T4_T5_T6_T7_T9_mT8_P12ihipStream_tbDpT10_ENKUlT_T0_E_clISt17integral_constantIbLb0EES1B_IbLb1EEEEDaS17_S18_EUlS17_E_NS1_11comp_targetILNS1_3genE3ELNS1_11target_archE908ELNS1_3gpuE7ELNS1_3repE0EEENS1_30default_config_static_selectorELNS0_4arch9wavefront6targetE1EEEvT1_
	.p2align	8
	.type	_ZN7rocprim17ROCPRIM_400000_NS6detail17trampoline_kernelINS0_14default_configENS1_25partition_config_selectorILNS1_17partition_subalgoE3EN6thrust23THRUST_200600_302600_NS5tupleIiiNS7_9null_typeES9_S9_S9_S9_S9_S9_S9_EENS0_10empty_typeEbEEZZNS1_14partition_implILS5_3ELb0ES3_jNS7_6detail15normal_iteratorINS7_7pointerISA_NS7_11hip_rocprim3tagENS7_11use_defaultESJ_EEEEPSB_SM_NS0_5tupleIJPSA_SM_EEENSN_IJSM_SM_EEESB_PlJ10is_orderedEEE10hipError_tPvRmT3_T4_T5_T6_T7_T9_mT8_P12ihipStream_tbDpT10_ENKUlT_T0_E_clISt17integral_constantIbLb0EES1B_IbLb1EEEEDaS17_S18_EUlS17_E_NS1_11comp_targetILNS1_3genE3ELNS1_11target_archE908ELNS1_3gpuE7ELNS1_3repE0EEENS1_30default_config_static_selectorELNS0_4arch9wavefront6targetE1EEEvT1_,@function
_ZN7rocprim17ROCPRIM_400000_NS6detail17trampoline_kernelINS0_14default_configENS1_25partition_config_selectorILNS1_17partition_subalgoE3EN6thrust23THRUST_200600_302600_NS5tupleIiiNS7_9null_typeES9_S9_S9_S9_S9_S9_S9_EENS0_10empty_typeEbEEZZNS1_14partition_implILS5_3ELb0ES3_jNS7_6detail15normal_iteratorINS7_7pointerISA_NS7_11hip_rocprim3tagENS7_11use_defaultESJ_EEEEPSB_SM_NS0_5tupleIJPSA_SM_EEENSN_IJSM_SM_EEESB_PlJ10is_orderedEEE10hipError_tPvRmT3_T4_T5_T6_T7_T9_mT8_P12ihipStream_tbDpT10_ENKUlT_T0_E_clISt17integral_constantIbLb0EES1B_IbLb1EEEEDaS17_S18_EUlS17_E_NS1_11comp_targetILNS1_3genE3ELNS1_11target_archE908ELNS1_3gpuE7ELNS1_3repE0EEENS1_30default_config_static_selectorELNS0_4arch9wavefront6targetE1EEEvT1_: ; @_ZN7rocprim17ROCPRIM_400000_NS6detail17trampoline_kernelINS0_14default_configENS1_25partition_config_selectorILNS1_17partition_subalgoE3EN6thrust23THRUST_200600_302600_NS5tupleIiiNS7_9null_typeES9_S9_S9_S9_S9_S9_S9_EENS0_10empty_typeEbEEZZNS1_14partition_implILS5_3ELb0ES3_jNS7_6detail15normal_iteratorINS7_7pointerISA_NS7_11hip_rocprim3tagENS7_11use_defaultESJ_EEEEPSB_SM_NS0_5tupleIJPSA_SM_EEENSN_IJSM_SM_EEESB_PlJ10is_orderedEEE10hipError_tPvRmT3_T4_T5_T6_T7_T9_mT8_P12ihipStream_tbDpT10_ENKUlT_T0_E_clISt17integral_constantIbLb0EES1B_IbLb1EEEEDaS17_S18_EUlS17_E_NS1_11comp_targetILNS1_3genE3ELNS1_11target_archE908ELNS1_3gpuE7ELNS1_3repE0EEENS1_30default_config_static_selectorELNS0_4arch9wavefront6targetE1EEEvT1_
; %bb.0:
	.section	.rodata,"a",@progbits
	.p2align	6, 0x0
	.amdhsa_kernel _ZN7rocprim17ROCPRIM_400000_NS6detail17trampoline_kernelINS0_14default_configENS1_25partition_config_selectorILNS1_17partition_subalgoE3EN6thrust23THRUST_200600_302600_NS5tupleIiiNS7_9null_typeES9_S9_S9_S9_S9_S9_S9_EENS0_10empty_typeEbEEZZNS1_14partition_implILS5_3ELb0ES3_jNS7_6detail15normal_iteratorINS7_7pointerISA_NS7_11hip_rocprim3tagENS7_11use_defaultESJ_EEEEPSB_SM_NS0_5tupleIJPSA_SM_EEENSN_IJSM_SM_EEESB_PlJ10is_orderedEEE10hipError_tPvRmT3_T4_T5_T6_T7_T9_mT8_P12ihipStream_tbDpT10_ENKUlT_T0_E_clISt17integral_constantIbLb0EES1B_IbLb1EEEEDaS17_S18_EUlS17_E_NS1_11comp_targetILNS1_3genE3ELNS1_11target_archE908ELNS1_3gpuE7ELNS1_3repE0EEENS1_30default_config_static_selectorELNS0_4arch9wavefront6targetE1EEEvT1_
		.amdhsa_group_segment_fixed_size 0
		.amdhsa_private_segment_fixed_size 0
		.amdhsa_kernarg_size 136
		.amdhsa_user_sgpr_count 2
		.amdhsa_user_sgpr_dispatch_ptr 0
		.amdhsa_user_sgpr_queue_ptr 0
		.amdhsa_user_sgpr_kernarg_segment_ptr 1
		.amdhsa_user_sgpr_dispatch_id 0
		.amdhsa_user_sgpr_kernarg_preload_length 0
		.amdhsa_user_sgpr_kernarg_preload_offset 0
		.amdhsa_user_sgpr_private_segment_size 0
		.amdhsa_uses_dynamic_stack 0
		.amdhsa_enable_private_segment 0
		.amdhsa_system_sgpr_workgroup_id_x 1
		.amdhsa_system_sgpr_workgroup_id_y 0
		.amdhsa_system_sgpr_workgroup_id_z 0
		.amdhsa_system_sgpr_workgroup_info 0
		.amdhsa_system_vgpr_workitem_id 0
		.amdhsa_next_free_vgpr 1
		.amdhsa_next_free_sgpr 0
		.amdhsa_accum_offset 4
		.amdhsa_reserve_vcc 0
		.amdhsa_float_round_mode_32 0
		.amdhsa_float_round_mode_16_64 0
		.amdhsa_float_denorm_mode_32 3
		.amdhsa_float_denorm_mode_16_64 3
		.amdhsa_dx10_clamp 1
		.amdhsa_ieee_mode 1
		.amdhsa_fp16_overflow 0
		.amdhsa_tg_split 0
		.amdhsa_exception_fp_ieee_invalid_op 0
		.amdhsa_exception_fp_denorm_src 0
		.amdhsa_exception_fp_ieee_div_zero 0
		.amdhsa_exception_fp_ieee_overflow 0
		.amdhsa_exception_fp_ieee_underflow 0
		.amdhsa_exception_fp_ieee_inexact 0
		.amdhsa_exception_int_div_zero 0
	.end_amdhsa_kernel
	.section	.text._ZN7rocprim17ROCPRIM_400000_NS6detail17trampoline_kernelINS0_14default_configENS1_25partition_config_selectorILNS1_17partition_subalgoE3EN6thrust23THRUST_200600_302600_NS5tupleIiiNS7_9null_typeES9_S9_S9_S9_S9_S9_S9_EENS0_10empty_typeEbEEZZNS1_14partition_implILS5_3ELb0ES3_jNS7_6detail15normal_iteratorINS7_7pointerISA_NS7_11hip_rocprim3tagENS7_11use_defaultESJ_EEEEPSB_SM_NS0_5tupleIJPSA_SM_EEENSN_IJSM_SM_EEESB_PlJ10is_orderedEEE10hipError_tPvRmT3_T4_T5_T6_T7_T9_mT8_P12ihipStream_tbDpT10_ENKUlT_T0_E_clISt17integral_constantIbLb0EES1B_IbLb1EEEEDaS17_S18_EUlS17_E_NS1_11comp_targetILNS1_3genE3ELNS1_11target_archE908ELNS1_3gpuE7ELNS1_3repE0EEENS1_30default_config_static_selectorELNS0_4arch9wavefront6targetE1EEEvT1_,"axG",@progbits,_ZN7rocprim17ROCPRIM_400000_NS6detail17trampoline_kernelINS0_14default_configENS1_25partition_config_selectorILNS1_17partition_subalgoE3EN6thrust23THRUST_200600_302600_NS5tupleIiiNS7_9null_typeES9_S9_S9_S9_S9_S9_S9_EENS0_10empty_typeEbEEZZNS1_14partition_implILS5_3ELb0ES3_jNS7_6detail15normal_iteratorINS7_7pointerISA_NS7_11hip_rocprim3tagENS7_11use_defaultESJ_EEEEPSB_SM_NS0_5tupleIJPSA_SM_EEENSN_IJSM_SM_EEESB_PlJ10is_orderedEEE10hipError_tPvRmT3_T4_T5_T6_T7_T9_mT8_P12ihipStream_tbDpT10_ENKUlT_T0_E_clISt17integral_constantIbLb0EES1B_IbLb1EEEEDaS17_S18_EUlS17_E_NS1_11comp_targetILNS1_3genE3ELNS1_11target_archE908ELNS1_3gpuE7ELNS1_3repE0EEENS1_30default_config_static_selectorELNS0_4arch9wavefront6targetE1EEEvT1_,comdat
.Lfunc_end3519:
	.size	_ZN7rocprim17ROCPRIM_400000_NS6detail17trampoline_kernelINS0_14default_configENS1_25partition_config_selectorILNS1_17partition_subalgoE3EN6thrust23THRUST_200600_302600_NS5tupleIiiNS7_9null_typeES9_S9_S9_S9_S9_S9_S9_EENS0_10empty_typeEbEEZZNS1_14partition_implILS5_3ELb0ES3_jNS7_6detail15normal_iteratorINS7_7pointerISA_NS7_11hip_rocprim3tagENS7_11use_defaultESJ_EEEEPSB_SM_NS0_5tupleIJPSA_SM_EEENSN_IJSM_SM_EEESB_PlJ10is_orderedEEE10hipError_tPvRmT3_T4_T5_T6_T7_T9_mT8_P12ihipStream_tbDpT10_ENKUlT_T0_E_clISt17integral_constantIbLb0EES1B_IbLb1EEEEDaS17_S18_EUlS17_E_NS1_11comp_targetILNS1_3genE3ELNS1_11target_archE908ELNS1_3gpuE7ELNS1_3repE0EEENS1_30default_config_static_selectorELNS0_4arch9wavefront6targetE1EEEvT1_, .Lfunc_end3519-_ZN7rocprim17ROCPRIM_400000_NS6detail17trampoline_kernelINS0_14default_configENS1_25partition_config_selectorILNS1_17partition_subalgoE3EN6thrust23THRUST_200600_302600_NS5tupleIiiNS7_9null_typeES9_S9_S9_S9_S9_S9_S9_EENS0_10empty_typeEbEEZZNS1_14partition_implILS5_3ELb0ES3_jNS7_6detail15normal_iteratorINS7_7pointerISA_NS7_11hip_rocprim3tagENS7_11use_defaultESJ_EEEEPSB_SM_NS0_5tupleIJPSA_SM_EEENSN_IJSM_SM_EEESB_PlJ10is_orderedEEE10hipError_tPvRmT3_T4_T5_T6_T7_T9_mT8_P12ihipStream_tbDpT10_ENKUlT_T0_E_clISt17integral_constantIbLb0EES1B_IbLb1EEEEDaS17_S18_EUlS17_E_NS1_11comp_targetILNS1_3genE3ELNS1_11target_archE908ELNS1_3gpuE7ELNS1_3repE0EEENS1_30default_config_static_selectorELNS0_4arch9wavefront6targetE1EEEvT1_
                                        ; -- End function
	.section	.AMDGPU.csdata,"",@progbits
; Kernel info:
; codeLenInByte = 0
; NumSgprs: 6
; NumVgprs: 0
; NumAgprs: 0
; TotalNumVgprs: 0
; ScratchSize: 0
; MemoryBound: 0
; FloatMode: 240
; IeeeMode: 1
; LDSByteSize: 0 bytes/workgroup (compile time only)
; SGPRBlocks: 0
; VGPRBlocks: 0
; NumSGPRsForWavesPerEU: 6
; NumVGPRsForWavesPerEU: 1
; AccumOffset: 4
; Occupancy: 8
; WaveLimiterHint : 0
; COMPUTE_PGM_RSRC2:SCRATCH_EN: 0
; COMPUTE_PGM_RSRC2:USER_SGPR: 2
; COMPUTE_PGM_RSRC2:TRAP_HANDLER: 0
; COMPUTE_PGM_RSRC2:TGID_X_EN: 1
; COMPUTE_PGM_RSRC2:TGID_Y_EN: 0
; COMPUTE_PGM_RSRC2:TGID_Z_EN: 0
; COMPUTE_PGM_RSRC2:TIDIG_COMP_CNT: 0
; COMPUTE_PGM_RSRC3_GFX90A:ACCUM_OFFSET: 0
; COMPUTE_PGM_RSRC3_GFX90A:TG_SPLIT: 0
	.section	.text._ZN7rocprim17ROCPRIM_400000_NS6detail17trampoline_kernelINS0_14default_configENS1_25partition_config_selectorILNS1_17partition_subalgoE3EN6thrust23THRUST_200600_302600_NS5tupleIiiNS7_9null_typeES9_S9_S9_S9_S9_S9_S9_EENS0_10empty_typeEbEEZZNS1_14partition_implILS5_3ELb0ES3_jNS7_6detail15normal_iteratorINS7_7pointerISA_NS7_11hip_rocprim3tagENS7_11use_defaultESJ_EEEEPSB_SM_NS0_5tupleIJPSA_SM_EEENSN_IJSM_SM_EEESB_PlJ10is_orderedEEE10hipError_tPvRmT3_T4_T5_T6_T7_T9_mT8_P12ihipStream_tbDpT10_ENKUlT_T0_E_clISt17integral_constantIbLb0EES1B_IbLb1EEEEDaS17_S18_EUlS17_E_NS1_11comp_targetILNS1_3genE2ELNS1_11target_archE906ELNS1_3gpuE6ELNS1_3repE0EEENS1_30default_config_static_selectorELNS0_4arch9wavefront6targetE1EEEvT1_,"axG",@progbits,_ZN7rocprim17ROCPRIM_400000_NS6detail17trampoline_kernelINS0_14default_configENS1_25partition_config_selectorILNS1_17partition_subalgoE3EN6thrust23THRUST_200600_302600_NS5tupleIiiNS7_9null_typeES9_S9_S9_S9_S9_S9_S9_EENS0_10empty_typeEbEEZZNS1_14partition_implILS5_3ELb0ES3_jNS7_6detail15normal_iteratorINS7_7pointerISA_NS7_11hip_rocprim3tagENS7_11use_defaultESJ_EEEEPSB_SM_NS0_5tupleIJPSA_SM_EEENSN_IJSM_SM_EEESB_PlJ10is_orderedEEE10hipError_tPvRmT3_T4_T5_T6_T7_T9_mT8_P12ihipStream_tbDpT10_ENKUlT_T0_E_clISt17integral_constantIbLb0EES1B_IbLb1EEEEDaS17_S18_EUlS17_E_NS1_11comp_targetILNS1_3genE2ELNS1_11target_archE906ELNS1_3gpuE6ELNS1_3repE0EEENS1_30default_config_static_selectorELNS0_4arch9wavefront6targetE1EEEvT1_,comdat
	.protected	_ZN7rocprim17ROCPRIM_400000_NS6detail17trampoline_kernelINS0_14default_configENS1_25partition_config_selectorILNS1_17partition_subalgoE3EN6thrust23THRUST_200600_302600_NS5tupleIiiNS7_9null_typeES9_S9_S9_S9_S9_S9_S9_EENS0_10empty_typeEbEEZZNS1_14partition_implILS5_3ELb0ES3_jNS7_6detail15normal_iteratorINS7_7pointerISA_NS7_11hip_rocprim3tagENS7_11use_defaultESJ_EEEEPSB_SM_NS0_5tupleIJPSA_SM_EEENSN_IJSM_SM_EEESB_PlJ10is_orderedEEE10hipError_tPvRmT3_T4_T5_T6_T7_T9_mT8_P12ihipStream_tbDpT10_ENKUlT_T0_E_clISt17integral_constantIbLb0EES1B_IbLb1EEEEDaS17_S18_EUlS17_E_NS1_11comp_targetILNS1_3genE2ELNS1_11target_archE906ELNS1_3gpuE6ELNS1_3repE0EEENS1_30default_config_static_selectorELNS0_4arch9wavefront6targetE1EEEvT1_ ; -- Begin function _ZN7rocprim17ROCPRIM_400000_NS6detail17trampoline_kernelINS0_14default_configENS1_25partition_config_selectorILNS1_17partition_subalgoE3EN6thrust23THRUST_200600_302600_NS5tupleIiiNS7_9null_typeES9_S9_S9_S9_S9_S9_S9_EENS0_10empty_typeEbEEZZNS1_14partition_implILS5_3ELb0ES3_jNS7_6detail15normal_iteratorINS7_7pointerISA_NS7_11hip_rocprim3tagENS7_11use_defaultESJ_EEEEPSB_SM_NS0_5tupleIJPSA_SM_EEENSN_IJSM_SM_EEESB_PlJ10is_orderedEEE10hipError_tPvRmT3_T4_T5_T6_T7_T9_mT8_P12ihipStream_tbDpT10_ENKUlT_T0_E_clISt17integral_constantIbLb0EES1B_IbLb1EEEEDaS17_S18_EUlS17_E_NS1_11comp_targetILNS1_3genE2ELNS1_11target_archE906ELNS1_3gpuE6ELNS1_3repE0EEENS1_30default_config_static_selectorELNS0_4arch9wavefront6targetE1EEEvT1_
	.globl	_ZN7rocprim17ROCPRIM_400000_NS6detail17trampoline_kernelINS0_14default_configENS1_25partition_config_selectorILNS1_17partition_subalgoE3EN6thrust23THRUST_200600_302600_NS5tupleIiiNS7_9null_typeES9_S9_S9_S9_S9_S9_S9_EENS0_10empty_typeEbEEZZNS1_14partition_implILS5_3ELb0ES3_jNS7_6detail15normal_iteratorINS7_7pointerISA_NS7_11hip_rocprim3tagENS7_11use_defaultESJ_EEEEPSB_SM_NS0_5tupleIJPSA_SM_EEENSN_IJSM_SM_EEESB_PlJ10is_orderedEEE10hipError_tPvRmT3_T4_T5_T6_T7_T9_mT8_P12ihipStream_tbDpT10_ENKUlT_T0_E_clISt17integral_constantIbLb0EES1B_IbLb1EEEEDaS17_S18_EUlS17_E_NS1_11comp_targetILNS1_3genE2ELNS1_11target_archE906ELNS1_3gpuE6ELNS1_3repE0EEENS1_30default_config_static_selectorELNS0_4arch9wavefront6targetE1EEEvT1_
	.p2align	8
	.type	_ZN7rocprim17ROCPRIM_400000_NS6detail17trampoline_kernelINS0_14default_configENS1_25partition_config_selectorILNS1_17partition_subalgoE3EN6thrust23THRUST_200600_302600_NS5tupleIiiNS7_9null_typeES9_S9_S9_S9_S9_S9_S9_EENS0_10empty_typeEbEEZZNS1_14partition_implILS5_3ELb0ES3_jNS7_6detail15normal_iteratorINS7_7pointerISA_NS7_11hip_rocprim3tagENS7_11use_defaultESJ_EEEEPSB_SM_NS0_5tupleIJPSA_SM_EEENSN_IJSM_SM_EEESB_PlJ10is_orderedEEE10hipError_tPvRmT3_T4_T5_T6_T7_T9_mT8_P12ihipStream_tbDpT10_ENKUlT_T0_E_clISt17integral_constantIbLb0EES1B_IbLb1EEEEDaS17_S18_EUlS17_E_NS1_11comp_targetILNS1_3genE2ELNS1_11target_archE906ELNS1_3gpuE6ELNS1_3repE0EEENS1_30default_config_static_selectorELNS0_4arch9wavefront6targetE1EEEvT1_,@function
_ZN7rocprim17ROCPRIM_400000_NS6detail17trampoline_kernelINS0_14default_configENS1_25partition_config_selectorILNS1_17partition_subalgoE3EN6thrust23THRUST_200600_302600_NS5tupleIiiNS7_9null_typeES9_S9_S9_S9_S9_S9_S9_EENS0_10empty_typeEbEEZZNS1_14partition_implILS5_3ELb0ES3_jNS7_6detail15normal_iteratorINS7_7pointerISA_NS7_11hip_rocprim3tagENS7_11use_defaultESJ_EEEEPSB_SM_NS0_5tupleIJPSA_SM_EEENSN_IJSM_SM_EEESB_PlJ10is_orderedEEE10hipError_tPvRmT3_T4_T5_T6_T7_T9_mT8_P12ihipStream_tbDpT10_ENKUlT_T0_E_clISt17integral_constantIbLb0EES1B_IbLb1EEEEDaS17_S18_EUlS17_E_NS1_11comp_targetILNS1_3genE2ELNS1_11target_archE906ELNS1_3gpuE6ELNS1_3repE0EEENS1_30default_config_static_selectorELNS0_4arch9wavefront6targetE1EEEvT1_: ; @_ZN7rocprim17ROCPRIM_400000_NS6detail17trampoline_kernelINS0_14default_configENS1_25partition_config_selectorILNS1_17partition_subalgoE3EN6thrust23THRUST_200600_302600_NS5tupleIiiNS7_9null_typeES9_S9_S9_S9_S9_S9_S9_EENS0_10empty_typeEbEEZZNS1_14partition_implILS5_3ELb0ES3_jNS7_6detail15normal_iteratorINS7_7pointerISA_NS7_11hip_rocprim3tagENS7_11use_defaultESJ_EEEEPSB_SM_NS0_5tupleIJPSA_SM_EEENSN_IJSM_SM_EEESB_PlJ10is_orderedEEE10hipError_tPvRmT3_T4_T5_T6_T7_T9_mT8_P12ihipStream_tbDpT10_ENKUlT_T0_E_clISt17integral_constantIbLb0EES1B_IbLb1EEEEDaS17_S18_EUlS17_E_NS1_11comp_targetILNS1_3genE2ELNS1_11target_archE906ELNS1_3gpuE6ELNS1_3repE0EEENS1_30default_config_static_selectorELNS0_4arch9wavefront6targetE1EEEvT1_
; %bb.0:
	.section	.rodata,"a",@progbits
	.p2align	6, 0x0
	.amdhsa_kernel _ZN7rocprim17ROCPRIM_400000_NS6detail17trampoline_kernelINS0_14default_configENS1_25partition_config_selectorILNS1_17partition_subalgoE3EN6thrust23THRUST_200600_302600_NS5tupleIiiNS7_9null_typeES9_S9_S9_S9_S9_S9_S9_EENS0_10empty_typeEbEEZZNS1_14partition_implILS5_3ELb0ES3_jNS7_6detail15normal_iteratorINS7_7pointerISA_NS7_11hip_rocprim3tagENS7_11use_defaultESJ_EEEEPSB_SM_NS0_5tupleIJPSA_SM_EEENSN_IJSM_SM_EEESB_PlJ10is_orderedEEE10hipError_tPvRmT3_T4_T5_T6_T7_T9_mT8_P12ihipStream_tbDpT10_ENKUlT_T0_E_clISt17integral_constantIbLb0EES1B_IbLb1EEEEDaS17_S18_EUlS17_E_NS1_11comp_targetILNS1_3genE2ELNS1_11target_archE906ELNS1_3gpuE6ELNS1_3repE0EEENS1_30default_config_static_selectorELNS0_4arch9wavefront6targetE1EEEvT1_
		.amdhsa_group_segment_fixed_size 0
		.amdhsa_private_segment_fixed_size 0
		.amdhsa_kernarg_size 136
		.amdhsa_user_sgpr_count 2
		.amdhsa_user_sgpr_dispatch_ptr 0
		.amdhsa_user_sgpr_queue_ptr 0
		.amdhsa_user_sgpr_kernarg_segment_ptr 1
		.amdhsa_user_sgpr_dispatch_id 0
		.amdhsa_user_sgpr_kernarg_preload_length 0
		.amdhsa_user_sgpr_kernarg_preload_offset 0
		.amdhsa_user_sgpr_private_segment_size 0
		.amdhsa_uses_dynamic_stack 0
		.amdhsa_enable_private_segment 0
		.amdhsa_system_sgpr_workgroup_id_x 1
		.amdhsa_system_sgpr_workgroup_id_y 0
		.amdhsa_system_sgpr_workgroup_id_z 0
		.amdhsa_system_sgpr_workgroup_info 0
		.amdhsa_system_vgpr_workitem_id 0
		.amdhsa_next_free_vgpr 1
		.amdhsa_next_free_sgpr 0
		.amdhsa_accum_offset 4
		.amdhsa_reserve_vcc 0
		.amdhsa_float_round_mode_32 0
		.amdhsa_float_round_mode_16_64 0
		.amdhsa_float_denorm_mode_32 3
		.amdhsa_float_denorm_mode_16_64 3
		.amdhsa_dx10_clamp 1
		.amdhsa_ieee_mode 1
		.amdhsa_fp16_overflow 0
		.amdhsa_tg_split 0
		.amdhsa_exception_fp_ieee_invalid_op 0
		.amdhsa_exception_fp_denorm_src 0
		.amdhsa_exception_fp_ieee_div_zero 0
		.amdhsa_exception_fp_ieee_overflow 0
		.amdhsa_exception_fp_ieee_underflow 0
		.amdhsa_exception_fp_ieee_inexact 0
		.amdhsa_exception_int_div_zero 0
	.end_amdhsa_kernel
	.section	.text._ZN7rocprim17ROCPRIM_400000_NS6detail17trampoline_kernelINS0_14default_configENS1_25partition_config_selectorILNS1_17partition_subalgoE3EN6thrust23THRUST_200600_302600_NS5tupleIiiNS7_9null_typeES9_S9_S9_S9_S9_S9_S9_EENS0_10empty_typeEbEEZZNS1_14partition_implILS5_3ELb0ES3_jNS7_6detail15normal_iteratorINS7_7pointerISA_NS7_11hip_rocprim3tagENS7_11use_defaultESJ_EEEEPSB_SM_NS0_5tupleIJPSA_SM_EEENSN_IJSM_SM_EEESB_PlJ10is_orderedEEE10hipError_tPvRmT3_T4_T5_T6_T7_T9_mT8_P12ihipStream_tbDpT10_ENKUlT_T0_E_clISt17integral_constantIbLb0EES1B_IbLb1EEEEDaS17_S18_EUlS17_E_NS1_11comp_targetILNS1_3genE2ELNS1_11target_archE906ELNS1_3gpuE6ELNS1_3repE0EEENS1_30default_config_static_selectorELNS0_4arch9wavefront6targetE1EEEvT1_,"axG",@progbits,_ZN7rocprim17ROCPRIM_400000_NS6detail17trampoline_kernelINS0_14default_configENS1_25partition_config_selectorILNS1_17partition_subalgoE3EN6thrust23THRUST_200600_302600_NS5tupleIiiNS7_9null_typeES9_S9_S9_S9_S9_S9_S9_EENS0_10empty_typeEbEEZZNS1_14partition_implILS5_3ELb0ES3_jNS7_6detail15normal_iteratorINS7_7pointerISA_NS7_11hip_rocprim3tagENS7_11use_defaultESJ_EEEEPSB_SM_NS0_5tupleIJPSA_SM_EEENSN_IJSM_SM_EEESB_PlJ10is_orderedEEE10hipError_tPvRmT3_T4_T5_T6_T7_T9_mT8_P12ihipStream_tbDpT10_ENKUlT_T0_E_clISt17integral_constantIbLb0EES1B_IbLb1EEEEDaS17_S18_EUlS17_E_NS1_11comp_targetILNS1_3genE2ELNS1_11target_archE906ELNS1_3gpuE6ELNS1_3repE0EEENS1_30default_config_static_selectorELNS0_4arch9wavefront6targetE1EEEvT1_,comdat
.Lfunc_end3520:
	.size	_ZN7rocprim17ROCPRIM_400000_NS6detail17trampoline_kernelINS0_14default_configENS1_25partition_config_selectorILNS1_17partition_subalgoE3EN6thrust23THRUST_200600_302600_NS5tupleIiiNS7_9null_typeES9_S9_S9_S9_S9_S9_S9_EENS0_10empty_typeEbEEZZNS1_14partition_implILS5_3ELb0ES3_jNS7_6detail15normal_iteratorINS7_7pointerISA_NS7_11hip_rocprim3tagENS7_11use_defaultESJ_EEEEPSB_SM_NS0_5tupleIJPSA_SM_EEENSN_IJSM_SM_EEESB_PlJ10is_orderedEEE10hipError_tPvRmT3_T4_T5_T6_T7_T9_mT8_P12ihipStream_tbDpT10_ENKUlT_T0_E_clISt17integral_constantIbLb0EES1B_IbLb1EEEEDaS17_S18_EUlS17_E_NS1_11comp_targetILNS1_3genE2ELNS1_11target_archE906ELNS1_3gpuE6ELNS1_3repE0EEENS1_30default_config_static_selectorELNS0_4arch9wavefront6targetE1EEEvT1_, .Lfunc_end3520-_ZN7rocprim17ROCPRIM_400000_NS6detail17trampoline_kernelINS0_14default_configENS1_25partition_config_selectorILNS1_17partition_subalgoE3EN6thrust23THRUST_200600_302600_NS5tupleIiiNS7_9null_typeES9_S9_S9_S9_S9_S9_S9_EENS0_10empty_typeEbEEZZNS1_14partition_implILS5_3ELb0ES3_jNS7_6detail15normal_iteratorINS7_7pointerISA_NS7_11hip_rocprim3tagENS7_11use_defaultESJ_EEEEPSB_SM_NS0_5tupleIJPSA_SM_EEENSN_IJSM_SM_EEESB_PlJ10is_orderedEEE10hipError_tPvRmT3_T4_T5_T6_T7_T9_mT8_P12ihipStream_tbDpT10_ENKUlT_T0_E_clISt17integral_constantIbLb0EES1B_IbLb1EEEEDaS17_S18_EUlS17_E_NS1_11comp_targetILNS1_3genE2ELNS1_11target_archE906ELNS1_3gpuE6ELNS1_3repE0EEENS1_30default_config_static_selectorELNS0_4arch9wavefront6targetE1EEEvT1_
                                        ; -- End function
	.section	.AMDGPU.csdata,"",@progbits
; Kernel info:
; codeLenInByte = 0
; NumSgprs: 6
; NumVgprs: 0
; NumAgprs: 0
; TotalNumVgprs: 0
; ScratchSize: 0
; MemoryBound: 0
; FloatMode: 240
; IeeeMode: 1
; LDSByteSize: 0 bytes/workgroup (compile time only)
; SGPRBlocks: 0
; VGPRBlocks: 0
; NumSGPRsForWavesPerEU: 6
; NumVGPRsForWavesPerEU: 1
; AccumOffset: 4
; Occupancy: 8
; WaveLimiterHint : 0
; COMPUTE_PGM_RSRC2:SCRATCH_EN: 0
; COMPUTE_PGM_RSRC2:USER_SGPR: 2
; COMPUTE_PGM_RSRC2:TRAP_HANDLER: 0
; COMPUTE_PGM_RSRC2:TGID_X_EN: 1
; COMPUTE_PGM_RSRC2:TGID_Y_EN: 0
; COMPUTE_PGM_RSRC2:TGID_Z_EN: 0
; COMPUTE_PGM_RSRC2:TIDIG_COMP_CNT: 0
; COMPUTE_PGM_RSRC3_GFX90A:ACCUM_OFFSET: 0
; COMPUTE_PGM_RSRC3_GFX90A:TG_SPLIT: 0
	.section	.text._ZN7rocprim17ROCPRIM_400000_NS6detail17trampoline_kernelINS0_14default_configENS1_25partition_config_selectorILNS1_17partition_subalgoE3EN6thrust23THRUST_200600_302600_NS5tupleIiiNS7_9null_typeES9_S9_S9_S9_S9_S9_S9_EENS0_10empty_typeEbEEZZNS1_14partition_implILS5_3ELb0ES3_jNS7_6detail15normal_iteratorINS7_7pointerISA_NS7_11hip_rocprim3tagENS7_11use_defaultESJ_EEEEPSB_SM_NS0_5tupleIJPSA_SM_EEENSN_IJSM_SM_EEESB_PlJ10is_orderedEEE10hipError_tPvRmT3_T4_T5_T6_T7_T9_mT8_P12ihipStream_tbDpT10_ENKUlT_T0_E_clISt17integral_constantIbLb0EES1B_IbLb1EEEEDaS17_S18_EUlS17_E_NS1_11comp_targetILNS1_3genE10ELNS1_11target_archE1200ELNS1_3gpuE4ELNS1_3repE0EEENS1_30default_config_static_selectorELNS0_4arch9wavefront6targetE1EEEvT1_,"axG",@progbits,_ZN7rocprim17ROCPRIM_400000_NS6detail17trampoline_kernelINS0_14default_configENS1_25partition_config_selectorILNS1_17partition_subalgoE3EN6thrust23THRUST_200600_302600_NS5tupleIiiNS7_9null_typeES9_S9_S9_S9_S9_S9_S9_EENS0_10empty_typeEbEEZZNS1_14partition_implILS5_3ELb0ES3_jNS7_6detail15normal_iteratorINS7_7pointerISA_NS7_11hip_rocprim3tagENS7_11use_defaultESJ_EEEEPSB_SM_NS0_5tupleIJPSA_SM_EEENSN_IJSM_SM_EEESB_PlJ10is_orderedEEE10hipError_tPvRmT3_T4_T5_T6_T7_T9_mT8_P12ihipStream_tbDpT10_ENKUlT_T0_E_clISt17integral_constantIbLb0EES1B_IbLb1EEEEDaS17_S18_EUlS17_E_NS1_11comp_targetILNS1_3genE10ELNS1_11target_archE1200ELNS1_3gpuE4ELNS1_3repE0EEENS1_30default_config_static_selectorELNS0_4arch9wavefront6targetE1EEEvT1_,comdat
	.protected	_ZN7rocprim17ROCPRIM_400000_NS6detail17trampoline_kernelINS0_14default_configENS1_25partition_config_selectorILNS1_17partition_subalgoE3EN6thrust23THRUST_200600_302600_NS5tupleIiiNS7_9null_typeES9_S9_S9_S9_S9_S9_S9_EENS0_10empty_typeEbEEZZNS1_14partition_implILS5_3ELb0ES3_jNS7_6detail15normal_iteratorINS7_7pointerISA_NS7_11hip_rocprim3tagENS7_11use_defaultESJ_EEEEPSB_SM_NS0_5tupleIJPSA_SM_EEENSN_IJSM_SM_EEESB_PlJ10is_orderedEEE10hipError_tPvRmT3_T4_T5_T6_T7_T9_mT8_P12ihipStream_tbDpT10_ENKUlT_T0_E_clISt17integral_constantIbLb0EES1B_IbLb1EEEEDaS17_S18_EUlS17_E_NS1_11comp_targetILNS1_3genE10ELNS1_11target_archE1200ELNS1_3gpuE4ELNS1_3repE0EEENS1_30default_config_static_selectorELNS0_4arch9wavefront6targetE1EEEvT1_ ; -- Begin function _ZN7rocprim17ROCPRIM_400000_NS6detail17trampoline_kernelINS0_14default_configENS1_25partition_config_selectorILNS1_17partition_subalgoE3EN6thrust23THRUST_200600_302600_NS5tupleIiiNS7_9null_typeES9_S9_S9_S9_S9_S9_S9_EENS0_10empty_typeEbEEZZNS1_14partition_implILS5_3ELb0ES3_jNS7_6detail15normal_iteratorINS7_7pointerISA_NS7_11hip_rocprim3tagENS7_11use_defaultESJ_EEEEPSB_SM_NS0_5tupleIJPSA_SM_EEENSN_IJSM_SM_EEESB_PlJ10is_orderedEEE10hipError_tPvRmT3_T4_T5_T6_T7_T9_mT8_P12ihipStream_tbDpT10_ENKUlT_T0_E_clISt17integral_constantIbLb0EES1B_IbLb1EEEEDaS17_S18_EUlS17_E_NS1_11comp_targetILNS1_3genE10ELNS1_11target_archE1200ELNS1_3gpuE4ELNS1_3repE0EEENS1_30default_config_static_selectorELNS0_4arch9wavefront6targetE1EEEvT1_
	.globl	_ZN7rocprim17ROCPRIM_400000_NS6detail17trampoline_kernelINS0_14default_configENS1_25partition_config_selectorILNS1_17partition_subalgoE3EN6thrust23THRUST_200600_302600_NS5tupleIiiNS7_9null_typeES9_S9_S9_S9_S9_S9_S9_EENS0_10empty_typeEbEEZZNS1_14partition_implILS5_3ELb0ES3_jNS7_6detail15normal_iteratorINS7_7pointerISA_NS7_11hip_rocprim3tagENS7_11use_defaultESJ_EEEEPSB_SM_NS0_5tupleIJPSA_SM_EEENSN_IJSM_SM_EEESB_PlJ10is_orderedEEE10hipError_tPvRmT3_T4_T5_T6_T7_T9_mT8_P12ihipStream_tbDpT10_ENKUlT_T0_E_clISt17integral_constantIbLb0EES1B_IbLb1EEEEDaS17_S18_EUlS17_E_NS1_11comp_targetILNS1_3genE10ELNS1_11target_archE1200ELNS1_3gpuE4ELNS1_3repE0EEENS1_30default_config_static_selectorELNS0_4arch9wavefront6targetE1EEEvT1_
	.p2align	8
	.type	_ZN7rocprim17ROCPRIM_400000_NS6detail17trampoline_kernelINS0_14default_configENS1_25partition_config_selectorILNS1_17partition_subalgoE3EN6thrust23THRUST_200600_302600_NS5tupleIiiNS7_9null_typeES9_S9_S9_S9_S9_S9_S9_EENS0_10empty_typeEbEEZZNS1_14partition_implILS5_3ELb0ES3_jNS7_6detail15normal_iteratorINS7_7pointerISA_NS7_11hip_rocprim3tagENS7_11use_defaultESJ_EEEEPSB_SM_NS0_5tupleIJPSA_SM_EEENSN_IJSM_SM_EEESB_PlJ10is_orderedEEE10hipError_tPvRmT3_T4_T5_T6_T7_T9_mT8_P12ihipStream_tbDpT10_ENKUlT_T0_E_clISt17integral_constantIbLb0EES1B_IbLb1EEEEDaS17_S18_EUlS17_E_NS1_11comp_targetILNS1_3genE10ELNS1_11target_archE1200ELNS1_3gpuE4ELNS1_3repE0EEENS1_30default_config_static_selectorELNS0_4arch9wavefront6targetE1EEEvT1_,@function
_ZN7rocprim17ROCPRIM_400000_NS6detail17trampoline_kernelINS0_14default_configENS1_25partition_config_selectorILNS1_17partition_subalgoE3EN6thrust23THRUST_200600_302600_NS5tupleIiiNS7_9null_typeES9_S9_S9_S9_S9_S9_S9_EENS0_10empty_typeEbEEZZNS1_14partition_implILS5_3ELb0ES3_jNS7_6detail15normal_iteratorINS7_7pointerISA_NS7_11hip_rocprim3tagENS7_11use_defaultESJ_EEEEPSB_SM_NS0_5tupleIJPSA_SM_EEENSN_IJSM_SM_EEESB_PlJ10is_orderedEEE10hipError_tPvRmT3_T4_T5_T6_T7_T9_mT8_P12ihipStream_tbDpT10_ENKUlT_T0_E_clISt17integral_constantIbLb0EES1B_IbLb1EEEEDaS17_S18_EUlS17_E_NS1_11comp_targetILNS1_3genE10ELNS1_11target_archE1200ELNS1_3gpuE4ELNS1_3repE0EEENS1_30default_config_static_selectorELNS0_4arch9wavefront6targetE1EEEvT1_: ; @_ZN7rocprim17ROCPRIM_400000_NS6detail17trampoline_kernelINS0_14default_configENS1_25partition_config_selectorILNS1_17partition_subalgoE3EN6thrust23THRUST_200600_302600_NS5tupleIiiNS7_9null_typeES9_S9_S9_S9_S9_S9_S9_EENS0_10empty_typeEbEEZZNS1_14partition_implILS5_3ELb0ES3_jNS7_6detail15normal_iteratorINS7_7pointerISA_NS7_11hip_rocprim3tagENS7_11use_defaultESJ_EEEEPSB_SM_NS0_5tupleIJPSA_SM_EEENSN_IJSM_SM_EEESB_PlJ10is_orderedEEE10hipError_tPvRmT3_T4_T5_T6_T7_T9_mT8_P12ihipStream_tbDpT10_ENKUlT_T0_E_clISt17integral_constantIbLb0EES1B_IbLb1EEEEDaS17_S18_EUlS17_E_NS1_11comp_targetILNS1_3genE10ELNS1_11target_archE1200ELNS1_3gpuE4ELNS1_3repE0EEENS1_30default_config_static_selectorELNS0_4arch9wavefront6targetE1EEEvT1_
; %bb.0:
	.section	.rodata,"a",@progbits
	.p2align	6, 0x0
	.amdhsa_kernel _ZN7rocprim17ROCPRIM_400000_NS6detail17trampoline_kernelINS0_14default_configENS1_25partition_config_selectorILNS1_17partition_subalgoE3EN6thrust23THRUST_200600_302600_NS5tupleIiiNS7_9null_typeES9_S9_S9_S9_S9_S9_S9_EENS0_10empty_typeEbEEZZNS1_14partition_implILS5_3ELb0ES3_jNS7_6detail15normal_iteratorINS7_7pointerISA_NS7_11hip_rocprim3tagENS7_11use_defaultESJ_EEEEPSB_SM_NS0_5tupleIJPSA_SM_EEENSN_IJSM_SM_EEESB_PlJ10is_orderedEEE10hipError_tPvRmT3_T4_T5_T6_T7_T9_mT8_P12ihipStream_tbDpT10_ENKUlT_T0_E_clISt17integral_constantIbLb0EES1B_IbLb1EEEEDaS17_S18_EUlS17_E_NS1_11comp_targetILNS1_3genE10ELNS1_11target_archE1200ELNS1_3gpuE4ELNS1_3repE0EEENS1_30default_config_static_selectorELNS0_4arch9wavefront6targetE1EEEvT1_
		.amdhsa_group_segment_fixed_size 0
		.amdhsa_private_segment_fixed_size 0
		.amdhsa_kernarg_size 136
		.amdhsa_user_sgpr_count 2
		.amdhsa_user_sgpr_dispatch_ptr 0
		.amdhsa_user_sgpr_queue_ptr 0
		.amdhsa_user_sgpr_kernarg_segment_ptr 1
		.amdhsa_user_sgpr_dispatch_id 0
		.amdhsa_user_sgpr_kernarg_preload_length 0
		.amdhsa_user_sgpr_kernarg_preload_offset 0
		.amdhsa_user_sgpr_private_segment_size 0
		.amdhsa_uses_dynamic_stack 0
		.amdhsa_enable_private_segment 0
		.amdhsa_system_sgpr_workgroup_id_x 1
		.amdhsa_system_sgpr_workgroup_id_y 0
		.amdhsa_system_sgpr_workgroup_id_z 0
		.amdhsa_system_sgpr_workgroup_info 0
		.amdhsa_system_vgpr_workitem_id 0
		.amdhsa_next_free_vgpr 1
		.amdhsa_next_free_sgpr 0
		.amdhsa_accum_offset 4
		.amdhsa_reserve_vcc 0
		.amdhsa_float_round_mode_32 0
		.amdhsa_float_round_mode_16_64 0
		.amdhsa_float_denorm_mode_32 3
		.amdhsa_float_denorm_mode_16_64 3
		.amdhsa_dx10_clamp 1
		.amdhsa_ieee_mode 1
		.amdhsa_fp16_overflow 0
		.amdhsa_tg_split 0
		.amdhsa_exception_fp_ieee_invalid_op 0
		.amdhsa_exception_fp_denorm_src 0
		.amdhsa_exception_fp_ieee_div_zero 0
		.amdhsa_exception_fp_ieee_overflow 0
		.amdhsa_exception_fp_ieee_underflow 0
		.amdhsa_exception_fp_ieee_inexact 0
		.amdhsa_exception_int_div_zero 0
	.end_amdhsa_kernel
	.section	.text._ZN7rocprim17ROCPRIM_400000_NS6detail17trampoline_kernelINS0_14default_configENS1_25partition_config_selectorILNS1_17partition_subalgoE3EN6thrust23THRUST_200600_302600_NS5tupleIiiNS7_9null_typeES9_S9_S9_S9_S9_S9_S9_EENS0_10empty_typeEbEEZZNS1_14partition_implILS5_3ELb0ES3_jNS7_6detail15normal_iteratorINS7_7pointerISA_NS7_11hip_rocprim3tagENS7_11use_defaultESJ_EEEEPSB_SM_NS0_5tupleIJPSA_SM_EEENSN_IJSM_SM_EEESB_PlJ10is_orderedEEE10hipError_tPvRmT3_T4_T5_T6_T7_T9_mT8_P12ihipStream_tbDpT10_ENKUlT_T0_E_clISt17integral_constantIbLb0EES1B_IbLb1EEEEDaS17_S18_EUlS17_E_NS1_11comp_targetILNS1_3genE10ELNS1_11target_archE1200ELNS1_3gpuE4ELNS1_3repE0EEENS1_30default_config_static_selectorELNS0_4arch9wavefront6targetE1EEEvT1_,"axG",@progbits,_ZN7rocprim17ROCPRIM_400000_NS6detail17trampoline_kernelINS0_14default_configENS1_25partition_config_selectorILNS1_17partition_subalgoE3EN6thrust23THRUST_200600_302600_NS5tupleIiiNS7_9null_typeES9_S9_S9_S9_S9_S9_S9_EENS0_10empty_typeEbEEZZNS1_14partition_implILS5_3ELb0ES3_jNS7_6detail15normal_iteratorINS7_7pointerISA_NS7_11hip_rocprim3tagENS7_11use_defaultESJ_EEEEPSB_SM_NS0_5tupleIJPSA_SM_EEENSN_IJSM_SM_EEESB_PlJ10is_orderedEEE10hipError_tPvRmT3_T4_T5_T6_T7_T9_mT8_P12ihipStream_tbDpT10_ENKUlT_T0_E_clISt17integral_constantIbLb0EES1B_IbLb1EEEEDaS17_S18_EUlS17_E_NS1_11comp_targetILNS1_3genE10ELNS1_11target_archE1200ELNS1_3gpuE4ELNS1_3repE0EEENS1_30default_config_static_selectorELNS0_4arch9wavefront6targetE1EEEvT1_,comdat
.Lfunc_end3521:
	.size	_ZN7rocprim17ROCPRIM_400000_NS6detail17trampoline_kernelINS0_14default_configENS1_25partition_config_selectorILNS1_17partition_subalgoE3EN6thrust23THRUST_200600_302600_NS5tupleIiiNS7_9null_typeES9_S9_S9_S9_S9_S9_S9_EENS0_10empty_typeEbEEZZNS1_14partition_implILS5_3ELb0ES3_jNS7_6detail15normal_iteratorINS7_7pointerISA_NS7_11hip_rocprim3tagENS7_11use_defaultESJ_EEEEPSB_SM_NS0_5tupleIJPSA_SM_EEENSN_IJSM_SM_EEESB_PlJ10is_orderedEEE10hipError_tPvRmT3_T4_T5_T6_T7_T9_mT8_P12ihipStream_tbDpT10_ENKUlT_T0_E_clISt17integral_constantIbLb0EES1B_IbLb1EEEEDaS17_S18_EUlS17_E_NS1_11comp_targetILNS1_3genE10ELNS1_11target_archE1200ELNS1_3gpuE4ELNS1_3repE0EEENS1_30default_config_static_selectorELNS0_4arch9wavefront6targetE1EEEvT1_, .Lfunc_end3521-_ZN7rocprim17ROCPRIM_400000_NS6detail17trampoline_kernelINS0_14default_configENS1_25partition_config_selectorILNS1_17partition_subalgoE3EN6thrust23THRUST_200600_302600_NS5tupleIiiNS7_9null_typeES9_S9_S9_S9_S9_S9_S9_EENS0_10empty_typeEbEEZZNS1_14partition_implILS5_3ELb0ES3_jNS7_6detail15normal_iteratorINS7_7pointerISA_NS7_11hip_rocprim3tagENS7_11use_defaultESJ_EEEEPSB_SM_NS0_5tupleIJPSA_SM_EEENSN_IJSM_SM_EEESB_PlJ10is_orderedEEE10hipError_tPvRmT3_T4_T5_T6_T7_T9_mT8_P12ihipStream_tbDpT10_ENKUlT_T0_E_clISt17integral_constantIbLb0EES1B_IbLb1EEEEDaS17_S18_EUlS17_E_NS1_11comp_targetILNS1_3genE10ELNS1_11target_archE1200ELNS1_3gpuE4ELNS1_3repE0EEENS1_30default_config_static_selectorELNS0_4arch9wavefront6targetE1EEEvT1_
                                        ; -- End function
	.section	.AMDGPU.csdata,"",@progbits
; Kernel info:
; codeLenInByte = 0
; NumSgprs: 6
; NumVgprs: 0
; NumAgprs: 0
; TotalNumVgprs: 0
; ScratchSize: 0
; MemoryBound: 0
; FloatMode: 240
; IeeeMode: 1
; LDSByteSize: 0 bytes/workgroup (compile time only)
; SGPRBlocks: 0
; VGPRBlocks: 0
; NumSGPRsForWavesPerEU: 6
; NumVGPRsForWavesPerEU: 1
; AccumOffset: 4
; Occupancy: 8
; WaveLimiterHint : 0
; COMPUTE_PGM_RSRC2:SCRATCH_EN: 0
; COMPUTE_PGM_RSRC2:USER_SGPR: 2
; COMPUTE_PGM_RSRC2:TRAP_HANDLER: 0
; COMPUTE_PGM_RSRC2:TGID_X_EN: 1
; COMPUTE_PGM_RSRC2:TGID_Y_EN: 0
; COMPUTE_PGM_RSRC2:TGID_Z_EN: 0
; COMPUTE_PGM_RSRC2:TIDIG_COMP_CNT: 0
; COMPUTE_PGM_RSRC3_GFX90A:ACCUM_OFFSET: 0
; COMPUTE_PGM_RSRC3_GFX90A:TG_SPLIT: 0
	.section	.text._ZN7rocprim17ROCPRIM_400000_NS6detail17trampoline_kernelINS0_14default_configENS1_25partition_config_selectorILNS1_17partition_subalgoE3EN6thrust23THRUST_200600_302600_NS5tupleIiiNS7_9null_typeES9_S9_S9_S9_S9_S9_S9_EENS0_10empty_typeEbEEZZNS1_14partition_implILS5_3ELb0ES3_jNS7_6detail15normal_iteratorINS7_7pointerISA_NS7_11hip_rocprim3tagENS7_11use_defaultESJ_EEEEPSB_SM_NS0_5tupleIJPSA_SM_EEENSN_IJSM_SM_EEESB_PlJ10is_orderedEEE10hipError_tPvRmT3_T4_T5_T6_T7_T9_mT8_P12ihipStream_tbDpT10_ENKUlT_T0_E_clISt17integral_constantIbLb0EES1B_IbLb1EEEEDaS17_S18_EUlS17_E_NS1_11comp_targetILNS1_3genE9ELNS1_11target_archE1100ELNS1_3gpuE3ELNS1_3repE0EEENS1_30default_config_static_selectorELNS0_4arch9wavefront6targetE1EEEvT1_,"axG",@progbits,_ZN7rocprim17ROCPRIM_400000_NS6detail17trampoline_kernelINS0_14default_configENS1_25partition_config_selectorILNS1_17partition_subalgoE3EN6thrust23THRUST_200600_302600_NS5tupleIiiNS7_9null_typeES9_S9_S9_S9_S9_S9_S9_EENS0_10empty_typeEbEEZZNS1_14partition_implILS5_3ELb0ES3_jNS7_6detail15normal_iteratorINS7_7pointerISA_NS7_11hip_rocprim3tagENS7_11use_defaultESJ_EEEEPSB_SM_NS0_5tupleIJPSA_SM_EEENSN_IJSM_SM_EEESB_PlJ10is_orderedEEE10hipError_tPvRmT3_T4_T5_T6_T7_T9_mT8_P12ihipStream_tbDpT10_ENKUlT_T0_E_clISt17integral_constantIbLb0EES1B_IbLb1EEEEDaS17_S18_EUlS17_E_NS1_11comp_targetILNS1_3genE9ELNS1_11target_archE1100ELNS1_3gpuE3ELNS1_3repE0EEENS1_30default_config_static_selectorELNS0_4arch9wavefront6targetE1EEEvT1_,comdat
	.protected	_ZN7rocprim17ROCPRIM_400000_NS6detail17trampoline_kernelINS0_14default_configENS1_25partition_config_selectorILNS1_17partition_subalgoE3EN6thrust23THRUST_200600_302600_NS5tupleIiiNS7_9null_typeES9_S9_S9_S9_S9_S9_S9_EENS0_10empty_typeEbEEZZNS1_14partition_implILS5_3ELb0ES3_jNS7_6detail15normal_iteratorINS7_7pointerISA_NS7_11hip_rocprim3tagENS7_11use_defaultESJ_EEEEPSB_SM_NS0_5tupleIJPSA_SM_EEENSN_IJSM_SM_EEESB_PlJ10is_orderedEEE10hipError_tPvRmT3_T4_T5_T6_T7_T9_mT8_P12ihipStream_tbDpT10_ENKUlT_T0_E_clISt17integral_constantIbLb0EES1B_IbLb1EEEEDaS17_S18_EUlS17_E_NS1_11comp_targetILNS1_3genE9ELNS1_11target_archE1100ELNS1_3gpuE3ELNS1_3repE0EEENS1_30default_config_static_selectorELNS0_4arch9wavefront6targetE1EEEvT1_ ; -- Begin function _ZN7rocprim17ROCPRIM_400000_NS6detail17trampoline_kernelINS0_14default_configENS1_25partition_config_selectorILNS1_17partition_subalgoE3EN6thrust23THRUST_200600_302600_NS5tupleIiiNS7_9null_typeES9_S9_S9_S9_S9_S9_S9_EENS0_10empty_typeEbEEZZNS1_14partition_implILS5_3ELb0ES3_jNS7_6detail15normal_iteratorINS7_7pointerISA_NS7_11hip_rocprim3tagENS7_11use_defaultESJ_EEEEPSB_SM_NS0_5tupleIJPSA_SM_EEENSN_IJSM_SM_EEESB_PlJ10is_orderedEEE10hipError_tPvRmT3_T4_T5_T6_T7_T9_mT8_P12ihipStream_tbDpT10_ENKUlT_T0_E_clISt17integral_constantIbLb0EES1B_IbLb1EEEEDaS17_S18_EUlS17_E_NS1_11comp_targetILNS1_3genE9ELNS1_11target_archE1100ELNS1_3gpuE3ELNS1_3repE0EEENS1_30default_config_static_selectorELNS0_4arch9wavefront6targetE1EEEvT1_
	.globl	_ZN7rocprim17ROCPRIM_400000_NS6detail17trampoline_kernelINS0_14default_configENS1_25partition_config_selectorILNS1_17partition_subalgoE3EN6thrust23THRUST_200600_302600_NS5tupleIiiNS7_9null_typeES9_S9_S9_S9_S9_S9_S9_EENS0_10empty_typeEbEEZZNS1_14partition_implILS5_3ELb0ES3_jNS7_6detail15normal_iteratorINS7_7pointerISA_NS7_11hip_rocprim3tagENS7_11use_defaultESJ_EEEEPSB_SM_NS0_5tupleIJPSA_SM_EEENSN_IJSM_SM_EEESB_PlJ10is_orderedEEE10hipError_tPvRmT3_T4_T5_T6_T7_T9_mT8_P12ihipStream_tbDpT10_ENKUlT_T0_E_clISt17integral_constantIbLb0EES1B_IbLb1EEEEDaS17_S18_EUlS17_E_NS1_11comp_targetILNS1_3genE9ELNS1_11target_archE1100ELNS1_3gpuE3ELNS1_3repE0EEENS1_30default_config_static_selectorELNS0_4arch9wavefront6targetE1EEEvT1_
	.p2align	8
	.type	_ZN7rocprim17ROCPRIM_400000_NS6detail17trampoline_kernelINS0_14default_configENS1_25partition_config_selectorILNS1_17partition_subalgoE3EN6thrust23THRUST_200600_302600_NS5tupleIiiNS7_9null_typeES9_S9_S9_S9_S9_S9_S9_EENS0_10empty_typeEbEEZZNS1_14partition_implILS5_3ELb0ES3_jNS7_6detail15normal_iteratorINS7_7pointerISA_NS7_11hip_rocprim3tagENS7_11use_defaultESJ_EEEEPSB_SM_NS0_5tupleIJPSA_SM_EEENSN_IJSM_SM_EEESB_PlJ10is_orderedEEE10hipError_tPvRmT3_T4_T5_T6_T7_T9_mT8_P12ihipStream_tbDpT10_ENKUlT_T0_E_clISt17integral_constantIbLb0EES1B_IbLb1EEEEDaS17_S18_EUlS17_E_NS1_11comp_targetILNS1_3genE9ELNS1_11target_archE1100ELNS1_3gpuE3ELNS1_3repE0EEENS1_30default_config_static_selectorELNS0_4arch9wavefront6targetE1EEEvT1_,@function
_ZN7rocprim17ROCPRIM_400000_NS6detail17trampoline_kernelINS0_14default_configENS1_25partition_config_selectorILNS1_17partition_subalgoE3EN6thrust23THRUST_200600_302600_NS5tupleIiiNS7_9null_typeES9_S9_S9_S9_S9_S9_S9_EENS0_10empty_typeEbEEZZNS1_14partition_implILS5_3ELb0ES3_jNS7_6detail15normal_iteratorINS7_7pointerISA_NS7_11hip_rocprim3tagENS7_11use_defaultESJ_EEEEPSB_SM_NS0_5tupleIJPSA_SM_EEENSN_IJSM_SM_EEESB_PlJ10is_orderedEEE10hipError_tPvRmT3_T4_T5_T6_T7_T9_mT8_P12ihipStream_tbDpT10_ENKUlT_T0_E_clISt17integral_constantIbLb0EES1B_IbLb1EEEEDaS17_S18_EUlS17_E_NS1_11comp_targetILNS1_3genE9ELNS1_11target_archE1100ELNS1_3gpuE3ELNS1_3repE0EEENS1_30default_config_static_selectorELNS0_4arch9wavefront6targetE1EEEvT1_: ; @_ZN7rocprim17ROCPRIM_400000_NS6detail17trampoline_kernelINS0_14default_configENS1_25partition_config_selectorILNS1_17partition_subalgoE3EN6thrust23THRUST_200600_302600_NS5tupleIiiNS7_9null_typeES9_S9_S9_S9_S9_S9_S9_EENS0_10empty_typeEbEEZZNS1_14partition_implILS5_3ELb0ES3_jNS7_6detail15normal_iteratorINS7_7pointerISA_NS7_11hip_rocprim3tagENS7_11use_defaultESJ_EEEEPSB_SM_NS0_5tupleIJPSA_SM_EEENSN_IJSM_SM_EEESB_PlJ10is_orderedEEE10hipError_tPvRmT3_T4_T5_T6_T7_T9_mT8_P12ihipStream_tbDpT10_ENKUlT_T0_E_clISt17integral_constantIbLb0EES1B_IbLb1EEEEDaS17_S18_EUlS17_E_NS1_11comp_targetILNS1_3genE9ELNS1_11target_archE1100ELNS1_3gpuE3ELNS1_3repE0EEENS1_30default_config_static_selectorELNS0_4arch9wavefront6targetE1EEEvT1_
; %bb.0:
	.section	.rodata,"a",@progbits
	.p2align	6, 0x0
	.amdhsa_kernel _ZN7rocprim17ROCPRIM_400000_NS6detail17trampoline_kernelINS0_14default_configENS1_25partition_config_selectorILNS1_17partition_subalgoE3EN6thrust23THRUST_200600_302600_NS5tupleIiiNS7_9null_typeES9_S9_S9_S9_S9_S9_S9_EENS0_10empty_typeEbEEZZNS1_14partition_implILS5_3ELb0ES3_jNS7_6detail15normal_iteratorINS7_7pointerISA_NS7_11hip_rocprim3tagENS7_11use_defaultESJ_EEEEPSB_SM_NS0_5tupleIJPSA_SM_EEENSN_IJSM_SM_EEESB_PlJ10is_orderedEEE10hipError_tPvRmT3_T4_T5_T6_T7_T9_mT8_P12ihipStream_tbDpT10_ENKUlT_T0_E_clISt17integral_constantIbLb0EES1B_IbLb1EEEEDaS17_S18_EUlS17_E_NS1_11comp_targetILNS1_3genE9ELNS1_11target_archE1100ELNS1_3gpuE3ELNS1_3repE0EEENS1_30default_config_static_selectorELNS0_4arch9wavefront6targetE1EEEvT1_
		.amdhsa_group_segment_fixed_size 0
		.amdhsa_private_segment_fixed_size 0
		.amdhsa_kernarg_size 136
		.amdhsa_user_sgpr_count 2
		.amdhsa_user_sgpr_dispatch_ptr 0
		.amdhsa_user_sgpr_queue_ptr 0
		.amdhsa_user_sgpr_kernarg_segment_ptr 1
		.amdhsa_user_sgpr_dispatch_id 0
		.amdhsa_user_sgpr_kernarg_preload_length 0
		.amdhsa_user_sgpr_kernarg_preload_offset 0
		.amdhsa_user_sgpr_private_segment_size 0
		.amdhsa_uses_dynamic_stack 0
		.amdhsa_enable_private_segment 0
		.amdhsa_system_sgpr_workgroup_id_x 1
		.amdhsa_system_sgpr_workgroup_id_y 0
		.amdhsa_system_sgpr_workgroup_id_z 0
		.amdhsa_system_sgpr_workgroup_info 0
		.amdhsa_system_vgpr_workitem_id 0
		.amdhsa_next_free_vgpr 1
		.amdhsa_next_free_sgpr 0
		.amdhsa_accum_offset 4
		.amdhsa_reserve_vcc 0
		.amdhsa_float_round_mode_32 0
		.amdhsa_float_round_mode_16_64 0
		.amdhsa_float_denorm_mode_32 3
		.amdhsa_float_denorm_mode_16_64 3
		.amdhsa_dx10_clamp 1
		.amdhsa_ieee_mode 1
		.amdhsa_fp16_overflow 0
		.amdhsa_tg_split 0
		.amdhsa_exception_fp_ieee_invalid_op 0
		.amdhsa_exception_fp_denorm_src 0
		.amdhsa_exception_fp_ieee_div_zero 0
		.amdhsa_exception_fp_ieee_overflow 0
		.amdhsa_exception_fp_ieee_underflow 0
		.amdhsa_exception_fp_ieee_inexact 0
		.amdhsa_exception_int_div_zero 0
	.end_amdhsa_kernel
	.section	.text._ZN7rocprim17ROCPRIM_400000_NS6detail17trampoline_kernelINS0_14default_configENS1_25partition_config_selectorILNS1_17partition_subalgoE3EN6thrust23THRUST_200600_302600_NS5tupleIiiNS7_9null_typeES9_S9_S9_S9_S9_S9_S9_EENS0_10empty_typeEbEEZZNS1_14partition_implILS5_3ELb0ES3_jNS7_6detail15normal_iteratorINS7_7pointerISA_NS7_11hip_rocprim3tagENS7_11use_defaultESJ_EEEEPSB_SM_NS0_5tupleIJPSA_SM_EEENSN_IJSM_SM_EEESB_PlJ10is_orderedEEE10hipError_tPvRmT3_T4_T5_T6_T7_T9_mT8_P12ihipStream_tbDpT10_ENKUlT_T0_E_clISt17integral_constantIbLb0EES1B_IbLb1EEEEDaS17_S18_EUlS17_E_NS1_11comp_targetILNS1_3genE9ELNS1_11target_archE1100ELNS1_3gpuE3ELNS1_3repE0EEENS1_30default_config_static_selectorELNS0_4arch9wavefront6targetE1EEEvT1_,"axG",@progbits,_ZN7rocprim17ROCPRIM_400000_NS6detail17trampoline_kernelINS0_14default_configENS1_25partition_config_selectorILNS1_17partition_subalgoE3EN6thrust23THRUST_200600_302600_NS5tupleIiiNS7_9null_typeES9_S9_S9_S9_S9_S9_S9_EENS0_10empty_typeEbEEZZNS1_14partition_implILS5_3ELb0ES3_jNS7_6detail15normal_iteratorINS7_7pointerISA_NS7_11hip_rocprim3tagENS7_11use_defaultESJ_EEEEPSB_SM_NS0_5tupleIJPSA_SM_EEENSN_IJSM_SM_EEESB_PlJ10is_orderedEEE10hipError_tPvRmT3_T4_T5_T6_T7_T9_mT8_P12ihipStream_tbDpT10_ENKUlT_T0_E_clISt17integral_constantIbLb0EES1B_IbLb1EEEEDaS17_S18_EUlS17_E_NS1_11comp_targetILNS1_3genE9ELNS1_11target_archE1100ELNS1_3gpuE3ELNS1_3repE0EEENS1_30default_config_static_selectorELNS0_4arch9wavefront6targetE1EEEvT1_,comdat
.Lfunc_end3522:
	.size	_ZN7rocprim17ROCPRIM_400000_NS6detail17trampoline_kernelINS0_14default_configENS1_25partition_config_selectorILNS1_17partition_subalgoE3EN6thrust23THRUST_200600_302600_NS5tupleIiiNS7_9null_typeES9_S9_S9_S9_S9_S9_S9_EENS0_10empty_typeEbEEZZNS1_14partition_implILS5_3ELb0ES3_jNS7_6detail15normal_iteratorINS7_7pointerISA_NS7_11hip_rocprim3tagENS7_11use_defaultESJ_EEEEPSB_SM_NS0_5tupleIJPSA_SM_EEENSN_IJSM_SM_EEESB_PlJ10is_orderedEEE10hipError_tPvRmT3_T4_T5_T6_T7_T9_mT8_P12ihipStream_tbDpT10_ENKUlT_T0_E_clISt17integral_constantIbLb0EES1B_IbLb1EEEEDaS17_S18_EUlS17_E_NS1_11comp_targetILNS1_3genE9ELNS1_11target_archE1100ELNS1_3gpuE3ELNS1_3repE0EEENS1_30default_config_static_selectorELNS0_4arch9wavefront6targetE1EEEvT1_, .Lfunc_end3522-_ZN7rocprim17ROCPRIM_400000_NS6detail17trampoline_kernelINS0_14default_configENS1_25partition_config_selectorILNS1_17partition_subalgoE3EN6thrust23THRUST_200600_302600_NS5tupleIiiNS7_9null_typeES9_S9_S9_S9_S9_S9_S9_EENS0_10empty_typeEbEEZZNS1_14partition_implILS5_3ELb0ES3_jNS7_6detail15normal_iteratorINS7_7pointerISA_NS7_11hip_rocprim3tagENS7_11use_defaultESJ_EEEEPSB_SM_NS0_5tupleIJPSA_SM_EEENSN_IJSM_SM_EEESB_PlJ10is_orderedEEE10hipError_tPvRmT3_T4_T5_T6_T7_T9_mT8_P12ihipStream_tbDpT10_ENKUlT_T0_E_clISt17integral_constantIbLb0EES1B_IbLb1EEEEDaS17_S18_EUlS17_E_NS1_11comp_targetILNS1_3genE9ELNS1_11target_archE1100ELNS1_3gpuE3ELNS1_3repE0EEENS1_30default_config_static_selectorELNS0_4arch9wavefront6targetE1EEEvT1_
                                        ; -- End function
	.section	.AMDGPU.csdata,"",@progbits
; Kernel info:
; codeLenInByte = 0
; NumSgprs: 6
; NumVgprs: 0
; NumAgprs: 0
; TotalNumVgprs: 0
; ScratchSize: 0
; MemoryBound: 0
; FloatMode: 240
; IeeeMode: 1
; LDSByteSize: 0 bytes/workgroup (compile time only)
; SGPRBlocks: 0
; VGPRBlocks: 0
; NumSGPRsForWavesPerEU: 6
; NumVGPRsForWavesPerEU: 1
; AccumOffset: 4
; Occupancy: 8
; WaveLimiterHint : 0
; COMPUTE_PGM_RSRC2:SCRATCH_EN: 0
; COMPUTE_PGM_RSRC2:USER_SGPR: 2
; COMPUTE_PGM_RSRC2:TRAP_HANDLER: 0
; COMPUTE_PGM_RSRC2:TGID_X_EN: 1
; COMPUTE_PGM_RSRC2:TGID_Y_EN: 0
; COMPUTE_PGM_RSRC2:TGID_Z_EN: 0
; COMPUTE_PGM_RSRC2:TIDIG_COMP_CNT: 0
; COMPUTE_PGM_RSRC3_GFX90A:ACCUM_OFFSET: 0
; COMPUTE_PGM_RSRC3_GFX90A:TG_SPLIT: 0
	.section	.text._ZN7rocprim17ROCPRIM_400000_NS6detail17trampoline_kernelINS0_14default_configENS1_25partition_config_selectorILNS1_17partition_subalgoE3EN6thrust23THRUST_200600_302600_NS5tupleIiiNS7_9null_typeES9_S9_S9_S9_S9_S9_S9_EENS0_10empty_typeEbEEZZNS1_14partition_implILS5_3ELb0ES3_jNS7_6detail15normal_iteratorINS7_7pointerISA_NS7_11hip_rocprim3tagENS7_11use_defaultESJ_EEEEPSB_SM_NS0_5tupleIJPSA_SM_EEENSN_IJSM_SM_EEESB_PlJ10is_orderedEEE10hipError_tPvRmT3_T4_T5_T6_T7_T9_mT8_P12ihipStream_tbDpT10_ENKUlT_T0_E_clISt17integral_constantIbLb0EES1B_IbLb1EEEEDaS17_S18_EUlS17_E_NS1_11comp_targetILNS1_3genE8ELNS1_11target_archE1030ELNS1_3gpuE2ELNS1_3repE0EEENS1_30default_config_static_selectorELNS0_4arch9wavefront6targetE1EEEvT1_,"axG",@progbits,_ZN7rocprim17ROCPRIM_400000_NS6detail17trampoline_kernelINS0_14default_configENS1_25partition_config_selectorILNS1_17partition_subalgoE3EN6thrust23THRUST_200600_302600_NS5tupleIiiNS7_9null_typeES9_S9_S9_S9_S9_S9_S9_EENS0_10empty_typeEbEEZZNS1_14partition_implILS5_3ELb0ES3_jNS7_6detail15normal_iteratorINS7_7pointerISA_NS7_11hip_rocprim3tagENS7_11use_defaultESJ_EEEEPSB_SM_NS0_5tupleIJPSA_SM_EEENSN_IJSM_SM_EEESB_PlJ10is_orderedEEE10hipError_tPvRmT3_T4_T5_T6_T7_T9_mT8_P12ihipStream_tbDpT10_ENKUlT_T0_E_clISt17integral_constantIbLb0EES1B_IbLb1EEEEDaS17_S18_EUlS17_E_NS1_11comp_targetILNS1_3genE8ELNS1_11target_archE1030ELNS1_3gpuE2ELNS1_3repE0EEENS1_30default_config_static_selectorELNS0_4arch9wavefront6targetE1EEEvT1_,comdat
	.protected	_ZN7rocprim17ROCPRIM_400000_NS6detail17trampoline_kernelINS0_14default_configENS1_25partition_config_selectorILNS1_17partition_subalgoE3EN6thrust23THRUST_200600_302600_NS5tupleIiiNS7_9null_typeES9_S9_S9_S9_S9_S9_S9_EENS0_10empty_typeEbEEZZNS1_14partition_implILS5_3ELb0ES3_jNS7_6detail15normal_iteratorINS7_7pointerISA_NS7_11hip_rocprim3tagENS7_11use_defaultESJ_EEEEPSB_SM_NS0_5tupleIJPSA_SM_EEENSN_IJSM_SM_EEESB_PlJ10is_orderedEEE10hipError_tPvRmT3_T4_T5_T6_T7_T9_mT8_P12ihipStream_tbDpT10_ENKUlT_T0_E_clISt17integral_constantIbLb0EES1B_IbLb1EEEEDaS17_S18_EUlS17_E_NS1_11comp_targetILNS1_3genE8ELNS1_11target_archE1030ELNS1_3gpuE2ELNS1_3repE0EEENS1_30default_config_static_selectorELNS0_4arch9wavefront6targetE1EEEvT1_ ; -- Begin function _ZN7rocprim17ROCPRIM_400000_NS6detail17trampoline_kernelINS0_14default_configENS1_25partition_config_selectorILNS1_17partition_subalgoE3EN6thrust23THRUST_200600_302600_NS5tupleIiiNS7_9null_typeES9_S9_S9_S9_S9_S9_S9_EENS0_10empty_typeEbEEZZNS1_14partition_implILS5_3ELb0ES3_jNS7_6detail15normal_iteratorINS7_7pointerISA_NS7_11hip_rocprim3tagENS7_11use_defaultESJ_EEEEPSB_SM_NS0_5tupleIJPSA_SM_EEENSN_IJSM_SM_EEESB_PlJ10is_orderedEEE10hipError_tPvRmT3_T4_T5_T6_T7_T9_mT8_P12ihipStream_tbDpT10_ENKUlT_T0_E_clISt17integral_constantIbLb0EES1B_IbLb1EEEEDaS17_S18_EUlS17_E_NS1_11comp_targetILNS1_3genE8ELNS1_11target_archE1030ELNS1_3gpuE2ELNS1_3repE0EEENS1_30default_config_static_selectorELNS0_4arch9wavefront6targetE1EEEvT1_
	.globl	_ZN7rocprim17ROCPRIM_400000_NS6detail17trampoline_kernelINS0_14default_configENS1_25partition_config_selectorILNS1_17partition_subalgoE3EN6thrust23THRUST_200600_302600_NS5tupleIiiNS7_9null_typeES9_S9_S9_S9_S9_S9_S9_EENS0_10empty_typeEbEEZZNS1_14partition_implILS5_3ELb0ES3_jNS7_6detail15normal_iteratorINS7_7pointerISA_NS7_11hip_rocprim3tagENS7_11use_defaultESJ_EEEEPSB_SM_NS0_5tupleIJPSA_SM_EEENSN_IJSM_SM_EEESB_PlJ10is_orderedEEE10hipError_tPvRmT3_T4_T5_T6_T7_T9_mT8_P12ihipStream_tbDpT10_ENKUlT_T0_E_clISt17integral_constantIbLb0EES1B_IbLb1EEEEDaS17_S18_EUlS17_E_NS1_11comp_targetILNS1_3genE8ELNS1_11target_archE1030ELNS1_3gpuE2ELNS1_3repE0EEENS1_30default_config_static_selectorELNS0_4arch9wavefront6targetE1EEEvT1_
	.p2align	8
	.type	_ZN7rocprim17ROCPRIM_400000_NS6detail17trampoline_kernelINS0_14default_configENS1_25partition_config_selectorILNS1_17partition_subalgoE3EN6thrust23THRUST_200600_302600_NS5tupleIiiNS7_9null_typeES9_S9_S9_S9_S9_S9_S9_EENS0_10empty_typeEbEEZZNS1_14partition_implILS5_3ELb0ES3_jNS7_6detail15normal_iteratorINS7_7pointerISA_NS7_11hip_rocprim3tagENS7_11use_defaultESJ_EEEEPSB_SM_NS0_5tupleIJPSA_SM_EEENSN_IJSM_SM_EEESB_PlJ10is_orderedEEE10hipError_tPvRmT3_T4_T5_T6_T7_T9_mT8_P12ihipStream_tbDpT10_ENKUlT_T0_E_clISt17integral_constantIbLb0EES1B_IbLb1EEEEDaS17_S18_EUlS17_E_NS1_11comp_targetILNS1_3genE8ELNS1_11target_archE1030ELNS1_3gpuE2ELNS1_3repE0EEENS1_30default_config_static_selectorELNS0_4arch9wavefront6targetE1EEEvT1_,@function
_ZN7rocprim17ROCPRIM_400000_NS6detail17trampoline_kernelINS0_14default_configENS1_25partition_config_selectorILNS1_17partition_subalgoE3EN6thrust23THRUST_200600_302600_NS5tupleIiiNS7_9null_typeES9_S9_S9_S9_S9_S9_S9_EENS0_10empty_typeEbEEZZNS1_14partition_implILS5_3ELb0ES3_jNS7_6detail15normal_iteratorINS7_7pointerISA_NS7_11hip_rocprim3tagENS7_11use_defaultESJ_EEEEPSB_SM_NS0_5tupleIJPSA_SM_EEENSN_IJSM_SM_EEESB_PlJ10is_orderedEEE10hipError_tPvRmT3_T4_T5_T6_T7_T9_mT8_P12ihipStream_tbDpT10_ENKUlT_T0_E_clISt17integral_constantIbLb0EES1B_IbLb1EEEEDaS17_S18_EUlS17_E_NS1_11comp_targetILNS1_3genE8ELNS1_11target_archE1030ELNS1_3gpuE2ELNS1_3repE0EEENS1_30default_config_static_selectorELNS0_4arch9wavefront6targetE1EEEvT1_: ; @_ZN7rocprim17ROCPRIM_400000_NS6detail17trampoline_kernelINS0_14default_configENS1_25partition_config_selectorILNS1_17partition_subalgoE3EN6thrust23THRUST_200600_302600_NS5tupleIiiNS7_9null_typeES9_S9_S9_S9_S9_S9_S9_EENS0_10empty_typeEbEEZZNS1_14partition_implILS5_3ELb0ES3_jNS7_6detail15normal_iteratorINS7_7pointerISA_NS7_11hip_rocprim3tagENS7_11use_defaultESJ_EEEEPSB_SM_NS0_5tupleIJPSA_SM_EEENSN_IJSM_SM_EEESB_PlJ10is_orderedEEE10hipError_tPvRmT3_T4_T5_T6_T7_T9_mT8_P12ihipStream_tbDpT10_ENKUlT_T0_E_clISt17integral_constantIbLb0EES1B_IbLb1EEEEDaS17_S18_EUlS17_E_NS1_11comp_targetILNS1_3genE8ELNS1_11target_archE1030ELNS1_3gpuE2ELNS1_3repE0EEENS1_30default_config_static_selectorELNS0_4arch9wavefront6targetE1EEEvT1_
; %bb.0:
	.section	.rodata,"a",@progbits
	.p2align	6, 0x0
	.amdhsa_kernel _ZN7rocprim17ROCPRIM_400000_NS6detail17trampoline_kernelINS0_14default_configENS1_25partition_config_selectorILNS1_17partition_subalgoE3EN6thrust23THRUST_200600_302600_NS5tupleIiiNS7_9null_typeES9_S9_S9_S9_S9_S9_S9_EENS0_10empty_typeEbEEZZNS1_14partition_implILS5_3ELb0ES3_jNS7_6detail15normal_iteratorINS7_7pointerISA_NS7_11hip_rocprim3tagENS7_11use_defaultESJ_EEEEPSB_SM_NS0_5tupleIJPSA_SM_EEENSN_IJSM_SM_EEESB_PlJ10is_orderedEEE10hipError_tPvRmT3_T4_T5_T6_T7_T9_mT8_P12ihipStream_tbDpT10_ENKUlT_T0_E_clISt17integral_constantIbLb0EES1B_IbLb1EEEEDaS17_S18_EUlS17_E_NS1_11comp_targetILNS1_3genE8ELNS1_11target_archE1030ELNS1_3gpuE2ELNS1_3repE0EEENS1_30default_config_static_selectorELNS0_4arch9wavefront6targetE1EEEvT1_
		.amdhsa_group_segment_fixed_size 0
		.amdhsa_private_segment_fixed_size 0
		.amdhsa_kernarg_size 136
		.amdhsa_user_sgpr_count 2
		.amdhsa_user_sgpr_dispatch_ptr 0
		.amdhsa_user_sgpr_queue_ptr 0
		.amdhsa_user_sgpr_kernarg_segment_ptr 1
		.amdhsa_user_sgpr_dispatch_id 0
		.amdhsa_user_sgpr_kernarg_preload_length 0
		.amdhsa_user_sgpr_kernarg_preload_offset 0
		.amdhsa_user_sgpr_private_segment_size 0
		.amdhsa_uses_dynamic_stack 0
		.amdhsa_enable_private_segment 0
		.amdhsa_system_sgpr_workgroup_id_x 1
		.amdhsa_system_sgpr_workgroup_id_y 0
		.amdhsa_system_sgpr_workgroup_id_z 0
		.amdhsa_system_sgpr_workgroup_info 0
		.amdhsa_system_vgpr_workitem_id 0
		.amdhsa_next_free_vgpr 1
		.amdhsa_next_free_sgpr 0
		.amdhsa_accum_offset 4
		.amdhsa_reserve_vcc 0
		.amdhsa_float_round_mode_32 0
		.amdhsa_float_round_mode_16_64 0
		.amdhsa_float_denorm_mode_32 3
		.amdhsa_float_denorm_mode_16_64 3
		.amdhsa_dx10_clamp 1
		.amdhsa_ieee_mode 1
		.amdhsa_fp16_overflow 0
		.amdhsa_tg_split 0
		.amdhsa_exception_fp_ieee_invalid_op 0
		.amdhsa_exception_fp_denorm_src 0
		.amdhsa_exception_fp_ieee_div_zero 0
		.amdhsa_exception_fp_ieee_overflow 0
		.amdhsa_exception_fp_ieee_underflow 0
		.amdhsa_exception_fp_ieee_inexact 0
		.amdhsa_exception_int_div_zero 0
	.end_amdhsa_kernel
	.section	.text._ZN7rocprim17ROCPRIM_400000_NS6detail17trampoline_kernelINS0_14default_configENS1_25partition_config_selectorILNS1_17partition_subalgoE3EN6thrust23THRUST_200600_302600_NS5tupleIiiNS7_9null_typeES9_S9_S9_S9_S9_S9_S9_EENS0_10empty_typeEbEEZZNS1_14partition_implILS5_3ELb0ES3_jNS7_6detail15normal_iteratorINS7_7pointerISA_NS7_11hip_rocprim3tagENS7_11use_defaultESJ_EEEEPSB_SM_NS0_5tupleIJPSA_SM_EEENSN_IJSM_SM_EEESB_PlJ10is_orderedEEE10hipError_tPvRmT3_T4_T5_T6_T7_T9_mT8_P12ihipStream_tbDpT10_ENKUlT_T0_E_clISt17integral_constantIbLb0EES1B_IbLb1EEEEDaS17_S18_EUlS17_E_NS1_11comp_targetILNS1_3genE8ELNS1_11target_archE1030ELNS1_3gpuE2ELNS1_3repE0EEENS1_30default_config_static_selectorELNS0_4arch9wavefront6targetE1EEEvT1_,"axG",@progbits,_ZN7rocprim17ROCPRIM_400000_NS6detail17trampoline_kernelINS0_14default_configENS1_25partition_config_selectorILNS1_17partition_subalgoE3EN6thrust23THRUST_200600_302600_NS5tupleIiiNS7_9null_typeES9_S9_S9_S9_S9_S9_S9_EENS0_10empty_typeEbEEZZNS1_14partition_implILS5_3ELb0ES3_jNS7_6detail15normal_iteratorINS7_7pointerISA_NS7_11hip_rocprim3tagENS7_11use_defaultESJ_EEEEPSB_SM_NS0_5tupleIJPSA_SM_EEENSN_IJSM_SM_EEESB_PlJ10is_orderedEEE10hipError_tPvRmT3_T4_T5_T6_T7_T9_mT8_P12ihipStream_tbDpT10_ENKUlT_T0_E_clISt17integral_constantIbLb0EES1B_IbLb1EEEEDaS17_S18_EUlS17_E_NS1_11comp_targetILNS1_3genE8ELNS1_11target_archE1030ELNS1_3gpuE2ELNS1_3repE0EEENS1_30default_config_static_selectorELNS0_4arch9wavefront6targetE1EEEvT1_,comdat
.Lfunc_end3523:
	.size	_ZN7rocprim17ROCPRIM_400000_NS6detail17trampoline_kernelINS0_14default_configENS1_25partition_config_selectorILNS1_17partition_subalgoE3EN6thrust23THRUST_200600_302600_NS5tupleIiiNS7_9null_typeES9_S9_S9_S9_S9_S9_S9_EENS0_10empty_typeEbEEZZNS1_14partition_implILS5_3ELb0ES3_jNS7_6detail15normal_iteratorINS7_7pointerISA_NS7_11hip_rocprim3tagENS7_11use_defaultESJ_EEEEPSB_SM_NS0_5tupleIJPSA_SM_EEENSN_IJSM_SM_EEESB_PlJ10is_orderedEEE10hipError_tPvRmT3_T4_T5_T6_T7_T9_mT8_P12ihipStream_tbDpT10_ENKUlT_T0_E_clISt17integral_constantIbLb0EES1B_IbLb1EEEEDaS17_S18_EUlS17_E_NS1_11comp_targetILNS1_3genE8ELNS1_11target_archE1030ELNS1_3gpuE2ELNS1_3repE0EEENS1_30default_config_static_selectorELNS0_4arch9wavefront6targetE1EEEvT1_, .Lfunc_end3523-_ZN7rocprim17ROCPRIM_400000_NS6detail17trampoline_kernelINS0_14default_configENS1_25partition_config_selectorILNS1_17partition_subalgoE3EN6thrust23THRUST_200600_302600_NS5tupleIiiNS7_9null_typeES9_S9_S9_S9_S9_S9_S9_EENS0_10empty_typeEbEEZZNS1_14partition_implILS5_3ELb0ES3_jNS7_6detail15normal_iteratorINS7_7pointerISA_NS7_11hip_rocprim3tagENS7_11use_defaultESJ_EEEEPSB_SM_NS0_5tupleIJPSA_SM_EEENSN_IJSM_SM_EEESB_PlJ10is_orderedEEE10hipError_tPvRmT3_T4_T5_T6_T7_T9_mT8_P12ihipStream_tbDpT10_ENKUlT_T0_E_clISt17integral_constantIbLb0EES1B_IbLb1EEEEDaS17_S18_EUlS17_E_NS1_11comp_targetILNS1_3genE8ELNS1_11target_archE1030ELNS1_3gpuE2ELNS1_3repE0EEENS1_30default_config_static_selectorELNS0_4arch9wavefront6targetE1EEEvT1_
                                        ; -- End function
	.section	.AMDGPU.csdata,"",@progbits
; Kernel info:
; codeLenInByte = 0
; NumSgprs: 6
; NumVgprs: 0
; NumAgprs: 0
; TotalNumVgprs: 0
; ScratchSize: 0
; MemoryBound: 0
; FloatMode: 240
; IeeeMode: 1
; LDSByteSize: 0 bytes/workgroup (compile time only)
; SGPRBlocks: 0
; VGPRBlocks: 0
; NumSGPRsForWavesPerEU: 6
; NumVGPRsForWavesPerEU: 1
; AccumOffset: 4
; Occupancy: 8
; WaveLimiterHint : 0
; COMPUTE_PGM_RSRC2:SCRATCH_EN: 0
; COMPUTE_PGM_RSRC2:USER_SGPR: 2
; COMPUTE_PGM_RSRC2:TRAP_HANDLER: 0
; COMPUTE_PGM_RSRC2:TGID_X_EN: 1
; COMPUTE_PGM_RSRC2:TGID_Y_EN: 0
; COMPUTE_PGM_RSRC2:TGID_Z_EN: 0
; COMPUTE_PGM_RSRC2:TIDIG_COMP_CNT: 0
; COMPUTE_PGM_RSRC3_GFX90A:ACCUM_OFFSET: 0
; COMPUTE_PGM_RSRC3_GFX90A:TG_SPLIT: 0
	.section	.text._ZN6thrust23THRUST_200600_302600_NS11hip_rocprim14__parallel_for6kernelILj256ENS1_11__transform17unary_transform_fIPNS0_5tupleIiiNS0_9null_typeES7_S7_S7_S7_S7_S7_S7_EENS0_12zip_iteratorINS6_INS0_6detail15normal_iteratorINS0_10device_ptrIiEEEESF_S7_S7_S7_S7_S7_S7_S7_S7_EEEENS4_14no_stencil_tagENS0_8identityIS8_EENS4_21always_true_predicateEEElLj1EEEvT0_T1_SO_,"axG",@progbits,_ZN6thrust23THRUST_200600_302600_NS11hip_rocprim14__parallel_for6kernelILj256ENS1_11__transform17unary_transform_fIPNS0_5tupleIiiNS0_9null_typeES7_S7_S7_S7_S7_S7_S7_EENS0_12zip_iteratorINS6_INS0_6detail15normal_iteratorINS0_10device_ptrIiEEEESF_S7_S7_S7_S7_S7_S7_S7_S7_EEEENS4_14no_stencil_tagENS0_8identityIS8_EENS4_21always_true_predicateEEElLj1EEEvT0_T1_SO_,comdat
	.protected	_ZN6thrust23THRUST_200600_302600_NS11hip_rocprim14__parallel_for6kernelILj256ENS1_11__transform17unary_transform_fIPNS0_5tupleIiiNS0_9null_typeES7_S7_S7_S7_S7_S7_S7_EENS0_12zip_iteratorINS6_INS0_6detail15normal_iteratorINS0_10device_ptrIiEEEESF_S7_S7_S7_S7_S7_S7_S7_S7_EEEENS4_14no_stencil_tagENS0_8identityIS8_EENS4_21always_true_predicateEEElLj1EEEvT0_T1_SO_ ; -- Begin function _ZN6thrust23THRUST_200600_302600_NS11hip_rocprim14__parallel_for6kernelILj256ENS1_11__transform17unary_transform_fIPNS0_5tupleIiiNS0_9null_typeES7_S7_S7_S7_S7_S7_S7_EENS0_12zip_iteratorINS6_INS0_6detail15normal_iteratorINS0_10device_ptrIiEEEESF_S7_S7_S7_S7_S7_S7_S7_S7_EEEENS4_14no_stencil_tagENS0_8identityIS8_EENS4_21always_true_predicateEEElLj1EEEvT0_T1_SO_
	.globl	_ZN6thrust23THRUST_200600_302600_NS11hip_rocprim14__parallel_for6kernelILj256ENS1_11__transform17unary_transform_fIPNS0_5tupleIiiNS0_9null_typeES7_S7_S7_S7_S7_S7_S7_EENS0_12zip_iteratorINS6_INS0_6detail15normal_iteratorINS0_10device_ptrIiEEEESF_S7_S7_S7_S7_S7_S7_S7_S7_EEEENS4_14no_stencil_tagENS0_8identityIS8_EENS4_21always_true_predicateEEElLj1EEEvT0_T1_SO_
	.p2align	8
	.type	_ZN6thrust23THRUST_200600_302600_NS11hip_rocprim14__parallel_for6kernelILj256ENS1_11__transform17unary_transform_fIPNS0_5tupleIiiNS0_9null_typeES7_S7_S7_S7_S7_S7_S7_EENS0_12zip_iteratorINS6_INS0_6detail15normal_iteratorINS0_10device_ptrIiEEEESF_S7_S7_S7_S7_S7_S7_S7_S7_EEEENS4_14no_stencil_tagENS0_8identityIS8_EENS4_21always_true_predicateEEElLj1EEEvT0_T1_SO_,@function
_ZN6thrust23THRUST_200600_302600_NS11hip_rocprim14__parallel_for6kernelILj256ENS1_11__transform17unary_transform_fIPNS0_5tupleIiiNS0_9null_typeES7_S7_S7_S7_S7_S7_S7_EENS0_12zip_iteratorINS6_INS0_6detail15normal_iteratorINS0_10device_ptrIiEEEESF_S7_S7_S7_S7_S7_S7_S7_S7_EEEENS4_14no_stencil_tagENS0_8identityIS8_EENS4_21always_true_predicateEEElLj1EEEvT0_T1_SO_: ; @_ZN6thrust23THRUST_200600_302600_NS11hip_rocprim14__parallel_for6kernelILj256ENS1_11__transform17unary_transform_fIPNS0_5tupleIiiNS0_9null_typeES7_S7_S7_S7_S7_S7_S7_EENS0_12zip_iteratorINS6_INS0_6detail15normal_iteratorINS0_10device_ptrIiEEEESF_S7_S7_S7_S7_S7_S7_S7_S7_EEEENS4_14no_stencil_tagENS0_8identityIS8_EENS4_21always_true_predicateEEElLj1EEEvT0_T1_SO_
; %bb.0:
	s_load_dwordx4 s[4:7], s[0:1], 0x20
	s_lshl_b32 s2, s2, 8
	v_mov_b64_e32 v[2:3], 0x100
	s_waitcnt lgkmcnt(0)
	s_add_u32 s2, s2, s6
	s_addc_u32 s3, 0, s7
	s_sub_u32 s4, s4, s2
	s_subb_u32 s5, s5, s3
	v_cmp_lt_i64_e32 vcc, s[4:5], v[2:3]
	s_and_b64 s[6:7], vcc, exec
	s_cselect_b32 s6, s4, 0x100
	s_cmpk_eq_i32 s6, 0x100
	s_cselect_b64 s[4:5], -1, 0
	v_cmp_gt_u32_e32 vcc, s6, v0
	s_or_b64 s[4:5], s[4:5], vcc
	s_and_saveexec_b64 s[6:7], s[4:5]
	s_cbranch_execz .LBB3524_2
; %bb.1:
	s_load_dwordx4 s[4:7], s[0:1], 0x0
	s_load_dwordx2 s[8:9], s[0:1], 0x10
	v_mov_b32_e32 v1, 0
	v_lshl_add_u64 v[0:1], s[2:3], 0, v[0:1]
	s_waitcnt lgkmcnt(0)
	v_mov_b32_e32 v2, s4
	v_mov_b32_e32 v3, s5
	v_lshl_add_u64 v[2:3], v[0:1], 3, v[2:3]
	global_load_dword v6, v[2:3], off
	v_lshlrev_b64 v[0:1], 2, v[0:1]
	v_lshl_add_u64 v[4:5], s[6:7], 0, v[0:1]
	v_lshl_add_u64 v[0:1], s[8:9], 0, v[0:1]
	s_waitcnt vmcnt(0)
	global_store_dword v[4:5], v6, off
	global_load_dword v2, v[2:3], off offset:4
	s_waitcnt vmcnt(0)
	global_store_dword v[0:1], v2, off
.LBB3524_2:
	s_endpgm
	.section	.rodata,"a",@progbits
	.p2align	6, 0x0
	.amdhsa_kernel _ZN6thrust23THRUST_200600_302600_NS11hip_rocprim14__parallel_for6kernelILj256ENS1_11__transform17unary_transform_fIPNS0_5tupleIiiNS0_9null_typeES7_S7_S7_S7_S7_S7_S7_EENS0_12zip_iteratorINS6_INS0_6detail15normal_iteratorINS0_10device_ptrIiEEEESF_S7_S7_S7_S7_S7_S7_S7_S7_EEEENS4_14no_stencil_tagENS0_8identityIS8_EENS4_21always_true_predicateEEElLj1EEEvT0_T1_SO_
		.amdhsa_group_segment_fixed_size 0
		.amdhsa_private_segment_fixed_size 0
		.amdhsa_kernarg_size 48
		.amdhsa_user_sgpr_count 2
		.amdhsa_user_sgpr_dispatch_ptr 0
		.amdhsa_user_sgpr_queue_ptr 0
		.amdhsa_user_sgpr_kernarg_segment_ptr 1
		.amdhsa_user_sgpr_dispatch_id 0
		.amdhsa_user_sgpr_kernarg_preload_length 0
		.amdhsa_user_sgpr_kernarg_preload_offset 0
		.amdhsa_user_sgpr_private_segment_size 0
		.amdhsa_uses_dynamic_stack 0
		.amdhsa_enable_private_segment 0
		.amdhsa_system_sgpr_workgroup_id_x 1
		.amdhsa_system_sgpr_workgroup_id_y 0
		.amdhsa_system_sgpr_workgroup_id_z 0
		.amdhsa_system_sgpr_workgroup_info 0
		.amdhsa_system_vgpr_workitem_id 0
		.amdhsa_next_free_vgpr 7
		.amdhsa_next_free_sgpr 10
		.amdhsa_accum_offset 8
		.amdhsa_reserve_vcc 1
		.amdhsa_float_round_mode_32 0
		.amdhsa_float_round_mode_16_64 0
		.amdhsa_float_denorm_mode_32 3
		.amdhsa_float_denorm_mode_16_64 3
		.amdhsa_dx10_clamp 1
		.amdhsa_ieee_mode 1
		.amdhsa_fp16_overflow 0
		.amdhsa_tg_split 0
		.amdhsa_exception_fp_ieee_invalid_op 0
		.amdhsa_exception_fp_denorm_src 0
		.amdhsa_exception_fp_ieee_div_zero 0
		.amdhsa_exception_fp_ieee_overflow 0
		.amdhsa_exception_fp_ieee_underflow 0
		.amdhsa_exception_fp_ieee_inexact 0
		.amdhsa_exception_int_div_zero 0
	.end_amdhsa_kernel
	.section	.text._ZN6thrust23THRUST_200600_302600_NS11hip_rocprim14__parallel_for6kernelILj256ENS1_11__transform17unary_transform_fIPNS0_5tupleIiiNS0_9null_typeES7_S7_S7_S7_S7_S7_S7_EENS0_12zip_iteratorINS6_INS0_6detail15normal_iteratorINS0_10device_ptrIiEEEESF_S7_S7_S7_S7_S7_S7_S7_S7_EEEENS4_14no_stencil_tagENS0_8identityIS8_EENS4_21always_true_predicateEEElLj1EEEvT0_T1_SO_,"axG",@progbits,_ZN6thrust23THRUST_200600_302600_NS11hip_rocprim14__parallel_for6kernelILj256ENS1_11__transform17unary_transform_fIPNS0_5tupleIiiNS0_9null_typeES7_S7_S7_S7_S7_S7_S7_EENS0_12zip_iteratorINS6_INS0_6detail15normal_iteratorINS0_10device_ptrIiEEEESF_S7_S7_S7_S7_S7_S7_S7_S7_EEEENS4_14no_stencil_tagENS0_8identityIS8_EENS4_21always_true_predicateEEElLj1EEEvT0_T1_SO_,comdat
.Lfunc_end3524:
	.size	_ZN6thrust23THRUST_200600_302600_NS11hip_rocprim14__parallel_for6kernelILj256ENS1_11__transform17unary_transform_fIPNS0_5tupleIiiNS0_9null_typeES7_S7_S7_S7_S7_S7_S7_EENS0_12zip_iteratorINS6_INS0_6detail15normal_iteratorINS0_10device_ptrIiEEEESF_S7_S7_S7_S7_S7_S7_S7_S7_EEEENS4_14no_stencil_tagENS0_8identityIS8_EENS4_21always_true_predicateEEElLj1EEEvT0_T1_SO_, .Lfunc_end3524-_ZN6thrust23THRUST_200600_302600_NS11hip_rocprim14__parallel_for6kernelILj256ENS1_11__transform17unary_transform_fIPNS0_5tupleIiiNS0_9null_typeES7_S7_S7_S7_S7_S7_S7_EENS0_12zip_iteratorINS6_INS0_6detail15normal_iteratorINS0_10device_ptrIiEEEESF_S7_S7_S7_S7_S7_S7_S7_S7_EEEENS4_14no_stencil_tagENS0_8identityIS8_EENS4_21always_true_predicateEEElLj1EEEvT0_T1_SO_
                                        ; -- End function
	.section	.AMDGPU.csdata,"",@progbits
; Kernel info:
; codeLenInByte = 196
; NumSgprs: 16
; NumVgprs: 7
; NumAgprs: 0
; TotalNumVgprs: 7
; ScratchSize: 0
; MemoryBound: 0
; FloatMode: 240
; IeeeMode: 1
; LDSByteSize: 0 bytes/workgroup (compile time only)
; SGPRBlocks: 1
; VGPRBlocks: 0
; NumSGPRsForWavesPerEU: 16
; NumVGPRsForWavesPerEU: 7
; AccumOffset: 8
; Occupancy: 8
; WaveLimiterHint : 0
; COMPUTE_PGM_RSRC2:SCRATCH_EN: 0
; COMPUTE_PGM_RSRC2:USER_SGPR: 2
; COMPUTE_PGM_RSRC2:TRAP_HANDLER: 0
; COMPUTE_PGM_RSRC2:TGID_X_EN: 1
; COMPUTE_PGM_RSRC2:TGID_Y_EN: 0
; COMPUTE_PGM_RSRC2:TGID_Z_EN: 0
; COMPUTE_PGM_RSRC2:TIDIG_COMP_CNT: 0
; COMPUTE_PGM_RSRC3_GFX90A:ACCUM_OFFSET: 1
; COMPUTE_PGM_RSRC3_GFX90A:TG_SPLIT: 0
	.section	.text._ZN6thrust23THRUST_200600_302600_NS11hip_rocprim14__parallel_for6kernelILj256ENS1_10for_each_fINS0_7pointerINS0_5tupleIssNS0_9null_typeES7_S7_S7_S7_S7_S7_S7_EENS1_3tagENS0_11use_defaultESA_EENS0_6detail16wrapped_functionINSC_23allocator_traits_detail24construct1_via_allocatorINSC_18no_throw_allocatorINSC_19temporary_allocatorIS8_S9_EEEEEEvEEEEmLj1EEEvT0_T1_SO_,"axG",@progbits,_ZN6thrust23THRUST_200600_302600_NS11hip_rocprim14__parallel_for6kernelILj256ENS1_10for_each_fINS0_7pointerINS0_5tupleIssNS0_9null_typeES7_S7_S7_S7_S7_S7_S7_EENS1_3tagENS0_11use_defaultESA_EENS0_6detail16wrapped_functionINSC_23allocator_traits_detail24construct1_via_allocatorINSC_18no_throw_allocatorINSC_19temporary_allocatorIS8_S9_EEEEEEvEEEEmLj1EEEvT0_T1_SO_,comdat
	.protected	_ZN6thrust23THRUST_200600_302600_NS11hip_rocprim14__parallel_for6kernelILj256ENS1_10for_each_fINS0_7pointerINS0_5tupleIssNS0_9null_typeES7_S7_S7_S7_S7_S7_S7_EENS1_3tagENS0_11use_defaultESA_EENS0_6detail16wrapped_functionINSC_23allocator_traits_detail24construct1_via_allocatorINSC_18no_throw_allocatorINSC_19temporary_allocatorIS8_S9_EEEEEEvEEEEmLj1EEEvT0_T1_SO_ ; -- Begin function _ZN6thrust23THRUST_200600_302600_NS11hip_rocprim14__parallel_for6kernelILj256ENS1_10for_each_fINS0_7pointerINS0_5tupleIssNS0_9null_typeES7_S7_S7_S7_S7_S7_S7_EENS1_3tagENS0_11use_defaultESA_EENS0_6detail16wrapped_functionINSC_23allocator_traits_detail24construct1_via_allocatorINSC_18no_throw_allocatorINSC_19temporary_allocatorIS8_S9_EEEEEEvEEEEmLj1EEEvT0_T1_SO_
	.globl	_ZN6thrust23THRUST_200600_302600_NS11hip_rocprim14__parallel_for6kernelILj256ENS1_10for_each_fINS0_7pointerINS0_5tupleIssNS0_9null_typeES7_S7_S7_S7_S7_S7_S7_EENS1_3tagENS0_11use_defaultESA_EENS0_6detail16wrapped_functionINSC_23allocator_traits_detail24construct1_via_allocatorINSC_18no_throw_allocatorINSC_19temporary_allocatorIS8_S9_EEEEEEvEEEEmLj1EEEvT0_T1_SO_
	.p2align	8
	.type	_ZN6thrust23THRUST_200600_302600_NS11hip_rocprim14__parallel_for6kernelILj256ENS1_10for_each_fINS0_7pointerINS0_5tupleIssNS0_9null_typeES7_S7_S7_S7_S7_S7_S7_EENS1_3tagENS0_11use_defaultESA_EENS0_6detail16wrapped_functionINSC_23allocator_traits_detail24construct1_via_allocatorINSC_18no_throw_allocatorINSC_19temporary_allocatorIS8_S9_EEEEEEvEEEEmLj1EEEvT0_T1_SO_,@function
_ZN6thrust23THRUST_200600_302600_NS11hip_rocprim14__parallel_for6kernelILj256ENS1_10for_each_fINS0_7pointerINS0_5tupleIssNS0_9null_typeES7_S7_S7_S7_S7_S7_S7_EENS1_3tagENS0_11use_defaultESA_EENS0_6detail16wrapped_functionINSC_23allocator_traits_detail24construct1_via_allocatorINSC_18no_throw_allocatorINSC_19temporary_allocatorIS8_S9_EEEEEEvEEEEmLj1EEEvT0_T1_SO_: ; @_ZN6thrust23THRUST_200600_302600_NS11hip_rocprim14__parallel_for6kernelILj256ENS1_10for_each_fINS0_7pointerINS0_5tupleIssNS0_9null_typeES7_S7_S7_S7_S7_S7_S7_EENS1_3tagENS0_11use_defaultESA_EENS0_6detail16wrapped_functionINSC_23allocator_traits_detail24construct1_via_allocatorINSC_18no_throw_allocatorINSC_19temporary_allocatorIS8_S9_EEEEEEvEEEEmLj1EEEvT0_T1_SO_
; %bb.0:
	s_load_dwordx4 s[8:11], s[0:1], 0x10
	s_load_dwordx2 s[4:5], s[0:1], 0x0
	s_lshl_b32 s0, s2, 8
	v_mov_b64_e32 v[2:3], 0x100
	s_waitcnt lgkmcnt(0)
	s_add_u32 s2, s0, s10
	s_addc_u32 s3, 0, s11
	s_sub_u32 s0, s8, s2
	s_subb_u32 s1, s9, s3
	v_cmp_lt_u64_e32 vcc, s[0:1], v[2:3]
	s_cbranch_vccz .LBB3525_4
; %bb.1:
	v_cmp_gt_u32_e32 vcc, s0, v0
	s_mov_b64 s[6:7], 0
	s_mov_b64 s[0:1], 0
                                        ; implicit-def: $vgpr2_vgpr3
	s_and_saveexec_b64 s[8:9], vcc
	s_xor_b64 s[8:9], exec, s[8:9]
; %bb.2:
	s_lshl_b64 s[10:11], s[2:3], 2
	s_add_u32 s10, s4, s10
	s_addc_u32 s11, s5, s11
	v_lshlrev_b32_e32 v2, 2, v0
	v_mov_b32_e32 v3, 0
	s_mov_b64 s[0:1], exec
	v_lshl_add_u64 v[2:3], s[10:11], 0, v[2:3]
; %bb.3:
	s_or_b64 exec, exec, s[8:9]
	s_and_b64 vcc, exec, s[6:7]
	s_cbranch_vccnz .LBB3525_5
	s_branch .LBB3525_6
.LBB3525_4:
	s_mov_b64 s[0:1], 0
                                        ; implicit-def: $vgpr2_vgpr3
	s_cbranch_execz .LBB3525_6
.LBB3525_5:
	s_lshl_b64 s[2:3], s[2:3], 2
	s_add_u32 s2, s4, s2
	s_addc_u32 s3, s5, s3
	v_lshlrev_b32_e32 v0, 2, v0
	v_mov_b32_e32 v1, 0
	v_lshl_add_u64 v[2:3], s[2:3], 0, v[0:1]
	s_or_b64 s[0:1], s[0:1], exec
.LBB3525_6:
	s_and_saveexec_b64 s[2:3], s[0:1]
	s_cbranch_execnz .LBB3525_8
; %bb.7:
	s_endpgm
.LBB3525_8:
	v_mov_b32_e32 v0, 0
	flat_store_dword v[2:3], v0
	s_endpgm
	.section	.rodata,"a",@progbits
	.p2align	6, 0x0
	.amdhsa_kernel _ZN6thrust23THRUST_200600_302600_NS11hip_rocprim14__parallel_for6kernelILj256ENS1_10for_each_fINS0_7pointerINS0_5tupleIssNS0_9null_typeES7_S7_S7_S7_S7_S7_S7_EENS1_3tagENS0_11use_defaultESA_EENS0_6detail16wrapped_functionINSC_23allocator_traits_detail24construct1_via_allocatorINSC_18no_throw_allocatorINSC_19temporary_allocatorIS8_S9_EEEEEEvEEEEmLj1EEEvT0_T1_SO_
		.amdhsa_group_segment_fixed_size 0
		.amdhsa_private_segment_fixed_size 0
		.amdhsa_kernarg_size 32
		.amdhsa_user_sgpr_count 2
		.amdhsa_user_sgpr_dispatch_ptr 0
		.amdhsa_user_sgpr_queue_ptr 0
		.amdhsa_user_sgpr_kernarg_segment_ptr 1
		.amdhsa_user_sgpr_dispatch_id 0
		.amdhsa_user_sgpr_kernarg_preload_length 0
		.amdhsa_user_sgpr_kernarg_preload_offset 0
		.amdhsa_user_sgpr_private_segment_size 0
		.amdhsa_uses_dynamic_stack 0
		.amdhsa_enable_private_segment 0
		.amdhsa_system_sgpr_workgroup_id_x 1
		.amdhsa_system_sgpr_workgroup_id_y 0
		.amdhsa_system_sgpr_workgroup_id_z 0
		.amdhsa_system_sgpr_workgroup_info 0
		.amdhsa_system_vgpr_workitem_id 0
		.amdhsa_next_free_vgpr 4
		.amdhsa_next_free_sgpr 12
		.amdhsa_accum_offset 4
		.amdhsa_reserve_vcc 1
		.amdhsa_float_round_mode_32 0
		.amdhsa_float_round_mode_16_64 0
		.amdhsa_float_denorm_mode_32 3
		.amdhsa_float_denorm_mode_16_64 3
		.amdhsa_dx10_clamp 1
		.amdhsa_ieee_mode 1
		.amdhsa_fp16_overflow 0
		.amdhsa_tg_split 0
		.amdhsa_exception_fp_ieee_invalid_op 0
		.amdhsa_exception_fp_denorm_src 0
		.amdhsa_exception_fp_ieee_div_zero 0
		.amdhsa_exception_fp_ieee_overflow 0
		.amdhsa_exception_fp_ieee_underflow 0
		.amdhsa_exception_fp_ieee_inexact 0
		.amdhsa_exception_int_div_zero 0
	.end_amdhsa_kernel
	.section	.text._ZN6thrust23THRUST_200600_302600_NS11hip_rocprim14__parallel_for6kernelILj256ENS1_10for_each_fINS0_7pointerINS0_5tupleIssNS0_9null_typeES7_S7_S7_S7_S7_S7_S7_EENS1_3tagENS0_11use_defaultESA_EENS0_6detail16wrapped_functionINSC_23allocator_traits_detail24construct1_via_allocatorINSC_18no_throw_allocatorINSC_19temporary_allocatorIS8_S9_EEEEEEvEEEEmLj1EEEvT0_T1_SO_,"axG",@progbits,_ZN6thrust23THRUST_200600_302600_NS11hip_rocprim14__parallel_for6kernelILj256ENS1_10for_each_fINS0_7pointerINS0_5tupleIssNS0_9null_typeES7_S7_S7_S7_S7_S7_S7_EENS1_3tagENS0_11use_defaultESA_EENS0_6detail16wrapped_functionINSC_23allocator_traits_detail24construct1_via_allocatorINSC_18no_throw_allocatorINSC_19temporary_allocatorIS8_S9_EEEEEEvEEEEmLj1EEEvT0_T1_SO_,comdat
.Lfunc_end3525:
	.size	_ZN6thrust23THRUST_200600_302600_NS11hip_rocprim14__parallel_for6kernelILj256ENS1_10for_each_fINS0_7pointerINS0_5tupleIssNS0_9null_typeES7_S7_S7_S7_S7_S7_S7_EENS1_3tagENS0_11use_defaultESA_EENS0_6detail16wrapped_functionINSC_23allocator_traits_detail24construct1_via_allocatorINSC_18no_throw_allocatorINSC_19temporary_allocatorIS8_S9_EEEEEEvEEEEmLj1EEEvT0_T1_SO_, .Lfunc_end3525-_ZN6thrust23THRUST_200600_302600_NS11hip_rocprim14__parallel_for6kernelILj256ENS1_10for_each_fINS0_7pointerINS0_5tupleIssNS0_9null_typeES7_S7_S7_S7_S7_S7_S7_EENS1_3tagENS0_11use_defaultESA_EENS0_6detail16wrapped_functionINSC_23allocator_traits_detail24construct1_via_allocatorINSC_18no_throw_allocatorINSC_19temporary_allocatorIS8_S9_EEEEEEvEEEEmLj1EEEvT0_T1_SO_
                                        ; -- End function
	.section	.AMDGPU.csdata,"",@progbits
; Kernel info:
; codeLenInByte = 192
; NumSgprs: 18
; NumVgprs: 4
; NumAgprs: 0
; TotalNumVgprs: 4
; ScratchSize: 0
; MemoryBound: 0
; FloatMode: 240
; IeeeMode: 1
; LDSByteSize: 0 bytes/workgroup (compile time only)
; SGPRBlocks: 2
; VGPRBlocks: 0
; NumSGPRsForWavesPerEU: 18
; NumVGPRsForWavesPerEU: 4
; AccumOffset: 4
; Occupancy: 8
; WaveLimiterHint : 0
; COMPUTE_PGM_RSRC2:SCRATCH_EN: 0
; COMPUTE_PGM_RSRC2:USER_SGPR: 2
; COMPUTE_PGM_RSRC2:TRAP_HANDLER: 0
; COMPUTE_PGM_RSRC2:TGID_X_EN: 1
; COMPUTE_PGM_RSRC2:TGID_Y_EN: 0
; COMPUTE_PGM_RSRC2:TGID_Z_EN: 0
; COMPUTE_PGM_RSRC2:TIDIG_COMP_CNT: 0
; COMPUTE_PGM_RSRC3_GFX90A:ACCUM_OFFSET: 0
; COMPUTE_PGM_RSRC3_GFX90A:TG_SPLIT: 0
	.section	.text._ZN6thrust23THRUST_200600_302600_NS11hip_rocprim14__parallel_for6kernelILj256ENS1_10for_each_fINS0_7pointerINS0_5tupleIssNS0_9null_typeES7_S7_S7_S7_S7_S7_S7_EENS1_3tagENS0_11use_defaultESA_EENS0_6detail16wrapped_functionINSC_23allocator_traits_detail5gozerEvEEEElLj1EEEvT0_T1_SJ_,"axG",@progbits,_ZN6thrust23THRUST_200600_302600_NS11hip_rocprim14__parallel_for6kernelILj256ENS1_10for_each_fINS0_7pointerINS0_5tupleIssNS0_9null_typeES7_S7_S7_S7_S7_S7_S7_EENS1_3tagENS0_11use_defaultESA_EENS0_6detail16wrapped_functionINSC_23allocator_traits_detail5gozerEvEEEElLj1EEEvT0_T1_SJ_,comdat
	.protected	_ZN6thrust23THRUST_200600_302600_NS11hip_rocprim14__parallel_for6kernelILj256ENS1_10for_each_fINS0_7pointerINS0_5tupleIssNS0_9null_typeES7_S7_S7_S7_S7_S7_S7_EENS1_3tagENS0_11use_defaultESA_EENS0_6detail16wrapped_functionINSC_23allocator_traits_detail5gozerEvEEEElLj1EEEvT0_T1_SJ_ ; -- Begin function _ZN6thrust23THRUST_200600_302600_NS11hip_rocprim14__parallel_for6kernelILj256ENS1_10for_each_fINS0_7pointerINS0_5tupleIssNS0_9null_typeES7_S7_S7_S7_S7_S7_S7_EENS1_3tagENS0_11use_defaultESA_EENS0_6detail16wrapped_functionINSC_23allocator_traits_detail5gozerEvEEEElLj1EEEvT0_T1_SJ_
	.globl	_ZN6thrust23THRUST_200600_302600_NS11hip_rocprim14__parallel_for6kernelILj256ENS1_10for_each_fINS0_7pointerINS0_5tupleIssNS0_9null_typeES7_S7_S7_S7_S7_S7_S7_EENS1_3tagENS0_11use_defaultESA_EENS0_6detail16wrapped_functionINSC_23allocator_traits_detail5gozerEvEEEElLj1EEEvT0_T1_SJ_
	.p2align	8
	.type	_ZN6thrust23THRUST_200600_302600_NS11hip_rocprim14__parallel_for6kernelILj256ENS1_10for_each_fINS0_7pointerINS0_5tupleIssNS0_9null_typeES7_S7_S7_S7_S7_S7_S7_EENS1_3tagENS0_11use_defaultESA_EENS0_6detail16wrapped_functionINSC_23allocator_traits_detail5gozerEvEEEElLj1EEEvT0_T1_SJ_,@function
_ZN6thrust23THRUST_200600_302600_NS11hip_rocprim14__parallel_for6kernelILj256ENS1_10for_each_fINS0_7pointerINS0_5tupleIssNS0_9null_typeES7_S7_S7_S7_S7_S7_S7_EENS1_3tagENS0_11use_defaultESA_EENS0_6detail16wrapped_functionINSC_23allocator_traits_detail5gozerEvEEEElLj1EEEvT0_T1_SJ_: ; @_ZN6thrust23THRUST_200600_302600_NS11hip_rocprim14__parallel_for6kernelILj256ENS1_10for_each_fINS0_7pointerINS0_5tupleIssNS0_9null_typeES7_S7_S7_S7_S7_S7_S7_EENS1_3tagENS0_11use_defaultESA_EENS0_6detail16wrapped_functionINSC_23allocator_traits_detail5gozerEvEEEElLj1EEEvT0_T1_SJ_
; %bb.0:
	s_endpgm
	.section	.rodata,"a",@progbits
	.p2align	6, 0x0
	.amdhsa_kernel _ZN6thrust23THRUST_200600_302600_NS11hip_rocprim14__parallel_for6kernelILj256ENS1_10for_each_fINS0_7pointerINS0_5tupleIssNS0_9null_typeES7_S7_S7_S7_S7_S7_S7_EENS1_3tagENS0_11use_defaultESA_EENS0_6detail16wrapped_functionINSC_23allocator_traits_detail5gozerEvEEEElLj1EEEvT0_T1_SJ_
		.amdhsa_group_segment_fixed_size 0
		.amdhsa_private_segment_fixed_size 0
		.amdhsa_kernarg_size 32
		.amdhsa_user_sgpr_count 2
		.amdhsa_user_sgpr_dispatch_ptr 0
		.amdhsa_user_sgpr_queue_ptr 0
		.amdhsa_user_sgpr_kernarg_segment_ptr 1
		.amdhsa_user_sgpr_dispatch_id 0
		.amdhsa_user_sgpr_kernarg_preload_length 0
		.amdhsa_user_sgpr_kernarg_preload_offset 0
		.amdhsa_user_sgpr_private_segment_size 0
		.amdhsa_uses_dynamic_stack 0
		.amdhsa_enable_private_segment 0
		.amdhsa_system_sgpr_workgroup_id_x 1
		.amdhsa_system_sgpr_workgroup_id_y 0
		.amdhsa_system_sgpr_workgroup_id_z 0
		.amdhsa_system_sgpr_workgroup_info 0
		.amdhsa_system_vgpr_workitem_id 0
		.amdhsa_next_free_vgpr 1
		.amdhsa_next_free_sgpr 0
		.amdhsa_accum_offset 4
		.amdhsa_reserve_vcc 0
		.amdhsa_float_round_mode_32 0
		.amdhsa_float_round_mode_16_64 0
		.amdhsa_float_denorm_mode_32 3
		.amdhsa_float_denorm_mode_16_64 3
		.amdhsa_dx10_clamp 1
		.amdhsa_ieee_mode 1
		.amdhsa_fp16_overflow 0
		.amdhsa_tg_split 0
		.amdhsa_exception_fp_ieee_invalid_op 0
		.amdhsa_exception_fp_denorm_src 0
		.amdhsa_exception_fp_ieee_div_zero 0
		.amdhsa_exception_fp_ieee_overflow 0
		.amdhsa_exception_fp_ieee_underflow 0
		.amdhsa_exception_fp_ieee_inexact 0
		.amdhsa_exception_int_div_zero 0
	.end_amdhsa_kernel
	.section	.text._ZN6thrust23THRUST_200600_302600_NS11hip_rocprim14__parallel_for6kernelILj256ENS1_10for_each_fINS0_7pointerINS0_5tupleIssNS0_9null_typeES7_S7_S7_S7_S7_S7_S7_EENS1_3tagENS0_11use_defaultESA_EENS0_6detail16wrapped_functionINSC_23allocator_traits_detail5gozerEvEEEElLj1EEEvT0_T1_SJ_,"axG",@progbits,_ZN6thrust23THRUST_200600_302600_NS11hip_rocprim14__parallel_for6kernelILj256ENS1_10for_each_fINS0_7pointerINS0_5tupleIssNS0_9null_typeES7_S7_S7_S7_S7_S7_S7_EENS1_3tagENS0_11use_defaultESA_EENS0_6detail16wrapped_functionINSC_23allocator_traits_detail5gozerEvEEEElLj1EEEvT0_T1_SJ_,comdat
.Lfunc_end3526:
	.size	_ZN6thrust23THRUST_200600_302600_NS11hip_rocprim14__parallel_for6kernelILj256ENS1_10for_each_fINS0_7pointerINS0_5tupleIssNS0_9null_typeES7_S7_S7_S7_S7_S7_S7_EENS1_3tagENS0_11use_defaultESA_EENS0_6detail16wrapped_functionINSC_23allocator_traits_detail5gozerEvEEEElLj1EEEvT0_T1_SJ_, .Lfunc_end3526-_ZN6thrust23THRUST_200600_302600_NS11hip_rocprim14__parallel_for6kernelILj256ENS1_10for_each_fINS0_7pointerINS0_5tupleIssNS0_9null_typeES7_S7_S7_S7_S7_S7_S7_EENS1_3tagENS0_11use_defaultESA_EENS0_6detail16wrapped_functionINSC_23allocator_traits_detail5gozerEvEEEElLj1EEEvT0_T1_SJ_
                                        ; -- End function
	.section	.AMDGPU.csdata,"",@progbits
; Kernel info:
; codeLenInByte = 4
; NumSgprs: 6
; NumVgprs: 0
; NumAgprs: 0
; TotalNumVgprs: 0
; ScratchSize: 0
; MemoryBound: 0
; FloatMode: 240
; IeeeMode: 1
; LDSByteSize: 0 bytes/workgroup (compile time only)
; SGPRBlocks: 0
; VGPRBlocks: 0
; NumSGPRsForWavesPerEU: 6
; NumVGPRsForWavesPerEU: 1
; AccumOffset: 4
; Occupancy: 8
; WaveLimiterHint : 0
; COMPUTE_PGM_RSRC2:SCRATCH_EN: 0
; COMPUTE_PGM_RSRC2:USER_SGPR: 2
; COMPUTE_PGM_RSRC2:TRAP_HANDLER: 0
; COMPUTE_PGM_RSRC2:TGID_X_EN: 1
; COMPUTE_PGM_RSRC2:TGID_Y_EN: 0
; COMPUTE_PGM_RSRC2:TGID_Z_EN: 0
; COMPUTE_PGM_RSRC2:TIDIG_COMP_CNT: 0
; COMPUTE_PGM_RSRC3_GFX90A:ACCUM_OFFSET: 0
; COMPUTE_PGM_RSRC3_GFX90A:TG_SPLIT: 0
	.section	.text._ZN6thrust23THRUST_200600_302600_NS11hip_rocprim14__parallel_for6kernelILj256ENS1_20__uninitialized_copy7functorINS0_12zip_iteratorINS0_5tupleINS0_6detail15normal_iteratorINS0_10device_ptrIsEEEESC_NS0_9null_typeESD_SD_SD_SD_SD_SD_SD_EEEENS9_INS0_7pointerINS7_IssSD_SD_SD_SD_SD_SD_SD_SD_EENS1_3tagENS0_11use_defaultESJ_EEEEEElLj1EEEvT0_T1_SO_,"axG",@progbits,_ZN6thrust23THRUST_200600_302600_NS11hip_rocprim14__parallel_for6kernelILj256ENS1_20__uninitialized_copy7functorINS0_12zip_iteratorINS0_5tupleINS0_6detail15normal_iteratorINS0_10device_ptrIsEEEESC_NS0_9null_typeESD_SD_SD_SD_SD_SD_SD_EEEENS9_INS0_7pointerINS7_IssSD_SD_SD_SD_SD_SD_SD_SD_EENS1_3tagENS0_11use_defaultESJ_EEEEEElLj1EEEvT0_T1_SO_,comdat
	.protected	_ZN6thrust23THRUST_200600_302600_NS11hip_rocprim14__parallel_for6kernelILj256ENS1_20__uninitialized_copy7functorINS0_12zip_iteratorINS0_5tupleINS0_6detail15normal_iteratorINS0_10device_ptrIsEEEESC_NS0_9null_typeESD_SD_SD_SD_SD_SD_SD_EEEENS9_INS0_7pointerINS7_IssSD_SD_SD_SD_SD_SD_SD_SD_EENS1_3tagENS0_11use_defaultESJ_EEEEEElLj1EEEvT0_T1_SO_ ; -- Begin function _ZN6thrust23THRUST_200600_302600_NS11hip_rocprim14__parallel_for6kernelILj256ENS1_20__uninitialized_copy7functorINS0_12zip_iteratorINS0_5tupleINS0_6detail15normal_iteratorINS0_10device_ptrIsEEEESC_NS0_9null_typeESD_SD_SD_SD_SD_SD_SD_EEEENS9_INS0_7pointerINS7_IssSD_SD_SD_SD_SD_SD_SD_SD_EENS1_3tagENS0_11use_defaultESJ_EEEEEElLj1EEEvT0_T1_SO_
	.globl	_ZN6thrust23THRUST_200600_302600_NS11hip_rocprim14__parallel_for6kernelILj256ENS1_20__uninitialized_copy7functorINS0_12zip_iteratorINS0_5tupleINS0_6detail15normal_iteratorINS0_10device_ptrIsEEEESC_NS0_9null_typeESD_SD_SD_SD_SD_SD_SD_EEEENS9_INS0_7pointerINS7_IssSD_SD_SD_SD_SD_SD_SD_SD_EENS1_3tagENS0_11use_defaultESJ_EEEEEElLj1EEEvT0_T1_SO_
	.p2align	8
	.type	_ZN6thrust23THRUST_200600_302600_NS11hip_rocprim14__parallel_for6kernelILj256ENS1_20__uninitialized_copy7functorINS0_12zip_iteratorINS0_5tupleINS0_6detail15normal_iteratorINS0_10device_ptrIsEEEESC_NS0_9null_typeESD_SD_SD_SD_SD_SD_SD_EEEENS9_INS0_7pointerINS7_IssSD_SD_SD_SD_SD_SD_SD_SD_EENS1_3tagENS0_11use_defaultESJ_EEEEEElLj1EEEvT0_T1_SO_,@function
_ZN6thrust23THRUST_200600_302600_NS11hip_rocprim14__parallel_for6kernelILj256ENS1_20__uninitialized_copy7functorINS0_12zip_iteratorINS0_5tupleINS0_6detail15normal_iteratorINS0_10device_ptrIsEEEESC_NS0_9null_typeESD_SD_SD_SD_SD_SD_SD_EEEENS9_INS0_7pointerINS7_IssSD_SD_SD_SD_SD_SD_SD_SD_EENS1_3tagENS0_11use_defaultESJ_EEEEEElLj1EEEvT0_T1_SO_: ; @_ZN6thrust23THRUST_200600_302600_NS11hip_rocprim14__parallel_for6kernelILj256ENS1_20__uninitialized_copy7functorINS0_12zip_iteratorINS0_5tupleINS0_6detail15normal_iteratorINS0_10device_ptrIsEEEESC_NS0_9null_typeESD_SD_SD_SD_SD_SD_SD_EEEENS9_INS0_7pointerINS7_IssSD_SD_SD_SD_SD_SD_SD_SD_EENS1_3tagENS0_11use_defaultESJ_EEEEEElLj1EEEvT0_T1_SO_
; %bb.0:
	s_load_dwordx4 s[4:7], s[0:1], 0x18
	s_lshl_b32 s2, s2, 8
	v_mov_b64_e32 v[2:3], 0x100
	s_waitcnt lgkmcnt(0)
	s_add_u32 s2, s2, s6
	s_addc_u32 s3, 0, s7
	s_sub_u32 s4, s4, s2
	s_subb_u32 s5, s5, s3
	v_cmp_lt_i64_e32 vcc, s[4:5], v[2:3]
	s_and_b64 s[6:7], vcc, exec
	s_cselect_b32 s6, s4, 0x100
	s_cmpk_eq_i32 s6, 0x100
	s_cselect_b64 s[4:5], -1, 0
	v_cmp_gt_u32_e32 vcc, s6, v0
	s_or_b64 s[4:5], s[4:5], vcc
	s_and_saveexec_b64 s[6:7], s[4:5]
	s_cbranch_execz .LBB3527_2
; %bb.1:
	s_load_dwordx4 s[4:7], s[0:1], 0x0
	s_load_dwordx2 s[8:9], s[0:1], 0x10
	v_mov_b32_e32 v1, 0
	v_lshl_add_u64 v[0:1], s[2:3], 0, v[0:1]
	v_lshlrev_b64 v[2:3], 1, v[0:1]
	s_waitcnt lgkmcnt(0)
	v_lshl_add_u64 v[4:5], s[4:5], 0, v[2:3]
	v_lshl_add_u64 v[2:3], s[6:7], 0, v[2:3]
	global_load_ushort v6, v[4:5], off
	global_load_ushort v7, v[2:3], off
	v_mov_b32_e32 v2, s8
	v_mov_b32_e32 v3, s9
	v_lshl_add_u64 v[0:1], v[0:1], 2, v[2:3]
	s_waitcnt vmcnt(0)
	v_lshl_or_b32 v2, v7, 16, v6
	flat_store_dword v[0:1], v2
.LBB3527_2:
	s_endpgm
	.section	.rodata,"a",@progbits
	.p2align	6, 0x0
	.amdhsa_kernel _ZN6thrust23THRUST_200600_302600_NS11hip_rocprim14__parallel_for6kernelILj256ENS1_20__uninitialized_copy7functorINS0_12zip_iteratorINS0_5tupleINS0_6detail15normal_iteratorINS0_10device_ptrIsEEEESC_NS0_9null_typeESD_SD_SD_SD_SD_SD_SD_EEEENS9_INS0_7pointerINS7_IssSD_SD_SD_SD_SD_SD_SD_SD_EENS1_3tagENS0_11use_defaultESJ_EEEEEElLj1EEEvT0_T1_SO_
		.amdhsa_group_segment_fixed_size 0
		.amdhsa_private_segment_fixed_size 0
		.amdhsa_kernarg_size 40
		.amdhsa_user_sgpr_count 2
		.amdhsa_user_sgpr_dispatch_ptr 0
		.amdhsa_user_sgpr_queue_ptr 0
		.amdhsa_user_sgpr_kernarg_segment_ptr 1
		.amdhsa_user_sgpr_dispatch_id 0
		.amdhsa_user_sgpr_kernarg_preload_length 0
		.amdhsa_user_sgpr_kernarg_preload_offset 0
		.amdhsa_user_sgpr_private_segment_size 0
		.amdhsa_uses_dynamic_stack 0
		.amdhsa_enable_private_segment 0
		.amdhsa_system_sgpr_workgroup_id_x 1
		.amdhsa_system_sgpr_workgroup_id_y 0
		.amdhsa_system_sgpr_workgroup_id_z 0
		.amdhsa_system_sgpr_workgroup_info 0
		.amdhsa_system_vgpr_workitem_id 0
		.amdhsa_next_free_vgpr 8
		.amdhsa_next_free_sgpr 10
		.amdhsa_accum_offset 8
		.amdhsa_reserve_vcc 1
		.amdhsa_float_round_mode_32 0
		.amdhsa_float_round_mode_16_64 0
		.amdhsa_float_denorm_mode_32 3
		.amdhsa_float_denorm_mode_16_64 3
		.amdhsa_dx10_clamp 1
		.amdhsa_ieee_mode 1
		.amdhsa_fp16_overflow 0
		.amdhsa_tg_split 0
		.amdhsa_exception_fp_ieee_invalid_op 0
		.amdhsa_exception_fp_denorm_src 0
		.amdhsa_exception_fp_ieee_div_zero 0
		.amdhsa_exception_fp_ieee_overflow 0
		.amdhsa_exception_fp_ieee_underflow 0
		.amdhsa_exception_fp_ieee_inexact 0
		.amdhsa_exception_int_div_zero 0
	.end_amdhsa_kernel
	.section	.text._ZN6thrust23THRUST_200600_302600_NS11hip_rocprim14__parallel_for6kernelILj256ENS1_20__uninitialized_copy7functorINS0_12zip_iteratorINS0_5tupleINS0_6detail15normal_iteratorINS0_10device_ptrIsEEEESC_NS0_9null_typeESD_SD_SD_SD_SD_SD_SD_EEEENS9_INS0_7pointerINS7_IssSD_SD_SD_SD_SD_SD_SD_SD_EENS1_3tagENS0_11use_defaultESJ_EEEEEElLj1EEEvT0_T1_SO_,"axG",@progbits,_ZN6thrust23THRUST_200600_302600_NS11hip_rocprim14__parallel_for6kernelILj256ENS1_20__uninitialized_copy7functorINS0_12zip_iteratorINS0_5tupleINS0_6detail15normal_iteratorINS0_10device_ptrIsEEEESC_NS0_9null_typeESD_SD_SD_SD_SD_SD_SD_EEEENS9_INS0_7pointerINS7_IssSD_SD_SD_SD_SD_SD_SD_SD_EENS1_3tagENS0_11use_defaultESJ_EEEEEElLj1EEEvT0_T1_SO_,comdat
.Lfunc_end3527:
	.size	_ZN6thrust23THRUST_200600_302600_NS11hip_rocprim14__parallel_for6kernelILj256ENS1_20__uninitialized_copy7functorINS0_12zip_iteratorINS0_5tupleINS0_6detail15normal_iteratorINS0_10device_ptrIsEEEESC_NS0_9null_typeESD_SD_SD_SD_SD_SD_SD_EEEENS9_INS0_7pointerINS7_IssSD_SD_SD_SD_SD_SD_SD_SD_EENS1_3tagENS0_11use_defaultESJ_EEEEEElLj1EEEvT0_T1_SO_, .Lfunc_end3527-_ZN6thrust23THRUST_200600_302600_NS11hip_rocprim14__parallel_for6kernelILj256ENS1_20__uninitialized_copy7functorINS0_12zip_iteratorINS0_5tupleINS0_6detail15normal_iteratorINS0_10device_ptrIsEEEESC_NS0_9null_typeESD_SD_SD_SD_SD_SD_SD_EEEENS9_INS0_7pointerINS7_IssSD_SD_SD_SD_SD_SD_SD_SD_EENS1_3tagENS0_11use_defaultESJ_EEEEEElLj1EEEvT0_T1_SO_
                                        ; -- End function
	.section	.AMDGPU.csdata,"",@progbits
; Kernel info:
; codeLenInByte = 192
; NumSgprs: 16
; NumVgprs: 8
; NumAgprs: 0
; TotalNumVgprs: 8
; ScratchSize: 0
; MemoryBound: 0
; FloatMode: 240
; IeeeMode: 1
; LDSByteSize: 0 bytes/workgroup (compile time only)
; SGPRBlocks: 1
; VGPRBlocks: 0
; NumSGPRsForWavesPerEU: 16
; NumVGPRsForWavesPerEU: 8
; AccumOffset: 8
; Occupancy: 8
; WaveLimiterHint : 0
; COMPUTE_PGM_RSRC2:SCRATCH_EN: 0
; COMPUTE_PGM_RSRC2:USER_SGPR: 2
; COMPUTE_PGM_RSRC2:TRAP_HANDLER: 0
; COMPUTE_PGM_RSRC2:TGID_X_EN: 1
; COMPUTE_PGM_RSRC2:TGID_Y_EN: 0
; COMPUTE_PGM_RSRC2:TGID_Z_EN: 0
; COMPUTE_PGM_RSRC2:TIDIG_COMP_CNT: 0
; COMPUTE_PGM_RSRC3_GFX90A:ACCUM_OFFSET: 1
; COMPUTE_PGM_RSRC3_GFX90A:TG_SPLIT: 0
	.section	.text._ZN7rocprim17ROCPRIM_400000_NS6detail17trampoline_kernelINS0_14default_configENS1_25partition_config_selectorILNS1_17partition_subalgoE3EN6thrust23THRUST_200600_302600_NS5tupleIssNS7_9null_typeES9_S9_S9_S9_S9_S9_S9_EENS0_10empty_typeEbEEZZNS1_14partition_implILS5_3ELb0ES3_jNS7_6detail15normal_iteratorINS7_7pointerISA_NS7_11hip_rocprim3tagENS7_11use_defaultESJ_EEEEPSB_SM_NS0_5tupleIJPSA_SM_EEENSN_IJSM_SM_EEESB_PlJ10is_orderedEEE10hipError_tPvRmT3_T4_T5_T6_T7_T9_mT8_P12ihipStream_tbDpT10_ENKUlT_T0_E_clISt17integral_constantIbLb0EES1C_EEDaS17_S18_EUlS17_E_NS1_11comp_targetILNS1_3genE0ELNS1_11target_archE4294967295ELNS1_3gpuE0ELNS1_3repE0EEENS1_30default_config_static_selectorELNS0_4arch9wavefront6targetE1EEEvT1_,"axG",@progbits,_ZN7rocprim17ROCPRIM_400000_NS6detail17trampoline_kernelINS0_14default_configENS1_25partition_config_selectorILNS1_17partition_subalgoE3EN6thrust23THRUST_200600_302600_NS5tupleIssNS7_9null_typeES9_S9_S9_S9_S9_S9_S9_EENS0_10empty_typeEbEEZZNS1_14partition_implILS5_3ELb0ES3_jNS7_6detail15normal_iteratorINS7_7pointerISA_NS7_11hip_rocprim3tagENS7_11use_defaultESJ_EEEEPSB_SM_NS0_5tupleIJPSA_SM_EEENSN_IJSM_SM_EEESB_PlJ10is_orderedEEE10hipError_tPvRmT3_T4_T5_T6_T7_T9_mT8_P12ihipStream_tbDpT10_ENKUlT_T0_E_clISt17integral_constantIbLb0EES1C_EEDaS17_S18_EUlS17_E_NS1_11comp_targetILNS1_3genE0ELNS1_11target_archE4294967295ELNS1_3gpuE0ELNS1_3repE0EEENS1_30default_config_static_selectorELNS0_4arch9wavefront6targetE1EEEvT1_,comdat
	.protected	_ZN7rocprim17ROCPRIM_400000_NS6detail17trampoline_kernelINS0_14default_configENS1_25partition_config_selectorILNS1_17partition_subalgoE3EN6thrust23THRUST_200600_302600_NS5tupleIssNS7_9null_typeES9_S9_S9_S9_S9_S9_S9_EENS0_10empty_typeEbEEZZNS1_14partition_implILS5_3ELb0ES3_jNS7_6detail15normal_iteratorINS7_7pointerISA_NS7_11hip_rocprim3tagENS7_11use_defaultESJ_EEEEPSB_SM_NS0_5tupleIJPSA_SM_EEENSN_IJSM_SM_EEESB_PlJ10is_orderedEEE10hipError_tPvRmT3_T4_T5_T6_T7_T9_mT8_P12ihipStream_tbDpT10_ENKUlT_T0_E_clISt17integral_constantIbLb0EES1C_EEDaS17_S18_EUlS17_E_NS1_11comp_targetILNS1_3genE0ELNS1_11target_archE4294967295ELNS1_3gpuE0ELNS1_3repE0EEENS1_30default_config_static_selectorELNS0_4arch9wavefront6targetE1EEEvT1_ ; -- Begin function _ZN7rocprim17ROCPRIM_400000_NS6detail17trampoline_kernelINS0_14default_configENS1_25partition_config_selectorILNS1_17partition_subalgoE3EN6thrust23THRUST_200600_302600_NS5tupleIssNS7_9null_typeES9_S9_S9_S9_S9_S9_S9_EENS0_10empty_typeEbEEZZNS1_14partition_implILS5_3ELb0ES3_jNS7_6detail15normal_iteratorINS7_7pointerISA_NS7_11hip_rocprim3tagENS7_11use_defaultESJ_EEEEPSB_SM_NS0_5tupleIJPSA_SM_EEENSN_IJSM_SM_EEESB_PlJ10is_orderedEEE10hipError_tPvRmT3_T4_T5_T6_T7_T9_mT8_P12ihipStream_tbDpT10_ENKUlT_T0_E_clISt17integral_constantIbLb0EES1C_EEDaS17_S18_EUlS17_E_NS1_11comp_targetILNS1_3genE0ELNS1_11target_archE4294967295ELNS1_3gpuE0ELNS1_3repE0EEENS1_30default_config_static_selectorELNS0_4arch9wavefront6targetE1EEEvT1_
	.globl	_ZN7rocprim17ROCPRIM_400000_NS6detail17trampoline_kernelINS0_14default_configENS1_25partition_config_selectorILNS1_17partition_subalgoE3EN6thrust23THRUST_200600_302600_NS5tupleIssNS7_9null_typeES9_S9_S9_S9_S9_S9_S9_EENS0_10empty_typeEbEEZZNS1_14partition_implILS5_3ELb0ES3_jNS7_6detail15normal_iteratorINS7_7pointerISA_NS7_11hip_rocprim3tagENS7_11use_defaultESJ_EEEEPSB_SM_NS0_5tupleIJPSA_SM_EEENSN_IJSM_SM_EEESB_PlJ10is_orderedEEE10hipError_tPvRmT3_T4_T5_T6_T7_T9_mT8_P12ihipStream_tbDpT10_ENKUlT_T0_E_clISt17integral_constantIbLb0EES1C_EEDaS17_S18_EUlS17_E_NS1_11comp_targetILNS1_3genE0ELNS1_11target_archE4294967295ELNS1_3gpuE0ELNS1_3repE0EEENS1_30default_config_static_selectorELNS0_4arch9wavefront6targetE1EEEvT1_
	.p2align	8
	.type	_ZN7rocprim17ROCPRIM_400000_NS6detail17trampoline_kernelINS0_14default_configENS1_25partition_config_selectorILNS1_17partition_subalgoE3EN6thrust23THRUST_200600_302600_NS5tupleIssNS7_9null_typeES9_S9_S9_S9_S9_S9_S9_EENS0_10empty_typeEbEEZZNS1_14partition_implILS5_3ELb0ES3_jNS7_6detail15normal_iteratorINS7_7pointerISA_NS7_11hip_rocprim3tagENS7_11use_defaultESJ_EEEEPSB_SM_NS0_5tupleIJPSA_SM_EEENSN_IJSM_SM_EEESB_PlJ10is_orderedEEE10hipError_tPvRmT3_T4_T5_T6_T7_T9_mT8_P12ihipStream_tbDpT10_ENKUlT_T0_E_clISt17integral_constantIbLb0EES1C_EEDaS17_S18_EUlS17_E_NS1_11comp_targetILNS1_3genE0ELNS1_11target_archE4294967295ELNS1_3gpuE0ELNS1_3repE0EEENS1_30default_config_static_selectorELNS0_4arch9wavefront6targetE1EEEvT1_,@function
_ZN7rocprim17ROCPRIM_400000_NS6detail17trampoline_kernelINS0_14default_configENS1_25partition_config_selectorILNS1_17partition_subalgoE3EN6thrust23THRUST_200600_302600_NS5tupleIssNS7_9null_typeES9_S9_S9_S9_S9_S9_S9_EENS0_10empty_typeEbEEZZNS1_14partition_implILS5_3ELb0ES3_jNS7_6detail15normal_iteratorINS7_7pointerISA_NS7_11hip_rocprim3tagENS7_11use_defaultESJ_EEEEPSB_SM_NS0_5tupleIJPSA_SM_EEENSN_IJSM_SM_EEESB_PlJ10is_orderedEEE10hipError_tPvRmT3_T4_T5_T6_T7_T9_mT8_P12ihipStream_tbDpT10_ENKUlT_T0_E_clISt17integral_constantIbLb0EES1C_EEDaS17_S18_EUlS17_E_NS1_11comp_targetILNS1_3genE0ELNS1_11target_archE4294967295ELNS1_3gpuE0ELNS1_3repE0EEENS1_30default_config_static_selectorELNS0_4arch9wavefront6targetE1EEEvT1_: ; @_ZN7rocprim17ROCPRIM_400000_NS6detail17trampoline_kernelINS0_14default_configENS1_25partition_config_selectorILNS1_17partition_subalgoE3EN6thrust23THRUST_200600_302600_NS5tupleIssNS7_9null_typeES9_S9_S9_S9_S9_S9_S9_EENS0_10empty_typeEbEEZZNS1_14partition_implILS5_3ELb0ES3_jNS7_6detail15normal_iteratorINS7_7pointerISA_NS7_11hip_rocprim3tagENS7_11use_defaultESJ_EEEEPSB_SM_NS0_5tupleIJPSA_SM_EEENSN_IJSM_SM_EEESB_PlJ10is_orderedEEE10hipError_tPvRmT3_T4_T5_T6_T7_T9_mT8_P12ihipStream_tbDpT10_ENKUlT_T0_E_clISt17integral_constantIbLb0EES1C_EEDaS17_S18_EUlS17_E_NS1_11comp_targetILNS1_3genE0ELNS1_11target_archE4294967295ELNS1_3gpuE0ELNS1_3repE0EEENS1_30default_config_static_selectorELNS0_4arch9wavefront6targetE1EEEvT1_
; %bb.0:
	.section	.rodata,"a",@progbits
	.p2align	6, 0x0
	.amdhsa_kernel _ZN7rocprim17ROCPRIM_400000_NS6detail17trampoline_kernelINS0_14default_configENS1_25partition_config_selectorILNS1_17partition_subalgoE3EN6thrust23THRUST_200600_302600_NS5tupleIssNS7_9null_typeES9_S9_S9_S9_S9_S9_S9_EENS0_10empty_typeEbEEZZNS1_14partition_implILS5_3ELb0ES3_jNS7_6detail15normal_iteratorINS7_7pointerISA_NS7_11hip_rocprim3tagENS7_11use_defaultESJ_EEEEPSB_SM_NS0_5tupleIJPSA_SM_EEENSN_IJSM_SM_EEESB_PlJ10is_orderedEEE10hipError_tPvRmT3_T4_T5_T6_T7_T9_mT8_P12ihipStream_tbDpT10_ENKUlT_T0_E_clISt17integral_constantIbLb0EES1C_EEDaS17_S18_EUlS17_E_NS1_11comp_targetILNS1_3genE0ELNS1_11target_archE4294967295ELNS1_3gpuE0ELNS1_3repE0EEENS1_30default_config_static_selectorELNS0_4arch9wavefront6targetE1EEEvT1_
		.amdhsa_group_segment_fixed_size 0
		.amdhsa_private_segment_fixed_size 0
		.amdhsa_kernarg_size 120
		.amdhsa_user_sgpr_count 2
		.amdhsa_user_sgpr_dispatch_ptr 0
		.amdhsa_user_sgpr_queue_ptr 0
		.amdhsa_user_sgpr_kernarg_segment_ptr 1
		.amdhsa_user_sgpr_dispatch_id 0
		.amdhsa_user_sgpr_kernarg_preload_length 0
		.amdhsa_user_sgpr_kernarg_preload_offset 0
		.amdhsa_user_sgpr_private_segment_size 0
		.amdhsa_uses_dynamic_stack 0
		.amdhsa_enable_private_segment 0
		.amdhsa_system_sgpr_workgroup_id_x 1
		.amdhsa_system_sgpr_workgroup_id_y 0
		.amdhsa_system_sgpr_workgroup_id_z 0
		.amdhsa_system_sgpr_workgroup_info 0
		.amdhsa_system_vgpr_workitem_id 0
		.amdhsa_next_free_vgpr 1
		.amdhsa_next_free_sgpr 0
		.amdhsa_accum_offset 4
		.amdhsa_reserve_vcc 0
		.amdhsa_float_round_mode_32 0
		.amdhsa_float_round_mode_16_64 0
		.amdhsa_float_denorm_mode_32 3
		.amdhsa_float_denorm_mode_16_64 3
		.amdhsa_dx10_clamp 1
		.amdhsa_ieee_mode 1
		.amdhsa_fp16_overflow 0
		.amdhsa_tg_split 0
		.amdhsa_exception_fp_ieee_invalid_op 0
		.amdhsa_exception_fp_denorm_src 0
		.amdhsa_exception_fp_ieee_div_zero 0
		.amdhsa_exception_fp_ieee_overflow 0
		.amdhsa_exception_fp_ieee_underflow 0
		.amdhsa_exception_fp_ieee_inexact 0
		.amdhsa_exception_int_div_zero 0
	.end_amdhsa_kernel
	.section	.text._ZN7rocprim17ROCPRIM_400000_NS6detail17trampoline_kernelINS0_14default_configENS1_25partition_config_selectorILNS1_17partition_subalgoE3EN6thrust23THRUST_200600_302600_NS5tupleIssNS7_9null_typeES9_S9_S9_S9_S9_S9_S9_EENS0_10empty_typeEbEEZZNS1_14partition_implILS5_3ELb0ES3_jNS7_6detail15normal_iteratorINS7_7pointerISA_NS7_11hip_rocprim3tagENS7_11use_defaultESJ_EEEEPSB_SM_NS0_5tupleIJPSA_SM_EEENSN_IJSM_SM_EEESB_PlJ10is_orderedEEE10hipError_tPvRmT3_T4_T5_T6_T7_T9_mT8_P12ihipStream_tbDpT10_ENKUlT_T0_E_clISt17integral_constantIbLb0EES1C_EEDaS17_S18_EUlS17_E_NS1_11comp_targetILNS1_3genE0ELNS1_11target_archE4294967295ELNS1_3gpuE0ELNS1_3repE0EEENS1_30default_config_static_selectorELNS0_4arch9wavefront6targetE1EEEvT1_,"axG",@progbits,_ZN7rocprim17ROCPRIM_400000_NS6detail17trampoline_kernelINS0_14default_configENS1_25partition_config_selectorILNS1_17partition_subalgoE3EN6thrust23THRUST_200600_302600_NS5tupleIssNS7_9null_typeES9_S9_S9_S9_S9_S9_S9_EENS0_10empty_typeEbEEZZNS1_14partition_implILS5_3ELb0ES3_jNS7_6detail15normal_iteratorINS7_7pointerISA_NS7_11hip_rocprim3tagENS7_11use_defaultESJ_EEEEPSB_SM_NS0_5tupleIJPSA_SM_EEENSN_IJSM_SM_EEESB_PlJ10is_orderedEEE10hipError_tPvRmT3_T4_T5_T6_T7_T9_mT8_P12ihipStream_tbDpT10_ENKUlT_T0_E_clISt17integral_constantIbLb0EES1C_EEDaS17_S18_EUlS17_E_NS1_11comp_targetILNS1_3genE0ELNS1_11target_archE4294967295ELNS1_3gpuE0ELNS1_3repE0EEENS1_30default_config_static_selectorELNS0_4arch9wavefront6targetE1EEEvT1_,comdat
.Lfunc_end3528:
	.size	_ZN7rocprim17ROCPRIM_400000_NS6detail17trampoline_kernelINS0_14default_configENS1_25partition_config_selectorILNS1_17partition_subalgoE3EN6thrust23THRUST_200600_302600_NS5tupleIssNS7_9null_typeES9_S9_S9_S9_S9_S9_S9_EENS0_10empty_typeEbEEZZNS1_14partition_implILS5_3ELb0ES3_jNS7_6detail15normal_iteratorINS7_7pointerISA_NS7_11hip_rocprim3tagENS7_11use_defaultESJ_EEEEPSB_SM_NS0_5tupleIJPSA_SM_EEENSN_IJSM_SM_EEESB_PlJ10is_orderedEEE10hipError_tPvRmT3_T4_T5_T6_T7_T9_mT8_P12ihipStream_tbDpT10_ENKUlT_T0_E_clISt17integral_constantIbLb0EES1C_EEDaS17_S18_EUlS17_E_NS1_11comp_targetILNS1_3genE0ELNS1_11target_archE4294967295ELNS1_3gpuE0ELNS1_3repE0EEENS1_30default_config_static_selectorELNS0_4arch9wavefront6targetE1EEEvT1_, .Lfunc_end3528-_ZN7rocprim17ROCPRIM_400000_NS6detail17trampoline_kernelINS0_14default_configENS1_25partition_config_selectorILNS1_17partition_subalgoE3EN6thrust23THRUST_200600_302600_NS5tupleIssNS7_9null_typeES9_S9_S9_S9_S9_S9_S9_EENS0_10empty_typeEbEEZZNS1_14partition_implILS5_3ELb0ES3_jNS7_6detail15normal_iteratorINS7_7pointerISA_NS7_11hip_rocprim3tagENS7_11use_defaultESJ_EEEEPSB_SM_NS0_5tupleIJPSA_SM_EEENSN_IJSM_SM_EEESB_PlJ10is_orderedEEE10hipError_tPvRmT3_T4_T5_T6_T7_T9_mT8_P12ihipStream_tbDpT10_ENKUlT_T0_E_clISt17integral_constantIbLb0EES1C_EEDaS17_S18_EUlS17_E_NS1_11comp_targetILNS1_3genE0ELNS1_11target_archE4294967295ELNS1_3gpuE0ELNS1_3repE0EEENS1_30default_config_static_selectorELNS0_4arch9wavefront6targetE1EEEvT1_
                                        ; -- End function
	.section	.AMDGPU.csdata,"",@progbits
; Kernel info:
; codeLenInByte = 0
; NumSgprs: 6
; NumVgprs: 0
; NumAgprs: 0
; TotalNumVgprs: 0
; ScratchSize: 0
; MemoryBound: 0
; FloatMode: 240
; IeeeMode: 1
; LDSByteSize: 0 bytes/workgroup (compile time only)
; SGPRBlocks: 0
; VGPRBlocks: 0
; NumSGPRsForWavesPerEU: 6
; NumVGPRsForWavesPerEU: 1
; AccumOffset: 4
; Occupancy: 8
; WaveLimiterHint : 0
; COMPUTE_PGM_RSRC2:SCRATCH_EN: 0
; COMPUTE_PGM_RSRC2:USER_SGPR: 2
; COMPUTE_PGM_RSRC2:TRAP_HANDLER: 0
; COMPUTE_PGM_RSRC2:TGID_X_EN: 1
; COMPUTE_PGM_RSRC2:TGID_Y_EN: 0
; COMPUTE_PGM_RSRC2:TGID_Z_EN: 0
; COMPUTE_PGM_RSRC2:TIDIG_COMP_CNT: 0
; COMPUTE_PGM_RSRC3_GFX90A:ACCUM_OFFSET: 0
; COMPUTE_PGM_RSRC3_GFX90A:TG_SPLIT: 0
	.section	.text._ZN7rocprim17ROCPRIM_400000_NS6detail17trampoline_kernelINS0_14default_configENS1_25partition_config_selectorILNS1_17partition_subalgoE3EN6thrust23THRUST_200600_302600_NS5tupleIssNS7_9null_typeES9_S9_S9_S9_S9_S9_S9_EENS0_10empty_typeEbEEZZNS1_14partition_implILS5_3ELb0ES3_jNS7_6detail15normal_iteratorINS7_7pointerISA_NS7_11hip_rocprim3tagENS7_11use_defaultESJ_EEEEPSB_SM_NS0_5tupleIJPSA_SM_EEENSN_IJSM_SM_EEESB_PlJ10is_orderedEEE10hipError_tPvRmT3_T4_T5_T6_T7_T9_mT8_P12ihipStream_tbDpT10_ENKUlT_T0_E_clISt17integral_constantIbLb0EES1C_EEDaS17_S18_EUlS17_E_NS1_11comp_targetILNS1_3genE5ELNS1_11target_archE942ELNS1_3gpuE9ELNS1_3repE0EEENS1_30default_config_static_selectorELNS0_4arch9wavefront6targetE1EEEvT1_,"axG",@progbits,_ZN7rocprim17ROCPRIM_400000_NS6detail17trampoline_kernelINS0_14default_configENS1_25partition_config_selectorILNS1_17partition_subalgoE3EN6thrust23THRUST_200600_302600_NS5tupleIssNS7_9null_typeES9_S9_S9_S9_S9_S9_S9_EENS0_10empty_typeEbEEZZNS1_14partition_implILS5_3ELb0ES3_jNS7_6detail15normal_iteratorINS7_7pointerISA_NS7_11hip_rocprim3tagENS7_11use_defaultESJ_EEEEPSB_SM_NS0_5tupleIJPSA_SM_EEENSN_IJSM_SM_EEESB_PlJ10is_orderedEEE10hipError_tPvRmT3_T4_T5_T6_T7_T9_mT8_P12ihipStream_tbDpT10_ENKUlT_T0_E_clISt17integral_constantIbLb0EES1C_EEDaS17_S18_EUlS17_E_NS1_11comp_targetILNS1_3genE5ELNS1_11target_archE942ELNS1_3gpuE9ELNS1_3repE0EEENS1_30default_config_static_selectorELNS0_4arch9wavefront6targetE1EEEvT1_,comdat
	.protected	_ZN7rocprim17ROCPRIM_400000_NS6detail17trampoline_kernelINS0_14default_configENS1_25partition_config_selectorILNS1_17partition_subalgoE3EN6thrust23THRUST_200600_302600_NS5tupleIssNS7_9null_typeES9_S9_S9_S9_S9_S9_S9_EENS0_10empty_typeEbEEZZNS1_14partition_implILS5_3ELb0ES3_jNS7_6detail15normal_iteratorINS7_7pointerISA_NS7_11hip_rocprim3tagENS7_11use_defaultESJ_EEEEPSB_SM_NS0_5tupleIJPSA_SM_EEENSN_IJSM_SM_EEESB_PlJ10is_orderedEEE10hipError_tPvRmT3_T4_T5_T6_T7_T9_mT8_P12ihipStream_tbDpT10_ENKUlT_T0_E_clISt17integral_constantIbLb0EES1C_EEDaS17_S18_EUlS17_E_NS1_11comp_targetILNS1_3genE5ELNS1_11target_archE942ELNS1_3gpuE9ELNS1_3repE0EEENS1_30default_config_static_selectorELNS0_4arch9wavefront6targetE1EEEvT1_ ; -- Begin function _ZN7rocprim17ROCPRIM_400000_NS6detail17trampoline_kernelINS0_14default_configENS1_25partition_config_selectorILNS1_17partition_subalgoE3EN6thrust23THRUST_200600_302600_NS5tupleIssNS7_9null_typeES9_S9_S9_S9_S9_S9_S9_EENS0_10empty_typeEbEEZZNS1_14partition_implILS5_3ELb0ES3_jNS7_6detail15normal_iteratorINS7_7pointerISA_NS7_11hip_rocprim3tagENS7_11use_defaultESJ_EEEEPSB_SM_NS0_5tupleIJPSA_SM_EEENSN_IJSM_SM_EEESB_PlJ10is_orderedEEE10hipError_tPvRmT3_T4_T5_T6_T7_T9_mT8_P12ihipStream_tbDpT10_ENKUlT_T0_E_clISt17integral_constantIbLb0EES1C_EEDaS17_S18_EUlS17_E_NS1_11comp_targetILNS1_3genE5ELNS1_11target_archE942ELNS1_3gpuE9ELNS1_3repE0EEENS1_30default_config_static_selectorELNS0_4arch9wavefront6targetE1EEEvT1_
	.globl	_ZN7rocprim17ROCPRIM_400000_NS6detail17trampoline_kernelINS0_14default_configENS1_25partition_config_selectorILNS1_17partition_subalgoE3EN6thrust23THRUST_200600_302600_NS5tupleIssNS7_9null_typeES9_S9_S9_S9_S9_S9_S9_EENS0_10empty_typeEbEEZZNS1_14partition_implILS5_3ELb0ES3_jNS7_6detail15normal_iteratorINS7_7pointerISA_NS7_11hip_rocprim3tagENS7_11use_defaultESJ_EEEEPSB_SM_NS0_5tupleIJPSA_SM_EEENSN_IJSM_SM_EEESB_PlJ10is_orderedEEE10hipError_tPvRmT3_T4_T5_T6_T7_T9_mT8_P12ihipStream_tbDpT10_ENKUlT_T0_E_clISt17integral_constantIbLb0EES1C_EEDaS17_S18_EUlS17_E_NS1_11comp_targetILNS1_3genE5ELNS1_11target_archE942ELNS1_3gpuE9ELNS1_3repE0EEENS1_30default_config_static_selectorELNS0_4arch9wavefront6targetE1EEEvT1_
	.p2align	8
	.type	_ZN7rocprim17ROCPRIM_400000_NS6detail17trampoline_kernelINS0_14default_configENS1_25partition_config_selectorILNS1_17partition_subalgoE3EN6thrust23THRUST_200600_302600_NS5tupleIssNS7_9null_typeES9_S9_S9_S9_S9_S9_S9_EENS0_10empty_typeEbEEZZNS1_14partition_implILS5_3ELb0ES3_jNS7_6detail15normal_iteratorINS7_7pointerISA_NS7_11hip_rocprim3tagENS7_11use_defaultESJ_EEEEPSB_SM_NS0_5tupleIJPSA_SM_EEENSN_IJSM_SM_EEESB_PlJ10is_orderedEEE10hipError_tPvRmT3_T4_T5_T6_T7_T9_mT8_P12ihipStream_tbDpT10_ENKUlT_T0_E_clISt17integral_constantIbLb0EES1C_EEDaS17_S18_EUlS17_E_NS1_11comp_targetILNS1_3genE5ELNS1_11target_archE942ELNS1_3gpuE9ELNS1_3repE0EEENS1_30default_config_static_selectorELNS0_4arch9wavefront6targetE1EEEvT1_,@function
_ZN7rocprim17ROCPRIM_400000_NS6detail17trampoline_kernelINS0_14default_configENS1_25partition_config_selectorILNS1_17partition_subalgoE3EN6thrust23THRUST_200600_302600_NS5tupleIssNS7_9null_typeES9_S9_S9_S9_S9_S9_S9_EENS0_10empty_typeEbEEZZNS1_14partition_implILS5_3ELb0ES3_jNS7_6detail15normal_iteratorINS7_7pointerISA_NS7_11hip_rocprim3tagENS7_11use_defaultESJ_EEEEPSB_SM_NS0_5tupleIJPSA_SM_EEENSN_IJSM_SM_EEESB_PlJ10is_orderedEEE10hipError_tPvRmT3_T4_T5_T6_T7_T9_mT8_P12ihipStream_tbDpT10_ENKUlT_T0_E_clISt17integral_constantIbLb0EES1C_EEDaS17_S18_EUlS17_E_NS1_11comp_targetILNS1_3genE5ELNS1_11target_archE942ELNS1_3gpuE9ELNS1_3repE0EEENS1_30default_config_static_selectorELNS0_4arch9wavefront6targetE1EEEvT1_: ; @_ZN7rocprim17ROCPRIM_400000_NS6detail17trampoline_kernelINS0_14default_configENS1_25partition_config_selectorILNS1_17partition_subalgoE3EN6thrust23THRUST_200600_302600_NS5tupleIssNS7_9null_typeES9_S9_S9_S9_S9_S9_S9_EENS0_10empty_typeEbEEZZNS1_14partition_implILS5_3ELb0ES3_jNS7_6detail15normal_iteratorINS7_7pointerISA_NS7_11hip_rocprim3tagENS7_11use_defaultESJ_EEEEPSB_SM_NS0_5tupleIJPSA_SM_EEENSN_IJSM_SM_EEESB_PlJ10is_orderedEEE10hipError_tPvRmT3_T4_T5_T6_T7_T9_mT8_P12ihipStream_tbDpT10_ENKUlT_T0_E_clISt17integral_constantIbLb0EES1C_EEDaS17_S18_EUlS17_E_NS1_11comp_targetILNS1_3genE5ELNS1_11target_archE942ELNS1_3gpuE9ELNS1_3repE0EEENS1_30default_config_static_selectorELNS0_4arch9wavefront6targetE1EEEvT1_
; %bb.0:
	s_load_dwordx4 s[20:23], s[0:1], 0x8
	s_load_dwordx4 s[24:27], s[0:1], 0x48
	s_load_dwordx2 s[28:29], s[0:1], 0x58
	s_load_dword s3, s[0:1], 0x70
	s_mov_b32 s35, 0
	s_waitcnt lgkmcnt(0)
	s_lshl_b64 s[4:5], s[22:23], 2
	s_add_u32 s8, s20, s4
	s_addc_u32 s9, s21, s5
	s_add_i32 s6, s3, -1
	s_mulk_i32 s3, 0x1e00
	s_add_i32 s4, s3, s22
	s_sub_i32 s33, s28, s4
	s_addk_i32 s33, 0x1e00
	s_add_u32 s4, s22, s3
	s_addc_u32 s5, s23, 0
	s_cmp_eq_u32 s2, s6
	s_load_dwordx2 s[30:31], s[26:27], 0x0
	s_cselect_b64 s[26:27], -1, 0
	s_cmp_lg_u32 s2, s6
	v_mov_b64_e32 v[2:3], s[28:29]
	s_cselect_b64 s[6:7], -1, 0
	s_mul_i32 s34, s2, 0x1e00
	v_cmp_lt_u64_e32 vcc, s[4:5], v[2:3]
	s_or_b64 s[6:7], s[6:7], vcc
	s_lshl_b64 s[4:5], s[34:35], 2
	s_add_u32 s8, s8, s4
	s_addc_u32 s9, s9, s5
	s_mov_b64 s[4:5], -1
	s_and_b64 vcc, exec, s[6:7]
	v_lshlrev_b32_e32 v20, 2, v0
	s_cbranch_vccz .LBB3529_2
; %bb.1:
	v_mov_b32_e32 v21, 0
	v_lshl_add_u64 v[2:3], s[8:9], 0, v[20:21]
	v_add_co_u32_e32 v4, vcc, 0x1000, v2
	s_mov_b64 s[4:5], 0
	s_nop 0
	v_addc_co_u32_e32 v5, vcc, 0, v3, vcc
	v_add_co_u32_e32 v6, vcc, 0x2000, v2
	s_nop 1
	v_addc_co_u32_e32 v7, vcc, 0, v3, vcc
	v_add_co_u32_e32 v8, vcc, 0x3000, v2
	s_nop 1
	v_addc_co_u32_e32 v9, vcc, 0, v3, vcc
	flat_load_dword v1, v[2:3]
	flat_load_dword v10, v[2:3] offset:2048
	flat_load_dword v11, v[4:5]
	flat_load_dword v12, v[4:5] offset:2048
	;; [unrolled: 2-line block ×4, first 2 shown]
	v_add_co_u32_e32 v4, vcc, 0x4000, v2
	s_nop 1
	v_addc_co_u32_e32 v5, vcc, 0, v3, vcc
	v_add_co_u32_e32 v6, vcc, 0x5000, v2
	s_nop 1
	v_addc_co_u32_e32 v7, vcc, 0, v3, vcc
	;; [unrolled: 3-line block ×4, first 2 shown]
	flat_load_dword v17, v[4:5]
	flat_load_dword v18, v[4:5] offset:2048
	flat_load_dword v19, v[6:7]
	flat_load_dword v21, v[6:7] offset:2048
	;; [unrolled: 2-line block ×3, first 2 shown]
	flat_load_dword v24, v[2:3]
	s_waitcnt vmcnt(0) lgkmcnt(0)
	ds_write2st64_b32 v20, v1, v10 offset1:8
	ds_write2st64_b32 v20, v11, v12 offset0:16 offset1:24
	ds_write2st64_b32 v20, v13, v14 offset0:32 offset1:40
	;; [unrolled: 1-line block ×6, first 2 shown]
	ds_write_b32 v20, v24 offset:28672
	s_waitcnt lgkmcnt(0)
	s_barrier
.LBB3529_2:
	s_andn2_b64 vcc, exec, s[4:5]
	v_cmp_gt_u32_e64 s[4:5], s33, v0
	s_cbranch_vccnz .LBB3529_34
; %bb.3:
	v_mov_b32_e32 v1, 0
	v_mov_b32_e32 v2, 0
	s_and_saveexec_b64 s[10:11], s[4:5]
	s_cbranch_execz .LBB3529_5
; %bb.4:
	v_mov_b32_e32 v21, 0
	v_lshl_add_u64 v[2:3], s[8:9], 0, v[20:21]
	flat_load_dword v2, v[2:3]
.LBB3529_5:
	s_or_b64 exec, exec, s[10:11]
	v_or_b32_e32 v3, 0x200, v0
	v_cmp_gt_u32_e32 vcc, s33, v3
	s_and_saveexec_b64 s[4:5], vcc
	s_cbranch_execz .LBB3529_7
; %bb.6:
	v_mov_b32_e32 v21, 0
	v_lshl_add_u64 v[4:5], s[8:9], 0, v[20:21]
	flat_load_dword v1, v[4:5] offset:2048
.LBB3529_7:
	s_or_b64 exec, exec, s[4:5]
	v_or_b32_e32 v5, 0x400, v0
	v_cmp_gt_u32_e32 vcc, s33, v5
	v_mov_b32_e32 v3, 0
	v_mov_b32_e32 v4, 0
	s_and_saveexec_b64 s[4:5], vcc
	s_cbranch_execz .LBB3529_9
; %bb.8:
	v_lshlrev_b32_e32 v4, 2, v5
	v_mov_b32_e32 v5, 0
	v_lshl_add_u64 v[4:5], s[8:9], 0, v[4:5]
	flat_load_dword v4, v[4:5]
.LBB3529_9:
	s_or_b64 exec, exec, s[4:5]
	v_or_b32_e32 v5, 0x600, v0
	v_cmp_gt_u32_e32 vcc, s33, v5
	s_and_saveexec_b64 s[4:5], vcc
	s_cbranch_execz .LBB3529_11
; %bb.10:
	v_lshlrev_b32_e32 v6, 2, v5
	v_mov_b32_e32 v7, 0
	v_lshl_add_u64 v[6:7], s[8:9], 0, v[6:7]
	flat_load_dword v3, v[6:7]
.LBB3529_11:
	s_or_b64 exec, exec, s[4:5]
	v_or_b32_e32 v7, 0x800, v0
	v_cmp_gt_u32_e32 vcc, s33, v7
	v_mov_b32_e32 v5, 0
	v_mov_b32_e32 v6, 0
	s_and_saveexec_b64 s[4:5], vcc
	s_cbranch_execz .LBB3529_13
; %bb.12:
	v_lshlrev_b32_e32 v6, 2, v7
	v_mov_b32_e32 v7, 0
	v_lshl_add_u64 v[6:7], s[8:9], 0, v[6:7]
	flat_load_dword v6, v[6:7]
.LBB3529_13:
	s_or_b64 exec, exec, s[4:5]
	v_or_b32_e32 v7, 0xa00, v0
	v_cmp_gt_u32_e32 vcc, s33, v7
	s_and_saveexec_b64 s[4:5], vcc
	s_cbranch_execz .LBB3529_15
; %bb.14:
	v_lshlrev_b32_e32 v8, 2, v7
	v_mov_b32_e32 v9, 0
	v_lshl_add_u64 v[8:9], s[8:9], 0, v[8:9]
	flat_load_dword v5, v[8:9]
.LBB3529_15:
	;; [unrolled: 24-line block ×6, first 2 shown]
	s_or_b64 exec, exec, s[4:5]
	v_or_b32_e32 v16, 0x1c00, v0
	v_cmp_gt_u32_e32 vcc, s33, v16
	v_mov_b32_e32 v15, 0
	s_and_saveexec_b64 s[4:5], vcc
	s_cbranch_execz .LBB3529_33
; %bb.32:
	v_lshlrev_b32_e32 v16, 2, v16
	v_mov_b32_e32 v17, 0
	v_lshl_add_u64 v[16:17], s[8:9], 0, v[16:17]
	flat_load_dword v15, v[16:17]
.LBB3529_33:
	s_or_b64 exec, exec, s[4:5]
	s_waitcnt vmcnt(0) lgkmcnt(0)
	ds_write2st64_b32 v20, v2, v1 offset1:8
	ds_write2st64_b32 v20, v4, v3 offset0:16 offset1:24
	ds_write2st64_b32 v20, v6, v5 offset0:32 offset1:40
	;; [unrolled: 1-line block ×6, first 2 shown]
	ds_write_b32 v20, v15 offset:28672
	s_waitcnt lgkmcnt(0)
	s_barrier
.LBB3529_34:
	v_mul_u32_u24_e32 v21, 15, v0
	v_lshlrev_b32_e32 v40, 2, v21
	s_waitcnt lgkmcnt(0)
	ds_read2_b32 v[34:35], v40 offset1:1
	ds_read2_b32 v[32:33], v40 offset0:2 offset1:3
	ds_read2_b32 v[30:31], v40 offset0:4 offset1:5
	;; [unrolled: 1-line block ×6, first 2 shown]
	ds_read_b32 v1, v40 offset:56
	v_cndmask_b32_e64 v2, 0, 1, s[6:7]
	v_cmp_ne_u32_e64 s[20:21], 1, v2
	s_andn2_b64 vcc, exec, s[6:7]
	s_waitcnt lgkmcnt(7)
	v_cmp_le_i16_sdwa s[6:7], v34, v34 src0_sel:DWORD src1_sel:WORD_1
	v_cmp_le_i16_sdwa s[8:9], v35, v35 src0_sel:DWORD src1_sel:WORD_1
	s_waitcnt lgkmcnt(6)
	v_cmp_le_i16_sdwa s[10:11], v32, v32 src0_sel:DWORD src1_sel:WORD_1
	v_cmp_le_i16_sdwa s[12:13], v33, v33 src0_sel:DWORD src1_sel:WORD_1
	;; [unrolled: 3-line block ×7, first 2 shown]
	s_waitcnt lgkmcnt(0)
	v_cmp_le_i16_sdwa s[4:5], v1, v1 src0_sel:DWORD src1_sel:WORD_1
	s_barrier
	s_cbranch_vccnz .LBB3529_36
; %bb.35:
	v_cndmask_b32_e64 v3, 0, 1, s[8:9]
	v_cndmask_b32_e64 v2, 0, 1, s[6:7]
	;; [unrolled: 1-line block ×3, first 2 shown]
	v_lshlrev_b16_e32 v3, 8, v3
	v_cndmask_b32_e64 v4, 0, 1, s[10:11]
	v_or_b32_e32 v2, v2, v3
	v_lshlrev_b16_e32 v3, 8, v5
	v_cndmask_b32_e64 v7, 0, 1, s[16:17]
	v_cndmask_b32_e64 v9, 0, 1, s[36:37]
	v_or_b32_sdwa v3, v4, v3 dst_sel:WORD_1 dst_unused:UNUSED_PAD src0_sel:DWORD src1_sel:DWORD
	v_cndmask_b32_e64 v6, 0, 1, s[14:15]
	v_cndmask_b32_e64 v8, 0, 1, s[18:19]
	v_or_b32_sdwa v41, v2, v3 dst_sel:DWORD dst_unused:UNUSED_PAD src0_sel:WORD_0 src1_sel:DWORD
	v_lshlrev_b16_e32 v2, 8, v7
	v_lshlrev_b16_e32 v3, 8, v9
	v_cndmask_b32_e64 v11, 0, 1, s[40:41]
	v_cndmask_b32_e64 v13, 0, 1, s[44:45]
	v_or_b32_e32 v2, v6, v2
	v_or_b32_sdwa v3, v8, v3 dst_sel:WORD_1 dst_unused:UNUSED_PAD src0_sel:DWORD src1_sel:DWORD
	v_cndmask_b32_e64 v10, 0, 1, s[38:39]
	v_cndmask_b32_e64 v12, 0, 1, s[42:43]
	v_or_b32_sdwa v39, v2, v3 dst_sel:DWORD dst_unused:UNUSED_PAD src0_sel:WORD_0 src1_sel:DWORD
	v_lshlrev_b16_e32 v2, 8, v11
	v_lshlrev_b16_e32 v3, 8, v13
	v_or_b32_e32 v2, v10, v2
	v_or_b32_sdwa v3, v12, v3 dst_sel:WORD_1 dst_unused:UNUSED_PAD src0_sel:DWORD src1_sel:DWORD
	v_cndmask_b32_e64 v37, 0, 1, s[46:47]
	v_cndmask_b32_e64 v36, 0, 1, s[48:49]
	v_or_b32_sdwa v38, v2, v3 dst_sel:DWORD dst_unused:UNUSED_PAD src0_sel:WORD_0 src1_sel:DWORD
	s_and_b64 s[36:37], s[4:5], exec
	s_load_dwordx2 s[38:39], s[0:1], 0x68
	s_cbranch_execz .LBB3529_37
	s_branch .LBB3529_38
.LBB3529_36:
                                        ; implicit-def: $sgpr36_sgpr37
                                        ; implicit-def: $vgpr36
                                        ; implicit-def: $vgpr37
                                        ; implicit-def: $vgpr38
                                        ; implicit-def: $vgpr39
                                        ; implicit-def: $vgpr41
	s_load_dwordx2 s[38:39], s[0:1], 0x68
.LBB3529_37:
	v_cmp_gt_u32_e32 vcc, s33, v21
	v_cmp_le_i16_sdwa s[4:5], v34, v34 src0_sel:DWORD src1_sel:WORD_1
	v_add_u32_e32 v2, 1, v21
	s_and_b64 s[4:5], vcc, s[4:5]
	v_cndmask_b32_e64 v16, 0, 1, s[4:5]
	v_cmp_gt_u32_e32 vcc, s33, v2
	v_cmp_le_i16_sdwa s[4:5], v35, v35 src0_sel:DWORD src1_sel:WORD_1
	v_add_u32_e32 v3, 2, v21
	s_and_b64 s[4:5], vcc, s[4:5]
	v_cndmask_b32_e64 v2, 0, 1, s[4:5]
	;; [unrolled: 5-line block ×12, first 2 shown]
	v_cmp_gt_u32_e32 vcc, s33, v13
	v_cmp_le_i16_sdwa s[4:5], v22, v22 src0_sel:DWORD src1_sel:WORD_1
	v_add_u32_e32 v14, 13, v21
	s_and_b64 s[4:5], vcc, s[4:5]
	v_lshlrev_b16_e32 v2, 8, v2
	v_lshlrev_b16_e32 v4, 8, v4
	v_cndmask_b32_e64 v37, 0, 1, s[4:5]
	v_cmp_gt_u32_e32 vcc, s33, v14
	v_cmp_le_i16_sdwa s[4:5], v23, v23 src0_sel:DWORD src1_sel:WORD_1
	v_or_b32_e32 v2, v16, v2
	v_or_b32_sdwa v3, v3, v4 dst_sel:WORD_1 dst_unused:UNUSED_PAD src0_sel:DWORD src1_sel:DWORD
	v_add_u32_e32 v15, 14, v21
	s_and_b64 s[4:5], vcc, s[4:5]
	v_or_b32_sdwa v41, v2, v3 dst_sel:DWORD dst_unused:UNUSED_PAD src0_sel:WORD_0 src1_sel:DWORD
	v_lshlrev_b16_e32 v2, 8, v6
	v_lshlrev_b16_e32 v3, 8, v8
	v_cndmask_b32_e64 v36, 0, 1, s[4:5]
	v_cmp_gt_u32_e32 vcc, s33, v15
	v_cmp_le_i16_sdwa s[4:5], v1, v1 src0_sel:DWORD src1_sel:WORD_1
	v_or_b32_e32 v2, v5, v2
	v_or_b32_sdwa v3, v7, v3 dst_sel:WORD_1 dst_unused:UNUSED_PAD src0_sel:DWORD src1_sel:DWORD
	s_and_b64 s[4:5], vcc, s[4:5]
	v_or_b32_sdwa v39, v2, v3 dst_sel:DWORD dst_unused:UNUSED_PAD src0_sel:WORD_0 src1_sel:DWORD
	v_lshlrev_b16_e32 v2, 8, v10
	v_lshlrev_b16_e32 v3, 8, v12
	v_or_b32_e32 v2, v9, v2
	v_or_b32_sdwa v3, v11, v3 dst_sel:WORD_1 dst_unused:UNUSED_PAD src0_sel:DWORD src1_sel:DWORD
	s_andn2_b64 s[6:7], s[36:37], exec
	s_and_b64 s[4:5], s[4:5], exec
	v_or_b32_sdwa v38, v2, v3 dst_sel:DWORD dst_unused:UNUSED_PAD src0_sel:WORD_0 src1_sel:DWORD
	s_or_b64 s[36:37], s[6:7], s[4:5]
.LBB3529_38:
	v_and_b32_e32 v45, 0xff, v41
	v_bfe_u32 v46, v41, 8, 8
	v_cndmask_b32_e64 v2, 0, 1, s[36:37]
	v_bfe_u32 v47, v41, 16, 8
	v_lshrrev_b32_e32 v44, 24, v41
	v_add3_u32 v2, v45, v2, v46
	v_and_b32_e32 v48, 0xff, v39
	v_bfe_u32 v49, v39, 8, 8
	v_add3_u32 v2, v2, v47, v44
	v_bfe_u32 v50, v39, 16, 8
	v_lshrrev_b32_e32 v43, 24, v39
	v_add3_u32 v2, v2, v48, v49
	v_and_b32_e32 v51, 0xff, v38
	v_bfe_u32 v53, v38, 8, 8
	v_add3_u32 v2, v2, v50, v43
	v_bfe_u32 v54, v38, 16, 8
	v_lshrrev_b32_e32 v42, 24, v38
	v_add3_u32 v2, v2, v51, v53
	v_and_b32_e32 v55, 0xff, v37
	v_and_b32_e32 v56, 0xff, v36
	v_add3_u32 v2, v2, v54, v42
	v_add3_u32 v59, v2, v55, v56
	v_mbcnt_lo_u32_b32 v2, -1, 0
	v_mbcnt_hi_u32_b32 v57, -1, v2
	v_and_b32_e32 v2, 15, v57
	v_cmp_eq_u32_e64 s[16:17], 0, v2
	v_cmp_lt_u32_e64 s[14:15], 1, v2
	v_cmp_lt_u32_e64 s[12:13], 3, v2
	v_cmp_lt_u32_e64 s[10:11], 7, v2
	v_and_b32_e32 v2, 16, v57
	v_cmp_eq_u32_e64 s[8:9], 0, v2
	v_or_b32_e32 v2, 63, v0
	s_cmp_lg_u32 s2, 0
	v_cmp_lt_u32_e64 s[4:5], 31, v57
	v_lshrrev_b32_e32 v58, 6, v0
	v_cmp_eq_u32_e64 s[6:7], v2, v0
	s_cbranch_scc0 .LBB3529_65
; %bb.39:
	v_mov_b32_dpp v2, v59 row_shr:1 row_mask:0xf bank_mask:0xf
	v_cndmask_b32_e64 v2, v2, 0, s[16:17]
	v_add_u32_e32 v2, v2, v59
	s_nop 1
	v_mov_b32_dpp v3, v2 row_shr:2 row_mask:0xf bank_mask:0xf
	v_cndmask_b32_e64 v3, 0, v3, s[14:15]
	v_add_u32_e32 v2, v2, v3
	s_nop 1
	;; [unrolled: 4-line block ×4, first 2 shown]
	v_mov_b32_dpp v3, v2 row_bcast:15 row_mask:0xf bank_mask:0xf
	v_cndmask_b32_e64 v3, v3, 0, s[8:9]
	v_add_u32_e32 v2, v2, v3
	s_nop 1
	v_mov_b32_dpp v3, v2 row_bcast:31 row_mask:0xf bank_mask:0xf
	v_cndmask_b32_e64 v3, 0, v3, s[4:5]
	v_add_u32_e32 v2, v2, v3
	s_and_saveexec_b64 s[18:19], s[6:7]
	s_cbranch_execz .LBB3529_41
; %bb.40:
	v_lshlrev_b32_e32 v3, 2, v58
	ds_write_b32 v3, v2
.LBB3529_41:
	s_or_b64 exec, exec, s[18:19]
	v_cmp_gt_u32_e32 vcc, 8, v0
	s_waitcnt lgkmcnt(0)
	s_barrier
	s_and_saveexec_b64 s[18:19], vcc
	s_cbranch_execz .LBB3529_43
; %bb.42:
	ds_read_b32 v3, v20
	v_and_b32_e32 v4, 7, v57
	v_cmp_ne_u32_e32 vcc, 0, v4
	s_waitcnt lgkmcnt(0)
	v_mov_b32_dpp v5, v3 row_shr:1 row_mask:0xf bank_mask:0xf
	v_cndmask_b32_e32 v5, 0, v5, vcc
	v_add_u32_e32 v3, v5, v3
	v_cmp_lt_u32_e32 vcc, 1, v4
	s_nop 0
	v_mov_b32_dpp v5, v3 row_shr:2 row_mask:0xf bank_mask:0xf
	v_cndmask_b32_e32 v5, 0, v5, vcc
	v_add_u32_e32 v3, v3, v5
	v_cmp_lt_u32_e32 vcc, 3, v4
	s_nop 0
	v_mov_b32_dpp v5, v3 row_shr:4 row_mask:0xf bank_mask:0xf
	v_cndmask_b32_e32 v4, 0, v5, vcc
	v_add_u32_e32 v3, v3, v4
	ds_write_b32 v20, v3
.LBB3529_43:
	s_or_b64 exec, exec, s[18:19]
	v_cmp_gt_u32_e32 vcc, 64, v0
	v_cmp_lt_u32_e64 s[18:19], 63, v0
	s_waitcnt lgkmcnt(0)
	s_barrier
	s_waitcnt lgkmcnt(0)
                                        ; implicit-def: $vgpr12
	s_and_saveexec_b64 s[40:41], s[18:19]
	s_cbranch_execz .LBB3529_45
; %bb.44:
	v_lshl_add_u32 v3, v58, 2, -4
	ds_read_b32 v12, v3
	s_waitcnt lgkmcnt(0)
	v_add_u32_e32 v2, v12, v2
.LBB3529_45:
	s_or_b64 exec, exec, s[40:41]
	v_add_u32_e32 v3, -1, v57
	v_and_b32_e32 v4, 64, v57
	v_cmp_lt_i32_e64 s[18:19], v3, v4
	s_nop 1
	v_cndmask_b32_e64 v3, v3, v57, s[18:19]
	v_lshlrev_b32_e32 v3, 2, v3
	ds_bpermute_b32 v13, v3, v2
	v_cmp_eq_u32_e64 s[18:19], 0, v57
	s_and_saveexec_b64 s[40:41], vcc
	s_cbranch_execz .LBB3529_64
; %bb.46:
	v_mov_b32_e32 v9, 0
	ds_read_b32 v2, v9 offset:28
	s_and_saveexec_b64 s[42:43], s[18:19]
	s_cbranch_execz .LBB3529_48
; %bb.47:
	s_add_i32 s44, s2, 64
	s_mov_b32 s45, 0
	s_lshl_b64 s[44:45], s[44:45], 3
	s_add_u32 s44, s38, s44
	v_mov_b32_e32 v3, 1
	s_addc_u32 s45, s39, s45
	s_waitcnt lgkmcnt(0)
	global_store_dwordx2 v9, v[2:3], s[44:45] sc1
.LBB3529_48:
	s_or_b64 exec, exec, s[42:43]
	v_xad_u32 v4, v57, -1, s2
	v_add_u32_e32 v8, 64, v4
	v_lshl_add_u64 v[10:11], v[8:9], 3, s[38:39]
	global_load_dwordx2 v[6:7], v[10:11], off sc1
	s_waitcnt vmcnt(0)
	v_cmp_eq_u16_sdwa s[44:45], v7, v9 src0_sel:BYTE_0 src1_sel:DWORD
	s_and_saveexec_b64 s[42:43], s[44:45]
	s_cbranch_execz .LBB3529_52
; %bb.49:
	s_mov_b64 s[44:45], 0
	v_mov_b32_e32 v3, 0
.LBB3529_50:                            ; =>This Inner Loop Header: Depth=1
	global_load_dwordx2 v[6:7], v[10:11], off sc1
	s_waitcnt vmcnt(0)
	v_cmp_ne_u16_sdwa s[46:47], v7, v3 src0_sel:BYTE_0 src1_sel:DWORD
	s_or_b64 s[44:45], s[46:47], s[44:45]
	s_andn2_b64 exec, exec, s[44:45]
	s_cbranch_execnz .LBB3529_50
; %bb.51:
	s_or_b64 exec, exec, s[44:45]
.LBB3529_52:
	s_or_b64 exec, exec, s[42:43]
	v_and_b32_e32 v15, 63, v57
	v_mov_b32_e32 v14, 2
	v_cmp_ne_u32_e32 vcc, 63, v15
	v_cmp_eq_u16_sdwa s[42:43], v7, v14 src0_sel:BYTE_0 src1_sel:DWORD
	v_lshlrev_b64 v[8:9], v57, -1
	v_addc_co_u32_e32 v10, vcc, 0, v57, vcc
	v_and_b32_e32 v3, s43, v9
	v_lshlrev_b32_e32 v16, 2, v10
	v_or_b32_e32 v3, 0x80000000, v3
	ds_bpermute_b32 v10, v16, v6
	v_and_b32_e32 v5, s42, v8
	v_ffbl_b32_e32 v3, v3
	v_add_u32_e32 v3, 32, v3
	v_ffbl_b32_e32 v5, v5
	v_min_u32_e32 v3, v5, v3
	v_cmp_lt_u32_e32 vcc, v15, v3
	v_add_u32_e32 v18, 2, v15
	v_add_u32_e32 v52, 4, v15
	s_waitcnt lgkmcnt(0)
	v_cndmask_b32_e32 v5, 0, v10, vcc
	v_cmp_gt_u32_e32 vcc, 62, v15
	v_add_u32_e32 v5, v5, v6
	v_add_u32_e32 v61, 8, v15
	v_cndmask_b32_e64 v6, 0, 1, vcc
	v_lshlrev_b32_e32 v6, 1, v6
	v_add_lshl_u32 v17, v6, v57, 2
	ds_bpermute_b32 v6, v17, v5
	v_cmp_le_u32_e32 vcc, v18, v3
	v_add_u32_e32 v63, 16, v15
	v_add_u32_e32 v65, 32, v15
	s_waitcnt lgkmcnt(0)
	v_cndmask_b32_e32 v6, 0, v6, vcc
	v_cmp_gt_u32_e32 vcc, 60, v15
	v_add_u32_e32 v5, v5, v6
	s_nop 0
	v_cndmask_b32_e64 v6, 0, 1, vcc
	v_lshlrev_b32_e32 v6, 2, v6
	v_add_lshl_u32 v19, v6, v57, 2
	ds_bpermute_b32 v6, v19, v5
	v_cmp_le_u32_e32 vcc, v52, v3
	s_waitcnt lgkmcnt(0)
	s_nop 0
	v_cndmask_b32_e32 v6, 0, v6, vcc
	v_cmp_gt_u32_e32 vcc, 56, v15
	v_add_u32_e32 v5, v5, v6
	s_nop 0
	v_cndmask_b32_e64 v6, 0, 1, vcc
	v_lshlrev_b32_e32 v6, 3, v6
	v_add_lshl_u32 v60, v6, v57, 2
	ds_bpermute_b32 v6, v60, v5
	v_cmp_le_u32_e32 vcc, v61, v3
	s_waitcnt lgkmcnt(0)
	s_nop 0
	;; [unrolled: 11-line block ×4, first 2 shown]
	v_cndmask_b32_e32 v3, 0, v6, vcc
	v_add_u32_e32 v6, v5, v3
	v_mov_b32_e32 v5, 0
	s_branch .LBB3529_54
.LBB3529_53:                            ;   in Loop: Header=BB3529_54 Depth=1
	s_or_b64 exec, exec, s[42:43]
	v_cmp_eq_u16_sdwa s[42:43], v7, v14 src0_sel:BYTE_0 src1_sel:DWORD
	ds_bpermute_b32 v66, v16, v6
	v_subrev_u32_e32 v4, 64, v4
	v_and_b32_e32 v10, s43, v9
	v_or_b32_e32 v10, 0x80000000, v10
	v_and_b32_e32 v11, s42, v8
	v_ffbl_b32_e32 v10, v10
	v_add_u32_e32 v10, 32, v10
	v_ffbl_b32_e32 v11, v11
	v_min_u32_e32 v10, v11, v10
	v_cmp_lt_u32_e32 vcc, v15, v10
	s_waitcnt lgkmcnt(0)
	s_nop 0
	v_cndmask_b32_e32 v11, 0, v66, vcc
	v_add_u32_e32 v6, v11, v6
	ds_bpermute_b32 v11, v17, v6
	v_cmp_le_u32_e32 vcc, v18, v10
	s_waitcnt lgkmcnt(0)
	s_nop 0
	v_cndmask_b32_e32 v11, 0, v11, vcc
	v_add_u32_e32 v6, v6, v11
	ds_bpermute_b32 v11, v19, v6
	v_cmp_le_u32_e32 vcc, v52, v10
	;; [unrolled: 6-line block ×5, first 2 shown]
	s_waitcnt lgkmcnt(0)
	s_nop 0
	v_cndmask_b32_e32 v10, 0, v11, vcc
	v_add3_u32 v6, v10, v3, v6
.LBB3529_54:                            ; =>This Loop Header: Depth=1
                                        ;     Child Loop BB3529_57 Depth 2
	v_cmp_ne_u16_sdwa s[42:43], v7, v14 src0_sel:BYTE_0 src1_sel:DWORD
	s_nop 1
	v_cndmask_b32_e64 v3, 0, 1, s[42:43]
	;;#ASMSTART
	;;#ASMEND
	s_nop 0
	v_cmp_ne_u32_e32 vcc, 0, v3
	s_cmp_lg_u64 vcc, exec
	v_mov_b32_e32 v3, v6
	s_cbranch_scc1 .LBB3529_59
; %bb.55:                               ;   in Loop: Header=BB3529_54 Depth=1
	v_lshl_add_u64 v[10:11], v[4:5], 3, s[38:39]
	global_load_dwordx2 v[6:7], v[10:11], off sc1
	s_waitcnt vmcnt(0)
	v_cmp_eq_u16_sdwa s[44:45], v7, v5 src0_sel:BYTE_0 src1_sel:DWORD
	s_and_saveexec_b64 s[42:43], s[44:45]
	s_cbranch_execz .LBB3529_53
; %bb.56:                               ;   in Loop: Header=BB3529_54 Depth=1
	s_mov_b64 s[44:45], 0
.LBB3529_57:                            ;   Parent Loop BB3529_54 Depth=1
                                        ; =>  This Inner Loop Header: Depth=2
	global_load_dwordx2 v[6:7], v[10:11], off sc1
	s_waitcnt vmcnt(0)
	v_cmp_ne_u16_sdwa s[46:47], v7, v5 src0_sel:BYTE_0 src1_sel:DWORD
	s_or_b64 s[44:45], s[46:47], s[44:45]
	s_andn2_b64 exec, exec, s[44:45]
	s_cbranch_execnz .LBB3529_57
; %bb.58:                               ;   in Loop: Header=BB3529_54 Depth=1
	s_or_b64 exec, exec, s[44:45]
	s_branch .LBB3529_53
.LBB3529_59:                            ;   in Loop: Header=BB3529_54 Depth=1
                                        ; implicit-def: $vgpr6
                                        ; implicit-def: $vgpr7
	s_cbranch_execz .LBB3529_54
; %bb.60:
	s_and_saveexec_b64 s[42:43], s[18:19]
	s_cbranch_execz .LBB3529_62
; %bb.61:
	s_add_i32 s2, s2, 64
	s_mov_b32 s3, 0
	s_lshl_b64 s[2:3], s[2:3], 3
	s_add_u32 s2, s38, s2
	v_add_u32_e32 v4, v3, v2
	v_mov_b32_e32 v5, 2
	s_addc_u32 s3, s39, s3
	v_mov_b32_e32 v6, 0
	global_store_dwordx2 v6, v[4:5], s[2:3] sc1
	ds_write_b64 v6, v[2:3] offset:30720
.LBB3529_62:
	s_or_b64 exec, exec, s[42:43]
	v_cmp_eq_u32_e32 vcc, 0, v0
	s_and_b64 exec, exec, vcc
	s_cbranch_execz .LBB3529_64
; %bb.63:
	v_mov_b32_e32 v2, 0
	ds_write_b32 v2, v3 offset:28
.LBB3529_64:
	s_or_b64 exec, exec, s[40:41]
	v_mov_b32_e32 v14, 0
	s_waitcnt lgkmcnt(0)
	s_barrier
	ds_read_b32 v2, v14 offset:28
	v_cndmask_b32_e64 v3, v13, v12, s[18:19]
	v_cmp_ne_u32_e32 vcc, 0, v0
	s_waitcnt lgkmcnt(0)
	s_barrier
	v_cndmask_b32_e32 v3, 0, v3, vcc
	v_add_u32_e32 v2, v2, v3
	v_add_u32_e32 v3, v2, v45
	;; [unrolled: 1-line block ×10, first 2 shown]
	ds_read_b64 v[18:19], v14 offset:30720
	v_add_u32_e32 v12, v11, v53
	v_add_u32_e32 v13, v12, v54
	v_add_u32_e32 v14, v13, v42
	v_add_u32_e32 v15, v14, v55
	v_add_u32_e32 v16, v15, v56
	s_waitcnt lgkmcnt(0)
	v_mov_b32_e32 v52, v19
	s_load_dwordx2 s[2:3], s[0:1], 0x28
	s_branch .LBB3529_75
.LBB3529_65:
                                        ; implicit-def: $vgpr52
                                        ; implicit-def: $vgpr18
                                        ; implicit-def: $vgpr2_vgpr3_vgpr4_vgpr5_vgpr6_vgpr7_vgpr8_vgpr9_vgpr10_vgpr11_vgpr12_vgpr13_vgpr14_vgpr15_vgpr16_vgpr17
	s_load_dwordx2 s[2:3], s[0:1], 0x28
	s_cbranch_execz .LBB3529_75
; %bb.66:
	v_mov_b32_dpp v2, v59 row_shr:1 row_mask:0xf bank_mask:0xf
	v_cndmask_b32_e64 v2, v2, 0, s[16:17]
	v_add_u32_e32 v2, v2, v59
	s_nop 1
	v_mov_b32_dpp v3, v2 row_shr:2 row_mask:0xf bank_mask:0xf
	v_cndmask_b32_e64 v3, 0, v3, s[14:15]
	v_add_u32_e32 v2, v2, v3
	s_nop 1
	;; [unrolled: 4-line block ×4, first 2 shown]
	v_mov_b32_dpp v3, v2 row_bcast:15 row_mask:0xf bank_mask:0xf
	v_cndmask_b32_e64 v3, v3, 0, s[8:9]
	v_add_u32_e32 v2, v2, v3
	s_nop 1
	v_mov_b32_dpp v3, v2 row_bcast:31 row_mask:0xf bank_mask:0xf
	v_cndmask_b32_e64 v3, 0, v3, s[4:5]
	v_add_u32_e32 v2, v2, v3
	s_and_saveexec_b64 s[0:1], s[6:7]
	s_cbranch_execz .LBB3529_68
; %bb.67:
	v_lshlrev_b32_e32 v3, 2, v58
	ds_write_b32 v3, v2
.LBB3529_68:
	s_or_b64 exec, exec, s[0:1]
	v_cmp_gt_u32_e32 vcc, 8, v0
	s_waitcnt lgkmcnt(0)
	s_barrier
	s_and_saveexec_b64 s[0:1], vcc
	s_cbranch_execz .LBB3529_70
; %bb.69:
	s_movk_i32 s4, 0xffc8
	v_mad_i32_i24 v3, v0, s4, v40
	ds_read_b32 v4, v3
	v_and_b32_e32 v5, 7, v57
	v_cmp_ne_u32_e32 vcc, 0, v5
	s_waitcnt lgkmcnt(0)
	v_mov_b32_dpp v6, v4 row_shr:1 row_mask:0xf bank_mask:0xf
	v_cndmask_b32_e32 v6, 0, v6, vcc
	v_add_u32_e32 v4, v6, v4
	v_cmp_lt_u32_e32 vcc, 1, v5
	s_nop 0
	v_mov_b32_dpp v6, v4 row_shr:2 row_mask:0xf bank_mask:0xf
	v_cndmask_b32_e32 v6, 0, v6, vcc
	v_add_u32_e32 v4, v4, v6
	v_cmp_lt_u32_e32 vcc, 3, v5
	s_nop 0
	v_mov_b32_dpp v6, v4 row_shr:4 row_mask:0xf bank_mask:0xf
	v_cndmask_b32_e32 v5, 0, v6, vcc
	v_add_u32_e32 v4, v4, v5
	ds_write_b32 v3, v4
.LBB3529_70:
	s_or_b64 exec, exec, s[0:1]
	v_cmp_lt_u32_e32 vcc, 63, v0
	v_mov_b32_e32 v4, 0
	v_mov_b32_e32 v3, 0
	s_waitcnt lgkmcnt(0)
	s_barrier
	s_and_saveexec_b64 s[0:1], vcc
	s_cbranch_execz .LBB3529_72
; %bb.71:
	v_lshl_add_u32 v3, v58, 2, -4
	ds_read_b32 v3, v3
.LBB3529_72:
	s_or_b64 exec, exec, s[0:1]
	v_add_u32_e32 v5, -1, v57
	v_and_b32_e32 v6, 64, v57
	v_cmp_lt_i32_e32 vcc, v5, v6
	s_waitcnt lgkmcnt(0)
	v_add_u32_e32 v2, v3, v2
	ds_read_b32 v18, v4 offset:28
	v_cndmask_b32_e32 v5, v5, v57, vcc
	v_lshlrev_b32_e32 v5, 2, v5
	ds_bpermute_b32 v2, v5, v2
	v_cmp_eq_u32_e32 vcc, 0, v0
	s_and_saveexec_b64 s[0:1], vcc
	s_cbranch_execz .LBB3529_74
; %bb.73:
	v_mov_b32_e32 v4, 0
	v_mov_b32_e32 v19, 2
	s_waitcnt lgkmcnt(1)
	global_store_dwordx2 v4, v[18:19], s[38:39] offset:512 sc1
.LBB3529_74:
	s_or_b64 exec, exec, s[0:1]
	v_cmp_eq_u32_e64 s[0:1], 0, v57
	v_mov_b32_e32 v52, 0
	s_waitcnt lgkmcnt(0)
	v_cndmask_b32_e64 v2, v2, v3, s[0:1]
	v_cndmask_b32_e64 v2, v2, 0, vcc
	v_add_u32_e32 v3, v2, v45
	v_add_u32_e32 v4, v3, v46
	;; [unrolled: 1-line block ×14, first 2 shown]
	s_barrier
.LBB3529_75:
	v_add_u32_e32 v21, v18, v21
	v_sub_u32_e32 v2, v2, v52
	v_and_b32_e32 v46, 1, v41
	v_sub_u32_e32 v45, v21, v2
	v_cmp_eq_u32_e32 vcc, 1, v46
	v_lshrrev_b32_e32 v40, 8, v41
	v_lshrrev_b32_e32 v19, 8, v39
	v_cndmask_b32_e32 v2, v45, v2, vcc
	v_lshlrev_b32_e32 v2, 2, v2
	ds_write_b32 v2, v34
	v_sub_u32_e32 v2, v3, v52
	v_sub_u32_e32 v3, v21, v2
	v_and_b32_e32 v34, 1, v40
	v_add_u32_e32 v3, 1, v3
	v_cmp_eq_u32_e32 vcc, 1, v34
	v_lshrrev_b32_e32 v17, 8, v38
	s_add_u32 s0, s22, s34
	v_cndmask_b32_e32 v2, v3, v2, vcc
	v_lshlrev_b32_e32 v2, 2, v2
	ds_write_b32 v2, v35
	v_sub_u32_e32 v2, v4, v52
	v_mov_b32_e32 v4, 1
	v_sub_u32_e32 v3, v21, v2
	v_and_b32_sdwa v34, v4, v41 dst_sel:DWORD dst_unused:UNUSED_PAD src0_sel:DWORD src1_sel:WORD_1
	v_add_u32_e32 v3, 2, v3
	v_cmp_eq_u32_e32 vcc, 1, v34
	s_addc_u32 s1, s23, 0
	s_sub_u32 s0, s28, s0
	v_cndmask_b32_e32 v2, v3, v2, vcc
	v_lshlrev_b32_e32 v2, 2, v2
	ds_write_b32 v2, v32
	v_sub_u32_e32 v2, v5, v52
	v_sub_u32_e32 v3, v21, v2
	v_and_b32_e32 v5, 1, v44
	v_add_u32_e32 v3, 3, v3
	v_cmp_eq_u32_e32 vcc, 1, v5
	v_and_b32_e32 v5, 1, v39
	s_subb_u32 s1, s29, s1
	v_cndmask_b32_e32 v2, v3, v2, vcc
	v_lshlrev_b32_e32 v2, 2, v2
	ds_write_b32 v2, v33
	v_sub_u32_e32 v2, v6, v52
	v_sub_u32_e32 v3, v21, v2
	v_add_u32_e32 v3, 4, v3
	v_cmp_eq_u32_e32 vcc, 1, v5
	v_and_b32_e32 v5, 1, v19
	v_or_b32_e32 v50, 0x200, v0
	v_cndmask_b32_e32 v2, v3, v2, vcc
	v_lshlrev_b32_e32 v2, 2, v2
	ds_write_b32 v2, v30
	v_sub_u32_e32 v2, v7, v52
	v_sub_u32_e32 v3, v21, v2
	v_add_u32_e32 v3, 5, v3
	v_cmp_eq_u32_e32 vcc, 1, v5
	v_and_b32_sdwa v5, v4, v39 dst_sel:DWORD dst_unused:UNUSED_PAD src0_sel:DWORD src1_sel:WORD_1
	v_and_b32_sdwa v4, v4, v38 dst_sel:DWORD dst_unused:UNUSED_PAD src0_sel:DWORD src1_sel:WORD_1
	v_cndmask_b32_e32 v2, v3, v2, vcc
	v_lshlrev_b32_e32 v2, 2, v2
	ds_write_b32 v2, v31
	v_sub_u32_e32 v2, v8, v52
	v_sub_u32_e32 v3, v21, v2
	v_add_u32_e32 v3, 6, v3
	v_cmp_eq_u32_e32 vcc, 1, v5
	v_and_b32_e32 v5, 1, v43
	v_or_b32_e32 v46, 0x400, v0
	v_cndmask_b32_e32 v2, v3, v2, vcc
	v_lshlrev_b32_e32 v2, 2, v2
	ds_write_b32 v2, v28
	v_sub_u32_e32 v2, v9, v52
	v_sub_u32_e32 v3, v21, v2
	v_add_u32_e32 v3, 7, v3
	v_cmp_eq_u32_e32 vcc, 1, v5
	v_and_b32_e32 v5, 1, v38
	v_or_b32_e32 v44, 0x600, v0
	;; [unrolled: 9-line block ×3, first 2 shown]
	v_cndmask_b32_e32 v2, v3, v2, vcc
	v_lshlrev_b32_e32 v2, 2, v2
	ds_write_b32 v2, v26
	v_sub_u32_e32 v2, v11, v52
	v_sub_u32_e32 v3, v21, v2
	v_add_u32_e32 v3, 9, v3
	v_cmp_eq_u32_e32 vcc, 1, v5
	v_or_b32_e32 v38, 0xa00, v0
	v_or_b32_e32 v34, 0xc00, v0
	v_cndmask_b32_e32 v2, v3, v2, vcc
	v_lshlrev_b32_e32 v2, 2, v2
	ds_write_b32 v2, v27
	v_sub_u32_e32 v2, v12, v52
	v_sub_u32_e32 v3, v21, v2
	v_add_u32_e32 v3, 10, v3
	v_cmp_eq_u32_e32 vcc, 1, v4
	v_and_b32_e32 v4, 1, v42
	v_or_b32_e32 v32, 0xe00, v0
	v_cndmask_b32_e32 v2, v3, v2, vcc
	v_lshlrev_b32_e32 v2, 2, v2
	ds_write_b32 v2, v24
	v_sub_u32_e32 v2, v13, v52
	v_sub_u32_e32 v3, v21, v2
	v_add_u32_e32 v3, 11, v3
	v_cmp_eq_u32_e32 vcc, 1, v4
	v_and_b32_e32 v4, 1, v37
	;; [unrolled: 9-line block ×3, first 2 shown]
	v_or_b32_e32 v26, 0x1200, v0
	v_cndmask_b32_e32 v2, v3, v2, vcc
	v_lshlrev_b32_e32 v2, 2, v2
	ds_write_b32 v2, v22
	v_sub_u32_e32 v2, v15, v52
	v_sub_u32_e32 v3, v21, v2
	v_add_u32_e32 v3, 13, v3
	v_cmp_eq_u32_e32 vcc, 1, v4
	v_or_b32_e32 v22, 0x1400, v0
	v_or_b32_e32 v12, 0x1800, v0
	v_cndmask_b32_e32 v2, v3, v2, vcc
	v_lshlrev_b32_e32 v2, 2, v2
	ds_write_b32 v2, v23
	v_sub_u32_e32 v2, v16, v52
	v_sub_u32_e32 v3, v21, v2
	v_add_u32_e32 v3, 14, v3
	v_cndmask_b32_e64 v2, v3, v2, s[36:37]
	v_lshlrev_b32_e32 v2, 2, v2
	ds_write_b32 v2, v1
	s_waitcnt lgkmcnt(0)
	s_barrier
	ds_read2st64_b32 v[48:49], v20 offset1:8
	ds_read2st64_b32 v[42:43], v20 offset0:16 offset1:24
	ds_read2st64_b32 v[36:37], v20 offset0:32 offset1:40
	;; [unrolled: 1-line block ×6, first 2 shown]
	ds_read_b32 v54, v20 offset:28672
	v_mov_b32_e32 v1, 0
	v_mov_b32_e32 v53, v1
	v_mov_b32_e32 v19, v1
	v_lshl_add_u64 v[2:3], s[30:31], 0, v[52:53]
	v_lshl_add_u64 v[6:7], s[0:1], 0, v[18:19]
	v_mov_b32_e32 v51, v1
	v_mov_b32_e32 v47, v1
	;; [unrolled: 1-line block ×10, first 2 shown]
	v_or_b32_e32 v16, 0x1600, v0
	v_mov_b32_e32 v17, v1
	v_mov_b32_e32 v13, v1
	v_or_b32_e32 v10, 0x1a00, v0
	v_mov_b32_e32 v11, v1
	v_or_b32_e32 v4, 0x1c00, v0
	v_mov_b32_e32 v5, v1
	s_and_b64 vcc, exec, s[20:21]
	v_lshl_add_u64 v[6:7], v[6:7], 0, v[2:3]
	s_cbranch_vccnz .LBB3529_137
; %bb.76:
	v_cmp_ge_u32_e32 vcc, v0, v18
                                        ; implicit-def: $vgpr20_vgpr21
	s_and_saveexec_b64 s[0:1], vcc
	s_xor_b64 s[0:1], exec, s[0:1]
; %bb.77:
	v_not_b32_e32 v20, v0
	v_ashrrev_i32_e32 v21, 31, v20
	v_lshl_add_u64 v[20:21], v[6:7], 0, v[20:21]
; %bb.78:
	s_andn2_saveexec_b64 s[0:1], s[0:1]
; %bb.79:
	v_lshl_add_u64 v[20:21], v[2:3], 0, v[0:1]
; %bb.80:
	s_or_b64 exec, exec, s[0:1]
	v_lshl_add_u64 v[20:21], v[20:21], 2, s[2:3]
	v_cmp_ge_u32_e32 vcc, v50, v18
	s_waitcnt lgkmcnt(7)
	global_store_dword v[20:21], v48, off
                                        ; implicit-def: $vgpr20_vgpr21
	s_and_saveexec_b64 s[0:1], vcc
	s_xor_b64 s[0:1], exec, s[0:1]
; %bb.81:
	v_xor_b32_e32 v20, 0xfffffdff, v0
	v_ashrrev_i32_e32 v21, 31, v20
	v_lshl_add_u64 v[20:21], v[6:7], 0, v[20:21]
; %bb.82:
	s_andn2_saveexec_b64 s[0:1], s[0:1]
; %bb.83:
	v_lshl_add_u64 v[20:21], v[2:3], 0, v[50:51]
; %bb.84:
	s_or_b64 exec, exec, s[0:1]
	v_lshl_add_u64 v[20:21], v[20:21], 2, s[2:3]
	v_cmp_ge_u32_e32 vcc, v46, v18
	global_store_dword v[20:21], v49, off
                                        ; implicit-def: $vgpr20_vgpr21
	s_and_saveexec_b64 s[0:1], vcc
	s_xor_b64 s[0:1], exec, s[0:1]
; %bb.85:
	v_xor_b32_e32 v20, 0xfffffbff, v0
	v_ashrrev_i32_e32 v21, 31, v20
	v_lshl_add_u64 v[20:21], v[6:7], 0, v[20:21]
; %bb.86:
	s_andn2_saveexec_b64 s[0:1], s[0:1]
; %bb.87:
	v_lshl_add_u64 v[20:21], v[2:3], 0, v[46:47]
; %bb.88:
	s_or_b64 exec, exec, s[0:1]
	v_lshl_add_u64 v[20:21], v[20:21], 2, s[2:3]
	v_cmp_ge_u32_e32 vcc, v44, v18
	s_waitcnt lgkmcnt(6)
	global_store_dword v[20:21], v42, off
                                        ; implicit-def: $vgpr20_vgpr21
	s_and_saveexec_b64 s[0:1], vcc
	s_xor_b64 s[0:1], exec, s[0:1]
; %bb.89:
	v_xor_b32_e32 v20, 0xfffff9ff, v0
	v_ashrrev_i32_e32 v21, 31, v20
	v_lshl_add_u64 v[20:21], v[6:7], 0, v[20:21]
; %bb.90:
	s_andn2_saveexec_b64 s[0:1], s[0:1]
; %bb.91:
	v_lshl_add_u64 v[20:21], v[2:3], 0, v[44:45]
; %bb.92:
	s_or_b64 exec, exec, s[0:1]
	v_lshl_add_u64 v[20:21], v[20:21], 2, s[2:3]
	v_cmp_ge_u32_e32 vcc, v40, v18
	global_store_dword v[20:21], v43, off
                                        ; implicit-def: $vgpr20_vgpr21
	s_and_saveexec_b64 s[0:1], vcc
	s_xor_b64 s[0:1], exec, s[0:1]
; %bb.93:
	v_xor_b32_e32 v20, 0xfffff7ff, v0
	;; [unrolled: 33-line block ×7, first 2 shown]
	v_ashrrev_i32_e32 v21, 31, v20
	v_lshl_add_u64 v[20:21], v[6:7], 0, v[20:21]
; %bb.134:
	s_andn2_saveexec_b64 s[0:1], s[0:1]
; %bb.135:
	v_lshl_add_u64 v[20:21], v[2:3], 0, v[4:5]
; %bb.136:
	s_or_b64 exec, exec, s[0:1]
	s_mov_b64 s[0:1], -1
	s_branch .LBB3529_229
.LBB3529_137:
	s_mov_b64 s[0:1], 0
                                        ; implicit-def: $vgpr20_vgpr21
	s_cbranch_execz .LBB3529_229
; %bb.138:
	v_cmp_gt_u32_e32 vcc, s33, v0
	s_and_saveexec_b64 s[4:5], vcc
	s_cbranch_execz .LBB3529_180
; %bb.139:
	v_cmp_ge_u32_e32 vcc, v0, v18
                                        ; implicit-def: $vgpr20_vgpr21
	s_and_saveexec_b64 s[6:7], vcc
	s_xor_b64 s[6:7], exec, s[6:7]
; %bb.140:
	v_not_b32_e32 v20, v0
	v_ashrrev_i32_e32 v21, 31, v20
	v_lshl_add_u64 v[20:21], v[6:7], 0, v[20:21]
; %bb.141:
	s_andn2_saveexec_b64 s[6:7], s[6:7]
; %bb.142:
	v_lshl_add_u64 v[20:21], v[2:3], 0, v[0:1]
; %bb.143:
	s_or_b64 exec, exec, s[6:7]
	v_lshl_add_u64 v[20:21], v[20:21], 2, s[2:3]
	s_waitcnt lgkmcnt(7)
	global_store_dword v[20:21], v48, off
	s_or_b64 exec, exec, s[4:5]
	v_cmp_gt_u32_e32 vcc, s33, v50
	s_and_saveexec_b64 s[4:5], vcc
	s_cbranch_execnz .LBB3529_181
.LBB3529_144:
	s_or_b64 exec, exec, s[4:5]
	v_cmp_gt_u32_e32 vcc, s33, v46
	s_and_saveexec_b64 s[4:5], vcc
	s_cbranch_execz .LBB3529_186
.LBB3529_145:
	v_cmp_ge_u32_e32 vcc, v46, v18
                                        ; implicit-def: $vgpr20_vgpr21
	s_and_saveexec_b64 s[6:7], vcc
	s_xor_b64 s[6:7], exec, s[6:7]
; %bb.146:
	v_xor_b32_e32 v20, 0xfffffbff, v0
	v_ashrrev_i32_e32 v21, 31, v20
	v_lshl_add_u64 v[20:21], v[6:7], 0, v[20:21]
                                        ; implicit-def: $vgpr46_vgpr47
; %bb.147:
	s_andn2_saveexec_b64 s[6:7], s[6:7]
; %bb.148:
	v_lshl_add_u64 v[20:21], v[2:3], 0, v[46:47]
; %bb.149:
	s_or_b64 exec, exec, s[6:7]
	v_lshl_add_u64 v[20:21], v[20:21], 2, s[2:3]
	s_waitcnt lgkmcnt(6)
	global_store_dword v[20:21], v42, off
	s_or_b64 exec, exec, s[4:5]
	v_cmp_gt_u32_e32 vcc, s33, v44
	s_and_saveexec_b64 s[4:5], vcc
	s_cbranch_execnz .LBB3529_187
.LBB3529_150:
	s_or_b64 exec, exec, s[4:5]
	v_cmp_gt_u32_e32 vcc, s33, v40
	s_and_saveexec_b64 s[4:5], vcc
	s_cbranch_execz .LBB3529_192
.LBB3529_151:
	v_cmp_ge_u32_e32 vcc, v40, v18
                                        ; implicit-def: $vgpr20_vgpr21
	s_and_saveexec_b64 s[6:7], vcc
	s_xor_b64 s[6:7], exec, s[6:7]
; %bb.152:
	v_xor_b32_e32 v20, 0xfffff7ff, v0
	v_ashrrev_i32_e32 v21, 31, v20
	v_lshl_add_u64 v[20:21], v[6:7], 0, v[20:21]
                                        ; implicit-def: $vgpr40_vgpr41
; %bb.153:
	s_andn2_saveexec_b64 s[6:7], s[6:7]
; %bb.154:
	v_lshl_add_u64 v[20:21], v[2:3], 0, v[40:41]
; %bb.155:
	s_or_b64 exec, exec, s[6:7]
	v_lshl_add_u64 v[20:21], v[20:21], 2, s[2:3]
	s_waitcnt lgkmcnt(5)
	global_store_dword v[20:21], v36, off
	s_or_b64 exec, exec, s[4:5]
	v_cmp_gt_u32_e32 vcc, s33, v38
	s_and_saveexec_b64 s[4:5], vcc
	s_cbranch_execnz .LBB3529_193
.LBB3529_156:
	s_or_b64 exec, exec, s[4:5]
	v_cmp_gt_u32_e32 vcc, s33, v34
	s_and_saveexec_b64 s[4:5], vcc
	s_cbranch_execz .LBB3529_198
.LBB3529_157:
	v_cmp_ge_u32_e32 vcc, v34, v18
                                        ; implicit-def: $vgpr20_vgpr21
	s_and_saveexec_b64 s[6:7], vcc
	s_xor_b64 s[6:7], exec, s[6:7]
; %bb.158:
	v_xor_b32_e32 v20, 0xfffff3ff, v0
	v_ashrrev_i32_e32 v21, 31, v20
	v_lshl_add_u64 v[20:21], v[6:7], 0, v[20:21]
                                        ; implicit-def: $vgpr34_vgpr35
; %bb.159:
	s_andn2_saveexec_b64 s[6:7], s[6:7]
; %bb.160:
	v_lshl_add_u64 v[20:21], v[2:3], 0, v[34:35]
; %bb.161:
	s_or_b64 exec, exec, s[6:7]
	v_lshl_add_u64 v[20:21], v[20:21], 2, s[2:3]
	s_waitcnt lgkmcnt(4)
	global_store_dword v[20:21], v30, off
	s_or_b64 exec, exec, s[4:5]
	v_cmp_gt_u32_e32 vcc, s33, v32
	s_and_saveexec_b64 s[4:5], vcc
	s_cbranch_execnz .LBB3529_199
.LBB3529_162:
	s_or_b64 exec, exec, s[4:5]
	v_cmp_gt_u32_e32 vcc, s33, v28
	s_and_saveexec_b64 s[4:5], vcc
	s_cbranch_execz .LBB3529_204
.LBB3529_163:
	v_cmp_ge_u32_e32 vcc, v28, v18
                                        ; implicit-def: $vgpr20_vgpr21
	s_and_saveexec_b64 s[6:7], vcc
	s_xor_b64 s[6:7], exec, s[6:7]
; %bb.164:
	v_xor_b32_e32 v20, 0xffffefff, v0
	v_ashrrev_i32_e32 v21, 31, v20
	v_lshl_add_u64 v[20:21], v[6:7], 0, v[20:21]
                                        ; implicit-def: $vgpr28_vgpr29
; %bb.165:
	s_andn2_saveexec_b64 s[6:7], s[6:7]
; %bb.166:
	v_lshl_add_u64 v[20:21], v[2:3], 0, v[28:29]
; %bb.167:
	s_or_b64 exec, exec, s[6:7]
	v_lshl_add_u64 v[20:21], v[20:21], 2, s[2:3]
	s_waitcnt lgkmcnt(3)
	global_store_dword v[20:21], v24, off
	s_or_b64 exec, exec, s[4:5]
	v_cmp_gt_u32_e32 vcc, s33, v26
	s_and_saveexec_b64 s[4:5], vcc
	s_cbranch_execnz .LBB3529_205
.LBB3529_168:
	s_or_b64 exec, exec, s[4:5]
	v_cmp_gt_u32_e32 vcc, s33, v22
	s_and_saveexec_b64 s[4:5], vcc
	s_cbranch_execz .LBB3529_210
.LBB3529_169:
	v_cmp_ge_u32_e32 vcc, v22, v18
                                        ; implicit-def: $vgpr20_vgpr21
	s_and_saveexec_b64 s[6:7], vcc
	s_xor_b64 s[6:7], exec, s[6:7]
; %bb.170:
	v_xor_b32_e32 v20, 0xffffebff, v0
	v_ashrrev_i32_e32 v21, 31, v20
	v_lshl_add_u64 v[20:21], v[6:7], 0, v[20:21]
                                        ; implicit-def: $vgpr22_vgpr23
; %bb.171:
	s_andn2_saveexec_b64 s[6:7], s[6:7]
; %bb.172:
	v_lshl_add_u64 v[20:21], v[2:3], 0, v[22:23]
; %bb.173:
	s_or_b64 exec, exec, s[6:7]
	v_lshl_add_u64 v[20:21], v[20:21], 2, s[2:3]
	s_waitcnt lgkmcnt(2)
	global_store_dword v[20:21], v14, off
	s_or_b64 exec, exec, s[4:5]
	v_cmp_gt_u32_e32 vcc, s33, v16
	s_and_saveexec_b64 s[4:5], vcc
	s_cbranch_execnz .LBB3529_211
.LBB3529_174:
	s_or_b64 exec, exec, s[4:5]
	v_cmp_gt_u32_e32 vcc, s33, v12
	s_and_saveexec_b64 s[4:5], vcc
	s_cbranch_execz .LBB3529_216
.LBB3529_175:
	v_cmp_ge_u32_e32 vcc, v12, v18
                                        ; implicit-def: $vgpr14_vgpr15
	s_and_saveexec_b64 s[6:7], vcc
	s_xor_b64 s[6:7], exec, s[6:7]
	s_cbranch_execz .LBB3529_177
; %bb.176:
	v_xor_b32_e32 v12, 0xffffe7ff, v0
	v_ashrrev_i32_e32 v13, 31, v12
	s_waitcnt lgkmcnt(2)
	v_lshl_add_u64 v[14:15], v[6:7], 0, v[12:13]
                                        ; implicit-def: $vgpr12_vgpr13
.LBB3529_177:
	s_andn2_saveexec_b64 s[6:7], s[6:7]
	s_cbranch_execz .LBB3529_179
; %bb.178:
	s_waitcnt lgkmcnt(2)
	v_lshl_add_u64 v[14:15], v[2:3], 0, v[12:13]
.LBB3529_179:
	s_or_b64 exec, exec, s[6:7]
	s_waitcnt lgkmcnt(2)
	v_lshl_add_u64 v[12:13], v[14:15], 2, s[2:3]
	s_waitcnt lgkmcnt(1)
	global_store_dword v[12:13], v8, off
	s_or_b64 exec, exec, s[4:5]
	v_cmp_gt_u32_e32 vcc, s33, v10
	s_and_saveexec_b64 s[4:5], vcc
	s_cbranch_execz .LBB3529_222
	s_branch .LBB3529_217
.LBB3529_180:
	s_or_b64 exec, exec, s[4:5]
	v_cmp_gt_u32_e32 vcc, s33, v50
	s_and_saveexec_b64 s[4:5], vcc
	s_cbranch_execz .LBB3529_144
.LBB3529_181:
	v_cmp_ge_u32_e32 vcc, v50, v18
                                        ; implicit-def: $vgpr20_vgpr21
	s_and_saveexec_b64 s[6:7], vcc
	s_xor_b64 s[6:7], exec, s[6:7]
; %bb.182:
	v_xor_b32_e32 v20, 0xfffffdff, v0
	v_ashrrev_i32_e32 v21, 31, v20
	v_lshl_add_u64 v[20:21], v[6:7], 0, v[20:21]
                                        ; implicit-def: $vgpr50_vgpr51
; %bb.183:
	s_andn2_saveexec_b64 s[6:7], s[6:7]
; %bb.184:
	v_lshl_add_u64 v[20:21], v[2:3], 0, v[50:51]
; %bb.185:
	s_or_b64 exec, exec, s[6:7]
	v_lshl_add_u64 v[20:21], v[20:21], 2, s[2:3]
	s_waitcnt lgkmcnt(7)
	global_store_dword v[20:21], v49, off
	s_or_b64 exec, exec, s[4:5]
	v_cmp_gt_u32_e32 vcc, s33, v46
	s_and_saveexec_b64 s[4:5], vcc
	s_cbranch_execnz .LBB3529_145
.LBB3529_186:
	s_or_b64 exec, exec, s[4:5]
	v_cmp_gt_u32_e32 vcc, s33, v44
	s_and_saveexec_b64 s[4:5], vcc
	s_cbranch_execz .LBB3529_150
.LBB3529_187:
	v_cmp_ge_u32_e32 vcc, v44, v18
                                        ; implicit-def: $vgpr20_vgpr21
	s_and_saveexec_b64 s[6:7], vcc
	s_xor_b64 s[6:7], exec, s[6:7]
; %bb.188:
	v_xor_b32_e32 v20, 0xfffff9ff, v0
	v_ashrrev_i32_e32 v21, 31, v20
	v_lshl_add_u64 v[20:21], v[6:7], 0, v[20:21]
                                        ; implicit-def: $vgpr44_vgpr45
; %bb.189:
	s_andn2_saveexec_b64 s[6:7], s[6:7]
; %bb.190:
	v_lshl_add_u64 v[20:21], v[2:3], 0, v[44:45]
; %bb.191:
	s_or_b64 exec, exec, s[6:7]
	v_lshl_add_u64 v[20:21], v[20:21], 2, s[2:3]
	s_waitcnt lgkmcnt(6)
	global_store_dword v[20:21], v43, off
	s_or_b64 exec, exec, s[4:5]
	v_cmp_gt_u32_e32 vcc, s33, v40
	s_and_saveexec_b64 s[4:5], vcc
	s_cbranch_execnz .LBB3529_151
.LBB3529_192:
	s_or_b64 exec, exec, s[4:5]
	v_cmp_gt_u32_e32 vcc, s33, v38
	s_and_saveexec_b64 s[4:5], vcc
	s_cbranch_execz .LBB3529_156
.LBB3529_193:
	v_cmp_ge_u32_e32 vcc, v38, v18
                                        ; implicit-def: $vgpr20_vgpr21
	s_and_saveexec_b64 s[6:7], vcc
	s_xor_b64 s[6:7], exec, s[6:7]
; %bb.194:
	v_xor_b32_e32 v20, 0xfffff5ff, v0
	v_ashrrev_i32_e32 v21, 31, v20
	v_lshl_add_u64 v[20:21], v[6:7], 0, v[20:21]
                                        ; implicit-def: $vgpr38_vgpr39
; %bb.195:
	s_andn2_saveexec_b64 s[6:7], s[6:7]
; %bb.196:
	v_lshl_add_u64 v[20:21], v[2:3], 0, v[38:39]
; %bb.197:
	s_or_b64 exec, exec, s[6:7]
	v_lshl_add_u64 v[20:21], v[20:21], 2, s[2:3]
	s_waitcnt lgkmcnt(5)
	global_store_dword v[20:21], v37, off
	s_or_b64 exec, exec, s[4:5]
	v_cmp_gt_u32_e32 vcc, s33, v34
	s_and_saveexec_b64 s[4:5], vcc
	s_cbranch_execnz .LBB3529_157
.LBB3529_198:
	s_or_b64 exec, exec, s[4:5]
	v_cmp_gt_u32_e32 vcc, s33, v32
	s_and_saveexec_b64 s[4:5], vcc
	s_cbranch_execz .LBB3529_162
.LBB3529_199:
	v_cmp_ge_u32_e32 vcc, v32, v18
                                        ; implicit-def: $vgpr20_vgpr21
	s_and_saveexec_b64 s[6:7], vcc
	s_xor_b64 s[6:7], exec, s[6:7]
; %bb.200:
	v_xor_b32_e32 v20, 0xfffff1ff, v0
	v_ashrrev_i32_e32 v21, 31, v20
	v_lshl_add_u64 v[20:21], v[6:7], 0, v[20:21]
                                        ; implicit-def: $vgpr32_vgpr33
; %bb.201:
	s_andn2_saveexec_b64 s[6:7], s[6:7]
; %bb.202:
	v_lshl_add_u64 v[20:21], v[2:3], 0, v[32:33]
; %bb.203:
	s_or_b64 exec, exec, s[6:7]
	v_lshl_add_u64 v[20:21], v[20:21], 2, s[2:3]
	s_waitcnt lgkmcnt(4)
	global_store_dword v[20:21], v31, off
	s_or_b64 exec, exec, s[4:5]
	v_cmp_gt_u32_e32 vcc, s33, v28
	s_and_saveexec_b64 s[4:5], vcc
	s_cbranch_execnz .LBB3529_163
.LBB3529_204:
	s_or_b64 exec, exec, s[4:5]
	v_cmp_gt_u32_e32 vcc, s33, v26
	s_and_saveexec_b64 s[4:5], vcc
	s_cbranch_execz .LBB3529_168
.LBB3529_205:
	v_cmp_ge_u32_e32 vcc, v26, v18
                                        ; implicit-def: $vgpr20_vgpr21
	s_and_saveexec_b64 s[6:7], vcc
	s_xor_b64 s[6:7], exec, s[6:7]
; %bb.206:
	v_xor_b32_e32 v20, 0xffffedff, v0
	v_ashrrev_i32_e32 v21, 31, v20
	v_lshl_add_u64 v[20:21], v[6:7], 0, v[20:21]
                                        ; implicit-def: $vgpr26_vgpr27
; %bb.207:
	s_andn2_saveexec_b64 s[6:7], s[6:7]
; %bb.208:
	v_lshl_add_u64 v[20:21], v[2:3], 0, v[26:27]
; %bb.209:
	s_or_b64 exec, exec, s[6:7]
	v_lshl_add_u64 v[20:21], v[20:21], 2, s[2:3]
	s_waitcnt lgkmcnt(3)
	global_store_dword v[20:21], v25, off
	s_or_b64 exec, exec, s[4:5]
	v_cmp_gt_u32_e32 vcc, s33, v22
	s_and_saveexec_b64 s[4:5], vcc
	s_cbranch_execnz .LBB3529_169
.LBB3529_210:
	s_or_b64 exec, exec, s[4:5]
	v_cmp_gt_u32_e32 vcc, s33, v16
	s_and_saveexec_b64 s[4:5], vcc
	s_cbranch_execz .LBB3529_174
.LBB3529_211:
	v_cmp_ge_u32_e32 vcc, v16, v18
                                        ; implicit-def: $vgpr20_vgpr21
	s_and_saveexec_b64 s[6:7], vcc
	s_xor_b64 s[6:7], exec, s[6:7]
; %bb.212:
	v_xor_b32_e32 v16, 0xffffe9ff, v0
	v_ashrrev_i32_e32 v17, 31, v16
	v_lshl_add_u64 v[20:21], v[6:7], 0, v[16:17]
                                        ; implicit-def: $vgpr16_vgpr17
; %bb.213:
	s_andn2_saveexec_b64 s[6:7], s[6:7]
; %bb.214:
	v_lshl_add_u64 v[20:21], v[2:3], 0, v[16:17]
; %bb.215:
	s_or_b64 exec, exec, s[6:7]
	v_lshl_add_u64 v[16:17], v[20:21], 2, s[2:3]
	s_waitcnt lgkmcnt(2)
	global_store_dword v[16:17], v15, off
	s_or_b64 exec, exec, s[4:5]
	v_cmp_gt_u32_e32 vcc, s33, v12
	s_and_saveexec_b64 s[4:5], vcc
	s_cbranch_execnz .LBB3529_175
.LBB3529_216:
	s_or_b64 exec, exec, s[4:5]
	v_cmp_gt_u32_e32 vcc, s33, v10
	s_and_saveexec_b64 s[4:5], vcc
	s_cbranch_execz .LBB3529_222
.LBB3529_217:
	v_cmp_ge_u32_e32 vcc, v10, v18
                                        ; implicit-def: $vgpr12_vgpr13
	s_and_saveexec_b64 s[6:7], vcc
	s_xor_b64 s[6:7], exec, s[6:7]
; %bb.218:
	v_xor_b32_e32 v10, 0xffffe5ff, v0
	v_ashrrev_i32_e32 v11, 31, v10
	v_lshl_add_u64 v[12:13], v[6:7], 0, v[10:11]
                                        ; implicit-def: $vgpr10_vgpr11
; %bb.219:
	s_andn2_saveexec_b64 s[6:7], s[6:7]
; %bb.220:
	v_lshl_add_u64 v[12:13], v[2:3], 0, v[10:11]
; %bb.221:
	s_or_b64 exec, exec, s[6:7]
	v_lshl_add_u64 v[10:11], v[12:13], 2, s[2:3]
	s_waitcnt lgkmcnt(1)
	global_store_dword v[10:11], v9, off
.LBB3529_222:
	s_or_b64 exec, exec, s[4:5]
	v_cmp_gt_u32_e32 vcc, s33, v4
                                        ; implicit-def: $vgpr20_vgpr21
	s_and_saveexec_b64 s[4:5], vcc
	s_cbranch_execz .LBB3529_228
; %bb.223:
	v_cmp_ge_u32_e32 vcc, v4, v18
                                        ; implicit-def: $vgpr20_vgpr21
	s_and_saveexec_b64 s[6:7], vcc
	s_xor_b64 s[6:7], exec, s[6:7]
; %bb.224:
	v_xor_b32_e32 v4, 0xffffe3ff, v0
	v_ashrrev_i32_e32 v5, 31, v4
	v_lshl_add_u64 v[20:21], v[6:7], 0, v[4:5]
                                        ; implicit-def: $vgpr4_vgpr5
; %bb.225:
	s_andn2_saveexec_b64 s[6:7], s[6:7]
; %bb.226:
	v_lshl_add_u64 v[20:21], v[2:3], 0, v[4:5]
; %bb.227:
	s_or_b64 exec, exec, s[6:7]
	s_or_b64 s[0:1], s[0:1], exec
.LBB3529_228:
	s_or_b64 exec, exec, s[4:5]
.LBB3529_229:
	s_and_saveexec_b64 s[4:5], s[0:1]
	s_cbranch_execz .LBB3529_231
; %bb.230:
	v_lshl_add_u64 v[4:5], v[20:21], 2, s[2:3]
	s_waitcnt lgkmcnt(0)
	global_store_dword v[4:5], v54, off
.LBB3529_231:
	s_or_b64 exec, exec, s[4:5]
	v_cmp_eq_u32_e32 vcc, 0, v0
	s_and_b64 s[0:1], vcc, s[26:27]
	s_and_saveexec_b64 s[2:3], s[0:1]
	s_cbranch_execz .LBB3529_233
; %bb.232:
	v_mov_b32_e32 v4, 0
	v_lshl_add_u64 v[0:1], v[2:3], 0, v[18:19]
	global_store_dwordx2 v4, v[0:1], s[24:25]
.LBB3529_233:
	s_endpgm
	.section	.rodata,"a",@progbits
	.p2align	6, 0x0
	.amdhsa_kernel _ZN7rocprim17ROCPRIM_400000_NS6detail17trampoline_kernelINS0_14default_configENS1_25partition_config_selectorILNS1_17partition_subalgoE3EN6thrust23THRUST_200600_302600_NS5tupleIssNS7_9null_typeES9_S9_S9_S9_S9_S9_S9_EENS0_10empty_typeEbEEZZNS1_14partition_implILS5_3ELb0ES3_jNS7_6detail15normal_iteratorINS7_7pointerISA_NS7_11hip_rocprim3tagENS7_11use_defaultESJ_EEEEPSB_SM_NS0_5tupleIJPSA_SM_EEENSN_IJSM_SM_EEESB_PlJ10is_orderedEEE10hipError_tPvRmT3_T4_T5_T6_T7_T9_mT8_P12ihipStream_tbDpT10_ENKUlT_T0_E_clISt17integral_constantIbLb0EES1C_EEDaS17_S18_EUlS17_E_NS1_11comp_targetILNS1_3genE5ELNS1_11target_archE942ELNS1_3gpuE9ELNS1_3repE0EEENS1_30default_config_static_selectorELNS0_4arch9wavefront6targetE1EEEvT1_
		.amdhsa_group_segment_fixed_size 30728
		.amdhsa_private_segment_fixed_size 0
		.amdhsa_kernarg_size 120
		.amdhsa_user_sgpr_count 2
		.amdhsa_user_sgpr_dispatch_ptr 0
		.amdhsa_user_sgpr_queue_ptr 0
		.amdhsa_user_sgpr_kernarg_segment_ptr 1
		.amdhsa_user_sgpr_dispatch_id 0
		.amdhsa_user_sgpr_kernarg_preload_length 0
		.amdhsa_user_sgpr_kernarg_preload_offset 0
		.amdhsa_user_sgpr_private_segment_size 0
		.amdhsa_uses_dynamic_stack 0
		.amdhsa_enable_private_segment 0
		.amdhsa_system_sgpr_workgroup_id_x 1
		.amdhsa_system_sgpr_workgroup_id_y 0
		.amdhsa_system_sgpr_workgroup_id_z 0
		.amdhsa_system_sgpr_workgroup_info 0
		.amdhsa_system_vgpr_workitem_id 0
		.amdhsa_next_free_vgpr 67
		.amdhsa_next_free_sgpr 50
		.amdhsa_accum_offset 68
		.amdhsa_reserve_vcc 1
		.amdhsa_float_round_mode_32 0
		.amdhsa_float_round_mode_16_64 0
		.amdhsa_float_denorm_mode_32 3
		.amdhsa_float_denorm_mode_16_64 3
		.amdhsa_dx10_clamp 1
		.amdhsa_ieee_mode 1
		.amdhsa_fp16_overflow 0
		.amdhsa_tg_split 0
		.amdhsa_exception_fp_ieee_invalid_op 0
		.amdhsa_exception_fp_denorm_src 0
		.amdhsa_exception_fp_ieee_div_zero 0
		.amdhsa_exception_fp_ieee_overflow 0
		.amdhsa_exception_fp_ieee_underflow 0
		.amdhsa_exception_fp_ieee_inexact 0
		.amdhsa_exception_int_div_zero 0
	.end_amdhsa_kernel
	.section	.text._ZN7rocprim17ROCPRIM_400000_NS6detail17trampoline_kernelINS0_14default_configENS1_25partition_config_selectorILNS1_17partition_subalgoE3EN6thrust23THRUST_200600_302600_NS5tupleIssNS7_9null_typeES9_S9_S9_S9_S9_S9_S9_EENS0_10empty_typeEbEEZZNS1_14partition_implILS5_3ELb0ES3_jNS7_6detail15normal_iteratorINS7_7pointerISA_NS7_11hip_rocprim3tagENS7_11use_defaultESJ_EEEEPSB_SM_NS0_5tupleIJPSA_SM_EEENSN_IJSM_SM_EEESB_PlJ10is_orderedEEE10hipError_tPvRmT3_T4_T5_T6_T7_T9_mT8_P12ihipStream_tbDpT10_ENKUlT_T0_E_clISt17integral_constantIbLb0EES1C_EEDaS17_S18_EUlS17_E_NS1_11comp_targetILNS1_3genE5ELNS1_11target_archE942ELNS1_3gpuE9ELNS1_3repE0EEENS1_30default_config_static_selectorELNS0_4arch9wavefront6targetE1EEEvT1_,"axG",@progbits,_ZN7rocprim17ROCPRIM_400000_NS6detail17trampoline_kernelINS0_14default_configENS1_25partition_config_selectorILNS1_17partition_subalgoE3EN6thrust23THRUST_200600_302600_NS5tupleIssNS7_9null_typeES9_S9_S9_S9_S9_S9_S9_EENS0_10empty_typeEbEEZZNS1_14partition_implILS5_3ELb0ES3_jNS7_6detail15normal_iteratorINS7_7pointerISA_NS7_11hip_rocprim3tagENS7_11use_defaultESJ_EEEEPSB_SM_NS0_5tupleIJPSA_SM_EEENSN_IJSM_SM_EEESB_PlJ10is_orderedEEE10hipError_tPvRmT3_T4_T5_T6_T7_T9_mT8_P12ihipStream_tbDpT10_ENKUlT_T0_E_clISt17integral_constantIbLb0EES1C_EEDaS17_S18_EUlS17_E_NS1_11comp_targetILNS1_3genE5ELNS1_11target_archE942ELNS1_3gpuE9ELNS1_3repE0EEENS1_30default_config_static_selectorELNS0_4arch9wavefront6targetE1EEEvT1_,comdat
.Lfunc_end3529:
	.size	_ZN7rocprim17ROCPRIM_400000_NS6detail17trampoline_kernelINS0_14default_configENS1_25partition_config_selectorILNS1_17partition_subalgoE3EN6thrust23THRUST_200600_302600_NS5tupleIssNS7_9null_typeES9_S9_S9_S9_S9_S9_S9_EENS0_10empty_typeEbEEZZNS1_14partition_implILS5_3ELb0ES3_jNS7_6detail15normal_iteratorINS7_7pointerISA_NS7_11hip_rocprim3tagENS7_11use_defaultESJ_EEEEPSB_SM_NS0_5tupleIJPSA_SM_EEENSN_IJSM_SM_EEESB_PlJ10is_orderedEEE10hipError_tPvRmT3_T4_T5_T6_T7_T9_mT8_P12ihipStream_tbDpT10_ENKUlT_T0_E_clISt17integral_constantIbLb0EES1C_EEDaS17_S18_EUlS17_E_NS1_11comp_targetILNS1_3genE5ELNS1_11target_archE942ELNS1_3gpuE9ELNS1_3repE0EEENS1_30default_config_static_selectorELNS0_4arch9wavefront6targetE1EEEvT1_, .Lfunc_end3529-_ZN7rocprim17ROCPRIM_400000_NS6detail17trampoline_kernelINS0_14default_configENS1_25partition_config_selectorILNS1_17partition_subalgoE3EN6thrust23THRUST_200600_302600_NS5tupleIssNS7_9null_typeES9_S9_S9_S9_S9_S9_S9_EENS0_10empty_typeEbEEZZNS1_14partition_implILS5_3ELb0ES3_jNS7_6detail15normal_iteratorINS7_7pointerISA_NS7_11hip_rocprim3tagENS7_11use_defaultESJ_EEEEPSB_SM_NS0_5tupleIJPSA_SM_EEENSN_IJSM_SM_EEESB_PlJ10is_orderedEEE10hipError_tPvRmT3_T4_T5_T6_T7_T9_mT8_P12ihipStream_tbDpT10_ENKUlT_T0_E_clISt17integral_constantIbLb0EES1C_EEDaS17_S18_EUlS17_E_NS1_11comp_targetILNS1_3genE5ELNS1_11target_archE942ELNS1_3gpuE9ELNS1_3repE0EEENS1_30default_config_static_selectorELNS0_4arch9wavefront6targetE1EEEvT1_
                                        ; -- End function
	.section	.AMDGPU.csdata,"",@progbits
; Kernel info:
; codeLenInByte = 7996
; NumSgprs: 56
; NumVgprs: 67
; NumAgprs: 0
; TotalNumVgprs: 67
; ScratchSize: 0
; MemoryBound: 0
; FloatMode: 240
; IeeeMode: 1
; LDSByteSize: 30728 bytes/workgroup (compile time only)
; SGPRBlocks: 6
; VGPRBlocks: 8
; NumSGPRsForWavesPerEU: 56
; NumVGPRsForWavesPerEU: 67
; AccumOffset: 68
; Occupancy: 4
; WaveLimiterHint : 1
; COMPUTE_PGM_RSRC2:SCRATCH_EN: 0
; COMPUTE_PGM_RSRC2:USER_SGPR: 2
; COMPUTE_PGM_RSRC2:TRAP_HANDLER: 0
; COMPUTE_PGM_RSRC2:TGID_X_EN: 1
; COMPUTE_PGM_RSRC2:TGID_Y_EN: 0
; COMPUTE_PGM_RSRC2:TGID_Z_EN: 0
; COMPUTE_PGM_RSRC2:TIDIG_COMP_CNT: 0
; COMPUTE_PGM_RSRC3_GFX90A:ACCUM_OFFSET: 16
; COMPUTE_PGM_RSRC3_GFX90A:TG_SPLIT: 0
	.section	.text._ZN6thrust23THRUST_200600_302600_NS11hip_rocprim14__parallel_for6kernelILj256ENS1_20__uninitialized_copy7functorINS0_7pointerINS0_5tupleIssNS0_9null_typeES8_S8_S8_S8_S8_S8_S8_EENS1_3tagENS0_11use_defaultESB_EESC_EEmLj1EEEvT0_T1_SF_,"axG",@progbits,_ZN6thrust23THRUST_200600_302600_NS11hip_rocprim14__parallel_for6kernelILj256ENS1_20__uninitialized_copy7functorINS0_7pointerINS0_5tupleIssNS0_9null_typeES8_S8_S8_S8_S8_S8_S8_EENS1_3tagENS0_11use_defaultESB_EESC_EEmLj1EEEvT0_T1_SF_,comdat
	.protected	_ZN6thrust23THRUST_200600_302600_NS11hip_rocprim14__parallel_for6kernelILj256ENS1_20__uninitialized_copy7functorINS0_7pointerINS0_5tupleIssNS0_9null_typeES8_S8_S8_S8_S8_S8_S8_EENS1_3tagENS0_11use_defaultESB_EESC_EEmLj1EEEvT0_T1_SF_ ; -- Begin function _ZN6thrust23THRUST_200600_302600_NS11hip_rocprim14__parallel_for6kernelILj256ENS1_20__uninitialized_copy7functorINS0_7pointerINS0_5tupleIssNS0_9null_typeES8_S8_S8_S8_S8_S8_S8_EENS1_3tagENS0_11use_defaultESB_EESC_EEmLj1EEEvT0_T1_SF_
	.globl	_ZN6thrust23THRUST_200600_302600_NS11hip_rocprim14__parallel_for6kernelILj256ENS1_20__uninitialized_copy7functorINS0_7pointerINS0_5tupleIssNS0_9null_typeES8_S8_S8_S8_S8_S8_S8_EENS1_3tagENS0_11use_defaultESB_EESC_EEmLj1EEEvT0_T1_SF_
	.p2align	8
	.type	_ZN6thrust23THRUST_200600_302600_NS11hip_rocprim14__parallel_for6kernelILj256ENS1_20__uninitialized_copy7functorINS0_7pointerINS0_5tupleIssNS0_9null_typeES8_S8_S8_S8_S8_S8_S8_EENS1_3tagENS0_11use_defaultESB_EESC_EEmLj1EEEvT0_T1_SF_,@function
_ZN6thrust23THRUST_200600_302600_NS11hip_rocprim14__parallel_for6kernelILj256ENS1_20__uninitialized_copy7functorINS0_7pointerINS0_5tupleIssNS0_9null_typeES8_S8_S8_S8_S8_S8_S8_EENS1_3tagENS0_11use_defaultESB_EESC_EEmLj1EEEvT0_T1_SF_: ; @_ZN6thrust23THRUST_200600_302600_NS11hip_rocprim14__parallel_for6kernelILj256ENS1_20__uninitialized_copy7functorINS0_7pointerINS0_5tupleIssNS0_9null_typeES8_S8_S8_S8_S8_S8_S8_EENS1_3tagENS0_11use_defaultESB_EESC_EEmLj1EEEvT0_T1_SF_
; %bb.0:
	s_load_dwordx8 s[4:11], s[0:1], 0x0
	s_lshl_b32 s0, s2, 8
	v_mov_b64_e32 v[2:3], 0x100
	s_waitcnt lgkmcnt(0)
	s_add_u32 s0, s0, s10
	s_addc_u32 s1, 0, s11
	s_sub_u32 s2, s8, s0
	s_subb_u32 s3, s9, s1
	v_cmp_lt_u64_e32 vcc, s[2:3], v[2:3]
	s_cbranch_vccz .LBB3530_4
; %bb.1:
	v_cmp_gt_u32_e32 vcc, s2, v0
	s_mov_b64 s[8:9], 0
	s_mov_b64 s[2:3], 0
                                        ; implicit-def: $vgpr2_vgpr3
                                        ; implicit-def: $vgpr4_vgpr5
	s_and_saveexec_b64 s[10:11], vcc
	s_xor_b64 s[10:11], exec, s[10:11]
; %bb.2:
	v_mov_b32_e32 v1, 0
	v_lshl_add_u64 v[2:3], s[0:1], 0, v[0:1]
	v_lshlrev_b64 v[4:5], 2, v[2:3]
	s_mov_b64 s[2:3], exec
	v_lshl_add_u64 v[2:3], s[6:7], 0, v[4:5]
	v_lshl_add_u64 v[4:5], s[4:5], 0, v[4:5]
; %bb.3:
	s_or_b64 exec, exec, s[10:11]
	s_and_b64 vcc, exec, s[8:9]
	s_cbranch_vccnz .LBB3530_5
	s_branch .LBB3530_6
.LBB3530_4:
	s_mov_b64 s[2:3], 0
                                        ; implicit-def: $vgpr2_vgpr3
                                        ; implicit-def: $vgpr4_vgpr5
	s_cbranch_execz .LBB3530_6
.LBB3530_5:
	v_mov_b32_e32 v1, 0
	v_lshl_add_u64 v[0:1], s[0:1], 0, v[0:1]
	v_lshlrev_b64 v[0:1], 2, v[0:1]
	v_lshl_add_u64 v[4:5], s[4:5], 0, v[0:1]
	v_lshl_add_u64 v[2:3], s[6:7], 0, v[0:1]
	s_or_b64 s[2:3], s[2:3], exec
.LBB3530_6:
	s_and_saveexec_b64 s[0:1], s[2:3]
	s_cbranch_execnz .LBB3530_8
; %bb.7:
	s_endpgm
.LBB3530_8:
	flat_load_dword v0, v[4:5]
	s_waitcnt vmcnt(0) lgkmcnt(0)
	flat_store_dword v[2:3], v0
	s_endpgm
	.section	.rodata,"a",@progbits
	.p2align	6, 0x0
	.amdhsa_kernel _ZN6thrust23THRUST_200600_302600_NS11hip_rocprim14__parallel_for6kernelILj256ENS1_20__uninitialized_copy7functorINS0_7pointerINS0_5tupleIssNS0_9null_typeES8_S8_S8_S8_S8_S8_S8_EENS1_3tagENS0_11use_defaultESB_EESC_EEmLj1EEEvT0_T1_SF_
		.amdhsa_group_segment_fixed_size 0
		.amdhsa_private_segment_fixed_size 0
		.amdhsa_kernarg_size 32
		.amdhsa_user_sgpr_count 2
		.amdhsa_user_sgpr_dispatch_ptr 0
		.amdhsa_user_sgpr_queue_ptr 0
		.amdhsa_user_sgpr_kernarg_segment_ptr 1
		.amdhsa_user_sgpr_dispatch_id 0
		.amdhsa_user_sgpr_kernarg_preload_length 0
		.amdhsa_user_sgpr_kernarg_preload_offset 0
		.amdhsa_user_sgpr_private_segment_size 0
		.amdhsa_uses_dynamic_stack 0
		.amdhsa_enable_private_segment 0
		.amdhsa_system_sgpr_workgroup_id_x 1
		.amdhsa_system_sgpr_workgroup_id_y 0
		.amdhsa_system_sgpr_workgroup_id_z 0
		.amdhsa_system_sgpr_workgroup_info 0
		.amdhsa_system_vgpr_workitem_id 0
		.amdhsa_next_free_vgpr 6
		.amdhsa_next_free_sgpr 12
		.amdhsa_accum_offset 8
		.amdhsa_reserve_vcc 1
		.amdhsa_float_round_mode_32 0
		.amdhsa_float_round_mode_16_64 0
		.amdhsa_float_denorm_mode_32 3
		.amdhsa_float_denorm_mode_16_64 3
		.amdhsa_dx10_clamp 1
		.amdhsa_ieee_mode 1
		.amdhsa_fp16_overflow 0
		.amdhsa_tg_split 0
		.amdhsa_exception_fp_ieee_invalid_op 0
		.amdhsa_exception_fp_denorm_src 0
		.amdhsa_exception_fp_ieee_div_zero 0
		.amdhsa_exception_fp_ieee_overflow 0
		.amdhsa_exception_fp_ieee_underflow 0
		.amdhsa_exception_fp_ieee_inexact 0
		.amdhsa_exception_int_div_zero 0
	.end_amdhsa_kernel
	.section	.text._ZN6thrust23THRUST_200600_302600_NS11hip_rocprim14__parallel_for6kernelILj256ENS1_20__uninitialized_copy7functorINS0_7pointerINS0_5tupleIssNS0_9null_typeES8_S8_S8_S8_S8_S8_S8_EENS1_3tagENS0_11use_defaultESB_EESC_EEmLj1EEEvT0_T1_SF_,"axG",@progbits,_ZN6thrust23THRUST_200600_302600_NS11hip_rocprim14__parallel_for6kernelILj256ENS1_20__uninitialized_copy7functorINS0_7pointerINS0_5tupleIssNS0_9null_typeES8_S8_S8_S8_S8_S8_S8_EENS1_3tagENS0_11use_defaultESB_EESC_EEmLj1EEEvT0_T1_SF_,comdat
.Lfunc_end3530:
	.size	_ZN6thrust23THRUST_200600_302600_NS11hip_rocprim14__parallel_for6kernelILj256ENS1_20__uninitialized_copy7functorINS0_7pointerINS0_5tupleIssNS0_9null_typeES8_S8_S8_S8_S8_S8_S8_EENS1_3tagENS0_11use_defaultESB_EESC_EEmLj1EEEvT0_T1_SF_, .Lfunc_end3530-_ZN6thrust23THRUST_200600_302600_NS11hip_rocprim14__parallel_for6kernelILj256ENS1_20__uninitialized_copy7functorINS0_7pointerINS0_5tupleIssNS0_9null_typeES8_S8_S8_S8_S8_S8_S8_EENS1_3tagENS0_11use_defaultESB_EESC_EEmLj1EEEvT0_T1_SF_
                                        ; -- End function
	.section	.AMDGPU.csdata,"",@progbits
; Kernel info:
; codeLenInByte = 208
; NumSgprs: 18
; NumVgprs: 6
; NumAgprs: 0
; TotalNumVgprs: 6
; ScratchSize: 0
; MemoryBound: 0
; FloatMode: 240
; IeeeMode: 1
; LDSByteSize: 0 bytes/workgroup (compile time only)
; SGPRBlocks: 2
; VGPRBlocks: 0
; NumSGPRsForWavesPerEU: 18
; NumVGPRsForWavesPerEU: 6
; AccumOffset: 8
; Occupancy: 8
; WaveLimiterHint : 0
; COMPUTE_PGM_RSRC2:SCRATCH_EN: 0
; COMPUTE_PGM_RSRC2:USER_SGPR: 2
; COMPUTE_PGM_RSRC2:TRAP_HANDLER: 0
; COMPUTE_PGM_RSRC2:TGID_X_EN: 1
; COMPUTE_PGM_RSRC2:TGID_Y_EN: 0
; COMPUTE_PGM_RSRC2:TGID_Z_EN: 0
; COMPUTE_PGM_RSRC2:TIDIG_COMP_CNT: 0
; COMPUTE_PGM_RSRC3_GFX90A:ACCUM_OFFSET: 1
; COMPUTE_PGM_RSRC3_GFX90A:TG_SPLIT: 0
	.section	.text._ZN7rocprim17ROCPRIM_400000_NS6detail17trampoline_kernelINS0_14default_configENS1_25partition_config_selectorILNS1_17partition_subalgoE3EN6thrust23THRUST_200600_302600_NS5tupleIssNS7_9null_typeES9_S9_S9_S9_S9_S9_S9_EENS0_10empty_typeEbEEZZNS1_14partition_implILS5_3ELb0ES3_jNS7_6detail15normal_iteratorINS7_7pointerISA_NS7_11hip_rocprim3tagENS7_11use_defaultESJ_EEEEPSB_SM_NS0_5tupleIJPSA_SM_EEENSN_IJSM_SM_EEESB_PlJ10is_orderedEEE10hipError_tPvRmT3_T4_T5_T6_T7_T9_mT8_P12ihipStream_tbDpT10_ENKUlT_T0_E_clISt17integral_constantIbLb0EES1C_EEDaS17_S18_EUlS17_E_NS1_11comp_targetILNS1_3genE4ELNS1_11target_archE910ELNS1_3gpuE8ELNS1_3repE0EEENS1_30default_config_static_selectorELNS0_4arch9wavefront6targetE1EEEvT1_,"axG",@progbits,_ZN7rocprim17ROCPRIM_400000_NS6detail17trampoline_kernelINS0_14default_configENS1_25partition_config_selectorILNS1_17partition_subalgoE3EN6thrust23THRUST_200600_302600_NS5tupleIssNS7_9null_typeES9_S9_S9_S9_S9_S9_S9_EENS0_10empty_typeEbEEZZNS1_14partition_implILS5_3ELb0ES3_jNS7_6detail15normal_iteratorINS7_7pointerISA_NS7_11hip_rocprim3tagENS7_11use_defaultESJ_EEEEPSB_SM_NS0_5tupleIJPSA_SM_EEENSN_IJSM_SM_EEESB_PlJ10is_orderedEEE10hipError_tPvRmT3_T4_T5_T6_T7_T9_mT8_P12ihipStream_tbDpT10_ENKUlT_T0_E_clISt17integral_constantIbLb0EES1C_EEDaS17_S18_EUlS17_E_NS1_11comp_targetILNS1_3genE4ELNS1_11target_archE910ELNS1_3gpuE8ELNS1_3repE0EEENS1_30default_config_static_selectorELNS0_4arch9wavefront6targetE1EEEvT1_,comdat
	.protected	_ZN7rocprim17ROCPRIM_400000_NS6detail17trampoline_kernelINS0_14default_configENS1_25partition_config_selectorILNS1_17partition_subalgoE3EN6thrust23THRUST_200600_302600_NS5tupleIssNS7_9null_typeES9_S9_S9_S9_S9_S9_S9_EENS0_10empty_typeEbEEZZNS1_14partition_implILS5_3ELb0ES3_jNS7_6detail15normal_iteratorINS7_7pointerISA_NS7_11hip_rocprim3tagENS7_11use_defaultESJ_EEEEPSB_SM_NS0_5tupleIJPSA_SM_EEENSN_IJSM_SM_EEESB_PlJ10is_orderedEEE10hipError_tPvRmT3_T4_T5_T6_T7_T9_mT8_P12ihipStream_tbDpT10_ENKUlT_T0_E_clISt17integral_constantIbLb0EES1C_EEDaS17_S18_EUlS17_E_NS1_11comp_targetILNS1_3genE4ELNS1_11target_archE910ELNS1_3gpuE8ELNS1_3repE0EEENS1_30default_config_static_selectorELNS0_4arch9wavefront6targetE1EEEvT1_ ; -- Begin function _ZN7rocprim17ROCPRIM_400000_NS6detail17trampoline_kernelINS0_14default_configENS1_25partition_config_selectorILNS1_17partition_subalgoE3EN6thrust23THRUST_200600_302600_NS5tupleIssNS7_9null_typeES9_S9_S9_S9_S9_S9_S9_EENS0_10empty_typeEbEEZZNS1_14partition_implILS5_3ELb0ES3_jNS7_6detail15normal_iteratorINS7_7pointerISA_NS7_11hip_rocprim3tagENS7_11use_defaultESJ_EEEEPSB_SM_NS0_5tupleIJPSA_SM_EEENSN_IJSM_SM_EEESB_PlJ10is_orderedEEE10hipError_tPvRmT3_T4_T5_T6_T7_T9_mT8_P12ihipStream_tbDpT10_ENKUlT_T0_E_clISt17integral_constantIbLb0EES1C_EEDaS17_S18_EUlS17_E_NS1_11comp_targetILNS1_3genE4ELNS1_11target_archE910ELNS1_3gpuE8ELNS1_3repE0EEENS1_30default_config_static_selectorELNS0_4arch9wavefront6targetE1EEEvT1_
	.globl	_ZN7rocprim17ROCPRIM_400000_NS6detail17trampoline_kernelINS0_14default_configENS1_25partition_config_selectorILNS1_17partition_subalgoE3EN6thrust23THRUST_200600_302600_NS5tupleIssNS7_9null_typeES9_S9_S9_S9_S9_S9_S9_EENS0_10empty_typeEbEEZZNS1_14partition_implILS5_3ELb0ES3_jNS7_6detail15normal_iteratorINS7_7pointerISA_NS7_11hip_rocprim3tagENS7_11use_defaultESJ_EEEEPSB_SM_NS0_5tupleIJPSA_SM_EEENSN_IJSM_SM_EEESB_PlJ10is_orderedEEE10hipError_tPvRmT3_T4_T5_T6_T7_T9_mT8_P12ihipStream_tbDpT10_ENKUlT_T0_E_clISt17integral_constantIbLb0EES1C_EEDaS17_S18_EUlS17_E_NS1_11comp_targetILNS1_3genE4ELNS1_11target_archE910ELNS1_3gpuE8ELNS1_3repE0EEENS1_30default_config_static_selectorELNS0_4arch9wavefront6targetE1EEEvT1_
	.p2align	8
	.type	_ZN7rocprim17ROCPRIM_400000_NS6detail17trampoline_kernelINS0_14default_configENS1_25partition_config_selectorILNS1_17partition_subalgoE3EN6thrust23THRUST_200600_302600_NS5tupleIssNS7_9null_typeES9_S9_S9_S9_S9_S9_S9_EENS0_10empty_typeEbEEZZNS1_14partition_implILS5_3ELb0ES3_jNS7_6detail15normal_iteratorINS7_7pointerISA_NS7_11hip_rocprim3tagENS7_11use_defaultESJ_EEEEPSB_SM_NS0_5tupleIJPSA_SM_EEENSN_IJSM_SM_EEESB_PlJ10is_orderedEEE10hipError_tPvRmT3_T4_T5_T6_T7_T9_mT8_P12ihipStream_tbDpT10_ENKUlT_T0_E_clISt17integral_constantIbLb0EES1C_EEDaS17_S18_EUlS17_E_NS1_11comp_targetILNS1_3genE4ELNS1_11target_archE910ELNS1_3gpuE8ELNS1_3repE0EEENS1_30default_config_static_selectorELNS0_4arch9wavefront6targetE1EEEvT1_,@function
_ZN7rocprim17ROCPRIM_400000_NS6detail17trampoline_kernelINS0_14default_configENS1_25partition_config_selectorILNS1_17partition_subalgoE3EN6thrust23THRUST_200600_302600_NS5tupleIssNS7_9null_typeES9_S9_S9_S9_S9_S9_S9_EENS0_10empty_typeEbEEZZNS1_14partition_implILS5_3ELb0ES3_jNS7_6detail15normal_iteratorINS7_7pointerISA_NS7_11hip_rocprim3tagENS7_11use_defaultESJ_EEEEPSB_SM_NS0_5tupleIJPSA_SM_EEENSN_IJSM_SM_EEESB_PlJ10is_orderedEEE10hipError_tPvRmT3_T4_T5_T6_T7_T9_mT8_P12ihipStream_tbDpT10_ENKUlT_T0_E_clISt17integral_constantIbLb0EES1C_EEDaS17_S18_EUlS17_E_NS1_11comp_targetILNS1_3genE4ELNS1_11target_archE910ELNS1_3gpuE8ELNS1_3repE0EEENS1_30default_config_static_selectorELNS0_4arch9wavefront6targetE1EEEvT1_: ; @_ZN7rocprim17ROCPRIM_400000_NS6detail17trampoline_kernelINS0_14default_configENS1_25partition_config_selectorILNS1_17partition_subalgoE3EN6thrust23THRUST_200600_302600_NS5tupleIssNS7_9null_typeES9_S9_S9_S9_S9_S9_S9_EENS0_10empty_typeEbEEZZNS1_14partition_implILS5_3ELb0ES3_jNS7_6detail15normal_iteratorINS7_7pointerISA_NS7_11hip_rocprim3tagENS7_11use_defaultESJ_EEEEPSB_SM_NS0_5tupleIJPSA_SM_EEENSN_IJSM_SM_EEESB_PlJ10is_orderedEEE10hipError_tPvRmT3_T4_T5_T6_T7_T9_mT8_P12ihipStream_tbDpT10_ENKUlT_T0_E_clISt17integral_constantIbLb0EES1C_EEDaS17_S18_EUlS17_E_NS1_11comp_targetILNS1_3genE4ELNS1_11target_archE910ELNS1_3gpuE8ELNS1_3repE0EEENS1_30default_config_static_selectorELNS0_4arch9wavefront6targetE1EEEvT1_
; %bb.0:
	.section	.rodata,"a",@progbits
	.p2align	6, 0x0
	.amdhsa_kernel _ZN7rocprim17ROCPRIM_400000_NS6detail17trampoline_kernelINS0_14default_configENS1_25partition_config_selectorILNS1_17partition_subalgoE3EN6thrust23THRUST_200600_302600_NS5tupleIssNS7_9null_typeES9_S9_S9_S9_S9_S9_S9_EENS0_10empty_typeEbEEZZNS1_14partition_implILS5_3ELb0ES3_jNS7_6detail15normal_iteratorINS7_7pointerISA_NS7_11hip_rocprim3tagENS7_11use_defaultESJ_EEEEPSB_SM_NS0_5tupleIJPSA_SM_EEENSN_IJSM_SM_EEESB_PlJ10is_orderedEEE10hipError_tPvRmT3_T4_T5_T6_T7_T9_mT8_P12ihipStream_tbDpT10_ENKUlT_T0_E_clISt17integral_constantIbLb0EES1C_EEDaS17_S18_EUlS17_E_NS1_11comp_targetILNS1_3genE4ELNS1_11target_archE910ELNS1_3gpuE8ELNS1_3repE0EEENS1_30default_config_static_selectorELNS0_4arch9wavefront6targetE1EEEvT1_
		.amdhsa_group_segment_fixed_size 0
		.amdhsa_private_segment_fixed_size 0
		.amdhsa_kernarg_size 120
		.amdhsa_user_sgpr_count 2
		.amdhsa_user_sgpr_dispatch_ptr 0
		.amdhsa_user_sgpr_queue_ptr 0
		.amdhsa_user_sgpr_kernarg_segment_ptr 1
		.amdhsa_user_sgpr_dispatch_id 0
		.amdhsa_user_sgpr_kernarg_preload_length 0
		.amdhsa_user_sgpr_kernarg_preload_offset 0
		.amdhsa_user_sgpr_private_segment_size 0
		.amdhsa_uses_dynamic_stack 0
		.amdhsa_enable_private_segment 0
		.amdhsa_system_sgpr_workgroup_id_x 1
		.amdhsa_system_sgpr_workgroup_id_y 0
		.amdhsa_system_sgpr_workgroup_id_z 0
		.amdhsa_system_sgpr_workgroup_info 0
		.amdhsa_system_vgpr_workitem_id 0
		.amdhsa_next_free_vgpr 1
		.amdhsa_next_free_sgpr 0
		.amdhsa_accum_offset 4
		.amdhsa_reserve_vcc 0
		.amdhsa_float_round_mode_32 0
		.amdhsa_float_round_mode_16_64 0
		.amdhsa_float_denorm_mode_32 3
		.amdhsa_float_denorm_mode_16_64 3
		.amdhsa_dx10_clamp 1
		.amdhsa_ieee_mode 1
		.amdhsa_fp16_overflow 0
		.amdhsa_tg_split 0
		.amdhsa_exception_fp_ieee_invalid_op 0
		.amdhsa_exception_fp_denorm_src 0
		.amdhsa_exception_fp_ieee_div_zero 0
		.amdhsa_exception_fp_ieee_overflow 0
		.amdhsa_exception_fp_ieee_underflow 0
		.amdhsa_exception_fp_ieee_inexact 0
		.amdhsa_exception_int_div_zero 0
	.end_amdhsa_kernel
	.section	.text._ZN7rocprim17ROCPRIM_400000_NS6detail17trampoline_kernelINS0_14default_configENS1_25partition_config_selectorILNS1_17partition_subalgoE3EN6thrust23THRUST_200600_302600_NS5tupleIssNS7_9null_typeES9_S9_S9_S9_S9_S9_S9_EENS0_10empty_typeEbEEZZNS1_14partition_implILS5_3ELb0ES3_jNS7_6detail15normal_iteratorINS7_7pointerISA_NS7_11hip_rocprim3tagENS7_11use_defaultESJ_EEEEPSB_SM_NS0_5tupleIJPSA_SM_EEENSN_IJSM_SM_EEESB_PlJ10is_orderedEEE10hipError_tPvRmT3_T4_T5_T6_T7_T9_mT8_P12ihipStream_tbDpT10_ENKUlT_T0_E_clISt17integral_constantIbLb0EES1C_EEDaS17_S18_EUlS17_E_NS1_11comp_targetILNS1_3genE4ELNS1_11target_archE910ELNS1_3gpuE8ELNS1_3repE0EEENS1_30default_config_static_selectorELNS0_4arch9wavefront6targetE1EEEvT1_,"axG",@progbits,_ZN7rocprim17ROCPRIM_400000_NS6detail17trampoline_kernelINS0_14default_configENS1_25partition_config_selectorILNS1_17partition_subalgoE3EN6thrust23THRUST_200600_302600_NS5tupleIssNS7_9null_typeES9_S9_S9_S9_S9_S9_S9_EENS0_10empty_typeEbEEZZNS1_14partition_implILS5_3ELb0ES3_jNS7_6detail15normal_iteratorINS7_7pointerISA_NS7_11hip_rocprim3tagENS7_11use_defaultESJ_EEEEPSB_SM_NS0_5tupleIJPSA_SM_EEENSN_IJSM_SM_EEESB_PlJ10is_orderedEEE10hipError_tPvRmT3_T4_T5_T6_T7_T9_mT8_P12ihipStream_tbDpT10_ENKUlT_T0_E_clISt17integral_constantIbLb0EES1C_EEDaS17_S18_EUlS17_E_NS1_11comp_targetILNS1_3genE4ELNS1_11target_archE910ELNS1_3gpuE8ELNS1_3repE0EEENS1_30default_config_static_selectorELNS0_4arch9wavefront6targetE1EEEvT1_,comdat
.Lfunc_end3531:
	.size	_ZN7rocprim17ROCPRIM_400000_NS6detail17trampoline_kernelINS0_14default_configENS1_25partition_config_selectorILNS1_17partition_subalgoE3EN6thrust23THRUST_200600_302600_NS5tupleIssNS7_9null_typeES9_S9_S9_S9_S9_S9_S9_EENS0_10empty_typeEbEEZZNS1_14partition_implILS5_3ELb0ES3_jNS7_6detail15normal_iteratorINS7_7pointerISA_NS7_11hip_rocprim3tagENS7_11use_defaultESJ_EEEEPSB_SM_NS0_5tupleIJPSA_SM_EEENSN_IJSM_SM_EEESB_PlJ10is_orderedEEE10hipError_tPvRmT3_T4_T5_T6_T7_T9_mT8_P12ihipStream_tbDpT10_ENKUlT_T0_E_clISt17integral_constantIbLb0EES1C_EEDaS17_S18_EUlS17_E_NS1_11comp_targetILNS1_3genE4ELNS1_11target_archE910ELNS1_3gpuE8ELNS1_3repE0EEENS1_30default_config_static_selectorELNS0_4arch9wavefront6targetE1EEEvT1_, .Lfunc_end3531-_ZN7rocprim17ROCPRIM_400000_NS6detail17trampoline_kernelINS0_14default_configENS1_25partition_config_selectorILNS1_17partition_subalgoE3EN6thrust23THRUST_200600_302600_NS5tupleIssNS7_9null_typeES9_S9_S9_S9_S9_S9_S9_EENS0_10empty_typeEbEEZZNS1_14partition_implILS5_3ELb0ES3_jNS7_6detail15normal_iteratorINS7_7pointerISA_NS7_11hip_rocprim3tagENS7_11use_defaultESJ_EEEEPSB_SM_NS0_5tupleIJPSA_SM_EEENSN_IJSM_SM_EEESB_PlJ10is_orderedEEE10hipError_tPvRmT3_T4_T5_T6_T7_T9_mT8_P12ihipStream_tbDpT10_ENKUlT_T0_E_clISt17integral_constantIbLb0EES1C_EEDaS17_S18_EUlS17_E_NS1_11comp_targetILNS1_3genE4ELNS1_11target_archE910ELNS1_3gpuE8ELNS1_3repE0EEENS1_30default_config_static_selectorELNS0_4arch9wavefront6targetE1EEEvT1_
                                        ; -- End function
	.section	.AMDGPU.csdata,"",@progbits
; Kernel info:
; codeLenInByte = 0
; NumSgprs: 6
; NumVgprs: 0
; NumAgprs: 0
; TotalNumVgprs: 0
; ScratchSize: 0
; MemoryBound: 0
; FloatMode: 240
; IeeeMode: 1
; LDSByteSize: 0 bytes/workgroup (compile time only)
; SGPRBlocks: 0
; VGPRBlocks: 0
; NumSGPRsForWavesPerEU: 6
; NumVGPRsForWavesPerEU: 1
; AccumOffset: 4
; Occupancy: 8
; WaveLimiterHint : 0
; COMPUTE_PGM_RSRC2:SCRATCH_EN: 0
; COMPUTE_PGM_RSRC2:USER_SGPR: 2
; COMPUTE_PGM_RSRC2:TRAP_HANDLER: 0
; COMPUTE_PGM_RSRC2:TGID_X_EN: 1
; COMPUTE_PGM_RSRC2:TGID_Y_EN: 0
; COMPUTE_PGM_RSRC2:TGID_Z_EN: 0
; COMPUTE_PGM_RSRC2:TIDIG_COMP_CNT: 0
; COMPUTE_PGM_RSRC3_GFX90A:ACCUM_OFFSET: 0
; COMPUTE_PGM_RSRC3_GFX90A:TG_SPLIT: 0
	.section	.text._ZN7rocprim17ROCPRIM_400000_NS6detail17trampoline_kernelINS0_14default_configENS1_25partition_config_selectorILNS1_17partition_subalgoE3EN6thrust23THRUST_200600_302600_NS5tupleIssNS7_9null_typeES9_S9_S9_S9_S9_S9_S9_EENS0_10empty_typeEbEEZZNS1_14partition_implILS5_3ELb0ES3_jNS7_6detail15normal_iteratorINS7_7pointerISA_NS7_11hip_rocprim3tagENS7_11use_defaultESJ_EEEEPSB_SM_NS0_5tupleIJPSA_SM_EEENSN_IJSM_SM_EEESB_PlJ10is_orderedEEE10hipError_tPvRmT3_T4_T5_T6_T7_T9_mT8_P12ihipStream_tbDpT10_ENKUlT_T0_E_clISt17integral_constantIbLb0EES1C_EEDaS17_S18_EUlS17_E_NS1_11comp_targetILNS1_3genE3ELNS1_11target_archE908ELNS1_3gpuE7ELNS1_3repE0EEENS1_30default_config_static_selectorELNS0_4arch9wavefront6targetE1EEEvT1_,"axG",@progbits,_ZN7rocprim17ROCPRIM_400000_NS6detail17trampoline_kernelINS0_14default_configENS1_25partition_config_selectorILNS1_17partition_subalgoE3EN6thrust23THRUST_200600_302600_NS5tupleIssNS7_9null_typeES9_S9_S9_S9_S9_S9_S9_EENS0_10empty_typeEbEEZZNS1_14partition_implILS5_3ELb0ES3_jNS7_6detail15normal_iteratorINS7_7pointerISA_NS7_11hip_rocprim3tagENS7_11use_defaultESJ_EEEEPSB_SM_NS0_5tupleIJPSA_SM_EEENSN_IJSM_SM_EEESB_PlJ10is_orderedEEE10hipError_tPvRmT3_T4_T5_T6_T7_T9_mT8_P12ihipStream_tbDpT10_ENKUlT_T0_E_clISt17integral_constantIbLb0EES1C_EEDaS17_S18_EUlS17_E_NS1_11comp_targetILNS1_3genE3ELNS1_11target_archE908ELNS1_3gpuE7ELNS1_3repE0EEENS1_30default_config_static_selectorELNS0_4arch9wavefront6targetE1EEEvT1_,comdat
	.protected	_ZN7rocprim17ROCPRIM_400000_NS6detail17trampoline_kernelINS0_14default_configENS1_25partition_config_selectorILNS1_17partition_subalgoE3EN6thrust23THRUST_200600_302600_NS5tupleIssNS7_9null_typeES9_S9_S9_S9_S9_S9_S9_EENS0_10empty_typeEbEEZZNS1_14partition_implILS5_3ELb0ES3_jNS7_6detail15normal_iteratorINS7_7pointerISA_NS7_11hip_rocprim3tagENS7_11use_defaultESJ_EEEEPSB_SM_NS0_5tupleIJPSA_SM_EEENSN_IJSM_SM_EEESB_PlJ10is_orderedEEE10hipError_tPvRmT3_T4_T5_T6_T7_T9_mT8_P12ihipStream_tbDpT10_ENKUlT_T0_E_clISt17integral_constantIbLb0EES1C_EEDaS17_S18_EUlS17_E_NS1_11comp_targetILNS1_3genE3ELNS1_11target_archE908ELNS1_3gpuE7ELNS1_3repE0EEENS1_30default_config_static_selectorELNS0_4arch9wavefront6targetE1EEEvT1_ ; -- Begin function _ZN7rocprim17ROCPRIM_400000_NS6detail17trampoline_kernelINS0_14default_configENS1_25partition_config_selectorILNS1_17partition_subalgoE3EN6thrust23THRUST_200600_302600_NS5tupleIssNS7_9null_typeES9_S9_S9_S9_S9_S9_S9_EENS0_10empty_typeEbEEZZNS1_14partition_implILS5_3ELb0ES3_jNS7_6detail15normal_iteratorINS7_7pointerISA_NS7_11hip_rocprim3tagENS7_11use_defaultESJ_EEEEPSB_SM_NS0_5tupleIJPSA_SM_EEENSN_IJSM_SM_EEESB_PlJ10is_orderedEEE10hipError_tPvRmT3_T4_T5_T6_T7_T9_mT8_P12ihipStream_tbDpT10_ENKUlT_T0_E_clISt17integral_constantIbLb0EES1C_EEDaS17_S18_EUlS17_E_NS1_11comp_targetILNS1_3genE3ELNS1_11target_archE908ELNS1_3gpuE7ELNS1_3repE0EEENS1_30default_config_static_selectorELNS0_4arch9wavefront6targetE1EEEvT1_
	.globl	_ZN7rocprim17ROCPRIM_400000_NS6detail17trampoline_kernelINS0_14default_configENS1_25partition_config_selectorILNS1_17partition_subalgoE3EN6thrust23THRUST_200600_302600_NS5tupleIssNS7_9null_typeES9_S9_S9_S9_S9_S9_S9_EENS0_10empty_typeEbEEZZNS1_14partition_implILS5_3ELb0ES3_jNS7_6detail15normal_iteratorINS7_7pointerISA_NS7_11hip_rocprim3tagENS7_11use_defaultESJ_EEEEPSB_SM_NS0_5tupleIJPSA_SM_EEENSN_IJSM_SM_EEESB_PlJ10is_orderedEEE10hipError_tPvRmT3_T4_T5_T6_T7_T9_mT8_P12ihipStream_tbDpT10_ENKUlT_T0_E_clISt17integral_constantIbLb0EES1C_EEDaS17_S18_EUlS17_E_NS1_11comp_targetILNS1_3genE3ELNS1_11target_archE908ELNS1_3gpuE7ELNS1_3repE0EEENS1_30default_config_static_selectorELNS0_4arch9wavefront6targetE1EEEvT1_
	.p2align	8
	.type	_ZN7rocprim17ROCPRIM_400000_NS6detail17trampoline_kernelINS0_14default_configENS1_25partition_config_selectorILNS1_17partition_subalgoE3EN6thrust23THRUST_200600_302600_NS5tupleIssNS7_9null_typeES9_S9_S9_S9_S9_S9_S9_EENS0_10empty_typeEbEEZZNS1_14partition_implILS5_3ELb0ES3_jNS7_6detail15normal_iteratorINS7_7pointerISA_NS7_11hip_rocprim3tagENS7_11use_defaultESJ_EEEEPSB_SM_NS0_5tupleIJPSA_SM_EEENSN_IJSM_SM_EEESB_PlJ10is_orderedEEE10hipError_tPvRmT3_T4_T5_T6_T7_T9_mT8_P12ihipStream_tbDpT10_ENKUlT_T0_E_clISt17integral_constantIbLb0EES1C_EEDaS17_S18_EUlS17_E_NS1_11comp_targetILNS1_3genE3ELNS1_11target_archE908ELNS1_3gpuE7ELNS1_3repE0EEENS1_30default_config_static_selectorELNS0_4arch9wavefront6targetE1EEEvT1_,@function
_ZN7rocprim17ROCPRIM_400000_NS6detail17trampoline_kernelINS0_14default_configENS1_25partition_config_selectorILNS1_17partition_subalgoE3EN6thrust23THRUST_200600_302600_NS5tupleIssNS7_9null_typeES9_S9_S9_S9_S9_S9_S9_EENS0_10empty_typeEbEEZZNS1_14partition_implILS5_3ELb0ES3_jNS7_6detail15normal_iteratorINS7_7pointerISA_NS7_11hip_rocprim3tagENS7_11use_defaultESJ_EEEEPSB_SM_NS0_5tupleIJPSA_SM_EEENSN_IJSM_SM_EEESB_PlJ10is_orderedEEE10hipError_tPvRmT3_T4_T5_T6_T7_T9_mT8_P12ihipStream_tbDpT10_ENKUlT_T0_E_clISt17integral_constantIbLb0EES1C_EEDaS17_S18_EUlS17_E_NS1_11comp_targetILNS1_3genE3ELNS1_11target_archE908ELNS1_3gpuE7ELNS1_3repE0EEENS1_30default_config_static_selectorELNS0_4arch9wavefront6targetE1EEEvT1_: ; @_ZN7rocprim17ROCPRIM_400000_NS6detail17trampoline_kernelINS0_14default_configENS1_25partition_config_selectorILNS1_17partition_subalgoE3EN6thrust23THRUST_200600_302600_NS5tupleIssNS7_9null_typeES9_S9_S9_S9_S9_S9_S9_EENS0_10empty_typeEbEEZZNS1_14partition_implILS5_3ELb0ES3_jNS7_6detail15normal_iteratorINS7_7pointerISA_NS7_11hip_rocprim3tagENS7_11use_defaultESJ_EEEEPSB_SM_NS0_5tupleIJPSA_SM_EEENSN_IJSM_SM_EEESB_PlJ10is_orderedEEE10hipError_tPvRmT3_T4_T5_T6_T7_T9_mT8_P12ihipStream_tbDpT10_ENKUlT_T0_E_clISt17integral_constantIbLb0EES1C_EEDaS17_S18_EUlS17_E_NS1_11comp_targetILNS1_3genE3ELNS1_11target_archE908ELNS1_3gpuE7ELNS1_3repE0EEENS1_30default_config_static_selectorELNS0_4arch9wavefront6targetE1EEEvT1_
; %bb.0:
	.section	.rodata,"a",@progbits
	.p2align	6, 0x0
	.amdhsa_kernel _ZN7rocprim17ROCPRIM_400000_NS6detail17trampoline_kernelINS0_14default_configENS1_25partition_config_selectorILNS1_17partition_subalgoE3EN6thrust23THRUST_200600_302600_NS5tupleIssNS7_9null_typeES9_S9_S9_S9_S9_S9_S9_EENS0_10empty_typeEbEEZZNS1_14partition_implILS5_3ELb0ES3_jNS7_6detail15normal_iteratorINS7_7pointerISA_NS7_11hip_rocprim3tagENS7_11use_defaultESJ_EEEEPSB_SM_NS0_5tupleIJPSA_SM_EEENSN_IJSM_SM_EEESB_PlJ10is_orderedEEE10hipError_tPvRmT3_T4_T5_T6_T7_T9_mT8_P12ihipStream_tbDpT10_ENKUlT_T0_E_clISt17integral_constantIbLb0EES1C_EEDaS17_S18_EUlS17_E_NS1_11comp_targetILNS1_3genE3ELNS1_11target_archE908ELNS1_3gpuE7ELNS1_3repE0EEENS1_30default_config_static_selectorELNS0_4arch9wavefront6targetE1EEEvT1_
		.amdhsa_group_segment_fixed_size 0
		.amdhsa_private_segment_fixed_size 0
		.amdhsa_kernarg_size 120
		.amdhsa_user_sgpr_count 2
		.amdhsa_user_sgpr_dispatch_ptr 0
		.amdhsa_user_sgpr_queue_ptr 0
		.amdhsa_user_sgpr_kernarg_segment_ptr 1
		.amdhsa_user_sgpr_dispatch_id 0
		.amdhsa_user_sgpr_kernarg_preload_length 0
		.amdhsa_user_sgpr_kernarg_preload_offset 0
		.amdhsa_user_sgpr_private_segment_size 0
		.amdhsa_uses_dynamic_stack 0
		.amdhsa_enable_private_segment 0
		.amdhsa_system_sgpr_workgroup_id_x 1
		.amdhsa_system_sgpr_workgroup_id_y 0
		.amdhsa_system_sgpr_workgroup_id_z 0
		.amdhsa_system_sgpr_workgroup_info 0
		.amdhsa_system_vgpr_workitem_id 0
		.amdhsa_next_free_vgpr 1
		.amdhsa_next_free_sgpr 0
		.amdhsa_accum_offset 4
		.amdhsa_reserve_vcc 0
		.amdhsa_float_round_mode_32 0
		.amdhsa_float_round_mode_16_64 0
		.amdhsa_float_denorm_mode_32 3
		.amdhsa_float_denorm_mode_16_64 3
		.amdhsa_dx10_clamp 1
		.amdhsa_ieee_mode 1
		.amdhsa_fp16_overflow 0
		.amdhsa_tg_split 0
		.amdhsa_exception_fp_ieee_invalid_op 0
		.amdhsa_exception_fp_denorm_src 0
		.amdhsa_exception_fp_ieee_div_zero 0
		.amdhsa_exception_fp_ieee_overflow 0
		.amdhsa_exception_fp_ieee_underflow 0
		.amdhsa_exception_fp_ieee_inexact 0
		.amdhsa_exception_int_div_zero 0
	.end_amdhsa_kernel
	.section	.text._ZN7rocprim17ROCPRIM_400000_NS6detail17trampoline_kernelINS0_14default_configENS1_25partition_config_selectorILNS1_17partition_subalgoE3EN6thrust23THRUST_200600_302600_NS5tupleIssNS7_9null_typeES9_S9_S9_S9_S9_S9_S9_EENS0_10empty_typeEbEEZZNS1_14partition_implILS5_3ELb0ES3_jNS7_6detail15normal_iteratorINS7_7pointerISA_NS7_11hip_rocprim3tagENS7_11use_defaultESJ_EEEEPSB_SM_NS0_5tupleIJPSA_SM_EEENSN_IJSM_SM_EEESB_PlJ10is_orderedEEE10hipError_tPvRmT3_T4_T5_T6_T7_T9_mT8_P12ihipStream_tbDpT10_ENKUlT_T0_E_clISt17integral_constantIbLb0EES1C_EEDaS17_S18_EUlS17_E_NS1_11comp_targetILNS1_3genE3ELNS1_11target_archE908ELNS1_3gpuE7ELNS1_3repE0EEENS1_30default_config_static_selectorELNS0_4arch9wavefront6targetE1EEEvT1_,"axG",@progbits,_ZN7rocprim17ROCPRIM_400000_NS6detail17trampoline_kernelINS0_14default_configENS1_25partition_config_selectorILNS1_17partition_subalgoE3EN6thrust23THRUST_200600_302600_NS5tupleIssNS7_9null_typeES9_S9_S9_S9_S9_S9_S9_EENS0_10empty_typeEbEEZZNS1_14partition_implILS5_3ELb0ES3_jNS7_6detail15normal_iteratorINS7_7pointerISA_NS7_11hip_rocprim3tagENS7_11use_defaultESJ_EEEEPSB_SM_NS0_5tupleIJPSA_SM_EEENSN_IJSM_SM_EEESB_PlJ10is_orderedEEE10hipError_tPvRmT3_T4_T5_T6_T7_T9_mT8_P12ihipStream_tbDpT10_ENKUlT_T0_E_clISt17integral_constantIbLb0EES1C_EEDaS17_S18_EUlS17_E_NS1_11comp_targetILNS1_3genE3ELNS1_11target_archE908ELNS1_3gpuE7ELNS1_3repE0EEENS1_30default_config_static_selectorELNS0_4arch9wavefront6targetE1EEEvT1_,comdat
.Lfunc_end3532:
	.size	_ZN7rocprim17ROCPRIM_400000_NS6detail17trampoline_kernelINS0_14default_configENS1_25partition_config_selectorILNS1_17partition_subalgoE3EN6thrust23THRUST_200600_302600_NS5tupleIssNS7_9null_typeES9_S9_S9_S9_S9_S9_S9_EENS0_10empty_typeEbEEZZNS1_14partition_implILS5_3ELb0ES3_jNS7_6detail15normal_iteratorINS7_7pointerISA_NS7_11hip_rocprim3tagENS7_11use_defaultESJ_EEEEPSB_SM_NS0_5tupleIJPSA_SM_EEENSN_IJSM_SM_EEESB_PlJ10is_orderedEEE10hipError_tPvRmT3_T4_T5_T6_T7_T9_mT8_P12ihipStream_tbDpT10_ENKUlT_T0_E_clISt17integral_constantIbLb0EES1C_EEDaS17_S18_EUlS17_E_NS1_11comp_targetILNS1_3genE3ELNS1_11target_archE908ELNS1_3gpuE7ELNS1_3repE0EEENS1_30default_config_static_selectorELNS0_4arch9wavefront6targetE1EEEvT1_, .Lfunc_end3532-_ZN7rocprim17ROCPRIM_400000_NS6detail17trampoline_kernelINS0_14default_configENS1_25partition_config_selectorILNS1_17partition_subalgoE3EN6thrust23THRUST_200600_302600_NS5tupleIssNS7_9null_typeES9_S9_S9_S9_S9_S9_S9_EENS0_10empty_typeEbEEZZNS1_14partition_implILS5_3ELb0ES3_jNS7_6detail15normal_iteratorINS7_7pointerISA_NS7_11hip_rocprim3tagENS7_11use_defaultESJ_EEEEPSB_SM_NS0_5tupleIJPSA_SM_EEENSN_IJSM_SM_EEESB_PlJ10is_orderedEEE10hipError_tPvRmT3_T4_T5_T6_T7_T9_mT8_P12ihipStream_tbDpT10_ENKUlT_T0_E_clISt17integral_constantIbLb0EES1C_EEDaS17_S18_EUlS17_E_NS1_11comp_targetILNS1_3genE3ELNS1_11target_archE908ELNS1_3gpuE7ELNS1_3repE0EEENS1_30default_config_static_selectorELNS0_4arch9wavefront6targetE1EEEvT1_
                                        ; -- End function
	.section	.AMDGPU.csdata,"",@progbits
; Kernel info:
; codeLenInByte = 0
; NumSgprs: 6
; NumVgprs: 0
; NumAgprs: 0
; TotalNumVgprs: 0
; ScratchSize: 0
; MemoryBound: 0
; FloatMode: 240
; IeeeMode: 1
; LDSByteSize: 0 bytes/workgroup (compile time only)
; SGPRBlocks: 0
; VGPRBlocks: 0
; NumSGPRsForWavesPerEU: 6
; NumVGPRsForWavesPerEU: 1
; AccumOffset: 4
; Occupancy: 8
; WaveLimiterHint : 0
; COMPUTE_PGM_RSRC2:SCRATCH_EN: 0
; COMPUTE_PGM_RSRC2:USER_SGPR: 2
; COMPUTE_PGM_RSRC2:TRAP_HANDLER: 0
; COMPUTE_PGM_RSRC2:TGID_X_EN: 1
; COMPUTE_PGM_RSRC2:TGID_Y_EN: 0
; COMPUTE_PGM_RSRC2:TGID_Z_EN: 0
; COMPUTE_PGM_RSRC2:TIDIG_COMP_CNT: 0
; COMPUTE_PGM_RSRC3_GFX90A:ACCUM_OFFSET: 0
; COMPUTE_PGM_RSRC3_GFX90A:TG_SPLIT: 0
	.section	.text._ZN7rocprim17ROCPRIM_400000_NS6detail17trampoline_kernelINS0_14default_configENS1_25partition_config_selectorILNS1_17partition_subalgoE3EN6thrust23THRUST_200600_302600_NS5tupleIssNS7_9null_typeES9_S9_S9_S9_S9_S9_S9_EENS0_10empty_typeEbEEZZNS1_14partition_implILS5_3ELb0ES3_jNS7_6detail15normal_iteratorINS7_7pointerISA_NS7_11hip_rocprim3tagENS7_11use_defaultESJ_EEEEPSB_SM_NS0_5tupleIJPSA_SM_EEENSN_IJSM_SM_EEESB_PlJ10is_orderedEEE10hipError_tPvRmT3_T4_T5_T6_T7_T9_mT8_P12ihipStream_tbDpT10_ENKUlT_T0_E_clISt17integral_constantIbLb0EES1C_EEDaS17_S18_EUlS17_E_NS1_11comp_targetILNS1_3genE2ELNS1_11target_archE906ELNS1_3gpuE6ELNS1_3repE0EEENS1_30default_config_static_selectorELNS0_4arch9wavefront6targetE1EEEvT1_,"axG",@progbits,_ZN7rocprim17ROCPRIM_400000_NS6detail17trampoline_kernelINS0_14default_configENS1_25partition_config_selectorILNS1_17partition_subalgoE3EN6thrust23THRUST_200600_302600_NS5tupleIssNS7_9null_typeES9_S9_S9_S9_S9_S9_S9_EENS0_10empty_typeEbEEZZNS1_14partition_implILS5_3ELb0ES3_jNS7_6detail15normal_iteratorINS7_7pointerISA_NS7_11hip_rocprim3tagENS7_11use_defaultESJ_EEEEPSB_SM_NS0_5tupleIJPSA_SM_EEENSN_IJSM_SM_EEESB_PlJ10is_orderedEEE10hipError_tPvRmT3_T4_T5_T6_T7_T9_mT8_P12ihipStream_tbDpT10_ENKUlT_T0_E_clISt17integral_constantIbLb0EES1C_EEDaS17_S18_EUlS17_E_NS1_11comp_targetILNS1_3genE2ELNS1_11target_archE906ELNS1_3gpuE6ELNS1_3repE0EEENS1_30default_config_static_selectorELNS0_4arch9wavefront6targetE1EEEvT1_,comdat
	.protected	_ZN7rocprim17ROCPRIM_400000_NS6detail17trampoline_kernelINS0_14default_configENS1_25partition_config_selectorILNS1_17partition_subalgoE3EN6thrust23THRUST_200600_302600_NS5tupleIssNS7_9null_typeES9_S9_S9_S9_S9_S9_S9_EENS0_10empty_typeEbEEZZNS1_14partition_implILS5_3ELb0ES3_jNS7_6detail15normal_iteratorINS7_7pointerISA_NS7_11hip_rocprim3tagENS7_11use_defaultESJ_EEEEPSB_SM_NS0_5tupleIJPSA_SM_EEENSN_IJSM_SM_EEESB_PlJ10is_orderedEEE10hipError_tPvRmT3_T4_T5_T6_T7_T9_mT8_P12ihipStream_tbDpT10_ENKUlT_T0_E_clISt17integral_constantIbLb0EES1C_EEDaS17_S18_EUlS17_E_NS1_11comp_targetILNS1_3genE2ELNS1_11target_archE906ELNS1_3gpuE6ELNS1_3repE0EEENS1_30default_config_static_selectorELNS0_4arch9wavefront6targetE1EEEvT1_ ; -- Begin function _ZN7rocprim17ROCPRIM_400000_NS6detail17trampoline_kernelINS0_14default_configENS1_25partition_config_selectorILNS1_17partition_subalgoE3EN6thrust23THRUST_200600_302600_NS5tupleIssNS7_9null_typeES9_S9_S9_S9_S9_S9_S9_EENS0_10empty_typeEbEEZZNS1_14partition_implILS5_3ELb0ES3_jNS7_6detail15normal_iteratorINS7_7pointerISA_NS7_11hip_rocprim3tagENS7_11use_defaultESJ_EEEEPSB_SM_NS0_5tupleIJPSA_SM_EEENSN_IJSM_SM_EEESB_PlJ10is_orderedEEE10hipError_tPvRmT3_T4_T5_T6_T7_T9_mT8_P12ihipStream_tbDpT10_ENKUlT_T0_E_clISt17integral_constantIbLb0EES1C_EEDaS17_S18_EUlS17_E_NS1_11comp_targetILNS1_3genE2ELNS1_11target_archE906ELNS1_3gpuE6ELNS1_3repE0EEENS1_30default_config_static_selectorELNS0_4arch9wavefront6targetE1EEEvT1_
	.globl	_ZN7rocprim17ROCPRIM_400000_NS6detail17trampoline_kernelINS0_14default_configENS1_25partition_config_selectorILNS1_17partition_subalgoE3EN6thrust23THRUST_200600_302600_NS5tupleIssNS7_9null_typeES9_S9_S9_S9_S9_S9_S9_EENS0_10empty_typeEbEEZZNS1_14partition_implILS5_3ELb0ES3_jNS7_6detail15normal_iteratorINS7_7pointerISA_NS7_11hip_rocprim3tagENS7_11use_defaultESJ_EEEEPSB_SM_NS0_5tupleIJPSA_SM_EEENSN_IJSM_SM_EEESB_PlJ10is_orderedEEE10hipError_tPvRmT3_T4_T5_T6_T7_T9_mT8_P12ihipStream_tbDpT10_ENKUlT_T0_E_clISt17integral_constantIbLb0EES1C_EEDaS17_S18_EUlS17_E_NS1_11comp_targetILNS1_3genE2ELNS1_11target_archE906ELNS1_3gpuE6ELNS1_3repE0EEENS1_30default_config_static_selectorELNS0_4arch9wavefront6targetE1EEEvT1_
	.p2align	8
	.type	_ZN7rocprim17ROCPRIM_400000_NS6detail17trampoline_kernelINS0_14default_configENS1_25partition_config_selectorILNS1_17partition_subalgoE3EN6thrust23THRUST_200600_302600_NS5tupleIssNS7_9null_typeES9_S9_S9_S9_S9_S9_S9_EENS0_10empty_typeEbEEZZNS1_14partition_implILS5_3ELb0ES3_jNS7_6detail15normal_iteratorINS7_7pointerISA_NS7_11hip_rocprim3tagENS7_11use_defaultESJ_EEEEPSB_SM_NS0_5tupleIJPSA_SM_EEENSN_IJSM_SM_EEESB_PlJ10is_orderedEEE10hipError_tPvRmT3_T4_T5_T6_T7_T9_mT8_P12ihipStream_tbDpT10_ENKUlT_T0_E_clISt17integral_constantIbLb0EES1C_EEDaS17_S18_EUlS17_E_NS1_11comp_targetILNS1_3genE2ELNS1_11target_archE906ELNS1_3gpuE6ELNS1_3repE0EEENS1_30default_config_static_selectorELNS0_4arch9wavefront6targetE1EEEvT1_,@function
_ZN7rocprim17ROCPRIM_400000_NS6detail17trampoline_kernelINS0_14default_configENS1_25partition_config_selectorILNS1_17partition_subalgoE3EN6thrust23THRUST_200600_302600_NS5tupleIssNS7_9null_typeES9_S9_S9_S9_S9_S9_S9_EENS0_10empty_typeEbEEZZNS1_14partition_implILS5_3ELb0ES3_jNS7_6detail15normal_iteratorINS7_7pointerISA_NS7_11hip_rocprim3tagENS7_11use_defaultESJ_EEEEPSB_SM_NS0_5tupleIJPSA_SM_EEENSN_IJSM_SM_EEESB_PlJ10is_orderedEEE10hipError_tPvRmT3_T4_T5_T6_T7_T9_mT8_P12ihipStream_tbDpT10_ENKUlT_T0_E_clISt17integral_constantIbLb0EES1C_EEDaS17_S18_EUlS17_E_NS1_11comp_targetILNS1_3genE2ELNS1_11target_archE906ELNS1_3gpuE6ELNS1_3repE0EEENS1_30default_config_static_selectorELNS0_4arch9wavefront6targetE1EEEvT1_: ; @_ZN7rocprim17ROCPRIM_400000_NS6detail17trampoline_kernelINS0_14default_configENS1_25partition_config_selectorILNS1_17partition_subalgoE3EN6thrust23THRUST_200600_302600_NS5tupleIssNS7_9null_typeES9_S9_S9_S9_S9_S9_S9_EENS0_10empty_typeEbEEZZNS1_14partition_implILS5_3ELb0ES3_jNS7_6detail15normal_iteratorINS7_7pointerISA_NS7_11hip_rocprim3tagENS7_11use_defaultESJ_EEEEPSB_SM_NS0_5tupleIJPSA_SM_EEENSN_IJSM_SM_EEESB_PlJ10is_orderedEEE10hipError_tPvRmT3_T4_T5_T6_T7_T9_mT8_P12ihipStream_tbDpT10_ENKUlT_T0_E_clISt17integral_constantIbLb0EES1C_EEDaS17_S18_EUlS17_E_NS1_11comp_targetILNS1_3genE2ELNS1_11target_archE906ELNS1_3gpuE6ELNS1_3repE0EEENS1_30default_config_static_selectorELNS0_4arch9wavefront6targetE1EEEvT1_
; %bb.0:
	.section	.rodata,"a",@progbits
	.p2align	6, 0x0
	.amdhsa_kernel _ZN7rocprim17ROCPRIM_400000_NS6detail17trampoline_kernelINS0_14default_configENS1_25partition_config_selectorILNS1_17partition_subalgoE3EN6thrust23THRUST_200600_302600_NS5tupleIssNS7_9null_typeES9_S9_S9_S9_S9_S9_S9_EENS0_10empty_typeEbEEZZNS1_14partition_implILS5_3ELb0ES3_jNS7_6detail15normal_iteratorINS7_7pointerISA_NS7_11hip_rocprim3tagENS7_11use_defaultESJ_EEEEPSB_SM_NS0_5tupleIJPSA_SM_EEENSN_IJSM_SM_EEESB_PlJ10is_orderedEEE10hipError_tPvRmT3_T4_T5_T6_T7_T9_mT8_P12ihipStream_tbDpT10_ENKUlT_T0_E_clISt17integral_constantIbLb0EES1C_EEDaS17_S18_EUlS17_E_NS1_11comp_targetILNS1_3genE2ELNS1_11target_archE906ELNS1_3gpuE6ELNS1_3repE0EEENS1_30default_config_static_selectorELNS0_4arch9wavefront6targetE1EEEvT1_
		.amdhsa_group_segment_fixed_size 0
		.amdhsa_private_segment_fixed_size 0
		.amdhsa_kernarg_size 120
		.amdhsa_user_sgpr_count 2
		.amdhsa_user_sgpr_dispatch_ptr 0
		.amdhsa_user_sgpr_queue_ptr 0
		.amdhsa_user_sgpr_kernarg_segment_ptr 1
		.amdhsa_user_sgpr_dispatch_id 0
		.amdhsa_user_sgpr_kernarg_preload_length 0
		.amdhsa_user_sgpr_kernarg_preload_offset 0
		.amdhsa_user_sgpr_private_segment_size 0
		.amdhsa_uses_dynamic_stack 0
		.amdhsa_enable_private_segment 0
		.amdhsa_system_sgpr_workgroup_id_x 1
		.amdhsa_system_sgpr_workgroup_id_y 0
		.amdhsa_system_sgpr_workgroup_id_z 0
		.amdhsa_system_sgpr_workgroup_info 0
		.amdhsa_system_vgpr_workitem_id 0
		.amdhsa_next_free_vgpr 1
		.amdhsa_next_free_sgpr 0
		.amdhsa_accum_offset 4
		.amdhsa_reserve_vcc 0
		.amdhsa_float_round_mode_32 0
		.amdhsa_float_round_mode_16_64 0
		.amdhsa_float_denorm_mode_32 3
		.amdhsa_float_denorm_mode_16_64 3
		.amdhsa_dx10_clamp 1
		.amdhsa_ieee_mode 1
		.amdhsa_fp16_overflow 0
		.amdhsa_tg_split 0
		.amdhsa_exception_fp_ieee_invalid_op 0
		.amdhsa_exception_fp_denorm_src 0
		.amdhsa_exception_fp_ieee_div_zero 0
		.amdhsa_exception_fp_ieee_overflow 0
		.amdhsa_exception_fp_ieee_underflow 0
		.amdhsa_exception_fp_ieee_inexact 0
		.amdhsa_exception_int_div_zero 0
	.end_amdhsa_kernel
	.section	.text._ZN7rocprim17ROCPRIM_400000_NS6detail17trampoline_kernelINS0_14default_configENS1_25partition_config_selectorILNS1_17partition_subalgoE3EN6thrust23THRUST_200600_302600_NS5tupleIssNS7_9null_typeES9_S9_S9_S9_S9_S9_S9_EENS0_10empty_typeEbEEZZNS1_14partition_implILS5_3ELb0ES3_jNS7_6detail15normal_iteratorINS7_7pointerISA_NS7_11hip_rocprim3tagENS7_11use_defaultESJ_EEEEPSB_SM_NS0_5tupleIJPSA_SM_EEENSN_IJSM_SM_EEESB_PlJ10is_orderedEEE10hipError_tPvRmT3_T4_T5_T6_T7_T9_mT8_P12ihipStream_tbDpT10_ENKUlT_T0_E_clISt17integral_constantIbLb0EES1C_EEDaS17_S18_EUlS17_E_NS1_11comp_targetILNS1_3genE2ELNS1_11target_archE906ELNS1_3gpuE6ELNS1_3repE0EEENS1_30default_config_static_selectorELNS0_4arch9wavefront6targetE1EEEvT1_,"axG",@progbits,_ZN7rocprim17ROCPRIM_400000_NS6detail17trampoline_kernelINS0_14default_configENS1_25partition_config_selectorILNS1_17partition_subalgoE3EN6thrust23THRUST_200600_302600_NS5tupleIssNS7_9null_typeES9_S9_S9_S9_S9_S9_S9_EENS0_10empty_typeEbEEZZNS1_14partition_implILS5_3ELb0ES3_jNS7_6detail15normal_iteratorINS7_7pointerISA_NS7_11hip_rocprim3tagENS7_11use_defaultESJ_EEEEPSB_SM_NS0_5tupleIJPSA_SM_EEENSN_IJSM_SM_EEESB_PlJ10is_orderedEEE10hipError_tPvRmT3_T4_T5_T6_T7_T9_mT8_P12ihipStream_tbDpT10_ENKUlT_T0_E_clISt17integral_constantIbLb0EES1C_EEDaS17_S18_EUlS17_E_NS1_11comp_targetILNS1_3genE2ELNS1_11target_archE906ELNS1_3gpuE6ELNS1_3repE0EEENS1_30default_config_static_selectorELNS0_4arch9wavefront6targetE1EEEvT1_,comdat
.Lfunc_end3533:
	.size	_ZN7rocprim17ROCPRIM_400000_NS6detail17trampoline_kernelINS0_14default_configENS1_25partition_config_selectorILNS1_17partition_subalgoE3EN6thrust23THRUST_200600_302600_NS5tupleIssNS7_9null_typeES9_S9_S9_S9_S9_S9_S9_EENS0_10empty_typeEbEEZZNS1_14partition_implILS5_3ELb0ES3_jNS7_6detail15normal_iteratorINS7_7pointerISA_NS7_11hip_rocprim3tagENS7_11use_defaultESJ_EEEEPSB_SM_NS0_5tupleIJPSA_SM_EEENSN_IJSM_SM_EEESB_PlJ10is_orderedEEE10hipError_tPvRmT3_T4_T5_T6_T7_T9_mT8_P12ihipStream_tbDpT10_ENKUlT_T0_E_clISt17integral_constantIbLb0EES1C_EEDaS17_S18_EUlS17_E_NS1_11comp_targetILNS1_3genE2ELNS1_11target_archE906ELNS1_3gpuE6ELNS1_3repE0EEENS1_30default_config_static_selectorELNS0_4arch9wavefront6targetE1EEEvT1_, .Lfunc_end3533-_ZN7rocprim17ROCPRIM_400000_NS6detail17trampoline_kernelINS0_14default_configENS1_25partition_config_selectorILNS1_17partition_subalgoE3EN6thrust23THRUST_200600_302600_NS5tupleIssNS7_9null_typeES9_S9_S9_S9_S9_S9_S9_EENS0_10empty_typeEbEEZZNS1_14partition_implILS5_3ELb0ES3_jNS7_6detail15normal_iteratorINS7_7pointerISA_NS7_11hip_rocprim3tagENS7_11use_defaultESJ_EEEEPSB_SM_NS0_5tupleIJPSA_SM_EEENSN_IJSM_SM_EEESB_PlJ10is_orderedEEE10hipError_tPvRmT3_T4_T5_T6_T7_T9_mT8_P12ihipStream_tbDpT10_ENKUlT_T0_E_clISt17integral_constantIbLb0EES1C_EEDaS17_S18_EUlS17_E_NS1_11comp_targetILNS1_3genE2ELNS1_11target_archE906ELNS1_3gpuE6ELNS1_3repE0EEENS1_30default_config_static_selectorELNS0_4arch9wavefront6targetE1EEEvT1_
                                        ; -- End function
	.section	.AMDGPU.csdata,"",@progbits
; Kernel info:
; codeLenInByte = 0
; NumSgprs: 6
; NumVgprs: 0
; NumAgprs: 0
; TotalNumVgprs: 0
; ScratchSize: 0
; MemoryBound: 0
; FloatMode: 240
; IeeeMode: 1
; LDSByteSize: 0 bytes/workgroup (compile time only)
; SGPRBlocks: 0
; VGPRBlocks: 0
; NumSGPRsForWavesPerEU: 6
; NumVGPRsForWavesPerEU: 1
; AccumOffset: 4
; Occupancy: 8
; WaveLimiterHint : 0
; COMPUTE_PGM_RSRC2:SCRATCH_EN: 0
; COMPUTE_PGM_RSRC2:USER_SGPR: 2
; COMPUTE_PGM_RSRC2:TRAP_HANDLER: 0
; COMPUTE_PGM_RSRC2:TGID_X_EN: 1
; COMPUTE_PGM_RSRC2:TGID_Y_EN: 0
; COMPUTE_PGM_RSRC2:TGID_Z_EN: 0
; COMPUTE_PGM_RSRC2:TIDIG_COMP_CNT: 0
; COMPUTE_PGM_RSRC3_GFX90A:ACCUM_OFFSET: 0
; COMPUTE_PGM_RSRC3_GFX90A:TG_SPLIT: 0
	.section	.text._ZN7rocprim17ROCPRIM_400000_NS6detail17trampoline_kernelINS0_14default_configENS1_25partition_config_selectorILNS1_17partition_subalgoE3EN6thrust23THRUST_200600_302600_NS5tupleIssNS7_9null_typeES9_S9_S9_S9_S9_S9_S9_EENS0_10empty_typeEbEEZZNS1_14partition_implILS5_3ELb0ES3_jNS7_6detail15normal_iteratorINS7_7pointerISA_NS7_11hip_rocprim3tagENS7_11use_defaultESJ_EEEEPSB_SM_NS0_5tupleIJPSA_SM_EEENSN_IJSM_SM_EEESB_PlJ10is_orderedEEE10hipError_tPvRmT3_T4_T5_T6_T7_T9_mT8_P12ihipStream_tbDpT10_ENKUlT_T0_E_clISt17integral_constantIbLb0EES1C_EEDaS17_S18_EUlS17_E_NS1_11comp_targetILNS1_3genE10ELNS1_11target_archE1200ELNS1_3gpuE4ELNS1_3repE0EEENS1_30default_config_static_selectorELNS0_4arch9wavefront6targetE1EEEvT1_,"axG",@progbits,_ZN7rocprim17ROCPRIM_400000_NS6detail17trampoline_kernelINS0_14default_configENS1_25partition_config_selectorILNS1_17partition_subalgoE3EN6thrust23THRUST_200600_302600_NS5tupleIssNS7_9null_typeES9_S9_S9_S9_S9_S9_S9_EENS0_10empty_typeEbEEZZNS1_14partition_implILS5_3ELb0ES3_jNS7_6detail15normal_iteratorINS7_7pointerISA_NS7_11hip_rocprim3tagENS7_11use_defaultESJ_EEEEPSB_SM_NS0_5tupleIJPSA_SM_EEENSN_IJSM_SM_EEESB_PlJ10is_orderedEEE10hipError_tPvRmT3_T4_T5_T6_T7_T9_mT8_P12ihipStream_tbDpT10_ENKUlT_T0_E_clISt17integral_constantIbLb0EES1C_EEDaS17_S18_EUlS17_E_NS1_11comp_targetILNS1_3genE10ELNS1_11target_archE1200ELNS1_3gpuE4ELNS1_3repE0EEENS1_30default_config_static_selectorELNS0_4arch9wavefront6targetE1EEEvT1_,comdat
	.protected	_ZN7rocprim17ROCPRIM_400000_NS6detail17trampoline_kernelINS0_14default_configENS1_25partition_config_selectorILNS1_17partition_subalgoE3EN6thrust23THRUST_200600_302600_NS5tupleIssNS7_9null_typeES9_S9_S9_S9_S9_S9_S9_EENS0_10empty_typeEbEEZZNS1_14partition_implILS5_3ELb0ES3_jNS7_6detail15normal_iteratorINS7_7pointerISA_NS7_11hip_rocprim3tagENS7_11use_defaultESJ_EEEEPSB_SM_NS0_5tupleIJPSA_SM_EEENSN_IJSM_SM_EEESB_PlJ10is_orderedEEE10hipError_tPvRmT3_T4_T5_T6_T7_T9_mT8_P12ihipStream_tbDpT10_ENKUlT_T0_E_clISt17integral_constantIbLb0EES1C_EEDaS17_S18_EUlS17_E_NS1_11comp_targetILNS1_3genE10ELNS1_11target_archE1200ELNS1_3gpuE4ELNS1_3repE0EEENS1_30default_config_static_selectorELNS0_4arch9wavefront6targetE1EEEvT1_ ; -- Begin function _ZN7rocprim17ROCPRIM_400000_NS6detail17trampoline_kernelINS0_14default_configENS1_25partition_config_selectorILNS1_17partition_subalgoE3EN6thrust23THRUST_200600_302600_NS5tupleIssNS7_9null_typeES9_S9_S9_S9_S9_S9_S9_EENS0_10empty_typeEbEEZZNS1_14partition_implILS5_3ELb0ES3_jNS7_6detail15normal_iteratorINS7_7pointerISA_NS7_11hip_rocprim3tagENS7_11use_defaultESJ_EEEEPSB_SM_NS0_5tupleIJPSA_SM_EEENSN_IJSM_SM_EEESB_PlJ10is_orderedEEE10hipError_tPvRmT3_T4_T5_T6_T7_T9_mT8_P12ihipStream_tbDpT10_ENKUlT_T0_E_clISt17integral_constantIbLb0EES1C_EEDaS17_S18_EUlS17_E_NS1_11comp_targetILNS1_3genE10ELNS1_11target_archE1200ELNS1_3gpuE4ELNS1_3repE0EEENS1_30default_config_static_selectorELNS0_4arch9wavefront6targetE1EEEvT1_
	.globl	_ZN7rocprim17ROCPRIM_400000_NS6detail17trampoline_kernelINS0_14default_configENS1_25partition_config_selectorILNS1_17partition_subalgoE3EN6thrust23THRUST_200600_302600_NS5tupleIssNS7_9null_typeES9_S9_S9_S9_S9_S9_S9_EENS0_10empty_typeEbEEZZNS1_14partition_implILS5_3ELb0ES3_jNS7_6detail15normal_iteratorINS7_7pointerISA_NS7_11hip_rocprim3tagENS7_11use_defaultESJ_EEEEPSB_SM_NS0_5tupleIJPSA_SM_EEENSN_IJSM_SM_EEESB_PlJ10is_orderedEEE10hipError_tPvRmT3_T4_T5_T6_T7_T9_mT8_P12ihipStream_tbDpT10_ENKUlT_T0_E_clISt17integral_constantIbLb0EES1C_EEDaS17_S18_EUlS17_E_NS1_11comp_targetILNS1_3genE10ELNS1_11target_archE1200ELNS1_3gpuE4ELNS1_3repE0EEENS1_30default_config_static_selectorELNS0_4arch9wavefront6targetE1EEEvT1_
	.p2align	8
	.type	_ZN7rocprim17ROCPRIM_400000_NS6detail17trampoline_kernelINS0_14default_configENS1_25partition_config_selectorILNS1_17partition_subalgoE3EN6thrust23THRUST_200600_302600_NS5tupleIssNS7_9null_typeES9_S9_S9_S9_S9_S9_S9_EENS0_10empty_typeEbEEZZNS1_14partition_implILS5_3ELb0ES3_jNS7_6detail15normal_iteratorINS7_7pointerISA_NS7_11hip_rocprim3tagENS7_11use_defaultESJ_EEEEPSB_SM_NS0_5tupleIJPSA_SM_EEENSN_IJSM_SM_EEESB_PlJ10is_orderedEEE10hipError_tPvRmT3_T4_T5_T6_T7_T9_mT8_P12ihipStream_tbDpT10_ENKUlT_T0_E_clISt17integral_constantIbLb0EES1C_EEDaS17_S18_EUlS17_E_NS1_11comp_targetILNS1_3genE10ELNS1_11target_archE1200ELNS1_3gpuE4ELNS1_3repE0EEENS1_30default_config_static_selectorELNS0_4arch9wavefront6targetE1EEEvT1_,@function
_ZN7rocprim17ROCPRIM_400000_NS6detail17trampoline_kernelINS0_14default_configENS1_25partition_config_selectorILNS1_17partition_subalgoE3EN6thrust23THRUST_200600_302600_NS5tupleIssNS7_9null_typeES9_S9_S9_S9_S9_S9_S9_EENS0_10empty_typeEbEEZZNS1_14partition_implILS5_3ELb0ES3_jNS7_6detail15normal_iteratorINS7_7pointerISA_NS7_11hip_rocprim3tagENS7_11use_defaultESJ_EEEEPSB_SM_NS0_5tupleIJPSA_SM_EEENSN_IJSM_SM_EEESB_PlJ10is_orderedEEE10hipError_tPvRmT3_T4_T5_T6_T7_T9_mT8_P12ihipStream_tbDpT10_ENKUlT_T0_E_clISt17integral_constantIbLb0EES1C_EEDaS17_S18_EUlS17_E_NS1_11comp_targetILNS1_3genE10ELNS1_11target_archE1200ELNS1_3gpuE4ELNS1_3repE0EEENS1_30default_config_static_selectorELNS0_4arch9wavefront6targetE1EEEvT1_: ; @_ZN7rocprim17ROCPRIM_400000_NS6detail17trampoline_kernelINS0_14default_configENS1_25partition_config_selectorILNS1_17partition_subalgoE3EN6thrust23THRUST_200600_302600_NS5tupleIssNS7_9null_typeES9_S9_S9_S9_S9_S9_S9_EENS0_10empty_typeEbEEZZNS1_14partition_implILS5_3ELb0ES3_jNS7_6detail15normal_iteratorINS7_7pointerISA_NS7_11hip_rocprim3tagENS7_11use_defaultESJ_EEEEPSB_SM_NS0_5tupleIJPSA_SM_EEENSN_IJSM_SM_EEESB_PlJ10is_orderedEEE10hipError_tPvRmT3_T4_T5_T6_T7_T9_mT8_P12ihipStream_tbDpT10_ENKUlT_T0_E_clISt17integral_constantIbLb0EES1C_EEDaS17_S18_EUlS17_E_NS1_11comp_targetILNS1_3genE10ELNS1_11target_archE1200ELNS1_3gpuE4ELNS1_3repE0EEENS1_30default_config_static_selectorELNS0_4arch9wavefront6targetE1EEEvT1_
; %bb.0:
	.section	.rodata,"a",@progbits
	.p2align	6, 0x0
	.amdhsa_kernel _ZN7rocprim17ROCPRIM_400000_NS6detail17trampoline_kernelINS0_14default_configENS1_25partition_config_selectorILNS1_17partition_subalgoE3EN6thrust23THRUST_200600_302600_NS5tupleIssNS7_9null_typeES9_S9_S9_S9_S9_S9_S9_EENS0_10empty_typeEbEEZZNS1_14partition_implILS5_3ELb0ES3_jNS7_6detail15normal_iteratorINS7_7pointerISA_NS7_11hip_rocprim3tagENS7_11use_defaultESJ_EEEEPSB_SM_NS0_5tupleIJPSA_SM_EEENSN_IJSM_SM_EEESB_PlJ10is_orderedEEE10hipError_tPvRmT3_T4_T5_T6_T7_T9_mT8_P12ihipStream_tbDpT10_ENKUlT_T0_E_clISt17integral_constantIbLb0EES1C_EEDaS17_S18_EUlS17_E_NS1_11comp_targetILNS1_3genE10ELNS1_11target_archE1200ELNS1_3gpuE4ELNS1_3repE0EEENS1_30default_config_static_selectorELNS0_4arch9wavefront6targetE1EEEvT1_
		.amdhsa_group_segment_fixed_size 0
		.amdhsa_private_segment_fixed_size 0
		.amdhsa_kernarg_size 120
		.amdhsa_user_sgpr_count 2
		.amdhsa_user_sgpr_dispatch_ptr 0
		.amdhsa_user_sgpr_queue_ptr 0
		.amdhsa_user_sgpr_kernarg_segment_ptr 1
		.amdhsa_user_sgpr_dispatch_id 0
		.amdhsa_user_sgpr_kernarg_preload_length 0
		.amdhsa_user_sgpr_kernarg_preload_offset 0
		.amdhsa_user_sgpr_private_segment_size 0
		.amdhsa_uses_dynamic_stack 0
		.amdhsa_enable_private_segment 0
		.amdhsa_system_sgpr_workgroup_id_x 1
		.amdhsa_system_sgpr_workgroup_id_y 0
		.amdhsa_system_sgpr_workgroup_id_z 0
		.amdhsa_system_sgpr_workgroup_info 0
		.amdhsa_system_vgpr_workitem_id 0
		.amdhsa_next_free_vgpr 1
		.amdhsa_next_free_sgpr 0
		.amdhsa_accum_offset 4
		.amdhsa_reserve_vcc 0
		.amdhsa_float_round_mode_32 0
		.amdhsa_float_round_mode_16_64 0
		.amdhsa_float_denorm_mode_32 3
		.amdhsa_float_denorm_mode_16_64 3
		.amdhsa_dx10_clamp 1
		.amdhsa_ieee_mode 1
		.amdhsa_fp16_overflow 0
		.amdhsa_tg_split 0
		.amdhsa_exception_fp_ieee_invalid_op 0
		.amdhsa_exception_fp_denorm_src 0
		.amdhsa_exception_fp_ieee_div_zero 0
		.amdhsa_exception_fp_ieee_overflow 0
		.amdhsa_exception_fp_ieee_underflow 0
		.amdhsa_exception_fp_ieee_inexact 0
		.amdhsa_exception_int_div_zero 0
	.end_amdhsa_kernel
	.section	.text._ZN7rocprim17ROCPRIM_400000_NS6detail17trampoline_kernelINS0_14default_configENS1_25partition_config_selectorILNS1_17partition_subalgoE3EN6thrust23THRUST_200600_302600_NS5tupleIssNS7_9null_typeES9_S9_S9_S9_S9_S9_S9_EENS0_10empty_typeEbEEZZNS1_14partition_implILS5_3ELb0ES3_jNS7_6detail15normal_iteratorINS7_7pointerISA_NS7_11hip_rocprim3tagENS7_11use_defaultESJ_EEEEPSB_SM_NS0_5tupleIJPSA_SM_EEENSN_IJSM_SM_EEESB_PlJ10is_orderedEEE10hipError_tPvRmT3_T4_T5_T6_T7_T9_mT8_P12ihipStream_tbDpT10_ENKUlT_T0_E_clISt17integral_constantIbLb0EES1C_EEDaS17_S18_EUlS17_E_NS1_11comp_targetILNS1_3genE10ELNS1_11target_archE1200ELNS1_3gpuE4ELNS1_3repE0EEENS1_30default_config_static_selectorELNS0_4arch9wavefront6targetE1EEEvT1_,"axG",@progbits,_ZN7rocprim17ROCPRIM_400000_NS6detail17trampoline_kernelINS0_14default_configENS1_25partition_config_selectorILNS1_17partition_subalgoE3EN6thrust23THRUST_200600_302600_NS5tupleIssNS7_9null_typeES9_S9_S9_S9_S9_S9_S9_EENS0_10empty_typeEbEEZZNS1_14partition_implILS5_3ELb0ES3_jNS7_6detail15normal_iteratorINS7_7pointerISA_NS7_11hip_rocprim3tagENS7_11use_defaultESJ_EEEEPSB_SM_NS0_5tupleIJPSA_SM_EEENSN_IJSM_SM_EEESB_PlJ10is_orderedEEE10hipError_tPvRmT3_T4_T5_T6_T7_T9_mT8_P12ihipStream_tbDpT10_ENKUlT_T0_E_clISt17integral_constantIbLb0EES1C_EEDaS17_S18_EUlS17_E_NS1_11comp_targetILNS1_3genE10ELNS1_11target_archE1200ELNS1_3gpuE4ELNS1_3repE0EEENS1_30default_config_static_selectorELNS0_4arch9wavefront6targetE1EEEvT1_,comdat
.Lfunc_end3534:
	.size	_ZN7rocprim17ROCPRIM_400000_NS6detail17trampoline_kernelINS0_14default_configENS1_25partition_config_selectorILNS1_17partition_subalgoE3EN6thrust23THRUST_200600_302600_NS5tupleIssNS7_9null_typeES9_S9_S9_S9_S9_S9_S9_EENS0_10empty_typeEbEEZZNS1_14partition_implILS5_3ELb0ES3_jNS7_6detail15normal_iteratorINS7_7pointerISA_NS7_11hip_rocprim3tagENS7_11use_defaultESJ_EEEEPSB_SM_NS0_5tupleIJPSA_SM_EEENSN_IJSM_SM_EEESB_PlJ10is_orderedEEE10hipError_tPvRmT3_T4_T5_T6_T7_T9_mT8_P12ihipStream_tbDpT10_ENKUlT_T0_E_clISt17integral_constantIbLb0EES1C_EEDaS17_S18_EUlS17_E_NS1_11comp_targetILNS1_3genE10ELNS1_11target_archE1200ELNS1_3gpuE4ELNS1_3repE0EEENS1_30default_config_static_selectorELNS0_4arch9wavefront6targetE1EEEvT1_, .Lfunc_end3534-_ZN7rocprim17ROCPRIM_400000_NS6detail17trampoline_kernelINS0_14default_configENS1_25partition_config_selectorILNS1_17partition_subalgoE3EN6thrust23THRUST_200600_302600_NS5tupleIssNS7_9null_typeES9_S9_S9_S9_S9_S9_S9_EENS0_10empty_typeEbEEZZNS1_14partition_implILS5_3ELb0ES3_jNS7_6detail15normal_iteratorINS7_7pointerISA_NS7_11hip_rocprim3tagENS7_11use_defaultESJ_EEEEPSB_SM_NS0_5tupleIJPSA_SM_EEENSN_IJSM_SM_EEESB_PlJ10is_orderedEEE10hipError_tPvRmT3_T4_T5_T6_T7_T9_mT8_P12ihipStream_tbDpT10_ENKUlT_T0_E_clISt17integral_constantIbLb0EES1C_EEDaS17_S18_EUlS17_E_NS1_11comp_targetILNS1_3genE10ELNS1_11target_archE1200ELNS1_3gpuE4ELNS1_3repE0EEENS1_30default_config_static_selectorELNS0_4arch9wavefront6targetE1EEEvT1_
                                        ; -- End function
	.section	.AMDGPU.csdata,"",@progbits
; Kernel info:
; codeLenInByte = 0
; NumSgprs: 6
; NumVgprs: 0
; NumAgprs: 0
; TotalNumVgprs: 0
; ScratchSize: 0
; MemoryBound: 0
; FloatMode: 240
; IeeeMode: 1
; LDSByteSize: 0 bytes/workgroup (compile time only)
; SGPRBlocks: 0
; VGPRBlocks: 0
; NumSGPRsForWavesPerEU: 6
; NumVGPRsForWavesPerEU: 1
; AccumOffset: 4
; Occupancy: 8
; WaveLimiterHint : 0
; COMPUTE_PGM_RSRC2:SCRATCH_EN: 0
; COMPUTE_PGM_RSRC2:USER_SGPR: 2
; COMPUTE_PGM_RSRC2:TRAP_HANDLER: 0
; COMPUTE_PGM_RSRC2:TGID_X_EN: 1
; COMPUTE_PGM_RSRC2:TGID_Y_EN: 0
; COMPUTE_PGM_RSRC2:TGID_Z_EN: 0
; COMPUTE_PGM_RSRC2:TIDIG_COMP_CNT: 0
; COMPUTE_PGM_RSRC3_GFX90A:ACCUM_OFFSET: 0
; COMPUTE_PGM_RSRC3_GFX90A:TG_SPLIT: 0
	.section	.text._ZN7rocprim17ROCPRIM_400000_NS6detail17trampoline_kernelINS0_14default_configENS1_25partition_config_selectorILNS1_17partition_subalgoE3EN6thrust23THRUST_200600_302600_NS5tupleIssNS7_9null_typeES9_S9_S9_S9_S9_S9_S9_EENS0_10empty_typeEbEEZZNS1_14partition_implILS5_3ELb0ES3_jNS7_6detail15normal_iteratorINS7_7pointerISA_NS7_11hip_rocprim3tagENS7_11use_defaultESJ_EEEEPSB_SM_NS0_5tupleIJPSA_SM_EEENSN_IJSM_SM_EEESB_PlJ10is_orderedEEE10hipError_tPvRmT3_T4_T5_T6_T7_T9_mT8_P12ihipStream_tbDpT10_ENKUlT_T0_E_clISt17integral_constantIbLb0EES1C_EEDaS17_S18_EUlS17_E_NS1_11comp_targetILNS1_3genE9ELNS1_11target_archE1100ELNS1_3gpuE3ELNS1_3repE0EEENS1_30default_config_static_selectorELNS0_4arch9wavefront6targetE1EEEvT1_,"axG",@progbits,_ZN7rocprim17ROCPRIM_400000_NS6detail17trampoline_kernelINS0_14default_configENS1_25partition_config_selectorILNS1_17partition_subalgoE3EN6thrust23THRUST_200600_302600_NS5tupleIssNS7_9null_typeES9_S9_S9_S9_S9_S9_S9_EENS0_10empty_typeEbEEZZNS1_14partition_implILS5_3ELb0ES3_jNS7_6detail15normal_iteratorINS7_7pointerISA_NS7_11hip_rocprim3tagENS7_11use_defaultESJ_EEEEPSB_SM_NS0_5tupleIJPSA_SM_EEENSN_IJSM_SM_EEESB_PlJ10is_orderedEEE10hipError_tPvRmT3_T4_T5_T6_T7_T9_mT8_P12ihipStream_tbDpT10_ENKUlT_T0_E_clISt17integral_constantIbLb0EES1C_EEDaS17_S18_EUlS17_E_NS1_11comp_targetILNS1_3genE9ELNS1_11target_archE1100ELNS1_3gpuE3ELNS1_3repE0EEENS1_30default_config_static_selectorELNS0_4arch9wavefront6targetE1EEEvT1_,comdat
	.protected	_ZN7rocprim17ROCPRIM_400000_NS6detail17trampoline_kernelINS0_14default_configENS1_25partition_config_selectorILNS1_17partition_subalgoE3EN6thrust23THRUST_200600_302600_NS5tupleIssNS7_9null_typeES9_S9_S9_S9_S9_S9_S9_EENS0_10empty_typeEbEEZZNS1_14partition_implILS5_3ELb0ES3_jNS7_6detail15normal_iteratorINS7_7pointerISA_NS7_11hip_rocprim3tagENS7_11use_defaultESJ_EEEEPSB_SM_NS0_5tupleIJPSA_SM_EEENSN_IJSM_SM_EEESB_PlJ10is_orderedEEE10hipError_tPvRmT3_T4_T5_T6_T7_T9_mT8_P12ihipStream_tbDpT10_ENKUlT_T0_E_clISt17integral_constantIbLb0EES1C_EEDaS17_S18_EUlS17_E_NS1_11comp_targetILNS1_3genE9ELNS1_11target_archE1100ELNS1_3gpuE3ELNS1_3repE0EEENS1_30default_config_static_selectorELNS0_4arch9wavefront6targetE1EEEvT1_ ; -- Begin function _ZN7rocprim17ROCPRIM_400000_NS6detail17trampoline_kernelINS0_14default_configENS1_25partition_config_selectorILNS1_17partition_subalgoE3EN6thrust23THRUST_200600_302600_NS5tupleIssNS7_9null_typeES9_S9_S9_S9_S9_S9_S9_EENS0_10empty_typeEbEEZZNS1_14partition_implILS5_3ELb0ES3_jNS7_6detail15normal_iteratorINS7_7pointerISA_NS7_11hip_rocprim3tagENS7_11use_defaultESJ_EEEEPSB_SM_NS0_5tupleIJPSA_SM_EEENSN_IJSM_SM_EEESB_PlJ10is_orderedEEE10hipError_tPvRmT3_T4_T5_T6_T7_T9_mT8_P12ihipStream_tbDpT10_ENKUlT_T0_E_clISt17integral_constantIbLb0EES1C_EEDaS17_S18_EUlS17_E_NS1_11comp_targetILNS1_3genE9ELNS1_11target_archE1100ELNS1_3gpuE3ELNS1_3repE0EEENS1_30default_config_static_selectorELNS0_4arch9wavefront6targetE1EEEvT1_
	.globl	_ZN7rocprim17ROCPRIM_400000_NS6detail17trampoline_kernelINS0_14default_configENS1_25partition_config_selectorILNS1_17partition_subalgoE3EN6thrust23THRUST_200600_302600_NS5tupleIssNS7_9null_typeES9_S9_S9_S9_S9_S9_S9_EENS0_10empty_typeEbEEZZNS1_14partition_implILS5_3ELb0ES3_jNS7_6detail15normal_iteratorINS7_7pointerISA_NS7_11hip_rocprim3tagENS7_11use_defaultESJ_EEEEPSB_SM_NS0_5tupleIJPSA_SM_EEENSN_IJSM_SM_EEESB_PlJ10is_orderedEEE10hipError_tPvRmT3_T4_T5_T6_T7_T9_mT8_P12ihipStream_tbDpT10_ENKUlT_T0_E_clISt17integral_constantIbLb0EES1C_EEDaS17_S18_EUlS17_E_NS1_11comp_targetILNS1_3genE9ELNS1_11target_archE1100ELNS1_3gpuE3ELNS1_3repE0EEENS1_30default_config_static_selectorELNS0_4arch9wavefront6targetE1EEEvT1_
	.p2align	8
	.type	_ZN7rocprim17ROCPRIM_400000_NS6detail17trampoline_kernelINS0_14default_configENS1_25partition_config_selectorILNS1_17partition_subalgoE3EN6thrust23THRUST_200600_302600_NS5tupleIssNS7_9null_typeES9_S9_S9_S9_S9_S9_S9_EENS0_10empty_typeEbEEZZNS1_14partition_implILS5_3ELb0ES3_jNS7_6detail15normal_iteratorINS7_7pointerISA_NS7_11hip_rocprim3tagENS7_11use_defaultESJ_EEEEPSB_SM_NS0_5tupleIJPSA_SM_EEENSN_IJSM_SM_EEESB_PlJ10is_orderedEEE10hipError_tPvRmT3_T4_T5_T6_T7_T9_mT8_P12ihipStream_tbDpT10_ENKUlT_T0_E_clISt17integral_constantIbLb0EES1C_EEDaS17_S18_EUlS17_E_NS1_11comp_targetILNS1_3genE9ELNS1_11target_archE1100ELNS1_3gpuE3ELNS1_3repE0EEENS1_30default_config_static_selectorELNS0_4arch9wavefront6targetE1EEEvT1_,@function
_ZN7rocprim17ROCPRIM_400000_NS6detail17trampoline_kernelINS0_14default_configENS1_25partition_config_selectorILNS1_17partition_subalgoE3EN6thrust23THRUST_200600_302600_NS5tupleIssNS7_9null_typeES9_S9_S9_S9_S9_S9_S9_EENS0_10empty_typeEbEEZZNS1_14partition_implILS5_3ELb0ES3_jNS7_6detail15normal_iteratorINS7_7pointerISA_NS7_11hip_rocprim3tagENS7_11use_defaultESJ_EEEEPSB_SM_NS0_5tupleIJPSA_SM_EEENSN_IJSM_SM_EEESB_PlJ10is_orderedEEE10hipError_tPvRmT3_T4_T5_T6_T7_T9_mT8_P12ihipStream_tbDpT10_ENKUlT_T0_E_clISt17integral_constantIbLb0EES1C_EEDaS17_S18_EUlS17_E_NS1_11comp_targetILNS1_3genE9ELNS1_11target_archE1100ELNS1_3gpuE3ELNS1_3repE0EEENS1_30default_config_static_selectorELNS0_4arch9wavefront6targetE1EEEvT1_: ; @_ZN7rocprim17ROCPRIM_400000_NS6detail17trampoline_kernelINS0_14default_configENS1_25partition_config_selectorILNS1_17partition_subalgoE3EN6thrust23THRUST_200600_302600_NS5tupleIssNS7_9null_typeES9_S9_S9_S9_S9_S9_S9_EENS0_10empty_typeEbEEZZNS1_14partition_implILS5_3ELb0ES3_jNS7_6detail15normal_iteratorINS7_7pointerISA_NS7_11hip_rocprim3tagENS7_11use_defaultESJ_EEEEPSB_SM_NS0_5tupleIJPSA_SM_EEENSN_IJSM_SM_EEESB_PlJ10is_orderedEEE10hipError_tPvRmT3_T4_T5_T6_T7_T9_mT8_P12ihipStream_tbDpT10_ENKUlT_T0_E_clISt17integral_constantIbLb0EES1C_EEDaS17_S18_EUlS17_E_NS1_11comp_targetILNS1_3genE9ELNS1_11target_archE1100ELNS1_3gpuE3ELNS1_3repE0EEENS1_30default_config_static_selectorELNS0_4arch9wavefront6targetE1EEEvT1_
; %bb.0:
	.section	.rodata,"a",@progbits
	.p2align	6, 0x0
	.amdhsa_kernel _ZN7rocprim17ROCPRIM_400000_NS6detail17trampoline_kernelINS0_14default_configENS1_25partition_config_selectorILNS1_17partition_subalgoE3EN6thrust23THRUST_200600_302600_NS5tupleIssNS7_9null_typeES9_S9_S9_S9_S9_S9_S9_EENS0_10empty_typeEbEEZZNS1_14partition_implILS5_3ELb0ES3_jNS7_6detail15normal_iteratorINS7_7pointerISA_NS7_11hip_rocprim3tagENS7_11use_defaultESJ_EEEEPSB_SM_NS0_5tupleIJPSA_SM_EEENSN_IJSM_SM_EEESB_PlJ10is_orderedEEE10hipError_tPvRmT3_T4_T5_T6_T7_T9_mT8_P12ihipStream_tbDpT10_ENKUlT_T0_E_clISt17integral_constantIbLb0EES1C_EEDaS17_S18_EUlS17_E_NS1_11comp_targetILNS1_3genE9ELNS1_11target_archE1100ELNS1_3gpuE3ELNS1_3repE0EEENS1_30default_config_static_selectorELNS0_4arch9wavefront6targetE1EEEvT1_
		.amdhsa_group_segment_fixed_size 0
		.amdhsa_private_segment_fixed_size 0
		.amdhsa_kernarg_size 120
		.amdhsa_user_sgpr_count 2
		.amdhsa_user_sgpr_dispatch_ptr 0
		.amdhsa_user_sgpr_queue_ptr 0
		.amdhsa_user_sgpr_kernarg_segment_ptr 1
		.amdhsa_user_sgpr_dispatch_id 0
		.amdhsa_user_sgpr_kernarg_preload_length 0
		.amdhsa_user_sgpr_kernarg_preload_offset 0
		.amdhsa_user_sgpr_private_segment_size 0
		.amdhsa_uses_dynamic_stack 0
		.amdhsa_enable_private_segment 0
		.amdhsa_system_sgpr_workgroup_id_x 1
		.amdhsa_system_sgpr_workgroup_id_y 0
		.amdhsa_system_sgpr_workgroup_id_z 0
		.amdhsa_system_sgpr_workgroup_info 0
		.amdhsa_system_vgpr_workitem_id 0
		.amdhsa_next_free_vgpr 1
		.amdhsa_next_free_sgpr 0
		.amdhsa_accum_offset 4
		.amdhsa_reserve_vcc 0
		.amdhsa_float_round_mode_32 0
		.amdhsa_float_round_mode_16_64 0
		.amdhsa_float_denorm_mode_32 3
		.amdhsa_float_denorm_mode_16_64 3
		.amdhsa_dx10_clamp 1
		.amdhsa_ieee_mode 1
		.amdhsa_fp16_overflow 0
		.amdhsa_tg_split 0
		.amdhsa_exception_fp_ieee_invalid_op 0
		.amdhsa_exception_fp_denorm_src 0
		.amdhsa_exception_fp_ieee_div_zero 0
		.amdhsa_exception_fp_ieee_overflow 0
		.amdhsa_exception_fp_ieee_underflow 0
		.amdhsa_exception_fp_ieee_inexact 0
		.amdhsa_exception_int_div_zero 0
	.end_amdhsa_kernel
	.section	.text._ZN7rocprim17ROCPRIM_400000_NS6detail17trampoline_kernelINS0_14default_configENS1_25partition_config_selectorILNS1_17partition_subalgoE3EN6thrust23THRUST_200600_302600_NS5tupleIssNS7_9null_typeES9_S9_S9_S9_S9_S9_S9_EENS0_10empty_typeEbEEZZNS1_14partition_implILS5_3ELb0ES3_jNS7_6detail15normal_iteratorINS7_7pointerISA_NS7_11hip_rocprim3tagENS7_11use_defaultESJ_EEEEPSB_SM_NS0_5tupleIJPSA_SM_EEENSN_IJSM_SM_EEESB_PlJ10is_orderedEEE10hipError_tPvRmT3_T4_T5_T6_T7_T9_mT8_P12ihipStream_tbDpT10_ENKUlT_T0_E_clISt17integral_constantIbLb0EES1C_EEDaS17_S18_EUlS17_E_NS1_11comp_targetILNS1_3genE9ELNS1_11target_archE1100ELNS1_3gpuE3ELNS1_3repE0EEENS1_30default_config_static_selectorELNS0_4arch9wavefront6targetE1EEEvT1_,"axG",@progbits,_ZN7rocprim17ROCPRIM_400000_NS6detail17trampoline_kernelINS0_14default_configENS1_25partition_config_selectorILNS1_17partition_subalgoE3EN6thrust23THRUST_200600_302600_NS5tupleIssNS7_9null_typeES9_S9_S9_S9_S9_S9_S9_EENS0_10empty_typeEbEEZZNS1_14partition_implILS5_3ELb0ES3_jNS7_6detail15normal_iteratorINS7_7pointerISA_NS7_11hip_rocprim3tagENS7_11use_defaultESJ_EEEEPSB_SM_NS0_5tupleIJPSA_SM_EEENSN_IJSM_SM_EEESB_PlJ10is_orderedEEE10hipError_tPvRmT3_T4_T5_T6_T7_T9_mT8_P12ihipStream_tbDpT10_ENKUlT_T0_E_clISt17integral_constantIbLb0EES1C_EEDaS17_S18_EUlS17_E_NS1_11comp_targetILNS1_3genE9ELNS1_11target_archE1100ELNS1_3gpuE3ELNS1_3repE0EEENS1_30default_config_static_selectorELNS0_4arch9wavefront6targetE1EEEvT1_,comdat
.Lfunc_end3535:
	.size	_ZN7rocprim17ROCPRIM_400000_NS6detail17trampoline_kernelINS0_14default_configENS1_25partition_config_selectorILNS1_17partition_subalgoE3EN6thrust23THRUST_200600_302600_NS5tupleIssNS7_9null_typeES9_S9_S9_S9_S9_S9_S9_EENS0_10empty_typeEbEEZZNS1_14partition_implILS5_3ELb0ES3_jNS7_6detail15normal_iteratorINS7_7pointerISA_NS7_11hip_rocprim3tagENS7_11use_defaultESJ_EEEEPSB_SM_NS0_5tupleIJPSA_SM_EEENSN_IJSM_SM_EEESB_PlJ10is_orderedEEE10hipError_tPvRmT3_T4_T5_T6_T7_T9_mT8_P12ihipStream_tbDpT10_ENKUlT_T0_E_clISt17integral_constantIbLb0EES1C_EEDaS17_S18_EUlS17_E_NS1_11comp_targetILNS1_3genE9ELNS1_11target_archE1100ELNS1_3gpuE3ELNS1_3repE0EEENS1_30default_config_static_selectorELNS0_4arch9wavefront6targetE1EEEvT1_, .Lfunc_end3535-_ZN7rocprim17ROCPRIM_400000_NS6detail17trampoline_kernelINS0_14default_configENS1_25partition_config_selectorILNS1_17partition_subalgoE3EN6thrust23THRUST_200600_302600_NS5tupleIssNS7_9null_typeES9_S9_S9_S9_S9_S9_S9_EENS0_10empty_typeEbEEZZNS1_14partition_implILS5_3ELb0ES3_jNS7_6detail15normal_iteratorINS7_7pointerISA_NS7_11hip_rocprim3tagENS7_11use_defaultESJ_EEEEPSB_SM_NS0_5tupleIJPSA_SM_EEENSN_IJSM_SM_EEESB_PlJ10is_orderedEEE10hipError_tPvRmT3_T4_T5_T6_T7_T9_mT8_P12ihipStream_tbDpT10_ENKUlT_T0_E_clISt17integral_constantIbLb0EES1C_EEDaS17_S18_EUlS17_E_NS1_11comp_targetILNS1_3genE9ELNS1_11target_archE1100ELNS1_3gpuE3ELNS1_3repE0EEENS1_30default_config_static_selectorELNS0_4arch9wavefront6targetE1EEEvT1_
                                        ; -- End function
	.section	.AMDGPU.csdata,"",@progbits
; Kernel info:
; codeLenInByte = 0
; NumSgprs: 6
; NumVgprs: 0
; NumAgprs: 0
; TotalNumVgprs: 0
; ScratchSize: 0
; MemoryBound: 0
; FloatMode: 240
; IeeeMode: 1
; LDSByteSize: 0 bytes/workgroup (compile time only)
; SGPRBlocks: 0
; VGPRBlocks: 0
; NumSGPRsForWavesPerEU: 6
; NumVGPRsForWavesPerEU: 1
; AccumOffset: 4
; Occupancy: 8
; WaveLimiterHint : 0
; COMPUTE_PGM_RSRC2:SCRATCH_EN: 0
; COMPUTE_PGM_RSRC2:USER_SGPR: 2
; COMPUTE_PGM_RSRC2:TRAP_HANDLER: 0
; COMPUTE_PGM_RSRC2:TGID_X_EN: 1
; COMPUTE_PGM_RSRC2:TGID_Y_EN: 0
; COMPUTE_PGM_RSRC2:TGID_Z_EN: 0
; COMPUTE_PGM_RSRC2:TIDIG_COMP_CNT: 0
; COMPUTE_PGM_RSRC3_GFX90A:ACCUM_OFFSET: 0
; COMPUTE_PGM_RSRC3_GFX90A:TG_SPLIT: 0
	.section	.text._ZN7rocprim17ROCPRIM_400000_NS6detail17trampoline_kernelINS0_14default_configENS1_25partition_config_selectorILNS1_17partition_subalgoE3EN6thrust23THRUST_200600_302600_NS5tupleIssNS7_9null_typeES9_S9_S9_S9_S9_S9_S9_EENS0_10empty_typeEbEEZZNS1_14partition_implILS5_3ELb0ES3_jNS7_6detail15normal_iteratorINS7_7pointerISA_NS7_11hip_rocprim3tagENS7_11use_defaultESJ_EEEEPSB_SM_NS0_5tupleIJPSA_SM_EEENSN_IJSM_SM_EEESB_PlJ10is_orderedEEE10hipError_tPvRmT3_T4_T5_T6_T7_T9_mT8_P12ihipStream_tbDpT10_ENKUlT_T0_E_clISt17integral_constantIbLb0EES1C_EEDaS17_S18_EUlS17_E_NS1_11comp_targetILNS1_3genE8ELNS1_11target_archE1030ELNS1_3gpuE2ELNS1_3repE0EEENS1_30default_config_static_selectorELNS0_4arch9wavefront6targetE1EEEvT1_,"axG",@progbits,_ZN7rocprim17ROCPRIM_400000_NS6detail17trampoline_kernelINS0_14default_configENS1_25partition_config_selectorILNS1_17partition_subalgoE3EN6thrust23THRUST_200600_302600_NS5tupleIssNS7_9null_typeES9_S9_S9_S9_S9_S9_S9_EENS0_10empty_typeEbEEZZNS1_14partition_implILS5_3ELb0ES3_jNS7_6detail15normal_iteratorINS7_7pointerISA_NS7_11hip_rocprim3tagENS7_11use_defaultESJ_EEEEPSB_SM_NS0_5tupleIJPSA_SM_EEENSN_IJSM_SM_EEESB_PlJ10is_orderedEEE10hipError_tPvRmT3_T4_T5_T6_T7_T9_mT8_P12ihipStream_tbDpT10_ENKUlT_T0_E_clISt17integral_constantIbLb0EES1C_EEDaS17_S18_EUlS17_E_NS1_11comp_targetILNS1_3genE8ELNS1_11target_archE1030ELNS1_3gpuE2ELNS1_3repE0EEENS1_30default_config_static_selectorELNS0_4arch9wavefront6targetE1EEEvT1_,comdat
	.protected	_ZN7rocprim17ROCPRIM_400000_NS6detail17trampoline_kernelINS0_14default_configENS1_25partition_config_selectorILNS1_17partition_subalgoE3EN6thrust23THRUST_200600_302600_NS5tupleIssNS7_9null_typeES9_S9_S9_S9_S9_S9_S9_EENS0_10empty_typeEbEEZZNS1_14partition_implILS5_3ELb0ES3_jNS7_6detail15normal_iteratorINS7_7pointerISA_NS7_11hip_rocprim3tagENS7_11use_defaultESJ_EEEEPSB_SM_NS0_5tupleIJPSA_SM_EEENSN_IJSM_SM_EEESB_PlJ10is_orderedEEE10hipError_tPvRmT3_T4_T5_T6_T7_T9_mT8_P12ihipStream_tbDpT10_ENKUlT_T0_E_clISt17integral_constantIbLb0EES1C_EEDaS17_S18_EUlS17_E_NS1_11comp_targetILNS1_3genE8ELNS1_11target_archE1030ELNS1_3gpuE2ELNS1_3repE0EEENS1_30default_config_static_selectorELNS0_4arch9wavefront6targetE1EEEvT1_ ; -- Begin function _ZN7rocprim17ROCPRIM_400000_NS6detail17trampoline_kernelINS0_14default_configENS1_25partition_config_selectorILNS1_17partition_subalgoE3EN6thrust23THRUST_200600_302600_NS5tupleIssNS7_9null_typeES9_S9_S9_S9_S9_S9_S9_EENS0_10empty_typeEbEEZZNS1_14partition_implILS5_3ELb0ES3_jNS7_6detail15normal_iteratorINS7_7pointerISA_NS7_11hip_rocprim3tagENS7_11use_defaultESJ_EEEEPSB_SM_NS0_5tupleIJPSA_SM_EEENSN_IJSM_SM_EEESB_PlJ10is_orderedEEE10hipError_tPvRmT3_T4_T5_T6_T7_T9_mT8_P12ihipStream_tbDpT10_ENKUlT_T0_E_clISt17integral_constantIbLb0EES1C_EEDaS17_S18_EUlS17_E_NS1_11comp_targetILNS1_3genE8ELNS1_11target_archE1030ELNS1_3gpuE2ELNS1_3repE0EEENS1_30default_config_static_selectorELNS0_4arch9wavefront6targetE1EEEvT1_
	.globl	_ZN7rocprim17ROCPRIM_400000_NS6detail17trampoline_kernelINS0_14default_configENS1_25partition_config_selectorILNS1_17partition_subalgoE3EN6thrust23THRUST_200600_302600_NS5tupleIssNS7_9null_typeES9_S9_S9_S9_S9_S9_S9_EENS0_10empty_typeEbEEZZNS1_14partition_implILS5_3ELb0ES3_jNS7_6detail15normal_iteratorINS7_7pointerISA_NS7_11hip_rocprim3tagENS7_11use_defaultESJ_EEEEPSB_SM_NS0_5tupleIJPSA_SM_EEENSN_IJSM_SM_EEESB_PlJ10is_orderedEEE10hipError_tPvRmT3_T4_T5_T6_T7_T9_mT8_P12ihipStream_tbDpT10_ENKUlT_T0_E_clISt17integral_constantIbLb0EES1C_EEDaS17_S18_EUlS17_E_NS1_11comp_targetILNS1_3genE8ELNS1_11target_archE1030ELNS1_3gpuE2ELNS1_3repE0EEENS1_30default_config_static_selectorELNS0_4arch9wavefront6targetE1EEEvT1_
	.p2align	8
	.type	_ZN7rocprim17ROCPRIM_400000_NS6detail17trampoline_kernelINS0_14default_configENS1_25partition_config_selectorILNS1_17partition_subalgoE3EN6thrust23THRUST_200600_302600_NS5tupleIssNS7_9null_typeES9_S9_S9_S9_S9_S9_S9_EENS0_10empty_typeEbEEZZNS1_14partition_implILS5_3ELb0ES3_jNS7_6detail15normal_iteratorINS7_7pointerISA_NS7_11hip_rocprim3tagENS7_11use_defaultESJ_EEEEPSB_SM_NS0_5tupleIJPSA_SM_EEENSN_IJSM_SM_EEESB_PlJ10is_orderedEEE10hipError_tPvRmT3_T4_T5_T6_T7_T9_mT8_P12ihipStream_tbDpT10_ENKUlT_T0_E_clISt17integral_constantIbLb0EES1C_EEDaS17_S18_EUlS17_E_NS1_11comp_targetILNS1_3genE8ELNS1_11target_archE1030ELNS1_3gpuE2ELNS1_3repE0EEENS1_30default_config_static_selectorELNS0_4arch9wavefront6targetE1EEEvT1_,@function
_ZN7rocprim17ROCPRIM_400000_NS6detail17trampoline_kernelINS0_14default_configENS1_25partition_config_selectorILNS1_17partition_subalgoE3EN6thrust23THRUST_200600_302600_NS5tupleIssNS7_9null_typeES9_S9_S9_S9_S9_S9_S9_EENS0_10empty_typeEbEEZZNS1_14partition_implILS5_3ELb0ES3_jNS7_6detail15normal_iteratorINS7_7pointerISA_NS7_11hip_rocprim3tagENS7_11use_defaultESJ_EEEEPSB_SM_NS0_5tupleIJPSA_SM_EEENSN_IJSM_SM_EEESB_PlJ10is_orderedEEE10hipError_tPvRmT3_T4_T5_T6_T7_T9_mT8_P12ihipStream_tbDpT10_ENKUlT_T0_E_clISt17integral_constantIbLb0EES1C_EEDaS17_S18_EUlS17_E_NS1_11comp_targetILNS1_3genE8ELNS1_11target_archE1030ELNS1_3gpuE2ELNS1_3repE0EEENS1_30default_config_static_selectorELNS0_4arch9wavefront6targetE1EEEvT1_: ; @_ZN7rocprim17ROCPRIM_400000_NS6detail17trampoline_kernelINS0_14default_configENS1_25partition_config_selectorILNS1_17partition_subalgoE3EN6thrust23THRUST_200600_302600_NS5tupleIssNS7_9null_typeES9_S9_S9_S9_S9_S9_S9_EENS0_10empty_typeEbEEZZNS1_14partition_implILS5_3ELb0ES3_jNS7_6detail15normal_iteratorINS7_7pointerISA_NS7_11hip_rocprim3tagENS7_11use_defaultESJ_EEEEPSB_SM_NS0_5tupleIJPSA_SM_EEENSN_IJSM_SM_EEESB_PlJ10is_orderedEEE10hipError_tPvRmT3_T4_T5_T6_T7_T9_mT8_P12ihipStream_tbDpT10_ENKUlT_T0_E_clISt17integral_constantIbLb0EES1C_EEDaS17_S18_EUlS17_E_NS1_11comp_targetILNS1_3genE8ELNS1_11target_archE1030ELNS1_3gpuE2ELNS1_3repE0EEENS1_30default_config_static_selectorELNS0_4arch9wavefront6targetE1EEEvT1_
; %bb.0:
	.section	.rodata,"a",@progbits
	.p2align	6, 0x0
	.amdhsa_kernel _ZN7rocprim17ROCPRIM_400000_NS6detail17trampoline_kernelINS0_14default_configENS1_25partition_config_selectorILNS1_17partition_subalgoE3EN6thrust23THRUST_200600_302600_NS5tupleIssNS7_9null_typeES9_S9_S9_S9_S9_S9_S9_EENS0_10empty_typeEbEEZZNS1_14partition_implILS5_3ELb0ES3_jNS7_6detail15normal_iteratorINS7_7pointerISA_NS7_11hip_rocprim3tagENS7_11use_defaultESJ_EEEEPSB_SM_NS0_5tupleIJPSA_SM_EEENSN_IJSM_SM_EEESB_PlJ10is_orderedEEE10hipError_tPvRmT3_T4_T5_T6_T7_T9_mT8_P12ihipStream_tbDpT10_ENKUlT_T0_E_clISt17integral_constantIbLb0EES1C_EEDaS17_S18_EUlS17_E_NS1_11comp_targetILNS1_3genE8ELNS1_11target_archE1030ELNS1_3gpuE2ELNS1_3repE0EEENS1_30default_config_static_selectorELNS0_4arch9wavefront6targetE1EEEvT1_
		.amdhsa_group_segment_fixed_size 0
		.amdhsa_private_segment_fixed_size 0
		.amdhsa_kernarg_size 120
		.amdhsa_user_sgpr_count 2
		.amdhsa_user_sgpr_dispatch_ptr 0
		.amdhsa_user_sgpr_queue_ptr 0
		.amdhsa_user_sgpr_kernarg_segment_ptr 1
		.amdhsa_user_sgpr_dispatch_id 0
		.amdhsa_user_sgpr_kernarg_preload_length 0
		.amdhsa_user_sgpr_kernarg_preload_offset 0
		.amdhsa_user_sgpr_private_segment_size 0
		.amdhsa_uses_dynamic_stack 0
		.amdhsa_enable_private_segment 0
		.amdhsa_system_sgpr_workgroup_id_x 1
		.amdhsa_system_sgpr_workgroup_id_y 0
		.amdhsa_system_sgpr_workgroup_id_z 0
		.amdhsa_system_sgpr_workgroup_info 0
		.amdhsa_system_vgpr_workitem_id 0
		.amdhsa_next_free_vgpr 1
		.amdhsa_next_free_sgpr 0
		.amdhsa_accum_offset 4
		.amdhsa_reserve_vcc 0
		.amdhsa_float_round_mode_32 0
		.amdhsa_float_round_mode_16_64 0
		.amdhsa_float_denorm_mode_32 3
		.amdhsa_float_denorm_mode_16_64 3
		.amdhsa_dx10_clamp 1
		.amdhsa_ieee_mode 1
		.amdhsa_fp16_overflow 0
		.amdhsa_tg_split 0
		.amdhsa_exception_fp_ieee_invalid_op 0
		.amdhsa_exception_fp_denorm_src 0
		.amdhsa_exception_fp_ieee_div_zero 0
		.amdhsa_exception_fp_ieee_overflow 0
		.amdhsa_exception_fp_ieee_underflow 0
		.amdhsa_exception_fp_ieee_inexact 0
		.amdhsa_exception_int_div_zero 0
	.end_amdhsa_kernel
	.section	.text._ZN7rocprim17ROCPRIM_400000_NS6detail17trampoline_kernelINS0_14default_configENS1_25partition_config_selectorILNS1_17partition_subalgoE3EN6thrust23THRUST_200600_302600_NS5tupleIssNS7_9null_typeES9_S9_S9_S9_S9_S9_S9_EENS0_10empty_typeEbEEZZNS1_14partition_implILS5_3ELb0ES3_jNS7_6detail15normal_iteratorINS7_7pointerISA_NS7_11hip_rocprim3tagENS7_11use_defaultESJ_EEEEPSB_SM_NS0_5tupleIJPSA_SM_EEENSN_IJSM_SM_EEESB_PlJ10is_orderedEEE10hipError_tPvRmT3_T4_T5_T6_T7_T9_mT8_P12ihipStream_tbDpT10_ENKUlT_T0_E_clISt17integral_constantIbLb0EES1C_EEDaS17_S18_EUlS17_E_NS1_11comp_targetILNS1_3genE8ELNS1_11target_archE1030ELNS1_3gpuE2ELNS1_3repE0EEENS1_30default_config_static_selectorELNS0_4arch9wavefront6targetE1EEEvT1_,"axG",@progbits,_ZN7rocprim17ROCPRIM_400000_NS6detail17trampoline_kernelINS0_14default_configENS1_25partition_config_selectorILNS1_17partition_subalgoE3EN6thrust23THRUST_200600_302600_NS5tupleIssNS7_9null_typeES9_S9_S9_S9_S9_S9_S9_EENS0_10empty_typeEbEEZZNS1_14partition_implILS5_3ELb0ES3_jNS7_6detail15normal_iteratorINS7_7pointerISA_NS7_11hip_rocprim3tagENS7_11use_defaultESJ_EEEEPSB_SM_NS0_5tupleIJPSA_SM_EEENSN_IJSM_SM_EEESB_PlJ10is_orderedEEE10hipError_tPvRmT3_T4_T5_T6_T7_T9_mT8_P12ihipStream_tbDpT10_ENKUlT_T0_E_clISt17integral_constantIbLb0EES1C_EEDaS17_S18_EUlS17_E_NS1_11comp_targetILNS1_3genE8ELNS1_11target_archE1030ELNS1_3gpuE2ELNS1_3repE0EEENS1_30default_config_static_selectorELNS0_4arch9wavefront6targetE1EEEvT1_,comdat
.Lfunc_end3536:
	.size	_ZN7rocprim17ROCPRIM_400000_NS6detail17trampoline_kernelINS0_14default_configENS1_25partition_config_selectorILNS1_17partition_subalgoE3EN6thrust23THRUST_200600_302600_NS5tupleIssNS7_9null_typeES9_S9_S9_S9_S9_S9_S9_EENS0_10empty_typeEbEEZZNS1_14partition_implILS5_3ELb0ES3_jNS7_6detail15normal_iteratorINS7_7pointerISA_NS7_11hip_rocprim3tagENS7_11use_defaultESJ_EEEEPSB_SM_NS0_5tupleIJPSA_SM_EEENSN_IJSM_SM_EEESB_PlJ10is_orderedEEE10hipError_tPvRmT3_T4_T5_T6_T7_T9_mT8_P12ihipStream_tbDpT10_ENKUlT_T0_E_clISt17integral_constantIbLb0EES1C_EEDaS17_S18_EUlS17_E_NS1_11comp_targetILNS1_3genE8ELNS1_11target_archE1030ELNS1_3gpuE2ELNS1_3repE0EEENS1_30default_config_static_selectorELNS0_4arch9wavefront6targetE1EEEvT1_, .Lfunc_end3536-_ZN7rocprim17ROCPRIM_400000_NS6detail17trampoline_kernelINS0_14default_configENS1_25partition_config_selectorILNS1_17partition_subalgoE3EN6thrust23THRUST_200600_302600_NS5tupleIssNS7_9null_typeES9_S9_S9_S9_S9_S9_S9_EENS0_10empty_typeEbEEZZNS1_14partition_implILS5_3ELb0ES3_jNS7_6detail15normal_iteratorINS7_7pointerISA_NS7_11hip_rocprim3tagENS7_11use_defaultESJ_EEEEPSB_SM_NS0_5tupleIJPSA_SM_EEENSN_IJSM_SM_EEESB_PlJ10is_orderedEEE10hipError_tPvRmT3_T4_T5_T6_T7_T9_mT8_P12ihipStream_tbDpT10_ENKUlT_T0_E_clISt17integral_constantIbLb0EES1C_EEDaS17_S18_EUlS17_E_NS1_11comp_targetILNS1_3genE8ELNS1_11target_archE1030ELNS1_3gpuE2ELNS1_3repE0EEENS1_30default_config_static_selectorELNS0_4arch9wavefront6targetE1EEEvT1_
                                        ; -- End function
	.section	.AMDGPU.csdata,"",@progbits
; Kernel info:
; codeLenInByte = 0
; NumSgprs: 6
; NumVgprs: 0
; NumAgprs: 0
; TotalNumVgprs: 0
; ScratchSize: 0
; MemoryBound: 0
; FloatMode: 240
; IeeeMode: 1
; LDSByteSize: 0 bytes/workgroup (compile time only)
; SGPRBlocks: 0
; VGPRBlocks: 0
; NumSGPRsForWavesPerEU: 6
; NumVGPRsForWavesPerEU: 1
; AccumOffset: 4
; Occupancy: 8
; WaveLimiterHint : 0
; COMPUTE_PGM_RSRC2:SCRATCH_EN: 0
; COMPUTE_PGM_RSRC2:USER_SGPR: 2
; COMPUTE_PGM_RSRC2:TRAP_HANDLER: 0
; COMPUTE_PGM_RSRC2:TGID_X_EN: 1
; COMPUTE_PGM_RSRC2:TGID_Y_EN: 0
; COMPUTE_PGM_RSRC2:TGID_Z_EN: 0
; COMPUTE_PGM_RSRC2:TIDIG_COMP_CNT: 0
; COMPUTE_PGM_RSRC3_GFX90A:ACCUM_OFFSET: 0
; COMPUTE_PGM_RSRC3_GFX90A:TG_SPLIT: 0
	.section	.text._ZN7rocprim17ROCPRIM_400000_NS6detail17trampoline_kernelINS0_14default_configENS1_25partition_config_selectorILNS1_17partition_subalgoE3EN6thrust23THRUST_200600_302600_NS5tupleIssNS7_9null_typeES9_S9_S9_S9_S9_S9_S9_EENS0_10empty_typeEbEEZZNS1_14partition_implILS5_3ELb0ES3_jNS7_6detail15normal_iteratorINS7_7pointerISA_NS7_11hip_rocprim3tagENS7_11use_defaultESJ_EEEEPSB_SM_NS0_5tupleIJPSA_SM_EEENSN_IJSM_SM_EEESB_PlJ10is_orderedEEE10hipError_tPvRmT3_T4_T5_T6_T7_T9_mT8_P12ihipStream_tbDpT10_ENKUlT_T0_E_clISt17integral_constantIbLb1EES1C_EEDaS17_S18_EUlS17_E_NS1_11comp_targetILNS1_3genE0ELNS1_11target_archE4294967295ELNS1_3gpuE0ELNS1_3repE0EEENS1_30default_config_static_selectorELNS0_4arch9wavefront6targetE1EEEvT1_,"axG",@progbits,_ZN7rocprim17ROCPRIM_400000_NS6detail17trampoline_kernelINS0_14default_configENS1_25partition_config_selectorILNS1_17partition_subalgoE3EN6thrust23THRUST_200600_302600_NS5tupleIssNS7_9null_typeES9_S9_S9_S9_S9_S9_S9_EENS0_10empty_typeEbEEZZNS1_14partition_implILS5_3ELb0ES3_jNS7_6detail15normal_iteratorINS7_7pointerISA_NS7_11hip_rocprim3tagENS7_11use_defaultESJ_EEEEPSB_SM_NS0_5tupleIJPSA_SM_EEENSN_IJSM_SM_EEESB_PlJ10is_orderedEEE10hipError_tPvRmT3_T4_T5_T6_T7_T9_mT8_P12ihipStream_tbDpT10_ENKUlT_T0_E_clISt17integral_constantIbLb1EES1C_EEDaS17_S18_EUlS17_E_NS1_11comp_targetILNS1_3genE0ELNS1_11target_archE4294967295ELNS1_3gpuE0ELNS1_3repE0EEENS1_30default_config_static_selectorELNS0_4arch9wavefront6targetE1EEEvT1_,comdat
	.protected	_ZN7rocprim17ROCPRIM_400000_NS6detail17trampoline_kernelINS0_14default_configENS1_25partition_config_selectorILNS1_17partition_subalgoE3EN6thrust23THRUST_200600_302600_NS5tupleIssNS7_9null_typeES9_S9_S9_S9_S9_S9_S9_EENS0_10empty_typeEbEEZZNS1_14partition_implILS5_3ELb0ES3_jNS7_6detail15normal_iteratorINS7_7pointerISA_NS7_11hip_rocprim3tagENS7_11use_defaultESJ_EEEEPSB_SM_NS0_5tupleIJPSA_SM_EEENSN_IJSM_SM_EEESB_PlJ10is_orderedEEE10hipError_tPvRmT3_T4_T5_T6_T7_T9_mT8_P12ihipStream_tbDpT10_ENKUlT_T0_E_clISt17integral_constantIbLb1EES1C_EEDaS17_S18_EUlS17_E_NS1_11comp_targetILNS1_3genE0ELNS1_11target_archE4294967295ELNS1_3gpuE0ELNS1_3repE0EEENS1_30default_config_static_selectorELNS0_4arch9wavefront6targetE1EEEvT1_ ; -- Begin function _ZN7rocprim17ROCPRIM_400000_NS6detail17trampoline_kernelINS0_14default_configENS1_25partition_config_selectorILNS1_17partition_subalgoE3EN6thrust23THRUST_200600_302600_NS5tupleIssNS7_9null_typeES9_S9_S9_S9_S9_S9_S9_EENS0_10empty_typeEbEEZZNS1_14partition_implILS5_3ELb0ES3_jNS7_6detail15normal_iteratorINS7_7pointerISA_NS7_11hip_rocprim3tagENS7_11use_defaultESJ_EEEEPSB_SM_NS0_5tupleIJPSA_SM_EEENSN_IJSM_SM_EEESB_PlJ10is_orderedEEE10hipError_tPvRmT3_T4_T5_T6_T7_T9_mT8_P12ihipStream_tbDpT10_ENKUlT_T0_E_clISt17integral_constantIbLb1EES1C_EEDaS17_S18_EUlS17_E_NS1_11comp_targetILNS1_3genE0ELNS1_11target_archE4294967295ELNS1_3gpuE0ELNS1_3repE0EEENS1_30default_config_static_selectorELNS0_4arch9wavefront6targetE1EEEvT1_
	.globl	_ZN7rocprim17ROCPRIM_400000_NS6detail17trampoline_kernelINS0_14default_configENS1_25partition_config_selectorILNS1_17partition_subalgoE3EN6thrust23THRUST_200600_302600_NS5tupleIssNS7_9null_typeES9_S9_S9_S9_S9_S9_S9_EENS0_10empty_typeEbEEZZNS1_14partition_implILS5_3ELb0ES3_jNS7_6detail15normal_iteratorINS7_7pointerISA_NS7_11hip_rocprim3tagENS7_11use_defaultESJ_EEEEPSB_SM_NS0_5tupleIJPSA_SM_EEENSN_IJSM_SM_EEESB_PlJ10is_orderedEEE10hipError_tPvRmT3_T4_T5_T6_T7_T9_mT8_P12ihipStream_tbDpT10_ENKUlT_T0_E_clISt17integral_constantIbLb1EES1C_EEDaS17_S18_EUlS17_E_NS1_11comp_targetILNS1_3genE0ELNS1_11target_archE4294967295ELNS1_3gpuE0ELNS1_3repE0EEENS1_30default_config_static_selectorELNS0_4arch9wavefront6targetE1EEEvT1_
	.p2align	8
	.type	_ZN7rocprim17ROCPRIM_400000_NS6detail17trampoline_kernelINS0_14default_configENS1_25partition_config_selectorILNS1_17partition_subalgoE3EN6thrust23THRUST_200600_302600_NS5tupleIssNS7_9null_typeES9_S9_S9_S9_S9_S9_S9_EENS0_10empty_typeEbEEZZNS1_14partition_implILS5_3ELb0ES3_jNS7_6detail15normal_iteratorINS7_7pointerISA_NS7_11hip_rocprim3tagENS7_11use_defaultESJ_EEEEPSB_SM_NS0_5tupleIJPSA_SM_EEENSN_IJSM_SM_EEESB_PlJ10is_orderedEEE10hipError_tPvRmT3_T4_T5_T6_T7_T9_mT8_P12ihipStream_tbDpT10_ENKUlT_T0_E_clISt17integral_constantIbLb1EES1C_EEDaS17_S18_EUlS17_E_NS1_11comp_targetILNS1_3genE0ELNS1_11target_archE4294967295ELNS1_3gpuE0ELNS1_3repE0EEENS1_30default_config_static_selectorELNS0_4arch9wavefront6targetE1EEEvT1_,@function
_ZN7rocprim17ROCPRIM_400000_NS6detail17trampoline_kernelINS0_14default_configENS1_25partition_config_selectorILNS1_17partition_subalgoE3EN6thrust23THRUST_200600_302600_NS5tupleIssNS7_9null_typeES9_S9_S9_S9_S9_S9_S9_EENS0_10empty_typeEbEEZZNS1_14partition_implILS5_3ELb0ES3_jNS7_6detail15normal_iteratorINS7_7pointerISA_NS7_11hip_rocprim3tagENS7_11use_defaultESJ_EEEEPSB_SM_NS0_5tupleIJPSA_SM_EEENSN_IJSM_SM_EEESB_PlJ10is_orderedEEE10hipError_tPvRmT3_T4_T5_T6_T7_T9_mT8_P12ihipStream_tbDpT10_ENKUlT_T0_E_clISt17integral_constantIbLb1EES1C_EEDaS17_S18_EUlS17_E_NS1_11comp_targetILNS1_3genE0ELNS1_11target_archE4294967295ELNS1_3gpuE0ELNS1_3repE0EEENS1_30default_config_static_selectorELNS0_4arch9wavefront6targetE1EEEvT1_: ; @_ZN7rocprim17ROCPRIM_400000_NS6detail17trampoline_kernelINS0_14default_configENS1_25partition_config_selectorILNS1_17partition_subalgoE3EN6thrust23THRUST_200600_302600_NS5tupleIssNS7_9null_typeES9_S9_S9_S9_S9_S9_S9_EENS0_10empty_typeEbEEZZNS1_14partition_implILS5_3ELb0ES3_jNS7_6detail15normal_iteratorINS7_7pointerISA_NS7_11hip_rocprim3tagENS7_11use_defaultESJ_EEEEPSB_SM_NS0_5tupleIJPSA_SM_EEENSN_IJSM_SM_EEESB_PlJ10is_orderedEEE10hipError_tPvRmT3_T4_T5_T6_T7_T9_mT8_P12ihipStream_tbDpT10_ENKUlT_T0_E_clISt17integral_constantIbLb1EES1C_EEDaS17_S18_EUlS17_E_NS1_11comp_targetILNS1_3genE0ELNS1_11target_archE4294967295ELNS1_3gpuE0ELNS1_3repE0EEENS1_30default_config_static_selectorELNS0_4arch9wavefront6targetE1EEEvT1_
; %bb.0:
	.section	.rodata,"a",@progbits
	.p2align	6, 0x0
	.amdhsa_kernel _ZN7rocprim17ROCPRIM_400000_NS6detail17trampoline_kernelINS0_14default_configENS1_25partition_config_selectorILNS1_17partition_subalgoE3EN6thrust23THRUST_200600_302600_NS5tupleIssNS7_9null_typeES9_S9_S9_S9_S9_S9_S9_EENS0_10empty_typeEbEEZZNS1_14partition_implILS5_3ELb0ES3_jNS7_6detail15normal_iteratorINS7_7pointerISA_NS7_11hip_rocprim3tagENS7_11use_defaultESJ_EEEEPSB_SM_NS0_5tupleIJPSA_SM_EEENSN_IJSM_SM_EEESB_PlJ10is_orderedEEE10hipError_tPvRmT3_T4_T5_T6_T7_T9_mT8_P12ihipStream_tbDpT10_ENKUlT_T0_E_clISt17integral_constantIbLb1EES1C_EEDaS17_S18_EUlS17_E_NS1_11comp_targetILNS1_3genE0ELNS1_11target_archE4294967295ELNS1_3gpuE0ELNS1_3repE0EEENS1_30default_config_static_selectorELNS0_4arch9wavefront6targetE1EEEvT1_
		.amdhsa_group_segment_fixed_size 0
		.amdhsa_private_segment_fixed_size 0
		.amdhsa_kernarg_size 136
		.amdhsa_user_sgpr_count 2
		.amdhsa_user_sgpr_dispatch_ptr 0
		.amdhsa_user_sgpr_queue_ptr 0
		.amdhsa_user_sgpr_kernarg_segment_ptr 1
		.amdhsa_user_sgpr_dispatch_id 0
		.amdhsa_user_sgpr_kernarg_preload_length 0
		.amdhsa_user_sgpr_kernarg_preload_offset 0
		.amdhsa_user_sgpr_private_segment_size 0
		.amdhsa_uses_dynamic_stack 0
		.amdhsa_enable_private_segment 0
		.amdhsa_system_sgpr_workgroup_id_x 1
		.amdhsa_system_sgpr_workgroup_id_y 0
		.amdhsa_system_sgpr_workgroup_id_z 0
		.amdhsa_system_sgpr_workgroup_info 0
		.amdhsa_system_vgpr_workitem_id 0
		.amdhsa_next_free_vgpr 1
		.amdhsa_next_free_sgpr 0
		.amdhsa_accum_offset 4
		.amdhsa_reserve_vcc 0
		.amdhsa_float_round_mode_32 0
		.amdhsa_float_round_mode_16_64 0
		.amdhsa_float_denorm_mode_32 3
		.amdhsa_float_denorm_mode_16_64 3
		.amdhsa_dx10_clamp 1
		.amdhsa_ieee_mode 1
		.amdhsa_fp16_overflow 0
		.amdhsa_tg_split 0
		.amdhsa_exception_fp_ieee_invalid_op 0
		.amdhsa_exception_fp_denorm_src 0
		.amdhsa_exception_fp_ieee_div_zero 0
		.amdhsa_exception_fp_ieee_overflow 0
		.amdhsa_exception_fp_ieee_underflow 0
		.amdhsa_exception_fp_ieee_inexact 0
		.amdhsa_exception_int_div_zero 0
	.end_amdhsa_kernel
	.section	.text._ZN7rocprim17ROCPRIM_400000_NS6detail17trampoline_kernelINS0_14default_configENS1_25partition_config_selectorILNS1_17partition_subalgoE3EN6thrust23THRUST_200600_302600_NS5tupleIssNS7_9null_typeES9_S9_S9_S9_S9_S9_S9_EENS0_10empty_typeEbEEZZNS1_14partition_implILS5_3ELb0ES3_jNS7_6detail15normal_iteratorINS7_7pointerISA_NS7_11hip_rocprim3tagENS7_11use_defaultESJ_EEEEPSB_SM_NS0_5tupleIJPSA_SM_EEENSN_IJSM_SM_EEESB_PlJ10is_orderedEEE10hipError_tPvRmT3_T4_T5_T6_T7_T9_mT8_P12ihipStream_tbDpT10_ENKUlT_T0_E_clISt17integral_constantIbLb1EES1C_EEDaS17_S18_EUlS17_E_NS1_11comp_targetILNS1_3genE0ELNS1_11target_archE4294967295ELNS1_3gpuE0ELNS1_3repE0EEENS1_30default_config_static_selectorELNS0_4arch9wavefront6targetE1EEEvT1_,"axG",@progbits,_ZN7rocprim17ROCPRIM_400000_NS6detail17trampoline_kernelINS0_14default_configENS1_25partition_config_selectorILNS1_17partition_subalgoE3EN6thrust23THRUST_200600_302600_NS5tupleIssNS7_9null_typeES9_S9_S9_S9_S9_S9_S9_EENS0_10empty_typeEbEEZZNS1_14partition_implILS5_3ELb0ES3_jNS7_6detail15normal_iteratorINS7_7pointerISA_NS7_11hip_rocprim3tagENS7_11use_defaultESJ_EEEEPSB_SM_NS0_5tupleIJPSA_SM_EEENSN_IJSM_SM_EEESB_PlJ10is_orderedEEE10hipError_tPvRmT3_T4_T5_T6_T7_T9_mT8_P12ihipStream_tbDpT10_ENKUlT_T0_E_clISt17integral_constantIbLb1EES1C_EEDaS17_S18_EUlS17_E_NS1_11comp_targetILNS1_3genE0ELNS1_11target_archE4294967295ELNS1_3gpuE0ELNS1_3repE0EEENS1_30default_config_static_selectorELNS0_4arch9wavefront6targetE1EEEvT1_,comdat
.Lfunc_end3537:
	.size	_ZN7rocprim17ROCPRIM_400000_NS6detail17trampoline_kernelINS0_14default_configENS1_25partition_config_selectorILNS1_17partition_subalgoE3EN6thrust23THRUST_200600_302600_NS5tupleIssNS7_9null_typeES9_S9_S9_S9_S9_S9_S9_EENS0_10empty_typeEbEEZZNS1_14partition_implILS5_3ELb0ES3_jNS7_6detail15normal_iteratorINS7_7pointerISA_NS7_11hip_rocprim3tagENS7_11use_defaultESJ_EEEEPSB_SM_NS0_5tupleIJPSA_SM_EEENSN_IJSM_SM_EEESB_PlJ10is_orderedEEE10hipError_tPvRmT3_T4_T5_T6_T7_T9_mT8_P12ihipStream_tbDpT10_ENKUlT_T0_E_clISt17integral_constantIbLb1EES1C_EEDaS17_S18_EUlS17_E_NS1_11comp_targetILNS1_3genE0ELNS1_11target_archE4294967295ELNS1_3gpuE0ELNS1_3repE0EEENS1_30default_config_static_selectorELNS0_4arch9wavefront6targetE1EEEvT1_, .Lfunc_end3537-_ZN7rocprim17ROCPRIM_400000_NS6detail17trampoline_kernelINS0_14default_configENS1_25partition_config_selectorILNS1_17partition_subalgoE3EN6thrust23THRUST_200600_302600_NS5tupleIssNS7_9null_typeES9_S9_S9_S9_S9_S9_S9_EENS0_10empty_typeEbEEZZNS1_14partition_implILS5_3ELb0ES3_jNS7_6detail15normal_iteratorINS7_7pointerISA_NS7_11hip_rocprim3tagENS7_11use_defaultESJ_EEEEPSB_SM_NS0_5tupleIJPSA_SM_EEENSN_IJSM_SM_EEESB_PlJ10is_orderedEEE10hipError_tPvRmT3_T4_T5_T6_T7_T9_mT8_P12ihipStream_tbDpT10_ENKUlT_T0_E_clISt17integral_constantIbLb1EES1C_EEDaS17_S18_EUlS17_E_NS1_11comp_targetILNS1_3genE0ELNS1_11target_archE4294967295ELNS1_3gpuE0ELNS1_3repE0EEENS1_30default_config_static_selectorELNS0_4arch9wavefront6targetE1EEEvT1_
                                        ; -- End function
	.section	.AMDGPU.csdata,"",@progbits
; Kernel info:
; codeLenInByte = 0
; NumSgprs: 6
; NumVgprs: 0
; NumAgprs: 0
; TotalNumVgprs: 0
; ScratchSize: 0
; MemoryBound: 0
; FloatMode: 240
; IeeeMode: 1
; LDSByteSize: 0 bytes/workgroup (compile time only)
; SGPRBlocks: 0
; VGPRBlocks: 0
; NumSGPRsForWavesPerEU: 6
; NumVGPRsForWavesPerEU: 1
; AccumOffset: 4
; Occupancy: 8
; WaveLimiterHint : 0
; COMPUTE_PGM_RSRC2:SCRATCH_EN: 0
; COMPUTE_PGM_RSRC2:USER_SGPR: 2
; COMPUTE_PGM_RSRC2:TRAP_HANDLER: 0
; COMPUTE_PGM_RSRC2:TGID_X_EN: 1
; COMPUTE_PGM_RSRC2:TGID_Y_EN: 0
; COMPUTE_PGM_RSRC2:TGID_Z_EN: 0
; COMPUTE_PGM_RSRC2:TIDIG_COMP_CNT: 0
; COMPUTE_PGM_RSRC3_GFX90A:ACCUM_OFFSET: 0
; COMPUTE_PGM_RSRC3_GFX90A:TG_SPLIT: 0
	.section	.text._ZN7rocprim17ROCPRIM_400000_NS6detail17trampoline_kernelINS0_14default_configENS1_25partition_config_selectorILNS1_17partition_subalgoE3EN6thrust23THRUST_200600_302600_NS5tupleIssNS7_9null_typeES9_S9_S9_S9_S9_S9_S9_EENS0_10empty_typeEbEEZZNS1_14partition_implILS5_3ELb0ES3_jNS7_6detail15normal_iteratorINS7_7pointerISA_NS7_11hip_rocprim3tagENS7_11use_defaultESJ_EEEEPSB_SM_NS0_5tupleIJPSA_SM_EEENSN_IJSM_SM_EEESB_PlJ10is_orderedEEE10hipError_tPvRmT3_T4_T5_T6_T7_T9_mT8_P12ihipStream_tbDpT10_ENKUlT_T0_E_clISt17integral_constantIbLb1EES1C_EEDaS17_S18_EUlS17_E_NS1_11comp_targetILNS1_3genE5ELNS1_11target_archE942ELNS1_3gpuE9ELNS1_3repE0EEENS1_30default_config_static_selectorELNS0_4arch9wavefront6targetE1EEEvT1_,"axG",@progbits,_ZN7rocprim17ROCPRIM_400000_NS6detail17trampoline_kernelINS0_14default_configENS1_25partition_config_selectorILNS1_17partition_subalgoE3EN6thrust23THRUST_200600_302600_NS5tupleIssNS7_9null_typeES9_S9_S9_S9_S9_S9_S9_EENS0_10empty_typeEbEEZZNS1_14partition_implILS5_3ELb0ES3_jNS7_6detail15normal_iteratorINS7_7pointerISA_NS7_11hip_rocprim3tagENS7_11use_defaultESJ_EEEEPSB_SM_NS0_5tupleIJPSA_SM_EEENSN_IJSM_SM_EEESB_PlJ10is_orderedEEE10hipError_tPvRmT3_T4_T5_T6_T7_T9_mT8_P12ihipStream_tbDpT10_ENKUlT_T0_E_clISt17integral_constantIbLb1EES1C_EEDaS17_S18_EUlS17_E_NS1_11comp_targetILNS1_3genE5ELNS1_11target_archE942ELNS1_3gpuE9ELNS1_3repE0EEENS1_30default_config_static_selectorELNS0_4arch9wavefront6targetE1EEEvT1_,comdat
	.protected	_ZN7rocprim17ROCPRIM_400000_NS6detail17trampoline_kernelINS0_14default_configENS1_25partition_config_selectorILNS1_17partition_subalgoE3EN6thrust23THRUST_200600_302600_NS5tupleIssNS7_9null_typeES9_S9_S9_S9_S9_S9_S9_EENS0_10empty_typeEbEEZZNS1_14partition_implILS5_3ELb0ES3_jNS7_6detail15normal_iteratorINS7_7pointerISA_NS7_11hip_rocprim3tagENS7_11use_defaultESJ_EEEEPSB_SM_NS0_5tupleIJPSA_SM_EEENSN_IJSM_SM_EEESB_PlJ10is_orderedEEE10hipError_tPvRmT3_T4_T5_T6_T7_T9_mT8_P12ihipStream_tbDpT10_ENKUlT_T0_E_clISt17integral_constantIbLb1EES1C_EEDaS17_S18_EUlS17_E_NS1_11comp_targetILNS1_3genE5ELNS1_11target_archE942ELNS1_3gpuE9ELNS1_3repE0EEENS1_30default_config_static_selectorELNS0_4arch9wavefront6targetE1EEEvT1_ ; -- Begin function _ZN7rocprim17ROCPRIM_400000_NS6detail17trampoline_kernelINS0_14default_configENS1_25partition_config_selectorILNS1_17partition_subalgoE3EN6thrust23THRUST_200600_302600_NS5tupleIssNS7_9null_typeES9_S9_S9_S9_S9_S9_S9_EENS0_10empty_typeEbEEZZNS1_14partition_implILS5_3ELb0ES3_jNS7_6detail15normal_iteratorINS7_7pointerISA_NS7_11hip_rocprim3tagENS7_11use_defaultESJ_EEEEPSB_SM_NS0_5tupleIJPSA_SM_EEENSN_IJSM_SM_EEESB_PlJ10is_orderedEEE10hipError_tPvRmT3_T4_T5_T6_T7_T9_mT8_P12ihipStream_tbDpT10_ENKUlT_T0_E_clISt17integral_constantIbLb1EES1C_EEDaS17_S18_EUlS17_E_NS1_11comp_targetILNS1_3genE5ELNS1_11target_archE942ELNS1_3gpuE9ELNS1_3repE0EEENS1_30default_config_static_selectorELNS0_4arch9wavefront6targetE1EEEvT1_
	.globl	_ZN7rocprim17ROCPRIM_400000_NS6detail17trampoline_kernelINS0_14default_configENS1_25partition_config_selectorILNS1_17partition_subalgoE3EN6thrust23THRUST_200600_302600_NS5tupleIssNS7_9null_typeES9_S9_S9_S9_S9_S9_S9_EENS0_10empty_typeEbEEZZNS1_14partition_implILS5_3ELb0ES3_jNS7_6detail15normal_iteratorINS7_7pointerISA_NS7_11hip_rocprim3tagENS7_11use_defaultESJ_EEEEPSB_SM_NS0_5tupleIJPSA_SM_EEENSN_IJSM_SM_EEESB_PlJ10is_orderedEEE10hipError_tPvRmT3_T4_T5_T6_T7_T9_mT8_P12ihipStream_tbDpT10_ENKUlT_T0_E_clISt17integral_constantIbLb1EES1C_EEDaS17_S18_EUlS17_E_NS1_11comp_targetILNS1_3genE5ELNS1_11target_archE942ELNS1_3gpuE9ELNS1_3repE0EEENS1_30default_config_static_selectorELNS0_4arch9wavefront6targetE1EEEvT1_
	.p2align	8
	.type	_ZN7rocprim17ROCPRIM_400000_NS6detail17trampoline_kernelINS0_14default_configENS1_25partition_config_selectorILNS1_17partition_subalgoE3EN6thrust23THRUST_200600_302600_NS5tupleIssNS7_9null_typeES9_S9_S9_S9_S9_S9_S9_EENS0_10empty_typeEbEEZZNS1_14partition_implILS5_3ELb0ES3_jNS7_6detail15normal_iteratorINS7_7pointerISA_NS7_11hip_rocprim3tagENS7_11use_defaultESJ_EEEEPSB_SM_NS0_5tupleIJPSA_SM_EEENSN_IJSM_SM_EEESB_PlJ10is_orderedEEE10hipError_tPvRmT3_T4_T5_T6_T7_T9_mT8_P12ihipStream_tbDpT10_ENKUlT_T0_E_clISt17integral_constantIbLb1EES1C_EEDaS17_S18_EUlS17_E_NS1_11comp_targetILNS1_3genE5ELNS1_11target_archE942ELNS1_3gpuE9ELNS1_3repE0EEENS1_30default_config_static_selectorELNS0_4arch9wavefront6targetE1EEEvT1_,@function
_ZN7rocprim17ROCPRIM_400000_NS6detail17trampoline_kernelINS0_14default_configENS1_25partition_config_selectorILNS1_17partition_subalgoE3EN6thrust23THRUST_200600_302600_NS5tupleIssNS7_9null_typeES9_S9_S9_S9_S9_S9_S9_EENS0_10empty_typeEbEEZZNS1_14partition_implILS5_3ELb0ES3_jNS7_6detail15normal_iteratorINS7_7pointerISA_NS7_11hip_rocprim3tagENS7_11use_defaultESJ_EEEEPSB_SM_NS0_5tupleIJPSA_SM_EEENSN_IJSM_SM_EEESB_PlJ10is_orderedEEE10hipError_tPvRmT3_T4_T5_T6_T7_T9_mT8_P12ihipStream_tbDpT10_ENKUlT_T0_E_clISt17integral_constantIbLb1EES1C_EEDaS17_S18_EUlS17_E_NS1_11comp_targetILNS1_3genE5ELNS1_11target_archE942ELNS1_3gpuE9ELNS1_3repE0EEENS1_30default_config_static_selectorELNS0_4arch9wavefront6targetE1EEEvT1_: ; @_ZN7rocprim17ROCPRIM_400000_NS6detail17trampoline_kernelINS0_14default_configENS1_25partition_config_selectorILNS1_17partition_subalgoE3EN6thrust23THRUST_200600_302600_NS5tupleIssNS7_9null_typeES9_S9_S9_S9_S9_S9_S9_EENS0_10empty_typeEbEEZZNS1_14partition_implILS5_3ELb0ES3_jNS7_6detail15normal_iteratorINS7_7pointerISA_NS7_11hip_rocprim3tagENS7_11use_defaultESJ_EEEEPSB_SM_NS0_5tupleIJPSA_SM_EEENSN_IJSM_SM_EEESB_PlJ10is_orderedEEE10hipError_tPvRmT3_T4_T5_T6_T7_T9_mT8_P12ihipStream_tbDpT10_ENKUlT_T0_E_clISt17integral_constantIbLb1EES1C_EEDaS17_S18_EUlS17_E_NS1_11comp_targetILNS1_3genE5ELNS1_11target_archE942ELNS1_3gpuE9ELNS1_3repE0EEENS1_30default_config_static_selectorELNS0_4arch9wavefront6targetE1EEEvT1_
; %bb.0:
	s_load_dwordx2 s[22:23], s[0:1], 0x28
	s_load_dwordx4 s[24:27], s[0:1], 0x48
	s_load_dwordx2 s[34:35], s[0:1], 0x58
	s_load_dwordx2 s[36:37], s[0:1], 0x68
	v_cmp_eq_u32_e64 s[20:21], 0, v0
	s_and_saveexec_b64 s[2:3], s[20:21]
	s_cbranch_execz .LBB3538_4
; %bb.1:
	s_mov_b64 s[6:7], exec
	v_mbcnt_lo_u32_b32 v1, s6, 0
	v_mbcnt_hi_u32_b32 v1, s7, v1
	v_cmp_eq_u32_e32 vcc, 0, v1
                                        ; implicit-def: $vgpr2
	s_and_saveexec_b64 s[4:5], vcc
	s_cbranch_execz .LBB3538_3
; %bb.2:
	s_load_dwordx2 s[8:9], s[0:1], 0x78
	s_bcnt1_i32_b64 s6, s[6:7]
	v_mov_b32_e32 v2, 0
	v_mov_b32_e32 v3, s6
	s_waitcnt lgkmcnt(0)
	global_atomic_add v2, v2, v3, s[8:9] sc0
.LBB3538_3:
	s_or_b64 exec, exec, s[4:5]
	s_waitcnt vmcnt(0)
	v_readfirstlane_b32 s4, v2
	v_mov_b32_e32 v2, 0
	s_nop 0
	v_add_u32_e32 v1, s4, v1
	ds_write_b32 v2, v1
.LBB3538_4:
	s_or_b64 exec, exec, s[2:3]
	v_mov_b32_e32 v19, 0
	s_load_dwordx4 s[28:31], s[0:1], 0x8
	s_load_dword s2, s[0:1], 0x70
	s_waitcnt lgkmcnt(0)
	s_barrier
	ds_read_b32 v1, v19
	s_waitcnt lgkmcnt(0)
	s_barrier
	global_load_dwordx2 v[22:23], v19, s[26:27]
	s_lshl_b64 s[0:1], s[30:31], 2
	s_add_u32 s0, s28, s0
	s_addc_u32 s1, s29, s1
	s_add_i32 s4, s2, -1
	s_mulk_i32 s2, 0x1e00
	s_add_i32 s3, s2, s30
	s_sub_i32 s33, s34, s3
	s_addk_i32 s33, 0x1e00
	s_add_u32 s2, s30, s2
	v_readfirstlane_b32 s48, v1
	s_addc_u32 s3, s31, 0
	s_cmp_eq_u32 s48, s4
	s_movk_i32 s6, 0x1e00
	s_cselect_b64 s[26:27], -1, 0
	s_cmp_lg_u32 s48, s4
	v_mov_b64_e32 v[2:3], s[34:35]
	s_cselect_b64 s[4:5], -1, 0
	v_mul_lo_u32 v18, v1, s6
	v_cmp_lt_u64_e32 vcc, s[2:3], v[2:3]
	s_or_b64 s[4:5], vcc, s[4:5]
	v_lshlrev_b64 v[2:3], 2, v[18:19]
	v_lshl_add_u64 v[2:3], s[0:1], 0, v[2:3]
	s_mov_b64 s[0:1], -1
	s_and_b64 vcc, exec, s[4:5]
	v_lshlrev_b32_e32 v24, 2, v0
	s_cbranch_vccz .LBB3538_6
; %bb.5:
	v_mov_b32_e32 v25, v19
	v_lshl_add_u64 v[4:5], v[2:3], 0, v[24:25]
	v_add_co_u32_e32 v6, vcc, 0x1000, v4
	s_mov_b64 s[0:1], 0
	s_nop 0
	v_addc_co_u32_e32 v7, vcc, 0, v5, vcc
	v_add_co_u32_e32 v8, vcc, 0x2000, v4
	s_nop 1
	v_addc_co_u32_e32 v9, vcc, 0, v5, vcc
	v_add_co_u32_e32 v10, vcc, 0x3000, v4
	s_nop 1
	v_addc_co_u32_e32 v11, vcc, 0, v5, vcc
	flat_load_dword v1, v[4:5]
	flat_load_dword v12, v[4:5] offset:2048
	flat_load_dword v13, v[6:7]
	flat_load_dword v14, v[6:7] offset:2048
	;; [unrolled: 2-line block ×4, first 2 shown]
	v_add_co_u32_e32 v6, vcc, 0x4000, v4
	s_nop 1
	v_addc_co_u32_e32 v7, vcc, 0, v5, vcc
	v_add_co_u32_e32 v8, vcc, 0x5000, v4
	s_nop 1
	v_addc_co_u32_e32 v9, vcc, 0, v5, vcc
	;; [unrolled: 3-line block ×4, first 2 shown]
	flat_load_dword v21, v[6:7]
	flat_load_dword v25, v[6:7] offset:2048
	flat_load_dword v26, v[8:9]
	flat_load_dword v27, v[8:9] offset:2048
	;; [unrolled: 2-line block ×3, first 2 shown]
	flat_load_dword v30, v[4:5]
	s_waitcnt vmcnt(0) lgkmcnt(0)
	ds_write2st64_b32 v24, v1, v12 offset1:8
	ds_write2st64_b32 v24, v13, v14 offset0:16 offset1:24
	ds_write2st64_b32 v24, v15, v16 offset0:32 offset1:40
	;; [unrolled: 1-line block ×6, first 2 shown]
	ds_write_b32 v24, v30 offset:28672
	s_waitcnt lgkmcnt(0)
	s_barrier
.LBB3538_6:
	s_andn2_b64 vcc, exec, s[0:1]
	v_cmp_gt_u32_e64 s[0:1], s33, v0
	s_cbranch_vccnz .LBB3538_38
; %bb.7:
	v_mov_b32_e32 v1, 0
	v_mov_b32_e32 v4, 0
	s_and_saveexec_b64 s[2:3], s[0:1]
	s_cbranch_execz .LBB3538_9
; %bb.8:
	v_mov_b32_e32 v25, 0
	v_lshl_add_u64 v[4:5], v[2:3], 0, v[24:25]
	flat_load_dword v4, v[4:5]
.LBB3538_9:
	s_or_b64 exec, exec, s[2:3]
	v_or_b32_e32 v5, 0x200, v0
	v_cmp_gt_u32_e32 vcc, s33, v5
	s_and_saveexec_b64 s[0:1], vcc
	s_cbranch_execz .LBB3538_11
; %bb.10:
	v_mov_b32_e32 v25, 0
	v_lshl_add_u64 v[6:7], v[2:3], 0, v[24:25]
	flat_load_dword v1, v[6:7] offset:2048
.LBB3538_11:
	s_or_b64 exec, exec, s[0:1]
	v_or_b32_e32 v7, 0x400, v0
	v_cmp_gt_u32_e32 vcc, s33, v7
	v_mov_b32_e32 v5, 0
	v_mov_b32_e32 v6, 0
	s_and_saveexec_b64 s[0:1], vcc
	s_cbranch_execz .LBB3538_13
; %bb.12:
	v_lshlrev_b32_e32 v6, 2, v7
	v_mov_b32_e32 v7, 0
	v_lshl_add_u64 v[6:7], v[2:3], 0, v[6:7]
	flat_load_dword v6, v[6:7]
.LBB3538_13:
	s_or_b64 exec, exec, s[0:1]
	v_or_b32_e32 v7, 0x600, v0
	v_cmp_gt_u32_e32 vcc, s33, v7
	s_and_saveexec_b64 s[0:1], vcc
	s_cbranch_execz .LBB3538_15
; %bb.14:
	v_lshlrev_b32_e32 v8, 2, v7
	v_mov_b32_e32 v9, 0
	v_lshl_add_u64 v[8:9], v[2:3], 0, v[8:9]
	flat_load_dword v5, v[8:9]
.LBB3538_15:
	s_or_b64 exec, exec, s[0:1]
	v_or_b32_e32 v9, 0x800, v0
	v_cmp_gt_u32_e32 vcc, s33, v9
	v_mov_b32_e32 v7, 0
	v_mov_b32_e32 v8, 0
	s_and_saveexec_b64 s[0:1], vcc
	s_cbranch_execz .LBB3538_17
; %bb.16:
	v_lshlrev_b32_e32 v8, 2, v9
	v_mov_b32_e32 v9, 0
	v_lshl_add_u64 v[8:9], v[2:3], 0, v[8:9]
	flat_load_dword v8, v[8:9]
.LBB3538_17:
	s_or_b64 exec, exec, s[0:1]
	v_or_b32_e32 v9, 0xa00, v0
	v_cmp_gt_u32_e32 vcc, s33, v9
	s_and_saveexec_b64 s[0:1], vcc
	s_cbranch_execz .LBB3538_19
; %bb.18:
	v_lshlrev_b32_e32 v10, 2, v9
	v_mov_b32_e32 v11, 0
	v_lshl_add_u64 v[10:11], v[2:3], 0, v[10:11]
	flat_load_dword v7, v[10:11]
.LBB3538_19:
	;; [unrolled: 24-line block ×6, first 2 shown]
	s_or_b64 exec, exec, s[0:1]
	v_or_b32_e32 v20, 0x1c00, v0
	v_cmp_gt_u32_e32 vcc, s33, v20
	v_mov_b32_e32 v17, 0
	s_and_saveexec_b64 s[0:1], vcc
	s_cbranch_execz .LBB3538_37
; %bb.36:
	v_lshlrev_b32_e32 v20, 2, v20
	v_mov_b32_e32 v21, 0
	v_lshl_add_u64 v[2:3], v[2:3], 0, v[20:21]
	flat_load_dword v17, v[2:3]
.LBB3538_37:
	s_or_b64 exec, exec, s[0:1]
	s_waitcnt vmcnt(0) lgkmcnt(0)
	ds_write2st64_b32 v24, v4, v1 offset1:8
	ds_write2st64_b32 v24, v6, v5 offset0:16 offset1:24
	ds_write2st64_b32 v24, v8, v7 offset0:32 offset1:40
	;; [unrolled: 1-line block ×6, first 2 shown]
	ds_write_b32 v24, v17 offset:28672
	s_waitcnt lgkmcnt(0)
	s_barrier
.LBB3538_38:
	v_mul_u32_u24_e32 v25, 15, v0
	v_lshlrev_b32_e32 v44, 2, v25
	ds_read2_b32 v[38:39], v44 offset1:1
	ds_read2_b32 v[36:37], v44 offset0:2 offset1:3
	ds_read2_b32 v[34:35], v44 offset0:4 offset1:5
	;; [unrolled: 1-line block ×6, first 2 shown]
	ds_read_b32 v1, v44 offset:56
	v_cndmask_b32_e64 v2, 0, 1, s[4:5]
	v_cmp_ne_u32_e64 s[2:3], 1, v2
	s_andn2_b64 vcc, exec, s[4:5]
	s_waitcnt lgkmcnt(7)
	v_cmp_le_i16_sdwa s[4:5], v38, v38 src0_sel:DWORD src1_sel:WORD_1
	v_cmp_le_i16_sdwa s[6:7], v39, v39 src0_sel:DWORD src1_sel:WORD_1
	s_waitcnt lgkmcnt(6)
	v_cmp_le_i16_sdwa s[8:9], v36, v36 src0_sel:DWORD src1_sel:WORD_1
	v_cmp_le_i16_sdwa s[10:11], v37, v37 src0_sel:DWORD src1_sel:WORD_1
	;; [unrolled: 3-line block ×7, first 2 shown]
	s_waitcnt lgkmcnt(0)
	v_cmp_le_i16_sdwa s[0:1], v1, v1 src0_sel:DWORD src1_sel:WORD_1
	s_barrier
	s_cbranch_vccnz .LBB3538_40
; %bb.39:
	v_cndmask_b32_e64 v3, 0, 1, s[6:7]
	v_cndmask_b32_e64 v2, 0, 1, s[4:5]
	;; [unrolled: 1-line block ×3, first 2 shown]
	v_lshlrev_b16_e32 v3, 8, v3
	v_cndmask_b32_e64 v4, 0, 1, s[8:9]
	v_or_b32_e32 v2, v2, v3
	v_lshlrev_b16_e32 v3, 8, v5
	v_cndmask_b32_e64 v7, 0, 1, s[14:15]
	v_cndmask_b32_e64 v9, 0, 1, s[18:19]
	v_or_b32_sdwa v3, v4, v3 dst_sel:WORD_1 dst_unused:UNUSED_PAD src0_sel:DWORD src1_sel:DWORD
	v_cndmask_b32_e64 v6, 0, 1, s[12:13]
	v_cndmask_b32_e64 v8, 0, 1, s[16:17]
	v_or_b32_sdwa v45, v2, v3 dst_sel:DWORD dst_unused:UNUSED_PAD src0_sel:WORD_0 src1_sel:DWORD
	v_lshlrev_b16_e32 v2, 8, v7
	v_lshlrev_b16_e32 v3, 8, v9
	v_cndmask_b32_e64 v11, 0, 1, s[38:39]
	v_cndmask_b32_e64 v13, 0, 1, s[42:43]
	v_or_b32_e32 v2, v6, v2
	v_or_b32_sdwa v3, v8, v3 dst_sel:WORD_1 dst_unused:UNUSED_PAD src0_sel:DWORD src1_sel:DWORD
	v_cndmask_b32_e64 v10, 0, 1, s[28:29]
	v_cndmask_b32_e64 v12, 0, 1, s[40:41]
	v_or_b32_sdwa v43, v2, v3 dst_sel:DWORD dst_unused:UNUSED_PAD src0_sel:WORD_0 src1_sel:DWORD
	v_lshlrev_b16_e32 v2, 8, v11
	v_lshlrev_b16_e32 v3, 8, v13
	v_or_b32_e32 v2, v10, v2
	v_or_b32_sdwa v3, v12, v3 dst_sel:WORD_1 dst_unused:UNUSED_PAD src0_sel:DWORD src1_sel:DWORD
	v_cndmask_b32_e64 v41, 0, 1, s[44:45]
	v_cndmask_b32_e64 v40, 0, 1, s[46:47]
	v_or_b32_sdwa v42, v2, v3 dst_sel:DWORD dst_unused:UNUSED_PAD src0_sel:WORD_0 src1_sel:DWORD
	s_and_b64 s[28:29], s[0:1], exec
	s_cbranch_execz .LBB3538_41
	s_branch .LBB3538_42
.LBB3538_40:
                                        ; implicit-def: $sgpr28_sgpr29
                                        ; implicit-def: $vgpr40
                                        ; implicit-def: $vgpr41
                                        ; implicit-def: $vgpr42
                                        ; implicit-def: $vgpr43
                                        ; implicit-def: $vgpr45
.LBB3538_41:
	v_cmp_gt_u32_e32 vcc, s33, v25
	v_cmp_le_i16_sdwa s[0:1], v38, v38 src0_sel:DWORD src1_sel:WORD_1
	v_add_u32_e32 v2, 1, v25
	s_and_b64 s[0:1], vcc, s[0:1]
	v_cndmask_b32_e64 v16, 0, 1, s[0:1]
	v_cmp_gt_u32_e32 vcc, s33, v2
	v_cmp_le_i16_sdwa s[0:1], v39, v39 src0_sel:DWORD src1_sel:WORD_1
	v_add_u32_e32 v3, 2, v25
	s_and_b64 s[0:1], vcc, s[0:1]
	v_cndmask_b32_e64 v2, 0, 1, s[0:1]
	;; [unrolled: 5-line block ×12, first 2 shown]
	v_cmp_gt_u32_e32 vcc, s33, v13
	v_cmp_le_i16_sdwa s[0:1], v26, v26 src0_sel:DWORD src1_sel:WORD_1
	v_add_u32_e32 v14, 13, v25
	s_and_b64 s[0:1], vcc, s[0:1]
	v_lshlrev_b16_e32 v2, 8, v2
	v_lshlrev_b16_e32 v4, 8, v4
	v_cndmask_b32_e64 v41, 0, 1, s[0:1]
	v_cmp_gt_u32_e32 vcc, s33, v14
	v_cmp_le_i16_sdwa s[0:1], v27, v27 src0_sel:DWORD src1_sel:WORD_1
	v_or_b32_e32 v2, v16, v2
	v_or_b32_sdwa v3, v3, v4 dst_sel:WORD_1 dst_unused:UNUSED_PAD src0_sel:DWORD src1_sel:DWORD
	v_add_u32_e32 v15, 14, v25
	s_and_b64 s[0:1], vcc, s[0:1]
	v_or_b32_sdwa v45, v2, v3 dst_sel:DWORD dst_unused:UNUSED_PAD src0_sel:WORD_0 src1_sel:DWORD
	v_lshlrev_b16_e32 v2, 8, v6
	v_lshlrev_b16_e32 v3, 8, v8
	v_cndmask_b32_e64 v40, 0, 1, s[0:1]
	v_cmp_gt_u32_e32 vcc, s33, v15
	v_cmp_le_i16_sdwa s[0:1], v1, v1 src0_sel:DWORD src1_sel:WORD_1
	v_or_b32_e32 v2, v5, v2
	v_or_b32_sdwa v3, v7, v3 dst_sel:WORD_1 dst_unused:UNUSED_PAD src0_sel:DWORD src1_sel:DWORD
	s_and_b64 s[0:1], vcc, s[0:1]
	v_or_b32_sdwa v43, v2, v3 dst_sel:DWORD dst_unused:UNUSED_PAD src0_sel:WORD_0 src1_sel:DWORD
	v_lshlrev_b16_e32 v2, 8, v10
	v_lshlrev_b16_e32 v3, 8, v12
	v_or_b32_e32 v2, v9, v2
	v_or_b32_sdwa v3, v11, v3 dst_sel:WORD_1 dst_unused:UNUSED_PAD src0_sel:DWORD src1_sel:DWORD
	s_andn2_b64 s[4:5], s[28:29], exec
	s_and_b64 s[0:1], s[0:1], exec
	v_or_b32_sdwa v42, v2, v3 dst_sel:DWORD dst_unused:UNUSED_PAD src0_sel:WORD_0 src1_sel:DWORD
	s_or_b64 s[28:29], s[4:5], s[0:1]
.LBB3538_42:
	v_and_b32_e32 v49, 0xff, v45
	v_bfe_u32 v50, v45, 8, 8
	v_cndmask_b32_e64 v2, 0, 1, s[28:29]
	v_bfe_u32 v51, v45, 16, 8
	v_lshrrev_b32_e32 v48, 24, v45
	v_add3_u32 v2, v49, v2, v50
	v_and_b32_e32 v52, 0xff, v43
	v_bfe_u32 v53, v43, 8, 8
	v_add3_u32 v2, v2, v51, v48
	v_bfe_u32 v54, v43, 16, 8
	v_lshrrev_b32_e32 v47, 24, v43
	v_add3_u32 v2, v2, v52, v53
	v_and_b32_e32 v55, 0xff, v42
	v_bfe_u32 v57, v42, 8, 8
	v_add3_u32 v2, v2, v54, v47
	v_bfe_u32 v58, v42, 16, 8
	v_lshrrev_b32_e32 v46, 24, v42
	v_add3_u32 v2, v2, v55, v57
	v_and_b32_e32 v59, 0xff, v41
	v_and_b32_e32 v60, 0xff, v40
	v_add3_u32 v2, v2, v58, v46
	v_add3_u32 v63, v2, v59, v60
	v_mbcnt_lo_u32_b32 v2, -1, 0
	v_mbcnt_hi_u32_b32 v61, -1, v2
	v_and_b32_e32 v2, 15, v61
	v_cmp_eq_u32_e64 s[16:17], 0, v2
	v_cmp_lt_u32_e64 s[14:15], 1, v2
	v_cmp_lt_u32_e64 s[12:13], 3, v2
	;; [unrolled: 1-line block ×3, first 2 shown]
	v_and_b32_e32 v2, 16, v61
	v_cmp_eq_u32_e64 s[8:9], 0, v2
	v_or_b32_e32 v2, 63, v0
	s_cmp_lg_u32 s48, 0
	v_cmp_lt_u32_e64 s[4:5], 31, v61
	v_lshrrev_b32_e32 v62, 6, v0
	v_cmp_eq_u32_e64 s[6:7], v2, v0
	s_cbranch_scc0 .LBB3538_73
; %bb.43:
	v_mov_b32_dpp v2, v63 row_shr:1 row_mask:0xf bank_mask:0xf
	v_cndmask_b32_e64 v2, v2, 0, s[16:17]
	v_add_u32_e32 v2, v2, v63
	s_nop 1
	v_mov_b32_dpp v3, v2 row_shr:2 row_mask:0xf bank_mask:0xf
	v_cndmask_b32_e64 v3, 0, v3, s[14:15]
	v_add_u32_e32 v2, v2, v3
	s_nop 1
	;; [unrolled: 4-line block ×4, first 2 shown]
	v_mov_b32_dpp v3, v2 row_bcast:15 row_mask:0xf bank_mask:0xf
	v_cndmask_b32_e64 v3, v3, 0, s[8:9]
	v_add_u32_e32 v2, v2, v3
	s_nop 1
	v_mov_b32_dpp v3, v2 row_bcast:31 row_mask:0xf bank_mask:0xf
	v_cndmask_b32_e64 v3, 0, v3, s[4:5]
	v_add_u32_e32 v2, v2, v3
	s_and_saveexec_b64 s[0:1], s[6:7]
	s_cbranch_execz .LBB3538_45
; %bb.44:
	v_lshlrev_b32_e32 v3, 2, v62
	ds_write_b32 v3, v2
.LBB3538_45:
	s_or_b64 exec, exec, s[0:1]
	v_cmp_gt_u32_e32 vcc, 8, v0
	s_waitcnt lgkmcnt(0)
	s_barrier
	s_and_saveexec_b64 s[0:1], vcc
	s_cbranch_execz .LBB3538_47
; %bb.46:
	ds_read_b32 v3, v24
	v_and_b32_e32 v4, 7, v61
	v_cmp_ne_u32_e32 vcc, 0, v4
	s_waitcnt lgkmcnt(0)
	v_mov_b32_dpp v5, v3 row_shr:1 row_mask:0xf bank_mask:0xf
	v_cndmask_b32_e32 v5, 0, v5, vcc
	v_add_u32_e32 v3, v5, v3
	v_cmp_lt_u32_e32 vcc, 1, v4
	s_nop 0
	v_mov_b32_dpp v5, v3 row_shr:2 row_mask:0xf bank_mask:0xf
	v_cndmask_b32_e32 v5, 0, v5, vcc
	v_add_u32_e32 v3, v3, v5
	v_cmp_lt_u32_e32 vcc, 3, v4
	s_nop 0
	v_mov_b32_dpp v5, v3 row_shr:4 row_mask:0xf bank_mask:0xf
	v_cndmask_b32_e32 v4, 0, v5, vcc
	v_add_u32_e32 v3, v3, v4
	ds_write_b32 v24, v3
.LBB3538_47:
	s_or_b64 exec, exec, s[0:1]
	v_cmp_gt_u32_e32 vcc, 64, v0
	v_cmp_lt_u32_e64 s[0:1], 63, v0
	s_waitcnt lgkmcnt(0)
	s_barrier
	s_waitcnt lgkmcnt(0)
                                        ; implicit-def: $vgpr12
	s_and_saveexec_b64 s[18:19], s[0:1]
	s_cbranch_execz .LBB3538_49
; %bb.48:
	v_lshl_add_u32 v3, v62, 2, -4
	ds_read_b32 v12, v3
	s_waitcnt lgkmcnt(0)
	v_add_u32_e32 v2, v12, v2
.LBB3538_49:
	s_or_b64 exec, exec, s[18:19]
	v_add_u32_e32 v3, -1, v61
	v_and_b32_e32 v4, 64, v61
	v_cmp_lt_i32_e64 s[0:1], v3, v4
	v_cmp_eq_u32_e64 s[18:19], 0, v61
	s_nop 0
	v_cndmask_b32_e64 v3, v3, v61, s[0:1]
	v_lshlrev_b32_e32 v3, 2, v3
	ds_bpermute_b32 v13, v3, v2
	s_and_saveexec_b64 s[0:1], vcc
	s_cbranch_execz .LBB3538_72
; %bb.50:
	v_mov_b32_e32 v11, 0
	ds_read_b32 v2, v11 offset:28
	s_and_saveexec_b64 s[38:39], s[18:19]
	s_cbranch_execz .LBB3538_52
; %bb.51:
	s_add_i32 s40, s48, 64
	s_mov_b32 s41, 0
	s_lshl_b64 s[40:41], s[40:41], 3
	s_add_u32 s40, s36, s40
	v_mov_b32_e32 v3, 1
	s_addc_u32 s41, s37, s41
	s_waitcnt lgkmcnt(0)
	global_store_dwordx2 v11, v[2:3], s[40:41] sc1
.LBB3538_52:
	s_or_b64 exec, exec, s[38:39]
	v_xad_u32 v4, v61, -1, s48
	v_add_u32_e32 v10, 64, v4
	v_lshl_add_u64 v[6:7], v[10:11], 3, s[36:37]
	global_load_dwordx2 v[8:9], v[6:7], off sc1
	s_waitcnt vmcnt(0)
	v_cmp_eq_u16_sdwa s[40:41], v9, v11 src0_sel:BYTE_0 src1_sel:DWORD
	s_and_saveexec_b64 s[38:39], s[40:41]
	s_cbranch_execz .LBB3538_58
; %bb.53:
	s_mov_b32 s42, 1
	s_mov_b64 s[40:41], 0
	v_mov_b32_e32 v3, 0
.LBB3538_54:                            ; =>This Loop Header: Depth=1
                                        ;     Child Loop BB3538_55 Depth 2
	s_max_u32 s43, s42, 1
.LBB3538_55:                            ;   Parent Loop BB3538_54 Depth=1
                                        ; =>  This Inner Loop Header: Depth=2
	s_add_i32 s43, s43, -1
	s_cmp_eq_u32 s43, 0
	s_sleep 1
	s_cbranch_scc0 .LBB3538_55
; %bb.56:                               ;   in Loop: Header=BB3538_54 Depth=1
	global_load_dwordx2 v[8:9], v[6:7], off sc1
	s_cmp_lt_u32 s42, 32
	s_cselect_b64 s[44:45], -1, 0
	s_cmp_lg_u64 s[44:45], 0
	s_addc_u32 s42, s42, 0
	s_waitcnt vmcnt(0)
	v_cmp_ne_u16_sdwa s[44:45], v9, v3 src0_sel:BYTE_0 src1_sel:DWORD
	s_or_b64 s[40:41], s[44:45], s[40:41]
	s_andn2_b64 exec, exec, s[40:41]
	s_cbranch_execnz .LBB3538_54
; %bb.57:
	s_or_b64 exec, exec, s[40:41]
.LBB3538_58:
	s_or_b64 exec, exec, s[38:39]
	v_and_b32_e32 v15, 63, v61
	v_mov_b32_e32 v14, 2
	v_cmp_ne_u32_e32 vcc, 63, v15
	v_cmp_eq_u16_sdwa s[38:39], v9, v14 src0_sel:BYTE_0 src1_sel:DWORD
	v_lshlrev_b64 v[6:7], v61, -1
	v_addc_co_u32_e32 v10, vcc, 0, v61, vcc
	v_and_b32_e32 v3, s39, v7
	v_lshlrev_b32_e32 v16, 2, v10
	v_or_b32_e32 v3, 0x80000000, v3
	ds_bpermute_b32 v10, v16, v8
	v_and_b32_e32 v5, s38, v6
	v_ffbl_b32_e32 v3, v3
	v_add_u32_e32 v3, 32, v3
	v_ffbl_b32_e32 v5, v5
	v_min_u32_e32 v3, v5, v3
	v_cmp_lt_u32_e32 vcc, v15, v3
	v_add_u32_e32 v20, 2, v15
	v_add_u32_e32 v56, 4, v15
	s_waitcnt lgkmcnt(0)
	v_cndmask_b32_e32 v5, 0, v10, vcc
	v_cmp_gt_u32_e32 vcc, 62, v15
	v_add_u32_e32 v5, v5, v8
	v_add_u32_e32 v65, 8, v15
	v_cndmask_b32_e64 v8, 0, 1, vcc
	v_lshlrev_b32_e32 v8, 1, v8
	v_add_lshl_u32 v17, v8, v61, 2
	ds_bpermute_b32 v8, v17, v5
	v_cmp_le_u32_e32 vcc, v20, v3
	v_add_u32_e32 v67, 16, v15
	v_add_u32_e32 v69, 32, v15
	s_waitcnt lgkmcnt(0)
	v_cndmask_b32_e32 v8, 0, v8, vcc
	v_cmp_gt_u32_e32 vcc, 60, v15
	v_add_u32_e32 v5, v5, v8
	s_nop 0
	v_cndmask_b32_e64 v8, 0, 1, vcc
	v_lshlrev_b32_e32 v8, 2, v8
	v_add_lshl_u32 v21, v8, v61, 2
	ds_bpermute_b32 v8, v21, v5
	v_cmp_le_u32_e32 vcc, v56, v3
	s_waitcnt lgkmcnt(0)
	s_nop 0
	v_cndmask_b32_e32 v8, 0, v8, vcc
	v_cmp_gt_u32_e32 vcc, 56, v15
	v_add_u32_e32 v5, v5, v8
	s_nop 0
	v_cndmask_b32_e64 v8, 0, 1, vcc
	v_lshlrev_b32_e32 v8, 3, v8
	v_add_lshl_u32 v64, v8, v61, 2
	ds_bpermute_b32 v8, v64, v5
	v_cmp_le_u32_e32 vcc, v65, v3
	s_waitcnt lgkmcnt(0)
	s_nop 0
	;; [unrolled: 11-line block ×4, first 2 shown]
	v_cndmask_b32_e32 v3, 0, v8, vcc
	v_add_u32_e32 v8, v5, v3
	v_mov_b32_e32 v5, 0
	s_branch .LBB3538_60
.LBB3538_59:                            ;   in Loop: Header=BB3538_60 Depth=1
	s_or_b64 exec, exec, s[38:39]
	v_cmp_eq_u16_sdwa s[38:39], v9, v14 src0_sel:BYTE_0 src1_sel:DWORD
	ds_bpermute_b32 v70, v16, v8
	v_subrev_u32_e32 v4, 64, v4
	v_and_b32_e32 v10, s39, v7
	v_or_b32_e32 v10, 0x80000000, v10
	v_and_b32_e32 v11, s38, v6
	v_ffbl_b32_e32 v10, v10
	v_add_u32_e32 v10, 32, v10
	v_ffbl_b32_e32 v11, v11
	v_min_u32_e32 v10, v11, v10
	v_cmp_lt_u32_e32 vcc, v15, v10
	s_waitcnt lgkmcnt(0)
	s_nop 0
	v_cndmask_b32_e32 v11, 0, v70, vcc
	v_add_u32_e32 v8, v11, v8
	ds_bpermute_b32 v11, v17, v8
	v_cmp_le_u32_e32 vcc, v20, v10
	s_waitcnt lgkmcnt(0)
	s_nop 0
	v_cndmask_b32_e32 v11, 0, v11, vcc
	v_add_u32_e32 v8, v8, v11
	ds_bpermute_b32 v11, v21, v8
	v_cmp_le_u32_e32 vcc, v56, v10
	;; [unrolled: 6-line block ×5, first 2 shown]
	s_waitcnt lgkmcnt(0)
	s_nop 0
	v_cndmask_b32_e32 v10, 0, v11, vcc
	v_add3_u32 v8, v10, v3, v8
.LBB3538_60:                            ; =>This Loop Header: Depth=1
                                        ;     Child Loop BB3538_63 Depth 2
                                        ;       Child Loop BB3538_64 Depth 3
	v_cmp_ne_u16_sdwa s[38:39], v9, v14 src0_sel:BYTE_0 src1_sel:DWORD
	s_nop 1
	v_cndmask_b32_e64 v3, 0, 1, s[38:39]
	;;#ASMSTART
	;;#ASMEND
	s_nop 0
	v_cmp_ne_u32_e32 vcc, 0, v3
	s_cmp_lg_u64 vcc, exec
	v_mov_b32_e32 v3, v8
	s_cbranch_scc1 .LBB3538_67
; %bb.61:                               ;   in Loop: Header=BB3538_60 Depth=1
	v_lshl_add_u64 v[10:11], v[4:5], 3, s[36:37]
	global_load_dwordx2 v[8:9], v[10:11], off sc1
	s_waitcnt vmcnt(0)
	v_cmp_eq_u16_sdwa s[40:41], v9, v5 src0_sel:BYTE_0 src1_sel:DWORD
	s_and_saveexec_b64 s[38:39], s[40:41]
	s_cbranch_execz .LBB3538_59
; %bb.62:                               ;   in Loop: Header=BB3538_60 Depth=1
	s_mov_b32 s42, 1
	s_mov_b64 s[40:41], 0
.LBB3538_63:                            ;   Parent Loop BB3538_60 Depth=1
                                        ; =>  This Loop Header: Depth=2
                                        ;       Child Loop BB3538_64 Depth 3
	s_max_u32 s43, s42, 1
.LBB3538_64:                            ;   Parent Loop BB3538_60 Depth=1
                                        ;     Parent Loop BB3538_63 Depth=2
                                        ; =>    This Inner Loop Header: Depth=3
	s_add_i32 s43, s43, -1
	s_cmp_eq_u32 s43, 0
	s_sleep 1
	s_cbranch_scc0 .LBB3538_64
; %bb.65:                               ;   in Loop: Header=BB3538_63 Depth=2
	global_load_dwordx2 v[8:9], v[10:11], off sc1
	s_cmp_lt_u32 s42, 32
	s_cselect_b64 s[44:45], -1, 0
	s_cmp_lg_u64 s[44:45], 0
	s_addc_u32 s42, s42, 0
	s_waitcnt vmcnt(0)
	v_cmp_ne_u16_sdwa s[44:45], v9, v5 src0_sel:BYTE_0 src1_sel:DWORD
	s_or_b64 s[40:41], s[44:45], s[40:41]
	s_andn2_b64 exec, exec, s[40:41]
	s_cbranch_execnz .LBB3538_63
; %bb.66:                               ;   in Loop: Header=BB3538_60 Depth=1
	s_or_b64 exec, exec, s[40:41]
	s_branch .LBB3538_59
.LBB3538_67:                            ;   in Loop: Header=BB3538_60 Depth=1
                                        ; implicit-def: $vgpr8
                                        ; implicit-def: $vgpr9
	s_cbranch_execz .LBB3538_60
; %bb.68:
	s_and_saveexec_b64 s[38:39], s[18:19]
	s_cbranch_execz .LBB3538_70
; %bb.69:
	s_add_i32 s40, s48, 64
	s_mov_b32 s41, 0
	s_lshl_b64 s[40:41], s[40:41], 3
	s_add_u32 s40, s36, s40
	v_add_u32_e32 v4, v3, v2
	v_mov_b32_e32 v5, 2
	s_addc_u32 s41, s37, s41
	v_mov_b32_e32 v6, 0
	global_store_dwordx2 v6, v[4:5], s[40:41] sc1
	ds_write_b64 v6, v[2:3] offset:30720
.LBB3538_70:
	s_or_b64 exec, exec, s[38:39]
	s_and_b64 exec, exec, s[20:21]
	s_cbranch_execz .LBB3538_72
; %bb.71:
	v_mov_b32_e32 v2, 0
	ds_write_b32 v2, v3 offset:28
.LBB3538_72:
	s_or_b64 exec, exec, s[0:1]
	v_mov_b32_e32 v14, 0
	s_waitcnt lgkmcnt(0)
	s_barrier
	ds_read_b32 v2, v14 offset:28
	v_cndmask_b32_e64 v3, v13, v12, s[18:19]
	v_cndmask_b32_e64 v3, v3, 0, s[20:21]
	s_waitcnt lgkmcnt(0)
	s_barrier
	v_add_u32_e32 v2, v2, v3
	v_add_u32_e32 v3, v2, v49
	;; [unrolled: 1-line block ×10, first 2 shown]
	ds_read_b64 v[20:21], v14 offset:30720
	v_add_u32_e32 v12, v11, v57
	v_add_u32_e32 v13, v12, v58
	;; [unrolled: 1-line block ×5, first 2 shown]
	s_waitcnt lgkmcnt(0)
	v_mov_b32_e32 v56, v21
	s_branch .LBB3538_83
.LBB3538_73:
                                        ; implicit-def: $vgpr56
                                        ; implicit-def: $vgpr20
                                        ; implicit-def: $vgpr2_vgpr3_vgpr4_vgpr5_vgpr6_vgpr7_vgpr8_vgpr9_vgpr10_vgpr11_vgpr12_vgpr13_vgpr14_vgpr15_vgpr16_vgpr17
	s_cbranch_execz .LBB3538_83
; %bb.74:
	s_nop 0
	v_mov_b32_dpp v2, v63 row_shr:1 row_mask:0xf bank_mask:0xf
	v_cndmask_b32_e64 v2, v2, 0, s[16:17]
	v_add_u32_e32 v2, v2, v63
	s_nop 1
	v_mov_b32_dpp v3, v2 row_shr:2 row_mask:0xf bank_mask:0xf
	v_cndmask_b32_e64 v3, 0, v3, s[14:15]
	v_add_u32_e32 v2, v2, v3
	;; [unrolled: 4-line block ×4, first 2 shown]
	s_nop 1
	v_mov_b32_dpp v3, v2 row_bcast:15 row_mask:0xf bank_mask:0xf
	v_cndmask_b32_e64 v3, v3, 0, s[8:9]
	v_add_u32_e32 v2, v2, v3
	s_nop 1
	v_mov_b32_dpp v3, v2 row_bcast:31 row_mask:0xf bank_mask:0xf
	v_cndmask_b32_e64 v3, 0, v3, s[4:5]
	v_add_u32_e32 v2, v2, v3
	s_and_saveexec_b64 s[0:1], s[6:7]
	s_cbranch_execz .LBB3538_76
; %bb.75:
	v_lshlrev_b32_e32 v3, 2, v62
	ds_write_b32 v3, v2
.LBB3538_76:
	s_or_b64 exec, exec, s[0:1]
	v_cmp_gt_u32_e32 vcc, 8, v0
	s_waitcnt lgkmcnt(0)
	s_barrier
	s_and_saveexec_b64 s[0:1], vcc
	s_cbranch_execz .LBB3538_78
; %bb.77:
	s_movk_i32 s4, 0xffc8
	v_mad_i32_i24 v3, v0, s4, v44
	ds_read_b32 v4, v3
	v_and_b32_e32 v5, 7, v61
	v_cmp_ne_u32_e32 vcc, 0, v5
	s_waitcnt lgkmcnt(0)
	v_mov_b32_dpp v6, v4 row_shr:1 row_mask:0xf bank_mask:0xf
	v_cndmask_b32_e32 v6, 0, v6, vcc
	v_add_u32_e32 v4, v6, v4
	v_cmp_lt_u32_e32 vcc, 1, v5
	s_nop 0
	v_mov_b32_dpp v6, v4 row_shr:2 row_mask:0xf bank_mask:0xf
	v_cndmask_b32_e32 v6, 0, v6, vcc
	v_add_u32_e32 v4, v4, v6
	v_cmp_lt_u32_e32 vcc, 3, v5
	s_nop 0
	v_mov_b32_dpp v6, v4 row_shr:4 row_mask:0xf bank_mask:0xf
	v_cndmask_b32_e32 v5, 0, v6, vcc
	v_add_u32_e32 v4, v4, v5
	ds_write_b32 v3, v4
.LBB3538_78:
	s_or_b64 exec, exec, s[0:1]
	v_cmp_lt_u32_e32 vcc, 63, v0
	v_mov_b32_e32 v4, 0
	v_mov_b32_e32 v3, 0
	s_waitcnt lgkmcnt(0)
	s_barrier
	s_and_saveexec_b64 s[0:1], vcc
	s_cbranch_execz .LBB3538_80
; %bb.79:
	v_lshl_add_u32 v3, v62, 2, -4
	ds_read_b32 v3, v3
.LBB3538_80:
	s_or_b64 exec, exec, s[0:1]
	v_add_u32_e32 v5, -1, v61
	v_and_b32_e32 v6, 64, v61
	v_cmp_lt_i32_e32 vcc, v5, v6
	s_waitcnt lgkmcnt(0)
	v_add_u32_e32 v2, v3, v2
	ds_read_b32 v20, v4 offset:28
	v_cndmask_b32_e32 v5, v5, v61, vcc
	v_lshlrev_b32_e32 v5, 2, v5
	ds_bpermute_b32 v2, v5, v2
	s_and_saveexec_b64 s[0:1], s[20:21]
	s_cbranch_execz .LBB3538_82
; %bb.81:
	v_mov_b32_e32 v4, 0
	v_mov_b32_e32 v21, 2
	s_waitcnt lgkmcnt(1)
	global_store_dwordx2 v4, v[20:21], s[36:37] offset:512 sc1
.LBB3538_82:
	s_or_b64 exec, exec, s[0:1]
	v_cmp_eq_u32_e32 vcc, 0, v61
	v_mov_b32_e32 v56, 0
	s_waitcnt lgkmcnt(0)
	v_cndmask_b32_e32 v2, v2, v3, vcc
	v_cndmask_b32_e64 v2, v2, 0, s[20:21]
	v_add_u32_e32 v3, v2, v49
	v_add_u32_e32 v4, v3, v50
	;; [unrolled: 1-line block ×14, first 2 shown]
	s_barrier
.LBB3538_83:
	v_add_u32_e32 v25, v20, v25
	v_sub_u32_e32 v2, v2, v56
	v_and_b32_e32 v50, 1, v45
	v_sub_u32_e32 v49, v25, v2
	v_cmp_eq_u32_e32 vcc, 1, v50
	v_lshrrev_b32_e32 v44, 8, v45
	v_lshrrev_b32_e32 v21, 8, v43
	v_cndmask_b32_e32 v2, v49, v2, vcc
	v_lshlrev_b32_e32 v2, 2, v2
	ds_write_b32 v2, v38
	v_sub_u32_e32 v2, v3, v56
	v_sub_u32_e32 v3, v25, v2
	v_and_b32_e32 v38, 1, v44
	v_add_u32_e32 v3, 1, v3
	v_cmp_eq_u32_e32 vcc, 1, v38
	v_lshrrev_b32_e32 v17, 8, v42
	v_or_b32_e32 v54, 0x200, v0
	v_cndmask_b32_e32 v2, v3, v2, vcc
	v_lshlrev_b32_e32 v2, 2, v2
	ds_write_b32 v2, v39
	v_sub_u32_e32 v2, v4, v56
	v_mov_b32_e32 v4, 1
	v_sub_u32_e32 v3, v25, v2
	v_and_b32_sdwa v38, v4, v45 dst_sel:DWORD dst_unused:UNUSED_PAD src0_sel:DWORD src1_sel:WORD_1
	v_add_u32_e32 v3, 2, v3
	v_cmp_eq_u32_e32 vcc, 1, v38
	v_or_b32_e32 v50, 0x400, v0
	v_or_b32_e32 v44, 0x800, v0
	v_cndmask_b32_e32 v2, v3, v2, vcc
	v_lshlrev_b32_e32 v2, 2, v2
	ds_write_b32 v2, v36
	v_sub_u32_e32 v2, v5, v56
	v_sub_u32_e32 v3, v25, v2
	v_and_b32_e32 v5, 1, v48
	v_add_u32_e32 v3, 3, v3
	v_cmp_eq_u32_e32 vcc, 1, v5
	v_and_b32_e32 v5, 1, v43
	v_or_b32_e32 v48, 0x600, v0
	v_cndmask_b32_e32 v2, v3, v2, vcc
	v_lshlrev_b32_e32 v2, 2, v2
	ds_write_b32 v2, v37
	v_sub_u32_e32 v2, v6, v56
	v_sub_u32_e32 v3, v25, v2
	v_add_u32_e32 v3, 4, v3
	v_cmp_eq_u32_e32 vcc, 1, v5
	v_and_b32_e32 v5, 1, v21
	v_or_b32_e32 v38, 0xc00, v0
	v_cndmask_b32_e32 v2, v3, v2, vcc
	v_lshlrev_b32_e32 v2, 2, v2
	ds_write_b32 v2, v34
	v_sub_u32_e32 v2, v7, v56
	v_sub_u32_e32 v3, v25, v2
	v_add_u32_e32 v3, 5, v3
	v_cmp_eq_u32_e32 vcc, 1, v5
	v_and_b32_sdwa v5, v4, v43 dst_sel:DWORD dst_unused:UNUSED_PAD src0_sel:DWORD src1_sel:WORD_1
	v_and_b32_sdwa v4, v4, v42 dst_sel:DWORD dst_unused:UNUSED_PAD src0_sel:DWORD src1_sel:WORD_1
	v_cndmask_b32_e32 v2, v3, v2, vcc
	v_lshlrev_b32_e32 v2, 2, v2
	ds_write_b32 v2, v35
	v_sub_u32_e32 v2, v8, v56
	v_sub_u32_e32 v3, v25, v2
	v_add_u32_e32 v3, 6, v3
	v_cmp_eq_u32_e32 vcc, 1, v5
	v_and_b32_e32 v5, 1, v47
	v_lshl_add_u64 v[6:7], s[30:31], 0, v[18:19]
	v_cndmask_b32_e32 v2, v3, v2, vcc
	v_lshlrev_b32_e32 v2, 2, v2
	ds_write_b32 v2, v32
	v_sub_u32_e32 v2, v9, v56
	v_sub_u32_e32 v3, v25, v2
	v_add_u32_e32 v3, 7, v3
	v_cmp_eq_u32_e32 vcc, 1, v5
	v_and_b32_e32 v5, 1, v42
	v_mov_b32_e32 v18, s35
	v_cndmask_b32_e32 v2, v3, v2, vcc
	v_lshlrev_b32_e32 v2, 2, v2
	ds_write_b32 v2, v33
	v_sub_u32_e32 v2, v10, v56
	v_sub_u32_e32 v3, v25, v2
	v_add_u32_e32 v3, 8, v3
	v_cmp_eq_u32_e32 vcc, 1, v5
	v_and_b32_e32 v5, 1, v17
	v_or_b32_e32 v42, 0xa00, v0
	v_cndmask_b32_e32 v2, v3, v2, vcc
	v_lshlrev_b32_e32 v2, 2, v2
	ds_write_b32 v2, v30
	v_sub_u32_e32 v2, v11, v56
	v_sub_u32_e32 v3, v25, v2
	v_add_u32_e32 v3, 9, v3
	v_cmp_eq_u32_e32 vcc, 1, v5
	v_or_b32_e32 v36, 0xe00, v0
	v_or_b32_e32 v32, 0x1000, v0
	v_cndmask_b32_e32 v2, v3, v2, vcc
	v_lshlrev_b32_e32 v2, 2, v2
	ds_write_b32 v2, v31
	v_sub_u32_e32 v2, v12, v56
	v_sub_u32_e32 v3, v25, v2
	v_add_u32_e32 v3, 10, v3
	v_cmp_eq_u32_e32 vcc, 1, v4
	v_and_b32_e32 v4, 1, v46
	v_or_b32_e32 v30, 0x1200, v0
	v_cndmask_b32_e32 v2, v3, v2, vcc
	v_lshlrev_b32_e32 v2, 2, v2
	ds_write_b32 v2, v28
	v_sub_u32_e32 v2, v13, v56
	v_sub_u32_e32 v3, v25, v2
	v_add_u32_e32 v3, 11, v3
	v_cmp_eq_u32_e32 vcc, 1, v4
	v_and_b32_e32 v4, 1, v41
	;; [unrolled: 9-line block ×3, first 2 shown]
	v_or_b32_e32 v10, 0x1a00, v0
	v_cndmask_b32_e32 v2, v3, v2, vcc
	v_lshlrev_b32_e32 v2, 2, v2
	ds_write_b32 v2, v26
	v_sub_u32_e32 v2, v15, v56
	v_sub_u32_e32 v3, v25, v2
	v_add_u32_e32 v3, 13, v3
	v_cmp_eq_u32_e32 vcc, 1, v4
	v_or_b32_e32 v26, 0x1400, v0
	v_or_b32_e32 v4, 0x1c00, v0
	v_cndmask_b32_e32 v2, v3, v2, vcc
	v_lshlrev_b32_e32 v2, 2, v2
	ds_write_b32 v2, v27
	v_sub_u32_e32 v2, v16, v56
	v_sub_u32_e32 v3, v25, v2
	v_add_u32_e32 v3, 14, v3
	v_cndmask_b32_e64 v2, v3, v2, s[28:29]
	v_lshlrev_b32_e32 v2, 2, v2
	ds_write_b32 v2, v1
	s_waitcnt lgkmcnt(0)
	s_barrier
	ds_read2st64_b32 v[52:53], v24 offset1:8
	ds_read2st64_b32 v[46:47], v24 offset0:16 offset1:24
	ds_read2st64_b32 v[40:41], v24 offset0:32 offset1:40
	;; [unrolled: 1-line block ×6, first 2 shown]
	ds_read_b32 v24, v24 offset:28672
	v_mov_b32_e32 v1, 0
	v_sub_co_u32_e32 v6, vcc, s34, v6
	v_mov_b32_e32 v57, v1
	v_mov_b32_e32 v21, v1
	v_subb_co_u32_e32 v7, vcc, v18, v7, vcc
	s_waitcnt vmcnt(0)
	v_lshl_add_u64 v[2:3], v[22:23], 0, v[56:57]
	v_lshl_add_u64 v[6:7], v[6:7], 0, v[20:21]
	v_mov_b32_e32 v55, v1
	v_mov_b32_e32 v51, v1
	;; [unrolled: 1-line block ×10, first 2 shown]
	v_or_b32_e32 v16, 0x1600, v0
	v_mov_b32_e32 v17, v1
	v_mov_b32_e32 v13, v1
	;; [unrolled: 1-line block ×4, first 2 shown]
	s_and_b64 vcc, exec, s[2:3]
	v_lshl_add_u64 v[6:7], v[6:7], 0, v[2:3]
	s_cbranch_vccnz .LBB3538_148
; %bb.84:
	v_cmp_ge_u32_e32 vcc, v0, v20
                                        ; implicit-def: $vgpr18_vgpr19
	s_and_saveexec_b64 s[0:1], vcc
	s_xor_b64 s[0:1], exec, s[0:1]
; %bb.85:
	v_not_b32_e32 v18, v0
	v_ashrrev_i32_e32 v19, 31, v18
	v_lshl_add_u64 v[18:19], v[6:7], 0, v[18:19]
; %bb.86:
	s_andn2_saveexec_b64 s[0:1], s[0:1]
; %bb.87:
	v_lshl_add_u64 v[18:19], v[2:3], 0, v[0:1]
; %bb.88:
	s_or_b64 exec, exec, s[0:1]
	v_lshl_add_u64 v[18:19], v[18:19], 2, s[22:23]
	v_cmp_ge_u32_e32 vcc, v54, v20
	s_waitcnt lgkmcnt(7)
	global_store_dword v[18:19], v52, off
                                        ; implicit-def: $vgpr18_vgpr19
	s_and_saveexec_b64 s[0:1], vcc
	s_xor_b64 s[0:1], exec, s[0:1]
; %bb.89:
	v_xor_b32_e32 v18, 0xfffffdff, v0
	v_ashrrev_i32_e32 v19, 31, v18
	v_lshl_add_u64 v[18:19], v[6:7], 0, v[18:19]
; %bb.90:
	s_andn2_saveexec_b64 s[0:1], s[0:1]
; %bb.91:
	v_lshl_add_u64 v[18:19], v[2:3], 0, v[54:55]
; %bb.92:
	s_or_b64 exec, exec, s[0:1]
	v_lshl_add_u64 v[18:19], v[18:19], 2, s[22:23]
	v_cmp_ge_u32_e32 vcc, v50, v20
	global_store_dword v[18:19], v53, off
                                        ; implicit-def: $vgpr18_vgpr19
	s_and_saveexec_b64 s[0:1], vcc
	s_xor_b64 s[0:1], exec, s[0:1]
; %bb.93:
	v_xor_b32_e32 v18, 0xfffffbff, v0
	v_ashrrev_i32_e32 v19, 31, v18
	v_lshl_add_u64 v[18:19], v[6:7], 0, v[18:19]
; %bb.94:
	s_andn2_saveexec_b64 s[0:1], s[0:1]
; %bb.95:
	v_lshl_add_u64 v[18:19], v[2:3], 0, v[50:51]
; %bb.96:
	s_or_b64 exec, exec, s[0:1]
	v_lshl_add_u64 v[18:19], v[18:19], 2, s[22:23]
	v_cmp_ge_u32_e32 vcc, v48, v20
	s_waitcnt lgkmcnt(6)
	global_store_dword v[18:19], v46, off
                                        ; implicit-def: $vgpr18_vgpr19
	s_and_saveexec_b64 s[0:1], vcc
	s_xor_b64 s[0:1], exec, s[0:1]
; %bb.97:
	v_xor_b32_e32 v18, 0xfffff9ff, v0
	v_ashrrev_i32_e32 v19, 31, v18
	v_lshl_add_u64 v[18:19], v[6:7], 0, v[18:19]
; %bb.98:
	s_andn2_saveexec_b64 s[0:1], s[0:1]
; %bb.99:
	v_lshl_add_u64 v[18:19], v[2:3], 0, v[48:49]
; %bb.100:
	s_or_b64 exec, exec, s[0:1]
	v_lshl_add_u64 v[18:19], v[18:19], 2, s[22:23]
	v_cmp_ge_u32_e32 vcc, v44, v20
	global_store_dword v[18:19], v47, off
                                        ; implicit-def: $vgpr18_vgpr19
	s_and_saveexec_b64 s[0:1], vcc
	s_xor_b64 s[0:1], exec, s[0:1]
; %bb.101:
	v_xor_b32_e32 v18, 0xfffff7ff, v0
	;; [unrolled: 33-line block ×7, first 2 shown]
	v_ashrrev_i32_e32 v19, 31, v18
	v_lshl_add_u64 v[18:19], v[6:7], 0, v[18:19]
; %bb.142:
	s_andn2_saveexec_b64 s[0:1], s[0:1]
; %bb.143:
	v_lshl_add_u64 v[18:19], v[2:3], 0, v[4:5]
; %bb.144:
	s_or_b64 exec, exec, s[0:1]
	s_mov_b64 s[0:1], -1
.LBB3538_145:
	s_and_saveexec_b64 s[2:3], s[0:1]
	s_cbranch_execz .LBB3538_240
.LBB3538_146:
	v_lshl_add_u64 v[0:1], v[18:19], 2, s[22:23]
	s_waitcnt lgkmcnt(0)
	global_store_dword v[0:1], v24, off
	s_or_b64 exec, exec, s[2:3]
	s_and_b64 s[0:1], s[20:21], s[26:27]
	s_and_saveexec_b64 s[2:3], s[0:1]
	s_cbranch_execnz .LBB3538_241
.LBB3538_147:
	s_endpgm
.LBB3538_148:
	s_mov_b64 s[0:1], 0
                                        ; implicit-def: $vgpr18_vgpr19
	s_cbranch_execz .LBB3538_145
; %bb.149:
	v_cmp_gt_u32_e32 vcc, s33, v0
	s_and_saveexec_b64 s[2:3], vcc
	s_cbranch_execz .LBB3538_191
; %bb.150:
	v_cmp_ge_u32_e32 vcc, v0, v20
                                        ; implicit-def: $vgpr18_vgpr19
	s_and_saveexec_b64 s[4:5], vcc
	s_xor_b64 s[4:5], exec, s[4:5]
; %bb.151:
	v_not_b32_e32 v18, v0
	v_ashrrev_i32_e32 v19, 31, v18
	v_lshl_add_u64 v[18:19], v[6:7], 0, v[18:19]
; %bb.152:
	s_andn2_saveexec_b64 s[4:5], s[4:5]
; %bb.153:
	v_lshl_add_u64 v[18:19], v[2:3], 0, v[0:1]
; %bb.154:
	s_or_b64 exec, exec, s[4:5]
	v_lshl_add_u64 v[18:19], v[18:19], 2, s[22:23]
	s_waitcnt lgkmcnt(7)
	global_store_dword v[18:19], v52, off
	s_or_b64 exec, exec, s[2:3]
	v_cmp_gt_u32_e32 vcc, s33, v54
	s_and_saveexec_b64 s[2:3], vcc
	s_cbranch_execnz .LBB3538_192
.LBB3538_155:
	s_or_b64 exec, exec, s[2:3]
	v_cmp_gt_u32_e32 vcc, s33, v50
	s_and_saveexec_b64 s[2:3], vcc
	s_cbranch_execz .LBB3538_197
.LBB3538_156:
	v_cmp_ge_u32_e32 vcc, v50, v20
                                        ; implicit-def: $vgpr18_vgpr19
	s_and_saveexec_b64 s[4:5], vcc
	s_xor_b64 s[4:5], exec, s[4:5]
; %bb.157:
	v_xor_b32_e32 v18, 0xfffffbff, v0
	v_ashrrev_i32_e32 v19, 31, v18
	v_lshl_add_u64 v[18:19], v[6:7], 0, v[18:19]
                                        ; implicit-def: $vgpr50_vgpr51
; %bb.158:
	s_andn2_saveexec_b64 s[4:5], s[4:5]
; %bb.159:
	v_lshl_add_u64 v[18:19], v[2:3], 0, v[50:51]
; %bb.160:
	s_or_b64 exec, exec, s[4:5]
	v_lshl_add_u64 v[18:19], v[18:19], 2, s[22:23]
	s_waitcnt lgkmcnt(6)
	global_store_dword v[18:19], v46, off
	s_or_b64 exec, exec, s[2:3]
	v_cmp_gt_u32_e32 vcc, s33, v48
	s_and_saveexec_b64 s[2:3], vcc
	s_cbranch_execnz .LBB3538_198
.LBB3538_161:
	s_or_b64 exec, exec, s[2:3]
	v_cmp_gt_u32_e32 vcc, s33, v44
	s_and_saveexec_b64 s[2:3], vcc
	s_cbranch_execz .LBB3538_203
.LBB3538_162:
	v_cmp_ge_u32_e32 vcc, v44, v20
                                        ; implicit-def: $vgpr18_vgpr19
	s_and_saveexec_b64 s[4:5], vcc
	s_xor_b64 s[4:5], exec, s[4:5]
; %bb.163:
	v_xor_b32_e32 v18, 0xfffff7ff, v0
	v_ashrrev_i32_e32 v19, 31, v18
	v_lshl_add_u64 v[18:19], v[6:7], 0, v[18:19]
                                        ; implicit-def: $vgpr44_vgpr45
; %bb.164:
	s_andn2_saveexec_b64 s[4:5], s[4:5]
; %bb.165:
	v_lshl_add_u64 v[18:19], v[2:3], 0, v[44:45]
; %bb.166:
	s_or_b64 exec, exec, s[4:5]
	v_lshl_add_u64 v[18:19], v[18:19], 2, s[22:23]
	s_waitcnt lgkmcnt(5)
	global_store_dword v[18:19], v40, off
	s_or_b64 exec, exec, s[2:3]
	v_cmp_gt_u32_e32 vcc, s33, v42
	s_and_saveexec_b64 s[2:3], vcc
	s_cbranch_execnz .LBB3538_204
.LBB3538_167:
	s_or_b64 exec, exec, s[2:3]
	v_cmp_gt_u32_e32 vcc, s33, v38
	s_and_saveexec_b64 s[2:3], vcc
	s_cbranch_execz .LBB3538_209
.LBB3538_168:
	v_cmp_ge_u32_e32 vcc, v38, v20
                                        ; implicit-def: $vgpr18_vgpr19
	s_and_saveexec_b64 s[4:5], vcc
	s_xor_b64 s[4:5], exec, s[4:5]
; %bb.169:
	v_xor_b32_e32 v18, 0xfffff3ff, v0
	v_ashrrev_i32_e32 v19, 31, v18
	v_lshl_add_u64 v[18:19], v[6:7], 0, v[18:19]
                                        ; implicit-def: $vgpr38_vgpr39
; %bb.170:
	s_andn2_saveexec_b64 s[4:5], s[4:5]
; %bb.171:
	v_lshl_add_u64 v[18:19], v[2:3], 0, v[38:39]
; %bb.172:
	s_or_b64 exec, exec, s[4:5]
	v_lshl_add_u64 v[18:19], v[18:19], 2, s[22:23]
	s_waitcnt lgkmcnt(4)
	global_store_dword v[18:19], v34, off
	s_or_b64 exec, exec, s[2:3]
	v_cmp_gt_u32_e32 vcc, s33, v36
	s_and_saveexec_b64 s[2:3], vcc
	s_cbranch_execnz .LBB3538_210
.LBB3538_173:
	s_or_b64 exec, exec, s[2:3]
	v_cmp_gt_u32_e32 vcc, s33, v32
	s_and_saveexec_b64 s[2:3], vcc
	s_cbranch_execz .LBB3538_215
.LBB3538_174:
	v_cmp_ge_u32_e32 vcc, v32, v20
                                        ; implicit-def: $vgpr18_vgpr19
	s_and_saveexec_b64 s[4:5], vcc
	s_xor_b64 s[4:5], exec, s[4:5]
; %bb.175:
	v_xor_b32_e32 v18, 0xffffefff, v0
	v_ashrrev_i32_e32 v19, 31, v18
	v_lshl_add_u64 v[18:19], v[6:7], 0, v[18:19]
                                        ; implicit-def: $vgpr32_vgpr33
; %bb.176:
	s_andn2_saveexec_b64 s[4:5], s[4:5]
; %bb.177:
	v_lshl_add_u64 v[18:19], v[2:3], 0, v[32:33]
; %bb.178:
	s_or_b64 exec, exec, s[4:5]
	v_lshl_add_u64 v[18:19], v[18:19], 2, s[22:23]
	s_waitcnt lgkmcnt(3)
	global_store_dword v[18:19], v28, off
	s_or_b64 exec, exec, s[2:3]
	v_cmp_gt_u32_e32 vcc, s33, v30
	s_and_saveexec_b64 s[2:3], vcc
	s_cbranch_execnz .LBB3538_216
.LBB3538_179:
	s_or_b64 exec, exec, s[2:3]
	v_cmp_gt_u32_e32 vcc, s33, v26
	s_and_saveexec_b64 s[2:3], vcc
	s_cbranch_execz .LBB3538_221
.LBB3538_180:
	v_cmp_ge_u32_e32 vcc, v26, v20
                                        ; implicit-def: $vgpr18_vgpr19
	s_and_saveexec_b64 s[4:5], vcc
	s_xor_b64 s[4:5], exec, s[4:5]
; %bb.181:
	v_xor_b32_e32 v18, 0xffffebff, v0
	v_ashrrev_i32_e32 v19, 31, v18
	v_lshl_add_u64 v[18:19], v[6:7], 0, v[18:19]
                                        ; implicit-def: $vgpr26_vgpr27
; %bb.182:
	s_andn2_saveexec_b64 s[4:5], s[4:5]
; %bb.183:
	v_lshl_add_u64 v[18:19], v[2:3], 0, v[26:27]
; %bb.184:
	s_or_b64 exec, exec, s[4:5]
	v_lshl_add_u64 v[18:19], v[18:19], 2, s[22:23]
	s_waitcnt lgkmcnt(2)
	global_store_dword v[18:19], v14, off
	s_or_b64 exec, exec, s[2:3]
	v_cmp_gt_u32_e32 vcc, s33, v16
	s_and_saveexec_b64 s[2:3], vcc
	s_cbranch_execnz .LBB3538_222
.LBB3538_185:
	s_or_b64 exec, exec, s[2:3]
	v_cmp_gt_u32_e32 vcc, s33, v12
	s_and_saveexec_b64 s[2:3], vcc
	s_cbranch_execz .LBB3538_227
.LBB3538_186:
	v_cmp_ge_u32_e32 vcc, v12, v20
                                        ; implicit-def: $vgpr14_vgpr15
	s_and_saveexec_b64 s[4:5], vcc
	s_xor_b64 s[4:5], exec, s[4:5]
	s_cbranch_execz .LBB3538_188
; %bb.187:
	v_xor_b32_e32 v12, 0xffffe7ff, v0
	v_ashrrev_i32_e32 v13, 31, v12
	s_waitcnt lgkmcnt(2)
	v_lshl_add_u64 v[14:15], v[6:7], 0, v[12:13]
                                        ; implicit-def: $vgpr12_vgpr13
.LBB3538_188:
	s_andn2_saveexec_b64 s[4:5], s[4:5]
	s_cbranch_execz .LBB3538_190
; %bb.189:
	s_waitcnt lgkmcnt(2)
	v_lshl_add_u64 v[14:15], v[2:3], 0, v[12:13]
.LBB3538_190:
	s_or_b64 exec, exec, s[4:5]
	s_waitcnt lgkmcnt(2)
	v_lshl_add_u64 v[12:13], v[14:15], 2, s[22:23]
	s_waitcnt lgkmcnt(1)
	global_store_dword v[12:13], v8, off
	s_or_b64 exec, exec, s[2:3]
	v_cmp_gt_u32_e32 vcc, s33, v10
	s_and_saveexec_b64 s[2:3], vcc
	s_cbranch_execz .LBB3538_233
	s_branch .LBB3538_228
.LBB3538_191:
	s_or_b64 exec, exec, s[2:3]
	v_cmp_gt_u32_e32 vcc, s33, v54
	s_and_saveexec_b64 s[2:3], vcc
	s_cbranch_execz .LBB3538_155
.LBB3538_192:
	v_cmp_ge_u32_e32 vcc, v54, v20
                                        ; implicit-def: $vgpr18_vgpr19
	s_and_saveexec_b64 s[4:5], vcc
	s_xor_b64 s[4:5], exec, s[4:5]
; %bb.193:
	v_xor_b32_e32 v18, 0xfffffdff, v0
	v_ashrrev_i32_e32 v19, 31, v18
	v_lshl_add_u64 v[18:19], v[6:7], 0, v[18:19]
                                        ; implicit-def: $vgpr54_vgpr55
; %bb.194:
	s_andn2_saveexec_b64 s[4:5], s[4:5]
; %bb.195:
	v_lshl_add_u64 v[18:19], v[2:3], 0, v[54:55]
; %bb.196:
	s_or_b64 exec, exec, s[4:5]
	v_lshl_add_u64 v[18:19], v[18:19], 2, s[22:23]
	s_waitcnt lgkmcnt(7)
	global_store_dword v[18:19], v53, off
	s_or_b64 exec, exec, s[2:3]
	v_cmp_gt_u32_e32 vcc, s33, v50
	s_and_saveexec_b64 s[2:3], vcc
	s_cbranch_execnz .LBB3538_156
.LBB3538_197:
	s_or_b64 exec, exec, s[2:3]
	v_cmp_gt_u32_e32 vcc, s33, v48
	s_and_saveexec_b64 s[2:3], vcc
	s_cbranch_execz .LBB3538_161
.LBB3538_198:
	v_cmp_ge_u32_e32 vcc, v48, v20
                                        ; implicit-def: $vgpr18_vgpr19
	s_and_saveexec_b64 s[4:5], vcc
	s_xor_b64 s[4:5], exec, s[4:5]
; %bb.199:
	v_xor_b32_e32 v18, 0xfffff9ff, v0
	v_ashrrev_i32_e32 v19, 31, v18
	v_lshl_add_u64 v[18:19], v[6:7], 0, v[18:19]
                                        ; implicit-def: $vgpr48_vgpr49
; %bb.200:
	s_andn2_saveexec_b64 s[4:5], s[4:5]
; %bb.201:
	v_lshl_add_u64 v[18:19], v[2:3], 0, v[48:49]
; %bb.202:
	s_or_b64 exec, exec, s[4:5]
	v_lshl_add_u64 v[18:19], v[18:19], 2, s[22:23]
	s_waitcnt lgkmcnt(6)
	global_store_dword v[18:19], v47, off
	s_or_b64 exec, exec, s[2:3]
	v_cmp_gt_u32_e32 vcc, s33, v44
	s_and_saveexec_b64 s[2:3], vcc
	s_cbranch_execnz .LBB3538_162
.LBB3538_203:
	s_or_b64 exec, exec, s[2:3]
	v_cmp_gt_u32_e32 vcc, s33, v42
	s_and_saveexec_b64 s[2:3], vcc
	s_cbranch_execz .LBB3538_167
.LBB3538_204:
	v_cmp_ge_u32_e32 vcc, v42, v20
                                        ; implicit-def: $vgpr18_vgpr19
	s_and_saveexec_b64 s[4:5], vcc
	s_xor_b64 s[4:5], exec, s[4:5]
; %bb.205:
	v_xor_b32_e32 v18, 0xfffff5ff, v0
	v_ashrrev_i32_e32 v19, 31, v18
	v_lshl_add_u64 v[18:19], v[6:7], 0, v[18:19]
                                        ; implicit-def: $vgpr42_vgpr43
; %bb.206:
	s_andn2_saveexec_b64 s[4:5], s[4:5]
; %bb.207:
	v_lshl_add_u64 v[18:19], v[2:3], 0, v[42:43]
; %bb.208:
	s_or_b64 exec, exec, s[4:5]
	v_lshl_add_u64 v[18:19], v[18:19], 2, s[22:23]
	s_waitcnt lgkmcnt(5)
	global_store_dword v[18:19], v41, off
	s_or_b64 exec, exec, s[2:3]
	v_cmp_gt_u32_e32 vcc, s33, v38
	s_and_saveexec_b64 s[2:3], vcc
	s_cbranch_execnz .LBB3538_168
.LBB3538_209:
	s_or_b64 exec, exec, s[2:3]
	v_cmp_gt_u32_e32 vcc, s33, v36
	s_and_saveexec_b64 s[2:3], vcc
	s_cbranch_execz .LBB3538_173
.LBB3538_210:
	v_cmp_ge_u32_e32 vcc, v36, v20
                                        ; implicit-def: $vgpr18_vgpr19
	s_and_saveexec_b64 s[4:5], vcc
	s_xor_b64 s[4:5], exec, s[4:5]
; %bb.211:
	v_xor_b32_e32 v18, 0xfffff1ff, v0
	v_ashrrev_i32_e32 v19, 31, v18
	v_lshl_add_u64 v[18:19], v[6:7], 0, v[18:19]
                                        ; implicit-def: $vgpr36_vgpr37
; %bb.212:
	s_andn2_saveexec_b64 s[4:5], s[4:5]
; %bb.213:
	v_lshl_add_u64 v[18:19], v[2:3], 0, v[36:37]
; %bb.214:
	s_or_b64 exec, exec, s[4:5]
	v_lshl_add_u64 v[18:19], v[18:19], 2, s[22:23]
	s_waitcnt lgkmcnt(4)
	global_store_dword v[18:19], v35, off
	s_or_b64 exec, exec, s[2:3]
	v_cmp_gt_u32_e32 vcc, s33, v32
	s_and_saveexec_b64 s[2:3], vcc
	s_cbranch_execnz .LBB3538_174
.LBB3538_215:
	s_or_b64 exec, exec, s[2:3]
	v_cmp_gt_u32_e32 vcc, s33, v30
	s_and_saveexec_b64 s[2:3], vcc
	s_cbranch_execz .LBB3538_179
.LBB3538_216:
	v_cmp_ge_u32_e32 vcc, v30, v20
                                        ; implicit-def: $vgpr18_vgpr19
	s_and_saveexec_b64 s[4:5], vcc
	s_xor_b64 s[4:5], exec, s[4:5]
; %bb.217:
	v_xor_b32_e32 v18, 0xffffedff, v0
	v_ashrrev_i32_e32 v19, 31, v18
	v_lshl_add_u64 v[18:19], v[6:7], 0, v[18:19]
                                        ; implicit-def: $vgpr30_vgpr31
; %bb.218:
	s_andn2_saveexec_b64 s[4:5], s[4:5]
; %bb.219:
	v_lshl_add_u64 v[18:19], v[2:3], 0, v[30:31]
; %bb.220:
	s_or_b64 exec, exec, s[4:5]
	v_lshl_add_u64 v[18:19], v[18:19], 2, s[22:23]
	s_waitcnt lgkmcnt(3)
	global_store_dword v[18:19], v29, off
	s_or_b64 exec, exec, s[2:3]
	v_cmp_gt_u32_e32 vcc, s33, v26
	s_and_saveexec_b64 s[2:3], vcc
	s_cbranch_execnz .LBB3538_180
.LBB3538_221:
	s_or_b64 exec, exec, s[2:3]
	v_cmp_gt_u32_e32 vcc, s33, v16
	s_and_saveexec_b64 s[2:3], vcc
	s_cbranch_execz .LBB3538_185
.LBB3538_222:
	v_cmp_ge_u32_e32 vcc, v16, v20
                                        ; implicit-def: $vgpr18_vgpr19
	s_and_saveexec_b64 s[4:5], vcc
	s_xor_b64 s[4:5], exec, s[4:5]
; %bb.223:
	v_xor_b32_e32 v16, 0xffffe9ff, v0
	v_ashrrev_i32_e32 v17, 31, v16
	v_lshl_add_u64 v[18:19], v[6:7], 0, v[16:17]
                                        ; implicit-def: $vgpr16_vgpr17
; %bb.224:
	s_andn2_saveexec_b64 s[4:5], s[4:5]
; %bb.225:
	v_lshl_add_u64 v[18:19], v[2:3], 0, v[16:17]
; %bb.226:
	s_or_b64 exec, exec, s[4:5]
	v_lshl_add_u64 v[16:17], v[18:19], 2, s[22:23]
	s_waitcnt lgkmcnt(2)
	global_store_dword v[16:17], v15, off
	s_or_b64 exec, exec, s[2:3]
	v_cmp_gt_u32_e32 vcc, s33, v12
	s_and_saveexec_b64 s[2:3], vcc
	s_cbranch_execnz .LBB3538_186
.LBB3538_227:
	s_or_b64 exec, exec, s[2:3]
	v_cmp_gt_u32_e32 vcc, s33, v10
	s_and_saveexec_b64 s[2:3], vcc
	s_cbranch_execz .LBB3538_233
.LBB3538_228:
	v_cmp_ge_u32_e32 vcc, v10, v20
                                        ; implicit-def: $vgpr12_vgpr13
	s_and_saveexec_b64 s[4:5], vcc
	s_xor_b64 s[4:5], exec, s[4:5]
; %bb.229:
	v_xor_b32_e32 v10, 0xffffe5ff, v0
	v_ashrrev_i32_e32 v11, 31, v10
	v_lshl_add_u64 v[12:13], v[6:7], 0, v[10:11]
                                        ; implicit-def: $vgpr10_vgpr11
; %bb.230:
	s_andn2_saveexec_b64 s[4:5], s[4:5]
; %bb.231:
	v_lshl_add_u64 v[12:13], v[2:3], 0, v[10:11]
; %bb.232:
	s_or_b64 exec, exec, s[4:5]
	v_lshl_add_u64 v[10:11], v[12:13], 2, s[22:23]
	s_waitcnt lgkmcnt(1)
	global_store_dword v[10:11], v9, off
.LBB3538_233:
	s_or_b64 exec, exec, s[2:3]
	v_cmp_gt_u32_e32 vcc, s33, v4
                                        ; implicit-def: $vgpr18_vgpr19
	s_and_saveexec_b64 s[2:3], vcc
	s_cbranch_execz .LBB3538_239
; %bb.234:
	v_cmp_ge_u32_e32 vcc, v4, v20
                                        ; implicit-def: $vgpr18_vgpr19
	s_and_saveexec_b64 s[4:5], vcc
	s_xor_b64 s[4:5], exec, s[4:5]
; %bb.235:
	v_xor_b32_e32 v0, 0xffffe3ff, v0
	v_ashrrev_i32_e32 v1, 31, v0
	v_lshl_add_u64 v[18:19], v[6:7], 0, v[0:1]
                                        ; implicit-def: $vgpr4_vgpr5
; %bb.236:
	s_andn2_saveexec_b64 s[4:5], s[4:5]
; %bb.237:
	v_lshl_add_u64 v[18:19], v[2:3], 0, v[4:5]
; %bb.238:
	s_or_b64 exec, exec, s[4:5]
	s_or_b64 s[0:1], s[0:1], exec
.LBB3538_239:
	s_or_b64 exec, exec, s[2:3]
	s_and_saveexec_b64 s[2:3], s[0:1]
	s_cbranch_execnz .LBB3538_146
.LBB3538_240:
	s_or_b64 exec, exec, s[2:3]
	s_and_b64 s[0:1], s[20:21], s[26:27]
	s_and_saveexec_b64 s[2:3], s[0:1]
	s_cbranch_execz .LBB3538_147
.LBB3538_241:
	v_mov_b32_e32 v4, 0
	v_lshl_add_u64 v[0:1], v[2:3], 0, v[20:21]
	global_store_dwordx2 v4, v[0:1], s[24:25]
	s_endpgm
	.section	.rodata,"a",@progbits
	.p2align	6, 0x0
	.amdhsa_kernel _ZN7rocprim17ROCPRIM_400000_NS6detail17trampoline_kernelINS0_14default_configENS1_25partition_config_selectorILNS1_17partition_subalgoE3EN6thrust23THRUST_200600_302600_NS5tupleIssNS7_9null_typeES9_S9_S9_S9_S9_S9_S9_EENS0_10empty_typeEbEEZZNS1_14partition_implILS5_3ELb0ES3_jNS7_6detail15normal_iteratorINS7_7pointerISA_NS7_11hip_rocprim3tagENS7_11use_defaultESJ_EEEEPSB_SM_NS0_5tupleIJPSA_SM_EEENSN_IJSM_SM_EEESB_PlJ10is_orderedEEE10hipError_tPvRmT3_T4_T5_T6_T7_T9_mT8_P12ihipStream_tbDpT10_ENKUlT_T0_E_clISt17integral_constantIbLb1EES1C_EEDaS17_S18_EUlS17_E_NS1_11comp_targetILNS1_3genE5ELNS1_11target_archE942ELNS1_3gpuE9ELNS1_3repE0EEENS1_30default_config_static_selectorELNS0_4arch9wavefront6targetE1EEEvT1_
		.amdhsa_group_segment_fixed_size 30728
		.amdhsa_private_segment_fixed_size 0
		.amdhsa_kernarg_size 136
		.amdhsa_user_sgpr_count 2
		.amdhsa_user_sgpr_dispatch_ptr 0
		.amdhsa_user_sgpr_queue_ptr 0
		.amdhsa_user_sgpr_kernarg_segment_ptr 1
		.amdhsa_user_sgpr_dispatch_id 0
		.amdhsa_user_sgpr_kernarg_preload_length 0
		.amdhsa_user_sgpr_kernarg_preload_offset 0
		.amdhsa_user_sgpr_private_segment_size 0
		.amdhsa_uses_dynamic_stack 0
		.amdhsa_enable_private_segment 0
		.amdhsa_system_sgpr_workgroup_id_x 1
		.amdhsa_system_sgpr_workgroup_id_y 0
		.amdhsa_system_sgpr_workgroup_id_z 0
		.amdhsa_system_sgpr_workgroup_info 0
		.amdhsa_system_vgpr_workitem_id 0
		.amdhsa_next_free_vgpr 71
		.amdhsa_next_free_sgpr 49
		.amdhsa_accum_offset 72
		.amdhsa_reserve_vcc 1
		.amdhsa_float_round_mode_32 0
		.amdhsa_float_round_mode_16_64 0
		.amdhsa_float_denorm_mode_32 3
		.amdhsa_float_denorm_mode_16_64 3
		.amdhsa_dx10_clamp 1
		.amdhsa_ieee_mode 1
		.amdhsa_fp16_overflow 0
		.amdhsa_tg_split 0
		.amdhsa_exception_fp_ieee_invalid_op 0
		.amdhsa_exception_fp_denorm_src 0
		.amdhsa_exception_fp_ieee_div_zero 0
		.amdhsa_exception_fp_ieee_overflow 0
		.amdhsa_exception_fp_ieee_underflow 0
		.amdhsa_exception_fp_ieee_inexact 0
		.amdhsa_exception_int_div_zero 0
	.end_amdhsa_kernel
	.section	.text._ZN7rocprim17ROCPRIM_400000_NS6detail17trampoline_kernelINS0_14default_configENS1_25partition_config_selectorILNS1_17partition_subalgoE3EN6thrust23THRUST_200600_302600_NS5tupleIssNS7_9null_typeES9_S9_S9_S9_S9_S9_S9_EENS0_10empty_typeEbEEZZNS1_14partition_implILS5_3ELb0ES3_jNS7_6detail15normal_iteratorINS7_7pointerISA_NS7_11hip_rocprim3tagENS7_11use_defaultESJ_EEEEPSB_SM_NS0_5tupleIJPSA_SM_EEENSN_IJSM_SM_EEESB_PlJ10is_orderedEEE10hipError_tPvRmT3_T4_T5_T6_T7_T9_mT8_P12ihipStream_tbDpT10_ENKUlT_T0_E_clISt17integral_constantIbLb1EES1C_EEDaS17_S18_EUlS17_E_NS1_11comp_targetILNS1_3genE5ELNS1_11target_archE942ELNS1_3gpuE9ELNS1_3repE0EEENS1_30default_config_static_selectorELNS0_4arch9wavefront6targetE1EEEvT1_,"axG",@progbits,_ZN7rocprim17ROCPRIM_400000_NS6detail17trampoline_kernelINS0_14default_configENS1_25partition_config_selectorILNS1_17partition_subalgoE3EN6thrust23THRUST_200600_302600_NS5tupleIssNS7_9null_typeES9_S9_S9_S9_S9_S9_S9_EENS0_10empty_typeEbEEZZNS1_14partition_implILS5_3ELb0ES3_jNS7_6detail15normal_iteratorINS7_7pointerISA_NS7_11hip_rocprim3tagENS7_11use_defaultESJ_EEEEPSB_SM_NS0_5tupleIJPSA_SM_EEENSN_IJSM_SM_EEESB_PlJ10is_orderedEEE10hipError_tPvRmT3_T4_T5_T6_T7_T9_mT8_P12ihipStream_tbDpT10_ENKUlT_T0_E_clISt17integral_constantIbLb1EES1C_EEDaS17_S18_EUlS17_E_NS1_11comp_targetILNS1_3genE5ELNS1_11target_archE942ELNS1_3gpuE9ELNS1_3repE0EEENS1_30default_config_static_selectorELNS0_4arch9wavefront6targetE1EEEvT1_,comdat
.Lfunc_end3538:
	.size	_ZN7rocprim17ROCPRIM_400000_NS6detail17trampoline_kernelINS0_14default_configENS1_25partition_config_selectorILNS1_17partition_subalgoE3EN6thrust23THRUST_200600_302600_NS5tupleIssNS7_9null_typeES9_S9_S9_S9_S9_S9_S9_EENS0_10empty_typeEbEEZZNS1_14partition_implILS5_3ELb0ES3_jNS7_6detail15normal_iteratorINS7_7pointerISA_NS7_11hip_rocprim3tagENS7_11use_defaultESJ_EEEEPSB_SM_NS0_5tupleIJPSA_SM_EEENSN_IJSM_SM_EEESB_PlJ10is_orderedEEE10hipError_tPvRmT3_T4_T5_T6_T7_T9_mT8_P12ihipStream_tbDpT10_ENKUlT_T0_E_clISt17integral_constantIbLb1EES1C_EEDaS17_S18_EUlS17_E_NS1_11comp_targetILNS1_3genE5ELNS1_11target_archE942ELNS1_3gpuE9ELNS1_3repE0EEENS1_30default_config_static_selectorELNS0_4arch9wavefront6targetE1EEEvT1_, .Lfunc_end3538-_ZN7rocprim17ROCPRIM_400000_NS6detail17trampoline_kernelINS0_14default_configENS1_25partition_config_selectorILNS1_17partition_subalgoE3EN6thrust23THRUST_200600_302600_NS5tupleIssNS7_9null_typeES9_S9_S9_S9_S9_S9_S9_EENS0_10empty_typeEbEEZZNS1_14partition_implILS5_3ELb0ES3_jNS7_6detail15normal_iteratorINS7_7pointerISA_NS7_11hip_rocprim3tagENS7_11use_defaultESJ_EEEEPSB_SM_NS0_5tupleIJPSA_SM_EEENSN_IJSM_SM_EEESB_PlJ10is_orderedEEE10hipError_tPvRmT3_T4_T5_T6_T7_T9_mT8_P12ihipStream_tbDpT10_ENKUlT_T0_E_clISt17integral_constantIbLb1EES1C_EEDaS17_S18_EUlS17_E_NS1_11comp_targetILNS1_3genE5ELNS1_11target_archE942ELNS1_3gpuE9ELNS1_3repE0EEENS1_30default_config_static_selectorELNS0_4arch9wavefront6targetE1EEEvT1_
                                        ; -- End function
	.section	.AMDGPU.csdata,"",@progbits
; Kernel info:
; codeLenInByte = 8220
; NumSgprs: 55
; NumVgprs: 71
; NumAgprs: 0
; TotalNumVgprs: 71
; ScratchSize: 0
; MemoryBound: 0
; FloatMode: 240
; IeeeMode: 1
; LDSByteSize: 30728 bytes/workgroup (compile time only)
; SGPRBlocks: 6
; VGPRBlocks: 8
; NumSGPRsForWavesPerEU: 55
; NumVGPRsForWavesPerEU: 71
; AccumOffset: 72
; Occupancy: 4
; WaveLimiterHint : 1
; COMPUTE_PGM_RSRC2:SCRATCH_EN: 0
; COMPUTE_PGM_RSRC2:USER_SGPR: 2
; COMPUTE_PGM_RSRC2:TRAP_HANDLER: 0
; COMPUTE_PGM_RSRC2:TGID_X_EN: 1
; COMPUTE_PGM_RSRC2:TGID_Y_EN: 0
; COMPUTE_PGM_RSRC2:TGID_Z_EN: 0
; COMPUTE_PGM_RSRC2:TIDIG_COMP_CNT: 0
; COMPUTE_PGM_RSRC3_GFX90A:ACCUM_OFFSET: 17
; COMPUTE_PGM_RSRC3_GFX90A:TG_SPLIT: 0
	.section	.text._ZN7rocprim17ROCPRIM_400000_NS6detail17trampoline_kernelINS0_14default_configENS1_25partition_config_selectorILNS1_17partition_subalgoE3EN6thrust23THRUST_200600_302600_NS5tupleIssNS7_9null_typeES9_S9_S9_S9_S9_S9_S9_EENS0_10empty_typeEbEEZZNS1_14partition_implILS5_3ELb0ES3_jNS7_6detail15normal_iteratorINS7_7pointerISA_NS7_11hip_rocprim3tagENS7_11use_defaultESJ_EEEEPSB_SM_NS0_5tupleIJPSA_SM_EEENSN_IJSM_SM_EEESB_PlJ10is_orderedEEE10hipError_tPvRmT3_T4_T5_T6_T7_T9_mT8_P12ihipStream_tbDpT10_ENKUlT_T0_E_clISt17integral_constantIbLb1EES1C_EEDaS17_S18_EUlS17_E_NS1_11comp_targetILNS1_3genE4ELNS1_11target_archE910ELNS1_3gpuE8ELNS1_3repE0EEENS1_30default_config_static_selectorELNS0_4arch9wavefront6targetE1EEEvT1_,"axG",@progbits,_ZN7rocprim17ROCPRIM_400000_NS6detail17trampoline_kernelINS0_14default_configENS1_25partition_config_selectorILNS1_17partition_subalgoE3EN6thrust23THRUST_200600_302600_NS5tupleIssNS7_9null_typeES9_S9_S9_S9_S9_S9_S9_EENS0_10empty_typeEbEEZZNS1_14partition_implILS5_3ELb0ES3_jNS7_6detail15normal_iteratorINS7_7pointerISA_NS7_11hip_rocprim3tagENS7_11use_defaultESJ_EEEEPSB_SM_NS0_5tupleIJPSA_SM_EEENSN_IJSM_SM_EEESB_PlJ10is_orderedEEE10hipError_tPvRmT3_T4_T5_T6_T7_T9_mT8_P12ihipStream_tbDpT10_ENKUlT_T0_E_clISt17integral_constantIbLb1EES1C_EEDaS17_S18_EUlS17_E_NS1_11comp_targetILNS1_3genE4ELNS1_11target_archE910ELNS1_3gpuE8ELNS1_3repE0EEENS1_30default_config_static_selectorELNS0_4arch9wavefront6targetE1EEEvT1_,comdat
	.protected	_ZN7rocprim17ROCPRIM_400000_NS6detail17trampoline_kernelINS0_14default_configENS1_25partition_config_selectorILNS1_17partition_subalgoE3EN6thrust23THRUST_200600_302600_NS5tupleIssNS7_9null_typeES9_S9_S9_S9_S9_S9_S9_EENS0_10empty_typeEbEEZZNS1_14partition_implILS5_3ELb0ES3_jNS7_6detail15normal_iteratorINS7_7pointerISA_NS7_11hip_rocprim3tagENS7_11use_defaultESJ_EEEEPSB_SM_NS0_5tupleIJPSA_SM_EEENSN_IJSM_SM_EEESB_PlJ10is_orderedEEE10hipError_tPvRmT3_T4_T5_T6_T7_T9_mT8_P12ihipStream_tbDpT10_ENKUlT_T0_E_clISt17integral_constantIbLb1EES1C_EEDaS17_S18_EUlS17_E_NS1_11comp_targetILNS1_3genE4ELNS1_11target_archE910ELNS1_3gpuE8ELNS1_3repE0EEENS1_30default_config_static_selectorELNS0_4arch9wavefront6targetE1EEEvT1_ ; -- Begin function _ZN7rocprim17ROCPRIM_400000_NS6detail17trampoline_kernelINS0_14default_configENS1_25partition_config_selectorILNS1_17partition_subalgoE3EN6thrust23THRUST_200600_302600_NS5tupleIssNS7_9null_typeES9_S9_S9_S9_S9_S9_S9_EENS0_10empty_typeEbEEZZNS1_14partition_implILS5_3ELb0ES3_jNS7_6detail15normal_iteratorINS7_7pointerISA_NS7_11hip_rocprim3tagENS7_11use_defaultESJ_EEEEPSB_SM_NS0_5tupleIJPSA_SM_EEENSN_IJSM_SM_EEESB_PlJ10is_orderedEEE10hipError_tPvRmT3_T4_T5_T6_T7_T9_mT8_P12ihipStream_tbDpT10_ENKUlT_T0_E_clISt17integral_constantIbLb1EES1C_EEDaS17_S18_EUlS17_E_NS1_11comp_targetILNS1_3genE4ELNS1_11target_archE910ELNS1_3gpuE8ELNS1_3repE0EEENS1_30default_config_static_selectorELNS0_4arch9wavefront6targetE1EEEvT1_
	.globl	_ZN7rocprim17ROCPRIM_400000_NS6detail17trampoline_kernelINS0_14default_configENS1_25partition_config_selectorILNS1_17partition_subalgoE3EN6thrust23THRUST_200600_302600_NS5tupleIssNS7_9null_typeES9_S9_S9_S9_S9_S9_S9_EENS0_10empty_typeEbEEZZNS1_14partition_implILS5_3ELb0ES3_jNS7_6detail15normal_iteratorINS7_7pointerISA_NS7_11hip_rocprim3tagENS7_11use_defaultESJ_EEEEPSB_SM_NS0_5tupleIJPSA_SM_EEENSN_IJSM_SM_EEESB_PlJ10is_orderedEEE10hipError_tPvRmT3_T4_T5_T6_T7_T9_mT8_P12ihipStream_tbDpT10_ENKUlT_T0_E_clISt17integral_constantIbLb1EES1C_EEDaS17_S18_EUlS17_E_NS1_11comp_targetILNS1_3genE4ELNS1_11target_archE910ELNS1_3gpuE8ELNS1_3repE0EEENS1_30default_config_static_selectorELNS0_4arch9wavefront6targetE1EEEvT1_
	.p2align	8
	.type	_ZN7rocprim17ROCPRIM_400000_NS6detail17trampoline_kernelINS0_14default_configENS1_25partition_config_selectorILNS1_17partition_subalgoE3EN6thrust23THRUST_200600_302600_NS5tupleIssNS7_9null_typeES9_S9_S9_S9_S9_S9_S9_EENS0_10empty_typeEbEEZZNS1_14partition_implILS5_3ELb0ES3_jNS7_6detail15normal_iteratorINS7_7pointerISA_NS7_11hip_rocprim3tagENS7_11use_defaultESJ_EEEEPSB_SM_NS0_5tupleIJPSA_SM_EEENSN_IJSM_SM_EEESB_PlJ10is_orderedEEE10hipError_tPvRmT3_T4_T5_T6_T7_T9_mT8_P12ihipStream_tbDpT10_ENKUlT_T0_E_clISt17integral_constantIbLb1EES1C_EEDaS17_S18_EUlS17_E_NS1_11comp_targetILNS1_3genE4ELNS1_11target_archE910ELNS1_3gpuE8ELNS1_3repE0EEENS1_30default_config_static_selectorELNS0_4arch9wavefront6targetE1EEEvT1_,@function
_ZN7rocprim17ROCPRIM_400000_NS6detail17trampoline_kernelINS0_14default_configENS1_25partition_config_selectorILNS1_17partition_subalgoE3EN6thrust23THRUST_200600_302600_NS5tupleIssNS7_9null_typeES9_S9_S9_S9_S9_S9_S9_EENS0_10empty_typeEbEEZZNS1_14partition_implILS5_3ELb0ES3_jNS7_6detail15normal_iteratorINS7_7pointerISA_NS7_11hip_rocprim3tagENS7_11use_defaultESJ_EEEEPSB_SM_NS0_5tupleIJPSA_SM_EEENSN_IJSM_SM_EEESB_PlJ10is_orderedEEE10hipError_tPvRmT3_T4_T5_T6_T7_T9_mT8_P12ihipStream_tbDpT10_ENKUlT_T0_E_clISt17integral_constantIbLb1EES1C_EEDaS17_S18_EUlS17_E_NS1_11comp_targetILNS1_3genE4ELNS1_11target_archE910ELNS1_3gpuE8ELNS1_3repE0EEENS1_30default_config_static_selectorELNS0_4arch9wavefront6targetE1EEEvT1_: ; @_ZN7rocprim17ROCPRIM_400000_NS6detail17trampoline_kernelINS0_14default_configENS1_25partition_config_selectorILNS1_17partition_subalgoE3EN6thrust23THRUST_200600_302600_NS5tupleIssNS7_9null_typeES9_S9_S9_S9_S9_S9_S9_EENS0_10empty_typeEbEEZZNS1_14partition_implILS5_3ELb0ES3_jNS7_6detail15normal_iteratorINS7_7pointerISA_NS7_11hip_rocprim3tagENS7_11use_defaultESJ_EEEEPSB_SM_NS0_5tupleIJPSA_SM_EEENSN_IJSM_SM_EEESB_PlJ10is_orderedEEE10hipError_tPvRmT3_T4_T5_T6_T7_T9_mT8_P12ihipStream_tbDpT10_ENKUlT_T0_E_clISt17integral_constantIbLb1EES1C_EEDaS17_S18_EUlS17_E_NS1_11comp_targetILNS1_3genE4ELNS1_11target_archE910ELNS1_3gpuE8ELNS1_3repE0EEENS1_30default_config_static_selectorELNS0_4arch9wavefront6targetE1EEEvT1_
; %bb.0:
	.section	.rodata,"a",@progbits
	.p2align	6, 0x0
	.amdhsa_kernel _ZN7rocprim17ROCPRIM_400000_NS6detail17trampoline_kernelINS0_14default_configENS1_25partition_config_selectorILNS1_17partition_subalgoE3EN6thrust23THRUST_200600_302600_NS5tupleIssNS7_9null_typeES9_S9_S9_S9_S9_S9_S9_EENS0_10empty_typeEbEEZZNS1_14partition_implILS5_3ELb0ES3_jNS7_6detail15normal_iteratorINS7_7pointerISA_NS7_11hip_rocprim3tagENS7_11use_defaultESJ_EEEEPSB_SM_NS0_5tupleIJPSA_SM_EEENSN_IJSM_SM_EEESB_PlJ10is_orderedEEE10hipError_tPvRmT3_T4_T5_T6_T7_T9_mT8_P12ihipStream_tbDpT10_ENKUlT_T0_E_clISt17integral_constantIbLb1EES1C_EEDaS17_S18_EUlS17_E_NS1_11comp_targetILNS1_3genE4ELNS1_11target_archE910ELNS1_3gpuE8ELNS1_3repE0EEENS1_30default_config_static_selectorELNS0_4arch9wavefront6targetE1EEEvT1_
		.amdhsa_group_segment_fixed_size 0
		.amdhsa_private_segment_fixed_size 0
		.amdhsa_kernarg_size 136
		.amdhsa_user_sgpr_count 2
		.amdhsa_user_sgpr_dispatch_ptr 0
		.amdhsa_user_sgpr_queue_ptr 0
		.amdhsa_user_sgpr_kernarg_segment_ptr 1
		.amdhsa_user_sgpr_dispatch_id 0
		.amdhsa_user_sgpr_kernarg_preload_length 0
		.amdhsa_user_sgpr_kernarg_preload_offset 0
		.amdhsa_user_sgpr_private_segment_size 0
		.amdhsa_uses_dynamic_stack 0
		.amdhsa_enable_private_segment 0
		.amdhsa_system_sgpr_workgroup_id_x 1
		.amdhsa_system_sgpr_workgroup_id_y 0
		.amdhsa_system_sgpr_workgroup_id_z 0
		.amdhsa_system_sgpr_workgroup_info 0
		.amdhsa_system_vgpr_workitem_id 0
		.amdhsa_next_free_vgpr 1
		.amdhsa_next_free_sgpr 0
		.amdhsa_accum_offset 4
		.amdhsa_reserve_vcc 0
		.amdhsa_float_round_mode_32 0
		.amdhsa_float_round_mode_16_64 0
		.amdhsa_float_denorm_mode_32 3
		.amdhsa_float_denorm_mode_16_64 3
		.amdhsa_dx10_clamp 1
		.amdhsa_ieee_mode 1
		.amdhsa_fp16_overflow 0
		.amdhsa_tg_split 0
		.amdhsa_exception_fp_ieee_invalid_op 0
		.amdhsa_exception_fp_denorm_src 0
		.amdhsa_exception_fp_ieee_div_zero 0
		.amdhsa_exception_fp_ieee_overflow 0
		.amdhsa_exception_fp_ieee_underflow 0
		.amdhsa_exception_fp_ieee_inexact 0
		.amdhsa_exception_int_div_zero 0
	.end_amdhsa_kernel
	.section	.text._ZN7rocprim17ROCPRIM_400000_NS6detail17trampoline_kernelINS0_14default_configENS1_25partition_config_selectorILNS1_17partition_subalgoE3EN6thrust23THRUST_200600_302600_NS5tupleIssNS7_9null_typeES9_S9_S9_S9_S9_S9_S9_EENS0_10empty_typeEbEEZZNS1_14partition_implILS5_3ELb0ES3_jNS7_6detail15normal_iteratorINS7_7pointerISA_NS7_11hip_rocprim3tagENS7_11use_defaultESJ_EEEEPSB_SM_NS0_5tupleIJPSA_SM_EEENSN_IJSM_SM_EEESB_PlJ10is_orderedEEE10hipError_tPvRmT3_T4_T5_T6_T7_T9_mT8_P12ihipStream_tbDpT10_ENKUlT_T0_E_clISt17integral_constantIbLb1EES1C_EEDaS17_S18_EUlS17_E_NS1_11comp_targetILNS1_3genE4ELNS1_11target_archE910ELNS1_3gpuE8ELNS1_3repE0EEENS1_30default_config_static_selectorELNS0_4arch9wavefront6targetE1EEEvT1_,"axG",@progbits,_ZN7rocprim17ROCPRIM_400000_NS6detail17trampoline_kernelINS0_14default_configENS1_25partition_config_selectorILNS1_17partition_subalgoE3EN6thrust23THRUST_200600_302600_NS5tupleIssNS7_9null_typeES9_S9_S9_S9_S9_S9_S9_EENS0_10empty_typeEbEEZZNS1_14partition_implILS5_3ELb0ES3_jNS7_6detail15normal_iteratorINS7_7pointerISA_NS7_11hip_rocprim3tagENS7_11use_defaultESJ_EEEEPSB_SM_NS0_5tupleIJPSA_SM_EEENSN_IJSM_SM_EEESB_PlJ10is_orderedEEE10hipError_tPvRmT3_T4_T5_T6_T7_T9_mT8_P12ihipStream_tbDpT10_ENKUlT_T0_E_clISt17integral_constantIbLb1EES1C_EEDaS17_S18_EUlS17_E_NS1_11comp_targetILNS1_3genE4ELNS1_11target_archE910ELNS1_3gpuE8ELNS1_3repE0EEENS1_30default_config_static_selectorELNS0_4arch9wavefront6targetE1EEEvT1_,comdat
.Lfunc_end3539:
	.size	_ZN7rocprim17ROCPRIM_400000_NS6detail17trampoline_kernelINS0_14default_configENS1_25partition_config_selectorILNS1_17partition_subalgoE3EN6thrust23THRUST_200600_302600_NS5tupleIssNS7_9null_typeES9_S9_S9_S9_S9_S9_S9_EENS0_10empty_typeEbEEZZNS1_14partition_implILS5_3ELb0ES3_jNS7_6detail15normal_iteratorINS7_7pointerISA_NS7_11hip_rocprim3tagENS7_11use_defaultESJ_EEEEPSB_SM_NS0_5tupleIJPSA_SM_EEENSN_IJSM_SM_EEESB_PlJ10is_orderedEEE10hipError_tPvRmT3_T4_T5_T6_T7_T9_mT8_P12ihipStream_tbDpT10_ENKUlT_T0_E_clISt17integral_constantIbLb1EES1C_EEDaS17_S18_EUlS17_E_NS1_11comp_targetILNS1_3genE4ELNS1_11target_archE910ELNS1_3gpuE8ELNS1_3repE0EEENS1_30default_config_static_selectorELNS0_4arch9wavefront6targetE1EEEvT1_, .Lfunc_end3539-_ZN7rocprim17ROCPRIM_400000_NS6detail17trampoline_kernelINS0_14default_configENS1_25partition_config_selectorILNS1_17partition_subalgoE3EN6thrust23THRUST_200600_302600_NS5tupleIssNS7_9null_typeES9_S9_S9_S9_S9_S9_S9_EENS0_10empty_typeEbEEZZNS1_14partition_implILS5_3ELb0ES3_jNS7_6detail15normal_iteratorINS7_7pointerISA_NS7_11hip_rocprim3tagENS7_11use_defaultESJ_EEEEPSB_SM_NS0_5tupleIJPSA_SM_EEENSN_IJSM_SM_EEESB_PlJ10is_orderedEEE10hipError_tPvRmT3_T4_T5_T6_T7_T9_mT8_P12ihipStream_tbDpT10_ENKUlT_T0_E_clISt17integral_constantIbLb1EES1C_EEDaS17_S18_EUlS17_E_NS1_11comp_targetILNS1_3genE4ELNS1_11target_archE910ELNS1_3gpuE8ELNS1_3repE0EEENS1_30default_config_static_selectorELNS0_4arch9wavefront6targetE1EEEvT1_
                                        ; -- End function
	.section	.AMDGPU.csdata,"",@progbits
; Kernel info:
; codeLenInByte = 0
; NumSgprs: 6
; NumVgprs: 0
; NumAgprs: 0
; TotalNumVgprs: 0
; ScratchSize: 0
; MemoryBound: 0
; FloatMode: 240
; IeeeMode: 1
; LDSByteSize: 0 bytes/workgroup (compile time only)
; SGPRBlocks: 0
; VGPRBlocks: 0
; NumSGPRsForWavesPerEU: 6
; NumVGPRsForWavesPerEU: 1
; AccumOffset: 4
; Occupancy: 8
; WaveLimiterHint : 0
; COMPUTE_PGM_RSRC2:SCRATCH_EN: 0
; COMPUTE_PGM_RSRC2:USER_SGPR: 2
; COMPUTE_PGM_RSRC2:TRAP_HANDLER: 0
; COMPUTE_PGM_RSRC2:TGID_X_EN: 1
; COMPUTE_PGM_RSRC2:TGID_Y_EN: 0
; COMPUTE_PGM_RSRC2:TGID_Z_EN: 0
; COMPUTE_PGM_RSRC2:TIDIG_COMP_CNT: 0
; COMPUTE_PGM_RSRC3_GFX90A:ACCUM_OFFSET: 0
; COMPUTE_PGM_RSRC3_GFX90A:TG_SPLIT: 0
	.section	.text._ZN7rocprim17ROCPRIM_400000_NS6detail17trampoline_kernelINS0_14default_configENS1_25partition_config_selectorILNS1_17partition_subalgoE3EN6thrust23THRUST_200600_302600_NS5tupleIssNS7_9null_typeES9_S9_S9_S9_S9_S9_S9_EENS0_10empty_typeEbEEZZNS1_14partition_implILS5_3ELb0ES3_jNS7_6detail15normal_iteratorINS7_7pointerISA_NS7_11hip_rocprim3tagENS7_11use_defaultESJ_EEEEPSB_SM_NS0_5tupleIJPSA_SM_EEENSN_IJSM_SM_EEESB_PlJ10is_orderedEEE10hipError_tPvRmT3_T4_T5_T6_T7_T9_mT8_P12ihipStream_tbDpT10_ENKUlT_T0_E_clISt17integral_constantIbLb1EES1C_EEDaS17_S18_EUlS17_E_NS1_11comp_targetILNS1_3genE3ELNS1_11target_archE908ELNS1_3gpuE7ELNS1_3repE0EEENS1_30default_config_static_selectorELNS0_4arch9wavefront6targetE1EEEvT1_,"axG",@progbits,_ZN7rocprim17ROCPRIM_400000_NS6detail17trampoline_kernelINS0_14default_configENS1_25partition_config_selectorILNS1_17partition_subalgoE3EN6thrust23THRUST_200600_302600_NS5tupleIssNS7_9null_typeES9_S9_S9_S9_S9_S9_S9_EENS0_10empty_typeEbEEZZNS1_14partition_implILS5_3ELb0ES3_jNS7_6detail15normal_iteratorINS7_7pointerISA_NS7_11hip_rocprim3tagENS7_11use_defaultESJ_EEEEPSB_SM_NS0_5tupleIJPSA_SM_EEENSN_IJSM_SM_EEESB_PlJ10is_orderedEEE10hipError_tPvRmT3_T4_T5_T6_T7_T9_mT8_P12ihipStream_tbDpT10_ENKUlT_T0_E_clISt17integral_constantIbLb1EES1C_EEDaS17_S18_EUlS17_E_NS1_11comp_targetILNS1_3genE3ELNS1_11target_archE908ELNS1_3gpuE7ELNS1_3repE0EEENS1_30default_config_static_selectorELNS0_4arch9wavefront6targetE1EEEvT1_,comdat
	.protected	_ZN7rocprim17ROCPRIM_400000_NS6detail17trampoline_kernelINS0_14default_configENS1_25partition_config_selectorILNS1_17partition_subalgoE3EN6thrust23THRUST_200600_302600_NS5tupleIssNS7_9null_typeES9_S9_S9_S9_S9_S9_S9_EENS0_10empty_typeEbEEZZNS1_14partition_implILS5_3ELb0ES3_jNS7_6detail15normal_iteratorINS7_7pointerISA_NS7_11hip_rocprim3tagENS7_11use_defaultESJ_EEEEPSB_SM_NS0_5tupleIJPSA_SM_EEENSN_IJSM_SM_EEESB_PlJ10is_orderedEEE10hipError_tPvRmT3_T4_T5_T6_T7_T9_mT8_P12ihipStream_tbDpT10_ENKUlT_T0_E_clISt17integral_constantIbLb1EES1C_EEDaS17_S18_EUlS17_E_NS1_11comp_targetILNS1_3genE3ELNS1_11target_archE908ELNS1_3gpuE7ELNS1_3repE0EEENS1_30default_config_static_selectorELNS0_4arch9wavefront6targetE1EEEvT1_ ; -- Begin function _ZN7rocprim17ROCPRIM_400000_NS6detail17trampoline_kernelINS0_14default_configENS1_25partition_config_selectorILNS1_17partition_subalgoE3EN6thrust23THRUST_200600_302600_NS5tupleIssNS7_9null_typeES9_S9_S9_S9_S9_S9_S9_EENS0_10empty_typeEbEEZZNS1_14partition_implILS5_3ELb0ES3_jNS7_6detail15normal_iteratorINS7_7pointerISA_NS7_11hip_rocprim3tagENS7_11use_defaultESJ_EEEEPSB_SM_NS0_5tupleIJPSA_SM_EEENSN_IJSM_SM_EEESB_PlJ10is_orderedEEE10hipError_tPvRmT3_T4_T5_T6_T7_T9_mT8_P12ihipStream_tbDpT10_ENKUlT_T0_E_clISt17integral_constantIbLb1EES1C_EEDaS17_S18_EUlS17_E_NS1_11comp_targetILNS1_3genE3ELNS1_11target_archE908ELNS1_3gpuE7ELNS1_3repE0EEENS1_30default_config_static_selectorELNS0_4arch9wavefront6targetE1EEEvT1_
	.globl	_ZN7rocprim17ROCPRIM_400000_NS6detail17trampoline_kernelINS0_14default_configENS1_25partition_config_selectorILNS1_17partition_subalgoE3EN6thrust23THRUST_200600_302600_NS5tupleIssNS7_9null_typeES9_S9_S9_S9_S9_S9_S9_EENS0_10empty_typeEbEEZZNS1_14partition_implILS5_3ELb0ES3_jNS7_6detail15normal_iteratorINS7_7pointerISA_NS7_11hip_rocprim3tagENS7_11use_defaultESJ_EEEEPSB_SM_NS0_5tupleIJPSA_SM_EEENSN_IJSM_SM_EEESB_PlJ10is_orderedEEE10hipError_tPvRmT3_T4_T5_T6_T7_T9_mT8_P12ihipStream_tbDpT10_ENKUlT_T0_E_clISt17integral_constantIbLb1EES1C_EEDaS17_S18_EUlS17_E_NS1_11comp_targetILNS1_3genE3ELNS1_11target_archE908ELNS1_3gpuE7ELNS1_3repE0EEENS1_30default_config_static_selectorELNS0_4arch9wavefront6targetE1EEEvT1_
	.p2align	8
	.type	_ZN7rocprim17ROCPRIM_400000_NS6detail17trampoline_kernelINS0_14default_configENS1_25partition_config_selectorILNS1_17partition_subalgoE3EN6thrust23THRUST_200600_302600_NS5tupleIssNS7_9null_typeES9_S9_S9_S9_S9_S9_S9_EENS0_10empty_typeEbEEZZNS1_14partition_implILS5_3ELb0ES3_jNS7_6detail15normal_iteratorINS7_7pointerISA_NS7_11hip_rocprim3tagENS7_11use_defaultESJ_EEEEPSB_SM_NS0_5tupleIJPSA_SM_EEENSN_IJSM_SM_EEESB_PlJ10is_orderedEEE10hipError_tPvRmT3_T4_T5_T6_T7_T9_mT8_P12ihipStream_tbDpT10_ENKUlT_T0_E_clISt17integral_constantIbLb1EES1C_EEDaS17_S18_EUlS17_E_NS1_11comp_targetILNS1_3genE3ELNS1_11target_archE908ELNS1_3gpuE7ELNS1_3repE0EEENS1_30default_config_static_selectorELNS0_4arch9wavefront6targetE1EEEvT1_,@function
_ZN7rocprim17ROCPRIM_400000_NS6detail17trampoline_kernelINS0_14default_configENS1_25partition_config_selectorILNS1_17partition_subalgoE3EN6thrust23THRUST_200600_302600_NS5tupleIssNS7_9null_typeES9_S9_S9_S9_S9_S9_S9_EENS0_10empty_typeEbEEZZNS1_14partition_implILS5_3ELb0ES3_jNS7_6detail15normal_iteratorINS7_7pointerISA_NS7_11hip_rocprim3tagENS7_11use_defaultESJ_EEEEPSB_SM_NS0_5tupleIJPSA_SM_EEENSN_IJSM_SM_EEESB_PlJ10is_orderedEEE10hipError_tPvRmT3_T4_T5_T6_T7_T9_mT8_P12ihipStream_tbDpT10_ENKUlT_T0_E_clISt17integral_constantIbLb1EES1C_EEDaS17_S18_EUlS17_E_NS1_11comp_targetILNS1_3genE3ELNS1_11target_archE908ELNS1_3gpuE7ELNS1_3repE0EEENS1_30default_config_static_selectorELNS0_4arch9wavefront6targetE1EEEvT1_: ; @_ZN7rocprim17ROCPRIM_400000_NS6detail17trampoline_kernelINS0_14default_configENS1_25partition_config_selectorILNS1_17partition_subalgoE3EN6thrust23THRUST_200600_302600_NS5tupleIssNS7_9null_typeES9_S9_S9_S9_S9_S9_S9_EENS0_10empty_typeEbEEZZNS1_14partition_implILS5_3ELb0ES3_jNS7_6detail15normal_iteratorINS7_7pointerISA_NS7_11hip_rocprim3tagENS7_11use_defaultESJ_EEEEPSB_SM_NS0_5tupleIJPSA_SM_EEENSN_IJSM_SM_EEESB_PlJ10is_orderedEEE10hipError_tPvRmT3_T4_T5_T6_T7_T9_mT8_P12ihipStream_tbDpT10_ENKUlT_T0_E_clISt17integral_constantIbLb1EES1C_EEDaS17_S18_EUlS17_E_NS1_11comp_targetILNS1_3genE3ELNS1_11target_archE908ELNS1_3gpuE7ELNS1_3repE0EEENS1_30default_config_static_selectorELNS0_4arch9wavefront6targetE1EEEvT1_
; %bb.0:
	.section	.rodata,"a",@progbits
	.p2align	6, 0x0
	.amdhsa_kernel _ZN7rocprim17ROCPRIM_400000_NS6detail17trampoline_kernelINS0_14default_configENS1_25partition_config_selectorILNS1_17partition_subalgoE3EN6thrust23THRUST_200600_302600_NS5tupleIssNS7_9null_typeES9_S9_S9_S9_S9_S9_S9_EENS0_10empty_typeEbEEZZNS1_14partition_implILS5_3ELb0ES3_jNS7_6detail15normal_iteratorINS7_7pointerISA_NS7_11hip_rocprim3tagENS7_11use_defaultESJ_EEEEPSB_SM_NS0_5tupleIJPSA_SM_EEENSN_IJSM_SM_EEESB_PlJ10is_orderedEEE10hipError_tPvRmT3_T4_T5_T6_T7_T9_mT8_P12ihipStream_tbDpT10_ENKUlT_T0_E_clISt17integral_constantIbLb1EES1C_EEDaS17_S18_EUlS17_E_NS1_11comp_targetILNS1_3genE3ELNS1_11target_archE908ELNS1_3gpuE7ELNS1_3repE0EEENS1_30default_config_static_selectorELNS0_4arch9wavefront6targetE1EEEvT1_
		.amdhsa_group_segment_fixed_size 0
		.amdhsa_private_segment_fixed_size 0
		.amdhsa_kernarg_size 136
		.amdhsa_user_sgpr_count 2
		.amdhsa_user_sgpr_dispatch_ptr 0
		.amdhsa_user_sgpr_queue_ptr 0
		.amdhsa_user_sgpr_kernarg_segment_ptr 1
		.amdhsa_user_sgpr_dispatch_id 0
		.amdhsa_user_sgpr_kernarg_preload_length 0
		.amdhsa_user_sgpr_kernarg_preload_offset 0
		.amdhsa_user_sgpr_private_segment_size 0
		.amdhsa_uses_dynamic_stack 0
		.amdhsa_enable_private_segment 0
		.amdhsa_system_sgpr_workgroup_id_x 1
		.amdhsa_system_sgpr_workgroup_id_y 0
		.amdhsa_system_sgpr_workgroup_id_z 0
		.amdhsa_system_sgpr_workgroup_info 0
		.amdhsa_system_vgpr_workitem_id 0
		.amdhsa_next_free_vgpr 1
		.amdhsa_next_free_sgpr 0
		.amdhsa_accum_offset 4
		.amdhsa_reserve_vcc 0
		.amdhsa_float_round_mode_32 0
		.amdhsa_float_round_mode_16_64 0
		.amdhsa_float_denorm_mode_32 3
		.amdhsa_float_denorm_mode_16_64 3
		.amdhsa_dx10_clamp 1
		.amdhsa_ieee_mode 1
		.amdhsa_fp16_overflow 0
		.amdhsa_tg_split 0
		.amdhsa_exception_fp_ieee_invalid_op 0
		.amdhsa_exception_fp_denorm_src 0
		.amdhsa_exception_fp_ieee_div_zero 0
		.amdhsa_exception_fp_ieee_overflow 0
		.amdhsa_exception_fp_ieee_underflow 0
		.amdhsa_exception_fp_ieee_inexact 0
		.amdhsa_exception_int_div_zero 0
	.end_amdhsa_kernel
	.section	.text._ZN7rocprim17ROCPRIM_400000_NS6detail17trampoline_kernelINS0_14default_configENS1_25partition_config_selectorILNS1_17partition_subalgoE3EN6thrust23THRUST_200600_302600_NS5tupleIssNS7_9null_typeES9_S9_S9_S9_S9_S9_S9_EENS0_10empty_typeEbEEZZNS1_14partition_implILS5_3ELb0ES3_jNS7_6detail15normal_iteratorINS7_7pointerISA_NS7_11hip_rocprim3tagENS7_11use_defaultESJ_EEEEPSB_SM_NS0_5tupleIJPSA_SM_EEENSN_IJSM_SM_EEESB_PlJ10is_orderedEEE10hipError_tPvRmT3_T4_T5_T6_T7_T9_mT8_P12ihipStream_tbDpT10_ENKUlT_T0_E_clISt17integral_constantIbLb1EES1C_EEDaS17_S18_EUlS17_E_NS1_11comp_targetILNS1_3genE3ELNS1_11target_archE908ELNS1_3gpuE7ELNS1_3repE0EEENS1_30default_config_static_selectorELNS0_4arch9wavefront6targetE1EEEvT1_,"axG",@progbits,_ZN7rocprim17ROCPRIM_400000_NS6detail17trampoline_kernelINS0_14default_configENS1_25partition_config_selectorILNS1_17partition_subalgoE3EN6thrust23THRUST_200600_302600_NS5tupleIssNS7_9null_typeES9_S9_S9_S9_S9_S9_S9_EENS0_10empty_typeEbEEZZNS1_14partition_implILS5_3ELb0ES3_jNS7_6detail15normal_iteratorINS7_7pointerISA_NS7_11hip_rocprim3tagENS7_11use_defaultESJ_EEEEPSB_SM_NS0_5tupleIJPSA_SM_EEENSN_IJSM_SM_EEESB_PlJ10is_orderedEEE10hipError_tPvRmT3_T4_T5_T6_T7_T9_mT8_P12ihipStream_tbDpT10_ENKUlT_T0_E_clISt17integral_constantIbLb1EES1C_EEDaS17_S18_EUlS17_E_NS1_11comp_targetILNS1_3genE3ELNS1_11target_archE908ELNS1_3gpuE7ELNS1_3repE0EEENS1_30default_config_static_selectorELNS0_4arch9wavefront6targetE1EEEvT1_,comdat
.Lfunc_end3540:
	.size	_ZN7rocprim17ROCPRIM_400000_NS6detail17trampoline_kernelINS0_14default_configENS1_25partition_config_selectorILNS1_17partition_subalgoE3EN6thrust23THRUST_200600_302600_NS5tupleIssNS7_9null_typeES9_S9_S9_S9_S9_S9_S9_EENS0_10empty_typeEbEEZZNS1_14partition_implILS5_3ELb0ES3_jNS7_6detail15normal_iteratorINS7_7pointerISA_NS7_11hip_rocprim3tagENS7_11use_defaultESJ_EEEEPSB_SM_NS0_5tupleIJPSA_SM_EEENSN_IJSM_SM_EEESB_PlJ10is_orderedEEE10hipError_tPvRmT3_T4_T5_T6_T7_T9_mT8_P12ihipStream_tbDpT10_ENKUlT_T0_E_clISt17integral_constantIbLb1EES1C_EEDaS17_S18_EUlS17_E_NS1_11comp_targetILNS1_3genE3ELNS1_11target_archE908ELNS1_3gpuE7ELNS1_3repE0EEENS1_30default_config_static_selectorELNS0_4arch9wavefront6targetE1EEEvT1_, .Lfunc_end3540-_ZN7rocprim17ROCPRIM_400000_NS6detail17trampoline_kernelINS0_14default_configENS1_25partition_config_selectorILNS1_17partition_subalgoE3EN6thrust23THRUST_200600_302600_NS5tupleIssNS7_9null_typeES9_S9_S9_S9_S9_S9_S9_EENS0_10empty_typeEbEEZZNS1_14partition_implILS5_3ELb0ES3_jNS7_6detail15normal_iteratorINS7_7pointerISA_NS7_11hip_rocprim3tagENS7_11use_defaultESJ_EEEEPSB_SM_NS0_5tupleIJPSA_SM_EEENSN_IJSM_SM_EEESB_PlJ10is_orderedEEE10hipError_tPvRmT3_T4_T5_T6_T7_T9_mT8_P12ihipStream_tbDpT10_ENKUlT_T0_E_clISt17integral_constantIbLb1EES1C_EEDaS17_S18_EUlS17_E_NS1_11comp_targetILNS1_3genE3ELNS1_11target_archE908ELNS1_3gpuE7ELNS1_3repE0EEENS1_30default_config_static_selectorELNS0_4arch9wavefront6targetE1EEEvT1_
                                        ; -- End function
	.section	.AMDGPU.csdata,"",@progbits
; Kernel info:
; codeLenInByte = 0
; NumSgprs: 6
; NumVgprs: 0
; NumAgprs: 0
; TotalNumVgprs: 0
; ScratchSize: 0
; MemoryBound: 0
; FloatMode: 240
; IeeeMode: 1
; LDSByteSize: 0 bytes/workgroup (compile time only)
; SGPRBlocks: 0
; VGPRBlocks: 0
; NumSGPRsForWavesPerEU: 6
; NumVGPRsForWavesPerEU: 1
; AccumOffset: 4
; Occupancy: 8
; WaveLimiterHint : 0
; COMPUTE_PGM_RSRC2:SCRATCH_EN: 0
; COMPUTE_PGM_RSRC2:USER_SGPR: 2
; COMPUTE_PGM_RSRC2:TRAP_HANDLER: 0
; COMPUTE_PGM_RSRC2:TGID_X_EN: 1
; COMPUTE_PGM_RSRC2:TGID_Y_EN: 0
; COMPUTE_PGM_RSRC2:TGID_Z_EN: 0
; COMPUTE_PGM_RSRC2:TIDIG_COMP_CNT: 0
; COMPUTE_PGM_RSRC3_GFX90A:ACCUM_OFFSET: 0
; COMPUTE_PGM_RSRC3_GFX90A:TG_SPLIT: 0
	.section	.text._ZN7rocprim17ROCPRIM_400000_NS6detail17trampoline_kernelINS0_14default_configENS1_25partition_config_selectorILNS1_17partition_subalgoE3EN6thrust23THRUST_200600_302600_NS5tupleIssNS7_9null_typeES9_S9_S9_S9_S9_S9_S9_EENS0_10empty_typeEbEEZZNS1_14partition_implILS5_3ELb0ES3_jNS7_6detail15normal_iteratorINS7_7pointerISA_NS7_11hip_rocprim3tagENS7_11use_defaultESJ_EEEEPSB_SM_NS0_5tupleIJPSA_SM_EEENSN_IJSM_SM_EEESB_PlJ10is_orderedEEE10hipError_tPvRmT3_T4_T5_T6_T7_T9_mT8_P12ihipStream_tbDpT10_ENKUlT_T0_E_clISt17integral_constantIbLb1EES1C_EEDaS17_S18_EUlS17_E_NS1_11comp_targetILNS1_3genE2ELNS1_11target_archE906ELNS1_3gpuE6ELNS1_3repE0EEENS1_30default_config_static_selectorELNS0_4arch9wavefront6targetE1EEEvT1_,"axG",@progbits,_ZN7rocprim17ROCPRIM_400000_NS6detail17trampoline_kernelINS0_14default_configENS1_25partition_config_selectorILNS1_17partition_subalgoE3EN6thrust23THRUST_200600_302600_NS5tupleIssNS7_9null_typeES9_S9_S9_S9_S9_S9_S9_EENS0_10empty_typeEbEEZZNS1_14partition_implILS5_3ELb0ES3_jNS7_6detail15normal_iteratorINS7_7pointerISA_NS7_11hip_rocprim3tagENS7_11use_defaultESJ_EEEEPSB_SM_NS0_5tupleIJPSA_SM_EEENSN_IJSM_SM_EEESB_PlJ10is_orderedEEE10hipError_tPvRmT3_T4_T5_T6_T7_T9_mT8_P12ihipStream_tbDpT10_ENKUlT_T0_E_clISt17integral_constantIbLb1EES1C_EEDaS17_S18_EUlS17_E_NS1_11comp_targetILNS1_3genE2ELNS1_11target_archE906ELNS1_3gpuE6ELNS1_3repE0EEENS1_30default_config_static_selectorELNS0_4arch9wavefront6targetE1EEEvT1_,comdat
	.protected	_ZN7rocprim17ROCPRIM_400000_NS6detail17trampoline_kernelINS0_14default_configENS1_25partition_config_selectorILNS1_17partition_subalgoE3EN6thrust23THRUST_200600_302600_NS5tupleIssNS7_9null_typeES9_S9_S9_S9_S9_S9_S9_EENS0_10empty_typeEbEEZZNS1_14partition_implILS5_3ELb0ES3_jNS7_6detail15normal_iteratorINS7_7pointerISA_NS7_11hip_rocprim3tagENS7_11use_defaultESJ_EEEEPSB_SM_NS0_5tupleIJPSA_SM_EEENSN_IJSM_SM_EEESB_PlJ10is_orderedEEE10hipError_tPvRmT3_T4_T5_T6_T7_T9_mT8_P12ihipStream_tbDpT10_ENKUlT_T0_E_clISt17integral_constantIbLb1EES1C_EEDaS17_S18_EUlS17_E_NS1_11comp_targetILNS1_3genE2ELNS1_11target_archE906ELNS1_3gpuE6ELNS1_3repE0EEENS1_30default_config_static_selectorELNS0_4arch9wavefront6targetE1EEEvT1_ ; -- Begin function _ZN7rocprim17ROCPRIM_400000_NS6detail17trampoline_kernelINS0_14default_configENS1_25partition_config_selectorILNS1_17partition_subalgoE3EN6thrust23THRUST_200600_302600_NS5tupleIssNS7_9null_typeES9_S9_S9_S9_S9_S9_S9_EENS0_10empty_typeEbEEZZNS1_14partition_implILS5_3ELb0ES3_jNS7_6detail15normal_iteratorINS7_7pointerISA_NS7_11hip_rocprim3tagENS7_11use_defaultESJ_EEEEPSB_SM_NS0_5tupleIJPSA_SM_EEENSN_IJSM_SM_EEESB_PlJ10is_orderedEEE10hipError_tPvRmT3_T4_T5_T6_T7_T9_mT8_P12ihipStream_tbDpT10_ENKUlT_T0_E_clISt17integral_constantIbLb1EES1C_EEDaS17_S18_EUlS17_E_NS1_11comp_targetILNS1_3genE2ELNS1_11target_archE906ELNS1_3gpuE6ELNS1_3repE0EEENS1_30default_config_static_selectorELNS0_4arch9wavefront6targetE1EEEvT1_
	.globl	_ZN7rocprim17ROCPRIM_400000_NS6detail17trampoline_kernelINS0_14default_configENS1_25partition_config_selectorILNS1_17partition_subalgoE3EN6thrust23THRUST_200600_302600_NS5tupleIssNS7_9null_typeES9_S9_S9_S9_S9_S9_S9_EENS0_10empty_typeEbEEZZNS1_14partition_implILS5_3ELb0ES3_jNS7_6detail15normal_iteratorINS7_7pointerISA_NS7_11hip_rocprim3tagENS7_11use_defaultESJ_EEEEPSB_SM_NS0_5tupleIJPSA_SM_EEENSN_IJSM_SM_EEESB_PlJ10is_orderedEEE10hipError_tPvRmT3_T4_T5_T6_T7_T9_mT8_P12ihipStream_tbDpT10_ENKUlT_T0_E_clISt17integral_constantIbLb1EES1C_EEDaS17_S18_EUlS17_E_NS1_11comp_targetILNS1_3genE2ELNS1_11target_archE906ELNS1_3gpuE6ELNS1_3repE0EEENS1_30default_config_static_selectorELNS0_4arch9wavefront6targetE1EEEvT1_
	.p2align	8
	.type	_ZN7rocprim17ROCPRIM_400000_NS6detail17trampoline_kernelINS0_14default_configENS1_25partition_config_selectorILNS1_17partition_subalgoE3EN6thrust23THRUST_200600_302600_NS5tupleIssNS7_9null_typeES9_S9_S9_S9_S9_S9_S9_EENS0_10empty_typeEbEEZZNS1_14partition_implILS5_3ELb0ES3_jNS7_6detail15normal_iteratorINS7_7pointerISA_NS7_11hip_rocprim3tagENS7_11use_defaultESJ_EEEEPSB_SM_NS0_5tupleIJPSA_SM_EEENSN_IJSM_SM_EEESB_PlJ10is_orderedEEE10hipError_tPvRmT3_T4_T5_T6_T7_T9_mT8_P12ihipStream_tbDpT10_ENKUlT_T0_E_clISt17integral_constantIbLb1EES1C_EEDaS17_S18_EUlS17_E_NS1_11comp_targetILNS1_3genE2ELNS1_11target_archE906ELNS1_3gpuE6ELNS1_3repE0EEENS1_30default_config_static_selectorELNS0_4arch9wavefront6targetE1EEEvT1_,@function
_ZN7rocprim17ROCPRIM_400000_NS6detail17trampoline_kernelINS0_14default_configENS1_25partition_config_selectorILNS1_17partition_subalgoE3EN6thrust23THRUST_200600_302600_NS5tupleIssNS7_9null_typeES9_S9_S9_S9_S9_S9_S9_EENS0_10empty_typeEbEEZZNS1_14partition_implILS5_3ELb0ES3_jNS7_6detail15normal_iteratorINS7_7pointerISA_NS7_11hip_rocprim3tagENS7_11use_defaultESJ_EEEEPSB_SM_NS0_5tupleIJPSA_SM_EEENSN_IJSM_SM_EEESB_PlJ10is_orderedEEE10hipError_tPvRmT3_T4_T5_T6_T7_T9_mT8_P12ihipStream_tbDpT10_ENKUlT_T0_E_clISt17integral_constantIbLb1EES1C_EEDaS17_S18_EUlS17_E_NS1_11comp_targetILNS1_3genE2ELNS1_11target_archE906ELNS1_3gpuE6ELNS1_3repE0EEENS1_30default_config_static_selectorELNS0_4arch9wavefront6targetE1EEEvT1_: ; @_ZN7rocprim17ROCPRIM_400000_NS6detail17trampoline_kernelINS0_14default_configENS1_25partition_config_selectorILNS1_17partition_subalgoE3EN6thrust23THRUST_200600_302600_NS5tupleIssNS7_9null_typeES9_S9_S9_S9_S9_S9_S9_EENS0_10empty_typeEbEEZZNS1_14partition_implILS5_3ELb0ES3_jNS7_6detail15normal_iteratorINS7_7pointerISA_NS7_11hip_rocprim3tagENS7_11use_defaultESJ_EEEEPSB_SM_NS0_5tupleIJPSA_SM_EEENSN_IJSM_SM_EEESB_PlJ10is_orderedEEE10hipError_tPvRmT3_T4_T5_T6_T7_T9_mT8_P12ihipStream_tbDpT10_ENKUlT_T0_E_clISt17integral_constantIbLb1EES1C_EEDaS17_S18_EUlS17_E_NS1_11comp_targetILNS1_3genE2ELNS1_11target_archE906ELNS1_3gpuE6ELNS1_3repE0EEENS1_30default_config_static_selectorELNS0_4arch9wavefront6targetE1EEEvT1_
; %bb.0:
	.section	.rodata,"a",@progbits
	.p2align	6, 0x0
	.amdhsa_kernel _ZN7rocprim17ROCPRIM_400000_NS6detail17trampoline_kernelINS0_14default_configENS1_25partition_config_selectorILNS1_17partition_subalgoE3EN6thrust23THRUST_200600_302600_NS5tupleIssNS7_9null_typeES9_S9_S9_S9_S9_S9_S9_EENS0_10empty_typeEbEEZZNS1_14partition_implILS5_3ELb0ES3_jNS7_6detail15normal_iteratorINS7_7pointerISA_NS7_11hip_rocprim3tagENS7_11use_defaultESJ_EEEEPSB_SM_NS0_5tupleIJPSA_SM_EEENSN_IJSM_SM_EEESB_PlJ10is_orderedEEE10hipError_tPvRmT3_T4_T5_T6_T7_T9_mT8_P12ihipStream_tbDpT10_ENKUlT_T0_E_clISt17integral_constantIbLb1EES1C_EEDaS17_S18_EUlS17_E_NS1_11comp_targetILNS1_3genE2ELNS1_11target_archE906ELNS1_3gpuE6ELNS1_3repE0EEENS1_30default_config_static_selectorELNS0_4arch9wavefront6targetE1EEEvT1_
		.amdhsa_group_segment_fixed_size 0
		.amdhsa_private_segment_fixed_size 0
		.amdhsa_kernarg_size 136
		.amdhsa_user_sgpr_count 2
		.amdhsa_user_sgpr_dispatch_ptr 0
		.amdhsa_user_sgpr_queue_ptr 0
		.amdhsa_user_sgpr_kernarg_segment_ptr 1
		.amdhsa_user_sgpr_dispatch_id 0
		.amdhsa_user_sgpr_kernarg_preload_length 0
		.amdhsa_user_sgpr_kernarg_preload_offset 0
		.amdhsa_user_sgpr_private_segment_size 0
		.amdhsa_uses_dynamic_stack 0
		.amdhsa_enable_private_segment 0
		.amdhsa_system_sgpr_workgroup_id_x 1
		.amdhsa_system_sgpr_workgroup_id_y 0
		.amdhsa_system_sgpr_workgroup_id_z 0
		.amdhsa_system_sgpr_workgroup_info 0
		.amdhsa_system_vgpr_workitem_id 0
		.amdhsa_next_free_vgpr 1
		.amdhsa_next_free_sgpr 0
		.amdhsa_accum_offset 4
		.amdhsa_reserve_vcc 0
		.amdhsa_float_round_mode_32 0
		.amdhsa_float_round_mode_16_64 0
		.amdhsa_float_denorm_mode_32 3
		.amdhsa_float_denorm_mode_16_64 3
		.amdhsa_dx10_clamp 1
		.amdhsa_ieee_mode 1
		.amdhsa_fp16_overflow 0
		.amdhsa_tg_split 0
		.amdhsa_exception_fp_ieee_invalid_op 0
		.amdhsa_exception_fp_denorm_src 0
		.amdhsa_exception_fp_ieee_div_zero 0
		.amdhsa_exception_fp_ieee_overflow 0
		.amdhsa_exception_fp_ieee_underflow 0
		.amdhsa_exception_fp_ieee_inexact 0
		.amdhsa_exception_int_div_zero 0
	.end_amdhsa_kernel
	.section	.text._ZN7rocprim17ROCPRIM_400000_NS6detail17trampoline_kernelINS0_14default_configENS1_25partition_config_selectorILNS1_17partition_subalgoE3EN6thrust23THRUST_200600_302600_NS5tupleIssNS7_9null_typeES9_S9_S9_S9_S9_S9_S9_EENS0_10empty_typeEbEEZZNS1_14partition_implILS5_3ELb0ES3_jNS7_6detail15normal_iteratorINS7_7pointerISA_NS7_11hip_rocprim3tagENS7_11use_defaultESJ_EEEEPSB_SM_NS0_5tupleIJPSA_SM_EEENSN_IJSM_SM_EEESB_PlJ10is_orderedEEE10hipError_tPvRmT3_T4_T5_T6_T7_T9_mT8_P12ihipStream_tbDpT10_ENKUlT_T0_E_clISt17integral_constantIbLb1EES1C_EEDaS17_S18_EUlS17_E_NS1_11comp_targetILNS1_3genE2ELNS1_11target_archE906ELNS1_3gpuE6ELNS1_3repE0EEENS1_30default_config_static_selectorELNS0_4arch9wavefront6targetE1EEEvT1_,"axG",@progbits,_ZN7rocprim17ROCPRIM_400000_NS6detail17trampoline_kernelINS0_14default_configENS1_25partition_config_selectorILNS1_17partition_subalgoE3EN6thrust23THRUST_200600_302600_NS5tupleIssNS7_9null_typeES9_S9_S9_S9_S9_S9_S9_EENS0_10empty_typeEbEEZZNS1_14partition_implILS5_3ELb0ES3_jNS7_6detail15normal_iteratorINS7_7pointerISA_NS7_11hip_rocprim3tagENS7_11use_defaultESJ_EEEEPSB_SM_NS0_5tupleIJPSA_SM_EEENSN_IJSM_SM_EEESB_PlJ10is_orderedEEE10hipError_tPvRmT3_T4_T5_T6_T7_T9_mT8_P12ihipStream_tbDpT10_ENKUlT_T0_E_clISt17integral_constantIbLb1EES1C_EEDaS17_S18_EUlS17_E_NS1_11comp_targetILNS1_3genE2ELNS1_11target_archE906ELNS1_3gpuE6ELNS1_3repE0EEENS1_30default_config_static_selectorELNS0_4arch9wavefront6targetE1EEEvT1_,comdat
.Lfunc_end3541:
	.size	_ZN7rocprim17ROCPRIM_400000_NS6detail17trampoline_kernelINS0_14default_configENS1_25partition_config_selectorILNS1_17partition_subalgoE3EN6thrust23THRUST_200600_302600_NS5tupleIssNS7_9null_typeES9_S9_S9_S9_S9_S9_S9_EENS0_10empty_typeEbEEZZNS1_14partition_implILS5_3ELb0ES3_jNS7_6detail15normal_iteratorINS7_7pointerISA_NS7_11hip_rocprim3tagENS7_11use_defaultESJ_EEEEPSB_SM_NS0_5tupleIJPSA_SM_EEENSN_IJSM_SM_EEESB_PlJ10is_orderedEEE10hipError_tPvRmT3_T4_T5_T6_T7_T9_mT8_P12ihipStream_tbDpT10_ENKUlT_T0_E_clISt17integral_constantIbLb1EES1C_EEDaS17_S18_EUlS17_E_NS1_11comp_targetILNS1_3genE2ELNS1_11target_archE906ELNS1_3gpuE6ELNS1_3repE0EEENS1_30default_config_static_selectorELNS0_4arch9wavefront6targetE1EEEvT1_, .Lfunc_end3541-_ZN7rocprim17ROCPRIM_400000_NS6detail17trampoline_kernelINS0_14default_configENS1_25partition_config_selectorILNS1_17partition_subalgoE3EN6thrust23THRUST_200600_302600_NS5tupleIssNS7_9null_typeES9_S9_S9_S9_S9_S9_S9_EENS0_10empty_typeEbEEZZNS1_14partition_implILS5_3ELb0ES3_jNS7_6detail15normal_iteratorINS7_7pointerISA_NS7_11hip_rocprim3tagENS7_11use_defaultESJ_EEEEPSB_SM_NS0_5tupleIJPSA_SM_EEENSN_IJSM_SM_EEESB_PlJ10is_orderedEEE10hipError_tPvRmT3_T4_T5_T6_T7_T9_mT8_P12ihipStream_tbDpT10_ENKUlT_T0_E_clISt17integral_constantIbLb1EES1C_EEDaS17_S18_EUlS17_E_NS1_11comp_targetILNS1_3genE2ELNS1_11target_archE906ELNS1_3gpuE6ELNS1_3repE0EEENS1_30default_config_static_selectorELNS0_4arch9wavefront6targetE1EEEvT1_
                                        ; -- End function
	.section	.AMDGPU.csdata,"",@progbits
; Kernel info:
; codeLenInByte = 0
; NumSgprs: 6
; NumVgprs: 0
; NumAgprs: 0
; TotalNumVgprs: 0
; ScratchSize: 0
; MemoryBound: 0
; FloatMode: 240
; IeeeMode: 1
; LDSByteSize: 0 bytes/workgroup (compile time only)
; SGPRBlocks: 0
; VGPRBlocks: 0
; NumSGPRsForWavesPerEU: 6
; NumVGPRsForWavesPerEU: 1
; AccumOffset: 4
; Occupancy: 8
; WaveLimiterHint : 0
; COMPUTE_PGM_RSRC2:SCRATCH_EN: 0
; COMPUTE_PGM_RSRC2:USER_SGPR: 2
; COMPUTE_PGM_RSRC2:TRAP_HANDLER: 0
; COMPUTE_PGM_RSRC2:TGID_X_EN: 1
; COMPUTE_PGM_RSRC2:TGID_Y_EN: 0
; COMPUTE_PGM_RSRC2:TGID_Z_EN: 0
; COMPUTE_PGM_RSRC2:TIDIG_COMP_CNT: 0
; COMPUTE_PGM_RSRC3_GFX90A:ACCUM_OFFSET: 0
; COMPUTE_PGM_RSRC3_GFX90A:TG_SPLIT: 0
	.section	.text._ZN7rocprim17ROCPRIM_400000_NS6detail17trampoline_kernelINS0_14default_configENS1_25partition_config_selectorILNS1_17partition_subalgoE3EN6thrust23THRUST_200600_302600_NS5tupleIssNS7_9null_typeES9_S9_S9_S9_S9_S9_S9_EENS0_10empty_typeEbEEZZNS1_14partition_implILS5_3ELb0ES3_jNS7_6detail15normal_iteratorINS7_7pointerISA_NS7_11hip_rocprim3tagENS7_11use_defaultESJ_EEEEPSB_SM_NS0_5tupleIJPSA_SM_EEENSN_IJSM_SM_EEESB_PlJ10is_orderedEEE10hipError_tPvRmT3_T4_T5_T6_T7_T9_mT8_P12ihipStream_tbDpT10_ENKUlT_T0_E_clISt17integral_constantIbLb1EES1C_EEDaS17_S18_EUlS17_E_NS1_11comp_targetILNS1_3genE10ELNS1_11target_archE1200ELNS1_3gpuE4ELNS1_3repE0EEENS1_30default_config_static_selectorELNS0_4arch9wavefront6targetE1EEEvT1_,"axG",@progbits,_ZN7rocprim17ROCPRIM_400000_NS6detail17trampoline_kernelINS0_14default_configENS1_25partition_config_selectorILNS1_17partition_subalgoE3EN6thrust23THRUST_200600_302600_NS5tupleIssNS7_9null_typeES9_S9_S9_S9_S9_S9_S9_EENS0_10empty_typeEbEEZZNS1_14partition_implILS5_3ELb0ES3_jNS7_6detail15normal_iteratorINS7_7pointerISA_NS7_11hip_rocprim3tagENS7_11use_defaultESJ_EEEEPSB_SM_NS0_5tupleIJPSA_SM_EEENSN_IJSM_SM_EEESB_PlJ10is_orderedEEE10hipError_tPvRmT3_T4_T5_T6_T7_T9_mT8_P12ihipStream_tbDpT10_ENKUlT_T0_E_clISt17integral_constantIbLb1EES1C_EEDaS17_S18_EUlS17_E_NS1_11comp_targetILNS1_3genE10ELNS1_11target_archE1200ELNS1_3gpuE4ELNS1_3repE0EEENS1_30default_config_static_selectorELNS0_4arch9wavefront6targetE1EEEvT1_,comdat
	.protected	_ZN7rocprim17ROCPRIM_400000_NS6detail17trampoline_kernelINS0_14default_configENS1_25partition_config_selectorILNS1_17partition_subalgoE3EN6thrust23THRUST_200600_302600_NS5tupleIssNS7_9null_typeES9_S9_S9_S9_S9_S9_S9_EENS0_10empty_typeEbEEZZNS1_14partition_implILS5_3ELb0ES3_jNS7_6detail15normal_iteratorINS7_7pointerISA_NS7_11hip_rocprim3tagENS7_11use_defaultESJ_EEEEPSB_SM_NS0_5tupleIJPSA_SM_EEENSN_IJSM_SM_EEESB_PlJ10is_orderedEEE10hipError_tPvRmT3_T4_T5_T6_T7_T9_mT8_P12ihipStream_tbDpT10_ENKUlT_T0_E_clISt17integral_constantIbLb1EES1C_EEDaS17_S18_EUlS17_E_NS1_11comp_targetILNS1_3genE10ELNS1_11target_archE1200ELNS1_3gpuE4ELNS1_3repE0EEENS1_30default_config_static_selectorELNS0_4arch9wavefront6targetE1EEEvT1_ ; -- Begin function _ZN7rocprim17ROCPRIM_400000_NS6detail17trampoline_kernelINS0_14default_configENS1_25partition_config_selectorILNS1_17partition_subalgoE3EN6thrust23THRUST_200600_302600_NS5tupleIssNS7_9null_typeES9_S9_S9_S9_S9_S9_S9_EENS0_10empty_typeEbEEZZNS1_14partition_implILS5_3ELb0ES3_jNS7_6detail15normal_iteratorINS7_7pointerISA_NS7_11hip_rocprim3tagENS7_11use_defaultESJ_EEEEPSB_SM_NS0_5tupleIJPSA_SM_EEENSN_IJSM_SM_EEESB_PlJ10is_orderedEEE10hipError_tPvRmT3_T4_T5_T6_T7_T9_mT8_P12ihipStream_tbDpT10_ENKUlT_T0_E_clISt17integral_constantIbLb1EES1C_EEDaS17_S18_EUlS17_E_NS1_11comp_targetILNS1_3genE10ELNS1_11target_archE1200ELNS1_3gpuE4ELNS1_3repE0EEENS1_30default_config_static_selectorELNS0_4arch9wavefront6targetE1EEEvT1_
	.globl	_ZN7rocprim17ROCPRIM_400000_NS6detail17trampoline_kernelINS0_14default_configENS1_25partition_config_selectorILNS1_17partition_subalgoE3EN6thrust23THRUST_200600_302600_NS5tupleIssNS7_9null_typeES9_S9_S9_S9_S9_S9_S9_EENS0_10empty_typeEbEEZZNS1_14partition_implILS5_3ELb0ES3_jNS7_6detail15normal_iteratorINS7_7pointerISA_NS7_11hip_rocprim3tagENS7_11use_defaultESJ_EEEEPSB_SM_NS0_5tupleIJPSA_SM_EEENSN_IJSM_SM_EEESB_PlJ10is_orderedEEE10hipError_tPvRmT3_T4_T5_T6_T7_T9_mT8_P12ihipStream_tbDpT10_ENKUlT_T0_E_clISt17integral_constantIbLb1EES1C_EEDaS17_S18_EUlS17_E_NS1_11comp_targetILNS1_3genE10ELNS1_11target_archE1200ELNS1_3gpuE4ELNS1_3repE0EEENS1_30default_config_static_selectorELNS0_4arch9wavefront6targetE1EEEvT1_
	.p2align	8
	.type	_ZN7rocprim17ROCPRIM_400000_NS6detail17trampoline_kernelINS0_14default_configENS1_25partition_config_selectorILNS1_17partition_subalgoE3EN6thrust23THRUST_200600_302600_NS5tupleIssNS7_9null_typeES9_S9_S9_S9_S9_S9_S9_EENS0_10empty_typeEbEEZZNS1_14partition_implILS5_3ELb0ES3_jNS7_6detail15normal_iteratorINS7_7pointerISA_NS7_11hip_rocprim3tagENS7_11use_defaultESJ_EEEEPSB_SM_NS0_5tupleIJPSA_SM_EEENSN_IJSM_SM_EEESB_PlJ10is_orderedEEE10hipError_tPvRmT3_T4_T5_T6_T7_T9_mT8_P12ihipStream_tbDpT10_ENKUlT_T0_E_clISt17integral_constantIbLb1EES1C_EEDaS17_S18_EUlS17_E_NS1_11comp_targetILNS1_3genE10ELNS1_11target_archE1200ELNS1_3gpuE4ELNS1_3repE0EEENS1_30default_config_static_selectorELNS0_4arch9wavefront6targetE1EEEvT1_,@function
_ZN7rocprim17ROCPRIM_400000_NS6detail17trampoline_kernelINS0_14default_configENS1_25partition_config_selectorILNS1_17partition_subalgoE3EN6thrust23THRUST_200600_302600_NS5tupleIssNS7_9null_typeES9_S9_S9_S9_S9_S9_S9_EENS0_10empty_typeEbEEZZNS1_14partition_implILS5_3ELb0ES3_jNS7_6detail15normal_iteratorINS7_7pointerISA_NS7_11hip_rocprim3tagENS7_11use_defaultESJ_EEEEPSB_SM_NS0_5tupleIJPSA_SM_EEENSN_IJSM_SM_EEESB_PlJ10is_orderedEEE10hipError_tPvRmT3_T4_T5_T6_T7_T9_mT8_P12ihipStream_tbDpT10_ENKUlT_T0_E_clISt17integral_constantIbLb1EES1C_EEDaS17_S18_EUlS17_E_NS1_11comp_targetILNS1_3genE10ELNS1_11target_archE1200ELNS1_3gpuE4ELNS1_3repE0EEENS1_30default_config_static_selectorELNS0_4arch9wavefront6targetE1EEEvT1_: ; @_ZN7rocprim17ROCPRIM_400000_NS6detail17trampoline_kernelINS0_14default_configENS1_25partition_config_selectorILNS1_17partition_subalgoE3EN6thrust23THRUST_200600_302600_NS5tupleIssNS7_9null_typeES9_S9_S9_S9_S9_S9_S9_EENS0_10empty_typeEbEEZZNS1_14partition_implILS5_3ELb0ES3_jNS7_6detail15normal_iteratorINS7_7pointerISA_NS7_11hip_rocprim3tagENS7_11use_defaultESJ_EEEEPSB_SM_NS0_5tupleIJPSA_SM_EEENSN_IJSM_SM_EEESB_PlJ10is_orderedEEE10hipError_tPvRmT3_T4_T5_T6_T7_T9_mT8_P12ihipStream_tbDpT10_ENKUlT_T0_E_clISt17integral_constantIbLb1EES1C_EEDaS17_S18_EUlS17_E_NS1_11comp_targetILNS1_3genE10ELNS1_11target_archE1200ELNS1_3gpuE4ELNS1_3repE0EEENS1_30default_config_static_selectorELNS0_4arch9wavefront6targetE1EEEvT1_
; %bb.0:
	.section	.rodata,"a",@progbits
	.p2align	6, 0x0
	.amdhsa_kernel _ZN7rocprim17ROCPRIM_400000_NS6detail17trampoline_kernelINS0_14default_configENS1_25partition_config_selectorILNS1_17partition_subalgoE3EN6thrust23THRUST_200600_302600_NS5tupleIssNS7_9null_typeES9_S9_S9_S9_S9_S9_S9_EENS0_10empty_typeEbEEZZNS1_14partition_implILS5_3ELb0ES3_jNS7_6detail15normal_iteratorINS7_7pointerISA_NS7_11hip_rocprim3tagENS7_11use_defaultESJ_EEEEPSB_SM_NS0_5tupleIJPSA_SM_EEENSN_IJSM_SM_EEESB_PlJ10is_orderedEEE10hipError_tPvRmT3_T4_T5_T6_T7_T9_mT8_P12ihipStream_tbDpT10_ENKUlT_T0_E_clISt17integral_constantIbLb1EES1C_EEDaS17_S18_EUlS17_E_NS1_11comp_targetILNS1_3genE10ELNS1_11target_archE1200ELNS1_3gpuE4ELNS1_3repE0EEENS1_30default_config_static_selectorELNS0_4arch9wavefront6targetE1EEEvT1_
		.amdhsa_group_segment_fixed_size 0
		.amdhsa_private_segment_fixed_size 0
		.amdhsa_kernarg_size 136
		.amdhsa_user_sgpr_count 2
		.amdhsa_user_sgpr_dispatch_ptr 0
		.amdhsa_user_sgpr_queue_ptr 0
		.amdhsa_user_sgpr_kernarg_segment_ptr 1
		.amdhsa_user_sgpr_dispatch_id 0
		.amdhsa_user_sgpr_kernarg_preload_length 0
		.amdhsa_user_sgpr_kernarg_preload_offset 0
		.amdhsa_user_sgpr_private_segment_size 0
		.amdhsa_uses_dynamic_stack 0
		.amdhsa_enable_private_segment 0
		.amdhsa_system_sgpr_workgroup_id_x 1
		.amdhsa_system_sgpr_workgroup_id_y 0
		.amdhsa_system_sgpr_workgroup_id_z 0
		.amdhsa_system_sgpr_workgroup_info 0
		.amdhsa_system_vgpr_workitem_id 0
		.amdhsa_next_free_vgpr 1
		.amdhsa_next_free_sgpr 0
		.amdhsa_accum_offset 4
		.amdhsa_reserve_vcc 0
		.amdhsa_float_round_mode_32 0
		.amdhsa_float_round_mode_16_64 0
		.amdhsa_float_denorm_mode_32 3
		.amdhsa_float_denorm_mode_16_64 3
		.amdhsa_dx10_clamp 1
		.amdhsa_ieee_mode 1
		.amdhsa_fp16_overflow 0
		.amdhsa_tg_split 0
		.amdhsa_exception_fp_ieee_invalid_op 0
		.amdhsa_exception_fp_denorm_src 0
		.amdhsa_exception_fp_ieee_div_zero 0
		.amdhsa_exception_fp_ieee_overflow 0
		.amdhsa_exception_fp_ieee_underflow 0
		.amdhsa_exception_fp_ieee_inexact 0
		.amdhsa_exception_int_div_zero 0
	.end_amdhsa_kernel
	.section	.text._ZN7rocprim17ROCPRIM_400000_NS6detail17trampoline_kernelINS0_14default_configENS1_25partition_config_selectorILNS1_17partition_subalgoE3EN6thrust23THRUST_200600_302600_NS5tupleIssNS7_9null_typeES9_S9_S9_S9_S9_S9_S9_EENS0_10empty_typeEbEEZZNS1_14partition_implILS5_3ELb0ES3_jNS7_6detail15normal_iteratorINS7_7pointerISA_NS7_11hip_rocprim3tagENS7_11use_defaultESJ_EEEEPSB_SM_NS0_5tupleIJPSA_SM_EEENSN_IJSM_SM_EEESB_PlJ10is_orderedEEE10hipError_tPvRmT3_T4_T5_T6_T7_T9_mT8_P12ihipStream_tbDpT10_ENKUlT_T0_E_clISt17integral_constantIbLb1EES1C_EEDaS17_S18_EUlS17_E_NS1_11comp_targetILNS1_3genE10ELNS1_11target_archE1200ELNS1_3gpuE4ELNS1_3repE0EEENS1_30default_config_static_selectorELNS0_4arch9wavefront6targetE1EEEvT1_,"axG",@progbits,_ZN7rocprim17ROCPRIM_400000_NS6detail17trampoline_kernelINS0_14default_configENS1_25partition_config_selectorILNS1_17partition_subalgoE3EN6thrust23THRUST_200600_302600_NS5tupleIssNS7_9null_typeES9_S9_S9_S9_S9_S9_S9_EENS0_10empty_typeEbEEZZNS1_14partition_implILS5_3ELb0ES3_jNS7_6detail15normal_iteratorINS7_7pointerISA_NS7_11hip_rocprim3tagENS7_11use_defaultESJ_EEEEPSB_SM_NS0_5tupleIJPSA_SM_EEENSN_IJSM_SM_EEESB_PlJ10is_orderedEEE10hipError_tPvRmT3_T4_T5_T6_T7_T9_mT8_P12ihipStream_tbDpT10_ENKUlT_T0_E_clISt17integral_constantIbLb1EES1C_EEDaS17_S18_EUlS17_E_NS1_11comp_targetILNS1_3genE10ELNS1_11target_archE1200ELNS1_3gpuE4ELNS1_3repE0EEENS1_30default_config_static_selectorELNS0_4arch9wavefront6targetE1EEEvT1_,comdat
.Lfunc_end3542:
	.size	_ZN7rocprim17ROCPRIM_400000_NS6detail17trampoline_kernelINS0_14default_configENS1_25partition_config_selectorILNS1_17partition_subalgoE3EN6thrust23THRUST_200600_302600_NS5tupleIssNS7_9null_typeES9_S9_S9_S9_S9_S9_S9_EENS0_10empty_typeEbEEZZNS1_14partition_implILS5_3ELb0ES3_jNS7_6detail15normal_iteratorINS7_7pointerISA_NS7_11hip_rocprim3tagENS7_11use_defaultESJ_EEEEPSB_SM_NS0_5tupleIJPSA_SM_EEENSN_IJSM_SM_EEESB_PlJ10is_orderedEEE10hipError_tPvRmT3_T4_T5_T6_T7_T9_mT8_P12ihipStream_tbDpT10_ENKUlT_T0_E_clISt17integral_constantIbLb1EES1C_EEDaS17_S18_EUlS17_E_NS1_11comp_targetILNS1_3genE10ELNS1_11target_archE1200ELNS1_3gpuE4ELNS1_3repE0EEENS1_30default_config_static_selectorELNS0_4arch9wavefront6targetE1EEEvT1_, .Lfunc_end3542-_ZN7rocprim17ROCPRIM_400000_NS6detail17trampoline_kernelINS0_14default_configENS1_25partition_config_selectorILNS1_17partition_subalgoE3EN6thrust23THRUST_200600_302600_NS5tupleIssNS7_9null_typeES9_S9_S9_S9_S9_S9_S9_EENS0_10empty_typeEbEEZZNS1_14partition_implILS5_3ELb0ES3_jNS7_6detail15normal_iteratorINS7_7pointerISA_NS7_11hip_rocprim3tagENS7_11use_defaultESJ_EEEEPSB_SM_NS0_5tupleIJPSA_SM_EEENSN_IJSM_SM_EEESB_PlJ10is_orderedEEE10hipError_tPvRmT3_T4_T5_T6_T7_T9_mT8_P12ihipStream_tbDpT10_ENKUlT_T0_E_clISt17integral_constantIbLb1EES1C_EEDaS17_S18_EUlS17_E_NS1_11comp_targetILNS1_3genE10ELNS1_11target_archE1200ELNS1_3gpuE4ELNS1_3repE0EEENS1_30default_config_static_selectorELNS0_4arch9wavefront6targetE1EEEvT1_
                                        ; -- End function
	.section	.AMDGPU.csdata,"",@progbits
; Kernel info:
; codeLenInByte = 0
; NumSgprs: 6
; NumVgprs: 0
; NumAgprs: 0
; TotalNumVgprs: 0
; ScratchSize: 0
; MemoryBound: 0
; FloatMode: 240
; IeeeMode: 1
; LDSByteSize: 0 bytes/workgroup (compile time only)
; SGPRBlocks: 0
; VGPRBlocks: 0
; NumSGPRsForWavesPerEU: 6
; NumVGPRsForWavesPerEU: 1
; AccumOffset: 4
; Occupancy: 8
; WaveLimiterHint : 0
; COMPUTE_PGM_RSRC2:SCRATCH_EN: 0
; COMPUTE_PGM_RSRC2:USER_SGPR: 2
; COMPUTE_PGM_RSRC2:TRAP_HANDLER: 0
; COMPUTE_PGM_RSRC2:TGID_X_EN: 1
; COMPUTE_PGM_RSRC2:TGID_Y_EN: 0
; COMPUTE_PGM_RSRC2:TGID_Z_EN: 0
; COMPUTE_PGM_RSRC2:TIDIG_COMP_CNT: 0
; COMPUTE_PGM_RSRC3_GFX90A:ACCUM_OFFSET: 0
; COMPUTE_PGM_RSRC3_GFX90A:TG_SPLIT: 0
	.section	.text._ZN7rocprim17ROCPRIM_400000_NS6detail17trampoline_kernelINS0_14default_configENS1_25partition_config_selectorILNS1_17partition_subalgoE3EN6thrust23THRUST_200600_302600_NS5tupleIssNS7_9null_typeES9_S9_S9_S9_S9_S9_S9_EENS0_10empty_typeEbEEZZNS1_14partition_implILS5_3ELb0ES3_jNS7_6detail15normal_iteratorINS7_7pointerISA_NS7_11hip_rocprim3tagENS7_11use_defaultESJ_EEEEPSB_SM_NS0_5tupleIJPSA_SM_EEENSN_IJSM_SM_EEESB_PlJ10is_orderedEEE10hipError_tPvRmT3_T4_T5_T6_T7_T9_mT8_P12ihipStream_tbDpT10_ENKUlT_T0_E_clISt17integral_constantIbLb1EES1C_EEDaS17_S18_EUlS17_E_NS1_11comp_targetILNS1_3genE9ELNS1_11target_archE1100ELNS1_3gpuE3ELNS1_3repE0EEENS1_30default_config_static_selectorELNS0_4arch9wavefront6targetE1EEEvT1_,"axG",@progbits,_ZN7rocprim17ROCPRIM_400000_NS6detail17trampoline_kernelINS0_14default_configENS1_25partition_config_selectorILNS1_17partition_subalgoE3EN6thrust23THRUST_200600_302600_NS5tupleIssNS7_9null_typeES9_S9_S9_S9_S9_S9_S9_EENS0_10empty_typeEbEEZZNS1_14partition_implILS5_3ELb0ES3_jNS7_6detail15normal_iteratorINS7_7pointerISA_NS7_11hip_rocprim3tagENS7_11use_defaultESJ_EEEEPSB_SM_NS0_5tupleIJPSA_SM_EEENSN_IJSM_SM_EEESB_PlJ10is_orderedEEE10hipError_tPvRmT3_T4_T5_T6_T7_T9_mT8_P12ihipStream_tbDpT10_ENKUlT_T0_E_clISt17integral_constantIbLb1EES1C_EEDaS17_S18_EUlS17_E_NS1_11comp_targetILNS1_3genE9ELNS1_11target_archE1100ELNS1_3gpuE3ELNS1_3repE0EEENS1_30default_config_static_selectorELNS0_4arch9wavefront6targetE1EEEvT1_,comdat
	.protected	_ZN7rocprim17ROCPRIM_400000_NS6detail17trampoline_kernelINS0_14default_configENS1_25partition_config_selectorILNS1_17partition_subalgoE3EN6thrust23THRUST_200600_302600_NS5tupleIssNS7_9null_typeES9_S9_S9_S9_S9_S9_S9_EENS0_10empty_typeEbEEZZNS1_14partition_implILS5_3ELb0ES3_jNS7_6detail15normal_iteratorINS7_7pointerISA_NS7_11hip_rocprim3tagENS7_11use_defaultESJ_EEEEPSB_SM_NS0_5tupleIJPSA_SM_EEENSN_IJSM_SM_EEESB_PlJ10is_orderedEEE10hipError_tPvRmT3_T4_T5_T6_T7_T9_mT8_P12ihipStream_tbDpT10_ENKUlT_T0_E_clISt17integral_constantIbLb1EES1C_EEDaS17_S18_EUlS17_E_NS1_11comp_targetILNS1_3genE9ELNS1_11target_archE1100ELNS1_3gpuE3ELNS1_3repE0EEENS1_30default_config_static_selectorELNS0_4arch9wavefront6targetE1EEEvT1_ ; -- Begin function _ZN7rocprim17ROCPRIM_400000_NS6detail17trampoline_kernelINS0_14default_configENS1_25partition_config_selectorILNS1_17partition_subalgoE3EN6thrust23THRUST_200600_302600_NS5tupleIssNS7_9null_typeES9_S9_S9_S9_S9_S9_S9_EENS0_10empty_typeEbEEZZNS1_14partition_implILS5_3ELb0ES3_jNS7_6detail15normal_iteratorINS7_7pointerISA_NS7_11hip_rocprim3tagENS7_11use_defaultESJ_EEEEPSB_SM_NS0_5tupleIJPSA_SM_EEENSN_IJSM_SM_EEESB_PlJ10is_orderedEEE10hipError_tPvRmT3_T4_T5_T6_T7_T9_mT8_P12ihipStream_tbDpT10_ENKUlT_T0_E_clISt17integral_constantIbLb1EES1C_EEDaS17_S18_EUlS17_E_NS1_11comp_targetILNS1_3genE9ELNS1_11target_archE1100ELNS1_3gpuE3ELNS1_3repE0EEENS1_30default_config_static_selectorELNS0_4arch9wavefront6targetE1EEEvT1_
	.globl	_ZN7rocprim17ROCPRIM_400000_NS6detail17trampoline_kernelINS0_14default_configENS1_25partition_config_selectorILNS1_17partition_subalgoE3EN6thrust23THRUST_200600_302600_NS5tupleIssNS7_9null_typeES9_S9_S9_S9_S9_S9_S9_EENS0_10empty_typeEbEEZZNS1_14partition_implILS5_3ELb0ES3_jNS7_6detail15normal_iteratorINS7_7pointerISA_NS7_11hip_rocprim3tagENS7_11use_defaultESJ_EEEEPSB_SM_NS0_5tupleIJPSA_SM_EEENSN_IJSM_SM_EEESB_PlJ10is_orderedEEE10hipError_tPvRmT3_T4_T5_T6_T7_T9_mT8_P12ihipStream_tbDpT10_ENKUlT_T0_E_clISt17integral_constantIbLb1EES1C_EEDaS17_S18_EUlS17_E_NS1_11comp_targetILNS1_3genE9ELNS1_11target_archE1100ELNS1_3gpuE3ELNS1_3repE0EEENS1_30default_config_static_selectorELNS0_4arch9wavefront6targetE1EEEvT1_
	.p2align	8
	.type	_ZN7rocprim17ROCPRIM_400000_NS6detail17trampoline_kernelINS0_14default_configENS1_25partition_config_selectorILNS1_17partition_subalgoE3EN6thrust23THRUST_200600_302600_NS5tupleIssNS7_9null_typeES9_S9_S9_S9_S9_S9_S9_EENS0_10empty_typeEbEEZZNS1_14partition_implILS5_3ELb0ES3_jNS7_6detail15normal_iteratorINS7_7pointerISA_NS7_11hip_rocprim3tagENS7_11use_defaultESJ_EEEEPSB_SM_NS0_5tupleIJPSA_SM_EEENSN_IJSM_SM_EEESB_PlJ10is_orderedEEE10hipError_tPvRmT3_T4_T5_T6_T7_T9_mT8_P12ihipStream_tbDpT10_ENKUlT_T0_E_clISt17integral_constantIbLb1EES1C_EEDaS17_S18_EUlS17_E_NS1_11comp_targetILNS1_3genE9ELNS1_11target_archE1100ELNS1_3gpuE3ELNS1_3repE0EEENS1_30default_config_static_selectorELNS0_4arch9wavefront6targetE1EEEvT1_,@function
_ZN7rocprim17ROCPRIM_400000_NS6detail17trampoline_kernelINS0_14default_configENS1_25partition_config_selectorILNS1_17partition_subalgoE3EN6thrust23THRUST_200600_302600_NS5tupleIssNS7_9null_typeES9_S9_S9_S9_S9_S9_S9_EENS0_10empty_typeEbEEZZNS1_14partition_implILS5_3ELb0ES3_jNS7_6detail15normal_iteratorINS7_7pointerISA_NS7_11hip_rocprim3tagENS7_11use_defaultESJ_EEEEPSB_SM_NS0_5tupleIJPSA_SM_EEENSN_IJSM_SM_EEESB_PlJ10is_orderedEEE10hipError_tPvRmT3_T4_T5_T6_T7_T9_mT8_P12ihipStream_tbDpT10_ENKUlT_T0_E_clISt17integral_constantIbLb1EES1C_EEDaS17_S18_EUlS17_E_NS1_11comp_targetILNS1_3genE9ELNS1_11target_archE1100ELNS1_3gpuE3ELNS1_3repE0EEENS1_30default_config_static_selectorELNS0_4arch9wavefront6targetE1EEEvT1_: ; @_ZN7rocprim17ROCPRIM_400000_NS6detail17trampoline_kernelINS0_14default_configENS1_25partition_config_selectorILNS1_17partition_subalgoE3EN6thrust23THRUST_200600_302600_NS5tupleIssNS7_9null_typeES9_S9_S9_S9_S9_S9_S9_EENS0_10empty_typeEbEEZZNS1_14partition_implILS5_3ELb0ES3_jNS7_6detail15normal_iteratorINS7_7pointerISA_NS7_11hip_rocprim3tagENS7_11use_defaultESJ_EEEEPSB_SM_NS0_5tupleIJPSA_SM_EEENSN_IJSM_SM_EEESB_PlJ10is_orderedEEE10hipError_tPvRmT3_T4_T5_T6_T7_T9_mT8_P12ihipStream_tbDpT10_ENKUlT_T0_E_clISt17integral_constantIbLb1EES1C_EEDaS17_S18_EUlS17_E_NS1_11comp_targetILNS1_3genE9ELNS1_11target_archE1100ELNS1_3gpuE3ELNS1_3repE0EEENS1_30default_config_static_selectorELNS0_4arch9wavefront6targetE1EEEvT1_
; %bb.0:
	.section	.rodata,"a",@progbits
	.p2align	6, 0x0
	.amdhsa_kernel _ZN7rocprim17ROCPRIM_400000_NS6detail17trampoline_kernelINS0_14default_configENS1_25partition_config_selectorILNS1_17partition_subalgoE3EN6thrust23THRUST_200600_302600_NS5tupleIssNS7_9null_typeES9_S9_S9_S9_S9_S9_S9_EENS0_10empty_typeEbEEZZNS1_14partition_implILS5_3ELb0ES3_jNS7_6detail15normal_iteratorINS7_7pointerISA_NS7_11hip_rocprim3tagENS7_11use_defaultESJ_EEEEPSB_SM_NS0_5tupleIJPSA_SM_EEENSN_IJSM_SM_EEESB_PlJ10is_orderedEEE10hipError_tPvRmT3_T4_T5_T6_T7_T9_mT8_P12ihipStream_tbDpT10_ENKUlT_T0_E_clISt17integral_constantIbLb1EES1C_EEDaS17_S18_EUlS17_E_NS1_11comp_targetILNS1_3genE9ELNS1_11target_archE1100ELNS1_3gpuE3ELNS1_3repE0EEENS1_30default_config_static_selectorELNS0_4arch9wavefront6targetE1EEEvT1_
		.amdhsa_group_segment_fixed_size 0
		.amdhsa_private_segment_fixed_size 0
		.amdhsa_kernarg_size 136
		.amdhsa_user_sgpr_count 2
		.amdhsa_user_sgpr_dispatch_ptr 0
		.amdhsa_user_sgpr_queue_ptr 0
		.amdhsa_user_sgpr_kernarg_segment_ptr 1
		.amdhsa_user_sgpr_dispatch_id 0
		.amdhsa_user_sgpr_kernarg_preload_length 0
		.amdhsa_user_sgpr_kernarg_preload_offset 0
		.amdhsa_user_sgpr_private_segment_size 0
		.amdhsa_uses_dynamic_stack 0
		.amdhsa_enable_private_segment 0
		.amdhsa_system_sgpr_workgroup_id_x 1
		.amdhsa_system_sgpr_workgroup_id_y 0
		.amdhsa_system_sgpr_workgroup_id_z 0
		.amdhsa_system_sgpr_workgroup_info 0
		.amdhsa_system_vgpr_workitem_id 0
		.amdhsa_next_free_vgpr 1
		.amdhsa_next_free_sgpr 0
		.amdhsa_accum_offset 4
		.amdhsa_reserve_vcc 0
		.amdhsa_float_round_mode_32 0
		.amdhsa_float_round_mode_16_64 0
		.amdhsa_float_denorm_mode_32 3
		.amdhsa_float_denorm_mode_16_64 3
		.amdhsa_dx10_clamp 1
		.amdhsa_ieee_mode 1
		.amdhsa_fp16_overflow 0
		.amdhsa_tg_split 0
		.amdhsa_exception_fp_ieee_invalid_op 0
		.amdhsa_exception_fp_denorm_src 0
		.amdhsa_exception_fp_ieee_div_zero 0
		.amdhsa_exception_fp_ieee_overflow 0
		.amdhsa_exception_fp_ieee_underflow 0
		.amdhsa_exception_fp_ieee_inexact 0
		.amdhsa_exception_int_div_zero 0
	.end_amdhsa_kernel
	.section	.text._ZN7rocprim17ROCPRIM_400000_NS6detail17trampoline_kernelINS0_14default_configENS1_25partition_config_selectorILNS1_17partition_subalgoE3EN6thrust23THRUST_200600_302600_NS5tupleIssNS7_9null_typeES9_S9_S9_S9_S9_S9_S9_EENS0_10empty_typeEbEEZZNS1_14partition_implILS5_3ELb0ES3_jNS7_6detail15normal_iteratorINS7_7pointerISA_NS7_11hip_rocprim3tagENS7_11use_defaultESJ_EEEEPSB_SM_NS0_5tupleIJPSA_SM_EEENSN_IJSM_SM_EEESB_PlJ10is_orderedEEE10hipError_tPvRmT3_T4_T5_T6_T7_T9_mT8_P12ihipStream_tbDpT10_ENKUlT_T0_E_clISt17integral_constantIbLb1EES1C_EEDaS17_S18_EUlS17_E_NS1_11comp_targetILNS1_3genE9ELNS1_11target_archE1100ELNS1_3gpuE3ELNS1_3repE0EEENS1_30default_config_static_selectorELNS0_4arch9wavefront6targetE1EEEvT1_,"axG",@progbits,_ZN7rocprim17ROCPRIM_400000_NS6detail17trampoline_kernelINS0_14default_configENS1_25partition_config_selectorILNS1_17partition_subalgoE3EN6thrust23THRUST_200600_302600_NS5tupleIssNS7_9null_typeES9_S9_S9_S9_S9_S9_S9_EENS0_10empty_typeEbEEZZNS1_14partition_implILS5_3ELb0ES3_jNS7_6detail15normal_iteratorINS7_7pointerISA_NS7_11hip_rocprim3tagENS7_11use_defaultESJ_EEEEPSB_SM_NS0_5tupleIJPSA_SM_EEENSN_IJSM_SM_EEESB_PlJ10is_orderedEEE10hipError_tPvRmT3_T4_T5_T6_T7_T9_mT8_P12ihipStream_tbDpT10_ENKUlT_T0_E_clISt17integral_constantIbLb1EES1C_EEDaS17_S18_EUlS17_E_NS1_11comp_targetILNS1_3genE9ELNS1_11target_archE1100ELNS1_3gpuE3ELNS1_3repE0EEENS1_30default_config_static_selectorELNS0_4arch9wavefront6targetE1EEEvT1_,comdat
.Lfunc_end3543:
	.size	_ZN7rocprim17ROCPRIM_400000_NS6detail17trampoline_kernelINS0_14default_configENS1_25partition_config_selectorILNS1_17partition_subalgoE3EN6thrust23THRUST_200600_302600_NS5tupleIssNS7_9null_typeES9_S9_S9_S9_S9_S9_S9_EENS0_10empty_typeEbEEZZNS1_14partition_implILS5_3ELb0ES3_jNS7_6detail15normal_iteratorINS7_7pointerISA_NS7_11hip_rocprim3tagENS7_11use_defaultESJ_EEEEPSB_SM_NS0_5tupleIJPSA_SM_EEENSN_IJSM_SM_EEESB_PlJ10is_orderedEEE10hipError_tPvRmT3_T4_T5_T6_T7_T9_mT8_P12ihipStream_tbDpT10_ENKUlT_T0_E_clISt17integral_constantIbLb1EES1C_EEDaS17_S18_EUlS17_E_NS1_11comp_targetILNS1_3genE9ELNS1_11target_archE1100ELNS1_3gpuE3ELNS1_3repE0EEENS1_30default_config_static_selectorELNS0_4arch9wavefront6targetE1EEEvT1_, .Lfunc_end3543-_ZN7rocprim17ROCPRIM_400000_NS6detail17trampoline_kernelINS0_14default_configENS1_25partition_config_selectorILNS1_17partition_subalgoE3EN6thrust23THRUST_200600_302600_NS5tupleIssNS7_9null_typeES9_S9_S9_S9_S9_S9_S9_EENS0_10empty_typeEbEEZZNS1_14partition_implILS5_3ELb0ES3_jNS7_6detail15normal_iteratorINS7_7pointerISA_NS7_11hip_rocprim3tagENS7_11use_defaultESJ_EEEEPSB_SM_NS0_5tupleIJPSA_SM_EEENSN_IJSM_SM_EEESB_PlJ10is_orderedEEE10hipError_tPvRmT3_T4_T5_T6_T7_T9_mT8_P12ihipStream_tbDpT10_ENKUlT_T0_E_clISt17integral_constantIbLb1EES1C_EEDaS17_S18_EUlS17_E_NS1_11comp_targetILNS1_3genE9ELNS1_11target_archE1100ELNS1_3gpuE3ELNS1_3repE0EEENS1_30default_config_static_selectorELNS0_4arch9wavefront6targetE1EEEvT1_
                                        ; -- End function
	.section	.AMDGPU.csdata,"",@progbits
; Kernel info:
; codeLenInByte = 0
; NumSgprs: 6
; NumVgprs: 0
; NumAgprs: 0
; TotalNumVgprs: 0
; ScratchSize: 0
; MemoryBound: 0
; FloatMode: 240
; IeeeMode: 1
; LDSByteSize: 0 bytes/workgroup (compile time only)
; SGPRBlocks: 0
; VGPRBlocks: 0
; NumSGPRsForWavesPerEU: 6
; NumVGPRsForWavesPerEU: 1
; AccumOffset: 4
; Occupancy: 8
; WaveLimiterHint : 0
; COMPUTE_PGM_RSRC2:SCRATCH_EN: 0
; COMPUTE_PGM_RSRC2:USER_SGPR: 2
; COMPUTE_PGM_RSRC2:TRAP_HANDLER: 0
; COMPUTE_PGM_RSRC2:TGID_X_EN: 1
; COMPUTE_PGM_RSRC2:TGID_Y_EN: 0
; COMPUTE_PGM_RSRC2:TGID_Z_EN: 0
; COMPUTE_PGM_RSRC2:TIDIG_COMP_CNT: 0
; COMPUTE_PGM_RSRC3_GFX90A:ACCUM_OFFSET: 0
; COMPUTE_PGM_RSRC3_GFX90A:TG_SPLIT: 0
	.section	.text._ZN7rocprim17ROCPRIM_400000_NS6detail17trampoline_kernelINS0_14default_configENS1_25partition_config_selectorILNS1_17partition_subalgoE3EN6thrust23THRUST_200600_302600_NS5tupleIssNS7_9null_typeES9_S9_S9_S9_S9_S9_S9_EENS0_10empty_typeEbEEZZNS1_14partition_implILS5_3ELb0ES3_jNS7_6detail15normal_iteratorINS7_7pointerISA_NS7_11hip_rocprim3tagENS7_11use_defaultESJ_EEEEPSB_SM_NS0_5tupleIJPSA_SM_EEENSN_IJSM_SM_EEESB_PlJ10is_orderedEEE10hipError_tPvRmT3_T4_T5_T6_T7_T9_mT8_P12ihipStream_tbDpT10_ENKUlT_T0_E_clISt17integral_constantIbLb1EES1C_EEDaS17_S18_EUlS17_E_NS1_11comp_targetILNS1_3genE8ELNS1_11target_archE1030ELNS1_3gpuE2ELNS1_3repE0EEENS1_30default_config_static_selectorELNS0_4arch9wavefront6targetE1EEEvT1_,"axG",@progbits,_ZN7rocprim17ROCPRIM_400000_NS6detail17trampoline_kernelINS0_14default_configENS1_25partition_config_selectorILNS1_17partition_subalgoE3EN6thrust23THRUST_200600_302600_NS5tupleIssNS7_9null_typeES9_S9_S9_S9_S9_S9_S9_EENS0_10empty_typeEbEEZZNS1_14partition_implILS5_3ELb0ES3_jNS7_6detail15normal_iteratorINS7_7pointerISA_NS7_11hip_rocprim3tagENS7_11use_defaultESJ_EEEEPSB_SM_NS0_5tupleIJPSA_SM_EEENSN_IJSM_SM_EEESB_PlJ10is_orderedEEE10hipError_tPvRmT3_T4_T5_T6_T7_T9_mT8_P12ihipStream_tbDpT10_ENKUlT_T0_E_clISt17integral_constantIbLb1EES1C_EEDaS17_S18_EUlS17_E_NS1_11comp_targetILNS1_3genE8ELNS1_11target_archE1030ELNS1_3gpuE2ELNS1_3repE0EEENS1_30default_config_static_selectorELNS0_4arch9wavefront6targetE1EEEvT1_,comdat
	.protected	_ZN7rocprim17ROCPRIM_400000_NS6detail17trampoline_kernelINS0_14default_configENS1_25partition_config_selectorILNS1_17partition_subalgoE3EN6thrust23THRUST_200600_302600_NS5tupleIssNS7_9null_typeES9_S9_S9_S9_S9_S9_S9_EENS0_10empty_typeEbEEZZNS1_14partition_implILS5_3ELb0ES3_jNS7_6detail15normal_iteratorINS7_7pointerISA_NS7_11hip_rocprim3tagENS7_11use_defaultESJ_EEEEPSB_SM_NS0_5tupleIJPSA_SM_EEENSN_IJSM_SM_EEESB_PlJ10is_orderedEEE10hipError_tPvRmT3_T4_T5_T6_T7_T9_mT8_P12ihipStream_tbDpT10_ENKUlT_T0_E_clISt17integral_constantIbLb1EES1C_EEDaS17_S18_EUlS17_E_NS1_11comp_targetILNS1_3genE8ELNS1_11target_archE1030ELNS1_3gpuE2ELNS1_3repE0EEENS1_30default_config_static_selectorELNS0_4arch9wavefront6targetE1EEEvT1_ ; -- Begin function _ZN7rocprim17ROCPRIM_400000_NS6detail17trampoline_kernelINS0_14default_configENS1_25partition_config_selectorILNS1_17partition_subalgoE3EN6thrust23THRUST_200600_302600_NS5tupleIssNS7_9null_typeES9_S9_S9_S9_S9_S9_S9_EENS0_10empty_typeEbEEZZNS1_14partition_implILS5_3ELb0ES3_jNS7_6detail15normal_iteratorINS7_7pointerISA_NS7_11hip_rocprim3tagENS7_11use_defaultESJ_EEEEPSB_SM_NS0_5tupleIJPSA_SM_EEENSN_IJSM_SM_EEESB_PlJ10is_orderedEEE10hipError_tPvRmT3_T4_T5_T6_T7_T9_mT8_P12ihipStream_tbDpT10_ENKUlT_T0_E_clISt17integral_constantIbLb1EES1C_EEDaS17_S18_EUlS17_E_NS1_11comp_targetILNS1_3genE8ELNS1_11target_archE1030ELNS1_3gpuE2ELNS1_3repE0EEENS1_30default_config_static_selectorELNS0_4arch9wavefront6targetE1EEEvT1_
	.globl	_ZN7rocprim17ROCPRIM_400000_NS6detail17trampoline_kernelINS0_14default_configENS1_25partition_config_selectorILNS1_17partition_subalgoE3EN6thrust23THRUST_200600_302600_NS5tupleIssNS7_9null_typeES9_S9_S9_S9_S9_S9_S9_EENS0_10empty_typeEbEEZZNS1_14partition_implILS5_3ELb0ES3_jNS7_6detail15normal_iteratorINS7_7pointerISA_NS7_11hip_rocprim3tagENS7_11use_defaultESJ_EEEEPSB_SM_NS0_5tupleIJPSA_SM_EEENSN_IJSM_SM_EEESB_PlJ10is_orderedEEE10hipError_tPvRmT3_T4_T5_T6_T7_T9_mT8_P12ihipStream_tbDpT10_ENKUlT_T0_E_clISt17integral_constantIbLb1EES1C_EEDaS17_S18_EUlS17_E_NS1_11comp_targetILNS1_3genE8ELNS1_11target_archE1030ELNS1_3gpuE2ELNS1_3repE0EEENS1_30default_config_static_selectorELNS0_4arch9wavefront6targetE1EEEvT1_
	.p2align	8
	.type	_ZN7rocprim17ROCPRIM_400000_NS6detail17trampoline_kernelINS0_14default_configENS1_25partition_config_selectorILNS1_17partition_subalgoE3EN6thrust23THRUST_200600_302600_NS5tupleIssNS7_9null_typeES9_S9_S9_S9_S9_S9_S9_EENS0_10empty_typeEbEEZZNS1_14partition_implILS5_3ELb0ES3_jNS7_6detail15normal_iteratorINS7_7pointerISA_NS7_11hip_rocprim3tagENS7_11use_defaultESJ_EEEEPSB_SM_NS0_5tupleIJPSA_SM_EEENSN_IJSM_SM_EEESB_PlJ10is_orderedEEE10hipError_tPvRmT3_T4_T5_T6_T7_T9_mT8_P12ihipStream_tbDpT10_ENKUlT_T0_E_clISt17integral_constantIbLb1EES1C_EEDaS17_S18_EUlS17_E_NS1_11comp_targetILNS1_3genE8ELNS1_11target_archE1030ELNS1_3gpuE2ELNS1_3repE0EEENS1_30default_config_static_selectorELNS0_4arch9wavefront6targetE1EEEvT1_,@function
_ZN7rocprim17ROCPRIM_400000_NS6detail17trampoline_kernelINS0_14default_configENS1_25partition_config_selectorILNS1_17partition_subalgoE3EN6thrust23THRUST_200600_302600_NS5tupleIssNS7_9null_typeES9_S9_S9_S9_S9_S9_S9_EENS0_10empty_typeEbEEZZNS1_14partition_implILS5_3ELb0ES3_jNS7_6detail15normal_iteratorINS7_7pointerISA_NS7_11hip_rocprim3tagENS7_11use_defaultESJ_EEEEPSB_SM_NS0_5tupleIJPSA_SM_EEENSN_IJSM_SM_EEESB_PlJ10is_orderedEEE10hipError_tPvRmT3_T4_T5_T6_T7_T9_mT8_P12ihipStream_tbDpT10_ENKUlT_T0_E_clISt17integral_constantIbLb1EES1C_EEDaS17_S18_EUlS17_E_NS1_11comp_targetILNS1_3genE8ELNS1_11target_archE1030ELNS1_3gpuE2ELNS1_3repE0EEENS1_30default_config_static_selectorELNS0_4arch9wavefront6targetE1EEEvT1_: ; @_ZN7rocprim17ROCPRIM_400000_NS6detail17trampoline_kernelINS0_14default_configENS1_25partition_config_selectorILNS1_17partition_subalgoE3EN6thrust23THRUST_200600_302600_NS5tupleIssNS7_9null_typeES9_S9_S9_S9_S9_S9_S9_EENS0_10empty_typeEbEEZZNS1_14partition_implILS5_3ELb0ES3_jNS7_6detail15normal_iteratorINS7_7pointerISA_NS7_11hip_rocprim3tagENS7_11use_defaultESJ_EEEEPSB_SM_NS0_5tupleIJPSA_SM_EEENSN_IJSM_SM_EEESB_PlJ10is_orderedEEE10hipError_tPvRmT3_T4_T5_T6_T7_T9_mT8_P12ihipStream_tbDpT10_ENKUlT_T0_E_clISt17integral_constantIbLb1EES1C_EEDaS17_S18_EUlS17_E_NS1_11comp_targetILNS1_3genE8ELNS1_11target_archE1030ELNS1_3gpuE2ELNS1_3repE0EEENS1_30default_config_static_selectorELNS0_4arch9wavefront6targetE1EEEvT1_
; %bb.0:
	.section	.rodata,"a",@progbits
	.p2align	6, 0x0
	.amdhsa_kernel _ZN7rocprim17ROCPRIM_400000_NS6detail17trampoline_kernelINS0_14default_configENS1_25partition_config_selectorILNS1_17partition_subalgoE3EN6thrust23THRUST_200600_302600_NS5tupleIssNS7_9null_typeES9_S9_S9_S9_S9_S9_S9_EENS0_10empty_typeEbEEZZNS1_14partition_implILS5_3ELb0ES3_jNS7_6detail15normal_iteratorINS7_7pointerISA_NS7_11hip_rocprim3tagENS7_11use_defaultESJ_EEEEPSB_SM_NS0_5tupleIJPSA_SM_EEENSN_IJSM_SM_EEESB_PlJ10is_orderedEEE10hipError_tPvRmT3_T4_T5_T6_T7_T9_mT8_P12ihipStream_tbDpT10_ENKUlT_T0_E_clISt17integral_constantIbLb1EES1C_EEDaS17_S18_EUlS17_E_NS1_11comp_targetILNS1_3genE8ELNS1_11target_archE1030ELNS1_3gpuE2ELNS1_3repE0EEENS1_30default_config_static_selectorELNS0_4arch9wavefront6targetE1EEEvT1_
		.amdhsa_group_segment_fixed_size 0
		.amdhsa_private_segment_fixed_size 0
		.amdhsa_kernarg_size 136
		.amdhsa_user_sgpr_count 2
		.amdhsa_user_sgpr_dispatch_ptr 0
		.amdhsa_user_sgpr_queue_ptr 0
		.amdhsa_user_sgpr_kernarg_segment_ptr 1
		.amdhsa_user_sgpr_dispatch_id 0
		.amdhsa_user_sgpr_kernarg_preload_length 0
		.amdhsa_user_sgpr_kernarg_preload_offset 0
		.amdhsa_user_sgpr_private_segment_size 0
		.amdhsa_uses_dynamic_stack 0
		.amdhsa_enable_private_segment 0
		.amdhsa_system_sgpr_workgroup_id_x 1
		.amdhsa_system_sgpr_workgroup_id_y 0
		.amdhsa_system_sgpr_workgroup_id_z 0
		.amdhsa_system_sgpr_workgroup_info 0
		.amdhsa_system_vgpr_workitem_id 0
		.amdhsa_next_free_vgpr 1
		.amdhsa_next_free_sgpr 0
		.amdhsa_accum_offset 4
		.amdhsa_reserve_vcc 0
		.amdhsa_float_round_mode_32 0
		.amdhsa_float_round_mode_16_64 0
		.amdhsa_float_denorm_mode_32 3
		.amdhsa_float_denorm_mode_16_64 3
		.amdhsa_dx10_clamp 1
		.amdhsa_ieee_mode 1
		.amdhsa_fp16_overflow 0
		.amdhsa_tg_split 0
		.amdhsa_exception_fp_ieee_invalid_op 0
		.amdhsa_exception_fp_denorm_src 0
		.amdhsa_exception_fp_ieee_div_zero 0
		.amdhsa_exception_fp_ieee_overflow 0
		.amdhsa_exception_fp_ieee_underflow 0
		.amdhsa_exception_fp_ieee_inexact 0
		.amdhsa_exception_int_div_zero 0
	.end_amdhsa_kernel
	.section	.text._ZN7rocprim17ROCPRIM_400000_NS6detail17trampoline_kernelINS0_14default_configENS1_25partition_config_selectorILNS1_17partition_subalgoE3EN6thrust23THRUST_200600_302600_NS5tupleIssNS7_9null_typeES9_S9_S9_S9_S9_S9_S9_EENS0_10empty_typeEbEEZZNS1_14partition_implILS5_3ELb0ES3_jNS7_6detail15normal_iteratorINS7_7pointerISA_NS7_11hip_rocprim3tagENS7_11use_defaultESJ_EEEEPSB_SM_NS0_5tupleIJPSA_SM_EEENSN_IJSM_SM_EEESB_PlJ10is_orderedEEE10hipError_tPvRmT3_T4_T5_T6_T7_T9_mT8_P12ihipStream_tbDpT10_ENKUlT_T0_E_clISt17integral_constantIbLb1EES1C_EEDaS17_S18_EUlS17_E_NS1_11comp_targetILNS1_3genE8ELNS1_11target_archE1030ELNS1_3gpuE2ELNS1_3repE0EEENS1_30default_config_static_selectorELNS0_4arch9wavefront6targetE1EEEvT1_,"axG",@progbits,_ZN7rocprim17ROCPRIM_400000_NS6detail17trampoline_kernelINS0_14default_configENS1_25partition_config_selectorILNS1_17partition_subalgoE3EN6thrust23THRUST_200600_302600_NS5tupleIssNS7_9null_typeES9_S9_S9_S9_S9_S9_S9_EENS0_10empty_typeEbEEZZNS1_14partition_implILS5_3ELb0ES3_jNS7_6detail15normal_iteratorINS7_7pointerISA_NS7_11hip_rocprim3tagENS7_11use_defaultESJ_EEEEPSB_SM_NS0_5tupleIJPSA_SM_EEENSN_IJSM_SM_EEESB_PlJ10is_orderedEEE10hipError_tPvRmT3_T4_T5_T6_T7_T9_mT8_P12ihipStream_tbDpT10_ENKUlT_T0_E_clISt17integral_constantIbLb1EES1C_EEDaS17_S18_EUlS17_E_NS1_11comp_targetILNS1_3genE8ELNS1_11target_archE1030ELNS1_3gpuE2ELNS1_3repE0EEENS1_30default_config_static_selectorELNS0_4arch9wavefront6targetE1EEEvT1_,comdat
.Lfunc_end3544:
	.size	_ZN7rocprim17ROCPRIM_400000_NS6detail17trampoline_kernelINS0_14default_configENS1_25partition_config_selectorILNS1_17partition_subalgoE3EN6thrust23THRUST_200600_302600_NS5tupleIssNS7_9null_typeES9_S9_S9_S9_S9_S9_S9_EENS0_10empty_typeEbEEZZNS1_14partition_implILS5_3ELb0ES3_jNS7_6detail15normal_iteratorINS7_7pointerISA_NS7_11hip_rocprim3tagENS7_11use_defaultESJ_EEEEPSB_SM_NS0_5tupleIJPSA_SM_EEENSN_IJSM_SM_EEESB_PlJ10is_orderedEEE10hipError_tPvRmT3_T4_T5_T6_T7_T9_mT8_P12ihipStream_tbDpT10_ENKUlT_T0_E_clISt17integral_constantIbLb1EES1C_EEDaS17_S18_EUlS17_E_NS1_11comp_targetILNS1_3genE8ELNS1_11target_archE1030ELNS1_3gpuE2ELNS1_3repE0EEENS1_30default_config_static_selectorELNS0_4arch9wavefront6targetE1EEEvT1_, .Lfunc_end3544-_ZN7rocprim17ROCPRIM_400000_NS6detail17trampoline_kernelINS0_14default_configENS1_25partition_config_selectorILNS1_17partition_subalgoE3EN6thrust23THRUST_200600_302600_NS5tupleIssNS7_9null_typeES9_S9_S9_S9_S9_S9_S9_EENS0_10empty_typeEbEEZZNS1_14partition_implILS5_3ELb0ES3_jNS7_6detail15normal_iteratorINS7_7pointerISA_NS7_11hip_rocprim3tagENS7_11use_defaultESJ_EEEEPSB_SM_NS0_5tupleIJPSA_SM_EEENSN_IJSM_SM_EEESB_PlJ10is_orderedEEE10hipError_tPvRmT3_T4_T5_T6_T7_T9_mT8_P12ihipStream_tbDpT10_ENKUlT_T0_E_clISt17integral_constantIbLb1EES1C_EEDaS17_S18_EUlS17_E_NS1_11comp_targetILNS1_3genE8ELNS1_11target_archE1030ELNS1_3gpuE2ELNS1_3repE0EEENS1_30default_config_static_selectorELNS0_4arch9wavefront6targetE1EEEvT1_
                                        ; -- End function
	.section	.AMDGPU.csdata,"",@progbits
; Kernel info:
; codeLenInByte = 0
; NumSgprs: 6
; NumVgprs: 0
; NumAgprs: 0
; TotalNumVgprs: 0
; ScratchSize: 0
; MemoryBound: 0
; FloatMode: 240
; IeeeMode: 1
; LDSByteSize: 0 bytes/workgroup (compile time only)
; SGPRBlocks: 0
; VGPRBlocks: 0
; NumSGPRsForWavesPerEU: 6
; NumVGPRsForWavesPerEU: 1
; AccumOffset: 4
; Occupancy: 8
; WaveLimiterHint : 0
; COMPUTE_PGM_RSRC2:SCRATCH_EN: 0
; COMPUTE_PGM_RSRC2:USER_SGPR: 2
; COMPUTE_PGM_RSRC2:TRAP_HANDLER: 0
; COMPUTE_PGM_RSRC2:TGID_X_EN: 1
; COMPUTE_PGM_RSRC2:TGID_Y_EN: 0
; COMPUTE_PGM_RSRC2:TGID_Z_EN: 0
; COMPUTE_PGM_RSRC2:TIDIG_COMP_CNT: 0
; COMPUTE_PGM_RSRC3_GFX90A:ACCUM_OFFSET: 0
; COMPUTE_PGM_RSRC3_GFX90A:TG_SPLIT: 0
	.section	.text._ZN7rocprim17ROCPRIM_400000_NS6detail17trampoline_kernelINS0_14default_configENS1_25partition_config_selectorILNS1_17partition_subalgoE3EN6thrust23THRUST_200600_302600_NS5tupleIssNS7_9null_typeES9_S9_S9_S9_S9_S9_S9_EENS0_10empty_typeEbEEZZNS1_14partition_implILS5_3ELb0ES3_jNS7_6detail15normal_iteratorINS7_7pointerISA_NS7_11hip_rocprim3tagENS7_11use_defaultESJ_EEEEPSB_SM_NS0_5tupleIJPSA_SM_EEENSN_IJSM_SM_EEESB_PlJ10is_orderedEEE10hipError_tPvRmT3_T4_T5_T6_T7_T9_mT8_P12ihipStream_tbDpT10_ENKUlT_T0_E_clISt17integral_constantIbLb1EES1B_IbLb0EEEEDaS17_S18_EUlS17_E_NS1_11comp_targetILNS1_3genE0ELNS1_11target_archE4294967295ELNS1_3gpuE0ELNS1_3repE0EEENS1_30default_config_static_selectorELNS0_4arch9wavefront6targetE1EEEvT1_,"axG",@progbits,_ZN7rocprim17ROCPRIM_400000_NS6detail17trampoline_kernelINS0_14default_configENS1_25partition_config_selectorILNS1_17partition_subalgoE3EN6thrust23THRUST_200600_302600_NS5tupleIssNS7_9null_typeES9_S9_S9_S9_S9_S9_S9_EENS0_10empty_typeEbEEZZNS1_14partition_implILS5_3ELb0ES3_jNS7_6detail15normal_iteratorINS7_7pointerISA_NS7_11hip_rocprim3tagENS7_11use_defaultESJ_EEEEPSB_SM_NS0_5tupleIJPSA_SM_EEENSN_IJSM_SM_EEESB_PlJ10is_orderedEEE10hipError_tPvRmT3_T4_T5_T6_T7_T9_mT8_P12ihipStream_tbDpT10_ENKUlT_T0_E_clISt17integral_constantIbLb1EES1B_IbLb0EEEEDaS17_S18_EUlS17_E_NS1_11comp_targetILNS1_3genE0ELNS1_11target_archE4294967295ELNS1_3gpuE0ELNS1_3repE0EEENS1_30default_config_static_selectorELNS0_4arch9wavefront6targetE1EEEvT1_,comdat
	.protected	_ZN7rocprim17ROCPRIM_400000_NS6detail17trampoline_kernelINS0_14default_configENS1_25partition_config_selectorILNS1_17partition_subalgoE3EN6thrust23THRUST_200600_302600_NS5tupleIssNS7_9null_typeES9_S9_S9_S9_S9_S9_S9_EENS0_10empty_typeEbEEZZNS1_14partition_implILS5_3ELb0ES3_jNS7_6detail15normal_iteratorINS7_7pointerISA_NS7_11hip_rocprim3tagENS7_11use_defaultESJ_EEEEPSB_SM_NS0_5tupleIJPSA_SM_EEENSN_IJSM_SM_EEESB_PlJ10is_orderedEEE10hipError_tPvRmT3_T4_T5_T6_T7_T9_mT8_P12ihipStream_tbDpT10_ENKUlT_T0_E_clISt17integral_constantIbLb1EES1B_IbLb0EEEEDaS17_S18_EUlS17_E_NS1_11comp_targetILNS1_3genE0ELNS1_11target_archE4294967295ELNS1_3gpuE0ELNS1_3repE0EEENS1_30default_config_static_selectorELNS0_4arch9wavefront6targetE1EEEvT1_ ; -- Begin function _ZN7rocprim17ROCPRIM_400000_NS6detail17trampoline_kernelINS0_14default_configENS1_25partition_config_selectorILNS1_17partition_subalgoE3EN6thrust23THRUST_200600_302600_NS5tupleIssNS7_9null_typeES9_S9_S9_S9_S9_S9_S9_EENS0_10empty_typeEbEEZZNS1_14partition_implILS5_3ELb0ES3_jNS7_6detail15normal_iteratorINS7_7pointerISA_NS7_11hip_rocprim3tagENS7_11use_defaultESJ_EEEEPSB_SM_NS0_5tupleIJPSA_SM_EEENSN_IJSM_SM_EEESB_PlJ10is_orderedEEE10hipError_tPvRmT3_T4_T5_T6_T7_T9_mT8_P12ihipStream_tbDpT10_ENKUlT_T0_E_clISt17integral_constantIbLb1EES1B_IbLb0EEEEDaS17_S18_EUlS17_E_NS1_11comp_targetILNS1_3genE0ELNS1_11target_archE4294967295ELNS1_3gpuE0ELNS1_3repE0EEENS1_30default_config_static_selectorELNS0_4arch9wavefront6targetE1EEEvT1_
	.globl	_ZN7rocprim17ROCPRIM_400000_NS6detail17trampoline_kernelINS0_14default_configENS1_25partition_config_selectorILNS1_17partition_subalgoE3EN6thrust23THRUST_200600_302600_NS5tupleIssNS7_9null_typeES9_S9_S9_S9_S9_S9_S9_EENS0_10empty_typeEbEEZZNS1_14partition_implILS5_3ELb0ES3_jNS7_6detail15normal_iteratorINS7_7pointerISA_NS7_11hip_rocprim3tagENS7_11use_defaultESJ_EEEEPSB_SM_NS0_5tupleIJPSA_SM_EEENSN_IJSM_SM_EEESB_PlJ10is_orderedEEE10hipError_tPvRmT3_T4_T5_T6_T7_T9_mT8_P12ihipStream_tbDpT10_ENKUlT_T0_E_clISt17integral_constantIbLb1EES1B_IbLb0EEEEDaS17_S18_EUlS17_E_NS1_11comp_targetILNS1_3genE0ELNS1_11target_archE4294967295ELNS1_3gpuE0ELNS1_3repE0EEENS1_30default_config_static_selectorELNS0_4arch9wavefront6targetE1EEEvT1_
	.p2align	8
	.type	_ZN7rocprim17ROCPRIM_400000_NS6detail17trampoline_kernelINS0_14default_configENS1_25partition_config_selectorILNS1_17partition_subalgoE3EN6thrust23THRUST_200600_302600_NS5tupleIssNS7_9null_typeES9_S9_S9_S9_S9_S9_S9_EENS0_10empty_typeEbEEZZNS1_14partition_implILS5_3ELb0ES3_jNS7_6detail15normal_iteratorINS7_7pointerISA_NS7_11hip_rocprim3tagENS7_11use_defaultESJ_EEEEPSB_SM_NS0_5tupleIJPSA_SM_EEENSN_IJSM_SM_EEESB_PlJ10is_orderedEEE10hipError_tPvRmT3_T4_T5_T6_T7_T9_mT8_P12ihipStream_tbDpT10_ENKUlT_T0_E_clISt17integral_constantIbLb1EES1B_IbLb0EEEEDaS17_S18_EUlS17_E_NS1_11comp_targetILNS1_3genE0ELNS1_11target_archE4294967295ELNS1_3gpuE0ELNS1_3repE0EEENS1_30default_config_static_selectorELNS0_4arch9wavefront6targetE1EEEvT1_,@function
_ZN7rocprim17ROCPRIM_400000_NS6detail17trampoline_kernelINS0_14default_configENS1_25partition_config_selectorILNS1_17partition_subalgoE3EN6thrust23THRUST_200600_302600_NS5tupleIssNS7_9null_typeES9_S9_S9_S9_S9_S9_S9_EENS0_10empty_typeEbEEZZNS1_14partition_implILS5_3ELb0ES3_jNS7_6detail15normal_iteratorINS7_7pointerISA_NS7_11hip_rocprim3tagENS7_11use_defaultESJ_EEEEPSB_SM_NS0_5tupleIJPSA_SM_EEENSN_IJSM_SM_EEESB_PlJ10is_orderedEEE10hipError_tPvRmT3_T4_T5_T6_T7_T9_mT8_P12ihipStream_tbDpT10_ENKUlT_T0_E_clISt17integral_constantIbLb1EES1B_IbLb0EEEEDaS17_S18_EUlS17_E_NS1_11comp_targetILNS1_3genE0ELNS1_11target_archE4294967295ELNS1_3gpuE0ELNS1_3repE0EEENS1_30default_config_static_selectorELNS0_4arch9wavefront6targetE1EEEvT1_: ; @_ZN7rocprim17ROCPRIM_400000_NS6detail17trampoline_kernelINS0_14default_configENS1_25partition_config_selectorILNS1_17partition_subalgoE3EN6thrust23THRUST_200600_302600_NS5tupleIssNS7_9null_typeES9_S9_S9_S9_S9_S9_S9_EENS0_10empty_typeEbEEZZNS1_14partition_implILS5_3ELb0ES3_jNS7_6detail15normal_iteratorINS7_7pointerISA_NS7_11hip_rocprim3tagENS7_11use_defaultESJ_EEEEPSB_SM_NS0_5tupleIJPSA_SM_EEENSN_IJSM_SM_EEESB_PlJ10is_orderedEEE10hipError_tPvRmT3_T4_T5_T6_T7_T9_mT8_P12ihipStream_tbDpT10_ENKUlT_T0_E_clISt17integral_constantIbLb1EES1B_IbLb0EEEEDaS17_S18_EUlS17_E_NS1_11comp_targetILNS1_3genE0ELNS1_11target_archE4294967295ELNS1_3gpuE0ELNS1_3repE0EEENS1_30default_config_static_selectorELNS0_4arch9wavefront6targetE1EEEvT1_
; %bb.0:
	.section	.rodata,"a",@progbits
	.p2align	6, 0x0
	.amdhsa_kernel _ZN7rocprim17ROCPRIM_400000_NS6detail17trampoline_kernelINS0_14default_configENS1_25partition_config_selectorILNS1_17partition_subalgoE3EN6thrust23THRUST_200600_302600_NS5tupleIssNS7_9null_typeES9_S9_S9_S9_S9_S9_S9_EENS0_10empty_typeEbEEZZNS1_14partition_implILS5_3ELb0ES3_jNS7_6detail15normal_iteratorINS7_7pointerISA_NS7_11hip_rocprim3tagENS7_11use_defaultESJ_EEEEPSB_SM_NS0_5tupleIJPSA_SM_EEENSN_IJSM_SM_EEESB_PlJ10is_orderedEEE10hipError_tPvRmT3_T4_T5_T6_T7_T9_mT8_P12ihipStream_tbDpT10_ENKUlT_T0_E_clISt17integral_constantIbLb1EES1B_IbLb0EEEEDaS17_S18_EUlS17_E_NS1_11comp_targetILNS1_3genE0ELNS1_11target_archE4294967295ELNS1_3gpuE0ELNS1_3repE0EEENS1_30default_config_static_selectorELNS0_4arch9wavefront6targetE1EEEvT1_
		.amdhsa_group_segment_fixed_size 0
		.amdhsa_private_segment_fixed_size 0
		.amdhsa_kernarg_size 120
		.amdhsa_user_sgpr_count 2
		.amdhsa_user_sgpr_dispatch_ptr 0
		.amdhsa_user_sgpr_queue_ptr 0
		.amdhsa_user_sgpr_kernarg_segment_ptr 1
		.amdhsa_user_sgpr_dispatch_id 0
		.amdhsa_user_sgpr_kernarg_preload_length 0
		.amdhsa_user_sgpr_kernarg_preload_offset 0
		.amdhsa_user_sgpr_private_segment_size 0
		.amdhsa_uses_dynamic_stack 0
		.amdhsa_enable_private_segment 0
		.amdhsa_system_sgpr_workgroup_id_x 1
		.amdhsa_system_sgpr_workgroup_id_y 0
		.amdhsa_system_sgpr_workgroup_id_z 0
		.amdhsa_system_sgpr_workgroup_info 0
		.amdhsa_system_vgpr_workitem_id 0
		.amdhsa_next_free_vgpr 1
		.amdhsa_next_free_sgpr 0
		.amdhsa_accum_offset 4
		.amdhsa_reserve_vcc 0
		.amdhsa_float_round_mode_32 0
		.amdhsa_float_round_mode_16_64 0
		.amdhsa_float_denorm_mode_32 3
		.amdhsa_float_denorm_mode_16_64 3
		.amdhsa_dx10_clamp 1
		.amdhsa_ieee_mode 1
		.amdhsa_fp16_overflow 0
		.amdhsa_tg_split 0
		.amdhsa_exception_fp_ieee_invalid_op 0
		.amdhsa_exception_fp_denorm_src 0
		.amdhsa_exception_fp_ieee_div_zero 0
		.amdhsa_exception_fp_ieee_overflow 0
		.amdhsa_exception_fp_ieee_underflow 0
		.amdhsa_exception_fp_ieee_inexact 0
		.amdhsa_exception_int_div_zero 0
	.end_amdhsa_kernel
	.section	.text._ZN7rocprim17ROCPRIM_400000_NS6detail17trampoline_kernelINS0_14default_configENS1_25partition_config_selectorILNS1_17partition_subalgoE3EN6thrust23THRUST_200600_302600_NS5tupleIssNS7_9null_typeES9_S9_S9_S9_S9_S9_S9_EENS0_10empty_typeEbEEZZNS1_14partition_implILS5_3ELb0ES3_jNS7_6detail15normal_iteratorINS7_7pointerISA_NS7_11hip_rocprim3tagENS7_11use_defaultESJ_EEEEPSB_SM_NS0_5tupleIJPSA_SM_EEENSN_IJSM_SM_EEESB_PlJ10is_orderedEEE10hipError_tPvRmT3_T4_T5_T6_T7_T9_mT8_P12ihipStream_tbDpT10_ENKUlT_T0_E_clISt17integral_constantIbLb1EES1B_IbLb0EEEEDaS17_S18_EUlS17_E_NS1_11comp_targetILNS1_3genE0ELNS1_11target_archE4294967295ELNS1_3gpuE0ELNS1_3repE0EEENS1_30default_config_static_selectorELNS0_4arch9wavefront6targetE1EEEvT1_,"axG",@progbits,_ZN7rocprim17ROCPRIM_400000_NS6detail17trampoline_kernelINS0_14default_configENS1_25partition_config_selectorILNS1_17partition_subalgoE3EN6thrust23THRUST_200600_302600_NS5tupleIssNS7_9null_typeES9_S9_S9_S9_S9_S9_S9_EENS0_10empty_typeEbEEZZNS1_14partition_implILS5_3ELb0ES3_jNS7_6detail15normal_iteratorINS7_7pointerISA_NS7_11hip_rocprim3tagENS7_11use_defaultESJ_EEEEPSB_SM_NS0_5tupleIJPSA_SM_EEENSN_IJSM_SM_EEESB_PlJ10is_orderedEEE10hipError_tPvRmT3_T4_T5_T6_T7_T9_mT8_P12ihipStream_tbDpT10_ENKUlT_T0_E_clISt17integral_constantIbLb1EES1B_IbLb0EEEEDaS17_S18_EUlS17_E_NS1_11comp_targetILNS1_3genE0ELNS1_11target_archE4294967295ELNS1_3gpuE0ELNS1_3repE0EEENS1_30default_config_static_selectorELNS0_4arch9wavefront6targetE1EEEvT1_,comdat
.Lfunc_end3545:
	.size	_ZN7rocprim17ROCPRIM_400000_NS6detail17trampoline_kernelINS0_14default_configENS1_25partition_config_selectorILNS1_17partition_subalgoE3EN6thrust23THRUST_200600_302600_NS5tupleIssNS7_9null_typeES9_S9_S9_S9_S9_S9_S9_EENS0_10empty_typeEbEEZZNS1_14partition_implILS5_3ELb0ES3_jNS7_6detail15normal_iteratorINS7_7pointerISA_NS7_11hip_rocprim3tagENS7_11use_defaultESJ_EEEEPSB_SM_NS0_5tupleIJPSA_SM_EEENSN_IJSM_SM_EEESB_PlJ10is_orderedEEE10hipError_tPvRmT3_T4_T5_T6_T7_T9_mT8_P12ihipStream_tbDpT10_ENKUlT_T0_E_clISt17integral_constantIbLb1EES1B_IbLb0EEEEDaS17_S18_EUlS17_E_NS1_11comp_targetILNS1_3genE0ELNS1_11target_archE4294967295ELNS1_3gpuE0ELNS1_3repE0EEENS1_30default_config_static_selectorELNS0_4arch9wavefront6targetE1EEEvT1_, .Lfunc_end3545-_ZN7rocprim17ROCPRIM_400000_NS6detail17trampoline_kernelINS0_14default_configENS1_25partition_config_selectorILNS1_17partition_subalgoE3EN6thrust23THRUST_200600_302600_NS5tupleIssNS7_9null_typeES9_S9_S9_S9_S9_S9_S9_EENS0_10empty_typeEbEEZZNS1_14partition_implILS5_3ELb0ES3_jNS7_6detail15normal_iteratorINS7_7pointerISA_NS7_11hip_rocprim3tagENS7_11use_defaultESJ_EEEEPSB_SM_NS0_5tupleIJPSA_SM_EEENSN_IJSM_SM_EEESB_PlJ10is_orderedEEE10hipError_tPvRmT3_T4_T5_T6_T7_T9_mT8_P12ihipStream_tbDpT10_ENKUlT_T0_E_clISt17integral_constantIbLb1EES1B_IbLb0EEEEDaS17_S18_EUlS17_E_NS1_11comp_targetILNS1_3genE0ELNS1_11target_archE4294967295ELNS1_3gpuE0ELNS1_3repE0EEENS1_30default_config_static_selectorELNS0_4arch9wavefront6targetE1EEEvT1_
                                        ; -- End function
	.section	.AMDGPU.csdata,"",@progbits
; Kernel info:
; codeLenInByte = 0
; NumSgprs: 6
; NumVgprs: 0
; NumAgprs: 0
; TotalNumVgprs: 0
; ScratchSize: 0
; MemoryBound: 0
; FloatMode: 240
; IeeeMode: 1
; LDSByteSize: 0 bytes/workgroup (compile time only)
; SGPRBlocks: 0
; VGPRBlocks: 0
; NumSGPRsForWavesPerEU: 6
; NumVGPRsForWavesPerEU: 1
; AccumOffset: 4
; Occupancy: 8
; WaveLimiterHint : 0
; COMPUTE_PGM_RSRC2:SCRATCH_EN: 0
; COMPUTE_PGM_RSRC2:USER_SGPR: 2
; COMPUTE_PGM_RSRC2:TRAP_HANDLER: 0
; COMPUTE_PGM_RSRC2:TGID_X_EN: 1
; COMPUTE_PGM_RSRC2:TGID_Y_EN: 0
; COMPUTE_PGM_RSRC2:TGID_Z_EN: 0
; COMPUTE_PGM_RSRC2:TIDIG_COMP_CNT: 0
; COMPUTE_PGM_RSRC3_GFX90A:ACCUM_OFFSET: 0
; COMPUTE_PGM_RSRC3_GFX90A:TG_SPLIT: 0
	.section	.text._ZN7rocprim17ROCPRIM_400000_NS6detail17trampoline_kernelINS0_14default_configENS1_25partition_config_selectorILNS1_17partition_subalgoE3EN6thrust23THRUST_200600_302600_NS5tupleIssNS7_9null_typeES9_S9_S9_S9_S9_S9_S9_EENS0_10empty_typeEbEEZZNS1_14partition_implILS5_3ELb0ES3_jNS7_6detail15normal_iteratorINS7_7pointerISA_NS7_11hip_rocprim3tagENS7_11use_defaultESJ_EEEEPSB_SM_NS0_5tupleIJPSA_SM_EEENSN_IJSM_SM_EEESB_PlJ10is_orderedEEE10hipError_tPvRmT3_T4_T5_T6_T7_T9_mT8_P12ihipStream_tbDpT10_ENKUlT_T0_E_clISt17integral_constantIbLb1EES1B_IbLb0EEEEDaS17_S18_EUlS17_E_NS1_11comp_targetILNS1_3genE5ELNS1_11target_archE942ELNS1_3gpuE9ELNS1_3repE0EEENS1_30default_config_static_selectorELNS0_4arch9wavefront6targetE1EEEvT1_,"axG",@progbits,_ZN7rocprim17ROCPRIM_400000_NS6detail17trampoline_kernelINS0_14default_configENS1_25partition_config_selectorILNS1_17partition_subalgoE3EN6thrust23THRUST_200600_302600_NS5tupleIssNS7_9null_typeES9_S9_S9_S9_S9_S9_S9_EENS0_10empty_typeEbEEZZNS1_14partition_implILS5_3ELb0ES3_jNS7_6detail15normal_iteratorINS7_7pointerISA_NS7_11hip_rocprim3tagENS7_11use_defaultESJ_EEEEPSB_SM_NS0_5tupleIJPSA_SM_EEENSN_IJSM_SM_EEESB_PlJ10is_orderedEEE10hipError_tPvRmT3_T4_T5_T6_T7_T9_mT8_P12ihipStream_tbDpT10_ENKUlT_T0_E_clISt17integral_constantIbLb1EES1B_IbLb0EEEEDaS17_S18_EUlS17_E_NS1_11comp_targetILNS1_3genE5ELNS1_11target_archE942ELNS1_3gpuE9ELNS1_3repE0EEENS1_30default_config_static_selectorELNS0_4arch9wavefront6targetE1EEEvT1_,comdat
	.protected	_ZN7rocprim17ROCPRIM_400000_NS6detail17trampoline_kernelINS0_14default_configENS1_25partition_config_selectorILNS1_17partition_subalgoE3EN6thrust23THRUST_200600_302600_NS5tupleIssNS7_9null_typeES9_S9_S9_S9_S9_S9_S9_EENS0_10empty_typeEbEEZZNS1_14partition_implILS5_3ELb0ES3_jNS7_6detail15normal_iteratorINS7_7pointerISA_NS7_11hip_rocprim3tagENS7_11use_defaultESJ_EEEEPSB_SM_NS0_5tupleIJPSA_SM_EEENSN_IJSM_SM_EEESB_PlJ10is_orderedEEE10hipError_tPvRmT3_T4_T5_T6_T7_T9_mT8_P12ihipStream_tbDpT10_ENKUlT_T0_E_clISt17integral_constantIbLb1EES1B_IbLb0EEEEDaS17_S18_EUlS17_E_NS1_11comp_targetILNS1_3genE5ELNS1_11target_archE942ELNS1_3gpuE9ELNS1_3repE0EEENS1_30default_config_static_selectorELNS0_4arch9wavefront6targetE1EEEvT1_ ; -- Begin function _ZN7rocprim17ROCPRIM_400000_NS6detail17trampoline_kernelINS0_14default_configENS1_25partition_config_selectorILNS1_17partition_subalgoE3EN6thrust23THRUST_200600_302600_NS5tupleIssNS7_9null_typeES9_S9_S9_S9_S9_S9_S9_EENS0_10empty_typeEbEEZZNS1_14partition_implILS5_3ELb0ES3_jNS7_6detail15normal_iteratorINS7_7pointerISA_NS7_11hip_rocprim3tagENS7_11use_defaultESJ_EEEEPSB_SM_NS0_5tupleIJPSA_SM_EEENSN_IJSM_SM_EEESB_PlJ10is_orderedEEE10hipError_tPvRmT3_T4_T5_T6_T7_T9_mT8_P12ihipStream_tbDpT10_ENKUlT_T0_E_clISt17integral_constantIbLb1EES1B_IbLb0EEEEDaS17_S18_EUlS17_E_NS1_11comp_targetILNS1_3genE5ELNS1_11target_archE942ELNS1_3gpuE9ELNS1_3repE0EEENS1_30default_config_static_selectorELNS0_4arch9wavefront6targetE1EEEvT1_
	.globl	_ZN7rocprim17ROCPRIM_400000_NS6detail17trampoline_kernelINS0_14default_configENS1_25partition_config_selectorILNS1_17partition_subalgoE3EN6thrust23THRUST_200600_302600_NS5tupleIssNS7_9null_typeES9_S9_S9_S9_S9_S9_S9_EENS0_10empty_typeEbEEZZNS1_14partition_implILS5_3ELb0ES3_jNS7_6detail15normal_iteratorINS7_7pointerISA_NS7_11hip_rocprim3tagENS7_11use_defaultESJ_EEEEPSB_SM_NS0_5tupleIJPSA_SM_EEENSN_IJSM_SM_EEESB_PlJ10is_orderedEEE10hipError_tPvRmT3_T4_T5_T6_T7_T9_mT8_P12ihipStream_tbDpT10_ENKUlT_T0_E_clISt17integral_constantIbLb1EES1B_IbLb0EEEEDaS17_S18_EUlS17_E_NS1_11comp_targetILNS1_3genE5ELNS1_11target_archE942ELNS1_3gpuE9ELNS1_3repE0EEENS1_30default_config_static_selectorELNS0_4arch9wavefront6targetE1EEEvT1_
	.p2align	8
	.type	_ZN7rocprim17ROCPRIM_400000_NS6detail17trampoline_kernelINS0_14default_configENS1_25partition_config_selectorILNS1_17partition_subalgoE3EN6thrust23THRUST_200600_302600_NS5tupleIssNS7_9null_typeES9_S9_S9_S9_S9_S9_S9_EENS0_10empty_typeEbEEZZNS1_14partition_implILS5_3ELb0ES3_jNS7_6detail15normal_iteratorINS7_7pointerISA_NS7_11hip_rocprim3tagENS7_11use_defaultESJ_EEEEPSB_SM_NS0_5tupleIJPSA_SM_EEENSN_IJSM_SM_EEESB_PlJ10is_orderedEEE10hipError_tPvRmT3_T4_T5_T6_T7_T9_mT8_P12ihipStream_tbDpT10_ENKUlT_T0_E_clISt17integral_constantIbLb1EES1B_IbLb0EEEEDaS17_S18_EUlS17_E_NS1_11comp_targetILNS1_3genE5ELNS1_11target_archE942ELNS1_3gpuE9ELNS1_3repE0EEENS1_30default_config_static_selectorELNS0_4arch9wavefront6targetE1EEEvT1_,@function
_ZN7rocprim17ROCPRIM_400000_NS6detail17trampoline_kernelINS0_14default_configENS1_25partition_config_selectorILNS1_17partition_subalgoE3EN6thrust23THRUST_200600_302600_NS5tupleIssNS7_9null_typeES9_S9_S9_S9_S9_S9_S9_EENS0_10empty_typeEbEEZZNS1_14partition_implILS5_3ELb0ES3_jNS7_6detail15normal_iteratorINS7_7pointerISA_NS7_11hip_rocprim3tagENS7_11use_defaultESJ_EEEEPSB_SM_NS0_5tupleIJPSA_SM_EEENSN_IJSM_SM_EEESB_PlJ10is_orderedEEE10hipError_tPvRmT3_T4_T5_T6_T7_T9_mT8_P12ihipStream_tbDpT10_ENKUlT_T0_E_clISt17integral_constantIbLb1EES1B_IbLb0EEEEDaS17_S18_EUlS17_E_NS1_11comp_targetILNS1_3genE5ELNS1_11target_archE942ELNS1_3gpuE9ELNS1_3repE0EEENS1_30default_config_static_selectorELNS0_4arch9wavefront6targetE1EEEvT1_: ; @_ZN7rocprim17ROCPRIM_400000_NS6detail17trampoline_kernelINS0_14default_configENS1_25partition_config_selectorILNS1_17partition_subalgoE3EN6thrust23THRUST_200600_302600_NS5tupleIssNS7_9null_typeES9_S9_S9_S9_S9_S9_S9_EENS0_10empty_typeEbEEZZNS1_14partition_implILS5_3ELb0ES3_jNS7_6detail15normal_iteratorINS7_7pointerISA_NS7_11hip_rocprim3tagENS7_11use_defaultESJ_EEEEPSB_SM_NS0_5tupleIJPSA_SM_EEENSN_IJSM_SM_EEESB_PlJ10is_orderedEEE10hipError_tPvRmT3_T4_T5_T6_T7_T9_mT8_P12ihipStream_tbDpT10_ENKUlT_T0_E_clISt17integral_constantIbLb1EES1B_IbLb0EEEEDaS17_S18_EUlS17_E_NS1_11comp_targetILNS1_3genE5ELNS1_11target_archE942ELNS1_3gpuE9ELNS1_3repE0EEENS1_30default_config_static_selectorELNS0_4arch9wavefront6targetE1EEEvT1_
; %bb.0:
	s_load_dwordx4 s[20:23], s[0:1], 0x8
	s_load_dwordx4 s[24:27], s[0:1], 0x48
	s_load_dwordx2 s[28:29], s[0:1], 0x58
	s_load_dword s3, s[0:1], 0x70
	s_mov_b32 s35, 0
	s_waitcnt lgkmcnt(0)
	s_lshl_b64 s[4:5], s[22:23], 2
	s_add_u32 s8, s20, s4
	s_addc_u32 s9, s21, s5
	s_add_i32 s6, s3, -1
	s_mulk_i32 s3, 0x1e00
	s_add_i32 s4, s3, s22
	s_sub_i32 s33, s28, s4
	s_addk_i32 s33, 0x1e00
	s_add_u32 s4, s22, s3
	s_addc_u32 s5, s23, 0
	s_cmp_eq_u32 s2, s6
	s_load_dwordx2 s[30:31], s[26:27], 0x0
	s_cselect_b64 s[26:27], -1, 0
	s_cmp_lg_u32 s2, s6
	v_mov_b64_e32 v[2:3], s[28:29]
	s_cselect_b64 s[6:7], -1, 0
	s_mul_i32 s34, s2, 0x1e00
	v_cmp_lt_u64_e32 vcc, s[4:5], v[2:3]
	s_or_b64 s[6:7], s[6:7], vcc
	s_lshl_b64 s[4:5], s[34:35], 2
	s_add_u32 s8, s8, s4
	s_addc_u32 s9, s9, s5
	s_mov_b64 s[4:5], -1
	s_and_b64 vcc, exec, s[6:7]
	v_lshlrev_b32_e32 v20, 2, v0
	s_cbranch_vccz .LBB3546_2
; %bb.1:
	v_mov_b32_e32 v21, 0
	v_lshl_add_u64 v[2:3], s[8:9], 0, v[20:21]
	v_add_co_u32_e32 v4, vcc, 0x1000, v2
	s_mov_b64 s[4:5], 0
	s_nop 0
	v_addc_co_u32_e32 v5, vcc, 0, v3, vcc
	v_add_co_u32_e32 v6, vcc, 0x2000, v2
	s_nop 1
	v_addc_co_u32_e32 v7, vcc, 0, v3, vcc
	v_add_co_u32_e32 v8, vcc, 0x3000, v2
	s_nop 1
	v_addc_co_u32_e32 v9, vcc, 0, v3, vcc
	flat_load_dword v1, v[2:3]
	flat_load_dword v10, v[2:3] offset:2048
	flat_load_dword v11, v[4:5]
	flat_load_dword v12, v[4:5] offset:2048
	;; [unrolled: 2-line block ×4, first 2 shown]
	v_add_co_u32_e32 v4, vcc, 0x4000, v2
	s_nop 1
	v_addc_co_u32_e32 v5, vcc, 0, v3, vcc
	v_add_co_u32_e32 v6, vcc, 0x5000, v2
	s_nop 1
	v_addc_co_u32_e32 v7, vcc, 0, v3, vcc
	;; [unrolled: 3-line block ×4, first 2 shown]
	flat_load_dword v17, v[4:5]
	flat_load_dword v18, v[4:5] offset:2048
	flat_load_dword v19, v[6:7]
	flat_load_dword v21, v[6:7] offset:2048
	;; [unrolled: 2-line block ×3, first 2 shown]
	flat_load_dword v24, v[2:3]
	s_waitcnt vmcnt(0) lgkmcnt(0)
	ds_write2st64_b32 v20, v1, v10 offset1:8
	ds_write2st64_b32 v20, v11, v12 offset0:16 offset1:24
	ds_write2st64_b32 v20, v13, v14 offset0:32 offset1:40
	;; [unrolled: 1-line block ×6, first 2 shown]
	ds_write_b32 v20, v24 offset:28672
	s_waitcnt lgkmcnt(0)
	s_barrier
.LBB3546_2:
	s_andn2_b64 vcc, exec, s[4:5]
	v_cmp_gt_u32_e64 s[4:5], s33, v0
	s_cbranch_vccnz .LBB3546_34
; %bb.3:
	v_mov_b32_e32 v1, 0
	v_mov_b32_e32 v2, 0
	s_and_saveexec_b64 s[10:11], s[4:5]
	s_cbranch_execz .LBB3546_5
; %bb.4:
	v_mov_b32_e32 v21, 0
	v_lshl_add_u64 v[2:3], s[8:9], 0, v[20:21]
	flat_load_dword v2, v[2:3]
.LBB3546_5:
	s_or_b64 exec, exec, s[10:11]
	v_or_b32_e32 v3, 0x200, v0
	v_cmp_gt_u32_e32 vcc, s33, v3
	s_and_saveexec_b64 s[4:5], vcc
	s_cbranch_execz .LBB3546_7
; %bb.6:
	v_mov_b32_e32 v21, 0
	v_lshl_add_u64 v[4:5], s[8:9], 0, v[20:21]
	flat_load_dword v1, v[4:5] offset:2048
.LBB3546_7:
	s_or_b64 exec, exec, s[4:5]
	v_or_b32_e32 v5, 0x400, v0
	v_cmp_gt_u32_e32 vcc, s33, v5
	v_mov_b32_e32 v3, 0
	v_mov_b32_e32 v4, 0
	s_and_saveexec_b64 s[4:5], vcc
	s_cbranch_execz .LBB3546_9
; %bb.8:
	v_lshlrev_b32_e32 v4, 2, v5
	v_mov_b32_e32 v5, 0
	v_lshl_add_u64 v[4:5], s[8:9], 0, v[4:5]
	flat_load_dword v4, v[4:5]
.LBB3546_9:
	s_or_b64 exec, exec, s[4:5]
	v_or_b32_e32 v5, 0x600, v0
	v_cmp_gt_u32_e32 vcc, s33, v5
	s_and_saveexec_b64 s[4:5], vcc
	s_cbranch_execz .LBB3546_11
; %bb.10:
	v_lshlrev_b32_e32 v6, 2, v5
	v_mov_b32_e32 v7, 0
	v_lshl_add_u64 v[6:7], s[8:9], 0, v[6:7]
	flat_load_dword v3, v[6:7]
.LBB3546_11:
	s_or_b64 exec, exec, s[4:5]
	v_or_b32_e32 v7, 0x800, v0
	v_cmp_gt_u32_e32 vcc, s33, v7
	v_mov_b32_e32 v5, 0
	v_mov_b32_e32 v6, 0
	s_and_saveexec_b64 s[4:5], vcc
	s_cbranch_execz .LBB3546_13
; %bb.12:
	v_lshlrev_b32_e32 v6, 2, v7
	v_mov_b32_e32 v7, 0
	v_lshl_add_u64 v[6:7], s[8:9], 0, v[6:7]
	flat_load_dword v6, v[6:7]
.LBB3546_13:
	s_or_b64 exec, exec, s[4:5]
	v_or_b32_e32 v7, 0xa00, v0
	v_cmp_gt_u32_e32 vcc, s33, v7
	s_and_saveexec_b64 s[4:5], vcc
	s_cbranch_execz .LBB3546_15
; %bb.14:
	v_lshlrev_b32_e32 v8, 2, v7
	v_mov_b32_e32 v9, 0
	v_lshl_add_u64 v[8:9], s[8:9], 0, v[8:9]
	flat_load_dword v5, v[8:9]
.LBB3546_15:
	;; [unrolled: 24-line block ×6, first 2 shown]
	s_or_b64 exec, exec, s[4:5]
	v_or_b32_e32 v16, 0x1c00, v0
	v_cmp_gt_u32_e32 vcc, s33, v16
	v_mov_b32_e32 v15, 0
	s_and_saveexec_b64 s[4:5], vcc
	s_cbranch_execz .LBB3546_33
; %bb.32:
	v_lshlrev_b32_e32 v16, 2, v16
	v_mov_b32_e32 v17, 0
	v_lshl_add_u64 v[16:17], s[8:9], 0, v[16:17]
	flat_load_dword v15, v[16:17]
.LBB3546_33:
	s_or_b64 exec, exec, s[4:5]
	s_waitcnt vmcnt(0) lgkmcnt(0)
	ds_write2st64_b32 v20, v2, v1 offset1:8
	ds_write2st64_b32 v20, v4, v3 offset0:16 offset1:24
	ds_write2st64_b32 v20, v6, v5 offset0:32 offset1:40
	;; [unrolled: 1-line block ×6, first 2 shown]
	ds_write_b32 v20, v15 offset:28672
	s_waitcnt lgkmcnt(0)
	s_barrier
.LBB3546_34:
	v_mul_u32_u24_e32 v21, 15, v0
	v_lshlrev_b32_e32 v40, 2, v21
	s_waitcnt lgkmcnt(0)
	ds_read2_b32 v[34:35], v40 offset1:1
	ds_read2_b32 v[32:33], v40 offset0:2 offset1:3
	ds_read2_b32 v[30:31], v40 offset0:4 offset1:5
	;; [unrolled: 1-line block ×6, first 2 shown]
	ds_read_b32 v1, v40 offset:56
	v_cndmask_b32_e64 v2, 0, 1, s[6:7]
	v_cmp_ne_u32_e64 s[20:21], 1, v2
	s_andn2_b64 vcc, exec, s[6:7]
	s_waitcnt lgkmcnt(7)
	v_cmp_le_i16_sdwa s[6:7], v34, v34 src0_sel:DWORD src1_sel:WORD_1
	v_cmp_le_i16_sdwa s[8:9], v35, v35 src0_sel:DWORD src1_sel:WORD_1
	s_waitcnt lgkmcnt(6)
	v_cmp_le_i16_sdwa s[10:11], v32, v32 src0_sel:DWORD src1_sel:WORD_1
	v_cmp_le_i16_sdwa s[12:13], v33, v33 src0_sel:DWORD src1_sel:WORD_1
	;; [unrolled: 3-line block ×7, first 2 shown]
	s_waitcnt lgkmcnt(0)
	v_cmp_le_i16_sdwa s[4:5], v1, v1 src0_sel:DWORD src1_sel:WORD_1
	s_barrier
	s_cbranch_vccnz .LBB3546_36
; %bb.35:
	v_cndmask_b32_e64 v3, 0, 1, s[8:9]
	v_cndmask_b32_e64 v2, 0, 1, s[6:7]
	v_cndmask_b32_e64 v5, 0, 1, s[12:13]
	v_lshlrev_b16_e32 v3, 8, v3
	v_cndmask_b32_e64 v4, 0, 1, s[10:11]
	v_or_b32_e32 v2, v2, v3
	v_lshlrev_b16_e32 v3, 8, v5
	v_cndmask_b32_e64 v7, 0, 1, s[16:17]
	v_cndmask_b32_e64 v9, 0, 1, s[36:37]
	v_or_b32_sdwa v3, v4, v3 dst_sel:WORD_1 dst_unused:UNUSED_PAD src0_sel:DWORD src1_sel:DWORD
	v_cndmask_b32_e64 v6, 0, 1, s[14:15]
	v_cndmask_b32_e64 v8, 0, 1, s[18:19]
	v_or_b32_sdwa v41, v2, v3 dst_sel:DWORD dst_unused:UNUSED_PAD src0_sel:WORD_0 src1_sel:DWORD
	v_lshlrev_b16_e32 v2, 8, v7
	v_lshlrev_b16_e32 v3, 8, v9
	v_cndmask_b32_e64 v11, 0, 1, s[40:41]
	v_cndmask_b32_e64 v13, 0, 1, s[44:45]
	v_or_b32_e32 v2, v6, v2
	v_or_b32_sdwa v3, v8, v3 dst_sel:WORD_1 dst_unused:UNUSED_PAD src0_sel:DWORD src1_sel:DWORD
	v_cndmask_b32_e64 v10, 0, 1, s[38:39]
	v_cndmask_b32_e64 v12, 0, 1, s[42:43]
	v_or_b32_sdwa v39, v2, v3 dst_sel:DWORD dst_unused:UNUSED_PAD src0_sel:WORD_0 src1_sel:DWORD
	v_lshlrev_b16_e32 v2, 8, v11
	v_lshlrev_b16_e32 v3, 8, v13
	v_or_b32_e32 v2, v10, v2
	v_or_b32_sdwa v3, v12, v3 dst_sel:WORD_1 dst_unused:UNUSED_PAD src0_sel:DWORD src1_sel:DWORD
	v_cndmask_b32_e64 v37, 0, 1, s[46:47]
	v_cndmask_b32_e64 v36, 0, 1, s[48:49]
	v_or_b32_sdwa v38, v2, v3 dst_sel:DWORD dst_unused:UNUSED_PAD src0_sel:WORD_0 src1_sel:DWORD
	s_and_b64 s[36:37], s[4:5], exec
	s_load_dwordx2 s[38:39], s[0:1], 0x68
	s_cbranch_execz .LBB3546_37
	s_branch .LBB3546_38
.LBB3546_36:
                                        ; implicit-def: $sgpr36_sgpr37
                                        ; implicit-def: $vgpr36
                                        ; implicit-def: $vgpr37
                                        ; implicit-def: $vgpr38
                                        ; implicit-def: $vgpr39
                                        ; implicit-def: $vgpr41
	s_load_dwordx2 s[38:39], s[0:1], 0x68
.LBB3546_37:
	v_cmp_gt_u32_e32 vcc, s33, v21
	v_cmp_le_i16_sdwa s[4:5], v34, v34 src0_sel:DWORD src1_sel:WORD_1
	v_add_u32_e32 v2, 1, v21
	s_and_b64 s[4:5], vcc, s[4:5]
	v_cndmask_b32_e64 v16, 0, 1, s[4:5]
	v_cmp_gt_u32_e32 vcc, s33, v2
	v_cmp_le_i16_sdwa s[4:5], v35, v35 src0_sel:DWORD src1_sel:WORD_1
	v_add_u32_e32 v3, 2, v21
	s_and_b64 s[4:5], vcc, s[4:5]
	v_cndmask_b32_e64 v2, 0, 1, s[4:5]
	;; [unrolled: 5-line block ×12, first 2 shown]
	v_cmp_gt_u32_e32 vcc, s33, v13
	v_cmp_le_i16_sdwa s[4:5], v22, v22 src0_sel:DWORD src1_sel:WORD_1
	v_add_u32_e32 v14, 13, v21
	s_and_b64 s[4:5], vcc, s[4:5]
	v_lshlrev_b16_e32 v2, 8, v2
	v_lshlrev_b16_e32 v4, 8, v4
	v_cndmask_b32_e64 v37, 0, 1, s[4:5]
	v_cmp_gt_u32_e32 vcc, s33, v14
	v_cmp_le_i16_sdwa s[4:5], v23, v23 src0_sel:DWORD src1_sel:WORD_1
	v_or_b32_e32 v2, v16, v2
	v_or_b32_sdwa v3, v3, v4 dst_sel:WORD_1 dst_unused:UNUSED_PAD src0_sel:DWORD src1_sel:DWORD
	v_add_u32_e32 v15, 14, v21
	s_and_b64 s[4:5], vcc, s[4:5]
	v_or_b32_sdwa v41, v2, v3 dst_sel:DWORD dst_unused:UNUSED_PAD src0_sel:WORD_0 src1_sel:DWORD
	v_lshlrev_b16_e32 v2, 8, v6
	v_lshlrev_b16_e32 v3, 8, v8
	v_cndmask_b32_e64 v36, 0, 1, s[4:5]
	v_cmp_gt_u32_e32 vcc, s33, v15
	v_cmp_le_i16_sdwa s[4:5], v1, v1 src0_sel:DWORD src1_sel:WORD_1
	v_or_b32_e32 v2, v5, v2
	v_or_b32_sdwa v3, v7, v3 dst_sel:WORD_1 dst_unused:UNUSED_PAD src0_sel:DWORD src1_sel:DWORD
	s_and_b64 s[4:5], vcc, s[4:5]
	v_or_b32_sdwa v39, v2, v3 dst_sel:DWORD dst_unused:UNUSED_PAD src0_sel:WORD_0 src1_sel:DWORD
	v_lshlrev_b16_e32 v2, 8, v10
	v_lshlrev_b16_e32 v3, 8, v12
	v_or_b32_e32 v2, v9, v2
	v_or_b32_sdwa v3, v11, v3 dst_sel:WORD_1 dst_unused:UNUSED_PAD src0_sel:DWORD src1_sel:DWORD
	s_andn2_b64 s[6:7], s[36:37], exec
	s_and_b64 s[4:5], s[4:5], exec
	v_or_b32_sdwa v38, v2, v3 dst_sel:DWORD dst_unused:UNUSED_PAD src0_sel:WORD_0 src1_sel:DWORD
	s_or_b64 s[36:37], s[6:7], s[4:5]
.LBB3546_38:
	v_and_b32_e32 v45, 0xff, v41
	v_bfe_u32 v46, v41, 8, 8
	v_cndmask_b32_e64 v2, 0, 1, s[36:37]
	v_bfe_u32 v47, v41, 16, 8
	v_lshrrev_b32_e32 v44, 24, v41
	v_add3_u32 v2, v45, v2, v46
	v_and_b32_e32 v48, 0xff, v39
	v_bfe_u32 v49, v39, 8, 8
	v_add3_u32 v2, v2, v47, v44
	v_bfe_u32 v50, v39, 16, 8
	v_lshrrev_b32_e32 v43, 24, v39
	v_add3_u32 v2, v2, v48, v49
	v_and_b32_e32 v51, 0xff, v38
	v_bfe_u32 v53, v38, 8, 8
	v_add3_u32 v2, v2, v50, v43
	v_bfe_u32 v54, v38, 16, 8
	v_lshrrev_b32_e32 v42, 24, v38
	v_add3_u32 v2, v2, v51, v53
	v_and_b32_e32 v55, 0xff, v37
	v_and_b32_e32 v56, 0xff, v36
	v_add3_u32 v2, v2, v54, v42
	v_add3_u32 v59, v2, v55, v56
	v_mbcnt_lo_u32_b32 v2, -1, 0
	v_mbcnt_hi_u32_b32 v57, -1, v2
	v_and_b32_e32 v2, 15, v57
	v_cmp_eq_u32_e64 s[16:17], 0, v2
	v_cmp_lt_u32_e64 s[14:15], 1, v2
	v_cmp_lt_u32_e64 s[12:13], 3, v2
	;; [unrolled: 1-line block ×3, first 2 shown]
	v_and_b32_e32 v2, 16, v57
	v_cmp_eq_u32_e64 s[8:9], 0, v2
	v_or_b32_e32 v2, 63, v0
	s_cmp_lg_u32 s2, 0
	v_cmp_lt_u32_e64 s[4:5], 31, v57
	v_lshrrev_b32_e32 v58, 6, v0
	v_cmp_eq_u32_e64 s[6:7], v2, v0
	s_cbranch_scc0 .LBB3546_69
; %bb.39:
	v_mov_b32_dpp v2, v59 row_shr:1 row_mask:0xf bank_mask:0xf
	v_cndmask_b32_e64 v2, v2, 0, s[16:17]
	v_add_u32_e32 v2, v2, v59
	s_nop 1
	v_mov_b32_dpp v3, v2 row_shr:2 row_mask:0xf bank_mask:0xf
	v_cndmask_b32_e64 v3, 0, v3, s[14:15]
	v_add_u32_e32 v2, v2, v3
	s_nop 1
	;; [unrolled: 4-line block ×4, first 2 shown]
	v_mov_b32_dpp v3, v2 row_bcast:15 row_mask:0xf bank_mask:0xf
	v_cndmask_b32_e64 v3, v3, 0, s[8:9]
	v_add_u32_e32 v2, v2, v3
	s_nop 1
	v_mov_b32_dpp v3, v2 row_bcast:31 row_mask:0xf bank_mask:0xf
	v_cndmask_b32_e64 v3, 0, v3, s[4:5]
	v_add_u32_e32 v2, v2, v3
	s_and_saveexec_b64 s[18:19], s[6:7]
	s_cbranch_execz .LBB3546_41
; %bb.40:
	v_lshlrev_b32_e32 v3, 2, v58
	ds_write_b32 v3, v2
.LBB3546_41:
	s_or_b64 exec, exec, s[18:19]
	v_cmp_gt_u32_e32 vcc, 8, v0
	s_waitcnt lgkmcnt(0)
	s_barrier
	s_and_saveexec_b64 s[18:19], vcc
	s_cbranch_execz .LBB3546_43
; %bb.42:
	ds_read_b32 v3, v20
	v_and_b32_e32 v4, 7, v57
	v_cmp_ne_u32_e32 vcc, 0, v4
	s_waitcnt lgkmcnt(0)
	v_mov_b32_dpp v5, v3 row_shr:1 row_mask:0xf bank_mask:0xf
	v_cndmask_b32_e32 v5, 0, v5, vcc
	v_add_u32_e32 v3, v5, v3
	v_cmp_lt_u32_e32 vcc, 1, v4
	s_nop 0
	v_mov_b32_dpp v5, v3 row_shr:2 row_mask:0xf bank_mask:0xf
	v_cndmask_b32_e32 v5, 0, v5, vcc
	v_add_u32_e32 v3, v3, v5
	v_cmp_lt_u32_e32 vcc, 3, v4
	s_nop 0
	v_mov_b32_dpp v5, v3 row_shr:4 row_mask:0xf bank_mask:0xf
	v_cndmask_b32_e32 v4, 0, v5, vcc
	v_add_u32_e32 v3, v3, v4
	ds_write_b32 v20, v3
.LBB3546_43:
	s_or_b64 exec, exec, s[18:19]
	v_cmp_gt_u32_e32 vcc, 64, v0
	v_cmp_lt_u32_e64 s[18:19], 63, v0
	s_waitcnt lgkmcnt(0)
	s_barrier
	s_waitcnt lgkmcnt(0)
                                        ; implicit-def: $vgpr12
	s_and_saveexec_b64 s[40:41], s[18:19]
	s_cbranch_execz .LBB3546_45
; %bb.44:
	v_lshl_add_u32 v3, v58, 2, -4
	ds_read_b32 v12, v3
	s_waitcnt lgkmcnt(0)
	v_add_u32_e32 v2, v12, v2
.LBB3546_45:
	s_or_b64 exec, exec, s[40:41]
	v_add_u32_e32 v3, -1, v57
	v_and_b32_e32 v4, 64, v57
	v_cmp_lt_i32_e64 s[18:19], v3, v4
	s_nop 1
	v_cndmask_b32_e64 v3, v3, v57, s[18:19]
	v_lshlrev_b32_e32 v3, 2, v3
	ds_bpermute_b32 v13, v3, v2
	v_cmp_eq_u32_e64 s[18:19], 0, v57
	s_and_saveexec_b64 s[40:41], vcc
	s_cbranch_execz .LBB3546_68
; %bb.46:
	v_mov_b32_e32 v11, 0
	ds_read_b32 v2, v11 offset:28
	s_and_saveexec_b64 s[42:43], s[18:19]
	s_cbranch_execz .LBB3546_48
; %bb.47:
	s_add_i32 s44, s2, 64
	s_mov_b32 s45, 0
	s_lshl_b64 s[44:45], s[44:45], 3
	s_add_u32 s44, s38, s44
	v_mov_b32_e32 v3, 1
	s_addc_u32 s45, s39, s45
	s_waitcnt lgkmcnt(0)
	global_store_dwordx2 v11, v[2:3], s[44:45] sc1
.LBB3546_48:
	s_or_b64 exec, exec, s[42:43]
	v_xad_u32 v4, v57, -1, s2
	v_add_u32_e32 v10, 64, v4
	v_lshl_add_u64 v[6:7], v[10:11], 3, s[38:39]
	global_load_dwordx2 v[8:9], v[6:7], off sc1
	s_waitcnt vmcnt(0)
	v_cmp_eq_u16_sdwa s[44:45], v9, v11 src0_sel:BYTE_0 src1_sel:DWORD
	s_and_saveexec_b64 s[42:43], s[44:45]
	s_cbranch_execz .LBB3546_54
; %bb.49:
	s_mov_b32 s3, 1
	s_mov_b64 s[44:45], 0
	v_mov_b32_e32 v3, 0
.LBB3546_50:                            ; =>This Loop Header: Depth=1
                                        ;     Child Loop BB3546_51 Depth 2
	s_max_u32 s35, s3, 1
.LBB3546_51:                            ;   Parent Loop BB3546_50 Depth=1
                                        ; =>  This Inner Loop Header: Depth=2
	s_add_i32 s35, s35, -1
	s_cmp_eq_u32 s35, 0
	s_sleep 1
	s_cbranch_scc0 .LBB3546_51
; %bb.52:                               ;   in Loop: Header=BB3546_50 Depth=1
	global_load_dwordx2 v[8:9], v[6:7], off sc1
	s_cmp_lt_u32 s3, 32
	s_cselect_b64 s[46:47], -1, 0
	s_cmp_lg_u64 s[46:47], 0
	s_addc_u32 s3, s3, 0
	s_waitcnt vmcnt(0)
	v_cmp_ne_u16_sdwa s[46:47], v9, v3 src0_sel:BYTE_0 src1_sel:DWORD
	s_or_b64 s[44:45], s[46:47], s[44:45]
	s_andn2_b64 exec, exec, s[44:45]
	s_cbranch_execnz .LBB3546_50
; %bb.53:
	s_or_b64 exec, exec, s[44:45]
.LBB3546_54:
	s_or_b64 exec, exec, s[42:43]
	v_and_b32_e32 v15, 63, v57
	v_mov_b32_e32 v14, 2
	v_cmp_ne_u32_e32 vcc, 63, v15
	v_cmp_eq_u16_sdwa s[42:43], v9, v14 src0_sel:BYTE_0 src1_sel:DWORD
	v_lshlrev_b64 v[6:7], v57, -1
	v_addc_co_u32_e32 v10, vcc, 0, v57, vcc
	v_and_b32_e32 v3, s43, v7
	v_lshlrev_b32_e32 v16, 2, v10
	v_or_b32_e32 v3, 0x80000000, v3
	ds_bpermute_b32 v10, v16, v8
	v_and_b32_e32 v5, s42, v6
	v_ffbl_b32_e32 v3, v3
	v_add_u32_e32 v3, 32, v3
	v_ffbl_b32_e32 v5, v5
	v_min_u32_e32 v3, v5, v3
	v_cmp_lt_u32_e32 vcc, v15, v3
	v_add_u32_e32 v18, 2, v15
	v_add_u32_e32 v52, 4, v15
	s_waitcnt lgkmcnt(0)
	v_cndmask_b32_e32 v5, 0, v10, vcc
	v_cmp_gt_u32_e32 vcc, 62, v15
	v_add_u32_e32 v5, v5, v8
	v_add_u32_e32 v61, 8, v15
	v_cndmask_b32_e64 v8, 0, 1, vcc
	v_lshlrev_b32_e32 v8, 1, v8
	v_add_lshl_u32 v17, v8, v57, 2
	ds_bpermute_b32 v8, v17, v5
	v_cmp_le_u32_e32 vcc, v18, v3
	v_add_u32_e32 v63, 16, v15
	v_add_u32_e32 v65, 32, v15
	s_waitcnt lgkmcnt(0)
	v_cndmask_b32_e32 v8, 0, v8, vcc
	v_cmp_gt_u32_e32 vcc, 60, v15
	v_add_u32_e32 v5, v5, v8
	s_nop 0
	v_cndmask_b32_e64 v8, 0, 1, vcc
	v_lshlrev_b32_e32 v8, 2, v8
	v_add_lshl_u32 v19, v8, v57, 2
	ds_bpermute_b32 v8, v19, v5
	v_cmp_le_u32_e32 vcc, v52, v3
	s_waitcnt lgkmcnt(0)
	s_nop 0
	v_cndmask_b32_e32 v8, 0, v8, vcc
	v_cmp_gt_u32_e32 vcc, 56, v15
	v_add_u32_e32 v5, v5, v8
	s_nop 0
	v_cndmask_b32_e64 v8, 0, 1, vcc
	v_lshlrev_b32_e32 v8, 3, v8
	v_add_lshl_u32 v60, v8, v57, 2
	ds_bpermute_b32 v8, v60, v5
	v_cmp_le_u32_e32 vcc, v61, v3
	s_waitcnt lgkmcnt(0)
	s_nop 0
	;; [unrolled: 11-line block ×4, first 2 shown]
	v_cndmask_b32_e32 v3, 0, v8, vcc
	v_add_u32_e32 v8, v5, v3
	v_mov_b32_e32 v5, 0
	s_branch .LBB3546_56
.LBB3546_55:                            ;   in Loop: Header=BB3546_56 Depth=1
	s_or_b64 exec, exec, s[42:43]
	v_cmp_eq_u16_sdwa s[42:43], v9, v14 src0_sel:BYTE_0 src1_sel:DWORD
	ds_bpermute_b32 v66, v16, v8
	v_subrev_u32_e32 v4, 64, v4
	v_and_b32_e32 v10, s43, v7
	v_or_b32_e32 v10, 0x80000000, v10
	v_and_b32_e32 v11, s42, v6
	v_ffbl_b32_e32 v10, v10
	v_add_u32_e32 v10, 32, v10
	v_ffbl_b32_e32 v11, v11
	v_min_u32_e32 v10, v11, v10
	v_cmp_lt_u32_e32 vcc, v15, v10
	s_waitcnt lgkmcnt(0)
	s_nop 0
	v_cndmask_b32_e32 v11, 0, v66, vcc
	v_add_u32_e32 v8, v11, v8
	ds_bpermute_b32 v11, v17, v8
	v_cmp_le_u32_e32 vcc, v18, v10
	s_waitcnt lgkmcnt(0)
	s_nop 0
	v_cndmask_b32_e32 v11, 0, v11, vcc
	v_add_u32_e32 v8, v8, v11
	ds_bpermute_b32 v11, v19, v8
	v_cmp_le_u32_e32 vcc, v52, v10
	;; [unrolled: 6-line block ×5, first 2 shown]
	s_waitcnt lgkmcnt(0)
	s_nop 0
	v_cndmask_b32_e32 v10, 0, v11, vcc
	v_add3_u32 v8, v10, v3, v8
.LBB3546_56:                            ; =>This Loop Header: Depth=1
                                        ;     Child Loop BB3546_59 Depth 2
                                        ;       Child Loop BB3546_60 Depth 3
	v_cmp_ne_u16_sdwa s[42:43], v9, v14 src0_sel:BYTE_0 src1_sel:DWORD
	s_nop 1
	v_cndmask_b32_e64 v3, 0, 1, s[42:43]
	;;#ASMSTART
	;;#ASMEND
	s_nop 0
	v_cmp_ne_u32_e32 vcc, 0, v3
	s_cmp_lg_u64 vcc, exec
	v_mov_b32_e32 v3, v8
	s_cbranch_scc1 .LBB3546_63
; %bb.57:                               ;   in Loop: Header=BB3546_56 Depth=1
	v_lshl_add_u64 v[10:11], v[4:5], 3, s[38:39]
	global_load_dwordx2 v[8:9], v[10:11], off sc1
	s_waitcnt vmcnt(0)
	v_cmp_eq_u16_sdwa s[44:45], v9, v5 src0_sel:BYTE_0 src1_sel:DWORD
	s_and_saveexec_b64 s[42:43], s[44:45]
	s_cbranch_execz .LBB3546_55
; %bb.58:                               ;   in Loop: Header=BB3546_56 Depth=1
	s_mov_b32 s3, 1
	s_mov_b64 s[44:45], 0
.LBB3546_59:                            ;   Parent Loop BB3546_56 Depth=1
                                        ; =>  This Loop Header: Depth=2
                                        ;       Child Loop BB3546_60 Depth 3
	s_max_u32 s35, s3, 1
.LBB3546_60:                            ;   Parent Loop BB3546_56 Depth=1
                                        ;     Parent Loop BB3546_59 Depth=2
                                        ; =>    This Inner Loop Header: Depth=3
	s_add_i32 s35, s35, -1
	s_cmp_eq_u32 s35, 0
	s_sleep 1
	s_cbranch_scc0 .LBB3546_60
; %bb.61:                               ;   in Loop: Header=BB3546_59 Depth=2
	global_load_dwordx2 v[8:9], v[10:11], off sc1
	s_cmp_lt_u32 s3, 32
	s_cselect_b64 s[46:47], -1, 0
	s_cmp_lg_u64 s[46:47], 0
	s_addc_u32 s3, s3, 0
	s_waitcnt vmcnt(0)
	v_cmp_ne_u16_sdwa s[46:47], v9, v5 src0_sel:BYTE_0 src1_sel:DWORD
	s_or_b64 s[44:45], s[46:47], s[44:45]
	s_andn2_b64 exec, exec, s[44:45]
	s_cbranch_execnz .LBB3546_59
; %bb.62:                               ;   in Loop: Header=BB3546_56 Depth=1
	s_or_b64 exec, exec, s[44:45]
	s_branch .LBB3546_55
.LBB3546_63:                            ;   in Loop: Header=BB3546_56 Depth=1
                                        ; implicit-def: $vgpr8
                                        ; implicit-def: $vgpr9
	s_cbranch_execz .LBB3546_56
; %bb.64:
	s_and_saveexec_b64 s[42:43], s[18:19]
	s_cbranch_execz .LBB3546_66
; %bb.65:
	s_add_i32 s2, s2, 64
	s_mov_b32 s3, 0
	s_lshl_b64 s[2:3], s[2:3], 3
	s_add_u32 s2, s38, s2
	v_add_u32_e32 v4, v3, v2
	v_mov_b32_e32 v5, 2
	s_addc_u32 s3, s39, s3
	v_mov_b32_e32 v6, 0
	global_store_dwordx2 v6, v[4:5], s[2:3] sc1
	ds_write_b64 v6, v[2:3] offset:30720
.LBB3546_66:
	s_or_b64 exec, exec, s[42:43]
	v_cmp_eq_u32_e32 vcc, 0, v0
	s_and_b64 exec, exec, vcc
	s_cbranch_execz .LBB3546_68
; %bb.67:
	v_mov_b32_e32 v2, 0
	ds_write_b32 v2, v3 offset:28
.LBB3546_68:
	s_or_b64 exec, exec, s[40:41]
	v_mov_b32_e32 v14, 0
	s_waitcnt lgkmcnt(0)
	s_barrier
	ds_read_b32 v2, v14 offset:28
	v_cndmask_b32_e64 v3, v13, v12, s[18:19]
	v_cmp_ne_u32_e32 vcc, 0, v0
	s_waitcnt lgkmcnt(0)
	s_barrier
	v_cndmask_b32_e32 v3, 0, v3, vcc
	v_add_u32_e32 v2, v2, v3
	v_add_u32_e32 v3, v2, v45
	;; [unrolled: 1-line block ×10, first 2 shown]
	ds_read_b64 v[18:19], v14 offset:30720
	v_add_u32_e32 v12, v11, v53
	v_add_u32_e32 v13, v12, v54
	;; [unrolled: 1-line block ×5, first 2 shown]
	s_waitcnt lgkmcnt(0)
	v_mov_b32_e32 v52, v19
	s_load_dwordx2 s[2:3], s[0:1], 0x28
	s_branch .LBB3546_79
.LBB3546_69:
                                        ; implicit-def: $vgpr52
                                        ; implicit-def: $vgpr18
                                        ; implicit-def: $vgpr2_vgpr3_vgpr4_vgpr5_vgpr6_vgpr7_vgpr8_vgpr9_vgpr10_vgpr11_vgpr12_vgpr13_vgpr14_vgpr15_vgpr16_vgpr17
	s_load_dwordx2 s[2:3], s[0:1], 0x28
	s_cbranch_execz .LBB3546_79
; %bb.70:
	v_mov_b32_dpp v2, v59 row_shr:1 row_mask:0xf bank_mask:0xf
	v_cndmask_b32_e64 v2, v2, 0, s[16:17]
	v_add_u32_e32 v2, v2, v59
	s_nop 1
	v_mov_b32_dpp v3, v2 row_shr:2 row_mask:0xf bank_mask:0xf
	v_cndmask_b32_e64 v3, 0, v3, s[14:15]
	v_add_u32_e32 v2, v2, v3
	s_nop 1
	;; [unrolled: 4-line block ×4, first 2 shown]
	v_mov_b32_dpp v3, v2 row_bcast:15 row_mask:0xf bank_mask:0xf
	v_cndmask_b32_e64 v3, v3, 0, s[8:9]
	v_add_u32_e32 v2, v2, v3
	s_nop 1
	v_mov_b32_dpp v3, v2 row_bcast:31 row_mask:0xf bank_mask:0xf
	v_cndmask_b32_e64 v3, 0, v3, s[4:5]
	v_add_u32_e32 v2, v2, v3
	s_and_saveexec_b64 s[0:1], s[6:7]
	s_cbranch_execz .LBB3546_72
; %bb.71:
	v_lshlrev_b32_e32 v3, 2, v58
	ds_write_b32 v3, v2
.LBB3546_72:
	s_or_b64 exec, exec, s[0:1]
	v_cmp_gt_u32_e32 vcc, 8, v0
	s_waitcnt lgkmcnt(0)
	s_barrier
	s_and_saveexec_b64 s[0:1], vcc
	s_cbranch_execz .LBB3546_74
; %bb.73:
	s_movk_i32 s4, 0xffc8
	v_mad_i32_i24 v3, v0, s4, v40
	ds_read_b32 v4, v3
	v_and_b32_e32 v5, 7, v57
	v_cmp_ne_u32_e32 vcc, 0, v5
	s_waitcnt lgkmcnt(0)
	v_mov_b32_dpp v6, v4 row_shr:1 row_mask:0xf bank_mask:0xf
	v_cndmask_b32_e32 v6, 0, v6, vcc
	v_add_u32_e32 v4, v6, v4
	v_cmp_lt_u32_e32 vcc, 1, v5
	s_nop 0
	v_mov_b32_dpp v6, v4 row_shr:2 row_mask:0xf bank_mask:0xf
	v_cndmask_b32_e32 v6, 0, v6, vcc
	v_add_u32_e32 v4, v4, v6
	v_cmp_lt_u32_e32 vcc, 3, v5
	s_nop 0
	v_mov_b32_dpp v6, v4 row_shr:4 row_mask:0xf bank_mask:0xf
	v_cndmask_b32_e32 v5, 0, v6, vcc
	v_add_u32_e32 v4, v4, v5
	ds_write_b32 v3, v4
.LBB3546_74:
	s_or_b64 exec, exec, s[0:1]
	v_cmp_lt_u32_e32 vcc, 63, v0
	v_mov_b32_e32 v4, 0
	v_mov_b32_e32 v3, 0
	s_waitcnt lgkmcnt(0)
	s_barrier
	s_and_saveexec_b64 s[0:1], vcc
	s_cbranch_execz .LBB3546_76
; %bb.75:
	v_lshl_add_u32 v3, v58, 2, -4
	ds_read_b32 v3, v3
.LBB3546_76:
	s_or_b64 exec, exec, s[0:1]
	v_add_u32_e32 v5, -1, v57
	v_and_b32_e32 v6, 64, v57
	v_cmp_lt_i32_e32 vcc, v5, v6
	s_waitcnt lgkmcnt(0)
	v_add_u32_e32 v2, v3, v2
	ds_read_b32 v18, v4 offset:28
	v_cndmask_b32_e32 v5, v5, v57, vcc
	v_lshlrev_b32_e32 v5, 2, v5
	ds_bpermute_b32 v2, v5, v2
	v_cmp_eq_u32_e32 vcc, 0, v0
	s_and_saveexec_b64 s[0:1], vcc
	s_cbranch_execz .LBB3546_78
; %bb.77:
	v_mov_b32_e32 v4, 0
	v_mov_b32_e32 v19, 2
	s_waitcnt lgkmcnt(1)
	global_store_dwordx2 v4, v[18:19], s[38:39] offset:512 sc1
.LBB3546_78:
	s_or_b64 exec, exec, s[0:1]
	v_cmp_eq_u32_e64 s[0:1], 0, v57
	v_mov_b32_e32 v52, 0
	s_waitcnt lgkmcnt(0)
	v_cndmask_b32_e64 v2, v2, v3, s[0:1]
	v_cndmask_b32_e64 v2, v2, 0, vcc
	v_add_u32_e32 v3, v2, v45
	v_add_u32_e32 v4, v3, v46
	;; [unrolled: 1-line block ×14, first 2 shown]
	s_barrier
.LBB3546_79:
	v_add_u32_e32 v21, v18, v21
	v_sub_u32_e32 v2, v2, v52
	v_and_b32_e32 v46, 1, v41
	v_sub_u32_e32 v45, v21, v2
	v_cmp_eq_u32_e32 vcc, 1, v46
	v_lshrrev_b32_e32 v40, 8, v41
	v_lshrrev_b32_e32 v19, 8, v39
	v_cndmask_b32_e32 v2, v45, v2, vcc
	v_lshlrev_b32_e32 v2, 2, v2
	ds_write_b32 v2, v34
	v_sub_u32_e32 v2, v3, v52
	v_sub_u32_e32 v3, v21, v2
	v_and_b32_e32 v34, 1, v40
	v_add_u32_e32 v3, 1, v3
	v_cmp_eq_u32_e32 vcc, 1, v34
	v_lshrrev_b32_e32 v17, 8, v38
	s_add_u32 s0, s22, s34
	v_cndmask_b32_e32 v2, v3, v2, vcc
	v_lshlrev_b32_e32 v2, 2, v2
	ds_write_b32 v2, v35
	v_sub_u32_e32 v2, v4, v52
	v_mov_b32_e32 v4, 1
	v_sub_u32_e32 v3, v21, v2
	v_and_b32_sdwa v34, v4, v41 dst_sel:DWORD dst_unused:UNUSED_PAD src0_sel:DWORD src1_sel:WORD_1
	v_add_u32_e32 v3, 2, v3
	v_cmp_eq_u32_e32 vcc, 1, v34
	s_addc_u32 s1, s23, 0
	s_sub_u32 s0, s28, s0
	v_cndmask_b32_e32 v2, v3, v2, vcc
	v_lshlrev_b32_e32 v2, 2, v2
	ds_write_b32 v2, v32
	v_sub_u32_e32 v2, v5, v52
	v_sub_u32_e32 v3, v21, v2
	v_and_b32_e32 v5, 1, v44
	v_add_u32_e32 v3, 3, v3
	v_cmp_eq_u32_e32 vcc, 1, v5
	v_and_b32_e32 v5, 1, v39
	s_subb_u32 s1, s29, s1
	v_cndmask_b32_e32 v2, v3, v2, vcc
	v_lshlrev_b32_e32 v2, 2, v2
	ds_write_b32 v2, v33
	v_sub_u32_e32 v2, v6, v52
	v_sub_u32_e32 v3, v21, v2
	v_add_u32_e32 v3, 4, v3
	v_cmp_eq_u32_e32 vcc, 1, v5
	v_and_b32_e32 v5, 1, v19
	v_or_b32_e32 v50, 0x200, v0
	v_cndmask_b32_e32 v2, v3, v2, vcc
	v_lshlrev_b32_e32 v2, 2, v2
	ds_write_b32 v2, v30
	v_sub_u32_e32 v2, v7, v52
	v_sub_u32_e32 v3, v21, v2
	v_add_u32_e32 v3, 5, v3
	v_cmp_eq_u32_e32 vcc, 1, v5
	v_and_b32_sdwa v5, v4, v39 dst_sel:DWORD dst_unused:UNUSED_PAD src0_sel:DWORD src1_sel:WORD_1
	v_and_b32_sdwa v4, v4, v38 dst_sel:DWORD dst_unused:UNUSED_PAD src0_sel:DWORD src1_sel:WORD_1
	v_cndmask_b32_e32 v2, v3, v2, vcc
	v_lshlrev_b32_e32 v2, 2, v2
	ds_write_b32 v2, v31
	v_sub_u32_e32 v2, v8, v52
	v_sub_u32_e32 v3, v21, v2
	v_add_u32_e32 v3, 6, v3
	v_cmp_eq_u32_e32 vcc, 1, v5
	v_and_b32_e32 v5, 1, v43
	v_or_b32_e32 v46, 0x400, v0
	v_cndmask_b32_e32 v2, v3, v2, vcc
	v_lshlrev_b32_e32 v2, 2, v2
	ds_write_b32 v2, v28
	v_sub_u32_e32 v2, v9, v52
	v_sub_u32_e32 v3, v21, v2
	v_add_u32_e32 v3, 7, v3
	v_cmp_eq_u32_e32 vcc, 1, v5
	v_and_b32_e32 v5, 1, v38
	v_or_b32_e32 v44, 0x600, v0
	;; [unrolled: 9-line block ×3, first 2 shown]
	v_cndmask_b32_e32 v2, v3, v2, vcc
	v_lshlrev_b32_e32 v2, 2, v2
	ds_write_b32 v2, v26
	v_sub_u32_e32 v2, v11, v52
	v_sub_u32_e32 v3, v21, v2
	v_add_u32_e32 v3, 9, v3
	v_cmp_eq_u32_e32 vcc, 1, v5
	v_or_b32_e32 v38, 0xa00, v0
	v_or_b32_e32 v34, 0xc00, v0
	v_cndmask_b32_e32 v2, v3, v2, vcc
	v_lshlrev_b32_e32 v2, 2, v2
	ds_write_b32 v2, v27
	v_sub_u32_e32 v2, v12, v52
	v_sub_u32_e32 v3, v21, v2
	v_add_u32_e32 v3, 10, v3
	v_cmp_eq_u32_e32 vcc, 1, v4
	v_and_b32_e32 v4, 1, v42
	v_or_b32_e32 v32, 0xe00, v0
	v_cndmask_b32_e32 v2, v3, v2, vcc
	v_lshlrev_b32_e32 v2, 2, v2
	ds_write_b32 v2, v24
	v_sub_u32_e32 v2, v13, v52
	v_sub_u32_e32 v3, v21, v2
	v_add_u32_e32 v3, 11, v3
	v_cmp_eq_u32_e32 vcc, 1, v4
	v_and_b32_e32 v4, 1, v37
	v_or_b32_e32 v28, 0x1000, v0
	v_cndmask_b32_e32 v2, v3, v2, vcc
	v_lshlrev_b32_e32 v2, 2, v2
	ds_write_b32 v2, v25
	v_sub_u32_e32 v2, v14, v52
	v_sub_u32_e32 v3, v21, v2
	v_add_u32_e32 v3, 12, v3
	v_cmp_eq_u32_e32 vcc, 1, v4
	v_and_b32_e32 v4, 1, v36
	v_or_b32_e32 v26, 0x1200, v0
	v_cndmask_b32_e32 v2, v3, v2, vcc
	v_lshlrev_b32_e32 v2, 2, v2
	ds_write_b32 v2, v22
	v_sub_u32_e32 v2, v15, v52
	v_sub_u32_e32 v3, v21, v2
	v_add_u32_e32 v3, 13, v3
	v_cmp_eq_u32_e32 vcc, 1, v4
	v_or_b32_e32 v22, 0x1400, v0
	v_or_b32_e32 v12, 0x1800, v0
	v_cndmask_b32_e32 v2, v3, v2, vcc
	v_lshlrev_b32_e32 v2, 2, v2
	ds_write_b32 v2, v23
	v_sub_u32_e32 v2, v16, v52
	v_sub_u32_e32 v3, v21, v2
	v_add_u32_e32 v3, 14, v3
	v_cndmask_b32_e64 v2, v3, v2, s[36:37]
	v_lshlrev_b32_e32 v2, 2, v2
	ds_write_b32 v2, v1
	s_waitcnt lgkmcnt(0)
	s_barrier
	ds_read2st64_b32 v[48:49], v20 offset1:8
	ds_read2st64_b32 v[42:43], v20 offset0:16 offset1:24
	ds_read2st64_b32 v[36:37], v20 offset0:32 offset1:40
	;; [unrolled: 1-line block ×6, first 2 shown]
	ds_read_b32 v54, v20 offset:28672
	v_mov_b32_e32 v1, 0
	v_mov_b32_e32 v53, v1
	;; [unrolled: 1-line block ×3, first 2 shown]
	v_lshl_add_u64 v[2:3], s[30:31], 0, v[52:53]
	v_lshl_add_u64 v[6:7], s[0:1], 0, v[18:19]
	v_mov_b32_e32 v51, v1
	v_mov_b32_e32 v47, v1
	;; [unrolled: 1-line block ×10, first 2 shown]
	v_or_b32_e32 v16, 0x1600, v0
	v_mov_b32_e32 v17, v1
	v_mov_b32_e32 v13, v1
	v_or_b32_e32 v10, 0x1a00, v0
	v_mov_b32_e32 v11, v1
	v_or_b32_e32 v4, 0x1c00, v0
	v_mov_b32_e32 v5, v1
	s_and_b64 vcc, exec, s[20:21]
	v_lshl_add_u64 v[6:7], v[6:7], 0, v[2:3]
	s_cbranch_vccnz .LBB3546_141
; %bb.80:
	v_cmp_ge_u32_e32 vcc, v0, v18
                                        ; implicit-def: $vgpr20_vgpr21
	s_and_saveexec_b64 s[0:1], vcc
	s_xor_b64 s[0:1], exec, s[0:1]
; %bb.81:
	v_not_b32_e32 v20, v0
	v_ashrrev_i32_e32 v21, 31, v20
	v_lshl_add_u64 v[20:21], v[6:7], 0, v[20:21]
; %bb.82:
	s_andn2_saveexec_b64 s[0:1], s[0:1]
; %bb.83:
	v_lshl_add_u64 v[20:21], v[2:3], 0, v[0:1]
; %bb.84:
	s_or_b64 exec, exec, s[0:1]
	v_lshl_add_u64 v[20:21], v[20:21], 2, s[2:3]
	v_cmp_ge_u32_e32 vcc, v50, v18
	s_waitcnt lgkmcnt(7)
	global_store_dword v[20:21], v48, off
                                        ; implicit-def: $vgpr20_vgpr21
	s_and_saveexec_b64 s[0:1], vcc
	s_xor_b64 s[0:1], exec, s[0:1]
; %bb.85:
	v_xor_b32_e32 v20, 0xfffffdff, v0
	v_ashrrev_i32_e32 v21, 31, v20
	v_lshl_add_u64 v[20:21], v[6:7], 0, v[20:21]
; %bb.86:
	s_andn2_saveexec_b64 s[0:1], s[0:1]
; %bb.87:
	v_lshl_add_u64 v[20:21], v[2:3], 0, v[50:51]
; %bb.88:
	s_or_b64 exec, exec, s[0:1]
	v_lshl_add_u64 v[20:21], v[20:21], 2, s[2:3]
	v_cmp_ge_u32_e32 vcc, v46, v18
	global_store_dword v[20:21], v49, off
                                        ; implicit-def: $vgpr20_vgpr21
	s_and_saveexec_b64 s[0:1], vcc
	s_xor_b64 s[0:1], exec, s[0:1]
; %bb.89:
	v_xor_b32_e32 v20, 0xfffffbff, v0
	v_ashrrev_i32_e32 v21, 31, v20
	v_lshl_add_u64 v[20:21], v[6:7], 0, v[20:21]
; %bb.90:
	s_andn2_saveexec_b64 s[0:1], s[0:1]
; %bb.91:
	v_lshl_add_u64 v[20:21], v[2:3], 0, v[46:47]
; %bb.92:
	s_or_b64 exec, exec, s[0:1]
	v_lshl_add_u64 v[20:21], v[20:21], 2, s[2:3]
	v_cmp_ge_u32_e32 vcc, v44, v18
	s_waitcnt lgkmcnt(6)
	global_store_dword v[20:21], v42, off
                                        ; implicit-def: $vgpr20_vgpr21
	s_and_saveexec_b64 s[0:1], vcc
	s_xor_b64 s[0:1], exec, s[0:1]
; %bb.93:
	v_xor_b32_e32 v20, 0xfffff9ff, v0
	v_ashrrev_i32_e32 v21, 31, v20
	v_lshl_add_u64 v[20:21], v[6:7], 0, v[20:21]
; %bb.94:
	s_andn2_saveexec_b64 s[0:1], s[0:1]
; %bb.95:
	v_lshl_add_u64 v[20:21], v[2:3], 0, v[44:45]
; %bb.96:
	s_or_b64 exec, exec, s[0:1]
	v_lshl_add_u64 v[20:21], v[20:21], 2, s[2:3]
	v_cmp_ge_u32_e32 vcc, v40, v18
	global_store_dword v[20:21], v43, off
                                        ; implicit-def: $vgpr20_vgpr21
	s_and_saveexec_b64 s[0:1], vcc
	s_xor_b64 s[0:1], exec, s[0:1]
; %bb.97:
	v_xor_b32_e32 v20, 0xfffff7ff, v0
	v_ashrrev_i32_e32 v21, 31, v20
	v_lshl_add_u64 v[20:21], v[6:7], 0, v[20:21]
; %bb.98:
	s_andn2_saveexec_b64 s[0:1], s[0:1]
; %bb.99:
	v_lshl_add_u64 v[20:21], v[2:3], 0, v[40:41]
; %bb.100:
	s_or_b64 exec, exec, s[0:1]
	v_lshl_add_u64 v[20:21], v[20:21], 2, s[2:3]
	v_cmp_ge_u32_e32 vcc, v38, v18
	s_waitcnt lgkmcnt(5)
	global_store_dword v[20:21], v36, off
                                        ; implicit-def: $vgpr20_vgpr21
	s_and_saveexec_b64 s[0:1], vcc
	s_xor_b64 s[0:1], exec, s[0:1]
; %bb.101:
	v_xor_b32_e32 v20, 0xfffff5ff, v0
	v_ashrrev_i32_e32 v21, 31, v20
	v_lshl_add_u64 v[20:21], v[6:7], 0, v[20:21]
; %bb.102:
	s_andn2_saveexec_b64 s[0:1], s[0:1]
; %bb.103:
	v_lshl_add_u64 v[20:21], v[2:3], 0, v[38:39]
; %bb.104:
	s_or_b64 exec, exec, s[0:1]
	v_lshl_add_u64 v[20:21], v[20:21], 2, s[2:3]
	v_cmp_ge_u32_e32 vcc, v34, v18
	global_store_dword v[20:21], v37, off
                                        ; implicit-def: $vgpr20_vgpr21
	s_and_saveexec_b64 s[0:1], vcc
	s_xor_b64 s[0:1], exec, s[0:1]
; %bb.105:
	v_xor_b32_e32 v20, 0xfffff3ff, v0
	v_ashrrev_i32_e32 v21, 31, v20
	v_lshl_add_u64 v[20:21], v[6:7], 0, v[20:21]
; %bb.106:
	s_andn2_saveexec_b64 s[0:1], s[0:1]
; %bb.107:
	v_lshl_add_u64 v[20:21], v[2:3], 0, v[34:35]
; %bb.108:
	s_or_b64 exec, exec, s[0:1]
	v_lshl_add_u64 v[20:21], v[20:21], 2, s[2:3]
	v_cmp_ge_u32_e32 vcc, v32, v18
	s_waitcnt lgkmcnt(4)
	global_store_dword v[20:21], v30, off
                                        ; implicit-def: $vgpr20_vgpr21
	s_and_saveexec_b64 s[0:1], vcc
	s_xor_b64 s[0:1], exec, s[0:1]
; %bb.109:
	v_xor_b32_e32 v20, 0xfffff1ff, v0
	v_ashrrev_i32_e32 v21, 31, v20
	v_lshl_add_u64 v[20:21], v[6:7], 0, v[20:21]
; %bb.110:
	s_andn2_saveexec_b64 s[0:1], s[0:1]
; %bb.111:
	v_lshl_add_u64 v[20:21], v[2:3], 0, v[32:33]
; %bb.112:
	s_or_b64 exec, exec, s[0:1]
	v_lshl_add_u64 v[20:21], v[20:21], 2, s[2:3]
	v_cmp_ge_u32_e32 vcc, v28, v18
	global_store_dword v[20:21], v31, off
                                        ; implicit-def: $vgpr20_vgpr21
	s_and_saveexec_b64 s[0:1], vcc
	s_xor_b64 s[0:1], exec, s[0:1]
; %bb.113:
	v_xor_b32_e32 v20, 0xffffefff, v0
	v_ashrrev_i32_e32 v21, 31, v20
	v_lshl_add_u64 v[20:21], v[6:7], 0, v[20:21]
; %bb.114:
	s_andn2_saveexec_b64 s[0:1], s[0:1]
; %bb.115:
	v_lshl_add_u64 v[20:21], v[2:3], 0, v[28:29]
; %bb.116:
	s_or_b64 exec, exec, s[0:1]
	v_lshl_add_u64 v[20:21], v[20:21], 2, s[2:3]
	v_cmp_ge_u32_e32 vcc, v26, v18
	s_waitcnt lgkmcnt(3)
	global_store_dword v[20:21], v24, off
                                        ; implicit-def: $vgpr20_vgpr21
	s_and_saveexec_b64 s[0:1], vcc
	s_xor_b64 s[0:1], exec, s[0:1]
; %bb.117:
	v_xor_b32_e32 v20, 0xffffedff, v0
	v_ashrrev_i32_e32 v21, 31, v20
	v_lshl_add_u64 v[20:21], v[6:7], 0, v[20:21]
; %bb.118:
	s_andn2_saveexec_b64 s[0:1], s[0:1]
; %bb.119:
	v_lshl_add_u64 v[20:21], v[2:3], 0, v[26:27]
; %bb.120:
	s_or_b64 exec, exec, s[0:1]
	v_lshl_add_u64 v[20:21], v[20:21], 2, s[2:3]
	v_cmp_ge_u32_e32 vcc, v22, v18
	global_store_dword v[20:21], v25, off
                                        ; implicit-def: $vgpr20_vgpr21
	s_and_saveexec_b64 s[0:1], vcc
	s_xor_b64 s[0:1], exec, s[0:1]
; %bb.121:
	v_xor_b32_e32 v20, 0xffffebff, v0
	v_ashrrev_i32_e32 v21, 31, v20
	v_lshl_add_u64 v[20:21], v[6:7], 0, v[20:21]
; %bb.122:
	s_andn2_saveexec_b64 s[0:1], s[0:1]
; %bb.123:
	v_lshl_add_u64 v[20:21], v[2:3], 0, v[22:23]
; %bb.124:
	s_or_b64 exec, exec, s[0:1]
	v_lshl_add_u64 v[20:21], v[20:21], 2, s[2:3]
	v_cmp_ge_u32_e32 vcc, v16, v18
	s_waitcnt lgkmcnt(2)
	global_store_dword v[20:21], v14, off
                                        ; implicit-def: $vgpr20_vgpr21
	s_and_saveexec_b64 s[0:1], vcc
	s_xor_b64 s[0:1], exec, s[0:1]
; %bb.125:
	v_xor_b32_e32 v20, 0xffffe9ff, v0
	v_ashrrev_i32_e32 v21, 31, v20
	v_lshl_add_u64 v[20:21], v[6:7], 0, v[20:21]
; %bb.126:
	s_andn2_saveexec_b64 s[0:1], s[0:1]
; %bb.127:
	v_lshl_add_u64 v[20:21], v[2:3], 0, v[16:17]
; %bb.128:
	s_or_b64 exec, exec, s[0:1]
	v_lshl_add_u64 v[20:21], v[20:21], 2, s[2:3]
	v_cmp_ge_u32_e32 vcc, v12, v18
	global_store_dword v[20:21], v15, off
                                        ; implicit-def: $vgpr20_vgpr21
	s_and_saveexec_b64 s[0:1], vcc
	s_xor_b64 s[0:1], exec, s[0:1]
; %bb.129:
	v_xor_b32_e32 v20, 0xffffe7ff, v0
	v_ashrrev_i32_e32 v21, 31, v20
	v_lshl_add_u64 v[20:21], v[6:7], 0, v[20:21]
; %bb.130:
	s_andn2_saveexec_b64 s[0:1], s[0:1]
; %bb.131:
	v_lshl_add_u64 v[20:21], v[2:3], 0, v[12:13]
; %bb.132:
	s_or_b64 exec, exec, s[0:1]
	v_lshl_add_u64 v[20:21], v[20:21], 2, s[2:3]
	v_cmp_ge_u32_e32 vcc, v10, v18
	s_waitcnt lgkmcnt(1)
	global_store_dword v[20:21], v8, off
                                        ; implicit-def: $vgpr20_vgpr21
	s_and_saveexec_b64 s[0:1], vcc
	s_xor_b64 s[0:1], exec, s[0:1]
; %bb.133:
	v_xor_b32_e32 v20, 0xffffe5ff, v0
	v_ashrrev_i32_e32 v21, 31, v20
	v_lshl_add_u64 v[20:21], v[6:7], 0, v[20:21]
; %bb.134:
	s_andn2_saveexec_b64 s[0:1], s[0:1]
; %bb.135:
	v_lshl_add_u64 v[20:21], v[2:3], 0, v[10:11]
; %bb.136:
	s_or_b64 exec, exec, s[0:1]
	v_lshl_add_u64 v[20:21], v[20:21], 2, s[2:3]
	v_cmp_ge_u32_e32 vcc, v4, v18
	global_store_dword v[20:21], v9, off
                                        ; implicit-def: $vgpr20_vgpr21
	s_and_saveexec_b64 s[0:1], vcc
	s_xor_b64 s[0:1], exec, s[0:1]
; %bb.137:
	v_xor_b32_e32 v20, 0xffffe3ff, v0
	v_ashrrev_i32_e32 v21, 31, v20
	v_lshl_add_u64 v[20:21], v[6:7], 0, v[20:21]
; %bb.138:
	s_andn2_saveexec_b64 s[0:1], s[0:1]
; %bb.139:
	v_lshl_add_u64 v[20:21], v[2:3], 0, v[4:5]
; %bb.140:
	s_or_b64 exec, exec, s[0:1]
	s_mov_b64 s[0:1], -1
	s_branch .LBB3546_233
.LBB3546_141:
	s_mov_b64 s[0:1], 0
                                        ; implicit-def: $vgpr20_vgpr21
	s_cbranch_execz .LBB3546_233
; %bb.142:
	v_cmp_gt_u32_e32 vcc, s33, v0
	s_and_saveexec_b64 s[4:5], vcc
	s_cbranch_execz .LBB3546_184
; %bb.143:
	v_cmp_ge_u32_e32 vcc, v0, v18
                                        ; implicit-def: $vgpr20_vgpr21
	s_and_saveexec_b64 s[6:7], vcc
	s_xor_b64 s[6:7], exec, s[6:7]
; %bb.144:
	v_not_b32_e32 v20, v0
	v_ashrrev_i32_e32 v21, 31, v20
	v_lshl_add_u64 v[20:21], v[6:7], 0, v[20:21]
; %bb.145:
	s_andn2_saveexec_b64 s[6:7], s[6:7]
; %bb.146:
	v_lshl_add_u64 v[20:21], v[2:3], 0, v[0:1]
; %bb.147:
	s_or_b64 exec, exec, s[6:7]
	v_lshl_add_u64 v[20:21], v[20:21], 2, s[2:3]
	s_waitcnt lgkmcnt(7)
	global_store_dword v[20:21], v48, off
	s_or_b64 exec, exec, s[4:5]
	v_cmp_gt_u32_e32 vcc, s33, v50
	s_and_saveexec_b64 s[4:5], vcc
	s_cbranch_execnz .LBB3546_185
.LBB3546_148:
	s_or_b64 exec, exec, s[4:5]
	v_cmp_gt_u32_e32 vcc, s33, v46
	s_and_saveexec_b64 s[4:5], vcc
	s_cbranch_execz .LBB3546_190
.LBB3546_149:
	v_cmp_ge_u32_e32 vcc, v46, v18
                                        ; implicit-def: $vgpr20_vgpr21
	s_and_saveexec_b64 s[6:7], vcc
	s_xor_b64 s[6:7], exec, s[6:7]
; %bb.150:
	v_xor_b32_e32 v20, 0xfffffbff, v0
	v_ashrrev_i32_e32 v21, 31, v20
	v_lshl_add_u64 v[20:21], v[6:7], 0, v[20:21]
                                        ; implicit-def: $vgpr46_vgpr47
; %bb.151:
	s_andn2_saveexec_b64 s[6:7], s[6:7]
; %bb.152:
	v_lshl_add_u64 v[20:21], v[2:3], 0, v[46:47]
; %bb.153:
	s_or_b64 exec, exec, s[6:7]
	v_lshl_add_u64 v[20:21], v[20:21], 2, s[2:3]
	s_waitcnt lgkmcnt(6)
	global_store_dword v[20:21], v42, off
	s_or_b64 exec, exec, s[4:5]
	v_cmp_gt_u32_e32 vcc, s33, v44
	s_and_saveexec_b64 s[4:5], vcc
	s_cbranch_execnz .LBB3546_191
.LBB3546_154:
	s_or_b64 exec, exec, s[4:5]
	v_cmp_gt_u32_e32 vcc, s33, v40
	s_and_saveexec_b64 s[4:5], vcc
	s_cbranch_execz .LBB3546_196
.LBB3546_155:
	v_cmp_ge_u32_e32 vcc, v40, v18
                                        ; implicit-def: $vgpr20_vgpr21
	s_and_saveexec_b64 s[6:7], vcc
	s_xor_b64 s[6:7], exec, s[6:7]
; %bb.156:
	v_xor_b32_e32 v20, 0xfffff7ff, v0
	v_ashrrev_i32_e32 v21, 31, v20
	v_lshl_add_u64 v[20:21], v[6:7], 0, v[20:21]
                                        ; implicit-def: $vgpr40_vgpr41
; %bb.157:
	s_andn2_saveexec_b64 s[6:7], s[6:7]
; %bb.158:
	v_lshl_add_u64 v[20:21], v[2:3], 0, v[40:41]
; %bb.159:
	s_or_b64 exec, exec, s[6:7]
	v_lshl_add_u64 v[20:21], v[20:21], 2, s[2:3]
	s_waitcnt lgkmcnt(5)
	global_store_dword v[20:21], v36, off
	s_or_b64 exec, exec, s[4:5]
	v_cmp_gt_u32_e32 vcc, s33, v38
	s_and_saveexec_b64 s[4:5], vcc
	s_cbranch_execnz .LBB3546_197
.LBB3546_160:
	s_or_b64 exec, exec, s[4:5]
	v_cmp_gt_u32_e32 vcc, s33, v34
	s_and_saveexec_b64 s[4:5], vcc
	s_cbranch_execz .LBB3546_202
.LBB3546_161:
	v_cmp_ge_u32_e32 vcc, v34, v18
                                        ; implicit-def: $vgpr20_vgpr21
	s_and_saveexec_b64 s[6:7], vcc
	s_xor_b64 s[6:7], exec, s[6:7]
; %bb.162:
	v_xor_b32_e32 v20, 0xfffff3ff, v0
	v_ashrrev_i32_e32 v21, 31, v20
	v_lshl_add_u64 v[20:21], v[6:7], 0, v[20:21]
                                        ; implicit-def: $vgpr34_vgpr35
; %bb.163:
	s_andn2_saveexec_b64 s[6:7], s[6:7]
; %bb.164:
	v_lshl_add_u64 v[20:21], v[2:3], 0, v[34:35]
; %bb.165:
	s_or_b64 exec, exec, s[6:7]
	v_lshl_add_u64 v[20:21], v[20:21], 2, s[2:3]
	s_waitcnt lgkmcnt(4)
	global_store_dword v[20:21], v30, off
	s_or_b64 exec, exec, s[4:5]
	v_cmp_gt_u32_e32 vcc, s33, v32
	s_and_saveexec_b64 s[4:5], vcc
	s_cbranch_execnz .LBB3546_203
.LBB3546_166:
	s_or_b64 exec, exec, s[4:5]
	v_cmp_gt_u32_e32 vcc, s33, v28
	s_and_saveexec_b64 s[4:5], vcc
	s_cbranch_execz .LBB3546_208
.LBB3546_167:
	v_cmp_ge_u32_e32 vcc, v28, v18
                                        ; implicit-def: $vgpr20_vgpr21
	s_and_saveexec_b64 s[6:7], vcc
	s_xor_b64 s[6:7], exec, s[6:7]
; %bb.168:
	v_xor_b32_e32 v20, 0xffffefff, v0
	v_ashrrev_i32_e32 v21, 31, v20
	v_lshl_add_u64 v[20:21], v[6:7], 0, v[20:21]
                                        ; implicit-def: $vgpr28_vgpr29
; %bb.169:
	s_andn2_saveexec_b64 s[6:7], s[6:7]
; %bb.170:
	v_lshl_add_u64 v[20:21], v[2:3], 0, v[28:29]
; %bb.171:
	s_or_b64 exec, exec, s[6:7]
	v_lshl_add_u64 v[20:21], v[20:21], 2, s[2:3]
	s_waitcnt lgkmcnt(3)
	global_store_dword v[20:21], v24, off
	s_or_b64 exec, exec, s[4:5]
	v_cmp_gt_u32_e32 vcc, s33, v26
	s_and_saveexec_b64 s[4:5], vcc
	s_cbranch_execnz .LBB3546_209
.LBB3546_172:
	s_or_b64 exec, exec, s[4:5]
	v_cmp_gt_u32_e32 vcc, s33, v22
	s_and_saveexec_b64 s[4:5], vcc
	s_cbranch_execz .LBB3546_214
.LBB3546_173:
	v_cmp_ge_u32_e32 vcc, v22, v18
                                        ; implicit-def: $vgpr20_vgpr21
	s_and_saveexec_b64 s[6:7], vcc
	s_xor_b64 s[6:7], exec, s[6:7]
; %bb.174:
	v_xor_b32_e32 v20, 0xffffebff, v0
	v_ashrrev_i32_e32 v21, 31, v20
	v_lshl_add_u64 v[20:21], v[6:7], 0, v[20:21]
                                        ; implicit-def: $vgpr22_vgpr23
; %bb.175:
	s_andn2_saveexec_b64 s[6:7], s[6:7]
; %bb.176:
	v_lshl_add_u64 v[20:21], v[2:3], 0, v[22:23]
; %bb.177:
	s_or_b64 exec, exec, s[6:7]
	v_lshl_add_u64 v[20:21], v[20:21], 2, s[2:3]
	s_waitcnt lgkmcnt(2)
	global_store_dword v[20:21], v14, off
	s_or_b64 exec, exec, s[4:5]
	v_cmp_gt_u32_e32 vcc, s33, v16
	s_and_saveexec_b64 s[4:5], vcc
	s_cbranch_execnz .LBB3546_215
.LBB3546_178:
	s_or_b64 exec, exec, s[4:5]
	v_cmp_gt_u32_e32 vcc, s33, v12
	s_and_saveexec_b64 s[4:5], vcc
	s_cbranch_execz .LBB3546_220
.LBB3546_179:
	v_cmp_ge_u32_e32 vcc, v12, v18
                                        ; implicit-def: $vgpr14_vgpr15
	s_and_saveexec_b64 s[6:7], vcc
	s_xor_b64 s[6:7], exec, s[6:7]
	s_cbranch_execz .LBB3546_181
; %bb.180:
	v_xor_b32_e32 v12, 0xffffe7ff, v0
	v_ashrrev_i32_e32 v13, 31, v12
	s_waitcnt lgkmcnt(2)
	v_lshl_add_u64 v[14:15], v[6:7], 0, v[12:13]
                                        ; implicit-def: $vgpr12_vgpr13
.LBB3546_181:
	s_andn2_saveexec_b64 s[6:7], s[6:7]
	s_cbranch_execz .LBB3546_183
; %bb.182:
	s_waitcnt lgkmcnt(2)
	v_lshl_add_u64 v[14:15], v[2:3], 0, v[12:13]
.LBB3546_183:
	s_or_b64 exec, exec, s[6:7]
	s_waitcnt lgkmcnt(2)
	v_lshl_add_u64 v[12:13], v[14:15], 2, s[2:3]
	s_waitcnt lgkmcnt(1)
	global_store_dword v[12:13], v8, off
	s_or_b64 exec, exec, s[4:5]
	v_cmp_gt_u32_e32 vcc, s33, v10
	s_and_saveexec_b64 s[4:5], vcc
	s_cbranch_execz .LBB3546_226
	s_branch .LBB3546_221
.LBB3546_184:
	s_or_b64 exec, exec, s[4:5]
	v_cmp_gt_u32_e32 vcc, s33, v50
	s_and_saveexec_b64 s[4:5], vcc
	s_cbranch_execz .LBB3546_148
.LBB3546_185:
	v_cmp_ge_u32_e32 vcc, v50, v18
                                        ; implicit-def: $vgpr20_vgpr21
	s_and_saveexec_b64 s[6:7], vcc
	s_xor_b64 s[6:7], exec, s[6:7]
; %bb.186:
	v_xor_b32_e32 v20, 0xfffffdff, v0
	v_ashrrev_i32_e32 v21, 31, v20
	v_lshl_add_u64 v[20:21], v[6:7], 0, v[20:21]
                                        ; implicit-def: $vgpr50_vgpr51
; %bb.187:
	s_andn2_saveexec_b64 s[6:7], s[6:7]
; %bb.188:
	v_lshl_add_u64 v[20:21], v[2:3], 0, v[50:51]
; %bb.189:
	s_or_b64 exec, exec, s[6:7]
	v_lshl_add_u64 v[20:21], v[20:21], 2, s[2:3]
	s_waitcnt lgkmcnt(7)
	global_store_dword v[20:21], v49, off
	s_or_b64 exec, exec, s[4:5]
	v_cmp_gt_u32_e32 vcc, s33, v46
	s_and_saveexec_b64 s[4:5], vcc
	s_cbranch_execnz .LBB3546_149
.LBB3546_190:
	s_or_b64 exec, exec, s[4:5]
	v_cmp_gt_u32_e32 vcc, s33, v44
	s_and_saveexec_b64 s[4:5], vcc
	s_cbranch_execz .LBB3546_154
.LBB3546_191:
	v_cmp_ge_u32_e32 vcc, v44, v18
                                        ; implicit-def: $vgpr20_vgpr21
	s_and_saveexec_b64 s[6:7], vcc
	s_xor_b64 s[6:7], exec, s[6:7]
; %bb.192:
	v_xor_b32_e32 v20, 0xfffff9ff, v0
	v_ashrrev_i32_e32 v21, 31, v20
	v_lshl_add_u64 v[20:21], v[6:7], 0, v[20:21]
                                        ; implicit-def: $vgpr44_vgpr45
; %bb.193:
	s_andn2_saveexec_b64 s[6:7], s[6:7]
; %bb.194:
	v_lshl_add_u64 v[20:21], v[2:3], 0, v[44:45]
; %bb.195:
	s_or_b64 exec, exec, s[6:7]
	v_lshl_add_u64 v[20:21], v[20:21], 2, s[2:3]
	s_waitcnt lgkmcnt(6)
	global_store_dword v[20:21], v43, off
	s_or_b64 exec, exec, s[4:5]
	v_cmp_gt_u32_e32 vcc, s33, v40
	s_and_saveexec_b64 s[4:5], vcc
	s_cbranch_execnz .LBB3546_155
.LBB3546_196:
	s_or_b64 exec, exec, s[4:5]
	v_cmp_gt_u32_e32 vcc, s33, v38
	s_and_saveexec_b64 s[4:5], vcc
	s_cbranch_execz .LBB3546_160
.LBB3546_197:
	v_cmp_ge_u32_e32 vcc, v38, v18
                                        ; implicit-def: $vgpr20_vgpr21
	s_and_saveexec_b64 s[6:7], vcc
	s_xor_b64 s[6:7], exec, s[6:7]
; %bb.198:
	v_xor_b32_e32 v20, 0xfffff5ff, v0
	v_ashrrev_i32_e32 v21, 31, v20
	v_lshl_add_u64 v[20:21], v[6:7], 0, v[20:21]
                                        ; implicit-def: $vgpr38_vgpr39
; %bb.199:
	s_andn2_saveexec_b64 s[6:7], s[6:7]
; %bb.200:
	v_lshl_add_u64 v[20:21], v[2:3], 0, v[38:39]
; %bb.201:
	s_or_b64 exec, exec, s[6:7]
	v_lshl_add_u64 v[20:21], v[20:21], 2, s[2:3]
	s_waitcnt lgkmcnt(5)
	global_store_dword v[20:21], v37, off
	s_or_b64 exec, exec, s[4:5]
	v_cmp_gt_u32_e32 vcc, s33, v34
	s_and_saveexec_b64 s[4:5], vcc
	s_cbranch_execnz .LBB3546_161
.LBB3546_202:
	s_or_b64 exec, exec, s[4:5]
	v_cmp_gt_u32_e32 vcc, s33, v32
	s_and_saveexec_b64 s[4:5], vcc
	s_cbranch_execz .LBB3546_166
.LBB3546_203:
	v_cmp_ge_u32_e32 vcc, v32, v18
                                        ; implicit-def: $vgpr20_vgpr21
	s_and_saveexec_b64 s[6:7], vcc
	s_xor_b64 s[6:7], exec, s[6:7]
; %bb.204:
	v_xor_b32_e32 v20, 0xfffff1ff, v0
	v_ashrrev_i32_e32 v21, 31, v20
	v_lshl_add_u64 v[20:21], v[6:7], 0, v[20:21]
                                        ; implicit-def: $vgpr32_vgpr33
; %bb.205:
	s_andn2_saveexec_b64 s[6:7], s[6:7]
; %bb.206:
	v_lshl_add_u64 v[20:21], v[2:3], 0, v[32:33]
; %bb.207:
	s_or_b64 exec, exec, s[6:7]
	v_lshl_add_u64 v[20:21], v[20:21], 2, s[2:3]
	s_waitcnt lgkmcnt(4)
	global_store_dword v[20:21], v31, off
	s_or_b64 exec, exec, s[4:5]
	v_cmp_gt_u32_e32 vcc, s33, v28
	s_and_saveexec_b64 s[4:5], vcc
	s_cbranch_execnz .LBB3546_167
.LBB3546_208:
	s_or_b64 exec, exec, s[4:5]
	v_cmp_gt_u32_e32 vcc, s33, v26
	s_and_saveexec_b64 s[4:5], vcc
	s_cbranch_execz .LBB3546_172
.LBB3546_209:
	v_cmp_ge_u32_e32 vcc, v26, v18
                                        ; implicit-def: $vgpr20_vgpr21
	s_and_saveexec_b64 s[6:7], vcc
	s_xor_b64 s[6:7], exec, s[6:7]
; %bb.210:
	v_xor_b32_e32 v20, 0xffffedff, v0
	v_ashrrev_i32_e32 v21, 31, v20
	v_lshl_add_u64 v[20:21], v[6:7], 0, v[20:21]
                                        ; implicit-def: $vgpr26_vgpr27
; %bb.211:
	s_andn2_saveexec_b64 s[6:7], s[6:7]
; %bb.212:
	v_lshl_add_u64 v[20:21], v[2:3], 0, v[26:27]
; %bb.213:
	s_or_b64 exec, exec, s[6:7]
	v_lshl_add_u64 v[20:21], v[20:21], 2, s[2:3]
	s_waitcnt lgkmcnt(3)
	global_store_dword v[20:21], v25, off
	s_or_b64 exec, exec, s[4:5]
	v_cmp_gt_u32_e32 vcc, s33, v22
	s_and_saveexec_b64 s[4:5], vcc
	s_cbranch_execnz .LBB3546_173
.LBB3546_214:
	s_or_b64 exec, exec, s[4:5]
	v_cmp_gt_u32_e32 vcc, s33, v16
	s_and_saveexec_b64 s[4:5], vcc
	s_cbranch_execz .LBB3546_178
.LBB3546_215:
	v_cmp_ge_u32_e32 vcc, v16, v18
                                        ; implicit-def: $vgpr20_vgpr21
	s_and_saveexec_b64 s[6:7], vcc
	s_xor_b64 s[6:7], exec, s[6:7]
; %bb.216:
	v_xor_b32_e32 v16, 0xffffe9ff, v0
	v_ashrrev_i32_e32 v17, 31, v16
	v_lshl_add_u64 v[20:21], v[6:7], 0, v[16:17]
                                        ; implicit-def: $vgpr16_vgpr17
; %bb.217:
	s_andn2_saveexec_b64 s[6:7], s[6:7]
; %bb.218:
	v_lshl_add_u64 v[20:21], v[2:3], 0, v[16:17]
; %bb.219:
	s_or_b64 exec, exec, s[6:7]
	v_lshl_add_u64 v[16:17], v[20:21], 2, s[2:3]
	s_waitcnt lgkmcnt(2)
	global_store_dword v[16:17], v15, off
	s_or_b64 exec, exec, s[4:5]
	v_cmp_gt_u32_e32 vcc, s33, v12
	s_and_saveexec_b64 s[4:5], vcc
	s_cbranch_execnz .LBB3546_179
.LBB3546_220:
	s_or_b64 exec, exec, s[4:5]
	v_cmp_gt_u32_e32 vcc, s33, v10
	s_and_saveexec_b64 s[4:5], vcc
	s_cbranch_execz .LBB3546_226
.LBB3546_221:
	v_cmp_ge_u32_e32 vcc, v10, v18
                                        ; implicit-def: $vgpr12_vgpr13
	s_and_saveexec_b64 s[6:7], vcc
	s_xor_b64 s[6:7], exec, s[6:7]
; %bb.222:
	v_xor_b32_e32 v10, 0xffffe5ff, v0
	v_ashrrev_i32_e32 v11, 31, v10
	v_lshl_add_u64 v[12:13], v[6:7], 0, v[10:11]
                                        ; implicit-def: $vgpr10_vgpr11
; %bb.223:
	s_andn2_saveexec_b64 s[6:7], s[6:7]
; %bb.224:
	v_lshl_add_u64 v[12:13], v[2:3], 0, v[10:11]
; %bb.225:
	s_or_b64 exec, exec, s[6:7]
	v_lshl_add_u64 v[10:11], v[12:13], 2, s[2:3]
	s_waitcnt lgkmcnt(1)
	global_store_dword v[10:11], v9, off
.LBB3546_226:
	s_or_b64 exec, exec, s[4:5]
	v_cmp_gt_u32_e32 vcc, s33, v4
                                        ; implicit-def: $vgpr20_vgpr21
	s_and_saveexec_b64 s[4:5], vcc
	s_cbranch_execz .LBB3546_232
; %bb.227:
	v_cmp_ge_u32_e32 vcc, v4, v18
                                        ; implicit-def: $vgpr20_vgpr21
	s_and_saveexec_b64 s[6:7], vcc
	s_xor_b64 s[6:7], exec, s[6:7]
; %bb.228:
	v_xor_b32_e32 v4, 0xffffe3ff, v0
	v_ashrrev_i32_e32 v5, 31, v4
	v_lshl_add_u64 v[20:21], v[6:7], 0, v[4:5]
                                        ; implicit-def: $vgpr4_vgpr5
; %bb.229:
	s_andn2_saveexec_b64 s[6:7], s[6:7]
; %bb.230:
	v_lshl_add_u64 v[20:21], v[2:3], 0, v[4:5]
; %bb.231:
	s_or_b64 exec, exec, s[6:7]
	s_or_b64 s[0:1], s[0:1], exec
.LBB3546_232:
	s_or_b64 exec, exec, s[4:5]
.LBB3546_233:
	s_and_saveexec_b64 s[4:5], s[0:1]
	s_cbranch_execz .LBB3546_235
; %bb.234:
	v_lshl_add_u64 v[4:5], v[20:21], 2, s[2:3]
	s_waitcnt lgkmcnt(0)
	global_store_dword v[4:5], v54, off
.LBB3546_235:
	s_or_b64 exec, exec, s[4:5]
	v_cmp_eq_u32_e32 vcc, 0, v0
	s_and_b64 s[0:1], vcc, s[26:27]
	s_and_saveexec_b64 s[2:3], s[0:1]
	s_cbranch_execz .LBB3546_237
; %bb.236:
	v_mov_b32_e32 v4, 0
	v_lshl_add_u64 v[0:1], v[2:3], 0, v[18:19]
	global_store_dwordx2 v4, v[0:1], s[24:25]
.LBB3546_237:
	s_endpgm
	.section	.rodata,"a",@progbits
	.p2align	6, 0x0
	.amdhsa_kernel _ZN7rocprim17ROCPRIM_400000_NS6detail17trampoline_kernelINS0_14default_configENS1_25partition_config_selectorILNS1_17partition_subalgoE3EN6thrust23THRUST_200600_302600_NS5tupleIssNS7_9null_typeES9_S9_S9_S9_S9_S9_S9_EENS0_10empty_typeEbEEZZNS1_14partition_implILS5_3ELb0ES3_jNS7_6detail15normal_iteratorINS7_7pointerISA_NS7_11hip_rocprim3tagENS7_11use_defaultESJ_EEEEPSB_SM_NS0_5tupleIJPSA_SM_EEENSN_IJSM_SM_EEESB_PlJ10is_orderedEEE10hipError_tPvRmT3_T4_T5_T6_T7_T9_mT8_P12ihipStream_tbDpT10_ENKUlT_T0_E_clISt17integral_constantIbLb1EES1B_IbLb0EEEEDaS17_S18_EUlS17_E_NS1_11comp_targetILNS1_3genE5ELNS1_11target_archE942ELNS1_3gpuE9ELNS1_3repE0EEENS1_30default_config_static_selectorELNS0_4arch9wavefront6targetE1EEEvT1_
		.amdhsa_group_segment_fixed_size 30728
		.amdhsa_private_segment_fixed_size 0
		.amdhsa_kernarg_size 120
		.amdhsa_user_sgpr_count 2
		.amdhsa_user_sgpr_dispatch_ptr 0
		.amdhsa_user_sgpr_queue_ptr 0
		.amdhsa_user_sgpr_kernarg_segment_ptr 1
		.amdhsa_user_sgpr_dispatch_id 0
		.amdhsa_user_sgpr_kernarg_preload_length 0
		.amdhsa_user_sgpr_kernarg_preload_offset 0
		.amdhsa_user_sgpr_private_segment_size 0
		.amdhsa_uses_dynamic_stack 0
		.amdhsa_enable_private_segment 0
		.amdhsa_system_sgpr_workgroup_id_x 1
		.amdhsa_system_sgpr_workgroup_id_y 0
		.amdhsa_system_sgpr_workgroup_id_z 0
		.amdhsa_system_sgpr_workgroup_info 0
		.amdhsa_system_vgpr_workitem_id 0
		.amdhsa_next_free_vgpr 67
		.amdhsa_next_free_sgpr 50
		.amdhsa_accum_offset 68
		.amdhsa_reserve_vcc 1
		.amdhsa_float_round_mode_32 0
		.amdhsa_float_round_mode_16_64 0
		.amdhsa_float_denorm_mode_32 3
		.amdhsa_float_denorm_mode_16_64 3
		.amdhsa_dx10_clamp 1
		.amdhsa_ieee_mode 1
		.amdhsa_fp16_overflow 0
		.amdhsa_tg_split 0
		.amdhsa_exception_fp_ieee_invalid_op 0
		.amdhsa_exception_fp_denorm_src 0
		.amdhsa_exception_fp_ieee_div_zero 0
		.amdhsa_exception_fp_ieee_overflow 0
		.amdhsa_exception_fp_ieee_underflow 0
		.amdhsa_exception_fp_ieee_inexact 0
		.amdhsa_exception_int_div_zero 0
	.end_amdhsa_kernel
	.section	.text._ZN7rocprim17ROCPRIM_400000_NS6detail17trampoline_kernelINS0_14default_configENS1_25partition_config_selectorILNS1_17partition_subalgoE3EN6thrust23THRUST_200600_302600_NS5tupleIssNS7_9null_typeES9_S9_S9_S9_S9_S9_S9_EENS0_10empty_typeEbEEZZNS1_14partition_implILS5_3ELb0ES3_jNS7_6detail15normal_iteratorINS7_7pointerISA_NS7_11hip_rocprim3tagENS7_11use_defaultESJ_EEEEPSB_SM_NS0_5tupleIJPSA_SM_EEENSN_IJSM_SM_EEESB_PlJ10is_orderedEEE10hipError_tPvRmT3_T4_T5_T6_T7_T9_mT8_P12ihipStream_tbDpT10_ENKUlT_T0_E_clISt17integral_constantIbLb1EES1B_IbLb0EEEEDaS17_S18_EUlS17_E_NS1_11comp_targetILNS1_3genE5ELNS1_11target_archE942ELNS1_3gpuE9ELNS1_3repE0EEENS1_30default_config_static_selectorELNS0_4arch9wavefront6targetE1EEEvT1_,"axG",@progbits,_ZN7rocprim17ROCPRIM_400000_NS6detail17trampoline_kernelINS0_14default_configENS1_25partition_config_selectorILNS1_17partition_subalgoE3EN6thrust23THRUST_200600_302600_NS5tupleIssNS7_9null_typeES9_S9_S9_S9_S9_S9_S9_EENS0_10empty_typeEbEEZZNS1_14partition_implILS5_3ELb0ES3_jNS7_6detail15normal_iteratorINS7_7pointerISA_NS7_11hip_rocprim3tagENS7_11use_defaultESJ_EEEEPSB_SM_NS0_5tupleIJPSA_SM_EEENSN_IJSM_SM_EEESB_PlJ10is_orderedEEE10hipError_tPvRmT3_T4_T5_T6_T7_T9_mT8_P12ihipStream_tbDpT10_ENKUlT_T0_E_clISt17integral_constantIbLb1EES1B_IbLb0EEEEDaS17_S18_EUlS17_E_NS1_11comp_targetILNS1_3genE5ELNS1_11target_archE942ELNS1_3gpuE9ELNS1_3repE0EEENS1_30default_config_static_selectorELNS0_4arch9wavefront6targetE1EEEvT1_,comdat
.Lfunc_end3546:
	.size	_ZN7rocprim17ROCPRIM_400000_NS6detail17trampoline_kernelINS0_14default_configENS1_25partition_config_selectorILNS1_17partition_subalgoE3EN6thrust23THRUST_200600_302600_NS5tupleIssNS7_9null_typeES9_S9_S9_S9_S9_S9_S9_EENS0_10empty_typeEbEEZZNS1_14partition_implILS5_3ELb0ES3_jNS7_6detail15normal_iteratorINS7_7pointerISA_NS7_11hip_rocprim3tagENS7_11use_defaultESJ_EEEEPSB_SM_NS0_5tupleIJPSA_SM_EEENSN_IJSM_SM_EEESB_PlJ10is_orderedEEE10hipError_tPvRmT3_T4_T5_T6_T7_T9_mT8_P12ihipStream_tbDpT10_ENKUlT_T0_E_clISt17integral_constantIbLb1EES1B_IbLb0EEEEDaS17_S18_EUlS17_E_NS1_11comp_targetILNS1_3genE5ELNS1_11target_archE942ELNS1_3gpuE9ELNS1_3repE0EEENS1_30default_config_static_selectorELNS0_4arch9wavefront6targetE1EEEvT1_, .Lfunc_end3546-_ZN7rocprim17ROCPRIM_400000_NS6detail17trampoline_kernelINS0_14default_configENS1_25partition_config_selectorILNS1_17partition_subalgoE3EN6thrust23THRUST_200600_302600_NS5tupleIssNS7_9null_typeES9_S9_S9_S9_S9_S9_S9_EENS0_10empty_typeEbEEZZNS1_14partition_implILS5_3ELb0ES3_jNS7_6detail15normal_iteratorINS7_7pointerISA_NS7_11hip_rocprim3tagENS7_11use_defaultESJ_EEEEPSB_SM_NS0_5tupleIJPSA_SM_EEENSN_IJSM_SM_EEESB_PlJ10is_orderedEEE10hipError_tPvRmT3_T4_T5_T6_T7_T9_mT8_P12ihipStream_tbDpT10_ENKUlT_T0_E_clISt17integral_constantIbLb1EES1B_IbLb0EEEEDaS17_S18_EUlS17_E_NS1_11comp_targetILNS1_3genE5ELNS1_11target_archE942ELNS1_3gpuE9ELNS1_3repE0EEENS1_30default_config_static_selectorELNS0_4arch9wavefront6targetE1EEEvT1_
                                        ; -- End function
	.section	.AMDGPU.csdata,"",@progbits
; Kernel info:
; codeLenInByte = 8076
; NumSgprs: 56
; NumVgprs: 67
; NumAgprs: 0
; TotalNumVgprs: 67
; ScratchSize: 0
; MemoryBound: 0
; FloatMode: 240
; IeeeMode: 1
; LDSByteSize: 30728 bytes/workgroup (compile time only)
; SGPRBlocks: 6
; VGPRBlocks: 8
; NumSGPRsForWavesPerEU: 56
; NumVGPRsForWavesPerEU: 67
; AccumOffset: 68
; Occupancy: 4
; WaveLimiterHint : 1
; COMPUTE_PGM_RSRC2:SCRATCH_EN: 0
; COMPUTE_PGM_RSRC2:USER_SGPR: 2
; COMPUTE_PGM_RSRC2:TRAP_HANDLER: 0
; COMPUTE_PGM_RSRC2:TGID_X_EN: 1
; COMPUTE_PGM_RSRC2:TGID_Y_EN: 0
; COMPUTE_PGM_RSRC2:TGID_Z_EN: 0
; COMPUTE_PGM_RSRC2:TIDIG_COMP_CNT: 0
; COMPUTE_PGM_RSRC3_GFX90A:ACCUM_OFFSET: 16
; COMPUTE_PGM_RSRC3_GFX90A:TG_SPLIT: 0
	.section	.text._ZN7rocprim17ROCPRIM_400000_NS6detail17trampoline_kernelINS0_14default_configENS1_25partition_config_selectorILNS1_17partition_subalgoE3EN6thrust23THRUST_200600_302600_NS5tupleIssNS7_9null_typeES9_S9_S9_S9_S9_S9_S9_EENS0_10empty_typeEbEEZZNS1_14partition_implILS5_3ELb0ES3_jNS7_6detail15normal_iteratorINS7_7pointerISA_NS7_11hip_rocprim3tagENS7_11use_defaultESJ_EEEEPSB_SM_NS0_5tupleIJPSA_SM_EEENSN_IJSM_SM_EEESB_PlJ10is_orderedEEE10hipError_tPvRmT3_T4_T5_T6_T7_T9_mT8_P12ihipStream_tbDpT10_ENKUlT_T0_E_clISt17integral_constantIbLb1EES1B_IbLb0EEEEDaS17_S18_EUlS17_E_NS1_11comp_targetILNS1_3genE4ELNS1_11target_archE910ELNS1_3gpuE8ELNS1_3repE0EEENS1_30default_config_static_selectorELNS0_4arch9wavefront6targetE1EEEvT1_,"axG",@progbits,_ZN7rocprim17ROCPRIM_400000_NS6detail17trampoline_kernelINS0_14default_configENS1_25partition_config_selectorILNS1_17partition_subalgoE3EN6thrust23THRUST_200600_302600_NS5tupleIssNS7_9null_typeES9_S9_S9_S9_S9_S9_S9_EENS0_10empty_typeEbEEZZNS1_14partition_implILS5_3ELb0ES3_jNS7_6detail15normal_iteratorINS7_7pointerISA_NS7_11hip_rocprim3tagENS7_11use_defaultESJ_EEEEPSB_SM_NS0_5tupleIJPSA_SM_EEENSN_IJSM_SM_EEESB_PlJ10is_orderedEEE10hipError_tPvRmT3_T4_T5_T6_T7_T9_mT8_P12ihipStream_tbDpT10_ENKUlT_T0_E_clISt17integral_constantIbLb1EES1B_IbLb0EEEEDaS17_S18_EUlS17_E_NS1_11comp_targetILNS1_3genE4ELNS1_11target_archE910ELNS1_3gpuE8ELNS1_3repE0EEENS1_30default_config_static_selectorELNS0_4arch9wavefront6targetE1EEEvT1_,comdat
	.protected	_ZN7rocprim17ROCPRIM_400000_NS6detail17trampoline_kernelINS0_14default_configENS1_25partition_config_selectorILNS1_17partition_subalgoE3EN6thrust23THRUST_200600_302600_NS5tupleIssNS7_9null_typeES9_S9_S9_S9_S9_S9_S9_EENS0_10empty_typeEbEEZZNS1_14partition_implILS5_3ELb0ES3_jNS7_6detail15normal_iteratorINS7_7pointerISA_NS7_11hip_rocprim3tagENS7_11use_defaultESJ_EEEEPSB_SM_NS0_5tupleIJPSA_SM_EEENSN_IJSM_SM_EEESB_PlJ10is_orderedEEE10hipError_tPvRmT3_T4_T5_T6_T7_T9_mT8_P12ihipStream_tbDpT10_ENKUlT_T0_E_clISt17integral_constantIbLb1EES1B_IbLb0EEEEDaS17_S18_EUlS17_E_NS1_11comp_targetILNS1_3genE4ELNS1_11target_archE910ELNS1_3gpuE8ELNS1_3repE0EEENS1_30default_config_static_selectorELNS0_4arch9wavefront6targetE1EEEvT1_ ; -- Begin function _ZN7rocprim17ROCPRIM_400000_NS6detail17trampoline_kernelINS0_14default_configENS1_25partition_config_selectorILNS1_17partition_subalgoE3EN6thrust23THRUST_200600_302600_NS5tupleIssNS7_9null_typeES9_S9_S9_S9_S9_S9_S9_EENS0_10empty_typeEbEEZZNS1_14partition_implILS5_3ELb0ES3_jNS7_6detail15normal_iteratorINS7_7pointerISA_NS7_11hip_rocprim3tagENS7_11use_defaultESJ_EEEEPSB_SM_NS0_5tupleIJPSA_SM_EEENSN_IJSM_SM_EEESB_PlJ10is_orderedEEE10hipError_tPvRmT3_T4_T5_T6_T7_T9_mT8_P12ihipStream_tbDpT10_ENKUlT_T0_E_clISt17integral_constantIbLb1EES1B_IbLb0EEEEDaS17_S18_EUlS17_E_NS1_11comp_targetILNS1_3genE4ELNS1_11target_archE910ELNS1_3gpuE8ELNS1_3repE0EEENS1_30default_config_static_selectorELNS0_4arch9wavefront6targetE1EEEvT1_
	.globl	_ZN7rocprim17ROCPRIM_400000_NS6detail17trampoline_kernelINS0_14default_configENS1_25partition_config_selectorILNS1_17partition_subalgoE3EN6thrust23THRUST_200600_302600_NS5tupleIssNS7_9null_typeES9_S9_S9_S9_S9_S9_S9_EENS0_10empty_typeEbEEZZNS1_14partition_implILS5_3ELb0ES3_jNS7_6detail15normal_iteratorINS7_7pointerISA_NS7_11hip_rocprim3tagENS7_11use_defaultESJ_EEEEPSB_SM_NS0_5tupleIJPSA_SM_EEENSN_IJSM_SM_EEESB_PlJ10is_orderedEEE10hipError_tPvRmT3_T4_T5_T6_T7_T9_mT8_P12ihipStream_tbDpT10_ENKUlT_T0_E_clISt17integral_constantIbLb1EES1B_IbLb0EEEEDaS17_S18_EUlS17_E_NS1_11comp_targetILNS1_3genE4ELNS1_11target_archE910ELNS1_3gpuE8ELNS1_3repE0EEENS1_30default_config_static_selectorELNS0_4arch9wavefront6targetE1EEEvT1_
	.p2align	8
	.type	_ZN7rocprim17ROCPRIM_400000_NS6detail17trampoline_kernelINS0_14default_configENS1_25partition_config_selectorILNS1_17partition_subalgoE3EN6thrust23THRUST_200600_302600_NS5tupleIssNS7_9null_typeES9_S9_S9_S9_S9_S9_S9_EENS0_10empty_typeEbEEZZNS1_14partition_implILS5_3ELb0ES3_jNS7_6detail15normal_iteratorINS7_7pointerISA_NS7_11hip_rocprim3tagENS7_11use_defaultESJ_EEEEPSB_SM_NS0_5tupleIJPSA_SM_EEENSN_IJSM_SM_EEESB_PlJ10is_orderedEEE10hipError_tPvRmT3_T4_T5_T6_T7_T9_mT8_P12ihipStream_tbDpT10_ENKUlT_T0_E_clISt17integral_constantIbLb1EES1B_IbLb0EEEEDaS17_S18_EUlS17_E_NS1_11comp_targetILNS1_3genE4ELNS1_11target_archE910ELNS1_3gpuE8ELNS1_3repE0EEENS1_30default_config_static_selectorELNS0_4arch9wavefront6targetE1EEEvT1_,@function
_ZN7rocprim17ROCPRIM_400000_NS6detail17trampoline_kernelINS0_14default_configENS1_25partition_config_selectorILNS1_17partition_subalgoE3EN6thrust23THRUST_200600_302600_NS5tupleIssNS7_9null_typeES9_S9_S9_S9_S9_S9_S9_EENS0_10empty_typeEbEEZZNS1_14partition_implILS5_3ELb0ES3_jNS7_6detail15normal_iteratorINS7_7pointerISA_NS7_11hip_rocprim3tagENS7_11use_defaultESJ_EEEEPSB_SM_NS0_5tupleIJPSA_SM_EEENSN_IJSM_SM_EEESB_PlJ10is_orderedEEE10hipError_tPvRmT3_T4_T5_T6_T7_T9_mT8_P12ihipStream_tbDpT10_ENKUlT_T0_E_clISt17integral_constantIbLb1EES1B_IbLb0EEEEDaS17_S18_EUlS17_E_NS1_11comp_targetILNS1_3genE4ELNS1_11target_archE910ELNS1_3gpuE8ELNS1_3repE0EEENS1_30default_config_static_selectorELNS0_4arch9wavefront6targetE1EEEvT1_: ; @_ZN7rocprim17ROCPRIM_400000_NS6detail17trampoline_kernelINS0_14default_configENS1_25partition_config_selectorILNS1_17partition_subalgoE3EN6thrust23THRUST_200600_302600_NS5tupleIssNS7_9null_typeES9_S9_S9_S9_S9_S9_S9_EENS0_10empty_typeEbEEZZNS1_14partition_implILS5_3ELb0ES3_jNS7_6detail15normal_iteratorINS7_7pointerISA_NS7_11hip_rocprim3tagENS7_11use_defaultESJ_EEEEPSB_SM_NS0_5tupleIJPSA_SM_EEENSN_IJSM_SM_EEESB_PlJ10is_orderedEEE10hipError_tPvRmT3_T4_T5_T6_T7_T9_mT8_P12ihipStream_tbDpT10_ENKUlT_T0_E_clISt17integral_constantIbLb1EES1B_IbLb0EEEEDaS17_S18_EUlS17_E_NS1_11comp_targetILNS1_3genE4ELNS1_11target_archE910ELNS1_3gpuE8ELNS1_3repE0EEENS1_30default_config_static_selectorELNS0_4arch9wavefront6targetE1EEEvT1_
; %bb.0:
	.section	.rodata,"a",@progbits
	.p2align	6, 0x0
	.amdhsa_kernel _ZN7rocprim17ROCPRIM_400000_NS6detail17trampoline_kernelINS0_14default_configENS1_25partition_config_selectorILNS1_17partition_subalgoE3EN6thrust23THRUST_200600_302600_NS5tupleIssNS7_9null_typeES9_S9_S9_S9_S9_S9_S9_EENS0_10empty_typeEbEEZZNS1_14partition_implILS5_3ELb0ES3_jNS7_6detail15normal_iteratorINS7_7pointerISA_NS7_11hip_rocprim3tagENS7_11use_defaultESJ_EEEEPSB_SM_NS0_5tupleIJPSA_SM_EEENSN_IJSM_SM_EEESB_PlJ10is_orderedEEE10hipError_tPvRmT3_T4_T5_T6_T7_T9_mT8_P12ihipStream_tbDpT10_ENKUlT_T0_E_clISt17integral_constantIbLb1EES1B_IbLb0EEEEDaS17_S18_EUlS17_E_NS1_11comp_targetILNS1_3genE4ELNS1_11target_archE910ELNS1_3gpuE8ELNS1_3repE0EEENS1_30default_config_static_selectorELNS0_4arch9wavefront6targetE1EEEvT1_
		.amdhsa_group_segment_fixed_size 0
		.amdhsa_private_segment_fixed_size 0
		.amdhsa_kernarg_size 120
		.amdhsa_user_sgpr_count 2
		.amdhsa_user_sgpr_dispatch_ptr 0
		.amdhsa_user_sgpr_queue_ptr 0
		.amdhsa_user_sgpr_kernarg_segment_ptr 1
		.amdhsa_user_sgpr_dispatch_id 0
		.amdhsa_user_sgpr_kernarg_preload_length 0
		.amdhsa_user_sgpr_kernarg_preload_offset 0
		.amdhsa_user_sgpr_private_segment_size 0
		.amdhsa_uses_dynamic_stack 0
		.amdhsa_enable_private_segment 0
		.amdhsa_system_sgpr_workgroup_id_x 1
		.amdhsa_system_sgpr_workgroup_id_y 0
		.amdhsa_system_sgpr_workgroup_id_z 0
		.amdhsa_system_sgpr_workgroup_info 0
		.amdhsa_system_vgpr_workitem_id 0
		.amdhsa_next_free_vgpr 1
		.amdhsa_next_free_sgpr 0
		.amdhsa_accum_offset 4
		.amdhsa_reserve_vcc 0
		.amdhsa_float_round_mode_32 0
		.amdhsa_float_round_mode_16_64 0
		.amdhsa_float_denorm_mode_32 3
		.amdhsa_float_denorm_mode_16_64 3
		.amdhsa_dx10_clamp 1
		.amdhsa_ieee_mode 1
		.amdhsa_fp16_overflow 0
		.amdhsa_tg_split 0
		.amdhsa_exception_fp_ieee_invalid_op 0
		.amdhsa_exception_fp_denorm_src 0
		.amdhsa_exception_fp_ieee_div_zero 0
		.amdhsa_exception_fp_ieee_overflow 0
		.amdhsa_exception_fp_ieee_underflow 0
		.amdhsa_exception_fp_ieee_inexact 0
		.amdhsa_exception_int_div_zero 0
	.end_amdhsa_kernel
	.section	.text._ZN7rocprim17ROCPRIM_400000_NS6detail17trampoline_kernelINS0_14default_configENS1_25partition_config_selectorILNS1_17partition_subalgoE3EN6thrust23THRUST_200600_302600_NS5tupleIssNS7_9null_typeES9_S9_S9_S9_S9_S9_S9_EENS0_10empty_typeEbEEZZNS1_14partition_implILS5_3ELb0ES3_jNS7_6detail15normal_iteratorINS7_7pointerISA_NS7_11hip_rocprim3tagENS7_11use_defaultESJ_EEEEPSB_SM_NS0_5tupleIJPSA_SM_EEENSN_IJSM_SM_EEESB_PlJ10is_orderedEEE10hipError_tPvRmT3_T4_T5_T6_T7_T9_mT8_P12ihipStream_tbDpT10_ENKUlT_T0_E_clISt17integral_constantIbLb1EES1B_IbLb0EEEEDaS17_S18_EUlS17_E_NS1_11comp_targetILNS1_3genE4ELNS1_11target_archE910ELNS1_3gpuE8ELNS1_3repE0EEENS1_30default_config_static_selectorELNS0_4arch9wavefront6targetE1EEEvT1_,"axG",@progbits,_ZN7rocprim17ROCPRIM_400000_NS6detail17trampoline_kernelINS0_14default_configENS1_25partition_config_selectorILNS1_17partition_subalgoE3EN6thrust23THRUST_200600_302600_NS5tupleIssNS7_9null_typeES9_S9_S9_S9_S9_S9_S9_EENS0_10empty_typeEbEEZZNS1_14partition_implILS5_3ELb0ES3_jNS7_6detail15normal_iteratorINS7_7pointerISA_NS7_11hip_rocprim3tagENS7_11use_defaultESJ_EEEEPSB_SM_NS0_5tupleIJPSA_SM_EEENSN_IJSM_SM_EEESB_PlJ10is_orderedEEE10hipError_tPvRmT3_T4_T5_T6_T7_T9_mT8_P12ihipStream_tbDpT10_ENKUlT_T0_E_clISt17integral_constantIbLb1EES1B_IbLb0EEEEDaS17_S18_EUlS17_E_NS1_11comp_targetILNS1_3genE4ELNS1_11target_archE910ELNS1_3gpuE8ELNS1_3repE0EEENS1_30default_config_static_selectorELNS0_4arch9wavefront6targetE1EEEvT1_,comdat
.Lfunc_end3547:
	.size	_ZN7rocprim17ROCPRIM_400000_NS6detail17trampoline_kernelINS0_14default_configENS1_25partition_config_selectorILNS1_17partition_subalgoE3EN6thrust23THRUST_200600_302600_NS5tupleIssNS7_9null_typeES9_S9_S9_S9_S9_S9_S9_EENS0_10empty_typeEbEEZZNS1_14partition_implILS5_3ELb0ES3_jNS7_6detail15normal_iteratorINS7_7pointerISA_NS7_11hip_rocprim3tagENS7_11use_defaultESJ_EEEEPSB_SM_NS0_5tupleIJPSA_SM_EEENSN_IJSM_SM_EEESB_PlJ10is_orderedEEE10hipError_tPvRmT3_T4_T5_T6_T7_T9_mT8_P12ihipStream_tbDpT10_ENKUlT_T0_E_clISt17integral_constantIbLb1EES1B_IbLb0EEEEDaS17_S18_EUlS17_E_NS1_11comp_targetILNS1_3genE4ELNS1_11target_archE910ELNS1_3gpuE8ELNS1_3repE0EEENS1_30default_config_static_selectorELNS0_4arch9wavefront6targetE1EEEvT1_, .Lfunc_end3547-_ZN7rocprim17ROCPRIM_400000_NS6detail17trampoline_kernelINS0_14default_configENS1_25partition_config_selectorILNS1_17partition_subalgoE3EN6thrust23THRUST_200600_302600_NS5tupleIssNS7_9null_typeES9_S9_S9_S9_S9_S9_S9_EENS0_10empty_typeEbEEZZNS1_14partition_implILS5_3ELb0ES3_jNS7_6detail15normal_iteratorINS7_7pointerISA_NS7_11hip_rocprim3tagENS7_11use_defaultESJ_EEEEPSB_SM_NS0_5tupleIJPSA_SM_EEENSN_IJSM_SM_EEESB_PlJ10is_orderedEEE10hipError_tPvRmT3_T4_T5_T6_T7_T9_mT8_P12ihipStream_tbDpT10_ENKUlT_T0_E_clISt17integral_constantIbLb1EES1B_IbLb0EEEEDaS17_S18_EUlS17_E_NS1_11comp_targetILNS1_3genE4ELNS1_11target_archE910ELNS1_3gpuE8ELNS1_3repE0EEENS1_30default_config_static_selectorELNS0_4arch9wavefront6targetE1EEEvT1_
                                        ; -- End function
	.section	.AMDGPU.csdata,"",@progbits
; Kernel info:
; codeLenInByte = 0
; NumSgprs: 6
; NumVgprs: 0
; NumAgprs: 0
; TotalNumVgprs: 0
; ScratchSize: 0
; MemoryBound: 0
; FloatMode: 240
; IeeeMode: 1
; LDSByteSize: 0 bytes/workgroup (compile time only)
; SGPRBlocks: 0
; VGPRBlocks: 0
; NumSGPRsForWavesPerEU: 6
; NumVGPRsForWavesPerEU: 1
; AccumOffset: 4
; Occupancy: 8
; WaveLimiterHint : 0
; COMPUTE_PGM_RSRC2:SCRATCH_EN: 0
; COMPUTE_PGM_RSRC2:USER_SGPR: 2
; COMPUTE_PGM_RSRC2:TRAP_HANDLER: 0
; COMPUTE_PGM_RSRC2:TGID_X_EN: 1
; COMPUTE_PGM_RSRC2:TGID_Y_EN: 0
; COMPUTE_PGM_RSRC2:TGID_Z_EN: 0
; COMPUTE_PGM_RSRC2:TIDIG_COMP_CNT: 0
; COMPUTE_PGM_RSRC3_GFX90A:ACCUM_OFFSET: 0
; COMPUTE_PGM_RSRC3_GFX90A:TG_SPLIT: 0
	.section	.text._ZN7rocprim17ROCPRIM_400000_NS6detail17trampoline_kernelINS0_14default_configENS1_25partition_config_selectorILNS1_17partition_subalgoE3EN6thrust23THRUST_200600_302600_NS5tupleIssNS7_9null_typeES9_S9_S9_S9_S9_S9_S9_EENS0_10empty_typeEbEEZZNS1_14partition_implILS5_3ELb0ES3_jNS7_6detail15normal_iteratorINS7_7pointerISA_NS7_11hip_rocprim3tagENS7_11use_defaultESJ_EEEEPSB_SM_NS0_5tupleIJPSA_SM_EEENSN_IJSM_SM_EEESB_PlJ10is_orderedEEE10hipError_tPvRmT3_T4_T5_T6_T7_T9_mT8_P12ihipStream_tbDpT10_ENKUlT_T0_E_clISt17integral_constantIbLb1EES1B_IbLb0EEEEDaS17_S18_EUlS17_E_NS1_11comp_targetILNS1_3genE3ELNS1_11target_archE908ELNS1_3gpuE7ELNS1_3repE0EEENS1_30default_config_static_selectorELNS0_4arch9wavefront6targetE1EEEvT1_,"axG",@progbits,_ZN7rocprim17ROCPRIM_400000_NS6detail17trampoline_kernelINS0_14default_configENS1_25partition_config_selectorILNS1_17partition_subalgoE3EN6thrust23THRUST_200600_302600_NS5tupleIssNS7_9null_typeES9_S9_S9_S9_S9_S9_S9_EENS0_10empty_typeEbEEZZNS1_14partition_implILS5_3ELb0ES3_jNS7_6detail15normal_iteratorINS7_7pointerISA_NS7_11hip_rocprim3tagENS7_11use_defaultESJ_EEEEPSB_SM_NS0_5tupleIJPSA_SM_EEENSN_IJSM_SM_EEESB_PlJ10is_orderedEEE10hipError_tPvRmT3_T4_T5_T6_T7_T9_mT8_P12ihipStream_tbDpT10_ENKUlT_T0_E_clISt17integral_constantIbLb1EES1B_IbLb0EEEEDaS17_S18_EUlS17_E_NS1_11comp_targetILNS1_3genE3ELNS1_11target_archE908ELNS1_3gpuE7ELNS1_3repE0EEENS1_30default_config_static_selectorELNS0_4arch9wavefront6targetE1EEEvT1_,comdat
	.protected	_ZN7rocprim17ROCPRIM_400000_NS6detail17trampoline_kernelINS0_14default_configENS1_25partition_config_selectorILNS1_17partition_subalgoE3EN6thrust23THRUST_200600_302600_NS5tupleIssNS7_9null_typeES9_S9_S9_S9_S9_S9_S9_EENS0_10empty_typeEbEEZZNS1_14partition_implILS5_3ELb0ES3_jNS7_6detail15normal_iteratorINS7_7pointerISA_NS7_11hip_rocprim3tagENS7_11use_defaultESJ_EEEEPSB_SM_NS0_5tupleIJPSA_SM_EEENSN_IJSM_SM_EEESB_PlJ10is_orderedEEE10hipError_tPvRmT3_T4_T5_T6_T7_T9_mT8_P12ihipStream_tbDpT10_ENKUlT_T0_E_clISt17integral_constantIbLb1EES1B_IbLb0EEEEDaS17_S18_EUlS17_E_NS1_11comp_targetILNS1_3genE3ELNS1_11target_archE908ELNS1_3gpuE7ELNS1_3repE0EEENS1_30default_config_static_selectorELNS0_4arch9wavefront6targetE1EEEvT1_ ; -- Begin function _ZN7rocprim17ROCPRIM_400000_NS6detail17trampoline_kernelINS0_14default_configENS1_25partition_config_selectorILNS1_17partition_subalgoE3EN6thrust23THRUST_200600_302600_NS5tupleIssNS7_9null_typeES9_S9_S9_S9_S9_S9_S9_EENS0_10empty_typeEbEEZZNS1_14partition_implILS5_3ELb0ES3_jNS7_6detail15normal_iteratorINS7_7pointerISA_NS7_11hip_rocprim3tagENS7_11use_defaultESJ_EEEEPSB_SM_NS0_5tupleIJPSA_SM_EEENSN_IJSM_SM_EEESB_PlJ10is_orderedEEE10hipError_tPvRmT3_T4_T5_T6_T7_T9_mT8_P12ihipStream_tbDpT10_ENKUlT_T0_E_clISt17integral_constantIbLb1EES1B_IbLb0EEEEDaS17_S18_EUlS17_E_NS1_11comp_targetILNS1_3genE3ELNS1_11target_archE908ELNS1_3gpuE7ELNS1_3repE0EEENS1_30default_config_static_selectorELNS0_4arch9wavefront6targetE1EEEvT1_
	.globl	_ZN7rocprim17ROCPRIM_400000_NS6detail17trampoline_kernelINS0_14default_configENS1_25partition_config_selectorILNS1_17partition_subalgoE3EN6thrust23THRUST_200600_302600_NS5tupleIssNS7_9null_typeES9_S9_S9_S9_S9_S9_S9_EENS0_10empty_typeEbEEZZNS1_14partition_implILS5_3ELb0ES3_jNS7_6detail15normal_iteratorINS7_7pointerISA_NS7_11hip_rocprim3tagENS7_11use_defaultESJ_EEEEPSB_SM_NS0_5tupleIJPSA_SM_EEENSN_IJSM_SM_EEESB_PlJ10is_orderedEEE10hipError_tPvRmT3_T4_T5_T6_T7_T9_mT8_P12ihipStream_tbDpT10_ENKUlT_T0_E_clISt17integral_constantIbLb1EES1B_IbLb0EEEEDaS17_S18_EUlS17_E_NS1_11comp_targetILNS1_3genE3ELNS1_11target_archE908ELNS1_3gpuE7ELNS1_3repE0EEENS1_30default_config_static_selectorELNS0_4arch9wavefront6targetE1EEEvT1_
	.p2align	8
	.type	_ZN7rocprim17ROCPRIM_400000_NS6detail17trampoline_kernelINS0_14default_configENS1_25partition_config_selectorILNS1_17partition_subalgoE3EN6thrust23THRUST_200600_302600_NS5tupleIssNS7_9null_typeES9_S9_S9_S9_S9_S9_S9_EENS0_10empty_typeEbEEZZNS1_14partition_implILS5_3ELb0ES3_jNS7_6detail15normal_iteratorINS7_7pointerISA_NS7_11hip_rocprim3tagENS7_11use_defaultESJ_EEEEPSB_SM_NS0_5tupleIJPSA_SM_EEENSN_IJSM_SM_EEESB_PlJ10is_orderedEEE10hipError_tPvRmT3_T4_T5_T6_T7_T9_mT8_P12ihipStream_tbDpT10_ENKUlT_T0_E_clISt17integral_constantIbLb1EES1B_IbLb0EEEEDaS17_S18_EUlS17_E_NS1_11comp_targetILNS1_3genE3ELNS1_11target_archE908ELNS1_3gpuE7ELNS1_3repE0EEENS1_30default_config_static_selectorELNS0_4arch9wavefront6targetE1EEEvT1_,@function
_ZN7rocprim17ROCPRIM_400000_NS6detail17trampoline_kernelINS0_14default_configENS1_25partition_config_selectorILNS1_17partition_subalgoE3EN6thrust23THRUST_200600_302600_NS5tupleIssNS7_9null_typeES9_S9_S9_S9_S9_S9_S9_EENS0_10empty_typeEbEEZZNS1_14partition_implILS5_3ELb0ES3_jNS7_6detail15normal_iteratorINS7_7pointerISA_NS7_11hip_rocprim3tagENS7_11use_defaultESJ_EEEEPSB_SM_NS0_5tupleIJPSA_SM_EEENSN_IJSM_SM_EEESB_PlJ10is_orderedEEE10hipError_tPvRmT3_T4_T5_T6_T7_T9_mT8_P12ihipStream_tbDpT10_ENKUlT_T0_E_clISt17integral_constantIbLb1EES1B_IbLb0EEEEDaS17_S18_EUlS17_E_NS1_11comp_targetILNS1_3genE3ELNS1_11target_archE908ELNS1_3gpuE7ELNS1_3repE0EEENS1_30default_config_static_selectorELNS0_4arch9wavefront6targetE1EEEvT1_: ; @_ZN7rocprim17ROCPRIM_400000_NS6detail17trampoline_kernelINS0_14default_configENS1_25partition_config_selectorILNS1_17partition_subalgoE3EN6thrust23THRUST_200600_302600_NS5tupleIssNS7_9null_typeES9_S9_S9_S9_S9_S9_S9_EENS0_10empty_typeEbEEZZNS1_14partition_implILS5_3ELb0ES3_jNS7_6detail15normal_iteratorINS7_7pointerISA_NS7_11hip_rocprim3tagENS7_11use_defaultESJ_EEEEPSB_SM_NS0_5tupleIJPSA_SM_EEENSN_IJSM_SM_EEESB_PlJ10is_orderedEEE10hipError_tPvRmT3_T4_T5_T6_T7_T9_mT8_P12ihipStream_tbDpT10_ENKUlT_T0_E_clISt17integral_constantIbLb1EES1B_IbLb0EEEEDaS17_S18_EUlS17_E_NS1_11comp_targetILNS1_3genE3ELNS1_11target_archE908ELNS1_3gpuE7ELNS1_3repE0EEENS1_30default_config_static_selectorELNS0_4arch9wavefront6targetE1EEEvT1_
; %bb.0:
	.section	.rodata,"a",@progbits
	.p2align	6, 0x0
	.amdhsa_kernel _ZN7rocprim17ROCPRIM_400000_NS6detail17trampoline_kernelINS0_14default_configENS1_25partition_config_selectorILNS1_17partition_subalgoE3EN6thrust23THRUST_200600_302600_NS5tupleIssNS7_9null_typeES9_S9_S9_S9_S9_S9_S9_EENS0_10empty_typeEbEEZZNS1_14partition_implILS5_3ELb0ES3_jNS7_6detail15normal_iteratorINS7_7pointerISA_NS7_11hip_rocprim3tagENS7_11use_defaultESJ_EEEEPSB_SM_NS0_5tupleIJPSA_SM_EEENSN_IJSM_SM_EEESB_PlJ10is_orderedEEE10hipError_tPvRmT3_T4_T5_T6_T7_T9_mT8_P12ihipStream_tbDpT10_ENKUlT_T0_E_clISt17integral_constantIbLb1EES1B_IbLb0EEEEDaS17_S18_EUlS17_E_NS1_11comp_targetILNS1_3genE3ELNS1_11target_archE908ELNS1_3gpuE7ELNS1_3repE0EEENS1_30default_config_static_selectorELNS0_4arch9wavefront6targetE1EEEvT1_
		.amdhsa_group_segment_fixed_size 0
		.amdhsa_private_segment_fixed_size 0
		.amdhsa_kernarg_size 120
		.amdhsa_user_sgpr_count 2
		.amdhsa_user_sgpr_dispatch_ptr 0
		.amdhsa_user_sgpr_queue_ptr 0
		.amdhsa_user_sgpr_kernarg_segment_ptr 1
		.amdhsa_user_sgpr_dispatch_id 0
		.amdhsa_user_sgpr_kernarg_preload_length 0
		.amdhsa_user_sgpr_kernarg_preload_offset 0
		.amdhsa_user_sgpr_private_segment_size 0
		.amdhsa_uses_dynamic_stack 0
		.amdhsa_enable_private_segment 0
		.amdhsa_system_sgpr_workgroup_id_x 1
		.amdhsa_system_sgpr_workgroup_id_y 0
		.amdhsa_system_sgpr_workgroup_id_z 0
		.amdhsa_system_sgpr_workgroup_info 0
		.amdhsa_system_vgpr_workitem_id 0
		.amdhsa_next_free_vgpr 1
		.amdhsa_next_free_sgpr 0
		.amdhsa_accum_offset 4
		.amdhsa_reserve_vcc 0
		.amdhsa_float_round_mode_32 0
		.amdhsa_float_round_mode_16_64 0
		.amdhsa_float_denorm_mode_32 3
		.amdhsa_float_denorm_mode_16_64 3
		.amdhsa_dx10_clamp 1
		.amdhsa_ieee_mode 1
		.amdhsa_fp16_overflow 0
		.amdhsa_tg_split 0
		.amdhsa_exception_fp_ieee_invalid_op 0
		.amdhsa_exception_fp_denorm_src 0
		.amdhsa_exception_fp_ieee_div_zero 0
		.amdhsa_exception_fp_ieee_overflow 0
		.amdhsa_exception_fp_ieee_underflow 0
		.amdhsa_exception_fp_ieee_inexact 0
		.amdhsa_exception_int_div_zero 0
	.end_amdhsa_kernel
	.section	.text._ZN7rocprim17ROCPRIM_400000_NS6detail17trampoline_kernelINS0_14default_configENS1_25partition_config_selectorILNS1_17partition_subalgoE3EN6thrust23THRUST_200600_302600_NS5tupleIssNS7_9null_typeES9_S9_S9_S9_S9_S9_S9_EENS0_10empty_typeEbEEZZNS1_14partition_implILS5_3ELb0ES3_jNS7_6detail15normal_iteratorINS7_7pointerISA_NS7_11hip_rocprim3tagENS7_11use_defaultESJ_EEEEPSB_SM_NS0_5tupleIJPSA_SM_EEENSN_IJSM_SM_EEESB_PlJ10is_orderedEEE10hipError_tPvRmT3_T4_T5_T6_T7_T9_mT8_P12ihipStream_tbDpT10_ENKUlT_T0_E_clISt17integral_constantIbLb1EES1B_IbLb0EEEEDaS17_S18_EUlS17_E_NS1_11comp_targetILNS1_3genE3ELNS1_11target_archE908ELNS1_3gpuE7ELNS1_3repE0EEENS1_30default_config_static_selectorELNS0_4arch9wavefront6targetE1EEEvT1_,"axG",@progbits,_ZN7rocprim17ROCPRIM_400000_NS6detail17trampoline_kernelINS0_14default_configENS1_25partition_config_selectorILNS1_17partition_subalgoE3EN6thrust23THRUST_200600_302600_NS5tupleIssNS7_9null_typeES9_S9_S9_S9_S9_S9_S9_EENS0_10empty_typeEbEEZZNS1_14partition_implILS5_3ELb0ES3_jNS7_6detail15normal_iteratorINS7_7pointerISA_NS7_11hip_rocprim3tagENS7_11use_defaultESJ_EEEEPSB_SM_NS0_5tupleIJPSA_SM_EEENSN_IJSM_SM_EEESB_PlJ10is_orderedEEE10hipError_tPvRmT3_T4_T5_T6_T7_T9_mT8_P12ihipStream_tbDpT10_ENKUlT_T0_E_clISt17integral_constantIbLb1EES1B_IbLb0EEEEDaS17_S18_EUlS17_E_NS1_11comp_targetILNS1_3genE3ELNS1_11target_archE908ELNS1_3gpuE7ELNS1_3repE0EEENS1_30default_config_static_selectorELNS0_4arch9wavefront6targetE1EEEvT1_,comdat
.Lfunc_end3548:
	.size	_ZN7rocprim17ROCPRIM_400000_NS6detail17trampoline_kernelINS0_14default_configENS1_25partition_config_selectorILNS1_17partition_subalgoE3EN6thrust23THRUST_200600_302600_NS5tupleIssNS7_9null_typeES9_S9_S9_S9_S9_S9_S9_EENS0_10empty_typeEbEEZZNS1_14partition_implILS5_3ELb0ES3_jNS7_6detail15normal_iteratorINS7_7pointerISA_NS7_11hip_rocprim3tagENS7_11use_defaultESJ_EEEEPSB_SM_NS0_5tupleIJPSA_SM_EEENSN_IJSM_SM_EEESB_PlJ10is_orderedEEE10hipError_tPvRmT3_T4_T5_T6_T7_T9_mT8_P12ihipStream_tbDpT10_ENKUlT_T0_E_clISt17integral_constantIbLb1EES1B_IbLb0EEEEDaS17_S18_EUlS17_E_NS1_11comp_targetILNS1_3genE3ELNS1_11target_archE908ELNS1_3gpuE7ELNS1_3repE0EEENS1_30default_config_static_selectorELNS0_4arch9wavefront6targetE1EEEvT1_, .Lfunc_end3548-_ZN7rocprim17ROCPRIM_400000_NS6detail17trampoline_kernelINS0_14default_configENS1_25partition_config_selectorILNS1_17partition_subalgoE3EN6thrust23THRUST_200600_302600_NS5tupleIssNS7_9null_typeES9_S9_S9_S9_S9_S9_S9_EENS0_10empty_typeEbEEZZNS1_14partition_implILS5_3ELb0ES3_jNS7_6detail15normal_iteratorINS7_7pointerISA_NS7_11hip_rocprim3tagENS7_11use_defaultESJ_EEEEPSB_SM_NS0_5tupleIJPSA_SM_EEENSN_IJSM_SM_EEESB_PlJ10is_orderedEEE10hipError_tPvRmT3_T4_T5_T6_T7_T9_mT8_P12ihipStream_tbDpT10_ENKUlT_T0_E_clISt17integral_constantIbLb1EES1B_IbLb0EEEEDaS17_S18_EUlS17_E_NS1_11comp_targetILNS1_3genE3ELNS1_11target_archE908ELNS1_3gpuE7ELNS1_3repE0EEENS1_30default_config_static_selectorELNS0_4arch9wavefront6targetE1EEEvT1_
                                        ; -- End function
	.section	.AMDGPU.csdata,"",@progbits
; Kernel info:
; codeLenInByte = 0
; NumSgprs: 6
; NumVgprs: 0
; NumAgprs: 0
; TotalNumVgprs: 0
; ScratchSize: 0
; MemoryBound: 0
; FloatMode: 240
; IeeeMode: 1
; LDSByteSize: 0 bytes/workgroup (compile time only)
; SGPRBlocks: 0
; VGPRBlocks: 0
; NumSGPRsForWavesPerEU: 6
; NumVGPRsForWavesPerEU: 1
; AccumOffset: 4
; Occupancy: 8
; WaveLimiterHint : 0
; COMPUTE_PGM_RSRC2:SCRATCH_EN: 0
; COMPUTE_PGM_RSRC2:USER_SGPR: 2
; COMPUTE_PGM_RSRC2:TRAP_HANDLER: 0
; COMPUTE_PGM_RSRC2:TGID_X_EN: 1
; COMPUTE_PGM_RSRC2:TGID_Y_EN: 0
; COMPUTE_PGM_RSRC2:TGID_Z_EN: 0
; COMPUTE_PGM_RSRC2:TIDIG_COMP_CNT: 0
; COMPUTE_PGM_RSRC3_GFX90A:ACCUM_OFFSET: 0
; COMPUTE_PGM_RSRC3_GFX90A:TG_SPLIT: 0
	.section	.text._ZN7rocprim17ROCPRIM_400000_NS6detail17trampoline_kernelINS0_14default_configENS1_25partition_config_selectorILNS1_17partition_subalgoE3EN6thrust23THRUST_200600_302600_NS5tupleIssNS7_9null_typeES9_S9_S9_S9_S9_S9_S9_EENS0_10empty_typeEbEEZZNS1_14partition_implILS5_3ELb0ES3_jNS7_6detail15normal_iteratorINS7_7pointerISA_NS7_11hip_rocprim3tagENS7_11use_defaultESJ_EEEEPSB_SM_NS0_5tupleIJPSA_SM_EEENSN_IJSM_SM_EEESB_PlJ10is_orderedEEE10hipError_tPvRmT3_T4_T5_T6_T7_T9_mT8_P12ihipStream_tbDpT10_ENKUlT_T0_E_clISt17integral_constantIbLb1EES1B_IbLb0EEEEDaS17_S18_EUlS17_E_NS1_11comp_targetILNS1_3genE2ELNS1_11target_archE906ELNS1_3gpuE6ELNS1_3repE0EEENS1_30default_config_static_selectorELNS0_4arch9wavefront6targetE1EEEvT1_,"axG",@progbits,_ZN7rocprim17ROCPRIM_400000_NS6detail17trampoline_kernelINS0_14default_configENS1_25partition_config_selectorILNS1_17partition_subalgoE3EN6thrust23THRUST_200600_302600_NS5tupleIssNS7_9null_typeES9_S9_S9_S9_S9_S9_S9_EENS0_10empty_typeEbEEZZNS1_14partition_implILS5_3ELb0ES3_jNS7_6detail15normal_iteratorINS7_7pointerISA_NS7_11hip_rocprim3tagENS7_11use_defaultESJ_EEEEPSB_SM_NS0_5tupleIJPSA_SM_EEENSN_IJSM_SM_EEESB_PlJ10is_orderedEEE10hipError_tPvRmT3_T4_T5_T6_T7_T9_mT8_P12ihipStream_tbDpT10_ENKUlT_T0_E_clISt17integral_constantIbLb1EES1B_IbLb0EEEEDaS17_S18_EUlS17_E_NS1_11comp_targetILNS1_3genE2ELNS1_11target_archE906ELNS1_3gpuE6ELNS1_3repE0EEENS1_30default_config_static_selectorELNS0_4arch9wavefront6targetE1EEEvT1_,comdat
	.protected	_ZN7rocprim17ROCPRIM_400000_NS6detail17trampoline_kernelINS0_14default_configENS1_25partition_config_selectorILNS1_17partition_subalgoE3EN6thrust23THRUST_200600_302600_NS5tupleIssNS7_9null_typeES9_S9_S9_S9_S9_S9_S9_EENS0_10empty_typeEbEEZZNS1_14partition_implILS5_3ELb0ES3_jNS7_6detail15normal_iteratorINS7_7pointerISA_NS7_11hip_rocprim3tagENS7_11use_defaultESJ_EEEEPSB_SM_NS0_5tupleIJPSA_SM_EEENSN_IJSM_SM_EEESB_PlJ10is_orderedEEE10hipError_tPvRmT3_T4_T5_T6_T7_T9_mT8_P12ihipStream_tbDpT10_ENKUlT_T0_E_clISt17integral_constantIbLb1EES1B_IbLb0EEEEDaS17_S18_EUlS17_E_NS1_11comp_targetILNS1_3genE2ELNS1_11target_archE906ELNS1_3gpuE6ELNS1_3repE0EEENS1_30default_config_static_selectorELNS0_4arch9wavefront6targetE1EEEvT1_ ; -- Begin function _ZN7rocprim17ROCPRIM_400000_NS6detail17trampoline_kernelINS0_14default_configENS1_25partition_config_selectorILNS1_17partition_subalgoE3EN6thrust23THRUST_200600_302600_NS5tupleIssNS7_9null_typeES9_S9_S9_S9_S9_S9_S9_EENS0_10empty_typeEbEEZZNS1_14partition_implILS5_3ELb0ES3_jNS7_6detail15normal_iteratorINS7_7pointerISA_NS7_11hip_rocprim3tagENS7_11use_defaultESJ_EEEEPSB_SM_NS0_5tupleIJPSA_SM_EEENSN_IJSM_SM_EEESB_PlJ10is_orderedEEE10hipError_tPvRmT3_T4_T5_T6_T7_T9_mT8_P12ihipStream_tbDpT10_ENKUlT_T0_E_clISt17integral_constantIbLb1EES1B_IbLb0EEEEDaS17_S18_EUlS17_E_NS1_11comp_targetILNS1_3genE2ELNS1_11target_archE906ELNS1_3gpuE6ELNS1_3repE0EEENS1_30default_config_static_selectorELNS0_4arch9wavefront6targetE1EEEvT1_
	.globl	_ZN7rocprim17ROCPRIM_400000_NS6detail17trampoline_kernelINS0_14default_configENS1_25partition_config_selectorILNS1_17partition_subalgoE3EN6thrust23THRUST_200600_302600_NS5tupleIssNS7_9null_typeES9_S9_S9_S9_S9_S9_S9_EENS0_10empty_typeEbEEZZNS1_14partition_implILS5_3ELb0ES3_jNS7_6detail15normal_iteratorINS7_7pointerISA_NS7_11hip_rocprim3tagENS7_11use_defaultESJ_EEEEPSB_SM_NS0_5tupleIJPSA_SM_EEENSN_IJSM_SM_EEESB_PlJ10is_orderedEEE10hipError_tPvRmT3_T4_T5_T6_T7_T9_mT8_P12ihipStream_tbDpT10_ENKUlT_T0_E_clISt17integral_constantIbLb1EES1B_IbLb0EEEEDaS17_S18_EUlS17_E_NS1_11comp_targetILNS1_3genE2ELNS1_11target_archE906ELNS1_3gpuE6ELNS1_3repE0EEENS1_30default_config_static_selectorELNS0_4arch9wavefront6targetE1EEEvT1_
	.p2align	8
	.type	_ZN7rocprim17ROCPRIM_400000_NS6detail17trampoline_kernelINS0_14default_configENS1_25partition_config_selectorILNS1_17partition_subalgoE3EN6thrust23THRUST_200600_302600_NS5tupleIssNS7_9null_typeES9_S9_S9_S9_S9_S9_S9_EENS0_10empty_typeEbEEZZNS1_14partition_implILS5_3ELb0ES3_jNS7_6detail15normal_iteratorINS7_7pointerISA_NS7_11hip_rocprim3tagENS7_11use_defaultESJ_EEEEPSB_SM_NS0_5tupleIJPSA_SM_EEENSN_IJSM_SM_EEESB_PlJ10is_orderedEEE10hipError_tPvRmT3_T4_T5_T6_T7_T9_mT8_P12ihipStream_tbDpT10_ENKUlT_T0_E_clISt17integral_constantIbLb1EES1B_IbLb0EEEEDaS17_S18_EUlS17_E_NS1_11comp_targetILNS1_3genE2ELNS1_11target_archE906ELNS1_3gpuE6ELNS1_3repE0EEENS1_30default_config_static_selectorELNS0_4arch9wavefront6targetE1EEEvT1_,@function
_ZN7rocprim17ROCPRIM_400000_NS6detail17trampoline_kernelINS0_14default_configENS1_25partition_config_selectorILNS1_17partition_subalgoE3EN6thrust23THRUST_200600_302600_NS5tupleIssNS7_9null_typeES9_S9_S9_S9_S9_S9_S9_EENS0_10empty_typeEbEEZZNS1_14partition_implILS5_3ELb0ES3_jNS7_6detail15normal_iteratorINS7_7pointerISA_NS7_11hip_rocprim3tagENS7_11use_defaultESJ_EEEEPSB_SM_NS0_5tupleIJPSA_SM_EEENSN_IJSM_SM_EEESB_PlJ10is_orderedEEE10hipError_tPvRmT3_T4_T5_T6_T7_T9_mT8_P12ihipStream_tbDpT10_ENKUlT_T0_E_clISt17integral_constantIbLb1EES1B_IbLb0EEEEDaS17_S18_EUlS17_E_NS1_11comp_targetILNS1_3genE2ELNS1_11target_archE906ELNS1_3gpuE6ELNS1_3repE0EEENS1_30default_config_static_selectorELNS0_4arch9wavefront6targetE1EEEvT1_: ; @_ZN7rocprim17ROCPRIM_400000_NS6detail17trampoline_kernelINS0_14default_configENS1_25partition_config_selectorILNS1_17partition_subalgoE3EN6thrust23THRUST_200600_302600_NS5tupleIssNS7_9null_typeES9_S9_S9_S9_S9_S9_S9_EENS0_10empty_typeEbEEZZNS1_14partition_implILS5_3ELb0ES3_jNS7_6detail15normal_iteratorINS7_7pointerISA_NS7_11hip_rocprim3tagENS7_11use_defaultESJ_EEEEPSB_SM_NS0_5tupleIJPSA_SM_EEENSN_IJSM_SM_EEESB_PlJ10is_orderedEEE10hipError_tPvRmT3_T4_T5_T6_T7_T9_mT8_P12ihipStream_tbDpT10_ENKUlT_T0_E_clISt17integral_constantIbLb1EES1B_IbLb0EEEEDaS17_S18_EUlS17_E_NS1_11comp_targetILNS1_3genE2ELNS1_11target_archE906ELNS1_3gpuE6ELNS1_3repE0EEENS1_30default_config_static_selectorELNS0_4arch9wavefront6targetE1EEEvT1_
; %bb.0:
	.section	.rodata,"a",@progbits
	.p2align	6, 0x0
	.amdhsa_kernel _ZN7rocprim17ROCPRIM_400000_NS6detail17trampoline_kernelINS0_14default_configENS1_25partition_config_selectorILNS1_17partition_subalgoE3EN6thrust23THRUST_200600_302600_NS5tupleIssNS7_9null_typeES9_S9_S9_S9_S9_S9_S9_EENS0_10empty_typeEbEEZZNS1_14partition_implILS5_3ELb0ES3_jNS7_6detail15normal_iteratorINS7_7pointerISA_NS7_11hip_rocprim3tagENS7_11use_defaultESJ_EEEEPSB_SM_NS0_5tupleIJPSA_SM_EEENSN_IJSM_SM_EEESB_PlJ10is_orderedEEE10hipError_tPvRmT3_T4_T5_T6_T7_T9_mT8_P12ihipStream_tbDpT10_ENKUlT_T0_E_clISt17integral_constantIbLb1EES1B_IbLb0EEEEDaS17_S18_EUlS17_E_NS1_11comp_targetILNS1_3genE2ELNS1_11target_archE906ELNS1_3gpuE6ELNS1_3repE0EEENS1_30default_config_static_selectorELNS0_4arch9wavefront6targetE1EEEvT1_
		.amdhsa_group_segment_fixed_size 0
		.amdhsa_private_segment_fixed_size 0
		.amdhsa_kernarg_size 120
		.amdhsa_user_sgpr_count 2
		.amdhsa_user_sgpr_dispatch_ptr 0
		.amdhsa_user_sgpr_queue_ptr 0
		.amdhsa_user_sgpr_kernarg_segment_ptr 1
		.amdhsa_user_sgpr_dispatch_id 0
		.amdhsa_user_sgpr_kernarg_preload_length 0
		.amdhsa_user_sgpr_kernarg_preload_offset 0
		.amdhsa_user_sgpr_private_segment_size 0
		.amdhsa_uses_dynamic_stack 0
		.amdhsa_enable_private_segment 0
		.amdhsa_system_sgpr_workgroup_id_x 1
		.amdhsa_system_sgpr_workgroup_id_y 0
		.amdhsa_system_sgpr_workgroup_id_z 0
		.amdhsa_system_sgpr_workgroup_info 0
		.amdhsa_system_vgpr_workitem_id 0
		.amdhsa_next_free_vgpr 1
		.amdhsa_next_free_sgpr 0
		.amdhsa_accum_offset 4
		.amdhsa_reserve_vcc 0
		.amdhsa_float_round_mode_32 0
		.amdhsa_float_round_mode_16_64 0
		.amdhsa_float_denorm_mode_32 3
		.amdhsa_float_denorm_mode_16_64 3
		.amdhsa_dx10_clamp 1
		.amdhsa_ieee_mode 1
		.amdhsa_fp16_overflow 0
		.amdhsa_tg_split 0
		.amdhsa_exception_fp_ieee_invalid_op 0
		.amdhsa_exception_fp_denorm_src 0
		.amdhsa_exception_fp_ieee_div_zero 0
		.amdhsa_exception_fp_ieee_overflow 0
		.amdhsa_exception_fp_ieee_underflow 0
		.amdhsa_exception_fp_ieee_inexact 0
		.amdhsa_exception_int_div_zero 0
	.end_amdhsa_kernel
	.section	.text._ZN7rocprim17ROCPRIM_400000_NS6detail17trampoline_kernelINS0_14default_configENS1_25partition_config_selectorILNS1_17partition_subalgoE3EN6thrust23THRUST_200600_302600_NS5tupleIssNS7_9null_typeES9_S9_S9_S9_S9_S9_S9_EENS0_10empty_typeEbEEZZNS1_14partition_implILS5_3ELb0ES3_jNS7_6detail15normal_iteratorINS7_7pointerISA_NS7_11hip_rocprim3tagENS7_11use_defaultESJ_EEEEPSB_SM_NS0_5tupleIJPSA_SM_EEENSN_IJSM_SM_EEESB_PlJ10is_orderedEEE10hipError_tPvRmT3_T4_T5_T6_T7_T9_mT8_P12ihipStream_tbDpT10_ENKUlT_T0_E_clISt17integral_constantIbLb1EES1B_IbLb0EEEEDaS17_S18_EUlS17_E_NS1_11comp_targetILNS1_3genE2ELNS1_11target_archE906ELNS1_3gpuE6ELNS1_3repE0EEENS1_30default_config_static_selectorELNS0_4arch9wavefront6targetE1EEEvT1_,"axG",@progbits,_ZN7rocprim17ROCPRIM_400000_NS6detail17trampoline_kernelINS0_14default_configENS1_25partition_config_selectorILNS1_17partition_subalgoE3EN6thrust23THRUST_200600_302600_NS5tupleIssNS7_9null_typeES9_S9_S9_S9_S9_S9_S9_EENS0_10empty_typeEbEEZZNS1_14partition_implILS5_3ELb0ES3_jNS7_6detail15normal_iteratorINS7_7pointerISA_NS7_11hip_rocprim3tagENS7_11use_defaultESJ_EEEEPSB_SM_NS0_5tupleIJPSA_SM_EEENSN_IJSM_SM_EEESB_PlJ10is_orderedEEE10hipError_tPvRmT3_T4_T5_T6_T7_T9_mT8_P12ihipStream_tbDpT10_ENKUlT_T0_E_clISt17integral_constantIbLb1EES1B_IbLb0EEEEDaS17_S18_EUlS17_E_NS1_11comp_targetILNS1_3genE2ELNS1_11target_archE906ELNS1_3gpuE6ELNS1_3repE0EEENS1_30default_config_static_selectorELNS0_4arch9wavefront6targetE1EEEvT1_,comdat
.Lfunc_end3549:
	.size	_ZN7rocprim17ROCPRIM_400000_NS6detail17trampoline_kernelINS0_14default_configENS1_25partition_config_selectorILNS1_17partition_subalgoE3EN6thrust23THRUST_200600_302600_NS5tupleIssNS7_9null_typeES9_S9_S9_S9_S9_S9_S9_EENS0_10empty_typeEbEEZZNS1_14partition_implILS5_3ELb0ES3_jNS7_6detail15normal_iteratorINS7_7pointerISA_NS7_11hip_rocprim3tagENS7_11use_defaultESJ_EEEEPSB_SM_NS0_5tupleIJPSA_SM_EEENSN_IJSM_SM_EEESB_PlJ10is_orderedEEE10hipError_tPvRmT3_T4_T5_T6_T7_T9_mT8_P12ihipStream_tbDpT10_ENKUlT_T0_E_clISt17integral_constantIbLb1EES1B_IbLb0EEEEDaS17_S18_EUlS17_E_NS1_11comp_targetILNS1_3genE2ELNS1_11target_archE906ELNS1_3gpuE6ELNS1_3repE0EEENS1_30default_config_static_selectorELNS0_4arch9wavefront6targetE1EEEvT1_, .Lfunc_end3549-_ZN7rocprim17ROCPRIM_400000_NS6detail17trampoline_kernelINS0_14default_configENS1_25partition_config_selectorILNS1_17partition_subalgoE3EN6thrust23THRUST_200600_302600_NS5tupleIssNS7_9null_typeES9_S9_S9_S9_S9_S9_S9_EENS0_10empty_typeEbEEZZNS1_14partition_implILS5_3ELb0ES3_jNS7_6detail15normal_iteratorINS7_7pointerISA_NS7_11hip_rocprim3tagENS7_11use_defaultESJ_EEEEPSB_SM_NS0_5tupleIJPSA_SM_EEENSN_IJSM_SM_EEESB_PlJ10is_orderedEEE10hipError_tPvRmT3_T4_T5_T6_T7_T9_mT8_P12ihipStream_tbDpT10_ENKUlT_T0_E_clISt17integral_constantIbLb1EES1B_IbLb0EEEEDaS17_S18_EUlS17_E_NS1_11comp_targetILNS1_3genE2ELNS1_11target_archE906ELNS1_3gpuE6ELNS1_3repE0EEENS1_30default_config_static_selectorELNS0_4arch9wavefront6targetE1EEEvT1_
                                        ; -- End function
	.section	.AMDGPU.csdata,"",@progbits
; Kernel info:
; codeLenInByte = 0
; NumSgprs: 6
; NumVgprs: 0
; NumAgprs: 0
; TotalNumVgprs: 0
; ScratchSize: 0
; MemoryBound: 0
; FloatMode: 240
; IeeeMode: 1
; LDSByteSize: 0 bytes/workgroup (compile time only)
; SGPRBlocks: 0
; VGPRBlocks: 0
; NumSGPRsForWavesPerEU: 6
; NumVGPRsForWavesPerEU: 1
; AccumOffset: 4
; Occupancy: 8
; WaveLimiterHint : 0
; COMPUTE_PGM_RSRC2:SCRATCH_EN: 0
; COMPUTE_PGM_RSRC2:USER_SGPR: 2
; COMPUTE_PGM_RSRC2:TRAP_HANDLER: 0
; COMPUTE_PGM_RSRC2:TGID_X_EN: 1
; COMPUTE_PGM_RSRC2:TGID_Y_EN: 0
; COMPUTE_PGM_RSRC2:TGID_Z_EN: 0
; COMPUTE_PGM_RSRC2:TIDIG_COMP_CNT: 0
; COMPUTE_PGM_RSRC3_GFX90A:ACCUM_OFFSET: 0
; COMPUTE_PGM_RSRC3_GFX90A:TG_SPLIT: 0
	.section	.text._ZN7rocprim17ROCPRIM_400000_NS6detail17trampoline_kernelINS0_14default_configENS1_25partition_config_selectorILNS1_17partition_subalgoE3EN6thrust23THRUST_200600_302600_NS5tupleIssNS7_9null_typeES9_S9_S9_S9_S9_S9_S9_EENS0_10empty_typeEbEEZZNS1_14partition_implILS5_3ELb0ES3_jNS7_6detail15normal_iteratorINS7_7pointerISA_NS7_11hip_rocprim3tagENS7_11use_defaultESJ_EEEEPSB_SM_NS0_5tupleIJPSA_SM_EEENSN_IJSM_SM_EEESB_PlJ10is_orderedEEE10hipError_tPvRmT3_T4_T5_T6_T7_T9_mT8_P12ihipStream_tbDpT10_ENKUlT_T0_E_clISt17integral_constantIbLb1EES1B_IbLb0EEEEDaS17_S18_EUlS17_E_NS1_11comp_targetILNS1_3genE10ELNS1_11target_archE1200ELNS1_3gpuE4ELNS1_3repE0EEENS1_30default_config_static_selectorELNS0_4arch9wavefront6targetE1EEEvT1_,"axG",@progbits,_ZN7rocprim17ROCPRIM_400000_NS6detail17trampoline_kernelINS0_14default_configENS1_25partition_config_selectorILNS1_17partition_subalgoE3EN6thrust23THRUST_200600_302600_NS5tupleIssNS7_9null_typeES9_S9_S9_S9_S9_S9_S9_EENS0_10empty_typeEbEEZZNS1_14partition_implILS5_3ELb0ES3_jNS7_6detail15normal_iteratorINS7_7pointerISA_NS7_11hip_rocprim3tagENS7_11use_defaultESJ_EEEEPSB_SM_NS0_5tupleIJPSA_SM_EEENSN_IJSM_SM_EEESB_PlJ10is_orderedEEE10hipError_tPvRmT3_T4_T5_T6_T7_T9_mT8_P12ihipStream_tbDpT10_ENKUlT_T0_E_clISt17integral_constantIbLb1EES1B_IbLb0EEEEDaS17_S18_EUlS17_E_NS1_11comp_targetILNS1_3genE10ELNS1_11target_archE1200ELNS1_3gpuE4ELNS1_3repE0EEENS1_30default_config_static_selectorELNS0_4arch9wavefront6targetE1EEEvT1_,comdat
	.protected	_ZN7rocprim17ROCPRIM_400000_NS6detail17trampoline_kernelINS0_14default_configENS1_25partition_config_selectorILNS1_17partition_subalgoE3EN6thrust23THRUST_200600_302600_NS5tupleIssNS7_9null_typeES9_S9_S9_S9_S9_S9_S9_EENS0_10empty_typeEbEEZZNS1_14partition_implILS5_3ELb0ES3_jNS7_6detail15normal_iteratorINS7_7pointerISA_NS7_11hip_rocprim3tagENS7_11use_defaultESJ_EEEEPSB_SM_NS0_5tupleIJPSA_SM_EEENSN_IJSM_SM_EEESB_PlJ10is_orderedEEE10hipError_tPvRmT3_T4_T5_T6_T7_T9_mT8_P12ihipStream_tbDpT10_ENKUlT_T0_E_clISt17integral_constantIbLb1EES1B_IbLb0EEEEDaS17_S18_EUlS17_E_NS1_11comp_targetILNS1_3genE10ELNS1_11target_archE1200ELNS1_3gpuE4ELNS1_3repE0EEENS1_30default_config_static_selectorELNS0_4arch9wavefront6targetE1EEEvT1_ ; -- Begin function _ZN7rocprim17ROCPRIM_400000_NS6detail17trampoline_kernelINS0_14default_configENS1_25partition_config_selectorILNS1_17partition_subalgoE3EN6thrust23THRUST_200600_302600_NS5tupleIssNS7_9null_typeES9_S9_S9_S9_S9_S9_S9_EENS0_10empty_typeEbEEZZNS1_14partition_implILS5_3ELb0ES3_jNS7_6detail15normal_iteratorINS7_7pointerISA_NS7_11hip_rocprim3tagENS7_11use_defaultESJ_EEEEPSB_SM_NS0_5tupleIJPSA_SM_EEENSN_IJSM_SM_EEESB_PlJ10is_orderedEEE10hipError_tPvRmT3_T4_T5_T6_T7_T9_mT8_P12ihipStream_tbDpT10_ENKUlT_T0_E_clISt17integral_constantIbLb1EES1B_IbLb0EEEEDaS17_S18_EUlS17_E_NS1_11comp_targetILNS1_3genE10ELNS1_11target_archE1200ELNS1_3gpuE4ELNS1_3repE0EEENS1_30default_config_static_selectorELNS0_4arch9wavefront6targetE1EEEvT1_
	.globl	_ZN7rocprim17ROCPRIM_400000_NS6detail17trampoline_kernelINS0_14default_configENS1_25partition_config_selectorILNS1_17partition_subalgoE3EN6thrust23THRUST_200600_302600_NS5tupleIssNS7_9null_typeES9_S9_S9_S9_S9_S9_S9_EENS0_10empty_typeEbEEZZNS1_14partition_implILS5_3ELb0ES3_jNS7_6detail15normal_iteratorINS7_7pointerISA_NS7_11hip_rocprim3tagENS7_11use_defaultESJ_EEEEPSB_SM_NS0_5tupleIJPSA_SM_EEENSN_IJSM_SM_EEESB_PlJ10is_orderedEEE10hipError_tPvRmT3_T4_T5_T6_T7_T9_mT8_P12ihipStream_tbDpT10_ENKUlT_T0_E_clISt17integral_constantIbLb1EES1B_IbLb0EEEEDaS17_S18_EUlS17_E_NS1_11comp_targetILNS1_3genE10ELNS1_11target_archE1200ELNS1_3gpuE4ELNS1_3repE0EEENS1_30default_config_static_selectorELNS0_4arch9wavefront6targetE1EEEvT1_
	.p2align	8
	.type	_ZN7rocprim17ROCPRIM_400000_NS6detail17trampoline_kernelINS0_14default_configENS1_25partition_config_selectorILNS1_17partition_subalgoE3EN6thrust23THRUST_200600_302600_NS5tupleIssNS7_9null_typeES9_S9_S9_S9_S9_S9_S9_EENS0_10empty_typeEbEEZZNS1_14partition_implILS5_3ELb0ES3_jNS7_6detail15normal_iteratorINS7_7pointerISA_NS7_11hip_rocprim3tagENS7_11use_defaultESJ_EEEEPSB_SM_NS0_5tupleIJPSA_SM_EEENSN_IJSM_SM_EEESB_PlJ10is_orderedEEE10hipError_tPvRmT3_T4_T5_T6_T7_T9_mT8_P12ihipStream_tbDpT10_ENKUlT_T0_E_clISt17integral_constantIbLb1EES1B_IbLb0EEEEDaS17_S18_EUlS17_E_NS1_11comp_targetILNS1_3genE10ELNS1_11target_archE1200ELNS1_3gpuE4ELNS1_3repE0EEENS1_30default_config_static_selectorELNS0_4arch9wavefront6targetE1EEEvT1_,@function
_ZN7rocprim17ROCPRIM_400000_NS6detail17trampoline_kernelINS0_14default_configENS1_25partition_config_selectorILNS1_17partition_subalgoE3EN6thrust23THRUST_200600_302600_NS5tupleIssNS7_9null_typeES9_S9_S9_S9_S9_S9_S9_EENS0_10empty_typeEbEEZZNS1_14partition_implILS5_3ELb0ES3_jNS7_6detail15normal_iteratorINS7_7pointerISA_NS7_11hip_rocprim3tagENS7_11use_defaultESJ_EEEEPSB_SM_NS0_5tupleIJPSA_SM_EEENSN_IJSM_SM_EEESB_PlJ10is_orderedEEE10hipError_tPvRmT3_T4_T5_T6_T7_T9_mT8_P12ihipStream_tbDpT10_ENKUlT_T0_E_clISt17integral_constantIbLb1EES1B_IbLb0EEEEDaS17_S18_EUlS17_E_NS1_11comp_targetILNS1_3genE10ELNS1_11target_archE1200ELNS1_3gpuE4ELNS1_3repE0EEENS1_30default_config_static_selectorELNS0_4arch9wavefront6targetE1EEEvT1_: ; @_ZN7rocprim17ROCPRIM_400000_NS6detail17trampoline_kernelINS0_14default_configENS1_25partition_config_selectorILNS1_17partition_subalgoE3EN6thrust23THRUST_200600_302600_NS5tupleIssNS7_9null_typeES9_S9_S9_S9_S9_S9_S9_EENS0_10empty_typeEbEEZZNS1_14partition_implILS5_3ELb0ES3_jNS7_6detail15normal_iteratorINS7_7pointerISA_NS7_11hip_rocprim3tagENS7_11use_defaultESJ_EEEEPSB_SM_NS0_5tupleIJPSA_SM_EEENSN_IJSM_SM_EEESB_PlJ10is_orderedEEE10hipError_tPvRmT3_T4_T5_T6_T7_T9_mT8_P12ihipStream_tbDpT10_ENKUlT_T0_E_clISt17integral_constantIbLb1EES1B_IbLb0EEEEDaS17_S18_EUlS17_E_NS1_11comp_targetILNS1_3genE10ELNS1_11target_archE1200ELNS1_3gpuE4ELNS1_3repE0EEENS1_30default_config_static_selectorELNS0_4arch9wavefront6targetE1EEEvT1_
; %bb.0:
	.section	.rodata,"a",@progbits
	.p2align	6, 0x0
	.amdhsa_kernel _ZN7rocprim17ROCPRIM_400000_NS6detail17trampoline_kernelINS0_14default_configENS1_25partition_config_selectorILNS1_17partition_subalgoE3EN6thrust23THRUST_200600_302600_NS5tupleIssNS7_9null_typeES9_S9_S9_S9_S9_S9_S9_EENS0_10empty_typeEbEEZZNS1_14partition_implILS5_3ELb0ES3_jNS7_6detail15normal_iteratorINS7_7pointerISA_NS7_11hip_rocprim3tagENS7_11use_defaultESJ_EEEEPSB_SM_NS0_5tupleIJPSA_SM_EEENSN_IJSM_SM_EEESB_PlJ10is_orderedEEE10hipError_tPvRmT3_T4_T5_T6_T7_T9_mT8_P12ihipStream_tbDpT10_ENKUlT_T0_E_clISt17integral_constantIbLb1EES1B_IbLb0EEEEDaS17_S18_EUlS17_E_NS1_11comp_targetILNS1_3genE10ELNS1_11target_archE1200ELNS1_3gpuE4ELNS1_3repE0EEENS1_30default_config_static_selectorELNS0_4arch9wavefront6targetE1EEEvT1_
		.amdhsa_group_segment_fixed_size 0
		.amdhsa_private_segment_fixed_size 0
		.amdhsa_kernarg_size 120
		.amdhsa_user_sgpr_count 2
		.amdhsa_user_sgpr_dispatch_ptr 0
		.amdhsa_user_sgpr_queue_ptr 0
		.amdhsa_user_sgpr_kernarg_segment_ptr 1
		.amdhsa_user_sgpr_dispatch_id 0
		.amdhsa_user_sgpr_kernarg_preload_length 0
		.amdhsa_user_sgpr_kernarg_preload_offset 0
		.amdhsa_user_sgpr_private_segment_size 0
		.amdhsa_uses_dynamic_stack 0
		.amdhsa_enable_private_segment 0
		.amdhsa_system_sgpr_workgroup_id_x 1
		.amdhsa_system_sgpr_workgroup_id_y 0
		.amdhsa_system_sgpr_workgroup_id_z 0
		.amdhsa_system_sgpr_workgroup_info 0
		.amdhsa_system_vgpr_workitem_id 0
		.amdhsa_next_free_vgpr 1
		.amdhsa_next_free_sgpr 0
		.amdhsa_accum_offset 4
		.amdhsa_reserve_vcc 0
		.amdhsa_float_round_mode_32 0
		.amdhsa_float_round_mode_16_64 0
		.amdhsa_float_denorm_mode_32 3
		.amdhsa_float_denorm_mode_16_64 3
		.amdhsa_dx10_clamp 1
		.amdhsa_ieee_mode 1
		.amdhsa_fp16_overflow 0
		.amdhsa_tg_split 0
		.amdhsa_exception_fp_ieee_invalid_op 0
		.amdhsa_exception_fp_denorm_src 0
		.amdhsa_exception_fp_ieee_div_zero 0
		.amdhsa_exception_fp_ieee_overflow 0
		.amdhsa_exception_fp_ieee_underflow 0
		.amdhsa_exception_fp_ieee_inexact 0
		.amdhsa_exception_int_div_zero 0
	.end_amdhsa_kernel
	.section	.text._ZN7rocprim17ROCPRIM_400000_NS6detail17trampoline_kernelINS0_14default_configENS1_25partition_config_selectorILNS1_17partition_subalgoE3EN6thrust23THRUST_200600_302600_NS5tupleIssNS7_9null_typeES9_S9_S9_S9_S9_S9_S9_EENS0_10empty_typeEbEEZZNS1_14partition_implILS5_3ELb0ES3_jNS7_6detail15normal_iteratorINS7_7pointerISA_NS7_11hip_rocprim3tagENS7_11use_defaultESJ_EEEEPSB_SM_NS0_5tupleIJPSA_SM_EEENSN_IJSM_SM_EEESB_PlJ10is_orderedEEE10hipError_tPvRmT3_T4_T5_T6_T7_T9_mT8_P12ihipStream_tbDpT10_ENKUlT_T0_E_clISt17integral_constantIbLb1EES1B_IbLb0EEEEDaS17_S18_EUlS17_E_NS1_11comp_targetILNS1_3genE10ELNS1_11target_archE1200ELNS1_3gpuE4ELNS1_3repE0EEENS1_30default_config_static_selectorELNS0_4arch9wavefront6targetE1EEEvT1_,"axG",@progbits,_ZN7rocprim17ROCPRIM_400000_NS6detail17trampoline_kernelINS0_14default_configENS1_25partition_config_selectorILNS1_17partition_subalgoE3EN6thrust23THRUST_200600_302600_NS5tupleIssNS7_9null_typeES9_S9_S9_S9_S9_S9_S9_EENS0_10empty_typeEbEEZZNS1_14partition_implILS5_3ELb0ES3_jNS7_6detail15normal_iteratorINS7_7pointerISA_NS7_11hip_rocprim3tagENS7_11use_defaultESJ_EEEEPSB_SM_NS0_5tupleIJPSA_SM_EEENSN_IJSM_SM_EEESB_PlJ10is_orderedEEE10hipError_tPvRmT3_T4_T5_T6_T7_T9_mT8_P12ihipStream_tbDpT10_ENKUlT_T0_E_clISt17integral_constantIbLb1EES1B_IbLb0EEEEDaS17_S18_EUlS17_E_NS1_11comp_targetILNS1_3genE10ELNS1_11target_archE1200ELNS1_3gpuE4ELNS1_3repE0EEENS1_30default_config_static_selectorELNS0_4arch9wavefront6targetE1EEEvT1_,comdat
.Lfunc_end3550:
	.size	_ZN7rocprim17ROCPRIM_400000_NS6detail17trampoline_kernelINS0_14default_configENS1_25partition_config_selectorILNS1_17partition_subalgoE3EN6thrust23THRUST_200600_302600_NS5tupleIssNS7_9null_typeES9_S9_S9_S9_S9_S9_S9_EENS0_10empty_typeEbEEZZNS1_14partition_implILS5_3ELb0ES3_jNS7_6detail15normal_iteratorINS7_7pointerISA_NS7_11hip_rocprim3tagENS7_11use_defaultESJ_EEEEPSB_SM_NS0_5tupleIJPSA_SM_EEENSN_IJSM_SM_EEESB_PlJ10is_orderedEEE10hipError_tPvRmT3_T4_T5_T6_T7_T9_mT8_P12ihipStream_tbDpT10_ENKUlT_T0_E_clISt17integral_constantIbLb1EES1B_IbLb0EEEEDaS17_S18_EUlS17_E_NS1_11comp_targetILNS1_3genE10ELNS1_11target_archE1200ELNS1_3gpuE4ELNS1_3repE0EEENS1_30default_config_static_selectorELNS0_4arch9wavefront6targetE1EEEvT1_, .Lfunc_end3550-_ZN7rocprim17ROCPRIM_400000_NS6detail17trampoline_kernelINS0_14default_configENS1_25partition_config_selectorILNS1_17partition_subalgoE3EN6thrust23THRUST_200600_302600_NS5tupleIssNS7_9null_typeES9_S9_S9_S9_S9_S9_S9_EENS0_10empty_typeEbEEZZNS1_14partition_implILS5_3ELb0ES3_jNS7_6detail15normal_iteratorINS7_7pointerISA_NS7_11hip_rocprim3tagENS7_11use_defaultESJ_EEEEPSB_SM_NS0_5tupleIJPSA_SM_EEENSN_IJSM_SM_EEESB_PlJ10is_orderedEEE10hipError_tPvRmT3_T4_T5_T6_T7_T9_mT8_P12ihipStream_tbDpT10_ENKUlT_T0_E_clISt17integral_constantIbLb1EES1B_IbLb0EEEEDaS17_S18_EUlS17_E_NS1_11comp_targetILNS1_3genE10ELNS1_11target_archE1200ELNS1_3gpuE4ELNS1_3repE0EEENS1_30default_config_static_selectorELNS0_4arch9wavefront6targetE1EEEvT1_
                                        ; -- End function
	.section	.AMDGPU.csdata,"",@progbits
; Kernel info:
; codeLenInByte = 0
; NumSgprs: 6
; NumVgprs: 0
; NumAgprs: 0
; TotalNumVgprs: 0
; ScratchSize: 0
; MemoryBound: 0
; FloatMode: 240
; IeeeMode: 1
; LDSByteSize: 0 bytes/workgroup (compile time only)
; SGPRBlocks: 0
; VGPRBlocks: 0
; NumSGPRsForWavesPerEU: 6
; NumVGPRsForWavesPerEU: 1
; AccumOffset: 4
; Occupancy: 8
; WaveLimiterHint : 0
; COMPUTE_PGM_RSRC2:SCRATCH_EN: 0
; COMPUTE_PGM_RSRC2:USER_SGPR: 2
; COMPUTE_PGM_RSRC2:TRAP_HANDLER: 0
; COMPUTE_PGM_RSRC2:TGID_X_EN: 1
; COMPUTE_PGM_RSRC2:TGID_Y_EN: 0
; COMPUTE_PGM_RSRC2:TGID_Z_EN: 0
; COMPUTE_PGM_RSRC2:TIDIG_COMP_CNT: 0
; COMPUTE_PGM_RSRC3_GFX90A:ACCUM_OFFSET: 0
; COMPUTE_PGM_RSRC3_GFX90A:TG_SPLIT: 0
	.section	.text._ZN7rocprim17ROCPRIM_400000_NS6detail17trampoline_kernelINS0_14default_configENS1_25partition_config_selectorILNS1_17partition_subalgoE3EN6thrust23THRUST_200600_302600_NS5tupleIssNS7_9null_typeES9_S9_S9_S9_S9_S9_S9_EENS0_10empty_typeEbEEZZNS1_14partition_implILS5_3ELb0ES3_jNS7_6detail15normal_iteratorINS7_7pointerISA_NS7_11hip_rocprim3tagENS7_11use_defaultESJ_EEEEPSB_SM_NS0_5tupleIJPSA_SM_EEENSN_IJSM_SM_EEESB_PlJ10is_orderedEEE10hipError_tPvRmT3_T4_T5_T6_T7_T9_mT8_P12ihipStream_tbDpT10_ENKUlT_T0_E_clISt17integral_constantIbLb1EES1B_IbLb0EEEEDaS17_S18_EUlS17_E_NS1_11comp_targetILNS1_3genE9ELNS1_11target_archE1100ELNS1_3gpuE3ELNS1_3repE0EEENS1_30default_config_static_selectorELNS0_4arch9wavefront6targetE1EEEvT1_,"axG",@progbits,_ZN7rocprim17ROCPRIM_400000_NS6detail17trampoline_kernelINS0_14default_configENS1_25partition_config_selectorILNS1_17partition_subalgoE3EN6thrust23THRUST_200600_302600_NS5tupleIssNS7_9null_typeES9_S9_S9_S9_S9_S9_S9_EENS0_10empty_typeEbEEZZNS1_14partition_implILS5_3ELb0ES3_jNS7_6detail15normal_iteratorINS7_7pointerISA_NS7_11hip_rocprim3tagENS7_11use_defaultESJ_EEEEPSB_SM_NS0_5tupleIJPSA_SM_EEENSN_IJSM_SM_EEESB_PlJ10is_orderedEEE10hipError_tPvRmT3_T4_T5_T6_T7_T9_mT8_P12ihipStream_tbDpT10_ENKUlT_T0_E_clISt17integral_constantIbLb1EES1B_IbLb0EEEEDaS17_S18_EUlS17_E_NS1_11comp_targetILNS1_3genE9ELNS1_11target_archE1100ELNS1_3gpuE3ELNS1_3repE0EEENS1_30default_config_static_selectorELNS0_4arch9wavefront6targetE1EEEvT1_,comdat
	.protected	_ZN7rocprim17ROCPRIM_400000_NS6detail17trampoline_kernelINS0_14default_configENS1_25partition_config_selectorILNS1_17partition_subalgoE3EN6thrust23THRUST_200600_302600_NS5tupleIssNS7_9null_typeES9_S9_S9_S9_S9_S9_S9_EENS0_10empty_typeEbEEZZNS1_14partition_implILS5_3ELb0ES3_jNS7_6detail15normal_iteratorINS7_7pointerISA_NS7_11hip_rocprim3tagENS7_11use_defaultESJ_EEEEPSB_SM_NS0_5tupleIJPSA_SM_EEENSN_IJSM_SM_EEESB_PlJ10is_orderedEEE10hipError_tPvRmT3_T4_T5_T6_T7_T9_mT8_P12ihipStream_tbDpT10_ENKUlT_T0_E_clISt17integral_constantIbLb1EES1B_IbLb0EEEEDaS17_S18_EUlS17_E_NS1_11comp_targetILNS1_3genE9ELNS1_11target_archE1100ELNS1_3gpuE3ELNS1_3repE0EEENS1_30default_config_static_selectorELNS0_4arch9wavefront6targetE1EEEvT1_ ; -- Begin function _ZN7rocprim17ROCPRIM_400000_NS6detail17trampoline_kernelINS0_14default_configENS1_25partition_config_selectorILNS1_17partition_subalgoE3EN6thrust23THRUST_200600_302600_NS5tupleIssNS7_9null_typeES9_S9_S9_S9_S9_S9_S9_EENS0_10empty_typeEbEEZZNS1_14partition_implILS5_3ELb0ES3_jNS7_6detail15normal_iteratorINS7_7pointerISA_NS7_11hip_rocprim3tagENS7_11use_defaultESJ_EEEEPSB_SM_NS0_5tupleIJPSA_SM_EEENSN_IJSM_SM_EEESB_PlJ10is_orderedEEE10hipError_tPvRmT3_T4_T5_T6_T7_T9_mT8_P12ihipStream_tbDpT10_ENKUlT_T0_E_clISt17integral_constantIbLb1EES1B_IbLb0EEEEDaS17_S18_EUlS17_E_NS1_11comp_targetILNS1_3genE9ELNS1_11target_archE1100ELNS1_3gpuE3ELNS1_3repE0EEENS1_30default_config_static_selectorELNS0_4arch9wavefront6targetE1EEEvT1_
	.globl	_ZN7rocprim17ROCPRIM_400000_NS6detail17trampoline_kernelINS0_14default_configENS1_25partition_config_selectorILNS1_17partition_subalgoE3EN6thrust23THRUST_200600_302600_NS5tupleIssNS7_9null_typeES9_S9_S9_S9_S9_S9_S9_EENS0_10empty_typeEbEEZZNS1_14partition_implILS5_3ELb0ES3_jNS7_6detail15normal_iteratorINS7_7pointerISA_NS7_11hip_rocprim3tagENS7_11use_defaultESJ_EEEEPSB_SM_NS0_5tupleIJPSA_SM_EEENSN_IJSM_SM_EEESB_PlJ10is_orderedEEE10hipError_tPvRmT3_T4_T5_T6_T7_T9_mT8_P12ihipStream_tbDpT10_ENKUlT_T0_E_clISt17integral_constantIbLb1EES1B_IbLb0EEEEDaS17_S18_EUlS17_E_NS1_11comp_targetILNS1_3genE9ELNS1_11target_archE1100ELNS1_3gpuE3ELNS1_3repE0EEENS1_30default_config_static_selectorELNS0_4arch9wavefront6targetE1EEEvT1_
	.p2align	8
	.type	_ZN7rocprim17ROCPRIM_400000_NS6detail17trampoline_kernelINS0_14default_configENS1_25partition_config_selectorILNS1_17partition_subalgoE3EN6thrust23THRUST_200600_302600_NS5tupleIssNS7_9null_typeES9_S9_S9_S9_S9_S9_S9_EENS0_10empty_typeEbEEZZNS1_14partition_implILS5_3ELb0ES3_jNS7_6detail15normal_iteratorINS7_7pointerISA_NS7_11hip_rocprim3tagENS7_11use_defaultESJ_EEEEPSB_SM_NS0_5tupleIJPSA_SM_EEENSN_IJSM_SM_EEESB_PlJ10is_orderedEEE10hipError_tPvRmT3_T4_T5_T6_T7_T9_mT8_P12ihipStream_tbDpT10_ENKUlT_T0_E_clISt17integral_constantIbLb1EES1B_IbLb0EEEEDaS17_S18_EUlS17_E_NS1_11comp_targetILNS1_3genE9ELNS1_11target_archE1100ELNS1_3gpuE3ELNS1_3repE0EEENS1_30default_config_static_selectorELNS0_4arch9wavefront6targetE1EEEvT1_,@function
_ZN7rocprim17ROCPRIM_400000_NS6detail17trampoline_kernelINS0_14default_configENS1_25partition_config_selectorILNS1_17partition_subalgoE3EN6thrust23THRUST_200600_302600_NS5tupleIssNS7_9null_typeES9_S9_S9_S9_S9_S9_S9_EENS0_10empty_typeEbEEZZNS1_14partition_implILS5_3ELb0ES3_jNS7_6detail15normal_iteratorINS7_7pointerISA_NS7_11hip_rocprim3tagENS7_11use_defaultESJ_EEEEPSB_SM_NS0_5tupleIJPSA_SM_EEENSN_IJSM_SM_EEESB_PlJ10is_orderedEEE10hipError_tPvRmT3_T4_T5_T6_T7_T9_mT8_P12ihipStream_tbDpT10_ENKUlT_T0_E_clISt17integral_constantIbLb1EES1B_IbLb0EEEEDaS17_S18_EUlS17_E_NS1_11comp_targetILNS1_3genE9ELNS1_11target_archE1100ELNS1_3gpuE3ELNS1_3repE0EEENS1_30default_config_static_selectorELNS0_4arch9wavefront6targetE1EEEvT1_: ; @_ZN7rocprim17ROCPRIM_400000_NS6detail17trampoline_kernelINS0_14default_configENS1_25partition_config_selectorILNS1_17partition_subalgoE3EN6thrust23THRUST_200600_302600_NS5tupleIssNS7_9null_typeES9_S9_S9_S9_S9_S9_S9_EENS0_10empty_typeEbEEZZNS1_14partition_implILS5_3ELb0ES3_jNS7_6detail15normal_iteratorINS7_7pointerISA_NS7_11hip_rocprim3tagENS7_11use_defaultESJ_EEEEPSB_SM_NS0_5tupleIJPSA_SM_EEENSN_IJSM_SM_EEESB_PlJ10is_orderedEEE10hipError_tPvRmT3_T4_T5_T6_T7_T9_mT8_P12ihipStream_tbDpT10_ENKUlT_T0_E_clISt17integral_constantIbLb1EES1B_IbLb0EEEEDaS17_S18_EUlS17_E_NS1_11comp_targetILNS1_3genE9ELNS1_11target_archE1100ELNS1_3gpuE3ELNS1_3repE0EEENS1_30default_config_static_selectorELNS0_4arch9wavefront6targetE1EEEvT1_
; %bb.0:
	.section	.rodata,"a",@progbits
	.p2align	6, 0x0
	.amdhsa_kernel _ZN7rocprim17ROCPRIM_400000_NS6detail17trampoline_kernelINS0_14default_configENS1_25partition_config_selectorILNS1_17partition_subalgoE3EN6thrust23THRUST_200600_302600_NS5tupleIssNS7_9null_typeES9_S9_S9_S9_S9_S9_S9_EENS0_10empty_typeEbEEZZNS1_14partition_implILS5_3ELb0ES3_jNS7_6detail15normal_iteratorINS7_7pointerISA_NS7_11hip_rocprim3tagENS7_11use_defaultESJ_EEEEPSB_SM_NS0_5tupleIJPSA_SM_EEENSN_IJSM_SM_EEESB_PlJ10is_orderedEEE10hipError_tPvRmT3_T4_T5_T6_T7_T9_mT8_P12ihipStream_tbDpT10_ENKUlT_T0_E_clISt17integral_constantIbLb1EES1B_IbLb0EEEEDaS17_S18_EUlS17_E_NS1_11comp_targetILNS1_3genE9ELNS1_11target_archE1100ELNS1_3gpuE3ELNS1_3repE0EEENS1_30default_config_static_selectorELNS0_4arch9wavefront6targetE1EEEvT1_
		.amdhsa_group_segment_fixed_size 0
		.amdhsa_private_segment_fixed_size 0
		.amdhsa_kernarg_size 120
		.amdhsa_user_sgpr_count 2
		.amdhsa_user_sgpr_dispatch_ptr 0
		.amdhsa_user_sgpr_queue_ptr 0
		.amdhsa_user_sgpr_kernarg_segment_ptr 1
		.amdhsa_user_sgpr_dispatch_id 0
		.amdhsa_user_sgpr_kernarg_preload_length 0
		.amdhsa_user_sgpr_kernarg_preload_offset 0
		.amdhsa_user_sgpr_private_segment_size 0
		.amdhsa_uses_dynamic_stack 0
		.amdhsa_enable_private_segment 0
		.amdhsa_system_sgpr_workgroup_id_x 1
		.amdhsa_system_sgpr_workgroup_id_y 0
		.amdhsa_system_sgpr_workgroup_id_z 0
		.amdhsa_system_sgpr_workgroup_info 0
		.amdhsa_system_vgpr_workitem_id 0
		.amdhsa_next_free_vgpr 1
		.amdhsa_next_free_sgpr 0
		.amdhsa_accum_offset 4
		.amdhsa_reserve_vcc 0
		.amdhsa_float_round_mode_32 0
		.amdhsa_float_round_mode_16_64 0
		.amdhsa_float_denorm_mode_32 3
		.amdhsa_float_denorm_mode_16_64 3
		.amdhsa_dx10_clamp 1
		.amdhsa_ieee_mode 1
		.amdhsa_fp16_overflow 0
		.amdhsa_tg_split 0
		.amdhsa_exception_fp_ieee_invalid_op 0
		.amdhsa_exception_fp_denorm_src 0
		.amdhsa_exception_fp_ieee_div_zero 0
		.amdhsa_exception_fp_ieee_overflow 0
		.amdhsa_exception_fp_ieee_underflow 0
		.amdhsa_exception_fp_ieee_inexact 0
		.amdhsa_exception_int_div_zero 0
	.end_amdhsa_kernel
	.section	.text._ZN7rocprim17ROCPRIM_400000_NS6detail17trampoline_kernelINS0_14default_configENS1_25partition_config_selectorILNS1_17partition_subalgoE3EN6thrust23THRUST_200600_302600_NS5tupleIssNS7_9null_typeES9_S9_S9_S9_S9_S9_S9_EENS0_10empty_typeEbEEZZNS1_14partition_implILS5_3ELb0ES3_jNS7_6detail15normal_iteratorINS7_7pointerISA_NS7_11hip_rocprim3tagENS7_11use_defaultESJ_EEEEPSB_SM_NS0_5tupleIJPSA_SM_EEENSN_IJSM_SM_EEESB_PlJ10is_orderedEEE10hipError_tPvRmT3_T4_T5_T6_T7_T9_mT8_P12ihipStream_tbDpT10_ENKUlT_T0_E_clISt17integral_constantIbLb1EES1B_IbLb0EEEEDaS17_S18_EUlS17_E_NS1_11comp_targetILNS1_3genE9ELNS1_11target_archE1100ELNS1_3gpuE3ELNS1_3repE0EEENS1_30default_config_static_selectorELNS0_4arch9wavefront6targetE1EEEvT1_,"axG",@progbits,_ZN7rocprim17ROCPRIM_400000_NS6detail17trampoline_kernelINS0_14default_configENS1_25partition_config_selectorILNS1_17partition_subalgoE3EN6thrust23THRUST_200600_302600_NS5tupleIssNS7_9null_typeES9_S9_S9_S9_S9_S9_S9_EENS0_10empty_typeEbEEZZNS1_14partition_implILS5_3ELb0ES3_jNS7_6detail15normal_iteratorINS7_7pointerISA_NS7_11hip_rocprim3tagENS7_11use_defaultESJ_EEEEPSB_SM_NS0_5tupleIJPSA_SM_EEENSN_IJSM_SM_EEESB_PlJ10is_orderedEEE10hipError_tPvRmT3_T4_T5_T6_T7_T9_mT8_P12ihipStream_tbDpT10_ENKUlT_T0_E_clISt17integral_constantIbLb1EES1B_IbLb0EEEEDaS17_S18_EUlS17_E_NS1_11comp_targetILNS1_3genE9ELNS1_11target_archE1100ELNS1_3gpuE3ELNS1_3repE0EEENS1_30default_config_static_selectorELNS0_4arch9wavefront6targetE1EEEvT1_,comdat
.Lfunc_end3551:
	.size	_ZN7rocprim17ROCPRIM_400000_NS6detail17trampoline_kernelINS0_14default_configENS1_25partition_config_selectorILNS1_17partition_subalgoE3EN6thrust23THRUST_200600_302600_NS5tupleIssNS7_9null_typeES9_S9_S9_S9_S9_S9_S9_EENS0_10empty_typeEbEEZZNS1_14partition_implILS5_3ELb0ES3_jNS7_6detail15normal_iteratorINS7_7pointerISA_NS7_11hip_rocprim3tagENS7_11use_defaultESJ_EEEEPSB_SM_NS0_5tupleIJPSA_SM_EEENSN_IJSM_SM_EEESB_PlJ10is_orderedEEE10hipError_tPvRmT3_T4_T5_T6_T7_T9_mT8_P12ihipStream_tbDpT10_ENKUlT_T0_E_clISt17integral_constantIbLb1EES1B_IbLb0EEEEDaS17_S18_EUlS17_E_NS1_11comp_targetILNS1_3genE9ELNS1_11target_archE1100ELNS1_3gpuE3ELNS1_3repE0EEENS1_30default_config_static_selectorELNS0_4arch9wavefront6targetE1EEEvT1_, .Lfunc_end3551-_ZN7rocprim17ROCPRIM_400000_NS6detail17trampoline_kernelINS0_14default_configENS1_25partition_config_selectorILNS1_17partition_subalgoE3EN6thrust23THRUST_200600_302600_NS5tupleIssNS7_9null_typeES9_S9_S9_S9_S9_S9_S9_EENS0_10empty_typeEbEEZZNS1_14partition_implILS5_3ELb0ES3_jNS7_6detail15normal_iteratorINS7_7pointerISA_NS7_11hip_rocprim3tagENS7_11use_defaultESJ_EEEEPSB_SM_NS0_5tupleIJPSA_SM_EEENSN_IJSM_SM_EEESB_PlJ10is_orderedEEE10hipError_tPvRmT3_T4_T5_T6_T7_T9_mT8_P12ihipStream_tbDpT10_ENKUlT_T0_E_clISt17integral_constantIbLb1EES1B_IbLb0EEEEDaS17_S18_EUlS17_E_NS1_11comp_targetILNS1_3genE9ELNS1_11target_archE1100ELNS1_3gpuE3ELNS1_3repE0EEENS1_30default_config_static_selectorELNS0_4arch9wavefront6targetE1EEEvT1_
                                        ; -- End function
	.section	.AMDGPU.csdata,"",@progbits
; Kernel info:
; codeLenInByte = 0
; NumSgprs: 6
; NumVgprs: 0
; NumAgprs: 0
; TotalNumVgprs: 0
; ScratchSize: 0
; MemoryBound: 0
; FloatMode: 240
; IeeeMode: 1
; LDSByteSize: 0 bytes/workgroup (compile time only)
; SGPRBlocks: 0
; VGPRBlocks: 0
; NumSGPRsForWavesPerEU: 6
; NumVGPRsForWavesPerEU: 1
; AccumOffset: 4
; Occupancy: 8
; WaveLimiterHint : 0
; COMPUTE_PGM_RSRC2:SCRATCH_EN: 0
; COMPUTE_PGM_RSRC2:USER_SGPR: 2
; COMPUTE_PGM_RSRC2:TRAP_HANDLER: 0
; COMPUTE_PGM_RSRC2:TGID_X_EN: 1
; COMPUTE_PGM_RSRC2:TGID_Y_EN: 0
; COMPUTE_PGM_RSRC2:TGID_Z_EN: 0
; COMPUTE_PGM_RSRC2:TIDIG_COMP_CNT: 0
; COMPUTE_PGM_RSRC3_GFX90A:ACCUM_OFFSET: 0
; COMPUTE_PGM_RSRC3_GFX90A:TG_SPLIT: 0
	.section	.text._ZN7rocprim17ROCPRIM_400000_NS6detail17trampoline_kernelINS0_14default_configENS1_25partition_config_selectorILNS1_17partition_subalgoE3EN6thrust23THRUST_200600_302600_NS5tupleIssNS7_9null_typeES9_S9_S9_S9_S9_S9_S9_EENS0_10empty_typeEbEEZZNS1_14partition_implILS5_3ELb0ES3_jNS7_6detail15normal_iteratorINS7_7pointerISA_NS7_11hip_rocprim3tagENS7_11use_defaultESJ_EEEEPSB_SM_NS0_5tupleIJPSA_SM_EEENSN_IJSM_SM_EEESB_PlJ10is_orderedEEE10hipError_tPvRmT3_T4_T5_T6_T7_T9_mT8_P12ihipStream_tbDpT10_ENKUlT_T0_E_clISt17integral_constantIbLb1EES1B_IbLb0EEEEDaS17_S18_EUlS17_E_NS1_11comp_targetILNS1_3genE8ELNS1_11target_archE1030ELNS1_3gpuE2ELNS1_3repE0EEENS1_30default_config_static_selectorELNS0_4arch9wavefront6targetE1EEEvT1_,"axG",@progbits,_ZN7rocprim17ROCPRIM_400000_NS6detail17trampoline_kernelINS0_14default_configENS1_25partition_config_selectorILNS1_17partition_subalgoE3EN6thrust23THRUST_200600_302600_NS5tupleIssNS7_9null_typeES9_S9_S9_S9_S9_S9_S9_EENS0_10empty_typeEbEEZZNS1_14partition_implILS5_3ELb0ES3_jNS7_6detail15normal_iteratorINS7_7pointerISA_NS7_11hip_rocprim3tagENS7_11use_defaultESJ_EEEEPSB_SM_NS0_5tupleIJPSA_SM_EEENSN_IJSM_SM_EEESB_PlJ10is_orderedEEE10hipError_tPvRmT3_T4_T5_T6_T7_T9_mT8_P12ihipStream_tbDpT10_ENKUlT_T0_E_clISt17integral_constantIbLb1EES1B_IbLb0EEEEDaS17_S18_EUlS17_E_NS1_11comp_targetILNS1_3genE8ELNS1_11target_archE1030ELNS1_3gpuE2ELNS1_3repE0EEENS1_30default_config_static_selectorELNS0_4arch9wavefront6targetE1EEEvT1_,comdat
	.protected	_ZN7rocprim17ROCPRIM_400000_NS6detail17trampoline_kernelINS0_14default_configENS1_25partition_config_selectorILNS1_17partition_subalgoE3EN6thrust23THRUST_200600_302600_NS5tupleIssNS7_9null_typeES9_S9_S9_S9_S9_S9_S9_EENS0_10empty_typeEbEEZZNS1_14partition_implILS5_3ELb0ES3_jNS7_6detail15normal_iteratorINS7_7pointerISA_NS7_11hip_rocprim3tagENS7_11use_defaultESJ_EEEEPSB_SM_NS0_5tupleIJPSA_SM_EEENSN_IJSM_SM_EEESB_PlJ10is_orderedEEE10hipError_tPvRmT3_T4_T5_T6_T7_T9_mT8_P12ihipStream_tbDpT10_ENKUlT_T0_E_clISt17integral_constantIbLb1EES1B_IbLb0EEEEDaS17_S18_EUlS17_E_NS1_11comp_targetILNS1_3genE8ELNS1_11target_archE1030ELNS1_3gpuE2ELNS1_3repE0EEENS1_30default_config_static_selectorELNS0_4arch9wavefront6targetE1EEEvT1_ ; -- Begin function _ZN7rocprim17ROCPRIM_400000_NS6detail17trampoline_kernelINS0_14default_configENS1_25partition_config_selectorILNS1_17partition_subalgoE3EN6thrust23THRUST_200600_302600_NS5tupleIssNS7_9null_typeES9_S9_S9_S9_S9_S9_S9_EENS0_10empty_typeEbEEZZNS1_14partition_implILS5_3ELb0ES3_jNS7_6detail15normal_iteratorINS7_7pointerISA_NS7_11hip_rocprim3tagENS7_11use_defaultESJ_EEEEPSB_SM_NS0_5tupleIJPSA_SM_EEENSN_IJSM_SM_EEESB_PlJ10is_orderedEEE10hipError_tPvRmT3_T4_T5_T6_T7_T9_mT8_P12ihipStream_tbDpT10_ENKUlT_T0_E_clISt17integral_constantIbLb1EES1B_IbLb0EEEEDaS17_S18_EUlS17_E_NS1_11comp_targetILNS1_3genE8ELNS1_11target_archE1030ELNS1_3gpuE2ELNS1_3repE0EEENS1_30default_config_static_selectorELNS0_4arch9wavefront6targetE1EEEvT1_
	.globl	_ZN7rocprim17ROCPRIM_400000_NS6detail17trampoline_kernelINS0_14default_configENS1_25partition_config_selectorILNS1_17partition_subalgoE3EN6thrust23THRUST_200600_302600_NS5tupleIssNS7_9null_typeES9_S9_S9_S9_S9_S9_S9_EENS0_10empty_typeEbEEZZNS1_14partition_implILS5_3ELb0ES3_jNS7_6detail15normal_iteratorINS7_7pointerISA_NS7_11hip_rocprim3tagENS7_11use_defaultESJ_EEEEPSB_SM_NS0_5tupleIJPSA_SM_EEENSN_IJSM_SM_EEESB_PlJ10is_orderedEEE10hipError_tPvRmT3_T4_T5_T6_T7_T9_mT8_P12ihipStream_tbDpT10_ENKUlT_T0_E_clISt17integral_constantIbLb1EES1B_IbLb0EEEEDaS17_S18_EUlS17_E_NS1_11comp_targetILNS1_3genE8ELNS1_11target_archE1030ELNS1_3gpuE2ELNS1_3repE0EEENS1_30default_config_static_selectorELNS0_4arch9wavefront6targetE1EEEvT1_
	.p2align	8
	.type	_ZN7rocprim17ROCPRIM_400000_NS6detail17trampoline_kernelINS0_14default_configENS1_25partition_config_selectorILNS1_17partition_subalgoE3EN6thrust23THRUST_200600_302600_NS5tupleIssNS7_9null_typeES9_S9_S9_S9_S9_S9_S9_EENS0_10empty_typeEbEEZZNS1_14partition_implILS5_3ELb0ES3_jNS7_6detail15normal_iteratorINS7_7pointerISA_NS7_11hip_rocprim3tagENS7_11use_defaultESJ_EEEEPSB_SM_NS0_5tupleIJPSA_SM_EEENSN_IJSM_SM_EEESB_PlJ10is_orderedEEE10hipError_tPvRmT3_T4_T5_T6_T7_T9_mT8_P12ihipStream_tbDpT10_ENKUlT_T0_E_clISt17integral_constantIbLb1EES1B_IbLb0EEEEDaS17_S18_EUlS17_E_NS1_11comp_targetILNS1_3genE8ELNS1_11target_archE1030ELNS1_3gpuE2ELNS1_3repE0EEENS1_30default_config_static_selectorELNS0_4arch9wavefront6targetE1EEEvT1_,@function
_ZN7rocprim17ROCPRIM_400000_NS6detail17trampoline_kernelINS0_14default_configENS1_25partition_config_selectorILNS1_17partition_subalgoE3EN6thrust23THRUST_200600_302600_NS5tupleIssNS7_9null_typeES9_S9_S9_S9_S9_S9_S9_EENS0_10empty_typeEbEEZZNS1_14partition_implILS5_3ELb0ES3_jNS7_6detail15normal_iteratorINS7_7pointerISA_NS7_11hip_rocprim3tagENS7_11use_defaultESJ_EEEEPSB_SM_NS0_5tupleIJPSA_SM_EEENSN_IJSM_SM_EEESB_PlJ10is_orderedEEE10hipError_tPvRmT3_T4_T5_T6_T7_T9_mT8_P12ihipStream_tbDpT10_ENKUlT_T0_E_clISt17integral_constantIbLb1EES1B_IbLb0EEEEDaS17_S18_EUlS17_E_NS1_11comp_targetILNS1_3genE8ELNS1_11target_archE1030ELNS1_3gpuE2ELNS1_3repE0EEENS1_30default_config_static_selectorELNS0_4arch9wavefront6targetE1EEEvT1_: ; @_ZN7rocprim17ROCPRIM_400000_NS6detail17trampoline_kernelINS0_14default_configENS1_25partition_config_selectorILNS1_17partition_subalgoE3EN6thrust23THRUST_200600_302600_NS5tupleIssNS7_9null_typeES9_S9_S9_S9_S9_S9_S9_EENS0_10empty_typeEbEEZZNS1_14partition_implILS5_3ELb0ES3_jNS7_6detail15normal_iteratorINS7_7pointerISA_NS7_11hip_rocprim3tagENS7_11use_defaultESJ_EEEEPSB_SM_NS0_5tupleIJPSA_SM_EEENSN_IJSM_SM_EEESB_PlJ10is_orderedEEE10hipError_tPvRmT3_T4_T5_T6_T7_T9_mT8_P12ihipStream_tbDpT10_ENKUlT_T0_E_clISt17integral_constantIbLb1EES1B_IbLb0EEEEDaS17_S18_EUlS17_E_NS1_11comp_targetILNS1_3genE8ELNS1_11target_archE1030ELNS1_3gpuE2ELNS1_3repE0EEENS1_30default_config_static_selectorELNS0_4arch9wavefront6targetE1EEEvT1_
; %bb.0:
	.section	.rodata,"a",@progbits
	.p2align	6, 0x0
	.amdhsa_kernel _ZN7rocprim17ROCPRIM_400000_NS6detail17trampoline_kernelINS0_14default_configENS1_25partition_config_selectorILNS1_17partition_subalgoE3EN6thrust23THRUST_200600_302600_NS5tupleIssNS7_9null_typeES9_S9_S9_S9_S9_S9_S9_EENS0_10empty_typeEbEEZZNS1_14partition_implILS5_3ELb0ES3_jNS7_6detail15normal_iteratorINS7_7pointerISA_NS7_11hip_rocprim3tagENS7_11use_defaultESJ_EEEEPSB_SM_NS0_5tupleIJPSA_SM_EEENSN_IJSM_SM_EEESB_PlJ10is_orderedEEE10hipError_tPvRmT3_T4_T5_T6_T7_T9_mT8_P12ihipStream_tbDpT10_ENKUlT_T0_E_clISt17integral_constantIbLb1EES1B_IbLb0EEEEDaS17_S18_EUlS17_E_NS1_11comp_targetILNS1_3genE8ELNS1_11target_archE1030ELNS1_3gpuE2ELNS1_3repE0EEENS1_30default_config_static_selectorELNS0_4arch9wavefront6targetE1EEEvT1_
		.amdhsa_group_segment_fixed_size 0
		.amdhsa_private_segment_fixed_size 0
		.amdhsa_kernarg_size 120
		.amdhsa_user_sgpr_count 2
		.amdhsa_user_sgpr_dispatch_ptr 0
		.amdhsa_user_sgpr_queue_ptr 0
		.amdhsa_user_sgpr_kernarg_segment_ptr 1
		.amdhsa_user_sgpr_dispatch_id 0
		.amdhsa_user_sgpr_kernarg_preload_length 0
		.amdhsa_user_sgpr_kernarg_preload_offset 0
		.amdhsa_user_sgpr_private_segment_size 0
		.amdhsa_uses_dynamic_stack 0
		.amdhsa_enable_private_segment 0
		.amdhsa_system_sgpr_workgroup_id_x 1
		.amdhsa_system_sgpr_workgroup_id_y 0
		.amdhsa_system_sgpr_workgroup_id_z 0
		.amdhsa_system_sgpr_workgroup_info 0
		.amdhsa_system_vgpr_workitem_id 0
		.amdhsa_next_free_vgpr 1
		.amdhsa_next_free_sgpr 0
		.amdhsa_accum_offset 4
		.amdhsa_reserve_vcc 0
		.amdhsa_float_round_mode_32 0
		.amdhsa_float_round_mode_16_64 0
		.amdhsa_float_denorm_mode_32 3
		.amdhsa_float_denorm_mode_16_64 3
		.amdhsa_dx10_clamp 1
		.amdhsa_ieee_mode 1
		.amdhsa_fp16_overflow 0
		.amdhsa_tg_split 0
		.amdhsa_exception_fp_ieee_invalid_op 0
		.amdhsa_exception_fp_denorm_src 0
		.amdhsa_exception_fp_ieee_div_zero 0
		.amdhsa_exception_fp_ieee_overflow 0
		.amdhsa_exception_fp_ieee_underflow 0
		.amdhsa_exception_fp_ieee_inexact 0
		.amdhsa_exception_int_div_zero 0
	.end_amdhsa_kernel
	.section	.text._ZN7rocprim17ROCPRIM_400000_NS6detail17trampoline_kernelINS0_14default_configENS1_25partition_config_selectorILNS1_17partition_subalgoE3EN6thrust23THRUST_200600_302600_NS5tupleIssNS7_9null_typeES9_S9_S9_S9_S9_S9_S9_EENS0_10empty_typeEbEEZZNS1_14partition_implILS5_3ELb0ES3_jNS7_6detail15normal_iteratorINS7_7pointerISA_NS7_11hip_rocprim3tagENS7_11use_defaultESJ_EEEEPSB_SM_NS0_5tupleIJPSA_SM_EEENSN_IJSM_SM_EEESB_PlJ10is_orderedEEE10hipError_tPvRmT3_T4_T5_T6_T7_T9_mT8_P12ihipStream_tbDpT10_ENKUlT_T0_E_clISt17integral_constantIbLb1EES1B_IbLb0EEEEDaS17_S18_EUlS17_E_NS1_11comp_targetILNS1_3genE8ELNS1_11target_archE1030ELNS1_3gpuE2ELNS1_3repE0EEENS1_30default_config_static_selectorELNS0_4arch9wavefront6targetE1EEEvT1_,"axG",@progbits,_ZN7rocprim17ROCPRIM_400000_NS6detail17trampoline_kernelINS0_14default_configENS1_25partition_config_selectorILNS1_17partition_subalgoE3EN6thrust23THRUST_200600_302600_NS5tupleIssNS7_9null_typeES9_S9_S9_S9_S9_S9_S9_EENS0_10empty_typeEbEEZZNS1_14partition_implILS5_3ELb0ES3_jNS7_6detail15normal_iteratorINS7_7pointerISA_NS7_11hip_rocprim3tagENS7_11use_defaultESJ_EEEEPSB_SM_NS0_5tupleIJPSA_SM_EEENSN_IJSM_SM_EEESB_PlJ10is_orderedEEE10hipError_tPvRmT3_T4_T5_T6_T7_T9_mT8_P12ihipStream_tbDpT10_ENKUlT_T0_E_clISt17integral_constantIbLb1EES1B_IbLb0EEEEDaS17_S18_EUlS17_E_NS1_11comp_targetILNS1_3genE8ELNS1_11target_archE1030ELNS1_3gpuE2ELNS1_3repE0EEENS1_30default_config_static_selectorELNS0_4arch9wavefront6targetE1EEEvT1_,comdat
.Lfunc_end3552:
	.size	_ZN7rocprim17ROCPRIM_400000_NS6detail17trampoline_kernelINS0_14default_configENS1_25partition_config_selectorILNS1_17partition_subalgoE3EN6thrust23THRUST_200600_302600_NS5tupleIssNS7_9null_typeES9_S9_S9_S9_S9_S9_S9_EENS0_10empty_typeEbEEZZNS1_14partition_implILS5_3ELb0ES3_jNS7_6detail15normal_iteratorINS7_7pointerISA_NS7_11hip_rocprim3tagENS7_11use_defaultESJ_EEEEPSB_SM_NS0_5tupleIJPSA_SM_EEENSN_IJSM_SM_EEESB_PlJ10is_orderedEEE10hipError_tPvRmT3_T4_T5_T6_T7_T9_mT8_P12ihipStream_tbDpT10_ENKUlT_T0_E_clISt17integral_constantIbLb1EES1B_IbLb0EEEEDaS17_S18_EUlS17_E_NS1_11comp_targetILNS1_3genE8ELNS1_11target_archE1030ELNS1_3gpuE2ELNS1_3repE0EEENS1_30default_config_static_selectorELNS0_4arch9wavefront6targetE1EEEvT1_, .Lfunc_end3552-_ZN7rocprim17ROCPRIM_400000_NS6detail17trampoline_kernelINS0_14default_configENS1_25partition_config_selectorILNS1_17partition_subalgoE3EN6thrust23THRUST_200600_302600_NS5tupleIssNS7_9null_typeES9_S9_S9_S9_S9_S9_S9_EENS0_10empty_typeEbEEZZNS1_14partition_implILS5_3ELb0ES3_jNS7_6detail15normal_iteratorINS7_7pointerISA_NS7_11hip_rocprim3tagENS7_11use_defaultESJ_EEEEPSB_SM_NS0_5tupleIJPSA_SM_EEENSN_IJSM_SM_EEESB_PlJ10is_orderedEEE10hipError_tPvRmT3_T4_T5_T6_T7_T9_mT8_P12ihipStream_tbDpT10_ENKUlT_T0_E_clISt17integral_constantIbLb1EES1B_IbLb0EEEEDaS17_S18_EUlS17_E_NS1_11comp_targetILNS1_3genE8ELNS1_11target_archE1030ELNS1_3gpuE2ELNS1_3repE0EEENS1_30default_config_static_selectorELNS0_4arch9wavefront6targetE1EEEvT1_
                                        ; -- End function
	.section	.AMDGPU.csdata,"",@progbits
; Kernel info:
; codeLenInByte = 0
; NumSgprs: 6
; NumVgprs: 0
; NumAgprs: 0
; TotalNumVgprs: 0
; ScratchSize: 0
; MemoryBound: 0
; FloatMode: 240
; IeeeMode: 1
; LDSByteSize: 0 bytes/workgroup (compile time only)
; SGPRBlocks: 0
; VGPRBlocks: 0
; NumSGPRsForWavesPerEU: 6
; NumVGPRsForWavesPerEU: 1
; AccumOffset: 4
; Occupancy: 8
; WaveLimiterHint : 0
; COMPUTE_PGM_RSRC2:SCRATCH_EN: 0
; COMPUTE_PGM_RSRC2:USER_SGPR: 2
; COMPUTE_PGM_RSRC2:TRAP_HANDLER: 0
; COMPUTE_PGM_RSRC2:TGID_X_EN: 1
; COMPUTE_PGM_RSRC2:TGID_Y_EN: 0
; COMPUTE_PGM_RSRC2:TGID_Z_EN: 0
; COMPUTE_PGM_RSRC2:TIDIG_COMP_CNT: 0
; COMPUTE_PGM_RSRC3_GFX90A:ACCUM_OFFSET: 0
; COMPUTE_PGM_RSRC3_GFX90A:TG_SPLIT: 0
	.section	.text._ZN7rocprim17ROCPRIM_400000_NS6detail17trampoline_kernelINS0_14default_configENS1_25partition_config_selectorILNS1_17partition_subalgoE3EN6thrust23THRUST_200600_302600_NS5tupleIssNS7_9null_typeES9_S9_S9_S9_S9_S9_S9_EENS0_10empty_typeEbEEZZNS1_14partition_implILS5_3ELb0ES3_jNS7_6detail15normal_iteratorINS7_7pointerISA_NS7_11hip_rocprim3tagENS7_11use_defaultESJ_EEEEPSB_SM_NS0_5tupleIJPSA_SM_EEENSN_IJSM_SM_EEESB_PlJ10is_orderedEEE10hipError_tPvRmT3_T4_T5_T6_T7_T9_mT8_P12ihipStream_tbDpT10_ENKUlT_T0_E_clISt17integral_constantIbLb0EES1B_IbLb1EEEEDaS17_S18_EUlS17_E_NS1_11comp_targetILNS1_3genE0ELNS1_11target_archE4294967295ELNS1_3gpuE0ELNS1_3repE0EEENS1_30default_config_static_selectorELNS0_4arch9wavefront6targetE1EEEvT1_,"axG",@progbits,_ZN7rocprim17ROCPRIM_400000_NS6detail17trampoline_kernelINS0_14default_configENS1_25partition_config_selectorILNS1_17partition_subalgoE3EN6thrust23THRUST_200600_302600_NS5tupleIssNS7_9null_typeES9_S9_S9_S9_S9_S9_S9_EENS0_10empty_typeEbEEZZNS1_14partition_implILS5_3ELb0ES3_jNS7_6detail15normal_iteratorINS7_7pointerISA_NS7_11hip_rocprim3tagENS7_11use_defaultESJ_EEEEPSB_SM_NS0_5tupleIJPSA_SM_EEENSN_IJSM_SM_EEESB_PlJ10is_orderedEEE10hipError_tPvRmT3_T4_T5_T6_T7_T9_mT8_P12ihipStream_tbDpT10_ENKUlT_T0_E_clISt17integral_constantIbLb0EES1B_IbLb1EEEEDaS17_S18_EUlS17_E_NS1_11comp_targetILNS1_3genE0ELNS1_11target_archE4294967295ELNS1_3gpuE0ELNS1_3repE0EEENS1_30default_config_static_selectorELNS0_4arch9wavefront6targetE1EEEvT1_,comdat
	.protected	_ZN7rocprim17ROCPRIM_400000_NS6detail17trampoline_kernelINS0_14default_configENS1_25partition_config_selectorILNS1_17partition_subalgoE3EN6thrust23THRUST_200600_302600_NS5tupleIssNS7_9null_typeES9_S9_S9_S9_S9_S9_S9_EENS0_10empty_typeEbEEZZNS1_14partition_implILS5_3ELb0ES3_jNS7_6detail15normal_iteratorINS7_7pointerISA_NS7_11hip_rocprim3tagENS7_11use_defaultESJ_EEEEPSB_SM_NS0_5tupleIJPSA_SM_EEENSN_IJSM_SM_EEESB_PlJ10is_orderedEEE10hipError_tPvRmT3_T4_T5_T6_T7_T9_mT8_P12ihipStream_tbDpT10_ENKUlT_T0_E_clISt17integral_constantIbLb0EES1B_IbLb1EEEEDaS17_S18_EUlS17_E_NS1_11comp_targetILNS1_3genE0ELNS1_11target_archE4294967295ELNS1_3gpuE0ELNS1_3repE0EEENS1_30default_config_static_selectorELNS0_4arch9wavefront6targetE1EEEvT1_ ; -- Begin function _ZN7rocprim17ROCPRIM_400000_NS6detail17trampoline_kernelINS0_14default_configENS1_25partition_config_selectorILNS1_17partition_subalgoE3EN6thrust23THRUST_200600_302600_NS5tupleIssNS7_9null_typeES9_S9_S9_S9_S9_S9_S9_EENS0_10empty_typeEbEEZZNS1_14partition_implILS5_3ELb0ES3_jNS7_6detail15normal_iteratorINS7_7pointerISA_NS7_11hip_rocprim3tagENS7_11use_defaultESJ_EEEEPSB_SM_NS0_5tupleIJPSA_SM_EEENSN_IJSM_SM_EEESB_PlJ10is_orderedEEE10hipError_tPvRmT3_T4_T5_T6_T7_T9_mT8_P12ihipStream_tbDpT10_ENKUlT_T0_E_clISt17integral_constantIbLb0EES1B_IbLb1EEEEDaS17_S18_EUlS17_E_NS1_11comp_targetILNS1_3genE0ELNS1_11target_archE4294967295ELNS1_3gpuE0ELNS1_3repE0EEENS1_30default_config_static_selectorELNS0_4arch9wavefront6targetE1EEEvT1_
	.globl	_ZN7rocprim17ROCPRIM_400000_NS6detail17trampoline_kernelINS0_14default_configENS1_25partition_config_selectorILNS1_17partition_subalgoE3EN6thrust23THRUST_200600_302600_NS5tupleIssNS7_9null_typeES9_S9_S9_S9_S9_S9_S9_EENS0_10empty_typeEbEEZZNS1_14partition_implILS5_3ELb0ES3_jNS7_6detail15normal_iteratorINS7_7pointerISA_NS7_11hip_rocprim3tagENS7_11use_defaultESJ_EEEEPSB_SM_NS0_5tupleIJPSA_SM_EEENSN_IJSM_SM_EEESB_PlJ10is_orderedEEE10hipError_tPvRmT3_T4_T5_T6_T7_T9_mT8_P12ihipStream_tbDpT10_ENKUlT_T0_E_clISt17integral_constantIbLb0EES1B_IbLb1EEEEDaS17_S18_EUlS17_E_NS1_11comp_targetILNS1_3genE0ELNS1_11target_archE4294967295ELNS1_3gpuE0ELNS1_3repE0EEENS1_30default_config_static_selectorELNS0_4arch9wavefront6targetE1EEEvT1_
	.p2align	8
	.type	_ZN7rocprim17ROCPRIM_400000_NS6detail17trampoline_kernelINS0_14default_configENS1_25partition_config_selectorILNS1_17partition_subalgoE3EN6thrust23THRUST_200600_302600_NS5tupleIssNS7_9null_typeES9_S9_S9_S9_S9_S9_S9_EENS0_10empty_typeEbEEZZNS1_14partition_implILS5_3ELb0ES3_jNS7_6detail15normal_iteratorINS7_7pointerISA_NS7_11hip_rocprim3tagENS7_11use_defaultESJ_EEEEPSB_SM_NS0_5tupleIJPSA_SM_EEENSN_IJSM_SM_EEESB_PlJ10is_orderedEEE10hipError_tPvRmT3_T4_T5_T6_T7_T9_mT8_P12ihipStream_tbDpT10_ENKUlT_T0_E_clISt17integral_constantIbLb0EES1B_IbLb1EEEEDaS17_S18_EUlS17_E_NS1_11comp_targetILNS1_3genE0ELNS1_11target_archE4294967295ELNS1_3gpuE0ELNS1_3repE0EEENS1_30default_config_static_selectorELNS0_4arch9wavefront6targetE1EEEvT1_,@function
_ZN7rocprim17ROCPRIM_400000_NS6detail17trampoline_kernelINS0_14default_configENS1_25partition_config_selectorILNS1_17partition_subalgoE3EN6thrust23THRUST_200600_302600_NS5tupleIssNS7_9null_typeES9_S9_S9_S9_S9_S9_S9_EENS0_10empty_typeEbEEZZNS1_14partition_implILS5_3ELb0ES3_jNS7_6detail15normal_iteratorINS7_7pointerISA_NS7_11hip_rocprim3tagENS7_11use_defaultESJ_EEEEPSB_SM_NS0_5tupleIJPSA_SM_EEENSN_IJSM_SM_EEESB_PlJ10is_orderedEEE10hipError_tPvRmT3_T4_T5_T6_T7_T9_mT8_P12ihipStream_tbDpT10_ENKUlT_T0_E_clISt17integral_constantIbLb0EES1B_IbLb1EEEEDaS17_S18_EUlS17_E_NS1_11comp_targetILNS1_3genE0ELNS1_11target_archE4294967295ELNS1_3gpuE0ELNS1_3repE0EEENS1_30default_config_static_selectorELNS0_4arch9wavefront6targetE1EEEvT1_: ; @_ZN7rocprim17ROCPRIM_400000_NS6detail17trampoline_kernelINS0_14default_configENS1_25partition_config_selectorILNS1_17partition_subalgoE3EN6thrust23THRUST_200600_302600_NS5tupleIssNS7_9null_typeES9_S9_S9_S9_S9_S9_S9_EENS0_10empty_typeEbEEZZNS1_14partition_implILS5_3ELb0ES3_jNS7_6detail15normal_iteratorINS7_7pointerISA_NS7_11hip_rocprim3tagENS7_11use_defaultESJ_EEEEPSB_SM_NS0_5tupleIJPSA_SM_EEENSN_IJSM_SM_EEESB_PlJ10is_orderedEEE10hipError_tPvRmT3_T4_T5_T6_T7_T9_mT8_P12ihipStream_tbDpT10_ENKUlT_T0_E_clISt17integral_constantIbLb0EES1B_IbLb1EEEEDaS17_S18_EUlS17_E_NS1_11comp_targetILNS1_3genE0ELNS1_11target_archE4294967295ELNS1_3gpuE0ELNS1_3repE0EEENS1_30default_config_static_selectorELNS0_4arch9wavefront6targetE1EEEvT1_
; %bb.0:
	.section	.rodata,"a",@progbits
	.p2align	6, 0x0
	.amdhsa_kernel _ZN7rocprim17ROCPRIM_400000_NS6detail17trampoline_kernelINS0_14default_configENS1_25partition_config_selectorILNS1_17partition_subalgoE3EN6thrust23THRUST_200600_302600_NS5tupleIssNS7_9null_typeES9_S9_S9_S9_S9_S9_S9_EENS0_10empty_typeEbEEZZNS1_14partition_implILS5_3ELb0ES3_jNS7_6detail15normal_iteratorINS7_7pointerISA_NS7_11hip_rocprim3tagENS7_11use_defaultESJ_EEEEPSB_SM_NS0_5tupleIJPSA_SM_EEENSN_IJSM_SM_EEESB_PlJ10is_orderedEEE10hipError_tPvRmT3_T4_T5_T6_T7_T9_mT8_P12ihipStream_tbDpT10_ENKUlT_T0_E_clISt17integral_constantIbLb0EES1B_IbLb1EEEEDaS17_S18_EUlS17_E_NS1_11comp_targetILNS1_3genE0ELNS1_11target_archE4294967295ELNS1_3gpuE0ELNS1_3repE0EEENS1_30default_config_static_selectorELNS0_4arch9wavefront6targetE1EEEvT1_
		.amdhsa_group_segment_fixed_size 0
		.amdhsa_private_segment_fixed_size 0
		.amdhsa_kernarg_size 136
		.amdhsa_user_sgpr_count 2
		.amdhsa_user_sgpr_dispatch_ptr 0
		.amdhsa_user_sgpr_queue_ptr 0
		.amdhsa_user_sgpr_kernarg_segment_ptr 1
		.amdhsa_user_sgpr_dispatch_id 0
		.amdhsa_user_sgpr_kernarg_preload_length 0
		.amdhsa_user_sgpr_kernarg_preload_offset 0
		.amdhsa_user_sgpr_private_segment_size 0
		.amdhsa_uses_dynamic_stack 0
		.amdhsa_enable_private_segment 0
		.amdhsa_system_sgpr_workgroup_id_x 1
		.amdhsa_system_sgpr_workgroup_id_y 0
		.amdhsa_system_sgpr_workgroup_id_z 0
		.amdhsa_system_sgpr_workgroup_info 0
		.amdhsa_system_vgpr_workitem_id 0
		.amdhsa_next_free_vgpr 1
		.amdhsa_next_free_sgpr 0
		.amdhsa_accum_offset 4
		.amdhsa_reserve_vcc 0
		.amdhsa_float_round_mode_32 0
		.amdhsa_float_round_mode_16_64 0
		.amdhsa_float_denorm_mode_32 3
		.amdhsa_float_denorm_mode_16_64 3
		.amdhsa_dx10_clamp 1
		.amdhsa_ieee_mode 1
		.amdhsa_fp16_overflow 0
		.amdhsa_tg_split 0
		.amdhsa_exception_fp_ieee_invalid_op 0
		.amdhsa_exception_fp_denorm_src 0
		.amdhsa_exception_fp_ieee_div_zero 0
		.amdhsa_exception_fp_ieee_overflow 0
		.amdhsa_exception_fp_ieee_underflow 0
		.amdhsa_exception_fp_ieee_inexact 0
		.amdhsa_exception_int_div_zero 0
	.end_amdhsa_kernel
	.section	.text._ZN7rocprim17ROCPRIM_400000_NS6detail17trampoline_kernelINS0_14default_configENS1_25partition_config_selectorILNS1_17partition_subalgoE3EN6thrust23THRUST_200600_302600_NS5tupleIssNS7_9null_typeES9_S9_S9_S9_S9_S9_S9_EENS0_10empty_typeEbEEZZNS1_14partition_implILS5_3ELb0ES3_jNS7_6detail15normal_iteratorINS7_7pointerISA_NS7_11hip_rocprim3tagENS7_11use_defaultESJ_EEEEPSB_SM_NS0_5tupleIJPSA_SM_EEENSN_IJSM_SM_EEESB_PlJ10is_orderedEEE10hipError_tPvRmT3_T4_T5_T6_T7_T9_mT8_P12ihipStream_tbDpT10_ENKUlT_T0_E_clISt17integral_constantIbLb0EES1B_IbLb1EEEEDaS17_S18_EUlS17_E_NS1_11comp_targetILNS1_3genE0ELNS1_11target_archE4294967295ELNS1_3gpuE0ELNS1_3repE0EEENS1_30default_config_static_selectorELNS0_4arch9wavefront6targetE1EEEvT1_,"axG",@progbits,_ZN7rocprim17ROCPRIM_400000_NS6detail17trampoline_kernelINS0_14default_configENS1_25partition_config_selectorILNS1_17partition_subalgoE3EN6thrust23THRUST_200600_302600_NS5tupleIssNS7_9null_typeES9_S9_S9_S9_S9_S9_S9_EENS0_10empty_typeEbEEZZNS1_14partition_implILS5_3ELb0ES3_jNS7_6detail15normal_iteratorINS7_7pointerISA_NS7_11hip_rocprim3tagENS7_11use_defaultESJ_EEEEPSB_SM_NS0_5tupleIJPSA_SM_EEENSN_IJSM_SM_EEESB_PlJ10is_orderedEEE10hipError_tPvRmT3_T4_T5_T6_T7_T9_mT8_P12ihipStream_tbDpT10_ENKUlT_T0_E_clISt17integral_constantIbLb0EES1B_IbLb1EEEEDaS17_S18_EUlS17_E_NS1_11comp_targetILNS1_3genE0ELNS1_11target_archE4294967295ELNS1_3gpuE0ELNS1_3repE0EEENS1_30default_config_static_selectorELNS0_4arch9wavefront6targetE1EEEvT1_,comdat
.Lfunc_end3553:
	.size	_ZN7rocprim17ROCPRIM_400000_NS6detail17trampoline_kernelINS0_14default_configENS1_25partition_config_selectorILNS1_17partition_subalgoE3EN6thrust23THRUST_200600_302600_NS5tupleIssNS7_9null_typeES9_S9_S9_S9_S9_S9_S9_EENS0_10empty_typeEbEEZZNS1_14partition_implILS5_3ELb0ES3_jNS7_6detail15normal_iteratorINS7_7pointerISA_NS7_11hip_rocprim3tagENS7_11use_defaultESJ_EEEEPSB_SM_NS0_5tupleIJPSA_SM_EEENSN_IJSM_SM_EEESB_PlJ10is_orderedEEE10hipError_tPvRmT3_T4_T5_T6_T7_T9_mT8_P12ihipStream_tbDpT10_ENKUlT_T0_E_clISt17integral_constantIbLb0EES1B_IbLb1EEEEDaS17_S18_EUlS17_E_NS1_11comp_targetILNS1_3genE0ELNS1_11target_archE4294967295ELNS1_3gpuE0ELNS1_3repE0EEENS1_30default_config_static_selectorELNS0_4arch9wavefront6targetE1EEEvT1_, .Lfunc_end3553-_ZN7rocprim17ROCPRIM_400000_NS6detail17trampoline_kernelINS0_14default_configENS1_25partition_config_selectorILNS1_17partition_subalgoE3EN6thrust23THRUST_200600_302600_NS5tupleIssNS7_9null_typeES9_S9_S9_S9_S9_S9_S9_EENS0_10empty_typeEbEEZZNS1_14partition_implILS5_3ELb0ES3_jNS7_6detail15normal_iteratorINS7_7pointerISA_NS7_11hip_rocprim3tagENS7_11use_defaultESJ_EEEEPSB_SM_NS0_5tupleIJPSA_SM_EEENSN_IJSM_SM_EEESB_PlJ10is_orderedEEE10hipError_tPvRmT3_T4_T5_T6_T7_T9_mT8_P12ihipStream_tbDpT10_ENKUlT_T0_E_clISt17integral_constantIbLb0EES1B_IbLb1EEEEDaS17_S18_EUlS17_E_NS1_11comp_targetILNS1_3genE0ELNS1_11target_archE4294967295ELNS1_3gpuE0ELNS1_3repE0EEENS1_30default_config_static_selectorELNS0_4arch9wavefront6targetE1EEEvT1_
                                        ; -- End function
	.section	.AMDGPU.csdata,"",@progbits
; Kernel info:
; codeLenInByte = 0
; NumSgprs: 6
; NumVgprs: 0
; NumAgprs: 0
; TotalNumVgprs: 0
; ScratchSize: 0
; MemoryBound: 0
; FloatMode: 240
; IeeeMode: 1
; LDSByteSize: 0 bytes/workgroup (compile time only)
; SGPRBlocks: 0
; VGPRBlocks: 0
; NumSGPRsForWavesPerEU: 6
; NumVGPRsForWavesPerEU: 1
; AccumOffset: 4
; Occupancy: 8
; WaveLimiterHint : 0
; COMPUTE_PGM_RSRC2:SCRATCH_EN: 0
; COMPUTE_PGM_RSRC2:USER_SGPR: 2
; COMPUTE_PGM_RSRC2:TRAP_HANDLER: 0
; COMPUTE_PGM_RSRC2:TGID_X_EN: 1
; COMPUTE_PGM_RSRC2:TGID_Y_EN: 0
; COMPUTE_PGM_RSRC2:TGID_Z_EN: 0
; COMPUTE_PGM_RSRC2:TIDIG_COMP_CNT: 0
; COMPUTE_PGM_RSRC3_GFX90A:ACCUM_OFFSET: 0
; COMPUTE_PGM_RSRC3_GFX90A:TG_SPLIT: 0
	.section	.text._ZN7rocprim17ROCPRIM_400000_NS6detail17trampoline_kernelINS0_14default_configENS1_25partition_config_selectorILNS1_17partition_subalgoE3EN6thrust23THRUST_200600_302600_NS5tupleIssNS7_9null_typeES9_S9_S9_S9_S9_S9_S9_EENS0_10empty_typeEbEEZZNS1_14partition_implILS5_3ELb0ES3_jNS7_6detail15normal_iteratorINS7_7pointerISA_NS7_11hip_rocprim3tagENS7_11use_defaultESJ_EEEEPSB_SM_NS0_5tupleIJPSA_SM_EEENSN_IJSM_SM_EEESB_PlJ10is_orderedEEE10hipError_tPvRmT3_T4_T5_T6_T7_T9_mT8_P12ihipStream_tbDpT10_ENKUlT_T0_E_clISt17integral_constantIbLb0EES1B_IbLb1EEEEDaS17_S18_EUlS17_E_NS1_11comp_targetILNS1_3genE5ELNS1_11target_archE942ELNS1_3gpuE9ELNS1_3repE0EEENS1_30default_config_static_selectorELNS0_4arch9wavefront6targetE1EEEvT1_,"axG",@progbits,_ZN7rocprim17ROCPRIM_400000_NS6detail17trampoline_kernelINS0_14default_configENS1_25partition_config_selectorILNS1_17partition_subalgoE3EN6thrust23THRUST_200600_302600_NS5tupleIssNS7_9null_typeES9_S9_S9_S9_S9_S9_S9_EENS0_10empty_typeEbEEZZNS1_14partition_implILS5_3ELb0ES3_jNS7_6detail15normal_iteratorINS7_7pointerISA_NS7_11hip_rocprim3tagENS7_11use_defaultESJ_EEEEPSB_SM_NS0_5tupleIJPSA_SM_EEENSN_IJSM_SM_EEESB_PlJ10is_orderedEEE10hipError_tPvRmT3_T4_T5_T6_T7_T9_mT8_P12ihipStream_tbDpT10_ENKUlT_T0_E_clISt17integral_constantIbLb0EES1B_IbLb1EEEEDaS17_S18_EUlS17_E_NS1_11comp_targetILNS1_3genE5ELNS1_11target_archE942ELNS1_3gpuE9ELNS1_3repE0EEENS1_30default_config_static_selectorELNS0_4arch9wavefront6targetE1EEEvT1_,comdat
	.protected	_ZN7rocprim17ROCPRIM_400000_NS6detail17trampoline_kernelINS0_14default_configENS1_25partition_config_selectorILNS1_17partition_subalgoE3EN6thrust23THRUST_200600_302600_NS5tupleIssNS7_9null_typeES9_S9_S9_S9_S9_S9_S9_EENS0_10empty_typeEbEEZZNS1_14partition_implILS5_3ELb0ES3_jNS7_6detail15normal_iteratorINS7_7pointerISA_NS7_11hip_rocprim3tagENS7_11use_defaultESJ_EEEEPSB_SM_NS0_5tupleIJPSA_SM_EEENSN_IJSM_SM_EEESB_PlJ10is_orderedEEE10hipError_tPvRmT3_T4_T5_T6_T7_T9_mT8_P12ihipStream_tbDpT10_ENKUlT_T0_E_clISt17integral_constantIbLb0EES1B_IbLb1EEEEDaS17_S18_EUlS17_E_NS1_11comp_targetILNS1_3genE5ELNS1_11target_archE942ELNS1_3gpuE9ELNS1_3repE0EEENS1_30default_config_static_selectorELNS0_4arch9wavefront6targetE1EEEvT1_ ; -- Begin function _ZN7rocprim17ROCPRIM_400000_NS6detail17trampoline_kernelINS0_14default_configENS1_25partition_config_selectorILNS1_17partition_subalgoE3EN6thrust23THRUST_200600_302600_NS5tupleIssNS7_9null_typeES9_S9_S9_S9_S9_S9_S9_EENS0_10empty_typeEbEEZZNS1_14partition_implILS5_3ELb0ES3_jNS7_6detail15normal_iteratorINS7_7pointerISA_NS7_11hip_rocprim3tagENS7_11use_defaultESJ_EEEEPSB_SM_NS0_5tupleIJPSA_SM_EEENSN_IJSM_SM_EEESB_PlJ10is_orderedEEE10hipError_tPvRmT3_T4_T5_T6_T7_T9_mT8_P12ihipStream_tbDpT10_ENKUlT_T0_E_clISt17integral_constantIbLb0EES1B_IbLb1EEEEDaS17_S18_EUlS17_E_NS1_11comp_targetILNS1_3genE5ELNS1_11target_archE942ELNS1_3gpuE9ELNS1_3repE0EEENS1_30default_config_static_selectorELNS0_4arch9wavefront6targetE1EEEvT1_
	.globl	_ZN7rocprim17ROCPRIM_400000_NS6detail17trampoline_kernelINS0_14default_configENS1_25partition_config_selectorILNS1_17partition_subalgoE3EN6thrust23THRUST_200600_302600_NS5tupleIssNS7_9null_typeES9_S9_S9_S9_S9_S9_S9_EENS0_10empty_typeEbEEZZNS1_14partition_implILS5_3ELb0ES3_jNS7_6detail15normal_iteratorINS7_7pointerISA_NS7_11hip_rocprim3tagENS7_11use_defaultESJ_EEEEPSB_SM_NS0_5tupleIJPSA_SM_EEENSN_IJSM_SM_EEESB_PlJ10is_orderedEEE10hipError_tPvRmT3_T4_T5_T6_T7_T9_mT8_P12ihipStream_tbDpT10_ENKUlT_T0_E_clISt17integral_constantIbLb0EES1B_IbLb1EEEEDaS17_S18_EUlS17_E_NS1_11comp_targetILNS1_3genE5ELNS1_11target_archE942ELNS1_3gpuE9ELNS1_3repE0EEENS1_30default_config_static_selectorELNS0_4arch9wavefront6targetE1EEEvT1_
	.p2align	8
	.type	_ZN7rocprim17ROCPRIM_400000_NS6detail17trampoline_kernelINS0_14default_configENS1_25partition_config_selectorILNS1_17partition_subalgoE3EN6thrust23THRUST_200600_302600_NS5tupleIssNS7_9null_typeES9_S9_S9_S9_S9_S9_S9_EENS0_10empty_typeEbEEZZNS1_14partition_implILS5_3ELb0ES3_jNS7_6detail15normal_iteratorINS7_7pointerISA_NS7_11hip_rocprim3tagENS7_11use_defaultESJ_EEEEPSB_SM_NS0_5tupleIJPSA_SM_EEENSN_IJSM_SM_EEESB_PlJ10is_orderedEEE10hipError_tPvRmT3_T4_T5_T6_T7_T9_mT8_P12ihipStream_tbDpT10_ENKUlT_T0_E_clISt17integral_constantIbLb0EES1B_IbLb1EEEEDaS17_S18_EUlS17_E_NS1_11comp_targetILNS1_3genE5ELNS1_11target_archE942ELNS1_3gpuE9ELNS1_3repE0EEENS1_30default_config_static_selectorELNS0_4arch9wavefront6targetE1EEEvT1_,@function
_ZN7rocprim17ROCPRIM_400000_NS6detail17trampoline_kernelINS0_14default_configENS1_25partition_config_selectorILNS1_17partition_subalgoE3EN6thrust23THRUST_200600_302600_NS5tupleIssNS7_9null_typeES9_S9_S9_S9_S9_S9_S9_EENS0_10empty_typeEbEEZZNS1_14partition_implILS5_3ELb0ES3_jNS7_6detail15normal_iteratorINS7_7pointerISA_NS7_11hip_rocprim3tagENS7_11use_defaultESJ_EEEEPSB_SM_NS0_5tupleIJPSA_SM_EEENSN_IJSM_SM_EEESB_PlJ10is_orderedEEE10hipError_tPvRmT3_T4_T5_T6_T7_T9_mT8_P12ihipStream_tbDpT10_ENKUlT_T0_E_clISt17integral_constantIbLb0EES1B_IbLb1EEEEDaS17_S18_EUlS17_E_NS1_11comp_targetILNS1_3genE5ELNS1_11target_archE942ELNS1_3gpuE9ELNS1_3repE0EEENS1_30default_config_static_selectorELNS0_4arch9wavefront6targetE1EEEvT1_: ; @_ZN7rocprim17ROCPRIM_400000_NS6detail17trampoline_kernelINS0_14default_configENS1_25partition_config_selectorILNS1_17partition_subalgoE3EN6thrust23THRUST_200600_302600_NS5tupleIssNS7_9null_typeES9_S9_S9_S9_S9_S9_S9_EENS0_10empty_typeEbEEZZNS1_14partition_implILS5_3ELb0ES3_jNS7_6detail15normal_iteratorINS7_7pointerISA_NS7_11hip_rocprim3tagENS7_11use_defaultESJ_EEEEPSB_SM_NS0_5tupleIJPSA_SM_EEENSN_IJSM_SM_EEESB_PlJ10is_orderedEEE10hipError_tPvRmT3_T4_T5_T6_T7_T9_mT8_P12ihipStream_tbDpT10_ENKUlT_T0_E_clISt17integral_constantIbLb0EES1B_IbLb1EEEEDaS17_S18_EUlS17_E_NS1_11comp_targetILNS1_3genE5ELNS1_11target_archE942ELNS1_3gpuE9ELNS1_3repE0EEENS1_30default_config_static_selectorELNS0_4arch9wavefront6targetE1EEEvT1_
; %bb.0:
	s_load_dwordx2 s[22:23], s[0:1], 0x28
	s_load_dwordx4 s[24:27], s[0:1], 0x48
	s_load_dwordx2 s[34:35], s[0:1], 0x58
	s_load_dwordx2 s[36:37], s[0:1], 0x68
	v_cmp_eq_u32_e64 s[20:21], 0, v0
	s_and_saveexec_b64 s[2:3], s[20:21]
	s_cbranch_execz .LBB3554_4
; %bb.1:
	s_mov_b64 s[6:7], exec
	v_mbcnt_lo_u32_b32 v1, s6, 0
	v_mbcnt_hi_u32_b32 v1, s7, v1
	v_cmp_eq_u32_e32 vcc, 0, v1
                                        ; implicit-def: $vgpr2
	s_and_saveexec_b64 s[4:5], vcc
	s_cbranch_execz .LBB3554_3
; %bb.2:
	s_load_dwordx2 s[8:9], s[0:1], 0x78
	s_bcnt1_i32_b64 s6, s[6:7]
	v_mov_b32_e32 v2, 0
	v_mov_b32_e32 v3, s6
	s_waitcnt lgkmcnt(0)
	global_atomic_add v2, v2, v3, s[8:9] sc0
.LBB3554_3:
	s_or_b64 exec, exec, s[4:5]
	s_waitcnt vmcnt(0)
	v_readfirstlane_b32 s4, v2
	v_mov_b32_e32 v2, 0
	s_nop 0
	v_add_u32_e32 v1, s4, v1
	ds_write_b32 v2, v1
.LBB3554_4:
	s_or_b64 exec, exec, s[2:3]
	v_mov_b32_e32 v21, 0
	s_load_dwordx4 s[28:31], s[0:1], 0x8
	s_load_dword s2, s[0:1], 0x70
	s_waitcnt lgkmcnt(0)
	s_barrier
	ds_read_b32 v1, v21
	s_waitcnt lgkmcnt(0)
	s_barrier
	global_load_dwordx2 v[22:23], v21, s[26:27]
	s_lshl_b64 s[0:1], s[30:31], 2
	s_add_u32 s0, s28, s0
	s_addc_u32 s1, s29, s1
	s_add_i32 s4, s2, -1
	s_mulk_i32 s2, 0x1e00
	s_add_i32 s3, s2, s30
	s_sub_i32 s33, s34, s3
	s_addk_i32 s33, 0x1e00
	s_add_u32 s2, s30, s2
	v_readfirstlane_b32 s48, v1
	s_addc_u32 s3, s31, 0
	s_cmp_eq_u32 s48, s4
	s_movk_i32 s6, 0x1e00
	s_cselect_b64 s[26:27], -1, 0
	s_cmp_lg_u32 s48, s4
	v_mov_b64_e32 v[2:3], s[34:35]
	s_cselect_b64 s[4:5], -1, 0
	v_mul_lo_u32 v20, v1, s6
	v_cmp_lt_u64_e32 vcc, s[2:3], v[2:3]
	s_or_b64 s[4:5], vcc, s[4:5]
	v_lshlrev_b64 v[2:3], 2, v[20:21]
	v_lshl_add_u64 v[2:3], s[0:1], 0, v[2:3]
	s_mov_b64 s[0:1], -1
	s_and_b64 vcc, exec, s[4:5]
	v_lshlrev_b32_e32 v24, 2, v0
	s_cbranch_vccz .LBB3554_6
; %bb.5:
	v_mov_b32_e32 v25, v21
	v_lshl_add_u64 v[4:5], v[2:3], 0, v[24:25]
	v_add_co_u32_e32 v6, vcc, 0x1000, v4
	s_mov_b64 s[0:1], 0
	s_nop 0
	v_addc_co_u32_e32 v7, vcc, 0, v5, vcc
	v_add_co_u32_e32 v8, vcc, 0x2000, v4
	s_nop 1
	v_addc_co_u32_e32 v9, vcc, 0, v5, vcc
	v_add_co_u32_e32 v10, vcc, 0x3000, v4
	s_nop 1
	v_addc_co_u32_e32 v11, vcc, 0, v5, vcc
	flat_load_dword v1, v[4:5]
	flat_load_dword v12, v[4:5] offset:2048
	flat_load_dword v13, v[6:7]
	flat_load_dword v14, v[6:7] offset:2048
	;; [unrolled: 2-line block ×4, first 2 shown]
	v_add_co_u32_e32 v6, vcc, 0x4000, v4
	s_nop 1
	v_addc_co_u32_e32 v7, vcc, 0, v5, vcc
	v_add_co_u32_e32 v8, vcc, 0x5000, v4
	s_nop 1
	v_addc_co_u32_e32 v9, vcc, 0, v5, vcc
	v_add_co_u32_e32 v10, vcc, 0x6000, v4
	s_nop 1
	v_addc_co_u32_e32 v11, vcc, 0, v5, vcc
	v_add_co_u32_e32 v4, vcc, 0x7000, v4
	s_nop 1
	v_addc_co_u32_e32 v5, vcc, 0, v5, vcc
	flat_load_dword v19, v[6:7]
	flat_load_dword v25, v[6:7] offset:2048
	flat_load_dword v26, v[8:9]
	flat_load_dword v27, v[8:9] offset:2048
	;; [unrolled: 2-line block ×3, first 2 shown]
	flat_load_dword v30, v[4:5]
	s_waitcnt vmcnt(0) lgkmcnt(0)
	ds_write2st64_b32 v24, v1, v12 offset1:8
	ds_write2st64_b32 v24, v13, v14 offset0:16 offset1:24
	ds_write2st64_b32 v24, v15, v16 offset0:32 offset1:40
	;; [unrolled: 1-line block ×6, first 2 shown]
	ds_write_b32 v24, v30 offset:28672
	s_waitcnt lgkmcnt(0)
	s_barrier
.LBB3554_6:
	s_andn2_b64 vcc, exec, s[0:1]
	v_cmp_gt_u32_e64 s[0:1], s33, v0
	s_cbranch_vccnz .LBB3554_38
; %bb.7:
	v_mov_b32_e32 v1, 0
	v_mov_b32_e32 v4, 0
	s_and_saveexec_b64 s[2:3], s[0:1]
	s_cbranch_execz .LBB3554_9
; %bb.8:
	v_mov_b32_e32 v25, 0
	v_lshl_add_u64 v[4:5], v[2:3], 0, v[24:25]
	flat_load_dword v4, v[4:5]
.LBB3554_9:
	s_or_b64 exec, exec, s[2:3]
	v_or_b32_e32 v5, 0x200, v0
	v_cmp_gt_u32_e32 vcc, s33, v5
	s_and_saveexec_b64 s[0:1], vcc
	s_cbranch_execz .LBB3554_11
; %bb.10:
	v_mov_b32_e32 v25, 0
	v_lshl_add_u64 v[6:7], v[2:3], 0, v[24:25]
	flat_load_dword v1, v[6:7] offset:2048
.LBB3554_11:
	s_or_b64 exec, exec, s[0:1]
	v_or_b32_e32 v7, 0x400, v0
	v_cmp_gt_u32_e32 vcc, s33, v7
	v_mov_b32_e32 v5, 0
	v_mov_b32_e32 v6, 0
	s_and_saveexec_b64 s[0:1], vcc
	s_cbranch_execz .LBB3554_13
; %bb.12:
	v_lshlrev_b32_e32 v6, 2, v7
	v_mov_b32_e32 v7, 0
	v_lshl_add_u64 v[6:7], v[2:3], 0, v[6:7]
	flat_load_dword v6, v[6:7]
.LBB3554_13:
	s_or_b64 exec, exec, s[0:1]
	v_or_b32_e32 v7, 0x600, v0
	v_cmp_gt_u32_e32 vcc, s33, v7
	s_and_saveexec_b64 s[0:1], vcc
	s_cbranch_execz .LBB3554_15
; %bb.14:
	v_lshlrev_b32_e32 v8, 2, v7
	v_mov_b32_e32 v9, 0
	v_lshl_add_u64 v[8:9], v[2:3], 0, v[8:9]
	flat_load_dword v5, v[8:9]
.LBB3554_15:
	s_or_b64 exec, exec, s[0:1]
	v_or_b32_e32 v9, 0x800, v0
	v_cmp_gt_u32_e32 vcc, s33, v9
	v_mov_b32_e32 v7, 0
	v_mov_b32_e32 v8, 0
	s_and_saveexec_b64 s[0:1], vcc
	s_cbranch_execz .LBB3554_17
; %bb.16:
	v_lshlrev_b32_e32 v8, 2, v9
	v_mov_b32_e32 v9, 0
	v_lshl_add_u64 v[8:9], v[2:3], 0, v[8:9]
	flat_load_dword v8, v[8:9]
.LBB3554_17:
	s_or_b64 exec, exec, s[0:1]
	v_or_b32_e32 v9, 0xa00, v0
	v_cmp_gt_u32_e32 vcc, s33, v9
	s_and_saveexec_b64 s[0:1], vcc
	s_cbranch_execz .LBB3554_19
; %bb.18:
	v_lshlrev_b32_e32 v10, 2, v9
	v_mov_b32_e32 v11, 0
	v_lshl_add_u64 v[10:11], v[2:3], 0, v[10:11]
	flat_load_dword v7, v[10:11]
.LBB3554_19:
	;; [unrolled: 24-line block ×6, first 2 shown]
	s_or_b64 exec, exec, s[0:1]
	v_or_b32_e32 v18, 0x1c00, v0
	v_cmp_gt_u32_e32 vcc, s33, v18
	v_mov_b32_e32 v17, 0
	s_and_saveexec_b64 s[0:1], vcc
	s_cbranch_execz .LBB3554_37
; %bb.36:
	v_lshlrev_b32_e32 v18, 2, v18
	v_mov_b32_e32 v19, 0
	v_lshl_add_u64 v[2:3], v[2:3], 0, v[18:19]
	flat_load_dword v17, v[2:3]
.LBB3554_37:
	s_or_b64 exec, exec, s[0:1]
	s_waitcnt vmcnt(0) lgkmcnt(0)
	ds_write2st64_b32 v24, v4, v1 offset1:8
	ds_write2st64_b32 v24, v6, v5 offset0:16 offset1:24
	ds_write2st64_b32 v24, v8, v7 offset0:32 offset1:40
	;; [unrolled: 1-line block ×6, first 2 shown]
	ds_write_b32 v24, v17 offset:28672
	s_waitcnt lgkmcnt(0)
	s_barrier
.LBB3554_38:
	v_mul_u32_u24_e32 v25, 15, v0
	v_lshlrev_b32_e32 v44, 2, v25
	ds_read2_b32 v[38:39], v44 offset1:1
	ds_read2_b32 v[36:37], v44 offset0:2 offset1:3
	ds_read2_b32 v[34:35], v44 offset0:4 offset1:5
	;; [unrolled: 1-line block ×6, first 2 shown]
	ds_read_b32 v1, v44 offset:56
	v_cndmask_b32_e64 v2, 0, 1, s[4:5]
	v_cmp_ne_u32_e64 s[2:3], 1, v2
	s_andn2_b64 vcc, exec, s[4:5]
	s_waitcnt lgkmcnt(7)
	v_cmp_le_i16_sdwa s[4:5], v38, v38 src0_sel:DWORD src1_sel:WORD_1
	v_cmp_le_i16_sdwa s[6:7], v39, v39 src0_sel:DWORD src1_sel:WORD_1
	s_waitcnt lgkmcnt(6)
	v_cmp_le_i16_sdwa s[8:9], v36, v36 src0_sel:DWORD src1_sel:WORD_1
	v_cmp_le_i16_sdwa s[10:11], v37, v37 src0_sel:DWORD src1_sel:WORD_1
	s_waitcnt lgkmcnt(5)
	v_cmp_le_i16_sdwa s[12:13], v34, v34 src0_sel:DWORD src1_sel:WORD_1
	v_cmp_le_i16_sdwa s[14:15], v35, v35 src0_sel:DWORD src1_sel:WORD_1
	s_waitcnt lgkmcnt(4)
	v_cmp_le_i16_sdwa s[16:17], v32, v32 src0_sel:DWORD src1_sel:WORD_1
	v_cmp_le_i16_sdwa s[18:19], v33, v33 src0_sel:DWORD src1_sel:WORD_1
	s_waitcnt lgkmcnt(3)
	v_cmp_le_i16_sdwa s[28:29], v30, v30 src0_sel:DWORD src1_sel:WORD_1
	v_cmp_le_i16_sdwa s[38:39], v31, v31 src0_sel:DWORD src1_sel:WORD_1
	s_waitcnt lgkmcnt(2)
	v_cmp_le_i16_sdwa s[40:41], v28, v28 src0_sel:DWORD src1_sel:WORD_1
	v_cmp_le_i16_sdwa s[42:43], v29, v29 src0_sel:DWORD src1_sel:WORD_1
	s_waitcnt lgkmcnt(1)
	v_cmp_le_i16_sdwa s[44:45], v26, v26 src0_sel:DWORD src1_sel:WORD_1
	v_cmp_le_i16_sdwa s[46:47], v27, v27 src0_sel:DWORD src1_sel:WORD_1
	s_waitcnt lgkmcnt(0)
	v_cmp_le_i16_sdwa s[0:1], v1, v1 src0_sel:DWORD src1_sel:WORD_1
	s_barrier
	s_cbranch_vccnz .LBB3554_40
; %bb.39:
	v_cndmask_b32_e64 v3, 0, 1, s[6:7]
	v_cndmask_b32_e64 v2, 0, 1, s[4:5]
	;; [unrolled: 1-line block ×3, first 2 shown]
	v_lshlrev_b16_e32 v3, 8, v3
	v_cndmask_b32_e64 v4, 0, 1, s[8:9]
	v_or_b32_e32 v2, v2, v3
	v_lshlrev_b16_e32 v3, 8, v5
	v_cndmask_b32_e64 v7, 0, 1, s[14:15]
	v_cndmask_b32_e64 v9, 0, 1, s[18:19]
	v_or_b32_sdwa v3, v4, v3 dst_sel:WORD_1 dst_unused:UNUSED_PAD src0_sel:DWORD src1_sel:DWORD
	v_cndmask_b32_e64 v6, 0, 1, s[12:13]
	v_cndmask_b32_e64 v8, 0, 1, s[16:17]
	v_or_b32_sdwa v45, v2, v3 dst_sel:DWORD dst_unused:UNUSED_PAD src0_sel:WORD_0 src1_sel:DWORD
	v_lshlrev_b16_e32 v2, 8, v7
	v_lshlrev_b16_e32 v3, 8, v9
	v_cndmask_b32_e64 v11, 0, 1, s[38:39]
	v_cndmask_b32_e64 v13, 0, 1, s[42:43]
	v_or_b32_e32 v2, v6, v2
	v_or_b32_sdwa v3, v8, v3 dst_sel:WORD_1 dst_unused:UNUSED_PAD src0_sel:DWORD src1_sel:DWORD
	v_cndmask_b32_e64 v10, 0, 1, s[28:29]
	v_cndmask_b32_e64 v12, 0, 1, s[40:41]
	v_or_b32_sdwa v43, v2, v3 dst_sel:DWORD dst_unused:UNUSED_PAD src0_sel:WORD_0 src1_sel:DWORD
	v_lshlrev_b16_e32 v2, 8, v11
	v_lshlrev_b16_e32 v3, 8, v13
	v_or_b32_e32 v2, v10, v2
	v_or_b32_sdwa v3, v12, v3 dst_sel:WORD_1 dst_unused:UNUSED_PAD src0_sel:DWORD src1_sel:DWORD
	v_cndmask_b32_e64 v41, 0, 1, s[44:45]
	v_cndmask_b32_e64 v40, 0, 1, s[46:47]
	v_or_b32_sdwa v42, v2, v3 dst_sel:DWORD dst_unused:UNUSED_PAD src0_sel:WORD_0 src1_sel:DWORD
	s_and_b64 s[28:29], s[0:1], exec
	s_cbranch_execz .LBB3554_41
	s_branch .LBB3554_42
.LBB3554_40:
                                        ; implicit-def: $sgpr28_sgpr29
                                        ; implicit-def: $vgpr40
                                        ; implicit-def: $vgpr41
                                        ; implicit-def: $vgpr42
                                        ; implicit-def: $vgpr43
                                        ; implicit-def: $vgpr45
.LBB3554_41:
	v_cmp_gt_u32_e32 vcc, s33, v25
	v_cmp_le_i16_sdwa s[0:1], v38, v38 src0_sel:DWORD src1_sel:WORD_1
	v_add_u32_e32 v2, 1, v25
	s_and_b64 s[0:1], vcc, s[0:1]
	v_cndmask_b32_e64 v16, 0, 1, s[0:1]
	v_cmp_gt_u32_e32 vcc, s33, v2
	v_cmp_le_i16_sdwa s[0:1], v39, v39 src0_sel:DWORD src1_sel:WORD_1
	v_add_u32_e32 v3, 2, v25
	s_and_b64 s[0:1], vcc, s[0:1]
	v_cndmask_b32_e64 v2, 0, 1, s[0:1]
	;; [unrolled: 5-line block ×12, first 2 shown]
	v_cmp_gt_u32_e32 vcc, s33, v13
	v_cmp_le_i16_sdwa s[0:1], v26, v26 src0_sel:DWORD src1_sel:WORD_1
	v_add_u32_e32 v14, 13, v25
	s_and_b64 s[0:1], vcc, s[0:1]
	v_lshlrev_b16_e32 v2, 8, v2
	v_lshlrev_b16_e32 v4, 8, v4
	v_cndmask_b32_e64 v41, 0, 1, s[0:1]
	v_cmp_gt_u32_e32 vcc, s33, v14
	v_cmp_le_i16_sdwa s[0:1], v27, v27 src0_sel:DWORD src1_sel:WORD_1
	v_or_b32_e32 v2, v16, v2
	v_or_b32_sdwa v3, v3, v4 dst_sel:WORD_1 dst_unused:UNUSED_PAD src0_sel:DWORD src1_sel:DWORD
	v_add_u32_e32 v15, 14, v25
	s_and_b64 s[0:1], vcc, s[0:1]
	v_or_b32_sdwa v45, v2, v3 dst_sel:DWORD dst_unused:UNUSED_PAD src0_sel:WORD_0 src1_sel:DWORD
	v_lshlrev_b16_e32 v2, 8, v6
	v_lshlrev_b16_e32 v3, 8, v8
	v_cndmask_b32_e64 v40, 0, 1, s[0:1]
	v_cmp_gt_u32_e32 vcc, s33, v15
	v_cmp_le_i16_sdwa s[0:1], v1, v1 src0_sel:DWORD src1_sel:WORD_1
	v_or_b32_e32 v2, v5, v2
	v_or_b32_sdwa v3, v7, v3 dst_sel:WORD_1 dst_unused:UNUSED_PAD src0_sel:DWORD src1_sel:DWORD
	s_and_b64 s[0:1], vcc, s[0:1]
	v_or_b32_sdwa v43, v2, v3 dst_sel:DWORD dst_unused:UNUSED_PAD src0_sel:WORD_0 src1_sel:DWORD
	v_lshlrev_b16_e32 v2, 8, v10
	v_lshlrev_b16_e32 v3, 8, v12
	v_or_b32_e32 v2, v9, v2
	v_or_b32_sdwa v3, v11, v3 dst_sel:WORD_1 dst_unused:UNUSED_PAD src0_sel:DWORD src1_sel:DWORD
	s_andn2_b64 s[4:5], s[28:29], exec
	s_and_b64 s[0:1], s[0:1], exec
	v_or_b32_sdwa v42, v2, v3 dst_sel:DWORD dst_unused:UNUSED_PAD src0_sel:WORD_0 src1_sel:DWORD
	s_or_b64 s[28:29], s[4:5], s[0:1]
.LBB3554_42:
	v_and_b32_e32 v49, 0xff, v45
	v_bfe_u32 v50, v45, 8, 8
	v_cndmask_b32_e64 v2, 0, 1, s[28:29]
	v_bfe_u32 v51, v45, 16, 8
	v_lshrrev_b32_e32 v48, 24, v45
	v_add3_u32 v2, v49, v2, v50
	v_and_b32_e32 v52, 0xff, v43
	v_bfe_u32 v53, v43, 8, 8
	v_add3_u32 v2, v2, v51, v48
	v_bfe_u32 v54, v43, 16, 8
	v_lshrrev_b32_e32 v47, 24, v43
	v_add3_u32 v2, v2, v52, v53
	v_and_b32_e32 v55, 0xff, v42
	v_bfe_u32 v57, v42, 8, 8
	v_add3_u32 v2, v2, v54, v47
	v_bfe_u32 v58, v42, 16, 8
	v_lshrrev_b32_e32 v46, 24, v42
	v_add3_u32 v2, v2, v55, v57
	v_and_b32_e32 v59, 0xff, v41
	v_and_b32_e32 v60, 0xff, v40
	v_add3_u32 v2, v2, v58, v46
	v_add3_u32 v63, v2, v59, v60
	v_mbcnt_lo_u32_b32 v2, -1, 0
	v_mbcnt_hi_u32_b32 v61, -1, v2
	v_and_b32_e32 v2, 15, v61
	v_cmp_eq_u32_e64 s[16:17], 0, v2
	v_cmp_lt_u32_e64 s[14:15], 1, v2
	v_cmp_lt_u32_e64 s[12:13], 3, v2
	;; [unrolled: 1-line block ×3, first 2 shown]
	v_and_b32_e32 v2, 16, v61
	v_cmp_eq_u32_e64 s[8:9], 0, v2
	v_or_b32_e32 v2, 63, v0
	s_cmp_lg_u32 s48, 0
	v_cmp_lt_u32_e64 s[4:5], 31, v61
	v_lshrrev_b32_e32 v62, 6, v0
	v_cmp_eq_u32_e64 s[6:7], v2, v0
	s_cbranch_scc0 .LBB3554_69
; %bb.43:
	v_mov_b32_dpp v2, v63 row_shr:1 row_mask:0xf bank_mask:0xf
	v_cndmask_b32_e64 v2, v2, 0, s[16:17]
	v_add_u32_e32 v2, v2, v63
	s_nop 1
	v_mov_b32_dpp v3, v2 row_shr:2 row_mask:0xf bank_mask:0xf
	v_cndmask_b32_e64 v3, 0, v3, s[14:15]
	v_add_u32_e32 v2, v2, v3
	s_nop 1
	;; [unrolled: 4-line block ×4, first 2 shown]
	v_mov_b32_dpp v3, v2 row_bcast:15 row_mask:0xf bank_mask:0xf
	v_cndmask_b32_e64 v3, v3, 0, s[8:9]
	v_add_u32_e32 v2, v2, v3
	s_nop 1
	v_mov_b32_dpp v3, v2 row_bcast:31 row_mask:0xf bank_mask:0xf
	v_cndmask_b32_e64 v3, 0, v3, s[4:5]
	v_add_u32_e32 v2, v2, v3
	s_and_saveexec_b64 s[0:1], s[6:7]
	s_cbranch_execz .LBB3554_45
; %bb.44:
	v_lshlrev_b32_e32 v3, 2, v62
	ds_write_b32 v3, v2
.LBB3554_45:
	s_or_b64 exec, exec, s[0:1]
	v_cmp_gt_u32_e32 vcc, 8, v0
	s_waitcnt lgkmcnt(0)
	s_barrier
	s_and_saveexec_b64 s[0:1], vcc
	s_cbranch_execz .LBB3554_47
; %bb.46:
	ds_read_b32 v3, v24
	v_and_b32_e32 v4, 7, v61
	v_cmp_ne_u32_e32 vcc, 0, v4
	s_waitcnt lgkmcnt(0)
	v_mov_b32_dpp v5, v3 row_shr:1 row_mask:0xf bank_mask:0xf
	v_cndmask_b32_e32 v5, 0, v5, vcc
	v_add_u32_e32 v3, v5, v3
	v_cmp_lt_u32_e32 vcc, 1, v4
	s_nop 0
	v_mov_b32_dpp v5, v3 row_shr:2 row_mask:0xf bank_mask:0xf
	v_cndmask_b32_e32 v5, 0, v5, vcc
	v_add_u32_e32 v3, v3, v5
	v_cmp_lt_u32_e32 vcc, 3, v4
	s_nop 0
	v_mov_b32_dpp v5, v3 row_shr:4 row_mask:0xf bank_mask:0xf
	v_cndmask_b32_e32 v4, 0, v5, vcc
	v_add_u32_e32 v3, v3, v4
	ds_write_b32 v24, v3
.LBB3554_47:
	s_or_b64 exec, exec, s[0:1]
	v_cmp_gt_u32_e32 vcc, 64, v0
	v_cmp_lt_u32_e64 s[0:1], 63, v0
	s_waitcnt lgkmcnt(0)
	s_barrier
	s_waitcnt lgkmcnt(0)
                                        ; implicit-def: $vgpr12
	s_and_saveexec_b64 s[18:19], s[0:1]
	s_cbranch_execz .LBB3554_49
; %bb.48:
	v_lshl_add_u32 v3, v62, 2, -4
	ds_read_b32 v12, v3
	s_waitcnt lgkmcnt(0)
	v_add_u32_e32 v2, v12, v2
.LBB3554_49:
	s_or_b64 exec, exec, s[18:19]
	v_add_u32_e32 v3, -1, v61
	v_and_b32_e32 v4, 64, v61
	v_cmp_lt_i32_e64 s[0:1], v3, v4
	v_cmp_eq_u32_e64 s[18:19], 0, v61
	s_nop 0
	v_cndmask_b32_e64 v3, v3, v61, s[0:1]
	v_lshlrev_b32_e32 v3, 2, v3
	ds_bpermute_b32 v13, v3, v2
	s_and_saveexec_b64 s[0:1], vcc
	s_cbranch_execz .LBB3554_68
; %bb.50:
	v_mov_b32_e32 v9, 0
	ds_read_b32 v2, v9 offset:28
	s_and_saveexec_b64 s[38:39], s[18:19]
	s_cbranch_execz .LBB3554_52
; %bb.51:
	s_add_i32 s40, s48, 64
	s_mov_b32 s41, 0
	s_lshl_b64 s[40:41], s[40:41], 3
	s_add_u32 s40, s36, s40
	v_mov_b32_e32 v3, 1
	s_addc_u32 s41, s37, s41
	s_waitcnt lgkmcnt(0)
	global_store_dwordx2 v9, v[2:3], s[40:41] sc1
.LBB3554_52:
	s_or_b64 exec, exec, s[38:39]
	v_xad_u32 v4, v61, -1, s48
	v_add_u32_e32 v8, 64, v4
	v_lshl_add_u64 v[10:11], v[8:9], 3, s[36:37]
	global_load_dwordx2 v[6:7], v[10:11], off sc1
	s_waitcnt vmcnt(0)
	v_cmp_eq_u16_sdwa s[40:41], v7, v9 src0_sel:BYTE_0 src1_sel:DWORD
	s_and_saveexec_b64 s[38:39], s[40:41]
	s_cbranch_execz .LBB3554_56
; %bb.53:
	s_mov_b64 s[40:41], 0
	v_mov_b32_e32 v3, 0
.LBB3554_54:                            ; =>This Inner Loop Header: Depth=1
	global_load_dwordx2 v[6:7], v[10:11], off sc1
	s_waitcnt vmcnt(0)
	v_cmp_ne_u16_sdwa s[42:43], v7, v3 src0_sel:BYTE_0 src1_sel:DWORD
	s_or_b64 s[40:41], s[42:43], s[40:41]
	s_andn2_b64 exec, exec, s[40:41]
	s_cbranch_execnz .LBB3554_54
; %bb.55:
	s_or_b64 exec, exec, s[40:41]
.LBB3554_56:
	s_or_b64 exec, exec, s[38:39]
	v_and_b32_e32 v15, 63, v61
	v_mov_b32_e32 v14, 2
	v_cmp_ne_u32_e32 vcc, 63, v15
	v_cmp_eq_u16_sdwa s[38:39], v7, v14 src0_sel:BYTE_0 src1_sel:DWORD
	v_lshlrev_b64 v[8:9], v61, -1
	v_addc_co_u32_e32 v10, vcc, 0, v61, vcc
	v_and_b32_e32 v3, s39, v9
	v_lshlrev_b32_e32 v16, 2, v10
	v_or_b32_e32 v3, 0x80000000, v3
	ds_bpermute_b32 v10, v16, v6
	v_and_b32_e32 v5, s38, v8
	v_ffbl_b32_e32 v3, v3
	v_add_u32_e32 v3, 32, v3
	v_ffbl_b32_e32 v5, v5
	v_min_u32_e32 v3, v5, v3
	v_cmp_lt_u32_e32 vcc, v15, v3
	v_add_u32_e32 v18, 2, v15
	v_add_u32_e32 v56, 4, v15
	s_waitcnt lgkmcnt(0)
	v_cndmask_b32_e32 v5, 0, v10, vcc
	v_cmp_gt_u32_e32 vcc, 62, v15
	v_add_u32_e32 v5, v5, v6
	v_add_u32_e32 v65, 8, v15
	v_cndmask_b32_e64 v6, 0, 1, vcc
	v_lshlrev_b32_e32 v6, 1, v6
	v_add_lshl_u32 v17, v6, v61, 2
	ds_bpermute_b32 v6, v17, v5
	v_cmp_le_u32_e32 vcc, v18, v3
	v_add_u32_e32 v67, 16, v15
	v_add_u32_e32 v69, 32, v15
	s_waitcnt lgkmcnt(0)
	v_cndmask_b32_e32 v6, 0, v6, vcc
	v_cmp_gt_u32_e32 vcc, 60, v15
	v_add_u32_e32 v5, v5, v6
	s_nop 0
	v_cndmask_b32_e64 v6, 0, 1, vcc
	v_lshlrev_b32_e32 v6, 2, v6
	v_add_lshl_u32 v19, v6, v61, 2
	ds_bpermute_b32 v6, v19, v5
	v_cmp_le_u32_e32 vcc, v56, v3
	s_waitcnt lgkmcnt(0)
	s_nop 0
	v_cndmask_b32_e32 v6, 0, v6, vcc
	v_cmp_gt_u32_e32 vcc, 56, v15
	v_add_u32_e32 v5, v5, v6
	s_nop 0
	v_cndmask_b32_e64 v6, 0, 1, vcc
	v_lshlrev_b32_e32 v6, 3, v6
	v_add_lshl_u32 v64, v6, v61, 2
	ds_bpermute_b32 v6, v64, v5
	v_cmp_le_u32_e32 vcc, v65, v3
	s_waitcnt lgkmcnt(0)
	s_nop 0
	;; [unrolled: 11-line block ×4, first 2 shown]
	v_cndmask_b32_e32 v3, 0, v6, vcc
	v_add_u32_e32 v6, v5, v3
	v_mov_b32_e32 v5, 0
	s_branch .LBB3554_58
.LBB3554_57:                            ;   in Loop: Header=BB3554_58 Depth=1
	s_or_b64 exec, exec, s[38:39]
	v_cmp_eq_u16_sdwa s[38:39], v7, v14 src0_sel:BYTE_0 src1_sel:DWORD
	ds_bpermute_b32 v70, v16, v6
	v_subrev_u32_e32 v4, 64, v4
	v_and_b32_e32 v10, s39, v9
	v_or_b32_e32 v10, 0x80000000, v10
	v_and_b32_e32 v11, s38, v8
	v_ffbl_b32_e32 v10, v10
	v_add_u32_e32 v10, 32, v10
	v_ffbl_b32_e32 v11, v11
	v_min_u32_e32 v10, v11, v10
	v_cmp_lt_u32_e32 vcc, v15, v10
	s_waitcnt lgkmcnt(0)
	s_nop 0
	v_cndmask_b32_e32 v11, 0, v70, vcc
	v_add_u32_e32 v6, v11, v6
	ds_bpermute_b32 v11, v17, v6
	v_cmp_le_u32_e32 vcc, v18, v10
	s_waitcnt lgkmcnt(0)
	s_nop 0
	v_cndmask_b32_e32 v11, 0, v11, vcc
	v_add_u32_e32 v6, v6, v11
	ds_bpermute_b32 v11, v19, v6
	v_cmp_le_u32_e32 vcc, v56, v10
	;; [unrolled: 6-line block ×5, first 2 shown]
	s_waitcnt lgkmcnt(0)
	s_nop 0
	v_cndmask_b32_e32 v10, 0, v11, vcc
	v_add3_u32 v6, v10, v3, v6
.LBB3554_58:                            ; =>This Loop Header: Depth=1
                                        ;     Child Loop BB3554_61 Depth 2
	v_cmp_ne_u16_sdwa s[38:39], v7, v14 src0_sel:BYTE_0 src1_sel:DWORD
	s_nop 1
	v_cndmask_b32_e64 v3, 0, 1, s[38:39]
	;;#ASMSTART
	;;#ASMEND
	s_nop 0
	v_cmp_ne_u32_e32 vcc, 0, v3
	s_cmp_lg_u64 vcc, exec
	v_mov_b32_e32 v3, v6
	s_cbranch_scc1 .LBB3554_63
; %bb.59:                               ;   in Loop: Header=BB3554_58 Depth=1
	v_lshl_add_u64 v[10:11], v[4:5], 3, s[36:37]
	global_load_dwordx2 v[6:7], v[10:11], off sc1
	s_waitcnt vmcnt(0)
	v_cmp_eq_u16_sdwa s[40:41], v7, v5 src0_sel:BYTE_0 src1_sel:DWORD
	s_and_saveexec_b64 s[38:39], s[40:41]
	s_cbranch_execz .LBB3554_57
; %bb.60:                               ;   in Loop: Header=BB3554_58 Depth=1
	s_mov_b64 s[40:41], 0
.LBB3554_61:                            ;   Parent Loop BB3554_58 Depth=1
                                        ; =>  This Inner Loop Header: Depth=2
	global_load_dwordx2 v[6:7], v[10:11], off sc1
	s_waitcnt vmcnt(0)
	v_cmp_ne_u16_sdwa s[42:43], v7, v5 src0_sel:BYTE_0 src1_sel:DWORD
	s_or_b64 s[40:41], s[42:43], s[40:41]
	s_andn2_b64 exec, exec, s[40:41]
	s_cbranch_execnz .LBB3554_61
; %bb.62:                               ;   in Loop: Header=BB3554_58 Depth=1
	s_or_b64 exec, exec, s[40:41]
	s_branch .LBB3554_57
.LBB3554_63:                            ;   in Loop: Header=BB3554_58 Depth=1
                                        ; implicit-def: $vgpr6
                                        ; implicit-def: $vgpr7
	s_cbranch_execz .LBB3554_58
; %bb.64:
	s_and_saveexec_b64 s[38:39], s[18:19]
	s_cbranch_execz .LBB3554_66
; %bb.65:
	s_add_i32 s40, s48, 64
	s_mov_b32 s41, 0
	s_lshl_b64 s[40:41], s[40:41], 3
	s_add_u32 s40, s36, s40
	v_add_u32_e32 v4, v3, v2
	v_mov_b32_e32 v5, 2
	s_addc_u32 s41, s37, s41
	v_mov_b32_e32 v6, 0
	global_store_dwordx2 v6, v[4:5], s[40:41] sc1
	ds_write_b64 v6, v[2:3] offset:30720
.LBB3554_66:
	s_or_b64 exec, exec, s[38:39]
	s_and_b64 exec, exec, s[20:21]
	s_cbranch_execz .LBB3554_68
; %bb.67:
	v_mov_b32_e32 v2, 0
	ds_write_b32 v2, v3 offset:28
.LBB3554_68:
	s_or_b64 exec, exec, s[0:1]
	v_mov_b32_e32 v14, 0
	s_waitcnt lgkmcnt(0)
	s_barrier
	ds_read_b32 v2, v14 offset:28
	v_cndmask_b32_e64 v3, v13, v12, s[18:19]
	v_cndmask_b32_e64 v3, v3, 0, s[20:21]
	s_waitcnt lgkmcnt(0)
	s_barrier
	v_add_u32_e32 v2, v2, v3
	v_add_u32_e32 v3, v2, v49
	;; [unrolled: 1-line block ×10, first 2 shown]
	ds_read_b64 v[18:19], v14 offset:30720
	v_add_u32_e32 v12, v11, v57
	v_add_u32_e32 v13, v12, v58
	v_add_u32_e32 v14, v13, v46
	v_add_u32_e32 v15, v14, v59
	v_add_u32_e32 v16, v15, v60
	s_waitcnt lgkmcnt(0)
	v_mov_b32_e32 v56, v19
	s_branch .LBB3554_79
.LBB3554_69:
                                        ; implicit-def: $vgpr56
                                        ; implicit-def: $vgpr18
                                        ; implicit-def: $vgpr2_vgpr3_vgpr4_vgpr5_vgpr6_vgpr7_vgpr8_vgpr9_vgpr10_vgpr11_vgpr12_vgpr13_vgpr14_vgpr15_vgpr16_vgpr17
	s_cbranch_execz .LBB3554_79
; %bb.70:
	s_nop 0
	v_mov_b32_dpp v2, v63 row_shr:1 row_mask:0xf bank_mask:0xf
	v_cndmask_b32_e64 v2, v2, 0, s[16:17]
	v_add_u32_e32 v2, v2, v63
	s_nop 1
	v_mov_b32_dpp v3, v2 row_shr:2 row_mask:0xf bank_mask:0xf
	v_cndmask_b32_e64 v3, 0, v3, s[14:15]
	v_add_u32_e32 v2, v2, v3
	;; [unrolled: 4-line block ×4, first 2 shown]
	s_nop 1
	v_mov_b32_dpp v3, v2 row_bcast:15 row_mask:0xf bank_mask:0xf
	v_cndmask_b32_e64 v3, v3, 0, s[8:9]
	v_add_u32_e32 v2, v2, v3
	s_nop 1
	v_mov_b32_dpp v3, v2 row_bcast:31 row_mask:0xf bank_mask:0xf
	v_cndmask_b32_e64 v3, 0, v3, s[4:5]
	v_add_u32_e32 v2, v2, v3
	s_and_saveexec_b64 s[0:1], s[6:7]
	s_cbranch_execz .LBB3554_72
; %bb.71:
	v_lshlrev_b32_e32 v3, 2, v62
	ds_write_b32 v3, v2
.LBB3554_72:
	s_or_b64 exec, exec, s[0:1]
	v_cmp_gt_u32_e32 vcc, 8, v0
	s_waitcnt lgkmcnt(0)
	s_barrier
	s_and_saveexec_b64 s[0:1], vcc
	s_cbranch_execz .LBB3554_74
; %bb.73:
	s_movk_i32 s4, 0xffc8
	v_mad_i32_i24 v3, v0, s4, v44
	ds_read_b32 v4, v3
	v_and_b32_e32 v5, 7, v61
	v_cmp_ne_u32_e32 vcc, 0, v5
	s_waitcnt lgkmcnt(0)
	v_mov_b32_dpp v6, v4 row_shr:1 row_mask:0xf bank_mask:0xf
	v_cndmask_b32_e32 v6, 0, v6, vcc
	v_add_u32_e32 v4, v6, v4
	v_cmp_lt_u32_e32 vcc, 1, v5
	s_nop 0
	v_mov_b32_dpp v6, v4 row_shr:2 row_mask:0xf bank_mask:0xf
	v_cndmask_b32_e32 v6, 0, v6, vcc
	v_add_u32_e32 v4, v4, v6
	v_cmp_lt_u32_e32 vcc, 3, v5
	s_nop 0
	v_mov_b32_dpp v6, v4 row_shr:4 row_mask:0xf bank_mask:0xf
	v_cndmask_b32_e32 v5, 0, v6, vcc
	v_add_u32_e32 v4, v4, v5
	ds_write_b32 v3, v4
.LBB3554_74:
	s_or_b64 exec, exec, s[0:1]
	v_cmp_lt_u32_e32 vcc, 63, v0
	v_mov_b32_e32 v4, 0
	v_mov_b32_e32 v3, 0
	s_waitcnt lgkmcnt(0)
	s_barrier
	s_and_saveexec_b64 s[0:1], vcc
	s_cbranch_execz .LBB3554_76
; %bb.75:
	v_lshl_add_u32 v3, v62, 2, -4
	ds_read_b32 v3, v3
.LBB3554_76:
	s_or_b64 exec, exec, s[0:1]
	v_add_u32_e32 v5, -1, v61
	v_and_b32_e32 v6, 64, v61
	v_cmp_lt_i32_e32 vcc, v5, v6
	s_waitcnt lgkmcnt(0)
	v_add_u32_e32 v2, v3, v2
	ds_read_b32 v18, v4 offset:28
	v_cndmask_b32_e32 v5, v5, v61, vcc
	v_lshlrev_b32_e32 v5, 2, v5
	ds_bpermute_b32 v2, v5, v2
	s_and_saveexec_b64 s[0:1], s[20:21]
	s_cbranch_execz .LBB3554_78
; %bb.77:
	v_mov_b32_e32 v4, 0
	v_mov_b32_e32 v19, 2
	s_waitcnt lgkmcnt(1)
	global_store_dwordx2 v4, v[18:19], s[36:37] offset:512 sc1
.LBB3554_78:
	s_or_b64 exec, exec, s[0:1]
	v_cmp_eq_u32_e32 vcc, 0, v61
	v_mov_b32_e32 v56, 0
	s_waitcnt lgkmcnt(0)
	v_cndmask_b32_e32 v2, v2, v3, vcc
	v_cndmask_b32_e64 v2, v2, 0, s[20:21]
	v_add_u32_e32 v3, v2, v49
	v_add_u32_e32 v4, v3, v50
	;; [unrolled: 1-line block ×14, first 2 shown]
	s_barrier
.LBB3554_79:
	v_add_u32_e32 v25, v18, v25
	v_sub_u32_e32 v2, v2, v56
	v_and_b32_e32 v50, 1, v45
	v_sub_u32_e32 v49, v25, v2
	v_cmp_eq_u32_e32 vcc, 1, v50
	v_lshrrev_b32_e32 v44, 8, v45
	v_lshrrev_b32_e32 v19, 8, v43
	v_cndmask_b32_e32 v2, v49, v2, vcc
	v_lshlrev_b32_e32 v2, 2, v2
	ds_write_b32 v2, v38
	v_sub_u32_e32 v2, v3, v56
	v_sub_u32_e32 v3, v25, v2
	v_and_b32_e32 v38, 1, v44
	v_add_u32_e32 v3, 1, v3
	v_cmp_eq_u32_e32 vcc, 1, v38
	v_lshrrev_b32_e32 v17, 8, v42
	v_or_b32_e32 v54, 0x200, v0
	v_cndmask_b32_e32 v2, v3, v2, vcc
	v_lshlrev_b32_e32 v2, 2, v2
	ds_write_b32 v2, v39
	v_sub_u32_e32 v2, v4, v56
	v_mov_b32_e32 v4, 1
	v_sub_u32_e32 v3, v25, v2
	v_and_b32_sdwa v38, v4, v45 dst_sel:DWORD dst_unused:UNUSED_PAD src0_sel:DWORD src1_sel:WORD_1
	v_add_u32_e32 v3, 2, v3
	v_cmp_eq_u32_e32 vcc, 1, v38
	v_or_b32_e32 v50, 0x400, v0
	v_or_b32_e32 v44, 0x800, v0
	v_cndmask_b32_e32 v2, v3, v2, vcc
	v_lshlrev_b32_e32 v2, 2, v2
	ds_write_b32 v2, v36
	v_sub_u32_e32 v2, v5, v56
	v_sub_u32_e32 v3, v25, v2
	v_and_b32_e32 v5, 1, v48
	v_add_u32_e32 v3, 3, v3
	v_cmp_eq_u32_e32 vcc, 1, v5
	v_and_b32_e32 v5, 1, v43
	v_or_b32_e32 v48, 0x600, v0
	v_cndmask_b32_e32 v2, v3, v2, vcc
	v_lshlrev_b32_e32 v2, 2, v2
	ds_write_b32 v2, v37
	v_sub_u32_e32 v2, v6, v56
	v_sub_u32_e32 v3, v25, v2
	v_add_u32_e32 v3, 4, v3
	v_cmp_eq_u32_e32 vcc, 1, v5
	v_and_b32_e32 v5, 1, v19
	v_or_b32_e32 v38, 0xc00, v0
	v_cndmask_b32_e32 v2, v3, v2, vcc
	v_lshlrev_b32_e32 v2, 2, v2
	ds_write_b32 v2, v34
	v_sub_u32_e32 v2, v7, v56
	v_sub_u32_e32 v3, v25, v2
	v_add_u32_e32 v3, 5, v3
	v_cmp_eq_u32_e32 vcc, 1, v5
	v_and_b32_sdwa v5, v4, v43 dst_sel:DWORD dst_unused:UNUSED_PAD src0_sel:DWORD src1_sel:WORD_1
	v_and_b32_sdwa v4, v4, v42 dst_sel:DWORD dst_unused:UNUSED_PAD src0_sel:DWORD src1_sel:WORD_1
	v_cndmask_b32_e32 v2, v3, v2, vcc
	v_lshlrev_b32_e32 v2, 2, v2
	ds_write_b32 v2, v35
	v_sub_u32_e32 v2, v8, v56
	v_sub_u32_e32 v3, v25, v2
	v_add_u32_e32 v3, 6, v3
	v_cmp_eq_u32_e32 vcc, 1, v5
	v_and_b32_e32 v5, 1, v47
	v_lshl_add_u64 v[6:7], s[30:31], 0, v[20:21]
	v_cndmask_b32_e32 v2, v3, v2, vcc
	v_lshlrev_b32_e32 v2, 2, v2
	ds_write_b32 v2, v32
	v_sub_u32_e32 v2, v9, v56
	v_sub_u32_e32 v3, v25, v2
	v_add_u32_e32 v3, 7, v3
	v_cmp_eq_u32_e32 vcc, 1, v5
	v_and_b32_e32 v5, 1, v42
	v_mov_b32_e32 v20, s35
	v_cndmask_b32_e32 v2, v3, v2, vcc
	v_lshlrev_b32_e32 v2, 2, v2
	ds_write_b32 v2, v33
	v_sub_u32_e32 v2, v10, v56
	v_sub_u32_e32 v3, v25, v2
	v_add_u32_e32 v3, 8, v3
	v_cmp_eq_u32_e32 vcc, 1, v5
	v_and_b32_e32 v5, 1, v17
	v_or_b32_e32 v42, 0xa00, v0
	v_cndmask_b32_e32 v2, v3, v2, vcc
	v_lshlrev_b32_e32 v2, 2, v2
	ds_write_b32 v2, v30
	v_sub_u32_e32 v2, v11, v56
	v_sub_u32_e32 v3, v25, v2
	v_add_u32_e32 v3, 9, v3
	v_cmp_eq_u32_e32 vcc, 1, v5
	v_or_b32_e32 v36, 0xe00, v0
	v_or_b32_e32 v32, 0x1000, v0
	v_cndmask_b32_e32 v2, v3, v2, vcc
	v_lshlrev_b32_e32 v2, 2, v2
	ds_write_b32 v2, v31
	v_sub_u32_e32 v2, v12, v56
	v_sub_u32_e32 v3, v25, v2
	v_add_u32_e32 v3, 10, v3
	v_cmp_eq_u32_e32 vcc, 1, v4
	v_and_b32_e32 v4, 1, v46
	v_or_b32_e32 v30, 0x1200, v0
	v_cndmask_b32_e32 v2, v3, v2, vcc
	v_lshlrev_b32_e32 v2, 2, v2
	ds_write_b32 v2, v28
	v_sub_u32_e32 v2, v13, v56
	v_sub_u32_e32 v3, v25, v2
	v_add_u32_e32 v3, 11, v3
	v_cmp_eq_u32_e32 vcc, 1, v4
	v_and_b32_e32 v4, 1, v41
	v_or_b32_e32 v12, 0x1800, v0
	v_cndmask_b32_e32 v2, v3, v2, vcc
	v_lshlrev_b32_e32 v2, 2, v2
	ds_write_b32 v2, v29
	v_sub_u32_e32 v2, v14, v56
	v_sub_u32_e32 v3, v25, v2
	v_add_u32_e32 v3, 12, v3
	v_cmp_eq_u32_e32 vcc, 1, v4
	v_and_b32_e32 v4, 1, v40
	v_or_b32_e32 v10, 0x1a00, v0
	v_cndmask_b32_e32 v2, v3, v2, vcc
	v_lshlrev_b32_e32 v2, 2, v2
	ds_write_b32 v2, v26
	v_sub_u32_e32 v2, v15, v56
	v_sub_u32_e32 v3, v25, v2
	v_add_u32_e32 v3, 13, v3
	v_cmp_eq_u32_e32 vcc, 1, v4
	v_or_b32_e32 v26, 0x1400, v0
	v_or_b32_e32 v4, 0x1c00, v0
	v_cndmask_b32_e32 v2, v3, v2, vcc
	v_lshlrev_b32_e32 v2, 2, v2
	ds_write_b32 v2, v27
	v_sub_u32_e32 v2, v16, v56
	v_sub_u32_e32 v3, v25, v2
	v_add_u32_e32 v3, 14, v3
	v_cndmask_b32_e64 v2, v3, v2, s[28:29]
	v_lshlrev_b32_e32 v2, 2, v2
	ds_write_b32 v2, v1
	s_waitcnt lgkmcnt(0)
	s_barrier
	ds_read2st64_b32 v[52:53], v24 offset1:8
	ds_read2st64_b32 v[46:47], v24 offset0:16 offset1:24
	ds_read2st64_b32 v[40:41], v24 offset0:32 offset1:40
	;; [unrolled: 1-line block ×6, first 2 shown]
	ds_read_b32 v24, v24 offset:28672
	v_mov_b32_e32 v1, 0
	v_sub_co_u32_e32 v6, vcc, s34, v6
	v_mov_b32_e32 v57, v1
	v_mov_b32_e32 v19, v1
	v_subb_co_u32_e32 v7, vcc, v20, v7, vcc
	s_waitcnt vmcnt(0)
	v_lshl_add_u64 v[2:3], v[22:23], 0, v[56:57]
	v_lshl_add_u64 v[6:7], v[6:7], 0, v[18:19]
	v_mov_b32_e32 v55, v1
	v_mov_b32_e32 v51, v1
	;; [unrolled: 1-line block ×10, first 2 shown]
	v_or_b32_e32 v16, 0x1600, v0
	v_mov_b32_e32 v17, v1
	v_mov_b32_e32 v13, v1
	;; [unrolled: 1-line block ×4, first 2 shown]
	s_and_b64 vcc, exec, s[2:3]
	v_lshl_add_u64 v[6:7], v[6:7], 0, v[2:3]
	s_cbranch_vccnz .LBB3554_144
; %bb.80:
	v_cmp_ge_u32_e32 vcc, v0, v18
                                        ; implicit-def: $vgpr20_vgpr21
	s_and_saveexec_b64 s[0:1], vcc
	s_xor_b64 s[0:1], exec, s[0:1]
; %bb.81:
	v_not_b32_e32 v20, v0
	v_ashrrev_i32_e32 v21, 31, v20
	v_lshl_add_u64 v[20:21], v[6:7], 0, v[20:21]
; %bb.82:
	s_andn2_saveexec_b64 s[0:1], s[0:1]
; %bb.83:
	v_lshl_add_u64 v[20:21], v[2:3], 0, v[0:1]
; %bb.84:
	s_or_b64 exec, exec, s[0:1]
	v_lshl_add_u64 v[20:21], v[20:21], 2, s[22:23]
	v_cmp_ge_u32_e32 vcc, v54, v18
	s_waitcnt lgkmcnt(7)
	global_store_dword v[20:21], v52, off
                                        ; implicit-def: $vgpr20_vgpr21
	s_and_saveexec_b64 s[0:1], vcc
	s_xor_b64 s[0:1], exec, s[0:1]
; %bb.85:
	v_xor_b32_e32 v20, 0xfffffdff, v0
	v_ashrrev_i32_e32 v21, 31, v20
	v_lshl_add_u64 v[20:21], v[6:7], 0, v[20:21]
; %bb.86:
	s_andn2_saveexec_b64 s[0:1], s[0:1]
; %bb.87:
	v_lshl_add_u64 v[20:21], v[2:3], 0, v[54:55]
; %bb.88:
	s_or_b64 exec, exec, s[0:1]
	v_lshl_add_u64 v[20:21], v[20:21], 2, s[22:23]
	v_cmp_ge_u32_e32 vcc, v50, v18
	global_store_dword v[20:21], v53, off
                                        ; implicit-def: $vgpr20_vgpr21
	s_and_saveexec_b64 s[0:1], vcc
	s_xor_b64 s[0:1], exec, s[0:1]
; %bb.89:
	v_xor_b32_e32 v20, 0xfffffbff, v0
	v_ashrrev_i32_e32 v21, 31, v20
	v_lshl_add_u64 v[20:21], v[6:7], 0, v[20:21]
; %bb.90:
	s_andn2_saveexec_b64 s[0:1], s[0:1]
; %bb.91:
	v_lshl_add_u64 v[20:21], v[2:3], 0, v[50:51]
; %bb.92:
	s_or_b64 exec, exec, s[0:1]
	v_lshl_add_u64 v[20:21], v[20:21], 2, s[22:23]
	v_cmp_ge_u32_e32 vcc, v48, v18
	s_waitcnt lgkmcnt(6)
	global_store_dword v[20:21], v46, off
                                        ; implicit-def: $vgpr20_vgpr21
	s_and_saveexec_b64 s[0:1], vcc
	s_xor_b64 s[0:1], exec, s[0:1]
; %bb.93:
	v_xor_b32_e32 v20, 0xfffff9ff, v0
	v_ashrrev_i32_e32 v21, 31, v20
	v_lshl_add_u64 v[20:21], v[6:7], 0, v[20:21]
; %bb.94:
	s_andn2_saveexec_b64 s[0:1], s[0:1]
; %bb.95:
	v_lshl_add_u64 v[20:21], v[2:3], 0, v[48:49]
; %bb.96:
	s_or_b64 exec, exec, s[0:1]
	v_lshl_add_u64 v[20:21], v[20:21], 2, s[22:23]
	v_cmp_ge_u32_e32 vcc, v44, v18
	global_store_dword v[20:21], v47, off
                                        ; implicit-def: $vgpr20_vgpr21
	s_and_saveexec_b64 s[0:1], vcc
	s_xor_b64 s[0:1], exec, s[0:1]
; %bb.97:
	v_xor_b32_e32 v20, 0xfffff7ff, v0
	;; [unrolled: 33-line block ×7, first 2 shown]
	v_ashrrev_i32_e32 v21, 31, v20
	v_lshl_add_u64 v[20:21], v[6:7], 0, v[20:21]
; %bb.138:
	s_andn2_saveexec_b64 s[0:1], s[0:1]
; %bb.139:
	v_lshl_add_u64 v[20:21], v[2:3], 0, v[4:5]
; %bb.140:
	s_or_b64 exec, exec, s[0:1]
	s_mov_b64 s[0:1], -1
.LBB3554_141:
	s_and_saveexec_b64 s[2:3], s[0:1]
	s_cbranch_execz .LBB3554_236
.LBB3554_142:
	v_lshl_add_u64 v[0:1], v[20:21], 2, s[22:23]
	s_waitcnt lgkmcnt(0)
	global_store_dword v[0:1], v24, off
	s_or_b64 exec, exec, s[2:3]
	s_and_b64 s[0:1], s[20:21], s[26:27]
	s_and_saveexec_b64 s[2:3], s[0:1]
	s_cbranch_execnz .LBB3554_237
.LBB3554_143:
	s_endpgm
.LBB3554_144:
	s_mov_b64 s[0:1], 0
                                        ; implicit-def: $vgpr20_vgpr21
	s_cbranch_execz .LBB3554_141
; %bb.145:
	v_cmp_gt_u32_e32 vcc, s33, v0
	s_and_saveexec_b64 s[2:3], vcc
	s_cbranch_execz .LBB3554_187
; %bb.146:
	v_cmp_ge_u32_e32 vcc, v0, v18
                                        ; implicit-def: $vgpr20_vgpr21
	s_and_saveexec_b64 s[4:5], vcc
	s_xor_b64 s[4:5], exec, s[4:5]
; %bb.147:
	v_not_b32_e32 v20, v0
	v_ashrrev_i32_e32 v21, 31, v20
	v_lshl_add_u64 v[20:21], v[6:7], 0, v[20:21]
; %bb.148:
	s_andn2_saveexec_b64 s[4:5], s[4:5]
; %bb.149:
	v_lshl_add_u64 v[20:21], v[2:3], 0, v[0:1]
; %bb.150:
	s_or_b64 exec, exec, s[4:5]
	v_lshl_add_u64 v[20:21], v[20:21], 2, s[22:23]
	s_waitcnt lgkmcnt(7)
	global_store_dword v[20:21], v52, off
	s_or_b64 exec, exec, s[2:3]
	v_cmp_gt_u32_e32 vcc, s33, v54
	s_and_saveexec_b64 s[2:3], vcc
	s_cbranch_execnz .LBB3554_188
.LBB3554_151:
	s_or_b64 exec, exec, s[2:3]
	v_cmp_gt_u32_e32 vcc, s33, v50
	s_and_saveexec_b64 s[2:3], vcc
	s_cbranch_execz .LBB3554_193
.LBB3554_152:
	v_cmp_ge_u32_e32 vcc, v50, v18
                                        ; implicit-def: $vgpr20_vgpr21
	s_and_saveexec_b64 s[4:5], vcc
	s_xor_b64 s[4:5], exec, s[4:5]
; %bb.153:
	v_xor_b32_e32 v20, 0xfffffbff, v0
	v_ashrrev_i32_e32 v21, 31, v20
	v_lshl_add_u64 v[20:21], v[6:7], 0, v[20:21]
                                        ; implicit-def: $vgpr50_vgpr51
; %bb.154:
	s_andn2_saveexec_b64 s[4:5], s[4:5]
; %bb.155:
	v_lshl_add_u64 v[20:21], v[2:3], 0, v[50:51]
; %bb.156:
	s_or_b64 exec, exec, s[4:5]
	v_lshl_add_u64 v[20:21], v[20:21], 2, s[22:23]
	s_waitcnt lgkmcnt(6)
	global_store_dword v[20:21], v46, off
	s_or_b64 exec, exec, s[2:3]
	v_cmp_gt_u32_e32 vcc, s33, v48
	s_and_saveexec_b64 s[2:3], vcc
	s_cbranch_execnz .LBB3554_194
.LBB3554_157:
	s_or_b64 exec, exec, s[2:3]
	v_cmp_gt_u32_e32 vcc, s33, v44
	s_and_saveexec_b64 s[2:3], vcc
	s_cbranch_execz .LBB3554_199
.LBB3554_158:
	v_cmp_ge_u32_e32 vcc, v44, v18
                                        ; implicit-def: $vgpr20_vgpr21
	s_and_saveexec_b64 s[4:5], vcc
	s_xor_b64 s[4:5], exec, s[4:5]
; %bb.159:
	v_xor_b32_e32 v20, 0xfffff7ff, v0
	v_ashrrev_i32_e32 v21, 31, v20
	v_lshl_add_u64 v[20:21], v[6:7], 0, v[20:21]
                                        ; implicit-def: $vgpr44_vgpr45
; %bb.160:
	s_andn2_saveexec_b64 s[4:5], s[4:5]
; %bb.161:
	v_lshl_add_u64 v[20:21], v[2:3], 0, v[44:45]
; %bb.162:
	s_or_b64 exec, exec, s[4:5]
	v_lshl_add_u64 v[20:21], v[20:21], 2, s[22:23]
	s_waitcnt lgkmcnt(5)
	global_store_dword v[20:21], v40, off
	s_or_b64 exec, exec, s[2:3]
	v_cmp_gt_u32_e32 vcc, s33, v42
	s_and_saveexec_b64 s[2:3], vcc
	s_cbranch_execnz .LBB3554_200
.LBB3554_163:
	s_or_b64 exec, exec, s[2:3]
	v_cmp_gt_u32_e32 vcc, s33, v38
	s_and_saveexec_b64 s[2:3], vcc
	s_cbranch_execz .LBB3554_205
.LBB3554_164:
	v_cmp_ge_u32_e32 vcc, v38, v18
                                        ; implicit-def: $vgpr20_vgpr21
	s_and_saveexec_b64 s[4:5], vcc
	s_xor_b64 s[4:5], exec, s[4:5]
; %bb.165:
	v_xor_b32_e32 v20, 0xfffff3ff, v0
	v_ashrrev_i32_e32 v21, 31, v20
	v_lshl_add_u64 v[20:21], v[6:7], 0, v[20:21]
                                        ; implicit-def: $vgpr38_vgpr39
; %bb.166:
	s_andn2_saveexec_b64 s[4:5], s[4:5]
; %bb.167:
	v_lshl_add_u64 v[20:21], v[2:3], 0, v[38:39]
; %bb.168:
	s_or_b64 exec, exec, s[4:5]
	v_lshl_add_u64 v[20:21], v[20:21], 2, s[22:23]
	s_waitcnt lgkmcnt(4)
	global_store_dword v[20:21], v34, off
	s_or_b64 exec, exec, s[2:3]
	v_cmp_gt_u32_e32 vcc, s33, v36
	s_and_saveexec_b64 s[2:3], vcc
	s_cbranch_execnz .LBB3554_206
.LBB3554_169:
	s_or_b64 exec, exec, s[2:3]
	v_cmp_gt_u32_e32 vcc, s33, v32
	s_and_saveexec_b64 s[2:3], vcc
	s_cbranch_execz .LBB3554_211
.LBB3554_170:
	v_cmp_ge_u32_e32 vcc, v32, v18
                                        ; implicit-def: $vgpr20_vgpr21
	s_and_saveexec_b64 s[4:5], vcc
	s_xor_b64 s[4:5], exec, s[4:5]
; %bb.171:
	v_xor_b32_e32 v20, 0xffffefff, v0
	v_ashrrev_i32_e32 v21, 31, v20
	v_lshl_add_u64 v[20:21], v[6:7], 0, v[20:21]
                                        ; implicit-def: $vgpr32_vgpr33
; %bb.172:
	s_andn2_saveexec_b64 s[4:5], s[4:5]
; %bb.173:
	v_lshl_add_u64 v[20:21], v[2:3], 0, v[32:33]
; %bb.174:
	s_or_b64 exec, exec, s[4:5]
	v_lshl_add_u64 v[20:21], v[20:21], 2, s[22:23]
	s_waitcnt lgkmcnt(3)
	global_store_dword v[20:21], v28, off
	s_or_b64 exec, exec, s[2:3]
	v_cmp_gt_u32_e32 vcc, s33, v30
	s_and_saveexec_b64 s[2:3], vcc
	s_cbranch_execnz .LBB3554_212
.LBB3554_175:
	s_or_b64 exec, exec, s[2:3]
	v_cmp_gt_u32_e32 vcc, s33, v26
	s_and_saveexec_b64 s[2:3], vcc
	s_cbranch_execz .LBB3554_217
.LBB3554_176:
	v_cmp_ge_u32_e32 vcc, v26, v18
                                        ; implicit-def: $vgpr20_vgpr21
	s_and_saveexec_b64 s[4:5], vcc
	s_xor_b64 s[4:5], exec, s[4:5]
; %bb.177:
	v_xor_b32_e32 v20, 0xffffebff, v0
	v_ashrrev_i32_e32 v21, 31, v20
	v_lshl_add_u64 v[20:21], v[6:7], 0, v[20:21]
                                        ; implicit-def: $vgpr26_vgpr27
; %bb.178:
	s_andn2_saveexec_b64 s[4:5], s[4:5]
; %bb.179:
	v_lshl_add_u64 v[20:21], v[2:3], 0, v[26:27]
; %bb.180:
	s_or_b64 exec, exec, s[4:5]
	v_lshl_add_u64 v[20:21], v[20:21], 2, s[22:23]
	s_waitcnt lgkmcnt(2)
	global_store_dword v[20:21], v14, off
	s_or_b64 exec, exec, s[2:3]
	v_cmp_gt_u32_e32 vcc, s33, v16
	s_and_saveexec_b64 s[2:3], vcc
	s_cbranch_execnz .LBB3554_218
.LBB3554_181:
	s_or_b64 exec, exec, s[2:3]
	v_cmp_gt_u32_e32 vcc, s33, v12
	s_and_saveexec_b64 s[2:3], vcc
	s_cbranch_execz .LBB3554_223
.LBB3554_182:
	v_cmp_ge_u32_e32 vcc, v12, v18
                                        ; implicit-def: $vgpr14_vgpr15
	s_and_saveexec_b64 s[4:5], vcc
	s_xor_b64 s[4:5], exec, s[4:5]
	s_cbranch_execz .LBB3554_184
; %bb.183:
	v_xor_b32_e32 v12, 0xffffe7ff, v0
	v_ashrrev_i32_e32 v13, 31, v12
	s_waitcnt lgkmcnt(2)
	v_lshl_add_u64 v[14:15], v[6:7], 0, v[12:13]
                                        ; implicit-def: $vgpr12_vgpr13
.LBB3554_184:
	s_andn2_saveexec_b64 s[4:5], s[4:5]
	s_cbranch_execz .LBB3554_186
; %bb.185:
	s_waitcnt lgkmcnt(2)
	v_lshl_add_u64 v[14:15], v[2:3], 0, v[12:13]
.LBB3554_186:
	s_or_b64 exec, exec, s[4:5]
	s_waitcnt lgkmcnt(2)
	v_lshl_add_u64 v[12:13], v[14:15], 2, s[22:23]
	s_waitcnt lgkmcnt(1)
	global_store_dword v[12:13], v8, off
	s_or_b64 exec, exec, s[2:3]
	v_cmp_gt_u32_e32 vcc, s33, v10
	s_and_saveexec_b64 s[2:3], vcc
	s_cbranch_execz .LBB3554_229
	s_branch .LBB3554_224
.LBB3554_187:
	s_or_b64 exec, exec, s[2:3]
	v_cmp_gt_u32_e32 vcc, s33, v54
	s_and_saveexec_b64 s[2:3], vcc
	s_cbranch_execz .LBB3554_151
.LBB3554_188:
	v_cmp_ge_u32_e32 vcc, v54, v18
                                        ; implicit-def: $vgpr20_vgpr21
	s_and_saveexec_b64 s[4:5], vcc
	s_xor_b64 s[4:5], exec, s[4:5]
; %bb.189:
	v_xor_b32_e32 v20, 0xfffffdff, v0
	v_ashrrev_i32_e32 v21, 31, v20
	v_lshl_add_u64 v[20:21], v[6:7], 0, v[20:21]
                                        ; implicit-def: $vgpr54_vgpr55
; %bb.190:
	s_andn2_saveexec_b64 s[4:5], s[4:5]
; %bb.191:
	v_lshl_add_u64 v[20:21], v[2:3], 0, v[54:55]
; %bb.192:
	s_or_b64 exec, exec, s[4:5]
	v_lshl_add_u64 v[20:21], v[20:21], 2, s[22:23]
	s_waitcnt lgkmcnt(7)
	global_store_dword v[20:21], v53, off
	s_or_b64 exec, exec, s[2:3]
	v_cmp_gt_u32_e32 vcc, s33, v50
	s_and_saveexec_b64 s[2:3], vcc
	s_cbranch_execnz .LBB3554_152
.LBB3554_193:
	s_or_b64 exec, exec, s[2:3]
	v_cmp_gt_u32_e32 vcc, s33, v48
	s_and_saveexec_b64 s[2:3], vcc
	s_cbranch_execz .LBB3554_157
.LBB3554_194:
	v_cmp_ge_u32_e32 vcc, v48, v18
                                        ; implicit-def: $vgpr20_vgpr21
	s_and_saveexec_b64 s[4:5], vcc
	s_xor_b64 s[4:5], exec, s[4:5]
; %bb.195:
	v_xor_b32_e32 v20, 0xfffff9ff, v0
	v_ashrrev_i32_e32 v21, 31, v20
	v_lshl_add_u64 v[20:21], v[6:7], 0, v[20:21]
                                        ; implicit-def: $vgpr48_vgpr49
; %bb.196:
	s_andn2_saveexec_b64 s[4:5], s[4:5]
; %bb.197:
	v_lshl_add_u64 v[20:21], v[2:3], 0, v[48:49]
; %bb.198:
	s_or_b64 exec, exec, s[4:5]
	v_lshl_add_u64 v[20:21], v[20:21], 2, s[22:23]
	s_waitcnt lgkmcnt(6)
	global_store_dword v[20:21], v47, off
	s_or_b64 exec, exec, s[2:3]
	v_cmp_gt_u32_e32 vcc, s33, v44
	s_and_saveexec_b64 s[2:3], vcc
	s_cbranch_execnz .LBB3554_158
.LBB3554_199:
	s_or_b64 exec, exec, s[2:3]
	v_cmp_gt_u32_e32 vcc, s33, v42
	s_and_saveexec_b64 s[2:3], vcc
	s_cbranch_execz .LBB3554_163
.LBB3554_200:
	v_cmp_ge_u32_e32 vcc, v42, v18
                                        ; implicit-def: $vgpr20_vgpr21
	s_and_saveexec_b64 s[4:5], vcc
	s_xor_b64 s[4:5], exec, s[4:5]
; %bb.201:
	v_xor_b32_e32 v20, 0xfffff5ff, v0
	v_ashrrev_i32_e32 v21, 31, v20
	v_lshl_add_u64 v[20:21], v[6:7], 0, v[20:21]
                                        ; implicit-def: $vgpr42_vgpr43
; %bb.202:
	s_andn2_saveexec_b64 s[4:5], s[4:5]
; %bb.203:
	v_lshl_add_u64 v[20:21], v[2:3], 0, v[42:43]
; %bb.204:
	s_or_b64 exec, exec, s[4:5]
	v_lshl_add_u64 v[20:21], v[20:21], 2, s[22:23]
	s_waitcnt lgkmcnt(5)
	global_store_dword v[20:21], v41, off
	s_or_b64 exec, exec, s[2:3]
	v_cmp_gt_u32_e32 vcc, s33, v38
	s_and_saveexec_b64 s[2:3], vcc
	s_cbranch_execnz .LBB3554_164
.LBB3554_205:
	s_or_b64 exec, exec, s[2:3]
	v_cmp_gt_u32_e32 vcc, s33, v36
	s_and_saveexec_b64 s[2:3], vcc
	s_cbranch_execz .LBB3554_169
.LBB3554_206:
	v_cmp_ge_u32_e32 vcc, v36, v18
                                        ; implicit-def: $vgpr20_vgpr21
	s_and_saveexec_b64 s[4:5], vcc
	s_xor_b64 s[4:5], exec, s[4:5]
; %bb.207:
	v_xor_b32_e32 v20, 0xfffff1ff, v0
	v_ashrrev_i32_e32 v21, 31, v20
	v_lshl_add_u64 v[20:21], v[6:7], 0, v[20:21]
                                        ; implicit-def: $vgpr36_vgpr37
; %bb.208:
	s_andn2_saveexec_b64 s[4:5], s[4:5]
; %bb.209:
	v_lshl_add_u64 v[20:21], v[2:3], 0, v[36:37]
; %bb.210:
	s_or_b64 exec, exec, s[4:5]
	v_lshl_add_u64 v[20:21], v[20:21], 2, s[22:23]
	s_waitcnt lgkmcnt(4)
	global_store_dword v[20:21], v35, off
	s_or_b64 exec, exec, s[2:3]
	v_cmp_gt_u32_e32 vcc, s33, v32
	s_and_saveexec_b64 s[2:3], vcc
	s_cbranch_execnz .LBB3554_170
.LBB3554_211:
	s_or_b64 exec, exec, s[2:3]
	v_cmp_gt_u32_e32 vcc, s33, v30
	s_and_saveexec_b64 s[2:3], vcc
	s_cbranch_execz .LBB3554_175
.LBB3554_212:
	v_cmp_ge_u32_e32 vcc, v30, v18
                                        ; implicit-def: $vgpr20_vgpr21
	s_and_saveexec_b64 s[4:5], vcc
	s_xor_b64 s[4:5], exec, s[4:5]
; %bb.213:
	v_xor_b32_e32 v20, 0xffffedff, v0
	v_ashrrev_i32_e32 v21, 31, v20
	v_lshl_add_u64 v[20:21], v[6:7], 0, v[20:21]
                                        ; implicit-def: $vgpr30_vgpr31
; %bb.214:
	s_andn2_saveexec_b64 s[4:5], s[4:5]
; %bb.215:
	v_lshl_add_u64 v[20:21], v[2:3], 0, v[30:31]
; %bb.216:
	s_or_b64 exec, exec, s[4:5]
	v_lshl_add_u64 v[20:21], v[20:21], 2, s[22:23]
	s_waitcnt lgkmcnt(3)
	global_store_dword v[20:21], v29, off
	s_or_b64 exec, exec, s[2:3]
	v_cmp_gt_u32_e32 vcc, s33, v26
	s_and_saveexec_b64 s[2:3], vcc
	s_cbranch_execnz .LBB3554_176
.LBB3554_217:
	s_or_b64 exec, exec, s[2:3]
	v_cmp_gt_u32_e32 vcc, s33, v16
	s_and_saveexec_b64 s[2:3], vcc
	s_cbranch_execz .LBB3554_181
.LBB3554_218:
	v_cmp_ge_u32_e32 vcc, v16, v18
                                        ; implicit-def: $vgpr20_vgpr21
	s_and_saveexec_b64 s[4:5], vcc
	s_xor_b64 s[4:5], exec, s[4:5]
; %bb.219:
	v_xor_b32_e32 v16, 0xffffe9ff, v0
	v_ashrrev_i32_e32 v17, 31, v16
	v_lshl_add_u64 v[20:21], v[6:7], 0, v[16:17]
                                        ; implicit-def: $vgpr16_vgpr17
; %bb.220:
	s_andn2_saveexec_b64 s[4:5], s[4:5]
; %bb.221:
	v_lshl_add_u64 v[20:21], v[2:3], 0, v[16:17]
; %bb.222:
	s_or_b64 exec, exec, s[4:5]
	v_lshl_add_u64 v[16:17], v[20:21], 2, s[22:23]
	s_waitcnt lgkmcnt(2)
	global_store_dword v[16:17], v15, off
	s_or_b64 exec, exec, s[2:3]
	v_cmp_gt_u32_e32 vcc, s33, v12
	s_and_saveexec_b64 s[2:3], vcc
	s_cbranch_execnz .LBB3554_182
.LBB3554_223:
	s_or_b64 exec, exec, s[2:3]
	v_cmp_gt_u32_e32 vcc, s33, v10
	s_and_saveexec_b64 s[2:3], vcc
	s_cbranch_execz .LBB3554_229
.LBB3554_224:
	v_cmp_ge_u32_e32 vcc, v10, v18
                                        ; implicit-def: $vgpr12_vgpr13
	s_and_saveexec_b64 s[4:5], vcc
	s_xor_b64 s[4:5], exec, s[4:5]
; %bb.225:
	v_xor_b32_e32 v10, 0xffffe5ff, v0
	v_ashrrev_i32_e32 v11, 31, v10
	v_lshl_add_u64 v[12:13], v[6:7], 0, v[10:11]
                                        ; implicit-def: $vgpr10_vgpr11
; %bb.226:
	s_andn2_saveexec_b64 s[4:5], s[4:5]
; %bb.227:
	v_lshl_add_u64 v[12:13], v[2:3], 0, v[10:11]
; %bb.228:
	s_or_b64 exec, exec, s[4:5]
	v_lshl_add_u64 v[10:11], v[12:13], 2, s[22:23]
	s_waitcnt lgkmcnt(1)
	global_store_dword v[10:11], v9, off
.LBB3554_229:
	s_or_b64 exec, exec, s[2:3]
	v_cmp_gt_u32_e32 vcc, s33, v4
                                        ; implicit-def: $vgpr20_vgpr21
	s_and_saveexec_b64 s[2:3], vcc
	s_cbranch_execz .LBB3554_235
; %bb.230:
	v_cmp_ge_u32_e32 vcc, v4, v18
                                        ; implicit-def: $vgpr20_vgpr21
	s_and_saveexec_b64 s[4:5], vcc
	s_xor_b64 s[4:5], exec, s[4:5]
; %bb.231:
	v_xor_b32_e32 v0, 0xffffe3ff, v0
	v_ashrrev_i32_e32 v1, 31, v0
	v_lshl_add_u64 v[20:21], v[6:7], 0, v[0:1]
                                        ; implicit-def: $vgpr4_vgpr5
; %bb.232:
	s_andn2_saveexec_b64 s[4:5], s[4:5]
; %bb.233:
	v_lshl_add_u64 v[20:21], v[2:3], 0, v[4:5]
; %bb.234:
	s_or_b64 exec, exec, s[4:5]
	s_or_b64 s[0:1], s[0:1], exec
.LBB3554_235:
	s_or_b64 exec, exec, s[2:3]
	s_and_saveexec_b64 s[2:3], s[0:1]
	s_cbranch_execnz .LBB3554_142
.LBB3554_236:
	s_or_b64 exec, exec, s[2:3]
	s_and_b64 s[0:1], s[20:21], s[26:27]
	s_and_saveexec_b64 s[2:3], s[0:1]
	s_cbranch_execz .LBB3554_143
.LBB3554_237:
	v_mov_b32_e32 v4, 0
	v_lshl_add_u64 v[0:1], v[2:3], 0, v[18:19]
	global_store_dwordx2 v4, v[0:1], s[24:25]
	s_endpgm
	.section	.rodata,"a",@progbits
	.p2align	6, 0x0
	.amdhsa_kernel _ZN7rocprim17ROCPRIM_400000_NS6detail17trampoline_kernelINS0_14default_configENS1_25partition_config_selectorILNS1_17partition_subalgoE3EN6thrust23THRUST_200600_302600_NS5tupleIssNS7_9null_typeES9_S9_S9_S9_S9_S9_S9_EENS0_10empty_typeEbEEZZNS1_14partition_implILS5_3ELb0ES3_jNS7_6detail15normal_iteratorINS7_7pointerISA_NS7_11hip_rocprim3tagENS7_11use_defaultESJ_EEEEPSB_SM_NS0_5tupleIJPSA_SM_EEENSN_IJSM_SM_EEESB_PlJ10is_orderedEEE10hipError_tPvRmT3_T4_T5_T6_T7_T9_mT8_P12ihipStream_tbDpT10_ENKUlT_T0_E_clISt17integral_constantIbLb0EES1B_IbLb1EEEEDaS17_S18_EUlS17_E_NS1_11comp_targetILNS1_3genE5ELNS1_11target_archE942ELNS1_3gpuE9ELNS1_3repE0EEENS1_30default_config_static_selectorELNS0_4arch9wavefront6targetE1EEEvT1_
		.amdhsa_group_segment_fixed_size 30728
		.amdhsa_private_segment_fixed_size 0
		.amdhsa_kernarg_size 136
		.amdhsa_user_sgpr_count 2
		.amdhsa_user_sgpr_dispatch_ptr 0
		.amdhsa_user_sgpr_queue_ptr 0
		.amdhsa_user_sgpr_kernarg_segment_ptr 1
		.amdhsa_user_sgpr_dispatch_id 0
		.amdhsa_user_sgpr_kernarg_preload_length 0
		.amdhsa_user_sgpr_kernarg_preload_offset 0
		.amdhsa_user_sgpr_private_segment_size 0
		.amdhsa_uses_dynamic_stack 0
		.amdhsa_enable_private_segment 0
		.amdhsa_system_sgpr_workgroup_id_x 1
		.amdhsa_system_sgpr_workgroup_id_y 0
		.amdhsa_system_sgpr_workgroup_id_z 0
		.amdhsa_system_sgpr_workgroup_info 0
		.amdhsa_system_vgpr_workitem_id 0
		.amdhsa_next_free_vgpr 71
		.amdhsa_next_free_sgpr 49
		.amdhsa_accum_offset 72
		.amdhsa_reserve_vcc 1
		.amdhsa_float_round_mode_32 0
		.amdhsa_float_round_mode_16_64 0
		.amdhsa_float_denorm_mode_32 3
		.amdhsa_float_denorm_mode_16_64 3
		.amdhsa_dx10_clamp 1
		.amdhsa_ieee_mode 1
		.amdhsa_fp16_overflow 0
		.amdhsa_tg_split 0
		.amdhsa_exception_fp_ieee_invalid_op 0
		.amdhsa_exception_fp_denorm_src 0
		.amdhsa_exception_fp_ieee_div_zero 0
		.amdhsa_exception_fp_ieee_overflow 0
		.amdhsa_exception_fp_ieee_underflow 0
		.amdhsa_exception_fp_ieee_inexact 0
		.amdhsa_exception_int_div_zero 0
	.end_amdhsa_kernel
	.section	.text._ZN7rocprim17ROCPRIM_400000_NS6detail17trampoline_kernelINS0_14default_configENS1_25partition_config_selectorILNS1_17partition_subalgoE3EN6thrust23THRUST_200600_302600_NS5tupleIssNS7_9null_typeES9_S9_S9_S9_S9_S9_S9_EENS0_10empty_typeEbEEZZNS1_14partition_implILS5_3ELb0ES3_jNS7_6detail15normal_iteratorINS7_7pointerISA_NS7_11hip_rocprim3tagENS7_11use_defaultESJ_EEEEPSB_SM_NS0_5tupleIJPSA_SM_EEENSN_IJSM_SM_EEESB_PlJ10is_orderedEEE10hipError_tPvRmT3_T4_T5_T6_T7_T9_mT8_P12ihipStream_tbDpT10_ENKUlT_T0_E_clISt17integral_constantIbLb0EES1B_IbLb1EEEEDaS17_S18_EUlS17_E_NS1_11comp_targetILNS1_3genE5ELNS1_11target_archE942ELNS1_3gpuE9ELNS1_3repE0EEENS1_30default_config_static_selectorELNS0_4arch9wavefront6targetE1EEEvT1_,"axG",@progbits,_ZN7rocprim17ROCPRIM_400000_NS6detail17trampoline_kernelINS0_14default_configENS1_25partition_config_selectorILNS1_17partition_subalgoE3EN6thrust23THRUST_200600_302600_NS5tupleIssNS7_9null_typeES9_S9_S9_S9_S9_S9_S9_EENS0_10empty_typeEbEEZZNS1_14partition_implILS5_3ELb0ES3_jNS7_6detail15normal_iteratorINS7_7pointerISA_NS7_11hip_rocprim3tagENS7_11use_defaultESJ_EEEEPSB_SM_NS0_5tupleIJPSA_SM_EEENSN_IJSM_SM_EEESB_PlJ10is_orderedEEE10hipError_tPvRmT3_T4_T5_T6_T7_T9_mT8_P12ihipStream_tbDpT10_ENKUlT_T0_E_clISt17integral_constantIbLb0EES1B_IbLb1EEEEDaS17_S18_EUlS17_E_NS1_11comp_targetILNS1_3genE5ELNS1_11target_archE942ELNS1_3gpuE9ELNS1_3repE0EEENS1_30default_config_static_selectorELNS0_4arch9wavefront6targetE1EEEvT1_,comdat
.Lfunc_end3554:
	.size	_ZN7rocprim17ROCPRIM_400000_NS6detail17trampoline_kernelINS0_14default_configENS1_25partition_config_selectorILNS1_17partition_subalgoE3EN6thrust23THRUST_200600_302600_NS5tupleIssNS7_9null_typeES9_S9_S9_S9_S9_S9_S9_EENS0_10empty_typeEbEEZZNS1_14partition_implILS5_3ELb0ES3_jNS7_6detail15normal_iteratorINS7_7pointerISA_NS7_11hip_rocprim3tagENS7_11use_defaultESJ_EEEEPSB_SM_NS0_5tupleIJPSA_SM_EEENSN_IJSM_SM_EEESB_PlJ10is_orderedEEE10hipError_tPvRmT3_T4_T5_T6_T7_T9_mT8_P12ihipStream_tbDpT10_ENKUlT_T0_E_clISt17integral_constantIbLb0EES1B_IbLb1EEEEDaS17_S18_EUlS17_E_NS1_11comp_targetILNS1_3genE5ELNS1_11target_archE942ELNS1_3gpuE9ELNS1_3repE0EEENS1_30default_config_static_selectorELNS0_4arch9wavefront6targetE1EEEvT1_, .Lfunc_end3554-_ZN7rocprim17ROCPRIM_400000_NS6detail17trampoline_kernelINS0_14default_configENS1_25partition_config_selectorILNS1_17partition_subalgoE3EN6thrust23THRUST_200600_302600_NS5tupleIssNS7_9null_typeES9_S9_S9_S9_S9_S9_S9_EENS0_10empty_typeEbEEZZNS1_14partition_implILS5_3ELb0ES3_jNS7_6detail15normal_iteratorINS7_7pointerISA_NS7_11hip_rocprim3tagENS7_11use_defaultESJ_EEEEPSB_SM_NS0_5tupleIJPSA_SM_EEENSN_IJSM_SM_EEESB_PlJ10is_orderedEEE10hipError_tPvRmT3_T4_T5_T6_T7_T9_mT8_P12ihipStream_tbDpT10_ENKUlT_T0_E_clISt17integral_constantIbLb0EES1B_IbLb1EEEEDaS17_S18_EUlS17_E_NS1_11comp_targetILNS1_3genE5ELNS1_11target_archE942ELNS1_3gpuE9ELNS1_3repE0EEENS1_30default_config_static_selectorELNS0_4arch9wavefront6targetE1EEEvT1_
                                        ; -- End function
	.section	.AMDGPU.csdata,"",@progbits
; Kernel info:
; codeLenInByte = 8140
; NumSgprs: 55
; NumVgprs: 71
; NumAgprs: 0
; TotalNumVgprs: 71
; ScratchSize: 0
; MemoryBound: 0
; FloatMode: 240
; IeeeMode: 1
; LDSByteSize: 30728 bytes/workgroup (compile time only)
; SGPRBlocks: 6
; VGPRBlocks: 8
; NumSGPRsForWavesPerEU: 55
; NumVGPRsForWavesPerEU: 71
; AccumOffset: 72
; Occupancy: 4
; WaveLimiterHint : 1
; COMPUTE_PGM_RSRC2:SCRATCH_EN: 0
; COMPUTE_PGM_RSRC2:USER_SGPR: 2
; COMPUTE_PGM_RSRC2:TRAP_HANDLER: 0
; COMPUTE_PGM_RSRC2:TGID_X_EN: 1
; COMPUTE_PGM_RSRC2:TGID_Y_EN: 0
; COMPUTE_PGM_RSRC2:TGID_Z_EN: 0
; COMPUTE_PGM_RSRC2:TIDIG_COMP_CNT: 0
; COMPUTE_PGM_RSRC3_GFX90A:ACCUM_OFFSET: 17
; COMPUTE_PGM_RSRC3_GFX90A:TG_SPLIT: 0
	.section	.text._ZN7rocprim17ROCPRIM_400000_NS6detail17trampoline_kernelINS0_14default_configENS1_25partition_config_selectorILNS1_17partition_subalgoE3EN6thrust23THRUST_200600_302600_NS5tupleIssNS7_9null_typeES9_S9_S9_S9_S9_S9_S9_EENS0_10empty_typeEbEEZZNS1_14partition_implILS5_3ELb0ES3_jNS7_6detail15normal_iteratorINS7_7pointerISA_NS7_11hip_rocprim3tagENS7_11use_defaultESJ_EEEEPSB_SM_NS0_5tupleIJPSA_SM_EEENSN_IJSM_SM_EEESB_PlJ10is_orderedEEE10hipError_tPvRmT3_T4_T5_T6_T7_T9_mT8_P12ihipStream_tbDpT10_ENKUlT_T0_E_clISt17integral_constantIbLb0EES1B_IbLb1EEEEDaS17_S18_EUlS17_E_NS1_11comp_targetILNS1_3genE4ELNS1_11target_archE910ELNS1_3gpuE8ELNS1_3repE0EEENS1_30default_config_static_selectorELNS0_4arch9wavefront6targetE1EEEvT1_,"axG",@progbits,_ZN7rocprim17ROCPRIM_400000_NS6detail17trampoline_kernelINS0_14default_configENS1_25partition_config_selectorILNS1_17partition_subalgoE3EN6thrust23THRUST_200600_302600_NS5tupleIssNS7_9null_typeES9_S9_S9_S9_S9_S9_S9_EENS0_10empty_typeEbEEZZNS1_14partition_implILS5_3ELb0ES3_jNS7_6detail15normal_iteratorINS7_7pointerISA_NS7_11hip_rocprim3tagENS7_11use_defaultESJ_EEEEPSB_SM_NS0_5tupleIJPSA_SM_EEENSN_IJSM_SM_EEESB_PlJ10is_orderedEEE10hipError_tPvRmT3_T4_T5_T6_T7_T9_mT8_P12ihipStream_tbDpT10_ENKUlT_T0_E_clISt17integral_constantIbLb0EES1B_IbLb1EEEEDaS17_S18_EUlS17_E_NS1_11comp_targetILNS1_3genE4ELNS1_11target_archE910ELNS1_3gpuE8ELNS1_3repE0EEENS1_30default_config_static_selectorELNS0_4arch9wavefront6targetE1EEEvT1_,comdat
	.protected	_ZN7rocprim17ROCPRIM_400000_NS6detail17trampoline_kernelINS0_14default_configENS1_25partition_config_selectorILNS1_17partition_subalgoE3EN6thrust23THRUST_200600_302600_NS5tupleIssNS7_9null_typeES9_S9_S9_S9_S9_S9_S9_EENS0_10empty_typeEbEEZZNS1_14partition_implILS5_3ELb0ES3_jNS7_6detail15normal_iteratorINS7_7pointerISA_NS7_11hip_rocprim3tagENS7_11use_defaultESJ_EEEEPSB_SM_NS0_5tupleIJPSA_SM_EEENSN_IJSM_SM_EEESB_PlJ10is_orderedEEE10hipError_tPvRmT3_T4_T5_T6_T7_T9_mT8_P12ihipStream_tbDpT10_ENKUlT_T0_E_clISt17integral_constantIbLb0EES1B_IbLb1EEEEDaS17_S18_EUlS17_E_NS1_11comp_targetILNS1_3genE4ELNS1_11target_archE910ELNS1_3gpuE8ELNS1_3repE0EEENS1_30default_config_static_selectorELNS0_4arch9wavefront6targetE1EEEvT1_ ; -- Begin function _ZN7rocprim17ROCPRIM_400000_NS6detail17trampoline_kernelINS0_14default_configENS1_25partition_config_selectorILNS1_17partition_subalgoE3EN6thrust23THRUST_200600_302600_NS5tupleIssNS7_9null_typeES9_S9_S9_S9_S9_S9_S9_EENS0_10empty_typeEbEEZZNS1_14partition_implILS5_3ELb0ES3_jNS7_6detail15normal_iteratorINS7_7pointerISA_NS7_11hip_rocprim3tagENS7_11use_defaultESJ_EEEEPSB_SM_NS0_5tupleIJPSA_SM_EEENSN_IJSM_SM_EEESB_PlJ10is_orderedEEE10hipError_tPvRmT3_T4_T5_T6_T7_T9_mT8_P12ihipStream_tbDpT10_ENKUlT_T0_E_clISt17integral_constantIbLb0EES1B_IbLb1EEEEDaS17_S18_EUlS17_E_NS1_11comp_targetILNS1_3genE4ELNS1_11target_archE910ELNS1_3gpuE8ELNS1_3repE0EEENS1_30default_config_static_selectorELNS0_4arch9wavefront6targetE1EEEvT1_
	.globl	_ZN7rocprim17ROCPRIM_400000_NS6detail17trampoline_kernelINS0_14default_configENS1_25partition_config_selectorILNS1_17partition_subalgoE3EN6thrust23THRUST_200600_302600_NS5tupleIssNS7_9null_typeES9_S9_S9_S9_S9_S9_S9_EENS0_10empty_typeEbEEZZNS1_14partition_implILS5_3ELb0ES3_jNS7_6detail15normal_iteratorINS7_7pointerISA_NS7_11hip_rocprim3tagENS7_11use_defaultESJ_EEEEPSB_SM_NS0_5tupleIJPSA_SM_EEENSN_IJSM_SM_EEESB_PlJ10is_orderedEEE10hipError_tPvRmT3_T4_T5_T6_T7_T9_mT8_P12ihipStream_tbDpT10_ENKUlT_T0_E_clISt17integral_constantIbLb0EES1B_IbLb1EEEEDaS17_S18_EUlS17_E_NS1_11comp_targetILNS1_3genE4ELNS1_11target_archE910ELNS1_3gpuE8ELNS1_3repE0EEENS1_30default_config_static_selectorELNS0_4arch9wavefront6targetE1EEEvT1_
	.p2align	8
	.type	_ZN7rocprim17ROCPRIM_400000_NS6detail17trampoline_kernelINS0_14default_configENS1_25partition_config_selectorILNS1_17partition_subalgoE3EN6thrust23THRUST_200600_302600_NS5tupleIssNS7_9null_typeES9_S9_S9_S9_S9_S9_S9_EENS0_10empty_typeEbEEZZNS1_14partition_implILS5_3ELb0ES3_jNS7_6detail15normal_iteratorINS7_7pointerISA_NS7_11hip_rocprim3tagENS7_11use_defaultESJ_EEEEPSB_SM_NS0_5tupleIJPSA_SM_EEENSN_IJSM_SM_EEESB_PlJ10is_orderedEEE10hipError_tPvRmT3_T4_T5_T6_T7_T9_mT8_P12ihipStream_tbDpT10_ENKUlT_T0_E_clISt17integral_constantIbLb0EES1B_IbLb1EEEEDaS17_S18_EUlS17_E_NS1_11comp_targetILNS1_3genE4ELNS1_11target_archE910ELNS1_3gpuE8ELNS1_3repE0EEENS1_30default_config_static_selectorELNS0_4arch9wavefront6targetE1EEEvT1_,@function
_ZN7rocprim17ROCPRIM_400000_NS6detail17trampoline_kernelINS0_14default_configENS1_25partition_config_selectorILNS1_17partition_subalgoE3EN6thrust23THRUST_200600_302600_NS5tupleIssNS7_9null_typeES9_S9_S9_S9_S9_S9_S9_EENS0_10empty_typeEbEEZZNS1_14partition_implILS5_3ELb0ES3_jNS7_6detail15normal_iteratorINS7_7pointerISA_NS7_11hip_rocprim3tagENS7_11use_defaultESJ_EEEEPSB_SM_NS0_5tupleIJPSA_SM_EEENSN_IJSM_SM_EEESB_PlJ10is_orderedEEE10hipError_tPvRmT3_T4_T5_T6_T7_T9_mT8_P12ihipStream_tbDpT10_ENKUlT_T0_E_clISt17integral_constantIbLb0EES1B_IbLb1EEEEDaS17_S18_EUlS17_E_NS1_11comp_targetILNS1_3genE4ELNS1_11target_archE910ELNS1_3gpuE8ELNS1_3repE0EEENS1_30default_config_static_selectorELNS0_4arch9wavefront6targetE1EEEvT1_: ; @_ZN7rocprim17ROCPRIM_400000_NS6detail17trampoline_kernelINS0_14default_configENS1_25partition_config_selectorILNS1_17partition_subalgoE3EN6thrust23THRUST_200600_302600_NS5tupleIssNS7_9null_typeES9_S9_S9_S9_S9_S9_S9_EENS0_10empty_typeEbEEZZNS1_14partition_implILS5_3ELb0ES3_jNS7_6detail15normal_iteratorINS7_7pointerISA_NS7_11hip_rocprim3tagENS7_11use_defaultESJ_EEEEPSB_SM_NS0_5tupleIJPSA_SM_EEENSN_IJSM_SM_EEESB_PlJ10is_orderedEEE10hipError_tPvRmT3_T4_T5_T6_T7_T9_mT8_P12ihipStream_tbDpT10_ENKUlT_T0_E_clISt17integral_constantIbLb0EES1B_IbLb1EEEEDaS17_S18_EUlS17_E_NS1_11comp_targetILNS1_3genE4ELNS1_11target_archE910ELNS1_3gpuE8ELNS1_3repE0EEENS1_30default_config_static_selectorELNS0_4arch9wavefront6targetE1EEEvT1_
; %bb.0:
	.section	.rodata,"a",@progbits
	.p2align	6, 0x0
	.amdhsa_kernel _ZN7rocprim17ROCPRIM_400000_NS6detail17trampoline_kernelINS0_14default_configENS1_25partition_config_selectorILNS1_17partition_subalgoE3EN6thrust23THRUST_200600_302600_NS5tupleIssNS7_9null_typeES9_S9_S9_S9_S9_S9_S9_EENS0_10empty_typeEbEEZZNS1_14partition_implILS5_3ELb0ES3_jNS7_6detail15normal_iteratorINS7_7pointerISA_NS7_11hip_rocprim3tagENS7_11use_defaultESJ_EEEEPSB_SM_NS0_5tupleIJPSA_SM_EEENSN_IJSM_SM_EEESB_PlJ10is_orderedEEE10hipError_tPvRmT3_T4_T5_T6_T7_T9_mT8_P12ihipStream_tbDpT10_ENKUlT_T0_E_clISt17integral_constantIbLb0EES1B_IbLb1EEEEDaS17_S18_EUlS17_E_NS1_11comp_targetILNS1_3genE4ELNS1_11target_archE910ELNS1_3gpuE8ELNS1_3repE0EEENS1_30default_config_static_selectorELNS0_4arch9wavefront6targetE1EEEvT1_
		.amdhsa_group_segment_fixed_size 0
		.amdhsa_private_segment_fixed_size 0
		.amdhsa_kernarg_size 136
		.amdhsa_user_sgpr_count 2
		.amdhsa_user_sgpr_dispatch_ptr 0
		.amdhsa_user_sgpr_queue_ptr 0
		.amdhsa_user_sgpr_kernarg_segment_ptr 1
		.amdhsa_user_sgpr_dispatch_id 0
		.amdhsa_user_sgpr_kernarg_preload_length 0
		.amdhsa_user_sgpr_kernarg_preload_offset 0
		.amdhsa_user_sgpr_private_segment_size 0
		.amdhsa_uses_dynamic_stack 0
		.amdhsa_enable_private_segment 0
		.amdhsa_system_sgpr_workgroup_id_x 1
		.amdhsa_system_sgpr_workgroup_id_y 0
		.amdhsa_system_sgpr_workgroup_id_z 0
		.amdhsa_system_sgpr_workgroup_info 0
		.amdhsa_system_vgpr_workitem_id 0
		.amdhsa_next_free_vgpr 1
		.amdhsa_next_free_sgpr 0
		.amdhsa_accum_offset 4
		.amdhsa_reserve_vcc 0
		.amdhsa_float_round_mode_32 0
		.amdhsa_float_round_mode_16_64 0
		.amdhsa_float_denorm_mode_32 3
		.amdhsa_float_denorm_mode_16_64 3
		.amdhsa_dx10_clamp 1
		.amdhsa_ieee_mode 1
		.amdhsa_fp16_overflow 0
		.amdhsa_tg_split 0
		.amdhsa_exception_fp_ieee_invalid_op 0
		.amdhsa_exception_fp_denorm_src 0
		.amdhsa_exception_fp_ieee_div_zero 0
		.amdhsa_exception_fp_ieee_overflow 0
		.amdhsa_exception_fp_ieee_underflow 0
		.amdhsa_exception_fp_ieee_inexact 0
		.amdhsa_exception_int_div_zero 0
	.end_amdhsa_kernel
	.section	.text._ZN7rocprim17ROCPRIM_400000_NS6detail17trampoline_kernelINS0_14default_configENS1_25partition_config_selectorILNS1_17partition_subalgoE3EN6thrust23THRUST_200600_302600_NS5tupleIssNS7_9null_typeES9_S9_S9_S9_S9_S9_S9_EENS0_10empty_typeEbEEZZNS1_14partition_implILS5_3ELb0ES3_jNS7_6detail15normal_iteratorINS7_7pointerISA_NS7_11hip_rocprim3tagENS7_11use_defaultESJ_EEEEPSB_SM_NS0_5tupleIJPSA_SM_EEENSN_IJSM_SM_EEESB_PlJ10is_orderedEEE10hipError_tPvRmT3_T4_T5_T6_T7_T9_mT8_P12ihipStream_tbDpT10_ENKUlT_T0_E_clISt17integral_constantIbLb0EES1B_IbLb1EEEEDaS17_S18_EUlS17_E_NS1_11comp_targetILNS1_3genE4ELNS1_11target_archE910ELNS1_3gpuE8ELNS1_3repE0EEENS1_30default_config_static_selectorELNS0_4arch9wavefront6targetE1EEEvT1_,"axG",@progbits,_ZN7rocprim17ROCPRIM_400000_NS6detail17trampoline_kernelINS0_14default_configENS1_25partition_config_selectorILNS1_17partition_subalgoE3EN6thrust23THRUST_200600_302600_NS5tupleIssNS7_9null_typeES9_S9_S9_S9_S9_S9_S9_EENS0_10empty_typeEbEEZZNS1_14partition_implILS5_3ELb0ES3_jNS7_6detail15normal_iteratorINS7_7pointerISA_NS7_11hip_rocprim3tagENS7_11use_defaultESJ_EEEEPSB_SM_NS0_5tupleIJPSA_SM_EEENSN_IJSM_SM_EEESB_PlJ10is_orderedEEE10hipError_tPvRmT3_T4_T5_T6_T7_T9_mT8_P12ihipStream_tbDpT10_ENKUlT_T0_E_clISt17integral_constantIbLb0EES1B_IbLb1EEEEDaS17_S18_EUlS17_E_NS1_11comp_targetILNS1_3genE4ELNS1_11target_archE910ELNS1_3gpuE8ELNS1_3repE0EEENS1_30default_config_static_selectorELNS0_4arch9wavefront6targetE1EEEvT1_,comdat
.Lfunc_end3555:
	.size	_ZN7rocprim17ROCPRIM_400000_NS6detail17trampoline_kernelINS0_14default_configENS1_25partition_config_selectorILNS1_17partition_subalgoE3EN6thrust23THRUST_200600_302600_NS5tupleIssNS7_9null_typeES9_S9_S9_S9_S9_S9_S9_EENS0_10empty_typeEbEEZZNS1_14partition_implILS5_3ELb0ES3_jNS7_6detail15normal_iteratorINS7_7pointerISA_NS7_11hip_rocprim3tagENS7_11use_defaultESJ_EEEEPSB_SM_NS0_5tupleIJPSA_SM_EEENSN_IJSM_SM_EEESB_PlJ10is_orderedEEE10hipError_tPvRmT3_T4_T5_T6_T7_T9_mT8_P12ihipStream_tbDpT10_ENKUlT_T0_E_clISt17integral_constantIbLb0EES1B_IbLb1EEEEDaS17_S18_EUlS17_E_NS1_11comp_targetILNS1_3genE4ELNS1_11target_archE910ELNS1_3gpuE8ELNS1_3repE0EEENS1_30default_config_static_selectorELNS0_4arch9wavefront6targetE1EEEvT1_, .Lfunc_end3555-_ZN7rocprim17ROCPRIM_400000_NS6detail17trampoline_kernelINS0_14default_configENS1_25partition_config_selectorILNS1_17partition_subalgoE3EN6thrust23THRUST_200600_302600_NS5tupleIssNS7_9null_typeES9_S9_S9_S9_S9_S9_S9_EENS0_10empty_typeEbEEZZNS1_14partition_implILS5_3ELb0ES3_jNS7_6detail15normal_iteratorINS7_7pointerISA_NS7_11hip_rocprim3tagENS7_11use_defaultESJ_EEEEPSB_SM_NS0_5tupleIJPSA_SM_EEENSN_IJSM_SM_EEESB_PlJ10is_orderedEEE10hipError_tPvRmT3_T4_T5_T6_T7_T9_mT8_P12ihipStream_tbDpT10_ENKUlT_T0_E_clISt17integral_constantIbLb0EES1B_IbLb1EEEEDaS17_S18_EUlS17_E_NS1_11comp_targetILNS1_3genE4ELNS1_11target_archE910ELNS1_3gpuE8ELNS1_3repE0EEENS1_30default_config_static_selectorELNS0_4arch9wavefront6targetE1EEEvT1_
                                        ; -- End function
	.section	.AMDGPU.csdata,"",@progbits
; Kernel info:
; codeLenInByte = 0
; NumSgprs: 6
; NumVgprs: 0
; NumAgprs: 0
; TotalNumVgprs: 0
; ScratchSize: 0
; MemoryBound: 0
; FloatMode: 240
; IeeeMode: 1
; LDSByteSize: 0 bytes/workgroup (compile time only)
; SGPRBlocks: 0
; VGPRBlocks: 0
; NumSGPRsForWavesPerEU: 6
; NumVGPRsForWavesPerEU: 1
; AccumOffset: 4
; Occupancy: 8
; WaveLimiterHint : 0
; COMPUTE_PGM_RSRC2:SCRATCH_EN: 0
; COMPUTE_PGM_RSRC2:USER_SGPR: 2
; COMPUTE_PGM_RSRC2:TRAP_HANDLER: 0
; COMPUTE_PGM_RSRC2:TGID_X_EN: 1
; COMPUTE_PGM_RSRC2:TGID_Y_EN: 0
; COMPUTE_PGM_RSRC2:TGID_Z_EN: 0
; COMPUTE_PGM_RSRC2:TIDIG_COMP_CNT: 0
; COMPUTE_PGM_RSRC3_GFX90A:ACCUM_OFFSET: 0
; COMPUTE_PGM_RSRC3_GFX90A:TG_SPLIT: 0
	.section	.text._ZN7rocprim17ROCPRIM_400000_NS6detail17trampoline_kernelINS0_14default_configENS1_25partition_config_selectorILNS1_17partition_subalgoE3EN6thrust23THRUST_200600_302600_NS5tupleIssNS7_9null_typeES9_S9_S9_S9_S9_S9_S9_EENS0_10empty_typeEbEEZZNS1_14partition_implILS5_3ELb0ES3_jNS7_6detail15normal_iteratorINS7_7pointerISA_NS7_11hip_rocprim3tagENS7_11use_defaultESJ_EEEEPSB_SM_NS0_5tupleIJPSA_SM_EEENSN_IJSM_SM_EEESB_PlJ10is_orderedEEE10hipError_tPvRmT3_T4_T5_T6_T7_T9_mT8_P12ihipStream_tbDpT10_ENKUlT_T0_E_clISt17integral_constantIbLb0EES1B_IbLb1EEEEDaS17_S18_EUlS17_E_NS1_11comp_targetILNS1_3genE3ELNS1_11target_archE908ELNS1_3gpuE7ELNS1_3repE0EEENS1_30default_config_static_selectorELNS0_4arch9wavefront6targetE1EEEvT1_,"axG",@progbits,_ZN7rocprim17ROCPRIM_400000_NS6detail17trampoline_kernelINS0_14default_configENS1_25partition_config_selectorILNS1_17partition_subalgoE3EN6thrust23THRUST_200600_302600_NS5tupleIssNS7_9null_typeES9_S9_S9_S9_S9_S9_S9_EENS0_10empty_typeEbEEZZNS1_14partition_implILS5_3ELb0ES3_jNS7_6detail15normal_iteratorINS7_7pointerISA_NS7_11hip_rocprim3tagENS7_11use_defaultESJ_EEEEPSB_SM_NS0_5tupleIJPSA_SM_EEENSN_IJSM_SM_EEESB_PlJ10is_orderedEEE10hipError_tPvRmT3_T4_T5_T6_T7_T9_mT8_P12ihipStream_tbDpT10_ENKUlT_T0_E_clISt17integral_constantIbLb0EES1B_IbLb1EEEEDaS17_S18_EUlS17_E_NS1_11comp_targetILNS1_3genE3ELNS1_11target_archE908ELNS1_3gpuE7ELNS1_3repE0EEENS1_30default_config_static_selectorELNS0_4arch9wavefront6targetE1EEEvT1_,comdat
	.protected	_ZN7rocprim17ROCPRIM_400000_NS6detail17trampoline_kernelINS0_14default_configENS1_25partition_config_selectorILNS1_17partition_subalgoE3EN6thrust23THRUST_200600_302600_NS5tupleIssNS7_9null_typeES9_S9_S9_S9_S9_S9_S9_EENS0_10empty_typeEbEEZZNS1_14partition_implILS5_3ELb0ES3_jNS7_6detail15normal_iteratorINS7_7pointerISA_NS7_11hip_rocprim3tagENS7_11use_defaultESJ_EEEEPSB_SM_NS0_5tupleIJPSA_SM_EEENSN_IJSM_SM_EEESB_PlJ10is_orderedEEE10hipError_tPvRmT3_T4_T5_T6_T7_T9_mT8_P12ihipStream_tbDpT10_ENKUlT_T0_E_clISt17integral_constantIbLb0EES1B_IbLb1EEEEDaS17_S18_EUlS17_E_NS1_11comp_targetILNS1_3genE3ELNS1_11target_archE908ELNS1_3gpuE7ELNS1_3repE0EEENS1_30default_config_static_selectorELNS0_4arch9wavefront6targetE1EEEvT1_ ; -- Begin function _ZN7rocprim17ROCPRIM_400000_NS6detail17trampoline_kernelINS0_14default_configENS1_25partition_config_selectorILNS1_17partition_subalgoE3EN6thrust23THRUST_200600_302600_NS5tupleIssNS7_9null_typeES9_S9_S9_S9_S9_S9_S9_EENS0_10empty_typeEbEEZZNS1_14partition_implILS5_3ELb0ES3_jNS7_6detail15normal_iteratorINS7_7pointerISA_NS7_11hip_rocprim3tagENS7_11use_defaultESJ_EEEEPSB_SM_NS0_5tupleIJPSA_SM_EEENSN_IJSM_SM_EEESB_PlJ10is_orderedEEE10hipError_tPvRmT3_T4_T5_T6_T7_T9_mT8_P12ihipStream_tbDpT10_ENKUlT_T0_E_clISt17integral_constantIbLb0EES1B_IbLb1EEEEDaS17_S18_EUlS17_E_NS1_11comp_targetILNS1_3genE3ELNS1_11target_archE908ELNS1_3gpuE7ELNS1_3repE0EEENS1_30default_config_static_selectorELNS0_4arch9wavefront6targetE1EEEvT1_
	.globl	_ZN7rocprim17ROCPRIM_400000_NS6detail17trampoline_kernelINS0_14default_configENS1_25partition_config_selectorILNS1_17partition_subalgoE3EN6thrust23THRUST_200600_302600_NS5tupleIssNS7_9null_typeES9_S9_S9_S9_S9_S9_S9_EENS0_10empty_typeEbEEZZNS1_14partition_implILS5_3ELb0ES3_jNS7_6detail15normal_iteratorINS7_7pointerISA_NS7_11hip_rocprim3tagENS7_11use_defaultESJ_EEEEPSB_SM_NS0_5tupleIJPSA_SM_EEENSN_IJSM_SM_EEESB_PlJ10is_orderedEEE10hipError_tPvRmT3_T4_T5_T6_T7_T9_mT8_P12ihipStream_tbDpT10_ENKUlT_T0_E_clISt17integral_constantIbLb0EES1B_IbLb1EEEEDaS17_S18_EUlS17_E_NS1_11comp_targetILNS1_3genE3ELNS1_11target_archE908ELNS1_3gpuE7ELNS1_3repE0EEENS1_30default_config_static_selectorELNS0_4arch9wavefront6targetE1EEEvT1_
	.p2align	8
	.type	_ZN7rocprim17ROCPRIM_400000_NS6detail17trampoline_kernelINS0_14default_configENS1_25partition_config_selectorILNS1_17partition_subalgoE3EN6thrust23THRUST_200600_302600_NS5tupleIssNS7_9null_typeES9_S9_S9_S9_S9_S9_S9_EENS0_10empty_typeEbEEZZNS1_14partition_implILS5_3ELb0ES3_jNS7_6detail15normal_iteratorINS7_7pointerISA_NS7_11hip_rocprim3tagENS7_11use_defaultESJ_EEEEPSB_SM_NS0_5tupleIJPSA_SM_EEENSN_IJSM_SM_EEESB_PlJ10is_orderedEEE10hipError_tPvRmT3_T4_T5_T6_T7_T9_mT8_P12ihipStream_tbDpT10_ENKUlT_T0_E_clISt17integral_constantIbLb0EES1B_IbLb1EEEEDaS17_S18_EUlS17_E_NS1_11comp_targetILNS1_3genE3ELNS1_11target_archE908ELNS1_3gpuE7ELNS1_3repE0EEENS1_30default_config_static_selectorELNS0_4arch9wavefront6targetE1EEEvT1_,@function
_ZN7rocprim17ROCPRIM_400000_NS6detail17trampoline_kernelINS0_14default_configENS1_25partition_config_selectorILNS1_17partition_subalgoE3EN6thrust23THRUST_200600_302600_NS5tupleIssNS7_9null_typeES9_S9_S9_S9_S9_S9_S9_EENS0_10empty_typeEbEEZZNS1_14partition_implILS5_3ELb0ES3_jNS7_6detail15normal_iteratorINS7_7pointerISA_NS7_11hip_rocprim3tagENS7_11use_defaultESJ_EEEEPSB_SM_NS0_5tupleIJPSA_SM_EEENSN_IJSM_SM_EEESB_PlJ10is_orderedEEE10hipError_tPvRmT3_T4_T5_T6_T7_T9_mT8_P12ihipStream_tbDpT10_ENKUlT_T0_E_clISt17integral_constantIbLb0EES1B_IbLb1EEEEDaS17_S18_EUlS17_E_NS1_11comp_targetILNS1_3genE3ELNS1_11target_archE908ELNS1_3gpuE7ELNS1_3repE0EEENS1_30default_config_static_selectorELNS0_4arch9wavefront6targetE1EEEvT1_: ; @_ZN7rocprim17ROCPRIM_400000_NS6detail17trampoline_kernelINS0_14default_configENS1_25partition_config_selectorILNS1_17partition_subalgoE3EN6thrust23THRUST_200600_302600_NS5tupleIssNS7_9null_typeES9_S9_S9_S9_S9_S9_S9_EENS0_10empty_typeEbEEZZNS1_14partition_implILS5_3ELb0ES3_jNS7_6detail15normal_iteratorINS7_7pointerISA_NS7_11hip_rocprim3tagENS7_11use_defaultESJ_EEEEPSB_SM_NS0_5tupleIJPSA_SM_EEENSN_IJSM_SM_EEESB_PlJ10is_orderedEEE10hipError_tPvRmT3_T4_T5_T6_T7_T9_mT8_P12ihipStream_tbDpT10_ENKUlT_T0_E_clISt17integral_constantIbLb0EES1B_IbLb1EEEEDaS17_S18_EUlS17_E_NS1_11comp_targetILNS1_3genE3ELNS1_11target_archE908ELNS1_3gpuE7ELNS1_3repE0EEENS1_30default_config_static_selectorELNS0_4arch9wavefront6targetE1EEEvT1_
; %bb.0:
	.section	.rodata,"a",@progbits
	.p2align	6, 0x0
	.amdhsa_kernel _ZN7rocprim17ROCPRIM_400000_NS6detail17trampoline_kernelINS0_14default_configENS1_25partition_config_selectorILNS1_17partition_subalgoE3EN6thrust23THRUST_200600_302600_NS5tupleIssNS7_9null_typeES9_S9_S9_S9_S9_S9_S9_EENS0_10empty_typeEbEEZZNS1_14partition_implILS5_3ELb0ES3_jNS7_6detail15normal_iteratorINS7_7pointerISA_NS7_11hip_rocprim3tagENS7_11use_defaultESJ_EEEEPSB_SM_NS0_5tupleIJPSA_SM_EEENSN_IJSM_SM_EEESB_PlJ10is_orderedEEE10hipError_tPvRmT3_T4_T5_T6_T7_T9_mT8_P12ihipStream_tbDpT10_ENKUlT_T0_E_clISt17integral_constantIbLb0EES1B_IbLb1EEEEDaS17_S18_EUlS17_E_NS1_11comp_targetILNS1_3genE3ELNS1_11target_archE908ELNS1_3gpuE7ELNS1_3repE0EEENS1_30default_config_static_selectorELNS0_4arch9wavefront6targetE1EEEvT1_
		.amdhsa_group_segment_fixed_size 0
		.amdhsa_private_segment_fixed_size 0
		.amdhsa_kernarg_size 136
		.amdhsa_user_sgpr_count 2
		.amdhsa_user_sgpr_dispatch_ptr 0
		.amdhsa_user_sgpr_queue_ptr 0
		.amdhsa_user_sgpr_kernarg_segment_ptr 1
		.amdhsa_user_sgpr_dispatch_id 0
		.amdhsa_user_sgpr_kernarg_preload_length 0
		.amdhsa_user_sgpr_kernarg_preload_offset 0
		.amdhsa_user_sgpr_private_segment_size 0
		.amdhsa_uses_dynamic_stack 0
		.amdhsa_enable_private_segment 0
		.amdhsa_system_sgpr_workgroup_id_x 1
		.amdhsa_system_sgpr_workgroup_id_y 0
		.amdhsa_system_sgpr_workgroup_id_z 0
		.amdhsa_system_sgpr_workgroup_info 0
		.amdhsa_system_vgpr_workitem_id 0
		.amdhsa_next_free_vgpr 1
		.amdhsa_next_free_sgpr 0
		.amdhsa_accum_offset 4
		.amdhsa_reserve_vcc 0
		.amdhsa_float_round_mode_32 0
		.amdhsa_float_round_mode_16_64 0
		.amdhsa_float_denorm_mode_32 3
		.amdhsa_float_denorm_mode_16_64 3
		.amdhsa_dx10_clamp 1
		.amdhsa_ieee_mode 1
		.amdhsa_fp16_overflow 0
		.amdhsa_tg_split 0
		.amdhsa_exception_fp_ieee_invalid_op 0
		.amdhsa_exception_fp_denorm_src 0
		.amdhsa_exception_fp_ieee_div_zero 0
		.amdhsa_exception_fp_ieee_overflow 0
		.amdhsa_exception_fp_ieee_underflow 0
		.amdhsa_exception_fp_ieee_inexact 0
		.amdhsa_exception_int_div_zero 0
	.end_amdhsa_kernel
	.section	.text._ZN7rocprim17ROCPRIM_400000_NS6detail17trampoline_kernelINS0_14default_configENS1_25partition_config_selectorILNS1_17partition_subalgoE3EN6thrust23THRUST_200600_302600_NS5tupleIssNS7_9null_typeES9_S9_S9_S9_S9_S9_S9_EENS0_10empty_typeEbEEZZNS1_14partition_implILS5_3ELb0ES3_jNS7_6detail15normal_iteratorINS7_7pointerISA_NS7_11hip_rocprim3tagENS7_11use_defaultESJ_EEEEPSB_SM_NS0_5tupleIJPSA_SM_EEENSN_IJSM_SM_EEESB_PlJ10is_orderedEEE10hipError_tPvRmT3_T4_T5_T6_T7_T9_mT8_P12ihipStream_tbDpT10_ENKUlT_T0_E_clISt17integral_constantIbLb0EES1B_IbLb1EEEEDaS17_S18_EUlS17_E_NS1_11comp_targetILNS1_3genE3ELNS1_11target_archE908ELNS1_3gpuE7ELNS1_3repE0EEENS1_30default_config_static_selectorELNS0_4arch9wavefront6targetE1EEEvT1_,"axG",@progbits,_ZN7rocprim17ROCPRIM_400000_NS6detail17trampoline_kernelINS0_14default_configENS1_25partition_config_selectorILNS1_17partition_subalgoE3EN6thrust23THRUST_200600_302600_NS5tupleIssNS7_9null_typeES9_S9_S9_S9_S9_S9_S9_EENS0_10empty_typeEbEEZZNS1_14partition_implILS5_3ELb0ES3_jNS7_6detail15normal_iteratorINS7_7pointerISA_NS7_11hip_rocprim3tagENS7_11use_defaultESJ_EEEEPSB_SM_NS0_5tupleIJPSA_SM_EEENSN_IJSM_SM_EEESB_PlJ10is_orderedEEE10hipError_tPvRmT3_T4_T5_T6_T7_T9_mT8_P12ihipStream_tbDpT10_ENKUlT_T0_E_clISt17integral_constantIbLb0EES1B_IbLb1EEEEDaS17_S18_EUlS17_E_NS1_11comp_targetILNS1_3genE3ELNS1_11target_archE908ELNS1_3gpuE7ELNS1_3repE0EEENS1_30default_config_static_selectorELNS0_4arch9wavefront6targetE1EEEvT1_,comdat
.Lfunc_end3556:
	.size	_ZN7rocprim17ROCPRIM_400000_NS6detail17trampoline_kernelINS0_14default_configENS1_25partition_config_selectorILNS1_17partition_subalgoE3EN6thrust23THRUST_200600_302600_NS5tupleIssNS7_9null_typeES9_S9_S9_S9_S9_S9_S9_EENS0_10empty_typeEbEEZZNS1_14partition_implILS5_3ELb0ES3_jNS7_6detail15normal_iteratorINS7_7pointerISA_NS7_11hip_rocprim3tagENS7_11use_defaultESJ_EEEEPSB_SM_NS0_5tupleIJPSA_SM_EEENSN_IJSM_SM_EEESB_PlJ10is_orderedEEE10hipError_tPvRmT3_T4_T5_T6_T7_T9_mT8_P12ihipStream_tbDpT10_ENKUlT_T0_E_clISt17integral_constantIbLb0EES1B_IbLb1EEEEDaS17_S18_EUlS17_E_NS1_11comp_targetILNS1_3genE3ELNS1_11target_archE908ELNS1_3gpuE7ELNS1_3repE0EEENS1_30default_config_static_selectorELNS0_4arch9wavefront6targetE1EEEvT1_, .Lfunc_end3556-_ZN7rocprim17ROCPRIM_400000_NS6detail17trampoline_kernelINS0_14default_configENS1_25partition_config_selectorILNS1_17partition_subalgoE3EN6thrust23THRUST_200600_302600_NS5tupleIssNS7_9null_typeES9_S9_S9_S9_S9_S9_S9_EENS0_10empty_typeEbEEZZNS1_14partition_implILS5_3ELb0ES3_jNS7_6detail15normal_iteratorINS7_7pointerISA_NS7_11hip_rocprim3tagENS7_11use_defaultESJ_EEEEPSB_SM_NS0_5tupleIJPSA_SM_EEENSN_IJSM_SM_EEESB_PlJ10is_orderedEEE10hipError_tPvRmT3_T4_T5_T6_T7_T9_mT8_P12ihipStream_tbDpT10_ENKUlT_T0_E_clISt17integral_constantIbLb0EES1B_IbLb1EEEEDaS17_S18_EUlS17_E_NS1_11comp_targetILNS1_3genE3ELNS1_11target_archE908ELNS1_3gpuE7ELNS1_3repE0EEENS1_30default_config_static_selectorELNS0_4arch9wavefront6targetE1EEEvT1_
                                        ; -- End function
	.section	.AMDGPU.csdata,"",@progbits
; Kernel info:
; codeLenInByte = 0
; NumSgprs: 6
; NumVgprs: 0
; NumAgprs: 0
; TotalNumVgprs: 0
; ScratchSize: 0
; MemoryBound: 0
; FloatMode: 240
; IeeeMode: 1
; LDSByteSize: 0 bytes/workgroup (compile time only)
; SGPRBlocks: 0
; VGPRBlocks: 0
; NumSGPRsForWavesPerEU: 6
; NumVGPRsForWavesPerEU: 1
; AccumOffset: 4
; Occupancy: 8
; WaveLimiterHint : 0
; COMPUTE_PGM_RSRC2:SCRATCH_EN: 0
; COMPUTE_PGM_RSRC2:USER_SGPR: 2
; COMPUTE_PGM_RSRC2:TRAP_HANDLER: 0
; COMPUTE_PGM_RSRC2:TGID_X_EN: 1
; COMPUTE_PGM_RSRC2:TGID_Y_EN: 0
; COMPUTE_PGM_RSRC2:TGID_Z_EN: 0
; COMPUTE_PGM_RSRC2:TIDIG_COMP_CNT: 0
; COMPUTE_PGM_RSRC3_GFX90A:ACCUM_OFFSET: 0
; COMPUTE_PGM_RSRC3_GFX90A:TG_SPLIT: 0
	.section	.text._ZN7rocprim17ROCPRIM_400000_NS6detail17trampoline_kernelINS0_14default_configENS1_25partition_config_selectorILNS1_17partition_subalgoE3EN6thrust23THRUST_200600_302600_NS5tupleIssNS7_9null_typeES9_S9_S9_S9_S9_S9_S9_EENS0_10empty_typeEbEEZZNS1_14partition_implILS5_3ELb0ES3_jNS7_6detail15normal_iteratorINS7_7pointerISA_NS7_11hip_rocprim3tagENS7_11use_defaultESJ_EEEEPSB_SM_NS0_5tupleIJPSA_SM_EEENSN_IJSM_SM_EEESB_PlJ10is_orderedEEE10hipError_tPvRmT3_T4_T5_T6_T7_T9_mT8_P12ihipStream_tbDpT10_ENKUlT_T0_E_clISt17integral_constantIbLb0EES1B_IbLb1EEEEDaS17_S18_EUlS17_E_NS1_11comp_targetILNS1_3genE2ELNS1_11target_archE906ELNS1_3gpuE6ELNS1_3repE0EEENS1_30default_config_static_selectorELNS0_4arch9wavefront6targetE1EEEvT1_,"axG",@progbits,_ZN7rocprim17ROCPRIM_400000_NS6detail17trampoline_kernelINS0_14default_configENS1_25partition_config_selectorILNS1_17partition_subalgoE3EN6thrust23THRUST_200600_302600_NS5tupleIssNS7_9null_typeES9_S9_S9_S9_S9_S9_S9_EENS0_10empty_typeEbEEZZNS1_14partition_implILS5_3ELb0ES3_jNS7_6detail15normal_iteratorINS7_7pointerISA_NS7_11hip_rocprim3tagENS7_11use_defaultESJ_EEEEPSB_SM_NS0_5tupleIJPSA_SM_EEENSN_IJSM_SM_EEESB_PlJ10is_orderedEEE10hipError_tPvRmT3_T4_T5_T6_T7_T9_mT8_P12ihipStream_tbDpT10_ENKUlT_T0_E_clISt17integral_constantIbLb0EES1B_IbLb1EEEEDaS17_S18_EUlS17_E_NS1_11comp_targetILNS1_3genE2ELNS1_11target_archE906ELNS1_3gpuE6ELNS1_3repE0EEENS1_30default_config_static_selectorELNS0_4arch9wavefront6targetE1EEEvT1_,comdat
	.protected	_ZN7rocprim17ROCPRIM_400000_NS6detail17trampoline_kernelINS0_14default_configENS1_25partition_config_selectorILNS1_17partition_subalgoE3EN6thrust23THRUST_200600_302600_NS5tupleIssNS7_9null_typeES9_S9_S9_S9_S9_S9_S9_EENS0_10empty_typeEbEEZZNS1_14partition_implILS5_3ELb0ES3_jNS7_6detail15normal_iteratorINS7_7pointerISA_NS7_11hip_rocprim3tagENS7_11use_defaultESJ_EEEEPSB_SM_NS0_5tupleIJPSA_SM_EEENSN_IJSM_SM_EEESB_PlJ10is_orderedEEE10hipError_tPvRmT3_T4_T5_T6_T7_T9_mT8_P12ihipStream_tbDpT10_ENKUlT_T0_E_clISt17integral_constantIbLb0EES1B_IbLb1EEEEDaS17_S18_EUlS17_E_NS1_11comp_targetILNS1_3genE2ELNS1_11target_archE906ELNS1_3gpuE6ELNS1_3repE0EEENS1_30default_config_static_selectorELNS0_4arch9wavefront6targetE1EEEvT1_ ; -- Begin function _ZN7rocprim17ROCPRIM_400000_NS6detail17trampoline_kernelINS0_14default_configENS1_25partition_config_selectorILNS1_17partition_subalgoE3EN6thrust23THRUST_200600_302600_NS5tupleIssNS7_9null_typeES9_S9_S9_S9_S9_S9_S9_EENS0_10empty_typeEbEEZZNS1_14partition_implILS5_3ELb0ES3_jNS7_6detail15normal_iteratorINS7_7pointerISA_NS7_11hip_rocprim3tagENS7_11use_defaultESJ_EEEEPSB_SM_NS0_5tupleIJPSA_SM_EEENSN_IJSM_SM_EEESB_PlJ10is_orderedEEE10hipError_tPvRmT3_T4_T5_T6_T7_T9_mT8_P12ihipStream_tbDpT10_ENKUlT_T0_E_clISt17integral_constantIbLb0EES1B_IbLb1EEEEDaS17_S18_EUlS17_E_NS1_11comp_targetILNS1_3genE2ELNS1_11target_archE906ELNS1_3gpuE6ELNS1_3repE0EEENS1_30default_config_static_selectorELNS0_4arch9wavefront6targetE1EEEvT1_
	.globl	_ZN7rocprim17ROCPRIM_400000_NS6detail17trampoline_kernelINS0_14default_configENS1_25partition_config_selectorILNS1_17partition_subalgoE3EN6thrust23THRUST_200600_302600_NS5tupleIssNS7_9null_typeES9_S9_S9_S9_S9_S9_S9_EENS0_10empty_typeEbEEZZNS1_14partition_implILS5_3ELb0ES3_jNS7_6detail15normal_iteratorINS7_7pointerISA_NS7_11hip_rocprim3tagENS7_11use_defaultESJ_EEEEPSB_SM_NS0_5tupleIJPSA_SM_EEENSN_IJSM_SM_EEESB_PlJ10is_orderedEEE10hipError_tPvRmT3_T4_T5_T6_T7_T9_mT8_P12ihipStream_tbDpT10_ENKUlT_T0_E_clISt17integral_constantIbLb0EES1B_IbLb1EEEEDaS17_S18_EUlS17_E_NS1_11comp_targetILNS1_3genE2ELNS1_11target_archE906ELNS1_3gpuE6ELNS1_3repE0EEENS1_30default_config_static_selectorELNS0_4arch9wavefront6targetE1EEEvT1_
	.p2align	8
	.type	_ZN7rocprim17ROCPRIM_400000_NS6detail17trampoline_kernelINS0_14default_configENS1_25partition_config_selectorILNS1_17partition_subalgoE3EN6thrust23THRUST_200600_302600_NS5tupleIssNS7_9null_typeES9_S9_S9_S9_S9_S9_S9_EENS0_10empty_typeEbEEZZNS1_14partition_implILS5_3ELb0ES3_jNS7_6detail15normal_iteratorINS7_7pointerISA_NS7_11hip_rocprim3tagENS7_11use_defaultESJ_EEEEPSB_SM_NS0_5tupleIJPSA_SM_EEENSN_IJSM_SM_EEESB_PlJ10is_orderedEEE10hipError_tPvRmT3_T4_T5_T6_T7_T9_mT8_P12ihipStream_tbDpT10_ENKUlT_T0_E_clISt17integral_constantIbLb0EES1B_IbLb1EEEEDaS17_S18_EUlS17_E_NS1_11comp_targetILNS1_3genE2ELNS1_11target_archE906ELNS1_3gpuE6ELNS1_3repE0EEENS1_30default_config_static_selectorELNS0_4arch9wavefront6targetE1EEEvT1_,@function
_ZN7rocprim17ROCPRIM_400000_NS6detail17trampoline_kernelINS0_14default_configENS1_25partition_config_selectorILNS1_17partition_subalgoE3EN6thrust23THRUST_200600_302600_NS5tupleIssNS7_9null_typeES9_S9_S9_S9_S9_S9_S9_EENS0_10empty_typeEbEEZZNS1_14partition_implILS5_3ELb0ES3_jNS7_6detail15normal_iteratorINS7_7pointerISA_NS7_11hip_rocprim3tagENS7_11use_defaultESJ_EEEEPSB_SM_NS0_5tupleIJPSA_SM_EEENSN_IJSM_SM_EEESB_PlJ10is_orderedEEE10hipError_tPvRmT3_T4_T5_T6_T7_T9_mT8_P12ihipStream_tbDpT10_ENKUlT_T0_E_clISt17integral_constantIbLb0EES1B_IbLb1EEEEDaS17_S18_EUlS17_E_NS1_11comp_targetILNS1_3genE2ELNS1_11target_archE906ELNS1_3gpuE6ELNS1_3repE0EEENS1_30default_config_static_selectorELNS0_4arch9wavefront6targetE1EEEvT1_: ; @_ZN7rocprim17ROCPRIM_400000_NS6detail17trampoline_kernelINS0_14default_configENS1_25partition_config_selectorILNS1_17partition_subalgoE3EN6thrust23THRUST_200600_302600_NS5tupleIssNS7_9null_typeES9_S9_S9_S9_S9_S9_S9_EENS0_10empty_typeEbEEZZNS1_14partition_implILS5_3ELb0ES3_jNS7_6detail15normal_iteratorINS7_7pointerISA_NS7_11hip_rocprim3tagENS7_11use_defaultESJ_EEEEPSB_SM_NS0_5tupleIJPSA_SM_EEENSN_IJSM_SM_EEESB_PlJ10is_orderedEEE10hipError_tPvRmT3_T4_T5_T6_T7_T9_mT8_P12ihipStream_tbDpT10_ENKUlT_T0_E_clISt17integral_constantIbLb0EES1B_IbLb1EEEEDaS17_S18_EUlS17_E_NS1_11comp_targetILNS1_3genE2ELNS1_11target_archE906ELNS1_3gpuE6ELNS1_3repE0EEENS1_30default_config_static_selectorELNS0_4arch9wavefront6targetE1EEEvT1_
; %bb.0:
	.section	.rodata,"a",@progbits
	.p2align	6, 0x0
	.amdhsa_kernel _ZN7rocprim17ROCPRIM_400000_NS6detail17trampoline_kernelINS0_14default_configENS1_25partition_config_selectorILNS1_17partition_subalgoE3EN6thrust23THRUST_200600_302600_NS5tupleIssNS7_9null_typeES9_S9_S9_S9_S9_S9_S9_EENS0_10empty_typeEbEEZZNS1_14partition_implILS5_3ELb0ES3_jNS7_6detail15normal_iteratorINS7_7pointerISA_NS7_11hip_rocprim3tagENS7_11use_defaultESJ_EEEEPSB_SM_NS0_5tupleIJPSA_SM_EEENSN_IJSM_SM_EEESB_PlJ10is_orderedEEE10hipError_tPvRmT3_T4_T5_T6_T7_T9_mT8_P12ihipStream_tbDpT10_ENKUlT_T0_E_clISt17integral_constantIbLb0EES1B_IbLb1EEEEDaS17_S18_EUlS17_E_NS1_11comp_targetILNS1_3genE2ELNS1_11target_archE906ELNS1_3gpuE6ELNS1_3repE0EEENS1_30default_config_static_selectorELNS0_4arch9wavefront6targetE1EEEvT1_
		.amdhsa_group_segment_fixed_size 0
		.amdhsa_private_segment_fixed_size 0
		.amdhsa_kernarg_size 136
		.amdhsa_user_sgpr_count 2
		.amdhsa_user_sgpr_dispatch_ptr 0
		.amdhsa_user_sgpr_queue_ptr 0
		.amdhsa_user_sgpr_kernarg_segment_ptr 1
		.amdhsa_user_sgpr_dispatch_id 0
		.amdhsa_user_sgpr_kernarg_preload_length 0
		.amdhsa_user_sgpr_kernarg_preload_offset 0
		.amdhsa_user_sgpr_private_segment_size 0
		.amdhsa_uses_dynamic_stack 0
		.amdhsa_enable_private_segment 0
		.amdhsa_system_sgpr_workgroup_id_x 1
		.amdhsa_system_sgpr_workgroup_id_y 0
		.amdhsa_system_sgpr_workgroup_id_z 0
		.amdhsa_system_sgpr_workgroup_info 0
		.amdhsa_system_vgpr_workitem_id 0
		.amdhsa_next_free_vgpr 1
		.amdhsa_next_free_sgpr 0
		.amdhsa_accum_offset 4
		.amdhsa_reserve_vcc 0
		.amdhsa_float_round_mode_32 0
		.amdhsa_float_round_mode_16_64 0
		.amdhsa_float_denorm_mode_32 3
		.amdhsa_float_denorm_mode_16_64 3
		.amdhsa_dx10_clamp 1
		.amdhsa_ieee_mode 1
		.amdhsa_fp16_overflow 0
		.amdhsa_tg_split 0
		.amdhsa_exception_fp_ieee_invalid_op 0
		.amdhsa_exception_fp_denorm_src 0
		.amdhsa_exception_fp_ieee_div_zero 0
		.amdhsa_exception_fp_ieee_overflow 0
		.amdhsa_exception_fp_ieee_underflow 0
		.amdhsa_exception_fp_ieee_inexact 0
		.amdhsa_exception_int_div_zero 0
	.end_amdhsa_kernel
	.section	.text._ZN7rocprim17ROCPRIM_400000_NS6detail17trampoline_kernelINS0_14default_configENS1_25partition_config_selectorILNS1_17partition_subalgoE3EN6thrust23THRUST_200600_302600_NS5tupleIssNS7_9null_typeES9_S9_S9_S9_S9_S9_S9_EENS0_10empty_typeEbEEZZNS1_14partition_implILS5_3ELb0ES3_jNS7_6detail15normal_iteratorINS7_7pointerISA_NS7_11hip_rocprim3tagENS7_11use_defaultESJ_EEEEPSB_SM_NS0_5tupleIJPSA_SM_EEENSN_IJSM_SM_EEESB_PlJ10is_orderedEEE10hipError_tPvRmT3_T4_T5_T6_T7_T9_mT8_P12ihipStream_tbDpT10_ENKUlT_T0_E_clISt17integral_constantIbLb0EES1B_IbLb1EEEEDaS17_S18_EUlS17_E_NS1_11comp_targetILNS1_3genE2ELNS1_11target_archE906ELNS1_3gpuE6ELNS1_3repE0EEENS1_30default_config_static_selectorELNS0_4arch9wavefront6targetE1EEEvT1_,"axG",@progbits,_ZN7rocprim17ROCPRIM_400000_NS6detail17trampoline_kernelINS0_14default_configENS1_25partition_config_selectorILNS1_17partition_subalgoE3EN6thrust23THRUST_200600_302600_NS5tupleIssNS7_9null_typeES9_S9_S9_S9_S9_S9_S9_EENS0_10empty_typeEbEEZZNS1_14partition_implILS5_3ELb0ES3_jNS7_6detail15normal_iteratorINS7_7pointerISA_NS7_11hip_rocprim3tagENS7_11use_defaultESJ_EEEEPSB_SM_NS0_5tupleIJPSA_SM_EEENSN_IJSM_SM_EEESB_PlJ10is_orderedEEE10hipError_tPvRmT3_T4_T5_T6_T7_T9_mT8_P12ihipStream_tbDpT10_ENKUlT_T0_E_clISt17integral_constantIbLb0EES1B_IbLb1EEEEDaS17_S18_EUlS17_E_NS1_11comp_targetILNS1_3genE2ELNS1_11target_archE906ELNS1_3gpuE6ELNS1_3repE0EEENS1_30default_config_static_selectorELNS0_4arch9wavefront6targetE1EEEvT1_,comdat
.Lfunc_end3557:
	.size	_ZN7rocprim17ROCPRIM_400000_NS6detail17trampoline_kernelINS0_14default_configENS1_25partition_config_selectorILNS1_17partition_subalgoE3EN6thrust23THRUST_200600_302600_NS5tupleIssNS7_9null_typeES9_S9_S9_S9_S9_S9_S9_EENS0_10empty_typeEbEEZZNS1_14partition_implILS5_3ELb0ES3_jNS7_6detail15normal_iteratorINS7_7pointerISA_NS7_11hip_rocprim3tagENS7_11use_defaultESJ_EEEEPSB_SM_NS0_5tupleIJPSA_SM_EEENSN_IJSM_SM_EEESB_PlJ10is_orderedEEE10hipError_tPvRmT3_T4_T5_T6_T7_T9_mT8_P12ihipStream_tbDpT10_ENKUlT_T0_E_clISt17integral_constantIbLb0EES1B_IbLb1EEEEDaS17_S18_EUlS17_E_NS1_11comp_targetILNS1_3genE2ELNS1_11target_archE906ELNS1_3gpuE6ELNS1_3repE0EEENS1_30default_config_static_selectorELNS0_4arch9wavefront6targetE1EEEvT1_, .Lfunc_end3557-_ZN7rocprim17ROCPRIM_400000_NS6detail17trampoline_kernelINS0_14default_configENS1_25partition_config_selectorILNS1_17partition_subalgoE3EN6thrust23THRUST_200600_302600_NS5tupleIssNS7_9null_typeES9_S9_S9_S9_S9_S9_S9_EENS0_10empty_typeEbEEZZNS1_14partition_implILS5_3ELb0ES3_jNS7_6detail15normal_iteratorINS7_7pointerISA_NS7_11hip_rocprim3tagENS7_11use_defaultESJ_EEEEPSB_SM_NS0_5tupleIJPSA_SM_EEENSN_IJSM_SM_EEESB_PlJ10is_orderedEEE10hipError_tPvRmT3_T4_T5_T6_T7_T9_mT8_P12ihipStream_tbDpT10_ENKUlT_T0_E_clISt17integral_constantIbLb0EES1B_IbLb1EEEEDaS17_S18_EUlS17_E_NS1_11comp_targetILNS1_3genE2ELNS1_11target_archE906ELNS1_3gpuE6ELNS1_3repE0EEENS1_30default_config_static_selectorELNS0_4arch9wavefront6targetE1EEEvT1_
                                        ; -- End function
	.section	.AMDGPU.csdata,"",@progbits
; Kernel info:
; codeLenInByte = 0
; NumSgprs: 6
; NumVgprs: 0
; NumAgprs: 0
; TotalNumVgprs: 0
; ScratchSize: 0
; MemoryBound: 0
; FloatMode: 240
; IeeeMode: 1
; LDSByteSize: 0 bytes/workgroup (compile time only)
; SGPRBlocks: 0
; VGPRBlocks: 0
; NumSGPRsForWavesPerEU: 6
; NumVGPRsForWavesPerEU: 1
; AccumOffset: 4
; Occupancy: 8
; WaveLimiterHint : 0
; COMPUTE_PGM_RSRC2:SCRATCH_EN: 0
; COMPUTE_PGM_RSRC2:USER_SGPR: 2
; COMPUTE_PGM_RSRC2:TRAP_HANDLER: 0
; COMPUTE_PGM_RSRC2:TGID_X_EN: 1
; COMPUTE_PGM_RSRC2:TGID_Y_EN: 0
; COMPUTE_PGM_RSRC2:TGID_Z_EN: 0
; COMPUTE_PGM_RSRC2:TIDIG_COMP_CNT: 0
; COMPUTE_PGM_RSRC3_GFX90A:ACCUM_OFFSET: 0
; COMPUTE_PGM_RSRC3_GFX90A:TG_SPLIT: 0
	.section	.text._ZN7rocprim17ROCPRIM_400000_NS6detail17trampoline_kernelINS0_14default_configENS1_25partition_config_selectorILNS1_17partition_subalgoE3EN6thrust23THRUST_200600_302600_NS5tupleIssNS7_9null_typeES9_S9_S9_S9_S9_S9_S9_EENS0_10empty_typeEbEEZZNS1_14partition_implILS5_3ELb0ES3_jNS7_6detail15normal_iteratorINS7_7pointerISA_NS7_11hip_rocprim3tagENS7_11use_defaultESJ_EEEEPSB_SM_NS0_5tupleIJPSA_SM_EEENSN_IJSM_SM_EEESB_PlJ10is_orderedEEE10hipError_tPvRmT3_T4_T5_T6_T7_T9_mT8_P12ihipStream_tbDpT10_ENKUlT_T0_E_clISt17integral_constantIbLb0EES1B_IbLb1EEEEDaS17_S18_EUlS17_E_NS1_11comp_targetILNS1_3genE10ELNS1_11target_archE1200ELNS1_3gpuE4ELNS1_3repE0EEENS1_30default_config_static_selectorELNS0_4arch9wavefront6targetE1EEEvT1_,"axG",@progbits,_ZN7rocprim17ROCPRIM_400000_NS6detail17trampoline_kernelINS0_14default_configENS1_25partition_config_selectorILNS1_17partition_subalgoE3EN6thrust23THRUST_200600_302600_NS5tupleIssNS7_9null_typeES9_S9_S9_S9_S9_S9_S9_EENS0_10empty_typeEbEEZZNS1_14partition_implILS5_3ELb0ES3_jNS7_6detail15normal_iteratorINS7_7pointerISA_NS7_11hip_rocprim3tagENS7_11use_defaultESJ_EEEEPSB_SM_NS0_5tupleIJPSA_SM_EEENSN_IJSM_SM_EEESB_PlJ10is_orderedEEE10hipError_tPvRmT3_T4_T5_T6_T7_T9_mT8_P12ihipStream_tbDpT10_ENKUlT_T0_E_clISt17integral_constantIbLb0EES1B_IbLb1EEEEDaS17_S18_EUlS17_E_NS1_11comp_targetILNS1_3genE10ELNS1_11target_archE1200ELNS1_3gpuE4ELNS1_3repE0EEENS1_30default_config_static_selectorELNS0_4arch9wavefront6targetE1EEEvT1_,comdat
	.protected	_ZN7rocprim17ROCPRIM_400000_NS6detail17trampoline_kernelINS0_14default_configENS1_25partition_config_selectorILNS1_17partition_subalgoE3EN6thrust23THRUST_200600_302600_NS5tupleIssNS7_9null_typeES9_S9_S9_S9_S9_S9_S9_EENS0_10empty_typeEbEEZZNS1_14partition_implILS5_3ELb0ES3_jNS7_6detail15normal_iteratorINS7_7pointerISA_NS7_11hip_rocprim3tagENS7_11use_defaultESJ_EEEEPSB_SM_NS0_5tupleIJPSA_SM_EEENSN_IJSM_SM_EEESB_PlJ10is_orderedEEE10hipError_tPvRmT3_T4_T5_T6_T7_T9_mT8_P12ihipStream_tbDpT10_ENKUlT_T0_E_clISt17integral_constantIbLb0EES1B_IbLb1EEEEDaS17_S18_EUlS17_E_NS1_11comp_targetILNS1_3genE10ELNS1_11target_archE1200ELNS1_3gpuE4ELNS1_3repE0EEENS1_30default_config_static_selectorELNS0_4arch9wavefront6targetE1EEEvT1_ ; -- Begin function _ZN7rocprim17ROCPRIM_400000_NS6detail17trampoline_kernelINS0_14default_configENS1_25partition_config_selectorILNS1_17partition_subalgoE3EN6thrust23THRUST_200600_302600_NS5tupleIssNS7_9null_typeES9_S9_S9_S9_S9_S9_S9_EENS0_10empty_typeEbEEZZNS1_14partition_implILS5_3ELb0ES3_jNS7_6detail15normal_iteratorINS7_7pointerISA_NS7_11hip_rocprim3tagENS7_11use_defaultESJ_EEEEPSB_SM_NS0_5tupleIJPSA_SM_EEENSN_IJSM_SM_EEESB_PlJ10is_orderedEEE10hipError_tPvRmT3_T4_T5_T6_T7_T9_mT8_P12ihipStream_tbDpT10_ENKUlT_T0_E_clISt17integral_constantIbLb0EES1B_IbLb1EEEEDaS17_S18_EUlS17_E_NS1_11comp_targetILNS1_3genE10ELNS1_11target_archE1200ELNS1_3gpuE4ELNS1_3repE0EEENS1_30default_config_static_selectorELNS0_4arch9wavefront6targetE1EEEvT1_
	.globl	_ZN7rocprim17ROCPRIM_400000_NS6detail17trampoline_kernelINS0_14default_configENS1_25partition_config_selectorILNS1_17partition_subalgoE3EN6thrust23THRUST_200600_302600_NS5tupleIssNS7_9null_typeES9_S9_S9_S9_S9_S9_S9_EENS0_10empty_typeEbEEZZNS1_14partition_implILS5_3ELb0ES3_jNS7_6detail15normal_iteratorINS7_7pointerISA_NS7_11hip_rocprim3tagENS7_11use_defaultESJ_EEEEPSB_SM_NS0_5tupleIJPSA_SM_EEENSN_IJSM_SM_EEESB_PlJ10is_orderedEEE10hipError_tPvRmT3_T4_T5_T6_T7_T9_mT8_P12ihipStream_tbDpT10_ENKUlT_T0_E_clISt17integral_constantIbLb0EES1B_IbLb1EEEEDaS17_S18_EUlS17_E_NS1_11comp_targetILNS1_3genE10ELNS1_11target_archE1200ELNS1_3gpuE4ELNS1_3repE0EEENS1_30default_config_static_selectorELNS0_4arch9wavefront6targetE1EEEvT1_
	.p2align	8
	.type	_ZN7rocprim17ROCPRIM_400000_NS6detail17trampoline_kernelINS0_14default_configENS1_25partition_config_selectorILNS1_17partition_subalgoE3EN6thrust23THRUST_200600_302600_NS5tupleIssNS7_9null_typeES9_S9_S9_S9_S9_S9_S9_EENS0_10empty_typeEbEEZZNS1_14partition_implILS5_3ELb0ES3_jNS7_6detail15normal_iteratorINS7_7pointerISA_NS7_11hip_rocprim3tagENS7_11use_defaultESJ_EEEEPSB_SM_NS0_5tupleIJPSA_SM_EEENSN_IJSM_SM_EEESB_PlJ10is_orderedEEE10hipError_tPvRmT3_T4_T5_T6_T7_T9_mT8_P12ihipStream_tbDpT10_ENKUlT_T0_E_clISt17integral_constantIbLb0EES1B_IbLb1EEEEDaS17_S18_EUlS17_E_NS1_11comp_targetILNS1_3genE10ELNS1_11target_archE1200ELNS1_3gpuE4ELNS1_3repE0EEENS1_30default_config_static_selectorELNS0_4arch9wavefront6targetE1EEEvT1_,@function
_ZN7rocprim17ROCPRIM_400000_NS6detail17trampoline_kernelINS0_14default_configENS1_25partition_config_selectorILNS1_17partition_subalgoE3EN6thrust23THRUST_200600_302600_NS5tupleIssNS7_9null_typeES9_S9_S9_S9_S9_S9_S9_EENS0_10empty_typeEbEEZZNS1_14partition_implILS5_3ELb0ES3_jNS7_6detail15normal_iteratorINS7_7pointerISA_NS7_11hip_rocprim3tagENS7_11use_defaultESJ_EEEEPSB_SM_NS0_5tupleIJPSA_SM_EEENSN_IJSM_SM_EEESB_PlJ10is_orderedEEE10hipError_tPvRmT3_T4_T5_T6_T7_T9_mT8_P12ihipStream_tbDpT10_ENKUlT_T0_E_clISt17integral_constantIbLb0EES1B_IbLb1EEEEDaS17_S18_EUlS17_E_NS1_11comp_targetILNS1_3genE10ELNS1_11target_archE1200ELNS1_3gpuE4ELNS1_3repE0EEENS1_30default_config_static_selectorELNS0_4arch9wavefront6targetE1EEEvT1_: ; @_ZN7rocprim17ROCPRIM_400000_NS6detail17trampoline_kernelINS0_14default_configENS1_25partition_config_selectorILNS1_17partition_subalgoE3EN6thrust23THRUST_200600_302600_NS5tupleIssNS7_9null_typeES9_S9_S9_S9_S9_S9_S9_EENS0_10empty_typeEbEEZZNS1_14partition_implILS5_3ELb0ES3_jNS7_6detail15normal_iteratorINS7_7pointerISA_NS7_11hip_rocprim3tagENS7_11use_defaultESJ_EEEEPSB_SM_NS0_5tupleIJPSA_SM_EEENSN_IJSM_SM_EEESB_PlJ10is_orderedEEE10hipError_tPvRmT3_T4_T5_T6_T7_T9_mT8_P12ihipStream_tbDpT10_ENKUlT_T0_E_clISt17integral_constantIbLb0EES1B_IbLb1EEEEDaS17_S18_EUlS17_E_NS1_11comp_targetILNS1_3genE10ELNS1_11target_archE1200ELNS1_3gpuE4ELNS1_3repE0EEENS1_30default_config_static_selectorELNS0_4arch9wavefront6targetE1EEEvT1_
; %bb.0:
	.section	.rodata,"a",@progbits
	.p2align	6, 0x0
	.amdhsa_kernel _ZN7rocprim17ROCPRIM_400000_NS6detail17trampoline_kernelINS0_14default_configENS1_25partition_config_selectorILNS1_17partition_subalgoE3EN6thrust23THRUST_200600_302600_NS5tupleIssNS7_9null_typeES9_S9_S9_S9_S9_S9_S9_EENS0_10empty_typeEbEEZZNS1_14partition_implILS5_3ELb0ES3_jNS7_6detail15normal_iteratorINS7_7pointerISA_NS7_11hip_rocprim3tagENS7_11use_defaultESJ_EEEEPSB_SM_NS0_5tupleIJPSA_SM_EEENSN_IJSM_SM_EEESB_PlJ10is_orderedEEE10hipError_tPvRmT3_T4_T5_T6_T7_T9_mT8_P12ihipStream_tbDpT10_ENKUlT_T0_E_clISt17integral_constantIbLb0EES1B_IbLb1EEEEDaS17_S18_EUlS17_E_NS1_11comp_targetILNS1_3genE10ELNS1_11target_archE1200ELNS1_3gpuE4ELNS1_3repE0EEENS1_30default_config_static_selectorELNS0_4arch9wavefront6targetE1EEEvT1_
		.amdhsa_group_segment_fixed_size 0
		.amdhsa_private_segment_fixed_size 0
		.amdhsa_kernarg_size 136
		.amdhsa_user_sgpr_count 2
		.amdhsa_user_sgpr_dispatch_ptr 0
		.amdhsa_user_sgpr_queue_ptr 0
		.amdhsa_user_sgpr_kernarg_segment_ptr 1
		.amdhsa_user_sgpr_dispatch_id 0
		.amdhsa_user_sgpr_kernarg_preload_length 0
		.amdhsa_user_sgpr_kernarg_preload_offset 0
		.amdhsa_user_sgpr_private_segment_size 0
		.amdhsa_uses_dynamic_stack 0
		.amdhsa_enable_private_segment 0
		.amdhsa_system_sgpr_workgroup_id_x 1
		.amdhsa_system_sgpr_workgroup_id_y 0
		.amdhsa_system_sgpr_workgroup_id_z 0
		.amdhsa_system_sgpr_workgroup_info 0
		.amdhsa_system_vgpr_workitem_id 0
		.amdhsa_next_free_vgpr 1
		.amdhsa_next_free_sgpr 0
		.amdhsa_accum_offset 4
		.amdhsa_reserve_vcc 0
		.amdhsa_float_round_mode_32 0
		.amdhsa_float_round_mode_16_64 0
		.amdhsa_float_denorm_mode_32 3
		.amdhsa_float_denorm_mode_16_64 3
		.amdhsa_dx10_clamp 1
		.amdhsa_ieee_mode 1
		.amdhsa_fp16_overflow 0
		.amdhsa_tg_split 0
		.amdhsa_exception_fp_ieee_invalid_op 0
		.amdhsa_exception_fp_denorm_src 0
		.amdhsa_exception_fp_ieee_div_zero 0
		.amdhsa_exception_fp_ieee_overflow 0
		.amdhsa_exception_fp_ieee_underflow 0
		.amdhsa_exception_fp_ieee_inexact 0
		.amdhsa_exception_int_div_zero 0
	.end_amdhsa_kernel
	.section	.text._ZN7rocprim17ROCPRIM_400000_NS6detail17trampoline_kernelINS0_14default_configENS1_25partition_config_selectorILNS1_17partition_subalgoE3EN6thrust23THRUST_200600_302600_NS5tupleIssNS7_9null_typeES9_S9_S9_S9_S9_S9_S9_EENS0_10empty_typeEbEEZZNS1_14partition_implILS5_3ELb0ES3_jNS7_6detail15normal_iteratorINS7_7pointerISA_NS7_11hip_rocprim3tagENS7_11use_defaultESJ_EEEEPSB_SM_NS0_5tupleIJPSA_SM_EEENSN_IJSM_SM_EEESB_PlJ10is_orderedEEE10hipError_tPvRmT3_T4_T5_T6_T7_T9_mT8_P12ihipStream_tbDpT10_ENKUlT_T0_E_clISt17integral_constantIbLb0EES1B_IbLb1EEEEDaS17_S18_EUlS17_E_NS1_11comp_targetILNS1_3genE10ELNS1_11target_archE1200ELNS1_3gpuE4ELNS1_3repE0EEENS1_30default_config_static_selectorELNS0_4arch9wavefront6targetE1EEEvT1_,"axG",@progbits,_ZN7rocprim17ROCPRIM_400000_NS6detail17trampoline_kernelINS0_14default_configENS1_25partition_config_selectorILNS1_17partition_subalgoE3EN6thrust23THRUST_200600_302600_NS5tupleIssNS7_9null_typeES9_S9_S9_S9_S9_S9_S9_EENS0_10empty_typeEbEEZZNS1_14partition_implILS5_3ELb0ES3_jNS7_6detail15normal_iteratorINS7_7pointerISA_NS7_11hip_rocprim3tagENS7_11use_defaultESJ_EEEEPSB_SM_NS0_5tupleIJPSA_SM_EEENSN_IJSM_SM_EEESB_PlJ10is_orderedEEE10hipError_tPvRmT3_T4_T5_T6_T7_T9_mT8_P12ihipStream_tbDpT10_ENKUlT_T0_E_clISt17integral_constantIbLb0EES1B_IbLb1EEEEDaS17_S18_EUlS17_E_NS1_11comp_targetILNS1_3genE10ELNS1_11target_archE1200ELNS1_3gpuE4ELNS1_3repE0EEENS1_30default_config_static_selectorELNS0_4arch9wavefront6targetE1EEEvT1_,comdat
.Lfunc_end3558:
	.size	_ZN7rocprim17ROCPRIM_400000_NS6detail17trampoline_kernelINS0_14default_configENS1_25partition_config_selectorILNS1_17partition_subalgoE3EN6thrust23THRUST_200600_302600_NS5tupleIssNS7_9null_typeES9_S9_S9_S9_S9_S9_S9_EENS0_10empty_typeEbEEZZNS1_14partition_implILS5_3ELb0ES3_jNS7_6detail15normal_iteratorINS7_7pointerISA_NS7_11hip_rocprim3tagENS7_11use_defaultESJ_EEEEPSB_SM_NS0_5tupleIJPSA_SM_EEENSN_IJSM_SM_EEESB_PlJ10is_orderedEEE10hipError_tPvRmT3_T4_T5_T6_T7_T9_mT8_P12ihipStream_tbDpT10_ENKUlT_T0_E_clISt17integral_constantIbLb0EES1B_IbLb1EEEEDaS17_S18_EUlS17_E_NS1_11comp_targetILNS1_3genE10ELNS1_11target_archE1200ELNS1_3gpuE4ELNS1_3repE0EEENS1_30default_config_static_selectorELNS0_4arch9wavefront6targetE1EEEvT1_, .Lfunc_end3558-_ZN7rocprim17ROCPRIM_400000_NS6detail17trampoline_kernelINS0_14default_configENS1_25partition_config_selectorILNS1_17partition_subalgoE3EN6thrust23THRUST_200600_302600_NS5tupleIssNS7_9null_typeES9_S9_S9_S9_S9_S9_S9_EENS0_10empty_typeEbEEZZNS1_14partition_implILS5_3ELb0ES3_jNS7_6detail15normal_iteratorINS7_7pointerISA_NS7_11hip_rocprim3tagENS7_11use_defaultESJ_EEEEPSB_SM_NS0_5tupleIJPSA_SM_EEENSN_IJSM_SM_EEESB_PlJ10is_orderedEEE10hipError_tPvRmT3_T4_T5_T6_T7_T9_mT8_P12ihipStream_tbDpT10_ENKUlT_T0_E_clISt17integral_constantIbLb0EES1B_IbLb1EEEEDaS17_S18_EUlS17_E_NS1_11comp_targetILNS1_3genE10ELNS1_11target_archE1200ELNS1_3gpuE4ELNS1_3repE0EEENS1_30default_config_static_selectorELNS0_4arch9wavefront6targetE1EEEvT1_
                                        ; -- End function
	.section	.AMDGPU.csdata,"",@progbits
; Kernel info:
; codeLenInByte = 0
; NumSgprs: 6
; NumVgprs: 0
; NumAgprs: 0
; TotalNumVgprs: 0
; ScratchSize: 0
; MemoryBound: 0
; FloatMode: 240
; IeeeMode: 1
; LDSByteSize: 0 bytes/workgroup (compile time only)
; SGPRBlocks: 0
; VGPRBlocks: 0
; NumSGPRsForWavesPerEU: 6
; NumVGPRsForWavesPerEU: 1
; AccumOffset: 4
; Occupancy: 8
; WaveLimiterHint : 0
; COMPUTE_PGM_RSRC2:SCRATCH_EN: 0
; COMPUTE_PGM_RSRC2:USER_SGPR: 2
; COMPUTE_PGM_RSRC2:TRAP_HANDLER: 0
; COMPUTE_PGM_RSRC2:TGID_X_EN: 1
; COMPUTE_PGM_RSRC2:TGID_Y_EN: 0
; COMPUTE_PGM_RSRC2:TGID_Z_EN: 0
; COMPUTE_PGM_RSRC2:TIDIG_COMP_CNT: 0
; COMPUTE_PGM_RSRC3_GFX90A:ACCUM_OFFSET: 0
; COMPUTE_PGM_RSRC3_GFX90A:TG_SPLIT: 0
	.section	.text._ZN7rocprim17ROCPRIM_400000_NS6detail17trampoline_kernelINS0_14default_configENS1_25partition_config_selectorILNS1_17partition_subalgoE3EN6thrust23THRUST_200600_302600_NS5tupleIssNS7_9null_typeES9_S9_S9_S9_S9_S9_S9_EENS0_10empty_typeEbEEZZNS1_14partition_implILS5_3ELb0ES3_jNS7_6detail15normal_iteratorINS7_7pointerISA_NS7_11hip_rocprim3tagENS7_11use_defaultESJ_EEEEPSB_SM_NS0_5tupleIJPSA_SM_EEENSN_IJSM_SM_EEESB_PlJ10is_orderedEEE10hipError_tPvRmT3_T4_T5_T6_T7_T9_mT8_P12ihipStream_tbDpT10_ENKUlT_T0_E_clISt17integral_constantIbLb0EES1B_IbLb1EEEEDaS17_S18_EUlS17_E_NS1_11comp_targetILNS1_3genE9ELNS1_11target_archE1100ELNS1_3gpuE3ELNS1_3repE0EEENS1_30default_config_static_selectorELNS0_4arch9wavefront6targetE1EEEvT1_,"axG",@progbits,_ZN7rocprim17ROCPRIM_400000_NS6detail17trampoline_kernelINS0_14default_configENS1_25partition_config_selectorILNS1_17partition_subalgoE3EN6thrust23THRUST_200600_302600_NS5tupleIssNS7_9null_typeES9_S9_S9_S9_S9_S9_S9_EENS0_10empty_typeEbEEZZNS1_14partition_implILS5_3ELb0ES3_jNS7_6detail15normal_iteratorINS7_7pointerISA_NS7_11hip_rocprim3tagENS7_11use_defaultESJ_EEEEPSB_SM_NS0_5tupleIJPSA_SM_EEENSN_IJSM_SM_EEESB_PlJ10is_orderedEEE10hipError_tPvRmT3_T4_T5_T6_T7_T9_mT8_P12ihipStream_tbDpT10_ENKUlT_T0_E_clISt17integral_constantIbLb0EES1B_IbLb1EEEEDaS17_S18_EUlS17_E_NS1_11comp_targetILNS1_3genE9ELNS1_11target_archE1100ELNS1_3gpuE3ELNS1_3repE0EEENS1_30default_config_static_selectorELNS0_4arch9wavefront6targetE1EEEvT1_,comdat
	.protected	_ZN7rocprim17ROCPRIM_400000_NS6detail17trampoline_kernelINS0_14default_configENS1_25partition_config_selectorILNS1_17partition_subalgoE3EN6thrust23THRUST_200600_302600_NS5tupleIssNS7_9null_typeES9_S9_S9_S9_S9_S9_S9_EENS0_10empty_typeEbEEZZNS1_14partition_implILS5_3ELb0ES3_jNS7_6detail15normal_iteratorINS7_7pointerISA_NS7_11hip_rocprim3tagENS7_11use_defaultESJ_EEEEPSB_SM_NS0_5tupleIJPSA_SM_EEENSN_IJSM_SM_EEESB_PlJ10is_orderedEEE10hipError_tPvRmT3_T4_T5_T6_T7_T9_mT8_P12ihipStream_tbDpT10_ENKUlT_T0_E_clISt17integral_constantIbLb0EES1B_IbLb1EEEEDaS17_S18_EUlS17_E_NS1_11comp_targetILNS1_3genE9ELNS1_11target_archE1100ELNS1_3gpuE3ELNS1_3repE0EEENS1_30default_config_static_selectorELNS0_4arch9wavefront6targetE1EEEvT1_ ; -- Begin function _ZN7rocprim17ROCPRIM_400000_NS6detail17trampoline_kernelINS0_14default_configENS1_25partition_config_selectorILNS1_17partition_subalgoE3EN6thrust23THRUST_200600_302600_NS5tupleIssNS7_9null_typeES9_S9_S9_S9_S9_S9_S9_EENS0_10empty_typeEbEEZZNS1_14partition_implILS5_3ELb0ES3_jNS7_6detail15normal_iteratorINS7_7pointerISA_NS7_11hip_rocprim3tagENS7_11use_defaultESJ_EEEEPSB_SM_NS0_5tupleIJPSA_SM_EEENSN_IJSM_SM_EEESB_PlJ10is_orderedEEE10hipError_tPvRmT3_T4_T5_T6_T7_T9_mT8_P12ihipStream_tbDpT10_ENKUlT_T0_E_clISt17integral_constantIbLb0EES1B_IbLb1EEEEDaS17_S18_EUlS17_E_NS1_11comp_targetILNS1_3genE9ELNS1_11target_archE1100ELNS1_3gpuE3ELNS1_3repE0EEENS1_30default_config_static_selectorELNS0_4arch9wavefront6targetE1EEEvT1_
	.globl	_ZN7rocprim17ROCPRIM_400000_NS6detail17trampoline_kernelINS0_14default_configENS1_25partition_config_selectorILNS1_17partition_subalgoE3EN6thrust23THRUST_200600_302600_NS5tupleIssNS7_9null_typeES9_S9_S9_S9_S9_S9_S9_EENS0_10empty_typeEbEEZZNS1_14partition_implILS5_3ELb0ES3_jNS7_6detail15normal_iteratorINS7_7pointerISA_NS7_11hip_rocprim3tagENS7_11use_defaultESJ_EEEEPSB_SM_NS0_5tupleIJPSA_SM_EEENSN_IJSM_SM_EEESB_PlJ10is_orderedEEE10hipError_tPvRmT3_T4_T5_T6_T7_T9_mT8_P12ihipStream_tbDpT10_ENKUlT_T0_E_clISt17integral_constantIbLb0EES1B_IbLb1EEEEDaS17_S18_EUlS17_E_NS1_11comp_targetILNS1_3genE9ELNS1_11target_archE1100ELNS1_3gpuE3ELNS1_3repE0EEENS1_30default_config_static_selectorELNS0_4arch9wavefront6targetE1EEEvT1_
	.p2align	8
	.type	_ZN7rocprim17ROCPRIM_400000_NS6detail17trampoline_kernelINS0_14default_configENS1_25partition_config_selectorILNS1_17partition_subalgoE3EN6thrust23THRUST_200600_302600_NS5tupleIssNS7_9null_typeES9_S9_S9_S9_S9_S9_S9_EENS0_10empty_typeEbEEZZNS1_14partition_implILS5_3ELb0ES3_jNS7_6detail15normal_iteratorINS7_7pointerISA_NS7_11hip_rocprim3tagENS7_11use_defaultESJ_EEEEPSB_SM_NS0_5tupleIJPSA_SM_EEENSN_IJSM_SM_EEESB_PlJ10is_orderedEEE10hipError_tPvRmT3_T4_T5_T6_T7_T9_mT8_P12ihipStream_tbDpT10_ENKUlT_T0_E_clISt17integral_constantIbLb0EES1B_IbLb1EEEEDaS17_S18_EUlS17_E_NS1_11comp_targetILNS1_3genE9ELNS1_11target_archE1100ELNS1_3gpuE3ELNS1_3repE0EEENS1_30default_config_static_selectorELNS0_4arch9wavefront6targetE1EEEvT1_,@function
_ZN7rocprim17ROCPRIM_400000_NS6detail17trampoline_kernelINS0_14default_configENS1_25partition_config_selectorILNS1_17partition_subalgoE3EN6thrust23THRUST_200600_302600_NS5tupleIssNS7_9null_typeES9_S9_S9_S9_S9_S9_S9_EENS0_10empty_typeEbEEZZNS1_14partition_implILS5_3ELb0ES3_jNS7_6detail15normal_iteratorINS7_7pointerISA_NS7_11hip_rocprim3tagENS7_11use_defaultESJ_EEEEPSB_SM_NS0_5tupleIJPSA_SM_EEENSN_IJSM_SM_EEESB_PlJ10is_orderedEEE10hipError_tPvRmT3_T4_T5_T6_T7_T9_mT8_P12ihipStream_tbDpT10_ENKUlT_T0_E_clISt17integral_constantIbLb0EES1B_IbLb1EEEEDaS17_S18_EUlS17_E_NS1_11comp_targetILNS1_3genE9ELNS1_11target_archE1100ELNS1_3gpuE3ELNS1_3repE0EEENS1_30default_config_static_selectorELNS0_4arch9wavefront6targetE1EEEvT1_: ; @_ZN7rocprim17ROCPRIM_400000_NS6detail17trampoline_kernelINS0_14default_configENS1_25partition_config_selectorILNS1_17partition_subalgoE3EN6thrust23THRUST_200600_302600_NS5tupleIssNS7_9null_typeES9_S9_S9_S9_S9_S9_S9_EENS0_10empty_typeEbEEZZNS1_14partition_implILS5_3ELb0ES3_jNS7_6detail15normal_iteratorINS7_7pointerISA_NS7_11hip_rocprim3tagENS7_11use_defaultESJ_EEEEPSB_SM_NS0_5tupleIJPSA_SM_EEENSN_IJSM_SM_EEESB_PlJ10is_orderedEEE10hipError_tPvRmT3_T4_T5_T6_T7_T9_mT8_P12ihipStream_tbDpT10_ENKUlT_T0_E_clISt17integral_constantIbLb0EES1B_IbLb1EEEEDaS17_S18_EUlS17_E_NS1_11comp_targetILNS1_3genE9ELNS1_11target_archE1100ELNS1_3gpuE3ELNS1_3repE0EEENS1_30default_config_static_selectorELNS0_4arch9wavefront6targetE1EEEvT1_
; %bb.0:
	.section	.rodata,"a",@progbits
	.p2align	6, 0x0
	.amdhsa_kernel _ZN7rocprim17ROCPRIM_400000_NS6detail17trampoline_kernelINS0_14default_configENS1_25partition_config_selectorILNS1_17partition_subalgoE3EN6thrust23THRUST_200600_302600_NS5tupleIssNS7_9null_typeES9_S9_S9_S9_S9_S9_S9_EENS0_10empty_typeEbEEZZNS1_14partition_implILS5_3ELb0ES3_jNS7_6detail15normal_iteratorINS7_7pointerISA_NS7_11hip_rocprim3tagENS7_11use_defaultESJ_EEEEPSB_SM_NS0_5tupleIJPSA_SM_EEENSN_IJSM_SM_EEESB_PlJ10is_orderedEEE10hipError_tPvRmT3_T4_T5_T6_T7_T9_mT8_P12ihipStream_tbDpT10_ENKUlT_T0_E_clISt17integral_constantIbLb0EES1B_IbLb1EEEEDaS17_S18_EUlS17_E_NS1_11comp_targetILNS1_3genE9ELNS1_11target_archE1100ELNS1_3gpuE3ELNS1_3repE0EEENS1_30default_config_static_selectorELNS0_4arch9wavefront6targetE1EEEvT1_
		.amdhsa_group_segment_fixed_size 0
		.amdhsa_private_segment_fixed_size 0
		.amdhsa_kernarg_size 136
		.amdhsa_user_sgpr_count 2
		.amdhsa_user_sgpr_dispatch_ptr 0
		.amdhsa_user_sgpr_queue_ptr 0
		.amdhsa_user_sgpr_kernarg_segment_ptr 1
		.amdhsa_user_sgpr_dispatch_id 0
		.amdhsa_user_sgpr_kernarg_preload_length 0
		.amdhsa_user_sgpr_kernarg_preload_offset 0
		.amdhsa_user_sgpr_private_segment_size 0
		.amdhsa_uses_dynamic_stack 0
		.amdhsa_enable_private_segment 0
		.amdhsa_system_sgpr_workgroup_id_x 1
		.amdhsa_system_sgpr_workgroup_id_y 0
		.amdhsa_system_sgpr_workgroup_id_z 0
		.amdhsa_system_sgpr_workgroup_info 0
		.amdhsa_system_vgpr_workitem_id 0
		.amdhsa_next_free_vgpr 1
		.amdhsa_next_free_sgpr 0
		.amdhsa_accum_offset 4
		.amdhsa_reserve_vcc 0
		.amdhsa_float_round_mode_32 0
		.amdhsa_float_round_mode_16_64 0
		.amdhsa_float_denorm_mode_32 3
		.amdhsa_float_denorm_mode_16_64 3
		.amdhsa_dx10_clamp 1
		.amdhsa_ieee_mode 1
		.amdhsa_fp16_overflow 0
		.amdhsa_tg_split 0
		.amdhsa_exception_fp_ieee_invalid_op 0
		.amdhsa_exception_fp_denorm_src 0
		.amdhsa_exception_fp_ieee_div_zero 0
		.amdhsa_exception_fp_ieee_overflow 0
		.amdhsa_exception_fp_ieee_underflow 0
		.amdhsa_exception_fp_ieee_inexact 0
		.amdhsa_exception_int_div_zero 0
	.end_amdhsa_kernel
	.section	.text._ZN7rocprim17ROCPRIM_400000_NS6detail17trampoline_kernelINS0_14default_configENS1_25partition_config_selectorILNS1_17partition_subalgoE3EN6thrust23THRUST_200600_302600_NS5tupleIssNS7_9null_typeES9_S9_S9_S9_S9_S9_S9_EENS0_10empty_typeEbEEZZNS1_14partition_implILS5_3ELb0ES3_jNS7_6detail15normal_iteratorINS7_7pointerISA_NS7_11hip_rocprim3tagENS7_11use_defaultESJ_EEEEPSB_SM_NS0_5tupleIJPSA_SM_EEENSN_IJSM_SM_EEESB_PlJ10is_orderedEEE10hipError_tPvRmT3_T4_T5_T6_T7_T9_mT8_P12ihipStream_tbDpT10_ENKUlT_T0_E_clISt17integral_constantIbLb0EES1B_IbLb1EEEEDaS17_S18_EUlS17_E_NS1_11comp_targetILNS1_3genE9ELNS1_11target_archE1100ELNS1_3gpuE3ELNS1_3repE0EEENS1_30default_config_static_selectorELNS0_4arch9wavefront6targetE1EEEvT1_,"axG",@progbits,_ZN7rocprim17ROCPRIM_400000_NS6detail17trampoline_kernelINS0_14default_configENS1_25partition_config_selectorILNS1_17partition_subalgoE3EN6thrust23THRUST_200600_302600_NS5tupleIssNS7_9null_typeES9_S9_S9_S9_S9_S9_S9_EENS0_10empty_typeEbEEZZNS1_14partition_implILS5_3ELb0ES3_jNS7_6detail15normal_iteratorINS7_7pointerISA_NS7_11hip_rocprim3tagENS7_11use_defaultESJ_EEEEPSB_SM_NS0_5tupleIJPSA_SM_EEENSN_IJSM_SM_EEESB_PlJ10is_orderedEEE10hipError_tPvRmT3_T4_T5_T6_T7_T9_mT8_P12ihipStream_tbDpT10_ENKUlT_T0_E_clISt17integral_constantIbLb0EES1B_IbLb1EEEEDaS17_S18_EUlS17_E_NS1_11comp_targetILNS1_3genE9ELNS1_11target_archE1100ELNS1_3gpuE3ELNS1_3repE0EEENS1_30default_config_static_selectorELNS0_4arch9wavefront6targetE1EEEvT1_,comdat
.Lfunc_end3559:
	.size	_ZN7rocprim17ROCPRIM_400000_NS6detail17trampoline_kernelINS0_14default_configENS1_25partition_config_selectorILNS1_17partition_subalgoE3EN6thrust23THRUST_200600_302600_NS5tupleIssNS7_9null_typeES9_S9_S9_S9_S9_S9_S9_EENS0_10empty_typeEbEEZZNS1_14partition_implILS5_3ELb0ES3_jNS7_6detail15normal_iteratorINS7_7pointerISA_NS7_11hip_rocprim3tagENS7_11use_defaultESJ_EEEEPSB_SM_NS0_5tupleIJPSA_SM_EEENSN_IJSM_SM_EEESB_PlJ10is_orderedEEE10hipError_tPvRmT3_T4_T5_T6_T7_T9_mT8_P12ihipStream_tbDpT10_ENKUlT_T0_E_clISt17integral_constantIbLb0EES1B_IbLb1EEEEDaS17_S18_EUlS17_E_NS1_11comp_targetILNS1_3genE9ELNS1_11target_archE1100ELNS1_3gpuE3ELNS1_3repE0EEENS1_30default_config_static_selectorELNS0_4arch9wavefront6targetE1EEEvT1_, .Lfunc_end3559-_ZN7rocprim17ROCPRIM_400000_NS6detail17trampoline_kernelINS0_14default_configENS1_25partition_config_selectorILNS1_17partition_subalgoE3EN6thrust23THRUST_200600_302600_NS5tupleIssNS7_9null_typeES9_S9_S9_S9_S9_S9_S9_EENS0_10empty_typeEbEEZZNS1_14partition_implILS5_3ELb0ES3_jNS7_6detail15normal_iteratorINS7_7pointerISA_NS7_11hip_rocprim3tagENS7_11use_defaultESJ_EEEEPSB_SM_NS0_5tupleIJPSA_SM_EEENSN_IJSM_SM_EEESB_PlJ10is_orderedEEE10hipError_tPvRmT3_T4_T5_T6_T7_T9_mT8_P12ihipStream_tbDpT10_ENKUlT_T0_E_clISt17integral_constantIbLb0EES1B_IbLb1EEEEDaS17_S18_EUlS17_E_NS1_11comp_targetILNS1_3genE9ELNS1_11target_archE1100ELNS1_3gpuE3ELNS1_3repE0EEENS1_30default_config_static_selectorELNS0_4arch9wavefront6targetE1EEEvT1_
                                        ; -- End function
	.section	.AMDGPU.csdata,"",@progbits
; Kernel info:
; codeLenInByte = 0
; NumSgprs: 6
; NumVgprs: 0
; NumAgprs: 0
; TotalNumVgprs: 0
; ScratchSize: 0
; MemoryBound: 0
; FloatMode: 240
; IeeeMode: 1
; LDSByteSize: 0 bytes/workgroup (compile time only)
; SGPRBlocks: 0
; VGPRBlocks: 0
; NumSGPRsForWavesPerEU: 6
; NumVGPRsForWavesPerEU: 1
; AccumOffset: 4
; Occupancy: 8
; WaveLimiterHint : 0
; COMPUTE_PGM_RSRC2:SCRATCH_EN: 0
; COMPUTE_PGM_RSRC2:USER_SGPR: 2
; COMPUTE_PGM_RSRC2:TRAP_HANDLER: 0
; COMPUTE_PGM_RSRC2:TGID_X_EN: 1
; COMPUTE_PGM_RSRC2:TGID_Y_EN: 0
; COMPUTE_PGM_RSRC2:TGID_Z_EN: 0
; COMPUTE_PGM_RSRC2:TIDIG_COMP_CNT: 0
; COMPUTE_PGM_RSRC3_GFX90A:ACCUM_OFFSET: 0
; COMPUTE_PGM_RSRC3_GFX90A:TG_SPLIT: 0
	.section	.text._ZN7rocprim17ROCPRIM_400000_NS6detail17trampoline_kernelINS0_14default_configENS1_25partition_config_selectorILNS1_17partition_subalgoE3EN6thrust23THRUST_200600_302600_NS5tupleIssNS7_9null_typeES9_S9_S9_S9_S9_S9_S9_EENS0_10empty_typeEbEEZZNS1_14partition_implILS5_3ELb0ES3_jNS7_6detail15normal_iteratorINS7_7pointerISA_NS7_11hip_rocprim3tagENS7_11use_defaultESJ_EEEEPSB_SM_NS0_5tupleIJPSA_SM_EEENSN_IJSM_SM_EEESB_PlJ10is_orderedEEE10hipError_tPvRmT3_T4_T5_T6_T7_T9_mT8_P12ihipStream_tbDpT10_ENKUlT_T0_E_clISt17integral_constantIbLb0EES1B_IbLb1EEEEDaS17_S18_EUlS17_E_NS1_11comp_targetILNS1_3genE8ELNS1_11target_archE1030ELNS1_3gpuE2ELNS1_3repE0EEENS1_30default_config_static_selectorELNS0_4arch9wavefront6targetE1EEEvT1_,"axG",@progbits,_ZN7rocprim17ROCPRIM_400000_NS6detail17trampoline_kernelINS0_14default_configENS1_25partition_config_selectorILNS1_17partition_subalgoE3EN6thrust23THRUST_200600_302600_NS5tupleIssNS7_9null_typeES9_S9_S9_S9_S9_S9_S9_EENS0_10empty_typeEbEEZZNS1_14partition_implILS5_3ELb0ES3_jNS7_6detail15normal_iteratorINS7_7pointerISA_NS7_11hip_rocprim3tagENS7_11use_defaultESJ_EEEEPSB_SM_NS0_5tupleIJPSA_SM_EEENSN_IJSM_SM_EEESB_PlJ10is_orderedEEE10hipError_tPvRmT3_T4_T5_T6_T7_T9_mT8_P12ihipStream_tbDpT10_ENKUlT_T0_E_clISt17integral_constantIbLb0EES1B_IbLb1EEEEDaS17_S18_EUlS17_E_NS1_11comp_targetILNS1_3genE8ELNS1_11target_archE1030ELNS1_3gpuE2ELNS1_3repE0EEENS1_30default_config_static_selectorELNS0_4arch9wavefront6targetE1EEEvT1_,comdat
	.protected	_ZN7rocprim17ROCPRIM_400000_NS6detail17trampoline_kernelINS0_14default_configENS1_25partition_config_selectorILNS1_17partition_subalgoE3EN6thrust23THRUST_200600_302600_NS5tupleIssNS7_9null_typeES9_S9_S9_S9_S9_S9_S9_EENS0_10empty_typeEbEEZZNS1_14partition_implILS5_3ELb0ES3_jNS7_6detail15normal_iteratorINS7_7pointerISA_NS7_11hip_rocprim3tagENS7_11use_defaultESJ_EEEEPSB_SM_NS0_5tupleIJPSA_SM_EEENSN_IJSM_SM_EEESB_PlJ10is_orderedEEE10hipError_tPvRmT3_T4_T5_T6_T7_T9_mT8_P12ihipStream_tbDpT10_ENKUlT_T0_E_clISt17integral_constantIbLb0EES1B_IbLb1EEEEDaS17_S18_EUlS17_E_NS1_11comp_targetILNS1_3genE8ELNS1_11target_archE1030ELNS1_3gpuE2ELNS1_3repE0EEENS1_30default_config_static_selectorELNS0_4arch9wavefront6targetE1EEEvT1_ ; -- Begin function _ZN7rocprim17ROCPRIM_400000_NS6detail17trampoline_kernelINS0_14default_configENS1_25partition_config_selectorILNS1_17partition_subalgoE3EN6thrust23THRUST_200600_302600_NS5tupleIssNS7_9null_typeES9_S9_S9_S9_S9_S9_S9_EENS0_10empty_typeEbEEZZNS1_14partition_implILS5_3ELb0ES3_jNS7_6detail15normal_iteratorINS7_7pointerISA_NS7_11hip_rocprim3tagENS7_11use_defaultESJ_EEEEPSB_SM_NS0_5tupleIJPSA_SM_EEENSN_IJSM_SM_EEESB_PlJ10is_orderedEEE10hipError_tPvRmT3_T4_T5_T6_T7_T9_mT8_P12ihipStream_tbDpT10_ENKUlT_T0_E_clISt17integral_constantIbLb0EES1B_IbLb1EEEEDaS17_S18_EUlS17_E_NS1_11comp_targetILNS1_3genE8ELNS1_11target_archE1030ELNS1_3gpuE2ELNS1_3repE0EEENS1_30default_config_static_selectorELNS0_4arch9wavefront6targetE1EEEvT1_
	.globl	_ZN7rocprim17ROCPRIM_400000_NS6detail17trampoline_kernelINS0_14default_configENS1_25partition_config_selectorILNS1_17partition_subalgoE3EN6thrust23THRUST_200600_302600_NS5tupleIssNS7_9null_typeES9_S9_S9_S9_S9_S9_S9_EENS0_10empty_typeEbEEZZNS1_14partition_implILS5_3ELb0ES3_jNS7_6detail15normal_iteratorINS7_7pointerISA_NS7_11hip_rocprim3tagENS7_11use_defaultESJ_EEEEPSB_SM_NS0_5tupleIJPSA_SM_EEENSN_IJSM_SM_EEESB_PlJ10is_orderedEEE10hipError_tPvRmT3_T4_T5_T6_T7_T9_mT8_P12ihipStream_tbDpT10_ENKUlT_T0_E_clISt17integral_constantIbLb0EES1B_IbLb1EEEEDaS17_S18_EUlS17_E_NS1_11comp_targetILNS1_3genE8ELNS1_11target_archE1030ELNS1_3gpuE2ELNS1_3repE0EEENS1_30default_config_static_selectorELNS0_4arch9wavefront6targetE1EEEvT1_
	.p2align	8
	.type	_ZN7rocprim17ROCPRIM_400000_NS6detail17trampoline_kernelINS0_14default_configENS1_25partition_config_selectorILNS1_17partition_subalgoE3EN6thrust23THRUST_200600_302600_NS5tupleIssNS7_9null_typeES9_S9_S9_S9_S9_S9_S9_EENS0_10empty_typeEbEEZZNS1_14partition_implILS5_3ELb0ES3_jNS7_6detail15normal_iteratorINS7_7pointerISA_NS7_11hip_rocprim3tagENS7_11use_defaultESJ_EEEEPSB_SM_NS0_5tupleIJPSA_SM_EEENSN_IJSM_SM_EEESB_PlJ10is_orderedEEE10hipError_tPvRmT3_T4_T5_T6_T7_T9_mT8_P12ihipStream_tbDpT10_ENKUlT_T0_E_clISt17integral_constantIbLb0EES1B_IbLb1EEEEDaS17_S18_EUlS17_E_NS1_11comp_targetILNS1_3genE8ELNS1_11target_archE1030ELNS1_3gpuE2ELNS1_3repE0EEENS1_30default_config_static_selectorELNS0_4arch9wavefront6targetE1EEEvT1_,@function
_ZN7rocprim17ROCPRIM_400000_NS6detail17trampoline_kernelINS0_14default_configENS1_25partition_config_selectorILNS1_17partition_subalgoE3EN6thrust23THRUST_200600_302600_NS5tupleIssNS7_9null_typeES9_S9_S9_S9_S9_S9_S9_EENS0_10empty_typeEbEEZZNS1_14partition_implILS5_3ELb0ES3_jNS7_6detail15normal_iteratorINS7_7pointerISA_NS7_11hip_rocprim3tagENS7_11use_defaultESJ_EEEEPSB_SM_NS0_5tupleIJPSA_SM_EEENSN_IJSM_SM_EEESB_PlJ10is_orderedEEE10hipError_tPvRmT3_T4_T5_T6_T7_T9_mT8_P12ihipStream_tbDpT10_ENKUlT_T0_E_clISt17integral_constantIbLb0EES1B_IbLb1EEEEDaS17_S18_EUlS17_E_NS1_11comp_targetILNS1_3genE8ELNS1_11target_archE1030ELNS1_3gpuE2ELNS1_3repE0EEENS1_30default_config_static_selectorELNS0_4arch9wavefront6targetE1EEEvT1_: ; @_ZN7rocprim17ROCPRIM_400000_NS6detail17trampoline_kernelINS0_14default_configENS1_25partition_config_selectorILNS1_17partition_subalgoE3EN6thrust23THRUST_200600_302600_NS5tupleIssNS7_9null_typeES9_S9_S9_S9_S9_S9_S9_EENS0_10empty_typeEbEEZZNS1_14partition_implILS5_3ELb0ES3_jNS7_6detail15normal_iteratorINS7_7pointerISA_NS7_11hip_rocprim3tagENS7_11use_defaultESJ_EEEEPSB_SM_NS0_5tupleIJPSA_SM_EEENSN_IJSM_SM_EEESB_PlJ10is_orderedEEE10hipError_tPvRmT3_T4_T5_T6_T7_T9_mT8_P12ihipStream_tbDpT10_ENKUlT_T0_E_clISt17integral_constantIbLb0EES1B_IbLb1EEEEDaS17_S18_EUlS17_E_NS1_11comp_targetILNS1_3genE8ELNS1_11target_archE1030ELNS1_3gpuE2ELNS1_3repE0EEENS1_30default_config_static_selectorELNS0_4arch9wavefront6targetE1EEEvT1_
; %bb.0:
	.section	.rodata,"a",@progbits
	.p2align	6, 0x0
	.amdhsa_kernel _ZN7rocprim17ROCPRIM_400000_NS6detail17trampoline_kernelINS0_14default_configENS1_25partition_config_selectorILNS1_17partition_subalgoE3EN6thrust23THRUST_200600_302600_NS5tupleIssNS7_9null_typeES9_S9_S9_S9_S9_S9_S9_EENS0_10empty_typeEbEEZZNS1_14partition_implILS5_3ELb0ES3_jNS7_6detail15normal_iteratorINS7_7pointerISA_NS7_11hip_rocprim3tagENS7_11use_defaultESJ_EEEEPSB_SM_NS0_5tupleIJPSA_SM_EEENSN_IJSM_SM_EEESB_PlJ10is_orderedEEE10hipError_tPvRmT3_T4_T5_T6_T7_T9_mT8_P12ihipStream_tbDpT10_ENKUlT_T0_E_clISt17integral_constantIbLb0EES1B_IbLb1EEEEDaS17_S18_EUlS17_E_NS1_11comp_targetILNS1_3genE8ELNS1_11target_archE1030ELNS1_3gpuE2ELNS1_3repE0EEENS1_30default_config_static_selectorELNS0_4arch9wavefront6targetE1EEEvT1_
		.amdhsa_group_segment_fixed_size 0
		.amdhsa_private_segment_fixed_size 0
		.amdhsa_kernarg_size 136
		.amdhsa_user_sgpr_count 2
		.amdhsa_user_sgpr_dispatch_ptr 0
		.amdhsa_user_sgpr_queue_ptr 0
		.amdhsa_user_sgpr_kernarg_segment_ptr 1
		.amdhsa_user_sgpr_dispatch_id 0
		.amdhsa_user_sgpr_kernarg_preload_length 0
		.amdhsa_user_sgpr_kernarg_preload_offset 0
		.amdhsa_user_sgpr_private_segment_size 0
		.amdhsa_uses_dynamic_stack 0
		.amdhsa_enable_private_segment 0
		.amdhsa_system_sgpr_workgroup_id_x 1
		.amdhsa_system_sgpr_workgroup_id_y 0
		.amdhsa_system_sgpr_workgroup_id_z 0
		.amdhsa_system_sgpr_workgroup_info 0
		.amdhsa_system_vgpr_workitem_id 0
		.amdhsa_next_free_vgpr 1
		.amdhsa_next_free_sgpr 0
		.amdhsa_accum_offset 4
		.amdhsa_reserve_vcc 0
		.amdhsa_float_round_mode_32 0
		.amdhsa_float_round_mode_16_64 0
		.amdhsa_float_denorm_mode_32 3
		.amdhsa_float_denorm_mode_16_64 3
		.amdhsa_dx10_clamp 1
		.amdhsa_ieee_mode 1
		.amdhsa_fp16_overflow 0
		.amdhsa_tg_split 0
		.amdhsa_exception_fp_ieee_invalid_op 0
		.amdhsa_exception_fp_denorm_src 0
		.amdhsa_exception_fp_ieee_div_zero 0
		.amdhsa_exception_fp_ieee_overflow 0
		.amdhsa_exception_fp_ieee_underflow 0
		.amdhsa_exception_fp_ieee_inexact 0
		.amdhsa_exception_int_div_zero 0
	.end_amdhsa_kernel
	.section	.text._ZN7rocprim17ROCPRIM_400000_NS6detail17trampoline_kernelINS0_14default_configENS1_25partition_config_selectorILNS1_17partition_subalgoE3EN6thrust23THRUST_200600_302600_NS5tupleIssNS7_9null_typeES9_S9_S9_S9_S9_S9_S9_EENS0_10empty_typeEbEEZZNS1_14partition_implILS5_3ELb0ES3_jNS7_6detail15normal_iteratorINS7_7pointerISA_NS7_11hip_rocprim3tagENS7_11use_defaultESJ_EEEEPSB_SM_NS0_5tupleIJPSA_SM_EEENSN_IJSM_SM_EEESB_PlJ10is_orderedEEE10hipError_tPvRmT3_T4_T5_T6_T7_T9_mT8_P12ihipStream_tbDpT10_ENKUlT_T0_E_clISt17integral_constantIbLb0EES1B_IbLb1EEEEDaS17_S18_EUlS17_E_NS1_11comp_targetILNS1_3genE8ELNS1_11target_archE1030ELNS1_3gpuE2ELNS1_3repE0EEENS1_30default_config_static_selectorELNS0_4arch9wavefront6targetE1EEEvT1_,"axG",@progbits,_ZN7rocprim17ROCPRIM_400000_NS6detail17trampoline_kernelINS0_14default_configENS1_25partition_config_selectorILNS1_17partition_subalgoE3EN6thrust23THRUST_200600_302600_NS5tupleIssNS7_9null_typeES9_S9_S9_S9_S9_S9_S9_EENS0_10empty_typeEbEEZZNS1_14partition_implILS5_3ELb0ES3_jNS7_6detail15normal_iteratorINS7_7pointerISA_NS7_11hip_rocprim3tagENS7_11use_defaultESJ_EEEEPSB_SM_NS0_5tupleIJPSA_SM_EEENSN_IJSM_SM_EEESB_PlJ10is_orderedEEE10hipError_tPvRmT3_T4_T5_T6_T7_T9_mT8_P12ihipStream_tbDpT10_ENKUlT_T0_E_clISt17integral_constantIbLb0EES1B_IbLb1EEEEDaS17_S18_EUlS17_E_NS1_11comp_targetILNS1_3genE8ELNS1_11target_archE1030ELNS1_3gpuE2ELNS1_3repE0EEENS1_30default_config_static_selectorELNS0_4arch9wavefront6targetE1EEEvT1_,comdat
.Lfunc_end3560:
	.size	_ZN7rocprim17ROCPRIM_400000_NS6detail17trampoline_kernelINS0_14default_configENS1_25partition_config_selectorILNS1_17partition_subalgoE3EN6thrust23THRUST_200600_302600_NS5tupleIssNS7_9null_typeES9_S9_S9_S9_S9_S9_S9_EENS0_10empty_typeEbEEZZNS1_14partition_implILS5_3ELb0ES3_jNS7_6detail15normal_iteratorINS7_7pointerISA_NS7_11hip_rocprim3tagENS7_11use_defaultESJ_EEEEPSB_SM_NS0_5tupleIJPSA_SM_EEENSN_IJSM_SM_EEESB_PlJ10is_orderedEEE10hipError_tPvRmT3_T4_T5_T6_T7_T9_mT8_P12ihipStream_tbDpT10_ENKUlT_T0_E_clISt17integral_constantIbLb0EES1B_IbLb1EEEEDaS17_S18_EUlS17_E_NS1_11comp_targetILNS1_3genE8ELNS1_11target_archE1030ELNS1_3gpuE2ELNS1_3repE0EEENS1_30default_config_static_selectorELNS0_4arch9wavefront6targetE1EEEvT1_, .Lfunc_end3560-_ZN7rocprim17ROCPRIM_400000_NS6detail17trampoline_kernelINS0_14default_configENS1_25partition_config_selectorILNS1_17partition_subalgoE3EN6thrust23THRUST_200600_302600_NS5tupleIssNS7_9null_typeES9_S9_S9_S9_S9_S9_S9_EENS0_10empty_typeEbEEZZNS1_14partition_implILS5_3ELb0ES3_jNS7_6detail15normal_iteratorINS7_7pointerISA_NS7_11hip_rocprim3tagENS7_11use_defaultESJ_EEEEPSB_SM_NS0_5tupleIJPSA_SM_EEENSN_IJSM_SM_EEESB_PlJ10is_orderedEEE10hipError_tPvRmT3_T4_T5_T6_T7_T9_mT8_P12ihipStream_tbDpT10_ENKUlT_T0_E_clISt17integral_constantIbLb0EES1B_IbLb1EEEEDaS17_S18_EUlS17_E_NS1_11comp_targetILNS1_3genE8ELNS1_11target_archE1030ELNS1_3gpuE2ELNS1_3repE0EEENS1_30default_config_static_selectorELNS0_4arch9wavefront6targetE1EEEvT1_
                                        ; -- End function
	.section	.AMDGPU.csdata,"",@progbits
; Kernel info:
; codeLenInByte = 0
; NumSgprs: 6
; NumVgprs: 0
; NumAgprs: 0
; TotalNumVgprs: 0
; ScratchSize: 0
; MemoryBound: 0
; FloatMode: 240
; IeeeMode: 1
; LDSByteSize: 0 bytes/workgroup (compile time only)
; SGPRBlocks: 0
; VGPRBlocks: 0
; NumSGPRsForWavesPerEU: 6
; NumVGPRsForWavesPerEU: 1
; AccumOffset: 4
; Occupancy: 8
; WaveLimiterHint : 0
; COMPUTE_PGM_RSRC2:SCRATCH_EN: 0
; COMPUTE_PGM_RSRC2:USER_SGPR: 2
; COMPUTE_PGM_RSRC2:TRAP_HANDLER: 0
; COMPUTE_PGM_RSRC2:TGID_X_EN: 1
; COMPUTE_PGM_RSRC2:TGID_Y_EN: 0
; COMPUTE_PGM_RSRC2:TGID_Z_EN: 0
; COMPUTE_PGM_RSRC2:TIDIG_COMP_CNT: 0
; COMPUTE_PGM_RSRC3_GFX90A:ACCUM_OFFSET: 0
; COMPUTE_PGM_RSRC3_GFX90A:TG_SPLIT: 0
	.section	.text._ZN6thrust23THRUST_200600_302600_NS11hip_rocprim14__parallel_for6kernelILj256ENS1_11__transform17unary_transform_fIPNS0_5tupleIssNS0_9null_typeES7_S7_S7_S7_S7_S7_S7_EENS0_12zip_iteratorINS6_INS0_6detail15normal_iteratorINS0_10device_ptrIsEEEESF_S7_S7_S7_S7_S7_S7_S7_S7_EEEENS4_14no_stencil_tagENS0_8identityIS8_EENS4_21always_true_predicateEEElLj1EEEvT0_T1_SO_,"axG",@progbits,_ZN6thrust23THRUST_200600_302600_NS11hip_rocprim14__parallel_for6kernelILj256ENS1_11__transform17unary_transform_fIPNS0_5tupleIssNS0_9null_typeES7_S7_S7_S7_S7_S7_S7_EENS0_12zip_iteratorINS6_INS0_6detail15normal_iteratorINS0_10device_ptrIsEEEESF_S7_S7_S7_S7_S7_S7_S7_S7_EEEENS4_14no_stencil_tagENS0_8identityIS8_EENS4_21always_true_predicateEEElLj1EEEvT0_T1_SO_,comdat
	.protected	_ZN6thrust23THRUST_200600_302600_NS11hip_rocprim14__parallel_for6kernelILj256ENS1_11__transform17unary_transform_fIPNS0_5tupleIssNS0_9null_typeES7_S7_S7_S7_S7_S7_S7_EENS0_12zip_iteratorINS6_INS0_6detail15normal_iteratorINS0_10device_ptrIsEEEESF_S7_S7_S7_S7_S7_S7_S7_S7_EEEENS4_14no_stencil_tagENS0_8identityIS8_EENS4_21always_true_predicateEEElLj1EEEvT0_T1_SO_ ; -- Begin function _ZN6thrust23THRUST_200600_302600_NS11hip_rocprim14__parallel_for6kernelILj256ENS1_11__transform17unary_transform_fIPNS0_5tupleIssNS0_9null_typeES7_S7_S7_S7_S7_S7_S7_EENS0_12zip_iteratorINS6_INS0_6detail15normal_iteratorINS0_10device_ptrIsEEEESF_S7_S7_S7_S7_S7_S7_S7_S7_EEEENS4_14no_stencil_tagENS0_8identityIS8_EENS4_21always_true_predicateEEElLj1EEEvT0_T1_SO_
	.globl	_ZN6thrust23THRUST_200600_302600_NS11hip_rocprim14__parallel_for6kernelILj256ENS1_11__transform17unary_transform_fIPNS0_5tupleIssNS0_9null_typeES7_S7_S7_S7_S7_S7_S7_EENS0_12zip_iteratorINS6_INS0_6detail15normal_iteratorINS0_10device_ptrIsEEEESF_S7_S7_S7_S7_S7_S7_S7_S7_EEEENS4_14no_stencil_tagENS0_8identityIS8_EENS4_21always_true_predicateEEElLj1EEEvT0_T1_SO_
	.p2align	8
	.type	_ZN6thrust23THRUST_200600_302600_NS11hip_rocprim14__parallel_for6kernelILj256ENS1_11__transform17unary_transform_fIPNS0_5tupleIssNS0_9null_typeES7_S7_S7_S7_S7_S7_S7_EENS0_12zip_iteratorINS6_INS0_6detail15normal_iteratorINS0_10device_ptrIsEEEESF_S7_S7_S7_S7_S7_S7_S7_S7_EEEENS4_14no_stencil_tagENS0_8identityIS8_EENS4_21always_true_predicateEEElLj1EEEvT0_T1_SO_,@function
_ZN6thrust23THRUST_200600_302600_NS11hip_rocprim14__parallel_for6kernelILj256ENS1_11__transform17unary_transform_fIPNS0_5tupleIssNS0_9null_typeES7_S7_S7_S7_S7_S7_S7_EENS0_12zip_iteratorINS6_INS0_6detail15normal_iteratorINS0_10device_ptrIsEEEESF_S7_S7_S7_S7_S7_S7_S7_S7_EEEENS4_14no_stencil_tagENS0_8identityIS8_EENS4_21always_true_predicateEEElLj1EEEvT0_T1_SO_: ; @_ZN6thrust23THRUST_200600_302600_NS11hip_rocprim14__parallel_for6kernelILj256ENS1_11__transform17unary_transform_fIPNS0_5tupleIssNS0_9null_typeES7_S7_S7_S7_S7_S7_S7_EENS0_12zip_iteratorINS6_INS0_6detail15normal_iteratorINS0_10device_ptrIsEEEESF_S7_S7_S7_S7_S7_S7_S7_S7_EEEENS4_14no_stencil_tagENS0_8identityIS8_EENS4_21always_true_predicateEEElLj1EEEvT0_T1_SO_
; %bb.0:
	s_load_dwordx4 s[4:7], s[0:1], 0x20
	s_lshl_b32 s2, s2, 8
	v_mov_b64_e32 v[2:3], 0x100
	s_waitcnt lgkmcnt(0)
	s_add_u32 s2, s2, s6
	s_addc_u32 s3, 0, s7
	s_sub_u32 s4, s4, s2
	s_subb_u32 s5, s5, s3
	v_cmp_lt_i64_e32 vcc, s[4:5], v[2:3]
	s_and_b64 s[6:7], vcc, exec
	s_cselect_b32 s6, s4, 0x100
	s_cmpk_eq_i32 s6, 0x100
	s_cselect_b64 s[4:5], -1, 0
	v_cmp_gt_u32_e32 vcc, s6, v0
	s_or_b64 s[4:5], s[4:5], vcc
	s_and_saveexec_b64 s[6:7], s[4:5]
	s_cbranch_execz .LBB3561_2
; %bb.1:
	s_load_dwordx4 s[4:7], s[0:1], 0x0
	s_load_dwordx2 s[8:9], s[0:1], 0x10
	v_mov_b32_e32 v1, 0
	v_lshl_add_u64 v[0:1], s[2:3], 0, v[0:1]
	s_waitcnt lgkmcnt(0)
	v_mov_b32_e32 v2, s4
	v_mov_b32_e32 v3, s5
	v_lshl_add_u64 v[2:3], v[0:1], 2, v[2:3]
	global_load_ushort v6, v[2:3], off
	v_lshlrev_b64 v[0:1], 1, v[0:1]
	v_lshl_add_u64 v[4:5], s[6:7], 0, v[0:1]
	v_lshl_add_u64 v[0:1], s[8:9], 0, v[0:1]
	s_waitcnt vmcnt(0)
	global_store_short v[4:5], v6, off
	global_load_ushort v2, v[2:3], off offset:2
	s_waitcnt vmcnt(0)
	global_store_short v[0:1], v2, off
.LBB3561_2:
	s_endpgm
	.section	.rodata,"a",@progbits
	.p2align	6, 0x0
	.amdhsa_kernel _ZN6thrust23THRUST_200600_302600_NS11hip_rocprim14__parallel_for6kernelILj256ENS1_11__transform17unary_transform_fIPNS0_5tupleIssNS0_9null_typeES7_S7_S7_S7_S7_S7_S7_EENS0_12zip_iteratorINS6_INS0_6detail15normal_iteratorINS0_10device_ptrIsEEEESF_S7_S7_S7_S7_S7_S7_S7_S7_EEEENS4_14no_stencil_tagENS0_8identityIS8_EENS4_21always_true_predicateEEElLj1EEEvT0_T1_SO_
		.amdhsa_group_segment_fixed_size 0
		.amdhsa_private_segment_fixed_size 0
		.amdhsa_kernarg_size 48
		.amdhsa_user_sgpr_count 2
		.amdhsa_user_sgpr_dispatch_ptr 0
		.amdhsa_user_sgpr_queue_ptr 0
		.amdhsa_user_sgpr_kernarg_segment_ptr 1
		.amdhsa_user_sgpr_dispatch_id 0
		.amdhsa_user_sgpr_kernarg_preload_length 0
		.amdhsa_user_sgpr_kernarg_preload_offset 0
		.amdhsa_user_sgpr_private_segment_size 0
		.amdhsa_uses_dynamic_stack 0
		.amdhsa_enable_private_segment 0
		.amdhsa_system_sgpr_workgroup_id_x 1
		.amdhsa_system_sgpr_workgroup_id_y 0
		.amdhsa_system_sgpr_workgroup_id_z 0
		.amdhsa_system_sgpr_workgroup_info 0
		.amdhsa_system_vgpr_workitem_id 0
		.amdhsa_next_free_vgpr 7
		.amdhsa_next_free_sgpr 10
		.amdhsa_accum_offset 8
		.amdhsa_reserve_vcc 1
		.amdhsa_float_round_mode_32 0
		.amdhsa_float_round_mode_16_64 0
		.amdhsa_float_denorm_mode_32 3
		.amdhsa_float_denorm_mode_16_64 3
		.amdhsa_dx10_clamp 1
		.amdhsa_ieee_mode 1
		.amdhsa_fp16_overflow 0
		.amdhsa_tg_split 0
		.amdhsa_exception_fp_ieee_invalid_op 0
		.amdhsa_exception_fp_denorm_src 0
		.amdhsa_exception_fp_ieee_div_zero 0
		.amdhsa_exception_fp_ieee_overflow 0
		.amdhsa_exception_fp_ieee_underflow 0
		.amdhsa_exception_fp_ieee_inexact 0
		.amdhsa_exception_int_div_zero 0
	.end_amdhsa_kernel
	.section	.text._ZN6thrust23THRUST_200600_302600_NS11hip_rocprim14__parallel_for6kernelILj256ENS1_11__transform17unary_transform_fIPNS0_5tupleIssNS0_9null_typeES7_S7_S7_S7_S7_S7_S7_EENS0_12zip_iteratorINS6_INS0_6detail15normal_iteratorINS0_10device_ptrIsEEEESF_S7_S7_S7_S7_S7_S7_S7_S7_EEEENS4_14no_stencil_tagENS0_8identityIS8_EENS4_21always_true_predicateEEElLj1EEEvT0_T1_SO_,"axG",@progbits,_ZN6thrust23THRUST_200600_302600_NS11hip_rocprim14__parallel_for6kernelILj256ENS1_11__transform17unary_transform_fIPNS0_5tupleIssNS0_9null_typeES7_S7_S7_S7_S7_S7_S7_EENS0_12zip_iteratorINS6_INS0_6detail15normal_iteratorINS0_10device_ptrIsEEEESF_S7_S7_S7_S7_S7_S7_S7_S7_EEEENS4_14no_stencil_tagENS0_8identityIS8_EENS4_21always_true_predicateEEElLj1EEEvT0_T1_SO_,comdat
.Lfunc_end3561:
	.size	_ZN6thrust23THRUST_200600_302600_NS11hip_rocprim14__parallel_for6kernelILj256ENS1_11__transform17unary_transform_fIPNS0_5tupleIssNS0_9null_typeES7_S7_S7_S7_S7_S7_S7_EENS0_12zip_iteratorINS6_INS0_6detail15normal_iteratorINS0_10device_ptrIsEEEESF_S7_S7_S7_S7_S7_S7_S7_S7_EEEENS4_14no_stencil_tagENS0_8identityIS8_EENS4_21always_true_predicateEEElLj1EEEvT0_T1_SO_, .Lfunc_end3561-_ZN6thrust23THRUST_200600_302600_NS11hip_rocprim14__parallel_for6kernelILj256ENS1_11__transform17unary_transform_fIPNS0_5tupleIssNS0_9null_typeES7_S7_S7_S7_S7_S7_S7_EENS0_12zip_iteratorINS6_INS0_6detail15normal_iteratorINS0_10device_ptrIsEEEESF_S7_S7_S7_S7_S7_S7_S7_S7_EEEENS4_14no_stencil_tagENS0_8identityIS8_EENS4_21always_true_predicateEEElLj1EEEvT0_T1_SO_
                                        ; -- End function
	.section	.AMDGPU.csdata,"",@progbits
; Kernel info:
; codeLenInByte = 196
; NumSgprs: 16
; NumVgprs: 7
; NumAgprs: 0
; TotalNumVgprs: 7
; ScratchSize: 0
; MemoryBound: 0
; FloatMode: 240
; IeeeMode: 1
; LDSByteSize: 0 bytes/workgroup (compile time only)
; SGPRBlocks: 1
; VGPRBlocks: 0
; NumSGPRsForWavesPerEU: 16
; NumVGPRsForWavesPerEU: 7
; AccumOffset: 8
; Occupancy: 8
; WaveLimiterHint : 0
; COMPUTE_PGM_RSRC2:SCRATCH_EN: 0
; COMPUTE_PGM_RSRC2:USER_SGPR: 2
; COMPUTE_PGM_RSRC2:TRAP_HANDLER: 0
; COMPUTE_PGM_RSRC2:TGID_X_EN: 1
; COMPUTE_PGM_RSRC2:TGID_Y_EN: 0
; COMPUTE_PGM_RSRC2:TGID_Z_EN: 0
; COMPUTE_PGM_RSRC2:TIDIG_COMP_CNT: 0
; COMPUTE_PGM_RSRC3_GFX90A:ACCUM_OFFSET: 1
; COMPUTE_PGM_RSRC3_GFX90A:TG_SPLIT: 0
	.section	.text._ZN7rocprim17ROCPRIM_400000_NS6detail17trampoline_kernelINS0_14default_configENS1_25partition_config_selectorILNS1_17partition_subalgoE2ExNS0_10empty_typeEbEEZZNS1_14partition_implILS5_2ELb0ES3_jN6thrust23THRUST_200600_302600_NS6detail15normal_iteratorINSA_7pointerIxNSA_11hip_rocprim3tagENSA_11use_defaultESG_EEEEPS6_NSA_18transform_iteratorI10is_orderedNSA_12zip_iteratorINSA_5tupleINSC_INSA_10device_ptrIxEEEESQ_NSA_9null_typeESR_SR_SR_SR_SR_SR_SR_EEEESG_SG_EENS0_5tupleIJPxSJ_EEENSV_IJSJ_SJ_EEES6_PlJS6_EEE10hipError_tPvRmT3_T4_T5_T6_T7_T9_mT8_P12ihipStream_tbDpT10_ENKUlT_T0_E_clISt17integral_constantIbLb0EES1J_EEDaS1E_S1F_EUlS1E_E_NS1_11comp_targetILNS1_3genE0ELNS1_11target_archE4294967295ELNS1_3gpuE0ELNS1_3repE0EEENS1_30default_config_static_selectorELNS0_4arch9wavefront6targetE1EEEvT1_,"axG",@progbits,_ZN7rocprim17ROCPRIM_400000_NS6detail17trampoline_kernelINS0_14default_configENS1_25partition_config_selectorILNS1_17partition_subalgoE2ExNS0_10empty_typeEbEEZZNS1_14partition_implILS5_2ELb0ES3_jN6thrust23THRUST_200600_302600_NS6detail15normal_iteratorINSA_7pointerIxNSA_11hip_rocprim3tagENSA_11use_defaultESG_EEEEPS6_NSA_18transform_iteratorI10is_orderedNSA_12zip_iteratorINSA_5tupleINSC_INSA_10device_ptrIxEEEESQ_NSA_9null_typeESR_SR_SR_SR_SR_SR_SR_EEEESG_SG_EENS0_5tupleIJPxSJ_EEENSV_IJSJ_SJ_EEES6_PlJS6_EEE10hipError_tPvRmT3_T4_T5_T6_T7_T9_mT8_P12ihipStream_tbDpT10_ENKUlT_T0_E_clISt17integral_constantIbLb0EES1J_EEDaS1E_S1F_EUlS1E_E_NS1_11comp_targetILNS1_3genE0ELNS1_11target_archE4294967295ELNS1_3gpuE0ELNS1_3repE0EEENS1_30default_config_static_selectorELNS0_4arch9wavefront6targetE1EEEvT1_,comdat
	.protected	_ZN7rocprim17ROCPRIM_400000_NS6detail17trampoline_kernelINS0_14default_configENS1_25partition_config_selectorILNS1_17partition_subalgoE2ExNS0_10empty_typeEbEEZZNS1_14partition_implILS5_2ELb0ES3_jN6thrust23THRUST_200600_302600_NS6detail15normal_iteratorINSA_7pointerIxNSA_11hip_rocprim3tagENSA_11use_defaultESG_EEEEPS6_NSA_18transform_iteratorI10is_orderedNSA_12zip_iteratorINSA_5tupleINSC_INSA_10device_ptrIxEEEESQ_NSA_9null_typeESR_SR_SR_SR_SR_SR_SR_EEEESG_SG_EENS0_5tupleIJPxSJ_EEENSV_IJSJ_SJ_EEES6_PlJS6_EEE10hipError_tPvRmT3_T4_T5_T6_T7_T9_mT8_P12ihipStream_tbDpT10_ENKUlT_T0_E_clISt17integral_constantIbLb0EES1J_EEDaS1E_S1F_EUlS1E_E_NS1_11comp_targetILNS1_3genE0ELNS1_11target_archE4294967295ELNS1_3gpuE0ELNS1_3repE0EEENS1_30default_config_static_selectorELNS0_4arch9wavefront6targetE1EEEvT1_ ; -- Begin function _ZN7rocprim17ROCPRIM_400000_NS6detail17trampoline_kernelINS0_14default_configENS1_25partition_config_selectorILNS1_17partition_subalgoE2ExNS0_10empty_typeEbEEZZNS1_14partition_implILS5_2ELb0ES3_jN6thrust23THRUST_200600_302600_NS6detail15normal_iteratorINSA_7pointerIxNSA_11hip_rocprim3tagENSA_11use_defaultESG_EEEEPS6_NSA_18transform_iteratorI10is_orderedNSA_12zip_iteratorINSA_5tupleINSC_INSA_10device_ptrIxEEEESQ_NSA_9null_typeESR_SR_SR_SR_SR_SR_SR_EEEESG_SG_EENS0_5tupleIJPxSJ_EEENSV_IJSJ_SJ_EEES6_PlJS6_EEE10hipError_tPvRmT3_T4_T5_T6_T7_T9_mT8_P12ihipStream_tbDpT10_ENKUlT_T0_E_clISt17integral_constantIbLb0EES1J_EEDaS1E_S1F_EUlS1E_E_NS1_11comp_targetILNS1_3genE0ELNS1_11target_archE4294967295ELNS1_3gpuE0ELNS1_3repE0EEENS1_30default_config_static_selectorELNS0_4arch9wavefront6targetE1EEEvT1_
	.globl	_ZN7rocprim17ROCPRIM_400000_NS6detail17trampoline_kernelINS0_14default_configENS1_25partition_config_selectorILNS1_17partition_subalgoE2ExNS0_10empty_typeEbEEZZNS1_14partition_implILS5_2ELb0ES3_jN6thrust23THRUST_200600_302600_NS6detail15normal_iteratorINSA_7pointerIxNSA_11hip_rocprim3tagENSA_11use_defaultESG_EEEEPS6_NSA_18transform_iteratorI10is_orderedNSA_12zip_iteratorINSA_5tupleINSC_INSA_10device_ptrIxEEEESQ_NSA_9null_typeESR_SR_SR_SR_SR_SR_SR_EEEESG_SG_EENS0_5tupleIJPxSJ_EEENSV_IJSJ_SJ_EEES6_PlJS6_EEE10hipError_tPvRmT3_T4_T5_T6_T7_T9_mT8_P12ihipStream_tbDpT10_ENKUlT_T0_E_clISt17integral_constantIbLb0EES1J_EEDaS1E_S1F_EUlS1E_E_NS1_11comp_targetILNS1_3genE0ELNS1_11target_archE4294967295ELNS1_3gpuE0ELNS1_3repE0EEENS1_30default_config_static_selectorELNS0_4arch9wavefront6targetE1EEEvT1_
	.p2align	8
	.type	_ZN7rocprim17ROCPRIM_400000_NS6detail17trampoline_kernelINS0_14default_configENS1_25partition_config_selectorILNS1_17partition_subalgoE2ExNS0_10empty_typeEbEEZZNS1_14partition_implILS5_2ELb0ES3_jN6thrust23THRUST_200600_302600_NS6detail15normal_iteratorINSA_7pointerIxNSA_11hip_rocprim3tagENSA_11use_defaultESG_EEEEPS6_NSA_18transform_iteratorI10is_orderedNSA_12zip_iteratorINSA_5tupleINSC_INSA_10device_ptrIxEEEESQ_NSA_9null_typeESR_SR_SR_SR_SR_SR_SR_EEEESG_SG_EENS0_5tupleIJPxSJ_EEENSV_IJSJ_SJ_EEES6_PlJS6_EEE10hipError_tPvRmT3_T4_T5_T6_T7_T9_mT8_P12ihipStream_tbDpT10_ENKUlT_T0_E_clISt17integral_constantIbLb0EES1J_EEDaS1E_S1F_EUlS1E_E_NS1_11comp_targetILNS1_3genE0ELNS1_11target_archE4294967295ELNS1_3gpuE0ELNS1_3repE0EEENS1_30default_config_static_selectorELNS0_4arch9wavefront6targetE1EEEvT1_,@function
_ZN7rocprim17ROCPRIM_400000_NS6detail17trampoline_kernelINS0_14default_configENS1_25partition_config_selectorILNS1_17partition_subalgoE2ExNS0_10empty_typeEbEEZZNS1_14partition_implILS5_2ELb0ES3_jN6thrust23THRUST_200600_302600_NS6detail15normal_iteratorINSA_7pointerIxNSA_11hip_rocprim3tagENSA_11use_defaultESG_EEEEPS6_NSA_18transform_iteratorI10is_orderedNSA_12zip_iteratorINSA_5tupleINSC_INSA_10device_ptrIxEEEESQ_NSA_9null_typeESR_SR_SR_SR_SR_SR_SR_EEEESG_SG_EENS0_5tupleIJPxSJ_EEENSV_IJSJ_SJ_EEES6_PlJS6_EEE10hipError_tPvRmT3_T4_T5_T6_T7_T9_mT8_P12ihipStream_tbDpT10_ENKUlT_T0_E_clISt17integral_constantIbLb0EES1J_EEDaS1E_S1F_EUlS1E_E_NS1_11comp_targetILNS1_3genE0ELNS1_11target_archE4294967295ELNS1_3gpuE0ELNS1_3repE0EEENS1_30default_config_static_selectorELNS0_4arch9wavefront6targetE1EEEvT1_: ; @_ZN7rocprim17ROCPRIM_400000_NS6detail17trampoline_kernelINS0_14default_configENS1_25partition_config_selectorILNS1_17partition_subalgoE2ExNS0_10empty_typeEbEEZZNS1_14partition_implILS5_2ELb0ES3_jN6thrust23THRUST_200600_302600_NS6detail15normal_iteratorINSA_7pointerIxNSA_11hip_rocprim3tagENSA_11use_defaultESG_EEEEPS6_NSA_18transform_iteratorI10is_orderedNSA_12zip_iteratorINSA_5tupleINSC_INSA_10device_ptrIxEEEESQ_NSA_9null_typeESR_SR_SR_SR_SR_SR_SR_EEEESG_SG_EENS0_5tupleIJPxSJ_EEENSV_IJSJ_SJ_EEES6_PlJS6_EEE10hipError_tPvRmT3_T4_T5_T6_T7_T9_mT8_P12ihipStream_tbDpT10_ENKUlT_T0_E_clISt17integral_constantIbLb0EES1J_EEDaS1E_S1F_EUlS1E_E_NS1_11comp_targetILNS1_3genE0ELNS1_11target_archE4294967295ELNS1_3gpuE0ELNS1_3repE0EEENS1_30default_config_static_selectorELNS0_4arch9wavefront6targetE1EEEvT1_
; %bb.0:
	.section	.rodata,"a",@progbits
	.p2align	6, 0x0
	.amdhsa_kernel _ZN7rocprim17ROCPRIM_400000_NS6detail17trampoline_kernelINS0_14default_configENS1_25partition_config_selectorILNS1_17partition_subalgoE2ExNS0_10empty_typeEbEEZZNS1_14partition_implILS5_2ELb0ES3_jN6thrust23THRUST_200600_302600_NS6detail15normal_iteratorINSA_7pointerIxNSA_11hip_rocprim3tagENSA_11use_defaultESG_EEEEPS6_NSA_18transform_iteratorI10is_orderedNSA_12zip_iteratorINSA_5tupleINSC_INSA_10device_ptrIxEEEESQ_NSA_9null_typeESR_SR_SR_SR_SR_SR_SR_EEEESG_SG_EENS0_5tupleIJPxSJ_EEENSV_IJSJ_SJ_EEES6_PlJS6_EEE10hipError_tPvRmT3_T4_T5_T6_T7_T9_mT8_P12ihipStream_tbDpT10_ENKUlT_T0_E_clISt17integral_constantIbLb0EES1J_EEDaS1E_S1F_EUlS1E_E_NS1_11comp_targetILNS1_3genE0ELNS1_11target_archE4294967295ELNS1_3gpuE0ELNS1_3repE0EEENS1_30default_config_static_selectorELNS0_4arch9wavefront6targetE1EEEvT1_
		.amdhsa_group_segment_fixed_size 0
		.amdhsa_private_segment_fixed_size 0
		.amdhsa_kernarg_size 136
		.amdhsa_user_sgpr_count 2
		.amdhsa_user_sgpr_dispatch_ptr 0
		.amdhsa_user_sgpr_queue_ptr 0
		.amdhsa_user_sgpr_kernarg_segment_ptr 1
		.amdhsa_user_sgpr_dispatch_id 0
		.amdhsa_user_sgpr_kernarg_preload_length 0
		.amdhsa_user_sgpr_kernarg_preload_offset 0
		.amdhsa_user_sgpr_private_segment_size 0
		.amdhsa_uses_dynamic_stack 0
		.amdhsa_enable_private_segment 0
		.amdhsa_system_sgpr_workgroup_id_x 1
		.amdhsa_system_sgpr_workgroup_id_y 0
		.amdhsa_system_sgpr_workgroup_id_z 0
		.amdhsa_system_sgpr_workgroup_info 0
		.amdhsa_system_vgpr_workitem_id 0
		.amdhsa_next_free_vgpr 1
		.amdhsa_next_free_sgpr 0
		.amdhsa_accum_offset 4
		.amdhsa_reserve_vcc 0
		.amdhsa_float_round_mode_32 0
		.amdhsa_float_round_mode_16_64 0
		.amdhsa_float_denorm_mode_32 3
		.amdhsa_float_denorm_mode_16_64 3
		.amdhsa_dx10_clamp 1
		.amdhsa_ieee_mode 1
		.amdhsa_fp16_overflow 0
		.amdhsa_tg_split 0
		.amdhsa_exception_fp_ieee_invalid_op 0
		.amdhsa_exception_fp_denorm_src 0
		.amdhsa_exception_fp_ieee_div_zero 0
		.amdhsa_exception_fp_ieee_overflow 0
		.amdhsa_exception_fp_ieee_underflow 0
		.amdhsa_exception_fp_ieee_inexact 0
		.amdhsa_exception_int_div_zero 0
	.end_amdhsa_kernel
	.section	.text._ZN7rocprim17ROCPRIM_400000_NS6detail17trampoline_kernelINS0_14default_configENS1_25partition_config_selectorILNS1_17partition_subalgoE2ExNS0_10empty_typeEbEEZZNS1_14partition_implILS5_2ELb0ES3_jN6thrust23THRUST_200600_302600_NS6detail15normal_iteratorINSA_7pointerIxNSA_11hip_rocprim3tagENSA_11use_defaultESG_EEEEPS6_NSA_18transform_iteratorI10is_orderedNSA_12zip_iteratorINSA_5tupleINSC_INSA_10device_ptrIxEEEESQ_NSA_9null_typeESR_SR_SR_SR_SR_SR_SR_EEEESG_SG_EENS0_5tupleIJPxSJ_EEENSV_IJSJ_SJ_EEES6_PlJS6_EEE10hipError_tPvRmT3_T4_T5_T6_T7_T9_mT8_P12ihipStream_tbDpT10_ENKUlT_T0_E_clISt17integral_constantIbLb0EES1J_EEDaS1E_S1F_EUlS1E_E_NS1_11comp_targetILNS1_3genE0ELNS1_11target_archE4294967295ELNS1_3gpuE0ELNS1_3repE0EEENS1_30default_config_static_selectorELNS0_4arch9wavefront6targetE1EEEvT1_,"axG",@progbits,_ZN7rocprim17ROCPRIM_400000_NS6detail17trampoline_kernelINS0_14default_configENS1_25partition_config_selectorILNS1_17partition_subalgoE2ExNS0_10empty_typeEbEEZZNS1_14partition_implILS5_2ELb0ES3_jN6thrust23THRUST_200600_302600_NS6detail15normal_iteratorINSA_7pointerIxNSA_11hip_rocprim3tagENSA_11use_defaultESG_EEEEPS6_NSA_18transform_iteratorI10is_orderedNSA_12zip_iteratorINSA_5tupleINSC_INSA_10device_ptrIxEEEESQ_NSA_9null_typeESR_SR_SR_SR_SR_SR_SR_EEEESG_SG_EENS0_5tupleIJPxSJ_EEENSV_IJSJ_SJ_EEES6_PlJS6_EEE10hipError_tPvRmT3_T4_T5_T6_T7_T9_mT8_P12ihipStream_tbDpT10_ENKUlT_T0_E_clISt17integral_constantIbLb0EES1J_EEDaS1E_S1F_EUlS1E_E_NS1_11comp_targetILNS1_3genE0ELNS1_11target_archE4294967295ELNS1_3gpuE0ELNS1_3repE0EEENS1_30default_config_static_selectorELNS0_4arch9wavefront6targetE1EEEvT1_,comdat
.Lfunc_end3562:
	.size	_ZN7rocprim17ROCPRIM_400000_NS6detail17trampoline_kernelINS0_14default_configENS1_25partition_config_selectorILNS1_17partition_subalgoE2ExNS0_10empty_typeEbEEZZNS1_14partition_implILS5_2ELb0ES3_jN6thrust23THRUST_200600_302600_NS6detail15normal_iteratorINSA_7pointerIxNSA_11hip_rocprim3tagENSA_11use_defaultESG_EEEEPS6_NSA_18transform_iteratorI10is_orderedNSA_12zip_iteratorINSA_5tupleINSC_INSA_10device_ptrIxEEEESQ_NSA_9null_typeESR_SR_SR_SR_SR_SR_SR_EEEESG_SG_EENS0_5tupleIJPxSJ_EEENSV_IJSJ_SJ_EEES6_PlJS6_EEE10hipError_tPvRmT3_T4_T5_T6_T7_T9_mT8_P12ihipStream_tbDpT10_ENKUlT_T0_E_clISt17integral_constantIbLb0EES1J_EEDaS1E_S1F_EUlS1E_E_NS1_11comp_targetILNS1_3genE0ELNS1_11target_archE4294967295ELNS1_3gpuE0ELNS1_3repE0EEENS1_30default_config_static_selectorELNS0_4arch9wavefront6targetE1EEEvT1_, .Lfunc_end3562-_ZN7rocprim17ROCPRIM_400000_NS6detail17trampoline_kernelINS0_14default_configENS1_25partition_config_selectorILNS1_17partition_subalgoE2ExNS0_10empty_typeEbEEZZNS1_14partition_implILS5_2ELb0ES3_jN6thrust23THRUST_200600_302600_NS6detail15normal_iteratorINSA_7pointerIxNSA_11hip_rocprim3tagENSA_11use_defaultESG_EEEEPS6_NSA_18transform_iteratorI10is_orderedNSA_12zip_iteratorINSA_5tupleINSC_INSA_10device_ptrIxEEEESQ_NSA_9null_typeESR_SR_SR_SR_SR_SR_SR_EEEESG_SG_EENS0_5tupleIJPxSJ_EEENSV_IJSJ_SJ_EEES6_PlJS6_EEE10hipError_tPvRmT3_T4_T5_T6_T7_T9_mT8_P12ihipStream_tbDpT10_ENKUlT_T0_E_clISt17integral_constantIbLb0EES1J_EEDaS1E_S1F_EUlS1E_E_NS1_11comp_targetILNS1_3genE0ELNS1_11target_archE4294967295ELNS1_3gpuE0ELNS1_3repE0EEENS1_30default_config_static_selectorELNS0_4arch9wavefront6targetE1EEEvT1_
                                        ; -- End function
	.section	.AMDGPU.csdata,"",@progbits
; Kernel info:
; codeLenInByte = 0
; NumSgprs: 6
; NumVgprs: 0
; NumAgprs: 0
; TotalNumVgprs: 0
; ScratchSize: 0
; MemoryBound: 0
; FloatMode: 240
; IeeeMode: 1
; LDSByteSize: 0 bytes/workgroup (compile time only)
; SGPRBlocks: 0
; VGPRBlocks: 0
; NumSGPRsForWavesPerEU: 6
; NumVGPRsForWavesPerEU: 1
; AccumOffset: 4
; Occupancy: 8
; WaveLimiterHint : 0
; COMPUTE_PGM_RSRC2:SCRATCH_EN: 0
; COMPUTE_PGM_RSRC2:USER_SGPR: 2
; COMPUTE_PGM_RSRC2:TRAP_HANDLER: 0
; COMPUTE_PGM_RSRC2:TGID_X_EN: 1
; COMPUTE_PGM_RSRC2:TGID_Y_EN: 0
; COMPUTE_PGM_RSRC2:TGID_Z_EN: 0
; COMPUTE_PGM_RSRC2:TIDIG_COMP_CNT: 0
; COMPUTE_PGM_RSRC3_GFX90A:ACCUM_OFFSET: 0
; COMPUTE_PGM_RSRC3_GFX90A:TG_SPLIT: 0
	.section	.text._ZN7rocprim17ROCPRIM_400000_NS6detail17trampoline_kernelINS0_14default_configENS1_25partition_config_selectorILNS1_17partition_subalgoE2ExNS0_10empty_typeEbEEZZNS1_14partition_implILS5_2ELb0ES3_jN6thrust23THRUST_200600_302600_NS6detail15normal_iteratorINSA_7pointerIxNSA_11hip_rocprim3tagENSA_11use_defaultESG_EEEEPS6_NSA_18transform_iteratorI10is_orderedNSA_12zip_iteratorINSA_5tupleINSC_INSA_10device_ptrIxEEEESQ_NSA_9null_typeESR_SR_SR_SR_SR_SR_SR_EEEESG_SG_EENS0_5tupleIJPxSJ_EEENSV_IJSJ_SJ_EEES6_PlJS6_EEE10hipError_tPvRmT3_T4_T5_T6_T7_T9_mT8_P12ihipStream_tbDpT10_ENKUlT_T0_E_clISt17integral_constantIbLb0EES1J_EEDaS1E_S1F_EUlS1E_E_NS1_11comp_targetILNS1_3genE5ELNS1_11target_archE942ELNS1_3gpuE9ELNS1_3repE0EEENS1_30default_config_static_selectorELNS0_4arch9wavefront6targetE1EEEvT1_,"axG",@progbits,_ZN7rocprim17ROCPRIM_400000_NS6detail17trampoline_kernelINS0_14default_configENS1_25partition_config_selectorILNS1_17partition_subalgoE2ExNS0_10empty_typeEbEEZZNS1_14partition_implILS5_2ELb0ES3_jN6thrust23THRUST_200600_302600_NS6detail15normal_iteratorINSA_7pointerIxNSA_11hip_rocprim3tagENSA_11use_defaultESG_EEEEPS6_NSA_18transform_iteratorI10is_orderedNSA_12zip_iteratorINSA_5tupleINSC_INSA_10device_ptrIxEEEESQ_NSA_9null_typeESR_SR_SR_SR_SR_SR_SR_EEEESG_SG_EENS0_5tupleIJPxSJ_EEENSV_IJSJ_SJ_EEES6_PlJS6_EEE10hipError_tPvRmT3_T4_T5_T6_T7_T9_mT8_P12ihipStream_tbDpT10_ENKUlT_T0_E_clISt17integral_constantIbLb0EES1J_EEDaS1E_S1F_EUlS1E_E_NS1_11comp_targetILNS1_3genE5ELNS1_11target_archE942ELNS1_3gpuE9ELNS1_3repE0EEENS1_30default_config_static_selectorELNS0_4arch9wavefront6targetE1EEEvT1_,comdat
	.protected	_ZN7rocprim17ROCPRIM_400000_NS6detail17trampoline_kernelINS0_14default_configENS1_25partition_config_selectorILNS1_17partition_subalgoE2ExNS0_10empty_typeEbEEZZNS1_14partition_implILS5_2ELb0ES3_jN6thrust23THRUST_200600_302600_NS6detail15normal_iteratorINSA_7pointerIxNSA_11hip_rocprim3tagENSA_11use_defaultESG_EEEEPS6_NSA_18transform_iteratorI10is_orderedNSA_12zip_iteratorINSA_5tupleINSC_INSA_10device_ptrIxEEEESQ_NSA_9null_typeESR_SR_SR_SR_SR_SR_SR_EEEESG_SG_EENS0_5tupleIJPxSJ_EEENSV_IJSJ_SJ_EEES6_PlJS6_EEE10hipError_tPvRmT3_T4_T5_T6_T7_T9_mT8_P12ihipStream_tbDpT10_ENKUlT_T0_E_clISt17integral_constantIbLb0EES1J_EEDaS1E_S1F_EUlS1E_E_NS1_11comp_targetILNS1_3genE5ELNS1_11target_archE942ELNS1_3gpuE9ELNS1_3repE0EEENS1_30default_config_static_selectorELNS0_4arch9wavefront6targetE1EEEvT1_ ; -- Begin function _ZN7rocprim17ROCPRIM_400000_NS6detail17trampoline_kernelINS0_14default_configENS1_25partition_config_selectorILNS1_17partition_subalgoE2ExNS0_10empty_typeEbEEZZNS1_14partition_implILS5_2ELb0ES3_jN6thrust23THRUST_200600_302600_NS6detail15normal_iteratorINSA_7pointerIxNSA_11hip_rocprim3tagENSA_11use_defaultESG_EEEEPS6_NSA_18transform_iteratorI10is_orderedNSA_12zip_iteratorINSA_5tupleINSC_INSA_10device_ptrIxEEEESQ_NSA_9null_typeESR_SR_SR_SR_SR_SR_SR_EEEESG_SG_EENS0_5tupleIJPxSJ_EEENSV_IJSJ_SJ_EEES6_PlJS6_EEE10hipError_tPvRmT3_T4_T5_T6_T7_T9_mT8_P12ihipStream_tbDpT10_ENKUlT_T0_E_clISt17integral_constantIbLb0EES1J_EEDaS1E_S1F_EUlS1E_E_NS1_11comp_targetILNS1_3genE5ELNS1_11target_archE942ELNS1_3gpuE9ELNS1_3repE0EEENS1_30default_config_static_selectorELNS0_4arch9wavefront6targetE1EEEvT1_
	.globl	_ZN7rocprim17ROCPRIM_400000_NS6detail17trampoline_kernelINS0_14default_configENS1_25partition_config_selectorILNS1_17partition_subalgoE2ExNS0_10empty_typeEbEEZZNS1_14partition_implILS5_2ELb0ES3_jN6thrust23THRUST_200600_302600_NS6detail15normal_iteratorINSA_7pointerIxNSA_11hip_rocprim3tagENSA_11use_defaultESG_EEEEPS6_NSA_18transform_iteratorI10is_orderedNSA_12zip_iteratorINSA_5tupleINSC_INSA_10device_ptrIxEEEESQ_NSA_9null_typeESR_SR_SR_SR_SR_SR_SR_EEEESG_SG_EENS0_5tupleIJPxSJ_EEENSV_IJSJ_SJ_EEES6_PlJS6_EEE10hipError_tPvRmT3_T4_T5_T6_T7_T9_mT8_P12ihipStream_tbDpT10_ENKUlT_T0_E_clISt17integral_constantIbLb0EES1J_EEDaS1E_S1F_EUlS1E_E_NS1_11comp_targetILNS1_3genE5ELNS1_11target_archE942ELNS1_3gpuE9ELNS1_3repE0EEENS1_30default_config_static_selectorELNS0_4arch9wavefront6targetE1EEEvT1_
	.p2align	8
	.type	_ZN7rocprim17ROCPRIM_400000_NS6detail17trampoline_kernelINS0_14default_configENS1_25partition_config_selectorILNS1_17partition_subalgoE2ExNS0_10empty_typeEbEEZZNS1_14partition_implILS5_2ELb0ES3_jN6thrust23THRUST_200600_302600_NS6detail15normal_iteratorINSA_7pointerIxNSA_11hip_rocprim3tagENSA_11use_defaultESG_EEEEPS6_NSA_18transform_iteratorI10is_orderedNSA_12zip_iteratorINSA_5tupleINSC_INSA_10device_ptrIxEEEESQ_NSA_9null_typeESR_SR_SR_SR_SR_SR_SR_EEEESG_SG_EENS0_5tupleIJPxSJ_EEENSV_IJSJ_SJ_EEES6_PlJS6_EEE10hipError_tPvRmT3_T4_T5_T6_T7_T9_mT8_P12ihipStream_tbDpT10_ENKUlT_T0_E_clISt17integral_constantIbLb0EES1J_EEDaS1E_S1F_EUlS1E_E_NS1_11comp_targetILNS1_3genE5ELNS1_11target_archE942ELNS1_3gpuE9ELNS1_3repE0EEENS1_30default_config_static_selectorELNS0_4arch9wavefront6targetE1EEEvT1_,@function
_ZN7rocprim17ROCPRIM_400000_NS6detail17trampoline_kernelINS0_14default_configENS1_25partition_config_selectorILNS1_17partition_subalgoE2ExNS0_10empty_typeEbEEZZNS1_14partition_implILS5_2ELb0ES3_jN6thrust23THRUST_200600_302600_NS6detail15normal_iteratorINSA_7pointerIxNSA_11hip_rocprim3tagENSA_11use_defaultESG_EEEEPS6_NSA_18transform_iteratorI10is_orderedNSA_12zip_iteratorINSA_5tupleINSC_INSA_10device_ptrIxEEEESQ_NSA_9null_typeESR_SR_SR_SR_SR_SR_SR_EEEESG_SG_EENS0_5tupleIJPxSJ_EEENSV_IJSJ_SJ_EEES6_PlJS6_EEE10hipError_tPvRmT3_T4_T5_T6_T7_T9_mT8_P12ihipStream_tbDpT10_ENKUlT_T0_E_clISt17integral_constantIbLb0EES1J_EEDaS1E_S1F_EUlS1E_E_NS1_11comp_targetILNS1_3genE5ELNS1_11target_archE942ELNS1_3gpuE9ELNS1_3repE0EEENS1_30default_config_static_selectorELNS0_4arch9wavefront6targetE1EEEvT1_: ; @_ZN7rocprim17ROCPRIM_400000_NS6detail17trampoline_kernelINS0_14default_configENS1_25partition_config_selectorILNS1_17partition_subalgoE2ExNS0_10empty_typeEbEEZZNS1_14partition_implILS5_2ELb0ES3_jN6thrust23THRUST_200600_302600_NS6detail15normal_iteratorINSA_7pointerIxNSA_11hip_rocprim3tagENSA_11use_defaultESG_EEEEPS6_NSA_18transform_iteratorI10is_orderedNSA_12zip_iteratorINSA_5tupleINSC_INSA_10device_ptrIxEEEESQ_NSA_9null_typeESR_SR_SR_SR_SR_SR_SR_EEEESG_SG_EENS0_5tupleIJPxSJ_EEENSV_IJSJ_SJ_EEES6_PlJS6_EEE10hipError_tPvRmT3_T4_T5_T6_T7_T9_mT8_P12ihipStream_tbDpT10_ENKUlT_T0_E_clISt17integral_constantIbLb0EES1J_EEDaS1E_S1F_EUlS1E_E_NS1_11comp_targetILNS1_3genE5ELNS1_11target_archE942ELNS1_3gpuE9ELNS1_3repE0EEENS1_30default_config_static_selectorELNS0_4arch9wavefront6targetE1EEEvT1_
; %bb.0:
	s_load_dwordx4 s[24:27], s[0:1], 0x8
	s_load_dwordx4 s[20:23], s[0:1], 0x58
	s_load_dwordx2 s[28:29], s[0:1], 0x68
	s_load_dword s3, s[0:1], 0x80
	v_lshlrev_b32_e32 v18, 3, v0
	s_waitcnt lgkmcnt(0)
	s_lshl_b64 s[6:7], s[26:27], 3
	s_add_u32 s8, s24, s6
	s_addc_u32 s9, s25, s7
	s_add_i32 s10, s3, -1
	s_mulk_i32 s3, 0xe00
	s_add_i32 s4, s3, s26
	s_sub_i32 s33, s28, s4
	s_addk_i32 s33, 0xe00
	s_add_u32 s4, s26, s3
	s_addc_u32 s5, s27, 0
	s_cmp_eq_u32 s2, s10
	s_load_dwordx2 s[30:31], s[22:23], 0x0
	v_mov_b64_e32 v[2:3], s[28:29]
	s_cselect_b64 s[22:23], -1, 0
	s_cmp_lg_u32 s2, s10
	s_mul_i32 s24, s2, 0xe00
	s_mov_b32 s25, 0
	v_cmp_lt_u64_e32 vcc, s[4:5], v[2:3]
	s_cselect_b64 s[4:5], -1, 0
	s_or_b64 s[34:35], s[4:5], vcc
	s_lshl_b64 s[12:13], s[24:25], 3
	s_add_u32 s14, s8, s12
	s_addc_u32 s15, s9, s13
	s_mov_b64 s[4:5], -1
	s_and_b64 vcc, exec, s[34:35]
	s_cbranch_vccz .LBB3563_2
; %bb.1:
	v_mov_b32_e32 v19, 0
	v_lshl_add_u64 v[2:3], s[14:15], 0, v[18:19]
	v_add_co_u32_e32 v4, vcc, 0x1000, v2
	s_mov_b64 s[4:5], 0
	s_nop 0
	v_addc_co_u32_e32 v5, vcc, 0, v3, vcc
	v_add_co_u32_e32 v6, vcc, 0x2000, v2
	s_nop 1
	v_addc_co_u32_e32 v7, vcc, 0, v3, vcc
	v_add_co_u32_e32 v8, vcc, 0x3000, v2
	s_nop 1
	v_addc_co_u32_e32 v9, vcc, 0, v3, vcc
	flat_load_dwordx2 v[10:11], v[2:3]
	flat_load_dwordx2 v[12:13], v[4:5]
	;; [unrolled: 1-line block ×4, first 2 shown]
	v_add_co_u32_e32 v4, vcc, 0x4000, v2
	s_nop 1
	v_addc_co_u32_e32 v5, vcc, 0, v3, vcc
	v_add_co_u32_e32 v6, vcc, 0x5000, v2
	s_nop 1
	v_addc_co_u32_e32 v7, vcc, 0, v3, vcc
	;; [unrolled: 3-line block ×3, first 2 shown]
	flat_load_dwordx2 v[8:9], v[4:5]
	flat_load_dwordx2 v[20:21], v[6:7]
	;; [unrolled: 1-line block ×3, first 2 shown]
	s_waitcnt vmcnt(0) lgkmcnt(0)
	ds_write2st64_b64 v18, v[10:11], v[12:13] offset1:8
	ds_write2st64_b64 v18, v[14:15], v[16:17] offset0:16 offset1:24
	ds_write2st64_b64 v18, v[8:9], v[20:21] offset0:32 offset1:40
	ds_write_b64 v18, v[22:23] offset:24576
	s_waitcnt lgkmcnt(0)
	s_barrier
.LBB3563_2:
	s_load_dwordx4 s[8:11], s[0:1], 0x20
	s_andn2_b64 vcc, exec, s[4:5]
	v_cmp_gt_u32_e64 s[4:5], s33, v0
	s_cbranch_vccnz .LBB3563_18
; %bb.3:
                                        ; implicit-def: $vgpr2_vgpr3_vgpr4_vgpr5_vgpr6_vgpr7_vgpr8_vgpr9_vgpr10_vgpr11_vgpr12_vgpr13_vgpr14_vgpr15_vgpr16_vgpr17
	s_and_saveexec_b64 s[16:17], s[4:5]
	s_cbranch_execz .LBB3563_5
; %bb.4:
	v_mov_b32_e32 v19, 0
	v_lshl_add_u64 v[2:3], s[14:15], 0, v[18:19]
	flat_load_dwordx2 v[2:3], v[2:3]
.LBB3563_5:
	s_or_b64 exec, exec, s[16:17]
	v_or_b32_e32 v1, 0x200, v0
	v_cmp_gt_u32_e32 vcc, s33, v1
	s_and_saveexec_b64 s[4:5], vcc
	s_cbranch_execz .LBB3563_7
; %bb.6:
	v_lshlrev_b32_e32 v4, 3, v1
	v_mov_b32_e32 v5, 0
	v_lshl_add_u64 v[4:5], s[14:15], 0, v[4:5]
	flat_load_dwordx2 v[4:5], v[4:5]
.LBB3563_7:
	s_or_b64 exec, exec, s[4:5]
	v_or_b32_e32 v1, 0x400, v0
	v_cmp_gt_u32_e32 vcc, s33, v1
	s_and_saveexec_b64 s[4:5], vcc
	s_cbranch_execz .LBB3563_9
; %bb.8:
	v_lshlrev_b32_e32 v6, 3, v1
	v_mov_b32_e32 v7, 0
	v_lshl_add_u64 v[6:7], s[14:15], 0, v[6:7]
	flat_load_dwordx2 v[6:7], v[6:7]
.LBB3563_9:
	s_or_b64 exec, exec, s[4:5]
	v_or_b32_e32 v1, 0x600, v0
	v_cmp_gt_u32_e32 vcc, s33, v1
	s_and_saveexec_b64 s[4:5], vcc
	s_cbranch_execz .LBB3563_11
; %bb.10:
	v_lshlrev_b32_e32 v8, 3, v1
	v_mov_b32_e32 v9, 0
	v_lshl_add_u64 v[8:9], s[14:15], 0, v[8:9]
	flat_load_dwordx2 v[8:9], v[8:9]
.LBB3563_11:
	s_or_b64 exec, exec, s[4:5]
	v_or_b32_e32 v1, 0x800, v0
	v_cmp_gt_u32_e32 vcc, s33, v1
	s_and_saveexec_b64 s[4:5], vcc
	s_cbranch_execz .LBB3563_13
; %bb.12:
	v_lshlrev_b32_e32 v10, 3, v1
	v_mov_b32_e32 v11, 0
	v_lshl_add_u64 v[10:11], s[14:15], 0, v[10:11]
	flat_load_dwordx2 v[10:11], v[10:11]
.LBB3563_13:
	s_or_b64 exec, exec, s[4:5]
	v_or_b32_e32 v1, 0xa00, v0
	v_cmp_gt_u32_e32 vcc, s33, v1
	s_and_saveexec_b64 s[4:5], vcc
	s_cbranch_execz .LBB3563_15
; %bb.14:
	v_lshlrev_b32_e32 v12, 3, v1
	v_mov_b32_e32 v13, 0
	v_lshl_add_u64 v[12:13], s[14:15], 0, v[12:13]
	flat_load_dwordx2 v[12:13], v[12:13]
.LBB3563_15:
	s_or_b64 exec, exec, s[4:5]
	v_or_b32_e32 v1, 0xc00, v0
	v_cmp_gt_u32_e32 vcc, s33, v1
	s_and_saveexec_b64 s[4:5], vcc
	s_cbranch_execz .LBB3563_17
; %bb.16:
	v_lshlrev_b32_e32 v14, 3, v1
	v_mov_b32_e32 v15, 0
	v_lshl_add_u64 v[14:15], s[14:15], 0, v[14:15]
	flat_load_dwordx2 v[14:15], v[14:15]
.LBB3563_17:
	s_or_b64 exec, exec, s[4:5]
	s_waitcnt vmcnt(0) lgkmcnt(0)
	ds_write2st64_b64 v18, v[2:3], v[4:5] offset1:8
	ds_write2st64_b64 v18, v[6:7], v[8:9] offset0:16 offset1:24
	ds_write2st64_b64 v18, v[10:11], v[12:13] offset0:32 offset1:40
	ds_write_b64 v18, v[14:15] offset:24576
	s_waitcnt lgkmcnt(0)
	s_barrier
.LBB3563_18:
	v_mul_u32_u24_e32 v1, 7, v0
	s_waitcnt lgkmcnt(0)
	s_add_u32 s3, s8, s6
	v_lshlrev_b32_e32 v16, 3, v1
	s_addc_u32 s5, s9, s7
	ds_read2_b64 v[10:13], v16 offset1:1
	ds_read2_b64 v[6:9], v16 offset0:2 offset1:3
	ds_read2_b64 v[2:5], v16 offset0:4 offset1:5
	ds_read_b64 v[14:15], v16 offset:48
	s_add_u32 s6, s10, s6
	s_addc_u32 s7, s11, s7
	s_add_u32 s4, s3, s12
	s_addc_u32 s5, s5, s13
	;; [unrolled: 2-line block ×3, first 2 shown]
	s_mov_b64 s[8:9], -1
	s_and_b64 vcc, exec, s[34:35]
	s_waitcnt lgkmcnt(0)
	s_barrier
	s_cbranch_vccz .LBB3563_20
; %bb.19:
	v_mov_b32_e32 v19, 0
	v_lshl_add_u64 v[20:21], s[4:5], 0, v[18:19]
	v_add_co_u32_e32 v28, vcc, 0x1000, v20
	v_lshl_add_u64 v[22:23], s[6:7], 0, v[18:19]
	s_nop 0
	v_addc_co_u32_e32 v29, vcc, 0, v21, vcc
	v_add_co_u32_e32 v30, vcc, 0x1000, v22
	global_load_dwordx2 v[24:25], v18, s[4:5]
	global_load_dwordx2 v[26:27], v18, s[6:7]
	v_addc_co_u32_e32 v31, vcc, 0, v23, vcc
	v_add_co_u32_e32 v32, vcc, 0x2000, v20
	global_load_dwordx2 v[28:29], v[28:29], off
	s_nop 0
	v_addc_co_u32_e32 v33, vcc, 0, v21, vcc
	v_add_co_u32_e32 v34, vcc, 0x2000, v22
	global_load_dwordx2 v[30:31], v[30:31], off
	s_nop 0
	;; [unrolled: 4-line block ×10, first 2 shown]
	v_addc_co_u32_e32 v23, vcc, 0, v23, vcc
	global_load_dwordx2 v[20:21], v[20:21], off
	s_mov_b64 s[8:9], 0
	global_load_dwordx2 v[22:23], v[22:23], off
	s_waitcnt vmcnt(12)
	v_cmp_le_i64_e32 vcc, v[24:25], v[26:27]
	s_nop 1
	v_cndmask_b32_e64 v17, 0, 1, vcc
	ds_write_b8 v0, v17
	s_waitcnt vmcnt(10)
	v_cmp_le_i64_e32 vcc, v[28:29], v[30:31]
	s_nop 1
	v_cndmask_b32_e64 v17, 0, 1, vcc
	ds_write_b8 v0, v17 offset:512
	s_waitcnt vmcnt(8)
	v_cmp_le_i64_e32 vcc, v[32:33], v[34:35]
	s_nop 1
	v_cndmask_b32_e64 v17, 0, 1, vcc
	ds_write_b8 v0, v17 offset:1024
	;; [unrolled: 5-line block ×4, first 2 shown]
	s_waitcnt vmcnt(2)
	v_cmp_le_i64_e32 vcc, v[44:45], v[46:47]
	s_nop 1
	v_cndmask_b32_e64 v17, 0, 1, vcc
	s_waitcnt vmcnt(0)
	v_cmp_le_i64_e32 vcc, v[20:21], v[22:23]
	s_nop 1
	v_cndmask_b32_e64 v19, 0, 1, vcc
	ds_write_b8 v0, v17 offset:2560
	ds_write_b8 v0, v19 offset:3072
	s_waitcnt lgkmcnt(0)
	s_barrier
.LBB3563_20:
	s_load_dwordx2 s[36:37], s[0:1], 0x78
	s_andn2_b64 vcc, exec, s[8:9]
	s_cbranch_vccnz .LBB3563_36
; %bb.21:
	v_cmp_gt_u32_e32 vcc, s33, v0
	v_mov_b32_e32 v19, 0
	v_mov_b32_e32 v17, 0
	s_and_saveexec_b64 s[8:9], vcc
	s_cbranch_execz .LBB3563_23
; %bb.22:
	global_load_dwordx2 v[20:21], v18, s[4:5]
	global_load_dwordx2 v[22:23], v18, s[6:7]
	s_waitcnt vmcnt(0)
	v_cmp_le_i64_e32 vcc, v[20:21], v[22:23]
	s_nop 1
	v_cndmask_b32_e64 v17, 0, 1, vcc
.LBB3563_23:
	s_or_b64 exec, exec, s[8:9]
	v_or_b32_e32 v20, 0x200, v0
	v_cmp_gt_u32_e32 vcc, s33, v20
	s_and_saveexec_b64 s[8:9], vcc
	s_cbranch_execz .LBB3563_25
; %bb.24:
	v_lshlrev_b32_e32 v19, 3, v20
	global_load_dwordx2 v[20:21], v19, s[4:5]
	global_load_dwordx2 v[22:23], v19, s[6:7]
	s_waitcnt vmcnt(0)
	v_cmp_le_i64_e32 vcc, v[20:21], v[22:23]
	s_nop 1
	v_cndmask_b32_e64 v19, 0, 1, vcc
.LBB3563_25:
	s_or_b64 exec, exec, s[8:9]
	v_or_b32_e32 v22, 0x400, v0
	v_cmp_gt_u32_e32 vcc, s33, v22
	v_mov_b32_e32 v20, 0
	v_mov_b32_e32 v21, 0
	s_and_saveexec_b64 s[8:9], vcc
	s_cbranch_execz .LBB3563_27
; %bb.26:
	v_lshlrev_b32_e32 v21, 3, v22
	global_load_dwordx2 v[22:23], v21, s[4:5]
	global_load_dwordx2 v[24:25], v21, s[6:7]
	s_waitcnt vmcnt(0)
	v_cmp_le_i64_e32 vcc, v[22:23], v[24:25]
	s_nop 1
	v_cndmask_b32_e64 v21, 0, 1, vcc
.LBB3563_27:
	s_or_b64 exec, exec, s[8:9]
	v_or_b32_e32 v22, 0x600, v0
	v_cmp_gt_u32_e32 vcc, s33, v22
	s_and_saveexec_b64 s[8:9], vcc
	s_cbranch_execz .LBB3563_29
; %bb.28:
	v_lshlrev_b32_e32 v20, 3, v22
	global_load_dwordx2 v[22:23], v20, s[4:5]
	global_load_dwordx2 v[24:25], v20, s[6:7]
	s_waitcnt vmcnt(0)
	v_cmp_le_i64_e32 vcc, v[22:23], v[24:25]
	s_nop 1
	v_cndmask_b32_e64 v20, 0, 1, vcc
.LBB3563_29:
	s_or_b64 exec, exec, s[8:9]
	v_or_b32_e32 v24, 0x800, v0
	v_cmp_gt_u32_e32 vcc, s33, v24
	v_mov_b32_e32 v22, 0
	v_mov_b32_e32 v23, 0
	s_and_saveexec_b64 s[8:9], vcc
	s_cbranch_execz .LBB3563_31
; %bb.30:
	v_lshlrev_b32_e32 v23, 3, v24
	global_load_dwordx2 v[24:25], v23, s[4:5]
	global_load_dwordx2 v[26:27], v23, s[6:7]
	s_waitcnt vmcnt(0)
	v_cmp_le_i64_e32 vcc, v[24:25], v[26:27]
	s_nop 1
	v_cndmask_b32_e64 v23, 0, 1, vcc
.LBB3563_31:
	s_or_b64 exec, exec, s[8:9]
	v_or_b32_e32 v24, 0xa00, v0
	v_cmp_gt_u32_e32 vcc, s33, v24
	s_and_saveexec_b64 s[8:9], vcc
	s_cbranch_execz .LBB3563_33
; %bb.32:
	v_lshlrev_b32_e32 v22, 3, v24
	global_load_dwordx2 v[24:25], v22, s[4:5]
	global_load_dwordx2 v[26:27], v22, s[6:7]
	s_waitcnt vmcnt(0)
	v_cmp_le_i64_e32 vcc, v[24:25], v[26:27]
	s_nop 1
	v_cndmask_b32_e64 v22, 0, 1, vcc
.LBB3563_33:
	s_or_b64 exec, exec, s[8:9]
	v_or_b32_e32 v25, 0xc00, v0
	v_cmp_gt_u32_e32 vcc, s33, v25
	v_mov_b32_e32 v24, 0
	s_and_saveexec_b64 s[8:9], vcc
	s_cbranch_execz .LBB3563_35
; %bb.34:
	v_lshlrev_b32_e32 v28, 3, v25
	global_load_dwordx2 v[24:25], v28, s[4:5]
	global_load_dwordx2 v[26:27], v28, s[6:7]
	s_waitcnt vmcnt(0)
	v_cmp_le_i64_e32 vcc, v[24:25], v[26:27]
	s_nop 1
	v_cndmask_b32_e64 v24, 0, 1, vcc
.LBB3563_35:
	s_or_b64 exec, exec, s[8:9]
	ds_write_b8 v0, v17
	ds_write_b8 v0, v19 offset:512
	ds_write_b8 v0, v21 offset:1024
	;; [unrolled: 1-line block ×6, first 2 shown]
	s_waitcnt lgkmcnt(0)
	s_barrier
.LBB3563_36:
	s_movk_i32 s3, 0xffcf
	v_mad_i32_i24 v35, v0, s3, v16
	s_waitcnt lgkmcnt(0)
	ds_read_u8 v16, v35
	ds_read_u8 v17, v35 offset:1
	ds_read_u8 v19, v35 offset:2
	;; [unrolled: 1-line block ×6, first 2 shown]
	s_waitcnt lgkmcnt(6)
	v_and_b32_e32 v33, 1, v16
	s_waitcnt lgkmcnt(5)
	v_and_b32_e32 v32, 1, v17
	;; [unrolled: 2-line block ×5, first 2 shown]
	v_add3_u32 v16, v32, v33, v31
	s_waitcnt lgkmcnt(1)
	v_and_b32_e32 v28, 1, v22
	s_waitcnt lgkmcnt(0)
	v_and_b32_e32 v19, 1, v23
	v_add3_u32 v16, v16, v30, v29
	v_add3_u32 v37, v16, v28, v19
	v_mbcnt_lo_u32_b32 v16, -1, 0
	v_mbcnt_hi_u32_b32 v34, -1, v16
	v_and_b32_e32 v16, 15, v34
	v_cmp_eq_u32_e64 s[14:15], 0, v16
	v_cmp_lt_u32_e64 s[12:13], 1, v16
	v_cmp_lt_u32_e64 s[10:11], 3, v16
	;; [unrolled: 1-line block ×3, first 2 shown]
	v_and_b32_e32 v16, 16, v34
	v_cmp_eq_u32_e64 s[6:7], 0, v16
	v_or_b32_e32 v16, 63, v0
	s_cmp_lg_u32 s2, 0
	v_cmp_lt_u32_e64 s[18:19], 31, v34
	v_lshrrev_b32_e32 v36, 6, v0
	v_cmp_eq_u32_e64 s[4:5], v16, v0
	s_barrier
	s_cbranch_scc0 .LBB3563_63
; %bb.37:
	v_mov_b32_dpp v16, v37 row_shr:1 row_mask:0xf bank_mask:0xf
	v_cndmask_b32_e64 v16, v16, 0, s[14:15]
	v_add_u32_e32 v16, v16, v37
	s_nop 1
	v_mov_b32_dpp v17, v16 row_shr:2 row_mask:0xf bank_mask:0xf
	v_cndmask_b32_e64 v17, 0, v17, s[12:13]
	v_add_u32_e32 v16, v16, v17
	s_nop 1
	;; [unrolled: 4-line block ×4, first 2 shown]
	v_mov_b32_dpp v17, v16 row_bcast:15 row_mask:0xf bank_mask:0xf
	v_cndmask_b32_e64 v17, v17, 0, s[6:7]
	v_add_u32_e32 v16, v16, v17
	s_nop 1
	v_mov_b32_dpp v17, v16 row_bcast:31 row_mask:0xf bank_mask:0xf
	v_cndmask_b32_e64 v17, 0, v17, s[18:19]
	v_add_u32_e32 v16, v16, v17
	s_and_saveexec_b64 s[16:17], s[4:5]
	s_cbranch_execz .LBB3563_39
; %bb.38:
	v_lshlrev_b32_e32 v17, 2, v36
	ds_write_b32 v17, v16
.LBB3563_39:
	s_or_b64 exec, exec, s[16:17]
	v_cmp_gt_u32_e32 vcc, 8, v0
	s_waitcnt lgkmcnt(0)
	s_barrier
	s_and_saveexec_b64 s[16:17], vcc
	s_cbranch_execz .LBB3563_41
; %bb.40:
	v_lshlrev_b32_e32 v17, 2, v0
	ds_read_b32 v20, v17
	v_and_b32_e32 v21, 7, v34
	v_cmp_ne_u32_e32 vcc, 0, v21
	s_waitcnt lgkmcnt(0)
	v_mov_b32_dpp v22, v20 row_shr:1 row_mask:0xf bank_mask:0xf
	v_cndmask_b32_e32 v22, 0, v22, vcc
	v_add_u32_e32 v20, v22, v20
	v_cmp_lt_u32_e32 vcc, 1, v21
	s_nop 0
	v_mov_b32_dpp v22, v20 row_shr:2 row_mask:0xf bank_mask:0xf
	v_cndmask_b32_e32 v22, 0, v22, vcc
	v_add_u32_e32 v20, v20, v22
	v_cmp_lt_u32_e32 vcc, 3, v21
	s_nop 0
	v_mov_b32_dpp v22, v20 row_shr:4 row_mask:0xf bank_mask:0xf
	v_cndmask_b32_e32 v21, 0, v22, vcc
	v_add_u32_e32 v20, v20, v21
	ds_write_b32 v17, v20
.LBB3563_41:
	s_or_b64 exec, exec, s[16:17]
	v_cmp_gt_u32_e32 vcc, 64, v0
	v_cmp_lt_u32_e64 s[16:17], 63, v0
	s_waitcnt lgkmcnt(0)
	s_barrier
	s_waitcnt lgkmcnt(0)
                                        ; implicit-def: $vgpr38
	s_and_saveexec_b64 s[38:39], s[16:17]
	s_cbranch_execz .LBB3563_43
; %bb.42:
	v_lshl_add_u32 v17, v36, 2, -4
	ds_read_b32 v38, v17
	s_waitcnt lgkmcnt(0)
	v_add_u32_e32 v16, v38, v16
.LBB3563_43:
	s_or_b64 exec, exec, s[38:39]
	v_add_u32_e32 v17, -1, v34
	v_and_b32_e32 v20, 64, v34
	v_cmp_lt_i32_e64 s[16:17], v17, v20
	s_nop 1
	v_cndmask_b32_e64 v17, v17, v34, s[16:17]
	v_lshlrev_b32_e32 v17, 2, v17
	ds_bpermute_b32 v39, v17, v16
	v_cmp_eq_u32_e64 s[16:17], 0, v34
	s_and_saveexec_b64 s[38:39], vcc
	s_cbranch_execz .LBB3563_62
; %bb.44:
	v_mov_b32_e32 v25, 0
	ds_read_b32 v16, v25 offset:28
	s_and_saveexec_b64 s[40:41], s[16:17]
	s_cbranch_execz .LBB3563_46
; %bb.45:
	s_add_i32 s42, s2, 64
	s_mov_b32 s43, 0
	s_lshl_b64 s[42:43], s[42:43], 3
	s_add_u32 s42, s36, s42
	v_mov_b32_e32 v17, 1
	s_addc_u32 s43, s37, s43
	s_waitcnt lgkmcnt(0)
	global_store_dwordx2 v25, v[16:17], s[42:43] sc1
.LBB3563_46:
	s_or_b64 exec, exec, s[40:41]
	v_xad_u32 v20, v34, -1, s2
	v_add_u32_e32 v24, 64, v20
	v_lshl_add_u64 v[26:27], v[24:25], 3, s[36:37]
	global_load_dwordx2 v[22:23], v[26:27], off sc1
	s_waitcnt vmcnt(0)
	v_cmp_eq_u16_sdwa s[42:43], v23, v25 src0_sel:BYTE_0 src1_sel:DWORD
	s_and_saveexec_b64 s[40:41], s[42:43]
	s_cbranch_execz .LBB3563_50
; %bb.47:
	s_mov_b64 s[42:43], 0
	v_mov_b32_e32 v17, 0
.LBB3563_48:                            ; =>This Inner Loop Header: Depth=1
	global_load_dwordx2 v[22:23], v[26:27], off sc1
	s_waitcnt vmcnt(0)
	v_cmp_ne_u16_sdwa s[44:45], v23, v17 src0_sel:BYTE_0 src1_sel:DWORD
	s_or_b64 s[42:43], s[44:45], s[42:43]
	s_andn2_b64 exec, exec, s[42:43]
	s_cbranch_execnz .LBB3563_48
; %bb.49:
	s_or_b64 exec, exec, s[42:43]
.LBB3563_50:
	s_or_b64 exec, exec, s[40:41]
	v_and_b32_e32 v41, 63, v34
	v_mov_b32_e32 v40, 2
	v_cmp_ne_u32_e32 vcc, 63, v41
	v_cmp_eq_u16_sdwa s[40:41], v23, v40 src0_sel:BYTE_0 src1_sel:DWORD
	v_lshlrev_b64 v[24:25], v34, -1
	v_addc_co_u32_e32 v26, vcc, 0, v34, vcc
	v_and_b32_e32 v17, s41, v25
	v_lshlrev_b32_e32 v42, 2, v26
	v_or_b32_e32 v17, 0x80000000, v17
	ds_bpermute_b32 v26, v42, v22
	v_and_b32_e32 v21, s40, v24
	v_ffbl_b32_e32 v17, v17
	v_add_u32_e32 v17, 32, v17
	v_ffbl_b32_e32 v21, v21
	v_min_u32_e32 v17, v21, v17
	v_cmp_lt_u32_e32 vcc, v41, v17
	v_add_u32_e32 v44, 2, v41
	v_add_u32_e32 v46, 4, v41
	s_waitcnt lgkmcnt(0)
	v_cndmask_b32_e32 v21, 0, v26, vcc
	v_cmp_gt_u32_e32 vcc, 62, v41
	v_add_u32_e32 v21, v21, v22
	v_add_u32_e32 v48, 8, v41
	v_cndmask_b32_e64 v22, 0, 1, vcc
	v_lshlrev_b32_e32 v22, 1, v22
	v_add_lshl_u32 v43, v22, v34, 2
	ds_bpermute_b32 v22, v43, v21
	v_cmp_le_u32_e32 vcc, v44, v17
	v_add_u32_e32 v50, 16, v41
	v_add_u32_e32 v52, 32, v41
	s_waitcnt lgkmcnt(0)
	v_cndmask_b32_e32 v22, 0, v22, vcc
	v_cmp_gt_u32_e32 vcc, 60, v41
	v_add_u32_e32 v21, v21, v22
	s_nop 0
	v_cndmask_b32_e64 v22, 0, 1, vcc
	v_lshlrev_b32_e32 v22, 2, v22
	v_add_lshl_u32 v45, v22, v34, 2
	ds_bpermute_b32 v22, v45, v21
	v_cmp_le_u32_e32 vcc, v46, v17
	s_waitcnt lgkmcnt(0)
	s_nop 0
	v_cndmask_b32_e32 v22, 0, v22, vcc
	v_cmp_gt_u32_e32 vcc, 56, v41
	v_add_u32_e32 v21, v21, v22
	s_nop 0
	v_cndmask_b32_e64 v22, 0, 1, vcc
	v_lshlrev_b32_e32 v22, 3, v22
	v_add_lshl_u32 v47, v22, v34, 2
	ds_bpermute_b32 v22, v47, v21
	v_cmp_le_u32_e32 vcc, v48, v17
	s_waitcnt lgkmcnt(0)
	s_nop 0
	;; [unrolled: 11-line block ×4, first 2 shown]
	v_cndmask_b32_e32 v17, 0, v22, vcc
	v_add_u32_e32 v22, v21, v17
	v_mov_b32_e32 v21, 0
	s_branch .LBB3563_52
.LBB3563_51:                            ;   in Loop: Header=BB3563_52 Depth=1
	s_or_b64 exec, exec, s[40:41]
	v_cmp_eq_u16_sdwa s[40:41], v23, v40 src0_sel:BYTE_0 src1_sel:DWORD
	ds_bpermute_b32 v53, v42, v22
	v_subrev_u32_e32 v20, 64, v20
	v_and_b32_e32 v26, s41, v25
	v_or_b32_e32 v26, 0x80000000, v26
	v_and_b32_e32 v27, s40, v24
	v_ffbl_b32_e32 v26, v26
	v_add_u32_e32 v26, 32, v26
	v_ffbl_b32_e32 v27, v27
	v_min_u32_e32 v26, v27, v26
	v_cmp_lt_u32_e32 vcc, v41, v26
	s_waitcnt lgkmcnt(0)
	s_nop 0
	v_cndmask_b32_e32 v27, 0, v53, vcc
	v_add_u32_e32 v22, v27, v22
	ds_bpermute_b32 v27, v43, v22
	v_cmp_le_u32_e32 vcc, v44, v26
	s_waitcnt lgkmcnt(0)
	s_nop 0
	v_cndmask_b32_e32 v27, 0, v27, vcc
	v_add_u32_e32 v22, v22, v27
	ds_bpermute_b32 v27, v45, v22
	v_cmp_le_u32_e32 vcc, v46, v26
	;; [unrolled: 6-line block ×5, first 2 shown]
	s_waitcnt lgkmcnt(0)
	s_nop 0
	v_cndmask_b32_e32 v26, 0, v27, vcc
	v_add3_u32 v22, v26, v17, v22
.LBB3563_52:                            ; =>This Loop Header: Depth=1
                                        ;     Child Loop BB3563_55 Depth 2
	v_cmp_ne_u16_sdwa s[40:41], v23, v40 src0_sel:BYTE_0 src1_sel:DWORD
	s_nop 1
	v_cndmask_b32_e64 v17, 0, 1, s[40:41]
	;;#ASMSTART
	;;#ASMEND
	s_nop 0
	v_cmp_ne_u32_e32 vcc, 0, v17
	s_cmp_lg_u64 vcc, exec
	v_mov_b32_e32 v17, v22
	s_cbranch_scc1 .LBB3563_57
; %bb.53:                               ;   in Loop: Header=BB3563_52 Depth=1
	v_lshl_add_u64 v[26:27], v[20:21], 3, s[36:37]
	global_load_dwordx2 v[22:23], v[26:27], off sc1
	s_waitcnt vmcnt(0)
	v_cmp_eq_u16_sdwa s[42:43], v23, v21 src0_sel:BYTE_0 src1_sel:DWORD
	s_and_saveexec_b64 s[40:41], s[42:43]
	s_cbranch_execz .LBB3563_51
; %bb.54:                               ;   in Loop: Header=BB3563_52 Depth=1
	s_mov_b64 s[42:43], 0
.LBB3563_55:                            ;   Parent Loop BB3563_52 Depth=1
                                        ; =>  This Inner Loop Header: Depth=2
	global_load_dwordx2 v[22:23], v[26:27], off sc1
	s_waitcnt vmcnt(0)
	v_cmp_ne_u16_sdwa s[44:45], v23, v21 src0_sel:BYTE_0 src1_sel:DWORD
	s_or_b64 s[42:43], s[44:45], s[42:43]
	s_andn2_b64 exec, exec, s[42:43]
	s_cbranch_execnz .LBB3563_55
; %bb.56:                               ;   in Loop: Header=BB3563_52 Depth=1
	s_or_b64 exec, exec, s[42:43]
	s_branch .LBB3563_51
.LBB3563_57:                            ;   in Loop: Header=BB3563_52 Depth=1
                                        ; implicit-def: $vgpr22
                                        ; implicit-def: $vgpr23
	s_cbranch_execz .LBB3563_52
; %bb.58:
	s_and_saveexec_b64 s[40:41], s[16:17]
	s_cbranch_execz .LBB3563_60
; %bb.59:
	s_add_i32 s2, s2, 64
	s_mov_b32 s3, 0
	s_lshl_b64 s[2:3], s[2:3], 3
	s_add_u32 s2, s36, s2
	v_add_u32_e32 v20, v17, v16
	v_mov_b32_e32 v21, 2
	s_addc_u32 s3, s37, s3
	v_mov_b32_e32 v22, 0
	global_store_dwordx2 v22, v[20:21], s[2:3] sc1
	ds_write_b64 v22, v[16:17] offset:28672
.LBB3563_60:
	s_or_b64 exec, exec, s[40:41]
	v_cmp_eq_u32_e32 vcc, 0, v0
	s_and_b64 exec, exec, vcc
	s_cbranch_execz .LBB3563_62
; %bb.61:
	v_mov_b32_e32 v16, 0
	ds_write_b32 v16, v17 offset:28
.LBB3563_62:
	s_or_b64 exec, exec, s[38:39]
	v_mov_b32_e32 v16, 0
	s_waitcnt lgkmcnt(0)
	s_barrier
	ds_read_b32 v17, v16 offset:28
	v_cndmask_b32_e64 v20, v39, v38, s[16:17]
	v_cmp_ne_u32_e32 vcc, 0, v0
	s_waitcnt lgkmcnt(0)
	s_barrier
	v_cndmask_b32_e32 v20, 0, v20, vcc
	v_add_u32_e32 v27, v17, v20
	v_add_u32_e32 v26, v27, v33
	ds_read_b64 v[16:17], v16 offset:28672
	v_add_u32_e32 v25, v26, v32
	v_add_u32_e32 v23, v25, v31
	;; [unrolled: 1-line block ×5, first 2 shown]
	s_waitcnt lgkmcnt(0)
	v_mov_b32_e32 v22, v17
	s_load_dwordx2 s[2:3], s[0:1], 0x38
	s_branch .LBB3563_73
.LBB3563_63:
                                        ; implicit-def: $vgpr22
                                        ; implicit-def: $vgpr16
                                        ; implicit-def: $vgpr20
                                        ; implicit-def: $vgpr21
                                        ; implicit-def: $vgpr24
                                        ; implicit-def: $vgpr23
                                        ; implicit-def: $vgpr25
                                        ; implicit-def: $vgpr26
                                        ; implicit-def: $vgpr27
	s_load_dwordx2 s[2:3], s[0:1], 0x38
	s_cbranch_execz .LBB3563_73
; %bb.64:
	v_mov_b32_dpp v16, v37 row_shr:1 row_mask:0xf bank_mask:0xf
	v_cndmask_b32_e64 v16, v16, 0, s[14:15]
	v_add_u32_e32 v16, v16, v37
	s_nop 1
	v_mov_b32_dpp v17, v16 row_shr:2 row_mask:0xf bank_mask:0xf
	v_cndmask_b32_e64 v17, 0, v17, s[12:13]
	v_add_u32_e32 v16, v16, v17
	s_nop 1
	;; [unrolled: 4-line block ×4, first 2 shown]
	v_mov_b32_dpp v17, v16 row_bcast:15 row_mask:0xf bank_mask:0xf
	v_cndmask_b32_e64 v17, v17, 0, s[6:7]
	v_add_u32_e32 v16, v16, v17
	s_nop 1
	v_mov_b32_dpp v17, v16 row_bcast:31 row_mask:0xf bank_mask:0xf
	v_cndmask_b32_e64 v17, 0, v17, s[18:19]
	v_add_u32_e32 v16, v16, v17
	s_and_saveexec_b64 s[0:1], s[4:5]
	s_cbranch_execz .LBB3563_66
; %bb.65:
	v_lshlrev_b32_e32 v17, 2, v36
	ds_write_b32 v17, v16
.LBB3563_66:
	s_or_b64 exec, exec, s[0:1]
	v_cmp_gt_u32_e32 vcc, 8, v0
	s_waitcnt lgkmcnt(0)
	s_barrier
	s_and_saveexec_b64 s[0:1], vcc
	s_cbranch_execz .LBB3563_68
; %bb.67:
	v_mad_i32_i24 v17, v0, -3, v35
	ds_read_b32 v20, v17
	v_and_b32_e32 v21, 7, v34
	v_cmp_ne_u32_e32 vcc, 0, v21
	s_waitcnt lgkmcnt(0)
	v_mov_b32_dpp v22, v20 row_shr:1 row_mask:0xf bank_mask:0xf
	v_cndmask_b32_e32 v22, 0, v22, vcc
	v_add_u32_e32 v20, v22, v20
	v_cmp_lt_u32_e32 vcc, 1, v21
	s_nop 0
	v_mov_b32_dpp v22, v20 row_shr:2 row_mask:0xf bank_mask:0xf
	v_cndmask_b32_e32 v22, 0, v22, vcc
	v_add_u32_e32 v20, v20, v22
	v_cmp_lt_u32_e32 vcc, 3, v21
	s_nop 0
	v_mov_b32_dpp v22, v20 row_shr:4 row_mask:0xf bank_mask:0xf
	v_cndmask_b32_e32 v21, 0, v22, vcc
	v_add_u32_e32 v20, v20, v21
	ds_write_b32 v17, v20
.LBB3563_68:
	s_or_b64 exec, exec, s[0:1]
	v_cmp_lt_u32_e32 vcc, 63, v0
	v_mov_b32_e32 v17, 0
	v_mov_b32_e32 v20, 0
	s_waitcnt lgkmcnt(0)
	s_barrier
	s_and_saveexec_b64 s[0:1], vcc
	s_cbranch_execz .LBB3563_70
; %bb.69:
	v_lshl_add_u32 v20, v36, 2, -4
	ds_read_b32 v20, v20
.LBB3563_70:
	s_or_b64 exec, exec, s[0:1]
	v_add_u32_e32 v21, -1, v34
	v_and_b32_e32 v22, 64, v34
	v_cmp_lt_i32_e32 vcc, v21, v22
	s_waitcnt lgkmcnt(0)
	v_add_u32_e32 v16, v20, v16
	v_cndmask_b32_e32 v21, v21, v34, vcc
	v_lshlrev_b32_e32 v21, 2, v21
	ds_bpermute_b32 v21, v21, v16
	ds_read_b32 v16, v17 offset:28
	v_cmp_eq_u32_e32 vcc, 0, v0
	s_and_saveexec_b64 s[0:1], vcc
	s_cbranch_execz .LBB3563_72
; %bb.71:
	v_mov_b32_e32 v22, 0
	v_mov_b32_e32 v17, 2
	s_waitcnt lgkmcnt(0)
	global_store_dwordx2 v22, v[16:17], s[36:37] offset:512 sc1
.LBB3563_72:
	s_or_b64 exec, exec, s[0:1]
	v_cmp_eq_u32_e64 s[0:1], 0, v34
	v_mov_b32_e32 v22, 0
	s_waitcnt lgkmcnt(0)
	v_cndmask_b32_e64 v17, v21, v20, s[0:1]
	v_cndmask_b32_e64 v27, v17, 0, vcc
	v_add_u32_e32 v26, v27, v33
	v_add_u32_e32 v25, v26, v32
	;; [unrolled: 1-line block ×6, first 2 shown]
	s_barrier
.LBB3563_73:
	v_add_u32_e32 v1, v16, v1
	v_sub_u32_e32 v17, v27, v22
	v_sub_u32_e32 v27, v1, v17
	v_cmp_eq_u32_e32 vcc, 1, v33
	s_add_u32 s0, s26, s24
	s_addc_u32 s1, s27, 0
	v_cndmask_b32_e32 v17, v27, v17, vcc
	v_lshlrev_b32_e32 v17, 3, v17
	ds_write_b64 v17, v[10:11]
	v_sub_u32_e32 v10, v26, v22
	v_sub_u32_e32 v11, v1, v10
	v_add_u32_e32 v11, 1, v11
	v_cmp_eq_u32_e32 vcc, 1, v32
	s_sub_u32 s0, s28, s0
	s_subb_u32 s1, s29, s1
	v_cndmask_b32_e32 v10, v11, v10, vcc
	v_lshlrev_b32_e32 v10, 3, v10
	ds_write_b64 v10, v[12:13]
	v_sub_u32_e32 v10, v25, v22
	v_sub_u32_e32 v11, v1, v10
	v_add_u32_e32 v11, 2, v11
	v_cmp_eq_u32_e32 vcc, 1, v31
	v_or_b32_e32 v32, 0x200, v0
	v_or_b32_e32 v26, 0x800, v0
	v_cndmask_b32_e32 v10, v11, v10, vcc
	v_lshlrev_b32_e32 v10, 3, v10
	ds_write_b64 v10, v[6:7]
	v_sub_u32_e32 v6, v23, v22
	v_sub_u32_e32 v7, v1, v6
	v_add_u32_e32 v7, 3, v7
	v_cmp_eq_u32_e32 vcc, 1, v30
	v_or_b32_e32 v30, 0x400, v0
	s_nop 0
	v_cndmask_b32_e32 v6, v7, v6, vcc
	v_lshlrev_b32_e32 v6, 3, v6
	ds_write_b64 v6, v[8:9]
	v_sub_u32_e32 v6, v24, v22
	v_sub_u32_e32 v7, v1, v6
	v_add_u32_e32 v7, 4, v7
	v_cmp_eq_u32_e32 vcc, 1, v29
	v_or_b32_e32 v24, 0xa00, v0
	s_nop 0
	;; [unrolled: 9-line block ×4, first 2 shown]
	v_cndmask_b32_e32 v1, v1, v2, vcc
	v_lshlrev_b32_e32 v1, 3, v1
	ds_write_b64 v1, v[14:15]
	s_waitcnt lgkmcnt(0)
	s_barrier
	ds_read2st64_b64 v[10:13], v18 offset1:8
	ds_read2st64_b64 v[6:9], v18 offset0:16 offset1:24
	ds_read2st64_b64 v[2:5], v18 offset0:32 offset1:40
	ds_read_b64 v[18:19], v18 offset:24576
	v_mov_b32_e32 v1, 0
	v_mov_b32_e32 v23, v1
	;; [unrolled: 1-line block ×3, first 2 shown]
	v_lshl_add_u64 v[14:15], s[30:31], 0, v[22:23]
	v_lshl_add_u64 v[22:23], s[0:1], 0, v[16:17]
	v_mov_b32_e32 v33, v1
	v_mov_b32_e32 v31, v1
	;; [unrolled: 1-line block ×6, first 2 shown]
	s_andn2_b64 vcc, exec, s[34:35]
	v_lshl_add_u64 v[22:23], v[22:23], 0, v[14:15]
	s_cbranch_vccnz .LBB3563_103
; %bb.74:
	v_cmp_ge_u32_e32 vcc, v0, v16
                                        ; implicit-def: $vgpr34_vgpr35
	s_and_saveexec_b64 s[0:1], vcc
	s_xor_b64 s[0:1], exec, s[0:1]
; %bb.75:
	v_not_b32_e32 v34, v0
	v_ashrrev_i32_e32 v35, 31, v34
	v_lshl_add_u64 v[34:35], v[22:23], 0, v[34:35]
; %bb.76:
	s_andn2_saveexec_b64 s[0:1], s[0:1]
; %bb.77:
	v_lshl_add_u64 v[34:35], v[14:15], 0, v[0:1]
; %bb.78:
	s_or_b64 exec, exec, s[0:1]
	v_lshl_add_u64 v[34:35], v[34:35], 3, s[2:3]
	v_cmp_ge_u32_e32 vcc, v32, v16
	s_waitcnt lgkmcnt(3)
	global_store_dwordx2 v[34:35], v[10:11], off
                                        ; implicit-def: $vgpr34_vgpr35
	s_and_saveexec_b64 s[0:1], vcc
	s_xor_b64 s[0:1], exec, s[0:1]
; %bb.79:
	v_xor_b32_e32 v34, 0xfffffdff, v0
	v_ashrrev_i32_e32 v35, 31, v34
	v_lshl_add_u64 v[34:35], v[22:23], 0, v[34:35]
; %bb.80:
	s_andn2_saveexec_b64 s[0:1], s[0:1]
; %bb.81:
	v_lshl_add_u64 v[34:35], v[14:15], 0, v[32:33]
; %bb.82:
	s_or_b64 exec, exec, s[0:1]
	v_lshl_add_u64 v[34:35], v[34:35], 3, s[2:3]
	v_cmp_ge_u32_e32 vcc, v30, v16
	global_store_dwordx2 v[34:35], v[12:13], off
                                        ; implicit-def: $vgpr34_vgpr35
	s_and_saveexec_b64 s[0:1], vcc
	s_xor_b64 s[0:1], exec, s[0:1]
; %bb.83:
	v_xor_b32_e32 v34, 0xfffffbff, v0
	v_ashrrev_i32_e32 v35, 31, v34
	v_lshl_add_u64 v[34:35], v[22:23], 0, v[34:35]
; %bb.84:
	s_andn2_saveexec_b64 s[0:1], s[0:1]
; %bb.85:
	v_lshl_add_u64 v[34:35], v[14:15], 0, v[30:31]
; %bb.86:
	s_or_b64 exec, exec, s[0:1]
	v_lshl_add_u64 v[34:35], v[34:35], 3, s[2:3]
	v_cmp_ge_u32_e32 vcc, v28, v16
	s_waitcnt lgkmcnt(2)
	global_store_dwordx2 v[34:35], v[6:7], off
                                        ; implicit-def: $vgpr34_vgpr35
	s_and_saveexec_b64 s[0:1], vcc
	s_xor_b64 s[0:1], exec, s[0:1]
; %bb.87:
	v_xor_b32_e32 v34, 0xfffff9ff, v0
	v_ashrrev_i32_e32 v35, 31, v34
	v_lshl_add_u64 v[34:35], v[22:23], 0, v[34:35]
; %bb.88:
	s_andn2_saveexec_b64 s[0:1], s[0:1]
; %bb.89:
	v_lshl_add_u64 v[34:35], v[14:15], 0, v[28:29]
; %bb.90:
	s_or_b64 exec, exec, s[0:1]
	v_lshl_add_u64 v[34:35], v[34:35], 3, s[2:3]
	v_cmp_ge_u32_e32 vcc, v26, v16
	global_store_dwordx2 v[34:35], v[8:9], off
                                        ; implicit-def: $vgpr34_vgpr35
	s_and_saveexec_b64 s[0:1], vcc
	s_xor_b64 s[0:1], exec, s[0:1]
; %bb.91:
	v_xor_b32_e32 v34, 0xfffff7ff, v0
	;; [unrolled: 33-line block ×3, first 2 shown]
	v_ashrrev_i32_e32 v35, 31, v34
	v_lshl_add_u64 v[34:35], v[22:23], 0, v[34:35]
; %bb.100:
	s_andn2_saveexec_b64 s[0:1], s[0:1]
; %bb.101:
	v_lshl_add_u64 v[34:35], v[14:15], 0, v[20:21]
; %bb.102:
	s_or_b64 exec, exec, s[0:1]
	s_mov_b64 s[0:1], -1
	s_branch .LBB3563_147
.LBB3563_103:
	s_mov_b64 s[0:1], 0
                                        ; implicit-def: $vgpr34_vgpr35
	s_cbranch_execz .LBB3563_147
; %bb.104:
	v_cmp_gt_u32_e32 vcc, s33, v0
	s_and_saveexec_b64 s[4:5], vcc
	s_cbranch_execz .LBB3563_122
; %bb.105:
	v_cmp_ge_u32_e32 vcc, v0, v16
                                        ; implicit-def: $vgpr34_vgpr35
	s_and_saveexec_b64 s[6:7], vcc
	s_xor_b64 s[6:7], exec, s[6:7]
; %bb.106:
	v_not_b32_e32 v34, v0
	v_ashrrev_i32_e32 v35, 31, v34
	v_lshl_add_u64 v[34:35], v[22:23], 0, v[34:35]
; %bb.107:
	s_andn2_saveexec_b64 s[6:7], s[6:7]
; %bb.108:
	v_lshl_add_u64 v[34:35], v[14:15], 0, v[0:1]
; %bb.109:
	s_or_b64 exec, exec, s[6:7]
	v_lshl_add_u64 v[34:35], v[34:35], 3, s[2:3]
	s_waitcnt lgkmcnt(3)
	global_store_dwordx2 v[34:35], v[10:11], off
	s_or_b64 exec, exec, s[4:5]
	v_cmp_gt_u32_e32 vcc, s33, v32
	s_and_saveexec_b64 s[4:5], vcc
	s_cbranch_execnz .LBB3563_123
.LBB3563_110:
	s_or_b64 exec, exec, s[4:5]
	v_cmp_gt_u32_e32 vcc, s33, v30
	s_and_saveexec_b64 s[4:5], vcc
	s_cbranch_execz .LBB3563_128
.LBB3563_111:
	v_cmp_ge_u32_e32 vcc, v30, v16
                                        ; implicit-def: $vgpr10_vgpr11
	s_and_saveexec_b64 s[6:7], vcc
	s_xor_b64 s[6:7], exec, s[6:7]
	s_cbranch_execz .LBB3563_113
; %bb.112:
	s_waitcnt lgkmcnt(3)
	v_xor_b32_e32 v10, 0xfffffbff, v0
	v_ashrrev_i32_e32 v11, 31, v10
	v_lshl_add_u64 v[10:11], v[22:23], 0, v[10:11]
                                        ; implicit-def: $vgpr30_vgpr31
.LBB3563_113:
	s_andn2_saveexec_b64 s[6:7], s[6:7]
	s_cbranch_execz .LBB3563_115
; %bb.114:
	s_waitcnt lgkmcnt(3)
	v_lshl_add_u64 v[10:11], v[14:15], 0, v[30:31]
.LBB3563_115:
	s_or_b64 exec, exec, s[6:7]
	s_waitcnt lgkmcnt(3)
	v_lshl_add_u64 v[10:11], v[10:11], 3, s[2:3]
	s_waitcnt lgkmcnt(2)
	global_store_dwordx2 v[10:11], v[6:7], off
	s_or_b64 exec, exec, s[4:5]
	v_cmp_gt_u32_e32 vcc, s33, v28
	s_and_saveexec_b64 s[4:5], vcc
	s_cbranch_execnz .LBB3563_129
.LBB3563_116:
	s_or_b64 exec, exec, s[4:5]
	v_cmp_gt_u32_e32 vcc, s33, v26
	s_and_saveexec_b64 s[4:5], vcc
	s_cbranch_execz .LBB3563_134
.LBB3563_117:
	v_cmp_ge_u32_e32 vcc, v26, v16
                                        ; implicit-def: $vgpr6_vgpr7
	s_and_saveexec_b64 s[6:7], vcc
	s_xor_b64 s[6:7], exec, s[6:7]
	s_cbranch_execz .LBB3563_119
; %bb.118:
	s_waitcnt lgkmcnt(2)
	v_xor_b32_e32 v6, 0xfffff7ff, v0
	v_ashrrev_i32_e32 v7, 31, v6
	v_lshl_add_u64 v[6:7], v[22:23], 0, v[6:7]
                                        ; implicit-def: $vgpr26_vgpr27
.LBB3563_119:
	s_andn2_saveexec_b64 s[6:7], s[6:7]
	s_cbranch_execz .LBB3563_121
; %bb.120:
	s_waitcnt lgkmcnt(2)
	v_lshl_add_u64 v[6:7], v[14:15], 0, v[26:27]
.LBB3563_121:
	s_or_b64 exec, exec, s[6:7]
	s_waitcnt lgkmcnt(2)
	v_lshl_add_u64 v[6:7], v[6:7], 3, s[2:3]
	s_waitcnt lgkmcnt(1)
	global_store_dwordx2 v[6:7], v[2:3], off
	s_or_b64 exec, exec, s[4:5]
	v_cmp_gt_u32_e32 vcc, s33, v24
	s_and_saveexec_b64 s[4:5], vcc
	s_cbranch_execz .LBB3563_140
	s_branch .LBB3563_135
.LBB3563_122:
	s_or_b64 exec, exec, s[4:5]
	v_cmp_gt_u32_e32 vcc, s33, v32
	s_and_saveexec_b64 s[4:5], vcc
	s_cbranch_execz .LBB3563_110
.LBB3563_123:
	v_cmp_ge_u32_e32 vcc, v32, v16
                                        ; implicit-def: $vgpr10_vgpr11
	s_and_saveexec_b64 s[6:7], vcc
	s_xor_b64 s[6:7], exec, s[6:7]
	s_cbranch_execz .LBB3563_125
; %bb.124:
	s_waitcnt lgkmcnt(3)
	v_xor_b32_e32 v10, 0xfffffdff, v0
	v_ashrrev_i32_e32 v11, 31, v10
	v_lshl_add_u64 v[10:11], v[22:23], 0, v[10:11]
                                        ; implicit-def: $vgpr32_vgpr33
.LBB3563_125:
	s_andn2_saveexec_b64 s[6:7], s[6:7]
	s_cbranch_execz .LBB3563_127
; %bb.126:
	s_waitcnt lgkmcnt(3)
	v_lshl_add_u64 v[10:11], v[14:15], 0, v[32:33]
.LBB3563_127:
	s_or_b64 exec, exec, s[6:7]
	s_waitcnt lgkmcnt(3)
	v_lshl_add_u64 v[10:11], v[10:11], 3, s[2:3]
	global_store_dwordx2 v[10:11], v[12:13], off
	s_or_b64 exec, exec, s[4:5]
	v_cmp_gt_u32_e32 vcc, s33, v30
	s_and_saveexec_b64 s[4:5], vcc
	s_cbranch_execnz .LBB3563_111
.LBB3563_128:
	s_or_b64 exec, exec, s[4:5]
	v_cmp_gt_u32_e32 vcc, s33, v28
	s_and_saveexec_b64 s[4:5], vcc
	s_cbranch_execz .LBB3563_116
.LBB3563_129:
	v_cmp_ge_u32_e32 vcc, v28, v16
                                        ; implicit-def: $vgpr6_vgpr7
	s_and_saveexec_b64 s[6:7], vcc
	s_xor_b64 s[6:7], exec, s[6:7]
	s_cbranch_execz .LBB3563_131
; %bb.130:
	s_waitcnt lgkmcnt(2)
	v_xor_b32_e32 v6, 0xfffff9ff, v0
	v_ashrrev_i32_e32 v7, 31, v6
	v_lshl_add_u64 v[6:7], v[22:23], 0, v[6:7]
                                        ; implicit-def: $vgpr28_vgpr29
.LBB3563_131:
	s_andn2_saveexec_b64 s[6:7], s[6:7]
	s_cbranch_execz .LBB3563_133
; %bb.132:
	s_waitcnt lgkmcnt(2)
	v_lshl_add_u64 v[6:7], v[14:15], 0, v[28:29]
.LBB3563_133:
	s_or_b64 exec, exec, s[6:7]
	s_waitcnt lgkmcnt(2)
	v_lshl_add_u64 v[6:7], v[6:7], 3, s[2:3]
	global_store_dwordx2 v[6:7], v[8:9], off
	s_or_b64 exec, exec, s[4:5]
	v_cmp_gt_u32_e32 vcc, s33, v26
	s_and_saveexec_b64 s[4:5], vcc
	s_cbranch_execnz .LBB3563_117
.LBB3563_134:
	s_or_b64 exec, exec, s[4:5]
	v_cmp_gt_u32_e32 vcc, s33, v24
	s_and_saveexec_b64 s[4:5], vcc
	s_cbranch_execz .LBB3563_140
.LBB3563_135:
	v_cmp_ge_u32_e32 vcc, v24, v16
                                        ; implicit-def: $vgpr2_vgpr3
	s_and_saveexec_b64 s[6:7], vcc
	s_xor_b64 s[6:7], exec, s[6:7]
	s_cbranch_execz .LBB3563_137
; %bb.136:
	s_waitcnt lgkmcnt(1)
	v_xor_b32_e32 v2, 0xfffff5ff, v0
	v_ashrrev_i32_e32 v3, 31, v2
	v_lshl_add_u64 v[2:3], v[22:23], 0, v[2:3]
                                        ; implicit-def: $vgpr24_vgpr25
.LBB3563_137:
	s_andn2_saveexec_b64 s[6:7], s[6:7]
	s_cbranch_execz .LBB3563_139
; %bb.138:
	s_waitcnt lgkmcnt(1)
	v_lshl_add_u64 v[2:3], v[14:15], 0, v[24:25]
.LBB3563_139:
	s_or_b64 exec, exec, s[6:7]
	s_waitcnt lgkmcnt(1)
	v_lshl_add_u64 v[2:3], v[2:3], 3, s[2:3]
	global_store_dwordx2 v[2:3], v[4:5], off
.LBB3563_140:
	s_or_b64 exec, exec, s[4:5]
	v_cmp_gt_u32_e32 vcc, s33, v20
                                        ; implicit-def: $vgpr34_vgpr35
	s_and_saveexec_b64 s[4:5], vcc
	s_cbranch_execz .LBB3563_146
; %bb.141:
	v_cmp_ge_u32_e32 vcc, v20, v16
                                        ; implicit-def: $vgpr34_vgpr35
	s_and_saveexec_b64 s[6:7], vcc
	s_xor_b64 s[6:7], exec, s[6:7]
	s_cbranch_execz .LBB3563_143
; %bb.142:
	s_waitcnt lgkmcnt(1)
	v_xor_b32_e32 v2, 0xfffff3ff, v0
	v_ashrrev_i32_e32 v3, 31, v2
	v_lshl_add_u64 v[34:35], v[22:23], 0, v[2:3]
                                        ; implicit-def: $vgpr20_vgpr21
.LBB3563_143:
	s_andn2_saveexec_b64 s[6:7], s[6:7]
; %bb.144:
	v_lshl_add_u64 v[34:35], v[14:15], 0, v[20:21]
; %bb.145:
	s_or_b64 exec, exec, s[6:7]
	s_or_b64 s[0:1], s[0:1], exec
.LBB3563_146:
	s_or_b64 exec, exec, s[4:5]
.LBB3563_147:
	s_and_saveexec_b64 s[4:5], s[0:1]
	s_cbranch_execz .LBB3563_149
; %bb.148:
	s_waitcnt lgkmcnt(1)
	v_lshl_add_u64 v[2:3], v[34:35], 3, s[2:3]
	s_waitcnt lgkmcnt(0)
	global_store_dwordx2 v[2:3], v[18:19], off
.LBB3563_149:
	s_or_b64 exec, exec, s[4:5]
	v_cmp_eq_u32_e32 vcc, 0, v0
	s_and_b64 s[0:1], vcc, s[22:23]
	s_and_saveexec_b64 s[2:3], s[0:1]
	s_cbranch_execz .LBB3563_151
; %bb.150:
	s_waitcnt lgkmcnt(1)
	v_mov_b32_e32 v2, 0
	v_lshl_add_u64 v[0:1], v[14:15], 0, v[16:17]
	global_store_dwordx2 v2, v[0:1], s[20:21]
.LBB3563_151:
	s_endpgm
	.section	.rodata,"a",@progbits
	.p2align	6, 0x0
	.amdhsa_kernel _ZN7rocprim17ROCPRIM_400000_NS6detail17trampoline_kernelINS0_14default_configENS1_25partition_config_selectorILNS1_17partition_subalgoE2ExNS0_10empty_typeEbEEZZNS1_14partition_implILS5_2ELb0ES3_jN6thrust23THRUST_200600_302600_NS6detail15normal_iteratorINSA_7pointerIxNSA_11hip_rocprim3tagENSA_11use_defaultESG_EEEEPS6_NSA_18transform_iteratorI10is_orderedNSA_12zip_iteratorINSA_5tupleINSC_INSA_10device_ptrIxEEEESQ_NSA_9null_typeESR_SR_SR_SR_SR_SR_SR_EEEESG_SG_EENS0_5tupleIJPxSJ_EEENSV_IJSJ_SJ_EEES6_PlJS6_EEE10hipError_tPvRmT3_T4_T5_T6_T7_T9_mT8_P12ihipStream_tbDpT10_ENKUlT_T0_E_clISt17integral_constantIbLb0EES1J_EEDaS1E_S1F_EUlS1E_E_NS1_11comp_targetILNS1_3genE5ELNS1_11target_archE942ELNS1_3gpuE9ELNS1_3repE0EEENS1_30default_config_static_selectorELNS0_4arch9wavefront6targetE1EEEvT1_
		.amdhsa_group_segment_fixed_size 28680
		.amdhsa_private_segment_fixed_size 0
		.amdhsa_kernarg_size 136
		.amdhsa_user_sgpr_count 2
		.amdhsa_user_sgpr_dispatch_ptr 0
		.amdhsa_user_sgpr_queue_ptr 0
		.amdhsa_user_sgpr_kernarg_segment_ptr 1
		.amdhsa_user_sgpr_dispatch_id 0
		.amdhsa_user_sgpr_kernarg_preload_length 0
		.amdhsa_user_sgpr_kernarg_preload_offset 0
		.amdhsa_user_sgpr_private_segment_size 0
		.amdhsa_uses_dynamic_stack 0
		.amdhsa_enable_private_segment 0
		.amdhsa_system_sgpr_workgroup_id_x 1
		.amdhsa_system_sgpr_workgroup_id_y 0
		.amdhsa_system_sgpr_workgroup_id_z 0
		.amdhsa_system_sgpr_workgroup_info 0
		.amdhsa_system_vgpr_workitem_id 0
		.amdhsa_next_free_vgpr 54
		.amdhsa_next_free_sgpr 46
		.amdhsa_accum_offset 56
		.amdhsa_reserve_vcc 1
		.amdhsa_float_round_mode_32 0
		.amdhsa_float_round_mode_16_64 0
		.amdhsa_float_denorm_mode_32 3
		.amdhsa_float_denorm_mode_16_64 3
		.amdhsa_dx10_clamp 1
		.amdhsa_ieee_mode 1
		.amdhsa_fp16_overflow 0
		.amdhsa_tg_split 0
		.amdhsa_exception_fp_ieee_invalid_op 0
		.amdhsa_exception_fp_denorm_src 0
		.amdhsa_exception_fp_ieee_div_zero 0
		.amdhsa_exception_fp_ieee_overflow 0
		.amdhsa_exception_fp_ieee_underflow 0
		.amdhsa_exception_fp_ieee_inexact 0
		.amdhsa_exception_int_div_zero 0
	.end_amdhsa_kernel
	.section	.text._ZN7rocprim17ROCPRIM_400000_NS6detail17trampoline_kernelINS0_14default_configENS1_25partition_config_selectorILNS1_17partition_subalgoE2ExNS0_10empty_typeEbEEZZNS1_14partition_implILS5_2ELb0ES3_jN6thrust23THRUST_200600_302600_NS6detail15normal_iteratorINSA_7pointerIxNSA_11hip_rocprim3tagENSA_11use_defaultESG_EEEEPS6_NSA_18transform_iteratorI10is_orderedNSA_12zip_iteratorINSA_5tupleINSC_INSA_10device_ptrIxEEEESQ_NSA_9null_typeESR_SR_SR_SR_SR_SR_SR_EEEESG_SG_EENS0_5tupleIJPxSJ_EEENSV_IJSJ_SJ_EEES6_PlJS6_EEE10hipError_tPvRmT3_T4_T5_T6_T7_T9_mT8_P12ihipStream_tbDpT10_ENKUlT_T0_E_clISt17integral_constantIbLb0EES1J_EEDaS1E_S1F_EUlS1E_E_NS1_11comp_targetILNS1_3genE5ELNS1_11target_archE942ELNS1_3gpuE9ELNS1_3repE0EEENS1_30default_config_static_selectorELNS0_4arch9wavefront6targetE1EEEvT1_,"axG",@progbits,_ZN7rocprim17ROCPRIM_400000_NS6detail17trampoline_kernelINS0_14default_configENS1_25partition_config_selectorILNS1_17partition_subalgoE2ExNS0_10empty_typeEbEEZZNS1_14partition_implILS5_2ELb0ES3_jN6thrust23THRUST_200600_302600_NS6detail15normal_iteratorINSA_7pointerIxNSA_11hip_rocprim3tagENSA_11use_defaultESG_EEEEPS6_NSA_18transform_iteratorI10is_orderedNSA_12zip_iteratorINSA_5tupleINSC_INSA_10device_ptrIxEEEESQ_NSA_9null_typeESR_SR_SR_SR_SR_SR_SR_EEEESG_SG_EENS0_5tupleIJPxSJ_EEENSV_IJSJ_SJ_EEES6_PlJS6_EEE10hipError_tPvRmT3_T4_T5_T6_T7_T9_mT8_P12ihipStream_tbDpT10_ENKUlT_T0_E_clISt17integral_constantIbLb0EES1J_EEDaS1E_S1F_EUlS1E_E_NS1_11comp_targetILNS1_3genE5ELNS1_11target_archE942ELNS1_3gpuE9ELNS1_3repE0EEENS1_30default_config_static_selectorELNS0_4arch9wavefront6targetE1EEEvT1_,comdat
.Lfunc_end3563:
	.size	_ZN7rocprim17ROCPRIM_400000_NS6detail17trampoline_kernelINS0_14default_configENS1_25partition_config_selectorILNS1_17partition_subalgoE2ExNS0_10empty_typeEbEEZZNS1_14partition_implILS5_2ELb0ES3_jN6thrust23THRUST_200600_302600_NS6detail15normal_iteratorINSA_7pointerIxNSA_11hip_rocprim3tagENSA_11use_defaultESG_EEEEPS6_NSA_18transform_iteratorI10is_orderedNSA_12zip_iteratorINSA_5tupleINSC_INSA_10device_ptrIxEEEESQ_NSA_9null_typeESR_SR_SR_SR_SR_SR_SR_EEEESG_SG_EENS0_5tupleIJPxSJ_EEENSV_IJSJ_SJ_EEES6_PlJS6_EEE10hipError_tPvRmT3_T4_T5_T6_T7_T9_mT8_P12ihipStream_tbDpT10_ENKUlT_T0_E_clISt17integral_constantIbLb0EES1J_EEDaS1E_S1F_EUlS1E_E_NS1_11comp_targetILNS1_3genE5ELNS1_11target_archE942ELNS1_3gpuE9ELNS1_3repE0EEENS1_30default_config_static_selectorELNS0_4arch9wavefront6targetE1EEEvT1_, .Lfunc_end3563-_ZN7rocprim17ROCPRIM_400000_NS6detail17trampoline_kernelINS0_14default_configENS1_25partition_config_selectorILNS1_17partition_subalgoE2ExNS0_10empty_typeEbEEZZNS1_14partition_implILS5_2ELb0ES3_jN6thrust23THRUST_200600_302600_NS6detail15normal_iteratorINSA_7pointerIxNSA_11hip_rocprim3tagENSA_11use_defaultESG_EEEEPS6_NSA_18transform_iteratorI10is_orderedNSA_12zip_iteratorINSA_5tupleINSC_INSA_10device_ptrIxEEEESQ_NSA_9null_typeESR_SR_SR_SR_SR_SR_SR_EEEESG_SG_EENS0_5tupleIJPxSJ_EEENSV_IJSJ_SJ_EEES6_PlJS6_EEE10hipError_tPvRmT3_T4_T5_T6_T7_T9_mT8_P12ihipStream_tbDpT10_ENKUlT_T0_E_clISt17integral_constantIbLb0EES1J_EEDaS1E_S1F_EUlS1E_E_NS1_11comp_targetILNS1_3genE5ELNS1_11target_archE942ELNS1_3gpuE9ELNS1_3repE0EEENS1_30default_config_static_selectorELNS0_4arch9wavefront6targetE1EEEvT1_
                                        ; -- End function
	.section	.AMDGPU.csdata,"",@progbits
; Kernel info:
; codeLenInByte = 5836
; NumSgprs: 52
; NumVgprs: 54
; NumAgprs: 0
; TotalNumVgprs: 54
; ScratchSize: 0
; MemoryBound: 0
; FloatMode: 240
; IeeeMode: 1
; LDSByteSize: 28680 bytes/workgroup (compile time only)
; SGPRBlocks: 6
; VGPRBlocks: 6
; NumSGPRsForWavesPerEU: 52
; NumVGPRsForWavesPerEU: 54
; AccumOffset: 56
; Occupancy: 4
; WaveLimiterHint : 1
; COMPUTE_PGM_RSRC2:SCRATCH_EN: 0
; COMPUTE_PGM_RSRC2:USER_SGPR: 2
; COMPUTE_PGM_RSRC2:TRAP_HANDLER: 0
; COMPUTE_PGM_RSRC2:TGID_X_EN: 1
; COMPUTE_PGM_RSRC2:TGID_Y_EN: 0
; COMPUTE_PGM_RSRC2:TGID_Z_EN: 0
; COMPUTE_PGM_RSRC2:TIDIG_COMP_CNT: 0
; COMPUTE_PGM_RSRC3_GFX90A:ACCUM_OFFSET: 13
; COMPUTE_PGM_RSRC3_GFX90A:TG_SPLIT: 0
	.section	.text._ZN7rocprim17ROCPRIM_400000_NS6detail17trampoline_kernelINS0_14default_configENS1_25partition_config_selectorILNS1_17partition_subalgoE2ExNS0_10empty_typeEbEEZZNS1_14partition_implILS5_2ELb0ES3_jN6thrust23THRUST_200600_302600_NS6detail15normal_iteratorINSA_7pointerIxNSA_11hip_rocprim3tagENSA_11use_defaultESG_EEEEPS6_NSA_18transform_iteratorI10is_orderedNSA_12zip_iteratorINSA_5tupleINSC_INSA_10device_ptrIxEEEESQ_NSA_9null_typeESR_SR_SR_SR_SR_SR_SR_EEEESG_SG_EENS0_5tupleIJPxSJ_EEENSV_IJSJ_SJ_EEES6_PlJS6_EEE10hipError_tPvRmT3_T4_T5_T6_T7_T9_mT8_P12ihipStream_tbDpT10_ENKUlT_T0_E_clISt17integral_constantIbLb0EES1J_EEDaS1E_S1F_EUlS1E_E_NS1_11comp_targetILNS1_3genE4ELNS1_11target_archE910ELNS1_3gpuE8ELNS1_3repE0EEENS1_30default_config_static_selectorELNS0_4arch9wavefront6targetE1EEEvT1_,"axG",@progbits,_ZN7rocprim17ROCPRIM_400000_NS6detail17trampoline_kernelINS0_14default_configENS1_25partition_config_selectorILNS1_17partition_subalgoE2ExNS0_10empty_typeEbEEZZNS1_14partition_implILS5_2ELb0ES3_jN6thrust23THRUST_200600_302600_NS6detail15normal_iteratorINSA_7pointerIxNSA_11hip_rocprim3tagENSA_11use_defaultESG_EEEEPS6_NSA_18transform_iteratorI10is_orderedNSA_12zip_iteratorINSA_5tupleINSC_INSA_10device_ptrIxEEEESQ_NSA_9null_typeESR_SR_SR_SR_SR_SR_SR_EEEESG_SG_EENS0_5tupleIJPxSJ_EEENSV_IJSJ_SJ_EEES6_PlJS6_EEE10hipError_tPvRmT3_T4_T5_T6_T7_T9_mT8_P12ihipStream_tbDpT10_ENKUlT_T0_E_clISt17integral_constantIbLb0EES1J_EEDaS1E_S1F_EUlS1E_E_NS1_11comp_targetILNS1_3genE4ELNS1_11target_archE910ELNS1_3gpuE8ELNS1_3repE0EEENS1_30default_config_static_selectorELNS0_4arch9wavefront6targetE1EEEvT1_,comdat
	.protected	_ZN7rocprim17ROCPRIM_400000_NS6detail17trampoline_kernelINS0_14default_configENS1_25partition_config_selectorILNS1_17partition_subalgoE2ExNS0_10empty_typeEbEEZZNS1_14partition_implILS5_2ELb0ES3_jN6thrust23THRUST_200600_302600_NS6detail15normal_iteratorINSA_7pointerIxNSA_11hip_rocprim3tagENSA_11use_defaultESG_EEEEPS6_NSA_18transform_iteratorI10is_orderedNSA_12zip_iteratorINSA_5tupleINSC_INSA_10device_ptrIxEEEESQ_NSA_9null_typeESR_SR_SR_SR_SR_SR_SR_EEEESG_SG_EENS0_5tupleIJPxSJ_EEENSV_IJSJ_SJ_EEES6_PlJS6_EEE10hipError_tPvRmT3_T4_T5_T6_T7_T9_mT8_P12ihipStream_tbDpT10_ENKUlT_T0_E_clISt17integral_constantIbLb0EES1J_EEDaS1E_S1F_EUlS1E_E_NS1_11comp_targetILNS1_3genE4ELNS1_11target_archE910ELNS1_3gpuE8ELNS1_3repE0EEENS1_30default_config_static_selectorELNS0_4arch9wavefront6targetE1EEEvT1_ ; -- Begin function _ZN7rocprim17ROCPRIM_400000_NS6detail17trampoline_kernelINS0_14default_configENS1_25partition_config_selectorILNS1_17partition_subalgoE2ExNS0_10empty_typeEbEEZZNS1_14partition_implILS5_2ELb0ES3_jN6thrust23THRUST_200600_302600_NS6detail15normal_iteratorINSA_7pointerIxNSA_11hip_rocprim3tagENSA_11use_defaultESG_EEEEPS6_NSA_18transform_iteratorI10is_orderedNSA_12zip_iteratorINSA_5tupleINSC_INSA_10device_ptrIxEEEESQ_NSA_9null_typeESR_SR_SR_SR_SR_SR_SR_EEEESG_SG_EENS0_5tupleIJPxSJ_EEENSV_IJSJ_SJ_EEES6_PlJS6_EEE10hipError_tPvRmT3_T4_T5_T6_T7_T9_mT8_P12ihipStream_tbDpT10_ENKUlT_T0_E_clISt17integral_constantIbLb0EES1J_EEDaS1E_S1F_EUlS1E_E_NS1_11comp_targetILNS1_3genE4ELNS1_11target_archE910ELNS1_3gpuE8ELNS1_3repE0EEENS1_30default_config_static_selectorELNS0_4arch9wavefront6targetE1EEEvT1_
	.globl	_ZN7rocprim17ROCPRIM_400000_NS6detail17trampoline_kernelINS0_14default_configENS1_25partition_config_selectorILNS1_17partition_subalgoE2ExNS0_10empty_typeEbEEZZNS1_14partition_implILS5_2ELb0ES3_jN6thrust23THRUST_200600_302600_NS6detail15normal_iteratorINSA_7pointerIxNSA_11hip_rocprim3tagENSA_11use_defaultESG_EEEEPS6_NSA_18transform_iteratorI10is_orderedNSA_12zip_iteratorINSA_5tupleINSC_INSA_10device_ptrIxEEEESQ_NSA_9null_typeESR_SR_SR_SR_SR_SR_SR_EEEESG_SG_EENS0_5tupleIJPxSJ_EEENSV_IJSJ_SJ_EEES6_PlJS6_EEE10hipError_tPvRmT3_T4_T5_T6_T7_T9_mT8_P12ihipStream_tbDpT10_ENKUlT_T0_E_clISt17integral_constantIbLb0EES1J_EEDaS1E_S1F_EUlS1E_E_NS1_11comp_targetILNS1_3genE4ELNS1_11target_archE910ELNS1_3gpuE8ELNS1_3repE0EEENS1_30default_config_static_selectorELNS0_4arch9wavefront6targetE1EEEvT1_
	.p2align	8
	.type	_ZN7rocprim17ROCPRIM_400000_NS6detail17trampoline_kernelINS0_14default_configENS1_25partition_config_selectorILNS1_17partition_subalgoE2ExNS0_10empty_typeEbEEZZNS1_14partition_implILS5_2ELb0ES3_jN6thrust23THRUST_200600_302600_NS6detail15normal_iteratorINSA_7pointerIxNSA_11hip_rocprim3tagENSA_11use_defaultESG_EEEEPS6_NSA_18transform_iteratorI10is_orderedNSA_12zip_iteratorINSA_5tupleINSC_INSA_10device_ptrIxEEEESQ_NSA_9null_typeESR_SR_SR_SR_SR_SR_SR_EEEESG_SG_EENS0_5tupleIJPxSJ_EEENSV_IJSJ_SJ_EEES6_PlJS6_EEE10hipError_tPvRmT3_T4_T5_T6_T7_T9_mT8_P12ihipStream_tbDpT10_ENKUlT_T0_E_clISt17integral_constantIbLb0EES1J_EEDaS1E_S1F_EUlS1E_E_NS1_11comp_targetILNS1_3genE4ELNS1_11target_archE910ELNS1_3gpuE8ELNS1_3repE0EEENS1_30default_config_static_selectorELNS0_4arch9wavefront6targetE1EEEvT1_,@function
_ZN7rocprim17ROCPRIM_400000_NS6detail17trampoline_kernelINS0_14default_configENS1_25partition_config_selectorILNS1_17partition_subalgoE2ExNS0_10empty_typeEbEEZZNS1_14partition_implILS5_2ELb0ES3_jN6thrust23THRUST_200600_302600_NS6detail15normal_iteratorINSA_7pointerIxNSA_11hip_rocprim3tagENSA_11use_defaultESG_EEEEPS6_NSA_18transform_iteratorI10is_orderedNSA_12zip_iteratorINSA_5tupleINSC_INSA_10device_ptrIxEEEESQ_NSA_9null_typeESR_SR_SR_SR_SR_SR_SR_EEEESG_SG_EENS0_5tupleIJPxSJ_EEENSV_IJSJ_SJ_EEES6_PlJS6_EEE10hipError_tPvRmT3_T4_T5_T6_T7_T9_mT8_P12ihipStream_tbDpT10_ENKUlT_T0_E_clISt17integral_constantIbLb0EES1J_EEDaS1E_S1F_EUlS1E_E_NS1_11comp_targetILNS1_3genE4ELNS1_11target_archE910ELNS1_3gpuE8ELNS1_3repE0EEENS1_30default_config_static_selectorELNS0_4arch9wavefront6targetE1EEEvT1_: ; @_ZN7rocprim17ROCPRIM_400000_NS6detail17trampoline_kernelINS0_14default_configENS1_25partition_config_selectorILNS1_17partition_subalgoE2ExNS0_10empty_typeEbEEZZNS1_14partition_implILS5_2ELb0ES3_jN6thrust23THRUST_200600_302600_NS6detail15normal_iteratorINSA_7pointerIxNSA_11hip_rocprim3tagENSA_11use_defaultESG_EEEEPS6_NSA_18transform_iteratorI10is_orderedNSA_12zip_iteratorINSA_5tupleINSC_INSA_10device_ptrIxEEEESQ_NSA_9null_typeESR_SR_SR_SR_SR_SR_SR_EEEESG_SG_EENS0_5tupleIJPxSJ_EEENSV_IJSJ_SJ_EEES6_PlJS6_EEE10hipError_tPvRmT3_T4_T5_T6_T7_T9_mT8_P12ihipStream_tbDpT10_ENKUlT_T0_E_clISt17integral_constantIbLb0EES1J_EEDaS1E_S1F_EUlS1E_E_NS1_11comp_targetILNS1_3genE4ELNS1_11target_archE910ELNS1_3gpuE8ELNS1_3repE0EEENS1_30default_config_static_selectorELNS0_4arch9wavefront6targetE1EEEvT1_
; %bb.0:
	.section	.rodata,"a",@progbits
	.p2align	6, 0x0
	.amdhsa_kernel _ZN7rocprim17ROCPRIM_400000_NS6detail17trampoline_kernelINS0_14default_configENS1_25partition_config_selectorILNS1_17partition_subalgoE2ExNS0_10empty_typeEbEEZZNS1_14partition_implILS5_2ELb0ES3_jN6thrust23THRUST_200600_302600_NS6detail15normal_iteratorINSA_7pointerIxNSA_11hip_rocprim3tagENSA_11use_defaultESG_EEEEPS6_NSA_18transform_iteratorI10is_orderedNSA_12zip_iteratorINSA_5tupleINSC_INSA_10device_ptrIxEEEESQ_NSA_9null_typeESR_SR_SR_SR_SR_SR_SR_EEEESG_SG_EENS0_5tupleIJPxSJ_EEENSV_IJSJ_SJ_EEES6_PlJS6_EEE10hipError_tPvRmT3_T4_T5_T6_T7_T9_mT8_P12ihipStream_tbDpT10_ENKUlT_T0_E_clISt17integral_constantIbLb0EES1J_EEDaS1E_S1F_EUlS1E_E_NS1_11comp_targetILNS1_3genE4ELNS1_11target_archE910ELNS1_3gpuE8ELNS1_3repE0EEENS1_30default_config_static_selectorELNS0_4arch9wavefront6targetE1EEEvT1_
		.amdhsa_group_segment_fixed_size 0
		.amdhsa_private_segment_fixed_size 0
		.amdhsa_kernarg_size 136
		.amdhsa_user_sgpr_count 2
		.amdhsa_user_sgpr_dispatch_ptr 0
		.amdhsa_user_sgpr_queue_ptr 0
		.amdhsa_user_sgpr_kernarg_segment_ptr 1
		.amdhsa_user_sgpr_dispatch_id 0
		.amdhsa_user_sgpr_kernarg_preload_length 0
		.amdhsa_user_sgpr_kernarg_preload_offset 0
		.amdhsa_user_sgpr_private_segment_size 0
		.amdhsa_uses_dynamic_stack 0
		.amdhsa_enable_private_segment 0
		.amdhsa_system_sgpr_workgroup_id_x 1
		.amdhsa_system_sgpr_workgroup_id_y 0
		.amdhsa_system_sgpr_workgroup_id_z 0
		.amdhsa_system_sgpr_workgroup_info 0
		.amdhsa_system_vgpr_workitem_id 0
		.amdhsa_next_free_vgpr 1
		.amdhsa_next_free_sgpr 0
		.amdhsa_accum_offset 4
		.amdhsa_reserve_vcc 0
		.amdhsa_float_round_mode_32 0
		.amdhsa_float_round_mode_16_64 0
		.amdhsa_float_denorm_mode_32 3
		.amdhsa_float_denorm_mode_16_64 3
		.amdhsa_dx10_clamp 1
		.amdhsa_ieee_mode 1
		.amdhsa_fp16_overflow 0
		.amdhsa_tg_split 0
		.amdhsa_exception_fp_ieee_invalid_op 0
		.amdhsa_exception_fp_denorm_src 0
		.amdhsa_exception_fp_ieee_div_zero 0
		.amdhsa_exception_fp_ieee_overflow 0
		.amdhsa_exception_fp_ieee_underflow 0
		.amdhsa_exception_fp_ieee_inexact 0
		.amdhsa_exception_int_div_zero 0
	.end_amdhsa_kernel
	.section	.text._ZN7rocprim17ROCPRIM_400000_NS6detail17trampoline_kernelINS0_14default_configENS1_25partition_config_selectorILNS1_17partition_subalgoE2ExNS0_10empty_typeEbEEZZNS1_14partition_implILS5_2ELb0ES3_jN6thrust23THRUST_200600_302600_NS6detail15normal_iteratorINSA_7pointerIxNSA_11hip_rocprim3tagENSA_11use_defaultESG_EEEEPS6_NSA_18transform_iteratorI10is_orderedNSA_12zip_iteratorINSA_5tupleINSC_INSA_10device_ptrIxEEEESQ_NSA_9null_typeESR_SR_SR_SR_SR_SR_SR_EEEESG_SG_EENS0_5tupleIJPxSJ_EEENSV_IJSJ_SJ_EEES6_PlJS6_EEE10hipError_tPvRmT3_T4_T5_T6_T7_T9_mT8_P12ihipStream_tbDpT10_ENKUlT_T0_E_clISt17integral_constantIbLb0EES1J_EEDaS1E_S1F_EUlS1E_E_NS1_11comp_targetILNS1_3genE4ELNS1_11target_archE910ELNS1_3gpuE8ELNS1_3repE0EEENS1_30default_config_static_selectorELNS0_4arch9wavefront6targetE1EEEvT1_,"axG",@progbits,_ZN7rocprim17ROCPRIM_400000_NS6detail17trampoline_kernelINS0_14default_configENS1_25partition_config_selectorILNS1_17partition_subalgoE2ExNS0_10empty_typeEbEEZZNS1_14partition_implILS5_2ELb0ES3_jN6thrust23THRUST_200600_302600_NS6detail15normal_iteratorINSA_7pointerIxNSA_11hip_rocprim3tagENSA_11use_defaultESG_EEEEPS6_NSA_18transform_iteratorI10is_orderedNSA_12zip_iteratorINSA_5tupleINSC_INSA_10device_ptrIxEEEESQ_NSA_9null_typeESR_SR_SR_SR_SR_SR_SR_EEEESG_SG_EENS0_5tupleIJPxSJ_EEENSV_IJSJ_SJ_EEES6_PlJS6_EEE10hipError_tPvRmT3_T4_T5_T6_T7_T9_mT8_P12ihipStream_tbDpT10_ENKUlT_T0_E_clISt17integral_constantIbLb0EES1J_EEDaS1E_S1F_EUlS1E_E_NS1_11comp_targetILNS1_3genE4ELNS1_11target_archE910ELNS1_3gpuE8ELNS1_3repE0EEENS1_30default_config_static_selectorELNS0_4arch9wavefront6targetE1EEEvT1_,comdat
.Lfunc_end3564:
	.size	_ZN7rocprim17ROCPRIM_400000_NS6detail17trampoline_kernelINS0_14default_configENS1_25partition_config_selectorILNS1_17partition_subalgoE2ExNS0_10empty_typeEbEEZZNS1_14partition_implILS5_2ELb0ES3_jN6thrust23THRUST_200600_302600_NS6detail15normal_iteratorINSA_7pointerIxNSA_11hip_rocprim3tagENSA_11use_defaultESG_EEEEPS6_NSA_18transform_iteratorI10is_orderedNSA_12zip_iteratorINSA_5tupleINSC_INSA_10device_ptrIxEEEESQ_NSA_9null_typeESR_SR_SR_SR_SR_SR_SR_EEEESG_SG_EENS0_5tupleIJPxSJ_EEENSV_IJSJ_SJ_EEES6_PlJS6_EEE10hipError_tPvRmT3_T4_T5_T6_T7_T9_mT8_P12ihipStream_tbDpT10_ENKUlT_T0_E_clISt17integral_constantIbLb0EES1J_EEDaS1E_S1F_EUlS1E_E_NS1_11comp_targetILNS1_3genE4ELNS1_11target_archE910ELNS1_3gpuE8ELNS1_3repE0EEENS1_30default_config_static_selectorELNS0_4arch9wavefront6targetE1EEEvT1_, .Lfunc_end3564-_ZN7rocprim17ROCPRIM_400000_NS6detail17trampoline_kernelINS0_14default_configENS1_25partition_config_selectorILNS1_17partition_subalgoE2ExNS0_10empty_typeEbEEZZNS1_14partition_implILS5_2ELb0ES3_jN6thrust23THRUST_200600_302600_NS6detail15normal_iteratorINSA_7pointerIxNSA_11hip_rocprim3tagENSA_11use_defaultESG_EEEEPS6_NSA_18transform_iteratorI10is_orderedNSA_12zip_iteratorINSA_5tupleINSC_INSA_10device_ptrIxEEEESQ_NSA_9null_typeESR_SR_SR_SR_SR_SR_SR_EEEESG_SG_EENS0_5tupleIJPxSJ_EEENSV_IJSJ_SJ_EEES6_PlJS6_EEE10hipError_tPvRmT3_T4_T5_T6_T7_T9_mT8_P12ihipStream_tbDpT10_ENKUlT_T0_E_clISt17integral_constantIbLb0EES1J_EEDaS1E_S1F_EUlS1E_E_NS1_11comp_targetILNS1_3genE4ELNS1_11target_archE910ELNS1_3gpuE8ELNS1_3repE0EEENS1_30default_config_static_selectorELNS0_4arch9wavefront6targetE1EEEvT1_
                                        ; -- End function
	.section	.AMDGPU.csdata,"",@progbits
; Kernel info:
; codeLenInByte = 0
; NumSgprs: 6
; NumVgprs: 0
; NumAgprs: 0
; TotalNumVgprs: 0
; ScratchSize: 0
; MemoryBound: 0
; FloatMode: 240
; IeeeMode: 1
; LDSByteSize: 0 bytes/workgroup (compile time only)
; SGPRBlocks: 0
; VGPRBlocks: 0
; NumSGPRsForWavesPerEU: 6
; NumVGPRsForWavesPerEU: 1
; AccumOffset: 4
; Occupancy: 8
; WaveLimiterHint : 0
; COMPUTE_PGM_RSRC2:SCRATCH_EN: 0
; COMPUTE_PGM_RSRC2:USER_SGPR: 2
; COMPUTE_PGM_RSRC2:TRAP_HANDLER: 0
; COMPUTE_PGM_RSRC2:TGID_X_EN: 1
; COMPUTE_PGM_RSRC2:TGID_Y_EN: 0
; COMPUTE_PGM_RSRC2:TGID_Z_EN: 0
; COMPUTE_PGM_RSRC2:TIDIG_COMP_CNT: 0
; COMPUTE_PGM_RSRC3_GFX90A:ACCUM_OFFSET: 0
; COMPUTE_PGM_RSRC3_GFX90A:TG_SPLIT: 0
	.section	.text._ZN7rocprim17ROCPRIM_400000_NS6detail17trampoline_kernelINS0_14default_configENS1_25partition_config_selectorILNS1_17partition_subalgoE2ExNS0_10empty_typeEbEEZZNS1_14partition_implILS5_2ELb0ES3_jN6thrust23THRUST_200600_302600_NS6detail15normal_iteratorINSA_7pointerIxNSA_11hip_rocprim3tagENSA_11use_defaultESG_EEEEPS6_NSA_18transform_iteratorI10is_orderedNSA_12zip_iteratorINSA_5tupleINSC_INSA_10device_ptrIxEEEESQ_NSA_9null_typeESR_SR_SR_SR_SR_SR_SR_EEEESG_SG_EENS0_5tupleIJPxSJ_EEENSV_IJSJ_SJ_EEES6_PlJS6_EEE10hipError_tPvRmT3_T4_T5_T6_T7_T9_mT8_P12ihipStream_tbDpT10_ENKUlT_T0_E_clISt17integral_constantIbLb0EES1J_EEDaS1E_S1F_EUlS1E_E_NS1_11comp_targetILNS1_3genE3ELNS1_11target_archE908ELNS1_3gpuE7ELNS1_3repE0EEENS1_30default_config_static_selectorELNS0_4arch9wavefront6targetE1EEEvT1_,"axG",@progbits,_ZN7rocprim17ROCPRIM_400000_NS6detail17trampoline_kernelINS0_14default_configENS1_25partition_config_selectorILNS1_17partition_subalgoE2ExNS0_10empty_typeEbEEZZNS1_14partition_implILS5_2ELb0ES3_jN6thrust23THRUST_200600_302600_NS6detail15normal_iteratorINSA_7pointerIxNSA_11hip_rocprim3tagENSA_11use_defaultESG_EEEEPS6_NSA_18transform_iteratorI10is_orderedNSA_12zip_iteratorINSA_5tupleINSC_INSA_10device_ptrIxEEEESQ_NSA_9null_typeESR_SR_SR_SR_SR_SR_SR_EEEESG_SG_EENS0_5tupleIJPxSJ_EEENSV_IJSJ_SJ_EEES6_PlJS6_EEE10hipError_tPvRmT3_T4_T5_T6_T7_T9_mT8_P12ihipStream_tbDpT10_ENKUlT_T0_E_clISt17integral_constantIbLb0EES1J_EEDaS1E_S1F_EUlS1E_E_NS1_11comp_targetILNS1_3genE3ELNS1_11target_archE908ELNS1_3gpuE7ELNS1_3repE0EEENS1_30default_config_static_selectorELNS0_4arch9wavefront6targetE1EEEvT1_,comdat
	.protected	_ZN7rocprim17ROCPRIM_400000_NS6detail17trampoline_kernelINS0_14default_configENS1_25partition_config_selectorILNS1_17partition_subalgoE2ExNS0_10empty_typeEbEEZZNS1_14partition_implILS5_2ELb0ES3_jN6thrust23THRUST_200600_302600_NS6detail15normal_iteratorINSA_7pointerIxNSA_11hip_rocprim3tagENSA_11use_defaultESG_EEEEPS6_NSA_18transform_iteratorI10is_orderedNSA_12zip_iteratorINSA_5tupleINSC_INSA_10device_ptrIxEEEESQ_NSA_9null_typeESR_SR_SR_SR_SR_SR_SR_EEEESG_SG_EENS0_5tupleIJPxSJ_EEENSV_IJSJ_SJ_EEES6_PlJS6_EEE10hipError_tPvRmT3_T4_T5_T6_T7_T9_mT8_P12ihipStream_tbDpT10_ENKUlT_T0_E_clISt17integral_constantIbLb0EES1J_EEDaS1E_S1F_EUlS1E_E_NS1_11comp_targetILNS1_3genE3ELNS1_11target_archE908ELNS1_3gpuE7ELNS1_3repE0EEENS1_30default_config_static_selectorELNS0_4arch9wavefront6targetE1EEEvT1_ ; -- Begin function _ZN7rocprim17ROCPRIM_400000_NS6detail17trampoline_kernelINS0_14default_configENS1_25partition_config_selectorILNS1_17partition_subalgoE2ExNS0_10empty_typeEbEEZZNS1_14partition_implILS5_2ELb0ES3_jN6thrust23THRUST_200600_302600_NS6detail15normal_iteratorINSA_7pointerIxNSA_11hip_rocprim3tagENSA_11use_defaultESG_EEEEPS6_NSA_18transform_iteratorI10is_orderedNSA_12zip_iteratorINSA_5tupleINSC_INSA_10device_ptrIxEEEESQ_NSA_9null_typeESR_SR_SR_SR_SR_SR_SR_EEEESG_SG_EENS0_5tupleIJPxSJ_EEENSV_IJSJ_SJ_EEES6_PlJS6_EEE10hipError_tPvRmT3_T4_T5_T6_T7_T9_mT8_P12ihipStream_tbDpT10_ENKUlT_T0_E_clISt17integral_constantIbLb0EES1J_EEDaS1E_S1F_EUlS1E_E_NS1_11comp_targetILNS1_3genE3ELNS1_11target_archE908ELNS1_3gpuE7ELNS1_3repE0EEENS1_30default_config_static_selectorELNS0_4arch9wavefront6targetE1EEEvT1_
	.globl	_ZN7rocprim17ROCPRIM_400000_NS6detail17trampoline_kernelINS0_14default_configENS1_25partition_config_selectorILNS1_17partition_subalgoE2ExNS0_10empty_typeEbEEZZNS1_14partition_implILS5_2ELb0ES3_jN6thrust23THRUST_200600_302600_NS6detail15normal_iteratorINSA_7pointerIxNSA_11hip_rocprim3tagENSA_11use_defaultESG_EEEEPS6_NSA_18transform_iteratorI10is_orderedNSA_12zip_iteratorINSA_5tupleINSC_INSA_10device_ptrIxEEEESQ_NSA_9null_typeESR_SR_SR_SR_SR_SR_SR_EEEESG_SG_EENS0_5tupleIJPxSJ_EEENSV_IJSJ_SJ_EEES6_PlJS6_EEE10hipError_tPvRmT3_T4_T5_T6_T7_T9_mT8_P12ihipStream_tbDpT10_ENKUlT_T0_E_clISt17integral_constantIbLb0EES1J_EEDaS1E_S1F_EUlS1E_E_NS1_11comp_targetILNS1_3genE3ELNS1_11target_archE908ELNS1_3gpuE7ELNS1_3repE0EEENS1_30default_config_static_selectorELNS0_4arch9wavefront6targetE1EEEvT1_
	.p2align	8
	.type	_ZN7rocprim17ROCPRIM_400000_NS6detail17trampoline_kernelINS0_14default_configENS1_25partition_config_selectorILNS1_17partition_subalgoE2ExNS0_10empty_typeEbEEZZNS1_14partition_implILS5_2ELb0ES3_jN6thrust23THRUST_200600_302600_NS6detail15normal_iteratorINSA_7pointerIxNSA_11hip_rocprim3tagENSA_11use_defaultESG_EEEEPS6_NSA_18transform_iteratorI10is_orderedNSA_12zip_iteratorINSA_5tupleINSC_INSA_10device_ptrIxEEEESQ_NSA_9null_typeESR_SR_SR_SR_SR_SR_SR_EEEESG_SG_EENS0_5tupleIJPxSJ_EEENSV_IJSJ_SJ_EEES6_PlJS6_EEE10hipError_tPvRmT3_T4_T5_T6_T7_T9_mT8_P12ihipStream_tbDpT10_ENKUlT_T0_E_clISt17integral_constantIbLb0EES1J_EEDaS1E_S1F_EUlS1E_E_NS1_11comp_targetILNS1_3genE3ELNS1_11target_archE908ELNS1_3gpuE7ELNS1_3repE0EEENS1_30default_config_static_selectorELNS0_4arch9wavefront6targetE1EEEvT1_,@function
_ZN7rocprim17ROCPRIM_400000_NS6detail17trampoline_kernelINS0_14default_configENS1_25partition_config_selectorILNS1_17partition_subalgoE2ExNS0_10empty_typeEbEEZZNS1_14partition_implILS5_2ELb0ES3_jN6thrust23THRUST_200600_302600_NS6detail15normal_iteratorINSA_7pointerIxNSA_11hip_rocprim3tagENSA_11use_defaultESG_EEEEPS6_NSA_18transform_iteratorI10is_orderedNSA_12zip_iteratorINSA_5tupleINSC_INSA_10device_ptrIxEEEESQ_NSA_9null_typeESR_SR_SR_SR_SR_SR_SR_EEEESG_SG_EENS0_5tupleIJPxSJ_EEENSV_IJSJ_SJ_EEES6_PlJS6_EEE10hipError_tPvRmT3_T4_T5_T6_T7_T9_mT8_P12ihipStream_tbDpT10_ENKUlT_T0_E_clISt17integral_constantIbLb0EES1J_EEDaS1E_S1F_EUlS1E_E_NS1_11comp_targetILNS1_3genE3ELNS1_11target_archE908ELNS1_3gpuE7ELNS1_3repE0EEENS1_30default_config_static_selectorELNS0_4arch9wavefront6targetE1EEEvT1_: ; @_ZN7rocprim17ROCPRIM_400000_NS6detail17trampoline_kernelINS0_14default_configENS1_25partition_config_selectorILNS1_17partition_subalgoE2ExNS0_10empty_typeEbEEZZNS1_14partition_implILS5_2ELb0ES3_jN6thrust23THRUST_200600_302600_NS6detail15normal_iteratorINSA_7pointerIxNSA_11hip_rocprim3tagENSA_11use_defaultESG_EEEEPS6_NSA_18transform_iteratorI10is_orderedNSA_12zip_iteratorINSA_5tupleINSC_INSA_10device_ptrIxEEEESQ_NSA_9null_typeESR_SR_SR_SR_SR_SR_SR_EEEESG_SG_EENS0_5tupleIJPxSJ_EEENSV_IJSJ_SJ_EEES6_PlJS6_EEE10hipError_tPvRmT3_T4_T5_T6_T7_T9_mT8_P12ihipStream_tbDpT10_ENKUlT_T0_E_clISt17integral_constantIbLb0EES1J_EEDaS1E_S1F_EUlS1E_E_NS1_11comp_targetILNS1_3genE3ELNS1_11target_archE908ELNS1_3gpuE7ELNS1_3repE0EEENS1_30default_config_static_selectorELNS0_4arch9wavefront6targetE1EEEvT1_
; %bb.0:
	.section	.rodata,"a",@progbits
	.p2align	6, 0x0
	.amdhsa_kernel _ZN7rocprim17ROCPRIM_400000_NS6detail17trampoline_kernelINS0_14default_configENS1_25partition_config_selectorILNS1_17partition_subalgoE2ExNS0_10empty_typeEbEEZZNS1_14partition_implILS5_2ELb0ES3_jN6thrust23THRUST_200600_302600_NS6detail15normal_iteratorINSA_7pointerIxNSA_11hip_rocprim3tagENSA_11use_defaultESG_EEEEPS6_NSA_18transform_iteratorI10is_orderedNSA_12zip_iteratorINSA_5tupleINSC_INSA_10device_ptrIxEEEESQ_NSA_9null_typeESR_SR_SR_SR_SR_SR_SR_EEEESG_SG_EENS0_5tupleIJPxSJ_EEENSV_IJSJ_SJ_EEES6_PlJS6_EEE10hipError_tPvRmT3_T4_T5_T6_T7_T9_mT8_P12ihipStream_tbDpT10_ENKUlT_T0_E_clISt17integral_constantIbLb0EES1J_EEDaS1E_S1F_EUlS1E_E_NS1_11comp_targetILNS1_3genE3ELNS1_11target_archE908ELNS1_3gpuE7ELNS1_3repE0EEENS1_30default_config_static_selectorELNS0_4arch9wavefront6targetE1EEEvT1_
		.amdhsa_group_segment_fixed_size 0
		.amdhsa_private_segment_fixed_size 0
		.amdhsa_kernarg_size 136
		.amdhsa_user_sgpr_count 2
		.amdhsa_user_sgpr_dispatch_ptr 0
		.amdhsa_user_sgpr_queue_ptr 0
		.amdhsa_user_sgpr_kernarg_segment_ptr 1
		.amdhsa_user_sgpr_dispatch_id 0
		.amdhsa_user_sgpr_kernarg_preload_length 0
		.amdhsa_user_sgpr_kernarg_preload_offset 0
		.amdhsa_user_sgpr_private_segment_size 0
		.amdhsa_uses_dynamic_stack 0
		.amdhsa_enable_private_segment 0
		.amdhsa_system_sgpr_workgroup_id_x 1
		.amdhsa_system_sgpr_workgroup_id_y 0
		.amdhsa_system_sgpr_workgroup_id_z 0
		.amdhsa_system_sgpr_workgroup_info 0
		.amdhsa_system_vgpr_workitem_id 0
		.amdhsa_next_free_vgpr 1
		.amdhsa_next_free_sgpr 0
		.amdhsa_accum_offset 4
		.amdhsa_reserve_vcc 0
		.amdhsa_float_round_mode_32 0
		.amdhsa_float_round_mode_16_64 0
		.amdhsa_float_denorm_mode_32 3
		.amdhsa_float_denorm_mode_16_64 3
		.amdhsa_dx10_clamp 1
		.amdhsa_ieee_mode 1
		.amdhsa_fp16_overflow 0
		.amdhsa_tg_split 0
		.amdhsa_exception_fp_ieee_invalid_op 0
		.amdhsa_exception_fp_denorm_src 0
		.amdhsa_exception_fp_ieee_div_zero 0
		.amdhsa_exception_fp_ieee_overflow 0
		.amdhsa_exception_fp_ieee_underflow 0
		.amdhsa_exception_fp_ieee_inexact 0
		.amdhsa_exception_int_div_zero 0
	.end_amdhsa_kernel
	.section	.text._ZN7rocprim17ROCPRIM_400000_NS6detail17trampoline_kernelINS0_14default_configENS1_25partition_config_selectorILNS1_17partition_subalgoE2ExNS0_10empty_typeEbEEZZNS1_14partition_implILS5_2ELb0ES3_jN6thrust23THRUST_200600_302600_NS6detail15normal_iteratorINSA_7pointerIxNSA_11hip_rocprim3tagENSA_11use_defaultESG_EEEEPS6_NSA_18transform_iteratorI10is_orderedNSA_12zip_iteratorINSA_5tupleINSC_INSA_10device_ptrIxEEEESQ_NSA_9null_typeESR_SR_SR_SR_SR_SR_SR_EEEESG_SG_EENS0_5tupleIJPxSJ_EEENSV_IJSJ_SJ_EEES6_PlJS6_EEE10hipError_tPvRmT3_T4_T5_T6_T7_T9_mT8_P12ihipStream_tbDpT10_ENKUlT_T0_E_clISt17integral_constantIbLb0EES1J_EEDaS1E_S1F_EUlS1E_E_NS1_11comp_targetILNS1_3genE3ELNS1_11target_archE908ELNS1_3gpuE7ELNS1_3repE0EEENS1_30default_config_static_selectorELNS0_4arch9wavefront6targetE1EEEvT1_,"axG",@progbits,_ZN7rocprim17ROCPRIM_400000_NS6detail17trampoline_kernelINS0_14default_configENS1_25partition_config_selectorILNS1_17partition_subalgoE2ExNS0_10empty_typeEbEEZZNS1_14partition_implILS5_2ELb0ES3_jN6thrust23THRUST_200600_302600_NS6detail15normal_iteratorINSA_7pointerIxNSA_11hip_rocprim3tagENSA_11use_defaultESG_EEEEPS6_NSA_18transform_iteratorI10is_orderedNSA_12zip_iteratorINSA_5tupleINSC_INSA_10device_ptrIxEEEESQ_NSA_9null_typeESR_SR_SR_SR_SR_SR_SR_EEEESG_SG_EENS0_5tupleIJPxSJ_EEENSV_IJSJ_SJ_EEES6_PlJS6_EEE10hipError_tPvRmT3_T4_T5_T6_T7_T9_mT8_P12ihipStream_tbDpT10_ENKUlT_T0_E_clISt17integral_constantIbLb0EES1J_EEDaS1E_S1F_EUlS1E_E_NS1_11comp_targetILNS1_3genE3ELNS1_11target_archE908ELNS1_3gpuE7ELNS1_3repE0EEENS1_30default_config_static_selectorELNS0_4arch9wavefront6targetE1EEEvT1_,comdat
.Lfunc_end3565:
	.size	_ZN7rocprim17ROCPRIM_400000_NS6detail17trampoline_kernelINS0_14default_configENS1_25partition_config_selectorILNS1_17partition_subalgoE2ExNS0_10empty_typeEbEEZZNS1_14partition_implILS5_2ELb0ES3_jN6thrust23THRUST_200600_302600_NS6detail15normal_iteratorINSA_7pointerIxNSA_11hip_rocprim3tagENSA_11use_defaultESG_EEEEPS6_NSA_18transform_iteratorI10is_orderedNSA_12zip_iteratorINSA_5tupleINSC_INSA_10device_ptrIxEEEESQ_NSA_9null_typeESR_SR_SR_SR_SR_SR_SR_EEEESG_SG_EENS0_5tupleIJPxSJ_EEENSV_IJSJ_SJ_EEES6_PlJS6_EEE10hipError_tPvRmT3_T4_T5_T6_T7_T9_mT8_P12ihipStream_tbDpT10_ENKUlT_T0_E_clISt17integral_constantIbLb0EES1J_EEDaS1E_S1F_EUlS1E_E_NS1_11comp_targetILNS1_3genE3ELNS1_11target_archE908ELNS1_3gpuE7ELNS1_3repE0EEENS1_30default_config_static_selectorELNS0_4arch9wavefront6targetE1EEEvT1_, .Lfunc_end3565-_ZN7rocprim17ROCPRIM_400000_NS6detail17trampoline_kernelINS0_14default_configENS1_25partition_config_selectorILNS1_17partition_subalgoE2ExNS0_10empty_typeEbEEZZNS1_14partition_implILS5_2ELb0ES3_jN6thrust23THRUST_200600_302600_NS6detail15normal_iteratorINSA_7pointerIxNSA_11hip_rocprim3tagENSA_11use_defaultESG_EEEEPS6_NSA_18transform_iteratorI10is_orderedNSA_12zip_iteratorINSA_5tupleINSC_INSA_10device_ptrIxEEEESQ_NSA_9null_typeESR_SR_SR_SR_SR_SR_SR_EEEESG_SG_EENS0_5tupleIJPxSJ_EEENSV_IJSJ_SJ_EEES6_PlJS6_EEE10hipError_tPvRmT3_T4_T5_T6_T7_T9_mT8_P12ihipStream_tbDpT10_ENKUlT_T0_E_clISt17integral_constantIbLb0EES1J_EEDaS1E_S1F_EUlS1E_E_NS1_11comp_targetILNS1_3genE3ELNS1_11target_archE908ELNS1_3gpuE7ELNS1_3repE0EEENS1_30default_config_static_selectorELNS0_4arch9wavefront6targetE1EEEvT1_
                                        ; -- End function
	.section	.AMDGPU.csdata,"",@progbits
; Kernel info:
; codeLenInByte = 0
; NumSgprs: 6
; NumVgprs: 0
; NumAgprs: 0
; TotalNumVgprs: 0
; ScratchSize: 0
; MemoryBound: 0
; FloatMode: 240
; IeeeMode: 1
; LDSByteSize: 0 bytes/workgroup (compile time only)
; SGPRBlocks: 0
; VGPRBlocks: 0
; NumSGPRsForWavesPerEU: 6
; NumVGPRsForWavesPerEU: 1
; AccumOffset: 4
; Occupancy: 8
; WaveLimiterHint : 0
; COMPUTE_PGM_RSRC2:SCRATCH_EN: 0
; COMPUTE_PGM_RSRC2:USER_SGPR: 2
; COMPUTE_PGM_RSRC2:TRAP_HANDLER: 0
; COMPUTE_PGM_RSRC2:TGID_X_EN: 1
; COMPUTE_PGM_RSRC2:TGID_Y_EN: 0
; COMPUTE_PGM_RSRC2:TGID_Z_EN: 0
; COMPUTE_PGM_RSRC2:TIDIG_COMP_CNT: 0
; COMPUTE_PGM_RSRC3_GFX90A:ACCUM_OFFSET: 0
; COMPUTE_PGM_RSRC3_GFX90A:TG_SPLIT: 0
	.section	.text._ZN7rocprim17ROCPRIM_400000_NS6detail17trampoline_kernelINS0_14default_configENS1_25partition_config_selectorILNS1_17partition_subalgoE2ExNS0_10empty_typeEbEEZZNS1_14partition_implILS5_2ELb0ES3_jN6thrust23THRUST_200600_302600_NS6detail15normal_iteratorINSA_7pointerIxNSA_11hip_rocprim3tagENSA_11use_defaultESG_EEEEPS6_NSA_18transform_iteratorI10is_orderedNSA_12zip_iteratorINSA_5tupleINSC_INSA_10device_ptrIxEEEESQ_NSA_9null_typeESR_SR_SR_SR_SR_SR_SR_EEEESG_SG_EENS0_5tupleIJPxSJ_EEENSV_IJSJ_SJ_EEES6_PlJS6_EEE10hipError_tPvRmT3_T4_T5_T6_T7_T9_mT8_P12ihipStream_tbDpT10_ENKUlT_T0_E_clISt17integral_constantIbLb0EES1J_EEDaS1E_S1F_EUlS1E_E_NS1_11comp_targetILNS1_3genE2ELNS1_11target_archE906ELNS1_3gpuE6ELNS1_3repE0EEENS1_30default_config_static_selectorELNS0_4arch9wavefront6targetE1EEEvT1_,"axG",@progbits,_ZN7rocprim17ROCPRIM_400000_NS6detail17trampoline_kernelINS0_14default_configENS1_25partition_config_selectorILNS1_17partition_subalgoE2ExNS0_10empty_typeEbEEZZNS1_14partition_implILS5_2ELb0ES3_jN6thrust23THRUST_200600_302600_NS6detail15normal_iteratorINSA_7pointerIxNSA_11hip_rocprim3tagENSA_11use_defaultESG_EEEEPS6_NSA_18transform_iteratorI10is_orderedNSA_12zip_iteratorINSA_5tupleINSC_INSA_10device_ptrIxEEEESQ_NSA_9null_typeESR_SR_SR_SR_SR_SR_SR_EEEESG_SG_EENS0_5tupleIJPxSJ_EEENSV_IJSJ_SJ_EEES6_PlJS6_EEE10hipError_tPvRmT3_T4_T5_T6_T7_T9_mT8_P12ihipStream_tbDpT10_ENKUlT_T0_E_clISt17integral_constantIbLb0EES1J_EEDaS1E_S1F_EUlS1E_E_NS1_11comp_targetILNS1_3genE2ELNS1_11target_archE906ELNS1_3gpuE6ELNS1_3repE0EEENS1_30default_config_static_selectorELNS0_4arch9wavefront6targetE1EEEvT1_,comdat
	.protected	_ZN7rocprim17ROCPRIM_400000_NS6detail17trampoline_kernelINS0_14default_configENS1_25partition_config_selectorILNS1_17partition_subalgoE2ExNS0_10empty_typeEbEEZZNS1_14partition_implILS5_2ELb0ES3_jN6thrust23THRUST_200600_302600_NS6detail15normal_iteratorINSA_7pointerIxNSA_11hip_rocprim3tagENSA_11use_defaultESG_EEEEPS6_NSA_18transform_iteratorI10is_orderedNSA_12zip_iteratorINSA_5tupleINSC_INSA_10device_ptrIxEEEESQ_NSA_9null_typeESR_SR_SR_SR_SR_SR_SR_EEEESG_SG_EENS0_5tupleIJPxSJ_EEENSV_IJSJ_SJ_EEES6_PlJS6_EEE10hipError_tPvRmT3_T4_T5_T6_T7_T9_mT8_P12ihipStream_tbDpT10_ENKUlT_T0_E_clISt17integral_constantIbLb0EES1J_EEDaS1E_S1F_EUlS1E_E_NS1_11comp_targetILNS1_3genE2ELNS1_11target_archE906ELNS1_3gpuE6ELNS1_3repE0EEENS1_30default_config_static_selectorELNS0_4arch9wavefront6targetE1EEEvT1_ ; -- Begin function _ZN7rocprim17ROCPRIM_400000_NS6detail17trampoline_kernelINS0_14default_configENS1_25partition_config_selectorILNS1_17partition_subalgoE2ExNS0_10empty_typeEbEEZZNS1_14partition_implILS5_2ELb0ES3_jN6thrust23THRUST_200600_302600_NS6detail15normal_iteratorINSA_7pointerIxNSA_11hip_rocprim3tagENSA_11use_defaultESG_EEEEPS6_NSA_18transform_iteratorI10is_orderedNSA_12zip_iteratorINSA_5tupleINSC_INSA_10device_ptrIxEEEESQ_NSA_9null_typeESR_SR_SR_SR_SR_SR_SR_EEEESG_SG_EENS0_5tupleIJPxSJ_EEENSV_IJSJ_SJ_EEES6_PlJS6_EEE10hipError_tPvRmT3_T4_T5_T6_T7_T9_mT8_P12ihipStream_tbDpT10_ENKUlT_T0_E_clISt17integral_constantIbLb0EES1J_EEDaS1E_S1F_EUlS1E_E_NS1_11comp_targetILNS1_3genE2ELNS1_11target_archE906ELNS1_3gpuE6ELNS1_3repE0EEENS1_30default_config_static_selectorELNS0_4arch9wavefront6targetE1EEEvT1_
	.globl	_ZN7rocprim17ROCPRIM_400000_NS6detail17trampoline_kernelINS0_14default_configENS1_25partition_config_selectorILNS1_17partition_subalgoE2ExNS0_10empty_typeEbEEZZNS1_14partition_implILS5_2ELb0ES3_jN6thrust23THRUST_200600_302600_NS6detail15normal_iteratorINSA_7pointerIxNSA_11hip_rocprim3tagENSA_11use_defaultESG_EEEEPS6_NSA_18transform_iteratorI10is_orderedNSA_12zip_iteratorINSA_5tupleINSC_INSA_10device_ptrIxEEEESQ_NSA_9null_typeESR_SR_SR_SR_SR_SR_SR_EEEESG_SG_EENS0_5tupleIJPxSJ_EEENSV_IJSJ_SJ_EEES6_PlJS6_EEE10hipError_tPvRmT3_T4_T5_T6_T7_T9_mT8_P12ihipStream_tbDpT10_ENKUlT_T0_E_clISt17integral_constantIbLb0EES1J_EEDaS1E_S1F_EUlS1E_E_NS1_11comp_targetILNS1_3genE2ELNS1_11target_archE906ELNS1_3gpuE6ELNS1_3repE0EEENS1_30default_config_static_selectorELNS0_4arch9wavefront6targetE1EEEvT1_
	.p2align	8
	.type	_ZN7rocprim17ROCPRIM_400000_NS6detail17trampoline_kernelINS0_14default_configENS1_25partition_config_selectorILNS1_17partition_subalgoE2ExNS0_10empty_typeEbEEZZNS1_14partition_implILS5_2ELb0ES3_jN6thrust23THRUST_200600_302600_NS6detail15normal_iteratorINSA_7pointerIxNSA_11hip_rocprim3tagENSA_11use_defaultESG_EEEEPS6_NSA_18transform_iteratorI10is_orderedNSA_12zip_iteratorINSA_5tupleINSC_INSA_10device_ptrIxEEEESQ_NSA_9null_typeESR_SR_SR_SR_SR_SR_SR_EEEESG_SG_EENS0_5tupleIJPxSJ_EEENSV_IJSJ_SJ_EEES6_PlJS6_EEE10hipError_tPvRmT3_T4_T5_T6_T7_T9_mT8_P12ihipStream_tbDpT10_ENKUlT_T0_E_clISt17integral_constantIbLb0EES1J_EEDaS1E_S1F_EUlS1E_E_NS1_11comp_targetILNS1_3genE2ELNS1_11target_archE906ELNS1_3gpuE6ELNS1_3repE0EEENS1_30default_config_static_selectorELNS0_4arch9wavefront6targetE1EEEvT1_,@function
_ZN7rocprim17ROCPRIM_400000_NS6detail17trampoline_kernelINS0_14default_configENS1_25partition_config_selectorILNS1_17partition_subalgoE2ExNS0_10empty_typeEbEEZZNS1_14partition_implILS5_2ELb0ES3_jN6thrust23THRUST_200600_302600_NS6detail15normal_iteratorINSA_7pointerIxNSA_11hip_rocprim3tagENSA_11use_defaultESG_EEEEPS6_NSA_18transform_iteratorI10is_orderedNSA_12zip_iteratorINSA_5tupleINSC_INSA_10device_ptrIxEEEESQ_NSA_9null_typeESR_SR_SR_SR_SR_SR_SR_EEEESG_SG_EENS0_5tupleIJPxSJ_EEENSV_IJSJ_SJ_EEES6_PlJS6_EEE10hipError_tPvRmT3_T4_T5_T6_T7_T9_mT8_P12ihipStream_tbDpT10_ENKUlT_T0_E_clISt17integral_constantIbLb0EES1J_EEDaS1E_S1F_EUlS1E_E_NS1_11comp_targetILNS1_3genE2ELNS1_11target_archE906ELNS1_3gpuE6ELNS1_3repE0EEENS1_30default_config_static_selectorELNS0_4arch9wavefront6targetE1EEEvT1_: ; @_ZN7rocprim17ROCPRIM_400000_NS6detail17trampoline_kernelINS0_14default_configENS1_25partition_config_selectorILNS1_17partition_subalgoE2ExNS0_10empty_typeEbEEZZNS1_14partition_implILS5_2ELb0ES3_jN6thrust23THRUST_200600_302600_NS6detail15normal_iteratorINSA_7pointerIxNSA_11hip_rocprim3tagENSA_11use_defaultESG_EEEEPS6_NSA_18transform_iteratorI10is_orderedNSA_12zip_iteratorINSA_5tupleINSC_INSA_10device_ptrIxEEEESQ_NSA_9null_typeESR_SR_SR_SR_SR_SR_SR_EEEESG_SG_EENS0_5tupleIJPxSJ_EEENSV_IJSJ_SJ_EEES6_PlJS6_EEE10hipError_tPvRmT3_T4_T5_T6_T7_T9_mT8_P12ihipStream_tbDpT10_ENKUlT_T0_E_clISt17integral_constantIbLb0EES1J_EEDaS1E_S1F_EUlS1E_E_NS1_11comp_targetILNS1_3genE2ELNS1_11target_archE906ELNS1_3gpuE6ELNS1_3repE0EEENS1_30default_config_static_selectorELNS0_4arch9wavefront6targetE1EEEvT1_
; %bb.0:
	.section	.rodata,"a",@progbits
	.p2align	6, 0x0
	.amdhsa_kernel _ZN7rocprim17ROCPRIM_400000_NS6detail17trampoline_kernelINS0_14default_configENS1_25partition_config_selectorILNS1_17partition_subalgoE2ExNS0_10empty_typeEbEEZZNS1_14partition_implILS5_2ELb0ES3_jN6thrust23THRUST_200600_302600_NS6detail15normal_iteratorINSA_7pointerIxNSA_11hip_rocprim3tagENSA_11use_defaultESG_EEEEPS6_NSA_18transform_iteratorI10is_orderedNSA_12zip_iteratorINSA_5tupleINSC_INSA_10device_ptrIxEEEESQ_NSA_9null_typeESR_SR_SR_SR_SR_SR_SR_EEEESG_SG_EENS0_5tupleIJPxSJ_EEENSV_IJSJ_SJ_EEES6_PlJS6_EEE10hipError_tPvRmT3_T4_T5_T6_T7_T9_mT8_P12ihipStream_tbDpT10_ENKUlT_T0_E_clISt17integral_constantIbLb0EES1J_EEDaS1E_S1F_EUlS1E_E_NS1_11comp_targetILNS1_3genE2ELNS1_11target_archE906ELNS1_3gpuE6ELNS1_3repE0EEENS1_30default_config_static_selectorELNS0_4arch9wavefront6targetE1EEEvT1_
		.amdhsa_group_segment_fixed_size 0
		.amdhsa_private_segment_fixed_size 0
		.amdhsa_kernarg_size 136
		.amdhsa_user_sgpr_count 2
		.amdhsa_user_sgpr_dispatch_ptr 0
		.amdhsa_user_sgpr_queue_ptr 0
		.amdhsa_user_sgpr_kernarg_segment_ptr 1
		.amdhsa_user_sgpr_dispatch_id 0
		.amdhsa_user_sgpr_kernarg_preload_length 0
		.amdhsa_user_sgpr_kernarg_preload_offset 0
		.amdhsa_user_sgpr_private_segment_size 0
		.amdhsa_uses_dynamic_stack 0
		.amdhsa_enable_private_segment 0
		.amdhsa_system_sgpr_workgroup_id_x 1
		.amdhsa_system_sgpr_workgroup_id_y 0
		.amdhsa_system_sgpr_workgroup_id_z 0
		.amdhsa_system_sgpr_workgroup_info 0
		.amdhsa_system_vgpr_workitem_id 0
		.amdhsa_next_free_vgpr 1
		.amdhsa_next_free_sgpr 0
		.amdhsa_accum_offset 4
		.amdhsa_reserve_vcc 0
		.amdhsa_float_round_mode_32 0
		.amdhsa_float_round_mode_16_64 0
		.amdhsa_float_denorm_mode_32 3
		.amdhsa_float_denorm_mode_16_64 3
		.amdhsa_dx10_clamp 1
		.amdhsa_ieee_mode 1
		.amdhsa_fp16_overflow 0
		.amdhsa_tg_split 0
		.amdhsa_exception_fp_ieee_invalid_op 0
		.amdhsa_exception_fp_denorm_src 0
		.amdhsa_exception_fp_ieee_div_zero 0
		.amdhsa_exception_fp_ieee_overflow 0
		.amdhsa_exception_fp_ieee_underflow 0
		.amdhsa_exception_fp_ieee_inexact 0
		.amdhsa_exception_int_div_zero 0
	.end_amdhsa_kernel
	.section	.text._ZN7rocprim17ROCPRIM_400000_NS6detail17trampoline_kernelINS0_14default_configENS1_25partition_config_selectorILNS1_17partition_subalgoE2ExNS0_10empty_typeEbEEZZNS1_14partition_implILS5_2ELb0ES3_jN6thrust23THRUST_200600_302600_NS6detail15normal_iteratorINSA_7pointerIxNSA_11hip_rocprim3tagENSA_11use_defaultESG_EEEEPS6_NSA_18transform_iteratorI10is_orderedNSA_12zip_iteratorINSA_5tupleINSC_INSA_10device_ptrIxEEEESQ_NSA_9null_typeESR_SR_SR_SR_SR_SR_SR_EEEESG_SG_EENS0_5tupleIJPxSJ_EEENSV_IJSJ_SJ_EEES6_PlJS6_EEE10hipError_tPvRmT3_T4_T5_T6_T7_T9_mT8_P12ihipStream_tbDpT10_ENKUlT_T0_E_clISt17integral_constantIbLb0EES1J_EEDaS1E_S1F_EUlS1E_E_NS1_11comp_targetILNS1_3genE2ELNS1_11target_archE906ELNS1_3gpuE6ELNS1_3repE0EEENS1_30default_config_static_selectorELNS0_4arch9wavefront6targetE1EEEvT1_,"axG",@progbits,_ZN7rocprim17ROCPRIM_400000_NS6detail17trampoline_kernelINS0_14default_configENS1_25partition_config_selectorILNS1_17partition_subalgoE2ExNS0_10empty_typeEbEEZZNS1_14partition_implILS5_2ELb0ES3_jN6thrust23THRUST_200600_302600_NS6detail15normal_iteratorINSA_7pointerIxNSA_11hip_rocprim3tagENSA_11use_defaultESG_EEEEPS6_NSA_18transform_iteratorI10is_orderedNSA_12zip_iteratorINSA_5tupleINSC_INSA_10device_ptrIxEEEESQ_NSA_9null_typeESR_SR_SR_SR_SR_SR_SR_EEEESG_SG_EENS0_5tupleIJPxSJ_EEENSV_IJSJ_SJ_EEES6_PlJS6_EEE10hipError_tPvRmT3_T4_T5_T6_T7_T9_mT8_P12ihipStream_tbDpT10_ENKUlT_T0_E_clISt17integral_constantIbLb0EES1J_EEDaS1E_S1F_EUlS1E_E_NS1_11comp_targetILNS1_3genE2ELNS1_11target_archE906ELNS1_3gpuE6ELNS1_3repE0EEENS1_30default_config_static_selectorELNS0_4arch9wavefront6targetE1EEEvT1_,comdat
.Lfunc_end3566:
	.size	_ZN7rocprim17ROCPRIM_400000_NS6detail17trampoline_kernelINS0_14default_configENS1_25partition_config_selectorILNS1_17partition_subalgoE2ExNS0_10empty_typeEbEEZZNS1_14partition_implILS5_2ELb0ES3_jN6thrust23THRUST_200600_302600_NS6detail15normal_iteratorINSA_7pointerIxNSA_11hip_rocprim3tagENSA_11use_defaultESG_EEEEPS6_NSA_18transform_iteratorI10is_orderedNSA_12zip_iteratorINSA_5tupleINSC_INSA_10device_ptrIxEEEESQ_NSA_9null_typeESR_SR_SR_SR_SR_SR_SR_EEEESG_SG_EENS0_5tupleIJPxSJ_EEENSV_IJSJ_SJ_EEES6_PlJS6_EEE10hipError_tPvRmT3_T4_T5_T6_T7_T9_mT8_P12ihipStream_tbDpT10_ENKUlT_T0_E_clISt17integral_constantIbLb0EES1J_EEDaS1E_S1F_EUlS1E_E_NS1_11comp_targetILNS1_3genE2ELNS1_11target_archE906ELNS1_3gpuE6ELNS1_3repE0EEENS1_30default_config_static_selectorELNS0_4arch9wavefront6targetE1EEEvT1_, .Lfunc_end3566-_ZN7rocprim17ROCPRIM_400000_NS6detail17trampoline_kernelINS0_14default_configENS1_25partition_config_selectorILNS1_17partition_subalgoE2ExNS0_10empty_typeEbEEZZNS1_14partition_implILS5_2ELb0ES3_jN6thrust23THRUST_200600_302600_NS6detail15normal_iteratorINSA_7pointerIxNSA_11hip_rocprim3tagENSA_11use_defaultESG_EEEEPS6_NSA_18transform_iteratorI10is_orderedNSA_12zip_iteratorINSA_5tupleINSC_INSA_10device_ptrIxEEEESQ_NSA_9null_typeESR_SR_SR_SR_SR_SR_SR_EEEESG_SG_EENS0_5tupleIJPxSJ_EEENSV_IJSJ_SJ_EEES6_PlJS6_EEE10hipError_tPvRmT3_T4_T5_T6_T7_T9_mT8_P12ihipStream_tbDpT10_ENKUlT_T0_E_clISt17integral_constantIbLb0EES1J_EEDaS1E_S1F_EUlS1E_E_NS1_11comp_targetILNS1_3genE2ELNS1_11target_archE906ELNS1_3gpuE6ELNS1_3repE0EEENS1_30default_config_static_selectorELNS0_4arch9wavefront6targetE1EEEvT1_
                                        ; -- End function
	.section	.AMDGPU.csdata,"",@progbits
; Kernel info:
; codeLenInByte = 0
; NumSgprs: 6
; NumVgprs: 0
; NumAgprs: 0
; TotalNumVgprs: 0
; ScratchSize: 0
; MemoryBound: 0
; FloatMode: 240
; IeeeMode: 1
; LDSByteSize: 0 bytes/workgroup (compile time only)
; SGPRBlocks: 0
; VGPRBlocks: 0
; NumSGPRsForWavesPerEU: 6
; NumVGPRsForWavesPerEU: 1
; AccumOffset: 4
; Occupancy: 8
; WaveLimiterHint : 0
; COMPUTE_PGM_RSRC2:SCRATCH_EN: 0
; COMPUTE_PGM_RSRC2:USER_SGPR: 2
; COMPUTE_PGM_RSRC2:TRAP_HANDLER: 0
; COMPUTE_PGM_RSRC2:TGID_X_EN: 1
; COMPUTE_PGM_RSRC2:TGID_Y_EN: 0
; COMPUTE_PGM_RSRC2:TGID_Z_EN: 0
; COMPUTE_PGM_RSRC2:TIDIG_COMP_CNT: 0
; COMPUTE_PGM_RSRC3_GFX90A:ACCUM_OFFSET: 0
; COMPUTE_PGM_RSRC3_GFX90A:TG_SPLIT: 0
	.section	.text._ZN7rocprim17ROCPRIM_400000_NS6detail17trampoline_kernelINS0_14default_configENS1_25partition_config_selectorILNS1_17partition_subalgoE2ExNS0_10empty_typeEbEEZZNS1_14partition_implILS5_2ELb0ES3_jN6thrust23THRUST_200600_302600_NS6detail15normal_iteratorINSA_7pointerIxNSA_11hip_rocprim3tagENSA_11use_defaultESG_EEEEPS6_NSA_18transform_iteratorI10is_orderedNSA_12zip_iteratorINSA_5tupleINSC_INSA_10device_ptrIxEEEESQ_NSA_9null_typeESR_SR_SR_SR_SR_SR_SR_EEEESG_SG_EENS0_5tupleIJPxSJ_EEENSV_IJSJ_SJ_EEES6_PlJS6_EEE10hipError_tPvRmT3_T4_T5_T6_T7_T9_mT8_P12ihipStream_tbDpT10_ENKUlT_T0_E_clISt17integral_constantIbLb0EES1J_EEDaS1E_S1F_EUlS1E_E_NS1_11comp_targetILNS1_3genE10ELNS1_11target_archE1200ELNS1_3gpuE4ELNS1_3repE0EEENS1_30default_config_static_selectorELNS0_4arch9wavefront6targetE1EEEvT1_,"axG",@progbits,_ZN7rocprim17ROCPRIM_400000_NS6detail17trampoline_kernelINS0_14default_configENS1_25partition_config_selectorILNS1_17partition_subalgoE2ExNS0_10empty_typeEbEEZZNS1_14partition_implILS5_2ELb0ES3_jN6thrust23THRUST_200600_302600_NS6detail15normal_iteratorINSA_7pointerIxNSA_11hip_rocprim3tagENSA_11use_defaultESG_EEEEPS6_NSA_18transform_iteratorI10is_orderedNSA_12zip_iteratorINSA_5tupleINSC_INSA_10device_ptrIxEEEESQ_NSA_9null_typeESR_SR_SR_SR_SR_SR_SR_EEEESG_SG_EENS0_5tupleIJPxSJ_EEENSV_IJSJ_SJ_EEES6_PlJS6_EEE10hipError_tPvRmT3_T4_T5_T6_T7_T9_mT8_P12ihipStream_tbDpT10_ENKUlT_T0_E_clISt17integral_constantIbLb0EES1J_EEDaS1E_S1F_EUlS1E_E_NS1_11comp_targetILNS1_3genE10ELNS1_11target_archE1200ELNS1_3gpuE4ELNS1_3repE0EEENS1_30default_config_static_selectorELNS0_4arch9wavefront6targetE1EEEvT1_,comdat
	.protected	_ZN7rocprim17ROCPRIM_400000_NS6detail17trampoline_kernelINS0_14default_configENS1_25partition_config_selectorILNS1_17partition_subalgoE2ExNS0_10empty_typeEbEEZZNS1_14partition_implILS5_2ELb0ES3_jN6thrust23THRUST_200600_302600_NS6detail15normal_iteratorINSA_7pointerIxNSA_11hip_rocprim3tagENSA_11use_defaultESG_EEEEPS6_NSA_18transform_iteratorI10is_orderedNSA_12zip_iteratorINSA_5tupleINSC_INSA_10device_ptrIxEEEESQ_NSA_9null_typeESR_SR_SR_SR_SR_SR_SR_EEEESG_SG_EENS0_5tupleIJPxSJ_EEENSV_IJSJ_SJ_EEES6_PlJS6_EEE10hipError_tPvRmT3_T4_T5_T6_T7_T9_mT8_P12ihipStream_tbDpT10_ENKUlT_T0_E_clISt17integral_constantIbLb0EES1J_EEDaS1E_S1F_EUlS1E_E_NS1_11comp_targetILNS1_3genE10ELNS1_11target_archE1200ELNS1_3gpuE4ELNS1_3repE0EEENS1_30default_config_static_selectorELNS0_4arch9wavefront6targetE1EEEvT1_ ; -- Begin function _ZN7rocprim17ROCPRIM_400000_NS6detail17trampoline_kernelINS0_14default_configENS1_25partition_config_selectorILNS1_17partition_subalgoE2ExNS0_10empty_typeEbEEZZNS1_14partition_implILS5_2ELb0ES3_jN6thrust23THRUST_200600_302600_NS6detail15normal_iteratorINSA_7pointerIxNSA_11hip_rocprim3tagENSA_11use_defaultESG_EEEEPS6_NSA_18transform_iteratorI10is_orderedNSA_12zip_iteratorINSA_5tupleINSC_INSA_10device_ptrIxEEEESQ_NSA_9null_typeESR_SR_SR_SR_SR_SR_SR_EEEESG_SG_EENS0_5tupleIJPxSJ_EEENSV_IJSJ_SJ_EEES6_PlJS6_EEE10hipError_tPvRmT3_T4_T5_T6_T7_T9_mT8_P12ihipStream_tbDpT10_ENKUlT_T0_E_clISt17integral_constantIbLb0EES1J_EEDaS1E_S1F_EUlS1E_E_NS1_11comp_targetILNS1_3genE10ELNS1_11target_archE1200ELNS1_3gpuE4ELNS1_3repE0EEENS1_30default_config_static_selectorELNS0_4arch9wavefront6targetE1EEEvT1_
	.globl	_ZN7rocprim17ROCPRIM_400000_NS6detail17trampoline_kernelINS0_14default_configENS1_25partition_config_selectorILNS1_17partition_subalgoE2ExNS0_10empty_typeEbEEZZNS1_14partition_implILS5_2ELb0ES3_jN6thrust23THRUST_200600_302600_NS6detail15normal_iteratorINSA_7pointerIxNSA_11hip_rocprim3tagENSA_11use_defaultESG_EEEEPS6_NSA_18transform_iteratorI10is_orderedNSA_12zip_iteratorINSA_5tupleINSC_INSA_10device_ptrIxEEEESQ_NSA_9null_typeESR_SR_SR_SR_SR_SR_SR_EEEESG_SG_EENS0_5tupleIJPxSJ_EEENSV_IJSJ_SJ_EEES6_PlJS6_EEE10hipError_tPvRmT3_T4_T5_T6_T7_T9_mT8_P12ihipStream_tbDpT10_ENKUlT_T0_E_clISt17integral_constantIbLb0EES1J_EEDaS1E_S1F_EUlS1E_E_NS1_11comp_targetILNS1_3genE10ELNS1_11target_archE1200ELNS1_3gpuE4ELNS1_3repE0EEENS1_30default_config_static_selectorELNS0_4arch9wavefront6targetE1EEEvT1_
	.p2align	8
	.type	_ZN7rocprim17ROCPRIM_400000_NS6detail17trampoline_kernelINS0_14default_configENS1_25partition_config_selectorILNS1_17partition_subalgoE2ExNS0_10empty_typeEbEEZZNS1_14partition_implILS5_2ELb0ES3_jN6thrust23THRUST_200600_302600_NS6detail15normal_iteratorINSA_7pointerIxNSA_11hip_rocprim3tagENSA_11use_defaultESG_EEEEPS6_NSA_18transform_iteratorI10is_orderedNSA_12zip_iteratorINSA_5tupleINSC_INSA_10device_ptrIxEEEESQ_NSA_9null_typeESR_SR_SR_SR_SR_SR_SR_EEEESG_SG_EENS0_5tupleIJPxSJ_EEENSV_IJSJ_SJ_EEES6_PlJS6_EEE10hipError_tPvRmT3_T4_T5_T6_T7_T9_mT8_P12ihipStream_tbDpT10_ENKUlT_T0_E_clISt17integral_constantIbLb0EES1J_EEDaS1E_S1F_EUlS1E_E_NS1_11comp_targetILNS1_3genE10ELNS1_11target_archE1200ELNS1_3gpuE4ELNS1_3repE0EEENS1_30default_config_static_selectorELNS0_4arch9wavefront6targetE1EEEvT1_,@function
_ZN7rocprim17ROCPRIM_400000_NS6detail17trampoline_kernelINS0_14default_configENS1_25partition_config_selectorILNS1_17partition_subalgoE2ExNS0_10empty_typeEbEEZZNS1_14partition_implILS5_2ELb0ES3_jN6thrust23THRUST_200600_302600_NS6detail15normal_iteratorINSA_7pointerIxNSA_11hip_rocprim3tagENSA_11use_defaultESG_EEEEPS6_NSA_18transform_iteratorI10is_orderedNSA_12zip_iteratorINSA_5tupleINSC_INSA_10device_ptrIxEEEESQ_NSA_9null_typeESR_SR_SR_SR_SR_SR_SR_EEEESG_SG_EENS0_5tupleIJPxSJ_EEENSV_IJSJ_SJ_EEES6_PlJS6_EEE10hipError_tPvRmT3_T4_T5_T6_T7_T9_mT8_P12ihipStream_tbDpT10_ENKUlT_T0_E_clISt17integral_constantIbLb0EES1J_EEDaS1E_S1F_EUlS1E_E_NS1_11comp_targetILNS1_3genE10ELNS1_11target_archE1200ELNS1_3gpuE4ELNS1_3repE0EEENS1_30default_config_static_selectorELNS0_4arch9wavefront6targetE1EEEvT1_: ; @_ZN7rocprim17ROCPRIM_400000_NS6detail17trampoline_kernelINS0_14default_configENS1_25partition_config_selectorILNS1_17partition_subalgoE2ExNS0_10empty_typeEbEEZZNS1_14partition_implILS5_2ELb0ES3_jN6thrust23THRUST_200600_302600_NS6detail15normal_iteratorINSA_7pointerIxNSA_11hip_rocprim3tagENSA_11use_defaultESG_EEEEPS6_NSA_18transform_iteratorI10is_orderedNSA_12zip_iteratorINSA_5tupleINSC_INSA_10device_ptrIxEEEESQ_NSA_9null_typeESR_SR_SR_SR_SR_SR_SR_EEEESG_SG_EENS0_5tupleIJPxSJ_EEENSV_IJSJ_SJ_EEES6_PlJS6_EEE10hipError_tPvRmT3_T4_T5_T6_T7_T9_mT8_P12ihipStream_tbDpT10_ENKUlT_T0_E_clISt17integral_constantIbLb0EES1J_EEDaS1E_S1F_EUlS1E_E_NS1_11comp_targetILNS1_3genE10ELNS1_11target_archE1200ELNS1_3gpuE4ELNS1_3repE0EEENS1_30default_config_static_selectorELNS0_4arch9wavefront6targetE1EEEvT1_
; %bb.0:
	.section	.rodata,"a",@progbits
	.p2align	6, 0x0
	.amdhsa_kernel _ZN7rocprim17ROCPRIM_400000_NS6detail17trampoline_kernelINS0_14default_configENS1_25partition_config_selectorILNS1_17partition_subalgoE2ExNS0_10empty_typeEbEEZZNS1_14partition_implILS5_2ELb0ES3_jN6thrust23THRUST_200600_302600_NS6detail15normal_iteratorINSA_7pointerIxNSA_11hip_rocprim3tagENSA_11use_defaultESG_EEEEPS6_NSA_18transform_iteratorI10is_orderedNSA_12zip_iteratorINSA_5tupleINSC_INSA_10device_ptrIxEEEESQ_NSA_9null_typeESR_SR_SR_SR_SR_SR_SR_EEEESG_SG_EENS0_5tupleIJPxSJ_EEENSV_IJSJ_SJ_EEES6_PlJS6_EEE10hipError_tPvRmT3_T4_T5_T6_T7_T9_mT8_P12ihipStream_tbDpT10_ENKUlT_T0_E_clISt17integral_constantIbLb0EES1J_EEDaS1E_S1F_EUlS1E_E_NS1_11comp_targetILNS1_3genE10ELNS1_11target_archE1200ELNS1_3gpuE4ELNS1_3repE0EEENS1_30default_config_static_selectorELNS0_4arch9wavefront6targetE1EEEvT1_
		.amdhsa_group_segment_fixed_size 0
		.amdhsa_private_segment_fixed_size 0
		.amdhsa_kernarg_size 136
		.amdhsa_user_sgpr_count 2
		.amdhsa_user_sgpr_dispatch_ptr 0
		.amdhsa_user_sgpr_queue_ptr 0
		.amdhsa_user_sgpr_kernarg_segment_ptr 1
		.amdhsa_user_sgpr_dispatch_id 0
		.amdhsa_user_sgpr_kernarg_preload_length 0
		.amdhsa_user_sgpr_kernarg_preload_offset 0
		.amdhsa_user_sgpr_private_segment_size 0
		.amdhsa_uses_dynamic_stack 0
		.amdhsa_enable_private_segment 0
		.amdhsa_system_sgpr_workgroup_id_x 1
		.amdhsa_system_sgpr_workgroup_id_y 0
		.amdhsa_system_sgpr_workgroup_id_z 0
		.amdhsa_system_sgpr_workgroup_info 0
		.amdhsa_system_vgpr_workitem_id 0
		.amdhsa_next_free_vgpr 1
		.amdhsa_next_free_sgpr 0
		.amdhsa_accum_offset 4
		.amdhsa_reserve_vcc 0
		.amdhsa_float_round_mode_32 0
		.amdhsa_float_round_mode_16_64 0
		.amdhsa_float_denorm_mode_32 3
		.amdhsa_float_denorm_mode_16_64 3
		.amdhsa_dx10_clamp 1
		.amdhsa_ieee_mode 1
		.amdhsa_fp16_overflow 0
		.amdhsa_tg_split 0
		.amdhsa_exception_fp_ieee_invalid_op 0
		.amdhsa_exception_fp_denorm_src 0
		.amdhsa_exception_fp_ieee_div_zero 0
		.amdhsa_exception_fp_ieee_overflow 0
		.amdhsa_exception_fp_ieee_underflow 0
		.amdhsa_exception_fp_ieee_inexact 0
		.amdhsa_exception_int_div_zero 0
	.end_amdhsa_kernel
	.section	.text._ZN7rocprim17ROCPRIM_400000_NS6detail17trampoline_kernelINS0_14default_configENS1_25partition_config_selectorILNS1_17partition_subalgoE2ExNS0_10empty_typeEbEEZZNS1_14partition_implILS5_2ELb0ES3_jN6thrust23THRUST_200600_302600_NS6detail15normal_iteratorINSA_7pointerIxNSA_11hip_rocprim3tagENSA_11use_defaultESG_EEEEPS6_NSA_18transform_iteratorI10is_orderedNSA_12zip_iteratorINSA_5tupleINSC_INSA_10device_ptrIxEEEESQ_NSA_9null_typeESR_SR_SR_SR_SR_SR_SR_EEEESG_SG_EENS0_5tupleIJPxSJ_EEENSV_IJSJ_SJ_EEES6_PlJS6_EEE10hipError_tPvRmT3_T4_T5_T6_T7_T9_mT8_P12ihipStream_tbDpT10_ENKUlT_T0_E_clISt17integral_constantIbLb0EES1J_EEDaS1E_S1F_EUlS1E_E_NS1_11comp_targetILNS1_3genE10ELNS1_11target_archE1200ELNS1_3gpuE4ELNS1_3repE0EEENS1_30default_config_static_selectorELNS0_4arch9wavefront6targetE1EEEvT1_,"axG",@progbits,_ZN7rocprim17ROCPRIM_400000_NS6detail17trampoline_kernelINS0_14default_configENS1_25partition_config_selectorILNS1_17partition_subalgoE2ExNS0_10empty_typeEbEEZZNS1_14partition_implILS5_2ELb0ES3_jN6thrust23THRUST_200600_302600_NS6detail15normal_iteratorINSA_7pointerIxNSA_11hip_rocprim3tagENSA_11use_defaultESG_EEEEPS6_NSA_18transform_iteratorI10is_orderedNSA_12zip_iteratorINSA_5tupleINSC_INSA_10device_ptrIxEEEESQ_NSA_9null_typeESR_SR_SR_SR_SR_SR_SR_EEEESG_SG_EENS0_5tupleIJPxSJ_EEENSV_IJSJ_SJ_EEES6_PlJS6_EEE10hipError_tPvRmT3_T4_T5_T6_T7_T9_mT8_P12ihipStream_tbDpT10_ENKUlT_T0_E_clISt17integral_constantIbLb0EES1J_EEDaS1E_S1F_EUlS1E_E_NS1_11comp_targetILNS1_3genE10ELNS1_11target_archE1200ELNS1_3gpuE4ELNS1_3repE0EEENS1_30default_config_static_selectorELNS0_4arch9wavefront6targetE1EEEvT1_,comdat
.Lfunc_end3567:
	.size	_ZN7rocprim17ROCPRIM_400000_NS6detail17trampoline_kernelINS0_14default_configENS1_25partition_config_selectorILNS1_17partition_subalgoE2ExNS0_10empty_typeEbEEZZNS1_14partition_implILS5_2ELb0ES3_jN6thrust23THRUST_200600_302600_NS6detail15normal_iteratorINSA_7pointerIxNSA_11hip_rocprim3tagENSA_11use_defaultESG_EEEEPS6_NSA_18transform_iteratorI10is_orderedNSA_12zip_iteratorINSA_5tupleINSC_INSA_10device_ptrIxEEEESQ_NSA_9null_typeESR_SR_SR_SR_SR_SR_SR_EEEESG_SG_EENS0_5tupleIJPxSJ_EEENSV_IJSJ_SJ_EEES6_PlJS6_EEE10hipError_tPvRmT3_T4_T5_T6_T7_T9_mT8_P12ihipStream_tbDpT10_ENKUlT_T0_E_clISt17integral_constantIbLb0EES1J_EEDaS1E_S1F_EUlS1E_E_NS1_11comp_targetILNS1_3genE10ELNS1_11target_archE1200ELNS1_3gpuE4ELNS1_3repE0EEENS1_30default_config_static_selectorELNS0_4arch9wavefront6targetE1EEEvT1_, .Lfunc_end3567-_ZN7rocprim17ROCPRIM_400000_NS6detail17trampoline_kernelINS0_14default_configENS1_25partition_config_selectorILNS1_17partition_subalgoE2ExNS0_10empty_typeEbEEZZNS1_14partition_implILS5_2ELb0ES3_jN6thrust23THRUST_200600_302600_NS6detail15normal_iteratorINSA_7pointerIxNSA_11hip_rocprim3tagENSA_11use_defaultESG_EEEEPS6_NSA_18transform_iteratorI10is_orderedNSA_12zip_iteratorINSA_5tupleINSC_INSA_10device_ptrIxEEEESQ_NSA_9null_typeESR_SR_SR_SR_SR_SR_SR_EEEESG_SG_EENS0_5tupleIJPxSJ_EEENSV_IJSJ_SJ_EEES6_PlJS6_EEE10hipError_tPvRmT3_T4_T5_T6_T7_T9_mT8_P12ihipStream_tbDpT10_ENKUlT_T0_E_clISt17integral_constantIbLb0EES1J_EEDaS1E_S1F_EUlS1E_E_NS1_11comp_targetILNS1_3genE10ELNS1_11target_archE1200ELNS1_3gpuE4ELNS1_3repE0EEENS1_30default_config_static_selectorELNS0_4arch9wavefront6targetE1EEEvT1_
                                        ; -- End function
	.section	.AMDGPU.csdata,"",@progbits
; Kernel info:
; codeLenInByte = 0
; NumSgprs: 6
; NumVgprs: 0
; NumAgprs: 0
; TotalNumVgprs: 0
; ScratchSize: 0
; MemoryBound: 0
; FloatMode: 240
; IeeeMode: 1
; LDSByteSize: 0 bytes/workgroup (compile time only)
; SGPRBlocks: 0
; VGPRBlocks: 0
; NumSGPRsForWavesPerEU: 6
; NumVGPRsForWavesPerEU: 1
; AccumOffset: 4
; Occupancy: 8
; WaveLimiterHint : 0
; COMPUTE_PGM_RSRC2:SCRATCH_EN: 0
; COMPUTE_PGM_RSRC2:USER_SGPR: 2
; COMPUTE_PGM_RSRC2:TRAP_HANDLER: 0
; COMPUTE_PGM_RSRC2:TGID_X_EN: 1
; COMPUTE_PGM_RSRC2:TGID_Y_EN: 0
; COMPUTE_PGM_RSRC2:TGID_Z_EN: 0
; COMPUTE_PGM_RSRC2:TIDIG_COMP_CNT: 0
; COMPUTE_PGM_RSRC3_GFX90A:ACCUM_OFFSET: 0
; COMPUTE_PGM_RSRC3_GFX90A:TG_SPLIT: 0
	.section	.text._ZN7rocprim17ROCPRIM_400000_NS6detail17trampoline_kernelINS0_14default_configENS1_25partition_config_selectorILNS1_17partition_subalgoE2ExNS0_10empty_typeEbEEZZNS1_14partition_implILS5_2ELb0ES3_jN6thrust23THRUST_200600_302600_NS6detail15normal_iteratorINSA_7pointerIxNSA_11hip_rocprim3tagENSA_11use_defaultESG_EEEEPS6_NSA_18transform_iteratorI10is_orderedNSA_12zip_iteratorINSA_5tupleINSC_INSA_10device_ptrIxEEEESQ_NSA_9null_typeESR_SR_SR_SR_SR_SR_SR_EEEESG_SG_EENS0_5tupleIJPxSJ_EEENSV_IJSJ_SJ_EEES6_PlJS6_EEE10hipError_tPvRmT3_T4_T5_T6_T7_T9_mT8_P12ihipStream_tbDpT10_ENKUlT_T0_E_clISt17integral_constantIbLb0EES1J_EEDaS1E_S1F_EUlS1E_E_NS1_11comp_targetILNS1_3genE9ELNS1_11target_archE1100ELNS1_3gpuE3ELNS1_3repE0EEENS1_30default_config_static_selectorELNS0_4arch9wavefront6targetE1EEEvT1_,"axG",@progbits,_ZN7rocprim17ROCPRIM_400000_NS6detail17trampoline_kernelINS0_14default_configENS1_25partition_config_selectorILNS1_17partition_subalgoE2ExNS0_10empty_typeEbEEZZNS1_14partition_implILS5_2ELb0ES3_jN6thrust23THRUST_200600_302600_NS6detail15normal_iteratorINSA_7pointerIxNSA_11hip_rocprim3tagENSA_11use_defaultESG_EEEEPS6_NSA_18transform_iteratorI10is_orderedNSA_12zip_iteratorINSA_5tupleINSC_INSA_10device_ptrIxEEEESQ_NSA_9null_typeESR_SR_SR_SR_SR_SR_SR_EEEESG_SG_EENS0_5tupleIJPxSJ_EEENSV_IJSJ_SJ_EEES6_PlJS6_EEE10hipError_tPvRmT3_T4_T5_T6_T7_T9_mT8_P12ihipStream_tbDpT10_ENKUlT_T0_E_clISt17integral_constantIbLb0EES1J_EEDaS1E_S1F_EUlS1E_E_NS1_11comp_targetILNS1_3genE9ELNS1_11target_archE1100ELNS1_3gpuE3ELNS1_3repE0EEENS1_30default_config_static_selectorELNS0_4arch9wavefront6targetE1EEEvT1_,comdat
	.protected	_ZN7rocprim17ROCPRIM_400000_NS6detail17trampoline_kernelINS0_14default_configENS1_25partition_config_selectorILNS1_17partition_subalgoE2ExNS0_10empty_typeEbEEZZNS1_14partition_implILS5_2ELb0ES3_jN6thrust23THRUST_200600_302600_NS6detail15normal_iteratorINSA_7pointerIxNSA_11hip_rocprim3tagENSA_11use_defaultESG_EEEEPS6_NSA_18transform_iteratorI10is_orderedNSA_12zip_iteratorINSA_5tupleINSC_INSA_10device_ptrIxEEEESQ_NSA_9null_typeESR_SR_SR_SR_SR_SR_SR_EEEESG_SG_EENS0_5tupleIJPxSJ_EEENSV_IJSJ_SJ_EEES6_PlJS6_EEE10hipError_tPvRmT3_T4_T5_T6_T7_T9_mT8_P12ihipStream_tbDpT10_ENKUlT_T0_E_clISt17integral_constantIbLb0EES1J_EEDaS1E_S1F_EUlS1E_E_NS1_11comp_targetILNS1_3genE9ELNS1_11target_archE1100ELNS1_3gpuE3ELNS1_3repE0EEENS1_30default_config_static_selectorELNS0_4arch9wavefront6targetE1EEEvT1_ ; -- Begin function _ZN7rocprim17ROCPRIM_400000_NS6detail17trampoline_kernelINS0_14default_configENS1_25partition_config_selectorILNS1_17partition_subalgoE2ExNS0_10empty_typeEbEEZZNS1_14partition_implILS5_2ELb0ES3_jN6thrust23THRUST_200600_302600_NS6detail15normal_iteratorINSA_7pointerIxNSA_11hip_rocprim3tagENSA_11use_defaultESG_EEEEPS6_NSA_18transform_iteratorI10is_orderedNSA_12zip_iteratorINSA_5tupleINSC_INSA_10device_ptrIxEEEESQ_NSA_9null_typeESR_SR_SR_SR_SR_SR_SR_EEEESG_SG_EENS0_5tupleIJPxSJ_EEENSV_IJSJ_SJ_EEES6_PlJS6_EEE10hipError_tPvRmT3_T4_T5_T6_T7_T9_mT8_P12ihipStream_tbDpT10_ENKUlT_T0_E_clISt17integral_constantIbLb0EES1J_EEDaS1E_S1F_EUlS1E_E_NS1_11comp_targetILNS1_3genE9ELNS1_11target_archE1100ELNS1_3gpuE3ELNS1_3repE0EEENS1_30default_config_static_selectorELNS0_4arch9wavefront6targetE1EEEvT1_
	.globl	_ZN7rocprim17ROCPRIM_400000_NS6detail17trampoline_kernelINS0_14default_configENS1_25partition_config_selectorILNS1_17partition_subalgoE2ExNS0_10empty_typeEbEEZZNS1_14partition_implILS5_2ELb0ES3_jN6thrust23THRUST_200600_302600_NS6detail15normal_iteratorINSA_7pointerIxNSA_11hip_rocprim3tagENSA_11use_defaultESG_EEEEPS6_NSA_18transform_iteratorI10is_orderedNSA_12zip_iteratorINSA_5tupleINSC_INSA_10device_ptrIxEEEESQ_NSA_9null_typeESR_SR_SR_SR_SR_SR_SR_EEEESG_SG_EENS0_5tupleIJPxSJ_EEENSV_IJSJ_SJ_EEES6_PlJS6_EEE10hipError_tPvRmT3_T4_T5_T6_T7_T9_mT8_P12ihipStream_tbDpT10_ENKUlT_T0_E_clISt17integral_constantIbLb0EES1J_EEDaS1E_S1F_EUlS1E_E_NS1_11comp_targetILNS1_3genE9ELNS1_11target_archE1100ELNS1_3gpuE3ELNS1_3repE0EEENS1_30default_config_static_selectorELNS0_4arch9wavefront6targetE1EEEvT1_
	.p2align	8
	.type	_ZN7rocprim17ROCPRIM_400000_NS6detail17trampoline_kernelINS0_14default_configENS1_25partition_config_selectorILNS1_17partition_subalgoE2ExNS0_10empty_typeEbEEZZNS1_14partition_implILS5_2ELb0ES3_jN6thrust23THRUST_200600_302600_NS6detail15normal_iteratorINSA_7pointerIxNSA_11hip_rocprim3tagENSA_11use_defaultESG_EEEEPS6_NSA_18transform_iteratorI10is_orderedNSA_12zip_iteratorINSA_5tupleINSC_INSA_10device_ptrIxEEEESQ_NSA_9null_typeESR_SR_SR_SR_SR_SR_SR_EEEESG_SG_EENS0_5tupleIJPxSJ_EEENSV_IJSJ_SJ_EEES6_PlJS6_EEE10hipError_tPvRmT3_T4_T5_T6_T7_T9_mT8_P12ihipStream_tbDpT10_ENKUlT_T0_E_clISt17integral_constantIbLb0EES1J_EEDaS1E_S1F_EUlS1E_E_NS1_11comp_targetILNS1_3genE9ELNS1_11target_archE1100ELNS1_3gpuE3ELNS1_3repE0EEENS1_30default_config_static_selectorELNS0_4arch9wavefront6targetE1EEEvT1_,@function
_ZN7rocprim17ROCPRIM_400000_NS6detail17trampoline_kernelINS0_14default_configENS1_25partition_config_selectorILNS1_17partition_subalgoE2ExNS0_10empty_typeEbEEZZNS1_14partition_implILS5_2ELb0ES3_jN6thrust23THRUST_200600_302600_NS6detail15normal_iteratorINSA_7pointerIxNSA_11hip_rocprim3tagENSA_11use_defaultESG_EEEEPS6_NSA_18transform_iteratorI10is_orderedNSA_12zip_iteratorINSA_5tupleINSC_INSA_10device_ptrIxEEEESQ_NSA_9null_typeESR_SR_SR_SR_SR_SR_SR_EEEESG_SG_EENS0_5tupleIJPxSJ_EEENSV_IJSJ_SJ_EEES6_PlJS6_EEE10hipError_tPvRmT3_T4_T5_T6_T7_T9_mT8_P12ihipStream_tbDpT10_ENKUlT_T0_E_clISt17integral_constantIbLb0EES1J_EEDaS1E_S1F_EUlS1E_E_NS1_11comp_targetILNS1_3genE9ELNS1_11target_archE1100ELNS1_3gpuE3ELNS1_3repE0EEENS1_30default_config_static_selectorELNS0_4arch9wavefront6targetE1EEEvT1_: ; @_ZN7rocprim17ROCPRIM_400000_NS6detail17trampoline_kernelINS0_14default_configENS1_25partition_config_selectorILNS1_17partition_subalgoE2ExNS0_10empty_typeEbEEZZNS1_14partition_implILS5_2ELb0ES3_jN6thrust23THRUST_200600_302600_NS6detail15normal_iteratorINSA_7pointerIxNSA_11hip_rocprim3tagENSA_11use_defaultESG_EEEEPS6_NSA_18transform_iteratorI10is_orderedNSA_12zip_iteratorINSA_5tupleINSC_INSA_10device_ptrIxEEEESQ_NSA_9null_typeESR_SR_SR_SR_SR_SR_SR_EEEESG_SG_EENS0_5tupleIJPxSJ_EEENSV_IJSJ_SJ_EEES6_PlJS6_EEE10hipError_tPvRmT3_T4_T5_T6_T7_T9_mT8_P12ihipStream_tbDpT10_ENKUlT_T0_E_clISt17integral_constantIbLb0EES1J_EEDaS1E_S1F_EUlS1E_E_NS1_11comp_targetILNS1_3genE9ELNS1_11target_archE1100ELNS1_3gpuE3ELNS1_3repE0EEENS1_30default_config_static_selectorELNS0_4arch9wavefront6targetE1EEEvT1_
; %bb.0:
	.section	.rodata,"a",@progbits
	.p2align	6, 0x0
	.amdhsa_kernel _ZN7rocprim17ROCPRIM_400000_NS6detail17trampoline_kernelINS0_14default_configENS1_25partition_config_selectorILNS1_17partition_subalgoE2ExNS0_10empty_typeEbEEZZNS1_14partition_implILS5_2ELb0ES3_jN6thrust23THRUST_200600_302600_NS6detail15normal_iteratorINSA_7pointerIxNSA_11hip_rocprim3tagENSA_11use_defaultESG_EEEEPS6_NSA_18transform_iteratorI10is_orderedNSA_12zip_iteratorINSA_5tupleINSC_INSA_10device_ptrIxEEEESQ_NSA_9null_typeESR_SR_SR_SR_SR_SR_SR_EEEESG_SG_EENS0_5tupleIJPxSJ_EEENSV_IJSJ_SJ_EEES6_PlJS6_EEE10hipError_tPvRmT3_T4_T5_T6_T7_T9_mT8_P12ihipStream_tbDpT10_ENKUlT_T0_E_clISt17integral_constantIbLb0EES1J_EEDaS1E_S1F_EUlS1E_E_NS1_11comp_targetILNS1_3genE9ELNS1_11target_archE1100ELNS1_3gpuE3ELNS1_3repE0EEENS1_30default_config_static_selectorELNS0_4arch9wavefront6targetE1EEEvT1_
		.amdhsa_group_segment_fixed_size 0
		.amdhsa_private_segment_fixed_size 0
		.amdhsa_kernarg_size 136
		.amdhsa_user_sgpr_count 2
		.amdhsa_user_sgpr_dispatch_ptr 0
		.amdhsa_user_sgpr_queue_ptr 0
		.amdhsa_user_sgpr_kernarg_segment_ptr 1
		.amdhsa_user_sgpr_dispatch_id 0
		.amdhsa_user_sgpr_kernarg_preload_length 0
		.amdhsa_user_sgpr_kernarg_preload_offset 0
		.amdhsa_user_sgpr_private_segment_size 0
		.amdhsa_uses_dynamic_stack 0
		.amdhsa_enable_private_segment 0
		.amdhsa_system_sgpr_workgroup_id_x 1
		.amdhsa_system_sgpr_workgroup_id_y 0
		.amdhsa_system_sgpr_workgroup_id_z 0
		.amdhsa_system_sgpr_workgroup_info 0
		.amdhsa_system_vgpr_workitem_id 0
		.amdhsa_next_free_vgpr 1
		.amdhsa_next_free_sgpr 0
		.amdhsa_accum_offset 4
		.amdhsa_reserve_vcc 0
		.amdhsa_float_round_mode_32 0
		.amdhsa_float_round_mode_16_64 0
		.amdhsa_float_denorm_mode_32 3
		.amdhsa_float_denorm_mode_16_64 3
		.amdhsa_dx10_clamp 1
		.amdhsa_ieee_mode 1
		.amdhsa_fp16_overflow 0
		.amdhsa_tg_split 0
		.amdhsa_exception_fp_ieee_invalid_op 0
		.amdhsa_exception_fp_denorm_src 0
		.amdhsa_exception_fp_ieee_div_zero 0
		.amdhsa_exception_fp_ieee_overflow 0
		.amdhsa_exception_fp_ieee_underflow 0
		.amdhsa_exception_fp_ieee_inexact 0
		.amdhsa_exception_int_div_zero 0
	.end_amdhsa_kernel
	.section	.text._ZN7rocprim17ROCPRIM_400000_NS6detail17trampoline_kernelINS0_14default_configENS1_25partition_config_selectorILNS1_17partition_subalgoE2ExNS0_10empty_typeEbEEZZNS1_14partition_implILS5_2ELb0ES3_jN6thrust23THRUST_200600_302600_NS6detail15normal_iteratorINSA_7pointerIxNSA_11hip_rocprim3tagENSA_11use_defaultESG_EEEEPS6_NSA_18transform_iteratorI10is_orderedNSA_12zip_iteratorINSA_5tupleINSC_INSA_10device_ptrIxEEEESQ_NSA_9null_typeESR_SR_SR_SR_SR_SR_SR_EEEESG_SG_EENS0_5tupleIJPxSJ_EEENSV_IJSJ_SJ_EEES6_PlJS6_EEE10hipError_tPvRmT3_T4_T5_T6_T7_T9_mT8_P12ihipStream_tbDpT10_ENKUlT_T0_E_clISt17integral_constantIbLb0EES1J_EEDaS1E_S1F_EUlS1E_E_NS1_11comp_targetILNS1_3genE9ELNS1_11target_archE1100ELNS1_3gpuE3ELNS1_3repE0EEENS1_30default_config_static_selectorELNS0_4arch9wavefront6targetE1EEEvT1_,"axG",@progbits,_ZN7rocprim17ROCPRIM_400000_NS6detail17trampoline_kernelINS0_14default_configENS1_25partition_config_selectorILNS1_17partition_subalgoE2ExNS0_10empty_typeEbEEZZNS1_14partition_implILS5_2ELb0ES3_jN6thrust23THRUST_200600_302600_NS6detail15normal_iteratorINSA_7pointerIxNSA_11hip_rocprim3tagENSA_11use_defaultESG_EEEEPS6_NSA_18transform_iteratorI10is_orderedNSA_12zip_iteratorINSA_5tupleINSC_INSA_10device_ptrIxEEEESQ_NSA_9null_typeESR_SR_SR_SR_SR_SR_SR_EEEESG_SG_EENS0_5tupleIJPxSJ_EEENSV_IJSJ_SJ_EEES6_PlJS6_EEE10hipError_tPvRmT3_T4_T5_T6_T7_T9_mT8_P12ihipStream_tbDpT10_ENKUlT_T0_E_clISt17integral_constantIbLb0EES1J_EEDaS1E_S1F_EUlS1E_E_NS1_11comp_targetILNS1_3genE9ELNS1_11target_archE1100ELNS1_3gpuE3ELNS1_3repE0EEENS1_30default_config_static_selectorELNS0_4arch9wavefront6targetE1EEEvT1_,comdat
.Lfunc_end3568:
	.size	_ZN7rocprim17ROCPRIM_400000_NS6detail17trampoline_kernelINS0_14default_configENS1_25partition_config_selectorILNS1_17partition_subalgoE2ExNS0_10empty_typeEbEEZZNS1_14partition_implILS5_2ELb0ES3_jN6thrust23THRUST_200600_302600_NS6detail15normal_iteratorINSA_7pointerIxNSA_11hip_rocprim3tagENSA_11use_defaultESG_EEEEPS6_NSA_18transform_iteratorI10is_orderedNSA_12zip_iteratorINSA_5tupleINSC_INSA_10device_ptrIxEEEESQ_NSA_9null_typeESR_SR_SR_SR_SR_SR_SR_EEEESG_SG_EENS0_5tupleIJPxSJ_EEENSV_IJSJ_SJ_EEES6_PlJS6_EEE10hipError_tPvRmT3_T4_T5_T6_T7_T9_mT8_P12ihipStream_tbDpT10_ENKUlT_T0_E_clISt17integral_constantIbLb0EES1J_EEDaS1E_S1F_EUlS1E_E_NS1_11comp_targetILNS1_3genE9ELNS1_11target_archE1100ELNS1_3gpuE3ELNS1_3repE0EEENS1_30default_config_static_selectorELNS0_4arch9wavefront6targetE1EEEvT1_, .Lfunc_end3568-_ZN7rocprim17ROCPRIM_400000_NS6detail17trampoline_kernelINS0_14default_configENS1_25partition_config_selectorILNS1_17partition_subalgoE2ExNS0_10empty_typeEbEEZZNS1_14partition_implILS5_2ELb0ES3_jN6thrust23THRUST_200600_302600_NS6detail15normal_iteratorINSA_7pointerIxNSA_11hip_rocprim3tagENSA_11use_defaultESG_EEEEPS6_NSA_18transform_iteratorI10is_orderedNSA_12zip_iteratorINSA_5tupleINSC_INSA_10device_ptrIxEEEESQ_NSA_9null_typeESR_SR_SR_SR_SR_SR_SR_EEEESG_SG_EENS0_5tupleIJPxSJ_EEENSV_IJSJ_SJ_EEES6_PlJS6_EEE10hipError_tPvRmT3_T4_T5_T6_T7_T9_mT8_P12ihipStream_tbDpT10_ENKUlT_T0_E_clISt17integral_constantIbLb0EES1J_EEDaS1E_S1F_EUlS1E_E_NS1_11comp_targetILNS1_3genE9ELNS1_11target_archE1100ELNS1_3gpuE3ELNS1_3repE0EEENS1_30default_config_static_selectorELNS0_4arch9wavefront6targetE1EEEvT1_
                                        ; -- End function
	.section	.AMDGPU.csdata,"",@progbits
; Kernel info:
; codeLenInByte = 0
; NumSgprs: 6
; NumVgprs: 0
; NumAgprs: 0
; TotalNumVgprs: 0
; ScratchSize: 0
; MemoryBound: 0
; FloatMode: 240
; IeeeMode: 1
; LDSByteSize: 0 bytes/workgroup (compile time only)
; SGPRBlocks: 0
; VGPRBlocks: 0
; NumSGPRsForWavesPerEU: 6
; NumVGPRsForWavesPerEU: 1
; AccumOffset: 4
; Occupancy: 8
; WaveLimiterHint : 0
; COMPUTE_PGM_RSRC2:SCRATCH_EN: 0
; COMPUTE_PGM_RSRC2:USER_SGPR: 2
; COMPUTE_PGM_RSRC2:TRAP_HANDLER: 0
; COMPUTE_PGM_RSRC2:TGID_X_EN: 1
; COMPUTE_PGM_RSRC2:TGID_Y_EN: 0
; COMPUTE_PGM_RSRC2:TGID_Z_EN: 0
; COMPUTE_PGM_RSRC2:TIDIG_COMP_CNT: 0
; COMPUTE_PGM_RSRC3_GFX90A:ACCUM_OFFSET: 0
; COMPUTE_PGM_RSRC3_GFX90A:TG_SPLIT: 0
	.section	.text._ZN7rocprim17ROCPRIM_400000_NS6detail17trampoline_kernelINS0_14default_configENS1_25partition_config_selectorILNS1_17partition_subalgoE2ExNS0_10empty_typeEbEEZZNS1_14partition_implILS5_2ELb0ES3_jN6thrust23THRUST_200600_302600_NS6detail15normal_iteratorINSA_7pointerIxNSA_11hip_rocprim3tagENSA_11use_defaultESG_EEEEPS6_NSA_18transform_iteratorI10is_orderedNSA_12zip_iteratorINSA_5tupleINSC_INSA_10device_ptrIxEEEESQ_NSA_9null_typeESR_SR_SR_SR_SR_SR_SR_EEEESG_SG_EENS0_5tupleIJPxSJ_EEENSV_IJSJ_SJ_EEES6_PlJS6_EEE10hipError_tPvRmT3_T4_T5_T6_T7_T9_mT8_P12ihipStream_tbDpT10_ENKUlT_T0_E_clISt17integral_constantIbLb0EES1J_EEDaS1E_S1F_EUlS1E_E_NS1_11comp_targetILNS1_3genE8ELNS1_11target_archE1030ELNS1_3gpuE2ELNS1_3repE0EEENS1_30default_config_static_selectorELNS0_4arch9wavefront6targetE1EEEvT1_,"axG",@progbits,_ZN7rocprim17ROCPRIM_400000_NS6detail17trampoline_kernelINS0_14default_configENS1_25partition_config_selectorILNS1_17partition_subalgoE2ExNS0_10empty_typeEbEEZZNS1_14partition_implILS5_2ELb0ES3_jN6thrust23THRUST_200600_302600_NS6detail15normal_iteratorINSA_7pointerIxNSA_11hip_rocprim3tagENSA_11use_defaultESG_EEEEPS6_NSA_18transform_iteratorI10is_orderedNSA_12zip_iteratorINSA_5tupleINSC_INSA_10device_ptrIxEEEESQ_NSA_9null_typeESR_SR_SR_SR_SR_SR_SR_EEEESG_SG_EENS0_5tupleIJPxSJ_EEENSV_IJSJ_SJ_EEES6_PlJS6_EEE10hipError_tPvRmT3_T4_T5_T6_T7_T9_mT8_P12ihipStream_tbDpT10_ENKUlT_T0_E_clISt17integral_constantIbLb0EES1J_EEDaS1E_S1F_EUlS1E_E_NS1_11comp_targetILNS1_3genE8ELNS1_11target_archE1030ELNS1_3gpuE2ELNS1_3repE0EEENS1_30default_config_static_selectorELNS0_4arch9wavefront6targetE1EEEvT1_,comdat
	.protected	_ZN7rocprim17ROCPRIM_400000_NS6detail17trampoline_kernelINS0_14default_configENS1_25partition_config_selectorILNS1_17partition_subalgoE2ExNS0_10empty_typeEbEEZZNS1_14partition_implILS5_2ELb0ES3_jN6thrust23THRUST_200600_302600_NS6detail15normal_iteratorINSA_7pointerIxNSA_11hip_rocprim3tagENSA_11use_defaultESG_EEEEPS6_NSA_18transform_iteratorI10is_orderedNSA_12zip_iteratorINSA_5tupleINSC_INSA_10device_ptrIxEEEESQ_NSA_9null_typeESR_SR_SR_SR_SR_SR_SR_EEEESG_SG_EENS0_5tupleIJPxSJ_EEENSV_IJSJ_SJ_EEES6_PlJS6_EEE10hipError_tPvRmT3_T4_T5_T6_T7_T9_mT8_P12ihipStream_tbDpT10_ENKUlT_T0_E_clISt17integral_constantIbLb0EES1J_EEDaS1E_S1F_EUlS1E_E_NS1_11comp_targetILNS1_3genE8ELNS1_11target_archE1030ELNS1_3gpuE2ELNS1_3repE0EEENS1_30default_config_static_selectorELNS0_4arch9wavefront6targetE1EEEvT1_ ; -- Begin function _ZN7rocprim17ROCPRIM_400000_NS6detail17trampoline_kernelINS0_14default_configENS1_25partition_config_selectorILNS1_17partition_subalgoE2ExNS0_10empty_typeEbEEZZNS1_14partition_implILS5_2ELb0ES3_jN6thrust23THRUST_200600_302600_NS6detail15normal_iteratorINSA_7pointerIxNSA_11hip_rocprim3tagENSA_11use_defaultESG_EEEEPS6_NSA_18transform_iteratorI10is_orderedNSA_12zip_iteratorINSA_5tupleINSC_INSA_10device_ptrIxEEEESQ_NSA_9null_typeESR_SR_SR_SR_SR_SR_SR_EEEESG_SG_EENS0_5tupleIJPxSJ_EEENSV_IJSJ_SJ_EEES6_PlJS6_EEE10hipError_tPvRmT3_T4_T5_T6_T7_T9_mT8_P12ihipStream_tbDpT10_ENKUlT_T0_E_clISt17integral_constantIbLb0EES1J_EEDaS1E_S1F_EUlS1E_E_NS1_11comp_targetILNS1_3genE8ELNS1_11target_archE1030ELNS1_3gpuE2ELNS1_3repE0EEENS1_30default_config_static_selectorELNS0_4arch9wavefront6targetE1EEEvT1_
	.globl	_ZN7rocprim17ROCPRIM_400000_NS6detail17trampoline_kernelINS0_14default_configENS1_25partition_config_selectorILNS1_17partition_subalgoE2ExNS0_10empty_typeEbEEZZNS1_14partition_implILS5_2ELb0ES3_jN6thrust23THRUST_200600_302600_NS6detail15normal_iteratorINSA_7pointerIxNSA_11hip_rocprim3tagENSA_11use_defaultESG_EEEEPS6_NSA_18transform_iteratorI10is_orderedNSA_12zip_iteratorINSA_5tupleINSC_INSA_10device_ptrIxEEEESQ_NSA_9null_typeESR_SR_SR_SR_SR_SR_SR_EEEESG_SG_EENS0_5tupleIJPxSJ_EEENSV_IJSJ_SJ_EEES6_PlJS6_EEE10hipError_tPvRmT3_T4_T5_T6_T7_T9_mT8_P12ihipStream_tbDpT10_ENKUlT_T0_E_clISt17integral_constantIbLb0EES1J_EEDaS1E_S1F_EUlS1E_E_NS1_11comp_targetILNS1_3genE8ELNS1_11target_archE1030ELNS1_3gpuE2ELNS1_3repE0EEENS1_30default_config_static_selectorELNS0_4arch9wavefront6targetE1EEEvT1_
	.p2align	8
	.type	_ZN7rocprim17ROCPRIM_400000_NS6detail17trampoline_kernelINS0_14default_configENS1_25partition_config_selectorILNS1_17partition_subalgoE2ExNS0_10empty_typeEbEEZZNS1_14partition_implILS5_2ELb0ES3_jN6thrust23THRUST_200600_302600_NS6detail15normal_iteratorINSA_7pointerIxNSA_11hip_rocprim3tagENSA_11use_defaultESG_EEEEPS6_NSA_18transform_iteratorI10is_orderedNSA_12zip_iteratorINSA_5tupleINSC_INSA_10device_ptrIxEEEESQ_NSA_9null_typeESR_SR_SR_SR_SR_SR_SR_EEEESG_SG_EENS0_5tupleIJPxSJ_EEENSV_IJSJ_SJ_EEES6_PlJS6_EEE10hipError_tPvRmT3_T4_T5_T6_T7_T9_mT8_P12ihipStream_tbDpT10_ENKUlT_T0_E_clISt17integral_constantIbLb0EES1J_EEDaS1E_S1F_EUlS1E_E_NS1_11comp_targetILNS1_3genE8ELNS1_11target_archE1030ELNS1_3gpuE2ELNS1_3repE0EEENS1_30default_config_static_selectorELNS0_4arch9wavefront6targetE1EEEvT1_,@function
_ZN7rocprim17ROCPRIM_400000_NS6detail17trampoline_kernelINS0_14default_configENS1_25partition_config_selectorILNS1_17partition_subalgoE2ExNS0_10empty_typeEbEEZZNS1_14partition_implILS5_2ELb0ES3_jN6thrust23THRUST_200600_302600_NS6detail15normal_iteratorINSA_7pointerIxNSA_11hip_rocprim3tagENSA_11use_defaultESG_EEEEPS6_NSA_18transform_iteratorI10is_orderedNSA_12zip_iteratorINSA_5tupleINSC_INSA_10device_ptrIxEEEESQ_NSA_9null_typeESR_SR_SR_SR_SR_SR_SR_EEEESG_SG_EENS0_5tupleIJPxSJ_EEENSV_IJSJ_SJ_EEES6_PlJS6_EEE10hipError_tPvRmT3_T4_T5_T6_T7_T9_mT8_P12ihipStream_tbDpT10_ENKUlT_T0_E_clISt17integral_constantIbLb0EES1J_EEDaS1E_S1F_EUlS1E_E_NS1_11comp_targetILNS1_3genE8ELNS1_11target_archE1030ELNS1_3gpuE2ELNS1_3repE0EEENS1_30default_config_static_selectorELNS0_4arch9wavefront6targetE1EEEvT1_: ; @_ZN7rocprim17ROCPRIM_400000_NS6detail17trampoline_kernelINS0_14default_configENS1_25partition_config_selectorILNS1_17partition_subalgoE2ExNS0_10empty_typeEbEEZZNS1_14partition_implILS5_2ELb0ES3_jN6thrust23THRUST_200600_302600_NS6detail15normal_iteratorINSA_7pointerIxNSA_11hip_rocprim3tagENSA_11use_defaultESG_EEEEPS6_NSA_18transform_iteratorI10is_orderedNSA_12zip_iteratorINSA_5tupleINSC_INSA_10device_ptrIxEEEESQ_NSA_9null_typeESR_SR_SR_SR_SR_SR_SR_EEEESG_SG_EENS0_5tupleIJPxSJ_EEENSV_IJSJ_SJ_EEES6_PlJS6_EEE10hipError_tPvRmT3_T4_T5_T6_T7_T9_mT8_P12ihipStream_tbDpT10_ENKUlT_T0_E_clISt17integral_constantIbLb0EES1J_EEDaS1E_S1F_EUlS1E_E_NS1_11comp_targetILNS1_3genE8ELNS1_11target_archE1030ELNS1_3gpuE2ELNS1_3repE0EEENS1_30default_config_static_selectorELNS0_4arch9wavefront6targetE1EEEvT1_
; %bb.0:
	.section	.rodata,"a",@progbits
	.p2align	6, 0x0
	.amdhsa_kernel _ZN7rocprim17ROCPRIM_400000_NS6detail17trampoline_kernelINS0_14default_configENS1_25partition_config_selectorILNS1_17partition_subalgoE2ExNS0_10empty_typeEbEEZZNS1_14partition_implILS5_2ELb0ES3_jN6thrust23THRUST_200600_302600_NS6detail15normal_iteratorINSA_7pointerIxNSA_11hip_rocprim3tagENSA_11use_defaultESG_EEEEPS6_NSA_18transform_iteratorI10is_orderedNSA_12zip_iteratorINSA_5tupleINSC_INSA_10device_ptrIxEEEESQ_NSA_9null_typeESR_SR_SR_SR_SR_SR_SR_EEEESG_SG_EENS0_5tupleIJPxSJ_EEENSV_IJSJ_SJ_EEES6_PlJS6_EEE10hipError_tPvRmT3_T4_T5_T6_T7_T9_mT8_P12ihipStream_tbDpT10_ENKUlT_T0_E_clISt17integral_constantIbLb0EES1J_EEDaS1E_S1F_EUlS1E_E_NS1_11comp_targetILNS1_3genE8ELNS1_11target_archE1030ELNS1_3gpuE2ELNS1_3repE0EEENS1_30default_config_static_selectorELNS0_4arch9wavefront6targetE1EEEvT1_
		.amdhsa_group_segment_fixed_size 0
		.amdhsa_private_segment_fixed_size 0
		.amdhsa_kernarg_size 136
		.amdhsa_user_sgpr_count 2
		.amdhsa_user_sgpr_dispatch_ptr 0
		.amdhsa_user_sgpr_queue_ptr 0
		.amdhsa_user_sgpr_kernarg_segment_ptr 1
		.amdhsa_user_sgpr_dispatch_id 0
		.amdhsa_user_sgpr_kernarg_preload_length 0
		.amdhsa_user_sgpr_kernarg_preload_offset 0
		.amdhsa_user_sgpr_private_segment_size 0
		.amdhsa_uses_dynamic_stack 0
		.amdhsa_enable_private_segment 0
		.amdhsa_system_sgpr_workgroup_id_x 1
		.amdhsa_system_sgpr_workgroup_id_y 0
		.amdhsa_system_sgpr_workgroup_id_z 0
		.amdhsa_system_sgpr_workgroup_info 0
		.amdhsa_system_vgpr_workitem_id 0
		.amdhsa_next_free_vgpr 1
		.amdhsa_next_free_sgpr 0
		.amdhsa_accum_offset 4
		.amdhsa_reserve_vcc 0
		.amdhsa_float_round_mode_32 0
		.amdhsa_float_round_mode_16_64 0
		.amdhsa_float_denorm_mode_32 3
		.amdhsa_float_denorm_mode_16_64 3
		.amdhsa_dx10_clamp 1
		.amdhsa_ieee_mode 1
		.amdhsa_fp16_overflow 0
		.amdhsa_tg_split 0
		.amdhsa_exception_fp_ieee_invalid_op 0
		.amdhsa_exception_fp_denorm_src 0
		.amdhsa_exception_fp_ieee_div_zero 0
		.amdhsa_exception_fp_ieee_overflow 0
		.amdhsa_exception_fp_ieee_underflow 0
		.amdhsa_exception_fp_ieee_inexact 0
		.amdhsa_exception_int_div_zero 0
	.end_amdhsa_kernel
	.section	.text._ZN7rocprim17ROCPRIM_400000_NS6detail17trampoline_kernelINS0_14default_configENS1_25partition_config_selectorILNS1_17partition_subalgoE2ExNS0_10empty_typeEbEEZZNS1_14partition_implILS5_2ELb0ES3_jN6thrust23THRUST_200600_302600_NS6detail15normal_iteratorINSA_7pointerIxNSA_11hip_rocprim3tagENSA_11use_defaultESG_EEEEPS6_NSA_18transform_iteratorI10is_orderedNSA_12zip_iteratorINSA_5tupleINSC_INSA_10device_ptrIxEEEESQ_NSA_9null_typeESR_SR_SR_SR_SR_SR_SR_EEEESG_SG_EENS0_5tupleIJPxSJ_EEENSV_IJSJ_SJ_EEES6_PlJS6_EEE10hipError_tPvRmT3_T4_T5_T6_T7_T9_mT8_P12ihipStream_tbDpT10_ENKUlT_T0_E_clISt17integral_constantIbLb0EES1J_EEDaS1E_S1F_EUlS1E_E_NS1_11comp_targetILNS1_3genE8ELNS1_11target_archE1030ELNS1_3gpuE2ELNS1_3repE0EEENS1_30default_config_static_selectorELNS0_4arch9wavefront6targetE1EEEvT1_,"axG",@progbits,_ZN7rocprim17ROCPRIM_400000_NS6detail17trampoline_kernelINS0_14default_configENS1_25partition_config_selectorILNS1_17partition_subalgoE2ExNS0_10empty_typeEbEEZZNS1_14partition_implILS5_2ELb0ES3_jN6thrust23THRUST_200600_302600_NS6detail15normal_iteratorINSA_7pointerIxNSA_11hip_rocprim3tagENSA_11use_defaultESG_EEEEPS6_NSA_18transform_iteratorI10is_orderedNSA_12zip_iteratorINSA_5tupleINSC_INSA_10device_ptrIxEEEESQ_NSA_9null_typeESR_SR_SR_SR_SR_SR_SR_EEEESG_SG_EENS0_5tupleIJPxSJ_EEENSV_IJSJ_SJ_EEES6_PlJS6_EEE10hipError_tPvRmT3_T4_T5_T6_T7_T9_mT8_P12ihipStream_tbDpT10_ENKUlT_T0_E_clISt17integral_constantIbLb0EES1J_EEDaS1E_S1F_EUlS1E_E_NS1_11comp_targetILNS1_3genE8ELNS1_11target_archE1030ELNS1_3gpuE2ELNS1_3repE0EEENS1_30default_config_static_selectorELNS0_4arch9wavefront6targetE1EEEvT1_,comdat
.Lfunc_end3569:
	.size	_ZN7rocprim17ROCPRIM_400000_NS6detail17trampoline_kernelINS0_14default_configENS1_25partition_config_selectorILNS1_17partition_subalgoE2ExNS0_10empty_typeEbEEZZNS1_14partition_implILS5_2ELb0ES3_jN6thrust23THRUST_200600_302600_NS6detail15normal_iteratorINSA_7pointerIxNSA_11hip_rocprim3tagENSA_11use_defaultESG_EEEEPS6_NSA_18transform_iteratorI10is_orderedNSA_12zip_iteratorINSA_5tupleINSC_INSA_10device_ptrIxEEEESQ_NSA_9null_typeESR_SR_SR_SR_SR_SR_SR_EEEESG_SG_EENS0_5tupleIJPxSJ_EEENSV_IJSJ_SJ_EEES6_PlJS6_EEE10hipError_tPvRmT3_T4_T5_T6_T7_T9_mT8_P12ihipStream_tbDpT10_ENKUlT_T0_E_clISt17integral_constantIbLb0EES1J_EEDaS1E_S1F_EUlS1E_E_NS1_11comp_targetILNS1_3genE8ELNS1_11target_archE1030ELNS1_3gpuE2ELNS1_3repE0EEENS1_30default_config_static_selectorELNS0_4arch9wavefront6targetE1EEEvT1_, .Lfunc_end3569-_ZN7rocprim17ROCPRIM_400000_NS6detail17trampoline_kernelINS0_14default_configENS1_25partition_config_selectorILNS1_17partition_subalgoE2ExNS0_10empty_typeEbEEZZNS1_14partition_implILS5_2ELb0ES3_jN6thrust23THRUST_200600_302600_NS6detail15normal_iteratorINSA_7pointerIxNSA_11hip_rocprim3tagENSA_11use_defaultESG_EEEEPS6_NSA_18transform_iteratorI10is_orderedNSA_12zip_iteratorINSA_5tupleINSC_INSA_10device_ptrIxEEEESQ_NSA_9null_typeESR_SR_SR_SR_SR_SR_SR_EEEESG_SG_EENS0_5tupleIJPxSJ_EEENSV_IJSJ_SJ_EEES6_PlJS6_EEE10hipError_tPvRmT3_T4_T5_T6_T7_T9_mT8_P12ihipStream_tbDpT10_ENKUlT_T0_E_clISt17integral_constantIbLb0EES1J_EEDaS1E_S1F_EUlS1E_E_NS1_11comp_targetILNS1_3genE8ELNS1_11target_archE1030ELNS1_3gpuE2ELNS1_3repE0EEENS1_30default_config_static_selectorELNS0_4arch9wavefront6targetE1EEEvT1_
                                        ; -- End function
	.section	.AMDGPU.csdata,"",@progbits
; Kernel info:
; codeLenInByte = 0
; NumSgprs: 6
; NumVgprs: 0
; NumAgprs: 0
; TotalNumVgprs: 0
; ScratchSize: 0
; MemoryBound: 0
; FloatMode: 240
; IeeeMode: 1
; LDSByteSize: 0 bytes/workgroup (compile time only)
; SGPRBlocks: 0
; VGPRBlocks: 0
; NumSGPRsForWavesPerEU: 6
; NumVGPRsForWavesPerEU: 1
; AccumOffset: 4
; Occupancy: 8
; WaveLimiterHint : 0
; COMPUTE_PGM_RSRC2:SCRATCH_EN: 0
; COMPUTE_PGM_RSRC2:USER_SGPR: 2
; COMPUTE_PGM_RSRC2:TRAP_HANDLER: 0
; COMPUTE_PGM_RSRC2:TGID_X_EN: 1
; COMPUTE_PGM_RSRC2:TGID_Y_EN: 0
; COMPUTE_PGM_RSRC2:TGID_Z_EN: 0
; COMPUTE_PGM_RSRC2:TIDIG_COMP_CNT: 0
; COMPUTE_PGM_RSRC3_GFX90A:ACCUM_OFFSET: 0
; COMPUTE_PGM_RSRC3_GFX90A:TG_SPLIT: 0
	.section	.text._ZN7rocprim17ROCPRIM_400000_NS6detail17trampoline_kernelINS0_14default_configENS1_25partition_config_selectorILNS1_17partition_subalgoE2ExNS0_10empty_typeEbEEZZNS1_14partition_implILS5_2ELb0ES3_jN6thrust23THRUST_200600_302600_NS6detail15normal_iteratorINSA_7pointerIxNSA_11hip_rocprim3tagENSA_11use_defaultESG_EEEEPS6_NSA_18transform_iteratorI10is_orderedNSA_12zip_iteratorINSA_5tupleINSC_INSA_10device_ptrIxEEEESQ_NSA_9null_typeESR_SR_SR_SR_SR_SR_SR_EEEESG_SG_EENS0_5tupleIJPxSJ_EEENSV_IJSJ_SJ_EEES6_PlJS6_EEE10hipError_tPvRmT3_T4_T5_T6_T7_T9_mT8_P12ihipStream_tbDpT10_ENKUlT_T0_E_clISt17integral_constantIbLb1EES1J_EEDaS1E_S1F_EUlS1E_E_NS1_11comp_targetILNS1_3genE0ELNS1_11target_archE4294967295ELNS1_3gpuE0ELNS1_3repE0EEENS1_30default_config_static_selectorELNS0_4arch9wavefront6targetE1EEEvT1_,"axG",@progbits,_ZN7rocprim17ROCPRIM_400000_NS6detail17trampoline_kernelINS0_14default_configENS1_25partition_config_selectorILNS1_17partition_subalgoE2ExNS0_10empty_typeEbEEZZNS1_14partition_implILS5_2ELb0ES3_jN6thrust23THRUST_200600_302600_NS6detail15normal_iteratorINSA_7pointerIxNSA_11hip_rocprim3tagENSA_11use_defaultESG_EEEEPS6_NSA_18transform_iteratorI10is_orderedNSA_12zip_iteratorINSA_5tupleINSC_INSA_10device_ptrIxEEEESQ_NSA_9null_typeESR_SR_SR_SR_SR_SR_SR_EEEESG_SG_EENS0_5tupleIJPxSJ_EEENSV_IJSJ_SJ_EEES6_PlJS6_EEE10hipError_tPvRmT3_T4_T5_T6_T7_T9_mT8_P12ihipStream_tbDpT10_ENKUlT_T0_E_clISt17integral_constantIbLb1EES1J_EEDaS1E_S1F_EUlS1E_E_NS1_11comp_targetILNS1_3genE0ELNS1_11target_archE4294967295ELNS1_3gpuE0ELNS1_3repE0EEENS1_30default_config_static_selectorELNS0_4arch9wavefront6targetE1EEEvT1_,comdat
	.protected	_ZN7rocprim17ROCPRIM_400000_NS6detail17trampoline_kernelINS0_14default_configENS1_25partition_config_selectorILNS1_17partition_subalgoE2ExNS0_10empty_typeEbEEZZNS1_14partition_implILS5_2ELb0ES3_jN6thrust23THRUST_200600_302600_NS6detail15normal_iteratorINSA_7pointerIxNSA_11hip_rocprim3tagENSA_11use_defaultESG_EEEEPS6_NSA_18transform_iteratorI10is_orderedNSA_12zip_iteratorINSA_5tupleINSC_INSA_10device_ptrIxEEEESQ_NSA_9null_typeESR_SR_SR_SR_SR_SR_SR_EEEESG_SG_EENS0_5tupleIJPxSJ_EEENSV_IJSJ_SJ_EEES6_PlJS6_EEE10hipError_tPvRmT3_T4_T5_T6_T7_T9_mT8_P12ihipStream_tbDpT10_ENKUlT_T0_E_clISt17integral_constantIbLb1EES1J_EEDaS1E_S1F_EUlS1E_E_NS1_11comp_targetILNS1_3genE0ELNS1_11target_archE4294967295ELNS1_3gpuE0ELNS1_3repE0EEENS1_30default_config_static_selectorELNS0_4arch9wavefront6targetE1EEEvT1_ ; -- Begin function _ZN7rocprim17ROCPRIM_400000_NS6detail17trampoline_kernelINS0_14default_configENS1_25partition_config_selectorILNS1_17partition_subalgoE2ExNS0_10empty_typeEbEEZZNS1_14partition_implILS5_2ELb0ES3_jN6thrust23THRUST_200600_302600_NS6detail15normal_iteratorINSA_7pointerIxNSA_11hip_rocprim3tagENSA_11use_defaultESG_EEEEPS6_NSA_18transform_iteratorI10is_orderedNSA_12zip_iteratorINSA_5tupleINSC_INSA_10device_ptrIxEEEESQ_NSA_9null_typeESR_SR_SR_SR_SR_SR_SR_EEEESG_SG_EENS0_5tupleIJPxSJ_EEENSV_IJSJ_SJ_EEES6_PlJS6_EEE10hipError_tPvRmT3_T4_T5_T6_T7_T9_mT8_P12ihipStream_tbDpT10_ENKUlT_T0_E_clISt17integral_constantIbLb1EES1J_EEDaS1E_S1F_EUlS1E_E_NS1_11comp_targetILNS1_3genE0ELNS1_11target_archE4294967295ELNS1_3gpuE0ELNS1_3repE0EEENS1_30default_config_static_selectorELNS0_4arch9wavefront6targetE1EEEvT1_
	.globl	_ZN7rocprim17ROCPRIM_400000_NS6detail17trampoline_kernelINS0_14default_configENS1_25partition_config_selectorILNS1_17partition_subalgoE2ExNS0_10empty_typeEbEEZZNS1_14partition_implILS5_2ELb0ES3_jN6thrust23THRUST_200600_302600_NS6detail15normal_iteratorINSA_7pointerIxNSA_11hip_rocprim3tagENSA_11use_defaultESG_EEEEPS6_NSA_18transform_iteratorI10is_orderedNSA_12zip_iteratorINSA_5tupleINSC_INSA_10device_ptrIxEEEESQ_NSA_9null_typeESR_SR_SR_SR_SR_SR_SR_EEEESG_SG_EENS0_5tupleIJPxSJ_EEENSV_IJSJ_SJ_EEES6_PlJS6_EEE10hipError_tPvRmT3_T4_T5_T6_T7_T9_mT8_P12ihipStream_tbDpT10_ENKUlT_T0_E_clISt17integral_constantIbLb1EES1J_EEDaS1E_S1F_EUlS1E_E_NS1_11comp_targetILNS1_3genE0ELNS1_11target_archE4294967295ELNS1_3gpuE0ELNS1_3repE0EEENS1_30default_config_static_selectorELNS0_4arch9wavefront6targetE1EEEvT1_
	.p2align	8
	.type	_ZN7rocprim17ROCPRIM_400000_NS6detail17trampoline_kernelINS0_14default_configENS1_25partition_config_selectorILNS1_17partition_subalgoE2ExNS0_10empty_typeEbEEZZNS1_14partition_implILS5_2ELb0ES3_jN6thrust23THRUST_200600_302600_NS6detail15normal_iteratorINSA_7pointerIxNSA_11hip_rocprim3tagENSA_11use_defaultESG_EEEEPS6_NSA_18transform_iteratorI10is_orderedNSA_12zip_iteratorINSA_5tupleINSC_INSA_10device_ptrIxEEEESQ_NSA_9null_typeESR_SR_SR_SR_SR_SR_SR_EEEESG_SG_EENS0_5tupleIJPxSJ_EEENSV_IJSJ_SJ_EEES6_PlJS6_EEE10hipError_tPvRmT3_T4_T5_T6_T7_T9_mT8_P12ihipStream_tbDpT10_ENKUlT_T0_E_clISt17integral_constantIbLb1EES1J_EEDaS1E_S1F_EUlS1E_E_NS1_11comp_targetILNS1_3genE0ELNS1_11target_archE4294967295ELNS1_3gpuE0ELNS1_3repE0EEENS1_30default_config_static_selectorELNS0_4arch9wavefront6targetE1EEEvT1_,@function
_ZN7rocprim17ROCPRIM_400000_NS6detail17trampoline_kernelINS0_14default_configENS1_25partition_config_selectorILNS1_17partition_subalgoE2ExNS0_10empty_typeEbEEZZNS1_14partition_implILS5_2ELb0ES3_jN6thrust23THRUST_200600_302600_NS6detail15normal_iteratorINSA_7pointerIxNSA_11hip_rocprim3tagENSA_11use_defaultESG_EEEEPS6_NSA_18transform_iteratorI10is_orderedNSA_12zip_iteratorINSA_5tupleINSC_INSA_10device_ptrIxEEEESQ_NSA_9null_typeESR_SR_SR_SR_SR_SR_SR_EEEESG_SG_EENS0_5tupleIJPxSJ_EEENSV_IJSJ_SJ_EEES6_PlJS6_EEE10hipError_tPvRmT3_T4_T5_T6_T7_T9_mT8_P12ihipStream_tbDpT10_ENKUlT_T0_E_clISt17integral_constantIbLb1EES1J_EEDaS1E_S1F_EUlS1E_E_NS1_11comp_targetILNS1_3genE0ELNS1_11target_archE4294967295ELNS1_3gpuE0ELNS1_3repE0EEENS1_30default_config_static_selectorELNS0_4arch9wavefront6targetE1EEEvT1_: ; @_ZN7rocprim17ROCPRIM_400000_NS6detail17trampoline_kernelINS0_14default_configENS1_25partition_config_selectorILNS1_17partition_subalgoE2ExNS0_10empty_typeEbEEZZNS1_14partition_implILS5_2ELb0ES3_jN6thrust23THRUST_200600_302600_NS6detail15normal_iteratorINSA_7pointerIxNSA_11hip_rocprim3tagENSA_11use_defaultESG_EEEEPS6_NSA_18transform_iteratorI10is_orderedNSA_12zip_iteratorINSA_5tupleINSC_INSA_10device_ptrIxEEEESQ_NSA_9null_typeESR_SR_SR_SR_SR_SR_SR_EEEESG_SG_EENS0_5tupleIJPxSJ_EEENSV_IJSJ_SJ_EEES6_PlJS6_EEE10hipError_tPvRmT3_T4_T5_T6_T7_T9_mT8_P12ihipStream_tbDpT10_ENKUlT_T0_E_clISt17integral_constantIbLb1EES1J_EEDaS1E_S1F_EUlS1E_E_NS1_11comp_targetILNS1_3genE0ELNS1_11target_archE4294967295ELNS1_3gpuE0ELNS1_3repE0EEENS1_30default_config_static_selectorELNS0_4arch9wavefront6targetE1EEEvT1_
; %bb.0:
	.section	.rodata,"a",@progbits
	.p2align	6, 0x0
	.amdhsa_kernel _ZN7rocprim17ROCPRIM_400000_NS6detail17trampoline_kernelINS0_14default_configENS1_25partition_config_selectorILNS1_17partition_subalgoE2ExNS0_10empty_typeEbEEZZNS1_14partition_implILS5_2ELb0ES3_jN6thrust23THRUST_200600_302600_NS6detail15normal_iteratorINSA_7pointerIxNSA_11hip_rocprim3tagENSA_11use_defaultESG_EEEEPS6_NSA_18transform_iteratorI10is_orderedNSA_12zip_iteratorINSA_5tupleINSC_INSA_10device_ptrIxEEEESQ_NSA_9null_typeESR_SR_SR_SR_SR_SR_SR_EEEESG_SG_EENS0_5tupleIJPxSJ_EEENSV_IJSJ_SJ_EEES6_PlJS6_EEE10hipError_tPvRmT3_T4_T5_T6_T7_T9_mT8_P12ihipStream_tbDpT10_ENKUlT_T0_E_clISt17integral_constantIbLb1EES1J_EEDaS1E_S1F_EUlS1E_E_NS1_11comp_targetILNS1_3genE0ELNS1_11target_archE4294967295ELNS1_3gpuE0ELNS1_3repE0EEENS1_30default_config_static_selectorELNS0_4arch9wavefront6targetE1EEEvT1_
		.amdhsa_group_segment_fixed_size 0
		.amdhsa_private_segment_fixed_size 0
		.amdhsa_kernarg_size 152
		.amdhsa_user_sgpr_count 2
		.amdhsa_user_sgpr_dispatch_ptr 0
		.amdhsa_user_sgpr_queue_ptr 0
		.amdhsa_user_sgpr_kernarg_segment_ptr 1
		.amdhsa_user_sgpr_dispatch_id 0
		.amdhsa_user_sgpr_kernarg_preload_length 0
		.amdhsa_user_sgpr_kernarg_preload_offset 0
		.amdhsa_user_sgpr_private_segment_size 0
		.amdhsa_uses_dynamic_stack 0
		.amdhsa_enable_private_segment 0
		.amdhsa_system_sgpr_workgroup_id_x 1
		.amdhsa_system_sgpr_workgroup_id_y 0
		.amdhsa_system_sgpr_workgroup_id_z 0
		.amdhsa_system_sgpr_workgroup_info 0
		.amdhsa_system_vgpr_workitem_id 0
		.amdhsa_next_free_vgpr 1
		.amdhsa_next_free_sgpr 0
		.amdhsa_accum_offset 4
		.amdhsa_reserve_vcc 0
		.amdhsa_float_round_mode_32 0
		.amdhsa_float_round_mode_16_64 0
		.amdhsa_float_denorm_mode_32 3
		.amdhsa_float_denorm_mode_16_64 3
		.amdhsa_dx10_clamp 1
		.amdhsa_ieee_mode 1
		.amdhsa_fp16_overflow 0
		.amdhsa_tg_split 0
		.amdhsa_exception_fp_ieee_invalid_op 0
		.amdhsa_exception_fp_denorm_src 0
		.amdhsa_exception_fp_ieee_div_zero 0
		.amdhsa_exception_fp_ieee_overflow 0
		.amdhsa_exception_fp_ieee_underflow 0
		.amdhsa_exception_fp_ieee_inexact 0
		.amdhsa_exception_int_div_zero 0
	.end_amdhsa_kernel
	.section	.text._ZN7rocprim17ROCPRIM_400000_NS6detail17trampoline_kernelINS0_14default_configENS1_25partition_config_selectorILNS1_17partition_subalgoE2ExNS0_10empty_typeEbEEZZNS1_14partition_implILS5_2ELb0ES3_jN6thrust23THRUST_200600_302600_NS6detail15normal_iteratorINSA_7pointerIxNSA_11hip_rocprim3tagENSA_11use_defaultESG_EEEEPS6_NSA_18transform_iteratorI10is_orderedNSA_12zip_iteratorINSA_5tupleINSC_INSA_10device_ptrIxEEEESQ_NSA_9null_typeESR_SR_SR_SR_SR_SR_SR_EEEESG_SG_EENS0_5tupleIJPxSJ_EEENSV_IJSJ_SJ_EEES6_PlJS6_EEE10hipError_tPvRmT3_T4_T5_T6_T7_T9_mT8_P12ihipStream_tbDpT10_ENKUlT_T0_E_clISt17integral_constantIbLb1EES1J_EEDaS1E_S1F_EUlS1E_E_NS1_11comp_targetILNS1_3genE0ELNS1_11target_archE4294967295ELNS1_3gpuE0ELNS1_3repE0EEENS1_30default_config_static_selectorELNS0_4arch9wavefront6targetE1EEEvT1_,"axG",@progbits,_ZN7rocprim17ROCPRIM_400000_NS6detail17trampoline_kernelINS0_14default_configENS1_25partition_config_selectorILNS1_17partition_subalgoE2ExNS0_10empty_typeEbEEZZNS1_14partition_implILS5_2ELb0ES3_jN6thrust23THRUST_200600_302600_NS6detail15normal_iteratorINSA_7pointerIxNSA_11hip_rocprim3tagENSA_11use_defaultESG_EEEEPS6_NSA_18transform_iteratorI10is_orderedNSA_12zip_iteratorINSA_5tupleINSC_INSA_10device_ptrIxEEEESQ_NSA_9null_typeESR_SR_SR_SR_SR_SR_SR_EEEESG_SG_EENS0_5tupleIJPxSJ_EEENSV_IJSJ_SJ_EEES6_PlJS6_EEE10hipError_tPvRmT3_T4_T5_T6_T7_T9_mT8_P12ihipStream_tbDpT10_ENKUlT_T0_E_clISt17integral_constantIbLb1EES1J_EEDaS1E_S1F_EUlS1E_E_NS1_11comp_targetILNS1_3genE0ELNS1_11target_archE4294967295ELNS1_3gpuE0ELNS1_3repE0EEENS1_30default_config_static_selectorELNS0_4arch9wavefront6targetE1EEEvT1_,comdat
.Lfunc_end3570:
	.size	_ZN7rocprim17ROCPRIM_400000_NS6detail17trampoline_kernelINS0_14default_configENS1_25partition_config_selectorILNS1_17partition_subalgoE2ExNS0_10empty_typeEbEEZZNS1_14partition_implILS5_2ELb0ES3_jN6thrust23THRUST_200600_302600_NS6detail15normal_iteratorINSA_7pointerIxNSA_11hip_rocprim3tagENSA_11use_defaultESG_EEEEPS6_NSA_18transform_iteratorI10is_orderedNSA_12zip_iteratorINSA_5tupleINSC_INSA_10device_ptrIxEEEESQ_NSA_9null_typeESR_SR_SR_SR_SR_SR_SR_EEEESG_SG_EENS0_5tupleIJPxSJ_EEENSV_IJSJ_SJ_EEES6_PlJS6_EEE10hipError_tPvRmT3_T4_T5_T6_T7_T9_mT8_P12ihipStream_tbDpT10_ENKUlT_T0_E_clISt17integral_constantIbLb1EES1J_EEDaS1E_S1F_EUlS1E_E_NS1_11comp_targetILNS1_3genE0ELNS1_11target_archE4294967295ELNS1_3gpuE0ELNS1_3repE0EEENS1_30default_config_static_selectorELNS0_4arch9wavefront6targetE1EEEvT1_, .Lfunc_end3570-_ZN7rocprim17ROCPRIM_400000_NS6detail17trampoline_kernelINS0_14default_configENS1_25partition_config_selectorILNS1_17partition_subalgoE2ExNS0_10empty_typeEbEEZZNS1_14partition_implILS5_2ELb0ES3_jN6thrust23THRUST_200600_302600_NS6detail15normal_iteratorINSA_7pointerIxNSA_11hip_rocprim3tagENSA_11use_defaultESG_EEEEPS6_NSA_18transform_iteratorI10is_orderedNSA_12zip_iteratorINSA_5tupleINSC_INSA_10device_ptrIxEEEESQ_NSA_9null_typeESR_SR_SR_SR_SR_SR_SR_EEEESG_SG_EENS0_5tupleIJPxSJ_EEENSV_IJSJ_SJ_EEES6_PlJS6_EEE10hipError_tPvRmT3_T4_T5_T6_T7_T9_mT8_P12ihipStream_tbDpT10_ENKUlT_T0_E_clISt17integral_constantIbLb1EES1J_EEDaS1E_S1F_EUlS1E_E_NS1_11comp_targetILNS1_3genE0ELNS1_11target_archE4294967295ELNS1_3gpuE0ELNS1_3repE0EEENS1_30default_config_static_selectorELNS0_4arch9wavefront6targetE1EEEvT1_
                                        ; -- End function
	.section	.AMDGPU.csdata,"",@progbits
; Kernel info:
; codeLenInByte = 0
; NumSgprs: 6
; NumVgprs: 0
; NumAgprs: 0
; TotalNumVgprs: 0
; ScratchSize: 0
; MemoryBound: 0
; FloatMode: 240
; IeeeMode: 1
; LDSByteSize: 0 bytes/workgroup (compile time only)
; SGPRBlocks: 0
; VGPRBlocks: 0
; NumSGPRsForWavesPerEU: 6
; NumVGPRsForWavesPerEU: 1
; AccumOffset: 4
; Occupancy: 8
; WaveLimiterHint : 0
; COMPUTE_PGM_RSRC2:SCRATCH_EN: 0
; COMPUTE_PGM_RSRC2:USER_SGPR: 2
; COMPUTE_PGM_RSRC2:TRAP_HANDLER: 0
; COMPUTE_PGM_RSRC2:TGID_X_EN: 1
; COMPUTE_PGM_RSRC2:TGID_Y_EN: 0
; COMPUTE_PGM_RSRC2:TGID_Z_EN: 0
; COMPUTE_PGM_RSRC2:TIDIG_COMP_CNT: 0
; COMPUTE_PGM_RSRC3_GFX90A:ACCUM_OFFSET: 0
; COMPUTE_PGM_RSRC3_GFX90A:TG_SPLIT: 0
	.section	.text._ZN7rocprim17ROCPRIM_400000_NS6detail17trampoline_kernelINS0_14default_configENS1_25partition_config_selectorILNS1_17partition_subalgoE2ExNS0_10empty_typeEbEEZZNS1_14partition_implILS5_2ELb0ES3_jN6thrust23THRUST_200600_302600_NS6detail15normal_iteratorINSA_7pointerIxNSA_11hip_rocprim3tagENSA_11use_defaultESG_EEEEPS6_NSA_18transform_iteratorI10is_orderedNSA_12zip_iteratorINSA_5tupleINSC_INSA_10device_ptrIxEEEESQ_NSA_9null_typeESR_SR_SR_SR_SR_SR_SR_EEEESG_SG_EENS0_5tupleIJPxSJ_EEENSV_IJSJ_SJ_EEES6_PlJS6_EEE10hipError_tPvRmT3_T4_T5_T6_T7_T9_mT8_P12ihipStream_tbDpT10_ENKUlT_T0_E_clISt17integral_constantIbLb1EES1J_EEDaS1E_S1F_EUlS1E_E_NS1_11comp_targetILNS1_3genE5ELNS1_11target_archE942ELNS1_3gpuE9ELNS1_3repE0EEENS1_30default_config_static_selectorELNS0_4arch9wavefront6targetE1EEEvT1_,"axG",@progbits,_ZN7rocprim17ROCPRIM_400000_NS6detail17trampoline_kernelINS0_14default_configENS1_25partition_config_selectorILNS1_17partition_subalgoE2ExNS0_10empty_typeEbEEZZNS1_14partition_implILS5_2ELb0ES3_jN6thrust23THRUST_200600_302600_NS6detail15normal_iteratorINSA_7pointerIxNSA_11hip_rocprim3tagENSA_11use_defaultESG_EEEEPS6_NSA_18transform_iteratorI10is_orderedNSA_12zip_iteratorINSA_5tupleINSC_INSA_10device_ptrIxEEEESQ_NSA_9null_typeESR_SR_SR_SR_SR_SR_SR_EEEESG_SG_EENS0_5tupleIJPxSJ_EEENSV_IJSJ_SJ_EEES6_PlJS6_EEE10hipError_tPvRmT3_T4_T5_T6_T7_T9_mT8_P12ihipStream_tbDpT10_ENKUlT_T0_E_clISt17integral_constantIbLb1EES1J_EEDaS1E_S1F_EUlS1E_E_NS1_11comp_targetILNS1_3genE5ELNS1_11target_archE942ELNS1_3gpuE9ELNS1_3repE0EEENS1_30default_config_static_selectorELNS0_4arch9wavefront6targetE1EEEvT1_,comdat
	.protected	_ZN7rocprim17ROCPRIM_400000_NS6detail17trampoline_kernelINS0_14default_configENS1_25partition_config_selectorILNS1_17partition_subalgoE2ExNS0_10empty_typeEbEEZZNS1_14partition_implILS5_2ELb0ES3_jN6thrust23THRUST_200600_302600_NS6detail15normal_iteratorINSA_7pointerIxNSA_11hip_rocprim3tagENSA_11use_defaultESG_EEEEPS6_NSA_18transform_iteratorI10is_orderedNSA_12zip_iteratorINSA_5tupleINSC_INSA_10device_ptrIxEEEESQ_NSA_9null_typeESR_SR_SR_SR_SR_SR_SR_EEEESG_SG_EENS0_5tupleIJPxSJ_EEENSV_IJSJ_SJ_EEES6_PlJS6_EEE10hipError_tPvRmT3_T4_T5_T6_T7_T9_mT8_P12ihipStream_tbDpT10_ENKUlT_T0_E_clISt17integral_constantIbLb1EES1J_EEDaS1E_S1F_EUlS1E_E_NS1_11comp_targetILNS1_3genE5ELNS1_11target_archE942ELNS1_3gpuE9ELNS1_3repE0EEENS1_30default_config_static_selectorELNS0_4arch9wavefront6targetE1EEEvT1_ ; -- Begin function _ZN7rocprim17ROCPRIM_400000_NS6detail17trampoline_kernelINS0_14default_configENS1_25partition_config_selectorILNS1_17partition_subalgoE2ExNS0_10empty_typeEbEEZZNS1_14partition_implILS5_2ELb0ES3_jN6thrust23THRUST_200600_302600_NS6detail15normal_iteratorINSA_7pointerIxNSA_11hip_rocprim3tagENSA_11use_defaultESG_EEEEPS6_NSA_18transform_iteratorI10is_orderedNSA_12zip_iteratorINSA_5tupleINSC_INSA_10device_ptrIxEEEESQ_NSA_9null_typeESR_SR_SR_SR_SR_SR_SR_EEEESG_SG_EENS0_5tupleIJPxSJ_EEENSV_IJSJ_SJ_EEES6_PlJS6_EEE10hipError_tPvRmT3_T4_T5_T6_T7_T9_mT8_P12ihipStream_tbDpT10_ENKUlT_T0_E_clISt17integral_constantIbLb1EES1J_EEDaS1E_S1F_EUlS1E_E_NS1_11comp_targetILNS1_3genE5ELNS1_11target_archE942ELNS1_3gpuE9ELNS1_3repE0EEENS1_30default_config_static_selectorELNS0_4arch9wavefront6targetE1EEEvT1_
	.globl	_ZN7rocprim17ROCPRIM_400000_NS6detail17trampoline_kernelINS0_14default_configENS1_25partition_config_selectorILNS1_17partition_subalgoE2ExNS0_10empty_typeEbEEZZNS1_14partition_implILS5_2ELb0ES3_jN6thrust23THRUST_200600_302600_NS6detail15normal_iteratorINSA_7pointerIxNSA_11hip_rocprim3tagENSA_11use_defaultESG_EEEEPS6_NSA_18transform_iteratorI10is_orderedNSA_12zip_iteratorINSA_5tupleINSC_INSA_10device_ptrIxEEEESQ_NSA_9null_typeESR_SR_SR_SR_SR_SR_SR_EEEESG_SG_EENS0_5tupleIJPxSJ_EEENSV_IJSJ_SJ_EEES6_PlJS6_EEE10hipError_tPvRmT3_T4_T5_T6_T7_T9_mT8_P12ihipStream_tbDpT10_ENKUlT_T0_E_clISt17integral_constantIbLb1EES1J_EEDaS1E_S1F_EUlS1E_E_NS1_11comp_targetILNS1_3genE5ELNS1_11target_archE942ELNS1_3gpuE9ELNS1_3repE0EEENS1_30default_config_static_selectorELNS0_4arch9wavefront6targetE1EEEvT1_
	.p2align	8
	.type	_ZN7rocprim17ROCPRIM_400000_NS6detail17trampoline_kernelINS0_14default_configENS1_25partition_config_selectorILNS1_17partition_subalgoE2ExNS0_10empty_typeEbEEZZNS1_14partition_implILS5_2ELb0ES3_jN6thrust23THRUST_200600_302600_NS6detail15normal_iteratorINSA_7pointerIxNSA_11hip_rocprim3tagENSA_11use_defaultESG_EEEEPS6_NSA_18transform_iteratorI10is_orderedNSA_12zip_iteratorINSA_5tupleINSC_INSA_10device_ptrIxEEEESQ_NSA_9null_typeESR_SR_SR_SR_SR_SR_SR_EEEESG_SG_EENS0_5tupleIJPxSJ_EEENSV_IJSJ_SJ_EEES6_PlJS6_EEE10hipError_tPvRmT3_T4_T5_T6_T7_T9_mT8_P12ihipStream_tbDpT10_ENKUlT_T0_E_clISt17integral_constantIbLb1EES1J_EEDaS1E_S1F_EUlS1E_E_NS1_11comp_targetILNS1_3genE5ELNS1_11target_archE942ELNS1_3gpuE9ELNS1_3repE0EEENS1_30default_config_static_selectorELNS0_4arch9wavefront6targetE1EEEvT1_,@function
_ZN7rocprim17ROCPRIM_400000_NS6detail17trampoline_kernelINS0_14default_configENS1_25partition_config_selectorILNS1_17partition_subalgoE2ExNS0_10empty_typeEbEEZZNS1_14partition_implILS5_2ELb0ES3_jN6thrust23THRUST_200600_302600_NS6detail15normal_iteratorINSA_7pointerIxNSA_11hip_rocprim3tagENSA_11use_defaultESG_EEEEPS6_NSA_18transform_iteratorI10is_orderedNSA_12zip_iteratorINSA_5tupleINSC_INSA_10device_ptrIxEEEESQ_NSA_9null_typeESR_SR_SR_SR_SR_SR_SR_EEEESG_SG_EENS0_5tupleIJPxSJ_EEENSV_IJSJ_SJ_EEES6_PlJS6_EEE10hipError_tPvRmT3_T4_T5_T6_T7_T9_mT8_P12ihipStream_tbDpT10_ENKUlT_T0_E_clISt17integral_constantIbLb1EES1J_EEDaS1E_S1F_EUlS1E_E_NS1_11comp_targetILNS1_3genE5ELNS1_11target_archE942ELNS1_3gpuE9ELNS1_3repE0EEENS1_30default_config_static_selectorELNS0_4arch9wavefront6targetE1EEEvT1_: ; @_ZN7rocprim17ROCPRIM_400000_NS6detail17trampoline_kernelINS0_14default_configENS1_25partition_config_selectorILNS1_17partition_subalgoE2ExNS0_10empty_typeEbEEZZNS1_14partition_implILS5_2ELb0ES3_jN6thrust23THRUST_200600_302600_NS6detail15normal_iteratorINSA_7pointerIxNSA_11hip_rocprim3tagENSA_11use_defaultESG_EEEEPS6_NSA_18transform_iteratorI10is_orderedNSA_12zip_iteratorINSA_5tupleINSC_INSA_10device_ptrIxEEEESQ_NSA_9null_typeESR_SR_SR_SR_SR_SR_SR_EEEESG_SG_EENS0_5tupleIJPxSJ_EEENSV_IJSJ_SJ_EEES6_PlJS6_EEE10hipError_tPvRmT3_T4_T5_T6_T7_T9_mT8_P12ihipStream_tbDpT10_ENKUlT_T0_E_clISt17integral_constantIbLb1EES1J_EEDaS1E_S1F_EUlS1E_E_NS1_11comp_targetILNS1_3genE5ELNS1_11target_archE942ELNS1_3gpuE9ELNS1_3repE0EEENS1_30default_config_static_selectorELNS0_4arch9wavefront6targetE1EEEvT1_
; %bb.0:
	s_load_dwordx2 s[28:29], s[0:1], 0x38
	s_load_dwordx4 s[20:23], s[0:1], 0x58
	s_load_dwordx2 s[30:31], s[0:1], 0x68
	s_load_dwordx2 s[36:37], s[0:1], 0x78
	v_cmp_eq_u32_e64 s[18:19], 0, v0
	s_and_saveexec_b64 s[2:3], s[18:19]
	s_cbranch_execz .LBB3571_4
; %bb.1:
	s_mov_b64 s[6:7], exec
	v_mbcnt_lo_u32_b32 v1, s6, 0
	v_mbcnt_hi_u32_b32 v1, s7, v1
	v_cmp_eq_u32_e32 vcc, 0, v1
                                        ; implicit-def: $vgpr2
	s_and_saveexec_b64 s[4:5], vcc
	s_cbranch_execz .LBB3571_3
; %bb.2:
	s_load_dwordx2 s[8:9], s[0:1], 0x88
	s_bcnt1_i32_b64 s6, s[6:7]
	v_mov_b32_e32 v2, 0
	v_mov_b32_e32 v3, s6
	s_waitcnt lgkmcnt(0)
	global_atomic_add v2, v2, v3, s[8:9] sc0
.LBB3571_3:
	s_or_b64 exec, exec, s[4:5]
	s_waitcnt vmcnt(0)
	v_readfirstlane_b32 s4, v2
	v_mov_b32_e32 v2, 0
	s_nop 0
	v_add_u32_e32 v1, s4, v1
	ds_write_b32 v2, v1
.LBB3571_4:
	s_or_b64 exec, exec, s[2:3]
	v_mov_b32_e32 v19, 0
	s_load_dwordx4 s[24:27], s[0:1], 0x8
	s_load_dwordx4 s[4:7], s[0:1], 0x20
	s_load_dword s8, s[0:1], 0x80
	s_waitcnt lgkmcnt(0)
	s_barrier
	ds_read_b32 v1, v19
	s_waitcnt lgkmcnt(0)
	s_barrier
	global_load_dwordx2 v[20:21], v19, s[22:23]
	s_lshl_b64 s[2:3], s[26:27], 3
	s_add_u32 s10, s24, s2
	s_mul_i32 s0, s8, 0xe00
	s_addc_u32 s11, s25, s3
	s_add_i32 s1, s0, s26
	s_sub_i32 s33, s30, s1
	s_add_i32 s9, s8, -1
	s_addk_i32 s33, 0xe00
	s_add_u32 s0, s26, s0
	v_readfirstlane_b32 s42, v1
	s_addc_u32 s1, s27, 0
	s_cmp_eq_u32 s42, s9
	v_mov_b64_e32 v[2:3], s[30:31]
	s_cselect_b64 s[22:23], -1, 0
	s_cmp_lg_u32 s42, s9
	s_mul_i32 s24, s42, 0xe00
	s_mov_b32 s25, 0
	v_cmp_lt_u64_e32 vcc, s[0:1], v[2:3]
	s_cselect_b64 s[0:1], -1, 0
	s_or_b64 s[34:35], vcc, s[0:1]
	s_lshl_b64 s[8:9], s[24:25], 3
	s_add_u32 s10, s10, s8
	s_addc_u32 s11, s11, s9
	s_mov_b64 s[0:1], -1
	s_and_b64 vcc, exec, s[34:35]
	v_lshlrev_b32_e32 v18, 3, v0
	s_cbranch_vccz .LBB3571_6
; %bb.5:
	v_lshl_add_u64 v[2:3], s[10:11], 0, v[18:19]
	v_add_co_u32_e32 v4, vcc, 0x1000, v2
	s_mov_b64 s[0:1], 0
	s_nop 0
	v_addc_co_u32_e32 v5, vcc, 0, v3, vcc
	v_add_co_u32_e32 v6, vcc, 0x2000, v2
	s_nop 1
	v_addc_co_u32_e32 v7, vcc, 0, v3, vcc
	v_add_co_u32_e32 v8, vcc, 0x3000, v2
	s_nop 1
	v_addc_co_u32_e32 v9, vcc, 0, v3, vcc
	flat_load_dwordx2 v[10:11], v[2:3]
	flat_load_dwordx2 v[12:13], v[4:5]
	;; [unrolled: 1-line block ×4, first 2 shown]
	v_add_co_u32_e32 v4, vcc, 0x4000, v2
	s_nop 1
	v_addc_co_u32_e32 v5, vcc, 0, v3, vcc
	v_add_co_u32_e32 v6, vcc, 0x5000, v2
	s_nop 1
	v_addc_co_u32_e32 v7, vcc, 0, v3, vcc
	;; [unrolled: 3-line block ×3, first 2 shown]
	flat_load_dwordx2 v[8:9], v[4:5]
	flat_load_dwordx2 v[22:23], v[6:7]
	;; [unrolled: 1-line block ×3, first 2 shown]
	s_waitcnt vmcnt(0) lgkmcnt(0)
	ds_write2st64_b64 v18, v[10:11], v[12:13] offset1:8
	ds_write2st64_b64 v18, v[14:15], v[16:17] offset0:16 offset1:24
	ds_write2st64_b64 v18, v[8:9], v[22:23] offset0:32 offset1:40
	ds_write_b64 v18, v[24:25] offset:24576
	s_waitcnt lgkmcnt(0)
	s_barrier
.LBB3571_6:
	s_andn2_b64 vcc, exec, s[0:1]
	v_cmp_gt_u32_e64 s[0:1], s33, v0
	s_cbranch_vccnz .LBB3571_22
; %bb.7:
                                        ; implicit-def: $vgpr2_vgpr3_vgpr4_vgpr5_vgpr6_vgpr7_vgpr8_vgpr9_vgpr10_vgpr11_vgpr12_vgpr13_vgpr14_vgpr15_vgpr16_vgpr17
	s_and_saveexec_b64 s[12:13], s[0:1]
	s_cbranch_execz .LBB3571_9
; %bb.8:
	v_mov_b32_e32 v19, 0
	v_lshl_add_u64 v[2:3], s[10:11], 0, v[18:19]
	flat_load_dwordx2 v[2:3], v[2:3]
.LBB3571_9:
	s_or_b64 exec, exec, s[12:13]
	v_or_b32_e32 v1, 0x200, v0
	v_cmp_gt_u32_e32 vcc, s33, v1
	s_and_saveexec_b64 s[0:1], vcc
	s_cbranch_execz .LBB3571_11
; %bb.10:
	v_lshlrev_b32_e32 v4, 3, v1
	v_mov_b32_e32 v5, 0
	v_lshl_add_u64 v[4:5], s[10:11], 0, v[4:5]
	flat_load_dwordx2 v[4:5], v[4:5]
.LBB3571_11:
	s_or_b64 exec, exec, s[0:1]
	v_or_b32_e32 v1, 0x400, v0
	v_cmp_gt_u32_e32 vcc, s33, v1
	s_and_saveexec_b64 s[0:1], vcc
	s_cbranch_execz .LBB3571_13
; %bb.12:
	v_lshlrev_b32_e32 v6, 3, v1
	v_mov_b32_e32 v7, 0
	v_lshl_add_u64 v[6:7], s[10:11], 0, v[6:7]
	flat_load_dwordx2 v[6:7], v[6:7]
.LBB3571_13:
	;; [unrolled: 11-line block ×6, first 2 shown]
	s_or_b64 exec, exec, s[0:1]
	s_waitcnt vmcnt(0) lgkmcnt(0)
	ds_write2st64_b64 v18, v[2:3], v[4:5] offset1:8
	ds_write2st64_b64 v18, v[6:7], v[8:9] offset0:16 offset1:24
	ds_write2st64_b64 v18, v[10:11], v[12:13] offset0:32 offset1:40
	ds_write_b64 v18, v[14:15] offset:24576
	s_waitcnt lgkmcnt(0)
	s_barrier
.LBB3571_22:
	v_mul_u32_u24_e32 v1, 7, v0
	s_add_u32 s0, s4, s2
	v_lshlrev_b32_e32 v16, 3, v1
	s_addc_u32 s1, s5, s3
	ds_read2_b64 v[10:13], v16 offset1:1
	ds_read2_b64 v[6:9], v16 offset0:2 offset1:3
	ds_read2_b64 v[2:5], v16 offset0:4 offset1:5
	ds_read_b64 v[14:15], v16 offset:48
	s_add_u32 s2, s6, s2
	s_addc_u32 s3, s7, s3
	s_add_u32 s0, s0, s8
	s_addc_u32 s1, s1, s9
	s_add_u32 s2, s2, s8
	s_addc_u32 s3, s3, s9
	s_mov_b64 s[4:5], -1
	s_and_b64 vcc, exec, s[34:35]
	s_waitcnt lgkmcnt(0)
	s_barrier
	s_cbranch_vccz .LBB3571_24
; %bb.23:
	v_mov_b32_e32 v19, 0
	v_lshl_add_u64 v[22:23], s[0:1], 0, v[18:19]
	v_add_co_u32_e32 v30, vcc, 0x1000, v22
	v_lshl_add_u64 v[24:25], s[2:3], 0, v[18:19]
	s_nop 0
	v_addc_co_u32_e32 v31, vcc, 0, v23, vcc
	v_add_co_u32_e32 v32, vcc, 0x1000, v24
	global_load_dwordx2 v[26:27], v18, s[0:1]
	global_load_dwordx2 v[28:29], v18, s[2:3]
	v_addc_co_u32_e32 v33, vcc, 0, v25, vcc
	v_add_co_u32_e32 v34, vcc, 0x2000, v22
	global_load_dwordx2 v[30:31], v[30:31], off
	s_nop 0
	v_addc_co_u32_e32 v35, vcc, 0, v23, vcc
	v_add_co_u32_e32 v36, vcc, 0x2000, v24
	global_load_dwordx2 v[32:33], v[32:33], off
	s_nop 0
	;; [unrolled: 4-line block ×10, first 2 shown]
	v_addc_co_u32_e32 v25, vcc, 0, v25, vcc
	global_load_dwordx2 v[22:23], v[22:23], off
	s_mov_b64 s[4:5], 0
	global_load_dwordx2 v[24:25], v[24:25], off
	s_waitcnt vmcnt(12)
	v_cmp_le_i64_e32 vcc, v[26:27], v[28:29]
	s_nop 1
	v_cndmask_b32_e64 v17, 0, 1, vcc
	ds_write_b8 v0, v17
	s_waitcnt vmcnt(10)
	v_cmp_le_i64_e32 vcc, v[30:31], v[32:33]
	s_nop 1
	v_cndmask_b32_e64 v17, 0, 1, vcc
	ds_write_b8 v0, v17 offset:512
	s_waitcnt vmcnt(8)
	v_cmp_le_i64_e32 vcc, v[34:35], v[36:37]
	s_nop 1
	v_cndmask_b32_e64 v17, 0, 1, vcc
	ds_write_b8 v0, v17 offset:1024
	;; [unrolled: 5-line block ×4, first 2 shown]
	s_waitcnt vmcnt(2)
	v_cmp_le_i64_e32 vcc, v[46:47], v[48:49]
	s_nop 1
	v_cndmask_b32_e64 v17, 0, 1, vcc
	s_waitcnt vmcnt(0)
	v_cmp_le_i64_e32 vcc, v[22:23], v[24:25]
	s_nop 1
	v_cndmask_b32_e64 v19, 0, 1, vcc
	ds_write_b8 v0, v17 offset:2560
	ds_write_b8 v0, v19 offset:3072
	s_waitcnt lgkmcnt(0)
	s_barrier
.LBB3571_24:
	s_andn2_b64 vcc, exec, s[4:5]
	s_cbranch_vccnz .LBB3571_40
; %bb.25:
	v_cmp_gt_u32_e32 vcc, s33, v0
	v_mov_b32_e32 v19, 0
	v_mov_b32_e32 v17, 0
	s_and_saveexec_b64 s[4:5], vcc
	s_cbranch_execz .LBB3571_27
; %bb.26:
	global_load_dwordx2 v[22:23], v18, s[0:1]
	global_load_dwordx2 v[24:25], v18, s[2:3]
	s_waitcnt vmcnt(0)
	v_cmp_le_i64_e32 vcc, v[22:23], v[24:25]
	s_nop 1
	v_cndmask_b32_e64 v17, 0, 1, vcc
.LBB3571_27:
	s_or_b64 exec, exec, s[4:5]
	v_or_b32_e32 v22, 0x200, v0
	v_cmp_gt_u32_e32 vcc, s33, v22
	s_and_saveexec_b64 s[4:5], vcc
	s_cbranch_execz .LBB3571_29
; %bb.28:
	v_lshlrev_b32_e32 v19, 3, v22
	global_load_dwordx2 v[22:23], v19, s[0:1]
	global_load_dwordx2 v[24:25], v19, s[2:3]
	s_waitcnt vmcnt(0)
	v_cmp_le_i64_e32 vcc, v[22:23], v[24:25]
	s_nop 1
	v_cndmask_b32_e64 v19, 0, 1, vcc
.LBB3571_29:
	s_or_b64 exec, exec, s[4:5]
	v_or_b32_e32 v24, 0x400, v0
	v_cmp_gt_u32_e32 vcc, s33, v24
	v_mov_b32_e32 v22, 0
	v_mov_b32_e32 v23, 0
	s_and_saveexec_b64 s[4:5], vcc
	s_cbranch_execz .LBB3571_31
; %bb.30:
	v_lshlrev_b32_e32 v23, 3, v24
	global_load_dwordx2 v[24:25], v23, s[0:1]
	global_load_dwordx2 v[26:27], v23, s[2:3]
	s_waitcnt vmcnt(0)
	v_cmp_le_i64_e32 vcc, v[24:25], v[26:27]
	s_nop 1
	v_cndmask_b32_e64 v23, 0, 1, vcc
.LBB3571_31:
	s_or_b64 exec, exec, s[4:5]
	v_or_b32_e32 v24, 0x600, v0
	v_cmp_gt_u32_e32 vcc, s33, v24
	s_and_saveexec_b64 s[4:5], vcc
	s_cbranch_execz .LBB3571_33
; %bb.32:
	v_lshlrev_b32_e32 v22, 3, v24
	global_load_dwordx2 v[24:25], v22, s[0:1]
	global_load_dwordx2 v[26:27], v22, s[2:3]
	s_waitcnt vmcnt(0)
	v_cmp_le_i64_e32 vcc, v[24:25], v[26:27]
	s_nop 1
	v_cndmask_b32_e64 v22, 0, 1, vcc
.LBB3571_33:
	s_or_b64 exec, exec, s[4:5]
	v_or_b32_e32 v26, 0x800, v0
	v_cmp_gt_u32_e32 vcc, s33, v26
	v_mov_b32_e32 v24, 0
	v_mov_b32_e32 v25, 0
	s_and_saveexec_b64 s[4:5], vcc
	s_cbranch_execz .LBB3571_35
; %bb.34:
	v_lshlrev_b32_e32 v25, 3, v26
	global_load_dwordx2 v[26:27], v25, s[0:1]
	global_load_dwordx2 v[28:29], v25, s[2:3]
	s_waitcnt vmcnt(0)
	v_cmp_le_i64_e32 vcc, v[26:27], v[28:29]
	s_nop 1
	v_cndmask_b32_e64 v25, 0, 1, vcc
.LBB3571_35:
	s_or_b64 exec, exec, s[4:5]
	v_or_b32_e32 v26, 0xa00, v0
	v_cmp_gt_u32_e32 vcc, s33, v26
	s_and_saveexec_b64 s[4:5], vcc
	s_cbranch_execz .LBB3571_37
; %bb.36:
	v_lshlrev_b32_e32 v24, 3, v26
	global_load_dwordx2 v[26:27], v24, s[0:1]
	global_load_dwordx2 v[28:29], v24, s[2:3]
	s_waitcnt vmcnt(0)
	v_cmp_le_i64_e32 vcc, v[26:27], v[28:29]
	s_nop 1
	v_cndmask_b32_e64 v24, 0, 1, vcc
.LBB3571_37:
	s_or_b64 exec, exec, s[4:5]
	v_or_b32_e32 v27, 0xc00, v0
	v_cmp_gt_u32_e32 vcc, s33, v27
	v_mov_b32_e32 v26, 0
	s_and_saveexec_b64 s[4:5], vcc
	s_cbranch_execz .LBB3571_39
; %bb.38:
	v_lshlrev_b32_e32 v30, 3, v27
	global_load_dwordx2 v[26:27], v30, s[0:1]
	global_load_dwordx2 v[28:29], v30, s[2:3]
	s_waitcnt vmcnt(0)
	v_cmp_le_i64_e32 vcc, v[26:27], v[28:29]
	s_nop 1
	v_cndmask_b32_e64 v26, 0, 1, vcc
.LBB3571_39:
	s_or_b64 exec, exec, s[4:5]
	ds_write_b8 v0, v17
	ds_write_b8 v0, v19 offset:512
	ds_write_b8 v0, v23 offset:1024
	;; [unrolled: 1-line block ×6, first 2 shown]
	s_waitcnt lgkmcnt(0)
	s_barrier
.LBB3571_40:
	s_movk_i32 s0, 0xffcf
	v_mad_i32_i24 v38, v0, s0, v16
	ds_read_u8 v16, v38
	ds_read_u8 v17, v38 offset:1
	ds_read_u8 v19, v38 offset:2
	;; [unrolled: 1-line block ×6, first 2 shown]
	s_waitcnt lgkmcnt(6)
	v_and_b32_e32 v36, 1, v16
	s_waitcnt lgkmcnt(5)
	v_and_b32_e32 v35, 1, v17
	;; [unrolled: 2-line block ×5, first 2 shown]
	v_add3_u32 v16, v35, v36, v33
	s_waitcnt lgkmcnt(1)
	v_and_b32_e32 v30, 1, v24
	s_waitcnt lgkmcnt(0)
	v_and_b32_e32 v19, 1, v25
	v_add3_u32 v16, v16, v32, v31
	v_add3_u32 v40, v16, v30, v19
	v_mbcnt_lo_u32_b32 v16, -1, 0
	v_mbcnt_hi_u32_b32 v37, -1, v16
	v_and_b32_e32 v16, 15, v37
	v_cmp_eq_u32_e64 s[14:15], 0, v16
	v_cmp_lt_u32_e64 s[12:13], 1, v16
	v_cmp_lt_u32_e64 s[10:11], 3, v16
	;; [unrolled: 1-line block ×3, first 2 shown]
	v_and_b32_e32 v16, 16, v37
	v_cmp_eq_u32_e64 s[6:7], 0, v16
	v_or_b32_e32 v16, 63, v0
	s_cmp_lg_u32 s42, 0
	v_cmp_lt_u32_e64 s[2:3], 31, v37
	v_lshrrev_b32_e32 v39, 6, v0
	v_cmp_eq_u32_e64 s[4:5], v16, v0
	s_barrier
	s_cbranch_scc0 .LBB3571_71
; %bb.41:
	v_mov_b32_dpp v16, v40 row_shr:1 row_mask:0xf bank_mask:0xf
	v_cndmask_b32_e64 v16, v16, 0, s[14:15]
	v_add_u32_e32 v16, v16, v40
	s_nop 1
	v_mov_b32_dpp v17, v16 row_shr:2 row_mask:0xf bank_mask:0xf
	v_cndmask_b32_e64 v17, 0, v17, s[12:13]
	v_add_u32_e32 v16, v16, v17
	s_nop 1
	;; [unrolled: 4-line block ×4, first 2 shown]
	v_mov_b32_dpp v17, v16 row_bcast:15 row_mask:0xf bank_mask:0xf
	v_cndmask_b32_e64 v17, v17, 0, s[6:7]
	v_add_u32_e32 v16, v16, v17
	s_nop 1
	v_mov_b32_dpp v17, v16 row_bcast:31 row_mask:0xf bank_mask:0xf
	v_cndmask_b32_e64 v17, 0, v17, s[2:3]
	v_add_u32_e32 v16, v16, v17
	s_and_saveexec_b64 s[0:1], s[4:5]
	s_cbranch_execz .LBB3571_43
; %bb.42:
	v_lshlrev_b32_e32 v17, 2, v39
	ds_write_b32 v17, v16
.LBB3571_43:
	s_or_b64 exec, exec, s[0:1]
	v_cmp_gt_u32_e32 vcc, 8, v0
	s_waitcnt lgkmcnt(0)
	s_barrier
	s_and_saveexec_b64 s[0:1], vcc
	s_cbranch_execz .LBB3571_45
; %bb.44:
	v_lshlrev_b32_e32 v17, 2, v0
	ds_read_b32 v22, v17
	v_and_b32_e32 v23, 7, v37
	v_cmp_ne_u32_e32 vcc, 0, v23
	s_waitcnt lgkmcnt(0)
	v_mov_b32_dpp v24, v22 row_shr:1 row_mask:0xf bank_mask:0xf
	v_cndmask_b32_e32 v24, 0, v24, vcc
	v_add_u32_e32 v22, v24, v22
	v_cmp_lt_u32_e32 vcc, 1, v23
	s_nop 0
	v_mov_b32_dpp v24, v22 row_shr:2 row_mask:0xf bank_mask:0xf
	v_cndmask_b32_e32 v24, 0, v24, vcc
	v_add_u32_e32 v22, v22, v24
	v_cmp_lt_u32_e32 vcc, 3, v23
	s_nop 0
	v_mov_b32_dpp v24, v22 row_shr:4 row_mask:0xf bank_mask:0xf
	v_cndmask_b32_e32 v23, 0, v24, vcc
	v_add_u32_e32 v22, v22, v23
	ds_write_b32 v17, v22
.LBB3571_45:
	s_or_b64 exec, exec, s[0:1]
	v_cmp_gt_u32_e32 vcc, 64, v0
	v_cmp_lt_u32_e64 s[0:1], 63, v0
	s_waitcnt lgkmcnt(0)
	s_barrier
	s_waitcnt lgkmcnt(0)
                                        ; implicit-def: $vgpr34
	s_and_saveexec_b64 s[16:17], s[0:1]
	s_cbranch_execz .LBB3571_47
; %bb.46:
	v_lshl_add_u32 v17, v39, 2, -4
	ds_read_b32 v34, v17
	s_waitcnt lgkmcnt(0)
	v_add_u32_e32 v16, v34, v16
.LBB3571_47:
	s_or_b64 exec, exec, s[16:17]
	v_add_u32_e32 v17, -1, v37
	v_and_b32_e32 v22, 64, v37
	v_cmp_lt_i32_e64 s[0:1], v17, v22
	v_cmp_eq_u32_e64 s[16:17], 0, v37
	s_nop 0
	v_cndmask_b32_e64 v17, v17, v37, s[0:1]
	v_lshlrev_b32_e32 v17, 2, v17
	ds_bpermute_b32 v41, v17, v16
	s_and_saveexec_b64 s[0:1], vcc
	s_cbranch_execz .LBB3571_70
; %bb.48:
	v_mov_b32_e32 v29, 0
	ds_read_b32 v16, v29 offset:28
	s_and_saveexec_b64 s[38:39], s[16:17]
	s_cbranch_execz .LBB3571_50
; %bb.49:
	s_add_i32 s40, s42, 64
	s_mov_b32 s41, 0
	s_lshl_b64 s[40:41], s[40:41], 3
	s_add_u32 s40, s36, s40
	v_mov_b32_e32 v17, 1
	s_addc_u32 s41, s37, s41
	s_waitcnt lgkmcnt(0)
	global_store_dwordx2 v29, v[16:17], s[40:41] sc1
.LBB3571_50:
	s_or_b64 exec, exec, s[38:39]
	v_xad_u32 v22, v37, -1, s42
	v_add_u32_e32 v28, 64, v22
	v_lshl_add_u64 v[24:25], v[28:29], 3, s[36:37]
	global_load_dwordx2 v[26:27], v[24:25], off sc1
	s_waitcnt vmcnt(0)
	v_cmp_eq_u16_sdwa s[40:41], v27, v29 src0_sel:BYTE_0 src1_sel:DWORD
	s_and_saveexec_b64 s[38:39], s[40:41]
	s_cbranch_execz .LBB3571_56
; %bb.51:
	s_mov_b32 s25, 1
	s_mov_b64 s[40:41], 0
	v_mov_b32_e32 v17, 0
.LBB3571_52:                            ; =>This Loop Header: Depth=1
                                        ;     Child Loop BB3571_53 Depth 2
	s_max_u32 s43, s25, 1
.LBB3571_53:                            ;   Parent Loop BB3571_52 Depth=1
                                        ; =>  This Inner Loop Header: Depth=2
	s_add_i32 s43, s43, -1
	s_cmp_eq_u32 s43, 0
	s_sleep 1
	s_cbranch_scc0 .LBB3571_53
; %bb.54:                               ;   in Loop: Header=BB3571_52 Depth=1
	global_load_dwordx2 v[26:27], v[24:25], off sc1
	s_cmp_lt_u32 s25, 32
	s_cselect_b64 s[44:45], -1, 0
	s_cmp_lg_u64 s[44:45], 0
	s_addc_u32 s25, s25, 0
	s_waitcnt vmcnt(0)
	v_cmp_ne_u16_sdwa s[44:45], v27, v17 src0_sel:BYTE_0 src1_sel:DWORD
	s_or_b64 s[40:41], s[44:45], s[40:41]
	s_andn2_b64 exec, exec, s[40:41]
	s_cbranch_execnz .LBB3571_52
; %bb.55:
	s_or_b64 exec, exec, s[40:41]
.LBB3571_56:
	s_or_b64 exec, exec, s[38:39]
	v_and_b32_e32 v43, 63, v37
	v_mov_b32_e32 v42, 2
	v_cmp_ne_u32_e32 vcc, 63, v43
	v_cmp_eq_u16_sdwa s[38:39], v27, v42 src0_sel:BYTE_0 src1_sel:DWORD
	v_lshlrev_b64 v[24:25], v37, -1
	v_addc_co_u32_e32 v28, vcc, 0, v37, vcc
	v_and_b32_e32 v17, s39, v25
	v_lshlrev_b32_e32 v44, 2, v28
	v_or_b32_e32 v17, 0x80000000, v17
	ds_bpermute_b32 v28, v44, v26
	v_and_b32_e32 v23, s38, v24
	v_ffbl_b32_e32 v17, v17
	v_add_u32_e32 v17, 32, v17
	v_ffbl_b32_e32 v23, v23
	v_min_u32_e32 v17, v23, v17
	v_cmp_lt_u32_e32 vcc, v43, v17
	v_add_u32_e32 v46, 2, v43
	v_add_u32_e32 v48, 4, v43
	s_waitcnt lgkmcnt(0)
	v_cndmask_b32_e32 v23, 0, v28, vcc
	v_cmp_gt_u32_e32 vcc, 62, v43
	v_add_u32_e32 v23, v23, v26
	v_add_u32_e32 v50, 8, v43
	v_cndmask_b32_e64 v26, 0, 1, vcc
	v_lshlrev_b32_e32 v26, 1, v26
	v_add_lshl_u32 v45, v26, v37, 2
	ds_bpermute_b32 v26, v45, v23
	v_cmp_le_u32_e32 vcc, v46, v17
	v_add_u32_e32 v52, 16, v43
	v_add_u32_e32 v54, 32, v43
	s_waitcnt lgkmcnt(0)
	v_cndmask_b32_e32 v26, 0, v26, vcc
	v_cmp_gt_u32_e32 vcc, 60, v43
	v_add_u32_e32 v23, v23, v26
	s_nop 0
	v_cndmask_b32_e64 v26, 0, 1, vcc
	v_lshlrev_b32_e32 v26, 2, v26
	v_add_lshl_u32 v47, v26, v37, 2
	ds_bpermute_b32 v26, v47, v23
	v_cmp_le_u32_e32 vcc, v48, v17
	s_waitcnt lgkmcnt(0)
	s_nop 0
	v_cndmask_b32_e32 v26, 0, v26, vcc
	v_cmp_gt_u32_e32 vcc, 56, v43
	v_add_u32_e32 v23, v23, v26
	s_nop 0
	v_cndmask_b32_e64 v26, 0, 1, vcc
	v_lshlrev_b32_e32 v26, 3, v26
	v_add_lshl_u32 v49, v26, v37, 2
	ds_bpermute_b32 v26, v49, v23
	v_cmp_le_u32_e32 vcc, v50, v17
	s_waitcnt lgkmcnt(0)
	s_nop 0
	;; [unrolled: 11-line block ×4, first 2 shown]
	v_cndmask_b32_e32 v17, 0, v26, vcc
	v_add_u32_e32 v26, v23, v17
	v_mov_b32_e32 v23, 0
	s_branch .LBB3571_58
.LBB3571_57:                            ;   in Loop: Header=BB3571_58 Depth=1
	s_or_b64 exec, exec, s[38:39]
	v_cmp_eq_u16_sdwa s[38:39], v27, v42 src0_sel:BYTE_0 src1_sel:DWORD
	ds_bpermute_b32 v55, v44, v26
	v_subrev_u32_e32 v22, 64, v22
	v_and_b32_e32 v28, s39, v25
	v_or_b32_e32 v28, 0x80000000, v28
	v_and_b32_e32 v29, s38, v24
	v_ffbl_b32_e32 v28, v28
	v_add_u32_e32 v28, 32, v28
	v_ffbl_b32_e32 v29, v29
	v_min_u32_e32 v28, v29, v28
	v_cmp_lt_u32_e32 vcc, v43, v28
	s_waitcnt lgkmcnt(0)
	s_nop 0
	v_cndmask_b32_e32 v29, 0, v55, vcc
	v_add_u32_e32 v26, v29, v26
	ds_bpermute_b32 v29, v45, v26
	v_cmp_le_u32_e32 vcc, v46, v28
	s_waitcnt lgkmcnt(0)
	s_nop 0
	v_cndmask_b32_e32 v29, 0, v29, vcc
	v_add_u32_e32 v26, v26, v29
	ds_bpermute_b32 v29, v47, v26
	v_cmp_le_u32_e32 vcc, v48, v28
	;; [unrolled: 6-line block ×5, first 2 shown]
	s_waitcnt lgkmcnt(0)
	s_nop 0
	v_cndmask_b32_e32 v28, 0, v29, vcc
	v_add3_u32 v26, v28, v17, v26
.LBB3571_58:                            ; =>This Loop Header: Depth=1
                                        ;     Child Loop BB3571_61 Depth 2
                                        ;       Child Loop BB3571_62 Depth 3
	v_cmp_ne_u16_sdwa s[38:39], v27, v42 src0_sel:BYTE_0 src1_sel:DWORD
	s_nop 1
	v_cndmask_b32_e64 v17, 0, 1, s[38:39]
	;;#ASMSTART
	;;#ASMEND
	s_nop 0
	v_cmp_ne_u32_e32 vcc, 0, v17
	s_cmp_lg_u64 vcc, exec
	v_mov_b32_e32 v17, v26
	s_cbranch_scc1 .LBB3571_65
; %bb.59:                               ;   in Loop: Header=BB3571_58 Depth=1
	v_lshl_add_u64 v[28:29], v[22:23], 3, s[36:37]
	global_load_dwordx2 v[26:27], v[28:29], off sc1
	s_waitcnt vmcnt(0)
	v_cmp_eq_u16_sdwa s[40:41], v27, v23 src0_sel:BYTE_0 src1_sel:DWORD
	s_and_saveexec_b64 s[38:39], s[40:41]
	s_cbranch_execz .LBB3571_57
; %bb.60:                               ;   in Loop: Header=BB3571_58 Depth=1
	s_mov_b32 s25, 1
	s_mov_b64 s[40:41], 0
.LBB3571_61:                            ;   Parent Loop BB3571_58 Depth=1
                                        ; =>  This Loop Header: Depth=2
                                        ;       Child Loop BB3571_62 Depth 3
	s_max_u32 s43, s25, 1
.LBB3571_62:                            ;   Parent Loop BB3571_58 Depth=1
                                        ;     Parent Loop BB3571_61 Depth=2
                                        ; =>    This Inner Loop Header: Depth=3
	s_add_i32 s43, s43, -1
	s_cmp_eq_u32 s43, 0
	s_sleep 1
	s_cbranch_scc0 .LBB3571_62
; %bb.63:                               ;   in Loop: Header=BB3571_61 Depth=2
	global_load_dwordx2 v[26:27], v[28:29], off sc1
	s_cmp_lt_u32 s25, 32
	s_cselect_b64 s[44:45], -1, 0
	s_cmp_lg_u64 s[44:45], 0
	s_addc_u32 s25, s25, 0
	s_waitcnt vmcnt(0)
	v_cmp_ne_u16_sdwa s[44:45], v27, v23 src0_sel:BYTE_0 src1_sel:DWORD
	s_or_b64 s[40:41], s[44:45], s[40:41]
	s_andn2_b64 exec, exec, s[40:41]
	s_cbranch_execnz .LBB3571_61
; %bb.64:                               ;   in Loop: Header=BB3571_58 Depth=1
	s_or_b64 exec, exec, s[40:41]
	s_branch .LBB3571_57
.LBB3571_65:                            ;   in Loop: Header=BB3571_58 Depth=1
                                        ; implicit-def: $vgpr26
                                        ; implicit-def: $vgpr27
	s_cbranch_execz .LBB3571_58
; %bb.66:
	s_and_saveexec_b64 s[38:39], s[16:17]
	s_cbranch_execz .LBB3571_68
; %bb.67:
	s_add_i32 s40, s42, 64
	s_mov_b32 s41, 0
	s_lshl_b64 s[40:41], s[40:41], 3
	s_add_u32 s40, s36, s40
	v_add_u32_e32 v22, v17, v16
	v_mov_b32_e32 v23, 2
	s_addc_u32 s41, s37, s41
	v_mov_b32_e32 v24, 0
	global_store_dwordx2 v24, v[22:23], s[40:41] sc1
	ds_write_b64 v24, v[16:17] offset:28672
.LBB3571_68:
	s_or_b64 exec, exec, s[38:39]
	s_and_b64 exec, exec, s[18:19]
	s_cbranch_execz .LBB3571_70
; %bb.69:
	v_mov_b32_e32 v16, 0
	ds_write_b32 v16, v17 offset:28
.LBB3571_70:
	s_or_b64 exec, exec, s[0:1]
	v_mov_b32_e32 v16, 0
	s_waitcnt lgkmcnt(0)
	s_barrier
	ds_read_b32 v17, v16 offset:28
	v_cndmask_b32_e64 v22, v41, v34, s[16:17]
	v_cndmask_b32_e64 v22, v22, 0, s[18:19]
	s_waitcnt lgkmcnt(0)
	s_barrier
	v_add_u32_e32 v28, v17, v22
	v_add_u32_e32 v27, v28, v36
	ds_read_b64 v[16:17], v16 offset:28672
	v_add_u32_e32 v26, v27, v35
	v_add_u32_e32 v24, v26, v33
	;; [unrolled: 1-line block ×5, first 2 shown]
	s_waitcnt lgkmcnt(0)
	v_mov_b32_e32 v34, v17
	s_branch .LBB3571_81
.LBB3571_71:
                                        ; implicit-def: $vgpr34
                                        ; implicit-def: $vgpr16
                                        ; implicit-def: $vgpr22
                                        ; implicit-def: $vgpr23
                                        ; implicit-def: $vgpr25
                                        ; implicit-def: $vgpr24
                                        ; implicit-def: $vgpr26
                                        ; implicit-def: $vgpr27
                                        ; implicit-def: $vgpr28
	s_cbranch_execz .LBB3571_81
; %bb.72:
	s_nop 0
	v_mov_b32_dpp v16, v40 row_shr:1 row_mask:0xf bank_mask:0xf
	v_cndmask_b32_e64 v16, v16, 0, s[14:15]
	v_add_u32_e32 v16, v16, v40
	s_nop 1
	v_mov_b32_dpp v17, v16 row_shr:2 row_mask:0xf bank_mask:0xf
	v_cndmask_b32_e64 v17, 0, v17, s[12:13]
	v_add_u32_e32 v16, v16, v17
	s_nop 1
	v_mov_b32_dpp v17, v16 row_shr:4 row_mask:0xf bank_mask:0xf
	v_cndmask_b32_e64 v17, 0, v17, s[10:11]
	v_add_u32_e32 v16, v16, v17
	s_nop 1
	v_mov_b32_dpp v17, v16 row_shr:8 row_mask:0xf bank_mask:0xf
	v_cndmask_b32_e64 v17, 0, v17, s[8:9]
	v_add_u32_e32 v16, v16, v17
	s_nop 1
	v_mov_b32_dpp v17, v16 row_bcast:15 row_mask:0xf bank_mask:0xf
	v_cndmask_b32_e64 v17, v17, 0, s[6:7]
	v_add_u32_e32 v16, v16, v17
	s_nop 1
	v_mov_b32_dpp v17, v16 row_bcast:31 row_mask:0xf bank_mask:0xf
	v_cndmask_b32_e64 v17, 0, v17, s[2:3]
	v_add_u32_e32 v16, v16, v17
	s_and_saveexec_b64 s[0:1], s[4:5]
	s_cbranch_execz .LBB3571_74
; %bb.73:
	v_lshlrev_b32_e32 v17, 2, v39
	ds_write_b32 v17, v16
.LBB3571_74:
	s_or_b64 exec, exec, s[0:1]
	v_cmp_gt_u32_e32 vcc, 8, v0
	s_waitcnt lgkmcnt(0)
	s_barrier
	s_and_saveexec_b64 s[0:1], vcc
	s_cbranch_execz .LBB3571_76
; %bb.75:
	v_mad_i32_i24 v17, v0, -3, v38
	ds_read_b32 v22, v17
	v_and_b32_e32 v23, 7, v37
	v_cmp_ne_u32_e32 vcc, 0, v23
	s_waitcnt lgkmcnt(0)
	v_mov_b32_dpp v24, v22 row_shr:1 row_mask:0xf bank_mask:0xf
	v_cndmask_b32_e32 v24, 0, v24, vcc
	v_add_u32_e32 v22, v24, v22
	v_cmp_lt_u32_e32 vcc, 1, v23
	s_nop 0
	v_mov_b32_dpp v24, v22 row_shr:2 row_mask:0xf bank_mask:0xf
	v_cndmask_b32_e32 v24, 0, v24, vcc
	v_add_u32_e32 v22, v22, v24
	v_cmp_lt_u32_e32 vcc, 3, v23
	s_nop 0
	v_mov_b32_dpp v24, v22 row_shr:4 row_mask:0xf bank_mask:0xf
	v_cndmask_b32_e32 v23, 0, v24, vcc
	v_add_u32_e32 v22, v22, v23
	ds_write_b32 v17, v22
.LBB3571_76:
	s_or_b64 exec, exec, s[0:1]
	v_cmp_lt_u32_e32 vcc, 63, v0
	v_mov_b32_e32 v17, 0
	v_mov_b32_e32 v22, 0
	s_waitcnt lgkmcnt(0)
	s_barrier
	s_and_saveexec_b64 s[0:1], vcc
	s_cbranch_execz .LBB3571_78
; %bb.77:
	v_lshl_add_u32 v22, v39, 2, -4
	ds_read_b32 v22, v22
.LBB3571_78:
	s_or_b64 exec, exec, s[0:1]
	v_add_u32_e32 v23, -1, v37
	v_and_b32_e32 v24, 64, v37
	v_cmp_lt_i32_e32 vcc, v23, v24
	s_waitcnt lgkmcnt(0)
	v_add_u32_e32 v16, v22, v16
	v_cndmask_b32_e32 v23, v23, v37, vcc
	v_lshlrev_b32_e32 v23, 2, v23
	ds_bpermute_b32 v23, v23, v16
	ds_read_b32 v16, v17 offset:28
	s_and_saveexec_b64 s[0:1], s[18:19]
	s_cbranch_execz .LBB3571_80
; %bb.79:
	v_mov_b32_e32 v24, 0
	v_mov_b32_e32 v17, 2
	s_waitcnt lgkmcnt(0)
	global_store_dwordx2 v24, v[16:17], s[36:37] offset:512 sc1
.LBB3571_80:
	s_or_b64 exec, exec, s[0:1]
	v_cmp_eq_u32_e32 vcc, 0, v37
	v_mov_b32_e32 v34, 0
	s_waitcnt lgkmcnt(0)
	v_cndmask_b32_e32 v17, v23, v22, vcc
	v_cndmask_b32_e64 v28, v17, 0, s[18:19]
	v_add_u32_e32 v27, v28, v36
	v_add_u32_e32 v26, v27, v35
	;; [unrolled: 1-line block ×6, first 2 shown]
	s_barrier
.LBB3571_81:
	v_add_u32_e32 v1, v16, v1
	v_sub_u32_e32 v17, v28, v34
	v_sub_u32_e32 v28, v1, v17
	v_cmp_eq_u32_e32 vcc, 1, v36
	s_add_u32 s0, s26, s24
	s_addc_u32 s1, s27, 0
	v_cndmask_b32_e32 v17, v28, v17, vcc
	v_lshlrev_b32_e32 v17, 3, v17
	ds_write_b64 v17, v[10:11]
	v_sub_u32_e32 v10, v27, v34
	v_sub_u32_e32 v11, v1, v10
	v_add_u32_e32 v11, 1, v11
	v_cmp_eq_u32_e32 vcc, 1, v35
	s_sub_u32 s0, s30, s0
	s_subb_u32 s1, s31, s1
	v_cndmask_b32_e32 v10, v11, v10, vcc
	v_lshlrev_b32_e32 v10, 3, v10
	ds_write_b64 v10, v[12:13]
	v_sub_u32_e32 v10, v26, v34
	v_sub_u32_e32 v11, v1, v10
	v_add_u32_e32 v11, 2, v11
	v_cmp_eq_u32_e32 vcc, 1, v33
	v_or_b32_e32 v28, 0x600, v0
	v_or_b32_e32 v26, 0x800, v0
	v_cndmask_b32_e32 v10, v11, v10, vcc
	v_lshlrev_b32_e32 v10, 3, v10
	ds_write_b64 v10, v[6:7]
	v_sub_u32_e32 v6, v24, v34
	v_sub_u32_e32 v7, v1, v6
	v_add_u32_e32 v7, 3, v7
	v_cmp_eq_u32_e32 vcc, 1, v32
	v_or_b32_e32 v32, 0x200, v0
	v_or_b32_e32 v24, 0xa00, v0
	v_cndmask_b32_e32 v6, v7, v6, vcc
	v_lshlrev_b32_e32 v6, 3, v6
	ds_write_b64 v6, v[8:9]
	v_sub_u32_e32 v6, v25, v34
	v_sub_u32_e32 v7, v1, v6
	v_add_u32_e32 v7, 4, v7
	v_cmp_eq_u32_e32 vcc, 1, v31
	s_nop 1
	v_cndmask_b32_e32 v6, v7, v6, vcc
	v_lshlrev_b32_e32 v6, 3, v6
	ds_write_b64 v6, v[2:3]
	v_sub_u32_e32 v2, v23, v34
	v_sub_u32_e32 v3, v1, v2
	v_add_u32_e32 v3, 5, v3
	v_cmp_eq_u32_e32 vcc, 1, v30
	v_or_b32_e32 v30, 0x400, v0
	s_nop 0
	v_cndmask_b32_e32 v2, v3, v2, vcc
	v_lshlrev_b32_e32 v2, 3, v2
	ds_write_b64 v2, v[4:5]
	v_sub_u32_e32 v2, v22, v34
	v_sub_u32_e32 v1, v1, v2
	v_add_u32_e32 v1, 6, v1
	v_cmp_eq_u32_e32 vcc, 1, v19
	v_or_b32_e32 v22, 0xc00, v0
	s_nop 0
	v_cndmask_b32_e32 v1, v1, v2, vcc
	v_lshlrev_b32_e32 v1, 3, v1
	ds_write_b64 v1, v[14:15]
	s_waitcnt lgkmcnt(0)
	s_barrier
	ds_read2st64_b64 v[10:13], v18 offset1:8
	ds_read2st64_b64 v[6:9], v18 offset0:16 offset1:24
	ds_read2st64_b64 v[2:5], v18 offset0:32 offset1:40
	ds_read_b64 v[18:19], v18 offset:24576
	v_mov_b32_e32 v1, 0
	v_mov_b32_e32 v35, v1
	;; [unrolled: 1-line block ×3, first 2 shown]
	s_waitcnt vmcnt(0)
	v_lshl_add_u64 v[14:15], v[20:21], 0, v[34:35]
	v_lshl_add_u64 v[20:21], s[0:1], 0, v[16:17]
	v_mov_b32_e32 v33, v1
	v_mov_b32_e32 v31, v1
	;; [unrolled: 1-line block ×6, first 2 shown]
	s_andn2_b64 vcc, exec, s[34:35]
	v_lshl_add_u64 v[20:21], v[20:21], 0, v[14:15]
	s_cbranch_vccnz .LBB3571_114
; %bb.82:
	v_cmp_ge_u32_e32 vcc, v0, v16
                                        ; implicit-def: $vgpr34_vgpr35
	s_and_saveexec_b64 s[0:1], vcc
	s_xor_b64 s[0:1], exec, s[0:1]
; %bb.83:
	v_not_b32_e32 v34, v0
	v_ashrrev_i32_e32 v35, 31, v34
	v_lshl_add_u64 v[34:35], v[20:21], 0, v[34:35]
; %bb.84:
	s_andn2_saveexec_b64 s[0:1], s[0:1]
; %bb.85:
	v_lshl_add_u64 v[34:35], v[14:15], 0, v[0:1]
; %bb.86:
	s_or_b64 exec, exec, s[0:1]
	v_lshl_add_u64 v[34:35], v[34:35], 3, s[28:29]
	v_cmp_ge_u32_e32 vcc, v32, v16
	s_waitcnt lgkmcnt(3)
	global_store_dwordx2 v[34:35], v[10:11], off
                                        ; implicit-def: $vgpr34_vgpr35
	s_and_saveexec_b64 s[0:1], vcc
	s_xor_b64 s[0:1], exec, s[0:1]
; %bb.87:
	v_xor_b32_e32 v34, 0xfffffdff, v0
	v_ashrrev_i32_e32 v35, 31, v34
	v_lshl_add_u64 v[34:35], v[20:21], 0, v[34:35]
; %bb.88:
	s_andn2_saveexec_b64 s[0:1], s[0:1]
; %bb.89:
	v_lshl_add_u64 v[34:35], v[14:15], 0, v[32:33]
; %bb.90:
	s_or_b64 exec, exec, s[0:1]
	v_lshl_add_u64 v[34:35], v[34:35], 3, s[28:29]
	v_cmp_ge_u32_e32 vcc, v30, v16
	global_store_dwordx2 v[34:35], v[12:13], off
                                        ; implicit-def: $vgpr34_vgpr35
	s_and_saveexec_b64 s[0:1], vcc
	s_xor_b64 s[0:1], exec, s[0:1]
; %bb.91:
	v_xor_b32_e32 v34, 0xfffffbff, v0
	v_ashrrev_i32_e32 v35, 31, v34
	v_lshl_add_u64 v[34:35], v[20:21], 0, v[34:35]
; %bb.92:
	s_andn2_saveexec_b64 s[0:1], s[0:1]
; %bb.93:
	v_lshl_add_u64 v[34:35], v[14:15], 0, v[30:31]
; %bb.94:
	s_or_b64 exec, exec, s[0:1]
	v_lshl_add_u64 v[34:35], v[34:35], 3, s[28:29]
	v_cmp_ge_u32_e32 vcc, v28, v16
	s_waitcnt lgkmcnt(2)
	global_store_dwordx2 v[34:35], v[6:7], off
                                        ; implicit-def: $vgpr34_vgpr35
	s_and_saveexec_b64 s[0:1], vcc
	s_xor_b64 s[0:1], exec, s[0:1]
; %bb.95:
	v_xor_b32_e32 v34, 0xfffff9ff, v0
	v_ashrrev_i32_e32 v35, 31, v34
	v_lshl_add_u64 v[34:35], v[20:21], 0, v[34:35]
; %bb.96:
	s_andn2_saveexec_b64 s[0:1], s[0:1]
; %bb.97:
	v_lshl_add_u64 v[34:35], v[14:15], 0, v[28:29]
; %bb.98:
	s_or_b64 exec, exec, s[0:1]
	v_lshl_add_u64 v[34:35], v[34:35], 3, s[28:29]
	v_cmp_ge_u32_e32 vcc, v26, v16
	global_store_dwordx2 v[34:35], v[8:9], off
                                        ; implicit-def: $vgpr34_vgpr35
	s_and_saveexec_b64 s[0:1], vcc
	s_xor_b64 s[0:1], exec, s[0:1]
; %bb.99:
	v_xor_b32_e32 v34, 0xfffff7ff, v0
	;; [unrolled: 33-line block ×3, first 2 shown]
	v_ashrrev_i32_e32 v35, 31, v34
	v_lshl_add_u64 v[34:35], v[20:21], 0, v[34:35]
; %bb.108:
	s_andn2_saveexec_b64 s[0:1], s[0:1]
; %bb.109:
	v_lshl_add_u64 v[34:35], v[14:15], 0, v[22:23]
; %bb.110:
	s_or_b64 exec, exec, s[0:1]
	s_mov_b64 s[0:1], -1
.LBB3571_111:
	s_and_saveexec_b64 s[2:3], s[0:1]
	s_cbranch_execz .LBB3571_158
.LBB3571_112:
	v_lshl_add_u64 v[0:1], v[34:35], 3, s[28:29]
	s_waitcnt lgkmcnt(0)
	global_store_dwordx2 v[0:1], v[18:19], off
	s_or_b64 exec, exec, s[2:3]
	s_and_b64 s[0:1], s[18:19], s[22:23]
	s_and_saveexec_b64 s[2:3], s[0:1]
	s_cbranch_execnz .LBB3571_159
.LBB3571_113:
	s_endpgm
.LBB3571_114:
	s_mov_b64 s[0:1], 0
                                        ; implicit-def: $vgpr34_vgpr35
	s_cbranch_execz .LBB3571_111
; %bb.115:
	v_cmp_gt_u32_e32 vcc, s33, v0
	s_and_saveexec_b64 s[2:3], vcc
	s_cbranch_execz .LBB3571_133
; %bb.116:
	v_cmp_ge_u32_e32 vcc, v0, v16
                                        ; implicit-def: $vgpr34_vgpr35
	s_and_saveexec_b64 s[4:5], vcc
	s_xor_b64 s[4:5], exec, s[4:5]
; %bb.117:
	v_not_b32_e32 v34, v0
	v_ashrrev_i32_e32 v35, 31, v34
	v_lshl_add_u64 v[34:35], v[20:21], 0, v[34:35]
; %bb.118:
	s_andn2_saveexec_b64 s[4:5], s[4:5]
; %bb.119:
	v_lshl_add_u64 v[34:35], v[14:15], 0, v[0:1]
; %bb.120:
	s_or_b64 exec, exec, s[4:5]
	v_lshl_add_u64 v[34:35], v[34:35], 3, s[28:29]
	s_waitcnt lgkmcnt(3)
	global_store_dwordx2 v[34:35], v[10:11], off
	s_or_b64 exec, exec, s[2:3]
	v_cmp_gt_u32_e32 vcc, s33, v32
	s_and_saveexec_b64 s[2:3], vcc
	s_cbranch_execnz .LBB3571_134
.LBB3571_121:
	s_or_b64 exec, exec, s[2:3]
	v_cmp_gt_u32_e32 vcc, s33, v30
	s_and_saveexec_b64 s[2:3], vcc
	s_cbranch_execz .LBB3571_139
.LBB3571_122:
	v_cmp_ge_u32_e32 vcc, v30, v16
                                        ; implicit-def: $vgpr10_vgpr11
	s_and_saveexec_b64 s[4:5], vcc
	s_xor_b64 s[4:5], exec, s[4:5]
	s_cbranch_execz .LBB3571_124
; %bb.123:
	s_waitcnt lgkmcnt(3)
	v_xor_b32_e32 v10, 0xfffffbff, v0
	v_ashrrev_i32_e32 v11, 31, v10
	v_lshl_add_u64 v[10:11], v[20:21], 0, v[10:11]
                                        ; implicit-def: $vgpr30_vgpr31
.LBB3571_124:
	s_andn2_saveexec_b64 s[4:5], s[4:5]
	s_cbranch_execz .LBB3571_126
; %bb.125:
	s_waitcnt lgkmcnt(3)
	v_lshl_add_u64 v[10:11], v[14:15], 0, v[30:31]
.LBB3571_126:
	s_or_b64 exec, exec, s[4:5]
	s_waitcnt lgkmcnt(3)
	v_lshl_add_u64 v[10:11], v[10:11], 3, s[28:29]
	s_waitcnt lgkmcnt(2)
	global_store_dwordx2 v[10:11], v[6:7], off
	s_or_b64 exec, exec, s[2:3]
	v_cmp_gt_u32_e32 vcc, s33, v28
	s_and_saveexec_b64 s[2:3], vcc
	s_cbranch_execnz .LBB3571_140
.LBB3571_127:
	s_or_b64 exec, exec, s[2:3]
	v_cmp_gt_u32_e32 vcc, s33, v26
	s_and_saveexec_b64 s[2:3], vcc
	s_cbranch_execz .LBB3571_145
.LBB3571_128:
	v_cmp_ge_u32_e32 vcc, v26, v16
                                        ; implicit-def: $vgpr6_vgpr7
	s_and_saveexec_b64 s[4:5], vcc
	s_xor_b64 s[4:5], exec, s[4:5]
	s_cbranch_execz .LBB3571_130
; %bb.129:
	s_waitcnt lgkmcnt(2)
	v_xor_b32_e32 v6, 0xfffff7ff, v0
	v_ashrrev_i32_e32 v7, 31, v6
	v_lshl_add_u64 v[6:7], v[20:21], 0, v[6:7]
                                        ; implicit-def: $vgpr26_vgpr27
.LBB3571_130:
	s_andn2_saveexec_b64 s[4:5], s[4:5]
	s_cbranch_execz .LBB3571_132
; %bb.131:
	s_waitcnt lgkmcnt(2)
	v_lshl_add_u64 v[6:7], v[14:15], 0, v[26:27]
.LBB3571_132:
	s_or_b64 exec, exec, s[4:5]
	s_waitcnt lgkmcnt(2)
	v_lshl_add_u64 v[6:7], v[6:7], 3, s[28:29]
	s_waitcnt lgkmcnt(1)
	global_store_dwordx2 v[6:7], v[2:3], off
	s_or_b64 exec, exec, s[2:3]
	v_cmp_gt_u32_e32 vcc, s33, v24
	s_and_saveexec_b64 s[2:3], vcc
	s_cbranch_execz .LBB3571_151
	s_branch .LBB3571_146
.LBB3571_133:
	s_or_b64 exec, exec, s[2:3]
	v_cmp_gt_u32_e32 vcc, s33, v32
	s_and_saveexec_b64 s[2:3], vcc
	s_cbranch_execz .LBB3571_121
.LBB3571_134:
	v_cmp_ge_u32_e32 vcc, v32, v16
                                        ; implicit-def: $vgpr10_vgpr11
	s_and_saveexec_b64 s[4:5], vcc
	s_xor_b64 s[4:5], exec, s[4:5]
	s_cbranch_execz .LBB3571_136
; %bb.135:
	s_waitcnt lgkmcnt(3)
	v_xor_b32_e32 v10, 0xfffffdff, v0
	v_ashrrev_i32_e32 v11, 31, v10
	v_lshl_add_u64 v[10:11], v[20:21], 0, v[10:11]
                                        ; implicit-def: $vgpr32_vgpr33
.LBB3571_136:
	s_andn2_saveexec_b64 s[4:5], s[4:5]
	s_cbranch_execz .LBB3571_138
; %bb.137:
	s_waitcnt lgkmcnt(3)
	v_lshl_add_u64 v[10:11], v[14:15], 0, v[32:33]
.LBB3571_138:
	s_or_b64 exec, exec, s[4:5]
	s_waitcnt lgkmcnt(3)
	v_lshl_add_u64 v[10:11], v[10:11], 3, s[28:29]
	global_store_dwordx2 v[10:11], v[12:13], off
	s_or_b64 exec, exec, s[2:3]
	v_cmp_gt_u32_e32 vcc, s33, v30
	s_and_saveexec_b64 s[2:3], vcc
	s_cbranch_execnz .LBB3571_122
.LBB3571_139:
	s_or_b64 exec, exec, s[2:3]
	v_cmp_gt_u32_e32 vcc, s33, v28
	s_and_saveexec_b64 s[2:3], vcc
	s_cbranch_execz .LBB3571_127
.LBB3571_140:
	v_cmp_ge_u32_e32 vcc, v28, v16
                                        ; implicit-def: $vgpr6_vgpr7
	s_and_saveexec_b64 s[4:5], vcc
	s_xor_b64 s[4:5], exec, s[4:5]
	s_cbranch_execz .LBB3571_142
; %bb.141:
	s_waitcnt lgkmcnt(2)
	v_xor_b32_e32 v6, 0xfffff9ff, v0
	v_ashrrev_i32_e32 v7, 31, v6
	v_lshl_add_u64 v[6:7], v[20:21], 0, v[6:7]
                                        ; implicit-def: $vgpr28_vgpr29
.LBB3571_142:
	s_andn2_saveexec_b64 s[4:5], s[4:5]
	s_cbranch_execz .LBB3571_144
; %bb.143:
	s_waitcnt lgkmcnt(2)
	v_lshl_add_u64 v[6:7], v[14:15], 0, v[28:29]
.LBB3571_144:
	s_or_b64 exec, exec, s[4:5]
	s_waitcnt lgkmcnt(2)
	v_lshl_add_u64 v[6:7], v[6:7], 3, s[28:29]
	global_store_dwordx2 v[6:7], v[8:9], off
	s_or_b64 exec, exec, s[2:3]
	v_cmp_gt_u32_e32 vcc, s33, v26
	s_and_saveexec_b64 s[2:3], vcc
	s_cbranch_execnz .LBB3571_128
.LBB3571_145:
	s_or_b64 exec, exec, s[2:3]
	v_cmp_gt_u32_e32 vcc, s33, v24
	s_and_saveexec_b64 s[2:3], vcc
	s_cbranch_execz .LBB3571_151
.LBB3571_146:
	v_cmp_ge_u32_e32 vcc, v24, v16
                                        ; implicit-def: $vgpr2_vgpr3
	s_and_saveexec_b64 s[4:5], vcc
	s_xor_b64 s[4:5], exec, s[4:5]
	s_cbranch_execz .LBB3571_148
; %bb.147:
	s_waitcnt lgkmcnt(1)
	v_xor_b32_e32 v2, 0xfffff5ff, v0
	v_ashrrev_i32_e32 v3, 31, v2
	v_lshl_add_u64 v[2:3], v[20:21], 0, v[2:3]
                                        ; implicit-def: $vgpr24_vgpr25
.LBB3571_148:
	s_andn2_saveexec_b64 s[4:5], s[4:5]
	s_cbranch_execz .LBB3571_150
; %bb.149:
	s_waitcnt lgkmcnt(1)
	v_lshl_add_u64 v[2:3], v[14:15], 0, v[24:25]
.LBB3571_150:
	s_or_b64 exec, exec, s[4:5]
	s_waitcnt lgkmcnt(1)
	v_lshl_add_u64 v[2:3], v[2:3], 3, s[28:29]
	global_store_dwordx2 v[2:3], v[4:5], off
.LBB3571_151:
	s_or_b64 exec, exec, s[2:3]
	v_cmp_gt_u32_e32 vcc, s33, v22
                                        ; implicit-def: $vgpr34_vgpr35
	s_and_saveexec_b64 s[2:3], vcc
	s_cbranch_execz .LBB3571_157
; %bb.152:
	v_cmp_ge_u32_e32 vcc, v22, v16
                                        ; implicit-def: $vgpr34_vgpr35
	s_and_saveexec_b64 s[4:5], vcc
	s_xor_b64 s[4:5], exec, s[4:5]
; %bb.153:
	v_xor_b32_e32 v0, 0xfffff3ff, v0
	v_ashrrev_i32_e32 v1, 31, v0
	v_lshl_add_u64 v[34:35], v[20:21], 0, v[0:1]
                                        ; implicit-def: $vgpr22_vgpr23
; %bb.154:
	s_andn2_saveexec_b64 s[4:5], s[4:5]
; %bb.155:
	v_lshl_add_u64 v[34:35], v[14:15], 0, v[22:23]
; %bb.156:
	s_or_b64 exec, exec, s[4:5]
	s_or_b64 s[0:1], s[0:1], exec
.LBB3571_157:
	s_or_b64 exec, exec, s[2:3]
	s_and_saveexec_b64 s[2:3], s[0:1]
	s_cbranch_execnz .LBB3571_112
.LBB3571_158:
	s_or_b64 exec, exec, s[2:3]
	s_and_b64 s[0:1], s[18:19], s[22:23]
	s_and_saveexec_b64 s[2:3], s[0:1]
	s_cbranch_execz .LBB3571_113
.LBB3571_159:
	s_waitcnt lgkmcnt(1)
	v_mov_b32_e32 v2, 0
	v_lshl_add_u64 v[0:1], v[14:15], 0, v[16:17]
	global_store_dwordx2 v2, v[0:1], s[20:21]
	s_endpgm
	.section	.rodata,"a",@progbits
	.p2align	6, 0x0
	.amdhsa_kernel _ZN7rocprim17ROCPRIM_400000_NS6detail17trampoline_kernelINS0_14default_configENS1_25partition_config_selectorILNS1_17partition_subalgoE2ExNS0_10empty_typeEbEEZZNS1_14partition_implILS5_2ELb0ES3_jN6thrust23THRUST_200600_302600_NS6detail15normal_iteratorINSA_7pointerIxNSA_11hip_rocprim3tagENSA_11use_defaultESG_EEEEPS6_NSA_18transform_iteratorI10is_orderedNSA_12zip_iteratorINSA_5tupleINSC_INSA_10device_ptrIxEEEESQ_NSA_9null_typeESR_SR_SR_SR_SR_SR_SR_EEEESG_SG_EENS0_5tupleIJPxSJ_EEENSV_IJSJ_SJ_EEES6_PlJS6_EEE10hipError_tPvRmT3_T4_T5_T6_T7_T9_mT8_P12ihipStream_tbDpT10_ENKUlT_T0_E_clISt17integral_constantIbLb1EES1J_EEDaS1E_S1F_EUlS1E_E_NS1_11comp_targetILNS1_3genE5ELNS1_11target_archE942ELNS1_3gpuE9ELNS1_3repE0EEENS1_30default_config_static_selectorELNS0_4arch9wavefront6targetE1EEEvT1_
		.amdhsa_group_segment_fixed_size 28680
		.amdhsa_private_segment_fixed_size 0
		.amdhsa_kernarg_size 152
		.amdhsa_user_sgpr_count 2
		.amdhsa_user_sgpr_dispatch_ptr 0
		.amdhsa_user_sgpr_queue_ptr 0
		.amdhsa_user_sgpr_kernarg_segment_ptr 1
		.amdhsa_user_sgpr_dispatch_id 0
		.amdhsa_user_sgpr_kernarg_preload_length 0
		.amdhsa_user_sgpr_kernarg_preload_offset 0
		.amdhsa_user_sgpr_private_segment_size 0
		.amdhsa_uses_dynamic_stack 0
		.amdhsa_enable_private_segment 0
		.amdhsa_system_sgpr_workgroup_id_x 1
		.amdhsa_system_sgpr_workgroup_id_y 0
		.amdhsa_system_sgpr_workgroup_id_z 0
		.amdhsa_system_sgpr_workgroup_info 0
		.amdhsa_system_vgpr_workitem_id 0
		.amdhsa_next_free_vgpr 56
		.amdhsa_next_free_sgpr 46
		.amdhsa_accum_offset 56
		.amdhsa_reserve_vcc 1
		.amdhsa_float_round_mode_32 0
		.amdhsa_float_round_mode_16_64 0
		.amdhsa_float_denorm_mode_32 3
		.amdhsa_float_denorm_mode_16_64 3
		.amdhsa_dx10_clamp 1
		.amdhsa_ieee_mode 1
		.amdhsa_fp16_overflow 0
		.amdhsa_tg_split 0
		.amdhsa_exception_fp_ieee_invalid_op 0
		.amdhsa_exception_fp_denorm_src 0
		.amdhsa_exception_fp_ieee_div_zero 0
		.amdhsa_exception_fp_ieee_overflow 0
		.amdhsa_exception_fp_ieee_underflow 0
		.amdhsa_exception_fp_ieee_inexact 0
		.amdhsa_exception_int_div_zero 0
	.end_amdhsa_kernel
	.section	.text._ZN7rocprim17ROCPRIM_400000_NS6detail17trampoline_kernelINS0_14default_configENS1_25partition_config_selectorILNS1_17partition_subalgoE2ExNS0_10empty_typeEbEEZZNS1_14partition_implILS5_2ELb0ES3_jN6thrust23THRUST_200600_302600_NS6detail15normal_iteratorINSA_7pointerIxNSA_11hip_rocprim3tagENSA_11use_defaultESG_EEEEPS6_NSA_18transform_iteratorI10is_orderedNSA_12zip_iteratorINSA_5tupleINSC_INSA_10device_ptrIxEEEESQ_NSA_9null_typeESR_SR_SR_SR_SR_SR_SR_EEEESG_SG_EENS0_5tupleIJPxSJ_EEENSV_IJSJ_SJ_EEES6_PlJS6_EEE10hipError_tPvRmT3_T4_T5_T6_T7_T9_mT8_P12ihipStream_tbDpT10_ENKUlT_T0_E_clISt17integral_constantIbLb1EES1J_EEDaS1E_S1F_EUlS1E_E_NS1_11comp_targetILNS1_3genE5ELNS1_11target_archE942ELNS1_3gpuE9ELNS1_3repE0EEENS1_30default_config_static_selectorELNS0_4arch9wavefront6targetE1EEEvT1_,"axG",@progbits,_ZN7rocprim17ROCPRIM_400000_NS6detail17trampoline_kernelINS0_14default_configENS1_25partition_config_selectorILNS1_17partition_subalgoE2ExNS0_10empty_typeEbEEZZNS1_14partition_implILS5_2ELb0ES3_jN6thrust23THRUST_200600_302600_NS6detail15normal_iteratorINSA_7pointerIxNSA_11hip_rocprim3tagENSA_11use_defaultESG_EEEEPS6_NSA_18transform_iteratorI10is_orderedNSA_12zip_iteratorINSA_5tupleINSC_INSA_10device_ptrIxEEEESQ_NSA_9null_typeESR_SR_SR_SR_SR_SR_SR_EEEESG_SG_EENS0_5tupleIJPxSJ_EEENSV_IJSJ_SJ_EEES6_PlJS6_EEE10hipError_tPvRmT3_T4_T5_T6_T7_T9_mT8_P12ihipStream_tbDpT10_ENKUlT_T0_E_clISt17integral_constantIbLb1EES1J_EEDaS1E_S1F_EUlS1E_E_NS1_11comp_targetILNS1_3genE5ELNS1_11target_archE942ELNS1_3gpuE9ELNS1_3repE0EEENS1_30default_config_static_selectorELNS0_4arch9wavefront6targetE1EEEvT1_,comdat
.Lfunc_end3571:
	.size	_ZN7rocprim17ROCPRIM_400000_NS6detail17trampoline_kernelINS0_14default_configENS1_25partition_config_selectorILNS1_17partition_subalgoE2ExNS0_10empty_typeEbEEZZNS1_14partition_implILS5_2ELb0ES3_jN6thrust23THRUST_200600_302600_NS6detail15normal_iteratorINSA_7pointerIxNSA_11hip_rocprim3tagENSA_11use_defaultESG_EEEEPS6_NSA_18transform_iteratorI10is_orderedNSA_12zip_iteratorINSA_5tupleINSC_INSA_10device_ptrIxEEEESQ_NSA_9null_typeESR_SR_SR_SR_SR_SR_SR_EEEESG_SG_EENS0_5tupleIJPxSJ_EEENSV_IJSJ_SJ_EEES6_PlJS6_EEE10hipError_tPvRmT3_T4_T5_T6_T7_T9_mT8_P12ihipStream_tbDpT10_ENKUlT_T0_E_clISt17integral_constantIbLb1EES1J_EEDaS1E_S1F_EUlS1E_E_NS1_11comp_targetILNS1_3genE5ELNS1_11target_archE942ELNS1_3gpuE9ELNS1_3repE0EEENS1_30default_config_static_selectorELNS0_4arch9wavefront6targetE1EEEvT1_, .Lfunc_end3571-_ZN7rocprim17ROCPRIM_400000_NS6detail17trampoline_kernelINS0_14default_configENS1_25partition_config_selectorILNS1_17partition_subalgoE2ExNS0_10empty_typeEbEEZZNS1_14partition_implILS5_2ELb0ES3_jN6thrust23THRUST_200600_302600_NS6detail15normal_iteratorINSA_7pointerIxNSA_11hip_rocprim3tagENSA_11use_defaultESG_EEEEPS6_NSA_18transform_iteratorI10is_orderedNSA_12zip_iteratorINSA_5tupleINSC_INSA_10device_ptrIxEEEESQ_NSA_9null_typeESR_SR_SR_SR_SR_SR_SR_EEEESG_SG_EENS0_5tupleIJPxSJ_EEENSV_IJSJ_SJ_EEES6_PlJS6_EEE10hipError_tPvRmT3_T4_T5_T6_T7_T9_mT8_P12ihipStream_tbDpT10_ENKUlT_T0_E_clISt17integral_constantIbLb1EES1J_EEDaS1E_S1F_EUlS1E_E_NS1_11comp_targetILNS1_3genE5ELNS1_11target_archE942ELNS1_3gpuE9ELNS1_3repE0EEENS1_30default_config_static_selectorELNS0_4arch9wavefront6targetE1EEEvT1_
                                        ; -- End function
	.section	.AMDGPU.csdata,"",@progbits
; Kernel info:
; codeLenInByte = 6040
; NumSgprs: 52
; NumVgprs: 56
; NumAgprs: 0
; TotalNumVgprs: 56
; ScratchSize: 0
; MemoryBound: 0
; FloatMode: 240
; IeeeMode: 1
; LDSByteSize: 28680 bytes/workgroup (compile time only)
; SGPRBlocks: 6
; VGPRBlocks: 6
; NumSGPRsForWavesPerEU: 52
; NumVGPRsForWavesPerEU: 56
; AccumOffset: 56
; Occupancy: 4
; WaveLimiterHint : 1
; COMPUTE_PGM_RSRC2:SCRATCH_EN: 0
; COMPUTE_PGM_RSRC2:USER_SGPR: 2
; COMPUTE_PGM_RSRC2:TRAP_HANDLER: 0
; COMPUTE_PGM_RSRC2:TGID_X_EN: 1
; COMPUTE_PGM_RSRC2:TGID_Y_EN: 0
; COMPUTE_PGM_RSRC2:TGID_Z_EN: 0
; COMPUTE_PGM_RSRC2:TIDIG_COMP_CNT: 0
; COMPUTE_PGM_RSRC3_GFX90A:ACCUM_OFFSET: 13
; COMPUTE_PGM_RSRC3_GFX90A:TG_SPLIT: 0
	.section	.text._ZN7rocprim17ROCPRIM_400000_NS6detail17trampoline_kernelINS0_14default_configENS1_25partition_config_selectorILNS1_17partition_subalgoE2ExNS0_10empty_typeEbEEZZNS1_14partition_implILS5_2ELb0ES3_jN6thrust23THRUST_200600_302600_NS6detail15normal_iteratorINSA_7pointerIxNSA_11hip_rocprim3tagENSA_11use_defaultESG_EEEEPS6_NSA_18transform_iteratorI10is_orderedNSA_12zip_iteratorINSA_5tupleINSC_INSA_10device_ptrIxEEEESQ_NSA_9null_typeESR_SR_SR_SR_SR_SR_SR_EEEESG_SG_EENS0_5tupleIJPxSJ_EEENSV_IJSJ_SJ_EEES6_PlJS6_EEE10hipError_tPvRmT3_T4_T5_T6_T7_T9_mT8_P12ihipStream_tbDpT10_ENKUlT_T0_E_clISt17integral_constantIbLb1EES1J_EEDaS1E_S1F_EUlS1E_E_NS1_11comp_targetILNS1_3genE4ELNS1_11target_archE910ELNS1_3gpuE8ELNS1_3repE0EEENS1_30default_config_static_selectorELNS0_4arch9wavefront6targetE1EEEvT1_,"axG",@progbits,_ZN7rocprim17ROCPRIM_400000_NS6detail17trampoline_kernelINS0_14default_configENS1_25partition_config_selectorILNS1_17partition_subalgoE2ExNS0_10empty_typeEbEEZZNS1_14partition_implILS5_2ELb0ES3_jN6thrust23THRUST_200600_302600_NS6detail15normal_iteratorINSA_7pointerIxNSA_11hip_rocprim3tagENSA_11use_defaultESG_EEEEPS6_NSA_18transform_iteratorI10is_orderedNSA_12zip_iteratorINSA_5tupleINSC_INSA_10device_ptrIxEEEESQ_NSA_9null_typeESR_SR_SR_SR_SR_SR_SR_EEEESG_SG_EENS0_5tupleIJPxSJ_EEENSV_IJSJ_SJ_EEES6_PlJS6_EEE10hipError_tPvRmT3_T4_T5_T6_T7_T9_mT8_P12ihipStream_tbDpT10_ENKUlT_T0_E_clISt17integral_constantIbLb1EES1J_EEDaS1E_S1F_EUlS1E_E_NS1_11comp_targetILNS1_3genE4ELNS1_11target_archE910ELNS1_3gpuE8ELNS1_3repE0EEENS1_30default_config_static_selectorELNS0_4arch9wavefront6targetE1EEEvT1_,comdat
	.protected	_ZN7rocprim17ROCPRIM_400000_NS6detail17trampoline_kernelINS0_14default_configENS1_25partition_config_selectorILNS1_17partition_subalgoE2ExNS0_10empty_typeEbEEZZNS1_14partition_implILS5_2ELb0ES3_jN6thrust23THRUST_200600_302600_NS6detail15normal_iteratorINSA_7pointerIxNSA_11hip_rocprim3tagENSA_11use_defaultESG_EEEEPS6_NSA_18transform_iteratorI10is_orderedNSA_12zip_iteratorINSA_5tupleINSC_INSA_10device_ptrIxEEEESQ_NSA_9null_typeESR_SR_SR_SR_SR_SR_SR_EEEESG_SG_EENS0_5tupleIJPxSJ_EEENSV_IJSJ_SJ_EEES6_PlJS6_EEE10hipError_tPvRmT3_T4_T5_T6_T7_T9_mT8_P12ihipStream_tbDpT10_ENKUlT_T0_E_clISt17integral_constantIbLb1EES1J_EEDaS1E_S1F_EUlS1E_E_NS1_11comp_targetILNS1_3genE4ELNS1_11target_archE910ELNS1_3gpuE8ELNS1_3repE0EEENS1_30default_config_static_selectorELNS0_4arch9wavefront6targetE1EEEvT1_ ; -- Begin function _ZN7rocprim17ROCPRIM_400000_NS6detail17trampoline_kernelINS0_14default_configENS1_25partition_config_selectorILNS1_17partition_subalgoE2ExNS0_10empty_typeEbEEZZNS1_14partition_implILS5_2ELb0ES3_jN6thrust23THRUST_200600_302600_NS6detail15normal_iteratorINSA_7pointerIxNSA_11hip_rocprim3tagENSA_11use_defaultESG_EEEEPS6_NSA_18transform_iteratorI10is_orderedNSA_12zip_iteratorINSA_5tupleINSC_INSA_10device_ptrIxEEEESQ_NSA_9null_typeESR_SR_SR_SR_SR_SR_SR_EEEESG_SG_EENS0_5tupleIJPxSJ_EEENSV_IJSJ_SJ_EEES6_PlJS6_EEE10hipError_tPvRmT3_T4_T5_T6_T7_T9_mT8_P12ihipStream_tbDpT10_ENKUlT_T0_E_clISt17integral_constantIbLb1EES1J_EEDaS1E_S1F_EUlS1E_E_NS1_11comp_targetILNS1_3genE4ELNS1_11target_archE910ELNS1_3gpuE8ELNS1_3repE0EEENS1_30default_config_static_selectorELNS0_4arch9wavefront6targetE1EEEvT1_
	.globl	_ZN7rocprim17ROCPRIM_400000_NS6detail17trampoline_kernelINS0_14default_configENS1_25partition_config_selectorILNS1_17partition_subalgoE2ExNS0_10empty_typeEbEEZZNS1_14partition_implILS5_2ELb0ES3_jN6thrust23THRUST_200600_302600_NS6detail15normal_iteratorINSA_7pointerIxNSA_11hip_rocprim3tagENSA_11use_defaultESG_EEEEPS6_NSA_18transform_iteratorI10is_orderedNSA_12zip_iteratorINSA_5tupleINSC_INSA_10device_ptrIxEEEESQ_NSA_9null_typeESR_SR_SR_SR_SR_SR_SR_EEEESG_SG_EENS0_5tupleIJPxSJ_EEENSV_IJSJ_SJ_EEES6_PlJS6_EEE10hipError_tPvRmT3_T4_T5_T6_T7_T9_mT8_P12ihipStream_tbDpT10_ENKUlT_T0_E_clISt17integral_constantIbLb1EES1J_EEDaS1E_S1F_EUlS1E_E_NS1_11comp_targetILNS1_3genE4ELNS1_11target_archE910ELNS1_3gpuE8ELNS1_3repE0EEENS1_30default_config_static_selectorELNS0_4arch9wavefront6targetE1EEEvT1_
	.p2align	8
	.type	_ZN7rocprim17ROCPRIM_400000_NS6detail17trampoline_kernelINS0_14default_configENS1_25partition_config_selectorILNS1_17partition_subalgoE2ExNS0_10empty_typeEbEEZZNS1_14partition_implILS5_2ELb0ES3_jN6thrust23THRUST_200600_302600_NS6detail15normal_iteratorINSA_7pointerIxNSA_11hip_rocprim3tagENSA_11use_defaultESG_EEEEPS6_NSA_18transform_iteratorI10is_orderedNSA_12zip_iteratorINSA_5tupleINSC_INSA_10device_ptrIxEEEESQ_NSA_9null_typeESR_SR_SR_SR_SR_SR_SR_EEEESG_SG_EENS0_5tupleIJPxSJ_EEENSV_IJSJ_SJ_EEES6_PlJS6_EEE10hipError_tPvRmT3_T4_T5_T6_T7_T9_mT8_P12ihipStream_tbDpT10_ENKUlT_T0_E_clISt17integral_constantIbLb1EES1J_EEDaS1E_S1F_EUlS1E_E_NS1_11comp_targetILNS1_3genE4ELNS1_11target_archE910ELNS1_3gpuE8ELNS1_3repE0EEENS1_30default_config_static_selectorELNS0_4arch9wavefront6targetE1EEEvT1_,@function
_ZN7rocprim17ROCPRIM_400000_NS6detail17trampoline_kernelINS0_14default_configENS1_25partition_config_selectorILNS1_17partition_subalgoE2ExNS0_10empty_typeEbEEZZNS1_14partition_implILS5_2ELb0ES3_jN6thrust23THRUST_200600_302600_NS6detail15normal_iteratorINSA_7pointerIxNSA_11hip_rocprim3tagENSA_11use_defaultESG_EEEEPS6_NSA_18transform_iteratorI10is_orderedNSA_12zip_iteratorINSA_5tupleINSC_INSA_10device_ptrIxEEEESQ_NSA_9null_typeESR_SR_SR_SR_SR_SR_SR_EEEESG_SG_EENS0_5tupleIJPxSJ_EEENSV_IJSJ_SJ_EEES6_PlJS6_EEE10hipError_tPvRmT3_T4_T5_T6_T7_T9_mT8_P12ihipStream_tbDpT10_ENKUlT_T0_E_clISt17integral_constantIbLb1EES1J_EEDaS1E_S1F_EUlS1E_E_NS1_11comp_targetILNS1_3genE4ELNS1_11target_archE910ELNS1_3gpuE8ELNS1_3repE0EEENS1_30default_config_static_selectorELNS0_4arch9wavefront6targetE1EEEvT1_: ; @_ZN7rocprim17ROCPRIM_400000_NS6detail17trampoline_kernelINS0_14default_configENS1_25partition_config_selectorILNS1_17partition_subalgoE2ExNS0_10empty_typeEbEEZZNS1_14partition_implILS5_2ELb0ES3_jN6thrust23THRUST_200600_302600_NS6detail15normal_iteratorINSA_7pointerIxNSA_11hip_rocprim3tagENSA_11use_defaultESG_EEEEPS6_NSA_18transform_iteratorI10is_orderedNSA_12zip_iteratorINSA_5tupleINSC_INSA_10device_ptrIxEEEESQ_NSA_9null_typeESR_SR_SR_SR_SR_SR_SR_EEEESG_SG_EENS0_5tupleIJPxSJ_EEENSV_IJSJ_SJ_EEES6_PlJS6_EEE10hipError_tPvRmT3_T4_T5_T6_T7_T9_mT8_P12ihipStream_tbDpT10_ENKUlT_T0_E_clISt17integral_constantIbLb1EES1J_EEDaS1E_S1F_EUlS1E_E_NS1_11comp_targetILNS1_3genE4ELNS1_11target_archE910ELNS1_3gpuE8ELNS1_3repE0EEENS1_30default_config_static_selectorELNS0_4arch9wavefront6targetE1EEEvT1_
; %bb.0:
	.section	.rodata,"a",@progbits
	.p2align	6, 0x0
	.amdhsa_kernel _ZN7rocprim17ROCPRIM_400000_NS6detail17trampoline_kernelINS0_14default_configENS1_25partition_config_selectorILNS1_17partition_subalgoE2ExNS0_10empty_typeEbEEZZNS1_14partition_implILS5_2ELb0ES3_jN6thrust23THRUST_200600_302600_NS6detail15normal_iteratorINSA_7pointerIxNSA_11hip_rocprim3tagENSA_11use_defaultESG_EEEEPS6_NSA_18transform_iteratorI10is_orderedNSA_12zip_iteratorINSA_5tupleINSC_INSA_10device_ptrIxEEEESQ_NSA_9null_typeESR_SR_SR_SR_SR_SR_SR_EEEESG_SG_EENS0_5tupleIJPxSJ_EEENSV_IJSJ_SJ_EEES6_PlJS6_EEE10hipError_tPvRmT3_T4_T5_T6_T7_T9_mT8_P12ihipStream_tbDpT10_ENKUlT_T0_E_clISt17integral_constantIbLb1EES1J_EEDaS1E_S1F_EUlS1E_E_NS1_11comp_targetILNS1_3genE4ELNS1_11target_archE910ELNS1_3gpuE8ELNS1_3repE0EEENS1_30default_config_static_selectorELNS0_4arch9wavefront6targetE1EEEvT1_
		.amdhsa_group_segment_fixed_size 0
		.amdhsa_private_segment_fixed_size 0
		.amdhsa_kernarg_size 152
		.amdhsa_user_sgpr_count 2
		.amdhsa_user_sgpr_dispatch_ptr 0
		.amdhsa_user_sgpr_queue_ptr 0
		.amdhsa_user_sgpr_kernarg_segment_ptr 1
		.amdhsa_user_sgpr_dispatch_id 0
		.amdhsa_user_sgpr_kernarg_preload_length 0
		.amdhsa_user_sgpr_kernarg_preload_offset 0
		.amdhsa_user_sgpr_private_segment_size 0
		.amdhsa_uses_dynamic_stack 0
		.amdhsa_enable_private_segment 0
		.amdhsa_system_sgpr_workgroup_id_x 1
		.amdhsa_system_sgpr_workgroup_id_y 0
		.amdhsa_system_sgpr_workgroup_id_z 0
		.amdhsa_system_sgpr_workgroup_info 0
		.amdhsa_system_vgpr_workitem_id 0
		.amdhsa_next_free_vgpr 1
		.amdhsa_next_free_sgpr 0
		.amdhsa_accum_offset 4
		.amdhsa_reserve_vcc 0
		.amdhsa_float_round_mode_32 0
		.amdhsa_float_round_mode_16_64 0
		.amdhsa_float_denorm_mode_32 3
		.amdhsa_float_denorm_mode_16_64 3
		.amdhsa_dx10_clamp 1
		.amdhsa_ieee_mode 1
		.amdhsa_fp16_overflow 0
		.amdhsa_tg_split 0
		.amdhsa_exception_fp_ieee_invalid_op 0
		.amdhsa_exception_fp_denorm_src 0
		.amdhsa_exception_fp_ieee_div_zero 0
		.amdhsa_exception_fp_ieee_overflow 0
		.amdhsa_exception_fp_ieee_underflow 0
		.amdhsa_exception_fp_ieee_inexact 0
		.amdhsa_exception_int_div_zero 0
	.end_amdhsa_kernel
	.section	.text._ZN7rocprim17ROCPRIM_400000_NS6detail17trampoline_kernelINS0_14default_configENS1_25partition_config_selectorILNS1_17partition_subalgoE2ExNS0_10empty_typeEbEEZZNS1_14partition_implILS5_2ELb0ES3_jN6thrust23THRUST_200600_302600_NS6detail15normal_iteratorINSA_7pointerIxNSA_11hip_rocprim3tagENSA_11use_defaultESG_EEEEPS6_NSA_18transform_iteratorI10is_orderedNSA_12zip_iteratorINSA_5tupleINSC_INSA_10device_ptrIxEEEESQ_NSA_9null_typeESR_SR_SR_SR_SR_SR_SR_EEEESG_SG_EENS0_5tupleIJPxSJ_EEENSV_IJSJ_SJ_EEES6_PlJS6_EEE10hipError_tPvRmT3_T4_T5_T6_T7_T9_mT8_P12ihipStream_tbDpT10_ENKUlT_T0_E_clISt17integral_constantIbLb1EES1J_EEDaS1E_S1F_EUlS1E_E_NS1_11comp_targetILNS1_3genE4ELNS1_11target_archE910ELNS1_3gpuE8ELNS1_3repE0EEENS1_30default_config_static_selectorELNS0_4arch9wavefront6targetE1EEEvT1_,"axG",@progbits,_ZN7rocprim17ROCPRIM_400000_NS6detail17trampoline_kernelINS0_14default_configENS1_25partition_config_selectorILNS1_17partition_subalgoE2ExNS0_10empty_typeEbEEZZNS1_14partition_implILS5_2ELb0ES3_jN6thrust23THRUST_200600_302600_NS6detail15normal_iteratorINSA_7pointerIxNSA_11hip_rocprim3tagENSA_11use_defaultESG_EEEEPS6_NSA_18transform_iteratorI10is_orderedNSA_12zip_iteratorINSA_5tupleINSC_INSA_10device_ptrIxEEEESQ_NSA_9null_typeESR_SR_SR_SR_SR_SR_SR_EEEESG_SG_EENS0_5tupleIJPxSJ_EEENSV_IJSJ_SJ_EEES6_PlJS6_EEE10hipError_tPvRmT3_T4_T5_T6_T7_T9_mT8_P12ihipStream_tbDpT10_ENKUlT_T0_E_clISt17integral_constantIbLb1EES1J_EEDaS1E_S1F_EUlS1E_E_NS1_11comp_targetILNS1_3genE4ELNS1_11target_archE910ELNS1_3gpuE8ELNS1_3repE0EEENS1_30default_config_static_selectorELNS0_4arch9wavefront6targetE1EEEvT1_,comdat
.Lfunc_end3572:
	.size	_ZN7rocprim17ROCPRIM_400000_NS6detail17trampoline_kernelINS0_14default_configENS1_25partition_config_selectorILNS1_17partition_subalgoE2ExNS0_10empty_typeEbEEZZNS1_14partition_implILS5_2ELb0ES3_jN6thrust23THRUST_200600_302600_NS6detail15normal_iteratorINSA_7pointerIxNSA_11hip_rocprim3tagENSA_11use_defaultESG_EEEEPS6_NSA_18transform_iteratorI10is_orderedNSA_12zip_iteratorINSA_5tupleINSC_INSA_10device_ptrIxEEEESQ_NSA_9null_typeESR_SR_SR_SR_SR_SR_SR_EEEESG_SG_EENS0_5tupleIJPxSJ_EEENSV_IJSJ_SJ_EEES6_PlJS6_EEE10hipError_tPvRmT3_T4_T5_T6_T7_T9_mT8_P12ihipStream_tbDpT10_ENKUlT_T0_E_clISt17integral_constantIbLb1EES1J_EEDaS1E_S1F_EUlS1E_E_NS1_11comp_targetILNS1_3genE4ELNS1_11target_archE910ELNS1_3gpuE8ELNS1_3repE0EEENS1_30default_config_static_selectorELNS0_4arch9wavefront6targetE1EEEvT1_, .Lfunc_end3572-_ZN7rocprim17ROCPRIM_400000_NS6detail17trampoline_kernelINS0_14default_configENS1_25partition_config_selectorILNS1_17partition_subalgoE2ExNS0_10empty_typeEbEEZZNS1_14partition_implILS5_2ELb0ES3_jN6thrust23THRUST_200600_302600_NS6detail15normal_iteratorINSA_7pointerIxNSA_11hip_rocprim3tagENSA_11use_defaultESG_EEEEPS6_NSA_18transform_iteratorI10is_orderedNSA_12zip_iteratorINSA_5tupleINSC_INSA_10device_ptrIxEEEESQ_NSA_9null_typeESR_SR_SR_SR_SR_SR_SR_EEEESG_SG_EENS0_5tupleIJPxSJ_EEENSV_IJSJ_SJ_EEES6_PlJS6_EEE10hipError_tPvRmT3_T4_T5_T6_T7_T9_mT8_P12ihipStream_tbDpT10_ENKUlT_T0_E_clISt17integral_constantIbLb1EES1J_EEDaS1E_S1F_EUlS1E_E_NS1_11comp_targetILNS1_3genE4ELNS1_11target_archE910ELNS1_3gpuE8ELNS1_3repE0EEENS1_30default_config_static_selectorELNS0_4arch9wavefront6targetE1EEEvT1_
                                        ; -- End function
	.section	.AMDGPU.csdata,"",@progbits
; Kernel info:
; codeLenInByte = 0
; NumSgprs: 6
; NumVgprs: 0
; NumAgprs: 0
; TotalNumVgprs: 0
; ScratchSize: 0
; MemoryBound: 0
; FloatMode: 240
; IeeeMode: 1
; LDSByteSize: 0 bytes/workgroup (compile time only)
; SGPRBlocks: 0
; VGPRBlocks: 0
; NumSGPRsForWavesPerEU: 6
; NumVGPRsForWavesPerEU: 1
; AccumOffset: 4
; Occupancy: 8
; WaveLimiterHint : 0
; COMPUTE_PGM_RSRC2:SCRATCH_EN: 0
; COMPUTE_PGM_RSRC2:USER_SGPR: 2
; COMPUTE_PGM_RSRC2:TRAP_HANDLER: 0
; COMPUTE_PGM_RSRC2:TGID_X_EN: 1
; COMPUTE_PGM_RSRC2:TGID_Y_EN: 0
; COMPUTE_PGM_RSRC2:TGID_Z_EN: 0
; COMPUTE_PGM_RSRC2:TIDIG_COMP_CNT: 0
; COMPUTE_PGM_RSRC3_GFX90A:ACCUM_OFFSET: 0
; COMPUTE_PGM_RSRC3_GFX90A:TG_SPLIT: 0
	.section	.text._ZN7rocprim17ROCPRIM_400000_NS6detail17trampoline_kernelINS0_14default_configENS1_25partition_config_selectorILNS1_17partition_subalgoE2ExNS0_10empty_typeEbEEZZNS1_14partition_implILS5_2ELb0ES3_jN6thrust23THRUST_200600_302600_NS6detail15normal_iteratorINSA_7pointerIxNSA_11hip_rocprim3tagENSA_11use_defaultESG_EEEEPS6_NSA_18transform_iteratorI10is_orderedNSA_12zip_iteratorINSA_5tupleINSC_INSA_10device_ptrIxEEEESQ_NSA_9null_typeESR_SR_SR_SR_SR_SR_SR_EEEESG_SG_EENS0_5tupleIJPxSJ_EEENSV_IJSJ_SJ_EEES6_PlJS6_EEE10hipError_tPvRmT3_T4_T5_T6_T7_T9_mT8_P12ihipStream_tbDpT10_ENKUlT_T0_E_clISt17integral_constantIbLb1EES1J_EEDaS1E_S1F_EUlS1E_E_NS1_11comp_targetILNS1_3genE3ELNS1_11target_archE908ELNS1_3gpuE7ELNS1_3repE0EEENS1_30default_config_static_selectorELNS0_4arch9wavefront6targetE1EEEvT1_,"axG",@progbits,_ZN7rocprim17ROCPRIM_400000_NS6detail17trampoline_kernelINS0_14default_configENS1_25partition_config_selectorILNS1_17partition_subalgoE2ExNS0_10empty_typeEbEEZZNS1_14partition_implILS5_2ELb0ES3_jN6thrust23THRUST_200600_302600_NS6detail15normal_iteratorINSA_7pointerIxNSA_11hip_rocprim3tagENSA_11use_defaultESG_EEEEPS6_NSA_18transform_iteratorI10is_orderedNSA_12zip_iteratorINSA_5tupleINSC_INSA_10device_ptrIxEEEESQ_NSA_9null_typeESR_SR_SR_SR_SR_SR_SR_EEEESG_SG_EENS0_5tupleIJPxSJ_EEENSV_IJSJ_SJ_EEES6_PlJS6_EEE10hipError_tPvRmT3_T4_T5_T6_T7_T9_mT8_P12ihipStream_tbDpT10_ENKUlT_T0_E_clISt17integral_constantIbLb1EES1J_EEDaS1E_S1F_EUlS1E_E_NS1_11comp_targetILNS1_3genE3ELNS1_11target_archE908ELNS1_3gpuE7ELNS1_3repE0EEENS1_30default_config_static_selectorELNS0_4arch9wavefront6targetE1EEEvT1_,comdat
	.protected	_ZN7rocprim17ROCPRIM_400000_NS6detail17trampoline_kernelINS0_14default_configENS1_25partition_config_selectorILNS1_17partition_subalgoE2ExNS0_10empty_typeEbEEZZNS1_14partition_implILS5_2ELb0ES3_jN6thrust23THRUST_200600_302600_NS6detail15normal_iteratorINSA_7pointerIxNSA_11hip_rocprim3tagENSA_11use_defaultESG_EEEEPS6_NSA_18transform_iteratorI10is_orderedNSA_12zip_iteratorINSA_5tupleINSC_INSA_10device_ptrIxEEEESQ_NSA_9null_typeESR_SR_SR_SR_SR_SR_SR_EEEESG_SG_EENS0_5tupleIJPxSJ_EEENSV_IJSJ_SJ_EEES6_PlJS6_EEE10hipError_tPvRmT3_T4_T5_T6_T7_T9_mT8_P12ihipStream_tbDpT10_ENKUlT_T0_E_clISt17integral_constantIbLb1EES1J_EEDaS1E_S1F_EUlS1E_E_NS1_11comp_targetILNS1_3genE3ELNS1_11target_archE908ELNS1_3gpuE7ELNS1_3repE0EEENS1_30default_config_static_selectorELNS0_4arch9wavefront6targetE1EEEvT1_ ; -- Begin function _ZN7rocprim17ROCPRIM_400000_NS6detail17trampoline_kernelINS0_14default_configENS1_25partition_config_selectorILNS1_17partition_subalgoE2ExNS0_10empty_typeEbEEZZNS1_14partition_implILS5_2ELb0ES3_jN6thrust23THRUST_200600_302600_NS6detail15normal_iteratorINSA_7pointerIxNSA_11hip_rocprim3tagENSA_11use_defaultESG_EEEEPS6_NSA_18transform_iteratorI10is_orderedNSA_12zip_iteratorINSA_5tupleINSC_INSA_10device_ptrIxEEEESQ_NSA_9null_typeESR_SR_SR_SR_SR_SR_SR_EEEESG_SG_EENS0_5tupleIJPxSJ_EEENSV_IJSJ_SJ_EEES6_PlJS6_EEE10hipError_tPvRmT3_T4_T5_T6_T7_T9_mT8_P12ihipStream_tbDpT10_ENKUlT_T0_E_clISt17integral_constantIbLb1EES1J_EEDaS1E_S1F_EUlS1E_E_NS1_11comp_targetILNS1_3genE3ELNS1_11target_archE908ELNS1_3gpuE7ELNS1_3repE0EEENS1_30default_config_static_selectorELNS0_4arch9wavefront6targetE1EEEvT1_
	.globl	_ZN7rocprim17ROCPRIM_400000_NS6detail17trampoline_kernelINS0_14default_configENS1_25partition_config_selectorILNS1_17partition_subalgoE2ExNS0_10empty_typeEbEEZZNS1_14partition_implILS5_2ELb0ES3_jN6thrust23THRUST_200600_302600_NS6detail15normal_iteratorINSA_7pointerIxNSA_11hip_rocprim3tagENSA_11use_defaultESG_EEEEPS6_NSA_18transform_iteratorI10is_orderedNSA_12zip_iteratorINSA_5tupleINSC_INSA_10device_ptrIxEEEESQ_NSA_9null_typeESR_SR_SR_SR_SR_SR_SR_EEEESG_SG_EENS0_5tupleIJPxSJ_EEENSV_IJSJ_SJ_EEES6_PlJS6_EEE10hipError_tPvRmT3_T4_T5_T6_T7_T9_mT8_P12ihipStream_tbDpT10_ENKUlT_T0_E_clISt17integral_constantIbLb1EES1J_EEDaS1E_S1F_EUlS1E_E_NS1_11comp_targetILNS1_3genE3ELNS1_11target_archE908ELNS1_3gpuE7ELNS1_3repE0EEENS1_30default_config_static_selectorELNS0_4arch9wavefront6targetE1EEEvT1_
	.p2align	8
	.type	_ZN7rocprim17ROCPRIM_400000_NS6detail17trampoline_kernelINS0_14default_configENS1_25partition_config_selectorILNS1_17partition_subalgoE2ExNS0_10empty_typeEbEEZZNS1_14partition_implILS5_2ELb0ES3_jN6thrust23THRUST_200600_302600_NS6detail15normal_iteratorINSA_7pointerIxNSA_11hip_rocprim3tagENSA_11use_defaultESG_EEEEPS6_NSA_18transform_iteratorI10is_orderedNSA_12zip_iteratorINSA_5tupleINSC_INSA_10device_ptrIxEEEESQ_NSA_9null_typeESR_SR_SR_SR_SR_SR_SR_EEEESG_SG_EENS0_5tupleIJPxSJ_EEENSV_IJSJ_SJ_EEES6_PlJS6_EEE10hipError_tPvRmT3_T4_T5_T6_T7_T9_mT8_P12ihipStream_tbDpT10_ENKUlT_T0_E_clISt17integral_constantIbLb1EES1J_EEDaS1E_S1F_EUlS1E_E_NS1_11comp_targetILNS1_3genE3ELNS1_11target_archE908ELNS1_3gpuE7ELNS1_3repE0EEENS1_30default_config_static_selectorELNS0_4arch9wavefront6targetE1EEEvT1_,@function
_ZN7rocprim17ROCPRIM_400000_NS6detail17trampoline_kernelINS0_14default_configENS1_25partition_config_selectorILNS1_17partition_subalgoE2ExNS0_10empty_typeEbEEZZNS1_14partition_implILS5_2ELb0ES3_jN6thrust23THRUST_200600_302600_NS6detail15normal_iteratorINSA_7pointerIxNSA_11hip_rocprim3tagENSA_11use_defaultESG_EEEEPS6_NSA_18transform_iteratorI10is_orderedNSA_12zip_iteratorINSA_5tupleINSC_INSA_10device_ptrIxEEEESQ_NSA_9null_typeESR_SR_SR_SR_SR_SR_SR_EEEESG_SG_EENS0_5tupleIJPxSJ_EEENSV_IJSJ_SJ_EEES6_PlJS6_EEE10hipError_tPvRmT3_T4_T5_T6_T7_T9_mT8_P12ihipStream_tbDpT10_ENKUlT_T0_E_clISt17integral_constantIbLb1EES1J_EEDaS1E_S1F_EUlS1E_E_NS1_11comp_targetILNS1_3genE3ELNS1_11target_archE908ELNS1_3gpuE7ELNS1_3repE0EEENS1_30default_config_static_selectorELNS0_4arch9wavefront6targetE1EEEvT1_: ; @_ZN7rocprim17ROCPRIM_400000_NS6detail17trampoline_kernelINS0_14default_configENS1_25partition_config_selectorILNS1_17partition_subalgoE2ExNS0_10empty_typeEbEEZZNS1_14partition_implILS5_2ELb0ES3_jN6thrust23THRUST_200600_302600_NS6detail15normal_iteratorINSA_7pointerIxNSA_11hip_rocprim3tagENSA_11use_defaultESG_EEEEPS6_NSA_18transform_iteratorI10is_orderedNSA_12zip_iteratorINSA_5tupleINSC_INSA_10device_ptrIxEEEESQ_NSA_9null_typeESR_SR_SR_SR_SR_SR_SR_EEEESG_SG_EENS0_5tupleIJPxSJ_EEENSV_IJSJ_SJ_EEES6_PlJS6_EEE10hipError_tPvRmT3_T4_T5_T6_T7_T9_mT8_P12ihipStream_tbDpT10_ENKUlT_T0_E_clISt17integral_constantIbLb1EES1J_EEDaS1E_S1F_EUlS1E_E_NS1_11comp_targetILNS1_3genE3ELNS1_11target_archE908ELNS1_3gpuE7ELNS1_3repE0EEENS1_30default_config_static_selectorELNS0_4arch9wavefront6targetE1EEEvT1_
; %bb.0:
	.section	.rodata,"a",@progbits
	.p2align	6, 0x0
	.amdhsa_kernel _ZN7rocprim17ROCPRIM_400000_NS6detail17trampoline_kernelINS0_14default_configENS1_25partition_config_selectorILNS1_17partition_subalgoE2ExNS0_10empty_typeEbEEZZNS1_14partition_implILS5_2ELb0ES3_jN6thrust23THRUST_200600_302600_NS6detail15normal_iteratorINSA_7pointerIxNSA_11hip_rocprim3tagENSA_11use_defaultESG_EEEEPS6_NSA_18transform_iteratorI10is_orderedNSA_12zip_iteratorINSA_5tupleINSC_INSA_10device_ptrIxEEEESQ_NSA_9null_typeESR_SR_SR_SR_SR_SR_SR_EEEESG_SG_EENS0_5tupleIJPxSJ_EEENSV_IJSJ_SJ_EEES6_PlJS6_EEE10hipError_tPvRmT3_T4_T5_T6_T7_T9_mT8_P12ihipStream_tbDpT10_ENKUlT_T0_E_clISt17integral_constantIbLb1EES1J_EEDaS1E_S1F_EUlS1E_E_NS1_11comp_targetILNS1_3genE3ELNS1_11target_archE908ELNS1_3gpuE7ELNS1_3repE0EEENS1_30default_config_static_selectorELNS0_4arch9wavefront6targetE1EEEvT1_
		.amdhsa_group_segment_fixed_size 0
		.amdhsa_private_segment_fixed_size 0
		.amdhsa_kernarg_size 152
		.amdhsa_user_sgpr_count 2
		.amdhsa_user_sgpr_dispatch_ptr 0
		.amdhsa_user_sgpr_queue_ptr 0
		.amdhsa_user_sgpr_kernarg_segment_ptr 1
		.amdhsa_user_sgpr_dispatch_id 0
		.amdhsa_user_sgpr_kernarg_preload_length 0
		.amdhsa_user_sgpr_kernarg_preload_offset 0
		.amdhsa_user_sgpr_private_segment_size 0
		.amdhsa_uses_dynamic_stack 0
		.amdhsa_enable_private_segment 0
		.amdhsa_system_sgpr_workgroup_id_x 1
		.amdhsa_system_sgpr_workgroup_id_y 0
		.amdhsa_system_sgpr_workgroup_id_z 0
		.amdhsa_system_sgpr_workgroup_info 0
		.amdhsa_system_vgpr_workitem_id 0
		.amdhsa_next_free_vgpr 1
		.amdhsa_next_free_sgpr 0
		.amdhsa_accum_offset 4
		.amdhsa_reserve_vcc 0
		.amdhsa_float_round_mode_32 0
		.amdhsa_float_round_mode_16_64 0
		.amdhsa_float_denorm_mode_32 3
		.amdhsa_float_denorm_mode_16_64 3
		.amdhsa_dx10_clamp 1
		.amdhsa_ieee_mode 1
		.amdhsa_fp16_overflow 0
		.amdhsa_tg_split 0
		.amdhsa_exception_fp_ieee_invalid_op 0
		.amdhsa_exception_fp_denorm_src 0
		.amdhsa_exception_fp_ieee_div_zero 0
		.amdhsa_exception_fp_ieee_overflow 0
		.amdhsa_exception_fp_ieee_underflow 0
		.amdhsa_exception_fp_ieee_inexact 0
		.amdhsa_exception_int_div_zero 0
	.end_amdhsa_kernel
	.section	.text._ZN7rocprim17ROCPRIM_400000_NS6detail17trampoline_kernelINS0_14default_configENS1_25partition_config_selectorILNS1_17partition_subalgoE2ExNS0_10empty_typeEbEEZZNS1_14partition_implILS5_2ELb0ES3_jN6thrust23THRUST_200600_302600_NS6detail15normal_iteratorINSA_7pointerIxNSA_11hip_rocprim3tagENSA_11use_defaultESG_EEEEPS6_NSA_18transform_iteratorI10is_orderedNSA_12zip_iteratorINSA_5tupleINSC_INSA_10device_ptrIxEEEESQ_NSA_9null_typeESR_SR_SR_SR_SR_SR_SR_EEEESG_SG_EENS0_5tupleIJPxSJ_EEENSV_IJSJ_SJ_EEES6_PlJS6_EEE10hipError_tPvRmT3_T4_T5_T6_T7_T9_mT8_P12ihipStream_tbDpT10_ENKUlT_T0_E_clISt17integral_constantIbLb1EES1J_EEDaS1E_S1F_EUlS1E_E_NS1_11comp_targetILNS1_3genE3ELNS1_11target_archE908ELNS1_3gpuE7ELNS1_3repE0EEENS1_30default_config_static_selectorELNS0_4arch9wavefront6targetE1EEEvT1_,"axG",@progbits,_ZN7rocprim17ROCPRIM_400000_NS6detail17trampoline_kernelINS0_14default_configENS1_25partition_config_selectorILNS1_17partition_subalgoE2ExNS0_10empty_typeEbEEZZNS1_14partition_implILS5_2ELb0ES3_jN6thrust23THRUST_200600_302600_NS6detail15normal_iteratorINSA_7pointerIxNSA_11hip_rocprim3tagENSA_11use_defaultESG_EEEEPS6_NSA_18transform_iteratorI10is_orderedNSA_12zip_iteratorINSA_5tupleINSC_INSA_10device_ptrIxEEEESQ_NSA_9null_typeESR_SR_SR_SR_SR_SR_SR_EEEESG_SG_EENS0_5tupleIJPxSJ_EEENSV_IJSJ_SJ_EEES6_PlJS6_EEE10hipError_tPvRmT3_T4_T5_T6_T7_T9_mT8_P12ihipStream_tbDpT10_ENKUlT_T0_E_clISt17integral_constantIbLb1EES1J_EEDaS1E_S1F_EUlS1E_E_NS1_11comp_targetILNS1_3genE3ELNS1_11target_archE908ELNS1_3gpuE7ELNS1_3repE0EEENS1_30default_config_static_selectorELNS0_4arch9wavefront6targetE1EEEvT1_,comdat
.Lfunc_end3573:
	.size	_ZN7rocprim17ROCPRIM_400000_NS6detail17trampoline_kernelINS0_14default_configENS1_25partition_config_selectorILNS1_17partition_subalgoE2ExNS0_10empty_typeEbEEZZNS1_14partition_implILS5_2ELb0ES3_jN6thrust23THRUST_200600_302600_NS6detail15normal_iteratorINSA_7pointerIxNSA_11hip_rocprim3tagENSA_11use_defaultESG_EEEEPS6_NSA_18transform_iteratorI10is_orderedNSA_12zip_iteratorINSA_5tupleINSC_INSA_10device_ptrIxEEEESQ_NSA_9null_typeESR_SR_SR_SR_SR_SR_SR_EEEESG_SG_EENS0_5tupleIJPxSJ_EEENSV_IJSJ_SJ_EEES6_PlJS6_EEE10hipError_tPvRmT3_T4_T5_T6_T7_T9_mT8_P12ihipStream_tbDpT10_ENKUlT_T0_E_clISt17integral_constantIbLb1EES1J_EEDaS1E_S1F_EUlS1E_E_NS1_11comp_targetILNS1_3genE3ELNS1_11target_archE908ELNS1_3gpuE7ELNS1_3repE0EEENS1_30default_config_static_selectorELNS0_4arch9wavefront6targetE1EEEvT1_, .Lfunc_end3573-_ZN7rocprim17ROCPRIM_400000_NS6detail17trampoline_kernelINS0_14default_configENS1_25partition_config_selectorILNS1_17partition_subalgoE2ExNS0_10empty_typeEbEEZZNS1_14partition_implILS5_2ELb0ES3_jN6thrust23THRUST_200600_302600_NS6detail15normal_iteratorINSA_7pointerIxNSA_11hip_rocprim3tagENSA_11use_defaultESG_EEEEPS6_NSA_18transform_iteratorI10is_orderedNSA_12zip_iteratorINSA_5tupleINSC_INSA_10device_ptrIxEEEESQ_NSA_9null_typeESR_SR_SR_SR_SR_SR_SR_EEEESG_SG_EENS0_5tupleIJPxSJ_EEENSV_IJSJ_SJ_EEES6_PlJS6_EEE10hipError_tPvRmT3_T4_T5_T6_T7_T9_mT8_P12ihipStream_tbDpT10_ENKUlT_T0_E_clISt17integral_constantIbLb1EES1J_EEDaS1E_S1F_EUlS1E_E_NS1_11comp_targetILNS1_3genE3ELNS1_11target_archE908ELNS1_3gpuE7ELNS1_3repE0EEENS1_30default_config_static_selectorELNS0_4arch9wavefront6targetE1EEEvT1_
                                        ; -- End function
	.section	.AMDGPU.csdata,"",@progbits
; Kernel info:
; codeLenInByte = 0
; NumSgprs: 6
; NumVgprs: 0
; NumAgprs: 0
; TotalNumVgprs: 0
; ScratchSize: 0
; MemoryBound: 0
; FloatMode: 240
; IeeeMode: 1
; LDSByteSize: 0 bytes/workgroup (compile time only)
; SGPRBlocks: 0
; VGPRBlocks: 0
; NumSGPRsForWavesPerEU: 6
; NumVGPRsForWavesPerEU: 1
; AccumOffset: 4
; Occupancy: 8
; WaveLimiterHint : 0
; COMPUTE_PGM_RSRC2:SCRATCH_EN: 0
; COMPUTE_PGM_RSRC2:USER_SGPR: 2
; COMPUTE_PGM_RSRC2:TRAP_HANDLER: 0
; COMPUTE_PGM_RSRC2:TGID_X_EN: 1
; COMPUTE_PGM_RSRC2:TGID_Y_EN: 0
; COMPUTE_PGM_RSRC2:TGID_Z_EN: 0
; COMPUTE_PGM_RSRC2:TIDIG_COMP_CNT: 0
; COMPUTE_PGM_RSRC3_GFX90A:ACCUM_OFFSET: 0
; COMPUTE_PGM_RSRC3_GFX90A:TG_SPLIT: 0
	.section	.text._ZN7rocprim17ROCPRIM_400000_NS6detail17trampoline_kernelINS0_14default_configENS1_25partition_config_selectorILNS1_17partition_subalgoE2ExNS0_10empty_typeEbEEZZNS1_14partition_implILS5_2ELb0ES3_jN6thrust23THRUST_200600_302600_NS6detail15normal_iteratorINSA_7pointerIxNSA_11hip_rocprim3tagENSA_11use_defaultESG_EEEEPS6_NSA_18transform_iteratorI10is_orderedNSA_12zip_iteratorINSA_5tupleINSC_INSA_10device_ptrIxEEEESQ_NSA_9null_typeESR_SR_SR_SR_SR_SR_SR_EEEESG_SG_EENS0_5tupleIJPxSJ_EEENSV_IJSJ_SJ_EEES6_PlJS6_EEE10hipError_tPvRmT3_T4_T5_T6_T7_T9_mT8_P12ihipStream_tbDpT10_ENKUlT_T0_E_clISt17integral_constantIbLb1EES1J_EEDaS1E_S1F_EUlS1E_E_NS1_11comp_targetILNS1_3genE2ELNS1_11target_archE906ELNS1_3gpuE6ELNS1_3repE0EEENS1_30default_config_static_selectorELNS0_4arch9wavefront6targetE1EEEvT1_,"axG",@progbits,_ZN7rocprim17ROCPRIM_400000_NS6detail17trampoline_kernelINS0_14default_configENS1_25partition_config_selectorILNS1_17partition_subalgoE2ExNS0_10empty_typeEbEEZZNS1_14partition_implILS5_2ELb0ES3_jN6thrust23THRUST_200600_302600_NS6detail15normal_iteratorINSA_7pointerIxNSA_11hip_rocprim3tagENSA_11use_defaultESG_EEEEPS6_NSA_18transform_iteratorI10is_orderedNSA_12zip_iteratorINSA_5tupleINSC_INSA_10device_ptrIxEEEESQ_NSA_9null_typeESR_SR_SR_SR_SR_SR_SR_EEEESG_SG_EENS0_5tupleIJPxSJ_EEENSV_IJSJ_SJ_EEES6_PlJS6_EEE10hipError_tPvRmT3_T4_T5_T6_T7_T9_mT8_P12ihipStream_tbDpT10_ENKUlT_T0_E_clISt17integral_constantIbLb1EES1J_EEDaS1E_S1F_EUlS1E_E_NS1_11comp_targetILNS1_3genE2ELNS1_11target_archE906ELNS1_3gpuE6ELNS1_3repE0EEENS1_30default_config_static_selectorELNS0_4arch9wavefront6targetE1EEEvT1_,comdat
	.protected	_ZN7rocprim17ROCPRIM_400000_NS6detail17trampoline_kernelINS0_14default_configENS1_25partition_config_selectorILNS1_17partition_subalgoE2ExNS0_10empty_typeEbEEZZNS1_14partition_implILS5_2ELb0ES3_jN6thrust23THRUST_200600_302600_NS6detail15normal_iteratorINSA_7pointerIxNSA_11hip_rocprim3tagENSA_11use_defaultESG_EEEEPS6_NSA_18transform_iteratorI10is_orderedNSA_12zip_iteratorINSA_5tupleINSC_INSA_10device_ptrIxEEEESQ_NSA_9null_typeESR_SR_SR_SR_SR_SR_SR_EEEESG_SG_EENS0_5tupleIJPxSJ_EEENSV_IJSJ_SJ_EEES6_PlJS6_EEE10hipError_tPvRmT3_T4_T5_T6_T7_T9_mT8_P12ihipStream_tbDpT10_ENKUlT_T0_E_clISt17integral_constantIbLb1EES1J_EEDaS1E_S1F_EUlS1E_E_NS1_11comp_targetILNS1_3genE2ELNS1_11target_archE906ELNS1_3gpuE6ELNS1_3repE0EEENS1_30default_config_static_selectorELNS0_4arch9wavefront6targetE1EEEvT1_ ; -- Begin function _ZN7rocprim17ROCPRIM_400000_NS6detail17trampoline_kernelINS0_14default_configENS1_25partition_config_selectorILNS1_17partition_subalgoE2ExNS0_10empty_typeEbEEZZNS1_14partition_implILS5_2ELb0ES3_jN6thrust23THRUST_200600_302600_NS6detail15normal_iteratorINSA_7pointerIxNSA_11hip_rocprim3tagENSA_11use_defaultESG_EEEEPS6_NSA_18transform_iteratorI10is_orderedNSA_12zip_iteratorINSA_5tupleINSC_INSA_10device_ptrIxEEEESQ_NSA_9null_typeESR_SR_SR_SR_SR_SR_SR_EEEESG_SG_EENS0_5tupleIJPxSJ_EEENSV_IJSJ_SJ_EEES6_PlJS6_EEE10hipError_tPvRmT3_T4_T5_T6_T7_T9_mT8_P12ihipStream_tbDpT10_ENKUlT_T0_E_clISt17integral_constantIbLb1EES1J_EEDaS1E_S1F_EUlS1E_E_NS1_11comp_targetILNS1_3genE2ELNS1_11target_archE906ELNS1_3gpuE6ELNS1_3repE0EEENS1_30default_config_static_selectorELNS0_4arch9wavefront6targetE1EEEvT1_
	.globl	_ZN7rocprim17ROCPRIM_400000_NS6detail17trampoline_kernelINS0_14default_configENS1_25partition_config_selectorILNS1_17partition_subalgoE2ExNS0_10empty_typeEbEEZZNS1_14partition_implILS5_2ELb0ES3_jN6thrust23THRUST_200600_302600_NS6detail15normal_iteratorINSA_7pointerIxNSA_11hip_rocprim3tagENSA_11use_defaultESG_EEEEPS6_NSA_18transform_iteratorI10is_orderedNSA_12zip_iteratorINSA_5tupleINSC_INSA_10device_ptrIxEEEESQ_NSA_9null_typeESR_SR_SR_SR_SR_SR_SR_EEEESG_SG_EENS0_5tupleIJPxSJ_EEENSV_IJSJ_SJ_EEES6_PlJS6_EEE10hipError_tPvRmT3_T4_T5_T6_T7_T9_mT8_P12ihipStream_tbDpT10_ENKUlT_T0_E_clISt17integral_constantIbLb1EES1J_EEDaS1E_S1F_EUlS1E_E_NS1_11comp_targetILNS1_3genE2ELNS1_11target_archE906ELNS1_3gpuE6ELNS1_3repE0EEENS1_30default_config_static_selectorELNS0_4arch9wavefront6targetE1EEEvT1_
	.p2align	8
	.type	_ZN7rocprim17ROCPRIM_400000_NS6detail17trampoline_kernelINS0_14default_configENS1_25partition_config_selectorILNS1_17partition_subalgoE2ExNS0_10empty_typeEbEEZZNS1_14partition_implILS5_2ELb0ES3_jN6thrust23THRUST_200600_302600_NS6detail15normal_iteratorINSA_7pointerIxNSA_11hip_rocprim3tagENSA_11use_defaultESG_EEEEPS6_NSA_18transform_iteratorI10is_orderedNSA_12zip_iteratorINSA_5tupleINSC_INSA_10device_ptrIxEEEESQ_NSA_9null_typeESR_SR_SR_SR_SR_SR_SR_EEEESG_SG_EENS0_5tupleIJPxSJ_EEENSV_IJSJ_SJ_EEES6_PlJS6_EEE10hipError_tPvRmT3_T4_T5_T6_T7_T9_mT8_P12ihipStream_tbDpT10_ENKUlT_T0_E_clISt17integral_constantIbLb1EES1J_EEDaS1E_S1F_EUlS1E_E_NS1_11comp_targetILNS1_3genE2ELNS1_11target_archE906ELNS1_3gpuE6ELNS1_3repE0EEENS1_30default_config_static_selectorELNS0_4arch9wavefront6targetE1EEEvT1_,@function
_ZN7rocprim17ROCPRIM_400000_NS6detail17trampoline_kernelINS0_14default_configENS1_25partition_config_selectorILNS1_17partition_subalgoE2ExNS0_10empty_typeEbEEZZNS1_14partition_implILS5_2ELb0ES3_jN6thrust23THRUST_200600_302600_NS6detail15normal_iteratorINSA_7pointerIxNSA_11hip_rocprim3tagENSA_11use_defaultESG_EEEEPS6_NSA_18transform_iteratorI10is_orderedNSA_12zip_iteratorINSA_5tupleINSC_INSA_10device_ptrIxEEEESQ_NSA_9null_typeESR_SR_SR_SR_SR_SR_SR_EEEESG_SG_EENS0_5tupleIJPxSJ_EEENSV_IJSJ_SJ_EEES6_PlJS6_EEE10hipError_tPvRmT3_T4_T5_T6_T7_T9_mT8_P12ihipStream_tbDpT10_ENKUlT_T0_E_clISt17integral_constantIbLb1EES1J_EEDaS1E_S1F_EUlS1E_E_NS1_11comp_targetILNS1_3genE2ELNS1_11target_archE906ELNS1_3gpuE6ELNS1_3repE0EEENS1_30default_config_static_selectorELNS0_4arch9wavefront6targetE1EEEvT1_: ; @_ZN7rocprim17ROCPRIM_400000_NS6detail17trampoline_kernelINS0_14default_configENS1_25partition_config_selectorILNS1_17partition_subalgoE2ExNS0_10empty_typeEbEEZZNS1_14partition_implILS5_2ELb0ES3_jN6thrust23THRUST_200600_302600_NS6detail15normal_iteratorINSA_7pointerIxNSA_11hip_rocprim3tagENSA_11use_defaultESG_EEEEPS6_NSA_18transform_iteratorI10is_orderedNSA_12zip_iteratorINSA_5tupleINSC_INSA_10device_ptrIxEEEESQ_NSA_9null_typeESR_SR_SR_SR_SR_SR_SR_EEEESG_SG_EENS0_5tupleIJPxSJ_EEENSV_IJSJ_SJ_EEES6_PlJS6_EEE10hipError_tPvRmT3_T4_T5_T6_T7_T9_mT8_P12ihipStream_tbDpT10_ENKUlT_T0_E_clISt17integral_constantIbLb1EES1J_EEDaS1E_S1F_EUlS1E_E_NS1_11comp_targetILNS1_3genE2ELNS1_11target_archE906ELNS1_3gpuE6ELNS1_3repE0EEENS1_30default_config_static_selectorELNS0_4arch9wavefront6targetE1EEEvT1_
; %bb.0:
	.section	.rodata,"a",@progbits
	.p2align	6, 0x0
	.amdhsa_kernel _ZN7rocprim17ROCPRIM_400000_NS6detail17trampoline_kernelINS0_14default_configENS1_25partition_config_selectorILNS1_17partition_subalgoE2ExNS0_10empty_typeEbEEZZNS1_14partition_implILS5_2ELb0ES3_jN6thrust23THRUST_200600_302600_NS6detail15normal_iteratorINSA_7pointerIxNSA_11hip_rocprim3tagENSA_11use_defaultESG_EEEEPS6_NSA_18transform_iteratorI10is_orderedNSA_12zip_iteratorINSA_5tupleINSC_INSA_10device_ptrIxEEEESQ_NSA_9null_typeESR_SR_SR_SR_SR_SR_SR_EEEESG_SG_EENS0_5tupleIJPxSJ_EEENSV_IJSJ_SJ_EEES6_PlJS6_EEE10hipError_tPvRmT3_T4_T5_T6_T7_T9_mT8_P12ihipStream_tbDpT10_ENKUlT_T0_E_clISt17integral_constantIbLb1EES1J_EEDaS1E_S1F_EUlS1E_E_NS1_11comp_targetILNS1_3genE2ELNS1_11target_archE906ELNS1_3gpuE6ELNS1_3repE0EEENS1_30default_config_static_selectorELNS0_4arch9wavefront6targetE1EEEvT1_
		.amdhsa_group_segment_fixed_size 0
		.amdhsa_private_segment_fixed_size 0
		.amdhsa_kernarg_size 152
		.amdhsa_user_sgpr_count 2
		.amdhsa_user_sgpr_dispatch_ptr 0
		.amdhsa_user_sgpr_queue_ptr 0
		.amdhsa_user_sgpr_kernarg_segment_ptr 1
		.amdhsa_user_sgpr_dispatch_id 0
		.amdhsa_user_sgpr_kernarg_preload_length 0
		.amdhsa_user_sgpr_kernarg_preload_offset 0
		.amdhsa_user_sgpr_private_segment_size 0
		.amdhsa_uses_dynamic_stack 0
		.amdhsa_enable_private_segment 0
		.amdhsa_system_sgpr_workgroup_id_x 1
		.amdhsa_system_sgpr_workgroup_id_y 0
		.amdhsa_system_sgpr_workgroup_id_z 0
		.amdhsa_system_sgpr_workgroup_info 0
		.amdhsa_system_vgpr_workitem_id 0
		.amdhsa_next_free_vgpr 1
		.amdhsa_next_free_sgpr 0
		.amdhsa_accum_offset 4
		.amdhsa_reserve_vcc 0
		.amdhsa_float_round_mode_32 0
		.amdhsa_float_round_mode_16_64 0
		.amdhsa_float_denorm_mode_32 3
		.amdhsa_float_denorm_mode_16_64 3
		.amdhsa_dx10_clamp 1
		.amdhsa_ieee_mode 1
		.amdhsa_fp16_overflow 0
		.amdhsa_tg_split 0
		.amdhsa_exception_fp_ieee_invalid_op 0
		.amdhsa_exception_fp_denorm_src 0
		.amdhsa_exception_fp_ieee_div_zero 0
		.amdhsa_exception_fp_ieee_overflow 0
		.amdhsa_exception_fp_ieee_underflow 0
		.amdhsa_exception_fp_ieee_inexact 0
		.amdhsa_exception_int_div_zero 0
	.end_amdhsa_kernel
	.section	.text._ZN7rocprim17ROCPRIM_400000_NS6detail17trampoline_kernelINS0_14default_configENS1_25partition_config_selectorILNS1_17partition_subalgoE2ExNS0_10empty_typeEbEEZZNS1_14partition_implILS5_2ELb0ES3_jN6thrust23THRUST_200600_302600_NS6detail15normal_iteratorINSA_7pointerIxNSA_11hip_rocprim3tagENSA_11use_defaultESG_EEEEPS6_NSA_18transform_iteratorI10is_orderedNSA_12zip_iteratorINSA_5tupleINSC_INSA_10device_ptrIxEEEESQ_NSA_9null_typeESR_SR_SR_SR_SR_SR_SR_EEEESG_SG_EENS0_5tupleIJPxSJ_EEENSV_IJSJ_SJ_EEES6_PlJS6_EEE10hipError_tPvRmT3_T4_T5_T6_T7_T9_mT8_P12ihipStream_tbDpT10_ENKUlT_T0_E_clISt17integral_constantIbLb1EES1J_EEDaS1E_S1F_EUlS1E_E_NS1_11comp_targetILNS1_3genE2ELNS1_11target_archE906ELNS1_3gpuE6ELNS1_3repE0EEENS1_30default_config_static_selectorELNS0_4arch9wavefront6targetE1EEEvT1_,"axG",@progbits,_ZN7rocprim17ROCPRIM_400000_NS6detail17trampoline_kernelINS0_14default_configENS1_25partition_config_selectorILNS1_17partition_subalgoE2ExNS0_10empty_typeEbEEZZNS1_14partition_implILS5_2ELb0ES3_jN6thrust23THRUST_200600_302600_NS6detail15normal_iteratorINSA_7pointerIxNSA_11hip_rocprim3tagENSA_11use_defaultESG_EEEEPS6_NSA_18transform_iteratorI10is_orderedNSA_12zip_iteratorINSA_5tupleINSC_INSA_10device_ptrIxEEEESQ_NSA_9null_typeESR_SR_SR_SR_SR_SR_SR_EEEESG_SG_EENS0_5tupleIJPxSJ_EEENSV_IJSJ_SJ_EEES6_PlJS6_EEE10hipError_tPvRmT3_T4_T5_T6_T7_T9_mT8_P12ihipStream_tbDpT10_ENKUlT_T0_E_clISt17integral_constantIbLb1EES1J_EEDaS1E_S1F_EUlS1E_E_NS1_11comp_targetILNS1_3genE2ELNS1_11target_archE906ELNS1_3gpuE6ELNS1_3repE0EEENS1_30default_config_static_selectorELNS0_4arch9wavefront6targetE1EEEvT1_,comdat
.Lfunc_end3574:
	.size	_ZN7rocprim17ROCPRIM_400000_NS6detail17trampoline_kernelINS0_14default_configENS1_25partition_config_selectorILNS1_17partition_subalgoE2ExNS0_10empty_typeEbEEZZNS1_14partition_implILS5_2ELb0ES3_jN6thrust23THRUST_200600_302600_NS6detail15normal_iteratorINSA_7pointerIxNSA_11hip_rocprim3tagENSA_11use_defaultESG_EEEEPS6_NSA_18transform_iteratorI10is_orderedNSA_12zip_iteratorINSA_5tupleINSC_INSA_10device_ptrIxEEEESQ_NSA_9null_typeESR_SR_SR_SR_SR_SR_SR_EEEESG_SG_EENS0_5tupleIJPxSJ_EEENSV_IJSJ_SJ_EEES6_PlJS6_EEE10hipError_tPvRmT3_T4_T5_T6_T7_T9_mT8_P12ihipStream_tbDpT10_ENKUlT_T0_E_clISt17integral_constantIbLb1EES1J_EEDaS1E_S1F_EUlS1E_E_NS1_11comp_targetILNS1_3genE2ELNS1_11target_archE906ELNS1_3gpuE6ELNS1_3repE0EEENS1_30default_config_static_selectorELNS0_4arch9wavefront6targetE1EEEvT1_, .Lfunc_end3574-_ZN7rocprim17ROCPRIM_400000_NS6detail17trampoline_kernelINS0_14default_configENS1_25partition_config_selectorILNS1_17partition_subalgoE2ExNS0_10empty_typeEbEEZZNS1_14partition_implILS5_2ELb0ES3_jN6thrust23THRUST_200600_302600_NS6detail15normal_iteratorINSA_7pointerIxNSA_11hip_rocprim3tagENSA_11use_defaultESG_EEEEPS6_NSA_18transform_iteratorI10is_orderedNSA_12zip_iteratorINSA_5tupleINSC_INSA_10device_ptrIxEEEESQ_NSA_9null_typeESR_SR_SR_SR_SR_SR_SR_EEEESG_SG_EENS0_5tupleIJPxSJ_EEENSV_IJSJ_SJ_EEES6_PlJS6_EEE10hipError_tPvRmT3_T4_T5_T6_T7_T9_mT8_P12ihipStream_tbDpT10_ENKUlT_T0_E_clISt17integral_constantIbLb1EES1J_EEDaS1E_S1F_EUlS1E_E_NS1_11comp_targetILNS1_3genE2ELNS1_11target_archE906ELNS1_3gpuE6ELNS1_3repE0EEENS1_30default_config_static_selectorELNS0_4arch9wavefront6targetE1EEEvT1_
                                        ; -- End function
	.section	.AMDGPU.csdata,"",@progbits
; Kernel info:
; codeLenInByte = 0
; NumSgprs: 6
; NumVgprs: 0
; NumAgprs: 0
; TotalNumVgprs: 0
; ScratchSize: 0
; MemoryBound: 0
; FloatMode: 240
; IeeeMode: 1
; LDSByteSize: 0 bytes/workgroup (compile time only)
; SGPRBlocks: 0
; VGPRBlocks: 0
; NumSGPRsForWavesPerEU: 6
; NumVGPRsForWavesPerEU: 1
; AccumOffset: 4
; Occupancy: 8
; WaveLimiterHint : 0
; COMPUTE_PGM_RSRC2:SCRATCH_EN: 0
; COMPUTE_PGM_RSRC2:USER_SGPR: 2
; COMPUTE_PGM_RSRC2:TRAP_HANDLER: 0
; COMPUTE_PGM_RSRC2:TGID_X_EN: 1
; COMPUTE_PGM_RSRC2:TGID_Y_EN: 0
; COMPUTE_PGM_RSRC2:TGID_Z_EN: 0
; COMPUTE_PGM_RSRC2:TIDIG_COMP_CNT: 0
; COMPUTE_PGM_RSRC3_GFX90A:ACCUM_OFFSET: 0
; COMPUTE_PGM_RSRC3_GFX90A:TG_SPLIT: 0
	.section	.text._ZN7rocprim17ROCPRIM_400000_NS6detail17trampoline_kernelINS0_14default_configENS1_25partition_config_selectorILNS1_17partition_subalgoE2ExNS0_10empty_typeEbEEZZNS1_14partition_implILS5_2ELb0ES3_jN6thrust23THRUST_200600_302600_NS6detail15normal_iteratorINSA_7pointerIxNSA_11hip_rocprim3tagENSA_11use_defaultESG_EEEEPS6_NSA_18transform_iteratorI10is_orderedNSA_12zip_iteratorINSA_5tupleINSC_INSA_10device_ptrIxEEEESQ_NSA_9null_typeESR_SR_SR_SR_SR_SR_SR_EEEESG_SG_EENS0_5tupleIJPxSJ_EEENSV_IJSJ_SJ_EEES6_PlJS6_EEE10hipError_tPvRmT3_T4_T5_T6_T7_T9_mT8_P12ihipStream_tbDpT10_ENKUlT_T0_E_clISt17integral_constantIbLb1EES1J_EEDaS1E_S1F_EUlS1E_E_NS1_11comp_targetILNS1_3genE10ELNS1_11target_archE1200ELNS1_3gpuE4ELNS1_3repE0EEENS1_30default_config_static_selectorELNS0_4arch9wavefront6targetE1EEEvT1_,"axG",@progbits,_ZN7rocprim17ROCPRIM_400000_NS6detail17trampoline_kernelINS0_14default_configENS1_25partition_config_selectorILNS1_17partition_subalgoE2ExNS0_10empty_typeEbEEZZNS1_14partition_implILS5_2ELb0ES3_jN6thrust23THRUST_200600_302600_NS6detail15normal_iteratorINSA_7pointerIxNSA_11hip_rocprim3tagENSA_11use_defaultESG_EEEEPS6_NSA_18transform_iteratorI10is_orderedNSA_12zip_iteratorINSA_5tupleINSC_INSA_10device_ptrIxEEEESQ_NSA_9null_typeESR_SR_SR_SR_SR_SR_SR_EEEESG_SG_EENS0_5tupleIJPxSJ_EEENSV_IJSJ_SJ_EEES6_PlJS6_EEE10hipError_tPvRmT3_T4_T5_T6_T7_T9_mT8_P12ihipStream_tbDpT10_ENKUlT_T0_E_clISt17integral_constantIbLb1EES1J_EEDaS1E_S1F_EUlS1E_E_NS1_11comp_targetILNS1_3genE10ELNS1_11target_archE1200ELNS1_3gpuE4ELNS1_3repE0EEENS1_30default_config_static_selectorELNS0_4arch9wavefront6targetE1EEEvT1_,comdat
	.protected	_ZN7rocprim17ROCPRIM_400000_NS6detail17trampoline_kernelINS0_14default_configENS1_25partition_config_selectorILNS1_17partition_subalgoE2ExNS0_10empty_typeEbEEZZNS1_14partition_implILS5_2ELb0ES3_jN6thrust23THRUST_200600_302600_NS6detail15normal_iteratorINSA_7pointerIxNSA_11hip_rocprim3tagENSA_11use_defaultESG_EEEEPS6_NSA_18transform_iteratorI10is_orderedNSA_12zip_iteratorINSA_5tupleINSC_INSA_10device_ptrIxEEEESQ_NSA_9null_typeESR_SR_SR_SR_SR_SR_SR_EEEESG_SG_EENS0_5tupleIJPxSJ_EEENSV_IJSJ_SJ_EEES6_PlJS6_EEE10hipError_tPvRmT3_T4_T5_T6_T7_T9_mT8_P12ihipStream_tbDpT10_ENKUlT_T0_E_clISt17integral_constantIbLb1EES1J_EEDaS1E_S1F_EUlS1E_E_NS1_11comp_targetILNS1_3genE10ELNS1_11target_archE1200ELNS1_3gpuE4ELNS1_3repE0EEENS1_30default_config_static_selectorELNS0_4arch9wavefront6targetE1EEEvT1_ ; -- Begin function _ZN7rocprim17ROCPRIM_400000_NS6detail17trampoline_kernelINS0_14default_configENS1_25partition_config_selectorILNS1_17partition_subalgoE2ExNS0_10empty_typeEbEEZZNS1_14partition_implILS5_2ELb0ES3_jN6thrust23THRUST_200600_302600_NS6detail15normal_iteratorINSA_7pointerIxNSA_11hip_rocprim3tagENSA_11use_defaultESG_EEEEPS6_NSA_18transform_iteratorI10is_orderedNSA_12zip_iteratorINSA_5tupleINSC_INSA_10device_ptrIxEEEESQ_NSA_9null_typeESR_SR_SR_SR_SR_SR_SR_EEEESG_SG_EENS0_5tupleIJPxSJ_EEENSV_IJSJ_SJ_EEES6_PlJS6_EEE10hipError_tPvRmT3_T4_T5_T6_T7_T9_mT8_P12ihipStream_tbDpT10_ENKUlT_T0_E_clISt17integral_constantIbLb1EES1J_EEDaS1E_S1F_EUlS1E_E_NS1_11comp_targetILNS1_3genE10ELNS1_11target_archE1200ELNS1_3gpuE4ELNS1_3repE0EEENS1_30default_config_static_selectorELNS0_4arch9wavefront6targetE1EEEvT1_
	.globl	_ZN7rocprim17ROCPRIM_400000_NS6detail17trampoline_kernelINS0_14default_configENS1_25partition_config_selectorILNS1_17partition_subalgoE2ExNS0_10empty_typeEbEEZZNS1_14partition_implILS5_2ELb0ES3_jN6thrust23THRUST_200600_302600_NS6detail15normal_iteratorINSA_7pointerIxNSA_11hip_rocprim3tagENSA_11use_defaultESG_EEEEPS6_NSA_18transform_iteratorI10is_orderedNSA_12zip_iteratorINSA_5tupleINSC_INSA_10device_ptrIxEEEESQ_NSA_9null_typeESR_SR_SR_SR_SR_SR_SR_EEEESG_SG_EENS0_5tupleIJPxSJ_EEENSV_IJSJ_SJ_EEES6_PlJS6_EEE10hipError_tPvRmT3_T4_T5_T6_T7_T9_mT8_P12ihipStream_tbDpT10_ENKUlT_T0_E_clISt17integral_constantIbLb1EES1J_EEDaS1E_S1F_EUlS1E_E_NS1_11comp_targetILNS1_3genE10ELNS1_11target_archE1200ELNS1_3gpuE4ELNS1_3repE0EEENS1_30default_config_static_selectorELNS0_4arch9wavefront6targetE1EEEvT1_
	.p2align	8
	.type	_ZN7rocprim17ROCPRIM_400000_NS6detail17trampoline_kernelINS0_14default_configENS1_25partition_config_selectorILNS1_17partition_subalgoE2ExNS0_10empty_typeEbEEZZNS1_14partition_implILS5_2ELb0ES3_jN6thrust23THRUST_200600_302600_NS6detail15normal_iteratorINSA_7pointerIxNSA_11hip_rocprim3tagENSA_11use_defaultESG_EEEEPS6_NSA_18transform_iteratorI10is_orderedNSA_12zip_iteratorINSA_5tupleINSC_INSA_10device_ptrIxEEEESQ_NSA_9null_typeESR_SR_SR_SR_SR_SR_SR_EEEESG_SG_EENS0_5tupleIJPxSJ_EEENSV_IJSJ_SJ_EEES6_PlJS6_EEE10hipError_tPvRmT3_T4_T5_T6_T7_T9_mT8_P12ihipStream_tbDpT10_ENKUlT_T0_E_clISt17integral_constantIbLb1EES1J_EEDaS1E_S1F_EUlS1E_E_NS1_11comp_targetILNS1_3genE10ELNS1_11target_archE1200ELNS1_3gpuE4ELNS1_3repE0EEENS1_30default_config_static_selectorELNS0_4arch9wavefront6targetE1EEEvT1_,@function
_ZN7rocprim17ROCPRIM_400000_NS6detail17trampoline_kernelINS0_14default_configENS1_25partition_config_selectorILNS1_17partition_subalgoE2ExNS0_10empty_typeEbEEZZNS1_14partition_implILS5_2ELb0ES3_jN6thrust23THRUST_200600_302600_NS6detail15normal_iteratorINSA_7pointerIxNSA_11hip_rocprim3tagENSA_11use_defaultESG_EEEEPS6_NSA_18transform_iteratorI10is_orderedNSA_12zip_iteratorINSA_5tupleINSC_INSA_10device_ptrIxEEEESQ_NSA_9null_typeESR_SR_SR_SR_SR_SR_SR_EEEESG_SG_EENS0_5tupleIJPxSJ_EEENSV_IJSJ_SJ_EEES6_PlJS6_EEE10hipError_tPvRmT3_T4_T5_T6_T7_T9_mT8_P12ihipStream_tbDpT10_ENKUlT_T0_E_clISt17integral_constantIbLb1EES1J_EEDaS1E_S1F_EUlS1E_E_NS1_11comp_targetILNS1_3genE10ELNS1_11target_archE1200ELNS1_3gpuE4ELNS1_3repE0EEENS1_30default_config_static_selectorELNS0_4arch9wavefront6targetE1EEEvT1_: ; @_ZN7rocprim17ROCPRIM_400000_NS6detail17trampoline_kernelINS0_14default_configENS1_25partition_config_selectorILNS1_17partition_subalgoE2ExNS0_10empty_typeEbEEZZNS1_14partition_implILS5_2ELb0ES3_jN6thrust23THRUST_200600_302600_NS6detail15normal_iteratorINSA_7pointerIxNSA_11hip_rocprim3tagENSA_11use_defaultESG_EEEEPS6_NSA_18transform_iteratorI10is_orderedNSA_12zip_iteratorINSA_5tupleINSC_INSA_10device_ptrIxEEEESQ_NSA_9null_typeESR_SR_SR_SR_SR_SR_SR_EEEESG_SG_EENS0_5tupleIJPxSJ_EEENSV_IJSJ_SJ_EEES6_PlJS6_EEE10hipError_tPvRmT3_T4_T5_T6_T7_T9_mT8_P12ihipStream_tbDpT10_ENKUlT_T0_E_clISt17integral_constantIbLb1EES1J_EEDaS1E_S1F_EUlS1E_E_NS1_11comp_targetILNS1_3genE10ELNS1_11target_archE1200ELNS1_3gpuE4ELNS1_3repE0EEENS1_30default_config_static_selectorELNS0_4arch9wavefront6targetE1EEEvT1_
; %bb.0:
	.section	.rodata,"a",@progbits
	.p2align	6, 0x0
	.amdhsa_kernel _ZN7rocprim17ROCPRIM_400000_NS6detail17trampoline_kernelINS0_14default_configENS1_25partition_config_selectorILNS1_17partition_subalgoE2ExNS0_10empty_typeEbEEZZNS1_14partition_implILS5_2ELb0ES3_jN6thrust23THRUST_200600_302600_NS6detail15normal_iteratorINSA_7pointerIxNSA_11hip_rocprim3tagENSA_11use_defaultESG_EEEEPS6_NSA_18transform_iteratorI10is_orderedNSA_12zip_iteratorINSA_5tupleINSC_INSA_10device_ptrIxEEEESQ_NSA_9null_typeESR_SR_SR_SR_SR_SR_SR_EEEESG_SG_EENS0_5tupleIJPxSJ_EEENSV_IJSJ_SJ_EEES6_PlJS6_EEE10hipError_tPvRmT3_T4_T5_T6_T7_T9_mT8_P12ihipStream_tbDpT10_ENKUlT_T0_E_clISt17integral_constantIbLb1EES1J_EEDaS1E_S1F_EUlS1E_E_NS1_11comp_targetILNS1_3genE10ELNS1_11target_archE1200ELNS1_3gpuE4ELNS1_3repE0EEENS1_30default_config_static_selectorELNS0_4arch9wavefront6targetE1EEEvT1_
		.amdhsa_group_segment_fixed_size 0
		.amdhsa_private_segment_fixed_size 0
		.amdhsa_kernarg_size 152
		.amdhsa_user_sgpr_count 2
		.amdhsa_user_sgpr_dispatch_ptr 0
		.amdhsa_user_sgpr_queue_ptr 0
		.amdhsa_user_sgpr_kernarg_segment_ptr 1
		.amdhsa_user_sgpr_dispatch_id 0
		.amdhsa_user_sgpr_kernarg_preload_length 0
		.amdhsa_user_sgpr_kernarg_preload_offset 0
		.amdhsa_user_sgpr_private_segment_size 0
		.amdhsa_uses_dynamic_stack 0
		.amdhsa_enable_private_segment 0
		.amdhsa_system_sgpr_workgroup_id_x 1
		.amdhsa_system_sgpr_workgroup_id_y 0
		.amdhsa_system_sgpr_workgroup_id_z 0
		.amdhsa_system_sgpr_workgroup_info 0
		.amdhsa_system_vgpr_workitem_id 0
		.amdhsa_next_free_vgpr 1
		.amdhsa_next_free_sgpr 0
		.amdhsa_accum_offset 4
		.amdhsa_reserve_vcc 0
		.amdhsa_float_round_mode_32 0
		.amdhsa_float_round_mode_16_64 0
		.amdhsa_float_denorm_mode_32 3
		.amdhsa_float_denorm_mode_16_64 3
		.amdhsa_dx10_clamp 1
		.amdhsa_ieee_mode 1
		.amdhsa_fp16_overflow 0
		.amdhsa_tg_split 0
		.amdhsa_exception_fp_ieee_invalid_op 0
		.amdhsa_exception_fp_denorm_src 0
		.amdhsa_exception_fp_ieee_div_zero 0
		.amdhsa_exception_fp_ieee_overflow 0
		.amdhsa_exception_fp_ieee_underflow 0
		.amdhsa_exception_fp_ieee_inexact 0
		.amdhsa_exception_int_div_zero 0
	.end_amdhsa_kernel
	.section	.text._ZN7rocprim17ROCPRIM_400000_NS6detail17trampoline_kernelINS0_14default_configENS1_25partition_config_selectorILNS1_17partition_subalgoE2ExNS0_10empty_typeEbEEZZNS1_14partition_implILS5_2ELb0ES3_jN6thrust23THRUST_200600_302600_NS6detail15normal_iteratorINSA_7pointerIxNSA_11hip_rocprim3tagENSA_11use_defaultESG_EEEEPS6_NSA_18transform_iteratorI10is_orderedNSA_12zip_iteratorINSA_5tupleINSC_INSA_10device_ptrIxEEEESQ_NSA_9null_typeESR_SR_SR_SR_SR_SR_SR_EEEESG_SG_EENS0_5tupleIJPxSJ_EEENSV_IJSJ_SJ_EEES6_PlJS6_EEE10hipError_tPvRmT3_T4_T5_T6_T7_T9_mT8_P12ihipStream_tbDpT10_ENKUlT_T0_E_clISt17integral_constantIbLb1EES1J_EEDaS1E_S1F_EUlS1E_E_NS1_11comp_targetILNS1_3genE10ELNS1_11target_archE1200ELNS1_3gpuE4ELNS1_3repE0EEENS1_30default_config_static_selectorELNS0_4arch9wavefront6targetE1EEEvT1_,"axG",@progbits,_ZN7rocprim17ROCPRIM_400000_NS6detail17trampoline_kernelINS0_14default_configENS1_25partition_config_selectorILNS1_17partition_subalgoE2ExNS0_10empty_typeEbEEZZNS1_14partition_implILS5_2ELb0ES3_jN6thrust23THRUST_200600_302600_NS6detail15normal_iteratorINSA_7pointerIxNSA_11hip_rocprim3tagENSA_11use_defaultESG_EEEEPS6_NSA_18transform_iteratorI10is_orderedNSA_12zip_iteratorINSA_5tupleINSC_INSA_10device_ptrIxEEEESQ_NSA_9null_typeESR_SR_SR_SR_SR_SR_SR_EEEESG_SG_EENS0_5tupleIJPxSJ_EEENSV_IJSJ_SJ_EEES6_PlJS6_EEE10hipError_tPvRmT3_T4_T5_T6_T7_T9_mT8_P12ihipStream_tbDpT10_ENKUlT_T0_E_clISt17integral_constantIbLb1EES1J_EEDaS1E_S1F_EUlS1E_E_NS1_11comp_targetILNS1_3genE10ELNS1_11target_archE1200ELNS1_3gpuE4ELNS1_3repE0EEENS1_30default_config_static_selectorELNS0_4arch9wavefront6targetE1EEEvT1_,comdat
.Lfunc_end3575:
	.size	_ZN7rocprim17ROCPRIM_400000_NS6detail17trampoline_kernelINS0_14default_configENS1_25partition_config_selectorILNS1_17partition_subalgoE2ExNS0_10empty_typeEbEEZZNS1_14partition_implILS5_2ELb0ES3_jN6thrust23THRUST_200600_302600_NS6detail15normal_iteratorINSA_7pointerIxNSA_11hip_rocprim3tagENSA_11use_defaultESG_EEEEPS6_NSA_18transform_iteratorI10is_orderedNSA_12zip_iteratorINSA_5tupleINSC_INSA_10device_ptrIxEEEESQ_NSA_9null_typeESR_SR_SR_SR_SR_SR_SR_EEEESG_SG_EENS0_5tupleIJPxSJ_EEENSV_IJSJ_SJ_EEES6_PlJS6_EEE10hipError_tPvRmT3_T4_T5_T6_T7_T9_mT8_P12ihipStream_tbDpT10_ENKUlT_T0_E_clISt17integral_constantIbLb1EES1J_EEDaS1E_S1F_EUlS1E_E_NS1_11comp_targetILNS1_3genE10ELNS1_11target_archE1200ELNS1_3gpuE4ELNS1_3repE0EEENS1_30default_config_static_selectorELNS0_4arch9wavefront6targetE1EEEvT1_, .Lfunc_end3575-_ZN7rocprim17ROCPRIM_400000_NS6detail17trampoline_kernelINS0_14default_configENS1_25partition_config_selectorILNS1_17partition_subalgoE2ExNS0_10empty_typeEbEEZZNS1_14partition_implILS5_2ELb0ES3_jN6thrust23THRUST_200600_302600_NS6detail15normal_iteratorINSA_7pointerIxNSA_11hip_rocprim3tagENSA_11use_defaultESG_EEEEPS6_NSA_18transform_iteratorI10is_orderedNSA_12zip_iteratorINSA_5tupleINSC_INSA_10device_ptrIxEEEESQ_NSA_9null_typeESR_SR_SR_SR_SR_SR_SR_EEEESG_SG_EENS0_5tupleIJPxSJ_EEENSV_IJSJ_SJ_EEES6_PlJS6_EEE10hipError_tPvRmT3_T4_T5_T6_T7_T9_mT8_P12ihipStream_tbDpT10_ENKUlT_T0_E_clISt17integral_constantIbLb1EES1J_EEDaS1E_S1F_EUlS1E_E_NS1_11comp_targetILNS1_3genE10ELNS1_11target_archE1200ELNS1_3gpuE4ELNS1_3repE0EEENS1_30default_config_static_selectorELNS0_4arch9wavefront6targetE1EEEvT1_
                                        ; -- End function
	.section	.AMDGPU.csdata,"",@progbits
; Kernel info:
; codeLenInByte = 0
; NumSgprs: 6
; NumVgprs: 0
; NumAgprs: 0
; TotalNumVgprs: 0
; ScratchSize: 0
; MemoryBound: 0
; FloatMode: 240
; IeeeMode: 1
; LDSByteSize: 0 bytes/workgroup (compile time only)
; SGPRBlocks: 0
; VGPRBlocks: 0
; NumSGPRsForWavesPerEU: 6
; NumVGPRsForWavesPerEU: 1
; AccumOffset: 4
; Occupancy: 8
; WaveLimiterHint : 0
; COMPUTE_PGM_RSRC2:SCRATCH_EN: 0
; COMPUTE_PGM_RSRC2:USER_SGPR: 2
; COMPUTE_PGM_RSRC2:TRAP_HANDLER: 0
; COMPUTE_PGM_RSRC2:TGID_X_EN: 1
; COMPUTE_PGM_RSRC2:TGID_Y_EN: 0
; COMPUTE_PGM_RSRC2:TGID_Z_EN: 0
; COMPUTE_PGM_RSRC2:TIDIG_COMP_CNT: 0
; COMPUTE_PGM_RSRC3_GFX90A:ACCUM_OFFSET: 0
; COMPUTE_PGM_RSRC3_GFX90A:TG_SPLIT: 0
	.section	.text._ZN7rocprim17ROCPRIM_400000_NS6detail17trampoline_kernelINS0_14default_configENS1_25partition_config_selectorILNS1_17partition_subalgoE2ExNS0_10empty_typeEbEEZZNS1_14partition_implILS5_2ELb0ES3_jN6thrust23THRUST_200600_302600_NS6detail15normal_iteratorINSA_7pointerIxNSA_11hip_rocprim3tagENSA_11use_defaultESG_EEEEPS6_NSA_18transform_iteratorI10is_orderedNSA_12zip_iteratorINSA_5tupleINSC_INSA_10device_ptrIxEEEESQ_NSA_9null_typeESR_SR_SR_SR_SR_SR_SR_EEEESG_SG_EENS0_5tupleIJPxSJ_EEENSV_IJSJ_SJ_EEES6_PlJS6_EEE10hipError_tPvRmT3_T4_T5_T6_T7_T9_mT8_P12ihipStream_tbDpT10_ENKUlT_T0_E_clISt17integral_constantIbLb1EES1J_EEDaS1E_S1F_EUlS1E_E_NS1_11comp_targetILNS1_3genE9ELNS1_11target_archE1100ELNS1_3gpuE3ELNS1_3repE0EEENS1_30default_config_static_selectorELNS0_4arch9wavefront6targetE1EEEvT1_,"axG",@progbits,_ZN7rocprim17ROCPRIM_400000_NS6detail17trampoline_kernelINS0_14default_configENS1_25partition_config_selectorILNS1_17partition_subalgoE2ExNS0_10empty_typeEbEEZZNS1_14partition_implILS5_2ELb0ES3_jN6thrust23THRUST_200600_302600_NS6detail15normal_iteratorINSA_7pointerIxNSA_11hip_rocprim3tagENSA_11use_defaultESG_EEEEPS6_NSA_18transform_iteratorI10is_orderedNSA_12zip_iteratorINSA_5tupleINSC_INSA_10device_ptrIxEEEESQ_NSA_9null_typeESR_SR_SR_SR_SR_SR_SR_EEEESG_SG_EENS0_5tupleIJPxSJ_EEENSV_IJSJ_SJ_EEES6_PlJS6_EEE10hipError_tPvRmT3_T4_T5_T6_T7_T9_mT8_P12ihipStream_tbDpT10_ENKUlT_T0_E_clISt17integral_constantIbLb1EES1J_EEDaS1E_S1F_EUlS1E_E_NS1_11comp_targetILNS1_3genE9ELNS1_11target_archE1100ELNS1_3gpuE3ELNS1_3repE0EEENS1_30default_config_static_selectorELNS0_4arch9wavefront6targetE1EEEvT1_,comdat
	.protected	_ZN7rocprim17ROCPRIM_400000_NS6detail17trampoline_kernelINS0_14default_configENS1_25partition_config_selectorILNS1_17partition_subalgoE2ExNS0_10empty_typeEbEEZZNS1_14partition_implILS5_2ELb0ES3_jN6thrust23THRUST_200600_302600_NS6detail15normal_iteratorINSA_7pointerIxNSA_11hip_rocprim3tagENSA_11use_defaultESG_EEEEPS6_NSA_18transform_iteratorI10is_orderedNSA_12zip_iteratorINSA_5tupleINSC_INSA_10device_ptrIxEEEESQ_NSA_9null_typeESR_SR_SR_SR_SR_SR_SR_EEEESG_SG_EENS0_5tupleIJPxSJ_EEENSV_IJSJ_SJ_EEES6_PlJS6_EEE10hipError_tPvRmT3_T4_T5_T6_T7_T9_mT8_P12ihipStream_tbDpT10_ENKUlT_T0_E_clISt17integral_constantIbLb1EES1J_EEDaS1E_S1F_EUlS1E_E_NS1_11comp_targetILNS1_3genE9ELNS1_11target_archE1100ELNS1_3gpuE3ELNS1_3repE0EEENS1_30default_config_static_selectorELNS0_4arch9wavefront6targetE1EEEvT1_ ; -- Begin function _ZN7rocprim17ROCPRIM_400000_NS6detail17trampoline_kernelINS0_14default_configENS1_25partition_config_selectorILNS1_17partition_subalgoE2ExNS0_10empty_typeEbEEZZNS1_14partition_implILS5_2ELb0ES3_jN6thrust23THRUST_200600_302600_NS6detail15normal_iteratorINSA_7pointerIxNSA_11hip_rocprim3tagENSA_11use_defaultESG_EEEEPS6_NSA_18transform_iteratorI10is_orderedNSA_12zip_iteratorINSA_5tupleINSC_INSA_10device_ptrIxEEEESQ_NSA_9null_typeESR_SR_SR_SR_SR_SR_SR_EEEESG_SG_EENS0_5tupleIJPxSJ_EEENSV_IJSJ_SJ_EEES6_PlJS6_EEE10hipError_tPvRmT3_T4_T5_T6_T7_T9_mT8_P12ihipStream_tbDpT10_ENKUlT_T0_E_clISt17integral_constantIbLb1EES1J_EEDaS1E_S1F_EUlS1E_E_NS1_11comp_targetILNS1_3genE9ELNS1_11target_archE1100ELNS1_3gpuE3ELNS1_3repE0EEENS1_30default_config_static_selectorELNS0_4arch9wavefront6targetE1EEEvT1_
	.globl	_ZN7rocprim17ROCPRIM_400000_NS6detail17trampoline_kernelINS0_14default_configENS1_25partition_config_selectorILNS1_17partition_subalgoE2ExNS0_10empty_typeEbEEZZNS1_14partition_implILS5_2ELb0ES3_jN6thrust23THRUST_200600_302600_NS6detail15normal_iteratorINSA_7pointerIxNSA_11hip_rocprim3tagENSA_11use_defaultESG_EEEEPS6_NSA_18transform_iteratorI10is_orderedNSA_12zip_iteratorINSA_5tupleINSC_INSA_10device_ptrIxEEEESQ_NSA_9null_typeESR_SR_SR_SR_SR_SR_SR_EEEESG_SG_EENS0_5tupleIJPxSJ_EEENSV_IJSJ_SJ_EEES6_PlJS6_EEE10hipError_tPvRmT3_T4_T5_T6_T7_T9_mT8_P12ihipStream_tbDpT10_ENKUlT_T0_E_clISt17integral_constantIbLb1EES1J_EEDaS1E_S1F_EUlS1E_E_NS1_11comp_targetILNS1_3genE9ELNS1_11target_archE1100ELNS1_3gpuE3ELNS1_3repE0EEENS1_30default_config_static_selectorELNS0_4arch9wavefront6targetE1EEEvT1_
	.p2align	8
	.type	_ZN7rocprim17ROCPRIM_400000_NS6detail17trampoline_kernelINS0_14default_configENS1_25partition_config_selectorILNS1_17partition_subalgoE2ExNS0_10empty_typeEbEEZZNS1_14partition_implILS5_2ELb0ES3_jN6thrust23THRUST_200600_302600_NS6detail15normal_iteratorINSA_7pointerIxNSA_11hip_rocprim3tagENSA_11use_defaultESG_EEEEPS6_NSA_18transform_iteratorI10is_orderedNSA_12zip_iteratorINSA_5tupleINSC_INSA_10device_ptrIxEEEESQ_NSA_9null_typeESR_SR_SR_SR_SR_SR_SR_EEEESG_SG_EENS0_5tupleIJPxSJ_EEENSV_IJSJ_SJ_EEES6_PlJS6_EEE10hipError_tPvRmT3_T4_T5_T6_T7_T9_mT8_P12ihipStream_tbDpT10_ENKUlT_T0_E_clISt17integral_constantIbLb1EES1J_EEDaS1E_S1F_EUlS1E_E_NS1_11comp_targetILNS1_3genE9ELNS1_11target_archE1100ELNS1_3gpuE3ELNS1_3repE0EEENS1_30default_config_static_selectorELNS0_4arch9wavefront6targetE1EEEvT1_,@function
_ZN7rocprim17ROCPRIM_400000_NS6detail17trampoline_kernelINS0_14default_configENS1_25partition_config_selectorILNS1_17partition_subalgoE2ExNS0_10empty_typeEbEEZZNS1_14partition_implILS5_2ELb0ES3_jN6thrust23THRUST_200600_302600_NS6detail15normal_iteratorINSA_7pointerIxNSA_11hip_rocprim3tagENSA_11use_defaultESG_EEEEPS6_NSA_18transform_iteratorI10is_orderedNSA_12zip_iteratorINSA_5tupleINSC_INSA_10device_ptrIxEEEESQ_NSA_9null_typeESR_SR_SR_SR_SR_SR_SR_EEEESG_SG_EENS0_5tupleIJPxSJ_EEENSV_IJSJ_SJ_EEES6_PlJS6_EEE10hipError_tPvRmT3_T4_T5_T6_T7_T9_mT8_P12ihipStream_tbDpT10_ENKUlT_T0_E_clISt17integral_constantIbLb1EES1J_EEDaS1E_S1F_EUlS1E_E_NS1_11comp_targetILNS1_3genE9ELNS1_11target_archE1100ELNS1_3gpuE3ELNS1_3repE0EEENS1_30default_config_static_selectorELNS0_4arch9wavefront6targetE1EEEvT1_: ; @_ZN7rocprim17ROCPRIM_400000_NS6detail17trampoline_kernelINS0_14default_configENS1_25partition_config_selectorILNS1_17partition_subalgoE2ExNS0_10empty_typeEbEEZZNS1_14partition_implILS5_2ELb0ES3_jN6thrust23THRUST_200600_302600_NS6detail15normal_iteratorINSA_7pointerIxNSA_11hip_rocprim3tagENSA_11use_defaultESG_EEEEPS6_NSA_18transform_iteratorI10is_orderedNSA_12zip_iteratorINSA_5tupleINSC_INSA_10device_ptrIxEEEESQ_NSA_9null_typeESR_SR_SR_SR_SR_SR_SR_EEEESG_SG_EENS0_5tupleIJPxSJ_EEENSV_IJSJ_SJ_EEES6_PlJS6_EEE10hipError_tPvRmT3_T4_T5_T6_T7_T9_mT8_P12ihipStream_tbDpT10_ENKUlT_T0_E_clISt17integral_constantIbLb1EES1J_EEDaS1E_S1F_EUlS1E_E_NS1_11comp_targetILNS1_3genE9ELNS1_11target_archE1100ELNS1_3gpuE3ELNS1_3repE0EEENS1_30default_config_static_selectorELNS0_4arch9wavefront6targetE1EEEvT1_
; %bb.0:
	.section	.rodata,"a",@progbits
	.p2align	6, 0x0
	.amdhsa_kernel _ZN7rocprim17ROCPRIM_400000_NS6detail17trampoline_kernelINS0_14default_configENS1_25partition_config_selectorILNS1_17partition_subalgoE2ExNS0_10empty_typeEbEEZZNS1_14partition_implILS5_2ELb0ES3_jN6thrust23THRUST_200600_302600_NS6detail15normal_iteratorINSA_7pointerIxNSA_11hip_rocprim3tagENSA_11use_defaultESG_EEEEPS6_NSA_18transform_iteratorI10is_orderedNSA_12zip_iteratorINSA_5tupleINSC_INSA_10device_ptrIxEEEESQ_NSA_9null_typeESR_SR_SR_SR_SR_SR_SR_EEEESG_SG_EENS0_5tupleIJPxSJ_EEENSV_IJSJ_SJ_EEES6_PlJS6_EEE10hipError_tPvRmT3_T4_T5_T6_T7_T9_mT8_P12ihipStream_tbDpT10_ENKUlT_T0_E_clISt17integral_constantIbLb1EES1J_EEDaS1E_S1F_EUlS1E_E_NS1_11comp_targetILNS1_3genE9ELNS1_11target_archE1100ELNS1_3gpuE3ELNS1_3repE0EEENS1_30default_config_static_selectorELNS0_4arch9wavefront6targetE1EEEvT1_
		.amdhsa_group_segment_fixed_size 0
		.amdhsa_private_segment_fixed_size 0
		.amdhsa_kernarg_size 152
		.amdhsa_user_sgpr_count 2
		.amdhsa_user_sgpr_dispatch_ptr 0
		.amdhsa_user_sgpr_queue_ptr 0
		.amdhsa_user_sgpr_kernarg_segment_ptr 1
		.amdhsa_user_sgpr_dispatch_id 0
		.amdhsa_user_sgpr_kernarg_preload_length 0
		.amdhsa_user_sgpr_kernarg_preload_offset 0
		.amdhsa_user_sgpr_private_segment_size 0
		.amdhsa_uses_dynamic_stack 0
		.amdhsa_enable_private_segment 0
		.amdhsa_system_sgpr_workgroup_id_x 1
		.amdhsa_system_sgpr_workgroup_id_y 0
		.amdhsa_system_sgpr_workgroup_id_z 0
		.amdhsa_system_sgpr_workgroup_info 0
		.amdhsa_system_vgpr_workitem_id 0
		.amdhsa_next_free_vgpr 1
		.amdhsa_next_free_sgpr 0
		.amdhsa_accum_offset 4
		.amdhsa_reserve_vcc 0
		.amdhsa_float_round_mode_32 0
		.amdhsa_float_round_mode_16_64 0
		.amdhsa_float_denorm_mode_32 3
		.amdhsa_float_denorm_mode_16_64 3
		.amdhsa_dx10_clamp 1
		.amdhsa_ieee_mode 1
		.amdhsa_fp16_overflow 0
		.amdhsa_tg_split 0
		.amdhsa_exception_fp_ieee_invalid_op 0
		.amdhsa_exception_fp_denorm_src 0
		.amdhsa_exception_fp_ieee_div_zero 0
		.amdhsa_exception_fp_ieee_overflow 0
		.amdhsa_exception_fp_ieee_underflow 0
		.amdhsa_exception_fp_ieee_inexact 0
		.amdhsa_exception_int_div_zero 0
	.end_amdhsa_kernel
	.section	.text._ZN7rocprim17ROCPRIM_400000_NS6detail17trampoline_kernelINS0_14default_configENS1_25partition_config_selectorILNS1_17partition_subalgoE2ExNS0_10empty_typeEbEEZZNS1_14partition_implILS5_2ELb0ES3_jN6thrust23THRUST_200600_302600_NS6detail15normal_iteratorINSA_7pointerIxNSA_11hip_rocprim3tagENSA_11use_defaultESG_EEEEPS6_NSA_18transform_iteratorI10is_orderedNSA_12zip_iteratorINSA_5tupleINSC_INSA_10device_ptrIxEEEESQ_NSA_9null_typeESR_SR_SR_SR_SR_SR_SR_EEEESG_SG_EENS0_5tupleIJPxSJ_EEENSV_IJSJ_SJ_EEES6_PlJS6_EEE10hipError_tPvRmT3_T4_T5_T6_T7_T9_mT8_P12ihipStream_tbDpT10_ENKUlT_T0_E_clISt17integral_constantIbLb1EES1J_EEDaS1E_S1F_EUlS1E_E_NS1_11comp_targetILNS1_3genE9ELNS1_11target_archE1100ELNS1_3gpuE3ELNS1_3repE0EEENS1_30default_config_static_selectorELNS0_4arch9wavefront6targetE1EEEvT1_,"axG",@progbits,_ZN7rocprim17ROCPRIM_400000_NS6detail17trampoline_kernelINS0_14default_configENS1_25partition_config_selectorILNS1_17partition_subalgoE2ExNS0_10empty_typeEbEEZZNS1_14partition_implILS5_2ELb0ES3_jN6thrust23THRUST_200600_302600_NS6detail15normal_iteratorINSA_7pointerIxNSA_11hip_rocprim3tagENSA_11use_defaultESG_EEEEPS6_NSA_18transform_iteratorI10is_orderedNSA_12zip_iteratorINSA_5tupleINSC_INSA_10device_ptrIxEEEESQ_NSA_9null_typeESR_SR_SR_SR_SR_SR_SR_EEEESG_SG_EENS0_5tupleIJPxSJ_EEENSV_IJSJ_SJ_EEES6_PlJS6_EEE10hipError_tPvRmT3_T4_T5_T6_T7_T9_mT8_P12ihipStream_tbDpT10_ENKUlT_T0_E_clISt17integral_constantIbLb1EES1J_EEDaS1E_S1F_EUlS1E_E_NS1_11comp_targetILNS1_3genE9ELNS1_11target_archE1100ELNS1_3gpuE3ELNS1_3repE0EEENS1_30default_config_static_selectorELNS0_4arch9wavefront6targetE1EEEvT1_,comdat
.Lfunc_end3576:
	.size	_ZN7rocprim17ROCPRIM_400000_NS6detail17trampoline_kernelINS0_14default_configENS1_25partition_config_selectorILNS1_17partition_subalgoE2ExNS0_10empty_typeEbEEZZNS1_14partition_implILS5_2ELb0ES3_jN6thrust23THRUST_200600_302600_NS6detail15normal_iteratorINSA_7pointerIxNSA_11hip_rocprim3tagENSA_11use_defaultESG_EEEEPS6_NSA_18transform_iteratorI10is_orderedNSA_12zip_iteratorINSA_5tupleINSC_INSA_10device_ptrIxEEEESQ_NSA_9null_typeESR_SR_SR_SR_SR_SR_SR_EEEESG_SG_EENS0_5tupleIJPxSJ_EEENSV_IJSJ_SJ_EEES6_PlJS6_EEE10hipError_tPvRmT3_T4_T5_T6_T7_T9_mT8_P12ihipStream_tbDpT10_ENKUlT_T0_E_clISt17integral_constantIbLb1EES1J_EEDaS1E_S1F_EUlS1E_E_NS1_11comp_targetILNS1_3genE9ELNS1_11target_archE1100ELNS1_3gpuE3ELNS1_3repE0EEENS1_30default_config_static_selectorELNS0_4arch9wavefront6targetE1EEEvT1_, .Lfunc_end3576-_ZN7rocprim17ROCPRIM_400000_NS6detail17trampoline_kernelINS0_14default_configENS1_25partition_config_selectorILNS1_17partition_subalgoE2ExNS0_10empty_typeEbEEZZNS1_14partition_implILS5_2ELb0ES3_jN6thrust23THRUST_200600_302600_NS6detail15normal_iteratorINSA_7pointerIxNSA_11hip_rocprim3tagENSA_11use_defaultESG_EEEEPS6_NSA_18transform_iteratorI10is_orderedNSA_12zip_iteratorINSA_5tupleINSC_INSA_10device_ptrIxEEEESQ_NSA_9null_typeESR_SR_SR_SR_SR_SR_SR_EEEESG_SG_EENS0_5tupleIJPxSJ_EEENSV_IJSJ_SJ_EEES6_PlJS6_EEE10hipError_tPvRmT3_T4_T5_T6_T7_T9_mT8_P12ihipStream_tbDpT10_ENKUlT_T0_E_clISt17integral_constantIbLb1EES1J_EEDaS1E_S1F_EUlS1E_E_NS1_11comp_targetILNS1_3genE9ELNS1_11target_archE1100ELNS1_3gpuE3ELNS1_3repE0EEENS1_30default_config_static_selectorELNS0_4arch9wavefront6targetE1EEEvT1_
                                        ; -- End function
	.section	.AMDGPU.csdata,"",@progbits
; Kernel info:
; codeLenInByte = 0
; NumSgprs: 6
; NumVgprs: 0
; NumAgprs: 0
; TotalNumVgprs: 0
; ScratchSize: 0
; MemoryBound: 0
; FloatMode: 240
; IeeeMode: 1
; LDSByteSize: 0 bytes/workgroup (compile time only)
; SGPRBlocks: 0
; VGPRBlocks: 0
; NumSGPRsForWavesPerEU: 6
; NumVGPRsForWavesPerEU: 1
; AccumOffset: 4
; Occupancy: 8
; WaveLimiterHint : 0
; COMPUTE_PGM_RSRC2:SCRATCH_EN: 0
; COMPUTE_PGM_RSRC2:USER_SGPR: 2
; COMPUTE_PGM_RSRC2:TRAP_HANDLER: 0
; COMPUTE_PGM_RSRC2:TGID_X_EN: 1
; COMPUTE_PGM_RSRC2:TGID_Y_EN: 0
; COMPUTE_PGM_RSRC2:TGID_Z_EN: 0
; COMPUTE_PGM_RSRC2:TIDIG_COMP_CNT: 0
; COMPUTE_PGM_RSRC3_GFX90A:ACCUM_OFFSET: 0
; COMPUTE_PGM_RSRC3_GFX90A:TG_SPLIT: 0
	.section	.text._ZN7rocprim17ROCPRIM_400000_NS6detail17trampoline_kernelINS0_14default_configENS1_25partition_config_selectorILNS1_17partition_subalgoE2ExNS0_10empty_typeEbEEZZNS1_14partition_implILS5_2ELb0ES3_jN6thrust23THRUST_200600_302600_NS6detail15normal_iteratorINSA_7pointerIxNSA_11hip_rocprim3tagENSA_11use_defaultESG_EEEEPS6_NSA_18transform_iteratorI10is_orderedNSA_12zip_iteratorINSA_5tupleINSC_INSA_10device_ptrIxEEEESQ_NSA_9null_typeESR_SR_SR_SR_SR_SR_SR_EEEESG_SG_EENS0_5tupleIJPxSJ_EEENSV_IJSJ_SJ_EEES6_PlJS6_EEE10hipError_tPvRmT3_T4_T5_T6_T7_T9_mT8_P12ihipStream_tbDpT10_ENKUlT_T0_E_clISt17integral_constantIbLb1EES1J_EEDaS1E_S1F_EUlS1E_E_NS1_11comp_targetILNS1_3genE8ELNS1_11target_archE1030ELNS1_3gpuE2ELNS1_3repE0EEENS1_30default_config_static_selectorELNS0_4arch9wavefront6targetE1EEEvT1_,"axG",@progbits,_ZN7rocprim17ROCPRIM_400000_NS6detail17trampoline_kernelINS0_14default_configENS1_25partition_config_selectorILNS1_17partition_subalgoE2ExNS0_10empty_typeEbEEZZNS1_14partition_implILS5_2ELb0ES3_jN6thrust23THRUST_200600_302600_NS6detail15normal_iteratorINSA_7pointerIxNSA_11hip_rocprim3tagENSA_11use_defaultESG_EEEEPS6_NSA_18transform_iteratorI10is_orderedNSA_12zip_iteratorINSA_5tupleINSC_INSA_10device_ptrIxEEEESQ_NSA_9null_typeESR_SR_SR_SR_SR_SR_SR_EEEESG_SG_EENS0_5tupleIJPxSJ_EEENSV_IJSJ_SJ_EEES6_PlJS6_EEE10hipError_tPvRmT3_T4_T5_T6_T7_T9_mT8_P12ihipStream_tbDpT10_ENKUlT_T0_E_clISt17integral_constantIbLb1EES1J_EEDaS1E_S1F_EUlS1E_E_NS1_11comp_targetILNS1_3genE8ELNS1_11target_archE1030ELNS1_3gpuE2ELNS1_3repE0EEENS1_30default_config_static_selectorELNS0_4arch9wavefront6targetE1EEEvT1_,comdat
	.protected	_ZN7rocprim17ROCPRIM_400000_NS6detail17trampoline_kernelINS0_14default_configENS1_25partition_config_selectorILNS1_17partition_subalgoE2ExNS0_10empty_typeEbEEZZNS1_14partition_implILS5_2ELb0ES3_jN6thrust23THRUST_200600_302600_NS6detail15normal_iteratorINSA_7pointerIxNSA_11hip_rocprim3tagENSA_11use_defaultESG_EEEEPS6_NSA_18transform_iteratorI10is_orderedNSA_12zip_iteratorINSA_5tupleINSC_INSA_10device_ptrIxEEEESQ_NSA_9null_typeESR_SR_SR_SR_SR_SR_SR_EEEESG_SG_EENS0_5tupleIJPxSJ_EEENSV_IJSJ_SJ_EEES6_PlJS6_EEE10hipError_tPvRmT3_T4_T5_T6_T7_T9_mT8_P12ihipStream_tbDpT10_ENKUlT_T0_E_clISt17integral_constantIbLb1EES1J_EEDaS1E_S1F_EUlS1E_E_NS1_11comp_targetILNS1_3genE8ELNS1_11target_archE1030ELNS1_3gpuE2ELNS1_3repE0EEENS1_30default_config_static_selectorELNS0_4arch9wavefront6targetE1EEEvT1_ ; -- Begin function _ZN7rocprim17ROCPRIM_400000_NS6detail17trampoline_kernelINS0_14default_configENS1_25partition_config_selectorILNS1_17partition_subalgoE2ExNS0_10empty_typeEbEEZZNS1_14partition_implILS5_2ELb0ES3_jN6thrust23THRUST_200600_302600_NS6detail15normal_iteratorINSA_7pointerIxNSA_11hip_rocprim3tagENSA_11use_defaultESG_EEEEPS6_NSA_18transform_iteratorI10is_orderedNSA_12zip_iteratorINSA_5tupleINSC_INSA_10device_ptrIxEEEESQ_NSA_9null_typeESR_SR_SR_SR_SR_SR_SR_EEEESG_SG_EENS0_5tupleIJPxSJ_EEENSV_IJSJ_SJ_EEES6_PlJS6_EEE10hipError_tPvRmT3_T4_T5_T6_T7_T9_mT8_P12ihipStream_tbDpT10_ENKUlT_T0_E_clISt17integral_constantIbLb1EES1J_EEDaS1E_S1F_EUlS1E_E_NS1_11comp_targetILNS1_3genE8ELNS1_11target_archE1030ELNS1_3gpuE2ELNS1_3repE0EEENS1_30default_config_static_selectorELNS0_4arch9wavefront6targetE1EEEvT1_
	.globl	_ZN7rocprim17ROCPRIM_400000_NS6detail17trampoline_kernelINS0_14default_configENS1_25partition_config_selectorILNS1_17partition_subalgoE2ExNS0_10empty_typeEbEEZZNS1_14partition_implILS5_2ELb0ES3_jN6thrust23THRUST_200600_302600_NS6detail15normal_iteratorINSA_7pointerIxNSA_11hip_rocprim3tagENSA_11use_defaultESG_EEEEPS6_NSA_18transform_iteratorI10is_orderedNSA_12zip_iteratorINSA_5tupleINSC_INSA_10device_ptrIxEEEESQ_NSA_9null_typeESR_SR_SR_SR_SR_SR_SR_EEEESG_SG_EENS0_5tupleIJPxSJ_EEENSV_IJSJ_SJ_EEES6_PlJS6_EEE10hipError_tPvRmT3_T4_T5_T6_T7_T9_mT8_P12ihipStream_tbDpT10_ENKUlT_T0_E_clISt17integral_constantIbLb1EES1J_EEDaS1E_S1F_EUlS1E_E_NS1_11comp_targetILNS1_3genE8ELNS1_11target_archE1030ELNS1_3gpuE2ELNS1_3repE0EEENS1_30default_config_static_selectorELNS0_4arch9wavefront6targetE1EEEvT1_
	.p2align	8
	.type	_ZN7rocprim17ROCPRIM_400000_NS6detail17trampoline_kernelINS0_14default_configENS1_25partition_config_selectorILNS1_17partition_subalgoE2ExNS0_10empty_typeEbEEZZNS1_14partition_implILS5_2ELb0ES3_jN6thrust23THRUST_200600_302600_NS6detail15normal_iteratorINSA_7pointerIxNSA_11hip_rocprim3tagENSA_11use_defaultESG_EEEEPS6_NSA_18transform_iteratorI10is_orderedNSA_12zip_iteratorINSA_5tupleINSC_INSA_10device_ptrIxEEEESQ_NSA_9null_typeESR_SR_SR_SR_SR_SR_SR_EEEESG_SG_EENS0_5tupleIJPxSJ_EEENSV_IJSJ_SJ_EEES6_PlJS6_EEE10hipError_tPvRmT3_T4_T5_T6_T7_T9_mT8_P12ihipStream_tbDpT10_ENKUlT_T0_E_clISt17integral_constantIbLb1EES1J_EEDaS1E_S1F_EUlS1E_E_NS1_11comp_targetILNS1_3genE8ELNS1_11target_archE1030ELNS1_3gpuE2ELNS1_3repE0EEENS1_30default_config_static_selectorELNS0_4arch9wavefront6targetE1EEEvT1_,@function
_ZN7rocprim17ROCPRIM_400000_NS6detail17trampoline_kernelINS0_14default_configENS1_25partition_config_selectorILNS1_17partition_subalgoE2ExNS0_10empty_typeEbEEZZNS1_14partition_implILS5_2ELb0ES3_jN6thrust23THRUST_200600_302600_NS6detail15normal_iteratorINSA_7pointerIxNSA_11hip_rocprim3tagENSA_11use_defaultESG_EEEEPS6_NSA_18transform_iteratorI10is_orderedNSA_12zip_iteratorINSA_5tupleINSC_INSA_10device_ptrIxEEEESQ_NSA_9null_typeESR_SR_SR_SR_SR_SR_SR_EEEESG_SG_EENS0_5tupleIJPxSJ_EEENSV_IJSJ_SJ_EEES6_PlJS6_EEE10hipError_tPvRmT3_T4_T5_T6_T7_T9_mT8_P12ihipStream_tbDpT10_ENKUlT_T0_E_clISt17integral_constantIbLb1EES1J_EEDaS1E_S1F_EUlS1E_E_NS1_11comp_targetILNS1_3genE8ELNS1_11target_archE1030ELNS1_3gpuE2ELNS1_3repE0EEENS1_30default_config_static_selectorELNS0_4arch9wavefront6targetE1EEEvT1_: ; @_ZN7rocprim17ROCPRIM_400000_NS6detail17trampoline_kernelINS0_14default_configENS1_25partition_config_selectorILNS1_17partition_subalgoE2ExNS0_10empty_typeEbEEZZNS1_14partition_implILS5_2ELb0ES3_jN6thrust23THRUST_200600_302600_NS6detail15normal_iteratorINSA_7pointerIxNSA_11hip_rocprim3tagENSA_11use_defaultESG_EEEEPS6_NSA_18transform_iteratorI10is_orderedNSA_12zip_iteratorINSA_5tupleINSC_INSA_10device_ptrIxEEEESQ_NSA_9null_typeESR_SR_SR_SR_SR_SR_SR_EEEESG_SG_EENS0_5tupleIJPxSJ_EEENSV_IJSJ_SJ_EEES6_PlJS6_EEE10hipError_tPvRmT3_T4_T5_T6_T7_T9_mT8_P12ihipStream_tbDpT10_ENKUlT_T0_E_clISt17integral_constantIbLb1EES1J_EEDaS1E_S1F_EUlS1E_E_NS1_11comp_targetILNS1_3genE8ELNS1_11target_archE1030ELNS1_3gpuE2ELNS1_3repE0EEENS1_30default_config_static_selectorELNS0_4arch9wavefront6targetE1EEEvT1_
; %bb.0:
	.section	.rodata,"a",@progbits
	.p2align	6, 0x0
	.amdhsa_kernel _ZN7rocprim17ROCPRIM_400000_NS6detail17trampoline_kernelINS0_14default_configENS1_25partition_config_selectorILNS1_17partition_subalgoE2ExNS0_10empty_typeEbEEZZNS1_14partition_implILS5_2ELb0ES3_jN6thrust23THRUST_200600_302600_NS6detail15normal_iteratorINSA_7pointerIxNSA_11hip_rocprim3tagENSA_11use_defaultESG_EEEEPS6_NSA_18transform_iteratorI10is_orderedNSA_12zip_iteratorINSA_5tupleINSC_INSA_10device_ptrIxEEEESQ_NSA_9null_typeESR_SR_SR_SR_SR_SR_SR_EEEESG_SG_EENS0_5tupleIJPxSJ_EEENSV_IJSJ_SJ_EEES6_PlJS6_EEE10hipError_tPvRmT3_T4_T5_T6_T7_T9_mT8_P12ihipStream_tbDpT10_ENKUlT_T0_E_clISt17integral_constantIbLb1EES1J_EEDaS1E_S1F_EUlS1E_E_NS1_11comp_targetILNS1_3genE8ELNS1_11target_archE1030ELNS1_3gpuE2ELNS1_3repE0EEENS1_30default_config_static_selectorELNS0_4arch9wavefront6targetE1EEEvT1_
		.amdhsa_group_segment_fixed_size 0
		.amdhsa_private_segment_fixed_size 0
		.amdhsa_kernarg_size 152
		.amdhsa_user_sgpr_count 2
		.amdhsa_user_sgpr_dispatch_ptr 0
		.amdhsa_user_sgpr_queue_ptr 0
		.amdhsa_user_sgpr_kernarg_segment_ptr 1
		.amdhsa_user_sgpr_dispatch_id 0
		.amdhsa_user_sgpr_kernarg_preload_length 0
		.amdhsa_user_sgpr_kernarg_preload_offset 0
		.amdhsa_user_sgpr_private_segment_size 0
		.amdhsa_uses_dynamic_stack 0
		.amdhsa_enable_private_segment 0
		.amdhsa_system_sgpr_workgroup_id_x 1
		.amdhsa_system_sgpr_workgroup_id_y 0
		.amdhsa_system_sgpr_workgroup_id_z 0
		.amdhsa_system_sgpr_workgroup_info 0
		.amdhsa_system_vgpr_workitem_id 0
		.amdhsa_next_free_vgpr 1
		.amdhsa_next_free_sgpr 0
		.amdhsa_accum_offset 4
		.amdhsa_reserve_vcc 0
		.amdhsa_float_round_mode_32 0
		.amdhsa_float_round_mode_16_64 0
		.amdhsa_float_denorm_mode_32 3
		.amdhsa_float_denorm_mode_16_64 3
		.amdhsa_dx10_clamp 1
		.amdhsa_ieee_mode 1
		.amdhsa_fp16_overflow 0
		.amdhsa_tg_split 0
		.amdhsa_exception_fp_ieee_invalid_op 0
		.amdhsa_exception_fp_denorm_src 0
		.amdhsa_exception_fp_ieee_div_zero 0
		.amdhsa_exception_fp_ieee_overflow 0
		.amdhsa_exception_fp_ieee_underflow 0
		.amdhsa_exception_fp_ieee_inexact 0
		.amdhsa_exception_int_div_zero 0
	.end_amdhsa_kernel
	.section	.text._ZN7rocprim17ROCPRIM_400000_NS6detail17trampoline_kernelINS0_14default_configENS1_25partition_config_selectorILNS1_17partition_subalgoE2ExNS0_10empty_typeEbEEZZNS1_14partition_implILS5_2ELb0ES3_jN6thrust23THRUST_200600_302600_NS6detail15normal_iteratorINSA_7pointerIxNSA_11hip_rocprim3tagENSA_11use_defaultESG_EEEEPS6_NSA_18transform_iteratorI10is_orderedNSA_12zip_iteratorINSA_5tupleINSC_INSA_10device_ptrIxEEEESQ_NSA_9null_typeESR_SR_SR_SR_SR_SR_SR_EEEESG_SG_EENS0_5tupleIJPxSJ_EEENSV_IJSJ_SJ_EEES6_PlJS6_EEE10hipError_tPvRmT3_T4_T5_T6_T7_T9_mT8_P12ihipStream_tbDpT10_ENKUlT_T0_E_clISt17integral_constantIbLb1EES1J_EEDaS1E_S1F_EUlS1E_E_NS1_11comp_targetILNS1_3genE8ELNS1_11target_archE1030ELNS1_3gpuE2ELNS1_3repE0EEENS1_30default_config_static_selectorELNS0_4arch9wavefront6targetE1EEEvT1_,"axG",@progbits,_ZN7rocprim17ROCPRIM_400000_NS6detail17trampoline_kernelINS0_14default_configENS1_25partition_config_selectorILNS1_17partition_subalgoE2ExNS0_10empty_typeEbEEZZNS1_14partition_implILS5_2ELb0ES3_jN6thrust23THRUST_200600_302600_NS6detail15normal_iteratorINSA_7pointerIxNSA_11hip_rocprim3tagENSA_11use_defaultESG_EEEEPS6_NSA_18transform_iteratorI10is_orderedNSA_12zip_iteratorINSA_5tupleINSC_INSA_10device_ptrIxEEEESQ_NSA_9null_typeESR_SR_SR_SR_SR_SR_SR_EEEESG_SG_EENS0_5tupleIJPxSJ_EEENSV_IJSJ_SJ_EEES6_PlJS6_EEE10hipError_tPvRmT3_T4_T5_T6_T7_T9_mT8_P12ihipStream_tbDpT10_ENKUlT_T0_E_clISt17integral_constantIbLb1EES1J_EEDaS1E_S1F_EUlS1E_E_NS1_11comp_targetILNS1_3genE8ELNS1_11target_archE1030ELNS1_3gpuE2ELNS1_3repE0EEENS1_30default_config_static_selectorELNS0_4arch9wavefront6targetE1EEEvT1_,comdat
.Lfunc_end3577:
	.size	_ZN7rocprim17ROCPRIM_400000_NS6detail17trampoline_kernelINS0_14default_configENS1_25partition_config_selectorILNS1_17partition_subalgoE2ExNS0_10empty_typeEbEEZZNS1_14partition_implILS5_2ELb0ES3_jN6thrust23THRUST_200600_302600_NS6detail15normal_iteratorINSA_7pointerIxNSA_11hip_rocprim3tagENSA_11use_defaultESG_EEEEPS6_NSA_18transform_iteratorI10is_orderedNSA_12zip_iteratorINSA_5tupleINSC_INSA_10device_ptrIxEEEESQ_NSA_9null_typeESR_SR_SR_SR_SR_SR_SR_EEEESG_SG_EENS0_5tupleIJPxSJ_EEENSV_IJSJ_SJ_EEES6_PlJS6_EEE10hipError_tPvRmT3_T4_T5_T6_T7_T9_mT8_P12ihipStream_tbDpT10_ENKUlT_T0_E_clISt17integral_constantIbLb1EES1J_EEDaS1E_S1F_EUlS1E_E_NS1_11comp_targetILNS1_3genE8ELNS1_11target_archE1030ELNS1_3gpuE2ELNS1_3repE0EEENS1_30default_config_static_selectorELNS0_4arch9wavefront6targetE1EEEvT1_, .Lfunc_end3577-_ZN7rocprim17ROCPRIM_400000_NS6detail17trampoline_kernelINS0_14default_configENS1_25partition_config_selectorILNS1_17partition_subalgoE2ExNS0_10empty_typeEbEEZZNS1_14partition_implILS5_2ELb0ES3_jN6thrust23THRUST_200600_302600_NS6detail15normal_iteratorINSA_7pointerIxNSA_11hip_rocprim3tagENSA_11use_defaultESG_EEEEPS6_NSA_18transform_iteratorI10is_orderedNSA_12zip_iteratorINSA_5tupleINSC_INSA_10device_ptrIxEEEESQ_NSA_9null_typeESR_SR_SR_SR_SR_SR_SR_EEEESG_SG_EENS0_5tupleIJPxSJ_EEENSV_IJSJ_SJ_EEES6_PlJS6_EEE10hipError_tPvRmT3_T4_T5_T6_T7_T9_mT8_P12ihipStream_tbDpT10_ENKUlT_T0_E_clISt17integral_constantIbLb1EES1J_EEDaS1E_S1F_EUlS1E_E_NS1_11comp_targetILNS1_3genE8ELNS1_11target_archE1030ELNS1_3gpuE2ELNS1_3repE0EEENS1_30default_config_static_selectorELNS0_4arch9wavefront6targetE1EEEvT1_
                                        ; -- End function
	.section	.AMDGPU.csdata,"",@progbits
; Kernel info:
; codeLenInByte = 0
; NumSgprs: 6
; NumVgprs: 0
; NumAgprs: 0
; TotalNumVgprs: 0
; ScratchSize: 0
; MemoryBound: 0
; FloatMode: 240
; IeeeMode: 1
; LDSByteSize: 0 bytes/workgroup (compile time only)
; SGPRBlocks: 0
; VGPRBlocks: 0
; NumSGPRsForWavesPerEU: 6
; NumVGPRsForWavesPerEU: 1
; AccumOffset: 4
; Occupancy: 8
; WaveLimiterHint : 0
; COMPUTE_PGM_RSRC2:SCRATCH_EN: 0
; COMPUTE_PGM_RSRC2:USER_SGPR: 2
; COMPUTE_PGM_RSRC2:TRAP_HANDLER: 0
; COMPUTE_PGM_RSRC2:TGID_X_EN: 1
; COMPUTE_PGM_RSRC2:TGID_Y_EN: 0
; COMPUTE_PGM_RSRC2:TGID_Z_EN: 0
; COMPUTE_PGM_RSRC2:TIDIG_COMP_CNT: 0
; COMPUTE_PGM_RSRC3_GFX90A:ACCUM_OFFSET: 0
; COMPUTE_PGM_RSRC3_GFX90A:TG_SPLIT: 0
	.section	.text._ZN7rocprim17ROCPRIM_400000_NS6detail17trampoline_kernelINS0_14default_configENS1_25partition_config_selectorILNS1_17partition_subalgoE2ExNS0_10empty_typeEbEEZZNS1_14partition_implILS5_2ELb0ES3_jN6thrust23THRUST_200600_302600_NS6detail15normal_iteratorINSA_7pointerIxNSA_11hip_rocprim3tagENSA_11use_defaultESG_EEEEPS6_NSA_18transform_iteratorI10is_orderedNSA_12zip_iteratorINSA_5tupleINSC_INSA_10device_ptrIxEEEESQ_NSA_9null_typeESR_SR_SR_SR_SR_SR_SR_EEEESG_SG_EENS0_5tupleIJPxSJ_EEENSV_IJSJ_SJ_EEES6_PlJS6_EEE10hipError_tPvRmT3_T4_T5_T6_T7_T9_mT8_P12ihipStream_tbDpT10_ENKUlT_T0_E_clISt17integral_constantIbLb1EES1I_IbLb0EEEEDaS1E_S1F_EUlS1E_E_NS1_11comp_targetILNS1_3genE0ELNS1_11target_archE4294967295ELNS1_3gpuE0ELNS1_3repE0EEENS1_30default_config_static_selectorELNS0_4arch9wavefront6targetE1EEEvT1_,"axG",@progbits,_ZN7rocprim17ROCPRIM_400000_NS6detail17trampoline_kernelINS0_14default_configENS1_25partition_config_selectorILNS1_17partition_subalgoE2ExNS0_10empty_typeEbEEZZNS1_14partition_implILS5_2ELb0ES3_jN6thrust23THRUST_200600_302600_NS6detail15normal_iteratorINSA_7pointerIxNSA_11hip_rocprim3tagENSA_11use_defaultESG_EEEEPS6_NSA_18transform_iteratorI10is_orderedNSA_12zip_iteratorINSA_5tupleINSC_INSA_10device_ptrIxEEEESQ_NSA_9null_typeESR_SR_SR_SR_SR_SR_SR_EEEESG_SG_EENS0_5tupleIJPxSJ_EEENSV_IJSJ_SJ_EEES6_PlJS6_EEE10hipError_tPvRmT3_T4_T5_T6_T7_T9_mT8_P12ihipStream_tbDpT10_ENKUlT_T0_E_clISt17integral_constantIbLb1EES1I_IbLb0EEEEDaS1E_S1F_EUlS1E_E_NS1_11comp_targetILNS1_3genE0ELNS1_11target_archE4294967295ELNS1_3gpuE0ELNS1_3repE0EEENS1_30default_config_static_selectorELNS0_4arch9wavefront6targetE1EEEvT1_,comdat
	.protected	_ZN7rocprim17ROCPRIM_400000_NS6detail17trampoline_kernelINS0_14default_configENS1_25partition_config_selectorILNS1_17partition_subalgoE2ExNS0_10empty_typeEbEEZZNS1_14partition_implILS5_2ELb0ES3_jN6thrust23THRUST_200600_302600_NS6detail15normal_iteratorINSA_7pointerIxNSA_11hip_rocprim3tagENSA_11use_defaultESG_EEEEPS6_NSA_18transform_iteratorI10is_orderedNSA_12zip_iteratorINSA_5tupleINSC_INSA_10device_ptrIxEEEESQ_NSA_9null_typeESR_SR_SR_SR_SR_SR_SR_EEEESG_SG_EENS0_5tupleIJPxSJ_EEENSV_IJSJ_SJ_EEES6_PlJS6_EEE10hipError_tPvRmT3_T4_T5_T6_T7_T9_mT8_P12ihipStream_tbDpT10_ENKUlT_T0_E_clISt17integral_constantIbLb1EES1I_IbLb0EEEEDaS1E_S1F_EUlS1E_E_NS1_11comp_targetILNS1_3genE0ELNS1_11target_archE4294967295ELNS1_3gpuE0ELNS1_3repE0EEENS1_30default_config_static_selectorELNS0_4arch9wavefront6targetE1EEEvT1_ ; -- Begin function _ZN7rocprim17ROCPRIM_400000_NS6detail17trampoline_kernelINS0_14default_configENS1_25partition_config_selectorILNS1_17partition_subalgoE2ExNS0_10empty_typeEbEEZZNS1_14partition_implILS5_2ELb0ES3_jN6thrust23THRUST_200600_302600_NS6detail15normal_iteratorINSA_7pointerIxNSA_11hip_rocprim3tagENSA_11use_defaultESG_EEEEPS6_NSA_18transform_iteratorI10is_orderedNSA_12zip_iteratorINSA_5tupleINSC_INSA_10device_ptrIxEEEESQ_NSA_9null_typeESR_SR_SR_SR_SR_SR_SR_EEEESG_SG_EENS0_5tupleIJPxSJ_EEENSV_IJSJ_SJ_EEES6_PlJS6_EEE10hipError_tPvRmT3_T4_T5_T6_T7_T9_mT8_P12ihipStream_tbDpT10_ENKUlT_T0_E_clISt17integral_constantIbLb1EES1I_IbLb0EEEEDaS1E_S1F_EUlS1E_E_NS1_11comp_targetILNS1_3genE0ELNS1_11target_archE4294967295ELNS1_3gpuE0ELNS1_3repE0EEENS1_30default_config_static_selectorELNS0_4arch9wavefront6targetE1EEEvT1_
	.globl	_ZN7rocprim17ROCPRIM_400000_NS6detail17trampoline_kernelINS0_14default_configENS1_25partition_config_selectorILNS1_17partition_subalgoE2ExNS0_10empty_typeEbEEZZNS1_14partition_implILS5_2ELb0ES3_jN6thrust23THRUST_200600_302600_NS6detail15normal_iteratorINSA_7pointerIxNSA_11hip_rocprim3tagENSA_11use_defaultESG_EEEEPS6_NSA_18transform_iteratorI10is_orderedNSA_12zip_iteratorINSA_5tupleINSC_INSA_10device_ptrIxEEEESQ_NSA_9null_typeESR_SR_SR_SR_SR_SR_SR_EEEESG_SG_EENS0_5tupleIJPxSJ_EEENSV_IJSJ_SJ_EEES6_PlJS6_EEE10hipError_tPvRmT3_T4_T5_T6_T7_T9_mT8_P12ihipStream_tbDpT10_ENKUlT_T0_E_clISt17integral_constantIbLb1EES1I_IbLb0EEEEDaS1E_S1F_EUlS1E_E_NS1_11comp_targetILNS1_3genE0ELNS1_11target_archE4294967295ELNS1_3gpuE0ELNS1_3repE0EEENS1_30default_config_static_selectorELNS0_4arch9wavefront6targetE1EEEvT1_
	.p2align	8
	.type	_ZN7rocprim17ROCPRIM_400000_NS6detail17trampoline_kernelINS0_14default_configENS1_25partition_config_selectorILNS1_17partition_subalgoE2ExNS0_10empty_typeEbEEZZNS1_14partition_implILS5_2ELb0ES3_jN6thrust23THRUST_200600_302600_NS6detail15normal_iteratorINSA_7pointerIxNSA_11hip_rocprim3tagENSA_11use_defaultESG_EEEEPS6_NSA_18transform_iteratorI10is_orderedNSA_12zip_iteratorINSA_5tupleINSC_INSA_10device_ptrIxEEEESQ_NSA_9null_typeESR_SR_SR_SR_SR_SR_SR_EEEESG_SG_EENS0_5tupleIJPxSJ_EEENSV_IJSJ_SJ_EEES6_PlJS6_EEE10hipError_tPvRmT3_T4_T5_T6_T7_T9_mT8_P12ihipStream_tbDpT10_ENKUlT_T0_E_clISt17integral_constantIbLb1EES1I_IbLb0EEEEDaS1E_S1F_EUlS1E_E_NS1_11comp_targetILNS1_3genE0ELNS1_11target_archE4294967295ELNS1_3gpuE0ELNS1_3repE0EEENS1_30default_config_static_selectorELNS0_4arch9wavefront6targetE1EEEvT1_,@function
_ZN7rocprim17ROCPRIM_400000_NS6detail17trampoline_kernelINS0_14default_configENS1_25partition_config_selectorILNS1_17partition_subalgoE2ExNS0_10empty_typeEbEEZZNS1_14partition_implILS5_2ELb0ES3_jN6thrust23THRUST_200600_302600_NS6detail15normal_iteratorINSA_7pointerIxNSA_11hip_rocprim3tagENSA_11use_defaultESG_EEEEPS6_NSA_18transform_iteratorI10is_orderedNSA_12zip_iteratorINSA_5tupleINSC_INSA_10device_ptrIxEEEESQ_NSA_9null_typeESR_SR_SR_SR_SR_SR_SR_EEEESG_SG_EENS0_5tupleIJPxSJ_EEENSV_IJSJ_SJ_EEES6_PlJS6_EEE10hipError_tPvRmT3_T4_T5_T6_T7_T9_mT8_P12ihipStream_tbDpT10_ENKUlT_T0_E_clISt17integral_constantIbLb1EES1I_IbLb0EEEEDaS1E_S1F_EUlS1E_E_NS1_11comp_targetILNS1_3genE0ELNS1_11target_archE4294967295ELNS1_3gpuE0ELNS1_3repE0EEENS1_30default_config_static_selectorELNS0_4arch9wavefront6targetE1EEEvT1_: ; @_ZN7rocprim17ROCPRIM_400000_NS6detail17trampoline_kernelINS0_14default_configENS1_25partition_config_selectorILNS1_17partition_subalgoE2ExNS0_10empty_typeEbEEZZNS1_14partition_implILS5_2ELb0ES3_jN6thrust23THRUST_200600_302600_NS6detail15normal_iteratorINSA_7pointerIxNSA_11hip_rocprim3tagENSA_11use_defaultESG_EEEEPS6_NSA_18transform_iteratorI10is_orderedNSA_12zip_iteratorINSA_5tupleINSC_INSA_10device_ptrIxEEEESQ_NSA_9null_typeESR_SR_SR_SR_SR_SR_SR_EEEESG_SG_EENS0_5tupleIJPxSJ_EEENSV_IJSJ_SJ_EEES6_PlJS6_EEE10hipError_tPvRmT3_T4_T5_T6_T7_T9_mT8_P12ihipStream_tbDpT10_ENKUlT_T0_E_clISt17integral_constantIbLb1EES1I_IbLb0EEEEDaS1E_S1F_EUlS1E_E_NS1_11comp_targetILNS1_3genE0ELNS1_11target_archE4294967295ELNS1_3gpuE0ELNS1_3repE0EEENS1_30default_config_static_selectorELNS0_4arch9wavefront6targetE1EEEvT1_
; %bb.0:
	.section	.rodata,"a",@progbits
	.p2align	6, 0x0
	.amdhsa_kernel _ZN7rocprim17ROCPRIM_400000_NS6detail17trampoline_kernelINS0_14default_configENS1_25partition_config_selectorILNS1_17partition_subalgoE2ExNS0_10empty_typeEbEEZZNS1_14partition_implILS5_2ELb0ES3_jN6thrust23THRUST_200600_302600_NS6detail15normal_iteratorINSA_7pointerIxNSA_11hip_rocprim3tagENSA_11use_defaultESG_EEEEPS6_NSA_18transform_iteratorI10is_orderedNSA_12zip_iteratorINSA_5tupleINSC_INSA_10device_ptrIxEEEESQ_NSA_9null_typeESR_SR_SR_SR_SR_SR_SR_EEEESG_SG_EENS0_5tupleIJPxSJ_EEENSV_IJSJ_SJ_EEES6_PlJS6_EEE10hipError_tPvRmT3_T4_T5_T6_T7_T9_mT8_P12ihipStream_tbDpT10_ENKUlT_T0_E_clISt17integral_constantIbLb1EES1I_IbLb0EEEEDaS1E_S1F_EUlS1E_E_NS1_11comp_targetILNS1_3genE0ELNS1_11target_archE4294967295ELNS1_3gpuE0ELNS1_3repE0EEENS1_30default_config_static_selectorELNS0_4arch9wavefront6targetE1EEEvT1_
		.amdhsa_group_segment_fixed_size 0
		.amdhsa_private_segment_fixed_size 0
		.amdhsa_kernarg_size 136
		.amdhsa_user_sgpr_count 2
		.amdhsa_user_sgpr_dispatch_ptr 0
		.amdhsa_user_sgpr_queue_ptr 0
		.amdhsa_user_sgpr_kernarg_segment_ptr 1
		.amdhsa_user_sgpr_dispatch_id 0
		.amdhsa_user_sgpr_kernarg_preload_length 0
		.amdhsa_user_sgpr_kernarg_preload_offset 0
		.amdhsa_user_sgpr_private_segment_size 0
		.amdhsa_uses_dynamic_stack 0
		.amdhsa_enable_private_segment 0
		.amdhsa_system_sgpr_workgroup_id_x 1
		.amdhsa_system_sgpr_workgroup_id_y 0
		.amdhsa_system_sgpr_workgroup_id_z 0
		.amdhsa_system_sgpr_workgroup_info 0
		.amdhsa_system_vgpr_workitem_id 0
		.amdhsa_next_free_vgpr 1
		.amdhsa_next_free_sgpr 0
		.amdhsa_accum_offset 4
		.amdhsa_reserve_vcc 0
		.amdhsa_float_round_mode_32 0
		.amdhsa_float_round_mode_16_64 0
		.amdhsa_float_denorm_mode_32 3
		.amdhsa_float_denorm_mode_16_64 3
		.amdhsa_dx10_clamp 1
		.amdhsa_ieee_mode 1
		.amdhsa_fp16_overflow 0
		.amdhsa_tg_split 0
		.amdhsa_exception_fp_ieee_invalid_op 0
		.amdhsa_exception_fp_denorm_src 0
		.amdhsa_exception_fp_ieee_div_zero 0
		.amdhsa_exception_fp_ieee_overflow 0
		.amdhsa_exception_fp_ieee_underflow 0
		.amdhsa_exception_fp_ieee_inexact 0
		.amdhsa_exception_int_div_zero 0
	.end_amdhsa_kernel
	.section	.text._ZN7rocprim17ROCPRIM_400000_NS6detail17trampoline_kernelINS0_14default_configENS1_25partition_config_selectorILNS1_17partition_subalgoE2ExNS0_10empty_typeEbEEZZNS1_14partition_implILS5_2ELb0ES3_jN6thrust23THRUST_200600_302600_NS6detail15normal_iteratorINSA_7pointerIxNSA_11hip_rocprim3tagENSA_11use_defaultESG_EEEEPS6_NSA_18transform_iteratorI10is_orderedNSA_12zip_iteratorINSA_5tupleINSC_INSA_10device_ptrIxEEEESQ_NSA_9null_typeESR_SR_SR_SR_SR_SR_SR_EEEESG_SG_EENS0_5tupleIJPxSJ_EEENSV_IJSJ_SJ_EEES6_PlJS6_EEE10hipError_tPvRmT3_T4_T5_T6_T7_T9_mT8_P12ihipStream_tbDpT10_ENKUlT_T0_E_clISt17integral_constantIbLb1EES1I_IbLb0EEEEDaS1E_S1F_EUlS1E_E_NS1_11comp_targetILNS1_3genE0ELNS1_11target_archE4294967295ELNS1_3gpuE0ELNS1_3repE0EEENS1_30default_config_static_selectorELNS0_4arch9wavefront6targetE1EEEvT1_,"axG",@progbits,_ZN7rocprim17ROCPRIM_400000_NS6detail17trampoline_kernelINS0_14default_configENS1_25partition_config_selectorILNS1_17partition_subalgoE2ExNS0_10empty_typeEbEEZZNS1_14partition_implILS5_2ELb0ES3_jN6thrust23THRUST_200600_302600_NS6detail15normal_iteratorINSA_7pointerIxNSA_11hip_rocprim3tagENSA_11use_defaultESG_EEEEPS6_NSA_18transform_iteratorI10is_orderedNSA_12zip_iteratorINSA_5tupleINSC_INSA_10device_ptrIxEEEESQ_NSA_9null_typeESR_SR_SR_SR_SR_SR_SR_EEEESG_SG_EENS0_5tupleIJPxSJ_EEENSV_IJSJ_SJ_EEES6_PlJS6_EEE10hipError_tPvRmT3_T4_T5_T6_T7_T9_mT8_P12ihipStream_tbDpT10_ENKUlT_T0_E_clISt17integral_constantIbLb1EES1I_IbLb0EEEEDaS1E_S1F_EUlS1E_E_NS1_11comp_targetILNS1_3genE0ELNS1_11target_archE4294967295ELNS1_3gpuE0ELNS1_3repE0EEENS1_30default_config_static_selectorELNS0_4arch9wavefront6targetE1EEEvT1_,comdat
.Lfunc_end3578:
	.size	_ZN7rocprim17ROCPRIM_400000_NS6detail17trampoline_kernelINS0_14default_configENS1_25partition_config_selectorILNS1_17partition_subalgoE2ExNS0_10empty_typeEbEEZZNS1_14partition_implILS5_2ELb0ES3_jN6thrust23THRUST_200600_302600_NS6detail15normal_iteratorINSA_7pointerIxNSA_11hip_rocprim3tagENSA_11use_defaultESG_EEEEPS6_NSA_18transform_iteratorI10is_orderedNSA_12zip_iteratorINSA_5tupleINSC_INSA_10device_ptrIxEEEESQ_NSA_9null_typeESR_SR_SR_SR_SR_SR_SR_EEEESG_SG_EENS0_5tupleIJPxSJ_EEENSV_IJSJ_SJ_EEES6_PlJS6_EEE10hipError_tPvRmT3_T4_T5_T6_T7_T9_mT8_P12ihipStream_tbDpT10_ENKUlT_T0_E_clISt17integral_constantIbLb1EES1I_IbLb0EEEEDaS1E_S1F_EUlS1E_E_NS1_11comp_targetILNS1_3genE0ELNS1_11target_archE4294967295ELNS1_3gpuE0ELNS1_3repE0EEENS1_30default_config_static_selectorELNS0_4arch9wavefront6targetE1EEEvT1_, .Lfunc_end3578-_ZN7rocprim17ROCPRIM_400000_NS6detail17trampoline_kernelINS0_14default_configENS1_25partition_config_selectorILNS1_17partition_subalgoE2ExNS0_10empty_typeEbEEZZNS1_14partition_implILS5_2ELb0ES3_jN6thrust23THRUST_200600_302600_NS6detail15normal_iteratorINSA_7pointerIxNSA_11hip_rocprim3tagENSA_11use_defaultESG_EEEEPS6_NSA_18transform_iteratorI10is_orderedNSA_12zip_iteratorINSA_5tupleINSC_INSA_10device_ptrIxEEEESQ_NSA_9null_typeESR_SR_SR_SR_SR_SR_SR_EEEESG_SG_EENS0_5tupleIJPxSJ_EEENSV_IJSJ_SJ_EEES6_PlJS6_EEE10hipError_tPvRmT3_T4_T5_T6_T7_T9_mT8_P12ihipStream_tbDpT10_ENKUlT_T0_E_clISt17integral_constantIbLb1EES1I_IbLb0EEEEDaS1E_S1F_EUlS1E_E_NS1_11comp_targetILNS1_3genE0ELNS1_11target_archE4294967295ELNS1_3gpuE0ELNS1_3repE0EEENS1_30default_config_static_selectorELNS0_4arch9wavefront6targetE1EEEvT1_
                                        ; -- End function
	.section	.AMDGPU.csdata,"",@progbits
; Kernel info:
; codeLenInByte = 0
; NumSgprs: 6
; NumVgprs: 0
; NumAgprs: 0
; TotalNumVgprs: 0
; ScratchSize: 0
; MemoryBound: 0
; FloatMode: 240
; IeeeMode: 1
; LDSByteSize: 0 bytes/workgroup (compile time only)
; SGPRBlocks: 0
; VGPRBlocks: 0
; NumSGPRsForWavesPerEU: 6
; NumVGPRsForWavesPerEU: 1
; AccumOffset: 4
; Occupancy: 8
; WaveLimiterHint : 0
; COMPUTE_PGM_RSRC2:SCRATCH_EN: 0
; COMPUTE_PGM_RSRC2:USER_SGPR: 2
; COMPUTE_PGM_RSRC2:TRAP_HANDLER: 0
; COMPUTE_PGM_RSRC2:TGID_X_EN: 1
; COMPUTE_PGM_RSRC2:TGID_Y_EN: 0
; COMPUTE_PGM_RSRC2:TGID_Z_EN: 0
; COMPUTE_PGM_RSRC2:TIDIG_COMP_CNT: 0
; COMPUTE_PGM_RSRC3_GFX90A:ACCUM_OFFSET: 0
; COMPUTE_PGM_RSRC3_GFX90A:TG_SPLIT: 0
	.section	.text._ZN7rocprim17ROCPRIM_400000_NS6detail17trampoline_kernelINS0_14default_configENS1_25partition_config_selectorILNS1_17partition_subalgoE2ExNS0_10empty_typeEbEEZZNS1_14partition_implILS5_2ELb0ES3_jN6thrust23THRUST_200600_302600_NS6detail15normal_iteratorINSA_7pointerIxNSA_11hip_rocprim3tagENSA_11use_defaultESG_EEEEPS6_NSA_18transform_iteratorI10is_orderedNSA_12zip_iteratorINSA_5tupleINSC_INSA_10device_ptrIxEEEESQ_NSA_9null_typeESR_SR_SR_SR_SR_SR_SR_EEEESG_SG_EENS0_5tupleIJPxSJ_EEENSV_IJSJ_SJ_EEES6_PlJS6_EEE10hipError_tPvRmT3_T4_T5_T6_T7_T9_mT8_P12ihipStream_tbDpT10_ENKUlT_T0_E_clISt17integral_constantIbLb1EES1I_IbLb0EEEEDaS1E_S1F_EUlS1E_E_NS1_11comp_targetILNS1_3genE5ELNS1_11target_archE942ELNS1_3gpuE9ELNS1_3repE0EEENS1_30default_config_static_selectorELNS0_4arch9wavefront6targetE1EEEvT1_,"axG",@progbits,_ZN7rocprim17ROCPRIM_400000_NS6detail17trampoline_kernelINS0_14default_configENS1_25partition_config_selectorILNS1_17partition_subalgoE2ExNS0_10empty_typeEbEEZZNS1_14partition_implILS5_2ELb0ES3_jN6thrust23THRUST_200600_302600_NS6detail15normal_iteratorINSA_7pointerIxNSA_11hip_rocprim3tagENSA_11use_defaultESG_EEEEPS6_NSA_18transform_iteratorI10is_orderedNSA_12zip_iteratorINSA_5tupleINSC_INSA_10device_ptrIxEEEESQ_NSA_9null_typeESR_SR_SR_SR_SR_SR_SR_EEEESG_SG_EENS0_5tupleIJPxSJ_EEENSV_IJSJ_SJ_EEES6_PlJS6_EEE10hipError_tPvRmT3_T4_T5_T6_T7_T9_mT8_P12ihipStream_tbDpT10_ENKUlT_T0_E_clISt17integral_constantIbLb1EES1I_IbLb0EEEEDaS1E_S1F_EUlS1E_E_NS1_11comp_targetILNS1_3genE5ELNS1_11target_archE942ELNS1_3gpuE9ELNS1_3repE0EEENS1_30default_config_static_selectorELNS0_4arch9wavefront6targetE1EEEvT1_,comdat
	.protected	_ZN7rocprim17ROCPRIM_400000_NS6detail17trampoline_kernelINS0_14default_configENS1_25partition_config_selectorILNS1_17partition_subalgoE2ExNS0_10empty_typeEbEEZZNS1_14partition_implILS5_2ELb0ES3_jN6thrust23THRUST_200600_302600_NS6detail15normal_iteratorINSA_7pointerIxNSA_11hip_rocprim3tagENSA_11use_defaultESG_EEEEPS6_NSA_18transform_iteratorI10is_orderedNSA_12zip_iteratorINSA_5tupleINSC_INSA_10device_ptrIxEEEESQ_NSA_9null_typeESR_SR_SR_SR_SR_SR_SR_EEEESG_SG_EENS0_5tupleIJPxSJ_EEENSV_IJSJ_SJ_EEES6_PlJS6_EEE10hipError_tPvRmT3_T4_T5_T6_T7_T9_mT8_P12ihipStream_tbDpT10_ENKUlT_T0_E_clISt17integral_constantIbLb1EES1I_IbLb0EEEEDaS1E_S1F_EUlS1E_E_NS1_11comp_targetILNS1_3genE5ELNS1_11target_archE942ELNS1_3gpuE9ELNS1_3repE0EEENS1_30default_config_static_selectorELNS0_4arch9wavefront6targetE1EEEvT1_ ; -- Begin function _ZN7rocprim17ROCPRIM_400000_NS6detail17trampoline_kernelINS0_14default_configENS1_25partition_config_selectorILNS1_17partition_subalgoE2ExNS0_10empty_typeEbEEZZNS1_14partition_implILS5_2ELb0ES3_jN6thrust23THRUST_200600_302600_NS6detail15normal_iteratorINSA_7pointerIxNSA_11hip_rocprim3tagENSA_11use_defaultESG_EEEEPS6_NSA_18transform_iteratorI10is_orderedNSA_12zip_iteratorINSA_5tupleINSC_INSA_10device_ptrIxEEEESQ_NSA_9null_typeESR_SR_SR_SR_SR_SR_SR_EEEESG_SG_EENS0_5tupleIJPxSJ_EEENSV_IJSJ_SJ_EEES6_PlJS6_EEE10hipError_tPvRmT3_T4_T5_T6_T7_T9_mT8_P12ihipStream_tbDpT10_ENKUlT_T0_E_clISt17integral_constantIbLb1EES1I_IbLb0EEEEDaS1E_S1F_EUlS1E_E_NS1_11comp_targetILNS1_3genE5ELNS1_11target_archE942ELNS1_3gpuE9ELNS1_3repE0EEENS1_30default_config_static_selectorELNS0_4arch9wavefront6targetE1EEEvT1_
	.globl	_ZN7rocprim17ROCPRIM_400000_NS6detail17trampoline_kernelINS0_14default_configENS1_25partition_config_selectorILNS1_17partition_subalgoE2ExNS0_10empty_typeEbEEZZNS1_14partition_implILS5_2ELb0ES3_jN6thrust23THRUST_200600_302600_NS6detail15normal_iteratorINSA_7pointerIxNSA_11hip_rocprim3tagENSA_11use_defaultESG_EEEEPS6_NSA_18transform_iteratorI10is_orderedNSA_12zip_iteratorINSA_5tupleINSC_INSA_10device_ptrIxEEEESQ_NSA_9null_typeESR_SR_SR_SR_SR_SR_SR_EEEESG_SG_EENS0_5tupleIJPxSJ_EEENSV_IJSJ_SJ_EEES6_PlJS6_EEE10hipError_tPvRmT3_T4_T5_T6_T7_T9_mT8_P12ihipStream_tbDpT10_ENKUlT_T0_E_clISt17integral_constantIbLb1EES1I_IbLb0EEEEDaS1E_S1F_EUlS1E_E_NS1_11comp_targetILNS1_3genE5ELNS1_11target_archE942ELNS1_3gpuE9ELNS1_3repE0EEENS1_30default_config_static_selectorELNS0_4arch9wavefront6targetE1EEEvT1_
	.p2align	8
	.type	_ZN7rocprim17ROCPRIM_400000_NS6detail17trampoline_kernelINS0_14default_configENS1_25partition_config_selectorILNS1_17partition_subalgoE2ExNS0_10empty_typeEbEEZZNS1_14partition_implILS5_2ELb0ES3_jN6thrust23THRUST_200600_302600_NS6detail15normal_iteratorINSA_7pointerIxNSA_11hip_rocprim3tagENSA_11use_defaultESG_EEEEPS6_NSA_18transform_iteratorI10is_orderedNSA_12zip_iteratorINSA_5tupleINSC_INSA_10device_ptrIxEEEESQ_NSA_9null_typeESR_SR_SR_SR_SR_SR_SR_EEEESG_SG_EENS0_5tupleIJPxSJ_EEENSV_IJSJ_SJ_EEES6_PlJS6_EEE10hipError_tPvRmT3_T4_T5_T6_T7_T9_mT8_P12ihipStream_tbDpT10_ENKUlT_T0_E_clISt17integral_constantIbLb1EES1I_IbLb0EEEEDaS1E_S1F_EUlS1E_E_NS1_11comp_targetILNS1_3genE5ELNS1_11target_archE942ELNS1_3gpuE9ELNS1_3repE0EEENS1_30default_config_static_selectorELNS0_4arch9wavefront6targetE1EEEvT1_,@function
_ZN7rocprim17ROCPRIM_400000_NS6detail17trampoline_kernelINS0_14default_configENS1_25partition_config_selectorILNS1_17partition_subalgoE2ExNS0_10empty_typeEbEEZZNS1_14partition_implILS5_2ELb0ES3_jN6thrust23THRUST_200600_302600_NS6detail15normal_iteratorINSA_7pointerIxNSA_11hip_rocprim3tagENSA_11use_defaultESG_EEEEPS6_NSA_18transform_iteratorI10is_orderedNSA_12zip_iteratorINSA_5tupleINSC_INSA_10device_ptrIxEEEESQ_NSA_9null_typeESR_SR_SR_SR_SR_SR_SR_EEEESG_SG_EENS0_5tupleIJPxSJ_EEENSV_IJSJ_SJ_EEES6_PlJS6_EEE10hipError_tPvRmT3_T4_T5_T6_T7_T9_mT8_P12ihipStream_tbDpT10_ENKUlT_T0_E_clISt17integral_constantIbLb1EES1I_IbLb0EEEEDaS1E_S1F_EUlS1E_E_NS1_11comp_targetILNS1_3genE5ELNS1_11target_archE942ELNS1_3gpuE9ELNS1_3repE0EEENS1_30default_config_static_selectorELNS0_4arch9wavefront6targetE1EEEvT1_: ; @_ZN7rocprim17ROCPRIM_400000_NS6detail17trampoline_kernelINS0_14default_configENS1_25partition_config_selectorILNS1_17partition_subalgoE2ExNS0_10empty_typeEbEEZZNS1_14partition_implILS5_2ELb0ES3_jN6thrust23THRUST_200600_302600_NS6detail15normal_iteratorINSA_7pointerIxNSA_11hip_rocprim3tagENSA_11use_defaultESG_EEEEPS6_NSA_18transform_iteratorI10is_orderedNSA_12zip_iteratorINSA_5tupleINSC_INSA_10device_ptrIxEEEESQ_NSA_9null_typeESR_SR_SR_SR_SR_SR_SR_EEEESG_SG_EENS0_5tupleIJPxSJ_EEENSV_IJSJ_SJ_EEES6_PlJS6_EEE10hipError_tPvRmT3_T4_T5_T6_T7_T9_mT8_P12ihipStream_tbDpT10_ENKUlT_T0_E_clISt17integral_constantIbLb1EES1I_IbLb0EEEEDaS1E_S1F_EUlS1E_E_NS1_11comp_targetILNS1_3genE5ELNS1_11target_archE942ELNS1_3gpuE9ELNS1_3repE0EEENS1_30default_config_static_selectorELNS0_4arch9wavefront6targetE1EEEvT1_
; %bb.0:
	s_load_dwordx4 s[24:27], s[0:1], 0x8
	s_load_dwordx4 s[20:23], s[0:1], 0x58
	s_load_dwordx2 s[28:29], s[0:1], 0x68
	s_load_dword s3, s[0:1], 0x80
	v_lshlrev_b32_e32 v18, 3, v0
	s_waitcnt lgkmcnt(0)
	s_lshl_b64 s[6:7], s[26:27], 3
	s_add_u32 s8, s24, s6
	s_addc_u32 s9, s25, s7
	s_add_i32 s10, s3, -1
	s_mulk_i32 s3, 0xe00
	s_add_i32 s4, s3, s26
	s_sub_i32 s33, s28, s4
	s_addk_i32 s33, 0xe00
	s_add_u32 s4, s26, s3
	s_addc_u32 s5, s27, 0
	s_cmp_eq_u32 s2, s10
	s_load_dwordx2 s[30:31], s[22:23], 0x0
	v_mov_b64_e32 v[2:3], s[28:29]
	s_cselect_b64 s[22:23], -1, 0
	s_cmp_lg_u32 s2, s10
	s_mul_i32 s24, s2, 0xe00
	s_mov_b32 s25, 0
	v_cmp_lt_u64_e32 vcc, s[4:5], v[2:3]
	s_cselect_b64 s[4:5], -1, 0
	s_or_b64 s[34:35], s[4:5], vcc
	s_lshl_b64 s[12:13], s[24:25], 3
	s_add_u32 s14, s8, s12
	s_addc_u32 s15, s9, s13
	s_mov_b64 s[4:5], -1
	s_and_b64 vcc, exec, s[34:35]
	s_cbranch_vccz .LBB3579_2
; %bb.1:
	v_mov_b32_e32 v19, 0
	v_lshl_add_u64 v[2:3], s[14:15], 0, v[18:19]
	v_add_co_u32_e32 v4, vcc, 0x1000, v2
	s_mov_b64 s[4:5], 0
	s_nop 0
	v_addc_co_u32_e32 v5, vcc, 0, v3, vcc
	v_add_co_u32_e32 v6, vcc, 0x2000, v2
	s_nop 1
	v_addc_co_u32_e32 v7, vcc, 0, v3, vcc
	v_add_co_u32_e32 v8, vcc, 0x3000, v2
	s_nop 1
	v_addc_co_u32_e32 v9, vcc, 0, v3, vcc
	flat_load_dwordx2 v[10:11], v[2:3]
	flat_load_dwordx2 v[12:13], v[4:5]
	;; [unrolled: 1-line block ×4, first 2 shown]
	v_add_co_u32_e32 v4, vcc, 0x4000, v2
	s_nop 1
	v_addc_co_u32_e32 v5, vcc, 0, v3, vcc
	v_add_co_u32_e32 v6, vcc, 0x5000, v2
	s_nop 1
	v_addc_co_u32_e32 v7, vcc, 0, v3, vcc
	;; [unrolled: 3-line block ×3, first 2 shown]
	flat_load_dwordx2 v[8:9], v[4:5]
	flat_load_dwordx2 v[20:21], v[6:7]
	;; [unrolled: 1-line block ×3, first 2 shown]
	s_waitcnt vmcnt(0) lgkmcnt(0)
	ds_write2st64_b64 v18, v[10:11], v[12:13] offset1:8
	ds_write2st64_b64 v18, v[14:15], v[16:17] offset0:16 offset1:24
	ds_write2st64_b64 v18, v[8:9], v[20:21] offset0:32 offset1:40
	ds_write_b64 v18, v[22:23] offset:24576
	s_waitcnt lgkmcnt(0)
	s_barrier
.LBB3579_2:
	s_load_dwordx4 s[8:11], s[0:1], 0x20
	s_andn2_b64 vcc, exec, s[4:5]
	v_cmp_gt_u32_e64 s[4:5], s33, v0
	s_cbranch_vccnz .LBB3579_18
; %bb.3:
                                        ; implicit-def: $vgpr2_vgpr3_vgpr4_vgpr5_vgpr6_vgpr7_vgpr8_vgpr9_vgpr10_vgpr11_vgpr12_vgpr13_vgpr14_vgpr15_vgpr16_vgpr17
	s_and_saveexec_b64 s[16:17], s[4:5]
	s_cbranch_execz .LBB3579_5
; %bb.4:
	v_mov_b32_e32 v19, 0
	v_lshl_add_u64 v[2:3], s[14:15], 0, v[18:19]
	flat_load_dwordx2 v[2:3], v[2:3]
.LBB3579_5:
	s_or_b64 exec, exec, s[16:17]
	v_or_b32_e32 v1, 0x200, v0
	v_cmp_gt_u32_e32 vcc, s33, v1
	s_and_saveexec_b64 s[4:5], vcc
	s_cbranch_execz .LBB3579_7
; %bb.6:
	v_lshlrev_b32_e32 v4, 3, v1
	v_mov_b32_e32 v5, 0
	v_lshl_add_u64 v[4:5], s[14:15], 0, v[4:5]
	flat_load_dwordx2 v[4:5], v[4:5]
.LBB3579_7:
	s_or_b64 exec, exec, s[4:5]
	v_or_b32_e32 v1, 0x400, v0
	v_cmp_gt_u32_e32 vcc, s33, v1
	s_and_saveexec_b64 s[4:5], vcc
	s_cbranch_execz .LBB3579_9
; %bb.8:
	v_lshlrev_b32_e32 v6, 3, v1
	v_mov_b32_e32 v7, 0
	v_lshl_add_u64 v[6:7], s[14:15], 0, v[6:7]
	flat_load_dwordx2 v[6:7], v[6:7]
.LBB3579_9:
	;; [unrolled: 11-line block ×6, first 2 shown]
	s_or_b64 exec, exec, s[4:5]
	s_waitcnt vmcnt(0) lgkmcnt(0)
	ds_write2st64_b64 v18, v[2:3], v[4:5] offset1:8
	ds_write2st64_b64 v18, v[6:7], v[8:9] offset0:16 offset1:24
	ds_write2st64_b64 v18, v[10:11], v[12:13] offset0:32 offset1:40
	ds_write_b64 v18, v[14:15] offset:24576
	s_waitcnt lgkmcnt(0)
	s_barrier
.LBB3579_18:
	v_mul_u32_u24_e32 v1, 7, v0
	s_waitcnt lgkmcnt(0)
	s_add_u32 s3, s8, s6
	v_lshlrev_b32_e32 v16, 3, v1
	s_addc_u32 s5, s9, s7
	ds_read2_b64 v[10:13], v16 offset1:1
	ds_read2_b64 v[6:9], v16 offset0:2 offset1:3
	ds_read2_b64 v[2:5], v16 offset0:4 offset1:5
	ds_read_b64 v[14:15], v16 offset:48
	s_add_u32 s6, s10, s6
	s_addc_u32 s7, s11, s7
	s_add_u32 s4, s3, s12
	s_addc_u32 s5, s5, s13
	;; [unrolled: 2-line block ×3, first 2 shown]
	s_mov_b64 s[8:9], -1
	s_and_b64 vcc, exec, s[34:35]
	s_waitcnt lgkmcnt(0)
	s_barrier
	s_cbranch_vccz .LBB3579_20
; %bb.19:
	v_mov_b32_e32 v19, 0
	v_lshl_add_u64 v[20:21], s[4:5], 0, v[18:19]
	v_add_co_u32_e32 v28, vcc, 0x1000, v20
	v_lshl_add_u64 v[22:23], s[6:7], 0, v[18:19]
	s_nop 0
	v_addc_co_u32_e32 v29, vcc, 0, v21, vcc
	v_add_co_u32_e32 v30, vcc, 0x1000, v22
	global_load_dwordx2 v[24:25], v18, s[4:5]
	global_load_dwordx2 v[26:27], v18, s[6:7]
	v_addc_co_u32_e32 v31, vcc, 0, v23, vcc
	v_add_co_u32_e32 v32, vcc, 0x2000, v20
	global_load_dwordx2 v[28:29], v[28:29], off
	s_nop 0
	v_addc_co_u32_e32 v33, vcc, 0, v21, vcc
	v_add_co_u32_e32 v34, vcc, 0x2000, v22
	global_load_dwordx2 v[30:31], v[30:31], off
	s_nop 0
	;; [unrolled: 4-line block ×10, first 2 shown]
	v_addc_co_u32_e32 v23, vcc, 0, v23, vcc
	global_load_dwordx2 v[20:21], v[20:21], off
	s_mov_b64 s[8:9], 0
	global_load_dwordx2 v[22:23], v[22:23], off
	s_waitcnt vmcnt(12)
	v_cmp_le_i64_e32 vcc, v[24:25], v[26:27]
	s_nop 1
	v_cndmask_b32_e64 v17, 0, 1, vcc
	ds_write_b8 v0, v17
	s_waitcnt vmcnt(10)
	v_cmp_le_i64_e32 vcc, v[28:29], v[30:31]
	s_nop 1
	v_cndmask_b32_e64 v17, 0, 1, vcc
	ds_write_b8 v0, v17 offset:512
	s_waitcnt vmcnt(8)
	v_cmp_le_i64_e32 vcc, v[32:33], v[34:35]
	s_nop 1
	v_cndmask_b32_e64 v17, 0, 1, vcc
	ds_write_b8 v0, v17 offset:1024
	;; [unrolled: 5-line block ×4, first 2 shown]
	s_waitcnt vmcnt(2)
	v_cmp_le_i64_e32 vcc, v[44:45], v[46:47]
	s_nop 1
	v_cndmask_b32_e64 v17, 0, 1, vcc
	s_waitcnt vmcnt(0)
	v_cmp_le_i64_e32 vcc, v[20:21], v[22:23]
	s_nop 1
	v_cndmask_b32_e64 v19, 0, 1, vcc
	ds_write_b8 v0, v17 offset:2560
	ds_write_b8 v0, v19 offset:3072
	s_waitcnt lgkmcnt(0)
	s_barrier
.LBB3579_20:
	s_load_dwordx2 s[36:37], s[0:1], 0x78
	s_andn2_b64 vcc, exec, s[8:9]
	s_cbranch_vccnz .LBB3579_36
; %bb.21:
	v_cmp_gt_u32_e32 vcc, s33, v0
	v_mov_b32_e32 v19, 0
	v_mov_b32_e32 v17, 0
	s_and_saveexec_b64 s[8:9], vcc
	s_cbranch_execz .LBB3579_23
; %bb.22:
	global_load_dwordx2 v[20:21], v18, s[4:5]
	global_load_dwordx2 v[22:23], v18, s[6:7]
	s_waitcnt vmcnt(0)
	v_cmp_le_i64_e32 vcc, v[20:21], v[22:23]
	s_nop 1
	v_cndmask_b32_e64 v17, 0, 1, vcc
.LBB3579_23:
	s_or_b64 exec, exec, s[8:9]
	v_or_b32_e32 v20, 0x200, v0
	v_cmp_gt_u32_e32 vcc, s33, v20
	s_and_saveexec_b64 s[8:9], vcc
	s_cbranch_execz .LBB3579_25
; %bb.24:
	v_lshlrev_b32_e32 v19, 3, v20
	global_load_dwordx2 v[20:21], v19, s[4:5]
	global_load_dwordx2 v[22:23], v19, s[6:7]
	s_waitcnt vmcnt(0)
	v_cmp_le_i64_e32 vcc, v[20:21], v[22:23]
	s_nop 1
	v_cndmask_b32_e64 v19, 0, 1, vcc
.LBB3579_25:
	s_or_b64 exec, exec, s[8:9]
	v_or_b32_e32 v22, 0x400, v0
	v_cmp_gt_u32_e32 vcc, s33, v22
	v_mov_b32_e32 v20, 0
	v_mov_b32_e32 v21, 0
	s_and_saveexec_b64 s[8:9], vcc
	s_cbranch_execz .LBB3579_27
; %bb.26:
	v_lshlrev_b32_e32 v21, 3, v22
	global_load_dwordx2 v[22:23], v21, s[4:5]
	global_load_dwordx2 v[24:25], v21, s[6:7]
	s_waitcnt vmcnt(0)
	v_cmp_le_i64_e32 vcc, v[22:23], v[24:25]
	s_nop 1
	v_cndmask_b32_e64 v21, 0, 1, vcc
.LBB3579_27:
	s_or_b64 exec, exec, s[8:9]
	v_or_b32_e32 v22, 0x600, v0
	v_cmp_gt_u32_e32 vcc, s33, v22
	s_and_saveexec_b64 s[8:9], vcc
	s_cbranch_execz .LBB3579_29
; %bb.28:
	v_lshlrev_b32_e32 v20, 3, v22
	global_load_dwordx2 v[22:23], v20, s[4:5]
	global_load_dwordx2 v[24:25], v20, s[6:7]
	s_waitcnt vmcnt(0)
	v_cmp_le_i64_e32 vcc, v[22:23], v[24:25]
	s_nop 1
	v_cndmask_b32_e64 v20, 0, 1, vcc
.LBB3579_29:
	s_or_b64 exec, exec, s[8:9]
	v_or_b32_e32 v24, 0x800, v0
	v_cmp_gt_u32_e32 vcc, s33, v24
	v_mov_b32_e32 v22, 0
	v_mov_b32_e32 v23, 0
	s_and_saveexec_b64 s[8:9], vcc
	s_cbranch_execz .LBB3579_31
; %bb.30:
	v_lshlrev_b32_e32 v23, 3, v24
	global_load_dwordx2 v[24:25], v23, s[4:5]
	global_load_dwordx2 v[26:27], v23, s[6:7]
	s_waitcnt vmcnt(0)
	v_cmp_le_i64_e32 vcc, v[24:25], v[26:27]
	s_nop 1
	v_cndmask_b32_e64 v23, 0, 1, vcc
.LBB3579_31:
	s_or_b64 exec, exec, s[8:9]
	v_or_b32_e32 v24, 0xa00, v0
	v_cmp_gt_u32_e32 vcc, s33, v24
	s_and_saveexec_b64 s[8:9], vcc
	s_cbranch_execz .LBB3579_33
; %bb.32:
	v_lshlrev_b32_e32 v22, 3, v24
	global_load_dwordx2 v[24:25], v22, s[4:5]
	global_load_dwordx2 v[26:27], v22, s[6:7]
	s_waitcnt vmcnt(0)
	v_cmp_le_i64_e32 vcc, v[24:25], v[26:27]
	s_nop 1
	v_cndmask_b32_e64 v22, 0, 1, vcc
.LBB3579_33:
	s_or_b64 exec, exec, s[8:9]
	v_or_b32_e32 v25, 0xc00, v0
	v_cmp_gt_u32_e32 vcc, s33, v25
	v_mov_b32_e32 v24, 0
	s_and_saveexec_b64 s[8:9], vcc
	s_cbranch_execz .LBB3579_35
; %bb.34:
	v_lshlrev_b32_e32 v28, 3, v25
	global_load_dwordx2 v[24:25], v28, s[4:5]
	global_load_dwordx2 v[26:27], v28, s[6:7]
	s_waitcnt vmcnt(0)
	v_cmp_le_i64_e32 vcc, v[24:25], v[26:27]
	s_nop 1
	v_cndmask_b32_e64 v24, 0, 1, vcc
.LBB3579_35:
	s_or_b64 exec, exec, s[8:9]
	ds_write_b8 v0, v17
	ds_write_b8 v0, v19 offset:512
	ds_write_b8 v0, v21 offset:1024
	;; [unrolled: 1-line block ×6, first 2 shown]
	s_waitcnt lgkmcnt(0)
	s_barrier
.LBB3579_36:
	s_movk_i32 s3, 0xffcf
	v_mad_i32_i24 v35, v0, s3, v16
	s_waitcnt lgkmcnt(0)
	ds_read_u8 v16, v35
	ds_read_u8 v17, v35 offset:1
	ds_read_u8 v19, v35 offset:2
	;; [unrolled: 1-line block ×6, first 2 shown]
	s_waitcnt lgkmcnt(6)
	v_and_b32_e32 v33, 1, v16
	s_waitcnt lgkmcnt(5)
	v_and_b32_e32 v32, 1, v17
	;; [unrolled: 2-line block ×5, first 2 shown]
	v_add3_u32 v16, v32, v33, v31
	s_waitcnt lgkmcnt(1)
	v_and_b32_e32 v28, 1, v22
	s_waitcnt lgkmcnt(0)
	v_and_b32_e32 v19, 1, v23
	v_add3_u32 v16, v16, v30, v29
	v_add3_u32 v37, v16, v28, v19
	v_mbcnt_lo_u32_b32 v16, -1, 0
	v_mbcnt_hi_u32_b32 v34, -1, v16
	v_and_b32_e32 v16, 15, v34
	v_cmp_eq_u32_e64 s[14:15], 0, v16
	v_cmp_lt_u32_e64 s[12:13], 1, v16
	v_cmp_lt_u32_e64 s[10:11], 3, v16
	v_cmp_lt_u32_e64 s[8:9], 7, v16
	v_and_b32_e32 v16, 16, v34
	v_cmp_eq_u32_e64 s[6:7], 0, v16
	v_or_b32_e32 v16, 63, v0
	s_cmp_lg_u32 s2, 0
	v_cmp_lt_u32_e64 s[18:19], 31, v34
	v_lshrrev_b32_e32 v36, 6, v0
	v_cmp_eq_u32_e64 s[4:5], v16, v0
	s_barrier
	s_cbranch_scc0 .LBB3579_67
; %bb.37:
	v_mov_b32_dpp v16, v37 row_shr:1 row_mask:0xf bank_mask:0xf
	v_cndmask_b32_e64 v16, v16, 0, s[14:15]
	v_add_u32_e32 v16, v16, v37
	s_nop 1
	v_mov_b32_dpp v17, v16 row_shr:2 row_mask:0xf bank_mask:0xf
	v_cndmask_b32_e64 v17, 0, v17, s[12:13]
	v_add_u32_e32 v16, v16, v17
	s_nop 1
	;; [unrolled: 4-line block ×4, first 2 shown]
	v_mov_b32_dpp v17, v16 row_bcast:15 row_mask:0xf bank_mask:0xf
	v_cndmask_b32_e64 v17, v17, 0, s[6:7]
	v_add_u32_e32 v16, v16, v17
	s_nop 1
	v_mov_b32_dpp v17, v16 row_bcast:31 row_mask:0xf bank_mask:0xf
	v_cndmask_b32_e64 v17, 0, v17, s[18:19]
	v_add_u32_e32 v16, v16, v17
	s_and_saveexec_b64 s[16:17], s[4:5]
	s_cbranch_execz .LBB3579_39
; %bb.38:
	v_lshlrev_b32_e32 v17, 2, v36
	ds_write_b32 v17, v16
.LBB3579_39:
	s_or_b64 exec, exec, s[16:17]
	v_cmp_gt_u32_e32 vcc, 8, v0
	s_waitcnt lgkmcnt(0)
	s_barrier
	s_and_saveexec_b64 s[16:17], vcc
	s_cbranch_execz .LBB3579_41
; %bb.40:
	v_lshlrev_b32_e32 v17, 2, v0
	ds_read_b32 v20, v17
	v_and_b32_e32 v21, 7, v34
	v_cmp_ne_u32_e32 vcc, 0, v21
	s_waitcnt lgkmcnt(0)
	v_mov_b32_dpp v22, v20 row_shr:1 row_mask:0xf bank_mask:0xf
	v_cndmask_b32_e32 v22, 0, v22, vcc
	v_add_u32_e32 v20, v22, v20
	v_cmp_lt_u32_e32 vcc, 1, v21
	s_nop 0
	v_mov_b32_dpp v22, v20 row_shr:2 row_mask:0xf bank_mask:0xf
	v_cndmask_b32_e32 v22, 0, v22, vcc
	v_add_u32_e32 v20, v20, v22
	v_cmp_lt_u32_e32 vcc, 3, v21
	s_nop 0
	v_mov_b32_dpp v22, v20 row_shr:4 row_mask:0xf bank_mask:0xf
	v_cndmask_b32_e32 v21, 0, v22, vcc
	v_add_u32_e32 v20, v20, v21
	ds_write_b32 v17, v20
.LBB3579_41:
	s_or_b64 exec, exec, s[16:17]
	v_cmp_gt_u32_e32 vcc, 64, v0
	v_cmp_lt_u32_e64 s[16:17], 63, v0
	s_waitcnt lgkmcnt(0)
	s_barrier
	s_waitcnt lgkmcnt(0)
                                        ; implicit-def: $vgpr38
	s_and_saveexec_b64 s[38:39], s[16:17]
	s_cbranch_execz .LBB3579_43
; %bb.42:
	v_lshl_add_u32 v17, v36, 2, -4
	ds_read_b32 v38, v17
	s_waitcnt lgkmcnt(0)
	v_add_u32_e32 v16, v38, v16
.LBB3579_43:
	s_or_b64 exec, exec, s[38:39]
	v_add_u32_e32 v17, -1, v34
	v_and_b32_e32 v20, 64, v34
	v_cmp_lt_i32_e64 s[16:17], v17, v20
	s_nop 1
	v_cndmask_b32_e64 v17, v17, v34, s[16:17]
	v_lshlrev_b32_e32 v17, 2, v17
	ds_bpermute_b32 v39, v17, v16
	v_cmp_eq_u32_e64 s[16:17], 0, v34
	s_and_saveexec_b64 s[38:39], vcc
	s_cbranch_execz .LBB3579_66
; %bb.44:
	v_mov_b32_e32 v27, 0
	ds_read_b32 v16, v27 offset:28
	s_and_saveexec_b64 s[40:41], s[16:17]
	s_cbranch_execz .LBB3579_46
; %bb.45:
	s_add_i32 s42, s2, 64
	s_mov_b32 s43, 0
	s_lshl_b64 s[42:43], s[42:43], 3
	s_add_u32 s42, s36, s42
	v_mov_b32_e32 v17, 1
	s_addc_u32 s43, s37, s43
	s_waitcnt lgkmcnt(0)
	global_store_dwordx2 v27, v[16:17], s[42:43] sc1
.LBB3579_46:
	s_or_b64 exec, exec, s[40:41]
	v_xad_u32 v20, v34, -1, s2
	v_add_u32_e32 v26, 64, v20
	v_lshl_add_u64 v[22:23], v[26:27], 3, s[36:37]
	global_load_dwordx2 v[24:25], v[22:23], off sc1
	s_waitcnt vmcnt(0)
	v_cmp_eq_u16_sdwa s[42:43], v25, v27 src0_sel:BYTE_0 src1_sel:DWORD
	s_and_saveexec_b64 s[40:41], s[42:43]
	s_cbranch_execz .LBB3579_52
; %bb.47:
	s_mov_b32 s3, 1
	s_mov_b64 s[42:43], 0
	v_mov_b32_e32 v17, 0
.LBB3579_48:                            ; =>This Loop Header: Depth=1
                                        ;     Child Loop BB3579_49 Depth 2
	s_max_u32 s25, s3, 1
.LBB3579_49:                            ;   Parent Loop BB3579_48 Depth=1
                                        ; =>  This Inner Loop Header: Depth=2
	s_add_i32 s25, s25, -1
	s_cmp_eq_u32 s25, 0
	s_sleep 1
	s_cbranch_scc0 .LBB3579_49
; %bb.50:                               ;   in Loop: Header=BB3579_48 Depth=1
	global_load_dwordx2 v[24:25], v[22:23], off sc1
	s_cmp_lt_u32 s3, 32
	s_cselect_b64 s[44:45], -1, 0
	s_cmp_lg_u64 s[44:45], 0
	s_addc_u32 s3, s3, 0
	s_waitcnt vmcnt(0)
	v_cmp_ne_u16_sdwa s[44:45], v25, v17 src0_sel:BYTE_0 src1_sel:DWORD
	s_or_b64 s[42:43], s[44:45], s[42:43]
	s_andn2_b64 exec, exec, s[42:43]
	s_cbranch_execnz .LBB3579_48
; %bb.51:
	s_or_b64 exec, exec, s[42:43]
.LBB3579_52:
	s_or_b64 exec, exec, s[40:41]
	v_and_b32_e32 v41, 63, v34
	v_mov_b32_e32 v40, 2
	v_cmp_ne_u32_e32 vcc, 63, v41
	v_cmp_eq_u16_sdwa s[40:41], v25, v40 src0_sel:BYTE_0 src1_sel:DWORD
	v_lshlrev_b64 v[22:23], v34, -1
	v_addc_co_u32_e32 v26, vcc, 0, v34, vcc
	v_and_b32_e32 v17, s41, v23
	v_lshlrev_b32_e32 v42, 2, v26
	v_or_b32_e32 v17, 0x80000000, v17
	ds_bpermute_b32 v26, v42, v24
	v_and_b32_e32 v21, s40, v22
	v_ffbl_b32_e32 v17, v17
	v_add_u32_e32 v17, 32, v17
	v_ffbl_b32_e32 v21, v21
	v_min_u32_e32 v17, v21, v17
	v_cmp_lt_u32_e32 vcc, v41, v17
	v_add_u32_e32 v44, 2, v41
	v_add_u32_e32 v46, 4, v41
	s_waitcnt lgkmcnt(0)
	v_cndmask_b32_e32 v21, 0, v26, vcc
	v_cmp_gt_u32_e32 vcc, 62, v41
	v_add_u32_e32 v21, v21, v24
	v_add_u32_e32 v48, 8, v41
	v_cndmask_b32_e64 v24, 0, 1, vcc
	v_lshlrev_b32_e32 v24, 1, v24
	v_add_lshl_u32 v43, v24, v34, 2
	ds_bpermute_b32 v24, v43, v21
	v_cmp_le_u32_e32 vcc, v44, v17
	v_add_u32_e32 v50, 16, v41
	v_add_u32_e32 v52, 32, v41
	s_waitcnt lgkmcnt(0)
	v_cndmask_b32_e32 v24, 0, v24, vcc
	v_cmp_gt_u32_e32 vcc, 60, v41
	v_add_u32_e32 v21, v21, v24
	s_nop 0
	v_cndmask_b32_e64 v24, 0, 1, vcc
	v_lshlrev_b32_e32 v24, 2, v24
	v_add_lshl_u32 v45, v24, v34, 2
	ds_bpermute_b32 v24, v45, v21
	v_cmp_le_u32_e32 vcc, v46, v17
	s_waitcnt lgkmcnt(0)
	s_nop 0
	v_cndmask_b32_e32 v24, 0, v24, vcc
	v_cmp_gt_u32_e32 vcc, 56, v41
	v_add_u32_e32 v21, v21, v24
	s_nop 0
	v_cndmask_b32_e64 v24, 0, 1, vcc
	v_lshlrev_b32_e32 v24, 3, v24
	v_add_lshl_u32 v47, v24, v34, 2
	ds_bpermute_b32 v24, v47, v21
	v_cmp_le_u32_e32 vcc, v48, v17
	s_waitcnt lgkmcnt(0)
	s_nop 0
	;; [unrolled: 11-line block ×4, first 2 shown]
	v_cndmask_b32_e32 v17, 0, v24, vcc
	v_add_u32_e32 v24, v21, v17
	v_mov_b32_e32 v21, 0
	s_branch .LBB3579_54
.LBB3579_53:                            ;   in Loop: Header=BB3579_54 Depth=1
	s_or_b64 exec, exec, s[40:41]
	v_cmp_eq_u16_sdwa s[40:41], v25, v40 src0_sel:BYTE_0 src1_sel:DWORD
	ds_bpermute_b32 v53, v42, v24
	v_subrev_u32_e32 v20, 64, v20
	v_and_b32_e32 v26, s41, v23
	v_or_b32_e32 v26, 0x80000000, v26
	v_and_b32_e32 v27, s40, v22
	v_ffbl_b32_e32 v26, v26
	v_add_u32_e32 v26, 32, v26
	v_ffbl_b32_e32 v27, v27
	v_min_u32_e32 v26, v27, v26
	v_cmp_lt_u32_e32 vcc, v41, v26
	s_waitcnt lgkmcnt(0)
	s_nop 0
	v_cndmask_b32_e32 v27, 0, v53, vcc
	v_add_u32_e32 v24, v27, v24
	ds_bpermute_b32 v27, v43, v24
	v_cmp_le_u32_e32 vcc, v44, v26
	s_waitcnt lgkmcnt(0)
	s_nop 0
	v_cndmask_b32_e32 v27, 0, v27, vcc
	v_add_u32_e32 v24, v24, v27
	ds_bpermute_b32 v27, v45, v24
	v_cmp_le_u32_e32 vcc, v46, v26
	;; [unrolled: 6-line block ×5, first 2 shown]
	s_waitcnt lgkmcnt(0)
	s_nop 0
	v_cndmask_b32_e32 v26, 0, v27, vcc
	v_add3_u32 v24, v26, v17, v24
.LBB3579_54:                            ; =>This Loop Header: Depth=1
                                        ;     Child Loop BB3579_57 Depth 2
                                        ;       Child Loop BB3579_58 Depth 3
	v_cmp_ne_u16_sdwa s[40:41], v25, v40 src0_sel:BYTE_0 src1_sel:DWORD
	s_nop 1
	v_cndmask_b32_e64 v17, 0, 1, s[40:41]
	;;#ASMSTART
	;;#ASMEND
	s_nop 0
	v_cmp_ne_u32_e32 vcc, 0, v17
	s_cmp_lg_u64 vcc, exec
	v_mov_b32_e32 v17, v24
	s_cbranch_scc1 .LBB3579_61
; %bb.55:                               ;   in Loop: Header=BB3579_54 Depth=1
	v_lshl_add_u64 v[26:27], v[20:21], 3, s[36:37]
	global_load_dwordx2 v[24:25], v[26:27], off sc1
	s_waitcnt vmcnt(0)
	v_cmp_eq_u16_sdwa s[42:43], v25, v21 src0_sel:BYTE_0 src1_sel:DWORD
	s_and_saveexec_b64 s[40:41], s[42:43]
	s_cbranch_execz .LBB3579_53
; %bb.56:                               ;   in Loop: Header=BB3579_54 Depth=1
	s_mov_b32 s3, 1
	s_mov_b64 s[42:43], 0
.LBB3579_57:                            ;   Parent Loop BB3579_54 Depth=1
                                        ; =>  This Loop Header: Depth=2
                                        ;       Child Loop BB3579_58 Depth 3
	s_max_u32 s25, s3, 1
.LBB3579_58:                            ;   Parent Loop BB3579_54 Depth=1
                                        ;     Parent Loop BB3579_57 Depth=2
                                        ; =>    This Inner Loop Header: Depth=3
	s_add_i32 s25, s25, -1
	s_cmp_eq_u32 s25, 0
	s_sleep 1
	s_cbranch_scc0 .LBB3579_58
; %bb.59:                               ;   in Loop: Header=BB3579_57 Depth=2
	global_load_dwordx2 v[24:25], v[26:27], off sc1
	s_cmp_lt_u32 s3, 32
	s_cselect_b64 s[44:45], -1, 0
	s_cmp_lg_u64 s[44:45], 0
	s_addc_u32 s3, s3, 0
	s_waitcnt vmcnt(0)
	v_cmp_ne_u16_sdwa s[44:45], v25, v21 src0_sel:BYTE_0 src1_sel:DWORD
	s_or_b64 s[42:43], s[44:45], s[42:43]
	s_andn2_b64 exec, exec, s[42:43]
	s_cbranch_execnz .LBB3579_57
; %bb.60:                               ;   in Loop: Header=BB3579_54 Depth=1
	s_or_b64 exec, exec, s[42:43]
	s_branch .LBB3579_53
.LBB3579_61:                            ;   in Loop: Header=BB3579_54 Depth=1
                                        ; implicit-def: $vgpr24
                                        ; implicit-def: $vgpr25
	s_cbranch_execz .LBB3579_54
; %bb.62:
	s_and_saveexec_b64 s[40:41], s[16:17]
	s_cbranch_execz .LBB3579_64
; %bb.63:
	s_add_i32 s2, s2, 64
	s_mov_b32 s3, 0
	s_lshl_b64 s[2:3], s[2:3], 3
	s_add_u32 s2, s36, s2
	v_add_u32_e32 v20, v17, v16
	v_mov_b32_e32 v21, 2
	s_addc_u32 s3, s37, s3
	v_mov_b32_e32 v22, 0
	global_store_dwordx2 v22, v[20:21], s[2:3] sc1
	ds_write_b64 v22, v[16:17] offset:28672
.LBB3579_64:
	s_or_b64 exec, exec, s[40:41]
	v_cmp_eq_u32_e32 vcc, 0, v0
	s_and_b64 exec, exec, vcc
	s_cbranch_execz .LBB3579_66
; %bb.65:
	v_mov_b32_e32 v16, 0
	ds_write_b32 v16, v17 offset:28
.LBB3579_66:
	s_or_b64 exec, exec, s[38:39]
	v_mov_b32_e32 v16, 0
	s_waitcnt lgkmcnt(0)
	s_barrier
	ds_read_b32 v17, v16 offset:28
	v_cndmask_b32_e64 v20, v39, v38, s[16:17]
	v_cmp_ne_u32_e32 vcc, 0, v0
	s_waitcnt lgkmcnt(0)
	s_barrier
	v_cndmask_b32_e32 v20, 0, v20, vcc
	v_add_u32_e32 v27, v17, v20
	v_add_u32_e32 v26, v27, v33
	ds_read_b64 v[16:17], v16 offset:28672
	v_add_u32_e32 v25, v26, v32
	v_add_u32_e32 v23, v25, v31
	;; [unrolled: 1-line block ×5, first 2 shown]
	s_waitcnt lgkmcnt(0)
	v_mov_b32_e32 v22, v17
	s_load_dwordx2 s[2:3], s[0:1], 0x38
	s_branch .LBB3579_77
.LBB3579_67:
                                        ; implicit-def: $vgpr22
                                        ; implicit-def: $vgpr16
                                        ; implicit-def: $vgpr20
                                        ; implicit-def: $vgpr21
                                        ; implicit-def: $vgpr24
                                        ; implicit-def: $vgpr23
                                        ; implicit-def: $vgpr25
                                        ; implicit-def: $vgpr26
                                        ; implicit-def: $vgpr27
	s_load_dwordx2 s[2:3], s[0:1], 0x38
	s_cbranch_execz .LBB3579_77
; %bb.68:
	v_mov_b32_dpp v16, v37 row_shr:1 row_mask:0xf bank_mask:0xf
	v_cndmask_b32_e64 v16, v16, 0, s[14:15]
	v_add_u32_e32 v16, v16, v37
	s_nop 1
	v_mov_b32_dpp v17, v16 row_shr:2 row_mask:0xf bank_mask:0xf
	v_cndmask_b32_e64 v17, 0, v17, s[12:13]
	v_add_u32_e32 v16, v16, v17
	s_nop 1
	;; [unrolled: 4-line block ×4, first 2 shown]
	v_mov_b32_dpp v17, v16 row_bcast:15 row_mask:0xf bank_mask:0xf
	v_cndmask_b32_e64 v17, v17, 0, s[6:7]
	v_add_u32_e32 v16, v16, v17
	s_nop 1
	v_mov_b32_dpp v17, v16 row_bcast:31 row_mask:0xf bank_mask:0xf
	v_cndmask_b32_e64 v17, 0, v17, s[18:19]
	v_add_u32_e32 v16, v16, v17
	s_and_saveexec_b64 s[0:1], s[4:5]
	s_cbranch_execz .LBB3579_70
; %bb.69:
	v_lshlrev_b32_e32 v17, 2, v36
	ds_write_b32 v17, v16
.LBB3579_70:
	s_or_b64 exec, exec, s[0:1]
	v_cmp_gt_u32_e32 vcc, 8, v0
	s_waitcnt lgkmcnt(0)
	s_barrier
	s_and_saveexec_b64 s[0:1], vcc
	s_cbranch_execz .LBB3579_72
; %bb.71:
	v_mad_i32_i24 v17, v0, -3, v35
	ds_read_b32 v20, v17
	v_and_b32_e32 v21, 7, v34
	v_cmp_ne_u32_e32 vcc, 0, v21
	s_waitcnt lgkmcnt(0)
	v_mov_b32_dpp v22, v20 row_shr:1 row_mask:0xf bank_mask:0xf
	v_cndmask_b32_e32 v22, 0, v22, vcc
	v_add_u32_e32 v20, v22, v20
	v_cmp_lt_u32_e32 vcc, 1, v21
	s_nop 0
	v_mov_b32_dpp v22, v20 row_shr:2 row_mask:0xf bank_mask:0xf
	v_cndmask_b32_e32 v22, 0, v22, vcc
	v_add_u32_e32 v20, v20, v22
	v_cmp_lt_u32_e32 vcc, 3, v21
	s_nop 0
	v_mov_b32_dpp v22, v20 row_shr:4 row_mask:0xf bank_mask:0xf
	v_cndmask_b32_e32 v21, 0, v22, vcc
	v_add_u32_e32 v20, v20, v21
	ds_write_b32 v17, v20
.LBB3579_72:
	s_or_b64 exec, exec, s[0:1]
	v_cmp_lt_u32_e32 vcc, 63, v0
	v_mov_b32_e32 v17, 0
	v_mov_b32_e32 v20, 0
	s_waitcnt lgkmcnt(0)
	s_barrier
	s_and_saveexec_b64 s[0:1], vcc
	s_cbranch_execz .LBB3579_74
; %bb.73:
	v_lshl_add_u32 v20, v36, 2, -4
	ds_read_b32 v20, v20
.LBB3579_74:
	s_or_b64 exec, exec, s[0:1]
	v_add_u32_e32 v21, -1, v34
	v_and_b32_e32 v22, 64, v34
	v_cmp_lt_i32_e32 vcc, v21, v22
	s_waitcnt lgkmcnt(0)
	v_add_u32_e32 v16, v20, v16
	v_cndmask_b32_e32 v21, v21, v34, vcc
	v_lshlrev_b32_e32 v21, 2, v21
	ds_bpermute_b32 v21, v21, v16
	ds_read_b32 v16, v17 offset:28
	v_cmp_eq_u32_e32 vcc, 0, v0
	s_and_saveexec_b64 s[0:1], vcc
	s_cbranch_execz .LBB3579_76
; %bb.75:
	v_mov_b32_e32 v22, 0
	v_mov_b32_e32 v17, 2
	s_waitcnt lgkmcnt(0)
	global_store_dwordx2 v22, v[16:17], s[36:37] offset:512 sc1
.LBB3579_76:
	s_or_b64 exec, exec, s[0:1]
	v_cmp_eq_u32_e64 s[0:1], 0, v34
	v_mov_b32_e32 v22, 0
	s_waitcnt lgkmcnt(0)
	v_cndmask_b32_e64 v17, v21, v20, s[0:1]
	v_cndmask_b32_e64 v27, v17, 0, vcc
	v_add_u32_e32 v26, v27, v33
	v_add_u32_e32 v25, v26, v32
	;; [unrolled: 1-line block ×6, first 2 shown]
	s_barrier
.LBB3579_77:
	v_add_u32_e32 v1, v16, v1
	v_sub_u32_e32 v17, v27, v22
	v_sub_u32_e32 v27, v1, v17
	v_cmp_eq_u32_e32 vcc, 1, v33
	s_add_u32 s0, s26, s24
	s_addc_u32 s1, s27, 0
	v_cndmask_b32_e32 v17, v27, v17, vcc
	v_lshlrev_b32_e32 v17, 3, v17
	ds_write_b64 v17, v[10:11]
	v_sub_u32_e32 v10, v26, v22
	v_sub_u32_e32 v11, v1, v10
	v_add_u32_e32 v11, 1, v11
	v_cmp_eq_u32_e32 vcc, 1, v32
	s_sub_u32 s0, s28, s0
	s_subb_u32 s1, s29, s1
	v_cndmask_b32_e32 v10, v11, v10, vcc
	v_lshlrev_b32_e32 v10, 3, v10
	ds_write_b64 v10, v[12:13]
	v_sub_u32_e32 v10, v25, v22
	v_sub_u32_e32 v11, v1, v10
	v_add_u32_e32 v11, 2, v11
	v_cmp_eq_u32_e32 vcc, 1, v31
	v_or_b32_e32 v32, 0x200, v0
	v_or_b32_e32 v26, 0x800, v0
	v_cndmask_b32_e32 v10, v11, v10, vcc
	v_lshlrev_b32_e32 v10, 3, v10
	ds_write_b64 v10, v[6:7]
	v_sub_u32_e32 v6, v23, v22
	v_sub_u32_e32 v7, v1, v6
	v_add_u32_e32 v7, 3, v7
	v_cmp_eq_u32_e32 vcc, 1, v30
	v_or_b32_e32 v30, 0x400, v0
	s_nop 0
	v_cndmask_b32_e32 v6, v7, v6, vcc
	v_lshlrev_b32_e32 v6, 3, v6
	ds_write_b64 v6, v[8:9]
	v_sub_u32_e32 v6, v24, v22
	v_sub_u32_e32 v7, v1, v6
	v_add_u32_e32 v7, 4, v7
	v_cmp_eq_u32_e32 vcc, 1, v29
	v_or_b32_e32 v24, 0xa00, v0
	s_nop 0
	;; [unrolled: 9-line block ×4, first 2 shown]
	v_cndmask_b32_e32 v1, v1, v2, vcc
	v_lshlrev_b32_e32 v1, 3, v1
	ds_write_b64 v1, v[14:15]
	s_waitcnt lgkmcnt(0)
	s_barrier
	ds_read2st64_b64 v[10:13], v18 offset1:8
	ds_read2st64_b64 v[6:9], v18 offset0:16 offset1:24
	ds_read2st64_b64 v[2:5], v18 offset0:32 offset1:40
	ds_read_b64 v[18:19], v18 offset:24576
	v_mov_b32_e32 v1, 0
	v_mov_b32_e32 v23, v1
	;; [unrolled: 1-line block ×3, first 2 shown]
	v_lshl_add_u64 v[14:15], s[30:31], 0, v[22:23]
	v_lshl_add_u64 v[22:23], s[0:1], 0, v[16:17]
	v_mov_b32_e32 v33, v1
	v_mov_b32_e32 v31, v1
	;; [unrolled: 1-line block ×6, first 2 shown]
	s_andn2_b64 vcc, exec, s[34:35]
	v_lshl_add_u64 v[22:23], v[22:23], 0, v[14:15]
	s_cbranch_vccnz .LBB3579_107
; %bb.78:
	v_cmp_ge_u32_e32 vcc, v0, v16
                                        ; implicit-def: $vgpr34_vgpr35
	s_and_saveexec_b64 s[0:1], vcc
	s_xor_b64 s[0:1], exec, s[0:1]
; %bb.79:
	v_not_b32_e32 v34, v0
	v_ashrrev_i32_e32 v35, 31, v34
	v_lshl_add_u64 v[34:35], v[22:23], 0, v[34:35]
; %bb.80:
	s_andn2_saveexec_b64 s[0:1], s[0:1]
; %bb.81:
	v_lshl_add_u64 v[34:35], v[14:15], 0, v[0:1]
; %bb.82:
	s_or_b64 exec, exec, s[0:1]
	v_lshl_add_u64 v[34:35], v[34:35], 3, s[2:3]
	v_cmp_ge_u32_e32 vcc, v32, v16
	s_waitcnt lgkmcnt(3)
	global_store_dwordx2 v[34:35], v[10:11], off
                                        ; implicit-def: $vgpr34_vgpr35
	s_and_saveexec_b64 s[0:1], vcc
	s_xor_b64 s[0:1], exec, s[0:1]
; %bb.83:
	v_xor_b32_e32 v34, 0xfffffdff, v0
	v_ashrrev_i32_e32 v35, 31, v34
	v_lshl_add_u64 v[34:35], v[22:23], 0, v[34:35]
; %bb.84:
	s_andn2_saveexec_b64 s[0:1], s[0:1]
; %bb.85:
	v_lshl_add_u64 v[34:35], v[14:15], 0, v[32:33]
; %bb.86:
	s_or_b64 exec, exec, s[0:1]
	v_lshl_add_u64 v[34:35], v[34:35], 3, s[2:3]
	v_cmp_ge_u32_e32 vcc, v30, v16
	global_store_dwordx2 v[34:35], v[12:13], off
                                        ; implicit-def: $vgpr34_vgpr35
	s_and_saveexec_b64 s[0:1], vcc
	s_xor_b64 s[0:1], exec, s[0:1]
; %bb.87:
	v_xor_b32_e32 v34, 0xfffffbff, v0
	v_ashrrev_i32_e32 v35, 31, v34
	v_lshl_add_u64 v[34:35], v[22:23], 0, v[34:35]
; %bb.88:
	s_andn2_saveexec_b64 s[0:1], s[0:1]
; %bb.89:
	v_lshl_add_u64 v[34:35], v[14:15], 0, v[30:31]
; %bb.90:
	s_or_b64 exec, exec, s[0:1]
	v_lshl_add_u64 v[34:35], v[34:35], 3, s[2:3]
	v_cmp_ge_u32_e32 vcc, v28, v16
	s_waitcnt lgkmcnt(2)
	global_store_dwordx2 v[34:35], v[6:7], off
                                        ; implicit-def: $vgpr34_vgpr35
	s_and_saveexec_b64 s[0:1], vcc
	s_xor_b64 s[0:1], exec, s[0:1]
; %bb.91:
	v_xor_b32_e32 v34, 0xfffff9ff, v0
	v_ashrrev_i32_e32 v35, 31, v34
	v_lshl_add_u64 v[34:35], v[22:23], 0, v[34:35]
; %bb.92:
	s_andn2_saveexec_b64 s[0:1], s[0:1]
; %bb.93:
	v_lshl_add_u64 v[34:35], v[14:15], 0, v[28:29]
; %bb.94:
	s_or_b64 exec, exec, s[0:1]
	v_lshl_add_u64 v[34:35], v[34:35], 3, s[2:3]
	v_cmp_ge_u32_e32 vcc, v26, v16
	global_store_dwordx2 v[34:35], v[8:9], off
                                        ; implicit-def: $vgpr34_vgpr35
	s_and_saveexec_b64 s[0:1], vcc
	s_xor_b64 s[0:1], exec, s[0:1]
; %bb.95:
	v_xor_b32_e32 v34, 0xfffff7ff, v0
	;; [unrolled: 33-line block ×3, first 2 shown]
	v_ashrrev_i32_e32 v35, 31, v34
	v_lshl_add_u64 v[34:35], v[22:23], 0, v[34:35]
; %bb.104:
	s_andn2_saveexec_b64 s[0:1], s[0:1]
; %bb.105:
	v_lshl_add_u64 v[34:35], v[14:15], 0, v[20:21]
; %bb.106:
	s_or_b64 exec, exec, s[0:1]
	s_mov_b64 s[0:1], -1
	s_branch .LBB3579_151
.LBB3579_107:
	s_mov_b64 s[0:1], 0
                                        ; implicit-def: $vgpr34_vgpr35
	s_cbranch_execz .LBB3579_151
; %bb.108:
	v_cmp_gt_u32_e32 vcc, s33, v0
	s_and_saveexec_b64 s[4:5], vcc
	s_cbranch_execz .LBB3579_126
; %bb.109:
	v_cmp_ge_u32_e32 vcc, v0, v16
                                        ; implicit-def: $vgpr34_vgpr35
	s_and_saveexec_b64 s[6:7], vcc
	s_xor_b64 s[6:7], exec, s[6:7]
; %bb.110:
	v_not_b32_e32 v34, v0
	v_ashrrev_i32_e32 v35, 31, v34
	v_lshl_add_u64 v[34:35], v[22:23], 0, v[34:35]
; %bb.111:
	s_andn2_saveexec_b64 s[6:7], s[6:7]
; %bb.112:
	v_lshl_add_u64 v[34:35], v[14:15], 0, v[0:1]
; %bb.113:
	s_or_b64 exec, exec, s[6:7]
	v_lshl_add_u64 v[34:35], v[34:35], 3, s[2:3]
	s_waitcnt lgkmcnt(3)
	global_store_dwordx2 v[34:35], v[10:11], off
	s_or_b64 exec, exec, s[4:5]
	v_cmp_gt_u32_e32 vcc, s33, v32
	s_and_saveexec_b64 s[4:5], vcc
	s_cbranch_execnz .LBB3579_127
.LBB3579_114:
	s_or_b64 exec, exec, s[4:5]
	v_cmp_gt_u32_e32 vcc, s33, v30
	s_and_saveexec_b64 s[4:5], vcc
	s_cbranch_execz .LBB3579_132
.LBB3579_115:
	v_cmp_ge_u32_e32 vcc, v30, v16
                                        ; implicit-def: $vgpr10_vgpr11
	s_and_saveexec_b64 s[6:7], vcc
	s_xor_b64 s[6:7], exec, s[6:7]
	s_cbranch_execz .LBB3579_117
; %bb.116:
	s_waitcnt lgkmcnt(3)
	v_xor_b32_e32 v10, 0xfffffbff, v0
	v_ashrrev_i32_e32 v11, 31, v10
	v_lshl_add_u64 v[10:11], v[22:23], 0, v[10:11]
                                        ; implicit-def: $vgpr30_vgpr31
.LBB3579_117:
	s_andn2_saveexec_b64 s[6:7], s[6:7]
	s_cbranch_execz .LBB3579_119
; %bb.118:
	s_waitcnt lgkmcnt(3)
	v_lshl_add_u64 v[10:11], v[14:15], 0, v[30:31]
.LBB3579_119:
	s_or_b64 exec, exec, s[6:7]
	s_waitcnt lgkmcnt(3)
	v_lshl_add_u64 v[10:11], v[10:11], 3, s[2:3]
	s_waitcnt lgkmcnt(2)
	global_store_dwordx2 v[10:11], v[6:7], off
	s_or_b64 exec, exec, s[4:5]
	v_cmp_gt_u32_e32 vcc, s33, v28
	s_and_saveexec_b64 s[4:5], vcc
	s_cbranch_execnz .LBB3579_133
.LBB3579_120:
	s_or_b64 exec, exec, s[4:5]
	v_cmp_gt_u32_e32 vcc, s33, v26
	s_and_saveexec_b64 s[4:5], vcc
	s_cbranch_execz .LBB3579_138
.LBB3579_121:
	v_cmp_ge_u32_e32 vcc, v26, v16
                                        ; implicit-def: $vgpr6_vgpr7
	s_and_saveexec_b64 s[6:7], vcc
	s_xor_b64 s[6:7], exec, s[6:7]
	s_cbranch_execz .LBB3579_123
; %bb.122:
	s_waitcnt lgkmcnt(2)
	v_xor_b32_e32 v6, 0xfffff7ff, v0
	v_ashrrev_i32_e32 v7, 31, v6
	v_lshl_add_u64 v[6:7], v[22:23], 0, v[6:7]
                                        ; implicit-def: $vgpr26_vgpr27
.LBB3579_123:
	s_andn2_saveexec_b64 s[6:7], s[6:7]
	s_cbranch_execz .LBB3579_125
; %bb.124:
	s_waitcnt lgkmcnt(2)
	v_lshl_add_u64 v[6:7], v[14:15], 0, v[26:27]
.LBB3579_125:
	s_or_b64 exec, exec, s[6:7]
	s_waitcnt lgkmcnt(2)
	v_lshl_add_u64 v[6:7], v[6:7], 3, s[2:3]
	s_waitcnt lgkmcnt(1)
	global_store_dwordx2 v[6:7], v[2:3], off
	s_or_b64 exec, exec, s[4:5]
	v_cmp_gt_u32_e32 vcc, s33, v24
	s_and_saveexec_b64 s[4:5], vcc
	s_cbranch_execz .LBB3579_144
	s_branch .LBB3579_139
.LBB3579_126:
	s_or_b64 exec, exec, s[4:5]
	v_cmp_gt_u32_e32 vcc, s33, v32
	s_and_saveexec_b64 s[4:5], vcc
	s_cbranch_execz .LBB3579_114
.LBB3579_127:
	v_cmp_ge_u32_e32 vcc, v32, v16
                                        ; implicit-def: $vgpr10_vgpr11
	s_and_saveexec_b64 s[6:7], vcc
	s_xor_b64 s[6:7], exec, s[6:7]
	s_cbranch_execz .LBB3579_129
; %bb.128:
	s_waitcnt lgkmcnt(3)
	v_xor_b32_e32 v10, 0xfffffdff, v0
	v_ashrrev_i32_e32 v11, 31, v10
	v_lshl_add_u64 v[10:11], v[22:23], 0, v[10:11]
                                        ; implicit-def: $vgpr32_vgpr33
.LBB3579_129:
	s_andn2_saveexec_b64 s[6:7], s[6:7]
	s_cbranch_execz .LBB3579_131
; %bb.130:
	s_waitcnt lgkmcnt(3)
	v_lshl_add_u64 v[10:11], v[14:15], 0, v[32:33]
.LBB3579_131:
	s_or_b64 exec, exec, s[6:7]
	s_waitcnt lgkmcnt(3)
	v_lshl_add_u64 v[10:11], v[10:11], 3, s[2:3]
	global_store_dwordx2 v[10:11], v[12:13], off
	s_or_b64 exec, exec, s[4:5]
	v_cmp_gt_u32_e32 vcc, s33, v30
	s_and_saveexec_b64 s[4:5], vcc
	s_cbranch_execnz .LBB3579_115
.LBB3579_132:
	s_or_b64 exec, exec, s[4:5]
	v_cmp_gt_u32_e32 vcc, s33, v28
	s_and_saveexec_b64 s[4:5], vcc
	s_cbranch_execz .LBB3579_120
.LBB3579_133:
	v_cmp_ge_u32_e32 vcc, v28, v16
                                        ; implicit-def: $vgpr6_vgpr7
	s_and_saveexec_b64 s[6:7], vcc
	s_xor_b64 s[6:7], exec, s[6:7]
	s_cbranch_execz .LBB3579_135
; %bb.134:
	s_waitcnt lgkmcnt(2)
	v_xor_b32_e32 v6, 0xfffff9ff, v0
	v_ashrrev_i32_e32 v7, 31, v6
	v_lshl_add_u64 v[6:7], v[22:23], 0, v[6:7]
                                        ; implicit-def: $vgpr28_vgpr29
.LBB3579_135:
	s_andn2_saveexec_b64 s[6:7], s[6:7]
	s_cbranch_execz .LBB3579_137
; %bb.136:
	s_waitcnt lgkmcnt(2)
	v_lshl_add_u64 v[6:7], v[14:15], 0, v[28:29]
.LBB3579_137:
	s_or_b64 exec, exec, s[6:7]
	s_waitcnt lgkmcnt(2)
	v_lshl_add_u64 v[6:7], v[6:7], 3, s[2:3]
	global_store_dwordx2 v[6:7], v[8:9], off
	s_or_b64 exec, exec, s[4:5]
	v_cmp_gt_u32_e32 vcc, s33, v26
	s_and_saveexec_b64 s[4:5], vcc
	s_cbranch_execnz .LBB3579_121
.LBB3579_138:
	s_or_b64 exec, exec, s[4:5]
	v_cmp_gt_u32_e32 vcc, s33, v24
	s_and_saveexec_b64 s[4:5], vcc
	s_cbranch_execz .LBB3579_144
.LBB3579_139:
	v_cmp_ge_u32_e32 vcc, v24, v16
                                        ; implicit-def: $vgpr2_vgpr3
	s_and_saveexec_b64 s[6:7], vcc
	s_xor_b64 s[6:7], exec, s[6:7]
	s_cbranch_execz .LBB3579_141
; %bb.140:
	s_waitcnt lgkmcnt(1)
	v_xor_b32_e32 v2, 0xfffff5ff, v0
	v_ashrrev_i32_e32 v3, 31, v2
	v_lshl_add_u64 v[2:3], v[22:23], 0, v[2:3]
                                        ; implicit-def: $vgpr24_vgpr25
.LBB3579_141:
	s_andn2_saveexec_b64 s[6:7], s[6:7]
	s_cbranch_execz .LBB3579_143
; %bb.142:
	s_waitcnt lgkmcnt(1)
	v_lshl_add_u64 v[2:3], v[14:15], 0, v[24:25]
.LBB3579_143:
	s_or_b64 exec, exec, s[6:7]
	s_waitcnt lgkmcnt(1)
	v_lshl_add_u64 v[2:3], v[2:3], 3, s[2:3]
	global_store_dwordx2 v[2:3], v[4:5], off
.LBB3579_144:
	s_or_b64 exec, exec, s[4:5]
	v_cmp_gt_u32_e32 vcc, s33, v20
                                        ; implicit-def: $vgpr34_vgpr35
	s_and_saveexec_b64 s[4:5], vcc
	s_cbranch_execz .LBB3579_150
; %bb.145:
	v_cmp_ge_u32_e32 vcc, v20, v16
                                        ; implicit-def: $vgpr34_vgpr35
	s_and_saveexec_b64 s[6:7], vcc
	s_xor_b64 s[6:7], exec, s[6:7]
	s_cbranch_execz .LBB3579_147
; %bb.146:
	s_waitcnt lgkmcnt(1)
	v_xor_b32_e32 v2, 0xfffff3ff, v0
	v_ashrrev_i32_e32 v3, 31, v2
	v_lshl_add_u64 v[34:35], v[22:23], 0, v[2:3]
                                        ; implicit-def: $vgpr20_vgpr21
.LBB3579_147:
	s_andn2_saveexec_b64 s[6:7], s[6:7]
; %bb.148:
	v_lshl_add_u64 v[34:35], v[14:15], 0, v[20:21]
; %bb.149:
	s_or_b64 exec, exec, s[6:7]
	s_or_b64 s[0:1], s[0:1], exec
.LBB3579_150:
	s_or_b64 exec, exec, s[4:5]
.LBB3579_151:
	s_and_saveexec_b64 s[4:5], s[0:1]
	s_cbranch_execz .LBB3579_153
; %bb.152:
	s_waitcnt lgkmcnt(1)
	v_lshl_add_u64 v[2:3], v[34:35], 3, s[2:3]
	s_waitcnt lgkmcnt(0)
	global_store_dwordx2 v[2:3], v[18:19], off
.LBB3579_153:
	s_or_b64 exec, exec, s[4:5]
	v_cmp_eq_u32_e32 vcc, 0, v0
	s_and_b64 s[0:1], vcc, s[22:23]
	s_and_saveexec_b64 s[2:3], s[0:1]
	s_cbranch_execz .LBB3579_155
; %bb.154:
	s_waitcnt lgkmcnt(1)
	v_mov_b32_e32 v2, 0
	v_lshl_add_u64 v[0:1], v[14:15], 0, v[16:17]
	global_store_dwordx2 v2, v[0:1], s[20:21]
.LBB3579_155:
	s_endpgm
	.section	.rodata,"a",@progbits
	.p2align	6, 0x0
	.amdhsa_kernel _ZN7rocprim17ROCPRIM_400000_NS6detail17trampoline_kernelINS0_14default_configENS1_25partition_config_selectorILNS1_17partition_subalgoE2ExNS0_10empty_typeEbEEZZNS1_14partition_implILS5_2ELb0ES3_jN6thrust23THRUST_200600_302600_NS6detail15normal_iteratorINSA_7pointerIxNSA_11hip_rocprim3tagENSA_11use_defaultESG_EEEEPS6_NSA_18transform_iteratorI10is_orderedNSA_12zip_iteratorINSA_5tupleINSC_INSA_10device_ptrIxEEEESQ_NSA_9null_typeESR_SR_SR_SR_SR_SR_SR_EEEESG_SG_EENS0_5tupleIJPxSJ_EEENSV_IJSJ_SJ_EEES6_PlJS6_EEE10hipError_tPvRmT3_T4_T5_T6_T7_T9_mT8_P12ihipStream_tbDpT10_ENKUlT_T0_E_clISt17integral_constantIbLb1EES1I_IbLb0EEEEDaS1E_S1F_EUlS1E_E_NS1_11comp_targetILNS1_3genE5ELNS1_11target_archE942ELNS1_3gpuE9ELNS1_3repE0EEENS1_30default_config_static_selectorELNS0_4arch9wavefront6targetE1EEEvT1_
		.amdhsa_group_segment_fixed_size 28680
		.amdhsa_private_segment_fixed_size 0
		.amdhsa_kernarg_size 136
		.amdhsa_user_sgpr_count 2
		.amdhsa_user_sgpr_dispatch_ptr 0
		.amdhsa_user_sgpr_queue_ptr 0
		.amdhsa_user_sgpr_kernarg_segment_ptr 1
		.amdhsa_user_sgpr_dispatch_id 0
		.amdhsa_user_sgpr_kernarg_preload_length 0
		.amdhsa_user_sgpr_kernarg_preload_offset 0
		.amdhsa_user_sgpr_private_segment_size 0
		.amdhsa_uses_dynamic_stack 0
		.amdhsa_enable_private_segment 0
		.amdhsa_system_sgpr_workgroup_id_x 1
		.amdhsa_system_sgpr_workgroup_id_y 0
		.amdhsa_system_sgpr_workgroup_id_z 0
		.amdhsa_system_sgpr_workgroup_info 0
		.amdhsa_system_vgpr_workitem_id 0
		.amdhsa_next_free_vgpr 54
		.amdhsa_next_free_sgpr 46
		.amdhsa_accum_offset 56
		.amdhsa_reserve_vcc 1
		.amdhsa_float_round_mode_32 0
		.amdhsa_float_round_mode_16_64 0
		.amdhsa_float_denorm_mode_32 3
		.amdhsa_float_denorm_mode_16_64 3
		.amdhsa_dx10_clamp 1
		.amdhsa_ieee_mode 1
		.amdhsa_fp16_overflow 0
		.amdhsa_tg_split 0
		.amdhsa_exception_fp_ieee_invalid_op 0
		.amdhsa_exception_fp_denorm_src 0
		.amdhsa_exception_fp_ieee_div_zero 0
		.amdhsa_exception_fp_ieee_overflow 0
		.amdhsa_exception_fp_ieee_underflow 0
		.amdhsa_exception_fp_ieee_inexact 0
		.amdhsa_exception_int_div_zero 0
	.end_amdhsa_kernel
	.section	.text._ZN7rocprim17ROCPRIM_400000_NS6detail17trampoline_kernelINS0_14default_configENS1_25partition_config_selectorILNS1_17partition_subalgoE2ExNS0_10empty_typeEbEEZZNS1_14partition_implILS5_2ELb0ES3_jN6thrust23THRUST_200600_302600_NS6detail15normal_iteratorINSA_7pointerIxNSA_11hip_rocprim3tagENSA_11use_defaultESG_EEEEPS6_NSA_18transform_iteratorI10is_orderedNSA_12zip_iteratorINSA_5tupleINSC_INSA_10device_ptrIxEEEESQ_NSA_9null_typeESR_SR_SR_SR_SR_SR_SR_EEEESG_SG_EENS0_5tupleIJPxSJ_EEENSV_IJSJ_SJ_EEES6_PlJS6_EEE10hipError_tPvRmT3_T4_T5_T6_T7_T9_mT8_P12ihipStream_tbDpT10_ENKUlT_T0_E_clISt17integral_constantIbLb1EES1I_IbLb0EEEEDaS1E_S1F_EUlS1E_E_NS1_11comp_targetILNS1_3genE5ELNS1_11target_archE942ELNS1_3gpuE9ELNS1_3repE0EEENS1_30default_config_static_selectorELNS0_4arch9wavefront6targetE1EEEvT1_,"axG",@progbits,_ZN7rocprim17ROCPRIM_400000_NS6detail17trampoline_kernelINS0_14default_configENS1_25partition_config_selectorILNS1_17partition_subalgoE2ExNS0_10empty_typeEbEEZZNS1_14partition_implILS5_2ELb0ES3_jN6thrust23THRUST_200600_302600_NS6detail15normal_iteratorINSA_7pointerIxNSA_11hip_rocprim3tagENSA_11use_defaultESG_EEEEPS6_NSA_18transform_iteratorI10is_orderedNSA_12zip_iteratorINSA_5tupleINSC_INSA_10device_ptrIxEEEESQ_NSA_9null_typeESR_SR_SR_SR_SR_SR_SR_EEEESG_SG_EENS0_5tupleIJPxSJ_EEENSV_IJSJ_SJ_EEES6_PlJS6_EEE10hipError_tPvRmT3_T4_T5_T6_T7_T9_mT8_P12ihipStream_tbDpT10_ENKUlT_T0_E_clISt17integral_constantIbLb1EES1I_IbLb0EEEEDaS1E_S1F_EUlS1E_E_NS1_11comp_targetILNS1_3genE5ELNS1_11target_archE942ELNS1_3gpuE9ELNS1_3repE0EEENS1_30default_config_static_selectorELNS0_4arch9wavefront6targetE1EEEvT1_,comdat
.Lfunc_end3579:
	.size	_ZN7rocprim17ROCPRIM_400000_NS6detail17trampoline_kernelINS0_14default_configENS1_25partition_config_selectorILNS1_17partition_subalgoE2ExNS0_10empty_typeEbEEZZNS1_14partition_implILS5_2ELb0ES3_jN6thrust23THRUST_200600_302600_NS6detail15normal_iteratorINSA_7pointerIxNSA_11hip_rocprim3tagENSA_11use_defaultESG_EEEEPS6_NSA_18transform_iteratorI10is_orderedNSA_12zip_iteratorINSA_5tupleINSC_INSA_10device_ptrIxEEEESQ_NSA_9null_typeESR_SR_SR_SR_SR_SR_SR_EEEESG_SG_EENS0_5tupleIJPxSJ_EEENSV_IJSJ_SJ_EEES6_PlJS6_EEE10hipError_tPvRmT3_T4_T5_T6_T7_T9_mT8_P12ihipStream_tbDpT10_ENKUlT_T0_E_clISt17integral_constantIbLb1EES1I_IbLb0EEEEDaS1E_S1F_EUlS1E_E_NS1_11comp_targetILNS1_3genE5ELNS1_11target_archE942ELNS1_3gpuE9ELNS1_3repE0EEENS1_30default_config_static_selectorELNS0_4arch9wavefront6targetE1EEEvT1_, .Lfunc_end3579-_ZN7rocprim17ROCPRIM_400000_NS6detail17trampoline_kernelINS0_14default_configENS1_25partition_config_selectorILNS1_17partition_subalgoE2ExNS0_10empty_typeEbEEZZNS1_14partition_implILS5_2ELb0ES3_jN6thrust23THRUST_200600_302600_NS6detail15normal_iteratorINSA_7pointerIxNSA_11hip_rocprim3tagENSA_11use_defaultESG_EEEEPS6_NSA_18transform_iteratorI10is_orderedNSA_12zip_iteratorINSA_5tupleINSC_INSA_10device_ptrIxEEEESQ_NSA_9null_typeESR_SR_SR_SR_SR_SR_SR_EEEESG_SG_EENS0_5tupleIJPxSJ_EEENSV_IJSJ_SJ_EEES6_PlJS6_EEE10hipError_tPvRmT3_T4_T5_T6_T7_T9_mT8_P12ihipStream_tbDpT10_ENKUlT_T0_E_clISt17integral_constantIbLb1EES1I_IbLb0EEEEDaS1E_S1F_EUlS1E_E_NS1_11comp_targetILNS1_3genE5ELNS1_11target_archE942ELNS1_3gpuE9ELNS1_3repE0EEENS1_30default_config_static_selectorELNS0_4arch9wavefront6targetE1EEEvT1_
                                        ; -- End function
	.section	.AMDGPU.csdata,"",@progbits
; Kernel info:
; codeLenInByte = 5916
; NumSgprs: 52
; NumVgprs: 54
; NumAgprs: 0
; TotalNumVgprs: 54
; ScratchSize: 0
; MemoryBound: 0
; FloatMode: 240
; IeeeMode: 1
; LDSByteSize: 28680 bytes/workgroup (compile time only)
; SGPRBlocks: 6
; VGPRBlocks: 6
; NumSGPRsForWavesPerEU: 52
; NumVGPRsForWavesPerEU: 54
; AccumOffset: 56
; Occupancy: 4
; WaveLimiterHint : 1
; COMPUTE_PGM_RSRC2:SCRATCH_EN: 0
; COMPUTE_PGM_RSRC2:USER_SGPR: 2
; COMPUTE_PGM_RSRC2:TRAP_HANDLER: 0
; COMPUTE_PGM_RSRC2:TGID_X_EN: 1
; COMPUTE_PGM_RSRC2:TGID_Y_EN: 0
; COMPUTE_PGM_RSRC2:TGID_Z_EN: 0
; COMPUTE_PGM_RSRC2:TIDIG_COMP_CNT: 0
; COMPUTE_PGM_RSRC3_GFX90A:ACCUM_OFFSET: 13
; COMPUTE_PGM_RSRC3_GFX90A:TG_SPLIT: 0
	.section	.text._ZN7rocprim17ROCPRIM_400000_NS6detail17trampoline_kernelINS0_14default_configENS1_25partition_config_selectorILNS1_17partition_subalgoE2ExNS0_10empty_typeEbEEZZNS1_14partition_implILS5_2ELb0ES3_jN6thrust23THRUST_200600_302600_NS6detail15normal_iteratorINSA_7pointerIxNSA_11hip_rocprim3tagENSA_11use_defaultESG_EEEEPS6_NSA_18transform_iteratorI10is_orderedNSA_12zip_iteratorINSA_5tupleINSC_INSA_10device_ptrIxEEEESQ_NSA_9null_typeESR_SR_SR_SR_SR_SR_SR_EEEESG_SG_EENS0_5tupleIJPxSJ_EEENSV_IJSJ_SJ_EEES6_PlJS6_EEE10hipError_tPvRmT3_T4_T5_T6_T7_T9_mT8_P12ihipStream_tbDpT10_ENKUlT_T0_E_clISt17integral_constantIbLb1EES1I_IbLb0EEEEDaS1E_S1F_EUlS1E_E_NS1_11comp_targetILNS1_3genE4ELNS1_11target_archE910ELNS1_3gpuE8ELNS1_3repE0EEENS1_30default_config_static_selectorELNS0_4arch9wavefront6targetE1EEEvT1_,"axG",@progbits,_ZN7rocprim17ROCPRIM_400000_NS6detail17trampoline_kernelINS0_14default_configENS1_25partition_config_selectorILNS1_17partition_subalgoE2ExNS0_10empty_typeEbEEZZNS1_14partition_implILS5_2ELb0ES3_jN6thrust23THRUST_200600_302600_NS6detail15normal_iteratorINSA_7pointerIxNSA_11hip_rocprim3tagENSA_11use_defaultESG_EEEEPS6_NSA_18transform_iteratorI10is_orderedNSA_12zip_iteratorINSA_5tupleINSC_INSA_10device_ptrIxEEEESQ_NSA_9null_typeESR_SR_SR_SR_SR_SR_SR_EEEESG_SG_EENS0_5tupleIJPxSJ_EEENSV_IJSJ_SJ_EEES6_PlJS6_EEE10hipError_tPvRmT3_T4_T5_T6_T7_T9_mT8_P12ihipStream_tbDpT10_ENKUlT_T0_E_clISt17integral_constantIbLb1EES1I_IbLb0EEEEDaS1E_S1F_EUlS1E_E_NS1_11comp_targetILNS1_3genE4ELNS1_11target_archE910ELNS1_3gpuE8ELNS1_3repE0EEENS1_30default_config_static_selectorELNS0_4arch9wavefront6targetE1EEEvT1_,comdat
	.protected	_ZN7rocprim17ROCPRIM_400000_NS6detail17trampoline_kernelINS0_14default_configENS1_25partition_config_selectorILNS1_17partition_subalgoE2ExNS0_10empty_typeEbEEZZNS1_14partition_implILS5_2ELb0ES3_jN6thrust23THRUST_200600_302600_NS6detail15normal_iteratorINSA_7pointerIxNSA_11hip_rocprim3tagENSA_11use_defaultESG_EEEEPS6_NSA_18transform_iteratorI10is_orderedNSA_12zip_iteratorINSA_5tupleINSC_INSA_10device_ptrIxEEEESQ_NSA_9null_typeESR_SR_SR_SR_SR_SR_SR_EEEESG_SG_EENS0_5tupleIJPxSJ_EEENSV_IJSJ_SJ_EEES6_PlJS6_EEE10hipError_tPvRmT3_T4_T5_T6_T7_T9_mT8_P12ihipStream_tbDpT10_ENKUlT_T0_E_clISt17integral_constantIbLb1EES1I_IbLb0EEEEDaS1E_S1F_EUlS1E_E_NS1_11comp_targetILNS1_3genE4ELNS1_11target_archE910ELNS1_3gpuE8ELNS1_3repE0EEENS1_30default_config_static_selectorELNS0_4arch9wavefront6targetE1EEEvT1_ ; -- Begin function _ZN7rocprim17ROCPRIM_400000_NS6detail17trampoline_kernelINS0_14default_configENS1_25partition_config_selectorILNS1_17partition_subalgoE2ExNS0_10empty_typeEbEEZZNS1_14partition_implILS5_2ELb0ES3_jN6thrust23THRUST_200600_302600_NS6detail15normal_iteratorINSA_7pointerIxNSA_11hip_rocprim3tagENSA_11use_defaultESG_EEEEPS6_NSA_18transform_iteratorI10is_orderedNSA_12zip_iteratorINSA_5tupleINSC_INSA_10device_ptrIxEEEESQ_NSA_9null_typeESR_SR_SR_SR_SR_SR_SR_EEEESG_SG_EENS0_5tupleIJPxSJ_EEENSV_IJSJ_SJ_EEES6_PlJS6_EEE10hipError_tPvRmT3_T4_T5_T6_T7_T9_mT8_P12ihipStream_tbDpT10_ENKUlT_T0_E_clISt17integral_constantIbLb1EES1I_IbLb0EEEEDaS1E_S1F_EUlS1E_E_NS1_11comp_targetILNS1_3genE4ELNS1_11target_archE910ELNS1_3gpuE8ELNS1_3repE0EEENS1_30default_config_static_selectorELNS0_4arch9wavefront6targetE1EEEvT1_
	.globl	_ZN7rocprim17ROCPRIM_400000_NS6detail17trampoline_kernelINS0_14default_configENS1_25partition_config_selectorILNS1_17partition_subalgoE2ExNS0_10empty_typeEbEEZZNS1_14partition_implILS5_2ELb0ES3_jN6thrust23THRUST_200600_302600_NS6detail15normal_iteratorINSA_7pointerIxNSA_11hip_rocprim3tagENSA_11use_defaultESG_EEEEPS6_NSA_18transform_iteratorI10is_orderedNSA_12zip_iteratorINSA_5tupleINSC_INSA_10device_ptrIxEEEESQ_NSA_9null_typeESR_SR_SR_SR_SR_SR_SR_EEEESG_SG_EENS0_5tupleIJPxSJ_EEENSV_IJSJ_SJ_EEES6_PlJS6_EEE10hipError_tPvRmT3_T4_T5_T6_T7_T9_mT8_P12ihipStream_tbDpT10_ENKUlT_T0_E_clISt17integral_constantIbLb1EES1I_IbLb0EEEEDaS1E_S1F_EUlS1E_E_NS1_11comp_targetILNS1_3genE4ELNS1_11target_archE910ELNS1_3gpuE8ELNS1_3repE0EEENS1_30default_config_static_selectorELNS0_4arch9wavefront6targetE1EEEvT1_
	.p2align	8
	.type	_ZN7rocprim17ROCPRIM_400000_NS6detail17trampoline_kernelINS0_14default_configENS1_25partition_config_selectorILNS1_17partition_subalgoE2ExNS0_10empty_typeEbEEZZNS1_14partition_implILS5_2ELb0ES3_jN6thrust23THRUST_200600_302600_NS6detail15normal_iteratorINSA_7pointerIxNSA_11hip_rocprim3tagENSA_11use_defaultESG_EEEEPS6_NSA_18transform_iteratorI10is_orderedNSA_12zip_iteratorINSA_5tupleINSC_INSA_10device_ptrIxEEEESQ_NSA_9null_typeESR_SR_SR_SR_SR_SR_SR_EEEESG_SG_EENS0_5tupleIJPxSJ_EEENSV_IJSJ_SJ_EEES6_PlJS6_EEE10hipError_tPvRmT3_T4_T5_T6_T7_T9_mT8_P12ihipStream_tbDpT10_ENKUlT_T0_E_clISt17integral_constantIbLb1EES1I_IbLb0EEEEDaS1E_S1F_EUlS1E_E_NS1_11comp_targetILNS1_3genE4ELNS1_11target_archE910ELNS1_3gpuE8ELNS1_3repE0EEENS1_30default_config_static_selectorELNS0_4arch9wavefront6targetE1EEEvT1_,@function
_ZN7rocprim17ROCPRIM_400000_NS6detail17trampoline_kernelINS0_14default_configENS1_25partition_config_selectorILNS1_17partition_subalgoE2ExNS0_10empty_typeEbEEZZNS1_14partition_implILS5_2ELb0ES3_jN6thrust23THRUST_200600_302600_NS6detail15normal_iteratorINSA_7pointerIxNSA_11hip_rocprim3tagENSA_11use_defaultESG_EEEEPS6_NSA_18transform_iteratorI10is_orderedNSA_12zip_iteratorINSA_5tupleINSC_INSA_10device_ptrIxEEEESQ_NSA_9null_typeESR_SR_SR_SR_SR_SR_SR_EEEESG_SG_EENS0_5tupleIJPxSJ_EEENSV_IJSJ_SJ_EEES6_PlJS6_EEE10hipError_tPvRmT3_T4_T5_T6_T7_T9_mT8_P12ihipStream_tbDpT10_ENKUlT_T0_E_clISt17integral_constantIbLb1EES1I_IbLb0EEEEDaS1E_S1F_EUlS1E_E_NS1_11comp_targetILNS1_3genE4ELNS1_11target_archE910ELNS1_3gpuE8ELNS1_3repE0EEENS1_30default_config_static_selectorELNS0_4arch9wavefront6targetE1EEEvT1_: ; @_ZN7rocprim17ROCPRIM_400000_NS6detail17trampoline_kernelINS0_14default_configENS1_25partition_config_selectorILNS1_17partition_subalgoE2ExNS0_10empty_typeEbEEZZNS1_14partition_implILS5_2ELb0ES3_jN6thrust23THRUST_200600_302600_NS6detail15normal_iteratorINSA_7pointerIxNSA_11hip_rocprim3tagENSA_11use_defaultESG_EEEEPS6_NSA_18transform_iteratorI10is_orderedNSA_12zip_iteratorINSA_5tupleINSC_INSA_10device_ptrIxEEEESQ_NSA_9null_typeESR_SR_SR_SR_SR_SR_SR_EEEESG_SG_EENS0_5tupleIJPxSJ_EEENSV_IJSJ_SJ_EEES6_PlJS6_EEE10hipError_tPvRmT3_T4_T5_T6_T7_T9_mT8_P12ihipStream_tbDpT10_ENKUlT_T0_E_clISt17integral_constantIbLb1EES1I_IbLb0EEEEDaS1E_S1F_EUlS1E_E_NS1_11comp_targetILNS1_3genE4ELNS1_11target_archE910ELNS1_3gpuE8ELNS1_3repE0EEENS1_30default_config_static_selectorELNS0_4arch9wavefront6targetE1EEEvT1_
; %bb.0:
	.section	.rodata,"a",@progbits
	.p2align	6, 0x0
	.amdhsa_kernel _ZN7rocprim17ROCPRIM_400000_NS6detail17trampoline_kernelINS0_14default_configENS1_25partition_config_selectorILNS1_17partition_subalgoE2ExNS0_10empty_typeEbEEZZNS1_14partition_implILS5_2ELb0ES3_jN6thrust23THRUST_200600_302600_NS6detail15normal_iteratorINSA_7pointerIxNSA_11hip_rocprim3tagENSA_11use_defaultESG_EEEEPS6_NSA_18transform_iteratorI10is_orderedNSA_12zip_iteratorINSA_5tupleINSC_INSA_10device_ptrIxEEEESQ_NSA_9null_typeESR_SR_SR_SR_SR_SR_SR_EEEESG_SG_EENS0_5tupleIJPxSJ_EEENSV_IJSJ_SJ_EEES6_PlJS6_EEE10hipError_tPvRmT3_T4_T5_T6_T7_T9_mT8_P12ihipStream_tbDpT10_ENKUlT_T0_E_clISt17integral_constantIbLb1EES1I_IbLb0EEEEDaS1E_S1F_EUlS1E_E_NS1_11comp_targetILNS1_3genE4ELNS1_11target_archE910ELNS1_3gpuE8ELNS1_3repE0EEENS1_30default_config_static_selectorELNS0_4arch9wavefront6targetE1EEEvT1_
		.amdhsa_group_segment_fixed_size 0
		.amdhsa_private_segment_fixed_size 0
		.amdhsa_kernarg_size 136
		.amdhsa_user_sgpr_count 2
		.amdhsa_user_sgpr_dispatch_ptr 0
		.amdhsa_user_sgpr_queue_ptr 0
		.amdhsa_user_sgpr_kernarg_segment_ptr 1
		.amdhsa_user_sgpr_dispatch_id 0
		.amdhsa_user_sgpr_kernarg_preload_length 0
		.amdhsa_user_sgpr_kernarg_preload_offset 0
		.amdhsa_user_sgpr_private_segment_size 0
		.amdhsa_uses_dynamic_stack 0
		.amdhsa_enable_private_segment 0
		.amdhsa_system_sgpr_workgroup_id_x 1
		.amdhsa_system_sgpr_workgroup_id_y 0
		.amdhsa_system_sgpr_workgroup_id_z 0
		.amdhsa_system_sgpr_workgroup_info 0
		.amdhsa_system_vgpr_workitem_id 0
		.amdhsa_next_free_vgpr 1
		.amdhsa_next_free_sgpr 0
		.amdhsa_accum_offset 4
		.amdhsa_reserve_vcc 0
		.amdhsa_float_round_mode_32 0
		.amdhsa_float_round_mode_16_64 0
		.amdhsa_float_denorm_mode_32 3
		.amdhsa_float_denorm_mode_16_64 3
		.amdhsa_dx10_clamp 1
		.amdhsa_ieee_mode 1
		.amdhsa_fp16_overflow 0
		.amdhsa_tg_split 0
		.amdhsa_exception_fp_ieee_invalid_op 0
		.amdhsa_exception_fp_denorm_src 0
		.amdhsa_exception_fp_ieee_div_zero 0
		.amdhsa_exception_fp_ieee_overflow 0
		.amdhsa_exception_fp_ieee_underflow 0
		.amdhsa_exception_fp_ieee_inexact 0
		.amdhsa_exception_int_div_zero 0
	.end_amdhsa_kernel
	.section	.text._ZN7rocprim17ROCPRIM_400000_NS6detail17trampoline_kernelINS0_14default_configENS1_25partition_config_selectorILNS1_17partition_subalgoE2ExNS0_10empty_typeEbEEZZNS1_14partition_implILS5_2ELb0ES3_jN6thrust23THRUST_200600_302600_NS6detail15normal_iteratorINSA_7pointerIxNSA_11hip_rocprim3tagENSA_11use_defaultESG_EEEEPS6_NSA_18transform_iteratorI10is_orderedNSA_12zip_iteratorINSA_5tupleINSC_INSA_10device_ptrIxEEEESQ_NSA_9null_typeESR_SR_SR_SR_SR_SR_SR_EEEESG_SG_EENS0_5tupleIJPxSJ_EEENSV_IJSJ_SJ_EEES6_PlJS6_EEE10hipError_tPvRmT3_T4_T5_T6_T7_T9_mT8_P12ihipStream_tbDpT10_ENKUlT_T0_E_clISt17integral_constantIbLb1EES1I_IbLb0EEEEDaS1E_S1F_EUlS1E_E_NS1_11comp_targetILNS1_3genE4ELNS1_11target_archE910ELNS1_3gpuE8ELNS1_3repE0EEENS1_30default_config_static_selectorELNS0_4arch9wavefront6targetE1EEEvT1_,"axG",@progbits,_ZN7rocprim17ROCPRIM_400000_NS6detail17trampoline_kernelINS0_14default_configENS1_25partition_config_selectorILNS1_17partition_subalgoE2ExNS0_10empty_typeEbEEZZNS1_14partition_implILS5_2ELb0ES3_jN6thrust23THRUST_200600_302600_NS6detail15normal_iteratorINSA_7pointerIxNSA_11hip_rocprim3tagENSA_11use_defaultESG_EEEEPS6_NSA_18transform_iteratorI10is_orderedNSA_12zip_iteratorINSA_5tupleINSC_INSA_10device_ptrIxEEEESQ_NSA_9null_typeESR_SR_SR_SR_SR_SR_SR_EEEESG_SG_EENS0_5tupleIJPxSJ_EEENSV_IJSJ_SJ_EEES6_PlJS6_EEE10hipError_tPvRmT3_T4_T5_T6_T7_T9_mT8_P12ihipStream_tbDpT10_ENKUlT_T0_E_clISt17integral_constantIbLb1EES1I_IbLb0EEEEDaS1E_S1F_EUlS1E_E_NS1_11comp_targetILNS1_3genE4ELNS1_11target_archE910ELNS1_3gpuE8ELNS1_3repE0EEENS1_30default_config_static_selectorELNS0_4arch9wavefront6targetE1EEEvT1_,comdat
.Lfunc_end3580:
	.size	_ZN7rocprim17ROCPRIM_400000_NS6detail17trampoline_kernelINS0_14default_configENS1_25partition_config_selectorILNS1_17partition_subalgoE2ExNS0_10empty_typeEbEEZZNS1_14partition_implILS5_2ELb0ES3_jN6thrust23THRUST_200600_302600_NS6detail15normal_iteratorINSA_7pointerIxNSA_11hip_rocprim3tagENSA_11use_defaultESG_EEEEPS6_NSA_18transform_iteratorI10is_orderedNSA_12zip_iteratorINSA_5tupleINSC_INSA_10device_ptrIxEEEESQ_NSA_9null_typeESR_SR_SR_SR_SR_SR_SR_EEEESG_SG_EENS0_5tupleIJPxSJ_EEENSV_IJSJ_SJ_EEES6_PlJS6_EEE10hipError_tPvRmT3_T4_T5_T6_T7_T9_mT8_P12ihipStream_tbDpT10_ENKUlT_T0_E_clISt17integral_constantIbLb1EES1I_IbLb0EEEEDaS1E_S1F_EUlS1E_E_NS1_11comp_targetILNS1_3genE4ELNS1_11target_archE910ELNS1_3gpuE8ELNS1_3repE0EEENS1_30default_config_static_selectorELNS0_4arch9wavefront6targetE1EEEvT1_, .Lfunc_end3580-_ZN7rocprim17ROCPRIM_400000_NS6detail17trampoline_kernelINS0_14default_configENS1_25partition_config_selectorILNS1_17partition_subalgoE2ExNS0_10empty_typeEbEEZZNS1_14partition_implILS5_2ELb0ES3_jN6thrust23THRUST_200600_302600_NS6detail15normal_iteratorINSA_7pointerIxNSA_11hip_rocprim3tagENSA_11use_defaultESG_EEEEPS6_NSA_18transform_iteratorI10is_orderedNSA_12zip_iteratorINSA_5tupleINSC_INSA_10device_ptrIxEEEESQ_NSA_9null_typeESR_SR_SR_SR_SR_SR_SR_EEEESG_SG_EENS0_5tupleIJPxSJ_EEENSV_IJSJ_SJ_EEES6_PlJS6_EEE10hipError_tPvRmT3_T4_T5_T6_T7_T9_mT8_P12ihipStream_tbDpT10_ENKUlT_T0_E_clISt17integral_constantIbLb1EES1I_IbLb0EEEEDaS1E_S1F_EUlS1E_E_NS1_11comp_targetILNS1_3genE4ELNS1_11target_archE910ELNS1_3gpuE8ELNS1_3repE0EEENS1_30default_config_static_selectorELNS0_4arch9wavefront6targetE1EEEvT1_
                                        ; -- End function
	.section	.AMDGPU.csdata,"",@progbits
; Kernel info:
; codeLenInByte = 0
; NumSgprs: 6
; NumVgprs: 0
; NumAgprs: 0
; TotalNumVgprs: 0
; ScratchSize: 0
; MemoryBound: 0
; FloatMode: 240
; IeeeMode: 1
; LDSByteSize: 0 bytes/workgroup (compile time only)
; SGPRBlocks: 0
; VGPRBlocks: 0
; NumSGPRsForWavesPerEU: 6
; NumVGPRsForWavesPerEU: 1
; AccumOffset: 4
; Occupancy: 8
; WaveLimiterHint : 0
; COMPUTE_PGM_RSRC2:SCRATCH_EN: 0
; COMPUTE_PGM_RSRC2:USER_SGPR: 2
; COMPUTE_PGM_RSRC2:TRAP_HANDLER: 0
; COMPUTE_PGM_RSRC2:TGID_X_EN: 1
; COMPUTE_PGM_RSRC2:TGID_Y_EN: 0
; COMPUTE_PGM_RSRC2:TGID_Z_EN: 0
; COMPUTE_PGM_RSRC2:TIDIG_COMP_CNT: 0
; COMPUTE_PGM_RSRC3_GFX90A:ACCUM_OFFSET: 0
; COMPUTE_PGM_RSRC3_GFX90A:TG_SPLIT: 0
	.section	.text._ZN7rocprim17ROCPRIM_400000_NS6detail17trampoline_kernelINS0_14default_configENS1_25partition_config_selectorILNS1_17partition_subalgoE2ExNS0_10empty_typeEbEEZZNS1_14partition_implILS5_2ELb0ES3_jN6thrust23THRUST_200600_302600_NS6detail15normal_iteratorINSA_7pointerIxNSA_11hip_rocprim3tagENSA_11use_defaultESG_EEEEPS6_NSA_18transform_iteratorI10is_orderedNSA_12zip_iteratorINSA_5tupleINSC_INSA_10device_ptrIxEEEESQ_NSA_9null_typeESR_SR_SR_SR_SR_SR_SR_EEEESG_SG_EENS0_5tupleIJPxSJ_EEENSV_IJSJ_SJ_EEES6_PlJS6_EEE10hipError_tPvRmT3_T4_T5_T6_T7_T9_mT8_P12ihipStream_tbDpT10_ENKUlT_T0_E_clISt17integral_constantIbLb1EES1I_IbLb0EEEEDaS1E_S1F_EUlS1E_E_NS1_11comp_targetILNS1_3genE3ELNS1_11target_archE908ELNS1_3gpuE7ELNS1_3repE0EEENS1_30default_config_static_selectorELNS0_4arch9wavefront6targetE1EEEvT1_,"axG",@progbits,_ZN7rocprim17ROCPRIM_400000_NS6detail17trampoline_kernelINS0_14default_configENS1_25partition_config_selectorILNS1_17partition_subalgoE2ExNS0_10empty_typeEbEEZZNS1_14partition_implILS5_2ELb0ES3_jN6thrust23THRUST_200600_302600_NS6detail15normal_iteratorINSA_7pointerIxNSA_11hip_rocprim3tagENSA_11use_defaultESG_EEEEPS6_NSA_18transform_iteratorI10is_orderedNSA_12zip_iteratorINSA_5tupleINSC_INSA_10device_ptrIxEEEESQ_NSA_9null_typeESR_SR_SR_SR_SR_SR_SR_EEEESG_SG_EENS0_5tupleIJPxSJ_EEENSV_IJSJ_SJ_EEES6_PlJS6_EEE10hipError_tPvRmT3_T4_T5_T6_T7_T9_mT8_P12ihipStream_tbDpT10_ENKUlT_T0_E_clISt17integral_constantIbLb1EES1I_IbLb0EEEEDaS1E_S1F_EUlS1E_E_NS1_11comp_targetILNS1_3genE3ELNS1_11target_archE908ELNS1_3gpuE7ELNS1_3repE0EEENS1_30default_config_static_selectorELNS0_4arch9wavefront6targetE1EEEvT1_,comdat
	.protected	_ZN7rocprim17ROCPRIM_400000_NS6detail17trampoline_kernelINS0_14default_configENS1_25partition_config_selectorILNS1_17partition_subalgoE2ExNS0_10empty_typeEbEEZZNS1_14partition_implILS5_2ELb0ES3_jN6thrust23THRUST_200600_302600_NS6detail15normal_iteratorINSA_7pointerIxNSA_11hip_rocprim3tagENSA_11use_defaultESG_EEEEPS6_NSA_18transform_iteratorI10is_orderedNSA_12zip_iteratorINSA_5tupleINSC_INSA_10device_ptrIxEEEESQ_NSA_9null_typeESR_SR_SR_SR_SR_SR_SR_EEEESG_SG_EENS0_5tupleIJPxSJ_EEENSV_IJSJ_SJ_EEES6_PlJS6_EEE10hipError_tPvRmT3_T4_T5_T6_T7_T9_mT8_P12ihipStream_tbDpT10_ENKUlT_T0_E_clISt17integral_constantIbLb1EES1I_IbLb0EEEEDaS1E_S1F_EUlS1E_E_NS1_11comp_targetILNS1_3genE3ELNS1_11target_archE908ELNS1_3gpuE7ELNS1_3repE0EEENS1_30default_config_static_selectorELNS0_4arch9wavefront6targetE1EEEvT1_ ; -- Begin function _ZN7rocprim17ROCPRIM_400000_NS6detail17trampoline_kernelINS0_14default_configENS1_25partition_config_selectorILNS1_17partition_subalgoE2ExNS0_10empty_typeEbEEZZNS1_14partition_implILS5_2ELb0ES3_jN6thrust23THRUST_200600_302600_NS6detail15normal_iteratorINSA_7pointerIxNSA_11hip_rocprim3tagENSA_11use_defaultESG_EEEEPS6_NSA_18transform_iteratorI10is_orderedNSA_12zip_iteratorINSA_5tupleINSC_INSA_10device_ptrIxEEEESQ_NSA_9null_typeESR_SR_SR_SR_SR_SR_SR_EEEESG_SG_EENS0_5tupleIJPxSJ_EEENSV_IJSJ_SJ_EEES6_PlJS6_EEE10hipError_tPvRmT3_T4_T5_T6_T7_T9_mT8_P12ihipStream_tbDpT10_ENKUlT_T0_E_clISt17integral_constantIbLb1EES1I_IbLb0EEEEDaS1E_S1F_EUlS1E_E_NS1_11comp_targetILNS1_3genE3ELNS1_11target_archE908ELNS1_3gpuE7ELNS1_3repE0EEENS1_30default_config_static_selectorELNS0_4arch9wavefront6targetE1EEEvT1_
	.globl	_ZN7rocprim17ROCPRIM_400000_NS6detail17trampoline_kernelINS0_14default_configENS1_25partition_config_selectorILNS1_17partition_subalgoE2ExNS0_10empty_typeEbEEZZNS1_14partition_implILS5_2ELb0ES3_jN6thrust23THRUST_200600_302600_NS6detail15normal_iteratorINSA_7pointerIxNSA_11hip_rocprim3tagENSA_11use_defaultESG_EEEEPS6_NSA_18transform_iteratorI10is_orderedNSA_12zip_iteratorINSA_5tupleINSC_INSA_10device_ptrIxEEEESQ_NSA_9null_typeESR_SR_SR_SR_SR_SR_SR_EEEESG_SG_EENS0_5tupleIJPxSJ_EEENSV_IJSJ_SJ_EEES6_PlJS6_EEE10hipError_tPvRmT3_T4_T5_T6_T7_T9_mT8_P12ihipStream_tbDpT10_ENKUlT_T0_E_clISt17integral_constantIbLb1EES1I_IbLb0EEEEDaS1E_S1F_EUlS1E_E_NS1_11comp_targetILNS1_3genE3ELNS1_11target_archE908ELNS1_3gpuE7ELNS1_3repE0EEENS1_30default_config_static_selectorELNS0_4arch9wavefront6targetE1EEEvT1_
	.p2align	8
	.type	_ZN7rocprim17ROCPRIM_400000_NS6detail17trampoline_kernelINS0_14default_configENS1_25partition_config_selectorILNS1_17partition_subalgoE2ExNS0_10empty_typeEbEEZZNS1_14partition_implILS5_2ELb0ES3_jN6thrust23THRUST_200600_302600_NS6detail15normal_iteratorINSA_7pointerIxNSA_11hip_rocprim3tagENSA_11use_defaultESG_EEEEPS6_NSA_18transform_iteratorI10is_orderedNSA_12zip_iteratorINSA_5tupleINSC_INSA_10device_ptrIxEEEESQ_NSA_9null_typeESR_SR_SR_SR_SR_SR_SR_EEEESG_SG_EENS0_5tupleIJPxSJ_EEENSV_IJSJ_SJ_EEES6_PlJS6_EEE10hipError_tPvRmT3_T4_T5_T6_T7_T9_mT8_P12ihipStream_tbDpT10_ENKUlT_T0_E_clISt17integral_constantIbLb1EES1I_IbLb0EEEEDaS1E_S1F_EUlS1E_E_NS1_11comp_targetILNS1_3genE3ELNS1_11target_archE908ELNS1_3gpuE7ELNS1_3repE0EEENS1_30default_config_static_selectorELNS0_4arch9wavefront6targetE1EEEvT1_,@function
_ZN7rocprim17ROCPRIM_400000_NS6detail17trampoline_kernelINS0_14default_configENS1_25partition_config_selectorILNS1_17partition_subalgoE2ExNS0_10empty_typeEbEEZZNS1_14partition_implILS5_2ELb0ES3_jN6thrust23THRUST_200600_302600_NS6detail15normal_iteratorINSA_7pointerIxNSA_11hip_rocprim3tagENSA_11use_defaultESG_EEEEPS6_NSA_18transform_iteratorI10is_orderedNSA_12zip_iteratorINSA_5tupleINSC_INSA_10device_ptrIxEEEESQ_NSA_9null_typeESR_SR_SR_SR_SR_SR_SR_EEEESG_SG_EENS0_5tupleIJPxSJ_EEENSV_IJSJ_SJ_EEES6_PlJS6_EEE10hipError_tPvRmT3_T4_T5_T6_T7_T9_mT8_P12ihipStream_tbDpT10_ENKUlT_T0_E_clISt17integral_constantIbLb1EES1I_IbLb0EEEEDaS1E_S1F_EUlS1E_E_NS1_11comp_targetILNS1_3genE3ELNS1_11target_archE908ELNS1_3gpuE7ELNS1_3repE0EEENS1_30default_config_static_selectorELNS0_4arch9wavefront6targetE1EEEvT1_: ; @_ZN7rocprim17ROCPRIM_400000_NS6detail17trampoline_kernelINS0_14default_configENS1_25partition_config_selectorILNS1_17partition_subalgoE2ExNS0_10empty_typeEbEEZZNS1_14partition_implILS5_2ELb0ES3_jN6thrust23THRUST_200600_302600_NS6detail15normal_iteratorINSA_7pointerIxNSA_11hip_rocprim3tagENSA_11use_defaultESG_EEEEPS6_NSA_18transform_iteratorI10is_orderedNSA_12zip_iteratorINSA_5tupleINSC_INSA_10device_ptrIxEEEESQ_NSA_9null_typeESR_SR_SR_SR_SR_SR_SR_EEEESG_SG_EENS0_5tupleIJPxSJ_EEENSV_IJSJ_SJ_EEES6_PlJS6_EEE10hipError_tPvRmT3_T4_T5_T6_T7_T9_mT8_P12ihipStream_tbDpT10_ENKUlT_T0_E_clISt17integral_constantIbLb1EES1I_IbLb0EEEEDaS1E_S1F_EUlS1E_E_NS1_11comp_targetILNS1_3genE3ELNS1_11target_archE908ELNS1_3gpuE7ELNS1_3repE0EEENS1_30default_config_static_selectorELNS0_4arch9wavefront6targetE1EEEvT1_
; %bb.0:
	.section	.rodata,"a",@progbits
	.p2align	6, 0x0
	.amdhsa_kernel _ZN7rocprim17ROCPRIM_400000_NS6detail17trampoline_kernelINS0_14default_configENS1_25partition_config_selectorILNS1_17partition_subalgoE2ExNS0_10empty_typeEbEEZZNS1_14partition_implILS5_2ELb0ES3_jN6thrust23THRUST_200600_302600_NS6detail15normal_iteratorINSA_7pointerIxNSA_11hip_rocprim3tagENSA_11use_defaultESG_EEEEPS6_NSA_18transform_iteratorI10is_orderedNSA_12zip_iteratorINSA_5tupleINSC_INSA_10device_ptrIxEEEESQ_NSA_9null_typeESR_SR_SR_SR_SR_SR_SR_EEEESG_SG_EENS0_5tupleIJPxSJ_EEENSV_IJSJ_SJ_EEES6_PlJS6_EEE10hipError_tPvRmT3_T4_T5_T6_T7_T9_mT8_P12ihipStream_tbDpT10_ENKUlT_T0_E_clISt17integral_constantIbLb1EES1I_IbLb0EEEEDaS1E_S1F_EUlS1E_E_NS1_11comp_targetILNS1_3genE3ELNS1_11target_archE908ELNS1_3gpuE7ELNS1_3repE0EEENS1_30default_config_static_selectorELNS0_4arch9wavefront6targetE1EEEvT1_
		.amdhsa_group_segment_fixed_size 0
		.amdhsa_private_segment_fixed_size 0
		.amdhsa_kernarg_size 136
		.amdhsa_user_sgpr_count 2
		.amdhsa_user_sgpr_dispatch_ptr 0
		.amdhsa_user_sgpr_queue_ptr 0
		.amdhsa_user_sgpr_kernarg_segment_ptr 1
		.amdhsa_user_sgpr_dispatch_id 0
		.amdhsa_user_sgpr_kernarg_preload_length 0
		.amdhsa_user_sgpr_kernarg_preload_offset 0
		.amdhsa_user_sgpr_private_segment_size 0
		.amdhsa_uses_dynamic_stack 0
		.amdhsa_enable_private_segment 0
		.amdhsa_system_sgpr_workgroup_id_x 1
		.amdhsa_system_sgpr_workgroup_id_y 0
		.amdhsa_system_sgpr_workgroup_id_z 0
		.amdhsa_system_sgpr_workgroup_info 0
		.amdhsa_system_vgpr_workitem_id 0
		.amdhsa_next_free_vgpr 1
		.amdhsa_next_free_sgpr 0
		.amdhsa_accum_offset 4
		.amdhsa_reserve_vcc 0
		.amdhsa_float_round_mode_32 0
		.amdhsa_float_round_mode_16_64 0
		.amdhsa_float_denorm_mode_32 3
		.amdhsa_float_denorm_mode_16_64 3
		.amdhsa_dx10_clamp 1
		.amdhsa_ieee_mode 1
		.amdhsa_fp16_overflow 0
		.amdhsa_tg_split 0
		.amdhsa_exception_fp_ieee_invalid_op 0
		.amdhsa_exception_fp_denorm_src 0
		.amdhsa_exception_fp_ieee_div_zero 0
		.amdhsa_exception_fp_ieee_overflow 0
		.amdhsa_exception_fp_ieee_underflow 0
		.amdhsa_exception_fp_ieee_inexact 0
		.amdhsa_exception_int_div_zero 0
	.end_amdhsa_kernel
	.section	.text._ZN7rocprim17ROCPRIM_400000_NS6detail17trampoline_kernelINS0_14default_configENS1_25partition_config_selectorILNS1_17partition_subalgoE2ExNS0_10empty_typeEbEEZZNS1_14partition_implILS5_2ELb0ES3_jN6thrust23THRUST_200600_302600_NS6detail15normal_iteratorINSA_7pointerIxNSA_11hip_rocprim3tagENSA_11use_defaultESG_EEEEPS6_NSA_18transform_iteratorI10is_orderedNSA_12zip_iteratorINSA_5tupleINSC_INSA_10device_ptrIxEEEESQ_NSA_9null_typeESR_SR_SR_SR_SR_SR_SR_EEEESG_SG_EENS0_5tupleIJPxSJ_EEENSV_IJSJ_SJ_EEES6_PlJS6_EEE10hipError_tPvRmT3_T4_T5_T6_T7_T9_mT8_P12ihipStream_tbDpT10_ENKUlT_T0_E_clISt17integral_constantIbLb1EES1I_IbLb0EEEEDaS1E_S1F_EUlS1E_E_NS1_11comp_targetILNS1_3genE3ELNS1_11target_archE908ELNS1_3gpuE7ELNS1_3repE0EEENS1_30default_config_static_selectorELNS0_4arch9wavefront6targetE1EEEvT1_,"axG",@progbits,_ZN7rocprim17ROCPRIM_400000_NS6detail17trampoline_kernelINS0_14default_configENS1_25partition_config_selectorILNS1_17partition_subalgoE2ExNS0_10empty_typeEbEEZZNS1_14partition_implILS5_2ELb0ES3_jN6thrust23THRUST_200600_302600_NS6detail15normal_iteratorINSA_7pointerIxNSA_11hip_rocprim3tagENSA_11use_defaultESG_EEEEPS6_NSA_18transform_iteratorI10is_orderedNSA_12zip_iteratorINSA_5tupleINSC_INSA_10device_ptrIxEEEESQ_NSA_9null_typeESR_SR_SR_SR_SR_SR_SR_EEEESG_SG_EENS0_5tupleIJPxSJ_EEENSV_IJSJ_SJ_EEES6_PlJS6_EEE10hipError_tPvRmT3_T4_T5_T6_T7_T9_mT8_P12ihipStream_tbDpT10_ENKUlT_T0_E_clISt17integral_constantIbLb1EES1I_IbLb0EEEEDaS1E_S1F_EUlS1E_E_NS1_11comp_targetILNS1_3genE3ELNS1_11target_archE908ELNS1_3gpuE7ELNS1_3repE0EEENS1_30default_config_static_selectorELNS0_4arch9wavefront6targetE1EEEvT1_,comdat
.Lfunc_end3581:
	.size	_ZN7rocprim17ROCPRIM_400000_NS6detail17trampoline_kernelINS0_14default_configENS1_25partition_config_selectorILNS1_17partition_subalgoE2ExNS0_10empty_typeEbEEZZNS1_14partition_implILS5_2ELb0ES3_jN6thrust23THRUST_200600_302600_NS6detail15normal_iteratorINSA_7pointerIxNSA_11hip_rocprim3tagENSA_11use_defaultESG_EEEEPS6_NSA_18transform_iteratorI10is_orderedNSA_12zip_iteratorINSA_5tupleINSC_INSA_10device_ptrIxEEEESQ_NSA_9null_typeESR_SR_SR_SR_SR_SR_SR_EEEESG_SG_EENS0_5tupleIJPxSJ_EEENSV_IJSJ_SJ_EEES6_PlJS6_EEE10hipError_tPvRmT3_T4_T5_T6_T7_T9_mT8_P12ihipStream_tbDpT10_ENKUlT_T0_E_clISt17integral_constantIbLb1EES1I_IbLb0EEEEDaS1E_S1F_EUlS1E_E_NS1_11comp_targetILNS1_3genE3ELNS1_11target_archE908ELNS1_3gpuE7ELNS1_3repE0EEENS1_30default_config_static_selectorELNS0_4arch9wavefront6targetE1EEEvT1_, .Lfunc_end3581-_ZN7rocprim17ROCPRIM_400000_NS6detail17trampoline_kernelINS0_14default_configENS1_25partition_config_selectorILNS1_17partition_subalgoE2ExNS0_10empty_typeEbEEZZNS1_14partition_implILS5_2ELb0ES3_jN6thrust23THRUST_200600_302600_NS6detail15normal_iteratorINSA_7pointerIxNSA_11hip_rocprim3tagENSA_11use_defaultESG_EEEEPS6_NSA_18transform_iteratorI10is_orderedNSA_12zip_iteratorINSA_5tupleINSC_INSA_10device_ptrIxEEEESQ_NSA_9null_typeESR_SR_SR_SR_SR_SR_SR_EEEESG_SG_EENS0_5tupleIJPxSJ_EEENSV_IJSJ_SJ_EEES6_PlJS6_EEE10hipError_tPvRmT3_T4_T5_T6_T7_T9_mT8_P12ihipStream_tbDpT10_ENKUlT_T0_E_clISt17integral_constantIbLb1EES1I_IbLb0EEEEDaS1E_S1F_EUlS1E_E_NS1_11comp_targetILNS1_3genE3ELNS1_11target_archE908ELNS1_3gpuE7ELNS1_3repE0EEENS1_30default_config_static_selectorELNS0_4arch9wavefront6targetE1EEEvT1_
                                        ; -- End function
	.section	.AMDGPU.csdata,"",@progbits
; Kernel info:
; codeLenInByte = 0
; NumSgprs: 6
; NumVgprs: 0
; NumAgprs: 0
; TotalNumVgprs: 0
; ScratchSize: 0
; MemoryBound: 0
; FloatMode: 240
; IeeeMode: 1
; LDSByteSize: 0 bytes/workgroup (compile time only)
; SGPRBlocks: 0
; VGPRBlocks: 0
; NumSGPRsForWavesPerEU: 6
; NumVGPRsForWavesPerEU: 1
; AccumOffset: 4
; Occupancy: 8
; WaveLimiterHint : 0
; COMPUTE_PGM_RSRC2:SCRATCH_EN: 0
; COMPUTE_PGM_RSRC2:USER_SGPR: 2
; COMPUTE_PGM_RSRC2:TRAP_HANDLER: 0
; COMPUTE_PGM_RSRC2:TGID_X_EN: 1
; COMPUTE_PGM_RSRC2:TGID_Y_EN: 0
; COMPUTE_PGM_RSRC2:TGID_Z_EN: 0
; COMPUTE_PGM_RSRC2:TIDIG_COMP_CNT: 0
; COMPUTE_PGM_RSRC3_GFX90A:ACCUM_OFFSET: 0
; COMPUTE_PGM_RSRC3_GFX90A:TG_SPLIT: 0
	.section	.text._ZN7rocprim17ROCPRIM_400000_NS6detail17trampoline_kernelINS0_14default_configENS1_25partition_config_selectorILNS1_17partition_subalgoE2ExNS0_10empty_typeEbEEZZNS1_14partition_implILS5_2ELb0ES3_jN6thrust23THRUST_200600_302600_NS6detail15normal_iteratorINSA_7pointerIxNSA_11hip_rocprim3tagENSA_11use_defaultESG_EEEEPS6_NSA_18transform_iteratorI10is_orderedNSA_12zip_iteratorINSA_5tupleINSC_INSA_10device_ptrIxEEEESQ_NSA_9null_typeESR_SR_SR_SR_SR_SR_SR_EEEESG_SG_EENS0_5tupleIJPxSJ_EEENSV_IJSJ_SJ_EEES6_PlJS6_EEE10hipError_tPvRmT3_T4_T5_T6_T7_T9_mT8_P12ihipStream_tbDpT10_ENKUlT_T0_E_clISt17integral_constantIbLb1EES1I_IbLb0EEEEDaS1E_S1F_EUlS1E_E_NS1_11comp_targetILNS1_3genE2ELNS1_11target_archE906ELNS1_3gpuE6ELNS1_3repE0EEENS1_30default_config_static_selectorELNS0_4arch9wavefront6targetE1EEEvT1_,"axG",@progbits,_ZN7rocprim17ROCPRIM_400000_NS6detail17trampoline_kernelINS0_14default_configENS1_25partition_config_selectorILNS1_17partition_subalgoE2ExNS0_10empty_typeEbEEZZNS1_14partition_implILS5_2ELb0ES3_jN6thrust23THRUST_200600_302600_NS6detail15normal_iteratorINSA_7pointerIxNSA_11hip_rocprim3tagENSA_11use_defaultESG_EEEEPS6_NSA_18transform_iteratorI10is_orderedNSA_12zip_iteratorINSA_5tupleINSC_INSA_10device_ptrIxEEEESQ_NSA_9null_typeESR_SR_SR_SR_SR_SR_SR_EEEESG_SG_EENS0_5tupleIJPxSJ_EEENSV_IJSJ_SJ_EEES6_PlJS6_EEE10hipError_tPvRmT3_T4_T5_T6_T7_T9_mT8_P12ihipStream_tbDpT10_ENKUlT_T0_E_clISt17integral_constantIbLb1EES1I_IbLb0EEEEDaS1E_S1F_EUlS1E_E_NS1_11comp_targetILNS1_3genE2ELNS1_11target_archE906ELNS1_3gpuE6ELNS1_3repE0EEENS1_30default_config_static_selectorELNS0_4arch9wavefront6targetE1EEEvT1_,comdat
	.protected	_ZN7rocprim17ROCPRIM_400000_NS6detail17trampoline_kernelINS0_14default_configENS1_25partition_config_selectorILNS1_17partition_subalgoE2ExNS0_10empty_typeEbEEZZNS1_14partition_implILS5_2ELb0ES3_jN6thrust23THRUST_200600_302600_NS6detail15normal_iteratorINSA_7pointerIxNSA_11hip_rocprim3tagENSA_11use_defaultESG_EEEEPS6_NSA_18transform_iteratorI10is_orderedNSA_12zip_iteratorINSA_5tupleINSC_INSA_10device_ptrIxEEEESQ_NSA_9null_typeESR_SR_SR_SR_SR_SR_SR_EEEESG_SG_EENS0_5tupleIJPxSJ_EEENSV_IJSJ_SJ_EEES6_PlJS6_EEE10hipError_tPvRmT3_T4_T5_T6_T7_T9_mT8_P12ihipStream_tbDpT10_ENKUlT_T0_E_clISt17integral_constantIbLb1EES1I_IbLb0EEEEDaS1E_S1F_EUlS1E_E_NS1_11comp_targetILNS1_3genE2ELNS1_11target_archE906ELNS1_3gpuE6ELNS1_3repE0EEENS1_30default_config_static_selectorELNS0_4arch9wavefront6targetE1EEEvT1_ ; -- Begin function _ZN7rocprim17ROCPRIM_400000_NS6detail17trampoline_kernelINS0_14default_configENS1_25partition_config_selectorILNS1_17partition_subalgoE2ExNS0_10empty_typeEbEEZZNS1_14partition_implILS5_2ELb0ES3_jN6thrust23THRUST_200600_302600_NS6detail15normal_iteratorINSA_7pointerIxNSA_11hip_rocprim3tagENSA_11use_defaultESG_EEEEPS6_NSA_18transform_iteratorI10is_orderedNSA_12zip_iteratorINSA_5tupleINSC_INSA_10device_ptrIxEEEESQ_NSA_9null_typeESR_SR_SR_SR_SR_SR_SR_EEEESG_SG_EENS0_5tupleIJPxSJ_EEENSV_IJSJ_SJ_EEES6_PlJS6_EEE10hipError_tPvRmT3_T4_T5_T6_T7_T9_mT8_P12ihipStream_tbDpT10_ENKUlT_T0_E_clISt17integral_constantIbLb1EES1I_IbLb0EEEEDaS1E_S1F_EUlS1E_E_NS1_11comp_targetILNS1_3genE2ELNS1_11target_archE906ELNS1_3gpuE6ELNS1_3repE0EEENS1_30default_config_static_selectorELNS0_4arch9wavefront6targetE1EEEvT1_
	.globl	_ZN7rocprim17ROCPRIM_400000_NS6detail17trampoline_kernelINS0_14default_configENS1_25partition_config_selectorILNS1_17partition_subalgoE2ExNS0_10empty_typeEbEEZZNS1_14partition_implILS5_2ELb0ES3_jN6thrust23THRUST_200600_302600_NS6detail15normal_iteratorINSA_7pointerIxNSA_11hip_rocprim3tagENSA_11use_defaultESG_EEEEPS6_NSA_18transform_iteratorI10is_orderedNSA_12zip_iteratorINSA_5tupleINSC_INSA_10device_ptrIxEEEESQ_NSA_9null_typeESR_SR_SR_SR_SR_SR_SR_EEEESG_SG_EENS0_5tupleIJPxSJ_EEENSV_IJSJ_SJ_EEES6_PlJS6_EEE10hipError_tPvRmT3_T4_T5_T6_T7_T9_mT8_P12ihipStream_tbDpT10_ENKUlT_T0_E_clISt17integral_constantIbLb1EES1I_IbLb0EEEEDaS1E_S1F_EUlS1E_E_NS1_11comp_targetILNS1_3genE2ELNS1_11target_archE906ELNS1_3gpuE6ELNS1_3repE0EEENS1_30default_config_static_selectorELNS0_4arch9wavefront6targetE1EEEvT1_
	.p2align	8
	.type	_ZN7rocprim17ROCPRIM_400000_NS6detail17trampoline_kernelINS0_14default_configENS1_25partition_config_selectorILNS1_17partition_subalgoE2ExNS0_10empty_typeEbEEZZNS1_14partition_implILS5_2ELb0ES3_jN6thrust23THRUST_200600_302600_NS6detail15normal_iteratorINSA_7pointerIxNSA_11hip_rocprim3tagENSA_11use_defaultESG_EEEEPS6_NSA_18transform_iteratorI10is_orderedNSA_12zip_iteratorINSA_5tupleINSC_INSA_10device_ptrIxEEEESQ_NSA_9null_typeESR_SR_SR_SR_SR_SR_SR_EEEESG_SG_EENS0_5tupleIJPxSJ_EEENSV_IJSJ_SJ_EEES6_PlJS6_EEE10hipError_tPvRmT3_T4_T5_T6_T7_T9_mT8_P12ihipStream_tbDpT10_ENKUlT_T0_E_clISt17integral_constantIbLb1EES1I_IbLb0EEEEDaS1E_S1F_EUlS1E_E_NS1_11comp_targetILNS1_3genE2ELNS1_11target_archE906ELNS1_3gpuE6ELNS1_3repE0EEENS1_30default_config_static_selectorELNS0_4arch9wavefront6targetE1EEEvT1_,@function
_ZN7rocprim17ROCPRIM_400000_NS6detail17trampoline_kernelINS0_14default_configENS1_25partition_config_selectorILNS1_17partition_subalgoE2ExNS0_10empty_typeEbEEZZNS1_14partition_implILS5_2ELb0ES3_jN6thrust23THRUST_200600_302600_NS6detail15normal_iteratorINSA_7pointerIxNSA_11hip_rocprim3tagENSA_11use_defaultESG_EEEEPS6_NSA_18transform_iteratorI10is_orderedNSA_12zip_iteratorINSA_5tupleINSC_INSA_10device_ptrIxEEEESQ_NSA_9null_typeESR_SR_SR_SR_SR_SR_SR_EEEESG_SG_EENS0_5tupleIJPxSJ_EEENSV_IJSJ_SJ_EEES6_PlJS6_EEE10hipError_tPvRmT3_T4_T5_T6_T7_T9_mT8_P12ihipStream_tbDpT10_ENKUlT_T0_E_clISt17integral_constantIbLb1EES1I_IbLb0EEEEDaS1E_S1F_EUlS1E_E_NS1_11comp_targetILNS1_3genE2ELNS1_11target_archE906ELNS1_3gpuE6ELNS1_3repE0EEENS1_30default_config_static_selectorELNS0_4arch9wavefront6targetE1EEEvT1_: ; @_ZN7rocprim17ROCPRIM_400000_NS6detail17trampoline_kernelINS0_14default_configENS1_25partition_config_selectorILNS1_17partition_subalgoE2ExNS0_10empty_typeEbEEZZNS1_14partition_implILS5_2ELb0ES3_jN6thrust23THRUST_200600_302600_NS6detail15normal_iteratorINSA_7pointerIxNSA_11hip_rocprim3tagENSA_11use_defaultESG_EEEEPS6_NSA_18transform_iteratorI10is_orderedNSA_12zip_iteratorINSA_5tupleINSC_INSA_10device_ptrIxEEEESQ_NSA_9null_typeESR_SR_SR_SR_SR_SR_SR_EEEESG_SG_EENS0_5tupleIJPxSJ_EEENSV_IJSJ_SJ_EEES6_PlJS6_EEE10hipError_tPvRmT3_T4_T5_T6_T7_T9_mT8_P12ihipStream_tbDpT10_ENKUlT_T0_E_clISt17integral_constantIbLb1EES1I_IbLb0EEEEDaS1E_S1F_EUlS1E_E_NS1_11comp_targetILNS1_3genE2ELNS1_11target_archE906ELNS1_3gpuE6ELNS1_3repE0EEENS1_30default_config_static_selectorELNS0_4arch9wavefront6targetE1EEEvT1_
; %bb.0:
	.section	.rodata,"a",@progbits
	.p2align	6, 0x0
	.amdhsa_kernel _ZN7rocprim17ROCPRIM_400000_NS6detail17trampoline_kernelINS0_14default_configENS1_25partition_config_selectorILNS1_17partition_subalgoE2ExNS0_10empty_typeEbEEZZNS1_14partition_implILS5_2ELb0ES3_jN6thrust23THRUST_200600_302600_NS6detail15normal_iteratorINSA_7pointerIxNSA_11hip_rocprim3tagENSA_11use_defaultESG_EEEEPS6_NSA_18transform_iteratorI10is_orderedNSA_12zip_iteratorINSA_5tupleINSC_INSA_10device_ptrIxEEEESQ_NSA_9null_typeESR_SR_SR_SR_SR_SR_SR_EEEESG_SG_EENS0_5tupleIJPxSJ_EEENSV_IJSJ_SJ_EEES6_PlJS6_EEE10hipError_tPvRmT3_T4_T5_T6_T7_T9_mT8_P12ihipStream_tbDpT10_ENKUlT_T0_E_clISt17integral_constantIbLb1EES1I_IbLb0EEEEDaS1E_S1F_EUlS1E_E_NS1_11comp_targetILNS1_3genE2ELNS1_11target_archE906ELNS1_3gpuE6ELNS1_3repE0EEENS1_30default_config_static_selectorELNS0_4arch9wavefront6targetE1EEEvT1_
		.amdhsa_group_segment_fixed_size 0
		.amdhsa_private_segment_fixed_size 0
		.amdhsa_kernarg_size 136
		.amdhsa_user_sgpr_count 2
		.amdhsa_user_sgpr_dispatch_ptr 0
		.amdhsa_user_sgpr_queue_ptr 0
		.amdhsa_user_sgpr_kernarg_segment_ptr 1
		.amdhsa_user_sgpr_dispatch_id 0
		.amdhsa_user_sgpr_kernarg_preload_length 0
		.amdhsa_user_sgpr_kernarg_preload_offset 0
		.amdhsa_user_sgpr_private_segment_size 0
		.amdhsa_uses_dynamic_stack 0
		.amdhsa_enable_private_segment 0
		.amdhsa_system_sgpr_workgroup_id_x 1
		.amdhsa_system_sgpr_workgroup_id_y 0
		.amdhsa_system_sgpr_workgroup_id_z 0
		.amdhsa_system_sgpr_workgroup_info 0
		.amdhsa_system_vgpr_workitem_id 0
		.amdhsa_next_free_vgpr 1
		.amdhsa_next_free_sgpr 0
		.amdhsa_accum_offset 4
		.amdhsa_reserve_vcc 0
		.amdhsa_float_round_mode_32 0
		.amdhsa_float_round_mode_16_64 0
		.amdhsa_float_denorm_mode_32 3
		.amdhsa_float_denorm_mode_16_64 3
		.amdhsa_dx10_clamp 1
		.amdhsa_ieee_mode 1
		.amdhsa_fp16_overflow 0
		.amdhsa_tg_split 0
		.amdhsa_exception_fp_ieee_invalid_op 0
		.amdhsa_exception_fp_denorm_src 0
		.amdhsa_exception_fp_ieee_div_zero 0
		.amdhsa_exception_fp_ieee_overflow 0
		.amdhsa_exception_fp_ieee_underflow 0
		.amdhsa_exception_fp_ieee_inexact 0
		.amdhsa_exception_int_div_zero 0
	.end_amdhsa_kernel
	.section	.text._ZN7rocprim17ROCPRIM_400000_NS6detail17trampoline_kernelINS0_14default_configENS1_25partition_config_selectorILNS1_17partition_subalgoE2ExNS0_10empty_typeEbEEZZNS1_14partition_implILS5_2ELb0ES3_jN6thrust23THRUST_200600_302600_NS6detail15normal_iteratorINSA_7pointerIxNSA_11hip_rocprim3tagENSA_11use_defaultESG_EEEEPS6_NSA_18transform_iteratorI10is_orderedNSA_12zip_iteratorINSA_5tupleINSC_INSA_10device_ptrIxEEEESQ_NSA_9null_typeESR_SR_SR_SR_SR_SR_SR_EEEESG_SG_EENS0_5tupleIJPxSJ_EEENSV_IJSJ_SJ_EEES6_PlJS6_EEE10hipError_tPvRmT3_T4_T5_T6_T7_T9_mT8_P12ihipStream_tbDpT10_ENKUlT_T0_E_clISt17integral_constantIbLb1EES1I_IbLb0EEEEDaS1E_S1F_EUlS1E_E_NS1_11comp_targetILNS1_3genE2ELNS1_11target_archE906ELNS1_3gpuE6ELNS1_3repE0EEENS1_30default_config_static_selectorELNS0_4arch9wavefront6targetE1EEEvT1_,"axG",@progbits,_ZN7rocprim17ROCPRIM_400000_NS6detail17trampoline_kernelINS0_14default_configENS1_25partition_config_selectorILNS1_17partition_subalgoE2ExNS0_10empty_typeEbEEZZNS1_14partition_implILS5_2ELb0ES3_jN6thrust23THRUST_200600_302600_NS6detail15normal_iteratorINSA_7pointerIxNSA_11hip_rocprim3tagENSA_11use_defaultESG_EEEEPS6_NSA_18transform_iteratorI10is_orderedNSA_12zip_iteratorINSA_5tupleINSC_INSA_10device_ptrIxEEEESQ_NSA_9null_typeESR_SR_SR_SR_SR_SR_SR_EEEESG_SG_EENS0_5tupleIJPxSJ_EEENSV_IJSJ_SJ_EEES6_PlJS6_EEE10hipError_tPvRmT3_T4_T5_T6_T7_T9_mT8_P12ihipStream_tbDpT10_ENKUlT_T0_E_clISt17integral_constantIbLb1EES1I_IbLb0EEEEDaS1E_S1F_EUlS1E_E_NS1_11comp_targetILNS1_3genE2ELNS1_11target_archE906ELNS1_3gpuE6ELNS1_3repE0EEENS1_30default_config_static_selectorELNS0_4arch9wavefront6targetE1EEEvT1_,comdat
.Lfunc_end3582:
	.size	_ZN7rocprim17ROCPRIM_400000_NS6detail17trampoline_kernelINS0_14default_configENS1_25partition_config_selectorILNS1_17partition_subalgoE2ExNS0_10empty_typeEbEEZZNS1_14partition_implILS5_2ELb0ES3_jN6thrust23THRUST_200600_302600_NS6detail15normal_iteratorINSA_7pointerIxNSA_11hip_rocprim3tagENSA_11use_defaultESG_EEEEPS6_NSA_18transform_iteratorI10is_orderedNSA_12zip_iteratorINSA_5tupleINSC_INSA_10device_ptrIxEEEESQ_NSA_9null_typeESR_SR_SR_SR_SR_SR_SR_EEEESG_SG_EENS0_5tupleIJPxSJ_EEENSV_IJSJ_SJ_EEES6_PlJS6_EEE10hipError_tPvRmT3_T4_T5_T6_T7_T9_mT8_P12ihipStream_tbDpT10_ENKUlT_T0_E_clISt17integral_constantIbLb1EES1I_IbLb0EEEEDaS1E_S1F_EUlS1E_E_NS1_11comp_targetILNS1_3genE2ELNS1_11target_archE906ELNS1_3gpuE6ELNS1_3repE0EEENS1_30default_config_static_selectorELNS0_4arch9wavefront6targetE1EEEvT1_, .Lfunc_end3582-_ZN7rocprim17ROCPRIM_400000_NS6detail17trampoline_kernelINS0_14default_configENS1_25partition_config_selectorILNS1_17partition_subalgoE2ExNS0_10empty_typeEbEEZZNS1_14partition_implILS5_2ELb0ES3_jN6thrust23THRUST_200600_302600_NS6detail15normal_iteratorINSA_7pointerIxNSA_11hip_rocprim3tagENSA_11use_defaultESG_EEEEPS6_NSA_18transform_iteratorI10is_orderedNSA_12zip_iteratorINSA_5tupleINSC_INSA_10device_ptrIxEEEESQ_NSA_9null_typeESR_SR_SR_SR_SR_SR_SR_EEEESG_SG_EENS0_5tupleIJPxSJ_EEENSV_IJSJ_SJ_EEES6_PlJS6_EEE10hipError_tPvRmT3_T4_T5_T6_T7_T9_mT8_P12ihipStream_tbDpT10_ENKUlT_T0_E_clISt17integral_constantIbLb1EES1I_IbLb0EEEEDaS1E_S1F_EUlS1E_E_NS1_11comp_targetILNS1_3genE2ELNS1_11target_archE906ELNS1_3gpuE6ELNS1_3repE0EEENS1_30default_config_static_selectorELNS0_4arch9wavefront6targetE1EEEvT1_
                                        ; -- End function
	.section	.AMDGPU.csdata,"",@progbits
; Kernel info:
; codeLenInByte = 0
; NumSgprs: 6
; NumVgprs: 0
; NumAgprs: 0
; TotalNumVgprs: 0
; ScratchSize: 0
; MemoryBound: 0
; FloatMode: 240
; IeeeMode: 1
; LDSByteSize: 0 bytes/workgroup (compile time only)
; SGPRBlocks: 0
; VGPRBlocks: 0
; NumSGPRsForWavesPerEU: 6
; NumVGPRsForWavesPerEU: 1
; AccumOffset: 4
; Occupancy: 8
; WaveLimiterHint : 0
; COMPUTE_PGM_RSRC2:SCRATCH_EN: 0
; COMPUTE_PGM_RSRC2:USER_SGPR: 2
; COMPUTE_PGM_RSRC2:TRAP_HANDLER: 0
; COMPUTE_PGM_RSRC2:TGID_X_EN: 1
; COMPUTE_PGM_RSRC2:TGID_Y_EN: 0
; COMPUTE_PGM_RSRC2:TGID_Z_EN: 0
; COMPUTE_PGM_RSRC2:TIDIG_COMP_CNT: 0
; COMPUTE_PGM_RSRC3_GFX90A:ACCUM_OFFSET: 0
; COMPUTE_PGM_RSRC3_GFX90A:TG_SPLIT: 0
	.section	.text._ZN7rocprim17ROCPRIM_400000_NS6detail17trampoline_kernelINS0_14default_configENS1_25partition_config_selectorILNS1_17partition_subalgoE2ExNS0_10empty_typeEbEEZZNS1_14partition_implILS5_2ELb0ES3_jN6thrust23THRUST_200600_302600_NS6detail15normal_iteratorINSA_7pointerIxNSA_11hip_rocprim3tagENSA_11use_defaultESG_EEEEPS6_NSA_18transform_iteratorI10is_orderedNSA_12zip_iteratorINSA_5tupleINSC_INSA_10device_ptrIxEEEESQ_NSA_9null_typeESR_SR_SR_SR_SR_SR_SR_EEEESG_SG_EENS0_5tupleIJPxSJ_EEENSV_IJSJ_SJ_EEES6_PlJS6_EEE10hipError_tPvRmT3_T4_T5_T6_T7_T9_mT8_P12ihipStream_tbDpT10_ENKUlT_T0_E_clISt17integral_constantIbLb1EES1I_IbLb0EEEEDaS1E_S1F_EUlS1E_E_NS1_11comp_targetILNS1_3genE10ELNS1_11target_archE1200ELNS1_3gpuE4ELNS1_3repE0EEENS1_30default_config_static_selectorELNS0_4arch9wavefront6targetE1EEEvT1_,"axG",@progbits,_ZN7rocprim17ROCPRIM_400000_NS6detail17trampoline_kernelINS0_14default_configENS1_25partition_config_selectorILNS1_17partition_subalgoE2ExNS0_10empty_typeEbEEZZNS1_14partition_implILS5_2ELb0ES3_jN6thrust23THRUST_200600_302600_NS6detail15normal_iteratorINSA_7pointerIxNSA_11hip_rocprim3tagENSA_11use_defaultESG_EEEEPS6_NSA_18transform_iteratorI10is_orderedNSA_12zip_iteratorINSA_5tupleINSC_INSA_10device_ptrIxEEEESQ_NSA_9null_typeESR_SR_SR_SR_SR_SR_SR_EEEESG_SG_EENS0_5tupleIJPxSJ_EEENSV_IJSJ_SJ_EEES6_PlJS6_EEE10hipError_tPvRmT3_T4_T5_T6_T7_T9_mT8_P12ihipStream_tbDpT10_ENKUlT_T0_E_clISt17integral_constantIbLb1EES1I_IbLb0EEEEDaS1E_S1F_EUlS1E_E_NS1_11comp_targetILNS1_3genE10ELNS1_11target_archE1200ELNS1_3gpuE4ELNS1_3repE0EEENS1_30default_config_static_selectorELNS0_4arch9wavefront6targetE1EEEvT1_,comdat
	.protected	_ZN7rocprim17ROCPRIM_400000_NS6detail17trampoline_kernelINS0_14default_configENS1_25partition_config_selectorILNS1_17partition_subalgoE2ExNS0_10empty_typeEbEEZZNS1_14partition_implILS5_2ELb0ES3_jN6thrust23THRUST_200600_302600_NS6detail15normal_iteratorINSA_7pointerIxNSA_11hip_rocprim3tagENSA_11use_defaultESG_EEEEPS6_NSA_18transform_iteratorI10is_orderedNSA_12zip_iteratorINSA_5tupleINSC_INSA_10device_ptrIxEEEESQ_NSA_9null_typeESR_SR_SR_SR_SR_SR_SR_EEEESG_SG_EENS0_5tupleIJPxSJ_EEENSV_IJSJ_SJ_EEES6_PlJS6_EEE10hipError_tPvRmT3_T4_T5_T6_T7_T9_mT8_P12ihipStream_tbDpT10_ENKUlT_T0_E_clISt17integral_constantIbLb1EES1I_IbLb0EEEEDaS1E_S1F_EUlS1E_E_NS1_11comp_targetILNS1_3genE10ELNS1_11target_archE1200ELNS1_3gpuE4ELNS1_3repE0EEENS1_30default_config_static_selectorELNS0_4arch9wavefront6targetE1EEEvT1_ ; -- Begin function _ZN7rocprim17ROCPRIM_400000_NS6detail17trampoline_kernelINS0_14default_configENS1_25partition_config_selectorILNS1_17partition_subalgoE2ExNS0_10empty_typeEbEEZZNS1_14partition_implILS5_2ELb0ES3_jN6thrust23THRUST_200600_302600_NS6detail15normal_iteratorINSA_7pointerIxNSA_11hip_rocprim3tagENSA_11use_defaultESG_EEEEPS6_NSA_18transform_iteratorI10is_orderedNSA_12zip_iteratorINSA_5tupleINSC_INSA_10device_ptrIxEEEESQ_NSA_9null_typeESR_SR_SR_SR_SR_SR_SR_EEEESG_SG_EENS0_5tupleIJPxSJ_EEENSV_IJSJ_SJ_EEES6_PlJS6_EEE10hipError_tPvRmT3_T4_T5_T6_T7_T9_mT8_P12ihipStream_tbDpT10_ENKUlT_T0_E_clISt17integral_constantIbLb1EES1I_IbLb0EEEEDaS1E_S1F_EUlS1E_E_NS1_11comp_targetILNS1_3genE10ELNS1_11target_archE1200ELNS1_3gpuE4ELNS1_3repE0EEENS1_30default_config_static_selectorELNS0_4arch9wavefront6targetE1EEEvT1_
	.globl	_ZN7rocprim17ROCPRIM_400000_NS6detail17trampoline_kernelINS0_14default_configENS1_25partition_config_selectorILNS1_17partition_subalgoE2ExNS0_10empty_typeEbEEZZNS1_14partition_implILS5_2ELb0ES3_jN6thrust23THRUST_200600_302600_NS6detail15normal_iteratorINSA_7pointerIxNSA_11hip_rocprim3tagENSA_11use_defaultESG_EEEEPS6_NSA_18transform_iteratorI10is_orderedNSA_12zip_iteratorINSA_5tupleINSC_INSA_10device_ptrIxEEEESQ_NSA_9null_typeESR_SR_SR_SR_SR_SR_SR_EEEESG_SG_EENS0_5tupleIJPxSJ_EEENSV_IJSJ_SJ_EEES6_PlJS6_EEE10hipError_tPvRmT3_T4_T5_T6_T7_T9_mT8_P12ihipStream_tbDpT10_ENKUlT_T0_E_clISt17integral_constantIbLb1EES1I_IbLb0EEEEDaS1E_S1F_EUlS1E_E_NS1_11comp_targetILNS1_3genE10ELNS1_11target_archE1200ELNS1_3gpuE4ELNS1_3repE0EEENS1_30default_config_static_selectorELNS0_4arch9wavefront6targetE1EEEvT1_
	.p2align	8
	.type	_ZN7rocprim17ROCPRIM_400000_NS6detail17trampoline_kernelINS0_14default_configENS1_25partition_config_selectorILNS1_17partition_subalgoE2ExNS0_10empty_typeEbEEZZNS1_14partition_implILS5_2ELb0ES3_jN6thrust23THRUST_200600_302600_NS6detail15normal_iteratorINSA_7pointerIxNSA_11hip_rocprim3tagENSA_11use_defaultESG_EEEEPS6_NSA_18transform_iteratorI10is_orderedNSA_12zip_iteratorINSA_5tupleINSC_INSA_10device_ptrIxEEEESQ_NSA_9null_typeESR_SR_SR_SR_SR_SR_SR_EEEESG_SG_EENS0_5tupleIJPxSJ_EEENSV_IJSJ_SJ_EEES6_PlJS6_EEE10hipError_tPvRmT3_T4_T5_T6_T7_T9_mT8_P12ihipStream_tbDpT10_ENKUlT_T0_E_clISt17integral_constantIbLb1EES1I_IbLb0EEEEDaS1E_S1F_EUlS1E_E_NS1_11comp_targetILNS1_3genE10ELNS1_11target_archE1200ELNS1_3gpuE4ELNS1_3repE0EEENS1_30default_config_static_selectorELNS0_4arch9wavefront6targetE1EEEvT1_,@function
_ZN7rocprim17ROCPRIM_400000_NS6detail17trampoline_kernelINS0_14default_configENS1_25partition_config_selectorILNS1_17partition_subalgoE2ExNS0_10empty_typeEbEEZZNS1_14partition_implILS5_2ELb0ES3_jN6thrust23THRUST_200600_302600_NS6detail15normal_iteratorINSA_7pointerIxNSA_11hip_rocprim3tagENSA_11use_defaultESG_EEEEPS6_NSA_18transform_iteratorI10is_orderedNSA_12zip_iteratorINSA_5tupleINSC_INSA_10device_ptrIxEEEESQ_NSA_9null_typeESR_SR_SR_SR_SR_SR_SR_EEEESG_SG_EENS0_5tupleIJPxSJ_EEENSV_IJSJ_SJ_EEES6_PlJS6_EEE10hipError_tPvRmT3_T4_T5_T6_T7_T9_mT8_P12ihipStream_tbDpT10_ENKUlT_T0_E_clISt17integral_constantIbLb1EES1I_IbLb0EEEEDaS1E_S1F_EUlS1E_E_NS1_11comp_targetILNS1_3genE10ELNS1_11target_archE1200ELNS1_3gpuE4ELNS1_3repE0EEENS1_30default_config_static_selectorELNS0_4arch9wavefront6targetE1EEEvT1_: ; @_ZN7rocprim17ROCPRIM_400000_NS6detail17trampoline_kernelINS0_14default_configENS1_25partition_config_selectorILNS1_17partition_subalgoE2ExNS0_10empty_typeEbEEZZNS1_14partition_implILS5_2ELb0ES3_jN6thrust23THRUST_200600_302600_NS6detail15normal_iteratorINSA_7pointerIxNSA_11hip_rocprim3tagENSA_11use_defaultESG_EEEEPS6_NSA_18transform_iteratorI10is_orderedNSA_12zip_iteratorINSA_5tupleINSC_INSA_10device_ptrIxEEEESQ_NSA_9null_typeESR_SR_SR_SR_SR_SR_SR_EEEESG_SG_EENS0_5tupleIJPxSJ_EEENSV_IJSJ_SJ_EEES6_PlJS6_EEE10hipError_tPvRmT3_T4_T5_T6_T7_T9_mT8_P12ihipStream_tbDpT10_ENKUlT_T0_E_clISt17integral_constantIbLb1EES1I_IbLb0EEEEDaS1E_S1F_EUlS1E_E_NS1_11comp_targetILNS1_3genE10ELNS1_11target_archE1200ELNS1_3gpuE4ELNS1_3repE0EEENS1_30default_config_static_selectorELNS0_4arch9wavefront6targetE1EEEvT1_
; %bb.0:
	.section	.rodata,"a",@progbits
	.p2align	6, 0x0
	.amdhsa_kernel _ZN7rocprim17ROCPRIM_400000_NS6detail17trampoline_kernelINS0_14default_configENS1_25partition_config_selectorILNS1_17partition_subalgoE2ExNS0_10empty_typeEbEEZZNS1_14partition_implILS5_2ELb0ES3_jN6thrust23THRUST_200600_302600_NS6detail15normal_iteratorINSA_7pointerIxNSA_11hip_rocprim3tagENSA_11use_defaultESG_EEEEPS6_NSA_18transform_iteratorI10is_orderedNSA_12zip_iteratorINSA_5tupleINSC_INSA_10device_ptrIxEEEESQ_NSA_9null_typeESR_SR_SR_SR_SR_SR_SR_EEEESG_SG_EENS0_5tupleIJPxSJ_EEENSV_IJSJ_SJ_EEES6_PlJS6_EEE10hipError_tPvRmT3_T4_T5_T6_T7_T9_mT8_P12ihipStream_tbDpT10_ENKUlT_T0_E_clISt17integral_constantIbLb1EES1I_IbLb0EEEEDaS1E_S1F_EUlS1E_E_NS1_11comp_targetILNS1_3genE10ELNS1_11target_archE1200ELNS1_3gpuE4ELNS1_3repE0EEENS1_30default_config_static_selectorELNS0_4arch9wavefront6targetE1EEEvT1_
		.amdhsa_group_segment_fixed_size 0
		.amdhsa_private_segment_fixed_size 0
		.amdhsa_kernarg_size 136
		.amdhsa_user_sgpr_count 2
		.amdhsa_user_sgpr_dispatch_ptr 0
		.amdhsa_user_sgpr_queue_ptr 0
		.amdhsa_user_sgpr_kernarg_segment_ptr 1
		.amdhsa_user_sgpr_dispatch_id 0
		.amdhsa_user_sgpr_kernarg_preload_length 0
		.amdhsa_user_sgpr_kernarg_preload_offset 0
		.amdhsa_user_sgpr_private_segment_size 0
		.amdhsa_uses_dynamic_stack 0
		.amdhsa_enable_private_segment 0
		.amdhsa_system_sgpr_workgroup_id_x 1
		.amdhsa_system_sgpr_workgroup_id_y 0
		.amdhsa_system_sgpr_workgroup_id_z 0
		.amdhsa_system_sgpr_workgroup_info 0
		.amdhsa_system_vgpr_workitem_id 0
		.amdhsa_next_free_vgpr 1
		.amdhsa_next_free_sgpr 0
		.amdhsa_accum_offset 4
		.amdhsa_reserve_vcc 0
		.amdhsa_float_round_mode_32 0
		.amdhsa_float_round_mode_16_64 0
		.amdhsa_float_denorm_mode_32 3
		.amdhsa_float_denorm_mode_16_64 3
		.amdhsa_dx10_clamp 1
		.amdhsa_ieee_mode 1
		.amdhsa_fp16_overflow 0
		.amdhsa_tg_split 0
		.amdhsa_exception_fp_ieee_invalid_op 0
		.amdhsa_exception_fp_denorm_src 0
		.amdhsa_exception_fp_ieee_div_zero 0
		.amdhsa_exception_fp_ieee_overflow 0
		.amdhsa_exception_fp_ieee_underflow 0
		.amdhsa_exception_fp_ieee_inexact 0
		.amdhsa_exception_int_div_zero 0
	.end_amdhsa_kernel
	.section	.text._ZN7rocprim17ROCPRIM_400000_NS6detail17trampoline_kernelINS0_14default_configENS1_25partition_config_selectorILNS1_17partition_subalgoE2ExNS0_10empty_typeEbEEZZNS1_14partition_implILS5_2ELb0ES3_jN6thrust23THRUST_200600_302600_NS6detail15normal_iteratorINSA_7pointerIxNSA_11hip_rocprim3tagENSA_11use_defaultESG_EEEEPS6_NSA_18transform_iteratorI10is_orderedNSA_12zip_iteratorINSA_5tupleINSC_INSA_10device_ptrIxEEEESQ_NSA_9null_typeESR_SR_SR_SR_SR_SR_SR_EEEESG_SG_EENS0_5tupleIJPxSJ_EEENSV_IJSJ_SJ_EEES6_PlJS6_EEE10hipError_tPvRmT3_T4_T5_T6_T7_T9_mT8_P12ihipStream_tbDpT10_ENKUlT_T0_E_clISt17integral_constantIbLb1EES1I_IbLb0EEEEDaS1E_S1F_EUlS1E_E_NS1_11comp_targetILNS1_3genE10ELNS1_11target_archE1200ELNS1_3gpuE4ELNS1_3repE0EEENS1_30default_config_static_selectorELNS0_4arch9wavefront6targetE1EEEvT1_,"axG",@progbits,_ZN7rocprim17ROCPRIM_400000_NS6detail17trampoline_kernelINS0_14default_configENS1_25partition_config_selectorILNS1_17partition_subalgoE2ExNS0_10empty_typeEbEEZZNS1_14partition_implILS5_2ELb0ES3_jN6thrust23THRUST_200600_302600_NS6detail15normal_iteratorINSA_7pointerIxNSA_11hip_rocprim3tagENSA_11use_defaultESG_EEEEPS6_NSA_18transform_iteratorI10is_orderedNSA_12zip_iteratorINSA_5tupleINSC_INSA_10device_ptrIxEEEESQ_NSA_9null_typeESR_SR_SR_SR_SR_SR_SR_EEEESG_SG_EENS0_5tupleIJPxSJ_EEENSV_IJSJ_SJ_EEES6_PlJS6_EEE10hipError_tPvRmT3_T4_T5_T6_T7_T9_mT8_P12ihipStream_tbDpT10_ENKUlT_T0_E_clISt17integral_constantIbLb1EES1I_IbLb0EEEEDaS1E_S1F_EUlS1E_E_NS1_11comp_targetILNS1_3genE10ELNS1_11target_archE1200ELNS1_3gpuE4ELNS1_3repE0EEENS1_30default_config_static_selectorELNS0_4arch9wavefront6targetE1EEEvT1_,comdat
.Lfunc_end3583:
	.size	_ZN7rocprim17ROCPRIM_400000_NS6detail17trampoline_kernelINS0_14default_configENS1_25partition_config_selectorILNS1_17partition_subalgoE2ExNS0_10empty_typeEbEEZZNS1_14partition_implILS5_2ELb0ES3_jN6thrust23THRUST_200600_302600_NS6detail15normal_iteratorINSA_7pointerIxNSA_11hip_rocprim3tagENSA_11use_defaultESG_EEEEPS6_NSA_18transform_iteratorI10is_orderedNSA_12zip_iteratorINSA_5tupleINSC_INSA_10device_ptrIxEEEESQ_NSA_9null_typeESR_SR_SR_SR_SR_SR_SR_EEEESG_SG_EENS0_5tupleIJPxSJ_EEENSV_IJSJ_SJ_EEES6_PlJS6_EEE10hipError_tPvRmT3_T4_T5_T6_T7_T9_mT8_P12ihipStream_tbDpT10_ENKUlT_T0_E_clISt17integral_constantIbLb1EES1I_IbLb0EEEEDaS1E_S1F_EUlS1E_E_NS1_11comp_targetILNS1_3genE10ELNS1_11target_archE1200ELNS1_3gpuE4ELNS1_3repE0EEENS1_30default_config_static_selectorELNS0_4arch9wavefront6targetE1EEEvT1_, .Lfunc_end3583-_ZN7rocprim17ROCPRIM_400000_NS6detail17trampoline_kernelINS0_14default_configENS1_25partition_config_selectorILNS1_17partition_subalgoE2ExNS0_10empty_typeEbEEZZNS1_14partition_implILS5_2ELb0ES3_jN6thrust23THRUST_200600_302600_NS6detail15normal_iteratorINSA_7pointerIxNSA_11hip_rocprim3tagENSA_11use_defaultESG_EEEEPS6_NSA_18transform_iteratorI10is_orderedNSA_12zip_iteratorINSA_5tupleINSC_INSA_10device_ptrIxEEEESQ_NSA_9null_typeESR_SR_SR_SR_SR_SR_SR_EEEESG_SG_EENS0_5tupleIJPxSJ_EEENSV_IJSJ_SJ_EEES6_PlJS6_EEE10hipError_tPvRmT3_T4_T5_T6_T7_T9_mT8_P12ihipStream_tbDpT10_ENKUlT_T0_E_clISt17integral_constantIbLb1EES1I_IbLb0EEEEDaS1E_S1F_EUlS1E_E_NS1_11comp_targetILNS1_3genE10ELNS1_11target_archE1200ELNS1_3gpuE4ELNS1_3repE0EEENS1_30default_config_static_selectorELNS0_4arch9wavefront6targetE1EEEvT1_
                                        ; -- End function
	.section	.AMDGPU.csdata,"",@progbits
; Kernel info:
; codeLenInByte = 0
; NumSgprs: 6
; NumVgprs: 0
; NumAgprs: 0
; TotalNumVgprs: 0
; ScratchSize: 0
; MemoryBound: 0
; FloatMode: 240
; IeeeMode: 1
; LDSByteSize: 0 bytes/workgroup (compile time only)
; SGPRBlocks: 0
; VGPRBlocks: 0
; NumSGPRsForWavesPerEU: 6
; NumVGPRsForWavesPerEU: 1
; AccumOffset: 4
; Occupancy: 8
; WaveLimiterHint : 0
; COMPUTE_PGM_RSRC2:SCRATCH_EN: 0
; COMPUTE_PGM_RSRC2:USER_SGPR: 2
; COMPUTE_PGM_RSRC2:TRAP_HANDLER: 0
; COMPUTE_PGM_RSRC2:TGID_X_EN: 1
; COMPUTE_PGM_RSRC2:TGID_Y_EN: 0
; COMPUTE_PGM_RSRC2:TGID_Z_EN: 0
; COMPUTE_PGM_RSRC2:TIDIG_COMP_CNT: 0
; COMPUTE_PGM_RSRC3_GFX90A:ACCUM_OFFSET: 0
; COMPUTE_PGM_RSRC3_GFX90A:TG_SPLIT: 0
	.section	.text._ZN7rocprim17ROCPRIM_400000_NS6detail17trampoline_kernelINS0_14default_configENS1_25partition_config_selectorILNS1_17partition_subalgoE2ExNS0_10empty_typeEbEEZZNS1_14partition_implILS5_2ELb0ES3_jN6thrust23THRUST_200600_302600_NS6detail15normal_iteratorINSA_7pointerIxNSA_11hip_rocprim3tagENSA_11use_defaultESG_EEEEPS6_NSA_18transform_iteratorI10is_orderedNSA_12zip_iteratorINSA_5tupleINSC_INSA_10device_ptrIxEEEESQ_NSA_9null_typeESR_SR_SR_SR_SR_SR_SR_EEEESG_SG_EENS0_5tupleIJPxSJ_EEENSV_IJSJ_SJ_EEES6_PlJS6_EEE10hipError_tPvRmT3_T4_T5_T6_T7_T9_mT8_P12ihipStream_tbDpT10_ENKUlT_T0_E_clISt17integral_constantIbLb1EES1I_IbLb0EEEEDaS1E_S1F_EUlS1E_E_NS1_11comp_targetILNS1_3genE9ELNS1_11target_archE1100ELNS1_3gpuE3ELNS1_3repE0EEENS1_30default_config_static_selectorELNS0_4arch9wavefront6targetE1EEEvT1_,"axG",@progbits,_ZN7rocprim17ROCPRIM_400000_NS6detail17trampoline_kernelINS0_14default_configENS1_25partition_config_selectorILNS1_17partition_subalgoE2ExNS0_10empty_typeEbEEZZNS1_14partition_implILS5_2ELb0ES3_jN6thrust23THRUST_200600_302600_NS6detail15normal_iteratorINSA_7pointerIxNSA_11hip_rocprim3tagENSA_11use_defaultESG_EEEEPS6_NSA_18transform_iteratorI10is_orderedNSA_12zip_iteratorINSA_5tupleINSC_INSA_10device_ptrIxEEEESQ_NSA_9null_typeESR_SR_SR_SR_SR_SR_SR_EEEESG_SG_EENS0_5tupleIJPxSJ_EEENSV_IJSJ_SJ_EEES6_PlJS6_EEE10hipError_tPvRmT3_T4_T5_T6_T7_T9_mT8_P12ihipStream_tbDpT10_ENKUlT_T0_E_clISt17integral_constantIbLb1EES1I_IbLb0EEEEDaS1E_S1F_EUlS1E_E_NS1_11comp_targetILNS1_3genE9ELNS1_11target_archE1100ELNS1_3gpuE3ELNS1_3repE0EEENS1_30default_config_static_selectorELNS0_4arch9wavefront6targetE1EEEvT1_,comdat
	.protected	_ZN7rocprim17ROCPRIM_400000_NS6detail17trampoline_kernelINS0_14default_configENS1_25partition_config_selectorILNS1_17partition_subalgoE2ExNS0_10empty_typeEbEEZZNS1_14partition_implILS5_2ELb0ES3_jN6thrust23THRUST_200600_302600_NS6detail15normal_iteratorINSA_7pointerIxNSA_11hip_rocprim3tagENSA_11use_defaultESG_EEEEPS6_NSA_18transform_iteratorI10is_orderedNSA_12zip_iteratorINSA_5tupleINSC_INSA_10device_ptrIxEEEESQ_NSA_9null_typeESR_SR_SR_SR_SR_SR_SR_EEEESG_SG_EENS0_5tupleIJPxSJ_EEENSV_IJSJ_SJ_EEES6_PlJS6_EEE10hipError_tPvRmT3_T4_T5_T6_T7_T9_mT8_P12ihipStream_tbDpT10_ENKUlT_T0_E_clISt17integral_constantIbLb1EES1I_IbLb0EEEEDaS1E_S1F_EUlS1E_E_NS1_11comp_targetILNS1_3genE9ELNS1_11target_archE1100ELNS1_3gpuE3ELNS1_3repE0EEENS1_30default_config_static_selectorELNS0_4arch9wavefront6targetE1EEEvT1_ ; -- Begin function _ZN7rocprim17ROCPRIM_400000_NS6detail17trampoline_kernelINS0_14default_configENS1_25partition_config_selectorILNS1_17partition_subalgoE2ExNS0_10empty_typeEbEEZZNS1_14partition_implILS5_2ELb0ES3_jN6thrust23THRUST_200600_302600_NS6detail15normal_iteratorINSA_7pointerIxNSA_11hip_rocprim3tagENSA_11use_defaultESG_EEEEPS6_NSA_18transform_iteratorI10is_orderedNSA_12zip_iteratorINSA_5tupleINSC_INSA_10device_ptrIxEEEESQ_NSA_9null_typeESR_SR_SR_SR_SR_SR_SR_EEEESG_SG_EENS0_5tupleIJPxSJ_EEENSV_IJSJ_SJ_EEES6_PlJS6_EEE10hipError_tPvRmT3_T4_T5_T6_T7_T9_mT8_P12ihipStream_tbDpT10_ENKUlT_T0_E_clISt17integral_constantIbLb1EES1I_IbLb0EEEEDaS1E_S1F_EUlS1E_E_NS1_11comp_targetILNS1_3genE9ELNS1_11target_archE1100ELNS1_3gpuE3ELNS1_3repE0EEENS1_30default_config_static_selectorELNS0_4arch9wavefront6targetE1EEEvT1_
	.globl	_ZN7rocprim17ROCPRIM_400000_NS6detail17trampoline_kernelINS0_14default_configENS1_25partition_config_selectorILNS1_17partition_subalgoE2ExNS0_10empty_typeEbEEZZNS1_14partition_implILS5_2ELb0ES3_jN6thrust23THRUST_200600_302600_NS6detail15normal_iteratorINSA_7pointerIxNSA_11hip_rocprim3tagENSA_11use_defaultESG_EEEEPS6_NSA_18transform_iteratorI10is_orderedNSA_12zip_iteratorINSA_5tupleINSC_INSA_10device_ptrIxEEEESQ_NSA_9null_typeESR_SR_SR_SR_SR_SR_SR_EEEESG_SG_EENS0_5tupleIJPxSJ_EEENSV_IJSJ_SJ_EEES6_PlJS6_EEE10hipError_tPvRmT3_T4_T5_T6_T7_T9_mT8_P12ihipStream_tbDpT10_ENKUlT_T0_E_clISt17integral_constantIbLb1EES1I_IbLb0EEEEDaS1E_S1F_EUlS1E_E_NS1_11comp_targetILNS1_3genE9ELNS1_11target_archE1100ELNS1_3gpuE3ELNS1_3repE0EEENS1_30default_config_static_selectorELNS0_4arch9wavefront6targetE1EEEvT1_
	.p2align	8
	.type	_ZN7rocprim17ROCPRIM_400000_NS6detail17trampoline_kernelINS0_14default_configENS1_25partition_config_selectorILNS1_17partition_subalgoE2ExNS0_10empty_typeEbEEZZNS1_14partition_implILS5_2ELb0ES3_jN6thrust23THRUST_200600_302600_NS6detail15normal_iteratorINSA_7pointerIxNSA_11hip_rocprim3tagENSA_11use_defaultESG_EEEEPS6_NSA_18transform_iteratorI10is_orderedNSA_12zip_iteratorINSA_5tupleINSC_INSA_10device_ptrIxEEEESQ_NSA_9null_typeESR_SR_SR_SR_SR_SR_SR_EEEESG_SG_EENS0_5tupleIJPxSJ_EEENSV_IJSJ_SJ_EEES6_PlJS6_EEE10hipError_tPvRmT3_T4_T5_T6_T7_T9_mT8_P12ihipStream_tbDpT10_ENKUlT_T0_E_clISt17integral_constantIbLb1EES1I_IbLb0EEEEDaS1E_S1F_EUlS1E_E_NS1_11comp_targetILNS1_3genE9ELNS1_11target_archE1100ELNS1_3gpuE3ELNS1_3repE0EEENS1_30default_config_static_selectorELNS0_4arch9wavefront6targetE1EEEvT1_,@function
_ZN7rocprim17ROCPRIM_400000_NS6detail17trampoline_kernelINS0_14default_configENS1_25partition_config_selectorILNS1_17partition_subalgoE2ExNS0_10empty_typeEbEEZZNS1_14partition_implILS5_2ELb0ES3_jN6thrust23THRUST_200600_302600_NS6detail15normal_iteratorINSA_7pointerIxNSA_11hip_rocprim3tagENSA_11use_defaultESG_EEEEPS6_NSA_18transform_iteratorI10is_orderedNSA_12zip_iteratorINSA_5tupleINSC_INSA_10device_ptrIxEEEESQ_NSA_9null_typeESR_SR_SR_SR_SR_SR_SR_EEEESG_SG_EENS0_5tupleIJPxSJ_EEENSV_IJSJ_SJ_EEES6_PlJS6_EEE10hipError_tPvRmT3_T4_T5_T6_T7_T9_mT8_P12ihipStream_tbDpT10_ENKUlT_T0_E_clISt17integral_constantIbLb1EES1I_IbLb0EEEEDaS1E_S1F_EUlS1E_E_NS1_11comp_targetILNS1_3genE9ELNS1_11target_archE1100ELNS1_3gpuE3ELNS1_3repE0EEENS1_30default_config_static_selectorELNS0_4arch9wavefront6targetE1EEEvT1_: ; @_ZN7rocprim17ROCPRIM_400000_NS6detail17trampoline_kernelINS0_14default_configENS1_25partition_config_selectorILNS1_17partition_subalgoE2ExNS0_10empty_typeEbEEZZNS1_14partition_implILS5_2ELb0ES3_jN6thrust23THRUST_200600_302600_NS6detail15normal_iteratorINSA_7pointerIxNSA_11hip_rocprim3tagENSA_11use_defaultESG_EEEEPS6_NSA_18transform_iteratorI10is_orderedNSA_12zip_iteratorINSA_5tupleINSC_INSA_10device_ptrIxEEEESQ_NSA_9null_typeESR_SR_SR_SR_SR_SR_SR_EEEESG_SG_EENS0_5tupleIJPxSJ_EEENSV_IJSJ_SJ_EEES6_PlJS6_EEE10hipError_tPvRmT3_T4_T5_T6_T7_T9_mT8_P12ihipStream_tbDpT10_ENKUlT_T0_E_clISt17integral_constantIbLb1EES1I_IbLb0EEEEDaS1E_S1F_EUlS1E_E_NS1_11comp_targetILNS1_3genE9ELNS1_11target_archE1100ELNS1_3gpuE3ELNS1_3repE0EEENS1_30default_config_static_selectorELNS0_4arch9wavefront6targetE1EEEvT1_
; %bb.0:
	.section	.rodata,"a",@progbits
	.p2align	6, 0x0
	.amdhsa_kernel _ZN7rocprim17ROCPRIM_400000_NS6detail17trampoline_kernelINS0_14default_configENS1_25partition_config_selectorILNS1_17partition_subalgoE2ExNS0_10empty_typeEbEEZZNS1_14partition_implILS5_2ELb0ES3_jN6thrust23THRUST_200600_302600_NS6detail15normal_iteratorINSA_7pointerIxNSA_11hip_rocprim3tagENSA_11use_defaultESG_EEEEPS6_NSA_18transform_iteratorI10is_orderedNSA_12zip_iteratorINSA_5tupleINSC_INSA_10device_ptrIxEEEESQ_NSA_9null_typeESR_SR_SR_SR_SR_SR_SR_EEEESG_SG_EENS0_5tupleIJPxSJ_EEENSV_IJSJ_SJ_EEES6_PlJS6_EEE10hipError_tPvRmT3_T4_T5_T6_T7_T9_mT8_P12ihipStream_tbDpT10_ENKUlT_T0_E_clISt17integral_constantIbLb1EES1I_IbLb0EEEEDaS1E_S1F_EUlS1E_E_NS1_11comp_targetILNS1_3genE9ELNS1_11target_archE1100ELNS1_3gpuE3ELNS1_3repE0EEENS1_30default_config_static_selectorELNS0_4arch9wavefront6targetE1EEEvT1_
		.amdhsa_group_segment_fixed_size 0
		.amdhsa_private_segment_fixed_size 0
		.amdhsa_kernarg_size 136
		.amdhsa_user_sgpr_count 2
		.amdhsa_user_sgpr_dispatch_ptr 0
		.amdhsa_user_sgpr_queue_ptr 0
		.amdhsa_user_sgpr_kernarg_segment_ptr 1
		.amdhsa_user_sgpr_dispatch_id 0
		.amdhsa_user_sgpr_kernarg_preload_length 0
		.amdhsa_user_sgpr_kernarg_preload_offset 0
		.amdhsa_user_sgpr_private_segment_size 0
		.amdhsa_uses_dynamic_stack 0
		.amdhsa_enable_private_segment 0
		.amdhsa_system_sgpr_workgroup_id_x 1
		.amdhsa_system_sgpr_workgroup_id_y 0
		.amdhsa_system_sgpr_workgroup_id_z 0
		.amdhsa_system_sgpr_workgroup_info 0
		.amdhsa_system_vgpr_workitem_id 0
		.amdhsa_next_free_vgpr 1
		.amdhsa_next_free_sgpr 0
		.amdhsa_accum_offset 4
		.amdhsa_reserve_vcc 0
		.amdhsa_float_round_mode_32 0
		.amdhsa_float_round_mode_16_64 0
		.amdhsa_float_denorm_mode_32 3
		.amdhsa_float_denorm_mode_16_64 3
		.amdhsa_dx10_clamp 1
		.amdhsa_ieee_mode 1
		.amdhsa_fp16_overflow 0
		.amdhsa_tg_split 0
		.amdhsa_exception_fp_ieee_invalid_op 0
		.amdhsa_exception_fp_denorm_src 0
		.amdhsa_exception_fp_ieee_div_zero 0
		.amdhsa_exception_fp_ieee_overflow 0
		.amdhsa_exception_fp_ieee_underflow 0
		.amdhsa_exception_fp_ieee_inexact 0
		.amdhsa_exception_int_div_zero 0
	.end_amdhsa_kernel
	.section	.text._ZN7rocprim17ROCPRIM_400000_NS6detail17trampoline_kernelINS0_14default_configENS1_25partition_config_selectorILNS1_17partition_subalgoE2ExNS0_10empty_typeEbEEZZNS1_14partition_implILS5_2ELb0ES3_jN6thrust23THRUST_200600_302600_NS6detail15normal_iteratorINSA_7pointerIxNSA_11hip_rocprim3tagENSA_11use_defaultESG_EEEEPS6_NSA_18transform_iteratorI10is_orderedNSA_12zip_iteratorINSA_5tupleINSC_INSA_10device_ptrIxEEEESQ_NSA_9null_typeESR_SR_SR_SR_SR_SR_SR_EEEESG_SG_EENS0_5tupleIJPxSJ_EEENSV_IJSJ_SJ_EEES6_PlJS6_EEE10hipError_tPvRmT3_T4_T5_T6_T7_T9_mT8_P12ihipStream_tbDpT10_ENKUlT_T0_E_clISt17integral_constantIbLb1EES1I_IbLb0EEEEDaS1E_S1F_EUlS1E_E_NS1_11comp_targetILNS1_3genE9ELNS1_11target_archE1100ELNS1_3gpuE3ELNS1_3repE0EEENS1_30default_config_static_selectorELNS0_4arch9wavefront6targetE1EEEvT1_,"axG",@progbits,_ZN7rocprim17ROCPRIM_400000_NS6detail17trampoline_kernelINS0_14default_configENS1_25partition_config_selectorILNS1_17partition_subalgoE2ExNS0_10empty_typeEbEEZZNS1_14partition_implILS5_2ELb0ES3_jN6thrust23THRUST_200600_302600_NS6detail15normal_iteratorINSA_7pointerIxNSA_11hip_rocprim3tagENSA_11use_defaultESG_EEEEPS6_NSA_18transform_iteratorI10is_orderedNSA_12zip_iteratorINSA_5tupleINSC_INSA_10device_ptrIxEEEESQ_NSA_9null_typeESR_SR_SR_SR_SR_SR_SR_EEEESG_SG_EENS0_5tupleIJPxSJ_EEENSV_IJSJ_SJ_EEES6_PlJS6_EEE10hipError_tPvRmT3_T4_T5_T6_T7_T9_mT8_P12ihipStream_tbDpT10_ENKUlT_T0_E_clISt17integral_constantIbLb1EES1I_IbLb0EEEEDaS1E_S1F_EUlS1E_E_NS1_11comp_targetILNS1_3genE9ELNS1_11target_archE1100ELNS1_3gpuE3ELNS1_3repE0EEENS1_30default_config_static_selectorELNS0_4arch9wavefront6targetE1EEEvT1_,comdat
.Lfunc_end3584:
	.size	_ZN7rocprim17ROCPRIM_400000_NS6detail17trampoline_kernelINS0_14default_configENS1_25partition_config_selectorILNS1_17partition_subalgoE2ExNS0_10empty_typeEbEEZZNS1_14partition_implILS5_2ELb0ES3_jN6thrust23THRUST_200600_302600_NS6detail15normal_iteratorINSA_7pointerIxNSA_11hip_rocprim3tagENSA_11use_defaultESG_EEEEPS6_NSA_18transform_iteratorI10is_orderedNSA_12zip_iteratorINSA_5tupleINSC_INSA_10device_ptrIxEEEESQ_NSA_9null_typeESR_SR_SR_SR_SR_SR_SR_EEEESG_SG_EENS0_5tupleIJPxSJ_EEENSV_IJSJ_SJ_EEES6_PlJS6_EEE10hipError_tPvRmT3_T4_T5_T6_T7_T9_mT8_P12ihipStream_tbDpT10_ENKUlT_T0_E_clISt17integral_constantIbLb1EES1I_IbLb0EEEEDaS1E_S1F_EUlS1E_E_NS1_11comp_targetILNS1_3genE9ELNS1_11target_archE1100ELNS1_3gpuE3ELNS1_3repE0EEENS1_30default_config_static_selectorELNS0_4arch9wavefront6targetE1EEEvT1_, .Lfunc_end3584-_ZN7rocprim17ROCPRIM_400000_NS6detail17trampoline_kernelINS0_14default_configENS1_25partition_config_selectorILNS1_17partition_subalgoE2ExNS0_10empty_typeEbEEZZNS1_14partition_implILS5_2ELb0ES3_jN6thrust23THRUST_200600_302600_NS6detail15normal_iteratorINSA_7pointerIxNSA_11hip_rocprim3tagENSA_11use_defaultESG_EEEEPS6_NSA_18transform_iteratorI10is_orderedNSA_12zip_iteratorINSA_5tupleINSC_INSA_10device_ptrIxEEEESQ_NSA_9null_typeESR_SR_SR_SR_SR_SR_SR_EEEESG_SG_EENS0_5tupleIJPxSJ_EEENSV_IJSJ_SJ_EEES6_PlJS6_EEE10hipError_tPvRmT3_T4_T5_T6_T7_T9_mT8_P12ihipStream_tbDpT10_ENKUlT_T0_E_clISt17integral_constantIbLb1EES1I_IbLb0EEEEDaS1E_S1F_EUlS1E_E_NS1_11comp_targetILNS1_3genE9ELNS1_11target_archE1100ELNS1_3gpuE3ELNS1_3repE0EEENS1_30default_config_static_selectorELNS0_4arch9wavefront6targetE1EEEvT1_
                                        ; -- End function
	.section	.AMDGPU.csdata,"",@progbits
; Kernel info:
; codeLenInByte = 0
; NumSgprs: 6
; NumVgprs: 0
; NumAgprs: 0
; TotalNumVgprs: 0
; ScratchSize: 0
; MemoryBound: 0
; FloatMode: 240
; IeeeMode: 1
; LDSByteSize: 0 bytes/workgroup (compile time only)
; SGPRBlocks: 0
; VGPRBlocks: 0
; NumSGPRsForWavesPerEU: 6
; NumVGPRsForWavesPerEU: 1
; AccumOffset: 4
; Occupancy: 8
; WaveLimiterHint : 0
; COMPUTE_PGM_RSRC2:SCRATCH_EN: 0
; COMPUTE_PGM_RSRC2:USER_SGPR: 2
; COMPUTE_PGM_RSRC2:TRAP_HANDLER: 0
; COMPUTE_PGM_RSRC2:TGID_X_EN: 1
; COMPUTE_PGM_RSRC2:TGID_Y_EN: 0
; COMPUTE_PGM_RSRC2:TGID_Z_EN: 0
; COMPUTE_PGM_RSRC2:TIDIG_COMP_CNT: 0
; COMPUTE_PGM_RSRC3_GFX90A:ACCUM_OFFSET: 0
; COMPUTE_PGM_RSRC3_GFX90A:TG_SPLIT: 0
	.section	.text._ZN7rocprim17ROCPRIM_400000_NS6detail17trampoline_kernelINS0_14default_configENS1_25partition_config_selectorILNS1_17partition_subalgoE2ExNS0_10empty_typeEbEEZZNS1_14partition_implILS5_2ELb0ES3_jN6thrust23THRUST_200600_302600_NS6detail15normal_iteratorINSA_7pointerIxNSA_11hip_rocprim3tagENSA_11use_defaultESG_EEEEPS6_NSA_18transform_iteratorI10is_orderedNSA_12zip_iteratorINSA_5tupleINSC_INSA_10device_ptrIxEEEESQ_NSA_9null_typeESR_SR_SR_SR_SR_SR_SR_EEEESG_SG_EENS0_5tupleIJPxSJ_EEENSV_IJSJ_SJ_EEES6_PlJS6_EEE10hipError_tPvRmT3_T4_T5_T6_T7_T9_mT8_P12ihipStream_tbDpT10_ENKUlT_T0_E_clISt17integral_constantIbLb1EES1I_IbLb0EEEEDaS1E_S1F_EUlS1E_E_NS1_11comp_targetILNS1_3genE8ELNS1_11target_archE1030ELNS1_3gpuE2ELNS1_3repE0EEENS1_30default_config_static_selectorELNS0_4arch9wavefront6targetE1EEEvT1_,"axG",@progbits,_ZN7rocprim17ROCPRIM_400000_NS6detail17trampoline_kernelINS0_14default_configENS1_25partition_config_selectorILNS1_17partition_subalgoE2ExNS0_10empty_typeEbEEZZNS1_14partition_implILS5_2ELb0ES3_jN6thrust23THRUST_200600_302600_NS6detail15normal_iteratorINSA_7pointerIxNSA_11hip_rocprim3tagENSA_11use_defaultESG_EEEEPS6_NSA_18transform_iteratorI10is_orderedNSA_12zip_iteratorINSA_5tupleINSC_INSA_10device_ptrIxEEEESQ_NSA_9null_typeESR_SR_SR_SR_SR_SR_SR_EEEESG_SG_EENS0_5tupleIJPxSJ_EEENSV_IJSJ_SJ_EEES6_PlJS6_EEE10hipError_tPvRmT3_T4_T5_T6_T7_T9_mT8_P12ihipStream_tbDpT10_ENKUlT_T0_E_clISt17integral_constantIbLb1EES1I_IbLb0EEEEDaS1E_S1F_EUlS1E_E_NS1_11comp_targetILNS1_3genE8ELNS1_11target_archE1030ELNS1_3gpuE2ELNS1_3repE0EEENS1_30default_config_static_selectorELNS0_4arch9wavefront6targetE1EEEvT1_,comdat
	.protected	_ZN7rocprim17ROCPRIM_400000_NS6detail17trampoline_kernelINS0_14default_configENS1_25partition_config_selectorILNS1_17partition_subalgoE2ExNS0_10empty_typeEbEEZZNS1_14partition_implILS5_2ELb0ES3_jN6thrust23THRUST_200600_302600_NS6detail15normal_iteratorINSA_7pointerIxNSA_11hip_rocprim3tagENSA_11use_defaultESG_EEEEPS6_NSA_18transform_iteratorI10is_orderedNSA_12zip_iteratorINSA_5tupleINSC_INSA_10device_ptrIxEEEESQ_NSA_9null_typeESR_SR_SR_SR_SR_SR_SR_EEEESG_SG_EENS0_5tupleIJPxSJ_EEENSV_IJSJ_SJ_EEES6_PlJS6_EEE10hipError_tPvRmT3_T4_T5_T6_T7_T9_mT8_P12ihipStream_tbDpT10_ENKUlT_T0_E_clISt17integral_constantIbLb1EES1I_IbLb0EEEEDaS1E_S1F_EUlS1E_E_NS1_11comp_targetILNS1_3genE8ELNS1_11target_archE1030ELNS1_3gpuE2ELNS1_3repE0EEENS1_30default_config_static_selectorELNS0_4arch9wavefront6targetE1EEEvT1_ ; -- Begin function _ZN7rocprim17ROCPRIM_400000_NS6detail17trampoline_kernelINS0_14default_configENS1_25partition_config_selectorILNS1_17partition_subalgoE2ExNS0_10empty_typeEbEEZZNS1_14partition_implILS5_2ELb0ES3_jN6thrust23THRUST_200600_302600_NS6detail15normal_iteratorINSA_7pointerIxNSA_11hip_rocprim3tagENSA_11use_defaultESG_EEEEPS6_NSA_18transform_iteratorI10is_orderedNSA_12zip_iteratorINSA_5tupleINSC_INSA_10device_ptrIxEEEESQ_NSA_9null_typeESR_SR_SR_SR_SR_SR_SR_EEEESG_SG_EENS0_5tupleIJPxSJ_EEENSV_IJSJ_SJ_EEES6_PlJS6_EEE10hipError_tPvRmT3_T4_T5_T6_T7_T9_mT8_P12ihipStream_tbDpT10_ENKUlT_T0_E_clISt17integral_constantIbLb1EES1I_IbLb0EEEEDaS1E_S1F_EUlS1E_E_NS1_11comp_targetILNS1_3genE8ELNS1_11target_archE1030ELNS1_3gpuE2ELNS1_3repE0EEENS1_30default_config_static_selectorELNS0_4arch9wavefront6targetE1EEEvT1_
	.globl	_ZN7rocprim17ROCPRIM_400000_NS6detail17trampoline_kernelINS0_14default_configENS1_25partition_config_selectorILNS1_17partition_subalgoE2ExNS0_10empty_typeEbEEZZNS1_14partition_implILS5_2ELb0ES3_jN6thrust23THRUST_200600_302600_NS6detail15normal_iteratorINSA_7pointerIxNSA_11hip_rocprim3tagENSA_11use_defaultESG_EEEEPS6_NSA_18transform_iteratorI10is_orderedNSA_12zip_iteratorINSA_5tupleINSC_INSA_10device_ptrIxEEEESQ_NSA_9null_typeESR_SR_SR_SR_SR_SR_SR_EEEESG_SG_EENS0_5tupleIJPxSJ_EEENSV_IJSJ_SJ_EEES6_PlJS6_EEE10hipError_tPvRmT3_T4_T5_T6_T7_T9_mT8_P12ihipStream_tbDpT10_ENKUlT_T0_E_clISt17integral_constantIbLb1EES1I_IbLb0EEEEDaS1E_S1F_EUlS1E_E_NS1_11comp_targetILNS1_3genE8ELNS1_11target_archE1030ELNS1_3gpuE2ELNS1_3repE0EEENS1_30default_config_static_selectorELNS0_4arch9wavefront6targetE1EEEvT1_
	.p2align	8
	.type	_ZN7rocprim17ROCPRIM_400000_NS6detail17trampoline_kernelINS0_14default_configENS1_25partition_config_selectorILNS1_17partition_subalgoE2ExNS0_10empty_typeEbEEZZNS1_14partition_implILS5_2ELb0ES3_jN6thrust23THRUST_200600_302600_NS6detail15normal_iteratorINSA_7pointerIxNSA_11hip_rocprim3tagENSA_11use_defaultESG_EEEEPS6_NSA_18transform_iteratorI10is_orderedNSA_12zip_iteratorINSA_5tupleINSC_INSA_10device_ptrIxEEEESQ_NSA_9null_typeESR_SR_SR_SR_SR_SR_SR_EEEESG_SG_EENS0_5tupleIJPxSJ_EEENSV_IJSJ_SJ_EEES6_PlJS6_EEE10hipError_tPvRmT3_T4_T5_T6_T7_T9_mT8_P12ihipStream_tbDpT10_ENKUlT_T0_E_clISt17integral_constantIbLb1EES1I_IbLb0EEEEDaS1E_S1F_EUlS1E_E_NS1_11comp_targetILNS1_3genE8ELNS1_11target_archE1030ELNS1_3gpuE2ELNS1_3repE0EEENS1_30default_config_static_selectorELNS0_4arch9wavefront6targetE1EEEvT1_,@function
_ZN7rocprim17ROCPRIM_400000_NS6detail17trampoline_kernelINS0_14default_configENS1_25partition_config_selectorILNS1_17partition_subalgoE2ExNS0_10empty_typeEbEEZZNS1_14partition_implILS5_2ELb0ES3_jN6thrust23THRUST_200600_302600_NS6detail15normal_iteratorINSA_7pointerIxNSA_11hip_rocprim3tagENSA_11use_defaultESG_EEEEPS6_NSA_18transform_iteratorI10is_orderedNSA_12zip_iteratorINSA_5tupleINSC_INSA_10device_ptrIxEEEESQ_NSA_9null_typeESR_SR_SR_SR_SR_SR_SR_EEEESG_SG_EENS0_5tupleIJPxSJ_EEENSV_IJSJ_SJ_EEES6_PlJS6_EEE10hipError_tPvRmT3_T4_T5_T6_T7_T9_mT8_P12ihipStream_tbDpT10_ENKUlT_T0_E_clISt17integral_constantIbLb1EES1I_IbLb0EEEEDaS1E_S1F_EUlS1E_E_NS1_11comp_targetILNS1_3genE8ELNS1_11target_archE1030ELNS1_3gpuE2ELNS1_3repE0EEENS1_30default_config_static_selectorELNS0_4arch9wavefront6targetE1EEEvT1_: ; @_ZN7rocprim17ROCPRIM_400000_NS6detail17trampoline_kernelINS0_14default_configENS1_25partition_config_selectorILNS1_17partition_subalgoE2ExNS0_10empty_typeEbEEZZNS1_14partition_implILS5_2ELb0ES3_jN6thrust23THRUST_200600_302600_NS6detail15normal_iteratorINSA_7pointerIxNSA_11hip_rocprim3tagENSA_11use_defaultESG_EEEEPS6_NSA_18transform_iteratorI10is_orderedNSA_12zip_iteratorINSA_5tupleINSC_INSA_10device_ptrIxEEEESQ_NSA_9null_typeESR_SR_SR_SR_SR_SR_SR_EEEESG_SG_EENS0_5tupleIJPxSJ_EEENSV_IJSJ_SJ_EEES6_PlJS6_EEE10hipError_tPvRmT3_T4_T5_T6_T7_T9_mT8_P12ihipStream_tbDpT10_ENKUlT_T0_E_clISt17integral_constantIbLb1EES1I_IbLb0EEEEDaS1E_S1F_EUlS1E_E_NS1_11comp_targetILNS1_3genE8ELNS1_11target_archE1030ELNS1_3gpuE2ELNS1_3repE0EEENS1_30default_config_static_selectorELNS0_4arch9wavefront6targetE1EEEvT1_
; %bb.0:
	.section	.rodata,"a",@progbits
	.p2align	6, 0x0
	.amdhsa_kernel _ZN7rocprim17ROCPRIM_400000_NS6detail17trampoline_kernelINS0_14default_configENS1_25partition_config_selectorILNS1_17partition_subalgoE2ExNS0_10empty_typeEbEEZZNS1_14partition_implILS5_2ELb0ES3_jN6thrust23THRUST_200600_302600_NS6detail15normal_iteratorINSA_7pointerIxNSA_11hip_rocprim3tagENSA_11use_defaultESG_EEEEPS6_NSA_18transform_iteratorI10is_orderedNSA_12zip_iteratorINSA_5tupleINSC_INSA_10device_ptrIxEEEESQ_NSA_9null_typeESR_SR_SR_SR_SR_SR_SR_EEEESG_SG_EENS0_5tupleIJPxSJ_EEENSV_IJSJ_SJ_EEES6_PlJS6_EEE10hipError_tPvRmT3_T4_T5_T6_T7_T9_mT8_P12ihipStream_tbDpT10_ENKUlT_T0_E_clISt17integral_constantIbLb1EES1I_IbLb0EEEEDaS1E_S1F_EUlS1E_E_NS1_11comp_targetILNS1_3genE8ELNS1_11target_archE1030ELNS1_3gpuE2ELNS1_3repE0EEENS1_30default_config_static_selectorELNS0_4arch9wavefront6targetE1EEEvT1_
		.amdhsa_group_segment_fixed_size 0
		.amdhsa_private_segment_fixed_size 0
		.amdhsa_kernarg_size 136
		.amdhsa_user_sgpr_count 2
		.amdhsa_user_sgpr_dispatch_ptr 0
		.amdhsa_user_sgpr_queue_ptr 0
		.amdhsa_user_sgpr_kernarg_segment_ptr 1
		.amdhsa_user_sgpr_dispatch_id 0
		.amdhsa_user_sgpr_kernarg_preload_length 0
		.amdhsa_user_sgpr_kernarg_preload_offset 0
		.amdhsa_user_sgpr_private_segment_size 0
		.amdhsa_uses_dynamic_stack 0
		.amdhsa_enable_private_segment 0
		.amdhsa_system_sgpr_workgroup_id_x 1
		.amdhsa_system_sgpr_workgroup_id_y 0
		.amdhsa_system_sgpr_workgroup_id_z 0
		.amdhsa_system_sgpr_workgroup_info 0
		.amdhsa_system_vgpr_workitem_id 0
		.amdhsa_next_free_vgpr 1
		.amdhsa_next_free_sgpr 0
		.amdhsa_accum_offset 4
		.amdhsa_reserve_vcc 0
		.amdhsa_float_round_mode_32 0
		.amdhsa_float_round_mode_16_64 0
		.amdhsa_float_denorm_mode_32 3
		.amdhsa_float_denorm_mode_16_64 3
		.amdhsa_dx10_clamp 1
		.amdhsa_ieee_mode 1
		.amdhsa_fp16_overflow 0
		.amdhsa_tg_split 0
		.amdhsa_exception_fp_ieee_invalid_op 0
		.amdhsa_exception_fp_denorm_src 0
		.amdhsa_exception_fp_ieee_div_zero 0
		.amdhsa_exception_fp_ieee_overflow 0
		.amdhsa_exception_fp_ieee_underflow 0
		.amdhsa_exception_fp_ieee_inexact 0
		.amdhsa_exception_int_div_zero 0
	.end_amdhsa_kernel
	.section	.text._ZN7rocprim17ROCPRIM_400000_NS6detail17trampoline_kernelINS0_14default_configENS1_25partition_config_selectorILNS1_17partition_subalgoE2ExNS0_10empty_typeEbEEZZNS1_14partition_implILS5_2ELb0ES3_jN6thrust23THRUST_200600_302600_NS6detail15normal_iteratorINSA_7pointerIxNSA_11hip_rocprim3tagENSA_11use_defaultESG_EEEEPS6_NSA_18transform_iteratorI10is_orderedNSA_12zip_iteratorINSA_5tupleINSC_INSA_10device_ptrIxEEEESQ_NSA_9null_typeESR_SR_SR_SR_SR_SR_SR_EEEESG_SG_EENS0_5tupleIJPxSJ_EEENSV_IJSJ_SJ_EEES6_PlJS6_EEE10hipError_tPvRmT3_T4_T5_T6_T7_T9_mT8_P12ihipStream_tbDpT10_ENKUlT_T0_E_clISt17integral_constantIbLb1EES1I_IbLb0EEEEDaS1E_S1F_EUlS1E_E_NS1_11comp_targetILNS1_3genE8ELNS1_11target_archE1030ELNS1_3gpuE2ELNS1_3repE0EEENS1_30default_config_static_selectorELNS0_4arch9wavefront6targetE1EEEvT1_,"axG",@progbits,_ZN7rocprim17ROCPRIM_400000_NS6detail17trampoline_kernelINS0_14default_configENS1_25partition_config_selectorILNS1_17partition_subalgoE2ExNS0_10empty_typeEbEEZZNS1_14partition_implILS5_2ELb0ES3_jN6thrust23THRUST_200600_302600_NS6detail15normal_iteratorINSA_7pointerIxNSA_11hip_rocprim3tagENSA_11use_defaultESG_EEEEPS6_NSA_18transform_iteratorI10is_orderedNSA_12zip_iteratorINSA_5tupleINSC_INSA_10device_ptrIxEEEESQ_NSA_9null_typeESR_SR_SR_SR_SR_SR_SR_EEEESG_SG_EENS0_5tupleIJPxSJ_EEENSV_IJSJ_SJ_EEES6_PlJS6_EEE10hipError_tPvRmT3_T4_T5_T6_T7_T9_mT8_P12ihipStream_tbDpT10_ENKUlT_T0_E_clISt17integral_constantIbLb1EES1I_IbLb0EEEEDaS1E_S1F_EUlS1E_E_NS1_11comp_targetILNS1_3genE8ELNS1_11target_archE1030ELNS1_3gpuE2ELNS1_3repE0EEENS1_30default_config_static_selectorELNS0_4arch9wavefront6targetE1EEEvT1_,comdat
.Lfunc_end3585:
	.size	_ZN7rocprim17ROCPRIM_400000_NS6detail17trampoline_kernelINS0_14default_configENS1_25partition_config_selectorILNS1_17partition_subalgoE2ExNS0_10empty_typeEbEEZZNS1_14partition_implILS5_2ELb0ES3_jN6thrust23THRUST_200600_302600_NS6detail15normal_iteratorINSA_7pointerIxNSA_11hip_rocprim3tagENSA_11use_defaultESG_EEEEPS6_NSA_18transform_iteratorI10is_orderedNSA_12zip_iteratorINSA_5tupleINSC_INSA_10device_ptrIxEEEESQ_NSA_9null_typeESR_SR_SR_SR_SR_SR_SR_EEEESG_SG_EENS0_5tupleIJPxSJ_EEENSV_IJSJ_SJ_EEES6_PlJS6_EEE10hipError_tPvRmT3_T4_T5_T6_T7_T9_mT8_P12ihipStream_tbDpT10_ENKUlT_T0_E_clISt17integral_constantIbLb1EES1I_IbLb0EEEEDaS1E_S1F_EUlS1E_E_NS1_11comp_targetILNS1_3genE8ELNS1_11target_archE1030ELNS1_3gpuE2ELNS1_3repE0EEENS1_30default_config_static_selectorELNS0_4arch9wavefront6targetE1EEEvT1_, .Lfunc_end3585-_ZN7rocprim17ROCPRIM_400000_NS6detail17trampoline_kernelINS0_14default_configENS1_25partition_config_selectorILNS1_17partition_subalgoE2ExNS0_10empty_typeEbEEZZNS1_14partition_implILS5_2ELb0ES3_jN6thrust23THRUST_200600_302600_NS6detail15normal_iteratorINSA_7pointerIxNSA_11hip_rocprim3tagENSA_11use_defaultESG_EEEEPS6_NSA_18transform_iteratorI10is_orderedNSA_12zip_iteratorINSA_5tupleINSC_INSA_10device_ptrIxEEEESQ_NSA_9null_typeESR_SR_SR_SR_SR_SR_SR_EEEESG_SG_EENS0_5tupleIJPxSJ_EEENSV_IJSJ_SJ_EEES6_PlJS6_EEE10hipError_tPvRmT3_T4_T5_T6_T7_T9_mT8_P12ihipStream_tbDpT10_ENKUlT_T0_E_clISt17integral_constantIbLb1EES1I_IbLb0EEEEDaS1E_S1F_EUlS1E_E_NS1_11comp_targetILNS1_3genE8ELNS1_11target_archE1030ELNS1_3gpuE2ELNS1_3repE0EEENS1_30default_config_static_selectorELNS0_4arch9wavefront6targetE1EEEvT1_
                                        ; -- End function
	.section	.AMDGPU.csdata,"",@progbits
; Kernel info:
; codeLenInByte = 0
; NumSgprs: 6
; NumVgprs: 0
; NumAgprs: 0
; TotalNumVgprs: 0
; ScratchSize: 0
; MemoryBound: 0
; FloatMode: 240
; IeeeMode: 1
; LDSByteSize: 0 bytes/workgroup (compile time only)
; SGPRBlocks: 0
; VGPRBlocks: 0
; NumSGPRsForWavesPerEU: 6
; NumVGPRsForWavesPerEU: 1
; AccumOffset: 4
; Occupancy: 8
; WaveLimiterHint : 0
; COMPUTE_PGM_RSRC2:SCRATCH_EN: 0
; COMPUTE_PGM_RSRC2:USER_SGPR: 2
; COMPUTE_PGM_RSRC2:TRAP_HANDLER: 0
; COMPUTE_PGM_RSRC2:TGID_X_EN: 1
; COMPUTE_PGM_RSRC2:TGID_Y_EN: 0
; COMPUTE_PGM_RSRC2:TGID_Z_EN: 0
; COMPUTE_PGM_RSRC2:TIDIG_COMP_CNT: 0
; COMPUTE_PGM_RSRC3_GFX90A:ACCUM_OFFSET: 0
; COMPUTE_PGM_RSRC3_GFX90A:TG_SPLIT: 0
	.section	.text._ZN7rocprim17ROCPRIM_400000_NS6detail17trampoline_kernelINS0_14default_configENS1_25partition_config_selectorILNS1_17partition_subalgoE2ExNS0_10empty_typeEbEEZZNS1_14partition_implILS5_2ELb0ES3_jN6thrust23THRUST_200600_302600_NS6detail15normal_iteratorINSA_7pointerIxNSA_11hip_rocprim3tagENSA_11use_defaultESG_EEEEPS6_NSA_18transform_iteratorI10is_orderedNSA_12zip_iteratorINSA_5tupleINSC_INSA_10device_ptrIxEEEESQ_NSA_9null_typeESR_SR_SR_SR_SR_SR_SR_EEEESG_SG_EENS0_5tupleIJPxSJ_EEENSV_IJSJ_SJ_EEES6_PlJS6_EEE10hipError_tPvRmT3_T4_T5_T6_T7_T9_mT8_P12ihipStream_tbDpT10_ENKUlT_T0_E_clISt17integral_constantIbLb0EES1I_IbLb1EEEEDaS1E_S1F_EUlS1E_E_NS1_11comp_targetILNS1_3genE0ELNS1_11target_archE4294967295ELNS1_3gpuE0ELNS1_3repE0EEENS1_30default_config_static_selectorELNS0_4arch9wavefront6targetE1EEEvT1_,"axG",@progbits,_ZN7rocprim17ROCPRIM_400000_NS6detail17trampoline_kernelINS0_14default_configENS1_25partition_config_selectorILNS1_17partition_subalgoE2ExNS0_10empty_typeEbEEZZNS1_14partition_implILS5_2ELb0ES3_jN6thrust23THRUST_200600_302600_NS6detail15normal_iteratorINSA_7pointerIxNSA_11hip_rocprim3tagENSA_11use_defaultESG_EEEEPS6_NSA_18transform_iteratorI10is_orderedNSA_12zip_iteratorINSA_5tupleINSC_INSA_10device_ptrIxEEEESQ_NSA_9null_typeESR_SR_SR_SR_SR_SR_SR_EEEESG_SG_EENS0_5tupleIJPxSJ_EEENSV_IJSJ_SJ_EEES6_PlJS6_EEE10hipError_tPvRmT3_T4_T5_T6_T7_T9_mT8_P12ihipStream_tbDpT10_ENKUlT_T0_E_clISt17integral_constantIbLb0EES1I_IbLb1EEEEDaS1E_S1F_EUlS1E_E_NS1_11comp_targetILNS1_3genE0ELNS1_11target_archE4294967295ELNS1_3gpuE0ELNS1_3repE0EEENS1_30default_config_static_selectorELNS0_4arch9wavefront6targetE1EEEvT1_,comdat
	.protected	_ZN7rocprim17ROCPRIM_400000_NS6detail17trampoline_kernelINS0_14default_configENS1_25partition_config_selectorILNS1_17partition_subalgoE2ExNS0_10empty_typeEbEEZZNS1_14partition_implILS5_2ELb0ES3_jN6thrust23THRUST_200600_302600_NS6detail15normal_iteratorINSA_7pointerIxNSA_11hip_rocprim3tagENSA_11use_defaultESG_EEEEPS6_NSA_18transform_iteratorI10is_orderedNSA_12zip_iteratorINSA_5tupleINSC_INSA_10device_ptrIxEEEESQ_NSA_9null_typeESR_SR_SR_SR_SR_SR_SR_EEEESG_SG_EENS0_5tupleIJPxSJ_EEENSV_IJSJ_SJ_EEES6_PlJS6_EEE10hipError_tPvRmT3_T4_T5_T6_T7_T9_mT8_P12ihipStream_tbDpT10_ENKUlT_T0_E_clISt17integral_constantIbLb0EES1I_IbLb1EEEEDaS1E_S1F_EUlS1E_E_NS1_11comp_targetILNS1_3genE0ELNS1_11target_archE4294967295ELNS1_3gpuE0ELNS1_3repE0EEENS1_30default_config_static_selectorELNS0_4arch9wavefront6targetE1EEEvT1_ ; -- Begin function _ZN7rocprim17ROCPRIM_400000_NS6detail17trampoline_kernelINS0_14default_configENS1_25partition_config_selectorILNS1_17partition_subalgoE2ExNS0_10empty_typeEbEEZZNS1_14partition_implILS5_2ELb0ES3_jN6thrust23THRUST_200600_302600_NS6detail15normal_iteratorINSA_7pointerIxNSA_11hip_rocprim3tagENSA_11use_defaultESG_EEEEPS6_NSA_18transform_iteratorI10is_orderedNSA_12zip_iteratorINSA_5tupleINSC_INSA_10device_ptrIxEEEESQ_NSA_9null_typeESR_SR_SR_SR_SR_SR_SR_EEEESG_SG_EENS0_5tupleIJPxSJ_EEENSV_IJSJ_SJ_EEES6_PlJS6_EEE10hipError_tPvRmT3_T4_T5_T6_T7_T9_mT8_P12ihipStream_tbDpT10_ENKUlT_T0_E_clISt17integral_constantIbLb0EES1I_IbLb1EEEEDaS1E_S1F_EUlS1E_E_NS1_11comp_targetILNS1_3genE0ELNS1_11target_archE4294967295ELNS1_3gpuE0ELNS1_3repE0EEENS1_30default_config_static_selectorELNS0_4arch9wavefront6targetE1EEEvT1_
	.globl	_ZN7rocprim17ROCPRIM_400000_NS6detail17trampoline_kernelINS0_14default_configENS1_25partition_config_selectorILNS1_17partition_subalgoE2ExNS0_10empty_typeEbEEZZNS1_14partition_implILS5_2ELb0ES3_jN6thrust23THRUST_200600_302600_NS6detail15normal_iteratorINSA_7pointerIxNSA_11hip_rocprim3tagENSA_11use_defaultESG_EEEEPS6_NSA_18transform_iteratorI10is_orderedNSA_12zip_iteratorINSA_5tupleINSC_INSA_10device_ptrIxEEEESQ_NSA_9null_typeESR_SR_SR_SR_SR_SR_SR_EEEESG_SG_EENS0_5tupleIJPxSJ_EEENSV_IJSJ_SJ_EEES6_PlJS6_EEE10hipError_tPvRmT3_T4_T5_T6_T7_T9_mT8_P12ihipStream_tbDpT10_ENKUlT_T0_E_clISt17integral_constantIbLb0EES1I_IbLb1EEEEDaS1E_S1F_EUlS1E_E_NS1_11comp_targetILNS1_3genE0ELNS1_11target_archE4294967295ELNS1_3gpuE0ELNS1_3repE0EEENS1_30default_config_static_selectorELNS0_4arch9wavefront6targetE1EEEvT1_
	.p2align	8
	.type	_ZN7rocprim17ROCPRIM_400000_NS6detail17trampoline_kernelINS0_14default_configENS1_25partition_config_selectorILNS1_17partition_subalgoE2ExNS0_10empty_typeEbEEZZNS1_14partition_implILS5_2ELb0ES3_jN6thrust23THRUST_200600_302600_NS6detail15normal_iteratorINSA_7pointerIxNSA_11hip_rocprim3tagENSA_11use_defaultESG_EEEEPS6_NSA_18transform_iteratorI10is_orderedNSA_12zip_iteratorINSA_5tupleINSC_INSA_10device_ptrIxEEEESQ_NSA_9null_typeESR_SR_SR_SR_SR_SR_SR_EEEESG_SG_EENS0_5tupleIJPxSJ_EEENSV_IJSJ_SJ_EEES6_PlJS6_EEE10hipError_tPvRmT3_T4_T5_T6_T7_T9_mT8_P12ihipStream_tbDpT10_ENKUlT_T0_E_clISt17integral_constantIbLb0EES1I_IbLb1EEEEDaS1E_S1F_EUlS1E_E_NS1_11comp_targetILNS1_3genE0ELNS1_11target_archE4294967295ELNS1_3gpuE0ELNS1_3repE0EEENS1_30default_config_static_selectorELNS0_4arch9wavefront6targetE1EEEvT1_,@function
_ZN7rocprim17ROCPRIM_400000_NS6detail17trampoline_kernelINS0_14default_configENS1_25partition_config_selectorILNS1_17partition_subalgoE2ExNS0_10empty_typeEbEEZZNS1_14partition_implILS5_2ELb0ES3_jN6thrust23THRUST_200600_302600_NS6detail15normal_iteratorINSA_7pointerIxNSA_11hip_rocprim3tagENSA_11use_defaultESG_EEEEPS6_NSA_18transform_iteratorI10is_orderedNSA_12zip_iteratorINSA_5tupleINSC_INSA_10device_ptrIxEEEESQ_NSA_9null_typeESR_SR_SR_SR_SR_SR_SR_EEEESG_SG_EENS0_5tupleIJPxSJ_EEENSV_IJSJ_SJ_EEES6_PlJS6_EEE10hipError_tPvRmT3_T4_T5_T6_T7_T9_mT8_P12ihipStream_tbDpT10_ENKUlT_T0_E_clISt17integral_constantIbLb0EES1I_IbLb1EEEEDaS1E_S1F_EUlS1E_E_NS1_11comp_targetILNS1_3genE0ELNS1_11target_archE4294967295ELNS1_3gpuE0ELNS1_3repE0EEENS1_30default_config_static_selectorELNS0_4arch9wavefront6targetE1EEEvT1_: ; @_ZN7rocprim17ROCPRIM_400000_NS6detail17trampoline_kernelINS0_14default_configENS1_25partition_config_selectorILNS1_17partition_subalgoE2ExNS0_10empty_typeEbEEZZNS1_14partition_implILS5_2ELb0ES3_jN6thrust23THRUST_200600_302600_NS6detail15normal_iteratorINSA_7pointerIxNSA_11hip_rocprim3tagENSA_11use_defaultESG_EEEEPS6_NSA_18transform_iteratorI10is_orderedNSA_12zip_iteratorINSA_5tupleINSC_INSA_10device_ptrIxEEEESQ_NSA_9null_typeESR_SR_SR_SR_SR_SR_SR_EEEESG_SG_EENS0_5tupleIJPxSJ_EEENSV_IJSJ_SJ_EEES6_PlJS6_EEE10hipError_tPvRmT3_T4_T5_T6_T7_T9_mT8_P12ihipStream_tbDpT10_ENKUlT_T0_E_clISt17integral_constantIbLb0EES1I_IbLb1EEEEDaS1E_S1F_EUlS1E_E_NS1_11comp_targetILNS1_3genE0ELNS1_11target_archE4294967295ELNS1_3gpuE0ELNS1_3repE0EEENS1_30default_config_static_selectorELNS0_4arch9wavefront6targetE1EEEvT1_
; %bb.0:
	.section	.rodata,"a",@progbits
	.p2align	6, 0x0
	.amdhsa_kernel _ZN7rocprim17ROCPRIM_400000_NS6detail17trampoline_kernelINS0_14default_configENS1_25partition_config_selectorILNS1_17partition_subalgoE2ExNS0_10empty_typeEbEEZZNS1_14partition_implILS5_2ELb0ES3_jN6thrust23THRUST_200600_302600_NS6detail15normal_iteratorINSA_7pointerIxNSA_11hip_rocprim3tagENSA_11use_defaultESG_EEEEPS6_NSA_18transform_iteratorI10is_orderedNSA_12zip_iteratorINSA_5tupleINSC_INSA_10device_ptrIxEEEESQ_NSA_9null_typeESR_SR_SR_SR_SR_SR_SR_EEEESG_SG_EENS0_5tupleIJPxSJ_EEENSV_IJSJ_SJ_EEES6_PlJS6_EEE10hipError_tPvRmT3_T4_T5_T6_T7_T9_mT8_P12ihipStream_tbDpT10_ENKUlT_T0_E_clISt17integral_constantIbLb0EES1I_IbLb1EEEEDaS1E_S1F_EUlS1E_E_NS1_11comp_targetILNS1_3genE0ELNS1_11target_archE4294967295ELNS1_3gpuE0ELNS1_3repE0EEENS1_30default_config_static_selectorELNS0_4arch9wavefront6targetE1EEEvT1_
		.amdhsa_group_segment_fixed_size 0
		.amdhsa_private_segment_fixed_size 0
		.amdhsa_kernarg_size 152
		.amdhsa_user_sgpr_count 2
		.amdhsa_user_sgpr_dispatch_ptr 0
		.amdhsa_user_sgpr_queue_ptr 0
		.amdhsa_user_sgpr_kernarg_segment_ptr 1
		.amdhsa_user_sgpr_dispatch_id 0
		.amdhsa_user_sgpr_kernarg_preload_length 0
		.amdhsa_user_sgpr_kernarg_preload_offset 0
		.amdhsa_user_sgpr_private_segment_size 0
		.amdhsa_uses_dynamic_stack 0
		.amdhsa_enable_private_segment 0
		.amdhsa_system_sgpr_workgroup_id_x 1
		.amdhsa_system_sgpr_workgroup_id_y 0
		.amdhsa_system_sgpr_workgroup_id_z 0
		.amdhsa_system_sgpr_workgroup_info 0
		.amdhsa_system_vgpr_workitem_id 0
		.amdhsa_next_free_vgpr 1
		.amdhsa_next_free_sgpr 0
		.amdhsa_accum_offset 4
		.amdhsa_reserve_vcc 0
		.amdhsa_float_round_mode_32 0
		.amdhsa_float_round_mode_16_64 0
		.amdhsa_float_denorm_mode_32 3
		.amdhsa_float_denorm_mode_16_64 3
		.amdhsa_dx10_clamp 1
		.amdhsa_ieee_mode 1
		.amdhsa_fp16_overflow 0
		.amdhsa_tg_split 0
		.amdhsa_exception_fp_ieee_invalid_op 0
		.amdhsa_exception_fp_denorm_src 0
		.amdhsa_exception_fp_ieee_div_zero 0
		.amdhsa_exception_fp_ieee_overflow 0
		.amdhsa_exception_fp_ieee_underflow 0
		.amdhsa_exception_fp_ieee_inexact 0
		.amdhsa_exception_int_div_zero 0
	.end_amdhsa_kernel
	.section	.text._ZN7rocprim17ROCPRIM_400000_NS6detail17trampoline_kernelINS0_14default_configENS1_25partition_config_selectorILNS1_17partition_subalgoE2ExNS0_10empty_typeEbEEZZNS1_14partition_implILS5_2ELb0ES3_jN6thrust23THRUST_200600_302600_NS6detail15normal_iteratorINSA_7pointerIxNSA_11hip_rocprim3tagENSA_11use_defaultESG_EEEEPS6_NSA_18transform_iteratorI10is_orderedNSA_12zip_iteratorINSA_5tupleINSC_INSA_10device_ptrIxEEEESQ_NSA_9null_typeESR_SR_SR_SR_SR_SR_SR_EEEESG_SG_EENS0_5tupleIJPxSJ_EEENSV_IJSJ_SJ_EEES6_PlJS6_EEE10hipError_tPvRmT3_T4_T5_T6_T7_T9_mT8_P12ihipStream_tbDpT10_ENKUlT_T0_E_clISt17integral_constantIbLb0EES1I_IbLb1EEEEDaS1E_S1F_EUlS1E_E_NS1_11comp_targetILNS1_3genE0ELNS1_11target_archE4294967295ELNS1_3gpuE0ELNS1_3repE0EEENS1_30default_config_static_selectorELNS0_4arch9wavefront6targetE1EEEvT1_,"axG",@progbits,_ZN7rocprim17ROCPRIM_400000_NS6detail17trampoline_kernelINS0_14default_configENS1_25partition_config_selectorILNS1_17partition_subalgoE2ExNS0_10empty_typeEbEEZZNS1_14partition_implILS5_2ELb0ES3_jN6thrust23THRUST_200600_302600_NS6detail15normal_iteratorINSA_7pointerIxNSA_11hip_rocprim3tagENSA_11use_defaultESG_EEEEPS6_NSA_18transform_iteratorI10is_orderedNSA_12zip_iteratorINSA_5tupleINSC_INSA_10device_ptrIxEEEESQ_NSA_9null_typeESR_SR_SR_SR_SR_SR_SR_EEEESG_SG_EENS0_5tupleIJPxSJ_EEENSV_IJSJ_SJ_EEES6_PlJS6_EEE10hipError_tPvRmT3_T4_T5_T6_T7_T9_mT8_P12ihipStream_tbDpT10_ENKUlT_T0_E_clISt17integral_constantIbLb0EES1I_IbLb1EEEEDaS1E_S1F_EUlS1E_E_NS1_11comp_targetILNS1_3genE0ELNS1_11target_archE4294967295ELNS1_3gpuE0ELNS1_3repE0EEENS1_30default_config_static_selectorELNS0_4arch9wavefront6targetE1EEEvT1_,comdat
.Lfunc_end3586:
	.size	_ZN7rocprim17ROCPRIM_400000_NS6detail17trampoline_kernelINS0_14default_configENS1_25partition_config_selectorILNS1_17partition_subalgoE2ExNS0_10empty_typeEbEEZZNS1_14partition_implILS5_2ELb0ES3_jN6thrust23THRUST_200600_302600_NS6detail15normal_iteratorINSA_7pointerIxNSA_11hip_rocprim3tagENSA_11use_defaultESG_EEEEPS6_NSA_18transform_iteratorI10is_orderedNSA_12zip_iteratorINSA_5tupleINSC_INSA_10device_ptrIxEEEESQ_NSA_9null_typeESR_SR_SR_SR_SR_SR_SR_EEEESG_SG_EENS0_5tupleIJPxSJ_EEENSV_IJSJ_SJ_EEES6_PlJS6_EEE10hipError_tPvRmT3_T4_T5_T6_T7_T9_mT8_P12ihipStream_tbDpT10_ENKUlT_T0_E_clISt17integral_constantIbLb0EES1I_IbLb1EEEEDaS1E_S1F_EUlS1E_E_NS1_11comp_targetILNS1_3genE0ELNS1_11target_archE4294967295ELNS1_3gpuE0ELNS1_3repE0EEENS1_30default_config_static_selectorELNS0_4arch9wavefront6targetE1EEEvT1_, .Lfunc_end3586-_ZN7rocprim17ROCPRIM_400000_NS6detail17trampoline_kernelINS0_14default_configENS1_25partition_config_selectorILNS1_17partition_subalgoE2ExNS0_10empty_typeEbEEZZNS1_14partition_implILS5_2ELb0ES3_jN6thrust23THRUST_200600_302600_NS6detail15normal_iteratorINSA_7pointerIxNSA_11hip_rocprim3tagENSA_11use_defaultESG_EEEEPS6_NSA_18transform_iteratorI10is_orderedNSA_12zip_iteratorINSA_5tupleINSC_INSA_10device_ptrIxEEEESQ_NSA_9null_typeESR_SR_SR_SR_SR_SR_SR_EEEESG_SG_EENS0_5tupleIJPxSJ_EEENSV_IJSJ_SJ_EEES6_PlJS6_EEE10hipError_tPvRmT3_T4_T5_T6_T7_T9_mT8_P12ihipStream_tbDpT10_ENKUlT_T0_E_clISt17integral_constantIbLb0EES1I_IbLb1EEEEDaS1E_S1F_EUlS1E_E_NS1_11comp_targetILNS1_3genE0ELNS1_11target_archE4294967295ELNS1_3gpuE0ELNS1_3repE0EEENS1_30default_config_static_selectorELNS0_4arch9wavefront6targetE1EEEvT1_
                                        ; -- End function
	.section	.AMDGPU.csdata,"",@progbits
; Kernel info:
; codeLenInByte = 0
; NumSgprs: 6
; NumVgprs: 0
; NumAgprs: 0
; TotalNumVgprs: 0
; ScratchSize: 0
; MemoryBound: 0
; FloatMode: 240
; IeeeMode: 1
; LDSByteSize: 0 bytes/workgroup (compile time only)
; SGPRBlocks: 0
; VGPRBlocks: 0
; NumSGPRsForWavesPerEU: 6
; NumVGPRsForWavesPerEU: 1
; AccumOffset: 4
; Occupancy: 8
; WaveLimiterHint : 0
; COMPUTE_PGM_RSRC2:SCRATCH_EN: 0
; COMPUTE_PGM_RSRC2:USER_SGPR: 2
; COMPUTE_PGM_RSRC2:TRAP_HANDLER: 0
; COMPUTE_PGM_RSRC2:TGID_X_EN: 1
; COMPUTE_PGM_RSRC2:TGID_Y_EN: 0
; COMPUTE_PGM_RSRC2:TGID_Z_EN: 0
; COMPUTE_PGM_RSRC2:TIDIG_COMP_CNT: 0
; COMPUTE_PGM_RSRC3_GFX90A:ACCUM_OFFSET: 0
; COMPUTE_PGM_RSRC3_GFX90A:TG_SPLIT: 0
	.section	.text._ZN7rocprim17ROCPRIM_400000_NS6detail17trampoline_kernelINS0_14default_configENS1_25partition_config_selectorILNS1_17partition_subalgoE2ExNS0_10empty_typeEbEEZZNS1_14partition_implILS5_2ELb0ES3_jN6thrust23THRUST_200600_302600_NS6detail15normal_iteratorINSA_7pointerIxNSA_11hip_rocprim3tagENSA_11use_defaultESG_EEEEPS6_NSA_18transform_iteratorI10is_orderedNSA_12zip_iteratorINSA_5tupleINSC_INSA_10device_ptrIxEEEESQ_NSA_9null_typeESR_SR_SR_SR_SR_SR_SR_EEEESG_SG_EENS0_5tupleIJPxSJ_EEENSV_IJSJ_SJ_EEES6_PlJS6_EEE10hipError_tPvRmT3_T4_T5_T6_T7_T9_mT8_P12ihipStream_tbDpT10_ENKUlT_T0_E_clISt17integral_constantIbLb0EES1I_IbLb1EEEEDaS1E_S1F_EUlS1E_E_NS1_11comp_targetILNS1_3genE5ELNS1_11target_archE942ELNS1_3gpuE9ELNS1_3repE0EEENS1_30default_config_static_selectorELNS0_4arch9wavefront6targetE1EEEvT1_,"axG",@progbits,_ZN7rocprim17ROCPRIM_400000_NS6detail17trampoline_kernelINS0_14default_configENS1_25partition_config_selectorILNS1_17partition_subalgoE2ExNS0_10empty_typeEbEEZZNS1_14partition_implILS5_2ELb0ES3_jN6thrust23THRUST_200600_302600_NS6detail15normal_iteratorINSA_7pointerIxNSA_11hip_rocprim3tagENSA_11use_defaultESG_EEEEPS6_NSA_18transform_iteratorI10is_orderedNSA_12zip_iteratorINSA_5tupleINSC_INSA_10device_ptrIxEEEESQ_NSA_9null_typeESR_SR_SR_SR_SR_SR_SR_EEEESG_SG_EENS0_5tupleIJPxSJ_EEENSV_IJSJ_SJ_EEES6_PlJS6_EEE10hipError_tPvRmT3_T4_T5_T6_T7_T9_mT8_P12ihipStream_tbDpT10_ENKUlT_T0_E_clISt17integral_constantIbLb0EES1I_IbLb1EEEEDaS1E_S1F_EUlS1E_E_NS1_11comp_targetILNS1_3genE5ELNS1_11target_archE942ELNS1_3gpuE9ELNS1_3repE0EEENS1_30default_config_static_selectorELNS0_4arch9wavefront6targetE1EEEvT1_,comdat
	.protected	_ZN7rocprim17ROCPRIM_400000_NS6detail17trampoline_kernelINS0_14default_configENS1_25partition_config_selectorILNS1_17partition_subalgoE2ExNS0_10empty_typeEbEEZZNS1_14partition_implILS5_2ELb0ES3_jN6thrust23THRUST_200600_302600_NS6detail15normal_iteratorINSA_7pointerIxNSA_11hip_rocprim3tagENSA_11use_defaultESG_EEEEPS6_NSA_18transform_iteratorI10is_orderedNSA_12zip_iteratorINSA_5tupleINSC_INSA_10device_ptrIxEEEESQ_NSA_9null_typeESR_SR_SR_SR_SR_SR_SR_EEEESG_SG_EENS0_5tupleIJPxSJ_EEENSV_IJSJ_SJ_EEES6_PlJS6_EEE10hipError_tPvRmT3_T4_T5_T6_T7_T9_mT8_P12ihipStream_tbDpT10_ENKUlT_T0_E_clISt17integral_constantIbLb0EES1I_IbLb1EEEEDaS1E_S1F_EUlS1E_E_NS1_11comp_targetILNS1_3genE5ELNS1_11target_archE942ELNS1_3gpuE9ELNS1_3repE0EEENS1_30default_config_static_selectorELNS0_4arch9wavefront6targetE1EEEvT1_ ; -- Begin function _ZN7rocprim17ROCPRIM_400000_NS6detail17trampoline_kernelINS0_14default_configENS1_25partition_config_selectorILNS1_17partition_subalgoE2ExNS0_10empty_typeEbEEZZNS1_14partition_implILS5_2ELb0ES3_jN6thrust23THRUST_200600_302600_NS6detail15normal_iteratorINSA_7pointerIxNSA_11hip_rocprim3tagENSA_11use_defaultESG_EEEEPS6_NSA_18transform_iteratorI10is_orderedNSA_12zip_iteratorINSA_5tupleINSC_INSA_10device_ptrIxEEEESQ_NSA_9null_typeESR_SR_SR_SR_SR_SR_SR_EEEESG_SG_EENS0_5tupleIJPxSJ_EEENSV_IJSJ_SJ_EEES6_PlJS6_EEE10hipError_tPvRmT3_T4_T5_T6_T7_T9_mT8_P12ihipStream_tbDpT10_ENKUlT_T0_E_clISt17integral_constantIbLb0EES1I_IbLb1EEEEDaS1E_S1F_EUlS1E_E_NS1_11comp_targetILNS1_3genE5ELNS1_11target_archE942ELNS1_3gpuE9ELNS1_3repE0EEENS1_30default_config_static_selectorELNS0_4arch9wavefront6targetE1EEEvT1_
	.globl	_ZN7rocprim17ROCPRIM_400000_NS6detail17trampoline_kernelINS0_14default_configENS1_25partition_config_selectorILNS1_17partition_subalgoE2ExNS0_10empty_typeEbEEZZNS1_14partition_implILS5_2ELb0ES3_jN6thrust23THRUST_200600_302600_NS6detail15normal_iteratorINSA_7pointerIxNSA_11hip_rocprim3tagENSA_11use_defaultESG_EEEEPS6_NSA_18transform_iteratorI10is_orderedNSA_12zip_iteratorINSA_5tupleINSC_INSA_10device_ptrIxEEEESQ_NSA_9null_typeESR_SR_SR_SR_SR_SR_SR_EEEESG_SG_EENS0_5tupleIJPxSJ_EEENSV_IJSJ_SJ_EEES6_PlJS6_EEE10hipError_tPvRmT3_T4_T5_T6_T7_T9_mT8_P12ihipStream_tbDpT10_ENKUlT_T0_E_clISt17integral_constantIbLb0EES1I_IbLb1EEEEDaS1E_S1F_EUlS1E_E_NS1_11comp_targetILNS1_3genE5ELNS1_11target_archE942ELNS1_3gpuE9ELNS1_3repE0EEENS1_30default_config_static_selectorELNS0_4arch9wavefront6targetE1EEEvT1_
	.p2align	8
	.type	_ZN7rocprim17ROCPRIM_400000_NS6detail17trampoline_kernelINS0_14default_configENS1_25partition_config_selectorILNS1_17partition_subalgoE2ExNS0_10empty_typeEbEEZZNS1_14partition_implILS5_2ELb0ES3_jN6thrust23THRUST_200600_302600_NS6detail15normal_iteratorINSA_7pointerIxNSA_11hip_rocprim3tagENSA_11use_defaultESG_EEEEPS6_NSA_18transform_iteratorI10is_orderedNSA_12zip_iteratorINSA_5tupleINSC_INSA_10device_ptrIxEEEESQ_NSA_9null_typeESR_SR_SR_SR_SR_SR_SR_EEEESG_SG_EENS0_5tupleIJPxSJ_EEENSV_IJSJ_SJ_EEES6_PlJS6_EEE10hipError_tPvRmT3_T4_T5_T6_T7_T9_mT8_P12ihipStream_tbDpT10_ENKUlT_T0_E_clISt17integral_constantIbLb0EES1I_IbLb1EEEEDaS1E_S1F_EUlS1E_E_NS1_11comp_targetILNS1_3genE5ELNS1_11target_archE942ELNS1_3gpuE9ELNS1_3repE0EEENS1_30default_config_static_selectorELNS0_4arch9wavefront6targetE1EEEvT1_,@function
_ZN7rocprim17ROCPRIM_400000_NS6detail17trampoline_kernelINS0_14default_configENS1_25partition_config_selectorILNS1_17partition_subalgoE2ExNS0_10empty_typeEbEEZZNS1_14partition_implILS5_2ELb0ES3_jN6thrust23THRUST_200600_302600_NS6detail15normal_iteratorINSA_7pointerIxNSA_11hip_rocprim3tagENSA_11use_defaultESG_EEEEPS6_NSA_18transform_iteratorI10is_orderedNSA_12zip_iteratorINSA_5tupleINSC_INSA_10device_ptrIxEEEESQ_NSA_9null_typeESR_SR_SR_SR_SR_SR_SR_EEEESG_SG_EENS0_5tupleIJPxSJ_EEENSV_IJSJ_SJ_EEES6_PlJS6_EEE10hipError_tPvRmT3_T4_T5_T6_T7_T9_mT8_P12ihipStream_tbDpT10_ENKUlT_T0_E_clISt17integral_constantIbLb0EES1I_IbLb1EEEEDaS1E_S1F_EUlS1E_E_NS1_11comp_targetILNS1_3genE5ELNS1_11target_archE942ELNS1_3gpuE9ELNS1_3repE0EEENS1_30default_config_static_selectorELNS0_4arch9wavefront6targetE1EEEvT1_: ; @_ZN7rocprim17ROCPRIM_400000_NS6detail17trampoline_kernelINS0_14default_configENS1_25partition_config_selectorILNS1_17partition_subalgoE2ExNS0_10empty_typeEbEEZZNS1_14partition_implILS5_2ELb0ES3_jN6thrust23THRUST_200600_302600_NS6detail15normal_iteratorINSA_7pointerIxNSA_11hip_rocprim3tagENSA_11use_defaultESG_EEEEPS6_NSA_18transform_iteratorI10is_orderedNSA_12zip_iteratorINSA_5tupleINSC_INSA_10device_ptrIxEEEESQ_NSA_9null_typeESR_SR_SR_SR_SR_SR_SR_EEEESG_SG_EENS0_5tupleIJPxSJ_EEENSV_IJSJ_SJ_EEES6_PlJS6_EEE10hipError_tPvRmT3_T4_T5_T6_T7_T9_mT8_P12ihipStream_tbDpT10_ENKUlT_T0_E_clISt17integral_constantIbLb0EES1I_IbLb1EEEEDaS1E_S1F_EUlS1E_E_NS1_11comp_targetILNS1_3genE5ELNS1_11target_archE942ELNS1_3gpuE9ELNS1_3repE0EEENS1_30default_config_static_selectorELNS0_4arch9wavefront6targetE1EEEvT1_
; %bb.0:
	s_load_dwordx2 s[28:29], s[0:1], 0x38
	s_load_dwordx4 s[20:23], s[0:1], 0x58
	s_load_dwordx2 s[30:31], s[0:1], 0x68
	s_load_dwordx2 s[36:37], s[0:1], 0x78
	v_cmp_eq_u32_e64 s[18:19], 0, v0
	s_and_saveexec_b64 s[2:3], s[18:19]
	s_cbranch_execz .LBB3587_4
; %bb.1:
	s_mov_b64 s[6:7], exec
	v_mbcnt_lo_u32_b32 v1, s6, 0
	v_mbcnt_hi_u32_b32 v1, s7, v1
	v_cmp_eq_u32_e32 vcc, 0, v1
                                        ; implicit-def: $vgpr2
	s_and_saveexec_b64 s[4:5], vcc
	s_cbranch_execz .LBB3587_3
; %bb.2:
	s_load_dwordx2 s[8:9], s[0:1], 0x88
	s_bcnt1_i32_b64 s6, s[6:7]
	v_mov_b32_e32 v2, 0
	v_mov_b32_e32 v3, s6
	s_waitcnt lgkmcnt(0)
	global_atomic_add v2, v2, v3, s[8:9] sc0
.LBB3587_3:
	s_or_b64 exec, exec, s[4:5]
	s_waitcnt vmcnt(0)
	v_readfirstlane_b32 s4, v2
	v_mov_b32_e32 v2, 0
	s_nop 0
	v_add_u32_e32 v1, s4, v1
	ds_write_b32 v2, v1
.LBB3587_4:
	s_or_b64 exec, exec, s[2:3]
	v_mov_b32_e32 v19, 0
	s_load_dwordx4 s[24:27], s[0:1], 0x8
	s_load_dwordx4 s[4:7], s[0:1], 0x20
	s_load_dword s8, s[0:1], 0x80
	s_waitcnt lgkmcnt(0)
	s_barrier
	ds_read_b32 v1, v19
	s_waitcnt lgkmcnt(0)
	s_barrier
	global_load_dwordx2 v[20:21], v19, s[22:23]
	s_lshl_b64 s[2:3], s[26:27], 3
	s_add_u32 s10, s24, s2
	s_mul_i32 s0, s8, 0xe00
	s_addc_u32 s11, s25, s3
	s_add_i32 s1, s0, s26
	s_sub_i32 s33, s30, s1
	s_add_i32 s9, s8, -1
	s_addk_i32 s33, 0xe00
	s_add_u32 s0, s26, s0
	v_readfirstlane_b32 s42, v1
	s_addc_u32 s1, s27, 0
	s_cmp_eq_u32 s42, s9
	v_mov_b64_e32 v[2:3], s[30:31]
	s_cselect_b64 s[22:23], -1, 0
	s_cmp_lg_u32 s42, s9
	s_mul_i32 s24, s42, 0xe00
	s_mov_b32 s25, 0
	v_cmp_lt_u64_e32 vcc, s[0:1], v[2:3]
	s_cselect_b64 s[0:1], -1, 0
	s_or_b64 s[34:35], vcc, s[0:1]
	s_lshl_b64 s[8:9], s[24:25], 3
	s_add_u32 s10, s10, s8
	s_addc_u32 s11, s11, s9
	s_mov_b64 s[0:1], -1
	s_and_b64 vcc, exec, s[34:35]
	v_lshlrev_b32_e32 v18, 3, v0
	s_cbranch_vccz .LBB3587_6
; %bb.5:
	v_lshl_add_u64 v[2:3], s[10:11], 0, v[18:19]
	v_add_co_u32_e32 v4, vcc, 0x1000, v2
	s_mov_b64 s[0:1], 0
	s_nop 0
	v_addc_co_u32_e32 v5, vcc, 0, v3, vcc
	v_add_co_u32_e32 v6, vcc, 0x2000, v2
	s_nop 1
	v_addc_co_u32_e32 v7, vcc, 0, v3, vcc
	v_add_co_u32_e32 v8, vcc, 0x3000, v2
	s_nop 1
	v_addc_co_u32_e32 v9, vcc, 0, v3, vcc
	flat_load_dwordx2 v[10:11], v[2:3]
	flat_load_dwordx2 v[12:13], v[4:5]
	flat_load_dwordx2 v[14:15], v[6:7]
	flat_load_dwordx2 v[16:17], v[8:9]
	v_add_co_u32_e32 v4, vcc, 0x4000, v2
	s_nop 1
	v_addc_co_u32_e32 v5, vcc, 0, v3, vcc
	v_add_co_u32_e32 v6, vcc, 0x5000, v2
	s_nop 1
	v_addc_co_u32_e32 v7, vcc, 0, v3, vcc
	;; [unrolled: 3-line block ×3, first 2 shown]
	flat_load_dwordx2 v[8:9], v[4:5]
	flat_load_dwordx2 v[22:23], v[6:7]
	;; [unrolled: 1-line block ×3, first 2 shown]
	s_waitcnt vmcnt(0) lgkmcnt(0)
	ds_write2st64_b64 v18, v[10:11], v[12:13] offset1:8
	ds_write2st64_b64 v18, v[14:15], v[16:17] offset0:16 offset1:24
	ds_write2st64_b64 v18, v[8:9], v[22:23] offset0:32 offset1:40
	ds_write_b64 v18, v[24:25] offset:24576
	s_waitcnt lgkmcnt(0)
	s_barrier
.LBB3587_6:
	s_andn2_b64 vcc, exec, s[0:1]
	v_cmp_gt_u32_e64 s[0:1], s33, v0
	s_cbranch_vccnz .LBB3587_22
; %bb.7:
                                        ; implicit-def: $vgpr2_vgpr3_vgpr4_vgpr5_vgpr6_vgpr7_vgpr8_vgpr9_vgpr10_vgpr11_vgpr12_vgpr13_vgpr14_vgpr15_vgpr16_vgpr17
	s_and_saveexec_b64 s[12:13], s[0:1]
	s_cbranch_execz .LBB3587_9
; %bb.8:
	v_mov_b32_e32 v19, 0
	v_lshl_add_u64 v[2:3], s[10:11], 0, v[18:19]
	flat_load_dwordx2 v[2:3], v[2:3]
.LBB3587_9:
	s_or_b64 exec, exec, s[12:13]
	v_or_b32_e32 v1, 0x200, v0
	v_cmp_gt_u32_e32 vcc, s33, v1
	s_and_saveexec_b64 s[0:1], vcc
	s_cbranch_execz .LBB3587_11
; %bb.10:
	v_lshlrev_b32_e32 v4, 3, v1
	v_mov_b32_e32 v5, 0
	v_lshl_add_u64 v[4:5], s[10:11], 0, v[4:5]
	flat_load_dwordx2 v[4:5], v[4:5]
.LBB3587_11:
	s_or_b64 exec, exec, s[0:1]
	v_or_b32_e32 v1, 0x400, v0
	v_cmp_gt_u32_e32 vcc, s33, v1
	s_and_saveexec_b64 s[0:1], vcc
	s_cbranch_execz .LBB3587_13
; %bb.12:
	v_lshlrev_b32_e32 v6, 3, v1
	v_mov_b32_e32 v7, 0
	v_lshl_add_u64 v[6:7], s[10:11], 0, v[6:7]
	flat_load_dwordx2 v[6:7], v[6:7]
.LBB3587_13:
	;; [unrolled: 11-line block ×6, first 2 shown]
	s_or_b64 exec, exec, s[0:1]
	s_waitcnt vmcnt(0) lgkmcnt(0)
	ds_write2st64_b64 v18, v[2:3], v[4:5] offset1:8
	ds_write2st64_b64 v18, v[6:7], v[8:9] offset0:16 offset1:24
	ds_write2st64_b64 v18, v[10:11], v[12:13] offset0:32 offset1:40
	ds_write_b64 v18, v[14:15] offset:24576
	s_waitcnt lgkmcnt(0)
	s_barrier
.LBB3587_22:
	v_mul_u32_u24_e32 v1, 7, v0
	s_add_u32 s0, s4, s2
	v_lshlrev_b32_e32 v16, 3, v1
	s_addc_u32 s1, s5, s3
	ds_read2_b64 v[10:13], v16 offset1:1
	ds_read2_b64 v[6:9], v16 offset0:2 offset1:3
	ds_read2_b64 v[2:5], v16 offset0:4 offset1:5
	ds_read_b64 v[14:15], v16 offset:48
	s_add_u32 s2, s6, s2
	s_addc_u32 s3, s7, s3
	s_add_u32 s0, s0, s8
	s_addc_u32 s1, s1, s9
	;; [unrolled: 2-line block ×3, first 2 shown]
	s_mov_b64 s[4:5], -1
	s_and_b64 vcc, exec, s[34:35]
	s_waitcnt lgkmcnt(0)
	s_barrier
	s_cbranch_vccz .LBB3587_24
; %bb.23:
	v_mov_b32_e32 v19, 0
	v_lshl_add_u64 v[22:23], s[0:1], 0, v[18:19]
	v_add_co_u32_e32 v30, vcc, 0x1000, v22
	v_lshl_add_u64 v[24:25], s[2:3], 0, v[18:19]
	s_nop 0
	v_addc_co_u32_e32 v31, vcc, 0, v23, vcc
	v_add_co_u32_e32 v32, vcc, 0x1000, v24
	global_load_dwordx2 v[26:27], v18, s[0:1]
	global_load_dwordx2 v[28:29], v18, s[2:3]
	v_addc_co_u32_e32 v33, vcc, 0, v25, vcc
	v_add_co_u32_e32 v34, vcc, 0x2000, v22
	global_load_dwordx2 v[30:31], v[30:31], off
	s_nop 0
	v_addc_co_u32_e32 v35, vcc, 0, v23, vcc
	v_add_co_u32_e32 v36, vcc, 0x2000, v24
	global_load_dwordx2 v[32:33], v[32:33], off
	s_nop 0
	;; [unrolled: 4-line block ×10, first 2 shown]
	v_addc_co_u32_e32 v25, vcc, 0, v25, vcc
	global_load_dwordx2 v[22:23], v[22:23], off
	s_mov_b64 s[4:5], 0
	global_load_dwordx2 v[24:25], v[24:25], off
	s_waitcnt vmcnt(12)
	v_cmp_le_i64_e32 vcc, v[26:27], v[28:29]
	s_nop 1
	v_cndmask_b32_e64 v17, 0, 1, vcc
	ds_write_b8 v0, v17
	s_waitcnt vmcnt(10)
	v_cmp_le_i64_e32 vcc, v[30:31], v[32:33]
	s_nop 1
	v_cndmask_b32_e64 v17, 0, 1, vcc
	ds_write_b8 v0, v17 offset:512
	s_waitcnt vmcnt(8)
	v_cmp_le_i64_e32 vcc, v[34:35], v[36:37]
	s_nop 1
	v_cndmask_b32_e64 v17, 0, 1, vcc
	ds_write_b8 v0, v17 offset:1024
	s_waitcnt vmcnt(6)
	v_cmp_le_i64_e32 vcc, v[38:39], v[40:41]
	s_nop 1
	v_cndmask_b32_e64 v17, 0, 1, vcc
	ds_write_b8 v0, v17 offset:1536
	s_waitcnt vmcnt(4)
	v_cmp_le_i64_e32 vcc, v[42:43], v[44:45]
	s_nop 1
	v_cndmask_b32_e64 v17, 0, 1, vcc
	ds_write_b8 v0, v17 offset:2048
	s_waitcnt vmcnt(2)
	v_cmp_le_i64_e32 vcc, v[46:47], v[48:49]
	s_nop 1
	v_cndmask_b32_e64 v17, 0, 1, vcc
	s_waitcnt vmcnt(0)
	v_cmp_le_i64_e32 vcc, v[22:23], v[24:25]
	s_nop 1
	v_cndmask_b32_e64 v19, 0, 1, vcc
	ds_write_b8 v0, v17 offset:2560
	ds_write_b8 v0, v19 offset:3072
	s_waitcnt lgkmcnt(0)
	s_barrier
.LBB3587_24:
	s_andn2_b64 vcc, exec, s[4:5]
	s_cbranch_vccnz .LBB3587_40
; %bb.25:
	v_cmp_gt_u32_e32 vcc, s33, v0
	v_mov_b32_e32 v19, 0
	v_mov_b32_e32 v17, 0
	s_and_saveexec_b64 s[4:5], vcc
	s_cbranch_execz .LBB3587_27
; %bb.26:
	global_load_dwordx2 v[22:23], v18, s[0:1]
	global_load_dwordx2 v[24:25], v18, s[2:3]
	s_waitcnt vmcnt(0)
	v_cmp_le_i64_e32 vcc, v[22:23], v[24:25]
	s_nop 1
	v_cndmask_b32_e64 v17, 0, 1, vcc
.LBB3587_27:
	s_or_b64 exec, exec, s[4:5]
	v_or_b32_e32 v22, 0x200, v0
	v_cmp_gt_u32_e32 vcc, s33, v22
	s_and_saveexec_b64 s[4:5], vcc
	s_cbranch_execz .LBB3587_29
; %bb.28:
	v_lshlrev_b32_e32 v19, 3, v22
	global_load_dwordx2 v[22:23], v19, s[0:1]
	global_load_dwordx2 v[24:25], v19, s[2:3]
	s_waitcnt vmcnt(0)
	v_cmp_le_i64_e32 vcc, v[22:23], v[24:25]
	s_nop 1
	v_cndmask_b32_e64 v19, 0, 1, vcc
.LBB3587_29:
	s_or_b64 exec, exec, s[4:5]
	v_or_b32_e32 v24, 0x400, v0
	v_cmp_gt_u32_e32 vcc, s33, v24
	v_mov_b32_e32 v22, 0
	v_mov_b32_e32 v23, 0
	s_and_saveexec_b64 s[4:5], vcc
	s_cbranch_execz .LBB3587_31
; %bb.30:
	v_lshlrev_b32_e32 v23, 3, v24
	global_load_dwordx2 v[24:25], v23, s[0:1]
	global_load_dwordx2 v[26:27], v23, s[2:3]
	s_waitcnt vmcnt(0)
	v_cmp_le_i64_e32 vcc, v[24:25], v[26:27]
	s_nop 1
	v_cndmask_b32_e64 v23, 0, 1, vcc
.LBB3587_31:
	s_or_b64 exec, exec, s[4:5]
	v_or_b32_e32 v24, 0x600, v0
	v_cmp_gt_u32_e32 vcc, s33, v24
	s_and_saveexec_b64 s[4:5], vcc
	s_cbranch_execz .LBB3587_33
; %bb.32:
	v_lshlrev_b32_e32 v22, 3, v24
	global_load_dwordx2 v[24:25], v22, s[0:1]
	global_load_dwordx2 v[26:27], v22, s[2:3]
	s_waitcnt vmcnt(0)
	v_cmp_le_i64_e32 vcc, v[24:25], v[26:27]
	s_nop 1
	v_cndmask_b32_e64 v22, 0, 1, vcc
.LBB3587_33:
	s_or_b64 exec, exec, s[4:5]
	v_or_b32_e32 v26, 0x800, v0
	v_cmp_gt_u32_e32 vcc, s33, v26
	v_mov_b32_e32 v24, 0
	v_mov_b32_e32 v25, 0
	s_and_saveexec_b64 s[4:5], vcc
	s_cbranch_execz .LBB3587_35
; %bb.34:
	v_lshlrev_b32_e32 v25, 3, v26
	global_load_dwordx2 v[26:27], v25, s[0:1]
	global_load_dwordx2 v[28:29], v25, s[2:3]
	s_waitcnt vmcnt(0)
	v_cmp_le_i64_e32 vcc, v[26:27], v[28:29]
	s_nop 1
	v_cndmask_b32_e64 v25, 0, 1, vcc
.LBB3587_35:
	s_or_b64 exec, exec, s[4:5]
	v_or_b32_e32 v26, 0xa00, v0
	v_cmp_gt_u32_e32 vcc, s33, v26
	s_and_saveexec_b64 s[4:5], vcc
	s_cbranch_execz .LBB3587_37
; %bb.36:
	v_lshlrev_b32_e32 v24, 3, v26
	global_load_dwordx2 v[26:27], v24, s[0:1]
	global_load_dwordx2 v[28:29], v24, s[2:3]
	s_waitcnt vmcnt(0)
	v_cmp_le_i64_e32 vcc, v[26:27], v[28:29]
	s_nop 1
	v_cndmask_b32_e64 v24, 0, 1, vcc
.LBB3587_37:
	s_or_b64 exec, exec, s[4:5]
	v_or_b32_e32 v27, 0xc00, v0
	v_cmp_gt_u32_e32 vcc, s33, v27
	v_mov_b32_e32 v26, 0
	s_and_saveexec_b64 s[4:5], vcc
	s_cbranch_execz .LBB3587_39
; %bb.38:
	v_lshlrev_b32_e32 v30, 3, v27
	global_load_dwordx2 v[26:27], v30, s[0:1]
	global_load_dwordx2 v[28:29], v30, s[2:3]
	s_waitcnt vmcnt(0)
	v_cmp_le_i64_e32 vcc, v[26:27], v[28:29]
	s_nop 1
	v_cndmask_b32_e64 v26, 0, 1, vcc
.LBB3587_39:
	s_or_b64 exec, exec, s[4:5]
	ds_write_b8 v0, v17
	ds_write_b8 v0, v19 offset:512
	ds_write_b8 v0, v23 offset:1024
	;; [unrolled: 1-line block ×6, first 2 shown]
	s_waitcnt lgkmcnt(0)
	s_barrier
.LBB3587_40:
	s_movk_i32 s0, 0xffcf
	v_mad_i32_i24 v38, v0, s0, v16
	ds_read_u8 v16, v38
	ds_read_u8 v17, v38 offset:1
	ds_read_u8 v19, v38 offset:2
	;; [unrolled: 1-line block ×6, first 2 shown]
	s_waitcnt lgkmcnt(6)
	v_and_b32_e32 v36, 1, v16
	s_waitcnt lgkmcnt(5)
	v_and_b32_e32 v35, 1, v17
	;; [unrolled: 2-line block ×5, first 2 shown]
	v_add3_u32 v16, v35, v36, v33
	s_waitcnt lgkmcnt(1)
	v_and_b32_e32 v30, 1, v24
	s_waitcnt lgkmcnt(0)
	v_and_b32_e32 v19, 1, v25
	v_add3_u32 v16, v16, v32, v31
	v_add3_u32 v40, v16, v30, v19
	v_mbcnt_lo_u32_b32 v16, -1, 0
	v_mbcnt_hi_u32_b32 v37, -1, v16
	v_and_b32_e32 v16, 15, v37
	v_cmp_eq_u32_e64 s[14:15], 0, v16
	v_cmp_lt_u32_e64 s[12:13], 1, v16
	v_cmp_lt_u32_e64 s[10:11], 3, v16
	;; [unrolled: 1-line block ×3, first 2 shown]
	v_and_b32_e32 v16, 16, v37
	v_cmp_eq_u32_e64 s[6:7], 0, v16
	v_or_b32_e32 v16, 63, v0
	s_cmp_lg_u32 s42, 0
	v_cmp_lt_u32_e64 s[2:3], 31, v37
	v_lshrrev_b32_e32 v39, 6, v0
	v_cmp_eq_u32_e64 s[4:5], v16, v0
	s_barrier
	s_cbranch_scc0 .LBB3587_67
; %bb.41:
	v_mov_b32_dpp v16, v40 row_shr:1 row_mask:0xf bank_mask:0xf
	v_cndmask_b32_e64 v16, v16, 0, s[14:15]
	v_add_u32_e32 v16, v16, v40
	s_nop 1
	v_mov_b32_dpp v17, v16 row_shr:2 row_mask:0xf bank_mask:0xf
	v_cndmask_b32_e64 v17, 0, v17, s[12:13]
	v_add_u32_e32 v16, v16, v17
	s_nop 1
	;; [unrolled: 4-line block ×4, first 2 shown]
	v_mov_b32_dpp v17, v16 row_bcast:15 row_mask:0xf bank_mask:0xf
	v_cndmask_b32_e64 v17, v17, 0, s[6:7]
	v_add_u32_e32 v16, v16, v17
	s_nop 1
	v_mov_b32_dpp v17, v16 row_bcast:31 row_mask:0xf bank_mask:0xf
	v_cndmask_b32_e64 v17, 0, v17, s[2:3]
	v_add_u32_e32 v16, v16, v17
	s_and_saveexec_b64 s[0:1], s[4:5]
	s_cbranch_execz .LBB3587_43
; %bb.42:
	v_lshlrev_b32_e32 v17, 2, v39
	ds_write_b32 v17, v16
.LBB3587_43:
	s_or_b64 exec, exec, s[0:1]
	v_cmp_gt_u32_e32 vcc, 8, v0
	s_waitcnt lgkmcnt(0)
	s_barrier
	s_and_saveexec_b64 s[0:1], vcc
	s_cbranch_execz .LBB3587_45
; %bb.44:
	v_lshlrev_b32_e32 v17, 2, v0
	ds_read_b32 v22, v17
	v_and_b32_e32 v23, 7, v37
	v_cmp_ne_u32_e32 vcc, 0, v23
	s_waitcnt lgkmcnt(0)
	v_mov_b32_dpp v24, v22 row_shr:1 row_mask:0xf bank_mask:0xf
	v_cndmask_b32_e32 v24, 0, v24, vcc
	v_add_u32_e32 v22, v24, v22
	v_cmp_lt_u32_e32 vcc, 1, v23
	s_nop 0
	v_mov_b32_dpp v24, v22 row_shr:2 row_mask:0xf bank_mask:0xf
	v_cndmask_b32_e32 v24, 0, v24, vcc
	v_add_u32_e32 v22, v22, v24
	v_cmp_lt_u32_e32 vcc, 3, v23
	s_nop 0
	v_mov_b32_dpp v24, v22 row_shr:4 row_mask:0xf bank_mask:0xf
	v_cndmask_b32_e32 v23, 0, v24, vcc
	v_add_u32_e32 v22, v22, v23
	ds_write_b32 v17, v22
.LBB3587_45:
	s_or_b64 exec, exec, s[0:1]
	v_cmp_gt_u32_e32 vcc, 64, v0
	v_cmp_lt_u32_e64 s[0:1], 63, v0
	s_waitcnt lgkmcnt(0)
	s_barrier
	s_waitcnt lgkmcnt(0)
                                        ; implicit-def: $vgpr34
	s_and_saveexec_b64 s[16:17], s[0:1]
	s_cbranch_execz .LBB3587_47
; %bb.46:
	v_lshl_add_u32 v17, v39, 2, -4
	ds_read_b32 v34, v17
	s_waitcnt lgkmcnt(0)
	v_add_u32_e32 v16, v34, v16
.LBB3587_47:
	s_or_b64 exec, exec, s[16:17]
	v_add_u32_e32 v17, -1, v37
	v_and_b32_e32 v22, 64, v37
	v_cmp_lt_i32_e64 s[0:1], v17, v22
	v_cmp_eq_u32_e64 s[16:17], 0, v37
	s_nop 0
	v_cndmask_b32_e64 v17, v17, v37, s[0:1]
	v_lshlrev_b32_e32 v17, 2, v17
	ds_bpermute_b32 v41, v17, v16
	s_and_saveexec_b64 s[0:1], vcc
	s_cbranch_execz .LBB3587_66
; %bb.48:
	v_mov_b32_e32 v27, 0
	ds_read_b32 v16, v27 offset:28
	s_and_saveexec_b64 s[38:39], s[16:17]
	s_cbranch_execz .LBB3587_50
; %bb.49:
	s_add_i32 s40, s42, 64
	s_mov_b32 s41, 0
	s_lshl_b64 s[40:41], s[40:41], 3
	s_add_u32 s40, s36, s40
	v_mov_b32_e32 v17, 1
	s_addc_u32 s41, s37, s41
	s_waitcnt lgkmcnt(0)
	global_store_dwordx2 v27, v[16:17], s[40:41] sc1
.LBB3587_50:
	s_or_b64 exec, exec, s[38:39]
	v_xad_u32 v22, v37, -1, s42
	v_add_u32_e32 v26, 64, v22
	v_lshl_add_u64 v[28:29], v[26:27], 3, s[36:37]
	global_load_dwordx2 v[24:25], v[28:29], off sc1
	s_waitcnt vmcnt(0)
	v_cmp_eq_u16_sdwa s[40:41], v25, v27 src0_sel:BYTE_0 src1_sel:DWORD
	s_and_saveexec_b64 s[38:39], s[40:41]
	s_cbranch_execz .LBB3587_54
; %bb.51:
	s_mov_b64 s[40:41], 0
	v_mov_b32_e32 v17, 0
.LBB3587_52:                            ; =>This Inner Loop Header: Depth=1
	global_load_dwordx2 v[24:25], v[28:29], off sc1
	s_waitcnt vmcnt(0)
	v_cmp_ne_u16_sdwa s[44:45], v25, v17 src0_sel:BYTE_0 src1_sel:DWORD
	s_or_b64 s[40:41], s[44:45], s[40:41]
	s_andn2_b64 exec, exec, s[40:41]
	s_cbranch_execnz .LBB3587_52
; %bb.53:
	s_or_b64 exec, exec, s[40:41]
.LBB3587_54:
	s_or_b64 exec, exec, s[38:39]
	v_and_b32_e32 v43, 63, v37
	v_mov_b32_e32 v42, 2
	v_cmp_ne_u32_e32 vcc, 63, v43
	v_cmp_eq_u16_sdwa s[38:39], v25, v42 src0_sel:BYTE_0 src1_sel:DWORD
	v_lshlrev_b64 v[26:27], v37, -1
	v_addc_co_u32_e32 v28, vcc, 0, v37, vcc
	v_and_b32_e32 v17, s39, v27
	v_lshlrev_b32_e32 v44, 2, v28
	v_or_b32_e32 v17, 0x80000000, v17
	ds_bpermute_b32 v28, v44, v24
	v_and_b32_e32 v23, s38, v26
	v_ffbl_b32_e32 v17, v17
	v_add_u32_e32 v17, 32, v17
	v_ffbl_b32_e32 v23, v23
	v_min_u32_e32 v17, v23, v17
	v_cmp_lt_u32_e32 vcc, v43, v17
	v_add_u32_e32 v46, 2, v43
	v_add_u32_e32 v48, 4, v43
	s_waitcnt lgkmcnt(0)
	v_cndmask_b32_e32 v23, 0, v28, vcc
	v_cmp_gt_u32_e32 vcc, 62, v43
	v_add_u32_e32 v23, v23, v24
	v_add_u32_e32 v50, 8, v43
	v_cndmask_b32_e64 v24, 0, 1, vcc
	v_lshlrev_b32_e32 v24, 1, v24
	v_add_lshl_u32 v45, v24, v37, 2
	ds_bpermute_b32 v24, v45, v23
	v_cmp_le_u32_e32 vcc, v46, v17
	v_add_u32_e32 v52, 16, v43
	v_add_u32_e32 v54, 32, v43
	s_waitcnt lgkmcnt(0)
	v_cndmask_b32_e32 v24, 0, v24, vcc
	v_cmp_gt_u32_e32 vcc, 60, v43
	v_add_u32_e32 v23, v23, v24
	s_nop 0
	v_cndmask_b32_e64 v24, 0, 1, vcc
	v_lshlrev_b32_e32 v24, 2, v24
	v_add_lshl_u32 v47, v24, v37, 2
	ds_bpermute_b32 v24, v47, v23
	v_cmp_le_u32_e32 vcc, v48, v17
	s_waitcnt lgkmcnt(0)
	s_nop 0
	v_cndmask_b32_e32 v24, 0, v24, vcc
	v_cmp_gt_u32_e32 vcc, 56, v43
	v_add_u32_e32 v23, v23, v24
	s_nop 0
	v_cndmask_b32_e64 v24, 0, 1, vcc
	v_lshlrev_b32_e32 v24, 3, v24
	v_add_lshl_u32 v49, v24, v37, 2
	ds_bpermute_b32 v24, v49, v23
	v_cmp_le_u32_e32 vcc, v50, v17
	s_waitcnt lgkmcnt(0)
	s_nop 0
	;; [unrolled: 11-line block ×4, first 2 shown]
	v_cndmask_b32_e32 v17, 0, v24, vcc
	v_add_u32_e32 v24, v23, v17
	v_mov_b32_e32 v23, 0
	s_branch .LBB3587_56
.LBB3587_55:                            ;   in Loop: Header=BB3587_56 Depth=1
	s_or_b64 exec, exec, s[38:39]
	v_cmp_eq_u16_sdwa s[38:39], v25, v42 src0_sel:BYTE_0 src1_sel:DWORD
	ds_bpermute_b32 v55, v44, v24
	v_subrev_u32_e32 v22, 64, v22
	v_and_b32_e32 v28, s39, v27
	v_or_b32_e32 v28, 0x80000000, v28
	v_and_b32_e32 v29, s38, v26
	v_ffbl_b32_e32 v28, v28
	v_add_u32_e32 v28, 32, v28
	v_ffbl_b32_e32 v29, v29
	v_min_u32_e32 v28, v29, v28
	v_cmp_lt_u32_e32 vcc, v43, v28
	s_waitcnt lgkmcnt(0)
	s_nop 0
	v_cndmask_b32_e32 v29, 0, v55, vcc
	v_add_u32_e32 v24, v29, v24
	ds_bpermute_b32 v29, v45, v24
	v_cmp_le_u32_e32 vcc, v46, v28
	s_waitcnt lgkmcnt(0)
	s_nop 0
	v_cndmask_b32_e32 v29, 0, v29, vcc
	v_add_u32_e32 v24, v24, v29
	ds_bpermute_b32 v29, v47, v24
	v_cmp_le_u32_e32 vcc, v48, v28
	;; [unrolled: 6-line block ×5, first 2 shown]
	s_waitcnt lgkmcnt(0)
	s_nop 0
	v_cndmask_b32_e32 v28, 0, v29, vcc
	v_add3_u32 v24, v28, v17, v24
.LBB3587_56:                            ; =>This Loop Header: Depth=1
                                        ;     Child Loop BB3587_59 Depth 2
	v_cmp_ne_u16_sdwa s[38:39], v25, v42 src0_sel:BYTE_0 src1_sel:DWORD
	s_nop 1
	v_cndmask_b32_e64 v17, 0, 1, s[38:39]
	;;#ASMSTART
	;;#ASMEND
	s_nop 0
	v_cmp_ne_u32_e32 vcc, 0, v17
	s_cmp_lg_u64 vcc, exec
	v_mov_b32_e32 v17, v24
	s_cbranch_scc1 .LBB3587_61
; %bb.57:                               ;   in Loop: Header=BB3587_56 Depth=1
	v_lshl_add_u64 v[28:29], v[22:23], 3, s[36:37]
	global_load_dwordx2 v[24:25], v[28:29], off sc1
	s_waitcnt vmcnt(0)
	v_cmp_eq_u16_sdwa s[40:41], v25, v23 src0_sel:BYTE_0 src1_sel:DWORD
	s_and_saveexec_b64 s[38:39], s[40:41]
	s_cbranch_execz .LBB3587_55
; %bb.58:                               ;   in Loop: Header=BB3587_56 Depth=1
	s_mov_b64 s[40:41], 0
.LBB3587_59:                            ;   Parent Loop BB3587_56 Depth=1
                                        ; =>  This Inner Loop Header: Depth=2
	global_load_dwordx2 v[24:25], v[28:29], off sc1
	s_waitcnt vmcnt(0)
	v_cmp_ne_u16_sdwa s[44:45], v25, v23 src0_sel:BYTE_0 src1_sel:DWORD
	s_or_b64 s[40:41], s[44:45], s[40:41]
	s_andn2_b64 exec, exec, s[40:41]
	s_cbranch_execnz .LBB3587_59
; %bb.60:                               ;   in Loop: Header=BB3587_56 Depth=1
	s_or_b64 exec, exec, s[40:41]
	s_branch .LBB3587_55
.LBB3587_61:                            ;   in Loop: Header=BB3587_56 Depth=1
                                        ; implicit-def: $vgpr24
                                        ; implicit-def: $vgpr25
	s_cbranch_execz .LBB3587_56
; %bb.62:
	s_and_saveexec_b64 s[38:39], s[16:17]
	s_cbranch_execz .LBB3587_64
; %bb.63:
	s_add_i32 s40, s42, 64
	s_mov_b32 s41, 0
	s_lshl_b64 s[40:41], s[40:41], 3
	s_add_u32 s40, s36, s40
	v_add_u32_e32 v22, v17, v16
	v_mov_b32_e32 v23, 2
	s_addc_u32 s41, s37, s41
	v_mov_b32_e32 v24, 0
	global_store_dwordx2 v24, v[22:23], s[40:41] sc1
	ds_write_b64 v24, v[16:17] offset:28672
.LBB3587_64:
	s_or_b64 exec, exec, s[38:39]
	s_and_b64 exec, exec, s[18:19]
	s_cbranch_execz .LBB3587_66
; %bb.65:
	v_mov_b32_e32 v16, 0
	ds_write_b32 v16, v17 offset:28
.LBB3587_66:
	s_or_b64 exec, exec, s[0:1]
	v_mov_b32_e32 v16, 0
	s_waitcnt lgkmcnt(0)
	s_barrier
	ds_read_b32 v17, v16 offset:28
	v_cndmask_b32_e64 v22, v41, v34, s[16:17]
	v_cndmask_b32_e64 v22, v22, 0, s[18:19]
	s_waitcnt lgkmcnt(0)
	s_barrier
	v_add_u32_e32 v28, v17, v22
	v_add_u32_e32 v27, v28, v36
	ds_read_b64 v[16:17], v16 offset:28672
	v_add_u32_e32 v26, v27, v35
	v_add_u32_e32 v24, v26, v33
	;; [unrolled: 1-line block ×5, first 2 shown]
	s_waitcnt lgkmcnt(0)
	v_mov_b32_e32 v34, v17
	s_branch .LBB3587_77
.LBB3587_67:
                                        ; implicit-def: $vgpr34
                                        ; implicit-def: $vgpr16
                                        ; implicit-def: $vgpr22
                                        ; implicit-def: $vgpr23
                                        ; implicit-def: $vgpr25
                                        ; implicit-def: $vgpr24
                                        ; implicit-def: $vgpr26
                                        ; implicit-def: $vgpr27
                                        ; implicit-def: $vgpr28
	s_cbranch_execz .LBB3587_77
; %bb.68:
	s_nop 0
	v_mov_b32_dpp v16, v40 row_shr:1 row_mask:0xf bank_mask:0xf
	v_cndmask_b32_e64 v16, v16, 0, s[14:15]
	v_add_u32_e32 v16, v16, v40
	s_nop 1
	v_mov_b32_dpp v17, v16 row_shr:2 row_mask:0xf bank_mask:0xf
	v_cndmask_b32_e64 v17, 0, v17, s[12:13]
	v_add_u32_e32 v16, v16, v17
	;; [unrolled: 4-line block ×4, first 2 shown]
	s_nop 1
	v_mov_b32_dpp v17, v16 row_bcast:15 row_mask:0xf bank_mask:0xf
	v_cndmask_b32_e64 v17, v17, 0, s[6:7]
	v_add_u32_e32 v16, v16, v17
	s_nop 1
	v_mov_b32_dpp v17, v16 row_bcast:31 row_mask:0xf bank_mask:0xf
	v_cndmask_b32_e64 v17, 0, v17, s[2:3]
	v_add_u32_e32 v16, v16, v17
	s_and_saveexec_b64 s[0:1], s[4:5]
	s_cbranch_execz .LBB3587_70
; %bb.69:
	v_lshlrev_b32_e32 v17, 2, v39
	ds_write_b32 v17, v16
.LBB3587_70:
	s_or_b64 exec, exec, s[0:1]
	v_cmp_gt_u32_e32 vcc, 8, v0
	s_waitcnt lgkmcnt(0)
	s_barrier
	s_and_saveexec_b64 s[0:1], vcc
	s_cbranch_execz .LBB3587_72
; %bb.71:
	v_mad_i32_i24 v17, v0, -3, v38
	ds_read_b32 v22, v17
	v_and_b32_e32 v23, 7, v37
	v_cmp_ne_u32_e32 vcc, 0, v23
	s_waitcnt lgkmcnt(0)
	v_mov_b32_dpp v24, v22 row_shr:1 row_mask:0xf bank_mask:0xf
	v_cndmask_b32_e32 v24, 0, v24, vcc
	v_add_u32_e32 v22, v24, v22
	v_cmp_lt_u32_e32 vcc, 1, v23
	s_nop 0
	v_mov_b32_dpp v24, v22 row_shr:2 row_mask:0xf bank_mask:0xf
	v_cndmask_b32_e32 v24, 0, v24, vcc
	v_add_u32_e32 v22, v22, v24
	v_cmp_lt_u32_e32 vcc, 3, v23
	s_nop 0
	v_mov_b32_dpp v24, v22 row_shr:4 row_mask:0xf bank_mask:0xf
	v_cndmask_b32_e32 v23, 0, v24, vcc
	v_add_u32_e32 v22, v22, v23
	ds_write_b32 v17, v22
.LBB3587_72:
	s_or_b64 exec, exec, s[0:1]
	v_cmp_lt_u32_e32 vcc, 63, v0
	v_mov_b32_e32 v17, 0
	v_mov_b32_e32 v22, 0
	s_waitcnt lgkmcnt(0)
	s_barrier
	s_and_saveexec_b64 s[0:1], vcc
	s_cbranch_execz .LBB3587_74
; %bb.73:
	v_lshl_add_u32 v22, v39, 2, -4
	ds_read_b32 v22, v22
.LBB3587_74:
	s_or_b64 exec, exec, s[0:1]
	v_add_u32_e32 v23, -1, v37
	v_and_b32_e32 v24, 64, v37
	v_cmp_lt_i32_e32 vcc, v23, v24
	s_waitcnt lgkmcnt(0)
	v_add_u32_e32 v16, v22, v16
	v_cndmask_b32_e32 v23, v23, v37, vcc
	v_lshlrev_b32_e32 v23, 2, v23
	ds_bpermute_b32 v23, v23, v16
	ds_read_b32 v16, v17 offset:28
	s_and_saveexec_b64 s[0:1], s[18:19]
	s_cbranch_execz .LBB3587_76
; %bb.75:
	v_mov_b32_e32 v24, 0
	v_mov_b32_e32 v17, 2
	s_waitcnt lgkmcnt(0)
	global_store_dwordx2 v24, v[16:17], s[36:37] offset:512 sc1
.LBB3587_76:
	s_or_b64 exec, exec, s[0:1]
	v_cmp_eq_u32_e32 vcc, 0, v37
	v_mov_b32_e32 v34, 0
	s_waitcnt lgkmcnt(0)
	v_cndmask_b32_e32 v17, v23, v22, vcc
	v_cndmask_b32_e64 v28, v17, 0, s[18:19]
	v_add_u32_e32 v27, v28, v36
	v_add_u32_e32 v26, v27, v35
	;; [unrolled: 1-line block ×6, first 2 shown]
	s_barrier
.LBB3587_77:
	v_add_u32_e32 v1, v16, v1
	v_sub_u32_e32 v17, v28, v34
	v_sub_u32_e32 v28, v1, v17
	v_cmp_eq_u32_e32 vcc, 1, v36
	s_add_u32 s0, s26, s24
	s_addc_u32 s1, s27, 0
	v_cndmask_b32_e32 v17, v28, v17, vcc
	v_lshlrev_b32_e32 v17, 3, v17
	ds_write_b64 v17, v[10:11]
	v_sub_u32_e32 v10, v27, v34
	v_sub_u32_e32 v11, v1, v10
	v_add_u32_e32 v11, 1, v11
	v_cmp_eq_u32_e32 vcc, 1, v35
	s_sub_u32 s0, s30, s0
	s_subb_u32 s1, s31, s1
	v_cndmask_b32_e32 v10, v11, v10, vcc
	v_lshlrev_b32_e32 v10, 3, v10
	ds_write_b64 v10, v[12:13]
	v_sub_u32_e32 v10, v26, v34
	v_sub_u32_e32 v11, v1, v10
	v_add_u32_e32 v11, 2, v11
	v_cmp_eq_u32_e32 vcc, 1, v33
	v_or_b32_e32 v28, 0x600, v0
	v_or_b32_e32 v26, 0x800, v0
	v_cndmask_b32_e32 v10, v11, v10, vcc
	v_lshlrev_b32_e32 v10, 3, v10
	ds_write_b64 v10, v[6:7]
	v_sub_u32_e32 v6, v24, v34
	v_sub_u32_e32 v7, v1, v6
	v_add_u32_e32 v7, 3, v7
	v_cmp_eq_u32_e32 vcc, 1, v32
	v_or_b32_e32 v32, 0x200, v0
	v_or_b32_e32 v24, 0xa00, v0
	v_cndmask_b32_e32 v6, v7, v6, vcc
	v_lshlrev_b32_e32 v6, 3, v6
	ds_write_b64 v6, v[8:9]
	v_sub_u32_e32 v6, v25, v34
	v_sub_u32_e32 v7, v1, v6
	v_add_u32_e32 v7, 4, v7
	v_cmp_eq_u32_e32 vcc, 1, v31
	s_nop 1
	v_cndmask_b32_e32 v6, v7, v6, vcc
	v_lshlrev_b32_e32 v6, 3, v6
	ds_write_b64 v6, v[2:3]
	v_sub_u32_e32 v2, v23, v34
	v_sub_u32_e32 v3, v1, v2
	v_add_u32_e32 v3, 5, v3
	v_cmp_eq_u32_e32 vcc, 1, v30
	v_or_b32_e32 v30, 0x400, v0
	s_nop 0
	v_cndmask_b32_e32 v2, v3, v2, vcc
	v_lshlrev_b32_e32 v2, 3, v2
	ds_write_b64 v2, v[4:5]
	v_sub_u32_e32 v2, v22, v34
	v_sub_u32_e32 v1, v1, v2
	v_add_u32_e32 v1, 6, v1
	v_cmp_eq_u32_e32 vcc, 1, v19
	v_or_b32_e32 v22, 0xc00, v0
	s_nop 0
	v_cndmask_b32_e32 v1, v1, v2, vcc
	v_lshlrev_b32_e32 v1, 3, v1
	ds_write_b64 v1, v[14:15]
	s_waitcnt lgkmcnt(0)
	s_barrier
	ds_read2st64_b64 v[10:13], v18 offset1:8
	ds_read2st64_b64 v[6:9], v18 offset0:16 offset1:24
	ds_read2st64_b64 v[2:5], v18 offset0:32 offset1:40
	ds_read_b64 v[18:19], v18 offset:24576
	v_mov_b32_e32 v1, 0
	v_mov_b32_e32 v35, v1
	;; [unrolled: 1-line block ×3, first 2 shown]
	s_waitcnt vmcnt(0)
	v_lshl_add_u64 v[14:15], v[20:21], 0, v[34:35]
	v_lshl_add_u64 v[20:21], s[0:1], 0, v[16:17]
	v_mov_b32_e32 v33, v1
	v_mov_b32_e32 v31, v1
	;; [unrolled: 1-line block ×6, first 2 shown]
	s_andn2_b64 vcc, exec, s[34:35]
	v_lshl_add_u64 v[20:21], v[20:21], 0, v[14:15]
	s_cbranch_vccnz .LBB3587_110
; %bb.78:
	v_cmp_ge_u32_e32 vcc, v0, v16
                                        ; implicit-def: $vgpr34_vgpr35
	s_and_saveexec_b64 s[0:1], vcc
	s_xor_b64 s[0:1], exec, s[0:1]
; %bb.79:
	v_not_b32_e32 v34, v0
	v_ashrrev_i32_e32 v35, 31, v34
	v_lshl_add_u64 v[34:35], v[20:21], 0, v[34:35]
; %bb.80:
	s_andn2_saveexec_b64 s[0:1], s[0:1]
; %bb.81:
	v_lshl_add_u64 v[34:35], v[14:15], 0, v[0:1]
; %bb.82:
	s_or_b64 exec, exec, s[0:1]
	v_lshl_add_u64 v[34:35], v[34:35], 3, s[28:29]
	v_cmp_ge_u32_e32 vcc, v32, v16
	s_waitcnt lgkmcnt(3)
	global_store_dwordx2 v[34:35], v[10:11], off
                                        ; implicit-def: $vgpr34_vgpr35
	s_and_saveexec_b64 s[0:1], vcc
	s_xor_b64 s[0:1], exec, s[0:1]
; %bb.83:
	v_xor_b32_e32 v34, 0xfffffdff, v0
	v_ashrrev_i32_e32 v35, 31, v34
	v_lshl_add_u64 v[34:35], v[20:21], 0, v[34:35]
; %bb.84:
	s_andn2_saveexec_b64 s[0:1], s[0:1]
; %bb.85:
	v_lshl_add_u64 v[34:35], v[14:15], 0, v[32:33]
; %bb.86:
	s_or_b64 exec, exec, s[0:1]
	v_lshl_add_u64 v[34:35], v[34:35], 3, s[28:29]
	v_cmp_ge_u32_e32 vcc, v30, v16
	global_store_dwordx2 v[34:35], v[12:13], off
                                        ; implicit-def: $vgpr34_vgpr35
	s_and_saveexec_b64 s[0:1], vcc
	s_xor_b64 s[0:1], exec, s[0:1]
; %bb.87:
	v_xor_b32_e32 v34, 0xfffffbff, v0
	v_ashrrev_i32_e32 v35, 31, v34
	v_lshl_add_u64 v[34:35], v[20:21], 0, v[34:35]
; %bb.88:
	s_andn2_saveexec_b64 s[0:1], s[0:1]
; %bb.89:
	v_lshl_add_u64 v[34:35], v[14:15], 0, v[30:31]
; %bb.90:
	s_or_b64 exec, exec, s[0:1]
	v_lshl_add_u64 v[34:35], v[34:35], 3, s[28:29]
	v_cmp_ge_u32_e32 vcc, v28, v16
	s_waitcnt lgkmcnt(2)
	global_store_dwordx2 v[34:35], v[6:7], off
                                        ; implicit-def: $vgpr34_vgpr35
	s_and_saveexec_b64 s[0:1], vcc
	s_xor_b64 s[0:1], exec, s[0:1]
; %bb.91:
	v_xor_b32_e32 v34, 0xfffff9ff, v0
	v_ashrrev_i32_e32 v35, 31, v34
	v_lshl_add_u64 v[34:35], v[20:21], 0, v[34:35]
; %bb.92:
	s_andn2_saveexec_b64 s[0:1], s[0:1]
; %bb.93:
	v_lshl_add_u64 v[34:35], v[14:15], 0, v[28:29]
; %bb.94:
	s_or_b64 exec, exec, s[0:1]
	v_lshl_add_u64 v[34:35], v[34:35], 3, s[28:29]
	v_cmp_ge_u32_e32 vcc, v26, v16
	global_store_dwordx2 v[34:35], v[8:9], off
                                        ; implicit-def: $vgpr34_vgpr35
	s_and_saveexec_b64 s[0:1], vcc
	s_xor_b64 s[0:1], exec, s[0:1]
; %bb.95:
	v_xor_b32_e32 v34, 0xfffff7ff, v0
	;; [unrolled: 33-line block ×3, first 2 shown]
	v_ashrrev_i32_e32 v35, 31, v34
	v_lshl_add_u64 v[34:35], v[20:21], 0, v[34:35]
; %bb.104:
	s_andn2_saveexec_b64 s[0:1], s[0:1]
; %bb.105:
	v_lshl_add_u64 v[34:35], v[14:15], 0, v[22:23]
; %bb.106:
	s_or_b64 exec, exec, s[0:1]
	s_mov_b64 s[0:1], -1
.LBB3587_107:
	s_and_saveexec_b64 s[2:3], s[0:1]
	s_cbranch_execz .LBB3587_154
.LBB3587_108:
	v_lshl_add_u64 v[0:1], v[34:35], 3, s[28:29]
	s_waitcnt lgkmcnt(0)
	global_store_dwordx2 v[0:1], v[18:19], off
	s_or_b64 exec, exec, s[2:3]
	s_and_b64 s[0:1], s[18:19], s[22:23]
	s_and_saveexec_b64 s[2:3], s[0:1]
	s_cbranch_execnz .LBB3587_155
.LBB3587_109:
	s_endpgm
.LBB3587_110:
	s_mov_b64 s[0:1], 0
                                        ; implicit-def: $vgpr34_vgpr35
	s_cbranch_execz .LBB3587_107
; %bb.111:
	v_cmp_gt_u32_e32 vcc, s33, v0
	s_and_saveexec_b64 s[2:3], vcc
	s_cbranch_execz .LBB3587_129
; %bb.112:
	v_cmp_ge_u32_e32 vcc, v0, v16
                                        ; implicit-def: $vgpr34_vgpr35
	s_and_saveexec_b64 s[4:5], vcc
	s_xor_b64 s[4:5], exec, s[4:5]
; %bb.113:
	v_not_b32_e32 v34, v0
	v_ashrrev_i32_e32 v35, 31, v34
	v_lshl_add_u64 v[34:35], v[20:21], 0, v[34:35]
; %bb.114:
	s_andn2_saveexec_b64 s[4:5], s[4:5]
; %bb.115:
	v_lshl_add_u64 v[34:35], v[14:15], 0, v[0:1]
; %bb.116:
	s_or_b64 exec, exec, s[4:5]
	v_lshl_add_u64 v[34:35], v[34:35], 3, s[28:29]
	s_waitcnt lgkmcnt(3)
	global_store_dwordx2 v[34:35], v[10:11], off
	s_or_b64 exec, exec, s[2:3]
	v_cmp_gt_u32_e32 vcc, s33, v32
	s_and_saveexec_b64 s[2:3], vcc
	s_cbranch_execnz .LBB3587_130
.LBB3587_117:
	s_or_b64 exec, exec, s[2:3]
	v_cmp_gt_u32_e32 vcc, s33, v30
	s_and_saveexec_b64 s[2:3], vcc
	s_cbranch_execz .LBB3587_135
.LBB3587_118:
	v_cmp_ge_u32_e32 vcc, v30, v16
                                        ; implicit-def: $vgpr10_vgpr11
	s_and_saveexec_b64 s[4:5], vcc
	s_xor_b64 s[4:5], exec, s[4:5]
	s_cbranch_execz .LBB3587_120
; %bb.119:
	s_waitcnt lgkmcnt(3)
	v_xor_b32_e32 v10, 0xfffffbff, v0
	v_ashrrev_i32_e32 v11, 31, v10
	v_lshl_add_u64 v[10:11], v[20:21], 0, v[10:11]
                                        ; implicit-def: $vgpr30_vgpr31
.LBB3587_120:
	s_andn2_saveexec_b64 s[4:5], s[4:5]
	s_cbranch_execz .LBB3587_122
; %bb.121:
	s_waitcnt lgkmcnt(3)
	v_lshl_add_u64 v[10:11], v[14:15], 0, v[30:31]
.LBB3587_122:
	s_or_b64 exec, exec, s[4:5]
	s_waitcnt lgkmcnt(3)
	v_lshl_add_u64 v[10:11], v[10:11], 3, s[28:29]
	s_waitcnt lgkmcnt(2)
	global_store_dwordx2 v[10:11], v[6:7], off
	s_or_b64 exec, exec, s[2:3]
	v_cmp_gt_u32_e32 vcc, s33, v28
	s_and_saveexec_b64 s[2:3], vcc
	s_cbranch_execnz .LBB3587_136
.LBB3587_123:
	s_or_b64 exec, exec, s[2:3]
	v_cmp_gt_u32_e32 vcc, s33, v26
	s_and_saveexec_b64 s[2:3], vcc
	s_cbranch_execz .LBB3587_141
.LBB3587_124:
	v_cmp_ge_u32_e32 vcc, v26, v16
                                        ; implicit-def: $vgpr6_vgpr7
	s_and_saveexec_b64 s[4:5], vcc
	s_xor_b64 s[4:5], exec, s[4:5]
	s_cbranch_execz .LBB3587_126
; %bb.125:
	s_waitcnt lgkmcnt(2)
	v_xor_b32_e32 v6, 0xfffff7ff, v0
	v_ashrrev_i32_e32 v7, 31, v6
	v_lshl_add_u64 v[6:7], v[20:21], 0, v[6:7]
                                        ; implicit-def: $vgpr26_vgpr27
.LBB3587_126:
	s_andn2_saveexec_b64 s[4:5], s[4:5]
	s_cbranch_execz .LBB3587_128
; %bb.127:
	s_waitcnt lgkmcnt(2)
	v_lshl_add_u64 v[6:7], v[14:15], 0, v[26:27]
.LBB3587_128:
	s_or_b64 exec, exec, s[4:5]
	s_waitcnt lgkmcnt(2)
	v_lshl_add_u64 v[6:7], v[6:7], 3, s[28:29]
	s_waitcnt lgkmcnt(1)
	global_store_dwordx2 v[6:7], v[2:3], off
	s_or_b64 exec, exec, s[2:3]
	v_cmp_gt_u32_e32 vcc, s33, v24
	s_and_saveexec_b64 s[2:3], vcc
	s_cbranch_execz .LBB3587_147
	s_branch .LBB3587_142
.LBB3587_129:
	s_or_b64 exec, exec, s[2:3]
	v_cmp_gt_u32_e32 vcc, s33, v32
	s_and_saveexec_b64 s[2:3], vcc
	s_cbranch_execz .LBB3587_117
.LBB3587_130:
	v_cmp_ge_u32_e32 vcc, v32, v16
                                        ; implicit-def: $vgpr10_vgpr11
	s_and_saveexec_b64 s[4:5], vcc
	s_xor_b64 s[4:5], exec, s[4:5]
	s_cbranch_execz .LBB3587_132
; %bb.131:
	s_waitcnt lgkmcnt(3)
	v_xor_b32_e32 v10, 0xfffffdff, v0
	v_ashrrev_i32_e32 v11, 31, v10
	v_lshl_add_u64 v[10:11], v[20:21], 0, v[10:11]
                                        ; implicit-def: $vgpr32_vgpr33
.LBB3587_132:
	s_andn2_saveexec_b64 s[4:5], s[4:5]
	s_cbranch_execz .LBB3587_134
; %bb.133:
	s_waitcnt lgkmcnt(3)
	v_lshl_add_u64 v[10:11], v[14:15], 0, v[32:33]
.LBB3587_134:
	s_or_b64 exec, exec, s[4:5]
	s_waitcnt lgkmcnt(3)
	v_lshl_add_u64 v[10:11], v[10:11], 3, s[28:29]
	global_store_dwordx2 v[10:11], v[12:13], off
	s_or_b64 exec, exec, s[2:3]
	v_cmp_gt_u32_e32 vcc, s33, v30
	s_and_saveexec_b64 s[2:3], vcc
	s_cbranch_execnz .LBB3587_118
.LBB3587_135:
	s_or_b64 exec, exec, s[2:3]
	v_cmp_gt_u32_e32 vcc, s33, v28
	s_and_saveexec_b64 s[2:3], vcc
	s_cbranch_execz .LBB3587_123
.LBB3587_136:
	v_cmp_ge_u32_e32 vcc, v28, v16
                                        ; implicit-def: $vgpr6_vgpr7
	s_and_saveexec_b64 s[4:5], vcc
	s_xor_b64 s[4:5], exec, s[4:5]
	s_cbranch_execz .LBB3587_138
; %bb.137:
	s_waitcnt lgkmcnt(2)
	v_xor_b32_e32 v6, 0xfffff9ff, v0
	v_ashrrev_i32_e32 v7, 31, v6
	v_lshl_add_u64 v[6:7], v[20:21], 0, v[6:7]
                                        ; implicit-def: $vgpr28_vgpr29
.LBB3587_138:
	s_andn2_saveexec_b64 s[4:5], s[4:5]
	s_cbranch_execz .LBB3587_140
; %bb.139:
	s_waitcnt lgkmcnt(2)
	v_lshl_add_u64 v[6:7], v[14:15], 0, v[28:29]
.LBB3587_140:
	s_or_b64 exec, exec, s[4:5]
	s_waitcnt lgkmcnt(2)
	v_lshl_add_u64 v[6:7], v[6:7], 3, s[28:29]
	global_store_dwordx2 v[6:7], v[8:9], off
	s_or_b64 exec, exec, s[2:3]
	v_cmp_gt_u32_e32 vcc, s33, v26
	s_and_saveexec_b64 s[2:3], vcc
	s_cbranch_execnz .LBB3587_124
.LBB3587_141:
	s_or_b64 exec, exec, s[2:3]
	v_cmp_gt_u32_e32 vcc, s33, v24
	s_and_saveexec_b64 s[2:3], vcc
	s_cbranch_execz .LBB3587_147
.LBB3587_142:
	v_cmp_ge_u32_e32 vcc, v24, v16
                                        ; implicit-def: $vgpr2_vgpr3
	s_and_saveexec_b64 s[4:5], vcc
	s_xor_b64 s[4:5], exec, s[4:5]
	s_cbranch_execz .LBB3587_144
; %bb.143:
	s_waitcnt lgkmcnt(1)
	v_xor_b32_e32 v2, 0xfffff5ff, v0
	v_ashrrev_i32_e32 v3, 31, v2
	v_lshl_add_u64 v[2:3], v[20:21], 0, v[2:3]
                                        ; implicit-def: $vgpr24_vgpr25
.LBB3587_144:
	s_andn2_saveexec_b64 s[4:5], s[4:5]
	s_cbranch_execz .LBB3587_146
; %bb.145:
	s_waitcnt lgkmcnt(1)
	v_lshl_add_u64 v[2:3], v[14:15], 0, v[24:25]
.LBB3587_146:
	s_or_b64 exec, exec, s[4:5]
	s_waitcnt lgkmcnt(1)
	v_lshl_add_u64 v[2:3], v[2:3], 3, s[28:29]
	global_store_dwordx2 v[2:3], v[4:5], off
.LBB3587_147:
	s_or_b64 exec, exec, s[2:3]
	v_cmp_gt_u32_e32 vcc, s33, v22
                                        ; implicit-def: $vgpr34_vgpr35
	s_and_saveexec_b64 s[2:3], vcc
	s_cbranch_execz .LBB3587_153
; %bb.148:
	v_cmp_ge_u32_e32 vcc, v22, v16
                                        ; implicit-def: $vgpr34_vgpr35
	s_and_saveexec_b64 s[4:5], vcc
	s_xor_b64 s[4:5], exec, s[4:5]
; %bb.149:
	v_xor_b32_e32 v0, 0xfffff3ff, v0
	v_ashrrev_i32_e32 v1, 31, v0
	v_lshl_add_u64 v[34:35], v[20:21], 0, v[0:1]
                                        ; implicit-def: $vgpr22_vgpr23
; %bb.150:
	s_andn2_saveexec_b64 s[4:5], s[4:5]
; %bb.151:
	v_lshl_add_u64 v[34:35], v[14:15], 0, v[22:23]
; %bb.152:
	s_or_b64 exec, exec, s[4:5]
	s_or_b64 s[0:1], s[0:1], exec
.LBB3587_153:
	s_or_b64 exec, exec, s[2:3]
	s_and_saveexec_b64 s[2:3], s[0:1]
	s_cbranch_execnz .LBB3587_108
.LBB3587_154:
	s_or_b64 exec, exec, s[2:3]
	s_and_b64 s[0:1], s[18:19], s[22:23]
	s_and_saveexec_b64 s[2:3], s[0:1]
	s_cbranch_execz .LBB3587_109
.LBB3587_155:
	s_waitcnt lgkmcnt(1)
	v_mov_b32_e32 v2, 0
	v_lshl_add_u64 v[0:1], v[14:15], 0, v[16:17]
	global_store_dwordx2 v2, v[0:1], s[20:21]
	s_endpgm
	.section	.rodata,"a",@progbits
	.p2align	6, 0x0
	.amdhsa_kernel _ZN7rocprim17ROCPRIM_400000_NS6detail17trampoline_kernelINS0_14default_configENS1_25partition_config_selectorILNS1_17partition_subalgoE2ExNS0_10empty_typeEbEEZZNS1_14partition_implILS5_2ELb0ES3_jN6thrust23THRUST_200600_302600_NS6detail15normal_iteratorINSA_7pointerIxNSA_11hip_rocprim3tagENSA_11use_defaultESG_EEEEPS6_NSA_18transform_iteratorI10is_orderedNSA_12zip_iteratorINSA_5tupleINSC_INSA_10device_ptrIxEEEESQ_NSA_9null_typeESR_SR_SR_SR_SR_SR_SR_EEEESG_SG_EENS0_5tupleIJPxSJ_EEENSV_IJSJ_SJ_EEES6_PlJS6_EEE10hipError_tPvRmT3_T4_T5_T6_T7_T9_mT8_P12ihipStream_tbDpT10_ENKUlT_T0_E_clISt17integral_constantIbLb0EES1I_IbLb1EEEEDaS1E_S1F_EUlS1E_E_NS1_11comp_targetILNS1_3genE5ELNS1_11target_archE942ELNS1_3gpuE9ELNS1_3repE0EEENS1_30default_config_static_selectorELNS0_4arch9wavefront6targetE1EEEvT1_
		.amdhsa_group_segment_fixed_size 28680
		.amdhsa_private_segment_fixed_size 0
		.amdhsa_kernarg_size 152
		.amdhsa_user_sgpr_count 2
		.amdhsa_user_sgpr_dispatch_ptr 0
		.amdhsa_user_sgpr_queue_ptr 0
		.amdhsa_user_sgpr_kernarg_segment_ptr 1
		.amdhsa_user_sgpr_dispatch_id 0
		.amdhsa_user_sgpr_kernarg_preload_length 0
		.amdhsa_user_sgpr_kernarg_preload_offset 0
		.amdhsa_user_sgpr_private_segment_size 0
		.amdhsa_uses_dynamic_stack 0
		.amdhsa_enable_private_segment 0
		.amdhsa_system_sgpr_workgroup_id_x 1
		.amdhsa_system_sgpr_workgroup_id_y 0
		.amdhsa_system_sgpr_workgroup_id_z 0
		.amdhsa_system_sgpr_workgroup_info 0
		.amdhsa_system_vgpr_workitem_id 0
		.amdhsa_next_free_vgpr 56
		.amdhsa_next_free_sgpr 46
		.amdhsa_accum_offset 56
		.amdhsa_reserve_vcc 1
		.amdhsa_float_round_mode_32 0
		.amdhsa_float_round_mode_16_64 0
		.amdhsa_float_denorm_mode_32 3
		.amdhsa_float_denorm_mode_16_64 3
		.amdhsa_dx10_clamp 1
		.amdhsa_ieee_mode 1
		.amdhsa_fp16_overflow 0
		.amdhsa_tg_split 0
		.amdhsa_exception_fp_ieee_invalid_op 0
		.amdhsa_exception_fp_denorm_src 0
		.amdhsa_exception_fp_ieee_div_zero 0
		.amdhsa_exception_fp_ieee_overflow 0
		.amdhsa_exception_fp_ieee_underflow 0
		.amdhsa_exception_fp_ieee_inexact 0
		.amdhsa_exception_int_div_zero 0
	.end_amdhsa_kernel
	.section	.text._ZN7rocprim17ROCPRIM_400000_NS6detail17trampoline_kernelINS0_14default_configENS1_25partition_config_selectorILNS1_17partition_subalgoE2ExNS0_10empty_typeEbEEZZNS1_14partition_implILS5_2ELb0ES3_jN6thrust23THRUST_200600_302600_NS6detail15normal_iteratorINSA_7pointerIxNSA_11hip_rocprim3tagENSA_11use_defaultESG_EEEEPS6_NSA_18transform_iteratorI10is_orderedNSA_12zip_iteratorINSA_5tupleINSC_INSA_10device_ptrIxEEEESQ_NSA_9null_typeESR_SR_SR_SR_SR_SR_SR_EEEESG_SG_EENS0_5tupleIJPxSJ_EEENSV_IJSJ_SJ_EEES6_PlJS6_EEE10hipError_tPvRmT3_T4_T5_T6_T7_T9_mT8_P12ihipStream_tbDpT10_ENKUlT_T0_E_clISt17integral_constantIbLb0EES1I_IbLb1EEEEDaS1E_S1F_EUlS1E_E_NS1_11comp_targetILNS1_3genE5ELNS1_11target_archE942ELNS1_3gpuE9ELNS1_3repE0EEENS1_30default_config_static_selectorELNS0_4arch9wavefront6targetE1EEEvT1_,"axG",@progbits,_ZN7rocprim17ROCPRIM_400000_NS6detail17trampoline_kernelINS0_14default_configENS1_25partition_config_selectorILNS1_17partition_subalgoE2ExNS0_10empty_typeEbEEZZNS1_14partition_implILS5_2ELb0ES3_jN6thrust23THRUST_200600_302600_NS6detail15normal_iteratorINSA_7pointerIxNSA_11hip_rocprim3tagENSA_11use_defaultESG_EEEEPS6_NSA_18transform_iteratorI10is_orderedNSA_12zip_iteratorINSA_5tupleINSC_INSA_10device_ptrIxEEEESQ_NSA_9null_typeESR_SR_SR_SR_SR_SR_SR_EEEESG_SG_EENS0_5tupleIJPxSJ_EEENSV_IJSJ_SJ_EEES6_PlJS6_EEE10hipError_tPvRmT3_T4_T5_T6_T7_T9_mT8_P12ihipStream_tbDpT10_ENKUlT_T0_E_clISt17integral_constantIbLb0EES1I_IbLb1EEEEDaS1E_S1F_EUlS1E_E_NS1_11comp_targetILNS1_3genE5ELNS1_11target_archE942ELNS1_3gpuE9ELNS1_3repE0EEENS1_30default_config_static_selectorELNS0_4arch9wavefront6targetE1EEEvT1_,comdat
.Lfunc_end3587:
	.size	_ZN7rocprim17ROCPRIM_400000_NS6detail17trampoline_kernelINS0_14default_configENS1_25partition_config_selectorILNS1_17partition_subalgoE2ExNS0_10empty_typeEbEEZZNS1_14partition_implILS5_2ELb0ES3_jN6thrust23THRUST_200600_302600_NS6detail15normal_iteratorINSA_7pointerIxNSA_11hip_rocprim3tagENSA_11use_defaultESG_EEEEPS6_NSA_18transform_iteratorI10is_orderedNSA_12zip_iteratorINSA_5tupleINSC_INSA_10device_ptrIxEEEESQ_NSA_9null_typeESR_SR_SR_SR_SR_SR_SR_EEEESG_SG_EENS0_5tupleIJPxSJ_EEENSV_IJSJ_SJ_EEES6_PlJS6_EEE10hipError_tPvRmT3_T4_T5_T6_T7_T9_mT8_P12ihipStream_tbDpT10_ENKUlT_T0_E_clISt17integral_constantIbLb0EES1I_IbLb1EEEEDaS1E_S1F_EUlS1E_E_NS1_11comp_targetILNS1_3genE5ELNS1_11target_archE942ELNS1_3gpuE9ELNS1_3repE0EEENS1_30default_config_static_selectorELNS0_4arch9wavefront6targetE1EEEvT1_, .Lfunc_end3587-_ZN7rocprim17ROCPRIM_400000_NS6detail17trampoline_kernelINS0_14default_configENS1_25partition_config_selectorILNS1_17partition_subalgoE2ExNS0_10empty_typeEbEEZZNS1_14partition_implILS5_2ELb0ES3_jN6thrust23THRUST_200600_302600_NS6detail15normal_iteratorINSA_7pointerIxNSA_11hip_rocprim3tagENSA_11use_defaultESG_EEEEPS6_NSA_18transform_iteratorI10is_orderedNSA_12zip_iteratorINSA_5tupleINSC_INSA_10device_ptrIxEEEESQ_NSA_9null_typeESR_SR_SR_SR_SR_SR_SR_EEEESG_SG_EENS0_5tupleIJPxSJ_EEENSV_IJSJ_SJ_EEES6_PlJS6_EEE10hipError_tPvRmT3_T4_T5_T6_T7_T9_mT8_P12ihipStream_tbDpT10_ENKUlT_T0_E_clISt17integral_constantIbLb0EES1I_IbLb1EEEEDaS1E_S1F_EUlS1E_E_NS1_11comp_targetILNS1_3genE5ELNS1_11target_archE942ELNS1_3gpuE9ELNS1_3repE0EEENS1_30default_config_static_selectorELNS0_4arch9wavefront6targetE1EEEvT1_
                                        ; -- End function
	.section	.AMDGPU.csdata,"",@progbits
; Kernel info:
; codeLenInByte = 5960
; NumSgprs: 52
; NumVgprs: 56
; NumAgprs: 0
; TotalNumVgprs: 56
; ScratchSize: 0
; MemoryBound: 0
; FloatMode: 240
; IeeeMode: 1
; LDSByteSize: 28680 bytes/workgroup (compile time only)
; SGPRBlocks: 6
; VGPRBlocks: 6
; NumSGPRsForWavesPerEU: 52
; NumVGPRsForWavesPerEU: 56
; AccumOffset: 56
; Occupancy: 4
; WaveLimiterHint : 1
; COMPUTE_PGM_RSRC2:SCRATCH_EN: 0
; COMPUTE_PGM_RSRC2:USER_SGPR: 2
; COMPUTE_PGM_RSRC2:TRAP_HANDLER: 0
; COMPUTE_PGM_RSRC2:TGID_X_EN: 1
; COMPUTE_PGM_RSRC2:TGID_Y_EN: 0
; COMPUTE_PGM_RSRC2:TGID_Z_EN: 0
; COMPUTE_PGM_RSRC2:TIDIG_COMP_CNT: 0
; COMPUTE_PGM_RSRC3_GFX90A:ACCUM_OFFSET: 13
; COMPUTE_PGM_RSRC3_GFX90A:TG_SPLIT: 0
	.section	.text._ZN7rocprim17ROCPRIM_400000_NS6detail17trampoline_kernelINS0_14default_configENS1_25partition_config_selectorILNS1_17partition_subalgoE2ExNS0_10empty_typeEbEEZZNS1_14partition_implILS5_2ELb0ES3_jN6thrust23THRUST_200600_302600_NS6detail15normal_iteratorINSA_7pointerIxNSA_11hip_rocprim3tagENSA_11use_defaultESG_EEEEPS6_NSA_18transform_iteratorI10is_orderedNSA_12zip_iteratorINSA_5tupleINSC_INSA_10device_ptrIxEEEESQ_NSA_9null_typeESR_SR_SR_SR_SR_SR_SR_EEEESG_SG_EENS0_5tupleIJPxSJ_EEENSV_IJSJ_SJ_EEES6_PlJS6_EEE10hipError_tPvRmT3_T4_T5_T6_T7_T9_mT8_P12ihipStream_tbDpT10_ENKUlT_T0_E_clISt17integral_constantIbLb0EES1I_IbLb1EEEEDaS1E_S1F_EUlS1E_E_NS1_11comp_targetILNS1_3genE4ELNS1_11target_archE910ELNS1_3gpuE8ELNS1_3repE0EEENS1_30default_config_static_selectorELNS0_4arch9wavefront6targetE1EEEvT1_,"axG",@progbits,_ZN7rocprim17ROCPRIM_400000_NS6detail17trampoline_kernelINS0_14default_configENS1_25partition_config_selectorILNS1_17partition_subalgoE2ExNS0_10empty_typeEbEEZZNS1_14partition_implILS5_2ELb0ES3_jN6thrust23THRUST_200600_302600_NS6detail15normal_iteratorINSA_7pointerIxNSA_11hip_rocprim3tagENSA_11use_defaultESG_EEEEPS6_NSA_18transform_iteratorI10is_orderedNSA_12zip_iteratorINSA_5tupleINSC_INSA_10device_ptrIxEEEESQ_NSA_9null_typeESR_SR_SR_SR_SR_SR_SR_EEEESG_SG_EENS0_5tupleIJPxSJ_EEENSV_IJSJ_SJ_EEES6_PlJS6_EEE10hipError_tPvRmT3_T4_T5_T6_T7_T9_mT8_P12ihipStream_tbDpT10_ENKUlT_T0_E_clISt17integral_constantIbLb0EES1I_IbLb1EEEEDaS1E_S1F_EUlS1E_E_NS1_11comp_targetILNS1_3genE4ELNS1_11target_archE910ELNS1_3gpuE8ELNS1_3repE0EEENS1_30default_config_static_selectorELNS0_4arch9wavefront6targetE1EEEvT1_,comdat
	.protected	_ZN7rocprim17ROCPRIM_400000_NS6detail17trampoline_kernelINS0_14default_configENS1_25partition_config_selectorILNS1_17partition_subalgoE2ExNS0_10empty_typeEbEEZZNS1_14partition_implILS5_2ELb0ES3_jN6thrust23THRUST_200600_302600_NS6detail15normal_iteratorINSA_7pointerIxNSA_11hip_rocprim3tagENSA_11use_defaultESG_EEEEPS6_NSA_18transform_iteratorI10is_orderedNSA_12zip_iteratorINSA_5tupleINSC_INSA_10device_ptrIxEEEESQ_NSA_9null_typeESR_SR_SR_SR_SR_SR_SR_EEEESG_SG_EENS0_5tupleIJPxSJ_EEENSV_IJSJ_SJ_EEES6_PlJS6_EEE10hipError_tPvRmT3_T4_T5_T6_T7_T9_mT8_P12ihipStream_tbDpT10_ENKUlT_T0_E_clISt17integral_constantIbLb0EES1I_IbLb1EEEEDaS1E_S1F_EUlS1E_E_NS1_11comp_targetILNS1_3genE4ELNS1_11target_archE910ELNS1_3gpuE8ELNS1_3repE0EEENS1_30default_config_static_selectorELNS0_4arch9wavefront6targetE1EEEvT1_ ; -- Begin function _ZN7rocprim17ROCPRIM_400000_NS6detail17trampoline_kernelINS0_14default_configENS1_25partition_config_selectorILNS1_17partition_subalgoE2ExNS0_10empty_typeEbEEZZNS1_14partition_implILS5_2ELb0ES3_jN6thrust23THRUST_200600_302600_NS6detail15normal_iteratorINSA_7pointerIxNSA_11hip_rocprim3tagENSA_11use_defaultESG_EEEEPS6_NSA_18transform_iteratorI10is_orderedNSA_12zip_iteratorINSA_5tupleINSC_INSA_10device_ptrIxEEEESQ_NSA_9null_typeESR_SR_SR_SR_SR_SR_SR_EEEESG_SG_EENS0_5tupleIJPxSJ_EEENSV_IJSJ_SJ_EEES6_PlJS6_EEE10hipError_tPvRmT3_T4_T5_T6_T7_T9_mT8_P12ihipStream_tbDpT10_ENKUlT_T0_E_clISt17integral_constantIbLb0EES1I_IbLb1EEEEDaS1E_S1F_EUlS1E_E_NS1_11comp_targetILNS1_3genE4ELNS1_11target_archE910ELNS1_3gpuE8ELNS1_3repE0EEENS1_30default_config_static_selectorELNS0_4arch9wavefront6targetE1EEEvT1_
	.globl	_ZN7rocprim17ROCPRIM_400000_NS6detail17trampoline_kernelINS0_14default_configENS1_25partition_config_selectorILNS1_17partition_subalgoE2ExNS0_10empty_typeEbEEZZNS1_14partition_implILS5_2ELb0ES3_jN6thrust23THRUST_200600_302600_NS6detail15normal_iteratorINSA_7pointerIxNSA_11hip_rocprim3tagENSA_11use_defaultESG_EEEEPS6_NSA_18transform_iteratorI10is_orderedNSA_12zip_iteratorINSA_5tupleINSC_INSA_10device_ptrIxEEEESQ_NSA_9null_typeESR_SR_SR_SR_SR_SR_SR_EEEESG_SG_EENS0_5tupleIJPxSJ_EEENSV_IJSJ_SJ_EEES6_PlJS6_EEE10hipError_tPvRmT3_T4_T5_T6_T7_T9_mT8_P12ihipStream_tbDpT10_ENKUlT_T0_E_clISt17integral_constantIbLb0EES1I_IbLb1EEEEDaS1E_S1F_EUlS1E_E_NS1_11comp_targetILNS1_3genE4ELNS1_11target_archE910ELNS1_3gpuE8ELNS1_3repE0EEENS1_30default_config_static_selectorELNS0_4arch9wavefront6targetE1EEEvT1_
	.p2align	8
	.type	_ZN7rocprim17ROCPRIM_400000_NS6detail17trampoline_kernelINS0_14default_configENS1_25partition_config_selectorILNS1_17partition_subalgoE2ExNS0_10empty_typeEbEEZZNS1_14partition_implILS5_2ELb0ES3_jN6thrust23THRUST_200600_302600_NS6detail15normal_iteratorINSA_7pointerIxNSA_11hip_rocprim3tagENSA_11use_defaultESG_EEEEPS6_NSA_18transform_iteratorI10is_orderedNSA_12zip_iteratorINSA_5tupleINSC_INSA_10device_ptrIxEEEESQ_NSA_9null_typeESR_SR_SR_SR_SR_SR_SR_EEEESG_SG_EENS0_5tupleIJPxSJ_EEENSV_IJSJ_SJ_EEES6_PlJS6_EEE10hipError_tPvRmT3_T4_T5_T6_T7_T9_mT8_P12ihipStream_tbDpT10_ENKUlT_T0_E_clISt17integral_constantIbLb0EES1I_IbLb1EEEEDaS1E_S1F_EUlS1E_E_NS1_11comp_targetILNS1_3genE4ELNS1_11target_archE910ELNS1_3gpuE8ELNS1_3repE0EEENS1_30default_config_static_selectorELNS0_4arch9wavefront6targetE1EEEvT1_,@function
_ZN7rocprim17ROCPRIM_400000_NS6detail17trampoline_kernelINS0_14default_configENS1_25partition_config_selectorILNS1_17partition_subalgoE2ExNS0_10empty_typeEbEEZZNS1_14partition_implILS5_2ELb0ES3_jN6thrust23THRUST_200600_302600_NS6detail15normal_iteratorINSA_7pointerIxNSA_11hip_rocprim3tagENSA_11use_defaultESG_EEEEPS6_NSA_18transform_iteratorI10is_orderedNSA_12zip_iteratorINSA_5tupleINSC_INSA_10device_ptrIxEEEESQ_NSA_9null_typeESR_SR_SR_SR_SR_SR_SR_EEEESG_SG_EENS0_5tupleIJPxSJ_EEENSV_IJSJ_SJ_EEES6_PlJS6_EEE10hipError_tPvRmT3_T4_T5_T6_T7_T9_mT8_P12ihipStream_tbDpT10_ENKUlT_T0_E_clISt17integral_constantIbLb0EES1I_IbLb1EEEEDaS1E_S1F_EUlS1E_E_NS1_11comp_targetILNS1_3genE4ELNS1_11target_archE910ELNS1_3gpuE8ELNS1_3repE0EEENS1_30default_config_static_selectorELNS0_4arch9wavefront6targetE1EEEvT1_: ; @_ZN7rocprim17ROCPRIM_400000_NS6detail17trampoline_kernelINS0_14default_configENS1_25partition_config_selectorILNS1_17partition_subalgoE2ExNS0_10empty_typeEbEEZZNS1_14partition_implILS5_2ELb0ES3_jN6thrust23THRUST_200600_302600_NS6detail15normal_iteratorINSA_7pointerIxNSA_11hip_rocprim3tagENSA_11use_defaultESG_EEEEPS6_NSA_18transform_iteratorI10is_orderedNSA_12zip_iteratorINSA_5tupleINSC_INSA_10device_ptrIxEEEESQ_NSA_9null_typeESR_SR_SR_SR_SR_SR_SR_EEEESG_SG_EENS0_5tupleIJPxSJ_EEENSV_IJSJ_SJ_EEES6_PlJS6_EEE10hipError_tPvRmT3_T4_T5_T6_T7_T9_mT8_P12ihipStream_tbDpT10_ENKUlT_T0_E_clISt17integral_constantIbLb0EES1I_IbLb1EEEEDaS1E_S1F_EUlS1E_E_NS1_11comp_targetILNS1_3genE4ELNS1_11target_archE910ELNS1_3gpuE8ELNS1_3repE0EEENS1_30default_config_static_selectorELNS0_4arch9wavefront6targetE1EEEvT1_
; %bb.0:
	.section	.rodata,"a",@progbits
	.p2align	6, 0x0
	.amdhsa_kernel _ZN7rocprim17ROCPRIM_400000_NS6detail17trampoline_kernelINS0_14default_configENS1_25partition_config_selectorILNS1_17partition_subalgoE2ExNS0_10empty_typeEbEEZZNS1_14partition_implILS5_2ELb0ES3_jN6thrust23THRUST_200600_302600_NS6detail15normal_iteratorINSA_7pointerIxNSA_11hip_rocprim3tagENSA_11use_defaultESG_EEEEPS6_NSA_18transform_iteratorI10is_orderedNSA_12zip_iteratorINSA_5tupleINSC_INSA_10device_ptrIxEEEESQ_NSA_9null_typeESR_SR_SR_SR_SR_SR_SR_EEEESG_SG_EENS0_5tupleIJPxSJ_EEENSV_IJSJ_SJ_EEES6_PlJS6_EEE10hipError_tPvRmT3_T4_T5_T6_T7_T9_mT8_P12ihipStream_tbDpT10_ENKUlT_T0_E_clISt17integral_constantIbLb0EES1I_IbLb1EEEEDaS1E_S1F_EUlS1E_E_NS1_11comp_targetILNS1_3genE4ELNS1_11target_archE910ELNS1_3gpuE8ELNS1_3repE0EEENS1_30default_config_static_selectorELNS0_4arch9wavefront6targetE1EEEvT1_
		.amdhsa_group_segment_fixed_size 0
		.amdhsa_private_segment_fixed_size 0
		.amdhsa_kernarg_size 152
		.amdhsa_user_sgpr_count 2
		.amdhsa_user_sgpr_dispatch_ptr 0
		.amdhsa_user_sgpr_queue_ptr 0
		.amdhsa_user_sgpr_kernarg_segment_ptr 1
		.amdhsa_user_sgpr_dispatch_id 0
		.amdhsa_user_sgpr_kernarg_preload_length 0
		.amdhsa_user_sgpr_kernarg_preload_offset 0
		.amdhsa_user_sgpr_private_segment_size 0
		.amdhsa_uses_dynamic_stack 0
		.amdhsa_enable_private_segment 0
		.amdhsa_system_sgpr_workgroup_id_x 1
		.amdhsa_system_sgpr_workgroup_id_y 0
		.amdhsa_system_sgpr_workgroup_id_z 0
		.amdhsa_system_sgpr_workgroup_info 0
		.amdhsa_system_vgpr_workitem_id 0
		.amdhsa_next_free_vgpr 1
		.amdhsa_next_free_sgpr 0
		.amdhsa_accum_offset 4
		.amdhsa_reserve_vcc 0
		.amdhsa_float_round_mode_32 0
		.amdhsa_float_round_mode_16_64 0
		.amdhsa_float_denorm_mode_32 3
		.amdhsa_float_denorm_mode_16_64 3
		.amdhsa_dx10_clamp 1
		.amdhsa_ieee_mode 1
		.amdhsa_fp16_overflow 0
		.amdhsa_tg_split 0
		.amdhsa_exception_fp_ieee_invalid_op 0
		.amdhsa_exception_fp_denorm_src 0
		.amdhsa_exception_fp_ieee_div_zero 0
		.amdhsa_exception_fp_ieee_overflow 0
		.amdhsa_exception_fp_ieee_underflow 0
		.amdhsa_exception_fp_ieee_inexact 0
		.amdhsa_exception_int_div_zero 0
	.end_amdhsa_kernel
	.section	.text._ZN7rocprim17ROCPRIM_400000_NS6detail17trampoline_kernelINS0_14default_configENS1_25partition_config_selectorILNS1_17partition_subalgoE2ExNS0_10empty_typeEbEEZZNS1_14partition_implILS5_2ELb0ES3_jN6thrust23THRUST_200600_302600_NS6detail15normal_iteratorINSA_7pointerIxNSA_11hip_rocprim3tagENSA_11use_defaultESG_EEEEPS6_NSA_18transform_iteratorI10is_orderedNSA_12zip_iteratorINSA_5tupleINSC_INSA_10device_ptrIxEEEESQ_NSA_9null_typeESR_SR_SR_SR_SR_SR_SR_EEEESG_SG_EENS0_5tupleIJPxSJ_EEENSV_IJSJ_SJ_EEES6_PlJS6_EEE10hipError_tPvRmT3_T4_T5_T6_T7_T9_mT8_P12ihipStream_tbDpT10_ENKUlT_T0_E_clISt17integral_constantIbLb0EES1I_IbLb1EEEEDaS1E_S1F_EUlS1E_E_NS1_11comp_targetILNS1_3genE4ELNS1_11target_archE910ELNS1_3gpuE8ELNS1_3repE0EEENS1_30default_config_static_selectorELNS0_4arch9wavefront6targetE1EEEvT1_,"axG",@progbits,_ZN7rocprim17ROCPRIM_400000_NS6detail17trampoline_kernelINS0_14default_configENS1_25partition_config_selectorILNS1_17partition_subalgoE2ExNS0_10empty_typeEbEEZZNS1_14partition_implILS5_2ELb0ES3_jN6thrust23THRUST_200600_302600_NS6detail15normal_iteratorINSA_7pointerIxNSA_11hip_rocprim3tagENSA_11use_defaultESG_EEEEPS6_NSA_18transform_iteratorI10is_orderedNSA_12zip_iteratorINSA_5tupleINSC_INSA_10device_ptrIxEEEESQ_NSA_9null_typeESR_SR_SR_SR_SR_SR_SR_EEEESG_SG_EENS0_5tupleIJPxSJ_EEENSV_IJSJ_SJ_EEES6_PlJS6_EEE10hipError_tPvRmT3_T4_T5_T6_T7_T9_mT8_P12ihipStream_tbDpT10_ENKUlT_T0_E_clISt17integral_constantIbLb0EES1I_IbLb1EEEEDaS1E_S1F_EUlS1E_E_NS1_11comp_targetILNS1_3genE4ELNS1_11target_archE910ELNS1_3gpuE8ELNS1_3repE0EEENS1_30default_config_static_selectorELNS0_4arch9wavefront6targetE1EEEvT1_,comdat
.Lfunc_end3588:
	.size	_ZN7rocprim17ROCPRIM_400000_NS6detail17trampoline_kernelINS0_14default_configENS1_25partition_config_selectorILNS1_17partition_subalgoE2ExNS0_10empty_typeEbEEZZNS1_14partition_implILS5_2ELb0ES3_jN6thrust23THRUST_200600_302600_NS6detail15normal_iteratorINSA_7pointerIxNSA_11hip_rocprim3tagENSA_11use_defaultESG_EEEEPS6_NSA_18transform_iteratorI10is_orderedNSA_12zip_iteratorINSA_5tupleINSC_INSA_10device_ptrIxEEEESQ_NSA_9null_typeESR_SR_SR_SR_SR_SR_SR_EEEESG_SG_EENS0_5tupleIJPxSJ_EEENSV_IJSJ_SJ_EEES6_PlJS6_EEE10hipError_tPvRmT3_T4_T5_T6_T7_T9_mT8_P12ihipStream_tbDpT10_ENKUlT_T0_E_clISt17integral_constantIbLb0EES1I_IbLb1EEEEDaS1E_S1F_EUlS1E_E_NS1_11comp_targetILNS1_3genE4ELNS1_11target_archE910ELNS1_3gpuE8ELNS1_3repE0EEENS1_30default_config_static_selectorELNS0_4arch9wavefront6targetE1EEEvT1_, .Lfunc_end3588-_ZN7rocprim17ROCPRIM_400000_NS6detail17trampoline_kernelINS0_14default_configENS1_25partition_config_selectorILNS1_17partition_subalgoE2ExNS0_10empty_typeEbEEZZNS1_14partition_implILS5_2ELb0ES3_jN6thrust23THRUST_200600_302600_NS6detail15normal_iteratorINSA_7pointerIxNSA_11hip_rocprim3tagENSA_11use_defaultESG_EEEEPS6_NSA_18transform_iteratorI10is_orderedNSA_12zip_iteratorINSA_5tupleINSC_INSA_10device_ptrIxEEEESQ_NSA_9null_typeESR_SR_SR_SR_SR_SR_SR_EEEESG_SG_EENS0_5tupleIJPxSJ_EEENSV_IJSJ_SJ_EEES6_PlJS6_EEE10hipError_tPvRmT3_T4_T5_T6_T7_T9_mT8_P12ihipStream_tbDpT10_ENKUlT_T0_E_clISt17integral_constantIbLb0EES1I_IbLb1EEEEDaS1E_S1F_EUlS1E_E_NS1_11comp_targetILNS1_3genE4ELNS1_11target_archE910ELNS1_3gpuE8ELNS1_3repE0EEENS1_30default_config_static_selectorELNS0_4arch9wavefront6targetE1EEEvT1_
                                        ; -- End function
	.section	.AMDGPU.csdata,"",@progbits
; Kernel info:
; codeLenInByte = 0
; NumSgprs: 6
; NumVgprs: 0
; NumAgprs: 0
; TotalNumVgprs: 0
; ScratchSize: 0
; MemoryBound: 0
; FloatMode: 240
; IeeeMode: 1
; LDSByteSize: 0 bytes/workgroup (compile time only)
; SGPRBlocks: 0
; VGPRBlocks: 0
; NumSGPRsForWavesPerEU: 6
; NumVGPRsForWavesPerEU: 1
; AccumOffset: 4
; Occupancy: 8
; WaveLimiterHint : 0
; COMPUTE_PGM_RSRC2:SCRATCH_EN: 0
; COMPUTE_PGM_RSRC2:USER_SGPR: 2
; COMPUTE_PGM_RSRC2:TRAP_HANDLER: 0
; COMPUTE_PGM_RSRC2:TGID_X_EN: 1
; COMPUTE_PGM_RSRC2:TGID_Y_EN: 0
; COMPUTE_PGM_RSRC2:TGID_Z_EN: 0
; COMPUTE_PGM_RSRC2:TIDIG_COMP_CNT: 0
; COMPUTE_PGM_RSRC3_GFX90A:ACCUM_OFFSET: 0
; COMPUTE_PGM_RSRC3_GFX90A:TG_SPLIT: 0
	.section	.text._ZN7rocprim17ROCPRIM_400000_NS6detail17trampoline_kernelINS0_14default_configENS1_25partition_config_selectorILNS1_17partition_subalgoE2ExNS0_10empty_typeEbEEZZNS1_14partition_implILS5_2ELb0ES3_jN6thrust23THRUST_200600_302600_NS6detail15normal_iteratorINSA_7pointerIxNSA_11hip_rocprim3tagENSA_11use_defaultESG_EEEEPS6_NSA_18transform_iteratorI10is_orderedNSA_12zip_iteratorINSA_5tupleINSC_INSA_10device_ptrIxEEEESQ_NSA_9null_typeESR_SR_SR_SR_SR_SR_SR_EEEESG_SG_EENS0_5tupleIJPxSJ_EEENSV_IJSJ_SJ_EEES6_PlJS6_EEE10hipError_tPvRmT3_T4_T5_T6_T7_T9_mT8_P12ihipStream_tbDpT10_ENKUlT_T0_E_clISt17integral_constantIbLb0EES1I_IbLb1EEEEDaS1E_S1F_EUlS1E_E_NS1_11comp_targetILNS1_3genE3ELNS1_11target_archE908ELNS1_3gpuE7ELNS1_3repE0EEENS1_30default_config_static_selectorELNS0_4arch9wavefront6targetE1EEEvT1_,"axG",@progbits,_ZN7rocprim17ROCPRIM_400000_NS6detail17trampoline_kernelINS0_14default_configENS1_25partition_config_selectorILNS1_17partition_subalgoE2ExNS0_10empty_typeEbEEZZNS1_14partition_implILS5_2ELb0ES3_jN6thrust23THRUST_200600_302600_NS6detail15normal_iteratorINSA_7pointerIxNSA_11hip_rocprim3tagENSA_11use_defaultESG_EEEEPS6_NSA_18transform_iteratorI10is_orderedNSA_12zip_iteratorINSA_5tupleINSC_INSA_10device_ptrIxEEEESQ_NSA_9null_typeESR_SR_SR_SR_SR_SR_SR_EEEESG_SG_EENS0_5tupleIJPxSJ_EEENSV_IJSJ_SJ_EEES6_PlJS6_EEE10hipError_tPvRmT3_T4_T5_T6_T7_T9_mT8_P12ihipStream_tbDpT10_ENKUlT_T0_E_clISt17integral_constantIbLb0EES1I_IbLb1EEEEDaS1E_S1F_EUlS1E_E_NS1_11comp_targetILNS1_3genE3ELNS1_11target_archE908ELNS1_3gpuE7ELNS1_3repE0EEENS1_30default_config_static_selectorELNS0_4arch9wavefront6targetE1EEEvT1_,comdat
	.protected	_ZN7rocprim17ROCPRIM_400000_NS6detail17trampoline_kernelINS0_14default_configENS1_25partition_config_selectorILNS1_17partition_subalgoE2ExNS0_10empty_typeEbEEZZNS1_14partition_implILS5_2ELb0ES3_jN6thrust23THRUST_200600_302600_NS6detail15normal_iteratorINSA_7pointerIxNSA_11hip_rocprim3tagENSA_11use_defaultESG_EEEEPS6_NSA_18transform_iteratorI10is_orderedNSA_12zip_iteratorINSA_5tupleINSC_INSA_10device_ptrIxEEEESQ_NSA_9null_typeESR_SR_SR_SR_SR_SR_SR_EEEESG_SG_EENS0_5tupleIJPxSJ_EEENSV_IJSJ_SJ_EEES6_PlJS6_EEE10hipError_tPvRmT3_T4_T5_T6_T7_T9_mT8_P12ihipStream_tbDpT10_ENKUlT_T0_E_clISt17integral_constantIbLb0EES1I_IbLb1EEEEDaS1E_S1F_EUlS1E_E_NS1_11comp_targetILNS1_3genE3ELNS1_11target_archE908ELNS1_3gpuE7ELNS1_3repE0EEENS1_30default_config_static_selectorELNS0_4arch9wavefront6targetE1EEEvT1_ ; -- Begin function _ZN7rocprim17ROCPRIM_400000_NS6detail17trampoline_kernelINS0_14default_configENS1_25partition_config_selectorILNS1_17partition_subalgoE2ExNS0_10empty_typeEbEEZZNS1_14partition_implILS5_2ELb0ES3_jN6thrust23THRUST_200600_302600_NS6detail15normal_iteratorINSA_7pointerIxNSA_11hip_rocprim3tagENSA_11use_defaultESG_EEEEPS6_NSA_18transform_iteratorI10is_orderedNSA_12zip_iteratorINSA_5tupleINSC_INSA_10device_ptrIxEEEESQ_NSA_9null_typeESR_SR_SR_SR_SR_SR_SR_EEEESG_SG_EENS0_5tupleIJPxSJ_EEENSV_IJSJ_SJ_EEES6_PlJS6_EEE10hipError_tPvRmT3_T4_T5_T6_T7_T9_mT8_P12ihipStream_tbDpT10_ENKUlT_T0_E_clISt17integral_constantIbLb0EES1I_IbLb1EEEEDaS1E_S1F_EUlS1E_E_NS1_11comp_targetILNS1_3genE3ELNS1_11target_archE908ELNS1_3gpuE7ELNS1_3repE0EEENS1_30default_config_static_selectorELNS0_4arch9wavefront6targetE1EEEvT1_
	.globl	_ZN7rocprim17ROCPRIM_400000_NS6detail17trampoline_kernelINS0_14default_configENS1_25partition_config_selectorILNS1_17partition_subalgoE2ExNS0_10empty_typeEbEEZZNS1_14partition_implILS5_2ELb0ES3_jN6thrust23THRUST_200600_302600_NS6detail15normal_iteratorINSA_7pointerIxNSA_11hip_rocprim3tagENSA_11use_defaultESG_EEEEPS6_NSA_18transform_iteratorI10is_orderedNSA_12zip_iteratorINSA_5tupleINSC_INSA_10device_ptrIxEEEESQ_NSA_9null_typeESR_SR_SR_SR_SR_SR_SR_EEEESG_SG_EENS0_5tupleIJPxSJ_EEENSV_IJSJ_SJ_EEES6_PlJS6_EEE10hipError_tPvRmT3_T4_T5_T6_T7_T9_mT8_P12ihipStream_tbDpT10_ENKUlT_T0_E_clISt17integral_constantIbLb0EES1I_IbLb1EEEEDaS1E_S1F_EUlS1E_E_NS1_11comp_targetILNS1_3genE3ELNS1_11target_archE908ELNS1_3gpuE7ELNS1_3repE0EEENS1_30default_config_static_selectorELNS0_4arch9wavefront6targetE1EEEvT1_
	.p2align	8
	.type	_ZN7rocprim17ROCPRIM_400000_NS6detail17trampoline_kernelINS0_14default_configENS1_25partition_config_selectorILNS1_17partition_subalgoE2ExNS0_10empty_typeEbEEZZNS1_14partition_implILS5_2ELb0ES3_jN6thrust23THRUST_200600_302600_NS6detail15normal_iteratorINSA_7pointerIxNSA_11hip_rocprim3tagENSA_11use_defaultESG_EEEEPS6_NSA_18transform_iteratorI10is_orderedNSA_12zip_iteratorINSA_5tupleINSC_INSA_10device_ptrIxEEEESQ_NSA_9null_typeESR_SR_SR_SR_SR_SR_SR_EEEESG_SG_EENS0_5tupleIJPxSJ_EEENSV_IJSJ_SJ_EEES6_PlJS6_EEE10hipError_tPvRmT3_T4_T5_T6_T7_T9_mT8_P12ihipStream_tbDpT10_ENKUlT_T0_E_clISt17integral_constantIbLb0EES1I_IbLb1EEEEDaS1E_S1F_EUlS1E_E_NS1_11comp_targetILNS1_3genE3ELNS1_11target_archE908ELNS1_3gpuE7ELNS1_3repE0EEENS1_30default_config_static_selectorELNS0_4arch9wavefront6targetE1EEEvT1_,@function
_ZN7rocprim17ROCPRIM_400000_NS6detail17trampoline_kernelINS0_14default_configENS1_25partition_config_selectorILNS1_17partition_subalgoE2ExNS0_10empty_typeEbEEZZNS1_14partition_implILS5_2ELb0ES3_jN6thrust23THRUST_200600_302600_NS6detail15normal_iteratorINSA_7pointerIxNSA_11hip_rocprim3tagENSA_11use_defaultESG_EEEEPS6_NSA_18transform_iteratorI10is_orderedNSA_12zip_iteratorINSA_5tupleINSC_INSA_10device_ptrIxEEEESQ_NSA_9null_typeESR_SR_SR_SR_SR_SR_SR_EEEESG_SG_EENS0_5tupleIJPxSJ_EEENSV_IJSJ_SJ_EEES6_PlJS6_EEE10hipError_tPvRmT3_T4_T5_T6_T7_T9_mT8_P12ihipStream_tbDpT10_ENKUlT_T0_E_clISt17integral_constantIbLb0EES1I_IbLb1EEEEDaS1E_S1F_EUlS1E_E_NS1_11comp_targetILNS1_3genE3ELNS1_11target_archE908ELNS1_3gpuE7ELNS1_3repE0EEENS1_30default_config_static_selectorELNS0_4arch9wavefront6targetE1EEEvT1_: ; @_ZN7rocprim17ROCPRIM_400000_NS6detail17trampoline_kernelINS0_14default_configENS1_25partition_config_selectorILNS1_17partition_subalgoE2ExNS0_10empty_typeEbEEZZNS1_14partition_implILS5_2ELb0ES3_jN6thrust23THRUST_200600_302600_NS6detail15normal_iteratorINSA_7pointerIxNSA_11hip_rocprim3tagENSA_11use_defaultESG_EEEEPS6_NSA_18transform_iteratorI10is_orderedNSA_12zip_iteratorINSA_5tupleINSC_INSA_10device_ptrIxEEEESQ_NSA_9null_typeESR_SR_SR_SR_SR_SR_SR_EEEESG_SG_EENS0_5tupleIJPxSJ_EEENSV_IJSJ_SJ_EEES6_PlJS6_EEE10hipError_tPvRmT3_T4_T5_T6_T7_T9_mT8_P12ihipStream_tbDpT10_ENKUlT_T0_E_clISt17integral_constantIbLb0EES1I_IbLb1EEEEDaS1E_S1F_EUlS1E_E_NS1_11comp_targetILNS1_3genE3ELNS1_11target_archE908ELNS1_3gpuE7ELNS1_3repE0EEENS1_30default_config_static_selectorELNS0_4arch9wavefront6targetE1EEEvT1_
; %bb.0:
	.section	.rodata,"a",@progbits
	.p2align	6, 0x0
	.amdhsa_kernel _ZN7rocprim17ROCPRIM_400000_NS6detail17trampoline_kernelINS0_14default_configENS1_25partition_config_selectorILNS1_17partition_subalgoE2ExNS0_10empty_typeEbEEZZNS1_14partition_implILS5_2ELb0ES3_jN6thrust23THRUST_200600_302600_NS6detail15normal_iteratorINSA_7pointerIxNSA_11hip_rocprim3tagENSA_11use_defaultESG_EEEEPS6_NSA_18transform_iteratorI10is_orderedNSA_12zip_iteratorINSA_5tupleINSC_INSA_10device_ptrIxEEEESQ_NSA_9null_typeESR_SR_SR_SR_SR_SR_SR_EEEESG_SG_EENS0_5tupleIJPxSJ_EEENSV_IJSJ_SJ_EEES6_PlJS6_EEE10hipError_tPvRmT3_T4_T5_T6_T7_T9_mT8_P12ihipStream_tbDpT10_ENKUlT_T0_E_clISt17integral_constantIbLb0EES1I_IbLb1EEEEDaS1E_S1F_EUlS1E_E_NS1_11comp_targetILNS1_3genE3ELNS1_11target_archE908ELNS1_3gpuE7ELNS1_3repE0EEENS1_30default_config_static_selectorELNS0_4arch9wavefront6targetE1EEEvT1_
		.amdhsa_group_segment_fixed_size 0
		.amdhsa_private_segment_fixed_size 0
		.amdhsa_kernarg_size 152
		.amdhsa_user_sgpr_count 2
		.amdhsa_user_sgpr_dispatch_ptr 0
		.amdhsa_user_sgpr_queue_ptr 0
		.amdhsa_user_sgpr_kernarg_segment_ptr 1
		.amdhsa_user_sgpr_dispatch_id 0
		.amdhsa_user_sgpr_kernarg_preload_length 0
		.amdhsa_user_sgpr_kernarg_preload_offset 0
		.amdhsa_user_sgpr_private_segment_size 0
		.amdhsa_uses_dynamic_stack 0
		.amdhsa_enable_private_segment 0
		.amdhsa_system_sgpr_workgroup_id_x 1
		.amdhsa_system_sgpr_workgroup_id_y 0
		.amdhsa_system_sgpr_workgroup_id_z 0
		.amdhsa_system_sgpr_workgroup_info 0
		.amdhsa_system_vgpr_workitem_id 0
		.amdhsa_next_free_vgpr 1
		.amdhsa_next_free_sgpr 0
		.amdhsa_accum_offset 4
		.amdhsa_reserve_vcc 0
		.amdhsa_float_round_mode_32 0
		.amdhsa_float_round_mode_16_64 0
		.amdhsa_float_denorm_mode_32 3
		.amdhsa_float_denorm_mode_16_64 3
		.amdhsa_dx10_clamp 1
		.amdhsa_ieee_mode 1
		.amdhsa_fp16_overflow 0
		.amdhsa_tg_split 0
		.amdhsa_exception_fp_ieee_invalid_op 0
		.amdhsa_exception_fp_denorm_src 0
		.amdhsa_exception_fp_ieee_div_zero 0
		.amdhsa_exception_fp_ieee_overflow 0
		.amdhsa_exception_fp_ieee_underflow 0
		.amdhsa_exception_fp_ieee_inexact 0
		.amdhsa_exception_int_div_zero 0
	.end_amdhsa_kernel
	.section	.text._ZN7rocprim17ROCPRIM_400000_NS6detail17trampoline_kernelINS0_14default_configENS1_25partition_config_selectorILNS1_17partition_subalgoE2ExNS0_10empty_typeEbEEZZNS1_14partition_implILS5_2ELb0ES3_jN6thrust23THRUST_200600_302600_NS6detail15normal_iteratorINSA_7pointerIxNSA_11hip_rocprim3tagENSA_11use_defaultESG_EEEEPS6_NSA_18transform_iteratorI10is_orderedNSA_12zip_iteratorINSA_5tupleINSC_INSA_10device_ptrIxEEEESQ_NSA_9null_typeESR_SR_SR_SR_SR_SR_SR_EEEESG_SG_EENS0_5tupleIJPxSJ_EEENSV_IJSJ_SJ_EEES6_PlJS6_EEE10hipError_tPvRmT3_T4_T5_T6_T7_T9_mT8_P12ihipStream_tbDpT10_ENKUlT_T0_E_clISt17integral_constantIbLb0EES1I_IbLb1EEEEDaS1E_S1F_EUlS1E_E_NS1_11comp_targetILNS1_3genE3ELNS1_11target_archE908ELNS1_3gpuE7ELNS1_3repE0EEENS1_30default_config_static_selectorELNS0_4arch9wavefront6targetE1EEEvT1_,"axG",@progbits,_ZN7rocprim17ROCPRIM_400000_NS6detail17trampoline_kernelINS0_14default_configENS1_25partition_config_selectorILNS1_17partition_subalgoE2ExNS0_10empty_typeEbEEZZNS1_14partition_implILS5_2ELb0ES3_jN6thrust23THRUST_200600_302600_NS6detail15normal_iteratorINSA_7pointerIxNSA_11hip_rocprim3tagENSA_11use_defaultESG_EEEEPS6_NSA_18transform_iteratorI10is_orderedNSA_12zip_iteratorINSA_5tupleINSC_INSA_10device_ptrIxEEEESQ_NSA_9null_typeESR_SR_SR_SR_SR_SR_SR_EEEESG_SG_EENS0_5tupleIJPxSJ_EEENSV_IJSJ_SJ_EEES6_PlJS6_EEE10hipError_tPvRmT3_T4_T5_T6_T7_T9_mT8_P12ihipStream_tbDpT10_ENKUlT_T0_E_clISt17integral_constantIbLb0EES1I_IbLb1EEEEDaS1E_S1F_EUlS1E_E_NS1_11comp_targetILNS1_3genE3ELNS1_11target_archE908ELNS1_3gpuE7ELNS1_3repE0EEENS1_30default_config_static_selectorELNS0_4arch9wavefront6targetE1EEEvT1_,comdat
.Lfunc_end3589:
	.size	_ZN7rocprim17ROCPRIM_400000_NS6detail17trampoline_kernelINS0_14default_configENS1_25partition_config_selectorILNS1_17partition_subalgoE2ExNS0_10empty_typeEbEEZZNS1_14partition_implILS5_2ELb0ES3_jN6thrust23THRUST_200600_302600_NS6detail15normal_iteratorINSA_7pointerIxNSA_11hip_rocprim3tagENSA_11use_defaultESG_EEEEPS6_NSA_18transform_iteratorI10is_orderedNSA_12zip_iteratorINSA_5tupleINSC_INSA_10device_ptrIxEEEESQ_NSA_9null_typeESR_SR_SR_SR_SR_SR_SR_EEEESG_SG_EENS0_5tupleIJPxSJ_EEENSV_IJSJ_SJ_EEES6_PlJS6_EEE10hipError_tPvRmT3_T4_T5_T6_T7_T9_mT8_P12ihipStream_tbDpT10_ENKUlT_T0_E_clISt17integral_constantIbLb0EES1I_IbLb1EEEEDaS1E_S1F_EUlS1E_E_NS1_11comp_targetILNS1_3genE3ELNS1_11target_archE908ELNS1_3gpuE7ELNS1_3repE0EEENS1_30default_config_static_selectorELNS0_4arch9wavefront6targetE1EEEvT1_, .Lfunc_end3589-_ZN7rocprim17ROCPRIM_400000_NS6detail17trampoline_kernelINS0_14default_configENS1_25partition_config_selectorILNS1_17partition_subalgoE2ExNS0_10empty_typeEbEEZZNS1_14partition_implILS5_2ELb0ES3_jN6thrust23THRUST_200600_302600_NS6detail15normal_iteratorINSA_7pointerIxNSA_11hip_rocprim3tagENSA_11use_defaultESG_EEEEPS6_NSA_18transform_iteratorI10is_orderedNSA_12zip_iteratorINSA_5tupleINSC_INSA_10device_ptrIxEEEESQ_NSA_9null_typeESR_SR_SR_SR_SR_SR_SR_EEEESG_SG_EENS0_5tupleIJPxSJ_EEENSV_IJSJ_SJ_EEES6_PlJS6_EEE10hipError_tPvRmT3_T4_T5_T6_T7_T9_mT8_P12ihipStream_tbDpT10_ENKUlT_T0_E_clISt17integral_constantIbLb0EES1I_IbLb1EEEEDaS1E_S1F_EUlS1E_E_NS1_11comp_targetILNS1_3genE3ELNS1_11target_archE908ELNS1_3gpuE7ELNS1_3repE0EEENS1_30default_config_static_selectorELNS0_4arch9wavefront6targetE1EEEvT1_
                                        ; -- End function
	.section	.AMDGPU.csdata,"",@progbits
; Kernel info:
; codeLenInByte = 0
; NumSgprs: 6
; NumVgprs: 0
; NumAgprs: 0
; TotalNumVgprs: 0
; ScratchSize: 0
; MemoryBound: 0
; FloatMode: 240
; IeeeMode: 1
; LDSByteSize: 0 bytes/workgroup (compile time only)
; SGPRBlocks: 0
; VGPRBlocks: 0
; NumSGPRsForWavesPerEU: 6
; NumVGPRsForWavesPerEU: 1
; AccumOffset: 4
; Occupancy: 8
; WaveLimiterHint : 0
; COMPUTE_PGM_RSRC2:SCRATCH_EN: 0
; COMPUTE_PGM_RSRC2:USER_SGPR: 2
; COMPUTE_PGM_RSRC2:TRAP_HANDLER: 0
; COMPUTE_PGM_RSRC2:TGID_X_EN: 1
; COMPUTE_PGM_RSRC2:TGID_Y_EN: 0
; COMPUTE_PGM_RSRC2:TGID_Z_EN: 0
; COMPUTE_PGM_RSRC2:TIDIG_COMP_CNT: 0
; COMPUTE_PGM_RSRC3_GFX90A:ACCUM_OFFSET: 0
; COMPUTE_PGM_RSRC3_GFX90A:TG_SPLIT: 0
	.section	.text._ZN7rocprim17ROCPRIM_400000_NS6detail17trampoline_kernelINS0_14default_configENS1_25partition_config_selectorILNS1_17partition_subalgoE2ExNS0_10empty_typeEbEEZZNS1_14partition_implILS5_2ELb0ES3_jN6thrust23THRUST_200600_302600_NS6detail15normal_iteratorINSA_7pointerIxNSA_11hip_rocprim3tagENSA_11use_defaultESG_EEEEPS6_NSA_18transform_iteratorI10is_orderedNSA_12zip_iteratorINSA_5tupleINSC_INSA_10device_ptrIxEEEESQ_NSA_9null_typeESR_SR_SR_SR_SR_SR_SR_EEEESG_SG_EENS0_5tupleIJPxSJ_EEENSV_IJSJ_SJ_EEES6_PlJS6_EEE10hipError_tPvRmT3_T4_T5_T6_T7_T9_mT8_P12ihipStream_tbDpT10_ENKUlT_T0_E_clISt17integral_constantIbLb0EES1I_IbLb1EEEEDaS1E_S1F_EUlS1E_E_NS1_11comp_targetILNS1_3genE2ELNS1_11target_archE906ELNS1_3gpuE6ELNS1_3repE0EEENS1_30default_config_static_selectorELNS0_4arch9wavefront6targetE1EEEvT1_,"axG",@progbits,_ZN7rocprim17ROCPRIM_400000_NS6detail17trampoline_kernelINS0_14default_configENS1_25partition_config_selectorILNS1_17partition_subalgoE2ExNS0_10empty_typeEbEEZZNS1_14partition_implILS5_2ELb0ES3_jN6thrust23THRUST_200600_302600_NS6detail15normal_iteratorINSA_7pointerIxNSA_11hip_rocprim3tagENSA_11use_defaultESG_EEEEPS6_NSA_18transform_iteratorI10is_orderedNSA_12zip_iteratorINSA_5tupleINSC_INSA_10device_ptrIxEEEESQ_NSA_9null_typeESR_SR_SR_SR_SR_SR_SR_EEEESG_SG_EENS0_5tupleIJPxSJ_EEENSV_IJSJ_SJ_EEES6_PlJS6_EEE10hipError_tPvRmT3_T4_T5_T6_T7_T9_mT8_P12ihipStream_tbDpT10_ENKUlT_T0_E_clISt17integral_constantIbLb0EES1I_IbLb1EEEEDaS1E_S1F_EUlS1E_E_NS1_11comp_targetILNS1_3genE2ELNS1_11target_archE906ELNS1_3gpuE6ELNS1_3repE0EEENS1_30default_config_static_selectorELNS0_4arch9wavefront6targetE1EEEvT1_,comdat
	.protected	_ZN7rocprim17ROCPRIM_400000_NS6detail17trampoline_kernelINS0_14default_configENS1_25partition_config_selectorILNS1_17partition_subalgoE2ExNS0_10empty_typeEbEEZZNS1_14partition_implILS5_2ELb0ES3_jN6thrust23THRUST_200600_302600_NS6detail15normal_iteratorINSA_7pointerIxNSA_11hip_rocprim3tagENSA_11use_defaultESG_EEEEPS6_NSA_18transform_iteratorI10is_orderedNSA_12zip_iteratorINSA_5tupleINSC_INSA_10device_ptrIxEEEESQ_NSA_9null_typeESR_SR_SR_SR_SR_SR_SR_EEEESG_SG_EENS0_5tupleIJPxSJ_EEENSV_IJSJ_SJ_EEES6_PlJS6_EEE10hipError_tPvRmT3_T4_T5_T6_T7_T9_mT8_P12ihipStream_tbDpT10_ENKUlT_T0_E_clISt17integral_constantIbLb0EES1I_IbLb1EEEEDaS1E_S1F_EUlS1E_E_NS1_11comp_targetILNS1_3genE2ELNS1_11target_archE906ELNS1_3gpuE6ELNS1_3repE0EEENS1_30default_config_static_selectorELNS0_4arch9wavefront6targetE1EEEvT1_ ; -- Begin function _ZN7rocprim17ROCPRIM_400000_NS6detail17trampoline_kernelINS0_14default_configENS1_25partition_config_selectorILNS1_17partition_subalgoE2ExNS0_10empty_typeEbEEZZNS1_14partition_implILS5_2ELb0ES3_jN6thrust23THRUST_200600_302600_NS6detail15normal_iteratorINSA_7pointerIxNSA_11hip_rocprim3tagENSA_11use_defaultESG_EEEEPS6_NSA_18transform_iteratorI10is_orderedNSA_12zip_iteratorINSA_5tupleINSC_INSA_10device_ptrIxEEEESQ_NSA_9null_typeESR_SR_SR_SR_SR_SR_SR_EEEESG_SG_EENS0_5tupleIJPxSJ_EEENSV_IJSJ_SJ_EEES6_PlJS6_EEE10hipError_tPvRmT3_T4_T5_T6_T7_T9_mT8_P12ihipStream_tbDpT10_ENKUlT_T0_E_clISt17integral_constantIbLb0EES1I_IbLb1EEEEDaS1E_S1F_EUlS1E_E_NS1_11comp_targetILNS1_3genE2ELNS1_11target_archE906ELNS1_3gpuE6ELNS1_3repE0EEENS1_30default_config_static_selectorELNS0_4arch9wavefront6targetE1EEEvT1_
	.globl	_ZN7rocprim17ROCPRIM_400000_NS6detail17trampoline_kernelINS0_14default_configENS1_25partition_config_selectorILNS1_17partition_subalgoE2ExNS0_10empty_typeEbEEZZNS1_14partition_implILS5_2ELb0ES3_jN6thrust23THRUST_200600_302600_NS6detail15normal_iteratorINSA_7pointerIxNSA_11hip_rocprim3tagENSA_11use_defaultESG_EEEEPS6_NSA_18transform_iteratorI10is_orderedNSA_12zip_iteratorINSA_5tupleINSC_INSA_10device_ptrIxEEEESQ_NSA_9null_typeESR_SR_SR_SR_SR_SR_SR_EEEESG_SG_EENS0_5tupleIJPxSJ_EEENSV_IJSJ_SJ_EEES6_PlJS6_EEE10hipError_tPvRmT3_T4_T5_T6_T7_T9_mT8_P12ihipStream_tbDpT10_ENKUlT_T0_E_clISt17integral_constantIbLb0EES1I_IbLb1EEEEDaS1E_S1F_EUlS1E_E_NS1_11comp_targetILNS1_3genE2ELNS1_11target_archE906ELNS1_3gpuE6ELNS1_3repE0EEENS1_30default_config_static_selectorELNS0_4arch9wavefront6targetE1EEEvT1_
	.p2align	8
	.type	_ZN7rocprim17ROCPRIM_400000_NS6detail17trampoline_kernelINS0_14default_configENS1_25partition_config_selectorILNS1_17partition_subalgoE2ExNS0_10empty_typeEbEEZZNS1_14partition_implILS5_2ELb0ES3_jN6thrust23THRUST_200600_302600_NS6detail15normal_iteratorINSA_7pointerIxNSA_11hip_rocprim3tagENSA_11use_defaultESG_EEEEPS6_NSA_18transform_iteratorI10is_orderedNSA_12zip_iteratorINSA_5tupleINSC_INSA_10device_ptrIxEEEESQ_NSA_9null_typeESR_SR_SR_SR_SR_SR_SR_EEEESG_SG_EENS0_5tupleIJPxSJ_EEENSV_IJSJ_SJ_EEES6_PlJS6_EEE10hipError_tPvRmT3_T4_T5_T6_T7_T9_mT8_P12ihipStream_tbDpT10_ENKUlT_T0_E_clISt17integral_constantIbLb0EES1I_IbLb1EEEEDaS1E_S1F_EUlS1E_E_NS1_11comp_targetILNS1_3genE2ELNS1_11target_archE906ELNS1_3gpuE6ELNS1_3repE0EEENS1_30default_config_static_selectorELNS0_4arch9wavefront6targetE1EEEvT1_,@function
_ZN7rocprim17ROCPRIM_400000_NS6detail17trampoline_kernelINS0_14default_configENS1_25partition_config_selectorILNS1_17partition_subalgoE2ExNS0_10empty_typeEbEEZZNS1_14partition_implILS5_2ELb0ES3_jN6thrust23THRUST_200600_302600_NS6detail15normal_iteratorINSA_7pointerIxNSA_11hip_rocprim3tagENSA_11use_defaultESG_EEEEPS6_NSA_18transform_iteratorI10is_orderedNSA_12zip_iteratorINSA_5tupleINSC_INSA_10device_ptrIxEEEESQ_NSA_9null_typeESR_SR_SR_SR_SR_SR_SR_EEEESG_SG_EENS0_5tupleIJPxSJ_EEENSV_IJSJ_SJ_EEES6_PlJS6_EEE10hipError_tPvRmT3_T4_T5_T6_T7_T9_mT8_P12ihipStream_tbDpT10_ENKUlT_T0_E_clISt17integral_constantIbLb0EES1I_IbLb1EEEEDaS1E_S1F_EUlS1E_E_NS1_11comp_targetILNS1_3genE2ELNS1_11target_archE906ELNS1_3gpuE6ELNS1_3repE0EEENS1_30default_config_static_selectorELNS0_4arch9wavefront6targetE1EEEvT1_: ; @_ZN7rocprim17ROCPRIM_400000_NS6detail17trampoline_kernelINS0_14default_configENS1_25partition_config_selectorILNS1_17partition_subalgoE2ExNS0_10empty_typeEbEEZZNS1_14partition_implILS5_2ELb0ES3_jN6thrust23THRUST_200600_302600_NS6detail15normal_iteratorINSA_7pointerIxNSA_11hip_rocprim3tagENSA_11use_defaultESG_EEEEPS6_NSA_18transform_iteratorI10is_orderedNSA_12zip_iteratorINSA_5tupleINSC_INSA_10device_ptrIxEEEESQ_NSA_9null_typeESR_SR_SR_SR_SR_SR_SR_EEEESG_SG_EENS0_5tupleIJPxSJ_EEENSV_IJSJ_SJ_EEES6_PlJS6_EEE10hipError_tPvRmT3_T4_T5_T6_T7_T9_mT8_P12ihipStream_tbDpT10_ENKUlT_T0_E_clISt17integral_constantIbLb0EES1I_IbLb1EEEEDaS1E_S1F_EUlS1E_E_NS1_11comp_targetILNS1_3genE2ELNS1_11target_archE906ELNS1_3gpuE6ELNS1_3repE0EEENS1_30default_config_static_selectorELNS0_4arch9wavefront6targetE1EEEvT1_
; %bb.0:
	.section	.rodata,"a",@progbits
	.p2align	6, 0x0
	.amdhsa_kernel _ZN7rocprim17ROCPRIM_400000_NS6detail17trampoline_kernelINS0_14default_configENS1_25partition_config_selectorILNS1_17partition_subalgoE2ExNS0_10empty_typeEbEEZZNS1_14partition_implILS5_2ELb0ES3_jN6thrust23THRUST_200600_302600_NS6detail15normal_iteratorINSA_7pointerIxNSA_11hip_rocprim3tagENSA_11use_defaultESG_EEEEPS6_NSA_18transform_iteratorI10is_orderedNSA_12zip_iteratorINSA_5tupleINSC_INSA_10device_ptrIxEEEESQ_NSA_9null_typeESR_SR_SR_SR_SR_SR_SR_EEEESG_SG_EENS0_5tupleIJPxSJ_EEENSV_IJSJ_SJ_EEES6_PlJS6_EEE10hipError_tPvRmT3_T4_T5_T6_T7_T9_mT8_P12ihipStream_tbDpT10_ENKUlT_T0_E_clISt17integral_constantIbLb0EES1I_IbLb1EEEEDaS1E_S1F_EUlS1E_E_NS1_11comp_targetILNS1_3genE2ELNS1_11target_archE906ELNS1_3gpuE6ELNS1_3repE0EEENS1_30default_config_static_selectorELNS0_4arch9wavefront6targetE1EEEvT1_
		.amdhsa_group_segment_fixed_size 0
		.amdhsa_private_segment_fixed_size 0
		.amdhsa_kernarg_size 152
		.amdhsa_user_sgpr_count 2
		.amdhsa_user_sgpr_dispatch_ptr 0
		.amdhsa_user_sgpr_queue_ptr 0
		.amdhsa_user_sgpr_kernarg_segment_ptr 1
		.amdhsa_user_sgpr_dispatch_id 0
		.amdhsa_user_sgpr_kernarg_preload_length 0
		.amdhsa_user_sgpr_kernarg_preload_offset 0
		.amdhsa_user_sgpr_private_segment_size 0
		.amdhsa_uses_dynamic_stack 0
		.amdhsa_enable_private_segment 0
		.amdhsa_system_sgpr_workgroup_id_x 1
		.amdhsa_system_sgpr_workgroup_id_y 0
		.amdhsa_system_sgpr_workgroup_id_z 0
		.amdhsa_system_sgpr_workgroup_info 0
		.amdhsa_system_vgpr_workitem_id 0
		.amdhsa_next_free_vgpr 1
		.amdhsa_next_free_sgpr 0
		.amdhsa_accum_offset 4
		.amdhsa_reserve_vcc 0
		.amdhsa_float_round_mode_32 0
		.amdhsa_float_round_mode_16_64 0
		.amdhsa_float_denorm_mode_32 3
		.amdhsa_float_denorm_mode_16_64 3
		.amdhsa_dx10_clamp 1
		.amdhsa_ieee_mode 1
		.amdhsa_fp16_overflow 0
		.amdhsa_tg_split 0
		.amdhsa_exception_fp_ieee_invalid_op 0
		.amdhsa_exception_fp_denorm_src 0
		.amdhsa_exception_fp_ieee_div_zero 0
		.amdhsa_exception_fp_ieee_overflow 0
		.amdhsa_exception_fp_ieee_underflow 0
		.amdhsa_exception_fp_ieee_inexact 0
		.amdhsa_exception_int_div_zero 0
	.end_amdhsa_kernel
	.section	.text._ZN7rocprim17ROCPRIM_400000_NS6detail17trampoline_kernelINS0_14default_configENS1_25partition_config_selectorILNS1_17partition_subalgoE2ExNS0_10empty_typeEbEEZZNS1_14partition_implILS5_2ELb0ES3_jN6thrust23THRUST_200600_302600_NS6detail15normal_iteratorINSA_7pointerIxNSA_11hip_rocprim3tagENSA_11use_defaultESG_EEEEPS6_NSA_18transform_iteratorI10is_orderedNSA_12zip_iteratorINSA_5tupleINSC_INSA_10device_ptrIxEEEESQ_NSA_9null_typeESR_SR_SR_SR_SR_SR_SR_EEEESG_SG_EENS0_5tupleIJPxSJ_EEENSV_IJSJ_SJ_EEES6_PlJS6_EEE10hipError_tPvRmT3_T4_T5_T6_T7_T9_mT8_P12ihipStream_tbDpT10_ENKUlT_T0_E_clISt17integral_constantIbLb0EES1I_IbLb1EEEEDaS1E_S1F_EUlS1E_E_NS1_11comp_targetILNS1_3genE2ELNS1_11target_archE906ELNS1_3gpuE6ELNS1_3repE0EEENS1_30default_config_static_selectorELNS0_4arch9wavefront6targetE1EEEvT1_,"axG",@progbits,_ZN7rocprim17ROCPRIM_400000_NS6detail17trampoline_kernelINS0_14default_configENS1_25partition_config_selectorILNS1_17partition_subalgoE2ExNS0_10empty_typeEbEEZZNS1_14partition_implILS5_2ELb0ES3_jN6thrust23THRUST_200600_302600_NS6detail15normal_iteratorINSA_7pointerIxNSA_11hip_rocprim3tagENSA_11use_defaultESG_EEEEPS6_NSA_18transform_iteratorI10is_orderedNSA_12zip_iteratorINSA_5tupleINSC_INSA_10device_ptrIxEEEESQ_NSA_9null_typeESR_SR_SR_SR_SR_SR_SR_EEEESG_SG_EENS0_5tupleIJPxSJ_EEENSV_IJSJ_SJ_EEES6_PlJS6_EEE10hipError_tPvRmT3_T4_T5_T6_T7_T9_mT8_P12ihipStream_tbDpT10_ENKUlT_T0_E_clISt17integral_constantIbLb0EES1I_IbLb1EEEEDaS1E_S1F_EUlS1E_E_NS1_11comp_targetILNS1_3genE2ELNS1_11target_archE906ELNS1_3gpuE6ELNS1_3repE0EEENS1_30default_config_static_selectorELNS0_4arch9wavefront6targetE1EEEvT1_,comdat
.Lfunc_end3590:
	.size	_ZN7rocprim17ROCPRIM_400000_NS6detail17trampoline_kernelINS0_14default_configENS1_25partition_config_selectorILNS1_17partition_subalgoE2ExNS0_10empty_typeEbEEZZNS1_14partition_implILS5_2ELb0ES3_jN6thrust23THRUST_200600_302600_NS6detail15normal_iteratorINSA_7pointerIxNSA_11hip_rocprim3tagENSA_11use_defaultESG_EEEEPS6_NSA_18transform_iteratorI10is_orderedNSA_12zip_iteratorINSA_5tupleINSC_INSA_10device_ptrIxEEEESQ_NSA_9null_typeESR_SR_SR_SR_SR_SR_SR_EEEESG_SG_EENS0_5tupleIJPxSJ_EEENSV_IJSJ_SJ_EEES6_PlJS6_EEE10hipError_tPvRmT3_T4_T5_T6_T7_T9_mT8_P12ihipStream_tbDpT10_ENKUlT_T0_E_clISt17integral_constantIbLb0EES1I_IbLb1EEEEDaS1E_S1F_EUlS1E_E_NS1_11comp_targetILNS1_3genE2ELNS1_11target_archE906ELNS1_3gpuE6ELNS1_3repE0EEENS1_30default_config_static_selectorELNS0_4arch9wavefront6targetE1EEEvT1_, .Lfunc_end3590-_ZN7rocprim17ROCPRIM_400000_NS6detail17trampoline_kernelINS0_14default_configENS1_25partition_config_selectorILNS1_17partition_subalgoE2ExNS0_10empty_typeEbEEZZNS1_14partition_implILS5_2ELb0ES3_jN6thrust23THRUST_200600_302600_NS6detail15normal_iteratorINSA_7pointerIxNSA_11hip_rocprim3tagENSA_11use_defaultESG_EEEEPS6_NSA_18transform_iteratorI10is_orderedNSA_12zip_iteratorINSA_5tupleINSC_INSA_10device_ptrIxEEEESQ_NSA_9null_typeESR_SR_SR_SR_SR_SR_SR_EEEESG_SG_EENS0_5tupleIJPxSJ_EEENSV_IJSJ_SJ_EEES6_PlJS6_EEE10hipError_tPvRmT3_T4_T5_T6_T7_T9_mT8_P12ihipStream_tbDpT10_ENKUlT_T0_E_clISt17integral_constantIbLb0EES1I_IbLb1EEEEDaS1E_S1F_EUlS1E_E_NS1_11comp_targetILNS1_3genE2ELNS1_11target_archE906ELNS1_3gpuE6ELNS1_3repE0EEENS1_30default_config_static_selectorELNS0_4arch9wavefront6targetE1EEEvT1_
                                        ; -- End function
	.section	.AMDGPU.csdata,"",@progbits
; Kernel info:
; codeLenInByte = 0
; NumSgprs: 6
; NumVgprs: 0
; NumAgprs: 0
; TotalNumVgprs: 0
; ScratchSize: 0
; MemoryBound: 0
; FloatMode: 240
; IeeeMode: 1
; LDSByteSize: 0 bytes/workgroup (compile time only)
; SGPRBlocks: 0
; VGPRBlocks: 0
; NumSGPRsForWavesPerEU: 6
; NumVGPRsForWavesPerEU: 1
; AccumOffset: 4
; Occupancy: 8
; WaveLimiterHint : 0
; COMPUTE_PGM_RSRC2:SCRATCH_EN: 0
; COMPUTE_PGM_RSRC2:USER_SGPR: 2
; COMPUTE_PGM_RSRC2:TRAP_HANDLER: 0
; COMPUTE_PGM_RSRC2:TGID_X_EN: 1
; COMPUTE_PGM_RSRC2:TGID_Y_EN: 0
; COMPUTE_PGM_RSRC2:TGID_Z_EN: 0
; COMPUTE_PGM_RSRC2:TIDIG_COMP_CNT: 0
; COMPUTE_PGM_RSRC3_GFX90A:ACCUM_OFFSET: 0
; COMPUTE_PGM_RSRC3_GFX90A:TG_SPLIT: 0
	.section	.text._ZN7rocprim17ROCPRIM_400000_NS6detail17trampoline_kernelINS0_14default_configENS1_25partition_config_selectorILNS1_17partition_subalgoE2ExNS0_10empty_typeEbEEZZNS1_14partition_implILS5_2ELb0ES3_jN6thrust23THRUST_200600_302600_NS6detail15normal_iteratorINSA_7pointerIxNSA_11hip_rocprim3tagENSA_11use_defaultESG_EEEEPS6_NSA_18transform_iteratorI10is_orderedNSA_12zip_iteratorINSA_5tupleINSC_INSA_10device_ptrIxEEEESQ_NSA_9null_typeESR_SR_SR_SR_SR_SR_SR_EEEESG_SG_EENS0_5tupleIJPxSJ_EEENSV_IJSJ_SJ_EEES6_PlJS6_EEE10hipError_tPvRmT3_T4_T5_T6_T7_T9_mT8_P12ihipStream_tbDpT10_ENKUlT_T0_E_clISt17integral_constantIbLb0EES1I_IbLb1EEEEDaS1E_S1F_EUlS1E_E_NS1_11comp_targetILNS1_3genE10ELNS1_11target_archE1200ELNS1_3gpuE4ELNS1_3repE0EEENS1_30default_config_static_selectorELNS0_4arch9wavefront6targetE1EEEvT1_,"axG",@progbits,_ZN7rocprim17ROCPRIM_400000_NS6detail17trampoline_kernelINS0_14default_configENS1_25partition_config_selectorILNS1_17partition_subalgoE2ExNS0_10empty_typeEbEEZZNS1_14partition_implILS5_2ELb0ES3_jN6thrust23THRUST_200600_302600_NS6detail15normal_iteratorINSA_7pointerIxNSA_11hip_rocprim3tagENSA_11use_defaultESG_EEEEPS6_NSA_18transform_iteratorI10is_orderedNSA_12zip_iteratorINSA_5tupleINSC_INSA_10device_ptrIxEEEESQ_NSA_9null_typeESR_SR_SR_SR_SR_SR_SR_EEEESG_SG_EENS0_5tupleIJPxSJ_EEENSV_IJSJ_SJ_EEES6_PlJS6_EEE10hipError_tPvRmT3_T4_T5_T6_T7_T9_mT8_P12ihipStream_tbDpT10_ENKUlT_T0_E_clISt17integral_constantIbLb0EES1I_IbLb1EEEEDaS1E_S1F_EUlS1E_E_NS1_11comp_targetILNS1_3genE10ELNS1_11target_archE1200ELNS1_3gpuE4ELNS1_3repE0EEENS1_30default_config_static_selectorELNS0_4arch9wavefront6targetE1EEEvT1_,comdat
	.protected	_ZN7rocprim17ROCPRIM_400000_NS6detail17trampoline_kernelINS0_14default_configENS1_25partition_config_selectorILNS1_17partition_subalgoE2ExNS0_10empty_typeEbEEZZNS1_14partition_implILS5_2ELb0ES3_jN6thrust23THRUST_200600_302600_NS6detail15normal_iteratorINSA_7pointerIxNSA_11hip_rocprim3tagENSA_11use_defaultESG_EEEEPS6_NSA_18transform_iteratorI10is_orderedNSA_12zip_iteratorINSA_5tupleINSC_INSA_10device_ptrIxEEEESQ_NSA_9null_typeESR_SR_SR_SR_SR_SR_SR_EEEESG_SG_EENS0_5tupleIJPxSJ_EEENSV_IJSJ_SJ_EEES6_PlJS6_EEE10hipError_tPvRmT3_T4_T5_T6_T7_T9_mT8_P12ihipStream_tbDpT10_ENKUlT_T0_E_clISt17integral_constantIbLb0EES1I_IbLb1EEEEDaS1E_S1F_EUlS1E_E_NS1_11comp_targetILNS1_3genE10ELNS1_11target_archE1200ELNS1_3gpuE4ELNS1_3repE0EEENS1_30default_config_static_selectorELNS0_4arch9wavefront6targetE1EEEvT1_ ; -- Begin function _ZN7rocprim17ROCPRIM_400000_NS6detail17trampoline_kernelINS0_14default_configENS1_25partition_config_selectorILNS1_17partition_subalgoE2ExNS0_10empty_typeEbEEZZNS1_14partition_implILS5_2ELb0ES3_jN6thrust23THRUST_200600_302600_NS6detail15normal_iteratorINSA_7pointerIxNSA_11hip_rocprim3tagENSA_11use_defaultESG_EEEEPS6_NSA_18transform_iteratorI10is_orderedNSA_12zip_iteratorINSA_5tupleINSC_INSA_10device_ptrIxEEEESQ_NSA_9null_typeESR_SR_SR_SR_SR_SR_SR_EEEESG_SG_EENS0_5tupleIJPxSJ_EEENSV_IJSJ_SJ_EEES6_PlJS6_EEE10hipError_tPvRmT3_T4_T5_T6_T7_T9_mT8_P12ihipStream_tbDpT10_ENKUlT_T0_E_clISt17integral_constantIbLb0EES1I_IbLb1EEEEDaS1E_S1F_EUlS1E_E_NS1_11comp_targetILNS1_3genE10ELNS1_11target_archE1200ELNS1_3gpuE4ELNS1_3repE0EEENS1_30default_config_static_selectorELNS0_4arch9wavefront6targetE1EEEvT1_
	.globl	_ZN7rocprim17ROCPRIM_400000_NS6detail17trampoline_kernelINS0_14default_configENS1_25partition_config_selectorILNS1_17partition_subalgoE2ExNS0_10empty_typeEbEEZZNS1_14partition_implILS5_2ELb0ES3_jN6thrust23THRUST_200600_302600_NS6detail15normal_iteratorINSA_7pointerIxNSA_11hip_rocprim3tagENSA_11use_defaultESG_EEEEPS6_NSA_18transform_iteratorI10is_orderedNSA_12zip_iteratorINSA_5tupleINSC_INSA_10device_ptrIxEEEESQ_NSA_9null_typeESR_SR_SR_SR_SR_SR_SR_EEEESG_SG_EENS0_5tupleIJPxSJ_EEENSV_IJSJ_SJ_EEES6_PlJS6_EEE10hipError_tPvRmT3_T4_T5_T6_T7_T9_mT8_P12ihipStream_tbDpT10_ENKUlT_T0_E_clISt17integral_constantIbLb0EES1I_IbLb1EEEEDaS1E_S1F_EUlS1E_E_NS1_11comp_targetILNS1_3genE10ELNS1_11target_archE1200ELNS1_3gpuE4ELNS1_3repE0EEENS1_30default_config_static_selectorELNS0_4arch9wavefront6targetE1EEEvT1_
	.p2align	8
	.type	_ZN7rocprim17ROCPRIM_400000_NS6detail17trampoline_kernelINS0_14default_configENS1_25partition_config_selectorILNS1_17partition_subalgoE2ExNS0_10empty_typeEbEEZZNS1_14partition_implILS5_2ELb0ES3_jN6thrust23THRUST_200600_302600_NS6detail15normal_iteratorINSA_7pointerIxNSA_11hip_rocprim3tagENSA_11use_defaultESG_EEEEPS6_NSA_18transform_iteratorI10is_orderedNSA_12zip_iteratorINSA_5tupleINSC_INSA_10device_ptrIxEEEESQ_NSA_9null_typeESR_SR_SR_SR_SR_SR_SR_EEEESG_SG_EENS0_5tupleIJPxSJ_EEENSV_IJSJ_SJ_EEES6_PlJS6_EEE10hipError_tPvRmT3_T4_T5_T6_T7_T9_mT8_P12ihipStream_tbDpT10_ENKUlT_T0_E_clISt17integral_constantIbLb0EES1I_IbLb1EEEEDaS1E_S1F_EUlS1E_E_NS1_11comp_targetILNS1_3genE10ELNS1_11target_archE1200ELNS1_3gpuE4ELNS1_3repE0EEENS1_30default_config_static_selectorELNS0_4arch9wavefront6targetE1EEEvT1_,@function
_ZN7rocprim17ROCPRIM_400000_NS6detail17trampoline_kernelINS0_14default_configENS1_25partition_config_selectorILNS1_17partition_subalgoE2ExNS0_10empty_typeEbEEZZNS1_14partition_implILS5_2ELb0ES3_jN6thrust23THRUST_200600_302600_NS6detail15normal_iteratorINSA_7pointerIxNSA_11hip_rocprim3tagENSA_11use_defaultESG_EEEEPS6_NSA_18transform_iteratorI10is_orderedNSA_12zip_iteratorINSA_5tupleINSC_INSA_10device_ptrIxEEEESQ_NSA_9null_typeESR_SR_SR_SR_SR_SR_SR_EEEESG_SG_EENS0_5tupleIJPxSJ_EEENSV_IJSJ_SJ_EEES6_PlJS6_EEE10hipError_tPvRmT3_T4_T5_T6_T7_T9_mT8_P12ihipStream_tbDpT10_ENKUlT_T0_E_clISt17integral_constantIbLb0EES1I_IbLb1EEEEDaS1E_S1F_EUlS1E_E_NS1_11comp_targetILNS1_3genE10ELNS1_11target_archE1200ELNS1_3gpuE4ELNS1_3repE0EEENS1_30default_config_static_selectorELNS0_4arch9wavefront6targetE1EEEvT1_: ; @_ZN7rocprim17ROCPRIM_400000_NS6detail17trampoline_kernelINS0_14default_configENS1_25partition_config_selectorILNS1_17partition_subalgoE2ExNS0_10empty_typeEbEEZZNS1_14partition_implILS5_2ELb0ES3_jN6thrust23THRUST_200600_302600_NS6detail15normal_iteratorINSA_7pointerIxNSA_11hip_rocprim3tagENSA_11use_defaultESG_EEEEPS6_NSA_18transform_iteratorI10is_orderedNSA_12zip_iteratorINSA_5tupleINSC_INSA_10device_ptrIxEEEESQ_NSA_9null_typeESR_SR_SR_SR_SR_SR_SR_EEEESG_SG_EENS0_5tupleIJPxSJ_EEENSV_IJSJ_SJ_EEES6_PlJS6_EEE10hipError_tPvRmT3_T4_T5_T6_T7_T9_mT8_P12ihipStream_tbDpT10_ENKUlT_T0_E_clISt17integral_constantIbLb0EES1I_IbLb1EEEEDaS1E_S1F_EUlS1E_E_NS1_11comp_targetILNS1_3genE10ELNS1_11target_archE1200ELNS1_3gpuE4ELNS1_3repE0EEENS1_30default_config_static_selectorELNS0_4arch9wavefront6targetE1EEEvT1_
; %bb.0:
	.section	.rodata,"a",@progbits
	.p2align	6, 0x0
	.amdhsa_kernel _ZN7rocprim17ROCPRIM_400000_NS6detail17trampoline_kernelINS0_14default_configENS1_25partition_config_selectorILNS1_17partition_subalgoE2ExNS0_10empty_typeEbEEZZNS1_14partition_implILS5_2ELb0ES3_jN6thrust23THRUST_200600_302600_NS6detail15normal_iteratorINSA_7pointerIxNSA_11hip_rocprim3tagENSA_11use_defaultESG_EEEEPS6_NSA_18transform_iteratorI10is_orderedNSA_12zip_iteratorINSA_5tupleINSC_INSA_10device_ptrIxEEEESQ_NSA_9null_typeESR_SR_SR_SR_SR_SR_SR_EEEESG_SG_EENS0_5tupleIJPxSJ_EEENSV_IJSJ_SJ_EEES6_PlJS6_EEE10hipError_tPvRmT3_T4_T5_T6_T7_T9_mT8_P12ihipStream_tbDpT10_ENKUlT_T0_E_clISt17integral_constantIbLb0EES1I_IbLb1EEEEDaS1E_S1F_EUlS1E_E_NS1_11comp_targetILNS1_3genE10ELNS1_11target_archE1200ELNS1_3gpuE4ELNS1_3repE0EEENS1_30default_config_static_selectorELNS0_4arch9wavefront6targetE1EEEvT1_
		.amdhsa_group_segment_fixed_size 0
		.amdhsa_private_segment_fixed_size 0
		.amdhsa_kernarg_size 152
		.amdhsa_user_sgpr_count 2
		.amdhsa_user_sgpr_dispatch_ptr 0
		.amdhsa_user_sgpr_queue_ptr 0
		.amdhsa_user_sgpr_kernarg_segment_ptr 1
		.amdhsa_user_sgpr_dispatch_id 0
		.amdhsa_user_sgpr_kernarg_preload_length 0
		.amdhsa_user_sgpr_kernarg_preload_offset 0
		.amdhsa_user_sgpr_private_segment_size 0
		.amdhsa_uses_dynamic_stack 0
		.amdhsa_enable_private_segment 0
		.amdhsa_system_sgpr_workgroup_id_x 1
		.amdhsa_system_sgpr_workgroup_id_y 0
		.amdhsa_system_sgpr_workgroup_id_z 0
		.amdhsa_system_sgpr_workgroup_info 0
		.amdhsa_system_vgpr_workitem_id 0
		.amdhsa_next_free_vgpr 1
		.amdhsa_next_free_sgpr 0
		.amdhsa_accum_offset 4
		.amdhsa_reserve_vcc 0
		.amdhsa_float_round_mode_32 0
		.amdhsa_float_round_mode_16_64 0
		.amdhsa_float_denorm_mode_32 3
		.amdhsa_float_denorm_mode_16_64 3
		.amdhsa_dx10_clamp 1
		.amdhsa_ieee_mode 1
		.amdhsa_fp16_overflow 0
		.amdhsa_tg_split 0
		.amdhsa_exception_fp_ieee_invalid_op 0
		.amdhsa_exception_fp_denorm_src 0
		.amdhsa_exception_fp_ieee_div_zero 0
		.amdhsa_exception_fp_ieee_overflow 0
		.amdhsa_exception_fp_ieee_underflow 0
		.amdhsa_exception_fp_ieee_inexact 0
		.amdhsa_exception_int_div_zero 0
	.end_amdhsa_kernel
	.section	.text._ZN7rocprim17ROCPRIM_400000_NS6detail17trampoline_kernelINS0_14default_configENS1_25partition_config_selectorILNS1_17partition_subalgoE2ExNS0_10empty_typeEbEEZZNS1_14partition_implILS5_2ELb0ES3_jN6thrust23THRUST_200600_302600_NS6detail15normal_iteratorINSA_7pointerIxNSA_11hip_rocprim3tagENSA_11use_defaultESG_EEEEPS6_NSA_18transform_iteratorI10is_orderedNSA_12zip_iteratorINSA_5tupleINSC_INSA_10device_ptrIxEEEESQ_NSA_9null_typeESR_SR_SR_SR_SR_SR_SR_EEEESG_SG_EENS0_5tupleIJPxSJ_EEENSV_IJSJ_SJ_EEES6_PlJS6_EEE10hipError_tPvRmT3_T4_T5_T6_T7_T9_mT8_P12ihipStream_tbDpT10_ENKUlT_T0_E_clISt17integral_constantIbLb0EES1I_IbLb1EEEEDaS1E_S1F_EUlS1E_E_NS1_11comp_targetILNS1_3genE10ELNS1_11target_archE1200ELNS1_3gpuE4ELNS1_3repE0EEENS1_30default_config_static_selectorELNS0_4arch9wavefront6targetE1EEEvT1_,"axG",@progbits,_ZN7rocprim17ROCPRIM_400000_NS6detail17trampoline_kernelINS0_14default_configENS1_25partition_config_selectorILNS1_17partition_subalgoE2ExNS0_10empty_typeEbEEZZNS1_14partition_implILS5_2ELb0ES3_jN6thrust23THRUST_200600_302600_NS6detail15normal_iteratorINSA_7pointerIxNSA_11hip_rocprim3tagENSA_11use_defaultESG_EEEEPS6_NSA_18transform_iteratorI10is_orderedNSA_12zip_iteratorINSA_5tupleINSC_INSA_10device_ptrIxEEEESQ_NSA_9null_typeESR_SR_SR_SR_SR_SR_SR_EEEESG_SG_EENS0_5tupleIJPxSJ_EEENSV_IJSJ_SJ_EEES6_PlJS6_EEE10hipError_tPvRmT3_T4_T5_T6_T7_T9_mT8_P12ihipStream_tbDpT10_ENKUlT_T0_E_clISt17integral_constantIbLb0EES1I_IbLb1EEEEDaS1E_S1F_EUlS1E_E_NS1_11comp_targetILNS1_3genE10ELNS1_11target_archE1200ELNS1_3gpuE4ELNS1_3repE0EEENS1_30default_config_static_selectorELNS0_4arch9wavefront6targetE1EEEvT1_,comdat
.Lfunc_end3591:
	.size	_ZN7rocprim17ROCPRIM_400000_NS6detail17trampoline_kernelINS0_14default_configENS1_25partition_config_selectorILNS1_17partition_subalgoE2ExNS0_10empty_typeEbEEZZNS1_14partition_implILS5_2ELb0ES3_jN6thrust23THRUST_200600_302600_NS6detail15normal_iteratorINSA_7pointerIxNSA_11hip_rocprim3tagENSA_11use_defaultESG_EEEEPS6_NSA_18transform_iteratorI10is_orderedNSA_12zip_iteratorINSA_5tupleINSC_INSA_10device_ptrIxEEEESQ_NSA_9null_typeESR_SR_SR_SR_SR_SR_SR_EEEESG_SG_EENS0_5tupleIJPxSJ_EEENSV_IJSJ_SJ_EEES6_PlJS6_EEE10hipError_tPvRmT3_T4_T5_T6_T7_T9_mT8_P12ihipStream_tbDpT10_ENKUlT_T0_E_clISt17integral_constantIbLb0EES1I_IbLb1EEEEDaS1E_S1F_EUlS1E_E_NS1_11comp_targetILNS1_3genE10ELNS1_11target_archE1200ELNS1_3gpuE4ELNS1_3repE0EEENS1_30default_config_static_selectorELNS0_4arch9wavefront6targetE1EEEvT1_, .Lfunc_end3591-_ZN7rocprim17ROCPRIM_400000_NS6detail17trampoline_kernelINS0_14default_configENS1_25partition_config_selectorILNS1_17partition_subalgoE2ExNS0_10empty_typeEbEEZZNS1_14partition_implILS5_2ELb0ES3_jN6thrust23THRUST_200600_302600_NS6detail15normal_iteratorINSA_7pointerIxNSA_11hip_rocprim3tagENSA_11use_defaultESG_EEEEPS6_NSA_18transform_iteratorI10is_orderedNSA_12zip_iteratorINSA_5tupleINSC_INSA_10device_ptrIxEEEESQ_NSA_9null_typeESR_SR_SR_SR_SR_SR_SR_EEEESG_SG_EENS0_5tupleIJPxSJ_EEENSV_IJSJ_SJ_EEES6_PlJS6_EEE10hipError_tPvRmT3_T4_T5_T6_T7_T9_mT8_P12ihipStream_tbDpT10_ENKUlT_T0_E_clISt17integral_constantIbLb0EES1I_IbLb1EEEEDaS1E_S1F_EUlS1E_E_NS1_11comp_targetILNS1_3genE10ELNS1_11target_archE1200ELNS1_3gpuE4ELNS1_3repE0EEENS1_30default_config_static_selectorELNS0_4arch9wavefront6targetE1EEEvT1_
                                        ; -- End function
	.section	.AMDGPU.csdata,"",@progbits
; Kernel info:
; codeLenInByte = 0
; NumSgprs: 6
; NumVgprs: 0
; NumAgprs: 0
; TotalNumVgprs: 0
; ScratchSize: 0
; MemoryBound: 0
; FloatMode: 240
; IeeeMode: 1
; LDSByteSize: 0 bytes/workgroup (compile time only)
; SGPRBlocks: 0
; VGPRBlocks: 0
; NumSGPRsForWavesPerEU: 6
; NumVGPRsForWavesPerEU: 1
; AccumOffset: 4
; Occupancy: 8
; WaveLimiterHint : 0
; COMPUTE_PGM_RSRC2:SCRATCH_EN: 0
; COMPUTE_PGM_RSRC2:USER_SGPR: 2
; COMPUTE_PGM_RSRC2:TRAP_HANDLER: 0
; COMPUTE_PGM_RSRC2:TGID_X_EN: 1
; COMPUTE_PGM_RSRC2:TGID_Y_EN: 0
; COMPUTE_PGM_RSRC2:TGID_Z_EN: 0
; COMPUTE_PGM_RSRC2:TIDIG_COMP_CNT: 0
; COMPUTE_PGM_RSRC3_GFX90A:ACCUM_OFFSET: 0
; COMPUTE_PGM_RSRC3_GFX90A:TG_SPLIT: 0
	.section	.text._ZN7rocprim17ROCPRIM_400000_NS6detail17trampoline_kernelINS0_14default_configENS1_25partition_config_selectorILNS1_17partition_subalgoE2ExNS0_10empty_typeEbEEZZNS1_14partition_implILS5_2ELb0ES3_jN6thrust23THRUST_200600_302600_NS6detail15normal_iteratorINSA_7pointerIxNSA_11hip_rocprim3tagENSA_11use_defaultESG_EEEEPS6_NSA_18transform_iteratorI10is_orderedNSA_12zip_iteratorINSA_5tupleINSC_INSA_10device_ptrIxEEEESQ_NSA_9null_typeESR_SR_SR_SR_SR_SR_SR_EEEESG_SG_EENS0_5tupleIJPxSJ_EEENSV_IJSJ_SJ_EEES6_PlJS6_EEE10hipError_tPvRmT3_T4_T5_T6_T7_T9_mT8_P12ihipStream_tbDpT10_ENKUlT_T0_E_clISt17integral_constantIbLb0EES1I_IbLb1EEEEDaS1E_S1F_EUlS1E_E_NS1_11comp_targetILNS1_3genE9ELNS1_11target_archE1100ELNS1_3gpuE3ELNS1_3repE0EEENS1_30default_config_static_selectorELNS0_4arch9wavefront6targetE1EEEvT1_,"axG",@progbits,_ZN7rocprim17ROCPRIM_400000_NS6detail17trampoline_kernelINS0_14default_configENS1_25partition_config_selectorILNS1_17partition_subalgoE2ExNS0_10empty_typeEbEEZZNS1_14partition_implILS5_2ELb0ES3_jN6thrust23THRUST_200600_302600_NS6detail15normal_iteratorINSA_7pointerIxNSA_11hip_rocprim3tagENSA_11use_defaultESG_EEEEPS6_NSA_18transform_iteratorI10is_orderedNSA_12zip_iteratorINSA_5tupleINSC_INSA_10device_ptrIxEEEESQ_NSA_9null_typeESR_SR_SR_SR_SR_SR_SR_EEEESG_SG_EENS0_5tupleIJPxSJ_EEENSV_IJSJ_SJ_EEES6_PlJS6_EEE10hipError_tPvRmT3_T4_T5_T6_T7_T9_mT8_P12ihipStream_tbDpT10_ENKUlT_T0_E_clISt17integral_constantIbLb0EES1I_IbLb1EEEEDaS1E_S1F_EUlS1E_E_NS1_11comp_targetILNS1_3genE9ELNS1_11target_archE1100ELNS1_3gpuE3ELNS1_3repE0EEENS1_30default_config_static_selectorELNS0_4arch9wavefront6targetE1EEEvT1_,comdat
	.protected	_ZN7rocprim17ROCPRIM_400000_NS6detail17trampoline_kernelINS0_14default_configENS1_25partition_config_selectorILNS1_17partition_subalgoE2ExNS0_10empty_typeEbEEZZNS1_14partition_implILS5_2ELb0ES3_jN6thrust23THRUST_200600_302600_NS6detail15normal_iteratorINSA_7pointerIxNSA_11hip_rocprim3tagENSA_11use_defaultESG_EEEEPS6_NSA_18transform_iteratorI10is_orderedNSA_12zip_iteratorINSA_5tupleINSC_INSA_10device_ptrIxEEEESQ_NSA_9null_typeESR_SR_SR_SR_SR_SR_SR_EEEESG_SG_EENS0_5tupleIJPxSJ_EEENSV_IJSJ_SJ_EEES6_PlJS6_EEE10hipError_tPvRmT3_T4_T5_T6_T7_T9_mT8_P12ihipStream_tbDpT10_ENKUlT_T0_E_clISt17integral_constantIbLb0EES1I_IbLb1EEEEDaS1E_S1F_EUlS1E_E_NS1_11comp_targetILNS1_3genE9ELNS1_11target_archE1100ELNS1_3gpuE3ELNS1_3repE0EEENS1_30default_config_static_selectorELNS0_4arch9wavefront6targetE1EEEvT1_ ; -- Begin function _ZN7rocprim17ROCPRIM_400000_NS6detail17trampoline_kernelINS0_14default_configENS1_25partition_config_selectorILNS1_17partition_subalgoE2ExNS0_10empty_typeEbEEZZNS1_14partition_implILS5_2ELb0ES3_jN6thrust23THRUST_200600_302600_NS6detail15normal_iteratorINSA_7pointerIxNSA_11hip_rocprim3tagENSA_11use_defaultESG_EEEEPS6_NSA_18transform_iteratorI10is_orderedNSA_12zip_iteratorINSA_5tupleINSC_INSA_10device_ptrIxEEEESQ_NSA_9null_typeESR_SR_SR_SR_SR_SR_SR_EEEESG_SG_EENS0_5tupleIJPxSJ_EEENSV_IJSJ_SJ_EEES6_PlJS6_EEE10hipError_tPvRmT3_T4_T5_T6_T7_T9_mT8_P12ihipStream_tbDpT10_ENKUlT_T0_E_clISt17integral_constantIbLb0EES1I_IbLb1EEEEDaS1E_S1F_EUlS1E_E_NS1_11comp_targetILNS1_3genE9ELNS1_11target_archE1100ELNS1_3gpuE3ELNS1_3repE0EEENS1_30default_config_static_selectorELNS0_4arch9wavefront6targetE1EEEvT1_
	.globl	_ZN7rocprim17ROCPRIM_400000_NS6detail17trampoline_kernelINS0_14default_configENS1_25partition_config_selectorILNS1_17partition_subalgoE2ExNS0_10empty_typeEbEEZZNS1_14partition_implILS5_2ELb0ES3_jN6thrust23THRUST_200600_302600_NS6detail15normal_iteratorINSA_7pointerIxNSA_11hip_rocprim3tagENSA_11use_defaultESG_EEEEPS6_NSA_18transform_iteratorI10is_orderedNSA_12zip_iteratorINSA_5tupleINSC_INSA_10device_ptrIxEEEESQ_NSA_9null_typeESR_SR_SR_SR_SR_SR_SR_EEEESG_SG_EENS0_5tupleIJPxSJ_EEENSV_IJSJ_SJ_EEES6_PlJS6_EEE10hipError_tPvRmT3_T4_T5_T6_T7_T9_mT8_P12ihipStream_tbDpT10_ENKUlT_T0_E_clISt17integral_constantIbLb0EES1I_IbLb1EEEEDaS1E_S1F_EUlS1E_E_NS1_11comp_targetILNS1_3genE9ELNS1_11target_archE1100ELNS1_3gpuE3ELNS1_3repE0EEENS1_30default_config_static_selectorELNS0_4arch9wavefront6targetE1EEEvT1_
	.p2align	8
	.type	_ZN7rocprim17ROCPRIM_400000_NS6detail17trampoline_kernelINS0_14default_configENS1_25partition_config_selectorILNS1_17partition_subalgoE2ExNS0_10empty_typeEbEEZZNS1_14partition_implILS5_2ELb0ES3_jN6thrust23THRUST_200600_302600_NS6detail15normal_iteratorINSA_7pointerIxNSA_11hip_rocprim3tagENSA_11use_defaultESG_EEEEPS6_NSA_18transform_iteratorI10is_orderedNSA_12zip_iteratorINSA_5tupleINSC_INSA_10device_ptrIxEEEESQ_NSA_9null_typeESR_SR_SR_SR_SR_SR_SR_EEEESG_SG_EENS0_5tupleIJPxSJ_EEENSV_IJSJ_SJ_EEES6_PlJS6_EEE10hipError_tPvRmT3_T4_T5_T6_T7_T9_mT8_P12ihipStream_tbDpT10_ENKUlT_T0_E_clISt17integral_constantIbLb0EES1I_IbLb1EEEEDaS1E_S1F_EUlS1E_E_NS1_11comp_targetILNS1_3genE9ELNS1_11target_archE1100ELNS1_3gpuE3ELNS1_3repE0EEENS1_30default_config_static_selectorELNS0_4arch9wavefront6targetE1EEEvT1_,@function
_ZN7rocprim17ROCPRIM_400000_NS6detail17trampoline_kernelINS0_14default_configENS1_25partition_config_selectorILNS1_17partition_subalgoE2ExNS0_10empty_typeEbEEZZNS1_14partition_implILS5_2ELb0ES3_jN6thrust23THRUST_200600_302600_NS6detail15normal_iteratorINSA_7pointerIxNSA_11hip_rocprim3tagENSA_11use_defaultESG_EEEEPS6_NSA_18transform_iteratorI10is_orderedNSA_12zip_iteratorINSA_5tupleINSC_INSA_10device_ptrIxEEEESQ_NSA_9null_typeESR_SR_SR_SR_SR_SR_SR_EEEESG_SG_EENS0_5tupleIJPxSJ_EEENSV_IJSJ_SJ_EEES6_PlJS6_EEE10hipError_tPvRmT3_T4_T5_T6_T7_T9_mT8_P12ihipStream_tbDpT10_ENKUlT_T0_E_clISt17integral_constantIbLb0EES1I_IbLb1EEEEDaS1E_S1F_EUlS1E_E_NS1_11comp_targetILNS1_3genE9ELNS1_11target_archE1100ELNS1_3gpuE3ELNS1_3repE0EEENS1_30default_config_static_selectorELNS0_4arch9wavefront6targetE1EEEvT1_: ; @_ZN7rocprim17ROCPRIM_400000_NS6detail17trampoline_kernelINS0_14default_configENS1_25partition_config_selectorILNS1_17partition_subalgoE2ExNS0_10empty_typeEbEEZZNS1_14partition_implILS5_2ELb0ES3_jN6thrust23THRUST_200600_302600_NS6detail15normal_iteratorINSA_7pointerIxNSA_11hip_rocprim3tagENSA_11use_defaultESG_EEEEPS6_NSA_18transform_iteratorI10is_orderedNSA_12zip_iteratorINSA_5tupleINSC_INSA_10device_ptrIxEEEESQ_NSA_9null_typeESR_SR_SR_SR_SR_SR_SR_EEEESG_SG_EENS0_5tupleIJPxSJ_EEENSV_IJSJ_SJ_EEES6_PlJS6_EEE10hipError_tPvRmT3_T4_T5_T6_T7_T9_mT8_P12ihipStream_tbDpT10_ENKUlT_T0_E_clISt17integral_constantIbLb0EES1I_IbLb1EEEEDaS1E_S1F_EUlS1E_E_NS1_11comp_targetILNS1_3genE9ELNS1_11target_archE1100ELNS1_3gpuE3ELNS1_3repE0EEENS1_30default_config_static_selectorELNS0_4arch9wavefront6targetE1EEEvT1_
; %bb.0:
	.section	.rodata,"a",@progbits
	.p2align	6, 0x0
	.amdhsa_kernel _ZN7rocprim17ROCPRIM_400000_NS6detail17trampoline_kernelINS0_14default_configENS1_25partition_config_selectorILNS1_17partition_subalgoE2ExNS0_10empty_typeEbEEZZNS1_14partition_implILS5_2ELb0ES3_jN6thrust23THRUST_200600_302600_NS6detail15normal_iteratorINSA_7pointerIxNSA_11hip_rocprim3tagENSA_11use_defaultESG_EEEEPS6_NSA_18transform_iteratorI10is_orderedNSA_12zip_iteratorINSA_5tupleINSC_INSA_10device_ptrIxEEEESQ_NSA_9null_typeESR_SR_SR_SR_SR_SR_SR_EEEESG_SG_EENS0_5tupleIJPxSJ_EEENSV_IJSJ_SJ_EEES6_PlJS6_EEE10hipError_tPvRmT3_T4_T5_T6_T7_T9_mT8_P12ihipStream_tbDpT10_ENKUlT_T0_E_clISt17integral_constantIbLb0EES1I_IbLb1EEEEDaS1E_S1F_EUlS1E_E_NS1_11comp_targetILNS1_3genE9ELNS1_11target_archE1100ELNS1_3gpuE3ELNS1_3repE0EEENS1_30default_config_static_selectorELNS0_4arch9wavefront6targetE1EEEvT1_
		.amdhsa_group_segment_fixed_size 0
		.amdhsa_private_segment_fixed_size 0
		.amdhsa_kernarg_size 152
		.amdhsa_user_sgpr_count 2
		.amdhsa_user_sgpr_dispatch_ptr 0
		.amdhsa_user_sgpr_queue_ptr 0
		.amdhsa_user_sgpr_kernarg_segment_ptr 1
		.amdhsa_user_sgpr_dispatch_id 0
		.amdhsa_user_sgpr_kernarg_preload_length 0
		.amdhsa_user_sgpr_kernarg_preload_offset 0
		.amdhsa_user_sgpr_private_segment_size 0
		.amdhsa_uses_dynamic_stack 0
		.amdhsa_enable_private_segment 0
		.amdhsa_system_sgpr_workgroup_id_x 1
		.amdhsa_system_sgpr_workgroup_id_y 0
		.amdhsa_system_sgpr_workgroup_id_z 0
		.amdhsa_system_sgpr_workgroup_info 0
		.amdhsa_system_vgpr_workitem_id 0
		.amdhsa_next_free_vgpr 1
		.amdhsa_next_free_sgpr 0
		.amdhsa_accum_offset 4
		.amdhsa_reserve_vcc 0
		.amdhsa_float_round_mode_32 0
		.amdhsa_float_round_mode_16_64 0
		.amdhsa_float_denorm_mode_32 3
		.amdhsa_float_denorm_mode_16_64 3
		.amdhsa_dx10_clamp 1
		.amdhsa_ieee_mode 1
		.amdhsa_fp16_overflow 0
		.amdhsa_tg_split 0
		.amdhsa_exception_fp_ieee_invalid_op 0
		.amdhsa_exception_fp_denorm_src 0
		.amdhsa_exception_fp_ieee_div_zero 0
		.amdhsa_exception_fp_ieee_overflow 0
		.amdhsa_exception_fp_ieee_underflow 0
		.amdhsa_exception_fp_ieee_inexact 0
		.amdhsa_exception_int_div_zero 0
	.end_amdhsa_kernel
	.section	.text._ZN7rocprim17ROCPRIM_400000_NS6detail17trampoline_kernelINS0_14default_configENS1_25partition_config_selectorILNS1_17partition_subalgoE2ExNS0_10empty_typeEbEEZZNS1_14partition_implILS5_2ELb0ES3_jN6thrust23THRUST_200600_302600_NS6detail15normal_iteratorINSA_7pointerIxNSA_11hip_rocprim3tagENSA_11use_defaultESG_EEEEPS6_NSA_18transform_iteratorI10is_orderedNSA_12zip_iteratorINSA_5tupleINSC_INSA_10device_ptrIxEEEESQ_NSA_9null_typeESR_SR_SR_SR_SR_SR_SR_EEEESG_SG_EENS0_5tupleIJPxSJ_EEENSV_IJSJ_SJ_EEES6_PlJS6_EEE10hipError_tPvRmT3_T4_T5_T6_T7_T9_mT8_P12ihipStream_tbDpT10_ENKUlT_T0_E_clISt17integral_constantIbLb0EES1I_IbLb1EEEEDaS1E_S1F_EUlS1E_E_NS1_11comp_targetILNS1_3genE9ELNS1_11target_archE1100ELNS1_3gpuE3ELNS1_3repE0EEENS1_30default_config_static_selectorELNS0_4arch9wavefront6targetE1EEEvT1_,"axG",@progbits,_ZN7rocprim17ROCPRIM_400000_NS6detail17trampoline_kernelINS0_14default_configENS1_25partition_config_selectorILNS1_17partition_subalgoE2ExNS0_10empty_typeEbEEZZNS1_14partition_implILS5_2ELb0ES3_jN6thrust23THRUST_200600_302600_NS6detail15normal_iteratorINSA_7pointerIxNSA_11hip_rocprim3tagENSA_11use_defaultESG_EEEEPS6_NSA_18transform_iteratorI10is_orderedNSA_12zip_iteratorINSA_5tupleINSC_INSA_10device_ptrIxEEEESQ_NSA_9null_typeESR_SR_SR_SR_SR_SR_SR_EEEESG_SG_EENS0_5tupleIJPxSJ_EEENSV_IJSJ_SJ_EEES6_PlJS6_EEE10hipError_tPvRmT3_T4_T5_T6_T7_T9_mT8_P12ihipStream_tbDpT10_ENKUlT_T0_E_clISt17integral_constantIbLb0EES1I_IbLb1EEEEDaS1E_S1F_EUlS1E_E_NS1_11comp_targetILNS1_3genE9ELNS1_11target_archE1100ELNS1_3gpuE3ELNS1_3repE0EEENS1_30default_config_static_selectorELNS0_4arch9wavefront6targetE1EEEvT1_,comdat
.Lfunc_end3592:
	.size	_ZN7rocprim17ROCPRIM_400000_NS6detail17trampoline_kernelINS0_14default_configENS1_25partition_config_selectorILNS1_17partition_subalgoE2ExNS0_10empty_typeEbEEZZNS1_14partition_implILS5_2ELb0ES3_jN6thrust23THRUST_200600_302600_NS6detail15normal_iteratorINSA_7pointerIxNSA_11hip_rocprim3tagENSA_11use_defaultESG_EEEEPS6_NSA_18transform_iteratorI10is_orderedNSA_12zip_iteratorINSA_5tupleINSC_INSA_10device_ptrIxEEEESQ_NSA_9null_typeESR_SR_SR_SR_SR_SR_SR_EEEESG_SG_EENS0_5tupleIJPxSJ_EEENSV_IJSJ_SJ_EEES6_PlJS6_EEE10hipError_tPvRmT3_T4_T5_T6_T7_T9_mT8_P12ihipStream_tbDpT10_ENKUlT_T0_E_clISt17integral_constantIbLb0EES1I_IbLb1EEEEDaS1E_S1F_EUlS1E_E_NS1_11comp_targetILNS1_3genE9ELNS1_11target_archE1100ELNS1_3gpuE3ELNS1_3repE0EEENS1_30default_config_static_selectorELNS0_4arch9wavefront6targetE1EEEvT1_, .Lfunc_end3592-_ZN7rocprim17ROCPRIM_400000_NS6detail17trampoline_kernelINS0_14default_configENS1_25partition_config_selectorILNS1_17partition_subalgoE2ExNS0_10empty_typeEbEEZZNS1_14partition_implILS5_2ELb0ES3_jN6thrust23THRUST_200600_302600_NS6detail15normal_iteratorINSA_7pointerIxNSA_11hip_rocprim3tagENSA_11use_defaultESG_EEEEPS6_NSA_18transform_iteratorI10is_orderedNSA_12zip_iteratorINSA_5tupleINSC_INSA_10device_ptrIxEEEESQ_NSA_9null_typeESR_SR_SR_SR_SR_SR_SR_EEEESG_SG_EENS0_5tupleIJPxSJ_EEENSV_IJSJ_SJ_EEES6_PlJS6_EEE10hipError_tPvRmT3_T4_T5_T6_T7_T9_mT8_P12ihipStream_tbDpT10_ENKUlT_T0_E_clISt17integral_constantIbLb0EES1I_IbLb1EEEEDaS1E_S1F_EUlS1E_E_NS1_11comp_targetILNS1_3genE9ELNS1_11target_archE1100ELNS1_3gpuE3ELNS1_3repE0EEENS1_30default_config_static_selectorELNS0_4arch9wavefront6targetE1EEEvT1_
                                        ; -- End function
	.section	.AMDGPU.csdata,"",@progbits
; Kernel info:
; codeLenInByte = 0
; NumSgprs: 6
; NumVgprs: 0
; NumAgprs: 0
; TotalNumVgprs: 0
; ScratchSize: 0
; MemoryBound: 0
; FloatMode: 240
; IeeeMode: 1
; LDSByteSize: 0 bytes/workgroup (compile time only)
; SGPRBlocks: 0
; VGPRBlocks: 0
; NumSGPRsForWavesPerEU: 6
; NumVGPRsForWavesPerEU: 1
; AccumOffset: 4
; Occupancy: 8
; WaveLimiterHint : 0
; COMPUTE_PGM_RSRC2:SCRATCH_EN: 0
; COMPUTE_PGM_RSRC2:USER_SGPR: 2
; COMPUTE_PGM_RSRC2:TRAP_HANDLER: 0
; COMPUTE_PGM_RSRC2:TGID_X_EN: 1
; COMPUTE_PGM_RSRC2:TGID_Y_EN: 0
; COMPUTE_PGM_RSRC2:TGID_Z_EN: 0
; COMPUTE_PGM_RSRC2:TIDIG_COMP_CNT: 0
; COMPUTE_PGM_RSRC3_GFX90A:ACCUM_OFFSET: 0
; COMPUTE_PGM_RSRC3_GFX90A:TG_SPLIT: 0
	.section	.text._ZN7rocprim17ROCPRIM_400000_NS6detail17trampoline_kernelINS0_14default_configENS1_25partition_config_selectorILNS1_17partition_subalgoE2ExNS0_10empty_typeEbEEZZNS1_14partition_implILS5_2ELb0ES3_jN6thrust23THRUST_200600_302600_NS6detail15normal_iteratorINSA_7pointerIxNSA_11hip_rocprim3tagENSA_11use_defaultESG_EEEEPS6_NSA_18transform_iteratorI10is_orderedNSA_12zip_iteratorINSA_5tupleINSC_INSA_10device_ptrIxEEEESQ_NSA_9null_typeESR_SR_SR_SR_SR_SR_SR_EEEESG_SG_EENS0_5tupleIJPxSJ_EEENSV_IJSJ_SJ_EEES6_PlJS6_EEE10hipError_tPvRmT3_T4_T5_T6_T7_T9_mT8_P12ihipStream_tbDpT10_ENKUlT_T0_E_clISt17integral_constantIbLb0EES1I_IbLb1EEEEDaS1E_S1F_EUlS1E_E_NS1_11comp_targetILNS1_3genE8ELNS1_11target_archE1030ELNS1_3gpuE2ELNS1_3repE0EEENS1_30default_config_static_selectorELNS0_4arch9wavefront6targetE1EEEvT1_,"axG",@progbits,_ZN7rocprim17ROCPRIM_400000_NS6detail17trampoline_kernelINS0_14default_configENS1_25partition_config_selectorILNS1_17partition_subalgoE2ExNS0_10empty_typeEbEEZZNS1_14partition_implILS5_2ELb0ES3_jN6thrust23THRUST_200600_302600_NS6detail15normal_iteratorINSA_7pointerIxNSA_11hip_rocprim3tagENSA_11use_defaultESG_EEEEPS6_NSA_18transform_iteratorI10is_orderedNSA_12zip_iteratorINSA_5tupleINSC_INSA_10device_ptrIxEEEESQ_NSA_9null_typeESR_SR_SR_SR_SR_SR_SR_EEEESG_SG_EENS0_5tupleIJPxSJ_EEENSV_IJSJ_SJ_EEES6_PlJS6_EEE10hipError_tPvRmT3_T4_T5_T6_T7_T9_mT8_P12ihipStream_tbDpT10_ENKUlT_T0_E_clISt17integral_constantIbLb0EES1I_IbLb1EEEEDaS1E_S1F_EUlS1E_E_NS1_11comp_targetILNS1_3genE8ELNS1_11target_archE1030ELNS1_3gpuE2ELNS1_3repE0EEENS1_30default_config_static_selectorELNS0_4arch9wavefront6targetE1EEEvT1_,comdat
	.protected	_ZN7rocprim17ROCPRIM_400000_NS6detail17trampoline_kernelINS0_14default_configENS1_25partition_config_selectorILNS1_17partition_subalgoE2ExNS0_10empty_typeEbEEZZNS1_14partition_implILS5_2ELb0ES3_jN6thrust23THRUST_200600_302600_NS6detail15normal_iteratorINSA_7pointerIxNSA_11hip_rocprim3tagENSA_11use_defaultESG_EEEEPS6_NSA_18transform_iteratorI10is_orderedNSA_12zip_iteratorINSA_5tupleINSC_INSA_10device_ptrIxEEEESQ_NSA_9null_typeESR_SR_SR_SR_SR_SR_SR_EEEESG_SG_EENS0_5tupleIJPxSJ_EEENSV_IJSJ_SJ_EEES6_PlJS6_EEE10hipError_tPvRmT3_T4_T5_T6_T7_T9_mT8_P12ihipStream_tbDpT10_ENKUlT_T0_E_clISt17integral_constantIbLb0EES1I_IbLb1EEEEDaS1E_S1F_EUlS1E_E_NS1_11comp_targetILNS1_3genE8ELNS1_11target_archE1030ELNS1_3gpuE2ELNS1_3repE0EEENS1_30default_config_static_selectorELNS0_4arch9wavefront6targetE1EEEvT1_ ; -- Begin function _ZN7rocprim17ROCPRIM_400000_NS6detail17trampoline_kernelINS0_14default_configENS1_25partition_config_selectorILNS1_17partition_subalgoE2ExNS0_10empty_typeEbEEZZNS1_14partition_implILS5_2ELb0ES3_jN6thrust23THRUST_200600_302600_NS6detail15normal_iteratorINSA_7pointerIxNSA_11hip_rocprim3tagENSA_11use_defaultESG_EEEEPS6_NSA_18transform_iteratorI10is_orderedNSA_12zip_iteratorINSA_5tupleINSC_INSA_10device_ptrIxEEEESQ_NSA_9null_typeESR_SR_SR_SR_SR_SR_SR_EEEESG_SG_EENS0_5tupleIJPxSJ_EEENSV_IJSJ_SJ_EEES6_PlJS6_EEE10hipError_tPvRmT3_T4_T5_T6_T7_T9_mT8_P12ihipStream_tbDpT10_ENKUlT_T0_E_clISt17integral_constantIbLb0EES1I_IbLb1EEEEDaS1E_S1F_EUlS1E_E_NS1_11comp_targetILNS1_3genE8ELNS1_11target_archE1030ELNS1_3gpuE2ELNS1_3repE0EEENS1_30default_config_static_selectorELNS0_4arch9wavefront6targetE1EEEvT1_
	.globl	_ZN7rocprim17ROCPRIM_400000_NS6detail17trampoline_kernelINS0_14default_configENS1_25partition_config_selectorILNS1_17partition_subalgoE2ExNS0_10empty_typeEbEEZZNS1_14partition_implILS5_2ELb0ES3_jN6thrust23THRUST_200600_302600_NS6detail15normal_iteratorINSA_7pointerIxNSA_11hip_rocprim3tagENSA_11use_defaultESG_EEEEPS6_NSA_18transform_iteratorI10is_orderedNSA_12zip_iteratorINSA_5tupleINSC_INSA_10device_ptrIxEEEESQ_NSA_9null_typeESR_SR_SR_SR_SR_SR_SR_EEEESG_SG_EENS0_5tupleIJPxSJ_EEENSV_IJSJ_SJ_EEES6_PlJS6_EEE10hipError_tPvRmT3_T4_T5_T6_T7_T9_mT8_P12ihipStream_tbDpT10_ENKUlT_T0_E_clISt17integral_constantIbLb0EES1I_IbLb1EEEEDaS1E_S1F_EUlS1E_E_NS1_11comp_targetILNS1_3genE8ELNS1_11target_archE1030ELNS1_3gpuE2ELNS1_3repE0EEENS1_30default_config_static_selectorELNS0_4arch9wavefront6targetE1EEEvT1_
	.p2align	8
	.type	_ZN7rocprim17ROCPRIM_400000_NS6detail17trampoline_kernelINS0_14default_configENS1_25partition_config_selectorILNS1_17partition_subalgoE2ExNS0_10empty_typeEbEEZZNS1_14partition_implILS5_2ELb0ES3_jN6thrust23THRUST_200600_302600_NS6detail15normal_iteratorINSA_7pointerIxNSA_11hip_rocprim3tagENSA_11use_defaultESG_EEEEPS6_NSA_18transform_iteratorI10is_orderedNSA_12zip_iteratorINSA_5tupleINSC_INSA_10device_ptrIxEEEESQ_NSA_9null_typeESR_SR_SR_SR_SR_SR_SR_EEEESG_SG_EENS0_5tupleIJPxSJ_EEENSV_IJSJ_SJ_EEES6_PlJS6_EEE10hipError_tPvRmT3_T4_T5_T6_T7_T9_mT8_P12ihipStream_tbDpT10_ENKUlT_T0_E_clISt17integral_constantIbLb0EES1I_IbLb1EEEEDaS1E_S1F_EUlS1E_E_NS1_11comp_targetILNS1_3genE8ELNS1_11target_archE1030ELNS1_3gpuE2ELNS1_3repE0EEENS1_30default_config_static_selectorELNS0_4arch9wavefront6targetE1EEEvT1_,@function
_ZN7rocprim17ROCPRIM_400000_NS6detail17trampoline_kernelINS0_14default_configENS1_25partition_config_selectorILNS1_17partition_subalgoE2ExNS0_10empty_typeEbEEZZNS1_14partition_implILS5_2ELb0ES3_jN6thrust23THRUST_200600_302600_NS6detail15normal_iteratorINSA_7pointerIxNSA_11hip_rocprim3tagENSA_11use_defaultESG_EEEEPS6_NSA_18transform_iteratorI10is_orderedNSA_12zip_iteratorINSA_5tupleINSC_INSA_10device_ptrIxEEEESQ_NSA_9null_typeESR_SR_SR_SR_SR_SR_SR_EEEESG_SG_EENS0_5tupleIJPxSJ_EEENSV_IJSJ_SJ_EEES6_PlJS6_EEE10hipError_tPvRmT3_T4_T5_T6_T7_T9_mT8_P12ihipStream_tbDpT10_ENKUlT_T0_E_clISt17integral_constantIbLb0EES1I_IbLb1EEEEDaS1E_S1F_EUlS1E_E_NS1_11comp_targetILNS1_3genE8ELNS1_11target_archE1030ELNS1_3gpuE2ELNS1_3repE0EEENS1_30default_config_static_selectorELNS0_4arch9wavefront6targetE1EEEvT1_: ; @_ZN7rocprim17ROCPRIM_400000_NS6detail17trampoline_kernelINS0_14default_configENS1_25partition_config_selectorILNS1_17partition_subalgoE2ExNS0_10empty_typeEbEEZZNS1_14partition_implILS5_2ELb0ES3_jN6thrust23THRUST_200600_302600_NS6detail15normal_iteratorINSA_7pointerIxNSA_11hip_rocprim3tagENSA_11use_defaultESG_EEEEPS6_NSA_18transform_iteratorI10is_orderedNSA_12zip_iteratorINSA_5tupleINSC_INSA_10device_ptrIxEEEESQ_NSA_9null_typeESR_SR_SR_SR_SR_SR_SR_EEEESG_SG_EENS0_5tupleIJPxSJ_EEENSV_IJSJ_SJ_EEES6_PlJS6_EEE10hipError_tPvRmT3_T4_T5_T6_T7_T9_mT8_P12ihipStream_tbDpT10_ENKUlT_T0_E_clISt17integral_constantIbLb0EES1I_IbLb1EEEEDaS1E_S1F_EUlS1E_E_NS1_11comp_targetILNS1_3genE8ELNS1_11target_archE1030ELNS1_3gpuE2ELNS1_3repE0EEENS1_30default_config_static_selectorELNS0_4arch9wavefront6targetE1EEEvT1_
; %bb.0:
	.section	.rodata,"a",@progbits
	.p2align	6, 0x0
	.amdhsa_kernel _ZN7rocprim17ROCPRIM_400000_NS6detail17trampoline_kernelINS0_14default_configENS1_25partition_config_selectorILNS1_17partition_subalgoE2ExNS0_10empty_typeEbEEZZNS1_14partition_implILS5_2ELb0ES3_jN6thrust23THRUST_200600_302600_NS6detail15normal_iteratorINSA_7pointerIxNSA_11hip_rocprim3tagENSA_11use_defaultESG_EEEEPS6_NSA_18transform_iteratorI10is_orderedNSA_12zip_iteratorINSA_5tupleINSC_INSA_10device_ptrIxEEEESQ_NSA_9null_typeESR_SR_SR_SR_SR_SR_SR_EEEESG_SG_EENS0_5tupleIJPxSJ_EEENSV_IJSJ_SJ_EEES6_PlJS6_EEE10hipError_tPvRmT3_T4_T5_T6_T7_T9_mT8_P12ihipStream_tbDpT10_ENKUlT_T0_E_clISt17integral_constantIbLb0EES1I_IbLb1EEEEDaS1E_S1F_EUlS1E_E_NS1_11comp_targetILNS1_3genE8ELNS1_11target_archE1030ELNS1_3gpuE2ELNS1_3repE0EEENS1_30default_config_static_selectorELNS0_4arch9wavefront6targetE1EEEvT1_
		.amdhsa_group_segment_fixed_size 0
		.amdhsa_private_segment_fixed_size 0
		.amdhsa_kernarg_size 152
		.amdhsa_user_sgpr_count 2
		.amdhsa_user_sgpr_dispatch_ptr 0
		.amdhsa_user_sgpr_queue_ptr 0
		.amdhsa_user_sgpr_kernarg_segment_ptr 1
		.amdhsa_user_sgpr_dispatch_id 0
		.amdhsa_user_sgpr_kernarg_preload_length 0
		.amdhsa_user_sgpr_kernarg_preload_offset 0
		.amdhsa_user_sgpr_private_segment_size 0
		.amdhsa_uses_dynamic_stack 0
		.amdhsa_enable_private_segment 0
		.amdhsa_system_sgpr_workgroup_id_x 1
		.amdhsa_system_sgpr_workgroup_id_y 0
		.amdhsa_system_sgpr_workgroup_id_z 0
		.amdhsa_system_sgpr_workgroup_info 0
		.amdhsa_system_vgpr_workitem_id 0
		.amdhsa_next_free_vgpr 1
		.amdhsa_next_free_sgpr 0
		.amdhsa_accum_offset 4
		.amdhsa_reserve_vcc 0
		.amdhsa_float_round_mode_32 0
		.amdhsa_float_round_mode_16_64 0
		.amdhsa_float_denorm_mode_32 3
		.amdhsa_float_denorm_mode_16_64 3
		.amdhsa_dx10_clamp 1
		.amdhsa_ieee_mode 1
		.amdhsa_fp16_overflow 0
		.amdhsa_tg_split 0
		.amdhsa_exception_fp_ieee_invalid_op 0
		.amdhsa_exception_fp_denorm_src 0
		.amdhsa_exception_fp_ieee_div_zero 0
		.amdhsa_exception_fp_ieee_overflow 0
		.amdhsa_exception_fp_ieee_underflow 0
		.amdhsa_exception_fp_ieee_inexact 0
		.amdhsa_exception_int_div_zero 0
	.end_amdhsa_kernel
	.section	.text._ZN7rocprim17ROCPRIM_400000_NS6detail17trampoline_kernelINS0_14default_configENS1_25partition_config_selectorILNS1_17partition_subalgoE2ExNS0_10empty_typeEbEEZZNS1_14partition_implILS5_2ELb0ES3_jN6thrust23THRUST_200600_302600_NS6detail15normal_iteratorINSA_7pointerIxNSA_11hip_rocprim3tagENSA_11use_defaultESG_EEEEPS6_NSA_18transform_iteratorI10is_orderedNSA_12zip_iteratorINSA_5tupleINSC_INSA_10device_ptrIxEEEESQ_NSA_9null_typeESR_SR_SR_SR_SR_SR_SR_EEEESG_SG_EENS0_5tupleIJPxSJ_EEENSV_IJSJ_SJ_EEES6_PlJS6_EEE10hipError_tPvRmT3_T4_T5_T6_T7_T9_mT8_P12ihipStream_tbDpT10_ENKUlT_T0_E_clISt17integral_constantIbLb0EES1I_IbLb1EEEEDaS1E_S1F_EUlS1E_E_NS1_11comp_targetILNS1_3genE8ELNS1_11target_archE1030ELNS1_3gpuE2ELNS1_3repE0EEENS1_30default_config_static_selectorELNS0_4arch9wavefront6targetE1EEEvT1_,"axG",@progbits,_ZN7rocprim17ROCPRIM_400000_NS6detail17trampoline_kernelINS0_14default_configENS1_25partition_config_selectorILNS1_17partition_subalgoE2ExNS0_10empty_typeEbEEZZNS1_14partition_implILS5_2ELb0ES3_jN6thrust23THRUST_200600_302600_NS6detail15normal_iteratorINSA_7pointerIxNSA_11hip_rocprim3tagENSA_11use_defaultESG_EEEEPS6_NSA_18transform_iteratorI10is_orderedNSA_12zip_iteratorINSA_5tupleINSC_INSA_10device_ptrIxEEEESQ_NSA_9null_typeESR_SR_SR_SR_SR_SR_SR_EEEESG_SG_EENS0_5tupleIJPxSJ_EEENSV_IJSJ_SJ_EEES6_PlJS6_EEE10hipError_tPvRmT3_T4_T5_T6_T7_T9_mT8_P12ihipStream_tbDpT10_ENKUlT_T0_E_clISt17integral_constantIbLb0EES1I_IbLb1EEEEDaS1E_S1F_EUlS1E_E_NS1_11comp_targetILNS1_3genE8ELNS1_11target_archE1030ELNS1_3gpuE2ELNS1_3repE0EEENS1_30default_config_static_selectorELNS0_4arch9wavefront6targetE1EEEvT1_,comdat
.Lfunc_end3593:
	.size	_ZN7rocprim17ROCPRIM_400000_NS6detail17trampoline_kernelINS0_14default_configENS1_25partition_config_selectorILNS1_17partition_subalgoE2ExNS0_10empty_typeEbEEZZNS1_14partition_implILS5_2ELb0ES3_jN6thrust23THRUST_200600_302600_NS6detail15normal_iteratorINSA_7pointerIxNSA_11hip_rocprim3tagENSA_11use_defaultESG_EEEEPS6_NSA_18transform_iteratorI10is_orderedNSA_12zip_iteratorINSA_5tupleINSC_INSA_10device_ptrIxEEEESQ_NSA_9null_typeESR_SR_SR_SR_SR_SR_SR_EEEESG_SG_EENS0_5tupleIJPxSJ_EEENSV_IJSJ_SJ_EEES6_PlJS6_EEE10hipError_tPvRmT3_T4_T5_T6_T7_T9_mT8_P12ihipStream_tbDpT10_ENKUlT_T0_E_clISt17integral_constantIbLb0EES1I_IbLb1EEEEDaS1E_S1F_EUlS1E_E_NS1_11comp_targetILNS1_3genE8ELNS1_11target_archE1030ELNS1_3gpuE2ELNS1_3repE0EEENS1_30default_config_static_selectorELNS0_4arch9wavefront6targetE1EEEvT1_, .Lfunc_end3593-_ZN7rocprim17ROCPRIM_400000_NS6detail17trampoline_kernelINS0_14default_configENS1_25partition_config_selectorILNS1_17partition_subalgoE2ExNS0_10empty_typeEbEEZZNS1_14partition_implILS5_2ELb0ES3_jN6thrust23THRUST_200600_302600_NS6detail15normal_iteratorINSA_7pointerIxNSA_11hip_rocprim3tagENSA_11use_defaultESG_EEEEPS6_NSA_18transform_iteratorI10is_orderedNSA_12zip_iteratorINSA_5tupleINSC_INSA_10device_ptrIxEEEESQ_NSA_9null_typeESR_SR_SR_SR_SR_SR_SR_EEEESG_SG_EENS0_5tupleIJPxSJ_EEENSV_IJSJ_SJ_EEES6_PlJS6_EEE10hipError_tPvRmT3_T4_T5_T6_T7_T9_mT8_P12ihipStream_tbDpT10_ENKUlT_T0_E_clISt17integral_constantIbLb0EES1I_IbLb1EEEEDaS1E_S1F_EUlS1E_E_NS1_11comp_targetILNS1_3genE8ELNS1_11target_archE1030ELNS1_3gpuE2ELNS1_3repE0EEENS1_30default_config_static_selectorELNS0_4arch9wavefront6targetE1EEEvT1_
                                        ; -- End function
	.section	.AMDGPU.csdata,"",@progbits
; Kernel info:
; codeLenInByte = 0
; NumSgprs: 6
; NumVgprs: 0
; NumAgprs: 0
; TotalNumVgprs: 0
; ScratchSize: 0
; MemoryBound: 0
; FloatMode: 240
; IeeeMode: 1
; LDSByteSize: 0 bytes/workgroup (compile time only)
; SGPRBlocks: 0
; VGPRBlocks: 0
; NumSGPRsForWavesPerEU: 6
; NumVGPRsForWavesPerEU: 1
; AccumOffset: 4
; Occupancy: 8
; WaveLimiterHint : 0
; COMPUTE_PGM_RSRC2:SCRATCH_EN: 0
; COMPUTE_PGM_RSRC2:USER_SGPR: 2
; COMPUTE_PGM_RSRC2:TRAP_HANDLER: 0
; COMPUTE_PGM_RSRC2:TGID_X_EN: 1
; COMPUTE_PGM_RSRC2:TGID_Y_EN: 0
; COMPUTE_PGM_RSRC2:TGID_Z_EN: 0
; COMPUTE_PGM_RSRC2:TIDIG_COMP_CNT: 0
; COMPUTE_PGM_RSRC3_GFX90A:ACCUM_OFFSET: 0
; COMPUTE_PGM_RSRC3_GFX90A:TG_SPLIT: 0
	.section	.text._ZN7rocprim17ROCPRIM_400000_NS6detail17trampoline_kernelINS0_14default_configENS1_25partition_config_selectorILNS1_17partition_subalgoE2EiNS0_10empty_typeEbEEZZNS1_14partition_implILS5_2ELb0ES3_jN6thrust23THRUST_200600_302600_NS6detail15normal_iteratorINSA_7pointerIiNSA_11hip_rocprim3tagENSA_11use_defaultESG_EEEEPS6_NSA_18transform_iteratorI10is_orderedNSA_12zip_iteratorINSA_5tupleINSC_INSA_10device_ptrIiEEEESQ_NSA_9null_typeESR_SR_SR_SR_SR_SR_SR_EEEESG_SG_EENS0_5tupleIJPiSJ_EEENSV_IJSJ_SJ_EEES6_PlJS6_EEE10hipError_tPvRmT3_T4_T5_T6_T7_T9_mT8_P12ihipStream_tbDpT10_ENKUlT_T0_E_clISt17integral_constantIbLb0EES1J_EEDaS1E_S1F_EUlS1E_E_NS1_11comp_targetILNS1_3genE0ELNS1_11target_archE4294967295ELNS1_3gpuE0ELNS1_3repE0EEENS1_30default_config_static_selectorELNS0_4arch9wavefront6targetE1EEEvT1_,"axG",@progbits,_ZN7rocprim17ROCPRIM_400000_NS6detail17trampoline_kernelINS0_14default_configENS1_25partition_config_selectorILNS1_17partition_subalgoE2EiNS0_10empty_typeEbEEZZNS1_14partition_implILS5_2ELb0ES3_jN6thrust23THRUST_200600_302600_NS6detail15normal_iteratorINSA_7pointerIiNSA_11hip_rocprim3tagENSA_11use_defaultESG_EEEEPS6_NSA_18transform_iteratorI10is_orderedNSA_12zip_iteratorINSA_5tupleINSC_INSA_10device_ptrIiEEEESQ_NSA_9null_typeESR_SR_SR_SR_SR_SR_SR_EEEESG_SG_EENS0_5tupleIJPiSJ_EEENSV_IJSJ_SJ_EEES6_PlJS6_EEE10hipError_tPvRmT3_T4_T5_T6_T7_T9_mT8_P12ihipStream_tbDpT10_ENKUlT_T0_E_clISt17integral_constantIbLb0EES1J_EEDaS1E_S1F_EUlS1E_E_NS1_11comp_targetILNS1_3genE0ELNS1_11target_archE4294967295ELNS1_3gpuE0ELNS1_3repE0EEENS1_30default_config_static_selectorELNS0_4arch9wavefront6targetE1EEEvT1_,comdat
	.protected	_ZN7rocprim17ROCPRIM_400000_NS6detail17trampoline_kernelINS0_14default_configENS1_25partition_config_selectorILNS1_17partition_subalgoE2EiNS0_10empty_typeEbEEZZNS1_14partition_implILS5_2ELb0ES3_jN6thrust23THRUST_200600_302600_NS6detail15normal_iteratorINSA_7pointerIiNSA_11hip_rocprim3tagENSA_11use_defaultESG_EEEEPS6_NSA_18transform_iteratorI10is_orderedNSA_12zip_iteratorINSA_5tupleINSC_INSA_10device_ptrIiEEEESQ_NSA_9null_typeESR_SR_SR_SR_SR_SR_SR_EEEESG_SG_EENS0_5tupleIJPiSJ_EEENSV_IJSJ_SJ_EEES6_PlJS6_EEE10hipError_tPvRmT3_T4_T5_T6_T7_T9_mT8_P12ihipStream_tbDpT10_ENKUlT_T0_E_clISt17integral_constantIbLb0EES1J_EEDaS1E_S1F_EUlS1E_E_NS1_11comp_targetILNS1_3genE0ELNS1_11target_archE4294967295ELNS1_3gpuE0ELNS1_3repE0EEENS1_30default_config_static_selectorELNS0_4arch9wavefront6targetE1EEEvT1_ ; -- Begin function _ZN7rocprim17ROCPRIM_400000_NS6detail17trampoline_kernelINS0_14default_configENS1_25partition_config_selectorILNS1_17partition_subalgoE2EiNS0_10empty_typeEbEEZZNS1_14partition_implILS5_2ELb0ES3_jN6thrust23THRUST_200600_302600_NS6detail15normal_iteratorINSA_7pointerIiNSA_11hip_rocprim3tagENSA_11use_defaultESG_EEEEPS6_NSA_18transform_iteratorI10is_orderedNSA_12zip_iteratorINSA_5tupleINSC_INSA_10device_ptrIiEEEESQ_NSA_9null_typeESR_SR_SR_SR_SR_SR_SR_EEEESG_SG_EENS0_5tupleIJPiSJ_EEENSV_IJSJ_SJ_EEES6_PlJS6_EEE10hipError_tPvRmT3_T4_T5_T6_T7_T9_mT8_P12ihipStream_tbDpT10_ENKUlT_T0_E_clISt17integral_constantIbLb0EES1J_EEDaS1E_S1F_EUlS1E_E_NS1_11comp_targetILNS1_3genE0ELNS1_11target_archE4294967295ELNS1_3gpuE0ELNS1_3repE0EEENS1_30default_config_static_selectorELNS0_4arch9wavefront6targetE1EEEvT1_
	.globl	_ZN7rocprim17ROCPRIM_400000_NS6detail17trampoline_kernelINS0_14default_configENS1_25partition_config_selectorILNS1_17partition_subalgoE2EiNS0_10empty_typeEbEEZZNS1_14partition_implILS5_2ELb0ES3_jN6thrust23THRUST_200600_302600_NS6detail15normal_iteratorINSA_7pointerIiNSA_11hip_rocprim3tagENSA_11use_defaultESG_EEEEPS6_NSA_18transform_iteratorI10is_orderedNSA_12zip_iteratorINSA_5tupleINSC_INSA_10device_ptrIiEEEESQ_NSA_9null_typeESR_SR_SR_SR_SR_SR_SR_EEEESG_SG_EENS0_5tupleIJPiSJ_EEENSV_IJSJ_SJ_EEES6_PlJS6_EEE10hipError_tPvRmT3_T4_T5_T6_T7_T9_mT8_P12ihipStream_tbDpT10_ENKUlT_T0_E_clISt17integral_constantIbLb0EES1J_EEDaS1E_S1F_EUlS1E_E_NS1_11comp_targetILNS1_3genE0ELNS1_11target_archE4294967295ELNS1_3gpuE0ELNS1_3repE0EEENS1_30default_config_static_selectorELNS0_4arch9wavefront6targetE1EEEvT1_
	.p2align	8
	.type	_ZN7rocprim17ROCPRIM_400000_NS6detail17trampoline_kernelINS0_14default_configENS1_25partition_config_selectorILNS1_17partition_subalgoE2EiNS0_10empty_typeEbEEZZNS1_14partition_implILS5_2ELb0ES3_jN6thrust23THRUST_200600_302600_NS6detail15normal_iteratorINSA_7pointerIiNSA_11hip_rocprim3tagENSA_11use_defaultESG_EEEEPS6_NSA_18transform_iteratorI10is_orderedNSA_12zip_iteratorINSA_5tupleINSC_INSA_10device_ptrIiEEEESQ_NSA_9null_typeESR_SR_SR_SR_SR_SR_SR_EEEESG_SG_EENS0_5tupleIJPiSJ_EEENSV_IJSJ_SJ_EEES6_PlJS6_EEE10hipError_tPvRmT3_T4_T5_T6_T7_T9_mT8_P12ihipStream_tbDpT10_ENKUlT_T0_E_clISt17integral_constantIbLb0EES1J_EEDaS1E_S1F_EUlS1E_E_NS1_11comp_targetILNS1_3genE0ELNS1_11target_archE4294967295ELNS1_3gpuE0ELNS1_3repE0EEENS1_30default_config_static_selectorELNS0_4arch9wavefront6targetE1EEEvT1_,@function
_ZN7rocprim17ROCPRIM_400000_NS6detail17trampoline_kernelINS0_14default_configENS1_25partition_config_selectorILNS1_17partition_subalgoE2EiNS0_10empty_typeEbEEZZNS1_14partition_implILS5_2ELb0ES3_jN6thrust23THRUST_200600_302600_NS6detail15normal_iteratorINSA_7pointerIiNSA_11hip_rocprim3tagENSA_11use_defaultESG_EEEEPS6_NSA_18transform_iteratorI10is_orderedNSA_12zip_iteratorINSA_5tupleINSC_INSA_10device_ptrIiEEEESQ_NSA_9null_typeESR_SR_SR_SR_SR_SR_SR_EEEESG_SG_EENS0_5tupleIJPiSJ_EEENSV_IJSJ_SJ_EEES6_PlJS6_EEE10hipError_tPvRmT3_T4_T5_T6_T7_T9_mT8_P12ihipStream_tbDpT10_ENKUlT_T0_E_clISt17integral_constantIbLb0EES1J_EEDaS1E_S1F_EUlS1E_E_NS1_11comp_targetILNS1_3genE0ELNS1_11target_archE4294967295ELNS1_3gpuE0ELNS1_3repE0EEENS1_30default_config_static_selectorELNS0_4arch9wavefront6targetE1EEEvT1_: ; @_ZN7rocprim17ROCPRIM_400000_NS6detail17trampoline_kernelINS0_14default_configENS1_25partition_config_selectorILNS1_17partition_subalgoE2EiNS0_10empty_typeEbEEZZNS1_14partition_implILS5_2ELb0ES3_jN6thrust23THRUST_200600_302600_NS6detail15normal_iteratorINSA_7pointerIiNSA_11hip_rocprim3tagENSA_11use_defaultESG_EEEEPS6_NSA_18transform_iteratorI10is_orderedNSA_12zip_iteratorINSA_5tupleINSC_INSA_10device_ptrIiEEEESQ_NSA_9null_typeESR_SR_SR_SR_SR_SR_SR_EEEESG_SG_EENS0_5tupleIJPiSJ_EEENSV_IJSJ_SJ_EEES6_PlJS6_EEE10hipError_tPvRmT3_T4_T5_T6_T7_T9_mT8_P12ihipStream_tbDpT10_ENKUlT_T0_E_clISt17integral_constantIbLb0EES1J_EEDaS1E_S1F_EUlS1E_E_NS1_11comp_targetILNS1_3genE0ELNS1_11target_archE4294967295ELNS1_3gpuE0ELNS1_3repE0EEENS1_30default_config_static_selectorELNS0_4arch9wavefront6targetE1EEEvT1_
; %bb.0:
	.section	.rodata,"a",@progbits
	.p2align	6, 0x0
	.amdhsa_kernel _ZN7rocprim17ROCPRIM_400000_NS6detail17trampoline_kernelINS0_14default_configENS1_25partition_config_selectorILNS1_17partition_subalgoE2EiNS0_10empty_typeEbEEZZNS1_14partition_implILS5_2ELb0ES3_jN6thrust23THRUST_200600_302600_NS6detail15normal_iteratorINSA_7pointerIiNSA_11hip_rocprim3tagENSA_11use_defaultESG_EEEEPS6_NSA_18transform_iteratorI10is_orderedNSA_12zip_iteratorINSA_5tupleINSC_INSA_10device_ptrIiEEEESQ_NSA_9null_typeESR_SR_SR_SR_SR_SR_SR_EEEESG_SG_EENS0_5tupleIJPiSJ_EEENSV_IJSJ_SJ_EEES6_PlJS6_EEE10hipError_tPvRmT3_T4_T5_T6_T7_T9_mT8_P12ihipStream_tbDpT10_ENKUlT_T0_E_clISt17integral_constantIbLb0EES1J_EEDaS1E_S1F_EUlS1E_E_NS1_11comp_targetILNS1_3genE0ELNS1_11target_archE4294967295ELNS1_3gpuE0ELNS1_3repE0EEENS1_30default_config_static_selectorELNS0_4arch9wavefront6targetE1EEEvT1_
		.amdhsa_group_segment_fixed_size 0
		.amdhsa_private_segment_fixed_size 0
		.amdhsa_kernarg_size 136
		.amdhsa_user_sgpr_count 2
		.amdhsa_user_sgpr_dispatch_ptr 0
		.amdhsa_user_sgpr_queue_ptr 0
		.amdhsa_user_sgpr_kernarg_segment_ptr 1
		.amdhsa_user_sgpr_dispatch_id 0
		.amdhsa_user_sgpr_kernarg_preload_length 0
		.amdhsa_user_sgpr_kernarg_preload_offset 0
		.amdhsa_user_sgpr_private_segment_size 0
		.amdhsa_uses_dynamic_stack 0
		.amdhsa_enable_private_segment 0
		.amdhsa_system_sgpr_workgroup_id_x 1
		.amdhsa_system_sgpr_workgroup_id_y 0
		.amdhsa_system_sgpr_workgroup_id_z 0
		.amdhsa_system_sgpr_workgroup_info 0
		.amdhsa_system_vgpr_workitem_id 0
		.amdhsa_next_free_vgpr 1
		.amdhsa_next_free_sgpr 0
		.amdhsa_accum_offset 4
		.amdhsa_reserve_vcc 0
		.amdhsa_float_round_mode_32 0
		.amdhsa_float_round_mode_16_64 0
		.amdhsa_float_denorm_mode_32 3
		.amdhsa_float_denorm_mode_16_64 3
		.amdhsa_dx10_clamp 1
		.amdhsa_ieee_mode 1
		.amdhsa_fp16_overflow 0
		.amdhsa_tg_split 0
		.amdhsa_exception_fp_ieee_invalid_op 0
		.amdhsa_exception_fp_denorm_src 0
		.amdhsa_exception_fp_ieee_div_zero 0
		.amdhsa_exception_fp_ieee_overflow 0
		.amdhsa_exception_fp_ieee_underflow 0
		.amdhsa_exception_fp_ieee_inexact 0
		.amdhsa_exception_int_div_zero 0
	.end_amdhsa_kernel
	.section	.text._ZN7rocprim17ROCPRIM_400000_NS6detail17trampoline_kernelINS0_14default_configENS1_25partition_config_selectorILNS1_17partition_subalgoE2EiNS0_10empty_typeEbEEZZNS1_14partition_implILS5_2ELb0ES3_jN6thrust23THRUST_200600_302600_NS6detail15normal_iteratorINSA_7pointerIiNSA_11hip_rocprim3tagENSA_11use_defaultESG_EEEEPS6_NSA_18transform_iteratorI10is_orderedNSA_12zip_iteratorINSA_5tupleINSC_INSA_10device_ptrIiEEEESQ_NSA_9null_typeESR_SR_SR_SR_SR_SR_SR_EEEESG_SG_EENS0_5tupleIJPiSJ_EEENSV_IJSJ_SJ_EEES6_PlJS6_EEE10hipError_tPvRmT3_T4_T5_T6_T7_T9_mT8_P12ihipStream_tbDpT10_ENKUlT_T0_E_clISt17integral_constantIbLb0EES1J_EEDaS1E_S1F_EUlS1E_E_NS1_11comp_targetILNS1_3genE0ELNS1_11target_archE4294967295ELNS1_3gpuE0ELNS1_3repE0EEENS1_30default_config_static_selectorELNS0_4arch9wavefront6targetE1EEEvT1_,"axG",@progbits,_ZN7rocprim17ROCPRIM_400000_NS6detail17trampoline_kernelINS0_14default_configENS1_25partition_config_selectorILNS1_17partition_subalgoE2EiNS0_10empty_typeEbEEZZNS1_14partition_implILS5_2ELb0ES3_jN6thrust23THRUST_200600_302600_NS6detail15normal_iteratorINSA_7pointerIiNSA_11hip_rocprim3tagENSA_11use_defaultESG_EEEEPS6_NSA_18transform_iteratorI10is_orderedNSA_12zip_iteratorINSA_5tupleINSC_INSA_10device_ptrIiEEEESQ_NSA_9null_typeESR_SR_SR_SR_SR_SR_SR_EEEESG_SG_EENS0_5tupleIJPiSJ_EEENSV_IJSJ_SJ_EEES6_PlJS6_EEE10hipError_tPvRmT3_T4_T5_T6_T7_T9_mT8_P12ihipStream_tbDpT10_ENKUlT_T0_E_clISt17integral_constantIbLb0EES1J_EEDaS1E_S1F_EUlS1E_E_NS1_11comp_targetILNS1_3genE0ELNS1_11target_archE4294967295ELNS1_3gpuE0ELNS1_3repE0EEENS1_30default_config_static_selectorELNS0_4arch9wavefront6targetE1EEEvT1_,comdat
.Lfunc_end3594:
	.size	_ZN7rocprim17ROCPRIM_400000_NS6detail17trampoline_kernelINS0_14default_configENS1_25partition_config_selectorILNS1_17partition_subalgoE2EiNS0_10empty_typeEbEEZZNS1_14partition_implILS5_2ELb0ES3_jN6thrust23THRUST_200600_302600_NS6detail15normal_iteratorINSA_7pointerIiNSA_11hip_rocprim3tagENSA_11use_defaultESG_EEEEPS6_NSA_18transform_iteratorI10is_orderedNSA_12zip_iteratorINSA_5tupleINSC_INSA_10device_ptrIiEEEESQ_NSA_9null_typeESR_SR_SR_SR_SR_SR_SR_EEEESG_SG_EENS0_5tupleIJPiSJ_EEENSV_IJSJ_SJ_EEES6_PlJS6_EEE10hipError_tPvRmT3_T4_T5_T6_T7_T9_mT8_P12ihipStream_tbDpT10_ENKUlT_T0_E_clISt17integral_constantIbLb0EES1J_EEDaS1E_S1F_EUlS1E_E_NS1_11comp_targetILNS1_3genE0ELNS1_11target_archE4294967295ELNS1_3gpuE0ELNS1_3repE0EEENS1_30default_config_static_selectorELNS0_4arch9wavefront6targetE1EEEvT1_, .Lfunc_end3594-_ZN7rocprim17ROCPRIM_400000_NS6detail17trampoline_kernelINS0_14default_configENS1_25partition_config_selectorILNS1_17partition_subalgoE2EiNS0_10empty_typeEbEEZZNS1_14partition_implILS5_2ELb0ES3_jN6thrust23THRUST_200600_302600_NS6detail15normal_iteratorINSA_7pointerIiNSA_11hip_rocprim3tagENSA_11use_defaultESG_EEEEPS6_NSA_18transform_iteratorI10is_orderedNSA_12zip_iteratorINSA_5tupleINSC_INSA_10device_ptrIiEEEESQ_NSA_9null_typeESR_SR_SR_SR_SR_SR_SR_EEEESG_SG_EENS0_5tupleIJPiSJ_EEENSV_IJSJ_SJ_EEES6_PlJS6_EEE10hipError_tPvRmT3_T4_T5_T6_T7_T9_mT8_P12ihipStream_tbDpT10_ENKUlT_T0_E_clISt17integral_constantIbLb0EES1J_EEDaS1E_S1F_EUlS1E_E_NS1_11comp_targetILNS1_3genE0ELNS1_11target_archE4294967295ELNS1_3gpuE0ELNS1_3repE0EEENS1_30default_config_static_selectorELNS0_4arch9wavefront6targetE1EEEvT1_
                                        ; -- End function
	.section	.AMDGPU.csdata,"",@progbits
; Kernel info:
; codeLenInByte = 0
; NumSgprs: 6
; NumVgprs: 0
; NumAgprs: 0
; TotalNumVgprs: 0
; ScratchSize: 0
; MemoryBound: 0
; FloatMode: 240
; IeeeMode: 1
; LDSByteSize: 0 bytes/workgroup (compile time only)
; SGPRBlocks: 0
; VGPRBlocks: 0
; NumSGPRsForWavesPerEU: 6
; NumVGPRsForWavesPerEU: 1
; AccumOffset: 4
; Occupancy: 8
; WaveLimiterHint : 0
; COMPUTE_PGM_RSRC2:SCRATCH_EN: 0
; COMPUTE_PGM_RSRC2:USER_SGPR: 2
; COMPUTE_PGM_RSRC2:TRAP_HANDLER: 0
; COMPUTE_PGM_RSRC2:TGID_X_EN: 1
; COMPUTE_PGM_RSRC2:TGID_Y_EN: 0
; COMPUTE_PGM_RSRC2:TGID_Z_EN: 0
; COMPUTE_PGM_RSRC2:TIDIG_COMP_CNT: 0
; COMPUTE_PGM_RSRC3_GFX90A:ACCUM_OFFSET: 0
; COMPUTE_PGM_RSRC3_GFX90A:TG_SPLIT: 0
	.section	.text._ZN7rocprim17ROCPRIM_400000_NS6detail17trampoline_kernelINS0_14default_configENS1_25partition_config_selectorILNS1_17partition_subalgoE2EiNS0_10empty_typeEbEEZZNS1_14partition_implILS5_2ELb0ES3_jN6thrust23THRUST_200600_302600_NS6detail15normal_iteratorINSA_7pointerIiNSA_11hip_rocprim3tagENSA_11use_defaultESG_EEEEPS6_NSA_18transform_iteratorI10is_orderedNSA_12zip_iteratorINSA_5tupleINSC_INSA_10device_ptrIiEEEESQ_NSA_9null_typeESR_SR_SR_SR_SR_SR_SR_EEEESG_SG_EENS0_5tupleIJPiSJ_EEENSV_IJSJ_SJ_EEES6_PlJS6_EEE10hipError_tPvRmT3_T4_T5_T6_T7_T9_mT8_P12ihipStream_tbDpT10_ENKUlT_T0_E_clISt17integral_constantIbLb0EES1J_EEDaS1E_S1F_EUlS1E_E_NS1_11comp_targetILNS1_3genE5ELNS1_11target_archE942ELNS1_3gpuE9ELNS1_3repE0EEENS1_30default_config_static_selectorELNS0_4arch9wavefront6targetE1EEEvT1_,"axG",@progbits,_ZN7rocprim17ROCPRIM_400000_NS6detail17trampoline_kernelINS0_14default_configENS1_25partition_config_selectorILNS1_17partition_subalgoE2EiNS0_10empty_typeEbEEZZNS1_14partition_implILS5_2ELb0ES3_jN6thrust23THRUST_200600_302600_NS6detail15normal_iteratorINSA_7pointerIiNSA_11hip_rocprim3tagENSA_11use_defaultESG_EEEEPS6_NSA_18transform_iteratorI10is_orderedNSA_12zip_iteratorINSA_5tupleINSC_INSA_10device_ptrIiEEEESQ_NSA_9null_typeESR_SR_SR_SR_SR_SR_SR_EEEESG_SG_EENS0_5tupleIJPiSJ_EEENSV_IJSJ_SJ_EEES6_PlJS6_EEE10hipError_tPvRmT3_T4_T5_T6_T7_T9_mT8_P12ihipStream_tbDpT10_ENKUlT_T0_E_clISt17integral_constantIbLb0EES1J_EEDaS1E_S1F_EUlS1E_E_NS1_11comp_targetILNS1_3genE5ELNS1_11target_archE942ELNS1_3gpuE9ELNS1_3repE0EEENS1_30default_config_static_selectorELNS0_4arch9wavefront6targetE1EEEvT1_,comdat
	.protected	_ZN7rocprim17ROCPRIM_400000_NS6detail17trampoline_kernelINS0_14default_configENS1_25partition_config_selectorILNS1_17partition_subalgoE2EiNS0_10empty_typeEbEEZZNS1_14partition_implILS5_2ELb0ES3_jN6thrust23THRUST_200600_302600_NS6detail15normal_iteratorINSA_7pointerIiNSA_11hip_rocprim3tagENSA_11use_defaultESG_EEEEPS6_NSA_18transform_iteratorI10is_orderedNSA_12zip_iteratorINSA_5tupleINSC_INSA_10device_ptrIiEEEESQ_NSA_9null_typeESR_SR_SR_SR_SR_SR_SR_EEEESG_SG_EENS0_5tupleIJPiSJ_EEENSV_IJSJ_SJ_EEES6_PlJS6_EEE10hipError_tPvRmT3_T4_T5_T6_T7_T9_mT8_P12ihipStream_tbDpT10_ENKUlT_T0_E_clISt17integral_constantIbLb0EES1J_EEDaS1E_S1F_EUlS1E_E_NS1_11comp_targetILNS1_3genE5ELNS1_11target_archE942ELNS1_3gpuE9ELNS1_3repE0EEENS1_30default_config_static_selectorELNS0_4arch9wavefront6targetE1EEEvT1_ ; -- Begin function _ZN7rocprim17ROCPRIM_400000_NS6detail17trampoline_kernelINS0_14default_configENS1_25partition_config_selectorILNS1_17partition_subalgoE2EiNS0_10empty_typeEbEEZZNS1_14partition_implILS5_2ELb0ES3_jN6thrust23THRUST_200600_302600_NS6detail15normal_iteratorINSA_7pointerIiNSA_11hip_rocprim3tagENSA_11use_defaultESG_EEEEPS6_NSA_18transform_iteratorI10is_orderedNSA_12zip_iteratorINSA_5tupleINSC_INSA_10device_ptrIiEEEESQ_NSA_9null_typeESR_SR_SR_SR_SR_SR_SR_EEEESG_SG_EENS0_5tupleIJPiSJ_EEENSV_IJSJ_SJ_EEES6_PlJS6_EEE10hipError_tPvRmT3_T4_T5_T6_T7_T9_mT8_P12ihipStream_tbDpT10_ENKUlT_T0_E_clISt17integral_constantIbLb0EES1J_EEDaS1E_S1F_EUlS1E_E_NS1_11comp_targetILNS1_3genE5ELNS1_11target_archE942ELNS1_3gpuE9ELNS1_3repE0EEENS1_30default_config_static_selectorELNS0_4arch9wavefront6targetE1EEEvT1_
	.globl	_ZN7rocprim17ROCPRIM_400000_NS6detail17trampoline_kernelINS0_14default_configENS1_25partition_config_selectorILNS1_17partition_subalgoE2EiNS0_10empty_typeEbEEZZNS1_14partition_implILS5_2ELb0ES3_jN6thrust23THRUST_200600_302600_NS6detail15normal_iteratorINSA_7pointerIiNSA_11hip_rocprim3tagENSA_11use_defaultESG_EEEEPS6_NSA_18transform_iteratorI10is_orderedNSA_12zip_iteratorINSA_5tupleINSC_INSA_10device_ptrIiEEEESQ_NSA_9null_typeESR_SR_SR_SR_SR_SR_SR_EEEESG_SG_EENS0_5tupleIJPiSJ_EEENSV_IJSJ_SJ_EEES6_PlJS6_EEE10hipError_tPvRmT3_T4_T5_T6_T7_T9_mT8_P12ihipStream_tbDpT10_ENKUlT_T0_E_clISt17integral_constantIbLb0EES1J_EEDaS1E_S1F_EUlS1E_E_NS1_11comp_targetILNS1_3genE5ELNS1_11target_archE942ELNS1_3gpuE9ELNS1_3repE0EEENS1_30default_config_static_selectorELNS0_4arch9wavefront6targetE1EEEvT1_
	.p2align	8
	.type	_ZN7rocprim17ROCPRIM_400000_NS6detail17trampoline_kernelINS0_14default_configENS1_25partition_config_selectorILNS1_17partition_subalgoE2EiNS0_10empty_typeEbEEZZNS1_14partition_implILS5_2ELb0ES3_jN6thrust23THRUST_200600_302600_NS6detail15normal_iteratorINSA_7pointerIiNSA_11hip_rocprim3tagENSA_11use_defaultESG_EEEEPS6_NSA_18transform_iteratorI10is_orderedNSA_12zip_iteratorINSA_5tupleINSC_INSA_10device_ptrIiEEEESQ_NSA_9null_typeESR_SR_SR_SR_SR_SR_SR_EEEESG_SG_EENS0_5tupleIJPiSJ_EEENSV_IJSJ_SJ_EEES6_PlJS6_EEE10hipError_tPvRmT3_T4_T5_T6_T7_T9_mT8_P12ihipStream_tbDpT10_ENKUlT_T0_E_clISt17integral_constantIbLb0EES1J_EEDaS1E_S1F_EUlS1E_E_NS1_11comp_targetILNS1_3genE5ELNS1_11target_archE942ELNS1_3gpuE9ELNS1_3repE0EEENS1_30default_config_static_selectorELNS0_4arch9wavefront6targetE1EEEvT1_,@function
_ZN7rocprim17ROCPRIM_400000_NS6detail17trampoline_kernelINS0_14default_configENS1_25partition_config_selectorILNS1_17partition_subalgoE2EiNS0_10empty_typeEbEEZZNS1_14partition_implILS5_2ELb0ES3_jN6thrust23THRUST_200600_302600_NS6detail15normal_iteratorINSA_7pointerIiNSA_11hip_rocprim3tagENSA_11use_defaultESG_EEEEPS6_NSA_18transform_iteratorI10is_orderedNSA_12zip_iteratorINSA_5tupleINSC_INSA_10device_ptrIiEEEESQ_NSA_9null_typeESR_SR_SR_SR_SR_SR_SR_EEEESG_SG_EENS0_5tupleIJPiSJ_EEENSV_IJSJ_SJ_EEES6_PlJS6_EEE10hipError_tPvRmT3_T4_T5_T6_T7_T9_mT8_P12ihipStream_tbDpT10_ENKUlT_T0_E_clISt17integral_constantIbLb0EES1J_EEDaS1E_S1F_EUlS1E_E_NS1_11comp_targetILNS1_3genE5ELNS1_11target_archE942ELNS1_3gpuE9ELNS1_3repE0EEENS1_30default_config_static_selectorELNS0_4arch9wavefront6targetE1EEEvT1_: ; @_ZN7rocprim17ROCPRIM_400000_NS6detail17trampoline_kernelINS0_14default_configENS1_25partition_config_selectorILNS1_17partition_subalgoE2EiNS0_10empty_typeEbEEZZNS1_14partition_implILS5_2ELb0ES3_jN6thrust23THRUST_200600_302600_NS6detail15normal_iteratorINSA_7pointerIiNSA_11hip_rocprim3tagENSA_11use_defaultESG_EEEEPS6_NSA_18transform_iteratorI10is_orderedNSA_12zip_iteratorINSA_5tupleINSC_INSA_10device_ptrIiEEEESQ_NSA_9null_typeESR_SR_SR_SR_SR_SR_SR_EEEESG_SG_EENS0_5tupleIJPiSJ_EEENSV_IJSJ_SJ_EEES6_PlJS6_EEE10hipError_tPvRmT3_T4_T5_T6_T7_T9_mT8_P12ihipStream_tbDpT10_ENKUlT_T0_E_clISt17integral_constantIbLb0EES1J_EEDaS1E_S1F_EUlS1E_E_NS1_11comp_targetILNS1_3genE5ELNS1_11target_archE942ELNS1_3gpuE9ELNS1_3repE0EEENS1_30default_config_static_selectorELNS0_4arch9wavefront6targetE1EEEvT1_
; %bb.0:
	s_load_dwordx4 s[24:27], s[0:1], 0x8
	s_load_dwordx4 s[20:23], s[0:1], 0x58
	s_load_dwordx2 s[28:29], s[0:1], 0x68
	s_load_dword s3, s[0:1], 0x80
	v_lshlrev_b32_e32 v22, 2, v0
	s_waitcnt lgkmcnt(0)
	s_lshl_b64 s[6:7], s[26:27], 2
	s_add_u32 s8, s24, s6
	s_addc_u32 s9, s25, s7
	s_add_i32 s10, s3, -1
	s_mulk_i32 s3, 0x1e00
	s_add_i32 s4, s3, s26
	s_sub_i32 s33, s28, s4
	s_addk_i32 s33, 0x1e00
	s_add_u32 s4, s26, s3
	s_addc_u32 s5, s27, 0
	s_cmp_eq_u32 s2, s10
	s_load_dwordx2 s[30:31], s[22:23], 0x0
	v_mov_b64_e32 v[2:3], s[28:29]
	s_cselect_b64 s[22:23], -1, 0
	s_cmp_lg_u32 s2, s10
	s_mul_i32 s24, s2, 0x1e00
	s_mov_b32 s25, 0
	v_cmp_lt_u64_e32 vcc, s[4:5], v[2:3]
	s_cselect_b64 s[4:5], -1, 0
	s_or_b64 s[34:35], s[4:5], vcc
	s_lshl_b64 s[12:13], s[24:25], 2
	s_add_u32 s14, s8, s12
	s_addc_u32 s15, s9, s13
	s_mov_b64 s[4:5], -1
	s_and_b64 vcc, exec, s[34:35]
	s_cbranch_vccz .LBB3595_2
; %bb.1:
	v_mov_b32_e32 v23, 0
	v_lshl_add_u64 v[2:3], s[14:15], 0, v[22:23]
	v_add_co_u32_e32 v4, vcc, 0x1000, v2
	s_mov_b64 s[4:5], 0
	s_nop 0
	v_addc_co_u32_e32 v5, vcc, 0, v3, vcc
	v_add_co_u32_e32 v6, vcc, 0x2000, v2
	s_nop 1
	v_addc_co_u32_e32 v7, vcc, 0, v3, vcc
	v_add_co_u32_e32 v8, vcc, 0x3000, v2
	s_nop 1
	v_addc_co_u32_e32 v9, vcc, 0, v3, vcc
	flat_load_dword v1, v[2:3]
	flat_load_dword v10, v[2:3] offset:2048
	flat_load_dword v11, v[4:5]
	flat_load_dword v12, v[4:5] offset:2048
	flat_load_dword v13, v[6:7]
	flat_load_dword v14, v[6:7] offset:2048
	flat_load_dword v15, v[8:9]
	flat_load_dword v16, v[8:9] offset:2048
	v_add_co_u32_e32 v4, vcc, 0x4000, v2
	s_nop 1
	v_addc_co_u32_e32 v5, vcc, 0, v3, vcc
	v_add_co_u32_e32 v6, vcc, 0x5000, v2
	s_nop 1
	v_addc_co_u32_e32 v7, vcc, 0, v3, vcc
	;; [unrolled: 3-line block ×4, first 2 shown]
	flat_load_dword v17, v[4:5]
	flat_load_dword v18, v[4:5] offset:2048
	flat_load_dword v19, v[6:7]
	flat_load_dword v20, v[6:7] offset:2048
	;; [unrolled: 2-line block ×3, first 2 shown]
	flat_load_dword v24, v[2:3]
	s_waitcnt vmcnt(0) lgkmcnt(0)
	ds_write2st64_b32 v22, v1, v10 offset1:8
	ds_write2st64_b32 v22, v11, v12 offset0:16 offset1:24
	ds_write2st64_b32 v22, v13, v14 offset0:32 offset1:40
	;; [unrolled: 1-line block ×6, first 2 shown]
	ds_write_b32 v22, v24 offset:28672
	s_waitcnt lgkmcnt(0)
	s_barrier
.LBB3595_2:
	s_load_dwordx4 s[8:11], s[0:1], 0x20
	s_andn2_b64 vcc, exec, s[4:5]
	v_cmp_gt_u32_e64 s[4:5], s33, v0
	s_cbranch_vccnz .LBB3595_34
; %bb.3:
                                        ; implicit-def: $vgpr2_vgpr3_vgpr4_vgpr5_vgpr6_vgpr7_vgpr8_vgpr9_vgpr10_vgpr11_vgpr12_vgpr13_vgpr14_vgpr15_vgpr16_vgpr17
	s_and_saveexec_b64 s[16:17], s[4:5]
	s_cbranch_execz .LBB3595_5
; %bb.4:
	v_mov_b32_e32 v23, 0
	v_lshl_add_u64 v[2:3], s[14:15], 0, v[22:23]
	flat_load_dword v2, v[2:3]
.LBB3595_5:
	s_or_b64 exec, exec, s[16:17]
	v_or_b32_e32 v1, 0x200, v0
	v_cmp_gt_u32_e32 vcc, s33, v1
	s_and_saveexec_b64 s[4:5], vcc
	s_cbranch_execz .LBB3595_7
; %bb.6:
	v_mov_b32_e32 v23, 0
	v_lshl_add_u64 v[18:19], s[14:15], 0, v[22:23]
	flat_load_dword v3, v[18:19] offset:2048
.LBB3595_7:
	s_or_b64 exec, exec, s[4:5]
	v_or_b32_e32 v1, 0x400, v0
	v_cmp_gt_u32_e32 vcc, s33, v1
	s_and_saveexec_b64 s[4:5], vcc
	s_cbranch_execz .LBB3595_9
; %bb.8:
	v_lshlrev_b32_e32 v18, 2, v1
	v_mov_b32_e32 v19, 0
	v_lshl_add_u64 v[18:19], s[14:15], 0, v[18:19]
	flat_load_dword v4, v[18:19]
.LBB3595_9:
	s_or_b64 exec, exec, s[4:5]
	v_or_b32_e32 v1, 0x600, v0
	v_cmp_gt_u32_e32 vcc, s33, v1
	s_and_saveexec_b64 s[4:5], vcc
	s_cbranch_execz .LBB3595_11
; %bb.10:
	v_lshlrev_b32_e32 v18, 2, v1
	v_mov_b32_e32 v19, 0
	v_lshl_add_u64 v[18:19], s[14:15], 0, v[18:19]
	flat_load_dword v5, v[18:19]
.LBB3595_11:
	;; [unrolled: 11-line block ×13, first 2 shown]
	s_or_b64 exec, exec, s[4:5]
	s_waitcnt vmcnt(0) lgkmcnt(0)
	ds_write2st64_b32 v22, v2, v3 offset1:8
	ds_write2st64_b32 v22, v4, v5 offset0:16 offset1:24
	ds_write2st64_b32 v22, v6, v7 offset0:32 offset1:40
	;; [unrolled: 1-line block ×6, first 2 shown]
	ds_write_b32 v22, v16 offset:28672
	s_waitcnt lgkmcnt(0)
	s_barrier
.LBB3595_34:
	v_mul_u32_u24_e32 v21, 15, v0
	v_lshlrev_b32_e32 v1, 2, v21
	s_waitcnt lgkmcnt(0)
	ds_read2_b32 v[38:39], v1 offset1:1
	ds_read2_b32 v[36:37], v1 offset0:2 offset1:3
	ds_read2_b32 v[34:35], v1 offset0:4 offset1:5
	;; [unrolled: 1-line block ×6, first 2 shown]
	ds_read_b32 v1, v1 offset:56
	s_add_u32 s3, s8, s6
	s_addc_u32 s5, s9, s7
	s_add_u32 s6, s10, s6
	s_addc_u32 s7, s11, s7
	;; [unrolled: 2-line block ×4, first 2 shown]
	s_mov_b64 s[8:9], -1
	s_and_b64 vcc, exec, s[34:35]
	s_waitcnt lgkmcnt(0)
	s_barrier
	s_cbranch_vccz .LBB3595_36
; %bb.35:
	v_mov_b32_e32 v23, 0
	v_lshl_add_u64 v[2:3], s[4:5], 0, v[22:23]
	v_add_co_u32_e32 v6, vcc, 0x1000, v2
	v_lshl_add_u64 v[4:5], s[6:7], 0, v[22:23]
	s_nop 0
	v_addc_co_u32_e32 v7, vcc, 0, v3, vcc
	v_add_co_u32_e32 v8, vcc, 0x1000, v4
	global_load_dword v10, v22, s[4:5]
	global_load_dword v11, v22, s[6:7] offset:2048
	global_load_dword v12, v22, s[6:7]
	global_load_dword v13, v22, s[4:5] offset:2048
	v_addc_co_u32_e32 v9, vcc, 0, v5, vcc
	global_load_dword v14, v[6:7], off
	global_load_dword v15, v[6:7], off offset:2048
	global_load_dword v16, v[8:9], off
	global_load_dword v17, v[8:9], off offset:2048
	v_add_co_u32_e32 v6, vcc, 0x2000, v2
	s_mov_b64 s[8:9], 0
	s_nop 0
	v_addc_co_u32_e32 v7, vcc, 0, v3, vcc
	v_add_co_u32_e32 v8, vcc, 0x2000, v4
	s_nop 1
	v_addc_co_u32_e32 v9, vcc, 0, v5, vcc
	global_load_dword v18, v[6:7], off
	global_load_dword v19, v[6:7], off offset:2048
	global_load_dword v20, v[8:9], off
	global_load_dword v23, v[8:9], off offset:2048
	v_add_co_u32_e32 v6, vcc, 0x3000, v2
	s_nop 1
	v_addc_co_u32_e32 v7, vcc, 0, v3, vcc
	v_add_co_u32_e32 v8, vcc, 0x3000, v4
	s_nop 1
	v_addc_co_u32_e32 v9, vcc, 0, v5, vcc
	global_load_dword v24, v[6:7], off
	global_load_dword v25, v[6:7], off offset:2048
	global_load_dword v40, v[8:9], off
	global_load_dword v41, v[8:9], off offset:2048
	v_add_co_u32_e32 v6, vcc, 0x4000, v2
	;; [unrolled: 10-line block ×4, first 2 shown]
	s_nop 1
	v_addc_co_u32_e32 v7, vcc, 0, v3, vcc
	v_add_co_u32_e32 v8, vcc, 0x6000, v4
	s_nop 1
	v_addc_co_u32_e32 v9, vcc, 0, v5, vcc
	v_add_co_u32_e32 v2, vcc, 0x7000, v2
	global_load_dword v50, v[6:7], off
	global_load_dword v51, v[6:7], off offset:2048
	global_load_dword v52, v[8:9], off
	global_load_dword v53, v[8:9], off offset:2048
	v_addc_co_u32_e32 v3, vcc, 0, v3, vcc
	global_load_dword v6, v[2:3], off
	v_add_co_u32_e32 v2, vcc, 0x7000, v4
	s_nop 1
	v_addc_co_u32_e32 v3, vcc, 0, v5, vcc
	global_load_dword v2, v[2:3], off
	s_waitcnt vmcnt(27)
	v_cmp_le_i32_e32 vcc, v10, v12
	s_nop 1
	v_cndmask_b32_e64 v3, 0, 1, vcc
	s_waitcnt vmcnt(26)
	v_cmp_le_i32_e32 vcc, v13, v11
	s_nop 1
	v_cndmask_b32_e64 v4, 0, 1, vcc
	;; [unrolled: 4-line block ×15, first 2 shown]
	ds_write_b8 v0, v3
	ds_write_b8 v0, v4 offset:512
	ds_write_b8 v0, v5 offset:1024
	;; [unrolled: 1-line block ×14, first 2 shown]
	s_waitcnt lgkmcnt(0)
	s_barrier
.LBB3595_36:
	s_load_dwordx2 s[36:37], s[0:1], 0x78
	s_andn2_b64 vcc, exec, s[8:9]
	s_cbranch_vccnz .LBB3595_68
; %bb.37:
	v_cmp_gt_u32_e32 vcc, s33, v0
	v_mov_b32_e32 v2, 0
	v_mov_b32_e32 v3, 0
	s_and_saveexec_b64 s[8:9], vcc
	s_cbranch_execz .LBB3595_39
; %bb.38:
	global_load_dword v3, v22, s[4:5]
	global_load_dword v4, v22, s[6:7]
	s_waitcnt vmcnt(0)
	v_cmp_le_i32_e32 vcc, v3, v4
	s_nop 1
	v_cndmask_b32_e64 v3, 0, 1, vcc
.LBB3595_39:
	s_or_b64 exec, exec, s[8:9]
	v_or_b32_e32 v4, 0x200, v0
	v_cmp_gt_u32_e32 vcc, s33, v4
	s_and_saveexec_b64 s[8:9], vcc
	s_cbranch_execz .LBB3595_41
; %bb.40:
	global_load_dword v2, v22, s[4:5] offset:2048
	global_load_dword v4, v22, s[6:7] offset:2048
	s_waitcnt vmcnt(0)
	v_cmp_le_i32_e32 vcc, v2, v4
	s_nop 1
	v_cndmask_b32_e64 v2, 0, 1, vcc
.LBB3595_41:
	s_or_b64 exec, exec, s[8:9]
	v_or_b32_e32 v6, 0x400, v0
	v_cmp_gt_u32_e32 vcc, s33, v6
	v_mov_b32_e32 v4, 0
	v_mov_b32_e32 v5, 0
	s_and_saveexec_b64 s[8:9], vcc
	s_cbranch_execz .LBB3595_43
; %bb.42:
	v_lshlrev_b32_e32 v5, 2, v6
	global_load_dword v6, v5, s[4:5]
	global_load_dword v7, v5, s[6:7]
	s_waitcnt vmcnt(0)
	v_cmp_le_i32_e32 vcc, v6, v7
	s_nop 1
	v_cndmask_b32_e64 v5, 0, 1, vcc
.LBB3595_43:
	s_or_b64 exec, exec, s[8:9]
	v_or_b32_e32 v6, 0x600, v0
	v_cmp_gt_u32_e32 vcc, s33, v6
	s_and_saveexec_b64 s[8:9], vcc
	s_cbranch_execz .LBB3595_45
; %bb.44:
	v_lshlrev_b32_e32 v4, 2, v6
	global_load_dword v6, v4, s[4:5]
	global_load_dword v7, v4, s[6:7]
	s_waitcnt vmcnt(0)
	v_cmp_le_i32_e32 vcc, v6, v7
	s_nop 1
	v_cndmask_b32_e64 v4, 0, 1, vcc
.LBB3595_45:
	s_or_b64 exec, exec, s[8:9]
	v_or_b32_e32 v8, 0x800, v0
	v_cmp_gt_u32_e32 vcc, s33, v8
	v_mov_b32_e32 v6, 0
	v_mov_b32_e32 v7, 0
	s_and_saveexec_b64 s[8:9], vcc
	s_cbranch_execz .LBB3595_47
; %bb.46:
	v_lshlrev_b32_e32 v7, 2, v8
	global_load_dword v8, v7, s[4:5]
	global_load_dword v9, v7, s[6:7]
	s_waitcnt vmcnt(0)
	v_cmp_le_i32_e32 vcc, v8, v9
	s_nop 1
	v_cndmask_b32_e64 v7, 0, 1, vcc
.LBB3595_47:
	s_or_b64 exec, exec, s[8:9]
	v_or_b32_e32 v8, 0xa00, v0
	v_cmp_gt_u32_e32 vcc, s33, v8
	s_and_saveexec_b64 s[8:9], vcc
	s_cbranch_execz .LBB3595_49
; %bb.48:
	v_lshlrev_b32_e32 v6, 2, v8
	global_load_dword v8, v6, s[4:5]
	global_load_dword v9, v6, s[6:7]
	s_waitcnt vmcnt(0)
	v_cmp_le_i32_e32 vcc, v8, v9
	s_nop 1
	v_cndmask_b32_e64 v6, 0, 1, vcc
.LBB3595_49:
	;; [unrolled: 30-line block ×6, first 2 shown]
	s_or_b64 exec, exec, s[8:9]
	v_or_b32_e32 v17, 0x1c00, v0
	v_cmp_gt_u32_e32 vcc, s33, v17
	v_mov_b32_e32 v16, 0
	s_and_saveexec_b64 s[8:9], vcc
	s_cbranch_execz .LBB3595_67
; %bb.66:
	v_lshlrev_b32_e32 v16, 2, v17
	global_load_dword v17, v16, s[4:5]
	global_load_dword v18, v16, s[6:7]
	s_waitcnt vmcnt(0)
	v_cmp_le_i32_e32 vcc, v17, v18
	s_nop 1
	v_cndmask_b32_e64 v16, 0, 1, vcc
.LBB3595_67:
	s_or_b64 exec, exec, s[8:9]
	ds_write_b8 v0, v3
	ds_write_b8 v0, v2 offset:512
	ds_write_b8 v0, v5 offset:1024
	;; [unrolled: 1-line block ×14, first 2 shown]
	s_waitcnt lgkmcnt(0)
	s_barrier
.LBB3595_68:
	s_waitcnt lgkmcnt(0)
	ds_read_b96 v[18:20], v21
	ds_read_u8 v2, v21 offset:12
	ds_read_u8 v3, v21 offset:13
	;; [unrolled: 1-line block ×3, first 2 shown]
	s_cmp_lg_u32 s2, 0
	v_lshrrev_b32_e32 v56, 6, v0
	s_waitcnt lgkmcnt(2)
	v_and_b32_e32 v42, 1, v2
	v_and_b32_e32 v51, 0xff, v18
	v_bfe_u32 v53, v18, 8, 8
	v_bfe_u32 v54, v18, 16, 8
	v_lshrrev_b32_e32 v44, 24, v18
	v_and_b32_e32 v48, 0xff, v19
	v_add3_u32 v2, v53, v51, v54
	v_bfe_u32 v49, v19, 8, 8
	v_bfe_u32 v50, v19, 16, 8
	v_add3_u32 v2, v2, v44, v48
	v_lshrrev_b32_e32 v43, 24, v19
	v_and_b32_e32 v45, 0xff, v20
	v_add3_u32 v2, v2, v49, v50
	v_bfe_u32 v46, v20, 8, 8
	v_bfe_u32 v47, v20, 16, 8
	v_add3_u32 v2, v2, v43, v45
	v_lshrrev_b32_e32 v41, 24, v20
	v_add3_u32 v2, v2, v46, v47
	s_waitcnt lgkmcnt(1)
	v_and_b32_e32 v40, 1, v3
	s_waitcnt lgkmcnt(0)
	v_and_b32_e32 v23, 1, v4
	v_add3_u32 v2, v2, v41, v42
	v_add3_u32 v57, v2, v40, v23
	v_mbcnt_lo_u32_b32 v2, -1, 0
	v_mbcnt_hi_u32_b32 v55, -1, v2
	v_and_b32_e32 v2, 15, v55
	v_cmp_eq_u32_e64 s[14:15], 0, v2
	v_cmp_lt_u32_e64 s[12:13], 1, v2
	v_cmp_lt_u32_e64 s[10:11], 3, v2
	;; [unrolled: 1-line block ×3, first 2 shown]
	v_and_b32_e32 v2, 16, v55
	v_cmp_eq_u32_e64 s[6:7], 0, v2
	v_or_b32_e32 v2, 63, v0
	v_cmp_lt_u32_e64 s[18:19], 31, v55
	v_cmp_eq_u32_e64 s[4:5], v2, v0
	s_barrier
	s_cbranch_scc0 .LBB3595_95
; %bb.69:
	v_mov_b32_dpp v2, v57 row_shr:1 row_mask:0xf bank_mask:0xf
	v_cndmask_b32_e64 v2, v2, 0, s[14:15]
	v_add_u32_e32 v2, v2, v57
	s_nop 1
	v_mov_b32_dpp v3, v2 row_shr:2 row_mask:0xf bank_mask:0xf
	v_cndmask_b32_e64 v3, 0, v3, s[12:13]
	v_add_u32_e32 v2, v2, v3
	s_nop 1
	;; [unrolled: 4-line block ×4, first 2 shown]
	v_mov_b32_dpp v3, v2 row_bcast:15 row_mask:0xf bank_mask:0xf
	v_cndmask_b32_e64 v3, v3, 0, s[6:7]
	v_add_u32_e32 v2, v2, v3
	s_nop 1
	v_mov_b32_dpp v3, v2 row_bcast:31 row_mask:0xf bank_mask:0xf
	v_cndmask_b32_e64 v3, 0, v3, s[18:19]
	v_add_u32_e32 v2, v2, v3
	s_and_saveexec_b64 s[16:17], s[4:5]
	s_cbranch_execz .LBB3595_71
; %bb.70:
	v_lshlrev_b32_e32 v3, 2, v56
	ds_write_b32 v3, v2
.LBB3595_71:
	s_or_b64 exec, exec, s[16:17]
	v_cmp_gt_u32_e32 vcc, 8, v0
	s_waitcnt lgkmcnt(0)
	s_barrier
	s_and_saveexec_b64 s[16:17], vcc
	s_cbranch_execz .LBB3595_73
; %bb.72:
	ds_read_b32 v3, v22
	v_and_b32_e32 v4, 7, v55
	v_cmp_ne_u32_e32 vcc, 0, v4
	s_waitcnt lgkmcnt(0)
	v_mov_b32_dpp v5, v3 row_shr:1 row_mask:0xf bank_mask:0xf
	v_cndmask_b32_e32 v5, 0, v5, vcc
	v_add_u32_e32 v3, v5, v3
	v_cmp_lt_u32_e32 vcc, 1, v4
	s_nop 0
	v_mov_b32_dpp v5, v3 row_shr:2 row_mask:0xf bank_mask:0xf
	v_cndmask_b32_e32 v5, 0, v5, vcc
	v_add_u32_e32 v3, v3, v5
	v_cmp_lt_u32_e32 vcc, 3, v4
	s_nop 0
	v_mov_b32_dpp v5, v3 row_shr:4 row_mask:0xf bank_mask:0xf
	v_cndmask_b32_e32 v4, 0, v5, vcc
	v_add_u32_e32 v3, v3, v4
	ds_write_b32 v22, v3
.LBB3595_73:
	s_or_b64 exec, exec, s[16:17]
	v_cmp_gt_u32_e32 vcc, 64, v0
	v_cmp_lt_u32_e64 s[16:17], 63, v0
	s_waitcnt lgkmcnt(0)
	s_barrier
	s_waitcnt lgkmcnt(0)
                                        ; implicit-def: $vgpr12
	s_and_saveexec_b64 s[38:39], s[16:17]
	s_cbranch_execz .LBB3595_75
; %bb.74:
	v_lshl_add_u32 v3, v56, 2, -4
	ds_read_b32 v12, v3
	s_waitcnt lgkmcnt(0)
	v_add_u32_e32 v2, v12, v2
.LBB3595_75:
	s_or_b64 exec, exec, s[38:39]
	v_add_u32_e32 v3, -1, v55
	v_and_b32_e32 v4, 64, v55
	v_cmp_lt_i32_e64 s[16:17], v3, v4
	s_nop 1
	v_cndmask_b32_e64 v3, v3, v55, s[16:17]
	v_lshlrev_b32_e32 v3, 2, v3
	ds_bpermute_b32 v13, v3, v2
	v_cmp_eq_u32_e64 s[16:17], 0, v55
	s_and_saveexec_b64 s[38:39], vcc
	s_cbranch_execz .LBB3595_94
; %bb.76:
	v_mov_b32_e32 v9, 0
	ds_read_b32 v2, v9 offset:28
	s_and_saveexec_b64 s[40:41], s[16:17]
	s_cbranch_execz .LBB3595_78
; %bb.77:
	s_add_i32 s42, s2, 64
	s_mov_b32 s43, 0
	s_lshl_b64 s[42:43], s[42:43], 3
	s_add_u32 s42, s36, s42
	v_mov_b32_e32 v3, 1
	s_addc_u32 s43, s37, s43
	s_waitcnt lgkmcnt(0)
	global_store_dwordx2 v9, v[2:3], s[42:43] sc1
.LBB3595_78:
	s_or_b64 exec, exec, s[40:41]
	v_xad_u32 v4, v55, -1, s2
	v_add_u32_e32 v8, 64, v4
	v_lshl_add_u64 v[10:11], v[8:9], 3, s[36:37]
	global_load_dwordx2 v[6:7], v[10:11], off sc1
	s_waitcnt vmcnt(0)
	v_cmp_eq_u16_sdwa s[42:43], v7, v9 src0_sel:BYTE_0 src1_sel:DWORD
	s_and_saveexec_b64 s[40:41], s[42:43]
	s_cbranch_execz .LBB3595_82
; %bb.79:
	s_mov_b64 s[42:43], 0
	v_mov_b32_e32 v3, 0
.LBB3595_80:                            ; =>This Inner Loop Header: Depth=1
	global_load_dwordx2 v[6:7], v[10:11], off sc1
	s_waitcnt vmcnt(0)
	v_cmp_ne_u16_sdwa s[44:45], v7, v3 src0_sel:BYTE_0 src1_sel:DWORD
	s_or_b64 s[42:43], s[44:45], s[42:43]
	s_andn2_b64 exec, exec, s[42:43]
	s_cbranch_execnz .LBB3595_80
; %bb.81:
	s_or_b64 exec, exec, s[42:43]
.LBB3595_82:
	s_or_b64 exec, exec, s[40:41]
	v_and_b32_e32 v15, 63, v55
	v_mov_b32_e32 v14, 2
	v_cmp_ne_u32_e32 vcc, 63, v15
	v_cmp_eq_u16_sdwa s[40:41], v7, v14 src0_sel:BYTE_0 src1_sel:DWORD
	v_lshlrev_b64 v[8:9], v55, -1
	v_addc_co_u32_e32 v10, vcc, 0, v55, vcc
	v_and_b32_e32 v3, s41, v9
	v_lshlrev_b32_e32 v16, 2, v10
	v_or_b32_e32 v3, 0x80000000, v3
	ds_bpermute_b32 v10, v16, v6
	v_and_b32_e32 v5, s40, v8
	v_ffbl_b32_e32 v3, v3
	v_add_u32_e32 v3, 32, v3
	v_ffbl_b32_e32 v5, v5
	v_min_u32_e32 v3, v5, v3
	v_cmp_lt_u32_e32 vcc, v15, v3
	v_add_u32_e32 v24, 2, v15
	v_add_u32_e32 v52, 4, v15
	s_waitcnt lgkmcnt(0)
	v_cndmask_b32_e32 v5, 0, v10, vcc
	v_cmp_gt_u32_e32 vcc, 62, v15
	v_add_u32_e32 v5, v5, v6
	v_add_u32_e32 v59, 8, v15
	v_cndmask_b32_e64 v6, 0, 1, vcc
	v_lshlrev_b32_e32 v6, 1, v6
	v_add_lshl_u32 v17, v6, v55, 2
	ds_bpermute_b32 v6, v17, v5
	v_cmp_le_u32_e32 vcc, v24, v3
	v_add_u32_e32 v61, 16, v15
	v_add_u32_e32 v63, 32, v15
	s_waitcnt lgkmcnt(0)
	v_cndmask_b32_e32 v6, 0, v6, vcc
	v_cmp_gt_u32_e32 vcc, 60, v15
	v_add_u32_e32 v5, v5, v6
	s_nop 0
	v_cndmask_b32_e64 v6, 0, 1, vcc
	v_lshlrev_b32_e32 v6, 2, v6
	v_add_lshl_u32 v25, v6, v55, 2
	ds_bpermute_b32 v6, v25, v5
	v_cmp_le_u32_e32 vcc, v52, v3
	s_waitcnt lgkmcnt(0)
	s_nop 0
	v_cndmask_b32_e32 v6, 0, v6, vcc
	v_cmp_gt_u32_e32 vcc, 56, v15
	v_add_u32_e32 v5, v5, v6
	s_nop 0
	v_cndmask_b32_e64 v6, 0, 1, vcc
	v_lshlrev_b32_e32 v6, 3, v6
	v_add_lshl_u32 v58, v6, v55, 2
	ds_bpermute_b32 v6, v58, v5
	v_cmp_le_u32_e32 vcc, v59, v3
	s_waitcnt lgkmcnt(0)
	s_nop 0
	;; [unrolled: 11-line block ×4, first 2 shown]
	v_cndmask_b32_e32 v3, 0, v6, vcc
	v_add_u32_e32 v6, v5, v3
	v_mov_b32_e32 v5, 0
	s_branch .LBB3595_84
.LBB3595_83:                            ;   in Loop: Header=BB3595_84 Depth=1
	s_or_b64 exec, exec, s[40:41]
	v_cmp_eq_u16_sdwa s[40:41], v7, v14 src0_sel:BYTE_0 src1_sel:DWORD
	ds_bpermute_b32 v64, v16, v6
	v_subrev_u32_e32 v4, 64, v4
	v_and_b32_e32 v10, s41, v9
	v_or_b32_e32 v10, 0x80000000, v10
	v_and_b32_e32 v11, s40, v8
	v_ffbl_b32_e32 v10, v10
	v_add_u32_e32 v10, 32, v10
	v_ffbl_b32_e32 v11, v11
	v_min_u32_e32 v10, v11, v10
	v_cmp_lt_u32_e32 vcc, v15, v10
	s_waitcnt lgkmcnt(0)
	s_nop 0
	v_cndmask_b32_e32 v11, 0, v64, vcc
	v_add_u32_e32 v6, v11, v6
	ds_bpermute_b32 v11, v17, v6
	v_cmp_le_u32_e32 vcc, v24, v10
	s_waitcnt lgkmcnt(0)
	s_nop 0
	v_cndmask_b32_e32 v11, 0, v11, vcc
	v_add_u32_e32 v6, v6, v11
	ds_bpermute_b32 v11, v25, v6
	v_cmp_le_u32_e32 vcc, v52, v10
	;; [unrolled: 6-line block ×5, first 2 shown]
	s_waitcnt lgkmcnt(0)
	s_nop 0
	v_cndmask_b32_e32 v10, 0, v11, vcc
	v_add3_u32 v6, v10, v3, v6
.LBB3595_84:                            ; =>This Loop Header: Depth=1
                                        ;     Child Loop BB3595_87 Depth 2
	v_cmp_ne_u16_sdwa s[40:41], v7, v14 src0_sel:BYTE_0 src1_sel:DWORD
	s_nop 1
	v_cndmask_b32_e64 v3, 0, 1, s[40:41]
	;;#ASMSTART
	;;#ASMEND
	s_nop 0
	v_cmp_ne_u32_e32 vcc, 0, v3
	s_cmp_lg_u64 vcc, exec
	v_mov_b32_e32 v3, v6
	s_cbranch_scc1 .LBB3595_89
; %bb.85:                               ;   in Loop: Header=BB3595_84 Depth=1
	v_lshl_add_u64 v[10:11], v[4:5], 3, s[36:37]
	global_load_dwordx2 v[6:7], v[10:11], off sc1
	s_waitcnt vmcnt(0)
	v_cmp_eq_u16_sdwa s[42:43], v7, v5 src0_sel:BYTE_0 src1_sel:DWORD
	s_and_saveexec_b64 s[40:41], s[42:43]
	s_cbranch_execz .LBB3595_83
; %bb.86:                               ;   in Loop: Header=BB3595_84 Depth=1
	s_mov_b64 s[42:43], 0
.LBB3595_87:                            ;   Parent Loop BB3595_84 Depth=1
                                        ; =>  This Inner Loop Header: Depth=2
	global_load_dwordx2 v[6:7], v[10:11], off sc1
	s_waitcnt vmcnt(0)
	v_cmp_ne_u16_sdwa s[44:45], v7, v5 src0_sel:BYTE_0 src1_sel:DWORD
	s_or_b64 s[42:43], s[44:45], s[42:43]
	s_andn2_b64 exec, exec, s[42:43]
	s_cbranch_execnz .LBB3595_87
; %bb.88:                               ;   in Loop: Header=BB3595_84 Depth=1
	s_or_b64 exec, exec, s[42:43]
	s_branch .LBB3595_83
.LBB3595_89:                            ;   in Loop: Header=BB3595_84 Depth=1
                                        ; implicit-def: $vgpr6
                                        ; implicit-def: $vgpr7
	s_cbranch_execz .LBB3595_84
; %bb.90:
	s_and_saveexec_b64 s[40:41], s[16:17]
	s_cbranch_execz .LBB3595_92
; %bb.91:
	s_add_i32 s2, s2, 64
	s_mov_b32 s3, 0
	s_lshl_b64 s[2:3], s[2:3], 3
	s_add_u32 s2, s36, s2
	v_add_u32_e32 v4, v3, v2
	v_mov_b32_e32 v5, 2
	s_addc_u32 s3, s37, s3
	v_mov_b32_e32 v6, 0
	global_store_dwordx2 v6, v[4:5], s[2:3] sc1
	ds_write_b64 v6, v[2:3] offset:30720
.LBB3595_92:
	s_or_b64 exec, exec, s[40:41]
	v_cmp_eq_u32_e32 vcc, 0, v0
	s_and_b64 exec, exec, vcc
	s_cbranch_execz .LBB3595_94
; %bb.93:
	v_mov_b32_e32 v2, 0
	ds_write_b32 v2, v3 offset:28
.LBB3595_94:
	s_or_b64 exec, exec, s[38:39]
	v_mov_b32_e32 v14, 0
	s_waitcnt lgkmcnt(0)
	s_barrier
	ds_read_b32 v2, v14 offset:28
	v_cndmask_b32_e64 v3, v13, v12, s[16:17]
	v_cmp_ne_u32_e32 vcc, 0, v0
	s_waitcnt lgkmcnt(0)
	s_barrier
	v_cndmask_b32_e32 v3, 0, v3, vcc
	v_add_u32_e32 v2, v2, v3
	v_add_u32_e32 v3, v2, v51
	v_add_u32_e32 v4, v3, v53
	v_add_u32_e32 v5, v4, v54
	v_add_u32_e32 v6, v5, v44
	v_add_u32_e32 v7, v6, v48
	v_add_u32_e32 v8, v7, v49
	v_add_u32_e32 v9, v8, v50
	v_add_u32_e32 v10, v9, v43
	v_add_u32_e32 v11, v10, v45
	ds_read_b64 v[24:25], v14 offset:30720
	v_add_u32_e32 v12, v11, v46
	v_add_u32_e32 v13, v12, v47
	;; [unrolled: 1-line block ×5, first 2 shown]
	s_waitcnt lgkmcnt(0)
	v_mov_b32_e32 v52, v25
	s_load_dwordx2 s[2:3], s[0:1], 0x38
	s_branch .LBB3595_105
.LBB3595_95:
                                        ; implicit-def: $vgpr52
                                        ; implicit-def: $vgpr24
                                        ; implicit-def: $vgpr2_vgpr3_vgpr4_vgpr5_vgpr6_vgpr7_vgpr8_vgpr9_vgpr10_vgpr11_vgpr12_vgpr13_vgpr14_vgpr15_vgpr16_vgpr17
	s_load_dwordx2 s[2:3], s[0:1], 0x38
	s_cbranch_execz .LBB3595_105
; %bb.96:
	v_mov_b32_dpp v2, v57 row_shr:1 row_mask:0xf bank_mask:0xf
	v_cndmask_b32_e64 v2, v2, 0, s[14:15]
	v_add_u32_e32 v2, v2, v57
	s_nop 1
	v_mov_b32_dpp v3, v2 row_shr:2 row_mask:0xf bank_mask:0xf
	v_cndmask_b32_e64 v3, 0, v3, s[12:13]
	v_add_u32_e32 v2, v2, v3
	s_nop 1
	;; [unrolled: 4-line block ×4, first 2 shown]
	v_mov_b32_dpp v3, v2 row_bcast:15 row_mask:0xf bank_mask:0xf
	v_cndmask_b32_e64 v3, v3, 0, s[6:7]
	v_add_u32_e32 v2, v2, v3
	s_nop 1
	v_mov_b32_dpp v3, v2 row_bcast:31 row_mask:0xf bank_mask:0xf
	v_cndmask_b32_e64 v3, 0, v3, s[18:19]
	v_add_u32_e32 v2, v2, v3
	s_and_saveexec_b64 s[0:1], s[4:5]
	s_cbranch_execz .LBB3595_98
; %bb.97:
	v_lshlrev_b32_e32 v3, 2, v56
	ds_write_b32 v3, v2
.LBB3595_98:
	s_or_b64 exec, exec, s[0:1]
	v_cmp_gt_u32_e32 vcc, 8, v0
	s_waitcnt lgkmcnt(0)
	s_barrier
	s_and_saveexec_b64 s[0:1], vcc
	s_cbranch_execz .LBB3595_100
; %bb.99:
	v_mad_i32_i24 v3, v0, -11, v21
	ds_read_b32 v4, v3
	v_and_b32_e32 v5, 7, v55
	v_cmp_ne_u32_e32 vcc, 0, v5
	s_waitcnt lgkmcnt(0)
	v_mov_b32_dpp v6, v4 row_shr:1 row_mask:0xf bank_mask:0xf
	v_cndmask_b32_e32 v6, 0, v6, vcc
	v_add_u32_e32 v4, v6, v4
	v_cmp_lt_u32_e32 vcc, 1, v5
	s_nop 0
	v_mov_b32_dpp v6, v4 row_shr:2 row_mask:0xf bank_mask:0xf
	v_cndmask_b32_e32 v6, 0, v6, vcc
	v_add_u32_e32 v4, v4, v6
	v_cmp_lt_u32_e32 vcc, 3, v5
	s_nop 0
	v_mov_b32_dpp v6, v4 row_shr:4 row_mask:0xf bank_mask:0xf
	v_cndmask_b32_e32 v5, 0, v6, vcc
	v_add_u32_e32 v4, v4, v5
	ds_write_b32 v3, v4
.LBB3595_100:
	s_or_b64 exec, exec, s[0:1]
	v_cmp_lt_u32_e32 vcc, 63, v0
	v_mov_b32_e32 v4, 0
	v_mov_b32_e32 v3, 0
	s_waitcnt lgkmcnt(0)
	s_barrier
	s_and_saveexec_b64 s[0:1], vcc
	s_cbranch_execz .LBB3595_102
; %bb.101:
	v_lshl_add_u32 v3, v56, 2, -4
	ds_read_b32 v3, v3
.LBB3595_102:
	s_or_b64 exec, exec, s[0:1]
	v_add_u32_e32 v5, -1, v55
	v_and_b32_e32 v6, 64, v55
	v_cmp_lt_i32_e32 vcc, v5, v6
	s_waitcnt lgkmcnt(0)
	v_add_u32_e32 v2, v3, v2
	ds_read_b32 v24, v4 offset:28
	v_cndmask_b32_e32 v5, v5, v55, vcc
	v_lshlrev_b32_e32 v5, 2, v5
	ds_bpermute_b32 v2, v5, v2
	v_cmp_eq_u32_e32 vcc, 0, v0
	s_and_saveexec_b64 s[0:1], vcc
	s_cbranch_execz .LBB3595_104
; %bb.103:
	v_mov_b32_e32 v4, 0
	v_mov_b32_e32 v25, 2
	s_waitcnt lgkmcnt(1)
	global_store_dwordx2 v4, v[24:25], s[36:37] offset:512 sc1
.LBB3595_104:
	s_or_b64 exec, exec, s[0:1]
	v_cmp_eq_u32_e64 s[0:1], 0, v55
	v_mov_b32_e32 v52, 0
	s_waitcnt lgkmcnt(0)
	v_cndmask_b32_e64 v2, v2, v3, s[0:1]
	v_cndmask_b32_e64 v2, v2, 0, vcc
	v_add_u32_e32 v3, v2, v51
	v_add_u32_e32 v4, v3, v53
	;; [unrolled: 1-line block ×14, first 2 shown]
	s_barrier
.LBB3595_105:
	v_add_u32_e32 v21, v24, v21
	v_sub_u32_e32 v2, v2, v52
	v_and_b32_e32 v47, 1, v18
	v_sub_u32_e32 v46, v21, v2
	v_cmp_eq_u32_e32 vcc, 1, v47
	v_lshrrev_b32_e32 v45, 8, v18
	v_lshrrev_b32_e32 v25, 8, v19
	v_cndmask_b32_e32 v2, v46, v2, vcc
	v_lshlrev_b32_e32 v2, 2, v2
	ds_write_b32 v2, v38
	v_sub_u32_e32 v2, v3, v52
	v_sub_u32_e32 v3, v21, v2
	v_and_b32_e32 v38, 1, v45
	v_add_u32_e32 v3, 1, v3
	v_cmp_eq_u32_e32 vcc, 1, v38
	v_lshrrev_b32_e32 v17, 8, v20
	s_add_u32 s0, s26, s24
	v_cndmask_b32_e32 v2, v3, v2, vcc
	v_lshlrev_b32_e32 v2, 2, v2
	ds_write_b32 v2, v39
	v_sub_u32_e32 v2, v4, v52
	v_mov_b32_e32 v4, 1
	v_sub_u32_e32 v3, v21, v2
	v_and_b32_sdwa v18, v4, v18 dst_sel:DWORD dst_unused:UNUSED_PAD src0_sel:DWORD src1_sel:WORD_1
	v_add_u32_e32 v3, 2, v3
	v_cmp_eq_u32_e32 vcc, 1, v18
	s_addc_u32 s1, s27, 0
	s_sub_u32 s0, s28, s0
	v_cndmask_b32_e32 v2, v3, v2, vcc
	v_lshlrev_b32_e32 v2, 2, v2
	ds_write_b32 v2, v36
	v_sub_u32_e32 v2, v5, v52
	v_sub_u32_e32 v3, v21, v2
	v_and_b32_e32 v5, 1, v44
	v_add_u32_e32 v3, 3, v3
	v_cmp_eq_u32_e32 vcc, 1, v5
	v_and_b32_e32 v5, 1, v19
	s_subb_u32 s1, s29, s1
	v_cndmask_b32_e32 v2, v3, v2, vcc
	v_lshlrev_b32_e32 v2, 2, v2
	ds_write_b32 v2, v37
	v_sub_u32_e32 v2, v6, v52
	v_sub_u32_e32 v3, v21, v2
	v_add_u32_e32 v3, 4, v3
	v_cmp_eq_u32_e32 vcc, 1, v5
	v_and_b32_e32 v5, 1, v25
	v_or_b32_e32 v50, 0x200, v0
	v_cndmask_b32_e32 v2, v3, v2, vcc
	v_lshlrev_b32_e32 v2, 2, v2
	ds_write_b32 v2, v34
	v_sub_u32_e32 v2, v7, v52
	v_sub_u32_e32 v3, v21, v2
	v_add_u32_e32 v3, 5, v3
	v_cmp_eq_u32_e32 vcc, 1, v5
	v_and_b32_sdwa v5, v4, v19 dst_sel:DWORD dst_unused:UNUSED_PAD src0_sel:DWORD src1_sel:WORD_1
	v_and_b32_sdwa v4, v4, v20 dst_sel:DWORD dst_unused:UNUSED_PAD src0_sel:DWORD src1_sel:WORD_1
	v_cndmask_b32_e32 v2, v3, v2, vcc
	v_lshlrev_b32_e32 v2, 2, v2
	ds_write_b32 v2, v35
	v_sub_u32_e32 v2, v8, v52
	v_sub_u32_e32 v3, v21, v2
	v_add_u32_e32 v3, 6, v3
	v_cmp_eq_u32_e32 vcc, 1, v5
	v_and_b32_e32 v5, 1, v43
	v_or_b32_e32 v46, 0x400, v0
	v_cndmask_b32_e32 v2, v3, v2, vcc
	v_lshlrev_b32_e32 v2, 2, v2
	ds_write_b32 v2, v32
	v_sub_u32_e32 v2, v9, v52
	v_sub_u32_e32 v3, v21, v2
	v_add_u32_e32 v3, 7, v3
	v_cmp_eq_u32_e32 vcc, 1, v5
	v_and_b32_e32 v5, 1, v20
	v_or_b32_e32 v44, 0x600, v0
	;; [unrolled: 9-line block ×3, first 2 shown]
	v_cndmask_b32_e32 v2, v3, v2, vcc
	v_lshlrev_b32_e32 v2, 2, v2
	ds_write_b32 v2, v30
	v_sub_u32_e32 v2, v11, v52
	v_sub_u32_e32 v3, v21, v2
	v_add_u32_e32 v3, 9, v3
	v_cmp_eq_u32_e32 vcc, 1, v5
	v_or_b32_e32 v34, 0xc00, v0
	v_or_b32_e32 v32, 0xe00, v0
	v_cndmask_b32_e32 v2, v3, v2, vcc
	v_lshlrev_b32_e32 v2, 2, v2
	ds_write_b32 v2, v31
	v_sub_u32_e32 v2, v12, v52
	v_sub_u32_e32 v3, v21, v2
	v_add_u32_e32 v3, 10, v3
	v_cmp_eq_u32_e32 vcc, 1, v4
	v_and_b32_e32 v4, 1, v41
	v_or_b32_e32 v18, 0x1400, v0
	v_cndmask_b32_e32 v2, v3, v2, vcc
	v_lshlrev_b32_e32 v2, 2, v2
	ds_write_b32 v2, v28
	v_sub_u32_e32 v2, v13, v52
	v_sub_u32_e32 v3, v21, v2
	v_add_u32_e32 v3, 11, v3
	v_cmp_eq_u32_e32 vcc, 1, v4
	v_or_b32_e32 v28, 0x1000, v0
	v_or_b32_e32 v12, 0x1800, v0
	v_cndmask_b32_e32 v2, v3, v2, vcc
	v_lshlrev_b32_e32 v2, 2, v2
	ds_write_b32 v2, v29
	v_sub_u32_e32 v2, v14, v52
	v_sub_u32_e32 v3, v21, v2
	v_add_u32_e32 v3, 12, v3
	v_cmp_eq_u32_e32 vcc, 1, v42
	v_or_b32_e32 v10, 0x1a00, v0
	;; [unrolled: 9-line block ×4, first 2 shown]
	s_nop 0
	v_cndmask_b32_e32 v2, v3, v2, vcc
	v_lshlrev_b32_e32 v2, 2, v2
	ds_write_b32 v2, v1
	s_waitcnt lgkmcnt(0)
	s_barrier
	ds_read2st64_b32 v[48:49], v22 offset1:8
	ds_read2st64_b32 v[42:43], v22 offset0:16 offset1:24
	ds_read2st64_b32 v[36:37], v22 offset0:32 offset1:40
	;; [unrolled: 1-line block ×6, first 2 shown]
	ds_read_b32 v54, v22 offset:28672
	v_mov_b32_e32 v1, 0
	v_mov_b32_e32 v53, v1
	;; [unrolled: 1-line block ×3, first 2 shown]
	v_lshl_add_u64 v[2:3], s[30:31], 0, v[52:53]
	v_lshl_add_u64 v[6:7], s[0:1], 0, v[24:25]
	v_mov_b32_e32 v51, v1
	v_mov_b32_e32 v47, v1
	v_mov_b32_e32 v45, v1
	v_mov_b32_e32 v41, v1
	v_mov_b32_e32 v39, v1
	v_mov_b32_e32 v35, v1
	v_mov_b32_e32 v33, v1
	v_mov_b32_e32 v29, v1
	v_mov_b32_e32 v27, v1
	v_mov_b32_e32 v19, v1
	v_mov_b32_e32 v17, v1
	v_mov_b32_e32 v13, v1
	v_mov_b32_e32 v11, v1
	v_mov_b32_e32 v5, v1
	s_andn2_b64 vcc, exec, s[34:35]
	v_lshl_add_u64 v[6:7], v[6:7], 0, v[2:3]
	s_cbranch_vccnz .LBB3595_167
; %bb.106:
	v_cmp_ge_u32_e32 vcc, v0, v24
                                        ; implicit-def: $vgpr22_vgpr23
	s_and_saveexec_b64 s[0:1], vcc
	s_xor_b64 s[0:1], exec, s[0:1]
; %bb.107:
	v_not_b32_e32 v22, v0
	v_ashrrev_i32_e32 v23, 31, v22
	v_lshl_add_u64 v[22:23], v[6:7], 0, v[22:23]
; %bb.108:
	s_andn2_saveexec_b64 s[0:1], s[0:1]
; %bb.109:
	v_lshl_add_u64 v[22:23], v[2:3], 0, v[0:1]
; %bb.110:
	s_or_b64 exec, exec, s[0:1]
	v_lshl_add_u64 v[22:23], v[22:23], 2, s[2:3]
	v_cmp_ge_u32_e32 vcc, v50, v24
	s_waitcnt lgkmcnt(7)
	global_store_dword v[22:23], v48, off
                                        ; implicit-def: $vgpr22_vgpr23
	s_and_saveexec_b64 s[0:1], vcc
	s_xor_b64 s[0:1], exec, s[0:1]
; %bb.111:
	v_xor_b32_e32 v22, 0xfffffdff, v0
	v_ashrrev_i32_e32 v23, 31, v22
	v_lshl_add_u64 v[22:23], v[6:7], 0, v[22:23]
; %bb.112:
	s_andn2_saveexec_b64 s[0:1], s[0:1]
; %bb.113:
	v_lshl_add_u64 v[22:23], v[2:3], 0, v[50:51]
; %bb.114:
	s_or_b64 exec, exec, s[0:1]
	v_lshl_add_u64 v[22:23], v[22:23], 2, s[2:3]
	v_cmp_ge_u32_e32 vcc, v46, v24
	global_store_dword v[22:23], v49, off
                                        ; implicit-def: $vgpr22_vgpr23
	s_and_saveexec_b64 s[0:1], vcc
	s_xor_b64 s[0:1], exec, s[0:1]
; %bb.115:
	v_xor_b32_e32 v22, 0xfffffbff, v0
	v_ashrrev_i32_e32 v23, 31, v22
	v_lshl_add_u64 v[22:23], v[6:7], 0, v[22:23]
; %bb.116:
	s_andn2_saveexec_b64 s[0:1], s[0:1]
; %bb.117:
	v_lshl_add_u64 v[22:23], v[2:3], 0, v[46:47]
; %bb.118:
	s_or_b64 exec, exec, s[0:1]
	v_lshl_add_u64 v[22:23], v[22:23], 2, s[2:3]
	v_cmp_ge_u32_e32 vcc, v44, v24
	s_waitcnt lgkmcnt(6)
	global_store_dword v[22:23], v42, off
                                        ; implicit-def: $vgpr22_vgpr23
	s_and_saveexec_b64 s[0:1], vcc
	s_xor_b64 s[0:1], exec, s[0:1]
; %bb.119:
	v_xor_b32_e32 v22, 0xfffff9ff, v0
	v_ashrrev_i32_e32 v23, 31, v22
	v_lshl_add_u64 v[22:23], v[6:7], 0, v[22:23]
; %bb.120:
	s_andn2_saveexec_b64 s[0:1], s[0:1]
; %bb.121:
	v_lshl_add_u64 v[22:23], v[2:3], 0, v[44:45]
; %bb.122:
	s_or_b64 exec, exec, s[0:1]
	v_lshl_add_u64 v[22:23], v[22:23], 2, s[2:3]
	v_cmp_ge_u32_e32 vcc, v40, v24
	global_store_dword v[22:23], v43, off
                                        ; implicit-def: $vgpr22_vgpr23
	s_and_saveexec_b64 s[0:1], vcc
	s_xor_b64 s[0:1], exec, s[0:1]
; %bb.123:
	v_xor_b32_e32 v22, 0xfffff7ff, v0
	;; [unrolled: 33-line block ×7, first 2 shown]
	v_ashrrev_i32_e32 v23, 31, v22
	v_lshl_add_u64 v[22:23], v[6:7], 0, v[22:23]
; %bb.164:
	s_andn2_saveexec_b64 s[0:1], s[0:1]
; %bb.165:
	v_lshl_add_u64 v[22:23], v[2:3], 0, v[4:5]
; %bb.166:
	s_or_b64 exec, exec, s[0:1]
	s_mov_b64 s[0:1], -1
	s_branch .LBB3595_259
.LBB3595_167:
	s_mov_b64 s[0:1], 0
                                        ; implicit-def: $vgpr22_vgpr23
	s_cbranch_execz .LBB3595_259
; %bb.168:
	v_cmp_gt_u32_e32 vcc, s33, v0
	s_and_saveexec_b64 s[4:5], vcc
	s_cbranch_execz .LBB3595_210
; %bb.169:
	v_cmp_ge_u32_e32 vcc, v0, v24
                                        ; implicit-def: $vgpr22_vgpr23
	s_and_saveexec_b64 s[6:7], vcc
	s_xor_b64 s[6:7], exec, s[6:7]
; %bb.170:
	v_not_b32_e32 v22, v0
	v_ashrrev_i32_e32 v23, 31, v22
	v_lshl_add_u64 v[22:23], v[6:7], 0, v[22:23]
; %bb.171:
	s_andn2_saveexec_b64 s[6:7], s[6:7]
; %bb.172:
	v_lshl_add_u64 v[22:23], v[2:3], 0, v[0:1]
; %bb.173:
	s_or_b64 exec, exec, s[6:7]
	v_lshl_add_u64 v[22:23], v[22:23], 2, s[2:3]
	s_waitcnt lgkmcnt(7)
	global_store_dword v[22:23], v48, off
	s_or_b64 exec, exec, s[4:5]
	v_cmp_gt_u32_e32 vcc, s33, v50
	s_and_saveexec_b64 s[4:5], vcc
	s_cbranch_execnz .LBB3595_211
.LBB3595_174:
	s_or_b64 exec, exec, s[4:5]
	v_cmp_gt_u32_e32 vcc, s33, v46
	s_and_saveexec_b64 s[4:5], vcc
	s_cbranch_execz .LBB3595_216
.LBB3595_175:
	v_cmp_ge_u32_e32 vcc, v46, v24
                                        ; implicit-def: $vgpr22_vgpr23
	s_and_saveexec_b64 s[6:7], vcc
	s_xor_b64 s[6:7], exec, s[6:7]
; %bb.176:
	v_xor_b32_e32 v22, 0xfffffbff, v0
	v_ashrrev_i32_e32 v23, 31, v22
	v_lshl_add_u64 v[22:23], v[6:7], 0, v[22:23]
                                        ; implicit-def: $vgpr46_vgpr47
; %bb.177:
	s_andn2_saveexec_b64 s[6:7], s[6:7]
; %bb.178:
	v_lshl_add_u64 v[22:23], v[2:3], 0, v[46:47]
; %bb.179:
	s_or_b64 exec, exec, s[6:7]
	v_lshl_add_u64 v[22:23], v[22:23], 2, s[2:3]
	s_waitcnt lgkmcnt(6)
	global_store_dword v[22:23], v42, off
	s_or_b64 exec, exec, s[4:5]
	v_cmp_gt_u32_e32 vcc, s33, v44
	s_and_saveexec_b64 s[4:5], vcc
	s_cbranch_execnz .LBB3595_217
.LBB3595_180:
	s_or_b64 exec, exec, s[4:5]
	v_cmp_gt_u32_e32 vcc, s33, v40
	s_and_saveexec_b64 s[4:5], vcc
	s_cbranch_execz .LBB3595_222
.LBB3595_181:
	v_cmp_ge_u32_e32 vcc, v40, v24
                                        ; implicit-def: $vgpr22_vgpr23
	s_and_saveexec_b64 s[6:7], vcc
	s_xor_b64 s[6:7], exec, s[6:7]
; %bb.182:
	v_xor_b32_e32 v22, 0xfffff7ff, v0
	v_ashrrev_i32_e32 v23, 31, v22
	v_lshl_add_u64 v[22:23], v[6:7], 0, v[22:23]
                                        ; implicit-def: $vgpr40_vgpr41
; %bb.183:
	s_andn2_saveexec_b64 s[6:7], s[6:7]
; %bb.184:
	v_lshl_add_u64 v[22:23], v[2:3], 0, v[40:41]
; %bb.185:
	s_or_b64 exec, exec, s[6:7]
	v_lshl_add_u64 v[22:23], v[22:23], 2, s[2:3]
	s_waitcnt lgkmcnt(5)
	global_store_dword v[22:23], v36, off
	s_or_b64 exec, exec, s[4:5]
	v_cmp_gt_u32_e32 vcc, s33, v38
	s_and_saveexec_b64 s[4:5], vcc
	s_cbranch_execnz .LBB3595_223
.LBB3595_186:
	s_or_b64 exec, exec, s[4:5]
	v_cmp_gt_u32_e32 vcc, s33, v34
	s_and_saveexec_b64 s[4:5], vcc
	s_cbranch_execz .LBB3595_228
.LBB3595_187:
	v_cmp_ge_u32_e32 vcc, v34, v24
                                        ; implicit-def: $vgpr22_vgpr23
	s_and_saveexec_b64 s[6:7], vcc
	s_xor_b64 s[6:7], exec, s[6:7]
; %bb.188:
	v_xor_b32_e32 v22, 0xfffff3ff, v0
	v_ashrrev_i32_e32 v23, 31, v22
	v_lshl_add_u64 v[22:23], v[6:7], 0, v[22:23]
                                        ; implicit-def: $vgpr34_vgpr35
; %bb.189:
	s_andn2_saveexec_b64 s[6:7], s[6:7]
; %bb.190:
	v_lshl_add_u64 v[22:23], v[2:3], 0, v[34:35]
; %bb.191:
	s_or_b64 exec, exec, s[6:7]
	v_lshl_add_u64 v[22:23], v[22:23], 2, s[2:3]
	s_waitcnt lgkmcnt(4)
	global_store_dword v[22:23], v30, off
	s_or_b64 exec, exec, s[4:5]
	v_cmp_gt_u32_e32 vcc, s33, v32
	s_and_saveexec_b64 s[4:5], vcc
	s_cbranch_execnz .LBB3595_229
.LBB3595_192:
	s_or_b64 exec, exec, s[4:5]
	v_cmp_gt_u32_e32 vcc, s33, v28
	s_and_saveexec_b64 s[4:5], vcc
	s_cbranch_execz .LBB3595_234
.LBB3595_193:
	v_cmp_ge_u32_e32 vcc, v28, v24
                                        ; implicit-def: $vgpr22_vgpr23
	s_and_saveexec_b64 s[6:7], vcc
	s_xor_b64 s[6:7], exec, s[6:7]
; %bb.194:
	v_xor_b32_e32 v22, 0xffffefff, v0
	v_ashrrev_i32_e32 v23, 31, v22
	v_lshl_add_u64 v[22:23], v[6:7], 0, v[22:23]
                                        ; implicit-def: $vgpr28_vgpr29
; %bb.195:
	s_andn2_saveexec_b64 s[6:7], s[6:7]
; %bb.196:
	v_lshl_add_u64 v[22:23], v[2:3], 0, v[28:29]
; %bb.197:
	s_or_b64 exec, exec, s[6:7]
	v_lshl_add_u64 v[22:23], v[22:23], 2, s[2:3]
	s_waitcnt lgkmcnt(3)
	global_store_dword v[22:23], v20, off
	s_or_b64 exec, exec, s[4:5]
	v_cmp_gt_u32_e32 vcc, s33, v26
	s_and_saveexec_b64 s[4:5], vcc
	s_cbranch_execnz .LBB3595_235
.LBB3595_198:
	s_or_b64 exec, exec, s[4:5]
	v_cmp_gt_u32_e32 vcc, s33, v18
	s_and_saveexec_b64 s[4:5], vcc
	s_cbranch_execz .LBB3595_240
.LBB3595_199:
	v_cmp_ge_u32_e32 vcc, v18, v24
                                        ; implicit-def: $vgpr20_vgpr21
	s_and_saveexec_b64 s[6:7], vcc
	s_xor_b64 s[6:7], exec, s[6:7]
	s_cbranch_execz .LBB3595_201
; %bb.200:
	v_xor_b32_e32 v18, 0xffffebff, v0
	v_ashrrev_i32_e32 v19, 31, v18
	s_waitcnt lgkmcnt(3)
	v_lshl_add_u64 v[20:21], v[6:7], 0, v[18:19]
                                        ; implicit-def: $vgpr18_vgpr19
.LBB3595_201:
	s_andn2_saveexec_b64 s[6:7], s[6:7]
	s_cbranch_execz .LBB3595_203
; %bb.202:
	s_waitcnt lgkmcnt(3)
	v_lshl_add_u64 v[20:21], v[2:3], 0, v[18:19]
.LBB3595_203:
	s_or_b64 exec, exec, s[6:7]
	s_waitcnt lgkmcnt(3)
	v_lshl_add_u64 v[18:19], v[20:21], 2, s[2:3]
	s_waitcnt lgkmcnt(2)
	global_store_dword v[18:19], v14, off
	s_or_b64 exec, exec, s[4:5]
	v_cmp_gt_u32_e32 vcc, s33, v16
	s_and_saveexec_b64 s[4:5], vcc
	s_cbranch_execnz .LBB3595_241
.LBB3595_204:
	s_or_b64 exec, exec, s[4:5]
	v_cmp_gt_u32_e32 vcc, s33, v12
	s_and_saveexec_b64 s[4:5], vcc
	s_cbranch_execz .LBB3595_246
.LBB3595_205:
	v_cmp_ge_u32_e32 vcc, v12, v24
                                        ; implicit-def: $vgpr14_vgpr15
	s_and_saveexec_b64 s[6:7], vcc
	s_xor_b64 s[6:7], exec, s[6:7]
	s_cbranch_execz .LBB3595_207
; %bb.206:
	v_xor_b32_e32 v12, 0xffffe7ff, v0
	v_ashrrev_i32_e32 v13, 31, v12
	s_waitcnt lgkmcnt(2)
	v_lshl_add_u64 v[14:15], v[6:7], 0, v[12:13]
                                        ; implicit-def: $vgpr12_vgpr13
.LBB3595_207:
	s_andn2_saveexec_b64 s[6:7], s[6:7]
	s_cbranch_execz .LBB3595_209
; %bb.208:
	s_waitcnt lgkmcnt(2)
	v_lshl_add_u64 v[14:15], v[2:3], 0, v[12:13]
.LBB3595_209:
	s_or_b64 exec, exec, s[6:7]
	s_waitcnt lgkmcnt(2)
	v_lshl_add_u64 v[12:13], v[14:15], 2, s[2:3]
	s_waitcnt lgkmcnt(1)
	global_store_dword v[12:13], v8, off
	s_or_b64 exec, exec, s[4:5]
	v_cmp_gt_u32_e32 vcc, s33, v10
	s_and_saveexec_b64 s[4:5], vcc
	s_cbranch_execz .LBB3595_252
	s_branch .LBB3595_247
.LBB3595_210:
	s_or_b64 exec, exec, s[4:5]
	v_cmp_gt_u32_e32 vcc, s33, v50
	s_and_saveexec_b64 s[4:5], vcc
	s_cbranch_execz .LBB3595_174
.LBB3595_211:
	v_cmp_ge_u32_e32 vcc, v50, v24
                                        ; implicit-def: $vgpr22_vgpr23
	s_and_saveexec_b64 s[6:7], vcc
	s_xor_b64 s[6:7], exec, s[6:7]
; %bb.212:
	v_xor_b32_e32 v22, 0xfffffdff, v0
	v_ashrrev_i32_e32 v23, 31, v22
	v_lshl_add_u64 v[22:23], v[6:7], 0, v[22:23]
                                        ; implicit-def: $vgpr50_vgpr51
; %bb.213:
	s_andn2_saveexec_b64 s[6:7], s[6:7]
; %bb.214:
	v_lshl_add_u64 v[22:23], v[2:3], 0, v[50:51]
; %bb.215:
	s_or_b64 exec, exec, s[6:7]
	v_lshl_add_u64 v[22:23], v[22:23], 2, s[2:3]
	s_waitcnt lgkmcnt(7)
	global_store_dword v[22:23], v49, off
	s_or_b64 exec, exec, s[4:5]
	v_cmp_gt_u32_e32 vcc, s33, v46
	s_and_saveexec_b64 s[4:5], vcc
	s_cbranch_execnz .LBB3595_175
.LBB3595_216:
	s_or_b64 exec, exec, s[4:5]
	v_cmp_gt_u32_e32 vcc, s33, v44
	s_and_saveexec_b64 s[4:5], vcc
	s_cbranch_execz .LBB3595_180
.LBB3595_217:
	v_cmp_ge_u32_e32 vcc, v44, v24
                                        ; implicit-def: $vgpr22_vgpr23
	s_and_saveexec_b64 s[6:7], vcc
	s_xor_b64 s[6:7], exec, s[6:7]
; %bb.218:
	v_xor_b32_e32 v22, 0xfffff9ff, v0
	v_ashrrev_i32_e32 v23, 31, v22
	v_lshl_add_u64 v[22:23], v[6:7], 0, v[22:23]
                                        ; implicit-def: $vgpr44_vgpr45
; %bb.219:
	s_andn2_saveexec_b64 s[6:7], s[6:7]
; %bb.220:
	v_lshl_add_u64 v[22:23], v[2:3], 0, v[44:45]
; %bb.221:
	s_or_b64 exec, exec, s[6:7]
	v_lshl_add_u64 v[22:23], v[22:23], 2, s[2:3]
	s_waitcnt lgkmcnt(6)
	global_store_dword v[22:23], v43, off
	s_or_b64 exec, exec, s[4:5]
	v_cmp_gt_u32_e32 vcc, s33, v40
	s_and_saveexec_b64 s[4:5], vcc
	s_cbranch_execnz .LBB3595_181
.LBB3595_222:
	s_or_b64 exec, exec, s[4:5]
	v_cmp_gt_u32_e32 vcc, s33, v38
	s_and_saveexec_b64 s[4:5], vcc
	s_cbranch_execz .LBB3595_186
.LBB3595_223:
	v_cmp_ge_u32_e32 vcc, v38, v24
                                        ; implicit-def: $vgpr22_vgpr23
	s_and_saveexec_b64 s[6:7], vcc
	s_xor_b64 s[6:7], exec, s[6:7]
; %bb.224:
	v_xor_b32_e32 v22, 0xfffff5ff, v0
	v_ashrrev_i32_e32 v23, 31, v22
	v_lshl_add_u64 v[22:23], v[6:7], 0, v[22:23]
                                        ; implicit-def: $vgpr38_vgpr39
; %bb.225:
	s_andn2_saveexec_b64 s[6:7], s[6:7]
; %bb.226:
	v_lshl_add_u64 v[22:23], v[2:3], 0, v[38:39]
; %bb.227:
	s_or_b64 exec, exec, s[6:7]
	v_lshl_add_u64 v[22:23], v[22:23], 2, s[2:3]
	s_waitcnt lgkmcnt(5)
	global_store_dword v[22:23], v37, off
	s_or_b64 exec, exec, s[4:5]
	v_cmp_gt_u32_e32 vcc, s33, v34
	s_and_saveexec_b64 s[4:5], vcc
	s_cbranch_execnz .LBB3595_187
.LBB3595_228:
	s_or_b64 exec, exec, s[4:5]
	v_cmp_gt_u32_e32 vcc, s33, v32
	s_and_saveexec_b64 s[4:5], vcc
	s_cbranch_execz .LBB3595_192
.LBB3595_229:
	v_cmp_ge_u32_e32 vcc, v32, v24
                                        ; implicit-def: $vgpr22_vgpr23
	s_and_saveexec_b64 s[6:7], vcc
	s_xor_b64 s[6:7], exec, s[6:7]
; %bb.230:
	v_xor_b32_e32 v22, 0xfffff1ff, v0
	v_ashrrev_i32_e32 v23, 31, v22
	v_lshl_add_u64 v[22:23], v[6:7], 0, v[22:23]
                                        ; implicit-def: $vgpr32_vgpr33
; %bb.231:
	s_andn2_saveexec_b64 s[6:7], s[6:7]
; %bb.232:
	v_lshl_add_u64 v[22:23], v[2:3], 0, v[32:33]
; %bb.233:
	s_or_b64 exec, exec, s[6:7]
	v_lshl_add_u64 v[22:23], v[22:23], 2, s[2:3]
	s_waitcnt lgkmcnt(4)
	global_store_dword v[22:23], v31, off
	s_or_b64 exec, exec, s[4:5]
	v_cmp_gt_u32_e32 vcc, s33, v28
	s_and_saveexec_b64 s[4:5], vcc
	s_cbranch_execnz .LBB3595_193
.LBB3595_234:
	s_or_b64 exec, exec, s[4:5]
	v_cmp_gt_u32_e32 vcc, s33, v26
	s_and_saveexec_b64 s[4:5], vcc
	s_cbranch_execz .LBB3595_198
.LBB3595_235:
	v_cmp_ge_u32_e32 vcc, v26, v24
                                        ; implicit-def: $vgpr22_vgpr23
	s_and_saveexec_b64 s[6:7], vcc
	s_xor_b64 s[6:7], exec, s[6:7]
; %bb.236:
	v_xor_b32_e32 v22, 0xffffedff, v0
	v_ashrrev_i32_e32 v23, 31, v22
	v_lshl_add_u64 v[22:23], v[6:7], 0, v[22:23]
                                        ; implicit-def: $vgpr26_vgpr27
; %bb.237:
	s_andn2_saveexec_b64 s[6:7], s[6:7]
; %bb.238:
	v_lshl_add_u64 v[22:23], v[2:3], 0, v[26:27]
; %bb.239:
	s_or_b64 exec, exec, s[6:7]
	v_lshl_add_u64 v[22:23], v[22:23], 2, s[2:3]
	s_waitcnt lgkmcnt(3)
	global_store_dword v[22:23], v21, off
	s_or_b64 exec, exec, s[4:5]
	v_cmp_gt_u32_e32 vcc, s33, v18
	s_and_saveexec_b64 s[4:5], vcc
	s_cbranch_execnz .LBB3595_199
.LBB3595_240:
	s_or_b64 exec, exec, s[4:5]
	v_cmp_gt_u32_e32 vcc, s33, v16
	s_and_saveexec_b64 s[4:5], vcc
	s_cbranch_execz .LBB3595_204
.LBB3595_241:
	v_cmp_ge_u32_e32 vcc, v16, v24
                                        ; implicit-def: $vgpr18_vgpr19
	s_and_saveexec_b64 s[6:7], vcc
	s_xor_b64 s[6:7], exec, s[6:7]
; %bb.242:
	v_xor_b32_e32 v16, 0xffffe9ff, v0
	v_ashrrev_i32_e32 v17, 31, v16
	v_lshl_add_u64 v[18:19], v[6:7], 0, v[16:17]
                                        ; implicit-def: $vgpr16_vgpr17
; %bb.243:
	s_andn2_saveexec_b64 s[6:7], s[6:7]
; %bb.244:
	v_lshl_add_u64 v[18:19], v[2:3], 0, v[16:17]
; %bb.245:
	s_or_b64 exec, exec, s[6:7]
	v_lshl_add_u64 v[16:17], v[18:19], 2, s[2:3]
	s_waitcnt lgkmcnt(2)
	global_store_dword v[16:17], v15, off
	s_or_b64 exec, exec, s[4:5]
	v_cmp_gt_u32_e32 vcc, s33, v12
	s_and_saveexec_b64 s[4:5], vcc
	s_cbranch_execnz .LBB3595_205
.LBB3595_246:
	s_or_b64 exec, exec, s[4:5]
	v_cmp_gt_u32_e32 vcc, s33, v10
	s_and_saveexec_b64 s[4:5], vcc
	s_cbranch_execz .LBB3595_252
.LBB3595_247:
	v_cmp_ge_u32_e32 vcc, v10, v24
                                        ; implicit-def: $vgpr12_vgpr13
	s_and_saveexec_b64 s[6:7], vcc
	s_xor_b64 s[6:7], exec, s[6:7]
; %bb.248:
	v_xor_b32_e32 v10, 0xffffe5ff, v0
	v_ashrrev_i32_e32 v11, 31, v10
	v_lshl_add_u64 v[12:13], v[6:7], 0, v[10:11]
                                        ; implicit-def: $vgpr10_vgpr11
; %bb.249:
	s_andn2_saveexec_b64 s[6:7], s[6:7]
; %bb.250:
	v_lshl_add_u64 v[12:13], v[2:3], 0, v[10:11]
; %bb.251:
	s_or_b64 exec, exec, s[6:7]
	v_lshl_add_u64 v[10:11], v[12:13], 2, s[2:3]
	s_waitcnt lgkmcnt(1)
	global_store_dword v[10:11], v9, off
.LBB3595_252:
	s_or_b64 exec, exec, s[4:5]
	v_cmp_gt_u32_e32 vcc, s33, v4
                                        ; implicit-def: $vgpr22_vgpr23
	s_and_saveexec_b64 s[4:5], vcc
	s_cbranch_execz .LBB3595_258
; %bb.253:
	v_cmp_ge_u32_e32 vcc, v4, v24
                                        ; implicit-def: $vgpr22_vgpr23
	s_and_saveexec_b64 s[6:7], vcc
	s_xor_b64 s[6:7], exec, s[6:7]
; %bb.254:
	v_xor_b32_e32 v4, 0xffffe3ff, v0
	v_ashrrev_i32_e32 v5, 31, v4
	v_lshl_add_u64 v[22:23], v[6:7], 0, v[4:5]
                                        ; implicit-def: $vgpr4_vgpr5
; %bb.255:
	s_andn2_saveexec_b64 s[6:7], s[6:7]
; %bb.256:
	v_lshl_add_u64 v[22:23], v[2:3], 0, v[4:5]
; %bb.257:
	s_or_b64 exec, exec, s[6:7]
	s_or_b64 s[0:1], s[0:1], exec
.LBB3595_258:
	s_or_b64 exec, exec, s[4:5]
.LBB3595_259:
	s_and_saveexec_b64 s[4:5], s[0:1]
	s_cbranch_execz .LBB3595_261
; %bb.260:
	v_lshl_add_u64 v[4:5], v[22:23], 2, s[2:3]
	s_waitcnt lgkmcnt(0)
	global_store_dword v[4:5], v54, off
.LBB3595_261:
	s_or_b64 exec, exec, s[4:5]
	v_cmp_eq_u32_e32 vcc, 0, v0
	s_and_b64 s[0:1], vcc, s[22:23]
	s_and_saveexec_b64 s[2:3], s[0:1]
	s_cbranch_execz .LBB3595_263
; %bb.262:
	v_mov_b32_e32 v4, 0
	v_lshl_add_u64 v[0:1], v[2:3], 0, v[24:25]
	global_store_dwordx2 v4, v[0:1], s[20:21]
.LBB3595_263:
	s_endpgm
	.section	.rodata,"a",@progbits
	.p2align	6, 0x0
	.amdhsa_kernel _ZN7rocprim17ROCPRIM_400000_NS6detail17trampoline_kernelINS0_14default_configENS1_25partition_config_selectorILNS1_17partition_subalgoE2EiNS0_10empty_typeEbEEZZNS1_14partition_implILS5_2ELb0ES3_jN6thrust23THRUST_200600_302600_NS6detail15normal_iteratorINSA_7pointerIiNSA_11hip_rocprim3tagENSA_11use_defaultESG_EEEEPS6_NSA_18transform_iteratorI10is_orderedNSA_12zip_iteratorINSA_5tupleINSC_INSA_10device_ptrIiEEEESQ_NSA_9null_typeESR_SR_SR_SR_SR_SR_SR_EEEESG_SG_EENS0_5tupleIJPiSJ_EEENSV_IJSJ_SJ_EEES6_PlJS6_EEE10hipError_tPvRmT3_T4_T5_T6_T7_T9_mT8_P12ihipStream_tbDpT10_ENKUlT_T0_E_clISt17integral_constantIbLb0EES1J_EEDaS1E_S1F_EUlS1E_E_NS1_11comp_targetILNS1_3genE5ELNS1_11target_archE942ELNS1_3gpuE9ELNS1_3repE0EEENS1_30default_config_static_selectorELNS0_4arch9wavefront6targetE1EEEvT1_
		.amdhsa_group_segment_fixed_size 30728
		.amdhsa_private_segment_fixed_size 0
		.amdhsa_kernarg_size 136
		.amdhsa_user_sgpr_count 2
		.amdhsa_user_sgpr_dispatch_ptr 0
		.amdhsa_user_sgpr_queue_ptr 0
		.amdhsa_user_sgpr_kernarg_segment_ptr 1
		.amdhsa_user_sgpr_dispatch_id 0
		.amdhsa_user_sgpr_kernarg_preload_length 0
		.amdhsa_user_sgpr_kernarg_preload_offset 0
		.amdhsa_user_sgpr_private_segment_size 0
		.amdhsa_uses_dynamic_stack 0
		.amdhsa_enable_private_segment 0
		.amdhsa_system_sgpr_workgroup_id_x 1
		.amdhsa_system_sgpr_workgroup_id_y 0
		.amdhsa_system_sgpr_workgroup_id_z 0
		.amdhsa_system_sgpr_workgroup_info 0
		.amdhsa_system_vgpr_workitem_id 0
		.amdhsa_next_free_vgpr 65
		.amdhsa_next_free_sgpr 46
		.amdhsa_accum_offset 68
		.amdhsa_reserve_vcc 1
		.amdhsa_float_round_mode_32 0
		.amdhsa_float_round_mode_16_64 0
		.amdhsa_float_denorm_mode_32 3
		.amdhsa_float_denorm_mode_16_64 3
		.amdhsa_dx10_clamp 1
		.amdhsa_ieee_mode 1
		.amdhsa_fp16_overflow 0
		.amdhsa_tg_split 0
		.amdhsa_exception_fp_ieee_invalid_op 0
		.amdhsa_exception_fp_denorm_src 0
		.amdhsa_exception_fp_ieee_div_zero 0
		.amdhsa_exception_fp_ieee_overflow 0
		.amdhsa_exception_fp_ieee_underflow 0
		.amdhsa_exception_fp_ieee_inexact 0
		.amdhsa_exception_int_div_zero 0
	.end_amdhsa_kernel
	.section	.text._ZN7rocprim17ROCPRIM_400000_NS6detail17trampoline_kernelINS0_14default_configENS1_25partition_config_selectorILNS1_17partition_subalgoE2EiNS0_10empty_typeEbEEZZNS1_14partition_implILS5_2ELb0ES3_jN6thrust23THRUST_200600_302600_NS6detail15normal_iteratorINSA_7pointerIiNSA_11hip_rocprim3tagENSA_11use_defaultESG_EEEEPS6_NSA_18transform_iteratorI10is_orderedNSA_12zip_iteratorINSA_5tupleINSC_INSA_10device_ptrIiEEEESQ_NSA_9null_typeESR_SR_SR_SR_SR_SR_SR_EEEESG_SG_EENS0_5tupleIJPiSJ_EEENSV_IJSJ_SJ_EEES6_PlJS6_EEE10hipError_tPvRmT3_T4_T5_T6_T7_T9_mT8_P12ihipStream_tbDpT10_ENKUlT_T0_E_clISt17integral_constantIbLb0EES1J_EEDaS1E_S1F_EUlS1E_E_NS1_11comp_targetILNS1_3genE5ELNS1_11target_archE942ELNS1_3gpuE9ELNS1_3repE0EEENS1_30default_config_static_selectorELNS0_4arch9wavefront6targetE1EEEvT1_,"axG",@progbits,_ZN7rocprim17ROCPRIM_400000_NS6detail17trampoline_kernelINS0_14default_configENS1_25partition_config_selectorILNS1_17partition_subalgoE2EiNS0_10empty_typeEbEEZZNS1_14partition_implILS5_2ELb0ES3_jN6thrust23THRUST_200600_302600_NS6detail15normal_iteratorINSA_7pointerIiNSA_11hip_rocprim3tagENSA_11use_defaultESG_EEEEPS6_NSA_18transform_iteratorI10is_orderedNSA_12zip_iteratorINSA_5tupleINSC_INSA_10device_ptrIiEEEESQ_NSA_9null_typeESR_SR_SR_SR_SR_SR_SR_EEEESG_SG_EENS0_5tupleIJPiSJ_EEENSV_IJSJ_SJ_EEES6_PlJS6_EEE10hipError_tPvRmT3_T4_T5_T6_T7_T9_mT8_P12ihipStream_tbDpT10_ENKUlT_T0_E_clISt17integral_constantIbLb0EES1J_EEDaS1E_S1F_EUlS1E_E_NS1_11comp_targetILNS1_3genE5ELNS1_11target_archE942ELNS1_3gpuE9ELNS1_3repE0EEENS1_30default_config_static_selectorELNS0_4arch9wavefront6targetE1EEEvT1_,comdat
.Lfunc_end3595:
	.size	_ZN7rocprim17ROCPRIM_400000_NS6detail17trampoline_kernelINS0_14default_configENS1_25partition_config_selectorILNS1_17partition_subalgoE2EiNS0_10empty_typeEbEEZZNS1_14partition_implILS5_2ELb0ES3_jN6thrust23THRUST_200600_302600_NS6detail15normal_iteratorINSA_7pointerIiNSA_11hip_rocprim3tagENSA_11use_defaultESG_EEEEPS6_NSA_18transform_iteratorI10is_orderedNSA_12zip_iteratorINSA_5tupleINSC_INSA_10device_ptrIiEEEESQ_NSA_9null_typeESR_SR_SR_SR_SR_SR_SR_EEEESG_SG_EENS0_5tupleIJPiSJ_EEENSV_IJSJ_SJ_EEES6_PlJS6_EEE10hipError_tPvRmT3_T4_T5_T6_T7_T9_mT8_P12ihipStream_tbDpT10_ENKUlT_T0_E_clISt17integral_constantIbLb0EES1J_EEDaS1E_S1F_EUlS1E_E_NS1_11comp_targetILNS1_3genE5ELNS1_11target_archE942ELNS1_3gpuE9ELNS1_3repE0EEENS1_30default_config_static_selectorELNS0_4arch9wavefront6targetE1EEEvT1_, .Lfunc_end3595-_ZN7rocprim17ROCPRIM_400000_NS6detail17trampoline_kernelINS0_14default_configENS1_25partition_config_selectorILNS1_17partition_subalgoE2EiNS0_10empty_typeEbEEZZNS1_14partition_implILS5_2ELb0ES3_jN6thrust23THRUST_200600_302600_NS6detail15normal_iteratorINSA_7pointerIiNSA_11hip_rocprim3tagENSA_11use_defaultESG_EEEEPS6_NSA_18transform_iteratorI10is_orderedNSA_12zip_iteratorINSA_5tupleINSC_INSA_10device_ptrIiEEEESQ_NSA_9null_typeESR_SR_SR_SR_SR_SR_SR_EEEESG_SG_EENS0_5tupleIJPiSJ_EEENSV_IJSJ_SJ_EEES6_PlJS6_EEE10hipError_tPvRmT3_T4_T5_T6_T7_T9_mT8_P12ihipStream_tbDpT10_ENKUlT_T0_E_clISt17integral_constantIbLb0EES1J_EEDaS1E_S1F_EUlS1E_E_NS1_11comp_targetILNS1_3genE5ELNS1_11target_archE942ELNS1_3gpuE9ELNS1_3repE0EEENS1_30default_config_static_selectorELNS0_4arch9wavefront6targetE1EEEvT1_
                                        ; -- End function
	.section	.AMDGPU.csdata,"",@progbits
; Kernel info:
; codeLenInByte = 9196
; NumSgprs: 52
; NumVgprs: 65
; NumAgprs: 0
; TotalNumVgprs: 65
; ScratchSize: 0
; MemoryBound: 0
; FloatMode: 240
; IeeeMode: 1
; LDSByteSize: 30728 bytes/workgroup (compile time only)
; SGPRBlocks: 6
; VGPRBlocks: 8
; NumSGPRsForWavesPerEU: 52
; NumVGPRsForWavesPerEU: 65
; AccumOffset: 68
; Occupancy: 4
; WaveLimiterHint : 1
; COMPUTE_PGM_RSRC2:SCRATCH_EN: 0
; COMPUTE_PGM_RSRC2:USER_SGPR: 2
; COMPUTE_PGM_RSRC2:TRAP_HANDLER: 0
; COMPUTE_PGM_RSRC2:TGID_X_EN: 1
; COMPUTE_PGM_RSRC2:TGID_Y_EN: 0
; COMPUTE_PGM_RSRC2:TGID_Z_EN: 0
; COMPUTE_PGM_RSRC2:TIDIG_COMP_CNT: 0
; COMPUTE_PGM_RSRC3_GFX90A:ACCUM_OFFSET: 16
; COMPUTE_PGM_RSRC3_GFX90A:TG_SPLIT: 0
	.section	.text._ZN7rocprim17ROCPRIM_400000_NS6detail17trampoline_kernelINS0_14default_configENS1_25partition_config_selectorILNS1_17partition_subalgoE2EiNS0_10empty_typeEbEEZZNS1_14partition_implILS5_2ELb0ES3_jN6thrust23THRUST_200600_302600_NS6detail15normal_iteratorINSA_7pointerIiNSA_11hip_rocprim3tagENSA_11use_defaultESG_EEEEPS6_NSA_18transform_iteratorI10is_orderedNSA_12zip_iteratorINSA_5tupleINSC_INSA_10device_ptrIiEEEESQ_NSA_9null_typeESR_SR_SR_SR_SR_SR_SR_EEEESG_SG_EENS0_5tupleIJPiSJ_EEENSV_IJSJ_SJ_EEES6_PlJS6_EEE10hipError_tPvRmT3_T4_T5_T6_T7_T9_mT8_P12ihipStream_tbDpT10_ENKUlT_T0_E_clISt17integral_constantIbLb0EES1J_EEDaS1E_S1F_EUlS1E_E_NS1_11comp_targetILNS1_3genE4ELNS1_11target_archE910ELNS1_3gpuE8ELNS1_3repE0EEENS1_30default_config_static_selectorELNS0_4arch9wavefront6targetE1EEEvT1_,"axG",@progbits,_ZN7rocprim17ROCPRIM_400000_NS6detail17trampoline_kernelINS0_14default_configENS1_25partition_config_selectorILNS1_17partition_subalgoE2EiNS0_10empty_typeEbEEZZNS1_14partition_implILS5_2ELb0ES3_jN6thrust23THRUST_200600_302600_NS6detail15normal_iteratorINSA_7pointerIiNSA_11hip_rocprim3tagENSA_11use_defaultESG_EEEEPS6_NSA_18transform_iteratorI10is_orderedNSA_12zip_iteratorINSA_5tupleINSC_INSA_10device_ptrIiEEEESQ_NSA_9null_typeESR_SR_SR_SR_SR_SR_SR_EEEESG_SG_EENS0_5tupleIJPiSJ_EEENSV_IJSJ_SJ_EEES6_PlJS6_EEE10hipError_tPvRmT3_T4_T5_T6_T7_T9_mT8_P12ihipStream_tbDpT10_ENKUlT_T0_E_clISt17integral_constantIbLb0EES1J_EEDaS1E_S1F_EUlS1E_E_NS1_11comp_targetILNS1_3genE4ELNS1_11target_archE910ELNS1_3gpuE8ELNS1_3repE0EEENS1_30default_config_static_selectorELNS0_4arch9wavefront6targetE1EEEvT1_,comdat
	.protected	_ZN7rocprim17ROCPRIM_400000_NS6detail17trampoline_kernelINS0_14default_configENS1_25partition_config_selectorILNS1_17partition_subalgoE2EiNS0_10empty_typeEbEEZZNS1_14partition_implILS5_2ELb0ES3_jN6thrust23THRUST_200600_302600_NS6detail15normal_iteratorINSA_7pointerIiNSA_11hip_rocprim3tagENSA_11use_defaultESG_EEEEPS6_NSA_18transform_iteratorI10is_orderedNSA_12zip_iteratorINSA_5tupleINSC_INSA_10device_ptrIiEEEESQ_NSA_9null_typeESR_SR_SR_SR_SR_SR_SR_EEEESG_SG_EENS0_5tupleIJPiSJ_EEENSV_IJSJ_SJ_EEES6_PlJS6_EEE10hipError_tPvRmT3_T4_T5_T6_T7_T9_mT8_P12ihipStream_tbDpT10_ENKUlT_T0_E_clISt17integral_constantIbLb0EES1J_EEDaS1E_S1F_EUlS1E_E_NS1_11comp_targetILNS1_3genE4ELNS1_11target_archE910ELNS1_3gpuE8ELNS1_3repE0EEENS1_30default_config_static_selectorELNS0_4arch9wavefront6targetE1EEEvT1_ ; -- Begin function _ZN7rocprim17ROCPRIM_400000_NS6detail17trampoline_kernelINS0_14default_configENS1_25partition_config_selectorILNS1_17partition_subalgoE2EiNS0_10empty_typeEbEEZZNS1_14partition_implILS5_2ELb0ES3_jN6thrust23THRUST_200600_302600_NS6detail15normal_iteratorINSA_7pointerIiNSA_11hip_rocprim3tagENSA_11use_defaultESG_EEEEPS6_NSA_18transform_iteratorI10is_orderedNSA_12zip_iteratorINSA_5tupleINSC_INSA_10device_ptrIiEEEESQ_NSA_9null_typeESR_SR_SR_SR_SR_SR_SR_EEEESG_SG_EENS0_5tupleIJPiSJ_EEENSV_IJSJ_SJ_EEES6_PlJS6_EEE10hipError_tPvRmT3_T4_T5_T6_T7_T9_mT8_P12ihipStream_tbDpT10_ENKUlT_T0_E_clISt17integral_constantIbLb0EES1J_EEDaS1E_S1F_EUlS1E_E_NS1_11comp_targetILNS1_3genE4ELNS1_11target_archE910ELNS1_3gpuE8ELNS1_3repE0EEENS1_30default_config_static_selectorELNS0_4arch9wavefront6targetE1EEEvT1_
	.globl	_ZN7rocprim17ROCPRIM_400000_NS6detail17trampoline_kernelINS0_14default_configENS1_25partition_config_selectorILNS1_17partition_subalgoE2EiNS0_10empty_typeEbEEZZNS1_14partition_implILS5_2ELb0ES3_jN6thrust23THRUST_200600_302600_NS6detail15normal_iteratorINSA_7pointerIiNSA_11hip_rocprim3tagENSA_11use_defaultESG_EEEEPS6_NSA_18transform_iteratorI10is_orderedNSA_12zip_iteratorINSA_5tupleINSC_INSA_10device_ptrIiEEEESQ_NSA_9null_typeESR_SR_SR_SR_SR_SR_SR_EEEESG_SG_EENS0_5tupleIJPiSJ_EEENSV_IJSJ_SJ_EEES6_PlJS6_EEE10hipError_tPvRmT3_T4_T5_T6_T7_T9_mT8_P12ihipStream_tbDpT10_ENKUlT_T0_E_clISt17integral_constantIbLb0EES1J_EEDaS1E_S1F_EUlS1E_E_NS1_11comp_targetILNS1_3genE4ELNS1_11target_archE910ELNS1_3gpuE8ELNS1_3repE0EEENS1_30default_config_static_selectorELNS0_4arch9wavefront6targetE1EEEvT1_
	.p2align	8
	.type	_ZN7rocprim17ROCPRIM_400000_NS6detail17trampoline_kernelINS0_14default_configENS1_25partition_config_selectorILNS1_17partition_subalgoE2EiNS0_10empty_typeEbEEZZNS1_14partition_implILS5_2ELb0ES3_jN6thrust23THRUST_200600_302600_NS6detail15normal_iteratorINSA_7pointerIiNSA_11hip_rocprim3tagENSA_11use_defaultESG_EEEEPS6_NSA_18transform_iteratorI10is_orderedNSA_12zip_iteratorINSA_5tupleINSC_INSA_10device_ptrIiEEEESQ_NSA_9null_typeESR_SR_SR_SR_SR_SR_SR_EEEESG_SG_EENS0_5tupleIJPiSJ_EEENSV_IJSJ_SJ_EEES6_PlJS6_EEE10hipError_tPvRmT3_T4_T5_T6_T7_T9_mT8_P12ihipStream_tbDpT10_ENKUlT_T0_E_clISt17integral_constantIbLb0EES1J_EEDaS1E_S1F_EUlS1E_E_NS1_11comp_targetILNS1_3genE4ELNS1_11target_archE910ELNS1_3gpuE8ELNS1_3repE0EEENS1_30default_config_static_selectorELNS0_4arch9wavefront6targetE1EEEvT1_,@function
_ZN7rocprim17ROCPRIM_400000_NS6detail17trampoline_kernelINS0_14default_configENS1_25partition_config_selectorILNS1_17partition_subalgoE2EiNS0_10empty_typeEbEEZZNS1_14partition_implILS5_2ELb0ES3_jN6thrust23THRUST_200600_302600_NS6detail15normal_iteratorINSA_7pointerIiNSA_11hip_rocprim3tagENSA_11use_defaultESG_EEEEPS6_NSA_18transform_iteratorI10is_orderedNSA_12zip_iteratorINSA_5tupleINSC_INSA_10device_ptrIiEEEESQ_NSA_9null_typeESR_SR_SR_SR_SR_SR_SR_EEEESG_SG_EENS0_5tupleIJPiSJ_EEENSV_IJSJ_SJ_EEES6_PlJS6_EEE10hipError_tPvRmT3_T4_T5_T6_T7_T9_mT8_P12ihipStream_tbDpT10_ENKUlT_T0_E_clISt17integral_constantIbLb0EES1J_EEDaS1E_S1F_EUlS1E_E_NS1_11comp_targetILNS1_3genE4ELNS1_11target_archE910ELNS1_3gpuE8ELNS1_3repE0EEENS1_30default_config_static_selectorELNS0_4arch9wavefront6targetE1EEEvT1_: ; @_ZN7rocprim17ROCPRIM_400000_NS6detail17trampoline_kernelINS0_14default_configENS1_25partition_config_selectorILNS1_17partition_subalgoE2EiNS0_10empty_typeEbEEZZNS1_14partition_implILS5_2ELb0ES3_jN6thrust23THRUST_200600_302600_NS6detail15normal_iteratorINSA_7pointerIiNSA_11hip_rocprim3tagENSA_11use_defaultESG_EEEEPS6_NSA_18transform_iteratorI10is_orderedNSA_12zip_iteratorINSA_5tupleINSC_INSA_10device_ptrIiEEEESQ_NSA_9null_typeESR_SR_SR_SR_SR_SR_SR_EEEESG_SG_EENS0_5tupleIJPiSJ_EEENSV_IJSJ_SJ_EEES6_PlJS6_EEE10hipError_tPvRmT3_T4_T5_T6_T7_T9_mT8_P12ihipStream_tbDpT10_ENKUlT_T0_E_clISt17integral_constantIbLb0EES1J_EEDaS1E_S1F_EUlS1E_E_NS1_11comp_targetILNS1_3genE4ELNS1_11target_archE910ELNS1_3gpuE8ELNS1_3repE0EEENS1_30default_config_static_selectorELNS0_4arch9wavefront6targetE1EEEvT1_
; %bb.0:
	.section	.rodata,"a",@progbits
	.p2align	6, 0x0
	.amdhsa_kernel _ZN7rocprim17ROCPRIM_400000_NS6detail17trampoline_kernelINS0_14default_configENS1_25partition_config_selectorILNS1_17partition_subalgoE2EiNS0_10empty_typeEbEEZZNS1_14partition_implILS5_2ELb0ES3_jN6thrust23THRUST_200600_302600_NS6detail15normal_iteratorINSA_7pointerIiNSA_11hip_rocprim3tagENSA_11use_defaultESG_EEEEPS6_NSA_18transform_iteratorI10is_orderedNSA_12zip_iteratorINSA_5tupleINSC_INSA_10device_ptrIiEEEESQ_NSA_9null_typeESR_SR_SR_SR_SR_SR_SR_EEEESG_SG_EENS0_5tupleIJPiSJ_EEENSV_IJSJ_SJ_EEES6_PlJS6_EEE10hipError_tPvRmT3_T4_T5_T6_T7_T9_mT8_P12ihipStream_tbDpT10_ENKUlT_T0_E_clISt17integral_constantIbLb0EES1J_EEDaS1E_S1F_EUlS1E_E_NS1_11comp_targetILNS1_3genE4ELNS1_11target_archE910ELNS1_3gpuE8ELNS1_3repE0EEENS1_30default_config_static_selectorELNS0_4arch9wavefront6targetE1EEEvT1_
		.amdhsa_group_segment_fixed_size 0
		.amdhsa_private_segment_fixed_size 0
		.amdhsa_kernarg_size 136
		.amdhsa_user_sgpr_count 2
		.amdhsa_user_sgpr_dispatch_ptr 0
		.amdhsa_user_sgpr_queue_ptr 0
		.amdhsa_user_sgpr_kernarg_segment_ptr 1
		.amdhsa_user_sgpr_dispatch_id 0
		.amdhsa_user_sgpr_kernarg_preload_length 0
		.amdhsa_user_sgpr_kernarg_preload_offset 0
		.amdhsa_user_sgpr_private_segment_size 0
		.amdhsa_uses_dynamic_stack 0
		.amdhsa_enable_private_segment 0
		.amdhsa_system_sgpr_workgroup_id_x 1
		.amdhsa_system_sgpr_workgroup_id_y 0
		.amdhsa_system_sgpr_workgroup_id_z 0
		.amdhsa_system_sgpr_workgroup_info 0
		.amdhsa_system_vgpr_workitem_id 0
		.amdhsa_next_free_vgpr 1
		.amdhsa_next_free_sgpr 0
		.amdhsa_accum_offset 4
		.amdhsa_reserve_vcc 0
		.amdhsa_float_round_mode_32 0
		.amdhsa_float_round_mode_16_64 0
		.amdhsa_float_denorm_mode_32 3
		.amdhsa_float_denorm_mode_16_64 3
		.amdhsa_dx10_clamp 1
		.amdhsa_ieee_mode 1
		.amdhsa_fp16_overflow 0
		.amdhsa_tg_split 0
		.amdhsa_exception_fp_ieee_invalid_op 0
		.amdhsa_exception_fp_denorm_src 0
		.amdhsa_exception_fp_ieee_div_zero 0
		.amdhsa_exception_fp_ieee_overflow 0
		.amdhsa_exception_fp_ieee_underflow 0
		.amdhsa_exception_fp_ieee_inexact 0
		.amdhsa_exception_int_div_zero 0
	.end_amdhsa_kernel
	.section	.text._ZN7rocprim17ROCPRIM_400000_NS6detail17trampoline_kernelINS0_14default_configENS1_25partition_config_selectorILNS1_17partition_subalgoE2EiNS0_10empty_typeEbEEZZNS1_14partition_implILS5_2ELb0ES3_jN6thrust23THRUST_200600_302600_NS6detail15normal_iteratorINSA_7pointerIiNSA_11hip_rocprim3tagENSA_11use_defaultESG_EEEEPS6_NSA_18transform_iteratorI10is_orderedNSA_12zip_iteratorINSA_5tupleINSC_INSA_10device_ptrIiEEEESQ_NSA_9null_typeESR_SR_SR_SR_SR_SR_SR_EEEESG_SG_EENS0_5tupleIJPiSJ_EEENSV_IJSJ_SJ_EEES6_PlJS6_EEE10hipError_tPvRmT3_T4_T5_T6_T7_T9_mT8_P12ihipStream_tbDpT10_ENKUlT_T0_E_clISt17integral_constantIbLb0EES1J_EEDaS1E_S1F_EUlS1E_E_NS1_11comp_targetILNS1_3genE4ELNS1_11target_archE910ELNS1_3gpuE8ELNS1_3repE0EEENS1_30default_config_static_selectorELNS0_4arch9wavefront6targetE1EEEvT1_,"axG",@progbits,_ZN7rocprim17ROCPRIM_400000_NS6detail17trampoline_kernelINS0_14default_configENS1_25partition_config_selectorILNS1_17partition_subalgoE2EiNS0_10empty_typeEbEEZZNS1_14partition_implILS5_2ELb0ES3_jN6thrust23THRUST_200600_302600_NS6detail15normal_iteratorINSA_7pointerIiNSA_11hip_rocprim3tagENSA_11use_defaultESG_EEEEPS6_NSA_18transform_iteratorI10is_orderedNSA_12zip_iteratorINSA_5tupleINSC_INSA_10device_ptrIiEEEESQ_NSA_9null_typeESR_SR_SR_SR_SR_SR_SR_EEEESG_SG_EENS0_5tupleIJPiSJ_EEENSV_IJSJ_SJ_EEES6_PlJS6_EEE10hipError_tPvRmT3_T4_T5_T6_T7_T9_mT8_P12ihipStream_tbDpT10_ENKUlT_T0_E_clISt17integral_constantIbLb0EES1J_EEDaS1E_S1F_EUlS1E_E_NS1_11comp_targetILNS1_3genE4ELNS1_11target_archE910ELNS1_3gpuE8ELNS1_3repE0EEENS1_30default_config_static_selectorELNS0_4arch9wavefront6targetE1EEEvT1_,comdat
.Lfunc_end3596:
	.size	_ZN7rocprim17ROCPRIM_400000_NS6detail17trampoline_kernelINS0_14default_configENS1_25partition_config_selectorILNS1_17partition_subalgoE2EiNS0_10empty_typeEbEEZZNS1_14partition_implILS5_2ELb0ES3_jN6thrust23THRUST_200600_302600_NS6detail15normal_iteratorINSA_7pointerIiNSA_11hip_rocprim3tagENSA_11use_defaultESG_EEEEPS6_NSA_18transform_iteratorI10is_orderedNSA_12zip_iteratorINSA_5tupleINSC_INSA_10device_ptrIiEEEESQ_NSA_9null_typeESR_SR_SR_SR_SR_SR_SR_EEEESG_SG_EENS0_5tupleIJPiSJ_EEENSV_IJSJ_SJ_EEES6_PlJS6_EEE10hipError_tPvRmT3_T4_T5_T6_T7_T9_mT8_P12ihipStream_tbDpT10_ENKUlT_T0_E_clISt17integral_constantIbLb0EES1J_EEDaS1E_S1F_EUlS1E_E_NS1_11comp_targetILNS1_3genE4ELNS1_11target_archE910ELNS1_3gpuE8ELNS1_3repE0EEENS1_30default_config_static_selectorELNS0_4arch9wavefront6targetE1EEEvT1_, .Lfunc_end3596-_ZN7rocprim17ROCPRIM_400000_NS6detail17trampoline_kernelINS0_14default_configENS1_25partition_config_selectorILNS1_17partition_subalgoE2EiNS0_10empty_typeEbEEZZNS1_14partition_implILS5_2ELb0ES3_jN6thrust23THRUST_200600_302600_NS6detail15normal_iteratorINSA_7pointerIiNSA_11hip_rocprim3tagENSA_11use_defaultESG_EEEEPS6_NSA_18transform_iteratorI10is_orderedNSA_12zip_iteratorINSA_5tupleINSC_INSA_10device_ptrIiEEEESQ_NSA_9null_typeESR_SR_SR_SR_SR_SR_SR_EEEESG_SG_EENS0_5tupleIJPiSJ_EEENSV_IJSJ_SJ_EEES6_PlJS6_EEE10hipError_tPvRmT3_T4_T5_T6_T7_T9_mT8_P12ihipStream_tbDpT10_ENKUlT_T0_E_clISt17integral_constantIbLb0EES1J_EEDaS1E_S1F_EUlS1E_E_NS1_11comp_targetILNS1_3genE4ELNS1_11target_archE910ELNS1_3gpuE8ELNS1_3repE0EEENS1_30default_config_static_selectorELNS0_4arch9wavefront6targetE1EEEvT1_
                                        ; -- End function
	.section	.AMDGPU.csdata,"",@progbits
; Kernel info:
; codeLenInByte = 0
; NumSgprs: 6
; NumVgprs: 0
; NumAgprs: 0
; TotalNumVgprs: 0
; ScratchSize: 0
; MemoryBound: 0
; FloatMode: 240
; IeeeMode: 1
; LDSByteSize: 0 bytes/workgroup (compile time only)
; SGPRBlocks: 0
; VGPRBlocks: 0
; NumSGPRsForWavesPerEU: 6
; NumVGPRsForWavesPerEU: 1
; AccumOffset: 4
; Occupancy: 8
; WaveLimiterHint : 0
; COMPUTE_PGM_RSRC2:SCRATCH_EN: 0
; COMPUTE_PGM_RSRC2:USER_SGPR: 2
; COMPUTE_PGM_RSRC2:TRAP_HANDLER: 0
; COMPUTE_PGM_RSRC2:TGID_X_EN: 1
; COMPUTE_PGM_RSRC2:TGID_Y_EN: 0
; COMPUTE_PGM_RSRC2:TGID_Z_EN: 0
; COMPUTE_PGM_RSRC2:TIDIG_COMP_CNT: 0
; COMPUTE_PGM_RSRC3_GFX90A:ACCUM_OFFSET: 0
; COMPUTE_PGM_RSRC3_GFX90A:TG_SPLIT: 0
	.section	.text._ZN7rocprim17ROCPRIM_400000_NS6detail17trampoline_kernelINS0_14default_configENS1_25partition_config_selectorILNS1_17partition_subalgoE2EiNS0_10empty_typeEbEEZZNS1_14partition_implILS5_2ELb0ES3_jN6thrust23THRUST_200600_302600_NS6detail15normal_iteratorINSA_7pointerIiNSA_11hip_rocprim3tagENSA_11use_defaultESG_EEEEPS6_NSA_18transform_iteratorI10is_orderedNSA_12zip_iteratorINSA_5tupleINSC_INSA_10device_ptrIiEEEESQ_NSA_9null_typeESR_SR_SR_SR_SR_SR_SR_EEEESG_SG_EENS0_5tupleIJPiSJ_EEENSV_IJSJ_SJ_EEES6_PlJS6_EEE10hipError_tPvRmT3_T4_T5_T6_T7_T9_mT8_P12ihipStream_tbDpT10_ENKUlT_T0_E_clISt17integral_constantIbLb0EES1J_EEDaS1E_S1F_EUlS1E_E_NS1_11comp_targetILNS1_3genE3ELNS1_11target_archE908ELNS1_3gpuE7ELNS1_3repE0EEENS1_30default_config_static_selectorELNS0_4arch9wavefront6targetE1EEEvT1_,"axG",@progbits,_ZN7rocprim17ROCPRIM_400000_NS6detail17trampoline_kernelINS0_14default_configENS1_25partition_config_selectorILNS1_17partition_subalgoE2EiNS0_10empty_typeEbEEZZNS1_14partition_implILS5_2ELb0ES3_jN6thrust23THRUST_200600_302600_NS6detail15normal_iteratorINSA_7pointerIiNSA_11hip_rocprim3tagENSA_11use_defaultESG_EEEEPS6_NSA_18transform_iteratorI10is_orderedNSA_12zip_iteratorINSA_5tupleINSC_INSA_10device_ptrIiEEEESQ_NSA_9null_typeESR_SR_SR_SR_SR_SR_SR_EEEESG_SG_EENS0_5tupleIJPiSJ_EEENSV_IJSJ_SJ_EEES6_PlJS6_EEE10hipError_tPvRmT3_T4_T5_T6_T7_T9_mT8_P12ihipStream_tbDpT10_ENKUlT_T0_E_clISt17integral_constantIbLb0EES1J_EEDaS1E_S1F_EUlS1E_E_NS1_11comp_targetILNS1_3genE3ELNS1_11target_archE908ELNS1_3gpuE7ELNS1_3repE0EEENS1_30default_config_static_selectorELNS0_4arch9wavefront6targetE1EEEvT1_,comdat
	.protected	_ZN7rocprim17ROCPRIM_400000_NS6detail17trampoline_kernelINS0_14default_configENS1_25partition_config_selectorILNS1_17partition_subalgoE2EiNS0_10empty_typeEbEEZZNS1_14partition_implILS5_2ELb0ES3_jN6thrust23THRUST_200600_302600_NS6detail15normal_iteratorINSA_7pointerIiNSA_11hip_rocprim3tagENSA_11use_defaultESG_EEEEPS6_NSA_18transform_iteratorI10is_orderedNSA_12zip_iteratorINSA_5tupleINSC_INSA_10device_ptrIiEEEESQ_NSA_9null_typeESR_SR_SR_SR_SR_SR_SR_EEEESG_SG_EENS0_5tupleIJPiSJ_EEENSV_IJSJ_SJ_EEES6_PlJS6_EEE10hipError_tPvRmT3_T4_T5_T6_T7_T9_mT8_P12ihipStream_tbDpT10_ENKUlT_T0_E_clISt17integral_constantIbLb0EES1J_EEDaS1E_S1F_EUlS1E_E_NS1_11comp_targetILNS1_3genE3ELNS1_11target_archE908ELNS1_3gpuE7ELNS1_3repE0EEENS1_30default_config_static_selectorELNS0_4arch9wavefront6targetE1EEEvT1_ ; -- Begin function _ZN7rocprim17ROCPRIM_400000_NS6detail17trampoline_kernelINS0_14default_configENS1_25partition_config_selectorILNS1_17partition_subalgoE2EiNS0_10empty_typeEbEEZZNS1_14partition_implILS5_2ELb0ES3_jN6thrust23THRUST_200600_302600_NS6detail15normal_iteratorINSA_7pointerIiNSA_11hip_rocprim3tagENSA_11use_defaultESG_EEEEPS6_NSA_18transform_iteratorI10is_orderedNSA_12zip_iteratorINSA_5tupleINSC_INSA_10device_ptrIiEEEESQ_NSA_9null_typeESR_SR_SR_SR_SR_SR_SR_EEEESG_SG_EENS0_5tupleIJPiSJ_EEENSV_IJSJ_SJ_EEES6_PlJS6_EEE10hipError_tPvRmT3_T4_T5_T6_T7_T9_mT8_P12ihipStream_tbDpT10_ENKUlT_T0_E_clISt17integral_constantIbLb0EES1J_EEDaS1E_S1F_EUlS1E_E_NS1_11comp_targetILNS1_3genE3ELNS1_11target_archE908ELNS1_3gpuE7ELNS1_3repE0EEENS1_30default_config_static_selectorELNS0_4arch9wavefront6targetE1EEEvT1_
	.globl	_ZN7rocprim17ROCPRIM_400000_NS6detail17trampoline_kernelINS0_14default_configENS1_25partition_config_selectorILNS1_17partition_subalgoE2EiNS0_10empty_typeEbEEZZNS1_14partition_implILS5_2ELb0ES3_jN6thrust23THRUST_200600_302600_NS6detail15normal_iteratorINSA_7pointerIiNSA_11hip_rocprim3tagENSA_11use_defaultESG_EEEEPS6_NSA_18transform_iteratorI10is_orderedNSA_12zip_iteratorINSA_5tupleINSC_INSA_10device_ptrIiEEEESQ_NSA_9null_typeESR_SR_SR_SR_SR_SR_SR_EEEESG_SG_EENS0_5tupleIJPiSJ_EEENSV_IJSJ_SJ_EEES6_PlJS6_EEE10hipError_tPvRmT3_T4_T5_T6_T7_T9_mT8_P12ihipStream_tbDpT10_ENKUlT_T0_E_clISt17integral_constantIbLb0EES1J_EEDaS1E_S1F_EUlS1E_E_NS1_11comp_targetILNS1_3genE3ELNS1_11target_archE908ELNS1_3gpuE7ELNS1_3repE0EEENS1_30default_config_static_selectorELNS0_4arch9wavefront6targetE1EEEvT1_
	.p2align	8
	.type	_ZN7rocprim17ROCPRIM_400000_NS6detail17trampoline_kernelINS0_14default_configENS1_25partition_config_selectorILNS1_17partition_subalgoE2EiNS0_10empty_typeEbEEZZNS1_14partition_implILS5_2ELb0ES3_jN6thrust23THRUST_200600_302600_NS6detail15normal_iteratorINSA_7pointerIiNSA_11hip_rocprim3tagENSA_11use_defaultESG_EEEEPS6_NSA_18transform_iteratorI10is_orderedNSA_12zip_iteratorINSA_5tupleINSC_INSA_10device_ptrIiEEEESQ_NSA_9null_typeESR_SR_SR_SR_SR_SR_SR_EEEESG_SG_EENS0_5tupleIJPiSJ_EEENSV_IJSJ_SJ_EEES6_PlJS6_EEE10hipError_tPvRmT3_T4_T5_T6_T7_T9_mT8_P12ihipStream_tbDpT10_ENKUlT_T0_E_clISt17integral_constantIbLb0EES1J_EEDaS1E_S1F_EUlS1E_E_NS1_11comp_targetILNS1_3genE3ELNS1_11target_archE908ELNS1_3gpuE7ELNS1_3repE0EEENS1_30default_config_static_selectorELNS0_4arch9wavefront6targetE1EEEvT1_,@function
_ZN7rocprim17ROCPRIM_400000_NS6detail17trampoline_kernelINS0_14default_configENS1_25partition_config_selectorILNS1_17partition_subalgoE2EiNS0_10empty_typeEbEEZZNS1_14partition_implILS5_2ELb0ES3_jN6thrust23THRUST_200600_302600_NS6detail15normal_iteratorINSA_7pointerIiNSA_11hip_rocprim3tagENSA_11use_defaultESG_EEEEPS6_NSA_18transform_iteratorI10is_orderedNSA_12zip_iteratorINSA_5tupleINSC_INSA_10device_ptrIiEEEESQ_NSA_9null_typeESR_SR_SR_SR_SR_SR_SR_EEEESG_SG_EENS0_5tupleIJPiSJ_EEENSV_IJSJ_SJ_EEES6_PlJS6_EEE10hipError_tPvRmT3_T4_T5_T6_T7_T9_mT8_P12ihipStream_tbDpT10_ENKUlT_T0_E_clISt17integral_constantIbLb0EES1J_EEDaS1E_S1F_EUlS1E_E_NS1_11comp_targetILNS1_3genE3ELNS1_11target_archE908ELNS1_3gpuE7ELNS1_3repE0EEENS1_30default_config_static_selectorELNS0_4arch9wavefront6targetE1EEEvT1_: ; @_ZN7rocprim17ROCPRIM_400000_NS6detail17trampoline_kernelINS0_14default_configENS1_25partition_config_selectorILNS1_17partition_subalgoE2EiNS0_10empty_typeEbEEZZNS1_14partition_implILS5_2ELb0ES3_jN6thrust23THRUST_200600_302600_NS6detail15normal_iteratorINSA_7pointerIiNSA_11hip_rocprim3tagENSA_11use_defaultESG_EEEEPS6_NSA_18transform_iteratorI10is_orderedNSA_12zip_iteratorINSA_5tupleINSC_INSA_10device_ptrIiEEEESQ_NSA_9null_typeESR_SR_SR_SR_SR_SR_SR_EEEESG_SG_EENS0_5tupleIJPiSJ_EEENSV_IJSJ_SJ_EEES6_PlJS6_EEE10hipError_tPvRmT3_T4_T5_T6_T7_T9_mT8_P12ihipStream_tbDpT10_ENKUlT_T0_E_clISt17integral_constantIbLb0EES1J_EEDaS1E_S1F_EUlS1E_E_NS1_11comp_targetILNS1_3genE3ELNS1_11target_archE908ELNS1_3gpuE7ELNS1_3repE0EEENS1_30default_config_static_selectorELNS0_4arch9wavefront6targetE1EEEvT1_
; %bb.0:
	.section	.rodata,"a",@progbits
	.p2align	6, 0x0
	.amdhsa_kernel _ZN7rocprim17ROCPRIM_400000_NS6detail17trampoline_kernelINS0_14default_configENS1_25partition_config_selectorILNS1_17partition_subalgoE2EiNS0_10empty_typeEbEEZZNS1_14partition_implILS5_2ELb0ES3_jN6thrust23THRUST_200600_302600_NS6detail15normal_iteratorINSA_7pointerIiNSA_11hip_rocprim3tagENSA_11use_defaultESG_EEEEPS6_NSA_18transform_iteratorI10is_orderedNSA_12zip_iteratorINSA_5tupleINSC_INSA_10device_ptrIiEEEESQ_NSA_9null_typeESR_SR_SR_SR_SR_SR_SR_EEEESG_SG_EENS0_5tupleIJPiSJ_EEENSV_IJSJ_SJ_EEES6_PlJS6_EEE10hipError_tPvRmT3_T4_T5_T6_T7_T9_mT8_P12ihipStream_tbDpT10_ENKUlT_T0_E_clISt17integral_constantIbLb0EES1J_EEDaS1E_S1F_EUlS1E_E_NS1_11comp_targetILNS1_3genE3ELNS1_11target_archE908ELNS1_3gpuE7ELNS1_3repE0EEENS1_30default_config_static_selectorELNS0_4arch9wavefront6targetE1EEEvT1_
		.amdhsa_group_segment_fixed_size 0
		.amdhsa_private_segment_fixed_size 0
		.amdhsa_kernarg_size 136
		.amdhsa_user_sgpr_count 2
		.amdhsa_user_sgpr_dispatch_ptr 0
		.amdhsa_user_sgpr_queue_ptr 0
		.amdhsa_user_sgpr_kernarg_segment_ptr 1
		.amdhsa_user_sgpr_dispatch_id 0
		.amdhsa_user_sgpr_kernarg_preload_length 0
		.amdhsa_user_sgpr_kernarg_preload_offset 0
		.amdhsa_user_sgpr_private_segment_size 0
		.amdhsa_uses_dynamic_stack 0
		.amdhsa_enable_private_segment 0
		.amdhsa_system_sgpr_workgroup_id_x 1
		.amdhsa_system_sgpr_workgroup_id_y 0
		.amdhsa_system_sgpr_workgroup_id_z 0
		.amdhsa_system_sgpr_workgroup_info 0
		.amdhsa_system_vgpr_workitem_id 0
		.amdhsa_next_free_vgpr 1
		.amdhsa_next_free_sgpr 0
		.amdhsa_accum_offset 4
		.amdhsa_reserve_vcc 0
		.amdhsa_float_round_mode_32 0
		.amdhsa_float_round_mode_16_64 0
		.amdhsa_float_denorm_mode_32 3
		.amdhsa_float_denorm_mode_16_64 3
		.amdhsa_dx10_clamp 1
		.amdhsa_ieee_mode 1
		.amdhsa_fp16_overflow 0
		.amdhsa_tg_split 0
		.amdhsa_exception_fp_ieee_invalid_op 0
		.amdhsa_exception_fp_denorm_src 0
		.amdhsa_exception_fp_ieee_div_zero 0
		.amdhsa_exception_fp_ieee_overflow 0
		.amdhsa_exception_fp_ieee_underflow 0
		.amdhsa_exception_fp_ieee_inexact 0
		.amdhsa_exception_int_div_zero 0
	.end_amdhsa_kernel
	.section	.text._ZN7rocprim17ROCPRIM_400000_NS6detail17trampoline_kernelINS0_14default_configENS1_25partition_config_selectorILNS1_17partition_subalgoE2EiNS0_10empty_typeEbEEZZNS1_14partition_implILS5_2ELb0ES3_jN6thrust23THRUST_200600_302600_NS6detail15normal_iteratorINSA_7pointerIiNSA_11hip_rocprim3tagENSA_11use_defaultESG_EEEEPS6_NSA_18transform_iteratorI10is_orderedNSA_12zip_iteratorINSA_5tupleINSC_INSA_10device_ptrIiEEEESQ_NSA_9null_typeESR_SR_SR_SR_SR_SR_SR_EEEESG_SG_EENS0_5tupleIJPiSJ_EEENSV_IJSJ_SJ_EEES6_PlJS6_EEE10hipError_tPvRmT3_T4_T5_T6_T7_T9_mT8_P12ihipStream_tbDpT10_ENKUlT_T0_E_clISt17integral_constantIbLb0EES1J_EEDaS1E_S1F_EUlS1E_E_NS1_11comp_targetILNS1_3genE3ELNS1_11target_archE908ELNS1_3gpuE7ELNS1_3repE0EEENS1_30default_config_static_selectorELNS0_4arch9wavefront6targetE1EEEvT1_,"axG",@progbits,_ZN7rocprim17ROCPRIM_400000_NS6detail17trampoline_kernelINS0_14default_configENS1_25partition_config_selectorILNS1_17partition_subalgoE2EiNS0_10empty_typeEbEEZZNS1_14partition_implILS5_2ELb0ES3_jN6thrust23THRUST_200600_302600_NS6detail15normal_iteratorINSA_7pointerIiNSA_11hip_rocprim3tagENSA_11use_defaultESG_EEEEPS6_NSA_18transform_iteratorI10is_orderedNSA_12zip_iteratorINSA_5tupleINSC_INSA_10device_ptrIiEEEESQ_NSA_9null_typeESR_SR_SR_SR_SR_SR_SR_EEEESG_SG_EENS0_5tupleIJPiSJ_EEENSV_IJSJ_SJ_EEES6_PlJS6_EEE10hipError_tPvRmT3_T4_T5_T6_T7_T9_mT8_P12ihipStream_tbDpT10_ENKUlT_T0_E_clISt17integral_constantIbLb0EES1J_EEDaS1E_S1F_EUlS1E_E_NS1_11comp_targetILNS1_3genE3ELNS1_11target_archE908ELNS1_3gpuE7ELNS1_3repE0EEENS1_30default_config_static_selectorELNS0_4arch9wavefront6targetE1EEEvT1_,comdat
.Lfunc_end3597:
	.size	_ZN7rocprim17ROCPRIM_400000_NS6detail17trampoline_kernelINS0_14default_configENS1_25partition_config_selectorILNS1_17partition_subalgoE2EiNS0_10empty_typeEbEEZZNS1_14partition_implILS5_2ELb0ES3_jN6thrust23THRUST_200600_302600_NS6detail15normal_iteratorINSA_7pointerIiNSA_11hip_rocprim3tagENSA_11use_defaultESG_EEEEPS6_NSA_18transform_iteratorI10is_orderedNSA_12zip_iteratorINSA_5tupleINSC_INSA_10device_ptrIiEEEESQ_NSA_9null_typeESR_SR_SR_SR_SR_SR_SR_EEEESG_SG_EENS0_5tupleIJPiSJ_EEENSV_IJSJ_SJ_EEES6_PlJS6_EEE10hipError_tPvRmT3_T4_T5_T6_T7_T9_mT8_P12ihipStream_tbDpT10_ENKUlT_T0_E_clISt17integral_constantIbLb0EES1J_EEDaS1E_S1F_EUlS1E_E_NS1_11comp_targetILNS1_3genE3ELNS1_11target_archE908ELNS1_3gpuE7ELNS1_3repE0EEENS1_30default_config_static_selectorELNS0_4arch9wavefront6targetE1EEEvT1_, .Lfunc_end3597-_ZN7rocprim17ROCPRIM_400000_NS6detail17trampoline_kernelINS0_14default_configENS1_25partition_config_selectorILNS1_17partition_subalgoE2EiNS0_10empty_typeEbEEZZNS1_14partition_implILS5_2ELb0ES3_jN6thrust23THRUST_200600_302600_NS6detail15normal_iteratorINSA_7pointerIiNSA_11hip_rocprim3tagENSA_11use_defaultESG_EEEEPS6_NSA_18transform_iteratorI10is_orderedNSA_12zip_iteratorINSA_5tupleINSC_INSA_10device_ptrIiEEEESQ_NSA_9null_typeESR_SR_SR_SR_SR_SR_SR_EEEESG_SG_EENS0_5tupleIJPiSJ_EEENSV_IJSJ_SJ_EEES6_PlJS6_EEE10hipError_tPvRmT3_T4_T5_T6_T7_T9_mT8_P12ihipStream_tbDpT10_ENKUlT_T0_E_clISt17integral_constantIbLb0EES1J_EEDaS1E_S1F_EUlS1E_E_NS1_11comp_targetILNS1_3genE3ELNS1_11target_archE908ELNS1_3gpuE7ELNS1_3repE0EEENS1_30default_config_static_selectorELNS0_4arch9wavefront6targetE1EEEvT1_
                                        ; -- End function
	.section	.AMDGPU.csdata,"",@progbits
; Kernel info:
; codeLenInByte = 0
; NumSgprs: 6
; NumVgprs: 0
; NumAgprs: 0
; TotalNumVgprs: 0
; ScratchSize: 0
; MemoryBound: 0
; FloatMode: 240
; IeeeMode: 1
; LDSByteSize: 0 bytes/workgroup (compile time only)
; SGPRBlocks: 0
; VGPRBlocks: 0
; NumSGPRsForWavesPerEU: 6
; NumVGPRsForWavesPerEU: 1
; AccumOffset: 4
; Occupancy: 8
; WaveLimiterHint : 0
; COMPUTE_PGM_RSRC2:SCRATCH_EN: 0
; COMPUTE_PGM_RSRC2:USER_SGPR: 2
; COMPUTE_PGM_RSRC2:TRAP_HANDLER: 0
; COMPUTE_PGM_RSRC2:TGID_X_EN: 1
; COMPUTE_PGM_RSRC2:TGID_Y_EN: 0
; COMPUTE_PGM_RSRC2:TGID_Z_EN: 0
; COMPUTE_PGM_RSRC2:TIDIG_COMP_CNT: 0
; COMPUTE_PGM_RSRC3_GFX90A:ACCUM_OFFSET: 0
; COMPUTE_PGM_RSRC3_GFX90A:TG_SPLIT: 0
	.section	.text._ZN7rocprim17ROCPRIM_400000_NS6detail17trampoline_kernelINS0_14default_configENS1_25partition_config_selectorILNS1_17partition_subalgoE2EiNS0_10empty_typeEbEEZZNS1_14partition_implILS5_2ELb0ES3_jN6thrust23THRUST_200600_302600_NS6detail15normal_iteratorINSA_7pointerIiNSA_11hip_rocprim3tagENSA_11use_defaultESG_EEEEPS6_NSA_18transform_iteratorI10is_orderedNSA_12zip_iteratorINSA_5tupleINSC_INSA_10device_ptrIiEEEESQ_NSA_9null_typeESR_SR_SR_SR_SR_SR_SR_EEEESG_SG_EENS0_5tupleIJPiSJ_EEENSV_IJSJ_SJ_EEES6_PlJS6_EEE10hipError_tPvRmT3_T4_T5_T6_T7_T9_mT8_P12ihipStream_tbDpT10_ENKUlT_T0_E_clISt17integral_constantIbLb0EES1J_EEDaS1E_S1F_EUlS1E_E_NS1_11comp_targetILNS1_3genE2ELNS1_11target_archE906ELNS1_3gpuE6ELNS1_3repE0EEENS1_30default_config_static_selectorELNS0_4arch9wavefront6targetE1EEEvT1_,"axG",@progbits,_ZN7rocprim17ROCPRIM_400000_NS6detail17trampoline_kernelINS0_14default_configENS1_25partition_config_selectorILNS1_17partition_subalgoE2EiNS0_10empty_typeEbEEZZNS1_14partition_implILS5_2ELb0ES3_jN6thrust23THRUST_200600_302600_NS6detail15normal_iteratorINSA_7pointerIiNSA_11hip_rocprim3tagENSA_11use_defaultESG_EEEEPS6_NSA_18transform_iteratorI10is_orderedNSA_12zip_iteratorINSA_5tupleINSC_INSA_10device_ptrIiEEEESQ_NSA_9null_typeESR_SR_SR_SR_SR_SR_SR_EEEESG_SG_EENS0_5tupleIJPiSJ_EEENSV_IJSJ_SJ_EEES6_PlJS6_EEE10hipError_tPvRmT3_T4_T5_T6_T7_T9_mT8_P12ihipStream_tbDpT10_ENKUlT_T0_E_clISt17integral_constantIbLb0EES1J_EEDaS1E_S1F_EUlS1E_E_NS1_11comp_targetILNS1_3genE2ELNS1_11target_archE906ELNS1_3gpuE6ELNS1_3repE0EEENS1_30default_config_static_selectorELNS0_4arch9wavefront6targetE1EEEvT1_,comdat
	.protected	_ZN7rocprim17ROCPRIM_400000_NS6detail17trampoline_kernelINS0_14default_configENS1_25partition_config_selectorILNS1_17partition_subalgoE2EiNS0_10empty_typeEbEEZZNS1_14partition_implILS5_2ELb0ES3_jN6thrust23THRUST_200600_302600_NS6detail15normal_iteratorINSA_7pointerIiNSA_11hip_rocprim3tagENSA_11use_defaultESG_EEEEPS6_NSA_18transform_iteratorI10is_orderedNSA_12zip_iteratorINSA_5tupleINSC_INSA_10device_ptrIiEEEESQ_NSA_9null_typeESR_SR_SR_SR_SR_SR_SR_EEEESG_SG_EENS0_5tupleIJPiSJ_EEENSV_IJSJ_SJ_EEES6_PlJS6_EEE10hipError_tPvRmT3_T4_T5_T6_T7_T9_mT8_P12ihipStream_tbDpT10_ENKUlT_T0_E_clISt17integral_constantIbLb0EES1J_EEDaS1E_S1F_EUlS1E_E_NS1_11comp_targetILNS1_3genE2ELNS1_11target_archE906ELNS1_3gpuE6ELNS1_3repE0EEENS1_30default_config_static_selectorELNS0_4arch9wavefront6targetE1EEEvT1_ ; -- Begin function _ZN7rocprim17ROCPRIM_400000_NS6detail17trampoline_kernelINS0_14default_configENS1_25partition_config_selectorILNS1_17partition_subalgoE2EiNS0_10empty_typeEbEEZZNS1_14partition_implILS5_2ELb0ES3_jN6thrust23THRUST_200600_302600_NS6detail15normal_iteratorINSA_7pointerIiNSA_11hip_rocprim3tagENSA_11use_defaultESG_EEEEPS6_NSA_18transform_iteratorI10is_orderedNSA_12zip_iteratorINSA_5tupleINSC_INSA_10device_ptrIiEEEESQ_NSA_9null_typeESR_SR_SR_SR_SR_SR_SR_EEEESG_SG_EENS0_5tupleIJPiSJ_EEENSV_IJSJ_SJ_EEES6_PlJS6_EEE10hipError_tPvRmT3_T4_T5_T6_T7_T9_mT8_P12ihipStream_tbDpT10_ENKUlT_T0_E_clISt17integral_constantIbLb0EES1J_EEDaS1E_S1F_EUlS1E_E_NS1_11comp_targetILNS1_3genE2ELNS1_11target_archE906ELNS1_3gpuE6ELNS1_3repE0EEENS1_30default_config_static_selectorELNS0_4arch9wavefront6targetE1EEEvT1_
	.globl	_ZN7rocprim17ROCPRIM_400000_NS6detail17trampoline_kernelINS0_14default_configENS1_25partition_config_selectorILNS1_17partition_subalgoE2EiNS0_10empty_typeEbEEZZNS1_14partition_implILS5_2ELb0ES3_jN6thrust23THRUST_200600_302600_NS6detail15normal_iteratorINSA_7pointerIiNSA_11hip_rocprim3tagENSA_11use_defaultESG_EEEEPS6_NSA_18transform_iteratorI10is_orderedNSA_12zip_iteratorINSA_5tupleINSC_INSA_10device_ptrIiEEEESQ_NSA_9null_typeESR_SR_SR_SR_SR_SR_SR_EEEESG_SG_EENS0_5tupleIJPiSJ_EEENSV_IJSJ_SJ_EEES6_PlJS6_EEE10hipError_tPvRmT3_T4_T5_T6_T7_T9_mT8_P12ihipStream_tbDpT10_ENKUlT_T0_E_clISt17integral_constantIbLb0EES1J_EEDaS1E_S1F_EUlS1E_E_NS1_11comp_targetILNS1_3genE2ELNS1_11target_archE906ELNS1_3gpuE6ELNS1_3repE0EEENS1_30default_config_static_selectorELNS0_4arch9wavefront6targetE1EEEvT1_
	.p2align	8
	.type	_ZN7rocprim17ROCPRIM_400000_NS6detail17trampoline_kernelINS0_14default_configENS1_25partition_config_selectorILNS1_17partition_subalgoE2EiNS0_10empty_typeEbEEZZNS1_14partition_implILS5_2ELb0ES3_jN6thrust23THRUST_200600_302600_NS6detail15normal_iteratorINSA_7pointerIiNSA_11hip_rocprim3tagENSA_11use_defaultESG_EEEEPS6_NSA_18transform_iteratorI10is_orderedNSA_12zip_iteratorINSA_5tupleINSC_INSA_10device_ptrIiEEEESQ_NSA_9null_typeESR_SR_SR_SR_SR_SR_SR_EEEESG_SG_EENS0_5tupleIJPiSJ_EEENSV_IJSJ_SJ_EEES6_PlJS6_EEE10hipError_tPvRmT3_T4_T5_T6_T7_T9_mT8_P12ihipStream_tbDpT10_ENKUlT_T0_E_clISt17integral_constantIbLb0EES1J_EEDaS1E_S1F_EUlS1E_E_NS1_11comp_targetILNS1_3genE2ELNS1_11target_archE906ELNS1_3gpuE6ELNS1_3repE0EEENS1_30default_config_static_selectorELNS0_4arch9wavefront6targetE1EEEvT1_,@function
_ZN7rocprim17ROCPRIM_400000_NS6detail17trampoline_kernelINS0_14default_configENS1_25partition_config_selectorILNS1_17partition_subalgoE2EiNS0_10empty_typeEbEEZZNS1_14partition_implILS5_2ELb0ES3_jN6thrust23THRUST_200600_302600_NS6detail15normal_iteratorINSA_7pointerIiNSA_11hip_rocprim3tagENSA_11use_defaultESG_EEEEPS6_NSA_18transform_iteratorI10is_orderedNSA_12zip_iteratorINSA_5tupleINSC_INSA_10device_ptrIiEEEESQ_NSA_9null_typeESR_SR_SR_SR_SR_SR_SR_EEEESG_SG_EENS0_5tupleIJPiSJ_EEENSV_IJSJ_SJ_EEES6_PlJS6_EEE10hipError_tPvRmT3_T4_T5_T6_T7_T9_mT8_P12ihipStream_tbDpT10_ENKUlT_T0_E_clISt17integral_constantIbLb0EES1J_EEDaS1E_S1F_EUlS1E_E_NS1_11comp_targetILNS1_3genE2ELNS1_11target_archE906ELNS1_3gpuE6ELNS1_3repE0EEENS1_30default_config_static_selectorELNS0_4arch9wavefront6targetE1EEEvT1_: ; @_ZN7rocprim17ROCPRIM_400000_NS6detail17trampoline_kernelINS0_14default_configENS1_25partition_config_selectorILNS1_17partition_subalgoE2EiNS0_10empty_typeEbEEZZNS1_14partition_implILS5_2ELb0ES3_jN6thrust23THRUST_200600_302600_NS6detail15normal_iteratorINSA_7pointerIiNSA_11hip_rocprim3tagENSA_11use_defaultESG_EEEEPS6_NSA_18transform_iteratorI10is_orderedNSA_12zip_iteratorINSA_5tupleINSC_INSA_10device_ptrIiEEEESQ_NSA_9null_typeESR_SR_SR_SR_SR_SR_SR_EEEESG_SG_EENS0_5tupleIJPiSJ_EEENSV_IJSJ_SJ_EEES6_PlJS6_EEE10hipError_tPvRmT3_T4_T5_T6_T7_T9_mT8_P12ihipStream_tbDpT10_ENKUlT_T0_E_clISt17integral_constantIbLb0EES1J_EEDaS1E_S1F_EUlS1E_E_NS1_11comp_targetILNS1_3genE2ELNS1_11target_archE906ELNS1_3gpuE6ELNS1_3repE0EEENS1_30default_config_static_selectorELNS0_4arch9wavefront6targetE1EEEvT1_
; %bb.0:
	.section	.rodata,"a",@progbits
	.p2align	6, 0x0
	.amdhsa_kernel _ZN7rocprim17ROCPRIM_400000_NS6detail17trampoline_kernelINS0_14default_configENS1_25partition_config_selectorILNS1_17partition_subalgoE2EiNS0_10empty_typeEbEEZZNS1_14partition_implILS5_2ELb0ES3_jN6thrust23THRUST_200600_302600_NS6detail15normal_iteratorINSA_7pointerIiNSA_11hip_rocprim3tagENSA_11use_defaultESG_EEEEPS6_NSA_18transform_iteratorI10is_orderedNSA_12zip_iteratorINSA_5tupleINSC_INSA_10device_ptrIiEEEESQ_NSA_9null_typeESR_SR_SR_SR_SR_SR_SR_EEEESG_SG_EENS0_5tupleIJPiSJ_EEENSV_IJSJ_SJ_EEES6_PlJS6_EEE10hipError_tPvRmT3_T4_T5_T6_T7_T9_mT8_P12ihipStream_tbDpT10_ENKUlT_T0_E_clISt17integral_constantIbLb0EES1J_EEDaS1E_S1F_EUlS1E_E_NS1_11comp_targetILNS1_3genE2ELNS1_11target_archE906ELNS1_3gpuE6ELNS1_3repE0EEENS1_30default_config_static_selectorELNS0_4arch9wavefront6targetE1EEEvT1_
		.amdhsa_group_segment_fixed_size 0
		.amdhsa_private_segment_fixed_size 0
		.amdhsa_kernarg_size 136
		.amdhsa_user_sgpr_count 2
		.amdhsa_user_sgpr_dispatch_ptr 0
		.amdhsa_user_sgpr_queue_ptr 0
		.amdhsa_user_sgpr_kernarg_segment_ptr 1
		.amdhsa_user_sgpr_dispatch_id 0
		.amdhsa_user_sgpr_kernarg_preload_length 0
		.amdhsa_user_sgpr_kernarg_preload_offset 0
		.amdhsa_user_sgpr_private_segment_size 0
		.amdhsa_uses_dynamic_stack 0
		.amdhsa_enable_private_segment 0
		.amdhsa_system_sgpr_workgroup_id_x 1
		.amdhsa_system_sgpr_workgroup_id_y 0
		.amdhsa_system_sgpr_workgroup_id_z 0
		.amdhsa_system_sgpr_workgroup_info 0
		.amdhsa_system_vgpr_workitem_id 0
		.amdhsa_next_free_vgpr 1
		.amdhsa_next_free_sgpr 0
		.amdhsa_accum_offset 4
		.amdhsa_reserve_vcc 0
		.amdhsa_float_round_mode_32 0
		.amdhsa_float_round_mode_16_64 0
		.amdhsa_float_denorm_mode_32 3
		.amdhsa_float_denorm_mode_16_64 3
		.amdhsa_dx10_clamp 1
		.amdhsa_ieee_mode 1
		.amdhsa_fp16_overflow 0
		.amdhsa_tg_split 0
		.amdhsa_exception_fp_ieee_invalid_op 0
		.amdhsa_exception_fp_denorm_src 0
		.amdhsa_exception_fp_ieee_div_zero 0
		.amdhsa_exception_fp_ieee_overflow 0
		.amdhsa_exception_fp_ieee_underflow 0
		.amdhsa_exception_fp_ieee_inexact 0
		.amdhsa_exception_int_div_zero 0
	.end_amdhsa_kernel
	.section	.text._ZN7rocprim17ROCPRIM_400000_NS6detail17trampoline_kernelINS0_14default_configENS1_25partition_config_selectorILNS1_17partition_subalgoE2EiNS0_10empty_typeEbEEZZNS1_14partition_implILS5_2ELb0ES3_jN6thrust23THRUST_200600_302600_NS6detail15normal_iteratorINSA_7pointerIiNSA_11hip_rocprim3tagENSA_11use_defaultESG_EEEEPS6_NSA_18transform_iteratorI10is_orderedNSA_12zip_iteratorINSA_5tupleINSC_INSA_10device_ptrIiEEEESQ_NSA_9null_typeESR_SR_SR_SR_SR_SR_SR_EEEESG_SG_EENS0_5tupleIJPiSJ_EEENSV_IJSJ_SJ_EEES6_PlJS6_EEE10hipError_tPvRmT3_T4_T5_T6_T7_T9_mT8_P12ihipStream_tbDpT10_ENKUlT_T0_E_clISt17integral_constantIbLb0EES1J_EEDaS1E_S1F_EUlS1E_E_NS1_11comp_targetILNS1_3genE2ELNS1_11target_archE906ELNS1_3gpuE6ELNS1_3repE0EEENS1_30default_config_static_selectorELNS0_4arch9wavefront6targetE1EEEvT1_,"axG",@progbits,_ZN7rocprim17ROCPRIM_400000_NS6detail17trampoline_kernelINS0_14default_configENS1_25partition_config_selectorILNS1_17partition_subalgoE2EiNS0_10empty_typeEbEEZZNS1_14partition_implILS5_2ELb0ES3_jN6thrust23THRUST_200600_302600_NS6detail15normal_iteratorINSA_7pointerIiNSA_11hip_rocprim3tagENSA_11use_defaultESG_EEEEPS6_NSA_18transform_iteratorI10is_orderedNSA_12zip_iteratorINSA_5tupleINSC_INSA_10device_ptrIiEEEESQ_NSA_9null_typeESR_SR_SR_SR_SR_SR_SR_EEEESG_SG_EENS0_5tupleIJPiSJ_EEENSV_IJSJ_SJ_EEES6_PlJS6_EEE10hipError_tPvRmT3_T4_T5_T6_T7_T9_mT8_P12ihipStream_tbDpT10_ENKUlT_T0_E_clISt17integral_constantIbLb0EES1J_EEDaS1E_S1F_EUlS1E_E_NS1_11comp_targetILNS1_3genE2ELNS1_11target_archE906ELNS1_3gpuE6ELNS1_3repE0EEENS1_30default_config_static_selectorELNS0_4arch9wavefront6targetE1EEEvT1_,comdat
.Lfunc_end3598:
	.size	_ZN7rocprim17ROCPRIM_400000_NS6detail17trampoline_kernelINS0_14default_configENS1_25partition_config_selectorILNS1_17partition_subalgoE2EiNS0_10empty_typeEbEEZZNS1_14partition_implILS5_2ELb0ES3_jN6thrust23THRUST_200600_302600_NS6detail15normal_iteratorINSA_7pointerIiNSA_11hip_rocprim3tagENSA_11use_defaultESG_EEEEPS6_NSA_18transform_iteratorI10is_orderedNSA_12zip_iteratorINSA_5tupleINSC_INSA_10device_ptrIiEEEESQ_NSA_9null_typeESR_SR_SR_SR_SR_SR_SR_EEEESG_SG_EENS0_5tupleIJPiSJ_EEENSV_IJSJ_SJ_EEES6_PlJS6_EEE10hipError_tPvRmT3_T4_T5_T6_T7_T9_mT8_P12ihipStream_tbDpT10_ENKUlT_T0_E_clISt17integral_constantIbLb0EES1J_EEDaS1E_S1F_EUlS1E_E_NS1_11comp_targetILNS1_3genE2ELNS1_11target_archE906ELNS1_3gpuE6ELNS1_3repE0EEENS1_30default_config_static_selectorELNS0_4arch9wavefront6targetE1EEEvT1_, .Lfunc_end3598-_ZN7rocprim17ROCPRIM_400000_NS6detail17trampoline_kernelINS0_14default_configENS1_25partition_config_selectorILNS1_17partition_subalgoE2EiNS0_10empty_typeEbEEZZNS1_14partition_implILS5_2ELb0ES3_jN6thrust23THRUST_200600_302600_NS6detail15normal_iteratorINSA_7pointerIiNSA_11hip_rocprim3tagENSA_11use_defaultESG_EEEEPS6_NSA_18transform_iteratorI10is_orderedNSA_12zip_iteratorINSA_5tupleINSC_INSA_10device_ptrIiEEEESQ_NSA_9null_typeESR_SR_SR_SR_SR_SR_SR_EEEESG_SG_EENS0_5tupleIJPiSJ_EEENSV_IJSJ_SJ_EEES6_PlJS6_EEE10hipError_tPvRmT3_T4_T5_T6_T7_T9_mT8_P12ihipStream_tbDpT10_ENKUlT_T0_E_clISt17integral_constantIbLb0EES1J_EEDaS1E_S1F_EUlS1E_E_NS1_11comp_targetILNS1_3genE2ELNS1_11target_archE906ELNS1_3gpuE6ELNS1_3repE0EEENS1_30default_config_static_selectorELNS0_4arch9wavefront6targetE1EEEvT1_
                                        ; -- End function
	.section	.AMDGPU.csdata,"",@progbits
; Kernel info:
; codeLenInByte = 0
; NumSgprs: 6
; NumVgprs: 0
; NumAgprs: 0
; TotalNumVgprs: 0
; ScratchSize: 0
; MemoryBound: 0
; FloatMode: 240
; IeeeMode: 1
; LDSByteSize: 0 bytes/workgroup (compile time only)
; SGPRBlocks: 0
; VGPRBlocks: 0
; NumSGPRsForWavesPerEU: 6
; NumVGPRsForWavesPerEU: 1
; AccumOffset: 4
; Occupancy: 8
; WaveLimiterHint : 0
; COMPUTE_PGM_RSRC2:SCRATCH_EN: 0
; COMPUTE_PGM_RSRC2:USER_SGPR: 2
; COMPUTE_PGM_RSRC2:TRAP_HANDLER: 0
; COMPUTE_PGM_RSRC2:TGID_X_EN: 1
; COMPUTE_PGM_RSRC2:TGID_Y_EN: 0
; COMPUTE_PGM_RSRC2:TGID_Z_EN: 0
; COMPUTE_PGM_RSRC2:TIDIG_COMP_CNT: 0
; COMPUTE_PGM_RSRC3_GFX90A:ACCUM_OFFSET: 0
; COMPUTE_PGM_RSRC3_GFX90A:TG_SPLIT: 0
	.section	.text._ZN7rocprim17ROCPRIM_400000_NS6detail17trampoline_kernelINS0_14default_configENS1_25partition_config_selectorILNS1_17partition_subalgoE2EiNS0_10empty_typeEbEEZZNS1_14partition_implILS5_2ELb0ES3_jN6thrust23THRUST_200600_302600_NS6detail15normal_iteratorINSA_7pointerIiNSA_11hip_rocprim3tagENSA_11use_defaultESG_EEEEPS6_NSA_18transform_iteratorI10is_orderedNSA_12zip_iteratorINSA_5tupleINSC_INSA_10device_ptrIiEEEESQ_NSA_9null_typeESR_SR_SR_SR_SR_SR_SR_EEEESG_SG_EENS0_5tupleIJPiSJ_EEENSV_IJSJ_SJ_EEES6_PlJS6_EEE10hipError_tPvRmT3_T4_T5_T6_T7_T9_mT8_P12ihipStream_tbDpT10_ENKUlT_T0_E_clISt17integral_constantIbLb0EES1J_EEDaS1E_S1F_EUlS1E_E_NS1_11comp_targetILNS1_3genE10ELNS1_11target_archE1200ELNS1_3gpuE4ELNS1_3repE0EEENS1_30default_config_static_selectorELNS0_4arch9wavefront6targetE1EEEvT1_,"axG",@progbits,_ZN7rocprim17ROCPRIM_400000_NS6detail17trampoline_kernelINS0_14default_configENS1_25partition_config_selectorILNS1_17partition_subalgoE2EiNS0_10empty_typeEbEEZZNS1_14partition_implILS5_2ELb0ES3_jN6thrust23THRUST_200600_302600_NS6detail15normal_iteratorINSA_7pointerIiNSA_11hip_rocprim3tagENSA_11use_defaultESG_EEEEPS6_NSA_18transform_iteratorI10is_orderedNSA_12zip_iteratorINSA_5tupleINSC_INSA_10device_ptrIiEEEESQ_NSA_9null_typeESR_SR_SR_SR_SR_SR_SR_EEEESG_SG_EENS0_5tupleIJPiSJ_EEENSV_IJSJ_SJ_EEES6_PlJS6_EEE10hipError_tPvRmT3_T4_T5_T6_T7_T9_mT8_P12ihipStream_tbDpT10_ENKUlT_T0_E_clISt17integral_constantIbLb0EES1J_EEDaS1E_S1F_EUlS1E_E_NS1_11comp_targetILNS1_3genE10ELNS1_11target_archE1200ELNS1_3gpuE4ELNS1_3repE0EEENS1_30default_config_static_selectorELNS0_4arch9wavefront6targetE1EEEvT1_,comdat
	.protected	_ZN7rocprim17ROCPRIM_400000_NS6detail17trampoline_kernelINS0_14default_configENS1_25partition_config_selectorILNS1_17partition_subalgoE2EiNS0_10empty_typeEbEEZZNS1_14partition_implILS5_2ELb0ES3_jN6thrust23THRUST_200600_302600_NS6detail15normal_iteratorINSA_7pointerIiNSA_11hip_rocprim3tagENSA_11use_defaultESG_EEEEPS6_NSA_18transform_iteratorI10is_orderedNSA_12zip_iteratorINSA_5tupleINSC_INSA_10device_ptrIiEEEESQ_NSA_9null_typeESR_SR_SR_SR_SR_SR_SR_EEEESG_SG_EENS0_5tupleIJPiSJ_EEENSV_IJSJ_SJ_EEES6_PlJS6_EEE10hipError_tPvRmT3_T4_T5_T6_T7_T9_mT8_P12ihipStream_tbDpT10_ENKUlT_T0_E_clISt17integral_constantIbLb0EES1J_EEDaS1E_S1F_EUlS1E_E_NS1_11comp_targetILNS1_3genE10ELNS1_11target_archE1200ELNS1_3gpuE4ELNS1_3repE0EEENS1_30default_config_static_selectorELNS0_4arch9wavefront6targetE1EEEvT1_ ; -- Begin function _ZN7rocprim17ROCPRIM_400000_NS6detail17trampoline_kernelINS0_14default_configENS1_25partition_config_selectorILNS1_17partition_subalgoE2EiNS0_10empty_typeEbEEZZNS1_14partition_implILS5_2ELb0ES3_jN6thrust23THRUST_200600_302600_NS6detail15normal_iteratorINSA_7pointerIiNSA_11hip_rocprim3tagENSA_11use_defaultESG_EEEEPS6_NSA_18transform_iteratorI10is_orderedNSA_12zip_iteratorINSA_5tupleINSC_INSA_10device_ptrIiEEEESQ_NSA_9null_typeESR_SR_SR_SR_SR_SR_SR_EEEESG_SG_EENS0_5tupleIJPiSJ_EEENSV_IJSJ_SJ_EEES6_PlJS6_EEE10hipError_tPvRmT3_T4_T5_T6_T7_T9_mT8_P12ihipStream_tbDpT10_ENKUlT_T0_E_clISt17integral_constantIbLb0EES1J_EEDaS1E_S1F_EUlS1E_E_NS1_11comp_targetILNS1_3genE10ELNS1_11target_archE1200ELNS1_3gpuE4ELNS1_3repE0EEENS1_30default_config_static_selectorELNS0_4arch9wavefront6targetE1EEEvT1_
	.globl	_ZN7rocprim17ROCPRIM_400000_NS6detail17trampoline_kernelINS0_14default_configENS1_25partition_config_selectorILNS1_17partition_subalgoE2EiNS0_10empty_typeEbEEZZNS1_14partition_implILS5_2ELb0ES3_jN6thrust23THRUST_200600_302600_NS6detail15normal_iteratorINSA_7pointerIiNSA_11hip_rocprim3tagENSA_11use_defaultESG_EEEEPS6_NSA_18transform_iteratorI10is_orderedNSA_12zip_iteratorINSA_5tupleINSC_INSA_10device_ptrIiEEEESQ_NSA_9null_typeESR_SR_SR_SR_SR_SR_SR_EEEESG_SG_EENS0_5tupleIJPiSJ_EEENSV_IJSJ_SJ_EEES6_PlJS6_EEE10hipError_tPvRmT3_T4_T5_T6_T7_T9_mT8_P12ihipStream_tbDpT10_ENKUlT_T0_E_clISt17integral_constantIbLb0EES1J_EEDaS1E_S1F_EUlS1E_E_NS1_11comp_targetILNS1_3genE10ELNS1_11target_archE1200ELNS1_3gpuE4ELNS1_3repE0EEENS1_30default_config_static_selectorELNS0_4arch9wavefront6targetE1EEEvT1_
	.p2align	8
	.type	_ZN7rocprim17ROCPRIM_400000_NS6detail17trampoline_kernelINS0_14default_configENS1_25partition_config_selectorILNS1_17partition_subalgoE2EiNS0_10empty_typeEbEEZZNS1_14partition_implILS5_2ELb0ES3_jN6thrust23THRUST_200600_302600_NS6detail15normal_iteratorINSA_7pointerIiNSA_11hip_rocprim3tagENSA_11use_defaultESG_EEEEPS6_NSA_18transform_iteratorI10is_orderedNSA_12zip_iteratorINSA_5tupleINSC_INSA_10device_ptrIiEEEESQ_NSA_9null_typeESR_SR_SR_SR_SR_SR_SR_EEEESG_SG_EENS0_5tupleIJPiSJ_EEENSV_IJSJ_SJ_EEES6_PlJS6_EEE10hipError_tPvRmT3_T4_T5_T6_T7_T9_mT8_P12ihipStream_tbDpT10_ENKUlT_T0_E_clISt17integral_constantIbLb0EES1J_EEDaS1E_S1F_EUlS1E_E_NS1_11comp_targetILNS1_3genE10ELNS1_11target_archE1200ELNS1_3gpuE4ELNS1_3repE0EEENS1_30default_config_static_selectorELNS0_4arch9wavefront6targetE1EEEvT1_,@function
_ZN7rocprim17ROCPRIM_400000_NS6detail17trampoline_kernelINS0_14default_configENS1_25partition_config_selectorILNS1_17partition_subalgoE2EiNS0_10empty_typeEbEEZZNS1_14partition_implILS5_2ELb0ES3_jN6thrust23THRUST_200600_302600_NS6detail15normal_iteratorINSA_7pointerIiNSA_11hip_rocprim3tagENSA_11use_defaultESG_EEEEPS6_NSA_18transform_iteratorI10is_orderedNSA_12zip_iteratorINSA_5tupleINSC_INSA_10device_ptrIiEEEESQ_NSA_9null_typeESR_SR_SR_SR_SR_SR_SR_EEEESG_SG_EENS0_5tupleIJPiSJ_EEENSV_IJSJ_SJ_EEES6_PlJS6_EEE10hipError_tPvRmT3_T4_T5_T6_T7_T9_mT8_P12ihipStream_tbDpT10_ENKUlT_T0_E_clISt17integral_constantIbLb0EES1J_EEDaS1E_S1F_EUlS1E_E_NS1_11comp_targetILNS1_3genE10ELNS1_11target_archE1200ELNS1_3gpuE4ELNS1_3repE0EEENS1_30default_config_static_selectorELNS0_4arch9wavefront6targetE1EEEvT1_: ; @_ZN7rocprim17ROCPRIM_400000_NS6detail17trampoline_kernelINS0_14default_configENS1_25partition_config_selectorILNS1_17partition_subalgoE2EiNS0_10empty_typeEbEEZZNS1_14partition_implILS5_2ELb0ES3_jN6thrust23THRUST_200600_302600_NS6detail15normal_iteratorINSA_7pointerIiNSA_11hip_rocprim3tagENSA_11use_defaultESG_EEEEPS6_NSA_18transform_iteratorI10is_orderedNSA_12zip_iteratorINSA_5tupleINSC_INSA_10device_ptrIiEEEESQ_NSA_9null_typeESR_SR_SR_SR_SR_SR_SR_EEEESG_SG_EENS0_5tupleIJPiSJ_EEENSV_IJSJ_SJ_EEES6_PlJS6_EEE10hipError_tPvRmT3_T4_T5_T6_T7_T9_mT8_P12ihipStream_tbDpT10_ENKUlT_T0_E_clISt17integral_constantIbLb0EES1J_EEDaS1E_S1F_EUlS1E_E_NS1_11comp_targetILNS1_3genE10ELNS1_11target_archE1200ELNS1_3gpuE4ELNS1_3repE0EEENS1_30default_config_static_selectorELNS0_4arch9wavefront6targetE1EEEvT1_
; %bb.0:
	.section	.rodata,"a",@progbits
	.p2align	6, 0x0
	.amdhsa_kernel _ZN7rocprim17ROCPRIM_400000_NS6detail17trampoline_kernelINS0_14default_configENS1_25partition_config_selectorILNS1_17partition_subalgoE2EiNS0_10empty_typeEbEEZZNS1_14partition_implILS5_2ELb0ES3_jN6thrust23THRUST_200600_302600_NS6detail15normal_iteratorINSA_7pointerIiNSA_11hip_rocprim3tagENSA_11use_defaultESG_EEEEPS6_NSA_18transform_iteratorI10is_orderedNSA_12zip_iteratorINSA_5tupleINSC_INSA_10device_ptrIiEEEESQ_NSA_9null_typeESR_SR_SR_SR_SR_SR_SR_EEEESG_SG_EENS0_5tupleIJPiSJ_EEENSV_IJSJ_SJ_EEES6_PlJS6_EEE10hipError_tPvRmT3_T4_T5_T6_T7_T9_mT8_P12ihipStream_tbDpT10_ENKUlT_T0_E_clISt17integral_constantIbLb0EES1J_EEDaS1E_S1F_EUlS1E_E_NS1_11comp_targetILNS1_3genE10ELNS1_11target_archE1200ELNS1_3gpuE4ELNS1_3repE0EEENS1_30default_config_static_selectorELNS0_4arch9wavefront6targetE1EEEvT1_
		.amdhsa_group_segment_fixed_size 0
		.amdhsa_private_segment_fixed_size 0
		.amdhsa_kernarg_size 136
		.amdhsa_user_sgpr_count 2
		.amdhsa_user_sgpr_dispatch_ptr 0
		.amdhsa_user_sgpr_queue_ptr 0
		.amdhsa_user_sgpr_kernarg_segment_ptr 1
		.amdhsa_user_sgpr_dispatch_id 0
		.amdhsa_user_sgpr_kernarg_preload_length 0
		.amdhsa_user_sgpr_kernarg_preload_offset 0
		.amdhsa_user_sgpr_private_segment_size 0
		.amdhsa_uses_dynamic_stack 0
		.amdhsa_enable_private_segment 0
		.amdhsa_system_sgpr_workgroup_id_x 1
		.amdhsa_system_sgpr_workgroup_id_y 0
		.amdhsa_system_sgpr_workgroup_id_z 0
		.amdhsa_system_sgpr_workgroup_info 0
		.amdhsa_system_vgpr_workitem_id 0
		.amdhsa_next_free_vgpr 1
		.amdhsa_next_free_sgpr 0
		.amdhsa_accum_offset 4
		.amdhsa_reserve_vcc 0
		.amdhsa_float_round_mode_32 0
		.amdhsa_float_round_mode_16_64 0
		.amdhsa_float_denorm_mode_32 3
		.amdhsa_float_denorm_mode_16_64 3
		.amdhsa_dx10_clamp 1
		.amdhsa_ieee_mode 1
		.amdhsa_fp16_overflow 0
		.amdhsa_tg_split 0
		.amdhsa_exception_fp_ieee_invalid_op 0
		.amdhsa_exception_fp_denorm_src 0
		.amdhsa_exception_fp_ieee_div_zero 0
		.amdhsa_exception_fp_ieee_overflow 0
		.amdhsa_exception_fp_ieee_underflow 0
		.amdhsa_exception_fp_ieee_inexact 0
		.amdhsa_exception_int_div_zero 0
	.end_amdhsa_kernel
	.section	.text._ZN7rocprim17ROCPRIM_400000_NS6detail17trampoline_kernelINS0_14default_configENS1_25partition_config_selectorILNS1_17partition_subalgoE2EiNS0_10empty_typeEbEEZZNS1_14partition_implILS5_2ELb0ES3_jN6thrust23THRUST_200600_302600_NS6detail15normal_iteratorINSA_7pointerIiNSA_11hip_rocprim3tagENSA_11use_defaultESG_EEEEPS6_NSA_18transform_iteratorI10is_orderedNSA_12zip_iteratorINSA_5tupleINSC_INSA_10device_ptrIiEEEESQ_NSA_9null_typeESR_SR_SR_SR_SR_SR_SR_EEEESG_SG_EENS0_5tupleIJPiSJ_EEENSV_IJSJ_SJ_EEES6_PlJS6_EEE10hipError_tPvRmT3_T4_T5_T6_T7_T9_mT8_P12ihipStream_tbDpT10_ENKUlT_T0_E_clISt17integral_constantIbLb0EES1J_EEDaS1E_S1F_EUlS1E_E_NS1_11comp_targetILNS1_3genE10ELNS1_11target_archE1200ELNS1_3gpuE4ELNS1_3repE0EEENS1_30default_config_static_selectorELNS0_4arch9wavefront6targetE1EEEvT1_,"axG",@progbits,_ZN7rocprim17ROCPRIM_400000_NS6detail17trampoline_kernelINS0_14default_configENS1_25partition_config_selectorILNS1_17partition_subalgoE2EiNS0_10empty_typeEbEEZZNS1_14partition_implILS5_2ELb0ES3_jN6thrust23THRUST_200600_302600_NS6detail15normal_iteratorINSA_7pointerIiNSA_11hip_rocprim3tagENSA_11use_defaultESG_EEEEPS6_NSA_18transform_iteratorI10is_orderedNSA_12zip_iteratorINSA_5tupleINSC_INSA_10device_ptrIiEEEESQ_NSA_9null_typeESR_SR_SR_SR_SR_SR_SR_EEEESG_SG_EENS0_5tupleIJPiSJ_EEENSV_IJSJ_SJ_EEES6_PlJS6_EEE10hipError_tPvRmT3_T4_T5_T6_T7_T9_mT8_P12ihipStream_tbDpT10_ENKUlT_T0_E_clISt17integral_constantIbLb0EES1J_EEDaS1E_S1F_EUlS1E_E_NS1_11comp_targetILNS1_3genE10ELNS1_11target_archE1200ELNS1_3gpuE4ELNS1_3repE0EEENS1_30default_config_static_selectorELNS0_4arch9wavefront6targetE1EEEvT1_,comdat
.Lfunc_end3599:
	.size	_ZN7rocprim17ROCPRIM_400000_NS6detail17trampoline_kernelINS0_14default_configENS1_25partition_config_selectorILNS1_17partition_subalgoE2EiNS0_10empty_typeEbEEZZNS1_14partition_implILS5_2ELb0ES3_jN6thrust23THRUST_200600_302600_NS6detail15normal_iteratorINSA_7pointerIiNSA_11hip_rocprim3tagENSA_11use_defaultESG_EEEEPS6_NSA_18transform_iteratorI10is_orderedNSA_12zip_iteratorINSA_5tupleINSC_INSA_10device_ptrIiEEEESQ_NSA_9null_typeESR_SR_SR_SR_SR_SR_SR_EEEESG_SG_EENS0_5tupleIJPiSJ_EEENSV_IJSJ_SJ_EEES6_PlJS6_EEE10hipError_tPvRmT3_T4_T5_T6_T7_T9_mT8_P12ihipStream_tbDpT10_ENKUlT_T0_E_clISt17integral_constantIbLb0EES1J_EEDaS1E_S1F_EUlS1E_E_NS1_11comp_targetILNS1_3genE10ELNS1_11target_archE1200ELNS1_3gpuE4ELNS1_3repE0EEENS1_30default_config_static_selectorELNS0_4arch9wavefront6targetE1EEEvT1_, .Lfunc_end3599-_ZN7rocprim17ROCPRIM_400000_NS6detail17trampoline_kernelINS0_14default_configENS1_25partition_config_selectorILNS1_17partition_subalgoE2EiNS0_10empty_typeEbEEZZNS1_14partition_implILS5_2ELb0ES3_jN6thrust23THRUST_200600_302600_NS6detail15normal_iteratorINSA_7pointerIiNSA_11hip_rocprim3tagENSA_11use_defaultESG_EEEEPS6_NSA_18transform_iteratorI10is_orderedNSA_12zip_iteratorINSA_5tupleINSC_INSA_10device_ptrIiEEEESQ_NSA_9null_typeESR_SR_SR_SR_SR_SR_SR_EEEESG_SG_EENS0_5tupleIJPiSJ_EEENSV_IJSJ_SJ_EEES6_PlJS6_EEE10hipError_tPvRmT3_T4_T5_T6_T7_T9_mT8_P12ihipStream_tbDpT10_ENKUlT_T0_E_clISt17integral_constantIbLb0EES1J_EEDaS1E_S1F_EUlS1E_E_NS1_11comp_targetILNS1_3genE10ELNS1_11target_archE1200ELNS1_3gpuE4ELNS1_3repE0EEENS1_30default_config_static_selectorELNS0_4arch9wavefront6targetE1EEEvT1_
                                        ; -- End function
	.section	.AMDGPU.csdata,"",@progbits
; Kernel info:
; codeLenInByte = 0
; NumSgprs: 6
; NumVgprs: 0
; NumAgprs: 0
; TotalNumVgprs: 0
; ScratchSize: 0
; MemoryBound: 0
; FloatMode: 240
; IeeeMode: 1
; LDSByteSize: 0 bytes/workgroup (compile time only)
; SGPRBlocks: 0
; VGPRBlocks: 0
; NumSGPRsForWavesPerEU: 6
; NumVGPRsForWavesPerEU: 1
; AccumOffset: 4
; Occupancy: 8
; WaveLimiterHint : 0
; COMPUTE_PGM_RSRC2:SCRATCH_EN: 0
; COMPUTE_PGM_RSRC2:USER_SGPR: 2
; COMPUTE_PGM_RSRC2:TRAP_HANDLER: 0
; COMPUTE_PGM_RSRC2:TGID_X_EN: 1
; COMPUTE_PGM_RSRC2:TGID_Y_EN: 0
; COMPUTE_PGM_RSRC2:TGID_Z_EN: 0
; COMPUTE_PGM_RSRC2:TIDIG_COMP_CNT: 0
; COMPUTE_PGM_RSRC3_GFX90A:ACCUM_OFFSET: 0
; COMPUTE_PGM_RSRC3_GFX90A:TG_SPLIT: 0
	.section	.text._ZN7rocprim17ROCPRIM_400000_NS6detail17trampoline_kernelINS0_14default_configENS1_25partition_config_selectorILNS1_17partition_subalgoE2EiNS0_10empty_typeEbEEZZNS1_14partition_implILS5_2ELb0ES3_jN6thrust23THRUST_200600_302600_NS6detail15normal_iteratorINSA_7pointerIiNSA_11hip_rocprim3tagENSA_11use_defaultESG_EEEEPS6_NSA_18transform_iteratorI10is_orderedNSA_12zip_iteratorINSA_5tupleINSC_INSA_10device_ptrIiEEEESQ_NSA_9null_typeESR_SR_SR_SR_SR_SR_SR_EEEESG_SG_EENS0_5tupleIJPiSJ_EEENSV_IJSJ_SJ_EEES6_PlJS6_EEE10hipError_tPvRmT3_T4_T5_T6_T7_T9_mT8_P12ihipStream_tbDpT10_ENKUlT_T0_E_clISt17integral_constantIbLb0EES1J_EEDaS1E_S1F_EUlS1E_E_NS1_11comp_targetILNS1_3genE9ELNS1_11target_archE1100ELNS1_3gpuE3ELNS1_3repE0EEENS1_30default_config_static_selectorELNS0_4arch9wavefront6targetE1EEEvT1_,"axG",@progbits,_ZN7rocprim17ROCPRIM_400000_NS6detail17trampoline_kernelINS0_14default_configENS1_25partition_config_selectorILNS1_17partition_subalgoE2EiNS0_10empty_typeEbEEZZNS1_14partition_implILS5_2ELb0ES3_jN6thrust23THRUST_200600_302600_NS6detail15normal_iteratorINSA_7pointerIiNSA_11hip_rocprim3tagENSA_11use_defaultESG_EEEEPS6_NSA_18transform_iteratorI10is_orderedNSA_12zip_iteratorINSA_5tupleINSC_INSA_10device_ptrIiEEEESQ_NSA_9null_typeESR_SR_SR_SR_SR_SR_SR_EEEESG_SG_EENS0_5tupleIJPiSJ_EEENSV_IJSJ_SJ_EEES6_PlJS6_EEE10hipError_tPvRmT3_T4_T5_T6_T7_T9_mT8_P12ihipStream_tbDpT10_ENKUlT_T0_E_clISt17integral_constantIbLb0EES1J_EEDaS1E_S1F_EUlS1E_E_NS1_11comp_targetILNS1_3genE9ELNS1_11target_archE1100ELNS1_3gpuE3ELNS1_3repE0EEENS1_30default_config_static_selectorELNS0_4arch9wavefront6targetE1EEEvT1_,comdat
	.protected	_ZN7rocprim17ROCPRIM_400000_NS6detail17trampoline_kernelINS0_14default_configENS1_25partition_config_selectorILNS1_17partition_subalgoE2EiNS0_10empty_typeEbEEZZNS1_14partition_implILS5_2ELb0ES3_jN6thrust23THRUST_200600_302600_NS6detail15normal_iteratorINSA_7pointerIiNSA_11hip_rocprim3tagENSA_11use_defaultESG_EEEEPS6_NSA_18transform_iteratorI10is_orderedNSA_12zip_iteratorINSA_5tupleINSC_INSA_10device_ptrIiEEEESQ_NSA_9null_typeESR_SR_SR_SR_SR_SR_SR_EEEESG_SG_EENS0_5tupleIJPiSJ_EEENSV_IJSJ_SJ_EEES6_PlJS6_EEE10hipError_tPvRmT3_T4_T5_T6_T7_T9_mT8_P12ihipStream_tbDpT10_ENKUlT_T0_E_clISt17integral_constantIbLb0EES1J_EEDaS1E_S1F_EUlS1E_E_NS1_11comp_targetILNS1_3genE9ELNS1_11target_archE1100ELNS1_3gpuE3ELNS1_3repE0EEENS1_30default_config_static_selectorELNS0_4arch9wavefront6targetE1EEEvT1_ ; -- Begin function _ZN7rocprim17ROCPRIM_400000_NS6detail17trampoline_kernelINS0_14default_configENS1_25partition_config_selectorILNS1_17partition_subalgoE2EiNS0_10empty_typeEbEEZZNS1_14partition_implILS5_2ELb0ES3_jN6thrust23THRUST_200600_302600_NS6detail15normal_iteratorINSA_7pointerIiNSA_11hip_rocprim3tagENSA_11use_defaultESG_EEEEPS6_NSA_18transform_iteratorI10is_orderedNSA_12zip_iteratorINSA_5tupleINSC_INSA_10device_ptrIiEEEESQ_NSA_9null_typeESR_SR_SR_SR_SR_SR_SR_EEEESG_SG_EENS0_5tupleIJPiSJ_EEENSV_IJSJ_SJ_EEES6_PlJS6_EEE10hipError_tPvRmT3_T4_T5_T6_T7_T9_mT8_P12ihipStream_tbDpT10_ENKUlT_T0_E_clISt17integral_constantIbLb0EES1J_EEDaS1E_S1F_EUlS1E_E_NS1_11comp_targetILNS1_3genE9ELNS1_11target_archE1100ELNS1_3gpuE3ELNS1_3repE0EEENS1_30default_config_static_selectorELNS0_4arch9wavefront6targetE1EEEvT1_
	.globl	_ZN7rocprim17ROCPRIM_400000_NS6detail17trampoline_kernelINS0_14default_configENS1_25partition_config_selectorILNS1_17partition_subalgoE2EiNS0_10empty_typeEbEEZZNS1_14partition_implILS5_2ELb0ES3_jN6thrust23THRUST_200600_302600_NS6detail15normal_iteratorINSA_7pointerIiNSA_11hip_rocprim3tagENSA_11use_defaultESG_EEEEPS6_NSA_18transform_iteratorI10is_orderedNSA_12zip_iteratorINSA_5tupleINSC_INSA_10device_ptrIiEEEESQ_NSA_9null_typeESR_SR_SR_SR_SR_SR_SR_EEEESG_SG_EENS0_5tupleIJPiSJ_EEENSV_IJSJ_SJ_EEES6_PlJS6_EEE10hipError_tPvRmT3_T4_T5_T6_T7_T9_mT8_P12ihipStream_tbDpT10_ENKUlT_T0_E_clISt17integral_constantIbLb0EES1J_EEDaS1E_S1F_EUlS1E_E_NS1_11comp_targetILNS1_3genE9ELNS1_11target_archE1100ELNS1_3gpuE3ELNS1_3repE0EEENS1_30default_config_static_selectorELNS0_4arch9wavefront6targetE1EEEvT1_
	.p2align	8
	.type	_ZN7rocprim17ROCPRIM_400000_NS6detail17trampoline_kernelINS0_14default_configENS1_25partition_config_selectorILNS1_17partition_subalgoE2EiNS0_10empty_typeEbEEZZNS1_14partition_implILS5_2ELb0ES3_jN6thrust23THRUST_200600_302600_NS6detail15normal_iteratorINSA_7pointerIiNSA_11hip_rocprim3tagENSA_11use_defaultESG_EEEEPS6_NSA_18transform_iteratorI10is_orderedNSA_12zip_iteratorINSA_5tupleINSC_INSA_10device_ptrIiEEEESQ_NSA_9null_typeESR_SR_SR_SR_SR_SR_SR_EEEESG_SG_EENS0_5tupleIJPiSJ_EEENSV_IJSJ_SJ_EEES6_PlJS6_EEE10hipError_tPvRmT3_T4_T5_T6_T7_T9_mT8_P12ihipStream_tbDpT10_ENKUlT_T0_E_clISt17integral_constantIbLb0EES1J_EEDaS1E_S1F_EUlS1E_E_NS1_11comp_targetILNS1_3genE9ELNS1_11target_archE1100ELNS1_3gpuE3ELNS1_3repE0EEENS1_30default_config_static_selectorELNS0_4arch9wavefront6targetE1EEEvT1_,@function
_ZN7rocprim17ROCPRIM_400000_NS6detail17trampoline_kernelINS0_14default_configENS1_25partition_config_selectorILNS1_17partition_subalgoE2EiNS0_10empty_typeEbEEZZNS1_14partition_implILS5_2ELb0ES3_jN6thrust23THRUST_200600_302600_NS6detail15normal_iteratorINSA_7pointerIiNSA_11hip_rocprim3tagENSA_11use_defaultESG_EEEEPS6_NSA_18transform_iteratorI10is_orderedNSA_12zip_iteratorINSA_5tupleINSC_INSA_10device_ptrIiEEEESQ_NSA_9null_typeESR_SR_SR_SR_SR_SR_SR_EEEESG_SG_EENS0_5tupleIJPiSJ_EEENSV_IJSJ_SJ_EEES6_PlJS6_EEE10hipError_tPvRmT3_T4_T5_T6_T7_T9_mT8_P12ihipStream_tbDpT10_ENKUlT_T0_E_clISt17integral_constantIbLb0EES1J_EEDaS1E_S1F_EUlS1E_E_NS1_11comp_targetILNS1_3genE9ELNS1_11target_archE1100ELNS1_3gpuE3ELNS1_3repE0EEENS1_30default_config_static_selectorELNS0_4arch9wavefront6targetE1EEEvT1_: ; @_ZN7rocprim17ROCPRIM_400000_NS6detail17trampoline_kernelINS0_14default_configENS1_25partition_config_selectorILNS1_17partition_subalgoE2EiNS0_10empty_typeEbEEZZNS1_14partition_implILS5_2ELb0ES3_jN6thrust23THRUST_200600_302600_NS6detail15normal_iteratorINSA_7pointerIiNSA_11hip_rocprim3tagENSA_11use_defaultESG_EEEEPS6_NSA_18transform_iteratorI10is_orderedNSA_12zip_iteratorINSA_5tupleINSC_INSA_10device_ptrIiEEEESQ_NSA_9null_typeESR_SR_SR_SR_SR_SR_SR_EEEESG_SG_EENS0_5tupleIJPiSJ_EEENSV_IJSJ_SJ_EEES6_PlJS6_EEE10hipError_tPvRmT3_T4_T5_T6_T7_T9_mT8_P12ihipStream_tbDpT10_ENKUlT_T0_E_clISt17integral_constantIbLb0EES1J_EEDaS1E_S1F_EUlS1E_E_NS1_11comp_targetILNS1_3genE9ELNS1_11target_archE1100ELNS1_3gpuE3ELNS1_3repE0EEENS1_30default_config_static_selectorELNS0_4arch9wavefront6targetE1EEEvT1_
; %bb.0:
	.section	.rodata,"a",@progbits
	.p2align	6, 0x0
	.amdhsa_kernel _ZN7rocprim17ROCPRIM_400000_NS6detail17trampoline_kernelINS0_14default_configENS1_25partition_config_selectorILNS1_17partition_subalgoE2EiNS0_10empty_typeEbEEZZNS1_14partition_implILS5_2ELb0ES3_jN6thrust23THRUST_200600_302600_NS6detail15normal_iteratorINSA_7pointerIiNSA_11hip_rocprim3tagENSA_11use_defaultESG_EEEEPS6_NSA_18transform_iteratorI10is_orderedNSA_12zip_iteratorINSA_5tupleINSC_INSA_10device_ptrIiEEEESQ_NSA_9null_typeESR_SR_SR_SR_SR_SR_SR_EEEESG_SG_EENS0_5tupleIJPiSJ_EEENSV_IJSJ_SJ_EEES6_PlJS6_EEE10hipError_tPvRmT3_T4_T5_T6_T7_T9_mT8_P12ihipStream_tbDpT10_ENKUlT_T0_E_clISt17integral_constantIbLb0EES1J_EEDaS1E_S1F_EUlS1E_E_NS1_11comp_targetILNS1_3genE9ELNS1_11target_archE1100ELNS1_3gpuE3ELNS1_3repE0EEENS1_30default_config_static_selectorELNS0_4arch9wavefront6targetE1EEEvT1_
		.amdhsa_group_segment_fixed_size 0
		.amdhsa_private_segment_fixed_size 0
		.amdhsa_kernarg_size 136
		.amdhsa_user_sgpr_count 2
		.amdhsa_user_sgpr_dispatch_ptr 0
		.amdhsa_user_sgpr_queue_ptr 0
		.amdhsa_user_sgpr_kernarg_segment_ptr 1
		.amdhsa_user_sgpr_dispatch_id 0
		.amdhsa_user_sgpr_kernarg_preload_length 0
		.amdhsa_user_sgpr_kernarg_preload_offset 0
		.amdhsa_user_sgpr_private_segment_size 0
		.amdhsa_uses_dynamic_stack 0
		.amdhsa_enable_private_segment 0
		.amdhsa_system_sgpr_workgroup_id_x 1
		.amdhsa_system_sgpr_workgroup_id_y 0
		.amdhsa_system_sgpr_workgroup_id_z 0
		.amdhsa_system_sgpr_workgroup_info 0
		.amdhsa_system_vgpr_workitem_id 0
		.amdhsa_next_free_vgpr 1
		.amdhsa_next_free_sgpr 0
		.amdhsa_accum_offset 4
		.amdhsa_reserve_vcc 0
		.amdhsa_float_round_mode_32 0
		.amdhsa_float_round_mode_16_64 0
		.amdhsa_float_denorm_mode_32 3
		.amdhsa_float_denorm_mode_16_64 3
		.amdhsa_dx10_clamp 1
		.amdhsa_ieee_mode 1
		.amdhsa_fp16_overflow 0
		.amdhsa_tg_split 0
		.amdhsa_exception_fp_ieee_invalid_op 0
		.amdhsa_exception_fp_denorm_src 0
		.amdhsa_exception_fp_ieee_div_zero 0
		.amdhsa_exception_fp_ieee_overflow 0
		.amdhsa_exception_fp_ieee_underflow 0
		.amdhsa_exception_fp_ieee_inexact 0
		.amdhsa_exception_int_div_zero 0
	.end_amdhsa_kernel
	.section	.text._ZN7rocprim17ROCPRIM_400000_NS6detail17trampoline_kernelINS0_14default_configENS1_25partition_config_selectorILNS1_17partition_subalgoE2EiNS0_10empty_typeEbEEZZNS1_14partition_implILS5_2ELb0ES3_jN6thrust23THRUST_200600_302600_NS6detail15normal_iteratorINSA_7pointerIiNSA_11hip_rocprim3tagENSA_11use_defaultESG_EEEEPS6_NSA_18transform_iteratorI10is_orderedNSA_12zip_iteratorINSA_5tupleINSC_INSA_10device_ptrIiEEEESQ_NSA_9null_typeESR_SR_SR_SR_SR_SR_SR_EEEESG_SG_EENS0_5tupleIJPiSJ_EEENSV_IJSJ_SJ_EEES6_PlJS6_EEE10hipError_tPvRmT3_T4_T5_T6_T7_T9_mT8_P12ihipStream_tbDpT10_ENKUlT_T0_E_clISt17integral_constantIbLb0EES1J_EEDaS1E_S1F_EUlS1E_E_NS1_11comp_targetILNS1_3genE9ELNS1_11target_archE1100ELNS1_3gpuE3ELNS1_3repE0EEENS1_30default_config_static_selectorELNS0_4arch9wavefront6targetE1EEEvT1_,"axG",@progbits,_ZN7rocprim17ROCPRIM_400000_NS6detail17trampoline_kernelINS0_14default_configENS1_25partition_config_selectorILNS1_17partition_subalgoE2EiNS0_10empty_typeEbEEZZNS1_14partition_implILS5_2ELb0ES3_jN6thrust23THRUST_200600_302600_NS6detail15normal_iteratorINSA_7pointerIiNSA_11hip_rocprim3tagENSA_11use_defaultESG_EEEEPS6_NSA_18transform_iteratorI10is_orderedNSA_12zip_iteratorINSA_5tupleINSC_INSA_10device_ptrIiEEEESQ_NSA_9null_typeESR_SR_SR_SR_SR_SR_SR_EEEESG_SG_EENS0_5tupleIJPiSJ_EEENSV_IJSJ_SJ_EEES6_PlJS6_EEE10hipError_tPvRmT3_T4_T5_T6_T7_T9_mT8_P12ihipStream_tbDpT10_ENKUlT_T0_E_clISt17integral_constantIbLb0EES1J_EEDaS1E_S1F_EUlS1E_E_NS1_11comp_targetILNS1_3genE9ELNS1_11target_archE1100ELNS1_3gpuE3ELNS1_3repE0EEENS1_30default_config_static_selectorELNS0_4arch9wavefront6targetE1EEEvT1_,comdat
.Lfunc_end3600:
	.size	_ZN7rocprim17ROCPRIM_400000_NS6detail17trampoline_kernelINS0_14default_configENS1_25partition_config_selectorILNS1_17partition_subalgoE2EiNS0_10empty_typeEbEEZZNS1_14partition_implILS5_2ELb0ES3_jN6thrust23THRUST_200600_302600_NS6detail15normal_iteratorINSA_7pointerIiNSA_11hip_rocprim3tagENSA_11use_defaultESG_EEEEPS6_NSA_18transform_iteratorI10is_orderedNSA_12zip_iteratorINSA_5tupleINSC_INSA_10device_ptrIiEEEESQ_NSA_9null_typeESR_SR_SR_SR_SR_SR_SR_EEEESG_SG_EENS0_5tupleIJPiSJ_EEENSV_IJSJ_SJ_EEES6_PlJS6_EEE10hipError_tPvRmT3_T4_T5_T6_T7_T9_mT8_P12ihipStream_tbDpT10_ENKUlT_T0_E_clISt17integral_constantIbLb0EES1J_EEDaS1E_S1F_EUlS1E_E_NS1_11comp_targetILNS1_3genE9ELNS1_11target_archE1100ELNS1_3gpuE3ELNS1_3repE0EEENS1_30default_config_static_selectorELNS0_4arch9wavefront6targetE1EEEvT1_, .Lfunc_end3600-_ZN7rocprim17ROCPRIM_400000_NS6detail17trampoline_kernelINS0_14default_configENS1_25partition_config_selectorILNS1_17partition_subalgoE2EiNS0_10empty_typeEbEEZZNS1_14partition_implILS5_2ELb0ES3_jN6thrust23THRUST_200600_302600_NS6detail15normal_iteratorINSA_7pointerIiNSA_11hip_rocprim3tagENSA_11use_defaultESG_EEEEPS6_NSA_18transform_iteratorI10is_orderedNSA_12zip_iteratorINSA_5tupleINSC_INSA_10device_ptrIiEEEESQ_NSA_9null_typeESR_SR_SR_SR_SR_SR_SR_EEEESG_SG_EENS0_5tupleIJPiSJ_EEENSV_IJSJ_SJ_EEES6_PlJS6_EEE10hipError_tPvRmT3_T4_T5_T6_T7_T9_mT8_P12ihipStream_tbDpT10_ENKUlT_T0_E_clISt17integral_constantIbLb0EES1J_EEDaS1E_S1F_EUlS1E_E_NS1_11comp_targetILNS1_3genE9ELNS1_11target_archE1100ELNS1_3gpuE3ELNS1_3repE0EEENS1_30default_config_static_selectorELNS0_4arch9wavefront6targetE1EEEvT1_
                                        ; -- End function
	.section	.AMDGPU.csdata,"",@progbits
; Kernel info:
; codeLenInByte = 0
; NumSgprs: 6
; NumVgprs: 0
; NumAgprs: 0
; TotalNumVgprs: 0
; ScratchSize: 0
; MemoryBound: 0
; FloatMode: 240
; IeeeMode: 1
; LDSByteSize: 0 bytes/workgroup (compile time only)
; SGPRBlocks: 0
; VGPRBlocks: 0
; NumSGPRsForWavesPerEU: 6
; NumVGPRsForWavesPerEU: 1
; AccumOffset: 4
; Occupancy: 8
; WaveLimiterHint : 0
; COMPUTE_PGM_RSRC2:SCRATCH_EN: 0
; COMPUTE_PGM_RSRC2:USER_SGPR: 2
; COMPUTE_PGM_RSRC2:TRAP_HANDLER: 0
; COMPUTE_PGM_RSRC2:TGID_X_EN: 1
; COMPUTE_PGM_RSRC2:TGID_Y_EN: 0
; COMPUTE_PGM_RSRC2:TGID_Z_EN: 0
; COMPUTE_PGM_RSRC2:TIDIG_COMP_CNT: 0
; COMPUTE_PGM_RSRC3_GFX90A:ACCUM_OFFSET: 0
; COMPUTE_PGM_RSRC3_GFX90A:TG_SPLIT: 0
	.section	.text._ZN7rocprim17ROCPRIM_400000_NS6detail17trampoline_kernelINS0_14default_configENS1_25partition_config_selectorILNS1_17partition_subalgoE2EiNS0_10empty_typeEbEEZZNS1_14partition_implILS5_2ELb0ES3_jN6thrust23THRUST_200600_302600_NS6detail15normal_iteratorINSA_7pointerIiNSA_11hip_rocprim3tagENSA_11use_defaultESG_EEEEPS6_NSA_18transform_iteratorI10is_orderedNSA_12zip_iteratorINSA_5tupleINSC_INSA_10device_ptrIiEEEESQ_NSA_9null_typeESR_SR_SR_SR_SR_SR_SR_EEEESG_SG_EENS0_5tupleIJPiSJ_EEENSV_IJSJ_SJ_EEES6_PlJS6_EEE10hipError_tPvRmT3_T4_T5_T6_T7_T9_mT8_P12ihipStream_tbDpT10_ENKUlT_T0_E_clISt17integral_constantIbLb0EES1J_EEDaS1E_S1F_EUlS1E_E_NS1_11comp_targetILNS1_3genE8ELNS1_11target_archE1030ELNS1_3gpuE2ELNS1_3repE0EEENS1_30default_config_static_selectorELNS0_4arch9wavefront6targetE1EEEvT1_,"axG",@progbits,_ZN7rocprim17ROCPRIM_400000_NS6detail17trampoline_kernelINS0_14default_configENS1_25partition_config_selectorILNS1_17partition_subalgoE2EiNS0_10empty_typeEbEEZZNS1_14partition_implILS5_2ELb0ES3_jN6thrust23THRUST_200600_302600_NS6detail15normal_iteratorINSA_7pointerIiNSA_11hip_rocprim3tagENSA_11use_defaultESG_EEEEPS6_NSA_18transform_iteratorI10is_orderedNSA_12zip_iteratorINSA_5tupleINSC_INSA_10device_ptrIiEEEESQ_NSA_9null_typeESR_SR_SR_SR_SR_SR_SR_EEEESG_SG_EENS0_5tupleIJPiSJ_EEENSV_IJSJ_SJ_EEES6_PlJS6_EEE10hipError_tPvRmT3_T4_T5_T6_T7_T9_mT8_P12ihipStream_tbDpT10_ENKUlT_T0_E_clISt17integral_constantIbLb0EES1J_EEDaS1E_S1F_EUlS1E_E_NS1_11comp_targetILNS1_3genE8ELNS1_11target_archE1030ELNS1_3gpuE2ELNS1_3repE0EEENS1_30default_config_static_selectorELNS0_4arch9wavefront6targetE1EEEvT1_,comdat
	.protected	_ZN7rocprim17ROCPRIM_400000_NS6detail17trampoline_kernelINS0_14default_configENS1_25partition_config_selectorILNS1_17partition_subalgoE2EiNS0_10empty_typeEbEEZZNS1_14partition_implILS5_2ELb0ES3_jN6thrust23THRUST_200600_302600_NS6detail15normal_iteratorINSA_7pointerIiNSA_11hip_rocprim3tagENSA_11use_defaultESG_EEEEPS6_NSA_18transform_iteratorI10is_orderedNSA_12zip_iteratorINSA_5tupleINSC_INSA_10device_ptrIiEEEESQ_NSA_9null_typeESR_SR_SR_SR_SR_SR_SR_EEEESG_SG_EENS0_5tupleIJPiSJ_EEENSV_IJSJ_SJ_EEES6_PlJS6_EEE10hipError_tPvRmT3_T4_T5_T6_T7_T9_mT8_P12ihipStream_tbDpT10_ENKUlT_T0_E_clISt17integral_constantIbLb0EES1J_EEDaS1E_S1F_EUlS1E_E_NS1_11comp_targetILNS1_3genE8ELNS1_11target_archE1030ELNS1_3gpuE2ELNS1_3repE0EEENS1_30default_config_static_selectorELNS0_4arch9wavefront6targetE1EEEvT1_ ; -- Begin function _ZN7rocprim17ROCPRIM_400000_NS6detail17trampoline_kernelINS0_14default_configENS1_25partition_config_selectorILNS1_17partition_subalgoE2EiNS0_10empty_typeEbEEZZNS1_14partition_implILS5_2ELb0ES3_jN6thrust23THRUST_200600_302600_NS6detail15normal_iteratorINSA_7pointerIiNSA_11hip_rocprim3tagENSA_11use_defaultESG_EEEEPS6_NSA_18transform_iteratorI10is_orderedNSA_12zip_iteratorINSA_5tupleINSC_INSA_10device_ptrIiEEEESQ_NSA_9null_typeESR_SR_SR_SR_SR_SR_SR_EEEESG_SG_EENS0_5tupleIJPiSJ_EEENSV_IJSJ_SJ_EEES6_PlJS6_EEE10hipError_tPvRmT3_T4_T5_T6_T7_T9_mT8_P12ihipStream_tbDpT10_ENKUlT_T0_E_clISt17integral_constantIbLb0EES1J_EEDaS1E_S1F_EUlS1E_E_NS1_11comp_targetILNS1_3genE8ELNS1_11target_archE1030ELNS1_3gpuE2ELNS1_3repE0EEENS1_30default_config_static_selectorELNS0_4arch9wavefront6targetE1EEEvT1_
	.globl	_ZN7rocprim17ROCPRIM_400000_NS6detail17trampoline_kernelINS0_14default_configENS1_25partition_config_selectorILNS1_17partition_subalgoE2EiNS0_10empty_typeEbEEZZNS1_14partition_implILS5_2ELb0ES3_jN6thrust23THRUST_200600_302600_NS6detail15normal_iteratorINSA_7pointerIiNSA_11hip_rocprim3tagENSA_11use_defaultESG_EEEEPS6_NSA_18transform_iteratorI10is_orderedNSA_12zip_iteratorINSA_5tupleINSC_INSA_10device_ptrIiEEEESQ_NSA_9null_typeESR_SR_SR_SR_SR_SR_SR_EEEESG_SG_EENS0_5tupleIJPiSJ_EEENSV_IJSJ_SJ_EEES6_PlJS6_EEE10hipError_tPvRmT3_T4_T5_T6_T7_T9_mT8_P12ihipStream_tbDpT10_ENKUlT_T0_E_clISt17integral_constantIbLb0EES1J_EEDaS1E_S1F_EUlS1E_E_NS1_11comp_targetILNS1_3genE8ELNS1_11target_archE1030ELNS1_3gpuE2ELNS1_3repE0EEENS1_30default_config_static_selectorELNS0_4arch9wavefront6targetE1EEEvT1_
	.p2align	8
	.type	_ZN7rocprim17ROCPRIM_400000_NS6detail17trampoline_kernelINS0_14default_configENS1_25partition_config_selectorILNS1_17partition_subalgoE2EiNS0_10empty_typeEbEEZZNS1_14partition_implILS5_2ELb0ES3_jN6thrust23THRUST_200600_302600_NS6detail15normal_iteratorINSA_7pointerIiNSA_11hip_rocprim3tagENSA_11use_defaultESG_EEEEPS6_NSA_18transform_iteratorI10is_orderedNSA_12zip_iteratorINSA_5tupleINSC_INSA_10device_ptrIiEEEESQ_NSA_9null_typeESR_SR_SR_SR_SR_SR_SR_EEEESG_SG_EENS0_5tupleIJPiSJ_EEENSV_IJSJ_SJ_EEES6_PlJS6_EEE10hipError_tPvRmT3_T4_T5_T6_T7_T9_mT8_P12ihipStream_tbDpT10_ENKUlT_T0_E_clISt17integral_constantIbLb0EES1J_EEDaS1E_S1F_EUlS1E_E_NS1_11comp_targetILNS1_3genE8ELNS1_11target_archE1030ELNS1_3gpuE2ELNS1_3repE0EEENS1_30default_config_static_selectorELNS0_4arch9wavefront6targetE1EEEvT1_,@function
_ZN7rocprim17ROCPRIM_400000_NS6detail17trampoline_kernelINS0_14default_configENS1_25partition_config_selectorILNS1_17partition_subalgoE2EiNS0_10empty_typeEbEEZZNS1_14partition_implILS5_2ELb0ES3_jN6thrust23THRUST_200600_302600_NS6detail15normal_iteratorINSA_7pointerIiNSA_11hip_rocprim3tagENSA_11use_defaultESG_EEEEPS6_NSA_18transform_iteratorI10is_orderedNSA_12zip_iteratorINSA_5tupleINSC_INSA_10device_ptrIiEEEESQ_NSA_9null_typeESR_SR_SR_SR_SR_SR_SR_EEEESG_SG_EENS0_5tupleIJPiSJ_EEENSV_IJSJ_SJ_EEES6_PlJS6_EEE10hipError_tPvRmT3_T4_T5_T6_T7_T9_mT8_P12ihipStream_tbDpT10_ENKUlT_T0_E_clISt17integral_constantIbLb0EES1J_EEDaS1E_S1F_EUlS1E_E_NS1_11comp_targetILNS1_3genE8ELNS1_11target_archE1030ELNS1_3gpuE2ELNS1_3repE0EEENS1_30default_config_static_selectorELNS0_4arch9wavefront6targetE1EEEvT1_: ; @_ZN7rocprim17ROCPRIM_400000_NS6detail17trampoline_kernelINS0_14default_configENS1_25partition_config_selectorILNS1_17partition_subalgoE2EiNS0_10empty_typeEbEEZZNS1_14partition_implILS5_2ELb0ES3_jN6thrust23THRUST_200600_302600_NS6detail15normal_iteratorINSA_7pointerIiNSA_11hip_rocprim3tagENSA_11use_defaultESG_EEEEPS6_NSA_18transform_iteratorI10is_orderedNSA_12zip_iteratorINSA_5tupleINSC_INSA_10device_ptrIiEEEESQ_NSA_9null_typeESR_SR_SR_SR_SR_SR_SR_EEEESG_SG_EENS0_5tupleIJPiSJ_EEENSV_IJSJ_SJ_EEES6_PlJS6_EEE10hipError_tPvRmT3_T4_T5_T6_T7_T9_mT8_P12ihipStream_tbDpT10_ENKUlT_T0_E_clISt17integral_constantIbLb0EES1J_EEDaS1E_S1F_EUlS1E_E_NS1_11comp_targetILNS1_3genE8ELNS1_11target_archE1030ELNS1_3gpuE2ELNS1_3repE0EEENS1_30default_config_static_selectorELNS0_4arch9wavefront6targetE1EEEvT1_
; %bb.0:
	.section	.rodata,"a",@progbits
	.p2align	6, 0x0
	.amdhsa_kernel _ZN7rocprim17ROCPRIM_400000_NS6detail17trampoline_kernelINS0_14default_configENS1_25partition_config_selectorILNS1_17partition_subalgoE2EiNS0_10empty_typeEbEEZZNS1_14partition_implILS5_2ELb0ES3_jN6thrust23THRUST_200600_302600_NS6detail15normal_iteratorINSA_7pointerIiNSA_11hip_rocprim3tagENSA_11use_defaultESG_EEEEPS6_NSA_18transform_iteratorI10is_orderedNSA_12zip_iteratorINSA_5tupleINSC_INSA_10device_ptrIiEEEESQ_NSA_9null_typeESR_SR_SR_SR_SR_SR_SR_EEEESG_SG_EENS0_5tupleIJPiSJ_EEENSV_IJSJ_SJ_EEES6_PlJS6_EEE10hipError_tPvRmT3_T4_T5_T6_T7_T9_mT8_P12ihipStream_tbDpT10_ENKUlT_T0_E_clISt17integral_constantIbLb0EES1J_EEDaS1E_S1F_EUlS1E_E_NS1_11comp_targetILNS1_3genE8ELNS1_11target_archE1030ELNS1_3gpuE2ELNS1_3repE0EEENS1_30default_config_static_selectorELNS0_4arch9wavefront6targetE1EEEvT1_
		.amdhsa_group_segment_fixed_size 0
		.amdhsa_private_segment_fixed_size 0
		.amdhsa_kernarg_size 136
		.amdhsa_user_sgpr_count 2
		.amdhsa_user_sgpr_dispatch_ptr 0
		.amdhsa_user_sgpr_queue_ptr 0
		.amdhsa_user_sgpr_kernarg_segment_ptr 1
		.amdhsa_user_sgpr_dispatch_id 0
		.amdhsa_user_sgpr_kernarg_preload_length 0
		.amdhsa_user_sgpr_kernarg_preload_offset 0
		.amdhsa_user_sgpr_private_segment_size 0
		.amdhsa_uses_dynamic_stack 0
		.amdhsa_enable_private_segment 0
		.amdhsa_system_sgpr_workgroup_id_x 1
		.amdhsa_system_sgpr_workgroup_id_y 0
		.amdhsa_system_sgpr_workgroup_id_z 0
		.amdhsa_system_sgpr_workgroup_info 0
		.amdhsa_system_vgpr_workitem_id 0
		.amdhsa_next_free_vgpr 1
		.amdhsa_next_free_sgpr 0
		.amdhsa_accum_offset 4
		.amdhsa_reserve_vcc 0
		.amdhsa_float_round_mode_32 0
		.amdhsa_float_round_mode_16_64 0
		.amdhsa_float_denorm_mode_32 3
		.amdhsa_float_denorm_mode_16_64 3
		.amdhsa_dx10_clamp 1
		.amdhsa_ieee_mode 1
		.amdhsa_fp16_overflow 0
		.amdhsa_tg_split 0
		.amdhsa_exception_fp_ieee_invalid_op 0
		.amdhsa_exception_fp_denorm_src 0
		.amdhsa_exception_fp_ieee_div_zero 0
		.amdhsa_exception_fp_ieee_overflow 0
		.amdhsa_exception_fp_ieee_underflow 0
		.amdhsa_exception_fp_ieee_inexact 0
		.amdhsa_exception_int_div_zero 0
	.end_amdhsa_kernel
	.section	.text._ZN7rocprim17ROCPRIM_400000_NS6detail17trampoline_kernelINS0_14default_configENS1_25partition_config_selectorILNS1_17partition_subalgoE2EiNS0_10empty_typeEbEEZZNS1_14partition_implILS5_2ELb0ES3_jN6thrust23THRUST_200600_302600_NS6detail15normal_iteratorINSA_7pointerIiNSA_11hip_rocprim3tagENSA_11use_defaultESG_EEEEPS6_NSA_18transform_iteratorI10is_orderedNSA_12zip_iteratorINSA_5tupleINSC_INSA_10device_ptrIiEEEESQ_NSA_9null_typeESR_SR_SR_SR_SR_SR_SR_EEEESG_SG_EENS0_5tupleIJPiSJ_EEENSV_IJSJ_SJ_EEES6_PlJS6_EEE10hipError_tPvRmT3_T4_T5_T6_T7_T9_mT8_P12ihipStream_tbDpT10_ENKUlT_T0_E_clISt17integral_constantIbLb0EES1J_EEDaS1E_S1F_EUlS1E_E_NS1_11comp_targetILNS1_3genE8ELNS1_11target_archE1030ELNS1_3gpuE2ELNS1_3repE0EEENS1_30default_config_static_selectorELNS0_4arch9wavefront6targetE1EEEvT1_,"axG",@progbits,_ZN7rocprim17ROCPRIM_400000_NS6detail17trampoline_kernelINS0_14default_configENS1_25partition_config_selectorILNS1_17partition_subalgoE2EiNS0_10empty_typeEbEEZZNS1_14partition_implILS5_2ELb0ES3_jN6thrust23THRUST_200600_302600_NS6detail15normal_iteratorINSA_7pointerIiNSA_11hip_rocprim3tagENSA_11use_defaultESG_EEEEPS6_NSA_18transform_iteratorI10is_orderedNSA_12zip_iteratorINSA_5tupleINSC_INSA_10device_ptrIiEEEESQ_NSA_9null_typeESR_SR_SR_SR_SR_SR_SR_EEEESG_SG_EENS0_5tupleIJPiSJ_EEENSV_IJSJ_SJ_EEES6_PlJS6_EEE10hipError_tPvRmT3_T4_T5_T6_T7_T9_mT8_P12ihipStream_tbDpT10_ENKUlT_T0_E_clISt17integral_constantIbLb0EES1J_EEDaS1E_S1F_EUlS1E_E_NS1_11comp_targetILNS1_3genE8ELNS1_11target_archE1030ELNS1_3gpuE2ELNS1_3repE0EEENS1_30default_config_static_selectorELNS0_4arch9wavefront6targetE1EEEvT1_,comdat
.Lfunc_end3601:
	.size	_ZN7rocprim17ROCPRIM_400000_NS6detail17trampoline_kernelINS0_14default_configENS1_25partition_config_selectorILNS1_17partition_subalgoE2EiNS0_10empty_typeEbEEZZNS1_14partition_implILS5_2ELb0ES3_jN6thrust23THRUST_200600_302600_NS6detail15normal_iteratorINSA_7pointerIiNSA_11hip_rocprim3tagENSA_11use_defaultESG_EEEEPS6_NSA_18transform_iteratorI10is_orderedNSA_12zip_iteratorINSA_5tupleINSC_INSA_10device_ptrIiEEEESQ_NSA_9null_typeESR_SR_SR_SR_SR_SR_SR_EEEESG_SG_EENS0_5tupleIJPiSJ_EEENSV_IJSJ_SJ_EEES6_PlJS6_EEE10hipError_tPvRmT3_T4_T5_T6_T7_T9_mT8_P12ihipStream_tbDpT10_ENKUlT_T0_E_clISt17integral_constantIbLb0EES1J_EEDaS1E_S1F_EUlS1E_E_NS1_11comp_targetILNS1_3genE8ELNS1_11target_archE1030ELNS1_3gpuE2ELNS1_3repE0EEENS1_30default_config_static_selectorELNS0_4arch9wavefront6targetE1EEEvT1_, .Lfunc_end3601-_ZN7rocprim17ROCPRIM_400000_NS6detail17trampoline_kernelINS0_14default_configENS1_25partition_config_selectorILNS1_17partition_subalgoE2EiNS0_10empty_typeEbEEZZNS1_14partition_implILS5_2ELb0ES3_jN6thrust23THRUST_200600_302600_NS6detail15normal_iteratorINSA_7pointerIiNSA_11hip_rocprim3tagENSA_11use_defaultESG_EEEEPS6_NSA_18transform_iteratorI10is_orderedNSA_12zip_iteratorINSA_5tupleINSC_INSA_10device_ptrIiEEEESQ_NSA_9null_typeESR_SR_SR_SR_SR_SR_SR_EEEESG_SG_EENS0_5tupleIJPiSJ_EEENSV_IJSJ_SJ_EEES6_PlJS6_EEE10hipError_tPvRmT3_T4_T5_T6_T7_T9_mT8_P12ihipStream_tbDpT10_ENKUlT_T0_E_clISt17integral_constantIbLb0EES1J_EEDaS1E_S1F_EUlS1E_E_NS1_11comp_targetILNS1_3genE8ELNS1_11target_archE1030ELNS1_3gpuE2ELNS1_3repE0EEENS1_30default_config_static_selectorELNS0_4arch9wavefront6targetE1EEEvT1_
                                        ; -- End function
	.section	.AMDGPU.csdata,"",@progbits
; Kernel info:
; codeLenInByte = 0
; NumSgprs: 6
; NumVgprs: 0
; NumAgprs: 0
; TotalNumVgprs: 0
; ScratchSize: 0
; MemoryBound: 0
; FloatMode: 240
; IeeeMode: 1
; LDSByteSize: 0 bytes/workgroup (compile time only)
; SGPRBlocks: 0
; VGPRBlocks: 0
; NumSGPRsForWavesPerEU: 6
; NumVGPRsForWavesPerEU: 1
; AccumOffset: 4
; Occupancy: 8
; WaveLimiterHint : 0
; COMPUTE_PGM_RSRC2:SCRATCH_EN: 0
; COMPUTE_PGM_RSRC2:USER_SGPR: 2
; COMPUTE_PGM_RSRC2:TRAP_HANDLER: 0
; COMPUTE_PGM_RSRC2:TGID_X_EN: 1
; COMPUTE_PGM_RSRC2:TGID_Y_EN: 0
; COMPUTE_PGM_RSRC2:TGID_Z_EN: 0
; COMPUTE_PGM_RSRC2:TIDIG_COMP_CNT: 0
; COMPUTE_PGM_RSRC3_GFX90A:ACCUM_OFFSET: 0
; COMPUTE_PGM_RSRC3_GFX90A:TG_SPLIT: 0
	.section	.text._ZN7rocprim17ROCPRIM_400000_NS6detail17trampoline_kernelINS0_14default_configENS1_25partition_config_selectorILNS1_17partition_subalgoE2EiNS0_10empty_typeEbEEZZNS1_14partition_implILS5_2ELb0ES3_jN6thrust23THRUST_200600_302600_NS6detail15normal_iteratorINSA_7pointerIiNSA_11hip_rocprim3tagENSA_11use_defaultESG_EEEEPS6_NSA_18transform_iteratorI10is_orderedNSA_12zip_iteratorINSA_5tupleINSC_INSA_10device_ptrIiEEEESQ_NSA_9null_typeESR_SR_SR_SR_SR_SR_SR_EEEESG_SG_EENS0_5tupleIJPiSJ_EEENSV_IJSJ_SJ_EEES6_PlJS6_EEE10hipError_tPvRmT3_T4_T5_T6_T7_T9_mT8_P12ihipStream_tbDpT10_ENKUlT_T0_E_clISt17integral_constantIbLb1EES1J_EEDaS1E_S1F_EUlS1E_E_NS1_11comp_targetILNS1_3genE0ELNS1_11target_archE4294967295ELNS1_3gpuE0ELNS1_3repE0EEENS1_30default_config_static_selectorELNS0_4arch9wavefront6targetE1EEEvT1_,"axG",@progbits,_ZN7rocprim17ROCPRIM_400000_NS6detail17trampoline_kernelINS0_14default_configENS1_25partition_config_selectorILNS1_17partition_subalgoE2EiNS0_10empty_typeEbEEZZNS1_14partition_implILS5_2ELb0ES3_jN6thrust23THRUST_200600_302600_NS6detail15normal_iteratorINSA_7pointerIiNSA_11hip_rocprim3tagENSA_11use_defaultESG_EEEEPS6_NSA_18transform_iteratorI10is_orderedNSA_12zip_iteratorINSA_5tupleINSC_INSA_10device_ptrIiEEEESQ_NSA_9null_typeESR_SR_SR_SR_SR_SR_SR_EEEESG_SG_EENS0_5tupleIJPiSJ_EEENSV_IJSJ_SJ_EEES6_PlJS6_EEE10hipError_tPvRmT3_T4_T5_T6_T7_T9_mT8_P12ihipStream_tbDpT10_ENKUlT_T0_E_clISt17integral_constantIbLb1EES1J_EEDaS1E_S1F_EUlS1E_E_NS1_11comp_targetILNS1_3genE0ELNS1_11target_archE4294967295ELNS1_3gpuE0ELNS1_3repE0EEENS1_30default_config_static_selectorELNS0_4arch9wavefront6targetE1EEEvT1_,comdat
	.protected	_ZN7rocprim17ROCPRIM_400000_NS6detail17trampoline_kernelINS0_14default_configENS1_25partition_config_selectorILNS1_17partition_subalgoE2EiNS0_10empty_typeEbEEZZNS1_14partition_implILS5_2ELb0ES3_jN6thrust23THRUST_200600_302600_NS6detail15normal_iteratorINSA_7pointerIiNSA_11hip_rocprim3tagENSA_11use_defaultESG_EEEEPS6_NSA_18transform_iteratorI10is_orderedNSA_12zip_iteratorINSA_5tupleINSC_INSA_10device_ptrIiEEEESQ_NSA_9null_typeESR_SR_SR_SR_SR_SR_SR_EEEESG_SG_EENS0_5tupleIJPiSJ_EEENSV_IJSJ_SJ_EEES6_PlJS6_EEE10hipError_tPvRmT3_T4_T5_T6_T7_T9_mT8_P12ihipStream_tbDpT10_ENKUlT_T0_E_clISt17integral_constantIbLb1EES1J_EEDaS1E_S1F_EUlS1E_E_NS1_11comp_targetILNS1_3genE0ELNS1_11target_archE4294967295ELNS1_3gpuE0ELNS1_3repE0EEENS1_30default_config_static_selectorELNS0_4arch9wavefront6targetE1EEEvT1_ ; -- Begin function _ZN7rocprim17ROCPRIM_400000_NS6detail17trampoline_kernelINS0_14default_configENS1_25partition_config_selectorILNS1_17partition_subalgoE2EiNS0_10empty_typeEbEEZZNS1_14partition_implILS5_2ELb0ES3_jN6thrust23THRUST_200600_302600_NS6detail15normal_iteratorINSA_7pointerIiNSA_11hip_rocprim3tagENSA_11use_defaultESG_EEEEPS6_NSA_18transform_iteratorI10is_orderedNSA_12zip_iteratorINSA_5tupleINSC_INSA_10device_ptrIiEEEESQ_NSA_9null_typeESR_SR_SR_SR_SR_SR_SR_EEEESG_SG_EENS0_5tupleIJPiSJ_EEENSV_IJSJ_SJ_EEES6_PlJS6_EEE10hipError_tPvRmT3_T4_T5_T6_T7_T9_mT8_P12ihipStream_tbDpT10_ENKUlT_T0_E_clISt17integral_constantIbLb1EES1J_EEDaS1E_S1F_EUlS1E_E_NS1_11comp_targetILNS1_3genE0ELNS1_11target_archE4294967295ELNS1_3gpuE0ELNS1_3repE0EEENS1_30default_config_static_selectorELNS0_4arch9wavefront6targetE1EEEvT1_
	.globl	_ZN7rocprim17ROCPRIM_400000_NS6detail17trampoline_kernelINS0_14default_configENS1_25partition_config_selectorILNS1_17partition_subalgoE2EiNS0_10empty_typeEbEEZZNS1_14partition_implILS5_2ELb0ES3_jN6thrust23THRUST_200600_302600_NS6detail15normal_iteratorINSA_7pointerIiNSA_11hip_rocprim3tagENSA_11use_defaultESG_EEEEPS6_NSA_18transform_iteratorI10is_orderedNSA_12zip_iteratorINSA_5tupleINSC_INSA_10device_ptrIiEEEESQ_NSA_9null_typeESR_SR_SR_SR_SR_SR_SR_EEEESG_SG_EENS0_5tupleIJPiSJ_EEENSV_IJSJ_SJ_EEES6_PlJS6_EEE10hipError_tPvRmT3_T4_T5_T6_T7_T9_mT8_P12ihipStream_tbDpT10_ENKUlT_T0_E_clISt17integral_constantIbLb1EES1J_EEDaS1E_S1F_EUlS1E_E_NS1_11comp_targetILNS1_3genE0ELNS1_11target_archE4294967295ELNS1_3gpuE0ELNS1_3repE0EEENS1_30default_config_static_selectorELNS0_4arch9wavefront6targetE1EEEvT1_
	.p2align	8
	.type	_ZN7rocprim17ROCPRIM_400000_NS6detail17trampoline_kernelINS0_14default_configENS1_25partition_config_selectorILNS1_17partition_subalgoE2EiNS0_10empty_typeEbEEZZNS1_14partition_implILS5_2ELb0ES3_jN6thrust23THRUST_200600_302600_NS6detail15normal_iteratorINSA_7pointerIiNSA_11hip_rocprim3tagENSA_11use_defaultESG_EEEEPS6_NSA_18transform_iteratorI10is_orderedNSA_12zip_iteratorINSA_5tupleINSC_INSA_10device_ptrIiEEEESQ_NSA_9null_typeESR_SR_SR_SR_SR_SR_SR_EEEESG_SG_EENS0_5tupleIJPiSJ_EEENSV_IJSJ_SJ_EEES6_PlJS6_EEE10hipError_tPvRmT3_T4_T5_T6_T7_T9_mT8_P12ihipStream_tbDpT10_ENKUlT_T0_E_clISt17integral_constantIbLb1EES1J_EEDaS1E_S1F_EUlS1E_E_NS1_11comp_targetILNS1_3genE0ELNS1_11target_archE4294967295ELNS1_3gpuE0ELNS1_3repE0EEENS1_30default_config_static_selectorELNS0_4arch9wavefront6targetE1EEEvT1_,@function
_ZN7rocprim17ROCPRIM_400000_NS6detail17trampoline_kernelINS0_14default_configENS1_25partition_config_selectorILNS1_17partition_subalgoE2EiNS0_10empty_typeEbEEZZNS1_14partition_implILS5_2ELb0ES3_jN6thrust23THRUST_200600_302600_NS6detail15normal_iteratorINSA_7pointerIiNSA_11hip_rocprim3tagENSA_11use_defaultESG_EEEEPS6_NSA_18transform_iteratorI10is_orderedNSA_12zip_iteratorINSA_5tupleINSC_INSA_10device_ptrIiEEEESQ_NSA_9null_typeESR_SR_SR_SR_SR_SR_SR_EEEESG_SG_EENS0_5tupleIJPiSJ_EEENSV_IJSJ_SJ_EEES6_PlJS6_EEE10hipError_tPvRmT3_T4_T5_T6_T7_T9_mT8_P12ihipStream_tbDpT10_ENKUlT_T0_E_clISt17integral_constantIbLb1EES1J_EEDaS1E_S1F_EUlS1E_E_NS1_11comp_targetILNS1_3genE0ELNS1_11target_archE4294967295ELNS1_3gpuE0ELNS1_3repE0EEENS1_30default_config_static_selectorELNS0_4arch9wavefront6targetE1EEEvT1_: ; @_ZN7rocprim17ROCPRIM_400000_NS6detail17trampoline_kernelINS0_14default_configENS1_25partition_config_selectorILNS1_17partition_subalgoE2EiNS0_10empty_typeEbEEZZNS1_14partition_implILS5_2ELb0ES3_jN6thrust23THRUST_200600_302600_NS6detail15normal_iteratorINSA_7pointerIiNSA_11hip_rocprim3tagENSA_11use_defaultESG_EEEEPS6_NSA_18transform_iteratorI10is_orderedNSA_12zip_iteratorINSA_5tupleINSC_INSA_10device_ptrIiEEEESQ_NSA_9null_typeESR_SR_SR_SR_SR_SR_SR_EEEESG_SG_EENS0_5tupleIJPiSJ_EEENSV_IJSJ_SJ_EEES6_PlJS6_EEE10hipError_tPvRmT3_T4_T5_T6_T7_T9_mT8_P12ihipStream_tbDpT10_ENKUlT_T0_E_clISt17integral_constantIbLb1EES1J_EEDaS1E_S1F_EUlS1E_E_NS1_11comp_targetILNS1_3genE0ELNS1_11target_archE4294967295ELNS1_3gpuE0ELNS1_3repE0EEENS1_30default_config_static_selectorELNS0_4arch9wavefront6targetE1EEEvT1_
; %bb.0:
	.section	.rodata,"a",@progbits
	.p2align	6, 0x0
	.amdhsa_kernel _ZN7rocprim17ROCPRIM_400000_NS6detail17trampoline_kernelINS0_14default_configENS1_25partition_config_selectorILNS1_17partition_subalgoE2EiNS0_10empty_typeEbEEZZNS1_14partition_implILS5_2ELb0ES3_jN6thrust23THRUST_200600_302600_NS6detail15normal_iteratorINSA_7pointerIiNSA_11hip_rocprim3tagENSA_11use_defaultESG_EEEEPS6_NSA_18transform_iteratorI10is_orderedNSA_12zip_iteratorINSA_5tupleINSC_INSA_10device_ptrIiEEEESQ_NSA_9null_typeESR_SR_SR_SR_SR_SR_SR_EEEESG_SG_EENS0_5tupleIJPiSJ_EEENSV_IJSJ_SJ_EEES6_PlJS6_EEE10hipError_tPvRmT3_T4_T5_T6_T7_T9_mT8_P12ihipStream_tbDpT10_ENKUlT_T0_E_clISt17integral_constantIbLb1EES1J_EEDaS1E_S1F_EUlS1E_E_NS1_11comp_targetILNS1_3genE0ELNS1_11target_archE4294967295ELNS1_3gpuE0ELNS1_3repE0EEENS1_30default_config_static_selectorELNS0_4arch9wavefront6targetE1EEEvT1_
		.amdhsa_group_segment_fixed_size 0
		.amdhsa_private_segment_fixed_size 0
		.amdhsa_kernarg_size 152
		.amdhsa_user_sgpr_count 2
		.amdhsa_user_sgpr_dispatch_ptr 0
		.amdhsa_user_sgpr_queue_ptr 0
		.amdhsa_user_sgpr_kernarg_segment_ptr 1
		.amdhsa_user_sgpr_dispatch_id 0
		.amdhsa_user_sgpr_kernarg_preload_length 0
		.amdhsa_user_sgpr_kernarg_preload_offset 0
		.amdhsa_user_sgpr_private_segment_size 0
		.amdhsa_uses_dynamic_stack 0
		.amdhsa_enable_private_segment 0
		.amdhsa_system_sgpr_workgroup_id_x 1
		.amdhsa_system_sgpr_workgroup_id_y 0
		.amdhsa_system_sgpr_workgroup_id_z 0
		.amdhsa_system_sgpr_workgroup_info 0
		.amdhsa_system_vgpr_workitem_id 0
		.amdhsa_next_free_vgpr 1
		.amdhsa_next_free_sgpr 0
		.amdhsa_accum_offset 4
		.amdhsa_reserve_vcc 0
		.amdhsa_float_round_mode_32 0
		.amdhsa_float_round_mode_16_64 0
		.amdhsa_float_denorm_mode_32 3
		.amdhsa_float_denorm_mode_16_64 3
		.amdhsa_dx10_clamp 1
		.amdhsa_ieee_mode 1
		.amdhsa_fp16_overflow 0
		.amdhsa_tg_split 0
		.amdhsa_exception_fp_ieee_invalid_op 0
		.amdhsa_exception_fp_denorm_src 0
		.amdhsa_exception_fp_ieee_div_zero 0
		.amdhsa_exception_fp_ieee_overflow 0
		.amdhsa_exception_fp_ieee_underflow 0
		.amdhsa_exception_fp_ieee_inexact 0
		.amdhsa_exception_int_div_zero 0
	.end_amdhsa_kernel
	.section	.text._ZN7rocprim17ROCPRIM_400000_NS6detail17trampoline_kernelINS0_14default_configENS1_25partition_config_selectorILNS1_17partition_subalgoE2EiNS0_10empty_typeEbEEZZNS1_14partition_implILS5_2ELb0ES3_jN6thrust23THRUST_200600_302600_NS6detail15normal_iteratorINSA_7pointerIiNSA_11hip_rocprim3tagENSA_11use_defaultESG_EEEEPS6_NSA_18transform_iteratorI10is_orderedNSA_12zip_iteratorINSA_5tupleINSC_INSA_10device_ptrIiEEEESQ_NSA_9null_typeESR_SR_SR_SR_SR_SR_SR_EEEESG_SG_EENS0_5tupleIJPiSJ_EEENSV_IJSJ_SJ_EEES6_PlJS6_EEE10hipError_tPvRmT3_T4_T5_T6_T7_T9_mT8_P12ihipStream_tbDpT10_ENKUlT_T0_E_clISt17integral_constantIbLb1EES1J_EEDaS1E_S1F_EUlS1E_E_NS1_11comp_targetILNS1_3genE0ELNS1_11target_archE4294967295ELNS1_3gpuE0ELNS1_3repE0EEENS1_30default_config_static_selectorELNS0_4arch9wavefront6targetE1EEEvT1_,"axG",@progbits,_ZN7rocprim17ROCPRIM_400000_NS6detail17trampoline_kernelINS0_14default_configENS1_25partition_config_selectorILNS1_17partition_subalgoE2EiNS0_10empty_typeEbEEZZNS1_14partition_implILS5_2ELb0ES3_jN6thrust23THRUST_200600_302600_NS6detail15normal_iteratorINSA_7pointerIiNSA_11hip_rocprim3tagENSA_11use_defaultESG_EEEEPS6_NSA_18transform_iteratorI10is_orderedNSA_12zip_iteratorINSA_5tupleINSC_INSA_10device_ptrIiEEEESQ_NSA_9null_typeESR_SR_SR_SR_SR_SR_SR_EEEESG_SG_EENS0_5tupleIJPiSJ_EEENSV_IJSJ_SJ_EEES6_PlJS6_EEE10hipError_tPvRmT3_T4_T5_T6_T7_T9_mT8_P12ihipStream_tbDpT10_ENKUlT_T0_E_clISt17integral_constantIbLb1EES1J_EEDaS1E_S1F_EUlS1E_E_NS1_11comp_targetILNS1_3genE0ELNS1_11target_archE4294967295ELNS1_3gpuE0ELNS1_3repE0EEENS1_30default_config_static_selectorELNS0_4arch9wavefront6targetE1EEEvT1_,comdat
.Lfunc_end3602:
	.size	_ZN7rocprim17ROCPRIM_400000_NS6detail17trampoline_kernelINS0_14default_configENS1_25partition_config_selectorILNS1_17partition_subalgoE2EiNS0_10empty_typeEbEEZZNS1_14partition_implILS5_2ELb0ES3_jN6thrust23THRUST_200600_302600_NS6detail15normal_iteratorINSA_7pointerIiNSA_11hip_rocprim3tagENSA_11use_defaultESG_EEEEPS6_NSA_18transform_iteratorI10is_orderedNSA_12zip_iteratorINSA_5tupleINSC_INSA_10device_ptrIiEEEESQ_NSA_9null_typeESR_SR_SR_SR_SR_SR_SR_EEEESG_SG_EENS0_5tupleIJPiSJ_EEENSV_IJSJ_SJ_EEES6_PlJS6_EEE10hipError_tPvRmT3_T4_T5_T6_T7_T9_mT8_P12ihipStream_tbDpT10_ENKUlT_T0_E_clISt17integral_constantIbLb1EES1J_EEDaS1E_S1F_EUlS1E_E_NS1_11comp_targetILNS1_3genE0ELNS1_11target_archE4294967295ELNS1_3gpuE0ELNS1_3repE0EEENS1_30default_config_static_selectorELNS0_4arch9wavefront6targetE1EEEvT1_, .Lfunc_end3602-_ZN7rocprim17ROCPRIM_400000_NS6detail17trampoline_kernelINS0_14default_configENS1_25partition_config_selectorILNS1_17partition_subalgoE2EiNS0_10empty_typeEbEEZZNS1_14partition_implILS5_2ELb0ES3_jN6thrust23THRUST_200600_302600_NS6detail15normal_iteratorINSA_7pointerIiNSA_11hip_rocprim3tagENSA_11use_defaultESG_EEEEPS6_NSA_18transform_iteratorI10is_orderedNSA_12zip_iteratorINSA_5tupleINSC_INSA_10device_ptrIiEEEESQ_NSA_9null_typeESR_SR_SR_SR_SR_SR_SR_EEEESG_SG_EENS0_5tupleIJPiSJ_EEENSV_IJSJ_SJ_EEES6_PlJS6_EEE10hipError_tPvRmT3_T4_T5_T6_T7_T9_mT8_P12ihipStream_tbDpT10_ENKUlT_T0_E_clISt17integral_constantIbLb1EES1J_EEDaS1E_S1F_EUlS1E_E_NS1_11comp_targetILNS1_3genE0ELNS1_11target_archE4294967295ELNS1_3gpuE0ELNS1_3repE0EEENS1_30default_config_static_selectorELNS0_4arch9wavefront6targetE1EEEvT1_
                                        ; -- End function
	.section	.AMDGPU.csdata,"",@progbits
; Kernel info:
; codeLenInByte = 0
; NumSgprs: 6
; NumVgprs: 0
; NumAgprs: 0
; TotalNumVgprs: 0
; ScratchSize: 0
; MemoryBound: 0
; FloatMode: 240
; IeeeMode: 1
; LDSByteSize: 0 bytes/workgroup (compile time only)
; SGPRBlocks: 0
; VGPRBlocks: 0
; NumSGPRsForWavesPerEU: 6
; NumVGPRsForWavesPerEU: 1
; AccumOffset: 4
; Occupancy: 8
; WaveLimiterHint : 0
; COMPUTE_PGM_RSRC2:SCRATCH_EN: 0
; COMPUTE_PGM_RSRC2:USER_SGPR: 2
; COMPUTE_PGM_RSRC2:TRAP_HANDLER: 0
; COMPUTE_PGM_RSRC2:TGID_X_EN: 1
; COMPUTE_PGM_RSRC2:TGID_Y_EN: 0
; COMPUTE_PGM_RSRC2:TGID_Z_EN: 0
; COMPUTE_PGM_RSRC2:TIDIG_COMP_CNT: 0
; COMPUTE_PGM_RSRC3_GFX90A:ACCUM_OFFSET: 0
; COMPUTE_PGM_RSRC3_GFX90A:TG_SPLIT: 0
	.section	.text._ZN7rocprim17ROCPRIM_400000_NS6detail17trampoline_kernelINS0_14default_configENS1_25partition_config_selectorILNS1_17partition_subalgoE2EiNS0_10empty_typeEbEEZZNS1_14partition_implILS5_2ELb0ES3_jN6thrust23THRUST_200600_302600_NS6detail15normal_iteratorINSA_7pointerIiNSA_11hip_rocprim3tagENSA_11use_defaultESG_EEEEPS6_NSA_18transform_iteratorI10is_orderedNSA_12zip_iteratorINSA_5tupleINSC_INSA_10device_ptrIiEEEESQ_NSA_9null_typeESR_SR_SR_SR_SR_SR_SR_EEEESG_SG_EENS0_5tupleIJPiSJ_EEENSV_IJSJ_SJ_EEES6_PlJS6_EEE10hipError_tPvRmT3_T4_T5_T6_T7_T9_mT8_P12ihipStream_tbDpT10_ENKUlT_T0_E_clISt17integral_constantIbLb1EES1J_EEDaS1E_S1F_EUlS1E_E_NS1_11comp_targetILNS1_3genE5ELNS1_11target_archE942ELNS1_3gpuE9ELNS1_3repE0EEENS1_30default_config_static_selectorELNS0_4arch9wavefront6targetE1EEEvT1_,"axG",@progbits,_ZN7rocprim17ROCPRIM_400000_NS6detail17trampoline_kernelINS0_14default_configENS1_25partition_config_selectorILNS1_17partition_subalgoE2EiNS0_10empty_typeEbEEZZNS1_14partition_implILS5_2ELb0ES3_jN6thrust23THRUST_200600_302600_NS6detail15normal_iteratorINSA_7pointerIiNSA_11hip_rocprim3tagENSA_11use_defaultESG_EEEEPS6_NSA_18transform_iteratorI10is_orderedNSA_12zip_iteratorINSA_5tupleINSC_INSA_10device_ptrIiEEEESQ_NSA_9null_typeESR_SR_SR_SR_SR_SR_SR_EEEESG_SG_EENS0_5tupleIJPiSJ_EEENSV_IJSJ_SJ_EEES6_PlJS6_EEE10hipError_tPvRmT3_T4_T5_T6_T7_T9_mT8_P12ihipStream_tbDpT10_ENKUlT_T0_E_clISt17integral_constantIbLb1EES1J_EEDaS1E_S1F_EUlS1E_E_NS1_11comp_targetILNS1_3genE5ELNS1_11target_archE942ELNS1_3gpuE9ELNS1_3repE0EEENS1_30default_config_static_selectorELNS0_4arch9wavefront6targetE1EEEvT1_,comdat
	.protected	_ZN7rocprim17ROCPRIM_400000_NS6detail17trampoline_kernelINS0_14default_configENS1_25partition_config_selectorILNS1_17partition_subalgoE2EiNS0_10empty_typeEbEEZZNS1_14partition_implILS5_2ELb0ES3_jN6thrust23THRUST_200600_302600_NS6detail15normal_iteratorINSA_7pointerIiNSA_11hip_rocprim3tagENSA_11use_defaultESG_EEEEPS6_NSA_18transform_iteratorI10is_orderedNSA_12zip_iteratorINSA_5tupleINSC_INSA_10device_ptrIiEEEESQ_NSA_9null_typeESR_SR_SR_SR_SR_SR_SR_EEEESG_SG_EENS0_5tupleIJPiSJ_EEENSV_IJSJ_SJ_EEES6_PlJS6_EEE10hipError_tPvRmT3_T4_T5_T6_T7_T9_mT8_P12ihipStream_tbDpT10_ENKUlT_T0_E_clISt17integral_constantIbLb1EES1J_EEDaS1E_S1F_EUlS1E_E_NS1_11comp_targetILNS1_3genE5ELNS1_11target_archE942ELNS1_3gpuE9ELNS1_3repE0EEENS1_30default_config_static_selectorELNS0_4arch9wavefront6targetE1EEEvT1_ ; -- Begin function _ZN7rocprim17ROCPRIM_400000_NS6detail17trampoline_kernelINS0_14default_configENS1_25partition_config_selectorILNS1_17partition_subalgoE2EiNS0_10empty_typeEbEEZZNS1_14partition_implILS5_2ELb0ES3_jN6thrust23THRUST_200600_302600_NS6detail15normal_iteratorINSA_7pointerIiNSA_11hip_rocprim3tagENSA_11use_defaultESG_EEEEPS6_NSA_18transform_iteratorI10is_orderedNSA_12zip_iteratorINSA_5tupleINSC_INSA_10device_ptrIiEEEESQ_NSA_9null_typeESR_SR_SR_SR_SR_SR_SR_EEEESG_SG_EENS0_5tupleIJPiSJ_EEENSV_IJSJ_SJ_EEES6_PlJS6_EEE10hipError_tPvRmT3_T4_T5_T6_T7_T9_mT8_P12ihipStream_tbDpT10_ENKUlT_T0_E_clISt17integral_constantIbLb1EES1J_EEDaS1E_S1F_EUlS1E_E_NS1_11comp_targetILNS1_3genE5ELNS1_11target_archE942ELNS1_3gpuE9ELNS1_3repE0EEENS1_30default_config_static_selectorELNS0_4arch9wavefront6targetE1EEEvT1_
	.globl	_ZN7rocprim17ROCPRIM_400000_NS6detail17trampoline_kernelINS0_14default_configENS1_25partition_config_selectorILNS1_17partition_subalgoE2EiNS0_10empty_typeEbEEZZNS1_14partition_implILS5_2ELb0ES3_jN6thrust23THRUST_200600_302600_NS6detail15normal_iteratorINSA_7pointerIiNSA_11hip_rocprim3tagENSA_11use_defaultESG_EEEEPS6_NSA_18transform_iteratorI10is_orderedNSA_12zip_iteratorINSA_5tupleINSC_INSA_10device_ptrIiEEEESQ_NSA_9null_typeESR_SR_SR_SR_SR_SR_SR_EEEESG_SG_EENS0_5tupleIJPiSJ_EEENSV_IJSJ_SJ_EEES6_PlJS6_EEE10hipError_tPvRmT3_T4_T5_T6_T7_T9_mT8_P12ihipStream_tbDpT10_ENKUlT_T0_E_clISt17integral_constantIbLb1EES1J_EEDaS1E_S1F_EUlS1E_E_NS1_11comp_targetILNS1_3genE5ELNS1_11target_archE942ELNS1_3gpuE9ELNS1_3repE0EEENS1_30default_config_static_selectorELNS0_4arch9wavefront6targetE1EEEvT1_
	.p2align	8
	.type	_ZN7rocprim17ROCPRIM_400000_NS6detail17trampoline_kernelINS0_14default_configENS1_25partition_config_selectorILNS1_17partition_subalgoE2EiNS0_10empty_typeEbEEZZNS1_14partition_implILS5_2ELb0ES3_jN6thrust23THRUST_200600_302600_NS6detail15normal_iteratorINSA_7pointerIiNSA_11hip_rocprim3tagENSA_11use_defaultESG_EEEEPS6_NSA_18transform_iteratorI10is_orderedNSA_12zip_iteratorINSA_5tupleINSC_INSA_10device_ptrIiEEEESQ_NSA_9null_typeESR_SR_SR_SR_SR_SR_SR_EEEESG_SG_EENS0_5tupleIJPiSJ_EEENSV_IJSJ_SJ_EEES6_PlJS6_EEE10hipError_tPvRmT3_T4_T5_T6_T7_T9_mT8_P12ihipStream_tbDpT10_ENKUlT_T0_E_clISt17integral_constantIbLb1EES1J_EEDaS1E_S1F_EUlS1E_E_NS1_11comp_targetILNS1_3genE5ELNS1_11target_archE942ELNS1_3gpuE9ELNS1_3repE0EEENS1_30default_config_static_selectorELNS0_4arch9wavefront6targetE1EEEvT1_,@function
_ZN7rocprim17ROCPRIM_400000_NS6detail17trampoline_kernelINS0_14default_configENS1_25partition_config_selectorILNS1_17partition_subalgoE2EiNS0_10empty_typeEbEEZZNS1_14partition_implILS5_2ELb0ES3_jN6thrust23THRUST_200600_302600_NS6detail15normal_iteratorINSA_7pointerIiNSA_11hip_rocprim3tagENSA_11use_defaultESG_EEEEPS6_NSA_18transform_iteratorI10is_orderedNSA_12zip_iteratorINSA_5tupleINSC_INSA_10device_ptrIiEEEESQ_NSA_9null_typeESR_SR_SR_SR_SR_SR_SR_EEEESG_SG_EENS0_5tupleIJPiSJ_EEENSV_IJSJ_SJ_EEES6_PlJS6_EEE10hipError_tPvRmT3_T4_T5_T6_T7_T9_mT8_P12ihipStream_tbDpT10_ENKUlT_T0_E_clISt17integral_constantIbLb1EES1J_EEDaS1E_S1F_EUlS1E_E_NS1_11comp_targetILNS1_3genE5ELNS1_11target_archE942ELNS1_3gpuE9ELNS1_3repE0EEENS1_30default_config_static_selectorELNS0_4arch9wavefront6targetE1EEEvT1_: ; @_ZN7rocprim17ROCPRIM_400000_NS6detail17trampoline_kernelINS0_14default_configENS1_25partition_config_selectorILNS1_17partition_subalgoE2EiNS0_10empty_typeEbEEZZNS1_14partition_implILS5_2ELb0ES3_jN6thrust23THRUST_200600_302600_NS6detail15normal_iteratorINSA_7pointerIiNSA_11hip_rocprim3tagENSA_11use_defaultESG_EEEEPS6_NSA_18transform_iteratorI10is_orderedNSA_12zip_iteratorINSA_5tupleINSC_INSA_10device_ptrIiEEEESQ_NSA_9null_typeESR_SR_SR_SR_SR_SR_SR_EEEESG_SG_EENS0_5tupleIJPiSJ_EEENSV_IJSJ_SJ_EEES6_PlJS6_EEE10hipError_tPvRmT3_T4_T5_T6_T7_T9_mT8_P12ihipStream_tbDpT10_ENKUlT_T0_E_clISt17integral_constantIbLb1EES1J_EEDaS1E_S1F_EUlS1E_E_NS1_11comp_targetILNS1_3genE5ELNS1_11target_archE942ELNS1_3gpuE9ELNS1_3repE0EEENS1_30default_config_static_selectorELNS0_4arch9wavefront6targetE1EEEvT1_
; %bb.0:
	s_load_dwordx2 s[28:29], s[0:1], 0x38
	s_load_dwordx4 s[20:23], s[0:1], 0x58
	s_load_dwordx2 s[30:31], s[0:1], 0x68
	s_load_dwordx2 s[36:37], s[0:1], 0x78
	v_cmp_eq_u32_e64 s[18:19], 0, v0
	s_and_saveexec_b64 s[2:3], s[18:19]
	s_cbranch_execz .LBB3603_4
; %bb.1:
	s_mov_b64 s[6:7], exec
	v_mbcnt_lo_u32_b32 v1, s6, 0
	v_mbcnt_hi_u32_b32 v1, s7, v1
	v_cmp_eq_u32_e32 vcc, 0, v1
                                        ; implicit-def: $vgpr2
	s_and_saveexec_b64 s[4:5], vcc
	s_cbranch_execz .LBB3603_3
; %bb.2:
	s_load_dwordx2 s[8:9], s[0:1], 0x88
	s_bcnt1_i32_b64 s6, s[6:7]
	v_mov_b32_e32 v2, 0
	v_mov_b32_e32 v3, s6
	s_waitcnt lgkmcnt(0)
	global_atomic_add v2, v2, v3, s[8:9] sc0
.LBB3603_3:
	s_or_b64 exec, exec, s[4:5]
	s_waitcnt vmcnt(0)
	v_readfirstlane_b32 s4, v2
	v_mov_b32_e32 v2, 0
	s_nop 0
	v_add_u32_e32 v1, s4, v1
	ds_write_b32 v2, v1
.LBB3603_4:
	s_or_b64 exec, exec, s[2:3]
	v_mov_b32_e32 v23, 0
	s_load_dwordx4 s[24:27], s[0:1], 0x8
	s_load_dwordx4 s[4:7], s[0:1], 0x20
	s_load_dword s8, s[0:1], 0x80
	s_waitcnt lgkmcnt(0)
	s_barrier
	ds_read_b32 v1, v23
	s_waitcnt lgkmcnt(0)
	s_barrier
	global_load_dwordx2 v[24:25], v23, s[22:23]
	s_lshl_b64 s[2:3], s[26:27], 2
	s_add_u32 s10, s24, s2
	s_mul_i32 s0, s8, 0x1e00
	s_addc_u32 s11, s25, s3
	s_add_i32 s1, s0, s26
	s_sub_i32 s33, s30, s1
	s_add_i32 s9, s8, -1
	s_addk_i32 s33, 0x1e00
	s_add_u32 s0, s26, s0
	v_readfirstlane_b32 s42, v1
	s_addc_u32 s1, s27, 0
	s_cmp_eq_u32 s42, s9
	v_mov_b64_e32 v[2:3], s[30:31]
	s_cselect_b64 s[22:23], -1, 0
	s_cmp_lg_u32 s42, s9
	s_mul_i32 s24, s42, 0x1e00
	s_mov_b32 s25, 0
	v_cmp_lt_u64_e32 vcc, s[0:1], v[2:3]
	s_cselect_b64 s[0:1], -1, 0
	s_or_b64 s[34:35], vcc, s[0:1]
	s_lshl_b64 s[8:9], s[24:25], 2
	s_add_u32 s10, s10, s8
	s_addc_u32 s11, s11, s9
	s_mov_b64 s[0:1], -1
	s_and_b64 vcc, exec, s[34:35]
	v_lshlrev_b32_e32 v22, 2, v0
	s_cbranch_vccz .LBB3603_6
; %bb.5:
	v_lshl_add_u64 v[2:3], s[10:11], 0, v[22:23]
	v_add_co_u32_e32 v4, vcc, 0x1000, v2
	s_mov_b64 s[0:1], 0
	s_nop 0
	v_addc_co_u32_e32 v5, vcc, 0, v3, vcc
	v_add_co_u32_e32 v6, vcc, 0x2000, v2
	s_nop 1
	v_addc_co_u32_e32 v7, vcc, 0, v3, vcc
	v_add_co_u32_e32 v8, vcc, 0x3000, v2
	s_nop 1
	v_addc_co_u32_e32 v9, vcc, 0, v3, vcc
	flat_load_dword v1, v[2:3]
	flat_load_dword v10, v[2:3] offset:2048
	flat_load_dword v11, v[4:5]
	flat_load_dword v12, v[4:5] offset:2048
	;; [unrolled: 2-line block ×4, first 2 shown]
	v_add_co_u32_e32 v4, vcc, 0x4000, v2
	s_nop 1
	v_addc_co_u32_e32 v5, vcc, 0, v3, vcc
	v_add_co_u32_e32 v6, vcc, 0x5000, v2
	s_nop 1
	v_addc_co_u32_e32 v7, vcc, 0, v3, vcc
	;; [unrolled: 3-line block ×4, first 2 shown]
	flat_load_dword v17, v[4:5]
	flat_load_dword v18, v[4:5] offset:2048
	flat_load_dword v19, v[6:7]
	flat_load_dword v20, v[6:7] offset:2048
	;; [unrolled: 2-line block ×3, first 2 shown]
	flat_load_dword v26, v[2:3]
	s_waitcnt vmcnt(0) lgkmcnt(0)
	ds_write2st64_b32 v22, v1, v10 offset1:8
	ds_write2st64_b32 v22, v11, v12 offset0:16 offset1:24
	ds_write2st64_b32 v22, v13, v14 offset0:32 offset1:40
	;; [unrolled: 1-line block ×6, first 2 shown]
	ds_write_b32 v22, v26 offset:28672
	s_waitcnt lgkmcnt(0)
	s_barrier
.LBB3603_6:
	s_andn2_b64 vcc, exec, s[0:1]
	v_cmp_gt_u32_e64 s[0:1], s33, v0
	s_cbranch_vccnz .LBB3603_38
; %bb.7:
                                        ; implicit-def: $vgpr2_vgpr3_vgpr4_vgpr5_vgpr6_vgpr7_vgpr8_vgpr9_vgpr10_vgpr11_vgpr12_vgpr13_vgpr14_vgpr15_vgpr16_vgpr17
	s_and_saveexec_b64 s[12:13], s[0:1]
	s_cbranch_execz .LBB3603_9
; %bb.8:
	v_mov_b32_e32 v23, 0
	v_lshl_add_u64 v[2:3], s[10:11], 0, v[22:23]
	flat_load_dword v2, v[2:3]
.LBB3603_9:
	s_or_b64 exec, exec, s[12:13]
	v_or_b32_e32 v1, 0x200, v0
	v_cmp_gt_u32_e32 vcc, s33, v1
	s_and_saveexec_b64 s[0:1], vcc
	s_cbranch_execz .LBB3603_11
; %bb.10:
	v_mov_b32_e32 v23, 0
	v_lshl_add_u64 v[18:19], s[10:11], 0, v[22:23]
	flat_load_dword v3, v[18:19] offset:2048
.LBB3603_11:
	s_or_b64 exec, exec, s[0:1]
	v_or_b32_e32 v1, 0x400, v0
	v_cmp_gt_u32_e32 vcc, s33, v1
	s_and_saveexec_b64 s[0:1], vcc
	s_cbranch_execz .LBB3603_13
; %bb.12:
	v_lshlrev_b32_e32 v18, 2, v1
	v_mov_b32_e32 v19, 0
	v_lshl_add_u64 v[18:19], s[10:11], 0, v[18:19]
	flat_load_dword v4, v[18:19]
.LBB3603_13:
	s_or_b64 exec, exec, s[0:1]
	v_or_b32_e32 v1, 0x600, v0
	v_cmp_gt_u32_e32 vcc, s33, v1
	s_and_saveexec_b64 s[0:1], vcc
	s_cbranch_execz .LBB3603_15
; %bb.14:
	v_lshlrev_b32_e32 v18, 2, v1
	v_mov_b32_e32 v19, 0
	v_lshl_add_u64 v[18:19], s[10:11], 0, v[18:19]
	flat_load_dword v5, v[18:19]
.LBB3603_15:
	;; [unrolled: 11-line block ×13, first 2 shown]
	s_or_b64 exec, exec, s[0:1]
	s_waitcnt vmcnt(0) lgkmcnt(0)
	ds_write2st64_b32 v22, v2, v3 offset1:8
	ds_write2st64_b32 v22, v4, v5 offset0:16 offset1:24
	ds_write2st64_b32 v22, v6, v7 offset0:32 offset1:40
	;; [unrolled: 1-line block ×6, first 2 shown]
	ds_write_b32 v22, v16 offset:28672
	s_waitcnt lgkmcnt(0)
	s_barrier
.LBB3603_38:
	v_mul_u32_u24_e32 v21, 15, v0
	v_lshlrev_b32_e32 v1, 2, v21
	ds_read2_b32 v[40:41], v1 offset1:1
	ds_read2_b32 v[38:39], v1 offset0:2 offset1:3
	ds_read2_b32 v[36:37], v1 offset0:4 offset1:5
	;; [unrolled: 1-line block ×6, first 2 shown]
	ds_read_b32 v1, v1 offset:56
	s_add_u32 s0, s4, s2
	s_addc_u32 s1, s5, s3
	s_add_u32 s2, s6, s2
	s_addc_u32 s3, s7, s3
	;; [unrolled: 2-line block ×4, first 2 shown]
	s_mov_b64 s[4:5], -1
	s_and_b64 vcc, exec, s[34:35]
	s_waitcnt lgkmcnt(0)
	s_barrier
	s_cbranch_vccz .LBB3603_40
; %bb.39:
	v_mov_b32_e32 v23, 0
	v_lshl_add_u64 v[2:3], s[0:1], 0, v[22:23]
	v_add_co_u32_e32 v6, vcc, 0x1000, v2
	v_lshl_add_u64 v[4:5], s[2:3], 0, v[22:23]
	s_nop 0
	v_addc_co_u32_e32 v7, vcc, 0, v3, vcc
	v_add_co_u32_e32 v8, vcc, 0x1000, v4
	global_load_dword v10, v22, s[0:1]
	global_load_dword v11, v22, s[2:3] offset:2048
	global_load_dword v12, v22, s[2:3]
	global_load_dword v13, v22, s[0:1] offset:2048
	v_addc_co_u32_e32 v9, vcc, 0, v5, vcc
	global_load_dword v14, v[6:7], off
	global_load_dword v15, v[6:7], off offset:2048
	global_load_dword v16, v[8:9], off
	global_load_dword v17, v[8:9], off offset:2048
	v_add_co_u32_e32 v6, vcc, 0x2000, v2
	s_mov_b64 s[4:5], 0
	s_nop 0
	v_addc_co_u32_e32 v7, vcc, 0, v3, vcc
	v_add_co_u32_e32 v8, vcc, 0x2000, v4
	s_nop 1
	v_addc_co_u32_e32 v9, vcc, 0, v5, vcc
	global_load_dword v18, v[6:7], off
	global_load_dword v19, v[6:7], off offset:2048
	global_load_dword v20, v[8:9], off
	global_load_dword v23, v[8:9], off offset:2048
	v_add_co_u32_e32 v6, vcc, 0x3000, v2
	s_nop 1
	v_addc_co_u32_e32 v7, vcc, 0, v3, vcc
	v_add_co_u32_e32 v8, vcc, 0x3000, v4
	s_nop 1
	v_addc_co_u32_e32 v9, vcc, 0, v5, vcc
	global_load_dword v26, v[6:7], off
	global_load_dword v27, v[6:7], off offset:2048
	global_load_dword v42, v[8:9], off
	global_load_dword v43, v[8:9], off offset:2048
	v_add_co_u32_e32 v6, vcc, 0x4000, v2
	;; [unrolled: 10-line block ×4, first 2 shown]
	s_nop 1
	v_addc_co_u32_e32 v7, vcc, 0, v3, vcc
	v_add_co_u32_e32 v8, vcc, 0x6000, v4
	s_nop 1
	v_addc_co_u32_e32 v9, vcc, 0, v5, vcc
	v_add_co_u32_e32 v2, vcc, 0x7000, v2
	global_load_dword v52, v[6:7], off
	global_load_dword v53, v[6:7], off offset:2048
	global_load_dword v54, v[8:9], off
	global_load_dword v55, v[8:9], off offset:2048
	v_addc_co_u32_e32 v3, vcc, 0, v3, vcc
	global_load_dword v6, v[2:3], off
	v_add_co_u32_e32 v2, vcc, 0x7000, v4
	s_nop 1
	v_addc_co_u32_e32 v3, vcc, 0, v5, vcc
	global_load_dword v2, v[2:3], off
	s_waitcnt vmcnt(27)
	v_cmp_le_i32_e32 vcc, v10, v12
	s_nop 1
	v_cndmask_b32_e64 v3, 0, 1, vcc
	s_waitcnt vmcnt(26)
	v_cmp_le_i32_e32 vcc, v13, v11
	s_nop 1
	v_cndmask_b32_e64 v4, 0, 1, vcc
	;; [unrolled: 4-line block ×15, first 2 shown]
	ds_write_b8 v0, v3
	ds_write_b8 v0, v4 offset:512
	ds_write_b8 v0, v5 offset:1024
	;; [unrolled: 1-line block ×14, first 2 shown]
	s_waitcnt lgkmcnt(0)
	s_barrier
.LBB3603_40:
	s_andn2_b64 vcc, exec, s[4:5]
	s_cbranch_vccnz .LBB3603_72
; %bb.41:
	v_cmp_gt_u32_e32 vcc, s33, v0
	v_mov_b32_e32 v2, 0
	v_mov_b32_e32 v3, 0
	s_and_saveexec_b64 s[4:5], vcc
	s_cbranch_execz .LBB3603_43
; %bb.42:
	global_load_dword v3, v22, s[0:1]
	global_load_dword v4, v22, s[2:3]
	s_waitcnt vmcnt(0)
	v_cmp_le_i32_e32 vcc, v3, v4
	s_nop 1
	v_cndmask_b32_e64 v3, 0, 1, vcc
.LBB3603_43:
	s_or_b64 exec, exec, s[4:5]
	v_or_b32_e32 v4, 0x200, v0
	v_cmp_gt_u32_e32 vcc, s33, v4
	s_and_saveexec_b64 s[4:5], vcc
	s_cbranch_execz .LBB3603_45
; %bb.44:
	global_load_dword v2, v22, s[0:1] offset:2048
	global_load_dword v4, v22, s[2:3] offset:2048
	s_waitcnt vmcnt(0)
	v_cmp_le_i32_e32 vcc, v2, v4
	s_nop 1
	v_cndmask_b32_e64 v2, 0, 1, vcc
.LBB3603_45:
	s_or_b64 exec, exec, s[4:5]
	v_or_b32_e32 v6, 0x400, v0
	v_cmp_gt_u32_e32 vcc, s33, v6
	v_mov_b32_e32 v4, 0
	v_mov_b32_e32 v5, 0
	s_and_saveexec_b64 s[4:5], vcc
	s_cbranch_execz .LBB3603_47
; %bb.46:
	v_lshlrev_b32_e32 v5, 2, v6
	global_load_dword v6, v5, s[0:1]
	global_load_dword v7, v5, s[2:3]
	s_waitcnt vmcnt(0)
	v_cmp_le_i32_e32 vcc, v6, v7
	s_nop 1
	v_cndmask_b32_e64 v5, 0, 1, vcc
.LBB3603_47:
	s_or_b64 exec, exec, s[4:5]
	v_or_b32_e32 v6, 0x600, v0
	v_cmp_gt_u32_e32 vcc, s33, v6
	s_and_saveexec_b64 s[4:5], vcc
	s_cbranch_execz .LBB3603_49
; %bb.48:
	v_lshlrev_b32_e32 v4, 2, v6
	global_load_dword v6, v4, s[0:1]
	global_load_dword v7, v4, s[2:3]
	s_waitcnt vmcnt(0)
	v_cmp_le_i32_e32 vcc, v6, v7
	s_nop 1
	v_cndmask_b32_e64 v4, 0, 1, vcc
.LBB3603_49:
	s_or_b64 exec, exec, s[4:5]
	v_or_b32_e32 v8, 0x800, v0
	v_cmp_gt_u32_e32 vcc, s33, v8
	v_mov_b32_e32 v6, 0
	v_mov_b32_e32 v7, 0
	s_and_saveexec_b64 s[4:5], vcc
	s_cbranch_execz .LBB3603_51
; %bb.50:
	v_lshlrev_b32_e32 v7, 2, v8
	global_load_dword v8, v7, s[0:1]
	global_load_dword v9, v7, s[2:3]
	s_waitcnt vmcnt(0)
	v_cmp_le_i32_e32 vcc, v8, v9
	s_nop 1
	v_cndmask_b32_e64 v7, 0, 1, vcc
.LBB3603_51:
	s_or_b64 exec, exec, s[4:5]
	v_or_b32_e32 v8, 0xa00, v0
	v_cmp_gt_u32_e32 vcc, s33, v8
	s_and_saveexec_b64 s[4:5], vcc
	s_cbranch_execz .LBB3603_53
; %bb.52:
	v_lshlrev_b32_e32 v6, 2, v8
	global_load_dword v8, v6, s[0:1]
	global_load_dword v9, v6, s[2:3]
	s_waitcnt vmcnt(0)
	v_cmp_le_i32_e32 vcc, v8, v9
	s_nop 1
	v_cndmask_b32_e64 v6, 0, 1, vcc
.LBB3603_53:
	;; [unrolled: 30-line block ×6, first 2 shown]
	s_or_b64 exec, exec, s[4:5]
	v_or_b32_e32 v17, 0x1c00, v0
	v_cmp_gt_u32_e32 vcc, s33, v17
	v_mov_b32_e32 v16, 0
	s_and_saveexec_b64 s[4:5], vcc
	s_cbranch_execz .LBB3603_71
; %bb.70:
	v_lshlrev_b32_e32 v16, 2, v17
	global_load_dword v17, v16, s[0:1]
	global_load_dword v18, v16, s[2:3]
	s_waitcnt vmcnt(0)
	v_cmp_le_i32_e32 vcc, v17, v18
	s_nop 1
	v_cndmask_b32_e64 v16, 0, 1, vcc
.LBB3603_71:
	s_or_b64 exec, exec, s[4:5]
	ds_write_b8 v0, v3
	ds_write_b8 v0, v2 offset:512
	ds_write_b8 v0, v5 offset:1024
	;; [unrolled: 1-line block ×14, first 2 shown]
	s_waitcnt lgkmcnt(0)
	s_barrier
.LBB3603_72:
	ds_read_b96 v[18:20], v21
	ds_read_u8 v2, v21 offset:12
	ds_read_u8 v3, v21 offset:13
	;; [unrolled: 1-line block ×3, first 2 shown]
	s_cmp_lg_u32 s42, 0
	v_lshrrev_b32_e32 v58, 6, v0
	s_waitcnt lgkmcnt(2)
	v_and_b32_e32 v44, 1, v2
	v_and_b32_e32 v53, 0xff, v18
	v_bfe_u32 v55, v18, 8, 8
	v_bfe_u32 v56, v18, 16, 8
	v_lshrrev_b32_e32 v46, 24, v18
	v_and_b32_e32 v50, 0xff, v19
	v_add3_u32 v2, v55, v53, v56
	v_bfe_u32 v51, v19, 8, 8
	v_bfe_u32 v52, v19, 16, 8
	v_add3_u32 v2, v2, v46, v50
	v_lshrrev_b32_e32 v45, 24, v19
	v_and_b32_e32 v47, 0xff, v20
	v_add3_u32 v2, v2, v51, v52
	v_bfe_u32 v48, v20, 8, 8
	v_bfe_u32 v49, v20, 16, 8
	v_add3_u32 v2, v2, v45, v47
	v_lshrrev_b32_e32 v43, 24, v20
	v_add3_u32 v2, v2, v48, v49
	s_waitcnt lgkmcnt(1)
	v_and_b32_e32 v42, 1, v3
	s_waitcnt lgkmcnt(0)
	v_and_b32_e32 v23, 1, v4
	v_add3_u32 v2, v2, v43, v44
	v_add3_u32 v59, v2, v42, v23
	v_mbcnt_lo_u32_b32 v2, -1, 0
	v_mbcnt_hi_u32_b32 v57, -1, v2
	v_and_b32_e32 v2, 15, v57
	v_cmp_eq_u32_e64 s[14:15], 0, v2
	v_cmp_lt_u32_e64 s[12:13], 1, v2
	v_cmp_lt_u32_e64 s[10:11], 3, v2
	;; [unrolled: 1-line block ×3, first 2 shown]
	v_and_b32_e32 v2, 16, v57
	v_cmp_eq_u32_e64 s[6:7], 0, v2
	v_or_b32_e32 v2, 63, v0
	v_cmp_lt_u32_e64 s[2:3], 31, v57
	v_cmp_eq_u32_e64 s[4:5], v2, v0
	s_barrier
	s_cbranch_scc0 .LBB3603_103
; %bb.73:
	v_mov_b32_dpp v2, v59 row_shr:1 row_mask:0xf bank_mask:0xf
	v_cndmask_b32_e64 v2, v2, 0, s[14:15]
	v_add_u32_e32 v2, v2, v59
	s_nop 1
	v_mov_b32_dpp v3, v2 row_shr:2 row_mask:0xf bank_mask:0xf
	v_cndmask_b32_e64 v3, 0, v3, s[12:13]
	v_add_u32_e32 v2, v2, v3
	s_nop 1
	;; [unrolled: 4-line block ×4, first 2 shown]
	v_mov_b32_dpp v3, v2 row_bcast:15 row_mask:0xf bank_mask:0xf
	v_cndmask_b32_e64 v3, v3, 0, s[6:7]
	v_add_u32_e32 v2, v2, v3
	s_nop 1
	v_mov_b32_dpp v3, v2 row_bcast:31 row_mask:0xf bank_mask:0xf
	v_cndmask_b32_e64 v3, 0, v3, s[2:3]
	v_add_u32_e32 v2, v2, v3
	s_and_saveexec_b64 s[0:1], s[4:5]
	s_cbranch_execz .LBB3603_75
; %bb.74:
	v_lshlrev_b32_e32 v3, 2, v58
	ds_write_b32 v3, v2
.LBB3603_75:
	s_or_b64 exec, exec, s[0:1]
	v_cmp_gt_u32_e32 vcc, 8, v0
	s_waitcnt lgkmcnt(0)
	s_barrier
	s_and_saveexec_b64 s[0:1], vcc
	s_cbranch_execz .LBB3603_77
; %bb.76:
	ds_read_b32 v3, v22
	v_and_b32_e32 v4, 7, v57
	v_cmp_ne_u32_e32 vcc, 0, v4
	s_waitcnt lgkmcnt(0)
	v_mov_b32_dpp v5, v3 row_shr:1 row_mask:0xf bank_mask:0xf
	v_cndmask_b32_e32 v5, 0, v5, vcc
	v_add_u32_e32 v3, v5, v3
	v_cmp_lt_u32_e32 vcc, 1, v4
	s_nop 0
	v_mov_b32_dpp v5, v3 row_shr:2 row_mask:0xf bank_mask:0xf
	v_cndmask_b32_e32 v5, 0, v5, vcc
	v_add_u32_e32 v3, v3, v5
	v_cmp_lt_u32_e32 vcc, 3, v4
	s_nop 0
	v_mov_b32_dpp v5, v3 row_shr:4 row_mask:0xf bank_mask:0xf
	v_cndmask_b32_e32 v4, 0, v5, vcc
	v_add_u32_e32 v3, v3, v4
	ds_write_b32 v22, v3
.LBB3603_77:
	s_or_b64 exec, exec, s[0:1]
	v_cmp_gt_u32_e32 vcc, 64, v0
	v_cmp_lt_u32_e64 s[0:1], 63, v0
	s_waitcnt lgkmcnt(0)
	s_barrier
	s_waitcnt lgkmcnt(0)
                                        ; implicit-def: $vgpr12
	s_and_saveexec_b64 s[16:17], s[0:1]
	s_cbranch_execz .LBB3603_79
; %bb.78:
	v_lshl_add_u32 v3, v58, 2, -4
	ds_read_b32 v12, v3
	s_waitcnt lgkmcnt(0)
	v_add_u32_e32 v2, v12, v2
.LBB3603_79:
	s_or_b64 exec, exec, s[16:17]
	v_add_u32_e32 v3, -1, v57
	v_and_b32_e32 v4, 64, v57
	v_cmp_lt_i32_e64 s[0:1], v3, v4
	v_cmp_eq_u32_e64 s[16:17], 0, v57
	s_nop 0
	v_cndmask_b32_e64 v3, v3, v57, s[0:1]
	v_lshlrev_b32_e32 v3, 2, v3
	ds_bpermute_b32 v13, v3, v2
	s_and_saveexec_b64 s[0:1], vcc
	s_cbranch_execz .LBB3603_102
; %bb.80:
	v_mov_b32_e32 v11, 0
	ds_read_b32 v2, v11 offset:28
	s_and_saveexec_b64 s[38:39], s[16:17]
	s_cbranch_execz .LBB3603_82
; %bb.81:
	s_add_i32 s40, s42, 64
	s_mov_b32 s41, 0
	s_lshl_b64 s[40:41], s[40:41], 3
	s_add_u32 s40, s36, s40
	v_mov_b32_e32 v3, 1
	s_addc_u32 s41, s37, s41
	s_waitcnt lgkmcnt(0)
	global_store_dwordx2 v11, v[2:3], s[40:41] sc1
.LBB3603_82:
	s_or_b64 exec, exec, s[38:39]
	v_xad_u32 v4, v57, -1, s42
	v_add_u32_e32 v10, 64, v4
	v_lshl_add_u64 v[6:7], v[10:11], 3, s[36:37]
	global_load_dwordx2 v[8:9], v[6:7], off sc1
	s_waitcnt vmcnt(0)
	v_cmp_eq_u16_sdwa s[40:41], v9, v11 src0_sel:BYTE_0 src1_sel:DWORD
	s_and_saveexec_b64 s[38:39], s[40:41]
	s_cbranch_execz .LBB3603_88
; %bb.83:
	s_mov_b32 s25, 1
	s_mov_b64 s[40:41], 0
	v_mov_b32_e32 v3, 0
.LBB3603_84:                            ; =>This Loop Header: Depth=1
                                        ;     Child Loop BB3603_85 Depth 2
	s_max_u32 s43, s25, 1
.LBB3603_85:                            ;   Parent Loop BB3603_84 Depth=1
                                        ; =>  This Inner Loop Header: Depth=2
	s_add_i32 s43, s43, -1
	s_cmp_eq_u32 s43, 0
	s_sleep 1
	s_cbranch_scc0 .LBB3603_85
; %bb.86:                               ;   in Loop: Header=BB3603_84 Depth=1
	global_load_dwordx2 v[8:9], v[6:7], off sc1
	s_cmp_lt_u32 s25, 32
	s_cselect_b64 s[44:45], -1, 0
	s_cmp_lg_u64 s[44:45], 0
	s_addc_u32 s25, s25, 0
	s_waitcnt vmcnt(0)
	v_cmp_ne_u16_sdwa s[44:45], v9, v3 src0_sel:BYTE_0 src1_sel:DWORD
	s_or_b64 s[40:41], s[44:45], s[40:41]
	s_andn2_b64 exec, exec, s[40:41]
	s_cbranch_execnz .LBB3603_84
; %bb.87:
	s_or_b64 exec, exec, s[40:41]
.LBB3603_88:
	s_or_b64 exec, exec, s[38:39]
	v_and_b32_e32 v15, 63, v57
	v_mov_b32_e32 v14, 2
	v_cmp_ne_u32_e32 vcc, 63, v15
	v_cmp_eq_u16_sdwa s[38:39], v9, v14 src0_sel:BYTE_0 src1_sel:DWORD
	v_lshlrev_b64 v[6:7], v57, -1
	v_addc_co_u32_e32 v10, vcc, 0, v57, vcc
	v_and_b32_e32 v3, s39, v7
	v_lshlrev_b32_e32 v16, 2, v10
	v_or_b32_e32 v3, 0x80000000, v3
	ds_bpermute_b32 v10, v16, v8
	v_and_b32_e32 v5, s38, v6
	v_ffbl_b32_e32 v3, v3
	v_add_u32_e32 v3, 32, v3
	v_ffbl_b32_e32 v5, v5
	v_min_u32_e32 v3, v5, v3
	v_cmp_lt_u32_e32 vcc, v15, v3
	v_add_u32_e32 v26, 2, v15
	v_add_u32_e32 v54, 4, v15
	s_waitcnt lgkmcnt(0)
	v_cndmask_b32_e32 v5, 0, v10, vcc
	v_cmp_gt_u32_e32 vcc, 62, v15
	v_add_u32_e32 v5, v5, v8
	v_add_u32_e32 v61, 8, v15
	v_cndmask_b32_e64 v8, 0, 1, vcc
	v_lshlrev_b32_e32 v8, 1, v8
	v_add_lshl_u32 v17, v8, v57, 2
	ds_bpermute_b32 v8, v17, v5
	v_cmp_le_u32_e32 vcc, v26, v3
	v_add_u32_e32 v63, 16, v15
	v_add_u32_e32 v65, 32, v15
	s_waitcnt lgkmcnt(0)
	v_cndmask_b32_e32 v8, 0, v8, vcc
	v_cmp_gt_u32_e32 vcc, 60, v15
	v_add_u32_e32 v5, v5, v8
	s_nop 0
	v_cndmask_b32_e64 v8, 0, 1, vcc
	v_lshlrev_b32_e32 v8, 2, v8
	v_add_lshl_u32 v27, v8, v57, 2
	ds_bpermute_b32 v8, v27, v5
	v_cmp_le_u32_e32 vcc, v54, v3
	s_waitcnt lgkmcnt(0)
	s_nop 0
	v_cndmask_b32_e32 v8, 0, v8, vcc
	v_cmp_gt_u32_e32 vcc, 56, v15
	v_add_u32_e32 v5, v5, v8
	s_nop 0
	v_cndmask_b32_e64 v8, 0, 1, vcc
	v_lshlrev_b32_e32 v8, 3, v8
	v_add_lshl_u32 v60, v8, v57, 2
	ds_bpermute_b32 v8, v60, v5
	v_cmp_le_u32_e32 vcc, v61, v3
	s_waitcnt lgkmcnt(0)
	s_nop 0
	v_cndmask_b32_e32 v8, 0, v8, vcc
	v_cmp_gt_u32_e32 vcc, 48, v15
	v_add_u32_e32 v5, v5, v8
	s_nop 0
	v_cndmask_b32_e64 v8, 0, 1, vcc
	v_lshlrev_b32_e32 v8, 4, v8
	v_add_lshl_u32 v62, v8, v57, 2
	ds_bpermute_b32 v8, v62, v5
	v_cmp_le_u32_e32 vcc, v63, v3
	s_waitcnt lgkmcnt(0)
	s_nop 0
	v_cndmask_b32_e32 v8, 0, v8, vcc
	v_cmp_gt_u32_e32 vcc, 32, v15
	v_add_u32_e32 v5, v5, v8
	s_nop 0
	v_cndmask_b32_e64 v8, 0, 1, vcc
	v_lshlrev_b32_e32 v8, 5, v8
	v_add_lshl_u32 v64, v8, v57, 2
	ds_bpermute_b32 v8, v64, v5
	v_cmp_le_u32_e32 vcc, v65, v3
	s_waitcnt lgkmcnt(0)
	s_nop 0
	v_cndmask_b32_e32 v3, 0, v8, vcc
	v_add_u32_e32 v8, v5, v3
	v_mov_b32_e32 v5, 0
	s_branch .LBB3603_90
.LBB3603_89:                            ;   in Loop: Header=BB3603_90 Depth=1
	s_or_b64 exec, exec, s[38:39]
	v_cmp_eq_u16_sdwa s[38:39], v9, v14 src0_sel:BYTE_0 src1_sel:DWORD
	ds_bpermute_b32 v66, v16, v8
	v_subrev_u32_e32 v4, 64, v4
	v_and_b32_e32 v10, s39, v7
	v_or_b32_e32 v10, 0x80000000, v10
	v_and_b32_e32 v11, s38, v6
	v_ffbl_b32_e32 v10, v10
	v_add_u32_e32 v10, 32, v10
	v_ffbl_b32_e32 v11, v11
	v_min_u32_e32 v10, v11, v10
	v_cmp_lt_u32_e32 vcc, v15, v10
	s_waitcnt lgkmcnt(0)
	s_nop 0
	v_cndmask_b32_e32 v11, 0, v66, vcc
	v_add_u32_e32 v8, v11, v8
	ds_bpermute_b32 v11, v17, v8
	v_cmp_le_u32_e32 vcc, v26, v10
	s_waitcnt lgkmcnt(0)
	s_nop 0
	v_cndmask_b32_e32 v11, 0, v11, vcc
	v_add_u32_e32 v8, v8, v11
	ds_bpermute_b32 v11, v27, v8
	v_cmp_le_u32_e32 vcc, v54, v10
	;; [unrolled: 6-line block ×5, first 2 shown]
	s_waitcnt lgkmcnt(0)
	s_nop 0
	v_cndmask_b32_e32 v10, 0, v11, vcc
	v_add3_u32 v8, v10, v3, v8
.LBB3603_90:                            ; =>This Loop Header: Depth=1
                                        ;     Child Loop BB3603_93 Depth 2
                                        ;       Child Loop BB3603_94 Depth 3
	v_cmp_ne_u16_sdwa s[38:39], v9, v14 src0_sel:BYTE_0 src1_sel:DWORD
	s_nop 1
	v_cndmask_b32_e64 v3, 0, 1, s[38:39]
	;;#ASMSTART
	;;#ASMEND
	s_nop 0
	v_cmp_ne_u32_e32 vcc, 0, v3
	s_cmp_lg_u64 vcc, exec
	v_mov_b32_e32 v3, v8
	s_cbranch_scc1 .LBB3603_97
; %bb.91:                               ;   in Loop: Header=BB3603_90 Depth=1
	v_lshl_add_u64 v[10:11], v[4:5], 3, s[36:37]
	global_load_dwordx2 v[8:9], v[10:11], off sc1
	s_waitcnt vmcnt(0)
	v_cmp_eq_u16_sdwa s[40:41], v9, v5 src0_sel:BYTE_0 src1_sel:DWORD
	s_and_saveexec_b64 s[38:39], s[40:41]
	s_cbranch_execz .LBB3603_89
; %bb.92:                               ;   in Loop: Header=BB3603_90 Depth=1
	s_mov_b32 s25, 1
	s_mov_b64 s[40:41], 0
.LBB3603_93:                            ;   Parent Loop BB3603_90 Depth=1
                                        ; =>  This Loop Header: Depth=2
                                        ;       Child Loop BB3603_94 Depth 3
	s_max_u32 s43, s25, 1
.LBB3603_94:                            ;   Parent Loop BB3603_90 Depth=1
                                        ;     Parent Loop BB3603_93 Depth=2
                                        ; =>    This Inner Loop Header: Depth=3
	s_add_i32 s43, s43, -1
	s_cmp_eq_u32 s43, 0
	s_sleep 1
	s_cbranch_scc0 .LBB3603_94
; %bb.95:                               ;   in Loop: Header=BB3603_93 Depth=2
	global_load_dwordx2 v[8:9], v[10:11], off sc1
	s_cmp_lt_u32 s25, 32
	s_cselect_b64 s[44:45], -1, 0
	s_cmp_lg_u64 s[44:45], 0
	s_addc_u32 s25, s25, 0
	s_waitcnt vmcnt(0)
	v_cmp_ne_u16_sdwa s[44:45], v9, v5 src0_sel:BYTE_0 src1_sel:DWORD
	s_or_b64 s[40:41], s[44:45], s[40:41]
	s_andn2_b64 exec, exec, s[40:41]
	s_cbranch_execnz .LBB3603_93
; %bb.96:                               ;   in Loop: Header=BB3603_90 Depth=1
	s_or_b64 exec, exec, s[40:41]
	s_branch .LBB3603_89
.LBB3603_97:                            ;   in Loop: Header=BB3603_90 Depth=1
                                        ; implicit-def: $vgpr8
                                        ; implicit-def: $vgpr9
	s_cbranch_execz .LBB3603_90
; %bb.98:
	s_and_saveexec_b64 s[38:39], s[16:17]
	s_cbranch_execz .LBB3603_100
; %bb.99:
	s_add_i32 s40, s42, 64
	s_mov_b32 s41, 0
	s_lshl_b64 s[40:41], s[40:41], 3
	s_add_u32 s40, s36, s40
	v_add_u32_e32 v4, v3, v2
	v_mov_b32_e32 v5, 2
	s_addc_u32 s41, s37, s41
	v_mov_b32_e32 v6, 0
	global_store_dwordx2 v6, v[4:5], s[40:41] sc1
	ds_write_b64 v6, v[2:3] offset:30720
.LBB3603_100:
	s_or_b64 exec, exec, s[38:39]
	s_and_b64 exec, exec, s[18:19]
	s_cbranch_execz .LBB3603_102
; %bb.101:
	v_mov_b32_e32 v2, 0
	ds_write_b32 v2, v3 offset:28
.LBB3603_102:
	s_or_b64 exec, exec, s[0:1]
	v_mov_b32_e32 v14, 0
	s_waitcnt lgkmcnt(0)
	s_barrier
	ds_read_b32 v2, v14 offset:28
	v_cndmask_b32_e64 v3, v13, v12, s[16:17]
	v_cndmask_b32_e64 v3, v3, 0, s[18:19]
	s_waitcnt lgkmcnt(0)
	s_barrier
	v_add_u32_e32 v2, v2, v3
	v_add_u32_e32 v3, v2, v53
	;; [unrolled: 1-line block ×10, first 2 shown]
	ds_read_b64 v[26:27], v14 offset:30720
	v_add_u32_e32 v12, v11, v48
	v_add_u32_e32 v13, v12, v49
	v_add_u32_e32 v14, v13, v43
	v_add_u32_e32 v15, v14, v44
	v_add_u32_e32 v16, v15, v42
	s_waitcnt lgkmcnt(0)
	v_mov_b32_e32 v54, v27
	s_branch .LBB3603_113
.LBB3603_103:
                                        ; implicit-def: $vgpr54
                                        ; implicit-def: $vgpr26
                                        ; implicit-def: $vgpr2_vgpr3_vgpr4_vgpr5_vgpr6_vgpr7_vgpr8_vgpr9_vgpr10_vgpr11_vgpr12_vgpr13_vgpr14_vgpr15_vgpr16_vgpr17
	s_cbranch_execz .LBB3603_113
; %bb.104:
	s_nop 0
	v_mov_b32_dpp v2, v59 row_shr:1 row_mask:0xf bank_mask:0xf
	v_cndmask_b32_e64 v2, v2, 0, s[14:15]
	v_add_u32_e32 v2, v2, v59
	s_nop 1
	v_mov_b32_dpp v3, v2 row_shr:2 row_mask:0xf bank_mask:0xf
	v_cndmask_b32_e64 v3, 0, v3, s[12:13]
	v_add_u32_e32 v2, v2, v3
	;; [unrolled: 4-line block ×4, first 2 shown]
	s_nop 1
	v_mov_b32_dpp v3, v2 row_bcast:15 row_mask:0xf bank_mask:0xf
	v_cndmask_b32_e64 v3, v3, 0, s[6:7]
	v_add_u32_e32 v2, v2, v3
	s_nop 1
	v_mov_b32_dpp v3, v2 row_bcast:31 row_mask:0xf bank_mask:0xf
	v_cndmask_b32_e64 v3, 0, v3, s[2:3]
	v_add_u32_e32 v2, v2, v3
	s_and_saveexec_b64 s[0:1], s[4:5]
	s_cbranch_execz .LBB3603_106
; %bb.105:
	v_lshlrev_b32_e32 v3, 2, v58
	ds_write_b32 v3, v2
.LBB3603_106:
	s_or_b64 exec, exec, s[0:1]
	v_cmp_gt_u32_e32 vcc, 8, v0
	s_waitcnt lgkmcnt(0)
	s_barrier
	s_and_saveexec_b64 s[0:1], vcc
	s_cbranch_execz .LBB3603_108
; %bb.107:
	v_mad_i32_i24 v3, v0, -11, v21
	ds_read_b32 v4, v3
	v_and_b32_e32 v5, 7, v57
	v_cmp_ne_u32_e32 vcc, 0, v5
	s_waitcnt lgkmcnt(0)
	v_mov_b32_dpp v6, v4 row_shr:1 row_mask:0xf bank_mask:0xf
	v_cndmask_b32_e32 v6, 0, v6, vcc
	v_add_u32_e32 v4, v6, v4
	v_cmp_lt_u32_e32 vcc, 1, v5
	s_nop 0
	v_mov_b32_dpp v6, v4 row_shr:2 row_mask:0xf bank_mask:0xf
	v_cndmask_b32_e32 v6, 0, v6, vcc
	v_add_u32_e32 v4, v4, v6
	v_cmp_lt_u32_e32 vcc, 3, v5
	s_nop 0
	v_mov_b32_dpp v6, v4 row_shr:4 row_mask:0xf bank_mask:0xf
	v_cndmask_b32_e32 v5, 0, v6, vcc
	v_add_u32_e32 v4, v4, v5
	ds_write_b32 v3, v4
.LBB3603_108:
	s_or_b64 exec, exec, s[0:1]
	v_cmp_lt_u32_e32 vcc, 63, v0
	v_mov_b32_e32 v4, 0
	v_mov_b32_e32 v3, 0
	s_waitcnt lgkmcnt(0)
	s_barrier
	s_and_saveexec_b64 s[0:1], vcc
	s_cbranch_execz .LBB3603_110
; %bb.109:
	v_lshl_add_u32 v3, v58, 2, -4
	ds_read_b32 v3, v3
.LBB3603_110:
	s_or_b64 exec, exec, s[0:1]
	v_add_u32_e32 v5, -1, v57
	v_and_b32_e32 v6, 64, v57
	v_cmp_lt_i32_e32 vcc, v5, v6
	s_waitcnt lgkmcnt(0)
	v_add_u32_e32 v2, v3, v2
	ds_read_b32 v26, v4 offset:28
	v_cndmask_b32_e32 v5, v5, v57, vcc
	v_lshlrev_b32_e32 v5, 2, v5
	ds_bpermute_b32 v2, v5, v2
	s_and_saveexec_b64 s[0:1], s[18:19]
	s_cbranch_execz .LBB3603_112
; %bb.111:
	v_mov_b32_e32 v4, 0
	v_mov_b32_e32 v27, 2
	s_waitcnt lgkmcnt(1)
	global_store_dwordx2 v4, v[26:27], s[36:37] offset:512 sc1
.LBB3603_112:
	s_or_b64 exec, exec, s[0:1]
	v_cmp_eq_u32_e32 vcc, 0, v57
	v_mov_b32_e32 v54, 0
	s_waitcnt lgkmcnt(0)
	v_cndmask_b32_e32 v2, v2, v3, vcc
	v_cndmask_b32_e64 v2, v2, 0, s[18:19]
	v_add_u32_e32 v3, v2, v53
	v_add_u32_e32 v4, v3, v55
	;; [unrolled: 1-line block ×14, first 2 shown]
	s_barrier
.LBB3603_113:
	v_add_u32_e32 v21, v26, v21
	v_sub_u32_e32 v2, v2, v54
	v_and_b32_e32 v49, 1, v18
	v_sub_u32_e32 v48, v21, v2
	v_cmp_eq_u32_e32 vcc, 1, v49
	v_lshrrev_b32_e32 v47, 8, v18
	v_lshrrev_b32_e32 v27, 8, v19
	v_cndmask_b32_e32 v2, v48, v2, vcc
	v_lshlrev_b32_e32 v2, 2, v2
	ds_write_b32 v2, v40
	v_sub_u32_e32 v2, v3, v54
	v_sub_u32_e32 v3, v21, v2
	v_and_b32_e32 v40, 1, v47
	v_add_u32_e32 v3, 1, v3
	v_cmp_eq_u32_e32 vcc, 1, v40
	v_lshrrev_b32_e32 v17, 8, v20
	s_add_u32 s0, s26, s24
	v_cndmask_b32_e32 v2, v3, v2, vcc
	v_lshlrev_b32_e32 v2, 2, v2
	ds_write_b32 v2, v41
	v_sub_u32_e32 v2, v4, v54
	v_mov_b32_e32 v4, 1
	v_sub_u32_e32 v3, v21, v2
	v_and_b32_sdwa v18, v4, v18 dst_sel:DWORD dst_unused:UNUSED_PAD src0_sel:DWORD src1_sel:WORD_1
	v_add_u32_e32 v3, 2, v3
	v_cmp_eq_u32_e32 vcc, 1, v18
	s_addc_u32 s1, s27, 0
	s_sub_u32 s0, s30, s0
	v_cndmask_b32_e32 v2, v3, v2, vcc
	v_lshlrev_b32_e32 v2, 2, v2
	ds_write_b32 v2, v38
	v_sub_u32_e32 v2, v5, v54
	v_sub_u32_e32 v3, v21, v2
	v_and_b32_e32 v5, 1, v46
	v_add_u32_e32 v3, 3, v3
	v_cmp_eq_u32_e32 vcc, 1, v5
	v_and_b32_e32 v5, 1, v19
	s_subb_u32 s1, s31, s1
	v_cndmask_b32_e32 v2, v3, v2, vcc
	v_lshlrev_b32_e32 v2, 2, v2
	ds_write_b32 v2, v39
	v_sub_u32_e32 v2, v6, v54
	v_sub_u32_e32 v3, v21, v2
	v_add_u32_e32 v3, 4, v3
	v_cmp_eq_u32_e32 vcc, 1, v5
	v_and_b32_e32 v5, 1, v27
	v_or_b32_e32 v52, 0x200, v0
	v_cndmask_b32_e32 v2, v3, v2, vcc
	v_lshlrev_b32_e32 v2, 2, v2
	ds_write_b32 v2, v36
	v_sub_u32_e32 v2, v7, v54
	v_sub_u32_e32 v3, v21, v2
	v_add_u32_e32 v3, 5, v3
	v_cmp_eq_u32_e32 vcc, 1, v5
	v_and_b32_sdwa v5, v4, v19 dst_sel:DWORD dst_unused:UNUSED_PAD src0_sel:DWORD src1_sel:WORD_1
	v_and_b32_sdwa v4, v4, v20 dst_sel:DWORD dst_unused:UNUSED_PAD src0_sel:DWORD src1_sel:WORD_1
	v_cndmask_b32_e32 v2, v3, v2, vcc
	v_lshlrev_b32_e32 v2, 2, v2
	ds_write_b32 v2, v37
	v_sub_u32_e32 v2, v8, v54
	v_sub_u32_e32 v3, v21, v2
	v_add_u32_e32 v3, 6, v3
	v_cmp_eq_u32_e32 vcc, 1, v5
	v_and_b32_e32 v5, 1, v45
	v_or_b32_e32 v48, 0x400, v0
	v_cndmask_b32_e32 v2, v3, v2, vcc
	v_lshlrev_b32_e32 v2, 2, v2
	ds_write_b32 v2, v34
	v_sub_u32_e32 v2, v9, v54
	v_sub_u32_e32 v3, v21, v2
	v_add_u32_e32 v3, 7, v3
	v_cmp_eq_u32_e32 vcc, 1, v5
	v_and_b32_e32 v5, 1, v20
	v_or_b32_e32 v46, 0x600, v0
	;; [unrolled: 9-line block ×3, first 2 shown]
	v_cndmask_b32_e32 v2, v3, v2, vcc
	v_lshlrev_b32_e32 v2, 2, v2
	ds_write_b32 v2, v32
	v_sub_u32_e32 v2, v11, v54
	v_sub_u32_e32 v3, v21, v2
	v_add_u32_e32 v3, 9, v3
	v_cmp_eq_u32_e32 vcc, 1, v5
	v_or_b32_e32 v36, 0xc00, v0
	v_or_b32_e32 v34, 0xe00, v0
	v_cndmask_b32_e32 v2, v3, v2, vcc
	v_lshlrev_b32_e32 v2, 2, v2
	ds_write_b32 v2, v33
	v_sub_u32_e32 v2, v12, v54
	v_sub_u32_e32 v3, v21, v2
	v_add_u32_e32 v3, 10, v3
	v_cmp_eq_u32_e32 vcc, 1, v4
	v_and_b32_e32 v4, 1, v43
	v_or_b32_e32 v18, 0x1400, v0
	v_cndmask_b32_e32 v2, v3, v2, vcc
	v_lshlrev_b32_e32 v2, 2, v2
	ds_write_b32 v2, v30
	v_sub_u32_e32 v2, v13, v54
	v_sub_u32_e32 v3, v21, v2
	v_add_u32_e32 v3, 11, v3
	v_cmp_eq_u32_e32 vcc, 1, v4
	v_or_b32_e32 v30, 0x1000, v0
	v_or_b32_e32 v12, 0x1800, v0
	v_cndmask_b32_e32 v2, v3, v2, vcc
	v_lshlrev_b32_e32 v2, 2, v2
	ds_write_b32 v2, v31
	v_sub_u32_e32 v2, v14, v54
	v_sub_u32_e32 v3, v21, v2
	v_add_u32_e32 v3, 12, v3
	v_cmp_eq_u32_e32 vcc, 1, v44
	v_or_b32_e32 v10, 0x1a00, v0
	;; [unrolled: 9-line block ×4, first 2 shown]
	s_nop 0
	v_cndmask_b32_e32 v2, v3, v2, vcc
	v_lshlrev_b32_e32 v2, 2, v2
	ds_write_b32 v2, v1
	s_waitcnt lgkmcnt(0)
	s_barrier
	ds_read2st64_b32 v[50:51], v22 offset1:8
	ds_read2st64_b32 v[44:45], v22 offset0:16 offset1:24
	ds_read2st64_b32 v[38:39], v22 offset0:32 offset1:40
	ds_read2st64_b32 v[32:33], v22 offset0:48 offset1:56
	ds_read2st64_b32 v[20:21], v22 offset0:64 offset1:72
	ds_read2st64_b32 v[14:15], v22 offset0:80 offset1:88
	ds_read2st64_b32 v[8:9], v22 offset0:96 offset1:104
	ds_read_b32 v56, v22 offset:28672
	v_mov_b32_e32 v1, 0
	v_mov_b32_e32 v55, v1
	;; [unrolled: 1-line block ×3, first 2 shown]
	s_waitcnt vmcnt(0)
	v_lshl_add_u64 v[2:3], v[24:25], 0, v[54:55]
	v_lshl_add_u64 v[6:7], s[0:1], 0, v[26:27]
	v_mov_b32_e32 v53, v1
	v_mov_b32_e32 v49, v1
	;; [unrolled: 1-line block ×14, first 2 shown]
	s_andn2_b64 vcc, exec, s[34:35]
	v_lshl_add_u64 v[6:7], v[6:7], 0, v[2:3]
	s_cbranch_vccnz .LBB3603_178
; %bb.114:
	v_cmp_ge_u32_e32 vcc, v0, v26
                                        ; implicit-def: $vgpr22_vgpr23
	s_and_saveexec_b64 s[0:1], vcc
	s_xor_b64 s[0:1], exec, s[0:1]
; %bb.115:
	v_not_b32_e32 v22, v0
	v_ashrrev_i32_e32 v23, 31, v22
	v_lshl_add_u64 v[22:23], v[6:7], 0, v[22:23]
; %bb.116:
	s_andn2_saveexec_b64 s[0:1], s[0:1]
; %bb.117:
	v_lshl_add_u64 v[22:23], v[2:3], 0, v[0:1]
; %bb.118:
	s_or_b64 exec, exec, s[0:1]
	v_lshl_add_u64 v[22:23], v[22:23], 2, s[28:29]
	v_cmp_ge_u32_e32 vcc, v52, v26
	s_waitcnt lgkmcnt(7)
	global_store_dword v[22:23], v50, off
                                        ; implicit-def: $vgpr22_vgpr23
	s_and_saveexec_b64 s[0:1], vcc
	s_xor_b64 s[0:1], exec, s[0:1]
; %bb.119:
	v_xor_b32_e32 v22, 0xfffffdff, v0
	v_ashrrev_i32_e32 v23, 31, v22
	v_lshl_add_u64 v[22:23], v[6:7], 0, v[22:23]
; %bb.120:
	s_andn2_saveexec_b64 s[0:1], s[0:1]
; %bb.121:
	v_lshl_add_u64 v[22:23], v[2:3], 0, v[52:53]
; %bb.122:
	s_or_b64 exec, exec, s[0:1]
	v_lshl_add_u64 v[22:23], v[22:23], 2, s[28:29]
	v_cmp_ge_u32_e32 vcc, v48, v26
	global_store_dword v[22:23], v51, off
                                        ; implicit-def: $vgpr22_vgpr23
	s_and_saveexec_b64 s[0:1], vcc
	s_xor_b64 s[0:1], exec, s[0:1]
; %bb.123:
	v_xor_b32_e32 v22, 0xfffffbff, v0
	v_ashrrev_i32_e32 v23, 31, v22
	v_lshl_add_u64 v[22:23], v[6:7], 0, v[22:23]
; %bb.124:
	s_andn2_saveexec_b64 s[0:1], s[0:1]
; %bb.125:
	v_lshl_add_u64 v[22:23], v[2:3], 0, v[48:49]
; %bb.126:
	s_or_b64 exec, exec, s[0:1]
	v_lshl_add_u64 v[22:23], v[22:23], 2, s[28:29]
	v_cmp_ge_u32_e32 vcc, v46, v26
	s_waitcnt lgkmcnt(6)
	global_store_dword v[22:23], v44, off
                                        ; implicit-def: $vgpr22_vgpr23
	s_and_saveexec_b64 s[0:1], vcc
	s_xor_b64 s[0:1], exec, s[0:1]
; %bb.127:
	v_xor_b32_e32 v22, 0xfffff9ff, v0
	v_ashrrev_i32_e32 v23, 31, v22
	v_lshl_add_u64 v[22:23], v[6:7], 0, v[22:23]
; %bb.128:
	s_andn2_saveexec_b64 s[0:1], s[0:1]
; %bb.129:
	v_lshl_add_u64 v[22:23], v[2:3], 0, v[46:47]
; %bb.130:
	s_or_b64 exec, exec, s[0:1]
	v_lshl_add_u64 v[22:23], v[22:23], 2, s[28:29]
	v_cmp_ge_u32_e32 vcc, v42, v26
	global_store_dword v[22:23], v45, off
                                        ; implicit-def: $vgpr22_vgpr23
	s_and_saveexec_b64 s[0:1], vcc
	s_xor_b64 s[0:1], exec, s[0:1]
; %bb.131:
	v_xor_b32_e32 v22, 0xfffff7ff, v0
	;; [unrolled: 33-line block ×7, first 2 shown]
	v_ashrrev_i32_e32 v23, 31, v22
	v_lshl_add_u64 v[22:23], v[6:7], 0, v[22:23]
; %bb.172:
	s_andn2_saveexec_b64 s[0:1], s[0:1]
; %bb.173:
	v_lshl_add_u64 v[22:23], v[2:3], 0, v[4:5]
; %bb.174:
	s_or_b64 exec, exec, s[0:1]
	s_mov_b64 s[0:1], -1
.LBB3603_175:
	s_and_saveexec_b64 s[2:3], s[0:1]
	s_cbranch_execz .LBB3603_270
.LBB3603_176:
	v_lshl_add_u64 v[0:1], v[22:23], 2, s[28:29]
	s_waitcnt lgkmcnt(0)
	global_store_dword v[0:1], v56, off
	s_or_b64 exec, exec, s[2:3]
	s_and_b64 s[0:1], s[18:19], s[22:23]
	s_and_saveexec_b64 s[2:3], s[0:1]
	s_cbranch_execnz .LBB3603_271
.LBB3603_177:
	s_endpgm
.LBB3603_178:
	s_mov_b64 s[0:1], 0
                                        ; implicit-def: $vgpr22_vgpr23
	s_cbranch_execz .LBB3603_175
; %bb.179:
	v_cmp_gt_u32_e32 vcc, s33, v0
	s_and_saveexec_b64 s[2:3], vcc
	s_cbranch_execz .LBB3603_221
; %bb.180:
	v_cmp_ge_u32_e32 vcc, v0, v26
                                        ; implicit-def: $vgpr22_vgpr23
	s_and_saveexec_b64 s[4:5], vcc
	s_xor_b64 s[4:5], exec, s[4:5]
; %bb.181:
	v_not_b32_e32 v22, v0
	v_ashrrev_i32_e32 v23, 31, v22
	v_lshl_add_u64 v[22:23], v[6:7], 0, v[22:23]
; %bb.182:
	s_andn2_saveexec_b64 s[4:5], s[4:5]
; %bb.183:
	v_lshl_add_u64 v[22:23], v[2:3], 0, v[0:1]
; %bb.184:
	s_or_b64 exec, exec, s[4:5]
	v_lshl_add_u64 v[22:23], v[22:23], 2, s[28:29]
	s_waitcnt lgkmcnt(7)
	global_store_dword v[22:23], v50, off
	s_or_b64 exec, exec, s[2:3]
	v_cmp_gt_u32_e32 vcc, s33, v52
	s_and_saveexec_b64 s[2:3], vcc
	s_cbranch_execnz .LBB3603_222
.LBB3603_185:
	s_or_b64 exec, exec, s[2:3]
	v_cmp_gt_u32_e32 vcc, s33, v48
	s_and_saveexec_b64 s[2:3], vcc
	s_cbranch_execz .LBB3603_227
.LBB3603_186:
	v_cmp_ge_u32_e32 vcc, v48, v26
                                        ; implicit-def: $vgpr22_vgpr23
	s_and_saveexec_b64 s[4:5], vcc
	s_xor_b64 s[4:5], exec, s[4:5]
; %bb.187:
	v_xor_b32_e32 v22, 0xfffffbff, v0
	v_ashrrev_i32_e32 v23, 31, v22
	v_lshl_add_u64 v[22:23], v[6:7], 0, v[22:23]
                                        ; implicit-def: $vgpr48_vgpr49
; %bb.188:
	s_andn2_saveexec_b64 s[4:5], s[4:5]
; %bb.189:
	v_lshl_add_u64 v[22:23], v[2:3], 0, v[48:49]
; %bb.190:
	s_or_b64 exec, exec, s[4:5]
	v_lshl_add_u64 v[22:23], v[22:23], 2, s[28:29]
	s_waitcnt lgkmcnt(6)
	global_store_dword v[22:23], v44, off
	s_or_b64 exec, exec, s[2:3]
	v_cmp_gt_u32_e32 vcc, s33, v46
	s_and_saveexec_b64 s[2:3], vcc
	s_cbranch_execnz .LBB3603_228
.LBB3603_191:
	s_or_b64 exec, exec, s[2:3]
	v_cmp_gt_u32_e32 vcc, s33, v42
	s_and_saveexec_b64 s[2:3], vcc
	s_cbranch_execz .LBB3603_233
.LBB3603_192:
	v_cmp_ge_u32_e32 vcc, v42, v26
                                        ; implicit-def: $vgpr22_vgpr23
	s_and_saveexec_b64 s[4:5], vcc
	s_xor_b64 s[4:5], exec, s[4:5]
; %bb.193:
	v_xor_b32_e32 v22, 0xfffff7ff, v0
	v_ashrrev_i32_e32 v23, 31, v22
	v_lshl_add_u64 v[22:23], v[6:7], 0, v[22:23]
                                        ; implicit-def: $vgpr42_vgpr43
; %bb.194:
	s_andn2_saveexec_b64 s[4:5], s[4:5]
; %bb.195:
	v_lshl_add_u64 v[22:23], v[2:3], 0, v[42:43]
; %bb.196:
	s_or_b64 exec, exec, s[4:5]
	v_lshl_add_u64 v[22:23], v[22:23], 2, s[28:29]
	s_waitcnt lgkmcnt(5)
	global_store_dword v[22:23], v38, off
	s_or_b64 exec, exec, s[2:3]
	v_cmp_gt_u32_e32 vcc, s33, v40
	s_and_saveexec_b64 s[2:3], vcc
	s_cbranch_execnz .LBB3603_234
.LBB3603_197:
	s_or_b64 exec, exec, s[2:3]
	v_cmp_gt_u32_e32 vcc, s33, v36
	s_and_saveexec_b64 s[2:3], vcc
	s_cbranch_execz .LBB3603_239
.LBB3603_198:
	v_cmp_ge_u32_e32 vcc, v36, v26
                                        ; implicit-def: $vgpr22_vgpr23
	s_and_saveexec_b64 s[4:5], vcc
	s_xor_b64 s[4:5], exec, s[4:5]
; %bb.199:
	v_xor_b32_e32 v22, 0xfffff3ff, v0
	v_ashrrev_i32_e32 v23, 31, v22
	v_lshl_add_u64 v[22:23], v[6:7], 0, v[22:23]
                                        ; implicit-def: $vgpr36_vgpr37
; %bb.200:
	s_andn2_saveexec_b64 s[4:5], s[4:5]
; %bb.201:
	v_lshl_add_u64 v[22:23], v[2:3], 0, v[36:37]
; %bb.202:
	s_or_b64 exec, exec, s[4:5]
	v_lshl_add_u64 v[22:23], v[22:23], 2, s[28:29]
	s_waitcnt lgkmcnt(4)
	global_store_dword v[22:23], v32, off
	s_or_b64 exec, exec, s[2:3]
	v_cmp_gt_u32_e32 vcc, s33, v34
	s_and_saveexec_b64 s[2:3], vcc
	s_cbranch_execnz .LBB3603_240
.LBB3603_203:
	s_or_b64 exec, exec, s[2:3]
	v_cmp_gt_u32_e32 vcc, s33, v30
	s_and_saveexec_b64 s[2:3], vcc
	s_cbranch_execz .LBB3603_245
.LBB3603_204:
	v_cmp_ge_u32_e32 vcc, v30, v26
                                        ; implicit-def: $vgpr22_vgpr23
	s_and_saveexec_b64 s[4:5], vcc
	s_xor_b64 s[4:5], exec, s[4:5]
; %bb.205:
	v_xor_b32_e32 v22, 0xffffefff, v0
	v_ashrrev_i32_e32 v23, 31, v22
	v_lshl_add_u64 v[22:23], v[6:7], 0, v[22:23]
                                        ; implicit-def: $vgpr30_vgpr31
; %bb.206:
	s_andn2_saveexec_b64 s[4:5], s[4:5]
; %bb.207:
	v_lshl_add_u64 v[22:23], v[2:3], 0, v[30:31]
; %bb.208:
	s_or_b64 exec, exec, s[4:5]
	v_lshl_add_u64 v[22:23], v[22:23], 2, s[28:29]
	s_waitcnt lgkmcnt(3)
	global_store_dword v[22:23], v20, off
	s_or_b64 exec, exec, s[2:3]
	v_cmp_gt_u32_e32 vcc, s33, v28
	s_and_saveexec_b64 s[2:3], vcc
	s_cbranch_execnz .LBB3603_246
.LBB3603_209:
	s_or_b64 exec, exec, s[2:3]
	v_cmp_gt_u32_e32 vcc, s33, v18
	s_and_saveexec_b64 s[2:3], vcc
	s_cbranch_execz .LBB3603_251
.LBB3603_210:
	v_cmp_ge_u32_e32 vcc, v18, v26
                                        ; implicit-def: $vgpr20_vgpr21
	s_and_saveexec_b64 s[4:5], vcc
	s_xor_b64 s[4:5], exec, s[4:5]
	s_cbranch_execz .LBB3603_212
; %bb.211:
	v_xor_b32_e32 v18, 0xffffebff, v0
	v_ashrrev_i32_e32 v19, 31, v18
	s_waitcnt lgkmcnt(3)
	v_lshl_add_u64 v[20:21], v[6:7], 0, v[18:19]
                                        ; implicit-def: $vgpr18_vgpr19
.LBB3603_212:
	s_andn2_saveexec_b64 s[4:5], s[4:5]
	s_cbranch_execz .LBB3603_214
; %bb.213:
	s_waitcnt lgkmcnt(3)
	v_lshl_add_u64 v[20:21], v[2:3], 0, v[18:19]
.LBB3603_214:
	s_or_b64 exec, exec, s[4:5]
	s_waitcnt lgkmcnt(3)
	v_lshl_add_u64 v[18:19], v[20:21], 2, s[28:29]
	s_waitcnt lgkmcnt(2)
	global_store_dword v[18:19], v14, off
	s_or_b64 exec, exec, s[2:3]
	v_cmp_gt_u32_e32 vcc, s33, v16
	s_and_saveexec_b64 s[2:3], vcc
	s_cbranch_execnz .LBB3603_252
.LBB3603_215:
	s_or_b64 exec, exec, s[2:3]
	v_cmp_gt_u32_e32 vcc, s33, v12
	s_and_saveexec_b64 s[2:3], vcc
	s_cbranch_execz .LBB3603_257
.LBB3603_216:
	v_cmp_ge_u32_e32 vcc, v12, v26
                                        ; implicit-def: $vgpr14_vgpr15
	s_and_saveexec_b64 s[4:5], vcc
	s_xor_b64 s[4:5], exec, s[4:5]
	s_cbranch_execz .LBB3603_218
; %bb.217:
	v_xor_b32_e32 v12, 0xffffe7ff, v0
	v_ashrrev_i32_e32 v13, 31, v12
	s_waitcnt lgkmcnt(2)
	v_lshl_add_u64 v[14:15], v[6:7], 0, v[12:13]
                                        ; implicit-def: $vgpr12_vgpr13
.LBB3603_218:
	s_andn2_saveexec_b64 s[4:5], s[4:5]
	s_cbranch_execz .LBB3603_220
; %bb.219:
	s_waitcnt lgkmcnt(2)
	v_lshl_add_u64 v[14:15], v[2:3], 0, v[12:13]
.LBB3603_220:
	s_or_b64 exec, exec, s[4:5]
	s_waitcnt lgkmcnt(2)
	v_lshl_add_u64 v[12:13], v[14:15], 2, s[28:29]
	s_waitcnt lgkmcnt(1)
	global_store_dword v[12:13], v8, off
	s_or_b64 exec, exec, s[2:3]
	v_cmp_gt_u32_e32 vcc, s33, v10
	s_and_saveexec_b64 s[2:3], vcc
	s_cbranch_execz .LBB3603_263
	s_branch .LBB3603_258
.LBB3603_221:
	s_or_b64 exec, exec, s[2:3]
	v_cmp_gt_u32_e32 vcc, s33, v52
	s_and_saveexec_b64 s[2:3], vcc
	s_cbranch_execz .LBB3603_185
.LBB3603_222:
	v_cmp_ge_u32_e32 vcc, v52, v26
                                        ; implicit-def: $vgpr22_vgpr23
	s_and_saveexec_b64 s[4:5], vcc
	s_xor_b64 s[4:5], exec, s[4:5]
; %bb.223:
	v_xor_b32_e32 v22, 0xfffffdff, v0
	v_ashrrev_i32_e32 v23, 31, v22
	v_lshl_add_u64 v[22:23], v[6:7], 0, v[22:23]
                                        ; implicit-def: $vgpr52_vgpr53
; %bb.224:
	s_andn2_saveexec_b64 s[4:5], s[4:5]
; %bb.225:
	v_lshl_add_u64 v[22:23], v[2:3], 0, v[52:53]
; %bb.226:
	s_or_b64 exec, exec, s[4:5]
	v_lshl_add_u64 v[22:23], v[22:23], 2, s[28:29]
	s_waitcnt lgkmcnt(7)
	global_store_dword v[22:23], v51, off
	s_or_b64 exec, exec, s[2:3]
	v_cmp_gt_u32_e32 vcc, s33, v48
	s_and_saveexec_b64 s[2:3], vcc
	s_cbranch_execnz .LBB3603_186
.LBB3603_227:
	s_or_b64 exec, exec, s[2:3]
	v_cmp_gt_u32_e32 vcc, s33, v46
	s_and_saveexec_b64 s[2:3], vcc
	s_cbranch_execz .LBB3603_191
.LBB3603_228:
	v_cmp_ge_u32_e32 vcc, v46, v26
                                        ; implicit-def: $vgpr22_vgpr23
	s_and_saveexec_b64 s[4:5], vcc
	s_xor_b64 s[4:5], exec, s[4:5]
; %bb.229:
	v_xor_b32_e32 v22, 0xfffff9ff, v0
	v_ashrrev_i32_e32 v23, 31, v22
	v_lshl_add_u64 v[22:23], v[6:7], 0, v[22:23]
                                        ; implicit-def: $vgpr46_vgpr47
; %bb.230:
	s_andn2_saveexec_b64 s[4:5], s[4:5]
; %bb.231:
	v_lshl_add_u64 v[22:23], v[2:3], 0, v[46:47]
; %bb.232:
	s_or_b64 exec, exec, s[4:5]
	v_lshl_add_u64 v[22:23], v[22:23], 2, s[28:29]
	s_waitcnt lgkmcnt(6)
	global_store_dword v[22:23], v45, off
	s_or_b64 exec, exec, s[2:3]
	v_cmp_gt_u32_e32 vcc, s33, v42
	s_and_saveexec_b64 s[2:3], vcc
	s_cbranch_execnz .LBB3603_192
.LBB3603_233:
	s_or_b64 exec, exec, s[2:3]
	v_cmp_gt_u32_e32 vcc, s33, v40
	s_and_saveexec_b64 s[2:3], vcc
	s_cbranch_execz .LBB3603_197
.LBB3603_234:
	v_cmp_ge_u32_e32 vcc, v40, v26
                                        ; implicit-def: $vgpr22_vgpr23
	s_and_saveexec_b64 s[4:5], vcc
	s_xor_b64 s[4:5], exec, s[4:5]
; %bb.235:
	v_xor_b32_e32 v22, 0xfffff5ff, v0
	v_ashrrev_i32_e32 v23, 31, v22
	v_lshl_add_u64 v[22:23], v[6:7], 0, v[22:23]
                                        ; implicit-def: $vgpr40_vgpr41
; %bb.236:
	s_andn2_saveexec_b64 s[4:5], s[4:5]
; %bb.237:
	v_lshl_add_u64 v[22:23], v[2:3], 0, v[40:41]
; %bb.238:
	s_or_b64 exec, exec, s[4:5]
	v_lshl_add_u64 v[22:23], v[22:23], 2, s[28:29]
	s_waitcnt lgkmcnt(5)
	global_store_dword v[22:23], v39, off
	s_or_b64 exec, exec, s[2:3]
	v_cmp_gt_u32_e32 vcc, s33, v36
	s_and_saveexec_b64 s[2:3], vcc
	s_cbranch_execnz .LBB3603_198
.LBB3603_239:
	s_or_b64 exec, exec, s[2:3]
	v_cmp_gt_u32_e32 vcc, s33, v34
	s_and_saveexec_b64 s[2:3], vcc
	s_cbranch_execz .LBB3603_203
.LBB3603_240:
	v_cmp_ge_u32_e32 vcc, v34, v26
                                        ; implicit-def: $vgpr22_vgpr23
	s_and_saveexec_b64 s[4:5], vcc
	s_xor_b64 s[4:5], exec, s[4:5]
; %bb.241:
	v_xor_b32_e32 v22, 0xfffff1ff, v0
	v_ashrrev_i32_e32 v23, 31, v22
	v_lshl_add_u64 v[22:23], v[6:7], 0, v[22:23]
                                        ; implicit-def: $vgpr34_vgpr35
; %bb.242:
	s_andn2_saveexec_b64 s[4:5], s[4:5]
; %bb.243:
	v_lshl_add_u64 v[22:23], v[2:3], 0, v[34:35]
; %bb.244:
	s_or_b64 exec, exec, s[4:5]
	v_lshl_add_u64 v[22:23], v[22:23], 2, s[28:29]
	s_waitcnt lgkmcnt(4)
	global_store_dword v[22:23], v33, off
	s_or_b64 exec, exec, s[2:3]
	v_cmp_gt_u32_e32 vcc, s33, v30
	s_and_saveexec_b64 s[2:3], vcc
	s_cbranch_execnz .LBB3603_204
.LBB3603_245:
	s_or_b64 exec, exec, s[2:3]
	v_cmp_gt_u32_e32 vcc, s33, v28
	s_and_saveexec_b64 s[2:3], vcc
	s_cbranch_execz .LBB3603_209
.LBB3603_246:
	v_cmp_ge_u32_e32 vcc, v28, v26
                                        ; implicit-def: $vgpr22_vgpr23
	s_and_saveexec_b64 s[4:5], vcc
	s_xor_b64 s[4:5], exec, s[4:5]
; %bb.247:
	v_xor_b32_e32 v22, 0xffffedff, v0
	v_ashrrev_i32_e32 v23, 31, v22
	v_lshl_add_u64 v[22:23], v[6:7], 0, v[22:23]
                                        ; implicit-def: $vgpr28_vgpr29
; %bb.248:
	s_andn2_saveexec_b64 s[4:5], s[4:5]
; %bb.249:
	v_lshl_add_u64 v[22:23], v[2:3], 0, v[28:29]
; %bb.250:
	s_or_b64 exec, exec, s[4:5]
	v_lshl_add_u64 v[22:23], v[22:23], 2, s[28:29]
	s_waitcnt lgkmcnt(3)
	global_store_dword v[22:23], v21, off
	s_or_b64 exec, exec, s[2:3]
	v_cmp_gt_u32_e32 vcc, s33, v18
	s_and_saveexec_b64 s[2:3], vcc
	s_cbranch_execnz .LBB3603_210
.LBB3603_251:
	s_or_b64 exec, exec, s[2:3]
	v_cmp_gt_u32_e32 vcc, s33, v16
	s_and_saveexec_b64 s[2:3], vcc
	s_cbranch_execz .LBB3603_215
.LBB3603_252:
	v_cmp_ge_u32_e32 vcc, v16, v26
                                        ; implicit-def: $vgpr18_vgpr19
	s_and_saveexec_b64 s[4:5], vcc
	s_xor_b64 s[4:5], exec, s[4:5]
; %bb.253:
	v_xor_b32_e32 v16, 0xffffe9ff, v0
	v_ashrrev_i32_e32 v17, 31, v16
	v_lshl_add_u64 v[18:19], v[6:7], 0, v[16:17]
                                        ; implicit-def: $vgpr16_vgpr17
; %bb.254:
	s_andn2_saveexec_b64 s[4:5], s[4:5]
; %bb.255:
	v_lshl_add_u64 v[18:19], v[2:3], 0, v[16:17]
; %bb.256:
	s_or_b64 exec, exec, s[4:5]
	v_lshl_add_u64 v[16:17], v[18:19], 2, s[28:29]
	s_waitcnt lgkmcnt(2)
	global_store_dword v[16:17], v15, off
	s_or_b64 exec, exec, s[2:3]
	v_cmp_gt_u32_e32 vcc, s33, v12
	s_and_saveexec_b64 s[2:3], vcc
	s_cbranch_execnz .LBB3603_216
.LBB3603_257:
	s_or_b64 exec, exec, s[2:3]
	v_cmp_gt_u32_e32 vcc, s33, v10
	s_and_saveexec_b64 s[2:3], vcc
	s_cbranch_execz .LBB3603_263
.LBB3603_258:
	v_cmp_ge_u32_e32 vcc, v10, v26
                                        ; implicit-def: $vgpr12_vgpr13
	s_and_saveexec_b64 s[4:5], vcc
	s_xor_b64 s[4:5], exec, s[4:5]
; %bb.259:
	v_xor_b32_e32 v10, 0xffffe5ff, v0
	v_ashrrev_i32_e32 v11, 31, v10
	v_lshl_add_u64 v[12:13], v[6:7], 0, v[10:11]
                                        ; implicit-def: $vgpr10_vgpr11
; %bb.260:
	s_andn2_saveexec_b64 s[4:5], s[4:5]
; %bb.261:
	v_lshl_add_u64 v[12:13], v[2:3], 0, v[10:11]
; %bb.262:
	s_or_b64 exec, exec, s[4:5]
	v_lshl_add_u64 v[10:11], v[12:13], 2, s[28:29]
	s_waitcnt lgkmcnt(1)
	global_store_dword v[10:11], v9, off
.LBB3603_263:
	s_or_b64 exec, exec, s[2:3]
	v_cmp_gt_u32_e32 vcc, s33, v4
                                        ; implicit-def: $vgpr22_vgpr23
	s_and_saveexec_b64 s[2:3], vcc
	s_cbranch_execz .LBB3603_269
; %bb.264:
	v_cmp_ge_u32_e32 vcc, v4, v26
                                        ; implicit-def: $vgpr22_vgpr23
	s_and_saveexec_b64 s[4:5], vcc
	s_xor_b64 s[4:5], exec, s[4:5]
; %bb.265:
	v_xor_b32_e32 v0, 0xffffe3ff, v0
	v_ashrrev_i32_e32 v1, 31, v0
	v_lshl_add_u64 v[22:23], v[6:7], 0, v[0:1]
                                        ; implicit-def: $vgpr4_vgpr5
; %bb.266:
	s_andn2_saveexec_b64 s[4:5], s[4:5]
; %bb.267:
	v_lshl_add_u64 v[22:23], v[2:3], 0, v[4:5]
; %bb.268:
	s_or_b64 exec, exec, s[4:5]
	s_or_b64 s[0:1], s[0:1], exec
.LBB3603_269:
	s_or_b64 exec, exec, s[2:3]
	s_and_saveexec_b64 s[2:3], s[0:1]
	s_cbranch_execnz .LBB3603_176
.LBB3603_270:
	s_or_b64 exec, exec, s[2:3]
	s_and_b64 s[0:1], s[18:19], s[22:23]
	s_and_saveexec_b64 s[2:3], s[0:1]
	s_cbranch_execz .LBB3603_177
.LBB3603_271:
	v_mov_b32_e32 v4, 0
	v_lshl_add_u64 v[0:1], v[2:3], 0, v[26:27]
	global_store_dwordx2 v4, v[0:1], s[20:21]
	s_endpgm
	.section	.rodata,"a",@progbits
	.p2align	6, 0x0
	.amdhsa_kernel _ZN7rocprim17ROCPRIM_400000_NS6detail17trampoline_kernelINS0_14default_configENS1_25partition_config_selectorILNS1_17partition_subalgoE2EiNS0_10empty_typeEbEEZZNS1_14partition_implILS5_2ELb0ES3_jN6thrust23THRUST_200600_302600_NS6detail15normal_iteratorINSA_7pointerIiNSA_11hip_rocprim3tagENSA_11use_defaultESG_EEEEPS6_NSA_18transform_iteratorI10is_orderedNSA_12zip_iteratorINSA_5tupleINSC_INSA_10device_ptrIiEEEESQ_NSA_9null_typeESR_SR_SR_SR_SR_SR_SR_EEEESG_SG_EENS0_5tupleIJPiSJ_EEENSV_IJSJ_SJ_EEES6_PlJS6_EEE10hipError_tPvRmT3_T4_T5_T6_T7_T9_mT8_P12ihipStream_tbDpT10_ENKUlT_T0_E_clISt17integral_constantIbLb1EES1J_EEDaS1E_S1F_EUlS1E_E_NS1_11comp_targetILNS1_3genE5ELNS1_11target_archE942ELNS1_3gpuE9ELNS1_3repE0EEENS1_30default_config_static_selectorELNS0_4arch9wavefront6targetE1EEEvT1_
		.amdhsa_group_segment_fixed_size 30728
		.amdhsa_private_segment_fixed_size 0
		.amdhsa_kernarg_size 152
		.amdhsa_user_sgpr_count 2
		.amdhsa_user_sgpr_dispatch_ptr 0
		.amdhsa_user_sgpr_queue_ptr 0
		.amdhsa_user_sgpr_kernarg_segment_ptr 1
		.amdhsa_user_sgpr_dispatch_id 0
		.amdhsa_user_sgpr_kernarg_preload_length 0
		.amdhsa_user_sgpr_kernarg_preload_offset 0
		.amdhsa_user_sgpr_private_segment_size 0
		.amdhsa_uses_dynamic_stack 0
		.amdhsa_enable_private_segment 0
		.amdhsa_system_sgpr_workgroup_id_x 1
		.amdhsa_system_sgpr_workgroup_id_y 0
		.amdhsa_system_sgpr_workgroup_id_z 0
		.amdhsa_system_sgpr_workgroup_info 0
		.amdhsa_system_vgpr_workitem_id 0
		.amdhsa_next_free_vgpr 67
		.amdhsa_next_free_sgpr 46
		.amdhsa_accum_offset 68
		.amdhsa_reserve_vcc 1
		.amdhsa_float_round_mode_32 0
		.amdhsa_float_round_mode_16_64 0
		.amdhsa_float_denorm_mode_32 3
		.amdhsa_float_denorm_mode_16_64 3
		.amdhsa_dx10_clamp 1
		.amdhsa_ieee_mode 1
		.amdhsa_fp16_overflow 0
		.amdhsa_tg_split 0
		.amdhsa_exception_fp_ieee_invalid_op 0
		.amdhsa_exception_fp_denorm_src 0
		.amdhsa_exception_fp_ieee_div_zero 0
		.amdhsa_exception_fp_ieee_overflow 0
		.amdhsa_exception_fp_ieee_underflow 0
		.amdhsa_exception_fp_ieee_inexact 0
		.amdhsa_exception_int_div_zero 0
	.end_amdhsa_kernel
	.section	.text._ZN7rocprim17ROCPRIM_400000_NS6detail17trampoline_kernelINS0_14default_configENS1_25partition_config_selectorILNS1_17partition_subalgoE2EiNS0_10empty_typeEbEEZZNS1_14partition_implILS5_2ELb0ES3_jN6thrust23THRUST_200600_302600_NS6detail15normal_iteratorINSA_7pointerIiNSA_11hip_rocprim3tagENSA_11use_defaultESG_EEEEPS6_NSA_18transform_iteratorI10is_orderedNSA_12zip_iteratorINSA_5tupleINSC_INSA_10device_ptrIiEEEESQ_NSA_9null_typeESR_SR_SR_SR_SR_SR_SR_EEEESG_SG_EENS0_5tupleIJPiSJ_EEENSV_IJSJ_SJ_EEES6_PlJS6_EEE10hipError_tPvRmT3_T4_T5_T6_T7_T9_mT8_P12ihipStream_tbDpT10_ENKUlT_T0_E_clISt17integral_constantIbLb1EES1J_EEDaS1E_S1F_EUlS1E_E_NS1_11comp_targetILNS1_3genE5ELNS1_11target_archE942ELNS1_3gpuE9ELNS1_3repE0EEENS1_30default_config_static_selectorELNS0_4arch9wavefront6targetE1EEEvT1_,"axG",@progbits,_ZN7rocprim17ROCPRIM_400000_NS6detail17trampoline_kernelINS0_14default_configENS1_25partition_config_selectorILNS1_17partition_subalgoE2EiNS0_10empty_typeEbEEZZNS1_14partition_implILS5_2ELb0ES3_jN6thrust23THRUST_200600_302600_NS6detail15normal_iteratorINSA_7pointerIiNSA_11hip_rocprim3tagENSA_11use_defaultESG_EEEEPS6_NSA_18transform_iteratorI10is_orderedNSA_12zip_iteratorINSA_5tupleINSC_INSA_10device_ptrIiEEEESQ_NSA_9null_typeESR_SR_SR_SR_SR_SR_SR_EEEESG_SG_EENS0_5tupleIJPiSJ_EEENSV_IJSJ_SJ_EEES6_PlJS6_EEE10hipError_tPvRmT3_T4_T5_T6_T7_T9_mT8_P12ihipStream_tbDpT10_ENKUlT_T0_E_clISt17integral_constantIbLb1EES1J_EEDaS1E_S1F_EUlS1E_E_NS1_11comp_targetILNS1_3genE5ELNS1_11target_archE942ELNS1_3gpuE9ELNS1_3repE0EEENS1_30default_config_static_selectorELNS0_4arch9wavefront6targetE1EEEvT1_,comdat
.Lfunc_end3603:
	.size	_ZN7rocprim17ROCPRIM_400000_NS6detail17trampoline_kernelINS0_14default_configENS1_25partition_config_selectorILNS1_17partition_subalgoE2EiNS0_10empty_typeEbEEZZNS1_14partition_implILS5_2ELb0ES3_jN6thrust23THRUST_200600_302600_NS6detail15normal_iteratorINSA_7pointerIiNSA_11hip_rocprim3tagENSA_11use_defaultESG_EEEEPS6_NSA_18transform_iteratorI10is_orderedNSA_12zip_iteratorINSA_5tupleINSC_INSA_10device_ptrIiEEEESQ_NSA_9null_typeESR_SR_SR_SR_SR_SR_SR_EEEESG_SG_EENS0_5tupleIJPiSJ_EEENSV_IJSJ_SJ_EEES6_PlJS6_EEE10hipError_tPvRmT3_T4_T5_T6_T7_T9_mT8_P12ihipStream_tbDpT10_ENKUlT_T0_E_clISt17integral_constantIbLb1EES1J_EEDaS1E_S1F_EUlS1E_E_NS1_11comp_targetILNS1_3genE5ELNS1_11target_archE942ELNS1_3gpuE9ELNS1_3repE0EEENS1_30default_config_static_selectorELNS0_4arch9wavefront6targetE1EEEvT1_, .Lfunc_end3603-_ZN7rocprim17ROCPRIM_400000_NS6detail17trampoline_kernelINS0_14default_configENS1_25partition_config_selectorILNS1_17partition_subalgoE2EiNS0_10empty_typeEbEEZZNS1_14partition_implILS5_2ELb0ES3_jN6thrust23THRUST_200600_302600_NS6detail15normal_iteratorINSA_7pointerIiNSA_11hip_rocprim3tagENSA_11use_defaultESG_EEEEPS6_NSA_18transform_iteratorI10is_orderedNSA_12zip_iteratorINSA_5tupleINSC_INSA_10device_ptrIiEEEESQ_NSA_9null_typeESR_SR_SR_SR_SR_SR_SR_EEEESG_SG_EENS0_5tupleIJPiSJ_EEENSV_IJSJ_SJ_EEES6_PlJS6_EEE10hipError_tPvRmT3_T4_T5_T6_T7_T9_mT8_P12ihipStream_tbDpT10_ENKUlT_T0_E_clISt17integral_constantIbLb1EES1J_EEDaS1E_S1F_EUlS1E_E_NS1_11comp_targetILNS1_3genE5ELNS1_11target_archE942ELNS1_3gpuE9ELNS1_3repE0EEENS1_30default_config_static_selectorELNS0_4arch9wavefront6targetE1EEEvT1_
                                        ; -- End function
	.section	.AMDGPU.csdata,"",@progbits
; Kernel info:
; codeLenInByte = 9416
; NumSgprs: 52
; NumVgprs: 67
; NumAgprs: 0
; TotalNumVgprs: 67
; ScratchSize: 0
; MemoryBound: 0
; FloatMode: 240
; IeeeMode: 1
; LDSByteSize: 30728 bytes/workgroup (compile time only)
; SGPRBlocks: 6
; VGPRBlocks: 8
; NumSGPRsForWavesPerEU: 52
; NumVGPRsForWavesPerEU: 67
; AccumOffset: 68
; Occupancy: 4
; WaveLimiterHint : 1
; COMPUTE_PGM_RSRC2:SCRATCH_EN: 0
; COMPUTE_PGM_RSRC2:USER_SGPR: 2
; COMPUTE_PGM_RSRC2:TRAP_HANDLER: 0
; COMPUTE_PGM_RSRC2:TGID_X_EN: 1
; COMPUTE_PGM_RSRC2:TGID_Y_EN: 0
; COMPUTE_PGM_RSRC2:TGID_Z_EN: 0
; COMPUTE_PGM_RSRC2:TIDIG_COMP_CNT: 0
; COMPUTE_PGM_RSRC3_GFX90A:ACCUM_OFFSET: 16
; COMPUTE_PGM_RSRC3_GFX90A:TG_SPLIT: 0
	.section	.text._ZN7rocprim17ROCPRIM_400000_NS6detail17trampoline_kernelINS0_14default_configENS1_25partition_config_selectorILNS1_17partition_subalgoE2EiNS0_10empty_typeEbEEZZNS1_14partition_implILS5_2ELb0ES3_jN6thrust23THRUST_200600_302600_NS6detail15normal_iteratorINSA_7pointerIiNSA_11hip_rocprim3tagENSA_11use_defaultESG_EEEEPS6_NSA_18transform_iteratorI10is_orderedNSA_12zip_iteratorINSA_5tupleINSC_INSA_10device_ptrIiEEEESQ_NSA_9null_typeESR_SR_SR_SR_SR_SR_SR_EEEESG_SG_EENS0_5tupleIJPiSJ_EEENSV_IJSJ_SJ_EEES6_PlJS6_EEE10hipError_tPvRmT3_T4_T5_T6_T7_T9_mT8_P12ihipStream_tbDpT10_ENKUlT_T0_E_clISt17integral_constantIbLb1EES1J_EEDaS1E_S1F_EUlS1E_E_NS1_11comp_targetILNS1_3genE4ELNS1_11target_archE910ELNS1_3gpuE8ELNS1_3repE0EEENS1_30default_config_static_selectorELNS0_4arch9wavefront6targetE1EEEvT1_,"axG",@progbits,_ZN7rocprim17ROCPRIM_400000_NS6detail17trampoline_kernelINS0_14default_configENS1_25partition_config_selectorILNS1_17partition_subalgoE2EiNS0_10empty_typeEbEEZZNS1_14partition_implILS5_2ELb0ES3_jN6thrust23THRUST_200600_302600_NS6detail15normal_iteratorINSA_7pointerIiNSA_11hip_rocprim3tagENSA_11use_defaultESG_EEEEPS6_NSA_18transform_iteratorI10is_orderedNSA_12zip_iteratorINSA_5tupleINSC_INSA_10device_ptrIiEEEESQ_NSA_9null_typeESR_SR_SR_SR_SR_SR_SR_EEEESG_SG_EENS0_5tupleIJPiSJ_EEENSV_IJSJ_SJ_EEES6_PlJS6_EEE10hipError_tPvRmT3_T4_T5_T6_T7_T9_mT8_P12ihipStream_tbDpT10_ENKUlT_T0_E_clISt17integral_constantIbLb1EES1J_EEDaS1E_S1F_EUlS1E_E_NS1_11comp_targetILNS1_3genE4ELNS1_11target_archE910ELNS1_3gpuE8ELNS1_3repE0EEENS1_30default_config_static_selectorELNS0_4arch9wavefront6targetE1EEEvT1_,comdat
	.protected	_ZN7rocprim17ROCPRIM_400000_NS6detail17trampoline_kernelINS0_14default_configENS1_25partition_config_selectorILNS1_17partition_subalgoE2EiNS0_10empty_typeEbEEZZNS1_14partition_implILS5_2ELb0ES3_jN6thrust23THRUST_200600_302600_NS6detail15normal_iteratorINSA_7pointerIiNSA_11hip_rocprim3tagENSA_11use_defaultESG_EEEEPS6_NSA_18transform_iteratorI10is_orderedNSA_12zip_iteratorINSA_5tupleINSC_INSA_10device_ptrIiEEEESQ_NSA_9null_typeESR_SR_SR_SR_SR_SR_SR_EEEESG_SG_EENS0_5tupleIJPiSJ_EEENSV_IJSJ_SJ_EEES6_PlJS6_EEE10hipError_tPvRmT3_T4_T5_T6_T7_T9_mT8_P12ihipStream_tbDpT10_ENKUlT_T0_E_clISt17integral_constantIbLb1EES1J_EEDaS1E_S1F_EUlS1E_E_NS1_11comp_targetILNS1_3genE4ELNS1_11target_archE910ELNS1_3gpuE8ELNS1_3repE0EEENS1_30default_config_static_selectorELNS0_4arch9wavefront6targetE1EEEvT1_ ; -- Begin function _ZN7rocprim17ROCPRIM_400000_NS6detail17trampoline_kernelINS0_14default_configENS1_25partition_config_selectorILNS1_17partition_subalgoE2EiNS0_10empty_typeEbEEZZNS1_14partition_implILS5_2ELb0ES3_jN6thrust23THRUST_200600_302600_NS6detail15normal_iteratorINSA_7pointerIiNSA_11hip_rocprim3tagENSA_11use_defaultESG_EEEEPS6_NSA_18transform_iteratorI10is_orderedNSA_12zip_iteratorINSA_5tupleINSC_INSA_10device_ptrIiEEEESQ_NSA_9null_typeESR_SR_SR_SR_SR_SR_SR_EEEESG_SG_EENS0_5tupleIJPiSJ_EEENSV_IJSJ_SJ_EEES6_PlJS6_EEE10hipError_tPvRmT3_T4_T5_T6_T7_T9_mT8_P12ihipStream_tbDpT10_ENKUlT_T0_E_clISt17integral_constantIbLb1EES1J_EEDaS1E_S1F_EUlS1E_E_NS1_11comp_targetILNS1_3genE4ELNS1_11target_archE910ELNS1_3gpuE8ELNS1_3repE0EEENS1_30default_config_static_selectorELNS0_4arch9wavefront6targetE1EEEvT1_
	.globl	_ZN7rocprim17ROCPRIM_400000_NS6detail17trampoline_kernelINS0_14default_configENS1_25partition_config_selectorILNS1_17partition_subalgoE2EiNS0_10empty_typeEbEEZZNS1_14partition_implILS5_2ELb0ES3_jN6thrust23THRUST_200600_302600_NS6detail15normal_iteratorINSA_7pointerIiNSA_11hip_rocprim3tagENSA_11use_defaultESG_EEEEPS6_NSA_18transform_iteratorI10is_orderedNSA_12zip_iteratorINSA_5tupleINSC_INSA_10device_ptrIiEEEESQ_NSA_9null_typeESR_SR_SR_SR_SR_SR_SR_EEEESG_SG_EENS0_5tupleIJPiSJ_EEENSV_IJSJ_SJ_EEES6_PlJS6_EEE10hipError_tPvRmT3_T4_T5_T6_T7_T9_mT8_P12ihipStream_tbDpT10_ENKUlT_T0_E_clISt17integral_constantIbLb1EES1J_EEDaS1E_S1F_EUlS1E_E_NS1_11comp_targetILNS1_3genE4ELNS1_11target_archE910ELNS1_3gpuE8ELNS1_3repE0EEENS1_30default_config_static_selectorELNS0_4arch9wavefront6targetE1EEEvT1_
	.p2align	8
	.type	_ZN7rocprim17ROCPRIM_400000_NS6detail17trampoline_kernelINS0_14default_configENS1_25partition_config_selectorILNS1_17partition_subalgoE2EiNS0_10empty_typeEbEEZZNS1_14partition_implILS5_2ELb0ES3_jN6thrust23THRUST_200600_302600_NS6detail15normal_iteratorINSA_7pointerIiNSA_11hip_rocprim3tagENSA_11use_defaultESG_EEEEPS6_NSA_18transform_iteratorI10is_orderedNSA_12zip_iteratorINSA_5tupleINSC_INSA_10device_ptrIiEEEESQ_NSA_9null_typeESR_SR_SR_SR_SR_SR_SR_EEEESG_SG_EENS0_5tupleIJPiSJ_EEENSV_IJSJ_SJ_EEES6_PlJS6_EEE10hipError_tPvRmT3_T4_T5_T6_T7_T9_mT8_P12ihipStream_tbDpT10_ENKUlT_T0_E_clISt17integral_constantIbLb1EES1J_EEDaS1E_S1F_EUlS1E_E_NS1_11comp_targetILNS1_3genE4ELNS1_11target_archE910ELNS1_3gpuE8ELNS1_3repE0EEENS1_30default_config_static_selectorELNS0_4arch9wavefront6targetE1EEEvT1_,@function
_ZN7rocprim17ROCPRIM_400000_NS6detail17trampoline_kernelINS0_14default_configENS1_25partition_config_selectorILNS1_17partition_subalgoE2EiNS0_10empty_typeEbEEZZNS1_14partition_implILS5_2ELb0ES3_jN6thrust23THRUST_200600_302600_NS6detail15normal_iteratorINSA_7pointerIiNSA_11hip_rocprim3tagENSA_11use_defaultESG_EEEEPS6_NSA_18transform_iteratorI10is_orderedNSA_12zip_iteratorINSA_5tupleINSC_INSA_10device_ptrIiEEEESQ_NSA_9null_typeESR_SR_SR_SR_SR_SR_SR_EEEESG_SG_EENS0_5tupleIJPiSJ_EEENSV_IJSJ_SJ_EEES6_PlJS6_EEE10hipError_tPvRmT3_T4_T5_T6_T7_T9_mT8_P12ihipStream_tbDpT10_ENKUlT_T0_E_clISt17integral_constantIbLb1EES1J_EEDaS1E_S1F_EUlS1E_E_NS1_11comp_targetILNS1_3genE4ELNS1_11target_archE910ELNS1_3gpuE8ELNS1_3repE0EEENS1_30default_config_static_selectorELNS0_4arch9wavefront6targetE1EEEvT1_: ; @_ZN7rocprim17ROCPRIM_400000_NS6detail17trampoline_kernelINS0_14default_configENS1_25partition_config_selectorILNS1_17partition_subalgoE2EiNS0_10empty_typeEbEEZZNS1_14partition_implILS5_2ELb0ES3_jN6thrust23THRUST_200600_302600_NS6detail15normal_iteratorINSA_7pointerIiNSA_11hip_rocprim3tagENSA_11use_defaultESG_EEEEPS6_NSA_18transform_iteratorI10is_orderedNSA_12zip_iteratorINSA_5tupleINSC_INSA_10device_ptrIiEEEESQ_NSA_9null_typeESR_SR_SR_SR_SR_SR_SR_EEEESG_SG_EENS0_5tupleIJPiSJ_EEENSV_IJSJ_SJ_EEES6_PlJS6_EEE10hipError_tPvRmT3_T4_T5_T6_T7_T9_mT8_P12ihipStream_tbDpT10_ENKUlT_T0_E_clISt17integral_constantIbLb1EES1J_EEDaS1E_S1F_EUlS1E_E_NS1_11comp_targetILNS1_3genE4ELNS1_11target_archE910ELNS1_3gpuE8ELNS1_3repE0EEENS1_30default_config_static_selectorELNS0_4arch9wavefront6targetE1EEEvT1_
; %bb.0:
	.section	.rodata,"a",@progbits
	.p2align	6, 0x0
	.amdhsa_kernel _ZN7rocprim17ROCPRIM_400000_NS6detail17trampoline_kernelINS0_14default_configENS1_25partition_config_selectorILNS1_17partition_subalgoE2EiNS0_10empty_typeEbEEZZNS1_14partition_implILS5_2ELb0ES3_jN6thrust23THRUST_200600_302600_NS6detail15normal_iteratorINSA_7pointerIiNSA_11hip_rocprim3tagENSA_11use_defaultESG_EEEEPS6_NSA_18transform_iteratorI10is_orderedNSA_12zip_iteratorINSA_5tupleINSC_INSA_10device_ptrIiEEEESQ_NSA_9null_typeESR_SR_SR_SR_SR_SR_SR_EEEESG_SG_EENS0_5tupleIJPiSJ_EEENSV_IJSJ_SJ_EEES6_PlJS6_EEE10hipError_tPvRmT3_T4_T5_T6_T7_T9_mT8_P12ihipStream_tbDpT10_ENKUlT_T0_E_clISt17integral_constantIbLb1EES1J_EEDaS1E_S1F_EUlS1E_E_NS1_11comp_targetILNS1_3genE4ELNS1_11target_archE910ELNS1_3gpuE8ELNS1_3repE0EEENS1_30default_config_static_selectorELNS0_4arch9wavefront6targetE1EEEvT1_
		.amdhsa_group_segment_fixed_size 0
		.amdhsa_private_segment_fixed_size 0
		.amdhsa_kernarg_size 152
		.amdhsa_user_sgpr_count 2
		.amdhsa_user_sgpr_dispatch_ptr 0
		.amdhsa_user_sgpr_queue_ptr 0
		.amdhsa_user_sgpr_kernarg_segment_ptr 1
		.amdhsa_user_sgpr_dispatch_id 0
		.amdhsa_user_sgpr_kernarg_preload_length 0
		.amdhsa_user_sgpr_kernarg_preload_offset 0
		.amdhsa_user_sgpr_private_segment_size 0
		.amdhsa_uses_dynamic_stack 0
		.amdhsa_enable_private_segment 0
		.amdhsa_system_sgpr_workgroup_id_x 1
		.amdhsa_system_sgpr_workgroup_id_y 0
		.amdhsa_system_sgpr_workgroup_id_z 0
		.amdhsa_system_sgpr_workgroup_info 0
		.amdhsa_system_vgpr_workitem_id 0
		.amdhsa_next_free_vgpr 1
		.amdhsa_next_free_sgpr 0
		.amdhsa_accum_offset 4
		.amdhsa_reserve_vcc 0
		.amdhsa_float_round_mode_32 0
		.amdhsa_float_round_mode_16_64 0
		.amdhsa_float_denorm_mode_32 3
		.amdhsa_float_denorm_mode_16_64 3
		.amdhsa_dx10_clamp 1
		.amdhsa_ieee_mode 1
		.amdhsa_fp16_overflow 0
		.amdhsa_tg_split 0
		.amdhsa_exception_fp_ieee_invalid_op 0
		.amdhsa_exception_fp_denorm_src 0
		.amdhsa_exception_fp_ieee_div_zero 0
		.amdhsa_exception_fp_ieee_overflow 0
		.amdhsa_exception_fp_ieee_underflow 0
		.amdhsa_exception_fp_ieee_inexact 0
		.amdhsa_exception_int_div_zero 0
	.end_amdhsa_kernel
	.section	.text._ZN7rocprim17ROCPRIM_400000_NS6detail17trampoline_kernelINS0_14default_configENS1_25partition_config_selectorILNS1_17partition_subalgoE2EiNS0_10empty_typeEbEEZZNS1_14partition_implILS5_2ELb0ES3_jN6thrust23THRUST_200600_302600_NS6detail15normal_iteratorINSA_7pointerIiNSA_11hip_rocprim3tagENSA_11use_defaultESG_EEEEPS6_NSA_18transform_iteratorI10is_orderedNSA_12zip_iteratorINSA_5tupleINSC_INSA_10device_ptrIiEEEESQ_NSA_9null_typeESR_SR_SR_SR_SR_SR_SR_EEEESG_SG_EENS0_5tupleIJPiSJ_EEENSV_IJSJ_SJ_EEES6_PlJS6_EEE10hipError_tPvRmT3_T4_T5_T6_T7_T9_mT8_P12ihipStream_tbDpT10_ENKUlT_T0_E_clISt17integral_constantIbLb1EES1J_EEDaS1E_S1F_EUlS1E_E_NS1_11comp_targetILNS1_3genE4ELNS1_11target_archE910ELNS1_3gpuE8ELNS1_3repE0EEENS1_30default_config_static_selectorELNS0_4arch9wavefront6targetE1EEEvT1_,"axG",@progbits,_ZN7rocprim17ROCPRIM_400000_NS6detail17trampoline_kernelINS0_14default_configENS1_25partition_config_selectorILNS1_17partition_subalgoE2EiNS0_10empty_typeEbEEZZNS1_14partition_implILS5_2ELb0ES3_jN6thrust23THRUST_200600_302600_NS6detail15normal_iteratorINSA_7pointerIiNSA_11hip_rocprim3tagENSA_11use_defaultESG_EEEEPS6_NSA_18transform_iteratorI10is_orderedNSA_12zip_iteratorINSA_5tupleINSC_INSA_10device_ptrIiEEEESQ_NSA_9null_typeESR_SR_SR_SR_SR_SR_SR_EEEESG_SG_EENS0_5tupleIJPiSJ_EEENSV_IJSJ_SJ_EEES6_PlJS6_EEE10hipError_tPvRmT3_T4_T5_T6_T7_T9_mT8_P12ihipStream_tbDpT10_ENKUlT_T0_E_clISt17integral_constantIbLb1EES1J_EEDaS1E_S1F_EUlS1E_E_NS1_11comp_targetILNS1_3genE4ELNS1_11target_archE910ELNS1_3gpuE8ELNS1_3repE0EEENS1_30default_config_static_selectorELNS0_4arch9wavefront6targetE1EEEvT1_,comdat
.Lfunc_end3604:
	.size	_ZN7rocprim17ROCPRIM_400000_NS6detail17trampoline_kernelINS0_14default_configENS1_25partition_config_selectorILNS1_17partition_subalgoE2EiNS0_10empty_typeEbEEZZNS1_14partition_implILS5_2ELb0ES3_jN6thrust23THRUST_200600_302600_NS6detail15normal_iteratorINSA_7pointerIiNSA_11hip_rocprim3tagENSA_11use_defaultESG_EEEEPS6_NSA_18transform_iteratorI10is_orderedNSA_12zip_iteratorINSA_5tupleINSC_INSA_10device_ptrIiEEEESQ_NSA_9null_typeESR_SR_SR_SR_SR_SR_SR_EEEESG_SG_EENS0_5tupleIJPiSJ_EEENSV_IJSJ_SJ_EEES6_PlJS6_EEE10hipError_tPvRmT3_T4_T5_T6_T7_T9_mT8_P12ihipStream_tbDpT10_ENKUlT_T0_E_clISt17integral_constantIbLb1EES1J_EEDaS1E_S1F_EUlS1E_E_NS1_11comp_targetILNS1_3genE4ELNS1_11target_archE910ELNS1_3gpuE8ELNS1_3repE0EEENS1_30default_config_static_selectorELNS0_4arch9wavefront6targetE1EEEvT1_, .Lfunc_end3604-_ZN7rocprim17ROCPRIM_400000_NS6detail17trampoline_kernelINS0_14default_configENS1_25partition_config_selectorILNS1_17partition_subalgoE2EiNS0_10empty_typeEbEEZZNS1_14partition_implILS5_2ELb0ES3_jN6thrust23THRUST_200600_302600_NS6detail15normal_iteratorINSA_7pointerIiNSA_11hip_rocprim3tagENSA_11use_defaultESG_EEEEPS6_NSA_18transform_iteratorI10is_orderedNSA_12zip_iteratorINSA_5tupleINSC_INSA_10device_ptrIiEEEESQ_NSA_9null_typeESR_SR_SR_SR_SR_SR_SR_EEEESG_SG_EENS0_5tupleIJPiSJ_EEENSV_IJSJ_SJ_EEES6_PlJS6_EEE10hipError_tPvRmT3_T4_T5_T6_T7_T9_mT8_P12ihipStream_tbDpT10_ENKUlT_T0_E_clISt17integral_constantIbLb1EES1J_EEDaS1E_S1F_EUlS1E_E_NS1_11comp_targetILNS1_3genE4ELNS1_11target_archE910ELNS1_3gpuE8ELNS1_3repE0EEENS1_30default_config_static_selectorELNS0_4arch9wavefront6targetE1EEEvT1_
                                        ; -- End function
	.section	.AMDGPU.csdata,"",@progbits
; Kernel info:
; codeLenInByte = 0
; NumSgprs: 6
; NumVgprs: 0
; NumAgprs: 0
; TotalNumVgprs: 0
; ScratchSize: 0
; MemoryBound: 0
; FloatMode: 240
; IeeeMode: 1
; LDSByteSize: 0 bytes/workgroup (compile time only)
; SGPRBlocks: 0
; VGPRBlocks: 0
; NumSGPRsForWavesPerEU: 6
; NumVGPRsForWavesPerEU: 1
; AccumOffset: 4
; Occupancy: 8
; WaveLimiterHint : 0
; COMPUTE_PGM_RSRC2:SCRATCH_EN: 0
; COMPUTE_PGM_RSRC2:USER_SGPR: 2
; COMPUTE_PGM_RSRC2:TRAP_HANDLER: 0
; COMPUTE_PGM_RSRC2:TGID_X_EN: 1
; COMPUTE_PGM_RSRC2:TGID_Y_EN: 0
; COMPUTE_PGM_RSRC2:TGID_Z_EN: 0
; COMPUTE_PGM_RSRC2:TIDIG_COMP_CNT: 0
; COMPUTE_PGM_RSRC3_GFX90A:ACCUM_OFFSET: 0
; COMPUTE_PGM_RSRC3_GFX90A:TG_SPLIT: 0
	.section	.text._ZN7rocprim17ROCPRIM_400000_NS6detail17trampoline_kernelINS0_14default_configENS1_25partition_config_selectorILNS1_17partition_subalgoE2EiNS0_10empty_typeEbEEZZNS1_14partition_implILS5_2ELb0ES3_jN6thrust23THRUST_200600_302600_NS6detail15normal_iteratorINSA_7pointerIiNSA_11hip_rocprim3tagENSA_11use_defaultESG_EEEEPS6_NSA_18transform_iteratorI10is_orderedNSA_12zip_iteratorINSA_5tupleINSC_INSA_10device_ptrIiEEEESQ_NSA_9null_typeESR_SR_SR_SR_SR_SR_SR_EEEESG_SG_EENS0_5tupleIJPiSJ_EEENSV_IJSJ_SJ_EEES6_PlJS6_EEE10hipError_tPvRmT3_T4_T5_T6_T7_T9_mT8_P12ihipStream_tbDpT10_ENKUlT_T0_E_clISt17integral_constantIbLb1EES1J_EEDaS1E_S1F_EUlS1E_E_NS1_11comp_targetILNS1_3genE3ELNS1_11target_archE908ELNS1_3gpuE7ELNS1_3repE0EEENS1_30default_config_static_selectorELNS0_4arch9wavefront6targetE1EEEvT1_,"axG",@progbits,_ZN7rocprim17ROCPRIM_400000_NS6detail17trampoline_kernelINS0_14default_configENS1_25partition_config_selectorILNS1_17partition_subalgoE2EiNS0_10empty_typeEbEEZZNS1_14partition_implILS5_2ELb0ES3_jN6thrust23THRUST_200600_302600_NS6detail15normal_iteratorINSA_7pointerIiNSA_11hip_rocprim3tagENSA_11use_defaultESG_EEEEPS6_NSA_18transform_iteratorI10is_orderedNSA_12zip_iteratorINSA_5tupleINSC_INSA_10device_ptrIiEEEESQ_NSA_9null_typeESR_SR_SR_SR_SR_SR_SR_EEEESG_SG_EENS0_5tupleIJPiSJ_EEENSV_IJSJ_SJ_EEES6_PlJS6_EEE10hipError_tPvRmT3_T4_T5_T6_T7_T9_mT8_P12ihipStream_tbDpT10_ENKUlT_T0_E_clISt17integral_constantIbLb1EES1J_EEDaS1E_S1F_EUlS1E_E_NS1_11comp_targetILNS1_3genE3ELNS1_11target_archE908ELNS1_3gpuE7ELNS1_3repE0EEENS1_30default_config_static_selectorELNS0_4arch9wavefront6targetE1EEEvT1_,comdat
	.protected	_ZN7rocprim17ROCPRIM_400000_NS6detail17trampoline_kernelINS0_14default_configENS1_25partition_config_selectorILNS1_17partition_subalgoE2EiNS0_10empty_typeEbEEZZNS1_14partition_implILS5_2ELb0ES3_jN6thrust23THRUST_200600_302600_NS6detail15normal_iteratorINSA_7pointerIiNSA_11hip_rocprim3tagENSA_11use_defaultESG_EEEEPS6_NSA_18transform_iteratorI10is_orderedNSA_12zip_iteratorINSA_5tupleINSC_INSA_10device_ptrIiEEEESQ_NSA_9null_typeESR_SR_SR_SR_SR_SR_SR_EEEESG_SG_EENS0_5tupleIJPiSJ_EEENSV_IJSJ_SJ_EEES6_PlJS6_EEE10hipError_tPvRmT3_T4_T5_T6_T7_T9_mT8_P12ihipStream_tbDpT10_ENKUlT_T0_E_clISt17integral_constantIbLb1EES1J_EEDaS1E_S1F_EUlS1E_E_NS1_11comp_targetILNS1_3genE3ELNS1_11target_archE908ELNS1_3gpuE7ELNS1_3repE0EEENS1_30default_config_static_selectorELNS0_4arch9wavefront6targetE1EEEvT1_ ; -- Begin function _ZN7rocprim17ROCPRIM_400000_NS6detail17trampoline_kernelINS0_14default_configENS1_25partition_config_selectorILNS1_17partition_subalgoE2EiNS0_10empty_typeEbEEZZNS1_14partition_implILS5_2ELb0ES3_jN6thrust23THRUST_200600_302600_NS6detail15normal_iteratorINSA_7pointerIiNSA_11hip_rocprim3tagENSA_11use_defaultESG_EEEEPS6_NSA_18transform_iteratorI10is_orderedNSA_12zip_iteratorINSA_5tupleINSC_INSA_10device_ptrIiEEEESQ_NSA_9null_typeESR_SR_SR_SR_SR_SR_SR_EEEESG_SG_EENS0_5tupleIJPiSJ_EEENSV_IJSJ_SJ_EEES6_PlJS6_EEE10hipError_tPvRmT3_T4_T5_T6_T7_T9_mT8_P12ihipStream_tbDpT10_ENKUlT_T0_E_clISt17integral_constantIbLb1EES1J_EEDaS1E_S1F_EUlS1E_E_NS1_11comp_targetILNS1_3genE3ELNS1_11target_archE908ELNS1_3gpuE7ELNS1_3repE0EEENS1_30default_config_static_selectorELNS0_4arch9wavefront6targetE1EEEvT1_
	.globl	_ZN7rocprim17ROCPRIM_400000_NS6detail17trampoline_kernelINS0_14default_configENS1_25partition_config_selectorILNS1_17partition_subalgoE2EiNS0_10empty_typeEbEEZZNS1_14partition_implILS5_2ELb0ES3_jN6thrust23THRUST_200600_302600_NS6detail15normal_iteratorINSA_7pointerIiNSA_11hip_rocprim3tagENSA_11use_defaultESG_EEEEPS6_NSA_18transform_iteratorI10is_orderedNSA_12zip_iteratorINSA_5tupleINSC_INSA_10device_ptrIiEEEESQ_NSA_9null_typeESR_SR_SR_SR_SR_SR_SR_EEEESG_SG_EENS0_5tupleIJPiSJ_EEENSV_IJSJ_SJ_EEES6_PlJS6_EEE10hipError_tPvRmT3_T4_T5_T6_T7_T9_mT8_P12ihipStream_tbDpT10_ENKUlT_T0_E_clISt17integral_constantIbLb1EES1J_EEDaS1E_S1F_EUlS1E_E_NS1_11comp_targetILNS1_3genE3ELNS1_11target_archE908ELNS1_3gpuE7ELNS1_3repE0EEENS1_30default_config_static_selectorELNS0_4arch9wavefront6targetE1EEEvT1_
	.p2align	8
	.type	_ZN7rocprim17ROCPRIM_400000_NS6detail17trampoline_kernelINS0_14default_configENS1_25partition_config_selectorILNS1_17partition_subalgoE2EiNS0_10empty_typeEbEEZZNS1_14partition_implILS5_2ELb0ES3_jN6thrust23THRUST_200600_302600_NS6detail15normal_iteratorINSA_7pointerIiNSA_11hip_rocprim3tagENSA_11use_defaultESG_EEEEPS6_NSA_18transform_iteratorI10is_orderedNSA_12zip_iteratorINSA_5tupleINSC_INSA_10device_ptrIiEEEESQ_NSA_9null_typeESR_SR_SR_SR_SR_SR_SR_EEEESG_SG_EENS0_5tupleIJPiSJ_EEENSV_IJSJ_SJ_EEES6_PlJS6_EEE10hipError_tPvRmT3_T4_T5_T6_T7_T9_mT8_P12ihipStream_tbDpT10_ENKUlT_T0_E_clISt17integral_constantIbLb1EES1J_EEDaS1E_S1F_EUlS1E_E_NS1_11comp_targetILNS1_3genE3ELNS1_11target_archE908ELNS1_3gpuE7ELNS1_3repE0EEENS1_30default_config_static_selectorELNS0_4arch9wavefront6targetE1EEEvT1_,@function
_ZN7rocprim17ROCPRIM_400000_NS6detail17trampoline_kernelINS0_14default_configENS1_25partition_config_selectorILNS1_17partition_subalgoE2EiNS0_10empty_typeEbEEZZNS1_14partition_implILS5_2ELb0ES3_jN6thrust23THRUST_200600_302600_NS6detail15normal_iteratorINSA_7pointerIiNSA_11hip_rocprim3tagENSA_11use_defaultESG_EEEEPS6_NSA_18transform_iteratorI10is_orderedNSA_12zip_iteratorINSA_5tupleINSC_INSA_10device_ptrIiEEEESQ_NSA_9null_typeESR_SR_SR_SR_SR_SR_SR_EEEESG_SG_EENS0_5tupleIJPiSJ_EEENSV_IJSJ_SJ_EEES6_PlJS6_EEE10hipError_tPvRmT3_T4_T5_T6_T7_T9_mT8_P12ihipStream_tbDpT10_ENKUlT_T0_E_clISt17integral_constantIbLb1EES1J_EEDaS1E_S1F_EUlS1E_E_NS1_11comp_targetILNS1_3genE3ELNS1_11target_archE908ELNS1_3gpuE7ELNS1_3repE0EEENS1_30default_config_static_selectorELNS0_4arch9wavefront6targetE1EEEvT1_: ; @_ZN7rocprim17ROCPRIM_400000_NS6detail17trampoline_kernelINS0_14default_configENS1_25partition_config_selectorILNS1_17partition_subalgoE2EiNS0_10empty_typeEbEEZZNS1_14partition_implILS5_2ELb0ES3_jN6thrust23THRUST_200600_302600_NS6detail15normal_iteratorINSA_7pointerIiNSA_11hip_rocprim3tagENSA_11use_defaultESG_EEEEPS6_NSA_18transform_iteratorI10is_orderedNSA_12zip_iteratorINSA_5tupleINSC_INSA_10device_ptrIiEEEESQ_NSA_9null_typeESR_SR_SR_SR_SR_SR_SR_EEEESG_SG_EENS0_5tupleIJPiSJ_EEENSV_IJSJ_SJ_EEES6_PlJS6_EEE10hipError_tPvRmT3_T4_T5_T6_T7_T9_mT8_P12ihipStream_tbDpT10_ENKUlT_T0_E_clISt17integral_constantIbLb1EES1J_EEDaS1E_S1F_EUlS1E_E_NS1_11comp_targetILNS1_3genE3ELNS1_11target_archE908ELNS1_3gpuE7ELNS1_3repE0EEENS1_30default_config_static_selectorELNS0_4arch9wavefront6targetE1EEEvT1_
; %bb.0:
	.section	.rodata,"a",@progbits
	.p2align	6, 0x0
	.amdhsa_kernel _ZN7rocprim17ROCPRIM_400000_NS6detail17trampoline_kernelINS0_14default_configENS1_25partition_config_selectorILNS1_17partition_subalgoE2EiNS0_10empty_typeEbEEZZNS1_14partition_implILS5_2ELb0ES3_jN6thrust23THRUST_200600_302600_NS6detail15normal_iteratorINSA_7pointerIiNSA_11hip_rocprim3tagENSA_11use_defaultESG_EEEEPS6_NSA_18transform_iteratorI10is_orderedNSA_12zip_iteratorINSA_5tupleINSC_INSA_10device_ptrIiEEEESQ_NSA_9null_typeESR_SR_SR_SR_SR_SR_SR_EEEESG_SG_EENS0_5tupleIJPiSJ_EEENSV_IJSJ_SJ_EEES6_PlJS6_EEE10hipError_tPvRmT3_T4_T5_T6_T7_T9_mT8_P12ihipStream_tbDpT10_ENKUlT_T0_E_clISt17integral_constantIbLb1EES1J_EEDaS1E_S1F_EUlS1E_E_NS1_11comp_targetILNS1_3genE3ELNS1_11target_archE908ELNS1_3gpuE7ELNS1_3repE0EEENS1_30default_config_static_selectorELNS0_4arch9wavefront6targetE1EEEvT1_
		.amdhsa_group_segment_fixed_size 0
		.amdhsa_private_segment_fixed_size 0
		.amdhsa_kernarg_size 152
		.amdhsa_user_sgpr_count 2
		.amdhsa_user_sgpr_dispatch_ptr 0
		.amdhsa_user_sgpr_queue_ptr 0
		.amdhsa_user_sgpr_kernarg_segment_ptr 1
		.amdhsa_user_sgpr_dispatch_id 0
		.amdhsa_user_sgpr_kernarg_preload_length 0
		.amdhsa_user_sgpr_kernarg_preload_offset 0
		.amdhsa_user_sgpr_private_segment_size 0
		.amdhsa_uses_dynamic_stack 0
		.amdhsa_enable_private_segment 0
		.amdhsa_system_sgpr_workgroup_id_x 1
		.amdhsa_system_sgpr_workgroup_id_y 0
		.amdhsa_system_sgpr_workgroup_id_z 0
		.amdhsa_system_sgpr_workgroup_info 0
		.amdhsa_system_vgpr_workitem_id 0
		.amdhsa_next_free_vgpr 1
		.amdhsa_next_free_sgpr 0
		.amdhsa_accum_offset 4
		.amdhsa_reserve_vcc 0
		.amdhsa_float_round_mode_32 0
		.amdhsa_float_round_mode_16_64 0
		.amdhsa_float_denorm_mode_32 3
		.amdhsa_float_denorm_mode_16_64 3
		.amdhsa_dx10_clamp 1
		.amdhsa_ieee_mode 1
		.amdhsa_fp16_overflow 0
		.amdhsa_tg_split 0
		.amdhsa_exception_fp_ieee_invalid_op 0
		.amdhsa_exception_fp_denorm_src 0
		.amdhsa_exception_fp_ieee_div_zero 0
		.amdhsa_exception_fp_ieee_overflow 0
		.amdhsa_exception_fp_ieee_underflow 0
		.amdhsa_exception_fp_ieee_inexact 0
		.amdhsa_exception_int_div_zero 0
	.end_amdhsa_kernel
	.section	.text._ZN7rocprim17ROCPRIM_400000_NS6detail17trampoline_kernelINS0_14default_configENS1_25partition_config_selectorILNS1_17partition_subalgoE2EiNS0_10empty_typeEbEEZZNS1_14partition_implILS5_2ELb0ES3_jN6thrust23THRUST_200600_302600_NS6detail15normal_iteratorINSA_7pointerIiNSA_11hip_rocprim3tagENSA_11use_defaultESG_EEEEPS6_NSA_18transform_iteratorI10is_orderedNSA_12zip_iteratorINSA_5tupleINSC_INSA_10device_ptrIiEEEESQ_NSA_9null_typeESR_SR_SR_SR_SR_SR_SR_EEEESG_SG_EENS0_5tupleIJPiSJ_EEENSV_IJSJ_SJ_EEES6_PlJS6_EEE10hipError_tPvRmT3_T4_T5_T6_T7_T9_mT8_P12ihipStream_tbDpT10_ENKUlT_T0_E_clISt17integral_constantIbLb1EES1J_EEDaS1E_S1F_EUlS1E_E_NS1_11comp_targetILNS1_3genE3ELNS1_11target_archE908ELNS1_3gpuE7ELNS1_3repE0EEENS1_30default_config_static_selectorELNS0_4arch9wavefront6targetE1EEEvT1_,"axG",@progbits,_ZN7rocprim17ROCPRIM_400000_NS6detail17trampoline_kernelINS0_14default_configENS1_25partition_config_selectorILNS1_17partition_subalgoE2EiNS0_10empty_typeEbEEZZNS1_14partition_implILS5_2ELb0ES3_jN6thrust23THRUST_200600_302600_NS6detail15normal_iteratorINSA_7pointerIiNSA_11hip_rocprim3tagENSA_11use_defaultESG_EEEEPS6_NSA_18transform_iteratorI10is_orderedNSA_12zip_iteratorINSA_5tupleINSC_INSA_10device_ptrIiEEEESQ_NSA_9null_typeESR_SR_SR_SR_SR_SR_SR_EEEESG_SG_EENS0_5tupleIJPiSJ_EEENSV_IJSJ_SJ_EEES6_PlJS6_EEE10hipError_tPvRmT3_T4_T5_T6_T7_T9_mT8_P12ihipStream_tbDpT10_ENKUlT_T0_E_clISt17integral_constantIbLb1EES1J_EEDaS1E_S1F_EUlS1E_E_NS1_11comp_targetILNS1_3genE3ELNS1_11target_archE908ELNS1_3gpuE7ELNS1_3repE0EEENS1_30default_config_static_selectorELNS0_4arch9wavefront6targetE1EEEvT1_,comdat
.Lfunc_end3605:
	.size	_ZN7rocprim17ROCPRIM_400000_NS6detail17trampoline_kernelINS0_14default_configENS1_25partition_config_selectorILNS1_17partition_subalgoE2EiNS0_10empty_typeEbEEZZNS1_14partition_implILS5_2ELb0ES3_jN6thrust23THRUST_200600_302600_NS6detail15normal_iteratorINSA_7pointerIiNSA_11hip_rocprim3tagENSA_11use_defaultESG_EEEEPS6_NSA_18transform_iteratorI10is_orderedNSA_12zip_iteratorINSA_5tupleINSC_INSA_10device_ptrIiEEEESQ_NSA_9null_typeESR_SR_SR_SR_SR_SR_SR_EEEESG_SG_EENS0_5tupleIJPiSJ_EEENSV_IJSJ_SJ_EEES6_PlJS6_EEE10hipError_tPvRmT3_T4_T5_T6_T7_T9_mT8_P12ihipStream_tbDpT10_ENKUlT_T0_E_clISt17integral_constantIbLb1EES1J_EEDaS1E_S1F_EUlS1E_E_NS1_11comp_targetILNS1_3genE3ELNS1_11target_archE908ELNS1_3gpuE7ELNS1_3repE0EEENS1_30default_config_static_selectorELNS0_4arch9wavefront6targetE1EEEvT1_, .Lfunc_end3605-_ZN7rocprim17ROCPRIM_400000_NS6detail17trampoline_kernelINS0_14default_configENS1_25partition_config_selectorILNS1_17partition_subalgoE2EiNS0_10empty_typeEbEEZZNS1_14partition_implILS5_2ELb0ES3_jN6thrust23THRUST_200600_302600_NS6detail15normal_iteratorINSA_7pointerIiNSA_11hip_rocprim3tagENSA_11use_defaultESG_EEEEPS6_NSA_18transform_iteratorI10is_orderedNSA_12zip_iteratorINSA_5tupleINSC_INSA_10device_ptrIiEEEESQ_NSA_9null_typeESR_SR_SR_SR_SR_SR_SR_EEEESG_SG_EENS0_5tupleIJPiSJ_EEENSV_IJSJ_SJ_EEES6_PlJS6_EEE10hipError_tPvRmT3_T4_T5_T6_T7_T9_mT8_P12ihipStream_tbDpT10_ENKUlT_T0_E_clISt17integral_constantIbLb1EES1J_EEDaS1E_S1F_EUlS1E_E_NS1_11comp_targetILNS1_3genE3ELNS1_11target_archE908ELNS1_3gpuE7ELNS1_3repE0EEENS1_30default_config_static_selectorELNS0_4arch9wavefront6targetE1EEEvT1_
                                        ; -- End function
	.section	.AMDGPU.csdata,"",@progbits
; Kernel info:
; codeLenInByte = 0
; NumSgprs: 6
; NumVgprs: 0
; NumAgprs: 0
; TotalNumVgprs: 0
; ScratchSize: 0
; MemoryBound: 0
; FloatMode: 240
; IeeeMode: 1
; LDSByteSize: 0 bytes/workgroup (compile time only)
; SGPRBlocks: 0
; VGPRBlocks: 0
; NumSGPRsForWavesPerEU: 6
; NumVGPRsForWavesPerEU: 1
; AccumOffset: 4
; Occupancy: 8
; WaveLimiterHint : 0
; COMPUTE_PGM_RSRC2:SCRATCH_EN: 0
; COMPUTE_PGM_RSRC2:USER_SGPR: 2
; COMPUTE_PGM_RSRC2:TRAP_HANDLER: 0
; COMPUTE_PGM_RSRC2:TGID_X_EN: 1
; COMPUTE_PGM_RSRC2:TGID_Y_EN: 0
; COMPUTE_PGM_RSRC2:TGID_Z_EN: 0
; COMPUTE_PGM_RSRC2:TIDIG_COMP_CNT: 0
; COMPUTE_PGM_RSRC3_GFX90A:ACCUM_OFFSET: 0
; COMPUTE_PGM_RSRC3_GFX90A:TG_SPLIT: 0
	.section	.text._ZN7rocprim17ROCPRIM_400000_NS6detail17trampoline_kernelINS0_14default_configENS1_25partition_config_selectorILNS1_17partition_subalgoE2EiNS0_10empty_typeEbEEZZNS1_14partition_implILS5_2ELb0ES3_jN6thrust23THRUST_200600_302600_NS6detail15normal_iteratorINSA_7pointerIiNSA_11hip_rocprim3tagENSA_11use_defaultESG_EEEEPS6_NSA_18transform_iteratorI10is_orderedNSA_12zip_iteratorINSA_5tupleINSC_INSA_10device_ptrIiEEEESQ_NSA_9null_typeESR_SR_SR_SR_SR_SR_SR_EEEESG_SG_EENS0_5tupleIJPiSJ_EEENSV_IJSJ_SJ_EEES6_PlJS6_EEE10hipError_tPvRmT3_T4_T5_T6_T7_T9_mT8_P12ihipStream_tbDpT10_ENKUlT_T0_E_clISt17integral_constantIbLb1EES1J_EEDaS1E_S1F_EUlS1E_E_NS1_11comp_targetILNS1_3genE2ELNS1_11target_archE906ELNS1_3gpuE6ELNS1_3repE0EEENS1_30default_config_static_selectorELNS0_4arch9wavefront6targetE1EEEvT1_,"axG",@progbits,_ZN7rocprim17ROCPRIM_400000_NS6detail17trampoline_kernelINS0_14default_configENS1_25partition_config_selectorILNS1_17partition_subalgoE2EiNS0_10empty_typeEbEEZZNS1_14partition_implILS5_2ELb0ES3_jN6thrust23THRUST_200600_302600_NS6detail15normal_iteratorINSA_7pointerIiNSA_11hip_rocprim3tagENSA_11use_defaultESG_EEEEPS6_NSA_18transform_iteratorI10is_orderedNSA_12zip_iteratorINSA_5tupleINSC_INSA_10device_ptrIiEEEESQ_NSA_9null_typeESR_SR_SR_SR_SR_SR_SR_EEEESG_SG_EENS0_5tupleIJPiSJ_EEENSV_IJSJ_SJ_EEES6_PlJS6_EEE10hipError_tPvRmT3_T4_T5_T6_T7_T9_mT8_P12ihipStream_tbDpT10_ENKUlT_T0_E_clISt17integral_constantIbLb1EES1J_EEDaS1E_S1F_EUlS1E_E_NS1_11comp_targetILNS1_3genE2ELNS1_11target_archE906ELNS1_3gpuE6ELNS1_3repE0EEENS1_30default_config_static_selectorELNS0_4arch9wavefront6targetE1EEEvT1_,comdat
	.protected	_ZN7rocprim17ROCPRIM_400000_NS6detail17trampoline_kernelINS0_14default_configENS1_25partition_config_selectorILNS1_17partition_subalgoE2EiNS0_10empty_typeEbEEZZNS1_14partition_implILS5_2ELb0ES3_jN6thrust23THRUST_200600_302600_NS6detail15normal_iteratorINSA_7pointerIiNSA_11hip_rocprim3tagENSA_11use_defaultESG_EEEEPS6_NSA_18transform_iteratorI10is_orderedNSA_12zip_iteratorINSA_5tupleINSC_INSA_10device_ptrIiEEEESQ_NSA_9null_typeESR_SR_SR_SR_SR_SR_SR_EEEESG_SG_EENS0_5tupleIJPiSJ_EEENSV_IJSJ_SJ_EEES6_PlJS6_EEE10hipError_tPvRmT3_T4_T5_T6_T7_T9_mT8_P12ihipStream_tbDpT10_ENKUlT_T0_E_clISt17integral_constantIbLb1EES1J_EEDaS1E_S1F_EUlS1E_E_NS1_11comp_targetILNS1_3genE2ELNS1_11target_archE906ELNS1_3gpuE6ELNS1_3repE0EEENS1_30default_config_static_selectorELNS0_4arch9wavefront6targetE1EEEvT1_ ; -- Begin function _ZN7rocprim17ROCPRIM_400000_NS6detail17trampoline_kernelINS0_14default_configENS1_25partition_config_selectorILNS1_17partition_subalgoE2EiNS0_10empty_typeEbEEZZNS1_14partition_implILS5_2ELb0ES3_jN6thrust23THRUST_200600_302600_NS6detail15normal_iteratorINSA_7pointerIiNSA_11hip_rocprim3tagENSA_11use_defaultESG_EEEEPS6_NSA_18transform_iteratorI10is_orderedNSA_12zip_iteratorINSA_5tupleINSC_INSA_10device_ptrIiEEEESQ_NSA_9null_typeESR_SR_SR_SR_SR_SR_SR_EEEESG_SG_EENS0_5tupleIJPiSJ_EEENSV_IJSJ_SJ_EEES6_PlJS6_EEE10hipError_tPvRmT3_T4_T5_T6_T7_T9_mT8_P12ihipStream_tbDpT10_ENKUlT_T0_E_clISt17integral_constantIbLb1EES1J_EEDaS1E_S1F_EUlS1E_E_NS1_11comp_targetILNS1_3genE2ELNS1_11target_archE906ELNS1_3gpuE6ELNS1_3repE0EEENS1_30default_config_static_selectorELNS0_4arch9wavefront6targetE1EEEvT1_
	.globl	_ZN7rocprim17ROCPRIM_400000_NS6detail17trampoline_kernelINS0_14default_configENS1_25partition_config_selectorILNS1_17partition_subalgoE2EiNS0_10empty_typeEbEEZZNS1_14partition_implILS5_2ELb0ES3_jN6thrust23THRUST_200600_302600_NS6detail15normal_iteratorINSA_7pointerIiNSA_11hip_rocprim3tagENSA_11use_defaultESG_EEEEPS6_NSA_18transform_iteratorI10is_orderedNSA_12zip_iteratorINSA_5tupleINSC_INSA_10device_ptrIiEEEESQ_NSA_9null_typeESR_SR_SR_SR_SR_SR_SR_EEEESG_SG_EENS0_5tupleIJPiSJ_EEENSV_IJSJ_SJ_EEES6_PlJS6_EEE10hipError_tPvRmT3_T4_T5_T6_T7_T9_mT8_P12ihipStream_tbDpT10_ENKUlT_T0_E_clISt17integral_constantIbLb1EES1J_EEDaS1E_S1F_EUlS1E_E_NS1_11comp_targetILNS1_3genE2ELNS1_11target_archE906ELNS1_3gpuE6ELNS1_3repE0EEENS1_30default_config_static_selectorELNS0_4arch9wavefront6targetE1EEEvT1_
	.p2align	8
	.type	_ZN7rocprim17ROCPRIM_400000_NS6detail17trampoline_kernelINS0_14default_configENS1_25partition_config_selectorILNS1_17partition_subalgoE2EiNS0_10empty_typeEbEEZZNS1_14partition_implILS5_2ELb0ES3_jN6thrust23THRUST_200600_302600_NS6detail15normal_iteratorINSA_7pointerIiNSA_11hip_rocprim3tagENSA_11use_defaultESG_EEEEPS6_NSA_18transform_iteratorI10is_orderedNSA_12zip_iteratorINSA_5tupleINSC_INSA_10device_ptrIiEEEESQ_NSA_9null_typeESR_SR_SR_SR_SR_SR_SR_EEEESG_SG_EENS0_5tupleIJPiSJ_EEENSV_IJSJ_SJ_EEES6_PlJS6_EEE10hipError_tPvRmT3_T4_T5_T6_T7_T9_mT8_P12ihipStream_tbDpT10_ENKUlT_T0_E_clISt17integral_constantIbLb1EES1J_EEDaS1E_S1F_EUlS1E_E_NS1_11comp_targetILNS1_3genE2ELNS1_11target_archE906ELNS1_3gpuE6ELNS1_3repE0EEENS1_30default_config_static_selectorELNS0_4arch9wavefront6targetE1EEEvT1_,@function
_ZN7rocprim17ROCPRIM_400000_NS6detail17trampoline_kernelINS0_14default_configENS1_25partition_config_selectorILNS1_17partition_subalgoE2EiNS0_10empty_typeEbEEZZNS1_14partition_implILS5_2ELb0ES3_jN6thrust23THRUST_200600_302600_NS6detail15normal_iteratorINSA_7pointerIiNSA_11hip_rocprim3tagENSA_11use_defaultESG_EEEEPS6_NSA_18transform_iteratorI10is_orderedNSA_12zip_iteratorINSA_5tupleINSC_INSA_10device_ptrIiEEEESQ_NSA_9null_typeESR_SR_SR_SR_SR_SR_SR_EEEESG_SG_EENS0_5tupleIJPiSJ_EEENSV_IJSJ_SJ_EEES6_PlJS6_EEE10hipError_tPvRmT3_T4_T5_T6_T7_T9_mT8_P12ihipStream_tbDpT10_ENKUlT_T0_E_clISt17integral_constantIbLb1EES1J_EEDaS1E_S1F_EUlS1E_E_NS1_11comp_targetILNS1_3genE2ELNS1_11target_archE906ELNS1_3gpuE6ELNS1_3repE0EEENS1_30default_config_static_selectorELNS0_4arch9wavefront6targetE1EEEvT1_: ; @_ZN7rocprim17ROCPRIM_400000_NS6detail17trampoline_kernelINS0_14default_configENS1_25partition_config_selectorILNS1_17partition_subalgoE2EiNS0_10empty_typeEbEEZZNS1_14partition_implILS5_2ELb0ES3_jN6thrust23THRUST_200600_302600_NS6detail15normal_iteratorINSA_7pointerIiNSA_11hip_rocprim3tagENSA_11use_defaultESG_EEEEPS6_NSA_18transform_iteratorI10is_orderedNSA_12zip_iteratorINSA_5tupleINSC_INSA_10device_ptrIiEEEESQ_NSA_9null_typeESR_SR_SR_SR_SR_SR_SR_EEEESG_SG_EENS0_5tupleIJPiSJ_EEENSV_IJSJ_SJ_EEES6_PlJS6_EEE10hipError_tPvRmT3_T4_T5_T6_T7_T9_mT8_P12ihipStream_tbDpT10_ENKUlT_T0_E_clISt17integral_constantIbLb1EES1J_EEDaS1E_S1F_EUlS1E_E_NS1_11comp_targetILNS1_3genE2ELNS1_11target_archE906ELNS1_3gpuE6ELNS1_3repE0EEENS1_30default_config_static_selectorELNS0_4arch9wavefront6targetE1EEEvT1_
; %bb.0:
	.section	.rodata,"a",@progbits
	.p2align	6, 0x0
	.amdhsa_kernel _ZN7rocprim17ROCPRIM_400000_NS6detail17trampoline_kernelINS0_14default_configENS1_25partition_config_selectorILNS1_17partition_subalgoE2EiNS0_10empty_typeEbEEZZNS1_14partition_implILS5_2ELb0ES3_jN6thrust23THRUST_200600_302600_NS6detail15normal_iteratorINSA_7pointerIiNSA_11hip_rocprim3tagENSA_11use_defaultESG_EEEEPS6_NSA_18transform_iteratorI10is_orderedNSA_12zip_iteratorINSA_5tupleINSC_INSA_10device_ptrIiEEEESQ_NSA_9null_typeESR_SR_SR_SR_SR_SR_SR_EEEESG_SG_EENS0_5tupleIJPiSJ_EEENSV_IJSJ_SJ_EEES6_PlJS6_EEE10hipError_tPvRmT3_T4_T5_T6_T7_T9_mT8_P12ihipStream_tbDpT10_ENKUlT_T0_E_clISt17integral_constantIbLb1EES1J_EEDaS1E_S1F_EUlS1E_E_NS1_11comp_targetILNS1_3genE2ELNS1_11target_archE906ELNS1_3gpuE6ELNS1_3repE0EEENS1_30default_config_static_selectorELNS0_4arch9wavefront6targetE1EEEvT1_
		.amdhsa_group_segment_fixed_size 0
		.amdhsa_private_segment_fixed_size 0
		.amdhsa_kernarg_size 152
		.amdhsa_user_sgpr_count 2
		.amdhsa_user_sgpr_dispatch_ptr 0
		.amdhsa_user_sgpr_queue_ptr 0
		.amdhsa_user_sgpr_kernarg_segment_ptr 1
		.amdhsa_user_sgpr_dispatch_id 0
		.amdhsa_user_sgpr_kernarg_preload_length 0
		.amdhsa_user_sgpr_kernarg_preload_offset 0
		.amdhsa_user_sgpr_private_segment_size 0
		.amdhsa_uses_dynamic_stack 0
		.amdhsa_enable_private_segment 0
		.amdhsa_system_sgpr_workgroup_id_x 1
		.amdhsa_system_sgpr_workgroup_id_y 0
		.amdhsa_system_sgpr_workgroup_id_z 0
		.amdhsa_system_sgpr_workgroup_info 0
		.amdhsa_system_vgpr_workitem_id 0
		.amdhsa_next_free_vgpr 1
		.amdhsa_next_free_sgpr 0
		.amdhsa_accum_offset 4
		.amdhsa_reserve_vcc 0
		.amdhsa_float_round_mode_32 0
		.amdhsa_float_round_mode_16_64 0
		.amdhsa_float_denorm_mode_32 3
		.amdhsa_float_denorm_mode_16_64 3
		.amdhsa_dx10_clamp 1
		.amdhsa_ieee_mode 1
		.amdhsa_fp16_overflow 0
		.amdhsa_tg_split 0
		.amdhsa_exception_fp_ieee_invalid_op 0
		.amdhsa_exception_fp_denorm_src 0
		.amdhsa_exception_fp_ieee_div_zero 0
		.amdhsa_exception_fp_ieee_overflow 0
		.amdhsa_exception_fp_ieee_underflow 0
		.amdhsa_exception_fp_ieee_inexact 0
		.amdhsa_exception_int_div_zero 0
	.end_amdhsa_kernel
	.section	.text._ZN7rocprim17ROCPRIM_400000_NS6detail17trampoline_kernelINS0_14default_configENS1_25partition_config_selectorILNS1_17partition_subalgoE2EiNS0_10empty_typeEbEEZZNS1_14partition_implILS5_2ELb0ES3_jN6thrust23THRUST_200600_302600_NS6detail15normal_iteratorINSA_7pointerIiNSA_11hip_rocprim3tagENSA_11use_defaultESG_EEEEPS6_NSA_18transform_iteratorI10is_orderedNSA_12zip_iteratorINSA_5tupleINSC_INSA_10device_ptrIiEEEESQ_NSA_9null_typeESR_SR_SR_SR_SR_SR_SR_EEEESG_SG_EENS0_5tupleIJPiSJ_EEENSV_IJSJ_SJ_EEES6_PlJS6_EEE10hipError_tPvRmT3_T4_T5_T6_T7_T9_mT8_P12ihipStream_tbDpT10_ENKUlT_T0_E_clISt17integral_constantIbLb1EES1J_EEDaS1E_S1F_EUlS1E_E_NS1_11comp_targetILNS1_3genE2ELNS1_11target_archE906ELNS1_3gpuE6ELNS1_3repE0EEENS1_30default_config_static_selectorELNS0_4arch9wavefront6targetE1EEEvT1_,"axG",@progbits,_ZN7rocprim17ROCPRIM_400000_NS6detail17trampoline_kernelINS0_14default_configENS1_25partition_config_selectorILNS1_17partition_subalgoE2EiNS0_10empty_typeEbEEZZNS1_14partition_implILS5_2ELb0ES3_jN6thrust23THRUST_200600_302600_NS6detail15normal_iteratorINSA_7pointerIiNSA_11hip_rocprim3tagENSA_11use_defaultESG_EEEEPS6_NSA_18transform_iteratorI10is_orderedNSA_12zip_iteratorINSA_5tupleINSC_INSA_10device_ptrIiEEEESQ_NSA_9null_typeESR_SR_SR_SR_SR_SR_SR_EEEESG_SG_EENS0_5tupleIJPiSJ_EEENSV_IJSJ_SJ_EEES6_PlJS6_EEE10hipError_tPvRmT3_T4_T5_T6_T7_T9_mT8_P12ihipStream_tbDpT10_ENKUlT_T0_E_clISt17integral_constantIbLb1EES1J_EEDaS1E_S1F_EUlS1E_E_NS1_11comp_targetILNS1_3genE2ELNS1_11target_archE906ELNS1_3gpuE6ELNS1_3repE0EEENS1_30default_config_static_selectorELNS0_4arch9wavefront6targetE1EEEvT1_,comdat
.Lfunc_end3606:
	.size	_ZN7rocprim17ROCPRIM_400000_NS6detail17trampoline_kernelINS0_14default_configENS1_25partition_config_selectorILNS1_17partition_subalgoE2EiNS0_10empty_typeEbEEZZNS1_14partition_implILS5_2ELb0ES3_jN6thrust23THRUST_200600_302600_NS6detail15normal_iteratorINSA_7pointerIiNSA_11hip_rocprim3tagENSA_11use_defaultESG_EEEEPS6_NSA_18transform_iteratorI10is_orderedNSA_12zip_iteratorINSA_5tupleINSC_INSA_10device_ptrIiEEEESQ_NSA_9null_typeESR_SR_SR_SR_SR_SR_SR_EEEESG_SG_EENS0_5tupleIJPiSJ_EEENSV_IJSJ_SJ_EEES6_PlJS6_EEE10hipError_tPvRmT3_T4_T5_T6_T7_T9_mT8_P12ihipStream_tbDpT10_ENKUlT_T0_E_clISt17integral_constantIbLb1EES1J_EEDaS1E_S1F_EUlS1E_E_NS1_11comp_targetILNS1_3genE2ELNS1_11target_archE906ELNS1_3gpuE6ELNS1_3repE0EEENS1_30default_config_static_selectorELNS0_4arch9wavefront6targetE1EEEvT1_, .Lfunc_end3606-_ZN7rocprim17ROCPRIM_400000_NS6detail17trampoline_kernelINS0_14default_configENS1_25partition_config_selectorILNS1_17partition_subalgoE2EiNS0_10empty_typeEbEEZZNS1_14partition_implILS5_2ELb0ES3_jN6thrust23THRUST_200600_302600_NS6detail15normal_iteratorINSA_7pointerIiNSA_11hip_rocprim3tagENSA_11use_defaultESG_EEEEPS6_NSA_18transform_iteratorI10is_orderedNSA_12zip_iteratorINSA_5tupleINSC_INSA_10device_ptrIiEEEESQ_NSA_9null_typeESR_SR_SR_SR_SR_SR_SR_EEEESG_SG_EENS0_5tupleIJPiSJ_EEENSV_IJSJ_SJ_EEES6_PlJS6_EEE10hipError_tPvRmT3_T4_T5_T6_T7_T9_mT8_P12ihipStream_tbDpT10_ENKUlT_T0_E_clISt17integral_constantIbLb1EES1J_EEDaS1E_S1F_EUlS1E_E_NS1_11comp_targetILNS1_3genE2ELNS1_11target_archE906ELNS1_3gpuE6ELNS1_3repE0EEENS1_30default_config_static_selectorELNS0_4arch9wavefront6targetE1EEEvT1_
                                        ; -- End function
	.section	.AMDGPU.csdata,"",@progbits
; Kernel info:
; codeLenInByte = 0
; NumSgprs: 6
; NumVgprs: 0
; NumAgprs: 0
; TotalNumVgprs: 0
; ScratchSize: 0
; MemoryBound: 0
; FloatMode: 240
; IeeeMode: 1
; LDSByteSize: 0 bytes/workgroup (compile time only)
; SGPRBlocks: 0
; VGPRBlocks: 0
; NumSGPRsForWavesPerEU: 6
; NumVGPRsForWavesPerEU: 1
; AccumOffset: 4
; Occupancy: 8
; WaveLimiterHint : 0
; COMPUTE_PGM_RSRC2:SCRATCH_EN: 0
; COMPUTE_PGM_RSRC2:USER_SGPR: 2
; COMPUTE_PGM_RSRC2:TRAP_HANDLER: 0
; COMPUTE_PGM_RSRC2:TGID_X_EN: 1
; COMPUTE_PGM_RSRC2:TGID_Y_EN: 0
; COMPUTE_PGM_RSRC2:TGID_Z_EN: 0
; COMPUTE_PGM_RSRC2:TIDIG_COMP_CNT: 0
; COMPUTE_PGM_RSRC3_GFX90A:ACCUM_OFFSET: 0
; COMPUTE_PGM_RSRC3_GFX90A:TG_SPLIT: 0
	.section	.text._ZN7rocprim17ROCPRIM_400000_NS6detail17trampoline_kernelINS0_14default_configENS1_25partition_config_selectorILNS1_17partition_subalgoE2EiNS0_10empty_typeEbEEZZNS1_14partition_implILS5_2ELb0ES3_jN6thrust23THRUST_200600_302600_NS6detail15normal_iteratorINSA_7pointerIiNSA_11hip_rocprim3tagENSA_11use_defaultESG_EEEEPS6_NSA_18transform_iteratorI10is_orderedNSA_12zip_iteratorINSA_5tupleINSC_INSA_10device_ptrIiEEEESQ_NSA_9null_typeESR_SR_SR_SR_SR_SR_SR_EEEESG_SG_EENS0_5tupleIJPiSJ_EEENSV_IJSJ_SJ_EEES6_PlJS6_EEE10hipError_tPvRmT3_T4_T5_T6_T7_T9_mT8_P12ihipStream_tbDpT10_ENKUlT_T0_E_clISt17integral_constantIbLb1EES1J_EEDaS1E_S1F_EUlS1E_E_NS1_11comp_targetILNS1_3genE10ELNS1_11target_archE1200ELNS1_3gpuE4ELNS1_3repE0EEENS1_30default_config_static_selectorELNS0_4arch9wavefront6targetE1EEEvT1_,"axG",@progbits,_ZN7rocprim17ROCPRIM_400000_NS6detail17trampoline_kernelINS0_14default_configENS1_25partition_config_selectorILNS1_17partition_subalgoE2EiNS0_10empty_typeEbEEZZNS1_14partition_implILS5_2ELb0ES3_jN6thrust23THRUST_200600_302600_NS6detail15normal_iteratorINSA_7pointerIiNSA_11hip_rocprim3tagENSA_11use_defaultESG_EEEEPS6_NSA_18transform_iteratorI10is_orderedNSA_12zip_iteratorINSA_5tupleINSC_INSA_10device_ptrIiEEEESQ_NSA_9null_typeESR_SR_SR_SR_SR_SR_SR_EEEESG_SG_EENS0_5tupleIJPiSJ_EEENSV_IJSJ_SJ_EEES6_PlJS6_EEE10hipError_tPvRmT3_T4_T5_T6_T7_T9_mT8_P12ihipStream_tbDpT10_ENKUlT_T0_E_clISt17integral_constantIbLb1EES1J_EEDaS1E_S1F_EUlS1E_E_NS1_11comp_targetILNS1_3genE10ELNS1_11target_archE1200ELNS1_3gpuE4ELNS1_3repE0EEENS1_30default_config_static_selectorELNS0_4arch9wavefront6targetE1EEEvT1_,comdat
	.protected	_ZN7rocprim17ROCPRIM_400000_NS6detail17trampoline_kernelINS0_14default_configENS1_25partition_config_selectorILNS1_17partition_subalgoE2EiNS0_10empty_typeEbEEZZNS1_14partition_implILS5_2ELb0ES3_jN6thrust23THRUST_200600_302600_NS6detail15normal_iteratorINSA_7pointerIiNSA_11hip_rocprim3tagENSA_11use_defaultESG_EEEEPS6_NSA_18transform_iteratorI10is_orderedNSA_12zip_iteratorINSA_5tupleINSC_INSA_10device_ptrIiEEEESQ_NSA_9null_typeESR_SR_SR_SR_SR_SR_SR_EEEESG_SG_EENS0_5tupleIJPiSJ_EEENSV_IJSJ_SJ_EEES6_PlJS6_EEE10hipError_tPvRmT3_T4_T5_T6_T7_T9_mT8_P12ihipStream_tbDpT10_ENKUlT_T0_E_clISt17integral_constantIbLb1EES1J_EEDaS1E_S1F_EUlS1E_E_NS1_11comp_targetILNS1_3genE10ELNS1_11target_archE1200ELNS1_3gpuE4ELNS1_3repE0EEENS1_30default_config_static_selectorELNS0_4arch9wavefront6targetE1EEEvT1_ ; -- Begin function _ZN7rocprim17ROCPRIM_400000_NS6detail17trampoline_kernelINS0_14default_configENS1_25partition_config_selectorILNS1_17partition_subalgoE2EiNS0_10empty_typeEbEEZZNS1_14partition_implILS5_2ELb0ES3_jN6thrust23THRUST_200600_302600_NS6detail15normal_iteratorINSA_7pointerIiNSA_11hip_rocprim3tagENSA_11use_defaultESG_EEEEPS6_NSA_18transform_iteratorI10is_orderedNSA_12zip_iteratorINSA_5tupleINSC_INSA_10device_ptrIiEEEESQ_NSA_9null_typeESR_SR_SR_SR_SR_SR_SR_EEEESG_SG_EENS0_5tupleIJPiSJ_EEENSV_IJSJ_SJ_EEES6_PlJS6_EEE10hipError_tPvRmT3_T4_T5_T6_T7_T9_mT8_P12ihipStream_tbDpT10_ENKUlT_T0_E_clISt17integral_constantIbLb1EES1J_EEDaS1E_S1F_EUlS1E_E_NS1_11comp_targetILNS1_3genE10ELNS1_11target_archE1200ELNS1_3gpuE4ELNS1_3repE0EEENS1_30default_config_static_selectorELNS0_4arch9wavefront6targetE1EEEvT1_
	.globl	_ZN7rocprim17ROCPRIM_400000_NS6detail17trampoline_kernelINS0_14default_configENS1_25partition_config_selectorILNS1_17partition_subalgoE2EiNS0_10empty_typeEbEEZZNS1_14partition_implILS5_2ELb0ES3_jN6thrust23THRUST_200600_302600_NS6detail15normal_iteratorINSA_7pointerIiNSA_11hip_rocprim3tagENSA_11use_defaultESG_EEEEPS6_NSA_18transform_iteratorI10is_orderedNSA_12zip_iteratorINSA_5tupleINSC_INSA_10device_ptrIiEEEESQ_NSA_9null_typeESR_SR_SR_SR_SR_SR_SR_EEEESG_SG_EENS0_5tupleIJPiSJ_EEENSV_IJSJ_SJ_EEES6_PlJS6_EEE10hipError_tPvRmT3_T4_T5_T6_T7_T9_mT8_P12ihipStream_tbDpT10_ENKUlT_T0_E_clISt17integral_constantIbLb1EES1J_EEDaS1E_S1F_EUlS1E_E_NS1_11comp_targetILNS1_3genE10ELNS1_11target_archE1200ELNS1_3gpuE4ELNS1_3repE0EEENS1_30default_config_static_selectorELNS0_4arch9wavefront6targetE1EEEvT1_
	.p2align	8
	.type	_ZN7rocprim17ROCPRIM_400000_NS6detail17trampoline_kernelINS0_14default_configENS1_25partition_config_selectorILNS1_17partition_subalgoE2EiNS0_10empty_typeEbEEZZNS1_14partition_implILS5_2ELb0ES3_jN6thrust23THRUST_200600_302600_NS6detail15normal_iteratorINSA_7pointerIiNSA_11hip_rocprim3tagENSA_11use_defaultESG_EEEEPS6_NSA_18transform_iteratorI10is_orderedNSA_12zip_iteratorINSA_5tupleINSC_INSA_10device_ptrIiEEEESQ_NSA_9null_typeESR_SR_SR_SR_SR_SR_SR_EEEESG_SG_EENS0_5tupleIJPiSJ_EEENSV_IJSJ_SJ_EEES6_PlJS6_EEE10hipError_tPvRmT3_T4_T5_T6_T7_T9_mT8_P12ihipStream_tbDpT10_ENKUlT_T0_E_clISt17integral_constantIbLb1EES1J_EEDaS1E_S1F_EUlS1E_E_NS1_11comp_targetILNS1_3genE10ELNS1_11target_archE1200ELNS1_3gpuE4ELNS1_3repE0EEENS1_30default_config_static_selectorELNS0_4arch9wavefront6targetE1EEEvT1_,@function
_ZN7rocprim17ROCPRIM_400000_NS6detail17trampoline_kernelINS0_14default_configENS1_25partition_config_selectorILNS1_17partition_subalgoE2EiNS0_10empty_typeEbEEZZNS1_14partition_implILS5_2ELb0ES3_jN6thrust23THRUST_200600_302600_NS6detail15normal_iteratorINSA_7pointerIiNSA_11hip_rocprim3tagENSA_11use_defaultESG_EEEEPS6_NSA_18transform_iteratorI10is_orderedNSA_12zip_iteratorINSA_5tupleINSC_INSA_10device_ptrIiEEEESQ_NSA_9null_typeESR_SR_SR_SR_SR_SR_SR_EEEESG_SG_EENS0_5tupleIJPiSJ_EEENSV_IJSJ_SJ_EEES6_PlJS6_EEE10hipError_tPvRmT3_T4_T5_T6_T7_T9_mT8_P12ihipStream_tbDpT10_ENKUlT_T0_E_clISt17integral_constantIbLb1EES1J_EEDaS1E_S1F_EUlS1E_E_NS1_11comp_targetILNS1_3genE10ELNS1_11target_archE1200ELNS1_3gpuE4ELNS1_3repE0EEENS1_30default_config_static_selectorELNS0_4arch9wavefront6targetE1EEEvT1_: ; @_ZN7rocprim17ROCPRIM_400000_NS6detail17trampoline_kernelINS0_14default_configENS1_25partition_config_selectorILNS1_17partition_subalgoE2EiNS0_10empty_typeEbEEZZNS1_14partition_implILS5_2ELb0ES3_jN6thrust23THRUST_200600_302600_NS6detail15normal_iteratorINSA_7pointerIiNSA_11hip_rocprim3tagENSA_11use_defaultESG_EEEEPS6_NSA_18transform_iteratorI10is_orderedNSA_12zip_iteratorINSA_5tupleINSC_INSA_10device_ptrIiEEEESQ_NSA_9null_typeESR_SR_SR_SR_SR_SR_SR_EEEESG_SG_EENS0_5tupleIJPiSJ_EEENSV_IJSJ_SJ_EEES6_PlJS6_EEE10hipError_tPvRmT3_T4_T5_T6_T7_T9_mT8_P12ihipStream_tbDpT10_ENKUlT_T0_E_clISt17integral_constantIbLb1EES1J_EEDaS1E_S1F_EUlS1E_E_NS1_11comp_targetILNS1_3genE10ELNS1_11target_archE1200ELNS1_3gpuE4ELNS1_3repE0EEENS1_30default_config_static_selectorELNS0_4arch9wavefront6targetE1EEEvT1_
; %bb.0:
	.section	.rodata,"a",@progbits
	.p2align	6, 0x0
	.amdhsa_kernel _ZN7rocprim17ROCPRIM_400000_NS6detail17trampoline_kernelINS0_14default_configENS1_25partition_config_selectorILNS1_17partition_subalgoE2EiNS0_10empty_typeEbEEZZNS1_14partition_implILS5_2ELb0ES3_jN6thrust23THRUST_200600_302600_NS6detail15normal_iteratorINSA_7pointerIiNSA_11hip_rocprim3tagENSA_11use_defaultESG_EEEEPS6_NSA_18transform_iteratorI10is_orderedNSA_12zip_iteratorINSA_5tupleINSC_INSA_10device_ptrIiEEEESQ_NSA_9null_typeESR_SR_SR_SR_SR_SR_SR_EEEESG_SG_EENS0_5tupleIJPiSJ_EEENSV_IJSJ_SJ_EEES6_PlJS6_EEE10hipError_tPvRmT3_T4_T5_T6_T7_T9_mT8_P12ihipStream_tbDpT10_ENKUlT_T0_E_clISt17integral_constantIbLb1EES1J_EEDaS1E_S1F_EUlS1E_E_NS1_11comp_targetILNS1_3genE10ELNS1_11target_archE1200ELNS1_3gpuE4ELNS1_3repE0EEENS1_30default_config_static_selectorELNS0_4arch9wavefront6targetE1EEEvT1_
		.amdhsa_group_segment_fixed_size 0
		.amdhsa_private_segment_fixed_size 0
		.amdhsa_kernarg_size 152
		.amdhsa_user_sgpr_count 2
		.amdhsa_user_sgpr_dispatch_ptr 0
		.amdhsa_user_sgpr_queue_ptr 0
		.amdhsa_user_sgpr_kernarg_segment_ptr 1
		.amdhsa_user_sgpr_dispatch_id 0
		.amdhsa_user_sgpr_kernarg_preload_length 0
		.amdhsa_user_sgpr_kernarg_preload_offset 0
		.amdhsa_user_sgpr_private_segment_size 0
		.amdhsa_uses_dynamic_stack 0
		.amdhsa_enable_private_segment 0
		.amdhsa_system_sgpr_workgroup_id_x 1
		.amdhsa_system_sgpr_workgroup_id_y 0
		.amdhsa_system_sgpr_workgroup_id_z 0
		.amdhsa_system_sgpr_workgroup_info 0
		.amdhsa_system_vgpr_workitem_id 0
		.amdhsa_next_free_vgpr 1
		.amdhsa_next_free_sgpr 0
		.amdhsa_accum_offset 4
		.amdhsa_reserve_vcc 0
		.amdhsa_float_round_mode_32 0
		.amdhsa_float_round_mode_16_64 0
		.amdhsa_float_denorm_mode_32 3
		.amdhsa_float_denorm_mode_16_64 3
		.amdhsa_dx10_clamp 1
		.amdhsa_ieee_mode 1
		.amdhsa_fp16_overflow 0
		.amdhsa_tg_split 0
		.amdhsa_exception_fp_ieee_invalid_op 0
		.amdhsa_exception_fp_denorm_src 0
		.amdhsa_exception_fp_ieee_div_zero 0
		.amdhsa_exception_fp_ieee_overflow 0
		.amdhsa_exception_fp_ieee_underflow 0
		.amdhsa_exception_fp_ieee_inexact 0
		.amdhsa_exception_int_div_zero 0
	.end_amdhsa_kernel
	.section	.text._ZN7rocprim17ROCPRIM_400000_NS6detail17trampoline_kernelINS0_14default_configENS1_25partition_config_selectorILNS1_17partition_subalgoE2EiNS0_10empty_typeEbEEZZNS1_14partition_implILS5_2ELb0ES3_jN6thrust23THRUST_200600_302600_NS6detail15normal_iteratorINSA_7pointerIiNSA_11hip_rocprim3tagENSA_11use_defaultESG_EEEEPS6_NSA_18transform_iteratorI10is_orderedNSA_12zip_iteratorINSA_5tupleINSC_INSA_10device_ptrIiEEEESQ_NSA_9null_typeESR_SR_SR_SR_SR_SR_SR_EEEESG_SG_EENS0_5tupleIJPiSJ_EEENSV_IJSJ_SJ_EEES6_PlJS6_EEE10hipError_tPvRmT3_T4_T5_T6_T7_T9_mT8_P12ihipStream_tbDpT10_ENKUlT_T0_E_clISt17integral_constantIbLb1EES1J_EEDaS1E_S1F_EUlS1E_E_NS1_11comp_targetILNS1_3genE10ELNS1_11target_archE1200ELNS1_3gpuE4ELNS1_3repE0EEENS1_30default_config_static_selectorELNS0_4arch9wavefront6targetE1EEEvT1_,"axG",@progbits,_ZN7rocprim17ROCPRIM_400000_NS6detail17trampoline_kernelINS0_14default_configENS1_25partition_config_selectorILNS1_17partition_subalgoE2EiNS0_10empty_typeEbEEZZNS1_14partition_implILS5_2ELb0ES3_jN6thrust23THRUST_200600_302600_NS6detail15normal_iteratorINSA_7pointerIiNSA_11hip_rocprim3tagENSA_11use_defaultESG_EEEEPS6_NSA_18transform_iteratorI10is_orderedNSA_12zip_iteratorINSA_5tupleINSC_INSA_10device_ptrIiEEEESQ_NSA_9null_typeESR_SR_SR_SR_SR_SR_SR_EEEESG_SG_EENS0_5tupleIJPiSJ_EEENSV_IJSJ_SJ_EEES6_PlJS6_EEE10hipError_tPvRmT3_T4_T5_T6_T7_T9_mT8_P12ihipStream_tbDpT10_ENKUlT_T0_E_clISt17integral_constantIbLb1EES1J_EEDaS1E_S1F_EUlS1E_E_NS1_11comp_targetILNS1_3genE10ELNS1_11target_archE1200ELNS1_3gpuE4ELNS1_3repE0EEENS1_30default_config_static_selectorELNS0_4arch9wavefront6targetE1EEEvT1_,comdat
.Lfunc_end3607:
	.size	_ZN7rocprim17ROCPRIM_400000_NS6detail17trampoline_kernelINS0_14default_configENS1_25partition_config_selectorILNS1_17partition_subalgoE2EiNS0_10empty_typeEbEEZZNS1_14partition_implILS5_2ELb0ES3_jN6thrust23THRUST_200600_302600_NS6detail15normal_iteratorINSA_7pointerIiNSA_11hip_rocprim3tagENSA_11use_defaultESG_EEEEPS6_NSA_18transform_iteratorI10is_orderedNSA_12zip_iteratorINSA_5tupleINSC_INSA_10device_ptrIiEEEESQ_NSA_9null_typeESR_SR_SR_SR_SR_SR_SR_EEEESG_SG_EENS0_5tupleIJPiSJ_EEENSV_IJSJ_SJ_EEES6_PlJS6_EEE10hipError_tPvRmT3_T4_T5_T6_T7_T9_mT8_P12ihipStream_tbDpT10_ENKUlT_T0_E_clISt17integral_constantIbLb1EES1J_EEDaS1E_S1F_EUlS1E_E_NS1_11comp_targetILNS1_3genE10ELNS1_11target_archE1200ELNS1_3gpuE4ELNS1_3repE0EEENS1_30default_config_static_selectorELNS0_4arch9wavefront6targetE1EEEvT1_, .Lfunc_end3607-_ZN7rocprim17ROCPRIM_400000_NS6detail17trampoline_kernelINS0_14default_configENS1_25partition_config_selectorILNS1_17partition_subalgoE2EiNS0_10empty_typeEbEEZZNS1_14partition_implILS5_2ELb0ES3_jN6thrust23THRUST_200600_302600_NS6detail15normal_iteratorINSA_7pointerIiNSA_11hip_rocprim3tagENSA_11use_defaultESG_EEEEPS6_NSA_18transform_iteratorI10is_orderedNSA_12zip_iteratorINSA_5tupleINSC_INSA_10device_ptrIiEEEESQ_NSA_9null_typeESR_SR_SR_SR_SR_SR_SR_EEEESG_SG_EENS0_5tupleIJPiSJ_EEENSV_IJSJ_SJ_EEES6_PlJS6_EEE10hipError_tPvRmT3_T4_T5_T6_T7_T9_mT8_P12ihipStream_tbDpT10_ENKUlT_T0_E_clISt17integral_constantIbLb1EES1J_EEDaS1E_S1F_EUlS1E_E_NS1_11comp_targetILNS1_3genE10ELNS1_11target_archE1200ELNS1_3gpuE4ELNS1_3repE0EEENS1_30default_config_static_selectorELNS0_4arch9wavefront6targetE1EEEvT1_
                                        ; -- End function
	.section	.AMDGPU.csdata,"",@progbits
; Kernel info:
; codeLenInByte = 0
; NumSgprs: 6
; NumVgprs: 0
; NumAgprs: 0
; TotalNumVgprs: 0
; ScratchSize: 0
; MemoryBound: 0
; FloatMode: 240
; IeeeMode: 1
; LDSByteSize: 0 bytes/workgroup (compile time only)
; SGPRBlocks: 0
; VGPRBlocks: 0
; NumSGPRsForWavesPerEU: 6
; NumVGPRsForWavesPerEU: 1
; AccumOffset: 4
; Occupancy: 8
; WaveLimiterHint : 0
; COMPUTE_PGM_RSRC2:SCRATCH_EN: 0
; COMPUTE_PGM_RSRC2:USER_SGPR: 2
; COMPUTE_PGM_RSRC2:TRAP_HANDLER: 0
; COMPUTE_PGM_RSRC2:TGID_X_EN: 1
; COMPUTE_PGM_RSRC2:TGID_Y_EN: 0
; COMPUTE_PGM_RSRC2:TGID_Z_EN: 0
; COMPUTE_PGM_RSRC2:TIDIG_COMP_CNT: 0
; COMPUTE_PGM_RSRC3_GFX90A:ACCUM_OFFSET: 0
; COMPUTE_PGM_RSRC3_GFX90A:TG_SPLIT: 0
	.section	.text._ZN7rocprim17ROCPRIM_400000_NS6detail17trampoline_kernelINS0_14default_configENS1_25partition_config_selectorILNS1_17partition_subalgoE2EiNS0_10empty_typeEbEEZZNS1_14partition_implILS5_2ELb0ES3_jN6thrust23THRUST_200600_302600_NS6detail15normal_iteratorINSA_7pointerIiNSA_11hip_rocprim3tagENSA_11use_defaultESG_EEEEPS6_NSA_18transform_iteratorI10is_orderedNSA_12zip_iteratorINSA_5tupleINSC_INSA_10device_ptrIiEEEESQ_NSA_9null_typeESR_SR_SR_SR_SR_SR_SR_EEEESG_SG_EENS0_5tupleIJPiSJ_EEENSV_IJSJ_SJ_EEES6_PlJS6_EEE10hipError_tPvRmT3_T4_T5_T6_T7_T9_mT8_P12ihipStream_tbDpT10_ENKUlT_T0_E_clISt17integral_constantIbLb1EES1J_EEDaS1E_S1F_EUlS1E_E_NS1_11comp_targetILNS1_3genE9ELNS1_11target_archE1100ELNS1_3gpuE3ELNS1_3repE0EEENS1_30default_config_static_selectorELNS0_4arch9wavefront6targetE1EEEvT1_,"axG",@progbits,_ZN7rocprim17ROCPRIM_400000_NS6detail17trampoline_kernelINS0_14default_configENS1_25partition_config_selectorILNS1_17partition_subalgoE2EiNS0_10empty_typeEbEEZZNS1_14partition_implILS5_2ELb0ES3_jN6thrust23THRUST_200600_302600_NS6detail15normal_iteratorINSA_7pointerIiNSA_11hip_rocprim3tagENSA_11use_defaultESG_EEEEPS6_NSA_18transform_iteratorI10is_orderedNSA_12zip_iteratorINSA_5tupleINSC_INSA_10device_ptrIiEEEESQ_NSA_9null_typeESR_SR_SR_SR_SR_SR_SR_EEEESG_SG_EENS0_5tupleIJPiSJ_EEENSV_IJSJ_SJ_EEES6_PlJS6_EEE10hipError_tPvRmT3_T4_T5_T6_T7_T9_mT8_P12ihipStream_tbDpT10_ENKUlT_T0_E_clISt17integral_constantIbLb1EES1J_EEDaS1E_S1F_EUlS1E_E_NS1_11comp_targetILNS1_3genE9ELNS1_11target_archE1100ELNS1_3gpuE3ELNS1_3repE0EEENS1_30default_config_static_selectorELNS0_4arch9wavefront6targetE1EEEvT1_,comdat
	.protected	_ZN7rocprim17ROCPRIM_400000_NS6detail17trampoline_kernelINS0_14default_configENS1_25partition_config_selectorILNS1_17partition_subalgoE2EiNS0_10empty_typeEbEEZZNS1_14partition_implILS5_2ELb0ES3_jN6thrust23THRUST_200600_302600_NS6detail15normal_iteratorINSA_7pointerIiNSA_11hip_rocprim3tagENSA_11use_defaultESG_EEEEPS6_NSA_18transform_iteratorI10is_orderedNSA_12zip_iteratorINSA_5tupleINSC_INSA_10device_ptrIiEEEESQ_NSA_9null_typeESR_SR_SR_SR_SR_SR_SR_EEEESG_SG_EENS0_5tupleIJPiSJ_EEENSV_IJSJ_SJ_EEES6_PlJS6_EEE10hipError_tPvRmT3_T4_T5_T6_T7_T9_mT8_P12ihipStream_tbDpT10_ENKUlT_T0_E_clISt17integral_constantIbLb1EES1J_EEDaS1E_S1F_EUlS1E_E_NS1_11comp_targetILNS1_3genE9ELNS1_11target_archE1100ELNS1_3gpuE3ELNS1_3repE0EEENS1_30default_config_static_selectorELNS0_4arch9wavefront6targetE1EEEvT1_ ; -- Begin function _ZN7rocprim17ROCPRIM_400000_NS6detail17trampoline_kernelINS0_14default_configENS1_25partition_config_selectorILNS1_17partition_subalgoE2EiNS0_10empty_typeEbEEZZNS1_14partition_implILS5_2ELb0ES3_jN6thrust23THRUST_200600_302600_NS6detail15normal_iteratorINSA_7pointerIiNSA_11hip_rocprim3tagENSA_11use_defaultESG_EEEEPS6_NSA_18transform_iteratorI10is_orderedNSA_12zip_iteratorINSA_5tupleINSC_INSA_10device_ptrIiEEEESQ_NSA_9null_typeESR_SR_SR_SR_SR_SR_SR_EEEESG_SG_EENS0_5tupleIJPiSJ_EEENSV_IJSJ_SJ_EEES6_PlJS6_EEE10hipError_tPvRmT3_T4_T5_T6_T7_T9_mT8_P12ihipStream_tbDpT10_ENKUlT_T0_E_clISt17integral_constantIbLb1EES1J_EEDaS1E_S1F_EUlS1E_E_NS1_11comp_targetILNS1_3genE9ELNS1_11target_archE1100ELNS1_3gpuE3ELNS1_3repE0EEENS1_30default_config_static_selectorELNS0_4arch9wavefront6targetE1EEEvT1_
	.globl	_ZN7rocprim17ROCPRIM_400000_NS6detail17trampoline_kernelINS0_14default_configENS1_25partition_config_selectorILNS1_17partition_subalgoE2EiNS0_10empty_typeEbEEZZNS1_14partition_implILS5_2ELb0ES3_jN6thrust23THRUST_200600_302600_NS6detail15normal_iteratorINSA_7pointerIiNSA_11hip_rocprim3tagENSA_11use_defaultESG_EEEEPS6_NSA_18transform_iteratorI10is_orderedNSA_12zip_iteratorINSA_5tupleINSC_INSA_10device_ptrIiEEEESQ_NSA_9null_typeESR_SR_SR_SR_SR_SR_SR_EEEESG_SG_EENS0_5tupleIJPiSJ_EEENSV_IJSJ_SJ_EEES6_PlJS6_EEE10hipError_tPvRmT3_T4_T5_T6_T7_T9_mT8_P12ihipStream_tbDpT10_ENKUlT_T0_E_clISt17integral_constantIbLb1EES1J_EEDaS1E_S1F_EUlS1E_E_NS1_11comp_targetILNS1_3genE9ELNS1_11target_archE1100ELNS1_3gpuE3ELNS1_3repE0EEENS1_30default_config_static_selectorELNS0_4arch9wavefront6targetE1EEEvT1_
	.p2align	8
	.type	_ZN7rocprim17ROCPRIM_400000_NS6detail17trampoline_kernelINS0_14default_configENS1_25partition_config_selectorILNS1_17partition_subalgoE2EiNS0_10empty_typeEbEEZZNS1_14partition_implILS5_2ELb0ES3_jN6thrust23THRUST_200600_302600_NS6detail15normal_iteratorINSA_7pointerIiNSA_11hip_rocprim3tagENSA_11use_defaultESG_EEEEPS6_NSA_18transform_iteratorI10is_orderedNSA_12zip_iteratorINSA_5tupleINSC_INSA_10device_ptrIiEEEESQ_NSA_9null_typeESR_SR_SR_SR_SR_SR_SR_EEEESG_SG_EENS0_5tupleIJPiSJ_EEENSV_IJSJ_SJ_EEES6_PlJS6_EEE10hipError_tPvRmT3_T4_T5_T6_T7_T9_mT8_P12ihipStream_tbDpT10_ENKUlT_T0_E_clISt17integral_constantIbLb1EES1J_EEDaS1E_S1F_EUlS1E_E_NS1_11comp_targetILNS1_3genE9ELNS1_11target_archE1100ELNS1_3gpuE3ELNS1_3repE0EEENS1_30default_config_static_selectorELNS0_4arch9wavefront6targetE1EEEvT1_,@function
_ZN7rocprim17ROCPRIM_400000_NS6detail17trampoline_kernelINS0_14default_configENS1_25partition_config_selectorILNS1_17partition_subalgoE2EiNS0_10empty_typeEbEEZZNS1_14partition_implILS5_2ELb0ES3_jN6thrust23THRUST_200600_302600_NS6detail15normal_iteratorINSA_7pointerIiNSA_11hip_rocprim3tagENSA_11use_defaultESG_EEEEPS6_NSA_18transform_iteratorI10is_orderedNSA_12zip_iteratorINSA_5tupleINSC_INSA_10device_ptrIiEEEESQ_NSA_9null_typeESR_SR_SR_SR_SR_SR_SR_EEEESG_SG_EENS0_5tupleIJPiSJ_EEENSV_IJSJ_SJ_EEES6_PlJS6_EEE10hipError_tPvRmT3_T4_T5_T6_T7_T9_mT8_P12ihipStream_tbDpT10_ENKUlT_T0_E_clISt17integral_constantIbLb1EES1J_EEDaS1E_S1F_EUlS1E_E_NS1_11comp_targetILNS1_3genE9ELNS1_11target_archE1100ELNS1_3gpuE3ELNS1_3repE0EEENS1_30default_config_static_selectorELNS0_4arch9wavefront6targetE1EEEvT1_: ; @_ZN7rocprim17ROCPRIM_400000_NS6detail17trampoline_kernelINS0_14default_configENS1_25partition_config_selectorILNS1_17partition_subalgoE2EiNS0_10empty_typeEbEEZZNS1_14partition_implILS5_2ELb0ES3_jN6thrust23THRUST_200600_302600_NS6detail15normal_iteratorINSA_7pointerIiNSA_11hip_rocprim3tagENSA_11use_defaultESG_EEEEPS6_NSA_18transform_iteratorI10is_orderedNSA_12zip_iteratorINSA_5tupleINSC_INSA_10device_ptrIiEEEESQ_NSA_9null_typeESR_SR_SR_SR_SR_SR_SR_EEEESG_SG_EENS0_5tupleIJPiSJ_EEENSV_IJSJ_SJ_EEES6_PlJS6_EEE10hipError_tPvRmT3_T4_T5_T6_T7_T9_mT8_P12ihipStream_tbDpT10_ENKUlT_T0_E_clISt17integral_constantIbLb1EES1J_EEDaS1E_S1F_EUlS1E_E_NS1_11comp_targetILNS1_3genE9ELNS1_11target_archE1100ELNS1_3gpuE3ELNS1_3repE0EEENS1_30default_config_static_selectorELNS0_4arch9wavefront6targetE1EEEvT1_
; %bb.0:
	.section	.rodata,"a",@progbits
	.p2align	6, 0x0
	.amdhsa_kernel _ZN7rocprim17ROCPRIM_400000_NS6detail17trampoline_kernelINS0_14default_configENS1_25partition_config_selectorILNS1_17partition_subalgoE2EiNS0_10empty_typeEbEEZZNS1_14partition_implILS5_2ELb0ES3_jN6thrust23THRUST_200600_302600_NS6detail15normal_iteratorINSA_7pointerIiNSA_11hip_rocprim3tagENSA_11use_defaultESG_EEEEPS6_NSA_18transform_iteratorI10is_orderedNSA_12zip_iteratorINSA_5tupleINSC_INSA_10device_ptrIiEEEESQ_NSA_9null_typeESR_SR_SR_SR_SR_SR_SR_EEEESG_SG_EENS0_5tupleIJPiSJ_EEENSV_IJSJ_SJ_EEES6_PlJS6_EEE10hipError_tPvRmT3_T4_T5_T6_T7_T9_mT8_P12ihipStream_tbDpT10_ENKUlT_T0_E_clISt17integral_constantIbLb1EES1J_EEDaS1E_S1F_EUlS1E_E_NS1_11comp_targetILNS1_3genE9ELNS1_11target_archE1100ELNS1_3gpuE3ELNS1_3repE0EEENS1_30default_config_static_selectorELNS0_4arch9wavefront6targetE1EEEvT1_
		.amdhsa_group_segment_fixed_size 0
		.amdhsa_private_segment_fixed_size 0
		.amdhsa_kernarg_size 152
		.amdhsa_user_sgpr_count 2
		.amdhsa_user_sgpr_dispatch_ptr 0
		.amdhsa_user_sgpr_queue_ptr 0
		.amdhsa_user_sgpr_kernarg_segment_ptr 1
		.amdhsa_user_sgpr_dispatch_id 0
		.amdhsa_user_sgpr_kernarg_preload_length 0
		.amdhsa_user_sgpr_kernarg_preload_offset 0
		.amdhsa_user_sgpr_private_segment_size 0
		.amdhsa_uses_dynamic_stack 0
		.amdhsa_enable_private_segment 0
		.amdhsa_system_sgpr_workgroup_id_x 1
		.amdhsa_system_sgpr_workgroup_id_y 0
		.amdhsa_system_sgpr_workgroup_id_z 0
		.amdhsa_system_sgpr_workgroup_info 0
		.amdhsa_system_vgpr_workitem_id 0
		.amdhsa_next_free_vgpr 1
		.amdhsa_next_free_sgpr 0
		.amdhsa_accum_offset 4
		.amdhsa_reserve_vcc 0
		.amdhsa_float_round_mode_32 0
		.amdhsa_float_round_mode_16_64 0
		.amdhsa_float_denorm_mode_32 3
		.amdhsa_float_denorm_mode_16_64 3
		.amdhsa_dx10_clamp 1
		.amdhsa_ieee_mode 1
		.amdhsa_fp16_overflow 0
		.amdhsa_tg_split 0
		.amdhsa_exception_fp_ieee_invalid_op 0
		.amdhsa_exception_fp_denorm_src 0
		.amdhsa_exception_fp_ieee_div_zero 0
		.amdhsa_exception_fp_ieee_overflow 0
		.amdhsa_exception_fp_ieee_underflow 0
		.amdhsa_exception_fp_ieee_inexact 0
		.amdhsa_exception_int_div_zero 0
	.end_amdhsa_kernel
	.section	.text._ZN7rocprim17ROCPRIM_400000_NS6detail17trampoline_kernelINS0_14default_configENS1_25partition_config_selectorILNS1_17partition_subalgoE2EiNS0_10empty_typeEbEEZZNS1_14partition_implILS5_2ELb0ES3_jN6thrust23THRUST_200600_302600_NS6detail15normal_iteratorINSA_7pointerIiNSA_11hip_rocprim3tagENSA_11use_defaultESG_EEEEPS6_NSA_18transform_iteratorI10is_orderedNSA_12zip_iteratorINSA_5tupleINSC_INSA_10device_ptrIiEEEESQ_NSA_9null_typeESR_SR_SR_SR_SR_SR_SR_EEEESG_SG_EENS0_5tupleIJPiSJ_EEENSV_IJSJ_SJ_EEES6_PlJS6_EEE10hipError_tPvRmT3_T4_T5_T6_T7_T9_mT8_P12ihipStream_tbDpT10_ENKUlT_T0_E_clISt17integral_constantIbLb1EES1J_EEDaS1E_S1F_EUlS1E_E_NS1_11comp_targetILNS1_3genE9ELNS1_11target_archE1100ELNS1_3gpuE3ELNS1_3repE0EEENS1_30default_config_static_selectorELNS0_4arch9wavefront6targetE1EEEvT1_,"axG",@progbits,_ZN7rocprim17ROCPRIM_400000_NS6detail17trampoline_kernelINS0_14default_configENS1_25partition_config_selectorILNS1_17partition_subalgoE2EiNS0_10empty_typeEbEEZZNS1_14partition_implILS5_2ELb0ES3_jN6thrust23THRUST_200600_302600_NS6detail15normal_iteratorINSA_7pointerIiNSA_11hip_rocprim3tagENSA_11use_defaultESG_EEEEPS6_NSA_18transform_iteratorI10is_orderedNSA_12zip_iteratorINSA_5tupleINSC_INSA_10device_ptrIiEEEESQ_NSA_9null_typeESR_SR_SR_SR_SR_SR_SR_EEEESG_SG_EENS0_5tupleIJPiSJ_EEENSV_IJSJ_SJ_EEES6_PlJS6_EEE10hipError_tPvRmT3_T4_T5_T6_T7_T9_mT8_P12ihipStream_tbDpT10_ENKUlT_T0_E_clISt17integral_constantIbLb1EES1J_EEDaS1E_S1F_EUlS1E_E_NS1_11comp_targetILNS1_3genE9ELNS1_11target_archE1100ELNS1_3gpuE3ELNS1_3repE0EEENS1_30default_config_static_selectorELNS0_4arch9wavefront6targetE1EEEvT1_,comdat
.Lfunc_end3608:
	.size	_ZN7rocprim17ROCPRIM_400000_NS6detail17trampoline_kernelINS0_14default_configENS1_25partition_config_selectorILNS1_17partition_subalgoE2EiNS0_10empty_typeEbEEZZNS1_14partition_implILS5_2ELb0ES3_jN6thrust23THRUST_200600_302600_NS6detail15normal_iteratorINSA_7pointerIiNSA_11hip_rocprim3tagENSA_11use_defaultESG_EEEEPS6_NSA_18transform_iteratorI10is_orderedNSA_12zip_iteratorINSA_5tupleINSC_INSA_10device_ptrIiEEEESQ_NSA_9null_typeESR_SR_SR_SR_SR_SR_SR_EEEESG_SG_EENS0_5tupleIJPiSJ_EEENSV_IJSJ_SJ_EEES6_PlJS6_EEE10hipError_tPvRmT3_T4_T5_T6_T7_T9_mT8_P12ihipStream_tbDpT10_ENKUlT_T0_E_clISt17integral_constantIbLb1EES1J_EEDaS1E_S1F_EUlS1E_E_NS1_11comp_targetILNS1_3genE9ELNS1_11target_archE1100ELNS1_3gpuE3ELNS1_3repE0EEENS1_30default_config_static_selectorELNS0_4arch9wavefront6targetE1EEEvT1_, .Lfunc_end3608-_ZN7rocprim17ROCPRIM_400000_NS6detail17trampoline_kernelINS0_14default_configENS1_25partition_config_selectorILNS1_17partition_subalgoE2EiNS0_10empty_typeEbEEZZNS1_14partition_implILS5_2ELb0ES3_jN6thrust23THRUST_200600_302600_NS6detail15normal_iteratorINSA_7pointerIiNSA_11hip_rocprim3tagENSA_11use_defaultESG_EEEEPS6_NSA_18transform_iteratorI10is_orderedNSA_12zip_iteratorINSA_5tupleINSC_INSA_10device_ptrIiEEEESQ_NSA_9null_typeESR_SR_SR_SR_SR_SR_SR_EEEESG_SG_EENS0_5tupleIJPiSJ_EEENSV_IJSJ_SJ_EEES6_PlJS6_EEE10hipError_tPvRmT3_T4_T5_T6_T7_T9_mT8_P12ihipStream_tbDpT10_ENKUlT_T0_E_clISt17integral_constantIbLb1EES1J_EEDaS1E_S1F_EUlS1E_E_NS1_11comp_targetILNS1_3genE9ELNS1_11target_archE1100ELNS1_3gpuE3ELNS1_3repE0EEENS1_30default_config_static_selectorELNS0_4arch9wavefront6targetE1EEEvT1_
                                        ; -- End function
	.section	.AMDGPU.csdata,"",@progbits
; Kernel info:
; codeLenInByte = 0
; NumSgprs: 6
; NumVgprs: 0
; NumAgprs: 0
; TotalNumVgprs: 0
; ScratchSize: 0
; MemoryBound: 0
; FloatMode: 240
; IeeeMode: 1
; LDSByteSize: 0 bytes/workgroup (compile time only)
; SGPRBlocks: 0
; VGPRBlocks: 0
; NumSGPRsForWavesPerEU: 6
; NumVGPRsForWavesPerEU: 1
; AccumOffset: 4
; Occupancy: 8
; WaveLimiterHint : 0
; COMPUTE_PGM_RSRC2:SCRATCH_EN: 0
; COMPUTE_PGM_RSRC2:USER_SGPR: 2
; COMPUTE_PGM_RSRC2:TRAP_HANDLER: 0
; COMPUTE_PGM_RSRC2:TGID_X_EN: 1
; COMPUTE_PGM_RSRC2:TGID_Y_EN: 0
; COMPUTE_PGM_RSRC2:TGID_Z_EN: 0
; COMPUTE_PGM_RSRC2:TIDIG_COMP_CNT: 0
; COMPUTE_PGM_RSRC3_GFX90A:ACCUM_OFFSET: 0
; COMPUTE_PGM_RSRC3_GFX90A:TG_SPLIT: 0
	.section	.text._ZN7rocprim17ROCPRIM_400000_NS6detail17trampoline_kernelINS0_14default_configENS1_25partition_config_selectorILNS1_17partition_subalgoE2EiNS0_10empty_typeEbEEZZNS1_14partition_implILS5_2ELb0ES3_jN6thrust23THRUST_200600_302600_NS6detail15normal_iteratorINSA_7pointerIiNSA_11hip_rocprim3tagENSA_11use_defaultESG_EEEEPS6_NSA_18transform_iteratorI10is_orderedNSA_12zip_iteratorINSA_5tupleINSC_INSA_10device_ptrIiEEEESQ_NSA_9null_typeESR_SR_SR_SR_SR_SR_SR_EEEESG_SG_EENS0_5tupleIJPiSJ_EEENSV_IJSJ_SJ_EEES6_PlJS6_EEE10hipError_tPvRmT3_T4_T5_T6_T7_T9_mT8_P12ihipStream_tbDpT10_ENKUlT_T0_E_clISt17integral_constantIbLb1EES1J_EEDaS1E_S1F_EUlS1E_E_NS1_11comp_targetILNS1_3genE8ELNS1_11target_archE1030ELNS1_3gpuE2ELNS1_3repE0EEENS1_30default_config_static_selectorELNS0_4arch9wavefront6targetE1EEEvT1_,"axG",@progbits,_ZN7rocprim17ROCPRIM_400000_NS6detail17trampoline_kernelINS0_14default_configENS1_25partition_config_selectorILNS1_17partition_subalgoE2EiNS0_10empty_typeEbEEZZNS1_14partition_implILS5_2ELb0ES3_jN6thrust23THRUST_200600_302600_NS6detail15normal_iteratorINSA_7pointerIiNSA_11hip_rocprim3tagENSA_11use_defaultESG_EEEEPS6_NSA_18transform_iteratorI10is_orderedNSA_12zip_iteratorINSA_5tupleINSC_INSA_10device_ptrIiEEEESQ_NSA_9null_typeESR_SR_SR_SR_SR_SR_SR_EEEESG_SG_EENS0_5tupleIJPiSJ_EEENSV_IJSJ_SJ_EEES6_PlJS6_EEE10hipError_tPvRmT3_T4_T5_T6_T7_T9_mT8_P12ihipStream_tbDpT10_ENKUlT_T0_E_clISt17integral_constantIbLb1EES1J_EEDaS1E_S1F_EUlS1E_E_NS1_11comp_targetILNS1_3genE8ELNS1_11target_archE1030ELNS1_3gpuE2ELNS1_3repE0EEENS1_30default_config_static_selectorELNS0_4arch9wavefront6targetE1EEEvT1_,comdat
	.protected	_ZN7rocprim17ROCPRIM_400000_NS6detail17trampoline_kernelINS0_14default_configENS1_25partition_config_selectorILNS1_17partition_subalgoE2EiNS0_10empty_typeEbEEZZNS1_14partition_implILS5_2ELb0ES3_jN6thrust23THRUST_200600_302600_NS6detail15normal_iteratorINSA_7pointerIiNSA_11hip_rocprim3tagENSA_11use_defaultESG_EEEEPS6_NSA_18transform_iteratorI10is_orderedNSA_12zip_iteratorINSA_5tupleINSC_INSA_10device_ptrIiEEEESQ_NSA_9null_typeESR_SR_SR_SR_SR_SR_SR_EEEESG_SG_EENS0_5tupleIJPiSJ_EEENSV_IJSJ_SJ_EEES6_PlJS6_EEE10hipError_tPvRmT3_T4_T5_T6_T7_T9_mT8_P12ihipStream_tbDpT10_ENKUlT_T0_E_clISt17integral_constantIbLb1EES1J_EEDaS1E_S1F_EUlS1E_E_NS1_11comp_targetILNS1_3genE8ELNS1_11target_archE1030ELNS1_3gpuE2ELNS1_3repE0EEENS1_30default_config_static_selectorELNS0_4arch9wavefront6targetE1EEEvT1_ ; -- Begin function _ZN7rocprim17ROCPRIM_400000_NS6detail17trampoline_kernelINS0_14default_configENS1_25partition_config_selectorILNS1_17partition_subalgoE2EiNS0_10empty_typeEbEEZZNS1_14partition_implILS5_2ELb0ES3_jN6thrust23THRUST_200600_302600_NS6detail15normal_iteratorINSA_7pointerIiNSA_11hip_rocprim3tagENSA_11use_defaultESG_EEEEPS6_NSA_18transform_iteratorI10is_orderedNSA_12zip_iteratorINSA_5tupleINSC_INSA_10device_ptrIiEEEESQ_NSA_9null_typeESR_SR_SR_SR_SR_SR_SR_EEEESG_SG_EENS0_5tupleIJPiSJ_EEENSV_IJSJ_SJ_EEES6_PlJS6_EEE10hipError_tPvRmT3_T4_T5_T6_T7_T9_mT8_P12ihipStream_tbDpT10_ENKUlT_T0_E_clISt17integral_constantIbLb1EES1J_EEDaS1E_S1F_EUlS1E_E_NS1_11comp_targetILNS1_3genE8ELNS1_11target_archE1030ELNS1_3gpuE2ELNS1_3repE0EEENS1_30default_config_static_selectorELNS0_4arch9wavefront6targetE1EEEvT1_
	.globl	_ZN7rocprim17ROCPRIM_400000_NS6detail17trampoline_kernelINS0_14default_configENS1_25partition_config_selectorILNS1_17partition_subalgoE2EiNS0_10empty_typeEbEEZZNS1_14partition_implILS5_2ELb0ES3_jN6thrust23THRUST_200600_302600_NS6detail15normal_iteratorINSA_7pointerIiNSA_11hip_rocprim3tagENSA_11use_defaultESG_EEEEPS6_NSA_18transform_iteratorI10is_orderedNSA_12zip_iteratorINSA_5tupleINSC_INSA_10device_ptrIiEEEESQ_NSA_9null_typeESR_SR_SR_SR_SR_SR_SR_EEEESG_SG_EENS0_5tupleIJPiSJ_EEENSV_IJSJ_SJ_EEES6_PlJS6_EEE10hipError_tPvRmT3_T4_T5_T6_T7_T9_mT8_P12ihipStream_tbDpT10_ENKUlT_T0_E_clISt17integral_constantIbLb1EES1J_EEDaS1E_S1F_EUlS1E_E_NS1_11comp_targetILNS1_3genE8ELNS1_11target_archE1030ELNS1_3gpuE2ELNS1_3repE0EEENS1_30default_config_static_selectorELNS0_4arch9wavefront6targetE1EEEvT1_
	.p2align	8
	.type	_ZN7rocprim17ROCPRIM_400000_NS6detail17trampoline_kernelINS0_14default_configENS1_25partition_config_selectorILNS1_17partition_subalgoE2EiNS0_10empty_typeEbEEZZNS1_14partition_implILS5_2ELb0ES3_jN6thrust23THRUST_200600_302600_NS6detail15normal_iteratorINSA_7pointerIiNSA_11hip_rocprim3tagENSA_11use_defaultESG_EEEEPS6_NSA_18transform_iteratorI10is_orderedNSA_12zip_iteratorINSA_5tupleINSC_INSA_10device_ptrIiEEEESQ_NSA_9null_typeESR_SR_SR_SR_SR_SR_SR_EEEESG_SG_EENS0_5tupleIJPiSJ_EEENSV_IJSJ_SJ_EEES6_PlJS6_EEE10hipError_tPvRmT3_T4_T5_T6_T7_T9_mT8_P12ihipStream_tbDpT10_ENKUlT_T0_E_clISt17integral_constantIbLb1EES1J_EEDaS1E_S1F_EUlS1E_E_NS1_11comp_targetILNS1_3genE8ELNS1_11target_archE1030ELNS1_3gpuE2ELNS1_3repE0EEENS1_30default_config_static_selectorELNS0_4arch9wavefront6targetE1EEEvT1_,@function
_ZN7rocprim17ROCPRIM_400000_NS6detail17trampoline_kernelINS0_14default_configENS1_25partition_config_selectorILNS1_17partition_subalgoE2EiNS0_10empty_typeEbEEZZNS1_14partition_implILS5_2ELb0ES3_jN6thrust23THRUST_200600_302600_NS6detail15normal_iteratorINSA_7pointerIiNSA_11hip_rocprim3tagENSA_11use_defaultESG_EEEEPS6_NSA_18transform_iteratorI10is_orderedNSA_12zip_iteratorINSA_5tupleINSC_INSA_10device_ptrIiEEEESQ_NSA_9null_typeESR_SR_SR_SR_SR_SR_SR_EEEESG_SG_EENS0_5tupleIJPiSJ_EEENSV_IJSJ_SJ_EEES6_PlJS6_EEE10hipError_tPvRmT3_T4_T5_T6_T7_T9_mT8_P12ihipStream_tbDpT10_ENKUlT_T0_E_clISt17integral_constantIbLb1EES1J_EEDaS1E_S1F_EUlS1E_E_NS1_11comp_targetILNS1_3genE8ELNS1_11target_archE1030ELNS1_3gpuE2ELNS1_3repE0EEENS1_30default_config_static_selectorELNS0_4arch9wavefront6targetE1EEEvT1_: ; @_ZN7rocprim17ROCPRIM_400000_NS6detail17trampoline_kernelINS0_14default_configENS1_25partition_config_selectorILNS1_17partition_subalgoE2EiNS0_10empty_typeEbEEZZNS1_14partition_implILS5_2ELb0ES3_jN6thrust23THRUST_200600_302600_NS6detail15normal_iteratorINSA_7pointerIiNSA_11hip_rocprim3tagENSA_11use_defaultESG_EEEEPS6_NSA_18transform_iteratorI10is_orderedNSA_12zip_iteratorINSA_5tupleINSC_INSA_10device_ptrIiEEEESQ_NSA_9null_typeESR_SR_SR_SR_SR_SR_SR_EEEESG_SG_EENS0_5tupleIJPiSJ_EEENSV_IJSJ_SJ_EEES6_PlJS6_EEE10hipError_tPvRmT3_T4_T5_T6_T7_T9_mT8_P12ihipStream_tbDpT10_ENKUlT_T0_E_clISt17integral_constantIbLb1EES1J_EEDaS1E_S1F_EUlS1E_E_NS1_11comp_targetILNS1_3genE8ELNS1_11target_archE1030ELNS1_3gpuE2ELNS1_3repE0EEENS1_30default_config_static_selectorELNS0_4arch9wavefront6targetE1EEEvT1_
; %bb.0:
	.section	.rodata,"a",@progbits
	.p2align	6, 0x0
	.amdhsa_kernel _ZN7rocprim17ROCPRIM_400000_NS6detail17trampoline_kernelINS0_14default_configENS1_25partition_config_selectorILNS1_17partition_subalgoE2EiNS0_10empty_typeEbEEZZNS1_14partition_implILS5_2ELb0ES3_jN6thrust23THRUST_200600_302600_NS6detail15normal_iteratorINSA_7pointerIiNSA_11hip_rocprim3tagENSA_11use_defaultESG_EEEEPS6_NSA_18transform_iteratorI10is_orderedNSA_12zip_iteratorINSA_5tupleINSC_INSA_10device_ptrIiEEEESQ_NSA_9null_typeESR_SR_SR_SR_SR_SR_SR_EEEESG_SG_EENS0_5tupleIJPiSJ_EEENSV_IJSJ_SJ_EEES6_PlJS6_EEE10hipError_tPvRmT3_T4_T5_T6_T7_T9_mT8_P12ihipStream_tbDpT10_ENKUlT_T0_E_clISt17integral_constantIbLb1EES1J_EEDaS1E_S1F_EUlS1E_E_NS1_11comp_targetILNS1_3genE8ELNS1_11target_archE1030ELNS1_3gpuE2ELNS1_3repE0EEENS1_30default_config_static_selectorELNS0_4arch9wavefront6targetE1EEEvT1_
		.amdhsa_group_segment_fixed_size 0
		.amdhsa_private_segment_fixed_size 0
		.amdhsa_kernarg_size 152
		.amdhsa_user_sgpr_count 2
		.amdhsa_user_sgpr_dispatch_ptr 0
		.amdhsa_user_sgpr_queue_ptr 0
		.amdhsa_user_sgpr_kernarg_segment_ptr 1
		.amdhsa_user_sgpr_dispatch_id 0
		.amdhsa_user_sgpr_kernarg_preload_length 0
		.amdhsa_user_sgpr_kernarg_preload_offset 0
		.amdhsa_user_sgpr_private_segment_size 0
		.amdhsa_uses_dynamic_stack 0
		.amdhsa_enable_private_segment 0
		.amdhsa_system_sgpr_workgroup_id_x 1
		.amdhsa_system_sgpr_workgroup_id_y 0
		.amdhsa_system_sgpr_workgroup_id_z 0
		.amdhsa_system_sgpr_workgroup_info 0
		.amdhsa_system_vgpr_workitem_id 0
		.amdhsa_next_free_vgpr 1
		.amdhsa_next_free_sgpr 0
		.amdhsa_accum_offset 4
		.amdhsa_reserve_vcc 0
		.amdhsa_float_round_mode_32 0
		.amdhsa_float_round_mode_16_64 0
		.amdhsa_float_denorm_mode_32 3
		.amdhsa_float_denorm_mode_16_64 3
		.amdhsa_dx10_clamp 1
		.amdhsa_ieee_mode 1
		.amdhsa_fp16_overflow 0
		.amdhsa_tg_split 0
		.amdhsa_exception_fp_ieee_invalid_op 0
		.amdhsa_exception_fp_denorm_src 0
		.amdhsa_exception_fp_ieee_div_zero 0
		.amdhsa_exception_fp_ieee_overflow 0
		.amdhsa_exception_fp_ieee_underflow 0
		.amdhsa_exception_fp_ieee_inexact 0
		.amdhsa_exception_int_div_zero 0
	.end_amdhsa_kernel
	.section	.text._ZN7rocprim17ROCPRIM_400000_NS6detail17trampoline_kernelINS0_14default_configENS1_25partition_config_selectorILNS1_17partition_subalgoE2EiNS0_10empty_typeEbEEZZNS1_14partition_implILS5_2ELb0ES3_jN6thrust23THRUST_200600_302600_NS6detail15normal_iteratorINSA_7pointerIiNSA_11hip_rocprim3tagENSA_11use_defaultESG_EEEEPS6_NSA_18transform_iteratorI10is_orderedNSA_12zip_iteratorINSA_5tupleINSC_INSA_10device_ptrIiEEEESQ_NSA_9null_typeESR_SR_SR_SR_SR_SR_SR_EEEESG_SG_EENS0_5tupleIJPiSJ_EEENSV_IJSJ_SJ_EEES6_PlJS6_EEE10hipError_tPvRmT3_T4_T5_T6_T7_T9_mT8_P12ihipStream_tbDpT10_ENKUlT_T0_E_clISt17integral_constantIbLb1EES1J_EEDaS1E_S1F_EUlS1E_E_NS1_11comp_targetILNS1_3genE8ELNS1_11target_archE1030ELNS1_3gpuE2ELNS1_3repE0EEENS1_30default_config_static_selectorELNS0_4arch9wavefront6targetE1EEEvT1_,"axG",@progbits,_ZN7rocprim17ROCPRIM_400000_NS6detail17trampoline_kernelINS0_14default_configENS1_25partition_config_selectorILNS1_17partition_subalgoE2EiNS0_10empty_typeEbEEZZNS1_14partition_implILS5_2ELb0ES3_jN6thrust23THRUST_200600_302600_NS6detail15normal_iteratorINSA_7pointerIiNSA_11hip_rocprim3tagENSA_11use_defaultESG_EEEEPS6_NSA_18transform_iteratorI10is_orderedNSA_12zip_iteratorINSA_5tupleINSC_INSA_10device_ptrIiEEEESQ_NSA_9null_typeESR_SR_SR_SR_SR_SR_SR_EEEESG_SG_EENS0_5tupleIJPiSJ_EEENSV_IJSJ_SJ_EEES6_PlJS6_EEE10hipError_tPvRmT3_T4_T5_T6_T7_T9_mT8_P12ihipStream_tbDpT10_ENKUlT_T0_E_clISt17integral_constantIbLb1EES1J_EEDaS1E_S1F_EUlS1E_E_NS1_11comp_targetILNS1_3genE8ELNS1_11target_archE1030ELNS1_3gpuE2ELNS1_3repE0EEENS1_30default_config_static_selectorELNS0_4arch9wavefront6targetE1EEEvT1_,comdat
.Lfunc_end3609:
	.size	_ZN7rocprim17ROCPRIM_400000_NS6detail17trampoline_kernelINS0_14default_configENS1_25partition_config_selectorILNS1_17partition_subalgoE2EiNS0_10empty_typeEbEEZZNS1_14partition_implILS5_2ELb0ES3_jN6thrust23THRUST_200600_302600_NS6detail15normal_iteratorINSA_7pointerIiNSA_11hip_rocprim3tagENSA_11use_defaultESG_EEEEPS6_NSA_18transform_iteratorI10is_orderedNSA_12zip_iteratorINSA_5tupleINSC_INSA_10device_ptrIiEEEESQ_NSA_9null_typeESR_SR_SR_SR_SR_SR_SR_EEEESG_SG_EENS0_5tupleIJPiSJ_EEENSV_IJSJ_SJ_EEES6_PlJS6_EEE10hipError_tPvRmT3_T4_T5_T6_T7_T9_mT8_P12ihipStream_tbDpT10_ENKUlT_T0_E_clISt17integral_constantIbLb1EES1J_EEDaS1E_S1F_EUlS1E_E_NS1_11comp_targetILNS1_3genE8ELNS1_11target_archE1030ELNS1_3gpuE2ELNS1_3repE0EEENS1_30default_config_static_selectorELNS0_4arch9wavefront6targetE1EEEvT1_, .Lfunc_end3609-_ZN7rocprim17ROCPRIM_400000_NS6detail17trampoline_kernelINS0_14default_configENS1_25partition_config_selectorILNS1_17partition_subalgoE2EiNS0_10empty_typeEbEEZZNS1_14partition_implILS5_2ELb0ES3_jN6thrust23THRUST_200600_302600_NS6detail15normal_iteratorINSA_7pointerIiNSA_11hip_rocprim3tagENSA_11use_defaultESG_EEEEPS6_NSA_18transform_iteratorI10is_orderedNSA_12zip_iteratorINSA_5tupleINSC_INSA_10device_ptrIiEEEESQ_NSA_9null_typeESR_SR_SR_SR_SR_SR_SR_EEEESG_SG_EENS0_5tupleIJPiSJ_EEENSV_IJSJ_SJ_EEES6_PlJS6_EEE10hipError_tPvRmT3_T4_T5_T6_T7_T9_mT8_P12ihipStream_tbDpT10_ENKUlT_T0_E_clISt17integral_constantIbLb1EES1J_EEDaS1E_S1F_EUlS1E_E_NS1_11comp_targetILNS1_3genE8ELNS1_11target_archE1030ELNS1_3gpuE2ELNS1_3repE0EEENS1_30default_config_static_selectorELNS0_4arch9wavefront6targetE1EEEvT1_
                                        ; -- End function
	.section	.AMDGPU.csdata,"",@progbits
; Kernel info:
; codeLenInByte = 0
; NumSgprs: 6
; NumVgprs: 0
; NumAgprs: 0
; TotalNumVgprs: 0
; ScratchSize: 0
; MemoryBound: 0
; FloatMode: 240
; IeeeMode: 1
; LDSByteSize: 0 bytes/workgroup (compile time only)
; SGPRBlocks: 0
; VGPRBlocks: 0
; NumSGPRsForWavesPerEU: 6
; NumVGPRsForWavesPerEU: 1
; AccumOffset: 4
; Occupancy: 8
; WaveLimiterHint : 0
; COMPUTE_PGM_RSRC2:SCRATCH_EN: 0
; COMPUTE_PGM_RSRC2:USER_SGPR: 2
; COMPUTE_PGM_RSRC2:TRAP_HANDLER: 0
; COMPUTE_PGM_RSRC2:TGID_X_EN: 1
; COMPUTE_PGM_RSRC2:TGID_Y_EN: 0
; COMPUTE_PGM_RSRC2:TGID_Z_EN: 0
; COMPUTE_PGM_RSRC2:TIDIG_COMP_CNT: 0
; COMPUTE_PGM_RSRC3_GFX90A:ACCUM_OFFSET: 0
; COMPUTE_PGM_RSRC3_GFX90A:TG_SPLIT: 0
	.section	.text._ZN7rocprim17ROCPRIM_400000_NS6detail17trampoline_kernelINS0_14default_configENS1_25partition_config_selectorILNS1_17partition_subalgoE2EiNS0_10empty_typeEbEEZZNS1_14partition_implILS5_2ELb0ES3_jN6thrust23THRUST_200600_302600_NS6detail15normal_iteratorINSA_7pointerIiNSA_11hip_rocprim3tagENSA_11use_defaultESG_EEEEPS6_NSA_18transform_iteratorI10is_orderedNSA_12zip_iteratorINSA_5tupleINSC_INSA_10device_ptrIiEEEESQ_NSA_9null_typeESR_SR_SR_SR_SR_SR_SR_EEEESG_SG_EENS0_5tupleIJPiSJ_EEENSV_IJSJ_SJ_EEES6_PlJS6_EEE10hipError_tPvRmT3_T4_T5_T6_T7_T9_mT8_P12ihipStream_tbDpT10_ENKUlT_T0_E_clISt17integral_constantIbLb1EES1I_IbLb0EEEEDaS1E_S1F_EUlS1E_E_NS1_11comp_targetILNS1_3genE0ELNS1_11target_archE4294967295ELNS1_3gpuE0ELNS1_3repE0EEENS1_30default_config_static_selectorELNS0_4arch9wavefront6targetE1EEEvT1_,"axG",@progbits,_ZN7rocprim17ROCPRIM_400000_NS6detail17trampoline_kernelINS0_14default_configENS1_25partition_config_selectorILNS1_17partition_subalgoE2EiNS0_10empty_typeEbEEZZNS1_14partition_implILS5_2ELb0ES3_jN6thrust23THRUST_200600_302600_NS6detail15normal_iteratorINSA_7pointerIiNSA_11hip_rocprim3tagENSA_11use_defaultESG_EEEEPS6_NSA_18transform_iteratorI10is_orderedNSA_12zip_iteratorINSA_5tupleINSC_INSA_10device_ptrIiEEEESQ_NSA_9null_typeESR_SR_SR_SR_SR_SR_SR_EEEESG_SG_EENS0_5tupleIJPiSJ_EEENSV_IJSJ_SJ_EEES6_PlJS6_EEE10hipError_tPvRmT3_T4_T5_T6_T7_T9_mT8_P12ihipStream_tbDpT10_ENKUlT_T0_E_clISt17integral_constantIbLb1EES1I_IbLb0EEEEDaS1E_S1F_EUlS1E_E_NS1_11comp_targetILNS1_3genE0ELNS1_11target_archE4294967295ELNS1_3gpuE0ELNS1_3repE0EEENS1_30default_config_static_selectorELNS0_4arch9wavefront6targetE1EEEvT1_,comdat
	.protected	_ZN7rocprim17ROCPRIM_400000_NS6detail17trampoline_kernelINS0_14default_configENS1_25partition_config_selectorILNS1_17partition_subalgoE2EiNS0_10empty_typeEbEEZZNS1_14partition_implILS5_2ELb0ES3_jN6thrust23THRUST_200600_302600_NS6detail15normal_iteratorINSA_7pointerIiNSA_11hip_rocprim3tagENSA_11use_defaultESG_EEEEPS6_NSA_18transform_iteratorI10is_orderedNSA_12zip_iteratorINSA_5tupleINSC_INSA_10device_ptrIiEEEESQ_NSA_9null_typeESR_SR_SR_SR_SR_SR_SR_EEEESG_SG_EENS0_5tupleIJPiSJ_EEENSV_IJSJ_SJ_EEES6_PlJS6_EEE10hipError_tPvRmT3_T4_T5_T6_T7_T9_mT8_P12ihipStream_tbDpT10_ENKUlT_T0_E_clISt17integral_constantIbLb1EES1I_IbLb0EEEEDaS1E_S1F_EUlS1E_E_NS1_11comp_targetILNS1_3genE0ELNS1_11target_archE4294967295ELNS1_3gpuE0ELNS1_3repE0EEENS1_30default_config_static_selectorELNS0_4arch9wavefront6targetE1EEEvT1_ ; -- Begin function _ZN7rocprim17ROCPRIM_400000_NS6detail17trampoline_kernelINS0_14default_configENS1_25partition_config_selectorILNS1_17partition_subalgoE2EiNS0_10empty_typeEbEEZZNS1_14partition_implILS5_2ELb0ES3_jN6thrust23THRUST_200600_302600_NS6detail15normal_iteratorINSA_7pointerIiNSA_11hip_rocprim3tagENSA_11use_defaultESG_EEEEPS6_NSA_18transform_iteratorI10is_orderedNSA_12zip_iteratorINSA_5tupleINSC_INSA_10device_ptrIiEEEESQ_NSA_9null_typeESR_SR_SR_SR_SR_SR_SR_EEEESG_SG_EENS0_5tupleIJPiSJ_EEENSV_IJSJ_SJ_EEES6_PlJS6_EEE10hipError_tPvRmT3_T4_T5_T6_T7_T9_mT8_P12ihipStream_tbDpT10_ENKUlT_T0_E_clISt17integral_constantIbLb1EES1I_IbLb0EEEEDaS1E_S1F_EUlS1E_E_NS1_11comp_targetILNS1_3genE0ELNS1_11target_archE4294967295ELNS1_3gpuE0ELNS1_3repE0EEENS1_30default_config_static_selectorELNS0_4arch9wavefront6targetE1EEEvT1_
	.globl	_ZN7rocprim17ROCPRIM_400000_NS6detail17trampoline_kernelINS0_14default_configENS1_25partition_config_selectorILNS1_17partition_subalgoE2EiNS0_10empty_typeEbEEZZNS1_14partition_implILS5_2ELb0ES3_jN6thrust23THRUST_200600_302600_NS6detail15normal_iteratorINSA_7pointerIiNSA_11hip_rocprim3tagENSA_11use_defaultESG_EEEEPS6_NSA_18transform_iteratorI10is_orderedNSA_12zip_iteratorINSA_5tupleINSC_INSA_10device_ptrIiEEEESQ_NSA_9null_typeESR_SR_SR_SR_SR_SR_SR_EEEESG_SG_EENS0_5tupleIJPiSJ_EEENSV_IJSJ_SJ_EEES6_PlJS6_EEE10hipError_tPvRmT3_T4_T5_T6_T7_T9_mT8_P12ihipStream_tbDpT10_ENKUlT_T0_E_clISt17integral_constantIbLb1EES1I_IbLb0EEEEDaS1E_S1F_EUlS1E_E_NS1_11comp_targetILNS1_3genE0ELNS1_11target_archE4294967295ELNS1_3gpuE0ELNS1_3repE0EEENS1_30default_config_static_selectorELNS0_4arch9wavefront6targetE1EEEvT1_
	.p2align	8
	.type	_ZN7rocprim17ROCPRIM_400000_NS6detail17trampoline_kernelINS0_14default_configENS1_25partition_config_selectorILNS1_17partition_subalgoE2EiNS0_10empty_typeEbEEZZNS1_14partition_implILS5_2ELb0ES3_jN6thrust23THRUST_200600_302600_NS6detail15normal_iteratorINSA_7pointerIiNSA_11hip_rocprim3tagENSA_11use_defaultESG_EEEEPS6_NSA_18transform_iteratorI10is_orderedNSA_12zip_iteratorINSA_5tupleINSC_INSA_10device_ptrIiEEEESQ_NSA_9null_typeESR_SR_SR_SR_SR_SR_SR_EEEESG_SG_EENS0_5tupleIJPiSJ_EEENSV_IJSJ_SJ_EEES6_PlJS6_EEE10hipError_tPvRmT3_T4_T5_T6_T7_T9_mT8_P12ihipStream_tbDpT10_ENKUlT_T0_E_clISt17integral_constantIbLb1EES1I_IbLb0EEEEDaS1E_S1F_EUlS1E_E_NS1_11comp_targetILNS1_3genE0ELNS1_11target_archE4294967295ELNS1_3gpuE0ELNS1_3repE0EEENS1_30default_config_static_selectorELNS0_4arch9wavefront6targetE1EEEvT1_,@function
_ZN7rocprim17ROCPRIM_400000_NS6detail17trampoline_kernelINS0_14default_configENS1_25partition_config_selectorILNS1_17partition_subalgoE2EiNS0_10empty_typeEbEEZZNS1_14partition_implILS5_2ELb0ES3_jN6thrust23THRUST_200600_302600_NS6detail15normal_iteratorINSA_7pointerIiNSA_11hip_rocprim3tagENSA_11use_defaultESG_EEEEPS6_NSA_18transform_iteratorI10is_orderedNSA_12zip_iteratorINSA_5tupleINSC_INSA_10device_ptrIiEEEESQ_NSA_9null_typeESR_SR_SR_SR_SR_SR_SR_EEEESG_SG_EENS0_5tupleIJPiSJ_EEENSV_IJSJ_SJ_EEES6_PlJS6_EEE10hipError_tPvRmT3_T4_T5_T6_T7_T9_mT8_P12ihipStream_tbDpT10_ENKUlT_T0_E_clISt17integral_constantIbLb1EES1I_IbLb0EEEEDaS1E_S1F_EUlS1E_E_NS1_11comp_targetILNS1_3genE0ELNS1_11target_archE4294967295ELNS1_3gpuE0ELNS1_3repE0EEENS1_30default_config_static_selectorELNS0_4arch9wavefront6targetE1EEEvT1_: ; @_ZN7rocprim17ROCPRIM_400000_NS6detail17trampoline_kernelINS0_14default_configENS1_25partition_config_selectorILNS1_17partition_subalgoE2EiNS0_10empty_typeEbEEZZNS1_14partition_implILS5_2ELb0ES3_jN6thrust23THRUST_200600_302600_NS6detail15normal_iteratorINSA_7pointerIiNSA_11hip_rocprim3tagENSA_11use_defaultESG_EEEEPS6_NSA_18transform_iteratorI10is_orderedNSA_12zip_iteratorINSA_5tupleINSC_INSA_10device_ptrIiEEEESQ_NSA_9null_typeESR_SR_SR_SR_SR_SR_SR_EEEESG_SG_EENS0_5tupleIJPiSJ_EEENSV_IJSJ_SJ_EEES6_PlJS6_EEE10hipError_tPvRmT3_T4_T5_T6_T7_T9_mT8_P12ihipStream_tbDpT10_ENKUlT_T0_E_clISt17integral_constantIbLb1EES1I_IbLb0EEEEDaS1E_S1F_EUlS1E_E_NS1_11comp_targetILNS1_3genE0ELNS1_11target_archE4294967295ELNS1_3gpuE0ELNS1_3repE0EEENS1_30default_config_static_selectorELNS0_4arch9wavefront6targetE1EEEvT1_
; %bb.0:
	.section	.rodata,"a",@progbits
	.p2align	6, 0x0
	.amdhsa_kernel _ZN7rocprim17ROCPRIM_400000_NS6detail17trampoline_kernelINS0_14default_configENS1_25partition_config_selectorILNS1_17partition_subalgoE2EiNS0_10empty_typeEbEEZZNS1_14partition_implILS5_2ELb0ES3_jN6thrust23THRUST_200600_302600_NS6detail15normal_iteratorINSA_7pointerIiNSA_11hip_rocprim3tagENSA_11use_defaultESG_EEEEPS6_NSA_18transform_iteratorI10is_orderedNSA_12zip_iteratorINSA_5tupleINSC_INSA_10device_ptrIiEEEESQ_NSA_9null_typeESR_SR_SR_SR_SR_SR_SR_EEEESG_SG_EENS0_5tupleIJPiSJ_EEENSV_IJSJ_SJ_EEES6_PlJS6_EEE10hipError_tPvRmT3_T4_T5_T6_T7_T9_mT8_P12ihipStream_tbDpT10_ENKUlT_T0_E_clISt17integral_constantIbLb1EES1I_IbLb0EEEEDaS1E_S1F_EUlS1E_E_NS1_11comp_targetILNS1_3genE0ELNS1_11target_archE4294967295ELNS1_3gpuE0ELNS1_3repE0EEENS1_30default_config_static_selectorELNS0_4arch9wavefront6targetE1EEEvT1_
		.amdhsa_group_segment_fixed_size 0
		.amdhsa_private_segment_fixed_size 0
		.amdhsa_kernarg_size 136
		.amdhsa_user_sgpr_count 2
		.amdhsa_user_sgpr_dispatch_ptr 0
		.amdhsa_user_sgpr_queue_ptr 0
		.amdhsa_user_sgpr_kernarg_segment_ptr 1
		.amdhsa_user_sgpr_dispatch_id 0
		.amdhsa_user_sgpr_kernarg_preload_length 0
		.amdhsa_user_sgpr_kernarg_preload_offset 0
		.amdhsa_user_sgpr_private_segment_size 0
		.amdhsa_uses_dynamic_stack 0
		.amdhsa_enable_private_segment 0
		.amdhsa_system_sgpr_workgroup_id_x 1
		.amdhsa_system_sgpr_workgroup_id_y 0
		.amdhsa_system_sgpr_workgroup_id_z 0
		.amdhsa_system_sgpr_workgroup_info 0
		.amdhsa_system_vgpr_workitem_id 0
		.amdhsa_next_free_vgpr 1
		.amdhsa_next_free_sgpr 0
		.amdhsa_accum_offset 4
		.amdhsa_reserve_vcc 0
		.amdhsa_float_round_mode_32 0
		.amdhsa_float_round_mode_16_64 0
		.amdhsa_float_denorm_mode_32 3
		.amdhsa_float_denorm_mode_16_64 3
		.amdhsa_dx10_clamp 1
		.amdhsa_ieee_mode 1
		.amdhsa_fp16_overflow 0
		.amdhsa_tg_split 0
		.amdhsa_exception_fp_ieee_invalid_op 0
		.amdhsa_exception_fp_denorm_src 0
		.amdhsa_exception_fp_ieee_div_zero 0
		.amdhsa_exception_fp_ieee_overflow 0
		.amdhsa_exception_fp_ieee_underflow 0
		.amdhsa_exception_fp_ieee_inexact 0
		.amdhsa_exception_int_div_zero 0
	.end_amdhsa_kernel
	.section	.text._ZN7rocprim17ROCPRIM_400000_NS6detail17trampoline_kernelINS0_14default_configENS1_25partition_config_selectorILNS1_17partition_subalgoE2EiNS0_10empty_typeEbEEZZNS1_14partition_implILS5_2ELb0ES3_jN6thrust23THRUST_200600_302600_NS6detail15normal_iteratorINSA_7pointerIiNSA_11hip_rocprim3tagENSA_11use_defaultESG_EEEEPS6_NSA_18transform_iteratorI10is_orderedNSA_12zip_iteratorINSA_5tupleINSC_INSA_10device_ptrIiEEEESQ_NSA_9null_typeESR_SR_SR_SR_SR_SR_SR_EEEESG_SG_EENS0_5tupleIJPiSJ_EEENSV_IJSJ_SJ_EEES6_PlJS6_EEE10hipError_tPvRmT3_T4_T5_T6_T7_T9_mT8_P12ihipStream_tbDpT10_ENKUlT_T0_E_clISt17integral_constantIbLb1EES1I_IbLb0EEEEDaS1E_S1F_EUlS1E_E_NS1_11comp_targetILNS1_3genE0ELNS1_11target_archE4294967295ELNS1_3gpuE0ELNS1_3repE0EEENS1_30default_config_static_selectorELNS0_4arch9wavefront6targetE1EEEvT1_,"axG",@progbits,_ZN7rocprim17ROCPRIM_400000_NS6detail17trampoline_kernelINS0_14default_configENS1_25partition_config_selectorILNS1_17partition_subalgoE2EiNS0_10empty_typeEbEEZZNS1_14partition_implILS5_2ELb0ES3_jN6thrust23THRUST_200600_302600_NS6detail15normal_iteratorINSA_7pointerIiNSA_11hip_rocprim3tagENSA_11use_defaultESG_EEEEPS6_NSA_18transform_iteratorI10is_orderedNSA_12zip_iteratorINSA_5tupleINSC_INSA_10device_ptrIiEEEESQ_NSA_9null_typeESR_SR_SR_SR_SR_SR_SR_EEEESG_SG_EENS0_5tupleIJPiSJ_EEENSV_IJSJ_SJ_EEES6_PlJS6_EEE10hipError_tPvRmT3_T4_T5_T6_T7_T9_mT8_P12ihipStream_tbDpT10_ENKUlT_T0_E_clISt17integral_constantIbLb1EES1I_IbLb0EEEEDaS1E_S1F_EUlS1E_E_NS1_11comp_targetILNS1_3genE0ELNS1_11target_archE4294967295ELNS1_3gpuE0ELNS1_3repE0EEENS1_30default_config_static_selectorELNS0_4arch9wavefront6targetE1EEEvT1_,comdat
.Lfunc_end3610:
	.size	_ZN7rocprim17ROCPRIM_400000_NS6detail17trampoline_kernelINS0_14default_configENS1_25partition_config_selectorILNS1_17partition_subalgoE2EiNS0_10empty_typeEbEEZZNS1_14partition_implILS5_2ELb0ES3_jN6thrust23THRUST_200600_302600_NS6detail15normal_iteratorINSA_7pointerIiNSA_11hip_rocprim3tagENSA_11use_defaultESG_EEEEPS6_NSA_18transform_iteratorI10is_orderedNSA_12zip_iteratorINSA_5tupleINSC_INSA_10device_ptrIiEEEESQ_NSA_9null_typeESR_SR_SR_SR_SR_SR_SR_EEEESG_SG_EENS0_5tupleIJPiSJ_EEENSV_IJSJ_SJ_EEES6_PlJS6_EEE10hipError_tPvRmT3_T4_T5_T6_T7_T9_mT8_P12ihipStream_tbDpT10_ENKUlT_T0_E_clISt17integral_constantIbLb1EES1I_IbLb0EEEEDaS1E_S1F_EUlS1E_E_NS1_11comp_targetILNS1_3genE0ELNS1_11target_archE4294967295ELNS1_3gpuE0ELNS1_3repE0EEENS1_30default_config_static_selectorELNS0_4arch9wavefront6targetE1EEEvT1_, .Lfunc_end3610-_ZN7rocprim17ROCPRIM_400000_NS6detail17trampoline_kernelINS0_14default_configENS1_25partition_config_selectorILNS1_17partition_subalgoE2EiNS0_10empty_typeEbEEZZNS1_14partition_implILS5_2ELb0ES3_jN6thrust23THRUST_200600_302600_NS6detail15normal_iteratorINSA_7pointerIiNSA_11hip_rocprim3tagENSA_11use_defaultESG_EEEEPS6_NSA_18transform_iteratorI10is_orderedNSA_12zip_iteratorINSA_5tupleINSC_INSA_10device_ptrIiEEEESQ_NSA_9null_typeESR_SR_SR_SR_SR_SR_SR_EEEESG_SG_EENS0_5tupleIJPiSJ_EEENSV_IJSJ_SJ_EEES6_PlJS6_EEE10hipError_tPvRmT3_T4_T5_T6_T7_T9_mT8_P12ihipStream_tbDpT10_ENKUlT_T0_E_clISt17integral_constantIbLb1EES1I_IbLb0EEEEDaS1E_S1F_EUlS1E_E_NS1_11comp_targetILNS1_3genE0ELNS1_11target_archE4294967295ELNS1_3gpuE0ELNS1_3repE0EEENS1_30default_config_static_selectorELNS0_4arch9wavefront6targetE1EEEvT1_
                                        ; -- End function
	.section	.AMDGPU.csdata,"",@progbits
; Kernel info:
; codeLenInByte = 0
; NumSgprs: 6
; NumVgprs: 0
; NumAgprs: 0
; TotalNumVgprs: 0
; ScratchSize: 0
; MemoryBound: 0
; FloatMode: 240
; IeeeMode: 1
; LDSByteSize: 0 bytes/workgroup (compile time only)
; SGPRBlocks: 0
; VGPRBlocks: 0
; NumSGPRsForWavesPerEU: 6
; NumVGPRsForWavesPerEU: 1
; AccumOffset: 4
; Occupancy: 8
; WaveLimiterHint : 0
; COMPUTE_PGM_RSRC2:SCRATCH_EN: 0
; COMPUTE_PGM_RSRC2:USER_SGPR: 2
; COMPUTE_PGM_RSRC2:TRAP_HANDLER: 0
; COMPUTE_PGM_RSRC2:TGID_X_EN: 1
; COMPUTE_PGM_RSRC2:TGID_Y_EN: 0
; COMPUTE_PGM_RSRC2:TGID_Z_EN: 0
; COMPUTE_PGM_RSRC2:TIDIG_COMP_CNT: 0
; COMPUTE_PGM_RSRC3_GFX90A:ACCUM_OFFSET: 0
; COMPUTE_PGM_RSRC3_GFX90A:TG_SPLIT: 0
	.section	.text._ZN7rocprim17ROCPRIM_400000_NS6detail17trampoline_kernelINS0_14default_configENS1_25partition_config_selectorILNS1_17partition_subalgoE2EiNS0_10empty_typeEbEEZZNS1_14partition_implILS5_2ELb0ES3_jN6thrust23THRUST_200600_302600_NS6detail15normal_iteratorINSA_7pointerIiNSA_11hip_rocprim3tagENSA_11use_defaultESG_EEEEPS6_NSA_18transform_iteratorI10is_orderedNSA_12zip_iteratorINSA_5tupleINSC_INSA_10device_ptrIiEEEESQ_NSA_9null_typeESR_SR_SR_SR_SR_SR_SR_EEEESG_SG_EENS0_5tupleIJPiSJ_EEENSV_IJSJ_SJ_EEES6_PlJS6_EEE10hipError_tPvRmT3_T4_T5_T6_T7_T9_mT8_P12ihipStream_tbDpT10_ENKUlT_T0_E_clISt17integral_constantIbLb1EES1I_IbLb0EEEEDaS1E_S1F_EUlS1E_E_NS1_11comp_targetILNS1_3genE5ELNS1_11target_archE942ELNS1_3gpuE9ELNS1_3repE0EEENS1_30default_config_static_selectorELNS0_4arch9wavefront6targetE1EEEvT1_,"axG",@progbits,_ZN7rocprim17ROCPRIM_400000_NS6detail17trampoline_kernelINS0_14default_configENS1_25partition_config_selectorILNS1_17partition_subalgoE2EiNS0_10empty_typeEbEEZZNS1_14partition_implILS5_2ELb0ES3_jN6thrust23THRUST_200600_302600_NS6detail15normal_iteratorINSA_7pointerIiNSA_11hip_rocprim3tagENSA_11use_defaultESG_EEEEPS6_NSA_18transform_iteratorI10is_orderedNSA_12zip_iteratorINSA_5tupleINSC_INSA_10device_ptrIiEEEESQ_NSA_9null_typeESR_SR_SR_SR_SR_SR_SR_EEEESG_SG_EENS0_5tupleIJPiSJ_EEENSV_IJSJ_SJ_EEES6_PlJS6_EEE10hipError_tPvRmT3_T4_T5_T6_T7_T9_mT8_P12ihipStream_tbDpT10_ENKUlT_T0_E_clISt17integral_constantIbLb1EES1I_IbLb0EEEEDaS1E_S1F_EUlS1E_E_NS1_11comp_targetILNS1_3genE5ELNS1_11target_archE942ELNS1_3gpuE9ELNS1_3repE0EEENS1_30default_config_static_selectorELNS0_4arch9wavefront6targetE1EEEvT1_,comdat
	.protected	_ZN7rocprim17ROCPRIM_400000_NS6detail17trampoline_kernelINS0_14default_configENS1_25partition_config_selectorILNS1_17partition_subalgoE2EiNS0_10empty_typeEbEEZZNS1_14partition_implILS5_2ELb0ES3_jN6thrust23THRUST_200600_302600_NS6detail15normal_iteratorINSA_7pointerIiNSA_11hip_rocprim3tagENSA_11use_defaultESG_EEEEPS6_NSA_18transform_iteratorI10is_orderedNSA_12zip_iteratorINSA_5tupleINSC_INSA_10device_ptrIiEEEESQ_NSA_9null_typeESR_SR_SR_SR_SR_SR_SR_EEEESG_SG_EENS0_5tupleIJPiSJ_EEENSV_IJSJ_SJ_EEES6_PlJS6_EEE10hipError_tPvRmT3_T4_T5_T6_T7_T9_mT8_P12ihipStream_tbDpT10_ENKUlT_T0_E_clISt17integral_constantIbLb1EES1I_IbLb0EEEEDaS1E_S1F_EUlS1E_E_NS1_11comp_targetILNS1_3genE5ELNS1_11target_archE942ELNS1_3gpuE9ELNS1_3repE0EEENS1_30default_config_static_selectorELNS0_4arch9wavefront6targetE1EEEvT1_ ; -- Begin function _ZN7rocprim17ROCPRIM_400000_NS6detail17trampoline_kernelINS0_14default_configENS1_25partition_config_selectorILNS1_17partition_subalgoE2EiNS0_10empty_typeEbEEZZNS1_14partition_implILS5_2ELb0ES3_jN6thrust23THRUST_200600_302600_NS6detail15normal_iteratorINSA_7pointerIiNSA_11hip_rocprim3tagENSA_11use_defaultESG_EEEEPS6_NSA_18transform_iteratorI10is_orderedNSA_12zip_iteratorINSA_5tupleINSC_INSA_10device_ptrIiEEEESQ_NSA_9null_typeESR_SR_SR_SR_SR_SR_SR_EEEESG_SG_EENS0_5tupleIJPiSJ_EEENSV_IJSJ_SJ_EEES6_PlJS6_EEE10hipError_tPvRmT3_T4_T5_T6_T7_T9_mT8_P12ihipStream_tbDpT10_ENKUlT_T0_E_clISt17integral_constantIbLb1EES1I_IbLb0EEEEDaS1E_S1F_EUlS1E_E_NS1_11comp_targetILNS1_3genE5ELNS1_11target_archE942ELNS1_3gpuE9ELNS1_3repE0EEENS1_30default_config_static_selectorELNS0_4arch9wavefront6targetE1EEEvT1_
	.globl	_ZN7rocprim17ROCPRIM_400000_NS6detail17trampoline_kernelINS0_14default_configENS1_25partition_config_selectorILNS1_17partition_subalgoE2EiNS0_10empty_typeEbEEZZNS1_14partition_implILS5_2ELb0ES3_jN6thrust23THRUST_200600_302600_NS6detail15normal_iteratorINSA_7pointerIiNSA_11hip_rocprim3tagENSA_11use_defaultESG_EEEEPS6_NSA_18transform_iteratorI10is_orderedNSA_12zip_iteratorINSA_5tupleINSC_INSA_10device_ptrIiEEEESQ_NSA_9null_typeESR_SR_SR_SR_SR_SR_SR_EEEESG_SG_EENS0_5tupleIJPiSJ_EEENSV_IJSJ_SJ_EEES6_PlJS6_EEE10hipError_tPvRmT3_T4_T5_T6_T7_T9_mT8_P12ihipStream_tbDpT10_ENKUlT_T0_E_clISt17integral_constantIbLb1EES1I_IbLb0EEEEDaS1E_S1F_EUlS1E_E_NS1_11comp_targetILNS1_3genE5ELNS1_11target_archE942ELNS1_3gpuE9ELNS1_3repE0EEENS1_30default_config_static_selectorELNS0_4arch9wavefront6targetE1EEEvT1_
	.p2align	8
	.type	_ZN7rocprim17ROCPRIM_400000_NS6detail17trampoline_kernelINS0_14default_configENS1_25partition_config_selectorILNS1_17partition_subalgoE2EiNS0_10empty_typeEbEEZZNS1_14partition_implILS5_2ELb0ES3_jN6thrust23THRUST_200600_302600_NS6detail15normal_iteratorINSA_7pointerIiNSA_11hip_rocprim3tagENSA_11use_defaultESG_EEEEPS6_NSA_18transform_iteratorI10is_orderedNSA_12zip_iteratorINSA_5tupleINSC_INSA_10device_ptrIiEEEESQ_NSA_9null_typeESR_SR_SR_SR_SR_SR_SR_EEEESG_SG_EENS0_5tupleIJPiSJ_EEENSV_IJSJ_SJ_EEES6_PlJS6_EEE10hipError_tPvRmT3_T4_T5_T6_T7_T9_mT8_P12ihipStream_tbDpT10_ENKUlT_T0_E_clISt17integral_constantIbLb1EES1I_IbLb0EEEEDaS1E_S1F_EUlS1E_E_NS1_11comp_targetILNS1_3genE5ELNS1_11target_archE942ELNS1_3gpuE9ELNS1_3repE0EEENS1_30default_config_static_selectorELNS0_4arch9wavefront6targetE1EEEvT1_,@function
_ZN7rocprim17ROCPRIM_400000_NS6detail17trampoline_kernelINS0_14default_configENS1_25partition_config_selectorILNS1_17partition_subalgoE2EiNS0_10empty_typeEbEEZZNS1_14partition_implILS5_2ELb0ES3_jN6thrust23THRUST_200600_302600_NS6detail15normal_iteratorINSA_7pointerIiNSA_11hip_rocprim3tagENSA_11use_defaultESG_EEEEPS6_NSA_18transform_iteratorI10is_orderedNSA_12zip_iteratorINSA_5tupleINSC_INSA_10device_ptrIiEEEESQ_NSA_9null_typeESR_SR_SR_SR_SR_SR_SR_EEEESG_SG_EENS0_5tupleIJPiSJ_EEENSV_IJSJ_SJ_EEES6_PlJS6_EEE10hipError_tPvRmT3_T4_T5_T6_T7_T9_mT8_P12ihipStream_tbDpT10_ENKUlT_T0_E_clISt17integral_constantIbLb1EES1I_IbLb0EEEEDaS1E_S1F_EUlS1E_E_NS1_11comp_targetILNS1_3genE5ELNS1_11target_archE942ELNS1_3gpuE9ELNS1_3repE0EEENS1_30default_config_static_selectorELNS0_4arch9wavefront6targetE1EEEvT1_: ; @_ZN7rocprim17ROCPRIM_400000_NS6detail17trampoline_kernelINS0_14default_configENS1_25partition_config_selectorILNS1_17partition_subalgoE2EiNS0_10empty_typeEbEEZZNS1_14partition_implILS5_2ELb0ES3_jN6thrust23THRUST_200600_302600_NS6detail15normal_iteratorINSA_7pointerIiNSA_11hip_rocprim3tagENSA_11use_defaultESG_EEEEPS6_NSA_18transform_iteratorI10is_orderedNSA_12zip_iteratorINSA_5tupleINSC_INSA_10device_ptrIiEEEESQ_NSA_9null_typeESR_SR_SR_SR_SR_SR_SR_EEEESG_SG_EENS0_5tupleIJPiSJ_EEENSV_IJSJ_SJ_EEES6_PlJS6_EEE10hipError_tPvRmT3_T4_T5_T6_T7_T9_mT8_P12ihipStream_tbDpT10_ENKUlT_T0_E_clISt17integral_constantIbLb1EES1I_IbLb0EEEEDaS1E_S1F_EUlS1E_E_NS1_11comp_targetILNS1_3genE5ELNS1_11target_archE942ELNS1_3gpuE9ELNS1_3repE0EEENS1_30default_config_static_selectorELNS0_4arch9wavefront6targetE1EEEvT1_
; %bb.0:
	s_load_dwordx4 s[24:27], s[0:1], 0x8
	s_load_dwordx4 s[20:23], s[0:1], 0x58
	s_load_dwordx2 s[28:29], s[0:1], 0x68
	s_load_dword s3, s[0:1], 0x80
	v_lshlrev_b32_e32 v22, 2, v0
	s_waitcnt lgkmcnt(0)
	s_lshl_b64 s[6:7], s[26:27], 2
	s_add_u32 s8, s24, s6
	s_addc_u32 s9, s25, s7
	s_add_i32 s10, s3, -1
	s_mulk_i32 s3, 0x1e00
	s_add_i32 s4, s3, s26
	s_sub_i32 s33, s28, s4
	s_addk_i32 s33, 0x1e00
	s_add_u32 s4, s26, s3
	s_addc_u32 s5, s27, 0
	s_cmp_eq_u32 s2, s10
	s_load_dwordx2 s[30:31], s[22:23], 0x0
	v_mov_b64_e32 v[2:3], s[28:29]
	s_cselect_b64 s[22:23], -1, 0
	s_cmp_lg_u32 s2, s10
	s_mul_i32 s24, s2, 0x1e00
	s_mov_b32 s25, 0
	v_cmp_lt_u64_e32 vcc, s[4:5], v[2:3]
	s_cselect_b64 s[4:5], -1, 0
	s_or_b64 s[34:35], s[4:5], vcc
	s_lshl_b64 s[12:13], s[24:25], 2
	s_add_u32 s14, s8, s12
	s_addc_u32 s15, s9, s13
	s_mov_b64 s[4:5], -1
	s_and_b64 vcc, exec, s[34:35]
	s_cbranch_vccz .LBB3611_2
; %bb.1:
	v_mov_b32_e32 v23, 0
	v_lshl_add_u64 v[2:3], s[14:15], 0, v[22:23]
	v_add_co_u32_e32 v4, vcc, 0x1000, v2
	s_mov_b64 s[4:5], 0
	s_nop 0
	v_addc_co_u32_e32 v5, vcc, 0, v3, vcc
	v_add_co_u32_e32 v6, vcc, 0x2000, v2
	s_nop 1
	v_addc_co_u32_e32 v7, vcc, 0, v3, vcc
	v_add_co_u32_e32 v8, vcc, 0x3000, v2
	s_nop 1
	v_addc_co_u32_e32 v9, vcc, 0, v3, vcc
	flat_load_dword v1, v[2:3]
	flat_load_dword v10, v[2:3] offset:2048
	flat_load_dword v11, v[4:5]
	flat_load_dword v12, v[4:5] offset:2048
	;; [unrolled: 2-line block ×4, first 2 shown]
	v_add_co_u32_e32 v4, vcc, 0x4000, v2
	s_nop 1
	v_addc_co_u32_e32 v5, vcc, 0, v3, vcc
	v_add_co_u32_e32 v6, vcc, 0x5000, v2
	s_nop 1
	v_addc_co_u32_e32 v7, vcc, 0, v3, vcc
	;; [unrolled: 3-line block ×4, first 2 shown]
	flat_load_dword v17, v[4:5]
	flat_load_dword v18, v[4:5] offset:2048
	flat_load_dword v19, v[6:7]
	flat_load_dword v20, v[6:7] offset:2048
	;; [unrolled: 2-line block ×3, first 2 shown]
	flat_load_dword v24, v[2:3]
	s_waitcnt vmcnt(0) lgkmcnt(0)
	ds_write2st64_b32 v22, v1, v10 offset1:8
	ds_write2st64_b32 v22, v11, v12 offset0:16 offset1:24
	ds_write2st64_b32 v22, v13, v14 offset0:32 offset1:40
	;; [unrolled: 1-line block ×6, first 2 shown]
	ds_write_b32 v22, v24 offset:28672
	s_waitcnt lgkmcnt(0)
	s_barrier
.LBB3611_2:
	s_load_dwordx4 s[8:11], s[0:1], 0x20
	s_andn2_b64 vcc, exec, s[4:5]
	v_cmp_gt_u32_e64 s[4:5], s33, v0
	s_cbranch_vccnz .LBB3611_34
; %bb.3:
                                        ; implicit-def: $vgpr2_vgpr3_vgpr4_vgpr5_vgpr6_vgpr7_vgpr8_vgpr9_vgpr10_vgpr11_vgpr12_vgpr13_vgpr14_vgpr15_vgpr16_vgpr17
	s_and_saveexec_b64 s[16:17], s[4:5]
	s_cbranch_execz .LBB3611_5
; %bb.4:
	v_mov_b32_e32 v23, 0
	v_lshl_add_u64 v[2:3], s[14:15], 0, v[22:23]
	flat_load_dword v2, v[2:3]
.LBB3611_5:
	s_or_b64 exec, exec, s[16:17]
	v_or_b32_e32 v1, 0x200, v0
	v_cmp_gt_u32_e32 vcc, s33, v1
	s_and_saveexec_b64 s[4:5], vcc
	s_cbranch_execz .LBB3611_7
; %bb.6:
	v_mov_b32_e32 v23, 0
	v_lshl_add_u64 v[18:19], s[14:15], 0, v[22:23]
	flat_load_dword v3, v[18:19] offset:2048
.LBB3611_7:
	s_or_b64 exec, exec, s[4:5]
	v_or_b32_e32 v1, 0x400, v0
	v_cmp_gt_u32_e32 vcc, s33, v1
	s_and_saveexec_b64 s[4:5], vcc
	s_cbranch_execz .LBB3611_9
; %bb.8:
	v_lshlrev_b32_e32 v18, 2, v1
	v_mov_b32_e32 v19, 0
	v_lshl_add_u64 v[18:19], s[14:15], 0, v[18:19]
	flat_load_dword v4, v[18:19]
.LBB3611_9:
	s_or_b64 exec, exec, s[4:5]
	v_or_b32_e32 v1, 0x600, v0
	v_cmp_gt_u32_e32 vcc, s33, v1
	s_and_saveexec_b64 s[4:5], vcc
	s_cbranch_execz .LBB3611_11
; %bb.10:
	v_lshlrev_b32_e32 v18, 2, v1
	v_mov_b32_e32 v19, 0
	v_lshl_add_u64 v[18:19], s[14:15], 0, v[18:19]
	flat_load_dword v5, v[18:19]
.LBB3611_11:
	;; [unrolled: 11-line block ×13, first 2 shown]
	s_or_b64 exec, exec, s[4:5]
	s_waitcnt vmcnt(0) lgkmcnt(0)
	ds_write2st64_b32 v22, v2, v3 offset1:8
	ds_write2st64_b32 v22, v4, v5 offset0:16 offset1:24
	ds_write2st64_b32 v22, v6, v7 offset0:32 offset1:40
	;; [unrolled: 1-line block ×6, first 2 shown]
	ds_write_b32 v22, v16 offset:28672
	s_waitcnt lgkmcnt(0)
	s_barrier
.LBB3611_34:
	v_mul_u32_u24_e32 v21, 15, v0
	v_lshlrev_b32_e32 v1, 2, v21
	s_waitcnt lgkmcnt(0)
	ds_read2_b32 v[38:39], v1 offset1:1
	ds_read2_b32 v[36:37], v1 offset0:2 offset1:3
	ds_read2_b32 v[34:35], v1 offset0:4 offset1:5
	;; [unrolled: 1-line block ×6, first 2 shown]
	ds_read_b32 v1, v1 offset:56
	s_add_u32 s3, s8, s6
	s_addc_u32 s5, s9, s7
	s_add_u32 s6, s10, s6
	s_addc_u32 s7, s11, s7
	;; [unrolled: 2-line block ×4, first 2 shown]
	s_mov_b64 s[8:9], -1
	s_and_b64 vcc, exec, s[34:35]
	s_waitcnt lgkmcnt(0)
	s_barrier
	s_cbranch_vccz .LBB3611_36
; %bb.35:
	v_mov_b32_e32 v23, 0
	v_lshl_add_u64 v[2:3], s[4:5], 0, v[22:23]
	v_add_co_u32_e32 v6, vcc, 0x1000, v2
	v_lshl_add_u64 v[4:5], s[6:7], 0, v[22:23]
	s_nop 0
	v_addc_co_u32_e32 v7, vcc, 0, v3, vcc
	v_add_co_u32_e32 v8, vcc, 0x1000, v4
	global_load_dword v10, v22, s[4:5]
	global_load_dword v11, v22, s[6:7] offset:2048
	global_load_dword v12, v22, s[6:7]
	global_load_dword v13, v22, s[4:5] offset:2048
	v_addc_co_u32_e32 v9, vcc, 0, v5, vcc
	global_load_dword v14, v[6:7], off
	global_load_dword v15, v[6:7], off offset:2048
	global_load_dword v16, v[8:9], off
	global_load_dword v17, v[8:9], off offset:2048
	v_add_co_u32_e32 v6, vcc, 0x2000, v2
	s_mov_b64 s[8:9], 0
	s_nop 0
	v_addc_co_u32_e32 v7, vcc, 0, v3, vcc
	v_add_co_u32_e32 v8, vcc, 0x2000, v4
	s_nop 1
	v_addc_co_u32_e32 v9, vcc, 0, v5, vcc
	global_load_dword v18, v[6:7], off
	global_load_dword v19, v[6:7], off offset:2048
	global_load_dword v20, v[8:9], off
	global_load_dword v23, v[8:9], off offset:2048
	v_add_co_u32_e32 v6, vcc, 0x3000, v2
	s_nop 1
	v_addc_co_u32_e32 v7, vcc, 0, v3, vcc
	v_add_co_u32_e32 v8, vcc, 0x3000, v4
	s_nop 1
	v_addc_co_u32_e32 v9, vcc, 0, v5, vcc
	global_load_dword v24, v[6:7], off
	global_load_dword v25, v[6:7], off offset:2048
	global_load_dword v40, v[8:9], off
	global_load_dword v41, v[8:9], off offset:2048
	v_add_co_u32_e32 v6, vcc, 0x4000, v2
	;; [unrolled: 10-line block ×4, first 2 shown]
	s_nop 1
	v_addc_co_u32_e32 v7, vcc, 0, v3, vcc
	v_add_co_u32_e32 v8, vcc, 0x6000, v4
	s_nop 1
	v_addc_co_u32_e32 v9, vcc, 0, v5, vcc
	v_add_co_u32_e32 v2, vcc, 0x7000, v2
	global_load_dword v50, v[6:7], off
	global_load_dword v51, v[6:7], off offset:2048
	global_load_dword v52, v[8:9], off
	global_load_dword v53, v[8:9], off offset:2048
	v_addc_co_u32_e32 v3, vcc, 0, v3, vcc
	global_load_dword v6, v[2:3], off
	v_add_co_u32_e32 v2, vcc, 0x7000, v4
	s_nop 1
	v_addc_co_u32_e32 v3, vcc, 0, v5, vcc
	global_load_dword v2, v[2:3], off
	s_waitcnt vmcnt(27)
	v_cmp_le_i32_e32 vcc, v10, v12
	s_nop 1
	v_cndmask_b32_e64 v3, 0, 1, vcc
	s_waitcnt vmcnt(26)
	v_cmp_le_i32_e32 vcc, v13, v11
	s_nop 1
	v_cndmask_b32_e64 v4, 0, 1, vcc
	;; [unrolled: 4-line block ×15, first 2 shown]
	ds_write_b8 v0, v3
	ds_write_b8 v0, v4 offset:512
	ds_write_b8 v0, v5 offset:1024
	ds_write_b8 v0, v7 offset:1536
	ds_write_b8 v0, v8 offset:2048
	ds_write_b8 v0, v9 offset:2560
	ds_write_b8 v0, v10 offset:3072
	ds_write_b8 v0, v11 offset:3584
	ds_write_b8 v0, v12 offset:4096
	ds_write_b8 v0, v13 offset:4608
	ds_write_b8 v0, v14 offset:5120
	ds_write_b8 v0, v15 offset:5632
	ds_write_b8 v0, v16 offset:6144
	ds_write_b8 v0, v17 offset:6656
	ds_write_b8 v0, v2 offset:7168
	s_waitcnt lgkmcnt(0)
	s_barrier
.LBB3611_36:
	s_load_dwordx2 s[36:37], s[0:1], 0x78
	s_andn2_b64 vcc, exec, s[8:9]
	s_cbranch_vccnz .LBB3611_68
; %bb.37:
	v_cmp_gt_u32_e32 vcc, s33, v0
	v_mov_b32_e32 v2, 0
	v_mov_b32_e32 v3, 0
	s_and_saveexec_b64 s[8:9], vcc
	s_cbranch_execz .LBB3611_39
; %bb.38:
	global_load_dword v3, v22, s[4:5]
	global_load_dword v4, v22, s[6:7]
	s_waitcnt vmcnt(0)
	v_cmp_le_i32_e32 vcc, v3, v4
	s_nop 1
	v_cndmask_b32_e64 v3, 0, 1, vcc
.LBB3611_39:
	s_or_b64 exec, exec, s[8:9]
	v_or_b32_e32 v4, 0x200, v0
	v_cmp_gt_u32_e32 vcc, s33, v4
	s_and_saveexec_b64 s[8:9], vcc
	s_cbranch_execz .LBB3611_41
; %bb.40:
	global_load_dword v2, v22, s[4:5] offset:2048
	global_load_dword v4, v22, s[6:7] offset:2048
	s_waitcnt vmcnt(0)
	v_cmp_le_i32_e32 vcc, v2, v4
	s_nop 1
	v_cndmask_b32_e64 v2, 0, 1, vcc
.LBB3611_41:
	s_or_b64 exec, exec, s[8:9]
	v_or_b32_e32 v6, 0x400, v0
	v_cmp_gt_u32_e32 vcc, s33, v6
	v_mov_b32_e32 v4, 0
	v_mov_b32_e32 v5, 0
	s_and_saveexec_b64 s[8:9], vcc
	s_cbranch_execz .LBB3611_43
; %bb.42:
	v_lshlrev_b32_e32 v5, 2, v6
	global_load_dword v6, v5, s[4:5]
	global_load_dword v7, v5, s[6:7]
	s_waitcnt vmcnt(0)
	v_cmp_le_i32_e32 vcc, v6, v7
	s_nop 1
	v_cndmask_b32_e64 v5, 0, 1, vcc
.LBB3611_43:
	s_or_b64 exec, exec, s[8:9]
	v_or_b32_e32 v6, 0x600, v0
	v_cmp_gt_u32_e32 vcc, s33, v6
	s_and_saveexec_b64 s[8:9], vcc
	s_cbranch_execz .LBB3611_45
; %bb.44:
	v_lshlrev_b32_e32 v4, 2, v6
	global_load_dword v6, v4, s[4:5]
	global_load_dword v7, v4, s[6:7]
	s_waitcnt vmcnt(0)
	v_cmp_le_i32_e32 vcc, v6, v7
	s_nop 1
	v_cndmask_b32_e64 v4, 0, 1, vcc
.LBB3611_45:
	s_or_b64 exec, exec, s[8:9]
	v_or_b32_e32 v8, 0x800, v0
	v_cmp_gt_u32_e32 vcc, s33, v8
	v_mov_b32_e32 v6, 0
	v_mov_b32_e32 v7, 0
	s_and_saveexec_b64 s[8:9], vcc
	s_cbranch_execz .LBB3611_47
; %bb.46:
	v_lshlrev_b32_e32 v7, 2, v8
	global_load_dword v8, v7, s[4:5]
	global_load_dword v9, v7, s[6:7]
	s_waitcnt vmcnt(0)
	v_cmp_le_i32_e32 vcc, v8, v9
	s_nop 1
	v_cndmask_b32_e64 v7, 0, 1, vcc
.LBB3611_47:
	s_or_b64 exec, exec, s[8:9]
	v_or_b32_e32 v8, 0xa00, v0
	v_cmp_gt_u32_e32 vcc, s33, v8
	s_and_saveexec_b64 s[8:9], vcc
	s_cbranch_execz .LBB3611_49
; %bb.48:
	v_lshlrev_b32_e32 v6, 2, v8
	global_load_dword v8, v6, s[4:5]
	global_load_dword v9, v6, s[6:7]
	s_waitcnt vmcnt(0)
	v_cmp_le_i32_e32 vcc, v8, v9
	s_nop 1
	v_cndmask_b32_e64 v6, 0, 1, vcc
.LBB3611_49:
	s_or_b64 exec, exec, s[8:9]
	v_or_b32_e32 v10, 0xc00, v0
	v_cmp_gt_u32_e32 vcc, s33, v10
	v_mov_b32_e32 v8, 0
	v_mov_b32_e32 v9, 0
	s_and_saveexec_b64 s[8:9], vcc
	s_cbranch_execz .LBB3611_51
; %bb.50:
	v_lshlrev_b32_e32 v9, 2, v10
	global_load_dword v10, v9, s[4:5]
	global_load_dword v11, v9, s[6:7]
	s_waitcnt vmcnt(0)
	v_cmp_le_i32_e32 vcc, v10, v11
	s_nop 1
	v_cndmask_b32_e64 v9, 0, 1, vcc
.LBB3611_51:
	s_or_b64 exec, exec, s[8:9]
	v_or_b32_e32 v10, 0xe00, v0
	v_cmp_gt_u32_e32 vcc, s33, v10
	s_and_saveexec_b64 s[8:9], vcc
	s_cbranch_execz .LBB3611_53
; %bb.52:
	v_lshlrev_b32_e32 v8, 2, v10
	global_load_dword v10, v8, s[4:5]
	global_load_dword v11, v8, s[6:7]
	s_waitcnt vmcnt(0)
	v_cmp_le_i32_e32 vcc, v10, v11
	s_nop 1
	v_cndmask_b32_e64 v8, 0, 1, vcc
.LBB3611_53:
	s_or_b64 exec, exec, s[8:9]
	v_or_b32_e32 v12, 0x1000, v0
	v_cmp_gt_u32_e32 vcc, s33, v12
	v_mov_b32_e32 v10, 0
	v_mov_b32_e32 v11, 0
	s_and_saveexec_b64 s[8:9], vcc
	s_cbranch_execz .LBB3611_55
; %bb.54:
	v_lshlrev_b32_e32 v11, 2, v12
	global_load_dword v12, v11, s[4:5]
	global_load_dword v13, v11, s[6:7]
	s_waitcnt vmcnt(0)
	v_cmp_le_i32_e32 vcc, v12, v13
	s_nop 1
	v_cndmask_b32_e64 v11, 0, 1, vcc
.LBB3611_55:
	s_or_b64 exec, exec, s[8:9]
	v_or_b32_e32 v12, 0x1200, v0
	v_cmp_gt_u32_e32 vcc, s33, v12
	s_and_saveexec_b64 s[8:9], vcc
	s_cbranch_execz .LBB3611_57
; %bb.56:
	v_lshlrev_b32_e32 v10, 2, v12
	global_load_dword v12, v10, s[4:5]
	global_load_dword v13, v10, s[6:7]
	s_waitcnt vmcnt(0)
	v_cmp_le_i32_e32 vcc, v12, v13
	s_nop 1
	v_cndmask_b32_e64 v10, 0, 1, vcc
.LBB3611_57:
	s_or_b64 exec, exec, s[8:9]
	v_or_b32_e32 v14, 0x1400, v0
	v_cmp_gt_u32_e32 vcc, s33, v14
	v_mov_b32_e32 v12, 0
	v_mov_b32_e32 v13, 0
	s_and_saveexec_b64 s[8:9], vcc
	s_cbranch_execz .LBB3611_59
; %bb.58:
	v_lshlrev_b32_e32 v13, 2, v14
	global_load_dword v14, v13, s[4:5]
	global_load_dword v15, v13, s[6:7]
	s_waitcnt vmcnt(0)
	v_cmp_le_i32_e32 vcc, v14, v15
	s_nop 1
	v_cndmask_b32_e64 v13, 0, 1, vcc
.LBB3611_59:
	s_or_b64 exec, exec, s[8:9]
	v_or_b32_e32 v14, 0x1600, v0
	v_cmp_gt_u32_e32 vcc, s33, v14
	s_and_saveexec_b64 s[8:9], vcc
	s_cbranch_execz .LBB3611_61
; %bb.60:
	v_lshlrev_b32_e32 v12, 2, v14
	global_load_dword v14, v12, s[4:5]
	global_load_dword v15, v12, s[6:7]
	s_waitcnt vmcnt(0)
	v_cmp_le_i32_e32 vcc, v14, v15
	s_nop 1
	v_cndmask_b32_e64 v12, 0, 1, vcc
.LBB3611_61:
	s_or_b64 exec, exec, s[8:9]
	v_or_b32_e32 v16, 0x1800, v0
	v_cmp_gt_u32_e32 vcc, s33, v16
	v_mov_b32_e32 v14, 0
	v_mov_b32_e32 v15, 0
	s_and_saveexec_b64 s[8:9], vcc
	s_cbranch_execz .LBB3611_63
; %bb.62:
	v_lshlrev_b32_e32 v15, 2, v16
	global_load_dword v16, v15, s[4:5]
	global_load_dword v17, v15, s[6:7]
	s_waitcnt vmcnt(0)
	v_cmp_le_i32_e32 vcc, v16, v17
	s_nop 1
	v_cndmask_b32_e64 v15, 0, 1, vcc
.LBB3611_63:
	s_or_b64 exec, exec, s[8:9]
	v_or_b32_e32 v16, 0x1a00, v0
	v_cmp_gt_u32_e32 vcc, s33, v16
	s_and_saveexec_b64 s[8:9], vcc
	s_cbranch_execz .LBB3611_65
; %bb.64:
	v_lshlrev_b32_e32 v14, 2, v16
	global_load_dword v16, v14, s[4:5]
	global_load_dword v17, v14, s[6:7]
	s_waitcnt vmcnt(0)
	v_cmp_le_i32_e32 vcc, v16, v17
	s_nop 1
	v_cndmask_b32_e64 v14, 0, 1, vcc
.LBB3611_65:
	s_or_b64 exec, exec, s[8:9]
	v_or_b32_e32 v17, 0x1c00, v0
	v_cmp_gt_u32_e32 vcc, s33, v17
	v_mov_b32_e32 v16, 0
	s_and_saveexec_b64 s[8:9], vcc
	s_cbranch_execz .LBB3611_67
; %bb.66:
	v_lshlrev_b32_e32 v16, 2, v17
	global_load_dword v17, v16, s[4:5]
	global_load_dword v18, v16, s[6:7]
	s_waitcnt vmcnt(0)
	v_cmp_le_i32_e32 vcc, v17, v18
	s_nop 1
	v_cndmask_b32_e64 v16, 0, 1, vcc
.LBB3611_67:
	s_or_b64 exec, exec, s[8:9]
	ds_write_b8 v0, v3
	ds_write_b8 v0, v2 offset:512
	ds_write_b8 v0, v5 offset:1024
	;; [unrolled: 1-line block ×14, first 2 shown]
	s_waitcnt lgkmcnt(0)
	s_barrier
.LBB3611_68:
	s_waitcnt lgkmcnt(0)
	ds_read_b96 v[18:20], v21
	ds_read_u8 v2, v21 offset:12
	ds_read_u8 v3, v21 offset:13
	;; [unrolled: 1-line block ×3, first 2 shown]
	s_cmp_lg_u32 s2, 0
	v_lshrrev_b32_e32 v56, 6, v0
	s_waitcnt lgkmcnt(2)
	v_and_b32_e32 v42, 1, v2
	v_and_b32_e32 v51, 0xff, v18
	v_bfe_u32 v53, v18, 8, 8
	v_bfe_u32 v54, v18, 16, 8
	v_lshrrev_b32_e32 v44, 24, v18
	v_and_b32_e32 v48, 0xff, v19
	v_add3_u32 v2, v53, v51, v54
	v_bfe_u32 v49, v19, 8, 8
	v_bfe_u32 v50, v19, 16, 8
	v_add3_u32 v2, v2, v44, v48
	v_lshrrev_b32_e32 v43, 24, v19
	v_and_b32_e32 v45, 0xff, v20
	v_add3_u32 v2, v2, v49, v50
	v_bfe_u32 v46, v20, 8, 8
	v_bfe_u32 v47, v20, 16, 8
	v_add3_u32 v2, v2, v43, v45
	v_lshrrev_b32_e32 v41, 24, v20
	v_add3_u32 v2, v2, v46, v47
	s_waitcnt lgkmcnt(1)
	v_and_b32_e32 v40, 1, v3
	s_waitcnt lgkmcnt(0)
	v_and_b32_e32 v23, 1, v4
	v_add3_u32 v2, v2, v41, v42
	v_add3_u32 v57, v2, v40, v23
	v_mbcnt_lo_u32_b32 v2, -1, 0
	v_mbcnt_hi_u32_b32 v55, -1, v2
	v_and_b32_e32 v2, 15, v55
	v_cmp_eq_u32_e64 s[14:15], 0, v2
	v_cmp_lt_u32_e64 s[12:13], 1, v2
	v_cmp_lt_u32_e64 s[10:11], 3, v2
	;; [unrolled: 1-line block ×3, first 2 shown]
	v_and_b32_e32 v2, 16, v55
	v_cmp_eq_u32_e64 s[6:7], 0, v2
	v_or_b32_e32 v2, 63, v0
	v_cmp_lt_u32_e64 s[18:19], 31, v55
	v_cmp_eq_u32_e64 s[4:5], v2, v0
	s_barrier
	s_cbranch_scc0 .LBB3611_99
; %bb.69:
	v_mov_b32_dpp v2, v57 row_shr:1 row_mask:0xf bank_mask:0xf
	v_cndmask_b32_e64 v2, v2, 0, s[14:15]
	v_add_u32_e32 v2, v2, v57
	s_nop 1
	v_mov_b32_dpp v3, v2 row_shr:2 row_mask:0xf bank_mask:0xf
	v_cndmask_b32_e64 v3, 0, v3, s[12:13]
	v_add_u32_e32 v2, v2, v3
	s_nop 1
	v_mov_b32_dpp v3, v2 row_shr:4 row_mask:0xf bank_mask:0xf
	v_cndmask_b32_e64 v3, 0, v3, s[10:11]
	v_add_u32_e32 v2, v2, v3
	s_nop 1
	v_mov_b32_dpp v3, v2 row_shr:8 row_mask:0xf bank_mask:0xf
	v_cndmask_b32_e64 v3, 0, v3, s[8:9]
	v_add_u32_e32 v2, v2, v3
	s_nop 1
	v_mov_b32_dpp v3, v2 row_bcast:15 row_mask:0xf bank_mask:0xf
	v_cndmask_b32_e64 v3, v3, 0, s[6:7]
	v_add_u32_e32 v2, v2, v3
	s_nop 1
	v_mov_b32_dpp v3, v2 row_bcast:31 row_mask:0xf bank_mask:0xf
	v_cndmask_b32_e64 v3, 0, v3, s[18:19]
	v_add_u32_e32 v2, v2, v3
	s_and_saveexec_b64 s[16:17], s[4:5]
	s_cbranch_execz .LBB3611_71
; %bb.70:
	v_lshlrev_b32_e32 v3, 2, v56
	ds_write_b32 v3, v2
.LBB3611_71:
	s_or_b64 exec, exec, s[16:17]
	v_cmp_gt_u32_e32 vcc, 8, v0
	s_waitcnt lgkmcnt(0)
	s_barrier
	s_and_saveexec_b64 s[16:17], vcc
	s_cbranch_execz .LBB3611_73
; %bb.72:
	ds_read_b32 v3, v22
	v_and_b32_e32 v4, 7, v55
	v_cmp_ne_u32_e32 vcc, 0, v4
	s_waitcnt lgkmcnt(0)
	v_mov_b32_dpp v5, v3 row_shr:1 row_mask:0xf bank_mask:0xf
	v_cndmask_b32_e32 v5, 0, v5, vcc
	v_add_u32_e32 v3, v5, v3
	v_cmp_lt_u32_e32 vcc, 1, v4
	s_nop 0
	v_mov_b32_dpp v5, v3 row_shr:2 row_mask:0xf bank_mask:0xf
	v_cndmask_b32_e32 v5, 0, v5, vcc
	v_add_u32_e32 v3, v3, v5
	v_cmp_lt_u32_e32 vcc, 3, v4
	s_nop 0
	v_mov_b32_dpp v5, v3 row_shr:4 row_mask:0xf bank_mask:0xf
	v_cndmask_b32_e32 v4, 0, v5, vcc
	v_add_u32_e32 v3, v3, v4
	ds_write_b32 v22, v3
.LBB3611_73:
	s_or_b64 exec, exec, s[16:17]
	v_cmp_gt_u32_e32 vcc, 64, v0
	v_cmp_lt_u32_e64 s[16:17], 63, v0
	s_waitcnt lgkmcnt(0)
	s_barrier
	s_waitcnt lgkmcnt(0)
                                        ; implicit-def: $vgpr12
	s_and_saveexec_b64 s[38:39], s[16:17]
	s_cbranch_execz .LBB3611_75
; %bb.74:
	v_lshl_add_u32 v3, v56, 2, -4
	ds_read_b32 v12, v3
	s_waitcnt lgkmcnt(0)
	v_add_u32_e32 v2, v12, v2
.LBB3611_75:
	s_or_b64 exec, exec, s[38:39]
	v_add_u32_e32 v3, -1, v55
	v_and_b32_e32 v4, 64, v55
	v_cmp_lt_i32_e64 s[16:17], v3, v4
	s_nop 1
	v_cndmask_b32_e64 v3, v3, v55, s[16:17]
	v_lshlrev_b32_e32 v3, 2, v3
	ds_bpermute_b32 v13, v3, v2
	v_cmp_eq_u32_e64 s[16:17], 0, v55
	s_and_saveexec_b64 s[38:39], vcc
	s_cbranch_execz .LBB3611_98
; %bb.76:
	v_mov_b32_e32 v11, 0
	ds_read_b32 v2, v11 offset:28
	s_and_saveexec_b64 s[40:41], s[16:17]
	s_cbranch_execz .LBB3611_78
; %bb.77:
	s_add_i32 s42, s2, 64
	s_mov_b32 s43, 0
	s_lshl_b64 s[42:43], s[42:43], 3
	s_add_u32 s42, s36, s42
	v_mov_b32_e32 v3, 1
	s_addc_u32 s43, s37, s43
	s_waitcnt lgkmcnt(0)
	global_store_dwordx2 v11, v[2:3], s[42:43] sc1
.LBB3611_78:
	s_or_b64 exec, exec, s[40:41]
	v_xad_u32 v4, v55, -1, s2
	v_add_u32_e32 v10, 64, v4
	v_lshl_add_u64 v[6:7], v[10:11], 3, s[36:37]
	global_load_dwordx2 v[8:9], v[6:7], off sc1
	s_waitcnt vmcnt(0)
	v_cmp_eq_u16_sdwa s[42:43], v9, v11 src0_sel:BYTE_0 src1_sel:DWORD
	s_and_saveexec_b64 s[40:41], s[42:43]
	s_cbranch_execz .LBB3611_84
; %bb.79:
	s_mov_b32 s3, 1
	s_mov_b64 s[42:43], 0
	v_mov_b32_e32 v3, 0
.LBB3611_80:                            ; =>This Loop Header: Depth=1
                                        ;     Child Loop BB3611_81 Depth 2
	s_max_u32 s25, s3, 1
.LBB3611_81:                            ;   Parent Loop BB3611_80 Depth=1
                                        ; =>  This Inner Loop Header: Depth=2
	s_add_i32 s25, s25, -1
	s_cmp_eq_u32 s25, 0
	s_sleep 1
	s_cbranch_scc0 .LBB3611_81
; %bb.82:                               ;   in Loop: Header=BB3611_80 Depth=1
	global_load_dwordx2 v[8:9], v[6:7], off sc1
	s_cmp_lt_u32 s3, 32
	s_cselect_b64 s[44:45], -1, 0
	s_cmp_lg_u64 s[44:45], 0
	s_addc_u32 s3, s3, 0
	s_waitcnt vmcnt(0)
	v_cmp_ne_u16_sdwa s[44:45], v9, v3 src0_sel:BYTE_0 src1_sel:DWORD
	s_or_b64 s[42:43], s[44:45], s[42:43]
	s_andn2_b64 exec, exec, s[42:43]
	s_cbranch_execnz .LBB3611_80
; %bb.83:
	s_or_b64 exec, exec, s[42:43]
.LBB3611_84:
	s_or_b64 exec, exec, s[40:41]
	v_and_b32_e32 v15, 63, v55
	v_mov_b32_e32 v14, 2
	v_cmp_ne_u32_e32 vcc, 63, v15
	v_cmp_eq_u16_sdwa s[40:41], v9, v14 src0_sel:BYTE_0 src1_sel:DWORD
	v_lshlrev_b64 v[6:7], v55, -1
	v_addc_co_u32_e32 v10, vcc, 0, v55, vcc
	v_and_b32_e32 v3, s41, v7
	v_lshlrev_b32_e32 v16, 2, v10
	v_or_b32_e32 v3, 0x80000000, v3
	ds_bpermute_b32 v10, v16, v8
	v_and_b32_e32 v5, s40, v6
	v_ffbl_b32_e32 v3, v3
	v_add_u32_e32 v3, 32, v3
	v_ffbl_b32_e32 v5, v5
	v_min_u32_e32 v3, v5, v3
	v_cmp_lt_u32_e32 vcc, v15, v3
	v_add_u32_e32 v24, 2, v15
	v_add_u32_e32 v52, 4, v15
	s_waitcnt lgkmcnt(0)
	v_cndmask_b32_e32 v5, 0, v10, vcc
	v_cmp_gt_u32_e32 vcc, 62, v15
	v_add_u32_e32 v5, v5, v8
	v_add_u32_e32 v59, 8, v15
	v_cndmask_b32_e64 v8, 0, 1, vcc
	v_lshlrev_b32_e32 v8, 1, v8
	v_add_lshl_u32 v17, v8, v55, 2
	ds_bpermute_b32 v8, v17, v5
	v_cmp_le_u32_e32 vcc, v24, v3
	v_add_u32_e32 v61, 16, v15
	v_add_u32_e32 v63, 32, v15
	s_waitcnt lgkmcnt(0)
	v_cndmask_b32_e32 v8, 0, v8, vcc
	v_cmp_gt_u32_e32 vcc, 60, v15
	v_add_u32_e32 v5, v5, v8
	s_nop 0
	v_cndmask_b32_e64 v8, 0, 1, vcc
	v_lshlrev_b32_e32 v8, 2, v8
	v_add_lshl_u32 v25, v8, v55, 2
	ds_bpermute_b32 v8, v25, v5
	v_cmp_le_u32_e32 vcc, v52, v3
	s_waitcnt lgkmcnt(0)
	s_nop 0
	v_cndmask_b32_e32 v8, 0, v8, vcc
	v_cmp_gt_u32_e32 vcc, 56, v15
	v_add_u32_e32 v5, v5, v8
	s_nop 0
	v_cndmask_b32_e64 v8, 0, 1, vcc
	v_lshlrev_b32_e32 v8, 3, v8
	v_add_lshl_u32 v58, v8, v55, 2
	ds_bpermute_b32 v8, v58, v5
	v_cmp_le_u32_e32 vcc, v59, v3
	s_waitcnt lgkmcnt(0)
	s_nop 0
	v_cndmask_b32_e32 v8, 0, v8, vcc
	v_cmp_gt_u32_e32 vcc, 48, v15
	v_add_u32_e32 v5, v5, v8
	s_nop 0
	v_cndmask_b32_e64 v8, 0, 1, vcc
	v_lshlrev_b32_e32 v8, 4, v8
	v_add_lshl_u32 v60, v8, v55, 2
	ds_bpermute_b32 v8, v60, v5
	v_cmp_le_u32_e32 vcc, v61, v3
	s_waitcnt lgkmcnt(0)
	s_nop 0
	v_cndmask_b32_e32 v8, 0, v8, vcc
	v_cmp_gt_u32_e32 vcc, 32, v15
	v_add_u32_e32 v5, v5, v8
	s_nop 0
	v_cndmask_b32_e64 v8, 0, 1, vcc
	v_lshlrev_b32_e32 v8, 5, v8
	v_add_lshl_u32 v62, v8, v55, 2
	ds_bpermute_b32 v8, v62, v5
	v_cmp_le_u32_e32 vcc, v63, v3
	s_waitcnt lgkmcnt(0)
	s_nop 0
	v_cndmask_b32_e32 v3, 0, v8, vcc
	v_add_u32_e32 v8, v5, v3
	v_mov_b32_e32 v5, 0
	s_branch .LBB3611_86
.LBB3611_85:                            ;   in Loop: Header=BB3611_86 Depth=1
	s_or_b64 exec, exec, s[40:41]
	v_cmp_eq_u16_sdwa s[40:41], v9, v14 src0_sel:BYTE_0 src1_sel:DWORD
	ds_bpermute_b32 v64, v16, v8
	v_subrev_u32_e32 v4, 64, v4
	v_and_b32_e32 v10, s41, v7
	v_or_b32_e32 v10, 0x80000000, v10
	v_and_b32_e32 v11, s40, v6
	v_ffbl_b32_e32 v10, v10
	v_add_u32_e32 v10, 32, v10
	v_ffbl_b32_e32 v11, v11
	v_min_u32_e32 v10, v11, v10
	v_cmp_lt_u32_e32 vcc, v15, v10
	s_waitcnt lgkmcnt(0)
	s_nop 0
	v_cndmask_b32_e32 v11, 0, v64, vcc
	v_add_u32_e32 v8, v11, v8
	ds_bpermute_b32 v11, v17, v8
	v_cmp_le_u32_e32 vcc, v24, v10
	s_waitcnt lgkmcnt(0)
	s_nop 0
	v_cndmask_b32_e32 v11, 0, v11, vcc
	v_add_u32_e32 v8, v8, v11
	ds_bpermute_b32 v11, v25, v8
	v_cmp_le_u32_e32 vcc, v52, v10
	;; [unrolled: 6-line block ×5, first 2 shown]
	s_waitcnt lgkmcnt(0)
	s_nop 0
	v_cndmask_b32_e32 v10, 0, v11, vcc
	v_add3_u32 v8, v10, v3, v8
.LBB3611_86:                            ; =>This Loop Header: Depth=1
                                        ;     Child Loop BB3611_89 Depth 2
                                        ;       Child Loop BB3611_90 Depth 3
	v_cmp_ne_u16_sdwa s[40:41], v9, v14 src0_sel:BYTE_0 src1_sel:DWORD
	s_nop 1
	v_cndmask_b32_e64 v3, 0, 1, s[40:41]
	;;#ASMSTART
	;;#ASMEND
	s_nop 0
	v_cmp_ne_u32_e32 vcc, 0, v3
	s_cmp_lg_u64 vcc, exec
	v_mov_b32_e32 v3, v8
	s_cbranch_scc1 .LBB3611_93
; %bb.87:                               ;   in Loop: Header=BB3611_86 Depth=1
	v_lshl_add_u64 v[10:11], v[4:5], 3, s[36:37]
	global_load_dwordx2 v[8:9], v[10:11], off sc1
	s_waitcnt vmcnt(0)
	v_cmp_eq_u16_sdwa s[42:43], v9, v5 src0_sel:BYTE_0 src1_sel:DWORD
	s_and_saveexec_b64 s[40:41], s[42:43]
	s_cbranch_execz .LBB3611_85
; %bb.88:                               ;   in Loop: Header=BB3611_86 Depth=1
	s_mov_b32 s3, 1
	s_mov_b64 s[42:43], 0
.LBB3611_89:                            ;   Parent Loop BB3611_86 Depth=1
                                        ; =>  This Loop Header: Depth=2
                                        ;       Child Loop BB3611_90 Depth 3
	s_max_u32 s25, s3, 1
.LBB3611_90:                            ;   Parent Loop BB3611_86 Depth=1
                                        ;     Parent Loop BB3611_89 Depth=2
                                        ; =>    This Inner Loop Header: Depth=3
	s_add_i32 s25, s25, -1
	s_cmp_eq_u32 s25, 0
	s_sleep 1
	s_cbranch_scc0 .LBB3611_90
; %bb.91:                               ;   in Loop: Header=BB3611_89 Depth=2
	global_load_dwordx2 v[8:9], v[10:11], off sc1
	s_cmp_lt_u32 s3, 32
	s_cselect_b64 s[44:45], -1, 0
	s_cmp_lg_u64 s[44:45], 0
	s_addc_u32 s3, s3, 0
	s_waitcnt vmcnt(0)
	v_cmp_ne_u16_sdwa s[44:45], v9, v5 src0_sel:BYTE_0 src1_sel:DWORD
	s_or_b64 s[42:43], s[44:45], s[42:43]
	s_andn2_b64 exec, exec, s[42:43]
	s_cbranch_execnz .LBB3611_89
; %bb.92:                               ;   in Loop: Header=BB3611_86 Depth=1
	s_or_b64 exec, exec, s[42:43]
	s_branch .LBB3611_85
.LBB3611_93:                            ;   in Loop: Header=BB3611_86 Depth=1
                                        ; implicit-def: $vgpr8
                                        ; implicit-def: $vgpr9
	s_cbranch_execz .LBB3611_86
; %bb.94:
	s_and_saveexec_b64 s[40:41], s[16:17]
	s_cbranch_execz .LBB3611_96
; %bb.95:
	s_add_i32 s2, s2, 64
	s_mov_b32 s3, 0
	s_lshl_b64 s[2:3], s[2:3], 3
	s_add_u32 s2, s36, s2
	v_add_u32_e32 v4, v3, v2
	v_mov_b32_e32 v5, 2
	s_addc_u32 s3, s37, s3
	v_mov_b32_e32 v6, 0
	global_store_dwordx2 v6, v[4:5], s[2:3] sc1
	ds_write_b64 v6, v[2:3] offset:30720
.LBB3611_96:
	s_or_b64 exec, exec, s[40:41]
	v_cmp_eq_u32_e32 vcc, 0, v0
	s_and_b64 exec, exec, vcc
	s_cbranch_execz .LBB3611_98
; %bb.97:
	v_mov_b32_e32 v2, 0
	ds_write_b32 v2, v3 offset:28
.LBB3611_98:
	s_or_b64 exec, exec, s[38:39]
	v_mov_b32_e32 v14, 0
	s_waitcnt lgkmcnt(0)
	s_barrier
	ds_read_b32 v2, v14 offset:28
	v_cndmask_b32_e64 v3, v13, v12, s[16:17]
	v_cmp_ne_u32_e32 vcc, 0, v0
	s_waitcnt lgkmcnt(0)
	s_barrier
	v_cndmask_b32_e32 v3, 0, v3, vcc
	v_add_u32_e32 v2, v2, v3
	v_add_u32_e32 v3, v2, v51
	;; [unrolled: 1-line block ×10, first 2 shown]
	ds_read_b64 v[24:25], v14 offset:30720
	v_add_u32_e32 v12, v11, v46
	v_add_u32_e32 v13, v12, v47
	;; [unrolled: 1-line block ×5, first 2 shown]
	s_waitcnt lgkmcnt(0)
	v_mov_b32_e32 v52, v25
	s_load_dwordx2 s[2:3], s[0:1], 0x38
	s_branch .LBB3611_109
.LBB3611_99:
                                        ; implicit-def: $vgpr52
                                        ; implicit-def: $vgpr24
                                        ; implicit-def: $vgpr2_vgpr3_vgpr4_vgpr5_vgpr6_vgpr7_vgpr8_vgpr9_vgpr10_vgpr11_vgpr12_vgpr13_vgpr14_vgpr15_vgpr16_vgpr17
	s_load_dwordx2 s[2:3], s[0:1], 0x38
	s_cbranch_execz .LBB3611_109
; %bb.100:
	v_mov_b32_dpp v2, v57 row_shr:1 row_mask:0xf bank_mask:0xf
	v_cndmask_b32_e64 v2, v2, 0, s[14:15]
	v_add_u32_e32 v2, v2, v57
	s_nop 1
	v_mov_b32_dpp v3, v2 row_shr:2 row_mask:0xf bank_mask:0xf
	v_cndmask_b32_e64 v3, 0, v3, s[12:13]
	v_add_u32_e32 v2, v2, v3
	s_nop 1
	;; [unrolled: 4-line block ×4, first 2 shown]
	v_mov_b32_dpp v3, v2 row_bcast:15 row_mask:0xf bank_mask:0xf
	v_cndmask_b32_e64 v3, v3, 0, s[6:7]
	v_add_u32_e32 v2, v2, v3
	s_nop 1
	v_mov_b32_dpp v3, v2 row_bcast:31 row_mask:0xf bank_mask:0xf
	v_cndmask_b32_e64 v3, 0, v3, s[18:19]
	v_add_u32_e32 v2, v2, v3
	s_and_saveexec_b64 s[0:1], s[4:5]
	s_cbranch_execz .LBB3611_102
; %bb.101:
	v_lshlrev_b32_e32 v3, 2, v56
	ds_write_b32 v3, v2
.LBB3611_102:
	s_or_b64 exec, exec, s[0:1]
	v_cmp_gt_u32_e32 vcc, 8, v0
	s_waitcnt lgkmcnt(0)
	s_barrier
	s_and_saveexec_b64 s[0:1], vcc
	s_cbranch_execz .LBB3611_104
; %bb.103:
	v_mad_i32_i24 v3, v0, -11, v21
	ds_read_b32 v4, v3
	v_and_b32_e32 v5, 7, v55
	v_cmp_ne_u32_e32 vcc, 0, v5
	s_waitcnt lgkmcnt(0)
	v_mov_b32_dpp v6, v4 row_shr:1 row_mask:0xf bank_mask:0xf
	v_cndmask_b32_e32 v6, 0, v6, vcc
	v_add_u32_e32 v4, v6, v4
	v_cmp_lt_u32_e32 vcc, 1, v5
	s_nop 0
	v_mov_b32_dpp v6, v4 row_shr:2 row_mask:0xf bank_mask:0xf
	v_cndmask_b32_e32 v6, 0, v6, vcc
	v_add_u32_e32 v4, v4, v6
	v_cmp_lt_u32_e32 vcc, 3, v5
	s_nop 0
	v_mov_b32_dpp v6, v4 row_shr:4 row_mask:0xf bank_mask:0xf
	v_cndmask_b32_e32 v5, 0, v6, vcc
	v_add_u32_e32 v4, v4, v5
	ds_write_b32 v3, v4
.LBB3611_104:
	s_or_b64 exec, exec, s[0:1]
	v_cmp_lt_u32_e32 vcc, 63, v0
	v_mov_b32_e32 v4, 0
	v_mov_b32_e32 v3, 0
	s_waitcnt lgkmcnt(0)
	s_barrier
	s_and_saveexec_b64 s[0:1], vcc
	s_cbranch_execz .LBB3611_106
; %bb.105:
	v_lshl_add_u32 v3, v56, 2, -4
	ds_read_b32 v3, v3
.LBB3611_106:
	s_or_b64 exec, exec, s[0:1]
	v_add_u32_e32 v5, -1, v55
	v_and_b32_e32 v6, 64, v55
	v_cmp_lt_i32_e32 vcc, v5, v6
	s_waitcnt lgkmcnt(0)
	v_add_u32_e32 v2, v3, v2
	ds_read_b32 v24, v4 offset:28
	v_cndmask_b32_e32 v5, v5, v55, vcc
	v_lshlrev_b32_e32 v5, 2, v5
	ds_bpermute_b32 v2, v5, v2
	v_cmp_eq_u32_e32 vcc, 0, v0
	s_and_saveexec_b64 s[0:1], vcc
	s_cbranch_execz .LBB3611_108
; %bb.107:
	v_mov_b32_e32 v4, 0
	v_mov_b32_e32 v25, 2
	s_waitcnt lgkmcnt(1)
	global_store_dwordx2 v4, v[24:25], s[36:37] offset:512 sc1
.LBB3611_108:
	s_or_b64 exec, exec, s[0:1]
	v_cmp_eq_u32_e64 s[0:1], 0, v55
	v_mov_b32_e32 v52, 0
	s_waitcnt lgkmcnt(0)
	v_cndmask_b32_e64 v2, v2, v3, s[0:1]
	v_cndmask_b32_e64 v2, v2, 0, vcc
	v_add_u32_e32 v3, v2, v51
	v_add_u32_e32 v4, v3, v53
	;; [unrolled: 1-line block ×14, first 2 shown]
	s_barrier
.LBB3611_109:
	v_add_u32_e32 v21, v24, v21
	v_sub_u32_e32 v2, v2, v52
	v_and_b32_e32 v47, 1, v18
	v_sub_u32_e32 v46, v21, v2
	v_cmp_eq_u32_e32 vcc, 1, v47
	v_lshrrev_b32_e32 v45, 8, v18
	v_lshrrev_b32_e32 v25, 8, v19
	v_cndmask_b32_e32 v2, v46, v2, vcc
	v_lshlrev_b32_e32 v2, 2, v2
	ds_write_b32 v2, v38
	v_sub_u32_e32 v2, v3, v52
	v_sub_u32_e32 v3, v21, v2
	v_and_b32_e32 v38, 1, v45
	v_add_u32_e32 v3, 1, v3
	v_cmp_eq_u32_e32 vcc, 1, v38
	v_lshrrev_b32_e32 v17, 8, v20
	s_add_u32 s0, s26, s24
	v_cndmask_b32_e32 v2, v3, v2, vcc
	v_lshlrev_b32_e32 v2, 2, v2
	ds_write_b32 v2, v39
	v_sub_u32_e32 v2, v4, v52
	v_mov_b32_e32 v4, 1
	v_sub_u32_e32 v3, v21, v2
	v_and_b32_sdwa v18, v4, v18 dst_sel:DWORD dst_unused:UNUSED_PAD src0_sel:DWORD src1_sel:WORD_1
	v_add_u32_e32 v3, 2, v3
	v_cmp_eq_u32_e32 vcc, 1, v18
	s_addc_u32 s1, s27, 0
	s_sub_u32 s0, s28, s0
	v_cndmask_b32_e32 v2, v3, v2, vcc
	v_lshlrev_b32_e32 v2, 2, v2
	ds_write_b32 v2, v36
	v_sub_u32_e32 v2, v5, v52
	v_sub_u32_e32 v3, v21, v2
	v_and_b32_e32 v5, 1, v44
	v_add_u32_e32 v3, 3, v3
	v_cmp_eq_u32_e32 vcc, 1, v5
	v_and_b32_e32 v5, 1, v19
	s_subb_u32 s1, s29, s1
	v_cndmask_b32_e32 v2, v3, v2, vcc
	v_lshlrev_b32_e32 v2, 2, v2
	ds_write_b32 v2, v37
	v_sub_u32_e32 v2, v6, v52
	v_sub_u32_e32 v3, v21, v2
	v_add_u32_e32 v3, 4, v3
	v_cmp_eq_u32_e32 vcc, 1, v5
	v_and_b32_e32 v5, 1, v25
	v_or_b32_e32 v50, 0x200, v0
	v_cndmask_b32_e32 v2, v3, v2, vcc
	v_lshlrev_b32_e32 v2, 2, v2
	ds_write_b32 v2, v34
	v_sub_u32_e32 v2, v7, v52
	v_sub_u32_e32 v3, v21, v2
	v_add_u32_e32 v3, 5, v3
	v_cmp_eq_u32_e32 vcc, 1, v5
	v_and_b32_sdwa v5, v4, v19 dst_sel:DWORD dst_unused:UNUSED_PAD src0_sel:DWORD src1_sel:WORD_1
	v_and_b32_sdwa v4, v4, v20 dst_sel:DWORD dst_unused:UNUSED_PAD src0_sel:DWORD src1_sel:WORD_1
	v_cndmask_b32_e32 v2, v3, v2, vcc
	v_lshlrev_b32_e32 v2, 2, v2
	ds_write_b32 v2, v35
	v_sub_u32_e32 v2, v8, v52
	v_sub_u32_e32 v3, v21, v2
	v_add_u32_e32 v3, 6, v3
	v_cmp_eq_u32_e32 vcc, 1, v5
	v_and_b32_e32 v5, 1, v43
	v_or_b32_e32 v46, 0x400, v0
	v_cndmask_b32_e32 v2, v3, v2, vcc
	v_lshlrev_b32_e32 v2, 2, v2
	ds_write_b32 v2, v32
	v_sub_u32_e32 v2, v9, v52
	v_sub_u32_e32 v3, v21, v2
	v_add_u32_e32 v3, 7, v3
	v_cmp_eq_u32_e32 vcc, 1, v5
	v_and_b32_e32 v5, 1, v20
	v_or_b32_e32 v44, 0x600, v0
	;; [unrolled: 9-line block ×3, first 2 shown]
	v_cndmask_b32_e32 v2, v3, v2, vcc
	v_lshlrev_b32_e32 v2, 2, v2
	ds_write_b32 v2, v30
	v_sub_u32_e32 v2, v11, v52
	v_sub_u32_e32 v3, v21, v2
	v_add_u32_e32 v3, 9, v3
	v_cmp_eq_u32_e32 vcc, 1, v5
	v_or_b32_e32 v34, 0xc00, v0
	v_or_b32_e32 v32, 0xe00, v0
	v_cndmask_b32_e32 v2, v3, v2, vcc
	v_lshlrev_b32_e32 v2, 2, v2
	ds_write_b32 v2, v31
	v_sub_u32_e32 v2, v12, v52
	v_sub_u32_e32 v3, v21, v2
	v_add_u32_e32 v3, 10, v3
	v_cmp_eq_u32_e32 vcc, 1, v4
	v_and_b32_e32 v4, 1, v41
	v_or_b32_e32 v18, 0x1400, v0
	v_cndmask_b32_e32 v2, v3, v2, vcc
	v_lshlrev_b32_e32 v2, 2, v2
	ds_write_b32 v2, v28
	v_sub_u32_e32 v2, v13, v52
	v_sub_u32_e32 v3, v21, v2
	v_add_u32_e32 v3, 11, v3
	v_cmp_eq_u32_e32 vcc, 1, v4
	v_or_b32_e32 v28, 0x1000, v0
	v_or_b32_e32 v12, 0x1800, v0
	v_cndmask_b32_e32 v2, v3, v2, vcc
	v_lshlrev_b32_e32 v2, 2, v2
	ds_write_b32 v2, v29
	v_sub_u32_e32 v2, v14, v52
	v_sub_u32_e32 v3, v21, v2
	v_add_u32_e32 v3, 12, v3
	v_cmp_eq_u32_e32 vcc, 1, v42
	v_or_b32_e32 v10, 0x1a00, v0
	v_or_b32_e32 v4, 0x1c00, v0
	v_cndmask_b32_e32 v2, v3, v2, vcc
	v_lshlrev_b32_e32 v2, 2, v2
	ds_write_b32 v2, v26
	v_sub_u32_e32 v2, v15, v52
	v_sub_u32_e32 v3, v21, v2
	v_add_u32_e32 v3, 13, v3
	v_cmp_eq_u32_e32 vcc, 1, v40
	v_or_b32_e32 v40, 0x800, v0
	v_or_b32_e32 v26, 0x1200, v0
	v_cndmask_b32_e32 v2, v3, v2, vcc
	v_lshlrev_b32_e32 v2, 2, v2
	ds_write_b32 v2, v27
	v_sub_u32_e32 v2, v16, v52
	v_sub_u32_e32 v3, v21, v2
	v_add_u32_e32 v3, 14, v3
	v_cmp_eq_u32_e32 vcc, 1, v23
	v_or_b32_e32 v16, 0x1600, v0
	s_nop 0
	v_cndmask_b32_e32 v2, v3, v2, vcc
	v_lshlrev_b32_e32 v2, 2, v2
	ds_write_b32 v2, v1
	s_waitcnt lgkmcnt(0)
	s_barrier
	ds_read2st64_b32 v[48:49], v22 offset1:8
	ds_read2st64_b32 v[42:43], v22 offset0:16 offset1:24
	ds_read2st64_b32 v[36:37], v22 offset0:32 offset1:40
	;; [unrolled: 1-line block ×6, first 2 shown]
	ds_read_b32 v54, v22 offset:28672
	v_mov_b32_e32 v1, 0
	v_mov_b32_e32 v53, v1
	;; [unrolled: 1-line block ×3, first 2 shown]
	v_lshl_add_u64 v[2:3], s[30:31], 0, v[52:53]
	v_lshl_add_u64 v[6:7], s[0:1], 0, v[24:25]
	v_mov_b32_e32 v51, v1
	v_mov_b32_e32 v47, v1
	;; [unrolled: 1-line block ×14, first 2 shown]
	s_andn2_b64 vcc, exec, s[34:35]
	v_lshl_add_u64 v[6:7], v[6:7], 0, v[2:3]
	s_cbranch_vccnz .LBB3611_171
; %bb.110:
	v_cmp_ge_u32_e32 vcc, v0, v24
                                        ; implicit-def: $vgpr22_vgpr23
	s_and_saveexec_b64 s[0:1], vcc
	s_xor_b64 s[0:1], exec, s[0:1]
; %bb.111:
	v_not_b32_e32 v22, v0
	v_ashrrev_i32_e32 v23, 31, v22
	v_lshl_add_u64 v[22:23], v[6:7], 0, v[22:23]
; %bb.112:
	s_andn2_saveexec_b64 s[0:1], s[0:1]
; %bb.113:
	v_lshl_add_u64 v[22:23], v[2:3], 0, v[0:1]
; %bb.114:
	s_or_b64 exec, exec, s[0:1]
	v_lshl_add_u64 v[22:23], v[22:23], 2, s[2:3]
	v_cmp_ge_u32_e32 vcc, v50, v24
	s_waitcnt lgkmcnt(7)
	global_store_dword v[22:23], v48, off
                                        ; implicit-def: $vgpr22_vgpr23
	s_and_saveexec_b64 s[0:1], vcc
	s_xor_b64 s[0:1], exec, s[0:1]
; %bb.115:
	v_xor_b32_e32 v22, 0xfffffdff, v0
	v_ashrrev_i32_e32 v23, 31, v22
	v_lshl_add_u64 v[22:23], v[6:7], 0, v[22:23]
; %bb.116:
	s_andn2_saveexec_b64 s[0:1], s[0:1]
; %bb.117:
	v_lshl_add_u64 v[22:23], v[2:3], 0, v[50:51]
; %bb.118:
	s_or_b64 exec, exec, s[0:1]
	v_lshl_add_u64 v[22:23], v[22:23], 2, s[2:3]
	v_cmp_ge_u32_e32 vcc, v46, v24
	global_store_dword v[22:23], v49, off
                                        ; implicit-def: $vgpr22_vgpr23
	s_and_saveexec_b64 s[0:1], vcc
	s_xor_b64 s[0:1], exec, s[0:1]
; %bb.119:
	v_xor_b32_e32 v22, 0xfffffbff, v0
	v_ashrrev_i32_e32 v23, 31, v22
	v_lshl_add_u64 v[22:23], v[6:7], 0, v[22:23]
; %bb.120:
	s_andn2_saveexec_b64 s[0:1], s[0:1]
; %bb.121:
	v_lshl_add_u64 v[22:23], v[2:3], 0, v[46:47]
; %bb.122:
	s_or_b64 exec, exec, s[0:1]
	v_lshl_add_u64 v[22:23], v[22:23], 2, s[2:3]
	v_cmp_ge_u32_e32 vcc, v44, v24
	s_waitcnt lgkmcnt(6)
	global_store_dword v[22:23], v42, off
                                        ; implicit-def: $vgpr22_vgpr23
	s_and_saveexec_b64 s[0:1], vcc
	s_xor_b64 s[0:1], exec, s[0:1]
; %bb.123:
	v_xor_b32_e32 v22, 0xfffff9ff, v0
	v_ashrrev_i32_e32 v23, 31, v22
	v_lshl_add_u64 v[22:23], v[6:7], 0, v[22:23]
; %bb.124:
	s_andn2_saveexec_b64 s[0:1], s[0:1]
; %bb.125:
	v_lshl_add_u64 v[22:23], v[2:3], 0, v[44:45]
; %bb.126:
	s_or_b64 exec, exec, s[0:1]
	v_lshl_add_u64 v[22:23], v[22:23], 2, s[2:3]
	v_cmp_ge_u32_e32 vcc, v40, v24
	global_store_dword v[22:23], v43, off
                                        ; implicit-def: $vgpr22_vgpr23
	s_and_saveexec_b64 s[0:1], vcc
	s_xor_b64 s[0:1], exec, s[0:1]
; %bb.127:
	v_xor_b32_e32 v22, 0xfffff7ff, v0
	;; [unrolled: 33-line block ×7, first 2 shown]
	v_ashrrev_i32_e32 v23, 31, v22
	v_lshl_add_u64 v[22:23], v[6:7], 0, v[22:23]
; %bb.168:
	s_andn2_saveexec_b64 s[0:1], s[0:1]
; %bb.169:
	v_lshl_add_u64 v[22:23], v[2:3], 0, v[4:5]
; %bb.170:
	s_or_b64 exec, exec, s[0:1]
	s_mov_b64 s[0:1], -1
	s_branch .LBB3611_263
.LBB3611_171:
	s_mov_b64 s[0:1], 0
                                        ; implicit-def: $vgpr22_vgpr23
	s_cbranch_execz .LBB3611_263
; %bb.172:
	v_cmp_gt_u32_e32 vcc, s33, v0
	s_and_saveexec_b64 s[4:5], vcc
	s_cbranch_execz .LBB3611_214
; %bb.173:
	v_cmp_ge_u32_e32 vcc, v0, v24
                                        ; implicit-def: $vgpr22_vgpr23
	s_and_saveexec_b64 s[6:7], vcc
	s_xor_b64 s[6:7], exec, s[6:7]
; %bb.174:
	v_not_b32_e32 v22, v0
	v_ashrrev_i32_e32 v23, 31, v22
	v_lshl_add_u64 v[22:23], v[6:7], 0, v[22:23]
; %bb.175:
	s_andn2_saveexec_b64 s[6:7], s[6:7]
; %bb.176:
	v_lshl_add_u64 v[22:23], v[2:3], 0, v[0:1]
; %bb.177:
	s_or_b64 exec, exec, s[6:7]
	v_lshl_add_u64 v[22:23], v[22:23], 2, s[2:3]
	s_waitcnt lgkmcnt(7)
	global_store_dword v[22:23], v48, off
	s_or_b64 exec, exec, s[4:5]
	v_cmp_gt_u32_e32 vcc, s33, v50
	s_and_saveexec_b64 s[4:5], vcc
	s_cbranch_execnz .LBB3611_215
.LBB3611_178:
	s_or_b64 exec, exec, s[4:5]
	v_cmp_gt_u32_e32 vcc, s33, v46
	s_and_saveexec_b64 s[4:5], vcc
	s_cbranch_execz .LBB3611_220
.LBB3611_179:
	v_cmp_ge_u32_e32 vcc, v46, v24
                                        ; implicit-def: $vgpr22_vgpr23
	s_and_saveexec_b64 s[6:7], vcc
	s_xor_b64 s[6:7], exec, s[6:7]
; %bb.180:
	v_xor_b32_e32 v22, 0xfffffbff, v0
	v_ashrrev_i32_e32 v23, 31, v22
	v_lshl_add_u64 v[22:23], v[6:7], 0, v[22:23]
                                        ; implicit-def: $vgpr46_vgpr47
; %bb.181:
	s_andn2_saveexec_b64 s[6:7], s[6:7]
; %bb.182:
	v_lshl_add_u64 v[22:23], v[2:3], 0, v[46:47]
; %bb.183:
	s_or_b64 exec, exec, s[6:7]
	v_lshl_add_u64 v[22:23], v[22:23], 2, s[2:3]
	s_waitcnt lgkmcnt(6)
	global_store_dword v[22:23], v42, off
	s_or_b64 exec, exec, s[4:5]
	v_cmp_gt_u32_e32 vcc, s33, v44
	s_and_saveexec_b64 s[4:5], vcc
	s_cbranch_execnz .LBB3611_221
.LBB3611_184:
	s_or_b64 exec, exec, s[4:5]
	v_cmp_gt_u32_e32 vcc, s33, v40
	s_and_saveexec_b64 s[4:5], vcc
	s_cbranch_execz .LBB3611_226
.LBB3611_185:
	v_cmp_ge_u32_e32 vcc, v40, v24
                                        ; implicit-def: $vgpr22_vgpr23
	s_and_saveexec_b64 s[6:7], vcc
	s_xor_b64 s[6:7], exec, s[6:7]
; %bb.186:
	v_xor_b32_e32 v22, 0xfffff7ff, v0
	v_ashrrev_i32_e32 v23, 31, v22
	v_lshl_add_u64 v[22:23], v[6:7], 0, v[22:23]
                                        ; implicit-def: $vgpr40_vgpr41
; %bb.187:
	s_andn2_saveexec_b64 s[6:7], s[6:7]
; %bb.188:
	v_lshl_add_u64 v[22:23], v[2:3], 0, v[40:41]
; %bb.189:
	s_or_b64 exec, exec, s[6:7]
	v_lshl_add_u64 v[22:23], v[22:23], 2, s[2:3]
	s_waitcnt lgkmcnt(5)
	global_store_dword v[22:23], v36, off
	s_or_b64 exec, exec, s[4:5]
	v_cmp_gt_u32_e32 vcc, s33, v38
	s_and_saveexec_b64 s[4:5], vcc
	s_cbranch_execnz .LBB3611_227
.LBB3611_190:
	s_or_b64 exec, exec, s[4:5]
	v_cmp_gt_u32_e32 vcc, s33, v34
	s_and_saveexec_b64 s[4:5], vcc
	s_cbranch_execz .LBB3611_232
.LBB3611_191:
	v_cmp_ge_u32_e32 vcc, v34, v24
                                        ; implicit-def: $vgpr22_vgpr23
	s_and_saveexec_b64 s[6:7], vcc
	s_xor_b64 s[6:7], exec, s[6:7]
; %bb.192:
	v_xor_b32_e32 v22, 0xfffff3ff, v0
	v_ashrrev_i32_e32 v23, 31, v22
	v_lshl_add_u64 v[22:23], v[6:7], 0, v[22:23]
                                        ; implicit-def: $vgpr34_vgpr35
; %bb.193:
	s_andn2_saveexec_b64 s[6:7], s[6:7]
; %bb.194:
	v_lshl_add_u64 v[22:23], v[2:3], 0, v[34:35]
; %bb.195:
	s_or_b64 exec, exec, s[6:7]
	v_lshl_add_u64 v[22:23], v[22:23], 2, s[2:3]
	s_waitcnt lgkmcnt(4)
	global_store_dword v[22:23], v30, off
	s_or_b64 exec, exec, s[4:5]
	v_cmp_gt_u32_e32 vcc, s33, v32
	s_and_saveexec_b64 s[4:5], vcc
	s_cbranch_execnz .LBB3611_233
.LBB3611_196:
	s_or_b64 exec, exec, s[4:5]
	v_cmp_gt_u32_e32 vcc, s33, v28
	s_and_saveexec_b64 s[4:5], vcc
	s_cbranch_execz .LBB3611_238
.LBB3611_197:
	v_cmp_ge_u32_e32 vcc, v28, v24
                                        ; implicit-def: $vgpr22_vgpr23
	s_and_saveexec_b64 s[6:7], vcc
	s_xor_b64 s[6:7], exec, s[6:7]
; %bb.198:
	v_xor_b32_e32 v22, 0xffffefff, v0
	v_ashrrev_i32_e32 v23, 31, v22
	v_lshl_add_u64 v[22:23], v[6:7], 0, v[22:23]
                                        ; implicit-def: $vgpr28_vgpr29
; %bb.199:
	s_andn2_saveexec_b64 s[6:7], s[6:7]
; %bb.200:
	v_lshl_add_u64 v[22:23], v[2:3], 0, v[28:29]
; %bb.201:
	s_or_b64 exec, exec, s[6:7]
	v_lshl_add_u64 v[22:23], v[22:23], 2, s[2:3]
	s_waitcnt lgkmcnt(3)
	global_store_dword v[22:23], v20, off
	s_or_b64 exec, exec, s[4:5]
	v_cmp_gt_u32_e32 vcc, s33, v26
	s_and_saveexec_b64 s[4:5], vcc
	s_cbranch_execnz .LBB3611_239
.LBB3611_202:
	s_or_b64 exec, exec, s[4:5]
	v_cmp_gt_u32_e32 vcc, s33, v18
	s_and_saveexec_b64 s[4:5], vcc
	s_cbranch_execz .LBB3611_244
.LBB3611_203:
	v_cmp_ge_u32_e32 vcc, v18, v24
                                        ; implicit-def: $vgpr20_vgpr21
	s_and_saveexec_b64 s[6:7], vcc
	s_xor_b64 s[6:7], exec, s[6:7]
	s_cbranch_execz .LBB3611_205
; %bb.204:
	v_xor_b32_e32 v18, 0xffffebff, v0
	v_ashrrev_i32_e32 v19, 31, v18
	s_waitcnt lgkmcnt(3)
	v_lshl_add_u64 v[20:21], v[6:7], 0, v[18:19]
                                        ; implicit-def: $vgpr18_vgpr19
.LBB3611_205:
	s_andn2_saveexec_b64 s[6:7], s[6:7]
	s_cbranch_execz .LBB3611_207
; %bb.206:
	s_waitcnt lgkmcnt(3)
	v_lshl_add_u64 v[20:21], v[2:3], 0, v[18:19]
.LBB3611_207:
	s_or_b64 exec, exec, s[6:7]
	s_waitcnt lgkmcnt(3)
	v_lshl_add_u64 v[18:19], v[20:21], 2, s[2:3]
	s_waitcnt lgkmcnt(2)
	global_store_dword v[18:19], v14, off
	s_or_b64 exec, exec, s[4:5]
	v_cmp_gt_u32_e32 vcc, s33, v16
	s_and_saveexec_b64 s[4:5], vcc
	s_cbranch_execnz .LBB3611_245
.LBB3611_208:
	s_or_b64 exec, exec, s[4:5]
	v_cmp_gt_u32_e32 vcc, s33, v12
	s_and_saveexec_b64 s[4:5], vcc
	s_cbranch_execz .LBB3611_250
.LBB3611_209:
	v_cmp_ge_u32_e32 vcc, v12, v24
                                        ; implicit-def: $vgpr14_vgpr15
	s_and_saveexec_b64 s[6:7], vcc
	s_xor_b64 s[6:7], exec, s[6:7]
	s_cbranch_execz .LBB3611_211
; %bb.210:
	v_xor_b32_e32 v12, 0xffffe7ff, v0
	v_ashrrev_i32_e32 v13, 31, v12
	s_waitcnt lgkmcnt(2)
	v_lshl_add_u64 v[14:15], v[6:7], 0, v[12:13]
                                        ; implicit-def: $vgpr12_vgpr13
.LBB3611_211:
	s_andn2_saveexec_b64 s[6:7], s[6:7]
	s_cbranch_execz .LBB3611_213
; %bb.212:
	s_waitcnt lgkmcnt(2)
	v_lshl_add_u64 v[14:15], v[2:3], 0, v[12:13]
.LBB3611_213:
	s_or_b64 exec, exec, s[6:7]
	s_waitcnt lgkmcnt(2)
	v_lshl_add_u64 v[12:13], v[14:15], 2, s[2:3]
	s_waitcnt lgkmcnt(1)
	global_store_dword v[12:13], v8, off
	s_or_b64 exec, exec, s[4:5]
	v_cmp_gt_u32_e32 vcc, s33, v10
	s_and_saveexec_b64 s[4:5], vcc
	s_cbranch_execz .LBB3611_256
	s_branch .LBB3611_251
.LBB3611_214:
	s_or_b64 exec, exec, s[4:5]
	v_cmp_gt_u32_e32 vcc, s33, v50
	s_and_saveexec_b64 s[4:5], vcc
	s_cbranch_execz .LBB3611_178
.LBB3611_215:
	v_cmp_ge_u32_e32 vcc, v50, v24
                                        ; implicit-def: $vgpr22_vgpr23
	s_and_saveexec_b64 s[6:7], vcc
	s_xor_b64 s[6:7], exec, s[6:7]
; %bb.216:
	v_xor_b32_e32 v22, 0xfffffdff, v0
	v_ashrrev_i32_e32 v23, 31, v22
	v_lshl_add_u64 v[22:23], v[6:7], 0, v[22:23]
                                        ; implicit-def: $vgpr50_vgpr51
; %bb.217:
	s_andn2_saveexec_b64 s[6:7], s[6:7]
; %bb.218:
	v_lshl_add_u64 v[22:23], v[2:3], 0, v[50:51]
; %bb.219:
	s_or_b64 exec, exec, s[6:7]
	v_lshl_add_u64 v[22:23], v[22:23], 2, s[2:3]
	s_waitcnt lgkmcnt(7)
	global_store_dword v[22:23], v49, off
	s_or_b64 exec, exec, s[4:5]
	v_cmp_gt_u32_e32 vcc, s33, v46
	s_and_saveexec_b64 s[4:5], vcc
	s_cbranch_execnz .LBB3611_179
.LBB3611_220:
	s_or_b64 exec, exec, s[4:5]
	v_cmp_gt_u32_e32 vcc, s33, v44
	s_and_saveexec_b64 s[4:5], vcc
	s_cbranch_execz .LBB3611_184
.LBB3611_221:
	v_cmp_ge_u32_e32 vcc, v44, v24
                                        ; implicit-def: $vgpr22_vgpr23
	s_and_saveexec_b64 s[6:7], vcc
	s_xor_b64 s[6:7], exec, s[6:7]
; %bb.222:
	v_xor_b32_e32 v22, 0xfffff9ff, v0
	v_ashrrev_i32_e32 v23, 31, v22
	v_lshl_add_u64 v[22:23], v[6:7], 0, v[22:23]
                                        ; implicit-def: $vgpr44_vgpr45
; %bb.223:
	s_andn2_saveexec_b64 s[6:7], s[6:7]
; %bb.224:
	v_lshl_add_u64 v[22:23], v[2:3], 0, v[44:45]
; %bb.225:
	s_or_b64 exec, exec, s[6:7]
	v_lshl_add_u64 v[22:23], v[22:23], 2, s[2:3]
	s_waitcnt lgkmcnt(6)
	global_store_dword v[22:23], v43, off
	s_or_b64 exec, exec, s[4:5]
	v_cmp_gt_u32_e32 vcc, s33, v40
	s_and_saveexec_b64 s[4:5], vcc
	s_cbranch_execnz .LBB3611_185
.LBB3611_226:
	s_or_b64 exec, exec, s[4:5]
	v_cmp_gt_u32_e32 vcc, s33, v38
	s_and_saveexec_b64 s[4:5], vcc
	s_cbranch_execz .LBB3611_190
.LBB3611_227:
	v_cmp_ge_u32_e32 vcc, v38, v24
                                        ; implicit-def: $vgpr22_vgpr23
	s_and_saveexec_b64 s[6:7], vcc
	s_xor_b64 s[6:7], exec, s[6:7]
; %bb.228:
	v_xor_b32_e32 v22, 0xfffff5ff, v0
	v_ashrrev_i32_e32 v23, 31, v22
	v_lshl_add_u64 v[22:23], v[6:7], 0, v[22:23]
                                        ; implicit-def: $vgpr38_vgpr39
; %bb.229:
	s_andn2_saveexec_b64 s[6:7], s[6:7]
; %bb.230:
	v_lshl_add_u64 v[22:23], v[2:3], 0, v[38:39]
; %bb.231:
	s_or_b64 exec, exec, s[6:7]
	v_lshl_add_u64 v[22:23], v[22:23], 2, s[2:3]
	s_waitcnt lgkmcnt(5)
	global_store_dword v[22:23], v37, off
	s_or_b64 exec, exec, s[4:5]
	v_cmp_gt_u32_e32 vcc, s33, v34
	s_and_saveexec_b64 s[4:5], vcc
	s_cbranch_execnz .LBB3611_191
.LBB3611_232:
	s_or_b64 exec, exec, s[4:5]
	v_cmp_gt_u32_e32 vcc, s33, v32
	s_and_saveexec_b64 s[4:5], vcc
	s_cbranch_execz .LBB3611_196
.LBB3611_233:
	v_cmp_ge_u32_e32 vcc, v32, v24
                                        ; implicit-def: $vgpr22_vgpr23
	s_and_saveexec_b64 s[6:7], vcc
	s_xor_b64 s[6:7], exec, s[6:7]
; %bb.234:
	v_xor_b32_e32 v22, 0xfffff1ff, v0
	v_ashrrev_i32_e32 v23, 31, v22
	v_lshl_add_u64 v[22:23], v[6:7], 0, v[22:23]
                                        ; implicit-def: $vgpr32_vgpr33
; %bb.235:
	s_andn2_saveexec_b64 s[6:7], s[6:7]
; %bb.236:
	v_lshl_add_u64 v[22:23], v[2:3], 0, v[32:33]
; %bb.237:
	s_or_b64 exec, exec, s[6:7]
	v_lshl_add_u64 v[22:23], v[22:23], 2, s[2:3]
	s_waitcnt lgkmcnt(4)
	global_store_dword v[22:23], v31, off
	s_or_b64 exec, exec, s[4:5]
	v_cmp_gt_u32_e32 vcc, s33, v28
	s_and_saveexec_b64 s[4:5], vcc
	s_cbranch_execnz .LBB3611_197
.LBB3611_238:
	s_or_b64 exec, exec, s[4:5]
	v_cmp_gt_u32_e32 vcc, s33, v26
	s_and_saveexec_b64 s[4:5], vcc
	s_cbranch_execz .LBB3611_202
.LBB3611_239:
	v_cmp_ge_u32_e32 vcc, v26, v24
                                        ; implicit-def: $vgpr22_vgpr23
	s_and_saveexec_b64 s[6:7], vcc
	s_xor_b64 s[6:7], exec, s[6:7]
; %bb.240:
	v_xor_b32_e32 v22, 0xffffedff, v0
	v_ashrrev_i32_e32 v23, 31, v22
	v_lshl_add_u64 v[22:23], v[6:7], 0, v[22:23]
                                        ; implicit-def: $vgpr26_vgpr27
; %bb.241:
	s_andn2_saveexec_b64 s[6:7], s[6:7]
; %bb.242:
	v_lshl_add_u64 v[22:23], v[2:3], 0, v[26:27]
; %bb.243:
	s_or_b64 exec, exec, s[6:7]
	v_lshl_add_u64 v[22:23], v[22:23], 2, s[2:3]
	s_waitcnt lgkmcnt(3)
	global_store_dword v[22:23], v21, off
	s_or_b64 exec, exec, s[4:5]
	v_cmp_gt_u32_e32 vcc, s33, v18
	s_and_saveexec_b64 s[4:5], vcc
	s_cbranch_execnz .LBB3611_203
.LBB3611_244:
	s_or_b64 exec, exec, s[4:5]
	v_cmp_gt_u32_e32 vcc, s33, v16
	s_and_saveexec_b64 s[4:5], vcc
	s_cbranch_execz .LBB3611_208
.LBB3611_245:
	v_cmp_ge_u32_e32 vcc, v16, v24
                                        ; implicit-def: $vgpr18_vgpr19
	s_and_saveexec_b64 s[6:7], vcc
	s_xor_b64 s[6:7], exec, s[6:7]
; %bb.246:
	v_xor_b32_e32 v16, 0xffffe9ff, v0
	v_ashrrev_i32_e32 v17, 31, v16
	v_lshl_add_u64 v[18:19], v[6:7], 0, v[16:17]
                                        ; implicit-def: $vgpr16_vgpr17
; %bb.247:
	s_andn2_saveexec_b64 s[6:7], s[6:7]
; %bb.248:
	v_lshl_add_u64 v[18:19], v[2:3], 0, v[16:17]
; %bb.249:
	s_or_b64 exec, exec, s[6:7]
	v_lshl_add_u64 v[16:17], v[18:19], 2, s[2:3]
	s_waitcnt lgkmcnt(2)
	global_store_dword v[16:17], v15, off
	s_or_b64 exec, exec, s[4:5]
	v_cmp_gt_u32_e32 vcc, s33, v12
	s_and_saveexec_b64 s[4:5], vcc
	s_cbranch_execnz .LBB3611_209
.LBB3611_250:
	s_or_b64 exec, exec, s[4:5]
	v_cmp_gt_u32_e32 vcc, s33, v10
	s_and_saveexec_b64 s[4:5], vcc
	s_cbranch_execz .LBB3611_256
.LBB3611_251:
	v_cmp_ge_u32_e32 vcc, v10, v24
                                        ; implicit-def: $vgpr12_vgpr13
	s_and_saveexec_b64 s[6:7], vcc
	s_xor_b64 s[6:7], exec, s[6:7]
; %bb.252:
	v_xor_b32_e32 v10, 0xffffe5ff, v0
	v_ashrrev_i32_e32 v11, 31, v10
	v_lshl_add_u64 v[12:13], v[6:7], 0, v[10:11]
                                        ; implicit-def: $vgpr10_vgpr11
; %bb.253:
	s_andn2_saveexec_b64 s[6:7], s[6:7]
; %bb.254:
	v_lshl_add_u64 v[12:13], v[2:3], 0, v[10:11]
; %bb.255:
	s_or_b64 exec, exec, s[6:7]
	v_lshl_add_u64 v[10:11], v[12:13], 2, s[2:3]
	s_waitcnt lgkmcnt(1)
	global_store_dword v[10:11], v9, off
.LBB3611_256:
	s_or_b64 exec, exec, s[4:5]
	v_cmp_gt_u32_e32 vcc, s33, v4
                                        ; implicit-def: $vgpr22_vgpr23
	s_and_saveexec_b64 s[4:5], vcc
	s_cbranch_execz .LBB3611_262
; %bb.257:
	v_cmp_ge_u32_e32 vcc, v4, v24
                                        ; implicit-def: $vgpr22_vgpr23
	s_and_saveexec_b64 s[6:7], vcc
	s_xor_b64 s[6:7], exec, s[6:7]
; %bb.258:
	v_xor_b32_e32 v4, 0xffffe3ff, v0
	v_ashrrev_i32_e32 v5, 31, v4
	v_lshl_add_u64 v[22:23], v[6:7], 0, v[4:5]
                                        ; implicit-def: $vgpr4_vgpr5
; %bb.259:
	s_andn2_saveexec_b64 s[6:7], s[6:7]
; %bb.260:
	v_lshl_add_u64 v[22:23], v[2:3], 0, v[4:5]
; %bb.261:
	s_or_b64 exec, exec, s[6:7]
	s_or_b64 s[0:1], s[0:1], exec
.LBB3611_262:
	s_or_b64 exec, exec, s[4:5]
.LBB3611_263:
	s_and_saveexec_b64 s[4:5], s[0:1]
	s_cbranch_execz .LBB3611_265
; %bb.264:
	v_lshl_add_u64 v[4:5], v[22:23], 2, s[2:3]
	s_waitcnt lgkmcnt(0)
	global_store_dword v[4:5], v54, off
.LBB3611_265:
	s_or_b64 exec, exec, s[4:5]
	v_cmp_eq_u32_e32 vcc, 0, v0
	s_and_b64 s[0:1], vcc, s[22:23]
	s_and_saveexec_b64 s[2:3], s[0:1]
	s_cbranch_execz .LBB3611_267
; %bb.266:
	v_mov_b32_e32 v4, 0
	v_lshl_add_u64 v[0:1], v[2:3], 0, v[24:25]
	global_store_dwordx2 v4, v[0:1], s[20:21]
.LBB3611_267:
	s_endpgm
	.section	.rodata,"a",@progbits
	.p2align	6, 0x0
	.amdhsa_kernel _ZN7rocprim17ROCPRIM_400000_NS6detail17trampoline_kernelINS0_14default_configENS1_25partition_config_selectorILNS1_17partition_subalgoE2EiNS0_10empty_typeEbEEZZNS1_14partition_implILS5_2ELb0ES3_jN6thrust23THRUST_200600_302600_NS6detail15normal_iteratorINSA_7pointerIiNSA_11hip_rocprim3tagENSA_11use_defaultESG_EEEEPS6_NSA_18transform_iteratorI10is_orderedNSA_12zip_iteratorINSA_5tupleINSC_INSA_10device_ptrIiEEEESQ_NSA_9null_typeESR_SR_SR_SR_SR_SR_SR_EEEESG_SG_EENS0_5tupleIJPiSJ_EEENSV_IJSJ_SJ_EEES6_PlJS6_EEE10hipError_tPvRmT3_T4_T5_T6_T7_T9_mT8_P12ihipStream_tbDpT10_ENKUlT_T0_E_clISt17integral_constantIbLb1EES1I_IbLb0EEEEDaS1E_S1F_EUlS1E_E_NS1_11comp_targetILNS1_3genE5ELNS1_11target_archE942ELNS1_3gpuE9ELNS1_3repE0EEENS1_30default_config_static_selectorELNS0_4arch9wavefront6targetE1EEEvT1_
		.amdhsa_group_segment_fixed_size 30728
		.amdhsa_private_segment_fixed_size 0
		.amdhsa_kernarg_size 136
		.amdhsa_user_sgpr_count 2
		.amdhsa_user_sgpr_dispatch_ptr 0
		.amdhsa_user_sgpr_queue_ptr 0
		.amdhsa_user_sgpr_kernarg_segment_ptr 1
		.amdhsa_user_sgpr_dispatch_id 0
		.amdhsa_user_sgpr_kernarg_preload_length 0
		.amdhsa_user_sgpr_kernarg_preload_offset 0
		.amdhsa_user_sgpr_private_segment_size 0
		.amdhsa_uses_dynamic_stack 0
		.amdhsa_enable_private_segment 0
		.amdhsa_system_sgpr_workgroup_id_x 1
		.amdhsa_system_sgpr_workgroup_id_y 0
		.amdhsa_system_sgpr_workgroup_id_z 0
		.amdhsa_system_sgpr_workgroup_info 0
		.amdhsa_system_vgpr_workitem_id 0
		.amdhsa_next_free_vgpr 65
		.amdhsa_next_free_sgpr 46
		.amdhsa_accum_offset 68
		.amdhsa_reserve_vcc 1
		.amdhsa_float_round_mode_32 0
		.amdhsa_float_round_mode_16_64 0
		.amdhsa_float_denorm_mode_32 3
		.amdhsa_float_denorm_mode_16_64 3
		.amdhsa_dx10_clamp 1
		.amdhsa_ieee_mode 1
		.amdhsa_fp16_overflow 0
		.amdhsa_tg_split 0
		.amdhsa_exception_fp_ieee_invalid_op 0
		.amdhsa_exception_fp_denorm_src 0
		.amdhsa_exception_fp_ieee_div_zero 0
		.amdhsa_exception_fp_ieee_overflow 0
		.amdhsa_exception_fp_ieee_underflow 0
		.amdhsa_exception_fp_ieee_inexact 0
		.amdhsa_exception_int_div_zero 0
	.end_amdhsa_kernel
	.section	.text._ZN7rocprim17ROCPRIM_400000_NS6detail17trampoline_kernelINS0_14default_configENS1_25partition_config_selectorILNS1_17partition_subalgoE2EiNS0_10empty_typeEbEEZZNS1_14partition_implILS5_2ELb0ES3_jN6thrust23THRUST_200600_302600_NS6detail15normal_iteratorINSA_7pointerIiNSA_11hip_rocprim3tagENSA_11use_defaultESG_EEEEPS6_NSA_18transform_iteratorI10is_orderedNSA_12zip_iteratorINSA_5tupleINSC_INSA_10device_ptrIiEEEESQ_NSA_9null_typeESR_SR_SR_SR_SR_SR_SR_EEEESG_SG_EENS0_5tupleIJPiSJ_EEENSV_IJSJ_SJ_EEES6_PlJS6_EEE10hipError_tPvRmT3_T4_T5_T6_T7_T9_mT8_P12ihipStream_tbDpT10_ENKUlT_T0_E_clISt17integral_constantIbLb1EES1I_IbLb0EEEEDaS1E_S1F_EUlS1E_E_NS1_11comp_targetILNS1_3genE5ELNS1_11target_archE942ELNS1_3gpuE9ELNS1_3repE0EEENS1_30default_config_static_selectorELNS0_4arch9wavefront6targetE1EEEvT1_,"axG",@progbits,_ZN7rocprim17ROCPRIM_400000_NS6detail17trampoline_kernelINS0_14default_configENS1_25partition_config_selectorILNS1_17partition_subalgoE2EiNS0_10empty_typeEbEEZZNS1_14partition_implILS5_2ELb0ES3_jN6thrust23THRUST_200600_302600_NS6detail15normal_iteratorINSA_7pointerIiNSA_11hip_rocprim3tagENSA_11use_defaultESG_EEEEPS6_NSA_18transform_iteratorI10is_orderedNSA_12zip_iteratorINSA_5tupleINSC_INSA_10device_ptrIiEEEESQ_NSA_9null_typeESR_SR_SR_SR_SR_SR_SR_EEEESG_SG_EENS0_5tupleIJPiSJ_EEENSV_IJSJ_SJ_EEES6_PlJS6_EEE10hipError_tPvRmT3_T4_T5_T6_T7_T9_mT8_P12ihipStream_tbDpT10_ENKUlT_T0_E_clISt17integral_constantIbLb1EES1I_IbLb0EEEEDaS1E_S1F_EUlS1E_E_NS1_11comp_targetILNS1_3genE5ELNS1_11target_archE942ELNS1_3gpuE9ELNS1_3repE0EEENS1_30default_config_static_selectorELNS0_4arch9wavefront6targetE1EEEvT1_,comdat
.Lfunc_end3611:
	.size	_ZN7rocprim17ROCPRIM_400000_NS6detail17trampoline_kernelINS0_14default_configENS1_25partition_config_selectorILNS1_17partition_subalgoE2EiNS0_10empty_typeEbEEZZNS1_14partition_implILS5_2ELb0ES3_jN6thrust23THRUST_200600_302600_NS6detail15normal_iteratorINSA_7pointerIiNSA_11hip_rocprim3tagENSA_11use_defaultESG_EEEEPS6_NSA_18transform_iteratorI10is_orderedNSA_12zip_iteratorINSA_5tupleINSC_INSA_10device_ptrIiEEEESQ_NSA_9null_typeESR_SR_SR_SR_SR_SR_SR_EEEESG_SG_EENS0_5tupleIJPiSJ_EEENSV_IJSJ_SJ_EEES6_PlJS6_EEE10hipError_tPvRmT3_T4_T5_T6_T7_T9_mT8_P12ihipStream_tbDpT10_ENKUlT_T0_E_clISt17integral_constantIbLb1EES1I_IbLb0EEEEDaS1E_S1F_EUlS1E_E_NS1_11comp_targetILNS1_3genE5ELNS1_11target_archE942ELNS1_3gpuE9ELNS1_3repE0EEENS1_30default_config_static_selectorELNS0_4arch9wavefront6targetE1EEEvT1_, .Lfunc_end3611-_ZN7rocprim17ROCPRIM_400000_NS6detail17trampoline_kernelINS0_14default_configENS1_25partition_config_selectorILNS1_17partition_subalgoE2EiNS0_10empty_typeEbEEZZNS1_14partition_implILS5_2ELb0ES3_jN6thrust23THRUST_200600_302600_NS6detail15normal_iteratorINSA_7pointerIiNSA_11hip_rocprim3tagENSA_11use_defaultESG_EEEEPS6_NSA_18transform_iteratorI10is_orderedNSA_12zip_iteratorINSA_5tupleINSC_INSA_10device_ptrIiEEEESQ_NSA_9null_typeESR_SR_SR_SR_SR_SR_SR_EEEESG_SG_EENS0_5tupleIJPiSJ_EEENSV_IJSJ_SJ_EEES6_PlJS6_EEE10hipError_tPvRmT3_T4_T5_T6_T7_T9_mT8_P12ihipStream_tbDpT10_ENKUlT_T0_E_clISt17integral_constantIbLb1EES1I_IbLb0EEEEDaS1E_S1F_EUlS1E_E_NS1_11comp_targetILNS1_3genE5ELNS1_11target_archE942ELNS1_3gpuE9ELNS1_3repE0EEENS1_30default_config_static_selectorELNS0_4arch9wavefront6targetE1EEEvT1_
                                        ; -- End function
	.section	.AMDGPU.csdata,"",@progbits
; Kernel info:
; codeLenInByte = 9276
; NumSgprs: 52
; NumVgprs: 65
; NumAgprs: 0
; TotalNumVgprs: 65
; ScratchSize: 0
; MemoryBound: 0
; FloatMode: 240
; IeeeMode: 1
; LDSByteSize: 30728 bytes/workgroup (compile time only)
; SGPRBlocks: 6
; VGPRBlocks: 8
; NumSGPRsForWavesPerEU: 52
; NumVGPRsForWavesPerEU: 65
; AccumOffset: 68
; Occupancy: 4
; WaveLimiterHint : 1
; COMPUTE_PGM_RSRC2:SCRATCH_EN: 0
; COMPUTE_PGM_RSRC2:USER_SGPR: 2
; COMPUTE_PGM_RSRC2:TRAP_HANDLER: 0
; COMPUTE_PGM_RSRC2:TGID_X_EN: 1
; COMPUTE_PGM_RSRC2:TGID_Y_EN: 0
; COMPUTE_PGM_RSRC2:TGID_Z_EN: 0
; COMPUTE_PGM_RSRC2:TIDIG_COMP_CNT: 0
; COMPUTE_PGM_RSRC3_GFX90A:ACCUM_OFFSET: 16
; COMPUTE_PGM_RSRC3_GFX90A:TG_SPLIT: 0
	.section	.text._ZN7rocprim17ROCPRIM_400000_NS6detail17trampoline_kernelINS0_14default_configENS1_25partition_config_selectorILNS1_17partition_subalgoE2EiNS0_10empty_typeEbEEZZNS1_14partition_implILS5_2ELb0ES3_jN6thrust23THRUST_200600_302600_NS6detail15normal_iteratorINSA_7pointerIiNSA_11hip_rocprim3tagENSA_11use_defaultESG_EEEEPS6_NSA_18transform_iteratorI10is_orderedNSA_12zip_iteratorINSA_5tupleINSC_INSA_10device_ptrIiEEEESQ_NSA_9null_typeESR_SR_SR_SR_SR_SR_SR_EEEESG_SG_EENS0_5tupleIJPiSJ_EEENSV_IJSJ_SJ_EEES6_PlJS6_EEE10hipError_tPvRmT3_T4_T5_T6_T7_T9_mT8_P12ihipStream_tbDpT10_ENKUlT_T0_E_clISt17integral_constantIbLb1EES1I_IbLb0EEEEDaS1E_S1F_EUlS1E_E_NS1_11comp_targetILNS1_3genE4ELNS1_11target_archE910ELNS1_3gpuE8ELNS1_3repE0EEENS1_30default_config_static_selectorELNS0_4arch9wavefront6targetE1EEEvT1_,"axG",@progbits,_ZN7rocprim17ROCPRIM_400000_NS6detail17trampoline_kernelINS0_14default_configENS1_25partition_config_selectorILNS1_17partition_subalgoE2EiNS0_10empty_typeEbEEZZNS1_14partition_implILS5_2ELb0ES3_jN6thrust23THRUST_200600_302600_NS6detail15normal_iteratorINSA_7pointerIiNSA_11hip_rocprim3tagENSA_11use_defaultESG_EEEEPS6_NSA_18transform_iteratorI10is_orderedNSA_12zip_iteratorINSA_5tupleINSC_INSA_10device_ptrIiEEEESQ_NSA_9null_typeESR_SR_SR_SR_SR_SR_SR_EEEESG_SG_EENS0_5tupleIJPiSJ_EEENSV_IJSJ_SJ_EEES6_PlJS6_EEE10hipError_tPvRmT3_T4_T5_T6_T7_T9_mT8_P12ihipStream_tbDpT10_ENKUlT_T0_E_clISt17integral_constantIbLb1EES1I_IbLb0EEEEDaS1E_S1F_EUlS1E_E_NS1_11comp_targetILNS1_3genE4ELNS1_11target_archE910ELNS1_3gpuE8ELNS1_3repE0EEENS1_30default_config_static_selectorELNS0_4arch9wavefront6targetE1EEEvT1_,comdat
	.protected	_ZN7rocprim17ROCPRIM_400000_NS6detail17trampoline_kernelINS0_14default_configENS1_25partition_config_selectorILNS1_17partition_subalgoE2EiNS0_10empty_typeEbEEZZNS1_14partition_implILS5_2ELb0ES3_jN6thrust23THRUST_200600_302600_NS6detail15normal_iteratorINSA_7pointerIiNSA_11hip_rocprim3tagENSA_11use_defaultESG_EEEEPS6_NSA_18transform_iteratorI10is_orderedNSA_12zip_iteratorINSA_5tupleINSC_INSA_10device_ptrIiEEEESQ_NSA_9null_typeESR_SR_SR_SR_SR_SR_SR_EEEESG_SG_EENS0_5tupleIJPiSJ_EEENSV_IJSJ_SJ_EEES6_PlJS6_EEE10hipError_tPvRmT3_T4_T5_T6_T7_T9_mT8_P12ihipStream_tbDpT10_ENKUlT_T0_E_clISt17integral_constantIbLb1EES1I_IbLb0EEEEDaS1E_S1F_EUlS1E_E_NS1_11comp_targetILNS1_3genE4ELNS1_11target_archE910ELNS1_3gpuE8ELNS1_3repE0EEENS1_30default_config_static_selectorELNS0_4arch9wavefront6targetE1EEEvT1_ ; -- Begin function _ZN7rocprim17ROCPRIM_400000_NS6detail17trampoline_kernelINS0_14default_configENS1_25partition_config_selectorILNS1_17partition_subalgoE2EiNS0_10empty_typeEbEEZZNS1_14partition_implILS5_2ELb0ES3_jN6thrust23THRUST_200600_302600_NS6detail15normal_iteratorINSA_7pointerIiNSA_11hip_rocprim3tagENSA_11use_defaultESG_EEEEPS6_NSA_18transform_iteratorI10is_orderedNSA_12zip_iteratorINSA_5tupleINSC_INSA_10device_ptrIiEEEESQ_NSA_9null_typeESR_SR_SR_SR_SR_SR_SR_EEEESG_SG_EENS0_5tupleIJPiSJ_EEENSV_IJSJ_SJ_EEES6_PlJS6_EEE10hipError_tPvRmT3_T4_T5_T6_T7_T9_mT8_P12ihipStream_tbDpT10_ENKUlT_T0_E_clISt17integral_constantIbLb1EES1I_IbLb0EEEEDaS1E_S1F_EUlS1E_E_NS1_11comp_targetILNS1_3genE4ELNS1_11target_archE910ELNS1_3gpuE8ELNS1_3repE0EEENS1_30default_config_static_selectorELNS0_4arch9wavefront6targetE1EEEvT1_
	.globl	_ZN7rocprim17ROCPRIM_400000_NS6detail17trampoline_kernelINS0_14default_configENS1_25partition_config_selectorILNS1_17partition_subalgoE2EiNS0_10empty_typeEbEEZZNS1_14partition_implILS5_2ELb0ES3_jN6thrust23THRUST_200600_302600_NS6detail15normal_iteratorINSA_7pointerIiNSA_11hip_rocprim3tagENSA_11use_defaultESG_EEEEPS6_NSA_18transform_iteratorI10is_orderedNSA_12zip_iteratorINSA_5tupleINSC_INSA_10device_ptrIiEEEESQ_NSA_9null_typeESR_SR_SR_SR_SR_SR_SR_EEEESG_SG_EENS0_5tupleIJPiSJ_EEENSV_IJSJ_SJ_EEES6_PlJS6_EEE10hipError_tPvRmT3_T4_T5_T6_T7_T9_mT8_P12ihipStream_tbDpT10_ENKUlT_T0_E_clISt17integral_constantIbLb1EES1I_IbLb0EEEEDaS1E_S1F_EUlS1E_E_NS1_11comp_targetILNS1_3genE4ELNS1_11target_archE910ELNS1_3gpuE8ELNS1_3repE0EEENS1_30default_config_static_selectorELNS0_4arch9wavefront6targetE1EEEvT1_
	.p2align	8
	.type	_ZN7rocprim17ROCPRIM_400000_NS6detail17trampoline_kernelINS0_14default_configENS1_25partition_config_selectorILNS1_17partition_subalgoE2EiNS0_10empty_typeEbEEZZNS1_14partition_implILS5_2ELb0ES3_jN6thrust23THRUST_200600_302600_NS6detail15normal_iteratorINSA_7pointerIiNSA_11hip_rocprim3tagENSA_11use_defaultESG_EEEEPS6_NSA_18transform_iteratorI10is_orderedNSA_12zip_iteratorINSA_5tupleINSC_INSA_10device_ptrIiEEEESQ_NSA_9null_typeESR_SR_SR_SR_SR_SR_SR_EEEESG_SG_EENS0_5tupleIJPiSJ_EEENSV_IJSJ_SJ_EEES6_PlJS6_EEE10hipError_tPvRmT3_T4_T5_T6_T7_T9_mT8_P12ihipStream_tbDpT10_ENKUlT_T0_E_clISt17integral_constantIbLb1EES1I_IbLb0EEEEDaS1E_S1F_EUlS1E_E_NS1_11comp_targetILNS1_3genE4ELNS1_11target_archE910ELNS1_3gpuE8ELNS1_3repE0EEENS1_30default_config_static_selectorELNS0_4arch9wavefront6targetE1EEEvT1_,@function
_ZN7rocprim17ROCPRIM_400000_NS6detail17trampoline_kernelINS0_14default_configENS1_25partition_config_selectorILNS1_17partition_subalgoE2EiNS0_10empty_typeEbEEZZNS1_14partition_implILS5_2ELb0ES3_jN6thrust23THRUST_200600_302600_NS6detail15normal_iteratorINSA_7pointerIiNSA_11hip_rocprim3tagENSA_11use_defaultESG_EEEEPS6_NSA_18transform_iteratorI10is_orderedNSA_12zip_iteratorINSA_5tupleINSC_INSA_10device_ptrIiEEEESQ_NSA_9null_typeESR_SR_SR_SR_SR_SR_SR_EEEESG_SG_EENS0_5tupleIJPiSJ_EEENSV_IJSJ_SJ_EEES6_PlJS6_EEE10hipError_tPvRmT3_T4_T5_T6_T7_T9_mT8_P12ihipStream_tbDpT10_ENKUlT_T0_E_clISt17integral_constantIbLb1EES1I_IbLb0EEEEDaS1E_S1F_EUlS1E_E_NS1_11comp_targetILNS1_3genE4ELNS1_11target_archE910ELNS1_3gpuE8ELNS1_3repE0EEENS1_30default_config_static_selectorELNS0_4arch9wavefront6targetE1EEEvT1_: ; @_ZN7rocprim17ROCPRIM_400000_NS6detail17trampoline_kernelINS0_14default_configENS1_25partition_config_selectorILNS1_17partition_subalgoE2EiNS0_10empty_typeEbEEZZNS1_14partition_implILS5_2ELb0ES3_jN6thrust23THRUST_200600_302600_NS6detail15normal_iteratorINSA_7pointerIiNSA_11hip_rocprim3tagENSA_11use_defaultESG_EEEEPS6_NSA_18transform_iteratorI10is_orderedNSA_12zip_iteratorINSA_5tupleINSC_INSA_10device_ptrIiEEEESQ_NSA_9null_typeESR_SR_SR_SR_SR_SR_SR_EEEESG_SG_EENS0_5tupleIJPiSJ_EEENSV_IJSJ_SJ_EEES6_PlJS6_EEE10hipError_tPvRmT3_T4_T5_T6_T7_T9_mT8_P12ihipStream_tbDpT10_ENKUlT_T0_E_clISt17integral_constantIbLb1EES1I_IbLb0EEEEDaS1E_S1F_EUlS1E_E_NS1_11comp_targetILNS1_3genE4ELNS1_11target_archE910ELNS1_3gpuE8ELNS1_3repE0EEENS1_30default_config_static_selectorELNS0_4arch9wavefront6targetE1EEEvT1_
; %bb.0:
	.section	.rodata,"a",@progbits
	.p2align	6, 0x0
	.amdhsa_kernel _ZN7rocprim17ROCPRIM_400000_NS6detail17trampoline_kernelINS0_14default_configENS1_25partition_config_selectorILNS1_17partition_subalgoE2EiNS0_10empty_typeEbEEZZNS1_14partition_implILS5_2ELb0ES3_jN6thrust23THRUST_200600_302600_NS6detail15normal_iteratorINSA_7pointerIiNSA_11hip_rocprim3tagENSA_11use_defaultESG_EEEEPS6_NSA_18transform_iteratorI10is_orderedNSA_12zip_iteratorINSA_5tupleINSC_INSA_10device_ptrIiEEEESQ_NSA_9null_typeESR_SR_SR_SR_SR_SR_SR_EEEESG_SG_EENS0_5tupleIJPiSJ_EEENSV_IJSJ_SJ_EEES6_PlJS6_EEE10hipError_tPvRmT3_T4_T5_T6_T7_T9_mT8_P12ihipStream_tbDpT10_ENKUlT_T0_E_clISt17integral_constantIbLb1EES1I_IbLb0EEEEDaS1E_S1F_EUlS1E_E_NS1_11comp_targetILNS1_3genE4ELNS1_11target_archE910ELNS1_3gpuE8ELNS1_3repE0EEENS1_30default_config_static_selectorELNS0_4arch9wavefront6targetE1EEEvT1_
		.amdhsa_group_segment_fixed_size 0
		.amdhsa_private_segment_fixed_size 0
		.amdhsa_kernarg_size 136
		.amdhsa_user_sgpr_count 2
		.amdhsa_user_sgpr_dispatch_ptr 0
		.amdhsa_user_sgpr_queue_ptr 0
		.amdhsa_user_sgpr_kernarg_segment_ptr 1
		.amdhsa_user_sgpr_dispatch_id 0
		.amdhsa_user_sgpr_kernarg_preload_length 0
		.amdhsa_user_sgpr_kernarg_preload_offset 0
		.amdhsa_user_sgpr_private_segment_size 0
		.amdhsa_uses_dynamic_stack 0
		.amdhsa_enable_private_segment 0
		.amdhsa_system_sgpr_workgroup_id_x 1
		.amdhsa_system_sgpr_workgroup_id_y 0
		.amdhsa_system_sgpr_workgroup_id_z 0
		.amdhsa_system_sgpr_workgroup_info 0
		.amdhsa_system_vgpr_workitem_id 0
		.amdhsa_next_free_vgpr 1
		.amdhsa_next_free_sgpr 0
		.amdhsa_accum_offset 4
		.amdhsa_reserve_vcc 0
		.amdhsa_float_round_mode_32 0
		.amdhsa_float_round_mode_16_64 0
		.amdhsa_float_denorm_mode_32 3
		.amdhsa_float_denorm_mode_16_64 3
		.amdhsa_dx10_clamp 1
		.amdhsa_ieee_mode 1
		.amdhsa_fp16_overflow 0
		.amdhsa_tg_split 0
		.amdhsa_exception_fp_ieee_invalid_op 0
		.amdhsa_exception_fp_denorm_src 0
		.amdhsa_exception_fp_ieee_div_zero 0
		.amdhsa_exception_fp_ieee_overflow 0
		.amdhsa_exception_fp_ieee_underflow 0
		.amdhsa_exception_fp_ieee_inexact 0
		.amdhsa_exception_int_div_zero 0
	.end_amdhsa_kernel
	.section	.text._ZN7rocprim17ROCPRIM_400000_NS6detail17trampoline_kernelINS0_14default_configENS1_25partition_config_selectorILNS1_17partition_subalgoE2EiNS0_10empty_typeEbEEZZNS1_14partition_implILS5_2ELb0ES3_jN6thrust23THRUST_200600_302600_NS6detail15normal_iteratorINSA_7pointerIiNSA_11hip_rocprim3tagENSA_11use_defaultESG_EEEEPS6_NSA_18transform_iteratorI10is_orderedNSA_12zip_iteratorINSA_5tupleINSC_INSA_10device_ptrIiEEEESQ_NSA_9null_typeESR_SR_SR_SR_SR_SR_SR_EEEESG_SG_EENS0_5tupleIJPiSJ_EEENSV_IJSJ_SJ_EEES6_PlJS6_EEE10hipError_tPvRmT3_T4_T5_T6_T7_T9_mT8_P12ihipStream_tbDpT10_ENKUlT_T0_E_clISt17integral_constantIbLb1EES1I_IbLb0EEEEDaS1E_S1F_EUlS1E_E_NS1_11comp_targetILNS1_3genE4ELNS1_11target_archE910ELNS1_3gpuE8ELNS1_3repE0EEENS1_30default_config_static_selectorELNS0_4arch9wavefront6targetE1EEEvT1_,"axG",@progbits,_ZN7rocprim17ROCPRIM_400000_NS6detail17trampoline_kernelINS0_14default_configENS1_25partition_config_selectorILNS1_17partition_subalgoE2EiNS0_10empty_typeEbEEZZNS1_14partition_implILS5_2ELb0ES3_jN6thrust23THRUST_200600_302600_NS6detail15normal_iteratorINSA_7pointerIiNSA_11hip_rocprim3tagENSA_11use_defaultESG_EEEEPS6_NSA_18transform_iteratorI10is_orderedNSA_12zip_iteratorINSA_5tupleINSC_INSA_10device_ptrIiEEEESQ_NSA_9null_typeESR_SR_SR_SR_SR_SR_SR_EEEESG_SG_EENS0_5tupleIJPiSJ_EEENSV_IJSJ_SJ_EEES6_PlJS6_EEE10hipError_tPvRmT3_T4_T5_T6_T7_T9_mT8_P12ihipStream_tbDpT10_ENKUlT_T0_E_clISt17integral_constantIbLb1EES1I_IbLb0EEEEDaS1E_S1F_EUlS1E_E_NS1_11comp_targetILNS1_3genE4ELNS1_11target_archE910ELNS1_3gpuE8ELNS1_3repE0EEENS1_30default_config_static_selectorELNS0_4arch9wavefront6targetE1EEEvT1_,comdat
.Lfunc_end3612:
	.size	_ZN7rocprim17ROCPRIM_400000_NS6detail17trampoline_kernelINS0_14default_configENS1_25partition_config_selectorILNS1_17partition_subalgoE2EiNS0_10empty_typeEbEEZZNS1_14partition_implILS5_2ELb0ES3_jN6thrust23THRUST_200600_302600_NS6detail15normal_iteratorINSA_7pointerIiNSA_11hip_rocprim3tagENSA_11use_defaultESG_EEEEPS6_NSA_18transform_iteratorI10is_orderedNSA_12zip_iteratorINSA_5tupleINSC_INSA_10device_ptrIiEEEESQ_NSA_9null_typeESR_SR_SR_SR_SR_SR_SR_EEEESG_SG_EENS0_5tupleIJPiSJ_EEENSV_IJSJ_SJ_EEES6_PlJS6_EEE10hipError_tPvRmT3_T4_T5_T6_T7_T9_mT8_P12ihipStream_tbDpT10_ENKUlT_T0_E_clISt17integral_constantIbLb1EES1I_IbLb0EEEEDaS1E_S1F_EUlS1E_E_NS1_11comp_targetILNS1_3genE4ELNS1_11target_archE910ELNS1_3gpuE8ELNS1_3repE0EEENS1_30default_config_static_selectorELNS0_4arch9wavefront6targetE1EEEvT1_, .Lfunc_end3612-_ZN7rocprim17ROCPRIM_400000_NS6detail17trampoline_kernelINS0_14default_configENS1_25partition_config_selectorILNS1_17partition_subalgoE2EiNS0_10empty_typeEbEEZZNS1_14partition_implILS5_2ELb0ES3_jN6thrust23THRUST_200600_302600_NS6detail15normal_iteratorINSA_7pointerIiNSA_11hip_rocprim3tagENSA_11use_defaultESG_EEEEPS6_NSA_18transform_iteratorI10is_orderedNSA_12zip_iteratorINSA_5tupleINSC_INSA_10device_ptrIiEEEESQ_NSA_9null_typeESR_SR_SR_SR_SR_SR_SR_EEEESG_SG_EENS0_5tupleIJPiSJ_EEENSV_IJSJ_SJ_EEES6_PlJS6_EEE10hipError_tPvRmT3_T4_T5_T6_T7_T9_mT8_P12ihipStream_tbDpT10_ENKUlT_T0_E_clISt17integral_constantIbLb1EES1I_IbLb0EEEEDaS1E_S1F_EUlS1E_E_NS1_11comp_targetILNS1_3genE4ELNS1_11target_archE910ELNS1_3gpuE8ELNS1_3repE0EEENS1_30default_config_static_selectorELNS0_4arch9wavefront6targetE1EEEvT1_
                                        ; -- End function
	.section	.AMDGPU.csdata,"",@progbits
; Kernel info:
; codeLenInByte = 0
; NumSgprs: 6
; NumVgprs: 0
; NumAgprs: 0
; TotalNumVgprs: 0
; ScratchSize: 0
; MemoryBound: 0
; FloatMode: 240
; IeeeMode: 1
; LDSByteSize: 0 bytes/workgroup (compile time only)
; SGPRBlocks: 0
; VGPRBlocks: 0
; NumSGPRsForWavesPerEU: 6
; NumVGPRsForWavesPerEU: 1
; AccumOffset: 4
; Occupancy: 8
; WaveLimiterHint : 0
; COMPUTE_PGM_RSRC2:SCRATCH_EN: 0
; COMPUTE_PGM_RSRC2:USER_SGPR: 2
; COMPUTE_PGM_RSRC2:TRAP_HANDLER: 0
; COMPUTE_PGM_RSRC2:TGID_X_EN: 1
; COMPUTE_PGM_RSRC2:TGID_Y_EN: 0
; COMPUTE_PGM_RSRC2:TGID_Z_EN: 0
; COMPUTE_PGM_RSRC2:TIDIG_COMP_CNT: 0
; COMPUTE_PGM_RSRC3_GFX90A:ACCUM_OFFSET: 0
; COMPUTE_PGM_RSRC3_GFX90A:TG_SPLIT: 0
	.section	.text._ZN7rocprim17ROCPRIM_400000_NS6detail17trampoline_kernelINS0_14default_configENS1_25partition_config_selectorILNS1_17partition_subalgoE2EiNS0_10empty_typeEbEEZZNS1_14partition_implILS5_2ELb0ES3_jN6thrust23THRUST_200600_302600_NS6detail15normal_iteratorINSA_7pointerIiNSA_11hip_rocprim3tagENSA_11use_defaultESG_EEEEPS6_NSA_18transform_iteratorI10is_orderedNSA_12zip_iteratorINSA_5tupleINSC_INSA_10device_ptrIiEEEESQ_NSA_9null_typeESR_SR_SR_SR_SR_SR_SR_EEEESG_SG_EENS0_5tupleIJPiSJ_EEENSV_IJSJ_SJ_EEES6_PlJS6_EEE10hipError_tPvRmT3_T4_T5_T6_T7_T9_mT8_P12ihipStream_tbDpT10_ENKUlT_T0_E_clISt17integral_constantIbLb1EES1I_IbLb0EEEEDaS1E_S1F_EUlS1E_E_NS1_11comp_targetILNS1_3genE3ELNS1_11target_archE908ELNS1_3gpuE7ELNS1_3repE0EEENS1_30default_config_static_selectorELNS0_4arch9wavefront6targetE1EEEvT1_,"axG",@progbits,_ZN7rocprim17ROCPRIM_400000_NS6detail17trampoline_kernelINS0_14default_configENS1_25partition_config_selectorILNS1_17partition_subalgoE2EiNS0_10empty_typeEbEEZZNS1_14partition_implILS5_2ELb0ES3_jN6thrust23THRUST_200600_302600_NS6detail15normal_iteratorINSA_7pointerIiNSA_11hip_rocprim3tagENSA_11use_defaultESG_EEEEPS6_NSA_18transform_iteratorI10is_orderedNSA_12zip_iteratorINSA_5tupleINSC_INSA_10device_ptrIiEEEESQ_NSA_9null_typeESR_SR_SR_SR_SR_SR_SR_EEEESG_SG_EENS0_5tupleIJPiSJ_EEENSV_IJSJ_SJ_EEES6_PlJS6_EEE10hipError_tPvRmT3_T4_T5_T6_T7_T9_mT8_P12ihipStream_tbDpT10_ENKUlT_T0_E_clISt17integral_constantIbLb1EES1I_IbLb0EEEEDaS1E_S1F_EUlS1E_E_NS1_11comp_targetILNS1_3genE3ELNS1_11target_archE908ELNS1_3gpuE7ELNS1_3repE0EEENS1_30default_config_static_selectorELNS0_4arch9wavefront6targetE1EEEvT1_,comdat
	.protected	_ZN7rocprim17ROCPRIM_400000_NS6detail17trampoline_kernelINS0_14default_configENS1_25partition_config_selectorILNS1_17partition_subalgoE2EiNS0_10empty_typeEbEEZZNS1_14partition_implILS5_2ELb0ES3_jN6thrust23THRUST_200600_302600_NS6detail15normal_iteratorINSA_7pointerIiNSA_11hip_rocprim3tagENSA_11use_defaultESG_EEEEPS6_NSA_18transform_iteratorI10is_orderedNSA_12zip_iteratorINSA_5tupleINSC_INSA_10device_ptrIiEEEESQ_NSA_9null_typeESR_SR_SR_SR_SR_SR_SR_EEEESG_SG_EENS0_5tupleIJPiSJ_EEENSV_IJSJ_SJ_EEES6_PlJS6_EEE10hipError_tPvRmT3_T4_T5_T6_T7_T9_mT8_P12ihipStream_tbDpT10_ENKUlT_T0_E_clISt17integral_constantIbLb1EES1I_IbLb0EEEEDaS1E_S1F_EUlS1E_E_NS1_11comp_targetILNS1_3genE3ELNS1_11target_archE908ELNS1_3gpuE7ELNS1_3repE0EEENS1_30default_config_static_selectorELNS0_4arch9wavefront6targetE1EEEvT1_ ; -- Begin function _ZN7rocprim17ROCPRIM_400000_NS6detail17trampoline_kernelINS0_14default_configENS1_25partition_config_selectorILNS1_17partition_subalgoE2EiNS0_10empty_typeEbEEZZNS1_14partition_implILS5_2ELb0ES3_jN6thrust23THRUST_200600_302600_NS6detail15normal_iteratorINSA_7pointerIiNSA_11hip_rocprim3tagENSA_11use_defaultESG_EEEEPS6_NSA_18transform_iteratorI10is_orderedNSA_12zip_iteratorINSA_5tupleINSC_INSA_10device_ptrIiEEEESQ_NSA_9null_typeESR_SR_SR_SR_SR_SR_SR_EEEESG_SG_EENS0_5tupleIJPiSJ_EEENSV_IJSJ_SJ_EEES6_PlJS6_EEE10hipError_tPvRmT3_T4_T5_T6_T7_T9_mT8_P12ihipStream_tbDpT10_ENKUlT_T0_E_clISt17integral_constantIbLb1EES1I_IbLb0EEEEDaS1E_S1F_EUlS1E_E_NS1_11comp_targetILNS1_3genE3ELNS1_11target_archE908ELNS1_3gpuE7ELNS1_3repE0EEENS1_30default_config_static_selectorELNS0_4arch9wavefront6targetE1EEEvT1_
	.globl	_ZN7rocprim17ROCPRIM_400000_NS6detail17trampoline_kernelINS0_14default_configENS1_25partition_config_selectorILNS1_17partition_subalgoE2EiNS0_10empty_typeEbEEZZNS1_14partition_implILS5_2ELb0ES3_jN6thrust23THRUST_200600_302600_NS6detail15normal_iteratorINSA_7pointerIiNSA_11hip_rocprim3tagENSA_11use_defaultESG_EEEEPS6_NSA_18transform_iteratorI10is_orderedNSA_12zip_iteratorINSA_5tupleINSC_INSA_10device_ptrIiEEEESQ_NSA_9null_typeESR_SR_SR_SR_SR_SR_SR_EEEESG_SG_EENS0_5tupleIJPiSJ_EEENSV_IJSJ_SJ_EEES6_PlJS6_EEE10hipError_tPvRmT3_T4_T5_T6_T7_T9_mT8_P12ihipStream_tbDpT10_ENKUlT_T0_E_clISt17integral_constantIbLb1EES1I_IbLb0EEEEDaS1E_S1F_EUlS1E_E_NS1_11comp_targetILNS1_3genE3ELNS1_11target_archE908ELNS1_3gpuE7ELNS1_3repE0EEENS1_30default_config_static_selectorELNS0_4arch9wavefront6targetE1EEEvT1_
	.p2align	8
	.type	_ZN7rocprim17ROCPRIM_400000_NS6detail17trampoline_kernelINS0_14default_configENS1_25partition_config_selectorILNS1_17partition_subalgoE2EiNS0_10empty_typeEbEEZZNS1_14partition_implILS5_2ELb0ES3_jN6thrust23THRUST_200600_302600_NS6detail15normal_iteratorINSA_7pointerIiNSA_11hip_rocprim3tagENSA_11use_defaultESG_EEEEPS6_NSA_18transform_iteratorI10is_orderedNSA_12zip_iteratorINSA_5tupleINSC_INSA_10device_ptrIiEEEESQ_NSA_9null_typeESR_SR_SR_SR_SR_SR_SR_EEEESG_SG_EENS0_5tupleIJPiSJ_EEENSV_IJSJ_SJ_EEES6_PlJS6_EEE10hipError_tPvRmT3_T4_T5_T6_T7_T9_mT8_P12ihipStream_tbDpT10_ENKUlT_T0_E_clISt17integral_constantIbLb1EES1I_IbLb0EEEEDaS1E_S1F_EUlS1E_E_NS1_11comp_targetILNS1_3genE3ELNS1_11target_archE908ELNS1_3gpuE7ELNS1_3repE0EEENS1_30default_config_static_selectorELNS0_4arch9wavefront6targetE1EEEvT1_,@function
_ZN7rocprim17ROCPRIM_400000_NS6detail17trampoline_kernelINS0_14default_configENS1_25partition_config_selectorILNS1_17partition_subalgoE2EiNS0_10empty_typeEbEEZZNS1_14partition_implILS5_2ELb0ES3_jN6thrust23THRUST_200600_302600_NS6detail15normal_iteratorINSA_7pointerIiNSA_11hip_rocprim3tagENSA_11use_defaultESG_EEEEPS6_NSA_18transform_iteratorI10is_orderedNSA_12zip_iteratorINSA_5tupleINSC_INSA_10device_ptrIiEEEESQ_NSA_9null_typeESR_SR_SR_SR_SR_SR_SR_EEEESG_SG_EENS0_5tupleIJPiSJ_EEENSV_IJSJ_SJ_EEES6_PlJS6_EEE10hipError_tPvRmT3_T4_T5_T6_T7_T9_mT8_P12ihipStream_tbDpT10_ENKUlT_T0_E_clISt17integral_constantIbLb1EES1I_IbLb0EEEEDaS1E_S1F_EUlS1E_E_NS1_11comp_targetILNS1_3genE3ELNS1_11target_archE908ELNS1_3gpuE7ELNS1_3repE0EEENS1_30default_config_static_selectorELNS0_4arch9wavefront6targetE1EEEvT1_: ; @_ZN7rocprim17ROCPRIM_400000_NS6detail17trampoline_kernelINS0_14default_configENS1_25partition_config_selectorILNS1_17partition_subalgoE2EiNS0_10empty_typeEbEEZZNS1_14partition_implILS5_2ELb0ES3_jN6thrust23THRUST_200600_302600_NS6detail15normal_iteratorINSA_7pointerIiNSA_11hip_rocprim3tagENSA_11use_defaultESG_EEEEPS6_NSA_18transform_iteratorI10is_orderedNSA_12zip_iteratorINSA_5tupleINSC_INSA_10device_ptrIiEEEESQ_NSA_9null_typeESR_SR_SR_SR_SR_SR_SR_EEEESG_SG_EENS0_5tupleIJPiSJ_EEENSV_IJSJ_SJ_EEES6_PlJS6_EEE10hipError_tPvRmT3_T4_T5_T6_T7_T9_mT8_P12ihipStream_tbDpT10_ENKUlT_T0_E_clISt17integral_constantIbLb1EES1I_IbLb0EEEEDaS1E_S1F_EUlS1E_E_NS1_11comp_targetILNS1_3genE3ELNS1_11target_archE908ELNS1_3gpuE7ELNS1_3repE0EEENS1_30default_config_static_selectorELNS0_4arch9wavefront6targetE1EEEvT1_
; %bb.0:
	.section	.rodata,"a",@progbits
	.p2align	6, 0x0
	.amdhsa_kernel _ZN7rocprim17ROCPRIM_400000_NS6detail17trampoline_kernelINS0_14default_configENS1_25partition_config_selectorILNS1_17partition_subalgoE2EiNS0_10empty_typeEbEEZZNS1_14partition_implILS5_2ELb0ES3_jN6thrust23THRUST_200600_302600_NS6detail15normal_iteratorINSA_7pointerIiNSA_11hip_rocprim3tagENSA_11use_defaultESG_EEEEPS6_NSA_18transform_iteratorI10is_orderedNSA_12zip_iteratorINSA_5tupleINSC_INSA_10device_ptrIiEEEESQ_NSA_9null_typeESR_SR_SR_SR_SR_SR_SR_EEEESG_SG_EENS0_5tupleIJPiSJ_EEENSV_IJSJ_SJ_EEES6_PlJS6_EEE10hipError_tPvRmT3_T4_T5_T6_T7_T9_mT8_P12ihipStream_tbDpT10_ENKUlT_T0_E_clISt17integral_constantIbLb1EES1I_IbLb0EEEEDaS1E_S1F_EUlS1E_E_NS1_11comp_targetILNS1_3genE3ELNS1_11target_archE908ELNS1_3gpuE7ELNS1_3repE0EEENS1_30default_config_static_selectorELNS0_4arch9wavefront6targetE1EEEvT1_
		.amdhsa_group_segment_fixed_size 0
		.amdhsa_private_segment_fixed_size 0
		.amdhsa_kernarg_size 136
		.amdhsa_user_sgpr_count 2
		.amdhsa_user_sgpr_dispatch_ptr 0
		.amdhsa_user_sgpr_queue_ptr 0
		.amdhsa_user_sgpr_kernarg_segment_ptr 1
		.amdhsa_user_sgpr_dispatch_id 0
		.amdhsa_user_sgpr_kernarg_preload_length 0
		.amdhsa_user_sgpr_kernarg_preload_offset 0
		.amdhsa_user_sgpr_private_segment_size 0
		.amdhsa_uses_dynamic_stack 0
		.amdhsa_enable_private_segment 0
		.amdhsa_system_sgpr_workgroup_id_x 1
		.amdhsa_system_sgpr_workgroup_id_y 0
		.amdhsa_system_sgpr_workgroup_id_z 0
		.amdhsa_system_sgpr_workgroup_info 0
		.amdhsa_system_vgpr_workitem_id 0
		.amdhsa_next_free_vgpr 1
		.amdhsa_next_free_sgpr 0
		.amdhsa_accum_offset 4
		.amdhsa_reserve_vcc 0
		.amdhsa_float_round_mode_32 0
		.amdhsa_float_round_mode_16_64 0
		.amdhsa_float_denorm_mode_32 3
		.amdhsa_float_denorm_mode_16_64 3
		.amdhsa_dx10_clamp 1
		.amdhsa_ieee_mode 1
		.amdhsa_fp16_overflow 0
		.amdhsa_tg_split 0
		.amdhsa_exception_fp_ieee_invalid_op 0
		.amdhsa_exception_fp_denorm_src 0
		.amdhsa_exception_fp_ieee_div_zero 0
		.amdhsa_exception_fp_ieee_overflow 0
		.amdhsa_exception_fp_ieee_underflow 0
		.amdhsa_exception_fp_ieee_inexact 0
		.amdhsa_exception_int_div_zero 0
	.end_amdhsa_kernel
	.section	.text._ZN7rocprim17ROCPRIM_400000_NS6detail17trampoline_kernelINS0_14default_configENS1_25partition_config_selectorILNS1_17partition_subalgoE2EiNS0_10empty_typeEbEEZZNS1_14partition_implILS5_2ELb0ES3_jN6thrust23THRUST_200600_302600_NS6detail15normal_iteratorINSA_7pointerIiNSA_11hip_rocprim3tagENSA_11use_defaultESG_EEEEPS6_NSA_18transform_iteratorI10is_orderedNSA_12zip_iteratorINSA_5tupleINSC_INSA_10device_ptrIiEEEESQ_NSA_9null_typeESR_SR_SR_SR_SR_SR_SR_EEEESG_SG_EENS0_5tupleIJPiSJ_EEENSV_IJSJ_SJ_EEES6_PlJS6_EEE10hipError_tPvRmT3_T4_T5_T6_T7_T9_mT8_P12ihipStream_tbDpT10_ENKUlT_T0_E_clISt17integral_constantIbLb1EES1I_IbLb0EEEEDaS1E_S1F_EUlS1E_E_NS1_11comp_targetILNS1_3genE3ELNS1_11target_archE908ELNS1_3gpuE7ELNS1_3repE0EEENS1_30default_config_static_selectorELNS0_4arch9wavefront6targetE1EEEvT1_,"axG",@progbits,_ZN7rocprim17ROCPRIM_400000_NS6detail17trampoline_kernelINS0_14default_configENS1_25partition_config_selectorILNS1_17partition_subalgoE2EiNS0_10empty_typeEbEEZZNS1_14partition_implILS5_2ELb0ES3_jN6thrust23THRUST_200600_302600_NS6detail15normal_iteratorINSA_7pointerIiNSA_11hip_rocprim3tagENSA_11use_defaultESG_EEEEPS6_NSA_18transform_iteratorI10is_orderedNSA_12zip_iteratorINSA_5tupleINSC_INSA_10device_ptrIiEEEESQ_NSA_9null_typeESR_SR_SR_SR_SR_SR_SR_EEEESG_SG_EENS0_5tupleIJPiSJ_EEENSV_IJSJ_SJ_EEES6_PlJS6_EEE10hipError_tPvRmT3_T4_T5_T6_T7_T9_mT8_P12ihipStream_tbDpT10_ENKUlT_T0_E_clISt17integral_constantIbLb1EES1I_IbLb0EEEEDaS1E_S1F_EUlS1E_E_NS1_11comp_targetILNS1_3genE3ELNS1_11target_archE908ELNS1_3gpuE7ELNS1_3repE0EEENS1_30default_config_static_selectorELNS0_4arch9wavefront6targetE1EEEvT1_,comdat
.Lfunc_end3613:
	.size	_ZN7rocprim17ROCPRIM_400000_NS6detail17trampoline_kernelINS0_14default_configENS1_25partition_config_selectorILNS1_17partition_subalgoE2EiNS0_10empty_typeEbEEZZNS1_14partition_implILS5_2ELb0ES3_jN6thrust23THRUST_200600_302600_NS6detail15normal_iteratorINSA_7pointerIiNSA_11hip_rocprim3tagENSA_11use_defaultESG_EEEEPS6_NSA_18transform_iteratorI10is_orderedNSA_12zip_iteratorINSA_5tupleINSC_INSA_10device_ptrIiEEEESQ_NSA_9null_typeESR_SR_SR_SR_SR_SR_SR_EEEESG_SG_EENS0_5tupleIJPiSJ_EEENSV_IJSJ_SJ_EEES6_PlJS6_EEE10hipError_tPvRmT3_T4_T5_T6_T7_T9_mT8_P12ihipStream_tbDpT10_ENKUlT_T0_E_clISt17integral_constantIbLb1EES1I_IbLb0EEEEDaS1E_S1F_EUlS1E_E_NS1_11comp_targetILNS1_3genE3ELNS1_11target_archE908ELNS1_3gpuE7ELNS1_3repE0EEENS1_30default_config_static_selectorELNS0_4arch9wavefront6targetE1EEEvT1_, .Lfunc_end3613-_ZN7rocprim17ROCPRIM_400000_NS6detail17trampoline_kernelINS0_14default_configENS1_25partition_config_selectorILNS1_17partition_subalgoE2EiNS0_10empty_typeEbEEZZNS1_14partition_implILS5_2ELb0ES3_jN6thrust23THRUST_200600_302600_NS6detail15normal_iteratorINSA_7pointerIiNSA_11hip_rocprim3tagENSA_11use_defaultESG_EEEEPS6_NSA_18transform_iteratorI10is_orderedNSA_12zip_iteratorINSA_5tupleINSC_INSA_10device_ptrIiEEEESQ_NSA_9null_typeESR_SR_SR_SR_SR_SR_SR_EEEESG_SG_EENS0_5tupleIJPiSJ_EEENSV_IJSJ_SJ_EEES6_PlJS6_EEE10hipError_tPvRmT3_T4_T5_T6_T7_T9_mT8_P12ihipStream_tbDpT10_ENKUlT_T0_E_clISt17integral_constantIbLb1EES1I_IbLb0EEEEDaS1E_S1F_EUlS1E_E_NS1_11comp_targetILNS1_3genE3ELNS1_11target_archE908ELNS1_3gpuE7ELNS1_3repE0EEENS1_30default_config_static_selectorELNS0_4arch9wavefront6targetE1EEEvT1_
                                        ; -- End function
	.section	.AMDGPU.csdata,"",@progbits
; Kernel info:
; codeLenInByte = 0
; NumSgprs: 6
; NumVgprs: 0
; NumAgprs: 0
; TotalNumVgprs: 0
; ScratchSize: 0
; MemoryBound: 0
; FloatMode: 240
; IeeeMode: 1
; LDSByteSize: 0 bytes/workgroup (compile time only)
; SGPRBlocks: 0
; VGPRBlocks: 0
; NumSGPRsForWavesPerEU: 6
; NumVGPRsForWavesPerEU: 1
; AccumOffset: 4
; Occupancy: 8
; WaveLimiterHint : 0
; COMPUTE_PGM_RSRC2:SCRATCH_EN: 0
; COMPUTE_PGM_RSRC2:USER_SGPR: 2
; COMPUTE_PGM_RSRC2:TRAP_HANDLER: 0
; COMPUTE_PGM_RSRC2:TGID_X_EN: 1
; COMPUTE_PGM_RSRC2:TGID_Y_EN: 0
; COMPUTE_PGM_RSRC2:TGID_Z_EN: 0
; COMPUTE_PGM_RSRC2:TIDIG_COMP_CNT: 0
; COMPUTE_PGM_RSRC3_GFX90A:ACCUM_OFFSET: 0
; COMPUTE_PGM_RSRC3_GFX90A:TG_SPLIT: 0
	.section	.text._ZN7rocprim17ROCPRIM_400000_NS6detail17trampoline_kernelINS0_14default_configENS1_25partition_config_selectorILNS1_17partition_subalgoE2EiNS0_10empty_typeEbEEZZNS1_14partition_implILS5_2ELb0ES3_jN6thrust23THRUST_200600_302600_NS6detail15normal_iteratorINSA_7pointerIiNSA_11hip_rocprim3tagENSA_11use_defaultESG_EEEEPS6_NSA_18transform_iteratorI10is_orderedNSA_12zip_iteratorINSA_5tupleINSC_INSA_10device_ptrIiEEEESQ_NSA_9null_typeESR_SR_SR_SR_SR_SR_SR_EEEESG_SG_EENS0_5tupleIJPiSJ_EEENSV_IJSJ_SJ_EEES6_PlJS6_EEE10hipError_tPvRmT3_T4_T5_T6_T7_T9_mT8_P12ihipStream_tbDpT10_ENKUlT_T0_E_clISt17integral_constantIbLb1EES1I_IbLb0EEEEDaS1E_S1F_EUlS1E_E_NS1_11comp_targetILNS1_3genE2ELNS1_11target_archE906ELNS1_3gpuE6ELNS1_3repE0EEENS1_30default_config_static_selectorELNS0_4arch9wavefront6targetE1EEEvT1_,"axG",@progbits,_ZN7rocprim17ROCPRIM_400000_NS6detail17trampoline_kernelINS0_14default_configENS1_25partition_config_selectorILNS1_17partition_subalgoE2EiNS0_10empty_typeEbEEZZNS1_14partition_implILS5_2ELb0ES3_jN6thrust23THRUST_200600_302600_NS6detail15normal_iteratorINSA_7pointerIiNSA_11hip_rocprim3tagENSA_11use_defaultESG_EEEEPS6_NSA_18transform_iteratorI10is_orderedNSA_12zip_iteratorINSA_5tupleINSC_INSA_10device_ptrIiEEEESQ_NSA_9null_typeESR_SR_SR_SR_SR_SR_SR_EEEESG_SG_EENS0_5tupleIJPiSJ_EEENSV_IJSJ_SJ_EEES6_PlJS6_EEE10hipError_tPvRmT3_T4_T5_T6_T7_T9_mT8_P12ihipStream_tbDpT10_ENKUlT_T0_E_clISt17integral_constantIbLb1EES1I_IbLb0EEEEDaS1E_S1F_EUlS1E_E_NS1_11comp_targetILNS1_3genE2ELNS1_11target_archE906ELNS1_3gpuE6ELNS1_3repE0EEENS1_30default_config_static_selectorELNS0_4arch9wavefront6targetE1EEEvT1_,comdat
	.protected	_ZN7rocprim17ROCPRIM_400000_NS6detail17trampoline_kernelINS0_14default_configENS1_25partition_config_selectorILNS1_17partition_subalgoE2EiNS0_10empty_typeEbEEZZNS1_14partition_implILS5_2ELb0ES3_jN6thrust23THRUST_200600_302600_NS6detail15normal_iteratorINSA_7pointerIiNSA_11hip_rocprim3tagENSA_11use_defaultESG_EEEEPS6_NSA_18transform_iteratorI10is_orderedNSA_12zip_iteratorINSA_5tupleINSC_INSA_10device_ptrIiEEEESQ_NSA_9null_typeESR_SR_SR_SR_SR_SR_SR_EEEESG_SG_EENS0_5tupleIJPiSJ_EEENSV_IJSJ_SJ_EEES6_PlJS6_EEE10hipError_tPvRmT3_T4_T5_T6_T7_T9_mT8_P12ihipStream_tbDpT10_ENKUlT_T0_E_clISt17integral_constantIbLb1EES1I_IbLb0EEEEDaS1E_S1F_EUlS1E_E_NS1_11comp_targetILNS1_3genE2ELNS1_11target_archE906ELNS1_3gpuE6ELNS1_3repE0EEENS1_30default_config_static_selectorELNS0_4arch9wavefront6targetE1EEEvT1_ ; -- Begin function _ZN7rocprim17ROCPRIM_400000_NS6detail17trampoline_kernelINS0_14default_configENS1_25partition_config_selectorILNS1_17partition_subalgoE2EiNS0_10empty_typeEbEEZZNS1_14partition_implILS5_2ELb0ES3_jN6thrust23THRUST_200600_302600_NS6detail15normal_iteratorINSA_7pointerIiNSA_11hip_rocprim3tagENSA_11use_defaultESG_EEEEPS6_NSA_18transform_iteratorI10is_orderedNSA_12zip_iteratorINSA_5tupleINSC_INSA_10device_ptrIiEEEESQ_NSA_9null_typeESR_SR_SR_SR_SR_SR_SR_EEEESG_SG_EENS0_5tupleIJPiSJ_EEENSV_IJSJ_SJ_EEES6_PlJS6_EEE10hipError_tPvRmT3_T4_T5_T6_T7_T9_mT8_P12ihipStream_tbDpT10_ENKUlT_T0_E_clISt17integral_constantIbLb1EES1I_IbLb0EEEEDaS1E_S1F_EUlS1E_E_NS1_11comp_targetILNS1_3genE2ELNS1_11target_archE906ELNS1_3gpuE6ELNS1_3repE0EEENS1_30default_config_static_selectorELNS0_4arch9wavefront6targetE1EEEvT1_
	.globl	_ZN7rocprim17ROCPRIM_400000_NS6detail17trampoline_kernelINS0_14default_configENS1_25partition_config_selectorILNS1_17partition_subalgoE2EiNS0_10empty_typeEbEEZZNS1_14partition_implILS5_2ELb0ES3_jN6thrust23THRUST_200600_302600_NS6detail15normal_iteratorINSA_7pointerIiNSA_11hip_rocprim3tagENSA_11use_defaultESG_EEEEPS6_NSA_18transform_iteratorI10is_orderedNSA_12zip_iteratorINSA_5tupleINSC_INSA_10device_ptrIiEEEESQ_NSA_9null_typeESR_SR_SR_SR_SR_SR_SR_EEEESG_SG_EENS0_5tupleIJPiSJ_EEENSV_IJSJ_SJ_EEES6_PlJS6_EEE10hipError_tPvRmT3_T4_T5_T6_T7_T9_mT8_P12ihipStream_tbDpT10_ENKUlT_T0_E_clISt17integral_constantIbLb1EES1I_IbLb0EEEEDaS1E_S1F_EUlS1E_E_NS1_11comp_targetILNS1_3genE2ELNS1_11target_archE906ELNS1_3gpuE6ELNS1_3repE0EEENS1_30default_config_static_selectorELNS0_4arch9wavefront6targetE1EEEvT1_
	.p2align	8
	.type	_ZN7rocprim17ROCPRIM_400000_NS6detail17trampoline_kernelINS0_14default_configENS1_25partition_config_selectorILNS1_17partition_subalgoE2EiNS0_10empty_typeEbEEZZNS1_14partition_implILS5_2ELb0ES3_jN6thrust23THRUST_200600_302600_NS6detail15normal_iteratorINSA_7pointerIiNSA_11hip_rocprim3tagENSA_11use_defaultESG_EEEEPS6_NSA_18transform_iteratorI10is_orderedNSA_12zip_iteratorINSA_5tupleINSC_INSA_10device_ptrIiEEEESQ_NSA_9null_typeESR_SR_SR_SR_SR_SR_SR_EEEESG_SG_EENS0_5tupleIJPiSJ_EEENSV_IJSJ_SJ_EEES6_PlJS6_EEE10hipError_tPvRmT3_T4_T5_T6_T7_T9_mT8_P12ihipStream_tbDpT10_ENKUlT_T0_E_clISt17integral_constantIbLb1EES1I_IbLb0EEEEDaS1E_S1F_EUlS1E_E_NS1_11comp_targetILNS1_3genE2ELNS1_11target_archE906ELNS1_3gpuE6ELNS1_3repE0EEENS1_30default_config_static_selectorELNS0_4arch9wavefront6targetE1EEEvT1_,@function
_ZN7rocprim17ROCPRIM_400000_NS6detail17trampoline_kernelINS0_14default_configENS1_25partition_config_selectorILNS1_17partition_subalgoE2EiNS0_10empty_typeEbEEZZNS1_14partition_implILS5_2ELb0ES3_jN6thrust23THRUST_200600_302600_NS6detail15normal_iteratorINSA_7pointerIiNSA_11hip_rocprim3tagENSA_11use_defaultESG_EEEEPS6_NSA_18transform_iteratorI10is_orderedNSA_12zip_iteratorINSA_5tupleINSC_INSA_10device_ptrIiEEEESQ_NSA_9null_typeESR_SR_SR_SR_SR_SR_SR_EEEESG_SG_EENS0_5tupleIJPiSJ_EEENSV_IJSJ_SJ_EEES6_PlJS6_EEE10hipError_tPvRmT3_T4_T5_T6_T7_T9_mT8_P12ihipStream_tbDpT10_ENKUlT_T0_E_clISt17integral_constantIbLb1EES1I_IbLb0EEEEDaS1E_S1F_EUlS1E_E_NS1_11comp_targetILNS1_3genE2ELNS1_11target_archE906ELNS1_3gpuE6ELNS1_3repE0EEENS1_30default_config_static_selectorELNS0_4arch9wavefront6targetE1EEEvT1_: ; @_ZN7rocprim17ROCPRIM_400000_NS6detail17trampoline_kernelINS0_14default_configENS1_25partition_config_selectorILNS1_17partition_subalgoE2EiNS0_10empty_typeEbEEZZNS1_14partition_implILS5_2ELb0ES3_jN6thrust23THRUST_200600_302600_NS6detail15normal_iteratorINSA_7pointerIiNSA_11hip_rocprim3tagENSA_11use_defaultESG_EEEEPS6_NSA_18transform_iteratorI10is_orderedNSA_12zip_iteratorINSA_5tupleINSC_INSA_10device_ptrIiEEEESQ_NSA_9null_typeESR_SR_SR_SR_SR_SR_SR_EEEESG_SG_EENS0_5tupleIJPiSJ_EEENSV_IJSJ_SJ_EEES6_PlJS6_EEE10hipError_tPvRmT3_T4_T5_T6_T7_T9_mT8_P12ihipStream_tbDpT10_ENKUlT_T0_E_clISt17integral_constantIbLb1EES1I_IbLb0EEEEDaS1E_S1F_EUlS1E_E_NS1_11comp_targetILNS1_3genE2ELNS1_11target_archE906ELNS1_3gpuE6ELNS1_3repE0EEENS1_30default_config_static_selectorELNS0_4arch9wavefront6targetE1EEEvT1_
; %bb.0:
	.section	.rodata,"a",@progbits
	.p2align	6, 0x0
	.amdhsa_kernel _ZN7rocprim17ROCPRIM_400000_NS6detail17trampoline_kernelINS0_14default_configENS1_25partition_config_selectorILNS1_17partition_subalgoE2EiNS0_10empty_typeEbEEZZNS1_14partition_implILS5_2ELb0ES3_jN6thrust23THRUST_200600_302600_NS6detail15normal_iteratorINSA_7pointerIiNSA_11hip_rocprim3tagENSA_11use_defaultESG_EEEEPS6_NSA_18transform_iteratorI10is_orderedNSA_12zip_iteratorINSA_5tupleINSC_INSA_10device_ptrIiEEEESQ_NSA_9null_typeESR_SR_SR_SR_SR_SR_SR_EEEESG_SG_EENS0_5tupleIJPiSJ_EEENSV_IJSJ_SJ_EEES6_PlJS6_EEE10hipError_tPvRmT3_T4_T5_T6_T7_T9_mT8_P12ihipStream_tbDpT10_ENKUlT_T0_E_clISt17integral_constantIbLb1EES1I_IbLb0EEEEDaS1E_S1F_EUlS1E_E_NS1_11comp_targetILNS1_3genE2ELNS1_11target_archE906ELNS1_3gpuE6ELNS1_3repE0EEENS1_30default_config_static_selectorELNS0_4arch9wavefront6targetE1EEEvT1_
		.amdhsa_group_segment_fixed_size 0
		.amdhsa_private_segment_fixed_size 0
		.amdhsa_kernarg_size 136
		.amdhsa_user_sgpr_count 2
		.amdhsa_user_sgpr_dispatch_ptr 0
		.amdhsa_user_sgpr_queue_ptr 0
		.amdhsa_user_sgpr_kernarg_segment_ptr 1
		.amdhsa_user_sgpr_dispatch_id 0
		.amdhsa_user_sgpr_kernarg_preload_length 0
		.amdhsa_user_sgpr_kernarg_preload_offset 0
		.amdhsa_user_sgpr_private_segment_size 0
		.amdhsa_uses_dynamic_stack 0
		.amdhsa_enable_private_segment 0
		.amdhsa_system_sgpr_workgroup_id_x 1
		.amdhsa_system_sgpr_workgroup_id_y 0
		.amdhsa_system_sgpr_workgroup_id_z 0
		.amdhsa_system_sgpr_workgroup_info 0
		.amdhsa_system_vgpr_workitem_id 0
		.amdhsa_next_free_vgpr 1
		.amdhsa_next_free_sgpr 0
		.amdhsa_accum_offset 4
		.amdhsa_reserve_vcc 0
		.amdhsa_float_round_mode_32 0
		.amdhsa_float_round_mode_16_64 0
		.amdhsa_float_denorm_mode_32 3
		.amdhsa_float_denorm_mode_16_64 3
		.amdhsa_dx10_clamp 1
		.amdhsa_ieee_mode 1
		.amdhsa_fp16_overflow 0
		.amdhsa_tg_split 0
		.amdhsa_exception_fp_ieee_invalid_op 0
		.amdhsa_exception_fp_denorm_src 0
		.amdhsa_exception_fp_ieee_div_zero 0
		.amdhsa_exception_fp_ieee_overflow 0
		.amdhsa_exception_fp_ieee_underflow 0
		.amdhsa_exception_fp_ieee_inexact 0
		.amdhsa_exception_int_div_zero 0
	.end_amdhsa_kernel
	.section	.text._ZN7rocprim17ROCPRIM_400000_NS6detail17trampoline_kernelINS0_14default_configENS1_25partition_config_selectorILNS1_17partition_subalgoE2EiNS0_10empty_typeEbEEZZNS1_14partition_implILS5_2ELb0ES3_jN6thrust23THRUST_200600_302600_NS6detail15normal_iteratorINSA_7pointerIiNSA_11hip_rocprim3tagENSA_11use_defaultESG_EEEEPS6_NSA_18transform_iteratorI10is_orderedNSA_12zip_iteratorINSA_5tupleINSC_INSA_10device_ptrIiEEEESQ_NSA_9null_typeESR_SR_SR_SR_SR_SR_SR_EEEESG_SG_EENS0_5tupleIJPiSJ_EEENSV_IJSJ_SJ_EEES6_PlJS6_EEE10hipError_tPvRmT3_T4_T5_T6_T7_T9_mT8_P12ihipStream_tbDpT10_ENKUlT_T0_E_clISt17integral_constantIbLb1EES1I_IbLb0EEEEDaS1E_S1F_EUlS1E_E_NS1_11comp_targetILNS1_3genE2ELNS1_11target_archE906ELNS1_3gpuE6ELNS1_3repE0EEENS1_30default_config_static_selectorELNS0_4arch9wavefront6targetE1EEEvT1_,"axG",@progbits,_ZN7rocprim17ROCPRIM_400000_NS6detail17trampoline_kernelINS0_14default_configENS1_25partition_config_selectorILNS1_17partition_subalgoE2EiNS0_10empty_typeEbEEZZNS1_14partition_implILS5_2ELb0ES3_jN6thrust23THRUST_200600_302600_NS6detail15normal_iteratorINSA_7pointerIiNSA_11hip_rocprim3tagENSA_11use_defaultESG_EEEEPS6_NSA_18transform_iteratorI10is_orderedNSA_12zip_iteratorINSA_5tupleINSC_INSA_10device_ptrIiEEEESQ_NSA_9null_typeESR_SR_SR_SR_SR_SR_SR_EEEESG_SG_EENS0_5tupleIJPiSJ_EEENSV_IJSJ_SJ_EEES6_PlJS6_EEE10hipError_tPvRmT3_T4_T5_T6_T7_T9_mT8_P12ihipStream_tbDpT10_ENKUlT_T0_E_clISt17integral_constantIbLb1EES1I_IbLb0EEEEDaS1E_S1F_EUlS1E_E_NS1_11comp_targetILNS1_3genE2ELNS1_11target_archE906ELNS1_3gpuE6ELNS1_3repE0EEENS1_30default_config_static_selectorELNS0_4arch9wavefront6targetE1EEEvT1_,comdat
.Lfunc_end3614:
	.size	_ZN7rocprim17ROCPRIM_400000_NS6detail17trampoline_kernelINS0_14default_configENS1_25partition_config_selectorILNS1_17partition_subalgoE2EiNS0_10empty_typeEbEEZZNS1_14partition_implILS5_2ELb0ES3_jN6thrust23THRUST_200600_302600_NS6detail15normal_iteratorINSA_7pointerIiNSA_11hip_rocprim3tagENSA_11use_defaultESG_EEEEPS6_NSA_18transform_iteratorI10is_orderedNSA_12zip_iteratorINSA_5tupleINSC_INSA_10device_ptrIiEEEESQ_NSA_9null_typeESR_SR_SR_SR_SR_SR_SR_EEEESG_SG_EENS0_5tupleIJPiSJ_EEENSV_IJSJ_SJ_EEES6_PlJS6_EEE10hipError_tPvRmT3_T4_T5_T6_T7_T9_mT8_P12ihipStream_tbDpT10_ENKUlT_T0_E_clISt17integral_constantIbLb1EES1I_IbLb0EEEEDaS1E_S1F_EUlS1E_E_NS1_11comp_targetILNS1_3genE2ELNS1_11target_archE906ELNS1_3gpuE6ELNS1_3repE0EEENS1_30default_config_static_selectorELNS0_4arch9wavefront6targetE1EEEvT1_, .Lfunc_end3614-_ZN7rocprim17ROCPRIM_400000_NS6detail17trampoline_kernelINS0_14default_configENS1_25partition_config_selectorILNS1_17partition_subalgoE2EiNS0_10empty_typeEbEEZZNS1_14partition_implILS5_2ELb0ES3_jN6thrust23THRUST_200600_302600_NS6detail15normal_iteratorINSA_7pointerIiNSA_11hip_rocprim3tagENSA_11use_defaultESG_EEEEPS6_NSA_18transform_iteratorI10is_orderedNSA_12zip_iteratorINSA_5tupleINSC_INSA_10device_ptrIiEEEESQ_NSA_9null_typeESR_SR_SR_SR_SR_SR_SR_EEEESG_SG_EENS0_5tupleIJPiSJ_EEENSV_IJSJ_SJ_EEES6_PlJS6_EEE10hipError_tPvRmT3_T4_T5_T6_T7_T9_mT8_P12ihipStream_tbDpT10_ENKUlT_T0_E_clISt17integral_constantIbLb1EES1I_IbLb0EEEEDaS1E_S1F_EUlS1E_E_NS1_11comp_targetILNS1_3genE2ELNS1_11target_archE906ELNS1_3gpuE6ELNS1_3repE0EEENS1_30default_config_static_selectorELNS0_4arch9wavefront6targetE1EEEvT1_
                                        ; -- End function
	.section	.AMDGPU.csdata,"",@progbits
; Kernel info:
; codeLenInByte = 0
; NumSgprs: 6
; NumVgprs: 0
; NumAgprs: 0
; TotalNumVgprs: 0
; ScratchSize: 0
; MemoryBound: 0
; FloatMode: 240
; IeeeMode: 1
; LDSByteSize: 0 bytes/workgroup (compile time only)
; SGPRBlocks: 0
; VGPRBlocks: 0
; NumSGPRsForWavesPerEU: 6
; NumVGPRsForWavesPerEU: 1
; AccumOffset: 4
; Occupancy: 8
; WaveLimiterHint : 0
; COMPUTE_PGM_RSRC2:SCRATCH_EN: 0
; COMPUTE_PGM_RSRC2:USER_SGPR: 2
; COMPUTE_PGM_RSRC2:TRAP_HANDLER: 0
; COMPUTE_PGM_RSRC2:TGID_X_EN: 1
; COMPUTE_PGM_RSRC2:TGID_Y_EN: 0
; COMPUTE_PGM_RSRC2:TGID_Z_EN: 0
; COMPUTE_PGM_RSRC2:TIDIG_COMP_CNT: 0
; COMPUTE_PGM_RSRC3_GFX90A:ACCUM_OFFSET: 0
; COMPUTE_PGM_RSRC3_GFX90A:TG_SPLIT: 0
	.section	.text._ZN7rocprim17ROCPRIM_400000_NS6detail17trampoline_kernelINS0_14default_configENS1_25partition_config_selectorILNS1_17partition_subalgoE2EiNS0_10empty_typeEbEEZZNS1_14partition_implILS5_2ELb0ES3_jN6thrust23THRUST_200600_302600_NS6detail15normal_iteratorINSA_7pointerIiNSA_11hip_rocprim3tagENSA_11use_defaultESG_EEEEPS6_NSA_18transform_iteratorI10is_orderedNSA_12zip_iteratorINSA_5tupleINSC_INSA_10device_ptrIiEEEESQ_NSA_9null_typeESR_SR_SR_SR_SR_SR_SR_EEEESG_SG_EENS0_5tupleIJPiSJ_EEENSV_IJSJ_SJ_EEES6_PlJS6_EEE10hipError_tPvRmT3_T4_T5_T6_T7_T9_mT8_P12ihipStream_tbDpT10_ENKUlT_T0_E_clISt17integral_constantIbLb1EES1I_IbLb0EEEEDaS1E_S1F_EUlS1E_E_NS1_11comp_targetILNS1_3genE10ELNS1_11target_archE1200ELNS1_3gpuE4ELNS1_3repE0EEENS1_30default_config_static_selectorELNS0_4arch9wavefront6targetE1EEEvT1_,"axG",@progbits,_ZN7rocprim17ROCPRIM_400000_NS6detail17trampoline_kernelINS0_14default_configENS1_25partition_config_selectorILNS1_17partition_subalgoE2EiNS0_10empty_typeEbEEZZNS1_14partition_implILS5_2ELb0ES3_jN6thrust23THRUST_200600_302600_NS6detail15normal_iteratorINSA_7pointerIiNSA_11hip_rocprim3tagENSA_11use_defaultESG_EEEEPS6_NSA_18transform_iteratorI10is_orderedNSA_12zip_iteratorINSA_5tupleINSC_INSA_10device_ptrIiEEEESQ_NSA_9null_typeESR_SR_SR_SR_SR_SR_SR_EEEESG_SG_EENS0_5tupleIJPiSJ_EEENSV_IJSJ_SJ_EEES6_PlJS6_EEE10hipError_tPvRmT3_T4_T5_T6_T7_T9_mT8_P12ihipStream_tbDpT10_ENKUlT_T0_E_clISt17integral_constantIbLb1EES1I_IbLb0EEEEDaS1E_S1F_EUlS1E_E_NS1_11comp_targetILNS1_3genE10ELNS1_11target_archE1200ELNS1_3gpuE4ELNS1_3repE0EEENS1_30default_config_static_selectorELNS0_4arch9wavefront6targetE1EEEvT1_,comdat
	.protected	_ZN7rocprim17ROCPRIM_400000_NS6detail17trampoline_kernelINS0_14default_configENS1_25partition_config_selectorILNS1_17partition_subalgoE2EiNS0_10empty_typeEbEEZZNS1_14partition_implILS5_2ELb0ES3_jN6thrust23THRUST_200600_302600_NS6detail15normal_iteratorINSA_7pointerIiNSA_11hip_rocprim3tagENSA_11use_defaultESG_EEEEPS6_NSA_18transform_iteratorI10is_orderedNSA_12zip_iteratorINSA_5tupleINSC_INSA_10device_ptrIiEEEESQ_NSA_9null_typeESR_SR_SR_SR_SR_SR_SR_EEEESG_SG_EENS0_5tupleIJPiSJ_EEENSV_IJSJ_SJ_EEES6_PlJS6_EEE10hipError_tPvRmT3_T4_T5_T6_T7_T9_mT8_P12ihipStream_tbDpT10_ENKUlT_T0_E_clISt17integral_constantIbLb1EES1I_IbLb0EEEEDaS1E_S1F_EUlS1E_E_NS1_11comp_targetILNS1_3genE10ELNS1_11target_archE1200ELNS1_3gpuE4ELNS1_3repE0EEENS1_30default_config_static_selectorELNS0_4arch9wavefront6targetE1EEEvT1_ ; -- Begin function _ZN7rocprim17ROCPRIM_400000_NS6detail17trampoline_kernelINS0_14default_configENS1_25partition_config_selectorILNS1_17partition_subalgoE2EiNS0_10empty_typeEbEEZZNS1_14partition_implILS5_2ELb0ES3_jN6thrust23THRUST_200600_302600_NS6detail15normal_iteratorINSA_7pointerIiNSA_11hip_rocprim3tagENSA_11use_defaultESG_EEEEPS6_NSA_18transform_iteratorI10is_orderedNSA_12zip_iteratorINSA_5tupleINSC_INSA_10device_ptrIiEEEESQ_NSA_9null_typeESR_SR_SR_SR_SR_SR_SR_EEEESG_SG_EENS0_5tupleIJPiSJ_EEENSV_IJSJ_SJ_EEES6_PlJS6_EEE10hipError_tPvRmT3_T4_T5_T6_T7_T9_mT8_P12ihipStream_tbDpT10_ENKUlT_T0_E_clISt17integral_constantIbLb1EES1I_IbLb0EEEEDaS1E_S1F_EUlS1E_E_NS1_11comp_targetILNS1_3genE10ELNS1_11target_archE1200ELNS1_3gpuE4ELNS1_3repE0EEENS1_30default_config_static_selectorELNS0_4arch9wavefront6targetE1EEEvT1_
	.globl	_ZN7rocprim17ROCPRIM_400000_NS6detail17trampoline_kernelINS0_14default_configENS1_25partition_config_selectorILNS1_17partition_subalgoE2EiNS0_10empty_typeEbEEZZNS1_14partition_implILS5_2ELb0ES3_jN6thrust23THRUST_200600_302600_NS6detail15normal_iteratorINSA_7pointerIiNSA_11hip_rocprim3tagENSA_11use_defaultESG_EEEEPS6_NSA_18transform_iteratorI10is_orderedNSA_12zip_iteratorINSA_5tupleINSC_INSA_10device_ptrIiEEEESQ_NSA_9null_typeESR_SR_SR_SR_SR_SR_SR_EEEESG_SG_EENS0_5tupleIJPiSJ_EEENSV_IJSJ_SJ_EEES6_PlJS6_EEE10hipError_tPvRmT3_T4_T5_T6_T7_T9_mT8_P12ihipStream_tbDpT10_ENKUlT_T0_E_clISt17integral_constantIbLb1EES1I_IbLb0EEEEDaS1E_S1F_EUlS1E_E_NS1_11comp_targetILNS1_3genE10ELNS1_11target_archE1200ELNS1_3gpuE4ELNS1_3repE0EEENS1_30default_config_static_selectorELNS0_4arch9wavefront6targetE1EEEvT1_
	.p2align	8
	.type	_ZN7rocprim17ROCPRIM_400000_NS6detail17trampoline_kernelINS0_14default_configENS1_25partition_config_selectorILNS1_17partition_subalgoE2EiNS0_10empty_typeEbEEZZNS1_14partition_implILS5_2ELb0ES3_jN6thrust23THRUST_200600_302600_NS6detail15normal_iteratorINSA_7pointerIiNSA_11hip_rocprim3tagENSA_11use_defaultESG_EEEEPS6_NSA_18transform_iteratorI10is_orderedNSA_12zip_iteratorINSA_5tupleINSC_INSA_10device_ptrIiEEEESQ_NSA_9null_typeESR_SR_SR_SR_SR_SR_SR_EEEESG_SG_EENS0_5tupleIJPiSJ_EEENSV_IJSJ_SJ_EEES6_PlJS6_EEE10hipError_tPvRmT3_T4_T5_T6_T7_T9_mT8_P12ihipStream_tbDpT10_ENKUlT_T0_E_clISt17integral_constantIbLb1EES1I_IbLb0EEEEDaS1E_S1F_EUlS1E_E_NS1_11comp_targetILNS1_3genE10ELNS1_11target_archE1200ELNS1_3gpuE4ELNS1_3repE0EEENS1_30default_config_static_selectorELNS0_4arch9wavefront6targetE1EEEvT1_,@function
_ZN7rocprim17ROCPRIM_400000_NS6detail17trampoline_kernelINS0_14default_configENS1_25partition_config_selectorILNS1_17partition_subalgoE2EiNS0_10empty_typeEbEEZZNS1_14partition_implILS5_2ELb0ES3_jN6thrust23THRUST_200600_302600_NS6detail15normal_iteratorINSA_7pointerIiNSA_11hip_rocprim3tagENSA_11use_defaultESG_EEEEPS6_NSA_18transform_iteratorI10is_orderedNSA_12zip_iteratorINSA_5tupleINSC_INSA_10device_ptrIiEEEESQ_NSA_9null_typeESR_SR_SR_SR_SR_SR_SR_EEEESG_SG_EENS0_5tupleIJPiSJ_EEENSV_IJSJ_SJ_EEES6_PlJS6_EEE10hipError_tPvRmT3_T4_T5_T6_T7_T9_mT8_P12ihipStream_tbDpT10_ENKUlT_T0_E_clISt17integral_constantIbLb1EES1I_IbLb0EEEEDaS1E_S1F_EUlS1E_E_NS1_11comp_targetILNS1_3genE10ELNS1_11target_archE1200ELNS1_3gpuE4ELNS1_3repE0EEENS1_30default_config_static_selectorELNS0_4arch9wavefront6targetE1EEEvT1_: ; @_ZN7rocprim17ROCPRIM_400000_NS6detail17trampoline_kernelINS0_14default_configENS1_25partition_config_selectorILNS1_17partition_subalgoE2EiNS0_10empty_typeEbEEZZNS1_14partition_implILS5_2ELb0ES3_jN6thrust23THRUST_200600_302600_NS6detail15normal_iteratorINSA_7pointerIiNSA_11hip_rocprim3tagENSA_11use_defaultESG_EEEEPS6_NSA_18transform_iteratorI10is_orderedNSA_12zip_iteratorINSA_5tupleINSC_INSA_10device_ptrIiEEEESQ_NSA_9null_typeESR_SR_SR_SR_SR_SR_SR_EEEESG_SG_EENS0_5tupleIJPiSJ_EEENSV_IJSJ_SJ_EEES6_PlJS6_EEE10hipError_tPvRmT3_T4_T5_T6_T7_T9_mT8_P12ihipStream_tbDpT10_ENKUlT_T0_E_clISt17integral_constantIbLb1EES1I_IbLb0EEEEDaS1E_S1F_EUlS1E_E_NS1_11comp_targetILNS1_3genE10ELNS1_11target_archE1200ELNS1_3gpuE4ELNS1_3repE0EEENS1_30default_config_static_selectorELNS0_4arch9wavefront6targetE1EEEvT1_
; %bb.0:
	.section	.rodata,"a",@progbits
	.p2align	6, 0x0
	.amdhsa_kernel _ZN7rocprim17ROCPRIM_400000_NS6detail17trampoline_kernelINS0_14default_configENS1_25partition_config_selectorILNS1_17partition_subalgoE2EiNS0_10empty_typeEbEEZZNS1_14partition_implILS5_2ELb0ES3_jN6thrust23THRUST_200600_302600_NS6detail15normal_iteratorINSA_7pointerIiNSA_11hip_rocprim3tagENSA_11use_defaultESG_EEEEPS6_NSA_18transform_iteratorI10is_orderedNSA_12zip_iteratorINSA_5tupleINSC_INSA_10device_ptrIiEEEESQ_NSA_9null_typeESR_SR_SR_SR_SR_SR_SR_EEEESG_SG_EENS0_5tupleIJPiSJ_EEENSV_IJSJ_SJ_EEES6_PlJS6_EEE10hipError_tPvRmT3_T4_T5_T6_T7_T9_mT8_P12ihipStream_tbDpT10_ENKUlT_T0_E_clISt17integral_constantIbLb1EES1I_IbLb0EEEEDaS1E_S1F_EUlS1E_E_NS1_11comp_targetILNS1_3genE10ELNS1_11target_archE1200ELNS1_3gpuE4ELNS1_3repE0EEENS1_30default_config_static_selectorELNS0_4arch9wavefront6targetE1EEEvT1_
		.amdhsa_group_segment_fixed_size 0
		.amdhsa_private_segment_fixed_size 0
		.amdhsa_kernarg_size 136
		.amdhsa_user_sgpr_count 2
		.amdhsa_user_sgpr_dispatch_ptr 0
		.amdhsa_user_sgpr_queue_ptr 0
		.amdhsa_user_sgpr_kernarg_segment_ptr 1
		.amdhsa_user_sgpr_dispatch_id 0
		.amdhsa_user_sgpr_kernarg_preload_length 0
		.amdhsa_user_sgpr_kernarg_preload_offset 0
		.amdhsa_user_sgpr_private_segment_size 0
		.amdhsa_uses_dynamic_stack 0
		.amdhsa_enable_private_segment 0
		.amdhsa_system_sgpr_workgroup_id_x 1
		.amdhsa_system_sgpr_workgroup_id_y 0
		.amdhsa_system_sgpr_workgroup_id_z 0
		.amdhsa_system_sgpr_workgroup_info 0
		.amdhsa_system_vgpr_workitem_id 0
		.amdhsa_next_free_vgpr 1
		.amdhsa_next_free_sgpr 0
		.amdhsa_accum_offset 4
		.amdhsa_reserve_vcc 0
		.amdhsa_float_round_mode_32 0
		.amdhsa_float_round_mode_16_64 0
		.amdhsa_float_denorm_mode_32 3
		.amdhsa_float_denorm_mode_16_64 3
		.amdhsa_dx10_clamp 1
		.amdhsa_ieee_mode 1
		.amdhsa_fp16_overflow 0
		.amdhsa_tg_split 0
		.amdhsa_exception_fp_ieee_invalid_op 0
		.amdhsa_exception_fp_denorm_src 0
		.amdhsa_exception_fp_ieee_div_zero 0
		.amdhsa_exception_fp_ieee_overflow 0
		.amdhsa_exception_fp_ieee_underflow 0
		.amdhsa_exception_fp_ieee_inexact 0
		.amdhsa_exception_int_div_zero 0
	.end_amdhsa_kernel
	.section	.text._ZN7rocprim17ROCPRIM_400000_NS6detail17trampoline_kernelINS0_14default_configENS1_25partition_config_selectorILNS1_17partition_subalgoE2EiNS0_10empty_typeEbEEZZNS1_14partition_implILS5_2ELb0ES3_jN6thrust23THRUST_200600_302600_NS6detail15normal_iteratorINSA_7pointerIiNSA_11hip_rocprim3tagENSA_11use_defaultESG_EEEEPS6_NSA_18transform_iteratorI10is_orderedNSA_12zip_iteratorINSA_5tupleINSC_INSA_10device_ptrIiEEEESQ_NSA_9null_typeESR_SR_SR_SR_SR_SR_SR_EEEESG_SG_EENS0_5tupleIJPiSJ_EEENSV_IJSJ_SJ_EEES6_PlJS6_EEE10hipError_tPvRmT3_T4_T5_T6_T7_T9_mT8_P12ihipStream_tbDpT10_ENKUlT_T0_E_clISt17integral_constantIbLb1EES1I_IbLb0EEEEDaS1E_S1F_EUlS1E_E_NS1_11comp_targetILNS1_3genE10ELNS1_11target_archE1200ELNS1_3gpuE4ELNS1_3repE0EEENS1_30default_config_static_selectorELNS0_4arch9wavefront6targetE1EEEvT1_,"axG",@progbits,_ZN7rocprim17ROCPRIM_400000_NS6detail17trampoline_kernelINS0_14default_configENS1_25partition_config_selectorILNS1_17partition_subalgoE2EiNS0_10empty_typeEbEEZZNS1_14partition_implILS5_2ELb0ES3_jN6thrust23THRUST_200600_302600_NS6detail15normal_iteratorINSA_7pointerIiNSA_11hip_rocprim3tagENSA_11use_defaultESG_EEEEPS6_NSA_18transform_iteratorI10is_orderedNSA_12zip_iteratorINSA_5tupleINSC_INSA_10device_ptrIiEEEESQ_NSA_9null_typeESR_SR_SR_SR_SR_SR_SR_EEEESG_SG_EENS0_5tupleIJPiSJ_EEENSV_IJSJ_SJ_EEES6_PlJS6_EEE10hipError_tPvRmT3_T4_T5_T6_T7_T9_mT8_P12ihipStream_tbDpT10_ENKUlT_T0_E_clISt17integral_constantIbLb1EES1I_IbLb0EEEEDaS1E_S1F_EUlS1E_E_NS1_11comp_targetILNS1_3genE10ELNS1_11target_archE1200ELNS1_3gpuE4ELNS1_3repE0EEENS1_30default_config_static_selectorELNS0_4arch9wavefront6targetE1EEEvT1_,comdat
.Lfunc_end3615:
	.size	_ZN7rocprim17ROCPRIM_400000_NS6detail17trampoline_kernelINS0_14default_configENS1_25partition_config_selectorILNS1_17partition_subalgoE2EiNS0_10empty_typeEbEEZZNS1_14partition_implILS5_2ELb0ES3_jN6thrust23THRUST_200600_302600_NS6detail15normal_iteratorINSA_7pointerIiNSA_11hip_rocprim3tagENSA_11use_defaultESG_EEEEPS6_NSA_18transform_iteratorI10is_orderedNSA_12zip_iteratorINSA_5tupleINSC_INSA_10device_ptrIiEEEESQ_NSA_9null_typeESR_SR_SR_SR_SR_SR_SR_EEEESG_SG_EENS0_5tupleIJPiSJ_EEENSV_IJSJ_SJ_EEES6_PlJS6_EEE10hipError_tPvRmT3_T4_T5_T6_T7_T9_mT8_P12ihipStream_tbDpT10_ENKUlT_T0_E_clISt17integral_constantIbLb1EES1I_IbLb0EEEEDaS1E_S1F_EUlS1E_E_NS1_11comp_targetILNS1_3genE10ELNS1_11target_archE1200ELNS1_3gpuE4ELNS1_3repE0EEENS1_30default_config_static_selectorELNS0_4arch9wavefront6targetE1EEEvT1_, .Lfunc_end3615-_ZN7rocprim17ROCPRIM_400000_NS6detail17trampoline_kernelINS0_14default_configENS1_25partition_config_selectorILNS1_17partition_subalgoE2EiNS0_10empty_typeEbEEZZNS1_14partition_implILS5_2ELb0ES3_jN6thrust23THRUST_200600_302600_NS6detail15normal_iteratorINSA_7pointerIiNSA_11hip_rocprim3tagENSA_11use_defaultESG_EEEEPS6_NSA_18transform_iteratorI10is_orderedNSA_12zip_iteratorINSA_5tupleINSC_INSA_10device_ptrIiEEEESQ_NSA_9null_typeESR_SR_SR_SR_SR_SR_SR_EEEESG_SG_EENS0_5tupleIJPiSJ_EEENSV_IJSJ_SJ_EEES6_PlJS6_EEE10hipError_tPvRmT3_T4_T5_T6_T7_T9_mT8_P12ihipStream_tbDpT10_ENKUlT_T0_E_clISt17integral_constantIbLb1EES1I_IbLb0EEEEDaS1E_S1F_EUlS1E_E_NS1_11comp_targetILNS1_3genE10ELNS1_11target_archE1200ELNS1_3gpuE4ELNS1_3repE0EEENS1_30default_config_static_selectorELNS0_4arch9wavefront6targetE1EEEvT1_
                                        ; -- End function
	.section	.AMDGPU.csdata,"",@progbits
; Kernel info:
; codeLenInByte = 0
; NumSgprs: 6
; NumVgprs: 0
; NumAgprs: 0
; TotalNumVgprs: 0
; ScratchSize: 0
; MemoryBound: 0
; FloatMode: 240
; IeeeMode: 1
; LDSByteSize: 0 bytes/workgroup (compile time only)
; SGPRBlocks: 0
; VGPRBlocks: 0
; NumSGPRsForWavesPerEU: 6
; NumVGPRsForWavesPerEU: 1
; AccumOffset: 4
; Occupancy: 8
; WaveLimiterHint : 0
; COMPUTE_PGM_RSRC2:SCRATCH_EN: 0
; COMPUTE_PGM_RSRC2:USER_SGPR: 2
; COMPUTE_PGM_RSRC2:TRAP_HANDLER: 0
; COMPUTE_PGM_RSRC2:TGID_X_EN: 1
; COMPUTE_PGM_RSRC2:TGID_Y_EN: 0
; COMPUTE_PGM_RSRC2:TGID_Z_EN: 0
; COMPUTE_PGM_RSRC2:TIDIG_COMP_CNT: 0
; COMPUTE_PGM_RSRC3_GFX90A:ACCUM_OFFSET: 0
; COMPUTE_PGM_RSRC3_GFX90A:TG_SPLIT: 0
	.section	.text._ZN7rocprim17ROCPRIM_400000_NS6detail17trampoline_kernelINS0_14default_configENS1_25partition_config_selectorILNS1_17partition_subalgoE2EiNS0_10empty_typeEbEEZZNS1_14partition_implILS5_2ELb0ES3_jN6thrust23THRUST_200600_302600_NS6detail15normal_iteratorINSA_7pointerIiNSA_11hip_rocprim3tagENSA_11use_defaultESG_EEEEPS6_NSA_18transform_iteratorI10is_orderedNSA_12zip_iteratorINSA_5tupleINSC_INSA_10device_ptrIiEEEESQ_NSA_9null_typeESR_SR_SR_SR_SR_SR_SR_EEEESG_SG_EENS0_5tupleIJPiSJ_EEENSV_IJSJ_SJ_EEES6_PlJS6_EEE10hipError_tPvRmT3_T4_T5_T6_T7_T9_mT8_P12ihipStream_tbDpT10_ENKUlT_T0_E_clISt17integral_constantIbLb1EES1I_IbLb0EEEEDaS1E_S1F_EUlS1E_E_NS1_11comp_targetILNS1_3genE9ELNS1_11target_archE1100ELNS1_3gpuE3ELNS1_3repE0EEENS1_30default_config_static_selectorELNS0_4arch9wavefront6targetE1EEEvT1_,"axG",@progbits,_ZN7rocprim17ROCPRIM_400000_NS6detail17trampoline_kernelINS0_14default_configENS1_25partition_config_selectorILNS1_17partition_subalgoE2EiNS0_10empty_typeEbEEZZNS1_14partition_implILS5_2ELb0ES3_jN6thrust23THRUST_200600_302600_NS6detail15normal_iteratorINSA_7pointerIiNSA_11hip_rocprim3tagENSA_11use_defaultESG_EEEEPS6_NSA_18transform_iteratorI10is_orderedNSA_12zip_iteratorINSA_5tupleINSC_INSA_10device_ptrIiEEEESQ_NSA_9null_typeESR_SR_SR_SR_SR_SR_SR_EEEESG_SG_EENS0_5tupleIJPiSJ_EEENSV_IJSJ_SJ_EEES6_PlJS6_EEE10hipError_tPvRmT3_T4_T5_T6_T7_T9_mT8_P12ihipStream_tbDpT10_ENKUlT_T0_E_clISt17integral_constantIbLb1EES1I_IbLb0EEEEDaS1E_S1F_EUlS1E_E_NS1_11comp_targetILNS1_3genE9ELNS1_11target_archE1100ELNS1_3gpuE3ELNS1_3repE0EEENS1_30default_config_static_selectorELNS0_4arch9wavefront6targetE1EEEvT1_,comdat
	.protected	_ZN7rocprim17ROCPRIM_400000_NS6detail17trampoline_kernelINS0_14default_configENS1_25partition_config_selectorILNS1_17partition_subalgoE2EiNS0_10empty_typeEbEEZZNS1_14partition_implILS5_2ELb0ES3_jN6thrust23THRUST_200600_302600_NS6detail15normal_iteratorINSA_7pointerIiNSA_11hip_rocprim3tagENSA_11use_defaultESG_EEEEPS6_NSA_18transform_iteratorI10is_orderedNSA_12zip_iteratorINSA_5tupleINSC_INSA_10device_ptrIiEEEESQ_NSA_9null_typeESR_SR_SR_SR_SR_SR_SR_EEEESG_SG_EENS0_5tupleIJPiSJ_EEENSV_IJSJ_SJ_EEES6_PlJS6_EEE10hipError_tPvRmT3_T4_T5_T6_T7_T9_mT8_P12ihipStream_tbDpT10_ENKUlT_T0_E_clISt17integral_constantIbLb1EES1I_IbLb0EEEEDaS1E_S1F_EUlS1E_E_NS1_11comp_targetILNS1_3genE9ELNS1_11target_archE1100ELNS1_3gpuE3ELNS1_3repE0EEENS1_30default_config_static_selectorELNS0_4arch9wavefront6targetE1EEEvT1_ ; -- Begin function _ZN7rocprim17ROCPRIM_400000_NS6detail17trampoline_kernelINS0_14default_configENS1_25partition_config_selectorILNS1_17partition_subalgoE2EiNS0_10empty_typeEbEEZZNS1_14partition_implILS5_2ELb0ES3_jN6thrust23THRUST_200600_302600_NS6detail15normal_iteratorINSA_7pointerIiNSA_11hip_rocprim3tagENSA_11use_defaultESG_EEEEPS6_NSA_18transform_iteratorI10is_orderedNSA_12zip_iteratorINSA_5tupleINSC_INSA_10device_ptrIiEEEESQ_NSA_9null_typeESR_SR_SR_SR_SR_SR_SR_EEEESG_SG_EENS0_5tupleIJPiSJ_EEENSV_IJSJ_SJ_EEES6_PlJS6_EEE10hipError_tPvRmT3_T4_T5_T6_T7_T9_mT8_P12ihipStream_tbDpT10_ENKUlT_T0_E_clISt17integral_constantIbLb1EES1I_IbLb0EEEEDaS1E_S1F_EUlS1E_E_NS1_11comp_targetILNS1_3genE9ELNS1_11target_archE1100ELNS1_3gpuE3ELNS1_3repE0EEENS1_30default_config_static_selectorELNS0_4arch9wavefront6targetE1EEEvT1_
	.globl	_ZN7rocprim17ROCPRIM_400000_NS6detail17trampoline_kernelINS0_14default_configENS1_25partition_config_selectorILNS1_17partition_subalgoE2EiNS0_10empty_typeEbEEZZNS1_14partition_implILS5_2ELb0ES3_jN6thrust23THRUST_200600_302600_NS6detail15normal_iteratorINSA_7pointerIiNSA_11hip_rocprim3tagENSA_11use_defaultESG_EEEEPS6_NSA_18transform_iteratorI10is_orderedNSA_12zip_iteratorINSA_5tupleINSC_INSA_10device_ptrIiEEEESQ_NSA_9null_typeESR_SR_SR_SR_SR_SR_SR_EEEESG_SG_EENS0_5tupleIJPiSJ_EEENSV_IJSJ_SJ_EEES6_PlJS6_EEE10hipError_tPvRmT3_T4_T5_T6_T7_T9_mT8_P12ihipStream_tbDpT10_ENKUlT_T0_E_clISt17integral_constantIbLb1EES1I_IbLb0EEEEDaS1E_S1F_EUlS1E_E_NS1_11comp_targetILNS1_3genE9ELNS1_11target_archE1100ELNS1_3gpuE3ELNS1_3repE0EEENS1_30default_config_static_selectorELNS0_4arch9wavefront6targetE1EEEvT1_
	.p2align	8
	.type	_ZN7rocprim17ROCPRIM_400000_NS6detail17trampoline_kernelINS0_14default_configENS1_25partition_config_selectorILNS1_17partition_subalgoE2EiNS0_10empty_typeEbEEZZNS1_14partition_implILS5_2ELb0ES3_jN6thrust23THRUST_200600_302600_NS6detail15normal_iteratorINSA_7pointerIiNSA_11hip_rocprim3tagENSA_11use_defaultESG_EEEEPS6_NSA_18transform_iteratorI10is_orderedNSA_12zip_iteratorINSA_5tupleINSC_INSA_10device_ptrIiEEEESQ_NSA_9null_typeESR_SR_SR_SR_SR_SR_SR_EEEESG_SG_EENS0_5tupleIJPiSJ_EEENSV_IJSJ_SJ_EEES6_PlJS6_EEE10hipError_tPvRmT3_T4_T5_T6_T7_T9_mT8_P12ihipStream_tbDpT10_ENKUlT_T0_E_clISt17integral_constantIbLb1EES1I_IbLb0EEEEDaS1E_S1F_EUlS1E_E_NS1_11comp_targetILNS1_3genE9ELNS1_11target_archE1100ELNS1_3gpuE3ELNS1_3repE0EEENS1_30default_config_static_selectorELNS0_4arch9wavefront6targetE1EEEvT1_,@function
_ZN7rocprim17ROCPRIM_400000_NS6detail17trampoline_kernelINS0_14default_configENS1_25partition_config_selectorILNS1_17partition_subalgoE2EiNS0_10empty_typeEbEEZZNS1_14partition_implILS5_2ELb0ES3_jN6thrust23THRUST_200600_302600_NS6detail15normal_iteratorINSA_7pointerIiNSA_11hip_rocprim3tagENSA_11use_defaultESG_EEEEPS6_NSA_18transform_iteratorI10is_orderedNSA_12zip_iteratorINSA_5tupleINSC_INSA_10device_ptrIiEEEESQ_NSA_9null_typeESR_SR_SR_SR_SR_SR_SR_EEEESG_SG_EENS0_5tupleIJPiSJ_EEENSV_IJSJ_SJ_EEES6_PlJS6_EEE10hipError_tPvRmT3_T4_T5_T6_T7_T9_mT8_P12ihipStream_tbDpT10_ENKUlT_T0_E_clISt17integral_constantIbLb1EES1I_IbLb0EEEEDaS1E_S1F_EUlS1E_E_NS1_11comp_targetILNS1_3genE9ELNS1_11target_archE1100ELNS1_3gpuE3ELNS1_3repE0EEENS1_30default_config_static_selectorELNS0_4arch9wavefront6targetE1EEEvT1_: ; @_ZN7rocprim17ROCPRIM_400000_NS6detail17trampoline_kernelINS0_14default_configENS1_25partition_config_selectorILNS1_17partition_subalgoE2EiNS0_10empty_typeEbEEZZNS1_14partition_implILS5_2ELb0ES3_jN6thrust23THRUST_200600_302600_NS6detail15normal_iteratorINSA_7pointerIiNSA_11hip_rocprim3tagENSA_11use_defaultESG_EEEEPS6_NSA_18transform_iteratorI10is_orderedNSA_12zip_iteratorINSA_5tupleINSC_INSA_10device_ptrIiEEEESQ_NSA_9null_typeESR_SR_SR_SR_SR_SR_SR_EEEESG_SG_EENS0_5tupleIJPiSJ_EEENSV_IJSJ_SJ_EEES6_PlJS6_EEE10hipError_tPvRmT3_T4_T5_T6_T7_T9_mT8_P12ihipStream_tbDpT10_ENKUlT_T0_E_clISt17integral_constantIbLb1EES1I_IbLb0EEEEDaS1E_S1F_EUlS1E_E_NS1_11comp_targetILNS1_3genE9ELNS1_11target_archE1100ELNS1_3gpuE3ELNS1_3repE0EEENS1_30default_config_static_selectorELNS0_4arch9wavefront6targetE1EEEvT1_
; %bb.0:
	.section	.rodata,"a",@progbits
	.p2align	6, 0x0
	.amdhsa_kernel _ZN7rocprim17ROCPRIM_400000_NS6detail17trampoline_kernelINS0_14default_configENS1_25partition_config_selectorILNS1_17partition_subalgoE2EiNS0_10empty_typeEbEEZZNS1_14partition_implILS5_2ELb0ES3_jN6thrust23THRUST_200600_302600_NS6detail15normal_iteratorINSA_7pointerIiNSA_11hip_rocprim3tagENSA_11use_defaultESG_EEEEPS6_NSA_18transform_iteratorI10is_orderedNSA_12zip_iteratorINSA_5tupleINSC_INSA_10device_ptrIiEEEESQ_NSA_9null_typeESR_SR_SR_SR_SR_SR_SR_EEEESG_SG_EENS0_5tupleIJPiSJ_EEENSV_IJSJ_SJ_EEES6_PlJS6_EEE10hipError_tPvRmT3_T4_T5_T6_T7_T9_mT8_P12ihipStream_tbDpT10_ENKUlT_T0_E_clISt17integral_constantIbLb1EES1I_IbLb0EEEEDaS1E_S1F_EUlS1E_E_NS1_11comp_targetILNS1_3genE9ELNS1_11target_archE1100ELNS1_3gpuE3ELNS1_3repE0EEENS1_30default_config_static_selectorELNS0_4arch9wavefront6targetE1EEEvT1_
		.amdhsa_group_segment_fixed_size 0
		.amdhsa_private_segment_fixed_size 0
		.amdhsa_kernarg_size 136
		.amdhsa_user_sgpr_count 2
		.amdhsa_user_sgpr_dispatch_ptr 0
		.amdhsa_user_sgpr_queue_ptr 0
		.amdhsa_user_sgpr_kernarg_segment_ptr 1
		.amdhsa_user_sgpr_dispatch_id 0
		.amdhsa_user_sgpr_kernarg_preload_length 0
		.amdhsa_user_sgpr_kernarg_preload_offset 0
		.amdhsa_user_sgpr_private_segment_size 0
		.amdhsa_uses_dynamic_stack 0
		.amdhsa_enable_private_segment 0
		.amdhsa_system_sgpr_workgroup_id_x 1
		.amdhsa_system_sgpr_workgroup_id_y 0
		.amdhsa_system_sgpr_workgroup_id_z 0
		.amdhsa_system_sgpr_workgroup_info 0
		.amdhsa_system_vgpr_workitem_id 0
		.amdhsa_next_free_vgpr 1
		.amdhsa_next_free_sgpr 0
		.amdhsa_accum_offset 4
		.amdhsa_reserve_vcc 0
		.amdhsa_float_round_mode_32 0
		.amdhsa_float_round_mode_16_64 0
		.amdhsa_float_denorm_mode_32 3
		.amdhsa_float_denorm_mode_16_64 3
		.amdhsa_dx10_clamp 1
		.amdhsa_ieee_mode 1
		.amdhsa_fp16_overflow 0
		.amdhsa_tg_split 0
		.amdhsa_exception_fp_ieee_invalid_op 0
		.amdhsa_exception_fp_denorm_src 0
		.amdhsa_exception_fp_ieee_div_zero 0
		.amdhsa_exception_fp_ieee_overflow 0
		.amdhsa_exception_fp_ieee_underflow 0
		.amdhsa_exception_fp_ieee_inexact 0
		.amdhsa_exception_int_div_zero 0
	.end_amdhsa_kernel
	.section	.text._ZN7rocprim17ROCPRIM_400000_NS6detail17trampoline_kernelINS0_14default_configENS1_25partition_config_selectorILNS1_17partition_subalgoE2EiNS0_10empty_typeEbEEZZNS1_14partition_implILS5_2ELb0ES3_jN6thrust23THRUST_200600_302600_NS6detail15normal_iteratorINSA_7pointerIiNSA_11hip_rocprim3tagENSA_11use_defaultESG_EEEEPS6_NSA_18transform_iteratorI10is_orderedNSA_12zip_iteratorINSA_5tupleINSC_INSA_10device_ptrIiEEEESQ_NSA_9null_typeESR_SR_SR_SR_SR_SR_SR_EEEESG_SG_EENS0_5tupleIJPiSJ_EEENSV_IJSJ_SJ_EEES6_PlJS6_EEE10hipError_tPvRmT3_T4_T5_T6_T7_T9_mT8_P12ihipStream_tbDpT10_ENKUlT_T0_E_clISt17integral_constantIbLb1EES1I_IbLb0EEEEDaS1E_S1F_EUlS1E_E_NS1_11comp_targetILNS1_3genE9ELNS1_11target_archE1100ELNS1_3gpuE3ELNS1_3repE0EEENS1_30default_config_static_selectorELNS0_4arch9wavefront6targetE1EEEvT1_,"axG",@progbits,_ZN7rocprim17ROCPRIM_400000_NS6detail17trampoline_kernelINS0_14default_configENS1_25partition_config_selectorILNS1_17partition_subalgoE2EiNS0_10empty_typeEbEEZZNS1_14partition_implILS5_2ELb0ES3_jN6thrust23THRUST_200600_302600_NS6detail15normal_iteratorINSA_7pointerIiNSA_11hip_rocprim3tagENSA_11use_defaultESG_EEEEPS6_NSA_18transform_iteratorI10is_orderedNSA_12zip_iteratorINSA_5tupleINSC_INSA_10device_ptrIiEEEESQ_NSA_9null_typeESR_SR_SR_SR_SR_SR_SR_EEEESG_SG_EENS0_5tupleIJPiSJ_EEENSV_IJSJ_SJ_EEES6_PlJS6_EEE10hipError_tPvRmT3_T4_T5_T6_T7_T9_mT8_P12ihipStream_tbDpT10_ENKUlT_T0_E_clISt17integral_constantIbLb1EES1I_IbLb0EEEEDaS1E_S1F_EUlS1E_E_NS1_11comp_targetILNS1_3genE9ELNS1_11target_archE1100ELNS1_3gpuE3ELNS1_3repE0EEENS1_30default_config_static_selectorELNS0_4arch9wavefront6targetE1EEEvT1_,comdat
.Lfunc_end3616:
	.size	_ZN7rocprim17ROCPRIM_400000_NS6detail17trampoline_kernelINS0_14default_configENS1_25partition_config_selectorILNS1_17partition_subalgoE2EiNS0_10empty_typeEbEEZZNS1_14partition_implILS5_2ELb0ES3_jN6thrust23THRUST_200600_302600_NS6detail15normal_iteratorINSA_7pointerIiNSA_11hip_rocprim3tagENSA_11use_defaultESG_EEEEPS6_NSA_18transform_iteratorI10is_orderedNSA_12zip_iteratorINSA_5tupleINSC_INSA_10device_ptrIiEEEESQ_NSA_9null_typeESR_SR_SR_SR_SR_SR_SR_EEEESG_SG_EENS0_5tupleIJPiSJ_EEENSV_IJSJ_SJ_EEES6_PlJS6_EEE10hipError_tPvRmT3_T4_T5_T6_T7_T9_mT8_P12ihipStream_tbDpT10_ENKUlT_T0_E_clISt17integral_constantIbLb1EES1I_IbLb0EEEEDaS1E_S1F_EUlS1E_E_NS1_11comp_targetILNS1_3genE9ELNS1_11target_archE1100ELNS1_3gpuE3ELNS1_3repE0EEENS1_30default_config_static_selectorELNS0_4arch9wavefront6targetE1EEEvT1_, .Lfunc_end3616-_ZN7rocprim17ROCPRIM_400000_NS6detail17trampoline_kernelINS0_14default_configENS1_25partition_config_selectorILNS1_17partition_subalgoE2EiNS0_10empty_typeEbEEZZNS1_14partition_implILS5_2ELb0ES3_jN6thrust23THRUST_200600_302600_NS6detail15normal_iteratorINSA_7pointerIiNSA_11hip_rocprim3tagENSA_11use_defaultESG_EEEEPS6_NSA_18transform_iteratorI10is_orderedNSA_12zip_iteratorINSA_5tupleINSC_INSA_10device_ptrIiEEEESQ_NSA_9null_typeESR_SR_SR_SR_SR_SR_SR_EEEESG_SG_EENS0_5tupleIJPiSJ_EEENSV_IJSJ_SJ_EEES6_PlJS6_EEE10hipError_tPvRmT3_T4_T5_T6_T7_T9_mT8_P12ihipStream_tbDpT10_ENKUlT_T0_E_clISt17integral_constantIbLb1EES1I_IbLb0EEEEDaS1E_S1F_EUlS1E_E_NS1_11comp_targetILNS1_3genE9ELNS1_11target_archE1100ELNS1_3gpuE3ELNS1_3repE0EEENS1_30default_config_static_selectorELNS0_4arch9wavefront6targetE1EEEvT1_
                                        ; -- End function
	.section	.AMDGPU.csdata,"",@progbits
; Kernel info:
; codeLenInByte = 0
; NumSgprs: 6
; NumVgprs: 0
; NumAgprs: 0
; TotalNumVgprs: 0
; ScratchSize: 0
; MemoryBound: 0
; FloatMode: 240
; IeeeMode: 1
; LDSByteSize: 0 bytes/workgroup (compile time only)
; SGPRBlocks: 0
; VGPRBlocks: 0
; NumSGPRsForWavesPerEU: 6
; NumVGPRsForWavesPerEU: 1
; AccumOffset: 4
; Occupancy: 8
; WaveLimiterHint : 0
; COMPUTE_PGM_RSRC2:SCRATCH_EN: 0
; COMPUTE_PGM_RSRC2:USER_SGPR: 2
; COMPUTE_PGM_RSRC2:TRAP_HANDLER: 0
; COMPUTE_PGM_RSRC2:TGID_X_EN: 1
; COMPUTE_PGM_RSRC2:TGID_Y_EN: 0
; COMPUTE_PGM_RSRC2:TGID_Z_EN: 0
; COMPUTE_PGM_RSRC2:TIDIG_COMP_CNT: 0
; COMPUTE_PGM_RSRC3_GFX90A:ACCUM_OFFSET: 0
; COMPUTE_PGM_RSRC3_GFX90A:TG_SPLIT: 0
	.section	.text._ZN7rocprim17ROCPRIM_400000_NS6detail17trampoline_kernelINS0_14default_configENS1_25partition_config_selectorILNS1_17partition_subalgoE2EiNS0_10empty_typeEbEEZZNS1_14partition_implILS5_2ELb0ES3_jN6thrust23THRUST_200600_302600_NS6detail15normal_iteratorINSA_7pointerIiNSA_11hip_rocprim3tagENSA_11use_defaultESG_EEEEPS6_NSA_18transform_iteratorI10is_orderedNSA_12zip_iteratorINSA_5tupleINSC_INSA_10device_ptrIiEEEESQ_NSA_9null_typeESR_SR_SR_SR_SR_SR_SR_EEEESG_SG_EENS0_5tupleIJPiSJ_EEENSV_IJSJ_SJ_EEES6_PlJS6_EEE10hipError_tPvRmT3_T4_T5_T6_T7_T9_mT8_P12ihipStream_tbDpT10_ENKUlT_T0_E_clISt17integral_constantIbLb1EES1I_IbLb0EEEEDaS1E_S1F_EUlS1E_E_NS1_11comp_targetILNS1_3genE8ELNS1_11target_archE1030ELNS1_3gpuE2ELNS1_3repE0EEENS1_30default_config_static_selectorELNS0_4arch9wavefront6targetE1EEEvT1_,"axG",@progbits,_ZN7rocprim17ROCPRIM_400000_NS6detail17trampoline_kernelINS0_14default_configENS1_25partition_config_selectorILNS1_17partition_subalgoE2EiNS0_10empty_typeEbEEZZNS1_14partition_implILS5_2ELb0ES3_jN6thrust23THRUST_200600_302600_NS6detail15normal_iteratorINSA_7pointerIiNSA_11hip_rocprim3tagENSA_11use_defaultESG_EEEEPS6_NSA_18transform_iteratorI10is_orderedNSA_12zip_iteratorINSA_5tupleINSC_INSA_10device_ptrIiEEEESQ_NSA_9null_typeESR_SR_SR_SR_SR_SR_SR_EEEESG_SG_EENS0_5tupleIJPiSJ_EEENSV_IJSJ_SJ_EEES6_PlJS6_EEE10hipError_tPvRmT3_T4_T5_T6_T7_T9_mT8_P12ihipStream_tbDpT10_ENKUlT_T0_E_clISt17integral_constantIbLb1EES1I_IbLb0EEEEDaS1E_S1F_EUlS1E_E_NS1_11comp_targetILNS1_3genE8ELNS1_11target_archE1030ELNS1_3gpuE2ELNS1_3repE0EEENS1_30default_config_static_selectorELNS0_4arch9wavefront6targetE1EEEvT1_,comdat
	.protected	_ZN7rocprim17ROCPRIM_400000_NS6detail17trampoline_kernelINS0_14default_configENS1_25partition_config_selectorILNS1_17partition_subalgoE2EiNS0_10empty_typeEbEEZZNS1_14partition_implILS5_2ELb0ES3_jN6thrust23THRUST_200600_302600_NS6detail15normal_iteratorINSA_7pointerIiNSA_11hip_rocprim3tagENSA_11use_defaultESG_EEEEPS6_NSA_18transform_iteratorI10is_orderedNSA_12zip_iteratorINSA_5tupleINSC_INSA_10device_ptrIiEEEESQ_NSA_9null_typeESR_SR_SR_SR_SR_SR_SR_EEEESG_SG_EENS0_5tupleIJPiSJ_EEENSV_IJSJ_SJ_EEES6_PlJS6_EEE10hipError_tPvRmT3_T4_T5_T6_T7_T9_mT8_P12ihipStream_tbDpT10_ENKUlT_T0_E_clISt17integral_constantIbLb1EES1I_IbLb0EEEEDaS1E_S1F_EUlS1E_E_NS1_11comp_targetILNS1_3genE8ELNS1_11target_archE1030ELNS1_3gpuE2ELNS1_3repE0EEENS1_30default_config_static_selectorELNS0_4arch9wavefront6targetE1EEEvT1_ ; -- Begin function _ZN7rocprim17ROCPRIM_400000_NS6detail17trampoline_kernelINS0_14default_configENS1_25partition_config_selectorILNS1_17partition_subalgoE2EiNS0_10empty_typeEbEEZZNS1_14partition_implILS5_2ELb0ES3_jN6thrust23THRUST_200600_302600_NS6detail15normal_iteratorINSA_7pointerIiNSA_11hip_rocprim3tagENSA_11use_defaultESG_EEEEPS6_NSA_18transform_iteratorI10is_orderedNSA_12zip_iteratorINSA_5tupleINSC_INSA_10device_ptrIiEEEESQ_NSA_9null_typeESR_SR_SR_SR_SR_SR_SR_EEEESG_SG_EENS0_5tupleIJPiSJ_EEENSV_IJSJ_SJ_EEES6_PlJS6_EEE10hipError_tPvRmT3_T4_T5_T6_T7_T9_mT8_P12ihipStream_tbDpT10_ENKUlT_T0_E_clISt17integral_constantIbLb1EES1I_IbLb0EEEEDaS1E_S1F_EUlS1E_E_NS1_11comp_targetILNS1_3genE8ELNS1_11target_archE1030ELNS1_3gpuE2ELNS1_3repE0EEENS1_30default_config_static_selectorELNS0_4arch9wavefront6targetE1EEEvT1_
	.globl	_ZN7rocprim17ROCPRIM_400000_NS6detail17trampoline_kernelINS0_14default_configENS1_25partition_config_selectorILNS1_17partition_subalgoE2EiNS0_10empty_typeEbEEZZNS1_14partition_implILS5_2ELb0ES3_jN6thrust23THRUST_200600_302600_NS6detail15normal_iteratorINSA_7pointerIiNSA_11hip_rocprim3tagENSA_11use_defaultESG_EEEEPS6_NSA_18transform_iteratorI10is_orderedNSA_12zip_iteratorINSA_5tupleINSC_INSA_10device_ptrIiEEEESQ_NSA_9null_typeESR_SR_SR_SR_SR_SR_SR_EEEESG_SG_EENS0_5tupleIJPiSJ_EEENSV_IJSJ_SJ_EEES6_PlJS6_EEE10hipError_tPvRmT3_T4_T5_T6_T7_T9_mT8_P12ihipStream_tbDpT10_ENKUlT_T0_E_clISt17integral_constantIbLb1EES1I_IbLb0EEEEDaS1E_S1F_EUlS1E_E_NS1_11comp_targetILNS1_3genE8ELNS1_11target_archE1030ELNS1_3gpuE2ELNS1_3repE0EEENS1_30default_config_static_selectorELNS0_4arch9wavefront6targetE1EEEvT1_
	.p2align	8
	.type	_ZN7rocprim17ROCPRIM_400000_NS6detail17trampoline_kernelINS0_14default_configENS1_25partition_config_selectorILNS1_17partition_subalgoE2EiNS0_10empty_typeEbEEZZNS1_14partition_implILS5_2ELb0ES3_jN6thrust23THRUST_200600_302600_NS6detail15normal_iteratorINSA_7pointerIiNSA_11hip_rocprim3tagENSA_11use_defaultESG_EEEEPS6_NSA_18transform_iteratorI10is_orderedNSA_12zip_iteratorINSA_5tupleINSC_INSA_10device_ptrIiEEEESQ_NSA_9null_typeESR_SR_SR_SR_SR_SR_SR_EEEESG_SG_EENS0_5tupleIJPiSJ_EEENSV_IJSJ_SJ_EEES6_PlJS6_EEE10hipError_tPvRmT3_T4_T5_T6_T7_T9_mT8_P12ihipStream_tbDpT10_ENKUlT_T0_E_clISt17integral_constantIbLb1EES1I_IbLb0EEEEDaS1E_S1F_EUlS1E_E_NS1_11comp_targetILNS1_3genE8ELNS1_11target_archE1030ELNS1_3gpuE2ELNS1_3repE0EEENS1_30default_config_static_selectorELNS0_4arch9wavefront6targetE1EEEvT1_,@function
_ZN7rocprim17ROCPRIM_400000_NS6detail17trampoline_kernelINS0_14default_configENS1_25partition_config_selectorILNS1_17partition_subalgoE2EiNS0_10empty_typeEbEEZZNS1_14partition_implILS5_2ELb0ES3_jN6thrust23THRUST_200600_302600_NS6detail15normal_iteratorINSA_7pointerIiNSA_11hip_rocprim3tagENSA_11use_defaultESG_EEEEPS6_NSA_18transform_iteratorI10is_orderedNSA_12zip_iteratorINSA_5tupleINSC_INSA_10device_ptrIiEEEESQ_NSA_9null_typeESR_SR_SR_SR_SR_SR_SR_EEEESG_SG_EENS0_5tupleIJPiSJ_EEENSV_IJSJ_SJ_EEES6_PlJS6_EEE10hipError_tPvRmT3_T4_T5_T6_T7_T9_mT8_P12ihipStream_tbDpT10_ENKUlT_T0_E_clISt17integral_constantIbLb1EES1I_IbLb0EEEEDaS1E_S1F_EUlS1E_E_NS1_11comp_targetILNS1_3genE8ELNS1_11target_archE1030ELNS1_3gpuE2ELNS1_3repE0EEENS1_30default_config_static_selectorELNS0_4arch9wavefront6targetE1EEEvT1_: ; @_ZN7rocprim17ROCPRIM_400000_NS6detail17trampoline_kernelINS0_14default_configENS1_25partition_config_selectorILNS1_17partition_subalgoE2EiNS0_10empty_typeEbEEZZNS1_14partition_implILS5_2ELb0ES3_jN6thrust23THRUST_200600_302600_NS6detail15normal_iteratorINSA_7pointerIiNSA_11hip_rocprim3tagENSA_11use_defaultESG_EEEEPS6_NSA_18transform_iteratorI10is_orderedNSA_12zip_iteratorINSA_5tupleINSC_INSA_10device_ptrIiEEEESQ_NSA_9null_typeESR_SR_SR_SR_SR_SR_SR_EEEESG_SG_EENS0_5tupleIJPiSJ_EEENSV_IJSJ_SJ_EEES6_PlJS6_EEE10hipError_tPvRmT3_T4_T5_T6_T7_T9_mT8_P12ihipStream_tbDpT10_ENKUlT_T0_E_clISt17integral_constantIbLb1EES1I_IbLb0EEEEDaS1E_S1F_EUlS1E_E_NS1_11comp_targetILNS1_3genE8ELNS1_11target_archE1030ELNS1_3gpuE2ELNS1_3repE0EEENS1_30default_config_static_selectorELNS0_4arch9wavefront6targetE1EEEvT1_
; %bb.0:
	.section	.rodata,"a",@progbits
	.p2align	6, 0x0
	.amdhsa_kernel _ZN7rocprim17ROCPRIM_400000_NS6detail17trampoline_kernelINS0_14default_configENS1_25partition_config_selectorILNS1_17partition_subalgoE2EiNS0_10empty_typeEbEEZZNS1_14partition_implILS5_2ELb0ES3_jN6thrust23THRUST_200600_302600_NS6detail15normal_iteratorINSA_7pointerIiNSA_11hip_rocprim3tagENSA_11use_defaultESG_EEEEPS6_NSA_18transform_iteratorI10is_orderedNSA_12zip_iteratorINSA_5tupleINSC_INSA_10device_ptrIiEEEESQ_NSA_9null_typeESR_SR_SR_SR_SR_SR_SR_EEEESG_SG_EENS0_5tupleIJPiSJ_EEENSV_IJSJ_SJ_EEES6_PlJS6_EEE10hipError_tPvRmT3_T4_T5_T6_T7_T9_mT8_P12ihipStream_tbDpT10_ENKUlT_T0_E_clISt17integral_constantIbLb1EES1I_IbLb0EEEEDaS1E_S1F_EUlS1E_E_NS1_11comp_targetILNS1_3genE8ELNS1_11target_archE1030ELNS1_3gpuE2ELNS1_3repE0EEENS1_30default_config_static_selectorELNS0_4arch9wavefront6targetE1EEEvT1_
		.amdhsa_group_segment_fixed_size 0
		.amdhsa_private_segment_fixed_size 0
		.amdhsa_kernarg_size 136
		.amdhsa_user_sgpr_count 2
		.amdhsa_user_sgpr_dispatch_ptr 0
		.amdhsa_user_sgpr_queue_ptr 0
		.amdhsa_user_sgpr_kernarg_segment_ptr 1
		.amdhsa_user_sgpr_dispatch_id 0
		.amdhsa_user_sgpr_kernarg_preload_length 0
		.amdhsa_user_sgpr_kernarg_preload_offset 0
		.amdhsa_user_sgpr_private_segment_size 0
		.amdhsa_uses_dynamic_stack 0
		.amdhsa_enable_private_segment 0
		.amdhsa_system_sgpr_workgroup_id_x 1
		.amdhsa_system_sgpr_workgroup_id_y 0
		.amdhsa_system_sgpr_workgroup_id_z 0
		.amdhsa_system_sgpr_workgroup_info 0
		.amdhsa_system_vgpr_workitem_id 0
		.amdhsa_next_free_vgpr 1
		.amdhsa_next_free_sgpr 0
		.amdhsa_accum_offset 4
		.amdhsa_reserve_vcc 0
		.amdhsa_float_round_mode_32 0
		.amdhsa_float_round_mode_16_64 0
		.amdhsa_float_denorm_mode_32 3
		.amdhsa_float_denorm_mode_16_64 3
		.amdhsa_dx10_clamp 1
		.amdhsa_ieee_mode 1
		.amdhsa_fp16_overflow 0
		.amdhsa_tg_split 0
		.amdhsa_exception_fp_ieee_invalid_op 0
		.amdhsa_exception_fp_denorm_src 0
		.amdhsa_exception_fp_ieee_div_zero 0
		.amdhsa_exception_fp_ieee_overflow 0
		.amdhsa_exception_fp_ieee_underflow 0
		.amdhsa_exception_fp_ieee_inexact 0
		.amdhsa_exception_int_div_zero 0
	.end_amdhsa_kernel
	.section	.text._ZN7rocprim17ROCPRIM_400000_NS6detail17trampoline_kernelINS0_14default_configENS1_25partition_config_selectorILNS1_17partition_subalgoE2EiNS0_10empty_typeEbEEZZNS1_14partition_implILS5_2ELb0ES3_jN6thrust23THRUST_200600_302600_NS6detail15normal_iteratorINSA_7pointerIiNSA_11hip_rocprim3tagENSA_11use_defaultESG_EEEEPS6_NSA_18transform_iteratorI10is_orderedNSA_12zip_iteratorINSA_5tupleINSC_INSA_10device_ptrIiEEEESQ_NSA_9null_typeESR_SR_SR_SR_SR_SR_SR_EEEESG_SG_EENS0_5tupleIJPiSJ_EEENSV_IJSJ_SJ_EEES6_PlJS6_EEE10hipError_tPvRmT3_T4_T5_T6_T7_T9_mT8_P12ihipStream_tbDpT10_ENKUlT_T0_E_clISt17integral_constantIbLb1EES1I_IbLb0EEEEDaS1E_S1F_EUlS1E_E_NS1_11comp_targetILNS1_3genE8ELNS1_11target_archE1030ELNS1_3gpuE2ELNS1_3repE0EEENS1_30default_config_static_selectorELNS0_4arch9wavefront6targetE1EEEvT1_,"axG",@progbits,_ZN7rocprim17ROCPRIM_400000_NS6detail17trampoline_kernelINS0_14default_configENS1_25partition_config_selectorILNS1_17partition_subalgoE2EiNS0_10empty_typeEbEEZZNS1_14partition_implILS5_2ELb0ES3_jN6thrust23THRUST_200600_302600_NS6detail15normal_iteratorINSA_7pointerIiNSA_11hip_rocprim3tagENSA_11use_defaultESG_EEEEPS6_NSA_18transform_iteratorI10is_orderedNSA_12zip_iteratorINSA_5tupleINSC_INSA_10device_ptrIiEEEESQ_NSA_9null_typeESR_SR_SR_SR_SR_SR_SR_EEEESG_SG_EENS0_5tupleIJPiSJ_EEENSV_IJSJ_SJ_EEES6_PlJS6_EEE10hipError_tPvRmT3_T4_T5_T6_T7_T9_mT8_P12ihipStream_tbDpT10_ENKUlT_T0_E_clISt17integral_constantIbLb1EES1I_IbLb0EEEEDaS1E_S1F_EUlS1E_E_NS1_11comp_targetILNS1_3genE8ELNS1_11target_archE1030ELNS1_3gpuE2ELNS1_3repE0EEENS1_30default_config_static_selectorELNS0_4arch9wavefront6targetE1EEEvT1_,comdat
.Lfunc_end3617:
	.size	_ZN7rocprim17ROCPRIM_400000_NS6detail17trampoline_kernelINS0_14default_configENS1_25partition_config_selectorILNS1_17partition_subalgoE2EiNS0_10empty_typeEbEEZZNS1_14partition_implILS5_2ELb0ES3_jN6thrust23THRUST_200600_302600_NS6detail15normal_iteratorINSA_7pointerIiNSA_11hip_rocprim3tagENSA_11use_defaultESG_EEEEPS6_NSA_18transform_iteratorI10is_orderedNSA_12zip_iteratorINSA_5tupleINSC_INSA_10device_ptrIiEEEESQ_NSA_9null_typeESR_SR_SR_SR_SR_SR_SR_EEEESG_SG_EENS0_5tupleIJPiSJ_EEENSV_IJSJ_SJ_EEES6_PlJS6_EEE10hipError_tPvRmT3_T4_T5_T6_T7_T9_mT8_P12ihipStream_tbDpT10_ENKUlT_T0_E_clISt17integral_constantIbLb1EES1I_IbLb0EEEEDaS1E_S1F_EUlS1E_E_NS1_11comp_targetILNS1_3genE8ELNS1_11target_archE1030ELNS1_3gpuE2ELNS1_3repE0EEENS1_30default_config_static_selectorELNS0_4arch9wavefront6targetE1EEEvT1_, .Lfunc_end3617-_ZN7rocprim17ROCPRIM_400000_NS6detail17trampoline_kernelINS0_14default_configENS1_25partition_config_selectorILNS1_17partition_subalgoE2EiNS0_10empty_typeEbEEZZNS1_14partition_implILS5_2ELb0ES3_jN6thrust23THRUST_200600_302600_NS6detail15normal_iteratorINSA_7pointerIiNSA_11hip_rocprim3tagENSA_11use_defaultESG_EEEEPS6_NSA_18transform_iteratorI10is_orderedNSA_12zip_iteratorINSA_5tupleINSC_INSA_10device_ptrIiEEEESQ_NSA_9null_typeESR_SR_SR_SR_SR_SR_SR_EEEESG_SG_EENS0_5tupleIJPiSJ_EEENSV_IJSJ_SJ_EEES6_PlJS6_EEE10hipError_tPvRmT3_T4_T5_T6_T7_T9_mT8_P12ihipStream_tbDpT10_ENKUlT_T0_E_clISt17integral_constantIbLb1EES1I_IbLb0EEEEDaS1E_S1F_EUlS1E_E_NS1_11comp_targetILNS1_3genE8ELNS1_11target_archE1030ELNS1_3gpuE2ELNS1_3repE0EEENS1_30default_config_static_selectorELNS0_4arch9wavefront6targetE1EEEvT1_
                                        ; -- End function
	.section	.AMDGPU.csdata,"",@progbits
; Kernel info:
; codeLenInByte = 0
; NumSgprs: 6
; NumVgprs: 0
; NumAgprs: 0
; TotalNumVgprs: 0
; ScratchSize: 0
; MemoryBound: 0
; FloatMode: 240
; IeeeMode: 1
; LDSByteSize: 0 bytes/workgroup (compile time only)
; SGPRBlocks: 0
; VGPRBlocks: 0
; NumSGPRsForWavesPerEU: 6
; NumVGPRsForWavesPerEU: 1
; AccumOffset: 4
; Occupancy: 8
; WaveLimiterHint : 0
; COMPUTE_PGM_RSRC2:SCRATCH_EN: 0
; COMPUTE_PGM_RSRC2:USER_SGPR: 2
; COMPUTE_PGM_RSRC2:TRAP_HANDLER: 0
; COMPUTE_PGM_RSRC2:TGID_X_EN: 1
; COMPUTE_PGM_RSRC2:TGID_Y_EN: 0
; COMPUTE_PGM_RSRC2:TGID_Z_EN: 0
; COMPUTE_PGM_RSRC2:TIDIG_COMP_CNT: 0
; COMPUTE_PGM_RSRC3_GFX90A:ACCUM_OFFSET: 0
; COMPUTE_PGM_RSRC3_GFX90A:TG_SPLIT: 0
	.section	.text._ZN7rocprim17ROCPRIM_400000_NS6detail17trampoline_kernelINS0_14default_configENS1_25partition_config_selectorILNS1_17partition_subalgoE2EiNS0_10empty_typeEbEEZZNS1_14partition_implILS5_2ELb0ES3_jN6thrust23THRUST_200600_302600_NS6detail15normal_iteratorINSA_7pointerIiNSA_11hip_rocprim3tagENSA_11use_defaultESG_EEEEPS6_NSA_18transform_iteratorI10is_orderedNSA_12zip_iteratorINSA_5tupleINSC_INSA_10device_ptrIiEEEESQ_NSA_9null_typeESR_SR_SR_SR_SR_SR_SR_EEEESG_SG_EENS0_5tupleIJPiSJ_EEENSV_IJSJ_SJ_EEES6_PlJS6_EEE10hipError_tPvRmT3_T4_T5_T6_T7_T9_mT8_P12ihipStream_tbDpT10_ENKUlT_T0_E_clISt17integral_constantIbLb0EES1I_IbLb1EEEEDaS1E_S1F_EUlS1E_E_NS1_11comp_targetILNS1_3genE0ELNS1_11target_archE4294967295ELNS1_3gpuE0ELNS1_3repE0EEENS1_30default_config_static_selectorELNS0_4arch9wavefront6targetE1EEEvT1_,"axG",@progbits,_ZN7rocprim17ROCPRIM_400000_NS6detail17trampoline_kernelINS0_14default_configENS1_25partition_config_selectorILNS1_17partition_subalgoE2EiNS0_10empty_typeEbEEZZNS1_14partition_implILS5_2ELb0ES3_jN6thrust23THRUST_200600_302600_NS6detail15normal_iteratorINSA_7pointerIiNSA_11hip_rocprim3tagENSA_11use_defaultESG_EEEEPS6_NSA_18transform_iteratorI10is_orderedNSA_12zip_iteratorINSA_5tupleINSC_INSA_10device_ptrIiEEEESQ_NSA_9null_typeESR_SR_SR_SR_SR_SR_SR_EEEESG_SG_EENS0_5tupleIJPiSJ_EEENSV_IJSJ_SJ_EEES6_PlJS6_EEE10hipError_tPvRmT3_T4_T5_T6_T7_T9_mT8_P12ihipStream_tbDpT10_ENKUlT_T0_E_clISt17integral_constantIbLb0EES1I_IbLb1EEEEDaS1E_S1F_EUlS1E_E_NS1_11comp_targetILNS1_3genE0ELNS1_11target_archE4294967295ELNS1_3gpuE0ELNS1_3repE0EEENS1_30default_config_static_selectorELNS0_4arch9wavefront6targetE1EEEvT1_,comdat
	.protected	_ZN7rocprim17ROCPRIM_400000_NS6detail17trampoline_kernelINS0_14default_configENS1_25partition_config_selectorILNS1_17partition_subalgoE2EiNS0_10empty_typeEbEEZZNS1_14partition_implILS5_2ELb0ES3_jN6thrust23THRUST_200600_302600_NS6detail15normal_iteratorINSA_7pointerIiNSA_11hip_rocprim3tagENSA_11use_defaultESG_EEEEPS6_NSA_18transform_iteratorI10is_orderedNSA_12zip_iteratorINSA_5tupleINSC_INSA_10device_ptrIiEEEESQ_NSA_9null_typeESR_SR_SR_SR_SR_SR_SR_EEEESG_SG_EENS0_5tupleIJPiSJ_EEENSV_IJSJ_SJ_EEES6_PlJS6_EEE10hipError_tPvRmT3_T4_T5_T6_T7_T9_mT8_P12ihipStream_tbDpT10_ENKUlT_T0_E_clISt17integral_constantIbLb0EES1I_IbLb1EEEEDaS1E_S1F_EUlS1E_E_NS1_11comp_targetILNS1_3genE0ELNS1_11target_archE4294967295ELNS1_3gpuE0ELNS1_3repE0EEENS1_30default_config_static_selectorELNS0_4arch9wavefront6targetE1EEEvT1_ ; -- Begin function _ZN7rocprim17ROCPRIM_400000_NS6detail17trampoline_kernelINS0_14default_configENS1_25partition_config_selectorILNS1_17partition_subalgoE2EiNS0_10empty_typeEbEEZZNS1_14partition_implILS5_2ELb0ES3_jN6thrust23THRUST_200600_302600_NS6detail15normal_iteratorINSA_7pointerIiNSA_11hip_rocprim3tagENSA_11use_defaultESG_EEEEPS6_NSA_18transform_iteratorI10is_orderedNSA_12zip_iteratorINSA_5tupleINSC_INSA_10device_ptrIiEEEESQ_NSA_9null_typeESR_SR_SR_SR_SR_SR_SR_EEEESG_SG_EENS0_5tupleIJPiSJ_EEENSV_IJSJ_SJ_EEES6_PlJS6_EEE10hipError_tPvRmT3_T4_T5_T6_T7_T9_mT8_P12ihipStream_tbDpT10_ENKUlT_T0_E_clISt17integral_constantIbLb0EES1I_IbLb1EEEEDaS1E_S1F_EUlS1E_E_NS1_11comp_targetILNS1_3genE0ELNS1_11target_archE4294967295ELNS1_3gpuE0ELNS1_3repE0EEENS1_30default_config_static_selectorELNS0_4arch9wavefront6targetE1EEEvT1_
	.globl	_ZN7rocprim17ROCPRIM_400000_NS6detail17trampoline_kernelINS0_14default_configENS1_25partition_config_selectorILNS1_17partition_subalgoE2EiNS0_10empty_typeEbEEZZNS1_14partition_implILS5_2ELb0ES3_jN6thrust23THRUST_200600_302600_NS6detail15normal_iteratorINSA_7pointerIiNSA_11hip_rocprim3tagENSA_11use_defaultESG_EEEEPS6_NSA_18transform_iteratorI10is_orderedNSA_12zip_iteratorINSA_5tupleINSC_INSA_10device_ptrIiEEEESQ_NSA_9null_typeESR_SR_SR_SR_SR_SR_SR_EEEESG_SG_EENS0_5tupleIJPiSJ_EEENSV_IJSJ_SJ_EEES6_PlJS6_EEE10hipError_tPvRmT3_T4_T5_T6_T7_T9_mT8_P12ihipStream_tbDpT10_ENKUlT_T0_E_clISt17integral_constantIbLb0EES1I_IbLb1EEEEDaS1E_S1F_EUlS1E_E_NS1_11comp_targetILNS1_3genE0ELNS1_11target_archE4294967295ELNS1_3gpuE0ELNS1_3repE0EEENS1_30default_config_static_selectorELNS0_4arch9wavefront6targetE1EEEvT1_
	.p2align	8
	.type	_ZN7rocprim17ROCPRIM_400000_NS6detail17trampoline_kernelINS0_14default_configENS1_25partition_config_selectorILNS1_17partition_subalgoE2EiNS0_10empty_typeEbEEZZNS1_14partition_implILS5_2ELb0ES3_jN6thrust23THRUST_200600_302600_NS6detail15normal_iteratorINSA_7pointerIiNSA_11hip_rocprim3tagENSA_11use_defaultESG_EEEEPS6_NSA_18transform_iteratorI10is_orderedNSA_12zip_iteratorINSA_5tupleINSC_INSA_10device_ptrIiEEEESQ_NSA_9null_typeESR_SR_SR_SR_SR_SR_SR_EEEESG_SG_EENS0_5tupleIJPiSJ_EEENSV_IJSJ_SJ_EEES6_PlJS6_EEE10hipError_tPvRmT3_T4_T5_T6_T7_T9_mT8_P12ihipStream_tbDpT10_ENKUlT_T0_E_clISt17integral_constantIbLb0EES1I_IbLb1EEEEDaS1E_S1F_EUlS1E_E_NS1_11comp_targetILNS1_3genE0ELNS1_11target_archE4294967295ELNS1_3gpuE0ELNS1_3repE0EEENS1_30default_config_static_selectorELNS0_4arch9wavefront6targetE1EEEvT1_,@function
_ZN7rocprim17ROCPRIM_400000_NS6detail17trampoline_kernelINS0_14default_configENS1_25partition_config_selectorILNS1_17partition_subalgoE2EiNS0_10empty_typeEbEEZZNS1_14partition_implILS5_2ELb0ES3_jN6thrust23THRUST_200600_302600_NS6detail15normal_iteratorINSA_7pointerIiNSA_11hip_rocprim3tagENSA_11use_defaultESG_EEEEPS6_NSA_18transform_iteratorI10is_orderedNSA_12zip_iteratorINSA_5tupleINSC_INSA_10device_ptrIiEEEESQ_NSA_9null_typeESR_SR_SR_SR_SR_SR_SR_EEEESG_SG_EENS0_5tupleIJPiSJ_EEENSV_IJSJ_SJ_EEES6_PlJS6_EEE10hipError_tPvRmT3_T4_T5_T6_T7_T9_mT8_P12ihipStream_tbDpT10_ENKUlT_T0_E_clISt17integral_constantIbLb0EES1I_IbLb1EEEEDaS1E_S1F_EUlS1E_E_NS1_11comp_targetILNS1_3genE0ELNS1_11target_archE4294967295ELNS1_3gpuE0ELNS1_3repE0EEENS1_30default_config_static_selectorELNS0_4arch9wavefront6targetE1EEEvT1_: ; @_ZN7rocprim17ROCPRIM_400000_NS6detail17trampoline_kernelINS0_14default_configENS1_25partition_config_selectorILNS1_17partition_subalgoE2EiNS0_10empty_typeEbEEZZNS1_14partition_implILS5_2ELb0ES3_jN6thrust23THRUST_200600_302600_NS6detail15normal_iteratorINSA_7pointerIiNSA_11hip_rocprim3tagENSA_11use_defaultESG_EEEEPS6_NSA_18transform_iteratorI10is_orderedNSA_12zip_iteratorINSA_5tupleINSC_INSA_10device_ptrIiEEEESQ_NSA_9null_typeESR_SR_SR_SR_SR_SR_SR_EEEESG_SG_EENS0_5tupleIJPiSJ_EEENSV_IJSJ_SJ_EEES6_PlJS6_EEE10hipError_tPvRmT3_T4_T5_T6_T7_T9_mT8_P12ihipStream_tbDpT10_ENKUlT_T0_E_clISt17integral_constantIbLb0EES1I_IbLb1EEEEDaS1E_S1F_EUlS1E_E_NS1_11comp_targetILNS1_3genE0ELNS1_11target_archE4294967295ELNS1_3gpuE0ELNS1_3repE0EEENS1_30default_config_static_selectorELNS0_4arch9wavefront6targetE1EEEvT1_
; %bb.0:
	.section	.rodata,"a",@progbits
	.p2align	6, 0x0
	.amdhsa_kernel _ZN7rocprim17ROCPRIM_400000_NS6detail17trampoline_kernelINS0_14default_configENS1_25partition_config_selectorILNS1_17partition_subalgoE2EiNS0_10empty_typeEbEEZZNS1_14partition_implILS5_2ELb0ES3_jN6thrust23THRUST_200600_302600_NS6detail15normal_iteratorINSA_7pointerIiNSA_11hip_rocprim3tagENSA_11use_defaultESG_EEEEPS6_NSA_18transform_iteratorI10is_orderedNSA_12zip_iteratorINSA_5tupleINSC_INSA_10device_ptrIiEEEESQ_NSA_9null_typeESR_SR_SR_SR_SR_SR_SR_EEEESG_SG_EENS0_5tupleIJPiSJ_EEENSV_IJSJ_SJ_EEES6_PlJS6_EEE10hipError_tPvRmT3_T4_T5_T6_T7_T9_mT8_P12ihipStream_tbDpT10_ENKUlT_T0_E_clISt17integral_constantIbLb0EES1I_IbLb1EEEEDaS1E_S1F_EUlS1E_E_NS1_11comp_targetILNS1_3genE0ELNS1_11target_archE4294967295ELNS1_3gpuE0ELNS1_3repE0EEENS1_30default_config_static_selectorELNS0_4arch9wavefront6targetE1EEEvT1_
		.amdhsa_group_segment_fixed_size 0
		.amdhsa_private_segment_fixed_size 0
		.amdhsa_kernarg_size 152
		.amdhsa_user_sgpr_count 2
		.amdhsa_user_sgpr_dispatch_ptr 0
		.amdhsa_user_sgpr_queue_ptr 0
		.amdhsa_user_sgpr_kernarg_segment_ptr 1
		.amdhsa_user_sgpr_dispatch_id 0
		.amdhsa_user_sgpr_kernarg_preload_length 0
		.amdhsa_user_sgpr_kernarg_preload_offset 0
		.amdhsa_user_sgpr_private_segment_size 0
		.amdhsa_uses_dynamic_stack 0
		.amdhsa_enable_private_segment 0
		.amdhsa_system_sgpr_workgroup_id_x 1
		.amdhsa_system_sgpr_workgroup_id_y 0
		.amdhsa_system_sgpr_workgroup_id_z 0
		.amdhsa_system_sgpr_workgroup_info 0
		.amdhsa_system_vgpr_workitem_id 0
		.amdhsa_next_free_vgpr 1
		.amdhsa_next_free_sgpr 0
		.amdhsa_accum_offset 4
		.amdhsa_reserve_vcc 0
		.amdhsa_float_round_mode_32 0
		.amdhsa_float_round_mode_16_64 0
		.amdhsa_float_denorm_mode_32 3
		.amdhsa_float_denorm_mode_16_64 3
		.amdhsa_dx10_clamp 1
		.amdhsa_ieee_mode 1
		.amdhsa_fp16_overflow 0
		.amdhsa_tg_split 0
		.amdhsa_exception_fp_ieee_invalid_op 0
		.amdhsa_exception_fp_denorm_src 0
		.amdhsa_exception_fp_ieee_div_zero 0
		.amdhsa_exception_fp_ieee_overflow 0
		.amdhsa_exception_fp_ieee_underflow 0
		.amdhsa_exception_fp_ieee_inexact 0
		.amdhsa_exception_int_div_zero 0
	.end_amdhsa_kernel
	.section	.text._ZN7rocprim17ROCPRIM_400000_NS6detail17trampoline_kernelINS0_14default_configENS1_25partition_config_selectorILNS1_17partition_subalgoE2EiNS0_10empty_typeEbEEZZNS1_14partition_implILS5_2ELb0ES3_jN6thrust23THRUST_200600_302600_NS6detail15normal_iteratorINSA_7pointerIiNSA_11hip_rocprim3tagENSA_11use_defaultESG_EEEEPS6_NSA_18transform_iteratorI10is_orderedNSA_12zip_iteratorINSA_5tupleINSC_INSA_10device_ptrIiEEEESQ_NSA_9null_typeESR_SR_SR_SR_SR_SR_SR_EEEESG_SG_EENS0_5tupleIJPiSJ_EEENSV_IJSJ_SJ_EEES6_PlJS6_EEE10hipError_tPvRmT3_T4_T5_T6_T7_T9_mT8_P12ihipStream_tbDpT10_ENKUlT_T0_E_clISt17integral_constantIbLb0EES1I_IbLb1EEEEDaS1E_S1F_EUlS1E_E_NS1_11comp_targetILNS1_3genE0ELNS1_11target_archE4294967295ELNS1_3gpuE0ELNS1_3repE0EEENS1_30default_config_static_selectorELNS0_4arch9wavefront6targetE1EEEvT1_,"axG",@progbits,_ZN7rocprim17ROCPRIM_400000_NS6detail17trampoline_kernelINS0_14default_configENS1_25partition_config_selectorILNS1_17partition_subalgoE2EiNS0_10empty_typeEbEEZZNS1_14partition_implILS5_2ELb0ES3_jN6thrust23THRUST_200600_302600_NS6detail15normal_iteratorINSA_7pointerIiNSA_11hip_rocprim3tagENSA_11use_defaultESG_EEEEPS6_NSA_18transform_iteratorI10is_orderedNSA_12zip_iteratorINSA_5tupleINSC_INSA_10device_ptrIiEEEESQ_NSA_9null_typeESR_SR_SR_SR_SR_SR_SR_EEEESG_SG_EENS0_5tupleIJPiSJ_EEENSV_IJSJ_SJ_EEES6_PlJS6_EEE10hipError_tPvRmT3_T4_T5_T6_T7_T9_mT8_P12ihipStream_tbDpT10_ENKUlT_T0_E_clISt17integral_constantIbLb0EES1I_IbLb1EEEEDaS1E_S1F_EUlS1E_E_NS1_11comp_targetILNS1_3genE0ELNS1_11target_archE4294967295ELNS1_3gpuE0ELNS1_3repE0EEENS1_30default_config_static_selectorELNS0_4arch9wavefront6targetE1EEEvT1_,comdat
.Lfunc_end3618:
	.size	_ZN7rocprim17ROCPRIM_400000_NS6detail17trampoline_kernelINS0_14default_configENS1_25partition_config_selectorILNS1_17partition_subalgoE2EiNS0_10empty_typeEbEEZZNS1_14partition_implILS5_2ELb0ES3_jN6thrust23THRUST_200600_302600_NS6detail15normal_iteratorINSA_7pointerIiNSA_11hip_rocprim3tagENSA_11use_defaultESG_EEEEPS6_NSA_18transform_iteratorI10is_orderedNSA_12zip_iteratorINSA_5tupleINSC_INSA_10device_ptrIiEEEESQ_NSA_9null_typeESR_SR_SR_SR_SR_SR_SR_EEEESG_SG_EENS0_5tupleIJPiSJ_EEENSV_IJSJ_SJ_EEES6_PlJS6_EEE10hipError_tPvRmT3_T4_T5_T6_T7_T9_mT8_P12ihipStream_tbDpT10_ENKUlT_T0_E_clISt17integral_constantIbLb0EES1I_IbLb1EEEEDaS1E_S1F_EUlS1E_E_NS1_11comp_targetILNS1_3genE0ELNS1_11target_archE4294967295ELNS1_3gpuE0ELNS1_3repE0EEENS1_30default_config_static_selectorELNS0_4arch9wavefront6targetE1EEEvT1_, .Lfunc_end3618-_ZN7rocprim17ROCPRIM_400000_NS6detail17trampoline_kernelINS0_14default_configENS1_25partition_config_selectorILNS1_17partition_subalgoE2EiNS0_10empty_typeEbEEZZNS1_14partition_implILS5_2ELb0ES3_jN6thrust23THRUST_200600_302600_NS6detail15normal_iteratorINSA_7pointerIiNSA_11hip_rocprim3tagENSA_11use_defaultESG_EEEEPS6_NSA_18transform_iteratorI10is_orderedNSA_12zip_iteratorINSA_5tupleINSC_INSA_10device_ptrIiEEEESQ_NSA_9null_typeESR_SR_SR_SR_SR_SR_SR_EEEESG_SG_EENS0_5tupleIJPiSJ_EEENSV_IJSJ_SJ_EEES6_PlJS6_EEE10hipError_tPvRmT3_T4_T5_T6_T7_T9_mT8_P12ihipStream_tbDpT10_ENKUlT_T0_E_clISt17integral_constantIbLb0EES1I_IbLb1EEEEDaS1E_S1F_EUlS1E_E_NS1_11comp_targetILNS1_3genE0ELNS1_11target_archE4294967295ELNS1_3gpuE0ELNS1_3repE0EEENS1_30default_config_static_selectorELNS0_4arch9wavefront6targetE1EEEvT1_
                                        ; -- End function
	.section	.AMDGPU.csdata,"",@progbits
; Kernel info:
; codeLenInByte = 0
; NumSgprs: 6
; NumVgprs: 0
; NumAgprs: 0
; TotalNumVgprs: 0
; ScratchSize: 0
; MemoryBound: 0
; FloatMode: 240
; IeeeMode: 1
; LDSByteSize: 0 bytes/workgroup (compile time only)
; SGPRBlocks: 0
; VGPRBlocks: 0
; NumSGPRsForWavesPerEU: 6
; NumVGPRsForWavesPerEU: 1
; AccumOffset: 4
; Occupancy: 8
; WaveLimiterHint : 0
; COMPUTE_PGM_RSRC2:SCRATCH_EN: 0
; COMPUTE_PGM_RSRC2:USER_SGPR: 2
; COMPUTE_PGM_RSRC2:TRAP_HANDLER: 0
; COMPUTE_PGM_RSRC2:TGID_X_EN: 1
; COMPUTE_PGM_RSRC2:TGID_Y_EN: 0
; COMPUTE_PGM_RSRC2:TGID_Z_EN: 0
; COMPUTE_PGM_RSRC2:TIDIG_COMP_CNT: 0
; COMPUTE_PGM_RSRC3_GFX90A:ACCUM_OFFSET: 0
; COMPUTE_PGM_RSRC3_GFX90A:TG_SPLIT: 0
	.section	.text._ZN7rocprim17ROCPRIM_400000_NS6detail17trampoline_kernelINS0_14default_configENS1_25partition_config_selectorILNS1_17partition_subalgoE2EiNS0_10empty_typeEbEEZZNS1_14partition_implILS5_2ELb0ES3_jN6thrust23THRUST_200600_302600_NS6detail15normal_iteratorINSA_7pointerIiNSA_11hip_rocprim3tagENSA_11use_defaultESG_EEEEPS6_NSA_18transform_iteratorI10is_orderedNSA_12zip_iteratorINSA_5tupleINSC_INSA_10device_ptrIiEEEESQ_NSA_9null_typeESR_SR_SR_SR_SR_SR_SR_EEEESG_SG_EENS0_5tupleIJPiSJ_EEENSV_IJSJ_SJ_EEES6_PlJS6_EEE10hipError_tPvRmT3_T4_T5_T6_T7_T9_mT8_P12ihipStream_tbDpT10_ENKUlT_T0_E_clISt17integral_constantIbLb0EES1I_IbLb1EEEEDaS1E_S1F_EUlS1E_E_NS1_11comp_targetILNS1_3genE5ELNS1_11target_archE942ELNS1_3gpuE9ELNS1_3repE0EEENS1_30default_config_static_selectorELNS0_4arch9wavefront6targetE1EEEvT1_,"axG",@progbits,_ZN7rocprim17ROCPRIM_400000_NS6detail17trampoline_kernelINS0_14default_configENS1_25partition_config_selectorILNS1_17partition_subalgoE2EiNS0_10empty_typeEbEEZZNS1_14partition_implILS5_2ELb0ES3_jN6thrust23THRUST_200600_302600_NS6detail15normal_iteratorINSA_7pointerIiNSA_11hip_rocprim3tagENSA_11use_defaultESG_EEEEPS6_NSA_18transform_iteratorI10is_orderedNSA_12zip_iteratorINSA_5tupleINSC_INSA_10device_ptrIiEEEESQ_NSA_9null_typeESR_SR_SR_SR_SR_SR_SR_EEEESG_SG_EENS0_5tupleIJPiSJ_EEENSV_IJSJ_SJ_EEES6_PlJS6_EEE10hipError_tPvRmT3_T4_T5_T6_T7_T9_mT8_P12ihipStream_tbDpT10_ENKUlT_T0_E_clISt17integral_constantIbLb0EES1I_IbLb1EEEEDaS1E_S1F_EUlS1E_E_NS1_11comp_targetILNS1_3genE5ELNS1_11target_archE942ELNS1_3gpuE9ELNS1_3repE0EEENS1_30default_config_static_selectorELNS0_4arch9wavefront6targetE1EEEvT1_,comdat
	.protected	_ZN7rocprim17ROCPRIM_400000_NS6detail17trampoline_kernelINS0_14default_configENS1_25partition_config_selectorILNS1_17partition_subalgoE2EiNS0_10empty_typeEbEEZZNS1_14partition_implILS5_2ELb0ES3_jN6thrust23THRUST_200600_302600_NS6detail15normal_iteratorINSA_7pointerIiNSA_11hip_rocprim3tagENSA_11use_defaultESG_EEEEPS6_NSA_18transform_iteratorI10is_orderedNSA_12zip_iteratorINSA_5tupleINSC_INSA_10device_ptrIiEEEESQ_NSA_9null_typeESR_SR_SR_SR_SR_SR_SR_EEEESG_SG_EENS0_5tupleIJPiSJ_EEENSV_IJSJ_SJ_EEES6_PlJS6_EEE10hipError_tPvRmT3_T4_T5_T6_T7_T9_mT8_P12ihipStream_tbDpT10_ENKUlT_T0_E_clISt17integral_constantIbLb0EES1I_IbLb1EEEEDaS1E_S1F_EUlS1E_E_NS1_11comp_targetILNS1_3genE5ELNS1_11target_archE942ELNS1_3gpuE9ELNS1_3repE0EEENS1_30default_config_static_selectorELNS0_4arch9wavefront6targetE1EEEvT1_ ; -- Begin function _ZN7rocprim17ROCPRIM_400000_NS6detail17trampoline_kernelINS0_14default_configENS1_25partition_config_selectorILNS1_17partition_subalgoE2EiNS0_10empty_typeEbEEZZNS1_14partition_implILS5_2ELb0ES3_jN6thrust23THRUST_200600_302600_NS6detail15normal_iteratorINSA_7pointerIiNSA_11hip_rocprim3tagENSA_11use_defaultESG_EEEEPS6_NSA_18transform_iteratorI10is_orderedNSA_12zip_iteratorINSA_5tupleINSC_INSA_10device_ptrIiEEEESQ_NSA_9null_typeESR_SR_SR_SR_SR_SR_SR_EEEESG_SG_EENS0_5tupleIJPiSJ_EEENSV_IJSJ_SJ_EEES6_PlJS6_EEE10hipError_tPvRmT3_T4_T5_T6_T7_T9_mT8_P12ihipStream_tbDpT10_ENKUlT_T0_E_clISt17integral_constantIbLb0EES1I_IbLb1EEEEDaS1E_S1F_EUlS1E_E_NS1_11comp_targetILNS1_3genE5ELNS1_11target_archE942ELNS1_3gpuE9ELNS1_3repE0EEENS1_30default_config_static_selectorELNS0_4arch9wavefront6targetE1EEEvT1_
	.globl	_ZN7rocprim17ROCPRIM_400000_NS6detail17trampoline_kernelINS0_14default_configENS1_25partition_config_selectorILNS1_17partition_subalgoE2EiNS0_10empty_typeEbEEZZNS1_14partition_implILS5_2ELb0ES3_jN6thrust23THRUST_200600_302600_NS6detail15normal_iteratorINSA_7pointerIiNSA_11hip_rocprim3tagENSA_11use_defaultESG_EEEEPS6_NSA_18transform_iteratorI10is_orderedNSA_12zip_iteratorINSA_5tupleINSC_INSA_10device_ptrIiEEEESQ_NSA_9null_typeESR_SR_SR_SR_SR_SR_SR_EEEESG_SG_EENS0_5tupleIJPiSJ_EEENSV_IJSJ_SJ_EEES6_PlJS6_EEE10hipError_tPvRmT3_T4_T5_T6_T7_T9_mT8_P12ihipStream_tbDpT10_ENKUlT_T0_E_clISt17integral_constantIbLb0EES1I_IbLb1EEEEDaS1E_S1F_EUlS1E_E_NS1_11comp_targetILNS1_3genE5ELNS1_11target_archE942ELNS1_3gpuE9ELNS1_3repE0EEENS1_30default_config_static_selectorELNS0_4arch9wavefront6targetE1EEEvT1_
	.p2align	8
	.type	_ZN7rocprim17ROCPRIM_400000_NS6detail17trampoline_kernelINS0_14default_configENS1_25partition_config_selectorILNS1_17partition_subalgoE2EiNS0_10empty_typeEbEEZZNS1_14partition_implILS5_2ELb0ES3_jN6thrust23THRUST_200600_302600_NS6detail15normal_iteratorINSA_7pointerIiNSA_11hip_rocprim3tagENSA_11use_defaultESG_EEEEPS6_NSA_18transform_iteratorI10is_orderedNSA_12zip_iteratorINSA_5tupleINSC_INSA_10device_ptrIiEEEESQ_NSA_9null_typeESR_SR_SR_SR_SR_SR_SR_EEEESG_SG_EENS0_5tupleIJPiSJ_EEENSV_IJSJ_SJ_EEES6_PlJS6_EEE10hipError_tPvRmT3_T4_T5_T6_T7_T9_mT8_P12ihipStream_tbDpT10_ENKUlT_T0_E_clISt17integral_constantIbLb0EES1I_IbLb1EEEEDaS1E_S1F_EUlS1E_E_NS1_11comp_targetILNS1_3genE5ELNS1_11target_archE942ELNS1_3gpuE9ELNS1_3repE0EEENS1_30default_config_static_selectorELNS0_4arch9wavefront6targetE1EEEvT1_,@function
_ZN7rocprim17ROCPRIM_400000_NS6detail17trampoline_kernelINS0_14default_configENS1_25partition_config_selectorILNS1_17partition_subalgoE2EiNS0_10empty_typeEbEEZZNS1_14partition_implILS5_2ELb0ES3_jN6thrust23THRUST_200600_302600_NS6detail15normal_iteratorINSA_7pointerIiNSA_11hip_rocprim3tagENSA_11use_defaultESG_EEEEPS6_NSA_18transform_iteratorI10is_orderedNSA_12zip_iteratorINSA_5tupleINSC_INSA_10device_ptrIiEEEESQ_NSA_9null_typeESR_SR_SR_SR_SR_SR_SR_EEEESG_SG_EENS0_5tupleIJPiSJ_EEENSV_IJSJ_SJ_EEES6_PlJS6_EEE10hipError_tPvRmT3_T4_T5_T6_T7_T9_mT8_P12ihipStream_tbDpT10_ENKUlT_T0_E_clISt17integral_constantIbLb0EES1I_IbLb1EEEEDaS1E_S1F_EUlS1E_E_NS1_11comp_targetILNS1_3genE5ELNS1_11target_archE942ELNS1_3gpuE9ELNS1_3repE0EEENS1_30default_config_static_selectorELNS0_4arch9wavefront6targetE1EEEvT1_: ; @_ZN7rocprim17ROCPRIM_400000_NS6detail17trampoline_kernelINS0_14default_configENS1_25partition_config_selectorILNS1_17partition_subalgoE2EiNS0_10empty_typeEbEEZZNS1_14partition_implILS5_2ELb0ES3_jN6thrust23THRUST_200600_302600_NS6detail15normal_iteratorINSA_7pointerIiNSA_11hip_rocprim3tagENSA_11use_defaultESG_EEEEPS6_NSA_18transform_iteratorI10is_orderedNSA_12zip_iteratorINSA_5tupleINSC_INSA_10device_ptrIiEEEESQ_NSA_9null_typeESR_SR_SR_SR_SR_SR_SR_EEEESG_SG_EENS0_5tupleIJPiSJ_EEENSV_IJSJ_SJ_EEES6_PlJS6_EEE10hipError_tPvRmT3_T4_T5_T6_T7_T9_mT8_P12ihipStream_tbDpT10_ENKUlT_T0_E_clISt17integral_constantIbLb0EES1I_IbLb1EEEEDaS1E_S1F_EUlS1E_E_NS1_11comp_targetILNS1_3genE5ELNS1_11target_archE942ELNS1_3gpuE9ELNS1_3repE0EEENS1_30default_config_static_selectorELNS0_4arch9wavefront6targetE1EEEvT1_
; %bb.0:
	s_load_dwordx2 s[28:29], s[0:1], 0x38
	s_load_dwordx4 s[20:23], s[0:1], 0x58
	s_load_dwordx2 s[30:31], s[0:1], 0x68
	s_load_dwordx2 s[36:37], s[0:1], 0x78
	v_cmp_eq_u32_e64 s[18:19], 0, v0
	s_and_saveexec_b64 s[2:3], s[18:19]
	s_cbranch_execz .LBB3619_4
; %bb.1:
	s_mov_b64 s[6:7], exec
	v_mbcnt_lo_u32_b32 v1, s6, 0
	v_mbcnt_hi_u32_b32 v1, s7, v1
	v_cmp_eq_u32_e32 vcc, 0, v1
                                        ; implicit-def: $vgpr2
	s_and_saveexec_b64 s[4:5], vcc
	s_cbranch_execz .LBB3619_3
; %bb.2:
	s_load_dwordx2 s[8:9], s[0:1], 0x88
	s_bcnt1_i32_b64 s6, s[6:7]
	v_mov_b32_e32 v2, 0
	v_mov_b32_e32 v3, s6
	s_waitcnt lgkmcnt(0)
	global_atomic_add v2, v2, v3, s[8:9] sc0
.LBB3619_3:
	s_or_b64 exec, exec, s[4:5]
	s_waitcnt vmcnt(0)
	v_readfirstlane_b32 s4, v2
	v_mov_b32_e32 v2, 0
	s_nop 0
	v_add_u32_e32 v1, s4, v1
	ds_write_b32 v2, v1
.LBB3619_4:
	s_or_b64 exec, exec, s[2:3]
	v_mov_b32_e32 v23, 0
	s_load_dwordx4 s[24:27], s[0:1], 0x8
	s_load_dwordx4 s[4:7], s[0:1], 0x20
	s_load_dword s8, s[0:1], 0x80
	s_waitcnt lgkmcnt(0)
	s_barrier
	ds_read_b32 v1, v23
	s_waitcnt lgkmcnt(0)
	s_barrier
	global_load_dwordx2 v[24:25], v23, s[22:23]
	s_lshl_b64 s[2:3], s[26:27], 2
	s_add_u32 s10, s24, s2
	s_mul_i32 s0, s8, 0x1e00
	s_addc_u32 s11, s25, s3
	s_add_i32 s1, s0, s26
	s_sub_i32 s33, s30, s1
	s_add_i32 s9, s8, -1
	s_addk_i32 s33, 0x1e00
	s_add_u32 s0, s26, s0
	v_readfirstlane_b32 s42, v1
	s_addc_u32 s1, s27, 0
	s_cmp_eq_u32 s42, s9
	v_mov_b64_e32 v[2:3], s[30:31]
	s_cselect_b64 s[22:23], -1, 0
	s_cmp_lg_u32 s42, s9
	s_mul_i32 s24, s42, 0x1e00
	s_mov_b32 s25, 0
	v_cmp_lt_u64_e32 vcc, s[0:1], v[2:3]
	s_cselect_b64 s[0:1], -1, 0
	s_or_b64 s[34:35], vcc, s[0:1]
	s_lshl_b64 s[8:9], s[24:25], 2
	s_add_u32 s10, s10, s8
	s_addc_u32 s11, s11, s9
	s_mov_b64 s[0:1], -1
	s_and_b64 vcc, exec, s[34:35]
	v_lshlrev_b32_e32 v22, 2, v0
	s_cbranch_vccz .LBB3619_6
; %bb.5:
	v_lshl_add_u64 v[2:3], s[10:11], 0, v[22:23]
	v_add_co_u32_e32 v4, vcc, 0x1000, v2
	s_mov_b64 s[0:1], 0
	s_nop 0
	v_addc_co_u32_e32 v5, vcc, 0, v3, vcc
	v_add_co_u32_e32 v6, vcc, 0x2000, v2
	s_nop 1
	v_addc_co_u32_e32 v7, vcc, 0, v3, vcc
	v_add_co_u32_e32 v8, vcc, 0x3000, v2
	s_nop 1
	v_addc_co_u32_e32 v9, vcc, 0, v3, vcc
	flat_load_dword v1, v[2:3]
	flat_load_dword v10, v[2:3] offset:2048
	flat_load_dword v11, v[4:5]
	flat_load_dword v12, v[4:5] offset:2048
	;; [unrolled: 2-line block ×4, first 2 shown]
	v_add_co_u32_e32 v4, vcc, 0x4000, v2
	s_nop 1
	v_addc_co_u32_e32 v5, vcc, 0, v3, vcc
	v_add_co_u32_e32 v6, vcc, 0x5000, v2
	s_nop 1
	v_addc_co_u32_e32 v7, vcc, 0, v3, vcc
	;; [unrolled: 3-line block ×4, first 2 shown]
	flat_load_dword v17, v[4:5]
	flat_load_dword v18, v[4:5] offset:2048
	flat_load_dword v19, v[6:7]
	flat_load_dword v20, v[6:7] offset:2048
	;; [unrolled: 2-line block ×3, first 2 shown]
	flat_load_dword v26, v[2:3]
	s_waitcnt vmcnt(0) lgkmcnt(0)
	ds_write2st64_b32 v22, v1, v10 offset1:8
	ds_write2st64_b32 v22, v11, v12 offset0:16 offset1:24
	ds_write2st64_b32 v22, v13, v14 offset0:32 offset1:40
	;; [unrolled: 1-line block ×6, first 2 shown]
	ds_write_b32 v22, v26 offset:28672
	s_waitcnt lgkmcnt(0)
	s_barrier
.LBB3619_6:
	s_andn2_b64 vcc, exec, s[0:1]
	v_cmp_gt_u32_e64 s[0:1], s33, v0
	s_cbranch_vccnz .LBB3619_38
; %bb.7:
                                        ; implicit-def: $vgpr2_vgpr3_vgpr4_vgpr5_vgpr6_vgpr7_vgpr8_vgpr9_vgpr10_vgpr11_vgpr12_vgpr13_vgpr14_vgpr15_vgpr16_vgpr17
	s_and_saveexec_b64 s[12:13], s[0:1]
	s_cbranch_execz .LBB3619_9
; %bb.8:
	v_mov_b32_e32 v23, 0
	v_lshl_add_u64 v[2:3], s[10:11], 0, v[22:23]
	flat_load_dword v2, v[2:3]
.LBB3619_9:
	s_or_b64 exec, exec, s[12:13]
	v_or_b32_e32 v1, 0x200, v0
	v_cmp_gt_u32_e32 vcc, s33, v1
	s_and_saveexec_b64 s[0:1], vcc
	s_cbranch_execz .LBB3619_11
; %bb.10:
	v_mov_b32_e32 v23, 0
	v_lshl_add_u64 v[18:19], s[10:11], 0, v[22:23]
	flat_load_dword v3, v[18:19] offset:2048
.LBB3619_11:
	s_or_b64 exec, exec, s[0:1]
	v_or_b32_e32 v1, 0x400, v0
	v_cmp_gt_u32_e32 vcc, s33, v1
	s_and_saveexec_b64 s[0:1], vcc
	s_cbranch_execz .LBB3619_13
; %bb.12:
	v_lshlrev_b32_e32 v18, 2, v1
	v_mov_b32_e32 v19, 0
	v_lshl_add_u64 v[18:19], s[10:11], 0, v[18:19]
	flat_load_dword v4, v[18:19]
.LBB3619_13:
	s_or_b64 exec, exec, s[0:1]
	v_or_b32_e32 v1, 0x600, v0
	v_cmp_gt_u32_e32 vcc, s33, v1
	s_and_saveexec_b64 s[0:1], vcc
	s_cbranch_execz .LBB3619_15
; %bb.14:
	v_lshlrev_b32_e32 v18, 2, v1
	v_mov_b32_e32 v19, 0
	v_lshl_add_u64 v[18:19], s[10:11], 0, v[18:19]
	flat_load_dword v5, v[18:19]
.LBB3619_15:
	s_or_b64 exec, exec, s[0:1]
	v_or_b32_e32 v1, 0x800, v0
	v_cmp_gt_u32_e32 vcc, s33, v1
	s_and_saveexec_b64 s[0:1], vcc
	s_cbranch_execz .LBB3619_17
; %bb.16:
	v_lshlrev_b32_e32 v18, 2, v1
	v_mov_b32_e32 v19, 0
	v_lshl_add_u64 v[18:19], s[10:11], 0, v[18:19]
	flat_load_dword v6, v[18:19]
.LBB3619_17:
	s_or_b64 exec, exec, s[0:1]
	v_or_b32_e32 v1, 0xa00, v0
	v_cmp_gt_u32_e32 vcc, s33, v1
	s_and_saveexec_b64 s[0:1], vcc
	s_cbranch_execz .LBB3619_19
; %bb.18:
	v_lshlrev_b32_e32 v18, 2, v1
	v_mov_b32_e32 v19, 0
	v_lshl_add_u64 v[18:19], s[10:11], 0, v[18:19]
	flat_load_dword v7, v[18:19]
.LBB3619_19:
	s_or_b64 exec, exec, s[0:1]
	v_or_b32_e32 v1, 0xc00, v0
	v_cmp_gt_u32_e32 vcc, s33, v1
	s_and_saveexec_b64 s[0:1], vcc
	s_cbranch_execz .LBB3619_21
; %bb.20:
	v_lshlrev_b32_e32 v18, 2, v1
	v_mov_b32_e32 v19, 0
	v_lshl_add_u64 v[18:19], s[10:11], 0, v[18:19]
	flat_load_dword v8, v[18:19]
.LBB3619_21:
	s_or_b64 exec, exec, s[0:1]
	v_or_b32_e32 v1, 0xe00, v0
	v_cmp_gt_u32_e32 vcc, s33, v1
	s_and_saveexec_b64 s[0:1], vcc
	s_cbranch_execz .LBB3619_23
; %bb.22:
	v_lshlrev_b32_e32 v18, 2, v1
	v_mov_b32_e32 v19, 0
	v_lshl_add_u64 v[18:19], s[10:11], 0, v[18:19]
	flat_load_dword v9, v[18:19]
.LBB3619_23:
	s_or_b64 exec, exec, s[0:1]
	v_or_b32_e32 v1, 0x1000, v0
	v_cmp_gt_u32_e32 vcc, s33, v1
	s_and_saveexec_b64 s[0:1], vcc
	s_cbranch_execz .LBB3619_25
; %bb.24:
	v_lshlrev_b32_e32 v18, 2, v1
	v_mov_b32_e32 v19, 0
	v_lshl_add_u64 v[18:19], s[10:11], 0, v[18:19]
	flat_load_dword v10, v[18:19]
.LBB3619_25:
	s_or_b64 exec, exec, s[0:1]
	v_or_b32_e32 v1, 0x1200, v0
	v_cmp_gt_u32_e32 vcc, s33, v1
	s_and_saveexec_b64 s[0:1], vcc
	s_cbranch_execz .LBB3619_27
; %bb.26:
	v_lshlrev_b32_e32 v18, 2, v1
	v_mov_b32_e32 v19, 0
	v_lshl_add_u64 v[18:19], s[10:11], 0, v[18:19]
	flat_load_dword v11, v[18:19]
.LBB3619_27:
	s_or_b64 exec, exec, s[0:1]
	v_or_b32_e32 v1, 0x1400, v0
	v_cmp_gt_u32_e32 vcc, s33, v1
	s_and_saveexec_b64 s[0:1], vcc
	s_cbranch_execz .LBB3619_29
; %bb.28:
	v_lshlrev_b32_e32 v18, 2, v1
	v_mov_b32_e32 v19, 0
	v_lshl_add_u64 v[18:19], s[10:11], 0, v[18:19]
	flat_load_dword v12, v[18:19]
.LBB3619_29:
	s_or_b64 exec, exec, s[0:1]
	v_or_b32_e32 v1, 0x1600, v0
	v_cmp_gt_u32_e32 vcc, s33, v1
	s_and_saveexec_b64 s[0:1], vcc
	s_cbranch_execz .LBB3619_31
; %bb.30:
	v_lshlrev_b32_e32 v18, 2, v1
	v_mov_b32_e32 v19, 0
	v_lshl_add_u64 v[18:19], s[10:11], 0, v[18:19]
	flat_load_dword v13, v[18:19]
.LBB3619_31:
	s_or_b64 exec, exec, s[0:1]
	v_or_b32_e32 v1, 0x1800, v0
	v_cmp_gt_u32_e32 vcc, s33, v1
	s_and_saveexec_b64 s[0:1], vcc
	s_cbranch_execz .LBB3619_33
; %bb.32:
	v_lshlrev_b32_e32 v18, 2, v1
	v_mov_b32_e32 v19, 0
	v_lshl_add_u64 v[18:19], s[10:11], 0, v[18:19]
	flat_load_dword v14, v[18:19]
.LBB3619_33:
	s_or_b64 exec, exec, s[0:1]
	v_or_b32_e32 v1, 0x1a00, v0
	v_cmp_gt_u32_e32 vcc, s33, v1
	s_and_saveexec_b64 s[0:1], vcc
	s_cbranch_execz .LBB3619_35
; %bb.34:
	v_lshlrev_b32_e32 v18, 2, v1
	v_mov_b32_e32 v19, 0
	v_lshl_add_u64 v[18:19], s[10:11], 0, v[18:19]
	flat_load_dword v15, v[18:19]
.LBB3619_35:
	s_or_b64 exec, exec, s[0:1]
	v_or_b32_e32 v1, 0x1c00, v0
	v_cmp_gt_u32_e32 vcc, s33, v1
	s_and_saveexec_b64 s[0:1], vcc
	s_cbranch_execz .LBB3619_37
; %bb.36:
	v_lshlrev_b32_e32 v16, 2, v1
	v_mov_b32_e32 v17, 0
	v_lshl_add_u64 v[16:17], s[10:11], 0, v[16:17]
	flat_load_dword v16, v[16:17]
.LBB3619_37:
	s_or_b64 exec, exec, s[0:1]
	s_waitcnt vmcnt(0) lgkmcnt(0)
	ds_write2st64_b32 v22, v2, v3 offset1:8
	ds_write2st64_b32 v22, v4, v5 offset0:16 offset1:24
	ds_write2st64_b32 v22, v6, v7 offset0:32 offset1:40
	;; [unrolled: 1-line block ×6, first 2 shown]
	ds_write_b32 v22, v16 offset:28672
	s_waitcnt lgkmcnt(0)
	s_barrier
.LBB3619_38:
	v_mul_u32_u24_e32 v21, 15, v0
	v_lshlrev_b32_e32 v1, 2, v21
	ds_read2_b32 v[40:41], v1 offset1:1
	ds_read2_b32 v[38:39], v1 offset0:2 offset1:3
	ds_read2_b32 v[36:37], v1 offset0:4 offset1:5
	;; [unrolled: 1-line block ×6, first 2 shown]
	ds_read_b32 v1, v1 offset:56
	s_add_u32 s0, s4, s2
	s_addc_u32 s1, s5, s3
	s_add_u32 s2, s6, s2
	s_addc_u32 s3, s7, s3
	;; [unrolled: 2-line block ×4, first 2 shown]
	s_mov_b64 s[4:5], -1
	s_and_b64 vcc, exec, s[34:35]
	s_waitcnt lgkmcnt(0)
	s_barrier
	s_cbranch_vccz .LBB3619_40
; %bb.39:
	v_mov_b32_e32 v23, 0
	v_lshl_add_u64 v[2:3], s[0:1], 0, v[22:23]
	v_add_co_u32_e32 v6, vcc, 0x1000, v2
	v_lshl_add_u64 v[4:5], s[2:3], 0, v[22:23]
	s_nop 0
	v_addc_co_u32_e32 v7, vcc, 0, v3, vcc
	v_add_co_u32_e32 v8, vcc, 0x1000, v4
	global_load_dword v10, v22, s[0:1]
	global_load_dword v11, v22, s[2:3] offset:2048
	global_load_dword v12, v22, s[2:3]
	global_load_dword v13, v22, s[0:1] offset:2048
	v_addc_co_u32_e32 v9, vcc, 0, v5, vcc
	global_load_dword v14, v[6:7], off
	global_load_dword v15, v[6:7], off offset:2048
	global_load_dword v16, v[8:9], off
	global_load_dword v17, v[8:9], off offset:2048
	v_add_co_u32_e32 v6, vcc, 0x2000, v2
	s_mov_b64 s[4:5], 0
	s_nop 0
	v_addc_co_u32_e32 v7, vcc, 0, v3, vcc
	v_add_co_u32_e32 v8, vcc, 0x2000, v4
	s_nop 1
	v_addc_co_u32_e32 v9, vcc, 0, v5, vcc
	global_load_dword v18, v[6:7], off
	global_load_dword v19, v[6:7], off offset:2048
	global_load_dword v20, v[8:9], off
	global_load_dword v23, v[8:9], off offset:2048
	v_add_co_u32_e32 v6, vcc, 0x3000, v2
	s_nop 1
	v_addc_co_u32_e32 v7, vcc, 0, v3, vcc
	v_add_co_u32_e32 v8, vcc, 0x3000, v4
	s_nop 1
	v_addc_co_u32_e32 v9, vcc, 0, v5, vcc
	global_load_dword v26, v[6:7], off
	global_load_dword v27, v[6:7], off offset:2048
	global_load_dword v42, v[8:9], off
	global_load_dword v43, v[8:9], off offset:2048
	v_add_co_u32_e32 v6, vcc, 0x4000, v2
	;; [unrolled: 10-line block ×4, first 2 shown]
	s_nop 1
	v_addc_co_u32_e32 v7, vcc, 0, v3, vcc
	v_add_co_u32_e32 v8, vcc, 0x6000, v4
	s_nop 1
	v_addc_co_u32_e32 v9, vcc, 0, v5, vcc
	v_add_co_u32_e32 v2, vcc, 0x7000, v2
	global_load_dword v52, v[6:7], off
	global_load_dword v53, v[6:7], off offset:2048
	global_load_dword v54, v[8:9], off
	global_load_dword v55, v[8:9], off offset:2048
	v_addc_co_u32_e32 v3, vcc, 0, v3, vcc
	global_load_dword v6, v[2:3], off
	v_add_co_u32_e32 v2, vcc, 0x7000, v4
	s_nop 1
	v_addc_co_u32_e32 v3, vcc, 0, v5, vcc
	global_load_dword v2, v[2:3], off
	s_waitcnt vmcnt(27)
	v_cmp_le_i32_e32 vcc, v10, v12
	s_nop 1
	v_cndmask_b32_e64 v3, 0, 1, vcc
	s_waitcnt vmcnt(26)
	v_cmp_le_i32_e32 vcc, v13, v11
	s_nop 1
	v_cndmask_b32_e64 v4, 0, 1, vcc
	;; [unrolled: 4-line block ×15, first 2 shown]
	ds_write_b8 v0, v3
	ds_write_b8 v0, v4 offset:512
	ds_write_b8 v0, v5 offset:1024
	;; [unrolled: 1-line block ×14, first 2 shown]
	s_waitcnt lgkmcnt(0)
	s_barrier
.LBB3619_40:
	s_andn2_b64 vcc, exec, s[4:5]
	s_cbranch_vccnz .LBB3619_72
; %bb.41:
	v_cmp_gt_u32_e32 vcc, s33, v0
	v_mov_b32_e32 v2, 0
	v_mov_b32_e32 v3, 0
	s_and_saveexec_b64 s[4:5], vcc
	s_cbranch_execz .LBB3619_43
; %bb.42:
	global_load_dword v3, v22, s[0:1]
	global_load_dword v4, v22, s[2:3]
	s_waitcnt vmcnt(0)
	v_cmp_le_i32_e32 vcc, v3, v4
	s_nop 1
	v_cndmask_b32_e64 v3, 0, 1, vcc
.LBB3619_43:
	s_or_b64 exec, exec, s[4:5]
	v_or_b32_e32 v4, 0x200, v0
	v_cmp_gt_u32_e32 vcc, s33, v4
	s_and_saveexec_b64 s[4:5], vcc
	s_cbranch_execz .LBB3619_45
; %bb.44:
	global_load_dword v2, v22, s[0:1] offset:2048
	global_load_dword v4, v22, s[2:3] offset:2048
	s_waitcnt vmcnt(0)
	v_cmp_le_i32_e32 vcc, v2, v4
	s_nop 1
	v_cndmask_b32_e64 v2, 0, 1, vcc
.LBB3619_45:
	s_or_b64 exec, exec, s[4:5]
	v_or_b32_e32 v6, 0x400, v0
	v_cmp_gt_u32_e32 vcc, s33, v6
	v_mov_b32_e32 v4, 0
	v_mov_b32_e32 v5, 0
	s_and_saveexec_b64 s[4:5], vcc
	s_cbranch_execz .LBB3619_47
; %bb.46:
	v_lshlrev_b32_e32 v5, 2, v6
	global_load_dword v6, v5, s[0:1]
	global_load_dword v7, v5, s[2:3]
	s_waitcnt vmcnt(0)
	v_cmp_le_i32_e32 vcc, v6, v7
	s_nop 1
	v_cndmask_b32_e64 v5, 0, 1, vcc
.LBB3619_47:
	s_or_b64 exec, exec, s[4:5]
	v_or_b32_e32 v6, 0x600, v0
	v_cmp_gt_u32_e32 vcc, s33, v6
	s_and_saveexec_b64 s[4:5], vcc
	s_cbranch_execz .LBB3619_49
; %bb.48:
	v_lshlrev_b32_e32 v4, 2, v6
	global_load_dword v6, v4, s[0:1]
	global_load_dword v7, v4, s[2:3]
	s_waitcnt vmcnt(0)
	v_cmp_le_i32_e32 vcc, v6, v7
	s_nop 1
	v_cndmask_b32_e64 v4, 0, 1, vcc
.LBB3619_49:
	s_or_b64 exec, exec, s[4:5]
	v_or_b32_e32 v8, 0x800, v0
	v_cmp_gt_u32_e32 vcc, s33, v8
	v_mov_b32_e32 v6, 0
	v_mov_b32_e32 v7, 0
	s_and_saveexec_b64 s[4:5], vcc
	s_cbranch_execz .LBB3619_51
; %bb.50:
	v_lshlrev_b32_e32 v7, 2, v8
	global_load_dword v8, v7, s[0:1]
	global_load_dword v9, v7, s[2:3]
	s_waitcnt vmcnt(0)
	v_cmp_le_i32_e32 vcc, v8, v9
	s_nop 1
	v_cndmask_b32_e64 v7, 0, 1, vcc
.LBB3619_51:
	s_or_b64 exec, exec, s[4:5]
	v_or_b32_e32 v8, 0xa00, v0
	v_cmp_gt_u32_e32 vcc, s33, v8
	s_and_saveexec_b64 s[4:5], vcc
	s_cbranch_execz .LBB3619_53
; %bb.52:
	v_lshlrev_b32_e32 v6, 2, v8
	global_load_dword v8, v6, s[0:1]
	global_load_dword v9, v6, s[2:3]
	s_waitcnt vmcnt(0)
	v_cmp_le_i32_e32 vcc, v8, v9
	s_nop 1
	v_cndmask_b32_e64 v6, 0, 1, vcc
.LBB3619_53:
	;; [unrolled: 30-line block ×6, first 2 shown]
	s_or_b64 exec, exec, s[4:5]
	v_or_b32_e32 v17, 0x1c00, v0
	v_cmp_gt_u32_e32 vcc, s33, v17
	v_mov_b32_e32 v16, 0
	s_and_saveexec_b64 s[4:5], vcc
	s_cbranch_execz .LBB3619_71
; %bb.70:
	v_lshlrev_b32_e32 v16, 2, v17
	global_load_dword v17, v16, s[0:1]
	global_load_dword v18, v16, s[2:3]
	s_waitcnt vmcnt(0)
	v_cmp_le_i32_e32 vcc, v17, v18
	s_nop 1
	v_cndmask_b32_e64 v16, 0, 1, vcc
.LBB3619_71:
	s_or_b64 exec, exec, s[4:5]
	ds_write_b8 v0, v3
	ds_write_b8 v0, v2 offset:512
	ds_write_b8 v0, v5 offset:1024
	;; [unrolled: 1-line block ×14, first 2 shown]
	s_waitcnt lgkmcnt(0)
	s_barrier
.LBB3619_72:
	ds_read_b96 v[18:20], v21
	ds_read_u8 v2, v21 offset:12
	ds_read_u8 v3, v21 offset:13
	ds_read_u8 v4, v21 offset:14
	s_cmp_lg_u32 s42, 0
	v_lshrrev_b32_e32 v58, 6, v0
	s_waitcnt lgkmcnt(2)
	v_and_b32_e32 v44, 1, v2
	v_and_b32_e32 v53, 0xff, v18
	v_bfe_u32 v55, v18, 8, 8
	v_bfe_u32 v56, v18, 16, 8
	v_lshrrev_b32_e32 v46, 24, v18
	v_and_b32_e32 v50, 0xff, v19
	v_add3_u32 v2, v55, v53, v56
	v_bfe_u32 v51, v19, 8, 8
	v_bfe_u32 v52, v19, 16, 8
	v_add3_u32 v2, v2, v46, v50
	v_lshrrev_b32_e32 v45, 24, v19
	v_and_b32_e32 v47, 0xff, v20
	v_add3_u32 v2, v2, v51, v52
	v_bfe_u32 v48, v20, 8, 8
	v_bfe_u32 v49, v20, 16, 8
	v_add3_u32 v2, v2, v45, v47
	v_lshrrev_b32_e32 v43, 24, v20
	v_add3_u32 v2, v2, v48, v49
	s_waitcnt lgkmcnt(1)
	v_and_b32_e32 v42, 1, v3
	s_waitcnt lgkmcnt(0)
	v_and_b32_e32 v23, 1, v4
	v_add3_u32 v2, v2, v43, v44
	v_add3_u32 v59, v2, v42, v23
	v_mbcnt_lo_u32_b32 v2, -1, 0
	v_mbcnt_hi_u32_b32 v57, -1, v2
	v_and_b32_e32 v2, 15, v57
	v_cmp_eq_u32_e64 s[14:15], 0, v2
	v_cmp_lt_u32_e64 s[12:13], 1, v2
	v_cmp_lt_u32_e64 s[10:11], 3, v2
	;; [unrolled: 1-line block ×3, first 2 shown]
	v_and_b32_e32 v2, 16, v57
	v_cmp_eq_u32_e64 s[6:7], 0, v2
	v_or_b32_e32 v2, 63, v0
	v_cmp_lt_u32_e64 s[2:3], 31, v57
	v_cmp_eq_u32_e64 s[4:5], v2, v0
	s_barrier
	s_cbranch_scc0 .LBB3619_99
; %bb.73:
	v_mov_b32_dpp v2, v59 row_shr:1 row_mask:0xf bank_mask:0xf
	v_cndmask_b32_e64 v2, v2, 0, s[14:15]
	v_add_u32_e32 v2, v2, v59
	s_nop 1
	v_mov_b32_dpp v3, v2 row_shr:2 row_mask:0xf bank_mask:0xf
	v_cndmask_b32_e64 v3, 0, v3, s[12:13]
	v_add_u32_e32 v2, v2, v3
	s_nop 1
	v_mov_b32_dpp v3, v2 row_shr:4 row_mask:0xf bank_mask:0xf
	v_cndmask_b32_e64 v3, 0, v3, s[10:11]
	v_add_u32_e32 v2, v2, v3
	s_nop 1
	v_mov_b32_dpp v3, v2 row_shr:8 row_mask:0xf bank_mask:0xf
	v_cndmask_b32_e64 v3, 0, v3, s[8:9]
	v_add_u32_e32 v2, v2, v3
	s_nop 1
	v_mov_b32_dpp v3, v2 row_bcast:15 row_mask:0xf bank_mask:0xf
	v_cndmask_b32_e64 v3, v3, 0, s[6:7]
	v_add_u32_e32 v2, v2, v3
	s_nop 1
	v_mov_b32_dpp v3, v2 row_bcast:31 row_mask:0xf bank_mask:0xf
	v_cndmask_b32_e64 v3, 0, v3, s[2:3]
	v_add_u32_e32 v2, v2, v3
	s_and_saveexec_b64 s[0:1], s[4:5]
	s_cbranch_execz .LBB3619_75
; %bb.74:
	v_lshlrev_b32_e32 v3, 2, v58
	ds_write_b32 v3, v2
.LBB3619_75:
	s_or_b64 exec, exec, s[0:1]
	v_cmp_gt_u32_e32 vcc, 8, v0
	s_waitcnt lgkmcnt(0)
	s_barrier
	s_and_saveexec_b64 s[0:1], vcc
	s_cbranch_execz .LBB3619_77
; %bb.76:
	ds_read_b32 v3, v22
	v_and_b32_e32 v4, 7, v57
	v_cmp_ne_u32_e32 vcc, 0, v4
	s_waitcnt lgkmcnt(0)
	v_mov_b32_dpp v5, v3 row_shr:1 row_mask:0xf bank_mask:0xf
	v_cndmask_b32_e32 v5, 0, v5, vcc
	v_add_u32_e32 v3, v5, v3
	v_cmp_lt_u32_e32 vcc, 1, v4
	s_nop 0
	v_mov_b32_dpp v5, v3 row_shr:2 row_mask:0xf bank_mask:0xf
	v_cndmask_b32_e32 v5, 0, v5, vcc
	v_add_u32_e32 v3, v3, v5
	v_cmp_lt_u32_e32 vcc, 3, v4
	s_nop 0
	v_mov_b32_dpp v5, v3 row_shr:4 row_mask:0xf bank_mask:0xf
	v_cndmask_b32_e32 v4, 0, v5, vcc
	v_add_u32_e32 v3, v3, v4
	ds_write_b32 v22, v3
.LBB3619_77:
	s_or_b64 exec, exec, s[0:1]
	v_cmp_gt_u32_e32 vcc, 64, v0
	v_cmp_lt_u32_e64 s[0:1], 63, v0
	s_waitcnt lgkmcnt(0)
	s_barrier
	s_waitcnt lgkmcnt(0)
                                        ; implicit-def: $vgpr12
	s_and_saveexec_b64 s[16:17], s[0:1]
	s_cbranch_execz .LBB3619_79
; %bb.78:
	v_lshl_add_u32 v3, v58, 2, -4
	ds_read_b32 v12, v3
	s_waitcnt lgkmcnt(0)
	v_add_u32_e32 v2, v12, v2
.LBB3619_79:
	s_or_b64 exec, exec, s[16:17]
	v_add_u32_e32 v3, -1, v57
	v_and_b32_e32 v4, 64, v57
	v_cmp_lt_i32_e64 s[0:1], v3, v4
	v_cmp_eq_u32_e64 s[16:17], 0, v57
	s_nop 0
	v_cndmask_b32_e64 v3, v3, v57, s[0:1]
	v_lshlrev_b32_e32 v3, 2, v3
	ds_bpermute_b32 v13, v3, v2
	s_and_saveexec_b64 s[0:1], vcc
	s_cbranch_execz .LBB3619_98
; %bb.80:
	v_mov_b32_e32 v9, 0
	ds_read_b32 v2, v9 offset:28
	s_and_saveexec_b64 s[38:39], s[16:17]
	s_cbranch_execz .LBB3619_82
; %bb.81:
	s_add_i32 s40, s42, 64
	s_mov_b32 s41, 0
	s_lshl_b64 s[40:41], s[40:41], 3
	s_add_u32 s40, s36, s40
	v_mov_b32_e32 v3, 1
	s_addc_u32 s41, s37, s41
	s_waitcnt lgkmcnt(0)
	global_store_dwordx2 v9, v[2:3], s[40:41] sc1
.LBB3619_82:
	s_or_b64 exec, exec, s[38:39]
	v_xad_u32 v4, v57, -1, s42
	v_add_u32_e32 v8, 64, v4
	v_lshl_add_u64 v[10:11], v[8:9], 3, s[36:37]
	global_load_dwordx2 v[6:7], v[10:11], off sc1
	s_waitcnt vmcnt(0)
	v_cmp_eq_u16_sdwa s[40:41], v7, v9 src0_sel:BYTE_0 src1_sel:DWORD
	s_and_saveexec_b64 s[38:39], s[40:41]
	s_cbranch_execz .LBB3619_86
; %bb.83:
	s_mov_b64 s[40:41], 0
	v_mov_b32_e32 v3, 0
.LBB3619_84:                            ; =>This Inner Loop Header: Depth=1
	global_load_dwordx2 v[6:7], v[10:11], off sc1
	s_waitcnt vmcnt(0)
	v_cmp_ne_u16_sdwa s[44:45], v7, v3 src0_sel:BYTE_0 src1_sel:DWORD
	s_or_b64 s[40:41], s[44:45], s[40:41]
	s_andn2_b64 exec, exec, s[40:41]
	s_cbranch_execnz .LBB3619_84
; %bb.85:
	s_or_b64 exec, exec, s[40:41]
.LBB3619_86:
	s_or_b64 exec, exec, s[38:39]
	v_and_b32_e32 v15, 63, v57
	v_mov_b32_e32 v14, 2
	v_cmp_ne_u32_e32 vcc, 63, v15
	v_cmp_eq_u16_sdwa s[38:39], v7, v14 src0_sel:BYTE_0 src1_sel:DWORD
	v_lshlrev_b64 v[8:9], v57, -1
	v_addc_co_u32_e32 v10, vcc, 0, v57, vcc
	v_and_b32_e32 v3, s39, v9
	v_lshlrev_b32_e32 v16, 2, v10
	v_or_b32_e32 v3, 0x80000000, v3
	ds_bpermute_b32 v10, v16, v6
	v_and_b32_e32 v5, s38, v8
	v_ffbl_b32_e32 v3, v3
	v_add_u32_e32 v3, 32, v3
	v_ffbl_b32_e32 v5, v5
	v_min_u32_e32 v3, v5, v3
	v_cmp_lt_u32_e32 vcc, v15, v3
	v_add_u32_e32 v26, 2, v15
	v_add_u32_e32 v54, 4, v15
	s_waitcnt lgkmcnt(0)
	v_cndmask_b32_e32 v5, 0, v10, vcc
	v_cmp_gt_u32_e32 vcc, 62, v15
	v_add_u32_e32 v5, v5, v6
	v_add_u32_e32 v61, 8, v15
	v_cndmask_b32_e64 v6, 0, 1, vcc
	v_lshlrev_b32_e32 v6, 1, v6
	v_add_lshl_u32 v17, v6, v57, 2
	ds_bpermute_b32 v6, v17, v5
	v_cmp_le_u32_e32 vcc, v26, v3
	v_add_u32_e32 v63, 16, v15
	v_add_u32_e32 v65, 32, v15
	s_waitcnt lgkmcnt(0)
	v_cndmask_b32_e32 v6, 0, v6, vcc
	v_cmp_gt_u32_e32 vcc, 60, v15
	v_add_u32_e32 v5, v5, v6
	s_nop 0
	v_cndmask_b32_e64 v6, 0, 1, vcc
	v_lshlrev_b32_e32 v6, 2, v6
	v_add_lshl_u32 v27, v6, v57, 2
	ds_bpermute_b32 v6, v27, v5
	v_cmp_le_u32_e32 vcc, v54, v3
	s_waitcnt lgkmcnt(0)
	s_nop 0
	v_cndmask_b32_e32 v6, 0, v6, vcc
	v_cmp_gt_u32_e32 vcc, 56, v15
	v_add_u32_e32 v5, v5, v6
	s_nop 0
	v_cndmask_b32_e64 v6, 0, 1, vcc
	v_lshlrev_b32_e32 v6, 3, v6
	v_add_lshl_u32 v60, v6, v57, 2
	ds_bpermute_b32 v6, v60, v5
	v_cmp_le_u32_e32 vcc, v61, v3
	s_waitcnt lgkmcnt(0)
	s_nop 0
	;; [unrolled: 11-line block ×4, first 2 shown]
	v_cndmask_b32_e32 v3, 0, v6, vcc
	v_add_u32_e32 v6, v5, v3
	v_mov_b32_e32 v5, 0
	s_branch .LBB3619_88
.LBB3619_87:                            ;   in Loop: Header=BB3619_88 Depth=1
	s_or_b64 exec, exec, s[38:39]
	v_cmp_eq_u16_sdwa s[38:39], v7, v14 src0_sel:BYTE_0 src1_sel:DWORD
	ds_bpermute_b32 v66, v16, v6
	v_subrev_u32_e32 v4, 64, v4
	v_and_b32_e32 v10, s39, v9
	v_or_b32_e32 v10, 0x80000000, v10
	v_and_b32_e32 v11, s38, v8
	v_ffbl_b32_e32 v10, v10
	v_add_u32_e32 v10, 32, v10
	v_ffbl_b32_e32 v11, v11
	v_min_u32_e32 v10, v11, v10
	v_cmp_lt_u32_e32 vcc, v15, v10
	s_waitcnt lgkmcnt(0)
	s_nop 0
	v_cndmask_b32_e32 v11, 0, v66, vcc
	v_add_u32_e32 v6, v11, v6
	ds_bpermute_b32 v11, v17, v6
	v_cmp_le_u32_e32 vcc, v26, v10
	s_waitcnt lgkmcnt(0)
	s_nop 0
	v_cndmask_b32_e32 v11, 0, v11, vcc
	v_add_u32_e32 v6, v6, v11
	ds_bpermute_b32 v11, v27, v6
	v_cmp_le_u32_e32 vcc, v54, v10
	;; [unrolled: 6-line block ×5, first 2 shown]
	s_waitcnt lgkmcnt(0)
	s_nop 0
	v_cndmask_b32_e32 v10, 0, v11, vcc
	v_add3_u32 v6, v10, v3, v6
.LBB3619_88:                            ; =>This Loop Header: Depth=1
                                        ;     Child Loop BB3619_91 Depth 2
	v_cmp_ne_u16_sdwa s[38:39], v7, v14 src0_sel:BYTE_0 src1_sel:DWORD
	s_nop 1
	v_cndmask_b32_e64 v3, 0, 1, s[38:39]
	;;#ASMSTART
	;;#ASMEND
	s_nop 0
	v_cmp_ne_u32_e32 vcc, 0, v3
	s_cmp_lg_u64 vcc, exec
	v_mov_b32_e32 v3, v6
	s_cbranch_scc1 .LBB3619_93
; %bb.89:                               ;   in Loop: Header=BB3619_88 Depth=1
	v_lshl_add_u64 v[10:11], v[4:5], 3, s[36:37]
	global_load_dwordx2 v[6:7], v[10:11], off sc1
	s_waitcnt vmcnt(0)
	v_cmp_eq_u16_sdwa s[40:41], v7, v5 src0_sel:BYTE_0 src1_sel:DWORD
	s_and_saveexec_b64 s[38:39], s[40:41]
	s_cbranch_execz .LBB3619_87
; %bb.90:                               ;   in Loop: Header=BB3619_88 Depth=1
	s_mov_b64 s[40:41], 0
.LBB3619_91:                            ;   Parent Loop BB3619_88 Depth=1
                                        ; =>  This Inner Loop Header: Depth=2
	global_load_dwordx2 v[6:7], v[10:11], off sc1
	s_waitcnt vmcnt(0)
	v_cmp_ne_u16_sdwa s[44:45], v7, v5 src0_sel:BYTE_0 src1_sel:DWORD
	s_or_b64 s[40:41], s[44:45], s[40:41]
	s_andn2_b64 exec, exec, s[40:41]
	s_cbranch_execnz .LBB3619_91
; %bb.92:                               ;   in Loop: Header=BB3619_88 Depth=1
	s_or_b64 exec, exec, s[40:41]
	s_branch .LBB3619_87
.LBB3619_93:                            ;   in Loop: Header=BB3619_88 Depth=1
                                        ; implicit-def: $vgpr6
                                        ; implicit-def: $vgpr7
	s_cbranch_execz .LBB3619_88
; %bb.94:
	s_and_saveexec_b64 s[38:39], s[16:17]
	s_cbranch_execz .LBB3619_96
; %bb.95:
	s_add_i32 s40, s42, 64
	s_mov_b32 s41, 0
	s_lshl_b64 s[40:41], s[40:41], 3
	s_add_u32 s40, s36, s40
	v_add_u32_e32 v4, v3, v2
	v_mov_b32_e32 v5, 2
	s_addc_u32 s41, s37, s41
	v_mov_b32_e32 v6, 0
	global_store_dwordx2 v6, v[4:5], s[40:41] sc1
	ds_write_b64 v6, v[2:3] offset:30720
.LBB3619_96:
	s_or_b64 exec, exec, s[38:39]
	s_and_b64 exec, exec, s[18:19]
	s_cbranch_execz .LBB3619_98
; %bb.97:
	v_mov_b32_e32 v2, 0
	ds_write_b32 v2, v3 offset:28
.LBB3619_98:
	s_or_b64 exec, exec, s[0:1]
	v_mov_b32_e32 v14, 0
	s_waitcnt lgkmcnt(0)
	s_barrier
	ds_read_b32 v2, v14 offset:28
	v_cndmask_b32_e64 v3, v13, v12, s[16:17]
	v_cndmask_b32_e64 v3, v3, 0, s[18:19]
	s_waitcnt lgkmcnt(0)
	s_barrier
	v_add_u32_e32 v2, v2, v3
	v_add_u32_e32 v3, v2, v53
	;; [unrolled: 1-line block ×10, first 2 shown]
	ds_read_b64 v[26:27], v14 offset:30720
	v_add_u32_e32 v12, v11, v48
	v_add_u32_e32 v13, v12, v49
	;; [unrolled: 1-line block ×5, first 2 shown]
	s_waitcnt lgkmcnt(0)
	v_mov_b32_e32 v54, v27
	s_branch .LBB3619_109
.LBB3619_99:
                                        ; implicit-def: $vgpr54
                                        ; implicit-def: $vgpr26
                                        ; implicit-def: $vgpr2_vgpr3_vgpr4_vgpr5_vgpr6_vgpr7_vgpr8_vgpr9_vgpr10_vgpr11_vgpr12_vgpr13_vgpr14_vgpr15_vgpr16_vgpr17
	s_cbranch_execz .LBB3619_109
; %bb.100:
	s_nop 0
	v_mov_b32_dpp v2, v59 row_shr:1 row_mask:0xf bank_mask:0xf
	v_cndmask_b32_e64 v2, v2, 0, s[14:15]
	v_add_u32_e32 v2, v2, v59
	s_nop 1
	v_mov_b32_dpp v3, v2 row_shr:2 row_mask:0xf bank_mask:0xf
	v_cndmask_b32_e64 v3, 0, v3, s[12:13]
	v_add_u32_e32 v2, v2, v3
	;; [unrolled: 4-line block ×4, first 2 shown]
	s_nop 1
	v_mov_b32_dpp v3, v2 row_bcast:15 row_mask:0xf bank_mask:0xf
	v_cndmask_b32_e64 v3, v3, 0, s[6:7]
	v_add_u32_e32 v2, v2, v3
	s_nop 1
	v_mov_b32_dpp v3, v2 row_bcast:31 row_mask:0xf bank_mask:0xf
	v_cndmask_b32_e64 v3, 0, v3, s[2:3]
	v_add_u32_e32 v2, v2, v3
	s_and_saveexec_b64 s[0:1], s[4:5]
	s_cbranch_execz .LBB3619_102
; %bb.101:
	v_lshlrev_b32_e32 v3, 2, v58
	ds_write_b32 v3, v2
.LBB3619_102:
	s_or_b64 exec, exec, s[0:1]
	v_cmp_gt_u32_e32 vcc, 8, v0
	s_waitcnt lgkmcnt(0)
	s_barrier
	s_and_saveexec_b64 s[0:1], vcc
	s_cbranch_execz .LBB3619_104
; %bb.103:
	v_mad_i32_i24 v3, v0, -11, v21
	ds_read_b32 v4, v3
	v_and_b32_e32 v5, 7, v57
	v_cmp_ne_u32_e32 vcc, 0, v5
	s_waitcnt lgkmcnt(0)
	v_mov_b32_dpp v6, v4 row_shr:1 row_mask:0xf bank_mask:0xf
	v_cndmask_b32_e32 v6, 0, v6, vcc
	v_add_u32_e32 v4, v6, v4
	v_cmp_lt_u32_e32 vcc, 1, v5
	s_nop 0
	v_mov_b32_dpp v6, v4 row_shr:2 row_mask:0xf bank_mask:0xf
	v_cndmask_b32_e32 v6, 0, v6, vcc
	v_add_u32_e32 v4, v4, v6
	v_cmp_lt_u32_e32 vcc, 3, v5
	s_nop 0
	v_mov_b32_dpp v6, v4 row_shr:4 row_mask:0xf bank_mask:0xf
	v_cndmask_b32_e32 v5, 0, v6, vcc
	v_add_u32_e32 v4, v4, v5
	ds_write_b32 v3, v4
.LBB3619_104:
	s_or_b64 exec, exec, s[0:1]
	v_cmp_lt_u32_e32 vcc, 63, v0
	v_mov_b32_e32 v4, 0
	v_mov_b32_e32 v3, 0
	s_waitcnt lgkmcnt(0)
	s_barrier
	s_and_saveexec_b64 s[0:1], vcc
	s_cbranch_execz .LBB3619_106
; %bb.105:
	v_lshl_add_u32 v3, v58, 2, -4
	ds_read_b32 v3, v3
.LBB3619_106:
	s_or_b64 exec, exec, s[0:1]
	v_add_u32_e32 v5, -1, v57
	v_and_b32_e32 v6, 64, v57
	v_cmp_lt_i32_e32 vcc, v5, v6
	s_waitcnt lgkmcnt(0)
	v_add_u32_e32 v2, v3, v2
	ds_read_b32 v26, v4 offset:28
	v_cndmask_b32_e32 v5, v5, v57, vcc
	v_lshlrev_b32_e32 v5, 2, v5
	ds_bpermute_b32 v2, v5, v2
	s_and_saveexec_b64 s[0:1], s[18:19]
	s_cbranch_execz .LBB3619_108
; %bb.107:
	v_mov_b32_e32 v4, 0
	v_mov_b32_e32 v27, 2
	s_waitcnt lgkmcnt(1)
	global_store_dwordx2 v4, v[26:27], s[36:37] offset:512 sc1
.LBB3619_108:
	s_or_b64 exec, exec, s[0:1]
	v_cmp_eq_u32_e32 vcc, 0, v57
	v_mov_b32_e32 v54, 0
	s_waitcnt lgkmcnt(0)
	v_cndmask_b32_e32 v2, v2, v3, vcc
	v_cndmask_b32_e64 v2, v2, 0, s[18:19]
	v_add_u32_e32 v3, v2, v53
	v_add_u32_e32 v4, v3, v55
	;; [unrolled: 1-line block ×14, first 2 shown]
	s_barrier
.LBB3619_109:
	v_add_u32_e32 v21, v26, v21
	v_sub_u32_e32 v2, v2, v54
	v_and_b32_e32 v49, 1, v18
	v_sub_u32_e32 v48, v21, v2
	v_cmp_eq_u32_e32 vcc, 1, v49
	v_lshrrev_b32_e32 v47, 8, v18
	v_lshrrev_b32_e32 v27, 8, v19
	v_cndmask_b32_e32 v2, v48, v2, vcc
	v_lshlrev_b32_e32 v2, 2, v2
	ds_write_b32 v2, v40
	v_sub_u32_e32 v2, v3, v54
	v_sub_u32_e32 v3, v21, v2
	v_and_b32_e32 v40, 1, v47
	v_add_u32_e32 v3, 1, v3
	v_cmp_eq_u32_e32 vcc, 1, v40
	v_lshrrev_b32_e32 v17, 8, v20
	s_add_u32 s0, s26, s24
	v_cndmask_b32_e32 v2, v3, v2, vcc
	v_lshlrev_b32_e32 v2, 2, v2
	ds_write_b32 v2, v41
	v_sub_u32_e32 v2, v4, v54
	v_mov_b32_e32 v4, 1
	v_sub_u32_e32 v3, v21, v2
	v_and_b32_sdwa v18, v4, v18 dst_sel:DWORD dst_unused:UNUSED_PAD src0_sel:DWORD src1_sel:WORD_1
	v_add_u32_e32 v3, 2, v3
	v_cmp_eq_u32_e32 vcc, 1, v18
	s_addc_u32 s1, s27, 0
	s_sub_u32 s0, s30, s0
	v_cndmask_b32_e32 v2, v3, v2, vcc
	v_lshlrev_b32_e32 v2, 2, v2
	ds_write_b32 v2, v38
	v_sub_u32_e32 v2, v5, v54
	v_sub_u32_e32 v3, v21, v2
	v_and_b32_e32 v5, 1, v46
	v_add_u32_e32 v3, 3, v3
	v_cmp_eq_u32_e32 vcc, 1, v5
	v_and_b32_e32 v5, 1, v19
	s_subb_u32 s1, s31, s1
	v_cndmask_b32_e32 v2, v3, v2, vcc
	v_lshlrev_b32_e32 v2, 2, v2
	ds_write_b32 v2, v39
	v_sub_u32_e32 v2, v6, v54
	v_sub_u32_e32 v3, v21, v2
	v_add_u32_e32 v3, 4, v3
	v_cmp_eq_u32_e32 vcc, 1, v5
	v_and_b32_e32 v5, 1, v27
	v_or_b32_e32 v52, 0x200, v0
	v_cndmask_b32_e32 v2, v3, v2, vcc
	v_lshlrev_b32_e32 v2, 2, v2
	ds_write_b32 v2, v36
	v_sub_u32_e32 v2, v7, v54
	v_sub_u32_e32 v3, v21, v2
	v_add_u32_e32 v3, 5, v3
	v_cmp_eq_u32_e32 vcc, 1, v5
	v_and_b32_sdwa v5, v4, v19 dst_sel:DWORD dst_unused:UNUSED_PAD src0_sel:DWORD src1_sel:WORD_1
	v_and_b32_sdwa v4, v4, v20 dst_sel:DWORD dst_unused:UNUSED_PAD src0_sel:DWORD src1_sel:WORD_1
	v_cndmask_b32_e32 v2, v3, v2, vcc
	v_lshlrev_b32_e32 v2, 2, v2
	ds_write_b32 v2, v37
	v_sub_u32_e32 v2, v8, v54
	v_sub_u32_e32 v3, v21, v2
	v_add_u32_e32 v3, 6, v3
	v_cmp_eq_u32_e32 vcc, 1, v5
	v_and_b32_e32 v5, 1, v45
	v_or_b32_e32 v48, 0x400, v0
	v_cndmask_b32_e32 v2, v3, v2, vcc
	v_lshlrev_b32_e32 v2, 2, v2
	ds_write_b32 v2, v34
	v_sub_u32_e32 v2, v9, v54
	v_sub_u32_e32 v3, v21, v2
	v_add_u32_e32 v3, 7, v3
	v_cmp_eq_u32_e32 vcc, 1, v5
	v_and_b32_e32 v5, 1, v20
	v_or_b32_e32 v46, 0x600, v0
	;; [unrolled: 9-line block ×3, first 2 shown]
	v_cndmask_b32_e32 v2, v3, v2, vcc
	v_lshlrev_b32_e32 v2, 2, v2
	ds_write_b32 v2, v32
	v_sub_u32_e32 v2, v11, v54
	v_sub_u32_e32 v3, v21, v2
	v_add_u32_e32 v3, 9, v3
	v_cmp_eq_u32_e32 vcc, 1, v5
	v_or_b32_e32 v36, 0xc00, v0
	v_or_b32_e32 v34, 0xe00, v0
	v_cndmask_b32_e32 v2, v3, v2, vcc
	v_lshlrev_b32_e32 v2, 2, v2
	ds_write_b32 v2, v33
	v_sub_u32_e32 v2, v12, v54
	v_sub_u32_e32 v3, v21, v2
	v_add_u32_e32 v3, 10, v3
	v_cmp_eq_u32_e32 vcc, 1, v4
	v_and_b32_e32 v4, 1, v43
	v_or_b32_e32 v18, 0x1400, v0
	v_cndmask_b32_e32 v2, v3, v2, vcc
	v_lshlrev_b32_e32 v2, 2, v2
	ds_write_b32 v2, v30
	v_sub_u32_e32 v2, v13, v54
	v_sub_u32_e32 v3, v21, v2
	v_add_u32_e32 v3, 11, v3
	v_cmp_eq_u32_e32 vcc, 1, v4
	v_or_b32_e32 v30, 0x1000, v0
	v_or_b32_e32 v12, 0x1800, v0
	v_cndmask_b32_e32 v2, v3, v2, vcc
	v_lshlrev_b32_e32 v2, 2, v2
	ds_write_b32 v2, v31
	v_sub_u32_e32 v2, v14, v54
	v_sub_u32_e32 v3, v21, v2
	v_add_u32_e32 v3, 12, v3
	v_cmp_eq_u32_e32 vcc, 1, v44
	v_or_b32_e32 v10, 0x1a00, v0
	;; [unrolled: 9-line block ×4, first 2 shown]
	s_nop 0
	v_cndmask_b32_e32 v2, v3, v2, vcc
	v_lshlrev_b32_e32 v2, 2, v2
	ds_write_b32 v2, v1
	s_waitcnt lgkmcnt(0)
	s_barrier
	ds_read2st64_b32 v[50:51], v22 offset1:8
	ds_read2st64_b32 v[44:45], v22 offset0:16 offset1:24
	ds_read2st64_b32 v[38:39], v22 offset0:32 offset1:40
	;; [unrolled: 1-line block ×6, first 2 shown]
	ds_read_b32 v56, v22 offset:28672
	v_mov_b32_e32 v1, 0
	v_mov_b32_e32 v55, v1
	;; [unrolled: 1-line block ×3, first 2 shown]
	s_waitcnt vmcnt(0)
	v_lshl_add_u64 v[2:3], v[24:25], 0, v[54:55]
	v_lshl_add_u64 v[6:7], s[0:1], 0, v[26:27]
	v_mov_b32_e32 v53, v1
	v_mov_b32_e32 v49, v1
	;; [unrolled: 1-line block ×14, first 2 shown]
	s_andn2_b64 vcc, exec, s[34:35]
	v_lshl_add_u64 v[6:7], v[6:7], 0, v[2:3]
	s_cbranch_vccnz .LBB3619_174
; %bb.110:
	v_cmp_ge_u32_e32 vcc, v0, v26
                                        ; implicit-def: $vgpr22_vgpr23
	s_and_saveexec_b64 s[0:1], vcc
	s_xor_b64 s[0:1], exec, s[0:1]
; %bb.111:
	v_not_b32_e32 v22, v0
	v_ashrrev_i32_e32 v23, 31, v22
	v_lshl_add_u64 v[22:23], v[6:7], 0, v[22:23]
; %bb.112:
	s_andn2_saveexec_b64 s[0:1], s[0:1]
; %bb.113:
	v_lshl_add_u64 v[22:23], v[2:3], 0, v[0:1]
; %bb.114:
	s_or_b64 exec, exec, s[0:1]
	v_lshl_add_u64 v[22:23], v[22:23], 2, s[28:29]
	v_cmp_ge_u32_e32 vcc, v52, v26
	s_waitcnt lgkmcnt(7)
	global_store_dword v[22:23], v50, off
                                        ; implicit-def: $vgpr22_vgpr23
	s_and_saveexec_b64 s[0:1], vcc
	s_xor_b64 s[0:1], exec, s[0:1]
; %bb.115:
	v_xor_b32_e32 v22, 0xfffffdff, v0
	v_ashrrev_i32_e32 v23, 31, v22
	v_lshl_add_u64 v[22:23], v[6:7], 0, v[22:23]
; %bb.116:
	s_andn2_saveexec_b64 s[0:1], s[0:1]
; %bb.117:
	v_lshl_add_u64 v[22:23], v[2:3], 0, v[52:53]
; %bb.118:
	s_or_b64 exec, exec, s[0:1]
	v_lshl_add_u64 v[22:23], v[22:23], 2, s[28:29]
	v_cmp_ge_u32_e32 vcc, v48, v26
	global_store_dword v[22:23], v51, off
                                        ; implicit-def: $vgpr22_vgpr23
	s_and_saveexec_b64 s[0:1], vcc
	s_xor_b64 s[0:1], exec, s[0:1]
; %bb.119:
	v_xor_b32_e32 v22, 0xfffffbff, v0
	v_ashrrev_i32_e32 v23, 31, v22
	v_lshl_add_u64 v[22:23], v[6:7], 0, v[22:23]
; %bb.120:
	s_andn2_saveexec_b64 s[0:1], s[0:1]
; %bb.121:
	v_lshl_add_u64 v[22:23], v[2:3], 0, v[48:49]
; %bb.122:
	s_or_b64 exec, exec, s[0:1]
	v_lshl_add_u64 v[22:23], v[22:23], 2, s[28:29]
	v_cmp_ge_u32_e32 vcc, v46, v26
	s_waitcnt lgkmcnt(6)
	global_store_dword v[22:23], v44, off
                                        ; implicit-def: $vgpr22_vgpr23
	s_and_saveexec_b64 s[0:1], vcc
	s_xor_b64 s[0:1], exec, s[0:1]
; %bb.123:
	v_xor_b32_e32 v22, 0xfffff9ff, v0
	v_ashrrev_i32_e32 v23, 31, v22
	v_lshl_add_u64 v[22:23], v[6:7], 0, v[22:23]
; %bb.124:
	s_andn2_saveexec_b64 s[0:1], s[0:1]
; %bb.125:
	v_lshl_add_u64 v[22:23], v[2:3], 0, v[46:47]
; %bb.126:
	s_or_b64 exec, exec, s[0:1]
	v_lshl_add_u64 v[22:23], v[22:23], 2, s[28:29]
	v_cmp_ge_u32_e32 vcc, v42, v26
	global_store_dword v[22:23], v45, off
                                        ; implicit-def: $vgpr22_vgpr23
	s_and_saveexec_b64 s[0:1], vcc
	s_xor_b64 s[0:1], exec, s[0:1]
; %bb.127:
	v_xor_b32_e32 v22, 0xfffff7ff, v0
	;; [unrolled: 33-line block ×7, first 2 shown]
	v_ashrrev_i32_e32 v23, 31, v22
	v_lshl_add_u64 v[22:23], v[6:7], 0, v[22:23]
; %bb.168:
	s_andn2_saveexec_b64 s[0:1], s[0:1]
; %bb.169:
	v_lshl_add_u64 v[22:23], v[2:3], 0, v[4:5]
; %bb.170:
	s_or_b64 exec, exec, s[0:1]
	s_mov_b64 s[0:1], -1
.LBB3619_171:
	s_and_saveexec_b64 s[2:3], s[0:1]
	s_cbranch_execz .LBB3619_266
.LBB3619_172:
	v_lshl_add_u64 v[0:1], v[22:23], 2, s[28:29]
	s_waitcnt lgkmcnt(0)
	global_store_dword v[0:1], v56, off
	s_or_b64 exec, exec, s[2:3]
	s_and_b64 s[0:1], s[18:19], s[22:23]
	s_and_saveexec_b64 s[2:3], s[0:1]
	s_cbranch_execnz .LBB3619_267
.LBB3619_173:
	s_endpgm
.LBB3619_174:
	s_mov_b64 s[0:1], 0
                                        ; implicit-def: $vgpr22_vgpr23
	s_cbranch_execz .LBB3619_171
; %bb.175:
	v_cmp_gt_u32_e32 vcc, s33, v0
	s_and_saveexec_b64 s[2:3], vcc
	s_cbranch_execz .LBB3619_217
; %bb.176:
	v_cmp_ge_u32_e32 vcc, v0, v26
                                        ; implicit-def: $vgpr22_vgpr23
	s_and_saveexec_b64 s[4:5], vcc
	s_xor_b64 s[4:5], exec, s[4:5]
; %bb.177:
	v_not_b32_e32 v22, v0
	v_ashrrev_i32_e32 v23, 31, v22
	v_lshl_add_u64 v[22:23], v[6:7], 0, v[22:23]
; %bb.178:
	s_andn2_saveexec_b64 s[4:5], s[4:5]
; %bb.179:
	v_lshl_add_u64 v[22:23], v[2:3], 0, v[0:1]
; %bb.180:
	s_or_b64 exec, exec, s[4:5]
	v_lshl_add_u64 v[22:23], v[22:23], 2, s[28:29]
	s_waitcnt lgkmcnt(7)
	global_store_dword v[22:23], v50, off
	s_or_b64 exec, exec, s[2:3]
	v_cmp_gt_u32_e32 vcc, s33, v52
	s_and_saveexec_b64 s[2:3], vcc
	s_cbranch_execnz .LBB3619_218
.LBB3619_181:
	s_or_b64 exec, exec, s[2:3]
	v_cmp_gt_u32_e32 vcc, s33, v48
	s_and_saveexec_b64 s[2:3], vcc
	s_cbranch_execz .LBB3619_223
.LBB3619_182:
	v_cmp_ge_u32_e32 vcc, v48, v26
                                        ; implicit-def: $vgpr22_vgpr23
	s_and_saveexec_b64 s[4:5], vcc
	s_xor_b64 s[4:5], exec, s[4:5]
; %bb.183:
	v_xor_b32_e32 v22, 0xfffffbff, v0
	v_ashrrev_i32_e32 v23, 31, v22
	v_lshl_add_u64 v[22:23], v[6:7], 0, v[22:23]
                                        ; implicit-def: $vgpr48_vgpr49
; %bb.184:
	s_andn2_saveexec_b64 s[4:5], s[4:5]
; %bb.185:
	v_lshl_add_u64 v[22:23], v[2:3], 0, v[48:49]
; %bb.186:
	s_or_b64 exec, exec, s[4:5]
	v_lshl_add_u64 v[22:23], v[22:23], 2, s[28:29]
	s_waitcnt lgkmcnt(6)
	global_store_dword v[22:23], v44, off
	s_or_b64 exec, exec, s[2:3]
	v_cmp_gt_u32_e32 vcc, s33, v46
	s_and_saveexec_b64 s[2:3], vcc
	s_cbranch_execnz .LBB3619_224
.LBB3619_187:
	s_or_b64 exec, exec, s[2:3]
	v_cmp_gt_u32_e32 vcc, s33, v42
	s_and_saveexec_b64 s[2:3], vcc
	s_cbranch_execz .LBB3619_229
.LBB3619_188:
	v_cmp_ge_u32_e32 vcc, v42, v26
                                        ; implicit-def: $vgpr22_vgpr23
	s_and_saveexec_b64 s[4:5], vcc
	s_xor_b64 s[4:5], exec, s[4:5]
; %bb.189:
	v_xor_b32_e32 v22, 0xfffff7ff, v0
	v_ashrrev_i32_e32 v23, 31, v22
	v_lshl_add_u64 v[22:23], v[6:7], 0, v[22:23]
                                        ; implicit-def: $vgpr42_vgpr43
; %bb.190:
	s_andn2_saveexec_b64 s[4:5], s[4:5]
; %bb.191:
	v_lshl_add_u64 v[22:23], v[2:3], 0, v[42:43]
; %bb.192:
	s_or_b64 exec, exec, s[4:5]
	v_lshl_add_u64 v[22:23], v[22:23], 2, s[28:29]
	s_waitcnt lgkmcnt(5)
	global_store_dword v[22:23], v38, off
	s_or_b64 exec, exec, s[2:3]
	v_cmp_gt_u32_e32 vcc, s33, v40
	s_and_saveexec_b64 s[2:3], vcc
	s_cbranch_execnz .LBB3619_230
.LBB3619_193:
	s_or_b64 exec, exec, s[2:3]
	v_cmp_gt_u32_e32 vcc, s33, v36
	s_and_saveexec_b64 s[2:3], vcc
	s_cbranch_execz .LBB3619_235
.LBB3619_194:
	v_cmp_ge_u32_e32 vcc, v36, v26
                                        ; implicit-def: $vgpr22_vgpr23
	s_and_saveexec_b64 s[4:5], vcc
	s_xor_b64 s[4:5], exec, s[4:5]
; %bb.195:
	v_xor_b32_e32 v22, 0xfffff3ff, v0
	v_ashrrev_i32_e32 v23, 31, v22
	v_lshl_add_u64 v[22:23], v[6:7], 0, v[22:23]
                                        ; implicit-def: $vgpr36_vgpr37
; %bb.196:
	s_andn2_saveexec_b64 s[4:5], s[4:5]
; %bb.197:
	v_lshl_add_u64 v[22:23], v[2:3], 0, v[36:37]
; %bb.198:
	s_or_b64 exec, exec, s[4:5]
	v_lshl_add_u64 v[22:23], v[22:23], 2, s[28:29]
	s_waitcnt lgkmcnt(4)
	global_store_dword v[22:23], v32, off
	s_or_b64 exec, exec, s[2:3]
	v_cmp_gt_u32_e32 vcc, s33, v34
	s_and_saveexec_b64 s[2:3], vcc
	s_cbranch_execnz .LBB3619_236
.LBB3619_199:
	s_or_b64 exec, exec, s[2:3]
	v_cmp_gt_u32_e32 vcc, s33, v30
	s_and_saveexec_b64 s[2:3], vcc
	s_cbranch_execz .LBB3619_241
.LBB3619_200:
	v_cmp_ge_u32_e32 vcc, v30, v26
                                        ; implicit-def: $vgpr22_vgpr23
	s_and_saveexec_b64 s[4:5], vcc
	s_xor_b64 s[4:5], exec, s[4:5]
; %bb.201:
	v_xor_b32_e32 v22, 0xffffefff, v0
	v_ashrrev_i32_e32 v23, 31, v22
	v_lshl_add_u64 v[22:23], v[6:7], 0, v[22:23]
                                        ; implicit-def: $vgpr30_vgpr31
; %bb.202:
	s_andn2_saveexec_b64 s[4:5], s[4:5]
; %bb.203:
	v_lshl_add_u64 v[22:23], v[2:3], 0, v[30:31]
; %bb.204:
	s_or_b64 exec, exec, s[4:5]
	v_lshl_add_u64 v[22:23], v[22:23], 2, s[28:29]
	s_waitcnt lgkmcnt(3)
	global_store_dword v[22:23], v20, off
	s_or_b64 exec, exec, s[2:3]
	v_cmp_gt_u32_e32 vcc, s33, v28
	s_and_saveexec_b64 s[2:3], vcc
	s_cbranch_execnz .LBB3619_242
.LBB3619_205:
	s_or_b64 exec, exec, s[2:3]
	v_cmp_gt_u32_e32 vcc, s33, v18
	s_and_saveexec_b64 s[2:3], vcc
	s_cbranch_execz .LBB3619_247
.LBB3619_206:
	v_cmp_ge_u32_e32 vcc, v18, v26
                                        ; implicit-def: $vgpr20_vgpr21
	s_and_saveexec_b64 s[4:5], vcc
	s_xor_b64 s[4:5], exec, s[4:5]
	s_cbranch_execz .LBB3619_208
; %bb.207:
	v_xor_b32_e32 v18, 0xffffebff, v0
	v_ashrrev_i32_e32 v19, 31, v18
	s_waitcnt lgkmcnt(3)
	v_lshl_add_u64 v[20:21], v[6:7], 0, v[18:19]
                                        ; implicit-def: $vgpr18_vgpr19
.LBB3619_208:
	s_andn2_saveexec_b64 s[4:5], s[4:5]
	s_cbranch_execz .LBB3619_210
; %bb.209:
	s_waitcnt lgkmcnt(3)
	v_lshl_add_u64 v[20:21], v[2:3], 0, v[18:19]
.LBB3619_210:
	s_or_b64 exec, exec, s[4:5]
	s_waitcnt lgkmcnt(3)
	v_lshl_add_u64 v[18:19], v[20:21], 2, s[28:29]
	s_waitcnt lgkmcnt(2)
	global_store_dword v[18:19], v14, off
	s_or_b64 exec, exec, s[2:3]
	v_cmp_gt_u32_e32 vcc, s33, v16
	s_and_saveexec_b64 s[2:3], vcc
	s_cbranch_execnz .LBB3619_248
.LBB3619_211:
	s_or_b64 exec, exec, s[2:3]
	v_cmp_gt_u32_e32 vcc, s33, v12
	s_and_saveexec_b64 s[2:3], vcc
	s_cbranch_execz .LBB3619_253
.LBB3619_212:
	v_cmp_ge_u32_e32 vcc, v12, v26
                                        ; implicit-def: $vgpr14_vgpr15
	s_and_saveexec_b64 s[4:5], vcc
	s_xor_b64 s[4:5], exec, s[4:5]
	s_cbranch_execz .LBB3619_214
; %bb.213:
	v_xor_b32_e32 v12, 0xffffe7ff, v0
	v_ashrrev_i32_e32 v13, 31, v12
	s_waitcnt lgkmcnt(2)
	v_lshl_add_u64 v[14:15], v[6:7], 0, v[12:13]
                                        ; implicit-def: $vgpr12_vgpr13
.LBB3619_214:
	s_andn2_saveexec_b64 s[4:5], s[4:5]
	s_cbranch_execz .LBB3619_216
; %bb.215:
	s_waitcnt lgkmcnt(2)
	v_lshl_add_u64 v[14:15], v[2:3], 0, v[12:13]
.LBB3619_216:
	s_or_b64 exec, exec, s[4:5]
	s_waitcnt lgkmcnt(2)
	v_lshl_add_u64 v[12:13], v[14:15], 2, s[28:29]
	s_waitcnt lgkmcnt(1)
	global_store_dword v[12:13], v8, off
	s_or_b64 exec, exec, s[2:3]
	v_cmp_gt_u32_e32 vcc, s33, v10
	s_and_saveexec_b64 s[2:3], vcc
	s_cbranch_execz .LBB3619_259
	s_branch .LBB3619_254
.LBB3619_217:
	s_or_b64 exec, exec, s[2:3]
	v_cmp_gt_u32_e32 vcc, s33, v52
	s_and_saveexec_b64 s[2:3], vcc
	s_cbranch_execz .LBB3619_181
.LBB3619_218:
	v_cmp_ge_u32_e32 vcc, v52, v26
                                        ; implicit-def: $vgpr22_vgpr23
	s_and_saveexec_b64 s[4:5], vcc
	s_xor_b64 s[4:5], exec, s[4:5]
; %bb.219:
	v_xor_b32_e32 v22, 0xfffffdff, v0
	v_ashrrev_i32_e32 v23, 31, v22
	v_lshl_add_u64 v[22:23], v[6:7], 0, v[22:23]
                                        ; implicit-def: $vgpr52_vgpr53
; %bb.220:
	s_andn2_saveexec_b64 s[4:5], s[4:5]
; %bb.221:
	v_lshl_add_u64 v[22:23], v[2:3], 0, v[52:53]
; %bb.222:
	s_or_b64 exec, exec, s[4:5]
	v_lshl_add_u64 v[22:23], v[22:23], 2, s[28:29]
	s_waitcnt lgkmcnt(7)
	global_store_dword v[22:23], v51, off
	s_or_b64 exec, exec, s[2:3]
	v_cmp_gt_u32_e32 vcc, s33, v48
	s_and_saveexec_b64 s[2:3], vcc
	s_cbranch_execnz .LBB3619_182
.LBB3619_223:
	s_or_b64 exec, exec, s[2:3]
	v_cmp_gt_u32_e32 vcc, s33, v46
	s_and_saveexec_b64 s[2:3], vcc
	s_cbranch_execz .LBB3619_187
.LBB3619_224:
	v_cmp_ge_u32_e32 vcc, v46, v26
                                        ; implicit-def: $vgpr22_vgpr23
	s_and_saveexec_b64 s[4:5], vcc
	s_xor_b64 s[4:5], exec, s[4:5]
; %bb.225:
	v_xor_b32_e32 v22, 0xfffff9ff, v0
	v_ashrrev_i32_e32 v23, 31, v22
	v_lshl_add_u64 v[22:23], v[6:7], 0, v[22:23]
                                        ; implicit-def: $vgpr46_vgpr47
; %bb.226:
	s_andn2_saveexec_b64 s[4:5], s[4:5]
; %bb.227:
	v_lshl_add_u64 v[22:23], v[2:3], 0, v[46:47]
; %bb.228:
	s_or_b64 exec, exec, s[4:5]
	v_lshl_add_u64 v[22:23], v[22:23], 2, s[28:29]
	s_waitcnt lgkmcnt(6)
	global_store_dword v[22:23], v45, off
	s_or_b64 exec, exec, s[2:3]
	v_cmp_gt_u32_e32 vcc, s33, v42
	s_and_saveexec_b64 s[2:3], vcc
	s_cbranch_execnz .LBB3619_188
.LBB3619_229:
	s_or_b64 exec, exec, s[2:3]
	v_cmp_gt_u32_e32 vcc, s33, v40
	s_and_saveexec_b64 s[2:3], vcc
	s_cbranch_execz .LBB3619_193
.LBB3619_230:
	v_cmp_ge_u32_e32 vcc, v40, v26
                                        ; implicit-def: $vgpr22_vgpr23
	s_and_saveexec_b64 s[4:5], vcc
	s_xor_b64 s[4:5], exec, s[4:5]
; %bb.231:
	v_xor_b32_e32 v22, 0xfffff5ff, v0
	v_ashrrev_i32_e32 v23, 31, v22
	v_lshl_add_u64 v[22:23], v[6:7], 0, v[22:23]
                                        ; implicit-def: $vgpr40_vgpr41
; %bb.232:
	s_andn2_saveexec_b64 s[4:5], s[4:5]
; %bb.233:
	v_lshl_add_u64 v[22:23], v[2:3], 0, v[40:41]
; %bb.234:
	s_or_b64 exec, exec, s[4:5]
	v_lshl_add_u64 v[22:23], v[22:23], 2, s[28:29]
	s_waitcnt lgkmcnt(5)
	global_store_dword v[22:23], v39, off
	s_or_b64 exec, exec, s[2:3]
	v_cmp_gt_u32_e32 vcc, s33, v36
	s_and_saveexec_b64 s[2:3], vcc
	s_cbranch_execnz .LBB3619_194
.LBB3619_235:
	s_or_b64 exec, exec, s[2:3]
	v_cmp_gt_u32_e32 vcc, s33, v34
	s_and_saveexec_b64 s[2:3], vcc
	s_cbranch_execz .LBB3619_199
.LBB3619_236:
	v_cmp_ge_u32_e32 vcc, v34, v26
                                        ; implicit-def: $vgpr22_vgpr23
	s_and_saveexec_b64 s[4:5], vcc
	s_xor_b64 s[4:5], exec, s[4:5]
; %bb.237:
	v_xor_b32_e32 v22, 0xfffff1ff, v0
	v_ashrrev_i32_e32 v23, 31, v22
	v_lshl_add_u64 v[22:23], v[6:7], 0, v[22:23]
                                        ; implicit-def: $vgpr34_vgpr35
; %bb.238:
	s_andn2_saveexec_b64 s[4:5], s[4:5]
; %bb.239:
	v_lshl_add_u64 v[22:23], v[2:3], 0, v[34:35]
; %bb.240:
	s_or_b64 exec, exec, s[4:5]
	v_lshl_add_u64 v[22:23], v[22:23], 2, s[28:29]
	s_waitcnt lgkmcnt(4)
	global_store_dword v[22:23], v33, off
	s_or_b64 exec, exec, s[2:3]
	v_cmp_gt_u32_e32 vcc, s33, v30
	s_and_saveexec_b64 s[2:3], vcc
	s_cbranch_execnz .LBB3619_200
.LBB3619_241:
	s_or_b64 exec, exec, s[2:3]
	v_cmp_gt_u32_e32 vcc, s33, v28
	s_and_saveexec_b64 s[2:3], vcc
	s_cbranch_execz .LBB3619_205
.LBB3619_242:
	v_cmp_ge_u32_e32 vcc, v28, v26
                                        ; implicit-def: $vgpr22_vgpr23
	s_and_saveexec_b64 s[4:5], vcc
	s_xor_b64 s[4:5], exec, s[4:5]
; %bb.243:
	v_xor_b32_e32 v22, 0xffffedff, v0
	v_ashrrev_i32_e32 v23, 31, v22
	v_lshl_add_u64 v[22:23], v[6:7], 0, v[22:23]
                                        ; implicit-def: $vgpr28_vgpr29
; %bb.244:
	s_andn2_saveexec_b64 s[4:5], s[4:5]
; %bb.245:
	v_lshl_add_u64 v[22:23], v[2:3], 0, v[28:29]
; %bb.246:
	s_or_b64 exec, exec, s[4:5]
	v_lshl_add_u64 v[22:23], v[22:23], 2, s[28:29]
	s_waitcnt lgkmcnt(3)
	global_store_dword v[22:23], v21, off
	s_or_b64 exec, exec, s[2:3]
	v_cmp_gt_u32_e32 vcc, s33, v18
	s_and_saveexec_b64 s[2:3], vcc
	s_cbranch_execnz .LBB3619_206
.LBB3619_247:
	s_or_b64 exec, exec, s[2:3]
	v_cmp_gt_u32_e32 vcc, s33, v16
	s_and_saveexec_b64 s[2:3], vcc
	s_cbranch_execz .LBB3619_211
.LBB3619_248:
	v_cmp_ge_u32_e32 vcc, v16, v26
                                        ; implicit-def: $vgpr18_vgpr19
	s_and_saveexec_b64 s[4:5], vcc
	s_xor_b64 s[4:5], exec, s[4:5]
; %bb.249:
	v_xor_b32_e32 v16, 0xffffe9ff, v0
	v_ashrrev_i32_e32 v17, 31, v16
	v_lshl_add_u64 v[18:19], v[6:7], 0, v[16:17]
                                        ; implicit-def: $vgpr16_vgpr17
; %bb.250:
	s_andn2_saveexec_b64 s[4:5], s[4:5]
; %bb.251:
	v_lshl_add_u64 v[18:19], v[2:3], 0, v[16:17]
; %bb.252:
	s_or_b64 exec, exec, s[4:5]
	v_lshl_add_u64 v[16:17], v[18:19], 2, s[28:29]
	s_waitcnt lgkmcnt(2)
	global_store_dword v[16:17], v15, off
	s_or_b64 exec, exec, s[2:3]
	v_cmp_gt_u32_e32 vcc, s33, v12
	s_and_saveexec_b64 s[2:3], vcc
	s_cbranch_execnz .LBB3619_212
.LBB3619_253:
	s_or_b64 exec, exec, s[2:3]
	v_cmp_gt_u32_e32 vcc, s33, v10
	s_and_saveexec_b64 s[2:3], vcc
	s_cbranch_execz .LBB3619_259
.LBB3619_254:
	v_cmp_ge_u32_e32 vcc, v10, v26
                                        ; implicit-def: $vgpr12_vgpr13
	s_and_saveexec_b64 s[4:5], vcc
	s_xor_b64 s[4:5], exec, s[4:5]
; %bb.255:
	v_xor_b32_e32 v10, 0xffffe5ff, v0
	v_ashrrev_i32_e32 v11, 31, v10
	v_lshl_add_u64 v[12:13], v[6:7], 0, v[10:11]
                                        ; implicit-def: $vgpr10_vgpr11
; %bb.256:
	s_andn2_saveexec_b64 s[4:5], s[4:5]
; %bb.257:
	v_lshl_add_u64 v[12:13], v[2:3], 0, v[10:11]
; %bb.258:
	s_or_b64 exec, exec, s[4:5]
	v_lshl_add_u64 v[10:11], v[12:13], 2, s[28:29]
	s_waitcnt lgkmcnt(1)
	global_store_dword v[10:11], v9, off
.LBB3619_259:
	s_or_b64 exec, exec, s[2:3]
	v_cmp_gt_u32_e32 vcc, s33, v4
                                        ; implicit-def: $vgpr22_vgpr23
	s_and_saveexec_b64 s[2:3], vcc
	s_cbranch_execz .LBB3619_265
; %bb.260:
	v_cmp_ge_u32_e32 vcc, v4, v26
                                        ; implicit-def: $vgpr22_vgpr23
	s_and_saveexec_b64 s[4:5], vcc
	s_xor_b64 s[4:5], exec, s[4:5]
; %bb.261:
	v_xor_b32_e32 v0, 0xffffe3ff, v0
	v_ashrrev_i32_e32 v1, 31, v0
	v_lshl_add_u64 v[22:23], v[6:7], 0, v[0:1]
                                        ; implicit-def: $vgpr4_vgpr5
; %bb.262:
	s_andn2_saveexec_b64 s[4:5], s[4:5]
; %bb.263:
	v_lshl_add_u64 v[22:23], v[2:3], 0, v[4:5]
; %bb.264:
	s_or_b64 exec, exec, s[4:5]
	s_or_b64 s[0:1], s[0:1], exec
.LBB3619_265:
	s_or_b64 exec, exec, s[2:3]
	s_and_saveexec_b64 s[2:3], s[0:1]
	s_cbranch_execnz .LBB3619_172
.LBB3619_266:
	s_or_b64 exec, exec, s[2:3]
	s_and_b64 s[0:1], s[18:19], s[22:23]
	s_and_saveexec_b64 s[2:3], s[0:1]
	s_cbranch_execz .LBB3619_173
.LBB3619_267:
	v_mov_b32_e32 v4, 0
	v_lshl_add_u64 v[0:1], v[2:3], 0, v[26:27]
	global_store_dwordx2 v4, v[0:1], s[20:21]
	s_endpgm
	.section	.rodata,"a",@progbits
	.p2align	6, 0x0
	.amdhsa_kernel _ZN7rocprim17ROCPRIM_400000_NS6detail17trampoline_kernelINS0_14default_configENS1_25partition_config_selectorILNS1_17partition_subalgoE2EiNS0_10empty_typeEbEEZZNS1_14partition_implILS5_2ELb0ES3_jN6thrust23THRUST_200600_302600_NS6detail15normal_iteratorINSA_7pointerIiNSA_11hip_rocprim3tagENSA_11use_defaultESG_EEEEPS6_NSA_18transform_iteratorI10is_orderedNSA_12zip_iteratorINSA_5tupleINSC_INSA_10device_ptrIiEEEESQ_NSA_9null_typeESR_SR_SR_SR_SR_SR_SR_EEEESG_SG_EENS0_5tupleIJPiSJ_EEENSV_IJSJ_SJ_EEES6_PlJS6_EEE10hipError_tPvRmT3_T4_T5_T6_T7_T9_mT8_P12ihipStream_tbDpT10_ENKUlT_T0_E_clISt17integral_constantIbLb0EES1I_IbLb1EEEEDaS1E_S1F_EUlS1E_E_NS1_11comp_targetILNS1_3genE5ELNS1_11target_archE942ELNS1_3gpuE9ELNS1_3repE0EEENS1_30default_config_static_selectorELNS0_4arch9wavefront6targetE1EEEvT1_
		.amdhsa_group_segment_fixed_size 30728
		.amdhsa_private_segment_fixed_size 0
		.amdhsa_kernarg_size 152
		.amdhsa_user_sgpr_count 2
		.amdhsa_user_sgpr_dispatch_ptr 0
		.amdhsa_user_sgpr_queue_ptr 0
		.amdhsa_user_sgpr_kernarg_segment_ptr 1
		.amdhsa_user_sgpr_dispatch_id 0
		.amdhsa_user_sgpr_kernarg_preload_length 0
		.amdhsa_user_sgpr_kernarg_preload_offset 0
		.amdhsa_user_sgpr_private_segment_size 0
		.amdhsa_uses_dynamic_stack 0
		.amdhsa_enable_private_segment 0
		.amdhsa_system_sgpr_workgroup_id_x 1
		.amdhsa_system_sgpr_workgroup_id_y 0
		.amdhsa_system_sgpr_workgroup_id_z 0
		.amdhsa_system_sgpr_workgroup_info 0
		.amdhsa_system_vgpr_workitem_id 0
		.amdhsa_next_free_vgpr 67
		.amdhsa_next_free_sgpr 46
		.amdhsa_accum_offset 68
		.amdhsa_reserve_vcc 1
		.amdhsa_float_round_mode_32 0
		.amdhsa_float_round_mode_16_64 0
		.amdhsa_float_denorm_mode_32 3
		.amdhsa_float_denorm_mode_16_64 3
		.amdhsa_dx10_clamp 1
		.amdhsa_ieee_mode 1
		.amdhsa_fp16_overflow 0
		.amdhsa_tg_split 0
		.amdhsa_exception_fp_ieee_invalid_op 0
		.amdhsa_exception_fp_denorm_src 0
		.amdhsa_exception_fp_ieee_div_zero 0
		.amdhsa_exception_fp_ieee_overflow 0
		.amdhsa_exception_fp_ieee_underflow 0
		.amdhsa_exception_fp_ieee_inexact 0
		.amdhsa_exception_int_div_zero 0
	.end_amdhsa_kernel
	.section	.text._ZN7rocprim17ROCPRIM_400000_NS6detail17trampoline_kernelINS0_14default_configENS1_25partition_config_selectorILNS1_17partition_subalgoE2EiNS0_10empty_typeEbEEZZNS1_14partition_implILS5_2ELb0ES3_jN6thrust23THRUST_200600_302600_NS6detail15normal_iteratorINSA_7pointerIiNSA_11hip_rocprim3tagENSA_11use_defaultESG_EEEEPS6_NSA_18transform_iteratorI10is_orderedNSA_12zip_iteratorINSA_5tupleINSC_INSA_10device_ptrIiEEEESQ_NSA_9null_typeESR_SR_SR_SR_SR_SR_SR_EEEESG_SG_EENS0_5tupleIJPiSJ_EEENSV_IJSJ_SJ_EEES6_PlJS6_EEE10hipError_tPvRmT3_T4_T5_T6_T7_T9_mT8_P12ihipStream_tbDpT10_ENKUlT_T0_E_clISt17integral_constantIbLb0EES1I_IbLb1EEEEDaS1E_S1F_EUlS1E_E_NS1_11comp_targetILNS1_3genE5ELNS1_11target_archE942ELNS1_3gpuE9ELNS1_3repE0EEENS1_30default_config_static_selectorELNS0_4arch9wavefront6targetE1EEEvT1_,"axG",@progbits,_ZN7rocprim17ROCPRIM_400000_NS6detail17trampoline_kernelINS0_14default_configENS1_25partition_config_selectorILNS1_17partition_subalgoE2EiNS0_10empty_typeEbEEZZNS1_14partition_implILS5_2ELb0ES3_jN6thrust23THRUST_200600_302600_NS6detail15normal_iteratorINSA_7pointerIiNSA_11hip_rocprim3tagENSA_11use_defaultESG_EEEEPS6_NSA_18transform_iteratorI10is_orderedNSA_12zip_iteratorINSA_5tupleINSC_INSA_10device_ptrIiEEEESQ_NSA_9null_typeESR_SR_SR_SR_SR_SR_SR_EEEESG_SG_EENS0_5tupleIJPiSJ_EEENSV_IJSJ_SJ_EEES6_PlJS6_EEE10hipError_tPvRmT3_T4_T5_T6_T7_T9_mT8_P12ihipStream_tbDpT10_ENKUlT_T0_E_clISt17integral_constantIbLb0EES1I_IbLb1EEEEDaS1E_S1F_EUlS1E_E_NS1_11comp_targetILNS1_3genE5ELNS1_11target_archE942ELNS1_3gpuE9ELNS1_3repE0EEENS1_30default_config_static_selectorELNS0_4arch9wavefront6targetE1EEEvT1_,comdat
.Lfunc_end3619:
	.size	_ZN7rocprim17ROCPRIM_400000_NS6detail17trampoline_kernelINS0_14default_configENS1_25partition_config_selectorILNS1_17partition_subalgoE2EiNS0_10empty_typeEbEEZZNS1_14partition_implILS5_2ELb0ES3_jN6thrust23THRUST_200600_302600_NS6detail15normal_iteratorINSA_7pointerIiNSA_11hip_rocprim3tagENSA_11use_defaultESG_EEEEPS6_NSA_18transform_iteratorI10is_orderedNSA_12zip_iteratorINSA_5tupleINSC_INSA_10device_ptrIiEEEESQ_NSA_9null_typeESR_SR_SR_SR_SR_SR_SR_EEEESG_SG_EENS0_5tupleIJPiSJ_EEENSV_IJSJ_SJ_EEES6_PlJS6_EEE10hipError_tPvRmT3_T4_T5_T6_T7_T9_mT8_P12ihipStream_tbDpT10_ENKUlT_T0_E_clISt17integral_constantIbLb0EES1I_IbLb1EEEEDaS1E_S1F_EUlS1E_E_NS1_11comp_targetILNS1_3genE5ELNS1_11target_archE942ELNS1_3gpuE9ELNS1_3repE0EEENS1_30default_config_static_selectorELNS0_4arch9wavefront6targetE1EEEvT1_, .Lfunc_end3619-_ZN7rocprim17ROCPRIM_400000_NS6detail17trampoline_kernelINS0_14default_configENS1_25partition_config_selectorILNS1_17partition_subalgoE2EiNS0_10empty_typeEbEEZZNS1_14partition_implILS5_2ELb0ES3_jN6thrust23THRUST_200600_302600_NS6detail15normal_iteratorINSA_7pointerIiNSA_11hip_rocprim3tagENSA_11use_defaultESG_EEEEPS6_NSA_18transform_iteratorI10is_orderedNSA_12zip_iteratorINSA_5tupleINSC_INSA_10device_ptrIiEEEESQ_NSA_9null_typeESR_SR_SR_SR_SR_SR_SR_EEEESG_SG_EENS0_5tupleIJPiSJ_EEENSV_IJSJ_SJ_EEES6_PlJS6_EEE10hipError_tPvRmT3_T4_T5_T6_T7_T9_mT8_P12ihipStream_tbDpT10_ENKUlT_T0_E_clISt17integral_constantIbLb0EES1I_IbLb1EEEEDaS1E_S1F_EUlS1E_E_NS1_11comp_targetILNS1_3genE5ELNS1_11target_archE942ELNS1_3gpuE9ELNS1_3repE0EEENS1_30default_config_static_selectorELNS0_4arch9wavefront6targetE1EEEvT1_
                                        ; -- End function
	.section	.AMDGPU.csdata,"",@progbits
; Kernel info:
; codeLenInByte = 9336
; NumSgprs: 52
; NumVgprs: 67
; NumAgprs: 0
; TotalNumVgprs: 67
; ScratchSize: 0
; MemoryBound: 0
; FloatMode: 240
; IeeeMode: 1
; LDSByteSize: 30728 bytes/workgroup (compile time only)
; SGPRBlocks: 6
; VGPRBlocks: 8
; NumSGPRsForWavesPerEU: 52
; NumVGPRsForWavesPerEU: 67
; AccumOffset: 68
; Occupancy: 4
; WaveLimiterHint : 1
; COMPUTE_PGM_RSRC2:SCRATCH_EN: 0
; COMPUTE_PGM_RSRC2:USER_SGPR: 2
; COMPUTE_PGM_RSRC2:TRAP_HANDLER: 0
; COMPUTE_PGM_RSRC2:TGID_X_EN: 1
; COMPUTE_PGM_RSRC2:TGID_Y_EN: 0
; COMPUTE_PGM_RSRC2:TGID_Z_EN: 0
; COMPUTE_PGM_RSRC2:TIDIG_COMP_CNT: 0
; COMPUTE_PGM_RSRC3_GFX90A:ACCUM_OFFSET: 16
; COMPUTE_PGM_RSRC3_GFX90A:TG_SPLIT: 0
	.section	.text._ZN7rocprim17ROCPRIM_400000_NS6detail17trampoline_kernelINS0_14default_configENS1_25partition_config_selectorILNS1_17partition_subalgoE2EiNS0_10empty_typeEbEEZZNS1_14partition_implILS5_2ELb0ES3_jN6thrust23THRUST_200600_302600_NS6detail15normal_iteratorINSA_7pointerIiNSA_11hip_rocprim3tagENSA_11use_defaultESG_EEEEPS6_NSA_18transform_iteratorI10is_orderedNSA_12zip_iteratorINSA_5tupleINSC_INSA_10device_ptrIiEEEESQ_NSA_9null_typeESR_SR_SR_SR_SR_SR_SR_EEEESG_SG_EENS0_5tupleIJPiSJ_EEENSV_IJSJ_SJ_EEES6_PlJS6_EEE10hipError_tPvRmT3_T4_T5_T6_T7_T9_mT8_P12ihipStream_tbDpT10_ENKUlT_T0_E_clISt17integral_constantIbLb0EES1I_IbLb1EEEEDaS1E_S1F_EUlS1E_E_NS1_11comp_targetILNS1_3genE4ELNS1_11target_archE910ELNS1_3gpuE8ELNS1_3repE0EEENS1_30default_config_static_selectorELNS0_4arch9wavefront6targetE1EEEvT1_,"axG",@progbits,_ZN7rocprim17ROCPRIM_400000_NS6detail17trampoline_kernelINS0_14default_configENS1_25partition_config_selectorILNS1_17partition_subalgoE2EiNS0_10empty_typeEbEEZZNS1_14partition_implILS5_2ELb0ES3_jN6thrust23THRUST_200600_302600_NS6detail15normal_iteratorINSA_7pointerIiNSA_11hip_rocprim3tagENSA_11use_defaultESG_EEEEPS6_NSA_18transform_iteratorI10is_orderedNSA_12zip_iteratorINSA_5tupleINSC_INSA_10device_ptrIiEEEESQ_NSA_9null_typeESR_SR_SR_SR_SR_SR_SR_EEEESG_SG_EENS0_5tupleIJPiSJ_EEENSV_IJSJ_SJ_EEES6_PlJS6_EEE10hipError_tPvRmT3_T4_T5_T6_T7_T9_mT8_P12ihipStream_tbDpT10_ENKUlT_T0_E_clISt17integral_constantIbLb0EES1I_IbLb1EEEEDaS1E_S1F_EUlS1E_E_NS1_11comp_targetILNS1_3genE4ELNS1_11target_archE910ELNS1_3gpuE8ELNS1_3repE0EEENS1_30default_config_static_selectorELNS0_4arch9wavefront6targetE1EEEvT1_,comdat
	.protected	_ZN7rocprim17ROCPRIM_400000_NS6detail17trampoline_kernelINS0_14default_configENS1_25partition_config_selectorILNS1_17partition_subalgoE2EiNS0_10empty_typeEbEEZZNS1_14partition_implILS5_2ELb0ES3_jN6thrust23THRUST_200600_302600_NS6detail15normal_iteratorINSA_7pointerIiNSA_11hip_rocprim3tagENSA_11use_defaultESG_EEEEPS6_NSA_18transform_iteratorI10is_orderedNSA_12zip_iteratorINSA_5tupleINSC_INSA_10device_ptrIiEEEESQ_NSA_9null_typeESR_SR_SR_SR_SR_SR_SR_EEEESG_SG_EENS0_5tupleIJPiSJ_EEENSV_IJSJ_SJ_EEES6_PlJS6_EEE10hipError_tPvRmT3_T4_T5_T6_T7_T9_mT8_P12ihipStream_tbDpT10_ENKUlT_T0_E_clISt17integral_constantIbLb0EES1I_IbLb1EEEEDaS1E_S1F_EUlS1E_E_NS1_11comp_targetILNS1_3genE4ELNS1_11target_archE910ELNS1_3gpuE8ELNS1_3repE0EEENS1_30default_config_static_selectorELNS0_4arch9wavefront6targetE1EEEvT1_ ; -- Begin function _ZN7rocprim17ROCPRIM_400000_NS6detail17trampoline_kernelINS0_14default_configENS1_25partition_config_selectorILNS1_17partition_subalgoE2EiNS0_10empty_typeEbEEZZNS1_14partition_implILS5_2ELb0ES3_jN6thrust23THRUST_200600_302600_NS6detail15normal_iteratorINSA_7pointerIiNSA_11hip_rocprim3tagENSA_11use_defaultESG_EEEEPS6_NSA_18transform_iteratorI10is_orderedNSA_12zip_iteratorINSA_5tupleINSC_INSA_10device_ptrIiEEEESQ_NSA_9null_typeESR_SR_SR_SR_SR_SR_SR_EEEESG_SG_EENS0_5tupleIJPiSJ_EEENSV_IJSJ_SJ_EEES6_PlJS6_EEE10hipError_tPvRmT3_T4_T5_T6_T7_T9_mT8_P12ihipStream_tbDpT10_ENKUlT_T0_E_clISt17integral_constantIbLb0EES1I_IbLb1EEEEDaS1E_S1F_EUlS1E_E_NS1_11comp_targetILNS1_3genE4ELNS1_11target_archE910ELNS1_3gpuE8ELNS1_3repE0EEENS1_30default_config_static_selectorELNS0_4arch9wavefront6targetE1EEEvT1_
	.globl	_ZN7rocprim17ROCPRIM_400000_NS6detail17trampoline_kernelINS0_14default_configENS1_25partition_config_selectorILNS1_17partition_subalgoE2EiNS0_10empty_typeEbEEZZNS1_14partition_implILS5_2ELb0ES3_jN6thrust23THRUST_200600_302600_NS6detail15normal_iteratorINSA_7pointerIiNSA_11hip_rocprim3tagENSA_11use_defaultESG_EEEEPS6_NSA_18transform_iteratorI10is_orderedNSA_12zip_iteratorINSA_5tupleINSC_INSA_10device_ptrIiEEEESQ_NSA_9null_typeESR_SR_SR_SR_SR_SR_SR_EEEESG_SG_EENS0_5tupleIJPiSJ_EEENSV_IJSJ_SJ_EEES6_PlJS6_EEE10hipError_tPvRmT3_T4_T5_T6_T7_T9_mT8_P12ihipStream_tbDpT10_ENKUlT_T0_E_clISt17integral_constantIbLb0EES1I_IbLb1EEEEDaS1E_S1F_EUlS1E_E_NS1_11comp_targetILNS1_3genE4ELNS1_11target_archE910ELNS1_3gpuE8ELNS1_3repE0EEENS1_30default_config_static_selectorELNS0_4arch9wavefront6targetE1EEEvT1_
	.p2align	8
	.type	_ZN7rocprim17ROCPRIM_400000_NS6detail17trampoline_kernelINS0_14default_configENS1_25partition_config_selectorILNS1_17partition_subalgoE2EiNS0_10empty_typeEbEEZZNS1_14partition_implILS5_2ELb0ES3_jN6thrust23THRUST_200600_302600_NS6detail15normal_iteratorINSA_7pointerIiNSA_11hip_rocprim3tagENSA_11use_defaultESG_EEEEPS6_NSA_18transform_iteratorI10is_orderedNSA_12zip_iteratorINSA_5tupleINSC_INSA_10device_ptrIiEEEESQ_NSA_9null_typeESR_SR_SR_SR_SR_SR_SR_EEEESG_SG_EENS0_5tupleIJPiSJ_EEENSV_IJSJ_SJ_EEES6_PlJS6_EEE10hipError_tPvRmT3_T4_T5_T6_T7_T9_mT8_P12ihipStream_tbDpT10_ENKUlT_T0_E_clISt17integral_constantIbLb0EES1I_IbLb1EEEEDaS1E_S1F_EUlS1E_E_NS1_11comp_targetILNS1_3genE4ELNS1_11target_archE910ELNS1_3gpuE8ELNS1_3repE0EEENS1_30default_config_static_selectorELNS0_4arch9wavefront6targetE1EEEvT1_,@function
_ZN7rocprim17ROCPRIM_400000_NS6detail17trampoline_kernelINS0_14default_configENS1_25partition_config_selectorILNS1_17partition_subalgoE2EiNS0_10empty_typeEbEEZZNS1_14partition_implILS5_2ELb0ES3_jN6thrust23THRUST_200600_302600_NS6detail15normal_iteratorINSA_7pointerIiNSA_11hip_rocprim3tagENSA_11use_defaultESG_EEEEPS6_NSA_18transform_iteratorI10is_orderedNSA_12zip_iteratorINSA_5tupleINSC_INSA_10device_ptrIiEEEESQ_NSA_9null_typeESR_SR_SR_SR_SR_SR_SR_EEEESG_SG_EENS0_5tupleIJPiSJ_EEENSV_IJSJ_SJ_EEES6_PlJS6_EEE10hipError_tPvRmT3_T4_T5_T6_T7_T9_mT8_P12ihipStream_tbDpT10_ENKUlT_T0_E_clISt17integral_constantIbLb0EES1I_IbLb1EEEEDaS1E_S1F_EUlS1E_E_NS1_11comp_targetILNS1_3genE4ELNS1_11target_archE910ELNS1_3gpuE8ELNS1_3repE0EEENS1_30default_config_static_selectorELNS0_4arch9wavefront6targetE1EEEvT1_: ; @_ZN7rocprim17ROCPRIM_400000_NS6detail17trampoline_kernelINS0_14default_configENS1_25partition_config_selectorILNS1_17partition_subalgoE2EiNS0_10empty_typeEbEEZZNS1_14partition_implILS5_2ELb0ES3_jN6thrust23THRUST_200600_302600_NS6detail15normal_iteratorINSA_7pointerIiNSA_11hip_rocprim3tagENSA_11use_defaultESG_EEEEPS6_NSA_18transform_iteratorI10is_orderedNSA_12zip_iteratorINSA_5tupleINSC_INSA_10device_ptrIiEEEESQ_NSA_9null_typeESR_SR_SR_SR_SR_SR_SR_EEEESG_SG_EENS0_5tupleIJPiSJ_EEENSV_IJSJ_SJ_EEES6_PlJS6_EEE10hipError_tPvRmT3_T4_T5_T6_T7_T9_mT8_P12ihipStream_tbDpT10_ENKUlT_T0_E_clISt17integral_constantIbLb0EES1I_IbLb1EEEEDaS1E_S1F_EUlS1E_E_NS1_11comp_targetILNS1_3genE4ELNS1_11target_archE910ELNS1_3gpuE8ELNS1_3repE0EEENS1_30default_config_static_selectorELNS0_4arch9wavefront6targetE1EEEvT1_
; %bb.0:
	.section	.rodata,"a",@progbits
	.p2align	6, 0x0
	.amdhsa_kernel _ZN7rocprim17ROCPRIM_400000_NS6detail17trampoline_kernelINS0_14default_configENS1_25partition_config_selectorILNS1_17partition_subalgoE2EiNS0_10empty_typeEbEEZZNS1_14partition_implILS5_2ELb0ES3_jN6thrust23THRUST_200600_302600_NS6detail15normal_iteratorINSA_7pointerIiNSA_11hip_rocprim3tagENSA_11use_defaultESG_EEEEPS6_NSA_18transform_iteratorI10is_orderedNSA_12zip_iteratorINSA_5tupleINSC_INSA_10device_ptrIiEEEESQ_NSA_9null_typeESR_SR_SR_SR_SR_SR_SR_EEEESG_SG_EENS0_5tupleIJPiSJ_EEENSV_IJSJ_SJ_EEES6_PlJS6_EEE10hipError_tPvRmT3_T4_T5_T6_T7_T9_mT8_P12ihipStream_tbDpT10_ENKUlT_T0_E_clISt17integral_constantIbLb0EES1I_IbLb1EEEEDaS1E_S1F_EUlS1E_E_NS1_11comp_targetILNS1_3genE4ELNS1_11target_archE910ELNS1_3gpuE8ELNS1_3repE0EEENS1_30default_config_static_selectorELNS0_4arch9wavefront6targetE1EEEvT1_
		.amdhsa_group_segment_fixed_size 0
		.amdhsa_private_segment_fixed_size 0
		.amdhsa_kernarg_size 152
		.amdhsa_user_sgpr_count 2
		.amdhsa_user_sgpr_dispatch_ptr 0
		.amdhsa_user_sgpr_queue_ptr 0
		.amdhsa_user_sgpr_kernarg_segment_ptr 1
		.amdhsa_user_sgpr_dispatch_id 0
		.amdhsa_user_sgpr_kernarg_preload_length 0
		.amdhsa_user_sgpr_kernarg_preload_offset 0
		.amdhsa_user_sgpr_private_segment_size 0
		.amdhsa_uses_dynamic_stack 0
		.amdhsa_enable_private_segment 0
		.amdhsa_system_sgpr_workgroup_id_x 1
		.amdhsa_system_sgpr_workgroup_id_y 0
		.amdhsa_system_sgpr_workgroup_id_z 0
		.amdhsa_system_sgpr_workgroup_info 0
		.amdhsa_system_vgpr_workitem_id 0
		.amdhsa_next_free_vgpr 1
		.amdhsa_next_free_sgpr 0
		.amdhsa_accum_offset 4
		.amdhsa_reserve_vcc 0
		.amdhsa_float_round_mode_32 0
		.amdhsa_float_round_mode_16_64 0
		.amdhsa_float_denorm_mode_32 3
		.amdhsa_float_denorm_mode_16_64 3
		.amdhsa_dx10_clamp 1
		.amdhsa_ieee_mode 1
		.amdhsa_fp16_overflow 0
		.amdhsa_tg_split 0
		.amdhsa_exception_fp_ieee_invalid_op 0
		.amdhsa_exception_fp_denorm_src 0
		.amdhsa_exception_fp_ieee_div_zero 0
		.amdhsa_exception_fp_ieee_overflow 0
		.amdhsa_exception_fp_ieee_underflow 0
		.amdhsa_exception_fp_ieee_inexact 0
		.amdhsa_exception_int_div_zero 0
	.end_amdhsa_kernel
	.section	.text._ZN7rocprim17ROCPRIM_400000_NS6detail17trampoline_kernelINS0_14default_configENS1_25partition_config_selectorILNS1_17partition_subalgoE2EiNS0_10empty_typeEbEEZZNS1_14partition_implILS5_2ELb0ES3_jN6thrust23THRUST_200600_302600_NS6detail15normal_iteratorINSA_7pointerIiNSA_11hip_rocprim3tagENSA_11use_defaultESG_EEEEPS6_NSA_18transform_iteratorI10is_orderedNSA_12zip_iteratorINSA_5tupleINSC_INSA_10device_ptrIiEEEESQ_NSA_9null_typeESR_SR_SR_SR_SR_SR_SR_EEEESG_SG_EENS0_5tupleIJPiSJ_EEENSV_IJSJ_SJ_EEES6_PlJS6_EEE10hipError_tPvRmT3_T4_T5_T6_T7_T9_mT8_P12ihipStream_tbDpT10_ENKUlT_T0_E_clISt17integral_constantIbLb0EES1I_IbLb1EEEEDaS1E_S1F_EUlS1E_E_NS1_11comp_targetILNS1_3genE4ELNS1_11target_archE910ELNS1_3gpuE8ELNS1_3repE0EEENS1_30default_config_static_selectorELNS0_4arch9wavefront6targetE1EEEvT1_,"axG",@progbits,_ZN7rocprim17ROCPRIM_400000_NS6detail17trampoline_kernelINS0_14default_configENS1_25partition_config_selectorILNS1_17partition_subalgoE2EiNS0_10empty_typeEbEEZZNS1_14partition_implILS5_2ELb0ES3_jN6thrust23THRUST_200600_302600_NS6detail15normal_iteratorINSA_7pointerIiNSA_11hip_rocprim3tagENSA_11use_defaultESG_EEEEPS6_NSA_18transform_iteratorI10is_orderedNSA_12zip_iteratorINSA_5tupleINSC_INSA_10device_ptrIiEEEESQ_NSA_9null_typeESR_SR_SR_SR_SR_SR_SR_EEEESG_SG_EENS0_5tupleIJPiSJ_EEENSV_IJSJ_SJ_EEES6_PlJS6_EEE10hipError_tPvRmT3_T4_T5_T6_T7_T9_mT8_P12ihipStream_tbDpT10_ENKUlT_T0_E_clISt17integral_constantIbLb0EES1I_IbLb1EEEEDaS1E_S1F_EUlS1E_E_NS1_11comp_targetILNS1_3genE4ELNS1_11target_archE910ELNS1_3gpuE8ELNS1_3repE0EEENS1_30default_config_static_selectorELNS0_4arch9wavefront6targetE1EEEvT1_,comdat
.Lfunc_end3620:
	.size	_ZN7rocprim17ROCPRIM_400000_NS6detail17trampoline_kernelINS0_14default_configENS1_25partition_config_selectorILNS1_17partition_subalgoE2EiNS0_10empty_typeEbEEZZNS1_14partition_implILS5_2ELb0ES3_jN6thrust23THRUST_200600_302600_NS6detail15normal_iteratorINSA_7pointerIiNSA_11hip_rocprim3tagENSA_11use_defaultESG_EEEEPS6_NSA_18transform_iteratorI10is_orderedNSA_12zip_iteratorINSA_5tupleINSC_INSA_10device_ptrIiEEEESQ_NSA_9null_typeESR_SR_SR_SR_SR_SR_SR_EEEESG_SG_EENS0_5tupleIJPiSJ_EEENSV_IJSJ_SJ_EEES6_PlJS6_EEE10hipError_tPvRmT3_T4_T5_T6_T7_T9_mT8_P12ihipStream_tbDpT10_ENKUlT_T0_E_clISt17integral_constantIbLb0EES1I_IbLb1EEEEDaS1E_S1F_EUlS1E_E_NS1_11comp_targetILNS1_3genE4ELNS1_11target_archE910ELNS1_3gpuE8ELNS1_3repE0EEENS1_30default_config_static_selectorELNS0_4arch9wavefront6targetE1EEEvT1_, .Lfunc_end3620-_ZN7rocprim17ROCPRIM_400000_NS6detail17trampoline_kernelINS0_14default_configENS1_25partition_config_selectorILNS1_17partition_subalgoE2EiNS0_10empty_typeEbEEZZNS1_14partition_implILS5_2ELb0ES3_jN6thrust23THRUST_200600_302600_NS6detail15normal_iteratorINSA_7pointerIiNSA_11hip_rocprim3tagENSA_11use_defaultESG_EEEEPS6_NSA_18transform_iteratorI10is_orderedNSA_12zip_iteratorINSA_5tupleINSC_INSA_10device_ptrIiEEEESQ_NSA_9null_typeESR_SR_SR_SR_SR_SR_SR_EEEESG_SG_EENS0_5tupleIJPiSJ_EEENSV_IJSJ_SJ_EEES6_PlJS6_EEE10hipError_tPvRmT3_T4_T5_T6_T7_T9_mT8_P12ihipStream_tbDpT10_ENKUlT_T0_E_clISt17integral_constantIbLb0EES1I_IbLb1EEEEDaS1E_S1F_EUlS1E_E_NS1_11comp_targetILNS1_3genE4ELNS1_11target_archE910ELNS1_3gpuE8ELNS1_3repE0EEENS1_30default_config_static_selectorELNS0_4arch9wavefront6targetE1EEEvT1_
                                        ; -- End function
	.section	.AMDGPU.csdata,"",@progbits
; Kernel info:
; codeLenInByte = 0
; NumSgprs: 6
; NumVgprs: 0
; NumAgprs: 0
; TotalNumVgprs: 0
; ScratchSize: 0
; MemoryBound: 0
; FloatMode: 240
; IeeeMode: 1
; LDSByteSize: 0 bytes/workgroup (compile time only)
; SGPRBlocks: 0
; VGPRBlocks: 0
; NumSGPRsForWavesPerEU: 6
; NumVGPRsForWavesPerEU: 1
; AccumOffset: 4
; Occupancy: 8
; WaveLimiterHint : 0
; COMPUTE_PGM_RSRC2:SCRATCH_EN: 0
; COMPUTE_PGM_RSRC2:USER_SGPR: 2
; COMPUTE_PGM_RSRC2:TRAP_HANDLER: 0
; COMPUTE_PGM_RSRC2:TGID_X_EN: 1
; COMPUTE_PGM_RSRC2:TGID_Y_EN: 0
; COMPUTE_PGM_RSRC2:TGID_Z_EN: 0
; COMPUTE_PGM_RSRC2:TIDIG_COMP_CNT: 0
; COMPUTE_PGM_RSRC3_GFX90A:ACCUM_OFFSET: 0
; COMPUTE_PGM_RSRC3_GFX90A:TG_SPLIT: 0
	.section	.text._ZN7rocprim17ROCPRIM_400000_NS6detail17trampoline_kernelINS0_14default_configENS1_25partition_config_selectorILNS1_17partition_subalgoE2EiNS0_10empty_typeEbEEZZNS1_14partition_implILS5_2ELb0ES3_jN6thrust23THRUST_200600_302600_NS6detail15normal_iteratorINSA_7pointerIiNSA_11hip_rocprim3tagENSA_11use_defaultESG_EEEEPS6_NSA_18transform_iteratorI10is_orderedNSA_12zip_iteratorINSA_5tupleINSC_INSA_10device_ptrIiEEEESQ_NSA_9null_typeESR_SR_SR_SR_SR_SR_SR_EEEESG_SG_EENS0_5tupleIJPiSJ_EEENSV_IJSJ_SJ_EEES6_PlJS6_EEE10hipError_tPvRmT3_T4_T5_T6_T7_T9_mT8_P12ihipStream_tbDpT10_ENKUlT_T0_E_clISt17integral_constantIbLb0EES1I_IbLb1EEEEDaS1E_S1F_EUlS1E_E_NS1_11comp_targetILNS1_3genE3ELNS1_11target_archE908ELNS1_3gpuE7ELNS1_3repE0EEENS1_30default_config_static_selectorELNS0_4arch9wavefront6targetE1EEEvT1_,"axG",@progbits,_ZN7rocprim17ROCPRIM_400000_NS6detail17trampoline_kernelINS0_14default_configENS1_25partition_config_selectorILNS1_17partition_subalgoE2EiNS0_10empty_typeEbEEZZNS1_14partition_implILS5_2ELb0ES3_jN6thrust23THRUST_200600_302600_NS6detail15normal_iteratorINSA_7pointerIiNSA_11hip_rocprim3tagENSA_11use_defaultESG_EEEEPS6_NSA_18transform_iteratorI10is_orderedNSA_12zip_iteratorINSA_5tupleINSC_INSA_10device_ptrIiEEEESQ_NSA_9null_typeESR_SR_SR_SR_SR_SR_SR_EEEESG_SG_EENS0_5tupleIJPiSJ_EEENSV_IJSJ_SJ_EEES6_PlJS6_EEE10hipError_tPvRmT3_T4_T5_T6_T7_T9_mT8_P12ihipStream_tbDpT10_ENKUlT_T0_E_clISt17integral_constantIbLb0EES1I_IbLb1EEEEDaS1E_S1F_EUlS1E_E_NS1_11comp_targetILNS1_3genE3ELNS1_11target_archE908ELNS1_3gpuE7ELNS1_3repE0EEENS1_30default_config_static_selectorELNS0_4arch9wavefront6targetE1EEEvT1_,comdat
	.protected	_ZN7rocprim17ROCPRIM_400000_NS6detail17trampoline_kernelINS0_14default_configENS1_25partition_config_selectorILNS1_17partition_subalgoE2EiNS0_10empty_typeEbEEZZNS1_14partition_implILS5_2ELb0ES3_jN6thrust23THRUST_200600_302600_NS6detail15normal_iteratorINSA_7pointerIiNSA_11hip_rocprim3tagENSA_11use_defaultESG_EEEEPS6_NSA_18transform_iteratorI10is_orderedNSA_12zip_iteratorINSA_5tupleINSC_INSA_10device_ptrIiEEEESQ_NSA_9null_typeESR_SR_SR_SR_SR_SR_SR_EEEESG_SG_EENS0_5tupleIJPiSJ_EEENSV_IJSJ_SJ_EEES6_PlJS6_EEE10hipError_tPvRmT3_T4_T5_T6_T7_T9_mT8_P12ihipStream_tbDpT10_ENKUlT_T0_E_clISt17integral_constantIbLb0EES1I_IbLb1EEEEDaS1E_S1F_EUlS1E_E_NS1_11comp_targetILNS1_3genE3ELNS1_11target_archE908ELNS1_3gpuE7ELNS1_3repE0EEENS1_30default_config_static_selectorELNS0_4arch9wavefront6targetE1EEEvT1_ ; -- Begin function _ZN7rocprim17ROCPRIM_400000_NS6detail17trampoline_kernelINS0_14default_configENS1_25partition_config_selectorILNS1_17partition_subalgoE2EiNS0_10empty_typeEbEEZZNS1_14partition_implILS5_2ELb0ES3_jN6thrust23THRUST_200600_302600_NS6detail15normal_iteratorINSA_7pointerIiNSA_11hip_rocprim3tagENSA_11use_defaultESG_EEEEPS6_NSA_18transform_iteratorI10is_orderedNSA_12zip_iteratorINSA_5tupleINSC_INSA_10device_ptrIiEEEESQ_NSA_9null_typeESR_SR_SR_SR_SR_SR_SR_EEEESG_SG_EENS0_5tupleIJPiSJ_EEENSV_IJSJ_SJ_EEES6_PlJS6_EEE10hipError_tPvRmT3_T4_T5_T6_T7_T9_mT8_P12ihipStream_tbDpT10_ENKUlT_T0_E_clISt17integral_constantIbLb0EES1I_IbLb1EEEEDaS1E_S1F_EUlS1E_E_NS1_11comp_targetILNS1_3genE3ELNS1_11target_archE908ELNS1_3gpuE7ELNS1_3repE0EEENS1_30default_config_static_selectorELNS0_4arch9wavefront6targetE1EEEvT1_
	.globl	_ZN7rocprim17ROCPRIM_400000_NS6detail17trampoline_kernelINS0_14default_configENS1_25partition_config_selectorILNS1_17partition_subalgoE2EiNS0_10empty_typeEbEEZZNS1_14partition_implILS5_2ELb0ES3_jN6thrust23THRUST_200600_302600_NS6detail15normal_iteratorINSA_7pointerIiNSA_11hip_rocprim3tagENSA_11use_defaultESG_EEEEPS6_NSA_18transform_iteratorI10is_orderedNSA_12zip_iteratorINSA_5tupleINSC_INSA_10device_ptrIiEEEESQ_NSA_9null_typeESR_SR_SR_SR_SR_SR_SR_EEEESG_SG_EENS0_5tupleIJPiSJ_EEENSV_IJSJ_SJ_EEES6_PlJS6_EEE10hipError_tPvRmT3_T4_T5_T6_T7_T9_mT8_P12ihipStream_tbDpT10_ENKUlT_T0_E_clISt17integral_constantIbLb0EES1I_IbLb1EEEEDaS1E_S1F_EUlS1E_E_NS1_11comp_targetILNS1_3genE3ELNS1_11target_archE908ELNS1_3gpuE7ELNS1_3repE0EEENS1_30default_config_static_selectorELNS0_4arch9wavefront6targetE1EEEvT1_
	.p2align	8
	.type	_ZN7rocprim17ROCPRIM_400000_NS6detail17trampoline_kernelINS0_14default_configENS1_25partition_config_selectorILNS1_17partition_subalgoE2EiNS0_10empty_typeEbEEZZNS1_14partition_implILS5_2ELb0ES3_jN6thrust23THRUST_200600_302600_NS6detail15normal_iteratorINSA_7pointerIiNSA_11hip_rocprim3tagENSA_11use_defaultESG_EEEEPS6_NSA_18transform_iteratorI10is_orderedNSA_12zip_iteratorINSA_5tupleINSC_INSA_10device_ptrIiEEEESQ_NSA_9null_typeESR_SR_SR_SR_SR_SR_SR_EEEESG_SG_EENS0_5tupleIJPiSJ_EEENSV_IJSJ_SJ_EEES6_PlJS6_EEE10hipError_tPvRmT3_T4_T5_T6_T7_T9_mT8_P12ihipStream_tbDpT10_ENKUlT_T0_E_clISt17integral_constantIbLb0EES1I_IbLb1EEEEDaS1E_S1F_EUlS1E_E_NS1_11comp_targetILNS1_3genE3ELNS1_11target_archE908ELNS1_3gpuE7ELNS1_3repE0EEENS1_30default_config_static_selectorELNS0_4arch9wavefront6targetE1EEEvT1_,@function
_ZN7rocprim17ROCPRIM_400000_NS6detail17trampoline_kernelINS0_14default_configENS1_25partition_config_selectorILNS1_17partition_subalgoE2EiNS0_10empty_typeEbEEZZNS1_14partition_implILS5_2ELb0ES3_jN6thrust23THRUST_200600_302600_NS6detail15normal_iteratorINSA_7pointerIiNSA_11hip_rocprim3tagENSA_11use_defaultESG_EEEEPS6_NSA_18transform_iteratorI10is_orderedNSA_12zip_iteratorINSA_5tupleINSC_INSA_10device_ptrIiEEEESQ_NSA_9null_typeESR_SR_SR_SR_SR_SR_SR_EEEESG_SG_EENS0_5tupleIJPiSJ_EEENSV_IJSJ_SJ_EEES6_PlJS6_EEE10hipError_tPvRmT3_T4_T5_T6_T7_T9_mT8_P12ihipStream_tbDpT10_ENKUlT_T0_E_clISt17integral_constantIbLb0EES1I_IbLb1EEEEDaS1E_S1F_EUlS1E_E_NS1_11comp_targetILNS1_3genE3ELNS1_11target_archE908ELNS1_3gpuE7ELNS1_3repE0EEENS1_30default_config_static_selectorELNS0_4arch9wavefront6targetE1EEEvT1_: ; @_ZN7rocprim17ROCPRIM_400000_NS6detail17trampoline_kernelINS0_14default_configENS1_25partition_config_selectorILNS1_17partition_subalgoE2EiNS0_10empty_typeEbEEZZNS1_14partition_implILS5_2ELb0ES3_jN6thrust23THRUST_200600_302600_NS6detail15normal_iteratorINSA_7pointerIiNSA_11hip_rocprim3tagENSA_11use_defaultESG_EEEEPS6_NSA_18transform_iteratorI10is_orderedNSA_12zip_iteratorINSA_5tupleINSC_INSA_10device_ptrIiEEEESQ_NSA_9null_typeESR_SR_SR_SR_SR_SR_SR_EEEESG_SG_EENS0_5tupleIJPiSJ_EEENSV_IJSJ_SJ_EEES6_PlJS6_EEE10hipError_tPvRmT3_T4_T5_T6_T7_T9_mT8_P12ihipStream_tbDpT10_ENKUlT_T0_E_clISt17integral_constantIbLb0EES1I_IbLb1EEEEDaS1E_S1F_EUlS1E_E_NS1_11comp_targetILNS1_3genE3ELNS1_11target_archE908ELNS1_3gpuE7ELNS1_3repE0EEENS1_30default_config_static_selectorELNS0_4arch9wavefront6targetE1EEEvT1_
; %bb.0:
	.section	.rodata,"a",@progbits
	.p2align	6, 0x0
	.amdhsa_kernel _ZN7rocprim17ROCPRIM_400000_NS6detail17trampoline_kernelINS0_14default_configENS1_25partition_config_selectorILNS1_17partition_subalgoE2EiNS0_10empty_typeEbEEZZNS1_14partition_implILS5_2ELb0ES3_jN6thrust23THRUST_200600_302600_NS6detail15normal_iteratorINSA_7pointerIiNSA_11hip_rocprim3tagENSA_11use_defaultESG_EEEEPS6_NSA_18transform_iteratorI10is_orderedNSA_12zip_iteratorINSA_5tupleINSC_INSA_10device_ptrIiEEEESQ_NSA_9null_typeESR_SR_SR_SR_SR_SR_SR_EEEESG_SG_EENS0_5tupleIJPiSJ_EEENSV_IJSJ_SJ_EEES6_PlJS6_EEE10hipError_tPvRmT3_T4_T5_T6_T7_T9_mT8_P12ihipStream_tbDpT10_ENKUlT_T0_E_clISt17integral_constantIbLb0EES1I_IbLb1EEEEDaS1E_S1F_EUlS1E_E_NS1_11comp_targetILNS1_3genE3ELNS1_11target_archE908ELNS1_3gpuE7ELNS1_3repE0EEENS1_30default_config_static_selectorELNS0_4arch9wavefront6targetE1EEEvT1_
		.amdhsa_group_segment_fixed_size 0
		.amdhsa_private_segment_fixed_size 0
		.amdhsa_kernarg_size 152
		.amdhsa_user_sgpr_count 2
		.amdhsa_user_sgpr_dispatch_ptr 0
		.amdhsa_user_sgpr_queue_ptr 0
		.amdhsa_user_sgpr_kernarg_segment_ptr 1
		.amdhsa_user_sgpr_dispatch_id 0
		.amdhsa_user_sgpr_kernarg_preload_length 0
		.amdhsa_user_sgpr_kernarg_preload_offset 0
		.amdhsa_user_sgpr_private_segment_size 0
		.amdhsa_uses_dynamic_stack 0
		.amdhsa_enable_private_segment 0
		.amdhsa_system_sgpr_workgroup_id_x 1
		.amdhsa_system_sgpr_workgroup_id_y 0
		.amdhsa_system_sgpr_workgroup_id_z 0
		.amdhsa_system_sgpr_workgroup_info 0
		.amdhsa_system_vgpr_workitem_id 0
		.amdhsa_next_free_vgpr 1
		.amdhsa_next_free_sgpr 0
		.amdhsa_accum_offset 4
		.amdhsa_reserve_vcc 0
		.amdhsa_float_round_mode_32 0
		.amdhsa_float_round_mode_16_64 0
		.amdhsa_float_denorm_mode_32 3
		.amdhsa_float_denorm_mode_16_64 3
		.amdhsa_dx10_clamp 1
		.amdhsa_ieee_mode 1
		.amdhsa_fp16_overflow 0
		.amdhsa_tg_split 0
		.amdhsa_exception_fp_ieee_invalid_op 0
		.amdhsa_exception_fp_denorm_src 0
		.amdhsa_exception_fp_ieee_div_zero 0
		.amdhsa_exception_fp_ieee_overflow 0
		.amdhsa_exception_fp_ieee_underflow 0
		.amdhsa_exception_fp_ieee_inexact 0
		.amdhsa_exception_int_div_zero 0
	.end_amdhsa_kernel
	.section	.text._ZN7rocprim17ROCPRIM_400000_NS6detail17trampoline_kernelINS0_14default_configENS1_25partition_config_selectorILNS1_17partition_subalgoE2EiNS0_10empty_typeEbEEZZNS1_14partition_implILS5_2ELb0ES3_jN6thrust23THRUST_200600_302600_NS6detail15normal_iteratorINSA_7pointerIiNSA_11hip_rocprim3tagENSA_11use_defaultESG_EEEEPS6_NSA_18transform_iteratorI10is_orderedNSA_12zip_iteratorINSA_5tupleINSC_INSA_10device_ptrIiEEEESQ_NSA_9null_typeESR_SR_SR_SR_SR_SR_SR_EEEESG_SG_EENS0_5tupleIJPiSJ_EEENSV_IJSJ_SJ_EEES6_PlJS6_EEE10hipError_tPvRmT3_T4_T5_T6_T7_T9_mT8_P12ihipStream_tbDpT10_ENKUlT_T0_E_clISt17integral_constantIbLb0EES1I_IbLb1EEEEDaS1E_S1F_EUlS1E_E_NS1_11comp_targetILNS1_3genE3ELNS1_11target_archE908ELNS1_3gpuE7ELNS1_3repE0EEENS1_30default_config_static_selectorELNS0_4arch9wavefront6targetE1EEEvT1_,"axG",@progbits,_ZN7rocprim17ROCPRIM_400000_NS6detail17trampoline_kernelINS0_14default_configENS1_25partition_config_selectorILNS1_17partition_subalgoE2EiNS0_10empty_typeEbEEZZNS1_14partition_implILS5_2ELb0ES3_jN6thrust23THRUST_200600_302600_NS6detail15normal_iteratorINSA_7pointerIiNSA_11hip_rocprim3tagENSA_11use_defaultESG_EEEEPS6_NSA_18transform_iteratorI10is_orderedNSA_12zip_iteratorINSA_5tupleINSC_INSA_10device_ptrIiEEEESQ_NSA_9null_typeESR_SR_SR_SR_SR_SR_SR_EEEESG_SG_EENS0_5tupleIJPiSJ_EEENSV_IJSJ_SJ_EEES6_PlJS6_EEE10hipError_tPvRmT3_T4_T5_T6_T7_T9_mT8_P12ihipStream_tbDpT10_ENKUlT_T0_E_clISt17integral_constantIbLb0EES1I_IbLb1EEEEDaS1E_S1F_EUlS1E_E_NS1_11comp_targetILNS1_3genE3ELNS1_11target_archE908ELNS1_3gpuE7ELNS1_3repE0EEENS1_30default_config_static_selectorELNS0_4arch9wavefront6targetE1EEEvT1_,comdat
.Lfunc_end3621:
	.size	_ZN7rocprim17ROCPRIM_400000_NS6detail17trampoline_kernelINS0_14default_configENS1_25partition_config_selectorILNS1_17partition_subalgoE2EiNS0_10empty_typeEbEEZZNS1_14partition_implILS5_2ELb0ES3_jN6thrust23THRUST_200600_302600_NS6detail15normal_iteratorINSA_7pointerIiNSA_11hip_rocprim3tagENSA_11use_defaultESG_EEEEPS6_NSA_18transform_iteratorI10is_orderedNSA_12zip_iteratorINSA_5tupleINSC_INSA_10device_ptrIiEEEESQ_NSA_9null_typeESR_SR_SR_SR_SR_SR_SR_EEEESG_SG_EENS0_5tupleIJPiSJ_EEENSV_IJSJ_SJ_EEES6_PlJS6_EEE10hipError_tPvRmT3_T4_T5_T6_T7_T9_mT8_P12ihipStream_tbDpT10_ENKUlT_T0_E_clISt17integral_constantIbLb0EES1I_IbLb1EEEEDaS1E_S1F_EUlS1E_E_NS1_11comp_targetILNS1_3genE3ELNS1_11target_archE908ELNS1_3gpuE7ELNS1_3repE0EEENS1_30default_config_static_selectorELNS0_4arch9wavefront6targetE1EEEvT1_, .Lfunc_end3621-_ZN7rocprim17ROCPRIM_400000_NS6detail17trampoline_kernelINS0_14default_configENS1_25partition_config_selectorILNS1_17partition_subalgoE2EiNS0_10empty_typeEbEEZZNS1_14partition_implILS5_2ELb0ES3_jN6thrust23THRUST_200600_302600_NS6detail15normal_iteratorINSA_7pointerIiNSA_11hip_rocprim3tagENSA_11use_defaultESG_EEEEPS6_NSA_18transform_iteratorI10is_orderedNSA_12zip_iteratorINSA_5tupleINSC_INSA_10device_ptrIiEEEESQ_NSA_9null_typeESR_SR_SR_SR_SR_SR_SR_EEEESG_SG_EENS0_5tupleIJPiSJ_EEENSV_IJSJ_SJ_EEES6_PlJS6_EEE10hipError_tPvRmT3_T4_T5_T6_T7_T9_mT8_P12ihipStream_tbDpT10_ENKUlT_T0_E_clISt17integral_constantIbLb0EES1I_IbLb1EEEEDaS1E_S1F_EUlS1E_E_NS1_11comp_targetILNS1_3genE3ELNS1_11target_archE908ELNS1_3gpuE7ELNS1_3repE0EEENS1_30default_config_static_selectorELNS0_4arch9wavefront6targetE1EEEvT1_
                                        ; -- End function
	.section	.AMDGPU.csdata,"",@progbits
; Kernel info:
; codeLenInByte = 0
; NumSgprs: 6
; NumVgprs: 0
; NumAgprs: 0
; TotalNumVgprs: 0
; ScratchSize: 0
; MemoryBound: 0
; FloatMode: 240
; IeeeMode: 1
; LDSByteSize: 0 bytes/workgroup (compile time only)
; SGPRBlocks: 0
; VGPRBlocks: 0
; NumSGPRsForWavesPerEU: 6
; NumVGPRsForWavesPerEU: 1
; AccumOffset: 4
; Occupancy: 8
; WaveLimiterHint : 0
; COMPUTE_PGM_RSRC2:SCRATCH_EN: 0
; COMPUTE_PGM_RSRC2:USER_SGPR: 2
; COMPUTE_PGM_RSRC2:TRAP_HANDLER: 0
; COMPUTE_PGM_RSRC2:TGID_X_EN: 1
; COMPUTE_PGM_RSRC2:TGID_Y_EN: 0
; COMPUTE_PGM_RSRC2:TGID_Z_EN: 0
; COMPUTE_PGM_RSRC2:TIDIG_COMP_CNT: 0
; COMPUTE_PGM_RSRC3_GFX90A:ACCUM_OFFSET: 0
; COMPUTE_PGM_RSRC3_GFX90A:TG_SPLIT: 0
	.section	.text._ZN7rocprim17ROCPRIM_400000_NS6detail17trampoline_kernelINS0_14default_configENS1_25partition_config_selectorILNS1_17partition_subalgoE2EiNS0_10empty_typeEbEEZZNS1_14partition_implILS5_2ELb0ES3_jN6thrust23THRUST_200600_302600_NS6detail15normal_iteratorINSA_7pointerIiNSA_11hip_rocprim3tagENSA_11use_defaultESG_EEEEPS6_NSA_18transform_iteratorI10is_orderedNSA_12zip_iteratorINSA_5tupleINSC_INSA_10device_ptrIiEEEESQ_NSA_9null_typeESR_SR_SR_SR_SR_SR_SR_EEEESG_SG_EENS0_5tupleIJPiSJ_EEENSV_IJSJ_SJ_EEES6_PlJS6_EEE10hipError_tPvRmT3_T4_T5_T6_T7_T9_mT8_P12ihipStream_tbDpT10_ENKUlT_T0_E_clISt17integral_constantIbLb0EES1I_IbLb1EEEEDaS1E_S1F_EUlS1E_E_NS1_11comp_targetILNS1_3genE2ELNS1_11target_archE906ELNS1_3gpuE6ELNS1_3repE0EEENS1_30default_config_static_selectorELNS0_4arch9wavefront6targetE1EEEvT1_,"axG",@progbits,_ZN7rocprim17ROCPRIM_400000_NS6detail17trampoline_kernelINS0_14default_configENS1_25partition_config_selectorILNS1_17partition_subalgoE2EiNS0_10empty_typeEbEEZZNS1_14partition_implILS5_2ELb0ES3_jN6thrust23THRUST_200600_302600_NS6detail15normal_iteratorINSA_7pointerIiNSA_11hip_rocprim3tagENSA_11use_defaultESG_EEEEPS6_NSA_18transform_iteratorI10is_orderedNSA_12zip_iteratorINSA_5tupleINSC_INSA_10device_ptrIiEEEESQ_NSA_9null_typeESR_SR_SR_SR_SR_SR_SR_EEEESG_SG_EENS0_5tupleIJPiSJ_EEENSV_IJSJ_SJ_EEES6_PlJS6_EEE10hipError_tPvRmT3_T4_T5_T6_T7_T9_mT8_P12ihipStream_tbDpT10_ENKUlT_T0_E_clISt17integral_constantIbLb0EES1I_IbLb1EEEEDaS1E_S1F_EUlS1E_E_NS1_11comp_targetILNS1_3genE2ELNS1_11target_archE906ELNS1_3gpuE6ELNS1_3repE0EEENS1_30default_config_static_selectorELNS0_4arch9wavefront6targetE1EEEvT1_,comdat
	.protected	_ZN7rocprim17ROCPRIM_400000_NS6detail17trampoline_kernelINS0_14default_configENS1_25partition_config_selectorILNS1_17partition_subalgoE2EiNS0_10empty_typeEbEEZZNS1_14partition_implILS5_2ELb0ES3_jN6thrust23THRUST_200600_302600_NS6detail15normal_iteratorINSA_7pointerIiNSA_11hip_rocprim3tagENSA_11use_defaultESG_EEEEPS6_NSA_18transform_iteratorI10is_orderedNSA_12zip_iteratorINSA_5tupleINSC_INSA_10device_ptrIiEEEESQ_NSA_9null_typeESR_SR_SR_SR_SR_SR_SR_EEEESG_SG_EENS0_5tupleIJPiSJ_EEENSV_IJSJ_SJ_EEES6_PlJS6_EEE10hipError_tPvRmT3_T4_T5_T6_T7_T9_mT8_P12ihipStream_tbDpT10_ENKUlT_T0_E_clISt17integral_constantIbLb0EES1I_IbLb1EEEEDaS1E_S1F_EUlS1E_E_NS1_11comp_targetILNS1_3genE2ELNS1_11target_archE906ELNS1_3gpuE6ELNS1_3repE0EEENS1_30default_config_static_selectorELNS0_4arch9wavefront6targetE1EEEvT1_ ; -- Begin function _ZN7rocprim17ROCPRIM_400000_NS6detail17trampoline_kernelINS0_14default_configENS1_25partition_config_selectorILNS1_17partition_subalgoE2EiNS0_10empty_typeEbEEZZNS1_14partition_implILS5_2ELb0ES3_jN6thrust23THRUST_200600_302600_NS6detail15normal_iteratorINSA_7pointerIiNSA_11hip_rocprim3tagENSA_11use_defaultESG_EEEEPS6_NSA_18transform_iteratorI10is_orderedNSA_12zip_iteratorINSA_5tupleINSC_INSA_10device_ptrIiEEEESQ_NSA_9null_typeESR_SR_SR_SR_SR_SR_SR_EEEESG_SG_EENS0_5tupleIJPiSJ_EEENSV_IJSJ_SJ_EEES6_PlJS6_EEE10hipError_tPvRmT3_T4_T5_T6_T7_T9_mT8_P12ihipStream_tbDpT10_ENKUlT_T0_E_clISt17integral_constantIbLb0EES1I_IbLb1EEEEDaS1E_S1F_EUlS1E_E_NS1_11comp_targetILNS1_3genE2ELNS1_11target_archE906ELNS1_3gpuE6ELNS1_3repE0EEENS1_30default_config_static_selectorELNS0_4arch9wavefront6targetE1EEEvT1_
	.globl	_ZN7rocprim17ROCPRIM_400000_NS6detail17trampoline_kernelINS0_14default_configENS1_25partition_config_selectorILNS1_17partition_subalgoE2EiNS0_10empty_typeEbEEZZNS1_14partition_implILS5_2ELb0ES3_jN6thrust23THRUST_200600_302600_NS6detail15normal_iteratorINSA_7pointerIiNSA_11hip_rocprim3tagENSA_11use_defaultESG_EEEEPS6_NSA_18transform_iteratorI10is_orderedNSA_12zip_iteratorINSA_5tupleINSC_INSA_10device_ptrIiEEEESQ_NSA_9null_typeESR_SR_SR_SR_SR_SR_SR_EEEESG_SG_EENS0_5tupleIJPiSJ_EEENSV_IJSJ_SJ_EEES6_PlJS6_EEE10hipError_tPvRmT3_T4_T5_T6_T7_T9_mT8_P12ihipStream_tbDpT10_ENKUlT_T0_E_clISt17integral_constantIbLb0EES1I_IbLb1EEEEDaS1E_S1F_EUlS1E_E_NS1_11comp_targetILNS1_3genE2ELNS1_11target_archE906ELNS1_3gpuE6ELNS1_3repE0EEENS1_30default_config_static_selectorELNS0_4arch9wavefront6targetE1EEEvT1_
	.p2align	8
	.type	_ZN7rocprim17ROCPRIM_400000_NS6detail17trampoline_kernelINS0_14default_configENS1_25partition_config_selectorILNS1_17partition_subalgoE2EiNS0_10empty_typeEbEEZZNS1_14partition_implILS5_2ELb0ES3_jN6thrust23THRUST_200600_302600_NS6detail15normal_iteratorINSA_7pointerIiNSA_11hip_rocprim3tagENSA_11use_defaultESG_EEEEPS6_NSA_18transform_iteratorI10is_orderedNSA_12zip_iteratorINSA_5tupleINSC_INSA_10device_ptrIiEEEESQ_NSA_9null_typeESR_SR_SR_SR_SR_SR_SR_EEEESG_SG_EENS0_5tupleIJPiSJ_EEENSV_IJSJ_SJ_EEES6_PlJS6_EEE10hipError_tPvRmT3_T4_T5_T6_T7_T9_mT8_P12ihipStream_tbDpT10_ENKUlT_T0_E_clISt17integral_constantIbLb0EES1I_IbLb1EEEEDaS1E_S1F_EUlS1E_E_NS1_11comp_targetILNS1_3genE2ELNS1_11target_archE906ELNS1_3gpuE6ELNS1_3repE0EEENS1_30default_config_static_selectorELNS0_4arch9wavefront6targetE1EEEvT1_,@function
_ZN7rocprim17ROCPRIM_400000_NS6detail17trampoline_kernelINS0_14default_configENS1_25partition_config_selectorILNS1_17partition_subalgoE2EiNS0_10empty_typeEbEEZZNS1_14partition_implILS5_2ELb0ES3_jN6thrust23THRUST_200600_302600_NS6detail15normal_iteratorINSA_7pointerIiNSA_11hip_rocprim3tagENSA_11use_defaultESG_EEEEPS6_NSA_18transform_iteratorI10is_orderedNSA_12zip_iteratorINSA_5tupleINSC_INSA_10device_ptrIiEEEESQ_NSA_9null_typeESR_SR_SR_SR_SR_SR_SR_EEEESG_SG_EENS0_5tupleIJPiSJ_EEENSV_IJSJ_SJ_EEES6_PlJS6_EEE10hipError_tPvRmT3_T4_T5_T6_T7_T9_mT8_P12ihipStream_tbDpT10_ENKUlT_T0_E_clISt17integral_constantIbLb0EES1I_IbLb1EEEEDaS1E_S1F_EUlS1E_E_NS1_11comp_targetILNS1_3genE2ELNS1_11target_archE906ELNS1_3gpuE6ELNS1_3repE0EEENS1_30default_config_static_selectorELNS0_4arch9wavefront6targetE1EEEvT1_: ; @_ZN7rocprim17ROCPRIM_400000_NS6detail17trampoline_kernelINS0_14default_configENS1_25partition_config_selectorILNS1_17partition_subalgoE2EiNS0_10empty_typeEbEEZZNS1_14partition_implILS5_2ELb0ES3_jN6thrust23THRUST_200600_302600_NS6detail15normal_iteratorINSA_7pointerIiNSA_11hip_rocprim3tagENSA_11use_defaultESG_EEEEPS6_NSA_18transform_iteratorI10is_orderedNSA_12zip_iteratorINSA_5tupleINSC_INSA_10device_ptrIiEEEESQ_NSA_9null_typeESR_SR_SR_SR_SR_SR_SR_EEEESG_SG_EENS0_5tupleIJPiSJ_EEENSV_IJSJ_SJ_EEES6_PlJS6_EEE10hipError_tPvRmT3_T4_T5_T6_T7_T9_mT8_P12ihipStream_tbDpT10_ENKUlT_T0_E_clISt17integral_constantIbLb0EES1I_IbLb1EEEEDaS1E_S1F_EUlS1E_E_NS1_11comp_targetILNS1_3genE2ELNS1_11target_archE906ELNS1_3gpuE6ELNS1_3repE0EEENS1_30default_config_static_selectorELNS0_4arch9wavefront6targetE1EEEvT1_
; %bb.0:
	.section	.rodata,"a",@progbits
	.p2align	6, 0x0
	.amdhsa_kernel _ZN7rocprim17ROCPRIM_400000_NS6detail17trampoline_kernelINS0_14default_configENS1_25partition_config_selectorILNS1_17partition_subalgoE2EiNS0_10empty_typeEbEEZZNS1_14partition_implILS5_2ELb0ES3_jN6thrust23THRUST_200600_302600_NS6detail15normal_iteratorINSA_7pointerIiNSA_11hip_rocprim3tagENSA_11use_defaultESG_EEEEPS6_NSA_18transform_iteratorI10is_orderedNSA_12zip_iteratorINSA_5tupleINSC_INSA_10device_ptrIiEEEESQ_NSA_9null_typeESR_SR_SR_SR_SR_SR_SR_EEEESG_SG_EENS0_5tupleIJPiSJ_EEENSV_IJSJ_SJ_EEES6_PlJS6_EEE10hipError_tPvRmT3_T4_T5_T6_T7_T9_mT8_P12ihipStream_tbDpT10_ENKUlT_T0_E_clISt17integral_constantIbLb0EES1I_IbLb1EEEEDaS1E_S1F_EUlS1E_E_NS1_11comp_targetILNS1_3genE2ELNS1_11target_archE906ELNS1_3gpuE6ELNS1_3repE0EEENS1_30default_config_static_selectorELNS0_4arch9wavefront6targetE1EEEvT1_
		.amdhsa_group_segment_fixed_size 0
		.amdhsa_private_segment_fixed_size 0
		.amdhsa_kernarg_size 152
		.amdhsa_user_sgpr_count 2
		.amdhsa_user_sgpr_dispatch_ptr 0
		.amdhsa_user_sgpr_queue_ptr 0
		.amdhsa_user_sgpr_kernarg_segment_ptr 1
		.amdhsa_user_sgpr_dispatch_id 0
		.amdhsa_user_sgpr_kernarg_preload_length 0
		.amdhsa_user_sgpr_kernarg_preload_offset 0
		.amdhsa_user_sgpr_private_segment_size 0
		.amdhsa_uses_dynamic_stack 0
		.amdhsa_enable_private_segment 0
		.amdhsa_system_sgpr_workgroup_id_x 1
		.amdhsa_system_sgpr_workgroup_id_y 0
		.amdhsa_system_sgpr_workgroup_id_z 0
		.amdhsa_system_sgpr_workgroup_info 0
		.amdhsa_system_vgpr_workitem_id 0
		.amdhsa_next_free_vgpr 1
		.amdhsa_next_free_sgpr 0
		.amdhsa_accum_offset 4
		.amdhsa_reserve_vcc 0
		.amdhsa_float_round_mode_32 0
		.amdhsa_float_round_mode_16_64 0
		.amdhsa_float_denorm_mode_32 3
		.amdhsa_float_denorm_mode_16_64 3
		.amdhsa_dx10_clamp 1
		.amdhsa_ieee_mode 1
		.amdhsa_fp16_overflow 0
		.amdhsa_tg_split 0
		.amdhsa_exception_fp_ieee_invalid_op 0
		.amdhsa_exception_fp_denorm_src 0
		.amdhsa_exception_fp_ieee_div_zero 0
		.amdhsa_exception_fp_ieee_overflow 0
		.amdhsa_exception_fp_ieee_underflow 0
		.amdhsa_exception_fp_ieee_inexact 0
		.amdhsa_exception_int_div_zero 0
	.end_amdhsa_kernel
	.section	.text._ZN7rocprim17ROCPRIM_400000_NS6detail17trampoline_kernelINS0_14default_configENS1_25partition_config_selectorILNS1_17partition_subalgoE2EiNS0_10empty_typeEbEEZZNS1_14partition_implILS5_2ELb0ES3_jN6thrust23THRUST_200600_302600_NS6detail15normal_iteratorINSA_7pointerIiNSA_11hip_rocprim3tagENSA_11use_defaultESG_EEEEPS6_NSA_18transform_iteratorI10is_orderedNSA_12zip_iteratorINSA_5tupleINSC_INSA_10device_ptrIiEEEESQ_NSA_9null_typeESR_SR_SR_SR_SR_SR_SR_EEEESG_SG_EENS0_5tupleIJPiSJ_EEENSV_IJSJ_SJ_EEES6_PlJS6_EEE10hipError_tPvRmT3_T4_T5_T6_T7_T9_mT8_P12ihipStream_tbDpT10_ENKUlT_T0_E_clISt17integral_constantIbLb0EES1I_IbLb1EEEEDaS1E_S1F_EUlS1E_E_NS1_11comp_targetILNS1_3genE2ELNS1_11target_archE906ELNS1_3gpuE6ELNS1_3repE0EEENS1_30default_config_static_selectorELNS0_4arch9wavefront6targetE1EEEvT1_,"axG",@progbits,_ZN7rocprim17ROCPRIM_400000_NS6detail17trampoline_kernelINS0_14default_configENS1_25partition_config_selectorILNS1_17partition_subalgoE2EiNS0_10empty_typeEbEEZZNS1_14partition_implILS5_2ELb0ES3_jN6thrust23THRUST_200600_302600_NS6detail15normal_iteratorINSA_7pointerIiNSA_11hip_rocprim3tagENSA_11use_defaultESG_EEEEPS6_NSA_18transform_iteratorI10is_orderedNSA_12zip_iteratorINSA_5tupleINSC_INSA_10device_ptrIiEEEESQ_NSA_9null_typeESR_SR_SR_SR_SR_SR_SR_EEEESG_SG_EENS0_5tupleIJPiSJ_EEENSV_IJSJ_SJ_EEES6_PlJS6_EEE10hipError_tPvRmT3_T4_T5_T6_T7_T9_mT8_P12ihipStream_tbDpT10_ENKUlT_T0_E_clISt17integral_constantIbLb0EES1I_IbLb1EEEEDaS1E_S1F_EUlS1E_E_NS1_11comp_targetILNS1_3genE2ELNS1_11target_archE906ELNS1_3gpuE6ELNS1_3repE0EEENS1_30default_config_static_selectorELNS0_4arch9wavefront6targetE1EEEvT1_,comdat
.Lfunc_end3622:
	.size	_ZN7rocprim17ROCPRIM_400000_NS6detail17trampoline_kernelINS0_14default_configENS1_25partition_config_selectorILNS1_17partition_subalgoE2EiNS0_10empty_typeEbEEZZNS1_14partition_implILS5_2ELb0ES3_jN6thrust23THRUST_200600_302600_NS6detail15normal_iteratorINSA_7pointerIiNSA_11hip_rocprim3tagENSA_11use_defaultESG_EEEEPS6_NSA_18transform_iteratorI10is_orderedNSA_12zip_iteratorINSA_5tupleINSC_INSA_10device_ptrIiEEEESQ_NSA_9null_typeESR_SR_SR_SR_SR_SR_SR_EEEESG_SG_EENS0_5tupleIJPiSJ_EEENSV_IJSJ_SJ_EEES6_PlJS6_EEE10hipError_tPvRmT3_T4_T5_T6_T7_T9_mT8_P12ihipStream_tbDpT10_ENKUlT_T0_E_clISt17integral_constantIbLb0EES1I_IbLb1EEEEDaS1E_S1F_EUlS1E_E_NS1_11comp_targetILNS1_3genE2ELNS1_11target_archE906ELNS1_3gpuE6ELNS1_3repE0EEENS1_30default_config_static_selectorELNS0_4arch9wavefront6targetE1EEEvT1_, .Lfunc_end3622-_ZN7rocprim17ROCPRIM_400000_NS6detail17trampoline_kernelINS0_14default_configENS1_25partition_config_selectorILNS1_17partition_subalgoE2EiNS0_10empty_typeEbEEZZNS1_14partition_implILS5_2ELb0ES3_jN6thrust23THRUST_200600_302600_NS6detail15normal_iteratorINSA_7pointerIiNSA_11hip_rocprim3tagENSA_11use_defaultESG_EEEEPS6_NSA_18transform_iteratorI10is_orderedNSA_12zip_iteratorINSA_5tupleINSC_INSA_10device_ptrIiEEEESQ_NSA_9null_typeESR_SR_SR_SR_SR_SR_SR_EEEESG_SG_EENS0_5tupleIJPiSJ_EEENSV_IJSJ_SJ_EEES6_PlJS6_EEE10hipError_tPvRmT3_T4_T5_T6_T7_T9_mT8_P12ihipStream_tbDpT10_ENKUlT_T0_E_clISt17integral_constantIbLb0EES1I_IbLb1EEEEDaS1E_S1F_EUlS1E_E_NS1_11comp_targetILNS1_3genE2ELNS1_11target_archE906ELNS1_3gpuE6ELNS1_3repE0EEENS1_30default_config_static_selectorELNS0_4arch9wavefront6targetE1EEEvT1_
                                        ; -- End function
	.section	.AMDGPU.csdata,"",@progbits
; Kernel info:
; codeLenInByte = 0
; NumSgprs: 6
; NumVgprs: 0
; NumAgprs: 0
; TotalNumVgprs: 0
; ScratchSize: 0
; MemoryBound: 0
; FloatMode: 240
; IeeeMode: 1
; LDSByteSize: 0 bytes/workgroup (compile time only)
; SGPRBlocks: 0
; VGPRBlocks: 0
; NumSGPRsForWavesPerEU: 6
; NumVGPRsForWavesPerEU: 1
; AccumOffset: 4
; Occupancy: 8
; WaveLimiterHint : 0
; COMPUTE_PGM_RSRC2:SCRATCH_EN: 0
; COMPUTE_PGM_RSRC2:USER_SGPR: 2
; COMPUTE_PGM_RSRC2:TRAP_HANDLER: 0
; COMPUTE_PGM_RSRC2:TGID_X_EN: 1
; COMPUTE_PGM_RSRC2:TGID_Y_EN: 0
; COMPUTE_PGM_RSRC2:TGID_Z_EN: 0
; COMPUTE_PGM_RSRC2:TIDIG_COMP_CNT: 0
; COMPUTE_PGM_RSRC3_GFX90A:ACCUM_OFFSET: 0
; COMPUTE_PGM_RSRC3_GFX90A:TG_SPLIT: 0
	.section	.text._ZN7rocprim17ROCPRIM_400000_NS6detail17trampoline_kernelINS0_14default_configENS1_25partition_config_selectorILNS1_17partition_subalgoE2EiNS0_10empty_typeEbEEZZNS1_14partition_implILS5_2ELb0ES3_jN6thrust23THRUST_200600_302600_NS6detail15normal_iteratorINSA_7pointerIiNSA_11hip_rocprim3tagENSA_11use_defaultESG_EEEEPS6_NSA_18transform_iteratorI10is_orderedNSA_12zip_iteratorINSA_5tupleINSC_INSA_10device_ptrIiEEEESQ_NSA_9null_typeESR_SR_SR_SR_SR_SR_SR_EEEESG_SG_EENS0_5tupleIJPiSJ_EEENSV_IJSJ_SJ_EEES6_PlJS6_EEE10hipError_tPvRmT3_T4_T5_T6_T7_T9_mT8_P12ihipStream_tbDpT10_ENKUlT_T0_E_clISt17integral_constantIbLb0EES1I_IbLb1EEEEDaS1E_S1F_EUlS1E_E_NS1_11comp_targetILNS1_3genE10ELNS1_11target_archE1200ELNS1_3gpuE4ELNS1_3repE0EEENS1_30default_config_static_selectorELNS0_4arch9wavefront6targetE1EEEvT1_,"axG",@progbits,_ZN7rocprim17ROCPRIM_400000_NS6detail17trampoline_kernelINS0_14default_configENS1_25partition_config_selectorILNS1_17partition_subalgoE2EiNS0_10empty_typeEbEEZZNS1_14partition_implILS5_2ELb0ES3_jN6thrust23THRUST_200600_302600_NS6detail15normal_iteratorINSA_7pointerIiNSA_11hip_rocprim3tagENSA_11use_defaultESG_EEEEPS6_NSA_18transform_iteratorI10is_orderedNSA_12zip_iteratorINSA_5tupleINSC_INSA_10device_ptrIiEEEESQ_NSA_9null_typeESR_SR_SR_SR_SR_SR_SR_EEEESG_SG_EENS0_5tupleIJPiSJ_EEENSV_IJSJ_SJ_EEES6_PlJS6_EEE10hipError_tPvRmT3_T4_T5_T6_T7_T9_mT8_P12ihipStream_tbDpT10_ENKUlT_T0_E_clISt17integral_constantIbLb0EES1I_IbLb1EEEEDaS1E_S1F_EUlS1E_E_NS1_11comp_targetILNS1_3genE10ELNS1_11target_archE1200ELNS1_3gpuE4ELNS1_3repE0EEENS1_30default_config_static_selectorELNS0_4arch9wavefront6targetE1EEEvT1_,comdat
	.protected	_ZN7rocprim17ROCPRIM_400000_NS6detail17trampoline_kernelINS0_14default_configENS1_25partition_config_selectorILNS1_17partition_subalgoE2EiNS0_10empty_typeEbEEZZNS1_14partition_implILS5_2ELb0ES3_jN6thrust23THRUST_200600_302600_NS6detail15normal_iteratorINSA_7pointerIiNSA_11hip_rocprim3tagENSA_11use_defaultESG_EEEEPS6_NSA_18transform_iteratorI10is_orderedNSA_12zip_iteratorINSA_5tupleINSC_INSA_10device_ptrIiEEEESQ_NSA_9null_typeESR_SR_SR_SR_SR_SR_SR_EEEESG_SG_EENS0_5tupleIJPiSJ_EEENSV_IJSJ_SJ_EEES6_PlJS6_EEE10hipError_tPvRmT3_T4_T5_T6_T7_T9_mT8_P12ihipStream_tbDpT10_ENKUlT_T0_E_clISt17integral_constantIbLb0EES1I_IbLb1EEEEDaS1E_S1F_EUlS1E_E_NS1_11comp_targetILNS1_3genE10ELNS1_11target_archE1200ELNS1_3gpuE4ELNS1_3repE0EEENS1_30default_config_static_selectorELNS0_4arch9wavefront6targetE1EEEvT1_ ; -- Begin function _ZN7rocprim17ROCPRIM_400000_NS6detail17trampoline_kernelINS0_14default_configENS1_25partition_config_selectorILNS1_17partition_subalgoE2EiNS0_10empty_typeEbEEZZNS1_14partition_implILS5_2ELb0ES3_jN6thrust23THRUST_200600_302600_NS6detail15normal_iteratorINSA_7pointerIiNSA_11hip_rocprim3tagENSA_11use_defaultESG_EEEEPS6_NSA_18transform_iteratorI10is_orderedNSA_12zip_iteratorINSA_5tupleINSC_INSA_10device_ptrIiEEEESQ_NSA_9null_typeESR_SR_SR_SR_SR_SR_SR_EEEESG_SG_EENS0_5tupleIJPiSJ_EEENSV_IJSJ_SJ_EEES6_PlJS6_EEE10hipError_tPvRmT3_T4_T5_T6_T7_T9_mT8_P12ihipStream_tbDpT10_ENKUlT_T0_E_clISt17integral_constantIbLb0EES1I_IbLb1EEEEDaS1E_S1F_EUlS1E_E_NS1_11comp_targetILNS1_3genE10ELNS1_11target_archE1200ELNS1_3gpuE4ELNS1_3repE0EEENS1_30default_config_static_selectorELNS0_4arch9wavefront6targetE1EEEvT1_
	.globl	_ZN7rocprim17ROCPRIM_400000_NS6detail17trampoline_kernelINS0_14default_configENS1_25partition_config_selectorILNS1_17partition_subalgoE2EiNS0_10empty_typeEbEEZZNS1_14partition_implILS5_2ELb0ES3_jN6thrust23THRUST_200600_302600_NS6detail15normal_iteratorINSA_7pointerIiNSA_11hip_rocprim3tagENSA_11use_defaultESG_EEEEPS6_NSA_18transform_iteratorI10is_orderedNSA_12zip_iteratorINSA_5tupleINSC_INSA_10device_ptrIiEEEESQ_NSA_9null_typeESR_SR_SR_SR_SR_SR_SR_EEEESG_SG_EENS0_5tupleIJPiSJ_EEENSV_IJSJ_SJ_EEES6_PlJS6_EEE10hipError_tPvRmT3_T4_T5_T6_T7_T9_mT8_P12ihipStream_tbDpT10_ENKUlT_T0_E_clISt17integral_constantIbLb0EES1I_IbLb1EEEEDaS1E_S1F_EUlS1E_E_NS1_11comp_targetILNS1_3genE10ELNS1_11target_archE1200ELNS1_3gpuE4ELNS1_3repE0EEENS1_30default_config_static_selectorELNS0_4arch9wavefront6targetE1EEEvT1_
	.p2align	8
	.type	_ZN7rocprim17ROCPRIM_400000_NS6detail17trampoline_kernelINS0_14default_configENS1_25partition_config_selectorILNS1_17partition_subalgoE2EiNS0_10empty_typeEbEEZZNS1_14partition_implILS5_2ELb0ES3_jN6thrust23THRUST_200600_302600_NS6detail15normal_iteratorINSA_7pointerIiNSA_11hip_rocprim3tagENSA_11use_defaultESG_EEEEPS6_NSA_18transform_iteratorI10is_orderedNSA_12zip_iteratorINSA_5tupleINSC_INSA_10device_ptrIiEEEESQ_NSA_9null_typeESR_SR_SR_SR_SR_SR_SR_EEEESG_SG_EENS0_5tupleIJPiSJ_EEENSV_IJSJ_SJ_EEES6_PlJS6_EEE10hipError_tPvRmT3_T4_T5_T6_T7_T9_mT8_P12ihipStream_tbDpT10_ENKUlT_T0_E_clISt17integral_constantIbLb0EES1I_IbLb1EEEEDaS1E_S1F_EUlS1E_E_NS1_11comp_targetILNS1_3genE10ELNS1_11target_archE1200ELNS1_3gpuE4ELNS1_3repE0EEENS1_30default_config_static_selectorELNS0_4arch9wavefront6targetE1EEEvT1_,@function
_ZN7rocprim17ROCPRIM_400000_NS6detail17trampoline_kernelINS0_14default_configENS1_25partition_config_selectorILNS1_17partition_subalgoE2EiNS0_10empty_typeEbEEZZNS1_14partition_implILS5_2ELb0ES3_jN6thrust23THRUST_200600_302600_NS6detail15normal_iteratorINSA_7pointerIiNSA_11hip_rocprim3tagENSA_11use_defaultESG_EEEEPS6_NSA_18transform_iteratorI10is_orderedNSA_12zip_iteratorINSA_5tupleINSC_INSA_10device_ptrIiEEEESQ_NSA_9null_typeESR_SR_SR_SR_SR_SR_SR_EEEESG_SG_EENS0_5tupleIJPiSJ_EEENSV_IJSJ_SJ_EEES6_PlJS6_EEE10hipError_tPvRmT3_T4_T5_T6_T7_T9_mT8_P12ihipStream_tbDpT10_ENKUlT_T0_E_clISt17integral_constantIbLb0EES1I_IbLb1EEEEDaS1E_S1F_EUlS1E_E_NS1_11comp_targetILNS1_3genE10ELNS1_11target_archE1200ELNS1_3gpuE4ELNS1_3repE0EEENS1_30default_config_static_selectorELNS0_4arch9wavefront6targetE1EEEvT1_: ; @_ZN7rocprim17ROCPRIM_400000_NS6detail17trampoline_kernelINS0_14default_configENS1_25partition_config_selectorILNS1_17partition_subalgoE2EiNS0_10empty_typeEbEEZZNS1_14partition_implILS5_2ELb0ES3_jN6thrust23THRUST_200600_302600_NS6detail15normal_iteratorINSA_7pointerIiNSA_11hip_rocprim3tagENSA_11use_defaultESG_EEEEPS6_NSA_18transform_iteratorI10is_orderedNSA_12zip_iteratorINSA_5tupleINSC_INSA_10device_ptrIiEEEESQ_NSA_9null_typeESR_SR_SR_SR_SR_SR_SR_EEEESG_SG_EENS0_5tupleIJPiSJ_EEENSV_IJSJ_SJ_EEES6_PlJS6_EEE10hipError_tPvRmT3_T4_T5_T6_T7_T9_mT8_P12ihipStream_tbDpT10_ENKUlT_T0_E_clISt17integral_constantIbLb0EES1I_IbLb1EEEEDaS1E_S1F_EUlS1E_E_NS1_11comp_targetILNS1_3genE10ELNS1_11target_archE1200ELNS1_3gpuE4ELNS1_3repE0EEENS1_30default_config_static_selectorELNS0_4arch9wavefront6targetE1EEEvT1_
; %bb.0:
	.section	.rodata,"a",@progbits
	.p2align	6, 0x0
	.amdhsa_kernel _ZN7rocprim17ROCPRIM_400000_NS6detail17trampoline_kernelINS0_14default_configENS1_25partition_config_selectorILNS1_17partition_subalgoE2EiNS0_10empty_typeEbEEZZNS1_14partition_implILS5_2ELb0ES3_jN6thrust23THRUST_200600_302600_NS6detail15normal_iteratorINSA_7pointerIiNSA_11hip_rocprim3tagENSA_11use_defaultESG_EEEEPS6_NSA_18transform_iteratorI10is_orderedNSA_12zip_iteratorINSA_5tupleINSC_INSA_10device_ptrIiEEEESQ_NSA_9null_typeESR_SR_SR_SR_SR_SR_SR_EEEESG_SG_EENS0_5tupleIJPiSJ_EEENSV_IJSJ_SJ_EEES6_PlJS6_EEE10hipError_tPvRmT3_T4_T5_T6_T7_T9_mT8_P12ihipStream_tbDpT10_ENKUlT_T0_E_clISt17integral_constantIbLb0EES1I_IbLb1EEEEDaS1E_S1F_EUlS1E_E_NS1_11comp_targetILNS1_3genE10ELNS1_11target_archE1200ELNS1_3gpuE4ELNS1_3repE0EEENS1_30default_config_static_selectorELNS0_4arch9wavefront6targetE1EEEvT1_
		.amdhsa_group_segment_fixed_size 0
		.amdhsa_private_segment_fixed_size 0
		.amdhsa_kernarg_size 152
		.amdhsa_user_sgpr_count 2
		.amdhsa_user_sgpr_dispatch_ptr 0
		.amdhsa_user_sgpr_queue_ptr 0
		.amdhsa_user_sgpr_kernarg_segment_ptr 1
		.amdhsa_user_sgpr_dispatch_id 0
		.amdhsa_user_sgpr_kernarg_preload_length 0
		.amdhsa_user_sgpr_kernarg_preload_offset 0
		.amdhsa_user_sgpr_private_segment_size 0
		.amdhsa_uses_dynamic_stack 0
		.amdhsa_enable_private_segment 0
		.amdhsa_system_sgpr_workgroup_id_x 1
		.amdhsa_system_sgpr_workgroup_id_y 0
		.amdhsa_system_sgpr_workgroup_id_z 0
		.amdhsa_system_sgpr_workgroup_info 0
		.amdhsa_system_vgpr_workitem_id 0
		.amdhsa_next_free_vgpr 1
		.amdhsa_next_free_sgpr 0
		.amdhsa_accum_offset 4
		.amdhsa_reserve_vcc 0
		.amdhsa_float_round_mode_32 0
		.amdhsa_float_round_mode_16_64 0
		.amdhsa_float_denorm_mode_32 3
		.amdhsa_float_denorm_mode_16_64 3
		.amdhsa_dx10_clamp 1
		.amdhsa_ieee_mode 1
		.amdhsa_fp16_overflow 0
		.amdhsa_tg_split 0
		.amdhsa_exception_fp_ieee_invalid_op 0
		.amdhsa_exception_fp_denorm_src 0
		.amdhsa_exception_fp_ieee_div_zero 0
		.amdhsa_exception_fp_ieee_overflow 0
		.amdhsa_exception_fp_ieee_underflow 0
		.amdhsa_exception_fp_ieee_inexact 0
		.amdhsa_exception_int_div_zero 0
	.end_amdhsa_kernel
	.section	.text._ZN7rocprim17ROCPRIM_400000_NS6detail17trampoline_kernelINS0_14default_configENS1_25partition_config_selectorILNS1_17partition_subalgoE2EiNS0_10empty_typeEbEEZZNS1_14partition_implILS5_2ELb0ES3_jN6thrust23THRUST_200600_302600_NS6detail15normal_iteratorINSA_7pointerIiNSA_11hip_rocprim3tagENSA_11use_defaultESG_EEEEPS6_NSA_18transform_iteratorI10is_orderedNSA_12zip_iteratorINSA_5tupleINSC_INSA_10device_ptrIiEEEESQ_NSA_9null_typeESR_SR_SR_SR_SR_SR_SR_EEEESG_SG_EENS0_5tupleIJPiSJ_EEENSV_IJSJ_SJ_EEES6_PlJS6_EEE10hipError_tPvRmT3_T4_T5_T6_T7_T9_mT8_P12ihipStream_tbDpT10_ENKUlT_T0_E_clISt17integral_constantIbLb0EES1I_IbLb1EEEEDaS1E_S1F_EUlS1E_E_NS1_11comp_targetILNS1_3genE10ELNS1_11target_archE1200ELNS1_3gpuE4ELNS1_3repE0EEENS1_30default_config_static_selectorELNS0_4arch9wavefront6targetE1EEEvT1_,"axG",@progbits,_ZN7rocprim17ROCPRIM_400000_NS6detail17trampoline_kernelINS0_14default_configENS1_25partition_config_selectorILNS1_17partition_subalgoE2EiNS0_10empty_typeEbEEZZNS1_14partition_implILS5_2ELb0ES3_jN6thrust23THRUST_200600_302600_NS6detail15normal_iteratorINSA_7pointerIiNSA_11hip_rocprim3tagENSA_11use_defaultESG_EEEEPS6_NSA_18transform_iteratorI10is_orderedNSA_12zip_iteratorINSA_5tupleINSC_INSA_10device_ptrIiEEEESQ_NSA_9null_typeESR_SR_SR_SR_SR_SR_SR_EEEESG_SG_EENS0_5tupleIJPiSJ_EEENSV_IJSJ_SJ_EEES6_PlJS6_EEE10hipError_tPvRmT3_T4_T5_T6_T7_T9_mT8_P12ihipStream_tbDpT10_ENKUlT_T0_E_clISt17integral_constantIbLb0EES1I_IbLb1EEEEDaS1E_S1F_EUlS1E_E_NS1_11comp_targetILNS1_3genE10ELNS1_11target_archE1200ELNS1_3gpuE4ELNS1_3repE0EEENS1_30default_config_static_selectorELNS0_4arch9wavefront6targetE1EEEvT1_,comdat
.Lfunc_end3623:
	.size	_ZN7rocprim17ROCPRIM_400000_NS6detail17trampoline_kernelINS0_14default_configENS1_25partition_config_selectorILNS1_17partition_subalgoE2EiNS0_10empty_typeEbEEZZNS1_14partition_implILS5_2ELb0ES3_jN6thrust23THRUST_200600_302600_NS6detail15normal_iteratorINSA_7pointerIiNSA_11hip_rocprim3tagENSA_11use_defaultESG_EEEEPS6_NSA_18transform_iteratorI10is_orderedNSA_12zip_iteratorINSA_5tupleINSC_INSA_10device_ptrIiEEEESQ_NSA_9null_typeESR_SR_SR_SR_SR_SR_SR_EEEESG_SG_EENS0_5tupleIJPiSJ_EEENSV_IJSJ_SJ_EEES6_PlJS6_EEE10hipError_tPvRmT3_T4_T5_T6_T7_T9_mT8_P12ihipStream_tbDpT10_ENKUlT_T0_E_clISt17integral_constantIbLb0EES1I_IbLb1EEEEDaS1E_S1F_EUlS1E_E_NS1_11comp_targetILNS1_3genE10ELNS1_11target_archE1200ELNS1_3gpuE4ELNS1_3repE0EEENS1_30default_config_static_selectorELNS0_4arch9wavefront6targetE1EEEvT1_, .Lfunc_end3623-_ZN7rocprim17ROCPRIM_400000_NS6detail17trampoline_kernelINS0_14default_configENS1_25partition_config_selectorILNS1_17partition_subalgoE2EiNS0_10empty_typeEbEEZZNS1_14partition_implILS5_2ELb0ES3_jN6thrust23THRUST_200600_302600_NS6detail15normal_iteratorINSA_7pointerIiNSA_11hip_rocprim3tagENSA_11use_defaultESG_EEEEPS6_NSA_18transform_iteratorI10is_orderedNSA_12zip_iteratorINSA_5tupleINSC_INSA_10device_ptrIiEEEESQ_NSA_9null_typeESR_SR_SR_SR_SR_SR_SR_EEEESG_SG_EENS0_5tupleIJPiSJ_EEENSV_IJSJ_SJ_EEES6_PlJS6_EEE10hipError_tPvRmT3_T4_T5_T6_T7_T9_mT8_P12ihipStream_tbDpT10_ENKUlT_T0_E_clISt17integral_constantIbLb0EES1I_IbLb1EEEEDaS1E_S1F_EUlS1E_E_NS1_11comp_targetILNS1_3genE10ELNS1_11target_archE1200ELNS1_3gpuE4ELNS1_3repE0EEENS1_30default_config_static_selectorELNS0_4arch9wavefront6targetE1EEEvT1_
                                        ; -- End function
	.section	.AMDGPU.csdata,"",@progbits
; Kernel info:
; codeLenInByte = 0
; NumSgprs: 6
; NumVgprs: 0
; NumAgprs: 0
; TotalNumVgprs: 0
; ScratchSize: 0
; MemoryBound: 0
; FloatMode: 240
; IeeeMode: 1
; LDSByteSize: 0 bytes/workgroup (compile time only)
; SGPRBlocks: 0
; VGPRBlocks: 0
; NumSGPRsForWavesPerEU: 6
; NumVGPRsForWavesPerEU: 1
; AccumOffset: 4
; Occupancy: 8
; WaveLimiterHint : 0
; COMPUTE_PGM_RSRC2:SCRATCH_EN: 0
; COMPUTE_PGM_RSRC2:USER_SGPR: 2
; COMPUTE_PGM_RSRC2:TRAP_HANDLER: 0
; COMPUTE_PGM_RSRC2:TGID_X_EN: 1
; COMPUTE_PGM_RSRC2:TGID_Y_EN: 0
; COMPUTE_PGM_RSRC2:TGID_Z_EN: 0
; COMPUTE_PGM_RSRC2:TIDIG_COMP_CNT: 0
; COMPUTE_PGM_RSRC3_GFX90A:ACCUM_OFFSET: 0
; COMPUTE_PGM_RSRC3_GFX90A:TG_SPLIT: 0
	.section	.text._ZN7rocprim17ROCPRIM_400000_NS6detail17trampoline_kernelINS0_14default_configENS1_25partition_config_selectorILNS1_17partition_subalgoE2EiNS0_10empty_typeEbEEZZNS1_14partition_implILS5_2ELb0ES3_jN6thrust23THRUST_200600_302600_NS6detail15normal_iteratorINSA_7pointerIiNSA_11hip_rocprim3tagENSA_11use_defaultESG_EEEEPS6_NSA_18transform_iteratorI10is_orderedNSA_12zip_iteratorINSA_5tupleINSC_INSA_10device_ptrIiEEEESQ_NSA_9null_typeESR_SR_SR_SR_SR_SR_SR_EEEESG_SG_EENS0_5tupleIJPiSJ_EEENSV_IJSJ_SJ_EEES6_PlJS6_EEE10hipError_tPvRmT3_T4_T5_T6_T7_T9_mT8_P12ihipStream_tbDpT10_ENKUlT_T0_E_clISt17integral_constantIbLb0EES1I_IbLb1EEEEDaS1E_S1F_EUlS1E_E_NS1_11comp_targetILNS1_3genE9ELNS1_11target_archE1100ELNS1_3gpuE3ELNS1_3repE0EEENS1_30default_config_static_selectorELNS0_4arch9wavefront6targetE1EEEvT1_,"axG",@progbits,_ZN7rocprim17ROCPRIM_400000_NS6detail17trampoline_kernelINS0_14default_configENS1_25partition_config_selectorILNS1_17partition_subalgoE2EiNS0_10empty_typeEbEEZZNS1_14partition_implILS5_2ELb0ES3_jN6thrust23THRUST_200600_302600_NS6detail15normal_iteratorINSA_7pointerIiNSA_11hip_rocprim3tagENSA_11use_defaultESG_EEEEPS6_NSA_18transform_iteratorI10is_orderedNSA_12zip_iteratorINSA_5tupleINSC_INSA_10device_ptrIiEEEESQ_NSA_9null_typeESR_SR_SR_SR_SR_SR_SR_EEEESG_SG_EENS0_5tupleIJPiSJ_EEENSV_IJSJ_SJ_EEES6_PlJS6_EEE10hipError_tPvRmT3_T4_T5_T6_T7_T9_mT8_P12ihipStream_tbDpT10_ENKUlT_T0_E_clISt17integral_constantIbLb0EES1I_IbLb1EEEEDaS1E_S1F_EUlS1E_E_NS1_11comp_targetILNS1_3genE9ELNS1_11target_archE1100ELNS1_3gpuE3ELNS1_3repE0EEENS1_30default_config_static_selectorELNS0_4arch9wavefront6targetE1EEEvT1_,comdat
	.protected	_ZN7rocprim17ROCPRIM_400000_NS6detail17trampoline_kernelINS0_14default_configENS1_25partition_config_selectorILNS1_17partition_subalgoE2EiNS0_10empty_typeEbEEZZNS1_14partition_implILS5_2ELb0ES3_jN6thrust23THRUST_200600_302600_NS6detail15normal_iteratorINSA_7pointerIiNSA_11hip_rocprim3tagENSA_11use_defaultESG_EEEEPS6_NSA_18transform_iteratorI10is_orderedNSA_12zip_iteratorINSA_5tupleINSC_INSA_10device_ptrIiEEEESQ_NSA_9null_typeESR_SR_SR_SR_SR_SR_SR_EEEESG_SG_EENS0_5tupleIJPiSJ_EEENSV_IJSJ_SJ_EEES6_PlJS6_EEE10hipError_tPvRmT3_T4_T5_T6_T7_T9_mT8_P12ihipStream_tbDpT10_ENKUlT_T0_E_clISt17integral_constantIbLb0EES1I_IbLb1EEEEDaS1E_S1F_EUlS1E_E_NS1_11comp_targetILNS1_3genE9ELNS1_11target_archE1100ELNS1_3gpuE3ELNS1_3repE0EEENS1_30default_config_static_selectorELNS0_4arch9wavefront6targetE1EEEvT1_ ; -- Begin function _ZN7rocprim17ROCPRIM_400000_NS6detail17trampoline_kernelINS0_14default_configENS1_25partition_config_selectorILNS1_17partition_subalgoE2EiNS0_10empty_typeEbEEZZNS1_14partition_implILS5_2ELb0ES3_jN6thrust23THRUST_200600_302600_NS6detail15normal_iteratorINSA_7pointerIiNSA_11hip_rocprim3tagENSA_11use_defaultESG_EEEEPS6_NSA_18transform_iteratorI10is_orderedNSA_12zip_iteratorINSA_5tupleINSC_INSA_10device_ptrIiEEEESQ_NSA_9null_typeESR_SR_SR_SR_SR_SR_SR_EEEESG_SG_EENS0_5tupleIJPiSJ_EEENSV_IJSJ_SJ_EEES6_PlJS6_EEE10hipError_tPvRmT3_T4_T5_T6_T7_T9_mT8_P12ihipStream_tbDpT10_ENKUlT_T0_E_clISt17integral_constantIbLb0EES1I_IbLb1EEEEDaS1E_S1F_EUlS1E_E_NS1_11comp_targetILNS1_3genE9ELNS1_11target_archE1100ELNS1_3gpuE3ELNS1_3repE0EEENS1_30default_config_static_selectorELNS0_4arch9wavefront6targetE1EEEvT1_
	.globl	_ZN7rocprim17ROCPRIM_400000_NS6detail17trampoline_kernelINS0_14default_configENS1_25partition_config_selectorILNS1_17partition_subalgoE2EiNS0_10empty_typeEbEEZZNS1_14partition_implILS5_2ELb0ES3_jN6thrust23THRUST_200600_302600_NS6detail15normal_iteratorINSA_7pointerIiNSA_11hip_rocprim3tagENSA_11use_defaultESG_EEEEPS6_NSA_18transform_iteratorI10is_orderedNSA_12zip_iteratorINSA_5tupleINSC_INSA_10device_ptrIiEEEESQ_NSA_9null_typeESR_SR_SR_SR_SR_SR_SR_EEEESG_SG_EENS0_5tupleIJPiSJ_EEENSV_IJSJ_SJ_EEES6_PlJS6_EEE10hipError_tPvRmT3_T4_T5_T6_T7_T9_mT8_P12ihipStream_tbDpT10_ENKUlT_T0_E_clISt17integral_constantIbLb0EES1I_IbLb1EEEEDaS1E_S1F_EUlS1E_E_NS1_11comp_targetILNS1_3genE9ELNS1_11target_archE1100ELNS1_3gpuE3ELNS1_3repE0EEENS1_30default_config_static_selectorELNS0_4arch9wavefront6targetE1EEEvT1_
	.p2align	8
	.type	_ZN7rocprim17ROCPRIM_400000_NS6detail17trampoline_kernelINS0_14default_configENS1_25partition_config_selectorILNS1_17partition_subalgoE2EiNS0_10empty_typeEbEEZZNS1_14partition_implILS5_2ELb0ES3_jN6thrust23THRUST_200600_302600_NS6detail15normal_iteratorINSA_7pointerIiNSA_11hip_rocprim3tagENSA_11use_defaultESG_EEEEPS6_NSA_18transform_iteratorI10is_orderedNSA_12zip_iteratorINSA_5tupleINSC_INSA_10device_ptrIiEEEESQ_NSA_9null_typeESR_SR_SR_SR_SR_SR_SR_EEEESG_SG_EENS0_5tupleIJPiSJ_EEENSV_IJSJ_SJ_EEES6_PlJS6_EEE10hipError_tPvRmT3_T4_T5_T6_T7_T9_mT8_P12ihipStream_tbDpT10_ENKUlT_T0_E_clISt17integral_constantIbLb0EES1I_IbLb1EEEEDaS1E_S1F_EUlS1E_E_NS1_11comp_targetILNS1_3genE9ELNS1_11target_archE1100ELNS1_3gpuE3ELNS1_3repE0EEENS1_30default_config_static_selectorELNS0_4arch9wavefront6targetE1EEEvT1_,@function
_ZN7rocprim17ROCPRIM_400000_NS6detail17trampoline_kernelINS0_14default_configENS1_25partition_config_selectorILNS1_17partition_subalgoE2EiNS0_10empty_typeEbEEZZNS1_14partition_implILS5_2ELb0ES3_jN6thrust23THRUST_200600_302600_NS6detail15normal_iteratorINSA_7pointerIiNSA_11hip_rocprim3tagENSA_11use_defaultESG_EEEEPS6_NSA_18transform_iteratorI10is_orderedNSA_12zip_iteratorINSA_5tupleINSC_INSA_10device_ptrIiEEEESQ_NSA_9null_typeESR_SR_SR_SR_SR_SR_SR_EEEESG_SG_EENS0_5tupleIJPiSJ_EEENSV_IJSJ_SJ_EEES6_PlJS6_EEE10hipError_tPvRmT3_T4_T5_T6_T7_T9_mT8_P12ihipStream_tbDpT10_ENKUlT_T0_E_clISt17integral_constantIbLb0EES1I_IbLb1EEEEDaS1E_S1F_EUlS1E_E_NS1_11comp_targetILNS1_3genE9ELNS1_11target_archE1100ELNS1_3gpuE3ELNS1_3repE0EEENS1_30default_config_static_selectorELNS0_4arch9wavefront6targetE1EEEvT1_: ; @_ZN7rocprim17ROCPRIM_400000_NS6detail17trampoline_kernelINS0_14default_configENS1_25partition_config_selectorILNS1_17partition_subalgoE2EiNS0_10empty_typeEbEEZZNS1_14partition_implILS5_2ELb0ES3_jN6thrust23THRUST_200600_302600_NS6detail15normal_iteratorINSA_7pointerIiNSA_11hip_rocprim3tagENSA_11use_defaultESG_EEEEPS6_NSA_18transform_iteratorI10is_orderedNSA_12zip_iteratorINSA_5tupleINSC_INSA_10device_ptrIiEEEESQ_NSA_9null_typeESR_SR_SR_SR_SR_SR_SR_EEEESG_SG_EENS0_5tupleIJPiSJ_EEENSV_IJSJ_SJ_EEES6_PlJS6_EEE10hipError_tPvRmT3_T4_T5_T6_T7_T9_mT8_P12ihipStream_tbDpT10_ENKUlT_T0_E_clISt17integral_constantIbLb0EES1I_IbLb1EEEEDaS1E_S1F_EUlS1E_E_NS1_11comp_targetILNS1_3genE9ELNS1_11target_archE1100ELNS1_3gpuE3ELNS1_3repE0EEENS1_30default_config_static_selectorELNS0_4arch9wavefront6targetE1EEEvT1_
; %bb.0:
	.section	.rodata,"a",@progbits
	.p2align	6, 0x0
	.amdhsa_kernel _ZN7rocprim17ROCPRIM_400000_NS6detail17trampoline_kernelINS0_14default_configENS1_25partition_config_selectorILNS1_17partition_subalgoE2EiNS0_10empty_typeEbEEZZNS1_14partition_implILS5_2ELb0ES3_jN6thrust23THRUST_200600_302600_NS6detail15normal_iteratorINSA_7pointerIiNSA_11hip_rocprim3tagENSA_11use_defaultESG_EEEEPS6_NSA_18transform_iteratorI10is_orderedNSA_12zip_iteratorINSA_5tupleINSC_INSA_10device_ptrIiEEEESQ_NSA_9null_typeESR_SR_SR_SR_SR_SR_SR_EEEESG_SG_EENS0_5tupleIJPiSJ_EEENSV_IJSJ_SJ_EEES6_PlJS6_EEE10hipError_tPvRmT3_T4_T5_T6_T7_T9_mT8_P12ihipStream_tbDpT10_ENKUlT_T0_E_clISt17integral_constantIbLb0EES1I_IbLb1EEEEDaS1E_S1F_EUlS1E_E_NS1_11comp_targetILNS1_3genE9ELNS1_11target_archE1100ELNS1_3gpuE3ELNS1_3repE0EEENS1_30default_config_static_selectorELNS0_4arch9wavefront6targetE1EEEvT1_
		.amdhsa_group_segment_fixed_size 0
		.amdhsa_private_segment_fixed_size 0
		.amdhsa_kernarg_size 152
		.amdhsa_user_sgpr_count 2
		.amdhsa_user_sgpr_dispatch_ptr 0
		.amdhsa_user_sgpr_queue_ptr 0
		.amdhsa_user_sgpr_kernarg_segment_ptr 1
		.amdhsa_user_sgpr_dispatch_id 0
		.amdhsa_user_sgpr_kernarg_preload_length 0
		.amdhsa_user_sgpr_kernarg_preload_offset 0
		.amdhsa_user_sgpr_private_segment_size 0
		.amdhsa_uses_dynamic_stack 0
		.amdhsa_enable_private_segment 0
		.amdhsa_system_sgpr_workgroup_id_x 1
		.amdhsa_system_sgpr_workgroup_id_y 0
		.amdhsa_system_sgpr_workgroup_id_z 0
		.amdhsa_system_sgpr_workgroup_info 0
		.amdhsa_system_vgpr_workitem_id 0
		.amdhsa_next_free_vgpr 1
		.amdhsa_next_free_sgpr 0
		.amdhsa_accum_offset 4
		.amdhsa_reserve_vcc 0
		.amdhsa_float_round_mode_32 0
		.amdhsa_float_round_mode_16_64 0
		.amdhsa_float_denorm_mode_32 3
		.amdhsa_float_denorm_mode_16_64 3
		.amdhsa_dx10_clamp 1
		.amdhsa_ieee_mode 1
		.amdhsa_fp16_overflow 0
		.amdhsa_tg_split 0
		.amdhsa_exception_fp_ieee_invalid_op 0
		.amdhsa_exception_fp_denorm_src 0
		.amdhsa_exception_fp_ieee_div_zero 0
		.amdhsa_exception_fp_ieee_overflow 0
		.amdhsa_exception_fp_ieee_underflow 0
		.amdhsa_exception_fp_ieee_inexact 0
		.amdhsa_exception_int_div_zero 0
	.end_amdhsa_kernel
	.section	.text._ZN7rocprim17ROCPRIM_400000_NS6detail17trampoline_kernelINS0_14default_configENS1_25partition_config_selectorILNS1_17partition_subalgoE2EiNS0_10empty_typeEbEEZZNS1_14partition_implILS5_2ELb0ES3_jN6thrust23THRUST_200600_302600_NS6detail15normal_iteratorINSA_7pointerIiNSA_11hip_rocprim3tagENSA_11use_defaultESG_EEEEPS6_NSA_18transform_iteratorI10is_orderedNSA_12zip_iteratorINSA_5tupleINSC_INSA_10device_ptrIiEEEESQ_NSA_9null_typeESR_SR_SR_SR_SR_SR_SR_EEEESG_SG_EENS0_5tupleIJPiSJ_EEENSV_IJSJ_SJ_EEES6_PlJS6_EEE10hipError_tPvRmT3_T4_T5_T6_T7_T9_mT8_P12ihipStream_tbDpT10_ENKUlT_T0_E_clISt17integral_constantIbLb0EES1I_IbLb1EEEEDaS1E_S1F_EUlS1E_E_NS1_11comp_targetILNS1_3genE9ELNS1_11target_archE1100ELNS1_3gpuE3ELNS1_3repE0EEENS1_30default_config_static_selectorELNS0_4arch9wavefront6targetE1EEEvT1_,"axG",@progbits,_ZN7rocprim17ROCPRIM_400000_NS6detail17trampoline_kernelINS0_14default_configENS1_25partition_config_selectorILNS1_17partition_subalgoE2EiNS0_10empty_typeEbEEZZNS1_14partition_implILS5_2ELb0ES3_jN6thrust23THRUST_200600_302600_NS6detail15normal_iteratorINSA_7pointerIiNSA_11hip_rocprim3tagENSA_11use_defaultESG_EEEEPS6_NSA_18transform_iteratorI10is_orderedNSA_12zip_iteratorINSA_5tupleINSC_INSA_10device_ptrIiEEEESQ_NSA_9null_typeESR_SR_SR_SR_SR_SR_SR_EEEESG_SG_EENS0_5tupleIJPiSJ_EEENSV_IJSJ_SJ_EEES6_PlJS6_EEE10hipError_tPvRmT3_T4_T5_T6_T7_T9_mT8_P12ihipStream_tbDpT10_ENKUlT_T0_E_clISt17integral_constantIbLb0EES1I_IbLb1EEEEDaS1E_S1F_EUlS1E_E_NS1_11comp_targetILNS1_3genE9ELNS1_11target_archE1100ELNS1_3gpuE3ELNS1_3repE0EEENS1_30default_config_static_selectorELNS0_4arch9wavefront6targetE1EEEvT1_,comdat
.Lfunc_end3624:
	.size	_ZN7rocprim17ROCPRIM_400000_NS6detail17trampoline_kernelINS0_14default_configENS1_25partition_config_selectorILNS1_17partition_subalgoE2EiNS0_10empty_typeEbEEZZNS1_14partition_implILS5_2ELb0ES3_jN6thrust23THRUST_200600_302600_NS6detail15normal_iteratorINSA_7pointerIiNSA_11hip_rocprim3tagENSA_11use_defaultESG_EEEEPS6_NSA_18transform_iteratorI10is_orderedNSA_12zip_iteratorINSA_5tupleINSC_INSA_10device_ptrIiEEEESQ_NSA_9null_typeESR_SR_SR_SR_SR_SR_SR_EEEESG_SG_EENS0_5tupleIJPiSJ_EEENSV_IJSJ_SJ_EEES6_PlJS6_EEE10hipError_tPvRmT3_T4_T5_T6_T7_T9_mT8_P12ihipStream_tbDpT10_ENKUlT_T0_E_clISt17integral_constantIbLb0EES1I_IbLb1EEEEDaS1E_S1F_EUlS1E_E_NS1_11comp_targetILNS1_3genE9ELNS1_11target_archE1100ELNS1_3gpuE3ELNS1_3repE0EEENS1_30default_config_static_selectorELNS0_4arch9wavefront6targetE1EEEvT1_, .Lfunc_end3624-_ZN7rocprim17ROCPRIM_400000_NS6detail17trampoline_kernelINS0_14default_configENS1_25partition_config_selectorILNS1_17partition_subalgoE2EiNS0_10empty_typeEbEEZZNS1_14partition_implILS5_2ELb0ES3_jN6thrust23THRUST_200600_302600_NS6detail15normal_iteratorINSA_7pointerIiNSA_11hip_rocprim3tagENSA_11use_defaultESG_EEEEPS6_NSA_18transform_iteratorI10is_orderedNSA_12zip_iteratorINSA_5tupleINSC_INSA_10device_ptrIiEEEESQ_NSA_9null_typeESR_SR_SR_SR_SR_SR_SR_EEEESG_SG_EENS0_5tupleIJPiSJ_EEENSV_IJSJ_SJ_EEES6_PlJS6_EEE10hipError_tPvRmT3_T4_T5_T6_T7_T9_mT8_P12ihipStream_tbDpT10_ENKUlT_T0_E_clISt17integral_constantIbLb0EES1I_IbLb1EEEEDaS1E_S1F_EUlS1E_E_NS1_11comp_targetILNS1_3genE9ELNS1_11target_archE1100ELNS1_3gpuE3ELNS1_3repE0EEENS1_30default_config_static_selectorELNS0_4arch9wavefront6targetE1EEEvT1_
                                        ; -- End function
	.section	.AMDGPU.csdata,"",@progbits
; Kernel info:
; codeLenInByte = 0
; NumSgprs: 6
; NumVgprs: 0
; NumAgprs: 0
; TotalNumVgprs: 0
; ScratchSize: 0
; MemoryBound: 0
; FloatMode: 240
; IeeeMode: 1
; LDSByteSize: 0 bytes/workgroup (compile time only)
; SGPRBlocks: 0
; VGPRBlocks: 0
; NumSGPRsForWavesPerEU: 6
; NumVGPRsForWavesPerEU: 1
; AccumOffset: 4
; Occupancy: 8
; WaveLimiterHint : 0
; COMPUTE_PGM_RSRC2:SCRATCH_EN: 0
; COMPUTE_PGM_RSRC2:USER_SGPR: 2
; COMPUTE_PGM_RSRC2:TRAP_HANDLER: 0
; COMPUTE_PGM_RSRC2:TGID_X_EN: 1
; COMPUTE_PGM_RSRC2:TGID_Y_EN: 0
; COMPUTE_PGM_RSRC2:TGID_Z_EN: 0
; COMPUTE_PGM_RSRC2:TIDIG_COMP_CNT: 0
; COMPUTE_PGM_RSRC3_GFX90A:ACCUM_OFFSET: 0
; COMPUTE_PGM_RSRC3_GFX90A:TG_SPLIT: 0
	.section	.text._ZN7rocprim17ROCPRIM_400000_NS6detail17trampoline_kernelINS0_14default_configENS1_25partition_config_selectorILNS1_17partition_subalgoE2EiNS0_10empty_typeEbEEZZNS1_14partition_implILS5_2ELb0ES3_jN6thrust23THRUST_200600_302600_NS6detail15normal_iteratorINSA_7pointerIiNSA_11hip_rocprim3tagENSA_11use_defaultESG_EEEEPS6_NSA_18transform_iteratorI10is_orderedNSA_12zip_iteratorINSA_5tupleINSC_INSA_10device_ptrIiEEEESQ_NSA_9null_typeESR_SR_SR_SR_SR_SR_SR_EEEESG_SG_EENS0_5tupleIJPiSJ_EEENSV_IJSJ_SJ_EEES6_PlJS6_EEE10hipError_tPvRmT3_T4_T5_T6_T7_T9_mT8_P12ihipStream_tbDpT10_ENKUlT_T0_E_clISt17integral_constantIbLb0EES1I_IbLb1EEEEDaS1E_S1F_EUlS1E_E_NS1_11comp_targetILNS1_3genE8ELNS1_11target_archE1030ELNS1_3gpuE2ELNS1_3repE0EEENS1_30default_config_static_selectorELNS0_4arch9wavefront6targetE1EEEvT1_,"axG",@progbits,_ZN7rocprim17ROCPRIM_400000_NS6detail17trampoline_kernelINS0_14default_configENS1_25partition_config_selectorILNS1_17partition_subalgoE2EiNS0_10empty_typeEbEEZZNS1_14partition_implILS5_2ELb0ES3_jN6thrust23THRUST_200600_302600_NS6detail15normal_iteratorINSA_7pointerIiNSA_11hip_rocprim3tagENSA_11use_defaultESG_EEEEPS6_NSA_18transform_iteratorI10is_orderedNSA_12zip_iteratorINSA_5tupleINSC_INSA_10device_ptrIiEEEESQ_NSA_9null_typeESR_SR_SR_SR_SR_SR_SR_EEEESG_SG_EENS0_5tupleIJPiSJ_EEENSV_IJSJ_SJ_EEES6_PlJS6_EEE10hipError_tPvRmT3_T4_T5_T6_T7_T9_mT8_P12ihipStream_tbDpT10_ENKUlT_T0_E_clISt17integral_constantIbLb0EES1I_IbLb1EEEEDaS1E_S1F_EUlS1E_E_NS1_11comp_targetILNS1_3genE8ELNS1_11target_archE1030ELNS1_3gpuE2ELNS1_3repE0EEENS1_30default_config_static_selectorELNS0_4arch9wavefront6targetE1EEEvT1_,comdat
	.protected	_ZN7rocprim17ROCPRIM_400000_NS6detail17trampoline_kernelINS0_14default_configENS1_25partition_config_selectorILNS1_17partition_subalgoE2EiNS0_10empty_typeEbEEZZNS1_14partition_implILS5_2ELb0ES3_jN6thrust23THRUST_200600_302600_NS6detail15normal_iteratorINSA_7pointerIiNSA_11hip_rocprim3tagENSA_11use_defaultESG_EEEEPS6_NSA_18transform_iteratorI10is_orderedNSA_12zip_iteratorINSA_5tupleINSC_INSA_10device_ptrIiEEEESQ_NSA_9null_typeESR_SR_SR_SR_SR_SR_SR_EEEESG_SG_EENS0_5tupleIJPiSJ_EEENSV_IJSJ_SJ_EEES6_PlJS6_EEE10hipError_tPvRmT3_T4_T5_T6_T7_T9_mT8_P12ihipStream_tbDpT10_ENKUlT_T0_E_clISt17integral_constantIbLb0EES1I_IbLb1EEEEDaS1E_S1F_EUlS1E_E_NS1_11comp_targetILNS1_3genE8ELNS1_11target_archE1030ELNS1_3gpuE2ELNS1_3repE0EEENS1_30default_config_static_selectorELNS0_4arch9wavefront6targetE1EEEvT1_ ; -- Begin function _ZN7rocprim17ROCPRIM_400000_NS6detail17trampoline_kernelINS0_14default_configENS1_25partition_config_selectorILNS1_17partition_subalgoE2EiNS0_10empty_typeEbEEZZNS1_14partition_implILS5_2ELb0ES3_jN6thrust23THRUST_200600_302600_NS6detail15normal_iteratorINSA_7pointerIiNSA_11hip_rocprim3tagENSA_11use_defaultESG_EEEEPS6_NSA_18transform_iteratorI10is_orderedNSA_12zip_iteratorINSA_5tupleINSC_INSA_10device_ptrIiEEEESQ_NSA_9null_typeESR_SR_SR_SR_SR_SR_SR_EEEESG_SG_EENS0_5tupleIJPiSJ_EEENSV_IJSJ_SJ_EEES6_PlJS6_EEE10hipError_tPvRmT3_T4_T5_T6_T7_T9_mT8_P12ihipStream_tbDpT10_ENKUlT_T0_E_clISt17integral_constantIbLb0EES1I_IbLb1EEEEDaS1E_S1F_EUlS1E_E_NS1_11comp_targetILNS1_3genE8ELNS1_11target_archE1030ELNS1_3gpuE2ELNS1_3repE0EEENS1_30default_config_static_selectorELNS0_4arch9wavefront6targetE1EEEvT1_
	.globl	_ZN7rocprim17ROCPRIM_400000_NS6detail17trampoline_kernelINS0_14default_configENS1_25partition_config_selectorILNS1_17partition_subalgoE2EiNS0_10empty_typeEbEEZZNS1_14partition_implILS5_2ELb0ES3_jN6thrust23THRUST_200600_302600_NS6detail15normal_iteratorINSA_7pointerIiNSA_11hip_rocprim3tagENSA_11use_defaultESG_EEEEPS6_NSA_18transform_iteratorI10is_orderedNSA_12zip_iteratorINSA_5tupleINSC_INSA_10device_ptrIiEEEESQ_NSA_9null_typeESR_SR_SR_SR_SR_SR_SR_EEEESG_SG_EENS0_5tupleIJPiSJ_EEENSV_IJSJ_SJ_EEES6_PlJS6_EEE10hipError_tPvRmT3_T4_T5_T6_T7_T9_mT8_P12ihipStream_tbDpT10_ENKUlT_T0_E_clISt17integral_constantIbLb0EES1I_IbLb1EEEEDaS1E_S1F_EUlS1E_E_NS1_11comp_targetILNS1_3genE8ELNS1_11target_archE1030ELNS1_3gpuE2ELNS1_3repE0EEENS1_30default_config_static_selectorELNS0_4arch9wavefront6targetE1EEEvT1_
	.p2align	8
	.type	_ZN7rocprim17ROCPRIM_400000_NS6detail17trampoline_kernelINS0_14default_configENS1_25partition_config_selectorILNS1_17partition_subalgoE2EiNS0_10empty_typeEbEEZZNS1_14partition_implILS5_2ELb0ES3_jN6thrust23THRUST_200600_302600_NS6detail15normal_iteratorINSA_7pointerIiNSA_11hip_rocprim3tagENSA_11use_defaultESG_EEEEPS6_NSA_18transform_iteratorI10is_orderedNSA_12zip_iteratorINSA_5tupleINSC_INSA_10device_ptrIiEEEESQ_NSA_9null_typeESR_SR_SR_SR_SR_SR_SR_EEEESG_SG_EENS0_5tupleIJPiSJ_EEENSV_IJSJ_SJ_EEES6_PlJS6_EEE10hipError_tPvRmT3_T4_T5_T6_T7_T9_mT8_P12ihipStream_tbDpT10_ENKUlT_T0_E_clISt17integral_constantIbLb0EES1I_IbLb1EEEEDaS1E_S1F_EUlS1E_E_NS1_11comp_targetILNS1_3genE8ELNS1_11target_archE1030ELNS1_3gpuE2ELNS1_3repE0EEENS1_30default_config_static_selectorELNS0_4arch9wavefront6targetE1EEEvT1_,@function
_ZN7rocprim17ROCPRIM_400000_NS6detail17trampoline_kernelINS0_14default_configENS1_25partition_config_selectorILNS1_17partition_subalgoE2EiNS0_10empty_typeEbEEZZNS1_14partition_implILS5_2ELb0ES3_jN6thrust23THRUST_200600_302600_NS6detail15normal_iteratorINSA_7pointerIiNSA_11hip_rocprim3tagENSA_11use_defaultESG_EEEEPS6_NSA_18transform_iteratorI10is_orderedNSA_12zip_iteratorINSA_5tupleINSC_INSA_10device_ptrIiEEEESQ_NSA_9null_typeESR_SR_SR_SR_SR_SR_SR_EEEESG_SG_EENS0_5tupleIJPiSJ_EEENSV_IJSJ_SJ_EEES6_PlJS6_EEE10hipError_tPvRmT3_T4_T5_T6_T7_T9_mT8_P12ihipStream_tbDpT10_ENKUlT_T0_E_clISt17integral_constantIbLb0EES1I_IbLb1EEEEDaS1E_S1F_EUlS1E_E_NS1_11comp_targetILNS1_3genE8ELNS1_11target_archE1030ELNS1_3gpuE2ELNS1_3repE0EEENS1_30default_config_static_selectorELNS0_4arch9wavefront6targetE1EEEvT1_: ; @_ZN7rocprim17ROCPRIM_400000_NS6detail17trampoline_kernelINS0_14default_configENS1_25partition_config_selectorILNS1_17partition_subalgoE2EiNS0_10empty_typeEbEEZZNS1_14partition_implILS5_2ELb0ES3_jN6thrust23THRUST_200600_302600_NS6detail15normal_iteratorINSA_7pointerIiNSA_11hip_rocprim3tagENSA_11use_defaultESG_EEEEPS6_NSA_18transform_iteratorI10is_orderedNSA_12zip_iteratorINSA_5tupleINSC_INSA_10device_ptrIiEEEESQ_NSA_9null_typeESR_SR_SR_SR_SR_SR_SR_EEEESG_SG_EENS0_5tupleIJPiSJ_EEENSV_IJSJ_SJ_EEES6_PlJS6_EEE10hipError_tPvRmT3_T4_T5_T6_T7_T9_mT8_P12ihipStream_tbDpT10_ENKUlT_T0_E_clISt17integral_constantIbLb0EES1I_IbLb1EEEEDaS1E_S1F_EUlS1E_E_NS1_11comp_targetILNS1_3genE8ELNS1_11target_archE1030ELNS1_3gpuE2ELNS1_3repE0EEENS1_30default_config_static_selectorELNS0_4arch9wavefront6targetE1EEEvT1_
; %bb.0:
	.section	.rodata,"a",@progbits
	.p2align	6, 0x0
	.amdhsa_kernel _ZN7rocprim17ROCPRIM_400000_NS6detail17trampoline_kernelINS0_14default_configENS1_25partition_config_selectorILNS1_17partition_subalgoE2EiNS0_10empty_typeEbEEZZNS1_14partition_implILS5_2ELb0ES3_jN6thrust23THRUST_200600_302600_NS6detail15normal_iteratorINSA_7pointerIiNSA_11hip_rocprim3tagENSA_11use_defaultESG_EEEEPS6_NSA_18transform_iteratorI10is_orderedNSA_12zip_iteratorINSA_5tupleINSC_INSA_10device_ptrIiEEEESQ_NSA_9null_typeESR_SR_SR_SR_SR_SR_SR_EEEESG_SG_EENS0_5tupleIJPiSJ_EEENSV_IJSJ_SJ_EEES6_PlJS6_EEE10hipError_tPvRmT3_T4_T5_T6_T7_T9_mT8_P12ihipStream_tbDpT10_ENKUlT_T0_E_clISt17integral_constantIbLb0EES1I_IbLb1EEEEDaS1E_S1F_EUlS1E_E_NS1_11comp_targetILNS1_3genE8ELNS1_11target_archE1030ELNS1_3gpuE2ELNS1_3repE0EEENS1_30default_config_static_selectorELNS0_4arch9wavefront6targetE1EEEvT1_
		.amdhsa_group_segment_fixed_size 0
		.amdhsa_private_segment_fixed_size 0
		.amdhsa_kernarg_size 152
		.amdhsa_user_sgpr_count 2
		.amdhsa_user_sgpr_dispatch_ptr 0
		.amdhsa_user_sgpr_queue_ptr 0
		.amdhsa_user_sgpr_kernarg_segment_ptr 1
		.amdhsa_user_sgpr_dispatch_id 0
		.amdhsa_user_sgpr_kernarg_preload_length 0
		.amdhsa_user_sgpr_kernarg_preload_offset 0
		.amdhsa_user_sgpr_private_segment_size 0
		.amdhsa_uses_dynamic_stack 0
		.amdhsa_enable_private_segment 0
		.amdhsa_system_sgpr_workgroup_id_x 1
		.amdhsa_system_sgpr_workgroup_id_y 0
		.amdhsa_system_sgpr_workgroup_id_z 0
		.amdhsa_system_sgpr_workgroup_info 0
		.amdhsa_system_vgpr_workitem_id 0
		.amdhsa_next_free_vgpr 1
		.amdhsa_next_free_sgpr 0
		.amdhsa_accum_offset 4
		.amdhsa_reserve_vcc 0
		.amdhsa_float_round_mode_32 0
		.amdhsa_float_round_mode_16_64 0
		.amdhsa_float_denorm_mode_32 3
		.amdhsa_float_denorm_mode_16_64 3
		.amdhsa_dx10_clamp 1
		.amdhsa_ieee_mode 1
		.amdhsa_fp16_overflow 0
		.amdhsa_tg_split 0
		.amdhsa_exception_fp_ieee_invalid_op 0
		.amdhsa_exception_fp_denorm_src 0
		.amdhsa_exception_fp_ieee_div_zero 0
		.amdhsa_exception_fp_ieee_overflow 0
		.amdhsa_exception_fp_ieee_underflow 0
		.amdhsa_exception_fp_ieee_inexact 0
		.amdhsa_exception_int_div_zero 0
	.end_amdhsa_kernel
	.section	.text._ZN7rocprim17ROCPRIM_400000_NS6detail17trampoline_kernelINS0_14default_configENS1_25partition_config_selectorILNS1_17partition_subalgoE2EiNS0_10empty_typeEbEEZZNS1_14partition_implILS5_2ELb0ES3_jN6thrust23THRUST_200600_302600_NS6detail15normal_iteratorINSA_7pointerIiNSA_11hip_rocprim3tagENSA_11use_defaultESG_EEEEPS6_NSA_18transform_iteratorI10is_orderedNSA_12zip_iteratorINSA_5tupleINSC_INSA_10device_ptrIiEEEESQ_NSA_9null_typeESR_SR_SR_SR_SR_SR_SR_EEEESG_SG_EENS0_5tupleIJPiSJ_EEENSV_IJSJ_SJ_EEES6_PlJS6_EEE10hipError_tPvRmT3_T4_T5_T6_T7_T9_mT8_P12ihipStream_tbDpT10_ENKUlT_T0_E_clISt17integral_constantIbLb0EES1I_IbLb1EEEEDaS1E_S1F_EUlS1E_E_NS1_11comp_targetILNS1_3genE8ELNS1_11target_archE1030ELNS1_3gpuE2ELNS1_3repE0EEENS1_30default_config_static_selectorELNS0_4arch9wavefront6targetE1EEEvT1_,"axG",@progbits,_ZN7rocprim17ROCPRIM_400000_NS6detail17trampoline_kernelINS0_14default_configENS1_25partition_config_selectorILNS1_17partition_subalgoE2EiNS0_10empty_typeEbEEZZNS1_14partition_implILS5_2ELb0ES3_jN6thrust23THRUST_200600_302600_NS6detail15normal_iteratorINSA_7pointerIiNSA_11hip_rocprim3tagENSA_11use_defaultESG_EEEEPS6_NSA_18transform_iteratorI10is_orderedNSA_12zip_iteratorINSA_5tupleINSC_INSA_10device_ptrIiEEEESQ_NSA_9null_typeESR_SR_SR_SR_SR_SR_SR_EEEESG_SG_EENS0_5tupleIJPiSJ_EEENSV_IJSJ_SJ_EEES6_PlJS6_EEE10hipError_tPvRmT3_T4_T5_T6_T7_T9_mT8_P12ihipStream_tbDpT10_ENKUlT_T0_E_clISt17integral_constantIbLb0EES1I_IbLb1EEEEDaS1E_S1F_EUlS1E_E_NS1_11comp_targetILNS1_3genE8ELNS1_11target_archE1030ELNS1_3gpuE2ELNS1_3repE0EEENS1_30default_config_static_selectorELNS0_4arch9wavefront6targetE1EEEvT1_,comdat
.Lfunc_end3625:
	.size	_ZN7rocprim17ROCPRIM_400000_NS6detail17trampoline_kernelINS0_14default_configENS1_25partition_config_selectorILNS1_17partition_subalgoE2EiNS0_10empty_typeEbEEZZNS1_14partition_implILS5_2ELb0ES3_jN6thrust23THRUST_200600_302600_NS6detail15normal_iteratorINSA_7pointerIiNSA_11hip_rocprim3tagENSA_11use_defaultESG_EEEEPS6_NSA_18transform_iteratorI10is_orderedNSA_12zip_iteratorINSA_5tupleINSC_INSA_10device_ptrIiEEEESQ_NSA_9null_typeESR_SR_SR_SR_SR_SR_SR_EEEESG_SG_EENS0_5tupleIJPiSJ_EEENSV_IJSJ_SJ_EEES6_PlJS6_EEE10hipError_tPvRmT3_T4_T5_T6_T7_T9_mT8_P12ihipStream_tbDpT10_ENKUlT_T0_E_clISt17integral_constantIbLb0EES1I_IbLb1EEEEDaS1E_S1F_EUlS1E_E_NS1_11comp_targetILNS1_3genE8ELNS1_11target_archE1030ELNS1_3gpuE2ELNS1_3repE0EEENS1_30default_config_static_selectorELNS0_4arch9wavefront6targetE1EEEvT1_, .Lfunc_end3625-_ZN7rocprim17ROCPRIM_400000_NS6detail17trampoline_kernelINS0_14default_configENS1_25partition_config_selectorILNS1_17partition_subalgoE2EiNS0_10empty_typeEbEEZZNS1_14partition_implILS5_2ELb0ES3_jN6thrust23THRUST_200600_302600_NS6detail15normal_iteratorINSA_7pointerIiNSA_11hip_rocprim3tagENSA_11use_defaultESG_EEEEPS6_NSA_18transform_iteratorI10is_orderedNSA_12zip_iteratorINSA_5tupleINSC_INSA_10device_ptrIiEEEESQ_NSA_9null_typeESR_SR_SR_SR_SR_SR_SR_EEEESG_SG_EENS0_5tupleIJPiSJ_EEENSV_IJSJ_SJ_EEES6_PlJS6_EEE10hipError_tPvRmT3_T4_T5_T6_T7_T9_mT8_P12ihipStream_tbDpT10_ENKUlT_T0_E_clISt17integral_constantIbLb0EES1I_IbLb1EEEEDaS1E_S1F_EUlS1E_E_NS1_11comp_targetILNS1_3genE8ELNS1_11target_archE1030ELNS1_3gpuE2ELNS1_3repE0EEENS1_30default_config_static_selectorELNS0_4arch9wavefront6targetE1EEEvT1_
                                        ; -- End function
	.section	.AMDGPU.csdata,"",@progbits
; Kernel info:
; codeLenInByte = 0
; NumSgprs: 6
; NumVgprs: 0
; NumAgprs: 0
; TotalNumVgprs: 0
; ScratchSize: 0
; MemoryBound: 0
; FloatMode: 240
; IeeeMode: 1
; LDSByteSize: 0 bytes/workgroup (compile time only)
; SGPRBlocks: 0
; VGPRBlocks: 0
; NumSGPRsForWavesPerEU: 6
; NumVGPRsForWavesPerEU: 1
; AccumOffset: 4
; Occupancy: 8
; WaveLimiterHint : 0
; COMPUTE_PGM_RSRC2:SCRATCH_EN: 0
; COMPUTE_PGM_RSRC2:USER_SGPR: 2
; COMPUTE_PGM_RSRC2:TRAP_HANDLER: 0
; COMPUTE_PGM_RSRC2:TGID_X_EN: 1
; COMPUTE_PGM_RSRC2:TGID_Y_EN: 0
; COMPUTE_PGM_RSRC2:TGID_Z_EN: 0
; COMPUTE_PGM_RSRC2:TIDIG_COMP_CNT: 0
; COMPUTE_PGM_RSRC3_GFX90A:ACCUM_OFFSET: 0
; COMPUTE_PGM_RSRC3_GFX90A:TG_SPLIT: 0
	.section	.text._ZN7rocprim17ROCPRIM_400000_NS6detail17trampoline_kernelINS0_14default_configENS1_25partition_config_selectorILNS1_17partition_subalgoE2EsNS0_10empty_typeEbEEZZNS1_14partition_implILS5_2ELb0ES3_jN6thrust23THRUST_200600_302600_NS6detail15normal_iteratorINSA_7pointerIsNSA_11hip_rocprim3tagENSA_11use_defaultESG_EEEEPS6_NSA_18transform_iteratorI10is_orderedNSA_12zip_iteratorINSA_5tupleINSC_INSA_10device_ptrIsEEEESQ_NSA_9null_typeESR_SR_SR_SR_SR_SR_SR_EEEESG_SG_EENS0_5tupleIJPsSJ_EEENSV_IJSJ_SJ_EEES6_PlJS6_EEE10hipError_tPvRmT3_T4_T5_T6_T7_T9_mT8_P12ihipStream_tbDpT10_ENKUlT_T0_E_clISt17integral_constantIbLb0EES1J_EEDaS1E_S1F_EUlS1E_E_NS1_11comp_targetILNS1_3genE0ELNS1_11target_archE4294967295ELNS1_3gpuE0ELNS1_3repE0EEENS1_30default_config_static_selectorELNS0_4arch9wavefront6targetE1EEEvT1_,"axG",@progbits,_ZN7rocprim17ROCPRIM_400000_NS6detail17trampoline_kernelINS0_14default_configENS1_25partition_config_selectorILNS1_17partition_subalgoE2EsNS0_10empty_typeEbEEZZNS1_14partition_implILS5_2ELb0ES3_jN6thrust23THRUST_200600_302600_NS6detail15normal_iteratorINSA_7pointerIsNSA_11hip_rocprim3tagENSA_11use_defaultESG_EEEEPS6_NSA_18transform_iteratorI10is_orderedNSA_12zip_iteratorINSA_5tupleINSC_INSA_10device_ptrIsEEEESQ_NSA_9null_typeESR_SR_SR_SR_SR_SR_SR_EEEESG_SG_EENS0_5tupleIJPsSJ_EEENSV_IJSJ_SJ_EEES6_PlJS6_EEE10hipError_tPvRmT3_T4_T5_T6_T7_T9_mT8_P12ihipStream_tbDpT10_ENKUlT_T0_E_clISt17integral_constantIbLb0EES1J_EEDaS1E_S1F_EUlS1E_E_NS1_11comp_targetILNS1_3genE0ELNS1_11target_archE4294967295ELNS1_3gpuE0ELNS1_3repE0EEENS1_30default_config_static_selectorELNS0_4arch9wavefront6targetE1EEEvT1_,comdat
	.protected	_ZN7rocprim17ROCPRIM_400000_NS6detail17trampoline_kernelINS0_14default_configENS1_25partition_config_selectorILNS1_17partition_subalgoE2EsNS0_10empty_typeEbEEZZNS1_14partition_implILS5_2ELb0ES3_jN6thrust23THRUST_200600_302600_NS6detail15normal_iteratorINSA_7pointerIsNSA_11hip_rocprim3tagENSA_11use_defaultESG_EEEEPS6_NSA_18transform_iteratorI10is_orderedNSA_12zip_iteratorINSA_5tupleINSC_INSA_10device_ptrIsEEEESQ_NSA_9null_typeESR_SR_SR_SR_SR_SR_SR_EEEESG_SG_EENS0_5tupleIJPsSJ_EEENSV_IJSJ_SJ_EEES6_PlJS6_EEE10hipError_tPvRmT3_T4_T5_T6_T7_T9_mT8_P12ihipStream_tbDpT10_ENKUlT_T0_E_clISt17integral_constantIbLb0EES1J_EEDaS1E_S1F_EUlS1E_E_NS1_11comp_targetILNS1_3genE0ELNS1_11target_archE4294967295ELNS1_3gpuE0ELNS1_3repE0EEENS1_30default_config_static_selectorELNS0_4arch9wavefront6targetE1EEEvT1_ ; -- Begin function _ZN7rocprim17ROCPRIM_400000_NS6detail17trampoline_kernelINS0_14default_configENS1_25partition_config_selectorILNS1_17partition_subalgoE2EsNS0_10empty_typeEbEEZZNS1_14partition_implILS5_2ELb0ES3_jN6thrust23THRUST_200600_302600_NS6detail15normal_iteratorINSA_7pointerIsNSA_11hip_rocprim3tagENSA_11use_defaultESG_EEEEPS6_NSA_18transform_iteratorI10is_orderedNSA_12zip_iteratorINSA_5tupleINSC_INSA_10device_ptrIsEEEESQ_NSA_9null_typeESR_SR_SR_SR_SR_SR_SR_EEEESG_SG_EENS0_5tupleIJPsSJ_EEENSV_IJSJ_SJ_EEES6_PlJS6_EEE10hipError_tPvRmT3_T4_T5_T6_T7_T9_mT8_P12ihipStream_tbDpT10_ENKUlT_T0_E_clISt17integral_constantIbLb0EES1J_EEDaS1E_S1F_EUlS1E_E_NS1_11comp_targetILNS1_3genE0ELNS1_11target_archE4294967295ELNS1_3gpuE0ELNS1_3repE0EEENS1_30default_config_static_selectorELNS0_4arch9wavefront6targetE1EEEvT1_
	.globl	_ZN7rocprim17ROCPRIM_400000_NS6detail17trampoline_kernelINS0_14default_configENS1_25partition_config_selectorILNS1_17partition_subalgoE2EsNS0_10empty_typeEbEEZZNS1_14partition_implILS5_2ELb0ES3_jN6thrust23THRUST_200600_302600_NS6detail15normal_iteratorINSA_7pointerIsNSA_11hip_rocprim3tagENSA_11use_defaultESG_EEEEPS6_NSA_18transform_iteratorI10is_orderedNSA_12zip_iteratorINSA_5tupleINSC_INSA_10device_ptrIsEEEESQ_NSA_9null_typeESR_SR_SR_SR_SR_SR_SR_EEEESG_SG_EENS0_5tupleIJPsSJ_EEENSV_IJSJ_SJ_EEES6_PlJS6_EEE10hipError_tPvRmT3_T4_T5_T6_T7_T9_mT8_P12ihipStream_tbDpT10_ENKUlT_T0_E_clISt17integral_constantIbLb0EES1J_EEDaS1E_S1F_EUlS1E_E_NS1_11comp_targetILNS1_3genE0ELNS1_11target_archE4294967295ELNS1_3gpuE0ELNS1_3repE0EEENS1_30default_config_static_selectorELNS0_4arch9wavefront6targetE1EEEvT1_
	.p2align	8
	.type	_ZN7rocprim17ROCPRIM_400000_NS6detail17trampoline_kernelINS0_14default_configENS1_25partition_config_selectorILNS1_17partition_subalgoE2EsNS0_10empty_typeEbEEZZNS1_14partition_implILS5_2ELb0ES3_jN6thrust23THRUST_200600_302600_NS6detail15normal_iteratorINSA_7pointerIsNSA_11hip_rocprim3tagENSA_11use_defaultESG_EEEEPS6_NSA_18transform_iteratorI10is_orderedNSA_12zip_iteratorINSA_5tupleINSC_INSA_10device_ptrIsEEEESQ_NSA_9null_typeESR_SR_SR_SR_SR_SR_SR_EEEESG_SG_EENS0_5tupleIJPsSJ_EEENSV_IJSJ_SJ_EEES6_PlJS6_EEE10hipError_tPvRmT3_T4_T5_T6_T7_T9_mT8_P12ihipStream_tbDpT10_ENKUlT_T0_E_clISt17integral_constantIbLb0EES1J_EEDaS1E_S1F_EUlS1E_E_NS1_11comp_targetILNS1_3genE0ELNS1_11target_archE4294967295ELNS1_3gpuE0ELNS1_3repE0EEENS1_30default_config_static_selectorELNS0_4arch9wavefront6targetE1EEEvT1_,@function
_ZN7rocprim17ROCPRIM_400000_NS6detail17trampoline_kernelINS0_14default_configENS1_25partition_config_selectorILNS1_17partition_subalgoE2EsNS0_10empty_typeEbEEZZNS1_14partition_implILS5_2ELb0ES3_jN6thrust23THRUST_200600_302600_NS6detail15normal_iteratorINSA_7pointerIsNSA_11hip_rocprim3tagENSA_11use_defaultESG_EEEEPS6_NSA_18transform_iteratorI10is_orderedNSA_12zip_iteratorINSA_5tupleINSC_INSA_10device_ptrIsEEEESQ_NSA_9null_typeESR_SR_SR_SR_SR_SR_SR_EEEESG_SG_EENS0_5tupleIJPsSJ_EEENSV_IJSJ_SJ_EEES6_PlJS6_EEE10hipError_tPvRmT3_T4_T5_T6_T7_T9_mT8_P12ihipStream_tbDpT10_ENKUlT_T0_E_clISt17integral_constantIbLb0EES1J_EEDaS1E_S1F_EUlS1E_E_NS1_11comp_targetILNS1_3genE0ELNS1_11target_archE4294967295ELNS1_3gpuE0ELNS1_3repE0EEENS1_30default_config_static_selectorELNS0_4arch9wavefront6targetE1EEEvT1_: ; @_ZN7rocprim17ROCPRIM_400000_NS6detail17trampoline_kernelINS0_14default_configENS1_25partition_config_selectorILNS1_17partition_subalgoE2EsNS0_10empty_typeEbEEZZNS1_14partition_implILS5_2ELb0ES3_jN6thrust23THRUST_200600_302600_NS6detail15normal_iteratorINSA_7pointerIsNSA_11hip_rocprim3tagENSA_11use_defaultESG_EEEEPS6_NSA_18transform_iteratorI10is_orderedNSA_12zip_iteratorINSA_5tupleINSC_INSA_10device_ptrIsEEEESQ_NSA_9null_typeESR_SR_SR_SR_SR_SR_SR_EEEESG_SG_EENS0_5tupleIJPsSJ_EEENSV_IJSJ_SJ_EEES6_PlJS6_EEE10hipError_tPvRmT3_T4_T5_T6_T7_T9_mT8_P12ihipStream_tbDpT10_ENKUlT_T0_E_clISt17integral_constantIbLb0EES1J_EEDaS1E_S1F_EUlS1E_E_NS1_11comp_targetILNS1_3genE0ELNS1_11target_archE4294967295ELNS1_3gpuE0ELNS1_3repE0EEENS1_30default_config_static_selectorELNS0_4arch9wavefront6targetE1EEEvT1_
; %bb.0:
	.section	.rodata,"a",@progbits
	.p2align	6, 0x0
	.amdhsa_kernel _ZN7rocprim17ROCPRIM_400000_NS6detail17trampoline_kernelINS0_14default_configENS1_25partition_config_selectorILNS1_17partition_subalgoE2EsNS0_10empty_typeEbEEZZNS1_14partition_implILS5_2ELb0ES3_jN6thrust23THRUST_200600_302600_NS6detail15normal_iteratorINSA_7pointerIsNSA_11hip_rocprim3tagENSA_11use_defaultESG_EEEEPS6_NSA_18transform_iteratorI10is_orderedNSA_12zip_iteratorINSA_5tupleINSC_INSA_10device_ptrIsEEEESQ_NSA_9null_typeESR_SR_SR_SR_SR_SR_SR_EEEESG_SG_EENS0_5tupleIJPsSJ_EEENSV_IJSJ_SJ_EEES6_PlJS6_EEE10hipError_tPvRmT3_T4_T5_T6_T7_T9_mT8_P12ihipStream_tbDpT10_ENKUlT_T0_E_clISt17integral_constantIbLb0EES1J_EEDaS1E_S1F_EUlS1E_E_NS1_11comp_targetILNS1_3genE0ELNS1_11target_archE4294967295ELNS1_3gpuE0ELNS1_3repE0EEENS1_30default_config_static_selectorELNS0_4arch9wavefront6targetE1EEEvT1_
		.amdhsa_group_segment_fixed_size 0
		.amdhsa_private_segment_fixed_size 0
		.amdhsa_kernarg_size 136
		.amdhsa_user_sgpr_count 2
		.amdhsa_user_sgpr_dispatch_ptr 0
		.amdhsa_user_sgpr_queue_ptr 0
		.amdhsa_user_sgpr_kernarg_segment_ptr 1
		.amdhsa_user_sgpr_dispatch_id 0
		.amdhsa_user_sgpr_kernarg_preload_length 0
		.amdhsa_user_sgpr_kernarg_preload_offset 0
		.amdhsa_user_sgpr_private_segment_size 0
		.amdhsa_uses_dynamic_stack 0
		.amdhsa_enable_private_segment 0
		.amdhsa_system_sgpr_workgroup_id_x 1
		.amdhsa_system_sgpr_workgroup_id_y 0
		.amdhsa_system_sgpr_workgroup_id_z 0
		.amdhsa_system_sgpr_workgroup_info 0
		.amdhsa_system_vgpr_workitem_id 0
		.amdhsa_next_free_vgpr 1
		.amdhsa_next_free_sgpr 0
		.amdhsa_accum_offset 4
		.amdhsa_reserve_vcc 0
		.amdhsa_float_round_mode_32 0
		.amdhsa_float_round_mode_16_64 0
		.amdhsa_float_denorm_mode_32 3
		.amdhsa_float_denorm_mode_16_64 3
		.amdhsa_dx10_clamp 1
		.amdhsa_ieee_mode 1
		.amdhsa_fp16_overflow 0
		.amdhsa_tg_split 0
		.amdhsa_exception_fp_ieee_invalid_op 0
		.amdhsa_exception_fp_denorm_src 0
		.amdhsa_exception_fp_ieee_div_zero 0
		.amdhsa_exception_fp_ieee_overflow 0
		.amdhsa_exception_fp_ieee_underflow 0
		.amdhsa_exception_fp_ieee_inexact 0
		.amdhsa_exception_int_div_zero 0
	.end_amdhsa_kernel
	.section	.text._ZN7rocprim17ROCPRIM_400000_NS6detail17trampoline_kernelINS0_14default_configENS1_25partition_config_selectorILNS1_17partition_subalgoE2EsNS0_10empty_typeEbEEZZNS1_14partition_implILS5_2ELb0ES3_jN6thrust23THRUST_200600_302600_NS6detail15normal_iteratorINSA_7pointerIsNSA_11hip_rocprim3tagENSA_11use_defaultESG_EEEEPS6_NSA_18transform_iteratorI10is_orderedNSA_12zip_iteratorINSA_5tupleINSC_INSA_10device_ptrIsEEEESQ_NSA_9null_typeESR_SR_SR_SR_SR_SR_SR_EEEESG_SG_EENS0_5tupleIJPsSJ_EEENSV_IJSJ_SJ_EEES6_PlJS6_EEE10hipError_tPvRmT3_T4_T5_T6_T7_T9_mT8_P12ihipStream_tbDpT10_ENKUlT_T0_E_clISt17integral_constantIbLb0EES1J_EEDaS1E_S1F_EUlS1E_E_NS1_11comp_targetILNS1_3genE0ELNS1_11target_archE4294967295ELNS1_3gpuE0ELNS1_3repE0EEENS1_30default_config_static_selectorELNS0_4arch9wavefront6targetE1EEEvT1_,"axG",@progbits,_ZN7rocprim17ROCPRIM_400000_NS6detail17trampoline_kernelINS0_14default_configENS1_25partition_config_selectorILNS1_17partition_subalgoE2EsNS0_10empty_typeEbEEZZNS1_14partition_implILS5_2ELb0ES3_jN6thrust23THRUST_200600_302600_NS6detail15normal_iteratorINSA_7pointerIsNSA_11hip_rocprim3tagENSA_11use_defaultESG_EEEEPS6_NSA_18transform_iteratorI10is_orderedNSA_12zip_iteratorINSA_5tupleINSC_INSA_10device_ptrIsEEEESQ_NSA_9null_typeESR_SR_SR_SR_SR_SR_SR_EEEESG_SG_EENS0_5tupleIJPsSJ_EEENSV_IJSJ_SJ_EEES6_PlJS6_EEE10hipError_tPvRmT3_T4_T5_T6_T7_T9_mT8_P12ihipStream_tbDpT10_ENKUlT_T0_E_clISt17integral_constantIbLb0EES1J_EEDaS1E_S1F_EUlS1E_E_NS1_11comp_targetILNS1_3genE0ELNS1_11target_archE4294967295ELNS1_3gpuE0ELNS1_3repE0EEENS1_30default_config_static_selectorELNS0_4arch9wavefront6targetE1EEEvT1_,comdat
.Lfunc_end3626:
	.size	_ZN7rocprim17ROCPRIM_400000_NS6detail17trampoline_kernelINS0_14default_configENS1_25partition_config_selectorILNS1_17partition_subalgoE2EsNS0_10empty_typeEbEEZZNS1_14partition_implILS5_2ELb0ES3_jN6thrust23THRUST_200600_302600_NS6detail15normal_iteratorINSA_7pointerIsNSA_11hip_rocprim3tagENSA_11use_defaultESG_EEEEPS6_NSA_18transform_iteratorI10is_orderedNSA_12zip_iteratorINSA_5tupleINSC_INSA_10device_ptrIsEEEESQ_NSA_9null_typeESR_SR_SR_SR_SR_SR_SR_EEEESG_SG_EENS0_5tupleIJPsSJ_EEENSV_IJSJ_SJ_EEES6_PlJS6_EEE10hipError_tPvRmT3_T4_T5_T6_T7_T9_mT8_P12ihipStream_tbDpT10_ENKUlT_T0_E_clISt17integral_constantIbLb0EES1J_EEDaS1E_S1F_EUlS1E_E_NS1_11comp_targetILNS1_3genE0ELNS1_11target_archE4294967295ELNS1_3gpuE0ELNS1_3repE0EEENS1_30default_config_static_selectorELNS0_4arch9wavefront6targetE1EEEvT1_, .Lfunc_end3626-_ZN7rocprim17ROCPRIM_400000_NS6detail17trampoline_kernelINS0_14default_configENS1_25partition_config_selectorILNS1_17partition_subalgoE2EsNS0_10empty_typeEbEEZZNS1_14partition_implILS5_2ELb0ES3_jN6thrust23THRUST_200600_302600_NS6detail15normal_iteratorINSA_7pointerIsNSA_11hip_rocprim3tagENSA_11use_defaultESG_EEEEPS6_NSA_18transform_iteratorI10is_orderedNSA_12zip_iteratorINSA_5tupleINSC_INSA_10device_ptrIsEEEESQ_NSA_9null_typeESR_SR_SR_SR_SR_SR_SR_EEEESG_SG_EENS0_5tupleIJPsSJ_EEENSV_IJSJ_SJ_EEES6_PlJS6_EEE10hipError_tPvRmT3_T4_T5_T6_T7_T9_mT8_P12ihipStream_tbDpT10_ENKUlT_T0_E_clISt17integral_constantIbLb0EES1J_EEDaS1E_S1F_EUlS1E_E_NS1_11comp_targetILNS1_3genE0ELNS1_11target_archE4294967295ELNS1_3gpuE0ELNS1_3repE0EEENS1_30default_config_static_selectorELNS0_4arch9wavefront6targetE1EEEvT1_
                                        ; -- End function
	.section	.AMDGPU.csdata,"",@progbits
; Kernel info:
; codeLenInByte = 0
; NumSgprs: 6
; NumVgprs: 0
; NumAgprs: 0
; TotalNumVgprs: 0
; ScratchSize: 0
; MemoryBound: 0
; FloatMode: 240
; IeeeMode: 1
; LDSByteSize: 0 bytes/workgroup (compile time only)
; SGPRBlocks: 0
; VGPRBlocks: 0
; NumSGPRsForWavesPerEU: 6
; NumVGPRsForWavesPerEU: 1
; AccumOffset: 4
; Occupancy: 8
; WaveLimiterHint : 0
; COMPUTE_PGM_RSRC2:SCRATCH_EN: 0
; COMPUTE_PGM_RSRC2:USER_SGPR: 2
; COMPUTE_PGM_RSRC2:TRAP_HANDLER: 0
; COMPUTE_PGM_RSRC2:TGID_X_EN: 1
; COMPUTE_PGM_RSRC2:TGID_Y_EN: 0
; COMPUTE_PGM_RSRC2:TGID_Z_EN: 0
; COMPUTE_PGM_RSRC2:TIDIG_COMP_CNT: 0
; COMPUTE_PGM_RSRC3_GFX90A:ACCUM_OFFSET: 0
; COMPUTE_PGM_RSRC3_GFX90A:TG_SPLIT: 0
	.section	.text._ZN7rocprim17ROCPRIM_400000_NS6detail17trampoline_kernelINS0_14default_configENS1_25partition_config_selectorILNS1_17partition_subalgoE2EsNS0_10empty_typeEbEEZZNS1_14partition_implILS5_2ELb0ES3_jN6thrust23THRUST_200600_302600_NS6detail15normal_iteratorINSA_7pointerIsNSA_11hip_rocprim3tagENSA_11use_defaultESG_EEEEPS6_NSA_18transform_iteratorI10is_orderedNSA_12zip_iteratorINSA_5tupleINSC_INSA_10device_ptrIsEEEESQ_NSA_9null_typeESR_SR_SR_SR_SR_SR_SR_EEEESG_SG_EENS0_5tupleIJPsSJ_EEENSV_IJSJ_SJ_EEES6_PlJS6_EEE10hipError_tPvRmT3_T4_T5_T6_T7_T9_mT8_P12ihipStream_tbDpT10_ENKUlT_T0_E_clISt17integral_constantIbLb0EES1J_EEDaS1E_S1F_EUlS1E_E_NS1_11comp_targetILNS1_3genE5ELNS1_11target_archE942ELNS1_3gpuE9ELNS1_3repE0EEENS1_30default_config_static_selectorELNS0_4arch9wavefront6targetE1EEEvT1_,"axG",@progbits,_ZN7rocprim17ROCPRIM_400000_NS6detail17trampoline_kernelINS0_14default_configENS1_25partition_config_selectorILNS1_17partition_subalgoE2EsNS0_10empty_typeEbEEZZNS1_14partition_implILS5_2ELb0ES3_jN6thrust23THRUST_200600_302600_NS6detail15normal_iteratorINSA_7pointerIsNSA_11hip_rocprim3tagENSA_11use_defaultESG_EEEEPS6_NSA_18transform_iteratorI10is_orderedNSA_12zip_iteratorINSA_5tupleINSC_INSA_10device_ptrIsEEEESQ_NSA_9null_typeESR_SR_SR_SR_SR_SR_SR_EEEESG_SG_EENS0_5tupleIJPsSJ_EEENSV_IJSJ_SJ_EEES6_PlJS6_EEE10hipError_tPvRmT3_T4_T5_T6_T7_T9_mT8_P12ihipStream_tbDpT10_ENKUlT_T0_E_clISt17integral_constantIbLb0EES1J_EEDaS1E_S1F_EUlS1E_E_NS1_11comp_targetILNS1_3genE5ELNS1_11target_archE942ELNS1_3gpuE9ELNS1_3repE0EEENS1_30default_config_static_selectorELNS0_4arch9wavefront6targetE1EEEvT1_,comdat
	.protected	_ZN7rocprim17ROCPRIM_400000_NS6detail17trampoline_kernelINS0_14default_configENS1_25partition_config_selectorILNS1_17partition_subalgoE2EsNS0_10empty_typeEbEEZZNS1_14partition_implILS5_2ELb0ES3_jN6thrust23THRUST_200600_302600_NS6detail15normal_iteratorINSA_7pointerIsNSA_11hip_rocprim3tagENSA_11use_defaultESG_EEEEPS6_NSA_18transform_iteratorI10is_orderedNSA_12zip_iteratorINSA_5tupleINSC_INSA_10device_ptrIsEEEESQ_NSA_9null_typeESR_SR_SR_SR_SR_SR_SR_EEEESG_SG_EENS0_5tupleIJPsSJ_EEENSV_IJSJ_SJ_EEES6_PlJS6_EEE10hipError_tPvRmT3_T4_T5_T6_T7_T9_mT8_P12ihipStream_tbDpT10_ENKUlT_T0_E_clISt17integral_constantIbLb0EES1J_EEDaS1E_S1F_EUlS1E_E_NS1_11comp_targetILNS1_3genE5ELNS1_11target_archE942ELNS1_3gpuE9ELNS1_3repE0EEENS1_30default_config_static_selectorELNS0_4arch9wavefront6targetE1EEEvT1_ ; -- Begin function _ZN7rocprim17ROCPRIM_400000_NS6detail17trampoline_kernelINS0_14default_configENS1_25partition_config_selectorILNS1_17partition_subalgoE2EsNS0_10empty_typeEbEEZZNS1_14partition_implILS5_2ELb0ES3_jN6thrust23THRUST_200600_302600_NS6detail15normal_iteratorINSA_7pointerIsNSA_11hip_rocprim3tagENSA_11use_defaultESG_EEEEPS6_NSA_18transform_iteratorI10is_orderedNSA_12zip_iteratorINSA_5tupleINSC_INSA_10device_ptrIsEEEESQ_NSA_9null_typeESR_SR_SR_SR_SR_SR_SR_EEEESG_SG_EENS0_5tupleIJPsSJ_EEENSV_IJSJ_SJ_EEES6_PlJS6_EEE10hipError_tPvRmT3_T4_T5_T6_T7_T9_mT8_P12ihipStream_tbDpT10_ENKUlT_T0_E_clISt17integral_constantIbLb0EES1J_EEDaS1E_S1F_EUlS1E_E_NS1_11comp_targetILNS1_3genE5ELNS1_11target_archE942ELNS1_3gpuE9ELNS1_3repE0EEENS1_30default_config_static_selectorELNS0_4arch9wavefront6targetE1EEEvT1_
	.globl	_ZN7rocprim17ROCPRIM_400000_NS6detail17trampoline_kernelINS0_14default_configENS1_25partition_config_selectorILNS1_17partition_subalgoE2EsNS0_10empty_typeEbEEZZNS1_14partition_implILS5_2ELb0ES3_jN6thrust23THRUST_200600_302600_NS6detail15normal_iteratorINSA_7pointerIsNSA_11hip_rocprim3tagENSA_11use_defaultESG_EEEEPS6_NSA_18transform_iteratorI10is_orderedNSA_12zip_iteratorINSA_5tupleINSC_INSA_10device_ptrIsEEEESQ_NSA_9null_typeESR_SR_SR_SR_SR_SR_SR_EEEESG_SG_EENS0_5tupleIJPsSJ_EEENSV_IJSJ_SJ_EEES6_PlJS6_EEE10hipError_tPvRmT3_T4_T5_T6_T7_T9_mT8_P12ihipStream_tbDpT10_ENKUlT_T0_E_clISt17integral_constantIbLb0EES1J_EEDaS1E_S1F_EUlS1E_E_NS1_11comp_targetILNS1_3genE5ELNS1_11target_archE942ELNS1_3gpuE9ELNS1_3repE0EEENS1_30default_config_static_selectorELNS0_4arch9wavefront6targetE1EEEvT1_
	.p2align	8
	.type	_ZN7rocprim17ROCPRIM_400000_NS6detail17trampoline_kernelINS0_14default_configENS1_25partition_config_selectorILNS1_17partition_subalgoE2EsNS0_10empty_typeEbEEZZNS1_14partition_implILS5_2ELb0ES3_jN6thrust23THRUST_200600_302600_NS6detail15normal_iteratorINSA_7pointerIsNSA_11hip_rocprim3tagENSA_11use_defaultESG_EEEEPS6_NSA_18transform_iteratorI10is_orderedNSA_12zip_iteratorINSA_5tupleINSC_INSA_10device_ptrIsEEEESQ_NSA_9null_typeESR_SR_SR_SR_SR_SR_SR_EEEESG_SG_EENS0_5tupleIJPsSJ_EEENSV_IJSJ_SJ_EEES6_PlJS6_EEE10hipError_tPvRmT3_T4_T5_T6_T7_T9_mT8_P12ihipStream_tbDpT10_ENKUlT_T0_E_clISt17integral_constantIbLb0EES1J_EEDaS1E_S1F_EUlS1E_E_NS1_11comp_targetILNS1_3genE5ELNS1_11target_archE942ELNS1_3gpuE9ELNS1_3repE0EEENS1_30default_config_static_selectorELNS0_4arch9wavefront6targetE1EEEvT1_,@function
_ZN7rocprim17ROCPRIM_400000_NS6detail17trampoline_kernelINS0_14default_configENS1_25partition_config_selectorILNS1_17partition_subalgoE2EsNS0_10empty_typeEbEEZZNS1_14partition_implILS5_2ELb0ES3_jN6thrust23THRUST_200600_302600_NS6detail15normal_iteratorINSA_7pointerIsNSA_11hip_rocprim3tagENSA_11use_defaultESG_EEEEPS6_NSA_18transform_iteratorI10is_orderedNSA_12zip_iteratorINSA_5tupleINSC_INSA_10device_ptrIsEEEESQ_NSA_9null_typeESR_SR_SR_SR_SR_SR_SR_EEEESG_SG_EENS0_5tupleIJPsSJ_EEENSV_IJSJ_SJ_EEES6_PlJS6_EEE10hipError_tPvRmT3_T4_T5_T6_T7_T9_mT8_P12ihipStream_tbDpT10_ENKUlT_T0_E_clISt17integral_constantIbLb0EES1J_EEDaS1E_S1F_EUlS1E_E_NS1_11comp_targetILNS1_3genE5ELNS1_11target_archE942ELNS1_3gpuE9ELNS1_3repE0EEENS1_30default_config_static_selectorELNS0_4arch9wavefront6targetE1EEEvT1_: ; @_ZN7rocprim17ROCPRIM_400000_NS6detail17trampoline_kernelINS0_14default_configENS1_25partition_config_selectorILNS1_17partition_subalgoE2EsNS0_10empty_typeEbEEZZNS1_14partition_implILS5_2ELb0ES3_jN6thrust23THRUST_200600_302600_NS6detail15normal_iteratorINSA_7pointerIsNSA_11hip_rocprim3tagENSA_11use_defaultESG_EEEEPS6_NSA_18transform_iteratorI10is_orderedNSA_12zip_iteratorINSA_5tupleINSC_INSA_10device_ptrIsEEEESQ_NSA_9null_typeESR_SR_SR_SR_SR_SR_SR_EEEESG_SG_EENS0_5tupleIJPsSJ_EEENSV_IJSJ_SJ_EEES6_PlJS6_EEE10hipError_tPvRmT3_T4_T5_T6_T7_T9_mT8_P12ihipStream_tbDpT10_ENKUlT_T0_E_clISt17integral_constantIbLb0EES1J_EEDaS1E_S1F_EUlS1E_E_NS1_11comp_targetILNS1_3genE5ELNS1_11target_archE942ELNS1_3gpuE9ELNS1_3repE0EEENS1_30default_config_static_selectorELNS0_4arch9wavefront6targetE1EEEvT1_
; %bb.0:
	s_load_dwordx4 s[24:27], s[0:1], 0x8
	s_load_dwordx4 s[20:23], s[0:1], 0x58
	s_load_dwordx2 s[28:29], s[0:1], 0x68
	s_load_dword s3, s[0:1], 0x80
	v_lshlrev_b32_e32 v12, 1, v0
	s_waitcnt lgkmcnt(0)
	s_lshl_b64 s[6:7], s[26:27], 1
	s_add_u32 s8, s24, s6
	s_addc_u32 s9, s25, s7
	s_add_i32 s10, s3, -1
	s_mulk_i32 s3, 0x3c00
	s_add_i32 s4, s3, s26
	s_sub_i32 s33, s28, s4
	s_addk_i32 s33, 0x3c00
	s_add_u32 s4, s26, s3
	s_addc_u32 s5, s27, 0
	s_cmp_eq_u32 s2, s10
	s_load_dwordx2 s[30:31], s[22:23], 0x0
	v_mov_b64_e32 v[2:3], s[28:29]
	s_cselect_b64 s[22:23], -1, 0
	s_cmp_lg_u32 s2, s10
	s_mul_i32 s24, s2, 0x3c00
	s_mov_b32 s25, 0
	v_cmp_lt_u64_e32 vcc, s[4:5], v[2:3]
	s_cselect_b64 s[4:5], -1, 0
	s_or_b64 s[34:35], s[4:5], vcc
	s_lshl_b64 s[12:13], s[24:25], 1
	s_add_u32 s14, s8, s12
	s_addc_u32 s15, s9, s13
	s_mov_b64 s[4:5], -1
	s_and_b64 vcc, exec, s[34:35]
	s_cbranch_vccz .LBB3627_2
; %bb.1:
	v_mov_b32_e32 v13, 0
	v_lshl_add_u64 v[2:3], s[14:15], 0, v[12:13]
	v_add_co_u32_e32 v4, vcc, 0x1000, v2
	s_mov_b64 s[4:5], 0
	s_nop 0
	v_addc_co_u32_e32 v5, vcc, 0, v3, vcc
	flat_load_ushort v1, v[2:3]
	flat_load_ushort v8, v[2:3] offset:1024
	flat_load_ushort v9, v[2:3] offset:2048
	flat_load_ushort v10, v[2:3] offset:3072
	flat_load_ushort v11, v[4:5]
	flat_load_ushort v13, v[4:5] offset:1024
	flat_load_ushort v14, v[4:5] offset:2048
	flat_load_ushort v15, v[4:5] offset:3072
	v_add_co_u32_e32 v4, vcc, 0x2000, v2
	s_nop 1
	v_addc_co_u32_e32 v5, vcc, 0, v3, vcc
	v_add_co_u32_e32 v6, vcc, 0x3000, v2
	s_nop 1
	v_addc_co_u32_e32 v7, vcc, 0, v3, vcc
	flat_load_ushort v16, v[4:5]
	flat_load_ushort v17, v[4:5] offset:1024
	flat_load_ushort v18, v[4:5] offset:2048
	flat_load_ushort v19, v[4:5] offset:3072
	flat_load_ushort v20, v[6:7]
	flat_load_ushort v21, v[6:7] offset:1024
	flat_load_ushort v22, v[6:7] offset:2048
	flat_load_ushort v23, v[6:7] offset:3072
	v_add_co_u32_e32 v4, vcc, 0x4000, v2
	s_nop 1
	v_addc_co_u32_e32 v5, vcc, 0, v3, vcc
	v_add_co_u32_e32 v6, vcc, 0x5000, v2
	;; [unrolled: 14-line block ×3, first 2 shown]
	s_nop 1
	v_addc_co_u32_e32 v3, vcc, 0, v3, vcc
	flat_load_ushort v6, v[4:5]
	flat_load_ushort v7, v[4:5] offset:1024
	flat_load_ushort v32, v[4:5] offset:2048
	flat_load_ushort v33, v[4:5] offset:3072
	flat_load_ushort v34, v[2:3]
	flat_load_ushort v35, v[2:3] offset:1024
	s_waitcnt vmcnt(0) lgkmcnt(0)
	ds_write_b16 v12, v1
	ds_write_b16 v12, v8 offset:1024
	ds_write_b16 v12, v9 offset:2048
	;; [unrolled: 1-line block ×29, first 2 shown]
	s_waitcnt lgkmcnt(0)
	s_barrier
.LBB3627_2:
	s_load_dwordx4 s[8:11], s[0:1], 0x20
	s_andn2_b64 vcc, exec, s[4:5]
	v_cmp_gt_u32_e64 s[4:5], s33, v0
	s_cbranch_vccnz .LBB3627_64
; %bb.3:
                                        ; implicit-def: $vgpr1
	s_and_saveexec_b64 s[16:17], s[4:5]
	s_cbranch_execz .LBB3627_5
; %bb.4:
	v_mov_b32_e32 v13, 0
	v_lshl_add_u64 v[2:3], s[14:15], 0, v[12:13]
	flat_load_ushort v1, v[2:3]
.LBB3627_5:
	s_or_b64 exec, exec, s[16:17]
	v_or_b32_e32 v2, 0x200, v0
	v_cmp_gt_u32_e32 vcc, s33, v2
                                        ; implicit-def: $vgpr2
	s_and_saveexec_b64 s[4:5], vcc
	s_cbranch_execz .LBB3627_7
; %bb.6:
	v_mov_b32_e32 v13, 0
	v_lshl_add_u64 v[2:3], s[14:15], 0, v[12:13]
	flat_load_ushort v2, v[2:3] offset:1024
.LBB3627_7:
	s_or_b64 exec, exec, s[4:5]
	v_or_b32_e32 v3, 0x400, v0
	v_cmp_gt_u32_e32 vcc, s33, v3
                                        ; implicit-def: $vgpr3
	s_and_saveexec_b64 s[4:5], vcc
	s_cbranch_execz .LBB3627_9
; %bb.8:
	v_mov_b32_e32 v13, 0
	v_lshl_add_u64 v[4:5], s[14:15], 0, v[12:13]
	flat_load_ushort v3, v[4:5] offset:2048
.LBB3627_9:
	s_or_b64 exec, exec, s[4:5]
	v_or_b32_e32 v4, 0x600, v0
	v_cmp_gt_u32_e32 vcc, s33, v4
                                        ; implicit-def: $vgpr4
	s_and_saveexec_b64 s[4:5], vcc
	s_cbranch_execz .LBB3627_11
; %bb.10:
	v_mov_b32_e32 v13, 0
	v_lshl_add_u64 v[4:5], s[14:15], 0, v[12:13]
	flat_load_ushort v4, v[4:5] offset:3072
.LBB3627_11:
	s_or_b64 exec, exec, s[4:5]
	v_or_b32_e32 v6, 0x800, v0
	v_cmp_gt_u32_e32 vcc, s33, v6
                                        ; implicit-def: $vgpr5
	s_and_saveexec_b64 s[4:5], vcc
	s_cbranch_execz .LBB3627_13
; %bb.12:
	v_lshlrev_b32_e32 v6, 1, v6
	v_mov_b32_e32 v7, 0
	v_lshl_add_u64 v[6:7], s[14:15], 0, v[6:7]
	flat_load_ushort v5, v[6:7]
.LBB3627_13:
	s_or_b64 exec, exec, s[4:5]
	v_or_b32_e32 v7, 0xa00, v0
	v_cmp_gt_u32_e32 vcc, s33, v7
                                        ; implicit-def: $vgpr6
	s_and_saveexec_b64 s[4:5], vcc
	s_cbranch_execz .LBB3627_15
; %bb.14:
	v_lshlrev_b32_e32 v6, 1, v7
	v_mov_b32_e32 v7, 0
	v_lshl_add_u64 v[6:7], s[14:15], 0, v[6:7]
	flat_load_ushort v6, v[6:7]
.LBB3627_15:
	s_or_b64 exec, exec, s[4:5]
	v_or_b32_e32 v8, 0xc00, v0
	v_cmp_gt_u32_e32 vcc, s33, v8
                                        ; implicit-def: $vgpr7
	s_and_saveexec_b64 s[4:5], vcc
	s_cbranch_execz .LBB3627_17
; %bb.16:
	v_lshlrev_b32_e32 v8, 1, v8
	v_mov_b32_e32 v9, 0
	v_lshl_add_u64 v[8:9], s[14:15], 0, v[8:9]
	flat_load_ushort v7, v[8:9]
.LBB3627_17:
	s_or_b64 exec, exec, s[4:5]
	v_or_b32_e32 v9, 0xe00, v0
	v_cmp_gt_u32_e32 vcc, s33, v9
                                        ; implicit-def: $vgpr8
	s_and_saveexec_b64 s[4:5], vcc
	s_cbranch_execz .LBB3627_19
; %bb.18:
	v_lshlrev_b32_e32 v8, 1, v9
	v_mov_b32_e32 v9, 0
	v_lshl_add_u64 v[8:9], s[14:15], 0, v[8:9]
	flat_load_ushort v8, v[8:9]
.LBB3627_19:
	s_or_b64 exec, exec, s[4:5]
	v_or_b32_e32 v10, 0x1000, v0
	v_cmp_gt_u32_e32 vcc, s33, v10
                                        ; implicit-def: $vgpr9
	s_and_saveexec_b64 s[4:5], vcc
	s_cbranch_execz .LBB3627_21
; %bb.20:
	v_lshlrev_b32_e32 v10, 1, v10
	v_mov_b32_e32 v11, 0
	v_lshl_add_u64 v[10:11], s[14:15], 0, v[10:11]
	flat_load_ushort v9, v[10:11]
.LBB3627_21:
	s_or_b64 exec, exec, s[4:5]
	v_or_b32_e32 v11, 0x1200, v0
	v_cmp_gt_u32_e32 vcc, s33, v11
                                        ; implicit-def: $vgpr10
	s_and_saveexec_b64 s[4:5], vcc
	s_cbranch_execz .LBB3627_23
; %bb.22:
	v_lshlrev_b32_e32 v10, 1, v11
	v_mov_b32_e32 v11, 0
	v_lshl_add_u64 v[10:11], s[14:15], 0, v[10:11]
	flat_load_ushort v10, v[10:11]
.LBB3627_23:
	s_or_b64 exec, exec, s[4:5]
	v_or_b32_e32 v13, 0x1400, v0
	v_cmp_gt_u32_e32 vcc, s33, v13
                                        ; implicit-def: $vgpr11
	s_and_saveexec_b64 s[4:5], vcc
	s_cbranch_execz .LBB3627_25
; %bb.24:
	v_lshlrev_b32_e32 v14, 1, v13
	v_mov_b32_e32 v15, 0
	v_lshl_add_u64 v[14:15], s[14:15], 0, v[14:15]
	flat_load_ushort v11, v[14:15]
.LBB3627_25:
	s_or_b64 exec, exec, s[4:5]
	v_or_b32_e32 v14, 0x1600, v0
	v_cmp_gt_u32_e32 vcc, s33, v14
                                        ; implicit-def: $vgpr13
	s_and_saveexec_b64 s[4:5], vcc
	s_cbranch_execz .LBB3627_27
; %bb.26:
	v_lshlrev_b32_e32 v14, 1, v14
	v_mov_b32_e32 v15, 0
	v_lshl_add_u64 v[14:15], s[14:15], 0, v[14:15]
	flat_load_ushort v13, v[14:15]
.LBB3627_27:
	s_or_b64 exec, exec, s[4:5]
	v_or_b32_e32 v15, 0x1800, v0
	v_cmp_gt_u32_e32 vcc, s33, v15
                                        ; implicit-def: $vgpr14
	s_and_saveexec_b64 s[4:5], vcc
	s_cbranch_execz .LBB3627_29
; %bb.28:
	v_lshlrev_b32_e32 v14, 1, v15
	v_mov_b32_e32 v15, 0
	v_lshl_add_u64 v[14:15], s[14:15], 0, v[14:15]
	flat_load_ushort v14, v[14:15]
.LBB3627_29:
	s_or_b64 exec, exec, s[4:5]
	v_or_b32_e32 v16, 0x1a00, v0
	v_cmp_gt_u32_e32 vcc, s33, v16
                                        ; implicit-def: $vgpr15
	s_and_saveexec_b64 s[4:5], vcc
	s_cbranch_execz .LBB3627_31
; %bb.30:
	v_lshlrev_b32_e32 v16, 1, v16
	v_mov_b32_e32 v17, 0
	v_lshl_add_u64 v[16:17], s[14:15], 0, v[16:17]
	flat_load_ushort v15, v[16:17]
.LBB3627_31:
	s_or_b64 exec, exec, s[4:5]
	v_or_b32_e32 v17, 0x1c00, v0
	v_cmp_gt_u32_e32 vcc, s33, v17
                                        ; implicit-def: $vgpr16
	s_and_saveexec_b64 s[4:5], vcc
	s_cbranch_execz .LBB3627_33
; %bb.32:
	v_lshlrev_b32_e32 v16, 1, v17
	v_mov_b32_e32 v17, 0
	v_lshl_add_u64 v[16:17], s[14:15], 0, v[16:17]
	flat_load_ushort v16, v[16:17]
.LBB3627_33:
	s_or_b64 exec, exec, s[4:5]
	v_or_b32_e32 v18, 0x1e00, v0
	v_cmp_gt_u32_e32 vcc, s33, v18
                                        ; implicit-def: $vgpr17
	s_and_saveexec_b64 s[4:5], vcc
	s_cbranch_execz .LBB3627_35
; %bb.34:
	v_lshlrev_b32_e32 v18, 1, v18
	v_mov_b32_e32 v19, 0
	v_lshl_add_u64 v[18:19], s[14:15], 0, v[18:19]
	flat_load_ushort v17, v[18:19]
.LBB3627_35:
	s_or_b64 exec, exec, s[4:5]
	v_or_b32_e32 v19, 0x2000, v0
	v_cmp_gt_u32_e32 vcc, s33, v19
                                        ; implicit-def: $vgpr18
	s_and_saveexec_b64 s[4:5], vcc
	s_cbranch_execz .LBB3627_37
; %bb.36:
	v_lshlrev_b32_e32 v18, 1, v19
	v_mov_b32_e32 v19, 0
	v_lshl_add_u64 v[18:19], s[14:15], 0, v[18:19]
	flat_load_ushort v18, v[18:19]
.LBB3627_37:
	s_or_b64 exec, exec, s[4:5]
	v_or_b32_e32 v20, 0x2200, v0
	v_cmp_gt_u32_e32 vcc, s33, v20
                                        ; implicit-def: $vgpr19
	s_and_saveexec_b64 s[4:5], vcc
	s_cbranch_execz .LBB3627_39
; %bb.38:
	v_lshlrev_b32_e32 v20, 1, v20
	v_mov_b32_e32 v21, 0
	v_lshl_add_u64 v[20:21], s[14:15], 0, v[20:21]
	flat_load_ushort v19, v[20:21]
.LBB3627_39:
	s_or_b64 exec, exec, s[4:5]
	v_or_b32_e32 v21, 0x2400, v0
	v_cmp_gt_u32_e32 vcc, s33, v21
                                        ; implicit-def: $vgpr20
	s_and_saveexec_b64 s[4:5], vcc
	s_cbranch_execz .LBB3627_41
; %bb.40:
	v_lshlrev_b32_e32 v20, 1, v21
	v_mov_b32_e32 v21, 0
	v_lshl_add_u64 v[20:21], s[14:15], 0, v[20:21]
	flat_load_ushort v20, v[20:21]
.LBB3627_41:
	s_or_b64 exec, exec, s[4:5]
	v_or_b32_e32 v22, 0x2600, v0
	v_cmp_gt_u32_e32 vcc, s33, v22
                                        ; implicit-def: $vgpr21
	s_and_saveexec_b64 s[4:5], vcc
	s_cbranch_execz .LBB3627_43
; %bb.42:
	v_lshlrev_b32_e32 v22, 1, v22
	v_mov_b32_e32 v23, 0
	v_lshl_add_u64 v[22:23], s[14:15], 0, v[22:23]
	flat_load_ushort v21, v[22:23]
.LBB3627_43:
	s_or_b64 exec, exec, s[4:5]
	v_or_b32_e32 v23, 0x2800, v0
	v_cmp_gt_u32_e32 vcc, s33, v23
                                        ; implicit-def: $vgpr22
	s_and_saveexec_b64 s[4:5], vcc
	s_cbranch_execz .LBB3627_45
; %bb.44:
	v_lshlrev_b32_e32 v22, 1, v23
	v_mov_b32_e32 v23, 0
	v_lshl_add_u64 v[22:23], s[14:15], 0, v[22:23]
	flat_load_ushort v22, v[22:23]
.LBB3627_45:
	s_or_b64 exec, exec, s[4:5]
	v_or_b32_e32 v24, 0x2a00, v0
	v_cmp_gt_u32_e32 vcc, s33, v24
                                        ; implicit-def: $vgpr23
	s_and_saveexec_b64 s[4:5], vcc
	s_cbranch_execz .LBB3627_47
; %bb.46:
	v_lshlrev_b32_e32 v24, 1, v24
	v_mov_b32_e32 v25, 0
	v_lshl_add_u64 v[24:25], s[14:15], 0, v[24:25]
	flat_load_ushort v23, v[24:25]
.LBB3627_47:
	s_or_b64 exec, exec, s[4:5]
	v_or_b32_e32 v25, 0x2c00, v0
	v_cmp_gt_u32_e32 vcc, s33, v25
                                        ; implicit-def: $vgpr24
	s_and_saveexec_b64 s[4:5], vcc
	s_cbranch_execz .LBB3627_49
; %bb.48:
	v_lshlrev_b32_e32 v24, 1, v25
	v_mov_b32_e32 v25, 0
	v_lshl_add_u64 v[24:25], s[14:15], 0, v[24:25]
	flat_load_ushort v24, v[24:25]
.LBB3627_49:
	s_or_b64 exec, exec, s[4:5]
	v_or_b32_e32 v26, 0x2e00, v0
	v_cmp_gt_u32_e32 vcc, s33, v26
                                        ; implicit-def: $vgpr25
	s_and_saveexec_b64 s[4:5], vcc
	s_cbranch_execz .LBB3627_51
; %bb.50:
	v_lshlrev_b32_e32 v26, 1, v26
	v_mov_b32_e32 v27, 0
	v_lshl_add_u64 v[26:27], s[14:15], 0, v[26:27]
	flat_load_ushort v25, v[26:27]
.LBB3627_51:
	s_or_b64 exec, exec, s[4:5]
	v_or_b32_e32 v27, 0x3000, v0
	v_cmp_gt_u32_e32 vcc, s33, v27
                                        ; implicit-def: $vgpr26
	s_and_saveexec_b64 s[4:5], vcc
	s_cbranch_execz .LBB3627_53
; %bb.52:
	v_lshlrev_b32_e32 v26, 1, v27
	v_mov_b32_e32 v27, 0
	v_lshl_add_u64 v[26:27], s[14:15], 0, v[26:27]
	flat_load_ushort v26, v[26:27]
.LBB3627_53:
	s_or_b64 exec, exec, s[4:5]
	v_or_b32_e32 v28, 0x3200, v0
	v_cmp_gt_u32_e32 vcc, s33, v28
                                        ; implicit-def: $vgpr27
	s_and_saveexec_b64 s[4:5], vcc
	s_cbranch_execz .LBB3627_55
; %bb.54:
	v_lshlrev_b32_e32 v28, 1, v28
	v_mov_b32_e32 v29, 0
	v_lshl_add_u64 v[28:29], s[14:15], 0, v[28:29]
	flat_load_ushort v27, v[28:29]
.LBB3627_55:
	s_or_b64 exec, exec, s[4:5]
	v_or_b32_e32 v29, 0x3400, v0
	v_cmp_gt_u32_e32 vcc, s33, v29
                                        ; implicit-def: $vgpr28
	s_and_saveexec_b64 s[4:5], vcc
	s_cbranch_execz .LBB3627_57
; %bb.56:
	v_lshlrev_b32_e32 v28, 1, v29
	v_mov_b32_e32 v29, 0
	v_lshl_add_u64 v[28:29], s[14:15], 0, v[28:29]
	flat_load_ushort v28, v[28:29]
.LBB3627_57:
	s_or_b64 exec, exec, s[4:5]
	v_or_b32_e32 v30, 0x3600, v0
	v_cmp_gt_u32_e32 vcc, s33, v30
                                        ; implicit-def: $vgpr29
	s_and_saveexec_b64 s[4:5], vcc
	s_cbranch_execz .LBB3627_59
; %bb.58:
	v_lshlrev_b32_e32 v30, 1, v30
	v_mov_b32_e32 v31, 0
	v_lshl_add_u64 v[30:31], s[14:15], 0, v[30:31]
	flat_load_ushort v29, v[30:31]
.LBB3627_59:
	s_or_b64 exec, exec, s[4:5]
	v_or_b32_e32 v31, 0x3800, v0
	v_cmp_gt_u32_e32 vcc, s33, v31
                                        ; implicit-def: $vgpr30
	s_and_saveexec_b64 s[4:5], vcc
	s_cbranch_execz .LBB3627_61
; %bb.60:
	v_lshlrev_b32_e32 v30, 1, v31
	v_mov_b32_e32 v31, 0
	v_lshl_add_u64 v[30:31], s[14:15], 0, v[30:31]
	flat_load_ushort v30, v[30:31]
.LBB3627_61:
	s_or_b64 exec, exec, s[4:5]
	v_or_b32_e32 v32, 0x3a00, v0
	v_cmp_gt_u32_e32 vcc, s33, v32
                                        ; implicit-def: $vgpr31
	s_and_saveexec_b64 s[4:5], vcc
	s_cbranch_execz .LBB3627_63
; %bb.62:
	v_lshlrev_b32_e32 v32, 1, v32
	v_mov_b32_e32 v33, 0
	v_lshl_add_u64 v[32:33], s[14:15], 0, v[32:33]
	flat_load_ushort v31, v[32:33]
.LBB3627_63:
	s_or_b64 exec, exec, s[4:5]
	s_waitcnt vmcnt(0) lgkmcnt(0)
	ds_write_b16 v12, v1
	ds_write_b16 v12, v2 offset:1024
	ds_write_b16 v12, v3 offset:2048
	;; [unrolled: 1-line block ×29, first 2 shown]
	s_waitcnt lgkmcnt(0)
	s_barrier
.LBB3627_64:
	v_mul_u32_u24_e32 v9, 30, v0
	v_lshlrev_b32_e32 v2, 1, v9
	s_waitcnt lgkmcnt(0)
	ds_read2_b32 v[26:27], v2 offset1:1
	ds_read2_b32 v[24:25], v2 offset0:2 offset1:3
	ds_read2_b32 v[22:23], v2 offset0:4 offset1:5
	;; [unrolled: 1-line block ×3, first 2 shown]
	ds_read_b32 v1, v2 offset:56
	ds_read2_b32 v[14:15], v2 offset0:12 offset1:13
	ds_read2_b32 v[16:17], v2 offset0:10 offset1:11
	;; [unrolled: 1-line block ×3, first 2 shown]
	s_add_u32 s3, s8, s6
	s_addc_u32 s5, s9, s7
	s_add_u32 s6, s10, s6
	s_addc_u32 s7, s11, s7
	;; [unrolled: 2-line block ×4, first 2 shown]
	s_mov_b64 s[8:9], -1
	s_and_b64 vcc, exec, s[34:35]
	s_waitcnt lgkmcnt(0)
	s_barrier
	s_cbranch_vccz .LBB3627_66
; %bb.65:
	v_mov_b32_e32 v13, 0
	v_lshl_add_u64 v[2:3], s[4:5], 0, v[12:13]
	s_movk_i32 s3, 0x1000
	v_lshl_add_u64 v[4:5], s[6:7], 0, v[12:13]
	global_load_ushort v8, v12, s[4:5]
	global_load_ushort v13, v12, s[4:5] offset:1024
	global_load_ushort v32, v12, s[4:5] offset:2048
	global_load_ushort v33, v12, s[6:7] offset:1024
	global_load_ushort v34, v12, s[6:7] offset:2048
	global_load_ushort v35, v12, s[6:7] offset:3072
	global_load_ushort v36, v12, s[6:7]
	global_load_ushort v37, v12, s[4:5] offset:3072
	v_add_co_u32_e32 v6, vcc, s3, v2
	s_movk_i32 s8, 0x2000
	s_nop 0
	v_addc_co_u32_e32 v7, vcc, 0, v3, vcc
	v_add_co_u32_e32 v10, vcc, s8, v2
	s_nop 1
	v_addc_co_u32_e32 v11, vcc, 0, v3, vcc
	v_add_co_u32_e32 v28, vcc, s3, v4
	s_movk_i32 s3, 0x3000
	s_nop 0
	v_addc_co_u32_e32 v29, vcc, 0, v5, vcc
	v_add_co_u32_e32 v30, vcc, s8, v4
	s_movk_i32 s8, 0x4000
	s_nop 0
	v_addc_co_u32_e32 v31, vcc, 0, v5, vcc
	global_load_ushort v38, v[6:7], off offset:1024
	global_load_ushort v39, v[6:7], off offset:2048
	;; [unrolled: 1-line block ×6, first 2 shown]
	global_load_ushort v44, v[10:11], off offset:-4096
	global_load_ushort v45, v[10:11], off
	global_load_ushort v46, v[10:11], off offset:1024
	global_load_ushort v47, v[10:11], off offset:2048
	global_load_ushort v48, v[10:11], off offset:3072
	global_load_ushort v49, v[30:31], off offset:-4096
	global_load_ushort v50, v[30:31], off
	global_load_ushort v51, v[30:31], off offset:1024
	global_load_ushort v52, v[30:31], off offset:2048
                                        ; kill: killed $vgpr28 killed $vgpr29
                                        ; kill: killed $vgpr10 killed $vgpr11
                                        ; kill: killed $vgpr6 killed $vgpr7
	global_load_ushort v53, v[30:31], off offset:3072
	v_add_co_u32_e32 v6, vcc, s3, v2
	s_nop 1
	v_addc_co_u32_e32 v7, vcc, 0, v3, vcc
	v_add_co_u32_e32 v10, vcc, s8, v2
	s_nop 1
	v_addc_co_u32_e32 v11, vcc, 0, v3, vcc
	v_add_co_u32_e32 v28, vcc, s3, v4
	s_movk_i32 s3, 0x5000
	s_nop 0
	v_addc_co_u32_e32 v29, vcc, 0, v5, vcc
	v_add_co_u32_e32 v30, vcc, s8, v4
	s_movk_i32 s8, 0x6000
	s_nop 0
	v_addc_co_u32_e32 v31, vcc, 0, v5, vcc
	global_load_ushort v54, v[6:7], off offset:1024
	global_load_ushort v55, v[6:7], off offset:2048
	;; [unrolled: 1-line block ×6, first 2 shown]
	global_load_ushort v60, v[10:11], off offset:-4096
	global_load_ushort v61, v[10:11], off
	global_load_ushort v62, v[10:11], off offset:1024
	global_load_ushort v63, v[10:11], off offset:2048
	;; [unrolled: 1-line block ×3, first 2 shown]
	global_load_ushort v65, v[30:31], off offset:-4096
	global_load_ushort v66, v[30:31], off
	global_load_ushort v67, v[30:31], off offset:1024
	global_load_ushort v68, v[30:31], off offset:2048
                                        ; kill: killed $vgpr28 killed $vgpr29
                                        ; kill: killed $vgpr6 killed $vgpr7
                                        ; kill: killed $vgpr10 killed $vgpr11
	global_load_ushort v69, v[30:31], off offset:3072
	v_add_co_u32_e32 v6, vcc, s3, v2
	s_nop 1
	v_addc_co_u32_e32 v7, vcc, 0, v3, vcc
	v_add_co_u32_e32 v10, vcc, s8, v2
	s_nop 1
	v_addc_co_u32_e32 v11, vcc, 0, v3, vcc
	v_add_co_u32_e32 v28, vcc, s3, v4
	s_movk_i32 s3, 0x7000
	s_nop 0
	v_addc_co_u32_e32 v29, vcc, 0, v5, vcc
	v_add_co_u32_e32 v30, vcc, s8, v4
	s_mov_b64 s[8:9], 0
	s_nop 0
	v_addc_co_u32_e32 v31, vcc, 0, v5, vcc
	v_add_co_u32_e32 v2, vcc, s3, v2
	global_load_ushort v70, v[30:31], off offset:-4096
	global_load_ushort v71, v[6:7], off offset:1024
	global_load_ushort v72, v[6:7], off offset:2048
	;; [unrolled: 1-line block ×6, first 2 shown]
	global_load_ushort v77, v[10:11], off offset:-4096
	global_load_ushort v78, v[10:11], off
	global_load_ushort v79, v[10:11], off offset:1024
	global_load_ushort v80, v[10:11], off offset:2048
	;; [unrolled: 1-line block ×3, first 2 shown]
	global_load_ushort v82, v[30:31], off
	global_load_ushort v83, v[30:31], off offset:1024
	global_load_ushort v84, v[30:31], off offset:2048
                                        ; kill: killed $vgpr28 killed $vgpr29
                                        ; kill: killed $vgpr6 killed $vgpr7
                                        ; kill: killed $vgpr10 killed $vgpr11
	global_load_ushort v6, v[30:31], off offset:3072
	v_addc_co_u32_e32 v3, vcc, 0, v3, vcc
	v_add_co_u32_e32 v4, vcc, s3, v4
	s_nop 1
	v_addc_co_u32_e32 v5, vcc, 0, v5, vcc
	global_load_ushort v7, v[4:5], off
	global_load_ushort v10, v[2:3], off
	global_load_ushort v11, v[2:3], off offset:1024
	global_load_ushort v28, v[4:5], off offset:1024
	s_waitcnt vmcnt(53)
	v_cmp_le_i16_e32 vcc, v8, v36
	s_nop 1
	v_cndmask_b32_e64 v2, 0, 1, vcc
	v_cmp_le_i16_e32 vcc, v13, v33
	s_nop 1
	v_cndmask_b32_e64 v3, 0, 1, vcc
	v_cmp_le_i16_e32 vcc, v32, v34
	s_nop 1
	v_cndmask_b32_e64 v4, 0, 1, vcc
	s_waitcnt vmcnt(52)
	v_cmp_le_i16_e32 vcc, v37, v35
	s_nop 1
	v_cndmask_b32_e64 v5, 0, 1, vcc
	s_waitcnt vmcnt(40)
	v_cmp_le_i16_e32 vcc, v44, v49
	s_nop 1
	v_cndmask_b32_e64 v8, 0, 1, vcc
	v_cmp_le_i16_e32 vcc, v38, v41
	s_nop 1
	v_cndmask_b32_e64 v13, 0, 1, vcc
	v_cmp_le_i16_e32 vcc, v39, v42
	s_nop 1
	v_cndmask_b32_e64 v29, 0, 1, vcc
	v_cmp_le_i16_e32 vcc, v40, v43
	s_nop 1
	v_cndmask_b32_e64 v30, 0, 1, vcc
	s_waitcnt vmcnt(39)
	v_cmp_le_i16_e32 vcc, v45, v50
	s_nop 1
	v_cndmask_b32_e64 v31, 0, 1, vcc
	s_waitcnt vmcnt(38)
	v_cmp_le_i16_e32 vcc, v46, v51
	s_nop 1
	v_cndmask_b32_e64 v32, 0, 1, vcc
	s_waitcnt vmcnt(37)
	v_cmp_le_i16_e32 vcc, v47, v52
	s_nop 1
	v_cndmask_b32_e64 v33, 0, 1, vcc
	s_waitcnt vmcnt(36)
	v_cmp_le_i16_e32 vcc, v48, v53
	s_nop 1
	v_cndmask_b32_e64 v34, 0, 1, vcc
	s_waitcnt vmcnt(24)
	v_cmp_le_i16_e32 vcc, v60, v65
	s_nop 1
	v_cndmask_b32_e64 v35, 0, 1, vcc
	v_cmp_le_i16_e32 vcc, v54, v57
	s_nop 1
	v_cndmask_b32_e64 v36, 0, 1, vcc
	v_cmp_le_i16_e32 vcc, v55, v58
	s_nop 1
	v_cndmask_b32_e64 v37, 0, 1, vcc
	v_cmp_le_i16_e32 vcc, v56, v59
	s_nop 1
	v_cndmask_b32_e64 v38, 0, 1, vcc
	s_waitcnt vmcnt(23)
	v_cmp_le_i16_e32 vcc, v61, v66
	s_nop 1
	v_cndmask_b32_e64 v39, 0, 1, vcc
	s_waitcnt vmcnt(22)
	v_cmp_le_i16_e32 vcc, v62, v67
	s_nop 1
	v_cndmask_b32_e64 v40, 0, 1, vcc
	s_waitcnt vmcnt(21)
	v_cmp_le_i16_e32 vcc, v63, v68
	s_nop 1
	v_cndmask_b32_e64 v41, 0, 1, vcc
	;; [unrolled: 29-line block ×3, first 2 shown]
	s_waitcnt vmcnt(4)
	v_cmp_le_i16_e32 vcc, v81, v6
	s_nop 1
	v_cndmask_b32_e64 v6, 0, 1, vcc
	s_waitcnt vmcnt(2)
	v_cmp_le_i16_e32 vcc, v10, v7
	s_nop 1
	v_cndmask_b32_e64 v7, 0, 1, vcc
	;; [unrolled: 4-line block ×3, first 2 shown]
	ds_write_b8 v0, v2
	ds_write_b8 v0, v3 offset:512
	ds_write_b8 v0, v4 offset:1024
	;; [unrolled: 1-line block ×29, first 2 shown]
	s_waitcnt lgkmcnt(0)
	s_barrier
.LBB3627_66:
	s_load_dwordx2 s[36:37], s[0:1], 0x78
	s_andn2_b64 vcc, exec, s[8:9]
	s_cbranch_vccnz .LBB3627_128
; %bb.67:
	v_cmp_gt_u32_e32 vcc, s33, v0
	v_mov_b32_e32 v2, 0
	v_mov_b32_e32 v3, 0
	s_and_saveexec_b64 s[8:9], vcc
	s_cbranch_execz .LBB3627_69
; %bb.68:
	global_load_ushort v3, v12, s[4:5]
	global_load_ushort v4, v12, s[6:7]
	s_waitcnt vmcnt(0)
	v_cmp_le_i16_e32 vcc, v3, v4
	s_nop 1
	v_cndmask_b32_e64 v3, 0, 1, vcc
.LBB3627_69:
	s_or_b64 exec, exec, s[8:9]
	v_or_b32_e32 v4, 0x200, v0
	v_cmp_gt_u32_e32 vcc, s33, v4
	s_and_saveexec_b64 s[8:9], vcc
	s_cbranch_execz .LBB3627_71
; %bb.70:
	global_load_ushort v2, v12, s[4:5] offset:1024
	global_load_ushort v4, v12, s[6:7] offset:1024
	s_waitcnt vmcnt(0)
	v_cmp_le_i16_e32 vcc, v2, v4
	s_nop 1
	v_cndmask_b32_e64 v2, 0, 1, vcc
.LBB3627_71:
	s_or_b64 exec, exec, s[8:9]
	v_or_b32_e32 v4, 0x400, v0
	v_cmp_gt_u32_e32 vcc, s33, v4
	v_mov_b32_e32 v4, 0
	v_mov_b32_e32 v5, 0
	s_and_saveexec_b64 s[8:9], vcc
	s_cbranch_execz .LBB3627_73
; %bb.72:
	global_load_ushort v5, v12, s[4:5] offset:2048
	global_load_ushort v6, v12, s[6:7] offset:2048
	s_waitcnt vmcnt(0)
	v_cmp_le_i16_e32 vcc, v5, v6
	s_nop 1
	v_cndmask_b32_e64 v5, 0, 1, vcc
.LBB3627_73:
	s_or_b64 exec, exec, s[8:9]
	v_or_b32_e32 v6, 0x600, v0
	v_cmp_gt_u32_e32 vcc, s33, v6
	s_and_saveexec_b64 s[8:9], vcc
	s_cbranch_execz .LBB3627_75
; %bb.74:
	global_load_ushort v4, v12, s[4:5] offset:3072
	global_load_ushort v6, v12, s[6:7] offset:3072
	s_waitcnt vmcnt(0)
	v_cmp_le_i16_e32 vcc, v4, v6
	s_nop 1
	v_cndmask_b32_e64 v4, 0, 1, vcc
.LBB3627_75:
	s_or_b64 exec, exec, s[8:9]
	v_or_b32_e32 v8, 0x800, v0
	v_cmp_gt_u32_e32 vcc, s33, v8
	v_mov_b32_e32 v6, 0
	v_mov_b32_e32 v7, 0
	s_and_saveexec_b64 s[8:9], vcc
	s_cbranch_execz .LBB3627_77
; %bb.76:
	v_lshlrev_b32_e32 v7, 1, v8
	global_load_ushort v8, v7, s[4:5]
	global_load_ushort v10, v7, s[6:7]
	s_waitcnt vmcnt(0)
	v_cmp_le_i16_e32 vcc, v8, v10
	s_nop 1
	v_cndmask_b32_e64 v7, 0, 1, vcc
.LBB3627_77:
	s_or_b64 exec, exec, s[8:9]
	v_or_b32_e32 v8, 0xa00, v0
	v_cmp_gt_u32_e32 vcc, s33, v8
	s_and_saveexec_b64 s[8:9], vcc
	s_cbranch_execz .LBB3627_79
; %bb.78:
	v_lshlrev_b32_e32 v6, 1, v8
	global_load_ushort v8, v6, s[4:5]
	global_load_ushort v10, v6, s[6:7]
	s_waitcnt vmcnt(0)
	v_cmp_le_i16_e32 vcc, v8, v10
	s_nop 1
	v_cndmask_b32_e64 v6, 0, 1, vcc
.LBB3627_79:
	s_or_b64 exec, exec, s[8:9]
	v_or_b32_e32 v11, 0xc00, v0
	v_cmp_gt_u32_e32 vcc, s33, v11
	v_mov_b32_e32 v8, 0
	v_mov_b32_e32 v10, 0
	s_and_saveexec_b64 s[8:9], vcc
	s_cbranch_execz .LBB3627_81
; %bb.80:
	v_lshlrev_b32_e32 v10, 1, v11
	global_load_ushort v11, v10, s[4:5]
	global_load_ushort v13, v10, s[6:7]
	s_waitcnt vmcnt(0)
	v_cmp_le_i16_e32 vcc, v11, v13
	s_nop 1
	v_cndmask_b32_e64 v10, 0, 1, vcc
.LBB3627_81:
	s_or_b64 exec, exec, s[8:9]
	v_or_b32_e32 v11, 0xe00, v0
	v_cmp_gt_u32_e32 vcc, s33, v11
	s_and_saveexec_b64 s[8:9], vcc
	s_cbranch_execz .LBB3627_83
; %bb.82:
	v_lshlrev_b32_e32 v8, 1, v11
	global_load_ushort v11, v8, s[4:5]
	global_load_ushort v13, v8, s[6:7]
	s_waitcnt vmcnt(0)
	v_cmp_le_i16_e32 vcc, v11, v13
	s_nop 1
	v_cndmask_b32_e64 v8, 0, 1, vcc
.LBB3627_83:
	;; [unrolled: 30-line block ×13, first 2 shown]
	s_or_b64 exec, exec, s[8:9]
	ds_write_b8 v0, v3
	ds_write_b8 v0, v2 offset:512
	ds_write_b8 v0, v5 offset:1024
	;; [unrolled: 1-line block ×29, first 2 shown]
	s_waitcnt lgkmcnt(0)
	s_barrier
.LBB3627_128:
	s_waitcnt lgkmcnt(0)
	ds_read_b128 v[2:5], v9
	ds_read_b96 v[6:8], v9 offset:16
	ds_read_u16 v36, v9 offset:28
	s_cmp_lg_u32 s2, 0
	v_lshrrev_b32_e32 v65, 6, v0
	s_waitcnt lgkmcnt(0)
	v_lshrrev_b32_e32 v44, 24, v2
	v_bfe_u32 v63, v2, 16, 8
	v_add_u32_sdwa v10, v2, v2 dst_sel:DWORD dst_unused:UNUSED_PAD src0_sel:BYTE_1 src1_sel:BYTE_0
	v_and_b32_e32 v60, 0xff, v3
	v_bfe_u32 v61, v3, 8, 8
	v_add3_u32 v10, v10, v63, v44
	v_lshrrev_b32_e32 v43, 24, v3
	v_bfe_u32 v62, v3, 16, 8
	v_add3_u32 v10, v10, v60, v61
	v_and_b32_e32 v57, 0xff, v4
	v_bfe_u32 v58, v4, 8, 8
	v_add3_u32 v10, v10, v62, v43
	v_lshrrev_b32_e32 v42, 24, v4
	v_bfe_u32 v59, v4, 16, 8
	v_add3_u32 v10, v10, v57, v58
	;; [unrolled: 6-line block ×6, first 2 shown]
	v_lshrrev_b16_e32 v13, 8, v36
	v_and_b32_e32 v38, 0xff, v36
	v_add3_u32 v10, v10, v47, v37
	v_add3_u32 v66, v10, v38, v13
	v_mbcnt_lo_u32_b32 v10, -1, 0
	v_mbcnt_hi_u32_b32 v64, -1, v10
	v_and_b32_e32 v10, 15, v64
	v_cmp_eq_u32_e64 s[14:15], 0, v10
	v_cmp_lt_u32_e64 s[12:13], 1, v10
	v_cmp_lt_u32_e64 s[10:11], 3, v10
	;; [unrolled: 1-line block ×3, first 2 shown]
	v_and_b32_e32 v10, 16, v64
	v_cmp_eq_u32_e64 s[6:7], 0, v10
	v_or_b32_e32 v10, 63, v0
	v_cmp_lt_u32_e64 s[18:19], 31, v64
	v_cmp_eq_u32_e64 s[4:5], v10, v0
	s_barrier
	s_cbranch_scc0 .LBB3627_155
; %bb.129:
	v_mov_b32_dpp v10, v66 row_shr:1 row_mask:0xf bank_mask:0xf
	v_cndmask_b32_e64 v10, v10, 0, s[14:15]
	v_add_u32_e32 v10, v10, v66
	s_nop 1
	v_mov_b32_dpp v11, v10 row_shr:2 row_mask:0xf bank_mask:0xf
	v_cndmask_b32_e64 v11, 0, v11, s[12:13]
	v_add_u32_e32 v10, v10, v11
	s_nop 1
	;; [unrolled: 4-line block ×4, first 2 shown]
	v_mov_b32_dpp v11, v10 row_bcast:15 row_mask:0xf bank_mask:0xf
	v_cndmask_b32_e64 v11, v11, 0, s[6:7]
	v_add_u32_e32 v10, v10, v11
	s_nop 1
	v_mov_b32_dpp v11, v10 row_bcast:31 row_mask:0xf bank_mask:0xf
	v_cndmask_b32_e64 v11, 0, v11, s[18:19]
	v_add_u32_e32 v10, v10, v11
	s_and_saveexec_b64 s[16:17], s[4:5]
	s_cbranch_execz .LBB3627_131
; %bb.130:
	v_lshlrev_b32_e32 v11, 2, v65
	ds_write_b32 v11, v10
.LBB3627_131:
	s_or_b64 exec, exec, s[16:17]
	v_cmp_gt_u32_e32 vcc, 8, v0
	s_waitcnt lgkmcnt(0)
	s_barrier
	s_and_saveexec_b64 s[16:17], vcc
	s_cbranch_execz .LBB3627_133
; %bb.132:
	v_lshlrev_b32_e32 v11, 2, v0
	ds_read_b32 v28, v11
	v_and_b32_e32 v29, 7, v64
	v_cmp_ne_u32_e32 vcc, 0, v29
	s_waitcnt lgkmcnt(0)
	v_mov_b32_dpp v30, v28 row_shr:1 row_mask:0xf bank_mask:0xf
	v_cndmask_b32_e32 v30, 0, v30, vcc
	v_add_u32_e32 v28, v30, v28
	v_cmp_lt_u32_e32 vcc, 1, v29
	s_nop 0
	v_mov_b32_dpp v30, v28 row_shr:2 row_mask:0xf bank_mask:0xf
	v_cndmask_b32_e32 v30, 0, v30, vcc
	v_add_u32_e32 v28, v28, v30
	v_cmp_lt_u32_e32 vcc, 3, v29
	s_nop 0
	v_mov_b32_dpp v30, v28 row_shr:4 row_mask:0xf bank_mask:0xf
	v_cndmask_b32_e32 v29, 0, v30, vcc
	v_add_u32_e32 v28, v28, v29
	ds_write_b32 v11, v28
.LBB3627_133:
	s_or_b64 exec, exec, s[16:17]
	v_cmp_gt_u32_e32 vcc, 64, v0
	v_cmp_lt_u32_e64 s[16:17], 63, v0
	s_waitcnt lgkmcnt(0)
	s_barrier
	s_waitcnt lgkmcnt(0)
                                        ; implicit-def: $vgpr67
	s_and_saveexec_b64 s[38:39], s[16:17]
	s_cbranch_execz .LBB3627_135
; %bb.134:
	v_lshl_add_u32 v11, v65, 2, -4
	ds_read_b32 v67, v11
	s_waitcnt lgkmcnt(0)
	v_add_u32_e32 v10, v67, v10
.LBB3627_135:
	s_or_b64 exec, exec, s[38:39]
	v_add_u32_e32 v11, -1, v64
	v_and_b32_e32 v28, 64, v64
	v_cmp_lt_i32_e64 s[16:17], v11, v28
	s_nop 1
	v_cndmask_b32_e64 v11, v11, v64, s[16:17]
	v_lshlrev_b32_e32 v11, 2, v11
	ds_bpermute_b32 v68, v11, v10
	v_cmp_eq_u32_e64 s[16:17], 0, v64
	s_and_saveexec_b64 s[38:39], vcc
	s_cbranch_execz .LBB3627_154
; %bb.136:
	v_mov_b32_e32 v33, 0
	ds_read_b32 v10, v33 offset:28
	s_and_saveexec_b64 s[40:41], s[16:17]
	s_cbranch_execz .LBB3627_138
; %bb.137:
	s_add_i32 s42, s2, 64
	s_mov_b32 s43, 0
	s_lshl_b64 s[42:43], s[42:43], 3
	s_add_u32 s42, s36, s42
	v_mov_b32_e32 v11, 1
	s_addc_u32 s43, s37, s43
	s_waitcnt lgkmcnt(0)
	global_store_dwordx2 v33, v[10:11], s[42:43] sc1
.LBB3627_138:
	s_or_b64 exec, exec, s[40:41]
	v_xad_u32 v28, v64, -1, s2
	v_add_u32_e32 v32, 64, v28
	v_lshl_add_u64 v[34:35], v[32:33], 3, s[36:37]
	global_load_dwordx2 v[30:31], v[34:35], off sc1
	s_waitcnt vmcnt(0)
	v_cmp_eq_u16_sdwa s[42:43], v31, v33 src0_sel:BYTE_0 src1_sel:DWORD
	s_and_saveexec_b64 s[40:41], s[42:43]
	s_cbranch_execz .LBB3627_142
; %bb.139:
	s_mov_b64 s[42:43], 0
	v_mov_b32_e32 v11, 0
.LBB3627_140:                           ; =>This Inner Loop Header: Depth=1
	global_load_dwordx2 v[30:31], v[34:35], off sc1
	s_waitcnt vmcnt(0)
	v_cmp_ne_u16_sdwa s[44:45], v31, v11 src0_sel:BYTE_0 src1_sel:DWORD
	s_or_b64 s[42:43], s[44:45], s[42:43]
	s_andn2_b64 exec, exec, s[42:43]
	s_cbranch_execnz .LBB3627_140
; %bb.141:
	s_or_b64 exec, exec, s[42:43]
.LBB3627_142:
	s_or_b64 exec, exec, s[40:41]
	v_and_b32_e32 v70, 63, v64
	v_mov_b32_e32 v69, 2
	v_cmp_ne_u32_e32 vcc, 63, v70
	v_cmp_eq_u16_sdwa s[40:41], v31, v69 src0_sel:BYTE_0 src1_sel:DWORD
	v_lshlrev_b64 v[32:33], v64, -1
	v_addc_co_u32_e32 v34, vcc, 0, v64, vcc
	v_and_b32_e32 v11, s41, v33
	v_lshlrev_b32_e32 v71, 2, v34
	v_or_b32_e32 v11, 0x80000000, v11
	ds_bpermute_b32 v34, v71, v30
	v_and_b32_e32 v29, s40, v32
	v_ffbl_b32_e32 v11, v11
	v_add_u32_e32 v11, 32, v11
	v_ffbl_b32_e32 v29, v29
	v_min_u32_e32 v11, v29, v11
	v_cmp_lt_u32_e32 vcc, v70, v11
	v_add_u32_e32 v73, 2, v70
	v_add_u32_e32 v75, 4, v70
	s_waitcnt lgkmcnt(0)
	v_cndmask_b32_e32 v29, 0, v34, vcc
	v_cmp_gt_u32_e32 vcc, 62, v70
	v_add_u32_e32 v29, v29, v30
	v_add_u32_e32 v77, 8, v70
	v_cndmask_b32_e64 v30, 0, 1, vcc
	v_lshlrev_b32_e32 v30, 1, v30
	v_add_lshl_u32 v72, v30, v64, 2
	ds_bpermute_b32 v30, v72, v29
	v_cmp_le_u32_e32 vcc, v73, v11
	v_add_u32_e32 v79, 16, v70
	v_add_u32_e32 v81, 32, v70
	s_waitcnt lgkmcnt(0)
	v_cndmask_b32_e32 v30, 0, v30, vcc
	v_cmp_gt_u32_e32 vcc, 60, v70
	v_add_u32_e32 v29, v29, v30
	s_nop 0
	v_cndmask_b32_e64 v30, 0, 1, vcc
	v_lshlrev_b32_e32 v30, 2, v30
	v_add_lshl_u32 v74, v30, v64, 2
	ds_bpermute_b32 v30, v74, v29
	v_cmp_le_u32_e32 vcc, v75, v11
	s_waitcnt lgkmcnt(0)
	s_nop 0
	v_cndmask_b32_e32 v30, 0, v30, vcc
	v_cmp_gt_u32_e32 vcc, 56, v70
	v_add_u32_e32 v29, v29, v30
	s_nop 0
	v_cndmask_b32_e64 v30, 0, 1, vcc
	v_lshlrev_b32_e32 v30, 3, v30
	v_add_lshl_u32 v76, v30, v64, 2
	ds_bpermute_b32 v30, v76, v29
	v_cmp_le_u32_e32 vcc, v77, v11
	s_waitcnt lgkmcnt(0)
	s_nop 0
	;; [unrolled: 11-line block ×4, first 2 shown]
	v_cndmask_b32_e32 v11, 0, v30, vcc
	v_add_u32_e32 v30, v29, v11
	v_mov_b32_e32 v29, 0
	s_branch .LBB3627_144
.LBB3627_143:                           ;   in Loop: Header=BB3627_144 Depth=1
	s_or_b64 exec, exec, s[40:41]
	v_cmp_eq_u16_sdwa s[40:41], v31, v69 src0_sel:BYTE_0 src1_sel:DWORD
	ds_bpermute_b32 v82, v71, v30
	v_subrev_u32_e32 v28, 64, v28
	v_and_b32_e32 v34, s41, v33
	v_or_b32_e32 v34, 0x80000000, v34
	v_and_b32_e32 v35, s40, v32
	v_ffbl_b32_e32 v34, v34
	v_add_u32_e32 v34, 32, v34
	v_ffbl_b32_e32 v35, v35
	v_min_u32_e32 v34, v35, v34
	v_cmp_lt_u32_e32 vcc, v70, v34
	s_waitcnt lgkmcnt(0)
	s_nop 0
	v_cndmask_b32_e32 v35, 0, v82, vcc
	v_add_u32_e32 v30, v35, v30
	ds_bpermute_b32 v35, v72, v30
	v_cmp_le_u32_e32 vcc, v73, v34
	s_waitcnt lgkmcnt(0)
	s_nop 0
	v_cndmask_b32_e32 v35, 0, v35, vcc
	v_add_u32_e32 v30, v30, v35
	ds_bpermute_b32 v35, v74, v30
	v_cmp_le_u32_e32 vcc, v75, v34
	s_waitcnt lgkmcnt(0)
	s_nop 0
	v_cndmask_b32_e32 v35, 0, v35, vcc
	v_add_u32_e32 v30, v30, v35
	ds_bpermute_b32 v35, v76, v30
	v_cmp_le_u32_e32 vcc, v77, v34
	s_waitcnt lgkmcnt(0)
	s_nop 0
	v_cndmask_b32_e32 v35, 0, v35, vcc
	v_add_u32_e32 v30, v30, v35
	ds_bpermute_b32 v35, v78, v30
	v_cmp_le_u32_e32 vcc, v79, v34
	s_waitcnt lgkmcnt(0)
	s_nop 0
	v_cndmask_b32_e32 v35, 0, v35, vcc
	v_add_u32_e32 v30, v30, v35
	ds_bpermute_b32 v35, v80, v30
	v_cmp_le_u32_e32 vcc, v81, v34
	s_waitcnt lgkmcnt(0)
	s_nop 0
	v_cndmask_b32_e32 v34, 0, v35, vcc
	v_add3_u32 v30, v34, v11, v30
.LBB3627_144:                           ; =>This Loop Header: Depth=1
                                        ;     Child Loop BB3627_147 Depth 2
	v_cmp_ne_u16_sdwa s[40:41], v31, v69 src0_sel:BYTE_0 src1_sel:DWORD
	s_nop 1
	v_cndmask_b32_e64 v11, 0, 1, s[40:41]
	;;#ASMSTART
	;;#ASMEND
	s_nop 0
	v_cmp_ne_u32_e32 vcc, 0, v11
	s_cmp_lg_u64 vcc, exec
	v_mov_b32_e32 v11, v30
	s_cbranch_scc1 .LBB3627_149
; %bb.145:                              ;   in Loop: Header=BB3627_144 Depth=1
	v_lshl_add_u64 v[34:35], v[28:29], 3, s[36:37]
	global_load_dwordx2 v[30:31], v[34:35], off sc1
	s_waitcnt vmcnt(0)
	v_cmp_eq_u16_sdwa s[42:43], v31, v29 src0_sel:BYTE_0 src1_sel:DWORD
	s_and_saveexec_b64 s[40:41], s[42:43]
	s_cbranch_execz .LBB3627_143
; %bb.146:                              ;   in Loop: Header=BB3627_144 Depth=1
	s_mov_b64 s[42:43], 0
.LBB3627_147:                           ;   Parent Loop BB3627_144 Depth=1
                                        ; =>  This Inner Loop Header: Depth=2
	global_load_dwordx2 v[30:31], v[34:35], off sc1
	s_waitcnt vmcnt(0)
	v_cmp_ne_u16_sdwa s[44:45], v31, v29 src0_sel:BYTE_0 src1_sel:DWORD
	s_or_b64 s[42:43], s[44:45], s[42:43]
	s_andn2_b64 exec, exec, s[42:43]
	s_cbranch_execnz .LBB3627_147
; %bb.148:                              ;   in Loop: Header=BB3627_144 Depth=1
	s_or_b64 exec, exec, s[42:43]
	s_branch .LBB3627_143
.LBB3627_149:                           ;   in Loop: Header=BB3627_144 Depth=1
                                        ; implicit-def: $vgpr30
                                        ; implicit-def: $vgpr31
	s_cbranch_execz .LBB3627_144
; %bb.150:
	s_and_saveexec_b64 s[40:41], s[16:17]
	s_cbranch_execz .LBB3627_152
; %bb.151:
	s_add_i32 s2, s2, 64
	s_mov_b32 s3, 0
	s_lshl_b64 s[2:3], s[2:3], 3
	s_add_u32 s2, s36, s2
	v_add_u32_e32 v28, v11, v10
	v_mov_b32_e32 v29, 2
	s_addc_u32 s3, s37, s3
	v_mov_b32_e32 v30, 0
	global_store_dwordx2 v30, v[28:29], s[2:3] sc1
	ds_write_b64 v30, v[10:11] offset:30720
.LBB3627_152:
	s_or_b64 exec, exec, s[40:41]
	v_cmp_eq_u32_e32 vcc, 0, v0
	s_and_b64 exec, exec, vcc
	s_cbranch_execz .LBB3627_154
; %bb.153:
	v_mov_b32_e32 v10, 0
	ds_write_b32 v10, v11 offset:28
.LBB3627_154:
	s_or_b64 exec, exec, s[38:39]
	v_mov_b32_e32 v10, 0
	s_waitcnt lgkmcnt(0)
	s_barrier
	ds_read_b32 v29, v10 offset:28
	s_waitcnt lgkmcnt(0)
	s_barrier
	ds_read_b64 v[10:11], v10 offset:30720
	v_cndmask_b32_e64 v28, v68, v67, s[16:17]
	v_cmp_ne_u32_e32 vcc, 0, v0
	s_waitcnt lgkmcnt(0)
	v_mov_b32_e32 v68, v11
	v_cndmask_b32_e32 v28, 0, v28, vcc
	v_add_u32_e32 v33, v29, v28
	s_load_dwordx2 s[2:3], s[0:1], 0x38
	s_branch .LBB3627_165
.LBB3627_155:
                                        ; implicit-def: $vgpr68
                                        ; implicit-def: $vgpr10
                                        ; implicit-def: $vgpr33
	s_load_dwordx2 s[2:3], s[0:1], 0x38
	s_cbranch_execz .LBB3627_165
; %bb.156:
	v_mov_b32_dpp v10, v66 row_shr:1 row_mask:0xf bank_mask:0xf
	v_cndmask_b32_e64 v10, v10, 0, s[14:15]
	v_add_u32_e32 v10, v10, v66
	s_nop 1
	v_mov_b32_dpp v11, v10 row_shr:2 row_mask:0xf bank_mask:0xf
	v_cndmask_b32_e64 v11, 0, v11, s[12:13]
	v_add_u32_e32 v10, v10, v11
	s_nop 1
	v_mov_b32_dpp v11, v10 row_shr:4 row_mask:0xf bank_mask:0xf
	v_cndmask_b32_e64 v11, 0, v11, s[10:11]
	v_add_u32_e32 v10, v10, v11
	s_nop 1
	v_mov_b32_dpp v11, v10 row_shr:8 row_mask:0xf bank_mask:0xf
	v_cndmask_b32_e64 v11, 0, v11, s[8:9]
	v_add_u32_e32 v10, v10, v11
	s_nop 1
	v_mov_b32_dpp v11, v10 row_bcast:15 row_mask:0xf bank_mask:0xf
	v_cndmask_b32_e64 v11, v11, 0, s[6:7]
	v_add_u32_e32 v10, v10, v11
	s_nop 1
	v_mov_b32_dpp v11, v10 row_bcast:31 row_mask:0xf bank_mask:0xf
	v_cndmask_b32_e64 v11, 0, v11, s[18:19]
	v_add_u32_e32 v10, v10, v11
	s_and_saveexec_b64 s[0:1], s[4:5]
	s_cbranch_execz .LBB3627_158
; %bb.157:
	v_lshlrev_b32_e32 v11, 2, v65
	ds_write_b32 v11, v10
.LBB3627_158:
	s_or_b64 exec, exec, s[0:1]
	v_cmp_gt_u32_e32 vcc, 8, v0
	s_waitcnt lgkmcnt(0)
	s_barrier
	s_and_saveexec_b64 s[0:1], vcc
	s_cbranch_execz .LBB3627_160
; %bb.159:
	v_lshlrev_b32_e32 v11, 2, v0
	ds_read_b32 v28, v11
	v_and_b32_e32 v29, 7, v64
	v_cmp_ne_u32_e32 vcc, 0, v29
	s_waitcnt lgkmcnt(0)
	v_mov_b32_dpp v30, v28 row_shr:1 row_mask:0xf bank_mask:0xf
	v_cndmask_b32_e32 v30, 0, v30, vcc
	v_add_u32_e32 v28, v30, v28
	v_cmp_lt_u32_e32 vcc, 1, v29
	s_nop 0
	v_mov_b32_dpp v30, v28 row_shr:2 row_mask:0xf bank_mask:0xf
	v_cndmask_b32_e32 v30, 0, v30, vcc
	v_add_u32_e32 v28, v28, v30
	v_cmp_lt_u32_e32 vcc, 3, v29
	s_nop 0
	v_mov_b32_dpp v30, v28 row_shr:4 row_mask:0xf bank_mask:0xf
	v_cndmask_b32_e32 v29, 0, v30, vcc
	v_add_u32_e32 v28, v28, v29
	ds_write_b32 v11, v28
.LBB3627_160:
	s_or_b64 exec, exec, s[0:1]
	v_cmp_lt_u32_e32 vcc, 63, v0
	v_mov_b32_e32 v11, 0
	v_mov_b32_e32 v28, 0
	s_waitcnt lgkmcnt(0)
	s_barrier
	s_and_saveexec_b64 s[0:1], vcc
	s_cbranch_execz .LBB3627_162
; %bb.161:
	v_lshl_add_u32 v28, v65, 2, -4
	ds_read_b32 v28, v28
.LBB3627_162:
	s_or_b64 exec, exec, s[0:1]
	v_add_u32_e32 v29, -1, v64
	v_and_b32_e32 v30, 64, v64
	v_cmp_lt_i32_e32 vcc, v29, v30
	s_waitcnt lgkmcnt(0)
	v_add_u32_e32 v10, v28, v10
	v_cndmask_b32_e32 v29, v29, v64, vcc
	v_lshlrev_b32_e32 v29, 2, v29
	ds_bpermute_b32 v29, v29, v10
	ds_read_b32 v10, v11 offset:28
	v_cmp_eq_u32_e32 vcc, 0, v0
	s_and_saveexec_b64 s[0:1], vcc
	s_cbranch_execz .LBB3627_164
; %bb.163:
	v_mov_b32_e32 v30, 0
	v_mov_b32_e32 v11, 2
	s_waitcnt lgkmcnt(0)
	global_store_dwordx2 v30, v[10:11], s[36:37] offset:512 sc1
.LBB3627_164:
	s_or_b64 exec, exec, s[0:1]
	v_cmp_eq_u32_e64 s[0:1], 0, v64
	v_mov_b32_e32 v68, 0
	s_waitcnt lgkmcnt(0)
	v_cndmask_b32_e64 v11, v29, v28, s[0:1]
	v_cndmask_b32_e64 v33, v11, 0, vcc
	s_barrier
.LBB3627_165:
	v_add_u32_sdwa v35, v33, v2 dst_sel:DWORD dst_unused:UNUSED_PAD src0_sel:DWORD src1_sel:BYTE_0
	v_add_u32_e32 v9, v10, v9
	v_sub_u32_e32 v33, v33, v68
	v_and_b32_e32 v74, 1, v2
	v_sub_u32_e32 v73, v9, v33
	v_cmp_eq_u32_e32 vcc, 1, v74
	v_lshrrev_b32_e32 v34, 8, v2
	v_add_u32_sdwa v64, v35, v2 dst_sel:DWORD dst_unused:UNUSED_PAD src0_sel:DWORD src1_sel:BYTE_1
	v_cndmask_b32_e32 v33, v73, v33, vcc
	v_lshlrev_b32_e32 v33, 1, v33
	ds_write_b16 v33, v26
	v_sub_u32_e32 v33, v35, v68
	v_sub_u32_e32 v35, v9, v33
	v_and_b32_e32 v34, 1, v34
	v_add_u32_e32 v35, 1, v35
	v_cmp_eq_u32_e32 vcc, 1, v34
	v_mov_b32_e32 v34, 1
	v_and_b32_sdwa v2, v34, v2 dst_sel:DWORD dst_unused:UNUSED_PAD src0_sel:DWORD src1_sel:WORD_1
	v_cndmask_b32_e32 v33, v35, v33, vcc
	v_lshlrev_b32_e32 v33, 1, v33
	ds_write_b16_d16_hi v33, v26
	v_sub_u32_e32 v26, v64, v68
	v_sub_u32_e32 v33, v9, v26
	v_add_u32_e32 v33, 2, v33
	v_cmp_eq_u32_e32 vcc, 1, v2
	v_add_u32_e32 v63, v64, v63
	v_add_u32_e32 v65, v63, v44
	v_cndmask_b32_e32 v2, v33, v26, vcc
	v_lshlrev_b32_e32 v2, 1, v2
	ds_write_b16 v2, v27
	v_sub_u32_e32 v2, v63, v68
	v_sub_u32_e32 v26, v9, v2
	v_and_b32_e32 v33, 1, v44
	v_add_u32_e32 v26, 3, v26
	v_cmp_eq_u32_e32 vcc, 1, v33
	v_add_u32_e32 v60, v65, v60
	v_lshrrev_b32_e32 v32, 8, v3
	v_cndmask_b32_e32 v2, v26, v2, vcc
	v_lshlrev_b32_e32 v2, 1, v2
	ds_write_b16_d16_hi v2, v27
	v_sub_u32_e32 v2, v65, v68
	v_sub_u32_e32 v26, v9, v2
	v_and_b32_e32 v27, 1, v3
	v_add_u32_e32 v26, 4, v26
	v_cmp_eq_u32_e32 vcc, 1, v27
	v_and_b32_e32 v27, 1, v32
	v_add_u32_e32 v61, v60, v61
	v_cndmask_b32_e32 v2, v26, v2, vcc
	v_lshlrev_b32_e32 v2, 1, v2
	ds_write_b16 v2, v24
	v_sub_u32_e32 v2, v60, v68
	v_sub_u32_e32 v26, v9, v2
	v_add_u32_e32 v26, 5, v26
	v_cmp_eq_u32_e32 vcc, 1, v27
	v_and_b32_sdwa v3, v34, v3 dst_sel:DWORD dst_unused:UNUSED_PAD src0_sel:DWORD src1_sel:WORD_1
	v_add_u32_e32 v62, v61, v62
	v_cndmask_b32_e32 v2, v26, v2, vcc
	v_lshlrev_b32_e32 v2, 1, v2
	ds_write_b16_d16_hi v2, v24
	v_sub_u32_e32 v2, v61, v68
	v_sub_u32_e32 v24, v9, v2
	v_add_u32_e32 v24, 6, v24
	v_cmp_eq_u32_e32 vcc, 1, v3
	v_add_u32_e32 v66, v62, v43
	v_add_u32_e32 v57, v66, v57
	v_cndmask_b32_e32 v2, v24, v2, vcc
	v_lshlrev_b32_e32 v2, 1, v2
	ds_write_b16 v2, v25
	v_sub_u32_e32 v2, v62, v68
	v_sub_u32_e32 v3, v9, v2
	v_and_b32_e32 v24, 1, v43
	v_add_u32_e32 v3, 7, v3
	v_cmp_eq_u32_e32 vcc, 1, v24
	v_and_b32_e32 v24, 1, v4
	v_lshrrev_b32_e32 v31, 8, v4
	v_cndmask_b32_e32 v2, v3, v2, vcc
	v_lshlrev_b32_e32 v2, 1, v2
	ds_write_b16_d16_hi v2, v25
	v_sub_u32_e32 v2, v66, v68
	v_sub_u32_e32 v3, v9, v2
	v_add_u32_e32 v3, 8, v3
	v_cmp_eq_u32_e32 vcc, 1, v24
	v_and_b32_e32 v24, 1, v31
	v_add_u32_e32 v58, v57, v58
	v_cndmask_b32_e32 v2, v3, v2, vcc
	v_lshlrev_b32_e32 v2, 1, v2
	ds_write_b16 v2, v22
	v_sub_u32_e32 v2, v57, v68
	v_sub_u32_e32 v3, v9, v2
	v_add_u32_e32 v3, 9, v3
	v_cmp_eq_u32_e32 vcc, 1, v24
	v_and_b32_sdwa v4, v34, v4 dst_sel:DWORD dst_unused:UNUSED_PAD src0_sel:DWORD src1_sel:WORD_1
	v_add_u32_e32 v59, v58, v59
	v_cndmask_b32_e32 v2, v3, v2, vcc
	v_lshlrev_b32_e32 v2, 1, v2
	ds_write_b16_d16_hi v2, v22
	v_sub_u32_e32 v2, v58, v68
	v_sub_u32_e32 v3, v9, v2
	v_add_u32_e32 v3, 10, v3
	v_cmp_eq_u32_e32 vcc, 1, v4
	v_and_b32_e32 v4, 1, v42
	v_add_u32_e32 v67, v59, v42
	v_cndmask_b32_e32 v2, v3, v2, vcc
	v_lshlrev_b32_e32 v2, 1, v2
	ds_write_b16 v2, v23
	v_sub_u32_e32 v2, v59, v68
	v_sub_u32_e32 v3, v9, v2
	v_add_u32_e32 v3, 11, v3
	v_cmp_eq_u32_e32 vcc, 1, v4
	v_and_b32_e32 v4, 1, v5
	v_add_u32_e32 v54, v67, v54
	v_cndmask_b32_e32 v2, v3, v2, vcc
	v_lshlrev_b32_e32 v2, 1, v2
	ds_write_b16_d16_hi v2, v23
	v_sub_u32_e32 v2, v67, v68
	v_sub_u32_e32 v3, v9, v2
	v_add_u32_e32 v3, 12, v3
	v_cmp_eq_u32_e32 vcc, 1, v4
	v_lshrrev_b32_e32 v30, 8, v5
	v_and_b32_e32 v4, 1, v30
	v_cndmask_b32_e32 v2, v3, v2, vcc
	v_lshlrev_b32_e32 v2, 1, v2
	ds_write_b16 v2, v20
	v_sub_u32_e32 v2, v54, v68
	v_sub_u32_e32 v3, v9, v2
	v_add_u32_e32 v3, 13, v3
	v_cmp_eq_u32_e32 vcc, 1, v4
	v_add_u32_e32 v55, v54, v55
	v_and_b32_sdwa v4, v34, v5 dst_sel:DWORD dst_unused:UNUSED_PAD src0_sel:DWORD src1_sel:WORD_1
	v_cndmask_b32_e32 v2, v3, v2, vcc
	v_lshlrev_b32_e32 v2, 1, v2
	ds_write_b16_d16_hi v2, v20
	v_sub_u32_e32 v2, v55, v68
	v_sub_u32_e32 v3, v9, v2
	v_add_u32_e32 v3, 14, v3
	v_cmp_eq_u32_e32 vcc, 1, v4
	v_add_u32_e32 v56, v55, v56
	v_and_b32_e32 v4, 1, v41
	v_cndmask_b32_e32 v2, v3, v2, vcc
	v_lshlrev_b32_e32 v2, 1, v2
	ds_write_b16 v2, v21
	v_sub_u32_e32 v2, v56, v68
	v_sub_u32_e32 v3, v9, v2
	v_add_u32_e32 v3, 15, v3
	v_cmp_eq_u32_e32 vcc, 1, v4
	v_add_u32_e32 v69, v56, v41
	v_and_b32_e32 v4, 1, v6
	v_cndmask_b32_e32 v2, v3, v2, vcc
	v_lshlrev_b32_e32 v2, 1, v2
	ds_write_b16_d16_hi v2, v21
	v_sub_u32_e32 v2, v69, v68
	v_sub_u32_e32 v3, v9, v2
	v_add_u32_e32 v3, 16, v3
	v_cmp_eq_u32_e32 vcc, 1, v4
	v_add_u32_e32 v51, v69, v51
	v_lshrrev_b32_e32 v29, 8, v6
	v_cndmask_b32_e32 v2, v3, v2, vcc
	v_lshlrev_b32_e32 v2, 1, v2
	ds_write_b16 v2, v18
	v_sub_u32_e32 v2, v51, v68
	v_sub_u32_e32 v3, v9, v2
	v_and_b32_e32 v4, 1, v29
	v_add_u32_e32 v3, 17, v3
	v_cmp_eq_u32_e32 vcc, 1, v4
	v_add_u32_e32 v52, v51, v52
	v_and_b32_sdwa v4, v34, v6 dst_sel:DWORD dst_unused:UNUSED_PAD src0_sel:DWORD src1_sel:WORD_1
	v_cndmask_b32_e32 v2, v3, v2, vcc
	v_lshlrev_b32_e32 v2, 1, v2
	ds_write_b16_d16_hi v2, v18
	v_sub_u32_e32 v2, v52, v68
	v_sub_u32_e32 v3, v9, v2
	v_add_u32_e32 v3, 18, v3
	v_cmp_eq_u32_e32 vcc, 1, v4
	v_add_u32_e32 v53, v52, v53
	v_and_b32_e32 v4, 1, v40
	v_cndmask_b32_e32 v2, v3, v2, vcc
	v_lshlrev_b32_e32 v2, 1, v2
	ds_write_b16 v2, v19
	v_sub_u32_e32 v2, v53, v68
	v_sub_u32_e32 v3, v9, v2
	v_add_u32_e32 v3, 19, v3
	v_cmp_eq_u32_e32 vcc, 1, v4
	v_add_u32_e32 v70, v53, v40
	v_and_b32_e32 v4, 1, v7
	v_cndmask_b32_e32 v2, v3, v2, vcc
	v_lshlrev_b32_e32 v2, 1, v2
	ds_write_b16_d16_hi v2, v19
	v_sub_u32_e32 v2, v70, v68
	v_sub_u32_e32 v3, v9, v2
	v_add_u32_e32 v3, 20, v3
	v_cmp_eq_u32_e32 vcc, 1, v4
	v_add_u32_e32 v48, v70, v48
	v_lshrrev_b32_e32 v28, 8, v7
	v_cndmask_b32_e32 v2, v3, v2, vcc
	v_lshlrev_b32_e32 v2, 1, v2
	ds_write_b16 v2, v16
	v_sub_u32_e32 v2, v48, v68
	v_sub_u32_e32 v3, v9, v2
	v_and_b32_e32 v4, 1, v28
	;; [unrolled: 37-line block ×3, first 2 shown]
	v_add_u32_e32 v3, 25, v3
	v_cmp_eq_u32_e32 vcc, 1, v4
	v_add_u32_e32 v46, v45, v46
	v_and_b32_sdwa v4, v34, v8 dst_sel:DWORD dst_unused:UNUSED_PAD src0_sel:DWORD src1_sel:WORD_1
	v_cndmask_b32_e32 v2, v3, v2, vcc
	v_lshlrev_b32_e32 v2, 1, v2
	ds_write_b16_d16_hi v2, v14
	v_sub_u32_e32 v2, v46, v68
	v_sub_u32_e32 v3, v9, v2
	v_add_u32_e32 v3, 26, v3
	v_cmp_eq_u32_e32 vcc, 1, v4
	v_add_u32_e32 v47, v46, v47
	v_and_b32_e32 v4, 1, v37
	v_cndmask_b32_e32 v2, v3, v2, vcc
	v_lshlrev_b32_e32 v2, 1, v2
	ds_write_b16 v2, v15
	v_sub_u32_e32 v2, v47, v68
	v_sub_u32_e32 v3, v9, v2
	v_add_u32_e32 v3, 27, v3
	v_cmp_eq_u32_e32 vcc, 1, v4
	v_add_u32_e32 v72, v47, v37
	v_and_b32_e32 v4, 1, v36
	v_cndmask_b32_e32 v2, v3, v2, vcc
	v_lshlrev_b32_e32 v2, 1, v2
	ds_write_b16_d16_hi v2, v15
	v_sub_u32_e32 v2, v72, v68
	v_sub_u32_e32 v3, v9, v2
	v_add_u32_e32 v3, 28, v3
	v_cmp_eq_u32_e32 vcc, 1, v4
	v_and_b32_e32 v4, 1, v13
	s_add_u32 s0, s26, s24
	v_cndmask_b32_e32 v2, v3, v2, vcc
	v_lshlrev_b32_e32 v2, 1, v2
	ds_write_b16 v2, v1
	v_sub_u32_e32 v2, v38, v68
	v_add_u32_e32 v2, v72, v2
	v_sub_u32_e32 v3, v9, v2
	v_add_u32_e32 v3, 29, v3
	v_cmp_eq_u32_e32 vcc, 1, v4
	s_addc_u32 s1, s27, 0
	s_sub_u32 s0, s28, s0
	v_cndmask_b32_e32 v2, v3, v2, vcc
	v_lshlrev_b32_e32 v2, 1, v2
	ds_write_b16_d16_hi v2, v1
	s_waitcnt lgkmcnt(0)
	s_barrier
	ds_read_u16 v99, v12
	ds_read_u16 v98, v12 offset:1024
	ds_read_u16 v97, v12 offset:2048
	ds_read_u16 v96, v12 offset:3072
	ds_read_u16 v95, v12 offset:4096
	ds_read_u16 v94, v12 offset:5120
	ds_read_u16 v93, v12 offset:6144
	ds_read_u16 v92, v12 offset:7168
	ds_read_u16 v91, v12 offset:8192
	ds_read_u16 v90, v12 offset:9216
	ds_read_u16 v89, v12 offset:10240
	ds_read_u16 v88, v12 offset:11264
	ds_read_u16 v87, v12 offset:12288
	ds_read_u16 v86, v12 offset:13312
	ds_read_u16 v85, v12 offset:14336
	ds_read_u16 v84, v12 offset:15360
	ds_read_u16 v83, v12 offset:16384
	ds_read_u16 v82, v12 offset:17408
	ds_read_u16 v81, v12 offset:18432
	ds_read_u16 v80, v12 offset:19456
	ds_read_u16 v79, v12 offset:20480
	ds_read_u16 v78, v12 offset:21504
	ds_read_u16 v77, v12 offset:22528
	ds_read_u16 v76, v12 offset:23552
	ds_read_u16 v75, v12 offset:24576
	ds_read_u16 v74, v12 offset:25600
	ds_read_u16 v73, v12 offset:26624
	ds_read_u16 v72, v12 offset:27648
	ds_read_u16 v71, v12 offset:28672
	ds_read_u16 v70, v12 offset:29696
	v_mov_b32_e32 v1, 0
	v_mov_b32_e32 v69, v1
	;; [unrolled: 1-line block ×3, first 2 shown]
	s_subb_u32 s1, s29, s1
	v_lshl_add_u64 v[2:3], s[30:31], 0, v[68:69]
	v_lshl_add_u64 v[6:7], s[0:1], 0, v[10:11]
	v_or_b32_e32 v66, 0x200, v0
	v_mov_b32_e32 v67, v1
	v_or_b32_e32 v64, 0x400, v0
	v_mov_b32_e32 v65, v1
	;; [unrolled: 2-line block ×29, first 2 shown]
	s_andn2_b64 vcc, exec, s[34:35]
	v_lshl_add_u64 v[6:7], v[6:7], 0, v[2:3]
	s_cbranch_vccnz .LBB3627_287
; %bb.166:
	v_cmp_ge_u32_e32 vcc, v0, v10
                                        ; implicit-def: $vgpr12_vgpr13
	s_and_saveexec_b64 s[0:1], vcc
	s_xor_b64 s[0:1], exec, s[0:1]
; %bb.167:
	v_not_b32_e32 v12, v0
	v_ashrrev_i32_e32 v13, 31, v12
	v_lshl_add_u64 v[12:13], v[6:7], 0, v[12:13]
; %bb.168:
	s_andn2_saveexec_b64 s[0:1], s[0:1]
; %bb.169:
	v_lshl_add_u64 v[12:13], v[2:3], 0, v[0:1]
; %bb.170:
	s_or_b64 exec, exec, s[0:1]
	v_lshl_add_u64 v[12:13], v[12:13], 1, s[2:3]
	v_cmp_ge_u32_e32 vcc, v66, v10
	s_waitcnt lgkmcnt(14)
	global_store_short v[12:13], v99, off
                                        ; implicit-def: $vgpr12_vgpr13
	s_and_saveexec_b64 s[0:1], vcc
	s_xor_b64 s[0:1], exec, s[0:1]
; %bb.171:
	v_xor_b32_e32 v12, 0xfffffdff, v0
	v_ashrrev_i32_e32 v13, 31, v12
	v_lshl_add_u64 v[12:13], v[6:7], 0, v[12:13]
; %bb.172:
	s_andn2_saveexec_b64 s[0:1], s[0:1]
; %bb.173:
	v_lshl_add_u64 v[12:13], v[2:3], 0, v[66:67]
; %bb.174:
	s_or_b64 exec, exec, s[0:1]
	v_lshl_add_u64 v[12:13], v[12:13], 1, s[2:3]
	v_cmp_ge_u32_e32 vcc, v64, v10
	global_store_short v[12:13], v98, off
                                        ; implicit-def: $vgpr12_vgpr13
	s_and_saveexec_b64 s[0:1], vcc
	s_xor_b64 s[0:1], exec, s[0:1]
; %bb.175:
	v_xor_b32_e32 v12, 0xfffffbff, v0
	v_ashrrev_i32_e32 v13, 31, v12
	v_lshl_add_u64 v[12:13], v[6:7], 0, v[12:13]
; %bb.176:
	s_andn2_saveexec_b64 s[0:1], s[0:1]
; %bb.177:
	v_lshl_add_u64 v[12:13], v[2:3], 0, v[64:65]
; %bb.178:
	s_or_b64 exec, exec, s[0:1]
	v_lshl_add_u64 v[12:13], v[12:13], 1, s[2:3]
	v_cmp_ge_u32_e32 vcc, v62, v10
	;; [unrolled: 16-line block ×16, first 2 shown]
	s_waitcnt lgkmcnt(13)
	global_store_short v[12:13], v83, off
                                        ; implicit-def: $vgpr12_vgpr13
	s_and_saveexec_b64 s[0:1], vcc
	s_xor_b64 s[0:1], exec, s[0:1]
; %bb.235:
	v_xor_b32_e32 v12, 0xffffddff, v0
	v_ashrrev_i32_e32 v13, 31, v12
	v_lshl_add_u64 v[12:13], v[6:7], 0, v[12:13]
; %bb.236:
	s_andn2_saveexec_b64 s[0:1], s[0:1]
; %bb.237:
	v_lshl_add_u64 v[12:13], v[2:3], 0, v[34:35]
; %bb.238:
	s_or_b64 exec, exec, s[0:1]
	v_lshl_add_u64 v[12:13], v[12:13], 1, s[2:3]
	v_cmp_ge_u32_e32 vcc, v32, v10
	s_waitcnt lgkmcnt(12)
	global_store_short v[12:13], v82, off
                                        ; implicit-def: $vgpr12_vgpr13
	s_and_saveexec_b64 s[0:1], vcc
	s_xor_b64 s[0:1], exec, s[0:1]
; %bb.239:
	v_xor_b32_e32 v12, 0xffffdbff, v0
	v_ashrrev_i32_e32 v13, 31, v12
	v_lshl_add_u64 v[12:13], v[6:7], 0, v[12:13]
; %bb.240:
	s_andn2_saveexec_b64 s[0:1], s[0:1]
; %bb.241:
	v_lshl_add_u64 v[12:13], v[2:3], 0, v[32:33]
; %bb.242:
	s_or_b64 exec, exec, s[0:1]
	v_lshl_add_u64 v[12:13], v[12:13], 1, s[2:3]
	v_cmp_ge_u32_e32 vcc, v30, v10
	;; [unrolled: 17-line block ×12, first 2 shown]
	s_waitcnt lgkmcnt(1)
	global_store_short v[12:13], v71, off
                                        ; implicit-def: $vgpr12_vgpr13
	s_and_saveexec_b64 s[0:1], vcc
	s_xor_b64 s[0:1], exec, s[0:1]
; %bb.283:
	v_xor_b32_e32 v12, 0xffffc5ff, v0
	v_ashrrev_i32_e32 v13, 31, v12
	v_lshl_add_u64 v[12:13], v[6:7], 0, v[12:13]
; %bb.284:
	s_andn2_saveexec_b64 s[0:1], s[0:1]
; %bb.285:
	v_lshl_add_u64 v[12:13], v[2:3], 0, v[4:5]
; %bb.286:
	s_or_b64 exec, exec, s[0:1]
	s_mov_b64 s[0:1], -1
	s_branch .LBB3627_469
.LBB3627_287:
	s_mov_b64 s[0:1], 0
                                        ; implicit-def: $vgpr12_vgpr13
	s_cbranch_execz .LBB3627_469
; %bb.288:
	v_cmp_gt_u32_e32 vcc, s33, v0
	s_and_saveexec_b64 s[4:5], vcc
	s_cbranch_execz .LBB3627_374
; %bb.289:
	v_cmp_ge_u32_e32 vcc, v0, v10
                                        ; implicit-def: $vgpr12_vgpr13
	s_and_saveexec_b64 s[6:7], vcc
	s_xor_b64 s[6:7], exec, s[6:7]
; %bb.290:
	v_not_b32_e32 v12, v0
	v_ashrrev_i32_e32 v13, 31, v12
	v_lshl_add_u64 v[12:13], v[6:7], 0, v[12:13]
; %bb.291:
	s_andn2_saveexec_b64 s[6:7], s[6:7]
; %bb.292:
	v_lshl_add_u64 v[12:13], v[2:3], 0, v[0:1]
; %bb.293:
	s_or_b64 exec, exec, s[6:7]
	v_lshl_add_u64 v[12:13], v[12:13], 1, s[2:3]
	s_waitcnt lgkmcnt(14)
	global_store_short v[12:13], v99, off
	s_or_b64 exec, exec, s[4:5]
	v_cmp_gt_u32_e32 vcc, s33, v66
	s_and_saveexec_b64 s[4:5], vcc
	s_cbranch_execnz .LBB3627_375
.LBB3627_294:
	s_or_b64 exec, exec, s[4:5]
	v_cmp_gt_u32_e32 vcc, s33, v64
	s_and_saveexec_b64 s[4:5], vcc
	s_cbranch_execz .LBB3627_380
.LBB3627_295:
	v_cmp_ge_u32_e32 vcc, v64, v10
                                        ; implicit-def: $vgpr12_vgpr13
	s_and_saveexec_b64 s[6:7], vcc
	s_xor_b64 s[6:7], exec, s[6:7]
; %bb.296:
	v_xor_b32_e32 v12, 0xfffffbff, v0
	v_ashrrev_i32_e32 v13, 31, v12
	v_lshl_add_u64 v[12:13], v[6:7], 0, v[12:13]
                                        ; implicit-def: $vgpr64_vgpr65
; %bb.297:
	s_andn2_saveexec_b64 s[6:7], s[6:7]
; %bb.298:
	v_lshl_add_u64 v[12:13], v[2:3], 0, v[64:65]
; %bb.299:
	s_or_b64 exec, exec, s[6:7]
	v_lshl_add_u64 v[12:13], v[12:13], 1, s[2:3]
	s_waitcnt lgkmcnt(14)
	global_store_short v[12:13], v97, off
	s_or_b64 exec, exec, s[4:5]
	v_cmp_gt_u32_e32 vcc, s33, v62
	s_and_saveexec_b64 s[4:5], vcc
	s_cbranch_execnz .LBB3627_381
.LBB3627_300:
	s_or_b64 exec, exec, s[4:5]
	v_cmp_gt_u32_e32 vcc, s33, v60
	s_and_saveexec_b64 s[4:5], vcc
	s_cbranch_execz .LBB3627_386
.LBB3627_301:
	v_cmp_ge_u32_e32 vcc, v60, v10
                                        ; implicit-def: $vgpr12_vgpr13
	s_and_saveexec_b64 s[6:7], vcc
	s_xor_b64 s[6:7], exec, s[6:7]
; %bb.302:
	v_xor_b32_e32 v12, 0xfffff7ff, v0
	v_ashrrev_i32_e32 v13, 31, v12
	v_lshl_add_u64 v[12:13], v[6:7], 0, v[12:13]
                                        ; implicit-def: $vgpr60_vgpr61
; %bb.303:
	s_andn2_saveexec_b64 s[6:7], s[6:7]
; %bb.304:
	v_lshl_add_u64 v[12:13], v[2:3], 0, v[60:61]
; %bb.305:
	s_or_b64 exec, exec, s[6:7]
	v_lshl_add_u64 v[12:13], v[12:13], 1, s[2:3]
	s_waitcnt lgkmcnt(14)
	global_store_short v[12:13], v95, off
	s_or_b64 exec, exec, s[4:5]
	v_cmp_gt_u32_e32 vcc, s33, v58
	s_and_saveexec_b64 s[4:5], vcc
	s_cbranch_execnz .LBB3627_387
.LBB3627_306:
	s_or_b64 exec, exec, s[4:5]
	v_cmp_gt_u32_e32 vcc, s33, v56
	s_and_saveexec_b64 s[4:5], vcc
	s_cbranch_execz .LBB3627_392
.LBB3627_307:
	v_cmp_ge_u32_e32 vcc, v56, v10
                                        ; implicit-def: $vgpr12_vgpr13
	s_and_saveexec_b64 s[6:7], vcc
	s_xor_b64 s[6:7], exec, s[6:7]
; %bb.308:
	v_xor_b32_e32 v12, 0xfffff3ff, v0
	v_ashrrev_i32_e32 v13, 31, v12
	v_lshl_add_u64 v[12:13], v[6:7], 0, v[12:13]
                                        ; implicit-def: $vgpr56_vgpr57
; %bb.309:
	s_andn2_saveexec_b64 s[6:7], s[6:7]
; %bb.310:
	v_lshl_add_u64 v[12:13], v[2:3], 0, v[56:57]
; %bb.311:
	s_or_b64 exec, exec, s[6:7]
	v_lshl_add_u64 v[12:13], v[12:13], 1, s[2:3]
	s_waitcnt lgkmcnt(14)
	global_store_short v[12:13], v93, off
	s_or_b64 exec, exec, s[4:5]
	v_cmp_gt_u32_e32 vcc, s33, v54
	s_and_saveexec_b64 s[4:5], vcc
	s_cbranch_execnz .LBB3627_393
.LBB3627_312:
	s_or_b64 exec, exec, s[4:5]
	v_cmp_gt_u32_e32 vcc, s33, v52
	s_and_saveexec_b64 s[4:5], vcc
	s_cbranch_execz .LBB3627_398
.LBB3627_313:
	v_cmp_ge_u32_e32 vcc, v52, v10
                                        ; implicit-def: $vgpr12_vgpr13
	s_and_saveexec_b64 s[6:7], vcc
	s_xor_b64 s[6:7], exec, s[6:7]
; %bb.314:
	v_xor_b32_e32 v12, 0xffffefff, v0
	v_ashrrev_i32_e32 v13, 31, v12
	v_lshl_add_u64 v[12:13], v[6:7], 0, v[12:13]
                                        ; implicit-def: $vgpr52_vgpr53
; %bb.315:
	s_andn2_saveexec_b64 s[6:7], s[6:7]
; %bb.316:
	v_lshl_add_u64 v[12:13], v[2:3], 0, v[52:53]
; %bb.317:
	s_or_b64 exec, exec, s[6:7]
	v_lshl_add_u64 v[12:13], v[12:13], 1, s[2:3]
	s_waitcnt lgkmcnt(14)
	global_store_short v[12:13], v91, off
	s_or_b64 exec, exec, s[4:5]
	v_cmp_gt_u32_e32 vcc, s33, v50
	s_and_saveexec_b64 s[4:5], vcc
	s_cbranch_execnz .LBB3627_399
.LBB3627_318:
	s_or_b64 exec, exec, s[4:5]
	v_cmp_gt_u32_e32 vcc, s33, v48
	s_and_saveexec_b64 s[4:5], vcc
	s_cbranch_execz .LBB3627_404
.LBB3627_319:
	v_cmp_ge_u32_e32 vcc, v48, v10
                                        ; implicit-def: $vgpr12_vgpr13
	s_and_saveexec_b64 s[6:7], vcc
	s_xor_b64 s[6:7], exec, s[6:7]
; %bb.320:
	v_xor_b32_e32 v12, 0xffffebff, v0
	v_ashrrev_i32_e32 v13, 31, v12
	v_lshl_add_u64 v[12:13], v[6:7], 0, v[12:13]
                                        ; implicit-def: $vgpr48_vgpr49
; %bb.321:
	s_andn2_saveexec_b64 s[6:7], s[6:7]
; %bb.322:
	v_lshl_add_u64 v[12:13], v[2:3], 0, v[48:49]
; %bb.323:
	s_or_b64 exec, exec, s[6:7]
	v_lshl_add_u64 v[12:13], v[12:13], 1, s[2:3]
	s_waitcnt lgkmcnt(14)
	global_store_short v[12:13], v89, off
	s_or_b64 exec, exec, s[4:5]
	v_cmp_gt_u32_e32 vcc, s33, v46
	s_and_saveexec_b64 s[4:5], vcc
	s_cbranch_execnz .LBB3627_405
.LBB3627_324:
	s_or_b64 exec, exec, s[4:5]
	v_cmp_gt_u32_e32 vcc, s33, v44
	s_and_saveexec_b64 s[4:5], vcc
	s_cbranch_execz .LBB3627_410
.LBB3627_325:
	v_cmp_ge_u32_e32 vcc, v44, v10
                                        ; implicit-def: $vgpr12_vgpr13
	s_and_saveexec_b64 s[6:7], vcc
	s_xor_b64 s[6:7], exec, s[6:7]
; %bb.326:
	v_xor_b32_e32 v12, 0xffffe7ff, v0
	v_ashrrev_i32_e32 v13, 31, v12
	v_lshl_add_u64 v[12:13], v[6:7], 0, v[12:13]
                                        ; implicit-def: $vgpr44_vgpr45
; %bb.327:
	s_andn2_saveexec_b64 s[6:7], s[6:7]
; %bb.328:
	v_lshl_add_u64 v[12:13], v[2:3], 0, v[44:45]
; %bb.329:
	s_or_b64 exec, exec, s[6:7]
	v_lshl_add_u64 v[12:13], v[12:13], 1, s[2:3]
	s_waitcnt lgkmcnt(14)
	global_store_short v[12:13], v87, off
	s_or_b64 exec, exec, s[4:5]
	v_cmp_gt_u32_e32 vcc, s33, v42
	s_and_saveexec_b64 s[4:5], vcc
	s_cbranch_execnz .LBB3627_411
.LBB3627_330:
	s_or_b64 exec, exec, s[4:5]
	v_cmp_gt_u32_e32 vcc, s33, v40
	s_and_saveexec_b64 s[4:5], vcc
	s_cbranch_execz .LBB3627_416
.LBB3627_331:
	v_cmp_ge_u32_e32 vcc, v40, v10
                                        ; implicit-def: $vgpr12_vgpr13
	s_and_saveexec_b64 s[6:7], vcc
	s_xor_b64 s[6:7], exec, s[6:7]
; %bb.332:
	v_xor_b32_e32 v12, 0xffffe3ff, v0
	v_ashrrev_i32_e32 v13, 31, v12
	v_lshl_add_u64 v[12:13], v[6:7], 0, v[12:13]
                                        ; implicit-def: $vgpr40_vgpr41
; %bb.333:
	s_andn2_saveexec_b64 s[6:7], s[6:7]
; %bb.334:
	v_lshl_add_u64 v[12:13], v[2:3], 0, v[40:41]
; %bb.335:
	s_or_b64 exec, exec, s[6:7]
	v_lshl_add_u64 v[12:13], v[12:13], 1, s[2:3]
	s_waitcnt lgkmcnt(14)
	global_store_short v[12:13], v85, off
	s_or_b64 exec, exec, s[4:5]
	v_cmp_gt_u32_e32 vcc, s33, v38
	s_and_saveexec_b64 s[4:5], vcc
	s_cbranch_execnz .LBB3627_417
.LBB3627_336:
	s_or_b64 exec, exec, s[4:5]
	v_cmp_gt_u32_e32 vcc, s33, v36
	s_and_saveexec_b64 s[4:5], vcc
	s_cbranch_execz .LBB3627_422
.LBB3627_337:
	v_cmp_ge_u32_e32 vcc, v36, v10
                                        ; implicit-def: $vgpr12_vgpr13
	s_and_saveexec_b64 s[6:7], vcc
	s_xor_b64 s[6:7], exec, s[6:7]
; %bb.338:
	v_xor_b32_e32 v12, 0xffffdfff, v0
	v_ashrrev_i32_e32 v13, 31, v12
	v_lshl_add_u64 v[12:13], v[6:7], 0, v[12:13]
                                        ; implicit-def: $vgpr36_vgpr37
; %bb.339:
	s_andn2_saveexec_b64 s[6:7], s[6:7]
; %bb.340:
	v_lshl_add_u64 v[12:13], v[2:3], 0, v[36:37]
; %bb.341:
	s_or_b64 exec, exec, s[6:7]
	v_lshl_add_u64 v[12:13], v[12:13], 1, s[2:3]
	s_waitcnt lgkmcnt(13)
	global_store_short v[12:13], v83, off
	s_or_b64 exec, exec, s[4:5]
	v_cmp_gt_u32_e32 vcc, s33, v34
	s_and_saveexec_b64 s[4:5], vcc
	s_cbranch_execnz .LBB3627_423
.LBB3627_342:
	s_or_b64 exec, exec, s[4:5]
	v_cmp_gt_u32_e32 vcc, s33, v32
	s_and_saveexec_b64 s[4:5], vcc
	s_cbranch_execz .LBB3627_428
.LBB3627_343:
	v_cmp_ge_u32_e32 vcc, v32, v10
                                        ; implicit-def: $vgpr12_vgpr13
	s_and_saveexec_b64 s[6:7], vcc
	s_xor_b64 s[6:7], exec, s[6:7]
; %bb.344:
	v_xor_b32_e32 v12, 0xffffdbff, v0
	v_ashrrev_i32_e32 v13, 31, v12
	v_lshl_add_u64 v[12:13], v[6:7], 0, v[12:13]
                                        ; implicit-def: $vgpr32_vgpr33
; %bb.345:
	s_andn2_saveexec_b64 s[6:7], s[6:7]
; %bb.346:
	v_lshl_add_u64 v[12:13], v[2:3], 0, v[32:33]
; %bb.347:
	s_or_b64 exec, exec, s[6:7]
	v_lshl_add_u64 v[12:13], v[12:13], 1, s[2:3]
	s_waitcnt lgkmcnt(11)
	global_store_short v[12:13], v81, off
	s_or_b64 exec, exec, s[4:5]
	v_cmp_gt_u32_e32 vcc, s33, v30
	s_and_saveexec_b64 s[4:5], vcc
	s_cbranch_execnz .LBB3627_429
.LBB3627_348:
	s_or_b64 exec, exec, s[4:5]
	v_cmp_gt_u32_e32 vcc, s33, v28
	s_and_saveexec_b64 s[4:5], vcc
	s_cbranch_execz .LBB3627_434
.LBB3627_349:
	v_cmp_ge_u32_e32 vcc, v28, v10
                                        ; implicit-def: $vgpr12_vgpr13
	s_and_saveexec_b64 s[6:7], vcc
	s_xor_b64 s[6:7], exec, s[6:7]
; %bb.350:
	v_xor_b32_e32 v12, 0xffffd7ff, v0
	v_ashrrev_i32_e32 v13, 31, v12
	v_lshl_add_u64 v[12:13], v[6:7], 0, v[12:13]
                                        ; implicit-def: $vgpr28_vgpr29
; %bb.351:
	s_andn2_saveexec_b64 s[6:7], s[6:7]
; %bb.352:
	v_lshl_add_u64 v[12:13], v[2:3], 0, v[28:29]
; %bb.353:
	s_or_b64 exec, exec, s[6:7]
	v_lshl_add_u64 v[12:13], v[12:13], 1, s[2:3]
	s_waitcnt lgkmcnt(9)
	global_store_short v[12:13], v79, off
	s_or_b64 exec, exec, s[4:5]
	v_cmp_gt_u32_e32 vcc, s33, v26
	s_and_saveexec_b64 s[4:5], vcc
	s_cbranch_execnz .LBB3627_435
.LBB3627_354:
	s_or_b64 exec, exec, s[4:5]
	v_cmp_gt_u32_e32 vcc, s33, v24
	s_and_saveexec_b64 s[4:5], vcc
	s_cbranch_execz .LBB3627_440
.LBB3627_355:
	v_cmp_ge_u32_e32 vcc, v24, v10
                                        ; implicit-def: $vgpr12_vgpr13
	s_and_saveexec_b64 s[6:7], vcc
	s_xor_b64 s[6:7], exec, s[6:7]
; %bb.356:
	v_xor_b32_e32 v12, 0xffffd3ff, v0
	v_ashrrev_i32_e32 v13, 31, v12
	v_lshl_add_u64 v[12:13], v[6:7], 0, v[12:13]
                                        ; implicit-def: $vgpr24_vgpr25
; %bb.357:
	s_andn2_saveexec_b64 s[6:7], s[6:7]
; %bb.358:
	v_lshl_add_u64 v[12:13], v[2:3], 0, v[24:25]
; %bb.359:
	s_or_b64 exec, exec, s[6:7]
	v_lshl_add_u64 v[12:13], v[12:13], 1, s[2:3]
	s_waitcnt lgkmcnt(7)
	global_store_short v[12:13], v77, off
	s_or_b64 exec, exec, s[4:5]
	v_cmp_gt_u32_e32 vcc, s33, v22
	s_and_saveexec_b64 s[4:5], vcc
	s_cbranch_execnz .LBB3627_441
.LBB3627_360:
	s_or_b64 exec, exec, s[4:5]
	v_cmp_gt_u32_e32 vcc, s33, v20
	s_and_saveexec_b64 s[4:5], vcc
	s_cbranch_execz .LBB3627_446
.LBB3627_361:
	v_cmp_ge_u32_e32 vcc, v20, v10
                                        ; implicit-def: $vgpr12_vgpr13
	s_and_saveexec_b64 s[6:7], vcc
	s_xor_b64 s[6:7], exec, s[6:7]
; %bb.362:
	v_xor_b32_e32 v12, 0xffffcfff, v0
	v_ashrrev_i32_e32 v13, 31, v12
	v_lshl_add_u64 v[12:13], v[6:7], 0, v[12:13]
                                        ; implicit-def: $vgpr20_vgpr21
; %bb.363:
	s_andn2_saveexec_b64 s[6:7], s[6:7]
; %bb.364:
	v_lshl_add_u64 v[12:13], v[2:3], 0, v[20:21]
; %bb.365:
	s_or_b64 exec, exec, s[6:7]
	v_lshl_add_u64 v[12:13], v[12:13], 1, s[2:3]
	s_waitcnt lgkmcnt(5)
	global_store_short v[12:13], v75, off
	s_or_b64 exec, exec, s[4:5]
	v_cmp_gt_u32_e32 vcc, s33, v18
	s_and_saveexec_b64 s[4:5], vcc
	s_cbranch_execnz .LBB3627_447
.LBB3627_366:
	s_or_b64 exec, exec, s[4:5]
	v_cmp_gt_u32_e32 vcc, s33, v16
	s_and_saveexec_b64 s[4:5], vcc
	s_cbranch_execz .LBB3627_452
.LBB3627_367:
	v_cmp_ge_u32_e32 vcc, v16, v10
                                        ; implicit-def: $vgpr12_vgpr13
	s_and_saveexec_b64 s[6:7], vcc
	s_xor_b64 s[6:7], exec, s[6:7]
; %bb.368:
	v_xor_b32_e32 v12, 0xffffcbff, v0
	v_ashrrev_i32_e32 v13, 31, v12
	v_lshl_add_u64 v[12:13], v[6:7], 0, v[12:13]
                                        ; implicit-def: $vgpr16_vgpr17
; %bb.369:
	s_andn2_saveexec_b64 s[6:7], s[6:7]
; %bb.370:
	v_lshl_add_u64 v[12:13], v[2:3], 0, v[16:17]
; %bb.371:
	s_or_b64 exec, exec, s[6:7]
	v_lshl_add_u64 v[12:13], v[12:13], 1, s[2:3]
	s_waitcnt lgkmcnt(3)
	global_store_short v[12:13], v73, off
	s_or_b64 exec, exec, s[4:5]
	v_cmp_gt_u32_e32 vcc, s33, v14
	s_and_saveexec_b64 s[4:5], vcc
	s_cbranch_execnz .LBB3627_453
.LBB3627_372:
	s_or_b64 exec, exec, s[4:5]
	v_cmp_gt_u32_e32 vcc, s33, v8
	s_and_saveexec_b64 s[4:5], vcc
	s_cbranch_execnz .LBB3627_458
.LBB3627_373:
	s_or_b64 exec, exec, s[4:5]
	v_cmp_gt_u32_e32 vcc, s33, v4
                                        ; implicit-def: $vgpr12_vgpr13
	s_and_saveexec_b64 s[4:5], vcc
	s_cbranch_execz .LBB3627_468
	s_branch .LBB3627_463
.LBB3627_374:
	s_or_b64 exec, exec, s[4:5]
	v_cmp_gt_u32_e32 vcc, s33, v66
	s_and_saveexec_b64 s[4:5], vcc
	s_cbranch_execz .LBB3627_294
.LBB3627_375:
	v_cmp_ge_u32_e32 vcc, v66, v10
                                        ; implicit-def: $vgpr12_vgpr13
	s_and_saveexec_b64 s[6:7], vcc
	s_xor_b64 s[6:7], exec, s[6:7]
; %bb.376:
	v_xor_b32_e32 v12, 0xfffffdff, v0
	v_ashrrev_i32_e32 v13, 31, v12
	v_lshl_add_u64 v[12:13], v[6:7], 0, v[12:13]
                                        ; implicit-def: $vgpr66_vgpr67
; %bb.377:
	s_andn2_saveexec_b64 s[6:7], s[6:7]
; %bb.378:
	v_lshl_add_u64 v[12:13], v[2:3], 0, v[66:67]
; %bb.379:
	s_or_b64 exec, exec, s[6:7]
	v_lshl_add_u64 v[12:13], v[12:13], 1, s[2:3]
	s_waitcnt lgkmcnt(14)
	global_store_short v[12:13], v98, off
	s_or_b64 exec, exec, s[4:5]
	v_cmp_gt_u32_e32 vcc, s33, v64
	s_and_saveexec_b64 s[4:5], vcc
	s_cbranch_execnz .LBB3627_295
.LBB3627_380:
	s_or_b64 exec, exec, s[4:5]
	v_cmp_gt_u32_e32 vcc, s33, v62
	s_and_saveexec_b64 s[4:5], vcc
	s_cbranch_execz .LBB3627_300
.LBB3627_381:
	v_cmp_ge_u32_e32 vcc, v62, v10
                                        ; implicit-def: $vgpr12_vgpr13
	s_and_saveexec_b64 s[6:7], vcc
	s_xor_b64 s[6:7], exec, s[6:7]
; %bb.382:
	v_xor_b32_e32 v12, 0xfffff9ff, v0
	v_ashrrev_i32_e32 v13, 31, v12
	v_lshl_add_u64 v[12:13], v[6:7], 0, v[12:13]
                                        ; implicit-def: $vgpr62_vgpr63
; %bb.383:
	s_andn2_saveexec_b64 s[6:7], s[6:7]
; %bb.384:
	v_lshl_add_u64 v[12:13], v[2:3], 0, v[62:63]
; %bb.385:
	s_or_b64 exec, exec, s[6:7]
	v_lshl_add_u64 v[12:13], v[12:13], 1, s[2:3]
	s_waitcnt lgkmcnt(14)
	global_store_short v[12:13], v96, off
	s_or_b64 exec, exec, s[4:5]
	v_cmp_gt_u32_e32 vcc, s33, v60
	s_and_saveexec_b64 s[4:5], vcc
	s_cbranch_execnz .LBB3627_301
.LBB3627_386:
	s_or_b64 exec, exec, s[4:5]
	v_cmp_gt_u32_e32 vcc, s33, v58
	s_and_saveexec_b64 s[4:5], vcc
	s_cbranch_execz .LBB3627_306
.LBB3627_387:
	v_cmp_ge_u32_e32 vcc, v58, v10
                                        ; implicit-def: $vgpr12_vgpr13
	s_and_saveexec_b64 s[6:7], vcc
	s_xor_b64 s[6:7], exec, s[6:7]
; %bb.388:
	v_xor_b32_e32 v12, 0xfffff5ff, v0
	v_ashrrev_i32_e32 v13, 31, v12
	v_lshl_add_u64 v[12:13], v[6:7], 0, v[12:13]
                                        ; implicit-def: $vgpr58_vgpr59
; %bb.389:
	s_andn2_saveexec_b64 s[6:7], s[6:7]
; %bb.390:
	v_lshl_add_u64 v[12:13], v[2:3], 0, v[58:59]
; %bb.391:
	s_or_b64 exec, exec, s[6:7]
	v_lshl_add_u64 v[12:13], v[12:13], 1, s[2:3]
	s_waitcnt lgkmcnt(14)
	global_store_short v[12:13], v94, off
	s_or_b64 exec, exec, s[4:5]
	v_cmp_gt_u32_e32 vcc, s33, v56
	s_and_saveexec_b64 s[4:5], vcc
	s_cbranch_execnz .LBB3627_307
.LBB3627_392:
	s_or_b64 exec, exec, s[4:5]
	v_cmp_gt_u32_e32 vcc, s33, v54
	s_and_saveexec_b64 s[4:5], vcc
	s_cbranch_execz .LBB3627_312
.LBB3627_393:
	v_cmp_ge_u32_e32 vcc, v54, v10
                                        ; implicit-def: $vgpr12_vgpr13
	s_and_saveexec_b64 s[6:7], vcc
	s_xor_b64 s[6:7], exec, s[6:7]
; %bb.394:
	v_xor_b32_e32 v12, 0xfffff1ff, v0
	v_ashrrev_i32_e32 v13, 31, v12
	v_lshl_add_u64 v[12:13], v[6:7], 0, v[12:13]
                                        ; implicit-def: $vgpr54_vgpr55
; %bb.395:
	s_andn2_saveexec_b64 s[6:7], s[6:7]
; %bb.396:
	v_lshl_add_u64 v[12:13], v[2:3], 0, v[54:55]
; %bb.397:
	s_or_b64 exec, exec, s[6:7]
	v_lshl_add_u64 v[12:13], v[12:13], 1, s[2:3]
	s_waitcnt lgkmcnt(14)
	global_store_short v[12:13], v92, off
	s_or_b64 exec, exec, s[4:5]
	v_cmp_gt_u32_e32 vcc, s33, v52
	s_and_saveexec_b64 s[4:5], vcc
	s_cbranch_execnz .LBB3627_313
.LBB3627_398:
	s_or_b64 exec, exec, s[4:5]
	v_cmp_gt_u32_e32 vcc, s33, v50
	s_and_saveexec_b64 s[4:5], vcc
	s_cbranch_execz .LBB3627_318
.LBB3627_399:
	v_cmp_ge_u32_e32 vcc, v50, v10
                                        ; implicit-def: $vgpr12_vgpr13
	s_and_saveexec_b64 s[6:7], vcc
	s_xor_b64 s[6:7], exec, s[6:7]
; %bb.400:
	v_xor_b32_e32 v12, 0xffffedff, v0
	v_ashrrev_i32_e32 v13, 31, v12
	v_lshl_add_u64 v[12:13], v[6:7], 0, v[12:13]
                                        ; implicit-def: $vgpr50_vgpr51
; %bb.401:
	s_andn2_saveexec_b64 s[6:7], s[6:7]
; %bb.402:
	v_lshl_add_u64 v[12:13], v[2:3], 0, v[50:51]
; %bb.403:
	s_or_b64 exec, exec, s[6:7]
	v_lshl_add_u64 v[12:13], v[12:13], 1, s[2:3]
	s_waitcnt lgkmcnt(14)
	global_store_short v[12:13], v90, off
	s_or_b64 exec, exec, s[4:5]
	v_cmp_gt_u32_e32 vcc, s33, v48
	s_and_saveexec_b64 s[4:5], vcc
	s_cbranch_execnz .LBB3627_319
.LBB3627_404:
	s_or_b64 exec, exec, s[4:5]
	v_cmp_gt_u32_e32 vcc, s33, v46
	s_and_saveexec_b64 s[4:5], vcc
	s_cbranch_execz .LBB3627_324
.LBB3627_405:
	v_cmp_ge_u32_e32 vcc, v46, v10
                                        ; implicit-def: $vgpr12_vgpr13
	s_and_saveexec_b64 s[6:7], vcc
	s_xor_b64 s[6:7], exec, s[6:7]
; %bb.406:
	v_xor_b32_e32 v12, 0xffffe9ff, v0
	v_ashrrev_i32_e32 v13, 31, v12
	v_lshl_add_u64 v[12:13], v[6:7], 0, v[12:13]
                                        ; implicit-def: $vgpr46_vgpr47
; %bb.407:
	s_andn2_saveexec_b64 s[6:7], s[6:7]
; %bb.408:
	v_lshl_add_u64 v[12:13], v[2:3], 0, v[46:47]
; %bb.409:
	s_or_b64 exec, exec, s[6:7]
	v_lshl_add_u64 v[12:13], v[12:13], 1, s[2:3]
	s_waitcnt lgkmcnt(14)
	global_store_short v[12:13], v88, off
	s_or_b64 exec, exec, s[4:5]
	v_cmp_gt_u32_e32 vcc, s33, v44
	s_and_saveexec_b64 s[4:5], vcc
	s_cbranch_execnz .LBB3627_325
.LBB3627_410:
	s_or_b64 exec, exec, s[4:5]
	v_cmp_gt_u32_e32 vcc, s33, v42
	s_and_saveexec_b64 s[4:5], vcc
	s_cbranch_execz .LBB3627_330
.LBB3627_411:
	v_cmp_ge_u32_e32 vcc, v42, v10
                                        ; implicit-def: $vgpr12_vgpr13
	s_and_saveexec_b64 s[6:7], vcc
	s_xor_b64 s[6:7], exec, s[6:7]
; %bb.412:
	v_xor_b32_e32 v12, 0xffffe5ff, v0
	v_ashrrev_i32_e32 v13, 31, v12
	v_lshl_add_u64 v[12:13], v[6:7], 0, v[12:13]
                                        ; implicit-def: $vgpr42_vgpr43
; %bb.413:
	s_andn2_saveexec_b64 s[6:7], s[6:7]
; %bb.414:
	v_lshl_add_u64 v[12:13], v[2:3], 0, v[42:43]
; %bb.415:
	s_or_b64 exec, exec, s[6:7]
	v_lshl_add_u64 v[12:13], v[12:13], 1, s[2:3]
	s_waitcnt lgkmcnt(14)
	global_store_short v[12:13], v86, off
	s_or_b64 exec, exec, s[4:5]
	v_cmp_gt_u32_e32 vcc, s33, v40
	s_and_saveexec_b64 s[4:5], vcc
	s_cbranch_execnz .LBB3627_331
.LBB3627_416:
	s_or_b64 exec, exec, s[4:5]
	v_cmp_gt_u32_e32 vcc, s33, v38
	s_and_saveexec_b64 s[4:5], vcc
	s_cbranch_execz .LBB3627_336
.LBB3627_417:
	v_cmp_ge_u32_e32 vcc, v38, v10
                                        ; implicit-def: $vgpr12_vgpr13
	s_and_saveexec_b64 s[6:7], vcc
	s_xor_b64 s[6:7], exec, s[6:7]
; %bb.418:
	v_xor_b32_e32 v12, 0xffffe1ff, v0
	v_ashrrev_i32_e32 v13, 31, v12
	v_lshl_add_u64 v[12:13], v[6:7], 0, v[12:13]
                                        ; implicit-def: $vgpr38_vgpr39
; %bb.419:
	s_andn2_saveexec_b64 s[6:7], s[6:7]
; %bb.420:
	v_lshl_add_u64 v[12:13], v[2:3], 0, v[38:39]
; %bb.421:
	s_or_b64 exec, exec, s[6:7]
	v_lshl_add_u64 v[12:13], v[12:13], 1, s[2:3]
	s_waitcnt lgkmcnt(14)
	global_store_short v[12:13], v84, off
	s_or_b64 exec, exec, s[4:5]
	v_cmp_gt_u32_e32 vcc, s33, v36
	s_and_saveexec_b64 s[4:5], vcc
	s_cbranch_execnz .LBB3627_337
.LBB3627_422:
	s_or_b64 exec, exec, s[4:5]
	v_cmp_gt_u32_e32 vcc, s33, v34
	s_and_saveexec_b64 s[4:5], vcc
	s_cbranch_execz .LBB3627_342
.LBB3627_423:
	v_cmp_ge_u32_e32 vcc, v34, v10
                                        ; implicit-def: $vgpr12_vgpr13
	s_and_saveexec_b64 s[6:7], vcc
	s_xor_b64 s[6:7], exec, s[6:7]
; %bb.424:
	v_xor_b32_e32 v12, 0xffffddff, v0
	v_ashrrev_i32_e32 v13, 31, v12
	v_lshl_add_u64 v[12:13], v[6:7], 0, v[12:13]
                                        ; implicit-def: $vgpr34_vgpr35
; %bb.425:
	s_andn2_saveexec_b64 s[6:7], s[6:7]
; %bb.426:
	v_lshl_add_u64 v[12:13], v[2:3], 0, v[34:35]
; %bb.427:
	s_or_b64 exec, exec, s[6:7]
	v_lshl_add_u64 v[12:13], v[12:13], 1, s[2:3]
	s_waitcnt lgkmcnt(12)
	global_store_short v[12:13], v82, off
	s_or_b64 exec, exec, s[4:5]
	v_cmp_gt_u32_e32 vcc, s33, v32
	s_and_saveexec_b64 s[4:5], vcc
	s_cbranch_execnz .LBB3627_343
.LBB3627_428:
	s_or_b64 exec, exec, s[4:5]
	v_cmp_gt_u32_e32 vcc, s33, v30
	s_and_saveexec_b64 s[4:5], vcc
	s_cbranch_execz .LBB3627_348
.LBB3627_429:
	v_cmp_ge_u32_e32 vcc, v30, v10
                                        ; implicit-def: $vgpr12_vgpr13
	s_and_saveexec_b64 s[6:7], vcc
	s_xor_b64 s[6:7], exec, s[6:7]
; %bb.430:
	v_xor_b32_e32 v12, 0xffffd9ff, v0
	v_ashrrev_i32_e32 v13, 31, v12
	v_lshl_add_u64 v[12:13], v[6:7], 0, v[12:13]
                                        ; implicit-def: $vgpr30_vgpr31
; %bb.431:
	s_andn2_saveexec_b64 s[6:7], s[6:7]
; %bb.432:
	v_lshl_add_u64 v[12:13], v[2:3], 0, v[30:31]
; %bb.433:
	s_or_b64 exec, exec, s[6:7]
	v_lshl_add_u64 v[12:13], v[12:13], 1, s[2:3]
	s_waitcnt lgkmcnt(10)
	global_store_short v[12:13], v80, off
	s_or_b64 exec, exec, s[4:5]
	v_cmp_gt_u32_e32 vcc, s33, v28
	s_and_saveexec_b64 s[4:5], vcc
	s_cbranch_execnz .LBB3627_349
.LBB3627_434:
	s_or_b64 exec, exec, s[4:5]
	v_cmp_gt_u32_e32 vcc, s33, v26
	s_and_saveexec_b64 s[4:5], vcc
	s_cbranch_execz .LBB3627_354
.LBB3627_435:
	v_cmp_ge_u32_e32 vcc, v26, v10
                                        ; implicit-def: $vgpr12_vgpr13
	s_and_saveexec_b64 s[6:7], vcc
	s_xor_b64 s[6:7], exec, s[6:7]
; %bb.436:
	v_xor_b32_e32 v12, 0xffffd5ff, v0
	v_ashrrev_i32_e32 v13, 31, v12
	v_lshl_add_u64 v[12:13], v[6:7], 0, v[12:13]
                                        ; implicit-def: $vgpr26_vgpr27
; %bb.437:
	s_andn2_saveexec_b64 s[6:7], s[6:7]
; %bb.438:
	v_lshl_add_u64 v[12:13], v[2:3], 0, v[26:27]
; %bb.439:
	s_or_b64 exec, exec, s[6:7]
	v_lshl_add_u64 v[12:13], v[12:13], 1, s[2:3]
	s_waitcnt lgkmcnt(8)
	global_store_short v[12:13], v78, off
	s_or_b64 exec, exec, s[4:5]
	v_cmp_gt_u32_e32 vcc, s33, v24
	s_and_saveexec_b64 s[4:5], vcc
	s_cbranch_execnz .LBB3627_355
.LBB3627_440:
	s_or_b64 exec, exec, s[4:5]
	v_cmp_gt_u32_e32 vcc, s33, v22
	s_and_saveexec_b64 s[4:5], vcc
	s_cbranch_execz .LBB3627_360
.LBB3627_441:
	v_cmp_ge_u32_e32 vcc, v22, v10
                                        ; implicit-def: $vgpr12_vgpr13
	s_and_saveexec_b64 s[6:7], vcc
	s_xor_b64 s[6:7], exec, s[6:7]
; %bb.442:
	v_xor_b32_e32 v12, 0xffffd1ff, v0
	v_ashrrev_i32_e32 v13, 31, v12
	v_lshl_add_u64 v[12:13], v[6:7], 0, v[12:13]
                                        ; implicit-def: $vgpr22_vgpr23
; %bb.443:
	s_andn2_saveexec_b64 s[6:7], s[6:7]
; %bb.444:
	v_lshl_add_u64 v[12:13], v[2:3], 0, v[22:23]
; %bb.445:
	s_or_b64 exec, exec, s[6:7]
	v_lshl_add_u64 v[12:13], v[12:13], 1, s[2:3]
	s_waitcnt lgkmcnt(6)
	global_store_short v[12:13], v76, off
	s_or_b64 exec, exec, s[4:5]
	v_cmp_gt_u32_e32 vcc, s33, v20
	s_and_saveexec_b64 s[4:5], vcc
	s_cbranch_execnz .LBB3627_361
.LBB3627_446:
	s_or_b64 exec, exec, s[4:5]
	v_cmp_gt_u32_e32 vcc, s33, v18
	s_and_saveexec_b64 s[4:5], vcc
	s_cbranch_execz .LBB3627_366
.LBB3627_447:
	v_cmp_ge_u32_e32 vcc, v18, v10
                                        ; implicit-def: $vgpr12_vgpr13
	s_and_saveexec_b64 s[6:7], vcc
	s_xor_b64 s[6:7], exec, s[6:7]
; %bb.448:
	v_xor_b32_e32 v12, 0xffffcdff, v0
	v_ashrrev_i32_e32 v13, 31, v12
	v_lshl_add_u64 v[12:13], v[6:7], 0, v[12:13]
                                        ; implicit-def: $vgpr18_vgpr19
; %bb.449:
	s_andn2_saveexec_b64 s[6:7], s[6:7]
; %bb.450:
	v_lshl_add_u64 v[12:13], v[2:3], 0, v[18:19]
; %bb.451:
	s_or_b64 exec, exec, s[6:7]
	v_lshl_add_u64 v[12:13], v[12:13], 1, s[2:3]
	s_waitcnt lgkmcnt(4)
	global_store_short v[12:13], v74, off
	s_or_b64 exec, exec, s[4:5]
	v_cmp_gt_u32_e32 vcc, s33, v16
	s_and_saveexec_b64 s[4:5], vcc
	s_cbranch_execnz .LBB3627_367
.LBB3627_452:
	s_or_b64 exec, exec, s[4:5]
	v_cmp_gt_u32_e32 vcc, s33, v14
	s_and_saveexec_b64 s[4:5], vcc
	s_cbranch_execz .LBB3627_372
.LBB3627_453:
	v_cmp_ge_u32_e32 vcc, v14, v10
                                        ; implicit-def: $vgpr12_vgpr13
	s_and_saveexec_b64 s[6:7], vcc
	s_xor_b64 s[6:7], exec, s[6:7]
; %bb.454:
	v_xor_b32_e32 v12, 0xffffc9ff, v0
	v_ashrrev_i32_e32 v13, 31, v12
	v_lshl_add_u64 v[12:13], v[6:7], 0, v[12:13]
                                        ; implicit-def: $vgpr14_vgpr15
; %bb.455:
	s_andn2_saveexec_b64 s[6:7], s[6:7]
; %bb.456:
	v_lshl_add_u64 v[12:13], v[2:3], 0, v[14:15]
; %bb.457:
	s_or_b64 exec, exec, s[6:7]
	v_lshl_add_u64 v[12:13], v[12:13], 1, s[2:3]
	s_waitcnt lgkmcnt(2)
	global_store_short v[12:13], v72, off
	s_or_b64 exec, exec, s[4:5]
	v_cmp_gt_u32_e32 vcc, s33, v8
	s_and_saveexec_b64 s[4:5], vcc
	s_cbranch_execz .LBB3627_373
.LBB3627_458:
	v_cmp_ge_u32_e32 vcc, v8, v10
                                        ; implicit-def: $vgpr12_vgpr13
	s_and_saveexec_b64 s[6:7], vcc
	s_xor_b64 s[6:7], exec, s[6:7]
; %bb.459:
	v_xor_b32_e32 v8, 0xffffc7ff, v0
	v_ashrrev_i32_e32 v9, 31, v8
	v_lshl_add_u64 v[12:13], v[6:7], 0, v[8:9]
                                        ; implicit-def: $vgpr8_vgpr9
; %bb.460:
	s_andn2_saveexec_b64 s[6:7], s[6:7]
; %bb.461:
	v_lshl_add_u64 v[12:13], v[2:3], 0, v[8:9]
; %bb.462:
	s_or_b64 exec, exec, s[6:7]
	v_lshl_add_u64 v[8:9], v[12:13], 1, s[2:3]
	s_waitcnt lgkmcnt(1)
	global_store_short v[8:9], v71, off
	s_or_b64 exec, exec, s[4:5]
	v_cmp_gt_u32_e32 vcc, s33, v4
                                        ; implicit-def: $vgpr12_vgpr13
	s_and_saveexec_b64 s[4:5], vcc
	s_cbranch_execz .LBB3627_468
.LBB3627_463:
	v_cmp_ge_u32_e32 vcc, v4, v10
                                        ; implicit-def: $vgpr12_vgpr13
	s_and_saveexec_b64 s[6:7], vcc
	s_xor_b64 s[6:7], exec, s[6:7]
; %bb.464:
	v_xor_b32_e32 v4, 0xffffc5ff, v0
	v_ashrrev_i32_e32 v5, 31, v4
	v_lshl_add_u64 v[12:13], v[6:7], 0, v[4:5]
                                        ; implicit-def: $vgpr4_vgpr5
; %bb.465:
	s_andn2_saveexec_b64 s[6:7], s[6:7]
; %bb.466:
	v_lshl_add_u64 v[12:13], v[2:3], 0, v[4:5]
; %bb.467:
	s_or_b64 exec, exec, s[6:7]
	s_or_b64 s[0:1], s[0:1], exec
.LBB3627_468:
	s_or_b64 exec, exec, s[4:5]
.LBB3627_469:
	s_and_saveexec_b64 s[4:5], s[0:1]
	s_cbranch_execz .LBB3627_471
; %bb.470:
	v_lshl_add_u64 v[4:5], v[12:13], 1, s[2:3]
	s_waitcnt lgkmcnt(0)
	global_store_short v[4:5], v70, off
.LBB3627_471:
	s_or_b64 exec, exec, s[4:5]
	v_cmp_eq_u32_e32 vcc, 0, v0
	s_and_b64 s[0:1], vcc, s[22:23]
	s_and_saveexec_b64 s[2:3], s[0:1]
	s_cbranch_execz .LBB3627_473
; %bb.472:
	v_mov_b32_e32 v4, 0
	v_lshl_add_u64 v[0:1], v[2:3], 0, v[10:11]
	global_store_dwordx2 v4, v[0:1], s[20:21]
.LBB3627_473:
	s_endpgm
	.section	.rodata,"a",@progbits
	.p2align	6, 0x0
	.amdhsa_kernel _ZN7rocprim17ROCPRIM_400000_NS6detail17trampoline_kernelINS0_14default_configENS1_25partition_config_selectorILNS1_17partition_subalgoE2EsNS0_10empty_typeEbEEZZNS1_14partition_implILS5_2ELb0ES3_jN6thrust23THRUST_200600_302600_NS6detail15normal_iteratorINSA_7pointerIsNSA_11hip_rocprim3tagENSA_11use_defaultESG_EEEEPS6_NSA_18transform_iteratorI10is_orderedNSA_12zip_iteratorINSA_5tupleINSC_INSA_10device_ptrIsEEEESQ_NSA_9null_typeESR_SR_SR_SR_SR_SR_SR_EEEESG_SG_EENS0_5tupleIJPsSJ_EEENSV_IJSJ_SJ_EEES6_PlJS6_EEE10hipError_tPvRmT3_T4_T5_T6_T7_T9_mT8_P12ihipStream_tbDpT10_ENKUlT_T0_E_clISt17integral_constantIbLb0EES1J_EEDaS1E_S1F_EUlS1E_E_NS1_11comp_targetILNS1_3genE5ELNS1_11target_archE942ELNS1_3gpuE9ELNS1_3repE0EEENS1_30default_config_static_selectorELNS0_4arch9wavefront6targetE1EEEvT1_
		.amdhsa_group_segment_fixed_size 30728
		.amdhsa_private_segment_fixed_size 0
		.amdhsa_kernarg_size 136
		.amdhsa_user_sgpr_count 2
		.amdhsa_user_sgpr_dispatch_ptr 0
		.amdhsa_user_sgpr_queue_ptr 0
		.amdhsa_user_sgpr_kernarg_segment_ptr 1
		.amdhsa_user_sgpr_dispatch_id 0
		.amdhsa_user_sgpr_kernarg_preload_length 0
		.amdhsa_user_sgpr_kernarg_preload_offset 0
		.amdhsa_user_sgpr_private_segment_size 0
		.amdhsa_uses_dynamic_stack 0
		.amdhsa_enable_private_segment 0
		.amdhsa_system_sgpr_workgroup_id_x 1
		.amdhsa_system_sgpr_workgroup_id_y 0
		.amdhsa_system_sgpr_workgroup_id_z 0
		.amdhsa_system_sgpr_workgroup_info 0
		.amdhsa_system_vgpr_workitem_id 0
		.amdhsa_next_free_vgpr 100
		.amdhsa_next_free_sgpr 46
		.amdhsa_accum_offset 100
		.amdhsa_reserve_vcc 1
		.amdhsa_float_round_mode_32 0
		.amdhsa_float_round_mode_16_64 0
		.amdhsa_float_denorm_mode_32 3
		.amdhsa_float_denorm_mode_16_64 3
		.amdhsa_dx10_clamp 1
		.amdhsa_ieee_mode 1
		.amdhsa_fp16_overflow 0
		.amdhsa_tg_split 0
		.amdhsa_exception_fp_ieee_invalid_op 0
		.amdhsa_exception_fp_denorm_src 0
		.amdhsa_exception_fp_ieee_div_zero 0
		.amdhsa_exception_fp_ieee_overflow 0
		.amdhsa_exception_fp_ieee_underflow 0
		.amdhsa_exception_fp_ieee_inexact 0
		.amdhsa_exception_int_div_zero 0
	.end_amdhsa_kernel
	.section	.text._ZN7rocprim17ROCPRIM_400000_NS6detail17trampoline_kernelINS0_14default_configENS1_25partition_config_selectorILNS1_17partition_subalgoE2EsNS0_10empty_typeEbEEZZNS1_14partition_implILS5_2ELb0ES3_jN6thrust23THRUST_200600_302600_NS6detail15normal_iteratorINSA_7pointerIsNSA_11hip_rocprim3tagENSA_11use_defaultESG_EEEEPS6_NSA_18transform_iteratorI10is_orderedNSA_12zip_iteratorINSA_5tupleINSC_INSA_10device_ptrIsEEEESQ_NSA_9null_typeESR_SR_SR_SR_SR_SR_SR_EEEESG_SG_EENS0_5tupleIJPsSJ_EEENSV_IJSJ_SJ_EEES6_PlJS6_EEE10hipError_tPvRmT3_T4_T5_T6_T7_T9_mT8_P12ihipStream_tbDpT10_ENKUlT_T0_E_clISt17integral_constantIbLb0EES1J_EEDaS1E_S1F_EUlS1E_E_NS1_11comp_targetILNS1_3genE5ELNS1_11target_archE942ELNS1_3gpuE9ELNS1_3repE0EEENS1_30default_config_static_selectorELNS0_4arch9wavefront6targetE1EEEvT1_,"axG",@progbits,_ZN7rocprim17ROCPRIM_400000_NS6detail17trampoline_kernelINS0_14default_configENS1_25partition_config_selectorILNS1_17partition_subalgoE2EsNS0_10empty_typeEbEEZZNS1_14partition_implILS5_2ELb0ES3_jN6thrust23THRUST_200600_302600_NS6detail15normal_iteratorINSA_7pointerIsNSA_11hip_rocprim3tagENSA_11use_defaultESG_EEEEPS6_NSA_18transform_iteratorI10is_orderedNSA_12zip_iteratorINSA_5tupleINSC_INSA_10device_ptrIsEEEESQ_NSA_9null_typeESR_SR_SR_SR_SR_SR_SR_EEEESG_SG_EENS0_5tupleIJPsSJ_EEENSV_IJSJ_SJ_EEES6_PlJS6_EEE10hipError_tPvRmT3_T4_T5_T6_T7_T9_mT8_P12ihipStream_tbDpT10_ENKUlT_T0_E_clISt17integral_constantIbLb0EES1J_EEDaS1E_S1F_EUlS1E_E_NS1_11comp_targetILNS1_3genE5ELNS1_11target_archE942ELNS1_3gpuE9ELNS1_3repE0EEENS1_30default_config_static_selectorELNS0_4arch9wavefront6targetE1EEEvT1_,comdat
.Lfunc_end3627:
	.size	_ZN7rocprim17ROCPRIM_400000_NS6detail17trampoline_kernelINS0_14default_configENS1_25partition_config_selectorILNS1_17partition_subalgoE2EsNS0_10empty_typeEbEEZZNS1_14partition_implILS5_2ELb0ES3_jN6thrust23THRUST_200600_302600_NS6detail15normal_iteratorINSA_7pointerIsNSA_11hip_rocprim3tagENSA_11use_defaultESG_EEEEPS6_NSA_18transform_iteratorI10is_orderedNSA_12zip_iteratorINSA_5tupleINSC_INSA_10device_ptrIsEEEESQ_NSA_9null_typeESR_SR_SR_SR_SR_SR_SR_EEEESG_SG_EENS0_5tupleIJPsSJ_EEENSV_IJSJ_SJ_EEES6_PlJS6_EEE10hipError_tPvRmT3_T4_T5_T6_T7_T9_mT8_P12ihipStream_tbDpT10_ENKUlT_T0_E_clISt17integral_constantIbLb0EES1J_EEDaS1E_S1F_EUlS1E_E_NS1_11comp_targetILNS1_3genE5ELNS1_11target_archE942ELNS1_3gpuE9ELNS1_3repE0EEENS1_30default_config_static_selectorELNS0_4arch9wavefront6targetE1EEEvT1_, .Lfunc_end3627-_ZN7rocprim17ROCPRIM_400000_NS6detail17trampoline_kernelINS0_14default_configENS1_25partition_config_selectorILNS1_17partition_subalgoE2EsNS0_10empty_typeEbEEZZNS1_14partition_implILS5_2ELb0ES3_jN6thrust23THRUST_200600_302600_NS6detail15normal_iteratorINSA_7pointerIsNSA_11hip_rocprim3tagENSA_11use_defaultESG_EEEEPS6_NSA_18transform_iteratorI10is_orderedNSA_12zip_iteratorINSA_5tupleINSC_INSA_10device_ptrIsEEEESQ_NSA_9null_typeESR_SR_SR_SR_SR_SR_SR_EEEESG_SG_EENS0_5tupleIJPsSJ_EEENSV_IJSJ_SJ_EEES6_PlJS6_EEE10hipError_tPvRmT3_T4_T5_T6_T7_T9_mT8_P12ihipStream_tbDpT10_ENKUlT_T0_E_clISt17integral_constantIbLb0EES1J_EEDaS1E_S1F_EUlS1E_E_NS1_11comp_targetILNS1_3genE5ELNS1_11target_archE942ELNS1_3gpuE9ELNS1_3repE0EEENS1_30default_config_static_selectorELNS0_4arch9wavefront6targetE1EEEvT1_
                                        ; -- End function
	.section	.AMDGPU.csdata,"",@progbits
; Kernel info:
; codeLenInByte = 15660
; NumSgprs: 52
; NumVgprs: 100
; NumAgprs: 0
; TotalNumVgprs: 100
; ScratchSize: 0
; MemoryBound: 0
; FloatMode: 240
; IeeeMode: 1
; LDSByteSize: 30728 bytes/workgroup (compile time only)
; SGPRBlocks: 6
; VGPRBlocks: 12
; NumSGPRsForWavesPerEU: 52
; NumVGPRsForWavesPerEU: 100
; AccumOffset: 100
; Occupancy: 4
; WaveLimiterHint : 1
; COMPUTE_PGM_RSRC2:SCRATCH_EN: 0
; COMPUTE_PGM_RSRC2:USER_SGPR: 2
; COMPUTE_PGM_RSRC2:TRAP_HANDLER: 0
; COMPUTE_PGM_RSRC2:TGID_X_EN: 1
; COMPUTE_PGM_RSRC2:TGID_Y_EN: 0
; COMPUTE_PGM_RSRC2:TGID_Z_EN: 0
; COMPUTE_PGM_RSRC2:TIDIG_COMP_CNT: 0
; COMPUTE_PGM_RSRC3_GFX90A:ACCUM_OFFSET: 24
; COMPUTE_PGM_RSRC3_GFX90A:TG_SPLIT: 0
	.section	.text._ZN7rocprim17ROCPRIM_400000_NS6detail17trampoline_kernelINS0_14default_configENS1_25partition_config_selectorILNS1_17partition_subalgoE2EsNS0_10empty_typeEbEEZZNS1_14partition_implILS5_2ELb0ES3_jN6thrust23THRUST_200600_302600_NS6detail15normal_iteratorINSA_7pointerIsNSA_11hip_rocprim3tagENSA_11use_defaultESG_EEEEPS6_NSA_18transform_iteratorI10is_orderedNSA_12zip_iteratorINSA_5tupleINSC_INSA_10device_ptrIsEEEESQ_NSA_9null_typeESR_SR_SR_SR_SR_SR_SR_EEEESG_SG_EENS0_5tupleIJPsSJ_EEENSV_IJSJ_SJ_EEES6_PlJS6_EEE10hipError_tPvRmT3_T4_T5_T6_T7_T9_mT8_P12ihipStream_tbDpT10_ENKUlT_T0_E_clISt17integral_constantIbLb0EES1J_EEDaS1E_S1F_EUlS1E_E_NS1_11comp_targetILNS1_3genE4ELNS1_11target_archE910ELNS1_3gpuE8ELNS1_3repE0EEENS1_30default_config_static_selectorELNS0_4arch9wavefront6targetE1EEEvT1_,"axG",@progbits,_ZN7rocprim17ROCPRIM_400000_NS6detail17trampoline_kernelINS0_14default_configENS1_25partition_config_selectorILNS1_17partition_subalgoE2EsNS0_10empty_typeEbEEZZNS1_14partition_implILS5_2ELb0ES3_jN6thrust23THRUST_200600_302600_NS6detail15normal_iteratorINSA_7pointerIsNSA_11hip_rocprim3tagENSA_11use_defaultESG_EEEEPS6_NSA_18transform_iteratorI10is_orderedNSA_12zip_iteratorINSA_5tupleINSC_INSA_10device_ptrIsEEEESQ_NSA_9null_typeESR_SR_SR_SR_SR_SR_SR_EEEESG_SG_EENS0_5tupleIJPsSJ_EEENSV_IJSJ_SJ_EEES6_PlJS6_EEE10hipError_tPvRmT3_T4_T5_T6_T7_T9_mT8_P12ihipStream_tbDpT10_ENKUlT_T0_E_clISt17integral_constantIbLb0EES1J_EEDaS1E_S1F_EUlS1E_E_NS1_11comp_targetILNS1_3genE4ELNS1_11target_archE910ELNS1_3gpuE8ELNS1_3repE0EEENS1_30default_config_static_selectorELNS0_4arch9wavefront6targetE1EEEvT1_,comdat
	.protected	_ZN7rocprim17ROCPRIM_400000_NS6detail17trampoline_kernelINS0_14default_configENS1_25partition_config_selectorILNS1_17partition_subalgoE2EsNS0_10empty_typeEbEEZZNS1_14partition_implILS5_2ELb0ES3_jN6thrust23THRUST_200600_302600_NS6detail15normal_iteratorINSA_7pointerIsNSA_11hip_rocprim3tagENSA_11use_defaultESG_EEEEPS6_NSA_18transform_iteratorI10is_orderedNSA_12zip_iteratorINSA_5tupleINSC_INSA_10device_ptrIsEEEESQ_NSA_9null_typeESR_SR_SR_SR_SR_SR_SR_EEEESG_SG_EENS0_5tupleIJPsSJ_EEENSV_IJSJ_SJ_EEES6_PlJS6_EEE10hipError_tPvRmT3_T4_T5_T6_T7_T9_mT8_P12ihipStream_tbDpT10_ENKUlT_T0_E_clISt17integral_constantIbLb0EES1J_EEDaS1E_S1F_EUlS1E_E_NS1_11comp_targetILNS1_3genE4ELNS1_11target_archE910ELNS1_3gpuE8ELNS1_3repE0EEENS1_30default_config_static_selectorELNS0_4arch9wavefront6targetE1EEEvT1_ ; -- Begin function _ZN7rocprim17ROCPRIM_400000_NS6detail17trampoline_kernelINS0_14default_configENS1_25partition_config_selectorILNS1_17partition_subalgoE2EsNS0_10empty_typeEbEEZZNS1_14partition_implILS5_2ELb0ES3_jN6thrust23THRUST_200600_302600_NS6detail15normal_iteratorINSA_7pointerIsNSA_11hip_rocprim3tagENSA_11use_defaultESG_EEEEPS6_NSA_18transform_iteratorI10is_orderedNSA_12zip_iteratorINSA_5tupleINSC_INSA_10device_ptrIsEEEESQ_NSA_9null_typeESR_SR_SR_SR_SR_SR_SR_EEEESG_SG_EENS0_5tupleIJPsSJ_EEENSV_IJSJ_SJ_EEES6_PlJS6_EEE10hipError_tPvRmT3_T4_T5_T6_T7_T9_mT8_P12ihipStream_tbDpT10_ENKUlT_T0_E_clISt17integral_constantIbLb0EES1J_EEDaS1E_S1F_EUlS1E_E_NS1_11comp_targetILNS1_3genE4ELNS1_11target_archE910ELNS1_3gpuE8ELNS1_3repE0EEENS1_30default_config_static_selectorELNS0_4arch9wavefront6targetE1EEEvT1_
	.globl	_ZN7rocprim17ROCPRIM_400000_NS6detail17trampoline_kernelINS0_14default_configENS1_25partition_config_selectorILNS1_17partition_subalgoE2EsNS0_10empty_typeEbEEZZNS1_14partition_implILS5_2ELb0ES3_jN6thrust23THRUST_200600_302600_NS6detail15normal_iteratorINSA_7pointerIsNSA_11hip_rocprim3tagENSA_11use_defaultESG_EEEEPS6_NSA_18transform_iteratorI10is_orderedNSA_12zip_iteratorINSA_5tupleINSC_INSA_10device_ptrIsEEEESQ_NSA_9null_typeESR_SR_SR_SR_SR_SR_SR_EEEESG_SG_EENS0_5tupleIJPsSJ_EEENSV_IJSJ_SJ_EEES6_PlJS6_EEE10hipError_tPvRmT3_T4_T5_T6_T7_T9_mT8_P12ihipStream_tbDpT10_ENKUlT_T0_E_clISt17integral_constantIbLb0EES1J_EEDaS1E_S1F_EUlS1E_E_NS1_11comp_targetILNS1_3genE4ELNS1_11target_archE910ELNS1_3gpuE8ELNS1_3repE0EEENS1_30default_config_static_selectorELNS0_4arch9wavefront6targetE1EEEvT1_
	.p2align	8
	.type	_ZN7rocprim17ROCPRIM_400000_NS6detail17trampoline_kernelINS0_14default_configENS1_25partition_config_selectorILNS1_17partition_subalgoE2EsNS0_10empty_typeEbEEZZNS1_14partition_implILS5_2ELb0ES3_jN6thrust23THRUST_200600_302600_NS6detail15normal_iteratorINSA_7pointerIsNSA_11hip_rocprim3tagENSA_11use_defaultESG_EEEEPS6_NSA_18transform_iteratorI10is_orderedNSA_12zip_iteratorINSA_5tupleINSC_INSA_10device_ptrIsEEEESQ_NSA_9null_typeESR_SR_SR_SR_SR_SR_SR_EEEESG_SG_EENS0_5tupleIJPsSJ_EEENSV_IJSJ_SJ_EEES6_PlJS6_EEE10hipError_tPvRmT3_T4_T5_T6_T7_T9_mT8_P12ihipStream_tbDpT10_ENKUlT_T0_E_clISt17integral_constantIbLb0EES1J_EEDaS1E_S1F_EUlS1E_E_NS1_11comp_targetILNS1_3genE4ELNS1_11target_archE910ELNS1_3gpuE8ELNS1_3repE0EEENS1_30default_config_static_selectorELNS0_4arch9wavefront6targetE1EEEvT1_,@function
_ZN7rocprim17ROCPRIM_400000_NS6detail17trampoline_kernelINS0_14default_configENS1_25partition_config_selectorILNS1_17partition_subalgoE2EsNS0_10empty_typeEbEEZZNS1_14partition_implILS5_2ELb0ES3_jN6thrust23THRUST_200600_302600_NS6detail15normal_iteratorINSA_7pointerIsNSA_11hip_rocprim3tagENSA_11use_defaultESG_EEEEPS6_NSA_18transform_iteratorI10is_orderedNSA_12zip_iteratorINSA_5tupleINSC_INSA_10device_ptrIsEEEESQ_NSA_9null_typeESR_SR_SR_SR_SR_SR_SR_EEEESG_SG_EENS0_5tupleIJPsSJ_EEENSV_IJSJ_SJ_EEES6_PlJS6_EEE10hipError_tPvRmT3_T4_T5_T6_T7_T9_mT8_P12ihipStream_tbDpT10_ENKUlT_T0_E_clISt17integral_constantIbLb0EES1J_EEDaS1E_S1F_EUlS1E_E_NS1_11comp_targetILNS1_3genE4ELNS1_11target_archE910ELNS1_3gpuE8ELNS1_3repE0EEENS1_30default_config_static_selectorELNS0_4arch9wavefront6targetE1EEEvT1_: ; @_ZN7rocprim17ROCPRIM_400000_NS6detail17trampoline_kernelINS0_14default_configENS1_25partition_config_selectorILNS1_17partition_subalgoE2EsNS0_10empty_typeEbEEZZNS1_14partition_implILS5_2ELb0ES3_jN6thrust23THRUST_200600_302600_NS6detail15normal_iteratorINSA_7pointerIsNSA_11hip_rocprim3tagENSA_11use_defaultESG_EEEEPS6_NSA_18transform_iteratorI10is_orderedNSA_12zip_iteratorINSA_5tupleINSC_INSA_10device_ptrIsEEEESQ_NSA_9null_typeESR_SR_SR_SR_SR_SR_SR_EEEESG_SG_EENS0_5tupleIJPsSJ_EEENSV_IJSJ_SJ_EEES6_PlJS6_EEE10hipError_tPvRmT3_T4_T5_T6_T7_T9_mT8_P12ihipStream_tbDpT10_ENKUlT_T0_E_clISt17integral_constantIbLb0EES1J_EEDaS1E_S1F_EUlS1E_E_NS1_11comp_targetILNS1_3genE4ELNS1_11target_archE910ELNS1_3gpuE8ELNS1_3repE0EEENS1_30default_config_static_selectorELNS0_4arch9wavefront6targetE1EEEvT1_
; %bb.0:
	.section	.rodata,"a",@progbits
	.p2align	6, 0x0
	.amdhsa_kernel _ZN7rocprim17ROCPRIM_400000_NS6detail17trampoline_kernelINS0_14default_configENS1_25partition_config_selectorILNS1_17partition_subalgoE2EsNS0_10empty_typeEbEEZZNS1_14partition_implILS5_2ELb0ES3_jN6thrust23THRUST_200600_302600_NS6detail15normal_iteratorINSA_7pointerIsNSA_11hip_rocprim3tagENSA_11use_defaultESG_EEEEPS6_NSA_18transform_iteratorI10is_orderedNSA_12zip_iteratorINSA_5tupleINSC_INSA_10device_ptrIsEEEESQ_NSA_9null_typeESR_SR_SR_SR_SR_SR_SR_EEEESG_SG_EENS0_5tupleIJPsSJ_EEENSV_IJSJ_SJ_EEES6_PlJS6_EEE10hipError_tPvRmT3_T4_T5_T6_T7_T9_mT8_P12ihipStream_tbDpT10_ENKUlT_T0_E_clISt17integral_constantIbLb0EES1J_EEDaS1E_S1F_EUlS1E_E_NS1_11comp_targetILNS1_3genE4ELNS1_11target_archE910ELNS1_3gpuE8ELNS1_3repE0EEENS1_30default_config_static_selectorELNS0_4arch9wavefront6targetE1EEEvT1_
		.amdhsa_group_segment_fixed_size 0
		.amdhsa_private_segment_fixed_size 0
		.amdhsa_kernarg_size 136
		.amdhsa_user_sgpr_count 2
		.amdhsa_user_sgpr_dispatch_ptr 0
		.amdhsa_user_sgpr_queue_ptr 0
		.amdhsa_user_sgpr_kernarg_segment_ptr 1
		.amdhsa_user_sgpr_dispatch_id 0
		.amdhsa_user_sgpr_kernarg_preload_length 0
		.amdhsa_user_sgpr_kernarg_preload_offset 0
		.amdhsa_user_sgpr_private_segment_size 0
		.amdhsa_uses_dynamic_stack 0
		.amdhsa_enable_private_segment 0
		.amdhsa_system_sgpr_workgroup_id_x 1
		.amdhsa_system_sgpr_workgroup_id_y 0
		.amdhsa_system_sgpr_workgroup_id_z 0
		.amdhsa_system_sgpr_workgroup_info 0
		.amdhsa_system_vgpr_workitem_id 0
		.amdhsa_next_free_vgpr 1
		.amdhsa_next_free_sgpr 0
		.amdhsa_accum_offset 4
		.amdhsa_reserve_vcc 0
		.amdhsa_float_round_mode_32 0
		.amdhsa_float_round_mode_16_64 0
		.amdhsa_float_denorm_mode_32 3
		.amdhsa_float_denorm_mode_16_64 3
		.amdhsa_dx10_clamp 1
		.amdhsa_ieee_mode 1
		.amdhsa_fp16_overflow 0
		.amdhsa_tg_split 0
		.amdhsa_exception_fp_ieee_invalid_op 0
		.amdhsa_exception_fp_denorm_src 0
		.amdhsa_exception_fp_ieee_div_zero 0
		.amdhsa_exception_fp_ieee_overflow 0
		.amdhsa_exception_fp_ieee_underflow 0
		.amdhsa_exception_fp_ieee_inexact 0
		.amdhsa_exception_int_div_zero 0
	.end_amdhsa_kernel
	.section	.text._ZN7rocprim17ROCPRIM_400000_NS6detail17trampoline_kernelINS0_14default_configENS1_25partition_config_selectorILNS1_17partition_subalgoE2EsNS0_10empty_typeEbEEZZNS1_14partition_implILS5_2ELb0ES3_jN6thrust23THRUST_200600_302600_NS6detail15normal_iteratorINSA_7pointerIsNSA_11hip_rocprim3tagENSA_11use_defaultESG_EEEEPS6_NSA_18transform_iteratorI10is_orderedNSA_12zip_iteratorINSA_5tupleINSC_INSA_10device_ptrIsEEEESQ_NSA_9null_typeESR_SR_SR_SR_SR_SR_SR_EEEESG_SG_EENS0_5tupleIJPsSJ_EEENSV_IJSJ_SJ_EEES6_PlJS6_EEE10hipError_tPvRmT3_T4_T5_T6_T7_T9_mT8_P12ihipStream_tbDpT10_ENKUlT_T0_E_clISt17integral_constantIbLb0EES1J_EEDaS1E_S1F_EUlS1E_E_NS1_11comp_targetILNS1_3genE4ELNS1_11target_archE910ELNS1_3gpuE8ELNS1_3repE0EEENS1_30default_config_static_selectorELNS0_4arch9wavefront6targetE1EEEvT1_,"axG",@progbits,_ZN7rocprim17ROCPRIM_400000_NS6detail17trampoline_kernelINS0_14default_configENS1_25partition_config_selectorILNS1_17partition_subalgoE2EsNS0_10empty_typeEbEEZZNS1_14partition_implILS5_2ELb0ES3_jN6thrust23THRUST_200600_302600_NS6detail15normal_iteratorINSA_7pointerIsNSA_11hip_rocprim3tagENSA_11use_defaultESG_EEEEPS6_NSA_18transform_iteratorI10is_orderedNSA_12zip_iteratorINSA_5tupleINSC_INSA_10device_ptrIsEEEESQ_NSA_9null_typeESR_SR_SR_SR_SR_SR_SR_EEEESG_SG_EENS0_5tupleIJPsSJ_EEENSV_IJSJ_SJ_EEES6_PlJS6_EEE10hipError_tPvRmT3_T4_T5_T6_T7_T9_mT8_P12ihipStream_tbDpT10_ENKUlT_T0_E_clISt17integral_constantIbLb0EES1J_EEDaS1E_S1F_EUlS1E_E_NS1_11comp_targetILNS1_3genE4ELNS1_11target_archE910ELNS1_3gpuE8ELNS1_3repE0EEENS1_30default_config_static_selectorELNS0_4arch9wavefront6targetE1EEEvT1_,comdat
.Lfunc_end3628:
	.size	_ZN7rocprim17ROCPRIM_400000_NS6detail17trampoline_kernelINS0_14default_configENS1_25partition_config_selectorILNS1_17partition_subalgoE2EsNS0_10empty_typeEbEEZZNS1_14partition_implILS5_2ELb0ES3_jN6thrust23THRUST_200600_302600_NS6detail15normal_iteratorINSA_7pointerIsNSA_11hip_rocprim3tagENSA_11use_defaultESG_EEEEPS6_NSA_18transform_iteratorI10is_orderedNSA_12zip_iteratorINSA_5tupleINSC_INSA_10device_ptrIsEEEESQ_NSA_9null_typeESR_SR_SR_SR_SR_SR_SR_EEEESG_SG_EENS0_5tupleIJPsSJ_EEENSV_IJSJ_SJ_EEES6_PlJS6_EEE10hipError_tPvRmT3_T4_T5_T6_T7_T9_mT8_P12ihipStream_tbDpT10_ENKUlT_T0_E_clISt17integral_constantIbLb0EES1J_EEDaS1E_S1F_EUlS1E_E_NS1_11comp_targetILNS1_3genE4ELNS1_11target_archE910ELNS1_3gpuE8ELNS1_3repE0EEENS1_30default_config_static_selectorELNS0_4arch9wavefront6targetE1EEEvT1_, .Lfunc_end3628-_ZN7rocprim17ROCPRIM_400000_NS6detail17trampoline_kernelINS0_14default_configENS1_25partition_config_selectorILNS1_17partition_subalgoE2EsNS0_10empty_typeEbEEZZNS1_14partition_implILS5_2ELb0ES3_jN6thrust23THRUST_200600_302600_NS6detail15normal_iteratorINSA_7pointerIsNSA_11hip_rocprim3tagENSA_11use_defaultESG_EEEEPS6_NSA_18transform_iteratorI10is_orderedNSA_12zip_iteratorINSA_5tupleINSC_INSA_10device_ptrIsEEEESQ_NSA_9null_typeESR_SR_SR_SR_SR_SR_SR_EEEESG_SG_EENS0_5tupleIJPsSJ_EEENSV_IJSJ_SJ_EEES6_PlJS6_EEE10hipError_tPvRmT3_T4_T5_T6_T7_T9_mT8_P12ihipStream_tbDpT10_ENKUlT_T0_E_clISt17integral_constantIbLb0EES1J_EEDaS1E_S1F_EUlS1E_E_NS1_11comp_targetILNS1_3genE4ELNS1_11target_archE910ELNS1_3gpuE8ELNS1_3repE0EEENS1_30default_config_static_selectorELNS0_4arch9wavefront6targetE1EEEvT1_
                                        ; -- End function
	.section	.AMDGPU.csdata,"",@progbits
; Kernel info:
; codeLenInByte = 0
; NumSgprs: 6
; NumVgprs: 0
; NumAgprs: 0
; TotalNumVgprs: 0
; ScratchSize: 0
; MemoryBound: 0
; FloatMode: 240
; IeeeMode: 1
; LDSByteSize: 0 bytes/workgroup (compile time only)
; SGPRBlocks: 0
; VGPRBlocks: 0
; NumSGPRsForWavesPerEU: 6
; NumVGPRsForWavesPerEU: 1
; AccumOffset: 4
; Occupancy: 8
; WaveLimiterHint : 0
; COMPUTE_PGM_RSRC2:SCRATCH_EN: 0
; COMPUTE_PGM_RSRC2:USER_SGPR: 2
; COMPUTE_PGM_RSRC2:TRAP_HANDLER: 0
; COMPUTE_PGM_RSRC2:TGID_X_EN: 1
; COMPUTE_PGM_RSRC2:TGID_Y_EN: 0
; COMPUTE_PGM_RSRC2:TGID_Z_EN: 0
; COMPUTE_PGM_RSRC2:TIDIG_COMP_CNT: 0
; COMPUTE_PGM_RSRC3_GFX90A:ACCUM_OFFSET: 0
; COMPUTE_PGM_RSRC3_GFX90A:TG_SPLIT: 0
	.section	.text._ZN7rocprim17ROCPRIM_400000_NS6detail17trampoline_kernelINS0_14default_configENS1_25partition_config_selectorILNS1_17partition_subalgoE2EsNS0_10empty_typeEbEEZZNS1_14partition_implILS5_2ELb0ES3_jN6thrust23THRUST_200600_302600_NS6detail15normal_iteratorINSA_7pointerIsNSA_11hip_rocprim3tagENSA_11use_defaultESG_EEEEPS6_NSA_18transform_iteratorI10is_orderedNSA_12zip_iteratorINSA_5tupleINSC_INSA_10device_ptrIsEEEESQ_NSA_9null_typeESR_SR_SR_SR_SR_SR_SR_EEEESG_SG_EENS0_5tupleIJPsSJ_EEENSV_IJSJ_SJ_EEES6_PlJS6_EEE10hipError_tPvRmT3_T4_T5_T6_T7_T9_mT8_P12ihipStream_tbDpT10_ENKUlT_T0_E_clISt17integral_constantIbLb0EES1J_EEDaS1E_S1F_EUlS1E_E_NS1_11comp_targetILNS1_3genE3ELNS1_11target_archE908ELNS1_3gpuE7ELNS1_3repE0EEENS1_30default_config_static_selectorELNS0_4arch9wavefront6targetE1EEEvT1_,"axG",@progbits,_ZN7rocprim17ROCPRIM_400000_NS6detail17trampoline_kernelINS0_14default_configENS1_25partition_config_selectorILNS1_17partition_subalgoE2EsNS0_10empty_typeEbEEZZNS1_14partition_implILS5_2ELb0ES3_jN6thrust23THRUST_200600_302600_NS6detail15normal_iteratorINSA_7pointerIsNSA_11hip_rocprim3tagENSA_11use_defaultESG_EEEEPS6_NSA_18transform_iteratorI10is_orderedNSA_12zip_iteratorINSA_5tupleINSC_INSA_10device_ptrIsEEEESQ_NSA_9null_typeESR_SR_SR_SR_SR_SR_SR_EEEESG_SG_EENS0_5tupleIJPsSJ_EEENSV_IJSJ_SJ_EEES6_PlJS6_EEE10hipError_tPvRmT3_T4_T5_T6_T7_T9_mT8_P12ihipStream_tbDpT10_ENKUlT_T0_E_clISt17integral_constantIbLb0EES1J_EEDaS1E_S1F_EUlS1E_E_NS1_11comp_targetILNS1_3genE3ELNS1_11target_archE908ELNS1_3gpuE7ELNS1_3repE0EEENS1_30default_config_static_selectorELNS0_4arch9wavefront6targetE1EEEvT1_,comdat
	.protected	_ZN7rocprim17ROCPRIM_400000_NS6detail17trampoline_kernelINS0_14default_configENS1_25partition_config_selectorILNS1_17partition_subalgoE2EsNS0_10empty_typeEbEEZZNS1_14partition_implILS5_2ELb0ES3_jN6thrust23THRUST_200600_302600_NS6detail15normal_iteratorINSA_7pointerIsNSA_11hip_rocprim3tagENSA_11use_defaultESG_EEEEPS6_NSA_18transform_iteratorI10is_orderedNSA_12zip_iteratorINSA_5tupleINSC_INSA_10device_ptrIsEEEESQ_NSA_9null_typeESR_SR_SR_SR_SR_SR_SR_EEEESG_SG_EENS0_5tupleIJPsSJ_EEENSV_IJSJ_SJ_EEES6_PlJS6_EEE10hipError_tPvRmT3_T4_T5_T6_T7_T9_mT8_P12ihipStream_tbDpT10_ENKUlT_T0_E_clISt17integral_constantIbLb0EES1J_EEDaS1E_S1F_EUlS1E_E_NS1_11comp_targetILNS1_3genE3ELNS1_11target_archE908ELNS1_3gpuE7ELNS1_3repE0EEENS1_30default_config_static_selectorELNS0_4arch9wavefront6targetE1EEEvT1_ ; -- Begin function _ZN7rocprim17ROCPRIM_400000_NS6detail17trampoline_kernelINS0_14default_configENS1_25partition_config_selectorILNS1_17partition_subalgoE2EsNS0_10empty_typeEbEEZZNS1_14partition_implILS5_2ELb0ES3_jN6thrust23THRUST_200600_302600_NS6detail15normal_iteratorINSA_7pointerIsNSA_11hip_rocprim3tagENSA_11use_defaultESG_EEEEPS6_NSA_18transform_iteratorI10is_orderedNSA_12zip_iteratorINSA_5tupleINSC_INSA_10device_ptrIsEEEESQ_NSA_9null_typeESR_SR_SR_SR_SR_SR_SR_EEEESG_SG_EENS0_5tupleIJPsSJ_EEENSV_IJSJ_SJ_EEES6_PlJS6_EEE10hipError_tPvRmT3_T4_T5_T6_T7_T9_mT8_P12ihipStream_tbDpT10_ENKUlT_T0_E_clISt17integral_constantIbLb0EES1J_EEDaS1E_S1F_EUlS1E_E_NS1_11comp_targetILNS1_3genE3ELNS1_11target_archE908ELNS1_3gpuE7ELNS1_3repE0EEENS1_30default_config_static_selectorELNS0_4arch9wavefront6targetE1EEEvT1_
	.globl	_ZN7rocprim17ROCPRIM_400000_NS6detail17trampoline_kernelINS0_14default_configENS1_25partition_config_selectorILNS1_17partition_subalgoE2EsNS0_10empty_typeEbEEZZNS1_14partition_implILS5_2ELb0ES3_jN6thrust23THRUST_200600_302600_NS6detail15normal_iteratorINSA_7pointerIsNSA_11hip_rocprim3tagENSA_11use_defaultESG_EEEEPS6_NSA_18transform_iteratorI10is_orderedNSA_12zip_iteratorINSA_5tupleINSC_INSA_10device_ptrIsEEEESQ_NSA_9null_typeESR_SR_SR_SR_SR_SR_SR_EEEESG_SG_EENS0_5tupleIJPsSJ_EEENSV_IJSJ_SJ_EEES6_PlJS6_EEE10hipError_tPvRmT3_T4_T5_T6_T7_T9_mT8_P12ihipStream_tbDpT10_ENKUlT_T0_E_clISt17integral_constantIbLb0EES1J_EEDaS1E_S1F_EUlS1E_E_NS1_11comp_targetILNS1_3genE3ELNS1_11target_archE908ELNS1_3gpuE7ELNS1_3repE0EEENS1_30default_config_static_selectorELNS0_4arch9wavefront6targetE1EEEvT1_
	.p2align	8
	.type	_ZN7rocprim17ROCPRIM_400000_NS6detail17trampoline_kernelINS0_14default_configENS1_25partition_config_selectorILNS1_17partition_subalgoE2EsNS0_10empty_typeEbEEZZNS1_14partition_implILS5_2ELb0ES3_jN6thrust23THRUST_200600_302600_NS6detail15normal_iteratorINSA_7pointerIsNSA_11hip_rocprim3tagENSA_11use_defaultESG_EEEEPS6_NSA_18transform_iteratorI10is_orderedNSA_12zip_iteratorINSA_5tupleINSC_INSA_10device_ptrIsEEEESQ_NSA_9null_typeESR_SR_SR_SR_SR_SR_SR_EEEESG_SG_EENS0_5tupleIJPsSJ_EEENSV_IJSJ_SJ_EEES6_PlJS6_EEE10hipError_tPvRmT3_T4_T5_T6_T7_T9_mT8_P12ihipStream_tbDpT10_ENKUlT_T0_E_clISt17integral_constantIbLb0EES1J_EEDaS1E_S1F_EUlS1E_E_NS1_11comp_targetILNS1_3genE3ELNS1_11target_archE908ELNS1_3gpuE7ELNS1_3repE0EEENS1_30default_config_static_selectorELNS0_4arch9wavefront6targetE1EEEvT1_,@function
_ZN7rocprim17ROCPRIM_400000_NS6detail17trampoline_kernelINS0_14default_configENS1_25partition_config_selectorILNS1_17partition_subalgoE2EsNS0_10empty_typeEbEEZZNS1_14partition_implILS5_2ELb0ES3_jN6thrust23THRUST_200600_302600_NS6detail15normal_iteratorINSA_7pointerIsNSA_11hip_rocprim3tagENSA_11use_defaultESG_EEEEPS6_NSA_18transform_iteratorI10is_orderedNSA_12zip_iteratorINSA_5tupleINSC_INSA_10device_ptrIsEEEESQ_NSA_9null_typeESR_SR_SR_SR_SR_SR_SR_EEEESG_SG_EENS0_5tupleIJPsSJ_EEENSV_IJSJ_SJ_EEES6_PlJS6_EEE10hipError_tPvRmT3_T4_T5_T6_T7_T9_mT8_P12ihipStream_tbDpT10_ENKUlT_T0_E_clISt17integral_constantIbLb0EES1J_EEDaS1E_S1F_EUlS1E_E_NS1_11comp_targetILNS1_3genE3ELNS1_11target_archE908ELNS1_3gpuE7ELNS1_3repE0EEENS1_30default_config_static_selectorELNS0_4arch9wavefront6targetE1EEEvT1_: ; @_ZN7rocprim17ROCPRIM_400000_NS6detail17trampoline_kernelINS0_14default_configENS1_25partition_config_selectorILNS1_17partition_subalgoE2EsNS0_10empty_typeEbEEZZNS1_14partition_implILS5_2ELb0ES3_jN6thrust23THRUST_200600_302600_NS6detail15normal_iteratorINSA_7pointerIsNSA_11hip_rocprim3tagENSA_11use_defaultESG_EEEEPS6_NSA_18transform_iteratorI10is_orderedNSA_12zip_iteratorINSA_5tupleINSC_INSA_10device_ptrIsEEEESQ_NSA_9null_typeESR_SR_SR_SR_SR_SR_SR_EEEESG_SG_EENS0_5tupleIJPsSJ_EEENSV_IJSJ_SJ_EEES6_PlJS6_EEE10hipError_tPvRmT3_T4_T5_T6_T7_T9_mT8_P12ihipStream_tbDpT10_ENKUlT_T0_E_clISt17integral_constantIbLb0EES1J_EEDaS1E_S1F_EUlS1E_E_NS1_11comp_targetILNS1_3genE3ELNS1_11target_archE908ELNS1_3gpuE7ELNS1_3repE0EEENS1_30default_config_static_selectorELNS0_4arch9wavefront6targetE1EEEvT1_
; %bb.0:
	.section	.rodata,"a",@progbits
	.p2align	6, 0x0
	.amdhsa_kernel _ZN7rocprim17ROCPRIM_400000_NS6detail17trampoline_kernelINS0_14default_configENS1_25partition_config_selectorILNS1_17partition_subalgoE2EsNS0_10empty_typeEbEEZZNS1_14partition_implILS5_2ELb0ES3_jN6thrust23THRUST_200600_302600_NS6detail15normal_iteratorINSA_7pointerIsNSA_11hip_rocprim3tagENSA_11use_defaultESG_EEEEPS6_NSA_18transform_iteratorI10is_orderedNSA_12zip_iteratorINSA_5tupleINSC_INSA_10device_ptrIsEEEESQ_NSA_9null_typeESR_SR_SR_SR_SR_SR_SR_EEEESG_SG_EENS0_5tupleIJPsSJ_EEENSV_IJSJ_SJ_EEES6_PlJS6_EEE10hipError_tPvRmT3_T4_T5_T6_T7_T9_mT8_P12ihipStream_tbDpT10_ENKUlT_T0_E_clISt17integral_constantIbLb0EES1J_EEDaS1E_S1F_EUlS1E_E_NS1_11comp_targetILNS1_3genE3ELNS1_11target_archE908ELNS1_3gpuE7ELNS1_3repE0EEENS1_30default_config_static_selectorELNS0_4arch9wavefront6targetE1EEEvT1_
		.amdhsa_group_segment_fixed_size 0
		.amdhsa_private_segment_fixed_size 0
		.amdhsa_kernarg_size 136
		.amdhsa_user_sgpr_count 2
		.amdhsa_user_sgpr_dispatch_ptr 0
		.amdhsa_user_sgpr_queue_ptr 0
		.amdhsa_user_sgpr_kernarg_segment_ptr 1
		.amdhsa_user_sgpr_dispatch_id 0
		.amdhsa_user_sgpr_kernarg_preload_length 0
		.amdhsa_user_sgpr_kernarg_preload_offset 0
		.amdhsa_user_sgpr_private_segment_size 0
		.amdhsa_uses_dynamic_stack 0
		.amdhsa_enable_private_segment 0
		.amdhsa_system_sgpr_workgroup_id_x 1
		.amdhsa_system_sgpr_workgroup_id_y 0
		.amdhsa_system_sgpr_workgroup_id_z 0
		.amdhsa_system_sgpr_workgroup_info 0
		.amdhsa_system_vgpr_workitem_id 0
		.amdhsa_next_free_vgpr 1
		.amdhsa_next_free_sgpr 0
		.amdhsa_accum_offset 4
		.amdhsa_reserve_vcc 0
		.amdhsa_float_round_mode_32 0
		.amdhsa_float_round_mode_16_64 0
		.amdhsa_float_denorm_mode_32 3
		.amdhsa_float_denorm_mode_16_64 3
		.amdhsa_dx10_clamp 1
		.amdhsa_ieee_mode 1
		.amdhsa_fp16_overflow 0
		.amdhsa_tg_split 0
		.amdhsa_exception_fp_ieee_invalid_op 0
		.amdhsa_exception_fp_denorm_src 0
		.amdhsa_exception_fp_ieee_div_zero 0
		.amdhsa_exception_fp_ieee_overflow 0
		.amdhsa_exception_fp_ieee_underflow 0
		.amdhsa_exception_fp_ieee_inexact 0
		.amdhsa_exception_int_div_zero 0
	.end_amdhsa_kernel
	.section	.text._ZN7rocprim17ROCPRIM_400000_NS6detail17trampoline_kernelINS0_14default_configENS1_25partition_config_selectorILNS1_17partition_subalgoE2EsNS0_10empty_typeEbEEZZNS1_14partition_implILS5_2ELb0ES3_jN6thrust23THRUST_200600_302600_NS6detail15normal_iteratorINSA_7pointerIsNSA_11hip_rocprim3tagENSA_11use_defaultESG_EEEEPS6_NSA_18transform_iteratorI10is_orderedNSA_12zip_iteratorINSA_5tupleINSC_INSA_10device_ptrIsEEEESQ_NSA_9null_typeESR_SR_SR_SR_SR_SR_SR_EEEESG_SG_EENS0_5tupleIJPsSJ_EEENSV_IJSJ_SJ_EEES6_PlJS6_EEE10hipError_tPvRmT3_T4_T5_T6_T7_T9_mT8_P12ihipStream_tbDpT10_ENKUlT_T0_E_clISt17integral_constantIbLb0EES1J_EEDaS1E_S1F_EUlS1E_E_NS1_11comp_targetILNS1_3genE3ELNS1_11target_archE908ELNS1_3gpuE7ELNS1_3repE0EEENS1_30default_config_static_selectorELNS0_4arch9wavefront6targetE1EEEvT1_,"axG",@progbits,_ZN7rocprim17ROCPRIM_400000_NS6detail17trampoline_kernelINS0_14default_configENS1_25partition_config_selectorILNS1_17partition_subalgoE2EsNS0_10empty_typeEbEEZZNS1_14partition_implILS5_2ELb0ES3_jN6thrust23THRUST_200600_302600_NS6detail15normal_iteratorINSA_7pointerIsNSA_11hip_rocprim3tagENSA_11use_defaultESG_EEEEPS6_NSA_18transform_iteratorI10is_orderedNSA_12zip_iteratorINSA_5tupleINSC_INSA_10device_ptrIsEEEESQ_NSA_9null_typeESR_SR_SR_SR_SR_SR_SR_EEEESG_SG_EENS0_5tupleIJPsSJ_EEENSV_IJSJ_SJ_EEES6_PlJS6_EEE10hipError_tPvRmT3_T4_T5_T6_T7_T9_mT8_P12ihipStream_tbDpT10_ENKUlT_T0_E_clISt17integral_constantIbLb0EES1J_EEDaS1E_S1F_EUlS1E_E_NS1_11comp_targetILNS1_3genE3ELNS1_11target_archE908ELNS1_3gpuE7ELNS1_3repE0EEENS1_30default_config_static_selectorELNS0_4arch9wavefront6targetE1EEEvT1_,comdat
.Lfunc_end3629:
	.size	_ZN7rocprim17ROCPRIM_400000_NS6detail17trampoline_kernelINS0_14default_configENS1_25partition_config_selectorILNS1_17partition_subalgoE2EsNS0_10empty_typeEbEEZZNS1_14partition_implILS5_2ELb0ES3_jN6thrust23THRUST_200600_302600_NS6detail15normal_iteratorINSA_7pointerIsNSA_11hip_rocprim3tagENSA_11use_defaultESG_EEEEPS6_NSA_18transform_iteratorI10is_orderedNSA_12zip_iteratorINSA_5tupleINSC_INSA_10device_ptrIsEEEESQ_NSA_9null_typeESR_SR_SR_SR_SR_SR_SR_EEEESG_SG_EENS0_5tupleIJPsSJ_EEENSV_IJSJ_SJ_EEES6_PlJS6_EEE10hipError_tPvRmT3_T4_T5_T6_T7_T9_mT8_P12ihipStream_tbDpT10_ENKUlT_T0_E_clISt17integral_constantIbLb0EES1J_EEDaS1E_S1F_EUlS1E_E_NS1_11comp_targetILNS1_3genE3ELNS1_11target_archE908ELNS1_3gpuE7ELNS1_3repE0EEENS1_30default_config_static_selectorELNS0_4arch9wavefront6targetE1EEEvT1_, .Lfunc_end3629-_ZN7rocprim17ROCPRIM_400000_NS6detail17trampoline_kernelINS0_14default_configENS1_25partition_config_selectorILNS1_17partition_subalgoE2EsNS0_10empty_typeEbEEZZNS1_14partition_implILS5_2ELb0ES3_jN6thrust23THRUST_200600_302600_NS6detail15normal_iteratorINSA_7pointerIsNSA_11hip_rocprim3tagENSA_11use_defaultESG_EEEEPS6_NSA_18transform_iteratorI10is_orderedNSA_12zip_iteratorINSA_5tupleINSC_INSA_10device_ptrIsEEEESQ_NSA_9null_typeESR_SR_SR_SR_SR_SR_SR_EEEESG_SG_EENS0_5tupleIJPsSJ_EEENSV_IJSJ_SJ_EEES6_PlJS6_EEE10hipError_tPvRmT3_T4_T5_T6_T7_T9_mT8_P12ihipStream_tbDpT10_ENKUlT_T0_E_clISt17integral_constantIbLb0EES1J_EEDaS1E_S1F_EUlS1E_E_NS1_11comp_targetILNS1_3genE3ELNS1_11target_archE908ELNS1_3gpuE7ELNS1_3repE0EEENS1_30default_config_static_selectorELNS0_4arch9wavefront6targetE1EEEvT1_
                                        ; -- End function
	.section	.AMDGPU.csdata,"",@progbits
; Kernel info:
; codeLenInByte = 0
; NumSgprs: 6
; NumVgprs: 0
; NumAgprs: 0
; TotalNumVgprs: 0
; ScratchSize: 0
; MemoryBound: 0
; FloatMode: 240
; IeeeMode: 1
; LDSByteSize: 0 bytes/workgroup (compile time only)
; SGPRBlocks: 0
; VGPRBlocks: 0
; NumSGPRsForWavesPerEU: 6
; NumVGPRsForWavesPerEU: 1
; AccumOffset: 4
; Occupancy: 8
; WaveLimiterHint : 0
; COMPUTE_PGM_RSRC2:SCRATCH_EN: 0
; COMPUTE_PGM_RSRC2:USER_SGPR: 2
; COMPUTE_PGM_RSRC2:TRAP_HANDLER: 0
; COMPUTE_PGM_RSRC2:TGID_X_EN: 1
; COMPUTE_PGM_RSRC2:TGID_Y_EN: 0
; COMPUTE_PGM_RSRC2:TGID_Z_EN: 0
; COMPUTE_PGM_RSRC2:TIDIG_COMP_CNT: 0
; COMPUTE_PGM_RSRC3_GFX90A:ACCUM_OFFSET: 0
; COMPUTE_PGM_RSRC3_GFX90A:TG_SPLIT: 0
	.section	.text._ZN7rocprim17ROCPRIM_400000_NS6detail17trampoline_kernelINS0_14default_configENS1_25partition_config_selectorILNS1_17partition_subalgoE2EsNS0_10empty_typeEbEEZZNS1_14partition_implILS5_2ELb0ES3_jN6thrust23THRUST_200600_302600_NS6detail15normal_iteratorINSA_7pointerIsNSA_11hip_rocprim3tagENSA_11use_defaultESG_EEEEPS6_NSA_18transform_iteratorI10is_orderedNSA_12zip_iteratorINSA_5tupleINSC_INSA_10device_ptrIsEEEESQ_NSA_9null_typeESR_SR_SR_SR_SR_SR_SR_EEEESG_SG_EENS0_5tupleIJPsSJ_EEENSV_IJSJ_SJ_EEES6_PlJS6_EEE10hipError_tPvRmT3_T4_T5_T6_T7_T9_mT8_P12ihipStream_tbDpT10_ENKUlT_T0_E_clISt17integral_constantIbLb0EES1J_EEDaS1E_S1F_EUlS1E_E_NS1_11comp_targetILNS1_3genE2ELNS1_11target_archE906ELNS1_3gpuE6ELNS1_3repE0EEENS1_30default_config_static_selectorELNS0_4arch9wavefront6targetE1EEEvT1_,"axG",@progbits,_ZN7rocprim17ROCPRIM_400000_NS6detail17trampoline_kernelINS0_14default_configENS1_25partition_config_selectorILNS1_17partition_subalgoE2EsNS0_10empty_typeEbEEZZNS1_14partition_implILS5_2ELb0ES3_jN6thrust23THRUST_200600_302600_NS6detail15normal_iteratorINSA_7pointerIsNSA_11hip_rocprim3tagENSA_11use_defaultESG_EEEEPS6_NSA_18transform_iteratorI10is_orderedNSA_12zip_iteratorINSA_5tupleINSC_INSA_10device_ptrIsEEEESQ_NSA_9null_typeESR_SR_SR_SR_SR_SR_SR_EEEESG_SG_EENS0_5tupleIJPsSJ_EEENSV_IJSJ_SJ_EEES6_PlJS6_EEE10hipError_tPvRmT3_T4_T5_T6_T7_T9_mT8_P12ihipStream_tbDpT10_ENKUlT_T0_E_clISt17integral_constantIbLb0EES1J_EEDaS1E_S1F_EUlS1E_E_NS1_11comp_targetILNS1_3genE2ELNS1_11target_archE906ELNS1_3gpuE6ELNS1_3repE0EEENS1_30default_config_static_selectorELNS0_4arch9wavefront6targetE1EEEvT1_,comdat
	.protected	_ZN7rocprim17ROCPRIM_400000_NS6detail17trampoline_kernelINS0_14default_configENS1_25partition_config_selectorILNS1_17partition_subalgoE2EsNS0_10empty_typeEbEEZZNS1_14partition_implILS5_2ELb0ES3_jN6thrust23THRUST_200600_302600_NS6detail15normal_iteratorINSA_7pointerIsNSA_11hip_rocprim3tagENSA_11use_defaultESG_EEEEPS6_NSA_18transform_iteratorI10is_orderedNSA_12zip_iteratorINSA_5tupleINSC_INSA_10device_ptrIsEEEESQ_NSA_9null_typeESR_SR_SR_SR_SR_SR_SR_EEEESG_SG_EENS0_5tupleIJPsSJ_EEENSV_IJSJ_SJ_EEES6_PlJS6_EEE10hipError_tPvRmT3_T4_T5_T6_T7_T9_mT8_P12ihipStream_tbDpT10_ENKUlT_T0_E_clISt17integral_constantIbLb0EES1J_EEDaS1E_S1F_EUlS1E_E_NS1_11comp_targetILNS1_3genE2ELNS1_11target_archE906ELNS1_3gpuE6ELNS1_3repE0EEENS1_30default_config_static_selectorELNS0_4arch9wavefront6targetE1EEEvT1_ ; -- Begin function _ZN7rocprim17ROCPRIM_400000_NS6detail17trampoline_kernelINS0_14default_configENS1_25partition_config_selectorILNS1_17partition_subalgoE2EsNS0_10empty_typeEbEEZZNS1_14partition_implILS5_2ELb0ES3_jN6thrust23THRUST_200600_302600_NS6detail15normal_iteratorINSA_7pointerIsNSA_11hip_rocprim3tagENSA_11use_defaultESG_EEEEPS6_NSA_18transform_iteratorI10is_orderedNSA_12zip_iteratorINSA_5tupleINSC_INSA_10device_ptrIsEEEESQ_NSA_9null_typeESR_SR_SR_SR_SR_SR_SR_EEEESG_SG_EENS0_5tupleIJPsSJ_EEENSV_IJSJ_SJ_EEES6_PlJS6_EEE10hipError_tPvRmT3_T4_T5_T6_T7_T9_mT8_P12ihipStream_tbDpT10_ENKUlT_T0_E_clISt17integral_constantIbLb0EES1J_EEDaS1E_S1F_EUlS1E_E_NS1_11comp_targetILNS1_3genE2ELNS1_11target_archE906ELNS1_3gpuE6ELNS1_3repE0EEENS1_30default_config_static_selectorELNS0_4arch9wavefront6targetE1EEEvT1_
	.globl	_ZN7rocprim17ROCPRIM_400000_NS6detail17trampoline_kernelINS0_14default_configENS1_25partition_config_selectorILNS1_17partition_subalgoE2EsNS0_10empty_typeEbEEZZNS1_14partition_implILS5_2ELb0ES3_jN6thrust23THRUST_200600_302600_NS6detail15normal_iteratorINSA_7pointerIsNSA_11hip_rocprim3tagENSA_11use_defaultESG_EEEEPS6_NSA_18transform_iteratorI10is_orderedNSA_12zip_iteratorINSA_5tupleINSC_INSA_10device_ptrIsEEEESQ_NSA_9null_typeESR_SR_SR_SR_SR_SR_SR_EEEESG_SG_EENS0_5tupleIJPsSJ_EEENSV_IJSJ_SJ_EEES6_PlJS6_EEE10hipError_tPvRmT3_T4_T5_T6_T7_T9_mT8_P12ihipStream_tbDpT10_ENKUlT_T0_E_clISt17integral_constantIbLb0EES1J_EEDaS1E_S1F_EUlS1E_E_NS1_11comp_targetILNS1_3genE2ELNS1_11target_archE906ELNS1_3gpuE6ELNS1_3repE0EEENS1_30default_config_static_selectorELNS0_4arch9wavefront6targetE1EEEvT1_
	.p2align	8
	.type	_ZN7rocprim17ROCPRIM_400000_NS6detail17trampoline_kernelINS0_14default_configENS1_25partition_config_selectorILNS1_17partition_subalgoE2EsNS0_10empty_typeEbEEZZNS1_14partition_implILS5_2ELb0ES3_jN6thrust23THRUST_200600_302600_NS6detail15normal_iteratorINSA_7pointerIsNSA_11hip_rocprim3tagENSA_11use_defaultESG_EEEEPS6_NSA_18transform_iteratorI10is_orderedNSA_12zip_iteratorINSA_5tupleINSC_INSA_10device_ptrIsEEEESQ_NSA_9null_typeESR_SR_SR_SR_SR_SR_SR_EEEESG_SG_EENS0_5tupleIJPsSJ_EEENSV_IJSJ_SJ_EEES6_PlJS6_EEE10hipError_tPvRmT3_T4_T5_T6_T7_T9_mT8_P12ihipStream_tbDpT10_ENKUlT_T0_E_clISt17integral_constantIbLb0EES1J_EEDaS1E_S1F_EUlS1E_E_NS1_11comp_targetILNS1_3genE2ELNS1_11target_archE906ELNS1_3gpuE6ELNS1_3repE0EEENS1_30default_config_static_selectorELNS0_4arch9wavefront6targetE1EEEvT1_,@function
_ZN7rocprim17ROCPRIM_400000_NS6detail17trampoline_kernelINS0_14default_configENS1_25partition_config_selectorILNS1_17partition_subalgoE2EsNS0_10empty_typeEbEEZZNS1_14partition_implILS5_2ELb0ES3_jN6thrust23THRUST_200600_302600_NS6detail15normal_iteratorINSA_7pointerIsNSA_11hip_rocprim3tagENSA_11use_defaultESG_EEEEPS6_NSA_18transform_iteratorI10is_orderedNSA_12zip_iteratorINSA_5tupleINSC_INSA_10device_ptrIsEEEESQ_NSA_9null_typeESR_SR_SR_SR_SR_SR_SR_EEEESG_SG_EENS0_5tupleIJPsSJ_EEENSV_IJSJ_SJ_EEES6_PlJS6_EEE10hipError_tPvRmT3_T4_T5_T6_T7_T9_mT8_P12ihipStream_tbDpT10_ENKUlT_T0_E_clISt17integral_constantIbLb0EES1J_EEDaS1E_S1F_EUlS1E_E_NS1_11comp_targetILNS1_3genE2ELNS1_11target_archE906ELNS1_3gpuE6ELNS1_3repE0EEENS1_30default_config_static_selectorELNS0_4arch9wavefront6targetE1EEEvT1_: ; @_ZN7rocprim17ROCPRIM_400000_NS6detail17trampoline_kernelINS0_14default_configENS1_25partition_config_selectorILNS1_17partition_subalgoE2EsNS0_10empty_typeEbEEZZNS1_14partition_implILS5_2ELb0ES3_jN6thrust23THRUST_200600_302600_NS6detail15normal_iteratorINSA_7pointerIsNSA_11hip_rocprim3tagENSA_11use_defaultESG_EEEEPS6_NSA_18transform_iteratorI10is_orderedNSA_12zip_iteratorINSA_5tupleINSC_INSA_10device_ptrIsEEEESQ_NSA_9null_typeESR_SR_SR_SR_SR_SR_SR_EEEESG_SG_EENS0_5tupleIJPsSJ_EEENSV_IJSJ_SJ_EEES6_PlJS6_EEE10hipError_tPvRmT3_T4_T5_T6_T7_T9_mT8_P12ihipStream_tbDpT10_ENKUlT_T0_E_clISt17integral_constantIbLb0EES1J_EEDaS1E_S1F_EUlS1E_E_NS1_11comp_targetILNS1_3genE2ELNS1_11target_archE906ELNS1_3gpuE6ELNS1_3repE0EEENS1_30default_config_static_selectorELNS0_4arch9wavefront6targetE1EEEvT1_
; %bb.0:
	.section	.rodata,"a",@progbits
	.p2align	6, 0x0
	.amdhsa_kernel _ZN7rocprim17ROCPRIM_400000_NS6detail17trampoline_kernelINS0_14default_configENS1_25partition_config_selectorILNS1_17partition_subalgoE2EsNS0_10empty_typeEbEEZZNS1_14partition_implILS5_2ELb0ES3_jN6thrust23THRUST_200600_302600_NS6detail15normal_iteratorINSA_7pointerIsNSA_11hip_rocprim3tagENSA_11use_defaultESG_EEEEPS6_NSA_18transform_iteratorI10is_orderedNSA_12zip_iteratorINSA_5tupleINSC_INSA_10device_ptrIsEEEESQ_NSA_9null_typeESR_SR_SR_SR_SR_SR_SR_EEEESG_SG_EENS0_5tupleIJPsSJ_EEENSV_IJSJ_SJ_EEES6_PlJS6_EEE10hipError_tPvRmT3_T4_T5_T6_T7_T9_mT8_P12ihipStream_tbDpT10_ENKUlT_T0_E_clISt17integral_constantIbLb0EES1J_EEDaS1E_S1F_EUlS1E_E_NS1_11comp_targetILNS1_3genE2ELNS1_11target_archE906ELNS1_3gpuE6ELNS1_3repE0EEENS1_30default_config_static_selectorELNS0_4arch9wavefront6targetE1EEEvT1_
		.amdhsa_group_segment_fixed_size 0
		.amdhsa_private_segment_fixed_size 0
		.amdhsa_kernarg_size 136
		.amdhsa_user_sgpr_count 2
		.amdhsa_user_sgpr_dispatch_ptr 0
		.amdhsa_user_sgpr_queue_ptr 0
		.amdhsa_user_sgpr_kernarg_segment_ptr 1
		.amdhsa_user_sgpr_dispatch_id 0
		.amdhsa_user_sgpr_kernarg_preload_length 0
		.amdhsa_user_sgpr_kernarg_preload_offset 0
		.amdhsa_user_sgpr_private_segment_size 0
		.amdhsa_uses_dynamic_stack 0
		.amdhsa_enable_private_segment 0
		.amdhsa_system_sgpr_workgroup_id_x 1
		.amdhsa_system_sgpr_workgroup_id_y 0
		.amdhsa_system_sgpr_workgroup_id_z 0
		.amdhsa_system_sgpr_workgroup_info 0
		.amdhsa_system_vgpr_workitem_id 0
		.amdhsa_next_free_vgpr 1
		.amdhsa_next_free_sgpr 0
		.amdhsa_accum_offset 4
		.amdhsa_reserve_vcc 0
		.amdhsa_float_round_mode_32 0
		.amdhsa_float_round_mode_16_64 0
		.amdhsa_float_denorm_mode_32 3
		.amdhsa_float_denorm_mode_16_64 3
		.amdhsa_dx10_clamp 1
		.amdhsa_ieee_mode 1
		.amdhsa_fp16_overflow 0
		.amdhsa_tg_split 0
		.amdhsa_exception_fp_ieee_invalid_op 0
		.amdhsa_exception_fp_denorm_src 0
		.amdhsa_exception_fp_ieee_div_zero 0
		.amdhsa_exception_fp_ieee_overflow 0
		.amdhsa_exception_fp_ieee_underflow 0
		.amdhsa_exception_fp_ieee_inexact 0
		.amdhsa_exception_int_div_zero 0
	.end_amdhsa_kernel
	.section	.text._ZN7rocprim17ROCPRIM_400000_NS6detail17trampoline_kernelINS0_14default_configENS1_25partition_config_selectorILNS1_17partition_subalgoE2EsNS0_10empty_typeEbEEZZNS1_14partition_implILS5_2ELb0ES3_jN6thrust23THRUST_200600_302600_NS6detail15normal_iteratorINSA_7pointerIsNSA_11hip_rocprim3tagENSA_11use_defaultESG_EEEEPS6_NSA_18transform_iteratorI10is_orderedNSA_12zip_iteratorINSA_5tupleINSC_INSA_10device_ptrIsEEEESQ_NSA_9null_typeESR_SR_SR_SR_SR_SR_SR_EEEESG_SG_EENS0_5tupleIJPsSJ_EEENSV_IJSJ_SJ_EEES6_PlJS6_EEE10hipError_tPvRmT3_T4_T5_T6_T7_T9_mT8_P12ihipStream_tbDpT10_ENKUlT_T0_E_clISt17integral_constantIbLb0EES1J_EEDaS1E_S1F_EUlS1E_E_NS1_11comp_targetILNS1_3genE2ELNS1_11target_archE906ELNS1_3gpuE6ELNS1_3repE0EEENS1_30default_config_static_selectorELNS0_4arch9wavefront6targetE1EEEvT1_,"axG",@progbits,_ZN7rocprim17ROCPRIM_400000_NS6detail17trampoline_kernelINS0_14default_configENS1_25partition_config_selectorILNS1_17partition_subalgoE2EsNS0_10empty_typeEbEEZZNS1_14partition_implILS5_2ELb0ES3_jN6thrust23THRUST_200600_302600_NS6detail15normal_iteratorINSA_7pointerIsNSA_11hip_rocprim3tagENSA_11use_defaultESG_EEEEPS6_NSA_18transform_iteratorI10is_orderedNSA_12zip_iteratorINSA_5tupleINSC_INSA_10device_ptrIsEEEESQ_NSA_9null_typeESR_SR_SR_SR_SR_SR_SR_EEEESG_SG_EENS0_5tupleIJPsSJ_EEENSV_IJSJ_SJ_EEES6_PlJS6_EEE10hipError_tPvRmT3_T4_T5_T6_T7_T9_mT8_P12ihipStream_tbDpT10_ENKUlT_T0_E_clISt17integral_constantIbLb0EES1J_EEDaS1E_S1F_EUlS1E_E_NS1_11comp_targetILNS1_3genE2ELNS1_11target_archE906ELNS1_3gpuE6ELNS1_3repE0EEENS1_30default_config_static_selectorELNS0_4arch9wavefront6targetE1EEEvT1_,comdat
.Lfunc_end3630:
	.size	_ZN7rocprim17ROCPRIM_400000_NS6detail17trampoline_kernelINS0_14default_configENS1_25partition_config_selectorILNS1_17partition_subalgoE2EsNS0_10empty_typeEbEEZZNS1_14partition_implILS5_2ELb0ES3_jN6thrust23THRUST_200600_302600_NS6detail15normal_iteratorINSA_7pointerIsNSA_11hip_rocprim3tagENSA_11use_defaultESG_EEEEPS6_NSA_18transform_iteratorI10is_orderedNSA_12zip_iteratorINSA_5tupleINSC_INSA_10device_ptrIsEEEESQ_NSA_9null_typeESR_SR_SR_SR_SR_SR_SR_EEEESG_SG_EENS0_5tupleIJPsSJ_EEENSV_IJSJ_SJ_EEES6_PlJS6_EEE10hipError_tPvRmT3_T4_T5_T6_T7_T9_mT8_P12ihipStream_tbDpT10_ENKUlT_T0_E_clISt17integral_constantIbLb0EES1J_EEDaS1E_S1F_EUlS1E_E_NS1_11comp_targetILNS1_3genE2ELNS1_11target_archE906ELNS1_3gpuE6ELNS1_3repE0EEENS1_30default_config_static_selectorELNS0_4arch9wavefront6targetE1EEEvT1_, .Lfunc_end3630-_ZN7rocprim17ROCPRIM_400000_NS6detail17trampoline_kernelINS0_14default_configENS1_25partition_config_selectorILNS1_17partition_subalgoE2EsNS0_10empty_typeEbEEZZNS1_14partition_implILS5_2ELb0ES3_jN6thrust23THRUST_200600_302600_NS6detail15normal_iteratorINSA_7pointerIsNSA_11hip_rocprim3tagENSA_11use_defaultESG_EEEEPS6_NSA_18transform_iteratorI10is_orderedNSA_12zip_iteratorINSA_5tupleINSC_INSA_10device_ptrIsEEEESQ_NSA_9null_typeESR_SR_SR_SR_SR_SR_SR_EEEESG_SG_EENS0_5tupleIJPsSJ_EEENSV_IJSJ_SJ_EEES6_PlJS6_EEE10hipError_tPvRmT3_T4_T5_T6_T7_T9_mT8_P12ihipStream_tbDpT10_ENKUlT_T0_E_clISt17integral_constantIbLb0EES1J_EEDaS1E_S1F_EUlS1E_E_NS1_11comp_targetILNS1_3genE2ELNS1_11target_archE906ELNS1_3gpuE6ELNS1_3repE0EEENS1_30default_config_static_selectorELNS0_4arch9wavefront6targetE1EEEvT1_
                                        ; -- End function
	.section	.AMDGPU.csdata,"",@progbits
; Kernel info:
; codeLenInByte = 0
; NumSgprs: 6
; NumVgprs: 0
; NumAgprs: 0
; TotalNumVgprs: 0
; ScratchSize: 0
; MemoryBound: 0
; FloatMode: 240
; IeeeMode: 1
; LDSByteSize: 0 bytes/workgroup (compile time only)
; SGPRBlocks: 0
; VGPRBlocks: 0
; NumSGPRsForWavesPerEU: 6
; NumVGPRsForWavesPerEU: 1
; AccumOffset: 4
; Occupancy: 8
; WaveLimiterHint : 0
; COMPUTE_PGM_RSRC2:SCRATCH_EN: 0
; COMPUTE_PGM_RSRC2:USER_SGPR: 2
; COMPUTE_PGM_RSRC2:TRAP_HANDLER: 0
; COMPUTE_PGM_RSRC2:TGID_X_EN: 1
; COMPUTE_PGM_RSRC2:TGID_Y_EN: 0
; COMPUTE_PGM_RSRC2:TGID_Z_EN: 0
; COMPUTE_PGM_RSRC2:TIDIG_COMP_CNT: 0
; COMPUTE_PGM_RSRC3_GFX90A:ACCUM_OFFSET: 0
; COMPUTE_PGM_RSRC3_GFX90A:TG_SPLIT: 0
	.section	.text._ZN7rocprim17ROCPRIM_400000_NS6detail17trampoline_kernelINS0_14default_configENS1_25partition_config_selectorILNS1_17partition_subalgoE2EsNS0_10empty_typeEbEEZZNS1_14partition_implILS5_2ELb0ES3_jN6thrust23THRUST_200600_302600_NS6detail15normal_iteratorINSA_7pointerIsNSA_11hip_rocprim3tagENSA_11use_defaultESG_EEEEPS6_NSA_18transform_iteratorI10is_orderedNSA_12zip_iteratorINSA_5tupleINSC_INSA_10device_ptrIsEEEESQ_NSA_9null_typeESR_SR_SR_SR_SR_SR_SR_EEEESG_SG_EENS0_5tupleIJPsSJ_EEENSV_IJSJ_SJ_EEES6_PlJS6_EEE10hipError_tPvRmT3_T4_T5_T6_T7_T9_mT8_P12ihipStream_tbDpT10_ENKUlT_T0_E_clISt17integral_constantIbLb0EES1J_EEDaS1E_S1F_EUlS1E_E_NS1_11comp_targetILNS1_3genE10ELNS1_11target_archE1200ELNS1_3gpuE4ELNS1_3repE0EEENS1_30default_config_static_selectorELNS0_4arch9wavefront6targetE1EEEvT1_,"axG",@progbits,_ZN7rocprim17ROCPRIM_400000_NS6detail17trampoline_kernelINS0_14default_configENS1_25partition_config_selectorILNS1_17partition_subalgoE2EsNS0_10empty_typeEbEEZZNS1_14partition_implILS5_2ELb0ES3_jN6thrust23THRUST_200600_302600_NS6detail15normal_iteratorINSA_7pointerIsNSA_11hip_rocprim3tagENSA_11use_defaultESG_EEEEPS6_NSA_18transform_iteratorI10is_orderedNSA_12zip_iteratorINSA_5tupleINSC_INSA_10device_ptrIsEEEESQ_NSA_9null_typeESR_SR_SR_SR_SR_SR_SR_EEEESG_SG_EENS0_5tupleIJPsSJ_EEENSV_IJSJ_SJ_EEES6_PlJS6_EEE10hipError_tPvRmT3_T4_T5_T6_T7_T9_mT8_P12ihipStream_tbDpT10_ENKUlT_T0_E_clISt17integral_constantIbLb0EES1J_EEDaS1E_S1F_EUlS1E_E_NS1_11comp_targetILNS1_3genE10ELNS1_11target_archE1200ELNS1_3gpuE4ELNS1_3repE0EEENS1_30default_config_static_selectorELNS0_4arch9wavefront6targetE1EEEvT1_,comdat
	.protected	_ZN7rocprim17ROCPRIM_400000_NS6detail17trampoline_kernelINS0_14default_configENS1_25partition_config_selectorILNS1_17partition_subalgoE2EsNS0_10empty_typeEbEEZZNS1_14partition_implILS5_2ELb0ES3_jN6thrust23THRUST_200600_302600_NS6detail15normal_iteratorINSA_7pointerIsNSA_11hip_rocprim3tagENSA_11use_defaultESG_EEEEPS6_NSA_18transform_iteratorI10is_orderedNSA_12zip_iteratorINSA_5tupleINSC_INSA_10device_ptrIsEEEESQ_NSA_9null_typeESR_SR_SR_SR_SR_SR_SR_EEEESG_SG_EENS0_5tupleIJPsSJ_EEENSV_IJSJ_SJ_EEES6_PlJS6_EEE10hipError_tPvRmT3_T4_T5_T6_T7_T9_mT8_P12ihipStream_tbDpT10_ENKUlT_T0_E_clISt17integral_constantIbLb0EES1J_EEDaS1E_S1F_EUlS1E_E_NS1_11comp_targetILNS1_3genE10ELNS1_11target_archE1200ELNS1_3gpuE4ELNS1_3repE0EEENS1_30default_config_static_selectorELNS0_4arch9wavefront6targetE1EEEvT1_ ; -- Begin function _ZN7rocprim17ROCPRIM_400000_NS6detail17trampoline_kernelINS0_14default_configENS1_25partition_config_selectorILNS1_17partition_subalgoE2EsNS0_10empty_typeEbEEZZNS1_14partition_implILS5_2ELb0ES3_jN6thrust23THRUST_200600_302600_NS6detail15normal_iteratorINSA_7pointerIsNSA_11hip_rocprim3tagENSA_11use_defaultESG_EEEEPS6_NSA_18transform_iteratorI10is_orderedNSA_12zip_iteratorINSA_5tupleINSC_INSA_10device_ptrIsEEEESQ_NSA_9null_typeESR_SR_SR_SR_SR_SR_SR_EEEESG_SG_EENS0_5tupleIJPsSJ_EEENSV_IJSJ_SJ_EEES6_PlJS6_EEE10hipError_tPvRmT3_T4_T5_T6_T7_T9_mT8_P12ihipStream_tbDpT10_ENKUlT_T0_E_clISt17integral_constantIbLb0EES1J_EEDaS1E_S1F_EUlS1E_E_NS1_11comp_targetILNS1_3genE10ELNS1_11target_archE1200ELNS1_3gpuE4ELNS1_3repE0EEENS1_30default_config_static_selectorELNS0_4arch9wavefront6targetE1EEEvT1_
	.globl	_ZN7rocprim17ROCPRIM_400000_NS6detail17trampoline_kernelINS0_14default_configENS1_25partition_config_selectorILNS1_17partition_subalgoE2EsNS0_10empty_typeEbEEZZNS1_14partition_implILS5_2ELb0ES3_jN6thrust23THRUST_200600_302600_NS6detail15normal_iteratorINSA_7pointerIsNSA_11hip_rocprim3tagENSA_11use_defaultESG_EEEEPS6_NSA_18transform_iteratorI10is_orderedNSA_12zip_iteratorINSA_5tupleINSC_INSA_10device_ptrIsEEEESQ_NSA_9null_typeESR_SR_SR_SR_SR_SR_SR_EEEESG_SG_EENS0_5tupleIJPsSJ_EEENSV_IJSJ_SJ_EEES6_PlJS6_EEE10hipError_tPvRmT3_T4_T5_T6_T7_T9_mT8_P12ihipStream_tbDpT10_ENKUlT_T0_E_clISt17integral_constantIbLb0EES1J_EEDaS1E_S1F_EUlS1E_E_NS1_11comp_targetILNS1_3genE10ELNS1_11target_archE1200ELNS1_3gpuE4ELNS1_3repE0EEENS1_30default_config_static_selectorELNS0_4arch9wavefront6targetE1EEEvT1_
	.p2align	8
	.type	_ZN7rocprim17ROCPRIM_400000_NS6detail17trampoline_kernelINS0_14default_configENS1_25partition_config_selectorILNS1_17partition_subalgoE2EsNS0_10empty_typeEbEEZZNS1_14partition_implILS5_2ELb0ES3_jN6thrust23THRUST_200600_302600_NS6detail15normal_iteratorINSA_7pointerIsNSA_11hip_rocprim3tagENSA_11use_defaultESG_EEEEPS6_NSA_18transform_iteratorI10is_orderedNSA_12zip_iteratorINSA_5tupleINSC_INSA_10device_ptrIsEEEESQ_NSA_9null_typeESR_SR_SR_SR_SR_SR_SR_EEEESG_SG_EENS0_5tupleIJPsSJ_EEENSV_IJSJ_SJ_EEES6_PlJS6_EEE10hipError_tPvRmT3_T4_T5_T6_T7_T9_mT8_P12ihipStream_tbDpT10_ENKUlT_T0_E_clISt17integral_constantIbLb0EES1J_EEDaS1E_S1F_EUlS1E_E_NS1_11comp_targetILNS1_3genE10ELNS1_11target_archE1200ELNS1_3gpuE4ELNS1_3repE0EEENS1_30default_config_static_selectorELNS0_4arch9wavefront6targetE1EEEvT1_,@function
_ZN7rocprim17ROCPRIM_400000_NS6detail17trampoline_kernelINS0_14default_configENS1_25partition_config_selectorILNS1_17partition_subalgoE2EsNS0_10empty_typeEbEEZZNS1_14partition_implILS5_2ELb0ES3_jN6thrust23THRUST_200600_302600_NS6detail15normal_iteratorINSA_7pointerIsNSA_11hip_rocprim3tagENSA_11use_defaultESG_EEEEPS6_NSA_18transform_iteratorI10is_orderedNSA_12zip_iteratorINSA_5tupleINSC_INSA_10device_ptrIsEEEESQ_NSA_9null_typeESR_SR_SR_SR_SR_SR_SR_EEEESG_SG_EENS0_5tupleIJPsSJ_EEENSV_IJSJ_SJ_EEES6_PlJS6_EEE10hipError_tPvRmT3_T4_T5_T6_T7_T9_mT8_P12ihipStream_tbDpT10_ENKUlT_T0_E_clISt17integral_constantIbLb0EES1J_EEDaS1E_S1F_EUlS1E_E_NS1_11comp_targetILNS1_3genE10ELNS1_11target_archE1200ELNS1_3gpuE4ELNS1_3repE0EEENS1_30default_config_static_selectorELNS0_4arch9wavefront6targetE1EEEvT1_: ; @_ZN7rocprim17ROCPRIM_400000_NS6detail17trampoline_kernelINS0_14default_configENS1_25partition_config_selectorILNS1_17partition_subalgoE2EsNS0_10empty_typeEbEEZZNS1_14partition_implILS5_2ELb0ES3_jN6thrust23THRUST_200600_302600_NS6detail15normal_iteratorINSA_7pointerIsNSA_11hip_rocprim3tagENSA_11use_defaultESG_EEEEPS6_NSA_18transform_iteratorI10is_orderedNSA_12zip_iteratorINSA_5tupleINSC_INSA_10device_ptrIsEEEESQ_NSA_9null_typeESR_SR_SR_SR_SR_SR_SR_EEEESG_SG_EENS0_5tupleIJPsSJ_EEENSV_IJSJ_SJ_EEES6_PlJS6_EEE10hipError_tPvRmT3_T4_T5_T6_T7_T9_mT8_P12ihipStream_tbDpT10_ENKUlT_T0_E_clISt17integral_constantIbLb0EES1J_EEDaS1E_S1F_EUlS1E_E_NS1_11comp_targetILNS1_3genE10ELNS1_11target_archE1200ELNS1_3gpuE4ELNS1_3repE0EEENS1_30default_config_static_selectorELNS0_4arch9wavefront6targetE1EEEvT1_
; %bb.0:
	.section	.rodata,"a",@progbits
	.p2align	6, 0x0
	.amdhsa_kernel _ZN7rocprim17ROCPRIM_400000_NS6detail17trampoline_kernelINS0_14default_configENS1_25partition_config_selectorILNS1_17partition_subalgoE2EsNS0_10empty_typeEbEEZZNS1_14partition_implILS5_2ELb0ES3_jN6thrust23THRUST_200600_302600_NS6detail15normal_iteratorINSA_7pointerIsNSA_11hip_rocprim3tagENSA_11use_defaultESG_EEEEPS6_NSA_18transform_iteratorI10is_orderedNSA_12zip_iteratorINSA_5tupleINSC_INSA_10device_ptrIsEEEESQ_NSA_9null_typeESR_SR_SR_SR_SR_SR_SR_EEEESG_SG_EENS0_5tupleIJPsSJ_EEENSV_IJSJ_SJ_EEES6_PlJS6_EEE10hipError_tPvRmT3_T4_T5_T6_T7_T9_mT8_P12ihipStream_tbDpT10_ENKUlT_T0_E_clISt17integral_constantIbLb0EES1J_EEDaS1E_S1F_EUlS1E_E_NS1_11comp_targetILNS1_3genE10ELNS1_11target_archE1200ELNS1_3gpuE4ELNS1_3repE0EEENS1_30default_config_static_selectorELNS0_4arch9wavefront6targetE1EEEvT1_
		.amdhsa_group_segment_fixed_size 0
		.amdhsa_private_segment_fixed_size 0
		.amdhsa_kernarg_size 136
		.amdhsa_user_sgpr_count 2
		.amdhsa_user_sgpr_dispatch_ptr 0
		.amdhsa_user_sgpr_queue_ptr 0
		.amdhsa_user_sgpr_kernarg_segment_ptr 1
		.amdhsa_user_sgpr_dispatch_id 0
		.amdhsa_user_sgpr_kernarg_preload_length 0
		.amdhsa_user_sgpr_kernarg_preload_offset 0
		.amdhsa_user_sgpr_private_segment_size 0
		.amdhsa_uses_dynamic_stack 0
		.amdhsa_enable_private_segment 0
		.amdhsa_system_sgpr_workgroup_id_x 1
		.amdhsa_system_sgpr_workgroup_id_y 0
		.amdhsa_system_sgpr_workgroup_id_z 0
		.amdhsa_system_sgpr_workgroup_info 0
		.amdhsa_system_vgpr_workitem_id 0
		.amdhsa_next_free_vgpr 1
		.amdhsa_next_free_sgpr 0
		.amdhsa_accum_offset 4
		.amdhsa_reserve_vcc 0
		.amdhsa_float_round_mode_32 0
		.amdhsa_float_round_mode_16_64 0
		.amdhsa_float_denorm_mode_32 3
		.amdhsa_float_denorm_mode_16_64 3
		.amdhsa_dx10_clamp 1
		.amdhsa_ieee_mode 1
		.amdhsa_fp16_overflow 0
		.amdhsa_tg_split 0
		.amdhsa_exception_fp_ieee_invalid_op 0
		.amdhsa_exception_fp_denorm_src 0
		.amdhsa_exception_fp_ieee_div_zero 0
		.amdhsa_exception_fp_ieee_overflow 0
		.amdhsa_exception_fp_ieee_underflow 0
		.amdhsa_exception_fp_ieee_inexact 0
		.amdhsa_exception_int_div_zero 0
	.end_amdhsa_kernel
	.section	.text._ZN7rocprim17ROCPRIM_400000_NS6detail17trampoline_kernelINS0_14default_configENS1_25partition_config_selectorILNS1_17partition_subalgoE2EsNS0_10empty_typeEbEEZZNS1_14partition_implILS5_2ELb0ES3_jN6thrust23THRUST_200600_302600_NS6detail15normal_iteratorINSA_7pointerIsNSA_11hip_rocprim3tagENSA_11use_defaultESG_EEEEPS6_NSA_18transform_iteratorI10is_orderedNSA_12zip_iteratorINSA_5tupleINSC_INSA_10device_ptrIsEEEESQ_NSA_9null_typeESR_SR_SR_SR_SR_SR_SR_EEEESG_SG_EENS0_5tupleIJPsSJ_EEENSV_IJSJ_SJ_EEES6_PlJS6_EEE10hipError_tPvRmT3_T4_T5_T6_T7_T9_mT8_P12ihipStream_tbDpT10_ENKUlT_T0_E_clISt17integral_constantIbLb0EES1J_EEDaS1E_S1F_EUlS1E_E_NS1_11comp_targetILNS1_3genE10ELNS1_11target_archE1200ELNS1_3gpuE4ELNS1_3repE0EEENS1_30default_config_static_selectorELNS0_4arch9wavefront6targetE1EEEvT1_,"axG",@progbits,_ZN7rocprim17ROCPRIM_400000_NS6detail17trampoline_kernelINS0_14default_configENS1_25partition_config_selectorILNS1_17partition_subalgoE2EsNS0_10empty_typeEbEEZZNS1_14partition_implILS5_2ELb0ES3_jN6thrust23THRUST_200600_302600_NS6detail15normal_iteratorINSA_7pointerIsNSA_11hip_rocprim3tagENSA_11use_defaultESG_EEEEPS6_NSA_18transform_iteratorI10is_orderedNSA_12zip_iteratorINSA_5tupleINSC_INSA_10device_ptrIsEEEESQ_NSA_9null_typeESR_SR_SR_SR_SR_SR_SR_EEEESG_SG_EENS0_5tupleIJPsSJ_EEENSV_IJSJ_SJ_EEES6_PlJS6_EEE10hipError_tPvRmT3_T4_T5_T6_T7_T9_mT8_P12ihipStream_tbDpT10_ENKUlT_T0_E_clISt17integral_constantIbLb0EES1J_EEDaS1E_S1F_EUlS1E_E_NS1_11comp_targetILNS1_3genE10ELNS1_11target_archE1200ELNS1_3gpuE4ELNS1_3repE0EEENS1_30default_config_static_selectorELNS0_4arch9wavefront6targetE1EEEvT1_,comdat
.Lfunc_end3631:
	.size	_ZN7rocprim17ROCPRIM_400000_NS6detail17trampoline_kernelINS0_14default_configENS1_25partition_config_selectorILNS1_17partition_subalgoE2EsNS0_10empty_typeEbEEZZNS1_14partition_implILS5_2ELb0ES3_jN6thrust23THRUST_200600_302600_NS6detail15normal_iteratorINSA_7pointerIsNSA_11hip_rocprim3tagENSA_11use_defaultESG_EEEEPS6_NSA_18transform_iteratorI10is_orderedNSA_12zip_iteratorINSA_5tupleINSC_INSA_10device_ptrIsEEEESQ_NSA_9null_typeESR_SR_SR_SR_SR_SR_SR_EEEESG_SG_EENS0_5tupleIJPsSJ_EEENSV_IJSJ_SJ_EEES6_PlJS6_EEE10hipError_tPvRmT3_T4_T5_T6_T7_T9_mT8_P12ihipStream_tbDpT10_ENKUlT_T0_E_clISt17integral_constantIbLb0EES1J_EEDaS1E_S1F_EUlS1E_E_NS1_11comp_targetILNS1_3genE10ELNS1_11target_archE1200ELNS1_3gpuE4ELNS1_3repE0EEENS1_30default_config_static_selectorELNS0_4arch9wavefront6targetE1EEEvT1_, .Lfunc_end3631-_ZN7rocprim17ROCPRIM_400000_NS6detail17trampoline_kernelINS0_14default_configENS1_25partition_config_selectorILNS1_17partition_subalgoE2EsNS0_10empty_typeEbEEZZNS1_14partition_implILS5_2ELb0ES3_jN6thrust23THRUST_200600_302600_NS6detail15normal_iteratorINSA_7pointerIsNSA_11hip_rocprim3tagENSA_11use_defaultESG_EEEEPS6_NSA_18transform_iteratorI10is_orderedNSA_12zip_iteratorINSA_5tupleINSC_INSA_10device_ptrIsEEEESQ_NSA_9null_typeESR_SR_SR_SR_SR_SR_SR_EEEESG_SG_EENS0_5tupleIJPsSJ_EEENSV_IJSJ_SJ_EEES6_PlJS6_EEE10hipError_tPvRmT3_T4_T5_T6_T7_T9_mT8_P12ihipStream_tbDpT10_ENKUlT_T0_E_clISt17integral_constantIbLb0EES1J_EEDaS1E_S1F_EUlS1E_E_NS1_11comp_targetILNS1_3genE10ELNS1_11target_archE1200ELNS1_3gpuE4ELNS1_3repE0EEENS1_30default_config_static_selectorELNS0_4arch9wavefront6targetE1EEEvT1_
                                        ; -- End function
	.section	.AMDGPU.csdata,"",@progbits
; Kernel info:
; codeLenInByte = 0
; NumSgprs: 6
; NumVgprs: 0
; NumAgprs: 0
; TotalNumVgprs: 0
; ScratchSize: 0
; MemoryBound: 0
; FloatMode: 240
; IeeeMode: 1
; LDSByteSize: 0 bytes/workgroup (compile time only)
; SGPRBlocks: 0
; VGPRBlocks: 0
; NumSGPRsForWavesPerEU: 6
; NumVGPRsForWavesPerEU: 1
; AccumOffset: 4
; Occupancy: 8
; WaveLimiterHint : 0
; COMPUTE_PGM_RSRC2:SCRATCH_EN: 0
; COMPUTE_PGM_RSRC2:USER_SGPR: 2
; COMPUTE_PGM_RSRC2:TRAP_HANDLER: 0
; COMPUTE_PGM_RSRC2:TGID_X_EN: 1
; COMPUTE_PGM_RSRC2:TGID_Y_EN: 0
; COMPUTE_PGM_RSRC2:TGID_Z_EN: 0
; COMPUTE_PGM_RSRC2:TIDIG_COMP_CNT: 0
; COMPUTE_PGM_RSRC3_GFX90A:ACCUM_OFFSET: 0
; COMPUTE_PGM_RSRC3_GFX90A:TG_SPLIT: 0
	.section	.text._ZN7rocprim17ROCPRIM_400000_NS6detail17trampoline_kernelINS0_14default_configENS1_25partition_config_selectorILNS1_17partition_subalgoE2EsNS0_10empty_typeEbEEZZNS1_14partition_implILS5_2ELb0ES3_jN6thrust23THRUST_200600_302600_NS6detail15normal_iteratorINSA_7pointerIsNSA_11hip_rocprim3tagENSA_11use_defaultESG_EEEEPS6_NSA_18transform_iteratorI10is_orderedNSA_12zip_iteratorINSA_5tupleINSC_INSA_10device_ptrIsEEEESQ_NSA_9null_typeESR_SR_SR_SR_SR_SR_SR_EEEESG_SG_EENS0_5tupleIJPsSJ_EEENSV_IJSJ_SJ_EEES6_PlJS6_EEE10hipError_tPvRmT3_T4_T5_T6_T7_T9_mT8_P12ihipStream_tbDpT10_ENKUlT_T0_E_clISt17integral_constantIbLb0EES1J_EEDaS1E_S1F_EUlS1E_E_NS1_11comp_targetILNS1_3genE9ELNS1_11target_archE1100ELNS1_3gpuE3ELNS1_3repE0EEENS1_30default_config_static_selectorELNS0_4arch9wavefront6targetE1EEEvT1_,"axG",@progbits,_ZN7rocprim17ROCPRIM_400000_NS6detail17trampoline_kernelINS0_14default_configENS1_25partition_config_selectorILNS1_17partition_subalgoE2EsNS0_10empty_typeEbEEZZNS1_14partition_implILS5_2ELb0ES3_jN6thrust23THRUST_200600_302600_NS6detail15normal_iteratorINSA_7pointerIsNSA_11hip_rocprim3tagENSA_11use_defaultESG_EEEEPS6_NSA_18transform_iteratorI10is_orderedNSA_12zip_iteratorINSA_5tupleINSC_INSA_10device_ptrIsEEEESQ_NSA_9null_typeESR_SR_SR_SR_SR_SR_SR_EEEESG_SG_EENS0_5tupleIJPsSJ_EEENSV_IJSJ_SJ_EEES6_PlJS6_EEE10hipError_tPvRmT3_T4_T5_T6_T7_T9_mT8_P12ihipStream_tbDpT10_ENKUlT_T0_E_clISt17integral_constantIbLb0EES1J_EEDaS1E_S1F_EUlS1E_E_NS1_11comp_targetILNS1_3genE9ELNS1_11target_archE1100ELNS1_3gpuE3ELNS1_3repE0EEENS1_30default_config_static_selectorELNS0_4arch9wavefront6targetE1EEEvT1_,comdat
	.protected	_ZN7rocprim17ROCPRIM_400000_NS6detail17trampoline_kernelINS0_14default_configENS1_25partition_config_selectorILNS1_17partition_subalgoE2EsNS0_10empty_typeEbEEZZNS1_14partition_implILS5_2ELb0ES3_jN6thrust23THRUST_200600_302600_NS6detail15normal_iteratorINSA_7pointerIsNSA_11hip_rocprim3tagENSA_11use_defaultESG_EEEEPS6_NSA_18transform_iteratorI10is_orderedNSA_12zip_iteratorINSA_5tupleINSC_INSA_10device_ptrIsEEEESQ_NSA_9null_typeESR_SR_SR_SR_SR_SR_SR_EEEESG_SG_EENS0_5tupleIJPsSJ_EEENSV_IJSJ_SJ_EEES6_PlJS6_EEE10hipError_tPvRmT3_T4_T5_T6_T7_T9_mT8_P12ihipStream_tbDpT10_ENKUlT_T0_E_clISt17integral_constantIbLb0EES1J_EEDaS1E_S1F_EUlS1E_E_NS1_11comp_targetILNS1_3genE9ELNS1_11target_archE1100ELNS1_3gpuE3ELNS1_3repE0EEENS1_30default_config_static_selectorELNS0_4arch9wavefront6targetE1EEEvT1_ ; -- Begin function _ZN7rocprim17ROCPRIM_400000_NS6detail17trampoline_kernelINS0_14default_configENS1_25partition_config_selectorILNS1_17partition_subalgoE2EsNS0_10empty_typeEbEEZZNS1_14partition_implILS5_2ELb0ES3_jN6thrust23THRUST_200600_302600_NS6detail15normal_iteratorINSA_7pointerIsNSA_11hip_rocprim3tagENSA_11use_defaultESG_EEEEPS6_NSA_18transform_iteratorI10is_orderedNSA_12zip_iteratorINSA_5tupleINSC_INSA_10device_ptrIsEEEESQ_NSA_9null_typeESR_SR_SR_SR_SR_SR_SR_EEEESG_SG_EENS0_5tupleIJPsSJ_EEENSV_IJSJ_SJ_EEES6_PlJS6_EEE10hipError_tPvRmT3_T4_T5_T6_T7_T9_mT8_P12ihipStream_tbDpT10_ENKUlT_T0_E_clISt17integral_constantIbLb0EES1J_EEDaS1E_S1F_EUlS1E_E_NS1_11comp_targetILNS1_3genE9ELNS1_11target_archE1100ELNS1_3gpuE3ELNS1_3repE0EEENS1_30default_config_static_selectorELNS0_4arch9wavefront6targetE1EEEvT1_
	.globl	_ZN7rocprim17ROCPRIM_400000_NS6detail17trampoline_kernelINS0_14default_configENS1_25partition_config_selectorILNS1_17partition_subalgoE2EsNS0_10empty_typeEbEEZZNS1_14partition_implILS5_2ELb0ES3_jN6thrust23THRUST_200600_302600_NS6detail15normal_iteratorINSA_7pointerIsNSA_11hip_rocprim3tagENSA_11use_defaultESG_EEEEPS6_NSA_18transform_iteratorI10is_orderedNSA_12zip_iteratorINSA_5tupleINSC_INSA_10device_ptrIsEEEESQ_NSA_9null_typeESR_SR_SR_SR_SR_SR_SR_EEEESG_SG_EENS0_5tupleIJPsSJ_EEENSV_IJSJ_SJ_EEES6_PlJS6_EEE10hipError_tPvRmT3_T4_T5_T6_T7_T9_mT8_P12ihipStream_tbDpT10_ENKUlT_T0_E_clISt17integral_constantIbLb0EES1J_EEDaS1E_S1F_EUlS1E_E_NS1_11comp_targetILNS1_3genE9ELNS1_11target_archE1100ELNS1_3gpuE3ELNS1_3repE0EEENS1_30default_config_static_selectorELNS0_4arch9wavefront6targetE1EEEvT1_
	.p2align	8
	.type	_ZN7rocprim17ROCPRIM_400000_NS6detail17trampoline_kernelINS0_14default_configENS1_25partition_config_selectorILNS1_17partition_subalgoE2EsNS0_10empty_typeEbEEZZNS1_14partition_implILS5_2ELb0ES3_jN6thrust23THRUST_200600_302600_NS6detail15normal_iteratorINSA_7pointerIsNSA_11hip_rocprim3tagENSA_11use_defaultESG_EEEEPS6_NSA_18transform_iteratorI10is_orderedNSA_12zip_iteratorINSA_5tupleINSC_INSA_10device_ptrIsEEEESQ_NSA_9null_typeESR_SR_SR_SR_SR_SR_SR_EEEESG_SG_EENS0_5tupleIJPsSJ_EEENSV_IJSJ_SJ_EEES6_PlJS6_EEE10hipError_tPvRmT3_T4_T5_T6_T7_T9_mT8_P12ihipStream_tbDpT10_ENKUlT_T0_E_clISt17integral_constantIbLb0EES1J_EEDaS1E_S1F_EUlS1E_E_NS1_11comp_targetILNS1_3genE9ELNS1_11target_archE1100ELNS1_3gpuE3ELNS1_3repE0EEENS1_30default_config_static_selectorELNS0_4arch9wavefront6targetE1EEEvT1_,@function
_ZN7rocprim17ROCPRIM_400000_NS6detail17trampoline_kernelINS0_14default_configENS1_25partition_config_selectorILNS1_17partition_subalgoE2EsNS0_10empty_typeEbEEZZNS1_14partition_implILS5_2ELb0ES3_jN6thrust23THRUST_200600_302600_NS6detail15normal_iteratorINSA_7pointerIsNSA_11hip_rocprim3tagENSA_11use_defaultESG_EEEEPS6_NSA_18transform_iteratorI10is_orderedNSA_12zip_iteratorINSA_5tupleINSC_INSA_10device_ptrIsEEEESQ_NSA_9null_typeESR_SR_SR_SR_SR_SR_SR_EEEESG_SG_EENS0_5tupleIJPsSJ_EEENSV_IJSJ_SJ_EEES6_PlJS6_EEE10hipError_tPvRmT3_T4_T5_T6_T7_T9_mT8_P12ihipStream_tbDpT10_ENKUlT_T0_E_clISt17integral_constantIbLb0EES1J_EEDaS1E_S1F_EUlS1E_E_NS1_11comp_targetILNS1_3genE9ELNS1_11target_archE1100ELNS1_3gpuE3ELNS1_3repE0EEENS1_30default_config_static_selectorELNS0_4arch9wavefront6targetE1EEEvT1_: ; @_ZN7rocprim17ROCPRIM_400000_NS6detail17trampoline_kernelINS0_14default_configENS1_25partition_config_selectorILNS1_17partition_subalgoE2EsNS0_10empty_typeEbEEZZNS1_14partition_implILS5_2ELb0ES3_jN6thrust23THRUST_200600_302600_NS6detail15normal_iteratorINSA_7pointerIsNSA_11hip_rocprim3tagENSA_11use_defaultESG_EEEEPS6_NSA_18transform_iteratorI10is_orderedNSA_12zip_iteratorINSA_5tupleINSC_INSA_10device_ptrIsEEEESQ_NSA_9null_typeESR_SR_SR_SR_SR_SR_SR_EEEESG_SG_EENS0_5tupleIJPsSJ_EEENSV_IJSJ_SJ_EEES6_PlJS6_EEE10hipError_tPvRmT3_T4_T5_T6_T7_T9_mT8_P12ihipStream_tbDpT10_ENKUlT_T0_E_clISt17integral_constantIbLb0EES1J_EEDaS1E_S1F_EUlS1E_E_NS1_11comp_targetILNS1_3genE9ELNS1_11target_archE1100ELNS1_3gpuE3ELNS1_3repE0EEENS1_30default_config_static_selectorELNS0_4arch9wavefront6targetE1EEEvT1_
; %bb.0:
	.section	.rodata,"a",@progbits
	.p2align	6, 0x0
	.amdhsa_kernel _ZN7rocprim17ROCPRIM_400000_NS6detail17trampoline_kernelINS0_14default_configENS1_25partition_config_selectorILNS1_17partition_subalgoE2EsNS0_10empty_typeEbEEZZNS1_14partition_implILS5_2ELb0ES3_jN6thrust23THRUST_200600_302600_NS6detail15normal_iteratorINSA_7pointerIsNSA_11hip_rocprim3tagENSA_11use_defaultESG_EEEEPS6_NSA_18transform_iteratorI10is_orderedNSA_12zip_iteratorINSA_5tupleINSC_INSA_10device_ptrIsEEEESQ_NSA_9null_typeESR_SR_SR_SR_SR_SR_SR_EEEESG_SG_EENS0_5tupleIJPsSJ_EEENSV_IJSJ_SJ_EEES6_PlJS6_EEE10hipError_tPvRmT3_T4_T5_T6_T7_T9_mT8_P12ihipStream_tbDpT10_ENKUlT_T0_E_clISt17integral_constantIbLb0EES1J_EEDaS1E_S1F_EUlS1E_E_NS1_11comp_targetILNS1_3genE9ELNS1_11target_archE1100ELNS1_3gpuE3ELNS1_3repE0EEENS1_30default_config_static_selectorELNS0_4arch9wavefront6targetE1EEEvT1_
		.amdhsa_group_segment_fixed_size 0
		.amdhsa_private_segment_fixed_size 0
		.amdhsa_kernarg_size 136
		.amdhsa_user_sgpr_count 2
		.amdhsa_user_sgpr_dispatch_ptr 0
		.amdhsa_user_sgpr_queue_ptr 0
		.amdhsa_user_sgpr_kernarg_segment_ptr 1
		.amdhsa_user_sgpr_dispatch_id 0
		.amdhsa_user_sgpr_kernarg_preload_length 0
		.amdhsa_user_sgpr_kernarg_preload_offset 0
		.amdhsa_user_sgpr_private_segment_size 0
		.amdhsa_uses_dynamic_stack 0
		.amdhsa_enable_private_segment 0
		.amdhsa_system_sgpr_workgroup_id_x 1
		.amdhsa_system_sgpr_workgroup_id_y 0
		.amdhsa_system_sgpr_workgroup_id_z 0
		.amdhsa_system_sgpr_workgroup_info 0
		.amdhsa_system_vgpr_workitem_id 0
		.amdhsa_next_free_vgpr 1
		.amdhsa_next_free_sgpr 0
		.amdhsa_accum_offset 4
		.amdhsa_reserve_vcc 0
		.amdhsa_float_round_mode_32 0
		.amdhsa_float_round_mode_16_64 0
		.amdhsa_float_denorm_mode_32 3
		.amdhsa_float_denorm_mode_16_64 3
		.amdhsa_dx10_clamp 1
		.amdhsa_ieee_mode 1
		.amdhsa_fp16_overflow 0
		.amdhsa_tg_split 0
		.amdhsa_exception_fp_ieee_invalid_op 0
		.amdhsa_exception_fp_denorm_src 0
		.amdhsa_exception_fp_ieee_div_zero 0
		.amdhsa_exception_fp_ieee_overflow 0
		.amdhsa_exception_fp_ieee_underflow 0
		.amdhsa_exception_fp_ieee_inexact 0
		.amdhsa_exception_int_div_zero 0
	.end_amdhsa_kernel
	.section	.text._ZN7rocprim17ROCPRIM_400000_NS6detail17trampoline_kernelINS0_14default_configENS1_25partition_config_selectorILNS1_17partition_subalgoE2EsNS0_10empty_typeEbEEZZNS1_14partition_implILS5_2ELb0ES3_jN6thrust23THRUST_200600_302600_NS6detail15normal_iteratorINSA_7pointerIsNSA_11hip_rocprim3tagENSA_11use_defaultESG_EEEEPS6_NSA_18transform_iteratorI10is_orderedNSA_12zip_iteratorINSA_5tupleINSC_INSA_10device_ptrIsEEEESQ_NSA_9null_typeESR_SR_SR_SR_SR_SR_SR_EEEESG_SG_EENS0_5tupleIJPsSJ_EEENSV_IJSJ_SJ_EEES6_PlJS6_EEE10hipError_tPvRmT3_T4_T5_T6_T7_T9_mT8_P12ihipStream_tbDpT10_ENKUlT_T0_E_clISt17integral_constantIbLb0EES1J_EEDaS1E_S1F_EUlS1E_E_NS1_11comp_targetILNS1_3genE9ELNS1_11target_archE1100ELNS1_3gpuE3ELNS1_3repE0EEENS1_30default_config_static_selectorELNS0_4arch9wavefront6targetE1EEEvT1_,"axG",@progbits,_ZN7rocprim17ROCPRIM_400000_NS6detail17trampoline_kernelINS0_14default_configENS1_25partition_config_selectorILNS1_17partition_subalgoE2EsNS0_10empty_typeEbEEZZNS1_14partition_implILS5_2ELb0ES3_jN6thrust23THRUST_200600_302600_NS6detail15normal_iteratorINSA_7pointerIsNSA_11hip_rocprim3tagENSA_11use_defaultESG_EEEEPS6_NSA_18transform_iteratorI10is_orderedNSA_12zip_iteratorINSA_5tupleINSC_INSA_10device_ptrIsEEEESQ_NSA_9null_typeESR_SR_SR_SR_SR_SR_SR_EEEESG_SG_EENS0_5tupleIJPsSJ_EEENSV_IJSJ_SJ_EEES6_PlJS6_EEE10hipError_tPvRmT3_T4_T5_T6_T7_T9_mT8_P12ihipStream_tbDpT10_ENKUlT_T0_E_clISt17integral_constantIbLb0EES1J_EEDaS1E_S1F_EUlS1E_E_NS1_11comp_targetILNS1_3genE9ELNS1_11target_archE1100ELNS1_3gpuE3ELNS1_3repE0EEENS1_30default_config_static_selectorELNS0_4arch9wavefront6targetE1EEEvT1_,comdat
.Lfunc_end3632:
	.size	_ZN7rocprim17ROCPRIM_400000_NS6detail17trampoline_kernelINS0_14default_configENS1_25partition_config_selectorILNS1_17partition_subalgoE2EsNS0_10empty_typeEbEEZZNS1_14partition_implILS5_2ELb0ES3_jN6thrust23THRUST_200600_302600_NS6detail15normal_iteratorINSA_7pointerIsNSA_11hip_rocprim3tagENSA_11use_defaultESG_EEEEPS6_NSA_18transform_iteratorI10is_orderedNSA_12zip_iteratorINSA_5tupleINSC_INSA_10device_ptrIsEEEESQ_NSA_9null_typeESR_SR_SR_SR_SR_SR_SR_EEEESG_SG_EENS0_5tupleIJPsSJ_EEENSV_IJSJ_SJ_EEES6_PlJS6_EEE10hipError_tPvRmT3_T4_T5_T6_T7_T9_mT8_P12ihipStream_tbDpT10_ENKUlT_T0_E_clISt17integral_constantIbLb0EES1J_EEDaS1E_S1F_EUlS1E_E_NS1_11comp_targetILNS1_3genE9ELNS1_11target_archE1100ELNS1_3gpuE3ELNS1_3repE0EEENS1_30default_config_static_selectorELNS0_4arch9wavefront6targetE1EEEvT1_, .Lfunc_end3632-_ZN7rocprim17ROCPRIM_400000_NS6detail17trampoline_kernelINS0_14default_configENS1_25partition_config_selectorILNS1_17partition_subalgoE2EsNS0_10empty_typeEbEEZZNS1_14partition_implILS5_2ELb0ES3_jN6thrust23THRUST_200600_302600_NS6detail15normal_iteratorINSA_7pointerIsNSA_11hip_rocprim3tagENSA_11use_defaultESG_EEEEPS6_NSA_18transform_iteratorI10is_orderedNSA_12zip_iteratorINSA_5tupleINSC_INSA_10device_ptrIsEEEESQ_NSA_9null_typeESR_SR_SR_SR_SR_SR_SR_EEEESG_SG_EENS0_5tupleIJPsSJ_EEENSV_IJSJ_SJ_EEES6_PlJS6_EEE10hipError_tPvRmT3_T4_T5_T6_T7_T9_mT8_P12ihipStream_tbDpT10_ENKUlT_T0_E_clISt17integral_constantIbLb0EES1J_EEDaS1E_S1F_EUlS1E_E_NS1_11comp_targetILNS1_3genE9ELNS1_11target_archE1100ELNS1_3gpuE3ELNS1_3repE0EEENS1_30default_config_static_selectorELNS0_4arch9wavefront6targetE1EEEvT1_
                                        ; -- End function
	.section	.AMDGPU.csdata,"",@progbits
; Kernel info:
; codeLenInByte = 0
; NumSgprs: 6
; NumVgprs: 0
; NumAgprs: 0
; TotalNumVgprs: 0
; ScratchSize: 0
; MemoryBound: 0
; FloatMode: 240
; IeeeMode: 1
; LDSByteSize: 0 bytes/workgroup (compile time only)
; SGPRBlocks: 0
; VGPRBlocks: 0
; NumSGPRsForWavesPerEU: 6
; NumVGPRsForWavesPerEU: 1
; AccumOffset: 4
; Occupancy: 8
; WaveLimiterHint : 0
; COMPUTE_PGM_RSRC2:SCRATCH_EN: 0
; COMPUTE_PGM_RSRC2:USER_SGPR: 2
; COMPUTE_PGM_RSRC2:TRAP_HANDLER: 0
; COMPUTE_PGM_RSRC2:TGID_X_EN: 1
; COMPUTE_PGM_RSRC2:TGID_Y_EN: 0
; COMPUTE_PGM_RSRC2:TGID_Z_EN: 0
; COMPUTE_PGM_RSRC2:TIDIG_COMP_CNT: 0
; COMPUTE_PGM_RSRC3_GFX90A:ACCUM_OFFSET: 0
; COMPUTE_PGM_RSRC3_GFX90A:TG_SPLIT: 0
	.section	.text._ZN7rocprim17ROCPRIM_400000_NS6detail17trampoline_kernelINS0_14default_configENS1_25partition_config_selectorILNS1_17partition_subalgoE2EsNS0_10empty_typeEbEEZZNS1_14partition_implILS5_2ELb0ES3_jN6thrust23THRUST_200600_302600_NS6detail15normal_iteratorINSA_7pointerIsNSA_11hip_rocprim3tagENSA_11use_defaultESG_EEEEPS6_NSA_18transform_iteratorI10is_orderedNSA_12zip_iteratorINSA_5tupleINSC_INSA_10device_ptrIsEEEESQ_NSA_9null_typeESR_SR_SR_SR_SR_SR_SR_EEEESG_SG_EENS0_5tupleIJPsSJ_EEENSV_IJSJ_SJ_EEES6_PlJS6_EEE10hipError_tPvRmT3_T4_T5_T6_T7_T9_mT8_P12ihipStream_tbDpT10_ENKUlT_T0_E_clISt17integral_constantIbLb0EES1J_EEDaS1E_S1F_EUlS1E_E_NS1_11comp_targetILNS1_3genE8ELNS1_11target_archE1030ELNS1_3gpuE2ELNS1_3repE0EEENS1_30default_config_static_selectorELNS0_4arch9wavefront6targetE1EEEvT1_,"axG",@progbits,_ZN7rocprim17ROCPRIM_400000_NS6detail17trampoline_kernelINS0_14default_configENS1_25partition_config_selectorILNS1_17partition_subalgoE2EsNS0_10empty_typeEbEEZZNS1_14partition_implILS5_2ELb0ES3_jN6thrust23THRUST_200600_302600_NS6detail15normal_iteratorINSA_7pointerIsNSA_11hip_rocprim3tagENSA_11use_defaultESG_EEEEPS6_NSA_18transform_iteratorI10is_orderedNSA_12zip_iteratorINSA_5tupleINSC_INSA_10device_ptrIsEEEESQ_NSA_9null_typeESR_SR_SR_SR_SR_SR_SR_EEEESG_SG_EENS0_5tupleIJPsSJ_EEENSV_IJSJ_SJ_EEES6_PlJS6_EEE10hipError_tPvRmT3_T4_T5_T6_T7_T9_mT8_P12ihipStream_tbDpT10_ENKUlT_T0_E_clISt17integral_constantIbLb0EES1J_EEDaS1E_S1F_EUlS1E_E_NS1_11comp_targetILNS1_3genE8ELNS1_11target_archE1030ELNS1_3gpuE2ELNS1_3repE0EEENS1_30default_config_static_selectorELNS0_4arch9wavefront6targetE1EEEvT1_,comdat
	.protected	_ZN7rocprim17ROCPRIM_400000_NS6detail17trampoline_kernelINS0_14default_configENS1_25partition_config_selectorILNS1_17partition_subalgoE2EsNS0_10empty_typeEbEEZZNS1_14partition_implILS5_2ELb0ES3_jN6thrust23THRUST_200600_302600_NS6detail15normal_iteratorINSA_7pointerIsNSA_11hip_rocprim3tagENSA_11use_defaultESG_EEEEPS6_NSA_18transform_iteratorI10is_orderedNSA_12zip_iteratorINSA_5tupleINSC_INSA_10device_ptrIsEEEESQ_NSA_9null_typeESR_SR_SR_SR_SR_SR_SR_EEEESG_SG_EENS0_5tupleIJPsSJ_EEENSV_IJSJ_SJ_EEES6_PlJS6_EEE10hipError_tPvRmT3_T4_T5_T6_T7_T9_mT8_P12ihipStream_tbDpT10_ENKUlT_T0_E_clISt17integral_constantIbLb0EES1J_EEDaS1E_S1F_EUlS1E_E_NS1_11comp_targetILNS1_3genE8ELNS1_11target_archE1030ELNS1_3gpuE2ELNS1_3repE0EEENS1_30default_config_static_selectorELNS0_4arch9wavefront6targetE1EEEvT1_ ; -- Begin function _ZN7rocprim17ROCPRIM_400000_NS6detail17trampoline_kernelINS0_14default_configENS1_25partition_config_selectorILNS1_17partition_subalgoE2EsNS0_10empty_typeEbEEZZNS1_14partition_implILS5_2ELb0ES3_jN6thrust23THRUST_200600_302600_NS6detail15normal_iteratorINSA_7pointerIsNSA_11hip_rocprim3tagENSA_11use_defaultESG_EEEEPS6_NSA_18transform_iteratorI10is_orderedNSA_12zip_iteratorINSA_5tupleINSC_INSA_10device_ptrIsEEEESQ_NSA_9null_typeESR_SR_SR_SR_SR_SR_SR_EEEESG_SG_EENS0_5tupleIJPsSJ_EEENSV_IJSJ_SJ_EEES6_PlJS6_EEE10hipError_tPvRmT3_T4_T5_T6_T7_T9_mT8_P12ihipStream_tbDpT10_ENKUlT_T0_E_clISt17integral_constantIbLb0EES1J_EEDaS1E_S1F_EUlS1E_E_NS1_11comp_targetILNS1_3genE8ELNS1_11target_archE1030ELNS1_3gpuE2ELNS1_3repE0EEENS1_30default_config_static_selectorELNS0_4arch9wavefront6targetE1EEEvT1_
	.globl	_ZN7rocprim17ROCPRIM_400000_NS6detail17trampoline_kernelINS0_14default_configENS1_25partition_config_selectorILNS1_17partition_subalgoE2EsNS0_10empty_typeEbEEZZNS1_14partition_implILS5_2ELb0ES3_jN6thrust23THRUST_200600_302600_NS6detail15normal_iteratorINSA_7pointerIsNSA_11hip_rocprim3tagENSA_11use_defaultESG_EEEEPS6_NSA_18transform_iteratorI10is_orderedNSA_12zip_iteratorINSA_5tupleINSC_INSA_10device_ptrIsEEEESQ_NSA_9null_typeESR_SR_SR_SR_SR_SR_SR_EEEESG_SG_EENS0_5tupleIJPsSJ_EEENSV_IJSJ_SJ_EEES6_PlJS6_EEE10hipError_tPvRmT3_T4_T5_T6_T7_T9_mT8_P12ihipStream_tbDpT10_ENKUlT_T0_E_clISt17integral_constantIbLb0EES1J_EEDaS1E_S1F_EUlS1E_E_NS1_11comp_targetILNS1_3genE8ELNS1_11target_archE1030ELNS1_3gpuE2ELNS1_3repE0EEENS1_30default_config_static_selectorELNS0_4arch9wavefront6targetE1EEEvT1_
	.p2align	8
	.type	_ZN7rocprim17ROCPRIM_400000_NS6detail17trampoline_kernelINS0_14default_configENS1_25partition_config_selectorILNS1_17partition_subalgoE2EsNS0_10empty_typeEbEEZZNS1_14partition_implILS5_2ELb0ES3_jN6thrust23THRUST_200600_302600_NS6detail15normal_iteratorINSA_7pointerIsNSA_11hip_rocprim3tagENSA_11use_defaultESG_EEEEPS6_NSA_18transform_iteratorI10is_orderedNSA_12zip_iteratorINSA_5tupleINSC_INSA_10device_ptrIsEEEESQ_NSA_9null_typeESR_SR_SR_SR_SR_SR_SR_EEEESG_SG_EENS0_5tupleIJPsSJ_EEENSV_IJSJ_SJ_EEES6_PlJS6_EEE10hipError_tPvRmT3_T4_T5_T6_T7_T9_mT8_P12ihipStream_tbDpT10_ENKUlT_T0_E_clISt17integral_constantIbLb0EES1J_EEDaS1E_S1F_EUlS1E_E_NS1_11comp_targetILNS1_3genE8ELNS1_11target_archE1030ELNS1_3gpuE2ELNS1_3repE0EEENS1_30default_config_static_selectorELNS0_4arch9wavefront6targetE1EEEvT1_,@function
_ZN7rocprim17ROCPRIM_400000_NS6detail17trampoline_kernelINS0_14default_configENS1_25partition_config_selectorILNS1_17partition_subalgoE2EsNS0_10empty_typeEbEEZZNS1_14partition_implILS5_2ELb0ES3_jN6thrust23THRUST_200600_302600_NS6detail15normal_iteratorINSA_7pointerIsNSA_11hip_rocprim3tagENSA_11use_defaultESG_EEEEPS6_NSA_18transform_iteratorI10is_orderedNSA_12zip_iteratorINSA_5tupleINSC_INSA_10device_ptrIsEEEESQ_NSA_9null_typeESR_SR_SR_SR_SR_SR_SR_EEEESG_SG_EENS0_5tupleIJPsSJ_EEENSV_IJSJ_SJ_EEES6_PlJS6_EEE10hipError_tPvRmT3_T4_T5_T6_T7_T9_mT8_P12ihipStream_tbDpT10_ENKUlT_T0_E_clISt17integral_constantIbLb0EES1J_EEDaS1E_S1F_EUlS1E_E_NS1_11comp_targetILNS1_3genE8ELNS1_11target_archE1030ELNS1_3gpuE2ELNS1_3repE0EEENS1_30default_config_static_selectorELNS0_4arch9wavefront6targetE1EEEvT1_: ; @_ZN7rocprim17ROCPRIM_400000_NS6detail17trampoline_kernelINS0_14default_configENS1_25partition_config_selectorILNS1_17partition_subalgoE2EsNS0_10empty_typeEbEEZZNS1_14partition_implILS5_2ELb0ES3_jN6thrust23THRUST_200600_302600_NS6detail15normal_iteratorINSA_7pointerIsNSA_11hip_rocprim3tagENSA_11use_defaultESG_EEEEPS6_NSA_18transform_iteratorI10is_orderedNSA_12zip_iteratorINSA_5tupleINSC_INSA_10device_ptrIsEEEESQ_NSA_9null_typeESR_SR_SR_SR_SR_SR_SR_EEEESG_SG_EENS0_5tupleIJPsSJ_EEENSV_IJSJ_SJ_EEES6_PlJS6_EEE10hipError_tPvRmT3_T4_T5_T6_T7_T9_mT8_P12ihipStream_tbDpT10_ENKUlT_T0_E_clISt17integral_constantIbLb0EES1J_EEDaS1E_S1F_EUlS1E_E_NS1_11comp_targetILNS1_3genE8ELNS1_11target_archE1030ELNS1_3gpuE2ELNS1_3repE0EEENS1_30default_config_static_selectorELNS0_4arch9wavefront6targetE1EEEvT1_
; %bb.0:
	.section	.rodata,"a",@progbits
	.p2align	6, 0x0
	.amdhsa_kernel _ZN7rocprim17ROCPRIM_400000_NS6detail17trampoline_kernelINS0_14default_configENS1_25partition_config_selectorILNS1_17partition_subalgoE2EsNS0_10empty_typeEbEEZZNS1_14partition_implILS5_2ELb0ES3_jN6thrust23THRUST_200600_302600_NS6detail15normal_iteratorINSA_7pointerIsNSA_11hip_rocprim3tagENSA_11use_defaultESG_EEEEPS6_NSA_18transform_iteratorI10is_orderedNSA_12zip_iteratorINSA_5tupleINSC_INSA_10device_ptrIsEEEESQ_NSA_9null_typeESR_SR_SR_SR_SR_SR_SR_EEEESG_SG_EENS0_5tupleIJPsSJ_EEENSV_IJSJ_SJ_EEES6_PlJS6_EEE10hipError_tPvRmT3_T4_T5_T6_T7_T9_mT8_P12ihipStream_tbDpT10_ENKUlT_T0_E_clISt17integral_constantIbLb0EES1J_EEDaS1E_S1F_EUlS1E_E_NS1_11comp_targetILNS1_3genE8ELNS1_11target_archE1030ELNS1_3gpuE2ELNS1_3repE0EEENS1_30default_config_static_selectorELNS0_4arch9wavefront6targetE1EEEvT1_
		.amdhsa_group_segment_fixed_size 0
		.amdhsa_private_segment_fixed_size 0
		.amdhsa_kernarg_size 136
		.amdhsa_user_sgpr_count 2
		.amdhsa_user_sgpr_dispatch_ptr 0
		.amdhsa_user_sgpr_queue_ptr 0
		.amdhsa_user_sgpr_kernarg_segment_ptr 1
		.amdhsa_user_sgpr_dispatch_id 0
		.amdhsa_user_sgpr_kernarg_preload_length 0
		.amdhsa_user_sgpr_kernarg_preload_offset 0
		.amdhsa_user_sgpr_private_segment_size 0
		.amdhsa_uses_dynamic_stack 0
		.amdhsa_enable_private_segment 0
		.amdhsa_system_sgpr_workgroup_id_x 1
		.amdhsa_system_sgpr_workgroup_id_y 0
		.amdhsa_system_sgpr_workgroup_id_z 0
		.amdhsa_system_sgpr_workgroup_info 0
		.amdhsa_system_vgpr_workitem_id 0
		.amdhsa_next_free_vgpr 1
		.amdhsa_next_free_sgpr 0
		.amdhsa_accum_offset 4
		.amdhsa_reserve_vcc 0
		.amdhsa_float_round_mode_32 0
		.amdhsa_float_round_mode_16_64 0
		.amdhsa_float_denorm_mode_32 3
		.amdhsa_float_denorm_mode_16_64 3
		.amdhsa_dx10_clamp 1
		.amdhsa_ieee_mode 1
		.amdhsa_fp16_overflow 0
		.amdhsa_tg_split 0
		.amdhsa_exception_fp_ieee_invalid_op 0
		.amdhsa_exception_fp_denorm_src 0
		.amdhsa_exception_fp_ieee_div_zero 0
		.amdhsa_exception_fp_ieee_overflow 0
		.amdhsa_exception_fp_ieee_underflow 0
		.amdhsa_exception_fp_ieee_inexact 0
		.amdhsa_exception_int_div_zero 0
	.end_amdhsa_kernel
	.section	.text._ZN7rocprim17ROCPRIM_400000_NS6detail17trampoline_kernelINS0_14default_configENS1_25partition_config_selectorILNS1_17partition_subalgoE2EsNS0_10empty_typeEbEEZZNS1_14partition_implILS5_2ELb0ES3_jN6thrust23THRUST_200600_302600_NS6detail15normal_iteratorINSA_7pointerIsNSA_11hip_rocprim3tagENSA_11use_defaultESG_EEEEPS6_NSA_18transform_iteratorI10is_orderedNSA_12zip_iteratorINSA_5tupleINSC_INSA_10device_ptrIsEEEESQ_NSA_9null_typeESR_SR_SR_SR_SR_SR_SR_EEEESG_SG_EENS0_5tupleIJPsSJ_EEENSV_IJSJ_SJ_EEES6_PlJS6_EEE10hipError_tPvRmT3_T4_T5_T6_T7_T9_mT8_P12ihipStream_tbDpT10_ENKUlT_T0_E_clISt17integral_constantIbLb0EES1J_EEDaS1E_S1F_EUlS1E_E_NS1_11comp_targetILNS1_3genE8ELNS1_11target_archE1030ELNS1_3gpuE2ELNS1_3repE0EEENS1_30default_config_static_selectorELNS0_4arch9wavefront6targetE1EEEvT1_,"axG",@progbits,_ZN7rocprim17ROCPRIM_400000_NS6detail17trampoline_kernelINS0_14default_configENS1_25partition_config_selectorILNS1_17partition_subalgoE2EsNS0_10empty_typeEbEEZZNS1_14partition_implILS5_2ELb0ES3_jN6thrust23THRUST_200600_302600_NS6detail15normal_iteratorINSA_7pointerIsNSA_11hip_rocprim3tagENSA_11use_defaultESG_EEEEPS6_NSA_18transform_iteratorI10is_orderedNSA_12zip_iteratorINSA_5tupleINSC_INSA_10device_ptrIsEEEESQ_NSA_9null_typeESR_SR_SR_SR_SR_SR_SR_EEEESG_SG_EENS0_5tupleIJPsSJ_EEENSV_IJSJ_SJ_EEES6_PlJS6_EEE10hipError_tPvRmT3_T4_T5_T6_T7_T9_mT8_P12ihipStream_tbDpT10_ENKUlT_T0_E_clISt17integral_constantIbLb0EES1J_EEDaS1E_S1F_EUlS1E_E_NS1_11comp_targetILNS1_3genE8ELNS1_11target_archE1030ELNS1_3gpuE2ELNS1_3repE0EEENS1_30default_config_static_selectorELNS0_4arch9wavefront6targetE1EEEvT1_,comdat
.Lfunc_end3633:
	.size	_ZN7rocprim17ROCPRIM_400000_NS6detail17trampoline_kernelINS0_14default_configENS1_25partition_config_selectorILNS1_17partition_subalgoE2EsNS0_10empty_typeEbEEZZNS1_14partition_implILS5_2ELb0ES3_jN6thrust23THRUST_200600_302600_NS6detail15normal_iteratorINSA_7pointerIsNSA_11hip_rocprim3tagENSA_11use_defaultESG_EEEEPS6_NSA_18transform_iteratorI10is_orderedNSA_12zip_iteratorINSA_5tupleINSC_INSA_10device_ptrIsEEEESQ_NSA_9null_typeESR_SR_SR_SR_SR_SR_SR_EEEESG_SG_EENS0_5tupleIJPsSJ_EEENSV_IJSJ_SJ_EEES6_PlJS6_EEE10hipError_tPvRmT3_T4_T5_T6_T7_T9_mT8_P12ihipStream_tbDpT10_ENKUlT_T0_E_clISt17integral_constantIbLb0EES1J_EEDaS1E_S1F_EUlS1E_E_NS1_11comp_targetILNS1_3genE8ELNS1_11target_archE1030ELNS1_3gpuE2ELNS1_3repE0EEENS1_30default_config_static_selectorELNS0_4arch9wavefront6targetE1EEEvT1_, .Lfunc_end3633-_ZN7rocprim17ROCPRIM_400000_NS6detail17trampoline_kernelINS0_14default_configENS1_25partition_config_selectorILNS1_17partition_subalgoE2EsNS0_10empty_typeEbEEZZNS1_14partition_implILS5_2ELb0ES3_jN6thrust23THRUST_200600_302600_NS6detail15normal_iteratorINSA_7pointerIsNSA_11hip_rocprim3tagENSA_11use_defaultESG_EEEEPS6_NSA_18transform_iteratorI10is_orderedNSA_12zip_iteratorINSA_5tupleINSC_INSA_10device_ptrIsEEEESQ_NSA_9null_typeESR_SR_SR_SR_SR_SR_SR_EEEESG_SG_EENS0_5tupleIJPsSJ_EEENSV_IJSJ_SJ_EEES6_PlJS6_EEE10hipError_tPvRmT3_T4_T5_T6_T7_T9_mT8_P12ihipStream_tbDpT10_ENKUlT_T0_E_clISt17integral_constantIbLb0EES1J_EEDaS1E_S1F_EUlS1E_E_NS1_11comp_targetILNS1_3genE8ELNS1_11target_archE1030ELNS1_3gpuE2ELNS1_3repE0EEENS1_30default_config_static_selectorELNS0_4arch9wavefront6targetE1EEEvT1_
                                        ; -- End function
	.section	.AMDGPU.csdata,"",@progbits
; Kernel info:
; codeLenInByte = 0
; NumSgprs: 6
; NumVgprs: 0
; NumAgprs: 0
; TotalNumVgprs: 0
; ScratchSize: 0
; MemoryBound: 0
; FloatMode: 240
; IeeeMode: 1
; LDSByteSize: 0 bytes/workgroup (compile time only)
; SGPRBlocks: 0
; VGPRBlocks: 0
; NumSGPRsForWavesPerEU: 6
; NumVGPRsForWavesPerEU: 1
; AccumOffset: 4
; Occupancy: 8
; WaveLimiterHint : 0
; COMPUTE_PGM_RSRC2:SCRATCH_EN: 0
; COMPUTE_PGM_RSRC2:USER_SGPR: 2
; COMPUTE_PGM_RSRC2:TRAP_HANDLER: 0
; COMPUTE_PGM_RSRC2:TGID_X_EN: 1
; COMPUTE_PGM_RSRC2:TGID_Y_EN: 0
; COMPUTE_PGM_RSRC2:TGID_Z_EN: 0
; COMPUTE_PGM_RSRC2:TIDIG_COMP_CNT: 0
; COMPUTE_PGM_RSRC3_GFX90A:ACCUM_OFFSET: 0
; COMPUTE_PGM_RSRC3_GFX90A:TG_SPLIT: 0
	.section	.text._ZN7rocprim17ROCPRIM_400000_NS6detail17trampoline_kernelINS0_14default_configENS1_25partition_config_selectorILNS1_17partition_subalgoE2EsNS0_10empty_typeEbEEZZNS1_14partition_implILS5_2ELb0ES3_jN6thrust23THRUST_200600_302600_NS6detail15normal_iteratorINSA_7pointerIsNSA_11hip_rocprim3tagENSA_11use_defaultESG_EEEEPS6_NSA_18transform_iteratorI10is_orderedNSA_12zip_iteratorINSA_5tupleINSC_INSA_10device_ptrIsEEEESQ_NSA_9null_typeESR_SR_SR_SR_SR_SR_SR_EEEESG_SG_EENS0_5tupleIJPsSJ_EEENSV_IJSJ_SJ_EEES6_PlJS6_EEE10hipError_tPvRmT3_T4_T5_T6_T7_T9_mT8_P12ihipStream_tbDpT10_ENKUlT_T0_E_clISt17integral_constantIbLb1EES1J_EEDaS1E_S1F_EUlS1E_E_NS1_11comp_targetILNS1_3genE0ELNS1_11target_archE4294967295ELNS1_3gpuE0ELNS1_3repE0EEENS1_30default_config_static_selectorELNS0_4arch9wavefront6targetE1EEEvT1_,"axG",@progbits,_ZN7rocprim17ROCPRIM_400000_NS6detail17trampoline_kernelINS0_14default_configENS1_25partition_config_selectorILNS1_17partition_subalgoE2EsNS0_10empty_typeEbEEZZNS1_14partition_implILS5_2ELb0ES3_jN6thrust23THRUST_200600_302600_NS6detail15normal_iteratorINSA_7pointerIsNSA_11hip_rocprim3tagENSA_11use_defaultESG_EEEEPS6_NSA_18transform_iteratorI10is_orderedNSA_12zip_iteratorINSA_5tupleINSC_INSA_10device_ptrIsEEEESQ_NSA_9null_typeESR_SR_SR_SR_SR_SR_SR_EEEESG_SG_EENS0_5tupleIJPsSJ_EEENSV_IJSJ_SJ_EEES6_PlJS6_EEE10hipError_tPvRmT3_T4_T5_T6_T7_T9_mT8_P12ihipStream_tbDpT10_ENKUlT_T0_E_clISt17integral_constantIbLb1EES1J_EEDaS1E_S1F_EUlS1E_E_NS1_11comp_targetILNS1_3genE0ELNS1_11target_archE4294967295ELNS1_3gpuE0ELNS1_3repE0EEENS1_30default_config_static_selectorELNS0_4arch9wavefront6targetE1EEEvT1_,comdat
	.protected	_ZN7rocprim17ROCPRIM_400000_NS6detail17trampoline_kernelINS0_14default_configENS1_25partition_config_selectorILNS1_17partition_subalgoE2EsNS0_10empty_typeEbEEZZNS1_14partition_implILS5_2ELb0ES3_jN6thrust23THRUST_200600_302600_NS6detail15normal_iteratorINSA_7pointerIsNSA_11hip_rocprim3tagENSA_11use_defaultESG_EEEEPS6_NSA_18transform_iteratorI10is_orderedNSA_12zip_iteratorINSA_5tupleINSC_INSA_10device_ptrIsEEEESQ_NSA_9null_typeESR_SR_SR_SR_SR_SR_SR_EEEESG_SG_EENS0_5tupleIJPsSJ_EEENSV_IJSJ_SJ_EEES6_PlJS6_EEE10hipError_tPvRmT3_T4_T5_T6_T7_T9_mT8_P12ihipStream_tbDpT10_ENKUlT_T0_E_clISt17integral_constantIbLb1EES1J_EEDaS1E_S1F_EUlS1E_E_NS1_11comp_targetILNS1_3genE0ELNS1_11target_archE4294967295ELNS1_3gpuE0ELNS1_3repE0EEENS1_30default_config_static_selectorELNS0_4arch9wavefront6targetE1EEEvT1_ ; -- Begin function _ZN7rocprim17ROCPRIM_400000_NS6detail17trampoline_kernelINS0_14default_configENS1_25partition_config_selectorILNS1_17partition_subalgoE2EsNS0_10empty_typeEbEEZZNS1_14partition_implILS5_2ELb0ES3_jN6thrust23THRUST_200600_302600_NS6detail15normal_iteratorINSA_7pointerIsNSA_11hip_rocprim3tagENSA_11use_defaultESG_EEEEPS6_NSA_18transform_iteratorI10is_orderedNSA_12zip_iteratorINSA_5tupleINSC_INSA_10device_ptrIsEEEESQ_NSA_9null_typeESR_SR_SR_SR_SR_SR_SR_EEEESG_SG_EENS0_5tupleIJPsSJ_EEENSV_IJSJ_SJ_EEES6_PlJS6_EEE10hipError_tPvRmT3_T4_T5_T6_T7_T9_mT8_P12ihipStream_tbDpT10_ENKUlT_T0_E_clISt17integral_constantIbLb1EES1J_EEDaS1E_S1F_EUlS1E_E_NS1_11comp_targetILNS1_3genE0ELNS1_11target_archE4294967295ELNS1_3gpuE0ELNS1_3repE0EEENS1_30default_config_static_selectorELNS0_4arch9wavefront6targetE1EEEvT1_
	.globl	_ZN7rocprim17ROCPRIM_400000_NS6detail17trampoline_kernelINS0_14default_configENS1_25partition_config_selectorILNS1_17partition_subalgoE2EsNS0_10empty_typeEbEEZZNS1_14partition_implILS5_2ELb0ES3_jN6thrust23THRUST_200600_302600_NS6detail15normal_iteratorINSA_7pointerIsNSA_11hip_rocprim3tagENSA_11use_defaultESG_EEEEPS6_NSA_18transform_iteratorI10is_orderedNSA_12zip_iteratorINSA_5tupleINSC_INSA_10device_ptrIsEEEESQ_NSA_9null_typeESR_SR_SR_SR_SR_SR_SR_EEEESG_SG_EENS0_5tupleIJPsSJ_EEENSV_IJSJ_SJ_EEES6_PlJS6_EEE10hipError_tPvRmT3_T4_T5_T6_T7_T9_mT8_P12ihipStream_tbDpT10_ENKUlT_T0_E_clISt17integral_constantIbLb1EES1J_EEDaS1E_S1F_EUlS1E_E_NS1_11comp_targetILNS1_3genE0ELNS1_11target_archE4294967295ELNS1_3gpuE0ELNS1_3repE0EEENS1_30default_config_static_selectorELNS0_4arch9wavefront6targetE1EEEvT1_
	.p2align	8
	.type	_ZN7rocprim17ROCPRIM_400000_NS6detail17trampoline_kernelINS0_14default_configENS1_25partition_config_selectorILNS1_17partition_subalgoE2EsNS0_10empty_typeEbEEZZNS1_14partition_implILS5_2ELb0ES3_jN6thrust23THRUST_200600_302600_NS6detail15normal_iteratorINSA_7pointerIsNSA_11hip_rocprim3tagENSA_11use_defaultESG_EEEEPS6_NSA_18transform_iteratorI10is_orderedNSA_12zip_iteratorINSA_5tupleINSC_INSA_10device_ptrIsEEEESQ_NSA_9null_typeESR_SR_SR_SR_SR_SR_SR_EEEESG_SG_EENS0_5tupleIJPsSJ_EEENSV_IJSJ_SJ_EEES6_PlJS6_EEE10hipError_tPvRmT3_T4_T5_T6_T7_T9_mT8_P12ihipStream_tbDpT10_ENKUlT_T0_E_clISt17integral_constantIbLb1EES1J_EEDaS1E_S1F_EUlS1E_E_NS1_11comp_targetILNS1_3genE0ELNS1_11target_archE4294967295ELNS1_3gpuE0ELNS1_3repE0EEENS1_30default_config_static_selectorELNS0_4arch9wavefront6targetE1EEEvT1_,@function
_ZN7rocprim17ROCPRIM_400000_NS6detail17trampoline_kernelINS0_14default_configENS1_25partition_config_selectorILNS1_17partition_subalgoE2EsNS0_10empty_typeEbEEZZNS1_14partition_implILS5_2ELb0ES3_jN6thrust23THRUST_200600_302600_NS6detail15normal_iteratorINSA_7pointerIsNSA_11hip_rocprim3tagENSA_11use_defaultESG_EEEEPS6_NSA_18transform_iteratorI10is_orderedNSA_12zip_iteratorINSA_5tupleINSC_INSA_10device_ptrIsEEEESQ_NSA_9null_typeESR_SR_SR_SR_SR_SR_SR_EEEESG_SG_EENS0_5tupleIJPsSJ_EEENSV_IJSJ_SJ_EEES6_PlJS6_EEE10hipError_tPvRmT3_T4_T5_T6_T7_T9_mT8_P12ihipStream_tbDpT10_ENKUlT_T0_E_clISt17integral_constantIbLb1EES1J_EEDaS1E_S1F_EUlS1E_E_NS1_11comp_targetILNS1_3genE0ELNS1_11target_archE4294967295ELNS1_3gpuE0ELNS1_3repE0EEENS1_30default_config_static_selectorELNS0_4arch9wavefront6targetE1EEEvT1_: ; @_ZN7rocprim17ROCPRIM_400000_NS6detail17trampoline_kernelINS0_14default_configENS1_25partition_config_selectorILNS1_17partition_subalgoE2EsNS0_10empty_typeEbEEZZNS1_14partition_implILS5_2ELb0ES3_jN6thrust23THRUST_200600_302600_NS6detail15normal_iteratorINSA_7pointerIsNSA_11hip_rocprim3tagENSA_11use_defaultESG_EEEEPS6_NSA_18transform_iteratorI10is_orderedNSA_12zip_iteratorINSA_5tupleINSC_INSA_10device_ptrIsEEEESQ_NSA_9null_typeESR_SR_SR_SR_SR_SR_SR_EEEESG_SG_EENS0_5tupleIJPsSJ_EEENSV_IJSJ_SJ_EEES6_PlJS6_EEE10hipError_tPvRmT3_T4_T5_T6_T7_T9_mT8_P12ihipStream_tbDpT10_ENKUlT_T0_E_clISt17integral_constantIbLb1EES1J_EEDaS1E_S1F_EUlS1E_E_NS1_11comp_targetILNS1_3genE0ELNS1_11target_archE4294967295ELNS1_3gpuE0ELNS1_3repE0EEENS1_30default_config_static_selectorELNS0_4arch9wavefront6targetE1EEEvT1_
; %bb.0:
	.section	.rodata,"a",@progbits
	.p2align	6, 0x0
	.amdhsa_kernel _ZN7rocprim17ROCPRIM_400000_NS6detail17trampoline_kernelINS0_14default_configENS1_25partition_config_selectorILNS1_17partition_subalgoE2EsNS0_10empty_typeEbEEZZNS1_14partition_implILS5_2ELb0ES3_jN6thrust23THRUST_200600_302600_NS6detail15normal_iteratorINSA_7pointerIsNSA_11hip_rocprim3tagENSA_11use_defaultESG_EEEEPS6_NSA_18transform_iteratorI10is_orderedNSA_12zip_iteratorINSA_5tupleINSC_INSA_10device_ptrIsEEEESQ_NSA_9null_typeESR_SR_SR_SR_SR_SR_SR_EEEESG_SG_EENS0_5tupleIJPsSJ_EEENSV_IJSJ_SJ_EEES6_PlJS6_EEE10hipError_tPvRmT3_T4_T5_T6_T7_T9_mT8_P12ihipStream_tbDpT10_ENKUlT_T0_E_clISt17integral_constantIbLb1EES1J_EEDaS1E_S1F_EUlS1E_E_NS1_11comp_targetILNS1_3genE0ELNS1_11target_archE4294967295ELNS1_3gpuE0ELNS1_3repE0EEENS1_30default_config_static_selectorELNS0_4arch9wavefront6targetE1EEEvT1_
		.amdhsa_group_segment_fixed_size 0
		.amdhsa_private_segment_fixed_size 0
		.amdhsa_kernarg_size 152
		.amdhsa_user_sgpr_count 2
		.amdhsa_user_sgpr_dispatch_ptr 0
		.amdhsa_user_sgpr_queue_ptr 0
		.amdhsa_user_sgpr_kernarg_segment_ptr 1
		.amdhsa_user_sgpr_dispatch_id 0
		.amdhsa_user_sgpr_kernarg_preload_length 0
		.amdhsa_user_sgpr_kernarg_preload_offset 0
		.amdhsa_user_sgpr_private_segment_size 0
		.amdhsa_uses_dynamic_stack 0
		.amdhsa_enable_private_segment 0
		.amdhsa_system_sgpr_workgroup_id_x 1
		.amdhsa_system_sgpr_workgroup_id_y 0
		.amdhsa_system_sgpr_workgroup_id_z 0
		.amdhsa_system_sgpr_workgroup_info 0
		.amdhsa_system_vgpr_workitem_id 0
		.amdhsa_next_free_vgpr 1
		.amdhsa_next_free_sgpr 0
		.amdhsa_accum_offset 4
		.amdhsa_reserve_vcc 0
		.amdhsa_float_round_mode_32 0
		.amdhsa_float_round_mode_16_64 0
		.amdhsa_float_denorm_mode_32 3
		.amdhsa_float_denorm_mode_16_64 3
		.amdhsa_dx10_clamp 1
		.amdhsa_ieee_mode 1
		.amdhsa_fp16_overflow 0
		.amdhsa_tg_split 0
		.amdhsa_exception_fp_ieee_invalid_op 0
		.amdhsa_exception_fp_denorm_src 0
		.amdhsa_exception_fp_ieee_div_zero 0
		.amdhsa_exception_fp_ieee_overflow 0
		.amdhsa_exception_fp_ieee_underflow 0
		.amdhsa_exception_fp_ieee_inexact 0
		.amdhsa_exception_int_div_zero 0
	.end_amdhsa_kernel
	.section	.text._ZN7rocprim17ROCPRIM_400000_NS6detail17trampoline_kernelINS0_14default_configENS1_25partition_config_selectorILNS1_17partition_subalgoE2EsNS0_10empty_typeEbEEZZNS1_14partition_implILS5_2ELb0ES3_jN6thrust23THRUST_200600_302600_NS6detail15normal_iteratorINSA_7pointerIsNSA_11hip_rocprim3tagENSA_11use_defaultESG_EEEEPS6_NSA_18transform_iteratorI10is_orderedNSA_12zip_iteratorINSA_5tupleINSC_INSA_10device_ptrIsEEEESQ_NSA_9null_typeESR_SR_SR_SR_SR_SR_SR_EEEESG_SG_EENS0_5tupleIJPsSJ_EEENSV_IJSJ_SJ_EEES6_PlJS6_EEE10hipError_tPvRmT3_T4_T5_T6_T7_T9_mT8_P12ihipStream_tbDpT10_ENKUlT_T0_E_clISt17integral_constantIbLb1EES1J_EEDaS1E_S1F_EUlS1E_E_NS1_11comp_targetILNS1_3genE0ELNS1_11target_archE4294967295ELNS1_3gpuE0ELNS1_3repE0EEENS1_30default_config_static_selectorELNS0_4arch9wavefront6targetE1EEEvT1_,"axG",@progbits,_ZN7rocprim17ROCPRIM_400000_NS6detail17trampoline_kernelINS0_14default_configENS1_25partition_config_selectorILNS1_17partition_subalgoE2EsNS0_10empty_typeEbEEZZNS1_14partition_implILS5_2ELb0ES3_jN6thrust23THRUST_200600_302600_NS6detail15normal_iteratorINSA_7pointerIsNSA_11hip_rocprim3tagENSA_11use_defaultESG_EEEEPS6_NSA_18transform_iteratorI10is_orderedNSA_12zip_iteratorINSA_5tupleINSC_INSA_10device_ptrIsEEEESQ_NSA_9null_typeESR_SR_SR_SR_SR_SR_SR_EEEESG_SG_EENS0_5tupleIJPsSJ_EEENSV_IJSJ_SJ_EEES6_PlJS6_EEE10hipError_tPvRmT3_T4_T5_T6_T7_T9_mT8_P12ihipStream_tbDpT10_ENKUlT_T0_E_clISt17integral_constantIbLb1EES1J_EEDaS1E_S1F_EUlS1E_E_NS1_11comp_targetILNS1_3genE0ELNS1_11target_archE4294967295ELNS1_3gpuE0ELNS1_3repE0EEENS1_30default_config_static_selectorELNS0_4arch9wavefront6targetE1EEEvT1_,comdat
.Lfunc_end3634:
	.size	_ZN7rocprim17ROCPRIM_400000_NS6detail17trampoline_kernelINS0_14default_configENS1_25partition_config_selectorILNS1_17partition_subalgoE2EsNS0_10empty_typeEbEEZZNS1_14partition_implILS5_2ELb0ES3_jN6thrust23THRUST_200600_302600_NS6detail15normal_iteratorINSA_7pointerIsNSA_11hip_rocprim3tagENSA_11use_defaultESG_EEEEPS6_NSA_18transform_iteratorI10is_orderedNSA_12zip_iteratorINSA_5tupleINSC_INSA_10device_ptrIsEEEESQ_NSA_9null_typeESR_SR_SR_SR_SR_SR_SR_EEEESG_SG_EENS0_5tupleIJPsSJ_EEENSV_IJSJ_SJ_EEES6_PlJS6_EEE10hipError_tPvRmT3_T4_T5_T6_T7_T9_mT8_P12ihipStream_tbDpT10_ENKUlT_T0_E_clISt17integral_constantIbLb1EES1J_EEDaS1E_S1F_EUlS1E_E_NS1_11comp_targetILNS1_3genE0ELNS1_11target_archE4294967295ELNS1_3gpuE0ELNS1_3repE0EEENS1_30default_config_static_selectorELNS0_4arch9wavefront6targetE1EEEvT1_, .Lfunc_end3634-_ZN7rocprim17ROCPRIM_400000_NS6detail17trampoline_kernelINS0_14default_configENS1_25partition_config_selectorILNS1_17partition_subalgoE2EsNS0_10empty_typeEbEEZZNS1_14partition_implILS5_2ELb0ES3_jN6thrust23THRUST_200600_302600_NS6detail15normal_iteratorINSA_7pointerIsNSA_11hip_rocprim3tagENSA_11use_defaultESG_EEEEPS6_NSA_18transform_iteratorI10is_orderedNSA_12zip_iteratorINSA_5tupleINSC_INSA_10device_ptrIsEEEESQ_NSA_9null_typeESR_SR_SR_SR_SR_SR_SR_EEEESG_SG_EENS0_5tupleIJPsSJ_EEENSV_IJSJ_SJ_EEES6_PlJS6_EEE10hipError_tPvRmT3_T4_T5_T6_T7_T9_mT8_P12ihipStream_tbDpT10_ENKUlT_T0_E_clISt17integral_constantIbLb1EES1J_EEDaS1E_S1F_EUlS1E_E_NS1_11comp_targetILNS1_3genE0ELNS1_11target_archE4294967295ELNS1_3gpuE0ELNS1_3repE0EEENS1_30default_config_static_selectorELNS0_4arch9wavefront6targetE1EEEvT1_
                                        ; -- End function
	.section	.AMDGPU.csdata,"",@progbits
; Kernel info:
; codeLenInByte = 0
; NumSgprs: 6
; NumVgprs: 0
; NumAgprs: 0
; TotalNumVgprs: 0
; ScratchSize: 0
; MemoryBound: 0
; FloatMode: 240
; IeeeMode: 1
; LDSByteSize: 0 bytes/workgroup (compile time only)
; SGPRBlocks: 0
; VGPRBlocks: 0
; NumSGPRsForWavesPerEU: 6
; NumVGPRsForWavesPerEU: 1
; AccumOffset: 4
; Occupancy: 8
; WaveLimiterHint : 0
; COMPUTE_PGM_RSRC2:SCRATCH_EN: 0
; COMPUTE_PGM_RSRC2:USER_SGPR: 2
; COMPUTE_PGM_RSRC2:TRAP_HANDLER: 0
; COMPUTE_PGM_RSRC2:TGID_X_EN: 1
; COMPUTE_PGM_RSRC2:TGID_Y_EN: 0
; COMPUTE_PGM_RSRC2:TGID_Z_EN: 0
; COMPUTE_PGM_RSRC2:TIDIG_COMP_CNT: 0
; COMPUTE_PGM_RSRC3_GFX90A:ACCUM_OFFSET: 0
; COMPUTE_PGM_RSRC3_GFX90A:TG_SPLIT: 0
	.section	.text._ZN7rocprim17ROCPRIM_400000_NS6detail17trampoline_kernelINS0_14default_configENS1_25partition_config_selectorILNS1_17partition_subalgoE2EsNS0_10empty_typeEbEEZZNS1_14partition_implILS5_2ELb0ES3_jN6thrust23THRUST_200600_302600_NS6detail15normal_iteratorINSA_7pointerIsNSA_11hip_rocprim3tagENSA_11use_defaultESG_EEEEPS6_NSA_18transform_iteratorI10is_orderedNSA_12zip_iteratorINSA_5tupleINSC_INSA_10device_ptrIsEEEESQ_NSA_9null_typeESR_SR_SR_SR_SR_SR_SR_EEEESG_SG_EENS0_5tupleIJPsSJ_EEENSV_IJSJ_SJ_EEES6_PlJS6_EEE10hipError_tPvRmT3_T4_T5_T6_T7_T9_mT8_P12ihipStream_tbDpT10_ENKUlT_T0_E_clISt17integral_constantIbLb1EES1J_EEDaS1E_S1F_EUlS1E_E_NS1_11comp_targetILNS1_3genE5ELNS1_11target_archE942ELNS1_3gpuE9ELNS1_3repE0EEENS1_30default_config_static_selectorELNS0_4arch9wavefront6targetE1EEEvT1_,"axG",@progbits,_ZN7rocprim17ROCPRIM_400000_NS6detail17trampoline_kernelINS0_14default_configENS1_25partition_config_selectorILNS1_17partition_subalgoE2EsNS0_10empty_typeEbEEZZNS1_14partition_implILS5_2ELb0ES3_jN6thrust23THRUST_200600_302600_NS6detail15normal_iteratorINSA_7pointerIsNSA_11hip_rocprim3tagENSA_11use_defaultESG_EEEEPS6_NSA_18transform_iteratorI10is_orderedNSA_12zip_iteratorINSA_5tupleINSC_INSA_10device_ptrIsEEEESQ_NSA_9null_typeESR_SR_SR_SR_SR_SR_SR_EEEESG_SG_EENS0_5tupleIJPsSJ_EEENSV_IJSJ_SJ_EEES6_PlJS6_EEE10hipError_tPvRmT3_T4_T5_T6_T7_T9_mT8_P12ihipStream_tbDpT10_ENKUlT_T0_E_clISt17integral_constantIbLb1EES1J_EEDaS1E_S1F_EUlS1E_E_NS1_11comp_targetILNS1_3genE5ELNS1_11target_archE942ELNS1_3gpuE9ELNS1_3repE0EEENS1_30default_config_static_selectorELNS0_4arch9wavefront6targetE1EEEvT1_,comdat
	.protected	_ZN7rocprim17ROCPRIM_400000_NS6detail17trampoline_kernelINS0_14default_configENS1_25partition_config_selectorILNS1_17partition_subalgoE2EsNS0_10empty_typeEbEEZZNS1_14partition_implILS5_2ELb0ES3_jN6thrust23THRUST_200600_302600_NS6detail15normal_iteratorINSA_7pointerIsNSA_11hip_rocprim3tagENSA_11use_defaultESG_EEEEPS6_NSA_18transform_iteratorI10is_orderedNSA_12zip_iteratorINSA_5tupleINSC_INSA_10device_ptrIsEEEESQ_NSA_9null_typeESR_SR_SR_SR_SR_SR_SR_EEEESG_SG_EENS0_5tupleIJPsSJ_EEENSV_IJSJ_SJ_EEES6_PlJS6_EEE10hipError_tPvRmT3_T4_T5_T6_T7_T9_mT8_P12ihipStream_tbDpT10_ENKUlT_T0_E_clISt17integral_constantIbLb1EES1J_EEDaS1E_S1F_EUlS1E_E_NS1_11comp_targetILNS1_3genE5ELNS1_11target_archE942ELNS1_3gpuE9ELNS1_3repE0EEENS1_30default_config_static_selectorELNS0_4arch9wavefront6targetE1EEEvT1_ ; -- Begin function _ZN7rocprim17ROCPRIM_400000_NS6detail17trampoline_kernelINS0_14default_configENS1_25partition_config_selectorILNS1_17partition_subalgoE2EsNS0_10empty_typeEbEEZZNS1_14partition_implILS5_2ELb0ES3_jN6thrust23THRUST_200600_302600_NS6detail15normal_iteratorINSA_7pointerIsNSA_11hip_rocprim3tagENSA_11use_defaultESG_EEEEPS6_NSA_18transform_iteratorI10is_orderedNSA_12zip_iteratorINSA_5tupleINSC_INSA_10device_ptrIsEEEESQ_NSA_9null_typeESR_SR_SR_SR_SR_SR_SR_EEEESG_SG_EENS0_5tupleIJPsSJ_EEENSV_IJSJ_SJ_EEES6_PlJS6_EEE10hipError_tPvRmT3_T4_T5_T6_T7_T9_mT8_P12ihipStream_tbDpT10_ENKUlT_T0_E_clISt17integral_constantIbLb1EES1J_EEDaS1E_S1F_EUlS1E_E_NS1_11comp_targetILNS1_3genE5ELNS1_11target_archE942ELNS1_3gpuE9ELNS1_3repE0EEENS1_30default_config_static_selectorELNS0_4arch9wavefront6targetE1EEEvT1_
	.globl	_ZN7rocprim17ROCPRIM_400000_NS6detail17trampoline_kernelINS0_14default_configENS1_25partition_config_selectorILNS1_17partition_subalgoE2EsNS0_10empty_typeEbEEZZNS1_14partition_implILS5_2ELb0ES3_jN6thrust23THRUST_200600_302600_NS6detail15normal_iteratorINSA_7pointerIsNSA_11hip_rocprim3tagENSA_11use_defaultESG_EEEEPS6_NSA_18transform_iteratorI10is_orderedNSA_12zip_iteratorINSA_5tupleINSC_INSA_10device_ptrIsEEEESQ_NSA_9null_typeESR_SR_SR_SR_SR_SR_SR_EEEESG_SG_EENS0_5tupleIJPsSJ_EEENSV_IJSJ_SJ_EEES6_PlJS6_EEE10hipError_tPvRmT3_T4_T5_T6_T7_T9_mT8_P12ihipStream_tbDpT10_ENKUlT_T0_E_clISt17integral_constantIbLb1EES1J_EEDaS1E_S1F_EUlS1E_E_NS1_11comp_targetILNS1_3genE5ELNS1_11target_archE942ELNS1_3gpuE9ELNS1_3repE0EEENS1_30default_config_static_selectorELNS0_4arch9wavefront6targetE1EEEvT1_
	.p2align	8
	.type	_ZN7rocprim17ROCPRIM_400000_NS6detail17trampoline_kernelINS0_14default_configENS1_25partition_config_selectorILNS1_17partition_subalgoE2EsNS0_10empty_typeEbEEZZNS1_14partition_implILS5_2ELb0ES3_jN6thrust23THRUST_200600_302600_NS6detail15normal_iteratorINSA_7pointerIsNSA_11hip_rocprim3tagENSA_11use_defaultESG_EEEEPS6_NSA_18transform_iteratorI10is_orderedNSA_12zip_iteratorINSA_5tupleINSC_INSA_10device_ptrIsEEEESQ_NSA_9null_typeESR_SR_SR_SR_SR_SR_SR_EEEESG_SG_EENS0_5tupleIJPsSJ_EEENSV_IJSJ_SJ_EEES6_PlJS6_EEE10hipError_tPvRmT3_T4_T5_T6_T7_T9_mT8_P12ihipStream_tbDpT10_ENKUlT_T0_E_clISt17integral_constantIbLb1EES1J_EEDaS1E_S1F_EUlS1E_E_NS1_11comp_targetILNS1_3genE5ELNS1_11target_archE942ELNS1_3gpuE9ELNS1_3repE0EEENS1_30default_config_static_selectorELNS0_4arch9wavefront6targetE1EEEvT1_,@function
_ZN7rocprim17ROCPRIM_400000_NS6detail17trampoline_kernelINS0_14default_configENS1_25partition_config_selectorILNS1_17partition_subalgoE2EsNS0_10empty_typeEbEEZZNS1_14partition_implILS5_2ELb0ES3_jN6thrust23THRUST_200600_302600_NS6detail15normal_iteratorINSA_7pointerIsNSA_11hip_rocprim3tagENSA_11use_defaultESG_EEEEPS6_NSA_18transform_iteratorI10is_orderedNSA_12zip_iteratorINSA_5tupleINSC_INSA_10device_ptrIsEEEESQ_NSA_9null_typeESR_SR_SR_SR_SR_SR_SR_EEEESG_SG_EENS0_5tupleIJPsSJ_EEENSV_IJSJ_SJ_EEES6_PlJS6_EEE10hipError_tPvRmT3_T4_T5_T6_T7_T9_mT8_P12ihipStream_tbDpT10_ENKUlT_T0_E_clISt17integral_constantIbLb1EES1J_EEDaS1E_S1F_EUlS1E_E_NS1_11comp_targetILNS1_3genE5ELNS1_11target_archE942ELNS1_3gpuE9ELNS1_3repE0EEENS1_30default_config_static_selectorELNS0_4arch9wavefront6targetE1EEEvT1_: ; @_ZN7rocprim17ROCPRIM_400000_NS6detail17trampoline_kernelINS0_14default_configENS1_25partition_config_selectorILNS1_17partition_subalgoE2EsNS0_10empty_typeEbEEZZNS1_14partition_implILS5_2ELb0ES3_jN6thrust23THRUST_200600_302600_NS6detail15normal_iteratorINSA_7pointerIsNSA_11hip_rocprim3tagENSA_11use_defaultESG_EEEEPS6_NSA_18transform_iteratorI10is_orderedNSA_12zip_iteratorINSA_5tupleINSC_INSA_10device_ptrIsEEEESQ_NSA_9null_typeESR_SR_SR_SR_SR_SR_SR_EEEESG_SG_EENS0_5tupleIJPsSJ_EEENSV_IJSJ_SJ_EEES6_PlJS6_EEE10hipError_tPvRmT3_T4_T5_T6_T7_T9_mT8_P12ihipStream_tbDpT10_ENKUlT_T0_E_clISt17integral_constantIbLb1EES1J_EEDaS1E_S1F_EUlS1E_E_NS1_11comp_targetILNS1_3genE5ELNS1_11target_archE942ELNS1_3gpuE9ELNS1_3repE0EEENS1_30default_config_static_selectorELNS0_4arch9wavefront6targetE1EEEvT1_
; %bb.0:
	s_load_dwordx2 s[28:29], s[0:1], 0x38
	s_load_dwordx4 s[20:23], s[0:1], 0x58
	s_load_dwordx2 s[30:31], s[0:1], 0x68
	s_load_dwordx2 s[36:37], s[0:1], 0x78
	v_cmp_eq_u32_e64 s[18:19], 0, v0
	s_and_saveexec_b64 s[2:3], s[18:19]
	s_cbranch_execz .LBB3635_4
; %bb.1:
	s_mov_b64 s[6:7], exec
	v_mbcnt_lo_u32_b32 v1, s6, 0
	v_mbcnt_hi_u32_b32 v1, s7, v1
	v_cmp_eq_u32_e32 vcc, 0, v1
                                        ; implicit-def: $vgpr2
	s_and_saveexec_b64 s[4:5], vcc
	s_cbranch_execz .LBB3635_3
; %bb.2:
	s_load_dwordx2 s[8:9], s[0:1], 0x88
	s_bcnt1_i32_b64 s6, s[6:7]
	v_mov_b32_e32 v2, 0
	v_mov_b32_e32 v3, s6
	s_waitcnt lgkmcnt(0)
	global_atomic_add v2, v2, v3, s[8:9] sc0
.LBB3635_3:
	s_or_b64 exec, exec, s[4:5]
	s_waitcnt vmcnt(0)
	v_readfirstlane_b32 s4, v2
	v_mov_b32_e32 v2, 0
	s_nop 0
	v_add_u32_e32 v1, s4, v1
	ds_write_b32 v2, v1
.LBB3635_4:
	s_or_b64 exec, exec, s[2:3]
	v_mov_b32_e32 v13, 0
	s_load_dwordx4 s[24:27], s[0:1], 0x8
	s_load_dwordx4 s[4:7], s[0:1], 0x20
	s_load_dword s8, s[0:1], 0x80
	s_waitcnt lgkmcnt(0)
	s_barrier
	ds_read_b32 v1, v13
	s_waitcnt lgkmcnt(0)
	s_barrier
	global_load_dwordx2 v[14:15], v13, s[22:23]
	s_lshl_b64 s[2:3], s[26:27], 1
	s_add_u32 s10, s24, s2
	s_mul_i32 s0, s8, 0x3c00
	s_addc_u32 s11, s25, s3
	s_add_i32 s1, s0, s26
	s_sub_i32 s33, s30, s1
	s_add_i32 s9, s8, -1
	s_addk_i32 s33, 0x3c00
	s_add_u32 s0, s26, s0
	v_readfirstlane_b32 s42, v1
	s_addc_u32 s1, s27, 0
	s_cmp_eq_u32 s42, s9
	v_mov_b64_e32 v[2:3], s[30:31]
	s_cselect_b64 s[22:23], -1, 0
	s_cmp_lg_u32 s42, s9
	s_mul_i32 s24, s42, 0x3c00
	s_mov_b32 s25, 0
	v_cmp_lt_u64_e32 vcc, s[0:1], v[2:3]
	s_cselect_b64 s[0:1], -1, 0
	s_or_b64 s[34:35], vcc, s[0:1]
	s_lshl_b64 s[8:9], s[24:25], 1
	s_add_u32 s10, s10, s8
	s_addc_u32 s11, s11, s9
	s_mov_b64 s[0:1], -1
	s_and_b64 vcc, exec, s[34:35]
	v_lshlrev_b32_e32 v12, 1, v0
	s_cbranch_vccz .LBB3635_6
; %bb.5:
	v_lshl_add_u64 v[2:3], s[10:11], 0, v[12:13]
	v_add_co_u32_e32 v4, vcc, 0x1000, v2
	s_mov_b64 s[0:1], 0
	s_nop 0
	v_addc_co_u32_e32 v5, vcc, 0, v3, vcc
	flat_load_ushort v1, v[2:3]
	flat_load_ushort v8, v[2:3] offset:1024
	flat_load_ushort v9, v[2:3] offset:2048
	flat_load_ushort v10, v[2:3] offset:3072
	flat_load_ushort v11, v[4:5]
	flat_load_ushort v13, v[4:5] offset:1024
	flat_load_ushort v16, v[4:5] offset:2048
	flat_load_ushort v17, v[4:5] offset:3072
	v_add_co_u32_e32 v4, vcc, 0x2000, v2
	s_nop 1
	v_addc_co_u32_e32 v5, vcc, 0, v3, vcc
	v_add_co_u32_e32 v6, vcc, 0x3000, v2
	s_nop 1
	v_addc_co_u32_e32 v7, vcc, 0, v3, vcc
	flat_load_ushort v18, v[4:5]
	flat_load_ushort v19, v[4:5] offset:1024
	flat_load_ushort v20, v[4:5] offset:2048
	flat_load_ushort v21, v[4:5] offset:3072
	flat_load_ushort v22, v[6:7]
	flat_load_ushort v23, v[6:7] offset:1024
	flat_load_ushort v24, v[6:7] offset:2048
	flat_load_ushort v25, v[6:7] offset:3072
	v_add_co_u32_e32 v4, vcc, 0x4000, v2
	s_nop 1
	v_addc_co_u32_e32 v5, vcc, 0, v3, vcc
	v_add_co_u32_e32 v6, vcc, 0x5000, v2
	;; [unrolled: 14-line block ×3, first 2 shown]
	s_nop 1
	v_addc_co_u32_e32 v3, vcc, 0, v3, vcc
	flat_load_ushort v6, v[4:5]
	flat_load_ushort v7, v[4:5] offset:1024
	flat_load_ushort v34, v[4:5] offset:2048
	;; [unrolled: 1-line block ×3, first 2 shown]
	flat_load_ushort v36, v[2:3]
	flat_load_ushort v37, v[2:3] offset:1024
	s_waitcnt vmcnt(0) lgkmcnt(0)
	ds_write_b16 v12, v1
	ds_write_b16 v12, v8 offset:1024
	ds_write_b16 v12, v9 offset:2048
	;; [unrolled: 1-line block ×29, first 2 shown]
	s_waitcnt lgkmcnt(0)
	s_barrier
.LBB3635_6:
	s_andn2_b64 vcc, exec, s[0:1]
	v_cmp_gt_u32_e64 s[0:1], s33, v0
	s_cbranch_vccnz .LBB3635_68
; %bb.7:
                                        ; implicit-def: $vgpr1
	s_and_saveexec_b64 s[12:13], s[0:1]
	s_cbranch_execz .LBB3635_9
; %bb.8:
	v_mov_b32_e32 v13, 0
	v_lshl_add_u64 v[2:3], s[10:11], 0, v[12:13]
	flat_load_ushort v1, v[2:3]
.LBB3635_9:
	s_or_b64 exec, exec, s[12:13]
	v_or_b32_e32 v2, 0x200, v0
	v_cmp_gt_u32_e32 vcc, s33, v2
                                        ; implicit-def: $vgpr2
	s_and_saveexec_b64 s[0:1], vcc
	s_cbranch_execz .LBB3635_11
; %bb.10:
	v_mov_b32_e32 v13, 0
	v_lshl_add_u64 v[2:3], s[10:11], 0, v[12:13]
	flat_load_ushort v2, v[2:3] offset:1024
.LBB3635_11:
	s_or_b64 exec, exec, s[0:1]
	v_or_b32_e32 v3, 0x400, v0
	v_cmp_gt_u32_e32 vcc, s33, v3
                                        ; implicit-def: $vgpr3
	s_and_saveexec_b64 s[0:1], vcc
	s_cbranch_execz .LBB3635_13
; %bb.12:
	v_mov_b32_e32 v13, 0
	v_lshl_add_u64 v[4:5], s[10:11], 0, v[12:13]
	flat_load_ushort v3, v[4:5] offset:2048
.LBB3635_13:
	s_or_b64 exec, exec, s[0:1]
	v_or_b32_e32 v4, 0x600, v0
	v_cmp_gt_u32_e32 vcc, s33, v4
                                        ; implicit-def: $vgpr4
	s_and_saveexec_b64 s[0:1], vcc
	s_cbranch_execz .LBB3635_15
; %bb.14:
	v_mov_b32_e32 v13, 0
	v_lshl_add_u64 v[4:5], s[10:11], 0, v[12:13]
	flat_load_ushort v4, v[4:5] offset:3072
.LBB3635_15:
	s_or_b64 exec, exec, s[0:1]
	v_or_b32_e32 v6, 0x800, v0
	v_cmp_gt_u32_e32 vcc, s33, v6
                                        ; implicit-def: $vgpr5
	s_and_saveexec_b64 s[0:1], vcc
	s_cbranch_execz .LBB3635_17
; %bb.16:
	v_lshlrev_b32_e32 v6, 1, v6
	v_mov_b32_e32 v7, 0
	v_lshl_add_u64 v[6:7], s[10:11], 0, v[6:7]
	flat_load_ushort v5, v[6:7]
.LBB3635_17:
	s_or_b64 exec, exec, s[0:1]
	v_or_b32_e32 v7, 0xa00, v0
	v_cmp_gt_u32_e32 vcc, s33, v7
                                        ; implicit-def: $vgpr6
	s_and_saveexec_b64 s[0:1], vcc
	s_cbranch_execz .LBB3635_19
; %bb.18:
	v_lshlrev_b32_e32 v6, 1, v7
	v_mov_b32_e32 v7, 0
	v_lshl_add_u64 v[6:7], s[10:11], 0, v[6:7]
	flat_load_ushort v6, v[6:7]
.LBB3635_19:
	s_or_b64 exec, exec, s[0:1]
	v_or_b32_e32 v8, 0xc00, v0
	v_cmp_gt_u32_e32 vcc, s33, v8
                                        ; implicit-def: $vgpr7
	s_and_saveexec_b64 s[0:1], vcc
	s_cbranch_execz .LBB3635_21
; %bb.20:
	v_lshlrev_b32_e32 v8, 1, v8
	v_mov_b32_e32 v9, 0
	v_lshl_add_u64 v[8:9], s[10:11], 0, v[8:9]
	flat_load_ushort v7, v[8:9]
.LBB3635_21:
	s_or_b64 exec, exec, s[0:1]
	v_or_b32_e32 v9, 0xe00, v0
	v_cmp_gt_u32_e32 vcc, s33, v9
                                        ; implicit-def: $vgpr8
	s_and_saveexec_b64 s[0:1], vcc
	s_cbranch_execz .LBB3635_23
; %bb.22:
	v_lshlrev_b32_e32 v8, 1, v9
	v_mov_b32_e32 v9, 0
	v_lshl_add_u64 v[8:9], s[10:11], 0, v[8:9]
	flat_load_ushort v8, v[8:9]
.LBB3635_23:
	s_or_b64 exec, exec, s[0:1]
	v_or_b32_e32 v10, 0x1000, v0
	v_cmp_gt_u32_e32 vcc, s33, v10
                                        ; implicit-def: $vgpr9
	s_and_saveexec_b64 s[0:1], vcc
	s_cbranch_execz .LBB3635_25
; %bb.24:
	v_lshlrev_b32_e32 v10, 1, v10
	v_mov_b32_e32 v11, 0
	v_lshl_add_u64 v[10:11], s[10:11], 0, v[10:11]
	flat_load_ushort v9, v[10:11]
.LBB3635_25:
	s_or_b64 exec, exec, s[0:1]
	v_or_b32_e32 v11, 0x1200, v0
	v_cmp_gt_u32_e32 vcc, s33, v11
                                        ; implicit-def: $vgpr10
	s_and_saveexec_b64 s[0:1], vcc
	s_cbranch_execz .LBB3635_27
; %bb.26:
	v_lshlrev_b32_e32 v10, 1, v11
	v_mov_b32_e32 v11, 0
	v_lshl_add_u64 v[10:11], s[10:11], 0, v[10:11]
	flat_load_ushort v10, v[10:11]
.LBB3635_27:
	s_or_b64 exec, exec, s[0:1]
	v_or_b32_e32 v13, 0x1400, v0
	v_cmp_gt_u32_e32 vcc, s33, v13
                                        ; implicit-def: $vgpr11
	s_and_saveexec_b64 s[0:1], vcc
	s_cbranch_execz .LBB3635_29
; %bb.28:
	v_lshlrev_b32_e32 v16, 1, v13
	v_mov_b32_e32 v17, 0
	v_lshl_add_u64 v[16:17], s[10:11], 0, v[16:17]
	flat_load_ushort v11, v[16:17]
.LBB3635_29:
	s_or_b64 exec, exec, s[0:1]
	v_or_b32_e32 v16, 0x1600, v0
	v_cmp_gt_u32_e32 vcc, s33, v16
                                        ; implicit-def: $vgpr13
	s_and_saveexec_b64 s[0:1], vcc
	s_cbranch_execz .LBB3635_31
; %bb.30:
	v_lshlrev_b32_e32 v16, 1, v16
	v_mov_b32_e32 v17, 0
	v_lshl_add_u64 v[16:17], s[10:11], 0, v[16:17]
	flat_load_ushort v13, v[16:17]
.LBB3635_31:
	s_or_b64 exec, exec, s[0:1]
	v_or_b32_e32 v17, 0x1800, v0
	v_cmp_gt_u32_e32 vcc, s33, v17
                                        ; implicit-def: $vgpr16
	s_and_saveexec_b64 s[0:1], vcc
	s_cbranch_execz .LBB3635_33
; %bb.32:
	v_lshlrev_b32_e32 v16, 1, v17
	v_mov_b32_e32 v17, 0
	v_lshl_add_u64 v[16:17], s[10:11], 0, v[16:17]
	flat_load_ushort v16, v[16:17]
.LBB3635_33:
	s_or_b64 exec, exec, s[0:1]
	v_or_b32_e32 v18, 0x1a00, v0
	v_cmp_gt_u32_e32 vcc, s33, v18
                                        ; implicit-def: $vgpr17
	s_and_saveexec_b64 s[0:1], vcc
	s_cbranch_execz .LBB3635_35
; %bb.34:
	v_lshlrev_b32_e32 v18, 1, v18
	v_mov_b32_e32 v19, 0
	v_lshl_add_u64 v[18:19], s[10:11], 0, v[18:19]
	flat_load_ushort v17, v[18:19]
.LBB3635_35:
	s_or_b64 exec, exec, s[0:1]
	v_or_b32_e32 v19, 0x1c00, v0
	v_cmp_gt_u32_e32 vcc, s33, v19
                                        ; implicit-def: $vgpr18
	s_and_saveexec_b64 s[0:1], vcc
	s_cbranch_execz .LBB3635_37
; %bb.36:
	v_lshlrev_b32_e32 v18, 1, v19
	v_mov_b32_e32 v19, 0
	v_lshl_add_u64 v[18:19], s[10:11], 0, v[18:19]
	flat_load_ushort v18, v[18:19]
.LBB3635_37:
	s_or_b64 exec, exec, s[0:1]
	v_or_b32_e32 v20, 0x1e00, v0
	v_cmp_gt_u32_e32 vcc, s33, v20
                                        ; implicit-def: $vgpr19
	s_and_saveexec_b64 s[0:1], vcc
	s_cbranch_execz .LBB3635_39
; %bb.38:
	v_lshlrev_b32_e32 v20, 1, v20
	v_mov_b32_e32 v21, 0
	v_lshl_add_u64 v[20:21], s[10:11], 0, v[20:21]
	flat_load_ushort v19, v[20:21]
.LBB3635_39:
	s_or_b64 exec, exec, s[0:1]
	v_or_b32_e32 v21, 0x2000, v0
	v_cmp_gt_u32_e32 vcc, s33, v21
                                        ; implicit-def: $vgpr20
	s_and_saveexec_b64 s[0:1], vcc
	s_cbranch_execz .LBB3635_41
; %bb.40:
	v_lshlrev_b32_e32 v20, 1, v21
	v_mov_b32_e32 v21, 0
	v_lshl_add_u64 v[20:21], s[10:11], 0, v[20:21]
	flat_load_ushort v20, v[20:21]
.LBB3635_41:
	s_or_b64 exec, exec, s[0:1]
	v_or_b32_e32 v22, 0x2200, v0
	v_cmp_gt_u32_e32 vcc, s33, v22
                                        ; implicit-def: $vgpr21
	s_and_saveexec_b64 s[0:1], vcc
	s_cbranch_execz .LBB3635_43
; %bb.42:
	v_lshlrev_b32_e32 v22, 1, v22
	v_mov_b32_e32 v23, 0
	v_lshl_add_u64 v[22:23], s[10:11], 0, v[22:23]
	flat_load_ushort v21, v[22:23]
.LBB3635_43:
	s_or_b64 exec, exec, s[0:1]
	v_or_b32_e32 v23, 0x2400, v0
	v_cmp_gt_u32_e32 vcc, s33, v23
                                        ; implicit-def: $vgpr22
	s_and_saveexec_b64 s[0:1], vcc
	s_cbranch_execz .LBB3635_45
; %bb.44:
	v_lshlrev_b32_e32 v22, 1, v23
	v_mov_b32_e32 v23, 0
	v_lshl_add_u64 v[22:23], s[10:11], 0, v[22:23]
	flat_load_ushort v22, v[22:23]
.LBB3635_45:
	s_or_b64 exec, exec, s[0:1]
	v_or_b32_e32 v24, 0x2600, v0
	v_cmp_gt_u32_e32 vcc, s33, v24
                                        ; implicit-def: $vgpr23
	s_and_saveexec_b64 s[0:1], vcc
	s_cbranch_execz .LBB3635_47
; %bb.46:
	v_lshlrev_b32_e32 v24, 1, v24
	v_mov_b32_e32 v25, 0
	v_lshl_add_u64 v[24:25], s[10:11], 0, v[24:25]
	flat_load_ushort v23, v[24:25]
.LBB3635_47:
	s_or_b64 exec, exec, s[0:1]
	v_or_b32_e32 v25, 0x2800, v0
	v_cmp_gt_u32_e32 vcc, s33, v25
                                        ; implicit-def: $vgpr24
	s_and_saveexec_b64 s[0:1], vcc
	s_cbranch_execz .LBB3635_49
; %bb.48:
	v_lshlrev_b32_e32 v24, 1, v25
	v_mov_b32_e32 v25, 0
	v_lshl_add_u64 v[24:25], s[10:11], 0, v[24:25]
	flat_load_ushort v24, v[24:25]
.LBB3635_49:
	s_or_b64 exec, exec, s[0:1]
	v_or_b32_e32 v26, 0x2a00, v0
	v_cmp_gt_u32_e32 vcc, s33, v26
                                        ; implicit-def: $vgpr25
	s_and_saveexec_b64 s[0:1], vcc
	s_cbranch_execz .LBB3635_51
; %bb.50:
	v_lshlrev_b32_e32 v26, 1, v26
	v_mov_b32_e32 v27, 0
	v_lshl_add_u64 v[26:27], s[10:11], 0, v[26:27]
	flat_load_ushort v25, v[26:27]
.LBB3635_51:
	s_or_b64 exec, exec, s[0:1]
	v_or_b32_e32 v27, 0x2c00, v0
	v_cmp_gt_u32_e32 vcc, s33, v27
                                        ; implicit-def: $vgpr26
	s_and_saveexec_b64 s[0:1], vcc
	s_cbranch_execz .LBB3635_53
; %bb.52:
	v_lshlrev_b32_e32 v26, 1, v27
	v_mov_b32_e32 v27, 0
	v_lshl_add_u64 v[26:27], s[10:11], 0, v[26:27]
	flat_load_ushort v26, v[26:27]
.LBB3635_53:
	s_or_b64 exec, exec, s[0:1]
	v_or_b32_e32 v28, 0x2e00, v0
	v_cmp_gt_u32_e32 vcc, s33, v28
                                        ; implicit-def: $vgpr27
	s_and_saveexec_b64 s[0:1], vcc
	s_cbranch_execz .LBB3635_55
; %bb.54:
	v_lshlrev_b32_e32 v28, 1, v28
	v_mov_b32_e32 v29, 0
	v_lshl_add_u64 v[28:29], s[10:11], 0, v[28:29]
	flat_load_ushort v27, v[28:29]
.LBB3635_55:
	s_or_b64 exec, exec, s[0:1]
	v_or_b32_e32 v29, 0x3000, v0
	v_cmp_gt_u32_e32 vcc, s33, v29
                                        ; implicit-def: $vgpr28
	s_and_saveexec_b64 s[0:1], vcc
	s_cbranch_execz .LBB3635_57
; %bb.56:
	v_lshlrev_b32_e32 v28, 1, v29
	v_mov_b32_e32 v29, 0
	v_lshl_add_u64 v[28:29], s[10:11], 0, v[28:29]
	flat_load_ushort v28, v[28:29]
.LBB3635_57:
	s_or_b64 exec, exec, s[0:1]
	v_or_b32_e32 v30, 0x3200, v0
	v_cmp_gt_u32_e32 vcc, s33, v30
                                        ; implicit-def: $vgpr29
	s_and_saveexec_b64 s[0:1], vcc
	s_cbranch_execz .LBB3635_59
; %bb.58:
	v_lshlrev_b32_e32 v30, 1, v30
	v_mov_b32_e32 v31, 0
	v_lshl_add_u64 v[30:31], s[10:11], 0, v[30:31]
	flat_load_ushort v29, v[30:31]
.LBB3635_59:
	s_or_b64 exec, exec, s[0:1]
	v_or_b32_e32 v31, 0x3400, v0
	v_cmp_gt_u32_e32 vcc, s33, v31
                                        ; implicit-def: $vgpr30
	s_and_saveexec_b64 s[0:1], vcc
	s_cbranch_execz .LBB3635_61
; %bb.60:
	v_lshlrev_b32_e32 v30, 1, v31
	v_mov_b32_e32 v31, 0
	v_lshl_add_u64 v[30:31], s[10:11], 0, v[30:31]
	flat_load_ushort v30, v[30:31]
.LBB3635_61:
	s_or_b64 exec, exec, s[0:1]
	v_or_b32_e32 v32, 0x3600, v0
	v_cmp_gt_u32_e32 vcc, s33, v32
                                        ; implicit-def: $vgpr31
	s_and_saveexec_b64 s[0:1], vcc
	s_cbranch_execz .LBB3635_63
; %bb.62:
	v_lshlrev_b32_e32 v32, 1, v32
	v_mov_b32_e32 v33, 0
	v_lshl_add_u64 v[32:33], s[10:11], 0, v[32:33]
	flat_load_ushort v31, v[32:33]
.LBB3635_63:
	s_or_b64 exec, exec, s[0:1]
	v_or_b32_e32 v33, 0x3800, v0
	v_cmp_gt_u32_e32 vcc, s33, v33
                                        ; implicit-def: $vgpr32
	s_and_saveexec_b64 s[0:1], vcc
	s_cbranch_execz .LBB3635_65
; %bb.64:
	v_lshlrev_b32_e32 v32, 1, v33
	v_mov_b32_e32 v33, 0
	v_lshl_add_u64 v[32:33], s[10:11], 0, v[32:33]
	flat_load_ushort v32, v[32:33]
.LBB3635_65:
	s_or_b64 exec, exec, s[0:1]
	v_or_b32_e32 v34, 0x3a00, v0
	v_cmp_gt_u32_e32 vcc, s33, v34
                                        ; implicit-def: $vgpr33
	s_and_saveexec_b64 s[0:1], vcc
	s_cbranch_execz .LBB3635_67
; %bb.66:
	v_lshlrev_b32_e32 v34, 1, v34
	v_mov_b32_e32 v35, 0
	v_lshl_add_u64 v[34:35], s[10:11], 0, v[34:35]
	flat_load_ushort v33, v[34:35]
.LBB3635_67:
	s_or_b64 exec, exec, s[0:1]
	s_waitcnt vmcnt(0) lgkmcnt(0)
	ds_write_b16 v12, v1
	ds_write_b16 v12, v2 offset:1024
	ds_write_b16 v12, v3 offset:2048
	;; [unrolled: 1-line block ×29, first 2 shown]
	s_waitcnt lgkmcnt(0)
	s_barrier
.LBB3635_68:
	v_mul_u32_u24_e32 v9, 30, v0
	v_lshlrev_b32_e32 v2, 1, v9
	ds_read2_b32 v[28:29], v2 offset1:1
	ds_read2_b32 v[26:27], v2 offset0:2 offset1:3
	ds_read2_b32 v[24:25], v2 offset0:4 offset1:5
	;; [unrolled: 1-line block ×3, first 2 shown]
	ds_read_b32 v1, v2 offset:56
	ds_read2_b32 v[16:17], v2 offset0:12 offset1:13
	ds_read2_b32 v[18:19], v2 offset0:10 offset1:11
	;; [unrolled: 1-line block ×3, first 2 shown]
	s_add_u32 s0, s4, s2
	s_addc_u32 s1, s5, s3
	s_add_u32 s2, s6, s2
	s_addc_u32 s3, s7, s3
	;; [unrolled: 2-line block ×4, first 2 shown]
	s_mov_b64 s[4:5], -1
	s_and_b64 vcc, exec, s[34:35]
	s_waitcnt lgkmcnt(0)
	s_barrier
	s_cbranch_vccz .LBB3635_70
; %bb.69:
	v_mov_b32_e32 v13, 0
	v_lshl_add_u64 v[2:3], s[0:1], 0, v[12:13]
	s_movk_i32 s4, 0x1000
	v_lshl_add_u64 v[4:5], s[2:3], 0, v[12:13]
	global_load_ushort v8, v12, s[0:1]
	global_load_ushort v13, v12, s[0:1] offset:1024
	global_load_ushort v34, v12, s[0:1] offset:2048
	;; [unrolled: 1-line block ×5, first 2 shown]
	global_load_ushort v38, v12, s[2:3]
	global_load_ushort v39, v12, s[0:1] offset:3072
	v_add_co_u32_e32 v6, vcc, s4, v2
	s_movk_i32 s5, 0x2000
	s_nop 0
	v_addc_co_u32_e32 v7, vcc, 0, v3, vcc
	v_add_co_u32_e32 v10, vcc, s5, v2
	s_nop 1
	v_addc_co_u32_e32 v11, vcc, 0, v3, vcc
	v_add_co_u32_e32 v30, vcc, s4, v4
	s_movk_i32 s4, 0x3000
	s_nop 0
	v_addc_co_u32_e32 v31, vcc, 0, v5, vcc
	v_add_co_u32_e32 v32, vcc, s5, v4
	s_movk_i32 s5, 0x4000
	s_nop 0
	v_addc_co_u32_e32 v33, vcc, 0, v5, vcc
	global_load_ushort v40, v[6:7], off offset:1024
	global_load_ushort v41, v[6:7], off offset:2048
	;; [unrolled: 1-line block ×6, first 2 shown]
	global_load_ushort v46, v[10:11], off offset:-4096
	global_load_ushort v47, v[10:11], off
	global_load_ushort v48, v[10:11], off offset:1024
	global_load_ushort v49, v[10:11], off offset:2048
	;; [unrolled: 1-line block ×3, first 2 shown]
	global_load_ushort v51, v[32:33], off offset:-4096
	global_load_ushort v52, v[32:33], off
	global_load_ushort v53, v[32:33], off offset:1024
	global_load_ushort v54, v[32:33], off offset:2048
                                        ; kill: killed $vgpr30 killed $vgpr31
                                        ; kill: killed $vgpr6 killed $vgpr7
                                        ; kill: killed $vgpr10 killed $vgpr11
	global_load_ushort v55, v[32:33], off offset:3072
	v_add_co_u32_e32 v6, vcc, s4, v2
	s_nop 1
	v_addc_co_u32_e32 v7, vcc, 0, v3, vcc
	v_add_co_u32_e32 v10, vcc, s5, v2
	s_nop 1
	v_addc_co_u32_e32 v11, vcc, 0, v3, vcc
	v_add_co_u32_e32 v30, vcc, s4, v4
	s_movk_i32 s4, 0x5000
	s_nop 0
	v_addc_co_u32_e32 v31, vcc, 0, v5, vcc
	v_add_co_u32_e32 v32, vcc, s5, v4
	s_movk_i32 s5, 0x6000
	s_nop 0
	v_addc_co_u32_e32 v33, vcc, 0, v5, vcc
	global_load_ushort v56, v[6:7], off offset:1024
	global_load_ushort v57, v[6:7], off offset:2048
	global_load_ushort v58, v[6:7], off offset:3072
	global_load_ushort v59, v[30:31], off offset:1024
	global_load_ushort v60, v[30:31], off offset:2048
	global_load_ushort v61, v[30:31], off offset:3072
	global_load_ushort v62, v[10:11], off offset:-4096
	global_load_ushort v63, v[10:11], off
	global_load_ushort v64, v[10:11], off offset:1024
	global_load_ushort v65, v[10:11], off offset:2048
	;; [unrolled: 1-line block ×3, first 2 shown]
	global_load_ushort v67, v[32:33], off offset:-4096
	global_load_ushort v68, v[32:33], off
	global_load_ushort v69, v[32:33], off offset:1024
	global_load_ushort v70, v[32:33], off offset:2048
                                        ; kill: killed $vgpr30 killed $vgpr31
                                        ; kill: killed $vgpr6 killed $vgpr7
                                        ; kill: killed $vgpr10 killed $vgpr11
	global_load_ushort v71, v[32:33], off offset:3072
	v_add_co_u32_e32 v6, vcc, s4, v2
	s_nop 1
	v_addc_co_u32_e32 v7, vcc, 0, v3, vcc
	v_add_co_u32_e32 v10, vcc, s5, v2
	s_nop 1
	v_addc_co_u32_e32 v11, vcc, 0, v3, vcc
	v_add_co_u32_e32 v30, vcc, s4, v4
	s_movk_i32 s4, 0x7000
	s_nop 0
	v_addc_co_u32_e32 v31, vcc, 0, v5, vcc
	v_add_co_u32_e32 v32, vcc, s5, v4
	s_nop 1
	v_addc_co_u32_e32 v33, vcc, 0, v5, vcc
	v_add_co_u32_e32 v2, vcc, s4, v2
	global_load_ushort v72, v[32:33], off offset:-4096
	global_load_ushort v73, v[6:7], off offset:1024
	global_load_ushort v74, v[6:7], off offset:2048
	global_load_ushort v75, v[6:7], off offset:3072
	global_load_ushort v76, v[30:31], off offset:1024
	global_load_ushort v77, v[30:31], off offset:2048
	global_load_ushort v78, v[30:31], off offset:3072
	global_load_ushort v79, v[10:11], off offset:-4096
	global_load_ushort v80, v[10:11], off
	global_load_ushort v81, v[10:11], off offset:1024
	global_load_ushort v82, v[10:11], off offset:2048
	;; [unrolled: 1-line block ×3, first 2 shown]
	global_load_ushort v84, v[32:33], off
	global_load_ushort v85, v[32:33], off offset:1024
	global_load_ushort v86, v[32:33], off offset:2048
                                        ; kill: killed $vgpr10 killed $vgpr11
                                        ; kill: killed $vgpr30 killed $vgpr31
                                        ; kill: killed $vgpr6 killed $vgpr7
	global_load_ushort v6, v[32:33], off offset:3072
	v_addc_co_u32_e32 v3, vcc, 0, v3, vcc
	v_add_co_u32_e32 v4, vcc, s4, v4
	s_mov_b64 s[4:5], 0
	s_nop 0
	v_addc_co_u32_e32 v5, vcc, 0, v5, vcc
	global_load_ushort v7, v[4:5], off
	global_load_ushort v10, v[2:3], off
	global_load_ushort v11, v[2:3], off offset:1024
	global_load_ushort v30, v[4:5], off offset:1024
	s_waitcnt vmcnt(53)
	v_cmp_le_i16_e32 vcc, v8, v38
	s_nop 1
	v_cndmask_b32_e64 v2, 0, 1, vcc
	v_cmp_le_i16_e32 vcc, v13, v35
	s_nop 1
	v_cndmask_b32_e64 v3, 0, 1, vcc
	;; [unrolled: 3-line block ×3, first 2 shown]
	s_waitcnt vmcnt(52)
	v_cmp_le_i16_e32 vcc, v39, v37
	s_nop 1
	v_cndmask_b32_e64 v5, 0, 1, vcc
	s_waitcnt vmcnt(40)
	v_cmp_le_i16_e32 vcc, v46, v51
	s_nop 1
	v_cndmask_b32_e64 v8, 0, 1, vcc
	v_cmp_le_i16_e32 vcc, v40, v43
	s_nop 1
	v_cndmask_b32_e64 v13, 0, 1, vcc
	v_cmp_le_i16_e32 vcc, v41, v44
	s_nop 1
	v_cndmask_b32_e64 v31, 0, 1, vcc
	v_cmp_le_i16_e32 vcc, v42, v45
	s_nop 1
	v_cndmask_b32_e64 v32, 0, 1, vcc
	s_waitcnt vmcnt(39)
	v_cmp_le_i16_e32 vcc, v47, v52
	s_nop 1
	v_cndmask_b32_e64 v33, 0, 1, vcc
	s_waitcnt vmcnt(38)
	v_cmp_le_i16_e32 vcc, v48, v53
	s_nop 1
	v_cndmask_b32_e64 v34, 0, 1, vcc
	s_waitcnt vmcnt(37)
	v_cmp_le_i16_e32 vcc, v49, v54
	s_nop 1
	v_cndmask_b32_e64 v35, 0, 1, vcc
	s_waitcnt vmcnt(36)
	v_cmp_le_i16_e32 vcc, v50, v55
	s_nop 1
	v_cndmask_b32_e64 v36, 0, 1, vcc
	s_waitcnt vmcnt(24)
	v_cmp_le_i16_e32 vcc, v62, v67
	s_nop 1
	v_cndmask_b32_e64 v37, 0, 1, vcc
	v_cmp_le_i16_e32 vcc, v56, v59
	s_nop 1
	v_cndmask_b32_e64 v38, 0, 1, vcc
	v_cmp_le_i16_e32 vcc, v57, v60
	s_nop 1
	v_cndmask_b32_e64 v39, 0, 1, vcc
	v_cmp_le_i16_e32 vcc, v58, v61
	s_nop 1
	v_cndmask_b32_e64 v40, 0, 1, vcc
	s_waitcnt vmcnt(23)
	v_cmp_le_i16_e32 vcc, v63, v68
	s_nop 1
	v_cndmask_b32_e64 v41, 0, 1, vcc
	s_waitcnt vmcnt(22)
	v_cmp_le_i16_e32 vcc, v64, v69
	s_nop 1
	v_cndmask_b32_e64 v42, 0, 1, vcc
	s_waitcnt vmcnt(21)
	v_cmp_le_i16_e32 vcc, v65, v70
	s_nop 1
	v_cndmask_b32_e64 v43, 0, 1, vcc
	;; [unrolled: 29-line block ×3, first 2 shown]
	s_waitcnt vmcnt(4)
	v_cmp_le_i16_e32 vcc, v83, v6
	s_nop 1
	v_cndmask_b32_e64 v6, 0, 1, vcc
	s_waitcnt vmcnt(2)
	v_cmp_le_i16_e32 vcc, v10, v7
	s_nop 1
	v_cndmask_b32_e64 v7, 0, 1, vcc
	;; [unrolled: 4-line block ×3, first 2 shown]
	ds_write_b8 v0, v2
	ds_write_b8 v0, v3 offset:512
	ds_write_b8 v0, v4 offset:1024
	;; [unrolled: 1-line block ×29, first 2 shown]
	s_waitcnt lgkmcnt(0)
	s_barrier
.LBB3635_70:
	s_andn2_b64 vcc, exec, s[4:5]
	s_cbranch_vccnz .LBB3635_132
; %bb.71:
	v_cmp_gt_u32_e32 vcc, s33, v0
	v_mov_b32_e32 v2, 0
	v_mov_b32_e32 v3, 0
	s_and_saveexec_b64 s[4:5], vcc
	s_cbranch_execz .LBB3635_73
; %bb.72:
	global_load_ushort v3, v12, s[0:1]
	global_load_ushort v4, v12, s[2:3]
	s_waitcnt vmcnt(0)
	v_cmp_le_i16_e32 vcc, v3, v4
	s_nop 1
	v_cndmask_b32_e64 v3, 0, 1, vcc
.LBB3635_73:
	s_or_b64 exec, exec, s[4:5]
	v_or_b32_e32 v4, 0x200, v0
	v_cmp_gt_u32_e32 vcc, s33, v4
	s_and_saveexec_b64 s[4:5], vcc
	s_cbranch_execz .LBB3635_75
; %bb.74:
	global_load_ushort v2, v12, s[0:1] offset:1024
	global_load_ushort v4, v12, s[2:3] offset:1024
	s_waitcnt vmcnt(0)
	v_cmp_le_i16_e32 vcc, v2, v4
	s_nop 1
	v_cndmask_b32_e64 v2, 0, 1, vcc
.LBB3635_75:
	s_or_b64 exec, exec, s[4:5]
	v_or_b32_e32 v4, 0x400, v0
	v_cmp_gt_u32_e32 vcc, s33, v4
	v_mov_b32_e32 v4, 0
	v_mov_b32_e32 v5, 0
	s_and_saveexec_b64 s[4:5], vcc
	s_cbranch_execz .LBB3635_77
; %bb.76:
	global_load_ushort v5, v12, s[0:1] offset:2048
	global_load_ushort v6, v12, s[2:3] offset:2048
	s_waitcnt vmcnt(0)
	v_cmp_le_i16_e32 vcc, v5, v6
	s_nop 1
	v_cndmask_b32_e64 v5, 0, 1, vcc
.LBB3635_77:
	s_or_b64 exec, exec, s[4:5]
	v_or_b32_e32 v6, 0x600, v0
	v_cmp_gt_u32_e32 vcc, s33, v6
	s_and_saveexec_b64 s[4:5], vcc
	s_cbranch_execz .LBB3635_79
; %bb.78:
	global_load_ushort v4, v12, s[0:1] offset:3072
	global_load_ushort v6, v12, s[2:3] offset:3072
	s_waitcnt vmcnt(0)
	v_cmp_le_i16_e32 vcc, v4, v6
	s_nop 1
	v_cndmask_b32_e64 v4, 0, 1, vcc
.LBB3635_79:
	s_or_b64 exec, exec, s[4:5]
	v_or_b32_e32 v8, 0x800, v0
	v_cmp_gt_u32_e32 vcc, s33, v8
	v_mov_b32_e32 v6, 0
	v_mov_b32_e32 v7, 0
	s_and_saveexec_b64 s[4:5], vcc
	s_cbranch_execz .LBB3635_81
; %bb.80:
	v_lshlrev_b32_e32 v7, 1, v8
	global_load_ushort v8, v7, s[0:1]
	global_load_ushort v10, v7, s[2:3]
	s_waitcnt vmcnt(0)
	v_cmp_le_i16_e32 vcc, v8, v10
	s_nop 1
	v_cndmask_b32_e64 v7, 0, 1, vcc
.LBB3635_81:
	s_or_b64 exec, exec, s[4:5]
	v_or_b32_e32 v8, 0xa00, v0
	v_cmp_gt_u32_e32 vcc, s33, v8
	s_and_saveexec_b64 s[4:5], vcc
	s_cbranch_execz .LBB3635_83
; %bb.82:
	v_lshlrev_b32_e32 v6, 1, v8
	global_load_ushort v8, v6, s[0:1]
	global_load_ushort v10, v6, s[2:3]
	s_waitcnt vmcnt(0)
	v_cmp_le_i16_e32 vcc, v8, v10
	s_nop 1
	v_cndmask_b32_e64 v6, 0, 1, vcc
.LBB3635_83:
	s_or_b64 exec, exec, s[4:5]
	v_or_b32_e32 v11, 0xc00, v0
	v_cmp_gt_u32_e32 vcc, s33, v11
	v_mov_b32_e32 v8, 0
	v_mov_b32_e32 v10, 0
	s_and_saveexec_b64 s[4:5], vcc
	s_cbranch_execz .LBB3635_85
; %bb.84:
	v_lshlrev_b32_e32 v10, 1, v11
	global_load_ushort v11, v10, s[0:1]
	global_load_ushort v13, v10, s[2:3]
	s_waitcnt vmcnt(0)
	v_cmp_le_i16_e32 vcc, v11, v13
	s_nop 1
	v_cndmask_b32_e64 v10, 0, 1, vcc
.LBB3635_85:
	s_or_b64 exec, exec, s[4:5]
	v_or_b32_e32 v11, 0xe00, v0
	v_cmp_gt_u32_e32 vcc, s33, v11
	s_and_saveexec_b64 s[4:5], vcc
	s_cbranch_execz .LBB3635_87
; %bb.86:
	v_lshlrev_b32_e32 v8, 1, v11
	global_load_ushort v11, v8, s[0:1]
	global_load_ushort v13, v8, s[2:3]
	s_waitcnt vmcnt(0)
	v_cmp_le_i16_e32 vcc, v11, v13
	s_nop 1
	v_cndmask_b32_e64 v8, 0, 1, vcc
.LBB3635_87:
	;; [unrolled: 30-line block ×13, first 2 shown]
	s_or_b64 exec, exec, s[4:5]
	ds_write_b8 v0, v3
	ds_write_b8 v0, v2 offset:512
	ds_write_b8 v0, v5 offset:1024
	;; [unrolled: 1-line block ×29, first 2 shown]
	s_waitcnt lgkmcnt(0)
	s_barrier
.LBB3635_132:
	ds_read_b128 v[2:5], v9
	ds_read_b96 v[6:8], v9 offset:16
	ds_read_u16 v38, v9 offset:28
	s_cmp_lg_u32 s42, 0
	v_lshrrev_b32_e32 v67, 6, v0
	s_waitcnt lgkmcnt(0)
	v_lshrrev_b32_e32 v46, 24, v2
	v_bfe_u32 v65, v2, 16, 8
	v_add_u32_sdwa v10, v2, v2 dst_sel:DWORD dst_unused:UNUSED_PAD src0_sel:BYTE_1 src1_sel:BYTE_0
	v_and_b32_e32 v62, 0xff, v3
	v_bfe_u32 v63, v3, 8, 8
	v_add3_u32 v10, v10, v65, v46
	v_lshrrev_b32_e32 v45, 24, v3
	v_bfe_u32 v64, v3, 16, 8
	v_add3_u32 v10, v10, v62, v63
	v_and_b32_e32 v59, 0xff, v4
	v_bfe_u32 v60, v4, 8, 8
	v_add3_u32 v10, v10, v64, v45
	v_lshrrev_b32_e32 v44, 24, v4
	v_bfe_u32 v61, v4, 16, 8
	v_add3_u32 v10, v10, v59, v60
	;; [unrolled: 6-line block ×6, first 2 shown]
	v_lshrrev_b16_e32 v13, 8, v38
	v_and_b32_e32 v40, 0xff, v38
	v_add3_u32 v10, v10, v49, v39
	v_add3_u32 v68, v10, v40, v13
	v_mbcnt_lo_u32_b32 v10, -1, 0
	v_mbcnt_hi_u32_b32 v66, -1, v10
	v_and_b32_e32 v10, 15, v66
	v_cmp_eq_u32_e64 s[14:15], 0, v10
	v_cmp_lt_u32_e64 s[12:13], 1, v10
	v_cmp_lt_u32_e64 s[10:11], 3, v10
	;; [unrolled: 1-line block ×3, first 2 shown]
	v_and_b32_e32 v10, 16, v66
	v_cmp_eq_u32_e64 s[6:7], 0, v10
	v_or_b32_e32 v10, 63, v0
	v_cmp_lt_u32_e64 s[2:3], 31, v66
	v_cmp_eq_u32_e64 s[4:5], v10, v0
	s_barrier
	s_cbranch_scc0 .LBB3635_163
; %bb.133:
	v_mov_b32_dpp v10, v68 row_shr:1 row_mask:0xf bank_mask:0xf
	v_cndmask_b32_e64 v10, v10, 0, s[14:15]
	v_add_u32_e32 v10, v10, v68
	s_nop 1
	v_mov_b32_dpp v11, v10 row_shr:2 row_mask:0xf bank_mask:0xf
	v_cndmask_b32_e64 v11, 0, v11, s[12:13]
	v_add_u32_e32 v10, v10, v11
	s_nop 1
	;; [unrolled: 4-line block ×4, first 2 shown]
	v_mov_b32_dpp v11, v10 row_bcast:15 row_mask:0xf bank_mask:0xf
	v_cndmask_b32_e64 v11, v11, 0, s[6:7]
	v_add_u32_e32 v10, v10, v11
	s_nop 1
	v_mov_b32_dpp v11, v10 row_bcast:31 row_mask:0xf bank_mask:0xf
	v_cndmask_b32_e64 v11, 0, v11, s[2:3]
	v_add_u32_e32 v10, v10, v11
	s_and_saveexec_b64 s[0:1], s[4:5]
	s_cbranch_execz .LBB3635_135
; %bb.134:
	v_lshlrev_b32_e32 v11, 2, v67
	ds_write_b32 v11, v10
.LBB3635_135:
	s_or_b64 exec, exec, s[0:1]
	v_cmp_gt_u32_e32 vcc, 8, v0
	s_waitcnt lgkmcnt(0)
	s_barrier
	s_and_saveexec_b64 s[0:1], vcc
	s_cbranch_execz .LBB3635_137
; %bb.136:
	v_lshlrev_b32_e32 v11, 2, v0
	ds_read_b32 v30, v11
	v_and_b32_e32 v31, 7, v66
	v_cmp_ne_u32_e32 vcc, 0, v31
	s_waitcnt lgkmcnt(0)
	v_mov_b32_dpp v32, v30 row_shr:1 row_mask:0xf bank_mask:0xf
	v_cndmask_b32_e32 v32, 0, v32, vcc
	v_add_u32_e32 v30, v32, v30
	v_cmp_lt_u32_e32 vcc, 1, v31
	s_nop 0
	v_mov_b32_dpp v32, v30 row_shr:2 row_mask:0xf bank_mask:0xf
	v_cndmask_b32_e32 v32, 0, v32, vcc
	v_add_u32_e32 v30, v30, v32
	v_cmp_lt_u32_e32 vcc, 3, v31
	s_nop 0
	v_mov_b32_dpp v32, v30 row_shr:4 row_mask:0xf bank_mask:0xf
	v_cndmask_b32_e32 v31, 0, v32, vcc
	v_add_u32_e32 v30, v30, v31
	ds_write_b32 v11, v30
.LBB3635_137:
	s_or_b64 exec, exec, s[0:1]
	v_cmp_gt_u32_e32 vcc, 64, v0
	v_cmp_lt_u32_e64 s[0:1], 63, v0
	s_waitcnt lgkmcnt(0)
	s_barrier
	s_waitcnt lgkmcnt(0)
                                        ; implicit-def: $vgpr69
	s_and_saveexec_b64 s[16:17], s[0:1]
	s_cbranch_execz .LBB3635_139
; %bb.138:
	v_lshl_add_u32 v11, v67, 2, -4
	ds_read_b32 v69, v11
	s_waitcnt lgkmcnt(0)
	v_add_u32_e32 v10, v69, v10
.LBB3635_139:
	s_or_b64 exec, exec, s[16:17]
	v_add_u32_e32 v11, -1, v66
	v_and_b32_e32 v30, 64, v66
	v_cmp_lt_i32_e64 s[0:1], v11, v30
	v_cmp_eq_u32_e64 s[16:17], 0, v66
	s_nop 0
	v_cndmask_b32_e64 v11, v11, v66, s[0:1]
	v_lshlrev_b32_e32 v11, 2, v11
	ds_bpermute_b32 v70, v11, v10
	s_and_saveexec_b64 s[0:1], vcc
	s_cbranch_execz .LBB3635_162
; %bb.140:
	v_mov_b32_e32 v37, 0
	ds_read_b32 v10, v37 offset:28
	s_and_saveexec_b64 s[38:39], s[16:17]
	s_cbranch_execz .LBB3635_142
; %bb.141:
	s_add_i32 s40, s42, 64
	s_mov_b32 s41, 0
	s_lshl_b64 s[40:41], s[40:41], 3
	s_add_u32 s40, s36, s40
	v_mov_b32_e32 v11, 1
	s_addc_u32 s41, s37, s41
	s_waitcnt lgkmcnt(0)
	global_store_dwordx2 v37, v[10:11], s[40:41] sc1
.LBB3635_142:
	s_or_b64 exec, exec, s[38:39]
	v_xad_u32 v30, v66, -1, s42
	v_add_u32_e32 v36, 64, v30
	v_lshl_add_u64 v[32:33], v[36:37], 3, s[36:37]
	global_load_dwordx2 v[34:35], v[32:33], off sc1
	s_waitcnt vmcnt(0)
	v_cmp_eq_u16_sdwa s[40:41], v35, v37 src0_sel:BYTE_0 src1_sel:DWORD
	s_and_saveexec_b64 s[38:39], s[40:41]
	s_cbranch_execz .LBB3635_148
; %bb.143:
	s_mov_b32 s25, 1
	s_mov_b64 s[40:41], 0
	v_mov_b32_e32 v11, 0
.LBB3635_144:                           ; =>This Loop Header: Depth=1
                                        ;     Child Loop BB3635_145 Depth 2
	s_max_u32 s43, s25, 1
.LBB3635_145:                           ;   Parent Loop BB3635_144 Depth=1
                                        ; =>  This Inner Loop Header: Depth=2
	s_add_i32 s43, s43, -1
	s_cmp_eq_u32 s43, 0
	s_sleep 1
	s_cbranch_scc0 .LBB3635_145
; %bb.146:                              ;   in Loop: Header=BB3635_144 Depth=1
	global_load_dwordx2 v[34:35], v[32:33], off sc1
	s_cmp_lt_u32 s25, 32
	s_cselect_b64 s[44:45], -1, 0
	s_cmp_lg_u64 s[44:45], 0
	s_addc_u32 s25, s25, 0
	s_waitcnt vmcnt(0)
	v_cmp_ne_u16_sdwa s[44:45], v35, v11 src0_sel:BYTE_0 src1_sel:DWORD
	s_or_b64 s[40:41], s[44:45], s[40:41]
	s_andn2_b64 exec, exec, s[40:41]
	s_cbranch_execnz .LBB3635_144
; %bb.147:
	s_or_b64 exec, exec, s[40:41]
.LBB3635_148:
	s_or_b64 exec, exec, s[38:39]
	v_and_b32_e32 v72, 63, v66
	v_mov_b32_e32 v71, 2
	v_cmp_ne_u32_e32 vcc, 63, v72
	v_cmp_eq_u16_sdwa s[38:39], v35, v71 src0_sel:BYTE_0 src1_sel:DWORD
	v_lshlrev_b64 v[32:33], v66, -1
	v_addc_co_u32_e32 v36, vcc, 0, v66, vcc
	v_and_b32_e32 v11, s39, v33
	v_lshlrev_b32_e32 v73, 2, v36
	v_or_b32_e32 v11, 0x80000000, v11
	ds_bpermute_b32 v36, v73, v34
	v_and_b32_e32 v31, s38, v32
	v_ffbl_b32_e32 v11, v11
	v_add_u32_e32 v11, 32, v11
	v_ffbl_b32_e32 v31, v31
	v_min_u32_e32 v11, v31, v11
	v_cmp_lt_u32_e32 vcc, v72, v11
	v_add_u32_e32 v75, 2, v72
	v_add_u32_e32 v77, 4, v72
	s_waitcnt lgkmcnt(0)
	v_cndmask_b32_e32 v31, 0, v36, vcc
	v_cmp_gt_u32_e32 vcc, 62, v72
	v_add_u32_e32 v31, v31, v34
	v_add_u32_e32 v79, 8, v72
	v_cndmask_b32_e64 v34, 0, 1, vcc
	v_lshlrev_b32_e32 v34, 1, v34
	v_add_lshl_u32 v74, v34, v66, 2
	ds_bpermute_b32 v34, v74, v31
	v_cmp_le_u32_e32 vcc, v75, v11
	v_add_u32_e32 v81, 16, v72
	v_add_u32_e32 v83, 32, v72
	s_waitcnt lgkmcnt(0)
	v_cndmask_b32_e32 v34, 0, v34, vcc
	v_cmp_gt_u32_e32 vcc, 60, v72
	v_add_u32_e32 v31, v31, v34
	s_nop 0
	v_cndmask_b32_e64 v34, 0, 1, vcc
	v_lshlrev_b32_e32 v34, 2, v34
	v_add_lshl_u32 v76, v34, v66, 2
	ds_bpermute_b32 v34, v76, v31
	v_cmp_le_u32_e32 vcc, v77, v11
	s_waitcnt lgkmcnt(0)
	s_nop 0
	v_cndmask_b32_e32 v34, 0, v34, vcc
	v_cmp_gt_u32_e32 vcc, 56, v72
	v_add_u32_e32 v31, v31, v34
	s_nop 0
	v_cndmask_b32_e64 v34, 0, 1, vcc
	v_lshlrev_b32_e32 v34, 3, v34
	v_add_lshl_u32 v78, v34, v66, 2
	ds_bpermute_b32 v34, v78, v31
	v_cmp_le_u32_e32 vcc, v79, v11
	s_waitcnt lgkmcnt(0)
	s_nop 0
	;; [unrolled: 11-line block ×4, first 2 shown]
	v_cndmask_b32_e32 v11, 0, v34, vcc
	v_add_u32_e32 v34, v31, v11
	v_mov_b32_e32 v31, 0
	s_branch .LBB3635_150
.LBB3635_149:                           ;   in Loop: Header=BB3635_150 Depth=1
	s_or_b64 exec, exec, s[38:39]
	v_cmp_eq_u16_sdwa s[38:39], v35, v71 src0_sel:BYTE_0 src1_sel:DWORD
	ds_bpermute_b32 v84, v73, v34
	v_subrev_u32_e32 v30, 64, v30
	v_and_b32_e32 v36, s39, v33
	v_or_b32_e32 v36, 0x80000000, v36
	v_and_b32_e32 v37, s38, v32
	v_ffbl_b32_e32 v36, v36
	v_add_u32_e32 v36, 32, v36
	v_ffbl_b32_e32 v37, v37
	v_min_u32_e32 v36, v37, v36
	v_cmp_lt_u32_e32 vcc, v72, v36
	s_waitcnt lgkmcnt(0)
	s_nop 0
	v_cndmask_b32_e32 v37, 0, v84, vcc
	v_add_u32_e32 v34, v37, v34
	ds_bpermute_b32 v37, v74, v34
	v_cmp_le_u32_e32 vcc, v75, v36
	s_waitcnt lgkmcnt(0)
	s_nop 0
	v_cndmask_b32_e32 v37, 0, v37, vcc
	v_add_u32_e32 v34, v34, v37
	ds_bpermute_b32 v37, v76, v34
	v_cmp_le_u32_e32 vcc, v77, v36
	;; [unrolled: 6-line block ×5, first 2 shown]
	s_waitcnt lgkmcnt(0)
	s_nop 0
	v_cndmask_b32_e32 v36, 0, v37, vcc
	v_add3_u32 v34, v36, v11, v34
.LBB3635_150:                           ; =>This Loop Header: Depth=1
                                        ;     Child Loop BB3635_153 Depth 2
                                        ;       Child Loop BB3635_154 Depth 3
	v_cmp_ne_u16_sdwa s[38:39], v35, v71 src0_sel:BYTE_0 src1_sel:DWORD
	s_nop 1
	v_cndmask_b32_e64 v11, 0, 1, s[38:39]
	;;#ASMSTART
	;;#ASMEND
	s_nop 0
	v_cmp_ne_u32_e32 vcc, 0, v11
	s_cmp_lg_u64 vcc, exec
	v_mov_b32_e32 v11, v34
	s_cbranch_scc1 .LBB3635_157
; %bb.151:                              ;   in Loop: Header=BB3635_150 Depth=1
	v_lshl_add_u64 v[36:37], v[30:31], 3, s[36:37]
	global_load_dwordx2 v[34:35], v[36:37], off sc1
	s_waitcnt vmcnt(0)
	v_cmp_eq_u16_sdwa s[40:41], v35, v31 src0_sel:BYTE_0 src1_sel:DWORD
	s_and_saveexec_b64 s[38:39], s[40:41]
	s_cbranch_execz .LBB3635_149
; %bb.152:                              ;   in Loop: Header=BB3635_150 Depth=1
	s_mov_b32 s25, 1
	s_mov_b64 s[40:41], 0
.LBB3635_153:                           ;   Parent Loop BB3635_150 Depth=1
                                        ; =>  This Loop Header: Depth=2
                                        ;       Child Loop BB3635_154 Depth 3
	s_max_u32 s43, s25, 1
.LBB3635_154:                           ;   Parent Loop BB3635_150 Depth=1
                                        ;     Parent Loop BB3635_153 Depth=2
                                        ; =>    This Inner Loop Header: Depth=3
	s_add_i32 s43, s43, -1
	s_cmp_eq_u32 s43, 0
	s_sleep 1
	s_cbranch_scc0 .LBB3635_154
; %bb.155:                              ;   in Loop: Header=BB3635_153 Depth=2
	global_load_dwordx2 v[34:35], v[36:37], off sc1
	s_cmp_lt_u32 s25, 32
	s_cselect_b64 s[44:45], -1, 0
	s_cmp_lg_u64 s[44:45], 0
	s_addc_u32 s25, s25, 0
	s_waitcnt vmcnt(0)
	v_cmp_ne_u16_sdwa s[44:45], v35, v31 src0_sel:BYTE_0 src1_sel:DWORD
	s_or_b64 s[40:41], s[44:45], s[40:41]
	s_andn2_b64 exec, exec, s[40:41]
	s_cbranch_execnz .LBB3635_153
; %bb.156:                              ;   in Loop: Header=BB3635_150 Depth=1
	s_or_b64 exec, exec, s[40:41]
	s_branch .LBB3635_149
.LBB3635_157:                           ;   in Loop: Header=BB3635_150 Depth=1
                                        ; implicit-def: $vgpr34
                                        ; implicit-def: $vgpr35
	s_cbranch_execz .LBB3635_150
; %bb.158:
	s_and_saveexec_b64 s[38:39], s[16:17]
	s_cbranch_execz .LBB3635_160
; %bb.159:
	s_add_i32 s40, s42, 64
	s_mov_b32 s41, 0
	s_lshl_b64 s[40:41], s[40:41], 3
	s_add_u32 s40, s36, s40
	v_add_u32_e32 v30, v11, v10
	v_mov_b32_e32 v31, 2
	s_addc_u32 s41, s37, s41
	v_mov_b32_e32 v32, 0
	global_store_dwordx2 v32, v[30:31], s[40:41] sc1
	ds_write_b64 v32, v[10:11] offset:30720
.LBB3635_160:
	s_or_b64 exec, exec, s[38:39]
	s_and_b64 exec, exec, s[18:19]
	s_cbranch_execz .LBB3635_162
; %bb.161:
	v_mov_b32_e32 v10, 0
	ds_write_b32 v10, v11 offset:28
.LBB3635_162:
	s_or_b64 exec, exec, s[0:1]
	v_mov_b32_e32 v10, 0
	s_waitcnt lgkmcnt(0)
	s_barrier
	ds_read_b32 v30, v10 offset:28
	s_waitcnt lgkmcnt(0)
	s_barrier
	ds_read_b64 v[10:11], v10 offset:30720
	v_cndmask_b32_e64 v31, v70, v69, s[16:17]
	v_cndmask_b32_e64 v31, v31, 0, s[18:19]
	v_add_u32_e32 v35, v30, v31
	s_waitcnt lgkmcnt(0)
	v_mov_b32_e32 v70, v11
	s_branch .LBB3635_173
.LBB3635_163:
                                        ; implicit-def: $vgpr70
                                        ; implicit-def: $vgpr10
                                        ; implicit-def: $vgpr35
	s_cbranch_execz .LBB3635_173
; %bb.164:
	s_nop 0
	v_mov_b32_dpp v10, v68 row_shr:1 row_mask:0xf bank_mask:0xf
	v_cndmask_b32_e64 v10, v10, 0, s[14:15]
	v_add_u32_e32 v10, v10, v68
	s_nop 1
	v_mov_b32_dpp v11, v10 row_shr:2 row_mask:0xf bank_mask:0xf
	v_cndmask_b32_e64 v11, 0, v11, s[12:13]
	v_add_u32_e32 v10, v10, v11
	;; [unrolled: 4-line block ×4, first 2 shown]
	s_nop 1
	v_mov_b32_dpp v11, v10 row_bcast:15 row_mask:0xf bank_mask:0xf
	v_cndmask_b32_e64 v11, v11, 0, s[6:7]
	v_add_u32_e32 v10, v10, v11
	s_nop 1
	v_mov_b32_dpp v11, v10 row_bcast:31 row_mask:0xf bank_mask:0xf
	v_cndmask_b32_e64 v11, 0, v11, s[2:3]
	v_add_u32_e32 v10, v10, v11
	s_and_saveexec_b64 s[0:1], s[4:5]
	s_cbranch_execz .LBB3635_166
; %bb.165:
	v_lshlrev_b32_e32 v11, 2, v67
	ds_write_b32 v11, v10
.LBB3635_166:
	s_or_b64 exec, exec, s[0:1]
	v_cmp_gt_u32_e32 vcc, 8, v0
	s_waitcnt lgkmcnt(0)
	s_barrier
	s_and_saveexec_b64 s[0:1], vcc
	s_cbranch_execz .LBB3635_168
; %bb.167:
	v_lshlrev_b32_e32 v11, 2, v0
	ds_read_b32 v30, v11
	v_and_b32_e32 v31, 7, v66
	v_cmp_ne_u32_e32 vcc, 0, v31
	s_waitcnt lgkmcnt(0)
	v_mov_b32_dpp v32, v30 row_shr:1 row_mask:0xf bank_mask:0xf
	v_cndmask_b32_e32 v32, 0, v32, vcc
	v_add_u32_e32 v30, v32, v30
	v_cmp_lt_u32_e32 vcc, 1, v31
	s_nop 0
	v_mov_b32_dpp v32, v30 row_shr:2 row_mask:0xf bank_mask:0xf
	v_cndmask_b32_e32 v32, 0, v32, vcc
	v_add_u32_e32 v30, v30, v32
	v_cmp_lt_u32_e32 vcc, 3, v31
	s_nop 0
	v_mov_b32_dpp v32, v30 row_shr:4 row_mask:0xf bank_mask:0xf
	v_cndmask_b32_e32 v31, 0, v32, vcc
	v_add_u32_e32 v30, v30, v31
	ds_write_b32 v11, v30
.LBB3635_168:
	s_or_b64 exec, exec, s[0:1]
	v_cmp_lt_u32_e32 vcc, 63, v0
	v_mov_b32_e32 v11, 0
	v_mov_b32_e32 v30, 0
	s_waitcnt lgkmcnt(0)
	s_barrier
	s_and_saveexec_b64 s[0:1], vcc
	s_cbranch_execz .LBB3635_170
; %bb.169:
	v_lshl_add_u32 v30, v67, 2, -4
	ds_read_b32 v30, v30
.LBB3635_170:
	s_or_b64 exec, exec, s[0:1]
	v_add_u32_e32 v31, -1, v66
	v_and_b32_e32 v32, 64, v66
	v_cmp_lt_i32_e32 vcc, v31, v32
	s_waitcnt lgkmcnt(0)
	v_add_u32_e32 v10, v30, v10
	v_cndmask_b32_e32 v31, v31, v66, vcc
	v_lshlrev_b32_e32 v31, 2, v31
	ds_bpermute_b32 v31, v31, v10
	ds_read_b32 v10, v11 offset:28
	s_and_saveexec_b64 s[0:1], s[18:19]
	s_cbranch_execz .LBB3635_172
; %bb.171:
	v_mov_b32_e32 v32, 0
	v_mov_b32_e32 v11, 2
	s_waitcnt lgkmcnt(0)
	global_store_dwordx2 v32, v[10:11], s[36:37] offset:512 sc1
.LBB3635_172:
	s_or_b64 exec, exec, s[0:1]
	v_cmp_eq_u32_e32 vcc, 0, v66
	v_mov_b32_e32 v70, 0
	s_waitcnt lgkmcnt(0)
	v_cndmask_b32_e32 v11, v31, v30, vcc
	v_cndmask_b32_e64 v35, v11, 0, s[18:19]
	s_barrier
.LBB3635_173:
	v_add_u32_sdwa v37, v35, v2 dst_sel:DWORD dst_unused:UNUSED_PAD src0_sel:DWORD src1_sel:BYTE_0
	v_add_u32_e32 v9, v10, v9
	v_sub_u32_e32 v35, v35, v70
	v_and_b32_e32 v76, 1, v2
	v_sub_u32_e32 v75, v9, v35
	v_cmp_eq_u32_e32 vcc, 1, v76
	v_lshrrev_b32_e32 v36, 8, v2
	v_add_u32_sdwa v66, v37, v2 dst_sel:DWORD dst_unused:UNUSED_PAD src0_sel:DWORD src1_sel:BYTE_1
	v_cndmask_b32_e32 v35, v75, v35, vcc
	v_lshlrev_b32_e32 v35, 1, v35
	ds_write_b16 v35, v28
	v_sub_u32_e32 v35, v37, v70
	v_sub_u32_e32 v37, v9, v35
	v_and_b32_e32 v36, 1, v36
	v_add_u32_e32 v37, 1, v37
	v_cmp_eq_u32_e32 vcc, 1, v36
	v_mov_b32_e32 v36, 1
	v_and_b32_sdwa v2, v36, v2 dst_sel:DWORD dst_unused:UNUSED_PAD src0_sel:DWORD src1_sel:WORD_1
	v_cndmask_b32_e32 v35, v37, v35, vcc
	v_lshlrev_b32_e32 v35, 1, v35
	ds_write_b16_d16_hi v35, v28
	v_sub_u32_e32 v28, v66, v70
	v_sub_u32_e32 v35, v9, v28
	v_add_u32_e32 v35, 2, v35
	v_cmp_eq_u32_e32 vcc, 1, v2
	v_add_u32_e32 v65, v66, v65
	v_add_u32_e32 v67, v65, v46
	v_cndmask_b32_e32 v2, v35, v28, vcc
	v_lshlrev_b32_e32 v2, 1, v2
	ds_write_b16 v2, v29
	v_sub_u32_e32 v2, v65, v70
	v_sub_u32_e32 v28, v9, v2
	v_and_b32_e32 v35, 1, v46
	v_add_u32_e32 v28, 3, v28
	v_cmp_eq_u32_e32 vcc, 1, v35
	v_add_u32_e32 v62, v67, v62
	v_lshrrev_b32_e32 v34, 8, v3
	v_cndmask_b32_e32 v2, v28, v2, vcc
	v_lshlrev_b32_e32 v2, 1, v2
	ds_write_b16_d16_hi v2, v29
	v_sub_u32_e32 v2, v67, v70
	v_sub_u32_e32 v28, v9, v2
	v_and_b32_e32 v29, 1, v3
	v_add_u32_e32 v28, 4, v28
	v_cmp_eq_u32_e32 vcc, 1, v29
	v_and_b32_e32 v29, 1, v34
	v_add_u32_e32 v63, v62, v63
	v_cndmask_b32_e32 v2, v28, v2, vcc
	v_lshlrev_b32_e32 v2, 1, v2
	ds_write_b16 v2, v26
	v_sub_u32_e32 v2, v62, v70
	v_sub_u32_e32 v28, v9, v2
	v_add_u32_e32 v28, 5, v28
	v_cmp_eq_u32_e32 vcc, 1, v29
	v_and_b32_sdwa v3, v36, v3 dst_sel:DWORD dst_unused:UNUSED_PAD src0_sel:DWORD src1_sel:WORD_1
	v_add_u32_e32 v64, v63, v64
	v_cndmask_b32_e32 v2, v28, v2, vcc
	v_lshlrev_b32_e32 v2, 1, v2
	ds_write_b16_d16_hi v2, v26
	v_sub_u32_e32 v2, v63, v70
	v_sub_u32_e32 v26, v9, v2
	v_add_u32_e32 v26, 6, v26
	v_cmp_eq_u32_e32 vcc, 1, v3
	v_add_u32_e32 v68, v64, v45
	v_add_u32_e32 v59, v68, v59
	v_cndmask_b32_e32 v2, v26, v2, vcc
	v_lshlrev_b32_e32 v2, 1, v2
	ds_write_b16 v2, v27
	v_sub_u32_e32 v2, v64, v70
	v_sub_u32_e32 v3, v9, v2
	v_and_b32_e32 v26, 1, v45
	v_add_u32_e32 v3, 7, v3
	v_cmp_eq_u32_e32 vcc, 1, v26
	v_and_b32_e32 v26, 1, v4
	v_lshrrev_b32_e32 v33, 8, v4
	v_cndmask_b32_e32 v2, v3, v2, vcc
	v_lshlrev_b32_e32 v2, 1, v2
	ds_write_b16_d16_hi v2, v27
	v_sub_u32_e32 v2, v68, v70
	v_sub_u32_e32 v3, v9, v2
	v_add_u32_e32 v3, 8, v3
	v_cmp_eq_u32_e32 vcc, 1, v26
	v_and_b32_e32 v26, 1, v33
	v_add_u32_e32 v60, v59, v60
	v_cndmask_b32_e32 v2, v3, v2, vcc
	v_lshlrev_b32_e32 v2, 1, v2
	ds_write_b16 v2, v24
	v_sub_u32_e32 v2, v59, v70
	v_sub_u32_e32 v3, v9, v2
	v_add_u32_e32 v3, 9, v3
	v_cmp_eq_u32_e32 vcc, 1, v26
	v_and_b32_sdwa v4, v36, v4 dst_sel:DWORD dst_unused:UNUSED_PAD src0_sel:DWORD src1_sel:WORD_1
	v_add_u32_e32 v61, v60, v61
	v_cndmask_b32_e32 v2, v3, v2, vcc
	v_lshlrev_b32_e32 v2, 1, v2
	ds_write_b16_d16_hi v2, v24
	v_sub_u32_e32 v2, v60, v70
	v_sub_u32_e32 v3, v9, v2
	v_add_u32_e32 v3, 10, v3
	v_cmp_eq_u32_e32 vcc, 1, v4
	v_and_b32_e32 v4, 1, v44
	v_add_u32_e32 v69, v61, v44
	v_cndmask_b32_e32 v2, v3, v2, vcc
	v_lshlrev_b32_e32 v2, 1, v2
	ds_write_b16 v2, v25
	v_sub_u32_e32 v2, v61, v70
	v_sub_u32_e32 v3, v9, v2
	v_add_u32_e32 v3, 11, v3
	v_cmp_eq_u32_e32 vcc, 1, v4
	v_and_b32_e32 v4, 1, v5
	v_add_u32_e32 v56, v69, v56
	v_cndmask_b32_e32 v2, v3, v2, vcc
	v_lshlrev_b32_e32 v2, 1, v2
	ds_write_b16_d16_hi v2, v25
	v_sub_u32_e32 v2, v69, v70
	v_sub_u32_e32 v3, v9, v2
	v_add_u32_e32 v3, 12, v3
	v_cmp_eq_u32_e32 vcc, 1, v4
	v_lshrrev_b32_e32 v32, 8, v5
	v_and_b32_e32 v4, 1, v32
	v_cndmask_b32_e32 v2, v3, v2, vcc
	v_lshlrev_b32_e32 v2, 1, v2
	ds_write_b16 v2, v22
	v_sub_u32_e32 v2, v56, v70
	v_sub_u32_e32 v3, v9, v2
	v_add_u32_e32 v3, 13, v3
	v_cmp_eq_u32_e32 vcc, 1, v4
	v_add_u32_e32 v57, v56, v57
	v_and_b32_sdwa v4, v36, v5 dst_sel:DWORD dst_unused:UNUSED_PAD src0_sel:DWORD src1_sel:WORD_1
	v_cndmask_b32_e32 v2, v3, v2, vcc
	v_lshlrev_b32_e32 v2, 1, v2
	ds_write_b16_d16_hi v2, v22
	v_sub_u32_e32 v2, v57, v70
	v_sub_u32_e32 v3, v9, v2
	v_add_u32_e32 v3, 14, v3
	v_cmp_eq_u32_e32 vcc, 1, v4
	v_add_u32_e32 v58, v57, v58
	v_and_b32_e32 v4, 1, v43
	v_cndmask_b32_e32 v2, v3, v2, vcc
	v_lshlrev_b32_e32 v2, 1, v2
	ds_write_b16 v2, v23
	v_sub_u32_e32 v2, v58, v70
	v_sub_u32_e32 v3, v9, v2
	v_add_u32_e32 v3, 15, v3
	v_cmp_eq_u32_e32 vcc, 1, v4
	v_add_u32_e32 v71, v58, v43
	v_and_b32_e32 v4, 1, v6
	v_cndmask_b32_e32 v2, v3, v2, vcc
	v_lshlrev_b32_e32 v2, 1, v2
	ds_write_b16_d16_hi v2, v23
	v_sub_u32_e32 v2, v71, v70
	v_sub_u32_e32 v3, v9, v2
	v_add_u32_e32 v3, 16, v3
	v_cmp_eq_u32_e32 vcc, 1, v4
	v_add_u32_e32 v53, v71, v53
	v_lshrrev_b32_e32 v31, 8, v6
	v_cndmask_b32_e32 v2, v3, v2, vcc
	v_lshlrev_b32_e32 v2, 1, v2
	ds_write_b16 v2, v20
	v_sub_u32_e32 v2, v53, v70
	v_sub_u32_e32 v3, v9, v2
	v_and_b32_e32 v4, 1, v31
	v_add_u32_e32 v3, 17, v3
	v_cmp_eq_u32_e32 vcc, 1, v4
	v_add_u32_e32 v54, v53, v54
	v_and_b32_sdwa v4, v36, v6 dst_sel:DWORD dst_unused:UNUSED_PAD src0_sel:DWORD src1_sel:WORD_1
	v_cndmask_b32_e32 v2, v3, v2, vcc
	v_lshlrev_b32_e32 v2, 1, v2
	ds_write_b16_d16_hi v2, v20
	v_sub_u32_e32 v2, v54, v70
	v_sub_u32_e32 v3, v9, v2
	v_add_u32_e32 v3, 18, v3
	v_cmp_eq_u32_e32 vcc, 1, v4
	v_add_u32_e32 v55, v54, v55
	v_and_b32_e32 v4, 1, v42
	v_cndmask_b32_e32 v2, v3, v2, vcc
	v_lshlrev_b32_e32 v2, 1, v2
	ds_write_b16 v2, v21
	v_sub_u32_e32 v2, v55, v70
	v_sub_u32_e32 v3, v9, v2
	v_add_u32_e32 v3, 19, v3
	v_cmp_eq_u32_e32 vcc, 1, v4
	v_add_u32_e32 v72, v55, v42
	v_and_b32_e32 v4, 1, v7
	v_cndmask_b32_e32 v2, v3, v2, vcc
	v_lshlrev_b32_e32 v2, 1, v2
	ds_write_b16_d16_hi v2, v21
	v_sub_u32_e32 v2, v72, v70
	v_sub_u32_e32 v3, v9, v2
	v_add_u32_e32 v3, 20, v3
	v_cmp_eq_u32_e32 vcc, 1, v4
	v_add_u32_e32 v50, v72, v50
	v_lshrrev_b32_e32 v30, 8, v7
	v_cndmask_b32_e32 v2, v3, v2, vcc
	v_lshlrev_b32_e32 v2, 1, v2
	ds_write_b16 v2, v18
	v_sub_u32_e32 v2, v50, v70
	v_sub_u32_e32 v3, v9, v2
	v_and_b32_e32 v4, 1, v30
	;; [unrolled: 37-line block ×3, first 2 shown]
	v_add_u32_e32 v3, 25, v3
	v_cmp_eq_u32_e32 vcc, 1, v4
	v_add_u32_e32 v48, v47, v48
	v_and_b32_sdwa v4, v36, v8 dst_sel:DWORD dst_unused:UNUSED_PAD src0_sel:DWORD src1_sel:WORD_1
	v_cndmask_b32_e32 v2, v3, v2, vcc
	v_lshlrev_b32_e32 v2, 1, v2
	ds_write_b16_d16_hi v2, v16
	v_sub_u32_e32 v2, v48, v70
	v_sub_u32_e32 v3, v9, v2
	v_add_u32_e32 v3, 26, v3
	v_cmp_eq_u32_e32 vcc, 1, v4
	v_add_u32_e32 v49, v48, v49
	v_and_b32_e32 v4, 1, v39
	v_cndmask_b32_e32 v2, v3, v2, vcc
	v_lshlrev_b32_e32 v2, 1, v2
	ds_write_b16 v2, v17
	v_sub_u32_e32 v2, v49, v70
	v_sub_u32_e32 v3, v9, v2
	v_add_u32_e32 v3, 27, v3
	v_cmp_eq_u32_e32 vcc, 1, v4
	v_add_u32_e32 v74, v49, v39
	v_and_b32_e32 v4, 1, v38
	v_cndmask_b32_e32 v2, v3, v2, vcc
	v_lshlrev_b32_e32 v2, 1, v2
	ds_write_b16_d16_hi v2, v17
	v_sub_u32_e32 v2, v74, v70
	v_sub_u32_e32 v3, v9, v2
	v_add_u32_e32 v3, 28, v3
	v_cmp_eq_u32_e32 vcc, 1, v4
	v_and_b32_e32 v4, 1, v13
	s_add_u32 s0, s26, s24
	v_cndmask_b32_e32 v2, v3, v2, vcc
	v_lshlrev_b32_e32 v2, 1, v2
	ds_write_b16 v2, v1
	v_sub_u32_e32 v2, v40, v70
	v_add_u32_e32 v2, v74, v2
	v_sub_u32_e32 v3, v9, v2
	v_add_u32_e32 v3, 29, v3
	v_cmp_eq_u32_e32 vcc, 1, v4
	s_addc_u32 s1, s27, 0
	s_sub_u32 s0, s30, s0
	v_cndmask_b32_e32 v2, v3, v2, vcc
	v_lshlrev_b32_e32 v2, 1, v2
	ds_write_b16_d16_hi v2, v1
	s_waitcnt lgkmcnt(0)
	s_barrier
	ds_read_u16 v101, v12
	ds_read_u16 v100, v12 offset:1024
	ds_read_u16 v99, v12 offset:2048
	;; [unrolled: 1-line block ×29, first 2 shown]
	v_mov_b32_e32 v1, 0
	v_mov_b32_e32 v71, v1
	;; [unrolled: 1-line block ×3, first 2 shown]
	s_subb_u32 s1, s31, s1
	s_waitcnt vmcnt(0)
	v_lshl_add_u64 v[2:3], v[14:15], 0, v[70:71]
	v_lshl_add_u64 v[6:7], s[0:1], 0, v[10:11]
	v_or_b32_e32 v68, 0x200, v0
	v_mov_b32_e32 v69, v1
	v_or_b32_e32 v66, 0x400, v0
	v_mov_b32_e32 v67, v1
	;; [unrolled: 2-line block ×29, first 2 shown]
	s_andn2_b64 vcc, exec, s[34:35]
	v_lshl_add_u64 v[6:7], v[6:7], 0, v[2:3]
	s_cbranch_vccnz .LBB3635_298
; %bb.174:
	v_cmp_ge_u32_e32 vcc, v0, v10
                                        ; implicit-def: $vgpr12_vgpr13
	s_and_saveexec_b64 s[0:1], vcc
	s_xor_b64 s[0:1], exec, s[0:1]
; %bb.175:
	v_not_b32_e32 v12, v0
	v_ashrrev_i32_e32 v13, 31, v12
	v_lshl_add_u64 v[12:13], v[6:7], 0, v[12:13]
; %bb.176:
	s_andn2_saveexec_b64 s[0:1], s[0:1]
; %bb.177:
	v_lshl_add_u64 v[12:13], v[2:3], 0, v[0:1]
; %bb.178:
	s_or_b64 exec, exec, s[0:1]
	v_lshl_add_u64 v[12:13], v[12:13], 1, s[28:29]
	v_cmp_ge_u32_e32 vcc, v68, v10
	s_waitcnt lgkmcnt(14)
	global_store_short v[12:13], v101, off
                                        ; implicit-def: $vgpr12_vgpr13
	s_and_saveexec_b64 s[0:1], vcc
	s_xor_b64 s[0:1], exec, s[0:1]
; %bb.179:
	v_xor_b32_e32 v12, 0xfffffdff, v0
	v_ashrrev_i32_e32 v13, 31, v12
	v_lshl_add_u64 v[12:13], v[6:7], 0, v[12:13]
; %bb.180:
	s_andn2_saveexec_b64 s[0:1], s[0:1]
; %bb.181:
	v_lshl_add_u64 v[12:13], v[2:3], 0, v[68:69]
; %bb.182:
	s_or_b64 exec, exec, s[0:1]
	v_lshl_add_u64 v[12:13], v[12:13], 1, s[28:29]
	v_cmp_ge_u32_e32 vcc, v66, v10
	global_store_short v[12:13], v100, off
                                        ; implicit-def: $vgpr12_vgpr13
	s_and_saveexec_b64 s[0:1], vcc
	s_xor_b64 s[0:1], exec, s[0:1]
; %bb.183:
	v_xor_b32_e32 v12, 0xfffffbff, v0
	v_ashrrev_i32_e32 v13, 31, v12
	v_lshl_add_u64 v[12:13], v[6:7], 0, v[12:13]
; %bb.184:
	s_andn2_saveexec_b64 s[0:1], s[0:1]
; %bb.185:
	v_lshl_add_u64 v[12:13], v[2:3], 0, v[66:67]
; %bb.186:
	s_or_b64 exec, exec, s[0:1]
	v_lshl_add_u64 v[12:13], v[12:13], 1, s[28:29]
	v_cmp_ge_u32_e32 vcc, v64, v10
	;; [unrolled: 16-line block ×16, first 2 shown]
	s_waitcnt lgkmcnt(13)
	global_store_short v[12:13], v85, off
                                        ; implicit-def: $vgpr12_vgpr13
	s_and_saveexec_b64 s[0:1], vcc
	s_xor_b64 s[0:1], exec, s[0:1]
; %bb.243:
	v_xor_b32_e32 v12, 0xffffddff, v0
	v_ashrrev_i32_e32 v13, 31, v12
	v_lshl_add_u64 v[12:13], v[6:7], 0, v[12:13]
; %bb.244:
	s_andn2_saveexec_b64 s[0:1], s[0:1]
; %bb.245:
	v_lshl_add_u64 v[12:13], v[2:3], 0, v[36:37]
; %bb.246:
	s_or_b64 exec, exec, s[0:1]
	v_lshl_add_u64 v[12:13], v[12:13], 1, s[28:29]
	v_cmp_ge_u32_e32 vcc, v34, v10
	s_waitcnt lgkmcnt(12)
	global_store_short v[12:13], v84, off
                                        ; implicit-def: $vgpr12_vgpr13
	s_and_saveexec_b64 s[0:1], vcc
	s_xor_b64 s[0:1], exec, s[0:1]
; %bb.247:
	v_xor_b32_e32 v12, 0xffffdbff, v0
	v_ashrrev_i32_e32 v13, 31, v12
	v_lshl_add_u64 v[12:13], v[6:7], 0, v[12:13]
; %bb.248:
	s_andn2_saveexec_b64 s[0:1], s[0:1]
; %bb.249:
	v_lshl_add_u64 v[12:13], v[2:3], 0, v[34:35]
; %bb.250:
	s_or_b64 exec, exec, s[0:1]
	v_lshl_add_u64 v[12:13], v[12:13], 1, s[28:29]
	v_cmp_ge_u32_e32 vcc, v32, v10
	;; [unrolled: 17-line block ×12, first 2 shown]
	s_waitcnt lgkmcnt(1)
	global_store_short v[12:13], v73, off
                                        ; implicit-def: $vgpr12_vgpr13
	s_and_saveexec_b64 s[0:1], vcc
	s_xor_b64 s[0:1], exec, s[0:1]
; %bb.291:
	v_xor_b32_e32 v12, 0xffffc5ff, v0
	v_ashrrev_i32_e32 v13, 31, v12
	v_lshl_add_u64 v[12:13], v[6:7], 0, v[12:13]
; %bb.292:
	s_andn2_saveexec_b64 s[0:1], s[0:1]
; %bb.293:
	v_lshl_add_u64 v[12:13], v[2:3], 0, v[4:5]
; %bb.294:
	s_or_b64 exec, exec, s[0:1]
	s_mov_b64 s[0:1], -1
.LBB3635_295:
	s_and_saveexec_b64 s[2:3], s[0:1]
	s_cbranch_execz .LBB3635_386
.LBB3635_296:
	v_lshl_add_u64 v[0:1], v[12:13], 1, s[28:29]
	s_waitcnt lgkmcnt(0)
	global_store_short v[0:1], v72, off
	s_or_b64 exec, exec, s[2:3]
	s_and_b64 s[0:1], s[18:19], s[22:23]
	s_and_saveexec_b64 s[2:3], s[0:1]
	s_cbranch_execnz .LBB3635_387
.LBB3635_297:
	s_endpgm
.LBB3635_298:
	s_mov_b64 s[0:1], 0
                                        ; implicit-def: $vgpr12_vgpr13
	s_cbranch_execz .LBB3635_295
; %bb.299:
	v_cmp_gt_u32_e32 vcc, s33, v0
	s_and_saveexec_b64 s[2:3], vcc
	s_cbranch_execz .LBB3635_388
; %bb.300:
	v_cmp_ge_u32_e32 vcc, v0, v10
                                        ; implicit-def: $vgpr12_vgpr13
	s_and_saveexec_b64 s[4:5], vcc
	s_xor_b64 s[4:5], exec, s[4:5]
; %bb.301:
	v_not_b32_e32 v12, v0
	v_ashrrev_i32_e32 v13, 31, v12
	v_lshl_add_u64 v[12:13], v[6:7], 0, v[12:13]
; %bb.302:
	s_andn2_saveexec_b64 s[4:5], s[4:5]
; %bb.303:
	v_lshl_add_u64 v[12:13], v[2:3], 0, v[0:1]
; %bb.304:
	s_or_b64 exec, exec, s[4:5]
	v_lshl_add_u64 v[12:13], v[12:13], 1, s[28:29]
	s_waitcnt lgkmcnt(14)
	global_store_short v[12:13], v101, off
	s_or_b64 exec, exec, s[2:3]
	v_cmp_gt_u32_e32 vcc, s33, v68
	s_and_saveexec_b64 s[2:3], vcc
	s_cbranch_execnz .LBB3635_389
.LBB3635_305:
	s_or_b64 exec, exec, s[2:3]
	v_cmp_gt_u32_e32 vcc, s33, v66
	s_and_saveexec_b64 s[2:3], vcc
	s_cbranch_execz .LBB3635_394
.LBB3635_306:
	v_cmp_ge_u32_e32 vcc, v66, v10
                                        ; implicit-def: $vgpr12_vgpr13
	s_and_saveexec_b64 s[4:5], vcc
	s_xor_b64 s[4:5], exec, s[4:5]
; %bb.307:
	v_xor_b32_e32 v12, 0xfffffbff, v0
	v_ashrrev_i32_e32 v13, 31, v12
	v_lshl_add_u64 v[12:13], v[6:7], 0, v[12:13]
                                        ; implicit-def: $vgpr66_vgpr67
; %bb.308:
	s_andn2_saveexec_b64 s[4:5], s[4:5]
; %bb.309:
	v_lshl_add_u64 v[12:13], v[2:3], 0, v[66:67]
; %bb.310:
	s_or_b64 exec, exec, s[4:5]
	v_lshl_add_u64 v[12:13], v[12:13], 1, s[28:29]
	s_waitcnt lgkmcnt(14)
	global_store_short v[12:13], v99, off
	s_or_b64 exec, exec, s[2:3]
	v_cmp_gt_u32_e32 vcc, s33, v64
	s_and_saveexec_b64 s[2:3], vcc
	s_cbranch_execnz .LBB3635_395
.LBB3635_311:
	s_or_b64 exec, exec, s[2:3]
	v_cmp_gt_u32_e32 vcc, s33, v62
	s_and_saveexec_b64 s[2:3], vcc
	s_cbranch_execz .LBB3635_400
.LBB3635_312:
	v_cmp_ge_u32_e32 vcc, v62, v10
                                        ; implicit-def: $vgpr12_vgpr13
	s_and_saveexec_b64 s[4:5], vcc
	s_xor_b64 s[4:5], exec, s[4:5]
; %bb.313:
	v_xor_b32_e32 v12, 0xfffff7ff, v0
	v_ashrrev_i32_e32 v13, 31, v12
	v_lshl_add_u64 v[12:13], v[6:7], 0, v[12:13]
                                        ; implicit-def: $vgpr62_vgpr63
; %bb.314:
	s_andn2_saveexec_b64 s[4:5], s[4:5]
; %bb.315:
	v_lshl_add_u64 v[12:13], v[2:3], 0, v[62:63]
; %bb.316:
	s_or_b64 exec, exec, s[4:5]
	v_lshl_add_u64 v[12:13], v[12:13], 1, s[28:29]
	s_waitcnt lgkmcnt(14)
	global_store_short v[12:13], v97, off
	s_or_b64 exec, exec, s[2:3]
	v_cmp_gt_u32_e32 vcc, s33, v60
	s_and_saveexec_b64 s[2:3], vcc
	s_cbranch_execnz .LBB3635_401
.LBB3635_317:
	s_or_b64 exec, exec, s[2:3]
	v_cmp_gt_u32_e32 vcc, s33, v58
	s_and_saveexec_b64 s[2:3], vcc
	s_cbranch_execz .LBB3635_406
.LBB3635_318:
	v_cmp_ge_u32_e32 vcc, v58, v10
                                        ; implicit-def: $vgpr12_vgpr13
	s_and_saveexec_b64 s[4:5], vcc
	s_xor_b64 s[4:5], exec, s[4:5]
; %bb.319:
	v_xor_b32_e32 v12, 0xfffff3ff, v0
	v_ashrrev_i32_e32 v13, 31, v12
	v_lshl_add_u64 v[12:13], v[6:7], 0, v[12:13]
                                        ; implicit-def: $vgpr58_vgpr59
; %bb.320:
	s_andn2_saveexec_b64 s[4:5], s[4:5]
; %bb.321:
	v_lshl_add_u64 v[12:13], v[2:3], 0, v[58:59]
; %bb.322:
	s_or_b64 exec, exec, s[4:5]
	v_lshl_add_u64 v[12:13], v[12:13], 1, s[28:29]
	s_waitcnt lgkmcnt(14)
	global_store_short v[12:13], v95, off
	s_or_b64 exec, exec, s[2:3]
	v_cmp_gt_u32_e32 vcc, s33, v56
	s_and_saveexec_b64 s[2:3], vcc
	s_cbranch_execnz .LBB3635_407
.LBB3635_323:
	s_or_b64 exec, exec, s[2:3]
	v_cmp_gt_u32_e32 vcc, s33, v54
	s_and_saveexec_b64 s[2:3], vcc
	s_cbranch_execz .LBB3635_412
.LBB3635_324:
	v_cmp_ge_u32_e32 vcc, v54, v10
                                        ; implicit-def: $vgpr12_vgpr13
	s_and_saveexec_b64 s[4:5], vcc
	s_xor_b64 s[4:5], exec, s[4:5]
; %bb.325:
	v_xor_b32_e32 v12, 0xffffefff, v0
	v_ashrrev_i32_e32 v13, 31, v12
	v_lshl_add_u64 v[12:13], v[6:7], 0, v[12:13]
                                        ; implicit-def: $vgpr54_vgpr55
; %bb.326:
	s_andn2_saveexec_b64 s[4:5], s[4:5]
; %bb.327:
	v_lshl_add_u64 v[12:13], v[2:3], 0, v[54:55]
; %bb.328:
	s_or_b64 exec, exec, s[4:5]
	v_lshl_add_u64 v[12:13], v[12:13], 1, s[28:29]
	s_waitcnt lgkmcnt(14)
	global_store_short v[12:13], v93, off
	s_or_b64 exec, exec, s[2:3]
	v_cmp_gt_u32_e32 vcc, s33, v52
	s_and_saveexec_b64 s[2:3], vcc
	s_cbranch_execnz .LBB3635_413
.LBB3635_329:
	s_or_b64 exec, exec, s[2:3]
	v_cmp_gt_u32_e32 vcc, s33, v50
	s_and_saveexec_b64 s[2:3], vcc
	s_cbranch_execz .LBB3635_418
.LBB3635_330:
	v_cmp_ge_u32_e32 vcc, v50, v10
                                        ; implicit-def: $vgpr12_vgpr13
	s_and_saveexec_b64 s[4:5], vcc
	s_xor_b64 s[4:5], exec, s[4:5]
; %bb.331:
	v_xor_b32_e32 v12, 0xffffebff, v0
	v_ashrrev_i32_e32 v13, 31, v12
	v_lshl_add_u64 v[12:13], v[6:7], 0, v[12:13]
                                        ; implicit-def: $vgpr50_vgpr51
; %bb.332:
	s_andn2_saveexec_b64 s[4:5], s[4:5]
; %bb.333:
	v_lshl_add_u64 v[12:13], v[2:3], 0, v[50:51]
; %bb.334:
	s_or_b64 exec, exec, s[4:5]
	v_lshl_add_u64 v[12:13], v[12:13], 1, s[28:29]
	s_waitcnt lgkmcnt(14)
	global_store_short v[12:13], v91, off
	s_or_b64 exec, exec, s[2:3]
	v_cmp_gt_u32_e32 vcc, s33, v48
	s_and_saveexec_b64 s[2:3], vcc
	s_cbranch_execnz .LBB3635_419
.LBB3635_335:
	s_or_b64 exec, exec, s[2:3]
	v_cmp_gt_u32_e32 vcc, s33, v46
	s_and_saveexec_b64 s[2:3], vcc
	s_cbranch_execz .LBB3635_424
.LBB3635_336:
	v_cmp_ge_u32_e32 vcc, v46, v10
                                        ; implicit-def: $vgpr12_vgpr13
	s_and_saveexec_b64 s[4:5], vcc
	s_xor_b64 s[4:5], exec, s[4:5]
; %bb.337:
	v_xor_b32_e32 v12, 0xffffe7ff, v0
	v_ashrrev_i32_e32 v13, 31, v12
	v_lshl_add_u64 v[12:13], v[6:7], 0, v[12:13]
                                        ; implicit-def: $vgpr46_vgpr47
; %bb.338:
	s_andn2_saveexec_b64 s[4:5], s[4:5]
; %bb.339:
	v_lshl_add_u64 v[12:13], v[2:3], 0, v[46:47]
; %bb.340:
	s_or_b64 exec, exec, s[4:5]
	v_lshl_add_u64 v[12:13], v[12:13], 1, s[28:29]
	s_waitcnt lgkmcnt(14)
	global_store_short v[12:13], v89, off
	s_or_b64 exec, exec, s[2:3]
	v_cmp_gt_u32_e32 vcc, s33, v44
	s_and_saveexec_b64 s[2:3], vcc
	s_cbranch_execnz .LBB3635_425
.LBB3635_341:
	s_or_b64 exec, exec, s[2:3]
	v_cmp_gt_u32_e32 vcc, s33, v42
	s_and_saveexec_b64 s[2:3], vcc
	s_cbranch_execz .LBB3635_430
.LBB3635_342:
	v_cmp_ge_u32_e32 vcc, v42, v10
                                        ; implicit-def: $vgpr12_vgpr13
	s_and_saveexec_b64 s[4:5], vcc
	s_xor_b64 s[4:5], exec, s[4:5]
; %bb.343:
	v_xor_b32_e32 v12, 0xffffe3ff, v0
	v_ashrrev_i32_e32 v13, 31, v12
	v_lshl_add_u64 v[12:13], v[6:7], 0, v[12:13]
                                        ; implicit-def: $vgpr42_vgpr43
; %bb.344:
	s_andn2_saveexec_b64 s[4:5], s[4:5]
; %bb.345:
	v_lshl_add_u64 v[12:13], v[2:3], 0, v[42:43]
; %bb.346:
	s_or_b64 exec, exec, s[4:5]
	v_lshl_add_u64 v[12:13], v[12:13], 1, s[28:29]
	s_waitcnt lgkmcnt(14)
	global_store_short v[12:13], v87, off
	s_or_b64 exec, exec, s[2:3]
	v_cmp_gt_u32_e32 vcc, s33, v40
	s_and_saveexec_b64 s[2:3], vcc
	s_cbranch_execnz .LBB3635_431
.LBB3635_347:
	s_or_b64 exec, exec, s[2:3]
	v_cmp_gt_u32_e32 vcc, s33, v38
	s_and_saveexec_b64 s[2:3], vcc
	s_cbranch_execz .LBB3635_436
.LBB3635_348:
	v_cmp_ge_u32_e32 vcc, v38, v10
                                        ; implicit-def: $vgpr12_vgpr13
	s_and_saveexec_b64 s[4:5], vcc
	s_xor_b64 s[4:5], exec, s[4:5]
; %bb.349:
	v_xor_b32_e32 v12, 0xffffdfff, v0
	v_ashrrev_i32_e32 v13, 31, v12
	v_lshl_add_u64 v[12:13], v[6:7], 0, v[12:13]
                                        ; implicit-def: $vgpr38_vgpr39
; %bb.350:
	s_andn2_saveexec_b64 s[4:5], s[4:5]
; %bb.351:
	v_lshl_add_u64 v[12:13], v[2:3], 0, v[38:39]
; %bb.352:
	s_or_b64 exec, exec, s[4:5]
	v_lshl_add_u64 v[12:13], v[12:13], 1, s[28:29]
	s_waitcnt lgkmcnt(13)
	global_store_short v[12:13], v85, off
	s_or_b64 exec, exec, s[2:3]
	v_cmp_gt_u32_e32 vcc, s33, v36
	s_and_saveexec_b64 s[2:3], vcc
	s_cbranch_execnz .LBB3635_437
.LBB3635_353:
	s_or_b64 exec, exec, s[2:3]
	v_cmp_gt_u32_e32 vcc, s33, v34
	s_and_saveexec_b64 s[2:3], vcc
	s_cbranch_execz .LBB3635_442
.LBB3635_354:
	v_cmp_ge_u32_e32 vcc, v34, v10
                                        ; implicit-def: $vgpr12_vgpr13
	s_and_saveexec_b64 s[4:5], vcc
	s_xor_b64 s[4:5], exec, s[4:5]
; %bb.355:
	v_xor_b32_e32 v12, 0xffffdbff, v0
	v_ashrrev_i32_e32 v13, 31, v12
	v_lshl_add_u64 v[12:13], v[6:7], 0, v[12:13]
                                        ; implicit-def: $vgpr34_vgpr35
; %bb.356:
	s_andn2_saveexec_b64 s[4:5], s[4:5]
; %bb.357:
	v_lshl_add_u64 v[12:13], v[2:3], 0, v[34:35]
; %bb.358:
	s_or_b64 exec, exec, s[4:5]
	v_lshl_add_u64 v[12:13], v[12:13], 1, s[28:29]
	s_waitcnt lgkmcnt(11)
	global_store_short v[12:13], v83, off
	s_or_b64 exec, exec, s[2:3]
	v_cmp_gt_u32_e32 vcc, s33, v32
	s_and_saveexec_b64 s[2:3], vcc
	s_cbranch_execnz .LBB3635_443
.LBB3635_359:
	s_or_b64 exec, exec, s[2:3]
	v_cmp_gt_u32_e32 vcc, s33, v30
	s_and_saveexec_b64 s[2:3], vcc
	s_cbranch_execz .LBB3635_448
.LBB3635_360:
	v_cmp_ge_u32_e32 vcc, v30, v10
                                        ; implicit-def: $vgpr12_vgpr13
	s_and_saveexec_b64 s[4:5], vcc
	s_xor_b64 s[4:5], exec, s[4:5]
; %bb.361:
	v_xor_b32_e32 v12, 0xffffd7ff, v0
	v_ashrrev_i32_e32 v13, 31, v12
	v_lshl_add_u64 v[12:13], v[6:7], 0, v[12:13]
                                        ; implicit-def: $vgpr30_vgpr31
; %bb.362:
	s_andn2_saveexec_b64 s[4:5], s[4:5]
; %bb.363:
	v_lshl_add_u64 v[12:13], v[2:3], 0, v[30:31]
; %bb.364:
	s_or_b64 exec, exec, s[4:5]
	v_lshl_add_u64 v[12:13], v[12:13], 1, s[28:29]
	s_waitcnt lgkmcnt(9)
	global_store_short v[12:13], v81, off
	s_or_b64 exec, exec, s[2:3]
	v_cmp_gt_u32_e32 vcc, s33, v28
	s_and_saveexec_b64 s[2:3], vcc
	s_cbranch_execnz .LBB3635_449
.LBB3635_365:
	s_or_b64 exec, exec, s[2:3]
	v_cmp_gt_u32_e32 vcc, s33, v26
	s_and_saveexec_b64 s[2:3], vcc
	s_cbranch_execz .LBB3635_454
.LBB3635_366:
	v_cmp_ge_u32_e32 vcc, v26, v10
                                        ; implicit-def: $vgpr12_vgpr13
	s_and_saveexec_b64 s[4:5], vcc
	s_xor_b64 s[4:5], exec, s[4:5]
; %bb.367:
	v_xor_b32_e32 v12, 0xffffd3ff, v0
	v_ashrrev_i32_e32 v13, 31, v12
	v_lshl_add_u64 v[12:13], v[6:7], 0, v[12:13]
                                        ; implicit-def: $vgpr26_vgpr27
; %bb.368:
	s_andn2_saveexec_b64 s[4:5], s[4:5]
; %bb.369:
	v_lshl_add_u64 v[12:13], v[2:3], 0, v[26:27]
; %bb.370:
	s_or_b64 exec, exec, s[4:5]
	v_lshl_add_u64 v[12:13], v[12:13], 1, s[28:29]
	s_waitcnt lgkmcnt(7)
	global_store_short v[12:13], v79, off
	s_or_b64 exec, exec, s[2:3]
	v_cmp_gt_u32_e32 vcc, s33, v24
	s_and_saveexec_b64 s[2:3], vcc
	s_cbranch_execnz .LBB3635_455
.LBB3635_371:
	s_or_b64 exec, exec, s[2:3]
	v_cmp_gt_u32_e32 vcc, s33, v22
	s_and_saveexec_b64 s[2:3], vcc
	s_cbranch_execz .LBB3635_460
.LBB3635_372:
	v_cmp_ge_u32_e32 vcc, v22, v10
                                        ; implicit-def: $vgpr12_vgpr13
	s_and_saveexec_b64 s[4:5], vcc
	s_xor_b64 s[4:5], exec, s[4:5]
; %bb.373:
	v_xor_b32_e32 v12, 0xffffcfff, v0
	v_ashrrev_i32_e32 v13, 31, v12
	v_lshl_add_u64 v[12:13], v[6:7], 0, v[12:13]
                                        ; implicit-def: $vgpr22_vgpr23
; %bb.374:
	s_andn2_saveexec_b64 s[4:5], s[4:5]
; %bb.375:
	v_lshl_add_u64 v[12:13], v[2:3], 0, v[22:23]
; %bb.376:
	s_or_b64 exec, exec, s[4:5]
	v_lshl_add_u64 v[12:13], v[12:13], 1, s[28:29]
	s_waitcnt lgkmcnt(5)
	global_store_short v[12:13], v77, off
	s_or_b64 exec, exec, s[2:3]
	v_cmp_gt_u32_e32 vcc, s33, v20
	s_and_saveexec_b64 s[2:3], vcc
	s_cbranch_execnz .LBB3635_461
.LBB3635_377:
	s_or_b64 exec, exec, s[2:3]
	v_cmp_gt_u32_e32 vcc, s33, v18
	s_and_saveexec_b64 s[2:3], vcc
	s_cbranch_execz .LBB3635_466
.LBB3635_378:
	v_cmp_ge_u32_e32 vcc, v18, v10
                                        ; implicit-def: $vgpr12_vgpr13
	s_and_saveexec_b64 s[4:5], vcc
	s_xor_b64 s[4:5], exec, s[4:5]
; %bb.379:
	v_xor_b32_e32 v12, 0xffffcbff, v0
	v_ashrrev_i32_e32 v13, 31, v12
	v_lshl_add_u64 v[12:13], v[6:7], 0, v[12:13]
                                        ; implicit-def: $vgpr18_vgpr19
; %bb.380:
	s_andn2_saveexec_b64 s[4:5], s[4:5]
; %bb.381:
	v_lshl_add_u64 v[12:13], v[2:3], 0, v[18:19]
; %bb.382:
	s_or_b64 exec, exec, s[4:5]
	v_lshl_add_u64 v[12:13], v[12:13], 1, s[28:29]
	s_waitcnt lgkmcnt(3)
	global_store_short v[12:13], v75, off
	s_or_b64 exec, exec, s[2:3]
	v_cmp_gt_u32_e32 vcc, s33, v16
	s_and_saveexec_b64 s[2:3], vcc
	s_cbranch_execnz .LBB3635_467
.LBB3635_383:
	s_or_b64 exec, exec, s[2:3]
	v_cmp_gt_u32_e32 vcc, s33, v8
	s_and_saveexec_b64 s[2:3], vcc
	s_cbranch_execnz .LBB3635_472
.LBB3635_384:
	s_or_b64 exec, exec, s[2:3]
	v_cmp_gt_u32_e32 vcc, s33, v4
                                        ; implicit-def: $vgpr12_vgpr13
	s_and_saveexec_b64 s[2:3], vcc
	s_cbranch_execnz .LBB3635_477
.LBB3635_385:
	s_or_b64 exec, exec, s[2:3]
	s_and_saveexec_b64 s[2:3], s[0:1]
	s_cbranch_execnz .LBB3635_296
.LBB3635_386:
	s_or_b64 exec, exec, s[2:3]
	s_and_b64 s[0:1], s[18:19], s[22:23]
	s_and_saveexec_b64 s[2:3], s[0:1]
	s_cbranch_execz .LBB3635_297
.LBB3635_387:
	v_mov_b32_e32 v4, 0
	v_lshl_add_u64 v[0:1], v[2:3], 0, v[10:11]
	global_store_dwordx2 v4, v[0:1], s[20:21]
	s_endpgm
.LBB3635_388:
	s_or_b64 exec, exec, s[2:3]
	v_cmp_gt_u32_e32 vcc, s33, v68
	s_and_saveexec_b64 s[2:3], vcc
	s_cbranch_execz .LBB3635_305
.LBB3635_389:
	v_cmp_ge_u32_e32 vcc, v68, v10
                                        ; implicit-def: $vgpr12_vgpr13
	s_and_saveexec_b64 s[4:5], vcc
	s_xor_b64 s[4:5], exec, s[4:5]
; %bb.390:
	v_xor_b32_e32 v12, 0xfffffdff, v0
	v_ashrrev_i32_e32 v13, 31, v12
	v_lshl_add_u64 v[12:13], v[6:7], 0, v[12:13]
                                        ; implicit-def: $vgpr68_vgpr69
; %bb.391:
	s_andn2_saveexec_b64 s[4:5], s[4:5]
; %bb.392:
	v_lshl_add_u64 v[12:13], v[2:3], 0, v[68:69]
; %bb.393:
	s_or_b64 exec, exec, s[4:5]
	v_lshl_add_u64 v[12:13], v[12:13], 1, s[28:29]
	s_waitcnt lgkmcnt(14)
	global_store_short v[12:13], v100, off
	s_or_b64 exec, exec, s[2:3]
	v_cmp_gt_u32_e32 vcc, s33, v66
	s_and_saveexec_b64 s[2:3], vcc
	s_cbranch_execnz .LBB3635_306
.LBB3635_394:
	s_or_b64 exec, exec, s[2:3]
	v_cmp_gt_u32_e32 vcc, s33, v64
	s_and_saveexec_b64 s[2:3], vcc
	s_cbranch_execz .LBB3635_311
.LBB3635_395:
	v_cmp_ge_u32_e32 vcc, v64, v10
                                        ; implicit-def: $vgpr12_vgpr13
	s_and_saveexec_b64 s[4:5], vcc
	s_xor_b64 s[4:5], exec, s[4:5]
; %bb.396:
	v_xor_b32_e32 v12, 0xfffff9ff, v0
	v_ashrrev_i32_e32 v13, 31, v12
	v_lshl_add_u64 v[12:13], v[6:7], 0, v[12:13]
                                        ; implicit-def: $vgpr64_vgpr65
; %bb.397:
	s_andn2_saveexec_b64 s[4:5], s[4:5]
; %bb.398:
	v_lshl_add_u64 v[12:13], v[2:3], 0, v[64:65]
; %bb.399:
	s_or_b64 exec, exec, s[4:5]
	v_lshl_add_u64 v[12:13], v[12:13], 1, s[28:29]
	s_waitcnt lgkmcnt(14)
	global_store_short v[12:13], v98, off
	s_or_b64 exec, exec, s[2:3]
	v_cmp_gt_u32_e32 vcc, s33, v62
	s_and_saveexec_b64 s[2:3], vcc
	s_cbranch_execnz .LBB3635_312
.LBB3635_400:
	s_or_b64 exec, exec, s[2:3]
	v_cmp_gt_u32_e32 vcc, s33, v60
	s_and_saveexec_b64 s[2:3], vcc
	s_cbranch_execz .LBB3635_317
.LBB3635_401:
	v_cmp_ge_u32_e32 vcc, v60, v10
                                        ; implicit-def: $vgpr12_vgpr13
	s_and_saveexec_b64 s[4:5], vcc
	s_xor_b64 s[4:5], exec, s[4:5]
; %bb.402:
	v_xor_b32_e32 v12, 0xfffff5ff, v0
	v_ashrrev_i32_e32 v13, 31, v12
	v_lshl_add_u64 v[12:13], v[6:7], 0, v[12:13]
                                        ; implicit-def: $vgpr60_vgpr61
; %bb.403:
	s_andn2_saveexec_b64 s[4:5], s[4:5]
; %bb.404:
	v_lshl_add_u64 v[12:13], v[2:3], 0, v[60:61]
; %bb.405:
	s_or_b64 exec, exec, s[4:5]
	v_lshl_add_u64 v[12:13], v[12:13], 1, s[28:29]
	s_waitcnt lgkmcnt(14)
	global_store_short v[12:13], v96, off
	s_or_b64 exec, exec, s[2:3]
	v_cmp_gt_u32_e32 vcc, s33, v58
	s_and_saveexec_b64 s[2:3], vcc
	s_cbranch_execnz .LBB3635_318
.LBB3635_406:
	s_or_b64 exec, exec, s[2:3]
	v_cmp_gt_u32_e32 vcc, s33, v56
	s_and_saveexec_b64 s[2:3], vcc
	s_cbranch_execz .LBB3635_323
.LBB3635_407:
	v_cmp_ge_u32_e32 vcc, v56, v10
                                        ; implicit-def: $vgpr12_vgpr13
	s_and_saveexec_b64 s[4:5], vcc
	s_xor_b64 s[4:5], exec, s[4:5]
; %bb.408:
	v_xor_b32_e32 v12, 0xfffff1ff, v0
	v_ashrrev_i32_e32 v13, 31, v12
	v_lshl_add_u64 v[12:13], v[6:7], 0, v[12:13]
                                        ; implicit-def: $vgpr56_vgpr57
; %bb.409:
	s_andn2_saveexec_b64 s[4:5], s[4:5]
; %bb.410:
	v_lshl_add_u64 v[12:13], v[2:3], 0, v[56:57]
; %bb.411:
	s_or_b64 exec, exec, s[4:5]
	v_lshl_add_u64 v[12:13], v[12:13], 1, s[28:29]
	s_waitcnt lgkmcnt(14)
	global_store_short v[12:13], v94, off
	s_or_b64 exec, exec, s[2:3]
	v_cmp_gt_u32_e32 vcc, s33, v54
	s_and_saveexec_b64 s[2:3], vcc
	s_cbranch_execnz .LBB3635_324
.LBB3635_412:
	s_or_b64 exec, exec, s[2:3]
	v_cmp_gt_u32_e32 vcc, s33, v52
	s_and_saveexec_b64 s[2:3], vcc
	s_cbranch_execz .LBB3635_329
.LBB3635_413:
	v_cmp_ge_u32_e32 vcc, v52, v10
                                        ; implicit-def: $vgpr12_vgpr13
	s_and_saveexec_b64 s[4:5], vcc
	s_xor_b64 s[4:5], exec, s[4:5]
; %bb.414:
	v_xor_b32_e32 v12, 0xffffedff, v0
	v_ashrrev_i32_e32 v13, 31, v12
	v_lshl_add_u64 v[12:13], v[6:7], 0, v[12:13]
                                        ; implicit-def: $vgpr52_vgpr53
; %bb.415:
	s_andn2_saveexec_b64 s[4:5], s[4:5]
; %bb.416:
	v_lshl_add_u64 v[12:13], v[2:3], 0, v[52:53]
; %bb.417:
	s_or_b64 exec, exec, s[4:5]
	v_lshl_add_u64 v[12:13], v[12:13], 1, s[28:29]
	s_waitcnt lgkmcnt(14)
	global_store_short v[12:13], v92, off
	s_or_b64 exec, exec, s[2:3]
	v_cmp_gt_u32_e32 vcc, s33, v50
	s_and_saveexec_b64 s[2:3], vcc
	s_cbranch_execnz .LBB3635_330
.LBB3635_418:
	s_or_b64 exec, exec, s[2:3]
	v_cmp_gt_u32_e32 vcc, s33, v48
	s_and_saveexec_b64 s[2:3], vcc
	s_cbranch_execz .LBB3635_335
.LBB3635_419:
	v_cmp_ge_u32_e32 vcc, v48, v10
                                        ; implicit-def: $vgpr12_vgpr13
	s_and_saveexec_b64 s[4:5], vcc
	s_xor_b64 s[4:5], exec, s[4:5]
; %bb.420:
	v_xor_b32_e32 v12, 0xffffe9ff, v0
	v_ashrrev_i32_e32 v13, 31, v12
	v_lshl_add_u64 v[12:13], v[6:7], 0, v[12:13]
                                        ; implicit-def: $vgpr48_vgpr49
; %bb.421:
	s_andn2_saveexec_b64 s[4:5], s[4:5]
; %bb.422:
	v_lshl_add_u64 v[12:13], v[2:3], 0, v[48:49]
; %bb.423:
	s_or_b64 exec, exec, s[4:5]
	v_lshl_add_u64 v[12:13], v[12:13], 1, s[28:29]
	s_waitcnt lgkmcnt(14)
	global_store_short v[12:13], v90, off
	s_or_b64 exec, exec, s[2:3]
	v_cmp_gt_u32_e32 vcc, s33, v46
	s_and_saveexec_b64 s[2:3], vcc
	s_cbranch_execnz .LBB3635_336
.LBB3635_424:
	s_or_b64 exec, exec, s[2:3]
	v_cmp_gt_u32_e32 vcc, s33, v44
	s_and_saveexec_b64 s[2:3], vcc
	s_cbranch_execz .LBB3635_341
.LBB3635_425:
	v_cmp_ge_u32_e32 vcc, v44, v10
                                        ; implicit-def: $vgpr12_vgpr13
	s_and_saveexec_b64 s[4:5], vcc
	s_xor_b64 s[4:5], exec, s[4:5]
; %bb.426:
	v_xor_b32_e32 v12, 0xffffe5ff, v0
	v_ashrrev_i32_e32 v13, 31, v12
	v_lshl_add_u64 v[12:13], v[6:7], 0, v[12:13]
                                        ; implicit-def: $vgpr44_vgpr45
; %bb.427:
	s_andn2_saveexec_b64 s[4:5], s[4:5]
; %bb.428:
	v_lshl_add_u64 v[12:13], v[2:3], 0, v[44:45]
; %bb.429:
	s_or_b64 exec, exec, s[4:5]
	v_lshl_add_u64 v[12:13], v[12:13], 1, s[28:29]
	s_waitcnt lgkmcnt(14)
	global_store_short v[12:13], v88, off
	s_or_b64 exec, exec, s[2:3]
	v_cmp_gt_u32_e32 vcc, s33, v42
	s_and_saveexec_b64 s[2:3], vcc
	s_cbranch_execnz .LBB3635_342
.LBB3635_430:
	s_or_b64 exec, exec, s[2:3]
	v_cmp_gt_u32_e32 vcc, s33, v40
	s_and_saveexec_b64 s[2:3], vcc
	s_cbranch_execz .LBB3635_347
.LBB3635_431:
	v_cmp_ge_u32_e32 vcc, v40, v10
                                        ; implicit-def: $vgpr12_vgpr13
	s_and_saveexec_b64 s[4:5], vcc
	s_xor_b64 s[4:5], exec, s[4:5]
; %bb.432:
	v_xor_b32_e32 v12, 0xffffe1ff, v0
	v_ashrrev_i32_e32 v13, 31, v12
	v_lshl_add_u64 v[12:13], v[6:7], 0, v[12:13]
                                        ; implicit-def: $vgpr40_vgpr41
; %bb.433:
	s_andn2_saveexec_b64 s[4:5], s[4:5]
; %bb.434:
	v_lshl_add_u64 v[12:13], v[2:3], 0, v[40:41]
; %bb.435:
	s_or_b64 exec, exec, s[4:5]
	v_lshl_add_u64 v[12:13], v[12:13], 1, s[28:29]
	s_waitcnt lgkmcnt(14)
	global_store_short v[12:13], v86, off
	s_or_b64 exec, exec, s[2:3]
	v_cmp_gt_u32_e32 vcc, s33, v38
	s_and_saveexec_b64 s[2:3], vcc
	s_cbranch_execnz .LBB3635_348
.LBB3635_436:
	s_or_b64 exec, exec, s[2:3]
	v_cmp_gt_u32_e32 vcc, s33, v36
	s_and_saveexec_b64 s[2:3], vcc
	s_cbranch_execz .LBB3635_353
.LBB3635_437:
	v_cmp_ge_u32_e32 vcc, v36, v10
                                        ; implicit-def: $vgpr12_vgpr13
	s_and_saveexec_b64 s[4:5], vcc
	s_xor_b64 s[4:5], exec, s[4:5]
; %bb.438:
	v_xor_b32_e32 v12, 0xffffddff, v0
	v_ashrrev_i32_e32 v13, 31, v12
	v_lshl_add_u64 v[12:13], v[6:7], 0, v[12:13]
                                        ; implicit-def: $vgpr36_vgpr37
; %bb.439:
	s_andn2_saveexec_b64 s[4:5], s[4:5]
; %bb.440:
	v_lshl_add_u64 v[12:13], v[2:3], 0, v[36:37]
; %bb.441:
	s_or_b64 exec, exec, s[4:5]
	v_lshl_add_u64 v[12:13], v[12:13], 1, s[28:29]
	s_waitcnt lgkmcnt(12)
	global_store_short v[12:13], v84, off
	s_or_b64 exec, exec, s[2:3]
	v_cmp_gt_u32_e32 vcc, s33, v34
	s_and_saveexec_b64 s[2:3], vcc
	s_cbranch_execnz .LBB3635_354
.LBB3635_442:
	s_or_b64 exec, exec, s[2:3]
	v_cmp_gt_u32_e32 vcc, s33, v32
	s_and_saveexec_b64 s[2:3], vcc
	s_cbranch_execz .LBB3635_359
.LBB3635_443:
	v_cmp_ge_u32_e32 vcc, v32, v10
                                        ; implicit-def: $vgpr12_vgpr13
	s_and_saveexec_b64 s[4:5], vcc
	s_xor_b64 s[4:5], exec, s[4:5]
; %bb.444:
	v_xor_b32_e32 v12, 0xffffd9ff, v0
	v_ashrrev_i32_e32 v13, 31, v12
	v_lshl_add_u64 v[12:13], v[6:7], 0, v[12:13]
                                        ; implicit-def: $vgpr32_vgpr33
; %bb.445:
	s_andn2_saveexec_b64 s[4:5], s[4:5]
; %bb.446:
	v_lshl_add_u64 v[12:13], v[2:3], 0, v[32:33]
; %bb.447:
	s_or_b64 exec, exec, s[4:5]
	v_lshl_add_u64 v[12:13], v[12:13], 1, s[28:29]
	s_waitcnt lgkmcnt(10)
	global_store_short v[12:13], v82, off
	s_or_b64 exec, exec, s[2:3]
	v_cmp_gt_u32_e32 vcc, s33, v30
	s_and_saveexec_b64 s[2:3], vcc
	s_cbranch_execnz .LBB3635_360
.LBB3635_448:
	s_or_b64 exec, exec, s[2:3]
	v_cmp_gt_u32_e32 vcc, s33, v28
	s_and_saveexec_b64 s[2:3], vcc
	s_cbranch_execz .LBB3635_365
.LBB3635_449:
	v_cmp_ge_u32_e32 vcc, v28, v10
                                        ; implicit-def: $vgpr12_vgpr13
	s_and_saveexec_b64 s[4:5], vcc
	s_xor_b64 s[4:5], exec, s[4:5]
; %bb.450:
	v_xor_b32_e32 v12, 0xffffd5ff, v0
	v_ashrrev_i32_e32 v13, 31, v12
	v_lshl_add_u64 v[12:13], v[6:7], 0, v[12:13]
                                        ; implicit-def: $vgpr28_vgpr29
; %bb.451:
	s_andn2_saveexec_b64 s[4:5], s[4:5]
; %bb.452:
	v_lshl_add_u64 v[12:13], v[2:3], 0, v[28:29]
; %bb.453:
	s_or_b64 exec, exec, s[4:5]
	v_lshl_add_u64 v[12:13], v[12:13], 1, s[28:29]
	s_waitcnt lgkmcnt(8)
	global_store_short v[12:13], v80, off
	s_or_b64 exec, exec, s[2:3]
	v_cmp_gt_u32_e32 vcc, s33, v26
	s_and_saveexec_b64 s[2:3], vcc
	s_cbranch_execnz .LBB3635_366
.LBB3635_454:
	s_or_b64 exec, exec, s[2:3]
	v_cmp_gt_u32_e32 vcc, s33, v24
	s_and_saveexec_b64 s[2:3], vcc
	s_cbranch_execz .LBB3635_371
.LBB3635_455:
	v_cmp_ge_u32_e32 vcc, v24, v10
                                        ; implicit-def: $vgpr12_vgpr13
	s_and_saveexec_b64 s[4:5], vcc
	s_xor_b64 s[4:5], exec, s[4:5]
; %bb.456:
	v_xor_b32_e32 v12, 0xffffd1ff, v0
	v_ashrrev_i32_e32 v13, 31, v12
	v_lshl_add_u64 v[12:13], v[6:7], 0, v[12:13]
                                        ; implicit-def: $vgpr24_vgpr25
; %bb.457:
	s_andn2_saveexec_b64 s[4:5], s[4:5]
; %bb.458:
	v_lshl_add_u64 v[12:13], v[2:3], 0, v[24:25]
; %bb.459:
	s_or_b64 exec, exec, s[4:5]
	v_lshl_add_u64 v[12:13], v[12:13], 1, s[28:29]
	s_waitcnt lgkmcnt(6)
	global_store_short v[12:13], v78, off
	s_or_b64 exec, exec, s[2:3]
	v_cmp_gt_u32_e32 vcc, s33, v22
	s_and_saveexec_b64 s[2:3], vcc
	s_cbranch_execnz .LBB3635_372
.LBB3635_460:
	s_or_b64 exec, exec, s[2:3]
	v_cmp_gt_u32_e32 vcc, s33, v20
	s_and_saveexec_b64 s[2:3], vcc
	s_cbranch_execz .LBB3635_377
.LBB3635_461:
	v_cmp_ge_u32_e32 vcc, v20, v10
                                        ; implicit-def: $vgpr12_vgpr13
	s_and_saveexec_b64 s[4:5], vcc
	s_xor_b64 s[4:5], exec, s[4:5]
; %bb.462:
	v_xor_b32_e32 v12, 0xffffcdff, v0
	v_ashrrev_i32_e32 v13, 31, v12
	v_lshl_add_u64 v[12:13], v[6:7], 0, v[12:13]
                                        ; implicit-def: $vgpr20_vgpr21
; %bb.463:
	s_andn2_saveexec_b64 s[4:5], s[4:5]
; %bb.464:
	v_lshl_add_u64 v[12:13], v[2:3], 0, v[20:21]
; %bb.465:
	s_or_b64 exec, exec, s[4:5]
	v_lshl_add_u64 v[12:13], v[12:13], 1, s[28:29]
	s_waitcnt lgkmcnt(4)
	global_store_short v[12:13], v76, off
	s_or_b64 exec, exec, s[2:3]
	v_cmp_gt_u32_e32 vcc, s33, v18
	s_and_saveexec_b64 s[2:3], vcc
	s_cbranch_execnz .LBB3635_378
.LBB3635_466:
	s_or_b64 exec, exec, s[2:3]
	v_cmp_gt_u32_e32 vcc, s33, v16
	s_and_saveexec_b64 s[2:3], vcc
	s_cbranch_execz .LBB3635_383
.LBB3635_467:
	v_cmp_ge_u32_e32 vcc, v16, v10
                                        ; implicit-def: $vgpr12_vgpr13
	s_and_saveexec_b64 s[4:5], vcc
	s_xor_b64 s[4:5], exec, s[4:5]
; %bb.468:
	v_xor_b32_e32 v12, 0xffffc9ff, v0
	v_ashrrev_i32_e32 v13, 31, v12
	v_lshl_add_u64 v[12:13], v[6:7], 0, v[12:13]
                                        ; implicit-def: $vgpr16_vgpr17
; %bb.469:
	s_andn2_saveexec_b64 s[4:5], s[4:5]
; %bb.470:
	v_lshl_add_u64 v[12:13], v[2:3], 0, v[16:17]
; %bb.471:
	s_or_b64 exec, exec, s[4:5]
	v_lshl_add_u64 v[12:13], v[12:13], 1, s[28:29]
	s_waitcnt lgkmcnt(2)
	global_store_short v[12:13], v74, off
	s_or_b64 exec, exec, s[2:3]
	v_cmp_gt_u32_e32 vcc, s33, v8
	s_and_saveexec_b64 s[2:3], vcc
	s_cbranch_execz .LBB3635_384
.LBB3635_472:
	v_cmp_ge_u32_e32 vcc, v8, v10
                                        ; implicit-def: $vgpr12_vgpr13
	s_and_saveexec_b64 s[4:5], vcc
	s_xor_b64 s[4:5], exec, s[4:5]
; %bb.473:
	v_xor_b32_e32 v8, 0xffffc7ff, v0
	v_ashrrev_i32_e32 v9, 31, v8
	v_lshl_add_u64 v[12:13], v[6:7], 0, v[8:9]
                                        ; implicit-def: $vgpr8_vgpr9
; %bb.474:
	s_andn2_saveexec_b64 s[4:5], s[4:5]
; %bb.475:
	v_lshl_add_u64 v[12:13], v[2:3], 0, v[8:9]
; %bb.476:
	s_or_b64 exec, exec, s[4:5]
	v_lshl_add_u64 v[8:9], v[12:13], 1, s[28:29]
	s_waitcnt lgkmcnt(1)
	global_store_short v[8:9], v73, off
	s_or_b64 exec, exec, s[2:3]
	v_cmp_gt_u32_e32 vcc, s33, v4
                                        ; implicit-def: $vgpr12_vgpr13
	s_and_saveexec_b64 s[2:3], vcc
	s_cbranch_execz .LBB3635_385
.LBB3635_477:
	v_cmp_ge_u32_e32 vcc, v4, v10
                                        ; implicit-def: $vgpr12_vgpr13
	s_and_saveexec_b64 s[4:5], vcc
	s_xor_b64 s[4:5], exec, s[4:5]
; %bb.478:
	v_xor_b32_e32 v0, 0xffffc5ff, v0
	v_ashrrev_i32_e32 v1, 31, v0
	v_lshl_add_u64 v[12:13], v[6:7], 0, v[0:1]
                                        ; implicit-def: $vgpr4_vgpr5
; %bb.479:
	s_andn2_saveexec_b64 s[4:5], s[4:5]
; %bb.480:
	v_lshl_add_u64 v[12:13], v[2:3], 0, v[4:5]
; %bb.481:
	s_or_b64 exec, exec, s[4:5]
	s_or_b64 s[0:1], s[0:1], exec
	s_or_b64 exec, exec, s[2:3]
	s_and_saveexec_b64 s[2:3], s[0:1]
	s_cbranch_execnz .LBB3635_296
	s_branch .LBB3635_386
	.section	.rodata,"a",@progbits
	.p2align	6, 0x0
	.amdhsa_kernel _ZN7rocprim17ROCPRIM_400000_NS6detail17trampoline_kernelINS0_14default_configENS1_25partition_config_selectorILNS1_17partition_subalgoE2EsNS0_10empty_typeEbEEZZNS1_14partition_implILS5_2ELb0ES3_jN6thrust23THRUST_200600_302600_NS6detail15normal_iteratorINSA_7pointerIsNSA_11hip_rocprim3tagENSA_11use_defaultESG_EEEEPS6_NSA_18transform_iteratorI10is_orderedNSA_12zip_iteratorINSA_5tupleINSC_INSA_10device_ptrIsEEEESQ_NSA_9null_typeESR_SR_SR_SR_SR_SR_SR_EEEESG_SG_EENS0_5tupleIJPsSJ_EEENSV_IJSJ_SJ_EEES6_PlJS6_EEE10hipError_tPvRmT3_T4_T5_T6_T7_T9_mT8_P12ihipStream_tbDpT10_ENKUlT_T0_E_clISt17integral_constantIbLb1EES1J_EEDaS1E_S1F_EUlS1E_E_NS1_11comp_targetILNS1_3genE5ELNS1_11target_archE942ELNS1_3gpuE9ELNS1_3repE0EEENS1_30default_config_static_selectorELNS0_4arch9wavefront6targetE1EEEvT1_
		.amdhsa_group_segment_fixed_size 30728
		.amdhsa_private_segment_fixed_size 0
		.amdhsa_kernarg_size 152
		.amdhsa_user_sgpr_count 2
		.amdhsa_user_sgpr_dispatch_ptr 0
		.amdhsa_user_sgpr_queue_ptr 0
		.amdhsa_user_sgpr_kernarg_segment_ptr 1
		.amdhsa_user_sgpr_dispatch_id 0
		.amdhsa_user_sgpr_kernarg_preload_length 0
		.amdhsa_user_sgpr_kernarg_preload_offset 0
		.amdhsa_user_sgpr_private_segment_size 0
		.amdhsa_uses_dynamic_stack 0
		.amdhsa_enable_private_segment 0
		.amdhsa_system_sgpr_workgroup_id_x 1
		.amdhsa_system_sgpr_workgroup_id_y 0
		.amdhsa_system_sgpr_workgroup_id_z 0
		.amdhsa_system_sgpr_workgroup_info 0
		.amdhsa_system_vgpr_workitem_id 0
		.amdhsa_next_free_vgpr 102
		.amdhsa_next_free_sgpr 46
		.amdhsa_accum_offset 104
		.amdhsa_reserve_vcc 1
		.amdhsa_float_round_mode_32 0
		.amdhsa_float_round_mode_16_64 0
		.amdhsa_float_denorm_mode_32 3
		.amdhsa_float_denorm_mode_16_64 3
		.amdhsa_dx10_clamp 1
		.amdhsa_ieee_mode 1
		.amdhsa_fp16_overflow 0
		.amdhsa_tg_split 0
		.amdhsa_exception_fp_ieee_invalid_op 0
		.amdhsa_exception_fp_denorm_src 0
		.amdhsa_exception_fp_ieee_div_zero 0
		.amdhsa_exception_fp_ieee_overflow 0
		.amdhsa_exception_fp_ieee_underflow 0
		.amdhsa_exception_fp_ieee_inexact 0
		.amdhsa_exception_int_div_zero 0
	.end_amdhsa_kernel
	.section	.text._ZN7rocprim17ROCPRIM_400000_NS6detail17trampoline_kernelINS0_14default_configENS1_25partition_config_selectorILNS1_17partition_subalgoE2EsNS0_10empty_typeEbEEZZNS1_14partition_implILS5_2ELb0ES3_jN6thrust23THRUST_200600_302600_NS6detail15normal_iteratorINSA_7pointerIsNSA_11hip_rocprim3tagENSA_11use_defaultESG_EEEEPS6_NSA_18transform_iteratorI10is_orderedNSA_12zip_iteratorINSA_5tupleINSC_INSA_10device_ptrIsEEEESQ_NSA_9null_typeESR_SR_SR_SR_SR_SR_SR_EEEESG_SG_EENS0_5tupleIJPsSJ_EEENSV_IJSJ_SJ_EEES6_PlJS6_EEE10hipError_tPvRmT3_T4_T5_T6_T7_T9_mT8_P12ihipStream_tbDpT10_ENKUlT_T0_E_clISt17integral_constantIbLb1EES1J_EEDaS1E_S1F_EUlS1E_E_NS1_11comp_targetILNS1_3genE5ELNS1_11target_archE942ELNS1_3gpuE9ELNS1_3repE0EEENS1_30default_config_static_selectorELNS0_4arch9wavefront6targetE1EEEvT1_,"axG",@progbits,_ZN7rocprim17ROCPRIM_400000_NS6detail17trampoline_kernelINS0_14default_configENS1_25partition_config_selectorILNS1_17partition_subalgoE2EsNS0_10empty_typeEbEEZZNS1_14partition_implILS5_2ELb0ES3_jN6thrust23THRUST_200600_302600_NS6detail15normal_iteratorINSA_7pointerIsNSA_11hip_rocprim3tagENSA_11use_defaultESG_EEEEPS6_NSA_18transform_iteratorI10is_orderedNSA_12zip_iteratorINSA_5tupleINSC_INSA_10device_ptrIsEEEESQ_NSA_9null_typeESR_SR_SR_SR_SR_SR_SR_EEEESG_SG_EENS0_5tupleIJPsSJ_EEENSV_IJSJ_SJ_EEES6_PlJS6_EEE10hipError_tPvRmT3_T4_T5_T6_T7_T9_mT8_P12ihipStream_tbDpT10_ENKUlT_T0_E_clISt17integral_constantIbLb1EES1J_EEDaS1E_S1F_EUlS1E_E_NS1_11comp_targetILNS1_3genE5ELNS1_11target_archE942ELNS1_3gpuE9ELNS1_3repE0EEENS1_30default_config_static_selectorELNS0_4arch9wavefront6targetE1EEEvT1_,comdat
.Lfunc_end3635:
	.size	_ZN7rocprim17ROCPRIM_400000_NS6detail17trampoline_kernelINS0_14default_configENS1_25partition_config_selectorILNS1_17partition_subalgoE2EsNS0_10empty_typeEbEEZZNS1_14partition_implILS5_2ELb0ES3_jN6thrust23THRUST_200600_302600_NS6detail15normal_iteratorINSA_7pointerIsNSA_11hip_rocprim3tagENSA_11use_defaultESG_EEEEPS6_NSA_18transform_iteratorI10is_orderedNSA_12zip_iteratorINSA_5tupleINSC_INSA_10device_ptrIsEEEESQ_NSA_9null_typeESR_SR_SR_SR_SR_SR_SR_EEEESG_SG_EENS0_5tupleIJPsSJ_EEENSV_IJSJ_SJ_EEES6_PlJS6_EEE10hipError_tPvRmT3_T4_T5_T6_T7_T9_mT8_P12ihipStream_tbDpT10_ENKUlT_T0_E_clISt17integral_constantIbLb1EES1J_EEDaS1E_S1F_EUlS1E_E_NS1_11comp_targetILNS1_3genE5ELNS1_11target_archE942ELNS1_3gpuE9ELNS1_3repE0EEENS1_30default_config_static_selectorELNS0_4arch9wavefront6targetE1EEEvT1_, .Lfunc_end3635-_ZN7rocprim17ROCPRIM_400000_NS6detail17trampoline_kernelINS0_14default_configENS1_25partition_config_selectorILNS1_17partition_subalgoE2EsNS0_10empty_typeEbEEZZNS1_14partition_implILS5_2ELb0ES3_jN6thrust23THRUST_200600_302600_NS6detail15normal_iteratorINSA_7pointerIsNSA_11hip_rocprim3tagENSA_11use_defaultESG_EEEEPS6_NSA_18transform_iteratorI10is_orderedNSA_12zip_iteratorINSA_5tupleINSC_INSA_10device_ptrIsEEEESQ_NSA_9null_typeESR_SR_SR_SR_SR_SR_SR_EEEESG_SG_EENS0_5tupleIJPsSJ_EEENSV_IJSJ_SJ_EEES6_PlJS6_EEE10hipError_tPvRmT3_T4_T5_T6_T7_T9_mT8_P12ihipStream_tbDpT10_ENKUlT_T0_E_clISt17integral_constantIbLb1EES1J_EEDaS1E_S1F_EUlS1E_E_NS1_11comp_targetILNS1_3genE5ELNS1_11target_archE942ELNS1_3gpuE9ELNS1_3repE0EEENS1_30default_config_static_selectorELNS0_4arch9wavefront6targetE1EEEvT1_
                                        ; -- End function
	.section	.AMDGPU.csdata,"",@progbits
; Kernel info:
; codeLenInByte = 15892
; NumSgprs: 52
; NumVgprs: 102
; NumAgprs: 0
; TotalNumVgprs: 102
; ScratchSize: 0
; MemoryBound: 0
; FloatMode: 240
; IeeeMode: 1
; LDSByteSize: 30728 bytes/workgroup (compile time only)
; SGPRBlocks: 6
; VGPRBlocks: 12
; NumSGPRsForWavesPerEU: 52
; NumVGPRsForWavesPerEU: 102
; AccumOffset: 104
; Occupancy: 4
; WaveLimiterHint : 1
; COMPUTE_PGM_RSRC2:SCRATCH_EN: 0
; COMPUTE_PGM_RSRC2:USER_SGPR: 2
; COMPUTE_PGM_RSRC2:TRAP_HANDLER: 0
; COMPUTE_PGM_RSRC2:TGID_X_EN: 1
; COMPUTE_PGM_RSRC2:TGID_Y_EN: 0
; COMPUTE_PGM_RSRC2:TGID_Z_EN: 0
; COMPUTE_PGM_RSRC2:TIDIG_COMP_CNT: 0
; COMPUTE_PGM_RSRC3_GFX90A:ACCUM_OFFSET: 25
; COMPUTE_PGM_RSRC3_GFX90A:TG_SPLIT: 0
	.section	.text._ZN7rocprim17ROCPRIM_400000_NS6detail17trampoline_kernelINS0_14default_configENS1_25partition_config_selectorILNS1_17partition_subalgoE2EsNS0_10empty_typeEbEEZZNS1_14partition_implILS5_2ELb0ES3_jN6thrust23THRUST_200600_302600_NS6detail15normal_iteratorINSA_7pointerIsNSA_11hip_rocprim3tagENSA_11use_defaultESG_EEEEPS6_NSA_18transform_iteratorI10is_orderedNSA_12zip_iteratorINSA_5tupleINSC_INSA_10device_ptrIsEEEESQ_NSA_9null_typeESR_SR_SR_SR_SR_SR_SR_EEEESG_SG_EENS0_5tupleIJPsSJ_EEENSV_IJSJ_SJ_EEES6_PlJS6_EEE10hipError_tPvRmT3_T4_T5_T6_T7_T9_mT8_P12ihipStream_tbDpT10_ENKUlT_T0_E_clISt17integral_constantIbLb1EES1J_EEDaS1E_S1F_EUlS1E_E_NS1_11comp_targetILNS1_3genE4ELNS1_11target_archE910ELNS1_3gpuE8ELNS1_3repE0EEENS1_30default_config_static_selectorELNS0_4arch9wavefront6targetE1EEEvT1_,"axG",@progbits,_ZN7rocprim17ROCPRIM_400000_NS6detail17trampoline_kernelINS0_14default_configENS1_25partition_config_selectorILNS1_17partition_subalgoE2EsNS0_10empty_typeEbEEZZNS1_14partition_implILS5_2ELb0ES3_jN6thrust23THRUST_200600_302600_NS6detail15normal_iteratorINSA_7pointerIsNSA_11hip_rocprim3tagENSA_11use_defaultESG_EEEEPS6_NSA_18transform_iteratorI10is_orderedNSA_12zip_iteratorINSA_5tupleINSC_INSA_10device_ptrIsEEEESQ_NSA_9null_typeESR_SR_SR_SR_SR_SR_SR_EEEESG_SG_EENS0_5tupleIJPsSJ_EEENSV_IJSJ_SJ_EEES6_PlJS6_EEE10hipError_tPvRmT3_T4_T5_T6_T7_T9_mT8_P12ihipStream_tbDpT10_ENKUlT_T0_E_clISt17integral_constantIbLb1EES1J_EEDaS1E_S1F_EUlS1E_E_NS1_11comp_targetILNS1_3genE4ELNS1_11target_archE910ELNS1_3gpuE8ELNS1_3repE0EEENS1_30default_config_static_selectorELNS0_4arch9wavefront6targetE1EEEvT1_,comdat
	.protected	_ZN7rocprim17ROCPRIM_400000_NS6detail17trampoline_kernelINS0_14default_configENS1_25partition_config_selectorILNS1_17partition_subalgoE2EsNS0_10empty_typeEbEEZZNS1_14partition_implILS5_2ELb0ES3_jN6thrust23THRUST_200600_302600_NS6detail15normal_iteratorINSA_7pointerIsNSA_11hip_rocprim3tagENSA_11use_defaultESG_EEEEPS6_NSA_18transform_iteratorI10is_orderedNSA_12zip_iteratorINSA_5tupleINSC_INSA_10device_ptrIsEEEESQ_NSA_9null_typeESR_SR_SR_SR_SR_SR_SR_EEEESG_SG_EENS0_5tupleIJPsSJ_EEENSV_IJSJ_SJ_EEES6_PlJS6_EEE10hipError_tPvRmT3_T4_T5_T6_T7_T9_mT8_P12ihipStream_tbDpT10_ENKUlT_T0_E_clISt17integral_constantIbLb1EES1J_EEDaS1E_S1F_EUlS1E_E_NS1_11comp_targetILNS1_3genE4ELNS1_11target_archE910ELNS1_3gpuE8ELNS1_3repE0EEENS1_30default_config_static_selectorELNS0_4arch9wavefront6targetE1EEEvT1_ ; -- Begin function _ZN7rocprim17ROCPRIM_400000_NS6detail17trampoline_kernelINS0_14default_configENS1_25partition_config_selectorILNS1_17partition_subalgoE2EsNS0_10empty_typeEbEEZZNS1_14partition_implILS5_2ELb0ES3_jN6thrust23THRUST_200600_302600_NS6detail15normal_iteratorINSA_7pointerIsNSA_11hip_rocprim3tagENSA_11use_defaultESG_EEEEPS6_NSA_18transform_iteratorI10is_orderedNSA_12zip_iteratorINSA_5tupleINSC_INSA_10device_ptrIsEEEESQ_NSA_9null_typeESR_SR_SR_SR_SR_SR_SR_EEEESG_SG_EENS0_5tupleIJPsSJ_EEENSV_IJSJ_SJ_EEES6_PlJS6_EEE10hipError_tPvRmT3_T4_T5_T6_T7_T9_mT8_P12ihipStream_tbDpT10_ENKUlT_T0_E_clISt17integral_constantIbLb1EES1J_EEDaS1E_S1F_EUlS1E_E_NS1_11comp_targetILNS1_3genE4ELNS1_11target_archE910ELNS1_3gpuE8ELNS1_3repE0EEENS1_30default_config_static_selectorELNS0_4arch9wavefront6targetE1EEEvT1_
	.globl	_ZN7rocprim17ROCPRIM_400000_NS6detail17trampoline_kernelINS0_14default_configENS1_25partition_config_selectorILNS1_17partition_subalgoE2EsNS0_10empty_typeEbEEZZNS1_14partition_implILS5_2ELb0ES3_jN6thrust23THRUST_200600_302600_NS6detail15normal_iteratorINSA_7pointerIsNSA_11hip_rocprim3tagENSA_11use_defaultESG_EEEEPS6_NSA_18transform_iteratorI10is_orderedNSA_12zip_iteratorINSA_5tupleINSC_INSA_10device_ptrIsEEEESQ_NSA_9null_typeESR_SR_SR_SR_SR_SR_SR_EEEESG_SG_EENS0_5tupleIJPsSJ_EEENSV_IJSJ_SJ_EEES6_PlJS6_EEE10hipError_tPvRmT3_T4_T5_T6_T7_T9_mT8_P12ihipStream_tbDpT10_ENKUlT_T0_E_clISt17integral_constantIbLb1EES1J_EEDaS1E_S1F_EUlS1E_E_NS1_11comp_targetILNS1_3genE4ELNS1_11target_archE910ELNS1_3gpuE8ELNS1_3repE0EEENS1_30default_config_static_selectorELNS0_4arch9wavefront6targetE1EEEvT1_
	.p2align	8
	.type	_ZN7rocprim17ROCPRIM_400000_NS6detail17trampoline_kernelINS0_14default_configENS1_25partition_config_selectorILNS1_17partition_subalgoE2EsNS0_10empty_typeEbEEZZNS1_14partition_implILS5_2ELb0ES3_jN6thrust23THRUST_200600_302600_NS6detail15normal_iteratorINSA_7pointerIsNSA_11hip_rocprim3tagENSA_11use_defaultESG_EEEEPS6_NSA_18transform_iteratorI10is_orderedNSA_12zip_iteratorINSA_5tupleINSC_INSA_10device_ptrIsEEEESQ_NSA_9null_typeESR_SR_SR_SR_SR_SR_SR_EEEESG_SG_EENS0_5tupleIJPsSJ_EEENSV_IJSJ_SJ_EEES6_PlJS6_EEE10hipError_tPvRmT3_T4_T5_T6_T7_T9_mT8_P12ihipStream_tbDpT10_ENKUlT_T0_E_clISt17integral_constantIbLb1EES1J_EEDaS1E_S1F_EUlS1E_E_NS1_11comp_targetILNS1_3genE4ELNS1_11target_archE910ELNS1_3gpuE8ELNS1_3repE0EEENS1_30default_config_static_selectorELNS0_4arch9wavefront6targetE1EEEvT1_,@function
_ZN7rocprim17ROCPRIM_400000_NS6detail17trampoline_kernelINS0_14default_configENS1_25partition_config_selectorILNS1_17partition_subalgoE2EsNS0_10empty_typeEbEEZZNS1_14partition_implILS5_2ELb0ES3_jN6thrust23THRUST_200600_302600_NS6detail15normal_iteratorINSA_7pointerIsNSA_11hip_rocprim3tagENSA_11use_defaultESG_EEEEPS6_NSA_18transform_iteratorI10is_orderedNSA_12zip_iteratorINSA_5tupleINSC_INSA_10device_ptrIsEEEESQ_NSA_9null_typeESR_SR_SR_SR_SR_SR_SR_EEEESG_SG_EENS0_5tupleIJPsSJ_EEENSV_IJSJ_SJ_EEES6_PlJS6_EEE10hipError_tPvRmT3_T4_T5_T6_T7_T9_mT8_P12ihipStream_tbDpT10_ENKUlT_T0_E_clISt17integral_constantIbLb1EES1J_EEDaS1E_S1F_EUlS1E_E_NS1_11comp_targetILNS1_3genE4ELNS1_11target_archE910ELNS1_3gpuE8ELNS1_3repE0EEENS1_30default_config_static_selectorELNS0_4arch9wavefront6targetE1EEEvT1_: ; @_ZN7rocprim17ROCPRIM_400000_NS6detail17trampoline_kernelINS0_14default_configENS1_25partition_config_selectorILNS1_17partition_subalgoE2EsNS0_10empty_typeEbEEZZNS1_14partition_implILS5_2ELb0ES3_jN6thrust23THRUST_200600_302600_NS6detail15normal_iteratorINSA_7pointerIsNSA_11hip_rocprim3tagENSA_11use_defaultESG_EEEEPS6_NSA_18transform_iteratorI10is_orderedNSA_12zip_iteratorINSA_5tupleINSC_INSA_10device_ptrIsEEEESQ_NSA_9null_typeESR_SR_SR_SR_SR_SR_SR_EEEESG_SG_EENS0_5tupleIJPsSJ_EEENSV_IJSJ_SJ_EEES6_PlJS6_EEE10hipError_tPvRmT3_T4_T5_T6_T7_T9_mT8_P12ihipStream_tbDpT10_ENKUlT_T0_E_clISt17integral_constantIbLb1EES1J_EEDaS1E_S1F_EUlS1E_E_NS1_11comp_targetILNS1_3genE4ELNS1_11target_archE910ELNS1_3gpuE8ELNS1_3repE0EEENS1_30default_config_static_selectorELNS0_4arch9wavefront6targetE1EEEvT1_
; %bb.0:
	.section	.rodata,"a",@progbits
	.p2align	6, 0x0
	.amdhsa_kernel _ZN7rocprim17ROCPRIM_400000_NS6detail17trampoline_kernelINS0_14default_configENS1_25partition_config_selectorILNS1_17partition_subalgoE2EsNS0_10empty_typeEbEEZZNS1_14partition_implILS5_2ELb0ES3_jN6thrust23THRUST_200600_302600_NS6detail15normal_iteratorINSA_7pointerIsNSA_11hip_rocprim3tagENSA_11use_defaultESG_EEEEPS6_NSA_18transform_iteratorI10is_orderedNSA_12zip_iteratorINSA_5tupleINSC_INSA_10device_ptrIsEEEESQ_NSA_9null_typeESR_SR_SR_SR_SR_SR_SR_EEEESG_SG_EENS0_5tupleIJPsSJ_EEENSV_IJSJ_SJ_EEES6_PlJS6_EEE10hipError_tPvRmT3_T4_T5_T6_T7_T9_mT8_P12ihipStream_tbDpT10_ENKUlT_T0_E_clISt17integral_constantIbLb1EES1J_EEDaS1E_S1F_EUlS1E_E_NS1_11comp_targetILNS1_3genE4ELNS1_11target_archE910ELNS1_3gpuE8ELNS1_3repE0EEENS1_30default_config_static_selectorELNS0_4arch9wavefront6targetE1EEEvT1_
		.amdhsa_group_segment_fixed_size 0
		.amdhsa_private_segment_fixed_size 0
		.amdhsa_kernarg_size 152
		.amdhsa_user_sgpr_count 2
		.amdhsa_user_sgpr_dispatch_ptr 0
		.amdhsa_user_sgpr_queue_ptr 0
		.amdhsa_user_sgpr_kernarg_segment_ptr 1
		.amdhsa_user_sgpr_dispatch_id 0
		.amdhsa_user_sgpr_kernarg_preload_length 0
		.amdhsa_user_sgpr_kernarg_preload_offset 0
		.amdhsa_user_sgpr_private_segment_size 0
		.amdhsa_uses_dynamic_stack 0
		.amdhsa_enable_private_segment 0
		.amdhsa_system_sgpr_workgroup_id_x 1
		.amdhsa_system_sgpr_workgroup_id_y 0
		.amdhsa_system_sgpr_workgroup_id_z 0
		.amdhsa_system_sgpr_workgroup_info 0
		.amdhsa_system_vgpr_workitem_id 0
		.amdhsa_next_free_vgpr 1
		.amdhsa_next_free_sgpr 0
		.amdhsa_accum_offset 4
		.amdhsa_reserve_vcc 0
		.amdhsa_float_round_mode_32 0
		.amdhsa_float_round_mode_16_64 0
		.amdhsa_float_denorm_mode_32 3
		.amdhsa_float_denorm_mode_16_64 3
		.amdhsa_dx10_clamp 1
		.amdhsa_ieee_mode 1
		.amdhsa_fp16_overflow 0
		.amdhsa_tg_split 0
		.amdhsa_exception_fp_ieee_invalid_op 0
		.amdhsa_exception_fp_denorm_src 0
		.amdhsa_exception_fp_ieee_div_zero 0
		.amdhsa_exception_fp_ieee_overflow 0
		.amdhsa_exception_fp_ieee_underflow 0
		.amdhsa_exception_fp_ieee_inexact 0
		.amdhsa_exception_int_div_zero 0
	.end_amdhsa_kernel
	.section	.text._ZN7rocprim17ROCPRIM_400000_NS6detail17trampoline_kernelINS0_14default_configENS1_25partition_config_selectorILNS1_17partition_subalgoE2EsNS0_10empty_typeEbEEZZNS1_14partition_implILS5_2ELb0ES3_jN6thrust23THRUST_200600_302600_NS6detail15normal_iteratorINSA_7pointerIsNSA_11hip_rocprim3tagENSA_11use_defaultESG_EEEEPS6_NSA_18transform_iteratorI10is_orderedNSA_12zip_iteratorINSA_5tupleINSC_INSA_10device_ptrIsEEEESQ_NSA_9null_typeESR_SR_SR_SR_SR_SR_SR_EEEESG_SG_EENS0_5tupleIJPsSJ_EEENSV_IJSJ_SJ_EEES6_PlJS6_EEE10hipError_tPvRmT3_T4_T5_T6_T7_T9_mT8_P12ihipStream_tbDpT10_ENKUlT_T0_E_clISt17integral_constantIbLb1EES1J_EEDaS1E_S1F_EUlS1E_E_NS1_11comp_targetILNS1_3genE4ELNS1_11target_archE910ELNS1_3gpuE8ELNS1_3repE0EEENS1_30default_config_static_selectorELNS0_4arch9wavefront6targetE1EEEvT1_,"axG",@progbits,_ZN7rocprim17ROCPRIM_400000_NS6detail17trampoline_kernelINS0_14default_configENS1_25partition_config_selectorILNS1_17partition_subalgoE2EsNS0_10empty_typeEbEEZZNS1_14partition_implILS5_2ELb0ES3_jN6thrust23THRUST_200600_302600_NS6detail15normal_iteratorINSA_7pointerIsNSA_11hip_rocprim3tagENSA_11use_defaultESG_EEEEPS6_NSA_18transform_iteratorI10is_orderedNSA_12zip_iteratorINSA_5tupleINSC_INSA_10device_ptrIsEEEESQ_NSA_9null_typeESR_SR_SR_SR_SR_SR_SR_EEEESG_SG_EENS0_5tupleIJPsSJ_EEENSV_IJSJ_SJ_EEES6_PlJS6_EEE10hipError_tPvRmT3_T4_T5_T6_T7_T9_mT8_P12ihipStream_tbDpT10_ENKUlT_T0_E_clISt17integral_constantIbLb1EES1J_EEDaS1E_S1F_EUlS1E_E_NS1_11comp_targetILNS1_3genE4ELNS1_11target_archE910ELNS1_3gpuE8ELNS1_3repE0EEENS1_30default_config_static_selectorELNS0_4arch9wavefront6targetE1EEEvT1_,comdat
.Lfunc_end3636:
	.size	_ZN7rocprim17ROCPRIM_400000_NS6detail17trampoline_kernelINS0_14default_configENS1_25partition_config_selectorILNS1_17partition_subalgoE2EsNS0_10empty_typeEbEEZZNS1_14partition_implILS5_2ELb0ES3_jN6thrust23THRUST_200600_302600_NS6detail15normal_iteratorINSA_7pointerIsNSA_11hip_rocprim3tagENSA_11use_defaultESG_EEEEPS6_NSA_18transform_iteratorI10is_orderedNSA_12zip_iteratorINSA_5tupleINSC_INSA_10device_ptrIsEEEESQ_NSA_9null_typeESR_SR_SR_SR_SR_SR_SR_EEEESG_SG_EENS0_5tupleIJPsSJ_EEENSV_IJSJ_SJ_EEES6_PlJS6_EEE10hipError_tPvRmT3_T4_T5_T6_T7_T9_mT8_P12ihipStream_tbDpT10_ENKUlT_T0_E_clISt17integral_constantIbLb1EES1J_EEDaS1E_S1F_EUlS1E_E_NS1_11comp_targetILNS1_3genE4ELNS1_11target_archE910ELNS1_3gpuE8ELNS1_3repE0EEENS1_30default_config_static_selectorELNS0_4arch9wavefront6targetE1EEEvT1_, .Lfunc_end3636-_ZN7rocprim17ROCPRIM_400000_NS6detail17trampoline_kernelINS0_14default_configENS1_25partition_config_selectorILNS1_17partition_subalgoE2EsNS0_10empty_typeEbEEZZNS1_14partition_implILS5_2ELb0ES3_jN6thrust23THRUST_200600_302600_NS6detail15normal_iteratorINSA_7pointerIsNSA_11hip_rocprim3tagENSA_11use_defaultESG_EEEEPS6_NSA_18transform_iteratorI10is_orderedNSA_12zip_iteratorINSA_5tupleINSC_INSA_10device_ptrIsEEEESQ_NSA_9null_typeESR_SR_SR_SR_SR_SR_SR_EEEESG_SG_EENS0_5tupleIJPsSJ_EEENSV_IJSJ_SJ_EEES6_PlJS6_EEE10hipError_tPvRmT3_T4_T5_T6_T7_T9_mT8_P12ihipStream_tbDpT10_ENKUlT_T0_E_clISt17integral_constantIbLb1EES1J_EEDaS1E_S1F_EUlS1E_E_NS1_11comp_targetILNS1_3genE4ELNS1_11target_archE910ELNS1_3gpuE8ELNS1_3repE0EEENS1_30default_config_static_selectorELNS0_4arch9wavefront6targetE1EEEvT1_
                                        ; -- End function
	.section	.AMDGPU.csdata,"",@progbits
; Kernel info:
; codeLenInByte = 0
; NumSgprs: 6
; NumVgprs: 0
; NumAgprs: 0
; TotalNumVgprs: 0
; ScratchSize: 0
; MemoryBound: 0
; FloatMode: 240
; IeeeMode: 1
; LDSByteSize: 0 bytes/workgroup (compile time only)
; SGPRBlocks: 0
; VGPRBlocks: 0
; NumSGPRsForWavesPerEU: 6
; NumVGPRsForWavesPerEU: 1
; AccumOffset: 4
; Occupancy: 8
; WaveLimiterHint : 0
; COMPUTE_PGM_RSRC2:SCRATCH_EN: 0
; COMPUTE_PGM_RSRC2:USER_SGPR: 2
; COMPUTE_PGM_RSRC2:TRAP_HANDLER: 0
; COMPUTE_PGM_RSRC2:TGID_X_EN: 1
; COMPUTE_PGM_RSRC2:TGID_Y_EN: 0
; COMPUTE_PGM_RSRC2:TGID_Z_EN: 0
; COMPUTE_PGM_RSRC2:TIDIG_COMP_CNT: 0
; COMPUTE_PGM_RSRC3_GFX90A:ACCUM_OFFSET: 0
; COMPUTE_PGM_RSRC3_GFX90A:TG_SPLIT: 0
	.section	.text._ZN7rocprim17ROCPRIM_400000_NS6detail17trampoline_kernelINS0_14default_configENS1_25partition_config_selectorILNS1_17partition_subalgoE2EsNS0_10empty_typeEbEEZZNS1_14partition_implILS5_2ELb0ES3_jN6thrust23THRUST_200600_302600_NS6detail15normal_iteratorINSA_7pointerIsNSA_11hip_rocprim3tagENSA_11use_defaultESG_EEEEPS6_NSA_18transform_iteratorI10is_orderedNSA_12zip_iteratorINSA_5tupleINSC_INSA_10device_ptrIsEEEESQ_NSA_9null_typeESR_SR_SR_SR_SR_SR_SR_EEEESG_SG_EENS0_5tupleIJPsSJ_EEENSV_IJSJ_SJ_EEES6_PlJS6_EEE10hipError_tPvRmT3_T4_T5_T6_T7_T9_mT8_P12ihipStream_tbDpT10_ENKUlT_T0_E_clISt17integral_constantIbLb1EES1J_EEDaS1E_S1F_EUlS1E_E_NS1_11comp_targetILNS1_3genE3ELNS1_11target_archE908ELNS1_3gpuE7ELNS1_3repE0EEENS1_30default_config_static_selectorELNS0_4arch9wavefront6targetE1EEEvT1_,"axG",@progbits,_ZN7rocprim17ROCPRIM_400000_NS6detail17trampoline_kernelINS0_14default_configENS1_25partition_config_selectorILNS1_17partition_subalgoE2EsNS0_10empty_typeEbEEZZNS1_14partition_implILS5_2ELb0ES3_jN6thrust23THRUST_200600_302600_NS6detail15normal_iteratorINSA_7pointerIsNSA_11hip_rocprim3tagENSA_11use_defaultESG_EEEEPS6_NSA_18transform_iteratorI10is_orderedNSA_12zip_iteratorINSA_5tupleINSC_INSA_10device_ptrIsEEEESQ_NSA_9null_typeESR_SR_SR_SR_SR_SR_SR_EEEESG_SG_EENS0_5tupleIJPsSJ_EEENSV_IJSJ_SJ_EEES6_PlJS6_EEE10hipError_tPvRmT3_T4_T5_T6_T7_T9_mT8_P12ihipStream_tbDpT10_ENKUlT_T0_E_clISt17integral_constantIbLb1EES1J_EEDaS1E_S1F_EUlS1E_E_NS1_11comp_targetILNS1_3genE3ELNS1_11target_archE908ELNS1_3gpuE7ELNS1_3repE0EEENS1_30default_config_static_selectorELNS0_4arch9wavefront6targetE1EEEvT1_,comdat
	.protected	_ZN7rocprim17ROCPRIM_400000_NS6detail17trampoline_kernelINS0_14default_configENS1_25partition_config_selectorILNS1_17partition_subalgoE2EsNS0_10empty_typeEbEEZZNS1_14partition_implILS5_2ELb0ES3_jN6thrust23THRUST_200600_302600_NS6detail15normal_iteratorINSA_7pointerIsNSA_11hip_rocprim3tagENSA_11use_defaultESG_EEEEPS6_NSA_18transform_iteratorI10is_orderedNSA_12zip_iteratorINSA_5tupleINSC_INSA_10device_ptrIsEEEESQ_NSA_9null_typeESR_SR_SR_SR_SR_SR_SR_EEEESG_SG_EENS0_5tupleIJPsSJ_EEENSV_IJSJ_SJ_EEES6_PlJS6_EEE10hipError_tPvRmT3_T4_T5_T6_T7_T9_mT8_P12ihipStream_tbDpT10_ENKUlT_T0_E_clISt17integral_constantIbLb1EES1J_EEDaS1E_S1F_EUlS1E_E_NS1_11comp_targetILNS1_3genE3ELNS1_11target_archE908ELNS1_3gpuE7ELNS1_3repE0EEENS1_30default_config_static_selectorELNS0_4arch9wavefront6targetE1EEEvT1_ ; -- Begin function _ZN7rocprim17ROCPRIM_400000_NS6detail17trampoline_kernelINS0_14default_configENS1_25partition_config_selectorILNS1_17partition_subalgoE2EsNS0_10empty_typeEbEEZZNS1_14partition_implILS5_2ELb0ES3_jN6thrust23THRUST_200600_302600_NS6detail15normal_iteratorINSA_7pointerIsNSA_11hip_rocprim3tagENSA_11use_defaultESG_EEEEPS6_NSA_18transform_iteratorI10is_orderedNSA_12zip_iteratorINSA_5tupleINSC_INSA_10device_ptrIsEEEESQ_NSA_9null_typeESR_SR_SR_SR_SR_SR_SR_EEEESG_SG_EENS0_5tupleIJPsSJ_EEENSV_IJSJ_SJ_EEES6_PlJS6_EEE10hipError_tPvRmT3_T4_T5_T6_T7_T9_mT8_P12ihipStream_tbDpT10_ENKUlT_T0_E_clISt17integral_constantIbLb1EES1J_EEDaS1E_S1F_EUlS1E_E_NS1_11comp_targetILNS1_3genE3ELNS1_11target_archE908ELNS1_3gpuE7ELNS1_3repE0EEENS1_30default_config_static_selectorELNS0_4arch9wavefront6targetE1EEEvT1_
	.globl	_ZN7rocprim17ROCPRIM_400000_NS6detail17trampoline_kernelINS0_14default_configENS1_25partition_config_selectorILNS1_17partition_subalgoE2EsNS0_10empty_typeEbEEZZNS1_14partition_implILS5_2ELb0ES3_jN6thrust23THRUST_200600_302600_NS6detail15normal_iteratorINSA_7pointerIsNSA_11hip_rocprim3tagENSA_11use_defaultESG_EEEEPS6_NSA_18transform_iteratorI10is_orderedNSA_12zip_iteratorINSA_5tupleINSC_INSA_10device_ptrIsEEEESQ_NSA_9null_typeESR_SR_SR_SR_SR_SR_SR_EEEESG_SG_EENS0_5tupleIJPsSJ_EEENSV_IJSJ_SJ_EEES6_PlJS6_EEE10hipError_tPvRmT3_T4_T5_T6_T7_T9_mT8_P12ihipStream_tbDpT10_ENKUlT_T0_E_clISt17integral_constantIbLb1EES1J_EEDaS1E_S1F_EUlS1E_E_NS1_11comp_targetILNS1_3genE3ELNS1_11target_archE908ELNS1_3gpuE7ELNS1_3repE0EEENS1_30default_config_static_selectorELNS0_4arch9wavefront6targetE1EEEvT1_
	.p2align	8
	.type	_ZN7rocprim17ROCPRIM_400000_NS6detail17trampoline_kernelINS0_14default_configENS1_25partition_config_selectorILNS1_17partition_subalgoE2EsNS0_10empty_typeEbEEZZNS1_14partition_implILS5_2ELb0ES3_jN6thrust23THRUST_200600_302600_NS6detail15normal_iteratorINSA_7pointerIsNSA_11hip_rocprim3tagENSA_11use_defaultESG_EEEEPS6_NSA_18transform_iteratorI10is_orderedNSA_12zip_iteratorINSA_5tupleINSC_INSA_10device_ptrIsEEEESQ_NSA_9null_typeESR_SR_SR_SR_SR_SR_SR_EEEESG_SG_EENS0_5tupleIJPsSJ_EEENSV_IJSJ_SJ_EEES6_PlJS6_EEE10hipError_tPvRmT3_T4_T5_T6_T7_T9_mT8_P12ihipStream_tbDpT10_ENKUlT_T0_E_clISt17integral_constantIbLb1EES1J_EEDaS1E_S1F_EUlS1E_E_NS1_11comp_targetILNS1_3genE3ELNS1_11target_archE908ELNS1_3gpuE7ELNS1_3repE0EEENS1_30default_config_static_selectorELNS0_4arch9wavefront6targetE1EEEvT1_,@function
_ZN7rocprim17ROCPRIM_400000_NS6detail17trampoline_kernelINS0_14default_configENS1_25partition_config_selectorILNS1_17partition_subalgoE2EsNS0_10empty_typeEbEEZZNS1_14partition_implILS5_2ELb0ES3_jN6thrust23THRUST_200600_302600_NS6detail15normal_iteratorINSA_7pointerIsNSA_11hip_rocprim3tagENSA_11use_defaultESG_EEEEPS6_NSA_18transform_iteratorI10is_orderedNSA_12zip_iteratorINSA_5tupleINSC_INSA_10device_ptrIsEEEESQ_NSA_9null_typeESR_SR_SR_SR_SR_SR_SR_EEEESG_SG_EENS0_5tupleIJPsSJ_EEENSV_IJSJ_SJ_EEES6_PlJS6_EEE10hipError_tPvRmT3_T4_T5_T6_T7_T9_mT8_P12ihipStream_tbDpT10_ENKUlT_T0_E_clISt17integral_constantIbLb1EES1J_EEDaS1E_S1F_EUlS1E_E_NS1_11comp_targetILNS1_3genE3ELNS1_11target_archE908ELNS1_3gpuE7ELNS1_3repE0EEENS1_30default_config_static_selectorELNS0_4arch9wavefront6targetE1EEEvT1_: ; @_ZN7rocprim17ROCPRIM_400000_NS6detail17trampoline_kernelINS0_14default_configENS1_25partition_config_selectorILNS1_17partition_subalgoE2EsNS0_10empty_typeEbEEZZNS1_14partition_implILS5_2ELb0ES3_jN6thrust23THRUST_200600_302600_NS6detail15normal_iteratorINSA_7pointerIsNSA_11hip_rocprim3tagENSA_11use_defaultESG_EEEEPS6_NSA_18transform_iteratorI10is_orderedNSA_12zip_iteratorINSA_5tupleINSC_INSA_10device_ptrIsEEEESQ_NSA_9null_typeESR_SR_SR_SR_SR_SR_SR_EEEESG_SG_EENS0_5tupleIJPsSJ_EEENSV_IJSJ_SJ_EEES6_PlJS6_EEE10hipError_tPvRmT3_T4_T5_T6_T7_T9_mT8_P12ihipStream_tbDpT10_ENKUlT_T0_E_clISt17integral_constantIbLb1EES1J_EEDaS1E_S1F_EUlS1E_E_NS1_11comp_targetILNS1_3genE3ELNS1_11target_archE908ELNS1_3gpuE7ELNS1_3repE0EEENS1_30default_config_static_selectorELNS0_4arch9wavefront6targetE1EEEvT1_
; %bb.0:
	.section	.rodata,"a",@progbits
	.p2align	6, 0x0
	.amdhsa_kernel _ZN7rocprim17ROCPRIM_400000_NS6detail17trampoline_kernelINS0_14default_configENS1_25partition_config_selectorILNS1_17partition_subalgoE2EsNS0_10empty_typeEbEEZZNS1_14partition_implILS5_2ELb0ES3_jN6thrust23THRUST_200600_302600_NS6detail15normal_iteratorINSA_7pointerIsNSA_11hip_rocprim3tagENSA_11use_defaultESG_EEEEPS6_NSA_18transform_iteratorI10is_orderedNSA_12zip_iteratorINSA_5tupleINSC_INSA_10device_ptrIsEEEESQ_NSA_9null_typeESR_SR_SR_SR_SR_SR_SR_EEEESG_SG_EENS0_5tupleIJPsSJ_EEENSV_IJSJ_SJ_EEES6_PlJS6_EEE10hipError_tPvRmT3_T4_T5_T6_T7_T9_mT8_P12ihipStream_tbDpT10_ENKUlT_T0_E_clISt17integral_constantIbLb1EES1J_EEDaS1E_S1F_EUlS1E_E_NS1_11comp_targetILNS1_3genE3ELNS1_11target_archE908ELNS1_3gpuE7ELNS1_3repE0EEENS1_30default_config_static_selectorELNS0_4arch9wavefront6targetE1EEEvT1_
		.amdhsa_group_segment_fixed_size 0
		.amdhsa_private_segment_fixed_size 0
		.amdhsa_kernarg_size 152
		.amdhsa_user_sgpr_count 2
		.amdhsa_user_sgpr_dispatch_ptr 0
		.amdhsa_user_sgpr_queue_ptr 0
		.amdhsa_user_sgpr_kernarg_segment_ptr 1
		.amdhsa_user_sgpr_dispatch_id 0
		.amdhsa_user_sgpr_kernarg_preload_length 0
		.amdhsa_user_sgpr_kernarg_preload_offset 0
		.amdhsa_user_sgpr_private_segment_size 0
		.amdhsa_uses_dynamic_stack 0
		.amdhsa_enable_private_segment 0
		.amdhsa_system_sgpr_workgroup_id_x 1
		.amdhsa_system_sgpr_workgroup_id_y 0
		.amdhsa_system_sgpr_workgroup_id_z 0
		.amdhsa_system_sgpr_workgroup_info 0
		.amdhsa_system_vgpr_workitem_id 0
		.amdhsa_next_free_vgpr 1
		.amdhsa_next_free_sgpr 0
		.amdhsa_accum_offset 4
		.amdhsa_reserve_vcc 0
		.amdhsa_float_round_mode_32 0
		.amdhsa_float_round_mode_16_64 0
		.amdhsa_float_denorm_mode_32 3
		.amdhsa_float_denorm_mode_16_64 3
		.amdhsa_dx10_clamp 1
		.amdhsa_ieee_mode 1
		.amdhsa_fp16_overflow 0
		.amdhsa_tg_split 0
		.amdhsa_exception_fp_ieee_invalid_op 0
		.amdhsa_exception_fp_denorm_src 0
		.amdhsa_exception_fp_ieee_div_zero 0
		.amdhsa_exception_fp_ieee_overflow 0
		.amdhsa_exception_fp_ieee_underflow 0
		.amdhsa_exception_fp_ieee_inexact 0
		.amdhsa_exception_int_div_zero 0
	.end_amdhsa_kernel
	.section	.text._ZN7rocprim17ROCPRIM_400000_NS6detail17trampoline_kernelINS0_14default_configENS1_25partition_config_selectorILNS1_17partition_subalgoE2EsNS0_10empty_typeEbEEZZNS1_14partition_implILS5_2ELb0ES3_jN6thrust23THRUST_200600_302600_NS6detail15normal_iteratorINSA_7pointerIsNSA_11hip_rocprim3tagENSA_11use_defaultESG_EEEEPS6_NSA_18transform_iteratorI10is_orderedNSA_12zip_iteratorINSA_5tupleINSC_INSA_10device_ptrIsEEEESQ_NSA_9null_typeESR_SR_SR_SR_SR_SR_SR_EEEESG_SG_EENS0_5tupleIJPsSJ_EEENSV_IJSJ_SJ_EEES6_PlJS6_EEE10hipError_tPvRmT3_T4_T5_T6_T7_T9_mT8_P12ihipStream_tbDpT10_ENKUlT_T0_E_clISt17integral_constantIbLb1EES1J_EEDaS1E_S1F_EUlS1E_E_NS1_11comp_targetILNS1_3genE3ELNS1_11target_archE908ELNS1_3gpuE7ELNS1_3repE0EEENS1_30default_config_static_selectorELNS0_4arch9wavefront6targetE1EEEvT1_,"axG",@progbits,_ZN7rocprim17ROCPRIM_400000_NS6detail17trampoline_kernelINS0_14default_configENS1_25partition_config_selectorILNS1_17partition_subalgoE2EsNS0_10empty_typeEbEEZZNS1_14partition_implILS5_2ELb0ES3_jN6thrust23THRUST_200600_302600_NS6detail15normal_iteratorINSA_7pointerIsNSA_11hip_rocprim3tagENSA_11use_defaultESG_EEEEPS6_NSA_18transform_iteratorI10is_orderedNSA_12zip_iteratorINSA_5tupleINSC_INSA_10device_ptrIsEEEESQ_NSA_9null_typeESR_SR_SR_SR_SR_SR_SR_EEEESG_SG_EENS0_5tupleIJPsSJ_EEENSV_IJSJ_SJ_EEES6_PlJS6_EEE10hipError_tPvRmT3_T4_T5_T6_T7_T9_mT8_P12ihipStream_tbDpT10_ENKUlT_T0_E_clISt17integral_constantIbLb1EES1J_EEDaS1E_S1F_EUlS1E_E_NS1_11comp_targetILNS1_3genE3ELNS1_11target_archE908ELNS1_3gpuE7ELNS1_3repE0EEENS1_30default_config_static_selectorELNS0_4arch9wavefront6targetE1EEEvT1_,comdat
.Lfunc_end3637:
	.size	_ZN7rocprim17ROCPRIM_400000_NS6detail17trampoline_kernelINS0_14default_configENS1_25partition_config_selectorILNS1_17partition_subalgoE2EsNS0_10empty_typeEbEEZZNS1_14partition_implILS5_2ELb0ES3_jN6thrust23THRUST_200600_302600_NS6detail15normal_iteratorINSA_7pointerIsNSA_11hip_rocprim3tagENSA_11use_defaultESG_EEEEPS6_NSA_18transform_iteratorI10is_orderedNSA_12zip_iteratorINSA_5tupleINSC_INSA_10device_ptrIsEEEESQ_NSA_9null_typeESR_SR_SR_SR_SR_SR_SR_EEEESG_SG_EENS0_5tupleIJPsSJ_EEENSV_IJSJ_SJ_EEES6_PlJS6_EEE10hipError_tPvRmT3_T4_T5_T6_T7_T9_mT8_P12ihipStream_tbDpT10_ENKUlT_T0_E_clISt17integral_constantIbLb1EES1J_EEDaS1E_S1F_EUlS1E_E_NS1_11comp_targetILNS1_3genE3ELNS1_11target_archE908ELNS1_3gpuE7ELNS1_3repE0EEENS1_30default_config_static_selectorELNS0_4arch9wavefront6targetE1EEEvT1_, .Lfunc_end3637-_ZN7rocprim17ROCPRIM_400000_NS6detail17trampoline_kernelINS0_14default_configENS1_25partition_config_selectorILNS1_17partition_subalgoE2EsNS0_10empty_typeEbEEZZNS1_14partition_implILS5_2ELb0ES3_jN6thrust23THRUST_200600_302600_NS6detail15normal_iteratorINSA_7pointerIsNSA_11hip_rocprim3tagENSA_11use_defaultESG_EEEEPS6_NSA_18transform_iteratorI10is_orderedNSA_12zip_iteratorINSA_5tupleINSC_INSA_10device_ptrIsEEEESQ_NSA_9null_typeESR_SR_SR_SR_SR_SR_SR_EEEESG_SG_EENS0_5tupleIJPsSJ_EEENSV_IJSJ_SJ_EEES6_PlJS6_EEE10hipError_tPvRmT3_T4_T5_T6_T7_T9_mT8_P12ihipStream_tbDpT10_ENKUlT_T0_E_clISt17integral_constantIbLb1EES1J_EEDaS1E_S1F_EUlS1E_E_NS1_11comp_targetILNS1_3genE3ELNS1_11target_archE908ELNS1_3gpuE7ELNS1_3repE0EEENS1_30default_config_static_selectorELNS0_4arch9wavefront6targetE1EEEvT1_
                                        ; -- End function
	.section	.AMDGPU.csdata,"",@progbits
; Kernel info:
; codeLenInByte = 0
; NumSgprs: 6
; NumVgprs: 0
; NumAgprs: 0
; TotalNumVgprs: 0
; ScratchSize: 0
; MemoryBound: 0
; FloatMode: 240
; IeeeMode: 1
; LDSByteSize: 0 bytes/workgroup (compile time only)
; SGPRBlocks: 0
; VGPRBlocks: 0
; NumSGPRsForWavesPerEU: 6
; NumVGPRsForWavesPerEU: 1
; AccumOffset: 4
; Occupancy: 8
; WaveLimiterHint : 0
; COMPUTE_PGM_RSRC2:SCRATCH_EN: 0
; COMPUTE_PGM_RSRC2:USER_SGPR: 2
; COMPUTE_PGM_RSRC2:TRAP_HANDLER: 0
; COMPUTE_PGM_RSRC2:TGID_X_EN: 1
; COMPUTE_PGM_RSRC2:TGID_Y_EN: 0
; COMPUTE_PGM_RSRC2:TGID_Z_EN: 0
; COMPUTE_PGM_RSRC2:TIDIG_COMP_CNT: 0
; COMPUTE_PGM_RSRC3_GFX90A:ACCUM_OFFSET: 0
; COMPUTE_PGM_RSRC3_GFX90A:TG_SPLIT: 0
	.section	.text._ZN7rocprim17ROCPRIM_400000_NS6detail17trampoline_kernelINS0_14default_configENS1_25partition_config_selectorILNS1_17partition_subalgoE2EsNS0_10empty_typeEbEEZZNS1_14partition_implILS5_2ELb0ES3_jN6thrust23THRUST_200600_302600_NS6detail15normal_iteratorINSA_7pointerIsNSA_11hip_rocprim3tagENSA_11use_defaultESG_EEEEPS6_NSA_18transform_iteratorI10is_orderedNSA_12zip_iteratorINSA_5tupleINSC_INSA_10device_ptrIsEEEESQ_NSA_9null_typeESR_SR_SR_SR_SR_SR_SR_EEEESG_SG_EENS0_5tupleIJPsSJ_EEENSV_IJSJ_SJ_EEES6_PlJS6_EEE10hipError_tPvRmT3_T4_T5_T6_T7_T9_mT8_P12ihipStream_tbDpT10_ENKUlT_T0_E_clISt17integral_constantIbLb1EES1J_EEDaS1E_S1F_EUlS1E_E_NS1_11comp_targetILNS1_3genE2ELNS1_11target_archE906ELNS1_3gpuE6ELNS1_3repE0EEENS1_30default_config_static_selectorELNS0_4arch9wavefront6targetE1EEEvT1_,"axG",@progbits,_ZN7rocprim17ROCPRIM_400000_NS6detail17trampoline_kernelINS0_14default_configENS1_25partition_config_selectorILNS1_17partition_subalgoE2EsNS0_10empty_typeEbEEZZNS1_14partition_implILS5_2ELb0ES3_jN6thrust23THRUST_200600_302600_NS6detail15normal_iteratorINSA_7pointerIsNSA_11hip_rocprim3tagENSA_11use_defaultESG_EEEEPS6_NSA_18transform_iteratorI10is_orderedNSA_12zip_iteratorINSA_5tupleINSC_INSA_10device_ptrIsEEEESQ_NSA_9null_typeESR_SR_SR_SR_SR_SR_SR_EEEESG_SG_EENS0_5tupleIJPsSJ_EEENSV_IJSJ_SJ_EEES6_PlJS6_EEE10hipError_tPvRmT3_T4_T5_T6_T7_T9_mT8_P12ihipStream_tbDpT10_ENKUlT_T0_E_clISt17integral_constantIbLb1EES1J_EEDaS1E_S1F_EUlS1E_E_NS1_11comp_targetILNS1_3genE2ELNS1_11target_archE906ELNS1_3gpuE6ELNS1_3repE0EEENS1_30default_config_static_selectorELNS0_4arch9wavefront6targetE1EEEvT1_,comdat
	.protected	_ZN7rocprim17ROCPRIM_400000_NS6detail17trampoline_kernelINS0_14default_configENS1_25partition_config_selectorILNS1_17partition_subalgoE2EsNS0_10empty_typeEbEEZZNS1_14partition_implILS5_2ELb0ES3_jN6thrust23THRUST_200600_302600_NS6detail15normal_iteratorINSA_7pointerIsNSA_11hip_rocprim3tagENSA_11use_defaultESG_EEEEPS6_NSA_18transform_iteratorI10is_orderedNSA_12zip_iteratorINSA_5tupleINSC_INSA_10device_ptrIsEEEESQ_NSA_9null_typeESR_SR_SR_SR_SR_SR_SR_EEEESG_SG_EENS0_5tupleIJPsSJ_EEENSV_IJSJ_SJ_EEES6_PlJS6_EEE10hipError_tPvRmT3_T4_T5_T6_T7_T9_mT8_P12ihipStream_tbDpT10_ENKUlT_T0_E_clISt17integral_constantIbLb1EES1J_EEDaS1E_S1F_EUlS1E_E_NS1_11comp_targetILNS1_3genE2ELNS1_11target_archE906ELNS1_3gpuE6ELNS1_3repE0EEENS1_30default_config_static_selectorELNS0_4arch9wavefront6targetE1EEEvT1_ ; -- Begin function _ZN7rocprim17ROCPRIM_400000_NS6detail17trampoline_kernelINS0_14default_configENS1_25partition_config_selectorILNS1_17partition_subalgoE2EsNS0_10empty_typeEbEEZZNS1_14partition_implILS5_2ELb0ES3_jN6thrust23THRUST_200600_302600_NS6detail15normal_iteratorINSA_7pointerIsNSA_11hip_rocprim3tagENSA_11use_defaultESG_EEEEPS6_NSA_18transform_iteratorI10is_orderedNSA_12zip_iteratorINSA_5tupleINSC_INSA_10device_ptrIsEEEESQ_NSA_9null_typeESR_SR_SR_SR_SR_SR_SR_EEEESG_SG_EENS0_5tupleIJPsSJ_EEENSV_IJSJ_SJ_EEES6_PlJS6_EEE10hipError_tPvRmT3_T4_T5_T6_T7_T9_mT8_P12ihipStream_tbDpT10_ENKUlT_T0_E_clISt17integral_constantIbLb1EES1J_EEDaS1E_S1F_EUlS1E_E_NS1_11comp_targetILNS1_3genE2ELNS1_11target_archE906ELNS1_3gpuE6ELNS1_3repE0EEENS1_30default_config_static_selectorELNS0_4arch9wavefront6targetE1EEEvT1_
	.globl	_ZN7rocprim17ROCPRIM_400000_NS6detail17trampoline_kernelINS0_14default_configENS1_25partition_config_selectorILNS1_17partition_subalgoE2EsNS0_10empty_typeEbEEZZNS1_14partition_implILS5_2ELb0ES3_jN6thrust23THRUST_200600_302600_NS6detail15normal_iteratorINSA_7pointerIsNSA_11hip_rocprim3tagENSA_11use_defaultESG_EEEEPS6_NSA_18transform_iteratorI10is_orderedNSA_12zip_iteratorINSA_5tupleINSC_INSA_10device_ptrIsEEEESQ_NSA_9null_typeESR_SR_SR_SR_SR_SR_SR_EEEESG_SG_EENS0_5tupleIJPsSJ_EEENSV_IJSJ_SJ_EEES6_PlJS6_EEE10hipError_tPvRmT3_T4_T5_T6_T7_T9_mT8_P12ihipStream_tbDpT10_ENKUlT_T0_E_clISt17integral_constantIbLb1EES1J_EEDaS1E_S1F_EUlS1E_E_NS1_11comp_targetILNS1_3genE2ELNS1_11target_archE906ELNS1_3gpuE6ELNS1_3repE0EEENS1_30default_config_static_selectorELNS0_4arch9wavefront6targetE1EEEvT1_
	.p2align	8
	.type	_ZN7rocprim17ROCPRIM_400000_NS6detail17trampoline_kernelINS0_14default_configENS1_25partition_config_selectorILNS1_17partition_subalgoE2EsNS0_10empty_typeEbEEZZNS1_14partition_implILS5_2ELb0ES3_jN6thrust23THRUST_200600_302600_NS6detail15normal_iteratorINSA_7pointerIsNSA_11hip_rocprim3tagENSA_11use_defaultESG_EEEEPS6_NSA_18transform_iteratorI10is_orderedNSA_12zip_iteratorINSA_5tupleINSC_INSA_10device_ptrIsEEEESQ_NSA_9null_typeESR_SR_SR_SR_SR_SR_SR_EEEESG_SG_EENS0_5tupleIJPsSJ_EEENSV_IJSJ_SJ_EEES6_PlJS6_EEE10hipError_tPvRmT3_T4_T5_T6_T7_T9_mT8_P12ihipStream_tbDpT10_ENKUlT_T0_E_clISt17integral_constantIbLb1EES1J_EEDaS1E_S1F_EUlS1E_E_NS1_11comp_targetILNS1_3genE2ELNS1_11target_archE906ELNS1_3gpuE6ELNS1_3repE0EEENS1_30default_config_static_selectorELNS0_4arch9wavefront6targetE1EEEvT1_,@function
_ZN7rocprim17ROCPRIM_400000_NS6detail17trampoline_kernelINS0_14default_configENS1_25partition_config_selectorILNS1_17partition_subalgoE2EsNS0_10empty_typeEbEEZZNS1_14partition_implILS5_2ELb0ES3_jN6thrust23THRUST_200600_302600_NS6detail15normal_iteratorINSA_7pointerIsNSA_11hip_rocprim3tagENSA_11use_defaultESG_EEEEPS6_NSA_18transform_iteratorI10is_orderedNSA_12zip_iteratorINSA_5tupleINSC_INSA_10device_ptrIsEEEESQ_NSA_9null_typeESR_SR_SR_SR_SR_SR_SR_EEEESG_SG_EENS0_5tupleIJPsSJ_EEENSV_IJSJ_SJ_EEES6_PlJS6_EEE10hipError_tPvRmT3_T4_T5_T6_T7_T9_mT8_P12ihipStream_tbDpT10_ENKUlT_T0_E_clISt17integral_constantIbLb1EES1J_EEDaS1E_S1F_EUlS1E_E_NS1_11comp_targetILNS1_3genE2ELNS1_11target_archE906ELNS1_3gpuE6ELNS1_3repE0EEENS1_30default_config_static_selectorELNS0_4arch9wavefront6targetE1EEEvT1_: ; @_ZN7rocprim17ROCPRIM_400000_NS6detail17trampoline_kernelINS0_14default_configENS1_25partition_config_selectorILNS1_17partition_subalgoE2EsNS0_10empty_typeEbEEZZNS1_14partition_implILS5_2ELb0ES3_jN6thrust23THRUST_200600_302600_NS6detail15normal_iteratorINSA_7pointerIsNSA_11hip_rocprim3tagENSA_11use_defaultESG_EEEEPS6_NSA_18transform_iteratorI10is_orderedNSA_12zip_iteratorINSA_5tupleINSC_INSA_10device_ptrIsEEEESQ_NSA_9null_typeESR_SR_SR_SR_SR_SR_SR_EEEESG_SG_EENS0_5tupleIJPsSJ_EEENSV_IJSJ_SJ_EEES6_PlJS6_EEE10hipError_tPvRmT3_T4_T5_T6_T7_T9_mT8_P12ihipStream_tbDpT10_ENKUlT_T0_E_clISt17integral_constantIbLb1EES1J_EEDaS1E_S1F_EUlS1E_E_NS1_11comp_targetILNS1_3genE2ELNS1_11target_archE906ELNS1_3gpuE6ELNS1_3repE0EEENS1_30default_config_static_selectorELNS0_4arch9wavefront6targetE1EEEvT1_
; %bb.0:
	.section	.rodata,"a",@progbits
	.p2align	6, 0x0
	.amdhsa_kernel _ZN7rocprim17ROCPRIM_400000_NS6detail17trampoline_kernelINS0_14default_configENS1_25partition_config_selectorILNS1_17partition_subalgoE2EsNS0_10empty_typeEbEEZZNS1_14partition_implILS5_2ELb0ES3_jN6thrust23THRUST_200600_302600_NS6detail15normal_iteratorINSA_7pointerIsNSA_11hip_rocprim3tagENSA_11use_defaultESG_EEEEPS6_NSA_18transform_iteratorI10is_orderedNSA_12zip_iteratorINSA_5tupleINSC_INSA_10device_ptrIsEEEESQ_NSA_9null_typeESR_SR_SR_SR_SR_SR_SR_EEEESG_SG_EENS0_5tupleIJPsSJ_EEENSV_IJSJ_SJ_EEES6_PlJS6_EEE10hipError_tPvRmT3_T4_T5_T6_T7_T9_mT8_P12ihipStream_tbDpT10_ENKUlT_T0_E_clISt17integral_constantIbLb1EES1J_EEDaS1E_S1F_EUlS1E_E_NS1_11comp_targetILNS1_3genE2ELNS1_11target_archE906ELNS1_3gpuE6ELNS1_3repE0EEENS1_30default_config_static_selectorELNS0_4arch9wavefront6targetE1EEEvT1_
		.amdhsa_group_segment_fixed_size 0
		.amdhsa_private_segment_fixed_size 0
		.amdhsa_kernarg_size 152
		.amdhsa_user_sgpr_count 2
		.amdhsa_user_sgpr_dispatch_ptr 0
		.amdhsa_user_sgpr_queue_ptr 0
		.amdhsa_user_sgpr_kernarg_segment_ptr 1
		.amdhsa_user_sgpr_dispatch_id 0
		.amdhsa_user_sgpr_kernarg_preload_length 0
		.amdhsa_user_sgpr_kernarg_preload_offset 0
		.amdhsa_user_sgpr_private_segment_size 0
		.amdhsa_uses_dynamic_stack 0
		.amdhsa_enable_private_segment 0
		.amdhsa_system_sgpr_workgroup_id_x 1
		.amdhsa_system_sgpr_workgroup_id_y 0
		.amdhsa_system_sgpr_workgroup_id_z 0
		.amdhsa_system_sgpr_workgroup_info 0
		.amdhsa_system_vgpr_workitem_id 0
		.amdhsa_next_free_vgpr 1
		.amdhsa_next_free_sgpr 0
		.amdhsa_accum_offset 4
		.amdhsa_reserve_vcc 0
		.amdhsa_float_round_mode_32 0
		.amdhsa_float_round_mode_16_64 0
		.amdhsa_float_denorm_mode_32 3
		.amdhsa_float_denorm_mode_16_64 3
		.amdhsa_dx10_clamp 1
		.amdhsa_ieee_mode 1
		.amdhsa_fp16_overflow 0
		.amdhsa_tg_split 0
		.amdhsa_exception_fp_ieee_invalid_op 0
		.amdhsa_exception_fp_denorm_src 0
		.amdhsa_exception_fp_ieee_div_zero 0
		.amdhsa_exception_fp_ieee_overflow 0
		.amdhsa_exception_fp_ieee_underflow 0
		.amdhsa_exception_fp_ieee_inexact 0
		.amdhsa_exception_int_div_zero 0
	.end_amdhsa_kernel
	.section	.text._ZN7rocprim17ROCPRIM_400000_NS6detail17trampoline_kernelINS0_14default_configENS1_25partition_config_selectorILNS1_17partition_subalgoE2EsNS0_10empty_typeEbEEZZNS1_14partition_implILS5_2ELb0ES3_jN6thrust23THRUST_200600_302600_NS6detail15normal_iteratorINSA_7pointerIsNSA_11hip_rocprim3tagENSA_11use_defaultESG_EEEEPS6_NSA_18transform_iteratorI10is_orderedNSA_12zip_iteratorINSA_5tupleINSC_INSA_10device_ptrIsEEEESQ_NSA_9null_typeESR_SR_SR_SR_SR_SR_SR_EEEESG_SG_EENS0_5tupleIJPsSJ_EEENSV_IJSJ_SJ_EEES6_PlJS6_EEE10hipError_tPvRmT3_T4_T5_T6_T7_T9_mT8_P12ihipStream_tbDpT10_ENKUlT_T0_E_clISt17integral_constantIbLb1EES1J_EEDaS1E_S1F_EUlS1E_E_NS1_11comp_targetILNS1_3genE2ELNS1_11target_archE906ELNS1_3gpuE6ELNS1_3repE0EEENS1_30default_config_static_selectorELNS0_4arch9wavefront6targetE1EEEvT1_,"axG",@progbits,_ZN7rocprim17ROCPRIM_400000_NS6detail17trampoline_kernelINS0_14default_configENS1_25partition_config_selectorILNS1_17partition_subalgoE2EsNS0_10empty_typeEbEEZZNS1_14partition_implILS5_2ELb0ES3_jN6thrust23THRUST_200600_302600_NS6detail15normal_iteratorINSA_7pointerIsNSA_11hip_rocprim3tagENSA_11use_defaultESG_EEEEPS6_NSA_18transform_iteratorI10is_orderedNSA_12zip_iteratorINSA_5tupleINSC_INSA_10device_ptrIsEEEESQ_NSA_9null_typeESR_SR_SR_SR_SR_SR_SR_EEEESG_SG_EENS0_5tupleIJPsSJ_EEENSV_IJSJ_SJ_EEES6_PlJS6_EEE10hipError_tPvRmT3_T4_T5_T6_T7_T9_mT8_P12ihipStream_tbDpT10_ENKUlT_T0_E_clISt17integral_constantIbLb1EES1J_EEDaS1E_S1F_EUlS1E_E_NS1_11comp_targetILNS1_3genE2ELNS1_11target_archE906ELNS1_3gpuE6ELNS1_3repE0EEENS1_30default_config_static_selectorELNS0_4arch9wavefront6targetE1EEEvT1_,comdat
.Lfunc_end3638:
	.size	_ZN7rocprim17ROCPRIM_400000_NS6detail17trampoline_kernelINS0_14default_configENS1_25partition_config_selectorILNS1_17partition_subalgoE2EsNS0_10empty_typeEbEEZZNS1_14partition_implILS5_2ELb0ES3_jN6thrust23THRUST_200600_302600_NS6detail15normal_iteratorINSA_7pointerIsNSA_11hip_rocprim3tagENSA_11use_defaultESG_EEEEPS6_NSA_18transform_iteratorI10is_orderedNSA_12zip_iteratorINSA_5tupleINSC_INSA_10device_ptrIsEEEESQ_NSA_9null_typeESR_SR_SR_SR_SR_SR_SR_EEEESG_SG_EENS0_5tupleIJPsSJ_EEENSV_IJSJ_SJ_EEES6_PlJS6_EEE10hipError_tPvRmT3_T4_T5_T6_T7_T9_mT8_P12ihipStream_tbDpT10_ENKUlT_T0_E_clISt17integral_constantIbLb1EES1J_EEDaS1E_S1F_EUlS1E_E_NS1_11comp_targetILNS1_3genE2ELNS1_11target_archE906ELNS1_3gpuE6ELNS1_3repE0EEENS1_30default_config_static_selectorELNS0_4arch9wavefront6targetE1EEEvT1_, .Lfunc_end3638-_ZN7rocprim17ROCPRIM_400000_NS6detail17trampoline_kernelINS0_14default_configENS1_25partition_config_selectorILNS1_17partition_subalgoE2EsNS0_10empty_typeEbEEZZNS1_14partition_implILS5_2ELb0ES3_jN6thrust23THRUST_200600_302600_NS6detail15normal_iteratorINSA_7pointerIsNSA_11hip_rocprim3tagENSA_11use_defaultESG_EEEEPS6_NSA_18transform_iteratorI10is_orderedNSA_12zip_iteratorINSA_5tupleINSC_INSA_10device_ptrIsEEEESQ_NSA_9null_typeESR_SR_SR_SR_SR_SR_SR_EEEESG_SG_EENS0_5tupleIJPsSJ_EEENSV_IJSJ_SJ_EEES6_PlJS6_EEE10hipError_tPvRmT3_T4_T5_T6_T7_T9_mT8_P12ihipStream_tbDpT10_ENKUlT_T0_E_clISt17integral_constantIbLb1EES1J_EEDaS1E_S1F_EUlS1E_E_NS1_11comp_targetILNS1_3genE2ELNS1_11target_archE906ELNS1_3gpuE6ELNS1_3repE0EEENS1_30default_config_static_selectorELNS0_4arch9wavefront6targetE1EEEvT1_
                                        ; -- End function
	.section	.AMDGPU.csdata,"",@progbits
; Kernel info:
; codeLenInByte = 0
; NumSgprs: 6
; NumVgprs: 0
; NumAgprs: 0
; TotalNumVgprs: 0
; ScratchSize: 0
; MemoryBound: 0
; FloatMode: 240
; IeeeMode: 1
; LDSByteSize: 0 bytes/workgroup (compile time only)
; SGPRBlocks: 0
; VGPRBlocks: 0
; NumSGPRsForWavesPerEU: 6
; NumVGPRsForWavesPerEU: 1
; AccumOffset: 4
; Occupancy: 8
; WaveLimiterHint : 0
; COMPUTE_PGM_RSRC2:SCRATCH_EN: 0
; COMPUTE_PGM_RSRC2:USER_SGPR: 2
; COMPUTE_PGM_RSRC2:TRAP_HANDLER: 0
; COMPUTE_PGM_RSRC2:TGID_X_EN: 1
; COMPUTE_PGM_RSRC2:TGID_Y_EN: 0
; COMPUTE_PGM_RSRC2:TGID_Z_EN: 0
; COMPUTE_PGM_RSRC2:TIDIG_COMP_CNT: 0
; COMPUTE_PGM_RSRC3_GFX90A:ACCUM_OFFSET: 0
; COMPUTE_PGM_RSRC3_GFX90A:TG_SPLIT: 0
	.section	.text._ZN7rocprim17ROCPRIM_400000_NS6detail17trampoline_kernelINS0_14default_configENS1_25partition_config_selectorILNS1_17partition_subalgoE2EsNS0_10empty_typeEbEEZZNS1_14partition_implILS5_2ELb0ES3_jN6thrust23THRUST_200600_302600_NS6detail15normal_iteratorINSA_7pointerIsNSA_11hip_rocprim3tagENSA_11use_defaultESG_EEEEPS6_NSA_18transform_iteratorI10is_orderedNSA_12zip_iteratorINSA_5tupleINSC_INSA_10device_ptrIsEEEESQ_NSA_9null_typeESR_SR_SR_SR_SR_SR_SR_EEEESG_SG_EENS0_5tupleIJPsSJ_EEENSV_IJSJ_SJ_EEES6_PlJS6_EEE10hipError_tPvRmT3_T4_T5_T6_T7_T9_mT8_P12ihipStream_tbDpT10_ENKUlT_T0_E_clISt17integral_constantIbLb1EES1J_EEDaS1E_S1F_EUlS1E_E_NS1_11comp_targetILNS1_3genE10ELNS1_11target_archE1200ELNS1_3gpuE4ELNS1_3repE0EEENS1_30default_config_static_selectorELNS0_4arch9wavefront6targetE1EEEvT1_,"axG",@progbits,_ZN7rocprim17ROCPRIM_400000_NS6detail17trampoline_kernelINS0_14default_configENS1_25partition_config_selectorILNS1_17partition_subalgoE2EsNS0_10empty_typeEbEEZZNS1_14partition_implILS5_2ELb0ES3_jN6thrust23THRUST_200600_302600_NS6detail15normal_iteratorINSA_7pointerIsNSA_11hip_rocprim3tagENSA_11use_defaultESG_EEEEPS6_NSA_18transform_iteratorI10is_orderedNSA_12zip_iteratorINSA_5tupleINSC_INSA_10device_ptrIsEEEESQ_NSA_9null_typeESR_SR_SR_SR_SR_SR_SR_EEEESG_SG_EENS0_5tupleIJPsSJ_EEENSV_IJSJ_SJ_EEES6_PlJS6_EEE10hipError_tPvRmT3_T4_T5_T6_T7_T9_mT8_P12ihipStream_tbDpT10_ENKUlT_T0_E_clISt17integral_constantIbLb1EES1J_EEDaS1E_S1F_EUlS1E_E_NS1_11comp_targetILNS1_3genE10ELNS1_11target_archE1200ELNS1_3gpuE4ELNS1_3repE0EEENS1_30default_config_static_selectorELNS0_4arch9wavefront6targetE1EEEvT1_,comdat
	.protected	_ZN7rocprim17ROCPRIM_400000_NS6detail17trampoline_kernelINS0_14default_configENS1_25partition_config_selectorILNS1_17partition_subalgoE2EsNS0_10empty_typeEbEEZZNS1_14partition_implILS5_2ELb0ES3_jN6thrust23THRUST_200600_302600_NS6detail15normal_iteratorINSA_7pointerIsNSA_11hip_rocprim3tagENSA_11use_defaultESG_EEEEPS6_NSA_18transform_iteratorI10is_orderedNSA_12zip_iteratorINSA_5tupleINSC_INSA_10device_ptrIsEEEESQ_NSA_9null_typeESR_SR_SR_SR_SR_SR_SR_EEEESG_SG_EENS0_5tupleIJPsSJ_EEENSV_IJSJ_SJ_EEES6_PlJS6_EEE10hipError_tPvRmT3_T4_T5_T6_T7_T9_mT8_P12ihipStream_tbDpT10_ENKUlT_T0_E_clISt17integral_constantIbLb1EES1J_EEDaS1E_S1F_EUlS1E_E_NS1_11comp_targetILNS1_3genE10ELNS1_11target_archE1200ELNS1_3gpuE4ELNS1_3repE0EEENS1_30default_config_static_selectorELNS0_4arch9wavefront6targetE1EEEvT1_ ; -- Begin function _ZN7rocprim17ROCPRIM_400000_NS6detail17trampoline_kernelINS0_14default_configENS1_25partition_config_selectorILNS1_17partition_subalgoE2EsNS0_10empty_typeEbEEZZNS1_14partition_implILS5_2ELb0ES3_jN6thrust23THRUST_200600_302600_NS6detail15normal_iteratorINSA_7pointerIsNSA_11hip_rocprim3tagENSA_11use_defaultESG_EEEEPS6_NSA_18transform_iteratorI10is_orderedNSA_12zip_iteratorINSA_5tupleINSC_INSA_10device_ptrIsEEEESQ_NSA_9null_typeESR_SR_SR_SR_SR_SR_SR_EEEESG_SG_EENS0_5tupleIJPsSJ_EEENSV_IJSJ_SJ_EEES6_PlJS6_EEE10hipError_tPvRmT3_T4_T5_T6_T7_T9_mT8_P12ihipStream_tbDpT10_ENKUlT_T0_E_clISt17integral_constantIbLb1EES1J_EEDaS1E_S1F_EUlS1E_E_NS1_11comp_targetILNS1_3genE10ELNS1_11target_archE1200ELNS1_3gpuE4ELNS1_3repE0EEENS1_30default_config_static_selectorELNS0_4arch9wavefront6targetE1EEEvT1_
	.globl	_ZN7rocprim17ROCPRIM_400000_NS6detail17trampoline_kernelINS0_14default_configENS1_25partition_config_selectorILNS1_17partition_subalgoE2EsNS0_10empty_typeEbEEZZNS1_14partition_implILS5_2ELb0ES3_jN6thrust23THRUST_200600_302600_NS6detail15normal_iteratorINSA_7pointerIsNSA_11hip_rocprim3tagENSA_11use_defaultESG_EEEEPS6_NSA_18transform_iteratorI10is_orderedNSA_12zip_iteratorINSA_5tupleINSC_INSA_10device_ptrIsEEEESQ_NSA_9null_typeESR_SR_SR_SR_SR_SR_SR_EEEESG_SG_EENS0_5tupleIJPsSJ_EEENSV_IJSJ_SJ_EEES6_PlJS6_EEE10hipError_tPvRmT3_T4_T5_T6_T7_T9_mT8_P12ihipStream_tbDpT10_ENKUlT_T0_E_clISt17integral_constantIbLb1EES1J_EEDaS1E_S1F_EUlS1E_E_NS1_11comp_targetILNS1_3genE10ELNS1_11target_archE1200ELNS1_3gpuE4ELNS1_3repE0EEENS1_30default_config_static_selectorELNS0_4arch9wavefront6targetE1EEEvT1_
	.p2align	8
	.type	_ZN7rocprim17ROCPRIM_400000_NS6detail17trampoline_kernelINS0_14default_configENS1_25partition_config_selectorILNS1_17partition_subalgoE2EsNS0_10empty_typeEbEEZZNS1_14partition_implILS5_2ELb0ES3_jN6thrust23THRUST_200600_302600_NS6detail15normal_iteratorINSA_7pointerIsNSA_11hip_rocprim3tagENSA_11use_defaultESG_EEEEPS6_NSA_18transform_iteratorI10is_orderedNSA_12zip_iteratorINSA_5tupleINSC_INSA_10device_ptrIsEEEESQ_NSA_9null_typeESR_SR_SR_SR_SR_SR_SR_EEEESG_SG_EENS0_5tupleIJPsSJ_EEENSV_IJSJ_SJ_EEES6_PlJS6_EEE10hipError_tPvRmT3_T4_T5_T6_T7_T9_mT8_P12ihipStream_tbDpT10_ENKUlT_T0_E_clISt17integral_constantIbLb1EES1J_EEDaS1E_S1F_EUlS1E_E_NS1_11comp_targetILNS1_3genE10ELNS1_11target_archE1200ELNS1_3gpuE4ELNS1_3repE0EEENS1_30default_config_static_selectorELNS0_4arch9wavefront6targetE1EEEvT1_,@function
_ZN7rocprim17ROCPRIM_400000_NS6detail17trampoline_kernelINS0_14default_configENS1_25partition_config_selectorILNS1_17partition_subalgoE2EsNS0_10empty_typeEbEEZZNS1_14partition_implILS5_2ELb0ES3_jN6thrust23THRUST_200600_302600_NS6detail15normal_iteratorINSA_7pointerIsNSA_11hip_rocprim3tagENSA_11use_defaultESG_EEEEPS6_NSA_18transform_iteratorI10is_orderedNSA_12zip_iteratorINSA_5tupleINSC_INSA_10device_ptrIsEEEESQ_NSA_9null_typeESR_SR_SR_SR_SR_SR_SR_EEEESG_SG_EENS0_5tupleIJPsSJ_EEENSV_IJSJ_SJ_EEES6_PlJS6_EEE10hipError_tPvRmT3_T4_T5_T6_T7_T9_mT8_P12ihipStream_tbDpT10_ENKUlT_T0_E_clISt17integral_constantIbLb1EES1J_EEDaS1E_S1F_EUlS1E_E_NS1_11comp_targetILNS1_3genE10ELNS1_11target_archE1200ELNS1_3gpuE4ELNS1_3repE0EEENS1_30default_config_static_selectorELNS0_4arch9wavefront6targetE1EEEvT1_: ; @_ZN7rocprim17ROCPRIM_400000_NS6detail17trampoline_kernelINS0_14default_configENS1_25partition_config_selectorILNS1_17partition_subalgoE2EsNS0_10empty_typeEbEEZZNS1_14partition_implILS5_2ELb0ES3_jN6thrust23THRUST_200600_302600_NS6detail15normal_iteratorINSA_7pointerIsNSA_11hip_rocprim3tagENSA_11use_defaultESG_EEEEPS6_NSA_18transform_iteratorI10is_orderedNSA_12zip_iteratorINSA_5tupleINSC_INSA_10device_ptrIsEEEESQ_NSA_9null_typeESR_SR_SR_SR_SR_SR_SR_EEEESG_SG_EENS0_5tupleIJPsSJ_EEENSV_IJSJ_SJ_EEES6_PlJS6_EEE10hipError_tPvRmT3_T4_T5_T6_T7_T9_mT8_P12ihipStream_tbDpT10_ENKUlT_T0_E_clISt17integral_constantIbLb1EES1J_EEDaS1E_S1F_EUlS1E_E_NS1_11comp_targetILNS1_3genE10ELNS1_11target_archE1200ELNS1_3gpuE4ELNS1_3repE0EEENS1_30default_config_static_selectorELNS0_4arch9wavefront6targetE1EEEvT1_
; %bb.0:
	.section	.rodata,"a",@progbits
	.p2align	6, 0x0
	.amdhsa_kernel _ZN7rocprim17ROCPRIM_400000_NS6detail17trampoline_kernelINS0_14default_configENS1_25partition_config_selectorILNS1_17partition_subalgoE2EsNS0_10empty_typeEbEEZZNS1_14partition_implILS5_2ELb0ES3_jN6thrust23THRUST_200600_302600_NS6detail15normal_iteratorINSA_7pointerIsNSA_11hip_rocprim3tagENSA_11use_defaultESG_EEEEPS6_NSA_18transform_iteratorI10is_orderedNSA_12zip_iteratorINSA_5tupleINSC_INSA_10device_ptrIsEEEESQ_NSA_9null_typeESR_SR_SR_SR_SR_SR_SR_EEEESG_SG_EENS0_5tupleIJPsSJ_EEENSV_IJSJ_SJ_EEES6_PlJS6_EEE10hipError_tPvRmT3_T4_T5_T6_T7_T9_mT8_P12ihipStream_tbDpT10_ENKUlT_T0_E_clISt17integral_constantIbLb1EES1J_EEDaS1E_S1F_EUlS1E_E_NS1_11comp_targetILNS1_3genE10ELNS1_11target_archE1200ELNS1_3gpuE4ELNS1_3repE0EEENS1_30default_config_static_selectorELNS0_4arch9wavefront6targetE1EEEvT1_
		.amdhsa_group_segment_fixed_size 0
		.amdhsa_private_segment_fixed_size 0
		.amdhsa_kernarg_size 152
		.amdhsa_user_sgpr_count 2
		.amdhsa_user_sgpr_dispatch_ptr 0
		.amdhsa_user_sgpr_queue_ptr 0
		.amdhsa_user_sgpr_kernarg_segment_ptr 1
		.amdhsa_user_sgpr_dispatch_id 0
		.amdhsa_user_sgpr_kernarg_preload_length 0
		.amdhsa_user_sgpr_kernarg_preload_offset 0
		.amdhsa_user_sgpr_private_segment_size 0
		.amdhsa_uses_dynamic_stack 0
		.amdhsa_enable_private_segment 0
		.amdhsa_system_sgpr_workgroup_id_x 1
		.amdhsa_system_sgpr_workgroup_id_y 0
		.amdhsa_system_sgpr_workgroup_id_z 0
		.amdhsa_system_sgpr_workgroup_info 0
		.amdhsa_system_vgpr_workitem_id 0
		.amdhsa_next_free_vgpr 1
		.amdhsa_next_free_sgpr 0
		.amdhsa_accum_offset 4
		.amdhsa_reserve_vcc 0
		.amdhsa_float_round_mode_32 0
		.amdhsa_float_round_mode_16_64 0
		.amdhsa_float_denorm_mode_32 3
		.amdhsa_float_denorm_mode_16_64 3
		.amdhsa_dx10_clamp 1
		.amdhsa_ieee_mode 1
		.amdhsa_fp16_overflow 0
		.amdhsa_tg_split 0
		.amdhsa_exception_fp_ieee_invalid_op 0
		.amdhsa_exception_fp_denorm_src 0
		.amdhsa_exception_fp_ieee_div_zero 0
		.amdhsa_exception_fp_ieee_overflow 0
		.amdhsa_exception_fp_ieee_underflow 0
		.amdhsa_exception_fp_ieee_inexact 0
		.amdhsa_exception_int_div_zero 0
	.end_amdhsa_kernel
	.section	.text._ZN7rocprim17ROCPRIM_400000_NS6detail17trampoline_kernelINS0_14default_configENS1_25partition_config_selectorILNS1_17partition_subalgoE2EsNS0_10empty_typeEbEEZZNS1_14partition_implILS5_2ELb0ES3_jN6thrust23THRUST_200600_302600_NS6detail15normal_iteratorINSA_7pointerIsNSA_11hip_rocprim3tagENSA_11use_defaultESG_EEEEPS6_NSA_18transform_iteratorI10is_orderedNSA_12zip_iteratorINSA_5tupleINSC_INSA_10device_ptrIsEEEESQ_NSA_9null_typeESR_SR_SR_SR_SR_SR_SR_EEEESG_SG_EENS0_5tupleIJPsSJ_EEENSV_IJSJ_SJ_EEES6_PlJS6_EEE10hipError_tPvRmT3_T4_T5_T6_T7_T9_mT8_P12ihipStream_tbDpT10_ENKUlT_T0_E_clISt17integral_constantIbLb1EES1J_EEDaS1E_S1F_EUlS1E_E_NS1_11comp_targetILNS1_3genE10ELNS1_11target_archE1200ELNS1_3gpuE4ELNS1_3repE0EEENS1_30default_config_static_selectorELNS0_4arch9wavefront6targetE1EEEvT1_,"axG",@progbits,_ZN7rocprim17ROCPRIM_400000_NS6detail17trampoline_kernelINS0_14default_configENS1_25partition_config_selectorILNS1_17partition_subalgoE2EsNS0_10empty_typeEbEEZZNS1_14partition_implILS5_2ELb0ES3_jN6thrust23THRUST_200600_302600_NS6detail15normal_iteratorINSA_7pointerIsNSA_11hip_rocprim3tagENSA_11use_defaultESG_EEEEPS6_NSA_18transform_iteratorI10is_orderedNSA_12zip_iteratorINSA_5tupleINSC_INSA_10device_ptrIsEEEESQ_NSA_9null_typeESR_SR_SR_SR_SR_SR_SR_EEEESG_SG_EENS0_5tupleIJPsSJ_EEENSV_IJSJ_SJ_EEES6_PlJS6_EEE10hipError_tPvRmT3_T4_T5_T6_T7_T9_mT8_P12ihipStream_tbDpT10_ENKUlT_T0_E_clISt17integral_constantIbLb1EES1J_EEDaS1E_S1F_EUlS1E_E_NS1_11comp_targetILNS1_3genE10ELNS1_11target_archE1200ELNS1_3gpuE4ELNS1_3repE0EEENS1_30default_config_static_selectorELNS0_4arch9wavefront6targetE1EEEvT1_,comdat
.Lfunc_end3639:
	.size	_ZN7rocprim17ROCPRIM_400000_NS6detail17trampoline_kernelINS0_14default_configENS1_25partition_config_selectorILNS1_17partition_subalgoE2EsNS0_10empty_typeEbEEZZNS1_14partition_implILS5_2ELb0ES3_jN6thrust23THRUST_200600_302600_NS6detail15normal_iteratorINSA_7pointerIsNSA_11hip_rocprim3tagENSA_11use_defaultESG_EEEEPS6_NSA_18transform_iteratorI10is_orderedNSA_12zip_iteratorINSA_5tupleINSC_INSA_10device_ptrIsEEEESQ_NSA_9null_typeESR_SR_SR_SR_SR_SR_SR_EEEESG_SG_EENS0_5tupleIJPsSJ_EEENSV_IJSJ_SJ_EEES6_PlJS6_EEE10hipError_tPvRmT3_T4_T5_T6_T7_T9_mT8_P12ihipStream_tbDpT10_ENKUlT_T0_E_clISt17integral_constantIbLb1EES1J_EEDaS1E_S1F_EUlS1E_E_NS1_11comp_targetILNS1_3genE10ELNS1_11target_archE1200ELNS1_3gpuE4ELNS1_3repE0EEENS1_30default_config_static_selectorELNS0_4arch9wavefront6targetE1EEEvT1_, .Lfunc_end3639-_ZN7rocprim17ROCPRIM_400000_NS6detail17trampoline_kernelINS0_14default_configENS1_25partition_config_selectorILNS1_17partition_subalgoE2EsNS0_10empty_typeEbEEZZNS1_14partition_implILS5_2ELb0ES3_jN6thrust23THRUST_200600_302600_NS6detail15normal_iteratorINSA_7pointerIsNSA_11hip_rocprim3tagENSA_11use_defaultESG_EEEEPS6_NSA_18transform_iteratorI10is_orderedNSA_12zip_iteratorINSA_5tupleINSC_INSA_10device_ptrIsEEEESQ_NSA_9null_typeESR_SR_SR_SR_SR_SR_SR_EEEESG_SG_EENS0_5tupleIJPsSJ_EEENSV_IJSJ_SJ_EEES6_PlJS6_EEE10hipError_tPvRmT3_T4_T5_T6_T7_T9_mT8_P12ihipStream_tbDpT10_ENKUlT_T0_E_clISt17integral_constantIbLb1EES1J_EEDaS1E_S1F_EUlS1E_E_NS1_11comp_targetILNS1_3genE10ELNS1_11target_archE1200ELNS1_3gpuE4ELNS1_3repE0EEENS1_30default_config_static_selectorELNS0_4arch9wavefront6targetE1EEEvT1_
                                        ; -- End function
	.section	.AMDGPU.csdata,"",@progbits
; Kernel info:
; codeLenInByte = 0
; NumSgprs: 6
; NumVgprs: 0
; NumAgprs: 0
; TotalNumVgprs: 0
; ScratchSize: 0
; MemoryBound: 0
; FloatMode: 240
; IeeeMode: 1
; LDSByteSize: 0 bytes/workgroup (compile time only)
; SGPRBlocks: 0
; VGPRBlocks: 0
; NumSGPRsForWavesPerEU: 6
; NumVGPRsForWavesPerEU: 1
; AccumOffset: 4
; Occupancy: 8
; WaveLimiterHint : 0
; COMPUTE_PGM_RSRC2:SCRATCH_EN: 0
; COMPUTE_PGM_RSRC2:USER_SGPR: 2
; COMPUTE_PGM_RSRC2:TRAP_HANDLER: 0
; COMPUTE_PGM_RSRC2:TGID_X_EN: 1
; COMPUTE_PGM_RSRC2:TGID_Y_EN: 0
; COMPUTE_PGM_RSRC2:TGID_Z_EN: 0
; COMPUTE_PGM_RSRC2:TIDIG_COMP_CNT: 0
; COMPUTE_PGM_RSRC3_GFX90A:ACCUM_OFFSET: 0
; COMPUTE_PGM_RSRC3_GFX90A:TG_SPLIT: 0
	.section	.text._ZN7rocprim17ROCPRIM_400000_NS6detail17trampoline_kernelINS0_14default_configENS1_25partition_config_selectorILNS1_17partition_subalgoE2EsNS0_10empty_typeEbEEZZNS1_14partition_implILS5_2ELb0ES3_jN6thrust23THRUST_200600_302600_NS6detail15normal_iteratorINSA_7pointerIsNSA_11hip_rocprim3tagENSA_11use_defaultESG_EEEEPS6_NSA_18transform_iteratorI10is_orderedNSA_12zip_iteratorINSA_5tupleINSC_INSA_10device_ptrIsEEEESQ_NSA_9null_typeESR_SR_SR_SR_SR_SR_SR_EEEESG_SG_EENS0_5tupleIJPsSJ_EEENSV_IJSJ_SJ_EEES6_PlJS6_EEE10hipError_tPvRmT3_T4_T5_T6_T7_T9_mT8_P12ihipStream_tbDpT10_ENKUlT_T0_E_clISt17integral_constantIbLb1EES1J_EEDaS1E_S1F_EUlS1E_E_NS1_11comp_targetILNS1_3genE9ELNS1_11target_archE1100ELNS1_3gpuE3ELNS1_3repE0EEENS1_30default_config_static_selectorELNS0_4arch9wavefront6targetE1EEEvT1_,"axG",@progbits,_ZN7rocprim17ROCPRIM_400000_NS6detail17trampoline_kernelINS0_14default_configENS1_25partition_config_selectorILNS1_17partition_subalgoE2EsNS0_10empty_typeEbEEZZNS1_14partition_implILS5_2ELb0ES3_jN6thrust23THRUST_200600_302600_NS6detail15normal_iteratorINSA_7pointerIsNSA_11hip_rocprim3tagENSA_11use_defaultESG_EEEEPS6_NSA_18transform_iteratorI10is_orderedNSA_12zip_iteratorINSA_5tupleINSC_INSA_10device_ptrIsEEEESQ_NSA_9null_typeESR_SR_SR_SR_SR_SR_SR_EEEESG_SG_EENS0_5tupleIJPsSJ_EEENSV_IJSJ_SJ_EEES6_PlJS6_EEE10hipError_tPvRmT3_T4_T5_T6_T7_T9_mT8_P12ihipStream_tbDpT10_ENKUlT_T0_E_clISt17integral_constantIbLb1EES1J_EEDaS1E_S1F_EUlS1E_E_NS1_11comp_targetILNS1_3genE9ELNS1_11target_archE1100ELNS1_3gpuE3ELNS1_3repE0EEENS1_30default_config_static_selectorELNS0_4arch9wavefront6targetE1EEEvT1_,comdat
	.protected	_ZN7rocprim17ROCPRIM_400000_NS6detail17trampoline_kernelINS0_14default_configENS1_25partition_config_selectorILNS1_17partition_subalgoE2EsNS0_10empty_typeEbEEZZNS1_14partition_implILS5_2ELb0ES3_jN6thrust23THRUST_200600_302600_NS6detail15normal_iteratorINSA_7pointerIsNSA_11hip_rocprim3tagENSA_11use_defaultESG_EEEEPS6_NSA_18transform_iteratorI10is_orderedNSA_12zip_iteratorINSA_5tupleINSC_INSA_10device_ptrIsEEEESQ_NSA_9null_typeESR_SR_SR_SR_SR_SR_SR_EEEESG_SG_EENS0_5tupleIJPsSJ_EEENSV_IJSJ_SJ_EEES6_PlJS6_EEE10hipError_tPvRmT3_T4_T5_T6_T7_T9_mT8_P12ihipStream_tbDpT10_ENKUlT_T0_E_clISt17integral_constantIbLb1EES1J_EEDaS1E_S1F_EUlS1E_E_NS1_11comp_targetILNS1_3genE9ELNS1_11target_archE1100ELNS1_3gpuE3ELNS1_3repE0EEENS1_30default_config_static_selectorELNS0_4arch9wavefront6targetE1EEEvT1_ ; -- Begin function _ZN7rocprim17ROCPRIM_400000_NS6detail17trampoline_kernelINS0_14default_configENS1_25partition_config_selectorILNS1_17partition_subalgoE2EsNS0_10empty_typeEbEEZZNS1_14partition_implILS5_2ELb0ES3_jN6thrust23THRUST_200600_302600_NS6detail15normal_iteratorINSA_7pointerIsNSA_11hip_rocprim3tagENSA_11use_defaultESG_EEEEPS6_NSA_18transform_iteratorI10is_orderedNSA_12zip_iteratorINSA_5tupleINSC_INSA_10device_ptrIsEEEESQ_NSA_9null_typeESR_SR_SR_SR_SR_SR_SR_EEEESG_SG_EENS0_5tupleIJPsSJ_EEENSV_IJSJ_SJ_EEES6_PlJS6_EEE10hipError_tPvRmT3_T4_T5_T6_T7_T9_mT8_P12ihipStream_tbDpT10_ENKUlT_T0_E_clISt17integral_constantIbLb1EES1J_EEDaS1E_S1F_EUlS1E_E_NS1_11comp_targetILNS1_3genE9ELNS1_11target_archE1100ELNS1_3gpuE3ELNS1_3repE0EEENS1_30default_config_static_selectorELNS0_4arch9wavefront6targetE1EEEvT1_
	.globl	_ZN7rocprim17ROCPRIM_400000_NS6detail17trampoline_kernelINS0_14default_configENS1_25partition_config_selectorILNS1_17partition_subalgoE2EsNS0_10empty_typeEbEEZZNS1_14partition_implILS5_2ELb0ES3_jN6thrust23THRUST_200600_302600_NS6detail15normal_iteratorINSA_7pointerIsNSA_11hip_rocprim3tagENSA_11use_defaultESG_EEEEPS6_NSA_18transform_iteratorI10is_orderedNSA_12zip_iteratorINSA_5tupleINSC_INSA_10device_ptrIsEEEESQ_NSA_9null_typeESR_SR_SR_SR_SR_SR_SR_EEEESG_SG_EENS0_5tupleIJPsSJ_EEENSV_IJSJ_SJ_EEES6_PlJS6_EEE10hipError_tPvRmT3_T4_T5_T6_T7_T9_mT8_P12ihipStream_tbDpT10_ENKUlT_T0_E_clISt17integral_constantIbLb1EES1J_EEDaS1E_S1F_EUlS1E_E_NS1_11comp_targetILNS1_3genE9ELNS1_11target_archE1100ELNS1_3gpuE3ELNS1_3repE0EEENS1_30default_config_static_selectorELNS0_4arch9wavefront6targetE1EEEvT1_
	.p2align	8
	.type	_ZN7rocprim17ROCPRIM_400000_NS6detail17trampoline_kernelINS0_14default_configENS1_25partition_config_selectorILNS1_17partition_subalgoE2EsNS0_10empty_typeEbEEZZNS1_14partition_implILS5_2ELb0ES3_jN6thrust23THRUST_200600_302600_NS6detail15normal_iteratorINSA_7pointerIsNSA_11hip_rocprim3tagENSA_11use_defaultESG_EEEEPS6_NSA_18transform_iteratorI10is_orderedNSA_12zip_iteratorINSA_5tupleINSC_INSA_10device_ptrIsEEEESQ_NSA_9null_typeESR_SR_SR_SR_SR_SR_SR_EEEESG_SG_EENS0_5tupleIJPsSJ_EEENSV_IJSJ_SJ_EEES6_PlJS6_EEE10hipError_tPvRmT3_T4_T5_T6_T7_T9_mT8_P12ihipStream_tbDpT10_ENKUlT_T0_E_clISt17integral_constantIbLb1EES1J_EEDaS1E_S1F_EUlS1E_E_NS1_11comp_targetILNS1_3genE9ELNS1_11target_archE1100ELNS1_3gpuE3ELNS1_3repE0EEENS1_30default_config_static_selectorELNS0_4arch9wavefront6targetE1EEEvT1_,@function
_ZN7rocprim17ROCPRIM_400000_NS6detail17trampoline_kernelINS0_14default_configENS1_25partition_config_selectorILNS1_17partition_subalgoE2EsNS0_10empty_typeEbEEZZNS1_14partition_implILS5_2ELb0ES3_jN6thrust23THRUST_200600_302600_NS6detail15normal_iteratorINSA_7pointerIsNSA_11hip_rocprim3tagENSA_11use_defaultESG_EEEEPS6_NSA_18transform_iteratorI10is_orderedNSA_12zip_iteratorINSA_5tupleINSC_INSA_10device_ptrIsEEEESQ_NSA_9null_typeESR_SR_SR_SR_SR_SR_SR_EEEESG_SG_EENS0_5tupleIJPsSJ_EEENSV_IJSJ_SJ_EEES6_PlJS6_EEE10hipError_tPvRmT3_T4_T5_T6_T7_T9_mT8_P12ihipStream_tbDpT10_ENKUlT_T0_E_clISt17integral_constantIbLb1EES1J_EEDaS1E_S1F_EUlS1E_E_NS1_11comp_targetILNS1_3genE9ELNS1_11target_archE1100ELNS1_3gpuE3ELNS1_3repE0EEENS1_30default_config_static_selectorELNS0_4arch9wavefront6targetE1EEEvT1_: ; @_ZN7rocprim17ROCPRIM_400000_NS6detail17trampoline_kernelINS0_14default_configENS1_25partition_config_selectorILNS1_17partition_subalgoE2EsNS0_10empty_typeEbEEZZNS1_14partition_implILS5_2ELb0ES3_jN6thrust23THRUST_200600_302600_NS6detail15normal_iteratorINSA_7pointerIsNSA_11hip_rocprim3tagENSA_11use_defaultESG_EEEEPS6_NSA_18transform_iteratorI10is_orderedNSA_12zip_iteratorINSA_5tupleINSC_INSA_10device_ptrIsEEEESQ_NSA_9null_typeESR_SR_SR_SR_SR_SR_SR_EEEESG_SG_EENS0_5tupleIJPsSJ_EEENSV_IJSJ_SJ_EEES6_PlJS6_EEE10hipError_tPvRmT3_T4_T5_T6_T7_T9_mT8_P12ihipStream_tbDpT10_ENKUlT_T0_E_clISt17integral_constantIbLb1EES1J_EEDaS1E_S1F_EUlS1E_E_NS1_11comp_targetILNS1_3genE9ELNS1_11target_archE1100ELNS1_3gpuE3ELNS1_3repE0EEENS1_30default_config_static_selectorELNS0_4arch9wavefront6targetE1EEEvT1_
; %bb.0:
	.section	.rodata,"a",@progbits
	.p2align	6, 0x0
	.amdhsa_kernel _ZN7rocprim17ROCPRIM_400000_NS6detail17trampoline_kernelINS0_14default_configENS1_25partition_config_selectorILNS1_17partition_subalgoE2EsNS0_10empty_typeEbEEZZNS1_14partition_implILS5_2ELb0ES3_jN6thrust23THRUST_200600_302600_NS6detail15normal_iteratorINSA_7pointerIsNSA_11hip_rocprim3tagENSA_11use_defaultESG_EEEEPS6_NSA_18transform_iteratorI10is_orderedNSA_12zip_iteratorINSA_5tupleINSC_INSA_10device_ptrIsEEEESQ_NSA_9null_typeESR_SR_SR_SR_SR_SR_SR_EEEESG_SG_EENS0_5tupleIJPsSJ_EEENSV_IJSJ_SJ_EEES6_PlJS6_EEE10hipError_tPvRmT3_T4_T5_T6_T7_T9_mT8_P12ihipStream_tbDpT10_ENKUlT_T0_E_clISt17integral_constantIbLb1EES1J_EEDaS1E_S1F_EUlS1E_E_NS1_11comp_targetILNS1_3genE9ELNS1_11target_archE1100ELNS1_3gpuE3ELNS1_3repE0EEENS1_30default_config_static_selectorELNS0_4arch9wavefront6targetE1EEEvT1_
		.amdhsa_group_segment_fixed_size 0
		.amdhsa_private_segment_fixed_size 0
		.amdhsa_kernarg_size 152
		.amdhsa_user_sgpr_count 2
		.amdhsa_user_sgpr_dispatch_ptr 0
		.amdhsa_user_sgpr_queue_ptr 0
		.amdhsa_user_sgpr_kernarg_segment_ptr 1
		.amdhsa_user_sgpr_dispatch_id 0
		.amdhsa_user_sgpr_kernarg_preload_length 0
		.amdhsa_user_sgpr_kernarg_preload_offset 0
		.amdhsa_user_sgpr_private_segment_size 0
		.amdhsa_uses_dynamic_stack 0
		.amdhsa_enable_private_segment 0
		.amdhsa_system_sgpr_workgroup_id_x 1
		.amdhsa_system_sgpr_workgroup_id_y 0
		.amdhsa_system_sgpr_workgroup_id_z 0
		.amdhsa_system_sgpr_workgroup_info 0
		.amdhsa_system_vgpr_workitem_id 0
		.amdhsa_next_free_vgpr 1
		.amdhsa_next_free_sgpr 0
		.amdhsa_accum_offset 4
		.amdhsa_reserve_vcc 0
		.amdhsa_float_round_mode_32 0
		.amdhsa_float_round_mode_16_64 0
		.amdhsa_float_denorm_mode_32 3
		.amdhsa_float_denorm_mode_16_64 3
		.amdhsa_dx10_clamp 1
		.amdhsa_ieee_mode 1
		.amdhsa_fp16_overflow 0
		.amdhsa_tg_split 0
		.amdhsa_exception_fp_ieee_invalid_op 0
		.amdhsa_exception_fp_denorm_src 0
		.amdhsa_exception_fp_ieee_div_zero 0
		.amdhsa_exception_fp_ieee_overflow 0
		.amdhsa_exception_fp_ieee_underflow 0
		.amdhsa_exception_fp_ieee_inexact 0
		.amdhsa_exception_int_div_zero 0
	.end_amdhsa_kernel
	.section	.text._ZN7rocprim17ROCPRIM_400000_NS6detail17trampoline_kernelINS0_14default_configENS1_25partition_config_selectorILNS1_17partition_subalgoE2EsNS0_10empty_typeEbEEZZNS1_14partition_implILS5_2ELb0ES3_jN6thrust23THRUST_200600_302600_NS6detail15normal_iteratorINSA_7pointerIsNSA_11hip_rocprim3tagENSA_11use_defaultESG_EEEEPS6_NSA_18transform_iteratorI10is_orderedNSA_12zip_iteratorINSA_5tupleINSC_INSA_10device_ptrIsEEEESQ_NSA_9null_typeESR_SR_SR_SR_SR_SR_SR_EEEESG_SG_EENS0_5tupleIJPsSJ_EEENSV_IJSJ_SJ_EEES6_PlJS6_EEE10hipError_tPvRmT3_T4_T5_T6_T7_T9_mT8_P12ihipStream_tbDpT10_ENKUlT_T0_E_clISt17integral_constantIbLb1EES1J_EEDaS1E_S1F_EUlS1E_E_NS1_11comp_targetILNS1_3genE9ELNS1_11target_archE1100ELNS1_3gpuE3ELNS1_3repE0EEENS1_30default_config_static_selectorELNS0_4arch9wavefront6targetE1EEEvT1_,"axG",@progbits,_ZN7rocprim17ROCPRIM_400000_NS6detail17trampoline_kernelINS0_14default_configENS1_25partition_config_selectorILNS1_17partition_subalgoE2EsNS0_10empty_typeEbEEZZNS1_14partition_implILS5_2ELb0ES3_jN6thrust23THRUST_200600_302600_NS6detail15normal_iteratorINSA_7pointerIsNSA_11hip_rocprim3tagENSA_11use_defaultESG_EEEEPS6_NSA_18transform_iteratorI10is_orderedNSA_12zip_iteratorINSA_5tupleINSC_INSA_10device_ptrIsEEEESQ_NSA_9null_typeESR_SR_SR_SR_SR_SR_SR_EEEESG_SG_EENS0_5tupleIJPsSJ_EEENSV_IJSJ_SJ_EEES6_PlJS6_EEE10hipError_tPvRmT3_T4_T5_T6_T7_T9_mT8_P12ihipStream_tbDpT10_ENKUlT_T0_E_clISt17integral_constantIbLb1EES1J_EEDaS1E_S1F_EUlS1E_E_NS1_11comp_targetILNS1_3genE9ELNS1_11target_archE1100ELNS1_3gpuE3ELNS1_3repE0EEENS1_30default_config_static_selectorELNS0_4arch9wavefront6targetE1EEEvT1_,comdat
.Lfunc_end3640:
	.size	_ZN7rocprim17ROCPRIM_400000_NS6detail17trampoline_kernelINS0_14default_configENS1_25partition_config_selectorILNS1_17partition_subalgoE2EsNS0_10empty_typeEbEEZZNS1_14partition_implILS5_2ELb0ES3_jN6thrust23THRUST_200600_302600_NS6detail15normal_iteratorINSA_7pointerIsNSA_11hip_rocprim3tagENSA_11use_defaultESG_EEEEPS6_NSA_18transform_iteratorI10is_orderedNSA_12zip_iteratorINSA_5tupleINSC_INSA_10device_ptrIsEEEESQ_NSA_9null_typeESR_SR_SR_SR_SR_SR_SR_EEEESG_SG_EENS0_5tupleIJPsSJ_EEENSV_IJSJ_SJ_EEES6_PlJS6_EEE10hipError_tPvRmT3_T4_T5_T6_T7_T9_mT8_P12ihipStream_tbDpT10_ENKUlT_T0_E_clISt17integral_constantIbLb1EES1J_EEDaS1E_S1F_EUlS1E_E_NS1_11comp_targetILNS1_3genE9ELNS1_11target_archE1100ELNS1_3gpuE3ELNS1_3repE0EEENS1_30default_config_static_selectorELNS0_4arch9wavefront6targetE1EEEvT1_, .Lfunc_end3640-_ZN7rocprim17ROCPRIM_400000_NS6detail17trampoline_kernelINS0_14default_configENS1_25partition_config_selectorILNS1_17partition_subalgoE2EsNS0_10empty_typeEbEEZZNS1_14partition_implILS5_2ELb0ES3_jN6thrust23THRUST_200600_302600_NS6detail15normal_iteratorINSA_7pointerIsNSA_11hip_rocprim3tagENSA_11use_defaultESG_EEEEPS6_NSA_18transform_iteratorI10is_orderedNSA_12zip_iteratorINSA_5tupleINSC_INSA_10device_ptrIsEEEESQ_NSA_9null_typeESR_SR_SR_SR_SR_SR_SR_EEEESG_SG_EENS0_5tupleIJPsSJ_EEENSV_IJSJ_SJ_EEES6_PlJS6_EEE10hipError_tPvRmT3_T4_T5_T6_T7_T9_mT8_P12ihipStream_tbDpT10_ENKUlT_T0_E_clISt17integral_constantIbLb1EES1J_EEDaS1E_S1F_EUlS1E_E_NS1_11comp_targetILNS1_3genE9ELNS1_11target_archE1100ELNS1_3gpuE3ELNS1_3repE0EEENS1_30default_config_static_selectorELNS0_4arch9wavefront6targetE1EEEvT1_
                                        ; -- End function
	.section	.AMDGPU.csdata,"",@progbits
; Kernel info:
; codeLenInByte = 0
; NumSgprs: 6
; NumVgprs: 0
; NumAgprs: 0
; TotalNumVgprs: 0
; ScratchSize: 0
; MemoryBound: 0
; FloatMode: 240
; IeeeMode: 1
; LDSByteSize: 0 bytes/workgroup (compile time only)
; SGPRBlocks: 0
; VGPRBlocks: 0
; NumSGPRsForWavesPerEU: 6
; NumVGPRsForWavesPerEU: 1
; AccumOffset: 4
; Occupancy: 8
; WaveLimiterHint : 0
; COMPUTE_PGM_RSRC2:SCRATCH_EN: 0
; COMPUTE_PGM_RSRC2:USER_SGPR: 2
; COMPUTE_PGM_RSRC2:TRAP_HANDLER: 0
; COMPUTE_PGM_RSRC2:TGID_X_EN: 1
; COMPUTE_PGM_RSRC2:TGID_Y_EN: 0
; COMPUTE_PGM_RSRC2:TGID_Z_EN: 0
; COMPUTE_PGM_RSRC2:TIDIG_COMP_CNT: 0
; COMPUTE_PGM_RSRC3_GFX90A:ACCUM_OFFSET: 0
; COMPUTE_PGM_RSRC3_GFX90A:TG_SPLIT: 0
	.section	.text._ZN7rocprim17ROCPRIM_400000_NS6detail17trampoline_kernelINS0_14default_configENS1_25partition_config_selectorILNS1_17partition_subalgoE2EsNS0_10empty_typeEbEEZZNS1_14partition_implILS5_2ELb0ES3_jN6thrust23THRUST_200600_302600_NS6detail15normal_iteratorINSA_7pointerIsNSA_11hip_rocprim3tagENSA_11use_defaultESG_EEEEPS6_NSA_18transform_iteratorI10is_orderedNSA_12zip_iteratorINSA_5tupleINSC_INSA_10device_ptrIsEEEESQ_NSA_9null_typeESR_SR_SR_SR_SR_SR_SR_EEEESG_SG_EENS0_5tupleIJPsSJ_EEENSV_IJSJ_SJ_EEES6_PlJS6_EEE10hipError_tPvRmT3_T4_T5_T6_T7_T9_mT8_P12ihipStream_tbDpT10_ENKUlT_T0_E_clISt17integral_constantIbLb1EES1J_EEDaS1E_S1F_EUlS1E_E_NS1_11comp_targetILNS1_3genE8ELNS1_11target_archE1030ELNS1_3gpuE2ELNS1_3repE0EEENS1_30default_config_static_selectorELNS0_4arch9wavefront6targetE1EEEvT1_,"axG",@progbits,_ZN7rocprim17ROCPRIM_400000_NS6detail17trampoline_kernelINS0_14default_configENS1_25partition_config_selectorILNS1_17partition_subalgoE2EsNS0_10empty_typeEbEEZZNS1_14partition_implILS5_2ELb0ES3_jN6thrust23THRUST_200600_302600_NS6detail15normal_iteratorINSA_7pointerIsNSA_11hip_rocprim3tagENSA_11use_defaultESG_EEEEPS6_NSA_18transform_iteratorI10is_orderedNSA_12zip_iteratorINSA_5tupleINSC_INSA_10device_ptrIsEEEESQ_NSA_9null_typeESR_SR_SR_SR_SR_SR_SR_EEEESG_SG_EENS0_5tupleIJPsSJ_EEENSV_IJSJ_SJ_EEES6_PlJS6_EEE10hipError_tPvRmT3_T4_T5_T6_T7_T9_mT8_P12ihipStream_tbDpT10_ENKUlT_T0_E_clISt17integral_constantIbLb1EES1J_EEDaS1E_S1F_EUlS1E_E_NS1_11comp_targetILNS1_3genE8ELNS1_11target_archE1030ELNS1_3gpuE2ELNS1_3repE0EEENS1_30default_config_static_selectorELNS0_4arch9wavefront6targetE1EEEvT1_,comdat
	.protected	_ZN7rocprim17ROCPRIM_400000_NS6detail17trampoline_kernelINS0_14default_configENS1_25partition_config_selectorILNS1_17partition_subalgoE2EsNS0_10empty_typeEbEEZZNS1_14partition_implILS5_2ELb0ES3_jN6thrust23THRUST_200600_302600_NS6detail15normal_iteratorINSA_7pointerIsNSA_11hip_rocprim3tagENSA_11use_defaultESG_EEEEPS6_NSA_18transform_iteratorI10is_orderedNSA_12zip_iteratorINSA_5tupleINSC_INSA_10device_ptrIsEEEESQ_NSA_9null_typeESR_SR_SR_SR_SR_SR_SR_EEEESG_SG_EENS0_5tupleIJPsSJ_EEENSV_IJSJ_SJ_EEES6_PlJS6_EEE10hipError_tPvRmT3_T4_T5_T6_T7_T9_mT8_P12ihipStream_tbDpT10_ENKUlT_T0_E_clISt17integral_constantIbLb1EES1J_EEDaS1E_S1F_EUlS1E_E_NS1_11comp_targetILNS1_3genE8ELNS1_11target_archE1030ELNS1_3gpuE2ELNS1_3repE0EEENS1_30default_config_static_selectorELNS0_4arch9wavefront6targetE1EEEvT1_ ; -- Begin function _ZN7rocprim17ROCPRIM_400000_NS6detail17trampoline_kernelINS0_14default_configENS1_25partition_config_selectorILNS1_17partition_subalgoE2EsNS0_10empty_typeEbEEZZNS1_14partition_implILS5_2ELb0ES3_jN6thrust23THRUST_200600_302600_NS6detail15normal_iteratorINSA_7pointerIsNSA_11hip_rocprim3tagENSA_11use_defaultESG_EEEEPS6_NSA_18transform_iteratorI10is_orderedNSA_12zip_iteratorINSA_5tupleINSC_INSA_10device_ptrIsEEEESQ_NSA_9null_typeESR_SR_SR_SR_SR_SR_SR_EEEESG_SG_EENS0_5tupleIJPsSJ_EEENSV_IJSJ_SJ_EEES6_PlJS6_EEE10hipError_tPvRmT3_T4_T5_T6_T7_T9_mT8_P12ihipStream_tbDpT10_ENKUlT_T0_E_clISt17integral_constantIbLb1EES1J_EEDaS1E_S1F_EUlS1E_E_NS1_11comp_targetILNS1_3genE8ELNS1_11target_archE1030ELNS1_3gpuE2ELNS1_3repE0EEENS1_30default_config_static_selectorELNS0_4arch9wavefront6targetE1EEEvT1_
	.globl	_ZN7rocprim17ROCPRIM_400000_NS6detail17trampoline_kernelINS0_14default_configENS1_25partition_config_selectorILNS1_17partition_subalgoE2EsNS0_10empty_typeEbEEZZNS1_14partition_implILS5_2ELb0ES3_jN6thrust23THRUST_200600_302600_NS6detail15normal_iteratorINSA_7pointerIsNSA_11hip_rocprim3tagENSA_11use_defaultESG_EEEEPS6_NSA_18transform_iteratorI10is_orderedNSA_12zip_iteratorINSA_5tupleINSC_INSA_10device_ptrIsEEEESQ_NSA_9null_typeESR_SR_SR_SR_SR_SR_SR_EEEESG_SG_EENS0_5tupleIJPsSJ_EEENSV_IJSJ_SJ_EEES6_PlJS6_EEE10hipError_tPvRmT3_T4_T5_T6_T7_T9_mT8_P12ihipStream_tbDpT10_ENKUlT_T0_E_clISt17integral_constantIbLb1EES1J_EEDaS1E_S1F_EUlS1E_E_NS1_11comp_targetILNS1_3genE8ELNS1_11target_archE1030ELNS1_3gpuE2ELNS1_3repE0EEENS1_30default_config_static_selectorELNS0_4arch9wavefront6targetE1EEEvT1_
	.p2align	8
	.type	_ZN7rocprim17ROCPRIM_400000_NS6detail17trampoline_kernelINS0_14default_configENS1_25partition_config_selectorILNS1_17partition_subalgoE2EsNS0_10empty_typeEbEEZZNS1_14partition_implILS5_2ELb0ES3_jN6thrust23THRUST_200600_302600_NS6detail15normal_iteratorINSA_7pointerIsNSA_11hip_rocprim3tagENSA_11use_defaultESG_EEEEPS6_NSA_18transform_iteratorI10is_orderedNSA_12zip_iteratorINSA_5tupleINSC_INSA_10device_ptrIsEEEESQ_NSA_9null_typeESR_SR_SR_SR_SR_SR_SR_EEEESG_SG_EENS0_5tupleIJPsSJ_EEENSV_IJSJ_SJ_EEES6_PlJS6_EEE10hipError_tPvRmT3_T4_T5_T6_T7_T9_mT8_P12ihipStream_tbDpT10_ENKUlT_T0_E_clISt17integral_constantIbLb1EES1J_EEDaS1E_S1F_EUlS1E_E_NS1_11comp_targetILNS1_3genE8ELNS1_11target_archE1030ELNS1_3gpuE2ELNS1_3repE0EEENS1_30default_config_static_selectorELNS0_4arch9wavefront6targetE1EEEvT1_,@function
_ZN7rocprim17ROCPRIM_400000_NS6detail17trampoline_kernelINS0_14default_configENS1_25partition_config_selectorILNS1_17partition_subalgoE2EsNS0_10empty_typeEbEEZZNS1_14partition_implILS5_2ELb0ES3_jN6thrust23THRUST_200600_302600_NS6detail15normal_iteratorINSA_7pointerIsNSA_11hip_rocprim3tagENSA_11use_defaultESG_EEEEPS6_NSA_18transform_iteratorI10is_orderedNSA_12zip_iteratorINSA_5tupleINSC_INSA_10device_ptrIsEEEESQ_NSA_9null_typeESR_SR_SR_SR_SR_SR_SR_EEEESG_SG_EENS0_5tupleIJPsSJ_EEENSV_IJSJ_SJ_EEES6_PlJS6_EEE10hipError_tPvRmT3_T4_T5_T6_T7_T9_mT8_P12ihipStream_tbDpT10_ENKUlT_T0_E_clISt17integral_constantIbLb1EES1J_EEDaS1E_S1F_EUlS1E_E_NS1_11comp_targetILNS1_3genE8ELNS1_11target_archE1030ELNS1_3gpuE2ELNS1_3repE0EEENS1_30default_config_static_selectorELNS0_4arch9wavefront6targetE1EEEvT1_: ; @_ZN7rocprim17ROCPRIM_400000_NS6detail17trampoline_kernelINS0_14default_configENS1_25partition_config_selectorILNS1_17partition_subalgoE2EsNS0_10empty_typeEbEEZZNS1_14partition_implILS5_2ELb0ES3_jN6thrust23THRUST_200600_302600_NS6detail15normal_iteratorINSA_7pointerIsNSA_11hip_rocprim3tagENSA_11use_defaultESG_EEEEPS6_NSA_18transform_iteratorI10is_orderedNSA_12zip_iteratorINSA_5tupleINSC_INSA_10device_ptrIsEEEESQ_NSA_9null_typeESR_SR_SR_SR_SR_SR_SR_EEEESG_SG_EENS0_5tupleIJPsSJ_EEENSV_IJSJ_SJ_EEES6_PlJS6_EEE10hipError_tPvRmT3_T4_T5_T6_T7_T9_mT8_P12ihipStream_tbDpT10_ENKUlT_T0_E_clISt17integral_constantIbLb1EES1J_EEDaS1E_S1F_EUlS1E_E_NS1_11comp_targetILNS1_3genE8ELNS1_11target_archE1030ELNS1_3gpuE2ELNS1_3repE0EEENS1_30default_config_static_selectorELNS0_4arch9wavefront6targetE1EEEvT1_
; %bb.0:
	.section	.rodata,"a",@progbits
	.p2align	6, 0x0
	.amdhsa_kernel _ZN7rocprim17ROCPRIM_400000_NS6detail17trampoline_kernelINS0_14default_configENS1_25partition_config_selectorILNS1_17partition_subalgoE2EsNS0_10empty_typeEbEEZZNS1_14partition_implILS5_2ELb0ES3_jN6thrust23THRUST_200600_302600_NS6detail15normal_iteratorINSA_7pointerIsNSA_11hip_rocprim3tagENSA_11use_defaultESG_EEEEPS6_NSA_18transform_iteratorI10is_orderedNSA_12zip_iteratorINSA_5tupleINSC_INSA_10device_ptrIsEEEESQ_NSA_9null_typeESR_SR_SR_SR_SR_SR_SR_EEEESG_SG_EENS0_5tupleIJPsSJ_EEENSV_IJSJ_SJ_EEES6_PlJS6_EEE10hipError_tPvRmT3_T4_T5_T6_T7_T9_mT8_P12ihipStream_tbDpT10_ENKUlT_T0_E_clISt17integral_constantIbLb1EES1J_EEDaS1E_S1F_EUlS1E_E_NS1_11comp_targetILNS1_3genE8ELNS1_11target_archE1030ELNS1_3gpuE2ELNS1_3repE0EEENS1_30default_config_static_selectorELNS0_4arch9wavefront6targetE1EEEvT1_
		.amdhsa_group_segment_fixed_size 0
		.amdhsa_private_segment_fixed_size 0
		.amdhsa_kernarg_size 152
		.amdhsa_user_sgpr_count 2
		.amdhsa_user_sgpr_dispatch_ptr 0
		.amdhsa_user_sgpr_queue_ptr 0
		.amdhsa_user_sgpr_kernarg_segment_ptr 1
		.amdhsa_user_sgpr_dispatch_id 0
		.amdhsa_user_sgpr_kernarg_preload_length 0
		.amdhsa_user_sgpr_kernarg_preload_offset 0
		.amdhsa_user_sgpr_private_segment_size 0
		.amdhsa_uses_dynamic_stack 0
		.amdhsa_enable_private_segment 0
		.amdhsa_system_sgpr_workgroup_id_x 1
		.amdhsa_system_sgpr_workgroup_id_y 0
		.amdhsa_system_sgpr_workgroup_id_z 0
		.amdhsa_system_sgpr_workgroup_info 0
		.amdhsa_system_vgpr_workitem_id 0
		.amdhsa_next_free_vgpr 1
		.amdhsa_next_free_sgpr 0
		.amdhsa_accum_offset 4
		.amdhsa_reserve_vcc 0
		.amdhsa_float_round_mode_32 0
		.amdhsa_float_round_mode_16_64 0
		.amdhsa_float_denorm_mode_32 3
		.amdhsa_float_denorm_mode_16_64 3
		.amdhsa_dx10_clamp 1
		.amdhsa_ieee_mode 1
		.amdhsa_fp16_overflow 0
		.amdhsa_tg_split 0
		.amdhsa_exception_fp_ieee_invalid_op 0
		.amdhsa_exception_fp_denorm_src 0
		.amdhsa_exception_fp_ieee_div_zero 0
		.amdhsa_exception_fp_ieee_overflow 0
		.amdhsa_exception_fp_ieee_underflow 0
		.amdhsa_exception_fp_ieee_inexact 0
		.amdhsa_exception_int_div_zero 0
	.end_amdhsa_kernel
	.section	.text._ZN7rocprim17ROCPRIM_400000_NS6detail17trampoline_kernelINS0_14default_configENS1_25partition_config_selectorILNS1_17partition_subalgoE2EsNS0_10empty_typeEbEEZZNS1_14partition_implILS5_2ELb0ES3_jN6thrust23THRUST_200600_302600_NS6detail15normal_iteratorINSA_7pointerIsNSA_11hip_rocprim3tagENSA_11use_defaultESG_EEEEPS6_NSA_18transform_iteratorI10is_orderedNSA_12zip_iteratorINSA_5tupleINSC_INSA_10device_ptrIsEEEESQ_NSA_9null_typeESR_SR_SR_SR_SR_SR_SR_EEEESG_SG_EENS0_5tupleIJPsSJ_EEENSV_IJSJ_SJ_EEES6_PlJS6_EEE10hipError_tPvRmT3_T4_T5_T6_T7_T9_mT8_P12ihipStream_tbDpT10_ENKUlT_T0_E_clISt17integral_constantIbLb1EES1J_EEDaS1E_S1F_EUlS1E_E_NS1_11comp_targetILNS1_3genE8ELNS1_11target_archE1030ELNS1_3gpuE2ELNS1_3repE0EEENS1_30default_config_static_selectorELNS0_4arch9wavefront6targetE1EEEvT1_,"axG",@progbits,_ZN7rocprim17ROCPRIM_400000_NS6detail17trampoline_kernelINS0_14default_configENS1_25partition_config_selectorILNS1_17partition_subalgoE2EsNS0_10empty_typeEbEEZZNS1_14partition_implILS5_2ELb0ES3_jN6thrust23THRUST_200600_302600_NS6detail15normal_iteratorINSA_7pointerIsNSA_11hip_rocprim3tagENSA_11use_defaultESG_EEEEPS6_NSA_18transform_iteratorI10is_orderedNSA_12zip_iteratorINSA_5tupleINSC_INSA_10device_ptrIsEEEESQ_NSA_9null_typeESR_SR_SR_SR_SR_SR_SR_EEEESG_SG_EENS0_5tupleIJPsSJ_EEENSV_IJSJ_SJ_EEES6_PlJS6_EEE10hipError_tPvRmT3_T4_T5_T6_T7_T9_mT8_P12ihipStream_tbDpT10_ENKUlT_T0_E_clISt17integral_constantIbLb1EES1J_EEDaS1E_S1F_EUlS1E_E_NS1_11comp_targetILNS1_3genE8ELNS1_11target_archE1030ELNS1_3gpuE2ELNS1_3repE0EEENS1_30default_config_static_selectorELNS0_4arch9wavefront6targetE1EEEvT1_,comdat
.Lfunc_end3641:
	.size	_ZN7rocprim17ROCPRIM_400000_NS6detail17trampoline_kernelINS0_14default_configENS1_25partition_config_selectorILNS1_17partition_subalgoE2EsNS0_10empty_typeEbEEZZNS1_14partition_implILS5_2ELb0ES3_jN6thrust23THRUST_200600_302600_NS6detail15normal_iteratorINSA_7pointerIsNSA_11hip_rocprim3tagENSA_11use_defaultESG_EEEEPS6_NSA_18transform_iteratorI10is_orderedNSA_12zip_iteratorINSA_5tupleINSC_INSA_10device_ptrIsEEEESQ_NSA_9null_typeESR_SR_SR_SR_SR_SR_SR_EEEESG_SG_EENS0_5tupleIJPsSJ_EEENSV_IJSJ_SJ_EEES6_PlJS6_EEE10hipError_tPvRmT3_T4_T5_T6_T7_T9_mT8_P12ihipStream_tbDpT10_ENKUlT_T0_E_clISt17integral_constantIbLb1EES1J_EEDaS1E_S1F_EUlS1E_E_NS1_11comp_targetILNS1_3genE8ELNS1_11target_archE1030ELNS1_3gpuE2ELNS1_3repE0EEENS1_30default_config_static_selectorELNS0_4arch9wavefront6targetE1EEEvT1_, .Lfunc_end3641-_ZN7rocprim17ROCPRIM_400000_NS6detail17trampoline_kernelINS0_14default_configENS1_25partition_config_selectorILNS1_17partition_subalgoE2EsNS0_10empty_typeEbEEZZNS1_14partition_implILS5_2ELb0ES3_jN6thrust23THRUST_200600_302600_NS6detail15normal_iteratorINSA_7pointerIsNSA_11hip_rocprim3tagENSA_11use_defaultESG_EEEEPS6_NSA_18transform_iteratorI10is_orderedNSA_12zip_iteratorINSA_5tupleINSC_INSA_10device_ptrIsEEEESQ_NSA_9null_typeESR_SR_SR_SR_SR_SR_SR_EEEESG_SG_EENS0_5tupleIJPsSJ_EEENSV_IJSJ_SJ_EEES6_PlJS6_EEE10hipError_tPvRmT3_T4_T5_T6_T7_T9_mT8_P12ihipStream_tbDpT10_ENKUlT_T0_E_clISt17integral_constantIbLb1EES1J_EEDaS1E_S1F_EUlS1E_E_NS1_11comp_targetILNS1_3genE8ELNS1_11target_archE1030ELNS1_3gpuE2ELNS1_3repE0EEENS1_30default_config_static_selectorELNS0_4arch9wavefront6targetE1EEEvT1_
                                        ; -- End function
	.section	.AMDGPU.csdata,"",@progbits
; Kernel info:
; codeLenInByte = 0
; NumSgprs: 6
; NumVgprs: 0
; NumAgprs: 0
; TotalNumVgprs: 0
; ScratchSize: 0
; MemoryBound: 0
; FloatMode: 240
; IeeeMode: 1
; LDSByteSize: 0 bytes/workgroup (compile time only)
; SGPRBlocks: 0
; VGPRBlocks: 0
; NumSGPRsForWavesPerEU: 6
; NumVGPRsForWavesPerEU: 1
; AccumOffset: 4
; Occupancy: 8
; WaveLimiterHint : 0
; COMPUTE_PGM_RSRC2:SCRATCH_EN: 0
; COMPUTE_PGM_RSRC2:USER_SGPR: 2
; COMPUTE_PGM_RSRC2:TRAP_HANDLER: 0
; COMPUTE_PGM_RSRC2:TGID_X_EN: 1
; COMPUTE_PGM_RSRC2:TGID_Y_EN: 0
; COMPUTE_PGM_RSRC2:TGID_Z_EN: 0
; COMPUTE_PGM_RSRC2:TIDIG_COMP_CNT: 0
; COMPUTE_PGM_RSRC3_GFX90A:ACCUM_OFFSET: 0
; COMPUTE_PGM_RSRC3_GFX90A:TG_SPLIT: 0
	.section	.text._ZN7rocprim17ROCPRIM_400000_NS6detail17trampoline_kernelINS0_14default_configENS1_25partition_config_selectorILNS1_17partition_subalgoE2EsNS0_10empty_typeEbEEZZNS1_14partition_implILS5_2ELb0ES3_jN6thrust23THRUST_200600_302600_NS6detail15normal_iteratorINSA_7pointerIsNSA_11hip_rocprim3tagENSA_11use_defaultESG_EEEEPS6_NSA_18transform_iteratorI10is_orderedNSA_12zip_iteratorINSA_5tupleINSC_INSA_10device_ptrIsEEEESQ_NSA_9null_typeESR_SR_SR_SR_SR_SR_SR_EEEESG_SG_EENS0_5tupleIJPsSJ_EEENSV_IJSJ_SJ_EEES6_PlJS6_EEE10hipError_tPvRmT3_T4_T5_T6_T7_T9_mT8_P12ihipStream_tbDpT10_ENKUlT_T0_E_clISt17integral_constantIbLb1EES1I_IbLb0EEEEDaS1E_S1F_EUlS1E_E_NS1_11comp_targetILNS1_3genE0ELNS1_11target_archE4294967295ELNS1_3gpuE0ELNS1_3repE0EEENS1_30default_config_static_selectorELNS0_4arch9wavefront6targetE1EEEvT1_,"axG",@progbits,_ZN7rocprim17ROCPRIM_400000_NS6detail17trampoline_kernelINS0_14default_configENS1_25partition_config_selectorILNS1_17partition_subalgoE2EsNS0_10empty_typeEbEEZZNS1_14partition_implILS5_2ELb0ES3_jN6thrust23THRUST_200600_302600_NS6detail15normal_iteratorINSA_7pointerIsNSA_11hip_rocprim3tagENSA_11use_defaultESG_EEEEPS6_NSA_18transform_iteratorI10is_orderedNSA_12zip_iteratorINSA_5tupleINSC_INSA_10device_ptrIsEEEESQ_NSA_9null_typeESR_SR_SR_SR_SR_SR_SR_EEEESG_SG_EENS0_5tupleIJPsSJ_EEENSV_IJSJ_SJ_EEES6_PlJS6_EEE10hipError_tPvRmT3_T4_T5_T6_T7_T9_mT8_P12ihipStream_tbDpT10_ENKUlT_T0_E_clISt17integral_constantIbLb1EES1I_IbLb0EEEEDaS1E_S1F_EUlS1E_E_NS1_11comp_targetILNS1_3genE0ELNS1_11target_archE4294967295ELNS1_3gpuE0ELNS1_3repE0EEENS1_30default_config_static_selectorELNS0_4arch9wavefront6targetE1EEEvT1_,comdat
	.protected	_ZN7rocprim17ROCPRIM_400000_NS6detail17trampoline_kernelINS0_14default_configENS1_25partition_config_selectorILNS1_17partition_subalgoE2EsNS0_10empty_typeEbEEZZNS1_14partition_implILS5_2ELb0ES3_jN6thrust23THRUST_200600_302600_NS6detail15normal_iteratorINSA_7pointerIsNSA_11hip_rocprim3tagENSA_11use_defaultESG_EEEEPS6_NSA_18transform_iteratorI10is_orderedNSA_12zip_iteratorINSA_5tupleINSC_INSA_10device_ptrIsEEEESQ_NSA_9null_typeESR_SR_SR_SR_SR_SR_SR_EEEESG_SG_EENS0_5tupleIJPsSJ_EEENSV_IJSJ_SJ_EEES6_PlJS6_EEE10hipError_tPvRmT3_T4_T5_T6_T7_T9_mT8_P12ihipStream_tbDpT10_ENKUlT_T0_E_clISt17integral_constantIbLb1EES1I_IbLb0EEEEDaS1E_S1F_EUlS1E_E_NS1_11comp_targetILNS1_3genE0ELNS1_11target_archE4294967295ELNS1_3gpuE0ELNS1_3repE0EEENS1_30default_config_static_selectorELNS0_4arch9wavefront6targetE1EEEvT1_ ; -- Begin function _ZN7rocprim17ROCPRIM_400000_NS6detail17trampoline_kernelINS0_14default_configENS1_25partition_config_selectorILNS1_17partition_subalgoE2EsNS0_10empty_typeEbEEZZNS1_14partition_implILS5_2ELb0ES3_jN6thrust23THRUST_200600_302600_NS6detail15normal_iteratorINSA_7pointerIsNSA_11hip_rocprim3tagENSA_11use_defaultESG_EEEEPS6_NSA_18transform_iteratorI10is_orderedNSA_12zip_iteratorINSA_5tupleINSC_INSA_10device_ptrIsEEEESQ_NSA_9null_typeESR_SR_SR_SR_SR_SR_SR_EEEESG_SG_EENS0_5tupleIJPsSJ_EEENSV_IJSJ_SJ_EEES6_PlJS6_EEE10hipError_tPvRmT3_T4_T5_T6_T7_T9_mT8_P12ihipStream_tbDpT10_ENKUlT_T0_E_clISt17integral_constantIbLb1EES1I_IbLb0EEEEDaS1E_S1F_EUlS1E_E_NS1_11comp_targetILNS1_3genE0ELNS1_11target_archE4294967295ELNS1_3gpuE0ELNS1_3repE0EEENS1_30default_config_static_selectorELNS0_4arch9wavefront6targetE1EEEvT1_
	.globl	_ZN7rocprim17ROCPRIM_400000_NS6detail17trampoline_kernelINS0_14default_configENS1_25partition_config_selectorILNS1_17partition_subalgoE2EsNS0_10empty_typeEbEEZZNS1_14partition_implILS5_2ELb0ES3_jN6thrust23THRUST_200600_302600_NS6detail15normal_iteratorINSA_7pointerIsNSA_11hip_rocprim3tagENSA_11use_defaultESG_EEEEPS6_NSA_18transform_iteratorI10is_orderedNSA_12zip_iteratorINSA_5tupleINSC_INSA_10device_ptrIsEEEESQ_NSA_9null_typeESR_SR_SR_SR_SR_SR_SR_EEEESG_SG_EENS0_5tupleIJPsSJ_EEENSV_IJSJ_SJ_EEES6_PlJS6_EEE10hipError_tPvRmT3_T4_T5_T6_T7_T9_mT8_P12ihipStream_tbDpT10_ENKUlT_T0_E_clISt17integral_constantIbLb1EES1I_IbLb0EEEEDaS1E_S1F_EUlS1E_E_NS1_11comp_targetILNS1_3genE0ELNS1_11target_archE4294967295ELNS1_3gpuE0ELNS1_3repE0EEENS1_30default_config_static_selectorELNS0_4arch9wavefront6targetE1EEEvT1_
	.p2align	8
	.type	_ZN7rocprim17ROCPRIM_400000_NS6detail17trampoline_kernelINS0_14default_configENS1_25partition_config_selectorILNS1_17partition_subalgoE2EsNS0_10empty_typeEbEEZZNS1_14partition_implILS5_2ELb0ES3_jN6thrust23THRUST_200600_302600_NS6detail15normal_iteratorINSA_7pointerIsNSA_11hip_rocprim3tagENSA_11use_defaultESG_EEEEPS6_NSA_18transform_iteratorI10is_orderedNSA_12zip_iteratorINSA_5tupleINSC_INSA_10device_ptrIsEEEESQ_NSA_9null_typeESR_SR_SR_SR_SR_SR_SR_EEEESG_SG_EENS0_5tupleIJPsSJ_EEENSV_IJSJ_SJ_EEES6_PlJS6_EEE10hipError_tPvRmT3_T4_T5_T6_T7_T9_mT8_P12ihipStream_tbDpT10_ENKUlT_T0_E_clISt17integral_constantIbLb1EES1I_IbLb0EEEEDaS1E_S1F_EUlS1E_E_NS1_11comp_targetILNS1_3genE0ELNS1_11target_archE4294967295ELNS1_3gpuE0ELNS1_3repE0EEENS1_30default_config_static_selectorELNS0_4arch9wavefront6targetE1EEEvT1_,@function
_ZN7rocprim17ROCPRIM_400000_NS6detail17trampoline_kernelINS0_14default_configENS1_25partition_config_selectorILNS1_17partition_subalgoE2EsNS0_10empty_typeEbEEZZNS1_14partition_implILS5_2ELb0ES3_jN6thrust23THRUST_200600_302600_NS6detail15normal_iteratorINSA_7pointerIsNSA_11hip_rocprim3tagENSA_11use_defaultESG_EEEEPS6_NSA_18transform_iteratorI10is_orderedNSA_12zip_iteratorINSA_5tupleINSC_INSA_10device_ptrIsEEEESQ_NSA_9null_typeESR_SR_SR_SR_SR_SR_SR_EEEESG_SG_EENS0_5tupleIJPsSJ_EEENSV_IJSJ_SJ_EEES6_PlJS6_EEE10hipError_tPvRmT3_T4_T5_T6_T7_T9_mT8_P12ihipStream_tbDpT10_ENKUlT_T0_E_clISt17integral_constantIbLb1EES1I_IbLb0EEEEDaS1E_S1F_EUlS1E_E_NS1_11comp_targetILNS1_3genE0ELNS1_11target_archE4294967295ELNS1_3gpuE0ELNS1_3repE0EEENS1_30default_config_static_selectorELNS0_4arch9wavefront6targetE1EEEvT1_: ; @_ZN7rocprim17ROCPRIM_400000_NS6detail17trampoline_kernelINS0_14default_configENS1_25partition_config_selectorILNS1_17partition_subalgoE2EsNS0_10empty_typeEbEEZZNS1_14partition_implILS5_2ELb0ES3_jN6thrust23THRUST_200600_302600_NS6detail15normal_iteratorINSA_7pointerIsNSA_11hip_rocprim3tagENSA_11use_defaultESG_EEEEPS6_NSA_18transform_iteratorI10is_orderedNSA_12zip_iteratorINSA_5tupleINSC_INSA_10device_ptrIsEEEESQ_NSA_9null_typeESR_SR_SR_SR_SR_SR_SR_EEEESG_SG_EENS0_5tupleIJPsSJ_EEENSV_IJSJ_SJ_EEES6_PlJS6_EEE10hipError_tPvRmT3_T4_T5_T6_T7_T9_mT8_P12ihipStream_tbDpT10_ENKUlT_T0_E_clISt17integral_constantIbLb1EES1I_IbLb0EEEEDaS1E_S1F_EUlS1E_E_NS1_11comp_targetILNS1_3genE0ELNS1_11target_archE4294967295ELNS1_3gpuE0ELNS1_3repE0EEENS1_30default_config_static_selectorELNS0_4arch9wavefront6targetE1EEEvT1_
; %bb.0:
	.section	.rodata,"a",@progbits
	.p2align	6, 0x0
	.amdhsa_kernel _ZN7rocprim17ROCPRIM_400000_NS6detail17trampoline_kernelINS0_14default_configENS1_25partition_config_selectorILNS1_17partition_subalgoE2EsNS0_10empty_typeEbEEZZNS1_14partition_implILS5_2ELb0ES3_jN6thrust23THRUST_200600_302600_NS6detail15normal_iteratorINSA_7pointerIsNSA_11hip_rocprim3tagENSA_11use_defaultESG_EEEEPS6_NSA_18transform_iteratorI10is_orderedNSA_12zip_iteratorINSA_5tupleINSC_INSA_10device_ptrIsEEEESQ_NSA_9null_typeESR_SR_SR_SR_SR_SR_SR_EEEESG_SG_EENS0_5tupleIJPsSJ_EEENSV_IJSJ_SJ_EEES6_PlJS6_EEE10hipError_tPvRmT3_T4_T5_T6_T7_T9_mT8_P12ihipStream_tbDpT10_ENKUlT_T0_E_clISt17integral_constantIbLb1EES1I_IbLb0EEEEDaS1E_S1F_EUlS1E_E_NS1_11comp_targetILNS1_3genE0ELNS1_11target_archE4294967295ELNS1_3gpuE0ELNS1_3repE0EEENS1_30default_config_static_selectorELNS0_4arch9wavefront6targetE1EEEvT1_
		.amdhsa_group_segment_fixed_size 0
		.amdhsa_private_segment_fixed_size 0
		.amdhsa_kernarg_size 136
		.amdhsa_user_sgpr_count 2
		.amdhsa_user_sgpr_dispatch_ptr 0
		.amdhsa_user_sgpr_queue_ptr 0
		.amdhsa_user_sgpr_kernarg_segment_ptr 1
		.amdhsa_user_sgpr_dispatch_id 0
		.amdhsa_user_sgpr_kernarg_preload_length 0
		.amdhsa_user_sgpr_kernarg_preload_offset 0
		.amdhsa_user_sgpr_private_segment_size 0
		.amdhsa_uses_dynamic_stack 0
		.amdhsa_enable_private_segment 0
		.amdhsa_system_sgpr_workgroup_id_x 1
		.amdhsa_system_sgpr_workgroup_id_y 0
		.amdhsa_system_sgpr_workgroup_id_z 0
		.amdhsa_system_sgpr_workgroup_info 0
		.amdhsa_system_vgpr_workitem_id 0
		.amdhsa_next_free_vgpr 1
		.amdhsa_next_free_sgpr 0
		.amdhsa_accum_offset 4
		.amdhsa_reserve_vcc 0
		.amdhsa_float_round_mode_32 0
		.amdhsa_float_round_mode_16_64 0
		.amdhsa_float_denorm_mode_32 3
		.amdhsa_float_denorm_mode_16_64 3
		.amdhsa_dx10_clamp 1
		.amdhsa_ieee_mode 1
		.amdhsa_fp16_overflow 0
		.amdhsa_tg_split 0
		.amdhsa_exception_fp_ieee_invalid_op 0
		.amdhsa_exception_fp_denorm_src 0
		.amdhsa_exception_fp_ieee_div_zero 0
		.amdhsa_exception_fp_ieee_overflow 0
		.amdhsa_exception_fp_ieee_underflow 0
		.amdhsa_exception_fp_ieee_inexact 0
		.amdhsa_exception_int_div_zero 0
	.end_amdhsa_kernel
	.section	.text._ZN7rocprim17ROCPRIM_400000_NS6detail17trampoline_kernelINS0_14default_configENS1_25partition_config_selectorILNS1_17partition_subalgoE2EsNS0_10empty_typeEbEEZZNS1_14partition_implILS5_2ELb0ES3_jN6thrust23THRUST_200600_302600_NS6detail15normal_iteratorINSA_7pointerIsNSA_11hip_rocprim3tagENSA_11use_defaultESG_EEEEPS6_NSA_18transform_iteratorI10is_orderedNSA_12zip_iteratorINSA_5tupleINSC_INSA_10device_ptrIsEEEESQ_NSA_9null_typeESR_SR_SR_SR_SR_SR_SR_EEEESG_SG_EENS0_5tupleIJPsSJ_EEENSV_IJSJ_SJ_EEES6_PlJS6_EEE10hipError_tPvRmT3_T4_T5_T6_T7_T9_mT8_P12ihipStream_tbDpT10_ENKUlT_T0_E_clISt17integral_constantIbLb1EES1I_IbLb0EEEEDaS1E_S1F_EUlS1E_E_NS1_11comp_targetILNS1_3genE0ELNS1_11target_archE4294967295ELNS1_3gpuE0ELNS1_3repE0EEENS1_30default_config_static_selectorELNS0_4arch9wavefront6targetE1EEEvT1_,"axG",@progbits,_ZN7rocprim17ROCPRIM_400000_NS6detail17trampoline_kernelINS0_14default_configENS1_25partition_config_selectorILNS1_17partition_subalgoE2EsNS0_10empty_typeEbEEZZNS1_14partition_implILS5_2ELb0ES3_jN6thrust23THRUST_200600_302600_NS6detail15normal_iteratorINSA_7pointerIsNSA_11hip_rocprim3tagENSA_11use_defaultESG_EEEEPS6_NSA_18transform_iteratorI10is_orderedNSA_12zip_iteratorINSA_5tupleINSC_INSA_10device_ptrIsEEEESQ_NSA_9null_typeESR_SR_SR_SR_SR_SR_SR_EEEESG_SG_EENS0_5tupleIJPsSJ_EEENSV_IJSJ_SJ_EEES6_PlJS6_EEE10hipError_tPvRmT3_T4_T5_T6_T7_T9_mT8_P12ihipStream_tbDpT10_ENKUlT_T0_E_clISt17integral_constantIbLb1EES1I_IbLb0EEEEDaS1E_S1F_EUlS1E_E_NS1_11comp_targetILNS1_3genE0ELNS1_11target_archE4294967295ELNS1_3gpuE0ELNS1_3repE0EEENS1_30default_config_static_selectorELNS0_4arch9wavefront6targetE1EEEvT1_,comdat
.Lfunc_end3642:
	.size	_ZN7rocprim17ROCPRIM_400000_NS6detail17trampoline_kernelINS0_14default_configENS1_25partition_config_selectorILNS1_17partition_subalgoE2EsNS0_10empty_typeEbEEZZNS1_14partition_implILS5_2ELb0ES3_jN6thrust23THRUST_200600_302600_NS6detail15normal_iteratorINSA_7pointerIsNSA_11hip_rocprim3tagENSA_11use_defaultESG_EEEEPS6_NSA_18transform_iteratorI10is_orderedNSA_12zip_iteratorINSA_5tupleINSC_INSA_10device_ptrIsEEEESQ_NSA_9null_typeESR_SR_SR_SR_SR_SR_SR_EEEESG_SG_EENS0_5tupleIJPsSJ_EEENSV_IJSJ_SJ_EEES6_PlJS6_EEE10hipError_tPvRmT3_T4_T5_T6_T7_T9_mT8_P12ihipStream_tbDpT10_ENKUlT_T0_E_clISt17integral_constantIbLb1EES1I_IbLb0EEEEDaS1E_S1F_EUlS1E_E_NS1_11comp_targetILNS1_3genE0ELNS1_11target_archE4294967295ELNS1_3gpuE0ELNS1_3repE0EEENS1_30default_config_static_selectorELNS0_4arch9wavefront6targetE1EEEvT1_, .Lfunc_end3642-_ZN7rocprim17ROCPRIM_400000_NS6detail17trampoline_kernelINS0_14default_configENS1_25partition_config_selectorILNS1_17partition_subalgoE2EsNS0_10empty_typeEbEEZZNS1_14partition_implILS5_2ELb0ES3_jN6thrust23THRUST_200600_302600_NS6detail15normal_iteratorINSA_7pointerIsNSA_11hip_rocprim3tagENSA_11use_defaultESG_EEEEPS6_NSA_18transform_iteratorI10is_orderedNSA_12zip_iteratorINSA_5tupleINSC_INSA_10device_ptrIsEEEESQ_NSA_9null_typeESR_SR_SR_SR_SR_SR_SR_EEEESG_SG_EENS0_5tupleIJPsSJ_EEENSV_IJSJ_SJ_EEES6_PlJS6_EEE10hipError_tPvRmT3_T4_T5_T6_T7_T9_mT8_P12ihipStream_tbDpT10_ENKUlT_T0_E_clISt17integral_constantIbLb1EES1I_IbLb0EEEEDaS1E_S1F_EUlS1E_E_NS1_11comp_targetILNS1_3genE0ELNS1_11target_archE4294967295ELNS1_3gpuE0ELNS1_3repE0EEENS1_30default_config_static_selectorELNS0_4arch9wavefront6targetE1EEEvT1_
                                        ; -- End function
	.section	.AMDGPU.csdata,"",@progbits
; Kernel info:
; codeLenInByte = 0
; NumSgprs: 6
; NumVgprs: 0
; NumAgprs: 0
; TotalNumVgprs: 0
; ScratchSize: 0
; MemoryBound: 0
; FloatMode: 240
; IeeeMode: 1
; LDSByteSize: 0 bytes/workgroup (compile time only)
; SGPRBlocks: 0
; VGPRBlocks: 0
; NumSGPRsForWavesPerEU: 6
; NumVGPRsForWavesPerEU: 1
; AccumOffset: 4
; Occupancy: 8
; WaveLimiterHint : 0
; COMPUTE_PGM_RSRC2:SCRATCH_EN: 0
; COMPUTE_PGM_RSRC2:USER_SGPR: 2
; COMPUTE_PGM_RSRC2:TRAP_HANDLER: 0
; COMPUTE_PGM_RSRC2:TGID_X_EN: 1
; COMPUTE_PGM_RSRC2:TGID_Y_EN: 0
; COMPUTE_PGM_RSRC2:TGID_Z_EN: 0
; COMPUTE_PGM_RSRC2:TIDIG_COMP_CNT: 0
; COMPUTE_PGM_RSRC3_GFX90A:ACCUM_OFFSET: 0
; COMPUTE_PGM_RSRC3_GFX90A:TG_SPLIT: 0
	.section	.text._ZN7rocprim17ROCPRIM_400000_NS6detail17trampoline_kernelINS0_14default_configENS1_25partition_config_selectorILNS1_17partition_subalgoE2EsNS0_10empty_typeEbEEZZNS1_14partition_implILS5_2ELb0ES3_jN6thrust23THRUST_200600_302600_NS6detail15normal_iteratorINSA_7pointerIsNSA_11hip_rocprim3tagENSA_11use_defaultESG_EEEEPS6_NSA_18transform_iteratorI10is_orderedNSA_12zip_iteratorINSA_5tupleINSC_INSA_10device_ptrIsEEEESQ_NSA_9null_typeESR_SR_SR_SR_SR_SR_SR_EEEESG_SG_EENS0_5tupleIJPsSJ_EEENSV_IJSJ_SJ_EEES6_PlJS6_EEE10hipError_tPvRmT3_T4_T5_T6_T7_T9_mT8_P12ihipStream_tbDpT10_ENKUlT_T0_E_clISt17integral_constantIbLb1EES1I_IbLb0EEEEDaS1E_S1F_EUlS1E_E_NS1_11comp_targetILNS1_3genE5ELNS1_11target_archE942ELNS1_3gpuE9ELNS1_3repE0EEENS1_30default_config_static_selectorELNS0_4arch9wavefront6targetE1EEEvT1_,"axG",@progbits,_ZN7rocprim17ROCPRIM_400000_NS6detail17trampoline_kernelINS0_14default_configENS1_25partition_config_selectorILNS1_17partition_subalgoE2EsNS0_10empty_typeEbEEZZNS1_14partition_implILS5_2ELb0ES3_jN6thrust23THRUST_200600_302600_NS6detail15normal_iteratorINSA_7pointerIsNSA_11hip_rocprim3tagENSA_11use_defaultESG_EEEEPS6_NSA_18transform_iteratorI10is_orderedNSA_12zip_iteratorINSA_5tupleINSC_INSA_10device_ptrIsEEEESQ_NSA_9null_typeESR_SR_SR_SR_SR_SR_SR_EEEESG_SG_EENS0_5tupleIJPsSJ_EEENSV_IJSJ_SJ_EEES6_PlJS6_EEE10hipError_tPvRmT3_T4_T5_T6_T7_T9_mT8_P12ihipStream_tbDpT10_ENKUlT_T0_E_clISt17integral_constantIbLb1EES1I_IbLb0EEEEDaS1E_S1F_EUlS1E_E_NS1_11comp_targetILNS1_3genE5ELNS1_11target_archE942ELNS1_3gpuE9ELNS1_3repE0EEENS1_30default_config_static_selectorELNS0_4arch9wavefront6targetE1EEEvT1_,comdat
	.protected	_ZN7rocprim17ROCPRIM_400000_NS6detail17trampoline_kernelINS0_14default_configENS1_25partition_config_selectorILNS1_17partition_subalgoE2EsNS0_10empty_typeEbEEZZNS1_14partition_implILS5_2ELb0ES3_jN6thrust23THRUST_200600_302600_NS6detail15normal_iteratorINSA_7pointerIsNSA_11hip_rocprim3tagENSA_11use_defaultESG_EEEEPS6_NSA_18transform_iteratorI10is_orderedNSA_12zip_iteratorINSA_5tupleINSC_INSA_10device_ptrIsEEEESQ_NSA_9null_typeESR_SR_SR_SR_SR_SR_SR_EEEESG_SG_EENS0_5tupleIJPsSJ_EEENSV_IJSJ_SJ_EEES6_PlJS6_EEE10hipError_tPvRmT3_T4_T5_T6_T7_T9_mT8_P12ihipStream_tbDpT10_ENKUlT_T0_E_clISt17integral_constantIbLb1EES1I_IbLb0EEEEDaS1E_S1F_EUlS1E_E_NS1_11comp_targetILNS1_3genE5ELNS1_11target_archE942ELNS1_3gpuE9ELNS1_3repE0EEENS1_30default_config_static_selectorELNS0_4arch9wavefront6targetE1EEEvT1_ ; -- Begin function _ZN7rocprim17ROCPRIM_400000_NS6detail17trampoline_kernelINS0_14default_configENS1_25partition_config_selectorILNS1_17partition_subalgoE2EsNS0_10empty_typeEbEEZZNS1_14partition_implILS5_2ELb0ES3_jN6thrust23THRUST_200600_302600_NS6detail15normal_iteratorINSA_7pointerIsNSA_11hip_rocprim3tagENSA_11use_defaultESG_EEEEPS6_NSA_18transform_iteratorI10is_orderedNSA_12zip_iteratorINSA_5tupleINSC_INSA_10device_ptrIsEEEESQ_NSA_9null_typeESR_SR_SR_SR_SR_SR_SR_EEEESG_SG_EENS0_5tupleIJPsSJ_EEENSV_IJSJ_SJ_EEES6_PlJS6_EEE10hipError_tPvRmT3_T4_T5_T6_T7_T9_mT8_P12ihipStream_tbDpT10_ENKUlT_T0_E_clISt17integral_constantIbLb1EES1I_IbLb0EEEEDaS1E_S1F_EUlS1E_E_NS1_11comp_targetILNS1_3genE5ELNS1_11target_archE942ELNS1_3gpuE9ELNS1_3repE0EEENS1_30default_config_static_selectorELNS0_4arch9wavefront6targetE1EEEvT1_
	.globl	_ZN7rocprim17ROCPRIM_400000_NS6detail17trampoline_kernelINS0_14default_configENS1_25partition_config_selectorILNS1_17partition_subalgoE2EsNS0_10empty_typeEbEEZZNS1_14partition_implILS5_2ELb0ES3_jN6thrust23THRUST_200600_302600_NS6detail15normal_iteratorINSA_7pointerIsNSA_11hip_rocprim3tagENSA_11use_defaultESG_EEEEPS6_NSA_18transform_iteratorI10is_orderedNSA_12zip_iteratorINSA_5tupleINSC_INSA_10device_ptrIsEEEESQ_NSA_9null_typeESR_SR_SR_SR_SR_SR_SR_EEEESG_SG_EENS0_5tupleIJPsSJ_EEENSV_IJSJ_SJ_EEES6_PlJS6_EEE10hipError_tPvRmT3_T4_T5_T6_T7_T9_mT8_P12ihipStream_tbDpT10_ENKUlT_T0_E_clISt17integral_constantIbLb1EES1I_IbLb0EEEEDaS1E_S1F_EUlS1E_E_NS1_11comp_targetILNS1_3genE5ELNS1_11target_archE942ELNS1_3gpuE9ELNS1_3repE0EEENS1_30default_config_static_selectorELNS0_4arch9wavefront6targetE1EEEvT1_
	.p2align	8
	.type	_ZN7rocprim17ROCPRIM_400000_NS6detail17trampoline_kernelINS0_14default_configENS1_25partition_config_selectorILNS1_17partition_subalgoE2EsNS0_10empty_typeEbEEZZNS1_14partition_implILS5_2ELb0ES3_jN6thrust23THRUST_200600_302600_NS6detail15normal_iteratorINSA_7pointerIsNSA_11hip_rocprim3tagENSA_11use_defaultESG_EEEEPS6_NSA_18transform_iteratorI10is_orderedNSA_12zip_iteratorINSA_5tupleINSC_INSA_10device_ptrIsEEEESQ_NSA_9null_typeESR_SR_SR_SR_SR_SR_SR_EEEESG_SG_EENS0_5tupleIJPsSJ_EEENSV_IJSJ_SJ_EEES6_PlJS6_EEE10hipError_tPvRmT3_T4_T5_T6_T7_T9_mT8_P12ihipStream_tbDpT10_ENKUlT_T0_E_clISt17integral_constantIbLb1EES1I_IbLb0EEEEDaS1E_S1F_EUlS1E_E_NS1_11comp_targetILNS1_3genE5ELNS1_11target_archE942ELNS1_3gpuE9ELNS1_3repE0EEENS1_30default_config_static_selectorELNS0_4arch9wavefront6targetE1EEEvT1_,@function
_ZN7rocprim17ROCPRIM_400000_NS6detail17trampoline_kernelINS0_14default_configENS1_25partition_config_selectorILNS1_17partition_subalgoE2EsNS0_10empty_typeEbEEZZNS1_14partition_implILS5_2ELb0ES3_jN6thrust23THRUST_200600_302600_NS6detail15normal_iteratorINSA_7pointerIsNSA_11hip_rocprim3tagENSA_11use_defaultESG_EEEEPS6_NSA_18transform_iteratorI10is_orderedNSA_12zip_iteratorINSA_5tupleINSC_INSA_10device_ptrIsEEEESQ_NSA_9null_typeESR_SR_SR_SR_SR_SR_SR_EEEESG_SG_EENS0_5tupleIJPsSJ_EEENSV_IJSJ_SJ_EEES6_PlJS6_EEE10hipError_tPvRmT3_T4_T5_T6_T7_T9_mT8_P12ihipStream_tbDpT10_ENKUlT_T0_E_clISt17integral_constantIbLb1EES1I_IbLb0EEEEDaS1E_S1F_EUlS1E_E_NS1_11comp_targetILNS1_3genE5ELNS1_11target_archE942ELNS1_3gpuE9ELNS1_3repE0EEENS1_30default_config_static_selectorELNS0_4arch9wavefront6targetE1EEEvT1_: ; @_ZN7rocprim17ROCPRIM_400000_NS6detail17trampoline_kernelINS0_14default_configENS1_25partition_config_selectorILNS1_17partition_subalgoE2EsNS0_10empty_typeEbEEZZNS1_14partition_implILS5_2ELb0ES3_jN6thrust23THRUST_200600_302600_NS6detail15normal_iteratorINSA_7pointerIsNSA_11hip_rocprim3tagENSA_11use_defaultESG_EEEEPS6_NSA_18transform_iteratorI10is_orderedNSA_12zip_iteratorINSA_5tupleINSC_INSA_10device_ptrIsEEEESQ_NSA_9null_typeESR_SR_SR_SR_SR_SR_SR_EEEESG_SG_EENS0_5tupleIJPsSJ_EEENSV_IJSJ_SJ_EEES6_PlJS6_EEE10hipError_tPvRmT3_T4_T5_T6_T7_T9_mT8_P12ihipStream_tbDpT10_ENKUlT_T0_E_clISt17integral_constantIbLb1EES1I_IbLb0EEEEDaS1E_S1F_EUlS1E_E_NS1_11comp_targetILNS1_3genE5ELNS1_11target_archE942ELNS1_3gpuE9ELNS1_3repE0EEENS1_30default_config_static_selectorELNS0_4arch9wavefront6targetE1EEEvT1_
; %bb.0:
	s_load_dwordx4 s[24:27], s[0:1], 0x8
	s_load_dwordx4 s[20:23], s[0:1], 0x58
	s_load_dwordx2 s[28:29], s[0:1], 0x68
	s_load_dword s3, s[0:1], 0x80
	v_lshlrev_b32_e32 v12, 1, v0
	s_waitcnt lgkmcnt(0)
	s_lshl_b64 s[6:7], s[26:27], 1
	s_add_u32 s8, s24, s6
	s_addc_u32 s9, s25, s7
	s_add_i32 s10, s3, -1
	s_mulk_i32 s3, 0x3c00
	s_add_i32 s4, s3, s26
	s_sub_i32 s33, s28, s4
	s_addk_i32 s33, 0x3c00
	s_add_u32 s4, s26, s3
	s_addc_u32 s5, s27, 0
	s_cmp_eq_u32 s2, s10
	s_load_dwordx2 s[30:31], s[22:23], 0x0
	v_mov_b64_e32 v[2:3], s[28:29]
	s_cselect_b64 s[22:23], -1, 0
	s_cmp_lg_u32 s2, s10
	s_mul_i32 s24, s2, 0x3c00
	s_mov_b32 s25, 0
	v_cmp_lt_u64_e32 vcc, s[4:5], v[2:3]
	s_cselect_b64 s[4:5], -1, 0
	s_or_b64 s[34:35], s[4:5], vcc
	s_lshl_b64 s[12:13], s[24:25], 1
	s_add_u32 s14, s8, s12
	s_addc_u32 s15, s9, s13
	s_mov_b64 s[4:5], -1
	s_and_b64 vcc, exec, s[34:35]
	s_cbranch_vccz .LBB3643_2
; %bb.1:
	v_mov_b32_e32 v13, 0
	v_lshl_add_u64 v[2:3], s[14:15], 0, v[12:13]
	v_add_co_u32_e32 v4, vcc, 0x1000, v2
	s_mov_b64 s[4:5], 0
	s_nop 0
	v_addc_co_u32_e32 v5, vcc, 0, v3, vcc
	flat_load_ushort v1, v[2:3]
	flat_load_ushort v8, v[2:3] offset:1024
	flat_load_ushort v9, v[2:3] offset:2048
	flat_load_ushort v10, v[2:3] offset:3072
	flat_load_ushort v11, v[4:5]
	flat_load_ushort v13, v[4:5] offset:1024
	flat_load_ushort v14, v[4:5] offset:2048
	flat_load_ushort v15, v[4:5] offset:3072
	v_add_co_u32_e32 v4, vcc, 0x2000, v2
	s_nop 1
	v_addc_co_u32_e32 v5, vcc, 0, v3, vcc
	v_add_co_u32_e32 v6, vcc, 0x3000, v2
	s_nop 1
	v_addc_co_u32_e32 v7, vcc, 0, v3, vcc
	flat_load_ushort v16, v[4:5]
	flat_load_ushort v17, v[4:5] offset:1024
	flat_load_ushort v18, v[4:5] offset:2048
	flat_load_ushort v19, v[4:5] offset:3072
	flat_load_ushort v20, v[6:7]
	flat_load_ushort v21, v[6:7] offset:1024
	flat_load_ushort v22, v[6:7] offset:2048
	flat_load_ushort v23, v[6:7] offset:3072
	v_add_co_u32_e32 v4, vcc, 0x4000, v2
	s_nop 1
	v_addc_co_u32_e32 v5, vcc, 0, v3, vcc
	v_add_co_u32_e32 v6, vcc, 0x5000, v2
	;; [unrolled: 14-line block ×3, first 2 shown]
	s_nop 1
	v_addc_co_u32_e32 v3, vcc, 0, v3, vcc
	flat_load_ushort v6, v[4:5]
	flat_load_ushort v7, v[4:5] offset:1024
	flat_load_ushort v32, v[4:5] offset:2048
	;; [unrolled: 1-line block ×3, first 2 shown]
	flat_load_ushort v34, v[2:3]
	flat_load_ushort v35, v[2:3] offset:1024
	s_waitcnt vmcnt(0) lgkmcnt(0)
	ds_write_b16 v12, v1
	ds_write_b16 v12, v8 offset:1024
	ds_write_b16 v12, v9 offset:2048
	;; [unrolled: 1-line block ×29, first 2 shown]
	s_waitcnt lgkmcnt(0)
	s_barrier
.LBB3643_2:
	s_load_dwordx4 s[8:11], s[0:1], 0x20
	s_andn2_b64 vcc, exec, s[4:5]
	v_cmp_gt_u32_e64 s[4:5], s33, v0
	s_cbranch_vccnz .LBB3643_64
; %bb.3:
                                        ; implicit-def: $vgpr1
	s_and_saveexec_b64 s[16:17], s[4:5]
	s_cbranch_execz .LBB3643_5
; %bb.4:
	v_mov_b32_e32 v13, 0
	v_lshl_add_u64 v[2:3], s[14:15], 0, v[12:13]
	flat_load_ushort v1, v[2:3]
.LBB3643_5:
	s_or_b64 exec, exec, s[16:17]
	v_or_b32_e32 v2, 0x200, v0
	v_cmp_gt_u32_e32 vcc, s33, v2
                                        ; implicit-def: $vgpr2
	s_and_saveexec_b64 s[4:5], vcc
	s_cbranch_execz .LBB3643_7
; %bb.6:
	v_mov_b32_e32 v13, 0
	v_lshl_add_u64 v[2:3], s[14:15], 0, v[12:13]
	flat_load_ushort v2, v[2:3] offset:1024
.LBB3643_7:
	s_or_b64 exec, exec, s[4:5]
	v_or_b32_e32 v3, 0x400, v0
	v_cmp_gt_u32_e32 vcc, s33, v3
                                        ; implicit-def: $vgpr3
	s_and_saveexec_b64 s[4:5], vcc
	s_cbranch_execz .LBB3643_9
; %bb.8:
	v_mov_b32_e32 v13, 0
	v_lshl_add_u64 v[4:5], s[14:15], 0, v[12:13]
	flat_load_ushort v3, v[4:5] offset:2048
.LBB3643_9:
	s_or_b64 exec, exec, s[4:5]
	v_or_b32_e32 v4, 0x600, v0
	v_cmp_gt_u32_e32 vcc, s33, v4
                                        ; implicit-def: $vgpr4
	s_and_saveexec_b64 s[4:5], vcc
	s_cbranch_execz .LBB3643_11
; %bb.10:
	v_mov_b32_e32 v13, 0
	v_lshl_add_u64 v[4:5], s[14:15], 0, v[12:13]
	flat_load_ushort v4, v[4:5] offset:3072
.LBB3643_11:
	s_or_b64 exec, exec, s[4:5]
	v_or_b32_e32 v6, 0x800, v0
	v_cmp_gt_u32_e32 vcc, s33, v6
                                        ; implicit-def: $vgpr5
	s_and_saveexec_b64 s[4:5], vcc
	s_cbranch_execz .LBB3643_13
; %bb.12:
	v_lshlrev_b32_e32 v6, 1, v6
	v_mov_b32_e32 v7, 0
	v_lshl_add_u64 v[6:7], s[14:15], 0, v[6:7]
	flat_load_ushort v5, v[6:7]
.LBB3643_13:
	s_or_b64 exec, exec, s[4:5]
	v_or_b32_e32 v7, 0xa00, v0
	v_cmp_gt_u32_e32 vcc, s33, v7
                                        ; implicit-def: $vgpr6
	s_and_saveexec_b64 s[4:5], vcc
	s_cbranch_execz .LBB3643_15
; %bb.14:
	v_lshlrev_b32_e32 v6, 1, v7
	v_mov_b32_e32 v7, 0
	v_lshl_add_u64 v[6:7], s[14:15], 0, v[6:7]
	flat_load_ushort v6, v[6:7]
.LBB3643_15:
	s_or_b64 exec, exec, s[4:5]
	v_or_b32_e32 v8, 0xc00, v0
	v_cmp_gt_u32_e32 vcc, s33, v8
                                        ; implicit-def: $vgpr7
	s_and_saveexec_b64 s[4:5], vcc
	s_cbranch_execz .LBB3643_17
; %bb.16:
	v_lshlrev_b32_e32 v8, 1, v8
	v_mov_b32_e32 v9, 0
	v_lshl_add_u64 v[8:9], s[14:15], 0, v[8:9]
	flat_load_ushort v7, v[8:9]
.LBB3643_17:
	s_or_b64 exec, exec, s[4:5]
	v_or_b32_e32 v9, 0xe00, v0
	v_cmp_gt_u32_e32 vcc, s33, v9
                                        ; implicit-def: $vgpr8
	s_and_saveexec_b64 s[4:5], vcc
	s_cbranch_execz .LBB3643_19
; %bb.18:
	v_lshlrev_b32_e32 v8, 1, v9
	v_mov_b32_e32 v9, 0
	v_lshl_add_u64 v[8:9], s[14:15], 0, v[8:9]
	flat_load_ushort v8, v[8:9]
.LBB3643_19:
	s_or_b64 exec, exec, s[4:5]
	v_or_b32_e32 v10, 0x1000, v0
	v_cmp_gt_u32_e32 vcc, s33, v10
                                        ; implicit-def: $vgpr9
	s_and_saveexec_b64 s[4:5], vcc
	s_cbranch_execz .LBB3643_21
; %bb.20:
	v_lshlrev_b32_e32 v10, 1, v10
	v_mov_b32_e32 v11, 0
	v_lshl_add_u64 v[10:11], s[14:15], 0, v[10:11]
	flat_load_ushort v9, v[10:11]
.LBB3643_21:
	s_or_b64 exec, exec, s[4:5]
	v_or_b32_e32 v11, 0x1200, v0
	v_cmp_gt_u32_e32 vcc, s33, v11
                                        ; implicit-def: $vgpr10
	s_and_saveexec_b64 s[4:5], vcc
	s_cbranch_execz .LBB3643_23
; %bb.22:
	v_lshlrev_b32_e32 v10, 1, v11
	v_mov_b32_e32 v11, 0
	v_lshl_add_u64 v[10:11], s[14:15], 0, v[10:11]
	flat_load_ushort v10, v[10:11]
.LBB3643_23:
	s_or_b64 exec, exec, s[4:5]
	v_or_b32_e32 v13, 0x1400, v0
	v_cmp_gt_u32_e32 vcc, s33, v13
                                        ; implicit-def: $vgpr11
	s_and_saveexec_b64 s[4:5], vcc
	s_cbranch_execz .LBB3643_25
; %bb.24:
	v_lshlrev_b32_e32 v14, 1, v13
	v_mov_b32_e32 v15, 0
	v_lshl_add_u64 v[14:15], s[14:15], 0, v[14:15]
	flat_load_ushort v11, v[14:15]
.LBB3643_25:
	s_or_b64 exec, exec, s[4:5]
	v_or_b32_e32 v14, 0x1600, v0
	v_cmp_gt_u32_e32 vcc, s33, v14
                                        ; implicit-def: $vgpr13
	s_and_saveexec_b64 s[4:5], vcc
	s_cbranch_execz .LBB3643_27
; %bb.26:
	v_lshlrev_b32_e32 v14, 1, v14
	v_mov_b32_e32 v15, 0
	v_lshl_add_u64 v[14:15], s[14:15], 0, v[14:15]
	flat_load_ushort v13, v[14:15]
.LBB3643_27:
	s_or_b64 exec, exec, s[4:5]
	v_or_b32_e32 v15, 0x1800, v0
	v_cmp_gt_u32_e32 vcc, s33, v15
                                        ; implicit-def: $vgpr14
	s_and_saveexec_b64 s[4:5], vcc
	s_cbranch_execz .LBB3643_29
; %bb.28:
	v_lshlrev_b32_e32 v14, 1, v15
	v_mov_b32_e32 v15, 0
	v_lshl_add_u64 v[14:15], s[14:15], 0, v[14:15]
	flat_load_ushort v14, v[14:15]
.LBB3643_29:
	s_or_b64 exec, exec, s[4:5]
	v_or_b32_e32 v16, 0x1a00, v0
	v_cmp_gt_u32_e32 vcc, s33, v16
                                        ; implicit-def: $vgpr15
	s_and_saveexec_b64 s[4:5], vcc
	s_cbranch_execz .LBB3643_31
; %bb.30:
	v_lshlrev_b32_e32 v16, 1, v16
	v_mov_b32_e32 v17, 0
	v_lshl_add_u64 v[16:17], s[14:15], 0, v[16:17]
	flat_load_ushort v15, v[16:17]
.LBB3643_31:
	s_or_b64 exec, exec, s[4:5]
	v_or_b32_e32 v17, 0x1c00, v0
	v_cmp_gt_u32_e32 vcc, s33, v17
                                        ; implicit-def: $vgpr16
	s_and_saveexec_b64 s[4:5], vcc
	s_cbranch_execz .LBB3643_33
; %bb.32:
	v_lshlrev_b32_e32 v16, 1, v17
	v_mov_b32_e32 v17, 0
	v_lshl_add_u64 v[16:17], s[14:15], 0, v[16:17]
	flat_load_ushort v16, v[16:17]
.LBB3643_33:
	s_or_b64 exec, exec, s[4:5]
	v_or_b32_e32 v18, 0x1e00, v0
	v_cmp_gt_u32_e32 vcc, s33, v18
                                        ; implicit-def: $vgpr17
	s_and_saveexec_b64 s[4:5], vcc
	s_cbranch_execz .LBB3643_35
; %bb.34:
	v_lshlrev_b32_e32 v18, 1, v18
	v_mov_b32_e32 v19, 0
	v_lshl_add_u64 v[18:19], s[14:15], 0, v[18:19]
	flat_load_ushort v17, v[18:19]
.LBB3643_35:
	s_or_b64 exec, exec, s[4:5]
	v_or_b32_e32 v19, 0x2000, v0
	v_cmp_gt_u32_e32 vcc, s33, v19
                                        ; implicit-def: $vgpr18
	s_and_saveexec_b64 s[4:5], vcc
	s_cbranch_execz .LBB3643_37
; %bb.36:
	v_lshlrev_b32_e32 v18, 1, v19
	v_mov_b32_e32 v19, 0
	v_lshl_add_u64 v[18:19], s[14:15], 0, v[18:19]
	flat_load_ushort v18, v[18:19]
.LBB3643_37:
	s_or_b64 exec, exec, s[4:5]
	v_or_b32_e32 v20, 0x2200, v0
	v_cmp_gt_u32_e32 vcc, s33, v20
                                        ; implicit-def: $vgpr19
	s_and_saveexec_b64 s[4:5], vcc
	s_cbranch_execz .LBB3643_39
; %bb.38:
	v_lshlrev_b32_e32 v20, 1, v20
	v_mov_b32_e32 v21, 0
	v_lshl_add_u64 v[20:21], s[14:15], 0, v[20:21]
	flat_load_ushort v19, v[20:21]
.LBB3643_39:
	s_or_b64 exec, exec, s[4:5]
	v_or_b32_e32 v21, 0x2400, v0
	v_cmp_gt_u32_e32 vcc, s33, v21
                                        ; implicit-def: $vgpr20
	s_and_saveexec_b64 s[4:5], vcc
	s_cbranch_execz .LBB3643_41
; %bb.40:
	v_lshlrev_b32_e32 v20, 1, v21
	v_mov_b32_e32 v21, 0
	v_lshl_add_u64 v[20:21], s[14:15], 0, v[20:21]
	flat_load_ushort v20, v[20:21]
.LBB3643_41:
	s_or_b64 exec, exec, s[4:5]
	v_or_b32_e32 v22, 0x2600, v0
	v_cmp_gt_u32_e32 vcc, s33, v22
                                        ; implicit-def: $vgpr21
	s_and_saveexec_b64 s[4:5], vcc
	s_cbranch_execz .LBB3643_43
; %bb.42:
	v_lshlrev_b32_e32 v22, 1, v22
	v_mov_b32_e32 v23, 0
	v_lshl_add_u64 v[22:23], s[14:15], 0, v[22:23]
	flat_load_ushort v21, v[22:23]
.LBB3643_43:
	s_or_b64 exec, exec, s[4:5]
	v_or_b32_e32 v23, 0x2800, v0
	v_cmp_gt_u32_e32 vcc, s33, v23
                                        ; implicit-def: $vgpr22
	s_and_saveexec_b64 s[4:5], vcc
	s_cbranch_execz .LBB3643_45
; %bb.44:
	v_lshlrev_b32_e32 v22, 1, v23
	v_mov_b32_e32 v23, 0
	v_lshl_add_u64 v[22:23], s[14:15], 0, v[22:23]
	flat_load_ushort v22, v[22:23]
.LBB3643_45:
	s_or_b64 exec, exec, s[4:5]
	v_or_b32_e32 v24, 0x2a00, v0
	v_cmp_gt_u32_e32 vcc, s33, v24
                                        ; implicit-def: $vgpr23
	s_and_saveexec_b64 s[4:5], vcc
	s_cbranch_execz .LBB3643_47
; %bb.46:
	v_lshlrev_b32_e32 v24, 1, v24
	v_mov_b32_e32 v25, 0
	v_lshl_add_u64 v[24:25], s[14:15], 0, v[24:25]
	flat_load_ushort v23, v[24:25]
.LBB3643_47:
	s_or_b64 exec, exec, s[4:5]
	v_or_b32_e32 v25, 0x2c00, v0
	v_cmp_gt_u32_e32 vcc, s33, v25
                                        ; implicit-def: $vgpr24
	s_and_saveexec_b64 s[4:5], vcc
	s_cbranch_execz .LBB3643_49
; %bb.48:
	v_lshlrev_b32_e32 v24, 1, v25
	v_mov_b32_e32 v25, 0
	v_lshl_add_u64 v[24:25], s[14:15], 0, v[24:25]
	flat_load_ushort v24, v[24:25]
.LBB3643_49:
	s_or_b64 exec, exec, s[4:5]
	v_or_b32_e32 v26, 0x2e00, v0
	v_cmp_gt_u32_e32 vcc, s33, v26
                                        ; implicit-def: $vgpr25
	s_and_saveexec_b64 s[4:5], vcc
	s_cbranch_execz .LBB3643_51
; %bb.50:
	v_lshlrev_b32_e32 v26, 1, v26
	v_mov_b32_e32 v27, 0
	v_lshl_add_u64 v[26:27], s[14:15], 0, v[26:27]
	flat_load_ushort v25, v[26:27]
.LBB3643_51:
	s_or_b64 exec, exec, s[4:5]
	v_or_b32_e32 v27, 0x3000, v0
	v_cmp_gt_u32_e32 vcc, s33, v27
                                        ; implicit-def: $vgpr26
	s_and_saveexec_b64 s[4:5], vcc
	s_cbranch_execz .LBB3643_53
; %bb.52:
	v_lshlrev_b32_e32 v26, 1, v27
	v_mov_b32_e32 v27, 0
	v_lshl_add_u64 v[26:27], s[14:15], 0, v[26:27]
	flat_load_ushort v26, v[26:27]
.LBB3643_53:
	s_or_b64 exec, exec, s[4:5]
	v_or_b32_e32 v28, 0x3200, v0
	v_cmp_gt_u32_e32 vcc, s33, v28
                                        ; implicit-def: $vgpr27
	s_and_saveexec_b64 s[4:5], vcc
	s_cbranch_execz .LBB3643_55
; %bb.54:
	v_lshlrev_b32_e32 v28, 1, v28
	v_mov_b32_e32 v29, 0
	v_lshl_add_u64 v[28:29], s[14:15], 0, v[28:29]
	flat_load_ushort v27, v[28:29]
.LBB3643_55:
	s_or_b64 exec, exec, s[4:5]
	v_or_b32_e32 v29, 0x3400, v0
	v_cmp_gt_u32_e32 vcc, s33, v29
                                        ; implicit-def: $vgpr28
	s_and_saveexec_b64 s[4:5], vcc
	s_cbranch_execz .LBB3643_57
; %bb.56:
	v_lshlrev_b32_e32 v28, 1, v29
	v_mov_b32_e32 v29, 0
	v_lshl_add_u64 v[28:29], s[14:15], 0, v[28:29]
	flat_load_ushort v28, v[28:29]
.LBB3643_57:
	s_or_b64 exec, exec, s[4:5]
	v_or_b32_e32 v30, 0x3600, v0
	v_cmp_gt_u32_e32 vcc, s33, v30
                                        ; implicit-def: $vgpr29
	s_and_saveexec_b64 s[4:5], vcc
	s_cbranch_execz .LBB3643_59
; %bb.58:
	v_lshlrev_b32_e32 v30, 1, v30
	v_mov_b32_e32 v31, 0
	v_lshl_add_u64 v[30:31], s[14:15], 0, v[30:31]
	flat_load_ushort v29, v[30:31]
.LBB3643_59:
	s_or_b64 exec, exec, s[4:5]
	v_or_b32_e32 v31, 0x3800, v0
	v_cmp_gt_u32_e32 vcc, s33, v31
                                        ; implicit-def: $vgpr30
	s_and_saveexec_b64 s[4:5], vcc
	s_cbranch_execz .LBB3643_61
; %bb.60:
	v_lshlrev_b32_e32 v30, 1, v31
	v_mov_b32_e32 v31, 0
	v_lshl_add_u64 v[30:31], s[14:15], 0, v[30:31]
	flat_load_ushort v30, v[30:31]
.LBB3643_61:
	s_or_b64 exec, exec, s[4:5]
	v_or_b32_e32 v32, 0x3a00, v0
	v_cmp_gt_u32_e32 vcc, s33, v32
                                        ; implicit-def: $vgpr31
	s_and_saveexec_b64 s[4:5], vcc
	s_cbranch_execz .LBB3643_63
; %bb.62:
	v_lshlrev_b32_e32 v32, 1, v32
	v_mov_b32_e32 v33, 0
	v_lshl_add_u64 v[32:33], s[14:15], 0, v[32:33]
	flat_load_ushort v31, v[32:33]
.LBB3643_63:
	s_or_b64 exec, exec, s[4:5]
	s_waitcnt vmcnt(0) lgkmcnt(0)
	ds_write_b16 v12, v1
	ds_write_b16 v12, v2 offset:1024
	ds_write_b16 v12, v3 offset:2048
	;; [unrolled: 1-line block ×29, first 2 shown]
	s_waitcnt lgkmcnt(0)
	s_barrier
.LBB3643_64:
	v_mul_u32_u24_e32 v9, 30, v0
	v_lshlrev_b32_e32 v2, 1, v9
	s_waitcnt lgkmcnt(0)
	ds_read2_b32 v[26:27], v2 offset1:1
	ds_read2_b32 v[24:25], v2 offset0:2 offset1:3
	ds_read2_b32 v[22:23], v2 offset0:4 offset1:5
	;; [unrolled: 1-line block ×3, first 2 shown]
	ds_read_b32 v1, v2 offset:56
	ds_read2_b32 v[14:15], v2 offset0:12 offset1:13
	ds_read2_b32 v[16:17], v2 offset0:10 offset1:11
	;; [unrolled: 1-line block ×3, first 2 shown]
	s_add_u32 s3, s8, s6
	s_addc_u32 s5, s9, s7
	s_add_u32 s6, s10, s6
	s_addc_u32 s7, s11, s7
	;; [unrolled: 2-line block ×4, first 2 shown]
	s_mov_b64 s[8:9], -1
	s_and_b64 vcc, exec, s[34:35]
	s_waitcnt lgkmcnt(0)
	s_barrier
	s_cbranch_vccz .LBB3643_66
; %bb.65:
	v_mov_b32_e32 v13, 0
	v_lshl_add_u64 v[2:3], s[4:5], 0, v[12:13]
	s_movk_i32 s3, 0x1000
	v_lshl_add_u64 v[4:5], s[6:7], 0, v[12:13]
	global_load_ushort v8, v12, s[4:5]
	global_load_ushort v13, v12, s[4:5] offset:1024
	global_load_ushort v32, v12, s[4:5] offset:2048
	;; [unrolled: 1-line block ×5, first 2 shown]
	global_load_ushort v36, v12, s[6:7]
	global_load_ushort v37, v12, s[4:5] offset:3072
	v_add_co_u32_e32 v6, vcc, s3, v2
	s_movk_i32 s8, 0x2000
	s_nop 0
	v_addc_co_u32_e32 v7, vcc, 0, v3, vcc
	v_add_co_u32_e32 v10, vcc, s8, v2
	s_nop 1
	v_addc_co_u32_e32 v11, vcc, 0, v3, vcc
	v_add_co_u32_e32 v28, vcc, s3, v4
	s_movk_i32 s3, 0x3000
	s_nop 0
	v_addc_co_u32_e32 v29, vcc, 0, v5, vcc
	v_add_co_u32_e32 v30, vcc, s8, v4
	s_movk_i32 s8, 0x4000
	s_nop 0
	v_addc_co_u32_e32 v31, vcc, 0, v5, vcc
	global_load_ushort v38, v[6:7], off offset:1024
	global_load_ushort v39, v[6:7], off offset:2048
	;; [unrolled: 1-line block ×6, first 2 shown]
	global_load_ushort v44, v[10:11], off offset:-4096
	global_load_ushort v45, v[10:11], off
	global_load_ushort v46, v[10:11], off offset:1024
	global_load_ushort v47, v[10:11], off offset:2048
	;; [unrolled: 1-line block ×3, first 2 shown]
	global_load_ushort v49, v[30:31], off offset:-4096
	global_load_ushort v50, v[30:31], off
	global_load_ushort v51, v[30:31], off offset:1024
	global_load_ushort v52, v[30:31], off offset:2048
                                        ; kill: killed $vgpr6 killed $vgpr7
                                        ; kill: killed $vgpr10 killed $vgpr11
                                        ; kill: killed $vgpr28 killed $vgpr29
	global_load_ushort v53, v[30:31], off offset:3072
	v_add_co_u32_e32 v6, vcc, s3, v2
	s_nop 1
	v_addc_co_u32_e32 v7, vcc, 0, v3, vcc
	v_add_co_u32_e32 v10, vcc, s8, v2
	s_nop 1
	v_addc_co_u32_e32 v11, vcc, 0, v3, vcc
	v_add_co_u32_e32 v28, vcc, s3, v4
	s_movk_i32 s3, 0x5000
	s_nop 0
	v_addc_co_u32_e32 v29, vcc, 0, v5, vcc
	v_add_co_u32_e32 v30, vcc, s8, v4
	s_movk_i32 s8, 0x6000
	s_nop 0
	v_addc_co_u32_e32 v31, vcc, 0, v5, vcc
	global_load_ushort v54, v[6:7], off offset:1024
	global_load_ushort v55, v[6:7], off offset:2048
	;; [unrolled: 1-line block ×6, first 2 shown]
	global_load_ushort v60, v[10:11], off offset:-4096
	global_load_ushort v61, v[10:11], off
	global_load_ushort v62, v[10:11], off offset:1024
	global_load_ushort v63, v[10:11], off offset:2048
	;; [unrolled: 1-line block ×3, first 2 shown]
	global_load_ushort v65, v[30:31], off offset:-4096
	global_load_ushort v66, v[30:31], off
	global_load_ushort v67, v[30:31], off offset:1024
	global_load_ushort v68, v[30:31], off offset:2048
                                        ; kill: killed $vgpr28 killed $vgpr29
                                        ; kill: killed $vgpr6 killed $vgpr7
                                        ; kill: killed $vgpr10 killed $vgpr11
	global_load_ushort v69, v[30:31], off offset:3072
	v_add_co_u32_e32 v6, vcc, s3, v2
	s_nop 1
	v_addc_co_u32_e32 v7, vcc, 0, v3, vcc
	v_add_co_u32_e32 v10, vcc, s8, v2
	s_nop 1
	v_addc_co_u32_e32 v11, vcc, 0, v3, vcc
	v_add_co_u32_e32 v28, vcc, s3, v4
	s_movk_i32 s3, 0x7000
	s_nop 0
	v_addc_co_u32_e32 v29, vcc, 0, v5, vcc
	v_add_co_u32_e32 v30, vcc, s8, v4
	s_mov_b64 s[8:9], 0
	s_nop 0
	v_addc_co_u32_e32 v31, vcc, 0, v5, vcc
	v_add_co_u32_e32 v2, vcc, s3, v2
	global_load_ushort v70, v[30:31], off offset:-4096
	global_load_ushort v71, v[6:7], off offset:1024
	global_load_ushort v72, v[6:7], off offset:2048
	;; [unrolled: 1-line block ×6, first 2 shown]
	global_load_ushort v77, v[10:11], off offset:-4096
	global_load_ushort v78, v[10:11], off
	global_load_ushort v79, v[10:11], off offset:1024
	global_load_ushort v80, v[10:11], off offset:2048
	;; [unrolled: 1-line block ×3, first 2 shown]
	global_load_ushort v82, v[30:31], off
	global_load_ushort v83, v[30:31], off offset:1024
	global_load_ushort v84, v[30:31], off offset:2048
                                        ; kill: killed $vgpr10 killed $vgpr11
                                        ; kill: killed $vgpr28 killed $vgpr29
                                        ; kill: killed $vgpr6 killed $vgpr7
	global_load_ushort v6, v[30:31], off offset:3072
	v_addc_co_u32_e32 v3, vcc, 0, v3, vcc
	v_add_co_u32_e32 v4, vcc, s3, v4
	s_nop 1
	v_addc_co_u32_e32 v5, vcc, 0, v5, vcc
	global_load_ushort v7, v[4:5], off
	global_load_ushort v10, v[2:3], off
	global_load_ushort v11, v[2:3], off offset:1024
	global_load_ushort v28, v[4:5], off offset:1024
	s_waitcnt vmcnt(53)
	v_cmp_le_i16_e32 vcc, v8, v36
	s_nop 1
	v_cndmask_b32_e64 v2, 0, 1, vcc
	v_cmp_le_i16_e32 vcc, v13, v33
	s_nop 1
	v_cndmask_b32_e64 v3, 0, 1, vcc
	;; [unrolled: 3-line block ×3, first 2 shown]
	s_waitcnt vmcnt(52)
	v_cmp_le_i16_e32 vcc, v37, v35
	s_nop 1
	v_cndmask_b32_e64 v5, 0, 1, vcc
	s_waitcnt vmcnt(40)
	v_cmp_le_i16_e32 vcc, v44, v49
	s_nop 1
	v_cndmask_b32_e64 v8, 0, 1, vcc
	v_cmp_le_i16_e32 vcc, v38, v41
	s_nop 1
	v_cndmask_b32_e64 v13, 0, 1, vcc
	v_cmp_le_i16_e32 vcc, v39, v42
	s_nop 1
	v_cndmask_b32_e64 v29, 0, 1, vcc
	v_cmp_le_i16_e32 vcc, v40, v43
	s_nop 1
	v_cndmask_b32_e64 v30, 0, 1, vcc
	s_waitcnt vmcnt(39)
	v_cmp_le_i16_e32 vcc, v45, v50
	s_nop 1
	v_cndmask_b32_e64 v31, 0, 1, vcc
	s_waitcnt vmcnt(38)
	v_cmp_le_i16_e32 vcc, v46, v51
	s_nop 1
	v_cndmask_b32_e64 v32, 0, 1, vcc
	s_waitcnt vmcnt(37)
	v_cmp_le_i16_e32 vcc, v47, v52
	s_nop 1
	v_cndmask_b32_e64 v33, 0, 1, vcc
	s_waitcnt vmcnt(36)
	v_cmp_le_i16_e32 vcc, v48, v53
	s_nop 1
	v_cndmask_b32_e64 v34, 0, 1, vcc
	s_waitcnt vmcnt(24)
	v_cmp_le_i16_e32 vcc, v60, v65
	s_nop 1
	v_cndmask_b32_e64 v35, 0, 1, vcc
	v_cmp_le_i16_e32 vcc, v54, v57
	s_nop 1
	v_cndmask_b32_e64 v36, 0, 1, vcc
	v_cmp_le_i16_e32 vcc, v55, v58
	s_nop 1
	v_cndmask_b32_e64 v37, 0, 1, vcc
	v_cmp_le_i16_e32 vcc, v56, v59
	s_nop 1
	v_cndmask_b32_e64 v38, 0, 1, vcc
	s_waitcnt vmcnt(23)
	v_cmp_le_i16_e32 vcc, v61, v66
	s_nop 1
	v_cndmask_b32_e64 v39, 0, 1, vcc
	s_waitcnt vmcnt(22)
	v_cmp_le_i16_e32 vcc, v62, v67
	s_nop 1
	v_cndmask_b32_e64 v40, 0, 1, vcc
	s_waitcnt vmcnt(21)
	v_cmp_le_i16_e32 vcc, v63, v68
	s_nop 1
	v_cndmask_b32_e64 v41, 0, 1, vcc
	;; [unrolled: 29-line block ×3, first 2 shown]
	s_waitcnt vmcnt(4)
	v_cmp_le_i16_e32 vcc, v81, v6
	s_nop 1
	v_cndmask_b32_e64 v6, 0, 1, vcc
	s_waitcnt vmcnt(2)
	v_cmp_le_i16_e32 vcc, v10, v7
	s_nop 1
	v_cndmask_b32_e64 v7, 0, 1, vcc
	;; [unrolled: 4-line block ×3, first 2 shown]
	ds_write_b8 v0, v2
	ds_write_b8 v0, v3 offset:512
	ds_write_b8 v0, v4 offset:1024
	;; [unrolled: 1-line block ×29, first 2 shown]
	s_waitcnt lgkmcnt(0)
	s_barrier
.LBB3643_66:
	s_load_dwordx2 s[36:37], s[0:1], 0x78
	s_andn2_b64 vcc, exec, s[8:9]
	s_cbranch_vccnz .LBB3643_128
; %bb.67:
	v_cmp_gt_u32_e32 vcc, s33, v0
	v_mov_b32_e32 v2, 0
	v_mov_b32_e32 v3, 0
	s_and_saveexec_b64 s[8:9], vcc
	s_cbranch_execz .LBB3643_69
; %bb.68:
	global_load_ushort v3, v12, s[4:5]
	global_load_ushort v4, v12, s[6:7]
	s_waitcnt vmcnt(0)
	v_cmp_le_i16_e32 vcc, v3, v4
	s_nop 1
	v_cndmask_b32_e64 v3, 0, 1, vcc
.LBB3643_69:
	s_or_b64 exec, exec, s[8:9]
	v_or_b32_e32 v4, 0x200, v0
	v_cmp_gt_u32_e32 vcc, s33, v4
	s_and_saveexec_b64 s[8:9], vcc
	s_cbranch_execz .LBB3643_71
; %bb.70:
	global_load_ushort v2, v12, s[4:5] offset:1024
	global_load_ushort v4, v12, s[6:7] offset:1024
	s_waitcnt vmcnt(0)
	v_cmp_le_i16_e32 vcc, v2, v4
	s_nop 1
	v_cndmask_b32_e64 v2, 0, 1, vcc
.LBB3643_71:
	s_or_b64 exec, exec, s[8:9]
	v_or_b32_e32 v4, 0x400, v0
	v_cmp_gt_u32_e32 vcc, s33, v4
	v_mov_b32_e32 v4, 0
	v_mov_b32_e32 v5, 0
	s_and_saveexec_b64 s[8:9], vcc
	s_cbranch_execz .LBB3643_73
; %bb.72:
	global_load_ushort v5, v12, s[4:5] offset:2048
	global_load_ushort v6, v12, s[6:7] offset:2048
	s_waitcnt vmcnt(0)
	v_cmp_le_i16_e32 vcc, v5, v6
	s_nop 1
	v_cndmask_b32_e64 v5, 0, 1, vcc
.LBB3643_73:
	s_or_b64 exec, exec, s[8:9]
	v_or_b32_e32 v6, 0x600, v0
	v_cmp_gt_u32_e32 vcc, s33, v6
	s_and_saveexec_b64 s[8:9], vcc
	s_cbranch_execz .LBB3643_75
; %bb.74:
	global_load_ushort v4, v12, s[4:5] offset:3072
	global_load_ushort v6, v12, s[6:7] offset:3072
	s_waitcnt vmcnt(0)
	v_cmp_le_i16_e32 vcc, v4, v6
	s_nop 1
	v_cndmask_b32_e64 v4, 0, 1, vcc
.LBB3643_75:
	s_or_b64 exec, exec, s[8:9]
	v_or_b32_e32 v8, 0x800, v0
	v_cmp_gt_u32_e32 vcc, s33, v8
	v_mov_b32_e32 v6, 0
	v_mov_b32_e32 v7, 0
	s_and_saveexec_b64 s[8:9], vcc
	s_cbranch_execz .LBB3643_77
; %bb.76:
	v_lshlrev_b32_e32 v7, 1, v8
	global_load_ushort v8, v7, s[4:5]
	global_load_ushort v10, v7, s[6:7]
	s_waitcnt vmcnt(0)
	v_cmp_le_i16_e32 vcc, v8, v10
	s_nop 1
	v_cndmask_b32_e64 v7, 0, 1, vcc
.LBB3643_77:
	s_or_b64 exec, exec, s[8:9]
	v_or_b32_e32 v8, 0xa00, v0
	v_cmp_gt_u32_e32 vcc, s33, v8
	s_and_saveexec_b64 s[8:9], vcc
	s_cbranch_execz .LBB3643_79
; %bb.78:
	v_lshlrev_b32_e32 v6, 1, v8
	global_load_ushort v8, v6, s[4:5]
	global_load_ushort v10, v6, s[6:7]
	s_waitcnt vmcnt(0)
	v_cmp_le_i16_e32 vcc, v8, v10
	s_nop 1
	v_cndmask_b32_e64 v6, 0, 1, vcc
.LBB3643_79:
	s_or_b64 exec, exec, s[8:9]
	v_or_b32_e32 v11, 0xc00, v0
	v_cmp_gt_u32_e32 vcc, s33, v11
	v_mov_b32_e32 v8, 0
	v_mov_b32_e32 v10, 0
	s_and_saveexec_b64 s[8:9], vcc
	s_cbranch_execz .LBB3643_81
; %bb.80:
	v_lshlrev_b32_e32 v10, 1, v11
	global_load_ushort v11, v10, s[4:5]
	global_load_ushort v13, v10, s[6:7]
	s_waitcnt vmcnt(0)
	v_cmp_le_i16_e32 vcc, v11, v13
	s_nop 1
	v_cndmask_b32_e64 v10, 0, 1, vcc
.LBB3643_81:
	s_or_b64 exec, exec, s[8:9]
	v_or_b32_e32 v11, 0xe00, v0
	v_cmp_gt_u32_e32 vcc, s33, v11
	s_and_saveexec_b64 s[8:9], vcc
	s_cbranch_execz .LBB3643_83
; %bb.82:
	v_lshlrev_b32_e32 v8, 1, v11
	global_load_ushort v11, v8, s[4:5]
	global_load_ushort v13, v8, s[6:7]
	s_waitcnt vmcnt(0)
	v_cmp_le_i16_e32 vcc, v11, v13
	s_nop 1
	v_cndmask_b32_e64 v8, 0, 1, vcc
.LBB3643_83:
	;; [unrolled: 30-line block ×13, first 2 shown]
	s_or_b64 exec, exec, s[8:9]
	ds_write_b8 v0, v3
	ds_write_b8 v0, v2 offset:512
	ds_write_b8 v0, v5 offset:1024
	;; [unrolled: 1-line block ×29, first 2 shown]
	s_waitcnt lgkmcnt(0)
	s_barrier
.LBB3643_128:
	s_waitcnt lgkmcnt(0)
	ds_read_b128 v[2:5], v9
	ds_read_b96 v[6:8], v9 offset:16
	ds_read_u16 v36, v9 offset:28
	s_cmp_lg_u32 s2, 0
	v_lshrrev_b32_e32 v65, 6, v0
	s_waitcnt lgkmcnt(0)
	v_lshrrev_b32_e32 v44, 24, v2
	v_bfe_u32 v63, v2, 16, 8
	v_add_u32_sdwa v10, v2, v2 dst_sel:DWORD dst_unused:UNUSED_PAD src0_sel:BYTE_1 src1_sel:BYTE_0
	v_and_b32_e32 v60, 0xff, v3
	v_bfe_u32 v61, v3, 8, 8
	v_add3_u32 v10, v10, v63, v44
	v_lshrrev_b32_e32 v43, 24, v3
	v_bfe_u32 v62, v3, 16, 8
	v_add3_u32 v10, v10, v60, v61
	v_and_b32_e32 v57, 0xff, v4
	v_bfe_u32 v58, v4, 8, 8
	v_add3_u32 v10, v10, v62, v43
	v_lshrrev_b32_e32 v42, 24, v4
	v_bfe_u32 v59, v4, 16, 8
	v_add3_u32 v10, v10, v57, v58
	;; [unrolled: 6-line block ×6, first 2 shown]
	v_lshrrev_b16_e32 v13, 8, v36
	v_and_b32_e32 v38, 0xff, v36
	v_add3_u32 v10, v10, v47, v37
	v_add3_u32 v66, v10, v38, v13
	v_mbcnt_lo_u32_b32 v10, -1, 0
	v_mbcnt_hi_u32_b32 v64, -1, v10
	v_and_b32_e32 v10, 15, v64
	v_cmp_eq_u32_e64 s[14:15], 0, v10
	v_cmp_lt_u32_e64 s[12:13], 1, v10
	v_cmp_lt_u32_e64 s[10:11], 3, v10
	;; [unrolled: 1-line block ×3, first 2 shown]
	v_and_b32_e32 v10, 16, v64
	v_cmp_eq_u32_e64 s[6:7], 0, v10
	v_or_b32_e32 v10, 63, v0
	v_cmp_lt_u32_e64 s[18:19], 31, v64
	v_cmp_eq_u32_e64 s[4:5], v10, v0
	s_barrier
	s_cbranch_scc0 .LBB3643_159
; %bb.129:
	v_mov_b32_dpp v10, v66 row_shr:1 row_mask:0xf bank_mask:0xf
	v_cndmask_b32_e64 v10, v10, 0, s[14:15]
	v_add_u32_e32 v10, v10, v66
	s_nop 1
	v_mov_b32_dpp v11, v10 row_shr:2 row_mask:0xf bank_mask:0xf
	v_cndmask_b32_e64 v11, 0, v11, s[12:13]
	v_add_u32_e32 v10, v10, v11
	s_nop 1
	;; [unrolled: 4-line block ×4, first 2 shown]
	v_mov_b32_dpp v11, v10 row_bcast:15 row_mask:0xf bank_mask:0xf
	v_cndmask_b32_e64 v11, v11, 0, s[6:7]
	v_add_u32_e32 v10, v10, v11
	s_nop 1
	v_mov_b32_dpp v11, v10 row_bcast:31 row_mask:0xf bank_mask:0xf
	v_cndmask_b32_e64 v11, 0, v11, s[18:19]
	v_add_u32_e32 v10, v10, v11
	s_and_saveexec_b64 s[16:17], s[4:5]
	s_cbranch_execz .LBB3643_131
; %bb.130:
	v_lshlrev_b32_e32 v11, 2, v65
	ds_write_b32 v11, v10
.LBB3643_131:
	s_or_b64 exec, exec, s[16:17]
	v_cmp_gt_u32_e32 vcc, 8, v0
	s_waitcnt lgkmcnt(0)
	s_barrier
	s_and_saveexec_b64 s[16:17], vcc
	s_cbranch_execz .LBB3643_133
; %bb.132:
	v_lshlrev_b32_e32 v11, 2, v0
	ds_read_b32 v28, v11
	v_and_b32_e32 v29, 7, v64
	v_cmp_ne_u32_e32 vcc, 0, v29
	s_waitcnt lgkmcnt(0)
	v_mov_b32_dpp v30, v28 row_shr:1 row_mask:0xf bank_mask:0xf
	v_cndmask_b32_e32 v30, 0, v30, vcc
	v_add_u32_e32 v28, v30, v28
	v_cmp_lt_u32_e32 vcc, 1, v29
	s_nop 0
	v_mov_b32_dpp v30, v28 row_shr:2 row_mask:0xf bank_mask:0xf
	v_cndmask_b32_e32 v30, 0, v30, vcc
	v_add_u32_e32 v28, v28, v30
	v_cmp_lt_u32_e32 vcc, 3, v29
	s_nop 0
	v_mov_b32_dpp v30, v28 row_shr:4 row_mask:0xf bank_mask:0xf
	v_cndmask_b32_e32 v29, 0, v30, vcc
	v_add_u32_e32 v28, v28, v29
	ds_write_b32 v11, v28
.LBB3643_133:
	s_or_b64 exec, exec, s[16:17]
	v_cmp_gt_u32_e32 vcc, 64, v0
	v_cmp_lt_u32_e64 s[16:17], 63, v0
	s_waitcnt lgkmcnt(0)
	s_barrier
	s_waitcnt lgkmcnt(0)
                                        ; implicit-def: $vgpr67
	s_and_saveexec_b64 s[38:39], s[16:17]
	s_cbranch_execz .LBB3643_135
; %bb.134:
	v_lshl_add_u32 v11, v65, 2, -4
	ds_read_b32 v67, v11
	s_waitcnt lgkmcnt(0)
	v_add_u32_e32 v10, v67, v10
.LBB3643_135:
	s_or_b64 exec, exec, s[38:39]
	v_add_u32_e32 v11, -1, v64
	v_and_b32_e32 v28, 64, v64
	v_cmp_lt_i32_e64 s[16:17], v11, v28
	s_nop 1
	v_cndmask_b32_e64 v11, v11, v64, s[16:17]
	v_lshlrev_b32_e32 v11, 2, v11
	ds_bpermute_b32 v68, v11, v10
	v_cmp_eq_u32_e64 s[16:17], 0, v64
	s_and_saveexec_b64 s[38:39], vcc
	s_cbranch_execz .LBB3643_158
; %bb.136:
	v_mov_b32_e32 v35, 0
	ds_read_b32 v10, v35 offset:28
	s_and_saveexec_b64 s[40:41], s[16:17]
	s_cbranch_execz .LBB3643_138
; %bb.137:
	s_add_i32 s42, s2, 64
	s_mov_b32 s43, 0
	s_lshl_b64 s[42:43], s[42:43], 3
	s_add_u32 s42, s36, s42
	v_mov_b32_e32 v11, 1
	s_addc_u32 s43, s37, s43
	s_waitcnt lgkmcnt(0)
	global_store_dwordx2 v35, v[10:11], s[42:43] sc1
.LBB3643_138:
	s_or_b64 exec, exec, s[40:41]
	v_xad_u32 v28, v64, -1, s2
	v_add_u32_e32 v34, 64, v28
	v_lshl_add_u64 v[30:31], v[34:35], 3, s[36:37]
	global_load_dwordx2 v[32:33], v[30:31], off sc1
	s_waitcnt vmcnt(0)
	v_cmp_eq_u16_sdwa s[42:43], v33, v35 src0_sel:BYTE_0 src1_sel:DWORD
	s_and_saveexec_b64 s[40:41], s[42:43]
	s_cbranch_execz .LBB3643_144
; %bb.139:
	s_mov_b32 s3, 1
	s_mov_b64 s[42:43], 0
	v_mov_b32_e32 v11, 0
.LBB3643_140:                           ; =>This Loop Header: Depth=1
                                        ;     Child Loop BB3643_141 Depth 2
	s_max_u32 s25, s3, 1
.LBB3643_141:                           ;   Parent Loop BB3643_140 Depth=1
                                        ; =>  This Inner Loop Header: Depth=2
	s_add_i32 s25, s25, -1
	s_cmp_eq_u32 s25, 0
	s_sleep 1
	s_cbranch_scc0 .LBB3643_141
; %bb.142:                              ;   in Loop: Header=BB3643_140 Depth=1
	global_load_dwordx2 v[32:33], v[30:31], off sc1
	s_cmp_lt_u32 s3, 32
	s_cselect_b64 s[44:45], -1, 0
	s_cmp_lg_u64 s[44:45], 0
	s_addc_u32 s3, s3, 0
	s_waitcnt vmcnt(0)
	v_cmp_ne_u16_sdwa s[44:45], v33, v11 src0_sel:BYTE_0 src1_sel:DWORD
	s_or_b64 s[42:43], s[44:45], s[42:43]
	s_andn2_b64 exec, exec, s[42:43]
	s_cbranch_execnz .LBB3643_140
; %bb.143:
	s_or_b64 exec, exec, s[42:43]
.LBB3643_144:
	s_or_b64 exec, exec, s[40:41]
	v_and_b32_e32 v70, 63, v64
	v_mov_b32_e32 v69, 2
	v_cmp_ne_u32_e32 vcc, 63, v70
	v_cmp_eq_u16_sdwa s[40:41], v33, v69 src0_sel:BYTE_0 src1_sel:DWORD
	v_lshlrev_b64 v[30:31], v64, -1
	v_addc_co_u32_e32 v34, vcc, 0, v64, vcc
	v_and_b32_e32 v11, s41, v31
	v_lshlrev_b32_e32 v71, 2, v34
	v_or_b32_e32 v11, 0x80000000, v11
	ds_bpermute_b32 v34, v71, v32
	v_and_b32_e32 v29, s40, v30
	v_ffbl_b32_e32 v11, v11
	v_add_u32_e32 v11, 32, v11
	v_ffbl_b32_e32 v29, v29
	v_min_u32_e32 v11, v29, v11
	v_cmp_lt_u32_e32 vcc, v70, v11
	v_add_u32_e32 v73, 2, v70
	v_add_u32_e32 v75, 4, v70
	s_waitcnt lgkmcnt(0)
	v_cndmask_b32_e32 v29, 0, v34, vcc
	v_cmp_gt_u32_e32 vcc, 62, v70
	v_add_u32_e32 v29, v29, v32
	v_add_u32_e32 v77, 8, v70
	v_cndmask_b32_e64 v32, 0, 1, vcc
	v_lshlrev_b32_e32 v32, 1, v32
	v_add_lshl_u32 v72, v32, v64, 2
	ds_bpermute_b32 v32, v72, v29
	v_cmp_le_u32_e32 vcc, v73, v11
	v_add_u32_e32 v79, 16, v70
	v_add_u32_e32 v81, 32, v70
	s_waitcnt lgkmcnt(0)
	v_cndmask_b32_e32 v32, 0, v32, vcc
	v_cmp_gt_u32_e32 vcc, 60, v70
	v_add_u32_e32 v29, v29, v32
	s_nop 0
	v_cndmask_b32_e64 v32, 0, 1, vcc
	v_lshlrev_b32_e32 v32, 2, v32
	v_add_lshl_u32 v74, v32, v64, 2
	ds_bpermute_b32 v32, v74, v29
	v_cmp_le_u32_e32 vcc, v75, v11
	s_waitcnt lgkmcnt(0)
	s_nop 0
	v_cndmask_b32_e32 v32, 0, v32, vcc
	v_cmp_gt_u32_e32 vcc, 56, v70
	v_add_u32_e32 v29, v29, v32
	s_nop 0
	v_cndmask_b32_e64 v32, 0, 1, vcc
	v_lshlrev_b32_e32 v32, 3, v32
	v_add_lshl_u32 v76, v32, v64, 2
	ds_bpermute_b32 v32, v76, v29
	v_cmp_le_u32_e32 vcc, v77, v11
	s_waitcnt lgkmcnt(0)
	s_nop 0
	;; [unrolled: 11-line block ×4, first 2 shown]
	v_cndmask_b32_e32 v11, 0, v32, vcc
	v_add_u32_e32 v32, v29, v11
	v_mov_b32_e32 v29, 0
	s_branch .LBB3643_146
.LBB3643_145:                           ;   in Loop: Header=BB3643_146 Depth=1
	s_or_b64 exec, exec, s[40:41]
	v_cmp_eq_u16_sdwa s[40:41], v33, v69 src0_sel:BYTE_0 src1_sel:DWORD
	ds_bpermute_b32 v82, v71, v32
	v_subrev_u32_e32 v28, 64, v28
	v_and_b32_e32 v34, s41, v31
	v_or_b32_e32 v34, 0x80000000, v34
	v_and_b32_e32 v35, s40, v30
	v_ffbl_b32_e32 v34, v34
	v_add_u32_e32 v34, 32, v34
	v_ffbl_b32_e32 v35, v35
	v_min_u32_e32 v34, v35, v34
	v_cmp_lt_u32_e32 vcc, v70, v34
	s_waitcnt lgkmcnt(0)
	s_nop 0
	v_cndmask_b32_e32 v35, 0, v82, vcc
	v_add_u32_e32 v32, v35, v32
	ds_bpermute_b32 v35, v72, v32
	v_cmp_le_u32_e32 vcc, v73, v34
	s_waitcnt lgkmcnt(0)
	s_nop 0
	v_cndmask_b32_e32 v35, 0, v35, vcc
	v_add_u32_e32 v32, v32, v35
	ds_bpermute_b32 v35, v74, v32
	v_cmp_le_u32_e32 vcc, v75, v34
	;; [unrolled: 6-line block ×5, first 2 shown]
	s_waitcnt lgkmcnt(0)
	s_nop 0
	v_cndmask_b32_e32 v34, 0, v35, vcc
	v_add3_u32 v32, v34, v11, v32
.LBB3643_146:                           ; =>This Loop Header: Depth=1
                                        ;     Child Loop BB3643_149 Depth 2
                                        ;       Child Loop BB3643_150 Depth 3
	v_cmp_ne_u16_sdwa s[40:41], v33, v69 src0_sel:BYTE_0 src1_sel:DWORD
	s_nop 1
	v_cndmask_b32_e64 v11, 0, 1, s[40:41]
	;;#ASMSTART
	;;#ASMEND
	s_nop 0
	v_cmp_ne_u32_e32 vcc, 0, v11
	s_cmp_lg_u64 vcc, exec
	v_mov_b32_e32 v11, v32
	s_cbranch_scc1 .LBB3643_153
; %bb.147:                              ;   in Loop: Header=BB3643_146 Depth=1
	v_lshl_add_u64 v[34:35], v[28:29], 3, s[36:37]
	global_load_dwordx2 v[32:33], v[34:35], off sc1
	s_waitcnt vmcnt(0)
	v_cmp_eq_u16_sdwa s[42:43], v33, v29 src0_sel:BYTE_0 src1_sel:DWORD
	s_and_saveexec_b64 s[40:41], s[42:43]
	s_cbranch_execz .LBB3643_145
; %bb.148:                              ;   in Loop: Header=BB3643_146 Depth=1
	s_mov_b32 s3, 1
	s_mov_b64 s[42:43], 0
.LBB3643_149:                           ;   Parent Loop BB3643_146 Depth=1
                                        ; =>  This Loop Header: Depth=2
                                        ;       Child Loop BB3643_150 Depth 3
	s_max_u32 s25, s3, 1
.LBB3643_150:                           ;   Parent Loop BB3643_146 Depth=1
                                        ;     Parent Loop BB3643_149 Depth=2
                                        ; =>    This Inner Loop Header: Depth=3
	s_add_i32 s25, s25, -1
	s_cmp_eq_u32 s25, 0
	s_sleep 1
	s_cbranch_scc0 .LBB3643_150
; %bb.151:                              ;   in Loop: Header=BB3643_149 Depth=2
	global_load_dwordx2 v[32:33], v[34:35], off sc1
	s_cmp_lt_u32 s3, 32
	s_cselect_b64 s[44:45], -1, 0
	s_cmp_lg_u64 s[44:45], 0
	s_addc_u32 s3, s3, 0
	s_waitcnt vmcnt(0)
	v_cmp_ne_u16_sdwa s[44:45], v33, v29 src0_sel:BYTE_0 src1_sel:DWORD
	s_or_b64 s[42:43], s[44:45], s[42:43]
	s_andn2_b64 exec, exec, s[42:43]
	s_cbranch_execnz .LBB3643_149
; %bb.152:                              ;   in Loop: Header=BB3643_146 Depth=1
	s_or_b64 exec, exec, s[42:43]
	s_branch .LBB3643_145
.LBB3643_153:                           ;   in Loop: Header=BB3643_146 Depth=1
                                        ; implicit-def: $vgpr32
                                        ; implicit-def: $vgpr33
	s_cbranch_execz .LBB3643_146
; %bb.154:
	s_and_saveexec_b64 s[40:41], s[16:17]
	s_cbranch_execz .LBB3643_156
; %bb.155:
	s_add_i32 s2, s2, 64
	s_mov_b32 s3, 0
	s_lshl_b64 s[2:3], s[2:3], 3
	s_add_u32 s2, s36, s2
	v_add_u32_e32 v28, v11, v10
	v_mov_b32_e32 v29, 2
	s_addc_u32 s3, s37, s3
	v_mov_b32_e32 v30, 0
	global_store_dwordx2 v30, v[28:29], s[2:3] sc1
	ds_write_b64 v30, v[10:11] offset:30720
.LBB3643_156:
	s_or_b64 exec, exec, s[40:41]
	v_cmp_eq_u32_e32 vcc, 0, v0
	s_and_b64 exec, exec, vcc
	s_cbranch_execz .LBB3643_158
; %bb.157:
	v_mov_b32_e32 v10, 0
	ds_write_b32 v10, v11 offset:28
.LBB3643_158:
	s_or_b64 exec, exec, s[38:39]
	v_mov_b32_e32 v10, 0
	s_waitcnt lgkmcnt(0)
	s_barrier
	ds_read_b32 v29, v10 offset:28
	s_waitcnt lgkmcnt(0)
	s_barrier
	ds_read_b64 v[10:11], v10 offset:30720
	v_cndmask_b32_e64 v28, v68, v67, s[16:17]
	v_cmp_ne_u32_e32 vcc, 0, v0
	s_waitcnt lgkmcnt(0)
	v_mov_b32_e32 v68, v11
	v_cndmask_b32_e32 v28, 0, v28, vcc
	v_add_u32_e32 v33, v29, v28
	s_load_dwordx2 s[2:3], s[0:1], 0x38
	s_branch .LBB3643_169
.LBB3643_159:
                                        ; implicit-def: $vgpr68
                                        ; implicit-def: $vgpr10
                                        ; implicit-def: $vgpr33
	s_load_dwordx2 s[2:3], s[0:1], 0x38
	s_cbranch_execz .LBB3643_169
; %bb.160:
	v_mov_b32_dpp v10, v66 row_shr:1 row_mask:0xf bank_mask:0xf
	v_cndmask_b32_e64 v10, v10, 0, s[14:15]
	v_add_u32_e32 v10, v10, v66
	s_nop 1
	v_mov_b32_dpp v11, v10 row_shr:2 row_mask:0xf bank_mask:0xf
	v_cndmask_b32_e64 v11, 0, v11, s[12:13]
	v_add_u32_e32 v10, v10, v11
	s_nop 1
	;; [unrolled: 4-line block ×4, first 2 shown]
	v_mov_b32_dpp v11, v10 row_bcast:15 row_mask:0xf bank_mask:0xf
	v_cndmask_b32_e64 v11, v11, 0, s[6:7]
	v_add_u32_e32 v10, v10, v11
	s_nop 1
	v_mov_b32_dpp v11, v10 row_bcast:31 row_mask:0xf bank_mask:0xf
	v_cndmask_b32_e64 v11, 0, v11, s[18:19]
	v_add_u32_e32 v10, v10, v11
	s_and_saveexec_b64 s[0:1], s[4:5]
	s_cbranch_execz .LBB3643_162
; %bb.161:
	v_lshlrev_b32_e32 v11, 2, v65
	ds_write_b32 v11, v10
.LBB3643_162:
	s_or_b64 exec, exec, s[0:1]
	v_cmp_gt_u32_e32 vcc, 8, v0
	s_waitcnt lgkmcnt(0)
	s_barrier
	s_and_saveexec_b64 s[0:1], vcc
	s_cbranch_execz .LBB3643_164
; %bb.163:
	v_lshlrev_b32_e32 v11, 2, v0
	ds_read_b32 v28, v11
	v_and_b32_e32 v29, 7, v64
	v_cmp_ne_u32_e32 vcc, 0, v29
	s_waitcnt lgkmcnt(0)
	v_mov_b32_dpp v30, v28 row_shr:1 row_mask:0xf bank_mask:0xf
	v_cndmask_b32_e32 v30, 0, v30, vcc
	v_add_u32_e32 v28, v30, v28
	v_cmp_lt_u32_e32 vcc, 1, v29
	s_nop 0
	v_mov_b32_dpp v30, v28 row_shr:2 row_mask:0xf bank_mask:0xf
	v_cndmask_b32_e32 v30, 0, v30, vcc
	v_add_u32_e32 v28, v28, v30
	v_cmp_lt_u32_e32 vcc, 3, v29
	s_nop 0
	v_mov_b32_dpp v30, v28 row_shr:4 row_mask:0xf bank_mask:0xf
	v_cndmask_b32_e32 v29, 0, v30, vcc
	v_add_u32_e32 v28, v28, v29
	ds_write_b32 v11, v28
.LBB3643_164:
	s_or_b64 exec, exec, s[0:1]
	v_cmp_lt_u32_e32 vcc, 63, v0
	v_mov_b32_e32 v11, 0
	v_mov_b32_e32 v28, 0
	s_waitcnt lgkmcnt(0)
	s_barrier
	s_and_saveexec_b64 s[0:1], vcc
	s_cbranch_execz .LBB3643_166
; %bb.165:
	v_lshl_add_u32 v28, v65, 2, -4
	ds_read_b32 v28, v28
.LBB3643_166:
	s_or_b64 exec, exec, s[0:1]
	v_add_u32_e32 v29, -1, v64
	v_and_b32_e32 v30, 64, v64
	v_cmp_lt_i32_e32 vcc, v29, v30
	s_waitcnt lgkmcnt(0)
	v_add_u32_e32 v10, v28, v10
	v_cndmask_b32_e32 v29, v29, v64, vcc
	v_lshlrev_b32_e32 v29, 2, v29
	ds_bpermute_b32 v29, v29, v10
	ds_read_b32 v10, v11 offset:28
	v_cmp_eq_u32_e32 vcc, 0, v0
	s_and_saveexec_b64 s[0:1], vcc
	s_cbranch_execz .LBB3643_168
; %bb.167:
	v_mov_b32_e32 v30, 0
	v_mov_b32_e32 v11, 2
	s_waitcnt lgkmcnt(0)
	global_store_dwordx2 v30, v[10:11], s[36:37] offset:512 sc1
.LBB3643_168:
	s_or_b64 exec, exec, s[0:1]
	v_cmp_eq_u32_e64 s[0:1], 0, v64
	v_mov_b32_e32 v68, 0
	s_waitcnt lgkmcnt(0)
	v_cndmask_b32_e64 v11, v29, v28, s[0:1]
	v_cndmask_b32_e64 v33, v11, 0, vcc
	s_barrier
.LBB3643_169:
	v_add_u32_sdwa v35, v33, v2 dst_sel:DWORD dst_unused:UNUSED_PAD src0_sel:DWORD src1_sel:BYTE_0
	v_add_u32_e32 v9, v10, v9
	v_sub_u32_e32 v33, v33, v68
	v_and_b32_e32 v74, 1, v2
	v_sub_u32_e32 v73, v9, v33
	v_cmp_eq_u32_e32 vcc, 1, v74
	v_lshrrev_b32_e32 v34, 8, v2
	v_add_u32_sdwa v64, v35, v2 dst_sel:DWORD dst_unused:UNUSED_PAD src0_sel:DWORD src1_sel:BYTE_1
	v_cndmask_b32_e32 v33, v73, v33, vcc
	v_lshlrev_b32_e32 v33, 1, v33
	ds_write_b16 v33, v26
	v_sub_u32_e32 v33, v35, v68
	v_sub_u32_e32 v35, v9, v33
	v_and_b32_e32 v34, 1, v34
	v_add_u32_e32 v35, 1, v35
	v_cmp_eq_u32_e32 vcc, 1, v34
	v_mov_b32_e32 v34, 1
	v_and_b32_sdwa v2, v34, v2 dst_sel:DWORD dst_unused:UNUSED_PAD src0_sel:DWORD src1_sel:WORD_1
	v_cndmask_b32_e32 v33, v35, v33, vcc
	v_lshlrev_b32_e32 v33, 1, v33
	ds_write_b16_d16_hi v33, v26
	v_sub_u32_e32 v26, v64, v68
	v_sub_u32_e32 v33, v9, v26
	v_add_u32_e32 v33, 2, v33
	v_cmp_eq_u32_e32 vcc, 1, v2
	v_add_u32_e32 v63, v64, v63
	v_add_u32_e32 v65, v63, v44
	v_cndmask_b32_e32 v2, v33, v26, vcc
	v_lshlrev_b32_e32 v2, 1, v2
	ds_write_b16 v2, v27
	v_sub_u32_e32 v2, v63, v68
	v_sub_u32_e32 v26, v9, v2
	v_and_b32_e32 v33, 1, v44
	v_add_u32_e32 v26, 3, v26
	v_cmp_eq_u32_e32 vcc, 1, v33
	v_add_u32_e32 v60, v65, v60
	v_lshrrev_b32_e32 v32, 8, v3
	v_cndmask_b32_e32 v2, v26, v2, vcc
	v_lshlrev_b32_e32 v2, 1, v2
	ds_write_b16_d16_hi v2, v27
	v_sub_u32_e32 v2, v65, v68
	v_sub_u32_e32 v26, v9, v2
	v_and_b32_e32 v27, 1, v3
	v_add_u32_e32 v26, 4, v26
	v_cmp_eq_u32_e32 vcc, 1, v27
	v_and_b32_e32 v27, 1, v32
	v_add_u32_e32 v61, v60, v61
	v_cndmask_b32_e32 v2, v26, v2, vcc
	v_lshlrev_b32_e32 v2, 1, v2
	ds_write_b16 v2, v24
	v_sub_u32_e32 v2, v60, v68
	v_sub_u32_e32 v26, v9, v2
	v_add_u32_e32 v26, 5, v26
	v_cmp_eq_u32_e32 vcc, 1, v27
	v_and_b32_sdwa v3, v34, v3 dst_sel:DWORD dst_unused:UNUSED_PAD src0_sel:DWORD src1_sel:WORD_1
	v_add_u32_e32 v62, v61, v62
	v_cndmask_b32_e32 v2, v26, v2, vcc
	v_lshlrev_b32_e32 v2, 1, v2
	ds_write_b16_d16_hi v2, v24
	v_sub_u32_e32 v2, v61, v68
	v_sub_u32_e32 v24, v9, v2
	v_add_u32_e32 v24, 6, v24
	v_cmp_eq_u32_e32 vcc, 1, v3
	v_add_u32_e32 v66, v62, v43
	v_add_u32_e32 v57, v66, v57
	v_cndmask_b32_e32 v2, v24, v2, vcc
	v_lshlrev_b32_e32 v2, 1, v2
	ds_write_b16 v2, v25
	v_sub_u32_e32 v2, v62, v68
	v_sub_u32_e32 v3, v9, v2
	v_and_b32_e32 v24, 1, v43
	v_add_u32_e32 v3, 7, v3
	v_cmp_eq_u32_e32 vcc, 1, v24
	v_and_b32_e32 v24, 1, v4
	v_lshrrev_b32_e32 v31, 8, v4
	v_cndmask_b32_e32 v2, v3, v2, vcc
	v_lshlrev_b32_e32 v2, 1, v2
	ds_write_b16_d16_hi v2, v25
	v_sub_u32_e32 v2, v66, v68
	v_sub_u32_e32 v3, v9, v2
	v_add_u32_e32 v3, 8, v3
	v_cmp_eq_u32_e32 vcc, 1, v24
	v_and_b32_e32 v24, 1, v31
	v_add_u32_e32 v58, v57, v58
	v_cndmask_b32_e32 v2, v3, v2, vcc
	v_lshlrev_b32_e32 v2, 1, v2
	ds_write_b16 v2, v22
	v_sub_u32_e32 v2, v57, v68
	v_sub_u32_e32 v3, v9, v2
	v_add_u32_e32 v3, 9, v3
	v_cmp_eq_u32_e32 vcc, 1, v24
	v_and_b32_sdwa v4, v34, v4 dst_sel:DWORD dst_unused:UNUSED_PAD src0_sel:DWORD src1_sel:WORD_1
	v_add_u32_e32 v59, v58, v59
	v_cndmask_b32_e32 v2, v3, v2, vcc
	v_lshlrev_b32_e32 v2, 1, v2
	ds_write_b16_d16_hi v2, v22
	v_sub_u32_e32 v2, v58, v68
	v_sub_u32_e32 v3, v9, v2
	v_add_u32_e32 v3, 10, v3
	v_cmp_eq_u32_e32 vcc, 1, v4
	v_and_b32_e32 v4, 1, v42
	v_add_u32_e32 v67, v59, v42
	v_cndmask_b32_e32 v2, v3, v2, vcc
	v_lshlrev_b32_e32 v2, 1, v2
	ds_write_b16 v2, v23
	v_sub_u32_e32 v2, v59, v68
	v_sub_u32_e32 v3, v9, v2
	v_add_u32_e32 v3, 11, v3
	v_cmp_eq_u32_e32 vcc, 1, v4
	v_and_b32_e32 v4, 1, v5
	v_add_u32_e32 v54, v67, v54
	v_cndmask_b32_e32 v2, v3, v2, vcc
	v_lshlrev_b32_e32 v2, 1, v2
	ds_write_b16_d16_hi v2, v23
	v_sub_u32_e32 v2, v67, v68
	v_sub_u32_e32 v3, v9, v2
	v_add_u32_e32 v3, 12, v3
	v_cmp_eq_u32_e32 vcc, 1, v4
	v_lshrrev_b32_e32 v30, 8, v5
	v_and_b32_e32 v4, 1, v30
	v_cndmask_b32_e32 v2, v3, v2, vcc
	v_lshlrev_b32_e32 v2, 1, v2
	ds_write_b16 v2, v20
	v_sub_u32_e32 v2, v54, v68
	v_sub_u32_e32 v3, v9, v2
	v_add_u32_e32 v3, 13, v3
	v_cmp_eq_u32_e32 vcc, 1, v4
	v_add_u32_e32 v55, v54, v55
	v_and_b32_sdwa v4, v34, v5 dst_sel:DWORD dst_unused:UNUSED_PAD src0_sel:DWORD src1_sel:WORD_1
	v_cndmask_b32_e32 v2, v3, v2, vcc
	v_lshlrev_b32_e32 v2, 1, v2
	ds_write_b16_d16_hi v2, v20
	v_sub_u32_e32 v2, v55, v68
	v_sub_u32_e32 v3, v9, v2
	v_add_u32_e32 v3, 14, v3
	v_cmp_eq_u32_e32 vcc, 1, v4
	v_add_u32_e32 v56, v55, v56
	v_and_b32_e32 v4, 1, v41
	v_cndmask_b32_e32 v2, v3, v2, vcc
	v_lshlrev_b32_e32 v2, 1, v2
	ds_write_b16 v2, v21
	v_sub_u32_e32 v2, v56, v68
	v_sub_u32_e32 v3, v9, v2
	v_add_u32_e32 v3, 15, v3
	v_cmp_eq_u32_e32 vcc, 1, v4
	v_add_u32_e32 v69, v56, v41
	v_and_b32_e32 v4, 1, v6
	v_cndmask_b32_e32 v2, v3, v2, vcc
	v_lshlrev_b32_e32 v2, 1, v2
	ds_write_b16_d16_hi v2, v21
	v_sub_u32_e32 v2, v69, v68
	v_sub_u32_e32 v3, v9, v2
	v_add_u32_e32 v3, 16, v3
	v_cmp_eq_u32_e32 vcc, 1, v4
	v_add_u32_e32 v51, v69, v51
	v_lshrrev_b32_e32 v29, 8, v6
	v_cndmask_b32_e32 v2, v3, v2, vcc
	v_lshlrev_b32_e32 v2, 1, v2
	ds_write_b16 v2, v18
	v_sub_u32_e32 v2, v51, v68
	v_sub_u32_e32 v3, v9, v2
	v_and_b32_e32 v4, 1, v29
	v_add_u32_e32 v3, 17, v3
	v_cmp_eq_u32_e32 vcc, 1, v4
	v_add_u32_e32 v52, v51, v52
	v_and_b32_sdwa v4, v34, v6 dst_sel:DWORD dst_unused:UNUSED_PAD src0_sel:DWORD src1_sel:WORD_1
	v_cndmask_b32_e32 v2, v3, v2, vcc
	v_lshlrev_b32_e32 v2, 1, v2
	ds_write_b16_d16_hi v2, v18
	v_sub_u32_e32 v2, v52, v68
	v_sub_u32_e32 v3, v9, v2
	v_add_u32_e32 v3, 18, v3
	v_cmp_eq_u32_e32 vcc, 1, v4
	v_add_u32_e32 v53, v52, v53
	v_and_b32_e32 v4, 1, v40
	v_cndmask_b32_e32 v2, v3, v2, vcc
	v_lshlrev_b32_e32 v2, 1, v2
	ds_write_b16 v2, v19
	v_sub_u32_e32 v2, v53, v68
	v_sub_u32_e32 v3, v9, v2
	v_add_u32_e32 v3, 19, v3
	v_cmp_eq_u32_e32 vcc, 1, v4
	v_add_u32_e32 v70, v53, v40
	v_and_b32_e32 v4, 1, v7
	v_cndmask_b32_e32 v2, v3, v2, vcc
	v_lshlrev_b32_e32 v2, 1, v2
	ds_write_b16_d16_hi v2, v19
	v_sub_u32_e32 v2, v70, v68
	v_sub_u32_e32 v3, v9, v2
	v_add_u32_e32 v3, 20, v3
	v_cmp_eq_u32_e32 vcc, 1, v4
	v_add_u32_e32 v48, v70, v48
	v_lshrrev_b32_e32 v28, 8, v7
	v_cndmask_b32_e32 v2, v3, v2, vcc
	v_lshlrev_b32_e32 v2, 1, v2
	ds_write_b16 v2, v16
	v_sub_u32_e32 v2, v48, v68
	v_sub_u32_e32 v3, v9, v2
	v_and_b32_e32 v4, 1, v28
	;; [unrolled: 37-line block ×3, first 2 shown]
	v_add_u32_e32 v3, 25, v3
	v_cmp_eq_u32_e32 vcc, 1, v4
	v_add_u32_e32 v46, v45, v46
	v_and_b32_sdwa v4, v34, v8 dst_sel:DWORD dst_unused:UNUSED_PAD src0_sel:DWORD src1_sel:WORD_1
	v_cndmask_b32_e32 v2, v3, v2, vcc
	v_lshlrev_b32_e32 v2, 1, v2
	ds_write_b16_d16_hi v2, v14
	v_sub_u32_e32 v2, v46, v68
	v_sub_u32_e32 v3, v9, v2
	v_add_u32_e32 v3, 26, v3
	v_cmp_eq_u32_e32 vcc, 1, v4
	v_add_u32_e32 v47, v46, v47
	v_and_b32_e32 v4, 1, v37
	v_cndmask_b32_e32 v2, v3, v2, vcc
	v_lshlrev_b32_e32 v2, 1, v2
	ds_write_b16 v2, v15
	v_sub_u32_e32 v2, v47, v68
	v_sub_u32_e32 v3, v9, v2
	v_add_u32_e32 v3, 27, v3
	v_cmp_eq_u32_e32 vcc, 1, v4
	v_add_u32_e32 v72, v47, v37
	v_and_b32_e32 v4, 1, v36
	v_cndmask_b32_e32 v2, v3, v2, vcc
	v_lshlrev_b32_e32 v2, 1, v2
	ds_write_b16_d16_hi v2, v15
	v_sub_u32_e32 v2, v72, v68
	v_sub_u32_e32 v3, v9, v2
	v_add_u32_e32 v3, 28, v3
	v_cmp_eq_u32_e32 vcc, 1, v4
	v_and_b32_e32 v4, 1, v13
	s_add_u32 s0, s26, s24
	v_cndmask_b32_e32 v2, v3, v2, vcc
	v_lshlrev_b32_e32 v2, 1, v2
	ds_write_b16 v2, v1
	v_sub_u32_e32 v2, v38, v68
	v_add_u32_e32 v2, v72, v2
	v_sub_u32_e32 v3, v9, v2
	v_add_u32_e32 v3, 29, v3
	v_cmp_eq_u32_e32 vcc, 1, v4
	s_addc_u32 s1, s27, 0
	s_sub_u32 s0, s28, s0
	v_cndmask_b32_e32 v2, v3, v2, vcc
	v_lshlrev_b32_e32 v2, 1, v2
	ds_write_b16_d16_hi v2, v1
	s_waitcnt lgkmcnt(0)
	s_barrier
	ds_read_u16 v99, v12
	ds_read_u16 v98, v12 offset:1024
	ds_read_u16 v97, v12 offset:2048
	;; [unrolled: 1-line block ×29, first 2 shown]
	v_mov_b32_e32 v1, 0
	v_mov_b32_e32 v69, v1
	;; [unrolled: 1-line block ×3, first 2 shown]
	s_subb_u32 s1, s29, s1
	v_lshl_add_u64 v[2:3], s[30:31], 0, v[68:69]
	v_lshl_add_u64 v[6:7], s[0:1], 0, v[10:11]
	v_or_b32_e32 v66, 0x200, v0
	v_mov_b32_e32 v67, v1
	v_or_b32_e32 v64, 0x400, v0
	v_mov_b32_e32 v65, v1
	;; [unrolled: 2-line block ×29, first 2 shown]
	s_andn2_b64 vcc, exec, s[34:35]
	v_lshl_add_u64 v[6:7], v[6:7], 0, v[2:3]
	s_cbranch_vccnz .LBB3643_291
; %bb.170:
	v_cmp_ge_u32_e32 vcc, v0, v10
                                        ; implicit-def: $vgpr12_vgpr13
	s_and_saveexec_b64 s[0:1], vcc
	s_xor_b64 s[0:1], exec, s[0:1]
; %bb.171:
	v_not_b32_e32 v12, v0
	v_ashrrev_i32_e32 v13, 31, v12
	v_lshl_add_u64 v[12:13], v[6:7], 0, v[12:13]
; %bb.172:
	s_andn2_saveexec_b64 s[0:1], s[0:1]
; %bb.173:
	v_lshl_add_u64 v[12:13], v[2:3], 0, v[0:1]
; %bb.174:
	s_or_b64 exec, exec, s[0:1]
	v_lshl_add_u64 v[12:13], v[12:13], 1, s[2:3]
	v_cmp_ge_u32_e32 vcc, v66, v10
	s_waitcnt lgkmcnt(14)
	global_store_short v[12:13], v99, off
                                        ; implicit-def: $vgpr12_vgpr13
	s_and_saveexec_b64 s[0:1], vcc
	s_xor_b64 s[0:1], exec, s[0:1]
; %bb.175:
	v_xor_b32_e32 v12, 0xfffffdff, v0
	v_ashrrev_i32_e32 v13, 31, v12
	v_lshl_add_u64 v[12:13], v[6:7], 0, v[12:13]
; %bb.176:
	s_andn2_saveexec_b64 s[0:1], s[0:1]
; %bb.177:
	v_lshl_add_u64 v[12:13], v[2:3], 0, v[66:67]
; %bb.178:
	s_or_b64 exec, exec, s[0:1]
	v_lshl_add_u64 v[12:13], v[12:13], 1, s[2:3]
	v_cmp_ge_u32_e32 vcc, v64, v10
	global_store_short v[12:13], v98, off
                                        ; implicit-def: $vgpr12_vgpr13
	s_and_saveexec_b64 s[0:1], vcc
	s_xor_b64 s[0:1], exec, s[0:1]
; %bb.179:
	v_xor_b32_e32 v12, 0xfffffbff, v0
	v_ashrrev_i32_e32 v13, 31, v12
	v_lshl_add_u64 v[12:13], v[6:7], 0, v[12:13]
; %bb.180:
	s_andn2_saveexec_b64 s[0:1], s[0:1]
; %bb.181:
	v_lshl_add_u64 v[12:13], v[2:3], 0, v[64:65]
; %bb.182:
	s_or_b64 exec, exec, s[0:1]
	v_lshl_add_u64 v[12:13], v[12:13], 1, s[2:3]
	v_cmp_ge_u32_e32 vcc, v62, v10
	global_store_short v[12:13], v97, off
                                        ; implicit-def: $vgpr12_vgpr13
	s_and_saveexec_b64 s[0:1], vcc
	s_xor_b64 s[0:1], exec, s[0:1]
; %bb.183:
	v_xor_b32_e32 v12, 0xfffff9ff, v0
	v_ashrrev_i32_e32 v13, 31, v12
	v_lshl_add_u64 v[12:13], v[6:7], 0, v[12:13]
; %bb.184:
	s_andn2_saveexec_b64 s[0:1], s[0:1]
; %bb.185:
	v_lshl_add_u64 v[12:13], v[2:3], 0, v[62:63]
; %bb.186:
	s_or_b64 exec, exec, s[0:1]
	v_lshl_add_u64 v[12:13], v[12:13], 1, s[2:3]
	v_cmp_ge_u32_e32 vcc, v60, v10
	global_store_short v[12:13], v96, off
                                        ; implicit-def: $vgpr12_vgpr13
	s_and_saveexec_b64 s[0:1], vcc
	s_xor_b64 s[0:1], exec, s[0:1]
; %bb.187:
	v_xor_b32_e32 v12, 0xfffff7ff, v0
	v_ashrrev_i32_e32 v13, 31, v12
	v_lshl_add_u64 v[12:13], v[6:7], 0, v[12:13]
; %bb.188:
	s_andn2_saveexec_b64 s[0:1], s[0:1]
; %bb.189:
	v_lshl_add_u64 v[12:13], v[2:3], 0, v[60:61]
; %bb.190:
	s_or_b64 exec, exec, s[0:1]
	v_lshl_add_u64 v[12:13], v[12:13], 1, s[2:3]
	v_cmp_ge_u32_e32 vcc, v58, v10
	global_store_short v[12:13], v95, off
                                        ; implicit-def: $vgpr12_vgpr13
	s_and_saveexec_b64 s[0:1], vcc
	s_xor_b64 s[0:1], exec, s[0:1]
; %bb.191:
	v_xor_b32_e32 v12, 0xfffff5ff, v0
	v_ashrrev_i32_e32 v13, 31, v12
	v_lshl_add_u64 v[12:13], v[6:7], 0, v[12:13]
; %bb.192:
	s_andn2_saveexec_b64 s[0:1], s[0:1]
; %bb.193:
	v_lshl_add_u64 v[12:13], v[2:3], 0, v[58:59]
; %bb.194:
	s_or_b64 exec, exec, s[0:1]
	v_lshl_add_u64 v[12:13], v[12:13], 1, s[2:3]
	v_cmp_ge_u32_e32 vcc, v56, v10
	global_store_short v[12:13], v94, off
                                        ; implicit-def: $vgpr12_vgpr13
	s_and_saveexec_b64 s[0:1], vcc
	s_xor_b64 s[0:1], exec, s[0:1]
; %bb.195:
	v_xor_b32_e32 v12, 0xfffff3ff, v0
	v_ashrrev_i32_e32 v13, 31, v12
	v_lshl_add_u64 v[12:13], v[6:7], 0, v[12:13]
; %bb.196:
	s_andn2_saveexec_b64 s[0:1], s[0:1]
; %bb.197:
	v_lshl_add_u64 v[12:13], v[2:3], 0, v[56:57]
; %bb.198:
	s_or_b64 exec, exec, s[0:1]
	v_lshl_add_u64 v[12:13], v[12:13], 1, s[2:3]
	v_cmp_ge_u32_e32 vcc, v54, v10
	global_store_short v[12:13], v93, off
                                        ; implicit-def: $vgpr12_vgpr13
	s_and_saveexec_b64 s[0:1], vcc
	s_xor_b64 s[0:1], exec, s[0:1]
; %bb.199:
	v_xor_b32_e32 v12, 0xfffff1ff, v0
	v_ashrrev_i32_e32 v13, 31, v12
	v_lshl_add_u64 v[12:13], v[6:7], 0, v[12:13]
; %bb.200:
	s_andn2_saveexec_b64 s[0:1], s[0:1]
; %bb.201:
	v_lshl_add_u64 v[12:13], v[2:3], 0, v[54:55]
; %bb.202:
	s_or_b64 exec, exec, s[0:1]
	v_lshl_add_u64 v[12:13], v[12:13], 1, s[2:3]
	v_cmp_ge_u32_e32 vcc, v52, v10
	global_store_short v[12:13], v92, off
                                        ; implicit-def: $vgpr12_vgpr13
	s_and_saveexec_b64 s[0:1], vcc
	s_xor_b64 s[0:1], exec, s[0:1]
; %bb.203:
	v_xor_b32_e32 v12, 0xffffefff, v0
	v_ashrrev_i32_e32 v13, 31, v12
	v_lshl_add_u64 v[12:13], v[6:7], 0, v[12:13]
; %bb.204:
	s_andn2_saveexec_b64 s[0:1], s[0:1]
; %bb.205:
	v_lshl_add_u64 v[12:13], v[2:3], 0, v[52:53]
; %bb.206:
	s_or_b64 exec, exec, s[0:1]
	v_lshl_add_u64 v[12:13], v[12:13], 1, s[2:3]
	v_cmp_ge_u32_e32 vcc, v50, v10
	global_store_short v[12:13], v91, off
                                        ; implicit-def: $vgpr12_vgpr13
	s_and_saveexec_b64 s[0:1], vcc
	s_xor_b64 s[0:1], exec, s[0:1]
; %bb.207:
	v_xor_b32_e32 v12, 0xffffedff, v0
	v_ashrrev_i32_e32 v13, 31, v12
	v_lshl_add_u64 v[12:13], v[6:7], 0, v[12:13]
; %bb.208:
	s_andn2_saveexec_b64 s[0:1], s[0:1]
; %bb.209:
	v_lshl_add_u64 v[12:13], v[2:3], 0, v[50:51]
; %bb.210:
	s_or_b64 exec, exec, s[0:1]
	v_lshl_add_u64 v[12:13], v[12:13], 1, s[2:3]
	v_cmp_ge_u32_e32 vcc, v48, v10
	global_store_short v[12:13], v90, off
                                        ; implicit-def: $vgpr12_vgpr13
	s_and_saveexec_b64 s[0:1], vcc
	s_xor_b64 s[0:1], exec, s[0:1]
; %bb.211:
	v_xor_b32_e32 v12, 0xffffebff, v0
	v_ashrrev_i32_e32 v13, 31, v12
	v_lshl_add_u64 v[12:13], v[6:7], 0, v[12:13]
; %bb.212:
	s_andn2_saveexec_b64 s[0:1], s[0:1]
; %bb.213:
	v_lshl_add_u64 v[12:13], v[2:3], 0, v[48:49]
; %bb.214:
	s_or_b64 exec, exec, s[0:1]
	v_lshl_add_u64 v[12:13], v[12:13], 1, s[2:3]
	v_cmp_ge_u32_e32 vcc, v46, v10
	global_store_short v[12:13], v89, off
                                        ; implicit-def: $vgpr12_vgpr13
	s_and_saveexec_b64 s[0:1], vcc
	s_xor_b64 s[0:1], exec, s[0:1]
; %bb.215:
	v_xor_b32_e32 v12, 0xffffe9ff, v0
	v_ashrrev_i32_e32 v13, 31, v12
	v_lshl_add_u64 v[12:13], v[6:7], 0, v[12:13]
; %bb.216:
	s_andn2_saveexec_b64 s[0:1], s[0:1]
; %bb.217:
	v_lshl_add_u64 v[12:13], v[2:3], 0, v[46:47]
; %bb.218:
	s_or_b64 exec, exec, s[0:1]
	v_lshl_add_u64 v[12:13], v[12:13], 1, s[2:3]
	v_cmp_ge_u32_e32 vcc, v44, v10
	global_store_short v[12:13], v88, off
                                        ; implicit-def: $vgpr12_vgpr13
	s_and_saveexec_b64 s[0:1], vcc
	s_xor_b64 s[0:1], exec, s[0:1]
; %bb.219:
	v_xor_b32_e32 v12, 0xffffe7ff, v0
	v_ashrrev_i32_e32 v13, 31, v12
	v_lshl_add_u64 v[12:13], v[6:7], 0, v[12:13]
; %bb.220:
	s_andn2_saveexec_b64 s[0:1], s[0:1]
; %bb.221:
	v_lshl_add_u64 v[12:13], v[2:3], 0, v[44:45]
; %bb.222:
	s_or_b64 exec, exec, s[0:1]
	v_lshl_add_u64 v[12:13], v[12:13], 1, s[2:3]
	v_cmp_ge_u32_e32 vcc, v42, v10
	global_store_short v[12:13], v87, off
                                        ; implicit-def: $vgpr12_vgpr13
	s_and_saveexec_b64 s[0:1], vcc
	s_xor_b64 s[0:1], exec, s[0:1]
; %bb.223:
	v_xor_b32_e32 v12, 0xffffe5ff, v0
	v_ashrrev_i32_e32 v13, 31, v12
	v_lshl_add_u64 v[12:13], v[6:7], 0, v[12:13]
; %bb.224:
	s_andn2_saveexec_b64 s[0:1], s[0:1]
; %bb.225:
	v_lshl_add_u64 v[12:13], v[2:3], 0, v[42:43]
; %bb.226:
	s_or_b64 exec, exec, s[0:1]
	v_lshl_add_u64 v[12:13], v[12:13], 1, s[2:3]
	v_cmp_ge_u32_e32 vcc, v40, v10
	global_store_short v[12:13], v86, off
                                        ; implicit-def: $vgpr12_vgpr13
	s_and_saveexec_b64 s[0:1], vcc
	s_xor_b64 s[0:1], exec, s[0:1]
; %bb.227:
	v_xor_b32_e32 v12, 0xffffe3ff, v0
	v_ashrrev_i32_e32 v13, 31, v12
	v_lshl_add_u64 v[12:13], v[6:7], 0, v[12:13]
; %bb.228:
	s_andn2_saveexec_b64 s[0:1], s[0:1]
; %bb.229:
	v_lshl_add_u64 v[12:13], v[2:3], 0, v[40:41]
; %bb.230:
	s_or_b64 exec, exec, s[0:1]
	v_lshl_add_u64 v[12:13], v[12:13], 1, s[2:3]
	v_cmp_ge_u32_e32 vcc, v38, v10
	global_store_short v[12:13], v85, off
                                        ; implicit-def: $vgpr12_vgpr13
	s_and_saveexec_b64 s[0:1], vcc
	s_xor_b64 s[0:1], exec, s[0:1]
; %bb.231:
	v_xor_b32_e32 v12, 0xffffe1ff, v0
	v_ashrrev_i32_e32 v13, 31, v12
	v_lshl_add_u64 v[12:13], v[6:7], 0, v[12:13]
; %bb.232:
	s_andn2_saveexec_b64 s[0:1], s[0:1]
; %bb.233:
	v_lshl_add_u64 v[12:13], v[2:3], 0, v[38:39]
; %bb.234:
	s_or_b64 exec, exec, s[0:1]
	v_lshl_add_u64 v[12:13], v[12:13], 1, s[2:3]
	v_cmp_ge_u32_e32 vcc, v36, v10
	global_store_short v[12:13], v84, off
                                        ; implicit-def: $vgpr12_vgpr13
	s_and_saveexec_b64 s[0:1], vcc
	s_xor_b64 s[0:1], exec, s[0:1]
; %bb.235:
	v_xor_b32_e32 v12, 0xffffdfff, v0
	v_ashrrev_i32_e32 v13, 31, v12
	v_lshl_add_u64 v[12:13], v[6:7], 0, v[12:13]
; %bb.236:
	s_andn2_saveexec_b64 s[0:1], s[0:1]
; %bb.237:
	v_lshl_add_u64 v[12:13], v[2:3], 0, v[36:37]
; %bb.238:
	s_or_b64 exec, exec, s[0:1]
	v_lshl_add_u64 v[12:13], v[12:13], 1, s[2:3]
	v_cmp_ge_u32_e32 vcc, v34, v10
	s_waitcnt lgkmcnt(13)
	global_store_short v[12:13], v83, off
                                        ; implicit-def: $vgpr12_vgpr13
	s_and_saveexec_b64 s[0:1], vcc
	s_xor_b64 s[0:1], exec, s[0:1]
; %bb.239:
	v_xor_b32_e32 v12, 0xffffddff, v0
	v_ashrrev_i32_e32 v13, 31, v12
	v_lshl_add_u64 v[12:13], v[6:7], 0, v[12:13]
; %bb.240:
	s_andn2_saveexec_b64 s[0:1], s[0:1]
; %bb.241:
	v_lshl_add_u64 v[12:13], v[2:3], 0, v[34:35]
; %bb.242:
	s_or_b64 exec, exec, s[0:1]
	v_lshl_add_u64 v[12:13], v[12:13], 1, s[2:3]
	v_cmp_ge_u32_e32 vcc, v32, v10
	s_waitcnt lgkmcnt(12)
	global_store_short v[12:13], v82, off
                                        ; implicit-def: $vgpr12_vgpr13
	s_and_saveexec_b64 s[0:1], vcc
	s_xor_b64 s[0:1], exec, s[0:1]
; %bb.243:
	v_xor_b32_e32 v12, 0xffffdbff, v0
	v_ashrrev_i32_e32 v13, 31, v12
	v_lshl_add_u64 v[12:13], v[6:7], 0, v[12:13]
; %bb.244:
	s_andn2_saveexec_b64 s[0:1], s[0:1]
; %bb.245:
	v_lshl_add_u64 v[12:13], v[2:3], 0, v[32:33]
; %bb.246:
	s_or_b64 exec, exec, s[0:1]
	v_lshl_add_u64 v[12:13], v[12:13], 1, s[2:3]
	v_cmp_ge_u32_e32 vcc, v30, v10
	;; [unrolled: 17-line block ×12, first 2 shown]
	s_waitcnt lgkmcnt(1)
	global_store_short v[12:13], v71, off
                                        ; implicit-def: $vgpr12_vgpr13
	s_and_saveexec_b64 s[0:1], vcc
	s_xor_b64 s[0:1], exec, s[0:1]
; %bb.287:
	v_xor_b32_e32 v12, 0xffffc5ff, v0
	v_ashrrev_i32_e32 v13, 31, v12
	v_lshl_add_u64 v[12:13], v[6:7], 0, v[12:13]
; %bb.288:
	s_andn2_saveexec_b64 s[0:1], s[0:1]
; %bb.289:
	v_lshl_add_u64 v[12:13], v[2:3], 0, v[4:5]
; %bb.290:
	s_or_b64 exec, exec, s[0:1]
	s_mov_b64 s[0:1], -1
	s_branch .LBB3643_473
.LBB3643_291:
	s_mov_b64 s[0:1], 0
                                        ; implicit-def: $vgpr12_vgpr13
	s_cbranch_execz .LBB3643_473
; %bb.292:
	v_cmp_gt_u32_e32 vcc, s33, v0
	s_and_saveexec_b64 s[4:5], vcc
	s_cbranch_execz .LBB3643_378
; %bb.293:
	v_cmp_ge_u32_e32 vcc, v0, v10
                                        ; implicit-def: $vgpr12_vgpr13
	s_and_saveexec_b64 s[6:7], vcc
	s_xor_b64 s[6:7], exec, s[6:7]
; %bb.294:
	v_not_b32_e32 v12, v0
	v_ashrrev_i32_e32 v13, 31, v12
	v_lshl_add_u64 v[12:13], v[6:7], 0, v[12:13]
; %bb.295:
	s_andn2_saveexec_b64 s[6:7], s[6:7]
; %bb.296:
	v_lshl_add_u64 v[12:13], v[2:3], 0, v[0:1]
; %bb.297:
	s_or_b64 exec, exec, s[6:7]
	v_lshl_add_u64 v[12:13], v[12:13], 1, s[2:3]
	s_waitcnt lgkmcnt(14)
	global_store_short v[12:13], v99, off
	s_or_b64 exec, exec, s[4:5]
	v_cmp_gt_u32_e32 vcc, s33, v66
	s_and_saveexec_b64 s[4:5], vcc
	s_cbranch_execnz .LBB3643_379
.LBB3643_298:
	s_or_b64 exec, exec, s[4:5]
	v_cmp_gt_u32_e32 vcc, s33, v64
	s_and_saveexec_b64 s[4:5], vcc
	s_cbranch_execz .LBB3643_384
.LBB3643_299:
	v_cmp_ge_u32_e32 vcc, v64, v10
                                        ; implicit-def: $vgpr12_vgpr13
	s_and_saveexec_b64 s[6:7], vcc
	s_xor_b64 s[6:7], exec, s[6:7]
; %bb.300:
	v_xor_b32_e32 v12, 0xfffffbff, v0
	v_ashrrev_i32_e32 v13, 31, v12
	v_lshl_add_u64 v[12:13], v[6:7], 0, v[12:13]
                                        ; implicit-def: $vgpr64_vgpr65
; %bb.301:
	s_andn2_saveexec_b64 s[6:7], s[6:7]
; %bb.302:
	v_lshl_add_u64 v[12:13], v[2:3], 0, v[64:65]
; %bb.303:
	s_or_b64 exec, exec, s[6:7]
	v_lshl_add_u64 v[12:13], v[12:13], 1, s[2:3]
	s_waitcnt lgkmcnt(14)
	global_store_short v[12:13], v97, off
	s_or_b64 exec, exec, s[4:5]
	v_cmp_gt_u32_e32 vcc, s33, v62
	s_and_saveexec_b64 s[4:5], vcc
	s_cbranch_execnz .LBB3643_385
.LBB3643_304:
	s_or_b64 exec, exec, s[4:5]
	v_cmp_gt_u32_e32 vcc, s33, v60
	s_and_saveexec_b64 s[4:5], vcc
	s_cbranch_execz .LBB3643_390
.LBB3643_305:
	v_cmp_ge_u32_e32 vcc, v60, v10
                                        ; implicit-def: $vgpr12_vgpr13
	s_and_saveexec_b64 s[6:7], vcc
	s_xor_b64 s[6:7], exec, s[6:7]
; %bb.306:
	v_xor_b32_e32 v12, 0xfffff7ff, v0
	v_ashrrev_i32_e32 v13, 31, v12
	v_lshl_add_u64 v[12:13], v[6:7], 0, v[12:13]
                                        ; implicit-def: $vgpr60_vgpr61
; %bb.307:
	s_andn2_saveexec_b64 s[6:7], s[6:7]
; %bb.308:
	v_lshl_add_u64 v[12:13], v[2:3], 0, v[60:61]
; %bb.309:
	s_or_b64 exec, exec, s[6:7]
	v_lshl_add_u64 v[12:13], v[12:13], 1, s[2:3]
	s_waitcnt lgkmcnt(14)
	global_store_short v[12:13], v95, off
	s_or_b64 exec, exec, s[4:5]
	v_cmp_gt_u32_e32 vcc, s33, v58
	s_and_saveexec_b64 s[4:5], vcc
	s_cbranch_execnz .LBB3643_391
.LBB3643_310:
	s_or_b64 exec, exec, s[4:5]
	v_cmp_gt_u32_e32 vcc, s33, v56
	s_and_saveexec_b64 s[4:5], vcc
	s_cbranch_execz .LBB3643_396
.LBB3643_311:
	v_cmp_ge_u32_e32 vcc, v56, v10
                                        ; implicit-def: $vgpr12_vgpr13
	s_and_saveexec_b64 s[6:7], vcc
	s_xor_b64 s[6:7], exec, s[6:7]
; %bb.312:
	v_xor_b32_e32 v12, 0xfffff3ff, v0
	v_ashrrev_i32_e32 v13, 31, v12
	v_lshl_add_u64 v[12:13], v[6:7], 0, v[12:13]
                                        ; implicit-def: $vgpr56_vgpr57
; %bb.313:
	s_andn2_saveexec_b64 s[6:7], s[6:7]
; %bb.314:
	v_lshl_add_u64 v[12:13], v[2:3], 0, v[56:57]
; %bb.315:
	s_or_b64 exec, exec, s[6:7]
	v_lshl_add_u64 v[12:13], v[12:13], 1, s[2:3]
	s_waitcnt lgkmcnt(14)
	global_store_short v[12:13], v93, off
	s_or_b64 exec, exec, s[4:5]
	v_cmp_gt_u32_e32 vcc, s33, v54
	s_and_saveexec_b64 s[4:5], vcc
	s_cbranch_execnz .LBB3643_397
.LBB3643_316:
	s_or_b64 exec, exec, s[4:5]
	v_cmp_gt_u32_e32 vcc, s33, v52
	s_and_saveexec_b64 s[4:5], vcc
	s_cbranch_execz .LBB3643_402
.LBB3643_317:
	v_cmp_ge_u32_e32 vcc, v52, v10
                                        ; implicit-def: $vgpr12_vgpr13
	s_and_saveexec_b64 s[6:7], vcc
	s_xor_b64 s[6:7], exec, s[6:7]
; %bb.318:
	v_xor_b32_e32 v12, 0xffffefff, v0
	v_ashrrev_i32_e32 v13, 31, v12
	v_lshl_add_u64 v[12:13], v[6:7], 0, v[12:13]
                                        ; implicit-def: $vgpr52_vgpr53
; %bb.319:
	s_andn2_saveexec_b64 s[6:7], s[6:7]
; %bb.320:
	v_lshl_add_u64 v[12:13], v[2:3], 0, v[52:53]
; %bb.321:
	s_or_b64 exec, exec, s[6:7]
	v_lshl_add_u64 v[12:13], v[12:13], 1, s[2:3]
	s_waitcnt lgkmcnt(14)
	global_store_short v[12:13], v91, off
	s_or_b64 exec, exec, s[4:5]
	v_cmp_gt_u32_e32 vcc, s33, v50
	s_and_saveexec_b64 s[4:5], vcc
	s_cbranch_execnz .LBB3643_403
.LBB3643_322:
	s_or_b64 exec, exec, s[4:5]
	v_cmp_gt_u32_e32 vcc, s33, v48
	s_and_saveexec_b64 s[4:5], vcc
	s_cbranch_execz .LBB3643_408
.LBB3643_323:
	v_cmp_ge_u32_e32 vcc, v48, v10
                                        ; implicit-def: $vgpr12_vgpr13
	s_and_saveexec_b64 s[6:7], vcc
	s_xor_b64 s[6:7], exec, s[6:7]
; %bb.324:
	v_xor_b32_e32 v12, 0xffffebff, v0
	v_ashrrev_i32_e32 v13, 31, v12
	v_lshl_add_u64 v[12:13], v[6:7], 0, v[12:13]
                                        ; implicit-def: $vgpr48_vgpr49
; %bb.325:
	s_andn2_saveexec_b64 s[6:7], s[6:7]
; %bb.326:
	v_lshl_add_u64 v[12:13], v[2:3], 0, v[48:49]
; %bb.327:
	s_or_b64 exec, exec, s[6:7]
	v_lshl_add_u64 v[12:13], v[12:13], 1, s[2:3]
	s_waitcnt lgkmcnt(14)
	global_store_short v[12:13], v89, off
	s_or_b64 exec, exec, s[4:5]
	v_cmp_gt_u32_e32 vcc, s33, v46
	s_and_saveexec_b64 s[4:5], vcc
	s_cbranch_execnz .LBB3643_409
.LBB3643_328:
	s_or_b64 exec, exec, s[4:5]
	v_cmp_gt_u32_e32 vcc, s33, v44
	s_and_saveexec_b64 s[4:5], vcc
	s_cbranch_execz .LBB3643_414
.LBB3643_329:
	v_cmp_ge_u32_e32 vcc, v44, v10
                                        ; implicit-def: $vgpr12_vgpr13
	s_and_saveexec_b64 s[6:7], vcc
	s_xor_b64 s[6:7], exec, s[6:7]
; %bb.330:
	v_xor_b32_e32 v12, 0xffffe7ff, v0
	v_ashrrev_i32_e32 v13, 31, v12
	v_lshl_add_u64 v[12:13], v[6:7], 0, v[12:13]
                                        ; implicit-def: $vgpr44_vgpr45
; %bb.331:
	s_andn2_saveexec_b64 s[6:7], s[6:7]
; %bb.332:
	v_lshl_add_u64 v[12:13], v[2:3], 0, v[44:45]
; %bb.333:
	s_or_b64 exec, exec, s[6:7]
	v_lshl_add_u64 v[12:13], v[12:13], 1, s[2:3]
	s_waitcnt lgkmcnt(14)
	global_store_short v[12:13], v87, off
	s_or_b64 exec, exec, s[4:5]
	v_cmp_gt_u32_e32 vcc, s33, v42
	s_and_saveexec_b64 s[4:5], vcc
	s_cbranch_execnz .LBB3643_415
.LBB3643_334:
	s_or_b64 exec, exec, s[4:5]
	v_cmp_gt_u32_e32 vcc, s33, v40
	s_and_saveexec_b64 s[4:5], vcc
	s_cbranch_execz .LBB3643_420
.LBB3643_335:
	v_cmp_ge_u32_e32 vcc, v40, v10
                                        ; implicit-def: $vgpr12_vgpr13
	s_and_saveexec_b64 s[6:7], vcc
	s_xor_b64 s[6:7], exec, s[6:7]
; %bb.336:
	v_xor_b32_e32 v12, 0xffffe3ff, v0
	v_ashrrev_i32_e32 v13, 31, v12
	v_lshl_add_u64 v[12:13], v[6:7], 0, v[12:13]
                                        ; implicit-def: $vgpr40_vgpr41
; %bb.337:
	s_andn2_saveexec_b64 s[6:7], s[6:7]
; %bb.338:
	v_lshl_add_u64 v[12:13], v[2:3], 0, v[40:41]
; %bb.339:
	s_or_b64 exec, exec, s[6:7]
	v_lshl_add_u64 v[12:13], v[12:13], 1, s[2:3]
	s_waitcnt lgkmcnt(14)
	global_store_short v[12:13], v85, off
	s_or_b64 exec, exec, s[4:5]
	v_cmp_gt_u32_e32 vcc, s33, v38
	s_and_saveexec_b64 s[4:5], vcc
	s_cbranch_execnz .LBB3643_421
.LBB3643_340:
	s_or_b64 exec, exec, s[4:5]
	v_cmp_gt_u32_e32 vcc, s33, v36
	s_and_saveexec_b64 s[4:5], vcc
	s_cbranch_execz .LBB3643_426
.LBB3643_341:
	v_cmp_ge_u32_e32 vcc, v36, v10
                                        ; implicit-def: $vgpr12_vgpr13
	s_and_saveexec_b64 s[6:7], vcc
	s_xor_b64 s[6:7], exec, s[6:7]
; %bb.342:
	v_xor_b32_e32 v12, 0xffffdfff, v0
	v_ashrrev_i32_e32 v13, 31, v12
	v_lshl_add_u64 v[12:13], v[6:7], 0, v[12:13]
                                        ; implicit-def: $vgpr36_vgpr37
; %bb.343:
	s_andn2_saveexec_b64 s[6:7], s[6:7]
; %bb.344:
	v_lshl_add_u64 v[12:13], v[2:3], 0, v[36:37]
; %bb.345:
	s_or_b64 exec, exec, s[6:7]
	v_lshl_add_u64 v[12:13], v[12:13], 1, s[2:3]
	s_waitcnt lgkmcnt(13)
	global_store_short v[12:13], v83, off
	s_or_b64 exec, exec, s[4:5]
	v_cmp_gt_u32_e32 vcc, s33, v34
	s_and_saveexec_b64 s[4:5], vcc
	s_cbranch_execnz .LBB3643_427
.LBB3643_346:
	s_or_b64 exec, exec, s[4:5]
	v_cmp_gt_u32_e32 vcc, s33, v32
	s_and_saveexec_b64 s[4:5], vcc
	s_cbranch_execz .LBB3643_432
.LBB3643_347:
	v_cmp_ge_u32_e32 vcc, v32, v10
                                        ; implicit-def: $vgpr12_vgpr13
	s_and_saveexec_b64 s[6:7], vcc
	s_xor_b64 s[6:7], exec, s[6:7]
; %bb.348:
	v_xor_b32_e32 v12, 0xffffdbff, v0
	v_ashrrev_i32_e32 v13, 31, v12
	v_lshl_add_u64 v[12:13], v[6:7], 0, v[12:13]
                                        ; implicit-def: $vgpr32_vgpr33
; %bb.349:
	s_andn2_saveexec_b64 s[6:7], s[6:7]
; %bb.350:
	v_lshl_add_u64 v[12:13], v[2:3], 0, v[32:33]
; %bb.351:
	s_or_b64 exec, exec, s[6:7]
	v_lshl_add_u64 v[12:13], v[12:13], 1, s[2:3]
	s_waitcnt lgkmcnt(11)
	global_store_short v[12:13], v81, off
	s_or_b64 exec, exec, s[4:5]
	v_cmp_gt_u32_e32 vcc, s33, v30
	s_and_saveexec_b64 s[4:5], vcc
	s_cbranch_execnz .LBB3643_433
.LBB3643_352:
	s_or_b64 exec, exec, s[4:5]
	v_cmp_gt_u32_e32 vcc, s33, v28
	s_and_saveexec_b64 s[4:5], vcc
	s_cbranch_execz .LBB3643_438
.LBB3643_353:
	v_cmp_ge_u32_e32 vcc, v28, v10
                                        ; implicit-def: $vgpr12_vgpr13
	s_and_saveexec_b64 s[6:7], vcc
	s_xor_b64 s[6:7], exec, s[6:7]
; %bb.354:
	v_xor_b32_e32 v12, 0xffffd7ff, v0
	v_ashrrev_i32_e32 v13, 31, v12
	v_lshl_add_u64 v[12:13], v[6:7], 0, v[12:13]
                                        ; implicit-def: $vgpr28_vgpr29
; %bb.355:
	s_andn2_saveexec_b64 s[6:7], s[6:7]
; %bb.356:
	v_lshl_add_u64 v[12:13], v[2:3], 0, v[28:29]
; %bb.357:
	s_or_b64 exec, exec, s[6:7]
	v_lshl_add_u64 v[12:13], v[12:13], 1, s[2:3]
	s_waitcnt lgkmcnt(9)
	global_store_short v[12:13], v79, off
	s_or_b64 exec, exec, s[4:5]
	v_cmp_gt_u32_e32 vcc, s33, v26
	s_and_saveexec_b64 s[4:5], vcc
	s_cbranch_execnz .LBB3643_439
.LBB3643_358:
	s_or_b64 exec, exec, s[4:5]
	v_cmp_gt_u32_e32 vcc, s33, v24
	s_and_saveexec_b64 s[4:5], vcc
	s_cbranch_execz .LBB3643_444
.LBB3643_359:
	v_cmp_ge_u32_e32 vcc, v24, v10
                                        ; implicit-def: $vgpr12_vgpr13
	s_and_saveexec_b64 s[6:7], vcc
	s_xor_b64 s[6:7], exec, s[6:7]
; %bb.360:
	v_xor_b32_e32 v12, 0xffffd3ff, v0
	v_ashrrev_i32_e32 v13, 31, v12
	v_lshl_add_u64 v[12:13], v[6:7], 0, v[12:13]
                                        ; implicit-def: $vgpr24_vgpr25
; %bb.361:
	s_andn2_saveexec_b64 s[6:7], s[6:7]
; %bb.362:
	v_lshl_add_u64 v[12:13], v[2:3], 0, v[24:25]
; %bb.363:
	s_or_b64 exec, exec, s[6:7]
	v_lshl_add_u64 v[12:13], v[12:13], 1, s[2:3]
	s_waitcnt lgkmcnt(7)
	global_store_short v[12:13], v77, off
	s_or_b64 exec, exec, s[4:5]
	v_cmp_gt_u32_e32 vcc, s33, v22
	s_and_saveexec_b64 s[4:5], vcc
	s_cbranch_execnz .LBB3643_445
.LBB3643_364:
	s_or_b64 exec, exec, s[4:5]
	v_cmp_gt_u32_e32 vcc, s33, v20
	s_and_saveexec_b64 s[4:5], vcc
	s_cbranch_execz .LBB3643_450
.LBB3643_365:
	v_cmp_ge_u32_e32 vcc, v20, v10
                                        ; implicit-def: $vgpr12_vgpr13
	s_and_saveexec_b64 s[6:7], vcc
	s_xor_b64 s[6:7], exec, s[6:7]
; %bb.366:
	v_xor_b32_e32 v12, 0xffffcfff, v0
	v_ashrrev_i32_e32 v13, 31, v12
	v_lshl_add_u64 v[12:13], v[6:7], 0, v[12:13]
                                        ; implicit-def: $vgpr20_vgpr21
; %bb.367:
	s_andn2_saveexec_b64 s[6:7], s[6:7]
; %bb.368:
	v_lshl_add_u64 v[12:13], v[2:3], 0, v[20:21]
; %bb.369:
	s_or_b64 exec, exec, s[6:7]
	v_lshl_add_u64 v[12:13], v[12:13], 1, s[2:3]
	s_waitcnt lgkmcnt(5)
	global_store_short v[12:13], v75, off
	s_or_b64 exec, exec, s[4:5]
	v_cmp_gt_u32_e32 vcc, s33, v18
	s_and_saveexec_b64 s[4:5], vcc
	s_cbranch_execnz .LBB3643_451
.LBB3643_370:
	s_or_b64 exec, exec, s[4:5]
	v_cmp_gt_u32_e32 vcc, s33, v16
	s_and_saveexec_b64 s[4:5], vcc
	s_cbranch_execz .LBB3643_456
.LBB3643_371:
	v_cmp_ge_u32_e32 vcc, v16, v10
                                        ; implicit-def: $vgpr12_vgpr13
	s_and_saveexec_b64 s[6:7], vcc
	s_xor_b64 s[6:7], exec, s[6:7]
; %bb.372:
	v_xor_b32_e32 v12, 0xffffcbff, v0
	v_ashrrev_i32_e32 v13, 31, v12
	v_lshl_add_u64 v[12:13], v[6:7], 0, v[12:13]
                                        ; implicit-def: $vgpr16_vgpr17
; %bb.373:
	s_andn2_saveexec_b64 s[6:7], s[6:7]
; %bb.374:
	v_lshl_add_u64 v[12:13], v[2:3], 0, v[16:17]
; %bb.375:
	s_or_b64 exec, exec, s[6:7]
	v_lshl_add_u64 v[12:13], v[12:13], 1, s[2:3]
	s_waitcnt lgkmcnt(3)
	global_store_short v[12:13], v73, off
	s_or_b64 exec, exec, s[4:5]
	v_cmp_gt_u32_e32 vcc, s33, v14
	s_and_saveexec_b64 s[4:5], vcc
	s_cbranch_execnz .LBB3643_457
.LBB3643_376:
	s_or_b64 exec, exec, s[4:5]
	v_cmp_gt_u32_e32 vcc, s33, v8
	s_and_saveexec_b64 s[4:5], vcc
	s_cbranch_execnz .LBB3643_462
.LBB3643_377:
	s_or_b64 exec, exec, s[4:5]
	v_cmp_gt_u32_e32 vcc, s33, v4
                                        ; implicit-def: $vgpr12_vgpr13
	s_and_saveexec_b64 s[4:5], vcc
	s_cbranch_execz .LBB3643_472
	s_branch .LBB3643_467
.LBB3643_378:
	s_or_b64 exec, exec, s[4:5]
	v_cmp_gt_u32_e32 vcc, s33, v66
	s_and_saveexec_b64 s[4:5], vcc
	s_cbranch_execz .LBB3643_298
.LBB3643_379:
	v_cmp_ge_u32_e32 vcc, v66, v10
                                        ; implicit-def: $vgpr12_vgpr13
	s_and_saveexec_b64 s[6:7], vcc
	s_xor_b64 s[6:7], exec, s[6:7]
; %bb.380:
	v_xor_b32_e32 v12, 0xfffffdff, v0
	v_ashrrev_i32_e32 v13, 31, v12
	v_lshl_add_u64 v[12:13], v[6:7], 0, v[12:13]
                                        ; implicit-def: $vgpr66_vgpr67
; %bb.381:
	s_andn2_saveexec_b64 s[6:7], s[6:7]
; %bb.382:
	v_lshl_add_u64 v[12:13], v[2:3], 0, v[66:67]
; %bb.383:
	s_or_b64 exec, exec, s[6:7]
	v_lshl_add_u64 v[12:13], v[12:13], 1, s[2:3]
	s_waitcnt lgkmcnt(14)
	global_store_short v[12:13], v98, off
	s_or_b64 exec, exec, s[4:5]
	v_cmp_gt_u32_e32 vcc, s33, v64
	s_and_saveexec_b64 s[4:5], vcc
	s_cbranch_execnz .LBB3643_299
.LBB3643_384:
	s_or_b64 exec, exec, s[4:5]
	v_cmp_gt_u32_e32 vcc, s33, v62
	s_and_saveexec_b64 s[4:5], vcc
	s_cbranch_execz .LBB3643_304
.LBB3643_385:
	v_cmp_ge_u32_e32 vcc, v62, v10
                                        ; implicit-def: $vgpr12_vgpr13
	s_and_saveexec_b64 s[6:7], vcc
	s_xor_b64 s[6:7], exec, s[6:7]
; %bb.386:
	v_xor_b32_e32 v12, 0xfffff9ff, v0
	v_ashrrev_i32_e32 v13, 31, v12
	v_lshl_add_u64 v[12:13], v[6:7], 0, v[12:13]
                                        ; implicit-def: $vgpr62_vgpr63
; %bb.387:
	s_andn2_saveexec_b64 s[6:7], s[6:7]
; %bb.388:
	v_lshl_add_u64 v[12:13], v[2:3], 0, v[62:63]
; %bb.389:
	s_or_b64 exec, exec, s[6:7]
	v_lshl_add_u64 v[12:13], v[12:13], 1, s[2:3]
	s_waitcnt lgkmcnt(14)
	global_store_short v[12:13], v96, off
	s_or_b64 exec, exec, s[4:5]
	v_cmp_gt_u32_e32 vcc, s33, v60
	s_and_saveexec_b64 s[4:5], vcc
	s_cbranch_execnz .LBB3643_305
.LBB3643_390:
	s_or_b64 exec, exec, s[4:5]
	v_cmp_gt_u32_e32 vcc, s33, v58
	s_and_saveexec_b64 s[4:5], vcc
	s_cbranch_execz .LBB3643_310
.LBB3643_391:
	v_cmp_ge_u32_e32 vcc, v58, v10
                                        ; implicit-def: $vgpr12_vgpr13
	s_and_saveexec_b64 s[6:7], vcc
	s_xor_b64 s[6:7], exec, s[6:7]
; %bb.392:
	v_xor_b32_e32 v12, 0xfffff5ff, v0
	v_ashrrev_i32_e32 v13, 31, v12
	v_lshl_add_u64 v[12:13], v[6:7], 0, v[12:13]
                                        ; implicit-def: $vgpr58_vgpr59
; %bb.393:
	s_andn2_saveexec_b64 s[6:7], s[6:7]
; %bb.394:
	v_lshl_add_u64 v[12:13], v[2:3], 0, v[58:59]
; %bb.395:
	s_or_b64 exec, exec, s[6:7]
	v_lshl_add_u64 v[12:13], v[12:13], 1, s[2:3]
	s_waitcnt lgkmcnt(14)
	global_store_short v[12:13], v94, off
	s_or_b64 exec, exec, s[4:5]
	v_cmp_gt_u32_e32 vcc, s33, v56
	s_and_saveexec_b64 s[4:5], vcc
	s_cbranch_execnz .LBB3643_311
.LBB3643_396:
	s_or_b64 exec, exec, s[4:5]
	v_cmp_gt_u32_e32 vcc, s33, v54
	s_and_saveexec_b64 s[4:5], vcc
	s_cbranch_execz .LBB3643_316
.LBB3643_397:
	v_cmp_ge_u32_e32 vcc, v54, v10
                                        ; implicit-def: $vgpr12_vgpr13
	s_and_saveexec_b64 s[6:7], vcc
	s_xor_b64 s[6:7], exec, s[6:7]
; %bb.398:
	v_xor_b32_e32 v12, 0xfffff1ff, v0
	v_ashrrev_i32_e32 v13, 31, v12
	v_lshl_add_u64 v[12:13], v[6:7], 0, v[12:13]
                                        ; implicit-def: $vgpr54_vgpr55
; %bb.399:
	s_andn2_saveexec_b64 s[6:7], s[6:7]
; %bb.400:
	v_lshl_add_u64 v[12:13], v[2:3], 0, v[54:55]
; %bb.401:
	s_or_b64 exec, exec, s[6:7]
	v_lshl_add_u64 v[12:13], v[12:13], 1, s[2:3]
	s_waitcnt lgkmcnt(14)
	global_store_short v[12:13], v92, off
	s_or_b64 exec, exec, s[4:5]
	v_cmp_gt_u32_e32 vcc, s33, v52
	s_and_saveexec_b64 s[4:5], vcc
	s_cbranch_execnz .LBB3643_317
.LBB3643_402:
	s_or_b64 exec, exec, s[4:5]
	v_cmp_gt_u32_e32 vcc, s33, v50
	s_and_saveexec_b64 s[4:5], vcc
	s_cbranch_execz .LBB3643_322
.LBB3643_403:
	v_cmp_ge_u32_e32 vcc, v50, v10
                                        ; implicit-def: $vgpr12_vgpr13
	s_and_saveexec_b64 s[6:7], vcc
	s_xor_b64 s[6:7], exec, s[6:7]
; %bb.404:
	v_xor_b32_e32 v12, 0xffffedff, v0
	v_ashrrev_i32_e32 v13, 31, v12
	v_lshl_add_u64 v[12:13], v[6:7], 0, v[12:13]
                                        ; implicit-def: $vgpr50_vgpr51
; %bb.405:
	s_andn2_saveexec_b64 s[6:7], s[6:7]
; %bb.406:
	v_lshl_add_u64 v[12:13], v[2:3], 0, v[50:51]
; %bb.407:
	s_or_b64 exec, exec, s[6:7]
	v_lshl_add_u64 v[12:13], v[12:13], 1, s[2:3]
	s_waitcnt lgkmcnt(14)
	global_store_short v[12:13], v90, off
	s_or_b64 exec, exec, s[4:5]
	v_cmp_gt_u32_e32 vcc, s33, v48
	s_and_saveexec_b64 s[4:5], vcc
	s_cbranch_execnz .LBB3643_323
.LBB3643_408:
	s_or_b64 exec, exec, s[4:5]
	v_cmp_gt_u32_e32 vcc, s33, v46
	s_and_saveexec_b64 s[4:5], vcc
	s_cbranch_execz .LBB3643_328
.LBB3643_409:
	v_cmp_ge_u32_e32 vcc, v46, v10
                                        ; implicit-def: $vgpr12_vgpr13
	s_and_saveexec_b64 s[6:7], vcc
	s_xor_b64 s[6:7], exec, s[6:7]
; %bb.410:
	v_xor_b32_e32 v12, 0xffffe9ff, v0
	v_ashrrev_i32_e32 v13, 31, v12
	v_lshl_add_u64 v[12:13], v[6:7], 0, v[12:13]
                                        ; implicit-def: $vgpr46_vgpr47
; %bb.411:
	s_andn2_saveexec_b64 s[6:7], s[6:7]
; %bb.412:
	v_lshl_add_u64 v[12:13], v[2:3], 0, v[46:47]
; %bb.413:
	s_or_b64 exec, exec, s[6:7]
	v_lshl_add_u64 v[12:13], v[12:13], 1, s[2:3]
	s_waitcnt lgkmcnt(14)
	global_store_short v[12:13], v88, off
	s_or_b64 exec, exec, s[4:5]
	v_cmp_gt_u32_e32 vcc, s33, v44
	s_and_saveexec_b64 s[4:5], vcc
	s_cbranch_execnz .LBB3643_329
.LBB3643_414:
	s_or_b64 exec, exec, s[4:5]
	v_cmp_gt_u32_e32 vcc, s33, v42
	s_and_saveexec_b64 s[4:5], vcc
	s_cbranch_execz .LBB3643_334
.LBB3643_415:
	v_cmp_ge_u32_e32 vcc, v42, v10
                                        ; implicit-def: $vgpr12_vgpr13
	s_and_saveexec_b64 s[6:7], vcc
	s_xor_b64 s[6:7], exec, s[6:7]
; %bb.416:
	v_xor_b32_e32 v12, 0xffffe5ff, v0
	v_ashrrev_i32_e32 v13, 31, v12
	v_lshl_add_u64 v[12:13], v[6:7], 0, v[12:13]
                                        ; implicit-def: $vgpr42_vgpr43
; %bb.417:
	s_andn2_saveexec_b64 s[6:7], s[6:7]
; %bb.418:
	v_lshl_add_u64 v[12:13], v[2:3], 0, v[42:43]
; %bb.419:
	s_or_b64 exec, exec, s[6:7]
	v_lshl_add_u64 v[12:13], v[12:13], 1, s[2:3]
	s_waitcnt lgkmcnt(14)
	global_store_short v[12:13], v86, off
	s_or_b64 exec, exec, s[4:5]
	v_cmp_gt_u32_e32 vcc, s33, v40
	s_and_saveexec_b64 s[4:5], vcc
	s_cbranch_execnz .LBB3643_335
.LBB3643_420:
	s_or_b64 exec, exec, s[4:5]
	v_cmp_gt_u32_e32 vcc, s33, v38
	s_and_saveexec_b64 s[4:5], vcc
	s_cbranch_execz .LBB3643_340
.LBB3643_421:
	v_cmp_ge_u32_e32 vcc, v38, v10
                                        ; implicit-def: $vgpr12_vgpr13
	s_and_saveexec_b64 s[6:7], vcc
	s_xor_b64 s[6:7], exec, s[6:7]
; %bb.422:
	v_xor_b32_e32 v12, 0xffffe1ff, v0
	v_ashrrev_i32_e32 v13, 31, v12
	v_lshl_add_u64 v[12:13], v[6:7], 0, v[12:13]
                                        ; implicit-def: $vgpr38_vgpr39
; %bb.423:
	s_andn2_saveexec_b64 s[6:7], s[6:7]
; %bb.424:
	v_lshl_add_u64 v[12:13], v[2:3], 0, v[38:39]
; %bb.425:
	s_or_b64 exec, exec, s[6:7]
	v_lshl_add_u64 v[12:13], v[12:13], 1, s[2:3]
	s_waitcnt lgkmcnt(14)
	global_store_short v[12:13], v84, off
	s_or_b64 exec, exec, s[4:5]
	v_cmp_gt_u32_e32 vcc, s33, v36
	s_and_saveexec_b64 s[4:5], vcc
	s_cbranch_execnz .LBB3643_341
.LBB3643_426:
	s_or_b64 exec, exec, s[4:5]
	v_cmp_gt_u32_e32 vcc, s33, v34
	s_and_saveexec_b64 s[4:5], vcc
	s_cbranch_execz .LBB3643_346
.LBB3643_427:
	v_cmp_ge_u32_e32 vcc, v34, v10
                                        ; implicit-def: $vgpr12_vgpr13
	s_and_saveexec_b64 s[6:7], vcc
	s_xor_b64 s[6:7], exec, s[6:7]
; %bb.428:
	v_xor_b32_e32 v12, 0xffffddff, v0
	v_ashrrev_i32_e32 v13, 31, v12
	v_lshl_add_u64 v[12:13], v[6:7], 0, v[12:13]
                                        ; implicit-def: $vgpr34_vgpr35
; %bb.429:
	s_andn2_saveexec_b64 s[6:7], s[6:7]
; %bb.430:
	v_lshl_add_u64 v[12:13], v[2:3], 0, v[34:35]
; %bb.431:
	s_or_b64 exec, exec, s[6:7]
	v_lshl_add_u64 v[12:13], v[12:13], 1, s[2:3]
	s_waitcnt lgkmcnt(12)
	global_store_short v[12:13], v82, off
	s_or_b64 exec, exec, s[4:5]
	v_cmp_gt_u32_e32 vcc, s33, v32
	s_and_saveexec_b64 s[4:5], vcc
	s_cbranch_execnz .LBB3643_347
.LBB3643_432:
	s_or_b64 exec, exec, s[4:5]
	v_cmp_gt_u32_e32 vcc, s33, v30
	s_and_saveexec_b64 s[4:5], vcc
	s_cbranch_execz .LBB3643_352
.LBB3643_433:
	v_cmp_ge_u32_e32 vcc, v30, v10
                                        ; implicit-def: $vgpr12_vgpr13
	s_and_saveexec_b64 s[6:7], vcc
	s_xor_b64 s[6:7], exec, s[6:7]
; %bb.434:
	v_xor_b32_e32 v12, 0xffffd9ff, v0
	v_ashrrev_i32_e32 v13, 31, v12
	v_lshl_add_u64 v[12:13], v[6:7], 0, v[12:13]
                                        ; implicit-def: $vgpr30_vgpr31
; %bb.435:
	s_andn2_saveexec_b64 s[6:7], s[6:7]
; %bb.436:
	v_lshl_add_u64 v[12:13], v[2:3], 0, v[30:31]
; %bb.437:
	s_or_b64 exec, exec, s[6:7]
	v_lshl_add_u64 v[12:13], v[12:13], 1, s[2:3]
	s_waitcnt lgkmcnt(10)
	global_store_short v[12:13], v80, off
	s_or_b64 exec, exec, s[4:5]
	v_cmp_gt_u32_e32 vcc, s33, v28
	s_and_saveexec_b64 s[4:5], vcc
	s_cbranch_execnz .LBB3643_353
.LBB3643_438:
	s_or_b64 exec, exec, s[4:5]
	v_cmp_gt_u32_e32 vcc, s33, v26
	s_and_saveexec_b64 s[4:5], vcc
	s_cbranch_execz .LBB3643_358
.LBB3643_439:
	v_cmp_ge_u32_e32 vcc, v26, v10
                                        ; implicit-def: $vgpr12_vgpr13
	s_and_saveexec_b64 s[6:7], vcc
	s_xor_b64 s[6:7], exec, s[6:7]
; %bb.440:
	v_xor_b32_e32 v12, 0xffffd5ff, v0
	v_ashrrev_i32_e32 v13, 31, v12
	v_lshl_add_u64 v[12:13], v[6:7], 0, v[12:13]
                                        ; implicit-def: $vgpr26_vgpr27
; %bb.441:
	s_andn2_saveexec_b64 s[6:7], s[6:7]
; %bb.442:
	v_lshl_add_u64 v[12:13], v[2:3], 0, v[26:27]
; %bb.443:
	s_or_b64 exec, exec, s[6:7]
	v_lshl_add_u64 v[12:13], v[12:13], 1, s[2:3]
	s_waitcnt lgkmcnt(8)
	global_store_short v[12:13], v78, off
	s_or_b64 exec, exec, s[4:5]
	v_cmp_gt_u32_e32 vcc, s33, v24
	s_and_saveexec_b64 s[4:5], vcc
	s_cbranch_execnz .LBB3643_359
.LBB3643_444:
	s_or_b64 exec, exec, s[4:5]
	v_cmp_gt_u32_e32 vcc, s33, v22
	s_and_saveexec_b64 s[4:5], vcc
	s_cbranch_execz .LBB3643_364
.LBB3643_445:
	v_cmp_ge_u32_e32 vcc, v22, v10
                                        ; implicit-def: $vgpr12_vgpr13
	s_and_saveexec_b64 s[6:7], vcc
	s_xor_b64 s[6:7], exec, s[6:7]
; %bb.446:
	v_xor_b32_e32 v12, 0xffffd1ff, v0
	v_ashrrev_i32_e32 v13, 31, v12
	v_lshl_add_u64 v[12:13], v[6:7], 0, v[12:13]
                                        ; implicit-def: $vgpr22_vgpr23
; %bb.447:
	s_andn2_saveexec_b64 s[6:7], s[6:7]
; %bb.448:
	v_lshl_add_u64 v[12:13], v[2:3], 0, v[22:23]
; %bb.449:
	s_or_b64 exec, exec, s[6:7]
	v_lshl_add_u64 v[12:13], v[12:13], 1, s[2:3]
	s_waitcnt lgkmcnt(6)
	global_store_short v[12:13], v76, off
	s_or_b64 exec, exec, s[4:5]
	v_cmp_gt_u32_e32 vcc, s33, v20
	s_and_saveexec_b64 s[4:5], vcc
	s_cbranch_execnz .LBB3643_365
.LBB3643_450:
	s_or_b64 exec, exec, s[4:5]
	v_cmp_gt_u32_e32 vcc, s33, v18
	s_and_saveexec_b64 s[4:5], vcc
	s_cbranch_execz .LBB3643_370
.LBB3643_451:
	v_cmp_ge_u32_e32 vcc, v18, v10
                                        ; implicit-def: $vgpr12_vgpr13
	s_and_saveexec_b64 s[6:7], vcc
	s_xor_b64 s[6:7], exec, s[6:7]
; %bb.452:
	v_xor_b32_e32 v12, 0xffffcdff, v0
	v_ashrrev_i32_e32 v13, 31, v12
	v_lshl_add_u64 v[12:13], v[6:7], 0, v[12:13]
                                        ; implicit-def: $vgpr18_vgpr19
; %bb.453:
	s_andn2_saveexec_b64 s[6:7], s[6:7]
; %bb.454:
	v_lshl_add_u64 v[12:13], v[2:3], 0, v[18:19]
; %bb.455:
	s_or_b64 exec, exec, s[6:7]
	v_lshl_add_u64 v[12:13], v[12:13], 1, s[2:3]
	s_waitcnt lgkmcnt(4)
	global_store_short v[12:13], v74, off
	s_or_b64 exec, exec, s[4:5]
	v_cmp_gt_u32_e32 vcc, s33, v16
	s_and_saveexec_b64 s[4:5], vcc
	s_cbranch_execnz .LBB3643_371
.LBB3643_456:
	s_or_b64 exec, exec, s[4:5]
	v_cmp_gt_u32_e32 vcc, s33, v14
	s_and_saveexec_b64 s[4:5], vcc
	s_cbranch_execz .LBB3643_376
.LBB3643_457:
	v_cmp_ge_u32_e32 vcc, v14, v10
                                        ; implicit-def: $vgpr12_vgpr13
	s_and_saveexec_b64 s[6:7], vcc
	s_xor_b64 s[6:7], exec, s[6:7]
; %bb.458:
	v_xor_b32_e32 v12, 0xffffc9ff, v0
	v_ashrrev_i32_e32 v13, 31, v12
	v_lshl_add_u64 v[12:13], v[6:7], 0, v[12:13]
                                        ; implicit-def: $vgpr14_vgpr15
; %bb.459:
	s_andn2_saveexec_b64 s[6:7], s[6:7]
; %bb.460:
	v_lshl_add_u64 v[12:13], v[2:3], 0, v[14:15]
; %bb.461:
	s_or_b64 exec, exec, s[6:7]
	v_lshl_add_u64 v[12:13], v[12:13], 1, s[2:3]
	s_waitcnt lgkmcnt(2)
	global_store_short v[12:13], v72, off
	s_or_b64 exec, exec, s[4:5]
	v_cmp_gt_u32_e32 vcc, s33, v8
	s_and_saveexec_b64 s[4:5], vcc
	s_cbranch_execz .LBB3643_377
.LBB3643_462:
	v_cmp_ge_u32_e32 vcc, v8, v10
                                        ; implicit-def: $vgpr12_vgpr13
	s_and_saveexec_b64 s[6:7], vcc
	s_xor_b64 s[6:7], exec, s[6:7]
; %bb.463:
	v_xor_b32_e32 v8, 0xffffc7ff, v0
	v_ashrrev_i32_e32 v9, 31, v8
	v_lshl_add_u64 v[12:13], v[6:7], 0, v[8:9]
                                        ; implicit-def: $vgpr8_vgpr9
; %bb.464:
	s_andn2_saveexec_b64 s[6:7], s[6:7]
; %bb.465:
	v_lshl_add_u64 v[12:13], v[2:3], 0, v[8:9]
; %bb.466:
	s_or_b64 exec, exec, s[6:7]
	v_lshl_add_u64 v[8:9], v[12:13], 1, s[2:3]
	s_waitcnt lgkmcnt(1)
	global_store_short v[8:9], v71, off
	s_or_b64 exec, exec, s[4:5]
	v_cmp_gt_u32_e32 vcc, s33, v4
                                        ; implicit-def: $vgpr12_vgpr13
	s_and_saveexec_b64 s[4:5], vcc
	s_cbranch_execz .LBB3643_472
.LBB3643_467:
	v_cmp_ge_u32_e32 vcc, v4, v10
                                        ; implicit-def: $vgpr12_vgpr13
	s_and_saveexec_b64 s[6:7], vcc
	s_xor_b64 s[6:7], exec, s[6:7]
; %bb.468:
	v_xor_b32_e32 v4, 0xffffc5ff, v0
	v_ashrrev_i32_e32 v5, 31, v4
	v_lshl_add_u64 v[12:13], v[6:7], 0, v[4:5]
                                        ; implicit-def: $vgpr4_vgpr5
; %bb.469:
	s_andn2_saveexec_b64 s[6:7], s[6:7]
; %bb.470:
	v_lshl_add_u64 v[12:13], v[2:3], 0, v[4:5]
; %bb.471:
	s_or_b64 exec, exec, s[6:7]
	s_or_b64 s[0:1], s[0:1], exec
.LBB3643_472:
	s_or_b64 exec, exec, s[4:5]
.LBB3643_473:
	s_and_saveexec_b64 s[4:5], s[0:1]
	s_cbranch_execz .LBB3643_475
; %bb.474:
	v_lshl_add_u64 v[4:5], v[12:13], 1, s[2:3]
	s_waitcnt lgkmcnt(0)
	global_store_short v[4:5], v70, off
.LBB3643_475:
	s_or_b64 exec, exec, s[4:5]
	v_cmp_eq_u32_e32 vcc, 0, v0
	s_and_b64 s[0:1], vcc, s[22:23]
	s_and_saveexec_b64 s[2:3], s[0:1]
	s_cbranch_execz .LBB3643_477
; %bb.476:
	v_mov_b32_e32 v4, 0
	v_lshl_add_u64 v[0:1], v[2:3], 0, v[10:11]
	global_store_dwordx2 v4, v[0:1], s[20:21]
.LBB3643_477:
	s_endpgm
	.section	.rodata,"a",@progbits
	.p2align	6, 0x0
	.amdhsa_kernel _ZN7rocprim17ROCPRIM_400000_NS6detail17trampoline_kernelINS0_14default_configENS1_25partition_config_selectorILNS1_17partition_subalgoE2EsNS0_10empty_typeEbEEZZNS1_14partition_implILS5_2ELb0ES3_jN6thrust23THRUST_200600_302600_NS6detail15normal_iteratorINSA_7pointerIsNSA_11hip_rocprim3tagENSA_11use_defaultESG_EEEEPS6_NSA_18transform_iteratorI10is_orderedNSA_12zip_iteratorINSA_5tupleINSC_INSA_10device_ptrIsEEEESQ_NSA_9null_typeESR_SR_SR_SR_SR_SR_SR_EEEESG_SG_EENS0_5tupleIJPsSJ_EEENSV_IJSJ_SJ_EEES6_PlJS6_EEE10hipError_tPvRmT3_T4_T5_T6_T7_T9_mT8_P12ihipStream_tbDpT10_ENKUlT_T0_E_clISt17integral_constantIbLb1EES1I_IbLb0EEEEDaS1E_S1F_EUlS1E_E_NS1_11comp_targetILNS1_3genE5ELNS1_11target_archE942ELNS1_3gpuE9ELNS1_3repE0EEENS1_30default_config_static_selectorELNS0_4arch9wavefront6targetE1EEEvT1_
		.amdhsa_group_segment_fixed_size 30728
		.amdhsa_private_segment_fixed_size 0
		.amdhsa_kernarg_size 136
		.amdhsa_user_sgpr_count 2
		.amdhsa_user_sgpr_dispatch_ptr 0
		.amdhsa_user_sgpr_queue_ptr 0
		.amdhsa_user_sgpr_kernarg_segment_ptr 1
		.amdhsa_user_sgpr_dispatch_id 0
		.amdhsa_user_sgpr_kernarg_preload_length 0
		.amdhsa_user_sgpr_kernarg_preload_offset 0
		.amdhsa_user_sgpr_private_segment_size 0
		.amdhsa_uses_dynamic_stack 0
		.amdhsa_enable_private_segment 0
		.amdhsa_system_sgpr_workgroup_id_x 1
		.amdhsa_system_sgpr_workgroup_id_y 0
		.amdhsa_system_sgpr_workgroup_id_z 0
		.amdhsa_system_sgpr_workgroup_info 0
		.amdhsa_system_vgpr_workitem_id 0
		.amdhsa_next_free_vgpr 100
		.amdhsa_next_free_sgpr 46
		.amdhsa_accum_offset 100
		.amdhsa_reserve_vcc 1
		.amdhsa_float_round_mode_32 0
		.amdhsa_float_round_mode_16_64 0
		.amdhsa_float_denorm_mode_32 3
		.amdhsa_float_denorm_mode_16_64 3
		.amdhsa_dx10_clamp 1
		.amdhsa_ieee_mode 1
		.amdhsa_fp16_overflow 0
		.amdhsa_tg_split 0
		.amdhsa_exception_fp_ieee_invalid_op 0
		.amdhsa_exception_fp_denorm_src 0
		.amdhsa_exception_fp_ieee_div_zero 0
		.amdhsa_exception_fp_ieee_overflow 0
		.amdhsa_exception_fp_ieee_underflow 0
		.amdhsa_exception_fp_ieee_inexact 0
		.amdhsa_exception_int_div_zero 0
	.end_amdhsa_kernel
	.section	.text._ZN7rocprim17ROCPRIM_400000_NS6detail17trampoline_kernelINS0_14default_configENS1_25partition_config_selectorILNS1_17partition_subalgoE2EsNS0_10empty_typeEbEEZZNS1_14partition_implILS5_2ELb0ES3_jN6thrust23THRUST_200600_302600_NS6detail15normal_iteratorINSA_7pointerIsNSA_11hip_rocprim3tagENSA_11use_defaultESG_EEEEPS6_NSA_18transform_iteratorI10is_orderedNSA_12zip_iteratorINSA_5tupleINSC_INSA_10device_ptrIsEEEESQ_NSA_9null_typeESR_SR_SR_SR_SR_SR_SR_EEEESG_SG_EENS0_5tupleIJPsSJ_EEENSV_IJSJ_SJ_EEES6_PlJS6_EEE10hipError_tPvRmT3_T4_T5_T6_T7_T9_mT8_P12ihipStream_tbDpT10_ENKUlT_T0_E_clISt17integral_constantIbLb1EES1I_IbLb0EEEEDaS1E_S1F_EUlS1E_E_NS1_11comp_targetILNS1_3genE5ELNS1_11target_archE942ELNS1_3gpuE9ELNS1_3repE0EEENS1_30default_config_static_selectorELNS0_4arch9wavefront6targetE1EEEvT1_,"axG",@progbits,_ZN7rocprim17ROCPRIM_400000_NS6detail17trampoline_kernelINS0_14default_configENS1_25partition_config_selectorILNS1_17partition_subalgoE2EsNS0_10empty_typeEbEEZZNS1_14partition_implILS5_2ELb0ES3_jN6thrust23THRUST_200600_302600_NS6detail15normal_iteratorINSA_7pointerIsNSA_11hip_rocprim3tagENSA_11use_defaultESG_EEEEPS6_NSA_18transform_iteratorI10is_orderedNSA_12zip_iteratorINSA_5tupleINSC_INSA_10device_ptrIsEEEESQ_NSA_9null_typeESR_SR_SR_SR_SR_SR_SR_EEEESG_SG_EENS0_5tupleIJPsSJ_EEENSV_IJSJ_SJ_EEES6_PlJS6_EEE10hipError_tPvRmT3_T4_T5_T6_T7_T9_mT8_P12ihipStream_tbDpT10_ENKUlT_T0_E_clISt17integral_constantIbLb1EES1I_IbLb0EEEEDaS1E_S1F_EUlS1E_E_NS1_11comp_targetILNS1_3genE5ELNS1_11target_archE942ELNS1_3gpuE9ELNS1_3repE0EEENS1_30default_config_static_selectorELNS0_4arch9wavefront6targetE1EEEvT1_,comdat
.Lfunc_end3643:
	.size	_ZN7rocprim17ROCPRIM_400000_NS6detail17trampoline_kernelINS0_14default_configENS1_25partition_config_selectorILNS1_17partition_subalgoE2EsNS0_10empty_typeEbEEZZNS1_14partition_implILS5_2ELb0ES3_jN6thrust23THRUST_200600_302600_NS6detail15normal_iteratorINSA_7pointerIsNSA_11hip_rocprim3tagENSA_11use_defaultESG_EEEEPS6_NSA_18transform_iteratorI10is_orderedNSA_12zip_iteratorINSA_5tupleINSC_INSA_10device_ptrIsEEEESQ_NSA_9null_typeESR_SR_SR_SR_SR_SR_SR_EEEESG_SG_EENS0_5tupleIJPsSJ_EEENSV_IJSJ_SJ_EEES6_PlJS6_EEE10hipError_tPvRmT3_T4_T5_T6_T7_T9_mT8_P12ihipStream_tbDpT10_ENKUlT_T0_E_clISt17integral_constantIbLb1EES1I_IbLb0EEEEDaS1E_S1F_EUlS1E_E_NS1_11comp_targetILNS1_3genE5ELNS1_11target_archE942ELNS1_3gpuE9ELNS1_3repE0EEENS1_30default_config_static_selectorELNS0_4arch9wavefront6targetE1EEEvT1_, .Lfunc_end3643-_ZN7rocprim17ROCPRIM_400000_NS6detail17trampoline_kernelINS0_14default_configENS1_25partition_config_selectorILNS1_17partition_subalgoE2EsNS0_10empty_typeEbEEZZNS1_14partition_implILS5_2ELb0ES3_jN6thrust23THRUST_200600_302600_NS6detail15normal_iteratorINSA_7pointerIsNSA_11hip_rocprim3tagENSA_11use_defaultESG_EEEEPS6_NSA_18transform_iteratorI10is_orderedNSA_12zip_iteratorINSA_5tupleINSC_INSA_10device_ptrIsEEEESQ_NSA_9null_typeESR_SR_SR_SR_SR_SR_SR_EEEESG_SG_EENS0_5tupleIJPsSJ_EEENSV_IJSJ_SJ_EEES6_PlJS6_EEE10hipError_tPvRmT3_T4_T5_T6_T7_T9_mT8_P12ihipStream_tbDpT10_ENKUlT_T0_E_clISt17integral_constantIbLb1EES1I_IbLb0EEEEDaS1E_S1F_EUlS1E_E_NS1_11comp_targetILNS1_3genE5ELNS1_11target_archE942ELNS1_3gpuE9ELNS1_3repE0EEENS1_30default_config_static_selectorELNS0_4arch9wavefront6targetE1EEEvT1_
                                        ; -- End function
	.section	.AMDGPU.csdata,"",@progbits
; Kernel info:
; codeLenInByte = 15740
; NumSgprs: 52
; NumVgprs: 100
; NumAgprs: 0
; TotalNumVgprs: 100
; ScratchSize: 0
; MemoryBound: 0
; FloatMode: 240
; IeeeMode: 1
; LDSByteSize: 30728 bytes/workgroup (compile time only)
; SGPRBlocks: 6
; VGPRBlocks: 12
; NumSGPRsForWavesPerEU: 52
; NumVGPRsForWavesPerEU: 100
; AccumOffset: 100
; Occupancy: 4
; WaveLimiterHint : 1
; COMPUTE_PGM_RSRC2:SCRATCH_EN: 0
; COMPUTE_PGM_RSRC2:USER_SGPR: 2
; COMPUTE_PGM_RSRC2:TRAP_HANDLER: 0
; COMPUTE_PGM_RSRC2:TGID_X_EN: 1
; COMPUTE_PGM_RSRC2:TGID_Y_EN: 0
; COMPUTE_PGM_RSRC2:TGID_Z_EN: 0
; COMPUTE_PGM_RSRC2:TIDIG_COMP_CNT: 0
; COMPUTE_PGM_RSRC3_GFX90A:ACCUM_OFFSET: 24
; COMPUTE_PGM_RSRC3_GFX90A:TG_SPLIT: 0
	.section	.text._ZN7rocprim17ROCPRIM_400000_NS6detail17trampoline_kernelINS0_14default_configENS1_25partition_config_selectorILNS1_17partition_subalgoE2EsNS0_10empty_typeEbEEZZNS1_14partition_implILS5_2ELb0ES3_jN6thrust23THRUST_200600_302600_NS6detail15normal_iteratorINSA_7pointerIsNSA_11hip_rocprim3tagENSA_11use_defaultESG_EEEEPS6_NSA_18transform_iteratorI10is_orderedNSA_12zip_iteratorINSA_5tupleINSC_INSA_10device_ptrIsEEEESQ_NSA_9null_typeESR_SR_SR_SR_SR_SR_SR_EEEESG_SG_EENS0_5tupleIJPsSJ_EEENSV_IJSJ_SJ_EEES6_PlJS6_EEE10hipError_tPvRmT3_T4_T5_T6_T7_T9_mT8_P12ihipStream_tbDpT10_ENKUlT_T0_E_clISt17integral_constantIbLb1EES1I_IbLb0EEEEDaS1E_S1F_EUlS1E_E_NS1_11comp_targetILNS1_3genE4ELNS1_11target_archE910ELNS1_3gpuE8ELNS1_3repE0EEENS1_30default_config_static_selectorELNS0_4arch9wavefront6targetE1EEEvT1_,"axG",@progbits,_ZN7rocprim17ROCPRIM_400000_NS6detail17trampoline_kernelINS0_14default_configENS1_25partition_config_selectorILNS1_17partition_subalgoE2EsNS0_10empty_typeEbEEZZNS1_14partition_implILS5_2ELb0ES3_jN6thrust23THRUST_200600_302600_NS6detail15normal_iteratorINSA_7pointerIsNSA_11hip_rocprim3tagENSA_11use_defaultESG_EEEEPS6_NSA_18transform_iteratorI10is_orderedNSA_12zip_iteratorINSA_5tupleINSC_INSA_10device_ptrIsEEEESQ_NSA_9null_typeESR_SR_SR_SR_SR_SR_SR_EEEESG_SG_EENS0_5tupleIJPsSJ_EEENSV_IJSJ_SJ_EEES6_PlJS6_EEE10hipError_tPvRmT3_T4_T5_T6_T7_T9_mT8_P12ihipStream_tbDpT10_ENKUlT_T0_E_clISt17integral_constantIbLb1EES1I_IbLb0EEEEDaS1E_S1F_EUlS1E_E_NS1_11comp_targetILNS1_3genE4ELNS1_11target_archE910ELNS1_3gpuE8ELNS1_3repE0EEENS1_30default_config_static_selectorELNS0_4arch9wavefront6targetE1EEEvT1_,comdat
	.protected	_ZN7rocprim17ROCPRIM_400000_NS6detail17trampoline_kernelINS0_14default_configENS1_25partition_config_selectorILNS1_17partition_subalgoE2EsNS0_10empty_typeEbEEZZNS1_14partition_implILS5_2ELb0ES3_jN6thrust23THRUST_200600_302600_NS6detail15normal_iteratorINSA_7pointerIsNSA_11hip_rocprim3tagENSA_11use_defaultESG_EEEEPS6_NSA_18transform_iteratorI10is_orderedNSA_12zip_iteratorINSA_5tupleINSC_INSA_10device_ptrIsEEEESQ_NSA_9null_typeESR_SR_SR_SR_SR_SR_SR_EEEESG_SG_EENS0_5tupleIJPsSJ_EEENSV_IJSJ_SJ_EEES6_PlJS6_EEE10hipError_tPvRmT3_T4_T5_T6_T7_T9_mT8_P12ihipStream_tbDpT10_ENKUlT_T0_E_clISt17integral_constantIbLb1EES1I_IbLb0EEEEDaS1E_S1F_EUlS1E_E_NS1_11comp_targetILNS1_3genE4ELNS1_11target_archE910ELNS1_3gpuE8ELNS1_3repE0EEENS1_30default_config_static_selectorELNS0_4arch9wavefront6targetE1EEEvT1_ ; -- Begin function _ZN7rocprim17ROCPRIM_400000_NS6detail17trampoline_kernelINS0_14default_configENS1_25partition_config_selectorILNS1_17partition_subalgoE2EsNS0_10empty_typeEbEEZZNS1_14partition_implILS5_2ELb0ES3_jN6thrust23THRUST_200600_302600_NS6detail15normal_iteratorINSA_7pointerIsNSA_11hip_rocprim3tagENSA_11use_defaultESG_EEEEPS6_NSA_18transform_iteratorI10is_orderedNSA_12zip_iteratorINSA_5tupleINSC_INSA_10device_ptrIsEEEESQ_NSA_9null_typeESR_SR_SR_SR_SR_SR_SR_EEEESG_SG_EENS0_5tupleIJPsSJ_EEENSV_IJSJ_SJ_EEES6_PlJS6_EEE10hipError_tPvRmT3_T4_T5_T6_T7_T9_mT8_P12ihipStream_tbDpT10_ENKUlT_T0_E_clISt17integral_constantIbLb1EES1I_IbLb0EEEEDaS1E_S1F_EUlS1E_E_NS1_11comp_targetILNS1_3genE4ELNS1_11target_archE910ELNS1_3gpuE8ELNS1_3repE0EEENS1_30default_config_static_selectorELNS0_4arch9wavefront6targetE1EEEvT1_
	.globl	_ZN7rocprim17ROCPRIM_400000_NS6detail17trampoline_kernelINS0_14default_configENS1_25partition_config_selectorILNS1_17partition_subalgoE2EsNS0_10empty_typeEbEEZZNS1_14partition_implILS5_2ELb0ES3_jN6thrust23THRUST_200600_302600_NS6detail15normal_iteratorINSA_7pointerIsNSA_11hip_rocprim3tagENSA_11use_defaultESG_EEEEPS6_NSA_18transform_iteratorI10is_orderedNSA_12zip_iteratorINSA_5tupleINSC_INSA_10device_ptrIsEEEESQ_NSA_9null_typeESR_SR_SR_SR_SR_SR_SR_EEEESG_SG_EENS0_5tupleIJPsSJ_EEENSV_IJSJ_SJ_EEES6_PlJS6_EEE10hipError_tPvRmT3_T4_T5_T6_T7_T9_mT8_P12ihipStream_tbDpT10_ENKUlT_T0_E_clISt17integral_constantIbLb1EES1I_IbLb0EEEEDaS1E_S1F_EUlS1E_E_NS1_11comp_targetILNS1_3genE4ELNS1_11target_archE910ELNS1_3gpuE8ELNS1_3repE0EEENS1_30default_config_static_selectorELNS0_4arch9wavefront6targetE1EEEvT1_
	.p2align	8
	.type	_ZN7rocprim17ROCPRIM_400000_NS6detail17trampoline_kernelINS0_14default_configENS1_25partition_config_selectorILNS1_17partition_subalgoE2EsNS0_10empty_typeEbEEZZNS1_14partition_implILS5_2ELb0ES3_jN6thrust23THRUST_200600_302600_NS6detail15normal_iteratorINSA_7pointerIsNSA_11hip_rocprim3tagENSA_11use_defaultESG_EEEEPS6_NSA_18transform_iteratorI10is_orderedNSA_12zip_iteratorINSA_5tupleINSC_INSA_10device_ptrIsEEEESQ_NSA_9null_typeESR_SR_SR_SR_SR_SR_SR_EEEESG_SG_EENS0_5tupleIJPsSJ_EEENSV_IJSJ_SJ_EEES6_PlJS6_EEE10hipError_tPvRmT3_T4_T5_T6_T7_T9_mT8_P12ihipStream_tbDpT10_ENKUlT_T0_E_clISt17integral_constantIbLb1EES1I_IbLb0EEEEDaS1E_S1F_EUlS1E_E_NS1_11comp_targetILNS1_3genE4ELNS1_11target_archE910ELNS1_3gpuE8ELNS1_3repE0EEENS1_30default_config_static_selectorELNS0_4arch9wavefront6targetE1EEEvT1_,@function
_ZN7rocprim17ROCPRIM_400000_NS6detail17trampoline_kernelINS0_14default_configENS1_25partition_config_selectorILNS1_17partition_subalgoE2EsNS0_10empty_typeEbEEZZNS1_14partition_implILS5_2ELb0ES3_jN6thrust23THRUST_200600_302600_NS6detail15normal_iteratorINSA_7pointerIsNSA_11hip_rocprim3tagENSA_11use_defaultESG_EEEEPS6_NSA_18transform_iteratorI10is_orderedNSA_12zip_iteratorINSA_5tupleINSC_INSA_10device_ptrIsEEEESQ_NSA_9null_typeESR_SR_SR_SR_SR_SR_SR_EEEESG_SG_EENS0_5tupleIJPsSJ_EEENSV_IJSJ_SJ_EEES6_PlJS6_EEE10hipError_tPvRmT3_T4_T5_T6_T7_T9_mT8_P12ihipStream_tbDpT10_ENKUlT_T0_E_clISt17integral_constantIbLb1EES1I_IbLb0EEEEDaS1E_S1F_EUlS1E_E_NS1_11comp_targetILNS1_3genE4ELNS1_11target_archE910ELNS1_3gpuE8ELNS1_3repE0EEENS1_30default_config_static_selectorELNS0_4arch9wavefront6targetE1EEEvT1_: ; @_ZN7rocprim17ROCPRIM_400000_NS6detail17trampoline_kernelINS0_14default_configENS1_25partition_config_selectorILNS1_17partition_subalgoE2EsNS0_10empty_typeEbEEZZNS1_14partition_implILS5_2ELb0ES3_jN6thrust23THRUST_200600_302600_NS6detail15normal_iteratorINSA_7pointerIsNSA_11hip_rocprim3tagENSA_11use_defaultESG_EEEEPS6_NSA_18transform_iteratorI10is_orderedNSA_12zip_iteratorINSA_5tupleINSC_INSA_10device_ptrIsEEEESQ_NSA_9null_typeESR_SR_SR_SR_SR_SR_SR_EEEESG_SG_EENS0_5tupleIJPsSJ_EEENSV_IJSJ_SJ_EEES6_PlJS6_EEE10hipError_tPvRmT3_T4_T5_T6_T7_T9_mT8_P12ihipStream_tbDpT10_ENKUlT_T0_E_clISt17integral_constantIbLb1EES1I_IbLb0EEEEDaS1E_S1F_EUlS1E_E_NS1_11comp_targetILNS1_3genE4ELNS1_11target_archE910ELNS1_3gpuE8ELNS1_3repE0EEENS1_30default_config_static_selectorELNS0_4arch9wavefront6targetE1EEEvT1_
; %bb.0:
	.section	.rodata,"a",@progbits
	.p2align	6, 0x0
	.amdhsa_kernel _ZN7rocprim17ROCPRIM_400000_NS6detail17trampoline_kernelINS0_14default_configENS1_25partition_config_selectorILNS1_17partition_subalgoE2EsNS0_10empty_typeEbEEZZNS1_14partition_implILS5_2ELb0ES3_jN6thrust23THRUST_200600_302600_NS6detail15normal_iteratorINSA_7pointerIsNSA_11hip_rocprim3tagENSA_11use_defaultESG_EEEEPS6_NSA_18transform_iteratorI10is_orderedNSA_12zip_iteratorINSA_5tupleINSC_INSA_10device_ptrIsEEEESQ_NSA_9null_typeESR_SR_SR_SR_SR_SR_SR_EEEESG_SG_EENS0_5tupleIJPsSJ_EEENSV_IJSJ_SJ_EEES6_PlJS6_EEE10hipError_tPvRmT3_T4_T5_T6_T7_T9_mT8_P12ihipStream_tbDpT10_ENKUlT_T0_E_clISt17integral_constantIbLb1EES1I_IbLb0EEEEDaS1E_S1F_EUlS1E_E_NS1_11comp_targetILNS1_3genE4ELNS1_11target_archE910ELNS1_3gpuE8ELNS1_3repE0EEENS1_30default_config_static_selectorELNS0_4arch9wavefront6targetE1EEEvT1_
		.amdhsa_group_segment_fixed_size 0
		.amdhsa_private_segment_fixed_size 0
		.amdhsa_kernarg_size 136
		.amdhsa_user_sgpr_count 2
		.amdhsa_user_sgpr_dispatch_ptr 0
		.amdhsa_user_sgpr_queue_ptr 0
		.amdhsa_user_sgpr_kernarg_segment_ptr 1
		.amdhsa_user_sgpr_dispatch_id 0
		.amdhsa_user_sgpr_kernarg_preload_length 0
		.amdhsa_user_sgpr_kernarg_preload_offset 0
		.amdhsa_user_sgpr_private_segment_size 0
		.amdhsa_uses_dynamic_stack 0
		.amdhsa_enable_private_segment 0
		.amdhsa_system_sgpr_workgroup_id_x 1
		.amdhsa_system_sgpr_workgroup_id_y 0
		.amdhsa_system_sgpr_workgroup_id_z 0
		.amdhsa_system_sgpr_workgroup_info 0
		.amdhsa_system_vgpr_workitem_id 0
		.amdhsa_next_free_vgpr 1
		.amdhsa_next_free_sgpr 0
		.amdhsa_accum_offset 4
		.amdhsa_reserve_vcc 0
		.amdhsa_float_round_mode_32 0
		.amdhsa_float_round_mode_16_64 0
		.amdhsa_float_denorm_mode_32 3
		.amdhsa_float_denorm_mode_16_64 3
		.amdhsa_dx10_clamp 1
		.amdhsa_ieee_mode 1
		.amdhsa_fp16_overflow 0
		.amdhsa_tg_split 0
		.amdhsa_exception_fp_ieee_invalid_op 0
		.amdhsa_exception_fp_denorm_src 0
		.amdhsa_exception_fp_ieee_div_zero 0
		.amdhsa_exception_fp_ieee_overflow 0
		.amdhsa_exception_fp_ieee_underflow 0
		.amdhsa_exception_fp_ieee_inexact 0
		.amdhsa_exception_int_div_zero 0
	.end_amdhsa_kernel
	.section	.text._ZN7rocprim17ROCPRIM_400000_NS6detail17trampoline_kernelINS0_14default_configENS1_25partition_config_selectorILNS1_17partition_subalgoE2EsNS0_10empty_typeEbEEZZNS1_14partition_implILS5_2ELb0ES3_jN6thrust23THRUST_200600_302600_NS6detail15normal_iteratorINSA_7pointerIsNSA_11hip_rocprim3tagENSA_11use_defaultESG_EEEEPS6_NSA_18transform_iteratorI10is_orderedNSA_12zip_iteratorINSA_5tupleINSC_INSA_10device_ptrIsEEEESQ_NSA_9null_typeESR_SR_SR_SR_SR_SR_SR_EEEESG_SG_EENS0_5tupleIJPsSJ_EEENSV_IJSJ_SJ_EEES6_PlJS6_EEE10hipError_tPvRmT3_T4_T5_T6_T7_T9_mT8_P12ihipStream_tbDpT10_ENKUlT_T0_E_clISt17integral_constantIbLb1EES1I_IbLb0EEEEDaS1E_S1F_EUlS1E_E_NS1_11comp_targetILNS1_3genE4ELNS1_11target_archE910ELNS1_3gpuE8ELNS1_3repE0EEENS1_30default_config_static_selectorELNS0_4arch9wavefront6targetE1EEEvT1_,"axG",@progbits,_ZN7rocprim17ROCPRIM_400000_NS6detail17trampoline_kernelINS0_14default_configENS1_25partition_config_selectorILNS1_17partition_subalgoE2EsNS0_10empty_typeEbEEZZNS1_14partition_implILS5_2ELb0ES3_jN6thrust23THRUST_200600_302600_NS6detail15normal_iteratorINSA_7pointerIsNSA_11hip_rocprim3tagENSA_11use_defaultESG_EEEEPS6_NSA_18transform_iteratorI10is_orderedNSA_12zip_iteratorINSA_5tupleINSC_INSA_10device_ptrIsEEEESQ_NSA_9null_typeESR_SR_SR_SR_SR_SR_SR_EEEESG_SG_EENS0_5tupleIJPsSJ_EEENSV_IJSJ_SJ_EEES6_PlJS6_EEE10hipError_tPvRmT3_T4_T5_T6_T7_T9_mT8_P12ihipStream_tbDpT10_ENKUlT_T0_E_clISt17integral_constantIbLb1EES1I_IbLb0EEEEDaS1E_S1F_EUlS1E_E_NS1_11comp_targetILNS1_3genE4ELNS1_11target_archE910ELNS1_3gpuE8ELNS1_3repE0EEENS1_30default_config_static_selectorELNS0_4arch9wavefront6targetE1EEEvT1_,comdat
.Lfunc_end3644:
	.size	_ZN7rocprim17ROCPRIM_400000_NS6detail17trampoline_kernelINS0_14default_configENS1_25partition_config_selectorILNS1_17partition_subalgoE2EsNS0_10empty_typeEbEEZZNS1_14partition_implILS5_2ELb0ES3_jN6thrust23THRUST_200600_302600_NS6detail15normal_iteratorINSA_7pointerIsNSA_11hip_rocprim3tagENSA_11use_defaultESG_EEEEPS6_NSA_18transform_iteratorI10is_orderedNSA_12zip_iteratorINSA_5tupleINSC_INSA_10device_ptrIsEEEESQ_NSA_9null_typeESR_SR_SR_SR_SR_SR_SR_EEEESG_SG_EENS0_5tupleIJPsSJ_EEENSV_IJSJ_SJ_EEES6_PlJS6_EEE10hipError_tPvRmT3_T4_T5_T6_T7_T9_mT8_P12ihipStream_tbDpT10_ENKUlT_T0_E_clISt17integral_constantIbLb1EES1I_IbLb0EEEEDaS1E_S1F_EUlS1E_E_NS1_11comp_targetILNS1_3genE4ELNS1_11target_archE910ELNS1_3gpuE8ELNS1_3repE0EEENS1_30default_config_static_selectorELNS0_4arch9wavefront6targetE1EEEvT1_, .Lfunc_end3644-_ZN7rocprim17ROCPRIM_400000_NS6detail17trampoline_kernelINS0_14default_configENS1_25partition_config_selectorILNS1_17partition_subalgoE2EsNS0_10empty_typeEbEEZZNS1_14partition_implILS5_2ELb0ES3_jN6thrust23THRUST_200600_302600_NS6detail15normal_iteratorINSA_7pointerIsNSA_11hip_rocprim3tagENSA_11use_defaultESG_EEEEPS6_NSA_18transform_iteratorI10is_orderedNSA_12zip_iteratorINSA_5tupleINSC_INSA_10device_ptrIsEEEESQ_NSA_9null_typeESR_SR_SR_SR_SR_SR_SR_EEEESG_SG_EENS0_5tupleIJPsSJ_EEENSV_IJSJ_SJ_EEES6_PlJS6_EEE10hipError_tPvRmT3_T4_T5_T6_T7_T9_mT8_P12ihipStream_tbDpT10_ENKUlT_T0_E_clISt17integral_constantIbLb1EES1I_IbLb0EEEEDaS1E_S1F_EUlS1E_E_NS1_11comp_targetILNS1_3genE4ELNS1_11target_archE910ELNS1_3gpuE8ELNS1_3repE0EEENS1_30default_config_static_selectorELNS0_4arch9wavefront6targetE1EEEvT1_
                                        ; -- End function
	.section	.AMDGPU.csdata,"",@progbits
; Kernel info:
; codeLenInByte = 0
; NumSgprs: 6
; NumVgprs: 0
; NumAgprs: 0
; TotalNumVgprs: 0
; ScratchSize: 0
; MemoryBound: 0
; FloatMode: 240
; IeeeMode: 1
; LDSByteSize: 0 bytes/workgroup (compile time only)
; SGPRBlocks: 0
; VGPRBlocks: 0
; NumSGPRsForWavesPerEU: 6
; NumVGPRsForWavesPerEU: 1
; AccumOffset: 4
; Occupancy: 8
; WaveLimiterHint : 0
; COMPUTE_PGM_RSRC2:SCRATCH_EN: 0
; COMPUTE_PGM_RSRC2:USER_SGPR: 2
; COMPUTE_PGM_RSRC2:TRAP_HANDLER: 0
; COMPUTE_PGM_RSRC2:TGID_X_EN: 1
; COMPUTE_PGM_RSRC2:TGID_Y_EN: 0
; COMPUTE_PGM_RSRC2:TGID_Z_EN: 0
; COMPUTE_PGM_RSRC2:TIDIG_COMP_CNT: 0
; COMPUTE_PGM_RSRC3_GFX90A:ACCUM_OFFSET: 0
; COMPUTE_PGM_RSRC3_GFX90A:TG_SPLIT: 0
	.section	.text._ZN7rocprim17ROCPRIM_400000_NS6detail17trampoline_kernelINS0_14default_configENS1_25partition_config_selectorILNS1_17partition_subalgoE2EsNS0_10empty_typeEbEEZZNS1_14partition_implILS5_2ELb0ES3_jN6thrust23THRUST_200600_302600_NS6detail15normal_iteratorINSA_7pointerIsNSA_11hip_rocprim3tagENSA_11use_defaultESG_EEEEPS6_NSA_18transform_iteratorI10is_orderedNSA_12zip_iteratorINSA_5tupleINSC_INSA_10device_ptrIsEEEESQ_NSA_9null_typeESR_SR_SR_SR_SR_SR_SR_EEEESG_SG_EENS0_5tupleIJPsSJ_EEENSV_IJSJ_SJ_EEES6_PlJS6_EEE10hipError_tPvRmT3_T4_T5_T6_T7_T9_mT8_P12ihipStream_tbDpT10_ENKUlT_T0_E_clISt17integral_constantIbLb1EES1I_IbLb0EEEEDaS1E_S1F_EUlS1E_E_NS1_11comp_targetILNS1_3genE3ELNS1_11target_archE908ELNS1_3gpuE7ELNS1_3repE0EEENS1_30default_config_static_selectorELNS0_4arch9wavefront6targetE1EEEvT1_,"axG",@progbits,_ZN7rocprim17ROCPRIM_400000_NS6detail17trampoline_kernelINS0_14default_configENS1_25partition_config_selectorILNS1_17partition_subalgoE2EsNS0_10empty_typeEbEEZZNS1_14partition_implILS5_2ELb0ES3_jN6thrust23THRUST_200600_302600_NS6detail15normal_iteratorINSA_7pointerIsNSA_11hip_rocprim3tagENSA_11use_defaultESG_EEEEPS6_NSA_18transform_iteratorI10is_orderedNSA_12zip_iteratorINSA_5tupleINSC_INSA_10device_ptrIsEEEESQ_NSA_9null_typeESR_SR_SR_SR_SR_SR_SR_EEEESG_SG_EENS0_5tupleIJPsSJ_EEENSV_IJSJ_SJ_EEES6_PlJS6_EEE10hipError_tPvRmT3_T4_T5_T6_T7_T9_mT8_P12ihipStream_tbDpT10_ENKUlT_T0_E_clISt17integral_constantIbLb1EES1I_IbLb0EEEEDaS1E_S1F_EUlS1E_E_NS1_11comp_targetILNS1_3genE3ELNS1_11target_archE908ELNS1_3gpuE7ELNS1_3repE0EEENS1_30default_config_static_selectorELNS0_4arch9wavefront6targetE1EEEvT1_,comdat
	.protected	_ZN7rocprim17ROCPRIM_400000_NS6detail17trampoline_kernelINS0_14default_configENS1_25partition_config_selectorILNS1_17partition_subalgoE2EsNS0_10empty_typeEbEEZZNS1_14partition_implILS5_2ELb0ES3_jN6thrust23THRUST_200600_302600_NS6detail15normal_iteratorINSA_7pointerIsNSA_11hip_rocprim3tagENSA_11use_defaultESG_EEEEPS6_NSA_18transform_iteratorI10is_orderedNSA_12zip_iteratorINSA_5tupleINSC_INSA_10device_ptrIsEEEESQ_NSA_9null_typeESR_SR_SR_SR_SR_SR_SR_EEEESG_SG_EENS0_5tupleIJPsSJ_EEENSV_IJSJ_SJ_EEES6_PlJS6_EEE10hipError_tPvRmT3_T4_T5_T6_T7_T9_mT8_P12ihipStream_tbDpT10_ENKUlT_T0_E_clISt17integral_constantIbLb1EES1I_IbLb0EEEEDaS1E_S1F_EUlS1E_E_NS1_11comp_targetILNS1_3genE3ELNS1_11target_archE908ELNS1_3gpuE7ELNS1_3repE0EEENS1_30default_config_static_selectorELNS0_4arch9wavefront6targetE1EEEvT1_ ; -- Begin function _ZN7rocprim17ROCPRIM_400000_NS6detail17trampoline_kernelINS0_14default_configENS1_25partition_config_selectorILNS1_17partition_subalgoE2EsNS0_10empty_typeEbEEZZNS1_14partition_implILS5_2ELb0ES3_jN6thrust23THRUST_200600_302600_NS6detail15normal_iteratorINSA_7pointerIsNSA_11hip_rocprim3tagENSA_11use_defaultESG_EEEEPS6_NSA_18transform_iteratorI10is_orderedNSA_12zip_iteratorINSA_5tupleINSC_INSA_10device_ptrIsEEEESQ_NSA_9null_typeESR_SR_SR_SR_SR_SR_SR_EEEESG_SG_EENS0_5tupleIJPsSJ_EEENSV_IJSJ_SJ_EEES6_PlJS6_EEE10hipError_tPvRmT3_T4_T5_T6_T7_T9_mT8_P12ihipStream_tbDpT10_ENKUlT_T0_E_clISt17integral_constantIbLb1EES1I_IbLb0EEEEDaS1E_S1F_EUlS1E_E_NS1_11comp_targetILNS1_3genE3ELNS1_11target_archE908ELNS1_3gpuE7ELNS1_3repE0EEENS1_30default_config_static_selectorELNS0_4arch9wavefront6targetE1EEEvT1_
	.globl	_ZN7rocprim17ROCPRIM_400000_NS6detail17trampoline_kernelINS0_14default_configENS1_25partition_config_selectorILNS1_17partition_subalgoE2EsNS0_10empty_typeEbEEZZNS1_14partition_implILS5_2ELb0ES3_jN6thrust23THRUST_200600_302600_NS6detail15normal_iteratorINSA_7pointerIsNSA_11hip_rocprim3tagENSA_11use_defaultESG_EEEEPS6_NSA_18transform_iteratorI10is_orderedNSA_12zip_iteratorINSA_5tupleINSC_INSA_10device_ptrIsEEEESQ_NSA_9null_typeESR_SR_SR_SR_SR_SR_SR_EEEESG_SG_EENS0_5tupleIJPsSJ_EEENSV_IJSJ_SJ_EEES6_PlJS6_EEE10hipError_tPvRmT3_T4_T5_T6_T7_T9_mT8_P12ihipStream_tbDpT10_ENKUlT_T0_E_clISt17integral_constantIbLb1EES1I_IbLb0EEEEDaS1E_S1F_EUlS1E_E_NS1_11comp_targetILNS1_3genE3ELNS1_11target_archE908ELNS1_3gpuE7ELNS1_3repE0EEENS1_30default_config_static_selectorELNS0_4arch9wavefront6targetE1EEEvT1_
	.p2align	8
	.type	_ZN7rocprim17ROCPRIM_400000_NS6detail17trampoline_kernelINS0_14default_configENS1_25partition_config_selectorILNS1_17partition_subalgoE2EsNS0_10empty_typeEbEEZZNS1_14partition_implILS5_2ELb0ES3_jN6thrust23THRUST_200600_302600_NS6detail15normal_iteratorINSA_7pointerIsNSA_11hip_rocprim3tagENSA_11use_defaultESG_EEEEPS6_NSA_18transform_iteratorI10is_orderedNSA_12zip_iteratorINSA_5tupleINSC_INSA_10device_ptrIsEEEESQ_NSA_9null_typeESR_SR_SR_SR_SR_SR_SR_EEEESG_SG_EENS0_5tupleIJPsSJ_EEENSV_IJSJ_SJ_EEES6_PlJS6_EEE10hipError_tPvRmT3_T4_T5_T6_T7_T9_mT8_P12ihipStream_tbDpT10_ENKUlT_T0_E_clISt17integral_constantIbLb1EES1I_IbLb0EEEEDaS1E_S1F_EUlS1E_E_NS1_11comp_targetILNS1_3genE3ELNS1_11target_archE908ELNS1_3gpuE7ELNS1_3repE0EEENS1_30default_config_static_selectorELNS0_4arch9wavefront6targetE1EEEvT1_,@function
_ZN7rocprim17ROCPRIM_400000_NS6detail17trampoline_kernelINS0_14default_configENS1_25partition_config_selectorILNS1_17partition_subalgoE2EsNS0_10empty_typeEbEEZZNS1_14partition_implILS5_2ELb0ES3_jN6thrust23THRUST_200600_302600_NS6detail15normal_iteratorINSA_7pointerIsNSA_11hip_rocprim3tagENSA_11use_defaultESG_EEEEPS6_NSA_18transform_iteratorI10is_orderedNSA_12zip_iteratorINSA_5tupleINSC_INSA_10device_ptrIsEEEESQ_NSA_9null_typeESR_SR_SR_SR_SR_SR_SR_EEEESG_SG_EENS0_5tupleIJPsSJ_EEENSV_IJSJ_SJ_EEES6_PlJS6_EEE10hipError_tPvRmT3_T4_T5_T6_T7_T9_mT8_P12ihipStream_tbDpT10_ENKUlT_T0_E_clISt17integral_constantIbLb1EES1I_IbLb0EEEEDaS1E_S1F_EUlS1E_E_NS1_11comp_targetILNS1_3genE3ELNS1_11target_archE908ELNS1_3gpuE7ELNS1_3repE0EEENS1_30default_config_static_selectorELNS0_4arch9wavefront6targetE1EEEvT1_: ; @_ZN7rocprim17ROCPRIM_400000_NS6detail17trampoline_kernelINS0_14default_configENS1_25partition_config_selectorILNS1_17partition_subalgoE2EsNS0_10empty_typeEbEEZZNS1_14partition_implILS5_2ELb0ES3_jN6thrust23THRUST_200600_302600_NS6detail15normal_iteratorINSA_7pointerIsNSA_11hip_rocprim3tagENSA_11use_defaultESG_EEEEPS6_NSA_18transform_iteratorI10is_orderedNSA_12zip_iteratorINSA_5tupleINSC_INSA_10device_ptrIsEEEESQ_NSA_9null_typeESR_SR_SR_SR_SR_SR_SR_EEEESG_SG_EENS0_5tupleIJPsSJ_EEENSV_IJSJ_SJ_EEES6_PlJS6_EEE10hipError_tPvRmT3_T4_T5_T6_T7_T9_mT8_P12ihipStream_tbDpT10_ENKUlT_T0_E_clISt17integral_constantIbLb1EES1I_IbLb0EEEEDaS1E_S1F_EUlS1E_E_NS1_11comp_targetILNS1_3genE3ELNS1_11target_archE908ELNS1_3gpuE7ELNS1_3repE0EEENS1_30default_config_static_selectorELNS0_4arch9wavefront6targetE1EEEvT1_
; %bb.0:
	.section	.rodata,"a",@progbits
	.p2align	6, 0x0
	.amdhsa_kernel _ZN7rocprim17ROCPRIM_400000_NS6detail17trampoline_kernelINS0_14default_configENS1_25partition_config_selectorILNS1_17partition_subalgoE2EsNS0_10empty_typeEbEEZZNS1_14partition_implILS5_2ELb0ES3_jN6thrust23THRUST_200600_302600_NS6detail15normal_iteratorINSA_7pointerIsNSA_11hip_rocprim3tagENSA_11use_defaultESG_EEEEPS6_NSA_18transform_iteratorI10is_orderedNSA_12zip_iteratorINSA_5tupleINSC_INSA_10device_ptrIsEEEESQ_NSA_9null_typeESR_SR_SR_SR_SR_SR_SR_EEEESG_SG_EENS0_5tupleIJPsSJ_EEENSV_IJSJ_SJ_EEES6_PlJS6_EEE10hipError_tPvRmT3_T4_T5_T6_T7_T9_mT8_P12ihipStream_tbDpT10_ENKUlT_T0_E_clISt17integral_constantIbLb1EES1I_IbLb0EEEEDaS1E_S1F_EUlS1E_E_NS1_11comp_targetILNS1_3genE3ELNS1_11target_archE908ELNS1_3gpuE7ELNS1_3repE0EEENS1_30default_config_static_selectorELNS0_4arch9wavefront6targetE1EEEvT1_
		.amdhsa_group_segment_fixed_size 0
		.amdhsa_private_segment_fixed_size 0
		.amdhsa_kernarg_size 136
		.amdhsa_user_sgpr_count 2
		.amdhsa_user_sgpr_dispatch_ptr 0
		.amdhsa_user_sgpr_queue_ptr 0
		.amdhsa_user_sgpr_kernarg_segment_ptr 1
		.amdhsa_user_sgpr_dispatch_id 0
		.amdhsa_user_sgpr_kernarg_preload_length 0
		.amdhsa_user_sgpr_kernarg_preload_offset 0
		.amdhsa_user_sgpr_private_segment_size 0
		.amdhsa_uses_dynamic_stack 0
		.amdhsa_enable_private_segment 0
		.amdhsa_system_sgpr_workgroup_id_x 1
		.amdhsa_system_sgpr_workgroup_id_y 0
		.amdhsa_system_sgpr_workgroup_id_z 0
		.amdhsa_system_sgpr_workgroup_info 0
		.amdhsa_system_vgpr_workitem_id 0
		.amdhsa_next_free_vgpr 1
		.amdhsa_next_free_sgpr 0
		.amdhsa_accum_offset 4
		.amdhsa_reserve_vcc 0
		.amdhsa_float_round_mode_32 0
		.amdhsa_float_round_mode_16_64 0
		.amdhsa_float_denorm_mode_32 3
		.amdhsa_float_denorm_mode_16_64 3
		.amdhsa_dx10_clamp 1
		.amdhsa_ieee_mode 1
		.amdhsa_fp16_overflow 0
		.amdhsa_tg_split 0
		.amdhsa_exception_fp_ieee_invalid_op 0
		.amdhsa_exception_fp_denorm_src 0
		.amdhsa_exception_fp_ieee_div_zero 0
		.amdhsa_exception_fp_ieee_overflow 0
		.amdhsa_exception_fp_ieee_underflow 0
		.amdhsa_exception_fp_ieee_inexact 0
		.amdhsa_exception_int_div_zero 0
	.end_amdhsa_kernel
	.section	.text._ZN7rocprim17ROCPRIM_400000_NS6detail17trampoline_kernelINS0_14default_configENS1_25partition_config_selectorILNS1_17partition_subalgoE2EsNS0_10empty_typeEbEEZZNS1_14partition_implILS5_2ELb0ES3_jN6thrust23THRUST_200600_302600_NS6detail15normal_iteratorINSA_7pointerIsNSA_11hip_rocprim3tagENSA_11use_defaultESG_EEEEPS6_NSA_18transform_iteratorI10is_orderedNSA_12zip_iteratorINSA_5tupleINSC_INSA_10device_ptrIsEEEESQ_NSA_9null_typeESR_SR_SR_SR_SR_SR_SR_EEEESG_SG_EENS0_5tupleIJPsSJ_EEENSV_IJSJ_SJ_EEES6_PlJS6_EEE10hipError_tPvRmT3_T4_T5_T6_T7_T9_mT8_P12ihipStream_tbDpT10_ENKUlT_T0_E_clISt17integral_constantIbLb1EES1I_IbLb0EEEEDaS1E_S1F_EUlS1E_E_NS1_11comp_targetILNS1_3genE3ELNS1_11target_archE908ELNS1_3gpuE7ELNS1_3repE0EEENS1_30default_config_static_selectorELNS0_4arch9wavefront6targetE1EEEvT1_,"axG",@progbits,_ZN7rocprim17ROCPRIM_400000_NS6detail17trampoline_kernelINS0_14default_configENS1_25partition_config_selectorILNS1_17partition_subalgoE2EsNS0_10empty_typeEbEEZZNS1_14partition_implILS5_2ELb0ES3_jN6thrust23THRUST_200600_302600_NS6detail15normal_iteratorINSA_7pointerIsNSA_11hip_rocprim3tagENSA_11use_defaultESG_EEEEPS6_NSA_18transform_iteratorI10is_orderedNSA_12zip_iteratorINSA_5tupleINSC_INSA_10device_ptrIsEEEESQ_NSA_9null_typeESR_SR_SR_SR_SR_SR_SR_EEEESG_SG_EENS0_5tupleIJPsSJ_EEENSV_IJSJ_SJ_EEES6_PlJS6_EEE10hipError_tPvRmT3_T4_T5_T6_T7_T9_mT8_P12ihipStream_tbDpT10_ENKUlT_T0_E_clISt17integral_constantIbLb1EES1I_IbLb0EEEEDaS1E_S1F_EUlS1E_E_NS1_11comp_targetILNS1_3genE3ELNS1_11target_archE908ELNS1_3gpuE7ELNS1_3repE0EEENS1_30default_config_static_selectorELNS0_4arch9wavefront6targetE1EEEvT1_,comdat
.Lfunc_end3645:
	.size	_ZN7rocprim17ROCPRIM_400000_NS6detail17trampoline_kernelINS0_14default_configENS1_25partition_config_selectorILNS1_17partition_subalgoE2EsNS0_10empty_typeEbEEZZNS1_14partition_implILS5_2ELb0ES3_jN6thrust23THRUST_200600_302600_NS6detail15normal_iteratorINSA_7pointerIsNSA_11hip_rocprim3tagENSA_11use_defaultESG_EEEEPS6_NSA_18transform_iteratorI10is_orderedNSA_12zip_iteratorINSA_5tupleINSC_INSA_10device_ptrIsEEEESQ_NSA_9null_typeESR_SR_SR_SR_SR_SR_SR_EEEESG_SG_EENS0_5tupleIJPsSJ_EEENSV_IJSJ_SJ_EEES6_PlJS6_EEE10hipError_tPvRmT3_T4_T5_T6_T7_T9_mT8_P12ihipStream_tbDpT10_ENKUlT_T0_E_clISt17integral_constantIbLb1EES1I_IbLb0EEEEDaS1E_S1F_EUlS1E_E_NS1_11comp_targetILNS1_3genE3ELNS1_11target_archE908ELNS1_3gpuE7ELNS1_3repE0EEENS1_30default_config_static_selectorELNS0_4arch9wavefront6targetE1EEEvT1_, .Lfunc_end3645-_ZN7rocprim17ROCPRIM_400000_NS6detail17trampoline_kernelINS0_14default_configENS1_25partition_config_selectorILNS1_17partition_subalgoE2EsNS0_10empty_typeEbEEZZNS1_14partition_implILS5_2ELb0ES3_jN6thrust23THRUST_200600_302600_NS6detail15normal_iteratorINSA_7pointerIsNSA_11hip_rocprim3tagENSA_11use_defaultESG_EEEEPS6_NSA_18transform_iteratorI10is_orderedNSA_12zip_iteratorINSA_5tupleINSC_INSA_10device_ptrIsEEEESQ_NSA_9null_typeESR_SR_SR_SR_SR_SR_SR_EEEESG_SG_EENS0_5tupleIJPsSJ_EEENSV_IJSJ_SJ_EEES6_PlJS6_EEE10hipError_tPvRmT3_T4_T5_T6_T7_T9_mT8_P12ihipStream_tbDpT10_ENKUlT_T0_E_clISt17integral_constantIbLb1EES1I_IbLb0EEEEDaS1E_S1F_EUlS1E_E_NS1_11comp_targetILNS1_3genE3ELNS1_11target_archE908ELNS1_3gpuE7ELNS1_3repE0EEENS1_30default_config_static_selectorELNS0_4arch9wavefront6targetE1EEEvT1_
                                        ; -- End function
	.section	.AMDGPU.csdata,"",@progbits
; Kernel info:
; codeLenInByte = 0
; NumSgprs: 6
; NumVgprs: 0
; NumAgprs: 0
; TotalNumVgprs: 0
; ScratchSize: 0
; MemoryBound: 0
; FloatMode: 240
; IeeeMode: 1
; LDSByteSize: 0 bytes/workgroup (compile time only)
; SGPRBlocks: 0
; VGPRBlocks: 0
; NumSGPRsForWavesPerEU: 6
; NumVGPRsForWavesPerEU: 1
; AccumOffset: 4
; Occupancy: 8
; WaveLimiterHint : 0
; COMPUTE_PGM_RSRC2:SCRATCH_EN: 0
; COMPUTE_PGM_RSRC2:USER_SGPR: 2
; COMPUTE_PGM_RSRC2:TRAP_HANDLER: 0
; COMPUTE_PGM_RSRC2:TGID_X_EN: 1
; COMPUTE_PGM_RSRC2:TGID_Y_EN: 0
; COMPUTE_PGM_RSRC2:TGID_Z_EN: 0
; COMPUTE_PGM_RSRC2:TIDIG_COMP_CNT: 0
; COMPUTE_PGM_RSRC3_GFX90A:ACCUM_OFFSET: 0
; COMPUTE_PGM_RSRC3_GFX90A:TG_SPLIT: 0
	.section	.text._ZN7rocprim17ROCPRIM_400000_NS6detail17trampoline_kernelINS0_14default_configENS1_25partition_config_selectorILNS1_17partition_subalgoE2EsNS0_10empty_typeEbEEZZNS1_14partition_implILS5_2ELb0ES3_jN6thrust23THRUST_200600_302600_NS6detail15normal_iteratorINSA_7pointerIsNSA_11hip_rocprim3tagENSA_11use_defaultESG_EEEEPS6_NSA_18transform_iteratorI10is_orderedNSA_12zip_iteratorINSA_5tupleINSC_INSA_10device_ptrIsEEEESQ_NSA_9null_typeESR_SR_SR_SR_SR_SR_SR_EEEESG_SG_EENS0_5tupleIJPsSJ_EEENSV_IJSJ_SJ_EEES6_PlJS6_EEE10hipError_tPvRmT3_T4_T5_T6_T7_T9_mT8_P12ihipStream_tbDpT10_ENKUlT_T0_E_clISt17integral_constantIbLb1EES1I_IbLb0EEEEDaS1E_S1F_EUlS1E_E_NS1_11comp_targetILNS1_3genE2ELNS1_11target_archE906ELNS1_3gpuE6ELNS1_3repE0EEENS1_30default_config_static_selectorELNS0_4arch9wavefront6targetE1EEEvT1_,"axG",@progbits,_ZN7rocprim17ROCPRIM_400000_NS6detail17trampoline_kernelINS0_14default_configENS1_25partition_config_selectorILNS1_17partition_subalgoE2EsNS0_10empty_typeEbEEZZNS1_14partition_implILS5_2ELb0ES3_jN6thrust23THRUST_200600_302600_NS6detail15normal_iteratorINSA_7pointerIsNSA_11hip_rocprim3tagENSA_11use_defaultESG_EEEEPS6_NSA_18transform_iteratorI10is_orderedNSA_12zip_iteratorINSA_5tupleINSC_INSA_10device_ptrIsEEEESQ_NSA_9null_typeESR_SR_SR_SR_SR_SR_SR_EEEESG_SG_EENS0_5tupleIJPsSJ_EEENSV_IJSJ_SJ_EEES6_PlJS6_EEE10hipError_tPvRmT3_T4_T5_T6_T7_T9_mT8_P12ihipStream_tbDpT10_ENKUlT_T0_E_clISt17integral_constantIbLb1EES1I_IbLb0EEEEDaS1E_S1F_EUlS1E_E_NS1_11comp_targetILNS1_3genE2ELNS1_11target_archE906ELNS1_3gpuE6ELNS1_3repE0EEENS1_30default_config_static_selectorELNS0_4arch9wavefront6targetE1EEEvT1_,comdat
	.protected	_ZN7rocprim17ROCPRIM_400000_NS6detail17trampoline_kernelINS0_14default_configENS1_25partition_config_selectorILNS1_17partition_subalgoE2EsNS0_10empty_typeEbEEZZNS1_14partition_implILS5_2ELb0ES3_jN6thrust23THRUST_200600_302600_NS6detail15normal_iteratorINSA_7pointerIsNSA_11hip_rocprim3tagENSA_11use_defaultESG_EEEEPS6_NSA_18transform_iteratorI10is_orderedNSA_12zip_iteratorINSA_5tupleINSC_INSA_10device_ptrIsEEEESQ_NSA_9null_typeESR_SR_SR_SR_SR_SR_SR_EEEESG_SG_EENS0_5tupleIJPsSJ_EEENSV_IJSJ_SJ_EEES6_PlJS6_EEE10hipError_tPvRmT3_T4_T5_T6_T7_T9_mT8_P12ihipStream_tbDpT10_ENKUlT_T0_E_clISt17integral_constantIbLb1EES1I_IbLb0EEEEDaS1E_S1F_EUlS1E_E_NS1_11comp_targetILNS1_3genE2ELNS1_11target_archE906ELNS1_3gpuE6ELNS1_3repE0EEENS1_30default_config_static_selectorELNS0_4arch9wavefront6targetE1EEEvT1_ ; -- Begin function _ZN7rocprim17ROCPRIM_400000_NS6detail17trampoline_kernelINS0_14default_configENS1_25partition_config_selectorILNS1_17partition_subalgoE2EsNS0_10empty_typeEbEEZZNS1_14partition_implILS5_2ELb0ES3_jN6thrust23THRUST_200600_302600_NS6detail15normal_iteratorINSA_7pointerIsNSA_11hip_rocprim3tagENSA_11use_defaultESG_EEEEPS6_NSA_18transform_iteratorI10is_orderedNSA_12zip_iteratorINSA_5tupleINSC_INSA_10device_ptrIsEEEESQ_NSA_9null_typeESR_SR_SR_SR_SR_SR_SR_EEEESG_SG_EENS0_5tupleIJPsSJ_EEENSV_IJSJ_SJ_EEES6_PlJS6_EEE10hipError_tPvRmT3_T4_T5_T6_T7_T9_mT8_P12ihipStream_tbDpT10_ENKUlT_T0_E_clISt17integral_constantIbLb1EES1I_IbLb0EEEEDaS1E_S1F_EUlS1E_E_NS1_11comp_targetILNS1_3genE2ELNS1_11target_archE906ELNS1_3gpuE6ELNS1_3repE0EEENS1_30default_config_static_selectorELNS0_4arch9wavefront6targetE1EEEvT1_
	.globl	_ZN7rocprim17ROCPRIM_400000_NS6detail17trampoline_kernelINS0_14default_configENS1_25partition_config_selectorILNS1_17partition_subalgoE2EsNS0_10empty_typeEbEEZZNS1_14partition_implILS5_2ELb0ES3_jN6thrust23THRUST_200600_302600_NS6detail15normal_iteratorINSA_7pointerIsNSA_11hip_rocprim3tagENSA_11use_defaultESG_EEEEPS6_NSA_18transform_iteratorI10is_orderedNSA_12zip_iteratorINSA_5tupleINSC_INSA_10device_ptrIsEEEESQ_NSA_9null_typeESR_SR_SR_SR_SR_SR_SR_EEEESG_SG_EENS0_5tupleIJPsSJ_EEENSV_IJSJ_SJ_EEES6_PlJS6_EEE10hipError_tPvRmT3_T4_T5_T6_T7_T9_mT8_P12ihipStream_tbDpT10_ENKUlT_T0_E_clISt17integral_constantIbLb1EES1I_IbLb0EEEEDaS1E_S1F_EUlS1E_E_NS1_11comp_targetILNS1_3genE2ELNS1_11target_archE906ELNS1_3gpuE6ELNS1_3repE0EEENS1_30default_config_static_selectorELNS0_4arch9wavefront6targetE1EEEvT1_
	.p2align	8
	.type	_ZN7rocprim17ROCPRIM_400000_NS6detail17trampoline_kernelINS0_14default_configENS1_25partition_config_selectorILNS1_17partition_subalgoE2EsNS0_10empty_typeEbEEZZNS1_14partition_implILS5_2ELb0ES3_jN6thrust23THRUST_200600_302600_NS6detail15normal_iteratorINSA_7pointerIsNSA_11hip_rocprim3tagENSA_11use_defaultESG_EEEEPS6_NSA_18transform_iteratorI10is_orderedNSA_12zip_iteratorINSA_5tupleINSC_INSA_10device_ptrIsEEEESQ_NSA_9null_typeESR_SR_SR_SR_SR_SR_SR_EEEESG_SG_EENS0_5tupleIJPsSJ_EEENSV_IJSJ_SJ_EEES6_PlJS6_EEE10hipError_tPvRmT3_T4_T5_T6_T7_T9_mT8_P12ihipStream_tbDpT10_ENKUlT_T0_E_clISt17integral_constantIbLb1EES1I_IbLb0EEEEDaS1E_S1F_EUlS1E_E_NS1_11comp_targetILNS1_3genE2ELNS1_11target_archE906ELNS1_3gpuE6ELNS1_3repE0EEENS1_30default_config_static_selectorELNS0_4arch9wavefront6targetE1EEEvT1_,@function
_ZN7rocprim17ROCPRIM_400000_NS6detail17trampoline_kernelINS0_14default_configENS1_25partition_config_selectorILNS1_17partition_subalgoE2EsNS0_10empty_typeEbEEZZNS1_14partition_implILS5_2ELb0ES3_jN6thrust23THRUST_200600_302600_NS6detail15normal_iteratorINSA_7pointerIsNSA_11hip_rocprim3tagENSA_11use_defaultESG_EEEEPS6_NSA_18transform_iteratorI10is_orderedNSA_12zip_iteratorINSA_5tupleINSC_INSA_10device_ptrIsEEEESQ_NSA_9null_typeESR_SR_SR_SR_SR_SR_SR_EEEESG_SG_EENS0_5tupleIJPsSJ_EEENSV_IJSJ_SJ_EEES6_PlJS6_EEE10hipError_tPvRmT3_T4_T5_T6_T7_T9_mT8_P12ihipStream_tbDpT10_ENKUlT_T0_E_clISt17integral_constantIbLb1EES1I_IbLb0EEEEDaS1E_S1F_EUlS1E_E_NS1_11comp_targetILNS1_3genE2ELNS1_11target_archE906ELNS1_3gpuE6ELNS1_3repE0EEENS1_30default_config_static_selectorELNS0_4arch9wavefront6targetE1EEEvT1_: ; @_ZN7rocprim17ROCPRIM_400000_NS6detail17trampoline_kernelINS0_14default_configENS1_25partition_config_selectorILNS1_17partition_subalgoE2EsNS0_10empty_typeEbEEZZNS1_14partition_implILS5_2ELb0ES3_jN6thrust23THRUST_200600_302600_NS6detail15normal_iteratorINSA_7pointerIsNSA_11hip_rocprim3tagENSA_11use_defaultESG_EEEEPS6_NSA_18transform_iteratorI10is_orderedNSA_12zip_iteratorINSA_5tupleINSC_INSA_10device_ptrIsEEEESQ_NSA_9null_typeESR_SR_SR_SR_SR_SR_SR_EEEESG_SG_EENS0_5tupleIJPsSJ_EEENSV_IJSJ_SJ_EEES6_PlJS6_EEE10hipError_tPvRmT3_T4_T5_T6_T7_T9_mT8_P12ihipStream_tbDpT10_ENKUlT_T0_E_clISt17integral_constantIbLb1EES1I_IbLb0EEEEDaS1E_S1F_EUlS1E_E_NS1_11comp_targetILNS1_3genE2ELNS1_11target_archE906ELNS1_3gpuE6ELNS1_3repE0EEENS1_30default_config_static_selectorELNS0_4arch9wavefront6targetE1EEEvT1_
; %bb.0:
	.section	.rodata,"a",@progbits
	.p2align	6, 0x0
	.amdhsa_kernel _ZN7rocprim17ROCPRIM_400000_NS6detail17trampoline_kernelINS0_14default_configENS1_25partition_config_selectorILNS1_17partition_subalgoE2EsNS0_10empty_typeEbEEZZNS1_14partition_implILS5_2ELb0ES3_jN6thrust23THRUST_200600_302600_NS6detail15normal_iteratorINSA_7pointerIsNSA_11hip_rocprim3tagENSA_11use_defaultESG_EEEEPS6_NSA_18transform_iteratorI10is_orderedNSA_12zip_iteratorINSA_5tupleINSC_INSA_10device_ptrIsEEEESQ_NSA_9null_typeESR_SR_SR_SR_SR_SR_SR_EEEESG_SG_EENS0_5tupleIJPsSJ_EEENSV_IJSJ_SJ_EEES6_PlJS6_EEE10hipError_tPvRmT3_T4_T5_T6_T7_T9_mT8_P12ihipStream_tbDpT10_ENKUlT_T0_E_clISt17integral_constantIbLb1EES1I_IbLb0EEEEDaS1E_S1F_EUlS1E_E_NS1_11comp_targetILNS1_3genE2ELNS1_11target_archE906ELNS1_3gpuE6ELNS1_3repE0EEENS1_30default_config_static_selectorELNS0_4arch9wavefront6targetE1EEEvT1_
		.amdhsa_group_segment_fixed_size 0
		.amdhsa_private_segment_fixed_size 0
		.amdhsa_kernarg_size 136
		.amdhsa_user_sgpr_count 2
		.amdhsa_user_sgpr_dispatch_ptr 0
		.amdhsa_user_sgpr_queue_ptr 0
		.amdhsa_user_sgpr_kernarg_segment_ptr 1
		.amdhsa_user_sgpr_dispatch_id 0
		.amdhsa_user_sgpr_kernarg_preload_length 0
		.amdhsa_user_sgpr_kernarg_preload_offset 0
		.amdhsa_user_sgpr_private_segment_size 0
		.amdhsa_uses_dynamic_stack 0
		.amdhsa_enable_private_segment 0
		.amdhsa_system_sgpr_workgroup_id_x 1
		.amdhsa_system_sgpr_workgroup_id_y 0
		.amdhsa_system_sgpr_workgroup_id_z 0
		.amdhsa_system_sgpr_workgroup_info 0
		.amdhsa_system_vgpr_workitem_id 0
		.amdhsa_next_free_vgpr 1
		.amdhsa_next_free_sgpr 0
		.amdhsa_accum_offset 4
		.amdhsa_reserve_vcc 0
		.amdhsa_float_round_mode_32 0
		.amdhsa_float_round_mode_16_64 0
		.amdhsa_float_denorm_mode_32 3
		.amdhsa_float_denorm_mode_16_64 3
		.amdhsa_dx10_clamp 1
		.amdhsa_ieee_mode 1
		.amdhsa_fp16_overflow 0
		.amdhsa_tg_split 0
		.amdhsa_exception_fp_ieee_invalid_op 0
		.amdhsa_exception_fp_denorm_src 0
		.amdhsa_exception_fp_ieee_div_zero 0
		.amdhsa_exception_fp_ieee_overflow 0
		.amdhsa_exception_fp_ieee_underflow 0
		.amdhsa_exception_fp_ieee_inexact 0
		.amdhsa_exception_int_div_zero 0
	.end_amdhsa_kernel
	.section	.text._ZN7rocprim17ROCPRIM_400000_NS6detail17trampoline_kernelINS0_14default_configENS1_25partition_config_selectorILNS1_17partition_subalgoE2EsNS0_10empty_typeEbEEZZNS1_14partition_implILS5_2ELb0ES3_jN6thrust23THRUST_200600_302600_NS6detail15normal_iteratorINSA_7pointerIsNSA_11hip_rocprim3tagENSA_11use_defaultESG_EEEEPS6_NSA_18transform_iteratorI10is_orderedNSA_12zip_iteratorINSA_5tupleINSC_INSA_10device_ptrIsEEEESQ_NSA_9null_typeESR_SR_SR_SR_SR_SR_SR_EEEESG_SG_EENS0_5tupleIJPsSJ_EEENSV_IJSJ_SJ_EEES6_PlJS6_EEE10hipError_tPvRmT3_T4_T5_T6_T7_T9_mT8_P12ihipStream_tbDpT10_ENKUlT_T0_E_clISt17integral_constantIbLb1EES1I_IbLb0EEEEDaS1E_S1F_EUlS1E_E_NS1_11comp_targetILNS1_3genE2ELNS1_11target_archE906ELNS1_3gpuE6ELNS1_3repE0EEENS1_30default_config_static_selectorELNS0_4arch9wavefront6targetE1EEEvT1_,"axG",@progbits,_ZN7rocprim17ROCPRIM_400000_NS6detail17trampoline_kernelINS0_14default_configENS1_25partition_config_selectorILNS1_17partition_subalgoE2EsNS0_10empty_typeEbEEZZNS1_14partition_implILS5_2ELb0ES3_jN6thrust23THRUST_200600_302600_NS6detail15normal_iteratorINSA_7pointerIsNSA_11hip_rocprim3tagENSA_11use_defaultESG_EEEEPS6_NSA_18transform_iteratorI10is_orderedNSA_12zip_iteratorINSA_5tupleINSC_INSA_10device_ptrIsEEEESQ_NSA_9null_typeESR_SR_SR_SR_SR_SR_SR_EEEESG_SG_EENS0_5tupleIJPsSJ_EEENSV_IJSJ_SJ_EEES6_PlJS6_EEE10hipError_tPvRmT3_T4_T5_T6_T7_T9_mT8_P12ihipStream_tbDpT10_ENKUlT_T0_E_clISt17integral_constantIbLb1EES1I_IbLb0EEEEDaS1E_S1F_EUlS1E_E_NS1_11comp_targetILNS1_3genE2ELNS1_11target_archE906ELNS1_3gpuE6ELNS1_3repE0EEENS1_30default_config_static_selectorELNS0_4arch9wavefront6targetE1EEEvT1_,comdat
.Lfunc_end3646:
	.size	_ZN7rocprim17ROCPRIM_400000_NS6detail17trampoline_kernelINS0_14default_configENS1_25partition_config_selectorILNS1_17partition_subalgoE2EsNS0_10empty_typeEbEEZZNS1_14partition_implILS5_2ELb0ES3_jN6thrust23THRUST_200600_302600_NS6detail15normal_iteratorINSA_7pointerIsNSA_11hip_rocprim3tagENSA_11use_defaultESG_EEEEPS6_NSA_18transform_iteratorI10is_orderedNSA_12zip_iteratorINSA_5tupleINSC_INSA_10device_ptrIsEEEESQ_NSA_9null_typeESR_SR_SR_SR_SR_SR_SR_EEEESG_SG_EENS0_5tupleIJPsSJ_EEENSV_IJSJ_SJ_EEES6_PlJS6_EEE10hipError_tPvRmT3_T4_T5_T6_T7_T9_mT8_P12ihipStream_tbDpT10_ENKUlT_T0_E_clISt17integral_constantIbLb1EES1I_IbLb0EEEEDaS1E_S1F_EUlS1E_E_NS1_11comp_targetILNS1_3genE2ELNS1_11target_archE906ELNS1_3gpuE6ELNS1_3repE0EEENS1_30default_config_static_selectorELNS0_4arch9wavefront6targetE1EEEvT1_, .Lfunc_end3646-_ZN7rocprim17ROCPRIM_400000_NS6detail17trampoline_kernelINS0_14default_configENS1_25partition_config_selectorILNS1_17partition_subalgoE2EsNS0_10empty_typeEbEEZZNS1_14partition_implILS5_2ELb0ES3_jN6thrust23THRUST_200600_302600_NS6detail15normal_iteratorINSA_7pointerIsNSA_11hip_rocprim3tagENSA_11use_defaultESG_EEEEPS6_NSA_18transform_iteratorI10is_orderedNSA_12zip_iteratorINSA_5tupleINSC_INSA_10device_ptrIsEEEESQ_NSA_9null_typeESR_SR_SR_SR_SR_SR_SR_EEEESG_SG_EENS0_5tupleIJPsSJ_EEENSV_IJSJ_SJ_EEES6_PlJS6_EEE10hipError_tPvRmT3_T4_T5_T6_T7_T9_mT8_P12ihipStream_tbDpT10_ENKUlT_T0_E_clISt17integral_constantIbLb1EES1I_IbLb0EEEEDaS1E_S1F_EUlS1E_E_NS1_11comp_targetILNS1_3genE2ELNS1_11target_archE906ELNS1_3gpuE6ELNS1_3repE0EEENS1_30default_config_static_selectorELNS0_4arch9wavefront6targetE1EEEvT1_
                                        ; -- End function
	.section	.AMDGPU.csdata,"",@progbits
; Kernel info:
; codeLenInByte = 0
; NumSgprs: 6
; NumVgprs: 0
; NumAgprs: 0
; TotalNumVgprs: 0
; ScratchSize: 0
; MemoryBound: 0
; FloatMode: 240
; IeeeMode: 1
; LDSByteSize: 0 bytes/workgroup (compile time only)
; SGPRBlocks: 0
; VGPRBlocks: 0
; NumSGPRsForWavesPerEU: 6
; NumVGPRsForWavesPerEU: 1
; AccumOffset: 4
; Occupancy: 8
; WaveLimiterHint : 0
; COMPUTE_PGM_RSRC2:SCRATCH_EN: 0
; COMPUTE_PGM_RSRC2:USER_SGPR: 2
; COMPUTE_PGM_RSRC2:TRAP_HANDLER: 0
; COMPUTE_PGM_RSRC2:TGID_X_EN: 1
; COMPUTE_PGM_RSRC2:TGID_Y_EN: 0
; COMPUTE_PGM_RSRC2:TGID_Z_EN: 0
; COMPUTE_PGM_RSRC2:TIDIG_COMP_CNT: 0
; COMPUTE_PGM_RSRC3_GFX90A:ACCUM_OFFSET: 0
; COMPUTE_PGM_RSRC3_GFX90A:TG_SPLIT: 0
	.section	.text._ZN7rocprim17ROCPRIM_400000_NS6detail17trampoline_kernelINS0_14default_configENS1_25partition_config_selectorILNS1_17partition_subalgoE2EsNS0_10empty_typeEbEEZZNS1_14partition_implILS5_2ELb0ES3_jN6thrust23THRUST_200600_302600_NS6detail15normal_iteratorINSA_7pointerIsNSA_11hip_rocprim3tagENSA_11use_defaultESG_EEEEPS6_NSA_18transform_iteratorI10is_orderedNSA_12zip_iteratorINSA_5tupleINSC_INSA_10device_ptrIsEEEESQ_NSA_9null_typeESR_SR_SR_SR_SR_SR_SR_EEEESG_SG_EENS0_5tupleIJPsSJ_EEENSV_IJSJ_SJ_EEES6_PlJS6_EEE10hipError_tPvRmT3_T4_T5_T6_T7_T9_mT8_P12ihipStream_tbDpT10_ENKUlT_T0_E_clISt17integral_constantIbLb1EES1I_IbLb0EEEEDaS1E_S1F_EUlS1E_E_NS1_11comp_targetILNS1_3genE10ELNS1_11target_archE1200ELNS1_3gpuE4ELNS1_3repE0EEENS1_30default_config_static_selectorELNS0_4arch9wavefront6targetE1EEEvT1_,"axG",@progbits,_ZN7rocprim17ROCPRIM_400000_NS6detail17trampoline_kernelINS0_14default_configENS1_25partition_config_selectorILNS1_17partition_subalgoE2EsNS0_10empty_typeEbEEZZNS1_14partition_implILS5_2ELb0ES3_jN6thrust23THRUST_200600_302600_NS6detail15normal_iteratorINSA_7pointerIsNSA_11hip_rocprim3tagENSA_11use_defaultESG_EEEEPS6_NSA_18transform_iteratorI10is_orderedNSA_12zip_iteratorINSA_5tupleINSC_INSA_10device_ptrIsEEEESQ_NSA_9null_typeESR_SR_SR_SR_SR_SR_SR_EEEESG_SG_EENS0_5tupleIJPsSJ_EEENSV_IJSJ_SJ_EEES6_PlJS6_EEE10hipError_tPvRmT3_T4_T5_T6_T7_T9_mT8_P12ihipStream_tbDpT10_ENKUlT_T0_E_clISt17integral_constantIbLb1EES1I_IbLb0EEEEDaS1E_S1F_EUlS1E_E_NS1_11comp_targetILNS1_3genE10ELNS1_11target_archE1200ELNS1_3gpuE4ELNS1_3repE0EEENS1_30default_config_static_selectorELNS0_4arch9wavefront6targetE1EEEvT1_,comdat
	.protected	_ZN7rocprim17ROCPRIM_400000_NS6detail17trampoline_kernelINS0_14default_configENS1_25partition_config_selectorILNS1_17partition_subalgoE2EsNS0_10empty_typeEbEEZZNS1_14partition_implILS5_2ELb0ES3_jN6thrust23THRUST_200600_302600_NS6detail15normal_iteratorINSA_7pointerIsNSA_11hip_rocprim3tagENSA_11use_defaultESG_EEEEPS6_NSA_18transform_iteratorI10is_orderedNSA_12zip_iteratorINSA_5tupleINSC_INSA_10device_ptrIsEEEESQ_NSA_9null_typeESR_SR_SR_SR_SR_SR_SR_EEEESG_SG_EENS0_5tupleIJPsSJ_EEENSV_IJSJ_SJ_EEES6_PlJS6_EEE10hipError_tPvRmT3_T4_T5_T6_T7_T9_mT8_P12ihipStream_tbDpT10_ENKUlT_T0_E_clISt17integral_constantIbLb1EES1I_IbLb0EEEEDaS1E_S1F_EUlS1E_E_NS1_11comp_targetILNS1_3genE10ELNS1_11target_archE1200ELNS1_3gpuE4ELNS1_3repE0EEENS1_30default_config_static_selectorELNS0_4arch9wavefront6targetE1EEEvT1_ ; -- Begin function _ZN7rocprim17ROCPRIM_400000_NS6detail17trampoline_kernelINS0_14default_configENS1_25partition_config_selectorILNS1_17partition_subalgoE2EsNS0_10empty_typeEbEEZZNS1_14partition_implILS5_2ELb0ES3_jN6thrust23THRUST_200600_302600_NS6detail15normal_iteratorINSA_7pointerIsNSA_11hip_rocprim3tagENSA_11use_defaultESG_EEEEPS6_NSA_18transform_iteratorI10is_orderedNSA_12zip_iteratorINSA_5tupleINSC_INSA_10device_ptrIsEEEESQ_NSA_9null_typeESR_SR_SR_SR_SR_SR_SR_EEEESG_SG_EENS0_5tupleIJPsSJ_EEENSV_IJSJ_SJ_EEES6_PlJS6_EEE10hipError_tPvRmT3_T4_T5_T6_T7_T9_mT8_P12ihipStream_tbDpT10_ENKUlT_T0_E_clISt17integral_constantIbLb1EES1I_IbLb0EEEEDaS1E_S1F_EUlS1E_E_NS1_11comp_targetILNS1_3genE10ELNS1_11target_archE1200ELNS1_3gpuE4ELNS1_3repE0EEENS1_30default_config_static_selectorELNS0_4arch9wavefront6targetE1EEEvT1_
	.globl	_ZN7rocprim17ROCPRIM_400000_NS6detail17trampoline_kernelINS0_14default_configENS1_25partition_config_selectorILNS1_17partition_subalgoE2EsNS0_10empty_typeEbEEZZNS1_14partition_implILS5_2ELb0ES3_jN6thrust23THRUST_200600_302600_NS6detail15normal_iteratorINSA_7pointerIsNSA_11hip_rocprim3tagENSA_11use_defaultESG_EEEEPS6_NSA_18transform_iteratorI10is_orderedNSA_12zip_iteratorINSA_5tupleINSC_INSA_10device_ptrIsEEEESQ_NSA_9null_typeESR_SR_SR_SR_SR_SR_SR_EEEESG_SG_EENS0_5tupleIJPsSJ_EEENSV_IJSJ_SJ_EEES6_PlJS6_EEE10hipError_tPvRmT3_T4_T5_T6_T7_T9_mT8_P12ihipStream_tbDpT10_ENKUlT_T0_E_clISt17integral_constantIbLb1EES1I_IbLb0EEEEDaS1E_S1F_EUlS1E_E_NS1_11comp_targetILNS1_3genE10ELNS1_11target_archE1200ELNS1_3gpuE4ELNS1_3repE0EEENS1_30default_config_static_selectorELNS0_4arch9wavefront6targetE1EEEvT1_
	.p2align	8
	.type	_ZN7rocprim17ROCPRIM_400000_NS6detail17trampoline_kernelINS0_14default_configENS1_25partition_config_selectorILNS1_17partition_subalgoE2EsNS0_10empty_typeEbEEZZNS1_14partition_implILS5_2ELb0ES3_jN6thrust23THRUST_200600_302600_NS6detail15normal_iteratorINSA_7pointerIsNSA_11hip_rocprim3tagENSA_11use_defaultESG_EEEEPS6_NSA_18transform_iteratorI10is_orderedNSA_12zip_iteratorINSA_5tupleINSC_INSA_10device_ptrIsEEEESQ_NSA_9null_typeESR_SR_SR_SR_SR_SR_SR_EEEESG_SG_EENS0_5tupleIJPsSJ_EEENSV_IJSJ_SJ_EEES6_PlJS6_EEE10hipError_tPvRmT3_T4_T5_T6_T7_T9_mT8_P12ihipStream_tbDpT10_ENKUlT_T0_E_clISt17integral_constantIbLb1EES1I_IbLb0EEEEDaS1E_S1F_EUlS1E_E_NS1_11comp_targetILNS1_3genE10ELNS1_11target_archE1200ELNS1_3gpuE4ELNS1_3repE0EEENS1_30default_config_static_selectorELNS0_4arch9wavefront6targetE1EEEvT1_,@function
_ZN7rocprim17ROCPRIM_400000_NS6detail17trampoline_kernelINS0_14default_configENS1_25partition_config_selectorILNS1_17partition_subalgoE2EsNS0_10empty_typeEbEEZZNS1_14partition_implILS5_2ELb0ES3_jN6thrust23THRUST_200600_302600_NS6detail15normal_iteratorINSA_7pointerIsNSA_11hip_rocprim3tagENSA_11use_defaultESG_EEEEPS6_NSA_18transform_iteratorI10is_orderedNSA_12zip_iteratorINSA_5tupleINSC_INSA_10device_ptrIsEEEESQ_NSA_9null_typeESR_SR_SR_SR_SR_SR_SR_EEEESG_SG_EENS0_5tupleIJPsSJ_EEENSV_IJSJ_SJ_EEES6_PlJS6_EEE10hipError_tPvRmT3_T4_T5_T6_T7_T9_mT8_P12ihipStream_tbDpT10_ENKUlT_T0_E_clISt17integral_constantIbLb1EES1I_IbLb0EEEEDaS1E_S1F_EUlS1E_E_NS1_11comp_targetILNS1_3genE10ELNS1_11target_archE1200ELNS1_3gpuE4ELNS1_3repE0EEENS1_30default_config_static_selectorELNS0_4arch9wavefront6targetE1EEEvT1_: ; @_ZN7rocprim17ROCPRIM_400000_NS6detail17trampoline_kernelINS0_14default_configENS1_25partition_config_selectorILNS1_17partition_subalgoE2EsNS0_10empty_typeEbEEZZNS1_14partition_implILS5_2ELb0ES3_jN6thrust23THRUST_200600_302600_NS6detail15normal_iteratorINSA_7pointerIsNSA_11hip_rocprim3tagENSA_11use_defaultESG_EEEEPS6_NSA_18transform_iteratorI10is_orderedNSA_12zip_iteratorINSA_5tupleINSC_INSA_10device_ptrIsEEEESQ_NSA_9null_typeESR_SR_SR_SR_SR_SR_SR_EEEESG_SG_EENS0_5tupleIJPsSJ_EEENSV_IJSJ_SJ_EEES6_PlJS6_EEE10hipError_tPvRmT3_T4_T5_T6_T7_T9_mT8_P12ihipStream_tbDpT10_ENKUlT_T0_E_clISt17integral_constantIbLb1EES1I_IbLb0EEEEDaS1E_S1F_EUlS1E_E_NS1_11comp_targetILNS1_3genE10ELNS1_11target_archE1200ELNS1_3gpuE4ELNS1_3repE0EEENS1_30default_config_static_selectorELNS0_4arch9wavefront6targetE1EEEvT1_
; %bb.0:
	.section	.rodata,"a",@progbits
	.p2align	6, 0x0
	.amdhsa_kernel _ZN7rocprim17ROCPRIM_400000_NS6detail17trampoline_kernelINS0_14default_configENS1_25partition_config_selectorILNS1_17partition_subalgoE2EsNS0_10empty_typeEbEEZZNS1_14partition_implILS5_2ELb0ES3_jN6thrust23THRUST_200600_302600_NS6detail15normal_iteratorINSA_7pointerIsNSA_11hip_rocprim3tagENSA_11use_defaultESG_EEEEPS6_NSA_18transform_iteratorI10is_orderedNSA_12zip_iteratorINSA_5tupleINSC_INSA_10device_ptrIsEEEESQ_NSA_9null_typeESR_SR_SR_SR_SR_SR_SR_EEEESG_SG_EENS0_5tupleIJPsSJ_EEENSV_IJSJ_SJ_EEES6_PlJS6_EEE10hipError_tPvRmT3_T4_T5_T6_T7_T9_mT8_P12ihipStream_tbDpT10_ENKUlT_T0_E_clISt17integral_constantIbLb1EES1I_IbLb0EEEEDaS1E_S1F_EUlS1E_E_NS1_11comp_targetILNS1_3genE10ELNS1_11target_archE1200ELNS1_3gpuE4ELNS1_3repE0EEENS1_30default_config_static_selectorELNS0_4arch9wavefront6targetE1EEEvT1_
		.amdhsa_group_segment_fixed_size 0
		.amdhsa_private_segment_fixed_size 0
		.amdhsa_kernarg_size 136
		.amdhsa_user_sgpr_count 2
		.amdhsa_user_sgpr_dispatch_ptr 0
		.amdhsa_user_sgpr_queue_ptr 0
		.amdhsa_user_sgpr_kernarg_segment_ptr 1
		.amdhsa_user_sgpr_dispatch_id 0
		.amdhsa_user_sgpr_kernarg_preload_length 0
		.amdhsa_user_sgpr_kernarg_preload_offset 0
		.amdhsa_user_sgpr_private_segment_size 0
		.amdhsa_uses_dynamic_stack 0
		.amdhsa_enable_private_segment 0
		.amdhsa_system_sgpr_workgroup_id_x 1
		.amdhsa_system_sgpr_workgroup_id_y 0
		.amdhsa_system_sgpr_workgroup_id_z 0
		.amdhsa_system_sgpr_workgroup_info 0
		.amdhsa_system_vgpr_workitem_id 0
		.amdhsa_next_free_vgpr 1
		.amdhsa_next_free_sgpr 0
		.amdhsa_accum_offset 4
		.amdhsa_reserve_vcc 0
		.amdhsa_float_round_mode_32 0
		.amdhsa_float_round_mode_16_64 0
		.amdhsa_float_denorm_mode_32 3
		.amdhsa_float_denorm_mode_16_64 3
		.amdhsa_dx10_clamp 1
		.amdhsa_ieee_mode 1
		.amdhsa_fp16_overflow 0
		.amdhsa_tg_split 0
		.amdhsa_exception_fp_ieee_invalid_op 0
		.amdhsa_exception_fp_denorm_src 0
		.amdhsa_exception_fp_ieee_div_zero 0
		.amdhsa_exception_fp_ieee_overflow 0
		.amdhsa_exception_fp_ieee_underflow 0
		.amdhsa_exception_fp_ieee_inexact 0
		.amdhsa_exception_int_div_zero 0
	.end_amdhsa_kernel
	.section	.text._ZN7rocprim17ROCPRIM_400000_NS6detail17trampoline_kernelINS0_14default_configENS1_25partition_config_selectorILNS1_17partition_subalgoE2EsNS0_10empty_typeEbEEZZNS1_14partition_implILS5_2ELb0ES3_jN6thrust23THRUST_200600_302600_NS6detail15normal_iteratorINSA_7pointerIsNSA_11hip_rocprim3tagENSA_11use_defaultESG_EEEEPS6_NSA_18transform_iteratorI10is_orderedNSA_12zip_iteratorINSA_5tupleINSC_INSA_10device_ptrIsEEEESQ_NSA_9null_typeESR_SR_SR_SR_SR_SR_SR_EEEESG_SG_EENS0_5tupleIJPsSJ_EEENSV_IJSJ_SJ_EEES6_PlJS6_EEE10hipError_tPvRmT3_T4_T5_T6_T7_T9_mT8_P12ihipStream_tbDpT10_ENKUlT_T0_E_clISt17integral_constantIbLb1EES1I_IbLb0EEEEDaS1E_S1F_EUlS1E_E_NS1_11comp_targetILNS1_3genE10ELNS1_11target_archE1200ELNS1_3gpuE4ELNS1_3repE0EEENS1_30default_config_static_selectorELNS0_4arch9wavefront6targetE1EEEvT1_,"axG",@progbits,_ZN7rocprim17ROCPRIM_400000_NS6detail17trampoline_kernelINS0_14default_configENS1_25partition_config_selectorILNS1_17partition_subalgoE2EsNS0_10empty_typeEbEEZZNS1_14partition_implILS5_2ELb0ES3_jN6thrust23THRUST_200600_302600_NS6detail15normal_iteratorINSA_7pointerIsNSA_11hip_rocprim3tagENSA_11use_defaultESG_EEEEPS6_NSA_18transform_iteratorI10is_orderedNSA_12zip_iteratorINSA_5tupleINSC_INSA_10device_ptrIsEEEESQ_NSA_9null_typeESR_SR_SR_SR_SR_SR_SR_EEEESG_SG_EENS0_5tupleIJPsSJ_EEENSV_IJSJ_SJ_EEES6_PlJS6_EEE10hipError_tPvRmT3_T4_T5_T6_T7_T9_mT8_P12ihipStream_tbDpT10_ENKUlT_T0_E_clISt17integral_constantIbLb1EES1I_IbLb0EEEEDaS1E_S1F_EUlS1E_E_NS1_11comp_targetILNS1_3genE10ELNS1_11target_archE1200ELNS1_3gpuE4ELNS1_3repE0EEENS1_30default_config_static_selectorELNS0_4arch9wavefront6targetE1EEEvT1_,comdat
.Lfunc_end3647:
	.size	_ZN7rocprim17ROCPRIM_400000_NS6detail17trampoline_kernelINS0_14default_configENS1_25partition_config_selectorILNS1_17partition_subalgoE2EsNS0_10empty_typeEbEEZZNS1_14partition_implILS5_2ELb0ES3_jN6thrust23THRUST_200600_302600_NS6detail15normal_iteratorINSA_7pointerIsNSA_11hip_rocprim3tagENSA_11use_defaultESG_EEEEPS6_NSA_18transform_iteratorI10is_orderedNSA_12zip_iteratorINSA_5tupleINSC_INSA_10device_ptrIsEEEESQ_NSA_9null_typeESR_SR_SR_SR_SR_SR_SR_EEEESG_SG_EENS0_5tupleIJPsSJ_EEENSV_IJSJ_SJ_EEES6_PlJS6_EEE10hipError_tPvRmT3_T4_T5_T6_T7_T9_mT8_P12ihipStream_tbDpT10_ENKUlT_T0_E_clISt17integral_constantIbLb1EES1I_IbLb0EEEEDaS1E_S1F_EUlS1E_E_NS1_11comp_targetILNS1_3genE10ELNS1_11target_archE1200ELNS1_3gpuE4ELNS1_3repE0EEENS1_30default_config_static_selectorELNS0_4arch9wavefront6targetE1EEEvT1_, .Lfunc_end3647-_ZN7rocprim17ROCPRIM_400000_NS6detail17trampoline_kernelINS0_14default_configENS1_25partition_config_selectorILNS1_17partition_subalgoE2EsNS0_10empty_typeEbEEZZNS1_14partition_implILS5_2ELb0ES3_jN6thrust23THRUST_200600_302600_NS6detail15normal_iteratorINSA_7pointerIsNSA_11hip_rocprim3tagENSA_11use_defaultESG_EEEEPS6_NSA_18transform_iteratorI10is_orderedNSA_12zip_iteratorINSA_5tupleINSC_INSA_10device_ptrIsEEEESQ_NSA_9null_typeESR_SR_SR_SR_SR_SR_SR_EEEESG_SG_EENS0_5tupleIJPsSJ_EEENSV_IJSJ_SJ_EEES6_PlJS6_EEE10hipError_tPvRmT3_T4_T5_T6_T7_T9_mT8_P12ihipStream_tbDpT10_ENKUlT_T0_E_clISt17integral_constantIbLb1EES1I_IbLb0EEEEDaS1E_S1F_EUlS1E_E_NS1_11comp_targetILNS1_3genE10ELNS1_11target_archE1200ELNS1_3gpuE4ELNS1_3repE0EEENS1_30default_config_static_selectorELNS0_4arch9wavefront6targetE1EEEvT1_
                                        ; -- End function
	.section	.AMDGPU.csdata,"",@progbits
; Kernel info:
; codeLenInByte = 0
; NumSgprs: 6
; NumVgprs: 0
; NumAgprs: 0
; TotalNumVgprs: 0
; ScratchSize: 0
; MemoryBound: 0
; FloatMode: 240
; IeeeMode: 1
; LDSByteSize: 0 bytes/workgroup (compile time only)
; SGPRBlocks: 0
; VGPRBlocks: 0
; NumSGPRsForWavesPerEU: 6
; NumVGPRsForWavesPerEU: 1
; AccumOffset: 4
; Occupancy: 8
; WaveLimiterHint : 0
; COMPUTE_PGM_RSRC2:SCRATCH_EN: 0
; COMPUTE_PGM_RSRC2:USER_SGPR: 2
; COMPUTE_PGM_RSRC2:TRAP_HANDLER: 0
; COMPUTE_PGM_RSRC2:TGID_X_EN: 1
; COMPUTE_PGM_RSRC2:TGID_Y_EN: 0
; COMPUTE_PGM_RSRC2:TGID_Z_EN: 0
; COMPUTE_PGM_RSRC2:TIDIG_COMP_CNT: 0
; COMPUTE_PGM_RSRC3_GFX90A:ACCUM_OFFSET: 0
; COMPUTE_PGM_RSRC3_GFX90A:TG_SPLIT: 0
	.section	.text._ZN7rocprim17ROCPRIM_400000_NS6detail17trampoline_kernelINS0_14default_configENS1_25partition_config_selectorILNS1_17partition_subalgoE2EsNS0_10empty_typeEbEEZZNS1_14partition_implILS5_2ELb0ES3_jN6thrust23THRUST_200600_302600_NS6detail15normal_iteratorINSA_7pointerIsNSA_11hip_rocprim3tagENSA_11use_defaultESG_EEEEPS6_NSA_18transform_iteratorI10is_orderedNSA_12zip_iteratorINSA_5tupleINSC_INSA_10device_ptrIsEEEESQ_NSA_9null_typeESR_SR_SR_SR_SR_SR_SR_EEEESG_SG_EENS0_5tupleIJPsSJ_EEENSV_IJSJ_SJ_EEES6_PlJS6_EEE10hipError_tPvRmT3_T4_T5_T6_T7_T9_mT8_P12ihipStream_tbDpT10_ENKUlT_T0_E_clISt17integral_constantIbLb1EES1I_IbLb0EEEEDaS1E_S1F_EUlS1E_E_NS1_11comp_targetILNS1_3genE9ELNS1_11target_archE1100ELNS1_3gpuE3ELNS1_3repE0EEENS1_30default_config_static_selectorELNS0_4arch9wavefront6targetE1EEEvT1_,"axG",@progbits,_ZN7rocprim17ROCPRIM_400000_NS6detail17trampoline_kernelINS0_14default_configENS1_25partition_config_selectorILNS1_17partition_subalgoE2EsNS0_10empty_typeEbEEZZNS1_14partition_implILS5_2ELb0ES3_jN6thrust23THRUST_200600_302600_NS6detail15normal_iteratorINSA_7pointerIsNSA_11hip_rocprim3tagENSA_11use_defaultESG_EEEEPS6_NSA_18transform_iteratorI10is_orderedNSA_12zip_iteratorINSA_5tupleINSC_INSA_10device_ptrIsEEEESQ_NSA_9null_typeESR_SR_SR_SR_SR_SR_SR_EEEESG_SG_EENS0_5tupleIJPsSJ_EEENSV_IJSJ_SJ_EEES6_PlJS6_EEE10hipError_tPvRmT3_T4_T5_T6_T7_T9_mT8_P12ihipStream_tbDpT10_ENKUlT_T0_E_clISt17integral_constantIbLb1EES1I_IbLb0EEEEDaS1E_S1F_EUlS1E_E_NS1_11comp_targetILNS1_3genE9ELNS1_11target_archE1100ELNS1_3gpuE3ELNS1_3repE0EEENS1_30default_config_static_selectorELNS0_4arch9wavefront6targetE1EEEvT1_,comdat
	.protected	_ZN7rocprim17ROCPRIM_400000_NS6detail17trampoline_kernelINS0_14default_configENS1_25partition_config_selectorILNS1_17partition_subalgoE2EsNS0_10empty_typeEbEEZZNS1_14partition_implILS5_2ELb0ES3_jN6thrust23THRUST_200600_302600_NS6detail15normal_iteratorINSA_7pointerIsNSA_11hip_rocprim3tagENSA_11use_defaultESG_EEEEPS6_NSA_18transform_iteratorI10is_orderedNSA_12zip_iteratorINSA_5tupleINSC_INSA_10device_ptrIsEEEESQ_NSA_9null_typeESR_SR_SR_SR_SR_SR_SR_EEEESG_SG_EENS0_5tupleIJPsSJ_EEENSV_IJSJ_SJ_EEES6_PlJS6_EEE10hipError_tPvRmT3_T4_T5_T6_T7_T9_mT8_P12ihipStream_tbDpT10_ENKUlT_T0_E_clISt17integral_constantIbLb1EES1I_IbLb0EEEEDaS1E_S1F_EUlS1E_E_NS1_11comp_targetILNS1_3genE9ELNS1_11target_archE1100ELNS1_3gpuE3ELNS1_3repE0EEENS1_30default_config_static_selectorELNS0_4arch9wavefront6targetE1EEEvT1_ ; -- Begin function _ZN7rocprim17ROCPRIM_400000_NS6detail17trampoline_kernelINS0_14default_configENS1_25partition_config_selectorILNS1_17partition_subalgoE2EsNS0_10empty_typeEbEEZZNS1_14partition_implILS5_2ELb0ES3_jN6thrust23THRUST_200600_302600_NS6detail15normal_iteratorINSA_7pointerIsNSA_11hip_rocprim3tagENSA_11use_defaultESG_EEEEPS6_NSA_18transform_iteratorI10is_orderedNSA_12zip_iteratorINSA_5tupleINSC_INSA_10device_ptrIsEEEESQ_NSA_9null_typeESR_SR_SR_SR_SR_SR_SR_EEEESG_SG_EENS0_5tupleIJPsSJ_EEENSV_IJSJ_SJ_EEES6_PlJS6_EEE10hipError_tPvRmT3_T4_T5_T6_T7_T9_mT8_P12ihipStream_tbDpT10_ENKUlT_T0_E_clISt17integral_constantIbLb1EES1I_IbLb0EEEEDaS1E_S1F_EUlS1E_E_NS1_11comp_targetILNS1_3genE9ELNS1_11target_archE1100ELNS1_3gpuE3ELNS1_3repE0EEENS1_30default_config_static_selectorELNS0_4arch9wavefront6targetE1EEEvT1_
	.globl	_ZN7rocprim17ROCPRIM_400000_NS6detail17trampoline_kernelINS0_14default_configENS1_25partition_config_selectorILNS1_17partition_subalgoE2EsNS0_10empty_typeEbEEZZNS1_14partition_implILS5_2ELb0ES3_jN6thrust23THRUST_200600_302600_NS6detail15normal_iteratorINSA_7pointerIsNSA_11hip_rocprim3tagENSA_11use_defaultESG_EEEEPS6_NSA_18transform_iteratorI10is_orderedNSA_12zip_iteratorINSA_5tupleINSC_INSA_10device_ptrIsEEEESQ_NSA_9null_typeESR_SR_SR_SR_SR_SR_SR_EEEESG_SG_EENS0_5tupleIJPsSJ_EEENSV_IJSJ_SJ_EEES6_PlJS6_EEE10hipError_tPvRmT3_T4_T5_T6_T7_T9_mT8_P12ihipStream_tbDpT10_ENKUlT_T0_E_clISt17integral_constantIbLb1EES1I_IbLb0EEEEDaS1E_S1F_EUlS1E_E_NS1_11comp_targetILNS1_3genE9ELNS1_11target_archE1100ELNS1_3gpuE3ELNS1_3repE0EEENS1_30default_config_static_selectorELNS0_4arch9wavefront6targetE1EEEvT1_
	.p2align	8
	.type	_ZN7rocprim17ROCPRIM_400000_NS6detail17trampoline_kernelINS0_14default_configENS1_25partition_config_selectorILNS1_17partition_subalgoE2EsNS0_10empty_typeEbEEZZNS1_14partition_implILS5_2ELb0ES3_jN6thrust23THRUST_200600_302600_NS6detail15normal_iteratorINSA_7pointerIsNSA_11hip_rocprim3tagENSA_11use_defaultESG_EEEEPS6_NSA_18transform_iteratorI10is_orderedNSA_12zip_iteratorINSA_5tupleINSC_INSA_10device_ptrIsEEEESQ_NSA_9null_typeESR_SR_SR_SR_SR_SR_SR_EEEESG_SG_EENS0_5tupleIJPsSJ_EEENSV_IJSJ_SJ_EEES6_PlJS6_EEE10hipError_tPvRmT3_T4_T5_T6_T7_T9_mT8_P12ihipStream_tbDpT10_ENKUlT_T0_E_clISt17integral_constantIbLb1EES1I_IbLb0EEEEDaS1E_S1F_EUlS1E_E_NS1_11comp_targetILNS1_3genE9ELNS1_11target_archE1100ELNS1_3gpuE3ELNS1_3repE0EEENS1_30default_config_static_selectorELNS0_4arch9wavefront6targetE1EEEvT1_,@function
_ZN7rocprim17ROCPRIM_400000_NS6detail17trampoline_kernelINS0_14default_configENS1_25partition_config_selectorILNS1_17partition_subalgoE2EsNS0_10empty_typeEbEEZZNS1_14partition_implILS5_2ELb0ES3_jN6thrust23THRUST_200600_302600_NS6detail15normal_iteratorINSA_7pointerIsNSA_11hip_rocprim3tagENSA_11use_defaultESG_EEEEPS6_NSA_18transform_iteratorI10is_orderedNSA_12zip_iteratorINSA_5tupleINSC_INSA_10device_ptrIsEEEESQ_NSA_9null_typeESR_SR_SR_SR_SR_SR_SR_EEEESG_SG_EENS0_5tupleIJPsSJ_EEENSV_IJSJ_SJ_EEES6_PlJS6_EEE10hipError_tPvRmT3_T4_T5_T6_T7_T9_mT8_P12ihipStream_tbDpT10_ENKUlT_T0_E_clISt17integral_constantIbLb1EES1I_IbLb0EEEEDaS1E_S1F_EUlS1E_E_NS1_11comp_targetILNS1_3genE9ELNS1_11target_archE1100ELNS1_3gpuE3ELNS1_3repE0EEENS1_30default_config_static_selectorELNS0_4arch9wavefront6targetE1EEEvT1_: ; @_ZN7rocprim17ROCPRIM_400000_NS6detail17trampoline_kernelINS0_14default_configENS1_25partition_config_selectorILNS1_17partition_subalgoE2EsNS0_10empty_typeEbEEZZNS1_14partition_implILS5_2ELb0ES3_jN6thrust23THRUST_200600_302600_NS6detail15normal_iteratorINSA_7pointerIsNSA_11hip_rocprim3tagENSA_11use_defaultESG_EEEEPS6_NSA_18transform_iteratorI10is_orderedNSA_12zip_iteratorINSA_5tupleINSC_INSA_10device_ptrIsEEEESQ_NSA_9null_typeESR_SR_SR_SR_SR_SR_SR_EEEESG_SG_EENS0_5tupleIJPsSJ_EEENSV_IJSJ_SJ_EEES6_PlJS6_EEE10hipError_tPvRmT3_T4_T5_T6_T7_T9_mT8_P12ihipStream_tbDpT10_ENKUlT_T0_E_clISt17integral_constantIbLb1EES1I_IbLb0EEEEDaS1E_S1F_EUlS1E_E_NS1_11comp_targetILNS1_3genE9ELNS1_11target_archE1100ELNS1_3gpuE3ELNS1_3repE0EEENS1_30default_config_static_selectorELNS0_4arch9wavefront6targetE1EEEvT1_
; %bb.0:
	.section	.rodata,"a",@progbits
	.p2align	6, 0x0
	.amdhsa_kernel _ZN7rocprim17ROCPRIM_400000_NS6detail17trampoline_kernelINS0_14default_configENS1_25partition_config_selectorILNS1_17partition_subalgoE2EsNS0_10empty_typeEbEEZZNS1_14partition_implILS5_2ELb0ES3_jN6thrust23THRUST_200600_302600_NS6detail15normal_iteratorINSA_7pointerIsNSA_11hip_rocprim3tagENSA_11use_defaultESG_EEEEPS6_NSA_18transform_iteratorI10is_orderedNSA_12zip_iteratorINSA_5tupleINSC_INSA_10device_ptrIsEEEESQ_NSA_9null_typeESR_SR_SR_SR_SR_SR_SR_EEEESG_SG_EENS0_5tupleIJPsSJ_EEENSV_IJSJ_SJ_EEES6_PlJS6_EEE10hipError_tPvRmT3_T4_T5_T6_T7_T9_mT8_P12ihipStream_tbDpT10_ENKUlT_T0_E_clISt17integral_constantIbLb1EES1I_IbLb0EEEEDaS1E_S1F_EUlS1E_E_NS1_11comp_targetILNS1_3genE9ELNS1_11target_archE1100ELNS1_3gpuE3ELNS1_3repE0EEENS1_30default_config_static_selectorELNS0_4arch9wavefront6targetE1EEEvT1_
		.amdhsa_group_segment_fixed_size 0
		.amdhsa_private_segment_fixed_size 0
		.amdhsa_kernarg_size 136
		.amdhsa_user_sgpr_count 2
		.amdhsa_user_sgpr_dispatch_ptr 0
		.amdhsa_user_sgpr_queue_ptr 0
		.amdhsa_user_sgpr_kernarg_segment_ptr 1
		.amdhsa_user_sgpr_dispatch_id 0
		.amdhsa_user_sgpr_kernarg_preload_length 0
		.amdhsa_user_sgpr_kernarg_preload_offset 0
		.amdhsa_user_sgpr_private_segment_size 0
		.amdhsa_uses_dynamic_stack 0
		.amdhsa_enable_private_segment 0
		.amdhsa_system_sgpr_workgroup_id_x 1
		.amdhsa_system_sgpr_workgroup_id_y 0
		.amdhsa_system_sgpr_workgroup_id_z 0
		.amdhsa_system_sgpr_workgroup_info 0
		.amdhsa_system_vgpr_workitem_id 0
		.amdhsa_next_free_vgpr 1
		.amdhsa_next_free_sgpr 0
		.amdhsa_accum_offset 4
		.amdhsa_reserve_vcc 0
		.amdhsa_float_round_mode_32 0
		.amdhsa_float_round_mode_16_64 0
		.amdhsa_float_denorm_mode_32 3
		.amdhsa_float_denorm_mode_16_64 3
		.amdhsa_dx10_clamp 1
		.amdhsa_ieee_mode 1
		.amdhsa_fp16_overflow 0
		.amdhsa_tg_split 0
		.amdhsa_exception_fp_ieee_invalid_op 0
		.amdhsa_exception_fp_denorm_src 0
		.amdhsa_exception_fp_ieee_div_zero 0
		.amdhsa_exception_fp_ieee_overflow 0
		.amdhsa_exception_fp_ieee_underflow 0
		.amdhsa_exception_fp_ieee_inexact 0
		.amdhsa_exception_int_div_zero 0
	.end_amdhsa_kernel
	.section	.text._ZN7rocprim17ROCPRIM_400000_NS6detail17trampoline_kernelINS0_14default_configENS1_25partition_config_selectorILNS1_17partition_subalgoE2EsNS0_10empty_typeEbEEZZNS1_14partition_implILS5_2ELb0ES3_jN6thrust23THRUST_200600_302600_NS6detail15normal_iteratorINSA_7pointerIsNSA_11hip_rocprim3tagENSA_11use_defaultESG_EEEEPS6_NSA_18transform_iteratorI10is_orderedNSA_12zip_iteratorINSA_5tupleINSC_INSA_10device_ptrIsEEEESQ_NSA_9null_typeESR_SR_SR_SR_SR_SR_SR_EEEESG_SG_EENS0_5tupleIJPsSJ_EEENSV_IJSJ_SJ_EEES6_PlJS6_EEE10hipError_tPvRmT3_T4_T5_T6_T7_T9_mT8_P12ihipStream_tbDpT10_ENKUlT_T0_E_clISt17integral_constantIbLb1EES1I_IbLb0EEEEDaS1E_S1F_EUlS1E_E_NS1_11comp_targetILNS1_3genE9ELNS1_11target_archE1100ELNS1_3gpuE3ELNS1_3repE0EEENS1_30default_config_static_selectorELNS0_4arch9wavefront6targetE1EEEvT1_,"axG",@progbits,_ZN7rocprim17ROCPRIM_400000_NS6detail17trampoline_kernelINS0_14default_configENS1_25partition_config_selectorILNS1_17partition_subalgoE2EsNS0_10empty_typeEbEEZZNS1_14partition_implILS5_2ELb0ES3_jN6thrust23THRUST_200600_302600_NS6detail15normal_iteratorINSA_7pointerIsNSA_11hip_rocprim3tagENSA_11use_defaultESG_EEEEPS6_NSA_18transform_iteratorI10is_orderedNSA_12zip_iteratorINSA_5tupleINSC_INSA_10device_ptrIsEEEESQ_NSA_9null_typeESR_SR_SR_SR_SR_SR_SR_EEEESG_SG_EENS0_5tupleIJPsSJ_EEENSV_IJSJ_SJ_EEES6_PlJS6_EEE10hipError_tPvRmT3_T4_T5_T6_T7_T9_mT8_P12ihipStream_tbDpT10_ENKUlT_T0_E_clISt17integral_constantIbLb1EES1I_IbLb0EEEEDaS1E_S1F_EUlS1E_E_NS1_11comp_targetILNS1_3genE9ELNS1_11target_archE1100ELNS1_3gpuE3ELNS1_3repE0EEENS1_30default_config_static_selectorELNS0_4arch9wavefront6targetE1EEEvT1_,comdat
.Lfunc_end3648:
	.size	_ZN7rocprim17ROCPRIM_400000_NS6detail17trampoline_kernelINS0_14default_configENS1_25partition_config_selectorILNS1_17partition_subalgoE2EsNS0_10empty_typeEbEEZZNS1_14partition_implILS5_2ELb0ES3_jN6thrust23THRUST_200600_302600_NS6detail15normal_iteratorINSA_7pointerIsNSA_11hip_rocprim3tagENSA_11use_defaultESG_EEEEPS6_NSA_18transform_iteratorI10is_orderedNSA_12zip_iteratorINSA_5tupleINSC_INSA_10device_ptrIsEEEESQ_NSA_9null_typeESR_SR_SR_SR_SR_SR_SR_EEEESG_SG_EENS0_5tupleIJPsSJ_EEENSV_IJSJ_SJ_EEES6_PlJS6_EEE10hipError_tPvRmT3_T4_T5_T6_T7_T9_mT8_P12ihipStream_tbDpT10_ENKUlT_T0_E_clISt17integral_constantIbLb1EES1I_IbLb0EEEEDaS1E_S1F_EUlS1E_E_NS1_11comp_targetILNS1_3genE9ELNS1_11target_archE1100ELNS1_3gpuE3ELNS1_3repE0EEENS1_30default_config_static_selectorELNS0_4arch9wavefront6targetE1EEEvT1_, .Lfunc_end3648-_ZN7rocprim17ROCPRIM_400000_NS6detail17trampoline_kernelINS0_14default_configENS1_25partition_config_selectorILNS1_17partition_subalgoE2EsNS0_10empty_typeEbEEZZNS1_14partition_implILS5_2ELb0ES3_jN6thrust23THRUST_200600_302600_NS6detail15normal_iteratorINSA_7pointerIsNSA_11hip_rocprim3tagENSA_11use_defaultESG_EEEEPS6_NSA_18transform_iteratorI10is_orderedNSA_12zip_iteratorINSA_5tupleINSC_INSA_10device_ptrIsEEEESQ_NSA_9null_typeESR_SR_SR_SR_SR_SR_SR_EEEESG_SG_EENS0_5tupleIJPsSJ_EEENSV_IJSJ_SJ_EEES6_PlJS6_EEE10hipError_tPvRmT3_T4_T5_T6_T7_T9_mT8_P12ihipStream_tbDpT10_ENKUlT_T0_E_clISt17integral_constantIbLb1EES1I_IbLb0EEEEDaS1E_S1F_EUlS1E_E_NS1_11comp_targetILNS1_3genE9ELNS1_11target_archE1100ELNS1_3gpuE3ELNS1_3repE0EEENS1_30default_config_static_selectorELNS0_4arch9wavefront6targetE1EEEvT1_
                                        ; -- End function
	.section	.AMDGPU.csdata,"",@progbits
; Kernel info:
; codeLenInByte = 0
; NumSgprs: 6
; NumVgprs: 0
; NumAgprs: 0
; TotalNumVgprs: 0
; ScratchSize: 0
; MemoryBound: 0
; FloatMode: 240
; IeeeMode: 1
; LDSByteSize: 0 bytes/workgroup (compile time only)
; SGPRBlocks: 0
; VGPRBlocks: 0
; NumSGPRsForWavesPerEU: 6
; NumVGPRsForWavesPerEU: 1
; AccumOffset: 4
; Occupancy: 8
; WaveLimiterHint : 0
; COMPUTE_PGM_RSRC2:SCRATCH_EN: 0
; COMPUTE_PGM_RSRC2:USER_SGPR: 2
; COMPUTE_PGM_RSRC2:TRAP_HANDLER: 0
; COMPUTE_PGM_RSRC2:TGID_X_EN: 1
; COMPUTE_PGM_RSRC2:TGID_Y_EN: 0
; COMPUTE_PGM_RSRC2:TGID_Z_EN: 0
; COMPUTE_PGM_RSRC2:TIDIG_COMP_CNT: 0
; COMPUTE_PGM_RSRC3_GFX90A:ACCUM_OFFSET: 0
; COMPUTE_PGM_RSRC3_GFX90A:TG_SPLIT: 0
	.section	.text._ZN7rocprim17ROCPRIM_400000_NS6detail17trampoline_kernelINS0_14default_configENS1_25partition_config_selectorILNS1_17partition_subalgoE2EsNS0_10empty_typeEbEEZZNS1_14partition_implILS5_2ELb0ES3_jN6thrust23THRUST_200600_302600_NS6detail15normal_iteratorINSA_7pointerIsNSA_11hip_rocprim3tagENSA_11use_defaultESG_EEEEPS6_NSA_18transform_iteratorI10is_orderedNSA_12zip_iteratorINSA_5tupleINSC_INSA_10device_ptrIsEEEESQ_NSA_9null_typeESR_SR_SR_SR_SR_SR_SR_EEEESG_SG_EENS0_5tupleIJPsSJ_EEENSV_IJSJ_SJ_EEES6_PlJS6_EEE10hipError_tPvRmT3_T4_T5_T6_T7_T9_mT8_P12ihipStream_tbDpT10_ENKUlT_T0_E_clISt17integral_constantIbLb1EES1I_IbLb0EEEEDaS1E_S1F_EUlS1E_E_NS1_11comp_targetILNS1_3genE8ELNS1_11target_archE1030ELNS1_3gpuE2ELNS1_3repE0EEENS1_30default_config_static_selectorELNS0_4arch9wavefront6targetE1EEEvT1_,"axG",@progbits,_ZN7rocprim17ROCPRIM_400000_NS6detail17trampoline_kernelINS0_14default_configENS1_25partition_config_selectorILNS1_17partition_subalgoE2EsNS0_10empty_typeEbEEZZNS1_14partition_implILS5_2ELb0ES3_jN6thrust23THRUST_200600_302600_NS6detail15normal_iteratorINSA_7pointerIsNSA_11hip_rocprim3tagENSA_11use_defaultESG_EEEEPS6_NSA_18transform_iteratorI10is_orderedNSA_12zip_iteratorINSA_5tupleINSC_INSA_10device_ptrIsEEEESQ_NSA_9null_typeESR_SR_SR_SR_SR_SR_SR_EEEESG_SG_EENS0_5tupleIJPsSJ_EEENSV_IJSJ_SJ_EEES6_PlJS6_EEE10hipError_tPvRmT3_T4_T5_T6_T7_T9_mT8_P12ihipStream_tbDpT10_ENKUlT_T0_E_clISt17integral_constantIbLb1EES1I_IbLb0EEEEDaS1E_S1F_EUlS1E_E_NS1_11comp_targetILNS1_3genE8ELNS1_11target_archE1030ELNS1_3gpuE2ELNS1_3repE0EEENS1_30default_config_static_selectorELNS0_4arch9wavefront6targetE1EEEvT1_,comdat
	.protected	_ZN7rocprim17ROCPRIM_400000_NS6detail17trampoline_kernelINS0_14default_configENS1_25partition_config_selectorILNS1_17partition_subalgoE2EsNS0_10empty_typeEbEEZZNS1_14partition_implILS5_2ELb0ES3_jN6thrust23THRUST_200600_302600_NS6detail15normal_iteratorINSA_7pointerIsNSA_11hip_rocprim3tagENSA_11use_defaultESG_EEEEPS6_NSA_18transform_iteratorI10is_orderedNSA_12zip_iteratorINSA_5tupleINSC_INSA_10device_ptrIsEEEESQ_NSA_9null_typeESR_SR_SR_SR_SR_SR_SR_EEEESG_SG_EENS0_5tupleIJPsSJ_EEENSV_IJSJ_SJ_EEES6_PlJS6_EEE10hipError_tPvRmT3_T4_T5_T6_T7_T9_mT8_P12ihipStream_tbDpT10_ENKUlT_T0_E_clISt17integral_constantIbLb1EES1I_IbLb0EEEEDaS1E_S1F_EUlS1E_E_NS1_11comp_targetILNS1_3genE8ELNS1_11target_archE1030ELNS1_3gpuE2ELNS1_3repE0EEENS1_30default_config_static_selectorELNS0_4arch9wavefront6targetE1EEEvT1_ ; -- Begin function _ZN7rocprim17ROCPRIM_400000_NS6detail17trampoline_kernelINS0_14default_configENS1_25partition_config_selectorILNS1_17partition_subalgoE2EsNS0_10empty_typeEbEEZZNS1_14partition_implILS5_2ELb0ES3_jN6thrust23THRUST_200600_302600_NS6detail15normal_iteratorINSA_7pointerIsNSA_11hip_rocprim3tagENSA_11use_defaultESG_EEEEPS6_NSA_18transform_iteratorI10is_orderedNSA_12zip_iteratorINSA_5tupleINSC_INSA_10device_ptrIsEEEESQ_NSA_9null_typeESR_SR_SR_SR_SR_SR_SR_EEEESG_SG_EENS0_5tupleIJPsSJ_EEENSV_IJSJ_SJ_EEES6_PlJS6_EEE10hipError_tPvRmT3_T4_T5_T6_T7_T9_mT8_P12ihipStream_tbDpT10_ENKUlT_T0_E_clISt17integral_constantIbLb1EES1I_IbLb0EEEEDaS1E_S1F_EUlS1E_E_NS1_11comp_targetILNS1_3genE8ELNS1_11target_archE1030ELNS1_3gpuE2ELNS1_3repE0EEENS1_30default_config_static_selectorELNS0_4arch9wavefront6targetE1EEEvT1_
	.globl	_ZN7rocprim17ROCPRIM_400000_NS6detail17trampoline_kernelINS0_14default_configENS1_25partition_config_selectorILNS1_17partition_subalgoE2EsNS0_10empty_typeEbEEZZNS1_14partition_implILS5_2ELb0ES3_jN6thrust23THRUST_200600_302600_NS6detail15normal_iteratorINSA_7pointerIsNSA_11hip_rocprim3tagENSA_11use_defaultESG_EEEEPS6_NSA_18transform_iteratorI10is_orderedNSA_12zip_iteratorINSA_5tupleINSC_INSA_10device_ptrIsEEEESQ_NSA_9null_typeESR_SR_SR_SR_SR_SR_SR_EEEESG_SG_EENS0_5tupleIJPsSJ_EEENSV_IJSJ_SJ_EEES6_PlJS6_EEE10hipError_tPvRmT3_T4_T5_T6_T7_T9_mT8_P12ihipStream_tbDpT10_ENKUlT_T0_E_clISt17integral_constantIbLb1EES1I_IbLb0EEEEDaS1E_S1F_EUlS1E_E_NS1_11comp_targetILNS1_3genE8ELNS1_11target_archE1030ELNS1_3gpuE2ELNS1_3repE0EEENS1_30default_config_static_selectorELNS0_4arch9wavefront6targetE1EEEvT1_
	.p2align	8
	.type	_ZN7rocprim17ROCPRIM_400000_NS6detail17trampoline_kernelINS0_14default_configENS1_25partition_config_selectorILNS1_17partition_subalgoE2EsNS0_10empty_typeEbEEZZNS1_14partition_implILS5_2ELb0ES3_jN6thrust23THRUST_200600_302600_NS6detail15normal_iteratorINSA_7pointerIsNSA_11hip_rocprim3tagENSA_11use_defaultESG_EEEEPS6_NSA_18transform_iteratorI10is_orderedNSA_12zip_iteratorINSA_5tupleINSC_INSA_10device_ptrIsEEEESQ_NSA_9null_typeESR_SR_SR_SR_SR_SR_SR_EEEESG_SG_EENS0_5tupleIJPsSJ_EEENSV_IJSJ_SJ_EEES6_PlJS6_EEE10hipError_tPvRmT3_T4_T5_T6_T7_T9_mT8_P12ihipStream_tbDpT10_ENKUlT_T0_E_clISt17integral_constantIbLb1EES1I_IbLb0EEEEDaS1E_S1F_EUlS1E_E_NS1_11comp_targetILNS1_3genE8ELNS1_11target_archE1030ELNS1_3gpuE2ELNS1_3repE0EEENS1_30default_config_static_selectorELNS0_4arch9wavefront6targetE1EEEvT1_,@function
_ZN7rocprim17ROCPRIM_400000_NS6detail17trampoline_kernelINS0_14default_configENS1_25partition_config_selectorILNS1_17partition_subalgoE2EsNS0_10empty_typeEbEEZZNS1_14partition_implILS5_2ELb0ES3_jN6thrust23THRUST_200600_302600_NS6detail15normal_iteratorINSA_7pointerIsNSA_11hip_rocprim3tagENSA_11use_defaultESG_EEEEPS6_NSA_18transform_iteratorI10is_orderedNSA_12zip_iteratorINSA_5tupleINSC_INSA_10device_ptrIsEEEESQ_NSA_9null_typeESR_SR_SR_SR_SR_SR_SR_EEEESG_SG_EENS0_5tupleIJPsSJ_EEENSV_IJSJ_SJ_EEES6_PlJS6_EEE10hipError_tPvRmT3_T4_T5_T6_T7_T9_mT8_P12ihipStream_tbDpT10_ENKUlT_T0_E_clISt17integral_constantIbLb1EES1I_IbLb0EEEEDaS1E_S1F_EUlS1E_E_NS1_11comp_targetILNS1_3genE8ELNS1_11target_archE1030ELNS1_3gpuE2ELNS1_3repE0EEENS1_30default_config_static_selectorELNS0_4arch9wavefront6targetE1EEEvT1_: ; @_ZN7rocprim17ROCPRIM_400000_NS6detail17trampoline_kernelINS0_14default_configENS1_25partition_config_selectorILNS1_17partition_subalgoE2EsNS0_10empty_typeEbEEZZNS1_14partition_implILS5_2ELb0ES3_jN6thrust23THRUST_200600_302600_NS6detail15normal_iteratorINSA_7pointerIsNSA_11hip_rocprim3tagENSA_11use_defaultESG_EEEEPS6_NSA_18transform_iteratorI10is_orderedNSA_12zip_iteratorINSA_5tupleINSC_INSA_10device_ptrIsEEEESQ_NSA_9null_typeESR_SR_SR_SR_SR_SR_SR_EEEESG_SG_EENS0_5tupleIJPsSJ_EEENSV_IJSJ_SJ_EEES6_PlJS6_EEE10hipError_tPvRmT3_T4_T5_T6_T7_T9_mT8_P12ihipStream_tbDpT10_ENKUlT_T0_E_clISt17integral_constantIbLb1EES1I_IbLb0EEEEDaS1E_S1F_EUlS1E_E_NS1_11comp_targetILNS1_3genE8ELNS1_11target_archE1030ELNS1_3gpuE2ELNS1_3repE0EEENS1_30default_config_static_selectorELNS0_4arch9wavefront6targetE1EEEvT1_
; %bb.0:
	.section	.rodata,"a",@progbits
	.p2align	6, 0x0
	.amdhsa_kernel _ZN7rocprim17ROCPRIM_400000_NS6detail17trampoline_kernelINS0_14default_configENS1_25partition_config_selectorILNS1_17partition_subalgoE2EsNS0_10empty_typeEbEEZZNS1_14partition_implILS5_2ELb0ES3_jN6thrust23THRUST_200600_302600_NS6detail15normal_iteratorINSA_7pointerIsNSA_11hip_rocprim3tagENSA_11use_defaultESG_EEEEPS6_NSA_18transform_iteratorI10is_orderedNSA_12zip_iteratorINSA_5tupleINSC_INSA_10device_ptrIsEEEESQ_NSA_9null_typeESR_SR_SR_SR_SR_SR_SR_EEEESG_SG_EENS0_5tupleIJPsSJ_EEENSV_IJSJ_SJ_EEES6_PlJS6_EEE10hipError_tPvRmT3_T4_T5_T6_T7_T9_mT8_P12ihipStream_tbDpT10_ENKUlT_T0_E_clISt17integral_constantIbLb1EES1I_IbLb0EEEEDaS1E_S1F_EUlS1E_E_NS1_11comp_targetILNS1_3genE8ELNS1_11target_archE1030ELNS1_3gpuE2ELNS1_3repE0EEENS1_30default_config_static_selectorELNS0_4arch9wavefront6targetE1EEEvT1_
		.amdhsa_group_segment_fixed_size 0
		.amdhsa_private_segment_fixed_size 0
		.amdhsa_kernarg_size 136
		.amdhsa_user_sgpr_count 2
		.amdhsa_user_sgpr_dispatch_ptr 0
		.amdhsa_user_sgpr_queue_ptr 0
		.amdhsa_user_sgpr_kernarg_segment_ptr 1
		.amdhsa_user_sgpr_dispatch_id 0
		.amdhsa_user_sgpr_kernarg_preload_length 0
		.amdhsa_user_sgpr_kernarg_preload_offset 0
		.amdhsa_user_sgpr_private_segment_size 0
		.amdhsa_uses_dynamic_stack 0
		.amdhsa_enable_private_segment 0
		.amdhsa_system_sgpr_workgroup_id_x 1
		.amdhsa_system_sgpr_workgroup_id_y 0
		.amdhsa_system_sgpr_workgroup_id_z 0
		.amdhsa_system_sgpr_workgroup_info 0
		.amdhsa_system_vgpr_workitem_id 0
		.amdhsa_next_free_vgpr 1
		.amdhsa_next_free_sgpr 0
		.amdhsa_accum_offset 4
		.amdhsa_reserve_vcc 0
		.amdhsa_float_round_mode_32 0
		.amdhsa_float_round_mode_16_64 0
		.amdhsa_float_denorm_mode_32 3
		.amdhsa_float_denorm_mode_16_64 3
		.amdhsa_dx10_clamp 1
		.amdhsa_ieee_mode 1
		.amdhsa_fp16_overflow 0
		.amdhsa_tg_split 0
		.amdhsa_exception_fp_ieee_invalid_op 0
		.amdhsa_exception_fp_denorm_src 0
		.amdhsa_exception_fp_ieee_div_zero 0
		.amdhsa_exception_fp_ieee_overflow 0
		.amdhsa_exception_fp_ieee_underflow 0
		.amdhsa_exception_fp_ieee_inexact 0
		.amdhsa_exception_int_div_zero 0
	.end_amdhsa_kernel
	.section	.text._ZN7rocprim17ROCPRIM_400000_NS6detail17trampoline_kernelINS0_14default_configENS1_25partition_config_selectorILNS1_17partition_subalgoE2EsNS0_10empty_typeEbEEZZNS1_14partition_implILS5_2ELb0ES3_jN6thrust23THRUST_200600_302600_NS6detail15normal_iteratorINSA_7pointerIsNSA_11hip_rocprim3tagENSA_11use_defaultESG_EEEEPS6_NSA_18transform_iteratorI10is_orderedNSA_12zip_iteratorINSA_5tupleINSC_INSA_10device_ptrIsEEEESQ_NSA_9null_typeESR_SR_SR_SR_SR_SR_SR_EEEESG_SG_EENS0_5tupleIJPsSJ_EEENSV_IJSJ_SJ_EEES6_PlJS6_EEE10hipError_tPvRmT3_T4_T5_T6_T7_T9_mT8_P12ihipStream_tbDpT10_ENKUlT_T0_E_clISt17integral_constantIbLb1EES1I_IbLb0EEEEDaS1E_S1F_EUlS1E_E_NS1_11comp_targetILNS1_3genE8ELNS1_11target_archE1030ELNS1_3gpuE2ELNS1_3repE0EEENS1_30default_config_static_selectorELNS0_4arch9wavefront6targetE1EEEvT1_,"axG",@progbits,_ZN7rocprim17ROCPRIM_400000_NS6detail17trampoline_kernelINS0_14default_configENS1_25partition_config_selectorILNS1_17partition_subalgoE2EsNS0_10empty_typeEbEEZZNS1_14partition_implILS5_2ELb0ES3_jN6thrust23THRUST_200600_302600_NS6detail15normal_iteratorINSA_7pointerIsNSA_11hip_rocprim3tagENSA_11use_defaultESG_EEEEPS6_NSA_18transform_iteratorI10is_orderedNSA_12zip_iteratorINSA_5tupleINSC_INSA_10device_ptrIsEEEESQ_NSA_9null_typeESR_SR_SR_SR_SR_SR_SR_EEEESG_SG_EENS0_5tupleIJPsSJ_EEENSV_IJSJ_SJ_EEES6_PlJS6_EEE10hipError_tPvRmT3_T4_T5_T6_T7_T9_mT8_P12ihipStream_tbDpT10_ENKUlT_T0_E_clISt17integral_constantIbLb1EES1I_IbLb0EEEEDaS1E_S1F_EUlS1E_E_NS1_11comp_targetILNS1_3genE8ELNS1_11target_archE1030ELNS1_3gpuE2ELNS1_3repE0EEENS1_30default_config_static_selectorELNS0_4arch9wavefront6targetE1EEEvT1_,comdat
.Lfunc_end3649:
	.size	_ZN7rocprim17ROCPRIM_400000_NS6detail17trampoline_kernelINS0_14default_configENS1_25partition_config_selectorILNS1_17partition_subalgoE2EsNS0_10empty_typeEbEEZZNS1_14partition_implILS5_2ELb0ES3_jN6thrust23THRUST_200600_302600_NS6detail15normal_iteratorINSA_7pointerIsNSA_11hip_rocprim3tagENSA_11use_defaultESG_EEEEPS6_NSA_18transform_iteratorI10is_orderedNSA_12zip_iteratorINSA_5tupleINSC_INSA_10device_ptrIsEEEESQ_NSA_9null_typeESR_SR_SR_SR_SR_SR_SR_EEEESG_SG_EENS0_5tupleIJPsSJ_EEENSV_IJSJ_SJ_EEES6_PlJS6_EEE10hipError_tPvRmT3_T4_T5_T6_T7_T9_mT8_P12ihipStream_tbDpT10_ENKUlT_T0_E_clISt17integral_constantIbLb1EES1I_IbLb0EEEEDaS1E_S1F_EUlS1E_E_NS1_11comp_targetILNS1_3genE8ELNS1_11target_archE1030ELNS1_3gpuE2ELNS1_3repE0EEENS1_30default_config_static_selectorELNS0_4arch9wavefront6targetE1EEEvT1_, .Lfunc_end3649-_ZN7rocprim17ROCPRIM_400000_NS6detail17trampoline_kernelINS0_14default_configENS1_25partition_config_selectorILNS1_17partition_subalgoE2EsNS0_10empty_typeEbEEZZNS1_14partition_implILS5_2ELb0ES3_jN6thrust23THRUST_200600_302600_NS6detail15normal_iteratorINSA_7pointerIsNSA_11hip_rocprim3tagENSA_11use_defaultESG_EEEEPS6_NSA_18transform_iteratorI10is_orderedNSA_12zip_iteratorINSA_5tupleINSC_INSA_10device_ptrIsEEEESQ_NSA_9null_typeESR_SR_SR_SR_SR_SR_SR_EEEESG_SG_EENS0_5tupleIJPsSJ_EEENSV_IJSJ_SJ_EEES6_PlJS6_EEE10hipError_tPvRmT3_T4_T5_T6_T7_T9_mT8_P12ihipStream_tbDpT10_ENKUlT_T0_E_clISt17integral_constantIbLb1EES1I_IbLb0EEEEDaS1E_S1F_EUlS1E_E_NS1_11comp_targetILNS1_3genE8ELNS1_11target_archE1030ELNS1_3gpuE2ELNS1_3repE0EEENS1_30default_config_static_selectorELNS0_4arch9wavefront6targetE1EEEvT1_
                                        ; -- End function
	.section	.AMDGPU.csdata,"",@progbits
; Kernel info:
; codeLenInByte = 0
; NumSgprs: 6
; NumVgprs: 0
; NumAgprs: 0
; TotalNumVgprs: 0
; ScratchSize: 0
; MemoryBound: 0
; FloatMode: 240
; IeeeMode: 1
; LDSByteSize: 0 bytes/workgroup (compile time only)
; SGPRBlocks: 0
; VGPRBlocks: 0
; NumSGPRsForWavesPerEU: 6
; NumVGPRsForWavesPerEU: 1
; AccumOffset: 4
; Occupancy: 8
; WaveLimiterHint : 0
; COMPUTE_PGM_RSRC2:SCRATCH_EN: 0
; COMPUTE_PGM_RSRC2:USER_SGPR: 2
; COMPUTE_PGM_RSRC2:TRAP_HANDLER: 0
; COMPUTE_PGM_RSRC2:TGID_X_EN: 1
; COMPUTE_PGM_RSRC2:TGID_Y_EN: 0
; COMPUTE_PGM_RSRC2:TGID_Z_EN: 0
; COMPUTE_PGM_RSRC2:TIDIG_COMP_CNT: 0
; COMPUTE_PGM_RSRC3_GFX90A:ACCUM_OFFSET: 0
; COMPUTE_PGM_RSRC3_GFX90A:TG_SPLIT: 0
	.section	.text._ZN7rocprim17ROCPRIM_400000_NS6detail17trampoline_kernelINS0_14default_configENS1_25partition_config_selectorILNS1_17partition_subalgoE2EsNS0_10empty_typeEbEEZZNS1_14partition_implILS5_2ELb0ES3_jN6thrust23THRUST_200600_302600_NS6detail15normal_iteratorINSA_7pointerIsNSA_11hip_rocprim3tagENSA_11use_defaultESG_EEEEPS6_NSA_18transform_iteratorI10is_orderedNSA_12zip_iteratorINSA_5tupleINSC_INSA_10device_ptrIsEEEESQ_NSA_9null_typeESR_SR_SR_SR_SR_SR_SR_EEEESG_SG_EENS0_5tupleIJPsSJ_EEENSV_IJSJ_SJ_EEES6_PlJS6_EEE10hipError_tPvRmT3_T4_T5_T6_T7_T9_mT8_P12ihipStream_tbDpT10_ENKUlT_T0_E_clISt17integral_constantIbLb0EES1I_IbLb1EEEEDaS1E_S1F_EUlS1E_E_NS1_11comp_targetILNS1_3genE0ELNS1_11target_archE4294967295ELNS1_3gpuE0ELNS1_3repE0EEENS1_30default_config_static_selectorELNS0_4arch9wavefront6targetE1EEEvT1_,"axG",@progbits,_ZN7rocprim17ROCPRIM_400000_NS6detail17trampoline_kernelINS0_14default_configENS1_25partition_config_selectorILNS1_17partition_subalgoE2EsNS0_10empty_typeEbEEZZNS1_14partition_implILS5_2ELb0ES3_jN6thrust23THRUST_200600_302600_NS6detail15normal_iteratorINSA_7pointerIsNSA_11hip_rocprim3tagENSA_11use_defaultESG_EEEEPS6_NSA_18transform_iteratorI10is_orderedNSA_12zip_iteratorINSA_5tupleINSC_INSA_10device_ptrIsEEEESQ_NSA_9null_typeESR_SR_SR_SR_SR_SR_SR_EEEESG_SG_EENS0_5tupleIJPsSJ_EEENSV_IJSJ_SJ_EEES6_PlJS6_EEE10hipError_tPvRmT3_T4_T5_T6_T7_T9_mT8_P12ihipStream_tbDpT10_ENKUlT_T0_E_clISt17integral_constantIbLb0EES1I_IbLb1EEEEDaS1E_S1F_EUlS1E_E_NS1_11comp_targetILNS1_3genE0ELNS1_11target_archE4294967295ELNS1_3gpuE0ELNS1_3repE0EEENS1_30default_config_static_selectorELNS0_4arch9wavefront6targetE1EEEvT1_,comdat
	.protected	_ZN7rocprim17ROCPRIM_400000_NS6detail17trampoline_kernelINS0_14default_configENS1_25partition_config_selectorILNS1_17partition_subalgoE2EsNS0_10empty_typeEbEEZZNS1_14partition_implILS5_2ELb0ES3_jN6thrust23THRUST_200600_302600_NS6detail15normal_iteratorINSA_7pointerIsNSA_11hip_rocprim3tagENSA_11use_defaultESG_EEEEPS6_NSA_18transform_iteratorI10is_orderedNSA_12zip_iteratorINSA_5tupleINSC_INSA_10device_ptrIsEEEESQ_NSA_9null_typeESR_SR_SR_SR_SR_SR_SR_EEEESG_SG_EENS0_5tupleIJPsSJ_EEENSV_IJSJ_SJ_EEES6_PlJS6_EEE10hipError_tPvRmT3_T4_T5_T6_T7_T9_mT8_P12ihipStream_tbDpT10_ENKUlT_T0_E_clISt17integral_constantIbLb0EES1I_IbLb1EEEEDaS1E_S1F_EUlS1E_E_NS1_11comp_targetILNS1_3genE0ELNS1_11target_archE4294967295ELNS1_3gpuE0ELNS1_3repE0EEENS1_30default_config_static_selectorELNS0_4arch9wavefront6targetE1EEEvT1_ ; -- Begin function _ZN7rocprim17ROCPRIM_400000_NS6detail17trampoline_kernelINS0_14default_configENS1_25partition_config_selectorILNS1_17partition_subalgoE2EsNS0_10empty_typeEbEEZZNS1_14partition_implILS5_2ELb0ES3_jN6thrust23THRUST_200600_302600_NS6detail15normal_iteratorINSA_7pointerIsNSA_11hip_rocprim3tagENSA_11use_defaultESG_EEEEPS6_NSA_18transform_iteratorI10is_orderedNSA_12zip_iteratorINSA_5tupleINSC_INSA_10device_ptrIsEEEESQ_NSA_9null_typeESR_SR_SR_SR_SR_SR_SR_EEEESG_SG_EENS0_5tupleIJPsSJ_EEENSV_IJSJ_SJ_EEES6_PlJS6_EEE10hipError_tPvRmT3_T4_T5_T6_T7_T9_mT8_P12ihipStream_tbDpT10_ENKUlT_T0_E_clISt17integral_constantIbLb0EES1I_IbLb1EEEEDaS1E_S1F_EUlS1E_E_NS1_11comp_targetILNS1_3genE0ELNS1_11target_archE4294967295ELNS1_3gpuE0ELNS1_3repE0EEENS1_30default_config_static_selectorELNS0_4arch9wavefront6targetE1EEEvT1_
	.globl	_ZN7rocprim17ROCPRIM_400000_NS6detail17trampoline_kernelINS0_14default_configENS1_25partition_config_selectorILNS1_17partition_subalgoE2EsNS0_10empty_typeEbEEZZNS1_14partition_implILS5_2ELb0ES3_jN6thrust23THRUST_200600_302600_NS6detail15normal_iteratorINSA_7pointerIsNSA_11hip_rocprim3tagENSA_11use_defaultESG_EEEEPS6_NSA_18transform_iteratorI10is_orderedNSA_12zip_iteratorINSA_5tupleINSC_INSA_10device_ptrIsEEEESQ_NSA_9null_typeESR_SR_SR_SR_SR_SR_SR_EEEESG_SG_EENS0_5tupleIJPsSJ_EEENSV_IJSJ_SJ_EEES6_PlJS6_EEE10hipError_tPvRmT3_T4_T5_T6_T7_T9_mT8_P12ihipStream_tbDpT10_ENKUlT_T0_E_clISt17integral_constantIbLb0EES1I_IbLb1EEEEDaS1E_S1F_EUlS1E_E_NS1_11comp_targetILNS1_3genE0ELNS1_11target_archE4294967295ELNS1_3gpuE0ELNS1_3repE0EEENS1_30default_config_static_selectorELNS0_4arch9wavefront6targetE1EEEvT1_
	.p2align	8
	.type	_ZN7rocprim17ROCPRIM_400000_NS6detail17trampoline_kernelINS0_14default_configENS1_25partition_config_selectorILNS1_17partition_subalgoE2EsNS0_10empty_typeEbEEZZNS1_14partition_implILS5_2ELb0ES3_jN6thrust23THRUST_200600_302600_NS6detail15normal_iteratorINSA_7pointerIsNSA_11hip_rocprim3tagENSA_11use_defaultESG_EEEEPS6_NSA_18transform_iteratorI10is_orderedNSA_12zip_iteratorINSA_5tupleINSC_INSA_10device_ptrIsEEEESQ_NSA_9null_typeESR_SR_SR_SR_SR_SR_SR_EEEESG_SG_EENS0_5tupleIJPsSJ_EEENSV_IJSJ_SJ_EEES6_PlJS6_EEE10hipError_tPvRmT3_T4_T5_T6_T7_T9_mT8_P12ihipStream_tbDpT10_ENKUlT_T0_E_clISt17integral_constantIbLb0EES1I_IbLb1EEEEDaS1E_S1F_EUlS1E_E_NS1_11comp_targetILNS1_3genE0ELNS1_11target_archE4294967295ELNS1_3gpuE0ELNS1_3repE0EEENS1_30default_config_static_selectorELNS0_4arch9wavefront6targetE1EEEvT1_,@function
_ZN7rocprim17ROCPRIM_400000_NS6detail17trampoline_kernelINS0_14default_configENS1_25partition_config_selectorILNS1_17partition_subalgoE2EsNS0_10empty_typeEbEEZZNS1_14partition_implILS5_2ELb0ES3_jN6thrust23THRUST_200600_302600_NS6detail15normal_iteratorINSA_7pointerIsNSA_11hip_rocprim3tagENSA_11use_defaultESG_EEEEPS6_NSA_18transform_iteratorI10is_orderedNSA_12zip_iteratorINSA_5tupleINSC_INSA_10device_ptrIsEEEESQ_NSA_9null_typeESR_SR_SR_SR_SR_SR_SR_EEEESG_SG_EENS0_5tupleIJPsSJ_EEENSV_IJSJ_SJ_EEES6_PlJS6_EEE10hipError_tPvRmT3_T4_T5_T6_T7_T9_mT8_P12ihipStream_tbDpT10_ENKUlT_T0_E_clISt17integral_constantIbLb0EES1I_IbLb1EEEEDaS1E_S1F_EUlS1E_E_NS1_11comp_targetILNS1_3genE0ELNS1_11target_archE4294967295ELNS1_3gpuE0ELNS1_3repE0EEENS1_30default_config_static_selectorELNS0_4arch9wavefront6targetE1EEEvT1_: ; @_ZN7rocprim17ROCPRIM_400000_NS6detail17trampoline_kernelINS0_14default_configENS1_25partition_config_selectorILNS1_17partition_subalgoE2EsNS0_10empty_typeEbEEZZNS1_14partition_implILS5_2ELb0ES3_jN6thrust23THRUST_200600_302600_NS6detail15normal_iteratorINSA_7pointerIsNSA_11hip_rocprim3tagENSA_11use_defaultESG_EEEEPS6_NSA_18transform_iteratorI10is_orderedNSA_12zip_iteratorINSA_5tupleINSC_INSA_10device_ptrIsEEEESQ_NSA_9null_typeESR_SR_SR_SR_SR_SR_SR_EEEESG_SG_EENS0_5tupleIJPsSJ_EEENSV_IJSJ_SJ_EEES6_PlJS6_EEE10hipError_tPvRmT3_T4_T5_T6_T7_T9_mT8_P12ihipStream_tbDpT10_ENKUlT_T0_E_clISt17integral_constantIbLb0EES1I_IbLb1EEEEDaS1E_S1F_EUlS1E_E_NS1_11comp_targetILNS1_3genE0ELNS1_11target_archE4294967295ELNS1_3gpuE0ELNS1_3repE0EEENS1_30default_config_static_selectorELNS0_4arch9wavefront6targetE1EEEvT1_
; %bb.0:
	.section	.rodata,"a",@progbits
	.p2align	6, 0x0
	.amdhsa_kernel _ZN7rocprim17ROCPRIM_400000_NS6detail17trampoline_kernelINS0_14default_configENS1_25partition_config_selectorILNS1_17partition_subalgoE2EsNS0_10empty_typeEbEEZZNS1_14partition_implILS5_2ELb0ES3_jN6thrust23THRUST_200600_302600_NS6detail15normal_iteratorINSA_7pointerIsNSA_11hip_rocprim3tagENSA_11use_defaultESG_EEEEPS6_NSA_18transform_iteratorI10is_orderedNSA_12zip_iteratorINSA_5tupleINSC_INSA_10device_ptrIsEEEESQ_NSA_9null_typeESR_SR_SR_SR_SR_SR_SR_EEEESG_SG_EENS0_5tupleIJPsSJ_EEENSV_IJSJ_SJ_EEES6_PlJS6_EEE10hipError_tPvRmT3_T4_T5_T6_T7_T9_mT8_P12ihipStream_tbDpT10_ENKUlT_T0_E_clISt17integral_constantIbLb0EES1I_IbLb1EEEEDaS1E_S1F_EUlS1E_E_NS1_11comp_targetILNS1_3genE0ELNS1_11target_archE4294967295ELNS1_3gpuE0ELNS1_3repE0EEENS1_30default_config_static_selectorELNS0_4arch9wavefront6targetE1EEEvT1_
		.amdhsa_group_segment_fixed_size 0
		.amdhsa_private_segment_fixed_size 0
		.amdhsa_kernarg_size 152
		.amdhsa_user_sgpr_count 2
		.amdhsa_user_sgpr_dispatch_ptr 0
		.amdhsa_user_sgpr_queue_ptr 0
		.amdhsa_user_sgpr_kernarg_segment_ptr 1
		.amdhsa_user_sgpr_dispatch_id 0
		.amdhsa_user_sgpr_kernarg_preload_length 0
		.amdhsa_user_sgpr_kernarg_preload_offset 0
		.amdhsa_user_sgpr_private_segment_size 0
		.amdhsa_uses_dynamic_stack 0
		.amdhsa_enable_private_segment 0
		.amdhsa_system_sgpr_workgroup_id_x 1
		.amdhsa_system_sgpr_workgroup_id_y 0
		.amdhsa_system_sgpr_workgroup_id_z 0
		.amdhsa_system_sgpr_workgroup_info 0
		.amdhsa_system_vgpr_workitem_id 0
		.amdhsa_next_free_vgpr 1
		.amdhsa_next_free_sgpr 0
		.amdhsa_accum_offset 4
		.amdhsa_reserve_vcc 0
		.amdhsa_float_round_mode_32 0
		.amdhsa_float_round_mode_16_64 0
		.amdhsa_float_denorm_mode_32 3
		.amdhsa_float_denorm_mode_16_64 3
		.amdhsa_dx10_clamp 1
		.amdhsa_ieee_mode 1
		.amdhsa_fp16_overflow 0
		.amdhsa_tg_split 0
		.amdhsa_exception_fp_ieee_invalid_op 0
		.amdhsa_exception_fp_denorm_src 0
		.amdhsa_exception_fp_ieee_div_zero 0
		.amdhsa_exception_fp_ieee_overflow 0
		.amdhsa_exception_fp_ieee_underflow 0
		.amdhsa_exception_fp_ieee_inexact 0
		.amdhsa_exception_int_div_zero 0
	.end_amdhsa_kernel
	.section	.text._ZN7rocprim17ROCPRIM_400000_NS6detail17trampoline_kernelINS0_14default_configENS1_25partition_config_selectorILNS1_17partition_subalgoE2EsNS0_10empty_typeEbEEZZNS1_14partition_implILS5_2ELb0ES3_jN6thrust23THRUST_200600_302600_NS6detail15normal_iteratorINSA_7pointerIsNSA_11hip_rocprim3tagENSA_11use_defaultESG_EEEEPS6_NSA_18transform_iteratorI10is_orderedNSA_12zip_iteratorINSA_5tupleINSC_INSA_10device_ptrIsEEEESQ_NSA_9null_typeESR_SR_SR_SR_SR_SR_SR_EEEESG_SG_EENS0_5tupleIJPsSJ_EEENSV_IJSJ_SJ_EEES6_PlJS6_EEE10hipError_tPvRmT3_T4_T5_T6_T7_T9_mT8_P12ihipStream_tbDpT10_ENKUlT_T0_E_clISt17integral_constantIbLb0EES1I_IbLb1EEEEDaS1E_S1F_EUlS1E_E_NS1_11comp_targetILNS1_3genE0ELNS1_11target_archE4294967295ELNS1_3gpuE0ELNS1_3repE0EEENS1_30default_config_static_selectorELNS0_4arch9wavefront6targetE1EEEvT1_,"axG",@progbits,_ZN7rocprim17ROCPRIM_400000_NS6detail17trampoline_kernelINS0_14default_configENS1_25partition_config_selectorILNS1_17partition_subalgoE2EsNS0_10empty_typeEbEEZZNS1_14partition_implILS5_2ELb0ES3_jN6thrust23THRUST_200600_302600_NS6detail15normal_iteratorINSA_7pointerIsNSA_11hip_rocprim3tagENSA_11use_defaultESG_EEEEPS6_NSA_18transform_iteratorI10is_orderedNSA_12zip_iteratorINSA_5tupleINSC_INSA_10device_ptrIsEEEESQ_NSA_9null_typeESR_SR_SR_SR_SR_SR_SR_EEEESG_SG_EENS0_5tupleIJPsSJ_EEENSV_IJSJ_SJ_EEES6_PlJS6_EEE10hipError_tPvRmT3_T4_T5_T6_T7_T9_mT8_P12ihipStream_tbDpT10_ENKUlT_T0_E_clISt17integral_constantIbLb0EES1I_IbLb1EEEEDaS1E_S1F_EUlS1E_E_NS1_11comp_targetILNS1_3genE0ELNS1_11target_archE4294967295ELNS1_3gpuE0ELNS1_3repE0EEENS1_30default_config_static_selectorELNS0_4arch9wavefront6targetE1EEEvT1_,comdat
.Lfunc_end3650:
	.size	_ZN7rocprim17ROCPRIM_400000_NS6detail17trampoline_kernelINS0_14default_configENS1_25partition_config_selectorILNS1_17partition_subalgoE2EsNS0_10empty_typeEbEEZZNS1_14partition_implILS5_2ELb0ES3_jN6thrust23THRUST_200600_302600_NS6detail15normal_iteratorINSA_7pointerIsNSA_11hip_rocprim3tagENSA_11use_defaultESG_EEEEPS6_NSA_18transform_iteratorI10is_orderedNSA_12zip_iteratorINSA_5tupleINSC_INSA_10device_ptrIsEEEESQ_NSA_9null_typeESR_SR_SR_SR_SR_SR_SR_EEEESG_SG_EENS0_5tupleIJPsSJ_EEENSV_IJSJ_SJ_EEES6_PlJS6_EEE10hipError_tPvRmT3_T4_T5_T6_T7_T9_mT8_P12ihipStream_tbDpT10_ENKUlT_T0_E_clISt17integral_constantIbLb0EES1I_IbLb1EEEEDaS1E_S1F_EUlS1E_E_NS1_11comp_targetILNS1_3genE0ELNS1_11target_archE4294967295ELNS1_3gpuE0ELNS1_3repE0EEENS1_30default_config_static_selectorELNS0_4arch9wavefront6targetE1EEEvT1_, .Lfunc_end3650-_ZN7rocprim17ROCPRIM_400000_NS6detail17trampoline_kernelINS0_14default_configENS1_25partition_config_selectorILNS1_17partition_subalgoE2EsNS0_10empty_typeEbEEZZNS1_14partition_implILS5_2ELb0ES3_jN6thrust23THRUST_200600_302600_NS6detail15normal_iteratorINSA_7pointerIsNSA_11hip_rocprim3tagENSA_11use_defaultESG_EEEEPS6_NSA_18transform_iteratorI10is_orderedNSA_12zip_iteratorINSA_5tupleINSC_INSA_10device_ptrIsEEEESQ_NSA_9null_typeESR_SR_SR_SR_SR_SR_SR_EEEESG_SG_EENS0_5tupleIJPsSJ_EEENSV_IJSJ_SJ_EEES6_PlJS6_EEE10hipError_tPvRmT3_T4_T5_T6_T7_T9_mT8_P12ihipStream_tbDpT10_ENKUlT_T0_E_clISt17integral_constantIbLb0EES1I_IbLb1EEEEDaS1E_S1F_EUlS1E_E_NS1_11comp_targetILNS1_3genE0ELNS1_11target_archE4294967295ELNS1_3gpuE0ELNS1_3repE0EEENS1_30default_config_static_selectorELNS0_4arch9wavefront6targetE1EEEvT1_
                                        ; -- End function
	.section	.AMDGPU.csdata,"",@progbits
; Kernel info:
; codeLenInByte = 0
; NumSgprs: 6
; NumVgprs: 0
; NumAgprs: 0
; TotalNumVgprs: 0
; ScratchSize: 0
; MemoryBound: 0
; FloatMode: 240
; IeeeMode: 1
; LDSByteSize: 0 bytes/workgroup (compile time only)
; SGPRBlocks: 0
; VGPRBlocks: 0
; NumSGPRsForWavesPerEU: 6
; NumVGPRsForWavesPerEU: 1
; AccumOffset: 4
; Occupancy: 8
; WaveLimiterHint : 0
; COMPUTE_PGM_RSRC2:SCRATCH_EN: 0
; COMPUTE_PGM_RSRC2:USER_SGPR: 2
; COMPUTE_PGM_RSRC2:TRAP_HANDLER: 0
; COMPUTE_PGM_RSRC2:TGID_X_EN: 1
; COMPUTE_PGM_RSRC2:TGID_Y_EN: 0
; COMPUTE_PGM_RSRC2:TGID_Z_EN: 0
; COMPUTE_PGM_RSRC2:TIDIG_COMP_CNT: 0
; COMPUTE_PGM_RSRC3_GFX90A:ACCUM_OFFSET: 0
; COMPUTE_PGM_RSRC3_GFX90A:TG_SPLIT: 0
	.section	.text._ZN7rocprim17ROCPRIM_400000_NS6detail17trampoline_kernelINS0_14default_configENS1_25partition_config_selectorILNS1_17partition_subalgoE2EsNS0_10empty_typeEbEEZZNS1_14partition_implILS5_2ELb0ES3_jN6thrust23THRUST_200600_302600_NS6detail15normal_iteratorINSA_7pointerIsNSA_11hip_rocprim3tagENSA_11use_defaultESG_EEEEPS6_NSA_18transform_iteratorI10is_orderedNSA_12zip_iteratorINSA_5tupleINSC_INSA_10device_ptrIsEEEESQ_NSA_9null_typeESR_SR_SR_SR_SR_SR_SR_EEEESG_SG_EENS0_5tupleIJPsSJ_EEENSV_IJSJ_SJ_EEES6_PlJS6_EEE10hipError_tPvRmT3_T4_T5_T6_T7_T9_mT8_P12ihipStream_tbDpT10_ENKUlT_T0_E_clISt17integral_constantIbLb0EES1I_IbLb1EEEEDaS1E_S1F_EUlS1E_E_NS1_11comp_targetILNS1_3genE5ELNS1_11target_archE942ELNS1_3gpuE9ELNS1_3repE0EEENS1_30default_config_static_selectorELNS0_4arch9wavefront6targetE1EEEvT1_,"axG",@progbits,_ZN7rocprim17ROCPRIM_400000_NS6detail17trampoline_kernelINS0_14default_configENS1_25partition_config_selectorILNS1_17partition_subalgoE2EsNS0_10empty_typeEbEEZZNS1_14partition_implILS5_2ELb0ES3_jN6thrust23THRUST_200600_302600_NS6detail15normal_iteratorINSA_7pointerIsNSA_11hip_rocprim3tagENSA_11use_defaultESG_EEEEPS6_NSA_18transform_iteratorI10is_orderedNSA_12zip_iteratorINSA_5tupleINSC_INSA_10device_ptrIsEEEESQ_NSA_9null_typeESR_SR_SR_SR_SR_SR_SR_EEEESG_SG_EENS0_5tupleIJPsSJ_EEENSV_IJSJ_SJ_EEES6_PlJS6_EEE10hipError_tPvRmT3_T4_T5_T6_T7_T9_mT8_P12ihipStream_tbDpT10_ENKUlT_T0_E_clISt17integral_constantIbLb0EES1I_IbLb1EEEEDaS1E_S1F_EUlS1E_E_NS1_11comp_targetILNS1_3genE5ELNS1_11target_archE942ELNS1_3gpuE9ELNS1_3repE0EEENS1_30default_config_static_selectorELNS0_4arch9wavefront6targetE1EEEvT1_,comdat
	.protected	_ZN7rocprim17ROCPRIM_400000_NS6detail17trampoline_kernelINS0_14default_configENS1_25partition_config_selectorILNS1_17partition_subalgoE2EsNS0_10empty_typeEbEEZZNS1_14partition_implILS5_2ELb0ES3_jN6thrust23THRUST_200600_302600_NS6detail15normal_iteratorINSA_7pointerIsNSA_11hip_rocprim3tagENSA_11use_defaultESG_EEEEPS6_NSA_18transform_iteratorI10is_orderedNSA_12zip_iteratorINSA_5tupleINSC_INSA_10device_ptrIsEEEESQ_NSA_9null_typeESR_SR_SR_SR_SR_SR_SR_EEEESG_SG_EENS0_5tupleIJPsSJ_EEENSV_IJSJ_SJ_EEES6_PlJS6_EEE10hipError_tPvRmT3_T4_T5_T6_T7_T9_mT8_P12ihipStream_tbDpT10_ENKUlT_T0_E_clISt17integral_constantIbLb0EES1I_IbLb1EEEEDaS1E_S1F_EUlS1E_E_NS1_11comp_targetILNS1_3genE5ELNS1_11target_archE942ELNS1_3gpuE9ELNS1_3repE0EEENS1_30default_config_static_selectorELNS0_4arch9wavefront6targetE1EEEvT1_ ; -- Begin function _ZN7rocprim17ROCPRIM_400000_NS6detail17trampoline_kernelINS0_14default_configENS1_25partition_config_selectorILNS1_17partition_subalgoE2EsNS0_10empty_typeEbEEZZNS1_14partition_implILS5_2ELb0ES3_jN6thrust23THRUST_200600_302600_NS6detail15normal_iteratorINSA_7pointerIsNSA_11hip_rocprim3tagENSA_11use_defaultESG_EEEEPS6_NSA_18transform_iteratorI10is_orderedNSA_12zip_iteratorINSA_5tupleINSC_INSA_10device_ptrIsEEEESQ_NSA_9null_typeESR_SR_SR_SR_SR_SR_SR_EEEESG_SG_EENS0_5tupleIJPsSJ_EEENSV_IJSJ_SJ_EEES6_PlJS6_EEE10hipError_tPvRmT3_T4_T5_T6_T7_T9_mT8_P12ihipStream_tbDpT10_ENKUlT_T0_E_clISt17integral_constantIbLb0EES1I_IbLb1EEEEDaS1E_S1F_EUlS1E_E_NS1_11comp_targetILNS1_3genE5ELNS1_11target_archE942ELNS1_3gpuE9ELNS1_3repE0EEENS1_30default_config_static_selectorELNS0_4arch9wavefront6targetE1EEEvT1_
	.globl	_ZN7rocprim17ROCPRIM_400000_NS6detail17trampoline_kernelINS0_14default_configENS1_25partition_config_selectorILNS1_17partition_subalgoE2EsNS0_10empty_typeEbEEZZNS1_14partition_implILS5_2ELb0ES3_jN6thrust23THRUST_200600_302600_NS6detail15normal_iteratorINSA_7pointerIsNSA_11hip_rocprim3tagENSA_11use_defaultESG_EEEEPS6_NSA_18transform_iteratorI10is_orderedNSA_12zip_iteratorINSA_5tupleINSC_INSA_10device_ptrIsEEEESQ_NSA_9null_typeESR_SR_SR_SR_SR_SR_SR_EEEESG_SG_EENS0_5tupleIJPsSJ_EEENSV_IJSJ_SJ_EEES6_PlJS6_EEE10hipError_tPvRmT3_T4_T5_T6_T7_T9_mT8_P12ihipStream_tbDpT10_ENKUlT_T0_E_clISt17integral_constantIbLb0EES1I_IbLb1EEEEDaS1E_S1F_EUlS1E_E_NS1_11comp_targetILNS1_3genE5ELNS1_11target_archE942ELNS1_3gpuE9ELNS1_3repE0EEENS1_30default_config_static_selectorELNS0_4arch9wavefront6targetE1EEEvT1_
	.p2align	8
	.type	_ZN7rocprim17ROCPRIM_400000_NS6detail17trampoline_kernelINS0_14default_configENS1_25partition_config_selectorILNS1_17partition_subalgoE2EsNS0_10empty_typeEbEEZZNS1_14partition_implILS5_2ELb0ES3_jN6thrust23THRUST_200600_302600_NS6detail15normal_iteratorINSA_7pointerIsNSA_11hip_rocprim3tagENSA_11use_defaultESG_EEEEPS6_NSA_18transform_iteratorI10is_orderedNSA_12zip_iteratorINSA_5tupleINSC_INSA_10device_ptrIsEEEESQ_NSA_9null_typeESR_SR_SR_SR_SR_SR_SR_EEEESG_SG_EENS0_5tupleIJPsSJ_EEENSV_IJSJ_SJ_EEES6_PlJS6_EEE10hipError_tPvRmT3_T4_T5_T6_T7_T9_mT8_P12ihipStream_tbDpT10_ENKUlT_T0_E_clISt17integral_constantIbLb0EES1I_IbLb1EEEEDaS1E_S1F_EUlS1E_E_NS1_11comp_targetILNS1_3genE5ELNS1_11target_archE942ELNS1_3gpuE9ELNS1_3repE0EEENS1_30default_config_static_selectorELNS0_4arch9wavefront6targetE1EEEvT1_,@function
_ZN7rocprim17ROCPRIM_400000_NS6detail17trampoline_kernelINS0_14default_configENS1_25partition_config_selectorILNS1_17partition_subalgoE2EsNS0_10empty_typeEbEEZZNS1_14partition_implILS5_2ELb0ES3_jN6thrust23THRUST_200600_302600_NS6detail15normal_iteratorINSA_7pointerIsNSA_11hip_rocprim3tagENSA_11use_defaultESG_EEEEPS6_NSA_18transform_iteratorI10is_orderedNSA_12zip_iteratorINSA_5tupleINSC_INSA_10device_ptrIsEEEESQ_NSA_9null_typeESR_SR_SR_SR_SR_SR_SR_EEEESG_SG_EENS0_5tupleIJPsSJ_EEENSV_IJSJ_SJ_EEES6_PlJS6_EEE10hipError_tPvRmT3_T4_T5_T6_T7_T9_mT8_P12ihipStream_tbDpT10_ENKUlT_T0_E_clISt17integral_constantIbLb0EES1I_IbLb1EEEEDaS1E_S1F_EUlS1E_E_NS1_11comp_targetILNS1_3genE5ELNS1_11target_archE942ELNS1_3gpuE9ELNS1_3repE0EEENS1_30default_config_static_selectorELNS0_4arch9wavefront6targetE1EEEvT1_: ; @_ZN7rocprim17ROCPRIM_400000_NS6detail17trampoline_kernelINS0_14default_configENS1_25partition_config_selectorILNS1_17partition_subalgoE2EsNS0_10empty_typeEbEEZZNS1_14partition_implILS5_2ELb0ES3_jN6thrust23THRUST_200600_302600_NS6detail15normal_iteratorINSA_7pointerIsNSA_11hip_rocprim3tagENSA_11use_defaultESG_EEEEPS6_NSA_18transform_iteratorI10is_orderedNSA_12zip_iteratorINSA_5tupleINSC_INSA_10device_ptrIsEEEESQ_NSA_9null_typeESR_SR_SR_SR_SR_SR_SR_EEEESG_SG_EENS0_5tupleIJPsSJ_EEENSV_IJSJ_SJ_EEES6_PlJS6_EEE10hipError_tPvRmT3_T4_T5_T6_T7_T9_mT8_P12ihipStream_tbDpT10_ENKUlT_T0_E_clISt17integral_constantIbLb0EES1I_IbLb1EEEEDaS1E_S1F_EUlS1E_E_NS1_11comp_targetILNS1_3genE5ELNS1_11target_archE942ELNS1_3gpuE9ELNS1_3repE0EEENS1_30default_config_static_selectorELNS0_4arch9wavefront6targetE1EEEvT1_
; %bb.0:
	s_load_dwordx2 s[28:29], s[0:1], 0x38
	s_load_dwordx4 s[20:23], s[0:1], 0x58
	s_load_dwordx2 s[30:31], s[0:1], 0x68
	s_load_dwordx2 s[36:37], s[0:1], 0x78
	v_cmp_eq_u32_e64 s[18:19], 0, v0
	s_and_saveexec_b64 s[2:3], s[18:19]
	s_cbranch_execz .LBB3651_4
; %bb.1:
	s_mov_b64 s[6:7], exec
	v_mbcnt_lo_u32_b32 v1, s6, 0
	v_mbcnt_hi_u32_b32 v1, s7, v1
	v_cmp_eq_u32_e32 vcc, 0, v1
                                        ; implicit-def: $vgpr2
	s_and_saveexec_b64 s[4:5], vcc
	s_cbranch_execz .LBB3651_3
; %bb.2:
	s_load_dwordx2 s[8:9], s[0:1], 0x88
	s_bcnt1_i32_b64 s6, s[6:7]
	v_mov_b32_e32 v2, 0
	v_mov_b32_e32 v3, s6
	s_waitcnt lgkmcnt(0)
	global_atomic_add v2, v2, v3, s[8:9] sc0
.LBB3651_3:
	s_or_b64 exec, exec, s[4:5]
	s_waitcnt vmcnt(0)
	v_readfirstlane_b32 s4, v2
	v_mov_b32_e32 v2, 0
	s_nop 0
	v_add_u32_e32 v1, s4, v1
	ds_write_b32 v2, v1
.LBB3651_4:
	s_or_b64 exec, exec, s[2:3]
	v_mov_b32_e32 v13, 0
	s_load_dwordx4 s[24:27], s[0:1], 0x8
	s_load_dwordx4 s[4:7], s[0:1], 0x20
	s_load_dword s8, s[0:1], 0x80
	s_waitcnt lgkmcnt(0)
	s_barrier
	ds_read_b32 v1, v13
	s_waitcnt lgkmcnt(0)
	s_barrier
	global_load_dwordx2 v[14:15], v13, s[22:23]
	s_lshl_b64 s[2:3], s[26:27], 1
	s_add_u32 s10, s24, s2
	s_mul_i32 s0, s8, 0x3c00
	s_addc_u32 s11, s25, s3
	s_add_i32 s1, s0, s26
	s_sub_i32 s33, s30, s1
	s_add_i32 s9, s8, -1
	s_addk_i32 s33, 0x3c00
	s_add_u32 s0, s26, s0
	v_readfirstlane_b32 s42, v1
	s_addc_u32 s1, s27, 0
	s_cmp_eq_u32 s42, s9
	v_mov_b64_e32 v[2:3], s[30:31]
	s_cselect_b64 s[22:23], -1, 0
	s_cmp_lg_u32 s42, s9
	s_mul_i32 s24, s42, 0x3c00
	s_mov_b32 s25, 0
	v_cmp_lt_u64_e32 vcc, s[0:1], v[2:3]
	s_cselect_b64 s[0:1], -1, 0
	s_or_b64 s[34:35], vcc, s[0:1]
	s_lshl_b64 s[8:9], s[24:25], 1
	s_add_u32 s10, s10, s8
	s_addc_u32 s11, s11, s9
	s_mov_b64 s[0:1], -1
	s_and_b64 vcc, exec, s[34:35]
	v_lshlrev_b32_e32 v12, 1, v0
	s_cbranch_vccz .LBB3651_6
; %bb.5:
	v_lshl_add_u64 v[2:3], s[10:11], 0, v[12:13]
	v_add_co_u32_e32 v4, vcc, 0x1000, v2
	s_mov_b64 s[0:1], 0
	s_nop 0
	v_addc_co_u32_e32 v5, vcc, 0, v3, vcc
	flat_load_ushort v1, v[2:3]
	flat_load_ushort v8, v[2:3] offset:1024
	flat_load_ushort v9, v[2:3] offset:2048
	flat_load_ushort v10, v[2:3] offset:3072
	flat_load_ushort v11, v[4:5]
	flat_load_ushort v13, v[4:5] offset:1024
	flat_load_ushort v16, v[4:5] offset:2048
	flat_load_ushort v17, v[4:5] offset:3072
	v_add_co_u32_e32 v4, vcc, 0x2000, v2
	s_nop 1
	v_addc_co_u32_e32 v5, vcc, 0, v3, vcc
	v_add_co_u32_e32 v6, vcc, 0x3000, v2
	s_nop 1
	v_addc_co_u32_e32 v7, vcc, 0, v3, vcc
	flat_load_ushort v18, v[4:5]
	flat_load_ushort v19, v[4:5] offset:1024
	flat_load_ushort v20, v[4:5] offset:2048
	flat_load_ushort v21, v[4:5] offset:3072
	flat_load_ushort v22, v[6:7]
	flat_load_ushort v23, v[6:7] offset:1024
	flat_load_ushort v24, v[6:7] offset:2048
	flat_load_ushort v25, v[6:7] offset:3072
	v_add_co_u32_e32 v4, vcc, 0x4000, v2
	s_nop 1
	v_addc_co_u32_e32 v5, vcc, 0, v3, vcc
	v_add_co_u32_e32 v6, vcc, 0x5000, v2
	;; [unrolled: 14-line block ×3, first 2 shown]
	s_nop 1
	v_addc_co_u32_e32 v3, vcc, 0, v3, vcc
	flat_load_ushort v6, v[4:5]
	flat_load_ushort v7, v[4:5] offset:1024
	flat_load_ushort v34, v[4:5] offset:2048
	;; [unrolled: 1-line block ×3, first 2 shown]
	flat_load_ushort v36, v[2:3]
	flat_load_ushort v37, v[2:3] offset:1024
	s_waitcnt vmcnt(0) lgkmcnt(0)
	ds_write_b16 v12, v1
	ds_write_b16 v12, v8 offset:1024
	ds_write_b16 v12, v9 offset:2048
	;; [unrolled: 1-line block ×29, first 2 shown]
	s_waitcnt lgkmcnt(0)
	s_barrier
.LBB3651_6:
	s_andn2_b64 vcc, exec, s[0:1]
	v_cmp_gt_u32_e64 s[0:1], s33, v0
	s_cbranch_vccnz .LBB3651_68
; %bb.7:
                                        ; implicit-def: $vgpr1
	s_and_saveexec_b64 s[12:13], s[0:1]
	s_cbranch_execz .LBB3651_9
; %bb.8:
	v_mov_b32_e32 v13, 0
	v_lshl_add_u64 v[2:3], s[10:11], 0, v[12:13]
	flat_load_ushort v1, v[2:3]
.LBB3651_9:
	s_or_b64 exec, exec, s[12:13]
	v_or_b32_e32 v2, 0x200, v0
	v_cmp_gt_u32_e32 vcc, s33, v2
                                        ; implicit-def: $vgpr2
	s_and_saveexec_b64 s[0:1], vcc
	s_cbranch_execz .LBB3651_11
; %bb.10:
	v_mov_b32_e32 v13, 0
	v_lshl_add_u64 v[2:3], s[10:11], 0, v[12:13]
	flat_load_ushort v2, v[2:3] offset:1024
.LBB3651_11:
	s_or_b64 exec, exec, s[0:1]
	v_or_b32_e32 v3, 0x400, v0
	v_cmp_gt_u32_e32 vcc, s33, v3
                                        ; implicit-def: $vgpr3
	s_and_saveexec_b64 s[0:1], vcc
	s_cbranch_execz .LBB3651_13
; %bb.12:
	v_mov_b32_e32 v13, 0
	v_lshl_add_u64 v[4:5], s[10:11], 0, v[12:13]
	flat_load_ushort v3, v[4:5] offset:2048
.LBB3651_13:
	s_or_b64 exec, exec, s[0:1]
	v_or_b32_e32 v4, 0x600, v0
	v_cmp_gt_u32_e32 vcc, s33, v4
                                        ; implicit-def: $vgpr4
	s_and_saveexec_b64 s[0:1], vcc
	s_cbranch_execz .LBB3651_15
; %bb.14:
	v_mov_b32_e32 v13, 0
	v_lshl_add_u64 v[4:5], s[10:11], 0, v[12:13]
	flat_load_ushort v4, v[4:5] offset:3072
.LBB3651_15:
	s_or_b64 exec, exec, s[0:1]
	v_or_b32_e32 v6, 0x800, v0
	v_cmp_gt_u32_e32 vcc, s33, v6
                                        ; implicit-def: $vgpr5
	s_and_saveexec_b64 s[0:1], vcc
	s_cbranch_execz .LBB3651_17
; %bb.16:
	v_lshlrev_b32_e32 v6, 1, v6
	v_mov_b32_e32 v7, 0
	v_lshl_add_u64 v[6:7], s[10:11], 0, v[6:7]
	flat_load_ushort v5, v[6:7]
.LBB3651_17:
	s_or_b64 exec, exec, s[0:1]
	v_or_b32_e32 v7, 0xa00, v0
	v_cmp_gt_u32_e32 vcc, s33, v7
                                        ; implicit-def: $vgpr6
	s_and_saveexec_b64 s[0:1], vcc
	s_cbranch_execz .LBB3651_19
; %bb.18:
	v_lshlrev_b32_e32 v6, 1, v7
	v_mov_b32_e32 v7, 0
	v_lshl_add_u64 v[6:7], s[10:11], 0, v[6:7]
	flat_load_ushort v6, v[6:7]
.LBB3651_19:
	s_or_b64 exec, exec, s[0:1]
	v_or_b32_e32 v8, 0xc00, v0
	v_cmp_gt_u32_e32 vcc, s33, v8
                                        ; implicit-def: $vgpr7
	s_and_saveexec_b64 s[0:1], vcc
	s_cbranch_execz .LBB3651_21
; %bb.20:
	v_lshlrev_b32_e32 v8, 1, v8
	v_mov_b32_e32 v9, 0
	v_lshl_add_u64 v[8:9], s[10:11], 0, v[8:9]
	flat_load_ushort v7, v[8:9]
.LBB3651_21:
	s_or_b64 exec, exec, s[0:1]
	v_or_b32_e32 v9, 0xe00, v0
	v_cmp_gt_u32_e32 vcc, s33, v9
                                        ; implicit-def: $vgpr8
	s_and_saveexec_b64 s[0:1], vcc
	s_cbranch_execz .LBB3651_23
; %bb.22:
	v_lshlrev_b32_e32 v8, 1, v9
	v_mov_b32_e32 v9, 0
	v_lshl_add_u64 v[8:9], s[10:11], 0, v[8:9]
	flat_load_ushort v8, v[8:9]
.LBB3651_23:
	s_or_b64 exec, exec, s[0:1]
	v_or_b32_e32 v10, 0x1000, v0
	v_cmp_gt_u32_e32 vcc, s33, v10
                                        ; implicit-def: $vgpr9
	s_and_saveexec_b64 s[0:1], vcc
	s_cbranch_execz .LBB3651_25
; %bb.24:
	v_lshlrev_b32_e32 v10, 1, v10
	v_mov_b32_e32 v11, 0
	v_lshl_add_u64 v[10:11], s[10:11], 0, v[10:11]
	flat_load_ushort v9, v[10:11]
.LBB3651_25:
	s_or_b64 exec, exec, s[0:1]
	v_or_b32_e32 v11, 0x1200, v0
	v_cmp_gt_u32_e32 vcc, s33, v11
                                        ; implicit-def: $vgpr10
	s_and_saveexec_b64 s[0:1], vcc
	s_cbranch_execz .LBB3651_27
; %bb.26:
	v_lshlrev_b32_e32 v10, 1, v11
	v_mov_b32_e32 v11, 0
	v_lshl_add_u64 v[10:11], s[10:11], 0, v[10:11]
	flat_load_ushort v10, v[10:11]
.LBB3651_27:
	s_or_b64 exec, exec, s[0:1]
	v_or_b32_e32 v13, 0x1400, v0
	v_cmp_gt_u32_e32 vcc, s33, v13
                                        ; implicit-def: $vgpr11
	s_and_saveexec_b64 s[0:1], vcc
	s_cbranch_execz .LBB3651_29
; %bb.28:
	v_lshlrev_b32_e32 v16, 1, v13
	v_mov_b32_e32 v17, 0
	v_lshl_add_u64 v[16:17], s[10:11], 0, v[16:17]
	flat_load_ushort v11, v[16:17]
.LBB3651_29:
	s_or_b64 exec, exec, s[0:1]
	v_or_b32_e32 v16, 0x1600, v0
	v_cmp_gt_u32_e32 vcc, s33, v16
                                        ; implicit-def: $vgpr13
	s_and_saveexec_b64 s[0:1], vcc
	s_cbranch_execz .LBB3651_31
; %bb.30:
	v_lshlrev_b32_e32 v16, 1, v16
	v_mov_b32_e32 v17, 0
	v_lshl_add_u64 v[16:17], s[10:11], 0, v[16:17]
	flat_load_ushort v13, v[16:17]
.LBB3651_31:
	s_or_b64 exec, exec, s[0:1]
	v_or_b32_e32 v17, 0x1800, v0
	v_cmp_gt_u32_e32 vcc, s33, v17
                                        ; implicit-def: $vgpr16
	s_and_saveexec_b64 s[0:1], vcc
	s_cbranch_execz .LBB3651_33
; %bb.32:
	v_lshlrev_b32_e32 v16, 1, v17
	v_mov_b32_e32 v17, 0
	v_lshl_add_u64 v[16:17], s[10:11], 0, v[16:17]
	flat_load_ushort v16, v[16:17]
.LBB3651_33:
	s_or_b64 exec, exec, s[0:1]
	v_or_b32_e32 v18, 0x1a00, v0
	v_cmp_gt_u32_e32 vcc, s33, v18
                                        ; implicit-def: $vgpr17
	s_and_saveexec_b64 s[0:1], vcc
	s_cbranch_execz .LBB3651_35
; %bb.34:
	v_lshlrev_b32_e32 v18, 1, v18
	v_mov_b32_e32 v19, 0
	v_lshl_add_u64 v[18:19], s[10:11], 0, v[18:19]
	flat_load_ushort v17, v[18:19]
.LBB3651_35:
	s_or_b64 exec, exec, s[0:1]
	v_or_b32_e32 v19, 0x1c00, v0
	v_cmp_gt_u32_e32 vcc, s33, v19
                                        ; implicit-def: $vgpr18
	s_and_saveexec_b64 s[0:1], vcc
	s_cbranch_execz .LBB3651_37
; %bb.36:
	v_lshlrev_b32_e32 v18, 1, v19
	v_mov_b32_e32 v19, 0
	v_lshl_add_u64 v[18:19], s[10:11], 0, v[18:19]
	flat_load_ushort v18, v[18:19]
.LBB3651_37:
	s_or_b64 exec, exec, s[0:1]
	v_or_b32_e32 v20, 0x1e00, v0
	v_cmp_gt_u32_e32 vcc, s33, v20
                                        ; implicit-def: $vgpr19
	s_and_saveexec_b64 s[0:1], vcc
	s_cbranch_execz .LBB3651_39
; %bb.38:
	v_lshlrev_b32_e32 v20, 1, v20
	v_mov_b32_e32 v21, 0
	v_lshl_add_u64 v[20:21], s[10:11], 0, v[20:21]
	flat_load_ushort v19, v[20:21]
.LBB3651_39:
	s_or_b64 exec, exec, s[0:1]
	v_or_b32_e32 v21, 0x2000, v0
	v_cmp_gt_u32_e32 vcc, s33, v21
                                        ; implicit-def: $vgpr20
	s_and_saveexec_b64 s[0:1], vcc
	s_cbranch_execz .LBB3651_41
; %bb.40:
	v_lshlrev_b32_e32 v20, 1, v21
	v_mov_b32_e32 v21, 0
	v_lshl_add_u64 v[20:21], s[10:11], 0, v[20:21]
	flat_load_ushort v20, v[20:21]
.LBB3651_41:
	s_or_b64 exec, exec, s[0:1]
	v_or_b32_e32 v22, 0x2200, v0
	v_cmp_gt_u32_e32 vcc, s33, v22
                                        ; implicit-def: $vgpr21
	s_and_saveexec_b64 s[0:1], vcc
	s_cbranch_execz .LBB3651_43
; %bb.42:
	v_lshlrev_b32_e32 v22, 1, v22
	v_mov_b32_e32 v23, 0
	v_lshl_add_u64 v[22:23], s[10:11], 0, v[22:23]
	flat_load_ushort v21, v[22:23]
.LBB3651_43:
	s_or_b64 exec, exec, s[0:1]
	v_or_b32_e32 v23, 0x2400, v0
	v_cmp_gt_u32_e32 vcc, s33, v23
                                        ; implicit-def: $vgpr22
	s_and_saveexec_b64 s[0:1], vcc
	s_cbranch_execz .LBB3651_45
; %bb.44:
	v_lshlrev_b32_e32 v22, 1, v23
	v_mov_b32_e32 v23, 0
	v_lshl_add_u64 v[22:23], s[10:11], 0, v[22:23]
	flat_load_ushort v22, v[22:23]
.LBB3651_45:
	s_or_b64 exec, exec, s[0:1]
	v_or_b32_e32 v24, 0x2600, v0
	v_cmp_gt_u32_e32 vcc, s33, v24
                                        ; implicit-def: $vgpr23
	s_and_saveexec_b64 s[0:1], vcc
	s_cbranch_execz .LBB3651_47
; %bb.46:
	v_lshlrev_b32_e32 v24, 1, v24
	v_mov_b32_e32 v25, 0
	v_lshl_add_u64 v[24:25], s[10:11], 0, v[24:25]
	flat_load_ushort v23, v[24:25]
.LBB3651_47:
	s_or_b64 exec, exec, s[0:1]
	v_or_b32_e32 v25, 0x2800, v0
	v_cmp_gt_u32_e32 vcc, s33, v25
                                        ; implicit-def: $vgpr24
	s_and_saveexec_b64 s[0:1], vcc
	s_cbranch_execz .LBB3651_49
; %bb.48:
	v_lshlrev_b32_e32 v24, 1, v25
	v_mov_b32_e32 v25, 0
	v_lshl_add_u64 v[24:25], s[10:11], 0, v[24:25]
	flat_load_ushort v24, v[24:25]
.LBB3651_49:
	s_or_b64 exec, exec, s[0:1]
	v_or_b32_e32 v26, 0x2a00, v0
	v_cmp_gt_u32_e32 vcc, s33, v26
                                        ; implicit-def: $vgpr25
	s_and_saveexec_b64 s[0:1], vcc
	s_cbranch_execz .LBB3651_51
; %bb.50:
	v_lshlrev_b32_e32 v26, 1, v26
	v_mov_b32_e32 v27, 0
	v_lshl_add_u64 v[26:27], s[10:11], 0, v[26:27]
	flat_load_ushort v25, v[26:27]
.LBB3651_51:
	s_or_b64 exec, exec, s[0:1]
	v_or_b32_e32 v27, 0x2c00, v0
	v_cmp_gt_u32_e32 vcc, s33, v27
                                        ; implicit-def: $vgpr26
	s_and_saveexec_b64 s[0:1], vcc
	s_cbranch_execz .LBB3651_53
; %bb.52:
	v_lshlrev_b32_e32 v26, 1, v27
	v_mov_b32_e32 v27, 0
	v_lshl_add_u64 v[26:27], s[10:11], 0, v[26:27]
	flat_load_ushort v26, v[26:27]
.LBB3651_53:
	s_or_b64 exec, exec, s[0:1]
	v_or_b32_e32 v28, 0x2e00, v0
	v_cmp_gt_u32_e32 vcc, s33, v28
                                        ; implicit-def: $vgpr27
	s_and_saveexec_b64 s[0:1], vcc
	s_cbranch_execz .LBB3651_55
; %bb.54:
	v_lshlrev_b32_e32 v28, 1, v28
	v_mov_b32_e32 v29, 0
	v_lshl_add_u64 v[28:29], s[10:11], 0, v[28:29]
	flat_load_ushort v27, v[28:29]
.LBB3651_55:
	s_or_b64 exec, exec, s[0:1]
	v_or_b32_e32 v29, 0x3000, v0
	v_cmp_gt_u32_e32 vcc, s33, v29
                                        ; implicit-def: $vgpr28
	s_and_saveexec_b64 s[0:1], vcc
	s_cbranch_execz .LBB3651_57
; %bb.56:
	v_lshlrev_b32_e32 v28, 1, v29
	v_mov_b32_e32 v29, 0
	v_lshl_add_u64 v[28:29], s[10:11], 0, v[28:29]
	flat_load_ushort v28, v[28:29]
.LBB3651_57:
	s_or_b64 exec, exec, s[0:1]
	v_or_b32_e32 v30, 0x3200, v0
	v_cmp_gt_u32_e32 vcc, s33, v30
                                        ; implicit-def: $vgpr29
	s_and_saveexec_b64 s[0:1], vcc
	s_cbranch_execz .LBB3651_59
; %bb.58:
	v_lshlrev_b32_e32 v30, 1, v30
	v_mov_b32_e32 v31, 0
	v_lshl_add_u64 v[30:31], s[10:11], 0, v[30:31]
	flat_load_ushort v29, v[30:31]
.LBB3651_59:
	s_or_b64 exec, exec, s[0:1]
	v_or_b32_e32 v31, 0x3400, v0
	v_cmp_gt_u32_e32 vcc, s33, v31
                                        ; implicit-def: $vgpr30
	s_and_saveexec_b64 s[0:1], vcc
	s_cbranch_execz .LBB3651_61
; %bb.60:
	v_lshlrev_b32_e32 v30, 1, v31
	v_mov_b32_e32 v31, 0
	v_lshl_add_u64 v[30:31], s[10:11], 0, v[30:31]
	flat_load_ushort v30, v[30:31]
.LBB3651_61:
	s_or_b64 exec, exec, s[0:1]
	v_or_b32_e32 v32, 0x3600, v0
	v_cmp_gt_u32_e32 vcc, s33, v32
                                        ; implicit-def: $vgpr31
	s_and_saveexec_b64 s[0:1], vcc
	s_cbranch_execz .LBB3651_63
; %bb.62:
	v_lshlrev_b32_e32 v32, 1, v32
	v_mov_b32_e32 v33, 0
	v_lshl_add_u64 v[32:33], s[10:11], 0, v[32:33]
	flat_load_ushort v31, v[32:33]
.LBB3651_63:
	s_or_b64 exec, exec, s[0:1]
	v_or_b32_e32 v33, 0x3800, v0
	v_cmp_gt_u32_e32 vcc, s33, v33
                                        ; implicit-def: $vgpr32
	s_and_saveexec_b64 s[0:1], vcc
	s_cbranch_execz .LBB3651_65
; %bb.64:
	v_lshlrev_b32_e32 v32, 1, v33
	v_mov_b32_e32 v33, 0
	v_lshl_add_u64 v[32:33], s[10:11], 0, v[32:33]
	flat_load_ushort v32, v[32:33]
.LBB3651_65:
	s_or_b64 exec, exec, s[0:1]
	v_or_b32_e32 v34, 0x3a00, v0
	v_cmp_gt_u32_e32 vcc, s33, v34
                                        ; implicit-def: $vgpr33
	s_and_saveexec_b64 s[0:1], vcc
	s_cbranch_execz .LBB3651_67
; %bb.66:
	v_lshlrev_b32_e32 v34, 1, v34
	v_mov_b32_e32 v35, 0
	v_lshl_add_u64 v[34:35], s[10:11], 0, v[34:35]
	flat_load_ushort v33, v[34:35]
.LBB3651_67:
	s_or_b64 exec, exec, s[0:1]
	s_waitcnt vmcnt(0) lgkmcnt(0)
	ds_write_b16 v12, v1
	ds_write_b16 v12, v2 offset:1024
	ds_write_b16 v12, v3 offset:2048
	;; [unrolled: 1-line block ×29, first 2 shown]
	s_waitcnt lgkmcnt(0)
	s_barrier
.LBB3651_68:
	v_mul_u32_u24_e32 v9, 30, v0
	v_lshlrev_b32_e32 v2, 1, v9
	ds_read2_b32 v[28:29], v2 offset1:1
	ds_read2_b32 v[26:27], v2 offset0:2 offset1:3
	ds_read2_b32 v[24:25], v2 offset0:4 offset1:5
	;; [unrolled: 1-line block ×3, first 2 shown]
	ds_read_b32 v1, v2 offset:56
	ds_read2_b32 v[16:17], v2 offset0:12 offset1:13
	ds_read2_b32 v[18:19], v2 offset0:10 offset1:11
	;; [unrolled: 1-line block ×3, first 2 shown]
	s_add_u32 s0, s4, s2
	s_addc_u32 s1, s5, s3
	s_add_u32 s2, s6, s2
	s_addc_u32 s3, s7, s3
	;; [unrolled: 2-line block ×4, first 2 shown]
	s_mov_b64 s[4:5], -1
	s_and_b64 vcc, exec, s[34:35]
	s_waitcnt lgkmcnt(0)
	s_barrier
	s_cbranch_vccz .LBB3651_70
; %bb.69:
	v_mov_b32_e32 v13, 0
	v_lshl_add_u64 v[2:3], s[0:1], 0, v[12:13]
	s_movk_i32 s4, 0x1000
	v_lshl_add_u64 v[4:5], s[2:3], 0, v[12:13]
	global_load_ushort v8, v12, s[0:1]
	global_load_ushort v13, v12, s[0:1] offset:1024
	global_load_ushort v34, v12, s[0:1] offset:2048
	;; [unrolled: 1-line block ×5, first 2 shown]
	global_load_ushort v38, v12, s[2:3]
	global_load_ushort v39, v12, s[0:1] offset:3072
	v_add_co_u32_e32 v6, vcc, s4, v2
	s_movk_i32 s5, 0x2000
	s_nop 0
	v_addc_co_u32_e32 v7, vcc, 0, v3, vcc
	v_add_co_u32_e32 v10, vcc, s5, v2
	s_nop 1
	v_addc_co_u32_e32 v11, vcc, 0, v3, vcc
	v_add_co_u32_e32 v30, vcc, s4, v4
	s_movk_i32 s4, 0x3000
	s_nop 0
	v_addc_co_u32_e32 v31, vcc, 0, v5, vcc
	v_add_co_u32_e32 v32, vcc, s5, v4
	s_movk_i32 s5, 0x4000
	s_nop 0
	v_addc_co_u32_e32 v33, vcc, 0, v5, vcc
	global_load_ushort v40, v[6:7], off offset:1024
	global_load_ushort v41, v[6:7], off offset:2048
	;; [unrolled: 1-line block ×6, first 2 shown]
	global_load_ushort v46, v[10:11], off offset:-4096
	global_load_ushort v47, v[10:11], off
	global_load_ushort v48, v[10:11], off offset:1024
	global_load_ushort v49, v[10:11], off offset:2048
	;; [unrolled: 1-line block ×3, first 2 shown]
	global_load_ushort v51, v[32:33], off offset:-4096
	global_load_ushort v52, v[32:33], off
	global_load_ushort v53, v[32:33], off offset:1024
	global_load_ushort v54, v[32:33], off offset:2048
                                        ; kill: killed $vgpr30 killed $vgpr31
                                        ; kill: killed $vgpr10 killed $vgpr11
                                        ; kill: killed $vgpr6 killed $vgpr7
	global_load_ushort v55, v[32:33], off offset:3072
	v_add_co_u32_e32 v6, vcc, s4, v2
	s_nop 1
	v_addc_co_u32_e32 v7, vcc, 0, v3, vcc
	v_add_co_u32_e32 v10, vcc, s5, v2
	s_nop 1
	v_addc_co_u32_e32 v11, vcc, 0, v3, vcc
	v_add_co_u32_e32 v30, vcc, s4, v4
	s_movk_i32 s4, 0x5000
	s_nop 0
	v_addc_co_u32_e32 v31, vcc, 0, v5, vcc
	v_add_co_u32_e32 v32, vcc, s5, v4
	s_movk_i32 s5, 0x6000
	s_nop 0
	v_addc_co_u32_e32 v33, vcc, 0, v5, vcc
	global_load_ushort v56, v[6:7], off offset:1024
	global_load_ushort v57, v[6:7], off offset:2048
	;; [unrolled: 1-line block ×6, first 2 shown]
	global_load_ushort v62, v[10:11], off offset:-4096
	global_load_ushort v63, v[10:11], off
	global_load_ushort v64, v[10:11], off offset:1024
	global_load_ushort v65, v[10:11], off offset:2048
	global_load_ushort v66, v[10:11], off offset:3072
	global_load_ushort v67, v[32:33], off offset:-4096
	global_load_ushort v68, v[32:33], off
	global_load_ushort v69, v[32:33], off offset:1024
	global_load_ushort v70, v[32:33], off offset:2048
                                        ; kill: killed $vgpr10 killed $vgpr11
                                        ; kill: killed $vgpr30 killed $vgpr31
                                        ; kill: killed $vgpr6 killed $vgpr7
	global_load_ushort v71, v[32:33], off offset:3072
	v_add_co_u32_e32 v6, vcc, s4, v2
	s_nop 1
	v_addc_co_u32_e32 v7, vcc, 0, v3, vcc
	v_add_co_u32_e32 v10, vcc, s5, v2
	s_nop 1
	v_addc_co_u32_e32 v11, vcc, 0, v3, vcc
	v_add_co_u32_e32 v30, vcc, s4, v4
	s_movk_i32 s4, 0x7000
	s_nop 0
	v_addc_co_u32_e32 v31, vcc, 0, v5, vcc
	v_add_co_u32_e32 v32, vcc, s5, v4
	s_nop 1
	v_addc_co_u32_e32 v33, vcc, 0, v5, vcc
	v_add_co_u32_e32 v2, vcc, s4, v2
	global_load_ushort v72, v[32:33], off offset:-4096
	global_load_ushort v73, v[6:7], off offset:1024
	global_load_ushort v74, v[6:7], off offset:2048
	;; [unrolled: 1-line block ×6, first 2 shown]
	global_load_ushort v79, v[10:11], off offset:-4096
	global_load_ushort v80, v[10:11], off
	global_load_ushort v81, v[10:11], off offset:1024
	global_load_ushort v82, v[10:11], off offset:2048
	;; [unrolled: 1-line block ×3, first 2 shown]
	global_load_ushort v84, v[32:33], off
	global_load_ushort v85, v[32:33], off offset:1024
	global_load_ushort v86, v[32:33], off offset:2048
                                        ; kill: killed $vgpr10 killed $vgpr11
                                        ; kill: killed $vgpr30 killed $vgpr31
                                        ; kill: killed $vgpr6 killed $vgpr7
	global_load_ushort v6, v[32:33], off offset:3072
	v_addc_co_u32_e32 v3, vcc, 0, v3, vcc
	v_add_co_u32_e32 v4, vcc, s4, v4
	s_mov_b64 s[4:5], 0
	s_nop 0
	v_addc_co_u32_e32 v5, vcc, 0, v5, vcc
	global_load_ushort v7, v[4:5], off
	global_load_ushort v10, v[2:3], off
	global_load_ushort v11, v[2:3], off offset:1024
	global_load_ushort v30, v[4:5], off offset:1024
	s_waitcnt vmcnt(53)
	v_cmp_le_i16_e32 vcc, v8, v38
	s_nop 1
	v_cndmask_b32_e64 v2, 0, 1, vcc
	v_cmp_le_i16_e32 vcc, v13, v35
	s_nop 1
	v_cndmask_b32_e64 v3, 0, 1, vcc
	;; [unrolled: 3-line block ×3, first 2 shown]
	s_waitcnt vmcnt(52)
	v_cmp_le_i16_e32 vcc, v39, v37
	s_nop 1
	v_cndmask_b32_e64 v5, 0, 1, vcc
	s_waitcnt vmcnt(40)
	v_cmp_le_i16_e32 vcc, v46, v51
	s_nop 1
	v_cndmask_b32_e64 v8, 0, 1, vcc
	v_cmp_le_i16_e32 vcc, v40, v43
	s_nop 1
	v_cndmask_b32_e64 v13, 0, 1, vcc
	v_cmp_le_i16_e32 vcc, v41, v44
	s_nop 1
	v_cndmask_b32_e64 v31, 0, 1, vcc
	v_cmp_le_i16_e32 vcc, v42, v45
	s_nop 1
	v_cndmask_b32_e64 v32, 0, 1, vcc
	s_waitcnt vmcnt(39)
	v_cmp_le_i16_e32 vcc, v47, v52
	s_nop 1
	v_cndmask_b32_e64 v33, 0, 1, vcc
	s_waitcnt vmcnt(38)
	v_cmp_le_i16_e32 vcc, v48, v53
	s_nop 1
	v_cndmask_b32_e64 v34, 0, 1, vcc
	s_waitcnt vmcnt(37)
	v_cmp_le_i16_e32 vcc, v49, v54
	s_nop 1
	v_cndmask_b32_e64 v35, 0, 1, vcc
	s_waitcnt vmcnt(36)
	v_cmp_le_i16_e32 vcc, v50, v55
	s_nop 1
	v_cndmask_b32_e64 v36, 0, 1, vcc
	s_waitcnt vmcnt(24)
	v_cmp_le_i16_e32 vcc, v62, v67
	s_nop 1
	v_cndmask_b32_e64 v37, 0, 1, vcc
	v_cmp_le_i16_e32 vcc, v56, v59
	s_nop 1
	v_cndmask_b32_e64 v38, 0, 1, vcc
	v_cmp_le_i16_e32 vcc, v57, v60
	s_nop 1
	v_cndmask_b32_e64 v39, 0, 1, vcc
	v_cmp_le_i16_e32 vcc, v58, v61
	s_nop 1
	v_cndmask_b32_e64 v40, 0, 1, vcc
	s_waitcnt vmcnt(23)
	v_cmp_le_i16_e32 vcc, v63, v68
	s_nop 1
	v_cndmask_b32_e64 v41, 0, 1, vcc
	s_waitcnt vmcnt(22)
	v_cmp_le_i16_e32 vcc, v64, v69
	s_nop 1
	v_cndmask_b32_e64 v42, 0, 1, vcc
	s_waitcnt vmcnt(21)
	v_cmp_le_i16_e32 vcc, v65, v70
	s_nop 1
	v_cndmask_b32_e64 v43, 0, 1, vcc
	;; [unrolled: 29-line block ×3, first 2 shown]
	s_waitcnt vmcnt(4)
	v_cmp_le_i16_e32 vcc, v83, v6
	s_nop 1
	v_cndmask_b32_e64 v6, 0, 1, vcc
	s_waitcnt vmcnt(2)
	v_cmp_le_i16_e32 vcc, v10, v7
	s_nop 1
	v_cndmask_b32_e64 v7, 0, 1, vcc
	;; [unrolled: 4-line block ×3, first 2 shown]
	ds_write_b8 v0, v2
	ds_write_b8 v0, v3 offset:512
	ds_write_b8 v0, v4 offset:1024
	;; [unrolled: 1-line block ×29, first 2 shown]
	s_waitcnt lgkmcnt(0)
	s_barrier
.LBB3651_70:
	s_andn2_b64 vcc, exec, s[4:5]
	s_cbranch_vccnz .LBB3651_132
; %bb.71:
	v_cmp_gt_u32_e32 vcc, s33, v0
	v_mov_b32_e32 v2, 0
	v_mov_b32_e32 v3, 0
	s_and_saveexec_b64 s[4:5], vcc
	s_cbranch_execz .LBB3651_73
; %bb.72:
	global_load_ushort v3, v12, s[0:1]
	global_load_ushort v4, v12, s[2:3]
	s_waitcnt vmcnt(0)
	v_cmp_le_i16_e32 vcc, v3, v4
	s_nop 1
	v_cndmask_b32_e64 v3, 0, 1, vcc
.LBB3651_73:
	s_or_b64 exec, exec, s[4:5]
	v_or_b32_e32 v4, 0x200, v0
	v_cmp_gt_u32_e32 vcc, s33, v4
	s_and_saveexec_b64 s[4:5], vcc
	s_cbranch_execz .LBB3651_75
; %bb.74:
	global_load_ushort v2, v12, s[0:1] offset:1024
	global_load_ushort v4, v12, s[2:3] offset:1024
	s_waitcnt vmcnt(0)
	v_cmp_le_i16_e32 vcc, v2, v4
	s_nop 1
	v_cndmask_b32_e64 v2, 0, 1, vcc
.LBB3651_75:
	s_or_b64 exec, exec, s[4:5]
	v_or_b32_e32 v4, 0x400, v0
	v_cmp_gt_u32_e32 vcc, s33, v4
	v_mov_b32_e32 v4, 0
	v_mov_b32_e32 v5, 0
	s_and_saveexec_b64 s[4:5], vcc
	s_cbranch_execz .LBB3651_77
; %bb.76:
	global_load_ushort v5, v12, s[0:1] offset:2048
	global_load_ushort v6, v12, s[2:3] offset:2048
	s_waitcnt vmcnt(0)
	v_cmp_le_i16_e32 vcc, v5, v6
	s_nop 1
	v_cndmask_b32_e64 v5, 0, 1, vcc
.LBB3651_77:
	s_or_b64 exec, exec, s[4:5]
	v_or_b32_e32 v6, 0x600, v0
	v_cmp_gt_u32_e32 vcc, s33, v6
	s_and_saveexec_b64 s[4:5], vcc
	s_cbranch_execz .LBB3651_79
; %bb.78:
	global_load_ushort v4, v12, s[0:1] offset:3072
	global_load_ushort v6, v12, s[2:3] offset:3072
	s_waitcnt vmcnt(0)
	v_cmp_le_i16_e32 vcc, v4, v6
	s_nop 1
	v_cndmask_b32_e64 v4, 0, 1, vcc
.LBB3651_79:
	s_or_b64 exec, exec, s[4:5]
	v_or_b32_e32 v8, 0x800, v0
	v_cmp_gt_u32_e32 vcc, s33, v8
	v_mov_b32_e32 v6, 0
	v_mov_b32_e32 v7, 0
	s_and_saveexec_b64 s[4:5], vcc
	s_cbranch_execz .LBB3651_81
; %bb.80:
	v_lshlrev_b32_e32 v7, 1, v8
	global_load_ushort v8, v7, s[0:1]
	global_load_ushort v10, v7, s[2:3]
	s_waitcnt vmcnt(0)
	v_cmp_le_i16_e32 vcc, v8, v10
	s_nop 1
	v_cndmask_b32_e64 v7, 0, 1, vcc
.LBB3651_81:
	s_or_b64 exec, exec, s[4:5]
	v_or_b32_e32 v8, 0xa00, v0
	v_cmp_gt_u32_e32 vcc, s33, v8
	s_and_saveexec_b64 s[4:5], vcc
	s_cbranch_execz .LBB3651_83
; %bb.82:
	v_lshlrev_b32_e32 v6, 1, v8
	global_load_ushort v8, v6, s[0:1]
	global_load_ushort v10, v6, s[2:3]
	s_waitcnt vmcnt(0)
	v_cmp_le_i16_e32 vcc, v8, v10
	s_nop 1
	v_cndmask_b32_e64 v6, 0, 1, vcc
.LBB3651_83:
	s_or_b64 exec, exec, s[4:5]
	v_or_b32_e32 v11, 0xc00, v0
	v_cmp_gt_u32_e32 vcc, s33, v11
	v_mov_b32_e32 v8, 0
	v_mov_b32_e32 v10, 0
	s_and_saveexec_b64 s[4:5], vcc
	s_cbranch_execz .LBB3651_85
; %bb.84:
	v_lshlrev_b32_e32 v10, 1, v11
	global_load_ushort v11, v10, s[0:1]
	global_load_ushort v13, v10, s[2:3]
	s_waitcnt vmcnt(0)
	v_cmp_le_i16_e32 vcc, v11, v13
	s_nop 1
	v_cndmask_b32_e64 v10, 0, 1, vcc
.LBB3651_85:
	s_or_b64 exec, exec, s[4:5]
	v_or_b32_e32 v11, 0xe00, v0
	v_cmp_gt_u32_e32 vcc, s33, v11
	s_and_saveexec_b64 s[4:5], vcc
	s_cbranch_execz .LBB3651_87
; %bb.86:
	v_lshlrev_b32_e32 v8, 1, v11
	global_load_ushort v11, v8, s[0:1]
	global_load_ushort v13, v8, s[2:3]
	s_waitcnt vmcnt(0)
	v_cmp_le_i16_e32 vcc, v11, v13
	s_nop 1
	v_cndmask_b32_e64 v8, 0, 1, vcc
.LBB3651_87:
	;; [unrolled: 30-line block ×13, first 2 shown]
	s_or_b64 exec, exec, s[4:5]
	ds_write_b8 v0, v3
	ds_write_b8 v0, v2 offset:512
	ds_write_b8 v0, v5 offset:1024
	;; [unrolled: 1-line block ×29, first 2 shown]
	s_waitcnt lgkmcnt(0)
	s_barrier
.LBB3651_132:
	ds_read_b128 v[2:5], v9
	ds_read_b96 v[6:8], v9 offset:16
	ds_read_u16 v38, v9 offset:28
	s_cmp_lg_u32 s42, 0
	v_lshrrev_b32_e32 v67, 6, v0
	s_waitcnt lgkmcnt(0)
	v_lshrrev_b32_e32 v46, 24, v2
	v_bfe_u32 v65, v2, 16, 8
	v_add_u32_sdwa v10, v2, v2 dst_sel:DWORD dst_unused:UNUSED_PAD src0_sel:BYTE_1 src1_sel:BYTE_0
	v_and_b32_e32 v62, 0xff, v3
	v_bfe_u32 v63, v3, 8, 8
	v_add3_u32 v10, v10, v65, v46
	v_lshrrev_b32_e32 v45, 24, v3
	v_bfe_u32 v64, v3, 16, 8
	v_add3_u32 v10, v10, v62, v63
	v_and_b32_e32 v59, 0xff, v4
	v_bfe_u32 v60, v4, 8, 8
	v_add3_u32 v10, v10, v64, v45
	v_lshrrev_b32_e32 v44, 24, v4
	v_bfe_u32 v61, v4, 16, 8
	v_add3_u32 v10, v10, v59, v60
	;; [unrolled: 6-line block ×6, first 2 shown]
	v_lshrrev_b16_e32 v13, 8, v38
	v_and_b32_e32 v40, 0xff, v38
	v_add3_u32 v10, v10, v49, v39
	v_add3_u32 v68, v10, v40, v13
	v_mbcnt_lo_u32_b32 v10, -1, 0
	v_mbcnt_hi_u32_b32 v66, -1, v10
	v_and_b32_e32 v10, 15, v66
	v_cmp_eq_u32_e64 s[14:15], 0, v10
	v_cmp_lt_u32_e64 s[12:13], 1, v10
	v_cmp_lt_u32_e64 s[10:11], 3, v10
	;; [unrolled: 1-line block ×3, first 2 shown]
	v_and_b32_e32 v10, 16, v66
	v_cmp_eq_u32_e64 s[6:7], 0, v10
	v_or_b32_e32 v10, 63, v0
	v_cmp_lt_u32_e64 s[2:3], 31, v66
	v_cmp_eq_u32_e64 s[4:5], v10, v0
	s_barrier
	s_cbranch_scc0 .LBB3651_159
; %bb.133:
	v_mov_b32_dpp v10, v68 row_shr:1 row_mask:0xf bank_mask:0xf
	v_cndmask_b32_e64 v10, v10, 0, s[14:15]
	v_add_u32_e32 v10, v10, v68
	s_nop 1
	v_mov_b32_dpp v11, v10 row_shr:2 row_mask:0xf bank_mask:0xf
	v_cndmask_b32_e64 v11, 0, v11, s[12:13]
	v_add_u32_e32 v10, v10, v11
	s_nop 1
	;; [unrolled: 4-line block ×4, first 2 shown]
	v_mov_b32_dpp v11, v10 row_bcast:15 row_mask:0xf bank_mask:0xf
	v_cndmask_b32_e64 v11, v11, 0, s[6:7]
	v_add_u32_e32 v10, v10, v11
	s_nop 1
	v_mov_b32_dpp v11, v10 row_bcast:31 row_mask:0xf bank_mask:0xf
	v_cndmask_b32_e64 v11, 0, v11, s[2:3]
	v_add_u32_e32 v10, v10, v11
	s_and_saveexec_b64 s[0:1], s[4:5]
	s_cbranch_execz .LBB3651_135
; %bb.134:
	v_lshlrev_b32_e32 v11, 2, v67
	ds_write_b32 v11, v10
.LBB3651_135:
	s_or_b64 exec, exec, s[0:1]
	v_cmp_gt_u32_e32 vcc, 8, v0
	s_waitcnt lgkmcnt(0)
	s_barrier
	s_and_saveexec_b64 s[0:1], vcc
	s_cbranch_execz .LBB3651_137
; %bb.136:
	v_lshlrev_b32_e32 v11, 2, v0
	ds_read_b32 v30, v11
	v_and_b32_e32 v31, 7, v66
	v_cmp_ne_u32_e32 vcc, 0, v31
	s_waitcnt lgkmcnt(0)
	v_mov_b32_dpp v32, v30 row_shr:1 row_mask:0xf bank_mask:0xf
	v_cndmask_b32_e32 v32, 0, v32, vcc
	v_add_u32_e32 v30, v32, v30
	v_cmp_lt_u32_e32 vcc, 1, v31
	s_nop 0
	v_mov_b32_dpp v32, v30 row_shr:2 row_mask:0xf bank_mask:0xf
	v_cndmask_b32_e32 v32, 0, v32, vcc
	v_add_u32_e32 v30, v30, v32
	v_cmp_lt_u32_e32 vcc, 3, v31
	s_nop 0
	v_mov_b32_dpp v32, v30 row_shr:4 row_mask:0xf bank_mask:0xf
	v_cndmask_b32_e32 v31, 0, v32, vcc
	v_add_u32_e32 v30, v30, v31
	ds_write_b32 v11, v30
.LBB3651_137:
	s_or_b64 exec, exec, s[0:1]
	v_cmp_gt_u32_e32 vcc, 64, v0
	v_cmp_lt_u32_e64 s[0:1], 63, v0
	s_waitcnt lgkmcnt(0)
	s_barrier
	s_waitcnt lgkmcnt(0)
                                        ; implicit-def: $vgpr69
	s_and_saveexec_b64 s[16:17], s[0:1]
	s_cbranch_execz .LBB3651_139
; %bb.138:
	v_lshl_add_u32 v11, v67, 2, -4
	ds_read_b32 v69, v11
	s_waitcnt lgkmcnt(0)
	v_add_u32_e32 v10, v69, v10
.LBB3651_139:
	s_or_b64 exec, exec, s[16:17]
	v_add_u32_e32 v11, -1, v66
	v_and_b32_e32 v30, 64, v66
	v_cmp_lt_i32_e64 s[0:1], v11, v30
	v_cmp_eq_u32_e64 s[16:17], 0, v66
	s_nop 0
	v_cndmask_b32_e64 v11, v11, v66, s[0:1]
	v_lshlrev_b32_e32 v11, 2, v11
	ds_bpermute_b32 v70, v11, v10
	s_and_saveexec_b64 s[0:1], vcc
	s_cbranch_execz .LBB3651_158
; %bb.140:
	v_mov_b32_e32 v35, 0
	ds_read_b32 v10, v35 offset:28
	s_and_saveexec_b64 s[38:39], s[16:17]
	s_cbranch_execz .LBB3651_142
; %bb.141:
	s_add_i32 s40, s42, 64
	s_mov_b32 s41, 0
	s_lshl_b64 s[40:41], s[40:41], 3
	s_add_u32 s40, s36, s40
	v_mov_b32_e32 v11, 1
	s_addc_u32 s41, s37, s41
	s_waitcnt lgkmcnt(0)
	global_store_dwordx2 v35, v[10:11], s[40:41] sc1
.LBB3651_142:
	s_or_b64 exec, exec, s[38:39]
	v_xad_u32 v30, v66, -1, s42
	v_add_u32_e32 v34, 64, v30
	v_lshl_add_u64 v[36:37], v[34:35], 3, s[36:37]
	global_load_dwordx2 v[32:33], v[36:37], off sc1
	s_waitcnt vmcnt(0)
	v_cmp_eq_u16_sdwa s[40:41], v33, v35 src0_sel:BYTE_0 src1_sel:DWORD
	s_and_saveexec_b64 s[38:39], s[40:41]
	s_cbranch_execz .LBB3651_146
; %bb.143:
	s_mov_b64 s[40:41], 0
	v_mov_b32_e32 v11, 0
.LBB3651_144:                           ; =>This Inner Loop Header: Depth=1
	global_load_dwordx2 v[32:33], v[36:37], off sc1
	s_waitcnt vmcnt(0)
	v_cmp_ne_u16_sdwa s[44:45], v33, v11 src0_sel:BYTE_0 src1_sel:DWORD
	s_or_b64 s[40:41], s[44:45], s[40:41]
	s_andn2_b64 exec, exec, s[40:41]
	s_cbranch_execnz .LBB3651_144
; %bb.145:
	s_or_b64 exec, exec, s[40:41]
.LBB3651_146:
	s_or_b64 exec, exec, s[38:39]
	v_and_b32_e32 v72, 63, v66
	v_mov_b32_e32 v71, 2
	v_cmp_ne_u32_e32 vcc, 63, v72
	v_cmp_eq_u16_sdwa s[38:39], v33, v71 src0_sel:BYTE_0 src1_sel:DWORD
	v_lshlrev_b64 v[34:35], v66, -1
	v_addc_co_u32_e32 v36, vcc, 0, v66, vcc
	v_and_b32_e32 v11, s39, v35
	v_lshlrev_b32_e32 v73, 2, v36
	v_or_b32_e32 v11, 0x80000000, v11
	ds_bpermute_b32 v36, v73, v32
	v_and_b32_e32 v31, s38, v34
	v_ffbl_b32_e32 v11, v11
	v_add_u32_e32 v11, 32, v11
	v_ffbl_b32_e32 v31, v31
	v_min_u32_e32 v11, v31, v11
	v_cmp_lt_u32_e32 vcc, v72, v11
	v_add_u32_e32 v75, 2, v72
	v_add_u32_e32 v77, 4, v72
	s_waitcnt lgkmcnt(0)
	v_cndmask_b32_e32 v31, 0, v36, vcc
	v_cmp_gt_u32_e32 vcc, 62, v72
	v_add_u32_e32 v31, v31, v32
	v_add_u32_e32 v79, 8, v72
	v_cndmask_b32_e64 v32, 0, 1, vcc
	v_lshlrev_b32_e32 v32, 1, v32
	v_add_lshl_u32 v74, v32, v66, 2
	ds_bpermute_b32 v32, v74, v31
	v_cmp_le_u32_e32 vcc, v75, v11
	v_add_u32_e32 v81, 16, v72
	v_add_u32_e32 v83, 32, v72
	s_waitcnt lgkmcnt(0)
	v_cndmask_b32_e32 v32, 0, v32, vcc
	v_cmp_gt_u32_e32 vcc, 60, v72
	v_add_u32_e32 v31, v31, v32
	s_nop 0
	v_cndmask_b32_e64 v32, 0, 1, vcc
	v_lshlrev_b32_e32 v32, 2, v32
	v_add_lshl_u32 v76, v32, v66, 2
	ds_bpermute_b32 v32, v76, v31
	v_cmp_le_u32_e32 vcc, v77, v11
	s_waitcnt lgkmcnt(0)
	s_nop 0
	v_cndmask_b32_e32 v32, 0, v32, vcc
	v_cmp_gt_u32_e32 vcc, 56, v72
	v_add_u32_e32 v31, v31, v32
	s_nop 0
	v_cndmask_b32_e64 v32, 0, 1, vcc
	v_lshlrev_b32_e32 v32, 3, v32
	v_add_lshl_u32 v78, v32, v66, 2
	ds_bpermute_b32 v32, v78, v31
	v_cmp_le_u32_e32 vcc, v79, v11
	s_waitcnt lgkmcnt(0)
	s_nop 0
	;; [unrolled: 11-line block ×4, first 2 shown]
	v_cndmask_b32_e32 v11, 0, v32, vcc
	v_add_u32_e32 v32, v31, v11
	v_mov_b32_e32 v31, 0
	s_branch .LBB3651_148
.LBB3651_147:                           ;   in Loop: Header=BB3651_148 Depth=1
	s_or_b64 exec, exec, s[38:39]
	v_cmp_eq_u16_sdwa s[38:39], v33, v71 src0_sel:BYTE_0 src1_sel:DWORD
	ds_bpermute_b32 v84, v73, v32
	v_subrev_u32_e32 v30, 64, v30
	v_and_b32_e32 v36, s39, v35
	v_or_b32_e32 v36, 0x80000000, v36
	v_and_b32_e32 v37, s38, v34
	v_ffbl_b32_e32 v36, v36
	v_add_u32_e32 v36, 32, v36
	v_ffbl_b32_e32 v37, v37
	v_min_u32_e32 v36, v37, v36
	v_cmp_lt_u32_e32 vcc, v72, v36
	s_waitcnt lgkmcnt(0)
	s_nop 0
	v_cndmask_b32_e32 v37, 0, v84, vcc
	v_add_u32_e32 v32, v37, v32
	ds_bpermute_b32 v37, v74, v32
	v_cmp_le_u32_e32 vcc, v75, v36
	s_waitcnt lgkmcnt(0)
	s_nop 0
	v_cndmask_b32_e32 v37, 0, v37, vcc
	v_add_u32_e32 v32, v32, v37
	ds_bpermute_b32 v37, v76, v32
	v_cmp_le_u32_e32 vcc, v77, v36
	;; [unrolled: 6-line block ×5, first 2 shown]
	s_waitcnt lgkmcnt(0)
	s_nop 0
	v_cndmask_b32_e32 v36, 0, v37, vcc
	v_add3_u32 v32, v36, v11, v32
.LBB3651_148:                           ; =>This Loop Header: Depth=1
                                        ;     Child Loop BB3651_151 Depth 2
	v_cmp_ne_u16_sdwa s[38:39], v33, v71 src0_sel:BYTE_0 src1_sel:DWORD
	s_nop 1
	v_cndmask_b32_e64 v11, 0, 1, s[38:39]
	;;#ASMSTART
	;;#ASMEND
	s_nop 0
	v_cmp_ne_u32_e32 vcc, 0, v11
	s_cmp_lg_u64 vcc, exec
	v_mov_b32_e32 v11, v32
	s_cbranch_scc1 .LBB3651_153
; %bb.149:                              ;   in Loop: Header=BB3651_148 Depth=1
	v_lshl_add_u64 v[36:37], v[30:31], 3, s[36:37]
	global_load_dwordx2 v[32:33], v[36:37], off sc1
	s_waitcnt vmcnt(0)
	v_cmp_eq_u16_sdwa s[40:41], v33, v31 src0_sel:BYTE_0 src1_sel:DWORD
	s_and_saveexec_b64 s[38:39], s[40:41]
	s_cbranch_execz .LBB3651_147
; %bb.150:                              ;   in Loop: Header=BB3651_148 Depth=1
	s_mov_b64 s[40:41], 0
.LBB3651_151:                           ;   Parent Loop BB3651_148 Depth=1
                                        ; =>  This Inner Loop Header: Depth=2
	global_load_dwordx2 v[32:33], v[36:37], off sc1
	s_waitcnt vmcnt(0)
	v_cmp_ne_u16_sdwa s[44:45], v33, v31 src0_sel:BYTE_0 src1_sel:DWORD
	s_or_b64 s[40:41], s[44:45], s[40:41]
	s_andn2_b64 exec, exec, s[40:41]
	s_cbranch_execnz .LBB3651_151
; %bb.152:                              ;   in Loop: Header=BB3651_148 Depth=1
	s_or_b64 exec, exec, s[40:41]
	s_branch .LBB3651_147
.LBB3651_153:                           ;   in Loop: Header=BB3651_148 Depth=1
                                        ; implicit-def: $vgpr32
                                        ; implicit-def: $vgpr33
	s_cbranch_execz .LBB3651_148
; %bb.154:
	s_and_saveexec_b64 s[38:39], s[16:17]
	s_cbranch_execz .LBB3651_156
; %bb.155:
	s_add_i32 s40, s42, 64
	s_mov_b32 s41, 0
	s_lshl_b64 s[40:41], s[40:41], 3
	s_add_u32 s40, s36, s40
	v_add_u32_e32 v30, v11, v10
	v_mov_b32_e32 v31, 2
	s_addc_u32 s41, s37, s41
	v_mov_b32_e32 v32, 0
	global_store_dwordx2 v32, v[30:31], s[40:41] sc1
	ds_write_b64 v32, v[10:11] offset:30720
.LBB3651_156:
	s_or_b64 exec, exec, s[38:39]
	s_and_b64 exec, exec, s[18:19]
	s_cbranch_execz .LBB3651_158
; %bb.157:
	v_mov_b32_e32 v10, 0
	ds_write_b32 v10, v11 offset:28
.LBB3651_158:
	s_or_b64 exec, exec, s[0:1]
	v_mov_b32_e32 v10, 0
	s_waitcnt lgkmcnt(0)
	s_barrier
	ds_read_b32 v30, v10 offset:28
	s_waitcnt lgkmcnt(0)
	s_barrier
	ds_read_b64 v[10:11], v10 offset:30720
	v_cndmask_b32_e64 v31, v70, v69, s[16:17]
	v_cndmask_b32_e64 v31, v31, 0, s[18:19]
	v_add_u32_e32 v35, v30, v31
	s_waitcnt lgkmcnt(0)
	v_mov_b32_e32 v70, v11
	s_branch .LBB3651_169
.LBB3651_159:
                                        ; implicit-def: $vgpr70
                                        ; implicit-def: $vgpr10
                                        ; implicit-def: $vgpr35
	s_cbranch_execz .LBB3651_169
; %bb.160:
	s_nop 0
	v_mov_b32_dpp v10, v68 row_shr:1 row_mask:0xf bank_mask:0xf
	v_cndmask_b32_e64 v10, v10, 0, s[14:15]
	v_add_u32_e32 v10, v10, v68
	s_nop 1
	v_mov_b32_dpp v11, v10 row_shr:2 row_mask:0xf bank_mask:0xf
	v_cndmask_b32_e64 v11, 0, v11, s[12:13]
	v_add_u32_e32 v10, v10, v11
	s_nop 1
	v_mov_b32_dpp v11, v10 row_shr:4 row_mask:0xf bank_mask:0xf
	v_cndmask_b32_e64 v11, 0, v11, s[10:11]
	v_add_u32_e32 v10, v10, v11
	s_nop 1
	v_mov_b32_dpp v11, v10 row_shr:8 row_mask:0xf bank_mask:0xf
	v_cndmask_b32_e64 v11, 0, v11, s[8:9]
	v_add_u32_e32 v10, v10, v11
	s_nop 1
	v_mov_b32_dpp v11, v10 row_bcast:15 row_mask:0xf bank_mask:0xf
	v_cndmask_b32_e64 v11, v11, 0, s[6:7]
	v_add_u32_e32 v10, v10, v11
	s_nop 1
	v_mov_b32_dpp v11, v10 row_bcast:31 row_mask:0xf bank_mask:0xf
	v_cndmask_b32_e64 v11, 0, v11, s[2:3]
	v_add_u32_e32 v10, v10, v11
	s_and_saveexec_b64 s[0:1], s[4:5]
	s_cbranch_execz .LBB3651_162
; %bb.161:
	v_lshlrev_b32_e32 v11, 2, v67
	ds_write_b32 v11, v10
.LBB3651_162:
	s_or_b64 exec, exec, s[0:1]
	v_cmp_gt_u32_e32 vcc, 8, v0
	s_waitcnt lgkmcnt(0)
	s_barrier
	s_and_saveexec_b64 s[0:1], vcc
	s_cbranch_execz .LBB3651_164
; %bb.163:
	v_lshlrev_b32_e32 v11, 2, v0
	ds_read_b32 v30, v11
	v_and_b32_e32 v31, 7, v66
	v_cmp_ne_u32_e32 vcc, 0, v31
	s_waitcnt lgkmcnt(0)
	v_mov_b32_dpp v32, v30 row_shr:1 row_mask:0xf bank_mask:0xf
	v_cndmask_b32_e32 v32, 0, v32, vcc
	v_add_u32_e32 v30, v32, v30
	v_cmp_lt_u32_e32 vcc, 1, v31
	s_nop 0
	v_mov_b32_dpp v32, v30 row_shr:2 row_mask:0xf bank_mask:0xf
	v_cndmask_b32_e32 v32, 0, v32, vcc
	v_add_u32_e32 v30, v30, v32
	v_cmp_lt_u32_e32 vcc, 3, v31
	s_nop 0
	v_mov_b32_dpp v32, v30 row_shr:4 row_mask:0xf bank_mask:0xf
	v_cndmask_b32_e32 v31, 0, v32, vcc
	v_add_u32_e32 v30, v30, v31
	ds_write_b32 v11, v30
.LBB3651_164:
	s_or_b64 exec, exec, s[0:1]
	v_cmp_lt_u32_e32 vcc, 63, v0
	v_mov_b32_e32 v11, 0
	v_mov_b32_e32 v30, 0
	s_waitcnt lgkmcnt(0)
	s_barrier
	s_and_saveexec_b64 s[0:1], vcc
	s_cbranch_execz .LBB3651_166
; %bb.165:
	v_lshl_add_u32 v30, v67, 2, -4
	ds_read_b32 v30, v30
.LBB3651_166:
	s_or_b64 exec, exec, s[0:1]
	v_add_u32_e32 v31, -1, v66
	v_and_b32_e32 v32, 64, v66
	v_cmp_lt_i32_e32 vcc, v31, v32
	s_waitcnt lgkmcnt(0)
	v_add_u32_e32 v10, v30, v10
	v_cndmask_b32_e32 v31, v31, v66, vcc
	v_lshlrev_b32_e32 v31, 2, v31
	ds_bpermute_b32 v31, v31, v10
	ds_read_b32 v10, v11 offset:28
	s_and_saveexec_b64 s[0:1], s[18:19]
	s_cbranch_execz .LBB3651_168
; %bb.167:
	v_mov_b32_e32 v32, 0
	v_mov_b32_e32 v11, 2
	s_waitcnt lgkmcnt(0)
	global_store_dwordx2 v32, v[10:11], s[36:37] offset:512 sc1
.LBB3651_168:
	s_or_b64 exec, exec, s[0:1]
	v_cmp_eq_u32_e32 vcc, 0, v66
	v_mov_b32_e32 v70, 0
	s_waitcnt lgkmcnt(0)
	v_cndmask_b32_e32 v11, v31, v30, vcc
	v_cndmask_b32_e64 v35, v11, 0, s[18:19]
	s_barrier
.LBB3651_169:
	v_add_u32_sdwa v37, v35, v2 dst_sel:DWORD dst_unused:UNUSED_PAD src0_sel:DWORD src1_sel:BYTE_0
	v_add_u32_e32 v9, v10, v9
	v_sub_u32_e32 v35, v35, v70
	v_and_b32_e32 v76, 1, v2
	v_sub_u32_e32 v75, v9, v35
	v_cmp_eq_u32_e32 vcc, 1, v76
	v_lshrrev_b32_e32 v36, 8, v2
	v_add_u32_sdwa v66, v37, v2 dst_sel:DWORD dst_unused:UNUSED_PAD src0_sel:DWORD src1_sel:BYTE_1
	v_cndmask_b32_e32 v35, v75, v35, vcc
	v_lshlrev_b32_e32 v35, 1, v35
	ds_write_b16 v35, v28
	v_sub_u32_e32 v35, v37, v70
	v_sub_u32_e32 v37, v9, v35
	v_and_b32_e32 v36, 1, v36
	v_add_u32_e32 v37, 1, v37
	v_cmp_eq_u32_e32 vcc, 1, v36
	v_mov_b32_e32 v36, 1
	v_and_b32_sdwa v2, v36, v2 dst_sel:DWORD dst_unused:UNUSED_PAD src0_sel:DWORD src1_sel:WORD_1
	v_cndmask_b32_e32 v35, v37, v35, vcc
	v_lshlrev_b32_e32 v35, 1, v35
	ds_write_b16_d16_hi v35, v28
	v_sub_u32_e32 v28, v66, v70
	v_sub_u32_e32 v35, v9, v28
	v_add_u32_e32 v35, 2, v35
	v_cmp_eq_u32_e32 vcc, 1, v2
	v_add_u32_e32 v65, v66, v65
	v_add_u32_e32 v67, v65, v46
	v_cndmask_b32_e32 v2, v35, v28, vcc
	v_lshlrev_b32_e32 v2, 1, v2
	ds_write_b16 v2, v29
	v_sub_u32_e32 v2, v65, v70
	v_sub_u32_e32 v28, v9, v2
	v_and_b32_e32 v35, 1, v46
	v_add_u32_e32 v28, 3, v28
	v_cmp_eq_u32_e32 vcc, 1, v35
	v_add_u32_e32 v62, v67, v62
	v_lshrrev_b32_e32 v34, 8, v3
	v_cndmask_b32_e32 v2, v28, v2, vcc
	v_lshlrev_b32_e32 v2, 1, v2
	ds_write_b16_d16_hi v2, v29
	v_sub_u32_e32 v2, v67, v70
	v_sub_u32_e32 v28, v9, v2
	v_and_b32_e32 v29, 1, v3
	v_add_u32_e32 v28, 4, v28
	v_cmp_eq_u32_e32 vcc, 1, v29
	v_and_b32_e32 v29, 1, v34
	v_add_u32_e32 v63, v62, v63
	v_cndmask_b32_e32 v2, v28, v2, vcc
	v_lshlrev_b32_e32 v2, 1, v2
	ds_write_b16 v2, v26
	v_sub_u32_e32 v2, v62, v70
	v_sub_u32_e32 v28, v9, v2
	v_add_u32_e32 v28, 5, v28
	v_cmp_eq_u32_e32 vcc, 1, v29
	v_and_b32_sdwa v3, v36, v3 dst_sel:DWORD dst_unused:UNUSED_PAD src0_sel:DWORD src1_sel:WORD_1
	v_add_u32_e32 v64, v63, v64
	v_cndmask_b32_e32 v2, v28, v2, vcc
	v_lshlrev_b32_e32 v2, 1, v2
	ds_write_b16_d16_hi v2, v26
	v_sub_u32_e32 v2, v63, v70
	v_sub_u32_e32 v26, v9, v2
	v_add_u32_e32 v26, 6, v26
	v_cmp_eq_u32_e32 vcc, 1, v3
	v_add_u32_e32 v68, v64, v45
	v_add_u32_e32 v59, v68, v59
	v_cndmask_b32_e32 v2, v26, v2, vcc
	v_lshlrev_b32_e32 v2, 1, v2
	ds_write_b16 v2, v27
	v_sub_u32_e32 v2, v64, v70
	v_sub_u32_e32 v3, v9, v2
	v_and_b32_e32 v26, 1, v45
	v_add_u32_e32 v3, 7, v3
	v_cmp_eq_u32_e32 vcc, 1, v26
	v_and_b32_e32 v26, 1, v4
	v_lshrrev_b32_e32 v33, 8, v4
	v_cndmask_b32_e32 v2, v3, v2, vcc
	v_lshlrev_b32_e32 v2, 1, v2
	ds_write_b16_d16_hi v2, v27
	v_sub_u32_e32 v2, v68, v70
	v_sub_u32_e32 v3, v9, v2
	v_add_u32_e32 v3, 8, v3
	v_cmp_eq_u32_e32 vcc, 1, v26
	v_and_b32_e32 v26, 1, v33
	v_add_u32_e32 v60, v59, v60
	v_cndmask_b32_e32 v2, v3, v2, vcc
	v_lshlrev_b32_e32 v2, 1, v2
	ds_write_b16 v2, v24
	v_sub_u32_e32 v2, v59, v70
	v_sub_u32_e32 v3, v9, v2
	v_add_u32_e32 v3, 9, v3
	v_cmp_eq_u32_e32 vcc, 1, v26
	v_and_b32_sdwa v4, v36, v4 dst_sel:DWORD dst_unused:UNUSED_PAD src0_sel:DWORD src1_sel:WORD_1
	v_add_u32_e32 v61, v60, v61
	v_cndmask_b32_e32 v2, v3, v2, vcc
	v_lshlrev_b32_e32 v2, 1, v2
	ds_write_b16_d16_hi v2, v24
	v_sub_u32_e32 v2, v60, v70
	v_sub_u32_e32 v3, v9, v2
	v_add_u32_e32 v3, 10, v3
	v_cmp_eq_u32_e32 vcc, 1, v4
	v_and_b32_e32 v4, 1, v44
	v_add_u32_e32 v69, v61, v44
	v_cndmask_b32_e32 v2, v3, v2, vcc
	v_lshlrev_b32_e32 v2, 1, v2
	ds_write_b16 v2, v25
	v_sub_u32_e32 v2, v61, v70
	v_sub_u32_e32 v3, v9, v2
	v_add_u32_e32 v3, 11, v3
	v_cmp_eq_u32_e32 vcc, 1, v4
	v_and_b32_e32 v4, 1, v5
	v_add_u32_e32 v56, v69, v56
	v_cndmask_b32_e32 v2, v3, v2, vcc
	v_lshlrev_b32_e32 v2, 1, v2
	ds_write_b16_d16_hi v2, v25
	v_sub_u32_e32 v2, v69, v70
	v_sub_u32_e32 v3, v9, v2
	v_add_u32_e32 v3, 12, v3
	v_cmp_eq_u32_e32 vcc, 1, v4
	v_lshrrev_b32_e32 v32, 8, v5
	v_and_b32_e32 v4, 1, v32
	v_cndmask_b32_e32 v2, v3, v2, vcc
	v_lshlrev_b32_e32 v2, 1, v2
	ds_write_b16 v2, v22
	v_sub_u32_e32 v2, v56, v70
	v_sub_u32_e32 v3, v9, v2
	v_add_u32_e32 v3, 13, v3
	v_cmp_eq_u32_e32 vcc, 1, v4
	v_add_u32_e32 v57, v56, v57
	v_and_b32_sdwa v4, v36, v5 dst_sel:DWORD dst_unused:UNUSED_PAD src0_sel:DWORD src1_sel:WORD_1
	v_cndmask_b32_e32 v2, v3, v2, vcc
	v_lshlrev_b32_e32 v2, 1, v2
	ds_write_b16_d16_hi v2, v22
	v_sub_u32_e32 v2, v57, v70
	v_sub_u32_e32 v3, v9, v2
	v_add_u32_e32 v3, 14, v3
	v_cmp_eq_u32_e32 vcc, 1, v4
	v_add_u32_e32 v58, v57, v58
	v_and_b32_e32 v4, 1, v43
	v_cndmask_b32_e32 v2, v3, v2, vcc
	v_lshlrev_b32_e32 v2, 1, v2
	ds_write_b16 v2, v23
	v_sub_u32_e32 v2, v58, v70
	v_sub_u32_e32 v3, v9, v2
	v_add_u32_e32 v3, 15, v3
	v_cmp_eq_u32_e32 vcc, 1, v4
	v_add_u32_e32 v71, v58, v43
	v_and_b32_e32 v4, 1, v6
	v_cndmask_b32_e32 v2, v3, v2, vcc
	v_lshlrev_b32_e32 v2, 1, v2
	ds_write_b16_d16_hi v2, v23
	v_sub_u32_e32 v2, v71, v70
	v_sub_u32_e32 v3, v9, v2
	v_add_u32_e32 v3, 16, v3
	v_cmp_eq_u32_e32 vcc, 1, v4
	v_add_u32_e32 v53, v71, v53
	v_lshrrev_b32_e32 v31, 8, v6
	v_cndmask_b32_e32 v2, v3, v2, vcc
	v_lshlrev_b32_e32 v2, 1, v2
	ds_write_b16 v2, v20
	v_sub_u32_e32 v2, v53, v70
	v_sub_u32_e32 v3, v9, v2
	v_and_b32_e32 v4, 1, v31
	v_add_u32_e32 v3, 17, v3
	v_cmp_eq_u32_e32 vcc, 1, v4
	v_add_u32_e32 v54, v53, v54
	v_and_b32_sdwa v4, v36, v6 dst_sel:DWORD dst_unused:UNUSED_PAD src0_sel:DWORD src1_sel:WORD_1
	v_cndmask_b32_e32 v2, v3, v2, vcc
	v_lshlrev_b32_e32 v2, 1, v2
	ds_write_b16_d16_hi v2, v20
	v_sub_u32_e32 v2, v54, v70
	v_sub_u32_e32 v3, v9, v2
	v_add_u32_e32 v3, 18, v3
	v_cmp_eq_u32_e32 vcc, 1, v4
	v_add_u32_e32 v55, v54, v55
	v_and_b32_e32 v4, 1, v42
	v_cndmask_b32_e32 v2, v3, v2, vcc
	v_lshlrev_b32_e32 v2, 1, v2
	ds_write_b16 v2, v21
	v_sub_u32_e32 v2, v55, v70
	v_sub_u32_e32 v3, v9, v2
	v_add_u32_e32 v3, 19, v3
	v_cmp_eq_u32_e32 vcc, 1, v4
	v_add_u32_e32 v72, v55, v42
	v_and_b32_e32 v4, 1, v7
	v_cndmask_b32_e32 v2, v3, v2, vcc
	v_lshlrev_b32_e32 v2, 1, v2
	ds_write_b16_d16_hi v2, v21
	v_sub_u32_e32 v2, v72, v70
	v_sub_u32_e32 v3, v9, v2
	v_add_u32_e32 v3, 20, v3
	v_cmp_eq_u32_e32 vcc, 1, v4
	v_add_u32_e32 v50, v72, v50
	v_lshrrev_b32_e32 v30, 8, v7
	v_cndmask_b32_e32 v2, v3, v2, vcc
	v_lshlrev_b32_e32 v2, 1, v2
	ds_write_b16 v2, v18
	v_sub_u32_e32 v2, v50, v70
	v_sub_u32_e32 v3, v9, v2
	v_and_b32_e32 v4, 1, v30
	;; [unrolled: 37-line block ×3, first 2 shown]
	v_add_u32_e32 v3, 25, v3
	v_cmp_eq_u32_e32 vcc, 1, v4
	v_add_u32_e32 v48, v47, v48
	v_and_b32_sdwa v4, v36, v8 dst_sel:DWORD dst_unused:UNUSED_PAD src0_sel:DWORD src1_sel:WORD_1
	v_cndmask_b32_e32 v2, v3, v2, vcc
	v_lshlrev_b32_e32 v2, 1, v2
	ds_write_b16_d16_hi v2, v16
	v_sub_u32_e32 v2, v48, v70
	v_sub_u32_e32 v3, v9, v2
	v_add_u32_e32 v3, 26, v3
	v_cmp_eq_u32_e32 vcc, 1, v4
	v_add_u32_e32 v49, v48, v49
	v_and_b32_e32 v4, 1, v39
	v_cndmask_b32_e32 v2, v3, v2, vcc
	v_lshlrev_b32_e32 v2, 1, v2
	ds_write_b16 v2, v17
	v_sub_u32_e32 v2, v49, v70
	v_sub_u32_e32 v3, v9, v2
	v_add_u32_e32 v3, 27, v3
	v_cmp_eq_u32_e32 vcc, 1, v4
	v_add_u32_e32 v74, v49, v39
	v_and_b32_e32 v4, 1, v38
	v_cndmask_b32_e32 v2, v3, v2, vcc
	v_lshlrev_b32_e32 v2, 1, v2
	ds_write_b16_d16_hi v2, v17
	v_sub_u32_e32 v2, v74, v70
	v_sub_u32_e32 v3, v9, v2
	v_add_u32_e32 v3, 28, v3
	v_cmp_eq_u32_e32 vcc, 1, v4
	v_and_b32_e32 v4, 1, v13
	s_add_u32 s0, s26, s24
	v_cndmask_b32_e32 v2, v3, v2, vcc
	v_lshlrev_b32_e32 v2, 1, v2
	ds_write_b16 v2, v1
	v_sub_u32_e32 v2, v40, v70
	v_add_u32_e32 v2, v74, v2
	v_sub_u32_e32 v3, v9, v2
	v_add_u32_e32 v3, 29, v3
	v_cmp_eq_u32_e32 vcc, 1, v4
	s_addc_u32 s1, s27, 0
	s_sub_u32 s0, s30, s0
	v_cndmask_b32_e32 v2, v3, v2, vcc
	v_lshlrev_b32_e32 v2, 1, v2
	ds_write_b16_d16_hi v2, v1
	s_waitcnt lgkmcnt(0)
	s_barrier
	ds_read_u16 v101, v12
	ds_read_u16 v100, v12 offset:1024
	ds_read_u16 v99, v12 offset:2048
	;; [unrolled: 1-line block ×29, first 2 shown]
	v_mov_b32_e32 v1, 0
	v_mov_b32_e32 v71, v1
	;; [unrolled: 1-line block ×3, first 2 shown]
	s_subb_u32 s1, s31, s1
	s_waitcnt vmcnt(0)
	v_lshl_add_u64 v[2:3], v[14:15], 0, v[70:71]
	v_lshl_add_u64 v[6:7], s[0:1], 0, v[10:11]
	v_or_b32_e32 v68, 0x200, v0
	v_mov_b32_e32 v69, v1
	v_or_b32_e32 v66, 0x400, v0
	v_mov_b32_e32 v67, v1
	;; [unrolled: 2-line block ×29, first 2 shown]
	s_andn2_b64 vcc, exec, s[34:35]
	v_lshl_add_u64 v[6:7], v[6:7], 0, v[2:3]
	s_cbranch_vccnz .LBB3651_294
; %bb.170:
	v_cmp_ge_u32_e32 vcc, v0, v10
                                        ; implicit-def: $vgpr12_vgpr13
	s_and_saveexec_b64 s[0:1], vcc
	s_xor_b64 s[0:1], exec, s[0:1]
; %bb.171:
	v_not_b32_e32 v12, v0
	v_ashrrev_i32_e32 v13, 31, v12
	v_lshl_add_u64 v[12:13], v[6:7], 0, v[12:13]
; %bb.172:
	s_andn2_saveexec_b64 s[0:1], s[0:1]
; %bb.173:
	v_lshl_add_u64 v[12:13], v[2:3], 0, v[0:1]
; %bb.174:
	s_or_b64 exec, exec, s[0:1]
	v_lshl_add_u64 v[12:13], v[12:13], 1, s[28:29]
	v_cmp_ge_u32_e32 vcc, v68, v10
	s_waitcnt lgkmcnt(14)
	global_store_short v[12:13], v101, off
                                        ; implicit-def: $vgpr12_vgpr13
	s_and_saveexec_b64 s[0:1], vcc
	s_xor_b64 s[0:1], exec, s[0:1]
; %bb.175:
	v_xor_b32_e32 v12, 0xfffffdff, v0
	v_ashrrev_i32_e32 v13, 31, v12
	v_lshl_add_u64 v[12:13], v[6:7], 0, v[12:13]
; %bb.176:
	s_andn2_saveexec_b64 s[0:1], s[0:1]
; %bb.177:
	v_lshl_add_u64 v[12:13], v[2:3], 0, v[68:69]
; %bb.178:
	s_or_b64 exec, exec, s[0:1]
	v_lshl_add_u64 v[12:13], v[12:13], 1, s[28:29]
	v_cmp_ge_u32_e32 vcc, v66, v10
	global_store_short v[12:13], v100, off
                                        ; implicit-def: $vgpr12_vgpr13
	s_and_saveexec_b64 s[0:1], vcc
	s_xor_b64 s[0:1], exec, s[0:1]
; %bb.179:
	v_xor_b32_e32 v12, 0xfffffbff, v0
	v_ashrrev_i32_e32 v13, 31, v12
	v_lshl_add_u64 v[12:13], v[6:7], 0, v[12:13]
; %bb.180:
	s_andn2_saveexec_b64 s[0:1], s[0:1]
; %bb.181:
	v_lshl_add_u64 v[12:13], v[2:3], 0, v[66:67]
; %bb.182:
	s_or_b64 exec, exec, s[0:1]
	v_lshl_add_u64 v[12:13], v[12:13], 1, s[28:29]
	v_cmp_ge_u32_e32 vcc, v64, v10
	;; [unrolled: 16-line block ×16, first 2 shown]
	s_waitcnt lgkmcnt(13)
	global_store_short v[12:13], v85, off
                                        ; implicit-def: $vgpr12_vgpr13
	s_and_saveexec_b64 s[0:1], vcc
	s_xor_b64 s[0:1], exec, s[0:1]
; %bb.239:
	v_xor_b32_e32 v12, 0xffffddff, v0
	v_ashrrev_i32_e32 v13, 31, v12
	v_lshl_add_u64 v[12:13], v[6:7], 0, v[12:13]
; %bb.240:
	s_andn2_saveexec_b64 s[0:1], s[0:1]
; %bb.241:
	v_lshl_add_u64 v[12:13], v[2:3], 0, v[36:37]
; %bb.242:
	s_or_b64 exec, exec, s[0:1]
	v_lshl_add_u64 v[12:13], v[12:13], 1, s[28:29]
	v_cmp_ge_u32_e32 vcc, v34, v10
	s_waitcnt lgkmcnt(12)
	global_store_short v[12:13], v84, off
                                        ; implicit-def: $vgpr12_vgpr13
	s_and_saveexec_b64 s[0:1], vcc
	s_xor_b64 s[0:1], exec, s[0:1]
; %bb.243:
	v_xor_b32_e32 v12, 0xffffdbff, v0
	v_ashrrev_i32_e32 v13, 31, v12
	v_lshl_add_u64 v[12:13], v[6:7], 0, v[12:13]
; %bb.244:
	s_andn2_saveexec_b64 s[0:1], s[0:1]
; %bb.245:
	v_lshl_add_u64 v[12:13], v[2:3], 0, v[34:35]
; %bb.246:
	s_or_b64 exec, exec, s[0:1]
	v_lshl_add_u64 v[12:13], v[12:13], 1, s[28:29]
	v_cmp_ge_u32_e32 vcc, v32, v10
	;; [unrolled: 17-line block ×12, first 2 shown]
	s_waitcnt lgkmcnt(1)
	global_store_short v[12:13], v73, off
                                        ; implicit-def: $vgpr12_vgpr13
	s_and_saveexec_b64 s[0:1], vcc
	s_xor_b64 s[0:1], exec, s[0:1]
; %bb.287:
	v_xor_b32_e32 v12, 0xffffc5ff, v0
	v_ashrrev_i32_e32 v13, 31, v12
	v_lshl_add_u64 v[12:13], v[6:7], 0, v[12:13]
; %bb.288:
	s_andn2_saveexec_b64 s[0:1], s[0:1]
; %bb.289:
	v_lshl_add_u64 v[12:13], v[2:3], 0, v[4:5]
; %bb.290:
	s_or_b64 exec, exec, s[0:1]
	s_mov_b64 s[0:1], -1
.LBB3651_291:
	s_and_saveexec_b64 s[2:3], s[0:1]
	s_cbranch_execz .LBB3651_382
.LBB3651_292:
	v_lshl_add_u64 v[0:1], v[12:13], 1, s[28:29]
	s_waitcnt lgkmcnt(0)
	global_store_short v[0:1], v72, off
	s_or_b64 exec, exec, s[2:3]
	s_and_b64 s[0:1], s[18:19], s[22:23]
	s_and_saveexec_b64 s[2:3], s[0:1]
	s_cbranch_execnz .LBB3651_383
.LBB3651_293:
	s_endpgm
.LBB3651_294:
	s_mov_b64 s[0:1], 0
                                        ; implicit-def: $vgpr12_vgpr13
	s_cbranch_execz .LBB3651_291
; %bb.295:
	v_cmp_gt_u32_e32 vcc, s33, v0
	s_and_saveexec_b64 s[2:3], vcc
	s_cbranch_execz .LBB3651_384
; %bb.296:
	v_cmp_ge_u32_e32 vcc, v0, v10
                                        ; implicit-def: $vgpr12_vgpr13
	s_and_saveexec_b64 s[4:5], vcc
	s_xor_b64 s[4:5], exec, s[4:5]
; %bb.297:
	v_not_b32_e32 v12, v0
	v_ashrrev_i32_e32 v13, 31, v12
	v_lshl_add_u64 v[12:13], v[6:7], 0, v[12:13]
; %bb.298:
	s_andn2_saveexec_b64 s[4:5], s[4:5]
; %bb.299:
	v_lshl_add_u64 v[12:13], v[2:3], 0, v[0:1]
; %bb.300:
	s_or_b64 exec, exec, s[4:5]
	v_lshl_add_u64 v[12:13], v[12:13], 1, s[28:29]
	s_waitcnt lgkmcnt(14)
	global_store_short v[12:13], v101, off
	s_or_b64 exec, exec, s[2:3]
	v_cmp_gt_u32_e32 vcc, s33, v68
	s_and_saveexec_b64 s[2:3], vcc
	s_cbranch_execnz .LBB3651_385
.LBB3651_301:
	s_or_b64 exec, exec, s[2:3]
	v_cmp_gt_u32_e32 vcc, s33, v66
	s_and_saveexec_b64 s[2:3], vcc
	s_cbranch_execz .LBB3651_390
.LBB3651_302:
	v_cmp_ge_u32_e32 vcc, v66, v10
                                        ; implicit-def: $vgpr12_vgpr13
	s_and_saveexec_b64 s[4:5], vcc
	s_xor_b64 s[4:5], exec, s[4:5]
; %bb.303:
	v_xor_b32_e32 v12, 0xfffffbff, v0
	v_ashrrev_i32_e32 v13, 31, v12
	v_lshl_add_u64 v[12:13], v[6:7], 0, v[12:13]
                                        ; implicit-def: $vgpr66_vgpr67
; %bb.304:
	s_andn2_saveexec_b64 s[4:5], s[4:5]
; %bb.305:
	v_lshl_add_u64 v[12:13], v[2:3], 0, v[66:67]
; %bb.306:
	s_or_b64 exec, exec, s[4:5]
	v_lshl_add_u64 v[12:13], v[12:13], 1, s[28:29]
	s_waitcnt lgkmcnt(14)
	global_store_short v[12:13], v99, off
	s_or_b64 exec, exec, s[2:3]
	v_cmp_gt_u32_e32 vcc, s33, v64
	s_and_saveexec_b64 s[2:3], vcc
	s_cbranch_execnz .LBB3651_391
.LBB3651_307:
	s_or_b64 exec, exec, s[2:3]
	v_cmp_gt_u32_e32 vcc, s33, v62
	s_and_saveexec_b64 s[2:3], vcc
	s_cbranch_execz .LBB3651_396
.LBB3651_308:
	v_cmp_ge_u32_e32 vcc, v62, v10
                                        ; implicit-def: $vgpr12_vgpr13
	s_and_saveexec_b64 s[4:5], vcc
	s_xor_b64 s[4:5], exec, s[4:5]
; %bb.309:
	v_xor_b32_e32 v12, 0xfffff7ff, v0
	v_ashrrev_i32_e32 v13, 31, v12
	v_lshl_add_u64 v[12:13], v[6:7], 0, v[12:13]
                                        ; implicit-def: $vgpr62_vgpr63
; %bb.310:
	s_andn2_saveexec_b64 s[4:5], s[4:5]
; %bb.311:
	v_lshl_add_u64 v[12:13], v[2:3], 0, v[62:63]
; %bb.312:
	s_or_b64 exec, exec, s[4:5]
	v_lshl_add_u64 v[12:13], v[12:13], 1, s[28:29]
	s_waitcnt lgkmcnt(14)
	global_store_short v[12:13], v97, off
	s_or_b64 exec, exec, s[2:3]
	v_cmp_gt_u32_e32 vcc, s33, v60
	s_and_saveexec_b64 s[2:3], vcc
	s_cbranch_execnz .LBB3651_397
.LBB3651_313:
	s_or_b64 exec, exec, s[2:3]
	v_cmp_gt_u32_e32 vcc, s33, v58
	s_and_saveexec_b64 s[2:3], vcc
	s_cbranch_execz .LBB3651_402
.LBB3651_314:
	v_cmp_ge_u32_e32 vcc, v58, v10
                                        ; implicit-def: $vgpr12_vgpr13
	s_and_saveexec_b64 s[4:5], vcc
	s_xor_b64 s[4:5], exec, s[4:5]
; %bb.315:
	v_xor_b32_e32 v12, 0xfffff3ff, v0
	v_ashrrev_i32_e32 v13, 31, v12
	v_lshl_add_u64 v[12:13], v[6:7], 0, v[12:13]
                                        ; implicit-def: $vgpr58_vgpr59
; %bb.316:
	s_andn2_saveexec_b64 s[4:5], s[4:5]
; %bb.317:
	v_lshl_add_u64 v[12:13], v[2:3], 0, v[58:59]
; %bb.318:
	s_or_b64 exec, exec, s[4:5]
	v_lshl_add_u64 v[12:13], v[12:13], 1, s[28:29]
	s_waitcnt lgkmcnt(14)
	global_store_short v[12:13], v95, off
	s_or_b64 exec, exec, s[2:3]
	v_cmp_gt_u32_e32 vcc, s33, v56
	s_and_saveexec_b64 s[2:3], vcc
	s_cbranch_execnz .LBB3651_403
.LBB3651_319:
	s_or_b64 exec, exec, s[2:3]
	v_cmp_gt_u32_e32 vcc, s33, v54
	s_and_saveexec_b64 s[2:3], vcc
	s_cbranch_execz .LBB3651_408
.LBB3651_320:
	v_cmp_ge_u32_e32 vcc, v54, v10
                                        ; implicit-def: $vgpr12_vgpr13
	s_and_saveexec_b64 s[4:5], vcc
	s_xor_b64 s[4:5], exec, s[4:5]
; %bb.321:
	v_xor_b32_e32 v12, 0xffffefff, v0
	v_ashrrev_i32_e32 v13, 31, v12
	v_lshl_add_u64 v[12:13], v[6:7], 0, v[12:13]
                                        ; implicit-def: $vgpr54_vgpr55
; %bb.322:
	s_andn2_saveexec_b64 s[4:5], s[4:5]
; %bb.323:
	v_lshl_add_u64 v[12:13], v[2:3], 0, v[54:55]
; %bb.324:
	s_or_b64 exec, exec, s[4:5]
	v_lshl_add_u64 v[12:13], v[12:13], 1, s[28:29]
	s_waitcnt lgkmcnt(14)
	global_store_short v[12:13], v93, off
	s_or_b64 exec, exec, s[2:3]
	v_cmp_gt_u32_e32 vcc, s33, v52
	s_and_saveexec_b64 s[2:3], vcc
	s_cbranch_execnz .LBB3651_409
.LBB3651_325:
	s_or_b64 exec, exec, s[2:3]
	v_cmp_gt_u32_e32 vcc, s33, v50
	s_and_saveexec_b64 s[2:3], vcc
	s_cbranch_execz .LBB3651_414
.LBB3651_326:
	v_cmp_ge_u32_e32 vcc, v50, v10
                                        ; implicit-def: $vgpr12_vgpr13
	s_and_saveexec_b64 s[4:5], vcc
	s_xor_b64 s[4:5], exec, s[4:5]
; %bb.327:
	v_xor_b32_e32 v12, 0xffffebff, v0
	v_ashrrev_i32_e32 v13, 31, v12
	v_lshl_add_u64 v[12:13], v[6:7], 0, v[12:13]
                                        ; implicit-def: $vgpr50_vgpr51
; %bb.328:
	s_andn2_saveexec_b64 s[4:5], s[4:5]
; %bb.329:
	v_lshl_add_u64 v[12:13], v[2:3], 0, v[50:51]
; %bb.330:
	s_or_b64 exec, exec, s[4:5]
	v_lshl_add_u64 v[12:13], v[12:13], 1, s[28:29]
	s_waitcnt lgkmcnt(14)
	global_store_short v[12:13], v91, off
	s_or_b64 exec, exec, s[2:3]
	v_cmp_gt_u32_e32 vcc, s33, v48
	s_and_saveexec_b64 s[2:3], vcc
	s_cbranch_execnz .LBB3651_415
.LBB3651_331:
	s_or_b64 exec, exec, s[2:3]
	v_cmp_gt_u32_e32 vcc, s33, v46
	s_and_saveexec_b64 s[2:3], vcc
	s_cbranch_execz .LBB3651_420
.LBB3651_332:
	v_cmp_ge_u32_e32 vcc, v46, v10
                                        ; implicit-def: $vgpr12_vgpr13
	s_and_saveexec_b64 s[4:5], vcc
	s_xor_b64 s[4:5], exec, s[4:5]
; %bb.333:
	v_xor_b32_e32 v12, 0xffffe7ff, v0
	v_ashrrev_i32_e32 v13, 31, v12
	v_lshl_add_u64 v[12:13], v[6:7], 0, v[12:13]
                                        ; implicit-def: $vgpr46_vgpr47
; %bb.334:
	s_andn2_saveexec_b64 s[4:5], s[4:5]
; %bb.335:
	v_lshl_add_u64 v[12:13], v[2:3], 0, v[46:47]
; %bb.336:
	s_or_b64 exec, exec, s[4:5]
	v_lshl_add_u64 v[12:13], v[12:13], 1, s[28:29]
	s_waitcnt lgkmcnt(14)
	global_store_short v[12:13], v89, off
	s_or_b64 exec, exec, s[2:3]
	v_cmp_gt_u32_e32 vcc, s33, v44
	s_and_saveexec_b64 s[2:3], vcc
	s_cbranch_execnz .LBB3651_421
.LBB3651_337:
	s_or_b64 exec, exec, s[2:3]
	v_cmp_gt_u32_e32 vcc, s33, v42
	s_and_saveexec_b64 s[2:3], vcc
	s_cbranch_execz .LBB3651_426
.LBB3651_338:
	v_cmp_ge_u32_e32 vcc, v42, v10
                                        ; implicit-def: $vgpr12_vgpr13
	s_and_saveexec_b64 s[4:5], vcc
	s_xor_b64 s[4:5], exec, s[4:5]
; %bb.339:
	v_xor_b32_e32 v12, 0xffffe3ff, v0
	v_ashrrev_i32_e32 v13, 31, v12
	v_lshl_add_u64 v[12:13], v[6:7], 0, v[12:13]
                                        ; implicit-def: $vgpr42_vgpr43
; %bb.340:
	s_andn2_saveexec_b64 s[4:5], s[4:5]
; %bb.341:
	v_lshl_add_u64 v[12:13], v[2:3], 0, v[42:43]
; %bb.342:
	s_or_b64 exec, exec, s[4:5]
	v_lshl_add_u64 v[12:13], v[12:13], 1, s[28:29]
	s_waitcnt lgkmcnt(14)
	global_store_short v[12:13], v87, off
	s_or_b64 exec, exec, s[2:3]
	v_cmp_gt_u32_e32 vcc, s33, v40
	s_and_saveexec_b64 s[2:3], vcc
	s_cbranch_execnz .LBB3651_427
.LBB3651_343:
	s_or_b64 exec, exec, s[2:3]
	v_cmp_gt_u32_e32 vcc, s33, v38
	s_and_saveexec_b64 s[2:3], vcc
	s_cbranch_execz .LBB3651_432
.LBB3651_344:
	v_cmp_ge_u32_e32 vcc, v38, v10
                                        ; implicit-def: $vgpr12_vgpr13
	s_and_saveexec_b64 s[4:5], vcc
	s_xor_b64 s[4:5], exec, s[4:5]
; %bb.345:
	v_xor_b32_e32 v12, 0xffffdfff, v0
	v_ashrrev_i32_e32 v13, 31, v12
	v_lshl_add_u64 v[12:13], v[6:7], 0, v[12:13]
                                        ; implicit-def: $vgpr38_vgpr39
; %bb.346:
	s_andn2_saveexec_b64 s[4:5], s[4:5]
; %bb.347:
	v_lshl_add_u64 v[12:13], v[2:3], 0, v[38:39]
; %bb.348:
	s_or_b64 exec, exec, s[4:5]
	v_lshl_add_u64 v[12:13], v[12:13], 1, s[28:29]
	s_waitcnt lgkmcnt(13)
	global_store_short v[12:13], v85, off
	s_or_b64 exec, exec, s[2:3]
	v_cmp_gt_u32_e32 vcc, s33, v36
	s_and_saveexec_b64 s[2:3], vcc
	s_cbranch_execnz .LBB3651_433
.LBB3651_349:
	s_or_b64 exec, exec, s[2:3]
	v_cmp_gt_u32_e32 vcc, s33, v34
	s_and_saveexec_b64 s[2:3], vcc
	s_cbranch_execz .LBB3651_438
.LBB3651_350:
	v_cmp_ge_u32_e32 vcc, v34, v10
                                        ; implicit-def: $vgpr12_vgpr13
	s_and_saveexec_b64 s[4:5], vcc
	s_xor_b64 s[4:5], exec, s[4:5]
; %bb.351:
	v_xor_b32_e32 v12, 0xffffdbff, v0
	v_ashrrev_i32_e32 v13, 31, v12
	v_lshl_add_u64 v[12:13], v[6:7], 0, v[12:13]
                                        ; implicit-def: $vgpr34_vgpr35
; %bb.352:
	s_andn2_saveexec_b64 s[4:5], s[4:5]
; %bb.353:
	v_lshl_add_u64 v[12:13], v[2:3], 0, v[34:35]
; %bb.354:
	s_or_b64 exec, exec, s[4:5]
	v_lshl_add_u64 v[12:13], v[12:13], 1, s[28:29]
	s_waitcnt lgkmcnt(11)
	global_store_short v[12:13], v83, off
	s_or_b64 exec, exec, s[2:3]
	v_cmp_gt_u32_e32 vcc, s33, v32
	s_and_saveexec_b64 s[2:3], vcc
	s_cbranch_execnz .LBB3651_439
.LBB3651_355:
	s_or_b64 exec, exec, s[2:3]
	v_cmp_gt_u32_e32 vcc, s33, v30
	s_and_saveexec_b64 s[2:3], vcc
	s_cbranch_execz .LBB3651_444
.LBB3651_356:
	v_cmp_ge_u32_e32 vcc, v30, v10
                                        ; implicit-def: $vgpr12_vgpr13
	s_and_saveexec_b64 s[4:5], vcc
	s_xor_b64 s[4:5], exec, s[4:5]
; %bb.357:
	v_xor_b32_e32 v12, 0xffffd7ff, v0
	v_ashrrev_i32_e32 v13, 31, v12
	v_lshl_add_u64 v[12:13], v[6:7], 0, v[12:13]
                                        ; implicit-def: $vgpr30_vgpr31
; %bb.358:
	s_andn2_saveexec_b64 s[4:5], s[4:5]
; %bb.359:
	v_lshl_add_u64 v[12:13], v[2:3], 0, v[30:31]
; %bb.360:
	s_or_b64 exec, exec, s[4:5]
	v_lshl_add_u64 v[12:13], v[12:13], 1, s[28:29]
	s_waitcnt lgkmcnt(9)
	global_store_short v[12:13], v81, off
	s_or_b64 exec, exec, s[2:3]
	v_cmp_gt_u32_e32 vcc, s33, v28
	s_and_saveexec_b64 s[2:3], vcc
	s_cbranch_execnz .LBB3651_445
.LBB3651_361:
	s_or_b64 exec, exec, s[2:3]
	v_cmp_gt_u32_e32 vcc, s33, v26
	s_and_saveexec_b64 s[2:3], vcc
	s_cbranch_execz .LBB3651_450
.LBB3651_362:
	v_cmp_ge_u32_e32 vcc, v26, v10
                                        ; implicit-def: $vgpr12_vgpr13
	s_and_saveexec_b64 s[4:5], vcc
	s_xor_b64 s[4:5], exec, s[4:5]
; %bb.363:
	v_xor_b32_e32 v12, 0xffffd3ff, v0
	v_ashrrev_i32_e32 v13, 31, v12
	v_lshl_add_u64 v[12:13], v[6:7], 0, v[12:13]
                                        ; implicit-def: $vgpr26_vgpr27
; %bb.364:
	s_andn2_saveexec_b64 s[4:5], s[4:5]
; %bb.365:
	v_lshl_add_u64 v[12:13], v[2:3], 0, v[26:27]
; %bb.366:
	s_or_b64 exec, exec, s[4:5]
	v_lshl_add_u64 v[12:13], v[12:13], 1, s[28:29]
	s_waitcnt lgkmcnt(7)
	global_store_short v[12:13], v79, off
	s_or_b64 exec, exec, s[2:3]
	v_cmp_gt_u32_e32 vcc, s33, v24
	s_and_saveexec_b64 s[2:3], vcc
	s_cbranch_execnz .LBB3651_451
.LBB3651_367:
	s_or_b64 exec, exec, s[2:3]
	v_cmp_gt_u32_e32 vcc, s33, v22
	s_and_saveexec_b64 s[2:3], vcc
	s_cbranch_execz .LBB3651_456
.LBB3651_368:
	v_cmp_ge_u32_e32 vcc, v22, v10
                                        ; implicit-def: $vgpr12_vgpr13
	s_and_saveexec_b64 s[4:5], vcc
	s_xor_b64 s[4:5], exec, s[4:5]
; %bb.369:
	v_xor_b32_e32 v12, 0xffffcfff, v0
	v_ashrrev_i32_e32 v13, 31, v12
	v_lshl_add_u64 v[12:13], v[6:7], 0, v[12:13]
                                        ; implicit-def: $vgpr22_vgpr23
; %bb.370:
	s_andn2_saveexec_b64 s[4:5], s[4:5]
; %bb.371:
	v_lshl_add_u64 v[12:13], v[2:3], 0, v[22:23]
; %bb.372:
	s_or_b64 exec, exec, s[4:5]
	v_lshl_add_u64 v[12:13], v[12:13], 1, s[28:29]
	s_waitcnt lgkmcnt(5)
	global_store_short v[12:13], v77, off
	s_or_b64 exec, exec, s[2:3]
	v_cmp_gt_u32_e32 vcc, s33, v20
	s_and_saveexec_b64 s[2:3], vcc
	s_cbranch_execnz .LBB3651_457
.LBB3651_373:
	s_or_b64 exec, exec, s[2:3]
	v_cmp_gt_u32_e32 vcc, s33, v18
	s_and_saveexec_b64 s[2:3], vcc
	s_cbranch_execz .LBB3651_462
.LBB3651_374:
	v_cmp_ge_u32_e32 vcc, v18, v10
                                        ; implicit-def: $vgpr12_vgpr13
	s_and_saveexec_b64 s[4:5], vcc
	s_xor_b64 s[4:5], exec, s[4:5]
; %bb.375:
	v_xor_b32_e32 v12, 0xffffcbff, v0
	v_ashrrev_i32_e32 v13, 31, v12
	v_lshl_add_u64 v[12:13], v[6:7], 0, v[12:13]
                                        ; implicit-def: $vgpr18_vgpr19
; %bb.376:
	s_andn2_saveexec_b64 s[4:5], s[4:5]
; %bb.377:
	v_lshl_add_u64 v[12:13], v[2:3], 0, v[18:19]
; %bb.378:
	s_or_b64 exec, exec, s[4:5]
	v_lshl_add_u64 v[12:13], v[12:13], 1, s[28:29]
	s_waitcnt lgkmcnt(3)
	global_store_short v[12:13], v75, off
	s_or_b64 exec, exec, s[2:3]
	v_cmp_gt_u32_e32 vcc, s33, v16
	s_and_saveexec_b64 s[2:3], vcc
	s_cbranch_execnz .LBB3651_463
.LBB3651_379:
	s_or_b64 exec, exec, s[2:3]
	v_cmp_gt_u32_e32 vcc, s33, v8
	s_and_saveexec_b64 s[2:3], vcc
	s_cbranch_execnz .LBB3651_468
.LBB3651_380:
	s_or_b64 exec, exec, s[2:3]
	v_cmp_gt_u32_e32 vcc, s33, v4
                                        ; implicit-def: $vgpr12_vgpr13
	s_and_saveexec_b64 s[2:3], vcc
	s_cbranch_execnz .LBB3651_473
.LBB3651_381:
	s_or_b64 exec, exec, s[2:3]
	s_and_saveexec_b64 s[2:3], s[0:1]
	s_cbranch_execnz .LBB3651_292
.LBB3651_382:
	s_or_b64 exec, exec, s[2:3]
	s_and_b64 s[0:1], s[18:19], s[22:23]
	s_and_saveexec_b64 s[2:3], s[0:1]
	s_cbranch_execz .LBB3651_293
.LBB3651_383:
	v_mov_b32_e32 v4, 0
	v_lshl_add_u64 v[0:1], v[2:3], 0, v[10:11]
	global_store_dwordx2 v4, v[0:1], s[20:21]
	s_endpgm
.LBB3651_384:
	s_or_b64 exec, exec, s[2:3]
	v_cmp_gt_u32_e32 vcc, s33, v68
	s_and_saveexec_b64 s[2:3], vcc
	s_cbranch_execz .LBB3651_301
.LBB3651_385:
	v_cmp_ge_u32_e32 vcc, v68, v10
                                        ; implicit-def: $vgpr12_vgpr13
	s_and_saveexec_b64 s[4:5], vcc
	s_xor_b64 s[4:5], exec, s[4:5]
; %bb.386:
	v_xor_b32_e32 v12, 0xfffffdff, v0
	v_ashrrev_i32_e32 v13, 31, v12
	v_lshl_add_u64 v[12:13], v[6:7], 0, v[12:13]
                                        ; implicit-def: $vgpr68_vgpr69
; %bb.387:
	s_andn2_saveexec_b64 s[4:5], s[4:5]
; %bb.388:
	v_lshl_add_u64 v[12:13], v[2:3], 0, v[68:69]
; %bb.389:
	s_or_b64 exec, exec, s[4:5]
	v_lshl_add_u64 v[12:13], v[12:13], 1, s[28:29]
	s_waitcnt lgkmcnt(14)
	global_store_short v[12:13], v100, off
	s_or_b64 exec, exec, s[2:3]
	v_cmp_gt_u32_e32 vcc, s33, v66
	s_and_saveexec_b64 s[2:3], vcc
	s_cbranch_execnz .LBB3651_302
.LBB3651_390:
	s_or_b64 exec, exec, s[2:3]
	v_cmp_gt_u32_e32 vcc, s33, v64
	s_and_saveexec_b64 s[2:3], vcc
	s_cbranch_execz .LBB3651_307
.LBB3651_391:
	v_cmp_ge_u32_e32 vcc, v64, v10
                                        ; implicit-def: $vgpr12_vgpr13
	s_and_saveexec_b64 s[4:5], vcc
	s_xor_b64 s[4:5], exec, s[4:5]
; %bb.392:
	v_xor_b32_e32 v12, 0xfffff9ff, v0
	v_ashrrev_i32_e32 v13, 31, v12
	v_lshl_add_u64 v[12:13], v[6:7], 0, v[12:13]
                                        ; implicit-def: $vgpr64_vgpr65
; %bb.393:
	s_andn2_saveexec_b64 s[4:5], s[4:5]
; %bb.394:
	v_lshl_add_u64 v[12:13], v[2:3], 0, v[64:65]
; %bb.395:
	s_or_b64 exec, exec, s[4:5]
	v_lshl_add_u64 v[12:13], v[12:13], 1, s[28:29]
	s_waitcnt lgkmcnt(14)
	global_store_short v[12:13], v98, off
	s_or_b64 exec, exec, s[2:3]
	v_cmp_gt_u32_e32 vcc, s33, v62
	s_and_saveexec_b64 s[2:3], vcc
	s_cbranch_execnz .LBB3651_308
.LBB3651_396:
	s_or_b64 exec, exec, s[2:3]
	v_cmp_gt_u32_e32 vcc, s33, v60
	s_and_saveexec_b64 s[2:3], vcc
	s_cbranch_execz .LBB3651_313
.LBB3651_397:
	v_cmp_ge_u32_e32 vcc, v60, v10
                                        ; implicit-def: $vgpr12_vgpr13
	s_and_saveexec_b64 s[4:5], vcc
	s_xor_b64 s[4:5], exec, s[4:5]
; %bb.398:
	v_xor_b32_e32 v12, 0xfffff5ff, v0
	v_ashrrev_i32_e32 v13, 31, v12
	v_lshl_add_u64 v[12:13], v[6:7], 0, v[12:13]
                                        ; implicit-def: $vgpr60_vgpr61
; %bb.399:
	s_andn2_saveexec_b64 s[4:5], s[4:5]
; %bb.400:
	v_lshl_add_u64 v[12:13], v[2:3], 0, v[60:61]
; %bb.401:
	s_or_b64 exec, exec, s[4:5]
	v_lshl_add_u64 v[12:13], v[12:13], 1, s[28:29]
	s_waitcnt lgkmcnt(14)
	global_store_short v[12:13], v96, off
	s_or_b64 exec, exec, s[2:3]
	v_cmp_gt_u32_e32 vcc, s33, v58
	s_and_saveexec_b64 s[2:3], vcc
	s_cbranch_execnz .LBB3651_314
.LBB3651_402:
	s_or_b64 exec, exec, s[2:3]
	v_cmp_gt_u32_e32 vcc, s33, v56
	s_and_saveexec_b64 s[2:3], vcc
	s_cbranch_execz .LBB3651_319
.LBB3651_403:
	v_cmp_ge_u32_e32 vcc, v56, v10
                                        ; implicit-def: $vgpr12_vgpr13
	s_and_saveexec_b64 s[4:5], vcc
	s_xor_b64 s[4:5], exec, s[4:5]
; %bb.404:
	v_xor_b32_e32 v12, 0xfffff1ff, v0
	v_ashrrev_i32_e32 v13, 31, v12
	v_lshl_add_u64 v[12:13], v[6:7], 0, v[12:13]
                                        ; implicit-def: $vgpr56_vgpr57
; %bb.405:
	s_andn2_saveexec_b64 s[4:5], s[4:5]
; %bb.406:
	v_lshl_add_u64 v[12:13], v[2:3], 0, v[56:57]
; %bb.407:
	s_or_b64 exec, exec, s[4:5]
	v_lshl_add_u64 v[12:13], v[12:13], 1, s[28:29]
	s_waitcnt lgkmcnt(14)
	global_store_short v[12:13], v94, off
	s_or_b64 exec, exec, s[2:3]
	v_cmp_gt_u32_e32 vcc, s33, v54
	s_and_saveexec_b64 s[2:3], vcc
	s_cbranch_execnz .LBB3651_320
.LBB3651_408:
	s_or_b64 exec, exec, s[2:3]
	v_cmp_gt_u32_e32 vcc, s33, v52
	s_and_saveexec_b64 s[2:3], vcc
	s_cbranch_execz .LBB3651_325
.LBB3651_409:
	v_cmp_ge_u32_e32 vcc, v52, v10
                                        ; implicit-def: $vgpr12_vgpr13
	s_and_saveexec_b64 s[4:5], vcc
	s_xor_b64 s[4:5], exec, s[4:5]
; %bb.410:
	v_xor_b32_e32 v12, 0xffffedff, v0
	v_ashrrev_i32_e32 v13, 31, v12
	v_lshl_add_u64 v[12:13], v[6:7], 0, v[12:13]
                                        ; implicit-def: $vgpr52_vgpr53
; %bb.411:
	s_andn2_saveexec_b64 s[4:5], s[4:5]
; %bb.412:
	v_lshl_add_u64 v[12:13], v[2:3], 0, v[52:53]
; %bb.413:
	s_or_b64 exec, exec, s[4:5]
	v_lshl_add_u64 v[12:13], v[12:13], 1, s[28:29]
	s_waitcnt lgkmcnt(14)
	global_store_short v[12:13], v92, off
	s_or_b64 exec, exec, s[2:3]
	v_cmp_gt_u32_e32 vcc, s33, v50
	s_and_saveexec_b64 s[2:3], vcc
	s_cbranch_execnz .LBB3651_326
.LBB3651_414:
	s_or_b64 exec, exec, s[2:3]
	v_cmp_gt_u32_e32 vcc, s33, v48
	s_and_saveexec_b64 s[2:3], vcc
	s_cbranch_execz .LBB3651_331
.LBB3651_415:
	v_cmp_ge_u32_e32 vcc, v48, v10
                                        ; implicit-def: $vgpr12_vgpr13
	s_and_saveexec_b64 s[4:5], vcc
	s_xor_b64 s[4:5], exec, s[4:5]
; %bb.416:
	v_xor_b32_e32 v12, 0xffffe9ff, v0
	v_ashrrev_i32_e32 v13, 31, v12
	v_lshl_add_u64 v[12:13], v[6:7], 0, v[12:13]
                                        ; implicit-def: $vgpr48_vgpr49
; %bb.417:
	s_andn2_saveexec_b64 s[4:5], s[4:5]
; %bb.418:
	v_lshl_add_u64 v[12:13], v[2:3], 0, v[48:49]
; %bb.419:
	s_or_b64 exec, exec, s[4:5]
	v_lshl_add_u64 v[12:13], v[12:13], 1, s[28:29]
	s_waitcnt lgkmcnt(14)
	global_store_short v[12:13], v90, off
	s_or_b64 exec, exec, s[2:3]
	v_cmp_gt_u32_e32 vcc, s33, v46
	s_and_saveexec_b64 s[2:3], vcc
	s_cbranch_execnz .LBB3651_332
.LBB3651_420:
	s_or_b64 exec, exec, s[2:3]
	v_cmp_gt_u32_e32 vcc, s33, v44
	s_and_saveexec_b64 s[2:3], vcc
	s_cbranch_execz .LBB3651_337
.LBB3651_421:
	v_cmp_ge_u32_e32 vcc, v44, v10
                                        ; implicit-def: $vgpr12_vgpr13
	s_and_saveexec_b64 s[4:5], vcc
	s_xor_b64 s[4:5], exec, s[4:5]
; %bb.422:
	v_xor_b32_e32 v12, 0xffffe5ff, v0
	v_ashrrev_i32_e32 v13, 31, v12
	v_lshl_add_u64 v[12:13], v[6:7], 0, v[12:13]
                                        ; implicit-def: $vgpr44_vgpr45
; %bb.423:
	s_andn2_saveexec_b64 s[4:5], s[4:5]
; %bb.424:
	v_lshl_add_u64 v[12:13], v[2:3], 0, v[44:45]
; %bb.425:
	s_or_b64 exec, exec, s[4:5]
	v_lshl_add_u64 v[12:13], v[12:13], 1, s[28:29]
	s_waitcnt lgkmcnt(14)
	global_store_short v[12:13], v88, off
	s_or_b64 exec, exec, s[2:3]
	v_cmp_gt_u32_e32 vcc, s33, v42
	s_and_saveexec_b64 s[2:3], vcc
	s_cbranch_execnz .LBB3651_338
.LBB3651_426:
	s_or_b64 exec, exec, s[2:3]
	v_cmp_gt_u32_e32 vcc, s33, v40
	s_and_saveexec_b64 s[2:3], vcc
	s_cbranch_execz .LBB3651_343
.LBB3651_427:
	v_cmp_ge_u32_e32 vcc, v40, v10
                                        ; implicit-def: $vgpr12_vgpr13
	s_and_saveexec_b64 s[4:5], vcc
	s_xor_b64 s[4:5], exec, s[4:5]
; %bb.428:
	v_xor_b32_e32 v12, 0xffffe1ff, v0
	v_ashrrev_i32_e32 v13, 31, v12
	v_lshl_add_u64 v[12:13], v[6:7], 0, v[12:13]
                                        ; implicit-def: $vgpr40_vgpr41
; %bb.429:
	s_andn2_saveexec_b64 s[4:5], s[4:5]
; %bb.430:
	v_lshl_add_u64 v[12:13], v[2:3], 0, v[40:41]
; %bb.431:
	s_or_b64 exec, exec, s[4:5]
	v_lshl_add_u64 v[12:13], v[12:13], 1, s[28:29]
	s_waitcnt lgkmcnt(14)
	global_store_short v[12:13], v86, off
	s_or_b64 exec, exec, s[2:3]
	v_cmp_gt_u32_e32 vcc, s33, v38
	s_and_saveexec_b64 s[2:3], vcc
	s_cbranch_execnz .LBB3651_344
.LBB3651_432:
	s_or_b64 exec, exec, s[2:3]
	v_cmp_gt_u32_e32 vcc, s33, v36
	s_and_saveexec_b64 s[2:3], vcc
	s_cbranch_execz .LBB3651_349
.LBB3651_433:
	v_cmp_ge_u32_e32 vcc, v36, v10
                                        ; implicit-def: $vgpr12_vgpr13
	s_and_saveexec_b64 s[4:5], vcc
	s_xor_b64 s[4:5], exec, s[4:5]
; %bb.434:
	v_xor_b32_e32 v12, 0xffffddff, v0
	v_ashrrev_i32_e32 v13, 31, v12
	v_lshl_add_u64 v[12:13], v[6:7], 0, v[12:13]
                                        ; implicit-def: $vgpr36_vgpr37
; %bb.435:
	s_andn2_saveexec_b64 s[4:5], s[4:5]
; %bb.436:
	v_lshl_add_u64 v[12:13], v[2:3], 0, v[36:37]
; %bb.437:
	s_or_b64 exec, exec, s[4:5]
	v_lshl_add_u64 v[12:13], v[12:13], 1, s[28:29]
	s_waitcnt lgkmcnt(12)
	global_store_short v[12:13], v84, off
	s_or_b64 exec, exec, s[2:3]
	v_cmp_gt_u32_e32 vcc, s33, v34
	s_and_saveexec_b64 s[2:3], vcc
	s_cbranch_execnz .LBB3651_350
.LBB3651_438:
	s_or_b64 exec, exec, s[2:3]
	v_cmp_gt_u32_e32 vcc, s33, v32
	s_and_saveexec_b64 s[2:3], vcc
	s_cbranch_execz .LBB3651_355
.LBB3651_439:
	v_cmp_ge_u32_e32 vcc, v32, v10
                                        ; implicit-def: $vgpr12_vgpr13
	s_and_saveexec_b64 s[4:5], vcc
	s_xor_b64 s[4:5], exec, s[4:5]
; %bb.440:
	v_xor_b32_e32 v12, 0xffffd9ff, v0
	v_ashrrev_i32_e32 v13, 31, v12
	v_lshl_add_u64 v[12:13], v[6:7], 0, v[12:13]
                                        ; implicit-def: $vgpr32_vgpr33
; %bb.441:
	s_andn2_saveexec_b64 s[4:5], s[4:5]
; %bb.442:
	v_lshl_add_u64 v[12:13], v[2:3], 0, v[32:33]
; %bb.443:
	s_or_b64 exec, exec, s[4:5]
	v_lshl_add_u64 v[12:13], v[12:13], 1, s[28:29]
	s_waitcnt lgkmcnt(10)
	global_store_short v[12:13], v82, off
	s_or_b64 exec, exec, s[2:3]
	v_cmp_gt_u32_e32 vcc, s33, v30
	s_and_saveexec_b64 s[2:3], vcc
	s_cbranch_execnz .LBB3651_356
.LBB3651_444:
	s_or_b64 exec, exec, s[2:3]
	v_cmp_gt_u32_e32 vcc, s33, v28
	s_and_saveexec_b64 s[2:3], vcc
	s_cbranch_execz .LBB3651_361
.LBB3651_445:
	v_cmp_ge_u32_e32 vcc, v28, v10
                                        ; implicit-def: $vgpr12_vgpr13
	s_and_saveexec_b64 s[4:5], vcc
	s_xor_b64 s[4:5], exec, s[4:5]
; %bb.446:
	v_xor_b32_e32 v12, 0xffffd5ff, v0
	v_ashrrev_i32_e32 v13, 31, v12
	v_lshl_add_u64 v[12:13], v[6:7], 0, v[12:13]
                                        ; implicit-def: $vgpr28_vgpr29
; %bb.447:
	s_andn2_saveexec_b64 s[4:5], s[4:5]
; %bb.448:
	v_lshl_add_u64 v[12:13], v[2:3], 0, v[28:29]
; %bb.449:
	s_or_b64 exec, exec, s[4:5]
	v_lshl_add_u64 v[12:13], v[12:13], 1, s[28:29]
	s_waitcnt lgkmcnt(8)
	global_store_short v[12:13], v80, off
	s_or_b64 exec, exec, s[2:3]
	v_cmp_gt_u32_e32 vcc, s33, v26
	s_and_saveexec_b64 s[2:3], vcc
	s_cbranch_execnz .LBB3651_362
.LBB3651_450:
	s_or_b64 exec, exec, s[2:3]
	v_cmp_gt_u32_e32 vcc, s33, v24
	s_and_saveexec_b64 s[2:3], vcc
	s_cbranch_execz .LBB3651_367
.LBB3651_451:
	v_cmp_ge_u32_e32 vcc, v24, v10
                                        ; implicit-def: $vgpr12_vgpr13
	s_and_saveexec_b64 s[4:5], vcc
	s_xor_b64 s[4:5], exec, s[4:5]
; %bb.452:
	v_xor_b32_e32 v12, 0xffffd1ff, v0
	v_ashrrev_i32_e32 v13, 31, v12
	v_lshl_add_u64 v[12:13], v[6:7], 0, v[12:13]
                                        ; implicit-def: $vgpr24_vgpr25
; %bb.453:
	s_andn2_saveexec_b64 s[4:5], s[4:5]
; %bb.454:
	v_lshl_add_u64 v[12:13], v[2:3], 0, v[24:25]
; %bb.455:
	s_or_b64 exec, exec, s[4:5]
	v_lshl_add_u64 v[12:13], v[12:13], 1, s[28:29]
	s_waitcnt lgkmcnt(6)
	global_store_short v[12:13], v78, off
	s_or_b64 exec, exec, s[2:3]
	v_cmp_gt_u32_e32 vcc, s33, v22
	s_and_saveexec_b64 s[2:3], vcc
	s_cbranch_execnz .LBB3651_368
.LBB3651_456:
	s_or_b64 exec, exec, s[2:3]
	v_cmp_gt_u32_e32 vcc, s33, v20
	s_and_saveexec_b64 s[2:3], vcc
	s_cbranch_execz .LBB3651_373
.LBB3651_457:
	v_cmp_ge_u32_e32 vcc, v20, v10
                                        ; implicit-def: $vgpr12_vgpr13
	s_and_saveexec_b64 s[4:5], vcc
	s_xor_b64 s[4:5], exec, s[4:5]
; %bb.458:
	v_xor_b32_e32 v12, 0xffffcdff, v0
	v_ashrrev_i32_e32 v13, 31, v12
	v_lshl_add_u64 v[12:13], v[6:7], 0, v[12:13]
                                        ; implicit-def: $vgpr20_vgpr21
; %bb.459:
	s_andn2_saveexec_b64 s[4:5], s[4:5]
; %bb.460:
	v_lshl_add_u64 v[12:13], v[2:3], 0, v[20:21]
; %bb.461:
	s_or_b64 exec, exec, s[4:5]
	v_lshl_add_u64 v[12:13], v[12:13], 1, s[28:29]
	s_waitcnt lgkmcnt(4)
	global_store_short v[12:13], v76, off
	s_or_b64 exec, exec, s[2:3]
	v_cmp_gt_u32_e32 vcc, s33, v18
	s_and_saveexec_b64 s[2:3], vcc
	s_cbranch_execnz .LBB3651_374
.LBB3651_462:
	s_or_b64 exec, exec, s[2:3]
	v_cmp_gt_u32_e32 vcc, s33, v16
	s_and_saveexec_b64 s[2:3], vcc
	s_cbranch_execz .LBB3651_379
.LBB3651_463:
	v_cmp_ge_u32_e32 vcc, v16, v10
                                        ; implicit-def: $vgpr12_vgpr13
	s_and_saveexec_b64 s[4:5], vcc
	s_xor_b64 s[4:5], exec, s[4:5]
; %bb.464:
	v_xor_b32_e32 v12, 0xffffc9ff, v0
	v_ashrrev_i32_e32 v13, 31, v12
	v_lshl_add_u64 v[12:13], v[6:7], 0, v[12:13]
                                        ; implicit-def: $vgpr16_vgpr17
; %bb.465:
	s_andn2_saveexec_b64 s[4:5], s[4:5]
; %bb.466:
	v_lshl_add_u64 v[12:13], v[2:3], 0, v[16:17]
; %bb.467:
	s_or_b64 exec, exec, s[4:5]
	v_lshl_add_u64 v[12:13], v[12:13], 1, s[28:29]
	s_waitcnt lgkmcnt(2)
	global_store_short v[12:13], v74, off
	s_or_b64 exec, exec, s[2:3]
	v_cmp_gt_u32_e32 vcc, s33, v8
	s_and_saveexec_b64 s[2:3], vcc
	s_cbranch_execz .LBB3651_380
.LBB3651_468:
	v_cmp_ge_u32_e32 vcc, v8, v10
                                        ; implicit-def: $vgpr12_vgpr13
	s_and_saveexec_b64 s[4:5], vcc
	s_xor_b64 s[4:5], exec, s[4:5]
; %bb.469:
	v_xor_b32_e32 v8, 0xffffc7ff, v0
	v_ashrrev_i32_e32 v9, 31, v8
	v_lshl_add_u64 v[12:13], v[6:7], 0, v[8:9]
                                        ; implicit-def: $vgpr8_vgpr9
; %bb.470:
	s_andn2_saveexec_b64 s[4:5], s[4:5]
; %bb.471:
	v_lshl_add_u64 v[12:13], v[2:3], 0, v[8:9]
; %bb.472:
	s_or_b64 exec, exec, s[4:5]
	v_lshl_add_u64 v[8:9], v[12:13], 1, s[28:29]
	s_waitcnt lgkmcnt(1)
	global_store_short v[8:9], v73, off
	s_or_b64 exec, exec, s[2:3]
	v_cmp_gt_u32_e32 vcc, s33, v4
                                        ; implicit-def: $vgpr12_vgpr13
	s_and_saveexec_b64 s[2:3], vcc
	s_cbranch_execz .LBB3651_381
.LBB3651_473:
	v_cmp_ge_u32_e32 vcc, v4, v10
                                        ; implicit-def: $vgpr12_vgpr13
	s_and_saveexec_b64 s[4:5], vcc
	s_xor_b64 s[4:5], exec, s[4:5]
; %bb.474:
	v_xor_b32_e32 v0, 0xffffc5ff, v0
	v_ashrrev_i32_e32 v1, 31, v0
	v_lshl_add_u64 v[12:13], v[6:7], 0, v[0:1]
                                        ; implicit-def: $vgpr4_vgpr5
; %bb.475:
	s_andn2_saveexec_b64 s[4:5], s[4:5]
; %bb.476:
	v_lshl_add_u64 v[12:13], v[2:3], 0, v[4:5]
; %bb.477:
	s_or_b64 exec, exec, s[4:5]
	s_or_b64 s[0:1], s[0:1], exec
	s_or_b64 exec, exec, s[2:3]
	s_and_saveexec_b64 s[2:3], s[0:1]
	s_cbranch_execnz .LBB3651_292
	s_branch .LBB3651_382
	.section	.rodata,"a",@progbits
	.p2align	6, 0x0
	.amdhsa_kernel _ZN7rocprim17ROCPRIM_400000_NS6detail17trampoline_kernelINS0_14default_configENS1_25partition_config_selectorILNS1_17partition_subalgoE2EsNS0_10empty_typeEbEEZZNS1_14partition_implILS5_2ELb0ES3_jN6thrust23THRUST_200600_302600_NS6detail15normal_iteratorINSA_7pointerIsNSA_11hip_rocprim3tagENSA_11use_defaultESG_EEEEPS6_NSA_18transform_iteratorI10is_orderedNSA_12zip_iteratorINSA_5tupleINSC_INSA_10device_ptrIsEEEESQ_NSA_9null_typeESR_SR_SR_SR_SR_SR_SR_EEEESG_SG_EENS0_5tupleIJPsSJ_EEENSV_IJSJ_SJ_EEES6_PlJS6_EEE10hipError_tPvRmT3_T4_T5_T6_T7_T9_mT8_P12ihipStream_tbDpT10_ENKUlT_T0_E_clISt17integral_constantIbLb0EES1I_IbLb1EEEEDaS1E_S1F_EUlS1E_E_NS1_11comp_targetILNS1_3genE5ELNS1_11target_archE942ELNS1_3gpuE9ELNS1_3repE0EEENS1_30default_config_static_selectorELNS0_4arch9wavefront6targetE1EEEvT1_
		.amdhsa_group_segment_fixed_size 30728
		.amdhsa_private_segment_fixed_size 0
		.amdhsa_kernarg_size 152
		.amdhsa_user_sgpr_count 2
		.amdhsa_user_sgpr_dispatch_ptr 0
		.amdhsa_user_sgpr_queue_ptr 0
		.amdhsa_user_sgpr_kernarg_segment_ptr 1
		.amdhsa_user_sgpr_dispatch_id 0
		.amdhsa_user_sgpr_kernarg_preload_length 0
		.amdhsa_user_sgpr_kernarg_preload_offset 0
		.amdhsa_user_sgpr_private_segment_size 0
		.amdhsa_uses_dynamic_stack 0
		.amdhsa_enable_private_segment 0
		.amdhsa_system_sgpr_workgroup_id_x 1
		.amdhsa_system_sgpr_workgroup_id_y 0
		.amdhsa_system_sgpr_workgroup_id_z 0
		.amdhsa_system_sgpr_workgroup_info 0
		.amdhsa_system_vgpr_workitem_id 0
		.amdhsa_next_free_vgpr 102
		.amdhsa_next_free_sgpr 46
		.amdhsa_accum_offset 104
		.amdhsa_reserve_vcc 1
		.amdhsa_float_round_mode_32 0
		.amdhsa_float_round_mode_16_64 0
		.amdhsa_float_denorm_mode_32 3
		.amdhsa_float_denorm_mode_16_64 3
		.amdhsa_dx10_clamp 1
		.amdhsa_ieee_mode 1
		.amdhsa_fp16_overflow 0
		.amdhsa_tg_split 0
		.amdhsa_exception_fp_ieee_invalid_op 0
		.amdhsa_exception_fp_denorm_src 0
		.amdhsa_exception_fp_ieee_div_zero 0
		.amdhsa_exception_fp_ieee_overflow 0
		.amdhsa_exception_fp_ieee_underflow 0
		.amdhsa_exception_fp_ieee_inexact 0
		.amdhsa_exception_int_div_zero 0
	.end_amdhsa_kernel
	.section	.text._ZN7rocprim17ROCPRIM_400000_NS6detail17trampoline_kernelINS0_14default_configENS1_25partition_config_selectorILNS1_17partition_subalgoE2EsNS0_10empty_typeEbEEZZNS1_14partition_implILS5_2ELb0ES3_jN6thrust23THRUST_200600_302600_NS6detail15normal_iteratorINSA_7pointerIsNSA_11hip_rocprim3tagENSA_11use_defaultESG_EEEEPS6_NSA_18transform_iteratorI10is_orderedNSA_12zip_iteratorINSA_5tupleINSC_INSA_10device_ptrIsEEEESQ_NSA_9null_typeESR_SR_SR_SR_SR_SR_SR_EEEESG_SG_EENS0_5tupleIJPsSJ_EEENSV_IJSJ_SJ_EEES6_PlJS6_EEE10hipError_tPvRmT3_T4_T5_T6_T7_T9_mT8_P12ihipStream_tbDpT10_ENKUlT_T0_E_clISt17integral_constantIbLb0EES1I_IbLb1EEEEDaS1E_S1F_EUlS1E_E_NS1_11comp_targetILNS1_3genE5ELNS1_11target_archE942ELNS1_3gpuE9ELNS1_3repE0EEENS1_30default_config_static_selectorELNS0_4arch9wavefront6targetE1EEEvT1_,"axG",@progbits,_ZN7rocprim17ROCPRIM_400000_NS6detail17trampoline_kernelINS0_14default_configENS1_25partition_config_selectorILNS1_17partition_subalgoE2EsNS0_10empty_typeEbEEZZNS1_14partition_implILS5_2ELb0ES3_jN6thrust23THRUST_200600_302600_NS6detail15normal_iteratorINSA_7pointerIsNSA_11hip_rocprim3tagENSA_11use_defaultESG_EEEEPS6_NSA_18transform_iteratorI10is_orderedNSA_12zip_iteratorINSA_5tupleINSC_INSA_10device_ptrIsEEEESQ_NSA_9null_typeESR_SR_SR_SR_SR_SR_SR_EEEESG_SG_EENS0_5tupleIJPsSJ_EEENSV_IJSJ_SJ_EEES6_PlJS6_EEE10hipError_tPvRmT3_T4_T5_T6_T7_T9_mT8_P12ihipStream_tbDpT10_ENKUlT_T0_E_clISt17integral_constantIbLb0EES1I_IbLb1EEEEDaS1E_S1F_EUlS1E_E_NS1_11comp_targetILNS1_3genE5ELNS1_11target_archE942ELNS1_3gpuE9ELNS1_3repE0EEENS1_30default_config_static_selectorELNS0_4arch9wavefront6targetE1EEEvT1_,comdat
.Lfunc_end3651:
	.size	_ZN7rocprim17ROCPRIM_400000_NS6detail17trampoline_kernelINS0_14default_configENS1_25partition_config_selectorILNS1_17partition_subalgoE2EsNS0_10empty_typeEbEEZZNS1_14partition_implILS5_2ELb0ES3_jN6thrust23THRUST_200600_302600_NS6detail15normal_iteratorINSA_7pointerIsNSA_11hip_rocprim3tagENSA_11use_defaultESG_EEEEPS6_NSA_18transform_iteratorI10is_orderedNSA_12zip_iteratorINSA_5tupleINSC_INSA_10device_ptrIsEEEESQ_NSA_9null_typeESR_SR_SR_SR_SR_SR_SR_EEEESG_SG_EENS0_5tupleIJPsSJ_EEENSV_IJSJ_SJ_EEES6_PlJS6_EEE10hipError_tPvRmT3_T4_T5_T6_T7_T9_mT8_P12ihipStream_tbDpT10_ENKUlT_T0_E_clISt17integral_constantIbLb0EES1I_IbLb1EEEEDaS1E_S1F_EUlS1E_E_NS1_11comp_targetILNS1_3genE5ELNS1_11target_archE942ELNS1_3gpuE9ELNS1_3repE0EEENS1_30default_config_static_selectorELNS0_4arch9wavefront6targetE1EEEvT1_, .Lfunc_end3651-_ZN7rocprim17ROCPRIM_400000_NS6detail17trampoline_kernelINS0_14default_configENS1_25partition_config_selectorILNS1_17partition_subalgoE2EsNS0_10empty_typeEbEEZZNS1_14partition_implILS5_2ELb0ES3_jN6thrust23THRUST_200600_302600_NS6detail15normal_iteratorINSA_7pointerIsNSA_11hip_rocprim3tagENSA_11use_defaultESG_EEEEPS6_NSA_18transform_iteratorI10is_orderedNSA_12zip_iteratorINSA_5tupleINSC_INSA_10device_ptrIsEEEESQ_NSA_9null_typeESR_SR_SR_SR_SR_SR_SR_EEEESG_SG_EENS0_5tupleIJPsSJ_EEENSV_IJSJ_SJ_EEES6_PlJS6_EEE10hipError_tPvRmT3_T4_T5_T6_T7_T9_mT8_P12ihipStream_tbDpT10_ENKUlT_T0_E_clISt17integral_constantIbLb0EES1I_IbLb1EEEEDaS1E_S1F_EUlS1E_E_NS1_11comp_targetILNS1_3genE5ELNS1_11target_archE942ELNS1_3gpuE9ELNS1_3repE0EEENS1_30default_config_static_selectorELNS0_4arch9wavefront6targetE1EEEvT1_
                                        ; -- End function
	.section	.AMDGPU.csdata,"",@progbits
; Kernel info:
; codeLenInByte = 15812
; NumSgprs: 52
; NumVgprs: 102
; NumAgprs: 0
; TotalNumVgprs: 102
; ScratchSize: 0
; MemoryBound: 0
; FloatMode: 240
; IeeeMode: 1
; LDSByteSize: 30728 bytes/workgroup (compile time only)
; SGPRBlocks: 6
; VGPRBlocks: 12
; NumSGPRsForWavesPerEU: 52
; NumVGPRsForWavesPerEU: 102
; AccumOffset: 104
; Occupancy: 4
; WaveLimiterHint : 1
; COMPUTE_PGM_RSRC2:SCRATCH_EN: 0
; COMPUTE_PGM_RSRC2:USER_SGPR: 2
; COMPUTE_PGM_RSRC2:TRAP_HANDLER: 0
; COMPUTE_PGM_RSRC2:TGID_X_EN: 1
; COMPUTE_PGM_RSRC2:TGID_Y_EN: 0
; COMPUTE_PGM_RSRC2:TGID_Z_EN: 0
; COMPUTE_PGM_RSRC2:TIDIG_COMP_CNT: 0
; COMPUTE_PGM_RSRC3_GFX90A:ACCUM_OFFSET: 25
; COMPUTE_PGM_RSRC3_GFX90A:TG_SPLIT: 0
	.section	.text._ZN7rocprim17ROCPRIM_400000_NS6detail17trampoline_kernelINS0_14default_configENS1_25partition_config_selectorILNS1_17partition_subalgoE2EsNS0_10empty_typeEbEEZZNS1_14partition_implILS5_2ELb0ES3_jN6thrust23THRUST_200600_302600_NS6detail15normal_iteratorINSA_7pointerIsNSA_11hip_rocprim3tagENSA_11use_defaultESG_EEEEPS6_NSA_18transform_iteratorI10is_orderedNSA_12zip_iteratorINSA_5tupleINSC_INSA_10device_ptrIsEEEESQ_NSA_9null_typeESR_SR_SR_SR_SR_SR_SR_EEEESG_SG_EENS0_5tupleIJPsSJ_EEENSV_IJSJ_SJ_EEES6_PlJS6_EEE10hipError_tPvRmT3_T4_T5_T6_T7_T9_mT8_P12ihipStream_tbDpT10_ENKUlT_T0_E_clISt17integral_constantIbLb0EES1I_IbLb1EEEEDaS1E_S1F_EUlS1E_E_NS1_11comp_targetILNS1_3genE4ELNS1_11target_archE910ELNS1_3gpuE8ELNS1_3repE0EEENS1_30default_config_static_selectorELNS0_4arch9wavefront6targetE1EEEvT1_,"axG",@progbits,_ZN7rocprim17ROCPRIM_400000_NS6detail17trampoline_kernelINS0_14default_configENS1_25partition_config_selectorILNS1_17partition_subalgoE2EsNS0_10empty_typeEbEEZZNS1_14partition_implILS5_2ELb0ES3_jN6thrust23THRUST_200600_302600_NS6detail15normal_iteratorINSA_7pointerIsNSA_11hip_rocprim3tagENSA_11use_defaultESG_EEEEPS6_NSA_18transform_iteratorI10is_orderedNSA_12zip_iteratorINSA_5tupleINSC_INSA_10device_ptrIsEEEESQ_NSA_9null_typeESR_SR_SR_SR_SR_SR_SR_EEEESG_SG_EENS0_5tupleIJPsSJ_EEENSV_IJSJ_SJ_EEES6_PlJS6_EEE10hipError_tPvRmT3_T4_T5_T6_T7_T9_mT8_P12ihipStream_tbDpT10_ENKUlT_T0_E_clISt17integral_constantIbLb0EES1I_IbLb1EEEEDaS1E_S1F_EUlS1E_E_NS1_11comp_targetILNS1_3genE4ELNS1_11target_archE910ELNS1_3gpuE8ELNS1_3repE0EEENS1_30default_config_static_selectorELNS0_4arch9wavefront6targetE1EEEvT1_,comdat
	.protected	_ZN7rocprim17ROCPRIM_400000_NS6detail17trampoline_kernelINS0_14default_configENS1_25partition_config_selectorILNS1_17partition_subalgoE2EsNS0_10empty_typeEbEEZZNS1_14partition_implILS5_2ELb0ES3_jN6thrust23THRUST_200600_302600_NS6detail15normal_iteratorINSA_7pointerIsNSA_11hip_rocprim3tagENSA_11use_defaultESG_EEEEPS6_NSA_18transform_iteratorI10is_orderedNSA_12zip_iteratorINSA_5tupleINSC_INSA_10device_ptrIsEEEESQ_NSA_9null_typeESR_SR_SR_SR_SR_SR_SR_EEEESG_SG_EENS0_5tupleIJPsSJ_EEENSV_IJSJ_SJ_EEES6_PlJS6_EEE10hipError_tPvRmT3_T4_T5_T6_T7_T9_mT8_P12ihipStream_tbDpT10_ENKUlT_T0_E_clISt17integral_constantIbLb0EES1I_IbLb1EEEEDaS1E_S1F_EUlS1E_E_NS1_11comp_targetILNS1_3genE4ELNS1_11target_archE910ELNS1_3gpuE8ELNS1_3repE0EEENS1_30default_config_static_selectorELNS0_4arch9wavefront6targetE1EEEvT1_ ; -- Begin function _ZN7rocprim17ROCPRIM_400000_NS6detail17trampoline_kernelINS0_14default_configENS1_25partition_config_selectorILNS1_17partition_subalgoE2EsNS0_10empty_typeEbEEZZNS1_14partition_implILS5_2ELb0ES3_jN6thrust23THRUST_200600_302600_NS6detail15normal_iteratorINSA_7pointerIsNSA_11hip_rocprim3tagENSA_11use_defaultESG_EEEEPS6_NSA_18transform_iteratorI10is_orderedNSA_12zip_iteratorINSA_5tupleINSC_INSA_10device_ptrIsEEEESQ_NSA_9null_typeESR_SR_SR_SR_SR_SR_SR_EEEESG_SG_EENS0_5tupleIJPsSJ_EEENSV_IJSJ_SJ_EEES6_PlJS6_EEE10hipError_tPvRmT3_T4_T5_T6_T7_T9_mT8_P12ihipStream_tbDpT10_ENKUlT_T0_E_clISt17integral_constantIbLb0EES1I_IbLb1EEEEDaS1E_S1F_EUlS1E_E_NS1_11comp_targetILNS1_3genE4ELNS1_11target_archE910ELNS1_3gpuE8ELNS1_3repE0EEENS1_30default_config_static_selectorELNS0_4arch9wavefront6targetE1EEEvT1_
	.globl	_ZN7rocprim17ROCPRIM_400000_NS6detail17trampoline_kernelINS0_14default_configENS1_25partition_config_selectorILNS1_17partition_subalgoE2EsNS0_10empty_typeEbEEZZNS1_14partition_implILS5_2ELb0ES3_jN6thrust23THRUST_200600_302600_NS6detail15normal_iteratorINSA_7pointerIsNSA_11hip_rocprim3tagENSA_11use_defaultESG_EEEEPS6_NSA_18transform_iteratorI10is_orderedNSA_12zip_iteratorINSA_5tupleINSC_INSA_10device_ptrIsEEEESQ_NSA_9null_typeESR_SR_SR_SR_SR_SR_SR_EEEESG_SG_EENS0_5tupleIJPsSJ_EEENSV_IJSJ_SJ_EEES6_PlJS6_EEE10hipError_tPvRmT3_T4_T5_T6_T7_T9_mT8_P12ihipStream_tbDpT10_ENKUlT_T0_E_clISt17integral_constantIbLb0EES1I_IbLb1EEEEDaS1E_S1F_EUlS1E_E_NS1_11comp_targetILNS1_3genE4ELNS1_11target_archE910ELNS1_3gpuE8ELNS1_3repE0EEENS1_30default_config_static_selectorELNS0_4arch9wavefront6targetE1EEEvT1_
	.p2align	8
	.type	_ZN7rocprim17ROCPRIM_400000_NS6detail17trampoline_kernelINS0_14default_configENS1_25partition_config_selectorILNS1_17partition_subalgoE2EsNS0_10empty_typeEbEEZZNS1_14partition_implILS5_2ELb0ES3_jN6thrust23THRUST_200600_302600_NS6detail15normal_iteratorINSA_7pointerIsNSA_11hip_rocprim3tagENSA_11use_defaultESG_EEEEPS6_NSA_18transform_iteratorI10is_orderedNSA_12zip_iteratorINSA_5tupleINSC_INSA_10device_ptrIsEEEESQ_NSA_9null_typeESR_SR_SR_SR_SR_SR_SR_EEEESG_SG_EENS0_5tupleIJPsSJ_EEENSV_IJSJ_SJ_EEES6_PlJS6_EEE10hipError_tPvRmT3_T4_T5_T6_T7_T9_mT8_P12ihipStream_tbDpT10_ENKUlT_T0_E_clISt17integral_constantIbLb0EES1I_IbLb1EEEEDaS1E_S1F_EUlS1E_E_NS1_11comp_targetILNS1_3genE4ELNS1_11target_archE910ELNS1_3gpuE8ELNS1_3repE0EEENS1_30default_config_static_selectorELNS0_4arch9wavefront6targetE1EEEvT1_,@function
_ZN7rocprim17ROCPRIM_400000_NS6detail17trampoline_kernelINS0_14default_configENS1_25partition_config_selectorILNS1_17partition_subalgoE2EsNS0_10empty_typeEbEEZZNS1_14partition_implILS5_2ELb0ES3_jN6thrust23THRUST_200600_302600_NS6detail15normal_iteratorINSA_7pointerIsNSA_11hip_rocprim3tagENSA_11use_defaultESG_EEEEPS6_NSA_18transform_iteratorI10is_orderedNSA_12zip_iteratorINSA_5tupleINSC_INSA_10device_ptrIsEEEESQ_NSA_9null_typeESR_SR_SR_SR_SR_SR_SR_EEEESG_SG_EENS0_5tupleIJPsSJ_EEENSV_IJSJ_SJ_EEES6_PlJS6_EEE10hipError_tPvRmT3_T4_T5_T6_T7_T9_mT8_P12ihipStream_tbDpT10_ENKUlT_T0_E_clISt17integral_constantIbLb0EES1I_IbLb1EEEEDaS1E_S1F_EUlS1E_E_NS1_11comp_targetILNS1_3genE4ELNS1_11target_archE910ELNS1_3gpuE8ELNS1_3repE0EEENS1_30default_config_static_selectorELNS0_4arch9wavefront6targetE1EEEvT1_: ; @_ZN7rocprim17ROCPRIM_400000_NS6detail17trampoline_kernelINS0_14default_configENS1_25partition_config_selectorILNS1_17partition_subalgoE2EsNS0_10empty_typeEbEEZZNS1_14partition_implILS5_2ELb0ES3_jN6thrust23THRUST_200600_302600_NS6detail15normal_iteratorINSA_7pointerIsNSA_11hip_rocprim3tagENSA_11use_defaultESG_EEEEPS6_NSA_18transform_iteratorI10is_orderedNSA_12zip_iteratorINSA_5tupleINSC_INSA_10device_ptrIsEEEESQ_NSA_9null_typeESR_SR_SR_SR_SR_SR_SR_EEEESG_SG_EENS0_5tupleIJPsSJ_EEENSV_IJSJ_SJ_EEES6_PlJS6_EEE10hipError_tPvRmT3_T4_T5_T6_T7_T9_mT8_P12ihipStream_tbDpT10_ENKUlT_T0_E_clISt17integral_constantIbLb0EES1I_IbLb1EEEEDaS1E_S1F_EUlS1E_E_NS1_11comp_targetILNS1_3genE4ELNS1_11target_archE910ELNS1_3gpuE8ELNS1_3repE0EEENS1_30default_config_static_selectorELNS0_4arch9wavefront6targetE1EEEvT1_
; %bb.0:
	.section	.rodata,"a",@progbits
	.p2align	6, 0x0
	.amdhsa_kernel _ZN7rocprim17ROCPRIM_400000_NS6detail17trampoline_kernelINS0_14default_configENS1_25partition_config_selectorILNS1_17partition_subalgoE2EsNS0_10empty_typeEbEEZZNS1_14partition_implILS5_2ELb0ES3_jN6thrust23THRUST_200600_302600_NS6detail15normal_iteratorINSA_7pointerIsNSA_11hip_rocprim3tagENSA_11use_defaultESG_EEEEPS6_NSA_18transform_iteratorI10is_orderedNSA_12zip_iteratorINSA_5tupleINSC_INSA_10device_ptrIsEEEESQ_NSA_9null_typeESR_SR_SR_SR_SR_SR_SR_EEEESG_SG_EENS0_5tupleIJPsSJ_EEENSV_IJSJ_SJ_EEES6_PlJS6_EEE10hipError_tPvRmT3_T4_T5_T6_T7_T9_mT8_P12ihipStream_tbDpT10_ENKUlT_T0_E_clISt17integral_constantIbLb0EES1I_IbLb1EEEEDaS1E_S1F_EUlS1E_E_NS1_11comp_targetILNS1_3genE4ELNS1_11target_archE910ELNS1_3gpuE8ELNS1_3repE0EEENS1_30default_config_static_selectorELNS0_4arch9wavefront6targetE1EEEvT1_
		.amdhsa_group_segment_fixed_size 0
		.amdhsa_private_segment_fixed_size 0
		.amdhsa_kernarg_size 152
		.amdhsa_user_sgpr_count 2
		.amdhsa_user_sgpr_dispatch_ptr 0
		.amdhsa_user_sgpr_queue_ptr 0
		.amdhsa_user_sgpr_kernarg_segment_ptr 1
		.amdhsa_user_sgpr_dispatch_id 0
		.amdhsa_user_sgpr_kernarg_preload_length 0
		.amdhsa_user_sgpr_kernarg_preload_offset 0
		.amdhsa_user_sgpr_private_segment_size 0
		.amdhsa_uses_dynamic_stack 0
		.amdhsa_enable_private_segment 0
		.amdhsa_system_sgpr_workgroup_id_x 1
		.amdhsa_system_sgpr_workgroup_id_y 0
		.amdhsa_system_sgpr_workgroup_id_z 0
		.amdhsa_system_sgpr_workgroup_info 0
		.amdhsa_system_vgpr_workitem_id 0
		.amdhsa_next_free_vgpr 1
		.amdhsa_next_free_sgpr 0
		.amdhsa_accum_offset 4
		.amdhsa_reserve_vcc 0
		.amdhsa_float_round_mode_32 0
		.amdhsa_float_round_mode_16_64 0
		.amdhsa_float_denorm_mode_32 3
		.amdhsa_float_denorm_mode_16_64 3
		.amdhsa_dx10_clamp 1
		.amdhsa_ieee_mode 1
		.amdhsa_fp16_overflow 0
		.amdhsa_tg_split 0
		.amdhsa_exception_fp_ieee_invalid_op 0
		.amdhsa_exception_fp_denorm_src 0
		.amdhsa_exception_fp_ieee_div_zero 0
		.amdhsa_exception_fp_ieee_overflow 0
		.amdhsa_exception_fp_ieee_underflow 0
		.amdhsa_exception_fp_ieee_inexact 0
		.amdhsa_exception_int_div_zero 0
	.end_amdhsa_kernel
	.section	.text._ZN7rocprim17ROCPRIM_400000_NS6detail17trampoline_kernelINS0_14default_configENS1_25partition_config_selectorILNS1_17partition_subalgoE2EsNS0_10empty_typeEbEEZZNS1_14partition_implILS5_2ELb0ES3_jN6thrust23THRUST_200600_302600_NS6detail15normal_iteratorINSA_7pointerIsNSA_11hip_rocprim3tagENSA_11use_defaultESG_EEEEPS6_NSA_18transform_iteratorI10is_orderedNSA_12zip_iteratorINSA_5tupleINSC_INSA_10device_ptrIsEEEESQ_NSA_9null_typeESR_SR_SR_SR_SR_SR_SR_EEEESG_SG_EENS0_5tupleIJPsSJ_EEENSV_IJSJ_SJ_EEES6_PlJS6_EEE10hipError_tPvRmT3_T4_T5_T6_T7_T9_mT8_P12ihipStream_tbDpT10_ENKUlT_T0_E_clISt17integral_constantIbLb0EES1I_IbLb1EEEEDaS1E_S1F_EUlS1E_E_NS1_11comp_targetILNS1_3genE4ELNS1_11target_archE910ELNS1_3gpuE8ELNS1_3repE0EEENS1_30default_config_static_selectorELNS0_4arch9wavefront6targetE1EEEvT1_,"axG",@progbits,_ZN7rocprim17ROCPRIM_400000_NS6detail17trampoline_kernelINS0_14default_configENS1_25partition_config_selectorILNS1_17partition_subalgoE2EsNS0_10empty_typeEbEEZZNS1_14partition_implILS5_2ELb0ES3_jN6thrust23THRUST_200600_302600_NS6detail15normal_iteratorINSA_7pointerIsNSA_11hip_rocprim3tagENSA_11use_defaultESG_EEEEPS6_NSA_18transform_iteratorI10is_orderedNSA_12zip_iteratorINSA_5tupleINSC_INSA_10device_ptrIsEEEESQ_NSA_9null_typeESR_SR_SR_SR_SR_SR_SR_EEEESG_SG_EENS0_5tupleIJPsSJ_EEENSV_IJSJ_SJ_EEES6_PlJS6_EEE10hipError_tPvRmT3_T4_T5_T6_T7_T9_mT8_P12ihipStream_tbDpT10_ENKUlT_T0_E_clISt17integral_constantIbLb0EES1I_IbLb1EEEEDaS1E_S1F_EUlS1E_E_NS1_11comp_targetILNS1_3genE4ELNS1_11target_archE910ELNS1_3gpuE8ELNS1_3repE0EEENS1_30default_config_static_selectorELNS0_4arch9wavefront6targetE1EEEvT1_,comdat
.Lfunc_end3652:
	.size	_ZN7rocprim17ROCPRIM_400000_NS6detail17trampoline_kernelINS0_14default_configENS1_25partition_config_selectorILNS1_17partition_subalgoE2EsNS0_10empty_typeEbEEZZNS1_14partition_implILS5_2ELb0ES3_jN6thrust23THRUST_200600_302600_NS6detail15normal_iteratorINSA_7pointerIsNSA_11hip_rocprim3tagENSA_11use_defaultESG_EEEEPS6_NSA_18transform_iteratorI10is_orderedNSA_12zip_iteratorINSA_5tupleINSC_INSA_10device_ptrIsEEEESQ_NSA_9null_typeESR_SR_SR_SR_SR_SR_SR_EEEESG_SG_EENS0_5tupleIJPsSJ_EEENSV_IJSJ_SJ_EEES6_PlJS6_EEE10hipError_tPvRmT3_T4_T5_T6_T7_T9_mT8_P12ihipStream_tbDpT10_ENKUlT_T0_E_clISt17integral_constantIbLb0EES1I_IbLb1EEEEDaS1E_S1F_EUlS1E_E_NS1_11comp_targetILNS1_3genE4ELNS1_11target_archE910ELNS1_3gpuE8ELNS1_3repE0EEENS1_30default_config_static_selectorELNS0_4arch9wavefront6targetE1EEEvT1_, .Lfunc_end3652-_ZN7rocprim17ROCPRIM_400000_NS6detail17trampoline_kernelINS0_14default_configENS1_25partition_config_selectorILNS1_17partition_subalgoE2EsNS0_10empty_typeEbEEZZNS1_14partition_implILS5_2ELb0ES3_jN6thrust23THRUST_200600_302600_NS6detail15normal_iteratorINSA_7pointerIsNSA_11hip_rocprim3tagENSA_11use_defaultESG_EEEEPS6_NSA_18transform_iteratorI10is_orderedNSA_12zip_iteratorINSA_5tupleINSC_INSA_10device_ptrIsEEEESQ_NSA_9null_typeESR_SR_SR_SR_SR_SR_SR_EEEESG_SG_EENS0_5tupleIJPsSJ_EEENSV_IJSJ_SJ_EEES6_PlJS6_EEE10hipError_tPvRmT3_T4_T5_T6_T7_T9_mT8_P12ihipStream_tbDpT10_ENKUlT_T0_E_clISt17integral_constantIbLb0EES1I_IbLb1EEEEDaS1E_S1F_EUlS1E_E_NS1_11comp_targetILNS1_3genE4ELNS1_11target_archE910ELNS1_3gpuE8ELNS1_3repE0EEENS1_30default_config_static_selectorELNS0_4arch9wavefront6targetE1EEEvT1_
                                        ; -- End function
	.section	.AMDGPU.csdata,"",@progbits
; Kernel info:
; codeLenInByte = 0
; NumSgprs: 6
; NumVgprs: 0
; NumAgprs: 0
; TotalNumVgprs: 0
; ScratchSize: 0
; MemoryBound: 0
; FloatMode: 240
; IeeeMode: 1
; LDSByteSize: 0 bytes/workgroup (compile time only)
; SGPRBlocks: 0
; VGPRBlocks: 0
; NumSGPRsForWavesPerEU: 6
; NumVGPRsForWavesPerEU: 1
; AccumOffset: 4
; Occupancy: 8
; WaveLimiterHint : 0
; COMPUTE_PGM_RSRC2:SCRATCH_EN: 0
; COMPUTE_PGM_RSRC2:USER_SGPR: 2
; COMPUTE_PGM_RSRC2:TRAP_HANDLER: 0
; COMPUTE_PGM_RSRC2:TGID_X_EN: 1
; COMPUTE_PGM_RSRC2:TGID_Y_EN: 0
; COMPUTE_PGM_RSRC2:TGID_Z_EN: 0
; COMPUTE_PGM_RSRC2:TIDIG_COMP_CNT: 0
; COMPUTE_PGM_RSRC3_GFX90A:ACCUM_OFFSET: 0
; COMPUTE_PGM_RSRC3_GFX90A:TG_SPLIT: 0
	.section	.text._ZN7rocprim17ROCPRIM_400000_NS6detail17trampoline_kernelINS0_14default_configENS1_25partition_config_selectorILNS1_17partition_subalgoE2EsNS0_10empty_typeEbEEZZNS1_14partition_implILS5_2ELb0ES3_jN6thrust23THRUST_200600_302600_NS6detail15normal_iteratorINSA_7pointerIsNSA_11hip_rocprim3tagENSA_11use_defaultESG_EEEEPS6_NSA_18transform_iteratorI10is_orderedNSA_12zip_iteratorINSA_5tupleINSC_INSA_10device_ptrIsEEEESQ_NSA_9null_typeESR_SR_SR_SR_SR_SR_SR_EEEESG_SG_EENS0_5tupleIJPsSJ_EEENSV_IJSJ_SJ_EEES6_PlJS6_EEE10hipError_tPvRmT3_T4_T5_T6_T7_T9_mT8_P12ihipStream_tbDpT10_ENKUlT_T0_E_clISt17integral_constantIbLb0EES1I_IbLb1EEEEDaS1E_S1F_EUlS1E_E_NS1_11comp_targetILNS1_3genE3ELNS1_11target_archE908ELNS1_3gpuE7ELNS1_3repE0EEENS1_30default_config_static_selectorELNS0_4arch9wavefront6targetE1EEEvT1_,"axG",@progbits,_ZN7rocprim17ROCPRIM_400000_NS6detail17trampoline_kernelINS0_14default_configENS1_25partition_config_selectorILNS1_17partition_subalgoE2EsNS0_10empty_typeEbEEZZNS1_14partition_implILS5_2ELb0ES3_jN6thrust23THRUST_200600_302600_NS6detail15normal_iteratorINSA_7pointerIsNSA_11hip_rocprim3tagENSA_11use_defaultESG_EEEEPS6_NSA_18transform_iteratorI10is_orderedNSA_12zip_iteratorINSA_5tupleINSC_INSA_10device_ptrIsEEEESQ_NSA_9null_typeESR_SR_SR_SR_SR_SR_SR_EEEESG_SG_EENS0_5tupleIJPsSJ_EEENSV_IJSJ_SJ_EEES6_PlJS6_EEE10hipError_tPvRmT3_T4_T5_T6_T7_T9_mT8_P12ihipStream_tbDpT10_ENKUlT_T0_E_clISt17integral_constantIbLb0EES1I_IbLb1EEEEDaS1E_S1F_EUlS1E_E_NS1_11comp_targetILNS1_3genE3ELNS1_11target_archE908ELNS1_3gpuE7ELNS1_3repE0EEENS1_30default_config_static_selectorELNS0_4arch9wavefront6targetE1EEEvT1_,comdat
	.protected	_ZN7rocprim17ROCPRIM_400000_NS6detail17trampoline_kernelINS0_14default_configENS1_25partition_config_selectorILNS1_17partition_subalgoE2EsNS0_10empty_typeEbEEZZNS1_14partition_implILS5_2ELb0ES3_jN6thrust23THRUST_200600_302600_NS6detail15normal_iteratorINSA_7pointerIsNSA_11hip_rocprim3tagENSA_11use_defaultESG_EEEEPS6_NSA_18transform_iteratorI10is_orderedNSA_12zip_iteratorINSA_5tupleINSC_INSA_10device_ptrIsEEEESQ_NSA_9null_typeESR_SR_SR_SR_SR_SR_SR_EEEESG_SG_EENS0_5tupleIJPsSJ_EEENSV_IJSJ_SJ_EEES6_PlJS6_EEE10hipError_tPvRmT3_T4_T5_T6_T7_T9_mT8_P12ihipStream_tbDpT10_ENKUlT_T0_E_clISt17integral_constantIbLb0EES1I_IbLb1EEEEDaS1E_S1F_EUlS1E_E_NS1_11comp_targetILNS1_3genE3ELNS1_11target_archE908ELNS1_3gpuE7ELNS1_3repE0EEENS1_30default_config_static_selectorELNS0_4arch9wavefront6targetE1EEEvT1_ ; -- Begin function _ZN7rocprim17ROCPRIM_400000_NS6detail17trampoline_kernelINS0_14default_configENS1_25partition_config_selectorILNS1_17partition_subalgoE2EsNS0_10empty_typeEbEEZZNS1_14partition_implILS5_2ELb0ES3_jN6thrust23THRUST_200600_302600_NS6detail15normal_iteratorINSA_7pointerIsNSA_11hip_rocprim3tagENSA_11use_defaultESG_EEEEPS6_NSA_18transform_iteratorI10is_orderedNSA_12zip_iteratorINSA_5tupleINSC_INSA_10device_ptrIsEEEESQ_NSA_9null_typeESR_SR_SR_SR_SR_SR_SR_EEEESG_SG_EENS0_5tupleIJPsSJ_EEENSV_IJSJ_SJ_EEES6_PlJS6_EEE10hipError_tPvRmT3_T4_T5_T6_T7_T9_mT8_P12ihipStream_tbDpT10_ENKUlT_T0_E_clISt17integral_constantIbLb0EES1I_IbLb1EEEEDaS1E_S1F_EUlS1E_E_NS1_11comp_targetILNS1_3genE3ELNS1_11target_archE908ELNS1_3gpuE7ELNS1_3repE0EEENS1_30default_config_static_selectorELNS0_4arch9wavefront6targetE1EEEvT1_
	.globl	_ZN7rocprim17ROCPRIM_400000_NS6detail17trampoline_kernelINS0_14default_configENS1_25partition_config_selectorILNS1_17partition_subalgoE2EsNS0_10empty_typeEbEEZZNS1_14partition_implILS5_2ELb0ES3_jN6thrust23THRUST_200600_302600_NS6detail15normal_iteratorINSA_7pointerIsNSA_11hip_rocprim3tagENSA_11use_defaultESG_EEEEPS6_NSA_18transform_iteratorI10is_orderedNSA_12zip_iteratorINSA_5tupleINSC_INSA_10device_ptrIsEEEESQ_NSA_9null_typeESR_SR_SR_SR_SR_SR_SR_EEEESG_SG_EENS0_5tupleIJPsSJ_EEENSV_IJSJ_SJ_EEES6_PlJS6_EEE10hipError_tPvRmT3_T4_T5_T6_T7_T9_mT8_P12ihipStream_tbDpT10_ENKUlT_T0_E_clISt17integral_constantIbLb0EES1I_IbLb1EEEEDaS1E_S1F_EUlS1E_E_NS1_11comp_targetILNS1_3genE3ELNS1_11target_archE908ELNS1_3gpuE7ELNS1_3repE0EEENS1_30default_config_static_selectorELNS0_4arch9wavefront6targetE1EEEvT1_
	.p2align	8
	.type	_ZN7rocprim17ROCPRIM_400000_NS6detail17trampoline_kernelINS0_14default_configENS1_25partition_config_selectorILNS1_17partition_subalgoE2EsNS0_10empty_typeEbEEZZNS1_14partition_implILS5_2ELb0ES3_jN6thrust23THRUST_200600_302600_NS6detail15normal_iteratorINSA_7pointerIsNSA_11hip_rocprim3tagENSA_11use_defaultESG_EEEEPS6_NSA_18transform_iteratorI10is_orderedNSA_12zip_iteratorINSA_5tupleINSC_INSA_10device_ptrIsEEEESQ_NSA_9null_typeESR_SR_SR_SR_SR_SR_SR_EEEESG_SG_EENS0_5tupleIJPsSJ_EEENSV_IJSJ_SJ_EEES6_PlJS6_EEE10hipError_tPvRmT3_T4_T5_T6_T7_T9_mT8_P12ihipStream_tbDpT10_ENKUlT_T0_E_clISt17integral_constantIbLb0EES1I_IbLb1EEEEDaS1E_S1F_EUlS1E_E_NS1_11comp_targetILNS1_3genE3ELNS1_11target_archE908ELNS1_3gpuE7ELNS1_3repE0EEENS1_30default_config_static_selectorELNS0_4arch9wavefront6targetE1EEEvT1_,@function
_ZN7rocprim17ROCPRIM_400000_NS6detail17trampoline_kernelINS0_14default_configENS1_25partition_config_selectorILNS1_17partition_subalgoE2EsNS0_10empty_typeEbEEZZNS1_14partition_implILS5_2ELb0ES3_jN6thrust23THRUST_200600_302600_NS6detail15normal_iteratorINSA_7pointerIsNSA_11hip_rocprim3tagENSA_11use_defaultESG_EEEEPS6_NSA_18transform_iteratorI10is_orderedNSA_12zip_iteratorINSA_5tupleINSC_INSA_10device_ptrIsEEEESQ_NSA_9null_typeESR_SR_SR_SR_SR_SR_SR_EEEESG_SG_EENS0_5tupleIJPsSJ_EEENSV_IJSJ_SJ_EEES6_PlJS6_EEE10hipError_tPvRmT3_T4_T5_T6_T7_T9_mT8_P12ihipStream_tbDpT10_ENKUlT_T0_E_clISt17integral_constantIbLb0EES1I_IbLb1EEEEDaS1E_S1F_EUlS1E_E_NS1_11comp_targetILNS1_3genE3ELNS1_11target_archE908ELNS1_3gpuE7ELNS1_3repE0EEENS1_30default_config_static_selectorELNS0_4arch9wavefront6targetE1EEEvT1_: ; @_ZN7rocprim17ROCPRIM_400000_NS6detail17trampoline_kernelINS0_14default_configENS1_25partition_config_selectorILNS1_17partition_subalgoE2EsNS0_10empty_typeEbEEZZNS1_14partition_implILS5_2ELb0ES3_jN6thrust23THRUST_200600_302600_NS6detail15normal_iteratorINSA_7pointerIsNSA_11hip_rocprim3tagENSA_11use_defaultESG_EEEEPS6_NSA_18transform_iteratorI10is_orderedNSA_12zip_iteratorINSA_5tupleINSC_INSA_10device_ptrIsEEEESQ_NSA_9null_typeESR_SR_SR_SR_SR_SR_SR_EEEESG_SG_EENS0_5tupleIJPsSJ_EEENSV_IJSJ_SJ_EEES6_PlJS6_EEE10hipError_tPvRmT3_T4_T5_T6_T7_T9_mT8_P12ihipStream_tbDpT10_ENKUlT_T0_E_clISt17integral_constantIbLb0EES1I_IbLb1EEEEDaS1E_S1F_EUlS1E_E_NS1_11comp_targetILNS1_3genE3ELNS1_11target_archE908ELNS1_3gpuE7ELNS1_3repE0EEENS1_30default_config_static_selectorELNS0_4arch9wavefront6targetE1EEEvT1_
; %bb.0:
	.section	.rodata,"a",@progbits
	.p2align	6, 0x0
	.amdhsa_kernel _ZN7rocprim17ROCPRIM_400000_NS6detail17trampoline_kernelINS0_14default_configENS1_25partition_config_selectorILNS1_17partition_subalgoE2EsNS0_10empty_typeEbEEZZNS1_14partition_implILS5_2ELb0ES3_jN6thrust23THRUST_200600_302600_NS6detail15normal_iteratorINSA_7pointerIsNSA_11hip_rocprim3tagENSA_11use_defaultESG_EEEEPS6_NSA_18transform_iteratorI10is_orderedNSA_12zip_iteratorINSA_5tupleINSC_INSA_10device_ptrIsEEEESQ_NSA_9null_typeESR_SR_SR_SR_SR_SR_SR_EEEESG_SG_EENS0_5tupleIJPsSJ_EEENSV_IJSJ_SJ_EEES6_PlJS6_EEE10hipError_tPvRmT3_T4_T5_T6_T7_T9_mT8_P12ihipStream_tbDpT10_ENKUlT_T0_E_clISt17integral_constantIbLb0EES1I_IbLb1EEEEDaS1E_S1F_EUlS1E_E_NS1_11comp_targetILNS1_3genE3ELNS1_11target_archE908ELNS1_3gpuE7ELNS1_3repE0EEENS1_30default_config_static_selectorELNS0_4arch9wavefront6targetE1EEEvT1_
		.amdhsa_group_segment_fixed_size 0
		.amdhsa_private_segment_fixed_size 0
		.amdhsa_kernarg_size 152
		.amdhsa_user_sgpr_count 2
		.amdhsa_user_sgpr_dispatch_ptr 0
		.amdhsa_user_sgpr_queue_ptr 0
		.amdhsa_user_sgpr_kernarg_segment_ptr 1
		.amdhsa_user_sgpr_dispatch_id 0
		.amdhsa_user_sgpr_kernarg_preload_length 0
		.amdhsa_user_sgpr_kernarg_preload_offset 0
		.amdhsa_user_sgpr_private_segment_size 0
		.amdhsa_uses_dynamic_stack 0
		.amdhsa_enable_private_segment 0
		.amdhsa_system_sgpr_workgroup_id_x 1
		.amdhsa_system_sgpr_workgroup_id_y 0
		.amdhsa_system_sgpr_workgroup_id_z 0
		.amdhsa_system_sgpr_workgroup_info 0
		.amdhsa_system_vgpr_workitem_id 0
		.amdhsa_next_free_vgpr 1
		.amdhsa_next_free_sgpr 0
		.amdhsa_accum_offset 4
		.amdhsa_reserve_vcc 0
		.amdhsa_float_round_mode_32 0
		.amdhsa_float_round_mode_16_64 0
		.amdhsa_float_denorm_mode_32 3
		.amdhsa_float_denorm_mode_16_64 3
		.amdhsa_dx10_clamp 1
		.amdhsa_ieee_mode 1
		.amdhsa_fp16_overflow 0
		.amdhsa_tg_split 0
		.amdhsa_exception_fp_ieee_invalid_op 0
		.amdhsa_exception_fp_denorm_src 0
		.amdhsa_exception_fp_ieee_div_zero 0
		.amdhsa_exception_fp_ieee_overflow 0
		.amdhsa_exception_fp_ieee_underflow 0
		.amdhsa_exception_fp_ieee_inexact 0
		.amdhsa_exception_int_div_zero 0
	.end_amdhsa_kernel
	.section	.text._ZN7rocprim17ROCPRIM_400000_NS6detail17trampoline_kernelINS0_14default_configENS1_25partition_config_selectorILNS1_17partition_subalgoE2EsNS0_10empty_typeEbEEZZNS1_14partition_implILS5_2ELb0ES3_jN6thrust23THRUST_200600_302600_NS6detail15normal_iteratorINSA_7pointerIsNSA_11hip_rocprim3tagENSA_11use_defaultESG_EEEEPS6_NSA_18transform_iteratorI10is_orderedNSA_12zip_iteratorINSA_5tupleINSC_INSA_10device_ptrIsEEEESQ_NSA_9null_typeESR_SR_SR_SR_SR_SR_SR_EEEESG_SG_EENS0_5tupleIJPsSJ_EEENSV_IJSJ_SJ_EEES6_PlJS6_EEE10hipError_tPvRmT3_T4_T5_T6_T7_T9_mT8_P12ihipStream_tbDpT10_ENKUlT_T0_E_clISt17integral_constantIbLb0EES1I_IbLb1EEEEDaS1E_S1F_EUlS1E_E_NS1_11comp_targetILNS1_3genE3ELNS1_11target_archE908ELNS1_3gpuE7ELNS1_3repE0EEENS1_30default_config_static_selectorELNS0_4arch9wavefront6targetE1EEEvT1_,"axG",@progbits,_ZN7rocprim17ROCPRIM_400000_NS6detail17trampoline_kernelINS0_14default_configENS1_25partition_config_selectorILNS1_17partition_subalgoE2EsNS0_10empty_typeEbEEZZNS1_14partition_implILS5_2ELb0ES3_jN6thrust23THRUST_200600_302600_NS6detail15normal_iteratorINSA_7pointerIsNSA_11hip_rocprim3tagENSA_11use_defaultESG_EEEEPS6_NSA_18transform_iteratorI10is_orderedNSA_12zip_iteratorINSA_5tupleINSC_INSA_10device_ptrIsEEEESQ_NSA_9null_typeESR_SR_SR_SR_SR_SR_SR_EEEESG_SG_EENS0_5tupleIJPsSJ_EEENSV_IJSJ_SJ_EEES6_PlJS6_EEE10hipError_tPvRmT3_T4_T5_T6_T7_T9_mT8_P12ihipStream_tbDpT10_ENKUlT_T0_E_clISt17integral_constantIbLb0EES1I_IbLb1EEEEDaS1E_S1F_EUlS1E_E_NS1_11comp_targetILNS1_3genE3ELNS1_11target_archE908ELNS1_3gpuE7ELNS1_3repE0EEENS1_30default_config_static_selectorELNS0_4arch9wavefront6targetE1EEEvT1_,comdat
.Lfunc_end3653:
	.size	_ZN7rocprim17ROCPRIM_400000_NS6detail17trampoline_kernelINS0_14default_configENS1_25partition_config_selectorILNS1_17partition_subalgoE2EsNS0_10empty_typeEbEEZZNS1_14partition_implILS5_2ELb0ES3_jN6thrust23THRUST_200600_302600_NS6detail15normal_iteratorINSA_7pointerIsNSA_11hip_rocprim3tagENSA_11use_defaultESG_EEEEPS6_NSA_18transform_iteratorI10is_orderedNSA_12zip_iteratorINSA_5tupleINSC_INSA_10device_ptrIsEEEESQ_NSA_9null_typeESR_SR_SR_SR_SR_SR_SR_EEEESG_SG_EENS0_5tupleIJPsSJ_EEENSV_IJSJ_SJ_EEES6_PlJS6_EEE10hipError_tPvRmT3_T4_T5_T6_T7_T9_mT8_P12ihipStream_tbDpT10_ENKUlT_T0_E_clISt17integral_constantIbLb0EES1I_IbLb1EEEEDaS1E_S1F_EUlS1E_E_NS1_11comp_targetILNS1_3genE3ELNS1_11target_archE908ELNS1_3gpuE7ELNS1_3repE0EEENS1_30default_config_static_selectorELNS0_4arch9wavefront6targetE1EEEvT1_, .Lfunc_end3653-_ZN7rocprim17ROCPRIM_400000_NS6detail17trampoline_kernelINS0_14default_configENS1_25partition_config_selectorILNS1_17partition_subalgoE2EsNS0_10empty_typeEbEEZZNS1_14partition_implILS5_2ELb0ES3_jN6thrust23THRUST_200600_302600_NS6detail15normal_iteratorINSA_7pointerIsNSA_11hip_rocprim3tagENSA_11use_defaultESG_EEEEPS6_NSA_18transform_iteratorI10is_orderedNSA_12zip_iteratorINSA_5tupleINSC_INSA_10device_ptrIsEEEESQ_NSA_9null_typeESR_SR_SR_SR_SR_SR_SR_EEEESG_SG_EENS0_5tupleIJPsSJ_EEENSV_IJSJ_SJ_EEES6_PlJS6_EEE10hipError_tPvRmT3_T4_T5_T6_T7_T9_mT8_P12ihipStream_tbDpT10_ENKUlT_T0_E_clISt17integral_constantIbLb0EES1I_IbLb1EEEEDaS1E_S1F_EUlS1E_E_NS1_11comp_targetILNS1_3genE3ELNS1_11target_archE908ELNS1_3gpuE7ELNS1_3repE0EEENS1_30default_config_static_selectorELNS0_4arch9wavefront6targetE1EEEvT1_
                                        ; -- End function
	.section	.AMDGPU.csdata,"",@progbits
; Kernel info:
; codeLenInByte = 0
; NumSgprs: 6
; NumVgprs: 0
; NumAgprs: 0
; TotalNumVgprs: 0
; ScratchSize: 0
; MemoryBound: 0
; FloatMode: 240
; IeeeMode: 1
; LDSByteSize: 0 bytes/workgroup (compile time only)
; SGPRBlocks: 0
; VGPRBlocks: 0
; NumSGPRsForWavesPerEU: 6
; NumVGPRsForWavesPerEU: 1
; AccumOffset: 4
; Occupancy: 8
; WaveLimiterHint : 0
; COMPUTE_PGM_RSRC2:SCRATCH_EN: 0
; COMPUTE_PGM_RSRC2:USER_SGPR: 2
; COMPUTE_PGM_RSRC2:TRAP_HANDLER: 0
; COMPUTE_PGM_RSRC2:TGID_X_EN: 1
; COMPUTE_PGM_RSRC2:TGID_Y_EN: 0
; COMPUTE_PGM_RSRC2:TGID_Z_EN: 0
; COMPUTE_PGM_RSRC2:TIDIG_COMP_CNT: 0
; COMPUTE_PGM_RSRC3_GFX90A:ACCUM_OFFSET: 0
; COMPUTE_PGM_RSRC3_GFX90A:TG_SPLIT: 0
	.section	.text._ZN7rocprim17ROCPRIM_400000_NS6detail17trampoline_kernelINS0_14default_configENS1_25partition_config_selectorILNS1_17partition_subalgoE2EsNS0_10empty_typeEbEEZZNS1_14partition_implILS5_2ELb0ES3_jN6thrust23THRUST_200600_302600_NS6detail15normal_iteratorINSA_7pointerIsNSA_11hip_rocprim3tagENSA_11use_defaultESG_EEEEPS6_NSA_18transform_iteratorI10is_orderedNSA_12zip_iteratorINSA_5tupleINSC_INSA_10device_ptrIsEEEESQ_NSA_9null_typeESR_SR_SR_SR_SR_SR_SR_EEEESG_SG_EENS0_5tupleIJPsSJ_EEENSV_IJSJ_SJ_EEES6_PlJS6_EEE10hipError_tPvRmT3_T4_T5_T6_T7_T9_mT8_P12ihipStream_tbDpT10_ENKUlT_T0_E_clISt17integral_constantIbLb0EES1I_IbLb1EEEEDaS1E_S1F_EUlS1E_E_NS1_11comp_targetILNS1_3genE2ELNS1_11target_archE906ELNS1_3gpuE6ELNS1_3repE0EEENS1_30default_config_static_selectorELNS0_4arch9wavefront6targetE1EEEvT1_,"axG",@progbits,_ZN7rocprim17ROCPRIM_400000_NS6detail17trampoline_kernelINS0_14default_configENS1_25partition_config_selectorILNS1_17partition_subalgoE2EsNS0_10empty_typeEbEEZZNS1_14partition_implILS5_2ELb0ES3_jN6thrust23THRUST_200600_302600_NS6detail15normal_iteratorINSA_7pointerIsNSA_11hip_rocprim3tagENSA_11use_defaultESG_EEEEPS6_NSA_18transform_iteratorI10is_orderedNSA_12zip_iteratorINSA_5tupleINSC_INSA_10device_ptrIsEEEESQ_NSA_9null_typeESR_SR_SR_SR_SR_SR_SR_EEEESG_SG_EENS0_5tupleIJPsSJ_EEENSV_IJSJ_SJ_EEES6_PlJS6_EEE10hipError_tPvRmT3_T4_T5_T6_T7_T9_mT8_P12ihipStream_tbDpT10_ENKUlT_T0_E_clISt17integral_constantIbLb0EES1I_IbLb1EEEEDaS1E_S1F_EUlS1E_E_NS1_11comp_targetILNS1_3genE2ELNS1_11target_archE906ELNS1_3gpuE6ELNS1_3repE0EEENS1_30default_config_static_selectorELNS0_4arch9wavefront6targetE1EEEvT1_,comdat
	.protected	_ZN7rocprim17ROCPRIM_400000_NS6detail17trampoline_kernelINS0_14default_configENS1_25partition_config_selectorILNS1_17partition_subalgoE2EsNS0_10empty_typeEbEEZZNS1_14partition_implILS5_2ELb0ES3_jN6thrust23THRUST_200600_302600_NS6detail15normal_iteratorINSA_7pointerIsNSA_11hip_rocprim3tagENSA_11use_defaultESG_EEEEPS6_NSA_18transform_iteratorI10is_orderedNSA_12zip_iteratorINSA_5tupleINSC_INSA_10device_ptrIsEEEESQ_NSA_9null_typeESR_SR_SR_SR_SR_SR_SR_EEEESG_SG_EENS0_5tupleIJPsSJ_EEENSV_IJSJ_SJ_EEES6_PlJS6_EEE10hipError_tPvRmT3_T4_T5_T6_T7_T9_mT8_P12ihipStream_tbDpT10_ENKUlT_T0_E_clISt17integral_constantIbLb0EES1I_IbLb1EEEEDaS1E_S1F_EUlS1E_E_NS1_11comp_targetILNS1_3genE2ELNS1_11target_archE906ELNS1_3gpuE6ELNS1_3repE0EEENS1_30default_config_static_selectorELNS0_4arch9wavefront6targetE1EEEvT1_ ; -- Begin function _ZN7rocprim17ROCPRIM_400000_NS6detail17trampoline_kernelINS0_14default_configENS1_25partition_config_selectorILNS1_17partition_subalgoE2EsNS0_10empty_typeEbEEZZNS1_14partition_implILS5_2ELb0ES3_jN6thrust23THRUST_200600_302600_NS6detail15normal_iteratorINSA_7pointerIsNSA_11hip_rocprim3tagENSA_11use_defaultESG_EEEEPS6_NSA_18transform_iteratorI10is_orderedNSA_12zip_iteratorINSA_5tupleINSC_INSA_10device_ptrIsEEEESQ_NSA_9null_typeESR_SR_SR_SR_SR_SR_SR_EEEESG_SG_EENS0_5tupleIJPsSJ_EEENSV_IJSJ_SJ_EEES6_PlJS6_EEE10hipError_tPvRmT3_T4_T5_T6_T7_T9_mT8_P12ihipStream_tbDpT10_ENKUlT_T0_E_clISt17integral_constantIbLb0EES1I_IbLb1EEEEDaS1E_S1F_EUlS1E_E_NS1_11comp_targetILNS1_3genE2ELNS1_11target_archE906ELNS1_3gpuE6ELNS1_3repE0EEENS1_30default_config_static_selectorELNS0_4arch9wavefront6targetE1EEEvT1_
	.globl	_ZN7rocprim17ROCPRIM_400000_NS6detail17trampoline_kernelINS0_14default_configENS1_25partition_config_selectorILNS1_17partition_subalgoE2EsNS0_10empty_typeEbEEZZNS1_14partition_implILS5_2ELb0ES3_jN6thrust23THRUST_200600_302600_NS6detail15normal_iteratorINSA_7pointerIsNSA_11hip_rocprim3tagENSA_11use_defaultESG_EEEEPS6_NSA_18transform_iteratorI10is_orderedNSA_12zip_iteratorINSA_5tupleINSC_INSA_10device_ptrIsEEEESQ_NSA_9null_typeESR_SR_SR_SR_SR_SR_SR_EEEESG_SG_EENS0_5tupleIJPsSJ_EEENSV_IJSJ_SJ_EEES6_PlJS6_EEE10hipError_tPvRmT3_T4_T5_T6_T7_T9_mT8_P12ihipStream_tbDpT10_ENKUlT_T0_E_clISt17integral_constantIbLb0EES1I_IbLb1EEEEDaS1E_S1F_EUlS1E_E_NS1_11comp_targetILNS1_3genE2ELNS1_11target_archE906ELNS1_3gpuE6ELNS1_3repE0EEENS1_30default_config_static_selectorELNS0_4arch9wavefront6targetE1EEEvT1_
	.p2align	8
	.type	_ZN7rocprim17ROCPRIM_400000_NS6detail17trampoline_kernelINS0_14default_configENS1_25partition_config_selectorILNS1_17partition_subalgoE2EsNS0_10empty_typeEbEEZZNS1_14partition_implILS5_2ELb0ES3_jN6thrust23THRUST_200600_302600_NS6detail15normal_iteratorINSA_7pointerIsNSA_11hip_rocprim3tagENSA_11use_defaultESG_EEEEPS6_NSA_18transform_iteratorI10is_orderedNSA_12zip_iteratorINSA_5tupleINSC_INSA_10device_ptrIsEEEESQ_NSA_9null_typeESR_SR_SR_SR_SR_SR_SR_EEEESG_SG_EENS0_5tupleIJPsSJ_EEENSV_IJSJ_SJ_EEES6_PlJS6_EEE10hipError_tPvRmT3_T4_T5_T6_T7_T9_mT8_P12ihipStream_tbDpT10_ENKUlT_T0_E_clISt17integral_constantIbLb0EES1I_IbLb1EEEEDaS1E_S1F_EUlS1E_E_NS1_11comp_targetILNS1_3genE2ELNS1_11target_archE906ELNS1_3gpuE6ELNS1_3repE0EEENS1_30default_config_static_selectorELNS0_4arch9wavefront6targetE1EEEvT1_,@function
_ZN7rocprim17ROCPRIM_400000_NS6detail17trampoline_kernelINS0_14default_configENS1_25partition_config_selectorILNS1_17partition_subalgoE2EsNS0_10empty_typeEbEEZZNS1_14partition_implILS5_2ELb0ES3_jN6thrust23THRUST_200600_302600_NS6detail15normal_iteratorINSA_7pointerIsNSA_11hip_rocprim3tagENSA_11use_defaultESG_EEEEPS6_NSA_18transform_iteratorI10is_orderedNSA_12zip_iteratorINSA_5tupleINSC_INSA_10device_ptrIsEEEESQ_NSA_9null_typeESR_SR_SR_SR_SR_SR_SR_EEEESG_SG_EENS0_5tupleIJPsSJ_EEENSV_IJSJ_SJ_EEES6_PlJS6_EEE10hipError_tPvRmT3_T4_T5_T6_T7_T9_mT8_P12ihipStream_tbDpT10_ENKUlT_T0_E_clISt17integral_constantIbLb0EES1I_IbLb1EEEEDaS1E_S1F_EUlS1E_E_NS1_11comp_targetILNS1_3genE2ELNS1_11target_archE906ELNS1_3gpuE6ELNS1_3repE0EEENS1_30default_config_static_selectorELNS0_4arch9wavefront6targetE1EEEvT1_: ; @_ZN7rocprim17ROCPRIM_400000_NS6detail17trampoline_kernelINS0_14default_configENS1_25partition_config_selectorILNS1_17partition_subalgoE2EsNS0_10empty_typeEbEEZZNS1_14partition_implILS5_2ELb0ES3_jN6thrust23THRUST_200600_302600_NS6detail15normal_iteratorINSA_7pointerIsNSA_11hip_rocprim3tagENSA_11use_defaultESG_EEEEPS6_NSA_18transform_iteratorI10is_orderedNSA_12zip_iteratorINSA_5tupleINSC_INSA_10device_ptrIsEEEESQ_NSA_9null_typeESR_SR_SR_SR_SR_SR_SR_EEEESG_SG_EENS0_5tupleIJPsSJ_EEENSV_IJSJ_SJ_EEES6_PlJS6_EEE10hipError_tPvRmT3_T4_T5_T6_T7_T9_mT8_P12ihipStream_tbDpT10_ENKUlT_T0_E_clISt17integral_constantIbLb0EES1I_IbLb1EEEEDaS1E_S1F_EUlS1E_E_NS1_11comp_targetILNS1_3genE2ELNS1_11target_archE906ELNS1_3gpuE6ELNS1_3repE0EEENS1_30default_config_static_selectorELNS0_4arch9wavefront6targetE1EEEvT1_
; %bb.0:
	.section	.rodata,"a",@progbits
	.p2align	6, 0x0
	.amdhsa_kernel _ZN7rocprim17ROCPRIM_400000_NS6detail17trampoline_kernelINS0_14default_configENS1_25partition_config_selectorILNS1_17partition_subalgoE2EsNS0_10empty_typeEbEEZZNS1_14partition_implILS5_2ELb0ES3_jN6thrust23THRUST_200600_302600_NS6detail15normal_iteratorINSA_7pointerIsNSA_11hip_rocprim3tagENSA_11use_defaultESG_EEEEPS6_NSA_18transform_iteratorI10is_orderedNSA_12zip_iteratorINSA_5tupleINSC_INSA_10device_ptrIsEEEESQ_NSA_9null_typeESR_SR_SR_SR_SR_SR_SR_EEEESG_SG_EENS0_5tupleIJPsSJ_EEENSV_IJSJ_SJ_EEES6_PlJS6_EEE10hipError_tPvRmT3_T4_T5_T6_T7_T9_mT8_P12ihipStream_tbDpT10_ENKUlT_T0_E_clISt17integral_constantIbLb0EES1I_IbLb1EEEEDaS1E_S1F_EUlS1E_E_NS1_11comp_targetILNS1_3genE2ELNS1_11target_archE906ELNS1_3gpuE6ELNS1_3repE0EEENS1_30default_config_static_selectorELNS0_4arch9wavefront6targetE1EEEvT1_
		.amdhsa_group_segment_fixed_size 0
		.amdhsa_private_segment_fixed_size 0
		.amdhsa_kernarg_size 152
		.amdhsa_user_sgpr_count 2
		.amdhsa_user_sgpr_dispatch_ptr 0
		.amdhsa_user_sgpr_queue_ptr 0
		.amdhsa_user_sgpr_kernarg_segment_ptr 1
		.amdhsa_user_sgpr_dispatch_id 0
		.amdhsa_user_sgpr_kernarg_preload_length 0
		.amdhsa_user_sgpr_kernarg_preload_offset 0
		.amdhsa_user_sgpr_private_segment_size 0
		.amdhsa_uses_dynamic_stack 0
		.amdhsa_enable_private_segment 0
		.amdhsa_system_sgpr_workgroup_id_x 1
		.amdhsa_system_sgpr_workgroup_id_y 0
		.amdhsa_system_sgpr_workgroup_id_z 0
		.amdhsa_system_sgpr_workgroup_info 0
		.amdhsa_system_vgpr_workitem_id 0
		.amdhsa_next_free_vgpr 1
		.amdhsa_next_free_sgpr 0
		.amdhsa_accum_offset 4
		.amdhsa_reserve_vcc 0
		.amdhsa_float_round_mode_32 0
		.amdhsa_float_round_mode_16_64 0
		.amdhsa_float_denorm_mode_32 3
		.amdhsa_float_denorm_mode_16_64 3
		.amdhsa_dx10_clamp 1
		.amdhsa_ieee_mode 1
		.amdhsa_fp16_overflow 0
		.amdhsa_tg_split 0
		.amdhsa_exception_fp_ieee_invalid_op 0
		.amdhsa_exception_fp_denorm_src 0
		.amdhsa_exception_fp_ieee_div_zero 0
		.amdhsa_exception_fp_ieee_overflow 0
		.amdhsa_exception_fp_ieee_underflow 0
		.amdhsa_exception_fp_ieee_inexact 0
		.amdhsa_exception_int_div_zero 0
	.end_amdhsa_kernel
	.section	.text._ZN7rocprim17ROCPRIM_400000_NS6detail17trampoline_kernelINS0_14default_configENS1_25partition_config_selectorILNS1_17partition_subalgoE2EsNS0_10empty_typeEbEEZZNS1_14partition_implILS5_2ELb0ES3_jN6thrust23THRUST_200600_302600_NS6detail15normal_iteratorINSA_7pointerIsNSA_11hip_rocprim3tagENSA_11use_defaultESG_EEEEPS6_NSA_18transform_iteratorI10is_orderedNSA_12zip_iteratorINSA_5tupleINSC_INSA_10device_ptrIsEEEESQ_NSA_9null_typeESR_SR_SR_SR_SR_SR_SR_EEEESG_SG_EENS0_5tupleIJPsSJ_EEENSV_IJSJ_SJ_EEES6_PlJS6_EEE10hipError_tPvRmT3_T4_T5_T6_T7_T9_mT8_P12ihipStream_tbDpT10_ENKUlT_T0_E_clISt17integral_constantIbLb0EES1I_IbLb1EEEEDaS1E_S1F_EUlS1E_E_NS1_11comp_targetILNS1_3genE2ELNS1_11target_archE906ELNS1_3gpuE6ELNS1_3repE0EEENS1_30default_config_static_selectorELNS0_4arch9wavefront6targetE1EEEvT1_,"axG",@progbits,_ZN7rocprim17ROCPRIM_400000_NS6detail17trampoline_kernelINS0_14default_configENS1_25partition_config_selectorILNS1_17partition_subalgoE2EsNS0_10empty_typeEbEEZZNS1_14partition_implILS5_2ELb0ES3_jN6thrust23THRUST_200600_302600_NS6detail15normal_iteratorINSA_7pointerIsNSA_11hip_rocprim3tagENSA_11use_defaultESG_EEEEPS6_NSA_18transform_iteratorI10is_orderedNSA_12zip_iteratorINSA_5tupleINSC_INSA_10device_ptrIsEEEESQ_NSA_9null_typeESR_SR_SR_SR_SR_SR_SR_EEEESG_SG_EENS0_5tupleIJPsSJ_EEENSV_IJSJ_SJ_EEES6_PlJS6_EEE10hipError_tPvRmT3_T4_T5_T6_T7_T9_mT8_P12ihipStream_tbDpT10_ENKUlT_T0_E_clISt17integral_constantIbLb0EES1I_IbLb1EEEEDaS1E_S1F_EUlS1E_E_NS1_11comp_targetILNS1_3genE2ELNS1_11target_archE906ELNS1_3gpuE6ELNS1_3repE0EEENS1_30default_config_static_selectorELNS0_4arch9wavefront6targetE1EEEvT1_,comdat
.Lfunc_end3654:
	.size	_ZN7rocprim17ROCPRIM_400000_NS6detail17trampoline_kernelINS0_14default_configENS1_25partition_config_selectorILNS1_17partition_subalgoE2EsNS0_10empty_typeEbEEZZNS1_14partition_implILS5_2ELb0ES3_jN6thrust23THRUST_200600_302600_NS6detail15normal_iteratorINSA_7pointerIsNSA_11hip_rocprim3tagENSA_11use_defaultESG_EEEEPS6_NSA_18transform_iteratorI10is_orderedNSA_12zip_iteratorINSA_5tupleINSC_INSA_10device_ptrIsEEEESQ_NSA_9null_typeESR_SR_SR_SR_SR_SR_SR_EEEESG_SG_EENS0_5tupleIJPsSJ_EEENSV_IJSJ_SJ_EEES6_PlJS6_EEE10hipError_tPvRmT3_T4_T5_T6_T7_T9_mT8_P12ihipStream_tbDpT10_ENKUlT_T0_E_clISt17integral_constantIbLb0EES1I_IbLb1EEEEDaS1E_S1F_EUlS1E_E_NS1_11comp_targetILNS1_3genE2ELNS1_11target_archE906ELNS1_3gpuE6ELNS1_3repE0EEENS1_30default_config_static_selectorELNS0_4arch9wavefront6targetE1EEEvT1_, .Lfunc_end3654-_ZN7rocprim17ROCPRIM_400000_NS6detail17trampoline_kernelINS0_14default_configENS1_25partition_config_selectorILNS1_17partition_subalgoE2EsNS0_10empty_typeEbEEZZNS1_14partition_implILS5_2ELb0ES3_jN6thrust23THRUST_200600_302600_NS6detail15normal_iteratorINSA_7pointerIsNSA_11hip_rocprim3tagENSA_11use_defaultESG_EEEEPS6_NSA_18transform_iteratorI10is_orderedNSA_12zip_iteratorINSA_5tupleINSC_INSA_10device_ptrIsEEEESQ_NSA_9null_typeESR_SR_SR_SR_SR_SR_SR_EEEESG_SG_EENS0_5tupleIJPsSJ_EEENSV_IJSJ_SJ_EEES6_PlJS6_EEE10hipError_tPvRmT3_T4_T5_T6_T7_T9_mT8_P12ihipStream_tbDpT10_ENKUlT_T0_E_clISt17integral_constantIbLb0EES1I_IbLb1EEEEDaS1E_S1F_EUlS1E_E_NS1_11comp_targetILNS1_3genE2ELNS1_11target_archE906ELNS1_3gpuE6ELNS1_3repE0EEENS1_30default_config_static_selectorELNS0_4arch9wavefront6targetE1EEEvT1_
                                        ; -- End function
	.section	.AMDGPU.csdata,"",@progbits
; Kernel info:
; codeLenInByte = 0
; NumSgprs: 6
; NumVgprs: 0
; NumAgprs: 0
; TotalNumVgprs: 0
; ScratchSize: 0
; MemoryBound: 0
; FloatMode: 240
; IeeeMode: 1
; LDSByteSize: 0 bytes/workgroup (compile time only)
; SGPRBlocks: 0
; VGPRBlocks: 0
; NumSGPRsForWavesPerEU: 6
; NumVGPRsForWavesPerEU: 1
; AccumOffset: 4
; Occupancy: 8
; WaveLimiterHint : 0
; COMPUTE_PGM_RSRC2:SCRATCH_EN: 0
; COMPUTE_PGM_RSRC2:USER_SGPR: 2
; COMPUTE_PGM_RSRC2:TRAP_HANDLER: 0
; COMPUTE_PGM_RSRC2:TGID_X_EN: 1
; COMPUTE_PGM_RSRC2:TGID_Y_EN: 0
; COMPUTE_PGM_RSRC2:TGID_Z_EN: 0
; COMPUTE_PGM_RSRC2:TIDIG_COMP_CNT: 0
; COMPUTE_PGM_RSRC3_GFX90A:ACCUM_OFFSET: 0
; COMPUTE_PGM_RSRC3_GFX90A:TG_SPLIT: 0
	.section	.text._ZN7rocprim17ROCPRIM_400000_NS6detail17trampoline_kernelINS0_14default_configENS1_25partition_config_selectorILNS1_17partition_subalgoE2EsNS0_10empty_typeEbEEZZNS1_14partition_implILS5_2ELb0ES3_jN6thrust23THRUST_200600_302600_NS6detail15normal_iteratorINSA_7pointerIsNSA_11hip_rocprim3tagENSA_11use_defaultESG_EEEEPS6_NSA_18transform_iteratorI10is_orderedNSA_12zip_iteratorINSA_5tupleINSC_INSA_10device_ptrIsEEEESQ_NSA_9null_typeESR_SR_SR_SR_SR_SR_SR_EEEESG_SG_EENS0_5tupleIJPsSJ_EEENSV_IJSJ_SJ_EEES6_PlJS6_EEE10hipError_tPvRmT3_T4_T5_T6_T7_T9_mT8_P12ihipStream_tbDpT10_ENKUlT_T0_E_clISt17integral_constantIbLb0EES1I_IbLb1EEEEDaS1E_S1F_EUlS1E_E_NS1_11comp_targetILNS1_3genE10ELNS1_11target_archE1200ELNS1_3gpuE4ELNS1_3repE0EEENS1_30default_config_static_selectorELNS0_4arch9wavefront6targetE1EEEvT1_,"axG",@progbits,_ZN7rocprim17ROCPRIM_400000_NS6detail17trampoline_kernelINS0_14default_configENS1_25partition_config_selectorILNS1_17partition_subalgoE2EsNS0_10empty_typeEbEEZZNS1_14partition_implILS5_2ELb0ES3_jN6thrust23THRUST_200600_302600_NS6detail15normal_iteratorINSA_7pointerIsNSA_11hip_rocprim3tagENSA_11use_defaultESG_EEEEPS6_NSA_18transform_iteratorI10is_orderedNSA_12zip_iteratorINSA_5tupleINSC_INSA_10device_ptrIsEEEESQ_NSA_9null_typeESR_SR_SR_SR_SR_SR_SR_EEEESG_SG_EENS0_5tupleIJPsSJ_EEENSV_IJSJ_SJ_EEES6_PlJS6_EEE10hipError_tPvRmT3_T4_T5_T6_T7_T9_mT8_P12ihipStream_tbDpT10_ENKUlT_T0_E_clISt17integral_constantIbLb0EES1I_IbLb1EEEEDaS1E_S1F_EUlS1E_E_NS1_11comp_targetILNS1_3genE10ELNS1_11target_archE1200ELNS1_3gpuE4ELNS1_3repE0EEENS1_30default_config_static_selectorELNS0_4arch9wavefront6targetE1EEEvT1_,comdat
	.protected	_ZN7rocprim17ROCPRIM_400000_NS6detail17trampoline_kernelINS0_14default_configENS1_25partition_config_selectorILNS1_17partition_subalgoE2EsNS0_10empty_typeEbEEZZNS1_14partition_implILS5_2ELb0ES3_jN6thrust23THRUST_200600_302600_NS6detail15normal_iteratorINSA_7pointerIsNSA_11hip_rocprim3tagENSA_11use_defaultESG_EEEEPS6_NSA_18transform_iteratorI10is_orderedNSA_12zip_iteratorINSA_5tupleINSC_INSA_10device_ptrIsEEEESQ_NSA_9null_typeESR_SR_SR_SR_SR_SR_SR_EEEESG_SG_EENS0_5tupleIJPsSJ_EEENSV_IJSJ_SJ_EEES6_PlJS6_EEE10hipError_tPvRmT3_T4_T5_T6_T7_T9_mT8_P12ihipStream_tbDpT10_ENKUlT_T0_E_clISt17integral_constantIbLb0EES1I_IbLb1EEEEDaS1E_S1F_EUlS1E_E_NS1_11comp_targetILNS1_3genE10ELNS1_11target_archE1200ELNS1_3gpuE4ELNS1_3repE0EEENS1_30default_config_static_selectorELNS0_4arch9wavefront6targetE1EEEvT1_ ; -- Begin function _ZN7rocprim17ROCPRIM_400000_NS6detail17trampoline_kernelINS0_14default_configENS1_25partition_config_selectorILNS1_17partition_subalgoE2EsNS0_10empty_typeEbEEZZNS1_14partition_implILS5_2ELb0ES3_jN6thrust23THRUST_200600_302600_NS6detail15normal_iteratorINSA_7pointerIsNSA_11hip_rocprim3tagENSA_11use_defaultESG_EEEEPS6_NSA_18transform_iteratorI10is_orderedNSA_12zip_iteratorINSA_5tupleINSC_INSA_10device_ptrIsEEEESQ_NSA_9null_typeESR_SR_SR_SR_SR_SR_SR_EEEESG_SG_EENS0_5tupleIJPsSJ_EEENSV_IJSJ_SJ_EEES6_PlJS6_EEE10hipError_tPvRmT3_T4_T5_T6_T7_T9_mT8_P12ihipStream_tbDpT10_ENKUlT_T0_E_clISt17integral_constantIbLb0EES1I_IbLb1EEEEDaS1E_S1F_EUlS1E_E_NS1_11comp_targetILNS1_3genE10ELNS1_11target_archE1200ELNS1_3gpuE4ELNS1_3repE0EEENS1_30default_config_static_selectorELNS0_4arch9wavefront6targetE1EEEvT1_
	.globl	_ZN7rocprim17ROCPRIM_400000_NS6detail17trampoline_kernelINS0_14default_configENS1_25partition_config_selectorILNS1_17partition_subalgoE2EsNS0_10empty_typeEbEEZZNS1_14partition_implILS5_2ELb0ES3_jN6thrust23THRUST_200600_302600_NS6detail15normal_iteratorINSA_7pointerIsNSA_11hip_rocprim3tagENSA_11use_defaultESG_EEEEPS6_NSA_18transform_iteratorI10is_orderedNSA_12zip_iteratorINSA_5tupleINSC_INSA_10device_ptrIsEEEESQ_NSA_9null_typeESR_SR_SR_SR_SR_SR_SR_EEEESG_SG_EENS0_5tupleIJPsSJ_EEENSV_IJSJ_SJ_EEES6_PlJS6_EEE10hipError_tPvRmT3_T4_T5_T6_T7_T9_mT8_P12ihipStream_tbDpT10_ENKUlT_T0_E_clISt17integral_constantIbLb0EES1I_IbLb1EEEEDaS1E_S1F_EUlS1E_E_NS1_11comp_targetILNS1_3genE10ELNS1_11target_archE1200ELNS1_3gpuE4ELNS1_3repE0EEENS1_30default_config_static_selectorELNS0_4arch9wavefront6targetE1EEEvT1_
	.p2align	8
	.type	_ZN7rocprim17ROCPRIM_400000_NS6detail17trampoline_kernelINS0_14default_configENS1_25partition_config_selectorILNS1_17partition_subalgoE2EsNS0_10empty_typeEbEEZZNS1_14partition_implILS5_2ELb0ES3_jN6thrust23THRUST_200600_302600_NS6detail15normal_iteratorINSA_7pointerIsNSA_11hip_rocprim3tagENSA_11use_defaultESG_EEEEPS6_NSA_18transform_iteratorI10is_orderedNSA_12zip_iteratorINSA_5tupleINSC_INSA_10device_ptrIsEEEESQ_NSA_9null_typeESR_SR_SR_SR_SR_SR_SR_EEEESG_SG_EENS0_5tupleIJPsSJ_EEENSV_IJSJ_SJ_EEES6_PlJS6_EEE10hipError_tPvRmT3_T4_T5_T6_T7_T9_mT8_P12ihipStream_tbDpT10_ENKUlT_T0_E_clISt17integral_constantIbLb0EES1I_IbLb1EEEEDaS1E_S1F_EUlS1E_E_NS1_11comp_targetILNS1_3genE10ELNS1_11target_archE1200ELNS1_3gpuE4ELNS1_3repE0EEENS1_30default_config_static_selectorELNS0_4arch9wavefront6targetE1EEEvT1_,@function
_ZN7rocprim17ROCPRIM_400000_NS6detail17trampoline_kernelINS0_14default_configENS1_25partition_config_selectorILNS1_17partition_subalgoE2EsNS0_10empty_typeEbEEZZNS1_14partition_implILS5_2ELb0ES3_jN6thrust23THRUST_200600_302600_NS6detail15normal_iteratorINSA_7pointerIsNSA_11hip_rocprim3tagENSA_11use_defaultESG_EEEEPS6_NSA_18transform_iteratorI10is_orderedNSA_12zip_iteratorINSA_5tupleINSC_INSA_10device_ptrIsEEEESQ_NSA_9null_typeESR_SR_SR_SR_SR_SR_SR_EEEESG_SG_EENS0_5tupleIJPsSJ_EEENSV_IJSJ_SJ_EEES6_PlJS6_EEE10hipError_tPvRmT3_T4_T5_T6_T7_T9_mT8_P12ihipStream_tbDpT10_ENKUlT_T0_E_clISt17integral_constantIbLb0EES1I_IbLb1EEEEDaS1E_S1F_EUlS1E_E_NS1_11comp_targetILNS1_3genE10ELNS1_11target_archE1200ELNS1_3gpuE4ELNS1_3repE0EEENS1_30default_config_static_selectorELNS0_4arch9wavefront6targetE1EEEvT1_: ; @_ZN7rocprim17ROCPRIM_400000_NS6detail17trampoline_kernelINS0_14default_configENS1_25partition_config_selectorILNS1_17partition_subalgoE2EsNS0_10empty_typeEbEEZZNS1_14partition_implILS5_2ELb0ES3_jN6thrust23THRUST_200600_302600_NS6detail15normal_iteratorINSA_7pointerIsNSA_11hip_rocprim3tagENSA_11use_defaultESG_EEEEPS6_NSA_18transform_iteratorI10is_orderedNSA_12zip_iteratorINSA_5tupleINSC_INSA_10device_ptrIsEEEESQ_NSA_9null_typeESR_SR_SR_SR_SR_SR_SR_EEEESG_SG_EENS0_5tupleIJPsSJ_EEENSV_IJSJ_SJ_EEES6_PlJS6_EEE10hipError_tPvRmT3_T4_T5_T6_T7_T9_mT8_P12ihipStream_tbDpT10_ENKUlT_T0_E_clISt17integral_constantIbLb0EES1I_IbLb1EEEEDaS1E_S1F_EUlS1E_E_NS1_11comp_targetILNS1_3genE10ELNS1_11target_archE1200ELNS1_3gpuE4ELNS1_3repE0EEENS1_30default_config_static_selectorELNS0_4arch9wavefront6targetE1EEEvT1_
; %bb.0:
	.section	.rodata,"a",@progbits
	.p2align	6, 0x0
	.amdhsa_kernel _ZN7rocprim17ROCPRIM_400000_NS6detail17trampoline_kernelINS0_14default_configENS1_25partition_config_selectorILNS1_17partition_subalgoE2EsNS0_10empty_typeEbEEZZNS1_14partition_implILS5_2ELb0ES3_jN6thrust23THRUST_200600_302600_NS6detail15normal_iteratorINSA_7pointerIsNSA_11hip_rocprim3tagENSA_11use_defaultESG_EEEEPS6_NSA_18transform_iteratorI10is_orderedNSA_12zip_iteratorINSA_5tupleINSC_INSA_10device_ptrIsEEEESQ_NSA_9null_typeESR_SR_SR_SR_SR_SR_SR_EEEESG_SG_EENS0_5tupleIJPsSJ_EEENSV_IJSJ_SJ_EEES6_PlJS6_EEE10hipError_tPvRmT3_T4_T5_T6_T7_T9_mT8_P12ihipStream_tbDpT10_ENKUlT_T0_E_clISt17integral_constantIbLb0EES1I_IbLb1EEEEDaS1E_S1F_EUlS1E_E_NS1_11comp_targetILNS1_3genE10ELNS1_11target_archE1200ELNS1_3gpuE4ELNS1_3repE0EEENS1_30default_config_static_selectorELNS0_4arch9wavefront6targetE1EEEvT1_
		.amdhsa_group_segment_fixed_size 0
		.amdhsa_private_segment_fixed_size 0
		.amdhsa_kernarg_size 152
		.amdhsa_user_sgpr_count 2
		.amdhsa_user_sgpr_dispatch_ptr 0
		.amdhsa_user_sgpr_queue_ptr 0
		.amdhsa_user_sgpr_kernarg_segment_ptr 1
		.amdhsa_user_sgpr_dispatch_id 0
		.amdhsa_user_sgpr_kernarg_preload_length 0
		.amdhsa_user_sgpr_kernarg_preload_offset 0
		.amdhsa_user_sgpr_private_segment_size 0
		.amdhsa_uses_dynamic_stack 0
		.amdhsa_enable_private_segment 0
		.amdhsa_system_sgpr_workgroup_id_x 1
		.amdhsa_system_sgpr_workgroup_id_y 0
		.amdhsa_system_sgpr_workgroup_id_z 0
		.amdhsa_system_sgpr_workgroup_info 0
		.amdhsa_system_vgpr_workitem_id 0
		.amdhsa_next_free_vgpr 1
		.amdhsa_next_free_sgpr 0
		.amdhsa_accum_offset 4
		.amdhsa_reserve_vcc 0
		.amdhsa_float_round_mode_32 0
		.amdhsa_float_round_mode_16_64 0
		.amdhsa_float_denorm_mode_32 3
		.amdhsa_float_denorm_mode_16_64 3
		.amdhsa_dx10_clamp 1
		.amdhsa_ieee_mode 1
		.amdhsa_fp16_overflow 0
		.amdhsa_tg_split 0
		.amdhsa_exception_fp_ieee_invalid_op 0
		.amdhsa_exception_fp_denorm_src 0
		.amdhsa_exception_fp_ieee_div_zero 0
		.amdhsa_exception_fp_ieee_overflow 0
		.amdhsa_exception_fp_ieee_underflow 0
		.amdhsa_exception_fp_ieee_inexact 0
		.amdhsa_exception_int_div_zero 0
	.end_amdhsa_kernel
	.section	.text._ZN7rocprim17ROCPRIM_400000_NS6detail17trampoline_kernelINS0_14default_configENS1_25partition_config_selectorILNS1_17partition_subalgoE2EsNS0_10empty_typeEbEEZZNS1_14partition_implILS5_2ELb0ES3_jN6thrust23THRUST_200600_302600_NS6detail15normal_iteratorINSA_7pointerIsNSA_11hip_rocprim3tagENSA_11use_defaultESG_EEEEPS6_NSA_18transform_iteratorI10is_orderedNSA_12zip_iteratorINSA_5tupleINSC_INSA_10device_ptrIsEEEESQ_NSA_9null_typeESR_SR_SR_SR_SR_SR_SR_EEEESG_SG_EENS0_5tupleIJPsSJ_EEENSV_IJSJ_SJ_EEES6_PlJS6_EEE10hipError_tPvRmT3_T4_T5_T6_T7_T9_mT8_P12ihipStream_tbDpT10_ENKUlT_T0_E_clISt17integral_constantIbLb0EES1I_IbLb1EEEEDaS1E_S1F_EUlS1E_E_NS1_11comp_targetILNS1_3genE10ELNS1_11target_archE1200ELNS1_3gpuE4ELNS1_3repE0EEENS1_30default_config_static_selectorELNS0_4arch9wavefront6targetE1EEEvT1_,"axG",@progbits,_ZN7rocprim17ROCPRIM_400000_NS6detail17trampoline_kernelINS0_14default_configENS1_25partition_config_selectorILNS1_17partition_subalgoE2EsNS0_10empty_typeEbEEZZNS1_14partition_implILS5_2ELb0ES3_jN6thrust23THRUST_200600_302600_NS6detail15normal_iteratorINSA_7pointerIsNSA_11hip_rocprim3tagENSA_11use_defaultESG_EEEEPS6_NSA_18transform_iteratorI10is_orderedNSA_12zip_iteratorINSA_5tupleINSC_INSA_10device_ptrIsEEEESQ_NSA_9null_typeESR_SR_SR_SR_SR_SR_SR_EEEESG_SG_EENS0_5tupleIJPsSJ_EEENSV_IJSJ_SJ_EEES6_PlJS6_EEE10hipError_tPvRmT3_T4_T5_T6_T7_T9_mT8_P12ihipStream_tbDpT10_ENKUlT_T0_E_clISt17integral_constantIbLb0EES1I_IbLb1EEEEDaS1E_S1F_EUlS1E_E_NS1_11comp_targetILNS1_3genE10ELNS1_11target_archE1200ELNS1_3gpuE4ELNS1_3repE0EEENS1_30default_config_static_selectorELNS0_4arch9wavefront6targetE1EEEvT1_,comdat
.Lfunc_end3655:
	.size	_ZN7rocprim17ROCPRIM_400000_NS6detail17trampoline_kernelINS0_14default_configENS1_25partition_config_selectorILNS1_17partition_subalgoE2EsNS0_10empty_typeEbEEZZNS1_14partition_implILS5_2ELb0ES3_jN6thrust23THRUST_200600_302600_NS6detail15normal_iteratorINSA_7pointerIsNSA_11hip_rocprim3tagENSA_11use_defaultESG_EEEEPS6_NSA_18transform_iteratorI10is_orderedNSA_12zip_iteratorINSA_5tupleINSC_INSA_10device_ptrIsEEEESQ_NSA_9null_typeESR_SR_SR_SR_SR_SR_SR_EEEESG_SG_EENS0_5tupleIJPsSJ_EEENSV_IJSJ_SJ_EEES6_PlJS6_EEE10hipError_tPvRmT3_T4_T5_T6_T7_T9_mT8_P12ihipStream_tbDpT10_ENKUlT_T0_E_clISt17integral_constantIbLb0EES1I_IbLb1EEEEDaS1E_S1F_EUlS1E_E_NS1_11comp_targetILNS1_3genE10ELNS1_11target_archE1200ELNS1_3gpuE4ELNS1_3repE0EEENS1_30default_config_static_selectorELNS0_4arch9wavefront6targetE1EEEvT1_, .Lfunc_end3655-_ZN7rocprim17ROCPRIM_400000_NS6detail17trampoline_kernelINS0_14default_configENS1_25partition_config_selectorILNS1_17partition_subalgoE2EsNS0_10empty_typeEbEEZZNS1_14partition_implILS5_2ELb0ES3_jN6thrust23THRUST_200600_302600_NS6detail15normal_iteratorINSA_7pointerIsNSA_11hip_rocprim3tagENSA_11use_defaultESG_EEEEPS6_NSA_18transform_iteratorI10is_orderedNSA_12zip_iteratorINSA_5tupleINSC_INSA_10device_ptrIsEEEESQ_NSA_9null_typeESR_SR_SR_SR_SR_SR_SR_EEEESG_SG_EENS0_5tupleIJPsSJ_EEENSV_IJSJ_SJ_EEES6_PlJS6_EEE10hipError_tPvRmT3_T4_T5_T6_T7_T9_mT8_P12ihipStream_tbDpT10_ENKUlT_T0_E_clISt17integral_constantIbLb0EES1I_IbLb1EEEEDaS1E_S1F_EUlS1E_E_NS1_11comp_targetILNS1_3genE10ELNS1_11target_archE1200ELNS1_3gpuE4ELNS1_3repE0EEENS1_30default_config_static_selectorELNS0_4arch9wavefront6targetE1EEEvT1_
                                        ; -- End function
	.section	.AMDGPU.csdata,"",@progbits
; Kernel info:
; codeLenInByte = 0
; NumSgprs: 6
; NumVgprs: 0
; NumAgprs: 0
; TotalNumVgprs: 0
; ScratchSize: 0
; MemoryBound: 0
; FloatMode: 240
; IeeeMode: 1
; LDSByteSize: 0 bytes/workgroup (compile time only)
; SGPRBlocks: 0
; VGPRBlocks: 0
; NumSGPRsForWavesPerEU: 6
; NumVGPRsForWavesPerEU: 1
; AccumOffset: 4
; Occupancy: 8
; WaveLimiterHint : 0
; COMPUTE_PGM_RSRC2:SCRATCH_EN: 0
; COMPUTE_PGM_RSRC2:USER_SGPR: 2
; COMPUTE_PGM_RSRC2:TRAP_HANDLER: 0
; COMPUTE_PGM_RSRC2:TGID_X_EN: 1
; COMPUTE_PGM_RSRC2:TGID_Y_EN: 0
; COMPUTE_PGM_RSRC2:TGID_Z_EN: 0
; COMPUTE_PGM_RSRC2:TIDIG_COMP_CNT: 0
; COMPUTE_PGM_RSRC3_GFX90A:ACCUM_OFFSET: 0
; COMPUTE_PGM_RSRC3_GFX90A:TG_SPLIT: 0
	.section	.text._ZN7rocprim17ROCPRIM_400000_NS6detail17trampoline_kernelINS0_14default_configENS1_25partition_config_selectorILNS1_17partition_subalgoE2EsNS0_10empty_typeEbEEZZNS1_14partition_implILS5_2ELb0ES3_jN6thrust23THRUST_200600_302600_NS6detail15normal_iteratorINSA_7pointerIsNSA_11hip_rocprim3tagENSA_11use_defaultESG_EEEEPS6_NSA_18transform_iteratorI10is_orderedNSA_12zip_iteratorINSA_5tupleINSC_INSA_10device_ptrIsEEEESQ_NSA_9null_typeESR_SR_SR_SR_SR_SR_SR_EEEESG_SG_EENS0_5tupleIJPsSJ_EEENSV_IJSJ_SJ_EEES6_PlJS6_EEE10hipError_tPvRmT3_T4_T5_T6_T7_T9_mT8_P12ihipStream_tbDpT10_ENKUlT_T0_E_clISt17integral_constantIbLb0EES1I_IbLb1EEEEDaS1E_S1F_EUlS1E_E_NS1_11comp_targetILNS1_3genE9ELNS1_11target_archE1100ELNS1_3gpuE3ELNS1_3repE0EEENS1_30default_config_static_selectorELNS0_4arch9wavefront6targetE1EEEvT1_,"axG",@progbits,_ZN7rocprim17ROCPRIM_400000_NS6detail17trampoline_kernelINS0_14default_configENS1_25partition_config_selectorILNS1_17partition_subalgoE2EsNS0_10empty_typeEbEEZZNS1_14partition_implILS5_2ELb0ES3_jN6thrust23THRUST_200600_302600_NS6detail15normal_iteratorINSA_7pointerIsNSA_11hip_rocprim3tagENSA_11use_defaultESG_EEEEPS6_NSA_18transform_iteratorI10is_orderedNSA_12zip_iteratorINSA_5tupleINSC_INSA_10device_ptrIsEEEESQ_NSA_9null_typeESR_SR_SR_SR_SR_SR_SR_EEEESG_SG_EENS0_5tupleIJPsSJ_EEENSV_IJSJ_SJ_EEES6_PlJS6_EEE10hipError_tPvRmT3_T4_T5_T6_T7_T9_mT8_P12ihipStream_tbDpT10_ENKUlT_T0_E_clISt17integral_constantIbLb0EES1I_IbLb1EEEEDaS1E_S1F_EUlS1E_E_NS1_11comp_targetILNS1_3genE9ELNS1_11target_archE1100ELNS1_3gpuE3ELNS1_3repE0EEENS1_30default_config_static_selectorELNS0_4arch9wavefront6targetE1EEEvT1_,comdat
	.protected	_ZN7rocprim17ROCPRIM_400000_NS6detail17trampoline_kernelINS0_14default_configENS1_25partition_config_selectorILNS1_17partition_subalgoE2EsNS0_10empty_typeEbEEZZNS1_14partition_implILS5_2ELb0ES3_jN6thrust23THRUST_200600_302600_NS6detail15normal_iteratorINSA_7pointerIsNSA_11hip_rocprim3tagENSA_11use_defaultESG_EEEEPS6_NSA_18transform_iteratorI10is_orderedNSA_12zip_iteratorINSA_5tupleINSC_INSA_10device_ptrIsEEEESQ_NSA_9null_typeESR_SR_SR_SR_SR_SR_SR_EEEESG_SG_EENS0_5tupleIJPsSJ_EEENSV_IJSJ_SJ_EEES6_PlJS6_EEE10hipError_tPvRmT3_T4_T5_T6_T7_T9_mT8_P12ihipStream_tbDpT10_ENKUlT_T0_E_clISt17integral_constantIbLb0EES1I_IbLb1EEEEDaS1E_S1F_EUlS1E_E_NS1_11comp_targetILNS1_3genE9ELNS1_11target_archE1100ELNS1_3gpuE3ELNS1_3repE0EEENS1_30default_config_static_selectorELNS0_4arch9wavefront6targetE1EEEvT1_ ; -- Begin function _ZN7rocprim17ROCPRIM_400000_NS6detail17trampoline_kernelINS0_14default_configENS1_25partition_config_selectorILNS1_17partition_subalgoE2EsNS0_10empty_typeEbEEZZNS1_14partition_implILS5_2ELb0ES3_jN6thrust23THRUST_200600_302600_NS6detail15normal_iteratorINSA_7pointerIsNSA_11hip_rocprim3tagENSA_11use_defaultESG_EEEEPS6_NSA_18transform_iteratorI10is_orderedNSA_12zip_iteratorINSA_5tupleINSC_INSA_10device_ptrIsEEEESQ_NSA_9null_typeESR_SR_SR_SR_SR_SR_SR_EEEESG_SG_EENS0_5tupleIJPsSJ_EEENSV_IJSJ_SJ_EEES6_PlJS6_EEE10hipError_tPvRmT3_T4_T5_T6_T7_T9_mT8_P12ihipStream_tbDpT10_ENKUlT_T0_E_clISt17integral_constantIbLb0EES1I_IbLb1EEEEDaS1E_S1F_EUlS1E_E_NS1_11comp_targetILNS1_3genE9ELNS1_11target_archE1100ELNS1_3gpuE3ELNS1_3repE0EEENS1_30default_config_static_selectorELNS0_4arch9wavefront6targetE1EEEvT1_
	.globl	_ZN7rocprim17ROCPRIM_400000_NS6detail17trampoline_kernelINS0_14default_configENS1_25partition_config_selectorILNS1_17partition_subalgoE2EsNS0_10empty_typeEbEEZZNS1_14partition_implILS5_2ELb0ES3_jN6thrust23THRUST_200600_302600_NS6detail15normal_iteratorINSA_7pointerIsNSA_11hip_rocprim3tagENSA_11use_defaultESG_EEEEPS6_NSA_18transform_iteratorI10is_orderedNSA_12zip_iteratorINSA_5tupleINSC_INSA_10device_ptrIsEEEESQ_NSA_9null_typeESR_SR_SR_SR_SR_SR_SR_EEEESG_SG_EENS0_5tupleIJPsSJ_EEENSV_IJSJ_SJ_EEES6_PlJS6_EEE10hipError_tPvRmT3_T4_T5_T6_T7_T9_mT8_P12ihipStream_tbDpT10_ENKUlT_T0_E_clISt17integral_constantIbLb0EES1I_IbLb1EEEEDaS1E_S1F_EUlS1E_E_NS1_11comp_targetILNS1_3genE9ELNS1_11target_archE1100ELNS1_3gpuE3ELNS1_3repE0EEENS1_30default_config_static_selectorELNS0_4arch9wavefront6targetE1EEEvT1_
	.p2align	8
	.type	_ZN7rocprim17ROCPRIM_400000_NS6detail17trampoline_kernelINS0_14default_configENS1_25partition_config_selectorILNS1_17partition_subalgoE2EsNS0_10empty_typeEbEEZZNS1_14partition_implILS5_2ELb0ES3_jN6thrust23THRUST_200600_302600_NS6detail15normal_iteratorINSA_7pointerIsNSA_11hip_rocprim3tagENSA_11use_defaultESG_EEEEPS6_NSA_18transform_iteratorI10is_orderedNSA_12zip_iteratorINSA_5tupleINSC_INSA_10device_ptrIsEEEESQ_NSA_9null_typeESR_SR_SR_SR_SR_SR_SR_EEEESG_SG_EENS0_5tupleIJPsSJ_EEENSV_IJSJ_SJ_EEES6_PlJS6_EEE10hipError_tPvRmT3_T4_T5_T6_T7_T9_mT8_P12ihipStream_tbDpT10_ENKUlT_T0_E_clISt17integral_constantIbLb0EES1I_IbLb1EEEEDaS1E_S1F_EUlS1E_E_NS1_11comp_targetILNS1_3genE9ELNS1_11target_archE1100ELNS1_3gpuE3ELNS1_3repE0EEENS1_30default_config_static_selectorELNS0_4arch9wavefront6targetE1EEEvT1_,@function
_ZN7rocprim17ROCPRIM_400000_NS6detail17trampoline_kernelINS0_14default_configENS1_25partition_config_selectorILNS1_17partition_subalgoE2EsNS0_10empty_typeEbEEZZNS1_14partition_implILS5_2ELb0ES3_jN6thrust23THRUST_200600_302600_NS6detail15normal_iteratorINSA_7pointerIsNSA_11hip_rocprim3tagENSA_11use_defaultESG_EEEEPS6_NSA_18transform_iteratorI10is_orderedNSA_12zip_iteratorINSA_5tupleINSC_INSA_10device_ptrIsEEEESQ_NSA_9null_typeESR_SR_SR_SR_SR_SR_SR_EEEESG_SG_EENS0_5tupleIJPsSJ_EEENSV_IJSJ_SJ_EEES6_PlJS6_EEE10hipError_tPvRmT3_T4_T5_T6_T7_T9_mT8_P12ihipStream_tbDpT10_ENKUlT_T0_E_clISt17integral_constantIbLb0EES1I_IbLb1EEEEDaS1E_S1F_EUlS1E_E_NS1_11comp_targetILNS1_3genE9ELNS1_11target_archE1100ELNS1_3gpuE3ELNS1_3repE0EEENS1_30default_config_static_selectorELNS0_4arch9wavefront6targetE1EEEvT1_: ; @_ZN7rocprim17ROCPRIM_400000_NS6detail17trampoline_kernelINS0_14default_configENS1_25partition_config_selectorILNS1_17partition_subalgoE2EsNS0_10empty_typeEbEEZZNS1_14partition_implILS5_2ELb0ES3_jN6thrust23THRUST_200600_302600_NS6detail15normal_iteratorINSA_7pointerIsNSA_11hip_rocprim3tagENSA_11use_defaultESG_EEEEPS6_NSA_18transform_iteratorI10is_orderedNSA_12zip_iteratorINSA_5tupleINSC_INSA_10device_ptrIsEEEESQ_NSA_9null_typeESR_SR_SR_SR_SR_SR_SR_EEEESG_SG_EENS0_5tupleIJPsSJ_EEENSV_IJSJ_SJ_EEES6_PlJS6_EEE10hipError_tPvRmT3_T4_T5_T6_T7_T9_mT8_P12ihipStream_tbDpT10_ENKUlT_T0_E_clISt17integral_constantIbLb0EES1I_IbLb1EEEEDaS1E_S1F_EUlS1E_E_NS1_11comp_targetILNS1_3genE9ELNS1_11target_archE1100ELNS1_3gpuE3ELNS1_3repE0EEENS1_30default_config_static_selectorELNS0_4arch9wavefront6targetE1EEEvT1_
; %bb.0:
	.section	.rodata,"a",@progbits
	.p2align	6, 0x0
	.amdhsa_kernel _ZN7rocprim17ROCPRIM_400000_NS6detail17trampoline_kernelINS0_14default_configENS1_25partition_config_selectorILNS1_17partition_subalgoE2EsNS0_10empty_typeEbEEZZNS1_14partition_implILS5_2ELb0ES3_jN6thrust23THRUST_200600_302600_NS6detail15normal_iteratorINSA_7pointerIsNSA_11hip_rocprim3tagENSA_11use_defaultESG_EEEEPS6_NSA_18transform_iteratorI10is_orderedNSA_12zip_iteratorINSA_5tupleINSC_INSA_10device_ptrIsEEEESQ_NSA_9null_typeESR_SR_SR_SR_SR_SR_SR_EEEESG_SG_EENS0_5tupleIJPsSJ_EEENSV_IJSJ_SJ_EEES6_PlJS6_EEE10hipError_tPvRmT3_T4_T5_T6_T7_T9_mT8_P12ihipStream_tbDpT10_ENKUlT_T0_E_clISt17integral_constantIbLb0EES1I_IbLb1EEEEDaS1E_S1F_EUlS1E_E_NS1_11comp_targetILNS1_3genE9ELNS1_11target_archE1100ELNS1_3gpuE3ELNS1_3repE0EEENS1_30default_config_static_selectorELNS0_4arch9wavefront6targetE1EEEvT1_
		.amdhsa_group_segment_fixed_size 0
		.amdhsa_private_segment_fixed_size 0
		.amdhsa_kernarg_size 152
		.amdhsa_user_sgpr_count 2
		.amdhsa_user_sgpr_dispatch_ptr 0
		.amdhsa_user_sgpr_queue_ptr 0
		.amdhsa_user_sgpr_kernarg_segment_ptr 1
		.amdhsa_user_sgpr_dispatch_id 0
		.amdhsa_user_sgpr_kernarg_preload_length 0
		.amdhsa_user_sgpr_kernarg_preload_offset 0
		.amdhsa_user_sgpr_private_segment_size 0
		.amdhsa_uses_dynamic_stack 0
		.amdhsa_enable_private_segment 0
		.amdhsa_system_sgpr_workgroup_id_x 1
		.amdhsa_system_sgpr_workgroup_id_y 0
		.amdhsa_system_sgpr_workgroup_id_z 0
		.amdhsa_system_sgpr_workgroup_info 0
		.amdhsa_system_vgpr_workitem_id 0
		.amdhsa_next_free_vgpr 1
		.amdhsa_next_free_sgpr 0
		.amdhsa_accum_offset 4
		.amdhsa_reserve_vcc 0
		.amdhsa_float_round_mode_32 0
		.amdhsa_float_round_mode_16_64 0
		.amdhsa_float_denorm_mode_32 3
		.amdhsa_float_denorm_mode_16_64 3
		.amdhsa_dx10_clamp 1
		.amdhsa_ieee_mode 1
		.amdhsa_fp16_overflow 0
		.amdhsa_tg_split 0
		.amdhsa_exception_fp_ieee_invalid_op 0
		.amdhsa_exception_fp_denorm_src 0
		.amdhsa_exception_fp_ieee_div_zero 0
		.amdhsa_exception_fp_ieee_overflow 0
		.amdhsa_exception_fp_ieee_underflow 0
		.amdhsa_exception_fp_ieee_inexact 0
		.amdhsa_exception_int_div_zero 0
	.end_amdhsa_kernel
	.section	.text._ZN7rocprim17ROCPRIM_400000_NS6detail17trampoline_kernelINS0_14default_configENS1_25partition_config_selectorILNS1_17partition_subalgoE2EsNS0_10empty_typeEbEEZZNS1_14partition_implILS5_2ELb0ES3_jN6thrust23THRUST_200600_302600_NS6detail15normal_iteratorINSA_7pointerIsNSA_11hip_rocprim3tagENSA_11use_defaultESG_EEEEPS6_NSA_18transform_iteratorI10is_orderedNSA_12zip_iteratorINSA_5tupleINSC_INSA_10device_ptrIsEEEESQ_NSA_9null_typeESR_SR_SR_SR_SR_SR_SR_EEEESG_SG_EENS0_5tupleIJPsSJ_EEENSV_IJSJ_SJ_EEES6_PlJS6_EEE10hipError_tPvRmT3_T4_T5_T6_T7_T9_mT8_P12ihipStream_tbDpT10_ENKUlT_T0_E_clISt17integral_constantIbLb0EES1I_IbLb1EEEEDaS1E_S1F_EUlS1E_E_NS1_11comp_targetILNS1_3genE9ELNS1_11target_archE1100ELNS1_3gpuE3ELNS1_3repE0EEENS1_30default_config_static_selectorELNS0_4arch9wavefront6targetE1EEEvT1_,"axG",@progbits,_ZN7rocprim17ROCPRIM_400000_NS6detail17trampoline_kernelINS0_14default_configENS1_25partition_config_selectorILNS1_17partition_subalgoE2EsNS0_10empty_typeEbEEZZNS1_14partition_implILS5_2ELb0ES3_jN6thrust23THRUST_200600_302600_NS6detail15normal_iteratorINSA_7pointerIsNSA_11hip_rocprim3tagENSA_11use_defaultESG_EEEEPS6_NSA_18transform_iteratorI10is_orderedNSA_12zip_iteratorINSA_5tupleINSC_INSA_10device_ptrIsEEEESQ_NSA_9null_typeESR_SR_SR_SR_SR_SR_SR_EEEESG_SG_EENS0_5tupleIJPsSJ_EEENSV_IJSJ_SJ_EEES6_PlJS6_EEE10hipError_tPvRmT3_T4_T5_T6_T7_T9_mT8_P12ihipStream_tbDpT10_ENKUlT_T0_E_clISt17integral_constantIbLb0EES1I_IbLb1EEEEDaS1E_S1F_EUlS1E_E_NS1_11comp_targetILNS1_3genE9ELNS1_11target_archE1100ELNS1_3gpuE3ELNS1_3repE0EEENS1_30default_config_static_selectorELNS0_4arch9wavefront6targetE1EEEvT1_,comdat
.Lfunc_end3656:
	.size	_ZN7rocprim17ROCPRIM_400000_NS6detail17trampoline_kernelINS0_14default_configENS1_25partition_config_selectorILNS1_17partition_subalgoE2EsNS0_10empty_typeEbEEZZNS1_14partition_implILS5_2ELb0ES3_jN6thrust23THRUST_200600_302600_NS6detail15normal_iteratorINSA_7pointerIsNSA_11hip_rocprim3tagENSA_11use_defaultESG_EEEEPS6_NSA_18transform_iteratorI10is_orderedNSA_12zip_iteratorINSA_5tupleINSC_INSA_10device_ptrIsEEEESQ_NSA_9null_typeESR_SR_SR_SR_SR_SR_SR_EEEESG_SG_EENS0_5tupleIJPsSJ_EEENSV_IJSJ_SJ_EEES6_PlJS6_EEE10hipError_tPvRmT3_T4_T5_T6_T7_T9_mT8_P12ihipStream_tbDpT10_ENKUlT_T0_E_clISt17integral_constantIbLb0EES1I_IbLb1EEEEDaS1E_S1F_EUlS1E_E_NS1_11comp_targetILNS1_3genE9ELNS1_11target_archE1100ELNS1_3gpuE3ELNS1_3repE0EEENS1_30default_config_static_selectorELNS0_4arch9wavefront6targetE1EEEvT1_, .Lfunc_end3656-_ZN7rocprim17ROCPRIM_400000_NS6detail17trampoline_kernelINS0_14default_configENS1_25partition_config_selectorILNS1_17partition_subalgoE2EsNS0_10empty_typeEbEEZZNS1_14partition_implILS5_2ELb0ES3_jN6thrust23THRUST_200600_302600_NS6detail15normal_iteratorINSA_7pointerIsNSA_11hip_rocprim3tagENSA_11use_defaultESG_EEEEPS6_NSA_18transform_iteratorI10is_orderedNSA_12zip_iteratorINSA_5tupleINSC_INSA_10device_ptrIsEEEESQ_NSA_9null_typeESR_SR_SR_SR_SR_SR_SR_EEEESG_SG_EENS0_5tupleIJPsSJ_EEENSV_IJSJ_SJ_EEES6_PlJS6_EEE10hipError_tPvRmT3_T4_T5_T6_T7_T9_mT8_P12ihipStream_tbDpT10_ENKUlT_T0_E_clISt17integral_constantIbLb0EES1I_IbLb1EEEEDaS1E_S1F_EUlS1E_E_NS1_11comp_targetILNS1_3genE9ELNS1_11target_archE1100ELNS1_3gpuE3ELNS1_3repE0EEENS1_30default_config_static_selectorELNS0_4arch9wavefront6targetE1EEEvT1_
                                        ; -- End function
	.section	.AMDGPU.csdata,"",@progbits
; Kernel info:
; codeLenInByte = 0
; NumSgprs: 6
; NumVgprs: 0
; NumAgprs: 0
; TotalNumVgprs: 0
; ScratchSize: 0
; MemoryBound: 0
; FloatMode: 240
; IeeeMode: 1
; LDSByteSize: 0 bytes/workgroup (compile time only)
; SGPRBlocks: 0
; VGPRBlocks: 0
; NumSGPRsForWavesPerEU: 6
; NumVGPRsForWavesPerEU: 1
; AccumOffset: 4
; Occupancy: 8
; WaveLimiterHint : 0
; COMPUTE_PGM_RSRC2:SCRATCH_EN: 0
; COMPUTE_PGM_RSRC2:USER_SGPR: 2
; COMPUTE_PGM_RSRC2:TRAP_HANDLER: 0
; COMPUTE_PGM_RSRC2:TGID_X_EN: 1
; COMPUTE_PGM_RSRC2:TGID_Y_EN: 0
; COMPUTE_PGM_RSRC2:TGID_Z_EN: 0
; COMPUTE_PGM_RSRC2:TIDIG_COMP_CNT: 0
; COMPUTE_PGM_RSRC3_GFX90A:ACCUM_OFFSET: 0
; COMPUTE_PGM_RSRC3_GFX90A:TG_SPLIT: 0
	.section	.text._ZN7rocprim17ROCPRIM_400000_NS6detail17trampoline_kernelINS0_14default_configENS1_25partition_config_selectorILNS1_17partition_subalgoE2EsNS0_10empty_typeEbEEZZNS1_14partition_implILS5_2ELb0ES3_jN6thrust23THRUST_200600_302600_NS6detail15normal_iteratorINSA_7pointerIsNSA_11hip_rocprim3tagENSA_11use_defaultESG_EEEEPS6_NSA_18transform_iteratorI10is_orderedNSA_12zip_iteratorINSA_5tupleINSC_INSA_10device_ptrIsEEEESQ_NSA_9null_typeESR_SR_SR_SR_SR_SR_SR_EEEESG_SG_EENS0_5tupleIJPsSJ_EEENSV_IJSJ_SJ_EEES6_PlJS6_EEE10hipError_tPvRmT3_T4_T5_T6_T7_T9_mT8_P12ihipStream_tbDpT10_ENKUlT_T0_E_clISt17integral_constantIbLb0EES1I_IbLb1EEEEDaS1E_S1F_EUlS1E_E_NS1_11comp_targetILNS1_3genE8ELNS1_11target_archE1030ELNS1_3gpuE2ELNS1_3repE0EEENS1_30default_config_static_selectorELNS0_4arch9wavefront6targetE1EEEvT1_,"axG",@progbits,_ZN7rocprim17ROCPRIM_400000_NS6detail17trampoline_kernelINS0_14default_configENS1_25partition_config_selectorILNS1_17partition_subalgoE2EsNS0_10empty_typeEbEEZZNS1_14partition_implILS5_2ELb0ES3_jN6thrust23THRUST_200600_302600_NS6detail15normal_iteratorINSA_7pointerIsNSA_11hip_rocprim3tagENSA_11use_defaultESG_EEEEPS6_NSA_18transform_iteratorI10is_orderedNSA_12zip_iteratorINSA_5tupleINSC_INSA_10device_ptrIsEEEESQ_NSA_9null_typeESR_SR_SR_SR_SR_SR_SR_EEEESG_SG_EENS0_5tupleIJPsSJ_EEENSV_IJSJ_SJ_EEES6_PlJS6_EEE10hipError_tPvRmT3_T4_T5_T6_T7_T9_mT8_P12ihipStream_tbDpT10_ENKUlT_T0_E_clISt17integral_constantIbLb0EES1I_IbLb1EEEEDaS1E_S1F_EUlS1E_E_NS1_11comp_targetILNS1_3genE8ELNS1_11target_archE1030ELNS1_3gpuE2ELNS1_3repE0EEENS1_30default_config_static_selectorELNS0_4arch9wavefront6targetE1EEEvT1_,comdat
	.protected	_ZN7rocprim17ROCPRIM_400000_NS6detail17trampoline_kernelINS0_14default_configENS1_25partition_config_selectorILNS1_17partition_subalgoE2EsNS0_10empty_typeEbEEZZNS1_14partition_implILS5_2ELb0ES3_jN6thrust23THRUST_200600_302600_NS6detail15normal_iteratorINSA_7pointerIsNSA_11hip_rocprim3tagENSA_11use_defaultESG_EEEEPS6_NSA_18transform_iteratorI10is_orderedNSA_12zip_iteratorINSA_5tupleINSC_INSA_10device_ptrIsEEEESQ_NSA_9null_typeESR_SR_SR_SR_SR_SR_SR_EEEESG_SG_EENS0_5tupleIJPsSJ_EEENSV_IJSJ_SJ_EEES6_PlJS6_EEE10hipError_tPvRmT3_T4_T5_T6_T7_T9_mT8_P12ihipStream_tbDpT10_ENKUlT_T0_E_clISt17integral_constantIbLb0EES1I_IbLb1EEEEDaS1E_S1F_EUlS1E_E_NS1_11comp_targetILNS1_3genE8ELNS1_11target_archE1030ELNS1_3gpuE2ELNS1_3repE0EEENS1_30default_config_static_selectorELNS0_4arch9wavefront6targetE1EEEvT1_ ; -- Begin function _ZN7rocprim17ROCPRIM_400000_NS6detail17trampoline_kernelINS0_14default_configENS1_25partition_config_selectorILNS1_17partition_subalgoE2EsNS0_10empty_typeEbEEZZNS1_14partition_implILS5_2ELb0ES3_jN6thrust23THRUST_200600_302600_NS6detail15normal_iteratorINSA_7pointerIsNSA_11hip_rocprim3tagENSA_11use_defaultESG_EEEEPS6_NSA_18transform_iteratorI10is_orderedNSA_12zip_iteratorINSA_5tupleINSC_INSA_10device_ptrIsEEEESQ_NSA_9null_typeESR_SR_SR_SR_SR_SR_SR_EEEESG_SG_EENS0_5tupleIJPsSJ_EEENSV_IJSJ_SJ_EEES6_PlJS6_EEE10hipError_tPvRmT3_T4_T5_T6_T7_T9_mT8_P12ihipStream_tbDpT10_ENKUlT_T0_E_clISt17integral_constantIbLb0EES1I_IbLb1EEEEDaS1E_S1F_EUlS1E_E_NS1_11comp_targetILNS1_3genE8ELNS1_11target_archE1030ELNS1_3gpuE2ELNS1_3repE0EEENS1_30default_config_static_selectorELNS0_4arch9wavefront6targetE1EEEvT1_
	.globl	_ZN7rocprim17ROCPRIM_400000_NS6detail17trampoline_kernelINS0_14default_configENS1_25partition_config_selectorILNS1_17partition_subalgoE2EsNS0_10empty_typeEbEEZZNS1_14partition_implILS5_2ELb0ES3_jN6thrust23THRUST_200600_302600_NS6detail15normal_iteratorINSA_7pointerIsNSA_11hip_rocprim3tagENSA_11use_defaultESG_EEEEPS6_NSA_18transform_iteratorI10is_orderedNSA_12zip_iteratorINSA_5tupleINSC_INSA_10device_ptrIsEEEESQ_NSA_9null_typeESR_SR_SR_SR_SR_SR_SR_EEEESG_SG_EENS0_5tupleIJPsSJ_EEENSV_IJSJ_SJ_EEES6_PlJS6_EEE10hipError_tPvRmT3_T4_T5_T6_T7_T9_mT8_P12ihipStream_tbDpT10_ENKUlT_T0_E_clISt17integral_constantIbLb0EES1I_IbLb1EEEEDaS1E_S1F_EUlS1E_E_NS1_11comp_targetILNS1_3genE8ELNS1_11target_archE1030ELNS1_3gpuE2ELNS1_3repE0EEENS1_30default_config_static_selectorELNS0_4arch9wavefront6targetE1EEEvT1_
	.p2align	8
	.type	_ZN7rocprim17ROCPRIM_400000_NS6detail17trampoline_kernelINS0_14default_configENS1_25partition_config_selectorILNS1_17partition_subalgoE2EsNS0_10empty_typeEbEEZZNS1_14partition_implILS5_2ELb0ES3_jN6thrust23THRUST_200600_302600_NS6detail15normal_iteratorINSA_7pointerIsNSA_11hip_rocprim3tagENSA_11use_defaultESG_EEEEPS6_NSA_18transform_iteratorI10is_orderedNSA_12zip_iteratorINSA_5tupleINSC_INSA_10device_ptrIsEEEESQ_NSA_9null_typeESR_SR_SR_SR_SR_SR_SR_EEEESG_SG_EENS0_5tupleIJPsSJ_EEENSV_IJSJ_SJ_EEES6_PlJS6_EEE10hipError_tPvRmT3_T4_T5_T6_T7_T9_mT8_P12ihipStream_tbDpT10_ENKUlT_T0_E_clISt17integral_constantIbLb0EES1I_IbLb1EEEEDaS1E_S1F_EUlS1E_E_NS1_11comp_targetILNS1_3genE8ELNS1_11target_archE1030ELNS1_3gpuE2ELNS1_3repE0EEENS1_30default_config_static_selectorELNS0_4arch9wavefront6targetE1EEEvT1_,@function
_ZN7rocprim17ROCPRIM_400000_NS6detail17trampoline_kernelINS0_14default_configENS1_25partition_config_selectorILNS1_17partition_subalgoE2EsNS0_10empty_typeEbEEZZNS1_14partition_implILS5_2ELb0ES3_jN6thrust23THRUST_200600_302600_NS6detail15normal_iteratorINSA_7pointerIsNSA_11hip_rocprim3tagENSA_11use_defaultESG_EEEEPS6_NSA_18transform_iteratorI10is_orderedNSA_12zip_iteratorINSA_5tupleINSC_INSA_10device_ptrIsEEEESQ_NSA_9null_typeESR_SR_SR_SR_SR_SR_SR_EEEESG_SG_EENS0_5tupleIJPsSJ_EEENSV_IJSJ_SJ_EEES6_PlJS6_EEE10hipError_tPvRmT3_T4_T5_T6_T7_T9_mT8_P12ihipStream_tbDpT10_ENKUlT_T0_E_clISt17integral_constantIbLb0EES1I_IbLb1EEEEDaS1E_S1F_EUlS1E_E_NS1_11comp_targetILNS1_3genE8ELNS1_11target_archE1030ELNS1_3gpuE2ELNS1_3repE0EEENS1_30default_config_static_selectorELNS0_4arch9wavefront6targetE1EEEvT1_: ; @_ZN7rocprim17ROCPRIM_400000_NS6detail17trampoline_kernelINS0_14default_configENS1_25partition_config_selectorILNS1_17partition_subalgoE2EsNS0_10empty_typeEbEEZZNS1_14partition_implILS5_2ELb0ES3_jN6thrust23THRUST_200600_302600_NS6detail15normal_iteratorINSA_7pointerIsNSA_11hip_rocprim3tagENSA_11use_defaultESG_EEEEPS6_NSA_18transform_iteratorI10is_orderedNSA_12zip_iteratorINSA_5tupleINSC_INSA_10device_ptrIsEEEESQ_NSA_9null_typeESR_SR_SR_SR_SR_SR_SR_EEEESG_SG_EENS0_5tupleIJPsSJ_EEENSV_IJSJ_SJ_EEES6_PlJS6_EEE10hipError_tPvRmT3_T4_T5_T6_T7_T9_mT8_P12ihipStream_tbDpT10_ENKUlT_T0_E_clISt17integral_constantIbLb0EES1I_IbLb1EEEEDaS1E_S1F_EUlS1E_E_NS1_11comp_targetILNS1_3genE8ELNS1_11target_archE1030ELNS1_3gpuE2ELNS1_3repE0EEENS1_30default_config_static_selectorELNS0_4arch9wavefront6targetE1EEEvT1_
; %bb.0:
	.section	.rodata,"a",@progbits
	.p2align	6, 0x0
	.amdhsa_kernel _ZN7rocprim17ROCPRIM_400000_NS6detail17trampoline_kernelINS0_14default_configENS1_25partition_config_selectorILNS1_17partition_subalgoE2EsNS0_10empty_typeEbEEZZNS1_14partition_implILS5_2ELb0ES3_jN6thrust23THRUST_200600_302600_NS6detail15normal_iteratorINSA_7pointerIsNSA_11hip_rocprim3tagENSA_11use_defaultESG_EEEEPS6_NSA_18transform_iteratorI10is_orderedNSA_12zip_iteratorINSA_5tupleINSC_INSA_10device_ptrIsEEEESQ_NSA_9null_typeESR_SR_SR_SR_SR_SR_SR_EEEESG_SG_EENS0_5tupleIJPsSJ_EEENSV_IJSJ_SJ_EEES6_PlJS6_EEE10hipError_tPvRmT3_T4_T5_T6_T7_T9_mT8_P12ihipStream_tbDpT10_ENKUlT_T0_E_clISt17integral_constantIbLb0EES1I_IbLb1EEEEDaS1E_S1F_EUlS1E_E_NS1_11comp_targetILNS1_3genE8ELNS1_11target_archE1030ELNS1_3gpuE2ELNS1_3repE0EEENS1_30default_config_static_selectorELNS0_4arch9wavefront6targetE1EEEvT1_
		.amdhsa_group_segment_fixed_size 0
		.amdhsa_private_segment_fixed_size 0
		.amdhsa_kernarg_size 152
		.amdhsa_user_sgpr_count 2
		.amdhsa_user_sgpr_dispatch_ptr 0
		.amdhsa_user_sgpr_queue_ptr 0
		.amdhsa_user_sgpr_kernarg_segment_ptr 1
		.amdhsa_user_sgpr_dispatch_id 0
		.amdhsa_user_sgpr_kernarg_preload_length 0
		.amdhsa_user_sgpr_kernarg_preload_offset 0
		.amdhsa_user_sgpr_private_segment_size 0
		.amdhsa_uses_dynamic_stack 0
		.amdhsa_enable_private_segment 0
		.amdhsa_system_sgpr_workgroup_id_x 1
		.amdhsa_system_sgpr_workgroup_id_y 0
		.amdhsa_system_sgpr_workgroup_id_z 0
		.amdhsa_system_sgpr_workgroup_info 0
		.amdhsa_system_vgpr_workitem_id 0
		.amdhsa_next_free_vgpr 1
		.amdhsa_next_free_sgpr 0
		.amdhsa_accum_offset 4
		.amdhsa_reserve_vcc 0
		.amdhsa_float_round_mode_32 0
		.amdhsa_float_round_mode_16_64 0
		.amdhsa_float_denorm_mode_32 3
		.amdhsa_float_denorm_mode_16_64 3
		.amdhsa_dx10_clamp 1
		.amdhsa_ieee_mode 1
		.amdhsa_fp16_overflow 0
		.amdhsa_tg_split 0
		.amdhsa_exception_fp_ieee_invalid_op 0
		.amdhsa_exception_fp_denorm_src 0
		.amdhsa_exception_fp_ieee_div_zero 0
		.amdhsa_exception_fp_ieee_overflow 0
		.amdhsa_exception_fp_ieee_underflow 0
		.amdhsa_exception_fp_ieee_inexact 0
		.amdhsa_exception_int_div_zero 0
	.end_amdhsa_kernel
	.section	.text._ZN7rocprim17ROCPRIM_400000_NS6detail17trampoline_kernelINS0_14default_configENS1_25partition_config_selectorILNS1_17partition_subalgoE2EsNS0_10empty_typeEbEEZZNS1_14partition_implILS5_2ELb0ES3_jN6thrust23THRUST_200600_302600_NS6detail15normal_iteratorINSA_7pointerIsNSA_11hip_rocprim3tagENSA_11use_defaultESG_EEEEPS6_NSA_18transform_iteratorI10is_orderedNSA_12zip_iteratorINSA_5tupleINSC_INSA_10device_ptrIsEEEESQ_NSA_9null_typeESR_SR_SR_SR_SR_SR_SR_EEEESG_SG_EENS0_5tupleIJPsSJ_EEENSV_IJSJ_SJ_EEES6_PlJS6_EEE10hipError_tPvRmT3_T4_T5_T6_T7_T9_mT8_P12ihipStream_tbDpT10_ENKUlT_T0_E_clISt17integral_constantIbLb0EES1I_IbLb1EEEEDaS1E_S1F_EUlS1E_E_NS1_11comp_targetILNS1_3genE8ELNS1_11target_archE1030ELNS1_3gpuE2ELNS1_3repE0EEENS1_30default_config_static_selectorELNS0_4arch9wavefront6targetE1EEEvT1_,"axG",@progbits,_ZN7rocprim17ROCPRIM_400000_NS6detail17trampoline_kernelINS0_14default_configENS1_25partition_config_selectorILNS1_17partition_subalgoE2EsNS0_10empty_typeEbEEZZNS1_14partition_implILS5_2ELb0ES3_jN6thrust23THRUST_200600_302600_NS6detail15normal_iteratorINSA_7pointerIsNSA_11hip_rocprim3tagENSA_11use_defaultESG_EEEEPS6_NSA_18transform_iteratorI10is_orderedNSA_12zip_iteratorINSA_5tupleINSC_INSA_10device_ptrIsEEEESQ_NSA_9null_typeESR_SR_SR_SR_SR_SR_SR_EEEESG_SG_EENS0_5tupleIJPsSJ_EEENSV_IJSJ_SJ_EEES6_PlJS6_EEE10hipError_tPvRmT3_T4_T5_T6_T7_T9_mT8_P12ihipStream_tbDpT10_ENKUlT_T0_E_clISt17integral_constantIbLb0EES1I_IbLb1EEEEDaS1E_S1F_EUlS1E_E_NS1_11comp_targetILNS1_3genE8ELNS1_11target_archE1030ELNS1_3gpuE2ELNS1_3repE0EEENS1_30default_config_static_selectorELNS0_4arch9wavefront6targetE1EEEvT1_,comdat
.Lfunc_end3657:
	.size	_ZN7rocprim17ROCPRIM_400000_NS6detail17trampoline_kernelINS0_14default_configENS1_25partition_config_selectorILNS1_17partition_subalgoE2EsNS0_10empty_typeEbEEZZNS1_14partition_implILS5_2ELb0ES3_jN6thrust23THRUST_200600_302600_NS6detail15normal_iteratorINSA_7pointerIsNSA_11hip_rocprim3tagENSA_11use_defaultESG_EEEEPS6_NSA_18transform_iteratorI10is_orderedNSA_12zip_iteratorINSA_5tupleINSC_INSA_10device_ptrIsEEEESQ_NSA_9null_typeESR_SR_SR_SR_SR_SR_SR_EEEESG_SG_EENS0_5tupleIJPsSJ_EEENSV_IJSJ_SJ_EEES6_PlJS6_EEE10hipError_tPvRmT3_T4_T5_T6_T7_T9_mT8_P12ihipStream_tbDpT10_ENKUlT_T0_E_clISt17integral_constantIbLb0EES1I_IbLb1EEEEDaS1E_S1F_EUlS1E_E_NS1_11comp_targetILNS1_3genE8ELNS1_11target_archE1030ELNS1_3gpuE2ELNS1_3repE0EEENS1_30default_config_static_selectorELNS0_4arch9wavefront6targetE1EEEvT1_, .Lfunc_end3657-_ZN7rocprim17ROCPRIM_400000_NS6detail17trampoline_kernelINS0_14default_configENS1_25partition_config_selectorILNS1_17partition_subalgoE2EsNS0_10empty_typeEbEEZZNS1_14partition_implILS5_2ELb0ES3_jN6thrust23THRUST_200600_302600_NS6detail15normal_iteratorINSA_7pointerIsNSA_11hip_rocprim3tagENSA_11use_defaultESG_EEEEPS6_NSA_18transform_iteratorI10is_orderedNSA_12zip_iteratorINSA_5tupleINSC_INSA_10device_ptrIsEEEESQ_NSA_9null_typeESR_SR_SR_SR_SR_SR_SR_EEEESG_SG_EENS0_5tupleIJPsSJ_EEENSV_IJSJ_SJ_EEES6_PlJS6_EEE10hipError_tPvRmT3_T4_T5_T6_T7_T9_mT8_P12ihipStream_tbDpT10_ENKUlT_T0_E_clISt17integral_constantIbLb0EES1I_IbLb1EEEEDaS1E_S1F_EUlS1E_E_NS1_11comp_targetILNS1_3genE8ELNS1_11target_archE1030ELNS1_3gpuE2ELNS1_3repE0EEENS1_30default_config_static_selectorELNS0_4arch9wavefront6targetE1EEEvT1_
                                        ; -- End function
	.section	.AMDGPU.csdata,"",@progbits
; Kernel info:
; codeLenInByte = 0
; NumSgprs: 6
; NumVgprs: 0
; NumAgprs: 0
; TotalNumVgprs: 0
; ScratchSize: 0
; MemoryBound: 0
; FloatMode: 240
; IeeeMode: 1
; LDSByteSize: 0 bytes/workgroup (compile time only)
; SGPRBlocks: 0
; VGPRBlocks: 0
; NumSGPRsForWavesPerEU: 6
; NumVGPRsForWavesPerEU: 1
; AccumOffset: 4
; Occupancy: 8
; WaveLimiterHint : 0
; COMPUTE_PGM_RSRC2:SCRATCH_EN: 0
; COMPUTE_PGM_RSRC2:USER_SGPR: 2
; COMPUTE_PGM_RSRC2:TRAP_HANDLER: 0
; COMPUTE_PGM_RSRC2:TGID_X_EN: 1
; COMPUTE_PGM_RSRC2:TGID_Y_EN: 0
; COMPUTE_PGM_RSRC2:TGID_Z_EN: 0
; COMPUTE_PGM_RSRC2:TIDIG_COMP_CNT: 0
; COMPUTE_PGM_RSRC3_GFX90A:ACCUM_OFFSET: 0
; COMPUTE_PGM_RSRC3_GFX90A:TG_SPLIT: 0
	.section	.text._ZN6thrust23THRUST_200600_302600_NS11hip_rocprim14__parallel_for6kernelILj256ENS1_13__swap_ranges6swap_fINS0_12zip_iteratorINS0_5tupleINS0_6detail15normal_iteratorINS0_10device_ptrIxEEEESC_NS0_9null_typeESD_SD_SD_SD_SD_SD_SD_EEEENS0_16reverse_iteratorISF_EEEElLj1EEEvT0_T1_SK_,"axG",@progbits,_ZN6thrust23THRUST_200600_302600_NS11hip_rocprim14__parallel_for6kernelILj256ENS1_13__swap_ranges6swap_fINS0_12zip_iteratorINS0_5tupleINS0_6detail15normal_iteratorINS0_10device_ptrIxEEEESC_NS0_9null_typeESD_SD_SD_SD_SD_SD_SD_EEEENS0_16reverse_iteratorISF_EEEElLj1EEEvT0_T1_SK_,comdat
	.protected	_ZN6thrust23THRUST_200600_302600_NS11hip_rocprim14__parallel_for6kernelILj256ENS1_13__swap_ranges6swap_fINS0_12zip_iteratorINS0_5tupleINS0_6detail15normal_iteratorINS0_10device_ptrIxEEEESC_NS0_9null_typeESD_SD_SD_SD_SD_SD_SD_EEEENS0_16reverse_iteratorISF_EEEElLj1EEEvT0_T1_SK_ ; -- Begin function _ZN6thrust23THRUST_200600_302600_NS11hip_rocprim14__parallel_for6kernelILj256ENS1_13__swap_ranges6swap_fINS0_12zip_iteratorINS0_5tupleINS0_6detail15normal_iteratorINS0_10device_ptrIxEEEESC_NS0_9null_typeESD_SD_SD_SD_SD_SD_SD_EEEENS0_16reverse_iteratorISF_EEEElLj1EEEvT0_T1_SK_
	.globl	_ZN6thrust23THRUST_200600_302600_NS11hip_rocprim14__parallel_for6kernelILj256ENS1_13__swap_ranges6swap_fINS0_12zip_iteratorINS0_5tupleINS0_6detail15normal_iteratorINS0_10device_ptrIxEEEESC_NS0_9null_typeESD_SD_SD_SD_SD_SD_SD_EEEENS0_16reverse_iteratorISF_EEEElLj1EEEvT0_T1_SK_
	.p2align	8
	.type	_ZN6thrust23THRUST_200600_302600_NS11hip_rocprim14__parallel_for6kernelILj256ENS1_13__swap_ranges6swap_fINS0_12zip_iteratorINS0_5tupleINS0_6detail15normal_iteratorINS0_10device_ptrIxEEEESC_NS0_9null_typeESD_SD_SD_SD_SD_SD_SD_EEEENS0_16reverse_iteratorISF_EEEElLj1EEEvT0_T1_SK_,@function
_ZN6thrust23THRUST_200600_302600_NS11hip_rocprim14__parallel_for6kernelILj256ENS1_13__swap_ranges6swap_fINS0_12zip_iteratorINS0_5tupleINS0_6detail15normal_iteratorINS0_10device_ptrIxEEEESC_NS0_9null_typeESD_SD_SD_SD_SD_SD_SD_EEEENS0_16reverse_iteratorISF_EEEElLj1EEEvT0_T1_SK_: ; @_ZN6thrust23THRUST_200600_302600_NS11hip_rocprim14__parallel_for6kernelILj256ENS1_13__swap_ranges6swap_fINS0_12zip_iteratorINS0_5tupleINS0_6detail15normal_iteratorINS0_10device_ptrIxEEEESC_NS0_9null_typeESD_SD_SD_SD_SD_SD_SD_EEEENS0_16reverse_iteratorISF_EEEElLj1EEEvT0_T1_SK_
; %bb.0:
	s_load_dwordx4 s[4:7], s[0:1], 0x20
	s_lshl_b32 s2, s2, 8
	v_mov_b64_e32 v[2:3], 0x100
	s_waitcnt lgkmcnt(0)
	s_add_u32 s2, s2, s6
	s_addc_u32 s3, 0, s7
	s_sub_u32 s4, s4, s2
	s_subb_u32 s5, s5, s3
	v_cmp_lt_i64_e32 vcc, s[4:5], v[2:3]
	s_and_b64 s[6:7], vcc, exec
	s_cselect_b32 s6, s4, 0x100
	s_cmpk_eq_i32 s6, 0x100
	s_cselect_b64 s[4:5], -1, 0
	v_cmp_gt_u32_e32 vcc, s6, v0
	s_or_b64 s[4:5], s[4:5], vcc
	s_and_saveexec_b64 s[6:7], s[4:5]
	s_cbranch_execz .LBB3658_2
; %bb.1:
	s_load_dwordx8 s[4:11], s[0:1], 0x0
	v_mov_b32_e32 v1, 0
	v_lshl_add_u64 v[0:1], s[2:3], 0, v[0:1]
	v_lshlrev_b64 v[0:1], 3, v[0:1]
	s_waitcnt lgkmcnt(0)
	v_mov_b32_e32 v7, s9
	v_sub_co_u32_e32 v6, vcc, s8, v0
	v_lshl_add_u64 v[2:3], s[4:5], 0, v[0:1]
	s_nop 0
	v_subb_co_u32_e32 v7, vcc, v7, v1, vcc
	v_lshl_add_u64 v[4:5], s[6:7], 0, v[0:1]
	v_mov_b32_e32 v8, s11
	v_sub_co_u32_e32 v0, vcc, s10, v0
	s_nop 1
	v_subb_co_u32_e32 v1, vcc, v8, v1, vcc
	global_load_dwordx2 v[8:9], v[6:7], off offset:-8
	global_load_dwordx2 v[10:11], v[0:1], off offset:-8
	global_load_dwordx2 v[12:13], v[2:3], off
	global_load_dwordx2 v[14:15], v[4:5], off
	s_waitcnt vmcnt(3)
	global_store_dwordx2 v[2:3], v[8:9], off
	s_waitcnt vmcnt(3)
	global_store_dwordx2 v[4:5], v[10:11], off
	s_waitcnt vmcnt(3)
	global_store_dwordx2 v[6:7], v[12:13], off offset:-8
	s_waitcnt vmcnt(3)
	global_store_dwordx2 v[0:1], v[14:15], off offset:-8
.LBB3658_2:
	s_endpgm
	.section	.rodata,"a",@progbits
	.p2align	6, 0x0
	.amdhsa_kernel _ZN6thrust23THRUST_200600_302600_NS11hip_rocprim14__parallel_for6kernelILj256ENS1_13__swap_ranges6swap_fINS0_12zip_iteratorINS0_5tupleINS0_6detail15normal_iteratorINS0_10device_ptrIxEEEESC_NS0_9null_typeESD_SD_SD_SD_SD_SD_SD_EEEENS0_16reverse_iteratorISF_EEEElLj1EEEvT0_T1_SK_
		.amdhsa_group_segment_fixed_size 0
		.amdhsa_private_segment_fixed_size 0
		.amdhsa_kernarg_size 48
		.amdhsa_user_sgpr_count 2
		.amdhsa_user_sgpr_dispatch_ptr 0
		.amdhsa_user_sgpr_queue_ptr 0
		.amdhsa_user_sgpr_kernarg_segment_ptr 1
		.amdhsa_user_sgpr_dispatch_id 0
		.amdhsa_user_sgpr_kernarg_preload_length 0
		.amdhsa_user_sgpr_kernarg_preload_offset 0
		.amdhsa_user_sgpr_private_segment_size 0
		.amdhsa_uses_dynamic_stack 0
		.amdhsa_enable_private_segment 0
		.amdhsa_system_sgpr_workgroup_id_x 1
		.amdhsa_system_sgpr_workgroup_id_y 0
		.amdhsa_system_sgpr_workgroup_id_z 0
		.amdhsa_system_sgpr_workgroup_info 0
		.amdhsa_system_vgpr_workitem_id 0
		.amdhsa_next_free_vgpr 16
		.amdhsa_next_free_sgpr 12
		.amdhsa_accum_offset 16
		.amdhsa_reserve_vcc 1
		.amdhsa_float_round_mode_32 0
		.amdhsa_float_round_mode_16_64 0
		.amdhsa_float_denorm_mode_32 3
		.amdhsa_float_denorm_mode_16_64 3
		.amdhsa_dx10_clamp 1
		.amdhsa_ieee_mode 1
		.amdhsa_fp16_overflow 0
		.amdhsa_tg_split 0
		.amdhsa_exception_fp_ieee_invalid_op 0
		.amdhsa_exception_fp_denorm_src 0
		.amdhsa_exception_fp_ieee_div_zero 0
		.amdhsa_exception_fp_ieee_overflow 0
		.amdhsa_exception_fp_ieee_underflow 0
		.amdhsa_exception_fp_ieee_inexact 0
		.amdhsa_exception_int_div_zero 0
	.end_amdhsa_kernel
	.section	.text._ZN6thrust23THRUST_200600_302600_NS11hip_rocprim14__parallel_for6kernelILj256ENS1_13__swap_ranges6swap_fINS0_12zip_iteratorINS0_5tupleINS0_6detail15normal_iteratorINS0_10device_ptrIxEEEESC_NS0_9null_typeESD_SD_SD_SD_SD_SD_SD_EEEENS0_16reverse_iteratorISF_EEEElLj1EEEvT0_T1_SK_,"axG",@progbits,_ZN6thrust23THRUST_200600_302600_NS11hip_rocprim14__parallel_for6kernelILj256ENS1_13__swap_ranges6swap_fINS0_12zip_iteratorINS0_5tupleINS0_6detail15normal_iteratorINS0_10device_ptrIxEEEESC_NS0_9null_typeESD_SD_SD_SD_SD_SD_SD_EEEENS0_16reverse_iteratorISF_EEEElLj1EEEvT0_T1_SK_,comdat
.Lfunc_end3658:
	.size	_ZN6thrust23THRUST_200600_302600_NS11hip_rocprim14__parallel_for6kernelILj256ENS1_13__swap_ranges6swap_fINS0_12zip_iteratorINS0_5tupleINS0_6detail15normal_iteratorINS0_10device_ptrIxEEEESC_NS0_9null_typeESD_SD_SD_SD_SD_SD_SD_EEEENS0_16reverse_iteratorISF_EEEElLj1EEEvT0_T1_SK_, .Lfunc_end3658-_ZN6thrust23THRUST_200600_302600_NS11hip_rocprim14__parallel_for6kernelILj256ENS1_13__swap_ranges6swap_fINS0_12zip_iteratorINS0_5tupleINS0_6detail15normal_iteratorINS0_10device_ptrIxEEEESC_NS0_9null_typeESD_SD_SD_SD_SD_SD_SD_EEEENS0_16reverse_iteratorISF_EEEElLj1EEEvT0_T1_SK_
                                        ; -- End function
	.section	.AMDGPU.csdata,"",@progbits
; Kernel info:
; codeLenInByte = 244
; NumSgprs: 18
; NumVgprs: 16
; NumAgprs: 0
; TotalNumVgprs: 16
; ScratchSize: 0
; MemoryBound: 0
; FloatMode: 240
; IeeeMode: 1
; LDSByteSize: 0 bytes/workgroup (compile time only)
; SGPRBlocks: 2
; VGPRBlocks: 1
; NumSGPRsForWavesPerEU: 18
; NumVGPRsForWavesPerEU: 16
; AccumOffset: 16
; Occupancy: 8
; WaveLimiterHint : 0
; COMPUTE_PGM_RSRC2:SCRATCH_EN: 0
; COMPUTE_PGM_RSRC2:USER_SGPR: 2
; COMPUTE_PGM_RSRC2:TRAP_HANDLER: 0
; COMPUTE_PGM_RSRC2:TGID_X_EN: 1
; COMPUTE_PGM_RSRC2:TGID_Y_EN: 0
; COMPUTE_PGM_RSRC2:TGID_Z_EN: 0
; COMPUTE_PGM_RSRC2:TIDIG_COMP_CNT: 0
; COMPUTE_PGM_RSRC3_GFX90A:ACCUM_OFFSET: 3
; COMPUTE_PGM_RSRC3_GFX90A:TG_SPLIT: 0
	.section	.text._ZN6thrust23THRUST_200600_302600_NS11hip_rocprim14__parallel_for6kernelILj256ENS1_13__swap_ranges6swap_fINS0_12zip_iteratorINS0_5tupleINS0_6detail15normal_iteratorINS0_10device_ptrIiEEEESC_NS0_9null_typeESD_SD_SD_SD_SD_SD_SD_EEEENS0_16reverse_iteratorISF_EEEElLj1EEEvT0_T1_SK_,"axG",@progbits,_ZN6thrust23THRUST_200600_302600_NS11hip_rocprim14__parallel_for6kernelILj256ENS1_13__swap_ranges6swap_fINS0_12zip_iteratorINS0_5tupleINS0_6detail15normal_iteratorINS0_10device_ptrIiEEEESC_NS0_9null_typeESD_SD_SD_SD_SD_SD_SD_EEEENS0_16reverse_iteratorISF_EEEElLj1EEEvT0_T1_SK_,comdat
	.protected	_ZN6thrust23THRUST_200600_302600_NS11hip_rocprim14__parallel_for6kernelILj256ENS1_13__swap_ranges6swap_fINS0_12zip_iteratorINS0_5tupleINS0_6detail15normal_iteratorINS0_10device_ptrIiEEEESC_NS0_9null_typeESD_SD_SD_SD_SD_SD_SD_EEEENS0_16reverse_iteratorISF_EEEElLj1EEEvT0_T1_SK_ ; -- Begin function _ZN6thrust23THRUST_200600_302600_NS11hip_rocprim14__parallel_for6kernelILj256ENS1_13__swap_ranges6swap_fINS0_12zip_iteratorINS0_5tupleINS0_6detail15normal_iteratorINS0_10device_ptrIiEEEESC_NS0_9null_typeESD_SD_SD_SD_SD_SD_SD_EEEENS0_16reverse_iteratorISF_EEEElLj1EEEvT0_T1_SK_
	.globl	_ZN6thrust23THRUST_200600_302600_NS11hip_rocprim14__parallel_for6kernelILj256ENS1_13__swap_ranges6swap_fINS0_12zip_iteratorINS0_5tupleINS0_6detail15normal_iteratorINS0_10device_ptrIiEEEESC_NS0_9null_typeESD_SD_SD_SD_SD_SD_SD_EEEENS0_16reverse_iteratorISF_EEEElLj1EEEvT0_T1_SK_
	.p2align	8
	.type	_ZN6thrust23THRUST_200600_302600_NS11hip_rocprim14__parallel_for6kernelILj256ENS1_13__swap_ranges6swap_fINS0_12zip_iteratorINS0_5tupleINS0_6detail15normal_iteratorINS0_10device_ptrIiEEEESC_NS0_9null_typeESD_SD_SD_SD_SD_SD_SD_EEEENS0_16reverse_iteratorISF_EEEElLj1EEEvT0_T1_SK_,@function
_ZN6thrust23THRUST_200600_302600_NS11hip_rocprim14__parallel_for6kernelILj256ENS1_13__swap_ranges6swap_fINS0_12zip_iteratorINS0_5tupleINS0_6detail15normal_iteratorINS0_10device_ptrIiEEEESC_NS0_9null_typeESD_SD_SD_SD_SD_SD_SD_EEEENS0_16reverse_iteratorISF_EEEElLj1EEEvT0_T1_SK_: ; @_ZN6thrust23THRUST_200600_302600_NS11hip_rocprim14__parallel_for6kernelILj256ENS1_13__swap_ranges6swap_fINS0_12zip_iteratorINS0_5tupleINS0_6detail15normal_iteratorINS0_10device_ptrIiEEEESC_NS0_9null_typeESD_SD_SD_SD_SD_SD_SD_EEEENS0_16reverse_iteratorISF_EEEElLj1EEEvT0_T1_SK_
; %bb.0:
	s_load_dwordx4 s[4:7], s[0:1], 0x20
	s_lshl_b32 s2, s2, 8
	v_mov_b64_e32 v[2:3], 0x100
	s_waitcnt lgkmcnt(0)
	s_add_u32 s2, s2, s6
	s_addc_u32 s3, 0, s7
	s_sub_u32 s4, s4, s2
	s_subb_u32 s5, s5, s3
	v_cmp_lt_i64_e32 vcc, s[4:5], v[2:3]
	s_and_b64 s[6:7], vcc, exec
	s_cselect_b32 s6, s4, 0x100
	s_cmpk_eq_i32 s6, 0x100
	s_cselect_b64 s[4:5], -1, 0
	v_cmp_gt_u32_e32 vcc, s6, v0
	s_or_b64 s[4:5], s[4:5], vcc
	s_and_saveexec_b64 s[6:7], s[4:5]
	s_cbranch_execz .LBB3659_2
; %bb.1:
	s_load_dwordx8 s[4:11], s[0:1], 0x0
	v_mov_b32_e32 v1, 0
	v_lshl_add_u64 v[0:1], s[2:3], 0, v[0:1]
	v_lshlrev_b64 v[0:1], 2, v[0:1]
	s_waitcnt lgkmcnt(0)
	v_mov_b32_e32 v7, s9
	v_sub_co_u32_e32 v6, vcc, s8, v0
	v_lshl_add_u64 v[2:3], s[4:5], 0, v[0:1]
	s_nop 0
	v_subb_co_u32_e32 v7, vcc, v7, v1, vcc
	v_lshl_add_u64 v[4:5], s[6:7], 0, v[0:1]
	v_mov_b32_e32 v8, s11
	v_sub_co_u32_e32 v0, vcc, s10, v0
	s_nop 1
	v_subb_co_u32_e32 v1, vcc, v8, v1, vcc
	global_load_dword v8, v[6:7], off offset:-4
	global_load_dword v9, v[0:1], off offset:-4
	global_load_dword v10, v[2:3], off
	global_load_dword v11, v[4:5], off
	s_waitcnt vmcnt(3)
	global_store_dword v[2:3], v8, off
	s_waitcnt vmcnt(3)
	global_store_dword v[4:5], v9, off
	s_waitcnt vmcnt(3)
	global_store_dword v[6:7], v10, off offset:-4
	s_waitcnt vmcnt(3)
	global_store_dword v[0:1], v11, off offset:-4
.LBB3659_2:
	s_endpgm
	.section	.rodata,"a",@progbits
	.p2align	6, 0x0
	.amdhsa_kernel _ZN6thrust23THRUST_200600_302600_NS11hip_rocprim14__parallel_for6kernelILj256ENS1_13__swap_ranges6swap_fINS0_12zip_iteratorINS0_5tupleINS0_6detail15normal_iteratorINS0_10device_ptrIiEEEESC_NS0_9null_typeESD_SD_SD_SD_SD_SD_SD_EEEENS0_16reverse_iteratorISF_EEEElLj1EEEvT0_T1_SK_
		.amdhsa_group_segment_fixed_size 0
		.amdhsa_private_segment_fixed_size 0
		.amdhsa_kernarg_size 48
		.amdhsa_user_sgpr_count 2
		.amdhsa_user_sgpr_dispatch_ptr 0
		.amdhsa_user_sgpr_queue_ptr 0
		.amdhsa_user_sgpr_kernarg_segment_ptr 1
		.amdhsa_user_sgpr_dispatch_id 0
		.amdhsa_user_sgpr_kernarg_preload_length 0
		.amdhsa_user_sgpr_kernarg_preload_offset 0
		.amdhsa_user_sgpr_private_segment_size 0
		.amdhsa_uses_dynamic_stack 0
		.amdhsa_enable_private_segment 0
		.amdhsa_system_sgpr_workgroup_id_x 1
		.amdhsa_system_sgpr_workgroup_id_y 0
		.amdhsa_system_sgpr_workgroup_id_z 0
		.amdhsa_system_sgpr_workgroup_info 0
		.amdhsa_system_vgpr_workitem_id 0
		.amdhsa_next_free_vgpr 12
		.amdhsa_next_free_sgpr 12
		.amdhsa_accum_offset 12
		.amdhsa_reserve_vcc 1
		.amdhsa_float_round_mode_32 0
		.amdhsa_float_round_mode_16_64 0
		.amdhsa_float_denorm_mode_32 3
		.amdhsa_float_denorm_mode_16_64 3
		.amdhsa_dx10_clamp 1
		.amdhsa_ieee_mode 1
		.amdhsa_fp16_overflow 0
		.amdhsa_tg_split 0
		.amdhsa_exception_fp_ieee_invalid_op 0
		.amdhsa_exception_fp_denorm_src 0
		.amdhsa_exception_fp_ieee_div_zero 0
		.amdhsa_exception_fp_ieee_overflow 0
		.amdhsa_exception_fp_ieee_underflow 0
		.amdhsa_exception_fp_ieee_inexact 0
		.amdhsa_exception_int_div_zero 0
	.end_amdhsa_kernel
	.section	.text._ZN6thrust23THRUST_200600_302600_NS11hip_rocprim14__parallel_for6kernelILj256ENS1_13__swap_ranges6swap_fINS0_12zip_iteratorINS0_5tupleINS0_6detail15normal_iteratorINS0_10device_ptrIiEEEESC_NS0_9null_typeESD_SD_SD_SD_SD_SD_SD_EEEENS0_16reverse_iteratorISF_EEEElLj1EEEvT0_T1_SK_,"axG",@progbits,_ZN6thrust23THRUST_200600_302600_NS11hip_rocprim14__parallel_for6kernelILj256ENS1_13__swap_ranges6swap_fINS0_12zip_iteratorINS0_5tupleINS0_6detail15normal_iteratorINS0_10device_ptrIiEEEESC_NS0_9null_typeESD_SD_SD_SD_SD_SD_SD_EEEENS0_16reverse_iteratorISF_EEEElLj1EEEvT0_T1_SK_,comdat
.Lfunc_end3659:
	.size	_ZN6thrust23THRUST_200600_302600_NS11hip_rocprim14__parallel_for6kernelILj256ENS1_13__swap_ranges6swap_fINS0_12zip_iteratorINS0_5tupleINS0_6detail15normal_iteratorINS0_10device_ptrIiEEEESC_NS0_9null_typeESD_SD_SD_SD_SD_SD_SD_EEEENS0_16reverse_iteratorISF_EEEElLj1EEEvT0_T1_SK_, .Lfunc_end3659-_ZN6thrust23THRUST_200600_302600_NS11hip_rocprim14__parallel_for6kernelILj256ENS1_13__swap_ranges6swap_fINS0_12zip_iteratorINS0_5tupleINS0_6detail15normal_iteratorINS0_10device_ptrIiEEEESC_NS0_9null_typeESD_SD_SD_SD_SD_SD_SD_EEEENS0_16reverse_iteratorISF_EEEElLj1EEEvT0_T1_SK_
                                        ; -- End function
	.section	.AMDGPU.csdata,"",@progbits
; Kernel info:
; codeLenInByte = 244
; NumSgprs: 18
; NumVgprs: 12
; NumAgprs: 0
; TotalNumVgprs: 12
; ScratchSize: 0
; MemoryBound: 0
; FloatMode: 240
; IeeeMode: 1
; LDSByteSize: 0 bytes/workgroup (compile time only)
; SGPRBlocks: 2
; VGPRBlocks: 1
; NumSGPRsForWavesPerEU: 18
; NumVGPRsForWavesPerEU: 12
; AccumOffset: 12
; Occupancy: 8
; WaveLimiterHint : 0
; COMPUTE_PGM_RSRC2:SCRATCH_EN: 0
; COMPUTE_PGM_RSRC2:USER_SGPR: 2
; COMPUTE_PGM_RSRC2:TRAP_HANDLER: 0
; COMPUTE_PGM_RSRC2:TGID_X_EN: 1
; COMPUTE_PGM_RSRC2:TGID_Y_EN: 0
; COMPUTE_PGM_RSRC2:TGID_Z_EN: 0
; COMPUTE_PGM_RSRC2:TIDIG_COMP_CNT: 0
; COMPUTE_PGM_RSRC3_GFX90A:ACCUM_OFFSET: 2
; COMPUTE_PGM_RSRC3_GFX90A:TG_SPLIT: 0
	.section	.text._ZN6thrust23THRUST_200600_302600_NS11hip_rocprim14__parallel_for6kernelILj256ENS1_13__swap_ranges6swap_fINS0_12zip_iteratorINS0_5tupleINS0_6detail15normal_iteratorINS0_10device_ptrIsEEEESC_NS0_9null_typeESD_SD_SD_SD_SD_SD_SD_EEEENS0_16reverse_iteratorISF_EEEElLj1EEEvT0_T1_SK_,"axG",@progbits,_ZN6thrust23THRUST_200600_302600_NS11hip_rocprim14__parallel_for6kernelILj256ENS1_13__swap_ranges6swap_fINS0_12zip_iteratorINS0_5tupleINS0_6detail15normal_iteratorINS0_10device_ptrIsEEEESC_NS0_9null_typeESD_SD_SD_SD_SD_SD_SD_EEEENS0_16reverse_iteratorISF_EEEElLj1EEEvT0_T1_SK_,comdat
	.protected	_ZN6thrust23THRUST_200600_302600_NS11hip_rocprim14__parallel_for6kernelILj256ENS1_13__swap_ranges6swap_fINS0_12zip_iteratorINS0_5tupleINS0_6detail15normal_iteratorINS0_10device_ptrIsEEEESC_NS0_9null_typeESD_SD_SD_SD_SD_SD_SD_EEEENS0_16reverse_iteratorISF_EEEElLj1EEEvT0_T1_SK_ ; -- Begin function _ZN6thrust23THRUST_200600_302600_NS11hip_rocprim14__parallel_for6kernelILj256ENS1_13__swap_ranges6swap_fINS0_12zip_iteratorINS0_5tupleINS0_6detail15normal_iteratorINS0_10device_ptrIsEEEESC_NS0_9null_typeESD_SD_SD_SD_SD_SD_SD_EEEENS0_16reverse_iteratorISF_EEEElLj1EEEvT0_T1_SK_
	.globl	_ZN6thrust23THRUST_200600_302600_NS11hip_rocprim14__parallel_for6kernelILj256ENS1_13__swap_ranges6swap_fINS0_12zip_iteratorINS0_5tupleINS0_6detail15normal_iteratorINS0_10device_ptrIsEEEESC_NS0_9null_typeESD_SD_SD_SD_SD_SD_SD_EEEENS0_16reverse_iteratorISF_EEEElLj1EEEvT0_T1_SK_
	.p2align	8
	.type	_ZN6thrust23THRUST_200600_302600_NS11hip_rocprim14__parallel_for6kernelILj256ENS1_13__swap_ranges6swap_fINS0_12zip_iteratorINS0_5tupleINS0_6detail15normal_iteratorINS0_10device_ptrIsEEEESC_NS0_9null_typeESD_SD_SD_SD_SD_SD_SD_EEEENS0_16reverse_iteratorISF_EEEElLj1EEEvT0_T1_SK_,@function
_ZN6thrust23THRUST_200600_302600_NS11hip_rocprim14__parallel_for6kernelILj256ENS1_13__swap_ranges6swap_fINS0_12zip_iteratorINS0_5tupleINS0_6detail15normal_iteratorINS0_10device_ptrIsEEEESC_NS0_9null_typeESD_SD_SD_SD_SD_SD_SD_EEEENS0_16reverse_iteratorISF_EEEElLj1EEEvT0_T1_SK_: ; @_ZN6thrust23THRUST_200600_302600_NS11hip_rocprim14__parallel_for6kernelILj256ENS1_13__swap_ranges6swap_fINS0_12zip_iteratorINS0_5tupleINS0_6detail15normal_iteratorINS0_10device_ptrIsEEEESC_NS0_9null_typeESD_SD_SD_SD_SD_SD_SD_EEEENS0_16reverse_iteratorISF_EEEElLj1EEEvT0_T1_SK_
; %bb.0:
	s_load_dwordx4 s[4:7], s[0:1], 0x20
	s_lshl_b32 s2, s2, 8
	v_mov_b64_e32 v[2:3], 0x100
	s_waitcnt lgkmcnt(0)
	s_add_u32 s2, s2, s6
	s_addc_u32 s3, 0, s7
	s_sub_u32 s4, s4, s2
	s_subb_u32 s5, s5, s3
	v_cmp_lt_i64_e32 vcc, s[4:5], v[2:3]
	s_and_b64 s[6:7], vcc, exec
	s_cselect_b32 s6, s4, 0x100
	s_cmpk_eq_i32 s6, 0x100
	s_cselect_b64 s[4:5], -1, 0
	v_cmp_gt_u32_e32 vcc, s6, v0
	s_or_b64 s[4:5], s[4:5], vcc
	s_and_saveexec_b64 s[6:7], s[4:5]
	s_cbranch_execz .LBB3660_2
; %bb.1:
	s_load_dwordx8 s[4:11], s[0:1], 0x0
	v_mov_b32_e32 v1, 0
	v_lshl_add_u64 v[0:1], s[2:3], 0, v[0:1]
	v_lshlrev_b64 v[0:1], 1, v[0:1]
	s_waitcnt lgkmcnt(0)
	v_mov_b32_e32 v7, s9
	v_sub_co_u32_e32 v6, vcc, s8, v0
	v_lshl_add_u64 v[2:3], s[4:5], 0, v[0:1]
	s_nop 0
	v_subb_co_u32_e32 v7, vcc, v7, v1, vcc
	v_lshl_add_u64 v[4:5], s[6:7], 0, v[0:1]
	v_mov_b32_e32 v8, s11
	v_sub_co_u32_e32 v0, vcc, s10, v0
	s_nop 1
	v_subb_co_u32_e32 v1, vcc, v8, v1, vcc
	global_load_ushort v8, v[6:7], off offset:-2
	global_load_ushort v9, v[0:1], off offset:-2
	global_load_ushort v10, v[2:3], off
	global_load_ushort v11, v[4:5], off
	s_waitcnt vmcnt(3)
	global_store_short v[2:3], v8, off
	s_waitcnt vmcnt(3)
	global_store_short v[4:5], v9, off
	s_waitcnt vmcnt(3)
	global_store_short v[6:7], v10, off offset:-2
	s_waitcnt vmcnt(3)
	global_store_short v[0:1], v11, off offset:-2
.LBB3660_2:
	s_endpgm
	.section	.rodata,"a",@progbits
	.p2align	6, 0x0
	.amdhsa_kernel _ZN6thrust23THRUST_200600_302600_NS11hip_rocprim14__parallel_for6kernelILj256ENS1_13__swap_ranges6swap_fINS0_12zip_iteratorINS0_5tupleINS0_6detail15normal_iteratorINS0_10device_ptrIsEEEESC_NS0_9null_typeESD_SD_SD_SD_SD_SD_SD_EEEENS0_16reverse_iteratorISF_EEEElLj1EEEvT0_T1_SK_
		.amdhsa_group_segment_fixed_size 0
		.amdhsa_private_segment_fixed_size 0
		.amdhsa_kernarg_size 48
		.amdhsa_user_sgpr_count 2
		.amdhsa_user_sgpr_dispatch_ptr 0
		.amdhsa_user_sgpr_queue_ptr 0
		.amdhsa_user_sgpr_kernarg_segment_ptr 1
		.amdhsa_user_sgpr_dispatch_id 0
		.amdhsa_user_sgpr_kernarg_preload_length 0
		.amdhsa_user_sgpr_kernarg_preload_offset 0
		.amdhsa_user_sgpr_private_segment_size 0
		.amdhsa_uses_dynamic_stack 0
		.amdhsa_enable_private_segment 0
		.amdhsa_system_sgpr_workgroup_id_x 1
		.amdhsa_system_sgpr_workgroup_id_y 0
		.amdhsa_system_sgpr_workgroup_id_z 0
		.amdhsa_system_sgpr_workgroup_info 0
		.amdhsa_system_vgpr_workitem_id 0
		.amdhsa_next_free_vgpr 12
		.amdhsa_next_free_sgpr 12
		.amdhsa_accum_offset 12
		.amdhsa_reserve_vcc 1
		.amdhsa_float_round_mode_32 0
		.amdhsa_float_round_mode_16_64 0
		.amdhsa_float_denorm_mode_32 3
		.amdhsa_float_denorm_mode_16_64 3
		.amdhsa_dx10_clamp 1
		.amdhsa_ieee_mode 1
		.amdhsa_fp16_overflow 0
		.amdhsa_tg_split 0
		.amdhsa_exception_fp_ieee_invalid_op 0
		.amdhsa_exception_fp_denorm_src 0
		.amdhsa_exception_fp_ieee_div_zero 0
		.amdhsa_exception_fp_ieee_overflow 0
		.amdhsa_exception_fp_ieee_underflow 0
		.amdhsa_exception_fp_ieee_inexact 0
		.amdhsa_exception_int_div_zero 0
	.end_amdhsa_kernel
	.section	.text._ZN6thrust23THRUST_200600_302600_NS11hip_rocprim14__parallel_for6kernelILj256ENS1_13__swap_ranges6swap_fINS0_12zip_iteratorINS0_5tupleINS0_6detail15normal_iteratorINS0_10device_ptrIsEEEESC_NS0_9null_typeESD_SD_SD_SD_SD_SD_SD_EEEENS0_16reverse_iteratorISF_EEEElLj1EEEvT0_T1_SK_,"axG",@progbits,_ZN6thrust23THRUST_200600_302600_NS11hip_rocprim14__parallel_for6kernelILj256ENS1_13__swap_ranges6swap_fINS0_12zip_iteratorINS0_5tupleINS0_6detail15normal_iteratorINS0_10device_ptrIsEEEESC_NS0_9null_typeESD_SD_SD_SD_SD_SD_SD_EEEENS0_16reverse_iteratorISF_EEEElLj1EEEvT0_T1_SK_,comdat
.Lfunc_end3660:
	.size	_ZN6thrust23THRUST_200600_302600_NS11hip_rocprim14__parallel_for6kernelILj256ENS1_13__swap_ranges6swap_fINS0_12zip_iteratorINS0_5tupleINS0_6detail15normal_iteratorINS0_10device_ptrIsEEEESC_NS0_9null_typeESD_SD_SD_SD_SD_SD_SD_EEEENS0_16reverse_iteratorISF_EEEElLj1EEEvT0_T1_SK_, .Lfunc_end3660-_ZN6thrust23THRUST_200600_302600_NS11hip_rocprim14__parallel_for6kernelILj256ENS1_13__swap_ranges6swap_fINS0_12zip_iteratorINS0_5tupleINS0_6detail15normal_iteratorINS0_10device_ptrIsEEEESC_NS0_9null_typeESD_SD_SD_SD_SD_SD_SD_EEEENS0_16reverse_iteratorISF_EEEElLj1EEEvT0_T1_SK_
                                        ; -- End function
	.section	.AMDGPU.csdata,"",@progbits
; Kernel info:
; codeLenInByte = 244
; NumSgprs: 18
; NumVgprs: 12
; NumAgprs: 0
; TotalNumVgprs: 12
; ScratchSize: 0
; MemoryBound: 0
; FloatMode: 240
; IeeeMode: 1
; LDSByteSize: 0 bytes/workgroup (compile time only)
; SGPRBlocks: 2
; VGPRBlocks: 1
; NumSGPRsForWavesPerEU: 18
; NumVGPRsForWavesPerEU: 12
; AccumOffset: 12
; Occupancy: 8
; WaveLimiterHint : 0
; COMPUTE_PGM_RSRC2:SCRATCH_EN: 0
; COMPUTE_PGM_RSRC2:USER_SGPR: 2
; COMPUTE_PGM_RSRC2:TRAP_HANDLER: 0
; COMPUTE_PGM_RSRC2:TGID_X_EN: 1
; COMPUTE_PGM_RSRC2:TGID_Y_EN: 0
; COMPUTE_PGM_RSRC2:TGID_Z_EN: 0
; COMPUTE_PGM_RSRC2:TIDIG_COMP_CNT: 0
; COMPUTE_PGM_RSRC3_GFX90A:ACCUM_OFFSET: 2
; COMPUTE_PGM_RSRC3_GFX90A:TG_SPLIT: 0
	.section	.text._ZN6thrust23THRUST_200600_302600_NS11hip_rocprim14__parallel_for6kernelILj256ENS1_20__uninitialized_copy7functorINS0_10device_ptrIiEENS0_6detail15normal_iteratorINS0_7pointerIiNS1_5par_tENS0_11use_defaultESC_EEEEEElLj1EEEvT0_T1_SH_,"axG",@progbits,_ZN6thrust23THRUST_200600_302600_NS11hip_rocprim14__parallel_for6kernelILj256ENS1_20__uninitialized_copy7functorINS0_10device_ptrIiEENS0_6detail15normal_iteratorINS0_7pointerIiNS1_5par_tENS0_11use_defaultESC_EEEEEElLj1EEEvT0_T1_SH_,comdat
	.protected	_ZN6thrust23THRUST_200600_302600_NS11hip_rocprim14__parallel_for6kernelILj256ENS1_20__uninitialized_copy7functorINS0_10device_ptrIiEENS0_6detail15normal_iteratorINS0_7pointerIiNS1_5par_tENS0_11use_defaultESC_EEEEEElLj1EEEvT0_T1_SH_ ; -- Begin function _ZN6thrust23THRUST_200600_302600_NS11hip_rocprim14__parallel_for6kernelILj256ENS1_20__uninitialized_copy7functorINS0_10device_ptrIiEENS0_6detail15normal_iteratorINS0_7pointerIiNS1_5par_tENS0_11use_defaultESC_EEEEEElLj1EEEvT0_T1_SH_
	.globl	_ZN6thrust23THRUST_200600_302600_NS11hip_rocprim14__parallel_for6kernelILj256ENS1_20__uninitialized_copy7functorINS0_10device_ptrIiEENS0_6detail15normal_iteratorINS0_7pointerIiNS1_5par_tENS0_11use_defaultESC_EEEEEElLj1EEEvT0_T1_SH_
	.p2align	8
	.type	_ZN6thrust23THRUST_200600_302600_NS11hip_rocprim14__parallel_for6kernelILj256ENS1_20__uninitialized_copy7functorINS0_10device_ptrIiEENS0_6detail15normal_iteratorINS0_7pointerIiNS1_5par_tENS0_11use_defaultESC_EEEEEElLj1EEEvT0_T1_SH_,@function
_ZN6thrust23THRUST_200600_302600_NS11hip_rocprim14__parallel_for6kernelILj256ENS1_20__uninitialized_copy7functorINS0_10device_ptrIiEENS0_6detail15normal_iteratorINS0_7pointerIiNS1_5par_tENS0_11use_defaultESC_EEEEEElLj1EEEvT0_T1_SH_: ; @_ZN6thrust23THRUST_200600_302600_NS11hip_rocprim14__parallel_for6kernelILj256ENS1_20__uninitialized_copy7functorINS0_10device_ptrIiEENS0_6detail15normal_iteratorINS0_7pointerIiNS1_5par_tENS0_11use_defaultESC_EEEEEElLj1EEEvT0_T1_SH_
; %bb.0:
	s_load_dwordx8 s[4:11], s[0:1], 0x0
	s_lshl_b32 s0, s2, 8
	v_mov_b64_e32 v[2:3], 0x100
	s_waitcnt lgkmcnt(0)
	s_add_u32 s0, s0, s10
	s_addc_u32 s1, 0, s11
	s_sub_u32 s2, s8, s0
	s_subb_u32 s3, s9, s1
	v_cmp_lt_i64_e32 vcc, s[2:3], v[2:3]
	s_and_b64 s[8:9], vcc, exec
	s_cselect_b32 s2, s2, 0x100
	s_cmpk_lg_i32 s2, 0x100
	s_cbranch_scc0 .LBB3661_4
; %bb.1:
	v_cmp_gt_u32_e32 vcc, s2, v0
	s_mov_b64 s[8:9], 0
	s_mov_b64 s[2:3], 0
                                        ; implicit-def: $vgpr2_vgpr3
                                        ; implicit-def: $vgpr4_vgpr5
	s_and_saveexec_b64 s[10:11], vcc
	s_xor_b64 s[10:11], exec, s[10:11]
; %bb.2:
	v_mov_b32_e32 v1, 0
	v_lshl_add_u64 v[2:3], s[0:1], 0, v[0:1]
	v_lshlrev_b64 v[4:5], 2, v[2:3]
	s_mov_b64 s[2:3], exec
	v_lshl_add_u64 v[2:3], s[6:7], 0, v[4:5]
	v_lshl_add_u64 v[4:5], s[4:5], 0, v[4:5]
; %bb.3:
	s_or_b64 exec, exec, s[10:11]
	s_and_b64 vcc, exec, s[8:9]
	s_cbranch_vccnz .LBB3661_5
	s_branch .LBB3661_6
.LBB3661_4:
	s_mov_b64 s[2:3], 0
                                        ; implicit-def: $vgpr2_vgpr3
                                        ; implicit-def: $vgpr4_vgpr5
	s_cbranch_execz .LBB3661_6
.LBB3661_5:
	v_mov_b32_e32 v1, 0
	v_lshl_add_u64 v[0:1], s[0:1], 0, v[0:1]
	v_lshlrev_b64 v[0:1], 2, v[0:1]
	v_lshl_add_u64 v[4:5], s[4:5], 0, v[0:1]
	v_lshl_add_u64 v[2:3], s[6:7], 0, v[0:1]
	s_or_b64 s[2:3], s[2:3], exec
.LBB3661_6:
	s_and_saveexec_b64 s[0:1], s[2:3]
	s_cbranch_execnz .LBB3661_8
; %bb.7:
	s_endpgm
.LBB3661_8:
	flat_load_dword v0, v[4:5]
	s_waitcnt vmcnt(0) lgkmcnt(0)
	flat_store_dword v[2:3], v0
	s_endpgm
	.section	.rodata,"a",@progbits
	.p2align	6, 0x0
	.amdhsa_kernel _ZN6thrust23THRUST_200600_302600_NS11hip_rocprim14__parallel_for6kernelILj256ENS1_20__uninitialized_copy7functorINS0_10device_ptrIiEENS0_6detail15normal_iteratorINS0_7pointerIiNS1_5par_tENS0_11use_defaultESC_EEEEEElLj1EEEvT0_T1_SH_
		.amdhsa_group_segment_fixed_size 0
		.amdhsa_private_segment_fixed_size 0
		.amdhsa_kernarg_size 32
		.amdhsa_user_sgpr_count 2
		.amdhsa_user_sgpr_dispatch_ptr 0
		.amdhsa_user_sgpr_queue_ptr 0
		.amdhsa_user_sgpr_kernarg_segment_ptr 1
		.amdhsa_user_sgpr_dispatch_id 0
		.amdhsa_user_sgpr_kernarg_preload_length 0
		.amdhsa_user_sgpr_kernarg_preload_offset 0
		.amdhsa_user_sgpr_private_segment_size 0
		.amdhsa_uses_dynamic_stack 0
		.amdhsa_enable_private_segment 0
		.amdhsa_system_sgpr_workgroup_id_x 1
		.amdhsa_system_sgpr_workgroup_id_y 0
		.amdhsa_system_sgpr_workgroup_id_z 0
		.amdhsa_system_sgpr_workgroup_info 0
		.amdhsa_system_vgpr_workitem_id 0
		.amdhsa_next_free_vgpr 6
		.amdhsa_next_free_sgpr 12
		.amdhsa_accum_offset 8
		.amdhsa_reserve_vcc 1
		.amdhsa_float_round_mode_32 0
		.amdhsa_float_round_mode_16_64 0
		.amdhsa_float_denorm_mode_32 3
		.amdhsa_float_denorm_mode_16_64 3
		.amdhsa_dx10_clamp 1
		.amdhsa_ieee_mode 1
		.amdhsa_fp16_overflow 0
		.amdhsa_tg_split 0
		.amdhsa_exception_fp_ieee_invalid_op 0
		.amdhsa_exception_fp_denorm_src 0
		.amdhsa_exception_fp_ieee_div_zero 0
		.amdhsa_exception_fp_ieee_overflow 0
		.amdhsa_exception_fp_ieee_underflow 0
		.amdhsa_exception_fp_ieee_inexact 0
		.amdhsa_exception_int_div_zero 0
	.end_amdhsa_kernel
	.section	.text._ZN6thrust23THRUST_200600_302600_NS11hip_rocprim14__parallel_for6kernelILj256ENS1_20__uninitialized_copy7functorINS0_10device_ptrIiEENS0_6detail15normal_iteratorINS0_7pointerIiNS1_5par_tENS0_11use_defaultESC_EEEEEElLj1EEEvT0_T1_SH_,"axG",@progbits,_ZN6thrust23THRUST_200600_302600_NS11hip_rocprim14__parallel_for6kernelILj256ENS1_20__uninitialized_copy7functorINS0_10device_ptrIiEENS0_6detail15normal_iteratorINS0_7pointerIiNS1_5par_tENS0_11use_defaultESC_EEEEEElLj1EEEvT0_T1_SH_,comdat
.Lfunc_end3661:
	.size	_ZN6thrust23THRUST_200600_302600_NS11hip_rocprim14__parallel_for6kernelILj256ENS1_20__uninitialized_copy7functorINS0_10device_ptrIiEENS0_6detail15normal_iteratorINS0_7pointerIiNS1_5par_tENS0_11use_defaultESC_EEEEEElLj1EEEvT0_T1_SH_, .Lfunc_end3661-_ZN6thrust23THRUST_200600_302600_NS11hip_rocprim14__parallel_for6kernelILj256ENS1_20__uninitialized_copy7functorINS0_10device_ptrIiEENS0_6detail15normal_iteratorINS0_7pointerIiNS1_5par_tENS0_11use_defaultESC_EEEEEElLj1EEEvT0_T1_SH_
                                        ; -- End function
	.section	.AMDGPU.csdata,"",@progbits
; Kernel info:
; codeLenInByte = 224
; NumSgprs: 18
; NumVgprs: 6
; NumAgprs: 0
; TotalNumVgprs: 6
; ScratchSize: 0
; MemoryBound: 0
; FloatMode: 240
; IeeeMode: 1
; LDSByteSize: 0 bytes/workgroup (compile time only)
; SGPRBlocks: 2
; VGPRBlocks: 0
; NumSGPRsForWavesPerEU: 18
; NumVGPRsForWavesPerEU: 6
; AccumOffset: 8
; Occupancy: 8
; WaveLimiterHint : 0
; COMPUTE_PGM_RSRC2:SCRATCH_EN: 0
; COMPUTE_PGM_RSRC2:USER_SGPR: 2
; COMPUTE_PGM_RSRC2:TRAP_HANDLER: 0
; COMPUTE_PGM_RSRC2:TGID_X_EN: 1
; COMPUTE_PGM_RSRC2:TGID_Y_EN: 0
; COMPUTE_PGM_RSRC2:TGID_Z_EN: 0
; COMPUTE_PGM_RSRC2:TIDIG_COMP_CNT: 0
; COMPUTE_PGM_RSRC3_GFX90A:ACCUM_OFFSET: 1
; COMPUTE_PGM_RSRC3_GFX90A:TG_SPLIT: 0
	.section	.text._ZN7rocprim17ROCPRIM_400000_NS6detail17trampoline_kernelINS0_14default_configENS1_25partition_config_selectorILNS1_17partition_subalgoE3EiNS0_10empty_typeEbEEZZNS1_14partition_implILS5_3ELb0ES3_jN6thrust23THRUST_200600_302600_NS6detail15normal_iteratorINSA_7pointerIiNSA_11hip_rocprim5par_tENSA_11use_defaultESG_EEEEPS6_SJ_NS0_5tupleIJPiSJ_EEENSK_IJSJ_SJ_EEES6_PlJ7is_evenIiEEEE10hipError_tPvRmT3_T4_T5_T6_T7_T9_mT8_P12ihipStream_tbDpT10_ENKUlT_T0_E_clISt17integral_constantIbLb0EES1A_EEDaS15_S16_EUlS15_E_NS1_11comp_targetILNS1_3genE0ELNS1_11target_archE4294967295ELNS1_3gpuE0ELNS1_3repE0EEENS1_30default_config_static_selectorELNS0_4arch9wavefront6targetE1EEEvT1_,"axG",@progbits,_ZN7rocprim17ROCPRIM_400000_NS6detail17trampoline_kernelINS0_14default_configENS1_25partition_config_selectorILNS1_17partition_subalgoE3EiNS0_10empty_typeEbEEZZNS1_14partition_implILS5_3ELb0ES3_jN6thrust23THRUST_200600_302600_NS6detail15normal_iteratorINSA_7pointerIiNSA_11hip_rocprim5par_tENSA_11use_defaultESG_EEEEPS6_SJ_NS0_5tupleIJPiSJ_EEENSK_IJSJ_SJ_EEES6_PlJ7is_evenIiEEEE10hipError_tPvRmT3_T4_T5_T6_T7_T9_mT8_P12ihipStream_tbDpT10_ENKUlT_T0_E_clISt17integral_constantIbLb0EES1A_EEDaS15_S16_EUlS15_E_NS1_11comp_targetILNS1_3genE0ELNS1_11target_archE4294967295ELNS1_3gpuE0ELNS1_3repE0EEENS1_30default_config_static_selectorELNS0_4arch9wavefront6targetE1EEEvT1_,comdat
	.protected	_ZN7rocprim17ROCPRIM_400000_NS6detail17trampoline_kernelINS0_14default_configENS1_25partition_config_selectorILNS1_17partition_subalgoE3EiNS0_10empty_typeEbEEZZNS1_14partition_implILS5_3ELb0ES3_jN6thrust23THRUST_200600_302600_NS6detail15normal_iteratorINSA_7pointerIiNSA_11hip_rocprim5par_tENSA_11use_defaultESG_EEEEPS6_SJ_NS0_5tupleIJPiSJ_EEENSK_IJSJ_SJ_EEES6_PlJ7is_evenIiEEEE10hipError_tPvRmT3_T4_T5_T6_T7_T9_mT8_P12ihipStream_tbDpT10_ENKUlT_T0_E_clISt17integral_constantIbLb0EES1A_EEDaS15_S16_EUlS15_E_NS1_11comp_targetILNS1_3genE0ELNS1_11target_archE4294967295ELNS1_3gpuE0ELNS1_3repE0EEENS1_30default_config_static_selectorELNS0_4arch9wavefront6targetE1EEEvT1_ ; -- Begin function _ZN7rocprim17ROCPRIM_400000_NS6detail17trampoline_kernelINS0_14default_configENS1_25partition_config_selectorILNS1_17partition_subalgoE3EiNS0_10empty_typeEbEEZZNS1_14partition_implILS5_3ELb0ES3_jN6thrust23THRUST_200600_302600_NS6detail15normal_iteratorINSA_7pointerIiNSA_11hip_rocprim5par_tENSA_11use_defaultESG_EEEEPS6_SJ_NS0_5tupleIJPiSJ_EEENSK_IJSJ_SJ_EEES6_PlJ7is_evenIiEEEE10hipError_tPvRmT3_T4_T5_T6_T7_T9_mT8_P12ihipStream_tbDpT10_ENKUlT_T0_E_clISt17integral_constantIbLb0EES1A_EEDaS15_S16_EUlS15_E_NS1_11comp_targetILNS1_3genE0ELNS1_11target_archE4294967295ELNS1_3gpuE0ELNS1_3repE0EEENS1_30default_config_static_selectorELNS0_4arch9wavefront6targetE1EEEvT1_
	.globl	_ZN7rocprim17ROCPRIM_400000_NS6detail17trampoline_kernelINS0_14default_configENS1_25partition_config_selectorILNS1_17partition_subalgoE3EiNS0_10empty_typeEbEEZZNS1_14partition_implILS5_3ELb0ES3_jN6thrust23THRUST_200600_302600_NS6detail15normal_iteratorINSA_7pointerIiNSA_11hip_rocprim5par_tENSA_11use_defaultESG_EEEEPS6_SJ_NS0_5tupleIJPiSJ_EEENSK_IJSJ_SJ_EEES6_PlJ7is_evenIiEEEE10hipError_tPvRmT3_T4_T5_T6_T7_T9_mT8_P12ihipStream_tbDpT10_ENKUlT_T0_E_clISt17integral_constantIbLb0EES1A_EEDaS15_S16_EUlS15_E_NS1_11comp_targetILNS1_3genE0ELNS1_11target_archE4294967295ELNS1_3gpuE0ELNS1_3repE0EEENS1_30default_config_static_selectorELNS0_4arch9wavefront6targetE1EEEvT1_
	.p2align	8
	.type	_ZN7rocprim17ROCPRIM_400000_NS6detail17trampoline_kernelINS0_14default_configENS1_25partition_config_selectorILNS1_17partition_subalgoE3EiNS0_10empty_typeEbEEZZNS1_14partition_implILS5_3ELb0ES3_jN6thrust23THRUST_200600_302600_NS6detail15normal_iteratorINSA_7pointerIiNSA_11hip_rocprim5par_tENSA_11use_defaultESG_EEEEPS6_SJ_NS0_5tupleIJPiSJ_EEENSK_IJSJ_SJ_EEES6_PlJ7is_evenIiEEEE10hipError_tPvRmT3_T4_T5_T6_T7_T9_mT8_P12ihipStream_tbDpT10_ENKUlT_T0_E_clISt17integral_constantIbLb0EES1A_EEDaS15_S16_EUlS15_E_NS1_11comp_targetILNS1_3genE0ELNS1_11target_archE4294967295ELNS1_3gpuE0ELNS1_3repE0EEENS1_30default_config_static_selectorELNS0_4arch9wavefront6targetE1EEEvT1_,@function
_ZN7rocprim17ROCPRIM_400000_NS6detail17trampoline_kernelINS0_14default_configENS1_25partition_config_selectorILNS1_17partition_subalgoE3EiNS0_10empty_typeEbEEZZNS1_14partition_implILS5_3ELb0ES3_jN6thrust23THRUST_200600_302600_NS6detail15normal_iteratorINSA_7pointerIiNSA_11hip_rocprim5par_tENSA_11use_defaultESG_EEEEPS6_SJ_NS0_5tupleIJPiSJ_EEENSK_IJSJ_SJ_EEES6_PlJ7is_evenIiEEEE10hipError_tPvRmT3_T4_T5_T6_T7_T9_mT8_P12ihipStream_tbDpT10_ENKUlT_T0_E_clISt17integral_constantIbLb0EES1A_EEDaS15_S16_EUlS15_E_NS1_11comp_targetILNS1_3genE0ELNS1_11target_archE4294967295ELNS1_3gpuE0ELNS1_3repE0EEENS1_30default_config_static_selectorELNS0_4arch9wavefront6targetE1EEEvT1_: ; @_ZN7rocprim17ROCPRIM_400000_NS6detail17trampoline_kernelINS0_14default_configENS1_25partition_config_selectorILNS1_17partition_subalgoE3EiNS0_10empty_typeEbEEZZNS1_14partition_implILS5_3ELb0ES3_jN6thrust23THRUST_200600_302600_NS6detail15normal_iteratorINSA_7pointerIiNSA_11hip_rocprim5par_tENSA_11use_defaultESG_EEEEPS6_SJ_NS0_5tupleIJPiSJ_EEENSK_IJSJ_SJ_EEES6_PlJ7is_evenIiEEEE10hipError_tPvRmT3_T4_T5_T6_T7_T9_mT8_P12ihipStream_tbDpT10_ENKUlT_T0_E_clISt17integral_constantIbLb0EES1A_EEDaS15_S16_EUlS15_E_NS1_11comp_targetILNS1_3genE0ELNS1_11target_archE4294967295ELNS1_3gpuE0ELNS1_3repE0EEENS1_30default_config_static_selectorELNS0_4arch9wavefront6targetE1EEEvT1_
; %bb.0:
	.section	.rodata,"a",@progbits
	.p2align	6, 0x0
	.amdhsa_kernel _ZN7rocprim17ROCPRIM_400000_NS6detail17trampoline_kernelINS0_14default_configENS1_25partition_config_selectorILNS1_17partition_subalgoE3EiNS0_10empty_typeEbEEZZNS1_14partition_implILS5_3ELb0ES3_jN6thrust23THRUST_200600_302600_NS6detail15normal_iteratorINSA_7pointerIiNSA_11hip_rocprim5par_tENSA_11use_defaultESG_EEEEPS6_SJ_NS0_5tupleIJPiSJ_EEENSK_IJSJ_SJ_EEES6_PlJ7is_evenIiEEEE10hipError_tPvRmT3_T4_T5_T6_T7_T9_mT8_P12ihipStream_tbDpT10_ENKUlT_T0_E_clISt17integral_constantIbLb0EES1A_EEDaS15_S16_EUlS15_E_NS1_11comp_targetILNS1_3genE0ELNS1_11target_archE4294967295ELNS1_3gpuE0ELNS1_3repE0EEENS1_30default_config_static_selectorELNS0_4arch9wavefront6targetE1EEEvT1_
		.amdhsa_group_segment_fixed_size 0
		.amdhsa_private_segment_fixed_size 0
		.amdhsa_kernarg_size 120
		.amdhsa_user_sgpr_count 2
		.amdhsa_user_sgpr_dispatch_ptr 0
		.amdhsa_user_sgpr_queue_ptr 0
		.amdhsa_user_sgpr_kernarg_segment_ptr 1
		.amdhsa_user_sgpr_dispatch_id 0
		.amdhsa_user_sgpr_kernarg_preload_length 0
		.amdhsa_user_sgpr_kernarg_preload_offset 0
		.amdhsa_user_sgpr_private_segment_size 0
		.amdhsa_uses_dynamic_stack 0
		.amdhsa_enable_private_segment 0
		.amdhsa_system_sgpr_workgroup_id_x 1
		.amdhsa_system_sgpr_workgroup_id_y 0
		.amdhsa_system_sgpr_workgroup_id_z 0
		.amdhsa_system_sgpr_workgroup_info 0
		.amdhsa_system_vgpr_workitem_id 0
		.amdhsa_next_free_vgpr 1
		.amdhsa_next_free_sgpr 0
		.amdhsa_accum_offset 4
		.amdhsa_reserve_vcc 0
		.amdhsa_float_round_mode_32 0
		.amdhsa_float_round_mode_16_64 0
		.amdhsa_float_denorm_mode_32 3
		.amdhsa_float_denorm_mode_16_64 3
		.amdhsa_dx10_clamp 1
		.amdhsa_ieee_mode 1
		.amdhsa_fp16_overflow 0
		.amdhsa_tg_split 0
		.amdhsa_exception_fp_ieee_invalid_op 0
		.amdhsa_exception_fp_denorm_src 0
		.amdhsa_exception_fp_ieee_div_zero 0
		.amdhsa_exception_fp_ieee_overflow 0
		.amdhsa_exception_fp_ieee_underflow 0
		.amdhsa_exception_fp_ieee_inexact 0
		.amdhsa_exception_int_div_zero 0
	.end_amdhsa_kernel
	.section	.text._ZN7rocprim17ROCPRIM_400000_NS6detail17trampoline_kernelINS0_14default_configENS1_25partition_config_selectorILNS1_17partition_subalgoE3EiNS0_10empty_typeEbEEZZNS1_14partition_implILS5_3ELb0ES3_jN6thrust23THRUST_200600_302600_NS6detail15normal_iteratorINSA_7pointerIiNSA_11hip_rocprim5par_tENSA_11use_defaultESG_EEEEPS6_SJ_NS0_5tupleIJPiSJ_EEENSK_IJSJ_SJ_EEES6_PlJ7is_evenIiEEEE10hipError_tPvRmT3_T4_T5_T6_T7_T9_mT8_P12ihipStream_tbDpT10_ENKUlT_T0_E_clISt17integral_constantIbLb0EES1A_EEDaS15_S16_EUlS15_E_NS1_11comp_targetILNS1_3genE0ELNS1_11target_archE4294967295ELNS1_3gpuE0ELNS1_3repE0EEENS1_30default_config_static_selectorELNS0_4arch9wavefront6targetE1EEEvT1_,"axG",@progbits,_ZN7rocprim17ROCPRIM_400000_NS6detail17trampoline_kernelINS0_14default_configENS1_25partition_config_selectorILNS1_17partition_subalgoE3EiNS0_10empty_typeEbEEZZNS1_14partition_implILS5_3ELb0ES3_jN6thrust23THRUST_200600_302600_NS6detail15normal_iteratorINSA_7pointerIiNSA_11hip_rocprim5par_tENSA_11use_defaultESG_EEEEPS6_SJ_NS0_5tupleIJPiSJ_EEENSK_IJSJ_SJ_EEES6_PlJ7is_evenIiEEEE10hipError_tPvRmT3_T4_T5_T6_T7_T9_mT8_P12ihipStream_tbDpT10_ENKUlT_T0_E_clISt17integral_constantIbLb0EES1A_EEDaS15_S16_EUlS15_E_NS1_11comp_targetILNS1_3genE0ELNS1_11target_archE4294967295ELNS1_3gpuE0ELNS1_3repE0EEENS1_30default_config_static_selectorELNS0_4arch9wavefront6targetE1EEEvT1_,comdat
.Lfunc_end3662:
	.size	_ZN7rocprim17ROCPRIM_400000_NS6detail17trampoline_kernelINS0_14default_configENS1_25partition_config_selectorILNS1_17partition_subalgoE3EiNS0_10empty_typeEbEEZZNS1_14partition_implILS5_3ELb0ES3_jN6thrust23THRUST_200600_302600_NS6detail15normal_iteratorINSA_7pointerIiNSA_11hip_rocprim5par_tENSA_11use_defaultESG_EEEEPS6_SJ_NS0_5tupleIJPiSJ_EEENSK_IJSJ_SJ_EEES6_PlJ7is_evenIiEEEE10hipError_tPvRmT3_T4_T5_T6_T7_T9_mT8_P12ihipStream_tbDpT10_ENKUlT_T0_E_clISt17integral_constantIbLb0EES1A_EEDaS15_S16_EUlS15_E_NS1_11comp_targetILNS1_3genE0ELNS1_11target_archE4294967295ELNS1_3gpuE0ELNS1_3repE0EEENS1_30default_config_static_selectorELNS0_4arch9wavefront6targetE1EEEvT1_, .Lfunc_end3662-_ZN7rocprim17ROCPRIM_400000_NS6detail17trampoline_kernelINS0_14default_configENS1_25partition_config_selectorILNS1_17partition_subalgoE3EiNS0_10empty_typeEbEEZZNS1_14partition_implILS5_3ELb0ES3_jN6thrust23THRUST_200600_302600_NS6detail15normal_iteratorINSA_7pointerIiNSA_11hip_rocprim5par_tENSA_11use_defaultESG_EEEEPS6_SJ_NS0_5tupleIJPiSJ_EEENSK_IJSJ_SJ_EEES6_PlJ7is_evenIiEEEE10hipError_tPvRmT3_T4_T5_T6_T7_T9_mT8_P12ihipStream_tbDpT10_ENKUlT_T0_E_clISt17integral_constantIbLb0EES1A_EEDaS15_S16_EUlS15_E_NS1_11comp_targetILNS1_3genE0ELNS1_11target_archE4294967295ELNS1_3gpuE0ELNS1_3repE0EEENS1_30default_config_static_selectorELNS0_4arch9wavefront6targetE1EEEvT1_
                                        ; -- End function
	.section	.AMDGPU.csdata,"",@progbits
; Kernel info:
; codeLenInByte = 0
; NumSgprs: 6
; NumVgprs: 0
; NumAgprs: 0
; TotalNumVgprs: 0
; ScratchSize: 0
; MemoryBound: 0
; FloatMode: 240
; IeeeMode: 1
; LDSByteSize: 0 bytes/workgroup (compile time only)
; SGPRBlocks: 0
; VGPRBlocks: 0
; NumSGPRsForWavesPerEU: 6
; NumVGPRsForWavesPerEU: 1
; AccumOffset: 4
; Occupancy: 8
; WaveLimiterHint : 0
; COMPUTE_PGM_RSRC2:SCRATCH_EN: 0
; COMPUTE_PGM_RSRC2:USER_SGPR: 2
; COMPUTE_PGM_RSRC2:TRAP_HANDLER: 0
; COMPUTE_PGM_RSRC2:TGID_X_EN: 1
; COMPUTE_PGM_RSRC2:TGID_Y_EN: 0
; COMPUTE_PGM_RSRC2:TGID_Z_EN: 0
; COMPUTE_PGM_RSRC2:TIDIG_COMP_CNT: 0
; COMPUTE_PGM_RSRC3_GFX90A:ACCUM_OFFSET: 0
; COMPUTE_PGM_RSRC3_GFX90A:TG_SPLIT: 0
	.section	.text._ZN7rocprim17ROCPRIM_400000_NS6detail17trampoline_kernelINS0_14default_configENS1_25partition_config_selectorILNS1_17partition_subalgoE3EiNS0_10empty_typeEbEEZZNS1_14partition_implILS5_3ELb0ES3_jN6thrust23THRUST_200600_302600_NS6detail15normal_iteratorINSA_7pointerIiNSA_11hip_rocprim5par_tENSA_11use_defaultESG_EEEEPS6_SJ_NS0_5tupleIJPiSJ_EEENSK_IJSJ_SJ_EEES6_PlJ7is_evenIiEEEE10hipError_tPvRmT3_T4_T5_T6_T7_T9_mT8_P12ihipStream_tbDpT10_ENKUlT_T0_E_clISt17integral_constantIbLb0EES1A_EEDaS15_S16_EUlS15_E_NS1_11comp_targetILNS1_3genE5ELNS1_11target_archE942ELNS1_3gpuE9ELNS1_3repE0EEENS1_30default_config_static_selectorELNS0_4arch9wavefront6targetE1EEEvT1_,"axG",@progbits,_ZN7rocprim17ROCPRIM_400000_NS6detail17trampoline_kernelINS0_14default_configENS1_25partition_config_selectorILNS1_17partition_subalgoE3EiNS0_10empty_typeEbEEZZNS1_14partition_implILS5_3ELb0ES3_jN6thrust23THRUST_200600_302600_NS6detail15normal_iteratorINSA_7pointerIiNSA_11hip_rocprim5par_tENSA_11use_defaultESG_EEEEPS6_SJ_NS0_5tupleIJPiSJ_EEENSK_IJSJ_SJ_EEES6_PlJ7is_evenIiEEEE10hipError_tPvRmT3_T4_T5_T6_T7_T9_mT8_P12ihipStream_tbDpT10_ENKUlT_T0_E_clISt17integral_constantIbLb0EES1A_EEDaS15_S16_EUlS15_E_NS1_11comp_targetILNS1_3genE5ELNS1_11target_archE942ELNS1_3gpuE9ELNS1_3repE0EEENS1_30default_config_static_selectorELNS0_4arch9wavefront6targetE1EEEvT1_,comdat
	.protected	_ZN7rocprim17ROCPRIM_400000_NS6detail17trampoline_kernelINS0_14default_configENS1_25partition_config_selectorILNS1_17partition_subalgoE3EiNS0_10empty_typeEbEEZZNS1_14partition_implILS5_3ELb0ES3_jN6thrust23THRUST_200600_302600_NS6detail15normal_iteratorINSA_7pointerIiNSA_11hip_rocprim5par_tENSA_11use_defaultESG_EEEEPS6_SJ_NS0_5tupleIJPiSJ_EEENSK_IJSJ_SJ_EEES6_PlJ7is_evenIiEEEE10hipError_tPvRmT3_T4_T5_T6_T7_T9_mT8_P12ihipStream_tbDpT10_ENKUlT_T0_E_clISt17integral_constantIbLb0EES1A_EEDaS15_S16_EUlS15_E_NS1_11comp_targetILNS1_3genE5ELNS1_11target_archE942ELNS1_3gpuE9ELNS1_3repE0EEENS1_30default_config_static_selectorELNS0_4arch9wavefront6targetE1EEEvT1_ ; -- Begin function _ZN7rocprim17ROCPRIM_400000_NS6detail17trampoline_kernelINS0_14default_configENS1_25partition_config_selectorILNS1_17partition_subalgoE3EiNS0_10empty_typeEbEEZZNS1_14partition_implILS5_3ELb0ES3_jN6thrust23THRUST_200600_302600_NS6detail15normal_iteratorINSA_7pointerIiNSA_11hip_rocprim5par_tENSA_11use_defaultESG_EEEEPS6_SJ_NS0_5tupleIJPiSJ_EEENSK_IJSJ_SJ_EEES6_PlJ7is_evenIiEEEE10hipError_tPvRmT3_T4_T5_T6_T7_T9_mT8_P12ihipStream_tbDpT10_ENKUlT_T0_E_clISt17integral_constantIbLb0EES1A_EEDaS15_S16_EUlS15_E_NS1_11comp_targetILNS1_3genE5ELNS1_11target_archE942ELNS1_3gpuE9ELNS1_3repE0EEENS1_30default_config_static_selectorELNS0_4arch9wavefront6targetE1EEEvT1_
	.globl	_ZN7rocprim17ROCPRIM_400000_NS6detail17trampoline_kernelINS0_14default_configENS1_25partition_config_selectorILNS1_17partition_subalgoE3EiNS0_10empty_typeEbEEZZNS1_14partition_implILS5_3ELb0ES3_jN6thrust23THRUST_200600_302600_NS6detail15normal_iteratorINSA_7pointerIiNSA_11hip_rocprim5par_tENSA_11use_defaultESG_EEEEPS6_SJ_NS0_5tupleIJPiSJ_EEENSK_IJSJ_SJ_EEES6_PlJ7is_evenIiEEEE10hipError_tPvRmT3_T4_T5_T6_T7_T9_mT8_P12ihipStream_tbDpT10_ENKUlT_T0_E_clISt17integral_constantIbLb0EES1A_EEDaS15_S16_EUlS15_E_NS1_11comp_targetILNS1_3genE5ELNS1_11target_archE942ELNS1_3gpuE9ELNS1_3repE0EEENS1_30default_config_static_selectorELNS0_4arch9wavefront6targetE1EEEvT1_
	.p2align	8
	.type	_ZN7rocprim17ROCPRIM_400000_NS6detail17trampoline_kernelINS0_14default_configENS1_25partition_config_selectorILNS1_17partition_subalgoE3EiNS0_10empty_typeEbEEZZNS1_14partition_implILS5_3ELb0ES3_jN6thrust23THRUST_200600_302600_NS6detail15normal_iteratorINSA_7pointerIiNSA_11hip_rocprim5par_tENSA_11use_defaultESG_EEEEPS6_SJ_NS0_5tupleIJPiSJ_EEENSK_IJSJ_SJ_EEES6_PlJ7is_evenIiEEEE10hipError_tPvRmT3_T4_T5_T6_T7_T9_mT8_P12ihipStream_tbDpT10_ENKUlT_T0_E_clISt17integral_constantIbLb0EES1A_EEDaS15_S16_EUlS15_E_NS1_11comp_targetILNS1_3genE5ELNS1_11target_archE942ELNS1_3gpuE9ELNS1_3repE0EEENS1_30default_config_static_selectorELNS0_4arch9wavefront6targetE1EEEvT1_,@function
_ZN7rocprim17ROCPRIM_400000_NS6detail17trampoline_kernelINS0_14default_configENS1_25partition_config_selectorILNS1_17partition_subalgoE3EiNS0_10empty_typeEbEEZZNS1_14partition_implILS5_3ELb0ES3_jN6thrust23THRUST_200600_302600_NS6detail15normal_iteratorINSA_7pointerIiNSA_11hip_rocprim5par_tENSA_11use_defaultESG_EEEEPS6_SJ_NS0_5tupleIJPiSJ_EEENSK_IJSJ_SJ_EEES6_PlJ7is_evenIiEEEE10hipError_tPvRmT3_T4_T5_T6_T7_T9_mT8_P12ihipStream_tbDpT10_ENKUlT_T0_E_clISt17integral_constantIbLb0EES1A_EEDaS15_S16_EUlS15_E_NS1_11comp_targetILNS1_3genE5ELNS1_11target_archE942ELNS1_3gpuE9ELNS1_3repE0EEENS1_30default_config_static_selectorELNS0_4arch9wavefront6targetE1EEEvT1_: ; @_ZN7rocprim17ROCPRIM_400000_NS6detail17trampoline_kernelINS0_14default_configENS1_25partition_config_selectorILNS1_17partition_subalgoE3EiNS0_10empty_typeEbEEZZNS1_14partition_implILS5_3ELb0ES3_jN6thrust23THRUST_200600_302600_NS6detail15normal_iteratorINSA_7pointerIiNSA_11hip_rocprim5par_tENSA_11use_defaultESG_EEEEPS6_SJ_NS0_5tupleIJPiSJ_EEENSK_IJSJ_SJ_EEES6_PlJ7is_evenIiEEEE10hipError_tPvRmT3_T4_T5_T6_T7_T9_mT8_P12ihipStream_tbDpT10_ENKUlT_T0_E_clISt17integral_constantIbLb0EES1A_EEDaS15_S16_EUlS15_E_NS1_11comp_targetILNS1_3genE5ELNS1_11target_archE942ELNS1_3gpuE9ELNS1_3repE0EEENS1_30default_config_static_selectorELNS0_4arch9wavefront6targetE1EEEvT1_
; %bb.0:
	s_load_dwordx4 s[20:23], s[0:1], 0x8
	s_load_dwordx4 s[24:27], s[0:1], 0x48
	s_load_dwordx2 s[28:29], s[0:1], 0x58
	s_load_dword s3, s[0:1], 0x70
	s_mul_i32 s30, s2, 0x1e00
	s_waitcnt lgkmcnt(0)
	s_lshl_b64 s[4:5], s[22:23], 2
	s_add_u32 s8, s20, s4
	s_addc_u32 s9, s21, s5
	s_add_i32 s6, s3, -1
	s_mulk_i32 s3, 0x1e00
	s_add_i32 s4, s3, s22
	s_sub_i32 s33, s28, s4
	s_addk_i32 s33, 0x1e00
	s_add_u32 s4, s22, s3
	s_addc_u32 s5, s23, 0
	s_cmp_eq_u32 s2, s6
	s_load_dwordx2 s[34:35], s[26:27], 0x0
	v_mov_b64_e32 v[2:3], s[28:29]
	s_cselect_b64 s[26:27], -1, 0
	s_cmp_lg_u32 s2, s6
	s_mov_b32 s31, 0
	v_cmp_lt_u64_e32 vcc, s[4:5], v[2:3]
	s_cselect_b64 s[4:5], -1, 0
	s_or_b64 s[6:7], s[4:5], vcc
	s_lshl_b64 s[4:5], s[30:31], 2
	s_add_u32 s8, s8, s4
	s_addc_u32 s9, s9, s5
	s_mov_b64 s[4:5], -1
	s_and_b64 vcc, exec, s[6:7]
	v_lshlrev_b32_e32 v18, 2, v0
	s_cbranch_vccz .LBB3663_2
; %bb.1:
	v_mov_b32_e32 v19, 0
	v_lshl_add_u64 v[2:3], s[8:9], 0, v[18:19]
	v_add_co_u32_e32 v4, vcc, 0x1000, v2
	s_mov_b64 s[4:5], 0
	s_nop 0
	v_addc_co_u32_e32 v5, vcc, 0, v3, vcc
	v_add_co_u32_e32 v6, vcc, 0x2000, v2
	s_nop 1
	v_addc_co_u32_e32 v7, vcc, 0, v3, vcc
	v_add_co_u32_e32 v8, vcc, 0x3000, v2
	s_nop 1
	v_addc_co_u32_e32 v9, vcc, 0, v3, vcc
	flat_load_dword v1, v[2:3]
	flat_load_dword v10, v[2:3] offset:2048
	flat_load_dword v11, v[4:5]
	flat_load_dword v12, v[4:5] offset:2048
	;; [unrolled: 2-line block ×4, first 2 shown]
	v_add_co_u32_e32 v4, vcc, 0x4000, v2
	s_nop 1
	v_addc_co_u32_e32 v5, vcc, 0, v3, vcc
	v_add_co_u32_e32 v6, vcc, 0x5000, v2
	s_nop 1
	v_addc_co_u32_e32 v7, vcc, 0, v3, vcc
	;; [unrolled: 3-line block ×4, first 2 shown]
	flat_load_dword v17, v[4:5]
	flat_load_dword v19, v[4:5] offset:2048
	flat_load_dword v20, v[6:7]
	flat_load_dword v21, v[6:7] offset:2048
	;; [unrolled: 2-line block ×3, first 2 shown]
	flat_load_dword v24, v[2:3]
	s_waitcnt vmcnt(0) lgkmcnt(0)
	ds_write2st64_b32 v18, v1, v10 offset1:8
	ds_write2st64_b32 v18, v11, v12 offset0:16 offset1:24
	ds_write2st64_b32 v18, v13, v14 offset0:32 offset1:40
	;; [unrolled: 1-line block ×6, first 2 shown]
	ds_write_b32 v18, v24 offset:28672
	s_waitcnt lgkmcnt(0)
	s_barrier
.LBB3663_2:
	s_andn2_b64 vcc, exec, s[4:5]
	v_cmp_gt_u32_e64 s[4:5], s33, v0
	s_cbranch_vccnz .LBB3663_34
; %bb.3:
                                        ; implicit-def: $vgpr2_vgpr3_vgpr4_vgpr5_vgpr6_vgpr7_vgpr8_vgpr9_vgpr10_vgpr11_vgpr12_vgpr13_vgpr14_vgpr15_vgpr16_vgpr17
	s_and_saveexec_b64 s[10:11], s[4:5]
	s_cbranch_execz .LBB3663_5
; %bb.4:
	v_mov_b32_e32 v19, 0
	v_lshl_add_u64 v[2:3], s[8:9], 0, v[18:19]
	flat_load_dword v2, v[2:3]
.LBB3663_5:
	s_or_b64 exec, exec, s[10:11]
	v_or_b32_e32 v1, 0x200, v0
	v_cmp_gt_u32_e32 vcc, s33, v1
	s_and_saveexec_b64 s[4:5], vcc
	s_cbranch_execz .LBB3663_7
; %bb.6:
	v_mov_b32_e32 v19, 0
	v_lshl_add_u64 v[20:21], s[8:9], 0, v[18:19]
	flat_load_dword v3, v[20:21] offset:2048
.LBB3663_7:
	s_or_b64 exec, exec, s[4:5]
	v_or_b32_e32 v1, 0x400, v0
	v_cmp_gt_u32_e32 vcc, s33, v1
	s_and_saveexec_b64 s[4:5], vcc
	s_cbranch_execz .LBB3663_9
; %bb.8:
	v_lshlrev_b32_e32 v20, 2, v1
	v_mov_b32_e32 v21, 0
	v_lshl_add_u64 v[20:21], s[8:9], 0, v[20:21]
	flat_load_dword v4, v[20:21]
.LBB3663_9:
	s_or_b64 exec, exec, s[4:5]
	v_or_b32_e32 v1, 0x600, v0
	v_cmp_gt_u32_e32 vcc, s33, v1
	s_and_saveexec_b64 s[4:5], vcc
	s_cbranch_execz .LBB3663_11
; %bb.10:
	v_lshlrev_b32_e32 v20, 2, v1
	v_mov_b32_e32 v21, 0
	v_lshl_add_u64 v[20:21], s[8:9], 0, v[20:21]
	flat_load_dword v5, v[20:21]
.LBB3663_11:
	;; [unrolled: 11-line block ×13, first 2 shown]
	s_or_b64 exec, exec, s[4:5]
	s_waitcnt vmcnt(0) lgkmcnt(0)
	ds_write2st64_b32 v18, v2, v3 offset1:8
	ds_write2st64_b32 v18, v4, v5 offset0:16 offset1:24
	ds_write2st64_b32 v18, v6, v7 offset0:32 offset1:40
	ds_write2st64_b32 v18, v8, v9 offset0:48 offset1:56
	ds_write2st64_b32 v18, v10, v11 offset0:64 offset1:72
	ds_write2st64_b32 v18, v12, v13 offset0:80 offset1:88
	ds_write2st64_b32 v18, v14, v15 offset0:96 offset1:104
	ds_write_b32 v18, v16 offset:28672
	s_waitcnt lgkmcnt(0)
	s_barrier
.LBB3663_34:
	v_mul_u32_u24_e32 v37, 15, v0
	v_lshlrev_b32_e32 v1, 2, v37
	s_waitcnt lgkmcnt(0)
	ds_read2_b32 v[34:35], v1 offset1:1
	ds_read2_b32 v[32:33], v1 offset0:2 offset1:3
	ds_read2_b32 v[30:31], v1 offset0:4 offset1:5
	;; [unrolled: 1-line block ×6, first 2 shown]
	ds_read_b32 v1, v1 offset:56
	v_cndmask_b32_e64 v2, 0, 1, s[6:7]
	v_cmp_ne_u32_e64 s[20:21], 1, v2
	s_andn2_b64 vcc, exec, s[6:7]
	s_waitcnt lgkmcnt(7)
	v_xor_b32_e32 v16, -1, v34
	v_xor_b32_e32 v15, -1, v35
	s_waitcnt lgkmcnt(6)
	v_xor_b32_e32 v14, -1, v32
	v_xor_b32_e32 v13, -1, v33
	;; [unrolled: 3-line block ×7, first 2 shown]
	s_waitcnt lgkmcnt(0)
	v_xor_b32_e32 v2, -1, v1
	s_barrier
	s_cbranch_vccnz .LBB3663_36
; %bb.35:
	v_and_b32_e32 v50, 1, v16
	v_and_b32_e32 v49, 1, v15
	;; [unrolled: 1-line block ×15, first 2 shown]
	s_load_dwordx2 s[36:37], s[0:1], 0x68
	s_cbranch_execz .LBB3663_37
	s_branch .LBB3663_38
.LBB3663_36:
                                        ; implicit-def: $vgpr19
                                        ; implicit-def: $vgpr36
                                        ; implicit-def: $vgpr38
                                        ; implicit-def: $vgpr39
                                        ; implicit-def: $vgpr40
                                        ; implicit-def: $vgpr41
                                        ; implicit-def: $vgpr42
                                        ; implicit-def: $vgpr43
                                        ; implicit-def: $vgpr44
                                        ; implicit-def: $vgpr50
                                        ; implicit-def: $vgpr49
                                        ; implicit-def: $vgpr48
                                        ; implicit-def: $vgpr47
                                        ; implicit-def: $vgpr46
                                        ; implicit-def: $vgpr45
	s_load_dwordx2 s[36:37], s[0:1], 0x68
.LBB3663_37:
	v_add_u32_e32 v44, 1, v37
	v_cmp_gt_u32_e32 vcc, s33, v37
	v_add_u32_e32 v17, 2, v37
	v_add_u32_e32 v43, 3, v37
	v_cndmask_b32_e64 v45, 0, 1, vcc
	v_cmp_gt_u32_e32 vcc, s33, v44
	v_and_b32_e32 v50, v45, v16
	v_add_u32_e32 v19, 4, v37
	v_cndmask_b32_e64 v16, 0, 1, vcc
	v_cmp_gt_u32_e32 vcc, s33, v17
	v_and_b32_e32 v49, v16, v15
	;; [unrolled: 4-line block ×12, first 2 shown]
	s_nop 0
	v_cndmask_b32_e64 v5, 0, 1, vcc
	v_cmp_gt_u32_e32 vcc, s33, v52
	v_and_b32_e32 v38, v5, v4
	s_nop 0
	v_cndmask_b32_e64 v4, 0, 1, vcc
	v_cmp_gt_u32_e32 vcc, s33, v51
	v_and_b32_e32 v36, v4, v3
	s_nop 0
	v_cndmask_b32_e64 v3, 0, 1, vcc
	v_and_b32_e32 v19, v3, v2
.LBB3663_38:
	v_and_b32_e32 v55, 0xff, v47
	v_and_b32_e32 v56, 0xff, v46
	v_and_b32_e32 v57, 0xff, v45
	v_and_b32_e32 v53, 0xff, v49
	v_and_b32_e32 v54, 0xff, v48
	v_add3_u32 v3, v56, v57, v55
	v_and_b32_e32 v51, 0xff, v50
	v_and_b32_e32 v58, 0xff, v44
	v_add3_u32 v3, v3, v54, v53
	v_and_b32_e32 v59, 0xff, v43
	v_and_b32_e32 v60, 0xff, v42
	;; [unrolled: 3-line block ×5, first 2 shown]
	v_add3_u32 v3, v3, v63, v64
	v_add3_u32 v68, v3, v65, v2
	v_mbcnt_lo_u32_b32 v2, -1, 0
	v_mbcnt_hi_u32_b32 v66, -1, v2
	v_and_b32_e32 v2, 15, v66
	v_cmp_eq_u32_e64 s[16:17], 0, v2
	v_cmp_lt_u32_e64 s[14:15], 1, v2
	v_cmp_lt_u32_e64 s[12:13], 3, v2
	;; [unrolled: 1-line block ×3, first 2 shown]
	v_and_b32_e32 v2, 16, v66
	v_cmp_eq_u32_e64 s[8:9], 0, v2
	v_or_b32_e32 v2, 63, v0
	s_cmp_lg_u32 s2, 0
	v_cmp_lt_u32_e64 s[4:5], 31, v66
	v_lshrrev_b32_e32 v67, 6, v0
	v_cmp_eq_u32_e64 s[6:7], v2, v0
	s_cbranch_scc0 .LBB3663_65
; %bb.39:
	v_mov_b32_dpp v2, v68 row_shr:1 row_mask:0xf bank_mask:0xf
	v_cndmask_b32_e64 v2, v2, 0, s[16:17]
	v_add_u32_e32 v2, v2, v68
	s_nop 1
	v_mov_b32_dpp v3, v2 row_shr:2 row_mask:0xf bank_mask:0xf
	v_cndmask_b32_e64 v3, 0, v3, s[14:15]
	v_add_u32_e32 v2, v2, v3
	s_nop 1
	;; [unrolled: 4-line block ×4, first 2 shown]
	v_mov_b32_dpp v3, v2 row_bcast:15 row_mask:0xf bank_mask:0xf
	v_cndmask_b32_e64 v3, v3, 0, s[8:9]
	v_add_u32_e32 v2, v2, v3
	s_nop 1
	v_mov_b32_dpp v3, v2 row_bcast:31 row_mask:0xf bank_mask:0xf
	v_cndmask_b32_e64 v3, 0, v3, s[4:5]
	v_add_u32_e32 v2, v2, v3
	s_and_saveexec_b64 s[18:19], s[6:7]
	s_cbranch_execz .LBB3663_41
; %bb.40:
	v_lshlrev_b32_e32 v3, 2, v67
	ds_write_b32 v3, v2
.LBB3663_41:
	s_or_b64 exec, exec, s[18:19]
	v_cmp_gt_u32_e32 vcc, 8, v0
	s_waitcnt lgkmcnt(0)
	s_barrier
	s_and_saveexec_b64 s[18:19], vcc
	s_cbranch_execz .LBB3663_43
; %bb.42:
	ds_read_b32 v3, v18
	v_and_b32_e32 v4, 7, v66
	v_cmp_ne_u32_e32 vcc, 0, v4
	s_waitcnt lgkmcnt(0)
	v_mov_b32_dpp v5, v3 row_shr:1 row_mask:0xf bank_mask:0xf
	v_cndmask_b32_e32 v5, 0, v5, vcc
	v_add_u32_e32 v3, v5, v3
	v_cmp_lt_u32_e32 vcc, 1, v4
	s_nop 0
	v_mov_b32_dpp v5, v3 row_shr:2 row_mask:0xf bank_mask:0xf
	v_cndmask_b32_e32 v5, 0, v5, vcc
	v_add_u32_e32 v3, v3, v5
	v_cmp_lt_u32_e32 vcc, 3, v4
	s_nop 0
	v_mov_b32_dpp v5, v3 row_shr:4 row_mask:0xf bank_mask:0xf
	v_cndmask_b32_e32 v4, 0, v5, vcc
	v_add_u32_e32 v3, v3, v4
	ds_write_b32 v18, v3
.LBB3663_43:
	s_or_b64 exec, exec, s[18:19]
	v_cmp_gt_u32_e32 vcc, 64, v0
	v_cmp_lt_u32_e64 s[18:19], 63, v0
	s_waitcnt lgkmcnt(0)
	s_barrier
	s_waitcnt lgkmcnt(0)
                                        ; implicit-def: $vgpr12
	s_and_saveexec_b64 s[38:39], s[18:19]
	s_cbranch_execz .LBB3663_45
; %bb.44:
	v_lshl_add_u32 v3, v67, 2, -4
	ds_read_b32 v12, v3
	s_waitcnt lgkmcnt(0)
	v_add_u32_e32 v2, v12, v2
.LBB3663_45:
	s_or_b64 exec, exec, s[38:39]
	v_add_u32_e32 v3, -1, v66
	v_and_b32_e32 v4, 64, v66
	v_cmp_lt_i32_e64 s[18:19], v3, v4
	s_nop 1
	v_cndmask_b32_e64 v3, v3, v66, s[18:19]
	v_lshlrev_b32_e32 v3, 2, v3
	ds_bpermute_b32 v13, v3, v2
	v_cmp_eq_u32_e64 s[18:19], 0, v66
	s_and_saveexec_b64 s[38:39], vcc
	s_cbranch_execz .LBB3663_64
; %bb.46:
	v_mov_b32_e32 v9, 0
	ds_read_b32 v2, v9 offset:28
	s_and_saveexec_b64 s[40:41], s[18:19]
	s_cbranch_execz .LBB3663_48
; %bb.47:
	s_add_i32 s42, s2, 64
	s_mov_b32 s43, 0
	s_lshl_b64 s[42:43], s[42:43], 3
	s_add_u32 s42, s36, s42
	v_mov_b32_e32 v3, 1
	s_addc_u32 s43, s37, s43
	s_waitcnt lgkmcnt(0)
	global_store_dwordx2 v9, v[2:3], s[42:43] sc1
.LBB3663_48:
	s_or_b64 exec, exec, s[40:41]
	v_xad_u32 v4, v66, -1, s2
	v_add_u32_e32 v8, 64, v4
	v_lshl_add_u64 v[10:11], v[8:9], 3, s[36:37]
	global_load_dwordx2 v[6:7], v[10:11], off sc1
	s_waitcnt vmcnt(0)
	v_cmp_eq_u16_sdwa s[42:43], v7, v9 src0_sel:BYTE_0 src1_sel:DWORD
	s_and_saveexec_b64 s[40:41], s[42:43]
	s_cbranch_execz .LBB3663_52
; %bb.49:
	s_mov_b64 s[42:43], 0
	v_mov_b32_e32 v3, 0
.LBB3663_50:                            ; =>This Inner Loop Header: Depth=1
	global_load_dwordx2 v[6:7], v[10:11], off sc1
	s_waitcnt vmcnt(0)
	v_cmp_ne_u16_sdwa s[44:45], v7, v3 src0_sel:BYTE_0 src1_sel:DWORD
	s_or_b64 s[42:43], s[44:45], s[42:43]
	s_andn2_b64 exec, exec, s[42:43]
	s_cbranch_execnz .LBB3663_50
; %bb.51:
	s_or_b64 exec, exec, s[42:43]
.LBB3663_52:
	s_or_b64 exec, exec, s[40:41]
	v_and_b32_e32 v15, 63, v66
	v_mov_b32_e32 v14, 2
	v_cmp_ne_u32_e32 vcc, 63, v15
	v_cmp_eq_u16_sdwa s[40:41], v7, v14 src0_sel:BYTE_0 src1_sel:DWORD
	v_lshlrev_b64 v[8:9], v66, -1
	v_addc_co_u32_e32 v10, vcc, 0, v66, vcc
	v_and_b32_e32 v3, s41, v9
	v_lshlrev_b32_e32 v16, 2, v10
	v_or_b32_e32 v3, 0x80000000, v3
	ds_bpermute_b32 v10, v16, v6
	v_and_b32_e32 v5, s40, v8
	v_ffbl_b32_e32 v3, v3
	v_add_u32_e32 v3, 32, v3
	v_ffbl_b32_e32 v5, v5
	v_min_u32_e32 v3, v5, v3
	v_cmp_lt_u32_e32 vcc, v15, v3
	v_add_u32_e32 v20, 2, v15
	v_add_u32_e32 v52, 4, v15
	s_waitcnt lgkmcnt(0)
	v_cndmask_b32_e32 v5, 0, v10, vcc
	v_cmp_gt_u32_e32 vcc, 62, v15
	v_add_u32_e32 v5, v5, v6
	v_add_u32_e32 v70, 8, v15
	v_cndmask_b32_e64 v6, 0, 1, vcc
	v_lshlrev_b32_e32 v6, 1, v6
	v_add_lshl_u32 v17, v6, v66, 2
	ds_bpermute_b32 v6, v17, v5
	v_cmp_le_u32_e32 vcc, v20, v3
	v_add_u32_e32 v72, 16, v15
	v_add_u32_e32 v74, 32, v15
	s_waitcnt lgkmcnt(0)
	v_cndmask_b32_e32 v6, 0, v6, vcc
	v_cmp_gt_u32_e32 vcc, 60, v15
	v_add_u32_e32 v5, v5, v6
	s_nop 0
	v_cndmask_b32_e64 v6, 0, 1, vcc
	v_lshlrev_b32_e32 v6, 2, v6
	v_add_lshl_u32 v21, v6, v66, 2
	ds_bpermute_b32 v6, v21, v5
	v_cmp_le_u32_e32 vcc, v52, v3
	s_waitcnt lgkmcnt(0)
	s_nop 0
	v_cndmask_b32_e32 v6, 0, v6, vcc
	v_cmp_gt_u32_e32 vcc, 56, v15
	v_add_u32_e32 v5, v5, v6
	s_nop 0
	v_cndmask_b32_e64 v6, 0, 1, vcc
	v_lshlrev_b32_e32 v6, 3, v6
	v_add_lshl_u32 v69, v6, v66, 2
	ds_bpermute_b32 v6, v69, v5
	v_cmp_le_u32_e32 vcc, v70, v3
	s_waitcnt lgkmcnt(0)
	s_nop 0
	v_cndmask_b32_e32 v6, 0, v6, vcc
	v_cmp_gt_u32_e32 vcc, 48, v15
	v_add_u32_e32 v5, v5, v6
	s_nop 0
	v_cndmask_b32_e64 v6, 0, 1, vcc
	v_lshlrev_b32_e32 v6, 4, v6
	v_add_lshl_u32 v71, v6, v66, 2
	ds_bpermute_b32 v6, v71, v5
	v_cmp_le_u32_e32 vcc, v72, v3
	s_waitcnt lgkmcnt(0)
	s_nop 0
	v_cndmask_b32_e32 v6, 0, v6, vcc
	v_cmp_gt_u32_e32 vcc, 32, v15
	v_add_u32_e32 v5, v5, v6
	s_nop 0
	v_cndmask_b32_e64 v6, 0, 1, vcc
	v_lshlrev_b32_e32 v6, 5, v6
	v_add_lshl_u32 v73, v6, v66, 2
	ds_bpermute_b32 v6, v73, v5
	v_cmp_le_u32_e32 vcc, v74, v3
	s_waitcnt lgkmcnt(0)
	s_nop 0
	v_cndmask_b32_e32 v3, 0, v6, vcc
	v_add_u32_e32 v6, v5, v3
	v_mov_b32_e32 v5, 0
	s_branch .LBB3663_54
.LBB3663_53:                            ;   in Loop: Header=BB3663_54 Depth=1
	s_or_b64 exec, exec, s[40:41]
	v_cmp_eq_u16_sdwa s[40:41], v7, v14 src0_sel:BYTE_0 src1_sel:DWORD
	ds_bpermute_b32 v75, v16, v6
	v_subrev_u32_e32 v4, 64, v4
	v_and_b32_e32 v10, s41, v9
	v_or_b32_e32 v10, 0x80000000, v10
	v_and_b32_e32 v11, s40, v8
	v_ffbl_b32_e32 v10, v10
	v_add_u32_e32 v10, 32, v10
	v_ffbl_b32_e32 v11, v11
	v_min_u32_e32 v10, v11, v10
	v_cmp_lt_u32_e32 vcc, v15, v10
	s_waitcnt lgkmcnt(0)
	s_nop 0
	v_cndmask_b32_e32 v11, 0, v75, vcc
	v_add_u32_e32 v6, v11, v6
	ds_bpermute_b32 v11, v17, v6
	v_cmp_le_u32_e32 vcc, v20, v10
	s_waitcnt lgkmcnt(0)
	s_nop 0
	v_cndmask_b32_e32 v11, 0, v11, vcc
	v_add_u32_e32 v6, v6, v11
	ds_bpermute_b32 v11, v21, v6
	v_cmp_le_u32_e32 vcc, v52, v10
	s_waitcnt lgkmcnt(0)
	s_nop 0
	v_cndmask_b32_e32 v11, 0, v11, vcc
	v_add_u32_e32 v6, v6, v11
	ds_bpermute_b32 v11, v69, v6
	v_cmp_le_u32_e32 vcc, v70, v10
	s_waitcnt lgkmcnt(0)
	s_nop 0
	v_cndmask_b32_e32 v11, 0, v11, vcc
	v_add_u32_e32 v6, v6, v11
	ds_bpermute_b32 v11, v71, v6
	v_cmp_le_u32_e32 vcc, v72, v10
	s_waitcnt lgkmcnt(0)
	s_nop 0
	v_cndmask_b32_e32 v11, 0, v11, vcc
	v_add_u32_e32 v6, v6, v11
	ds_bpermute_b32 v11, v73, v6
	v_cmp_le_u32_e32 vcc, v74, v10
	s_waitcnt lgkmcnt(0)
	s_nop 0
	v_cndmask_b32_e32 v10, 0, v11, vcc
	v_add3_u32 v6, v10, v3, v6
.LBB3663_54:                            ; =>This Loop Header: Depth=1
                                        ;     Child Loop BB3663_57 Depth 2
	v_cmp_ne_u16_sdwa s[40:41], v7, v14 src0_sel:BYTE_0 src1_sel:DWORD
	s_nop 1
	v_cndmask_b32_e64 v3, 0, 1, s[40:41]
	;;#ASMSTART
	;;#ASMEND
	s_nop 0
	v_cmp_ne_u32_e32 vcc, 0, v3
	s_cmp_lg_u64 vcc, exec
	v_mov_b32_e32 v3, v6
	s_cbranch_scc1 .LBB3663_59
; %bb.55:                               ;   in Loop: Header=BB3663_54 Depth=1
	v_lshl_add_u64 v[10:11], v[4:5], 3, s[36:37]
	global_load_dwordx2 v[6:7], v[10:11], off sc1
	s_waitcnt vmcnt(0)
	v_cmp_eq_u16_sdwa s[42:43], v7, v5 src0_sel:BYTE_0 src1_sel:DWORD
	s_and_saveexec_b64 s[40:41], s[42:43]
	s_cbranch_execz .LBB3663_53
; %bb.56:                               ;   in Loop: Header=BB3663_54 Depth=1
	s_mov_b64 s[42:43], 0
.LBB3663_57:                            ;   Parent Loop BB3663_54 Depth=1
                                        ; =>  This Inner Loop Header: Depth=2
	global_load_dwordx2 v[6:7], v[10:11], off sc1
	s_waitcnt vmcnt(0)
	v_cmp_ne_u16_sdwa s[44:45], v7, v5 src0_sel:BYTE_0 src1_sel:DWORD
	s_or_b64 s[42:43], s[44:45], s[42:43]
	s_andn2_b64 exec, exec, s[42:43]
	s_cbranch_execnz .LBB3663_57
; %bb.58:                               ;   in Loop: Header=BB3663_54 Depth=1
	s_or_b64 exec, exec, s[42:43]
	s_branch .LBB3663_53
.LBB3663_59:                            ;   in Loop: Header=BB3663_54 Depth=1
                                        ; implicit-def: $vgpr6
                                        ; implicit-def: $vgpr7
	s_cbranch_execz .LBB3663_54
; %bb.60:
	s_and_saveexec_b64 s[40:41], s[18:19]
	s_cbranch_execz .LBB3663_62
; %bb.61:
	s_add_i32 s2, s2, 64
	s_mov_b32 s3, 0
	s_lshl_b64 s[2:3], s[2:3], 3
	s_add_u32 s2, s36, s2
	v_add_u32_e32 v4, v3, v2
	v_mov_b32_e32 v5, 2
	s_addc_u32 s3, s37, s3
	v_mov_b32_e32 v6, 0
	global_store_dwordx2 v6, v[4:5], s[2:3] sc1
	ds_write_b64 v6, v[2:3] offset:30720
.LBB3663_62:
	s_or_b64 exec, exec, s[40:41]
	v_cmp_eq_u32_e32 vcc, 0, v0
	s_and_b64 exec, exec, vcc
	s_cbranch_execz .LBB3663_64
; %bb.63:
	v_mov_b32_e32 v2, 0
	ds_write_b32 v2, v3 offset:28
.LBB3663_64:
	s_or_b64 exec, exec, s[38:39]
	v_mov_b32_e32 v14, 0
	s_waitcnt lgkmcnt(0)
	s_barrier
	ds_read_b32 v2, v14 offset:28
	v_cndmask_b32_e64 v3, v13, v12, s[18:19]
	v_cmp_ne_u32_e32 vcc, 0, v0
	s_waitcnt lgkmcnt(0)
	s_barrier
	v_cndmask_b32_e32 v3, 0, v3, vcc
	v_add_u32_e32 v2, v2, v3
	v_add_u32_e32 v3, v2, v51
	;; [unrolled: 1-line block ×10, first 2 shown]
	ds_read_b64 v[20:21], v14 offset:30720
	v_add_u32_e32 v12, v11, v61
	v_add_u32_e32 v13, v12, v62
	;; [unrolled: 1-line block ×5, first 2 shown]
	s_waitcnt lgkmcnt(0)
	v_mov_b32_e32 v52, v21
	s_load_dwordx2 s[2:3], s[0:1], 0x28
	s_branch .LBB3663_75
.LBB3663_65:
                                        ; implicit-def: $vgpr52
                                        ; implicit-def: $vgpr20
                                        ; implicit-def: $vgpr2_vgpr3_vgpr4_vgpr5_vgpr6_vgpr7_vgpr8_vgpr9_vgpr10_vgpr11_vgpr12_vgpr13_vgpr14_vgpr15_vgpr16_vgpr17
	s_load_dwordx2 s[2:3], s[0:1], 0x28
	s_cbranch_execz .LBB3663_75
; %bb.66:
	v_mov_b32_dpp v2, v68 row_shr:1 row_mask:0xf bank_mask:0xf
	v_cndmask_b32_e64 v2, v2, 0, s[16:17]
	v_add_u32_e32 v2, v2, v68
	s_nop 1
	v_mov_b32_dpp v3, v2 row_shr:2 row_mask:0xf bank_mask:0xf
	v_cndmask_b32_e64 v3, 0, v3, s[14:15]
	v_add_u32_e32 v2, v2, v3
	s_nop 1
	;; [unrolled: 4-line block ×4, first 2 shown]
	v_mov_b32_dpp v3, v2 row_bcast:15 row_mask:0xf bank_mask:0xf
	v_cndmask_b32_e64 v3, v3, 0, s[8:9]
	v_add_u32_e32 v2, v2, v3
	s_nop 1
	v_mov_b32_dpp v3, v2 row_bcast:31 row_mask:0xf bank_mask:0xf
	v_cndmask_b32_e64 v3, 0, v3, s[4:5]
	v_add_u32_e32 v2, v2, v3
	s_and_saveexec_b64 s[0:1], s[6:7]
	s_cbranch_execz .LBB3663_68
; %bb.67:
	v_lshlrev_b32_e32 v3, 2, v67
	ds_write_b32 v3, v2
.LBB3663_68:
	s_or_b64 exec, exec, s[0:1]
	v_cmp_gt_u32_e32 vcc, 8, v0
	s_waitcnt lgkmcnt(0)
	s_barrier
	s_and_saveexec_b64 s[0:1], vcc
	s_cbranch_execz .LBB3663_70
; %bb.69:
	ds_read_b32 v3, v18
	v_and_b32_e32 v4, 7, v66
	v_cmp_ne_u32_e32 vcc, 0, v4
	s_waitcnt lgkmcnt(0)
	v_mov_b32_dpp v5, v3 row_shr:1 row_mask:0xf bank_mask:0xf
	v_cndmask_b32_e32 v5, 0, v5, vcc
	v_add_u32_e32 v3, v5, v3
	v_cmp_lt_u32_e32 vcc, 1, v4
	s_nop 0
	v_mov_b32_dpp v5, v3 row_shr:2 row_mask:0xf bank_mask:0xf
	v_cndmask_b32_e32 v5, 0, v5, vcc
	v_add_u32_e32 v3, v3, v5
	v_cmp_lt_u32_e32 vcc, 3, v4
	s_nop 0
	v_mov_b32_dpp v5, v3 row_shr:4 row_mask:0xf bank_mask:0xf
	v_cndmask_b32_e32 v4, 0, v5, vcc
	v_add_u32_e32 v3, v3, v4
	ds_write_b32 v18, v3
.LBB3663_70:
	s_or_b64 exec, exec, s[0:1]
	v_cmp_lt_u32_e32 vcc, 63, v0
	v_mov_b32_e32 v4, 0
	v_mov_b32_e32 v3, 0
	s_waitcnt lgkmcnt(0)
	s_barrier
	s_and_saveexec_b64 s[0:1], vcc
	s_cbranch_execz .LBB3663_72
; %bb.71:
	v_lshl_add_u32 v3, v67, 2, -4
	ds_read_b32 v3, v3
.LBB3663_72:
	s_or_b64 exec, exec, s[0:1]
	v_add_u32_e32 v5, -1, v66
	v_and_b32_e32 v6, 64, v66
	v_cmp_lt_i32_e32 vcc, v5, v6
	s_waitcnt lgkmcnt(0)
	v_add_u32_e32 v2, v3, v2
	ds_read_b32 v20, v4 offset:28
	v_cndmask_b32_e32 v5, v5, v66, vcc
	v_lshlrev_b32_e32 v5, 2, v5
	ds_bpermute_b32 v2, v5, v2
	v_cmp_eq_u32_e32 vcc, 0, v0
	s_and_saveexec_b64 s[0:1], vcc
	s_cbranch_execz .LBB3663_74
; %bb.73:
	v_mov_b32_e32 v4, 0
	v_mov_b32_e32 v21, 2
	s_waitcnt lgkmcnt(1)
	global_store_dwordx2 v4, v[20:21], s[36:37] offset:512 sc1
.LBB3663_74:
	s_or_b64 exec, exec, s[0:1]
	v_cmp_eq_u32_e64 s[0:1], 0, v66
	v_mov_b32_e32 v52, 0
	s_waitcnt lgkmcnt(0)
	v_cndmask_b32_e64 v2, v2, v3, s[0:1]
	v_cndmask_b32_e64 v2, v2, 0, vcc
	v_add_u32_e32 v3, v2, v51
	v_add_u32_e32 v4, v3, v53
	;; [unrolled: 1-line block ×14, first 2 shown]
	s_barrier
.LBB3663_75:
	v_add_u32_e32 v17, v20, v37
	v_sub_u32_e32 v2, v2, v52
	v_and_b32_e32 v37, 1, v50
	v_sub_u32_e32 v21, v17, v2
	v_cmp_eq_u32_e32 vcc, 1, v37
	s_add_u32 s0, s22, s30
	s_addc_u32 s1, s23, 0
	v_cndmask_b32_e32 v2, v21, v2, vcc
	v_lshlrev_b32_e32 v2, 2, v2
	ds_write_b32 v2, v34
	v_sub_u32_e32 v2, v3, v52
	v_sub_u32_e32 v3, v17, v2
	v_and_b32_e32 v21, 1, v49
	v_add_u32_e32 v3, 1, v3
	v_cmp_eq_u32_e32 vcc, 1, v21
	s_sub_u32 s0, s28, s0
	s_subb_u32 s1, s29, s1
	v_cndmask_b32_e32 v2, v3, v2, vcc
	v_lshlrev_b32_e32 v2, 2, v2
	ds_write_b32 v2, v35
	v_sub_u32_e32 v2, v4, v52
	v_sub_u32_e32 v3, v17, v2
	v_and_b32_e32 v4, 1, v48
	v_add_u32_e32 v3, 2, v3
	v_cmp_eq_u32_e32 vcc, 1, v4
	v_and_b32_e32 v4, 1, v47
	v_or_b32_e32 v50, 0x200, v0
	v_cndmask_b32_e32 v2, v3, v2, vcc
	v_lshlrev_b32_e32 v2, 2, v2
	ds_write_b32 v2, v32
	v_sub_u32_e32 v2, v5, v52
	v_sub_u32_e32 v3, v17, v2
	v_add_u32_e32 v3, 3, v3
	v_cmp_eq_u32_e32 vcc, 1, v4
	v_and_b32_e32 v4, 1, v46
	v_or_b32_e32 v46, 0x400, v0
	v_cndmask_b32_e32 v2, v3, v2, vcc
	v_lshlrev_b32_e32 v2, 2, v2
	ds_write_b32 v2, v33
	v_sub_u32_e32 v2, v6, v52
	v_sub_u32_e32 v3, v17, v2
	;; [unrolled: 9-line block ×12, first 2 shown]
	v_add_u32_e32 v3, 14, v3
	v_cmp_eq_u32_e32 vcc, 1, v4
	v_or_b32_e32 v16, 0x1600, v0
	v_or_b32_e32 v4, 0x1c00, v0
	v_cndmask_b32_e32 v2, v3, v2, vcc
	v_lshlrev_b32_e32 v2, 2, v2
	ds_write_b32 v2, v1
	s_waitcnt lgkmcnt(0)
	s_barrier
	ds_read2st64_b32 v[48:49], v18 offset1:8
	ds_read2st64_b32 v[42:43], v18 offset0:16 offset1:24
	ds_read2st64_b32 v[36:37], v18 offset0:32 offset1:40
	;; [unrolled: 1-line block ×6, first 2 shown]
	ds_read_b32 v54, v18 offset:28672
	v_mov_b32_e32 v1, 0
	v_mov_b32_e32 v53, v1
	;; [unrolled: 1-line block ×3, first 2 shown]
	v_lshl_add_u64 v[2:3], s[34:35], 0, v[52:53]
	v_lshl_add_u64 v[6:7], s[0:1], 0, v[20:21]
	v_mov_b32_e32 v51, v1
	v_mov_b32_e32 v47, v1
	;; [unrolled: 1-line block ×14, first 2 shown]
	s_and_b64 vcc, exec, s[20:21]
	v_lshl_add_u64 v[6:7], v[6:7], 0, v[2:3]
	s_cbranch_vccnz .LBB3663_137
; %bb.76:
	v_cmp_ge_u32_e32 vcc, v0, v20
                                        ; implicit-def: $vgpr18_vgpr19
	s_and_saveexec_b64 s[0:1], vcc
	s_xor_b64 s[0:1], exec, s[0:1]
; %bb.77:
	v_not_b32_e32 v18, v0
	v_ashrrev_i32_e32 v19, 31, v18
	v_lshl_add_u64 v[18:19], v[6:7], 0, v[18:19]
; %bb.78:
	s_andn2_saveexec_b64 s[0:1], s[0:1]
; %bb.79:
	v_lshl_add_u64 v[18:19], v[2:3], 0, v[0:1]
; %bb.80:
	s_or_b64 exec, exec, s[0:1]
	v_lshl_add_u64 v[18:19], v[18:19], 2, s[2:3]
	v_cmp_ge_u32_e32 vcc, v50, v20
	s_waitcnt lgkmcnt(7)
	global_store_dword v[18:19], v48, off
                                        ; implicit-def: $vgpr18_vgpr19
	s_and_saveexec_b64 s[0:1], vcc
	s_xor_b64 s[0:1], exec, s[0:1]
; %bb.81:
	v_xor_b32_e32 v18, 0xfffffdff, v0
	v_ashrrev_i32_e32 v19, 31, v18
	v_lshl_add_u64 v[18:19], v[6:7], 0, v[18:19]
; %bb.82:
	s_andn2_saveexec_b64 s[0:1], s[0:1]
; %bb.83:
	v_lshl_add_u64 v[18:19], v[2:3], 0, v[50:51]
; %bb.84:
	s_or_b64 exec, exec, s[0:1]
	v_lshl_add_u64 v[18:19], v[18:19], 2, s[2:3]
	v_cmp_ge_u32_e32 vcc, v46, v20
	global_store_dword v[18:19], v49, off
                                        ; implicit-def: $vgpr18_vgpr19
	s_and_saveexec_b64 s[0:1], vcc
	s_xor_b64 s[0:1], exec, s[0:1]
; %bb.85:
	v_xor_b32_e32 v18, 0xfffffbff, v0
	v_ashrrev_i32_e32 v19, 31, v18
	v_lshl_add_u64 v[18:19], v[6:7], 0, v[18:19]
; %bb.86:
	s_andn2_saveexec_b64 s[0:1], s[0:1]
; %bb.87:
	v_lshl_add_u64 v[18:19], v[2:3], 0, v[46:47]
; %bb.88:
	s_or_b64 exec, exec, s[0:1]
	v_lshl_add_u64 v[18:19], v[18:19], 2, s[2:3]
	v_cmp_ge_u32_e32 vcc, v44, v20
	s_waitcnt lgkmcnt(6)
	global_store_dword v[18:19], v42, off
                                        ; implicit-def: $vgpr18_vgpr19
	s_and_saveexec_b64 s[0:1], vcc
	s_xor_b64 s[0:1], exec, s[0:1]
; %bb.89:
	v_xor_b32_e32 v18, 0xfffff9ff, v0
	v_ashrrev_i32_e32 v19, 31, v18
	v_lshl_add_u64 v[18:19], v[6:7], 0, v[18:19]
; %bb.90:
	s_andn2_saveexec_b64 s[0:1], s[0:1]
; %bb.91:
	v_lshl_add_u64 v[18:19], v[2:3], 0, v[44:45]
; %bb.92:
	s_or_b64 exec, exec, s[0:1]
	v_lshl_add_u64 v[18:19], v[18:19], 2, s[2:3]
	v_cmp_ge_u32_e32 vcc, v40, v20
	global_store_dword v[18:19], v43, off
                                        ; implicit-def: $vgpr18_vgpr19
	s_and_saveexec_b64 s[0:1], vcc
	s_xor_b64 s[0:1], exec, s[0:1]
; %bb.93:
	v_xor_b32_e32 v18, 0xfffff7ff, v0
	;; [unrolled: 33-line block ×7, first 2 shown]
	v_ashrrev_i32_e32 v19, 31, v18
	v_lshl_add_u64 v[18:19], v[6:7], 0, v[18:19]
; %bb.134:
	s_andn2_saveexec_b64 s[0:1], s[0:1]
; %bb.135:
	v_lshl_add_u64 v[18:19], v[2:3], 0, v[4:5]
; %bb.136:
	s_or_b64 exec, exec, s[0:1]
	s_mov_b64 s[0:1], -1
	s_branch .LBB3663_229
.LBB3663_137:
	s_mov_b64 s[0:1], 0
                                        ; implicit-def: $vgpr18_vgpr19
	s_cbranch_execz .LBB3663_229
; %bb.138:
	v_cmp_gt_u32_e32 vcc, s33, v0
	s_and_saveexec_b64 s[4:5], vcc
	s_cbranch_execz .LBB3663_180
; %bb.139:
	v_cmp_ge_u32_e32 vcc, v0, v20
                                        ; implicit-def: $vgpr18_vgpr19
	s_and_saveexec_b64 s[6:7], vcc
	s_xor_b64 s[6:7], exec, s[6:7]
; %bb.140:
	v_not_b32_e32 v18, v0
	v_ashrrev_i32_e32 v19, 31, v18
	v_lshl_add_u64 v[18:19], v[6:7], 0, v[18:19]
; %bb.141:
	s_andn2_saveexec_b64 s[6:7], s[6:7]
; %bb.142:
	v_lshl_add_u64 v[18:19], v[2:3], 0, v[0:1]
; %bb.143:
	s_or_b64 exec, exec, s[6:7]
	v_lshl_add_u64 v[18:19], v[18:19], 2, s[2:3]
	s_waitcnt lgkmcnt(7)
	global_store_dword v[18:19], v48, off
	s_or_b64 exec, exec, s[4:5]
	v_cmp_gt_u32_e32 vcc, s33, v50
	s_and_saveexec_b64 s[4:5], vcc
	s_cbranch_execnz .LBB3663_181
.LBB3663_144:
	s_or_b64 exec, exec, s[4:5]
	v_cmp_gt_u32_e32 vcc, s33, v46
	s_and_saveexec_b64 s[4:5], vcc
	s_cbranch_execz .LBB3663_186
.LBB3663_145:
	v_cmp_ge_u32_e32 vcc, v46, v20
                                        ; implicit-def: $vgpr18_vgpr19
	s_and_saveexec_b64 s[6:7], vcc
	s_xor_b64 s[6:7], exec, s[6:7]
; %bb.146:
	v_xor_b32_e32 v18, 0xfffffbff, v0
	v_ashrrev_i32_e32 v19, 31, v18
	v_lshl_add_u64 v[18:19], v[6:7], 0, v[18:19]
                                        ; implicit-def: $vgpr46_vgpr47
; %bb.147:
	s_andn2_saveexec_b64 s[6:7], s[6:7]
; %bb.148:
	v_lshl_add_u64 v[18:19], v[2:3], 0, v[46:47]
; %bb.149:
	s_or_b64 exec, exec, s[6:7]
	v_lshl_add_u64 v[18:19], v[18:19], 2, s[2:3]
	s_waitcnt lgkmcnt(6)
	global_store_dword v[18:19], v42, off
	s_or_b64 exec, exec, s[4:5]
	v_cmp_gt_u32_e32 vcc, s33, v44
	s_and_saveexec_b64 s[4:5], vcc
	s_cbranch_execnz .LBB3663_187
.LBB3663_150:
	s_or_b64 exec, exec, s[4:5]
	v_cmp_gt_u32_e32 vcc, s33, v40
	s_and_saveexec_b64 s[4:5], vcc
	s_cbranch_execz .LBB3663_192
.LBB3663_151:
	v_cmp_ge_u32_e32 vcc, v40, v20
                                        ; implicit-def: $vgpr18_vgpr19
	s_and_saveexec_b64 s[6:7], vcc
	s_xor_b64 s[6:7], exec, s[6:7]
; %bb.152:
	v_xor_b32_e32 v18, 0xfffff7ff, v0
	v_ashrrev_i32_e32 v19, 31, v18
	v_lshl_add_u64 v[18:19], v[6:7], 0, v[18:19]
                                        ; implicit-def: $vgpr40_vgpr41
; %bb.153:
	s_andn2_saveexec_b64 s[6:7], s[6:7]
; %bb.154:
	v_lshl_add_u64 v[18:19], v[2:3], 0, v[40:41]
; %bb.155:
	s_or_b64 exec, exec, s[6:7]
	v_lshl_add_u64 v[18:19], v[18:19], 2, s[2:3]
	s_waitcnt lgkmcnt(5)
	global_store_dword v[18:19], v36, off
	s_or_b64 exec, exec, s[4:5]
	v_cmp_gt_u32_e32 vcc, s33, v38
	s_and_saveexec_b64 s[4:5], vcc
	s_cbranch_execnz .LBB3663_193
.LBB3663_156:
	s_or_b64 exec, exec, s[4:5]
	v_cmp_gt_u32_e32 vcc, s33, v34
	s_and_saveexec_b64 s[4:5], vcc
	s_cbranch_execz .LBB3663_198
.LBB3663_157:
	v_cmp_ge_u32_e32 vcc, v34, v20
                                        ; implicit-def: $vgpr18_vgpr19
	s_and_saveexec_b64 s[6:7], vcc
	s_xor_b64 s[6:7], exec, s[6:7]
; %bb.158:
	v_xor_b32_e32 v18, 0xfffff3ff, v0
	v_ashrrev_i32_e32 v19, 31, v18
	v_lshl_add_u64 v[18:19], v[6:7], 0, v[18:19]
                                        ; implicit-def: $vgpr34_vgpr35
; %bb.159:
	s_andn2_saveexec_b64 s[6:7], s[6:7]
; %bb.160:
	v_lshl_add_u64 v[18:19], v[2:3], 0, v[34:35]
; %bb.161:
	s_or_b64 exec, exec, s[6:7]
	v_lshl_add_u64 v[18:19], v[18:19], 2, s[2:3]
	s_waitcnt lgkmcnt(4)
	global_store_dword v[18:19], v30, off
	s_or_b64 exec, exec, s[4:5]
	v_cmp_gt_u32_e32 vcc, s33, v32
	s_and_saveexec_b64 s[4:5], vcc
	s_cbranch_execnz .LBB3663_199
.LBB3663_162:
	s_or_b64 exec, exec, s[4:5]
	v_cmp_gt_u32_e32 vcc, s33, v28
	s_and_saveexec_b64 s[4:5], vcc
	s_cbranch_execz .LBB3663_204
.LBB3663_163:
	v_cmp_ge_u32_e32 vcc, v28, v20
                                        ; implicit-def: $vgpr18_vgpr19
	s_and_saveexec_b64 s[6:7], vcc
	s_xor_b64 s[6:7], exec, s[6:7]
; %bb.164:
	v_xor_b32_e32 v18, 0xffffefff, v0
	v_ashrrev_i32_e32 v19, 31, v18
	v_lshl_add_u64 v[18:19], v[6:7], 0, v[18:19]
                                        ; implicit-def: $vgpr28_vgpr29
; %bb.165:
	s_andn2_saveexec_b64 s[6:7], s[6:7]
; %bb.166:
	v_lshl_add_u64 v[18:19], v[2:3], 0, v[28:29]
; %bb.167:
	s_or_b64 exec, exec, s[6:7]
	v_lshl_add_u64 v[18:19], v[18:19], 2, s[2:3]
	s_waitcnt lgkmcnt(3)
	global_store_dword v[18:19], v24, off
	s_or_b64 exec, exec, s[4:5]
	v_cmp_gt_u32_e32 vcc, s33, v26
	s_and_saveexec_b64 s[4:5], vcc
	s_cbranch_execnz .LBB3663_205
.LBB3663_168:
	s_or_b64 exec, exec, s[4:5]
	v_cmp_gt_u32_e32 vcc, s33, v22
	s_and_saveexec_b64 s[4:5], vcc
	s_cbranch_execz .LBB3663_210
.LBB3663_169:
	v_cmp_ge_u32_e32 vcc, v22, v20
                                        ; implicit-def: $vgpr18_vgpr19
	s_and_saveexec_b64 s[6:7], vcc
	s_xor_b64 s[6:7], exec, s[6:7]
; %bb.170:
	v_xor_b32_e32 v18, 0xffffebff, v0
	v_ashrrev_i32_e32 v19, 31, v18
	v_lshl_add_u64 v[18:19], v[6:7], 0, v[18:19]
                                        ; implicit-def: $vgpr22_vgpr23
; %bb.171:
	s_andn2_saveexec_b64 s[6:7], s[6:7]
; %bb.172:
	v_lshl_add_u64 v[18:19], v[2:3], 0, v[22:23]
; %bb.173:
	s_or_b64 exec, exec, s[6:7]
	v_lshl_add_u64 v[18:19], v[18:19], 2, s[2:3]
	s_waitcnt lgkmcnt(2)
	global_store_dword v[18:19], v14, off
	s_or_b64 exec, exec, s[4:5]
	v_cmp_gt_u32_e32 vcc, s33, v16
	s_and_saveexec_b64 s[4:5], vcc
	s_cbranch_execnz .LBB3663_211
.LBB3663_174:
	s_or_b64 exec, exec, s[4:5]
	v_cmp_gt_u32_e32 vcc, s33, v12
	s_and_saveexec_b64 s[4:5], vcc
	s_cbranch_execz .LBB3663_216
.LBB3663_175:
	v_cmp_ge_u32_e32 vcc, v12, v20
                                        ; implicit-def: $vgpr14_vgpr15
	s_and_saveexec_b64 s[6:7], vcc
	s_xor_b64 s[6:7], exec, s[6:7]
	s_cbranch_execz .LBB3663_177
; %bb.176:
	v_xor_b32_e32 v12, 0xffffe7ff, v0
	v_ashrrev_i32_e32 v13, 31, v12
	s_waitcnt lgkmcnt(2)
	v_lshl_add_u64 v[14:15], v[6:7], 0, v[12:13]
                                        ; implicit-def: $vgpr12_vgpr13
.LBB3663_177:
	s_andn2_saveexec_b64 s[6:7], s[6:7]
	s_cbranch_execz .LBB3663_179
; %bb.178:
	s_waitcnt lgkmcnt(2)
	v_lshl_add_u64 v[14:15], v[2:3], 0, v[12:13]
.LBB3663_179:
	s_or_b64 exec, exec, s[6:7]
	s_waitcnt lgkmcnt(2)
	v_lshl_add_u64 v[12:13], v[14:15], 2, s[2:3]
	s_waitcnt lgkmcnt(1)
	global_store_dword v[12:13], v8, off
	s_or_b64 exec, exec, s[4:5]
	v_cmp_gt_u32_e32 vcc, s33, v10
	s_and_saveexec_b64 s[4:5], vcc
	s_cbranch_execz .LBB3663_222
	s_branch .LBB3663_217
.LBB3663_180:
	s_or_b64 exec, exec, s[4:5]
	v_cmp_gt_u32_e32 vcc, s33, v50
	s_and_saveexec_b64 s[4:5], vcc
	s_cbranch_execz .LBB3663_144
.LBB3663_181:
	v_cmp_ge_u32_e32 vcc, v50, v20
                                        ; implicit-def: $vgpr18_vgpr19
	s_and_saveexec_b64 s[6:7], vcc
	s_xor_b64 s[6:7], exec, s[6:7]
; %bb.182:
	v_xor_b32_e32 v18, 0xfffffdff, v0
	v_ashrrev_i32_e32 v19, 31, v18
	v_lshl_add_u64 v[18:19], v[6:7], 0, v[18:19]
                                        ; implicit-def: $vgpr50_vgpr51
; %bb.183:
	s_andn2_saveexec_b64 s[6:7], s[6:7]
; %bb.184:
	v_lshl_add_u64 v[18:19], v[2:3], 0, v[50:51]
; %bb.185:
	s_or_b64 exec, exec, s[6:7]
	v_lshl_add_u64 v[18:19], v[18:19], 2, s[2:3]
	s_waitcnt lgkmcnt(7)
	global_store_dword v[18:19], v49, off
	s_or_b64 exec, exec, s[4:5]
	v_cmp_gt_u32_e32 vcc, s33, v46
	s_and_saveexec_b64 s[4:5], vcc
	s_cbranch_execnz .LBB3663_145
.LBB3663_186:
	s_or_b64 exec, exec, s[4:5]
	v_cmp_gt_u32_e32 vcc, s33, v44
	s_and_saveexec_b64 s[4:5], vcc
	s_cbranch_execz .LBB3663_150
.LBB3663_187:
	v_cmp_ge_u32_e32 vcc, v44, v20
                                        ; implicit-def: $vgpr18_vgpr19
	s_and_saveexec_b64 s[6:7], vcc
	s_xor_b64 s[6:7], exec, s[6:7]
; %bb.188:
	v_xor_b32_e32 v18, 0xfffff9ff, v0
	v_ashrrev_i32_e32 v19, 31, v18
	v_lshl_add_u64 v[18:19], v[6:7], 0, v[18:19]
                                        ; implicit-def: $vgpr44_vgpr45
; %bb.189:
	s_andn2_saveexec_b64 s[6:7], s[6:7]
; %bb.190:
	v_lshl_add_u64 v[18:19], v[2:3], 0, v[44:45]
; %bb.191:
	s_or_b64 exec, exec, s[6:7]
	v_lshl_add_u64 v[18:19], v[18:19], 2, s[2:3]
	s_waitcnt lgkmcnt(6)
	global_store_dword v[18:19], v43, off
	s_or_b64 exec, exec, s[4:5]
	v_cmp_gt_u32_e32 vcc, s33, v40
	s_and_saveexec_b64 s[4:5], vcc
	s_cbranch_execnz .LBB3663_151
.LBB3663_192:
	s_or_b64 exec, exec, s[4:5]
	v_cmp_gt_u32_e32 vcc, s33, v38
	s_and_saveexec_b64 s[4:5], vcc
	s_cbranch_execz .LBB3663_156
.LBB3663_193:
	v_cmp_ge_u32_e32 vcc, v38, v20
                                        ; implicit-def: $vgpr18_vgpr19
	s_and_saveexec_b64 s[6:7], vcc
	s_xor_b64 s[6:7], exec, s[6:7]
; %bb.194:
	v_xor_b32_e32 v18, 0xfffff5ff, v0
	v_ashrrev_i32_e32 v19, 31, v18
	v_lshl_add_u64 v[18:19], v[6:7], 0, v[18:19]
                                        ; implicit-def: $vgpr38_vgpr39
; %bb.195:
	s_andn2_saveexec_b64 s[6:7], s[6:7]
; %bb.196:
	v_lshl_add_u64 v[18:19], v[2:3], 0, v[38:39]
; %bb.197:
	s_or_b64 exec, exec, s[6:7]
	v_lshl_add_u64 v[18:19], v[18:19], 2, s[2:3]
	s_waitcnt lgkmcnt(5)
	global_store_dword v[18:19], v37, off
	s_or_b64 exec, exec, s[4:5]
	v_cmp_gt_u32_e32 vcc, s33, v34
	s_and_saveexec_b64 s[4:5], vcc
	s_cbranch_execnz .LBB3663_157
.LBB3663_198:
	s_or_b64 exec, exec, s[4:5]
	v_cmp_gt_u32_e32 vcc, s33, v32
	s_and_saveexec_b64 s[4:5], vcc
	s_cbranch_execz .LBB3663_162
.LBB3663_199:
	v_cmp_ge_u32_e32 vcc, v32, v20
                                        ; implicit-def: $vgpr18_vgpr19
	s_and_saveexec_b64 s[6:7], vcc
	s_xor_b64 s[6:7], exec, s[6:7]
; %bb.200:
	v_xor_b32_e32 v18, 0xfffff1ff, v0
	v_ashrrev_i32_e32 v19, 31, v18
	v_lshl_add_u64 v[18:19], v[6:7], 0, v[18:19]
                                        ; implicit-def: $vgpr32_vgpr33
; %bb.201:
	s_andn2_saveexec_b64 s[6:7], s[6:7]
; %bb.202:
	v_lshl_add_u64 v[18:19], v[2:3], 0, v[32:33]
; %bb.203:
	s_or_b64 exec, exec, s[6:7]
	v_lshl_add_u64 v[18:19], v[18:19], 2, s[2:3]
	s_waitcnt lgkmcnt(4)
	global_store_dword v[18:19], v31, off
	s_or_b64 exec, exec, s[4:5]
	v_cmp_gt_u32_e32 vcc, s33, v28
	s_and_saveexec_b64 s[4:5], vcc
	s_cbranch_execnz .LBB3663_163
.LBB3663_204:
	s_or_b64 exec, exec, s[4:5]
	v_cmp_gt_u32_e32 vcc, s33, v26
	s_and_saveexec_b64 s[4:5], vcc
	s_cbranch_execz .LBB3663_168
.LBB3663_205:
	v_cmp_ge_u32_e32 vcc, v26, v20
                                        ; implicit-def: $vgpr18_vgpr19
	s_and_saveexec_b64 s[6:7], vcc
	s_xor_b64 s[6:7], exec, s[6:7]
; %bb.206:
	v_xor_b32_e32 v18, 0xffffedff, v0
	v_ashrrev_i32_e32 v19, 31, v18
	v_lshl_add_u64 v[18:19], v[6:7], 0, v[18:19]
                                        ; implicit-def: $vgpr26_vgpr27
; %bb.207:
	s_andn2_saveexec_b64 s[6:7], s[6:7]
; %bb.208:
	v_lshl_add_u64 v[18:19], v[2:3], 0, v[26:27]
; %bb.209:
	s_or_b64 exec, exec, s[6:7]
	v_lshl_add_u64 v[18:19], v[18:19], 2, s[2:3]
	s_waitcnt lgkmcnt(3)
	global_store_dword v[18:19], v25, off
	s_or_b64 exec, exec, s[4:5]
	v_cmp_gt_u32_e32 vcc, s33, v22
	s_and_saveexec_b64 s[4:5], vcc
	s_cbranch_execnz .LBB3663_169
.LBB3663_210:
	s_or_b64 exec, exec, s[4:5]
	v_cmp_gt_u32_e32 vcc, s33, v16
	s_and_saveexec_b64 s[4:5], vcc
	s_cbranch_execz .LBB3663_174
.LBB3663_211:
	v_cmp_ge_u32_e32 vcc, v16, v20
                                        ; implicit-def: $vgpr18_vgpr19
	s_and_saveexec_b64 s[6:7], vcc
	s_xor_b64 s[6:7], exec, s[6:7]
; %bb.212:
	v_xor_b32_e32 v16, 0xffffe9ff, v0
	v_ashrrev_i32_e32 v17, 31, v16
	v_lshl_add_u64 v[18:19], v[6:7], 0, v[16:17]
                                        ; implicit-def: $vgpr16_vgpr17
; %bb.213:
	s_andn2_saveexec_b64 s[6:7], s[6:7]
; %bb.214:
	v_lshl_add_u64 v[18:19], v[2:3], 0, v[16:17]
; %bb.215:
	s_or_b64 exec, exec, s[6:7]
	v_lshl_add_u64 v[16:17], v[18:19], 2, s[2:3]
	s_waitcnt lgkmcnt(2)
	global_store_dword v[16:17], v15, off
	s_or_b64 exec, exec, s[4:5]
	v_cmp_gt_u32_e32 vcc, s33, v12
	s_and_saveexec_b64 s[4:5], vcc
	s_cbranch_execnz .LBB3663_175
.LBB3663_216:
	s_or_b64 exec, exec, s[4:5]
	v_cmp_gt_u32_e32 vcc, s33, v10
	s_and_saveexec_b64 s[4:5], vcc
	s_cbranch_execz .LBB3663_222
.LBB3663_217:
	v_cmp_ge_u32_e32 vcc, v10, v20
                                        ; implicit-def: $vgpr12_vgpr13
	s_and_saveexec_b64 s[6:7], vcc
	s_xor_b64 s[6:7], exec, s[6:7]
; %bb.218:
	v_xor_b32_e32 v10, 0xffffe5ff, v0
	v_ashrrev_i32_e32 v11, 31, v10
	v_lshl_add_u64 v[12:13], v[6:7], 0, v[10:11]
                                        ; implicit-def: $vgpr10_vgpr11
; %bb.219:
	s_andn2_saveexec_b64 s[6:7], s[6:7]
; %bb.220:
	v_lshl_add_u64 v[12:13], v[2:3], 0, v[10:11]
; %bb.221:
	s_or_b64 exec, exec, s[6:7]
	v_lshl_add_u64 v[10:11], v[12:13], 2, s[2:3]
	s_waitcnt lgkmcnt(1)
	global_store_dword v[10:11], v9, off
.LBB3663_222:
	s_or_b64 exec, exec, s[4:5]
	v_cmp_gt_u32_e32 vcc, s33, v4
                                        ; implicit-def: $vgpr18_vgpr19
	s_and_saveexec_b64 s[4:5], vcc
	s_cbranch_execz .LBB3663_228
; %bb.223:
	v_cmp_ge_u32_e32 vcc, v4, v20
                                        ; implicit-def: $vgpr18_vgpr19
	s_and_saveexec_b64 s[6:7], vcc
	s_xor_b64 s[6:7], exec, s[6:7]
; %bb.224:
	v_xor_b32_e32 v4, 0xffffe3ff, v0
	v_ashrrev_i32_e32 v5, 31, v4
	v_lshl_add_u64 v[18:19], v[6:7], 0, v[4:5]
                                        ; implicit-def: $vgpr4_vgpr5
; %bb.225:
	s_andn2_saveexec_b64 s[6:7], s[6:7]
; %bb.226:
	v_lshl_add_u64 v[18:19], v[2:3], 0, v[4:5]
; %bb.227:
	s_or_b64 exec, exec, s[6:7]
	s_or_b64 s[0:1], s[0:1], exec
.LBB3663_228:
	s_or_b64 exec, exec, s[4:5]
.LBB3663_229:
	s_and_saveexec_b64 s[4:5], s[0:1]
	s_cbranch_execz .LBB3663_231
; %bb.230:
	v_lshl_add_u64 v[4:5], v[18:19], 2, s[2:3]
	s_waitcnt lgkmcnt(0)
	global_store_dword v[4:5], v54, off
.LBB3663_231:
	s_or_b64 exec, exec, s[4:5]
	v_cmp_eq_u32_e32 vcc, 0, v0
	s_and_b64 s[0:1], vcc, s[26:27]
	s_and_saveexec_b64 s[2:3], s[0:1]
	s_cbranch_execz .LBB3663_233
; %bb.232:
	v_mov_b32_e32 v4, 0
	v_lshl_add_u64 v[0:1], v[2:3], 0, v[20:21]
	global_store_dwordx2 v4, v[0:1], s[24:25]
.LBB3663_233:
	s_endpgm
	.section	.rodata,"a",@progbits
	.p2align	6, 0x0
	.amdhsa_kernel _ZN7rocprim17ROCPRIM_400000_NS6detail17trampoline_kernelINS0_14default_configENS1_25partition_config_selectorILNS1_17partition_subalgoE3EiNS0_10empty_typeEbEEZZNS1_14partition_implILS5_3ELb0ES3_jN6thrust23THRUST_200600_302600_NS6detail15normal_iteratorINSA_7pointerIiNSA_11hip_rocprim5par_tENSA_11use_defaultESG_EEEEPS6_SJ_NS0_5tupleIJPiSJ_EEENSK_IJSJ_SJ_EEES6_PlJ7is_evenIiEEEE10hipError_tPvRmT3_T4_T5_T6_T7_T9_mT8_P12ihipStream_tbDpT10_ENKUlT_T0_E_clISt17integral_constantIbLb0EES1A_EEDaS15_S16_EUlS15_E_NS1_11comp_targetILNS1_3genE5ELNS1_11target_archE942ELNS1_3gpuE9ELNS1_3repE0EEENS1_30default_config_static_selectorELNS0_4arch9wavefront6targetE1EEEvT1_
		.amdhsa_group_segment_fixed_size 30728
		.amdhsa_private_segment_fixed_size 0
		.amdhsa_kernarg_size 120
		.amdhsa_user_sgpr_count 2
		.amdhsa_user_sgpr_dispatch_ptr 0
		.amdhsa_user_sgpr_queue_ptr 0
		.amdhsa_user_sgpr_kernarg_segment_ptr 1
		.amdhsa_user_sgpr_dispatch_id 0
		.amdhsa_user_sgpr_kernarg_preload_length 0
		.amdhsa_user_sgpr_kernarg_preload_offset 0
		.amdhsa_user_sgpr_private_segment_size 0
		.amdhsa_uses_dynamic_stack 0
		.amdhsa_enable_private_segment 0
		.amdhsa_system_sgpr_workgroup_id_x 1
		.amdhsa_system_sgpr_workgroup_id_y 0
		.amdhsa_system_sgpr_workgroup_id_z 0
		.amdhsa_system_sgpr_workgroup_info 0
		.amdhsa_system_vgpr_workitem_id 0
		.amdhsa_next_free_vgpr 76
		.amdhsa_next_free_sgpr 46
		.amdhsa_accum_offset 76
		.amdhsa_reserve_vcc 1
		.amdhsa_float_round_mode_32 0
		.amdhsa_float_round_mode_16_64 0
		.amdhsa_float_denorm_mode_32 3
		.amdhsa_float_denorm_mode_16_64 3
		.amdhsa_dx10_clamp 1
		.amdhsa_ieee_mode 1
		.amdhsa_fp16_overflow 0
		.amdhsa_tg_split 0
		.amdhsa_exception_fp_ieee_invalid_op 0
		.amdhsa_exception_fp_denorm_src 0
		.amdhsa_exception_fp_ieee_div_zero 0
		.amdhsa_exception_fp_ieee_overflow 0
		.amdhsa_exception_fp_ieee_underflow 0
		.amdhsa_exception_fp_ieee_inexact 0
		.amdhsa_exception_int_div_zero 0
	.end_amdhsa_kernel
	.section	.text._ZN7rocprim17ROCPRIM_400000_NS6detail17trampoline_kernelINS0_14default_configENS1_25partition_config_selectorILNS1_17partition_subalgoE3EiNS0_10empty_typeEbEEZZNS1_14partition_implILS5_3ELb0ES3_jN6thrust23THRUST_200600_302600_NS6detail15normal_iteratorINSA_7pointerIiNSA_11hip_rocprim5par_tENSA_11use_defaultESG_EEEEPS6_SJ_NS0_5tupleIJPiSJ_EEENSK_IJSJ_SJ_EEES6_PlJ7is_evenIiEEEE10hipError_tPvRmT3_T4_T5_T6_T7_T9_mT8_P12ihipStream_tbDpT10_ENKUlT_T0_E_clISt17integral_constantIbLb0EES1A_EEDaS15_S16_EUlS15_E_NS1_11comp_targetILNS1_3genE5ELNS1_11target_archE942ELNS1_3gpuE9ELNS1_3repE0EEENS1_30default_config_static_selectorELNS0_4arch9wavefront6targetE1EEEvT1_,"axG",@progbits,_ZN7rocprim17ROCPRIM_400000_NS6detail17trampoline_kernelINS0_14default_configENS1_25partition_config_selectorILNS1_17partition_subalgoE3EiNS0_10empty_typeEbEEZZNS1_14partition_implILS5_3ELb0ES3_jN6thrust23THRUST_200600_302600_NS6detail15normal_iteratorINSA_7pointerIiNSA_11hip_rocprim5par_tENSA_11use_defaultESG_EEEEPS6_SJ_NS0_5tupleIJPiSJ_EEENSK_IJSJ_SJ_EEES6_PlJ7is_evenIiEEEE10hipError_tPvRmT3_T4_T5_T6_T7_T9_mT8_P12ihipStream_tbDpT10_ENKUlT_T0_E_clISt17integral_constantIbLb0EES1A_EEDaS15_S16_EUlS15_E_NS1_11comp_targetILNS1_3genE5ELNS1_11target_archE942ELNS1_3gpuE9ELNS1_3repE0EEENS1_30default_config_static_selectorELNS0_4arch9wavefront6targetE1EEEvT1_,comdat
.Lfunc_end3663:
	.size	_ZN7rocprim17ROCPRIM_400000_NS6detail17trampoline_kernelINS0_14default_configENS1_25partition_config_selectorILNS1_17partition_subalgoE3EiNS0_10empty_typeEbEEZZNS1_14partition_implILS5_3ELb0ES3_jN6thrust23THRUST_200600_302600_NS6detail15normal_iteratorINSA_7pointerIiNSA_11hip_rocprim5par_tENSA_11use_defaultESG_EEEEPS6_SJ_NS0_5tupleIJPiSJ_EEENSK_IJSJ_SJ_EEES6_PlJ7is_evenIiEEEE10hipError_tPvRmT3_T4_T5_T6_T7_T9_mT8_P12ihipStream_tbDpT10_ENKUlT_T0_E_clISt17integral_constantIbLb0EES1A_EEDaS15_S16_EUlS15_E_NS1_11comp_targetILNS1_3genE5ELNS1_11target_archE942ELNS1_3gpuE9ELNS1_3repE0EEENS1_30default_config_static_selectorELNS0_4arch9wavefront6targetE1EEEvT1_, .Lfunc_end3663-_ZN7rocprim17ROCPRIM_400000_NS6detail17trampoline_kernelINS0_14default_configENS1_25partition_config_selectorILNS1_17partition_subalgoE3EiNS0_10empty_typeEbEEZZNS1_14partition_implILS5_3ELb0ES3_jN6thrust23THRUST_200600_302600_NS6detail15normal_iteratorINSA_7pointerIiNSA_11hip_rocprim5par_tENSA_11use_defaultESG_EEEEPS6_SJ_NS0_5tupleIJPiSJ_EEENSK_IJSJ_SJ_EEES6_PlJ7is_evenIiEEEE10hipError_tPvRmT3_T4_T5_T6_T7_T9_mT8_P12ihipStream_tbDpT10_ENKUlT_T0_E_clISt17integral_constantIbLb0EES1A_EEDaS15_S16_EUlS15_E_NS1_11comp_targetILNS1_3genE5ELNS1_11target_archE942ELNS1_3gpuE9ELNS1_3repE0EEENS1_30default_config_static_selectorELNS0_4arch9wavefront6targetE1EEEvT1_
                                        ; -- End function
	.section	.AMDGPU.csdata,"",@progbits
; Kernel info:
; codeLenInByte = 7516
; NumSgprs: 52
; NumVgprs: 76
; NumAgprs: 0
; TotalNumVgprs: 76
; ScratchSize: 0
; MemoryBound: 0
; FloatMode: 240
; IeeeMode: 1
; LDSByteSize: 30728 bytes/workgroup (compile time only)
; SGPRBlocks: 6
; VGPRBlocks: 9
; NumSGPRsForWavesPerEU: 52
; NumVGPRsForWavesPerEU: 76
; AccumOffset: 76
; Occupancy: 4
; WaveLimiterHint : 1
; COMPUTE_PGM_RSRC2:SCRATCH_EN: 0
; COMPUTE_PGM_RSRC2:USER_SGPR: 2
; COMPUTE_PGM_RSRC2:TRAP_HANDLER: 0
; COMPUTE_PGM_RSRC2:TGID_X_EN: 1
; COMPUTE_PGM_RSRC2:TGID_Y_EN: 0
; COMPUTE_PGM_RSRC2:TGID_Z_EN: 0
; COMPUTE_PGM_RSRC2:TIDIG_COMP_CNT: 0
; COMPUTE_PGM_RSRC3_GFX90A:ACCUM_OFFSET: 18
; COMPUTE_PGM_RSRC3_GFX90A:TG_SPLIT: 0
	.section	.text._ZN7rocprim17ROCPRIM_400000_NS6detail17trampoline_kernelINS0_14default_configENS1_25partition_config_selectorILNS1_17partition_subalgoE3EiNS0_10empty_typeEbEEZZNS1_14partition_implILS5_3ELb0ES3_jN6thrust23THRUST_200600_302600_NS6detail15normal_iteratorINSA_7pointerIiNSA_11hip_rocprim5par_tENSA_11use_defaultESG_EEEEPS6_SJ_NS0_5tupleIJPiSJ_EEENSK_IJSJ_SJ_EEES6_PlJ7is_evenIiEEEE10hipError_tPvRmT3_T4_T5_T6_T7_T9_mT8_P12ihipStream_tbDpT10_ENKUlT_T0_E_clISt17integral_constantIbLb0EES1A_EEDaS15_S16_EUlS15_E_NS1_11comp_targetILNS1_3genE4ELNS1_11target_archE910ELNS1_3gpuE8ELNS1_3repE0EEENS1_30default_config_static_selectorELNS0_4arch9wavefront6targetE1EEEvT1_,"axG",@progbits,_ZN7rocprim17ROCPRIM_400000_NS6detail17trampoline_kernelINS0_14default_configENS1_25partition_config_selectorILNS1_17partition_subalgoE3EiNS0_10empty_typeEbEEZZNS1_14partition_implILS5_3ELb0ES3_jN6thrust23THRUST_200600_302600_NS6detail15normal_iteratorINSA_7pointerIiNSA_11hip_rocprim5par_tENSA_11use_defaultESG_EEEEPS6_SJ_NS0_5tupleIJPiSJ_EEENSK_IJSJ_SJ_EEES6_PlJ7is_evenIiEEEE10hipError_tPvRmT3_T4_T5_T6_T7_T9_mT8_P12ihipStream_tbDpT10_ENKUlT_T0_E_clISt17integral_constantIbLb0EES1A_EEDaS15_S16_EUlS15_E_NS1_11comp_targetILNS1_3genE4ELNS1_11target_archE910ELNS1_3gpuE8ELNS1_3repE0EEENS1_30default_config_static_selectorELNS0_4arch9wavefront6targetE1EEEvT1_,comdat
	.protected	_ZN7rocprim17ROCPRIM_400000_NS6detail17trampoline_kernelINS0_14default_configENS1_25partition_config_selectorILNS1_17partition_subalgoE3EiNS0_10empty_typeEbEEZZNS1_14partition_implILS5_3ELb0ES3_jN6thrust23THRUST_200600_302600_NS6detail15normal_iteratorINSA_7pointerIiNSA_11hip_rocprim5par_tENSA_11use_defaultESG_EEEEPS6_SJ_NS0_5tupleIJPiSJ_EEENSK_IJSJ_SJ_EEES6_PlJ7is_evenIiEEEE10hipError_tPvRmT3_T4_T5_T6_T7_T9_mT8_P12ihipStream_tbDpT10_ENKUlT_T0_E_clISt17integral_constantIbLb0EES1A_EEDaS15_S16_EUlS15_E_NS1_11comp_targetILNS1_3genE4ELNS1_11target_archE910ELNS1_3gpuE8ELNS1_3repE0EEENS1_30default_config_static_selectorELNS0_4arch9wavefront6targetE1EEEvT1_ ; -- Begin function _ZN7rocprim17ROCPRIM_400000_NS6detail17trampoline_kernelINS0_14default_configENS1_25partition_config_selectorILNS1_17partition_subalgoE3EiNS0_10empty_typeEbEEZZNS1_14partition_implILS5_3ELb0ES3_jN6thrust23THRUST_200600_302600_NS6detail15normal_iteratorINSA_7pointerIiNSA_11hip_rocprim5par_tENSA_11use_defaultESG_EEEEPS6_SJ_NS0_5tupleIJPiSJ_EEENSK_IJSJ_SJ_EEES6_PlJ7is_evenIiEEEE10hipError_tPvRmT3_T4_T5_T6_T7_T9_mT8_P12ihipStream_tbDpT10_ENKUlT_T0_E_clISt17integral_constantIbLb0EES1A_EEDaS15_S16_EUlS15_E_NS1_11comp_targetILNS1_3genE4ELNS1_11target_archE910ELNS1_3gpuE8ELNS1_3repE0EEENS1_30default_config_static_selectorELNS0_4arch9wavefront6targetE1EEEvT1_
	.globl	_ZN7rocprim17ROCPRIM_400000_NS6detail17trampoline_kernelINS0_14default_configENS1_25partition_config_selectorILNS1_17partition_subalgoE3EiNS0_10empty_typeEbEEZZNS1_14partition_implILS5_3ELb0ES3_jN6thrust23THRUST_200600_302600_NS6detail15normal_iteratorINSA_7pointerIiNSA_11hip_rocprim5par_tENSA_11use_defaultESG_EEEEPS6_SJ_NS0_5tupleIJPiSJ_EEENSK_IJSJ_SJ_EEES6_PlJ7is_evenIiEEEE10hipError_tPvRmT3_T4_T5_T6_T7_T9_mT8_P12ihipStream_tbDpT10_ENKUlT_T0_E_clISt17integral_constantIbLb0EES1A_EEDaS15_S16_EUlS15_E_NS1_11comp_targetILNS1_3genE4ELNS1_11target_archE910ELNS1_3gpuE8ELNS1_3repE0EEENS1_30default_config_static_selectorELNS0_4arch9wavefront6targetE1EEEvT1_
	.p2align	8
	.type	_ZN7rocprim17ROCPRIM_400000_NS6detail17trampoline_kernelINS0_14default_configENS1_25partition_config_selectorILNS1_17partition_subalgoE3EiNS0_10empty_typeEbEEZZNS1_14partition_implILS5_3ELb0ES3_jN6thrust23THRUST_200600_302600_NS6detail15normal_iteratorINSA_7pointerIiNSA_11hip_rocprim5par_tENSA_11use_defaultESG_EEEEPS6_SJ_NS0_5tupleIJPiSJ_EEENSK_IJSJ_SJ_EEES6_PlJ7is_evenIiEEEE10hipError_tPvRmT3_T4_T5_T6_T7_T9_mT8_P12ihipStream_tbDpT10_ENKUlT_T0_E_clISt17integral_constantIbLb0EES1A_EEDaS15_S16_EUlS15_E_NS1_11comp_targetILNS1_3genE4ELNS1_11target_archE910ELNS1_3gpuE8ELNS1_3repE0EEENS1_30default_config_static_selectorELNS0_4arch9wavefront6targetE1EEEvT1_,@function
_ZN7rocprim17ROCPRIM_400000_NS6detail17trampoline_kernelINS0_14default_configENS1_25partition_config_selectorILNS1_17partition_subalgoE3EiNS0_10empty_typeEbEEZZNS1_14partition_implILS5_3ELb0ES3_jN6thrust23THRUST_200600_302600_NS6detail15normal_iteratorINSA_7pointerIiNSA_11hip_rocprim5par_tENSA_11use_defaultESG_EEEEPS6_SJ_NS0_5tupleIJPiSJ_EEENSK_IJSJ_SJ_EEES6_PlJ7is_evenIiEEEE10hipError_tPvRmT3_T4_T5_T6_T7_T9_mT8_P12ihipStream_tbDpT10_ENKUlT_T0_E_clISt17integral_constantIbLb0EES1A_EEDaS15_S16_EUlS15_E_NS1_11comp_targetILNS1_3genE4ELNS1_11target_archE910ELNS1_3gpuE8ELNS1_3repE0EEENS1_30default_config_static_selectorELNS0_4arch9wavefront6targetE1EEEvT1_: ; @_ZN7rocprim17ROCPRIM_400000_NS6detail17trampoline_kernelINS0_14default_configENS1_25partition_config_selectorILNS1_17partition_subalgoE3EiNS0_10empty_typeEbEEZZNS1_14partition_implILS5_3ELb0ES3_jN6thrust23THRUST_200600_302600_NS6detail15normal_iteratorINSA_7pointerIiNSA_11hip_rocprim5par_tENSA_11use_defaultESG_EEEEPS6_SJ_NS0_5tupleIJPiSJ_EEENSK_IJSJ_SJ_EEES6_PlJ7is_evenIiEEEE10hipError_tPvRmT3_T4_T5_T6_T7_T9_mT8_P12ihipStream_tbDpT10_ENKUlT_T0_E_clISt17integral_constantIbLb0EES1A_EEDaS15_S16_EUlS15_E_NS1_11comp_targetILNS1_3genE4ELNS1_11target_archE910ELNS1_3gpuE8ELNS1_3repE0EEENS1_30default_config_static_selectorELNS0_4arch9wavefront6targetE1EEEvT1_
; %bb.0:
	.section	.rodata,"a",@progbits
	.p2align	6, 0x0
	.amdhsa_kernel _ZN7rocprim17ROCPRIM_400000_NS6detail17trampoline_kernelINS0_14default_configENS1_25partition_config_selectorILNS1_17partition_subalgoE3EiNS0_10empty_typeEbEEZZNS1_14partition_implILS5_3ELb0ES3_jN6thrust23THRUST_200600_302600_NS6detail15normal_iteratorINSA_7pointerIiNSA_11hip_rocprim5par_tENSA_11use_defaultESG_EEEEPS6_SJ_NS0_5tupleIJPiSJ_EEENSK_IJSJ_SJ_EEES6_PlJ7is_evenIiEEEE10hipError_tPvRmT3_T4_T5_T6_T7_T9_mT8_P12ihipStream_tbDpT10_ENKUlT_T0_E_clISt17integral_constantIbLb0EES1A_EEDaS15_S16_EUlS15_E_NS1_11comp_targetILNS1_3genE4ELNS1_11target_archE910ELNS1_3gpuE8ELNS1_3repE0EEENS1_30default_config_static_selectorELNS0_4arch9wavefront6targetE1EEEvT1_
		.amdhsa_group_segment_fixed_size 0
		.amdhsa_private_segment_fixed_size 0
		.amdhsa_kernarg_size 120
		.amdhsa_user_sgpr_count 2
		.amdhsa_user_sgpr_dispatch_ptr 0
		.amdhsa_user_sgpr_queue_ptr 0
		.amdhsa_user_sgpr_kernarg_segment_ptr 1
		.amdhsa_user_sgpr_dispatch_id 0
		.amdhsa_user_sgpr_kernarg_preload_length 0
		.amdhsa_user_sgpr_kernarg_preload_offset 0
		.amdhsa_user_sgpr_private_segment_size 0
		.amdhsa_uses_dynamic_stack 0
		.amdhsa_enable_private_segment 0
		.amdhsa_system_sgpr_workgroup_id_x 1
		.amdhsa_system_sgpr_workgroup_id_y 0
		.amdhsa_system_sgpr_workgroup_id_z 0
		.amdhsa_system_sgpr_workgroup_info 0
		.amdhsa_system_vgpr_workitem_id 0
		.amdhsa_next_free_vgpr 1
		.amdhsa_next_free_sgpr 0
		.amdhsa_accum_offset 4
		.amdhsa_reserve_vcc 0
		.amdhsa_float_round_mode_32 0
		.amdhsa_float_round_mode_16_64 0
		.amdhsa_float_denorm_mode_32 3
		.amdhsa_float_denorm_mode_16_64 3
		.amdhsa_dx10_clamp 1
		.amdhsa_ieee_mode 1
		.amdhsa_fp16_overflow 0
		.amdhsa_tg_split 0
		.amdhsa_exception_fp_ieee_invalid_op 0
		.amdhsa_exception_fp_denorm_src 0
		.amdhsa_exception_fp_ieee_div_zero 0
		.amdhsa_exception_fp_ieee_overflow 0
		.amdhsa_exception_fp_ieee_underflow 0
		.amdhsa_exception_fp_ieee_inexact 0
		.amdhsa_exception_int_div_zero 0
	.end_amdhsa_kernel
	.section	.text._ZN7rocprim17ROCPRIM_400000_NS6detail17trampoline_kernelINS0_14default_configENS1_25partition_config_selectorILNS1_17partition_subalgoE3EiNS0_10empty_typeEbEEZZNS1_14partition_implILS5_3ELb0ES3_jN6thrust23THRUST_200600_302600_NS6detail15normal_iteratorINSA_7pointerIiNSA_11hip_rocprim5par_tENSA_11use_defaultESG_EEEEPS6_SJ_NS0_5tupleIJPiSJ_EEENSK_IJSJ_SJ_EEES6_PlJ7is_evenIiEEEE10hipError_tPvRmT3_T4_T5_T6_T7_T9_mT8_P12ihipStream_tbDpT10_ENKUlT_T0_E_clISt17integral_constantIbLb0EES1A_EEDaS15_S16_EUlS15_E_NS1_11comp_targetILNS1_3genE4ELNS1_11target_archE910ELNS1_3gpuE8ELNS1_3repE0EEENS1_30default_config_static_selectorELNS0_4arch9wavefront6targetE1EEEvT1_,"axG",@progbits,_ZN7rocprim17ROCPRIM_400000_NS6detail17trampoline_kernelINS0_14default_configENS1_25partition_config_selectorILNS1_17partition_subalgoE3EiNS0_10empty_typeEbEEZZNS1_14partition_implILS5_3ELb0ES3_jN6thrust23THRUST_200600_302600_NS6detail15normal_iteratorINSA_7pointerIiNSA_11hip_rocprim5par_tENSA_11use_defaultESG_EEEEPS6_SJ_NS0_5tupleIJPiSJ_EEENSK_IJSJ_SJ_EEES6_PlJ7is_evenIiEEEE10hipError_tPvRmT3_T4_T5_T6_T7_T9_mT8_P12ihipStream_tbDpT10_ENKUlT_T0_E_clISt17integral_constantIbLb0EES1A_EEDaS15_S16_EUlS15_E_NS1_11comp_targetILNS1_3genE4ELNS1_11target_archE910ELNS1_3gpuE8ELNS1_3repE0EEENS1_30default_config_static_selectorELNS0_4arch9wavefront6targetE1EEEvT1_,comdat
.Lfunc_end3664:
	.size	_ZN7rocprim17ROCPRIM_400000_NS6detail17trampoline_kernelINS0_14default_configENS1_25partition_config_selectorILNS1_17partition_subalgoE3EiNS0_10empty_typeEbEEZZNS1_14partition_implILS5_3ELb0ES3_jN6thrust23THRUST_200600_302600_NS6detail15normal_iteratorINSA_7pointerIiNSA_11hip_rocprim5par_tENSA_11use_defaultESG_EEEEPS6_SJ_NS0_5tupleIJPiSJ_EEENSK_IJSJ_SJ_EEES6_PlJ7is_evenIiEEEE10hipError_tPvRmT3_T4_T5_T6_T7_T9_mT8_P12ihipStream_tbDpT10_ENKUlT_T0_E_clISt17integral_constantIbLb0EES1A_EEDaS15_S16_EUlS15_E_NS1_11comp_targetILNS1_3genE4ELNS1_11target_archE910ELNS1_3gpuE8ELNS1_3repE0EEENS1_30default_config_static_selectorELNS0_4arch9wavefront6targetE1EEEvT1_, .Lfunc_end3664-_ZN7rocprim17ROCPRIM_400000_NS6detail17trampoline_kernelINS0_14default_configENS1_25partition_config_selectorILNS1_17partition_subalgoE3EiNS0_10empty_typeEbEEZZNS1_14partition_implILS5_3ELb0ES3_jN6thrust23THRUST_200600_302600_NS6detail15normal_iteratorINSA_7pointerIiNSA_11hip_rocprim5par_tENSA_11use_defaultESG_EEEEPS6_SJ_NS0_5tupleIJPiSJ_EEENSK_IJSJ_SJ_EEES6_PlJ7is_evenIiEEEE10hipError_tPvRmT3_T4_T5_T6_T7_T9_mT8_P12ihipStream_tbDpT10_ENKUlT_T0_E_clISt17integral_constantIbLb0EES1A_EEDaS15_S16_EUlS15_E_NS1_11comp_targetILNS1_3genE4ELNS1_11target_archE910ELNS1_3gpuE8ELNS1_3repE0EEENS1_30default_config_static_selectorELNS0_4arch9wavefront6targetE1EEEvT1_
                                        ; -- End function
	.section	.AMDGPU.csdata,"",@progbits
; Kernel info:
; codeLenInByte = 0
; NumSgprs: 6
; NumVgprs: 0
; NumAgprs: 0
; TotalNumVgprs: 0
; ScratchSize: 0
; MemoryBound: 0
; FloatMode: 240
; IeeeMode: 1
; LDSByteSize: 0 bytes/workgroup (compile time only)
; SGPRBlocks: 0
; VGPRBlocks: 0
; NumSGPRsForWavesPerEU: 6
; NumVGPRsForWavesPerEU: 1
; AccumOffset: 4
; Occupancy: 8
; WaveLimiterHint : 0
; COMPUTE_PGM_RSRC2:SCRATCH_EN: 0
; COMPUTE_PGM_RSRC2:USER_SGPR: 2
; COMPUTE_PGM_RSRC2:TRAP_HANDLER: 0
; COMPUTE_PGM_RSRC2:TGID_X_EN: 1
; COMPUTE_PGM_RSRC2:TGID_Y_EN: 0
; COMPUTE_PGM_RSRC2:TGID_Z_EN: 0
; COMPUTE_PGM_RSRC2:TIDIG_COMP_CNT: 0
; COMPUTE_PGM_RSRC3_GFX90A:ACCUM_OFFSET: 0
; COMPUTE_PGM_RSRC3_GFX90A:TG_SPLIT: 0
	.section	.text._ZN7rocprim17ROCPRIM_400000_NS6detail17trampoline_kernelINS0_14default_configENS1_25partition_config_selectorILNS1_17partition_subalgoE3EiNS0_10empty_typeEbEEZZNS1_14partition_implILS5_3ELb0ES3_jN6thrust23THRUST_200600_302600_NS6detail15normal_iteratorINSA_7pointerIiNSA_11hip_rocprim5par_tENSA_11use_defaultESG_EEEEPS6_SJ_NS0_5tupleIJPiSJ_EEENSK_IJSJ_SJ_EEES6_PlJ7is_evenIiEEEE10hipError_tPvRmT3_T4_T5_T6_T7_T9_mT8_P12ihipStream_tbDpT10_ENKUlT_T0_E_clISt17integral_constantIbLb0EES1A_EEDaS15_S16_EUlS15_E_NS1_11comp_targetILNS1_3genE3ELNS1_11target_archE908ELNS1_3gpuE7ELNS1_3repE0EEENS1_30default_config_static_selectorELNS0_4arch9wavefront6targetE1EEEvT1_,"axG",@progbits,_ZN7rocprim17ROCPRIM_400000_NS6detail17trampoline_kernelINS0_14default_configENS1_25partition_config_selectorILNS1_17partition_subalgoE3EiNS0_10empty_typeEbEEZZNS1_14partition_implILS5_3ELb0ES3_jN6thrust23THRUST_200600_302600_NS6detail15normal_iteratorINSA_7pointerIiNSA_11hip_rocprim5par_tENSA_11use_defaultESG_EEEEPS6_SJ_NS0_5tupleIJPiSJ_EEENSK_IJSJ_SJ_EEES6_PlJ7is_evenIiEEEE10hipError_tPvRmT3_T4_T5_T6_T7_T9_mT8_P12ihipStream_tbDpT10_ENKUlT_T0_E_clISt17integral_constantIbLb0EES1A_EEDaS15_S16_EUlS15_E_NS1_11comp_targetILNS1_3genE3ELNS1_11target_archE908ELNS1_3gpuE7ELNS1_3repE0EEENS1_30default_config_static_selectorELNS0_4arch9wavefront6targetE1EEEvT1_,comdat
	.protected	_ZN7rocprim17ROCPRIM_400000_NS6detail17trampoline_kernelINS0_14default_configENS1_25partition_config_selectorILNS1_17partition_subalgoE3EiNS0_10empty_typeEbEEZZNS1_14partition_implILS5_3ELb0ES3_jN6thrust23THRUST_200600_302600_NS6detail15normal_iteratorINSA_7pointerIiNSA_11hip_rocprim5par_tENSA_11use_defaultESG_EEEEPS6_SJ_NS0_5tupleIJPiSJ_EEENSK_IJSJ_SJ_EEES6_PlJ7is_evenIiEEEE10hipError_tPvRmT3_T4_T5_T6_T7_T9_mT8_P12ihipStream_tbDpT10_ENKUlT_T0_E_clISt17integral_constantIbLb0EES1A_EEDaS15_S16_EUlS15_E_NS1_11comp_targetILNS1_3genE3ELNS1_11target_archE908ELNS1_3gpuE7ELNS1_3repE0EEENS1_30default_config_static_selectorELNS0_4arch9wavefront6targetE1EEEvT1_ ; -- Begin function _ZN7rocprim17ROCPRIM_400000_NS6detail17trampoline_kernelINS0_14default_configENS1_25partition_config_selectorILNS1_17partition_subalgoE3EiNS0_10empty_typeEbEEZZNS1_14partition_implILS5_3ELb0ES3_jN6thrust23THRUST_200600_302600_NS6detail15normal_iteratorINSA_7pointerIiNSA_11hip_rocprim5par_tENSA_11use_defaultESG_EEEEPS6_SJ_NS0_5tupleIJPiSJ_EEENSK_IJSJ_SJ_EEES6_PlJ7is_evenIiEEEE10hipError_tPvRmT3_T4_T5_T6_T7_T9_mT8_P12ihipStream_tbDpT10_ENKUlT_T0_E_clISt17integral_constantIbLb0EES1A_EEDaS15_S16_EUlS15_E_NS1_11comp_targetILNS1_3genE3ELNS1_11target_archE908ELNS1_3gpuE7ELNS1_3repE0EEENS1_30default_config_static_selectorELNS0_4arch9wavefront6targetE1EEEvT1_
	.globl	_ZN7rocprim17ROCPRIM_400000_NS6detail17trampoline_kernelINS0_14default_configENS1_25partition_config_selectorILNS1_17partition_subalgoE3EiNS0_10empty_typeEbEEZZNS1_14partition_implILS5_3ELb0ES3_jN6thrust23THRUST_200600_302600_NS6detail15normal_iteratorINSA_7pointerIiNSA_11hip_rocprim5par_tENSA_11use_defaultESG_EEEEPS6_SJ_NS0_5tupleIJPiSJ_EEENSK_IJSJ_SJ_EEES6_PlJ7is_evenIiEEEE10hipError_tPvRmT3_T4_T5_T6_T7_T9_mT8_P12ihipStream_tbDpT10_ENKUlT_T0_E_clISt17integral_constantIbLb0EES1A_EEDaS15_S16_EUlS15_E_NS1_11comp_targetILNS1_3genE3ELNS1_11target_archE908ELNS1_3gpuE7ELNS1_3repE0EEENS1_30default_config_static_selectorELNS0_4arch9wavefront6targetE1EEEvT1_
	.p2align	8
	.type	_ZN7rocprim17ROCPRIM_400000_NS6detail17trampoline_kernelINS0_14default_configENS1_25partition_config_selectorILNS1_17partition_subalgoE3EiNS0_10empty_typeEbEEZZNS1_14partition_implILS5_3ELb0ES3_jN6thrust23THRUST_200600_302600_NS6detail15normal_iteratorINSA_7pointerIiNSA_11hip_rocprim5par_tENSA_11use_defaultESG_EEEEPS6_SJ_NS0_5tupleIJPiSJ_EEENSK_IJSJ_SJ_EEES6_PlJ7is_evenIiEEEE10hipError_tPvRmT3_T4_T5_T6_T7_T9_mT8_P12ihipStream_tbDpT10_ENKUlT_T0_E_clISt17integral_constantIbLb0EES1A_EEDaS15_S16_EUlS15_E_NS1_11comp_targetILNS1_3genE3ELNS1_11target_archE908ELNS1_3gpuE7ELNS1_3repE0EEENS1_30default_config_static_selectorELNS0_4arch9wavefront6targetE1EEEvT1_,@function
_ZN7rocprim17ROCPRIM_400000_NS6detail17trampoline_kernelINS0_14default_configENS1_25partition_config_selectorILNS1_17partition_subalgoE3EiNS0_10empty_typeEbEEZZNS1_14partition_implILS5_3ELb0ES3_jN6thrust23THRUST_200600_302600_NS6detail15normal_iteratorINSA_7pointerIiNSA_11hip_rocprim5par_tENSA_11use_defaultESG_EEEEPS6_SJ_NS0_5tupleIJPiSJ_EEENSK_IJSJ_SJ_EEES6_PlJ7is_evenIiEEEE10hipError_tPvRmT3_T4_T5_T6_T7_T9_mT8_P12ihipStream_tbDpT10_ENKUlT_T0_E_clISt17integral_constantIbLb0EES1A_EEDaS15_S16_EUlS15_E_NS1_11comp_targetILNS1_3genE3ELNS1_11target_archE908ELNS1_3gpuE7ELNS1_3repE0EEENS1_30default_config_static_selectorELNS0_4arch9wavefront6targetE1EEEvT1_: ; @_ZN7rocprim17ROCPRIM_400000_NS6detail17trampoline_kernelINS0_14default_configENS1_25partition_config_selectorILNS1_17partition_subalgoE3EiNS0_10empty_typeEbEEZZNS1_14partition_implILS5_3ELb0ES3_jN6thrust23THRUST_200600_302600_NS6detail15normal_iteratorINSA_7pointerIiNSA_11hip_rocprim5par_tENSA_11use_defaultESG_EEEEPS6_SJ_NS0_5tupleIJPiSJ_EEENSK_IJSJ_SJ_EEES6_PlJ7is_evenIiEEEE10hipError_tPvRmT3_T4_T5_T6_T7_T9_mT8_P12ihipStream_tbDpT10_ENKUlT_T0_E_clISt17integral_constantIbLb0EES1A_EEDaS15_S16_EUlS15_E_NS1_11comp_targetILNS1_3genE3ELNS1_11target_archE908ELNS1_3gpuE7ELNS1_3repE0EEENS1_30default_config_static_selectorELNS0_4arch9wavefront6targetE1EEEvT1_
; %bb.0:
	.section	.rodata,"a",@progbits
	.p2align	6, 0x0
	.amdhsa_kernel _ZN7rocprim17ROCPRIM_400000_NS6detail17trampoline_kernelINS0_14default_configENS1_25partition_config_selectorILNS1_17partition_subalgoE3EiNS0_10empty_typeEbEEZZNS1_14partition_implILS5_3ELb0ES3_jN6thrust23THRUST_200600_302600_NS6detail15normal_iteratorINSA_7pointerIiNSA_11hip_rocprim5par_tENSA_11use_defaultESG_EEEEPS6_SJ_NS0_5tupleIJPiSJ_EEENSK_IJSJ_SJ_EEES6_PlJ7is_evenIiEEEE10hipError_tPvRmT3_T4_T5_T6_T7_T9_mT8_P12ihipStream_tbDpT10_ENKUlT_T0_E_clISt17integral_constantIbLb0EES1A_EEDaS15_S16_EUlS15_E_NS1_11comp_targetILNS1_3genE3ELNS1_11target_archE908ELNS1_3gpuE7ELNS1_3repE0EEENS1_30default_config_static_selectorELNS0_4arch9wavefront6targetE1EEEvT1_
		.amdhsa_group_segment_fixed_size 0
		.amdhsa_private_segment_fixed_size 0
		.amdhsa_kernarg_size 120
		.amdhsa_user_sgpr_count 2
		.amdhsa_user_sgpr_dispatch_ptr 0
		.amdhsa_user_sgpr_queue_ptr 0
		.amdhsa_user_sgpr_kernarg_segment_ptr 1
		.amdhsa_user_sgpr_dispatch_id 0
		.amdhsa_user_sgpr_kernarg_preload_length 0
		.amdhsa_user_sgpr_kernarg_preload_offset 0
		.amdhsa_user_sgpr_private_segment_size 0
		.amdhsa_uses_dynamic_stack 0
		.amdhsa_enable_private_segment 0
		.amdhsa_system_sgpr_workgroup_id_x 1
		.amdhsa_system_sgpr_workgroup_id_y 0
		.amdhsa_system_sgpr_workgroup_id_z 0
		.amdhsa_system_sgpr_workgroup_info 0
		.amdhsa_system_vgpr_workitem_id 0
		.amdhsa_next_free_vgpr 1
		.amdhsa_next_free_sgpr 0
		.amdhsa_accum_offset 4
		.amdhsa_reserve_vcc 0
		.amdhsa_float_round_mode_32 0
		.amdhsa_float_round_mode_16_64 0
		.amdhsa_float_denorm_mode_32 3
		.amdhsa_float_denorm_mode_16_64 3
		.amdhsa_dx10_clamp 1
		.amdhsa_ieee_mode 1
		.amdhsa_fp16_overflow 0
		.amdhsa_tg_split 0
		.amdhsa_exception_fp_ieee_invalid_op 0
		.amdhsa_exception_fp_denorm_src 0
		.amdhsa_exception_fp_ieee_div_zero 0
		.amdhsa_exception_fp_ieee_overflow 0
		.amdhsa_exception_fp_ieee_underflow 0
		.amdhsa_exception_fp_ieee_inexact 0
		.amdhsa_exception_int_div_zero 0
	.end_amdhsa_kernel
	.section	.text._ZN7rocprim17ROCPRIM_400000_NS6detail17trampoline_kernelINS0_14default_configENS1_25partition_config_selectorILNS1_17partition_subalgoE3EiNS0_10empty_typeEbEEZZNS1_14partition_implILS5_3ELb0ES3_jN6thrust23THRUST_200600_302600_NS6detail15normal_iteratorINSA_7pointerIiNSA_11hip_rocprim5par_tENSA_11use_defaultESG_EEEEPS6_SJ_NS0_5tupleIJPiSJ_EEENSK_IJSJ_SJ_EEES6_PlJ7is_evenIiEEEE10hipError_tPvRmT3_T4_T5_T6_T7_T9_mT8_P12ihipStream_tbDpT10_ENKUlT_T0_E_clISt17integral_constantIbLb0EES1A_EEDaS15_S16_EUlS15_E_NS1_11comp_targetILNS1_3genE3ELNS1_11target_archE908ELNS1_3gpuE7ELNS1_3repE0EEENS1_30default_config_static_selectorELNS0_4arch9wavefront6targetE1EEEvT1_,"axG",@progbits,_ZN7rocprim17ROCPRIM_400000_NS6detail17trampoline_kernelINS0_14default_configENS1_25partition_config_selectorILNS1_17partition_subalgoE3EiNS0_10empty_typeEbEEZZNS1_14partition_implILS5_3ELb0ES3_jN6thrust23THRUST_200600_302600_NS6detail15normal_iteratorINSA_7pointerIiNSA_11hip_rocprim5par_tENSA_11use_defaultESG_EEEEPS6_SJ_NS0_5tupleIJPiSJ_EEENSK_IJSJ_SJ_EEES6_PlJ7is_evenIiEEEE10hipError_tPvRmT3_T4_T5_T6_T7_T9_mT8_P12ihipStream_tbDpT10_ENKUlT_T0_E_clISt17integral_constantIbLb0EES1A_EEDaS15_S16_EUlS15_E_NS1_11comp_targetILNS1_3genE3ELNS1_11target_archE908ELNS1_3gpuE7ELNS1_3repE0EEENS1_30default_config_static_selectorELNS0_4arch9wavefront6targetE1EEEvT1_,comdat
.Lfunc_end3665:
	.size	_ZN7rocprim17ROCPRIM_400000_NS6detail17trampoline_kernelINS0_14default_configENS1_25partition_config_selectorILNS1_17partition_subalgoE3EiNS0_10empty_typeEbEEZZNS1_14partition_implILS5_3ELb0ES3_jN6thrust23THRUST_200600_302600_NS6detail15normal_iteratorINSA_7pointerIiNSA_11hip_rocprim5par_tENSA_11use_defaultESG_EEEEPS6_SJ_NS0_5tupleIJPiSJ_EEENSK_IJSJ_SJ_EEES6_PlJ7is_evenIiEEEE10hipError_tPvRmT3_T4_T5_T6_T7_T9_mT8_P12ihipStream_tbDpT10_ENKUlT_T0_E_clISt17integral_constantIbLb0EES1A_EEDaS15_S16_EUlS15_E_NS1_11comp_targetILNS1_3genE3ELNS1_11target_archE908ELNS1_3gpuE7ELNS1_3repE0EEENS1_30default_config_static_selectorELNS0_4arch9wavefront6targetE1EEEvT1_, .Lfunc_end3665-_ZN7rocprim17ROCPRIM_400000_NS6detail17trampoline_kernelINS0_14default_configENS1_25partition_config_selectorILNS1_17partition_subalgoE3EiNS0_10empty_typeEbEEZZNS1_14partition_implILS5_3ELb0ES3_jN6thrust23THRUST_200600_302600_NS6detail15normal_iteratorINSA_7pointerIiNSA_11hip_rocprim5par_tENSA_11use_defaultESG_EEEEPS6_SJ_NS0_5tupleIJPiSJ_EEENSK_IJSJ_SJ_EEES6_PlJ7is_evenIiEEEE10hipError_tPvRmT3_T4_T5_T6_T7_T9_mT8_P12ihipStream_tbDpT10_ENKUlT_T0_E_clISt17integral_constantIbLb0EES1A_EEDaS15_S16_EUlS15_E_NS1_11comp_targetILNS1_3genE3ELNS1_11target_archE908ELNS1_3gpuE7ELNS1_3repE0EEENS1_30default_config_static_selectorELNS0_4arch9wavefront6targetE1EEEvT1_
                                        ; -- End function
	.section	.AMDGPU.csdata,"",@progbits
; Kernel info:
; codeLenInByte = 0
; NumSgprs: 6
; NumVgprs: 0
; NumAgprs: 0
; TotalNumVgprs: 0
; ScratchSize: 0
; MemoryBound: 0
; FloatMode: 240
; IeeeMode: 1
; LDSByteSize: 0 bytes/workgroup (compile time only)
; SGPRBlocks: 0
; VGPRBlocks: 0
; NumSGPRsForWavesPerEU: 6
; NumVGPRsForWavesPerEU: 1
; AccumOffset: 4
; Occupancy: 8
; WaveLimiterHint : 0
; COMPUTE_PGM_RSRC2:SCRATCH_EN: 0
; COMPUTE_PGM_RSRC2:USER_SGPR: 2
; COMPUTE_PGM_RSRC2:TRAP_HANDLER: 0
; COMPUTE_PGM_RSRC2:TGID_X_EN: 1
; COMPUTE_PGM_RSRC2:TGID_Y_EN: 0
; COMPUTE_PGM_RSRC2:TGID_Z_EN: 0
; COMPUTE_PGM_RSRC2:TIDIG_COMP_CNT: 0
; COMPUTE_PGM_RSRC3_GFX90A:ACCUM_OFFSET: 0
; COMPUTE_PGM_RSRC3_GFX90A:TG_SPLIT: 0
	.section	.text._ZN7rocprim17ROCPRIM_400000_NS6detail17trampoline_kernelINS0_14default_configENS1_25partition_config_selectorILNS1_17partition_subalgoE3EiNS0_10empty_typeEbEEZZNS1_14partition_implILS5_3ELb0ES3_jN6thrust23THRUST_200600_302600_NS6detail15normal_iteratorINSA_7pointerIiNSA_11hip_rocprim5par_tENSA_11use_defaultESG_EEEEPS6_SJ_NS0_5tupleIJPiSJ_EEENSK_IJSJ_SJ_EEES6_PlJ7is_evenIiEEEE10hipError_tPvRmT3_T4_T5_T6_T7_T9_mT8_P12ihipStream_tbDpT10_ENKUlT_T0_E_clISt17integral_constantIbLb0EES1A_EEDaS15_S16_EUlS15_E_NS1_11comp_targetILNS1_3genE2ELNS1_11target_archE906ELNS1_3gpuE6ELNS1_3repE0EEENS1_30default_config_static_selectorELNS0_4arch9wavefront6targetE1EEEvT1_,"axG",@progbits,_ZN7rocprim17ROCPRIM_400000_NS6detail17trampoline_kernelINS0_14default_configENS1_25partition_config_selectorILNS1_17partition_subalgoE3EiNS0_10empty_typeEbEEZZNS1_14partition_implILS5_3ELb0ES3_jN6thrust23THRUST_200600_302600_NS6detail15normal_iteratorINSA_7pointerIiNSA_11hip_rocprim5par_tENSA_11use_defaultESG_EEEEPS6_SJ_NS0_5tupleIJPiSJ_EEENSK_IJSJ_SJ_EEES6_PlJ7is_evenIiEEEE10hipError_tPvRmT3_T4_T5_T6_T7_T9_mT8_P12ihipStream_tbDpT10_ENKUlT_T0_E_clISt17integral_constantIbLb0EES1A_EEDaS15_S16_EUlS15_E_NS1_11comp_targetILNS1_3genE2ELNS1_11target_archE906ELNS1_3gpuE6ELNS1_3repE0EEENS1_30default_config_static_selectorELNS0_4arch9wavefront6targetE1EEEvT1_,comdat
	.protected	_ZN7rocprim17ROCPRIM_400000_NS6detail17trampoline_kernelINS0_14default_configENS1_25partition_config_selectorILNS1_17partition_subalgoE3EiNS0_10empty_typeEbEEZZNS1_14partition_implILS5_3ELb0ES3_jN6thrust23THRUST_200600_302600_NS6detail15normal_iteratorINSA_7pointerIiNSA_11hip_rocprim5par_tENSA_11use_defaultESG_EEEEPS6_SJ_NS0_5tupleIJPiSJ_EEENSK_IJSJ_SJ_EEES6_PlJ7is_evenIiEEEE10hipError_tPvRmT3_T4_T5_T6_T7_T9_mT8_P12ihipStream_tbDpT10_ENKUlT_T0_E_clISt17integral_constantIbLb0EES1A_EEDaS15_S16_EUlS15_E_NS1_11comp_targetILNS1_3genE2ELNS1_11target_archE906ELNS1_3gpuE6ELNS1_3repE0EEENS1_30default_config_static_selectorELNS0_4arch9wavefront6targetE1EEEvT1_ ; -- Begin function _ZN7rocprim17ROCPRIM_400000_NS6detail17trampoline_kernelINS0_14default_configENS1_25partition_config_selectorILNS1_17partition_subalgoE3EiNS0_10empty_typeEbEEZZNS1_14partition_implILS5_3ELb0ES3_jN6thrust23THRUST_200600_302600_NS6detail15normal_iteratorINSA_7pointerIiNSA_11hip_rocprim5par_tENSA_11use_defaultESG_EEEEPS6_SJ_NS0_5tupleIJPiSJ_EEENSK_IJSJ_SJ_EEES6_PlJ7is_evenIiEEEE10hipError_tPvRmT3_T4_T5_T6_T7_T9_mT8_P12ihipStream_tbDpT10_ENKUlT_T0_E_clISt17integral_constantIbLb0EES1A_EEDaS15_S16_EUlS15_E_NS1_11comp_targetILNS1_3genE2ELNS1_11target_archE906ELNS1_3gpuE6ELNS1_3repE0EEENS1_30default_config_static_selectorELNS0_4arch9wavefront6targetE1EEEvT1_
	.globl	_ZN7rocprim17ROCPRIM_400000_NS6detail17trampoline_kernelINS0_14default_configENS1_25partition_config_selectorILNS1_17partition_subalgoE3EiNS0_10empty_typeEbEEZZNS1_14partition_implILS5_3ELb0ES3_jN6thrust23THRUST_200600_302600_NS6detail15normal_iteratorINSA_7pointerIiNSA_11hip_rocprim5par_tENSA_11use_defaultESG_EEEEPS6_SJ_NS0_5tupleIJPiSJ_EEENSK_IJSJ_SJ_EEES6_PlJ7is_evenIiEEEE10hipError_tPvRmT3_T4_T5_T6_T7_T9_mT8_P12ihipStream_tbDpT10_ENKUlT_T0_E_clISt17integral_constantIbLb0EES1A_EEDaS15_S16_EUlS15_E_NS1_11comp_targetILNS1_3genE2ELNS1_11target_archE906ELNS1_3gpuE6ELNS1_3repE0EEENS1_30default_config_static_selectorELNS0_4arch9wavefront6targetE1EEEvT1_
	.p2align	8
	.type	_ZN7rocprim17ROCPRIM_400000_NS6detail17trampoline_kernelINS0_14default_configENS1_25partition_config_selectorILNS1_17partition_subalgoE3EiNS0_10empty_typeEbEEZZNS1_14partition_implILS5_3ELb0ES3_jN6thrust23THRUST_200600_302600_NS6detail15normal_iteratorINSA_7pointerIiNSA_11hip_rocprim5par_tENSA_11use_defaultESG_EEEEPS6_SJ_NS0_5tupleIJPiSJ_EEENSK_IJSJ_SJ_EEES6_PlJ7is_evenIiEEEE10hipError_tPvRmT3_T4_T5_T6_T7_T9_mT8_P12ihipStream_tbDpT10_ENKUlT_T0_E_clISt17integral_constantIbLb0EES1A_EEDaS15_S16_EUlS15_E_NS1_11comp_targetILNS1_3genE2ELNS1_11target_archE906ELNS1_3gpuE6ELNS1_3repE0EEENS1_30default_config_static_selectorELNS0_4arch9wavefront6targetE1EEEvT1_,@function
_ZN7rocprim17ROCPRIM_400000_NS6detail17trampoline_kernelINS0_14default_configENS1_25partition_config_selectorILNS1_17partition_subalgoE3EiNS0_10empty_typeEbEEZZNS1_14partition_implILS5_3ELb0ES3_jN6thrust23THRUST_200600_302600_NS6detail15normal_iteratorINSA_7pointerIiNSA_11hip_rocprim5par_tENSA_11use_defaultESG_EEEEPS6_SJ_NS0_5tupleIJPiSJ_EEENSK_IJSJ_SJ_EEES6_PlJ7is_evenIiEEEE10hipError_tPvRmT3_T4_T5_T6_T7_T9_mT8_P12ihipStream_tbDpT10_ENKUlT_T0_E_clISt17integral_constantIbLb0EES1A_EEDaS15_S16_EUlS15_E_NS1_11comp_targetILNS1_3genE2ELNS1_11target_archE906ELNS1_3gpuE6ELNS1_3repE0EEENS1_30default_config_static_selectorELNS0_4arch9wavefront6targetE1EEEvT1_: ; @_ZN7rocprim17ROCPRIM_400000_NS6detail17trampoline_kernelINS0_14default_configENS1_25partition_config_selectorILNS1_17partition_subalgoE3EiNS0_10empty_typeEbEEZZNS1_14partition_implILS5_3ELb0ES3_jN6thrust23THRUST_200600_302600_NS6detail15normal_iteratorINSA_7pointerIiNSA_11hip_rocprim5par_tENSA_11use_defaultESG_EEEEPS6_SJ_NS0_5tupleIJPiSJ_EEENSK_IJSJ_SJ_EEES6_PlJ7is_evenIiEEEE10hipError_tPvRmT3_T4_T5_T6_T7_T9_mT8_P12ihipStream_tbDpT10_ENKUlT_T0_E_clISt17integral_constantIbLb0EES1A_EEDaS15_S16_EUlS15_E_NS1_11comp_targetILNS1_3genE2ELNS1_11target_archE906ELNS1_3gpuE6ELNS1_3repE0EEENS1_30default_config_static_selectorELNS0_4arch9wavefront6targetE1EEEvT1_
; %bb.0:
	.section	.rodata,"a",@progbits
	.p2align	6, 0x0
	.amdhsa_kernel _ZN7rocprim17ROCPRIM_400000_NS6detail17trampoline_kernelINS0_14default_configENS1_25partition_config_selectorILNS1_17partition_subalgoE3EiNS0_10empty_typeEbEEZZNS1_14partition_implILS5_3ELb0ES3_jN6thrust23THRUST_200600_302600_NS6detail15normal_iteratorINSA_7pointerIiNSA_11hip_rocprim5par_tENSA_11use_defaultESG_EEEEPS6_SJ_NS0_5tupleIJPiSJ_EEENSK_IJSJ_SJ_EEES6_PlJ7is_evenIiEEEE10hipError_tPvRmT3_T4_T5_T6_T7_T9_mT8_P12ihipStream_tbDpT10_ENKUlT_T0_E_clISt17integral_constantIbLb0EES1A_EEDaS15_S16_EUlS15_E_NS1_11comp_targetILNS1_3genE2ELNS1_11target_archE906ELNS1_3gpuE6ELNS1_3repE0EEENS1_30default_config_static_selectorELNS0_4arch9wavefront6targetE1EEEvT1_
		.amdhsa_group_segment_fixed_size 0
		.amdhsa_private_segment_fixed_size 0
		.amdhsa_kernarg_size 120
		.amdhsa_user_sgpr_count 2
		.amdhsa_user_sgpr_dispatch_ptr 0
		.amdhsa_user_sgpr_queue_ptr 0
		.amdhsa_user_sgpr_kernarg_segment_ptr 1
		.amdhsa_user_sgpr_dispatch_id 0
		.amdhsa_user_sgpr_kernarg_preload_length 0
		.amdhsa_user_sgpr_kernarg_preload_offset 0
		.amdhsa_user_sgpr_private_segment_size 0
		.amdhsa_uses_dynamic_stack 0
		.amdhsa_enable_private_segment 0
		.amdhsa_system_sgpr_workgroup_id_x 1
		.amdhsa_system_sgpr_workgroup_id_y 0
		.amdhsa_system_sgpr_workgroup_id_z 0
		.amdhsa_system_sgpr_workgroup_info 0
		.amdhsa_system_vgpr_workitem_id 0
		.amdhsa_next_free_vgpr 1
		.amdhsa_next_free_sgpr 0
		.amdhsa_accum_offset 4
		.amdhsa_reserve_vcc 0
		.amdhsa_float_round_mode_32 0
		.amdhsa_float_round_mode_16_64 0
		.amdhsa_float_denorm_mode_32 3
		.amdhsa_float_denorm_mode_16_64 3
		.amdhsa_dx10_clamp 1
		.amdhsa_ieee_mode 1
		.amdhsa_fp16_overflow 0
		.amdhsa_tg_split 0
		.amdhsa_exception_fp_ieee_invalid_op 0
		.amdhsa_exception_fp_denorm_src 0
		.amdhsa_exception_fp_ieee_div_zero 0
		.amdhsa_exception_fp_ieee_overflow 0
		.amdhsa_exception_fp_ieee_underflow 0
		.amdhsa_exception_fp_ieee_inexact 0
		.amdhsa_exception_int_div_zero 0
	.end_amdhsa_kernel
	.section	.text._ZN7rocprim17ROCPRIM_400000_NS6detail17trampoline_kernelINS0_14default_configENS1_25partition_config_selectorILNS1_17partition_subalgoE3EiNS0_10empty_typeEbEEZZNS1_14partition_implILS5_3ELb0ES3_jN6thrust23THRUST_200600_302600_NS6detail15normal_iteratorINSA_7pointerIiNSA_11hip_rocprim5par_tENSA_11use_defaultESG_EEEEPS6_SJ_NS0_5tupleIJPiSJ_EEENSK_IJSJ_SJ_EEES6_PlJ7is_evenIiEEEE10hipError_tPvRmT3_T4_T5_T6_T7_T9_mT8_P12ihipStream_tbDpT10_ENKUlT_T0_E_clISt17integral_constantIbLb0EES1A_EEDaS15_S16_EUlS15_E_NS1_11comp_targetILNS1_3genE2ELNS1_11target_archE906ELNS1_3gpuE6ELNS1_3repE0EEENS1_30default_config_static_selectorELNS0_4arch9wavefront6targetE1EEEvT1_,"axG",@progbits,_ZN7rocprim17ROCPRIM_400000_NS6detail17trampoline_kernelINS0_14default_configENS1_25partition_config_selectorILNS1_17partition_subalgoE3EiNS0_10empty_typeEbEEZZNS1_14partition_implILS5_3ELb0ES3_jN6thrust23THRUST_200600_302600_NS6detail15normal_iteratorINSA_7pointerIiNSA_11hip_rocprim5par_tENSA_11use_defaultESG_EEEEPS6_SJ_NS0_5tupleIJPiSJ_EEENSK_IJSJ_SJ_EEES6_PlJ7is_evenIiEEEE10hipError_tPvRmT3_T4_T5_T6_T7_T9_mT8_P12ihipStream_tbDpT10_ENKUlT_T0_E_clISt17integral_constantIbLb0EES1A_EEDaS15_S16_EUlS15_E_NS1_11comp_targetILNS1_3genE2ELNS1_11target_archE906ELNS1_3gpuE6ELNS1_3repE0EEENS1_30default_config_static_selectorELNS0_4arch9wavefront6targetE1EEEvT1_,comdat
.Lfunc_end3666:
	.size	_ZN7rocprim17ROCPRIM_400000_NS6detail17trampoline_kernelINS0_14default_configENS1_25partition_config_selectorILNS1_17partition_subalgoE3EiNS0_10empty_typeEbEEZZNS1_14partition_implILS5_3ELb0ES3_jN6thrust23THRUST_200600_302600_NS6detail15normal_iteratorINSA_7pointerIiNSA_11hip_rocprim5par_tENSA_11use_defaultESG_EEEEPS6_SJ_NS0_5tupleIJPiSJ_EEENSK_IJSJ_SJ_EEES6_PlJ7is_evenIiEEEE10hipError_tPvRmT3_T4_T5_T6_T7_T9_mT8_P12ihipStream_tbDpT10_ENKUlT_T0_E_clISt17integral_constantIbLb0EES1A_EEDaS15_S16_EUlS15_E_NS1_11comp_targetILNS1_3genE2ELNS1_11target_archE906ELNS1_3gpuE6ELNS1_3repE0EEENS1_30default_config_static_selectorELNS0_4arch9wavefront6targetE1EEEvT1_, .Lfunc_end3666-_ZN7rocprim17ROCPRIM_400000_NS6detail17trampoline_kernelINS0_14default_configENS1_25partition_config_selectorILNS1_17partition_subalgoE3EiNS0_10empty_typeEbEEZZNS1_14partition_implILS5_3ELb0ES3_jN6thrust23THRUST_200600_302600_NS6detail15normal_iteratorINSA_7pointerIiNSA_11hip_rocprim5par_tENSA_11use_defaultESG_EEEEPS6_SJ_NS0_5tupleIJPiSJ_EEENSK_IJSJ_SJ_EEES6_PlJ7is_evenIiEEEE10hipError_tPvRmT3_T4_T5_T6_T7_T9_mT8_P12ihipStream_tbDpT10_ENKUlT_T0_E_clISt17integral_constantIbLb0EES1A_EEDaS15_S16_EUlS15_E_NS1_11comp_targetILNS1_3genE2ELNS1_11target_archE906ELNS1_3gpuE6ELNS1_3repE0EEENS1_30default_config_static_selectorELNS0_4arch9wavefront6targetE1EEEvT1_
                                        ; -- End function
	.section	.AMDGPU.csdata,"",@progbits
; Kernel info:
; codeLenInByte = 0
; NumSgprs: 6
; NumVgprs: 0
; NumAgprs: 0
; TotalNumVgprs: 0
; ScratchSize: 0
; MemoryBound: 0
; FloatMode: 240
; IeeeMode: 1
; LDSByteSize: 0 bytes/workgroup (compile time only)
; SGPRBlocks: 0
; VGPRBlocks: 0
; NumSGPRsForWavesPerEU: 6
; NumVGPRsForWavesPerEU: 1
; AccumOffset: 4
; Occupancy: 8
; WaveLimiterHint : 0
; COMPUTE_PGM_RSRC2:SCRATCH_EN: 0
; COMPUTE_PGM_RSRC2:USER_SGPR: 2
; COMPUTE_PGM_RSRC2:TRAP_HANDLER: 0
; COMPUTE_PGM_RSRC2:TGID_X_EN: 1
; COMPUTE_PGM_RSRC2:TGID_Y_EN: 0
; COMPUTE_PGM_RSRC2:TGID_Z_EN: 0
; COMPUTE_PGM_RSRC2:TIDIG_COMP_CNT: 0
; COMPUTE_PGM_RSRC3_GFX90A:ACCUM_OFFSET: 0
; COMPUTE_PGM_RSRC3_GFX90A:TG_SPLIT: 0
	.section	.text._ZN7rocprim17ROCPRIM_400000_NS6detail17trampoline_kernelINS0_14default_configENS1_25partition_config_selectorILNS1_17partition_subalgoE3EiNS0_10empty_typeEbEEZZNS1_14partition_implILS5_3ELb0ES3_jN6thrust23THRUST_200600_302600_NS6detail15normal_iteratorINSA_7pointerIiNSA_11hip_rocprim5par_tENSA_11use_defaultESG_EEEEPS6_SJ_NS0_5tupleIJPiSJ_EEENSK_IJSJ_SJ_EEES6_PlJ7is_evenIiEEEE10hipError_tPvRmT3_T4_T5_T6_T7_T9_mT8_P12ihipStream_tbDpT10_ENKUlT_T0_E_clISt17integral_constantIbLb0EES1A_EEDaS15_S16_EUlS15_E_NS1_11comp_targetILNS1_3genE10ELNS1_11target_archE1200ELNS1_3gpuE4ELNS1_3repE0EEENS1_30default_config_static_selectorELNS0_4arch9wavefront6targetE1EEEvT1_,"axG",@progbits,_ZN7rocprim17ROCPRIM_400000_NS6detail17trampoline_kernelINS0_14default_configENS1_25partition_config_selectorILNS1_17partition_subalgoE3EiNS0_10empty_typeEbEEZZNS1_14partition_implILS5_3ELb0ES3_jN6thrust23THRUST_200600_302600_NS6detail15normal_iteratorINSA_7pointerIiNSA_11hip_rocprim5par_tENSA_11use_defaultESG_EEEEPS6_SJ_NS0_5tupleIJPiSJ_EEENSK_IJSJ_SJ_EEES6_PlJ7is_evenIiEEEE10hipError_tPvRmT3_T4_T5_T6_T7_T9_mT8_P12ihipStream_tbDpT10_ENKUlT_T0_E_clISt17integral_constantIbLb0EES1A_EEDaS15_S16_EUlS15_E_NS1_11comp_targetILNS1_3genE10ELNS1_11target_archE1200ELNS1_3gpuE4ELNS1_3repE0EEENS1_30default_config_static_selectorELNS0_4arch9wavefront6targetE1EEEvT1_,comdat
	.protected	_ZN7rocprim17ROCPRIM_400000_NS6detail17trampoline_kernelINS0_14default_configENS1_25partition_config_selectorILNS1_17partition_subalgoE3EiNS0_10empty_typeEbEEZZNS1_14partition_implILS5_3ELb0ES3_jN6thrust23THRUST_200600_302600_NS6detail15normal_iteratorINSA_7pointerIiNSA_11hip_rocprim5par_tENSA_11use_defaultESG_EEEEPS6_SJ_NS0_5tupleIJPiSJ_EEENSK_IJSJ_SJ_EEES6_PlJ7is_evenIiEEEE10hipError_tPvRmT3_T4_T5_T6_T7_T9_mT8_P12ihipStream_tbDpT10_ENKUlT_T0_E_clISt17integral_constantIbLb0EES1A_EEDaS15_S16_EUlS15_E_NS1_11comp_targetILNS1_3genE10ELNS1_11target_archE1200ELNS1_3gpuE4ELNS1_3repE0EEENS1_30default_config_static_selectorELNS0_4arch9wavefront6targetE1EEEvT1_ ; -- Begin function _ZN7rocprim17ROCPRIM_400000_NS6detail17trampoline_kernelINS0_14default_configENS1_25partition_config_selectorILNS1_17partition_subalgoE3EiNS0_10empty_typeEbEEZZNS1_14partition_implILS5_3ELb0ES3_jN6thrust23THRUST_200600_302600_NS6detail15normal_iteratorINSA_7pointerIiNSA_11hip_rocprim5par_tENSA_11use_defaultESG_EEEEPS6_SJ_NS0_5tupleIJPiSJ_EEENSK_IJSJ_SJ_EEES6_PlJ7is_evenIiEEEE10hipError_tPvRmT3_T4_T5_T6_T7_T9_mT8_P12ihipStream_tbDpT10_ENKUlT_T0_E_clISt17integral_constantIbLb0EES1A_EEDaS15_S16_EUlS15_E_NS1_11comp_targetILNS1_3genE10ELNS1_11target_archE1200ELNS1_3gpuE4ELNS1_3repE0EEENS1_30default_config_static_selectorELNS0_4arch9wavefront6targetE1EEEvT1_
	.globl	_ZN7rocprim17ROCPRIM_400000_NS6detail17trampoline_kernelINS0_14default_configENS1_25partition_config_selectorILNS1_17partition_subalgoE3EiNS0_10empty_typeEbEEZZNS1_14partition_implILS5_3ELb0ES3_jN6thrust23THRUST_200600_302600_NS6detail15normal_iteratorINSA_7pointerIiNSA_11hip_rocprim5par_tENSA_11use_defaultESG_EEEEPS6_SJ_NS0_5tupleIJPiSJ_EEENSK_IJSJ_SJ_EEES6_PlJ7is_evenIiEEEE10hipError_tPvRmT3_T4_T5_T6_T7_T9_mT8_P12ihipStream_tbDpT10_ENKUlT_T0_E_clISt17integral_constantIbLb0EES1A_EEDaS15_S16_EUlS15_E_NS1_11comp_targetILNS1_3genE10ELNS1_11target_archE1200ELNS1_3gpuE4ELNS1_3repE0EEENS1_30default_config_static_selectorELNS0_4arch9wavefront6targetE1EEEvT1_
	.p2align	8
	.type	_ZN7rocprim17ROCPRIM_400000_NS6detail17trampoline_kernelINS0_14default_configENS1_25partition_config_selectorILNS1_17partition_subalgoE3EiNS0_10empty_typeEbEEZZNS1_14partition_implILS5_3ELb0ES3_jN6thrust23THRUST_200600_302600_NS6detail15normal_iteratorINSA_7pointerIiNSA_11hip_rocprim5par_tENSA_11use_defaultESG_EEEEPS6_SJ_NS0_5tupleIJPiSJ_EEENSK_IJSJ_SJ_EEES6_PlJ7is_evenIiEEEE10hipError_tPvRmT3_T4_T5_T6_T7_T9_mT8_P12ihipStream_tbDpT10_ENKUlT_T0_E_clISt17integral_constantIbLb0EES1A_EEDaS15_S16_EUlS15_E_NS1_11comp_targetILNS1_3genE10ELNS1_11target_archE1200ELNS1_3gpuE4ELNS1_3repE0EEENS1_30default_config_static_selectorELNS0_4arch9wavefront6targetE1EEEvT1_,@function
_ZN7rocprim17ROCPRIM_400000_NS6detail17trampoline_kernelINS0_14default_configENS1_25partition_config_selectorILNS1_17partition_subalgoE3EiNS0_10empty_typeEbEEZZNS1_14partition_implILS5_3ELb0ES3_jN6thrust23THRUST_200600_302600_NS6detail15normal_iteratorINSA_7pointerIiNSA_11hip_rocprim5par_tENSA_11use_defaultESG_EEEEPS6_SJ_NS0_5tupleIJPiSJ_EEENSK_IJSJ_SJ_EEES6_PlJ7is_evenIiEEEE10hipError_tPvRmT3_T4_T5_T6_T7_T9_mT8_P12ihipStream_tbDpT10_ENKUlT_T0_E_clISt17integral_constantIbLb0EES1A_EEDaS15_S16_EUlS15_E_NS1_11comp_targetILNS1_3genE10ELNS1_11target_archE1200ELNS1_3gpuE4ELNS1_3repE0EEENS1_30default_config_static_selectorELNS0_4arch9wavefront6targetE1EEEvT1_: ; @_ZN7rocprim17ROCPRIM_400000_NS6detail17trampoline_kernelINS0_14default_configENS1_25partition_config_selectorILNS1_17partition_subalgoE3EiNS0_10empty_typeEbEEZZNS1_14partition_implILS5_3ELb0ES3_jN6thrust23THRUST_200600_302600_NS6detail15normal_iteratorINSA_7pointerIiNSA_11hip_rocprim5par_tENSA_11use_defaultESG_EEEEPS6_SJ_NS0_5tupleIJPiSJ_EEENSK_IJSJ_SJ_EEES6_PlJ7is_evenIiEEEE10hipError_tPvRmT3_T4_T5_T6_T7_T9_mT8_P12ihipStream_tbDpT10_ENKUlT_T0_E_clISt17integral_constantIbLb0EES1A_EEDaS15_S16_EUlS15_E_NS1_11comp_targetILNS1_3genE10ELNS1_11target_archE1200ELNS1_3gpuE4ELNS1_3repE0EEENS1_30default_config_static_selectorELNS0_4arch9wavefront6targetE1EEEvT1_
; %bb.0:
	.section	.rodata,"a",@progbits
	.p2align	6, 0x0
	.amdhsa_kernel _ZN7rocprim17ROCPRIM_400000_NS6detail17trampoline_kernelINS0_14default_configENS1_25partition_config_selectorILNS1_17partition_subalgoE3EiNS0_10empty_typeEbEEZZNS1_14partition_implILS5_3ELb0ES3_jN6thrust23THRUST_200600_302600_NS6detail15normal_iteratorINSA_7pointerIiNSA_11hip_rocprim5par_tENSA_11use_defaultESG_EEEEPS6_SJ_NS0_5tupleIJPiSJ_EEENSK_IJSJ_SJ_EEES6_PlJ7is_evenIiEEEE10hipError_tPvRmT3_T4_T5_T6_T7_T9_mT8_P12ihipStream_tbDpT10_ENKUlT_T0_E_clISt17integral_constantIbLb0EES1A_EEDaS15_S16_EUlS15_E_NS1_11comp_targetILNS1_3genE10ELNS1_11target_archE1200ELNS1_3gpuE4ELNS1_3repE0EEENS1_30default_config_static_selectorELNS0_4arch9wavefront6targetE1EEEvT1_
		.amdhsa_group_segment_fixed_size 0
		.amdhsa_private_segment_fixed_size 0
		.amdhsa_kernarg_size 120
		.amdhsa_user_sgpr_count 2
		.amdhsa_user_sgpr_dispatch_ptr 0
		.amdhsa_user_sgpr_queue_ptr 0
		.amdhsa_user_sgpr_kernarg_segment_ptr 1
		.amdhsa_user_sgpr_dispatch_id 0
		.amdhsa_user_sgpr_kernarg_preload_length 0
		.amdhsa_user_sgpr_kernarg_preload_offset 0
		.amdhsa_user_sgpr_private_segment_size 0
		.amdhsa_uses_dynamic_stack 0
		.amdhsa_enable_private_segment 0
		.amdhsa_system_sgpr_workgroup_id_x 1
		.amdhsa_system_sgpr_workgroup_id_y 0
		.amdhsa_system_sgpr_workgroup_id_z 0
		.amdhsa_system_sgpr_workgroup_info 0
		.amdhsa_system_vgpr_workitem_id 0
		.amdhsa_next_free_vgpr 1
		.amdhsa_next_free_sgpr 0
		.amdhsa_accum_offset 4
		.amdhsa_reserve_vcc 0
		.amdhsa_float_round_mode_32 0
		.amdhsa_float_round_mode_16_64 0
		.amdhsa_float_denorm_mode_32 3
		.amdhsa_float_denorm_mode_16_64 3
		.amdhsa_dx10_clamp 1
		.amdhsa_ieee_mode 1
		.amdhsa_fp16_overflow 0
		.amdhsa_tg_split 0
		.amdhsa_exception_fp_ieee_invalid_op 0
		.amdhsa_exception_fp_denorm_src 0
		.amdhsa_exception_fp_ieee_div_zero 0
		.amdhsa_exception_fp_ieee_overflow 0
		.amdhsa_exception_fp_ieee_underflow 0
		.amdhsa_exception_fp_ieee_inexact 0
		.amdhsa_exception_int_div_zero 0
	.end_amdhsa_kernel
	.section	.text._ZN7rocprim17ROCPRIM_400000_NS6detail17trampoline_kernelINS0_14default_configENS1_25partition_config_selectorILNS1_17partition_subalgoE3EiNS0_10empty_typeEbEEZZNS1_14partition_implILS5_3ELb0ES3_jN6thrust23THRUST_200600_302600_NS6detail15normal_iteratorINSA_7pointerIiNSA_11hip_rocprim5par_tENSA_11use_defaultESG_EEEEPS6_SJ_NS0_5tupleIJPiSJ_EEENSK_IJSJ_SJ_EEES6_PlJ7is_evenIiEEEE10hipError_tPvRmT3_T4_T5_T6_T7_T9_mT8_P12ihipStream_tbDpT10_ENKUlT_T0_E_clISt17integral_constantIbLb0EES1A_EEDaS15_S16_EUlS15_E_NS1_11comp_targetILNS1_3genE10ELNS1_11target_archE1200ELNS1_3gpuE4ELNS1_3repE0EEENS1_30default_config_static_selectorELNS0_4arch9wavefront6targetE1EEEvT1_,"axG",@progbits,_ZN7rocprim17ROCPRIM_400000_NS6detail17trampoline_kernelINS0_14default_configENS1_25partition_config_selectorILNS1_17partition_subalgoE3EiNS0_10empty_typeEbEEZZNS1_14partition_implILS5_3ELb0ES3_jN6thrust23THRUST_200600_302600_NS6detail15normal_iteratorINSA_7pointerIiNSA_11hip_rocprim5par_tENSA_11use_defaultESG_EEEEPS6_SJ_NS0_5tupleIJPiSJ_EEENSK_IJSJ_SJ_EEES6_PlJ7is_evenIiEEEE10hipError_tPvRmT3_T4_T5_T6_T7_T9_mT8_P12ihipStream_tbDpT10_ENKUlT_T0_E_clISt17integral_constantIbLb0EES1A_EEDaS15_S16_EUlS15_E_NS1_11comp_targetILNS1_3genE10ELNS1_11target_archE1200ELNS1_3gpuE4ELNS1_3repE0EEENS1_30default_config_static_selectorELNS0_4arch9wavefront6targetE1EEEvT1_,comdat
.Lfunc_end3667:
	.size	_ZN7rocprim17ROCPRIM_400000_NS6detail17trampoline_kernelINS0_14default_configENS1_25partition_config_selectorILNS1_17partition_subalgoE3EiNS0_10empty_typeEbEEZZNS1_14partition_implILS5_3ELb0ES3_jN6thrust23THRUST_200600_302600_NS6detail15normal_iteratorINSA_7pointerIiNSA_11hip_rocprim5par_tENSA_11use_defaultESG_EEEEPS6_SJ_NS0_5tupleIJPiSJ_EEENSK_IJSJ_SJ_EEES6_PlJ7is_evenIiEEEE10hipError_tPvRmT3_T4_T5_T6_T7_T9_mT8_P12ihipStream_tbDpT10_ENKUlT_T0_E_clISt17integral_constantIbLb0EES1A_EEDaS15_S16_EUlS15_E_NS1_11comp_targetILNS1_3genE10ELNS1_11target_archE1200ELNS1_3gpuE4ELNS1_3repE0EEENS1_30default_config_static_selectorELNS0_4arch9wavefront6targetE1EEEvT1_, .Lfunc_end3667-_ZN7rocprim17ROCPRIM_400000_NS6detail17trampoline_kernelINS0_14default_configENS1_25partition_config_selectorILNS1_17partition_subalgoE3EiNS0_10empty_typeEbEEZZNS1_14partition_implILS5_3ELb0ES3_jN6thrust23THRUST_200600_302600_NS6detail15normal_iteratorINSA_7pointerIiNSA_11hip_rocprim5par_tENSA_11use_defaultESG_EEEEPS6_SJ_NS0_5tupleIJPiSJ_EEENSK_IJSJ_SJ_EEES6_PlJ7is_evenIiEEEE10hipError_tPvRmT3_T4_T5_T6_T7_T9_mT8_P12ihipStream_tbDpT10_ENKUlT_T0_E_clISt17integral_constantIbLb0EES1A_EEDaS15_S16_EUlS15_E_NS1_11comp_targetILNS1_3genE10ELNS1_11target_archE1200ELNS1_3gpuE4ELNS1_3repE0EEENS1_30default_config_static_selectorELNS0_4arch9wavefront6targetE1EEEvT1_
                                        ; -- End function
	.section	.AMDGPU.csdata,"",@progbits
; Kernel info:
; codeLenInByte = 0
; NumSgprs: 6
; NumVgprs: 0
; NumAgprs: 0
; TotalNumVgprs: 0
; ScratchSize: 0
; MemoryBound: 0
; FloatMode: 240
; IeeeMode: 1
; LDSByteSize: 0 bytes/workgroup (compile time only)
; SGPRBlocks: 0
; VGPRBlocks: 0
; NumSGPRsForWavesPerEU: 6
; NumVGPRsForWavesPerEU: 1
; AccumOffset: 4
; Occupancy: 8
; WaveLimiterHint : 0
; COMPUTE_PGM_RSRC2:SCRATCH_EN: 0
; COMPUTE_PGM_RSRC2:USER_SGPR: 2
; COMPUTE_PGM_RSRC2:TRAP_HANDLER: 0
; COMPUTE_PGM_RSRC2:TGID_X_EN: 1
; COMPUTE_PGM_RSRC2:TGID_Y_EN: 0
; COMPUTE_PGM_RSRC2:TGID_Z_EN: 0
; COMPUTE_PGM_RSRC2:TIDIG_COMP_CNT: 0
; COMPUTE_PGM_RSRC3_GFX90A:ACCUM_OFFSET: 0
; COMPUTE_PGM_RSRC3_GFX90A:TG_SPLIT: 0
	.section	.text._ZN7rocprim17ROCPRIM_400000_NS6detail17trampoline_kernelINS0_14default_configENS1_25partition_config_selectorILNS1_17partition_subalgoE3EiNS0_10empty_typeEbEEZZNS1_14partition_implILS5_3ELb0ES3_jN6thrust23THRUST_200600_302600_NS6detail15normal_iteratorINSA_7pointerIiNSA_11hip_rocprim5par_tENSA_11use_defaultESG_EEEEPS6_SJ_NS0_5tupleIJPiSJ_EEENSK_IJSJ_SJ_EEES6_PlJ7is_evenIiEEEE10hipError_tPvRmT3_T4_T5_T6_T7_T9_mT8_P12ihipStream_tbDpT10_ENKUlT_T0_E_clISt17integral_constantIbLb0EES1A_EEDaS15_S16_EUlS15_E_NS1_11comp_targetILNS1_3genE9ELNS1_11target_archE1100ELNS1_3gpuE3ELNS1_3repE0EEENS1_30default_config_static_selectorELNS0_4arch9wavefront6targetE1EEEvT1_,"axG",@progbits,_ZN7rocprim17ROCPRIM_400000_NS6detail17trampoline_kernelINS0_14default_configENS1_25partition_config_selectorILNS1_17partition_subalgoE3EiNS0_10empty_typeEbEEZZNS1_14partition_implILS5_3ELb0ES3_jN6thrust23THRUST_200600_302600_NS6detail15normal_iteratorINSA_7pointerIiNSA_11hip_rocprim5par_tENSA_11use_defaultESG_EEEEPS6_SJ_NS0_5tupleIJPiSJ_EEENSK_IJSJ_SJ_EEES6_PlJ7is_evenIiEEEE10hipError_tPvRmT3_T4_T5_T6_T7_T9_mT8_P12ihipStream_tbDpT10_ENKUlT_T0_E_clISt17integral_constantIbLb0EES1A_EEDaS15_S16_EUlS15_E_NS1_11comp_targetILNS1_3genE9ELNS1_11target_archE1100ELNS1_3gpuE3ELNS1_3repE0EEENS1_30default_config_static_selectorELNS0_4arch9wavefront6targetE1EEEvT1_,comdat
	.protected	_ZN7rocprim17ROCPRIM_400000_NS6detail17trampoline_kernelINS0_14default_configENS1_25partition_config_selectorILNS1_17partition_subalgoE3EiNS0_10empty_typeEbEEZZNS1_14partition_implILS5_3ELb0ES3_jN6thrust23THRUST_200600_302600_NS6detail15normal_iteratorINSA_7pointerIiNSA_11hip_rocprim5par_tENSA_11use_defaultESG_EEEEPS6_SJ_NS0_5tupleIJPiSJ_EEENSK_IJSJ_SJ_EEES6_PlJ7is_evenIiEEEE10hipError_tPvRmT3_T4_T5_T6_T7_T9_mT8_P12ihipStream_tbDpT10_ENKUlT_T0_E_clISt17integral_constantIbLb0EES1A_EEDaS15_S16_EUlS15_E_NS1_11comp_targetILNS1_3genE9ELNS1_11target_archE1100ELNS1_3gpuE3ELNS1_3repE0EEENS1_30default_config_static_selectorELNS0_4arch9wavefront6targetE1EEEvT1_ ; -- Begin function _ZN7rocprim17ROCPRIM_400000_NS6detail17trampoline_kernelINS0_14default_configENS1_25partition_config_selectorILNS1_17partition_subalgoE3EiNS0_10empty_typeEbEEZZNS1_14partition_implILS5_3ELb0ES3_jN6thrust23THRUST_200600_302600_NS6detail15normal_iteratorINSA_7pointerIiNSA_11hip_rocprim5par_tENSA_11use_defaultESG_EEEEPS6_SJ_NS0_5tupleIJPiSJ_EEENSK_IJSJ_SJ_EEES6_PlJ7is_evenIiEEEE10hipError_tPvRmT3_T4_T5_T6_T7_T9_mT8_P12ihipStream_tbDpT10_ENKUlT_T0_E_clISt17integral_constantIbLb0EES1A_EEDaS15_S16_EUlS15_E_NS1_11comp_targetILNS1_3genE9ELNS1_11target_archE1100ELNS1_3gpuE3ELNS1_3repE0EEENS1_30default_config_static_selectorELNS0_4arch9wavefront6targetE1EEEvT1_
	.globl	_ZN7rocprim17ROCPRIM_400000_NS6detail17trampoline_kernelINS0_14default_configENS1_25partition_config_selectorILNS1_17partition_subalgoE3EiNS0_10empty_typeEbEEZZNS1_14partition_implILS5_3ELb0ES3_jN6thrust23THRUST_200600_302600_NS6detail15normal_iteratorINSA_7pointerIiNSA_11hip_rocprim5par_tENSA_11use_defaultESG_EEEEPS6_SJ_NS0_5tupleIJPiSJ_EEENSK_IJSJ_SJ_EEES6_PlJ7is_evenIiEEEE10hipError_tPvRmT3_T4_T5_T6_T7_T9_mT8_P12ihipStream_tbDpT10_ENKUlT_T0_E_clISt17integral_constantIbLb0EES1A_EEDaS15_S16_EUlS15_E_NS1_11comp_targetILNS1_3genE9ELNS1_11target_archE1100ELNS1_3gpuE3ELNS1_3repE0EEENS1_30default_config_static_selectorELNS0_4arch9wavefront6targetE1EEEvT1_
	.p2align	8
	.type	_ZN7rocprim17ROCPRIM_400000_NS6detail17trampoline_kernelINS0_14default_configENS1_25partition_config_selectorILNS1_17partition_subalgoE3EiNS0_10empty_typeEbEEZZNS1_14partition_implILS5_3ELb0ES3_jN6thrust23THRUST_200600_302600_NS6detail15normal_iteratorINSA_7pointerIiNSA_11hip_rocprim5par_tENSA_11use_defaultESG_EEEEPS6_SJ_NS0_5tupleIJPiSJ_EEENSK_IJSJ_SJ_EEES6_PlJ7is_evenIiEEEE10hipError_tPvRmT3_T4_T5_T6_T7_T9_mT8_P12ihipStream_tbDpT10_ENKUlT_T0_E_clISt17integral_constantIbLb0EES1A_EEDaS15_S16_EUlS15_E_NS1_11comp_targetILNS1_3genE9ELNS1_11target_archE1100ELNS1_3gpuE3ELNS1_3repE0EEENS1_30default_config_static_selectorELNS0_4arch9wavefront6targetE1EEEvT1_,@function
_ZN7rocprim17ROCPRIM_400000_NS6detail17trampoline_kernelINS0_14default_configENS1_25partition_config_selectorILNS1_17partition_subalgoE3EiNS0_10empty_typeEbEEZZNS1_14partition_implILS5_3ELb0ES3_jN6thrust23THRUST_200600_302600_NS6detail15normal_iteratorINSA_7pointerIiNSA_11hip_rocprim5par_tENSA_11use_defaultESG_EEEEPS6_SJ_NS0_5tupleIJPiSJ_EEENSK_IJSJ_SJ_EEES6_PlJ7is_evenIiEEEE10hipError_tPvRmT3_T4_T5_T6_T7_T9_mT8_P12ihipStream_tbDpT10_ENKUlT_T0_E_clISt17integral_constantIbLb0EES1A_EEDaS15_S16_EUlS15_E_NS1_11comp_targetILNS1_3genE9ELNS1_11target_archE1100ELNS1_3gpuE3ELNS1_3repE0EEENS1_30default_config_static_selectorELNS0_4arch9wavefront6targetE1EEEvT1_: ; @_ZN7rocprim17ROCPRIM_400000_NS6detail17trampoline_kernelINS0_14default_configENS1_25partition_config_selectorILNS1_17partition_subalgoE3EiNS0_10empty_typeEbEEZZNS1_14partition_implILS5_3ELb0ES3_jN6thrust23THRUST_200600_302600_NS6detail15normal_iteratorINSA_7pointerIiNSA_11hip_rocprim5par_tENSA_11use_defaultESG_EEEEPS6_SJ_NS0_5tupleIJPiSJ_EEENSK_IJSJ_SJ_EEES6_PlJ7is_evenIiEEEE10hipError_tPvRmT3_T4_T5_T6_T7_T9_mT8_P12ihipStream_tbDpT10_ENKUlT_T0_E_clISt17integral_constantIbLb0EES1A_EEDaS15_S16_EUlS15_E_NS1_11comp_targetILNS1_3genE9ELNS1_11target_archE1100ELNS1_3gpuE3ELNS1_3repE0EEENS1_30default_config_static_selectorELNS0_4arch9wavefront6targetE1EEEvT1_
; %bb.0:
	.section	.rodata,"a",@progbits
	.p2align	6, 0x0
	.amdhsa_kernel _ZN7rocprim17ROCPRIM_400000_NS6detail17trampoline_kernelINS0_14default_configENS1_25partition_config_selectorILNS1_17partition_subalgoE3EiNS0_10empty_typeEbEEZZNS1_14partition_implILS5_3ELb0ES3_jN6thrust23THRUST_200600_302600_NS6detail15normal_iteratorINSA_7pointerIiNSA_11hip_rocprim5par_tENSA_11use_defaultESG_EEEEPS6_SJ_NS0_5tupleIJPiSJ_EEENSK_IJSJ_SJ_EEES6_PlJ7is_evenIiEEEE10hipError_tPvRmT3_T4_T5_T6_T7_T9_mT8_P12ihipStream_tbDpT10_ENKUlT_T0_E_clISt17integral_constantIbLb0EES1A_EEDaS15_S16_EUlS15_E_NS1_11comp_targetILNS1_3genE9ELNS1_11target_archE1100ELNS1_3gpuE3ELNS1_3repE0EEENS1_30default_config_static_selectorELNS0_4arch9wavefront6targetE1EEEvT1_
		.amdhsa_group_segment_fixed_size 0
		.amdhsa_private_segment_fixed_size 0
		.amdhsa_kernarg_size 120
		.amdhsa_user_sgpr_count 2
		.amdhsa_user_sgpr_dispatch_ptr 0
		.amdhsa_user_sgpr_queue_ptr 0
		.amdhsa_user_sgpr_kernarg_segment_ptr 1
		.amdhsa_user_sgpr_dispatch_id 0
		.amdhsa_user_sgpr_kernarg_preload_length 0
		.amdhsa_user_sgpr_kernarg_preload_offset 0
		.amdhsa_user_sgpr_private_segment_size 0
		.amdhsa_uses_dynamic_stack 0
		.amdhsa_enable_private_segment 0
		.amdhsa_system_sgpr_workgroup_id_x 1
		.amdhsa_system_sgpr_workgroup_id_y 0
		.amdhsa_system_sgpr_workgroup_id_z 0
		.amdhsa_system_sgpr_workgroup_info 0
		.amdhsa_system_vgpr_workitem_id 0
		.amdhsa_next_free_vgpr 1
		.amdhsa_next_free_sgpr 0
		.amdhsa_accum_offset 4
		.amdhsa_reserve_vcc 0
		.amdhsa_float_round_mode_32 0
		.amdhsa_float_round_mode_16_64 0
		.amdhsa_float_denorm_mode_32 3
		.amdhsa_float_denorm_mode_16_64 3
		.amdhsa_dx10_clamp 1
		.amdhsa_ieee_mode 1
		.amdhsa_fp16_overflow 0
		.amdhsa_tg_split 0
		.amdhsa_exception_fp_ieee_invalid_op 0
		.amdhsa_exception_fp_denorm_src 0
		.amdhsa_exception_fp_ieee_div_zero 0
		.amdhsa_exception_fp_ieee_overflow 0
		.amdhsa_exception_fp_ieee_underflow 0
		.amdhsa_exception_fp_ieee_inexact 0
		.amdhsa_exception_int_div_zero 0
	.end_amdhsa_kernel
	.section	.text._ZN7rocprim17ROCPRIM_400000_NS6detail17trampoline_kernelINS0_14default_configENS1_25partition_config_selectorILNS1_17partition_subalgoE3EiNS0_10empty_typeEbEEZZNS1_14partition_implILS5_3ELb0ES3_jN6thrust23THRUST_200600_302600_NS6detail15normal_iteratorINSA_7pointerIiNSA_11hip_rocprim5par_tENSA_11use_defaultESG_EEEEPS6_SJ_NS0_5tupleIJPiSJ_EEENSK_IJSJ_SJ_EEES6_PlJ7is_evenIiEEEE10hipError_tPvRmT3_T4_T5_T6_T7_T9_mT8_P12ihipStream_tbDpT10_ENKUlT_T0_E_clISt17integral_constantIbLb0EES1A_EEDaS15_S16_EUlS15_E_NS1_11comp_targetILNS1_3genE9ELNS1_11target_archE1100ELNS1_3gpuE3ELNS1_3repE0EEENS1_30default_config_static_selectorELNS0_4arch9wavefront6targetE1EEEvT1_,"axG",@progbits,_ZN7rocprim17ROCPRIM_400000_NS6detail17trampoline_kernelINS0_14default_configENS1_25partition_config_selectorILNS1_17partition_subalgoE3EiNS0_10empty_typeEbEEZZNS1_14partition_implILS5_3ELb0ES3_jN6thrust23THRUST_200600_302600_NS6detail15normal_iteratorINSA_7pointerIiNSA_11hip_rocprim5par_tENSA_11use_defaultESG_EEEEPS6_SJ_NS0_5tupleIJPiSJ_EEENSK_IJSJ_SJ_EEES6_PlJ7is_evenIiEEEE10hipError_tPvRmT3_T4_T5_T6_T7_T9_mT8_P12ihipStream_tbDpT10_ENKUlT_T0_E_clISt17integral_constantIbLb0EES1A_EEDaS15_S16_EUlS15_E_NS1_11comp_targetILNS1_3genE9ELNS1_11target_archE1100ELNS1_3gpuE3ELNS1_3repE0EEENS1_30default_config_static_selectorELNS0_4arch9wavefront6targetE1EEEvT1_,comdat
.Lfunc_end3668:
	.size	_ZN7rocprim17ROCPRIM_400000_NS6detail17trampoline_kernelINS0_14default_configENS1_25partition_config_selectorILNS1_17partition_subalgoE3EiNS0_10empty_typeEbEEZZNS1_14partition_implILS5_3ELb0ES3_jN6thrust23THRUST_200600_302600_NS6detail15normal_iteratorINSA_7pointerIiNSA_11hip_rocprim5par_tENSA_11use_defaultESG_EEEEPS6_SJ_NS0_5tupleIJPiSJ_EEENSK_IJSJ_SJ_EEES6_PlJ7is_evenIiEEEE10hipError_tPvRmT3_T4_T5_T6_T7_T9_mT8_P12ihipStream_tbDpT10_ENKUlT_T0_E_clISt17integral_constantIbLb0EES1A_EEDaS15_S16_EUlS15_E_NS1_11comp_targetILNS1_3genE9ELNS1_11target_archE1100ELNS1_3gpuE3ELNS1_3repE0EEENS1_30default_config_static_selectorELNS0_4arch9wavefront6targetE1EEEvT1_, .Lfunc_end3668-_ZN7rocprim17ROCPRIM_400000_NS6detail17trampoline_kernelINS0_14default_configENS1_25partition_config_selectorILNS1_17partition_subalgoE3EiNS0_10empty_typeEbEEZZNS1_14partition_implILS5_3ELb0ES3_jN6thrust23THRUST_200600_302600_NS6detail15normal_iteratorINSA_7pointerIiNSA_11hip_rocprim5par_tENSA_11use_defaultESG_EEEEPS6_SJ_NS0_5tupleIJPiSJ_EEENSK_IJSJ_SJ_EEES6_PlJ7is_evenIiEEEE10hipError_tPvRmT3_T4_T5_T6_T7_T9_mT8_P12ihipStream_tbDpT10_ENKUlT_T0_E_clISt17integral_constantIbLb0EES1A_EEDaS15_S16_EUlS15_E_NS1_11comp_targetILNS1_3genE9ELNS1_11target_archE1100ELNS1_3gpuE3ELNS1_3repE0EEENS1_30default_config_static_selectorELNS0_4arch9wavefront6targetE1EEEvT1_
                                        ; -- End function
	.section	.AMDGPU.csdata,"",@progbits
; Kernel info:
; codeLenInByte = 0
; NumSgprs: 6
; NumVgprs: 0
; NumAgprs: 0
; TotalNumVgprs: 0
; ScratchSize: 0
; MemoryBound: 0
; FloatMode: 240
; IeeeMode: 1
; LDSByteSize: 0 bytes/workgroup (compile time only)
; SGPRBlocks: 0
; VGPRBlocks: 0
; NumSGPRsForWavesPerEU: 6
; NumVGPRsForWavesPerEU: 1
; AccumOffset: 4
; Occupancy: 8
; WaveLimiterHint : 0
; COMPUTE_PGM_RSRC2:SCRATCH_EN: 0
; COMPUTE_PGM_RSRC2:USER_SGPR: 2
; COMPUTE_PGM_RSRC2:TRAP_HANDLER: 0
; COMPUTE_PGM_RSRC2:TGID_X_EN: 1
; COMPUTE_PGM_RSRC2:TGID_Y_EN: 0
; COMPUTE_PGM_RSRC2:TGID_Z_EN: 0
; COMPUTE_PGM_RSRC2:TIDIG_COMP_CNT: 0
; COMPUTE_PGM_RSRC3_GFX90A:ACCUM_OFFSET: 0
; COMPUTE_PGM_RSRC3_GFX90A:TG_SPLIT: 0
	.section	.text._ZN7rocprim17ROCPRIM_400000_NS6detail17trampoline_kernelINS0_14default_configENS1_25partition_config_selectorILNS1_17partition_subalgoE3EiNS0_10empty_typeEbEEZZNS1_14partition_implILS5_3ELb0ES3_jN6thrust23THRUST_200600_302600_NS6detail15normal_iteratorINSA_7pointerIiNSA_11hip_rocprim5par_tENSA_11use_defaultESG_EEEEPS6_SJ_NS0_5tupleIJPiSJ_EEENSK_IJSJ_SJ_EEES6_PlJ7is_evenIiEEEE10hipError_tPvRmT3_T4_T5_T6_T7_T9_mT8_P12ihipStream_tbDpT10_ENKUlT_T0_E_clISt17integral_constantIbLb0EES1A_EEDaS15_S16_EUlS15_E_NS1_11comp_targetILNS1_3genE8ELNS1_11target_archE1030ELNS1_3gpuE2ELNS1_3repE0EEENS1_30default_config_static_selectorELNS0_4arch9wavefront6targetE1EEEvT1_,"axG",@progbits,_ZN7rocprim17ROCPRIM_400000_NS6detail17trampoline_kernelINS0_14default_configENS1_25partition_config_selectorILNS1_17partition_subalgoE3EiNS0_10empty_typeEbEEZZNS1_14partition_implILS5_3ELb0ES3_jN6thrust23THRUST_200600_302600_NS6detail15normal_iteratorINSA_7pointerIiNSA_11hip_rocprim5par_tENSA_11use_defaultESG_EEEEPS6_SJ_NS0_5tupleIJPiSJ_EEENSK_IJSJ_SJ_EEES6_PlJ7is_evenIiEEEE10hipError_tPvRmT3_T4_T5_T6_T7_T9_mT8_P12ihipStream_tbDpT10_ENKUlT_T0_E_clISt17integral_constantIbLb0EES1A_EEDaS15_S16_EUlS15_E_NS1_11comp_targetILNS1_3genE8ELNS1_11target_archE1030ELNS1_3gpuE2ELNS1_3repE0EEENS1_30default_config_static_selectorELNS0_4arch9wavefront6targetE1EEEvT1_,comdat
	.protected	_ZN7rocprim17ROCPRIM_400000_NS6detail17trampoline_kernelINS0_14default_configENS1_25partition_config_selectorILNS1_17partition_subalgoE3EiNS0_10empty_typeEbEEZZNS1_14partition_implILS5_3ELb0ES3_jN6thrust23THRUST_200600_302600_NS6detail15normal_iteratorINSA_7pointerIiNSA_11hip_rocprim5par_tENSA_11use_defaultESG_EEEEPS6_SJ_NS0_5tupleIJPiSJ_EEENSK_IJSJ_SJ_EEES6_PlJ7is_evenIiEEEE10hipError_tPvRmT3_T4_T5_T6_T7_T9_mT8_P12ihipStream_tbDpT10_ENKUlT_T0_E_clISt17integral_constantIbLb0EES1A_EEDaS15_S16_EUlS15_E_NS1_11comp_targetILNS1_3genE8ELNS1_11target_archE1030ELNS1_3gpuE2ELNS1_3repE0EEENS1_30default_config_static_selectorELNS0_4arch9wavefront6targetE1EEEvT1_ ; -- Begin function _ZN7rocprim17ROCPRIM_400000_NS6detail17trampoline_kernelINS0_14default_configENS1_25partition_config_selectorILNS1_17partition_subalgoE3EiNS0_10empty_typeEbEEZZNS1_14partition_implILS5_3ELb0ES3_jN6thrust23THRUST_200600_302600_NS6detail15normal_iteratorINSA_7pointerIiNSA_11hip_rocprim5par_tENSA_11use_defaultESG_EEEEPS6_SJ_NS0_5tupleIJPiSJ_EEENSK_IJSJ_SJ_EEES6_PlJ7is_evenIiEEEE10hipError_tPvRmT3_T4_T5_T6_T7_T9_mT8_P12ihipStream_tbDpT10_ENKUlT_T0_E_clISt17integral_constantIbLb0EES1A_EEDaS15_S16_EUlS15_E_NS1_11comp_targetILNS1_3genE8ELNS1_11target_archE1030ELNS1_3gpuE2ELNS1_3repE0EEENS1_30default_config_static_selectorELNS0_4arch9wavefront6targetE1EEEvT1_
	.globl	_ZN7rocprim17ROCPRIM_400000_NS6detail17trampoline_kernelINS0_14default_configENS1_25partition_config_selectorILNS1_17partition_subalgoE3EiNS0_10empty_typeEbEEZZNS1_14partition_implILS5_3ELb0ES3_jN6thrust23THRUST_200600_302600_NS6detail15normal_iteratorINSA_7pointerIiNSA_11hip_rocprim5par_tENSA_11use_defaultESG_EEEEPS6_SJ_NS0_5tupleIJPiSJ_EEENSK_IJSJ_SJ_EEES6_PlJ7is_evenIiEEEE10hipError_tPvRmT3_T4_T5_T6_T7_T9_mT8_P12ihipStream_tbDpT10_ENKUlT_T0_E_clISt17integral_constantIbLb0EES1A_EEDaS15_S16_EUlS15_E_NS1_11comp_targetILNS1_3genE8ELNS1_11target_archE1030ELNS1_3gpuE2ELNS1_3repE0EEENS1_30default_config_static_selectorELNS0_4arch9wavefront6targetE1EEEvT1_
	.p2align	8
	.type	_ZN7rocprim17ROCPRIM_400000_NS6detail17trampoline_kernelINS0_14default_configENS1_25partition_config_selectorILNS1_17partition_subalgoE3EiNS0_10empty_typeEbEEZZNS1_14partition_implILS5_3ELb0ES3_jN6thrust23THRUST_200600_302600_NS6detail15normal_iteratorINSA_7pointerIiNSA_11hip_rocprim5par_tENSA_11use_defaultESG_EEEEPS6_SJ_NS0_5tupleIJPiSJ_EEENSK_IJSJ_SJ_EEES6_PlJ7is_evenIiEEEE10hipError_tPvRmT3_T4_T5_T6_T7_T9_mT8_P12ihipStream_tbDpT10_ENKUlT_T0_E_clISt17integral_constantIbLb0EES1A_EEDaS15_S16_EUlS15_E_NS1_11comp_targetILNS1_3genE8ELNS1_11target_archE1030ELNS1_3gpuE2ELNS1_3repE0EEENS1_30default_config_static_selectorELNS0_4arch9wavefront6targetE1EEEvT1_,@function
_ZN7rocprim17ROCPRIM_400000_NS6detail17trampoline_kernelINS0_14default_configENS1_25partition_config_selectorILNS1_17partition_subalgoE3EiNS0_10empty_typeEbEEZZNS1_14partition_implILS5_3ELb0ES3_jN6thrust23THRUST_200600_302600_NS6detail15normal_iteratorINSA_7pointerIiNSA_11hip_rocprim5par_tENSA_11use_defaultESG_EEEEPS6_SJ_NS0_5tupleIJPiSJ_EEENSK_IJSJ_SJ_EEES6_PlJ7is_evenIiEEEE10hipError_tPvRmT3_T4_T5_T6_T7_T9_mT8_P12ihipStream_tbDpT10_ENKUlT_T0_E_clISt17integral_constantIbLb0EES1A_EEDaS15_S16_EUlS15_E_NS1_11comp_targetILNS1_3genE8ELNS1_11target_archE1030ELNS1_3gpuE2ELNS1_3repE0EEENS1_30default_config_static_selectorELNS0_4arch9wavefront6targetE1EEEvT1_: ; @_ZN7rocprim17ROCPRIM_400000_NS6detail17trampoline_kernelINS0_14default_configENS1_25partition_config_selectorILNS1_17partition_subalgoE3EiNS0_10empty_typeEbEEZZNS1_14partition_implILS5_3ELb0ES3_jN6thrust23THRUST_200600_302600_NS6detail15normal_iteratorINSA_7pointerIiNSA_11hip_rocprim5par_tENSA_11use_defaultESG_EEEEPS6_SJ_NS0_5tupleIJPiSJ_EEENSK_IJSJ_SJ_EEES6_PlJ7is_evenIiEEEE10hipError_tPvRmT3_T4_T5_T6_T7_T9_mT8_P12ihipStream_tbDpT10_ENKUlT_T0_E_clISt17integral_constantIbLb0EES1A_EEDaS15_S16_EUlS15_E_NS1_11comp_targetILNS1_3genE8ELNS1_11target_archE1030ELNS1_3gpuE2ELNS1_3repE0EEENS1_30default_config_static_selectorELNS0_4arch9wavefront6targetE1EEEvT1_
; %bb.0:
	.section	.rodata,"a",@progbits
	.p2align	6, 0x0
	.amdhsa_kernel _ZN7rocprim17ROCPRIM_400000_NS6detail17trampoline_kernelINS0_14default_configENS1_25partition_config_selectorILNS1_17partition_subalgoE3EiNS0_10empty_typeEbEEZZNS1_14partition_implILS5_3ELb0ES3_jN6thrust23THRUST_200600_302600_NS6detail15normal_iteratorINSA_7pointerIiNSA_11hip_rocprim5par_tENSA_11use_defaultESG_EEEEPS6_SJ_NS0_5tupleIJPiSJ_EEENSK_IJSJ_SJ_EEES6_PlJ7is_evenIiEEEE10hipError_tPvRmT3_T4_T5_T6_T7_T9_mT8_P12ihipStream_tbDpT10_ENKUlT_T0_E_clISt17integral_constantIbLb0EES1A_EEDaS15_S16_EUlS15_E_NS1_11comp_targetILNS1_3genE8ELNS1_11target_archE1030ELNS1_3gpuE2ELNS1_3repE0EEENS1_30default_config_static_selectorELNS0_4arch9wavefront6targetE1EEEvT1_
		.amdhsa_group_segment_fixed_size 0
		.amdhsa_private_segment_fixed_size 0
		.amdhsa_kernarg_size 120
		.amdhsa_user_sgpr_count 2
		.amdhsa_user_sgpr_dispatch_ptr 0
		.amdhsa_user_sgpr_queue_ptr 0
		.amdhsa_user_sgpr_kernarg_segment_ptr 1
		.amdhsa_user_sgpr_dispatch_id 0
		.amdhsa_user_sgpr_kernarg_preload_length 0
		.amdhsa_user_sgpr_kernarg_preload_offset 0
		.amdhsa_user_sgpr_private_segment_size 0
		.amdhsa_uses_dynamic_stack 0
		.amdhsa_enable_private_segment 0
		.amdhsa_system_sgpr_workgroup_id_x 1
		.amdhsa_system_sgpr_workgroup_id_y 0
		.amdhsa_system_sgpr_workgroup_id_z 0
		.amdhsa_system_sgpr_workgroup_info 0
		.amdhsa_system_vgpr_workitem_id 0
		.amdhsa_next_free_vgpr 1
		.amdhsa_next_free_sgpr 0
		.amdhsa_accum_offset 4
		.amdhsa_reserve_vcc 0
		.amdhsa_float_round_mode_32 0
		.amdhsa_float_round_mode_16_64 0
		.amdhsa_float_denorm_mode_32 3
		.amdhsa_float_denorm_mode_16_64 3
		.amdhsa_dx10_clamp 1
		.amdhsa_ieee_mode 1
		.amdhsa_fp16_overflow 0
		.amdhsa_tg_split 0
		.amdhsa_exception_fp_ieee_invalid_op 0
		.amdhsa_exception_fp_denorm_src 0
		.amdhsa_exception_fp_ieee_div_zero 0
		.amdhsa_exception_fp_ieee_overflow 0
		.amdhsa_exception_fp_ieee_underflow 0
		.amdhsa_exception_fp_ieee_inexact 0
		.amdhsa_exception_int_div_zero 0
	.end_amdhsa_kernel
	.section	.text._ZN7rocprim17ROCPRIM_400000_NS6detail17trampoline_kernelINS0_14default_configENS1_25partition_config_selectorILNS1_17partition_subalgoE3EiNS0_10empty_typeEbEEZZNS1_14partition_implILS5_3ELb0ES3_jN6thrust23THRUST_200600_302600_NS6detail15normal_iteratorINSA_7pointerIiNSA_11hip_rocprim5par_tENSA_11use_defaultESG_EEEEPS6_SJ_NS0_5tupleIJPiSJ_EEENSK_IJSJ_SJ_EEES6_PlJ7is_evenIiEEEE10hipError_tPvRmT3_T4_T5_T6_T7_T9_mT8_P12ihipStream_tbDpT10_ENKUlT_T0_E_clISt17integral_constantIbLb0EES1A_EEDaS15_S16_EUlS15_E_NS1_11comp_targetILNS1_3genE8ELNS1_11target_archE1030ELNS1_3gpuE2ELNS1_3repE0EEENS1_30default_config_static_selectorELNS0_4arch9wavefront6targetE1EEEvT1_,"axG",@progbits,_ZN7rocprim17ROCPRIM_400000_NS6detail17trampoline_kernelINS0_14default_configENS1_25partition_config_selectorILNS1_17partition_subalgoE3EiNS0_10empty_typeEbEEZZNS1_14partition_implILS5_3ELb0ES3_jN6thrust23THRUST_200600_302600_NS6detail15normal_iteratorINSA_7pointerIiNSA_11hip_rocprim5par_tENSA_11use_defaultESG_EEEEPS6_SJ_NS0_5tupleIJPiSJ_EEENSK_IJSJ_SJ_EEES6_PlJ7is_evenIiEEEE10hipError_tPvRmT3_T4_T5_T6_T7_T9_mT8_P12ihipStream_tbDpT10_ENKUlT_T0_E_clISt17integral_constantIbLb0EES1A_EEDaS15_S16_EUlS15_E_NS1_11comp_targetILNS1_3genE8ELNS1_11target_archE1030ELNS1_3gpuE2ELNS1_3repE0EEENS1_30default_config_static_selectorELNS0_4arch9wavefront6targetE1EEEvT1_,comdat
.Lfunc_end3669:
	.size	_ZN7rocprim17ROCPRIM_400000_NS6detail17trampoline_kernelINS0_14default_configENS1_25partition_config_selectorILNS1_17partition_subalgoE3EiNS0_10empty_typeEbEEZZNS1_14partition_implILS5_3ELb0ES3_jN6thrust23THRUST_200600_302600_NS6detail15normal_iteratorINSA_7pointerIiNSA_11hip_rocprim5par_tENSA_11use_defaultESG_EEEEPS6_SJ_NS0_5tupleIJPiSJ_EEENSK_IJSJ_SJ_EEES6_PlJ7is_evenIiEEEE10hipError_tPvRmT3_T4_T5_T6_T7_T9_mT8_P12ihipStream_tbDpT10_ENKUlT_T0_E_clISt17integral_constantIbLb0EES1A_EEDaS15_S16_EUlS15_E_NS1_11comp_targetILNS1_3genE8ELNS1_11target_archE1030ELNS1_3gpuE2ELNS1_3repE0EEENS1_30default_config_static_selectorELNS0_4arch9wavefront6targetE1EEEvT1_, .Lfunc_end3669-_ZN7rocprim17ROCPRIM_400000_NS6detail17trampoline_kernelINS0_14default_configENS1_25partition_config_selectorILNS1_17partition_subalgoE3EiNS0_10empty_typeEbEEZZNS1_14partition_implILS5_3ELb0ES3_jN6thrust23THRUST_200600_302600_NS6detail15normal_iteratorINSA_7pointerIiNSA_11hip_rocprim5par_tENSA_11use_defaultESG_EEEEPS6_SJ_NS0_5tupleIJPiSJ_EEENSK_IJSJ_SJ_EEES6_PlJ7is_evenIiEEEE10hipError_tPvRmT3_T4_T5_T6_T7_T9_mT8_P12ihipStream_tbDpT10_ENKUlT_T0_E_clISt17integral_constantIbLb0EES1A_EEDaS15_S16_EUlS15_E_NS1_11comp_targetILNS1_3genE8ELNS1_11target_archE1030ELNS1_3gpuE2ELNS1_3repE0EEENS1_30default_config_static_selectorELNS0_4arch9wavefront6targetE1EEEvT1_
                                        ; -- End function
	.section	.AMDGPU.csdata,"",@progbits
; Kernel info:
; codeLenInByte = 0
; NumSgprs: 6
; NumVgprs: 0
; NumAgprs: 0
; TotalNumVgprs: 0
; ScratchSize: 0
; MemoryBound: 0
; FloatMode: 240
; IeeeMode: 1
; LDSByteSize: 0 bytes/workgroup (compile time only)
; SGPRBlocks: 0
; VGPRBlocks: 0
; NumSGPRsForWavesPerEU: 6
; NumVGPRsForWavesPerEU: 1
; AccumOffset: 4
; Occupancy: 8
; WaveLimiterHint : 0
; COMPUTE_PGM_RSRC2:SCRATCH_EN: 0
; COMPUTE_PGM_RSRC2:USER_SGPR: 2
; COMPUTE_PGM_RSRC2:TRAP_HANDLER: 0
; COMPUTE_PGM_RSRC2:TGID_X_EN: 1
; COMPUTE_PGM_RSRC2:TGID_Y_EN: 0
; COMPUTE_PGM_RSRC2:TGID_Z_EN: 0
; COMPUTE_PGM_RSRC2:TIDIG_COMP_CNT: 0
; COMPUTE_PGM_RSRC3_GFX90A:ACCUM_OFFSET: 0
; COMPUTE_PGM_RSRC3_GFX90A:TG_SPLIT: 0
	.section	.text._ZN7rocprim17ROCPRIM_400000_NS6detail17trampoline_kernelINS0_14default_configENS1_25partition_config_selectorILNS1_17partition_subalgoE3EiNS0_10empty_typeEbEEZZNS1_14partition_implILS5_3ELb0ES3_jN6thrust23THRUST_200600_302600_NS6detail15normal_iteratorINSA_7pointerIiNSA_11hip_rocprim5par_tENSA_11use_defaultESG_EEEEPS6_SJ_NS0_5tupleIJPiSJ_EEENSK_IJSJ_SJ_EEES6_PlJ7is_evenIiEEEE10hipError_tPvRmT3_T4_T5_T6_T7_T9_mT8_P12ihipStream_tbDpT10_ENKUlT_T0_E_clISt17integral_constantIbLb1EES1A_EEDaS15_S16_EUlS15_E_NS1_11comp_targetILNS1_3genE0ELNS1_11target_archE4294967295ELNS1_3gpuE0ELNS1_3repE0EEENS1_30default_config_static_selectorELNS0_4arch9wavefront6targetE1EEEvT1_,"axG",@progbits,_ZN7rocprim17ROCPRIM_400000_NS6detail17trampoline_kernelINS0_14default_configENS1_25partition_config_selectorILNS1_17partition_subalgoE3EiNS0_10empty_typeEbEEZZNS1_14partition_implILS5_3ELb0ES3_jN6thrust23THRUST_200600_302600_NS6detail15normal_iteratorINSA_7pointerIiNSA_11hip_rocprim5par_tENSA_11use_defaultESG_EEEEPS6_SJ_NS0_5tupleIJPiSJ_EEENSK_IJSJ_SJ_EEES6_PlJ7is_evenIiEEEE10hipError_tPvRmT3_T4_T5_T6_T7_T9_mT8_P12ihipStream_tbDpT10_ENKUlT_T0_E_clISt17integral_constantIbLb1EES1A_EEDaS15_S16_EUlS15_E_NS1_11comp_targetILNS1_3genE0ELNS1_11target_archE4294967295ELNS1_3gpuE0ELNS1_3repE0EEENS1_30default_config_static_selectorELNS0_4arch9wavefront6targetE1EEEvT1_,comdat
	.protected	_ZN7rocprim17ROCPRIM_400000_NS6detail17trampoline_kernelINS0_14default_configENS1_25partition_config_selectorILNS1_17partition_subalgoE3EiNS0_10empty_typeEbEEZZNS1_14partition_implILS5_3ELb0ES3_jN6thrust23THRUST_200600_302600_NS6detail15normal_iteratorINSA_7pointerIiNSA_11hip_rocprim5par_tENSA_11use_defaultESG_EEEEPS6_SJ_NS0_5tupleIJPiSJ_EEENSK_IJSJ_SJ_EEES6_PlJ7is_evenIiEEEE10hipError_tPvRmT3_T4_T5_T6_T7_T9_mT8_P12ihipStream_tbDpT10_ENKUlT_T0_E_clISt17integral_constantIbLb1EES1A_EEDaS15_S16_EUlS15_E_NS1_11comp_targetILNS1_3genE0ELNS1_11target_archE4294967295ELNS1_3gpuE0ELNS1_3repE0EEENS1_30default_config_static_selectorELNS0_4arch9wavefront6targetE1EEEvT1_ ; -- Begin function _ZN7rocprim17ROCPRIM_400000_NS6detail17trampoline_kernelINS0_14default_configENS1_25partition_config_selectorILNS1_17partition_subalgoE3EiNS0_10empty_typeEbEEZZNS1_14partition_implILS5_3ELb0ES3_jN6thrust23THRUST_200600_302600_NS6detail15normal_iteratorINSA_7pointerIiNSA_11hip_rocprim5par_tENSA_11use_defaultESG_EEEEPS6_SJ_NS0_5tupleIJPiSJ_EEENSK_IJSJ_SJ_EEES6_PlJ7is_evenIiEEEE10hipError_tPvRmT3_T4_T5_T6_T7_T9_mT8_P12ihipStream_tbDpT10_ENKUlT_T0_E_clISt17integral_constantIbLb1EES1A_EEDaS15_S16_EUlS15_E_NS1_11comp_targetILNS1_3genE0ELNS1_11target_archE4294967295ELNS1_3gpuE0ELNS1_3repE0EEENS1_30default_config_static_selectorELNS0_4arch9wavefront6targetE1EEEvT1_
	.globl	_ZN7rocprim17ROCPRIM_400000_NS6detail17trampoline_kernelINS0_14default_configENS1_25partition_config_selectorILNS1_17partition_subalgoE3EiNS0_10empty_typeEbEEZZNS1_14partition_implILS5_3ELb0ES3_jN6thrust23THRUST_200600_302600_NS6detail15normal_iteratorINSA_7pointerIiNSA_11hip_rocprim5par_tENSA_11use_defaultESG_EEEEPS6_SJ_NS0_5tupleIJPiSJ_EEENSK_IJSJ_SJ_EEES6_PlJ7is_evenIiEEEE10hipError_tPvRmT3_T4_T5_T6_T7_T9_mT8_P12ihipStream_tbDpT10_ENKUlT_T0_E_clISt17integral_constantIbLb1EES1A_EEDaS15_S16_EUlS15_E_NS1_11comp_targetILNS1_3genE0ELNS1_11target_archE4294967295ELNS1_3gpuE0ELNS1_3repE0EEENS1_30default_config_static_selectorELNS0_4arch9wavefront6targetE1EEEvT1_
	.p2align	8
	.type	_ZN7rocprim17ROCPRIM_400000_NS6detail17trampoline_kernelINS0_14default_configENS1_25partition_config_selectorILNS1_17partition_subalgoE3EiNS0_10empty_typeEbEEZZNS1_14partition_implILS5_3ELb0ES3_jN6thrust23THRUST_200600_302600_NS6detail15normal_iteratorINSA_7pointerIiNSA_11hip_rocprim5par_tENSA_11use_defaultESG_EEEEPS6_SJ_NS0_5tupleIJPiSJ_EEENSK_IJSJ_SJ_EEES6_PlJ7is_evenIiEEEE10hipError_tPvRmT3_T4_T5_T6_T7_T9_mT8_P12ihipStream_tbDpT10_ENKUlT_T0_E_clISt17integral_constantIbLb1EES1A_EEDaS15_S16_EUlS15_E_NS1_11comp_targetILNS1_3genE0ELNS1_11target_archE4294967295ELNS1_3gpuE0ELNS1_3repE0EEENS1_30default_config_static_selectorELNS0_4arch9wavefront6targetE1EEEvT1_,@function
_ZN7rocprim17ROCPRIM_400000_NS6detail17trampoline_kernelINS0_14default_configENS1_25partition_config_selectorILNS1_17partition_subalgoE3EiNS0_10empty_typeEbEEZZNS1_14partition_implILS5_3ELb0ES3_jN6thrust23THRUST_200600_302600_NS6detail15normal_iteratorINSA_7pointerIiNSA_11hip_rocprim5par_tENSA_11use_defaultESG_EEEEPS6_SJ_NS0_5tupleIJPiSJ_EEENSK_IJSJ_SJ_EEES6_PlJ7is_evenIiEEEE10hipError_tPvRmT3_T4_T5_T6_T7_T9_mT8_P12ihipStream_tbDpT10_ENKUlT_T0_E_clISt17integral_constantIbLb1EES1A_EEDaS15_S16_EUlS15_E_NS1_11comp_targetILNS1_3genE0ELNS1_11target_archE4294967295ELNS1_3gpuE0ELNS1_3repE0EEENS1_30default_config_static_selectorELNS0_4arch9wavefront6targetE1EEEvT1_: ; @_ZN7rocprim17ROCPRIM_400000_NS6detail17trampoline_kernelINS0_14default_configENS1_25partition_config_selectorILNS1_17partition_subalgoE3EiNS0_10empty_typeEbEEZZNS1_14partition_implILS5_3ELb0ES3_jN6thrust23THRUST_200600_302600_NS6detail15normal_iteratorINSA_7pointerIiNSA_11hip_rocprim5par_tENSA_11use_defaultESG_EEEEPS6_SJ_NS0_5tupleIJPiSJ_EEENSK_IJSJ_SJ_EEES6_PlJ7is_evenIiEEEE10hipError_tPvRmT3_T4_T5_T6_T7_T9_mT8_P12ihipStream_tbDpT10_ENKUlT_T0_E_clISt17integral_constantIbLb1EES1A_EEDaS15_S16_EUlS15_E_NS1_11comp_targetILNS1_3genE0ELNS1_11target_archE4294967295ELNS1_3gpuE0ELNS1_3repE0EEENS1_30default_config_static_selectorELNS0_4arch9wavefront6targetE1EEEvT1_
; %bb.0:
	.section	.rodata,"a",@progbits
	.p2align	6, 0x0
	.amdhsa_kernel _ZN7rocprim17ROCPRIM_400000_NS6detail17trampoline_kernelINS0_14default_configENS1_25partition_config_selectorILNS1_17partition_subalgoE3EiNS0_10empty_typeEbEEZZNS1_14partition_implILS5_3ELb0ES3_jN6thrust23THRUST_200600_302600_NS6detail15normal_iteratorINSA_7pointerIiNSA_11hip_rocprim5par_tENSA_11use_defaultESG_EEEEPS6_SJ_NS0_5tupleIJPiSJ_EEENSK_IJSJ_SJ_EEES6_PlJ7is_evenIiEEEE10hipError_tPvRmT3_T4_T5_T6_T7_T9_mT8_P12ihipStream_tbDpT10_ENKUlT_T0_E_clISt17integral_constantIbLb1EES1A_EEDaS15_S16_EUlS15_E_NS1_11comp_targetILNS1_3genE0ELNS1_11target_archE4294967295ELNS1_3gpuE0ELNS1_3repE0EEENS1_30default_config_static_selectorELNS0_4arch9wavefront6targetE1EEEvT1_
		.amdhsa_group_segment_fixed_size 0
		.amdhsa_private_segment_fixed_size 0
		.amdhsa_kernarg_size 136
		.amdhsa_user_sgpr_count 2
		.amdhsa_user_sgpr_dispatch_ptr 0
		.amdhsa_user_sgpr_queue_ptr 0
		.amdhsa_user_sgpr_kernarg_segment_ptr 1
		.amdhsa_user_sgpr_dispatch_id 0
		.amdhsa_user_sgpr_kernarg_preload_length 0
		.amdhsa_user_sgpr_kernarg_preload_offset 0
		.amdhsa_user_sgpr_private_segment_size 0
		.amdhsa_uses_dynamic_stack 0
		.amdhsa_enable_private_segment 0
		.amdhsa_system_sgpr_workgroup_id_x 1
		.amdhsa_system_sgpr_workgroup_id_y 0
		.amdhsa_system_sgpr_workgroup_id_z 0
		.amdhsa_system_sgpr_workgroup_info 0
		.amdhsa_system_vgpr_workitem_id 0
		.amdhsa_next_free_vgpr 1
		.amdhsa_next_free_sgpr 0
		.amdhsa_accum_offset 4
		.amdhsa_reserve_vcc 0
		.amdhsa_float_round_mode_32 0
		.amdhsa_float_round_mode_16_64 0
		.amdhsa_float_denorm_mode_32 3
		.amdhsa_float_denorm_mode_16_64 3
		.amdhsa_dx10_clamp 1
		.amdhsa_ieee_mode 1
		.amdhsa_fp16_overflow 0
		.amdhsa_tg_split 0
		.amdhsa_exception_fp_ieee_invalid_op 0
		.amdhsa_exception_fp_denorm_src 0
		.amdhsa_exception_fp_ieee_div_zero 0
		.amdhsa_exception_fp_ieee_overflow 0
		.amdhsa_exception_fp_ieee_underflow 0
		.amdhsa_exception_fp_ieee_inexact 0
		.amdhsa_exception_int_div_zero 0
	.end_amdhsa_kernel
	.section	.text._ZN7rocprim17ROCPRIM_400000_NS6detail17trampoline_kernelINS0_14default_configENS1_25partition_config_selectorILNS1_17partition_subalgoE3EiNS0_10empty_typeEbEEZZNS1_14partition_implILS5_3ELb0ES3_jN6thrust23THRUST_200600_302600_NS6detail15normal_iteratorINSA_7pointerIiNSA_11hip_rocprim5par_tENSA_11use_defaultESG_EEEEPS6_SJ_NS0_5tupleIJPiSJ_EEENSK_IJSJ_SJ_EEES6_PlJ7is_evenIiEEEE10hipError_tPvRmT3_T4_T5_T6_T7_T9_mT8_P12ihipStream_tbDpT10_ENKUlT_T0_E_clISt17integral_constantIbLb1EES1A_EEDaS15_S16_EUlS15_E_NS1_11comp_targetILNS1_3genE0ELNS1_11target_archE4294967295ELNS1_3gpuE0ELNS1_3repE0EEENS1_30default_config_static_selectorELNS0_4arch9wavefront6targetE1EEEvT1_,"axG",@progbits,_ZN7rocprim17ROCPRIM_400000_NS6detail17trampoline_kernelINS0_14default_configENS1_25partition_config_selectorILNS1_17partition_subalgoE3EiNS0_10empty_typeEbEEZZNS1_14partition_implILS5_3ELb0ES3_jN6thrust23THRUST_200600_302600_NS6detail15normal_iteratorINSA_7pointerIiNSA_11hip_rocprim5par_tENSA_11use_defaultESG_EEEEPS6_SJ_NS0_5tupleIJPiSJ_EEENSK_IJSJ_SJ_EEES6_PlJ7is_evenIiEEEE10hipError_tPvRmT3_T4_T5_T6_T7_T9_mT8_P12ihipStream_tbDpT10_ENKUlT_T0_E_clISt17integral_constantIbLb1EES1A_EEDaS15_S16_EUlS15_E_NS1_11comp_targetILNS1_3genE0ELNS1_11target_archE4294967295ELNS1_3gpuE0ELNS1_3repE0EEENS1_30default_config_static_selectorELNS0_4arch9wavefront6targetE1EEEvT1_,comdat
.Lfunc_end3670:
	.size	_ZN7rocprim17ROCPRIM_400000_NS6detail17trampoline_kernelINS0_14default_configENS1_25partition_config_selectorILNS1_17partition_subalgoE3EiNS0_10empty_typeEbEEZZNS1_14partition_implILS5_3ELb0ES3_jN6thrust23THRUST_200600_302600_NS6detail15normal_iteratorINSA_7pointerIiNSA_11hip_rocprim5par_tENSA_11use_defaultESG_EEEEPS6_SJ_NS0_5tupleIJPiSJ_EEENSK_IJSJ_SJ_EEES6_PlJ7is_evenIiEEEE10hipError_tPvRmT3_T4_T5_T6_T7_T9_mT8_P12ihipStream_tbDpT10_ENKUlT_T0_E_clISt17integral_constantIbLb1EES1A_EEDaS15_S16_EUlS15_E_NS1_11comp_targetILNS1_3genE0ELNS1_11target_archE4294967295ELNS1_3gpuE0ELNS1_3repE0EEENS1_30default_config_static_selectorELNS0_4arch9wavefront6targetE1EEEvT1_, .Lfunc_end3670-_ZN7rocprim17ROCPRIM_400000_NS6detail17trampoline_kernelINS0_14default_configENS1_25partition_config_selectorILNS1_17partition_subalgoE3EiNS0_10empty_typeEbEEZZNS1_14partition_implILS5_3ELb0ES3_jN6thrust23THRUST_200600_302600_NS6detail15normal_iteratorINSA_7pointerIiNSA_11hip_rocprim5par_tENSA_11use_defaultESG_EEEEPS6_SJ_NS0_5tupleIJPiSJ_EEENSK_IJSJ_SJ_EEES6_PlJ7is_evenIiEEEE10hipError_tPvRmT3_T4_T5_T6_T7_T9_mT8_P12ihipStream_tbDpT10_ENKUlT_T0_E_clISt17integral_constantIbLb1EES1A_EEDaS15_S16_EUlS15_E_NS1_11comp_targetILNS1_3genE0ELNS1_11target_archE4294967295ELNS1_3gpuE0ELNS1_3repE0EEENS1_30default_config_static_selectorELNS0_4arch9wavefront6targetE1EEEvT1_
                                        ; -- End function
	.section	.AMDGPU.csdata,"",@progbits
; Kernel info:
; codeLenInByte = 0
; NumSgprs: 6
; NumVgprs: 0
; NumAgprs: 0
; TotalNumVgprs: 0
; ScratchSize: 0
; MemoryBound: 0
; FloatMode: 240
; IeeeMode: 1
; LDSByteSize: 0 bytes/workgroup (compile time only)
; SGPRBlocks: 0
; VGPRBlocks: 0
; NumSGPRsForWavesPerEU: 6
; NumVGPRsForWavesPerEU: 1
; AccumOffset: 4
; Occupancy: 8
; WaveLimiterHint : 0
; COMPUTE_PGM_RSRC2:SCRATCH_EN: 0
; COMPUTE_PGM_RSRC2:USER_SGPR: 2
; COMPUTE_PGM_RSRC2:TRAP_HANDLER: 0
; COMPUTE_PGM_RSRC2:TGID_X_EN: 1
; COMPUTE_PGM_RSRC2:TGID_Y_EN: 0
; COMPUTE_PGM_RSRC2:TGID_Z_EN: 0
; COMPUTE_PGM_RSRC2:TIDIG_COMP_CNT: 0
; COMPUTE_PGM_RSRC3_GFX90A:ACCUM_OFFSET: 0
; COMPUTE_PGM_RSRC3_GFX90A:TG_SPLIT: 0
	.section	.text._ZN7rocprim17ROCPRIM_400000_NS6detail17trampoline_kernelINS0_14default_configENS1_25partition_config_selectorILNS1_17partition_subalgoE3EiNS0_10empty_typeEbEEZZNS1_14partition_implILS5_3ELb0ES3_jN6thrust23THRUST_200600_302600_NS6detail15normal_iteratorINSA_7pointerIiNSA_11hip_rocprim5par_tENSA_11use_defaultESG_EEEEPS6_SJ_NS0_5tupleIJPiSJ_EEENSK_IJSJ_SJ_EEES6_PlJ7is_evenIiEEEE10hipError_tPvRmT3_T4_T5_T6_T7_T9_mT8_P12ihipStream_tbDpT10_ENKUlT_T0_E_clISt17integral_constantIbLb1EES1A_EEDaS15_S16_EUlS15_E_NS1_11comp_targetILNS1_3genE5ELNS1_11target_archE942ELNS1_3gpuE9ELNS1_3repE0EEENS1_30default_config_static_selectorELNS0_4arch9wavefront6targetE1EEEvT1_,"axG",@progbits,_ZN7rocprim17ROCPRIM_400000_NS6detail17trampoline_kernelINS0_14default_configENS1_25partition_config_selectorILNS1_17partition_subalgoE3EiNS0_10empty_typeEbEEZZNS1_14partition_implILS5_3ELb0ES3_jN6thrust23THRUST_200600_302600_NS6detail15normal_iteratorINSA_7pointerIiNSA_11hip_rocprim5par_tENSA_11use_defaultESG_EEEEPS6_SJ_NS0_5tupleIJPiSJ_EEENSK_IJSJ_SJ_EEES6_PlJ7is_evenIiEEEE10hipError_tPvRmT3_T4_T5_T6_T7_T9_mT8_P12ihipStream_tbDpT10_ENKUlT_T0_E_clISt17integral_constantIbLb1EES1A_EEDaS15_S16_EUlS15_E_NS1_11comp_targetILNS1_3genE5ELNS1_11target_archE942ELNS1_3gpuE9ELNS1_3repE0EEENS1_30default_config_static_selectorELNS0_4arch9wavefront6targetE1EEEvT1_,comdat
	.protected	_ZN7rocprim17ROCPRIM_400000_NS6detail17trampoline_kernelINS0_14default_configENS1_25partition_config_selectorILNS1_17partition_subalgoE3EiNS0_10empty_typeEbEEZZNS1_14partition_implILS5_3ELb0ES3_jN6thrust23THRUST_200600_302600_NS6detail15normal_iteratorINSA_7pointerIiNSA_11hip_rocprim5par_tENSA_11use_defaultESG_EEEEPS6_SJ_NS0_5tupleIJPiSJ_EEENSK_IJSJ_SJ_EEES6_PlJ7is_evenIiEEEE10hipError_tPvRmT3_T4_T5_T6_T7_T9_mT8_P12ihipStream_tbDpT10_ENKUlT_T0_E_clISt17integral_constantIbLb1EES1A_EEDaS15_S16_EUlS15_E_NS1_11comp_targetILNS1_3genE5ELNS1_11target_archE942ELNS1_3gpuE9ELNS1_3repE0EEENS1_30default_config_static_selectorELNS0_4arch9wavefront6targetE1EEEvT1_ ; -- Begin function _ZN7rocprim17ROCPRIM_400000_NS6detail17trampoline_kernelINS0_14default_configENS1_25partition_config_selectorILNS1_17partition_subalgoE3EiNS0_10empty_typeEbEEZZNS1_14partition_implILS5_3ELb0ES3_jN6thrust23THRUST_200600_302600_NS6detail15normal_iteratorINSA_7pointerIiNSA_11hip_rocprim5par_tENSA_11use_defaultESG_EEEEPS6_SJ_NS0_5tupleIJPiSJ_EEENSK_IJSJ_SJ_EEES6_PlJ7is_evenIiEEEE10hipError_tPvRmT3_T4_T5_T6_T7_T9_mT8_P12ihipStream_tbDpT10_ENKUlT_T0_E_clISt17integral_constantIbLb1EES1A_EEDaS15_S16_EUlS15_E_NS1_11comp_targetILNS1_3genE5ELNS1_11target_archE942ELNS1_3gpuE9ELNS1_3repE0EEENS1_30default_config_static_selectorELNS0_4arch9wavefront6targetE1EEEvT1_
	.globl	_ZN7rocprim17ROCPRIM_400000_NS6detail17trampoline_kernelINS0_14default_configENS1_25partition_config_selectorILNS1_17partition_subalgoE3EiNS0_10empty_typeEbEEZZNS1_14partition_implILS5_3ELb0ES3_jN6thrust23THRUST_200600_302600_NS6detail15normal_iteratorINSA_7pointerIiNSA_11hip_rocprim5par_tENSA_11use_defaultESG_EEEEPS6_SJ_NS0_5tupleIJPiSJ_EEENSK_IJSJ_SJ_EEES6_PlJ7is_evenIiEEEE10hipError_tPvRmT3_T4_T5_T6_T7_T9_mT8_P12ihipStream_tbDpT10_ENKUlT_T0_E_clISt17integral_constantIbLb1EES1A_EEDaS15_S16_EUlS15_E_NS1_11comp_targetILNS1_3genE5ELNS1_11target_archE942ELNS1_3gpuE9ELNS1_3repE0EEENS1_30default_config_static_selectorELNS0_4arch9wavefront6targetE1EEEvT1_
	.p2align	8
	.type	_ZN7rocprim17ROCPRIM_400000_NS6detail17trampoline_kernelINS0_14default_configENS1_25partition_config_selectorILNS1_17partition_subalgoE3EiNS0_10empty_typeEbEEZZNS1_14partition_implILS5_3ELb0ES3_jN6thrust23THRUST_200600_302600_NS6detail15normal_iteratorINSA_7pointerIiNSA_11hip_rocprim5par_tENSA_11use_defaultESG_EEEEPS6_SJ_NS0_5tupleIJPiSJ_EEENSK_IJSJ_SJ_EEES6_PlJ7is_evenIiEEEE10hipError_tPvRmT3_T4_T5_T6_T7_T9_mT8_P12ihipStream_tbDpT10_ENKUlT_T0_E_clISt17integral_constantIbLb1EES1A_EEDaS15_S16_EUlS15_E_NS1_11comp_targetILNS1_3genE5ELNS1_11target_archE942ELNS1_3gpuE9ELNS1_3repE0EEENS1_30default_config_static_selectorELNS0_4arch9wavefront6targetE1EEEvT1_,@function
_ZN7rocprim17ROCPRIM_400000_NS6detail17trampoline_kernelINS0_14default_configENS1_25partition_config_selectorILNS1_17partition_subalgoE3EiNS0_10empty_typeEbEEZZNS1_14partition_implILS5_3ELb0ES3_jN6thrust23THRUST_200600_302600_NS6detail15normal_iteratorINSA_7pointerIiNSA_11hip_rocprim5par_tENSA_11use_defaultESG_EEEEPS6_SJ_NS0_5tupleIJPiSJ_EEENSK_IJSJ_SJ_EEES6_PlJ7is_evenIiEEEE10hipError_tPvRmT3_T4_T5_T6_T7_T9_mT8_P12ihipStream_tbDpT10_ENKUlT_T0_E_clISt17integral_constantIbLb1EES1A_EEDaS15_S16_EUlS15_E_NS1_11comp_targetILNS1_3genE5ELNS1_11target_archE942ELNS1_3gpuE9ELNS1_3repE0EEENS1_30default_config_static_selectorELNS0_4arch9wavefront6targetE1EEEvT1_: ; @_ZN7rocprim17ROCPRIM_400000_NS6detail17trampoline_kernelINS0_14default_configENS1_25partition_config_selectorILNS1_17partition_subalgoE3EiNS0_10empty_typeEbEEZZNS1_14partition_implILS5_3ELb0ES3_jN6thrust23THRUST_200600_302600_NS6detail15normal_iteratorINSA_7pointerIiNSA_11hip_rocprim5par_tENSA_11use_defaultESG_EEEEPS6_SJ_NS0_5tupleIJPiSJ_EEENSK_IJSJ_SJ_EEES6_PlJ7is_evenIiEEEE10hipError_tPvRmT3_T4_T5_T6_T7_T9_mT8_P12ihipStream_tbDpT10_ENKUlT_T0_E_clISt17integral_constantIbLb1EES1A_EEDaS15_S16_EUlS15_E_NS1_11comp_targetILNS1_3genE5ELNS1_11target_archE942ELNS1_3gpuE9ELNS1_3repE0EEENS1_30default_config_static_selectorELNS0_4arch9wavefront6targetE1EEEvT1_
; %bb.0:
	s_load_dwordx2 s[22:23], s[0:1], 0x28
	s_load_dwordx4 s[24:27], s[0:1], 0x48
	s_load_dwordx2 s[34:35], s[0:1], 0x58
	s_load_dwordx2 s[36:37], s[0:1], 0x68
	v_cmp_eq_u32_e64 s[20:21], 0, v0
	s_and_saveexec_b64 s[2:3], s[20:21]
	s_cbranch_execz .LBB3671_4
; %bb.1:
	s_mov_b64 s[6:7], exec
	v_mbcnt_lo_u32_b32 v1, s6, 0
	v_mbcnt_hi_u32_b32 v1, s7, v1
	v_cmp_eq_u32_e32 vcc, 0, v1
                                        ; implicit-def: $vgpr2
	s_and_saveexec_b64 s[4:5], vcc
	s_cbranch_execz .LBB3671_3
; %bb.2:
	s_load_dwordx2 s[8:9], s[0:1], 0x78
	s_bcnt1_i32_b64 s6, s[6:7]
	v_mov_b32_e32 v2, 0
	v_mov_b32_e32 v3, s6
	s_waitcnt lgkmcnt(0)
	global_atomic_add v2, v2, v3, s[8:9] sc0
.LBB3671_3:
	s_or_b64 exec, exec, s[4:5]
	s_waitcnt vmcnt(0)
	v_readfirstlane_b32 s4, v2
	v_mov_b32_e32 v2, 0
	s_nop 0
	v_add_u32_e32 v1, s4, v1
	ds_write_b32 v2, v1
.LBB3671_4:
	s_or_b64 exec, exec, s[2:3]
	v_mov_b32_e32 v19, 0
	s_load_dwordx4 s[28:31], s[0:1], 0x8
	s_load_dword s2, s[0:1], 0x70
	s_waitcnt lgkmcnt(0)
	s_barrier
	ds_read_b32 v1, v19
	s_waitcnt lgkmcnt(0)
	s_barrier
	global_load_dwordx2 v[20:21], v19, s[26:27]
	s_lshl_b64 s[0:1], s[30:31], 2
	s_add_u32 s0, s28, s0
	s_addc_u32 s1, s29, s1
	s_movk_i32 s3, 0x1e00
	s_add_i32 s4, s2, -1
	s_mulk_i32 s2, 0x1e00
	v_mul_lo_u32 v18, v1, s3
	s_add_i32 s3, s2, s30
	s_sub_i32 s33, s34, s3
	s_addk_i32 s33, 0x1e00
	s_add_u32 s2, s30, s2
	v_readfirstlane_b32 s40, v1
	s_addc_u32 s3, s31, 0
	s_cmp_eq_u32 s40, s4
	v_mov_b64_e32 v[2:3], s[34:35]
	s_cselect_b64 s[26:27], -1, 0
	s_cmp_lg_u32 s40, s4
	v_cmp_lt_u64_e32 vcc, s[2:3], v[2:3]
	s_cselect_b64 s[2:3], -1, 0
	s_or_b64 s[4:5], vcc, s[2:3]
	v_lshlrev_b64 v[2:3], 2, v[18:19]
	v_lshl_add_u64 v[24:25], s[0:1], 0, v[2:3]
	s_mov_b64 s[0:1], -1
	s_and_b64 vcc, exec, s[4:5]
	v_lshlrev_b32_e32 v22, 2, v0
	s_cbranch_vccz .LBB3671_6
; %bb.5:
	v_mov_b32_e32 v23, v19
	v_lshl_add_u64 v[2:3], v[24:25], 0, v[22:23]
	v_add_co_u32_e32 v4, vcc, 0x1000, v2
	s_mov_b64 s[0:1], 0
	s_nop 0
	v_addc_co_u32_e32 v5, vcc, 0, v3, vcc
	v_add_co_u32_e32 v6, vcc, 0x2000, v2
	s_nop 1
	v_addc_co_u32_e32 v7, vcc, 0, v3, vcc
	v_add_co_u32_e32 v8, vcc, 0x3000, v2
	s_nop 1
	v_addc_co_u32_e32 v9, vcc, 0, v3, vcc
	flat_load_dword v1, v[2:3]
	flat_load_dword v10, v[2:3] offset:2048
	flat_load_dword v11, v[4:5]
	flat_load_dword v12, v[4:5] offset:2048
	;; [unrolled: 2-line block ×4, first 2 shown]
	v_add_co_u32_e32 v4, vcc, 0x4000, v2
	s_nop 1
	v_addc_co_u32_e32 v5, vcc, 0, v3, vcc
	v_add_co_u32_e32 v6, vcc, 0x5000, v2
	s_nop 1
	v_addc_co_u32_e32 v7, vcc, 0, v3, vcc
	;; [unrolled: 3-line block ×4, first 2 shown]
	flat_load_dword v17, v[4:5]
	flat_load_dword v23, v[4:5] offset:2048
	flat_load_dword v26, v[6:7]
	flat_load_dword v27, v[6:7] offset:2048
	;; [unrolled: 2-line block ×3, first 2 shown]
	flat_load_dword v30, v[2:3]
	s_waitcnt vmcnt(0) lgkmcnt(0)
	ds_write2st64_b32 v22, v1, v10 offset1:8
	ds_write2st64_b32 v22, v11, v12 offset0:16 offset1:24
	ds_write2st64_b32 v22, v13, v14 offset0:32 offset1:40
	;; [unrolled: 1-line block ×6, first 2 shown]
	ds_write_b32 v22, v30 offset:28672
	s_waitcnt lgkmcnt(0)
	s_barrier
.LBB3671_6:
	s_andn2_b64 vcc, exec, s[0:1]
	v_cmp_gt_u32_e64 s[0:1], s33, v0
	s_cbranch_vccnz .LBB3671_38
; %bb.7:
                                        ; implicit-def: $vgpr2_vgpr3_vgpr4_vgpr5_vgpr6_vgpr7_vgpr8_vgpr9_vgpr10_vgpr11_vgpr12_vgpr13_vgpr14_vgpr15_vgpr16_vgpr17
	s_and_saveexec_b64 s[2:3], s[0:1]
	s_cbranch_execz .LBB3671_9
; %bb.8:
	v_mov_b32_e32 v23, 0
	v_lshl_add_u64 v[2:3], v[24:25], 0, v[22:23]
	flat_load_dword v2, v[2:3]
.LBB3671_9:
	s_or_b64 exec, exec, s[2:3]
	v_or_b32_e32 v1, 0x200, v0
	v_cmp_gt_u32_e32 vcc, s33, v1
	s_and_saveexec_b64 s[0:1], vcc
	s_cbranch_execz .LBB3671_11
; %bb.10:
	v_mov_b32_e32 v23, 0
	v_lshl_add_u64 v[26:27], v[24:25], 0, v[22:23]
	flat_load_dword v3, v[26:27] offset:2048
.LBB3671_11:
	s_or_b64 exec, exec, s[0:1]
	v_or_b32_e32 v1, 0x400, v0
	v_cmp_gt_u32_e32 vcc, s33, v1
	s_and_saveexec_b64 s[0:1], vcc
	s_cbranch_execz .LBB3671_13
; %bb.12:
	v_lshlrev_b32_e32 v26, 2, v1
	v_mov_b32_e32 v27, 0
	v_lshl_add_u64 v[26:27], v[24:25], 0, v[26:27]
	flat_load_dword v4, v[26:27]
.LBB3671_13:
	s_or_b64 exec, exec, s[0:1]
	v_or_b32_e32 v1, 0x600, v0
	v_cmp_gt_u32_e32 vcc, s33, v1
	s_and_saveexec_b64 s[0:1], vcc
	s_cbranch_execz .LBB3671_15
; %bb.14:
	v_lshlrev_b32_e32 v26, 2, v1
	v_mov_b32_e32 v27, 0
	v_lshl_add_u64 v[26:27], v[24:25], 0, v[26:27]
	flat_load_dword v5, v[26:27]
.LBB3671_15:
	;; [unrolled: 11-line block ×13, first 2 shown]
	s_or_b64 exec, exec, s[0:1]
	s_waitcnt vmcnt(0) lgkmcnt(0)
	ds_write2st64_b32 v22, v2, v3 offset1:8
	ds_write2st64_b32 v22, v4, v5 offset0:16 offset1:24
	ds_write2st64_b32 v22, v6, v7 offset0:32 offset1:40
	;; [unrolled: 1-line block ×6, first 2 shown]
	ds_write_b32 v22, v16 offset:28672
	s_waitcnt lgkmcnt(0)
	s_barrier
.LBB3671_38:
	v_mul_u32_u24_e32 v41, 15, v0
	v_lshlrev_b32_e32 v1, 2, v41
	ds_read2_b32 v[38:39], v1 offset1:1
	ds_read2_b32 v[36:37], v1 offset0:2 offset1:3
	ds_read2_b32 v[34:35], v1 offset0:4 offset1:5
	ds_read2_b32 v[32:33], v1 offset0:6 offset1:7
	ds_read2_b32 v[30:31], v1 offset0:8 offset1:9
	ds_read2_b32 v[28:29], v1 offset0:10 offset1:11
	ds_read2_b32 v[26:27], v1 offset0:12 offset1:13
	ds_read_b32 v1, v1 offset:56
	v_cndmask_b32_e64 v2, 0, 1, s[4:5]
	v_cmp_ne_u32_e64 s[2:3], 1, v2
	s_andn2_b64 vcc, exec, s[4:5]
	s_waitcnt lgkmcnt(7)
	v_xor_b32_e32 v16, -1, v38
	v_xor_b32_e32 v15, -1, v39
	s_waitcnt lgkmcnt(6)
	v_xor_b32_e32 v14, -1, v36
	v_xor_b32_e32 v13, -1, v37
	;; [unrolled: 3-line block ×7, first 2 shown]
	s_waitcnt lgkmcnt(0)
	v_xor_b32_e32 v2, -1, v1
	s_barrier
	s_cbranch_vccnz .LBB3671_40
; %bb.39:
	v_and_b32_e32 v54, 1, v16
	v_and_b32_e32 v53, 1, v15
	;; [unrolled: 1-line block ×15, first 2 shown]
	s_cbranch_execz .LBB3671_41
	s_branch .LBB3671_42
.LBB3671_40:
                                        ; implicit-def: $vgpr23
                                        ; implicit-def: $vgpr40
                                        ; implicit-def: $vgpr42
                                        ; implicit-def: $vgpr43
                                        ; implicit-def: $vgpr44
                                        ; implicit-def: $vgpr45
                                        ; implicit-def: $vgpr46
                                        ; implicit-def: $vgpr47
                                        ; implicit-def: $vgpr48
                                        ; implicit-def: $vgpr54
                                        ; implicit-def: $vgpr53
                                        ; implicit-def: $vgpr52
                                        ; implicit-def: $vgpr51
                                        ; implicit-def: $vgpr50
                                        ; implicit-def: $vgpr49
.LBB3671_41:
	v_add_u32_e32 v48, 1, v41
	v_cmp_gt_u32_e32 vcc, s33, v41
	v_add_u32_e32 v17, 2, v41
	v_add_u32_e32 v47, 3, v41
	v_cndmask_b32_e64 v49, 0, 1, vcc
	v_cmp_gt_u32_e32 vcc, s33, v48
	v_and_b32_e32 v54, v49, v16
	v_add_u32_e32 v23, 4, v41
	v_cndmask_b32_e64 v16, 0, 1, vcc
	v_cmp_gt_u32_e32 vcc, s33, v17
	v_and_b32_e32 v53, v16, v15
	;; [unrolled: 4-line block ×12, first 2 shown]
	s_nop 0
	v_cndmask_b32_e64 v5, 0, 1, vcc
	v_cmp_gt_u32_e32 vcc, s33, v56
	v_and_b32_e32 v42, v5, v4
	s_nop 0
	v_cndmask_b32_e64 v4, 0, 1, vcc
	v_cmp_gt_u32_e32 vcc, s33, v55
	v_and_b32_e32 v40, v4, v3
	s_nop 0
	v_cndmask_b32_e64 v3, 0, 1, vcc
	v_and_b32_e32 v23, v3, v2
.LBB3671_42:
	v_and_b32_e32 v59, 0xff, v51
	v_and_b32_e32 v60, 0xff, v50
	;; [unrolled: 1-line block ×5, first 2 shown]
	v_add3_u32 v3, v60, v61, v59
	v_and_b32_e32 v55, 0xff, v54
	v_and_b32_e32 v62, 0xff, v48
	v_add3_u32 v3, v3, v58, v57
	v_and_b32_e32 v63, 0xff, v47
	v_and_b32_e32 v64, 0xff, v46
	;; [unrolled: 3-line block ×5, first 2 shown]
	v_add3_u32 v3, v3, v67, v68
	v_add3_u32 v72, v3, v69, v2
	v_mbcnt_lo_u32_b32 v2, -1, 0
	v_mbcnt_hi_u32_b32 v70, -1, v2
	v_and_b32_e32 v2, 15, v70
	v_cmp_eq_u32_e64 s[16:17], 0, v2
	v_cmp_lt_u32_e64 s[14:15], 1, v2
	v_cmp_lt_u32_e64 s[12:13], 3, v2
	;; [unrolled: 1-line block ×3, first 2 shown]
	v_and_b32_e32 v2, 16, v70
	v_cmp_eq_u32_e64 s[8:9], 0, v2
	v_or_b32_e32 v2, 63, v0
	s_cmp_lg_u32 s40, 0
	v_cmp_lt_u32_e64 s[4:5], 31, v70
	v_lshrrev_b32_e32 v71, 6, v0
	v_cmp_eq_u32_e64 s[6:7], v2, v0
	s_cbranch_scc0 .LBB3671_73
; %bb.43:
	v_mov_b32_dpp v2, v72 row_shr:1 row_mask:0xf bank_mask:0xf
	v_cndmask_b32_e64 v2, v2, 0, s[16:17]
	v_add_u32_e32 v2, v2, v72
	s_nop 1
	v_mov_b32_dpp v3, v2 row_shr:2 row_mask:0xf bank_mask:0xf
	v_cndmask_b32_e64 v3, 0, v3, s[14:15]
	v_add_u32_e32 v2, v2, v3
	s_nop 1
	;; [unrolled: 4-line block ×4, first 2 shown]
	v_mov_b32_dpp v3, v2 row_bcast:15 row_mask:0xf bank_mask:0xf
	v_cndmask_b32_e64 v3, v3, 0, s[8:9]
	v_add_u32_e32 v2, v2, v3
	s_nop 1
	v_mov_b32_dpp v3, v2 row_bcast:31 row_mask:0xf bank_mask:0xf
	v_cndmask_b32_e64 v3, 0, v3, s[4:5]
	v_add_u32_e32 v2, v2, v3
	s_and_saveexec_b64 s[0:1], s[6:7]
	s_cbranch_execz .LBB3671_45
; %bb.44:
	v_lshlrev_b32_e32 v3, 2, v71
	ds_write_b32 v3, v2
.LBB3671_45:
	s_or_b64 exec, exec, s[0:1]
	v_cmp_gt_u32_e32 vcc, 8, v0
	s_waitcnt lgkmcnt(0)
	s_barrier
	s_and_saveexec_b64 s[0:1], vcc
	s_cbranch_execz .LBB3671_47
; %bb.46:
	ds_read_b32 v3, v22
	v_and_b32_e32 v4, 7, v70
	v_cmp_ne_u32_e32 vcc, 0, v4
	s_waitcnt lgkmcnt(0)
	v_mov_b32_dpp v5, v3 row_shr:1 row_mask:0xf bank_mask:0xf
	v_cndmask_b32_e32 v5, 0, v5, vcc
	v_add_u32_e32 v3, v5, v3
	v_cmp_lt_u32_e32 vcc, 1, v4
	s_nop 0
	v_mov_b32_dpp v5, v3 row_shr:2 row_mask:0xf bank_mask:0xf
	v_cndmask_b32_e32 v5, 0, v5, vcc
	v_add_u32_e32 v3, v3, v5
	v_cmp_lt_u32_e32 vcc, 3, v4
	s_nop 0
	v_mov_b32_dpp v5, v3 row_shr:4 row_mask:0xf bank_mask:0xf
	v_cndmask_b32_e32 v4, 0, v5, vcc
	v_add_u32_e32 v3, v3, v4
	ds_write_b32 v22, v3
.LBB3671_47:
	s_or_b64 exec, exec, s[0:1]
	v_cmp_gt_u32_e32 vcc, 64, v0
	v_cmp_lt_u32_e64 s[0:1], 63, v0
	s_waitcnt lgkmcnt(0)
	s_barrier
	s_waitcnt lgkmcnt(0)
                                        ; implicit-def: $vgpr12
	s_and_saveexec_b64 s[18:19], s[0:1]
	s_cbranch_execz .LBB3671_49
; %bb.48:
	v_lshl_add_u32 v3, v71, 2, -4
	ds_read_b32 v12, v3
	s_waitcnt lgkmcnt(0)
	v_add_u32_e32 v2, v12, v2
.LBB3671_49:
	s_or_b64 exec, exec, s[18:19]
	v_add_u32_e32 v3, -1, v70
	v_and_b32_e32 v4, 64, v70
	v_cmp_lt_i32_e64 s[0:1], v3, v4
	v_cmp_eq_u32_e64 s[18:19], 0, v70
	s_nop 0
	v_cndmask_b32_e64 v3, v3, v70, s[0:1]
	v_lshlrev_b32_e32 v3, 2, v3
	ds_bpermute_b32 v13, v3, v2
	s_and_saveexec_b64 s[0:1], vcc
	s_cbranch_execz .LBB3671_72
; %bb.50:
	v_mov_b32_e32 v11, 0
	ds_read_b32 v2, v11 offset:28
	s_and_saveexec_b64 s[28:29], s[18:19]
	s_cbranch_execz .LBB3671_52
; %bb.51:
	s_add_i32 s38, s40, 64
	s_mov_b32 s39, 0
	s_lshl_b64 s[38:39], s[38:39], 3
	s_add_u32 s38, s36, s38
	v_mov_b32_e32 v3, 1
	s_addc_u32 s39, s37, s39
	s_waitcnt lgkmcnt(0)
	global_store_dwordx2 v11, v[2:3], s[38:39] sc1
.LBB3671_52:
	s_or_b64 exec, exec, s[28:29]
	v_xad_u32 v4, v70, -1, s40
	v_add_u32_e32 v10, 64, v4
	v_lshl_add_u64 v[6:7], v[10:11], 3, s[36:37]
	global_load_dwordx2 v[8:9], v[6:7], off sc1
	s_waitcnt vmcnt(0)
	v_cmp_eq_u16_sdwa s[38:39], v9, v11 src0_sel:BYTE_0 src1_sel:DWORD
	s_and_saveexec_b64 s[28:29], s[38:39]
	s_cbranch_execz .LBB3671_58
; %bb.53:
	s_mov_b32 s41, 1
	s_mov_b64 s[38:39], 0
	v_mov_b32_e32 v3, 0
.LBB3671_54:                            ; =>This Loop Header: Depth=1
                                        ;     Child Loop BB3671_55 Depth 2
	s_max_u32 s42, s41, 1
.LBB3671_55:                            ;   Parent Loop BB3671_54 Depth=1
                                        ; =>  This Inner Loop Header: Depth=2
	s_add_i32 s42, s42, -1
	s_cmp_eq_u32 s42, 0
	s_sleep 1
	s_cbranch_scc0 .LBB3671_55
; %bb.56:                               ;   in Loop: Header=BB3671_54 Depth=1
	global_load_dwordx2 v[8:9], v[6:7], off sc1
	s_cmp_lt_u32 s41, 32
	s_cselect_b64 s[42:43], -1, 0
	s_cmp_lg_u64 s[42:43], 0
	s_addc_u32 s41, s41, 0
	s_waitcnt vmcnt(0)
	v_cmp_ne_u16_sdwa s[42:43], v9, v3 src0_sel:BYTE_0 src1_sel:DWORD
	s_or_b64 s[38:39], s[42:43], s[38:39]
	s_andn2_b64 exec, exec, s[38:39]
	s_cbranch_execnz .LBB3671_54
; %bb.57:
	s_or_b64 exec, exec, s[38:39]
.LBB3671_58:
	s_or_b64 exec, exec, s[28:29]
	v_and_b32_e32 v15, 63, v70
	v_mov_b32_e32 v14, 2
	v_cmp_ne_u32_e32 vcc, 63, v15
	v_cmp_eq_u16_sdwa s[28:29], v9, v14 src0_sel:BYTE_0 src1_sel:DWORD
	v_lshlrev_b64 v[6:7], v70, -1
	v_addc_co_u32_e32 v10, vcc, 0, v70, vcc
	v_and_b32_e32 v3, s29, v7
	v_lshlrev_b32_e32 v16, 2, v10
	v_or_b32_e32 v3, 0x80000000, v3
	ds_bpermute_b32 v10, v16, v8
	v_and_b32_e32 v5, s28, v6
	v_ffbl_b32_e32 v3, v3
	v_add_u32_e32 v3, 32, v3
	v_ffbl_b32_e32 v5, v5
	v_min_u32_e32 v3, v5, v3
	v_cmp_lt_u32_e32 vcc, v15, v3
	v_add_u32_e32 v24, 2, v15
	v_add_u32_e32 v56, 4, v15
	s_waitcnt lgkmcnt(0)
	v_cndmask_b32_e32 v5, 0, v10, vcc
	v_cmp_gt_u32_e32 vcc, 62, v15
	v_add_u32_e32 v5, v5, v8
	v_add_u32_e32 v74, 8, v15
	v_cndmask_b32_e64 v8, 0, 1, vcc
	v_lshlrev_b32_e32 v8, 1, v8
	v_add_lshl_u32 v17, v8, v70, 2
	ds_bpermute_b32 v8, v17, v5
	v_cmp_le_u32_e32 vcc, v24, v3
	v_add_u32_e32 v76, 16, v15
	v_add_u32_e32 v78, 32, v15
	s_waitcnt lgkmcnt(0)
	v_cndmask_b32_e32 v8, 0, v8, vcc
	v_cmp_gt_u32_e32 vcc, 60, v15
	v_add_u32_e32 v5, v5, v8
	s_nop 0
	v_cndmask_b32_e64 v8, 0, 1, vcc
	v_lshlrev_b32_e32 v8, 2, v8
	v_add_lshl_u32 v25, v8, v70, 2
	ds_bpermute_b32 v8, v25, v5
	v_cmp_le_u32_e32 vcc, v56, v3
	s_waitcnt lgkmcnt(0)
	s_nop 0
	v_cndmask_b32_e32 v8, 0, v8, vcc
	v_cmp_gt_u32_e32 vcc, 56, v15
	v_add_u32_e32 v5, v5, v8
	s_nop 0
	v_cndmask_b32_e64 v8, 0, 1, vcc
	v_lshlrev_b32_e32 v8, 3, v8
	v_add_lshl_u32 v73, v8, v70, 2
	ds_bpermute_b32 v8, v73, v5
	v_cmp_le_u32_e32 vcc, v74, v3
	s_waitcnt lgkmcnt(0)
	s_nop 0
	;; [unrolled: 11-line block ×4, first 2 shown]
	v_cndmask_b32_e32 v3, 0, v8, vcc
	v_add_u32_e32 v8, v5, v3
	v_mov_b32_e32 v5, 0
	s_branch .LBB3671_60
.LBB3671_59:                            ;   in Loop: Header=BB3671_60 Depth=1
	s_or_b64 exec, exec, s[28:29]
	v_cmp_eq_u16_sdwa s[28:29], v9, v14 src0_sel:BYTE_0 src1_sel:DWORD
	ds_bpermute_b32 v79, v16, v8
	v_subrev_u32_e32 v4, 64, v4
	v_and_b32_e32 v10, s29, v7
	v_or_b32_e32 v10, 0x80000000, v10
	v_and_b32_e32 v11, s28, v6
	v_ffbl_b32_e32 v10, v10
	v_add_u32_e32 v10, 32, v10
	v_ffbl_b32_e32 v11, v11
	v_min_u32_e32 v10, v11, v10
	v_cmp_lt_u32_e32 vcc, v15, v10
	s_waitcnt lgkmcnt(0)
	s_nop 0
	v_cndmask_b32_e32 v11, 0, v79, vcc
	v_add_u32_e32 v8, v11, v8
	ds_bpermute_b32 v11, v17, v8
	v_cmp_le_u32_e32 vcc, v24, v10
	s_waitcnt lgkmcnt(0)
	s_nop 0
	v_cndmask_b32_e32 v11, 0, v11, vcc
	v_add_u32_e32 v8, v8, v11
	ds_bpermute_b32 v11, v25, v8
	v_cmp_le_u32_e32 vcc, v56, v10
	;; [unrolled: 6-line block ×5, first 2 shown]
	s_waitcnt lgkmcnt(0)
	s_nop 0
	v_cndmask_b32_e32 v10, 0, v11, vcc
	v_add3_u32 v8, v10, v3, v8
.LBB3671_60:                            ; =>This Loop Header: Depth=1
                                        ;     Child Loop BB3671_63 Depth 2
                                        ;       Child Loop BB3671_64 Depth 3
	v_cmp_ne_u16_sdwa s[28:29], v9, v14 src0_sel:BYTE_0 src1_sel:DWORD
	s_nop 1
	v_cndmask_b32_e64 v3, 0, 1, s[28:29]
	;;#ASMSTART
	;;#ASMEND
	s_nop 0
	v_cmp_ne_u32_e32 vcc, 0, v3
	s_cmp_lg_u64 vcc, exec
	v_mov_b32_e32 v3, v8
	s_cbranch_scc1 .LBB3671_67
; %bb.61:                               ;   in Loop: Header=BB3671_60 Depth=1
	v_lshl_add_u64 v[10:11], v[4:5], 3, s[36:37]
	global_load_dwordx2 v[8:9], v[10:11], off sc1
	s_waitcnt vmcnt(0)
	v_cmp_eq_u16_sdwa s[38:39], v9, v5 src0_sel:BYTE_0 src1_sel:DWORD
	s_and_saveexec_b64 s[28:29], s[38:39]
	s_cbranch_execz .LBB3671_59
; %bb.62:                               ;   in Loop: Header=BB3671_60 Depth=1
	s_mov_b32 s41, 1
	s_mov_b64 s[38:39], 0
.LBB3671_63:                            ;   Parent Loop BB3671_60 Depth=1
                                        ; =>  This Loop Header: Depth=2
                                        ;       Child Loop BB3671_64 Depth 3
	s_max_u32 s42, s41, 1
.LBB3671_64:                            ;   Parent Loop BB3671_60 Depth=1
                                        ;     Parent Loop BB3671_63 Depth=2
                                        ; =>    This Inner Loop Header: Depth=3
	s_add_i32 s42, s42, -1
	s_cmp_eq_u32 s42, 0
	s_sleep 1
	s_cbranch_scc0 .LBB3671_64
; %bb.65:                               ;   in Loop: Header=BB3671_63 Depth=2
	global_load_dwordx2 v[8:9], v[10:11], off sc1
	s_cmp_lt_u32 s41, 32
	s_cselect_b64 s[42:43], -1, 0
	s_cmp_lg_u64 s[42:43], 0
	s_addc_u32 s41, s41, 0
	s_waitcnt vmcnt(0)
	v_cmp_ne_u16_sdwa s[42:43], v9, v5 src0_sel:BYTE_0 src1_sel:DWORD
	s_or_b64 s[38:39], s[42:43], s[38:39]
	s_andn2_b64 exec, exec, s[38:39]
	s_cbranch_execnz .LBB3671_63
; %bb.66:                               ;   in Loop: Header=BB3671_60 Depth=1
	s_or_b64 exec, exec, s[38:39]
	s_branch .LBB3671_59
.LBB3671_67:                            ;   in Loop: Header=BB3671_60 Depth=1
                                        ; implicit-def: $vgpr8
                                        ; implicit-def: $vgpr9
	s_cbranch_execz .LBB3671_60
; %bb.68:
	s_and_saveexec_b64 s[28:29], s[18:19]
	s_cbranch_execz .LBB3671_70
; %bb.69:
	s_add_i32 s38, s40, 64
	s_mov_b32 s39, 0
	s_lshl_b64 s[38:39], s[38:39], 3
	s_add_u32 s38, s36, s38
	v_add_u32_e32 v4, v3, v2
	v_mov_b32_e32 v5, 2
	s_addc_u32 s39, s37, s39
	v_mov_b32_e32 v6, 0
	global_store_dwordx2 v6, v[4:5], s[38:39] sc1
	ds_write_b64 v6, v[2:3] offset:30720
.LBB3671_70:
	s_or_b64 exec, exec, s[28:29]
	s_and_b64 exec, exec, s[20:21]
	s_cbranch_execz .LBB3671_72
; %bb.71:
	v_mov_b32_e32 v2, 0
	ds_write_b32 v2, v3 offset:28
.LBB3671_72:
	s_or_b64 exec, exec, s[0:1]
	v_mov_b32_e32 v14, 0
	s_waitcnt lgkmcnt(0)
	s_barrier
	ds_read_b32 v2, v14 offset:28
	v_cndmask_b32_e64 v3, v13, v12, s[18:19]
	v_cndmask_b32_e64 v3, v3, 0, s[20:21]
	s_waitcnt lgkmcnt(0)
	s_barrier
	v_add_u32_e32 v2, v2, v3
	v_add_u32_e32 v3, v2, v55
	;; [unrolled: 1-line block ×10, first 2 shown]
	ds_read_b64 v[24:25], v14 offset:30720
	v_add_u32_e32 v12, v11, v65
	v_add_u32_e32 v13, v12, v66
	v_add_u32_e32 v14, v13, v67
	v_add_u32_e32 v15, v14, v68
	v_add_u32_e32 v16, v15, v69
	s_waitcnt lgkmcnt(0)
	v_mov_b32_e32 v56, v25
	s_branch .LBB3671_83
.LBB3671_73:
                                        ; implicit-def: $vgpr56
                                        ; implicit-def: $vgpr24
                                        ; implicit-def: $vgpr2_vgpr3_vgpr4_vgpr5_vgpr6_vgpr7_vgpr8_vgpr9_vgpr10_vgpr11_vgpr12_vgpr13_vgpr14_vgpr15_vgpr16_vgpr17
	s_cbranch_execz .LBB3671_83
; %bb.74:
	s_nop 0
	v_mov_b32_dpp v2, v72 row_shr:1 row_mask:0xf bank_mask:0xf
	v_cndmask_b32_e64 v2, v2, 0, s[16:17]
	v_add_u32_e32 v2, v2, v72
	s_nop 1
	v_mov_b32_dpp v3, v2 row_shr:2 row_mask:0xf bank_mask:0xf
	v_cndmask_b32_e64 v3, 0, v3, s[14:15]
	v_add_u32_e32 v2, v2, v3
	;; [unrolled: 4-line block ×4, first 2 shown]
	s_nop 1
	v_mov_b32_dpp v3, v2 row_bcast:15 row_mask:0xf bank_mask:0xf
	v_cndmask_b32_e64 v3, v3, 0, s[8:9]
	v_add_u32_e32 v2, v2, v3
	s_nop 1
	v_mov_b32_dpp v3, v2 row_bcast:31 row_mask:0xf bank_mask:0xf
	v_cndmask_b32_e64 v3, 0, v3, s[4:5]
	v_add_u32_e32 v2, v2, v3
	s_and_saveexec_b64 s[0:1], s[6:7]
	s_cbranch_execz .LBB3671_76
; %bb.75:
	v_lshlrev_b32_e32 v3, 2, v71
	ds_write_b32 v3, v2
.LBB3671_76:
	s_or_b64 exec, exec, s[0:1]
	v_cmp_gt_u32_e32 vcc, 8, v0
	s_waitcnt lgkmcnt(0)
	s_barrier
	s_and_saveexec_b64 s[0:1], vcc
	s_cbranch_execz .LBB3671_78
; %bb.77:
	ds_read_b32 v3, v22
	v_and_b32_e32 v4, 7, v70
	v_cmp_ne_u32_e32 vcc, 0, v4
	s_waitcnt lgkmcnt(0)
	v_mov_b32_dpp v5, v3 row_shr:1 row_mask:0xf bank_mask:0xf
	v_cndmask_b32_e32 v5, 0, v5, vcc
	v_add_u32_e32 v3, v5, v3
	v_cmp_lt_u32_e32 vcc, 1, v4
	s_nop 0
	v_mov_b32_dpp v5, v3 row_shr:2 row_mask:0xf bank_mask:0xf
	v_cndmask_b32_e32 v5, 0, v5, vcc
	v_add_u32_e32 v3, v3, v5
	v_cmp_lt_u32_e32 vcc, 3, v4
	s_nop 0
	v_mov_b32_dpp v5, v3 row_shr:4 row_mask:0xf bank_mask:0xf
	v_cndmask_b32_e32 v4, 0, v5, vcc
	v_add_u32_e32 v3, v3, v4
	ds_write_b32 v22, v3
.LBB3671_78:
	s_or_b64 exec, exec, s[0:1]
	v_cmp_lt_u32_e32 vcc, 63, v0
	v_mov_b32_e32 v4, 0
	v_mov_b32_e32 v3, 0
	s_waitcnt lgkmcnt(0)
	s_barrier
	s_and_saveexec_b64 s[0:1], vcc
	s_cbranch_execz .LBB3671_80
; %bb.79:
	v_lshl_add_u32 v3, v71, 2, -4
	ds_read_b32 v3, v3
.LBB3671_80:
	s_or_b64 exec, exec, s[0:1]
	v_add_u32_e32 v5, -1, v70
	v_and_b32_e32 v6, 64, v70
	v_cmp_lt_i32_e32 vcc, v5, v6
	s_waitcnt lgkmcnt(0)
	v_add_u32_e32 v2, v3, v2
	ds_read_b32 v24, v4 offset:28
	v_cndmask_b32_e32 v5, v5, v70, vcc
	v_lshlrev_b32_e32 v5, 2, v5
	ds_bpermute_b32 v2, v5, v2
	s_and_saveexec_b64 s[0:1], s[20:21]
	s_cbranch_execz .LBB3671_82
; %bb.81:
	v_mov_b32_e32 v4, 0
	v_mov_b32_e32 v25, 2
	s_waitcnt lgkmcnt(1)
	global_store_dwordx2 v4, v[24:25], s[36:37] offset:512 sc1
.LBB3671_82:
	s_or_b64 exec, exec, s[0:1]
	v_cmp_eq_u32_e32 vcc, 0, v70
	v_mov_b32_e32 v56, 0
	s_waitcnt lgkmcnt(0)
	v_cndmask_b32_e32 v2, v2, v3, vcc
	v_cndmask_b32_e64 v2, v2, 0, s[20:21]
	v_add_u32_e32 v3, v2, v55
	v_add_u32_e32 v4, v3, v57
	v_add_u32_e32 v5, v4, v58
	v_add_u32_e32 v6, v5, v59
	v_add_u32_e32 v7, v6, v60
	v_add_u32_e32 v8, v7, v61
	v_add_u32_e32 v9, v8, v62
	v_add_u32_e32 v10, v9, v63
	v_add_u32_e32 v11, v10, v64
	v_add_u32_e32 v12, v11, v65
	v_add_u32_e32 v13, v12, v66
	v_add_u32_e32 v14, v13, v67
	v_add_u32_e32 v15, v14, v68
	v_add_u32_e32 v16, v15, v69
	s_barrier
.LBB3671_83:
	v_add_u32_e32 v17, v24, v41
	v_sub_u32_e32 v2, v2, v56
	v_and_b32_e32 v41, 1, v54
	v_sub_u32_e32 v25, v17, v2
	v_cmp_eq_u32_e32 vcc, 1, v41
	v_or_b32_e32 v54, 0x200, v0
	s_nop 0
	v_cndmask_b32_e32 v2, v25, v2, vcc
	v_lshlrev_b32_e32 v2, 2, v2
	ds_write_b32 v2, v38
	v_sub_u32_e32 v2, v3, v56
	v_sub_u32_e32 v3, v17, v2
	v_and_b32_e32 v25, 1, v53
	v_add_u32_e32 v3, 1, v3
	v_cmp_eq_u32_e32 vcc, 1, v25
	v_or_b32_e32 v38, 0xc00, v0
	s_nop 0
	v_cndmask_b32_e32 v2, v3, v2, vcc
	v_lshlrev_b32_e32 v2, 2, v2
	ds_write_b32 v2, v39
	v_sub_u32_e32 v2, v4, v56
	v_sub_u32_e32 v3, v17, v2
	v_and_b32_e32 v4, 1, v52
	v_add_u32_e32 v3, 2, v3
	v_cmp_eq_u32_e32 vcc, 1, v4
	v_and_b32_e32 v4, 1, v51
	s_nop 0
	v_cndmask_b32_e32 v2, v3, v2, vcc
	v_lshlrev_b32_e32 v2, 2, v2
	ds_write_b32 v2, v36
	v_sub_u32_e32 v2, v5, v56
	v_sub_u32_e32 v3, v17, v2
	v_add_u32_e32 v3, 3, v3
	v_cmp_eq_u32_e32 vcc, 1, v4
	v_and_b32_e32 v4, 1, v50
	v_or_b32_e32 v50, 0x400, v0
	v_cndmask_b32_e32 v2, v3, v2, vcc
	v_lshlrev_b32_e32 v2, 2, v2
	ds_write_b32 v2, v37
	v_sub_u32_e32 v2, v6, v56
	v_sub_u32_e32 v3, v17, v2
	v_add_u32_e32 v3, 4, v3
	v_cmp_eq_u32_e32 vcc, 1, v4
	v_and_b32_e32 v4, 1, v49
	v_or_b32_e32 v36, 0xe00, v0
	v_cndmask_b32_e32 v2, v3, v2, vcc
	v_lshlrev_b32_e32 v2, 2, v2
	ds_write_b32 v2, v34
	v_sub_u32_e32 v2, v7, v56
	v_sub_u32_e32 v3, v17, v2
	v_add_u32_e32 v3, 5, v3
	v_cmp_eq_u32_e32 vcc, 1, v4
	v_and_b32_e32 v4, 1, v48
	v_lshl_add_u64 v[6:7], s[30:31], 0, v[18:19]
	v_cndmask_b32_e32 v2, v3, v2, vcc
	v_lshlrev_b32_e32 v2, 2, v2
	ds_write_b32 v2, v35
	v_sub_u32_e32 v2, v8, v56
	v_sub_u32_e32 v3, v17, v2
	v_add_u32_e32 v3, 6, v3
	v_cmp_eq_u32_e32 vcc, 1, v4
	v_and_b32_e32 v4, 1, v47
	v_mov_b32_e32 v18, s35
	v_cndmask_b32_e32 v2, v3, v2, vcc
	v_lshlrev_b32_e32 v2, 2, v2
	ds_write_b32 v2, v32
	v_sub_u32_e32 v2, v9, v56
	v_sub_u32_e32 v3, v17, v2
	v_add_u32_e32 v3, 7, v3
	v_cmp_eq_u32_e32 vcc, 1, v4
	v_and_b32_e32 v4, 1, v46
	v_or_b32_e32 v48, 0x600, v0
	v_cndmask_b32_e32 v2, v3, v2, vcc
	v_lshlrev_b32_e32 v2, 2, v2
	ds_write_b32 v2, v33
	v_sub_u32_e32 v2, v10, v56
	v_sub_u32_e32 v3, v17, v2
	v_add_u32_e32 v3, 8, v3
	v_cmp_eq_u32_e32 vcc, 1, v4
	v_and_b32_e32 v4, 1, v45
	v_or_b32_e32 v32, 0x1000, v0
	;; [unrolled: 9-line block ×7, first 2 shown]
	v_cndmask_b32_e32 v2, v3, v2, vcc
	v_lshlrev_b32_e32 v2, 2, v2
	ds_write_b32 v2, v27
	v_sub_u32_e32 v2, v16, v56
	v_sub_u32_e32 v3, v17, v2
	v_add_u32_e32 v3, 14, v3
	v_cmp_eq_u32_e32 vcc, 1, v4
	v_or_b32_e32 v16, 0x1600, v0
	v_or_b32_e32 v10, 0x1a00, v0
	v_cndmask_b32_e32 v2, v3, v2, vcc
	v_lshlrev_b32_e32 v2, 2, v2
	ds_write_b32 v2, v1
	s_waitcnt lgkmcnt(0)
	s_barrier
	ds_read2st64_b32 v[52:53], v22 offset1:8
	ds_read2st64_b32 v[46:47], v22 offset0:16 offset1:24
	ds_read2st64_b32 v[40:41], v22 offset0:32 offset1:40
	;; [unrolled: 1-line block ×6, first 2 shown]
	ds_read_b32 v22, v22 offset:28672
	v_mov_b32_e32 v1, 0
	v_sub_co_u32_e32 v6, vcc, s34, v6
	v_mov_b32_e32 v57, v1
	v_mov_b32_e32 v25, v1
	v_subb_co_u32_e32 v7, vcc, v18, v7, vcc
	s_waitcnt vmcnt(0)
	v_lshl_add_u64 v[2:3], v[20:21], 0, v[56:57]
	v_lshl_add_u64 v[6:7], v[6:7], 0, v[24:25]
	v_mov_b32_e32 v55, v1
	v_mov_b32_e32 v51, v1
	v_mov_b32_e32 v49, v1
	v_mov_b32_e32 v45, v1
	v_mov_b32_e32 v43, v1
	v_mov_b32_e32 v39, v1
	v_mov_b32_e32 v37, v1
	v_mov_b32_e32 v33, v1
	v_mov_b32_e32 v31, v1
	v_mov_b32_e32 v27, v1
	v_mov_b32_e32 v17, v1
	v_mov_b32_e32 v13, v1
	v_mov_b32_e32 v11, v1
	v_or_b32_e32 v4, 0x1c00, v0
	v_mov_b32_e32 v5, v1
	s_and_b64 vcc, exec, s[2:3]
	v_lshl_add_u64 v[6:7], v[6:7], 0, v[2:3]
	s_cbranch_vccnz .LBB3671_148
; %bb.84:
	v_cmp_ge_u32_e32 vcc, v0, v24
                                        ; implicit-def: $vgpr18_vgpr19
	s_and_saveexec_b64 s[0:1], vcc
	s_xor_b64 s[0:1], exec, s[0:1]
; %bb.85:
	v_not_b32_e32 v18, v0
	v_ashrrev_i32_e32 v19, 31, v18
	v_lshl_add_u64 v[18:19], v[6:7], 0, v[18:19]
; %bb.86:
	s_andn2_saveexec_b64 s[0:1], s[0:1]
; %bb.87:
	v_lshl_add_u64 v[18:19], v[2:3], 0, v[0:1]
; %bb.88:
	s_or_b64 exec, exec, s[0:1]
	v_lshl_add_u64 v[18:19], v[18:19], 2, s[22:23]
	v_cmp_ge_u32_e32 vcc, v54, v24
	s_waitcnt lgkmcnt(7)
	global_store_dword v[18:19], v52, off
                                        ; implicit-def: $vgpr18_vgpr19
	s_and_saveexec_b64 s[0:1], vcc
	s_xor_b64 s[0:1], exec, s[0:1]
; %bb.89:
	v_xor_b32_e32 v18, 0xfffffdff, v0
	v_ashrrev_i32_e32 v19, 31, v18
	v_lshl_add_u64 v[18:19], v[6:7], 0, v[18:19]
; %bb.90:
	s_andn2_saveexec_b64 s[0:1], s[0:1]
; %bb.91:
	v_lshl_add_u64 v[18:19], v[2:3], 0, v[54:55]
; %bb.92:
	s_or_b64 exec, exec, s[0:1]
	v_lshl_add_u64 v[18:19], v[18:19], 2, s[22:23]
	v_cmp_ge_u32_e32 vcc, v50, v24
	global_store_dword v[18:19], v53, off
                                        ; implicit-def: $vgpr18_vgpr19
	s_and_saveexec_b64 s[0:1], vcc
	s_xor_b64 s[0:1], exec, s[0:1]
; %bb.93:
	v_xor_b32_e32 v18, 0xfffffbff, v0
	v_ashrrev_i32_e32 v19, 31, v18
	v_lshl_add_u64 v[18:19], v[6:7], 0, v[18:19]
; %bb.94:
	s_andn2_saveexec_b64 s[0:1], s[0:1]
; %bb.95:
	v_lshl_add_u64 v[18:19], v[2:3], 0, v[50:51]
; %bb.96:
	s_or_b64 exec, exec, s[0:1]
	v_lshl_add_u64 v[18:19], v[18:19], 2, s[22:23]
	v_cmp_ge_u32_e32 vcc, v48, v24
	s_waitcnt lgkmcnt(6)
	global_store_dword v[18:19], v46, off
                                        ; implicit-def: $vgpr18_vgpr19
	s_and_saveexec_b64 s[0:1], vcc
	s_xor_b64 s[0:1], exec, s[0:1]
; %bb.97:
	v_xor_b32_e32 v18, 0xfffff9ff, v0
	v_ashrrev_i32_e32 v19, 31, v18
	v_lshl_add_u64 v[18:19], v[6:7], 0, v[18:19]
; %bb.98:
	s_andn2_saveexec_b64 s[0:1], s[0:1]
; %bb.99:
	v_lshl_add_u64 v[18:19], v[2:3], 0, v[48:49]
; %bb.100:
	s_or_b64 exec, exec, s[0:1]
	v_lshl_add_u64 v[18:19], v[18:19], 2, s[22:23]
	v_cmp_ge_u32_e32 vcc, v44, v24
	global_store_dword v[18:19], v47, off
                                        ; implicit-def: $vgpr18_vgpr19
	s_and_saveexec_b64 s[0:1], vcc
	s_xor_b64 s[0:1], exec, s[0:1]
; %bb.101:
	v_xor_b32_e32 v18, 0xfffff7ff, v0
	;; [unrolled: 33-line block ×7, first 2 shown]
	v_ashrrev_i32_e32 v19, 31, v18
	v_lshl_add_u64 v[18:19], v[6:7], 0, v[18:19]
; %bb.142:
	s_andn2_saveexec_b64 s[0:1], s[0:1]
; %bb.143:
	v_lshl_add_u64 v[18:19], v[2:3], 0, v[4:5]
; %bb.144:
	s_or_b64 exec, exec, s[0:1]
	s_mov_b64 s[0:1], -1
.LBB3671_145:
	s_and_saveexec_b64 s[2:3], s[0:1]
	s_cbranch_execz .LBB3671_240
.LBB3671_146:
	v_lshl_add_u64 v[0:1], v[18:19], 2, s[22:23]
	s_waitcnt lgkmcnt(0)
	global_store_dword v[0:1], v22, off
	s_or_b64 exec, exec, s[2:3]
	s_and_b64 s[0:1], s[20:21], s[26:27]
	s_and_saveexec_b64 s[2:3], s[0:1]
	s_cbranch_execnz .LBB3671_241
.LBB3671_147:
	s_endpgm
.LBB3671_148:
	s_mov_b64 s[0:1], 0
                                        ; implicit-def: $vgpr18_vgpr19
	s_cbranch_execz .LBB3671_145
; %bb.149:
	v_cmp_gt_u32_e32 vcc, s33, v0
	s_and_saveexec_b64 s[2:3], vcc
	s_cbranch_execz .LBB3671_191
; %bb.150:
	v_cmp_ge_u32_e32 vcc, v0, v24
                                        ; implicit-def: $vgpr18_vgpr19
	s_and_saveexec_b64 s[4:5], vcc
	s_xor_b64 s[4:5], exec, s[4:5]
; %bb.151:
	v_not_b32_e32 v18, v0
	v_ashrrev_i32_e32 v19, 31, v18
	v_lshl_add_u64 v[18:19], v[6:7], 0, v[18:19]
; %bb.152:
	s_andn2_saveexec_b64 s[4:5], s[4:5]
; %bb.153:
	v_lshl_add_u64 v[18:19], v[2:3], 0, v[0:1]
; %bb.154:
	s_or_b64 exec, exec, s[4:5]
	v_lshl_add_u64 v[18:19], v[18:19], 2, s[22:23]
	s_waitcnt lgkmcnt(7)
	global_store_dword v[18:19], v52, off
	s_or_b64 exec, exec, s[2:3]
	v_cmp_gt_u32_e32 vcc, s33, v54
	s_and_saveexec_b64 s[2:3], vcc
	s_cbranch_execnz .LBB3671_192
.LBB3671_155:
	s_or_b64 exec, exec, s[2:3]
	v_cmp_gt_u32_e32 vcc, s33, v50
	s_and_saveexec_b64 s[2:3], vcc
	s_cbranch_execz .LBB3671_197
.LBB3671_156:
	v_cmp_ge_u32_e32 vcc, v50, v24
                                        ; implicit-def: $vgpr18_vgpr19
	s_and_saveexec_b64 s[4:5], vcc
	s_xor_b64 s[4:5], exec, s[4:5]
; %bb.157:
	v_xor_b32_e32 v18, 0xfffffbff, v0
	v_ashrrev_i32_e32 v19, 31, v18
	v_lshl_add_u64 v[18:19], v[6:7], 0, v[18:19]
                                        ; implicit-def: $vgpr50_vgpr51
; %bb.158:
	s_andn2_saveexec_b64 s[4:5], s[4:5]
; %bb.159:
	v_lshl_add_u64 v[18:19], v[2:3], 0, v[50:51]
; %bb.160:
	s_or_b64 exec, exec, s[4:5]
	v_lshl_add_u64 v[18:19], v[18:19], 2, s[22:23]
	s_waitcnt lgkmcnt(6)
	global_store_dword v[18:19], v46, off
	s_or_b64 exec, exec, s[2:3]
	v_cmp_gt_u32_e32 vcc, s33, v48
	s_and_saveexec_b64 s[2:3], vcc
	s_cbranch_execnz .LBB3671_198
.LBB3671_161:
	s_or_b64 exec, exec, s[2:3]
	v_cmp_gt_u32_e32 vcc, s33, v44
	s_and_saveexec_b64 s[2:3], vcc
	s_cbranch_execz .LBB3671_203
.LBB3671_162:
	v_cmp_ge_u32_e32 vcc, v44, v24
                                        ; implicit-def: $vgpr18_vgpr19
	s_and_saveexec_b64 s[4:5], vcc
	s_xor_b64 s[4:5], exec, s[4:5]
; %bb.163:
	v_xor_b32_e32 v18, 0xfffff7ff, v0
	v_ashrrev_i32_e32 v19, 31, v18
	v_lshl_add_u64 v[18:19], v[6:7], 0, v[18:19]
                                        ; implicit-def: $vgpr44_vgpr45
; %bb.164:
	s_andn2_saveexec_b64 s[4:5], s[4:5]
; %bb.165:
	v_lshl_add_u64 v[18:19], v[2:3], 0, v[44:45]
; %bb.166:
	s_or_b64 exec, exec, s[4:5]
	v_lshl_add_u64 v[18:19], v[18:19], 2, s[22:23]
	s_waitcnt lgkmcnt(5)
	global_store_dword v[18:19], v40, off
	s_or_b64 exec, exec, s[2:3]
	v_cmp_gt_u32_e32 vcc, s33, v42
	s_and_saveexec_b64 s[2:3], vcc
	s_cbranch_execnz .LBB3671_204
.LBB3671_167:
	s_or_b64 exec, exec, s[2:3]
	v_cmp_gt_u32_e32 vcc, s33, v38
	s_and_saveexec_b64 s[2:3], vcc
	s_cbranch_execz .LBB3671_209
.LBB3671_168:
	v_cmp_ge_u32_e32 vcc, v38, v24
                                        ; implicit-def: $vgpr18_vgpr19
	s_and_saveexec_b64 s[4:5], vcc
	s_xor_b64 s[4:5], exec, s[4:5]
; %bb.169:
	v_xor_b32_e32 v18, 0xfffff3ff, v0
	v_ashrrev_i32_e32 v19, 31, v18
	v_lshl_add_u64 v[18:19], v[6:7], 0, v[18:19]
                                        ; implicit-def: $vgpr38_vgpr39
; %bb.170:
	s_andn2_saveexec_b64 s[4:5], s[4:5]
; %bb.171:
	v_lshl_add_u64 v[18:19], v[2:3], 0, v[38:39]
; %bb.172:
	s_or_b64 exec, exec, s[4:5]
	v_lshl_add_u64 v[18:19], v[18:19], 2, s[22:23]
	s_waitcnt lgkmcnt(4)
	global_store_dword v[18:19], v34, off
	s_or_b64 exec, exec, s[2:3]
	v_cmp_gt_u32_e32 vcc, s33, v36
	s_and_saveexec_b64 s[2:3], vcc
	s_cbranch_execnz .LBB3671_210
.LBB3671_173:
	s_or_b64 exec, exec, s[2:3]
	v_cmp_gt_u32_e32 vcc, s33, v32
	s_and_saveexec_b64 s[2:3], vcc
	s_cbranch_execz .LBB3671_215
.LBB3671_174:
	v_cmp_ge_u32_e32 vcc, v32, v24
                                        ; implicit-def: $vgpr18_vgpr19
	s_and_saveexec_b64 s[4:5], vcc
	s_xor_b64 s[4:5], exec, s[4:5]
; %bb.175:
	v_xor_b32_e32 v18, 0xffffefff, v0
	v_ashrrev_i32_e32 v19, 31, v18
	v_lshl_add_u64 v[18:19], v[6:7], 0, v[18:19]
                                        ; implicit-def: $vgpr32_vgpr33
; %bb.176:
	s_andn2_saveexec_b64 s[4:5], s[4:5]
; %bb.177:
	v_lshl_add_u64 v[18:19], v[2:3], 0, v[32:33]
; %bb.178:
	s_or_b64 exec, exec, s[4:5]
	v_lshl_add_u64 v[18:19], v[18:19], 2, s[22:23]
	s_waitcnt lgkmcnt(3)
	global_store_dword v[18:19], v28, off
	s_or_b64 exec, exec, s[2:3]
	v_cmp_gt_u32_e32 vcc, s33, v30
	s_and_saveexec_b64 s[2:3], vcc
	s_cbranch_execnz .LBB3671_216
.LBB3671_179:
	s_or_b64 exec, exec, s[2:3]
	v_cmp_gt_u32_e32 vcc, s33, v26
	s_and_saveexec_b64 s[2:3], vcc
	s_cbranch_execz .LBB3671_221
.LBB3671_180:
	v_cmp_ge_u32_e32 vcc, v26, v24
                                        ; implicit-def: $vgpr18_vgpr19
	s_and_saveexec_b64 s[4:5], vcc
	s_xor_b64 s[4:5], exec, s[4:5]
; %bb.181:
	v_xor_b32_e32 v18, 0xffffebff, v0
	v_ashrrev_i32_e32 v19, 31, v18
	v_lshl_add_u64 v[18:19], v[6:7], 0, v[18:19]
                                        ; implicit-def: $vgpr26_vgpr27
; %bb.182:
	s_andn2_saveexec_b64 s[4:5], s[4:5]
; %bb.183:
	v_lshl_add_u64 v[18:19], v[2:3], 0, v[26:27]
; %bb.184:
	s_or_b64 exec, exec, s[4:5]
	v_lshl_add_u64 v[18:19], v[18:19], 2, s[22:23]
	s_waitcnt lgkmcnt(2)
	global_store_dword v[18:19], v14, off
	s_or_b64 exec, exec, s[2:3]
	v_cmp_gt_u32_e32 vcc, s33, v16
	s_and_saveexec_b64 s[2:3], vcc
	s_cbranch_execnz .LBB3671_222
.LBB3671_185:
	s_or_b64 exec, exec, s[2:3]
	v_cmp_gt_u32_e32 vcc, s33, v12
	s_and_saveexec_b64 s[2:3], vcc
	s_cbranch_execz .LBB3671_227
.LBB3671_186:
	v_cmp_ge_u32_e32 vcc, v12, v24
                                        ; implicit-def: $vgpr14_vgpr15
	s_and_saveexec_b64 s[4:5], vcc
	s_xor_b64 s[4:5], exec, s[4:5]
	s_cbranch_execz .LBB3671_188
; %bb.187:
	v_xor_b32_e32 v12, 0xffffe7ff, v0
	v_ashrrev_i32_e32 v13, 31, v12
	s_waitcnt lgkmcnt(2)
	v_lshl_add_u64 v[14:15], v[6:7], 0, v[12:13]
                                        ; implicit-def: $vgpr12_vgpr13
.LBB3671_188:
	s_andn2_saveexec_b64 s[4:5], s[4:5]
	s_cbranch_execz .LBB3671_190
; %bb.189:
	s_waitcnt lgkmcnt(2)
	v_lshl_add_u64 v[14:15], v[2:3], 0, v[12:13]
.LBB3671_190:
	s_or_b64 exec, exec, s[4:5]
	s_waitcnt lgkmcnt(2)
	v_lshl_add_u64 v[12:13], v[14:15], 2, s[22:23]
	s_waitcnt lgkmcnt(1)
	global_store_dword v[12:13], v8, off
	s_or_b64 exec, exec, s[2:3]
	v_cmp_gt_u32_e32 vcc, s33, v10
	s_and_saveexec_b64 s[2:3], vcc
	s_cbranch_execz .LBB3671_233
	s_branch .LBB3671_228
.LBB3671_191:
	s_or_b64 exec, exec, s[2:3]
	v_cmp_gt_u32_e32 vcc, s33, v54
	s_and_saveexec_b64 s[2:3], vcc
	s_cbranch_execz .LBB3671_155
.LBB3671_192:
	v_cmp_ge_u32_e32 vcc, v54, v24
                                        ; implicit-def: $vgpr18_vgpr19
	s_and_saveexec_b64 s[4:5], vcc
	s_xor_b64 s[4:5], exec, s[4:5]
; %bb.193:
	v_xor_b32_e32 v18, 0xfffffdff, v0
	v_ashrrev_i32_e32 v19, 31, v18
	v_lshl_add_u64 v[18:19], v[6:7], 0, v[18:19]
                                        ; implicit-def: $vgpr54_vgpr55
; %bb.194:
	s_andn2_saveexec_b64 s[4:5], s[4:5]
; %bb.195:
	v_lshl_add_u64 v[18:19], v[2:3], 0, v[54:55]
; %bb.196:
	s_or_b64 exec, exec, s[4:5]
	v_lshl_add_u64 v[18:19], v[18:19], 2, s[22:23]
	s_waitcnt lgkmcnt(7)
	global_store_dword v[18:19], v53, off
	s_or_b64 exec, exec, s[2:3]
	v_cmp_gt_u32_e32 vcc, s33, v50
	s_and_saveexec_b64 s[2:3], vcc
	s_cbranch_execnz .LBB3671_156
.LBB3671_197:
	s_or_b64 exec, exec, s[2:3]
	v_cmp_gt_u32_e32 vcc, s33, v48
	s_and_saveexec_b64 s[2:3], vcc
	s_cbranch_execz .LBB3671_161
.LBB3671_198:
	v_cmp_ge_u32_e32 vcc, v48, v24
                                        ; implicit-def: $vgpr18_vgpr19
	s_and_saveexec_b64 s[4:5], vcc
	s_xor_b64 s[4:5], exec, s[4:5]
; %bb.199:
	v_xor_b32_e32 v18, 0xfffff9ff, v0
	v_ashrrev_i32_e32 v19, 31, v18
	v_lshl_add_u64 v[18:19], v[6:7], 0, v[18:19]
                                        ; implicit-def: $vgpr48_vgpr49
; %bb.200:
	s_andn2_saveexec_b64 s[4:5], s[4:5]
; %bb.201:
	v_lshl_add_u64 v[18:19], v[2:3], 0, v[48:49]
; %bb.202:
	s_or_b64 exec, exec, s[4:5]
	v_lshl_add_u64 v[18:19], v[18:19], 2, s[22:23]
	s_waitcnt lgkmcnt(6)
	global_store_dword v[18:19], v47, off
	s_or_b64 exec, exec, s[2:3]
	v_cmp_gt_u32_e32 vcc, s33, v44
	s_and_saveexec_b64 s[2:3], vcc
	s_cbranch_execnz .LBB3671_162
.LBB3671_203:
	s_or_b64 exec, exec, s[2:3]
	v_cmp_gt_u32_e32 vcc, s33, v42
	s_and_saveexec_b64 s[2:3], vcc
	s_cbranch_execz .LBB3671_167
.LBB3671_204:
	v_cmp_ge_u32_e32 vcc, v42, v24
                                        ; implicit-def: $vgpr18_vgpr19
	s_and_saveexec_b64 s[4:5], vcc
	s_xor_b64 s[4:5], exec, s[4:5]
; %bb.205:
	v_xor_b32_e32 v18, 0xfffff5ff, v0
	v_ashrrev_i32_e32 v19, 31, v18
	v_lshl_add_u64 v[18:19], v[6:7], 0, v[18:19]
                                        ; implicit-def: $vgpr42_vgpr43
; %bb.206:
	s_andn2_saveexec_b64 s[4:5], s[4:5]
; %bb.207:
	v_lshl_add_u64 v[18:19], v[2:3], 0, v[42:43]
; %bb.208:
	s_or_b64 exec, exec, s[4:5]
	v_lshl_add_u64 v[18:19], v[18:19], 2, s[22:23]
	s_waitcnt lgkmcnt(5)
	global_store_dword v[18:19], v41, off
	s_or_b64 exec, exec, s[2:3]
	v_cmp_gt_u32_e32 vcc, s33, v38
	s_and_saveexec_b64 s[2:3], vcc
	s_cbranch_execnz .LBB3671_168
.LBB3671_209:
	s_or_b64 exec, exec, s[2:3]
	v_cmp_gt_u32_e32 vcc, s33, v36
	s_and_saveexec_b64 s[2:3], vcc
	s_cbranch_execz .LBB3671_173
.LBB3671_210:
	v_cmp_ge_u32_e32 vcc, v36, v24
                                        ; implicit-def: $vgpr18_vgpr19
	s_and_saveexec_b64 s[4:5], vcc
	s_xor_b64 s[4:5], exec, s[4:5]
; %bb.211:
	v_xor_b32_e32 v18, 0xfffff1ff, v0
	v_ashrrev_i32_e32 v19, 31, v18
	v_lshl_add_u64 v[18:19], v[6:7], 0, v[18:19]
                                        ; implicit-def: $vgpr36_vgpr37
; %bb.212:
	s_andn2_saveexec_b64 s[4:5], s[4:5]
; %bb.213:
	v_lshl_add_u64 v[18:19], v[2:3], 0, v[36:37]
; %bb.214:
	s_or_b64 exec, exec, s[4:5]
	v_lshl_add_u64 v[18:19], v[18:19], 2, s[22:23]
	s_waitcnt lgkmcnt(4)
	global_store_dword v[18:19], v35, off
	s_or_b64 exec, exec, s[2:3]
	v_cmp_gt_u32_e32 vcc, s33, v32
	s_and_saveexec_b64 s[2:3], vcc
	s_cbranch_execnz .LBB3671_174
.LBB3671_215:
	s_or_b64 exec, exec, s[2:3]
	v_cmp_gt_u32_e32 vcc, s33, v30
	s_and_saveexec_b64 s[2:3], vcc
	s_cbranch_execz .LBB3671_179
.LBB3671_216:
	v_cmp_ge_u32_e32 vcc, v30, v24
                                        ; implicit-def: $vgpr18_vgpr19
	s_and_saveexec_b64 s[4:5], vcc
	s_xor_b64 s[4:5], exec, s[4:5]
; %bb.217:
	v_xor_b32_e32 v18, 0xffffedff, v0
	v_ashrrev_i32_e32 v19, 31, v18
	v_lshl_add_u64 v[18:19], v[6:7], 0, v[18:19]
                                        ; implicit-def: $vgpr30_vgpr31
; %bb.218:
	s_andn2_saveexec_b64 s[4:5], s[4:5]
; %bb.219:
	v_lshl_add_u64 v[18:19], v[2:3], 0, v[30:31]
; %bb.220:
	s_or_b64 exec, exec, s[4:5]
	v_lshl_add_u64 v[18:19], v[18:19], 2, s[22:23]
	s_waitcnt lgkmcnt(3)
	global_store_dword v[18:19], v29, off
	s_or_b64 exec, exec, s[2:3]
	v_cmp_gt_u32_e32 vcc, s33, v26
	s_and_saveexec_b64 s[2:3], vcc
	s_cbranch_execnz .LBB3671_180
.LBB3671_221:
	s_or_b64 exec, exec, s[2:3]
	v_cmp_gt_u32_e32 vcc, s33, v16
	s_and_saveexec_b64 s[2:3], vcc
	s_cbranch_execz .LBB3671_185
.LBB3671_222:
	v_cmp_ge_u32_e32 vcc, v16, v24
                                        ; implicit-def: $vgpr18_vgpr19
	s_and_saveexec_b64 s[4:5], vcc
	s_xor_b64 s[4:5], exec, s[4:5]
; %bb.223:
	v_xor_b32_e32 v16, 0xffffe9ff, v0
	v_ashrrev_i32_e32 v17, 31, v16
	v_lshl_add_u64 v[18:19], v[6:7], 0, v[16:17]
                                        ; implicit-def: $vgpr16_vgpr17
; %bb.224:
	s_andn2_saveexec_b64 s[4:5], s[4:5]
; %bb.225:
	v_lshl_add_u64 v[18:19], v[2:3], 0, v[16:17]
; %bb.226:
	s_or_b64 exec, exec, s[4:5]
	v_lshl_add_u64 v[16:17], v[18:19], 2, s[22:23]
	s_waitcnt lgkmcnt(2)
	global_store_dword v[16:17], v15, off
	s_or_b64 exec, exec, s[2:3]
	v_cmp_gt_u32_e32 vcc, s33, v12
	s_and_saveexec_b64 s[2:3], vcc
	s_cbranch_execnz .LBB3671_186
.LBB3671_227:
	s_or_b64 exec, exec, s[2:3]
	v_cmp_gt_u32_e32 vcc, s33, v10
	s_and_saveexec_b64 s[2:3], vcc
	s_cbranch_execz .LBB3671_233
.LBB3671_228:
	v_cmp_ge_u32_e32 vcc, v10, v24
                                        ; implicit-def: $vgpr12_vgpr13
	s_and_saveexec_b64 s[4:5], vcc
	s_xor_b64 s[4:5], exec, s[4:5]
; %bb.229:
	v_xor_b32_e32 v10, 0xffffe5ff, v0
	v_ashrrev_i32_e32 v11, 31, v10
	v_lshl_add_u64 v[12:13], v[6:7], 0, v[10:11]
                                        ; implicit-def: $vgpr10_vgpr11
; %bb.230:
	s_andn2_saveexec_b64 s[4:5], s[4:5]
; %bb.231:
	v_lshl_add_u64 v[12:13], v[2:3], 0, v[10:11]
; %bb.232:
	s_or_b64 exec, exec, s[4:5]
	v_lshl_add_u64 v[10:11], v[12:13], 2, s[22:23]
	s_waitcnt lgkmcnt(1)
	global_store_dword v[10:11], v9, off
.LBB3671_233:
	s_or_b64 exec, exec, s[2:3]
	v_cmp_gt_u32_e32 vcc, s33, v4
                                        ; implicit-def: $vgpr18_vgpr19
	s_and_saveexec_b64 s[2:3], vcc
	s_cbranch_execz .LBB3671_239
; %bb.234:
	v_cmp_ge_u32_e32 vcc, v4, v24
                                        ; implicit-def: $vgpr18_vgpr19
	s_and_saveexec_b64 s[4:5], vcc
	s_xor_b64 s[4:5], exec, s[4:5]
; %bb.235:
	v_xor_b32_e32 v0, 0xffffe3ff, v0
	v_ashrrev_i32_e32 v1, 31, v0
	v_lshl_add_u64 v[18:19], v[6:7], 0, v[0:1]
                                        ; implicit-def: $vgpr4_vgpr5
; %bb.236:
	s_andn2_saveexec_b64 s[4:5], s[4:5]
; %bb.237:
	v_lshl_add_u64 v[18:19], v[2:3], 0, v[4:5]
; %bb.238:
	s_or_b64 exec, exec, s[4:5]
	s_or_b64 s[0:1], s[0:1], exec
.LBB3671_239:
	s_or_b64 exec, exec, s[2:3]
	s_and_saveexec_b64 s[2:3], s[0:1]
	s_cbranch_execnz .LBB3671_146
.LBB3671_240:
	s_or_b64 exec, exec, s[2:3]
	s_and_b64 s[0:1], s[20:21], s[26:27]
	s_and_saveexec_b64 s[2:3], s[0:1]
	s_cbranch_execz .LBB3671_147
.LBB3671_241:
	v_mov_b32_e32 v4, 0
	v_lshl_add_u64 v[0:1], v[2:3], 0, v[24:25]
	global_store_dwordx2 v4, v[0:1], s[24:25]
	s_endpgm
	.section	.rodata,"a",@progbits
	.p2align	6, 0x0
	.amdhsa_kernel _ZN7rocprim17ROCPRIM_400000_NS6detail17trampoline_kernelINS0_14default_configENS1_25partition_config_selectorILNS1_17partition_subalgoE3EiNS0_10empty_typeEbEEZZNS1_14partition_implILS5_3ELb0ES3_jN6thrust23THRUST_200600_302600_NS6detail15normal_iteratorINSA_7pointerIiNSA_11hip_rocprim5par_tENSA_11use_defaultESG_EEEEPS6_SJ_NS0_5tupleIJPiSJ_EEENSK_IJSJ_SJ_EEES6_PlJ7is_evenIiEEEE10hipError_tPvRmT3_T4_T5_T6_T7_T9_mT8_P12ihipStream_tbDpT10_ENKUlT_T0_E_clISt17integral_constantIbLb1EES1A_EEDaS15_S16_EUlS15_E_NS1_11comp_targetILNS1_3genE5ELNS1_11target_archE942ELNS1_3gpuE9ELNS1_3repE0EEENS1_30default_config_static_selectorELNS0_4arch9wavefront6targetE1EEEvT1_
		.amdhsa_group_segment_fixed_size 30728
		.amdhsa_private_segment_fixed_size 0
		.amdhsa_kernarg_size 136
		.amdhsa_user_sgpr_count 2
		.amdhsa_user_sgpr_dispatch_ptr 0
		.amdhsa_user_sgpr_queue_ptr 0
		.amdhsa_user_sgpr_kernarg_segment_ptr 1
		.amdhsa_user_sgpr_dispatch_id 0
		.amdhsa_user_sgpr_kernarg_preload_length 0
		.amdhsa_user_sgpr_kernarg_preload_offset 0
		.amdhsa_user_sgpr_private_segment_size 0
		.amdhsa_uses_dynamic_stack 0
		.amdhsa_enable_private_segment 0
		.amdhsa_system_sgpr_workgroup_id_x 1
		.amdhsa_system_sgpr_workgroup_id_y 0
		.amdhsa_system_sgpr_workgroup_id_z 0
		.amdhsa_system_sgpr_workgroup_info 0
		.amdhsa_system_vgpr_workitem_id 0
		.amdhsa_next_free_vgpr 80
		.amdhsa_next_free_sgpr 44
		.amdhsa_accum_offset 80
		.amdhsa_reserve_vcc 1
		.amdhsa_float_round_mode_32 0
		.amdhsa_float_round_mode_16_64 0
		.amdhsa_float_denorm_mode_32 3
		.amdhsa_float_denorm_mode_16_64 3
		.amdhsa_dx10_clamp 1
		.amdhsa_ieee_mode 1
		.amdhsa_fp16_overflow 0
		.amdhsa_tg_split 0
		.amdhsa_exception_fp_ieee_invalid_op 0
		.amdhsa_exception_fp_denorm_src 0
		.amdhsa_exception_fp_ieee_div_zero 0
		.amdhsa_exception_fp_ieee_overflow 0
		.amdhsa_exception_fp_ieee_underflow 0
		.amdhsa_exception_fp_ieee_inexact 0
		.amdhsa_exception_int_div_zero 0
	.end_amdhsa_kernel
	.section	.text._ZN7rocprim17ROCPRIM_400000_NS6detail17trampoline_kernelINS0_14default_configENS1_25partition_config_selectorILNS1_17partition_subalgoE3EiNS0_10empty_typeEbEEZZNS1_14partition_implILS5_3ELb0ES3_jN6thrust23THRUST_200600_302600_NS6detail15normal_iteratorINSA_7pointerIiNSA_11hip_rocprim5par_tENSA_11use_defaultESG_EEEEPS6_SJ_NS0_5tupleIJPiSJ_EEENSK_IJSJ_SJ_EEES6_PlJ7is_evenIiEEEE10hipError_tPvRmT3_T4_T5_T6_T7_T9_mT8_P12ihipStream_tbDpT10_ENKUlT_T0_E_clISt17integral_constantIbLb1EES1A_EEDaS15_S16_EUlS15_E_NS1_11comp_targetILNS1_3genE5ELNS1_11target_archE942ELNS1_3gpuE9ELNS1_3repE0EEENS1_30default_config_static_selectorELNS0_4arch9wavefront6targetE1EEEvT1_,"axG",@progbits,_ZN7rocprim17ROCPRIM_400000_NS6detail17trampoline_kernelINS0_14default_configENS1_25partition_config_selectorILNS1_17partition_subalgoE3EiNS0_10empty_typeEbEEZZNS1_14partition_implILS5_3ELb0ES3_jN6thrust23THRUST_200600_302600_NS6detail15normal_iteratorINSA_7pointerIiNSA_11hip_rocprim5par_tENSA_11use_defaultESG_EEEEPS6_SJ_NS0_5tupleIJPiSJ_EEENSK_IJSJ_SJ_EEES6_PlJ7is_evenIiEEEE10hipError_tPvRmT3_T4_T5_T6_T7_T9_mT8_P12ihipStream_tbDpT10_ENKUlT_T0_E_clISt17integral_constantIbLb1EES1A_EEDaS15_S16_EUlS15_E_NS1_11comp_targetILNS1_3genE5ELNS1_11target_archE942ELNS1_3gpuE9ELNS1_3repE0EEENS1_30default_config_static_selectorELNS0_4arch9wavefront6targetE1EEEvT1_,comdat
.Lfunc_end3671:
	.size	_ZN7rocprim17ROCPRIM_400000_NS6detail17trampoline_kernelINS0_14default_configENS1_25partition_config_selectorILNS1_17partition_subalgoE3EiNS0_10empty_typeEbEEZZNS1_14partition_implILS5_3ELb0ES3_jN6thrust23THRUST_200600_302600_NS6detail15normal_iteratorINSA_7pointerIiNSA_11hip_rocprim5par_tENSA_11use_defaultESG_EEEEPS6_SJ_NS0_5tupleIJPiSJ_EEENSK_IJSJ_SJ_EEES6_PlJ7is_evenIiEEEE10hipError_tPvRmT3_T4_T5_T6_T7_T9_mT8_P12ihipStream_tbDpT10_ENKUlT_T0_E_clISt17integral_constantIbLb1EES1A_EEDaS15_S16_EUlS15_E_NS1_11comp_targetILNS1_3genE5ELNS1_11target_archE942ELNS1_3gpuE9ELNS1_3repE0EEENS1_30default_config_static_selectorELNS0_4arch9wavefront6targetE1EEEvT1_, .Lfunc_end3671-_ZN7rocprim17ROCPRIM_400000_NS6detail17trampoline_kernelINS0_14default_configENS1_25partition_config_selectorILNS1_17partition_subalgoE3EiNS0_10empty_typeEbEEZZNS1_14partition_implILS5_3ELb0ES3_jN6thrust23THRUST_200600_302600_NS6detail15normal_iteratorINSA_7pointerIiNSA_11hip_rocprim5par_tENSA_11use_defaultESG_EEEEPS6_SJ_NS0_5tupleIJPiSJ_EEENSK_IJSJ_SJ_EEES6_PlJ7is_evenIiEEEE10hipError_tPvRmT3_T4_T5_T6_T7_T9_mT8_P12ihipStream_tbDpT10_ENKUlT_T0_E_clISt17integral_constantIbLb1EES1A_EEDaS15_S16_EUlS15_E_NS1_11comp_targetILNS1_3genE5ELNS1_11target_archE942ELNS1_3gpuE9ELNS1_3repE0EEENS1_30default_config_static_selectorELNS0_4arch9wavefront6targetE1EEEvT1_
                                        ; -- End function
	.section	.AMDGPU.csdata,"",@progbits
; Kernel info:
; codeLenInByte = 7752
; NumSgprs: 50
; NumVgprs: 80
; NumAgprs: 0
; TotalNumVgprs: 80
; ScratchSize: 0
; MemoryBound: 0
; FloatMode: 240
; IeeeMode: 1
; LDSByteSize: 30728 bytes/workgroup (compile time only)
; SGPRBlocks: 6
; VGPRBlocks: 9
; NumSGPRsForWavesPerEU: 50
; NumVGPRsForWavesPerEU: 80
; AccumOffset: 80
; Occupancy: 4
; WaveLimiterHint : 1
; COMPUTE_PGM_RSRC2:SCRATCH_EN: 0
; COMPUTE_PGM_RSRC2:USER_SGPR: 2
; COMPUTE_PGM_RSRC2:TRAP_HANDLER: 0
; COMPUTE_PGM_RSRC2:TGID_X_EN: 1
; COMPUTE_PGM_RSRC2:TGID_Y_EN: 0
; COMPUTE_PGM_RSRC2:TGID_Z_EN: 0
; COMPUTE_PGM_RSRC2:TIDIG_COMP_CNT: 0
; COMPUTE_PGM_RSRC3_GFX90A:ACCUM_OFFSET: 19
; COMPUTE_PGM_RSRC3_GFX90A:TG_SPLIT: 0
	.section	.text._ZN7rocprim17ROCPRIM_400000_NS6detail17trampoline_kernelINS0_14default_configENS1_25partition_config_selectorILNS1_17partition_subalgoE3EiNS0_10empty_typeEbEEZZNS1_14partition_implILS5_3ELb0ES3_jN6thrust23THRUST_200600_302600_NS6detail15normal_iteratorINSA_7pointerIiNSA_11hip_rocprim5par_tENSA_11use_defaultESG_EEEEPS6_SJ_NS0_5tupleIJPiSJ_EEENSK_IJSJ_SJ_EEES6_PlJ7is_evenIiEEEE10hipError_tPvRmT3_T4_T5_T6_T7_T9_mT8_P12ihipStream_tbDpT10_ENKUlT_T0_E_clISt17integral_constantIbLb1EES1A_EEDaS15_S16_EUlS15_E_NS1_11comp_targetILNS1_3genE4ELNS1_11target_archE910ELNS1_3gpuE8ELNS1_3repE0EEENS1_30default_config_static_selectorELNS0_4arch9wavefront6targetE1EEEvT1_,"axG",@progbits,_ZN7rocprim17ROCPRIM_400000_NS6detail17trampoline_kernelINS0_14default_configENS1_25partition_config_selectorILNS1_17partition_subalgoE3EiNS0_10empty_typeEbEEZZNS1_14partition_implILS5_3ELb0ES3_jN6thrust23THRUST_200600_302600_NS6detail15normal_iteratorINSA_7pointerIiNSA_11hip_rocprim5par_tENSA_11use_defaultESG_EEEEPS6_SJ_NS0_5tupleIJPiSJ_EEENSK_IJSJ_SJ_EEES6_PlJ7is_evenIiEEEE10hipError_tPvRmT3_T4_T5_T6_T7_T9_mT8_P12ihipStream_tbDpT10_ENKUlT_T0_E_clISt17integral_constantIbLb1EES1A_EEDaS15_S16_EUlS15_E_NS1_11comp_targetILNS1_3genE4ELNS1_11target_archE910ELNS1_3gpuE8ELNS1_3repE0EEENS1_30default_config_static_selectorELNS0_4arch9wavefront6targetE1EEEvT1_,comdat
	.protected	_ZN7rocprim17ROCPRIM_400000_NS6detail17trampoline_kernelINS0_14default_configENS1_25partition_config_selectorILNS1_17partition_subalgoE3EiNS0_10empty_typeEbEEZZNS1_14partition_implILS5_3ELb0ES3_jN6thrust23THRUST_200600_302600_NS6detail15normal_iteratorINSA_7pointerIiNSA_11hip_rocprim5par_tENSA_11use_defaultESG_EEEEPS6_SJ_NS0_5tupleIJPiSJ_EEENSK_IJSJ_SJ_EEES6_PlJ7is_evenIiEEEE10hipError_tPvRmT3_T4_T5_T6_T7_T9_mT8_P12ihipStream_tbDpT10_ENKUlT_T0_E_clISt17integral_constantIbLb1EES1A_EEDaS15_S16_EUlS15_E_NS1_11comp_targetILNS1_3genE4ELNS1_11target_archE910ELNS1_3gpuE8ELNS1_3repE0EEENS1_30default_config_static_selectorELNS0_4arch9wavefront6targetE1EEEvT1_ ; -- Begin function _ZN7rocprim17ROCPRIM_400000_NS6detail17trampoline_kernelINS0_14default_configENS1_25partition_config_selectorILNS1_17partition_subalgoE3EiNS0_10empty_typeEbEEZZNS1_14partition_implILS5_3ELb0ES3_jN6thrust23THRUST_200600_302600_NS6detail15normal_iteratorINSA_7pointerIiNSA_11hip_rocprim5par_tENSA_11use_defaultESG_EEEEPS6_SJ_NS0_5tupleIJPiSJ_EEENSK_IJSJ_SJ_EEES6_PlJ7is_evenIiEEEE10hipError_tPvRmT3_T4_T5_T6_T7_T9_mT8_P12ihipStream_tbDpT10_ENKUlT_T0_E_clISt17integral_constantIbLb1EES1A_EEDaS15_S16_EUlS15_E_NS1_11comp_targetILNS1_3genE4ELNS1_11target_archE910ELNS1_3gpuE8ELNS1_3repE0EEENS1_30default_config_static_selectorELNS0_4arch9wavefront6targetE1EEEvT1_
	.globl	_ZN7rocprim17ROCPRIM_400000_NS6detail17trampoline_kernelINS0_14default_configENS1_25partition_config_selectorILNS1_17partition_subalgoE3EiNS0_10empty_typeEbEEZZNS1_14partition_implILS5_3ELb0ES3_jN6thrust23THRUST_200600_302600_NS6detail15normal_iteratorINSA_7pointerIiNSA_11hip_rocprim5par_tENSA_11use_defaultESG_EEEEPS6_SJ_NS0_5tupleIJPiSJ_EEENSK_IJSJ_SJ_EEES6_PlJ7is_evenIiEEEE10hipError_tPvRmT3_T4_T5_T6_T7_T9_mT8_P12ihipStream_tbDpT10_ENKUlT_T0_E_clISt17integral_constantIbLb1EES1A_EEDaS15_S16_EUlS15_E_NS1_11comp_targetILNS1_3genE4ELNS1_11target_archE910ELNS1_3gpuE8ELNS1_3repE0EEENS1_30default_config_static_selectorELNS0_4arch9wavefront6targetE1EEEvT1_
	.p2align	8
	.type	_ZN7rocprim17ROCPRIM_400000_NS6detail17trampoline_kernelINS0_14default_configENS1_25partition_config_selectorILNS1_17partition_subalgoE3EiNS0_10empty_typeEbEEZZNS1_14partition_implILS5_3ELb0ES3_jN6thrust23THRUST_200600_302600_NS6detail15normal_iteratorINSA_7pointerIiNSA_11hip_rocprim5par_tENSA_11use_defaultESG_EEEEPS6_SJ_NS0_5tupleIJPiSJ_EEENSK_IJSJ_SJ_EEES6_PlJ7is_evenIiEEEE10hipError_tPvRmT3_T4_T5_T6_T7_T9_mT8_P12ihipStream_tbDpT10_ENKUlT_T0_E_clISt17integral_constantIbLb1EES1A_EEDaS15_S16_EUlS15_E_NS1_11comp_targetILNS1_3genE4ELNS1_11target_archE910ELNS1_3gpuE8ELNS1_3repE0EEENS1_30default_config_static_selectorELNS0_4arch9wavefront6targetE1EEEvT1_,@function
_ZN7rocprim17ROCPRIM_400000_NS6detail17trampoline_kernelINS0_14default_configENS1_25partition_config_selectorILNS1_17partition_subalgoE3EiNS0_10empty_typeEbEEZZNS1_14partition_implILS5_3ELb0ES3_jN6thrust23THRUST_200600_302600_NS6detail15normal_iteratorINSA_7pointerIiNSA_11hip_rocprim5par_tENSA_11use_defaultESG_EEEEPS6_SJ_NS0_5tupleIJPiSJ_EEENSK_IJSJ_SJ_EEES6_PlJ7is_evenIiEEEE10hipError_tPvRmT3_T4_T5_T6_T7_T9_mT8_P12ihipStream_tbDpT10_ENKUlT_T0_E_clISt17integral_constantIbLb1EES1A_EEDaS15_S16_EUlS15_E_NS1_11comp_targetILNS1_3genE4ELNS1_11target_archE910ELNS1_3gpuE8ELNS1_3repE0EEENS1_30default_config_static_selectorELNS0_4arch9wavefront6targetE1EEEvT1_: ; @_ZN7rocprim17ROCPRIM_400000_NS6detail17trampoline_kernelINS0_14default_configENS1_25partition_config_selectorILNS1_17partition_subalgoE3EiNS0_10empty_typeEbEEZZNS1_14partition_implILS5_3ELb0ES3_jN6thrust23THRUST_200600_302600_NS6detail15normal_iteratorINSA_7pointerIiNSA_11hip_rocprim5par_tENSA_11use_defaultESG_EEEEPS6_SJ_NS0_5tupleIJPiSJ_EEENSK_IJSJ_SJ_EEES6_PlJ7is_evenIiEEEE10hipError_tPvRmT3_T4_T5_T6_T7_T9_mT8_P12ihipStream_tbDpT10_ENKUlT_T0_E_clISt17integral_constantIbLb1EES1A_EEDaS15_S16_EUlS15_E_NS1_11comp_targetILNS1_3genE4ELNS1_11target_archE910ELNS1_3gpuE8ELNS1_3repE0EEENS1_30default_config_static_selectorELNS0_4arch9wavefront6targetE1EEEvT1_
; %bb.0:
	.section	.rodata,"a",@progbits
	.p2align	6, 0x0
	.amdhsa_kernel _ZN7rocprim17ROCPRIM_400000_NS6detail17trampoline_kernelINS0_14default_configENS1_25partition_config_selectorILNS1_17partition_subalgoE3EiNS0_10empty_typeEbEEZZNS1_14partition_implILS5_3ELb0ES3_jN6thrust23THRUST_200600_302600_NS6detail15normal_iteratorINSA_7pointerIiNSA_11hip_rocprim5par_tENSA_11use_defaultESG_EEEEPS6_SJ_NS0_5tupleIJPiSJ_EEENSK_IJSJ_SJ_EEES6_PlJ7is_evenIiEEEE10hipError_tPvRmT3_T4_T5_T6_T7_T9_mT8_P12ihipStream_tbDpT10_ENKUlT_T0_E_clISt17integral_constantIbLb1EES1A_EEDaS15_S16_EUlS15_E_NS1_11comp_targetILNS1_3genE4ELNS1_11target_archE910ELNS1_3gpuE8ELNS1_3repE0EEENS1_30default_config_static_selectorELNS0_4arch9wavefront6targetE1EEEvT1_
		.amdhsa_group_segment_fixed_size 0
		.amdhsa_private_segment_fixed_size 0
		.amdhsa_kernarg_size 136
		.amdhsa_user_sgpr_count 2
		.amdhsa_user_sgpr_dispatch_ptr 0
		.amdhsa_user_sgpr_queue_ptr 0
		.amdhsa_user_sgpr_kernarg_segment_ptr 1
		.amdhsa_user_sgpr_dispatch_id 0
		.amdhsa_user_sgpr_kernarg_preload_length 0
		.amdhsa_user_sgpr_kernarg_preload_offset 0
		.amdhsa_user_sgpr_private_segment_size 0
		.amdhsa_uses_dynamic_stack 0
		.amdhsa_enable_private_segment 0
		.amdhsa_system_sgpr_workgroup_id_x 1
		.amdhsa_system_sgpr_workgroup_id_y 0
		.amdhsa_system_sgpr_workgroup_id_z 0
		.amdhsa_system_sgpr_workgroup_info 0
		.amdhsa_system_vgpr_workitem_id 0
		.amdhsa_next_free_vgpr 1
		.amdhsa_next_free_sgpr 0
		.amdhsa_accum_offset 4
		.amdhsa_reserve_vcc 0
		.amdhsa_float_round_mode_32 0
		.amdhsa_float_round_mode_16_64 0
		.amdhsa_float_denorm_mode_32 3
		.amdhsa_float_denorm_mode_16_64 3
		.amdhsa_dx10_clamp 1
		.amdhsa_ieee_mode 1
		.amdhsa_fp16_overflow 0
		.amdhsa_tg_split 0
		.amdhsa_exception_fp_ieee_invalid_op 0
		.amdhsa_exception_fp_denorm_src 0
		.amdhsa_exception_fp_ieee_div_zero 0
		.amdhsa_exception_fp_ieee_overflow 0
		.amdhsa_exception_fp_ieee_underflow 0
		.amdhsa_exception_fp_ieee_inexact 0
		.amdhsa_exception_int_div_zero 0
	.end_amdhsa_kernel
	.section	.text._ZN7rocprim17ROCPRIM_400000_NS6detail17trampoline_kernelINS0_14default_configENS1_25partition_config_selectorILNS1_17partition_subalgoE3EiNS0_10empty_typeEbEEZZNS1_14partition_implILS5_3ELb0ES3_jN6thrust23THRUST_200600_302600_NS6detail15normal_iteratorINSA_7pointerIiNSA_11hip_rocprim5par_tENSA_11use_defaultESG_EEEEPS6_SJ_NS0_5tupleIJPiSJ_EEENSK_IJSJ_SJ_EEES6_PlJ7is_evenIiEEEE10hipError_tPvRmT3_T4_T5_T6_T7_T9_mT8_P12ihipStream_tbDpT10_ENKUlT_T0_E_clISt17integral_constantIbLb1EES1A_EEDaS15_S16_EUlS15_E_NS1_11comp_targetILNS1_3genE4ELNS1_11target_archE910ELNS1_3gpuE8ELNS1_3repE0EEENS1_30default_config_static_selectorELNS0_4arch9wavefront6targetE1EEEvT1_,"axG",@progbits,_ZN7rocprim17ROCPRIM_400000_NS6detail17trampoline_kernelINS0_14default_configENS1_25partition_config_selectorILNS1_17partition_subalgoE3EiNS0_10empty_typeEbEEZZNS1_14partition_implILS5_3ELb0ES3_jN6thrust23THRUST_200600_302600_NS6detail15normal_iteratorINSA_7pointerIiNSA_11hip_rocprim5par_tENSA_11use_defaultESG_EEEEPS6_SJ_NS0_5tupleIJPiSJ_EEENSK_IJSJ_SJ_EEES6_PlJ7is_evenIiEEEE10hipError_tPvRmT3_T4_T5_T6_T7_T9_mT8_P12ihipStream_tbDpT10_ENKUlT_T0_E_clISt17integral_constantIbLb1EES1A_EEDaS15_S16_EUlS15_E_NS1_11comp_targetILNS1_3genE4ELNS1_11target_archE910ELNS1_3gpuE8ELNS1_3repE0EEENS1_30default_config_static_selectorELNS0_4arch9wavefront6targetE1EEEvT1_,comdat
.Lfunc_end3672:
	.size	_ZN7rocprim17ROCPRIM_400000_NS6detail17trampoline_kernelINS0_14default_configENS1_25partition_config_selectorILNS1_17partition_subalgoE3EiNS0_10empty_typeEbEEZZNS1_14partition_implILS5_3ELb0ES3_jN6thrust23THRUST_200600_302600_NS6detail15normal_iteratorINSA_7pointerIiNSA_11hip_rocprim5par_tENSA_11use_defaultESG_EEEEPS6_SJ_NS0_5tupleIJPiSJ_EEENSK_IJSJ_SJ_EEES6_PlJ7is_evenIiEEEE10hipError_tPvRmT3_T4_T5_T6_T7_T9_mT8_P12ihipStream_tbDpT10_ENKUlT_T0_E_clISt17integral_constantIbLb1EES1A_EEDaS15_S16_EUlS15_E_NS1_11comp_targetILNS1_3genE4ELNS1_11target_archE910ELNS1_3gpuE8ELNS1_3repE0EEENS1_30default_config_static_selectorELNS0_4arch9wavefront6targetE1EEEvT1_, .Lfunc_end3672-_ZN7rocprim17ROCPRIM_400000_NS6detail17trampoline_kernelINS0_14default_configENS1_25partition_config_selectorILNS1_17partition_subalgoE3EiNS0_10empty_typeEbEEZZNS1_14partition_implILS5_3ELb0ES3_jN6thrust23THRUST_200600_302600_NS6detail15normal_iteratorINSA_7pointerIiNSA_11hip_rocprim5par_tENSA_11use_defaultESG_EEEEPS6_SJ_NS0_5tupleIJPiSJ_EEENSK_IJSJ_SJ_EEES6_PlJ7is_evenIiEEEE10hipError_tPvRmT3_T4_T5_T6_T7_T9_mT8_P12ihipStream_tbDpT10_ENKUlT_T0_E_clISt17integral_constantIbLb1EES1A_EEDaS15_S16_EUlS15_E_NS1_11comp_targetILNS1_3genE4ELNS1_11target_archE910ELNS1_3gpuE8ELNS1_3repE0EEENS1_30default_config_static_selectorELNS0_4arch9wavefront6targetE1EEEvT1_
                                        ; -- End function
	.section	.AMDGPU.csdata,"",@progbits
; Kernel info:
; codeLenInByte = 0
; NumSgprs: 6
; NumVgprs: 0
; NumAgprs: 0
; TotalNumVgprs: 0
; ScratchSize: 0
; MemoryBound: 0
; FloatMode: 240
; IeeeMode: 1
; LDSByteSize: 0 bytes/workgroup (compile time only)
; SGPRBlocks: 0
; VGPRBlocks: 0
; NumSGPRsForWavesPerEU: 6
; NumVGPRsForWavesPerEU: 1
; AccumOffset: 4
; Occupancy: 8
; WaveLimiterHint : 0
; COMPUTE_PGM_RSRC2:SCRATCH_EN: 0
; COMPUTE_PGM_RSRC2:USER_SGPR: 2
; COMPUTE_PGM_RSRC2:TRAP_HANDLER: 0
; COMPUTE_PGM_RSRC2:TGID_X_EN: 1
; COMPUTE_PGM_RSRC2:TGID_Y_EN: 0
; COMPUTE_PGM_RSRC2:TGID_Z_EN: 0
; COMPUTE_PGM_RSRC2:TIDIG_COMP_CNT: 0
; COMPUTE_PGM_RSRC3_GFX90A:ACCUM_OFFSET: 0
; COMPUTE_PGM_RSRC3_GFX90A:TG_SPLIT: 0
	.section	.text._ZN7rocprim17ROCPRIM_400000_NS6detail17trampoline_kernelINS0_14default_configENS1_25partition_config_selectorILNS1_17partition_subalgoE3EiNS0_10empty_typeEbEEZZNS1_14partition_implILS5_3ELb0ES3_jN6thrust23THRUST_200600_302600_NS6detail15normal_iteratorINSA_7pointerIiNSA_11hip_rocprim5par_tENSA_11use_defaultESG_EEEEPS6_SJ_NS0_5tupleIJPiSJ_EEENSK_IJSJ_SJ_EEES6_PlJ7is_evenIiEEEE10hipError_tPvRmT3_T4_T5_T6_T7_T9_mT8_P12ihipStream_tbDpT10_ENKUlT_T0_E_clISt17integral_constantIbLb1EES1A_EEDaS15_S16_EUlS15_E_NS1_11comp_targetILNS1_3genE3ELNS1_11target_archE908ELNS1_3gpuE7ELNS1_3repE0EEENS1_30default_config_static_selectorELNS0_4arch9wavefront6targetE1EEEvT1_,"axG",@progbits,_ZN7rocprim17ROCPRIM_400000_NS6detail17trampoline_kernelINS0_14default_configENS1_25partition_config_selectorILNS1_17partition_subalgoE3EiNS0_10empty_typeEbEEZZNS1_14partition_implILS5_3ELb0ES3_jN6thrust23THRUST_200600_302600_NS6detail15normal_iteratorINSA_7pointerIiNSA_11hip_rocprim5par_tENSA_11use_defaultESG_EEEEPS6_SJ_NS0_5tupleIJPiSJ_EEENSK_IJSJ_SJ_EEES6_PlJ7is_evenIiEEEE10hipError_tPvRmT3_T4_T5_T6_T7_T9_mT8_P12ihipStream_tbDpT10_ENKUlT_T0_E_clISt17integral_constantIbLb1EES1A_EEDaS15_S16_EUlS15_E_NS1_11comp_targetILNS1_3genE3ELNS1_11target_archE908ELNS1_3gpuE7ELNS1_3repE0EEENS1_30default_config_static_selectorELNS0_4arch9wavefront6targetE1EEEvT1_,comdat
	.protected	_ZN7rocprim17ROCPRIM_400000_NS6detail17trampoline_kernelINS0_14default_configENS1_25partition_config_selectorILNS1_17partition_subalgoE3EiNS0_10empty_typeEbEEZZNS1_14partition_implILS5_3ELb0ES3_jN6thrust23THRUST_200600_302600_NS6detail15normal_iteratorINSA_7pointerIiNSA_11hip_rocprim5par_tENSA_11use_defaultESG_EEEEPS6_SJ_NS0_5tupleIJPiSJ_EEENSK_IJSJ_SJ_EEES6_PlJ7is_evenIiEEEE10hipError_tPvRmT3_T4_T5_T6_T7_T9_mT8_P12ihipStream_tbDpT10_ENKUlT_T0_E_clISt17integral_constantIbLb1EES1A_EEDaS15_S16_EUlS15_E_NS1_11comp_targetILNS1_3genE3ELNS1_11target_archE908ELNS1_3gpuE7ELNS1_3repE0EEENS1_30default_config_static_selectorELNS0_4arch9wavefront6targetE1EEEvT1_ ; -- Begin function _ZN7rocprim17ROCPRIM_400000_NS6detail17trampoline_kernelINS0_14default_configENS1_25partition_config_selectorILNS1_17partition_subalgoE3EiNS0_10empty_typeEbEEZZNS1_14partition_implILS5_3ELb0ES3_jN6thrust23THRUST_200600_302600_NS6detail15normal_iteratorINSA_7pointerIiNSA_11hip_rocprim5par_tENSA_11use_defaultESG_EEEEPS6_SJ_NS0_5tupleIJPiSJ_EEENSK_IJSJ_SJ_EEES6_PlJ7is_evenIiEEEE10hipError_tPvRmT3_T4_T5_T6_T7_T9_mT8_P12ihipStream_tbDpT10_ENKUlT_T0_E_clISt17integral_constantIbLb1EES1A_EEDaS15_S16_EUlS15_E_NS1_11comp_targetILNS1_3genE3ELNS1_11target_archE908ELNS1_3gpuE7ELNS1_3repE0EEENS1_30default_config_static_selectorELNS0_4arch9wavefront6targetE1EEEvT1_
	.globl	_ZN7rocprim17ROCPRIM_400000_NS6detail17trampoline_kernelINS0_14default_configENS1_25partition_config_selectorILNS1_17partition_subalgoE3EiNS0_10empty_typeEbEEZZNS1_14partition_implILS5_3ELb0ES3_jN6thrust23THRUST_200600_302600_NS6detail15normal_iteratorINSA_7pointerIiNSA_11hip_rocprim5par_tENSA_11use_defaultESG_EEEEPS6_SJ_NS0_5tupleIJPiSJ_EEENSK_IJSJ_SJ_EEES6_PlJ7is_evenIiEEEE10hipError_tPvRmT3_T4_T5_T6_T7_T9_mT8_P12ihipStream_tbDpT10_ENKUlT_T0_E_clISt17integral_constantIbLb1EES1A_EEDaS15_S16_EUlS15_E_NS1_11comp_targetILNS1_3genE3ELNS1_11target_archE908ELNS1_3gpuE7ELNS1_3repE0EEENS1_30default_config_static_selectorELNS0_4arch9wavefront6targetE1EEEvT1_
	.p2align	8
	.type	_ZN7rocprim17ROCPRIM_400000_NS6detail17trampoline_kernelINS0_14default_configENS1_25partition_config_selectorILNS1_17partition_subalgoE3EiNS0_10empty_typeEbEEZZNS1_14partition_implILS5_3ELb0ES3_jN6thrust23THRUST_200600_302600_NS6detail15normal_iteratorINSA_7pointerIiNSA_11hip_rocprim5par_tENSA_11use_defaultESG_EEEEPS6_SJ_NS0_5tupleIJPiSJ_EEENSK_IJSJ_SJ_EEES6_PlJ7is_evenIiEEEE10hipError_tPvRmT3_T4_T5_T6_T7_T9_mT8_P12ihipStream_tbDpT10_ENKUlT_T0_E_clISt17integral_constantIbLb1EES1A_EEDaS15_S16_EUlS15_E_NS1_11comp_targetILNS1_3genE3ELNS1_11target_archE908ELNS1_3gpuE7ELNS1_3repE0EEENS1_30default_config_static_selectorELNS0_4arch9wavefront6targetE1EEEvT1_,@function
_ZN7rocprim17ROCPRIM_400000_NS6detail17trampoline_kernelINS0_14default_configENS1_25partition_config_selectorILNS1_17partition_subalgoE3EiNS0_10empty_typeEbEEZZNS1_14partition_implILS5_3ELb0ES3_jN6thrust23THRUST_200600_302600_NS6detail15normal_iteratorINSA_7pointerIiNSA_11hip_rocprim5par_tENSA_11use_defaultESG_EEEEPS6_SJ_NS0_5tupleIJPiSJ_EEENSK_IJSJ_SJ_EEES6_PlJ7is_evenIiEEEE10hipError_tPvRmT3_T4_T5_T6_T7_T9_mT8_P12ihipStream_tbDpT10_ENKUlT_T0_E_clISt17integral_constantIbLb1EES1A_EEDaS15_S16_EUlS15_E_NS1_11comp_targetILNS1_3genE3ELNS1_11target_archE908ELNS1_3gpuE7ELNS1_3repE0EEENS1_30default_config_static_selectorELNS0_4arch9wavefront6targetE1EEEvT1_: ; @_ZN7rocprim17ROCPRIM_400000_NS6detail17trampoline_kernelINS0_14default_configENS1_25partition_config_selectorILNS1_17partition_subalgoE3EiNS0_10empty_typeEbEEZZNS1_14partition_implILS5_3ELb0ES3_jN6thrust23THRUST_200600_302600_NS6detail15normal_iteratorINSA_7pointerIiNSA_11hip_rocprim5par_tENSA_11use_defaultESG_EEEEPS6_SJ_NS0_5tupleIJPiSJ_EEENSK_IJSJ_SJ_EEES6_PlJ7is_evenIiEEEE10hipError_tPvRmT3_T4_T5_T6_T7_T9_mT8_P12ihipStream_tbDpT10_ENKUlT_T0_E_clISt17integral_constantIbLb1EES1A_EEDaS15_S16_EUlS15_E_NS1_11comp_targetILNS1_3genE3ELNS1_11target_archE908ELNS1_3gpuE7ELNS1_3repE0EEENS1_30default_config_static_selectorELNS0_4arch9wavefront6targetE1EEEvT1_
; %bb.0:
	.section	.rodata,"a",@progbits
	.p2align	6, 0x0
	.amdhsa_kernel _ZN7rocprim17ROCPRIM_400000_NS6detail17trampoline_kernelINS0_14default_configENS1_25partition_config_selectorILNS1_17partition_subalgoE3EiNS0_10empty_typeEbEEZZNS1_14partition_implILS5_3ELb0ES3_jN6thrust23THRUST_200600_302600_NS6detail15normal_iteratorINSA_7pointerIiNSA_11hip_rocprim5par_tENSA_11use_defaultESG_EEEEPS6_SJ_NS0_5tupleIJPiSJ_EEENSK_IJSJ_SJ_EEES6_PlJ7is_evenIiEEEE10hipError_tPvRmT3_T4_T5_T6_T7_T9_mT8_P12ihipStream_tbDpT10_ENKUlT_T0_E_clISt17integral_constantIbLb1EES1A_EEDaS15_S16_EUlS15_E_NS1_11comp_targetILNS1_3genE3ELNS1_11target_archE908ELNS1_3gpuE7ELNS1_3repE0EEENS1_30default_config_static_selectorELNS0_4arch9wavefront6targetE1EEEvT1_
		.amdhsa_group_segment_fixed_size 0
		.amdhsa_private_segment_fixed_size 0
		.amdhsa_kernarg_size 136
		.amdhsa_user_sgpr_count 2
		.amdhsa_user_sgpr_dispatch_ptr 0
		.amdhsa_user_sgpr_queue_ptr 0
		.amdhsa_user_sgpr_kernarg_segment_ptr 1
		.amdhsa_user_sgpr_dispatch_id 0
		.amdhsa_user_sgpr_kernarg_preload_length 0
		.amdhsa_user_sgpr_kernarg_preload_offset 0
		.amdhsa_user_sgpr_private_segment_size 0
		.amdhsa_uses_dynamic_stack 0
		.amdhsa_enable_private_segment 0
		.amdhsa_system_sgpr_workgroup_id_x 1
		.amdhsa_system_sgpr_workgroup_id_y 0
		.amdhsa_system_sgpr_workgroup_id_z 0
		.amdhsa_system_sgpr_workgroup_info 0
		.amdhsa_system_vgpr_workitem_id 0
		.amdhsa_next_free_vgpr 1
		.amdhsa_next_free_sgpr 0
		.amdhsa_accum_offset 4
		.amdhsa_reserve_vcc 0
		.amdhsa_float_round_mode_32 0
		.amdhsa_float_round_mode_16_64 0
		.amdhsa_float_denorm_mode_32 3
		.amdhsa_float_denorm_mode_16_64 3
		.amdhsa_dx10_clamp 1
		.amdhsa_ieee_mode 1
		.amdhsa_fp16_overflow 0
		.amdhsa_tg_split 0
		.amdhsa_exception_fp_ieee_invalid_op 0
		.amdhsa_exception_fp_denorm_src 0
		.amdhsa_exception_fp_ieee_div_zero 0
		.amdhsa_exception_fp_ieee_overflow 0
		.amdhsa_exception_fp_ieee_underflow 0
		.amdhsa_exception_fp_ieee_inexact 0
		.amdhsa_exception_int_div_zero 0
	.end_amdhsa_kernel
	.section	.text._ZN7rocprim17ROCPRIM_400000_NS6detail17trampoline_kernelINS0_14default_configENS1_25partition_config_selectorILNS1_17partition_subalgoE3EiNS0_10empty_typeEbEEZZNS1_14partition_implILS5_3ELb0ES3_jN6thrust23THRUST_200600_302600_NS6detail15normal_iteratorINSA_7pointerIiNSA_11hip_rocprim5par_tENSA_11use_defaultESG_EEEEPS6_SJ_NS0_5tupleIJPiSJ_EEENSK_IJSJ_SJ_EEES6_PlJ7is_evenIiEEEE10hipError_tPvRmT3_T4_T5_T6_T7_T9_mT8_P12ihipStream_tbDpT10_ENKUlT_T0_E_clISt17integral_constantIbLb1EES1A_EEDaS15_S16_EUlS15_E_NS1_11comp_targetILNS1_3genE3ELNS1_11target_archE908ELNS1_3gpuE7ELNS1_3repE0EEENS1_30default_config_static_selectorELNS0_4arch9wavefront6targetE1EEEvT1_,"axG",@progbits,_ZN7rocprim17ROCPRIM_400000_NS6detail17trampoline_kernelINS0_14default_configENS1_25partition_config_selectorILNS1_17partition_subalgoE3EiNS0_10empty_typeEbEEZZNS1_14partition_implILS5_3ELb0ES3_jN6thrust23THRUST_200600_302600_NS6detail15normal_iteratorINSA_7pointerIiNSA_11hip_rocprim5par_tENSA_11use_defaultESG_EEEEPS6_SJ_NS0_5tupleIJPiSJ_EEENSK_IJSJ_SJ_EEES6_PlJ7is_evenIiEEEE10hipError_tPvRmT3_T4_T5_T6_T7_T9_mT8_P12ihipStream_tbDpT10_ENKUlT_T0_E_clISt17integral_constantIbLb1EES1A_EEDaS15_S16_EUlS15_E_NS1_11comp_targetILNS1_3genE3ELNS1_11target_archE908ELNS1_3gpuE7ELNS1_3repE0EEENS1_30default_config_static_selectorELNS0_4arch9wavefront6targetE1EEEvT1_,comdat
.Lfunc_end3673:
	.size	_ZN7rocprim17ROCPRIM_400000_NS6detail17trampoline_kernelINS0_14default_configENS1_25partition_config_selectorILNS1_17partition_subalgoE3EiNS0_10empty_typeEbEEZZNS1_14partition_implILS5_3ELb0ES3_jN6thrust23THRUST_200600_302600_NS6detail15normal_iteratorINSA_7pointerIiNSA_11hip_rocprim5par_tENSA_11use_defaultESG_EEEEPS6_SJ_NS0_5tupleIJPiSJ_EEENSK_IJSJ_SJ_EEES6_PlJ7is_evenIiEEEE10hipError_tPvRmT3_T4_T5_T6_T7_T9_mT8_P12ihipStream_tbDpT10_ENKUlT_T0_E_clISt17integral_constantIbLb1EES1A_EEDaS15_S16_EUlS15_E_NS1_11comp_targetILNS1_3genE3ELNS1_11target_archE908ELNS1_3gpuE7ELNS1_3repE0EEENS1_30default_config_static_selectorELNS0_4arch9wavefront6targetE1EEEvT1_, .Lfunc_end3673-_ZN7rocprim17ROCPRIM_400000_NS6detail17trampoline_kernelINS0_14default_configENS1_25partition_config_selectorILNS1_17partition_subalgoE3EiNS0_10empty_typeEbEEZZNS1_14partition_implILS5_3ELb0ES3_jN6thrust23THRUST_200600_302600_NS6detail15normal_iteratorINSA_7pointerIiNSA_11hip_rocprim5par_tENSA_11use_defaultESG_EEEEPS6_SJ_NS0_5tupleIJPiSJ_EEENSK_IJSJ_SJ_EEES6_PlJ7is_evenIiEEEE10hipError_tPvRmT3_T4_T5_T6_T7_T9_mT8_P12ihipStream_tbDpT10_ENKUlT_T0_E_clISt17integral_constantIbLb1EES1A_EEDaS15_S16_EUlS15_E_NS1_11comp_targetILNS1_3genE3ELNS1_11target_archE908ELNS1_3gpuE7ELNS1_3repE0EEENS1_30default_config_static_selectorELNS0_4arch9wavefront6targetE1EEEvT1_
                                        ; -- End function
	.section	.AMDGPU.csdata,"",@progbits
; Kernel info:
; codeLenInByte = 0
; NumSgprs: 6
; NumVgprs: 0
; NumAgprs: 0
; TotalNumVgprs: 0
; ScratchSize: 0
; MemoryBound: 0
; FloatMode: 240
; IeeeMode: 1
; LDSByteSize: 0 bytes/workgroup (compile time only)
; SGPRBlocks: 0
; VGPRBlocks: 0
; NumSGPRsForWavesPerEU: 6
; NumVGPRsForWavesPerEU: 1
; AccumOffset: 4
; Occupancy: 8
; WaveLimiterHint : 0
; COMPUTE_PGM_RSRC2:SCRATCH_EN: 0
; COMPUTE_PGM_RSRC2:USER_SGPR: 2
; COMPUTE_PGM_RSRC2:TRAP_HANDLER: 0
; COMPUTE_PGM_RSRC2:TGID_X_EN: 1
; COMPUTE_PGM_RSRC2:TGID_Y_EN: 0
; COMPUTE_PGM_RSRC2:TGID_Z_EN: 0
; COMPUTE_PGM_RSRC2:TIDIG_COMP_CNT: 0
; COMPUTE_PGM_RSRC3_GFX90A:ACCUM_OFFSET: 0
; COMPUTE_PGM_RSRC3_GFX90A:TG_SPLIT: 0
	.section	.text._ZN7rocprim17ROCPRIM_400000_NS6detail17trampoline_kernelINS0_14default_configENS1_25partition_config_selectorILNS1_17partition_subalgoE3EiNS0_10empty_typeEbEEZZNS1_14partition_implILS5_3ELb0ES3_jN6thrust23THRUST_200600_302600_NS6detail15normal_iteratorINSA_7pointerIiNSA_11hip_rocprim5par_tENSA_11use_defaultESG_EEEEPS6_SJ_NS0_5tupleIJPiSJ_EEENSK_IJSJ_SJ_EEES6_PlJ7is_evenIiEEEE10hipError_tPvRmT3_T4_T5_T6_T7_T9_mT8_P12ihipStream_tbDpT10_ENKUlT_T0_E_clISt17integral_constantIbLb1EES1A_EEDaS15_S16_EUlS15_E_NS1_11comp_targetILNS1_3genE2ELNS1_11target_archE906ELNS1_3gpuE6ELNS1_3repE0EEENS1_30default_config_static_selectorELNS0_4arch9wavefront6targetE1EEEvT1_,"axG",@progbits,_ZN7rocprim17ROCPRIM_400000_NS6detail17trampoline_kernelINS0_14default_configENS1_25partition_config_selectorILNS1_17partition_subalgoE3EiNS0_10empty_typeEbEEZZNS1_14partition_implILS5_3ELb0ES3_jN6thrust23THRUST_200600_302600_NS6detail15normal_iteratorINSA_7pointerIiNSA_11hip_rocprim5par_tENSA_11use_defaultESG_EEEEPS6_SJ_NS0_5tupleIJPiSJ_EEENSK_IJSJ_SJ_EEES6_PlJ7is_evenIiEEEE10hipError_tPvRmT3_T4_T5_T6_T7_T9_mT8_P12ihipStream_tbDpT10_ENKUlT_T0_E_clISt17integral_constantIbLb1EES1A_EEDaS15_S16_EUlS15_E_NS1_11comp_targetILNS1_3genE2ELNS1_11target_archE906ELNS1_3gpuE6ELNS1_3repE0EEENS1_30default_config_static_selectorELNS0_4arch9wavefront6targetE1EEEvT1_,comdat
	.protected	_ZN7rocprim17ROCPRIM_400000_NS6detail17trampoline_kernelINS0_14default_configENS1_25partition_config_selectorILNS1_17partition_subalgoE3EiNS0_10empty_typeEbEEZZNS1_14partition_implILS5_3ELb0ES3_jN6thrust23THRUST_200600_302600_NS6detail15normal_iteratorINSA_7pointerIiNSA_11hip_rocprim5par_tENSA_11use_defaultESG_EEEEPS6_SJ_NS0_5tupleIJPiSJ_EEENSK_IJSJ_SJ_EEES6_PlJ7is_evenIiEEEE10hipError_tPvRmT3_T4_T5_T6_T7_T9_mT8_P12ihipStream_tbDpT10_ENKUlT_T0_E_clISt17integral_constantIbLb1EES1A_EEDaS15_S16_EUlS15_E_NS1_11comp_targetILNS1_3genE2ELNS1_11target_archE906ELNS1_3gpuE6ELNS1_3repE0EEENS1_30default_config_static_selectorELNS0_4arch9wavefront6targetE1EEEvT1_ ; -- Begin function _ZN7rocprim17ROCPRIM_400000_NS6detail17trampoline_kernelINS0_14default_configENS1_25partition_config_selectorILNS1_17partition_subalgoE3EiNS0_10empty_typeEbEEZZNS1_14partition_implILS5_3ELb0ES3_jN6thrust23THRUST_200600_302600_NS6detail15normal_iteratorINSA_7pointerIiNSA_11hip_rocprim5par_tENSA_11use_defaultESG_EEEEPS6_SJ_NS0_5tupleIJPiSJ_EEENSK_IJSJ_SJ_EEES6_PlJ7is_evenIiEEEE10hipError_tPvRmT3_T4_T5_T6_T7_T9_mT8_P12ihipStream_tbDpT10_ENKUlT_T0_E_clISt17integral_constantIbLb1EES1A_EEDaS15_S16_EUlS15_E_NS1_11comp_targetILNS1_3genE2ELNS1_11target_archE906ELNS1_3gpuE6ELNS1_3repE0EEENS1_30default_config_static_selectorELNS0_4arch9wavefront6targetE1EEEvT1_
	.globl	_ZN7rocprim17ROCPRIM_400000_NS6detail17trampoline_kernelINS0_14default_configENS1_25partition_config_selectorILNS1_17partition_subalgoE3EiNS0_10empty_typeEbEEZZNS1_14partition_implILS5_3ELb0ES3_jN6thrust23THRUST_200600_302600_NS6detail15normal_iteratorINSA_7pointerIiNSA_11hip_rocprim5par_tENSA_11use_defaultESG_EEEEPS6_SJ_NS0_5tupleIJPiSJ_EEENSK_IJSJ_SJ_EEES6_PlJ7is_evenIiEEEE10hipError_tPvRmT3_T4_T5_T6_T7_T9_mT8_P12ihipStream_tbDpT10_ENKUlT_T0_E_clISt17integral_constantIbLb1EES1A_EEDaS15_S16_EUlS15_E_NS1_11comp_targetILNS1_3genE2ELNS1_11target_archE906ELNS1_3gpuE6ELNS1_3repE0EEENS1_30default_config_static_selectorELNS0_4arch9wavefront6targetE1EEEvT1_
	.p2align	8
	.type	_ZN7rocprim17ROCPRIM_400000_NS6detail17trampoline_kernelINS0_14default_configENS1_25partition_config_selectorILNS1_17partition_subalgoE3EiNS0_10empty_typeEbEEZZNS1_14partition_implILS5_3ELb0ES3_jN6thrust23THRUST_200600_302600_NS6detail15normal_iteratorINSA_7pointerIiNSA_11hip_rocprim5par_tENSA_11use_defaultESG_EEEEPS6_SJ_NS0_5tupleIJPiSJ_EEENSK_IJSJ_SJ_EEES6_PlJ7is_evenIiEEEE10hipError_tPvRmT3_T4_T5_T6_T7_T9_mT8_P12ihipStream_tbDpT10_ENKUlT_T0_E_clISt17integral_constantIbLb1EES1A_EEDaS15_S16_EUlS15_E_NS1_11comp_targetILNS1_3genE2ELNS1_11target_archE906ELNS1_3gpuE6ELNS1_3repE0EEENS1_30default_config_static_selectorELNS0_4arch9wavefront6targetE1EEEvT1_,@function
_ZN7rocprim17ROCPRIM_400000_NS6detail17trampoline_kernelINS0_14default_configENS1_25partition_config_selectorILNS1_17partition_subalgoE3EiNS0_10empty_typeEbEEZZNS1_14partition_implILS5_3ELb0ES3_jN6thrust23THRUST_200600_302600_NS6detail15normal_iteratorINSA_7pointerIiNSA_11hip_rocprim5par_tENSA_11use_defaultESG_EEEEPS6_SJ_NS0_5tupleIJPiSJ_EEENSK_IJSJ_SJ_EEES6_PlJ7is_evenIiEEEE10hipError_tPvRmT3_T4_T5_T6_T7_T9_mT8_P12ihipStream_tbDpT10_ENKUlT_T0_E_clISt17integral_constantIbLb1EES1A_EEDaS15_S16_EUlS15_E_NS1_11comp_targetILNS1_3genE2ELNS1_11target_archE906ELNS1_3gpuE6ELNS1_3repE0EEENS1_30default_config_static_selectorELNS0_4arch9wavefront6targetE1EEEvT1_: ; @_ZN7rocprim17ROCPRIM_400000_NS6detail17trampoline_kernelINS0_14default_configENS1_25partition_config_selectorILNS1_17partition_subalgoE3EiNS0_10empty_typeEbEEZZNS1_14partition_implILS5_3ELb0ES3_jN6thrust23THRUST_200600_302600_NS6detail15normal_iteratorINSA_7pointerIiNSA_11hip_rocprim5par_tENSA_11use_defaultESG_EEEEPS6_SJ_NS0_5tupleIJPiSJ_EEENSK_IJSJ_SJ_EEES6_PlJ7is_evenIiEEEE10hipError_tPvRmT3_T4_T5_T6_T7_T9_mT8_P12ihipStream_tbDpT10_ENKUlT_T0_E_clISt17integral_constantIbLb1EES1A_EEDaS15_S16_EUlS15_E_NS1_11comp_targetILNS1_3genE2ELNS1_11target_archE906ELNS1_3gpuE6ELNS1_3repE0EEENS1_30default_config_static_selectorELNS0_4arch9wavefront6targetE1EEEvT1_
; %bb.0:
	.section	.rodata,"a",@progbits
	.p2align	6, 0x0
	.amdhsa_kernel _ZN7rocprim17ROCPRIM_400000_NS6detail17trampoline_kernelINS0_14default_configENS1_25partition_config_selectorILNS1_17partition_subalgoE3EiNS0_10empty_typeEbEEZZNS1_14partition_implILS5_3ELb0ES3_jN6thrust23THRUST_200600_302600_NS6detail15normal_iteratorINSA_7pointerIiNSA_11hip_rocprim5par_tENSA_11use_defaultESG_EEEEPS6_SJ_NS0_5tupleIJPiSJ_EEENSK_IJSJ_SJ_EEES6_PlJ7is_evenIiEEEE10hipError_tPvRmT3_T4_T5_T6_T7_T9_mT8_P12ihipStream_tbDpT10_ENKUlT_T0_E_clISt17integral_constantIbLb1EES1A_EEDaS15_S16_EUlS15_E_NS1_11comp_targetILNS1_3genE2ELNS1_11target_archE906ELNS1_3gpuE6ELNS1_3repE0EEENS1_30default_config_static_selectorELNS0_4arch9wavefront6targetE1EEEvT1_
		.amdhsa_group_segment_fixed_size 0
		.amdhsa_private_segment_fixed_size 0
		.amdhsa_kernarg_size 136
		.amdhsa_user_sgpr_count 2
		.amdhsa_user_sgpr_dispatch_ptr 0
		.amdhsa_user_sgpr_queue_ptr 0
		.amdhsa_user_sgpr_kernarg_segment_ptr 1
		.amdhsa_user_sgpr_dispatch_id 0
		.amdhsa_user_sgpr_kernarg_preload_length 0
		.amdhsa_user_sgpr_kernarg_preload_offset 0
		.amdhsa_user_sgpr_private_segment_size 0
		.amdhsa_uses_dynamic_stack 0
		.amdhsa_enable_private_segment 0
		.amdhsa_system_sgpr_workgroup_id_x 1
		.amdhsa_system_sgpr_workgroup_id_y 0
		.amdhsa_system_sgpr_workgroup_id_z 0
		.amdhsa_system_sgpr_workgroup_info 0
		.amdhsa_system_vgpr_workitem_id 0
		.amdhsa_next_free_vgpr 1
		.amdhsa_next_free_sgpr 0
		.amdhsa_accum_offset 4
		.amdhsa_reserve_vcc 0
		.amdhsa_float_round_mode_32 0
		.amdhsa_float_round_mode_16_64 0
		.amdhsa_float_denorm_mode_32 3
		.amdhsa_float_denorm_mode_16_64 3
		.amdhsa_dx10_clamp 1
		.amdhsa_ieee_mode 1
		.amdhsa_fp16_overflow 0
		.amdhsa_tg_split 0
		.amdhsa_exception_fp_ieee_invalid_op 0
		.amdhsa_exception_fp_denorm_src 0
		.amdhsa_exception_fp_ieee_div_zero 0
		.amdhsa_exception_fp_ieee_overflow 0
		.amdhsa_exception_fp_ieee_underflow 0
		.amdhsa_exception_fp_ieee_inexact 0
		.amdhsa_exception_int_div_zero 0
	.end_amdhsa_kernel
	.section	.text._ZN7rocprim17ROCPRIM_400000_NS6detail17trampoline_kernelINS0_14default_configENS1_25partition_config_selectorILNS1_17partition_subalgoE3EiNS0_10empty_typeEbEEZZNS1_14partition_implILS5_3ELb0ES3_jN6thrust23THRUST_200600_302600_NS6detail15normal_iteratorINSA_7pointerIiNSA_11hip_rocprim5par_tENSA_11use_defaultESG_EEEEPS6_SJ_NS0_5tupleIJPiSJ_EEENSK_IJSJ_SJ_EEES6_PlJ7is_evenIiEEEE10hipError_tPvRmT3_T4_T5_T6_T7_T9_mT8_P12ihipStream_tbDpT10_ENKUlT_T0_E_clISt17integral_constantIbLb1EES1A_EEDaS15_S16_EUlS15_E_NS1_11comp_targetILNS1_3genE2ELNS1_11target_archE906ELNS1_3gpuE6ELNS1_3repE0EEENS1_30default_config_static_selectorELNS0_4arch9wavefront6targetE1EEEvT1_,"axG",@progbits,_ZN7rocprim17ROCPRIM_400000_NS6detail17trampoline_kernelINS0_14default_configENS1_25partition_config_selectorILNS1_17partition_subalgoE3EiNS0_10empty_typeEbEEZZNS1_14partition_implILS5_3ELb0ES3_jN6thrust23THRUST_200600_302600_NS6detail15normal_iteratorINSA_7pointerIiNSA_11hip_rocprim5par_tENSA_11use_defaultESG_EEEEPS6_SJ_NS0_5tupleIJPiSJ_EEENSK_IJSJ_SJ_EEES6_PlJ7is_evenIiEEEE10hipError_tPvRmT3_T4_T5_T6_T7_T9_mT8_P12ihipStream_tbDpT10_ENKUlT_T0_E_clISt17integral_constantIbLb1EES1A_EEDaS15_S16_EUlS15_E_NS1_11comp_targetILNS1_3genE2ELNS1_11target_archE906ELNS1_3gpuE6ELNS1_3repE0EEENS1_30default_config_static_selectorELNS0_4arch9wavefront6targetE1EEEvT1_,comdat
.Lfunc_end3674:
	.size	_ZN7rocprim17ROCPRIM_400000_NS6detail17trampoline_kernelINS0_14default_configENS1_25partition_config_selectorILNS1_17partition_subalgoE3EiNS0_10empty_typeEbEEZZNS1_14partition_implILS5_3ELb0ES3_jN6thrust23THRUST_200600_302600_NS6detail15normal_iteratorINSA_7pointerIiNSA_11hip_rocprim5par_tENSA_11use_defaultESG_EEEEPS6_SJ_NS0_5tupleIJPiSJ_EEENSK_IJSJ_SJ_EEES6_PlJ7is_evenIiEEEE10hipError_tPvRmT3_T4_T5_T6_T7_T9_mT8_P12ihipStream_tbDpT10_ENKUlT_T0_E_clISt17integral_constantIbLb1EES1A_EEDaS15_S16_EUlS15_E_NS1_11comp_targetILNS1_3genE2ELNS1_11target_archE906ELNS1_3gpuE6ELNS1_3repE0EEENS1_30default_config_static_selectorELNS0_4arch9wavefront6targetE1EEEvT1_, .Lfunc_end3674-_ZN7rocprim17ROCPRIM_400000_NS6detail17trampoline_kernelINS0_14default_configENS1_25partition_config_selectorILNS1_17partition_subalgoE3EiNS0_10empty_typeEbEEZZNS1_14partition_implILS5_3ELb0ES3_jN6thrust23THRUST_200600_302600_NS6detail15normal_iteratorINSA_7pointerIiNSA_11hip_rocprim5par_tENSA_11use_defaultESG_EEEEPS6_SJ_NS0_5tupleIJPiSJ_EEENSK_IJSJ_SJ_EEES6_PlJ7is_evenIiEEEE10hipError_tPvRmT3_T4_T5_T6_T7_T9_mT8_P12ihipStream_tbDpT10_ENKUlT_T0_E_clISt17integral_constantIbLb1EES1A_EEDaS15_S16_EUlS15_E_NS1_11comp_targetILNS1_3genE2ELNS1_11target_archE906ELNS1_3gpuE6ELNS1_3repE0EEENS1_30default_config_static_selectorELNS0_4arch9wavefront6targetE1EEEvT1_
                                        ; -- End function
	.section	.AMDGPU.csdata,"",@progbits
; Kernel info:
; codeLenInByte = 0
; NumSgprs: 6
; NumVgprs: 0
; NumAgprs: 0
; TotalNumVgprs: 0
; ScratchSize: 0
; MemoryBound: 0
; FloatMode: 240
; IeeeMode: 1
; LDSByteSize: 0 bytes/workgroup (compile time only)
; SGPRBlocks: 0
; VGPRBlocks: 0
; NumSGPRsForWavesPerEU: 6
; NumVGPRsForWavesPerEU: 1
; AccumOffset: 4
; Occupancy: 8
; WaveLimiterHint : 0
; COMPUTE_PGM_RSRC2:SCRATCH_EN: 0
; COMPUTE_PGM_RSRC2:USER_SGPR: 2
; COMPUTE_PGM_RSRC2:TRAP_HANDLER: 0
; COMPUTE_PGM_RSRC2:TGID_X_EN: 1
; COMPUTE_PGM_RSRC2:TGID_Y_EN: 0
; COMPUTE_PGM_RSRC2:TGID_Z_EN: 0
; COMPUTE_PGM_RSRC2:TIDIG_COMP_CNT: 0
; COMPUTE_PGM_RSRC3_GFX90A:ACCUM_OFFSET: 0
; COMPUTE_PGM_RSRC3_GFX90A:TG_SPLIT: 0
	.section	.text._ZN7rocprim17ROCPRIM_400000_NS6detail17trampoline_kernelINS0_14default_configENS1_25partition_config_selectorILNS1_17partition_subalgoE3EiNS0_10empty_typeEbEEZZNS1_14partition_implILS5_3ELb0ES3_jN6thrust23THRUST_200600_302600_NS6detail15normal_iteratorINSA_7pointerIiNSA_11hip_rocprim5par_tENSA_11use_defaultESG_EEEEPS6_SJ_NS0_5tupleIJPiSJ_EEENSK_IJSJ_SJ_EEES6_PlJ7is_evenIiEEEE10hipError_tPvRmT3_T4_T5_T6_T7_T9_mT8_P12ihipStream_tbDpT10_ENKUlT_T0_E_clISt17integral_constantIbLb1EES1A_EEDaS15_S16_EUlS15_E_NS1_11comp_targetILNS1_3genE10ELNS1_11target_archE1200ELNS1_3gpuE4ELNS1_3repE0EEENS1_30default_config_static_selectorELNS0_4arch9wavefront6targetE1EEEvT1_,"axG",@progbits,_ZN7rocprim17ROCPRIM_400000_NS6detail17trampoline_kernelINS0_14default_configENS1_25partition_config_selectorILNS1_17partition_subalgoE3EiNS0_10empty_typeEbEEZZNS1_14partition_implILS5_3ELb0ES3_jN6thrust23THRUST_200600_302600_NS6detail15normal_iteratorINSA_7pointerIiNSA_11hip_rocprim5par_tENSA_11use_defaultESG_EEEEPS6_SJ_NS0_5tupleIJPiSJ_EEENSK_IJSJ_SJ_EEES6_PlJ7is_evenIiEEEE10hipError_tPvRmT3_T4_T5_T6_T7_T9_mT8_P12ihipStream_tbDpT10_ENKUlT_T0_E_clISt17integral_constantIbLb1EES1A_EEDaS15_S16_EUlS15_E_NS1_11comp_targetILNS1_3genE10ELNS1_11target_archE1200ELNS1_3gpuE4ELNS1_3repE0EEENS1_30default_config_static_selectorELNS0_4arch9wavefront6targetE1EEEvT1_,comdat
	.protected	_ZN7rocprim17ROCPRIM_400000_NS6detail17trampoline_kernelINS0_14default_configENS1_25partition_config_selectorILNS1_17partition_subalgoE3EiNS0_10empty_typeEbEEZZNS1_14partition_implILS5_3ELb0ES3_jN6thrust23THRUST_200600_302600_NS6detail15normal_iteratorINSA_7pointerIiNSA_11hip_rocprim5par_tENSA_11use_defaultESG_EEEEPS6_SJ_NS0_5tupleIJPiSJ_EEENSK_IJSJ_SJ_EEES6_PlJ7is_evenIiEEEE10hipError_tPvRmT3_T4_T5_T6_T7_T9_mT8_P12ihipStream_tbDpT10_ENKUlT_T0_E_clISt17integral_constantIbLb1EES1A_EEDaS15_S16_EUlS15_E_NS1_11comp_targetILNS1_3genE10ELNS1_11target_archE1200ELNS1_3gpuE4ELNS1_3repE0EEENS1_30default_config_static_selectorELNS0_4arch9wavefront6targetE1EEEvT1_ ; -- Begin function _ZN7rocprim17ROCPRIM_400000_NS6detail17trampoline_kernelINS0_14default_configENS1_25partition_config_selectorILNS1_17partition_subalgoE3EiNS0_10empty_typeEbEEZZNS1_14partition_implILS5_3ELb0ES3_jN6thrust23THRUST_200600_302600_NS6detail15normal_iteratorINSA_7pointerIiNSA_11hip_rocprim5par_tENSA_11use_defaultESG_EEEEPS6_SJ_NS0_5tupleIJPiSJ_EEENSK_IJSJ_SJ_EEES6_PlJ7is_evenIiEEEE10hipError_tPvRmT3_T4_T5_T6_T7_T9_mT8_P12ihipStream_tbDpT10_ENKUlT_T0_E_clISt17integral_constantIbLb1EES1A_EEDaS15_S16_EUlS15_E_NS1_11comp_targetILNS1_3genE10ELNS1_11target_archE1200ELNS1_3gpuE4ELNS1_3repE0EEENS1_30default_config_static_selectorELNS0_4arch9wavefront6targetE1EEEvT1_
	.globl	_ZN7rocprim17ROCPRIM_400000_NS6detail17trampoline_kernelINS0_14default_configENS1_25partition_config_selectorILNS1_17partition_subalgoE3EiNS0_10empty_typeEbEEZZNS1_14partition_implILS5_3ELb0ES3_jN6thrust23THRUST_200600_302600_NS6detail15normal_iteratorINSA_7pointerIiNSA_11hip_rocprim5par_tENSA_11use_defaultESG_EEEEPS6_SJ_NS0_5tupleIJPiSJ_EEENSK_IJSJ_SJ_EEES6_PlJ7is_evenIiEEEE10hipError_tPvRmT3_T4_T5_T6_T7_T9_mT8_P12ihipStream_tbDpT10_ENKUlT_T0_E_clISt17integral_constantIbLb1EES1A_EEDaS15_S16_EUlS15_E_NS1_11comp_targetILNS1_3genE10ELNS1_11target_archE1200ELNS1_3gpuE4ELNS1_3repE0EEENS1_30default_config_static_selectorELNS0_4arch9wavefront6targetE1EEEvT1_
	.p2align	8
	.type	_ZN7rocprim17ROCPRIM_400000_NS6detail17trampoline_kernelINS0_14default_configENS1_25partition_config_selectorILNS1_17partition_subalgoE3EiNS0_10empty_typeEbEEZZNS1_14partition_implILS5_3ELb0ES3_jN6thrust23THRUST_200600_302600_NS6detail15normal_iteratorINSA_7pointerIiNSA_11hip_rocprim5par_tENSA_11use_defaultESG_EEEEPS6_SJ_NS0_5tupleIJPiSJ_EEENSK_IJSJ_SJ_EEES6_PlJ7is_evenIiEEEE10hipError_tPvRmT3_T4_T5_T6_T7_T9_mT8_P12ihipStream_tbDpT10_ENKUlT_T0_E_clISt17integral_constantIbLb1EES1A_EEDaS15_S16_EUlS15_E_NS1_11comp_targetILNS1_3genE10ELNS1_11target_archE1200ELNS1_3gpuE4ELNS1_3repE0EEENS1_30default_config_static_selectorELNS0_4arch9wavefront6targetE1EEEvT1_,@function
_ZN7rocprim17ROCPRIM_400000_NS6detail17trampoline_kernelINS0_14default_configENS1_25partition_config_selectorILNS1_17partition_subalgoE3EiNS0_10empty_typeEbEEZZNS1_14partition_implILS5_3ELb0ES3_jN6thrust23THRUST_200600_302600_NS6detail15normal_iteratorINSA_7pointerIiNSA_11hip_rocprim5par_tENSA_11use_defaultESG_EEEEPS6_SJ_NS0_5tupleIJPiSJ_EEENSK_IJSJ_SJ_EEES6_PlJ7is_evenIiEEEE10hipError_tPvRmT3_T4_T5_T6_T7_T9_mT8_P12ihipStream_tbDpT10_ENKUlT_T0_E_clISt17integral_constantIbLb1EES1A_EEDaS15_S16_EUlS15_E_NS1_11comp_targetILNS1_3genE10ELNS1_11target_archE1200ELNS1_3gpuE4ELNS1_3repE0EEENS1_30default_config_static_selectorELNS0_4arch9wavefront6targetE1EEEvT1_: ; @_ZN7rocprim17ROCPRIM_400000_NS6detail17trampoline_kernelINS0_14default_configENS1_25partition_config_selectorILNS1_17partition_subalgoE3EiNS0_10empty_typeEbEEZZNS1_14partition_implILS5_3ELb0ES3_jN6thrust23THRUST_200600_302600_NS6detail15normal_iteratorINSA_7pointerIiNSA_11hip_rocprim5par_tENSA_11use_defaultESG_EEEEPS6_SJ_NS0_5tupleIJPiSJ_EEENSK_IJSJ_SJ_EEES6_PlJ7is_evenIiEEEE10hipError_tPvRmT3_T4_T5_T6_T7_T9_mT8_P12ihipStream_tbDpT10_ENKUlT_T0_E_clISt17integral_constantIbLb1EES1A_EEDaS15_S16_EUlS15_E_NS1_11comp_targetILNS1_3genE10ELNS1_11target_archE1200ELNS1_3gpuE4ELNS1_3repE0EEENS1_30default_config_static_selectorELNS0_4arch9wavefront6targetE1EEEvT1_
; %bb.0:
	.section	.rodata,"a",@progbits
	.p2align	6, 0x0
	.amdhsa_kernel _ZN7rocprim17ROCPRIM_400000_NS6detail17trampoline_kernelINS0_14default_configENS1_25partition_config_selectorILNS1_17partition_subalgoE3EiNS0_10empty_typeEbEEZZNS1_14partition_implILS5_3ELb0ES3_jN6thrust23THRUST_200600_302600_NS6detail15normal_iteratorINSA_7pointerIiNSA_11hip_rocprim5par_tENSA_11use_defaultESG_EEEEPS6_SJ_NS0_5tupleIJPiSJ_EEENSK_IJSJ_SJ_EEES6_PlJ7is_evenIiEEEE10hipError_tPvRmT3_T4_T5_T6_T7_T9_mT8_P12ihipStream_tbDpT10_ENKUlT_T0_E_clISt17integral_constantIbLb1EES1A_EEDaS15_S16_EUlS15_E_NS1_11comp_targetILNS1_3genE10ELNS1_11target_archE1200ELNS1_3gpuE4ELNS1_3repE0EEENS1_30default_config_static_selectorELNS0_4arch9wavefront6targetE1EEEvT1_
		.amdhsa_group_segment_fixed_size 0
		.amdhsa_private_segment_fixed_size 0
		.amdhsa_kernarg_size 136
		.amdhsa_user_sgpr_count 2
		.amdhsa_user_sgpr_dispatch_ptr 0
		.amdhsa_user_sgpr_queue_ptr 0
		.amdhsa_user_sgpr_kernarg_segment_ptr 1
		.amdhsa_user_sgpr_dispatch_id 0
		.amdhsa_user_sgpr_kernarg_preload_length 0
		.amdhsa_user_sgpr_kernarg_preload_offset 0
		.amdhsa_user_sgpr_private_segment_size 0
		.amdhsa_uses_dynamic_stack 0
		.amdhsa_enable_private_segment 0
		.amdhsa_system_sgpr_workgroup_id_x 1
		.amdhsa_system_sgpr_workgroup_id_y 0
		.amdhsa_system_sgpr_workgroup_id_z 0
		.amdhsa_system_sgpr_workgroup_info 0
		.amdhsa_system_vgpr_workitem_id 0
		.amdhsa_next_free_vgpr 1
		.amdhsa_next_free_sgpr 0
		.amdhsa_accum_offset 4
		.amdhsa_reserve_vcc 0
		.amdhsa_float_round_mode_32 0
		.amdhsa_float_round_mode_16_64 0
		.amdhsa_float_denorm_mode_32 3
		.amdhsa_float_denorm_mode_16_64 3
		.amdhsa_dx10_clamp 1
		.amdhsa_ieee_mode 1
		.amdhsa_fp16_overflow 0
		.amdhsa_tg_split 0
		.amdhsa_exception_fp_ieee_invalid_op 0
		.amdhsa_exception_fp_denorm_src 0
		.amdhsa_exception_fp_ieee_div_zero 0
		.amdhsa_exception_fp_ieee_overflow 0
		.amdhsa_exception_fp_ieee_underflow 0
		.amdhsa_exception_fp_ieee_inexact 0
		.amdhsa_exception_int_div_zero 0
	.end_amdhsa_kernel
	.section	.text._ZN7rocprim17ROCPRIM_400000_NS6detail17trampoline_kernelINS0_14default_configENS1_25partition_config_selectorILNS1_17partition_subalgoE3EiNS0_10empty_typeEbEEZZNS1_14partition_implILS5_3ELb0ES3_jN6thrust23THRUST_200600_302600_NS6detail15normal_iteratorINSA_7pointerIiNSA_11hip_rocprim5par_tENSA_11use_defaultESG_EEEEPS6_SJ_NS0_5tupleIJPiSJ_EEENSK_IJSJ_SJ_EEES6_PlJ7is_evenIiEEEE10hipError_tPvRmT3_T4_T5_T6_T7_T9_mT8_P12ihipStream_tbDpT10_ENKUlT_T0_E_clISt17integral_constantIbLb1EES1A_EEDaS15_S16_EUlS15_E_NS1_11comp_targetILNS1_3genE10ELNS1_11target_archE1200ELNS1_3gpuE4ELNS1_3repE0EEENS1_30default_config_static_selectorELNS0_4arch9wavefront6targetE1EEEvT1_,"axG",@progbits,_ZN7rocprim17ROCPRIM_400000_NS6detail17trampoline_kernelINS0_14default_configENS1_25partition_config_selectorILNS1_17partition_subalgoE3EiNS0_10empty_typeEbEEZZNS1_14partition_implILS5_3ELb0ES3_jN6thrust23THRUST_200600_302600_NS6detail15normal_iteratorINSA_7pointerIiNSA_11hip_rocprim5par_tENSA_11use_defaultESG_EEEEPS6_SJ_NS0_5tupleIJPiSJ_EEENSK_IJSJ_SJ_EEES6_PlJ7is_evenIiEEEE10hipError_tPvRmT3_T4_T5_T6_T7_T9_mT8_P12ihipStream_tbDpT10_ENKUlT_T0_E_clISt17integral_constantIbLb1EES1A_EEDaS15_S16_EUlS15_E_NS1_11comp_targetILNS1_3genE10ELNS1_11target_archE1200ELNS1_3gpuE4ELNS1_3repE0EEENS1_30default_config_static_selectorELNS0_4arch9wavefront6targetE1EEEvT1_,comdat
.Lfunc_end3675:
	.size	_ZN7rocprim17ROCPRIM_400000_NS6detail17trampoline_kernelINS0_14default_configENS1_25partition_config_selectorILNS1_17partition_subalgoE3EiNS0_10empty_typeEbEEZZNS1_14partition_implILS5_3ELb0ES3_jN6thrust23THRUST_200600_302600_NS6detail15normal_iteratorINSA_7pointerIiNSA_11hip_rocprim5par_tENSA_11use_defaultESG_EEEEPS6_SJ_NS0_5tupleIJPiSJ_EEENSK_IJSJ_SJ_EEES6_PlJ7is_evenIiEEEE10hipError_tPvRmT3_T4_T5_T6_T7_T9_mT8_P12ihipStream_tbDpT10_ENKUlT_T0_E_clISt17integral_constantIbLb1EES1A_EEDaS15_S16_EUlS15_E_NS1_11comp_targetILNS1_3genE10ELNS1_11target_archE1200ELNS1_3gpuE4ELNS1_3repE0EEENS1_30default_config_static_selectorELNS0_4arch9wavefront6targetE1EEEvT1_, .Lfunc_end3675-_ZN7rocprim17ROCPRIM_400000_NS6detail17trampoline_kernelINS0_14default_configENS1_25partition_config_selectorILNS1_17partition_subalgoE3EiNS0_10empty_typeEbEEZZNS1_14partition_implILS5_3ELb0ES3_jN6thrust23THRUST_200600_302600_NS6detail15normal_iteratorINSA_7pointerIiNSA_11hip_rocprim5par_tENSA_11use_defaultESG_EEEEPS6_SJ_NS0_5tupleIJPiSJ_EEENSK_IJSJ_SJ_EEES6_PlJ7is_evenIiEEEE10hipError_tPvRmT3_T4_T5_T6_T7_T9_mT8_P12ihipStream_tbDpT10_ENKUlT_T0_E_clISt17integral_constantIbLb1EES1A_EEDaS15_S16_EUlS15_E_NS1_11comp_targetILNS1_3genE10ELNS1_11target_archE1200ELNS1_3gpuE4ELNS1_3repE0EEENS1_30default_config_static_selectorELNS0_4arch9wavefront6targetE1EEEvT1_
                                        ; -- End function
	.section	.AMDGPU.csdata,"",@progbits
; Kernel info:
; codeLenInByte = 0
; NumSgprs: 6
; NumVgprs: 0
; NumAgprs: 0
; TotalNumVgprs: 0
; ScratchSize: 0
; MemoryBound: 0
; FloatMode: 240
; IeeeMode: 1
; LDSByteSize: 0 bytes/workgroup (compile time only)
; SGPRBlocks: 0
; VGPRBlocks: 0
; NumSGPRsForWavesPerEU: 6
; NumVGPRsForWavesPerEU: 1
; AccumOffset: 4
; Occupancy: 8
; WaveLimiterHint : 0
; COMPUTE_PGM_RSRC2:SCRATCH_EN: 0
; COMPUTE_PGM_RSRC2:USER_SGPR: 2
; COMPUTE_PGM_RSRC2:TRAP_HANDLER: 0
; COMPUTE_PGM_RSRC2:TGID_X_EN: 1
; COMPUTE_PGM_RSRC2:TGID_Y_EN: 0
; COMPUTE_PGM_RSRC2:TGID_Z_EN: 0
; COMPUTE_PGM_RSRC2:TIDIG_COMP_CNT: 0
; COMPUTE_PGM_RSRC3_GFX90A:ACCUM_OFFSET: 0
; COMPUTE_PGM_RSRC3_GFX90A:TG_SPLIT: 0
	.section	.text._ZN7rocprim17ROCPRIM_400000_NS6detail17trampoline_kernelINS0_14default_configENS1_25partition_config_selectorILNS1_17partition_subalgoE3EiNS0_10empty_typeEbEEZZNS1_14partition_implILS5_3ELb0ES3_jN6thrust23THRUST_200600_302600_NS6detail15normal_iteratorINSA_7pointerIiNSA_11hip_rocprim5par_tENSA_11use_defaultESG_EEEEPS6_SJ_NS0_5tupleIJPiSJ_EEENSK_IJSJ_SJ_EEES6_PlJ7is_evenIiEEEE10hipError_tPvRmT3_T4_T5_T6_T7_T9_mT8_P12ihipStream_tbDpT10_ENKUlT_T0_E_clISt17integral_constantIbLb1EES1A_EEDaS15_S16_EUlS15_E_NS1_11comp_targetILNS1_3genE9ELNS1_11target_archE1100ELNS1_3gpuE3ELNS1_3repE0EEENS1_30default_config_static_selectorELNS0_4arch9wavefront6targetE1EEEvT1_,"axG",@progbits,_ZN7rocprim17ROCPRIM_400000_NS6detail17trampoline_kernelINS0_14default_configENS1_25partition_config_selectorILNS1_17partition_subalgoE3EiNS0_10empty_typeEbEEZZNS1_14partition_implILS5_3ELb0ES3_jN6thrust23THRUST_200600_302600_NS6detail15normal_iteratorINSA_7pointerIiNSA_11hip_rocprim5par_tENSA_11use_defaultESG_EEEEPS6_SJ_NS0_5tupleIJPiSJ_EEENSK_IJSJ_SJ_EEES6_PlJ7is_evenIiEEEE10hipError_tPvRmT3_T4_T5_T6_T7_T9_mT8_P12ihipStream_tbDpT10_ENKUlT_T0_E_clISt17integral_constantIbLb1EES1A_EEDaS15_S16_EUlS15_E_NS1_11comp_targetILNS1_3genE9ELNS1_11target_archE1100ELNS1_3gpuE3ELNS1_3repE0EEENS1_30default_config_static_selectorELNS0_4arch9wavefront6targetE1EEEvT1_,comdat
	.protected	_ZN7rocprim17ROCPRIM_400000_NS6detail17trampoline_kernelINS0_14default_configENS1_25partition_config_selectorILNS1_17partition_subalgoE3EiNS0_10empty_typeEbEEZZNS1_14partition_implILS5_3ELb0ES3_jN6thrust23THRUST_200600_302600_NS6detail15normal_iteratorINSA_7pointerIiNSA_11hip_rocprim5par_tENSA_11use_defaultESG_EEEEPS6_SJ_NS0_5tupleIJPiSJ_EEENSK_IJSJ_SJ_EEES6_PlJ7is_evenIiEEEE10hipError_tPvRmT3_T4_T5_T6_T7_T9_mT8_P12ihipStream_tbDpT10_ENKUlT_T0_E_clISt17integral_constantIbLb1EES1A_EEDaS15_S16_EUlS15_E_NS1_11comp_targetILNS1_3genE9ELNS1_11target_archE1100ELNS1_3gpuE3ELNS1_3repE0EEENS1_30default_config_static_selectorELNS0_4arch9wavefront6targetE1EEEvT1_ ; -- Begin function _ZN7rocprim17ROCPRIM_400000_NS6detail17trampoline_kernelINS0_14default_configENS1_25partition_config_selectorILNS1_17partition_subalgoE3EiNS0_10empty_typeEbEEZZNS1_14partition_implILS5_3ELb0ES3_jN6thrust23THRUST_200600_302600_NS6detail15normal_iteratorINSA_7pointerIiNSA_11hip_rocprim5par_tENSA_11use_defaultESG_EEEEPS6_SJ_NS0_5tupleIJPiSJ_EEENSK_IJSJ_SJ_EEES6_PlJ7is_evenIiEEEE10hipError_tPvRmT3_T4_T5_T6_T7_T9_mT8_P12ihipStream_tbDpT10_ENKUlT_T0_E_clISt17integral_constantIbLb1EES1A_EEDaS15_S16_EUlS15_E_NS1_11comp_targetILNS1_3genE9ELNS1_11target_archE1100ELNS1_3gpuE3ELNS1_3repE0EEENS1_30default_config_static_selectorELNS0_4arch9wavefront6targetE1EEEvT1_
	.globl	_ZN7rocprim17ROCPRIM_400000_NS6detail17trampoline_kernelINS0_14default_configENS1_25partition_config_selectorILNS1_17partition_subalgoE3EiNS0_10empty_typeEbEEZZNS1_14partition_implILS5_3ELb0ES3_jN6thrust23THRUST_200600_302600_NS6detail15normal_iteratorINSA_7pointerIiNSA_11hip_rocprim5par_tENSA_11use_defaultESG_EEEEPS6_SJ_NS0_5tupleIJPiSJ_EEENSK_IJSJ_SJ_EEES6_PlJ7is_evenIiEEEE10hipError_tPvRmT3_T4_T5_T6_T7_T9_mT8_P12ihipStream_tbDpT10_ENKUlT_T0_E_clISt17integral_constantIbLb1EES1A_EEDaS15_S16_EUlS15_E_NS1_11comp_targetILNS1_3genE9ELNS1_11target_archE1100ELNS1_3gpuE3ELNS1_3repE0EEENS1_30default_config_static_selectorELNS0_4arch9wavefront6targetE1EEEvT1_
	.p2align	8
	.type	_ZN7rocprim17ROCPRIM_400000_NS6detail17trampoline_kernelINS0_14default_configENS1_25partition_config_selectorILNS1_17partition_subalgoE3EiNS0_10empty_typeEbEEZZNS1_14partition_implILS5_3ELb0ES3_jN6thrust23THRUST_200600_302600_NS6detail15normal_iteratorINSA_7pointerIiNSA_11hip_rocprim5par_tENSA_11use_defaultESG_EEEEPS6_SJ_NS0_5tupleIJPiSJ_EEENSK_IJSJ_SJ_EEES6_PlJ7is_evenIiEEEE10hipError_tPvRmT3_T4_T5_T6_T7_T9_mT8_P12ihipStream_tbDpT10_ENKUlT_T0_E_clISt17integral_constantIbLb1EES1A_EEDaS15_S16_EUlS15_E_NS1_11comp_targetILNS1_3genE9ELNS1_11target_archE1100ELNS1_3gpuE3ELNS1_3repE0EEENS1_30default_config_static_selectorELNS0_4arch9wavefront6targetE1EEEvT1_,@function
_ZN7rocprim17ROCPRIM_400000_NS6detail17trampoline_kernelINS0_14default_configENS1_25partition_config_selectorILNS1_17partition_subalgoE3EiNS0_10empty_typeEbEEZZNS1_14partition_implILS5_3ELb0ES3_jN6thrust23THRUST_200600_302600_NS6detail15normal_iteratorINSA_7pointerIiNSA_11hip_rocprim5par_tENSA_11use_defaultESG_EEEEPS6_SJ_NS0_5tupleIJPiSJ_EEENSK_IJSJ_SJ_EEES6_PlJ7is_evenIiEEEE10hipError_tPvRmT3_T4_T5_T6_T7_T9_mT8_P12ihipStream_tbDpT10_ENKUlT_T0_E_clISt17integral_constantIbLb1EES1A_EEDaS15_S16_EUlS15_E_NS1_11comp_targetILNS1_3genE9ELNS1_11target_archE1100ELNS1_3gpuE3ELNS1_3repE0EEENS1_30default_config_static_selectorELNS0_4arch9wavefront6targetE1EEEvT1_: ; @_ZN7rocprim17ROCPRIM_400000_NS6detail17trampoline_kernelINS0_14default_configENS1_25partition_config_selectorILNS1_17partition_subalgoE3EiNS0_10empty_typeEbEEZZNS1_14partition_implILS5_3ELb0ES3_jN6thrust23THRUST_200600_302600_NS6detail15normal_iteratorINSA_7pointerIiNSA_11hip_rocprim5par_tENSA_11use_defaultESG_EEEEPS6_SJ_NS0_5tupleIJPiSJ_EEENSK_IJSJ_SJ_EEES6_PlJ7is_evenIiEEEE10hipError_tPvRmT3_T4_T5_T6_T7_T9_mT8_P12ihipStream_tbDpT10_ENKUlT_T0_E_clISt17integral_constantIbLb1EES1A_EEDaS15_S16_EUlS15_E_NS1_11comp_targetILNS1_3genE9ELNS1_11target_archE1100ELNS1_3gpuE3ELNS1_3repE0EEENS1_30default_config_static_selectorELNS0_4arch9wavefront6targetE1EEEvT1_
; %bb.0:
	.section	.rodata,"a",@progbits
	.p2align	6, 0x0
	.amdhsa_kernel _ZN7rocprim17ROCPRIM_400000_NS6detail17trampoline_kernelINS0_14default_configENS1_25partition_config_selectorILNS1_17partition_subalgoE3EiNS0_10empty_typeEbEEZZNS1_14partition_implILS5_3ELb0ES3_jN6thrust23THRUST_200600_302600_NS6detail15normal_iteratorINSA_7pointerIiNSA_11hip_rocprim5par_tENSA_11use_defaultESG_EEEEPS6_SJ_NS0_5tupleIJPiSJ_EEENSK_IJSJ_SJ_EEES6_PlJ7is_evenIiEEEE10hipError_tPvRmT3_T4_T5_T6_T7_T9_mT8_P12ihipStream_tbDpT10_ENKUlT_T0_E_clISt17integral_constantIbLb1EES1A_EEDaS15_S16_EUlS15_E_NS1_11comp_targetILNS1_3genE9ELNS1_11target_archE1100ELNS1_3gpuE3ELNS1_3repE0EEENS1_30default_config_static_selectorELNS0_4arch9wavefront6targetE1EEEvT1_
		.amdhsa_group_segment_fixed_size 0
		.amdhsa_private_segment_fixed_size 0
		.amdhsa_kernarg_size 136
		.amdhsa_user_sgpr_count 2
		.amdhsa_user_sgpr_dispatch_ptr 0
		.amdhsa_user_sgpr_queue_ptr 0
		.amdhsa_user_sgpr_kernarg_segment_ptr 1
		.amdhsa_user_sgpr_dispatch_id 0
		.amdhsa_user_sgpr_kernarg_preload_length 0
		.amdhsa_user_sgpr_kernarg_preload_offset 0
		.amdhsa_user_sgpr_private_segment_size 0
		.amdhsa_uses_dynamic_stack 0
		.amdhsa_enable_private_segment 0
		.amdhsa_system_sgpr_workgroup_id_x 1
		.amdhsa_system_sgpr_workgroup_id_y 0
		.amdhsa_system_sgpr_workgroup_id_z 0
		.amdhsa_system_sgpr_workgroup_info 0
		.amdhsa_system_vgpr_workitem_id 0
		.amdhsa_next_free_vgpr 1
		.amdhsa_next_free_sgpr 0
		.amdhsa_accum_offset 4
		.amdhsa_reserve_vcc 0
		.amdhsa_float_round_mode_32 0
		.amdhsa_float_round_mode_16_64 0
		.amdhsa_float_denorm_mode_32 3
		.amdhsa_float_denorm_mode_16_64 3
		.amdhsa_dx10_clamp 1
		.amdhsa_ieee_mode 1
		.amdhsa_fp16_overflow 0
		.amdhsa_tg_split 0
		.amdhsa_exception_fp_ieee_invalid_op 0
		.amdhsa_exception_fp_denorm_src 0
		.amdhsa_exception_fp_ieee_div_zero 0
		.amdhsa_exception_fp_ieee_overflow 0
		.amdhsa_exception_fp_ieee_underflow 0
		.amdhsa_exception_fp_ieee_inexact 0
		.amdhsa_exception_int_div_zero 0
	.end_amdhsa_kernel
	.section	.text._ZN7rocprim17ROCPRIM_400000_NS6detail17trampoline_kernelINS0_14default_configENS1_25partition_config_selectorILNS1_17partition_subalgoE3EiNS0_10empty_typeEbEEZZNS1_14partition_implILS5_3ELb0ES3_jN6thrust23THRUST_200600_302600_NS6detail15normal_iteratorINSA_7pointerIiNSA_11hip_rocprim5par_tENSA_11use_defaultESG_EEEEPS6_SJ_NS0_5tupleIJPiSJ_EEENSK_IJSJ_SJ_EEES6_PlJ7is_evenIiEEEE10hipError_tPvRmT3_T4_T5_T6_T7_T9_mT8_P12ihipStream_tbDpT10_ENKUlT_T0_E_clISt17integral_constantIbLb1EES1A_EEDaS15_S16_EUlS15_E_NS1_11comp_targetILNS1_3genE9ELNS1_11target_archE1100ELNS1_3gpuE3ELNS1_3repE0EEENS1_30default_config_static_selectorELNS0_4arch9wavefront6targetE1EEEvT1_,"axG",@progbits,_ZN7rocprim17ROCPRIM_400000_NS6detail17trampoline_kernelINS0_14default_configENS1_25partition_config_selectorILNS1_17partition_subalgoE3EiNS0_10empty_typeEbEEZZNS1_14partition_implILS5_3ELb0ES3_jN6thrust23THRUST_200600_302600_NS6detail15normal_iteratorINSA_7pointerIiNSA_11hip_rocprim5par_tENSA_11use_defaultESG_EEEEPS6_SJ_NS0_5tupleIJPiSJ_EEENSK_IJSJ_SJ_EEES6_PlJ7is_evenIiEEEE10hipError_tPvRmT3_T4_T5_T6_T7_T9_mT8_P12ihipStream_tbDpT10_ENKUlT_T0_E_clISt17integral_constantIbLb1EES1A_EEDaS15_S16_EUlS15_E_NS1_11comp_targetILNS1_3genE9ELNS1_11target_archE1100ELNS1_3gpuE3ELNS1_3repE0EEENS1_30default_config_static_selectorELNS0_4arch9wavefront6targetE1EEEvT1_,comdat
.Lfunc_end3676:
	.size	_ZN7rocprim17ROCPRIM_400000_NS6detail17trampoline_kernelINS0_14default_configENS1_25partition_config_selectorILNS1_17partition_subalgoE3EiNS0_10empty_typeEbEEZZNS1_14partition_implILS5_3ELb0ES3_jN6thrust23THRUST_200600_302600_NS6detail15normal_iteratorINSA_7pointerIiNSA_11hip_rocprim5par_tENSA_11use_defaultESG_EEEEPS6_SJ_NS0_5tupleIJPiSJ_EEENSK_IJSJ_SJ_EEES6_PlJ7is_evenIiEEEE10hipError_tPvRmT3_T4_T5_T6_T7_T9_mT8_P12ihipStream_tbDpT10_ENKUlT_T0_E_clISt17integral_constantIbLb1EES1A_EEDaS15_S16_EUlS15_E_NS1_11comp_targetILNS1_3genE9ELNS1_11target_archE1100ELNS1_3gpuE3ELNS1_3repE0EEENS1_30default_config_static_selectorELNS0_4arch9wavefront6targetE1EEEvT1_, .Lfunc_end3676-_ZN7rocprim17ROCPRIM_400000_NS6detail17trampoline_kernelINS0_14default_configENS1_25partition_config_selectorILNS1_17partition_subalgoE3EiNS0_10empty_typeEbEEZZNS1_14partition_implILS5_3ELb0ES3_jN6thrust23THRUST_200600_302600_NS6detail15normal_iteratorINSA_7pointerIiNSA_11hip_rocprim5par_tENSA_11use_defaultESG_EEEEPS6_SJ_NS0_5tupleIJPiSJ_EEENSK_IJSJ_SJ_EEES6_PlJ7is_evenIiEEEE10hipError_tPvRmT3_T4_T5_T6_T7_T9_mT8_P12ihipStream_tbDpT10_ENKUlT_T0_E_clISt17integral_constantIbLb1EES1A_EEDaS15_S16_EUlS15_E_NS1_11comp_targetILNS1_3genE9ELNS1_11target_archE1100ELNS1_3gpuE3ELNS1_3repE0EEENS1_30default_config_static_selectorELNS0_4arch9wavefront6targetE1EEEvT1_
                                        ; -- End function
	.section	.AMDGPU.csdata,"",@progbits
; Kernel info:
; codeLenInByte = 0
; NumSgprs: 6
; NumVgprs: 0
; NumAgprs: 0
; TotalNumVgprs: 0
; ScratchSize: 0
; MemoryBound: 0
; FloatMode: 240
; IeeeMode: 1
; LDSByteSize: 0 bytes/workgroup (compile time only)
; SGPRBlocks: 0
; VGPRBlocks: 0
; NumSGPRsForWavesPerEU: 6
; NumVGPRsForWavesPerEU: 1
; AccumOffset: 4
; Occupancy: 8
; WaveLimiterHint : 0
; COMPUTE_PGM_RSRC2:SCRATCH_EN: 0
; COMPUTE_PGM_RSRC2:USER_SGPR: 2
; COMPUTE_PGM_RSRC2:TRAP_HANDLER: 0
; COMPUTE_PGM_RSRC2:TGID_X_EN: 1
; COMPUTE_PGM_RSRC2:TGID_Y_EN: 0
; COMPUTE_PGM_RSRC2:TGID_Z_EN: 0
; COMPUTE_PGM_RSRC2:TIDIG_COMP_CNT: 0
; COMPUTE_PGM_RSRC3_GFX90A:ACCUM_OFFSET: 0
; COMPUTE_PGM_RSRC3_GFX90A:TG_SPLIT: 0
	.section	.text._ZN7rocprim17ROCPRIM_400000_NS6detail17trampoline_kernelINS0_14default_configENS1_25partition_config_selectorILNS1_17partition_subalgoE3EiNS0_10empty_typeEbEEZZNS1_14partition_implILS5_3ELb0ES3_jN6thrust23THRUST_200600_302600_NS6detail15normal_iteratorINSA_7pointerIiNSA_11hip_rocprim5par_tENSA_11use_defaultESG_EEEEPS6_SJ_NS0_5tupleIJPiSJ_EEENSK_IJSJ_SJ_EEES6_PlJ7is_evenIiEEEE10hipError_tPvRmT3_T4_T5_T6_T7_T9_mT8_P12ihipStream_tbDpT10_ENKUlT_T0_E_clISt17integral_constantIbLb1EES1A_EEDaS15_S16_EUlS15_E_NS1_11comp_targetILNS1_3genE8ELNS1_11target_archE1030ELNS1_3gpuE2ELNS1_3repE0EEENS1_30default_config_static_selectorELNS0_4arch9wavefront6targetE1EEEvT1_,"axG",@progbits,_ZN7rocprim17ROCPRIM_400000_NS6detail17trampoline_kernelINS0_14default_configENS1_25partition_config_selectorILNS1_17partition_subalgoE3EiNS0_10empty_typeEbEEZZNS1_14partition_implILS5_3ELb0ES3_jN6thrust23THRUST_200600_302600_NS6detail15normal_iteratorINSA_7pointerIiNSA_11hip_rocprim5par_tENSA_11use_defaultESG_EEEEPS6_SJ_NS0_5tupleIJPiSJ_EEENSK_IJSJ_SJ_EEES6_PlJ7is_evenIiEEEE10hipError_tPvRmT3_T4_T5_T6_T7_T9_mT8_P12ihipStream_tbDpT10_ENKUlT_T0_E_clISt17integral_constantIbLb1EES1A_EEDaS15_S16_EUlS15_E_NS1_11comp_targetILNS1_3genE8ELNS1_11target_archE1030ELNS1_3gpuE2ELNS1_3repE0EEENS1_30default_config_static_selectorELNS0_4arch9wavefront6targetE1EEEvT1_,comdat
	.protected	_ZN7rocprim17ROCPRIM_400000_NS6detail17trampoline_kernelINS0_14default_configENS1_25partition_config_selectorILNS1_17partition_subalgoE3EiNS0_10empty_typeEbEEZZNS1_14partition_implILS5_3ELb0ES3_jN6thrust23THRUST_200600_302600_NS6detail15normal_iteratorINSA_7pointerIiNSA_11hip_rocprim5par_tENSA_11use_defaultESG_EEEEPS6_SJ_NS0_5tupleIJPiSJ_EEENSK_IJSJ_SJ_EEES6_PlJ7is_evenIiEEEE10hipError_tPvRmT3_T4_T5_T6_T7_T9_mT8_P12ihipStream_tbDpT10_ENKUlT_T0_E_clISt17integral_constantIbLb1EES1A_EEDaS15_S16_EUlS15_E_NS1_11comp_targetILNS1_3genE8ELNS1_11target_archE1030ELNS1_3gpuE2ELNS1_3repE0EEENS1_30default_config_static_selectorELNS0_4arch9wavefront6targetE1EEEvT1_ ; -- Begin function _ZN7rocprim17ROCPRIM_400000_NS6detail17trampoline_kernelINS0_14default_configENS1_25partition_config_selectorILNS1_17partition_subalgoE3EiNS0_10empty_typeEbEEZZNS1_14partition_implILS5_3ELb0ES3_jN6thrust23THRUST_200600_302600_NS6detail15normal_iteratorINSA_7pointerIiNSA_11hip_rocprim5par_tENSA_11use_defaultESG_EEEEPS6_SJ_NS0_5tupleIJPiSJ_EEENSK_IJSJ_SJ_EEES6_PlJ7is_evenIiEEEE10hipError_tPvRmT3_T4_T5_T6_T7_T9_mT8_P12ihipStream_tbDpT10_ENKUlT_T0_E_clISt17integral_constantIbLb1EES1A_EEDaS15_S16_EUlS15_E_NS1_11comp_targetILNS1_3genE8ELNS1_11target_archE1030ELNS1_3gpuE2ELNS1_3repE0EEENS1_30default_config_static_selectorELNS0_4arch9wavefront6targetE1EEEvT1_
	.globl	_ZN7rocprim17ROCPRIM_400000_NS6detail17trampoline_kernelINS0_14default_configENS1_25partition_config_selectorILNS1_17partition_subalgoE3EiNS0_10empty_typeEbEEZZNS1_14partition_implILS5_3ELb0ES3_jN6thrust23THRUST_200600_302600_NS6detail15normal_iteratorINSA_7pointerIiNSA_11hip_rocprim5par_tENSA_11use_defaultESG_EEEEPS6_SJ_NS0_5tupleIJPiSJ_EEENSK_IJSJ_SJ_EEES6_PlJ7is_evenIiEEEE10hipError_tPvRmT3_T4_T5_T6_T7_T9_mT8_P12ihipStream_tbDpT10_ENKUlT_T0_E_clISt17integral_constantIbLb1EES1A_EEDaS15_S16_EUlS15_E_NS1_11comp_targetILNS1_3genE8ELNS1_11target_archE1030ELNS1_3gpuE2ELNS1_3repE0EEENS1_30default_config_static_selectorELNS0_4arch9wavefront6targetE1EEEvT1_
	.p2align	8
	.type	_ZN7rocprim17ROCPRIM_400000_NS6detail17trampoline_kernelINS0_14default_configENS1_25partition_config_selectorILNS1_17partition_subalgoE3EiNS0_10empty_typeEbEEZZNS1_14partition_implILS5_3ELb0ES3_jN6thrust23THRUST_200600_302600_NS6detail15normal_iteratorINSA_7pointerIiNSA_11hip_rocprim5par_tENSA_11use_defaultESG_EEEEPS6_SJ_NS0_5tupleIJPiSJ_EEENSK_IJSJ_SJ_EEES6_PlJ7is_evenIiEEEE10hipError_tPvRmT3_T4_T5_T6_T7_T9_mT8_P12ihipStream_tbDpT10_ENKUlT_T0_E_clISt17integral_constantIbLb1EES1A_EEDaS15_S16_EUlS15_E_NS1_11comp_targetILNS1_3genE8ELNS1_11target_archE1030ELNS1_3gpuE2ELNS1_3repE0EEENS1_30default_config_static_selectorELNS0_4arch9wavefront6targetE1EEEvT1_,@function
_ZN7rocprim17ROCPRIM_400000_NS6detail17trampoline_kernelINS0_14default_configENS1_25partition_config_selectorILNS1_17partition_subalgoE3EiNS0_10empty_typeEbEEZZNS1_14partition_implILS5_3ELb0ES3_jN6thrust23THRUST_200600_302600_NS6detail15normal_iteratorINSA_7pointerIiNSA_11hip_rocprim5par_tENSA_11use_defaultESG_EEEEPS6_SJ_NS0_5tupleIJPiSJ_EEENSK_IJSJ_SJ_EEES6_PlJ7is_evenIiEEEE10hipError_tPvRmT3_T4_T5_T6_T7_T9_mT8_P12ihipStream_tbDpT10_ENKUlT_T0_E_clISt17integral_constantIbLb1EES1A_EEDaS15_S16_EUlS15_E_NS1_11comp_targetILNS1_3genE8ELNS1_11target_archE1030ELNS1_3gpuE2ELNS1_3repE0EEENS1_30default_config_static_selectorELNS0_4arch9wavefront6targetE1EEEvT1_: ; @_ZN7rocprim17ROCPRIM_400000_NS6detail17trampoline_kernelINS0_14default_configENS1_25partition_config_selectorILNS1_17partition_subalgoE3EiNS0_10empty_typeEbEEZZNS1_14partition_implILS5_3ELb0ES3_jN6thrust23THRUST_200600_302600_NS6detail15normal_iteratorINSA_7pointerIiNSA_11hip_rocprim5par_tENSA_11use_defaultESG_EEEEPS6_SJ_NS0_5tupleIJPiSJ_EEENSK_IJSJ_SJ_EEES6_PlJ7is_evenIiEEEE10hipError_tPvRmT3_T4_T5_T6_T7_T9_mT8_P12ihipStream_tbDpT10_ENKUlT_T0_E_clISt17integral_constantIbLb1EES1A_EEDaS15_S16_EUlS15_E_NS1_11comp_targetILNS1_3genE8ELNS1_11target_archE1030ELNS1_3gpuE2ELNS1_3repE0EEENS1_30default_config_static_selectorELNS0_4arch9wavefront6targetE1EEEvT1_
; %bb.0:
	.section	.rodata,"a",@progbits
	.p2align	6, 0x0
	.amdhsa_kernel _ZN7rocprim17ROCPRIM_400000_NS6detail17trampoline_kernelINS0_14default_configENS1_25partition_config_selectorILNS1_17partition_subalgoE3EiNS0_10empty_typeEbEEZZNS1_14partition_implILS5_3ELb0ES3_jN6thrust23THRUST_200600_302600_NS6detail15normal_iteratorINSA_7pointerIiNSA_11hip_rocprim5par_tENSA_11use_defaultESG_EEEEPS6_SJ_NS0_5tupleIJPiSJ_EEENSK_IJSJ_SJ_EEES6_PlJ7is_evenIiEEEE10hipError_tPvRmT3_T4_T5_T6_T7_T9_mT8_P12ihipStream_tbDpT10_ENKUlT_T0_E_clISt17integral_constantIbLb1EES1A_EEDaS15_S16_EUlS15_E_NS1_11comp_targetILNS1_3genE8ELNS1_11target_archE1030ELNS1_3gpuE2ELNS1_3repE0EEENS1_30default_config_static_selectorELNS0_4arch9wavefront6targetE1EEEvT1_
		.amdhsa_group_segment_fixed_size 0
		.amdhsa_private_segment_fixed_size 0
		.amdhsa_kernarg_size 136
		.amdhsa_user_sgpr_count 2
		.amdhsa_user_sgpr_dispatch_ptr 0
		.amdhsa_user_sgpr_queue_ptr 0
		.amdhsa_user_sgpr_kernarg_segment_ptr 1
		.amdhsa_user_sgpr_dispatch_id 0
		.amdhsa_user_sgpr_kernarg_preload_length 0
		.amdhsa_user_sgpr_kernarg_preload_offset 0
		.amdhsa_user_sgpr_private_segment_size 0
		.amdhsa_uses_dynamic_stack 0
		.amdhsa_enable_private_segment 0
		.amdhsa_system_sgpr_workgroup_id_x 1
		.amdhsa_system_sgpr_workgroup_id_y 0
		.amdhsa_system_sgpr_workgroup_id_z 0
		.amdhsa_system_sgpr_workgroup_info 0
		.amdhsa_system_vgpr_workitem_id 0
		.amdhsa_next_free_vgpr 1
		.amdhsa_next_free_sgpr 0
		.amdhsa_accum_offset 4
		.amdhsa_reserve_vcc 0
		.amdhsa_float_round_mode_32 0
		.amdhsa_float_round_mode_16_64 0
		.amdhsa_float_denorm_mode_32 3
		.amdhsa_float_denorm_mode_16_64 3
		.amdhsa_dx10_clamp 1
		.amdhsa_ieee_mode 1
		.amdhsa_fp16_overflow 0
		.amdhsa_tg_split 0
		.amdhsa_exception_fp_ieee_invalid_op 0
		.amdhsa_exception_fp_denorm_src 0
		.amdhsa_exception_fp_ieee_div_zero 0
		.amdhsa_exception_fp_ieee_overflow 0
		.amdhsa_exception_fp_ieee_underflow 0
		.amdhsa_exception_fp_ieee_inexact 0
		.amdhsa_exception_int_div_zero 0
	.end_amdhsa_kernel
	.section	.text._ZN7rocprim17ROCPRIM_400000_NS6detail17trampoline_kernelINS0_14default_configENS1_25partition_config_selectorILNS1_17partition_subalgoE3EiNS0_10empty_typeEbEEZZNS1_14partition_implILS5_3ELb0ES3_jN6thrust23THRUST_200600_302600_NS6detail15normal_iteratorINSA_7pointerIiNSA_11hip_rocprim5par_tENSA_11use_defaultESG_EEEEPS6_SJ_NS0_5tupleIJPiSJ_EEENSK_IJSJ_SJ_EEES6_PlJ7is_evenIiEEEE10hipError_tPvRmT3_T4_T5_T6_T7_T9_mT8_P12ihipStream_tbDpT10_ENKUlT_T0_E_clISt17integral_constantIbLb1EES1A_EEDaS15_S16_EUlS15_E_NS1_11comp_targetILNS1_3genE8ELNS1_11target_archE1030ELNS1_3gpuE2ELNS1_3repE0EEENS1_30default_config_static_selectorELNS0_4arch9wavefront6targetE1EEEvT1_,"axG",@progbits,_ZN7rocprim17ROCPRIM_400000_NS6detail17trampoline_kernelINS0_14default_configENS1_25partition_config_selectorILNS1_17partition_subalgoE3EiNS0_10empty_typeEbEEZZNS1_14partition_implILS5_3ELb0ES3_jN6thrust23THRUST_200600_302600_NS6detail15normal_iteratorINSA_7pointerIiNSA_11hip_rocprim5par_tENSA_11use_defaultESG_EEEEPS6_SJ_NS0_5tupleIJPiSJ_EEENSK_IJSJ_SJ_EEES6_PlJ7is_evenIiEEEE10hipError_tPvRmT3_T4_T5_T6_T7_T9_mT8_P12ihipStream_tbDpT10_ENKUlT_T0_E_clISt17integral_constantIbLb1EES1A_EEDaS15_S16_EUlS15_E_NS1_11comp_targetILNS1_3genE8ELNS1_11target_archE1030ELNS1_3gpuE2ELNS1_3repE0EEENS1_30default_config_static_selectorELNS0_4arch9wavefront6targetE1EEEvT1_,comdat
.Lfunc_end3677:
	.size	_ZN7rocprim17ROCPRIM_400000_NS6detail17trampoline_kernelINS0_14default_configENS1_25partition_config_selectorILNS1_17partition_subalgoE3EiNS0_10empty_typeEbEEZZNS1_14partition_implILS5_3ELb0ES3_jN6thrust23THRUST_200600_302600_NS6detail15normal_iteratorINSA_7pointerIiNSA_11hip_rocprim5par_tENSA_11use_defaultESG_EEEEPS6_SJ_NS0_5tupleIJPiSJ_EEENSK_IJSJ_SJ_EEES6_PlJ7is_evenIiEEEE10hipError_tPvRmT3_T4_T5_T6_T7_T9_mT8_P12ihipStream_tbDpT10_ENKUlT_T0_E_clISt17integral_constantIbLb1EES1A_EEDaS15_S16_EUlS15_E_NS1_11comp_targetILNS1_3genE8ELNS1_11target_archE1030ELNS1_3gpuE2ELNS1_3repE0EEENS1_30default_config_static_selectorELNS0_4arch9wavefront6targetE1EEEvT1_, .Lfunc_end3677-_ZN7rocprim17ROCPRIM_400000_NS6detail17trampoline_kernelINS0_14default_configENS1_25partition_config_selectorILNS1_17partition_subalgoE3EiNS0_10empty_typeEbEEZZNS1_14partition_implILS5_3ELb0ES3_jN6thrust23THRUST_200600_302600_NS6detail15normal_iteratorINSA_7pointerIiNSA_11hip_rocprim5par_tENSA_11use_defaultESG_EEEEPS6_SJ_NS0_5tupleIJPiSJ_EEENSK_IJSJ_SJ_EEES6_PlJ7is_evenIiEEEE10hipError_tPvRmT3_T4_T5_T6_T7_T9_mT8_P12ihipStream_tbDpT10_ENKUlT_T0_E_clISt17integral_constantIbLb1EES1A_EEDaS15_S16_EUlS15_E_NS1_11comp_targetILNS1_3genE8ELNS1_11target_archE1030ELNS1_3gpuE2ELNS1_3repE0EEENS1_30default_config_static_selectorELNS0_4arch9wavefront6targetE1EEEvT1_
                                        ; -- End function
	.section	.AMDGPU.csdata,"",@progbits
; Kernel info:
; codeLenInByte = 0
; NumSgprs: 6
; NumVgprs: 0
; NumAgprs: 0
; TotalNumVgprs: 0
; ScratchSize: 0
; MemoryBound: 0
; FloatMode: 240
; IeeeMode: 1
; LDSByteSize: 0 bytes/workgroup (compile time only)
; SGPRBlocks: 0
; VGPRBlocks: 0
; NumSGPRsForWavesPerEU: 6
; NumVGPRsForWavesPerEU: 1
; AccumOffset: 4
; Occupancy: 8
; WaveLimiterHint : 0
; COMPUTE_PGM_RSRC2:SCRATCH_EN: 0
; COMPUTE_PGM_RSRC2:USER_SGPR: 2
; COMPUTE_PGM_RSRC2:TRAP_HANDLER: 0
; COMPUTE_PGM_RSRC2:TGID_X_EN: 1
; COMPUTE_PGM_RSRC2:TGID_Y_EN: 0
; COMPUTE_PGM_RSRC2:TGID_Z_EN: 0
; COMPUTE_PGM_RSRC2:TIDIG_COMP_CNT: 0
; COMPUTE_PGM_RSRC3_GFX90A:ACCUM_OFFSET: 0
; COMPUTE_PGM_RSRC3_GFX90A:TG_SPLIT: 0
	.section	.text._ZN7rocprim17ROCPRIM_400000_NS6detail17trampoline_kernelINS0_14default_configENS1_25partition_config_selectorILNS1_17partition_subalgoE3EiNS0_10empty_typeEbEEZZNS1_14partition_implILS5_3ELb0ES3_jN6thrust23THRUST_200600_302600_NS6detail15normal_iteratorINSA_7pointerIiNSA_11hip_rocprim5par_tENSA_11use_defaultESG_EEEEPS6_SJ_NS0_5tupleIJPiSJ_EEENSK_IJSJ_SJ_EEES6_PlJ7is_evenIiEEEE10hipError_tPvRmT3_T4_T5_T6_T7_T9_mT8_P12ihipStream_tbDpT10_ENKUlT_T0_E_clISt17integral_constantIbLb1EES19_IbLb0EEEEDaS15_S16_EUlS15_E_NS1_11comp_targetILNS1_3genE0ELNS1_11target_archE4294967295ELNS1_3gpuE0ELNS1_3repE0EEENS1_30default_config_static_selectorELNS0_4arch9wavefront6targetE1EEEvT1_,"axG",@progbits,_ZN7rocprim17ROCPRIM_400000_NS6detail17trampoline_kernelINS0_14default_configENS1_25partition_config_selectorILNS1_17partition_subalgoE3EiNS0_10empty_typeEbEEZZNS1_14partition_implILS5_3ELb0ES3_jN6thrust23THRUST_200600_302600_NS6detail15normal_iteratorINSA_7pointerIiNSA_11hip_rocprim5par_tENSA_11use_defaultESG_EEEEPS6_SJ_NS0_5tupleIJPiSJ_EEENSK_IJSJ_SJ_EEES6_PlJ7is_evenIiEEEE10hipError_tPvRmT3_T4_T5_T6_T7_T9_mT8_P12ihipStream_tbDpT10_ENKUlT_T0_E_clISt17integral_constantIbLb1EES19_IbLb0EEEEDaS15_S16_EUlS15_E_NS1_11comp_targetILNS1_3genE0ELNS1_11target_archE4294967295ELNS1_3gpuE0ELNS1_3repE0EEENS1_30default_config_static_selectorELNS0_4arch9wavefront6targetE1EEEvT1_,comdat
	.protected	_ZN7rocprim17ROCPRIM_400000_NS6detail17trampoline_kernelINS0_14default_configENS1_25partition_config_selectorILNS1_17partition_subalgoE3EiNS0_10empty_typeEbEEZZNS1_14partition_implILS5_3ELb0ES3_jN6thrust23THRUST_200600_302600_NS6detail15normal_iteratorINSA_7pointerIiNSA_11hip_rocprim5par_tENSA_11use_defaultESG_EEEEPS6_SJ_NS0_5tupleIJPiSJ_EEENSK_IJSJ_SJ_EEES6_PlJ7is_evenIiEEEE10hipError_tPvRmT3_T4_T5_T6_T7_T9_mT8_P12ihipStream_tbDpT10_ENKUlT_T0_E_clISt17integral_constantIbLb1EES19_IbLb0EEEEDaS15_S16_EUlS15_E_NS1_11comp_targetILNS1_3genE0ELNS1_11target_archE4294967295ELNS1_3gpuE0ELNS1_3repE0EEENS1_30default_config_static_selectorELNS0_4arch9wavefront6targetE1EEEvT1_ ; -- Begin function _ZN7rocprim17ROCPRIM_400000_NS6detail17trampoline_kernelINS0_14default_configENS1_25partition_config_selectorILNS1_17partition_subalgoE3EiNS0_10empty_typeEbEEZZNS1_14partition_implILS5_3ELb0ES3_jN6thrust23THRUST_200600_302600_NS6detail15normal_iteratorINSA_7pointerIiNSA_11hip_rocprim5par_tENSA_11use_defaultESG_EEEEPS6_SJ_NS0_5tupleIJPiSJ_EEENSK_IJSJ_SJ_EEES6_PlJ7is_evenIiEEEE10hipError_tPvRmT3_T4_T5_T6_T7_T9_mT8_P12ihipStream_tbDpT10_ENKUlT_T0_E_clISt17integral_constantIbLb1EES19_IbLb0EEEEDaS15_S16_EUlS15_E_NS1_11comp_targetILNS1_3genE0ELNS1_11target_archE4294967295ELNS1_3gpuE0ELNS1_3repE0EEENS1_30default_config_static_selectorELNS0_4arch9wavefront6targetE1EEEvT1_
	.globl	_ZN7rocprim17ROCPRIM_400000_NS6detail17trampoline_kernelINS0_14default_configENS1_25partition_config_selectorILNS1_17partition_subalgoE3EiNS0_10empty_typeEbEEZZNS1_14partition_implILS5_3ELb0ES3_jN6thrust23THRUST_200600_302600_NS6detail15normal_iteratorINSA_7pointerIiNSA_11hip_rocprim5par_tENSA_11use_defaultESG_EEEEPS6_SJ_NS0_5tupleIJPiSJ_EEENSK_IJSJ_SJ_EEES6_PlJ7is_evenIiEEEE10hipError_tPvRmT3_T4_T5_T6_T7_T9_mT8_P12ihipStream_tbDpT10_ENKUlT_T0_E_clISt17integral_constantIbLb1EES19_IbLb0EEEEDaS15_S16_EUlS15_E_NS1_11comp_targetILNS1_3genE0ELNS1_11target_archE4294967295ELNS1_3gpuE0ELNS1_3repE0EEENS1_30default_config_static_selectorELNS0_4arch9wavefront6targetE1EEEvT1_
	.p2align	8
	.type	_ZN7rocprim17ROCPRIM_400000_NS6detail17trampoline_kernelINS0_14default_configENS1_25partition_config_selectorILNS1_17partition_subalgoE3EiNS0_10empty_typeEbEEZZNS1_14partition_implILS5_3ELb0ES3_jN6thrust23THRUST_200600_302600_NS6detail15normal_iteratorINSA_7pointerIiNSA_11hip_rocprim5par_tENSA_11use_defaultESG_EEEEPS6_SJ_NS0_5tupleIJPiSJ_EEENSK_IJSJ_SJ_EEES6_PlJ7is_evenIiEEEE10hipError_tPvRmT3_T4_T5_T6_T7_T9_mT8_P12ihipStream_tbDpT10_ENKUlT_T0_E_clISt17integral_constantIbLb1EES19_IbLb0EEEEDaS15_S16_EUlS15_E_NS1_11comp_targetILNS1_3genE0ELNS1_11target_archE4294967295ELNS1_3gpuE0ELNS1_3repE0EEENS1_30default_config_static_selectorELNS0_4arch9wavefront6targetE1EEEvT1_,@function
_ZN7rocprim17ROCPRIM_400000_NS6detail17trampoline_kernelINS0_14default_configENS1_25partition_config_selectorILNS1_17partition_subalgoE3EiNS0_10empty_typeEbEEZZNS1_14partition_implILS5_3ELb0ES3_jN6thrust23THRUST_200600_302600_NS6detail15normal_iteratorINSA_7pointerIiNSA_11hip_rocprim5par_tENSA_11use_defaultESG_EEEEPS6_SJ_NS0_5tupleIJPiSJ_EEENSK_IJSJ_SJ_EEES6_PlJ7is_evenIiEEEE10hipError_tPvRmT3_T4_T5_T6_T7_T9_mT8_P12ihipStream_tbDpT10_ENKUlT_T0_E_clISt17integral_constantIbLb1EES19_IbLb0EEEEDaS15_S16_EUlS15_E_NS1_11comp_targetILNS1_3genE0ELNS1_11target_archE4294967295ELNS1_3gpuE0ELNS1_3repE0EEENS1_30default_config_static_selectorELNS0_4arch9wavefront6targetE1EEEvT1_: ; @_ZN7rocprim17ROCPRIM_400000_NS6detail17trampoline_kernelINS0_14default_configENS1_25partition_config_selectorILNS1_17partition_subalgoE3EiNS0_10empty_typeEbEEZZNS1_14partition_implILS5_3ELb0ES3_jN6thrust23THRUST_200600_302600_NS6detail15normal_iteratorINSA_7pointerIiNSA_11hip_rocprim5par_tENSA_11use_defaultESG_EEEEPS6_SJ_NS0_5tupleIJPiSJ_EEENSK_IJSJ_SJ_EEES6_PlJ7is_evenIiEEEE10hipError_tPvRmT3_T4_T5_T6_T7_T9_mT8_P12ihipStream_tbDpT10_ENKUlT_T0_E_clISt17integral_constantIbLb1EES19_IbLb0EEEEDaS15_S16_EUlS15_E_NS1_11comp_targetILNS1_3genE0ELNS1_11target_archE4294967295ELNS1_3gpuE0ELNS1_3repE0EEENS1_30default_config_static_selectorELNS0_4arch9wavefront6targetE1EEEvT1_
; %bb.0:
	.section	.rodata,"a",@progbits
	.p2align	6, 0x0
	.amdhsa_kernel _ZN7rocprim17ROCPRIM_400000_NS6detail17trampoline_kernelINS0_14default_configENS1_25partition_config_selectorILNS1_17partition_subalgoE3EiNS0_10empty_typeEbEEZZNS1_14partition_implILS5_3ELb0ES3_jN6thrust23THRUST_200600_302600_NS6detail15normal_iteratorINSA_7pointerIiNSA_11hip_rocprim5par_tENSA_11use_defaultESG_EEEEPS6_SJ_NS0_5tupleIJPiSJ_EEENSK_IJSJ_SJ_EEES6_PlJ7is_evenIiEEEE10hipError_tPvRmT3_T4_T5_T6_T7_T9_mT8_P12ihipStream_tbDpT10_ENKUlT_T0_E_clISt17integral_constantIbLb1EES19_IbLb0EEEEDaS15_S16_EUlS15_E_NS1_11comp_targetILNS1_3genE0ELNS1_11target_archE4294967295ELNS1_3gpuE0ELNS1_3repE0EEENS1_30default_config_static_selectorELNS0_4arch9wavefront6targetE1EEEvT1_
		.amdhsa_group_segment_fixed_size 0
		.amdhsa_private_segment_fixed_size 0
		.amdhsa_kernarg_size 120
		.amdhsa_user_sgpr_count 2
		.amdhsa_user_sgpr_dispatch_ptr 0
		.amdhsa_user_sgpr_queue_ptr 0
		.amdhsa_user_sgpr_kernarg_segment_ptr 1
		.amdhsa_user_sgpr_dispatch_id 0
		.amdhsa_user_sgpr_kernarg_preload_length 0
		.amdhsa_user_sgpr_kernarg_preload_offset 0
		.amdhsa_user_sgpr_private_segment_size 0
		.amdhsa_uses_dynamic_stack 0
		.amdhsa_enable_private_segment 0
		.amdhsa_system_sgpr_workgroup_id_x 1
		.amdhsa_system_sgpr_workgroup_id_y 0
		.amdhsa_system_sgpr_workgroup_id_z 0
		.amdhsa_system_sgpr_workgroup_info 0
		.amdhsa_system_vgpr_workitem_id 0
		.amdhsa_next_free_vgpr 1
		.amdhsa_next_free_sgpr 0
		.amdhsa_accum_offset 4
		.amdhsa_reserve_vcc 0
		.amdhsa_float_round_mode_32 0
		.amdhsa_float_round_mode_16_64 0
		.amdhsa_float_denorm_mode_32 3
		.amdhsa_float_denorm_mode_16_64 3
		.amdhsa_dx10_clamp 1
		.amdhsa_ieee_mode 1
		.amdhsa_fp16_overflow 0
		.amdhsa_tg_split 0
		.amdhsa_exception_fp_ieee_invalid_op 0
		.amdhsa_exception_fp_denorm_src 0
		.amdhsa_exception_fp_ieee_div_zero 0
		.amdhsa_exception_fp_ieee_overflow 0
		.amdhsa_exception_fp_ieee_underflow 0
		.amdhsa_exception_fp_ieee_inexact 0
		.amdhsa_exception_int_div_zero 0
	.end_amdhsa_kernel
	.section	.text._ZN7rocprim17ROCPRIM_400000_NS6detail17trampoline_kernelINS0_14default_configENS1_25partition_config_selectorILNS1_17partition_subalgoE3EiNS0_10empty_typeEbEEZZNS1_14partition_implILS5_3ELb0ES3_jN6thrust23THRUST_200600_302600_NS6detail15normal_iteratorINSA_7pointerIiNSA_11hip_rocprim5par_tENSA_11use_defaultESG_EEEEPS6_SJ_NS0_5tupleIJPiSJ_EEENSK_IJSJ_SJ_EEES6_PlJ7is_evenIiEEEE10hipError_tPvRmT3_T4_T5_T6_T7_T9_mT8_P12ihipStream_tbDpT10_ENKUlT_T0_E_clISt17integral_constantIbLb1EES19_IbLb0EEEEDaS15_S16_EUlS15_E_NS1_11comp_targetILNS1_3genE0ELNS1_11target_archE4294967295ELNS1_3gpuE0ELNS1_3repE0EEENS1_30default_config_static_selectorELNS0_4arch9wavefront6targetE1EEEvT1_,"axG",@progbits,_ZN7rocprim17ROCPRIM_400000_NS6detail17trampoline_kernelINS0_14default_configENS1_25partition_config_selectorILNS1_17partition_subalgoE3EiNS0_10empty_typeEbEEZZNS1_14partition_implILS5_3ELb0ES3_jN6thrust23THRUST_200600_302600_NS6detail15normal_iteratorINSA_7pointerIiNSA_11hip_rocprim5par_tENSA_11use_defaultESG_EEEEPS6_SJ_NS0_5tupleIJPiSJ_EEENSK_IJSJ_SJ_EEES6_PlJ7is_evenIiEEEE10hipError_tPvRmT3_T4_T5_T6_T7_T9_mT8_P12ihipStream_tbDpT10_ENKUlT_T0_E_clISt17integral_constantIbLb1EES19_IbLb0EEEEDaS15_S16_EUlS15_E_NS1_11comp_targetILNS1_3genE0ELNS1_11target_archE4294967295ELNS1_3gpuE0ELNS1_3repE0EEENS1_30default_config_static_selectorELNS0_4arch9wavefront6targetE1EEEvT1_,comdat
.Lfunc_end3678:
	.size	_ZN7rocprim17ROCPRIM_400000_NS6detail17trampoline_kernelINS0_14default_configENS1_25partition_config_selectorILNS1_17partition_subalgoE3EiNS0_10empty_typeEbEEZZNS1_14partition_implILS5_3ELb0ES3_jN6thrust23THRUST_200600_302600_NS6detail15normal_iteratorINSA_7pointerIiNSA_11hip_rocprim5par_tENSA_11use_defaultESG_EEEEPS6_SJ_NS0_5tupleIJPiSJ_EEENSK_IJSJ_SJ_EEES6_PlJ7is_evenIiEEEE10hipError_tPvRmT3_T4_T5_T6_T7_T9_mT8_P12ihipStream_tbDpT10_ENKUlT_T0_E_clISt17integral_constantIbLb1EES19_IbLb0EEEEDaS15_S16_EUlS15_E_NS1_11comp_targetILNS1_3genE0ELNS1_11target_archE4294967295ELNS1_3gpuE0ELNS1_3repE0EEENS1_30default_config_static_selectorELNS0_4arch9wavefront6targetE1EEEvT1_, .Lfunc_end3678-_ZN7rocprim17ROCPRIM_400000_NS6detail17trampoline_kernelINS0_14default_configENS1_25partition_config_selectorILNS1_17partition_subalgoE3EiNS0_10empty_typeEbEEZZNS1_14partition_implILS5_3ELb0ES3_jN6thrust23THRUST_200600_302600_NS6detail15normal_iteratorINSA_7pointerIiNSA_11hip_rocprim5par_tENSA_11use_defaultESG_EEEEPS6_SJ_NS0_5tupleIJPiSJ_EEENSK_IJSJ_SJ_EEES6_PlJ7is_evenIiEEEE10hipError_tPvRmT3_T4_T5_T6_T7_T9_mT8_P12ihipStream_tbDpT10_ENKUlT_T0_E_clISt17integral_constantIbLb1EES19_IbLb0EEEEDaS15_S16_EUlS15_E_NS1_11comp_targetILNS1_3genE0ELNS1_11target_archE4294967295ELNS1_3gpuE0ELNS1_3repE0EEENS1_30default_config_static_selectorELNS0_4arch9wavefront6targetE1EEEvT1_
                                        ; -- End function
	.section	.AMDGPU.csdata,"",@progbits
; Kernel info:
; codeLenInByte = 0
; NumSgprs: 6
; NumVgprs: 0
; NumAgprs: 0
; TotalNumVgprs: 0
; ScratchSize: 0
; MemoryBound: 0
; FloatMode: 240
; IeeeMode: 1
; LDSByteSize: 0 bytes/workgroup (compile time only)
; SGPRBlocks: 0
; VGPRBlocks: 0
; NumSGPRsForWavesPerEU: 6
; NumVGPRsForWavesPerEU: 1
; AccumOffset: 4
; Occupancy: 8
; WaveLimiterHint : 0
; COMPUTE_PGM_RSRC2:SCRATCH_EN: 0
; COMPUTE_PGM_RSRC2:USER_SGPR: 2
; COMPUTE_PGM_RSRC2:TRAP_HANDLER: 0
; COMPUTE_PGM_RSRC2:TGID_X_EN: 1
; COMPUTE_PGM_RSRC2:TGID_Y_EN: 0
; COMPUTE_PGM_RSRC2:TGID_Z_EN: 0
; COMPUTE_PGM_RSRC2:TIDIG_COMP_CNT: 0
; COMPUTE_PGM_RSRC3_GFX90A:ACCUM_OFFSET: 0
; COMPUTE_PGM_RSRC3_GFX90A:TG_SPLIT: 0
	.section	.text._ZN7rocprim17ROCPRIM_400000_NS6detail17trampoline_kernelINS0_14default_configENS1_25partition_config_selectorILNS1_17partition_subalgoE3EiNS0_10empty_typeEbEEZZNS1_14partition_implILS5_3ELb0ES3_jN6thrust23THRUST_200600_302600_NS6detail15normal_iteratorINSA_7pointerIiNSA_11hip_rocprim5par_tENSA_11use_defaultESG_EEEEPS6_SJ_NS0_5tupleIJPiSJ_EEENSK_IJSJ_SJ_EEES6_PlJ7is_evenIiEEEE10hipError_tPvRmT3_T4_T5_T6_T7_T9_mT8_P12ihipStream_tbDpT10_ENKUlT_T0_E_clISt17integral_constantIbLb1EES19_IbLb0EEEEDaS15_S16_EUlS15_E_NS1_11comp_targetILNS1_3genE5ELNS1_11target_archE942ELNS1_3gpuE9ELNS1_3repE0EEENS1_30default_config_static_selectorELNS0_4arch9wavefront6targetE1EEEvT1_,"axG",@progbits,_ZN7rocprim17ROCPRIM_400000_NS6detail17trampoline_kernelINS0_14default_configENS1_25partition_config_selectorILNS1_17partition_subalgoE3EiNS0_10empty_typeEbEEZZNS1_14partition_implILS5_3ELb0ES3_jN6thrust23THRUST_200600_302600_NS6detail15normal_iteratorINSA_7pointerIiNSA_11hip_rocprim5par_tENSA_11use_defaultESG_EEEEPS6_SJ_NS0_5tupleIJPiSJ_EEENSK_IJSJ_SJ_EEES6_PlJ7is_evenIiEEEE10hipError_tPvRmT3_T4_T5_T6_T7_T9_mT8_P12ihipStream_tbDpT10_ENKUlT_T0_E_clISt17integral_constantIbLb1EES19_IbLb0EEEEDaS15_S16_EUlS15_E_NS1_11comp_targetILNS1_3genE5ELNS1_11target_archE942ELNS1_3gpuE9ELNS1_3repE0EEENS1_30default_config_static_selectorELNS0_4arch9wavefront6targetE1EEEvT1_,comdat
	.protected	_ZN7rocprim17ROCPRIM_400000_NS6detail17trampoline_kernelINS0_14default_configENS1_25partition_config_selectorILNS1_17partition_subalgoE3EiNS0_10empty_typeEbEEZZNS1_14partition_implILS5_3ELb0ES3_jN6thrust23THRUST_200600_302600_NS6detail15normal_iteratorINSA_7pointerIiNSA_11hip_rocprim5par_tENSA_11use_defaultESG_EEEEPS6_SJ_NS0_5tupleIJPiSJ_EEENSK_IJSJ_SJ_EEES6_PlJ7is_evenIiEEEE10hipError_tPvRmT3_T4_T5_T6_T7_T9_mT8_P12ihipStream_tbDpT10_ENKUlT_T0_E_clISt17integral_constantIbLb1EES19_IbLb0EEEEDaS15_S16_EUlS15_E_NS1_11comp_targetILNS1_3genE5ELNS1_11target_archE942ELNS1_3gpuE9ELNS1_3repE0EEENS1_30default_config_static_selectorELNS0_4arch9wavefront6targetE1EEEvT1_ ; -- Begin function _ZN7rocprim17ROCPRIM_400000_NS6detail17trampoline_kernelINS0_14default_configENS1_25partition_config_selectorILNS1_17partition_subalgoE3EiNS0_10empty_typeEbEEZZNS1_14partition_implILS5_3ELb0ES3_jN6thrust23THRUST_200600_302600_NS6detail15normal_iteratorINSA_7pointerIiNSA_11hip_rocprim5par_tENSA_11use_defaultESG_EEEEPS6_SJ_NS0_5tupleIJPiSJ_EEENSK_IJSJ_SJ_EEES6_PlJ7is_evenIiEEEE10hipError_tPvRmT3_T4_T5_T6_T7_T9_mT8_P12ihipStream_tbDpT10_ENKUlT_T0_E_clISt17integral_constantIbLb1EES19_IbLb0EEEEDaS15_S16_EUlS15_E_NS1_11comp_targetILNS1_3genE5ELNS1_11target_archE942ELNS1_3gpuE9ELNS1_3repE0EEENS1_30default_config_static_selectorELNS0_4arch9wavefront6targetE1EEEvT1_
	.globl	_ZN7rocprim17ROCPRIM_400000_NS6detail17trampoline_kernelINS0_14default_configENS1_25partition_config_selectorILNS1_17partition_subalgoE3EiNS0_10empty_typeEbEEZZNS1_14partition_implILS5_3ELb0ES3_jN6thrust23THRUST_200600_302600_NS6detail15normal_iteratorINSA_7pointerIiNSA_11hip_rocprim5par_tENSA_11use_defaultESG_EEEEPS6_SJ_NS0_5tupleIJPiSJ_EEENSK_IJSJ_SJ_EEES6_PlJ7is_evenIiEEEE10hipError_tPvRmT3_T4_T5_T6_T7_T9_mT8_P12ihipStream_tbDpT10_ENKUlT_T0_E_clISt17integral_constantIbLb1EES19_IbLb0EEEEDaS15_S16_EUlS15_E_NS1_11comp_targetILNS1_3genE5ELNS1_11target_archE942ELNS1_3gpuE9ELNS1_3repE0EEENS1_30default_config_static_selectorELNS0_4arch9wavefront6targetE1EEEvT1_
	.p2align	8
	.type	_ZN7rocprim17ROCPRIM_400000_NS6detail17trampoline_kernelINS0_14default_configENS1_25partition_config_selectorILNS1_17partition_subalgoE3EiNS0_10empty_typeEbEEZZNS1_14partition_implILS5_3ELb0ES3_jN6thrust23THRUST_200600_302600_NS6detail15normal_iteratorINSA_7pointerIiNSA_11hip_rocprim5par_tENSA_11use_defaultESG_EEEEPS6_SJ_NS0_5tupleIJPiSJ_EEENSK_IJSJ_SJ_EEES6_PlJ7is_evenIiEEEE10hipError_tPvRmT3_T4_T5_T6_T7_T9_mT8_P12ihipStream_tbDpT10_ENKUlT_T0_E_clISt17integral_constantIbLb1EES19_IbLb0EEEEDaS15_S16_EUlS15_E_NS1_11comp_targetILNS1_3genE5ELNS1_11target_archE942ELNS1_3gpuE9ELNS1_3repE0EEENS1_30default_config_static_selectorELNS0_4arch9wavefront6targetE1EEEvT1_,@function
_ZN7rocprim17ROCPRIM_400000_NS6detail17trampoline_kernelINS0_14default_configENS1_25partition_config_selectorILNS1_17partition_subalgoE3EiNS0_10empty_typeEbEEZZNS1_14partition_implILS5_3ELb0ES3_jN6thrust23THRUST_200600_302600_NS6detail15normal_iteratorINSA_7pointerIiNSA_11hip_rocprim5par_tENSA_11use_defaultESG_EEEEPS6_SJ_NS0_5tupleIJPiSJ_EEENSK_IJSJ_SJ_EEES6_PlJ7is_evenIiEEEE10hipError_tPvRmT3_T4_T5_T6_T7_T9_mT8_P12ihipStream_tbDpT10_ENKUlT_T0_E_clISt17integral_constantIbLb1EES19_IbLb0EEEEDaS15_S16_EUlS15_E_NS1_11comp_targetILNS1_3genE5ELNS1_11target_archE942ELNS1_3gpuE9ELNS1_3repE0EEENS1_30default_config_static_selectorELNS0_4arch9wavefront6targetE1EEEvT1_: ; @_ZN7rocprim17ROCPRIM_400000_NS6detail17trampoline_kernelINS0_14default_configENS1_25partition_config_selectorILNS1_17partition_subalgoE3EiNS0_10empty_typeEbEEZZNS1_14partition_implILS5_3ELb0ES3_jN6thrust23THRUST_200600_302600_NS6detail15normal_iteratorINSA_7pointerIiNSA_11hip_rocprim5par_tENSA_11use_defaultESG_EEEEPS6_SJ_NS0_5tupleIJPiSJ_EEENSK_IJSJ_SJ_EEES6_PlJ7is_evenIiEEEE10hipError_tPvRmT3_T4_T5_T6_T7_T9_mT8_P12ihipStream_tbDpT10_ENKUlT_T0_E_clISt17integral_constantIbLb1EES19_IbLb0EEEEDaS15_S16_EUlS15_E_NS1_11comp_targetILNS1_3genE5ELNS1_11target_archE942ELNS1_3gpuE9ELNS1_3repE0EEENS1_30default_config_static_selectorELNS0_4arch9wavefront6targetE1EEEvT1_
; %bb.0:
	s_load_dwordx4 s[20:23], s[0:1], 0x8
	s_load_dwordx4 s[24:27], s[0:1], 0x48
	s_load_dwordx2 s[28:29], s[0:1], 0x58
	s_load_dword s3, s[0:1], 0x70
	s_mul_i32 s30, s2, 0x1e00
	s_waitcnt lgkmcnt(0)
	s_lshl_b64 s[4:5], s[22:23], 2
	s_add_u32 s8, s20, s4
	s_addc_u32 s9, s21, s5
	s_add_i32 s6, s3, -1
	s_mulk_i32 s3, 0x1e00
	s_add_i32 s4, s3, s22
	s_sub_i32 s33, s28, s4
	s_addk_i32 s33, 0x1e00
	s_add_u32 s4, s22, s3
	s_addc_u32 s5, s23, 0
	s_cmp_eq_u32 s2, s6
	s_load_dwordx2 s[34:35], s[26:27], 0x0
	v_mov_b64_e32 v[2:3], s[28:29]
	s_cselect_b64 s[26:27], -1, 0
	s_cmp_lg_u32 s2, s6
	s_mov_b32 s31, 0
	v_cmp_lt_u64_e32 vcc, s[4:5], v[2:3]
	s_cselect_b64 s[4:5], -1, 0
	s_or_b64 s[6:7], s[4:5], vcc
	s_lshl_b64 s[4:5], s[30:31], 2
	s_add_u32 s8, s8, s4
	s_addc_u32 s9, s9, s5
	s_mov_b64 s[4:5], -1
	s_and_b64 vcc, exec, s[6:7]
	v_lshlrev_b32_e32 v18, 2, v0
	s_cbranch_vccz .LBB3679_2
; %bb.1:
	v_mov_b32_e32 v19, 0
	v_lshl_add_u64 v[2:3], s[8:9], 0, v[18:19]
	v_add_co_u32_e32 v4, vcc, 0x1000, v2
	s_mov_b64 s[4:5], 0
	s_nop 0
	v_addc_co_u32_e32 v5, vcc, 0, v3, vcc
	v_add_co_u32_e32 v6, vcc, 0x2000, v2
	s_nop 1
	v_addc_co_u32_e32 v7, vcc, 0, v3, vcc
	v_add_co_u32_e32 v8, vcc, 0x3000, v2
	s_nop 1
	v_addc_co_u32_e32 v9, vcc, 0, v3, vcc
	flat_load_dword v1, v[2:3]
	flat_load_dword v10, v[2:3] offset:2048
	flat_load_dword v11, v[4:5]
	flat_load_dword v12, v[4:5] offset:2048
	;; [unrolled: 2-line block ×4, first 2 shown]
	v_add_co_u32_e32 v4, vcc, 0x4000, v2
	s_nop 1
	v_addc_co_u32_e32 v5, vcc, 0, v3, vcc
	v_add_co_u32_e32 v6, vcc, 0x5000, v2
	s_nop 1
	v_addc_co_u32_e32 v7, vcc, 0, v3, vcc
	;; [unrolled: 3-line block ×4, first 2 shown]
	flat_load_dword v17, v[4:5]
	flat_load_dword v19, v[4:5] offset:2048
	flat_load_dword v20, v[6:7]
	flat_load_dword v21, v[6:7] offset:2048
	flat_load_dword v22, v[8:9]
	flat_load_dword v23, v[8:9] offset:2048
	flat_load_dword v24, v[2:3]
	s_waitcnt vmcnt(0) lgkmcnt(0)
	ds_write2st64_b32 v18, v1, v10 offset1:8
	ds_write2st64_b32 v18, v11, v12 offset0:16 offset1:24
	ds_write2st64_b32 v18, v13, v14 offset0:32 offset1:40
	;; [unrolled: 1-line block ×6, first 2 shown]
	ds_write_b32 v18, v24 offset:28672
	s_waitcnt lgkmcnt(0)
	s_barrier
.LBB3679_2:
	s_andn2_b64 vcc, exec, s[4:5]
	v_cmp_gt_u32_e64 s[4:5], s33, v0
	s_cbranch_vccnz .LBB3679_34
; %bb.3:
                                        ; implicit-def: $vgpr2_vgpr3_vgpr4_vgpr5_vgpr6_vgpr7_vgpr8_vgpr9_vgpr10_vgpr11_vgpr12_vgpr13_vgpr14_vgpr15_vgpr16_vgpr17
	s_and_saveexec_b64 s[10:11], s[4:5]
	s_cbranch_execz .LBB3679_5
; %bb.4:
	v_mov_b32_e32 v19, 0
	v_lshl_add_u64 v[2:3], s[8:9], 0, v[18:19]
	flat_load_dword v2, v[2:3]
.LBB3679_5:
	s_or_b64 exec, exec, s[10:11]
	v_or_b32_e32 v1, 0x200, v0
	v_cmp_gt_u32_e32 vcc, s33, v1
	s_and_saveexec_b64 s[4:5], vcc
	s_cbranch_execz .LBB3679_7
; %bb.6:
	v_mov_b32_e32 v19, 0
	v_lshl_add_u64 v[20:21], s[8:9], 0, v[18:19]
	flat_load_dword v3, v[20:21] offset:2048
.LBB3679_7:
	s_or_b64 exec, exec, s[4:5]
	v_or_b32_e32 v1, 0x400, v0
	v_cmp_gt_u32_e32 vcc, s33, v1
	s_and_saveexec_b64 s[4:5], vcc
	s_cbranch_execz .LBB3679_9
; %bb.8:
	v_lshlrev_b32_e32 v20, 2, v1
	v_mov_b32_e32 v21, 0
	v_lshl_add_u64 v[20:21], s[8:9], 0, v[20:21]
	flat_load_dword v4, v[20:21]
.LBB3679_9:
	s_or_b64 exec, exec, s[4:5]
	v_or_b32_e32 v1, 0x600, v0
	v_cmp_gt_u32_e32 vcc, s33, v1
	s_and_saveexec_b64 s[4:5], vcc
	s_cbranch_execz .LBB3679_11
; %bb.10:
	v_lshlrev_b32_e32 v20, 2, v1
	v_mov_b32_e32 v21, 0
	v_lshl_add_u64 v[20:21], s[8:9], 0, v[20:21]
	flat_load_dword v5, v[20:21]
.LBB3679_11:
	s_or_b64 exec, exec, s[4:5]
	v_or_b32_e32 v1, 0x800, v0
	v_cmp_gt_u32_e32 vcc, s33, v1
	s_and_saveexec_b64 s[4:5], vcc
	s_cbranch_execz .LBB3679_13
; %bb.12:
	v_lshlrev_b32_e32 v20, 2, v1
	v_mov_b32_e32 v21, 0
	v_lshl_add_u64 v[20:21], s[8:9], 0, v[20:21]
	flat_load_dword v6, v[20:21]
.LBB3679_13:
	s_or_b64 exec, exec, s[4:5]
	v_or_b32_e32 v1, 0xa00, v0
	v_cmp_gt_u32_e32 vcc, s33, v1
	s_and_saveexec_b64 s[4:5], vcc
	s_cbranch_execz .LBB3679_15
; %bb.14:
	v_lshlrev_b32_e32 v20, 2, v1
	v_mov_b32_e32 v21, 0
	v_lshl_add_u64 v[20:21], s[8:9], 0, v[20:21]
	flat_load_dword v7, v[20:21]
.LBB3679_15:
	s_or_b64 exec, exec, s[4:5]
	v_or_b32_e32 v1, 0xc00, v0
	v_cmp_gt_u32_e32 vcc, s33, v1
	s_and_saveexec_b64 s[4:5], vcc
	s_cbranch_execz .LBB3679_17
; %bb.16:
	v_lshlrev_b32_e32 v20, 2, v1
	v_mov_b32_e32 v21, 0
	v_lshl_add_u64 v[20:21], s[8:9], 0, v[20:21]
	flat_load_dword v8, v[20:21]
.LBB3679_17:
	s_or_b64 exec, exec, s[4:5]
	v_or_b32_e32 v1, 0xe00, v0
	v_cmp_gt_u32_e32 vcc, s33, v1
	s_and_saveexec_b64 s[4:5], vcc
	s_cbranch_execz .LBB3679_19
; %bb.18:
	v_lshlrev_b32_e32 v20, 2, v1
	v_mov_b32_e32 v21, 0
	v_lshl_add_u64 v[20:21], s[8:9], 0, v[20:21]
	flat_load_dword v9, v[20:21]
.LBB3679_19:
	s_or_b64 exec, exec, s[4:5]
	v_or_b32_e32 v1, 0x1000, v0
	v_cmp_gt_u32_e32 vcc, s33, v1
	s_and_saveexec_b64 s[4:5], vcc
	s_cbranch_execz .LBB3679_21
; %bb.20:
	v_lshlrev_b32_e32 v20, 2, v1
	v_mov_b32_e32 v21, 0
	v_lshl_add_u64 v[20:21], s[8:9], 0, v[20:21]
	flat_load_dword v10, v[20:21]
.LBB3679_21:
	s_or_b64 exec, exec, s[4:5]
	v_or_b32_e32 v1, 0x1200, v0
	v_cmp_gt_u32_e32 vcc, s33, v1
	s_and_saveexec_b64 s[4:5], vcc
	s_cbranch_execz .LBB3679_23
; %bb.22:
	v_lshlrev_b32_e32 v20, 2, v1
	v_mov_b32_e32 v21, 0
	v_lshl_add_u64 v[20:21], s[8:9], 0, v[20:21]
	flat_load_dword v11, v[20:21]
.LBB3679_23:
	s_or_b64 exec, exec, s[4:5]
	v_or_b32_e32 v1, 0x1400, v0
	v_cmp_gt_u32_e32 vcc, s33, v1
	s_and_saveexec_b64 s[4:5], vcc
	s_cbranch_execz .LBB3679_25
; %bb.24:
	v_lshlrev_b32_e32 v20, 2, v1
	v_mov_b32_e32 v21, 0
	v_lshl_add_u64 v[20:21], s[8:9], 0, v[20:21]
	flat_load_dword v12, v[20:21]
.LBB3679_25:
	s_or_b64 exec, exec, s[4:5]
	v_or_b32_e32 v1, 0x1600, v0
	v_cmp_gt_u32_e32 vcc, s33, v1
	s_and_saveexec_b64 s[4:5], vcc
	s_cbranch_execz .LBB3679_27
; %bb.26:
	v_lshlrev_b32_e32 v20, 2, v1
	v_mov_b32_e32 v21, 0
	v_lshl_add_u64 v[20:21], s[8:9], 0, v[20:21]
	flat_load_dword v13, v[20:21]
.LBB3679_27:
	s_or_b64 exec, exec, s[4:5]
	v_or_b32_e32 v1, 0x1800, v0
	v_cmp_gt_u32_e32 vcc, s33, v1
	s_and_saveexec_b64 s[4:5], vcc
	s_cbranch_execz .LBB3679_29
; %bb.28:
	v_lshlrev_b32_e32 v20, 2, v1
	v_mov_b32_e32 v21, 0
	v_lshl_add_u64 v[20:21], s[8:9], 0, v[20:21]
	flat_load_dword v14, v[20:21]
.LBB3679_29:
	s_or_b64 exec, exec, s[4:5]
	v_or_b32_e32 v1, 0x1a00, v0
	v_cmp_gt_u32_e32 vcc, s33, v1
	s_and_saveexec_b64 s[4:5], vcc
	s_cbranch_execz .LBB3679_31
; %bb.30:
	v_lshlrev_b32_e32 v20, 2, v1
	v_mov_b32_e32 v21, 0
	v_lshl_add_u64 v[20:21], s[8:9], 0, v[20:21]
	flat_load_dword v15, v[20:21]
.LBB3679_31:
	s_or_b64 exec, exec, s[4:5]
	v_or_b32_e32 v1, 0x1c00, v0
	v_cmp_gt_u32_e32 vcc, s33, v1
	s_and_saveexec_b64 s[4:5], vcc
	s_cbranch_execz .LBB3679_33
; %bb.32:
	v_lshlrev_b32_e32 v16, 2, v1
	v_mov_b32_e32 v17, 0
	v_lshl_add_u64 v[16:17], s[8:9], 0, v[16:17]
	flat_load_dword v16, v[16:17]
.LBB3679_33:
	s_or_b64 exec, exec, s[4:5]
	s_waitcnt vmcnt(0) lgkmcnt(0)
	ds_write2st64_b32 v18, v2, v3 offset1:8
	ds_write2st64_b32 v18, v4, v5 offset0:16 offset1:24
	ds_write2st64_b32 v18, v6, v7 offset0:32 offset1:40
	;; [unrolled: 1-line block ×6, first 2 shown]
	ds_write_b32 v18, v16 offset:28672
	s_waitcnt lgkmcnt(0)
	s_barrier
.LBB3679_34:
	v_mul_u32_u24_e32 v37, 15, v0
	v_lshlrev_b32_e32 v1, 2, v37
	s_waitcnt lgkmcnt(0)
	ds_read2_b32 v[34:35], v1 offset1:1
	ds_read2_b32 v[32:33], v1 offset0:2 offset1:3
	ds_read2_b32 v[30:31], v1 offset0:4 offset1:5
	;; [unrolled: 1-line block ×6, first 2 shown]
	ds_read_b32 v1, v1 offset:56
	v_cndmask_b32_e64 v2, 0, 1, s[6:7]
	v_cmp_ne_u32_e64 s[20:21], 1, v2
	s_andn2_b64 vcc, exec, s[6:7]
	s_waitcnt lgkmcnt(7)
	v_xor_b32_e32 v16, -1, v34
	v_xor_b32_e32 v15, -1, v35
	s_waitcnt lgkmcnt(6)
	v_xor_b32_e32 v14, -1, v32
	v_xor_b32_e32 v13, -1, v33
	;; [unrolled: 3-line block ×7, first 2 shown]
	s_waitcnt lgkmcnt(0)
	v_xor_b32_e32 v2, -1, v1
	s_barrier
	s_cbranch_vccnz .LBB3679_36
; %bb.35:
	v_and_b32_e32 v50, 1, v16
	v_and_b32_e32 v49, 1, v15
	;; [unrolled: 1-line block ×15, first 2 shown]
	s_load_dwordx2 s[36:37], s[0:1], 0x68
	s_cbranch_execz .LBB3679_37
	s_branch .LBB3679_38
.LBB3679_36:
                                        ; implicit-def: $vgpr19
                                        ; implicit-def: $vgpr36
                                        ; implicit-def: $vgpr38
                                        ; implicit-def: $vgpr39
                                        ; implicit-def: $vgpr40
                                        ; implicit-def: $vgpr41
                                        ; implicit-def: $vgpr42
                                        ; implicit-def: $vgpr43
                                        ; implicit-def: $vgpr44
                                        ; implicit-def: $vgpr50
                                        ; implicit-def: $vgpr49
                                        ; implicit-def: $vgpr48
                                        ; implicit-def: $vgpr47
                                        ; implicit-def: $vgpr46
                                        ; implicit-def: $vgpr45
	s_load_dwordx2 s[36:37], s[0:1], 0x68
.LBB3679_37:
	v_add_u32_e32 v44, 1, v37
	v_cmp_gt_u32_e32 vcc, s33, v37
	v_add_u32_e32 v17, 2, v37
	v_add_u32_e32 v43, 3, v37
	v_cndmask_b32_e64 v45, 0, 1, vcc
	v_cmp_gt_u32_e32 vcc, s33, v44
	v_and_b32_e32 v50, v45, v16
	v_add_u32_e32 v19, 4, v37
	v_cndmask_b32_e64 v16, 0, 1, vcc
	v_cmp_gt_u32_e32 vcc, s33, v17
	v_and_b32_e32 v49, v16, v15
	;; [unrolled: 4-line block ×12, first 2 shown]
	s_nop 0
	v_cndmask_b32_e64 v5, 0, 1, vcc
	v_cmp_gt_u32_e32 vcc, s33, v52
	v_and_b32_e32 v38, v5, v4
	s_nop 0
	v_cndmask_b32_e64 v4, 0, 1, vcc
	v_cmp_gt_u32_e32 vcc, s33, v51
	v_and_b32_e32 v36, v4, v3
	s_nop 0
	v_cndmask_b32_e64 v3, 0, 1, vcc
	v_and_b32_e32 v19, v3, v2
.LBB3679_38:
	v_and_b32_e32 v55, 0xff, v47
	v_and_b32_e32 v56, 0xff, v46
	;; [unrolled: 1-line block ×5, first 2 shown]
	v_add3_u32 v3, v56, v57, v55
	v_and_b32_e32 v51, 0xff, v50
	v_and_b32_e32 v58, 0xff, v44
	v_add3_u32 v3, v3, v54, v53
	v_and_b32_e32 v59, 0xff, v43
	v_and_b32_e32 v60, 0xff, v42
	;; [unrolled: 3-line block ×5, first 2 shown]
	v_add3_u32 v3, v3, v63, v64
	v_add3_u32 v68, v3, v65, v2
	v_mbcnt_lo_u32_b32 v2, -1, 0
	v_mbcnt_hi_u32_b32 v66, -1, v2
	v_and_b32_e32 v2, 15, v66
	v_cmp_eq_u32_e64 s[16:17], 0, v2
	v_cmp_lt_u32_e64 s[14:15], 1, v2
	v_cmp_lt_u32_e64 s[12:13], 3, v2
	;; [unrolled: 1-line block ×3, first 2 shown]
	v_and_b32_e32 v2, 16, v66
	v_cmp_eq_u32_e64 s[8:9], 0, v2
	v_or_b32_e32 v2, 63, v0
	s_cmp_lg_u32 s2, 0
	v_cmp_lt_u32_e64 s[4:5], 31, v66
	v_lshrrev_b32_e32 v67, 6, v0
	v_cmp_eq_u32_e64 s[6:7], v2, v0
	s_cbranch_scc0 .LBB3679_69
; %bb.39:
	v_mov_b32_dpp v2, v68 row_shr:1 row_mask:0xf bank_mask:0xf
	v_cndmask_b32_e64 v2, v2, 0, s[16:17]
	v_add_u32_e32 v2, v2, v68
	s_nop 1
	v_mov_b32_dpp v3, v2 row_shr:2 row_mask:0xf bank_mask:0xf
	v_cndmask_b32_e64 v3, 0, v3, s[14:15]
	v_add_u32_e32 v2, v2, v3
	s_nop 1
	;; [unrolled: 4-line block ×4, first 2 shown]
	v_mov_b32_dpp v3, v2 row_bcast:15 row_mask:0xf bank_mask:0xf
	v_cndmask_b32_e64 v3, v3, 0, s[8:9]
	v_add_u32_e32 v2, v2, v3
	s_nop 1
	v_mov_b32_dpp v3, v2 row_bcast:31 row_mask:0xf bank_mask:0xf
	v_cndmask_b32_e64 v3, 0, v3, s[4:5]
	v_add_u32_e32 v2, v2, v3
	s_and_saveexec_b64 s[18:19], s[6:7]
	s_cbranch_execz .LBB3679_41
; %bb.40:
	v_lshlrev_b32_e32 v3, 2, v67
	ds_write_b32 v3, v2
.LBB3679_41:
	s_or_b64 exec, exec, s[18:19]
	v_cmp_gt_u32_e32 vcc, 8, v0
	s_waitcnt lgkmcnt(0)
	s_barrier
	s_and_saveexec_b64 s[18:19], vcc
	s_cbranch_execz .LBB3679_43
; %bb.42:
	ds_read_b32 v3, v18
	v_and_b32_e32 v4, 7, v66
	v_cmp_ne_u32_e32 vcc, 0, v4
	s_waitcnt lgkmcnt(0)
	v_mov_b32_dpp v5, v3 row_shr:1 row_mask:0xf bank_mask:0xf
	v_cndmask_b32_e32 v5, 0, v5, vcc
	v_add_u32_e32 v3, v5, v3
	v_cmp_lt_u32_e32 vcc, 1, v4
	s_nop 0
	v_mov_b32_dpp v5, v3 row_shr:2 row_mask:0xf bank_mask:0xf
	v_cndmask_b32_e32 v5, 0, v5, vcc
	v_add_u32_e32 v3, v3, v5
	v_cmp_lt_u32_e32 vcc, 3, v4
	s_nop 0
	v_mov_b32_dpp v5, v3 row_shr:4 row_mask:0xf bank_mask:0xf
	v_cndmask_b32_e32 v4, 0, v5, vcc
	v_add_u32_e32 v3, v3, v4
	ds_write_b32 v18, v3
.LBB3679_43:
	s_or_b64 exec, exec, s[18:19]
	v_cmp_gt_u32_e32 vcc, 64, v0
	v_cmp_lt_u32_e64 s[18:19], 63, v0
	s_waitcnt lgkmcnt(0)
	s_barrier
	s_waitcnt lgkmcnt(0)
                                        ; implicit-def: $vgpr12
	s_and_saveexec_b64 s[38:39], s[18:19]
	s_cbranch_execz .LBB3679_45
; %bb.44:
	v_lshl_add_u32 v3, v67, 2, -4
	ds_read_b32 v12, v3
	s_waitcnt lgkmcnt(0)
	v_add_u32_e32 v2, v12, v2
.LBB3679_45:
	s_or_b64 exec, exec, s[38:39]
	v_add_u32_e32 v3, -1, v66
	v_and_b32_e32 v4, 64, v66
	v_cmp_lt_i32_e64 s[18:19], v3, v4
	s_nop 1
	v_cndmask_b32_e64 v3, v3, v66, s[18:19]
	v_lshlrev_b32_e32 v3, 2, v3
	ds_bpermute_b32 v13, v3, v2
	v_cmp_eq_u32_e64 s[18:19], 0, v66
	s_and_saveexec_b64 s[38:39], vcc
	s_cbranch_execz .LBB3679_68
; %bb.46:
	v_mov_b32_e32 v11, 0
	ds_read_b32 v2, v11 offset:28
	s_and_saveexec_b64 s[40:41], s[18:19]
	s_cbranch_execz .LBB3679_48
; %bb.47:
	s_add_i32 s42, s2, 64
	s_mov_b32 s43, 0
	s_lshl_b64 s[42:43], s[42:43], 3
	s_add_u32 s42, s36, s42
	v_mov_b32_e32 v3, 1
	s_addc_u32 s43, s37, s43
	s_waitcnt lgkmcnt(0)
	global_store_dwordx2 v11, v[2:3], s[42:43] sc1
.LBB3679_48:
	s_or_b64 exec, exec, s[40:41]
	v_xad_u32 v4, v66, -1, s2
	v_add_u32_e32 v10, 64, v4
	v_lshl_add_u64 v[6:7], v[10:11], 3, s[36:37]
	global_load_dwordx2 v[8:9], v[6:7], off sc1
	s_waitcnt vmcnt(0)
	v_cmp_eq_u16_sdwa s[42:43], v9, v11 src0_sel:BYTE_0 src1_sel:DWORD
	s_and_saveexec_b64 s[40:41], s[42:43]
	s_cbranch_execz .LBB3679_54
; %bb.49:
	s_mov_b32 s3, 1
	s_mov_b64 s[42:43], 0
	v_mov_b32_e32 v3, 0
.LBB3679_50:                            ; =>This Loop Header: Depth=1
                                        ;     Child Loop BB3679_51 Depth 2
	s_max_u32 s31, s3, 1
.LBB3679_51:                            ;   Parent Loop BB3679_50 Depth=1
                                        ; =>  This Inner Loop Header: Depth=2
	s_add_i32 s31, s31, -1
	s_cmp_eq_u32 s31, 0
	s_sleep 1
	s_cbranch_scc0 .LBB3679_51
; %bb.52:                               ;   in Loop: Header=BB3679_50 Depth=1
	global_load_dwordx2 v[8:9], v[6:7], off sc1
	s_cmp_lt_u32 s3, 32
	s_cselect_b64 s[44:45], -1, 0
	s_cmp_lg_u64 s[44:45], 0
	s_addc_u32 s3, s3, 0
	s_waitcnt vmcnt(0)
	v_cmp_ne_u16_sdwa s[44:45], v9, v3 src0_sel:BYTE_0 src1_sel:DWORD
	s_or_b64 s[42:43], s[44:45], s[42:43]
	s_andn2_b64 exec, exec, s[42:43]
	s_cbranch_execnz .LBB3679_50
; %bb.53:
	s_or_b64 exec, exec, s[42:43]
.LBB3679_54:
	s_or_b64 exec, exec, s[40:41]
	v_and_b32_e32 v15, 63, v66
	v_mov_b32_e32 v14, 2
	v_cmp_ne_u32_e32 vcc, 63, v15
	v_cmp_eq_u16_sdwa s[40:41], v9, v14 src0_sel:BYTE_0 src1_sel:DWORD
	v_lshlrev_b64 v[6:7], v66, -1
	v_addc_co_u32_e32 v10, vcc, 0, v66, vcc
	v_and_b32_e32 v3, s41, v7
	v_lshlrev_b32_e32 v16, 2, v10
	v_or_b32_e32 v3, 0x80000000, v3
	ds_bpermute_b32 v10, v16, v8
	v_and_b32_e32 v5, s40, v6
	v_ffbl_b32_e32 v3, v3
	v_add_u32_e32 v3, 32, v3
	v_ffbl_b32_e32 v5, v5
	v_min_u32_e32 v3, v5, v3
	v_cmp_lt_u32_e32 vcc, v15, v3
	v_add_u32_e32 v20, 2, v15
	v_add_u32_e32 v52, 4, v15
	s_waitcnt lgkmcnt(0)
	v_cndmask_b32_e32 v5, 0, v10, vcc
	v_cmp_gt_u32_e32 vcc, 62, v15
	v_add_u32_e32 v5, v5, v8
	v_add_u32_e32 v70, 8, v15
	v_cndmask_b32_e64 v8, 0, 1, vcc
	v_lshlrev_b32_e32 v8, 1, v8
	v_add_lshl_u32 v17, v8, v66, 2
	ds_bpermute_b32 v8, v17, v5
	v_cmp_le_u32_e32 vcc, v20, v3
	v_add_u32_e32 v72, 16, v15
	v_add_u32_e32 v74, 32, v15
	s_waitcnt lgkmcnt(0)
	v_cndmask_b32_e32 v8, 0, v8, vcc
	v_cmp_gt_u32_e32 vcc, 60, v15
	v_add_u32_e32 v5, v5, v8
	s_nop 0
	v_cndmask_b32_e64 v8, 0, 1, vcc
	v_lshlrev_b32_e32 v8, 2, v8
	v_add_lshl_u32 v21, v8, v66, 2
	ds_bpermute_b32 v8, v21, v5
	v_cmp_le_u32_e32 vcc, v52, v3
	s_waitcnt lgkmcnt(0)
	s_nop 0
	v_cndmask_b32_e32 v8, 0, v8, vcc
	v_cmp_gt_u32_e32 vcc, 56, v15
	v_add_u32_e32 v5, v5, v8
	s_nop 0
	v_cndmask_b32_e64 v8, 0, 1, vcc
	v_lshlrev_b32_e32 v8, 3, v8
	v_add_lshl_u32 v69, v8, v66, 2
	ds_bpermute_b32 v8, v69, v5
	v_cmp_le_u32_e32 vcc, v70, v3
	s_waitcnt lgkmcnt(0)
	s_nop 0
	;; [unrolled: 11-line block ×4, first 2 shown]
	v_cndmask_b32_e32 v3, 0, v8, vcc
	v_add_u32_e32 v8, v5, v3
	v_mov_b32_e32 v5, 0
	s_branch .LBB3679_56
.LBB3679_55:                            ;   in Loop: Header=BB3679_56 Depth=1
	s_or_b64 exec, exec, s[40:41]
	v_cmp_eq_u16_sdwa s[40:41], v9, v14 src0_sel:BYTE_0 src1_sel:DWORD
	ds_bpermute_b32 v75, v16, v8
	v_subrev_u32_e32 v4, 64, v4
	v_and_b32_e32 v10, s41, v7
	v_or_b32_e32 v10, 0x80000000, v10
	v_and_b32_e32 v11, s40, v6
	v_ffbl_b32_e32 v10, v10
	v_add_u32_e32 v10, 32, v10
	v_ffbl_b32_e32 v11, v11
	v_min_u32_e32 v10, v11, v10
	v_cmp_lt_u32_e32 vcc, v15, v10
	s_waitcnt lgkmcnt(0)
	s_nop 0
	v_cndmask_b32_e32 v11, 0, v75, vcc
	v_add_u32_e32 v8, v11, v8
	ds_bpermute_b32 v11, v17, v8
	v_cmp_le_u32_e32 vcc, v20, v10
	s_waitcnt lgkmcnt(0)
	s_nop 0
	v_cndmask_b32_e32 v11, 0, v11, vcc
	v_add_u32_e32 v8, v8, v11
	ds_bpermute_b32 v11, v21, v8
	v_cmp_le_u32_e32 vcc, v52, v10
	;; [unrolled: 6-line block ×5, first 2 shown]
	s_waitcnt lgkmcnt(0)
	s_nop 0
	v_cndmask_b32_e32 v10, 0, v11, vcc
	v_add3_u32 v8, v10, v3, v8
.LBB3679_56:                            ; =>This Loop Header: Depth=1
                                        ;     Child Loop BB3679_59 Depth 2
                                        ;       Child Loop BB3679_60 Depth 3
	v_cmp_ne_u16_sdwa s[40:41], v9, v14 src0_sel:BYTE_0 src1_sel:DWORD
	s_nop 1
	v_cndmask_b32_e64 v3, 0, 1, s[40:41]
	;;#ASMSTART
	;;#ASMEND
	s_nop 0
	v_cmp_ne_u32_e32 vcc, 0, v3
	s_cmp_lg_u64 vcc, exec
	v_mov_b32_e32 v3, v8
	s_cbranch_scc1 .LBB3679_63
; %bb.57:                               ;   in Loop: Header=BB3679_56 Depth=1
	v_lshl_add_u64 v[10:11], v[4:5], 3, s[36:37]
	global_load_dwordx2 v[8:9], v[10:11], off sc1
	s_waitcnt vmcnt(0)
	v_cmp_eq_u16_sdwa s[42:43], v9, v5 src0_sel:BYTE_0 src1_sel:DWORD
	s_and_saveexec_b64 s[40:41], s[42:43]
	s_cbranch_execz .LBB3679_55
; %bb.58:                               ;   in Loop: Header=BB3679_56 Depth=1
	s_mov_b32 s3, 1
	s_mov_b64 s[42:43], 0
.LBB3679_59:                            ;   Parent Loop BB3679_56 Depth=1
                                        ; =>  This Loop Header: Depth=2
                                        ;       Child Loop BB3679_60 Depth 3
	s_max_u32 s31, s3, 1
.LBB3679_60:                            ;   Parent Loop BB3679_56 Depth=1
                                        ;     Parent Loop BB3679_59 Depth=2
                                        ; =>    This Inner Loop Header: Depth=3
	s_add_i32 s31, s31, -1
	s_cmp_eq_u32 s31, 0
	s_sleep 1
	s_cbranch_scc0 .LBB3679_60
; %bb.61:                               ;   in Loop: Header=BB3679_59 Depth=2
	global_load_dwordx2 v[8:9], v[10:11], off sc1
	s_cmp_lt_u32 s3, 32
	s_cselect_b64 s[44:45], -1, 0
	s_cmp_lg_u64 s[44:45], 0
	s_addc_u32 s3, s3, 0
	s_waitcnt vmcnt(0)
	v_cmp_ne_u16_sdwa s[44:45], v9, v5 src0_sel:BYTE_0 src1_sel:DWORD
	s_or_b64 s[42:43], s[44:45], s[42:43]
	s_andn2_b64 exec, exec, s[42:43]
	s_cbranch_execnz .LBB3679_59
; %bb.62:                               ;   in Loop: Header=BB3679_56 Depth=1
	s_or_b64 exec, exec, s[42:43]
	s_branch .LBB3679_55
.LBB3679_63:                            ;   in Loop: Header=BB3679_56 Depth=1
                                        ; implicit-def: $vgpr8
                                        ; implicit-def: $vgpr9
	s_cbranch_execz .LBB3679_56
; %bb.64:
	s_and_saveexec_b64 s[40:41], s[18:19]
	s_cbranch_execz .LBB3679_66
; %bb.65:
	s_add_i32 s2, s2, 64
	s_mov_b32 s3, 0
	s_lshl_b64 s[2:3], s[2:3], 3
	s_add_u32 s2, s36, s2
	v_add_u32_e32 v4, v3, v2
	v_mov_b32_e32 v5, 2
	s_addc_u32 s3, s37, s3
	v_mov_b32_e32 v6, 0
	global_store_dwordx2 v6, v[4:5], s[2:3] sc1
	ds_write_b64 v6, v[2:3] offset:30720
.LBB3679_66:
	s_or_b64 exec, exec, s[40:41]
	v_cmp_eq_u32_e32 vcc, 0, v0
	s_and_b64 exec, exec, vcc
	s_cbranch_execz .LBB3679_68
; %bb.67:
	v_mov_b32_e32 v2, 0
	ds_write_b32 v2, v3 offset:28
.LBB3679_68:
	s_or_b64 exec, exec, s[38:39]
	v_mov_b32_e32 v14, 0
	s_waitcnt lgkmcnt(0)
	s_barrier
	ds_read_b32 v2, v14 offset:28
	v_cndmask_b32_e64 v3, v13, v12, s[18:19]
	v_cmp_ne_u32_e32 vcc, 0, v0
	s_waitcnt lgkmcnt(0)
	s_barrier
	v_cndmask_b32_e32 v3, 0, v3, vcc
	v_add_u32_e32 v2, v2, v3
	v_add_u32_e32 v3, v2, v51
	;; [unrolled: 1-line block ×10, first 2 shown]
	ds_read_b64 v[20:21], v14 offset:30720
	v_add_u32_e32 v12, v11, v61
	v_add_u32_e32 v13, v12, v62
	;; [unrolled: 1-line block ×5, first 2 shown]
	s_waitcnt lgkmcnt(0)
	v_mov_b32_e32 v52, v21
	s_load_dwordx2 s[2:3], s[0:1], 0x28
	s_branch .LBB3679_79
.LBB3679_69:
                                        ; implicit-def: $vgpr52
                                        ; implicit-def: $vgpr20
                                        ; implicit-def: $vgpr2_vgpr3_vgpr4_vgpr5_vgpr6_vgpr7_vgpr8_vgpr9_vgpr10_vgpr11_vgpr12_vgpr13_vgpr14_vgpr15_vgpr16_vgpr17
	s_load_dwordx2 s[2:3], s[0:1], 0x28
	s_cbranch_execz .LBB3679_79
; %bb.70:
	v_mov_b32_dpp v2, v68 row_shr:1 row_mask:0xf bank_mask:0xf
	v_cndmask_b32_e64 v2, v2, 0, s[16:17]
	v_add_u32_e32 v2, v2, v68
	s_nop 1
	v_mov_b32_dpp v3, v2 row_shr:2 row_mask:0xf bank_mask:0xf
	v_cndmask_b32_e64 v3, 0, v3, s[14:15]
	v_add_u32_e32 v2, v2, v3
	s_nop 1
	;; [unrolled: 4-line block ×4, first 2 shown]
	v_mov_b32_dpp v3, v2 row_bcast:15 row_mask:0xf bank_mask:0xf
	v_cndmask_b32_e64 v3, v3, 0, s[8:9]
	v_add_u32_e32 v2, v2, v3
	s_nop 1
	v_mov_b32_dpp v3, v2 row_bcast:31 row_mask:0xf bank_mask:0xf
	v_cndmask_b32_e64 v3, 0, v3, s[4:5]
	v_add_u32_e32 v2, v2, v3
	s_and_saveexec_b64 s[0:1], s[6:7]
	s_cbranch_execz .LBB3679_72
; %bb.71:
	v_lshlrev_b32_e32 v3, 2, v67
	ds_write_b32 v3, v2
.LBB3679_72:
	s_or_b64 exec, exec, s[0:1]
	v_cmp_gt_u32_e32 vcc, 8, v0
	s_waitcnt lgkmcnt(0)
	s_barrier
	s_and_saveexec_b64 s[0:1], vcc
	s_cbranch_execz .LBB3679_74
; %bb.73:
	ds_read_b32 v3, v18
	v_and_b32_e32 v4, 7, v66
	v_cmp_ne_u32_e32 vcc, 0, v4
	s_waitcnt lgkmcnt(0)
	v_mov_b32_dpp v5, v3 row_shr:1 row_mask:0xf bank_mask:0xf
	v_cndmask_b32_e32 v5, 0, v5, vcc
	v_add_u32_e32 v3, v5, v3
	v_cmp_lt_u32_e32 vcc, 1, v4
	s_nop 0
	v_mov_b32_dpp v5, v3 row_shr:2 row_mask:0xf bank_mask:0xf
	v_cndmask_b32_e32 v5, 0, v5, vcc
	v_add_u32_e32 v3, v3, v5
	v_cmp_lt_u32_e32 vcc, 3, v4
	s_nop 0
	v_mov_b32_dpp v5, v3 row_shr:4 row_mask:0xf bank_mask:0xf
	v_cndmask_b32_e32 v4, 0, v5, vcc
	v_add_u32_e32 v3, v3, v4
	ds_write_b32 v18, v3
.LBB3679_74:
	s_or_b64 exec, exec, s[0:1]
	v_cmp_lt_u32_e32 vcc, 63, v0
	v_mov_b32_e32 v4, 0
	v_mov_b32_e32 v3, 0
	s_waitcnt lgkmcnt(0)
	s_barrier
	s_and_saveexec_b64 s[0:1], vcc
	s_cbranch_execz .LBB3679_76
; %bb.75:
	v_lshl_add_u32 v3, v67, 2, -4
	ds_read_b32 v3, v3
.LBB3679_76:
	s_or_b64 exec, exec, s[0:1]
	v_add_u32_e32 v5, -1, v66
	v_and_b32_e32 v6, 64, v66
	v_cmp_lt_i32_e32 vcc, v5, v6
	s_waitcnt lgkmcnt(0)
	v_add_u32_e32 v2, v3, v2
	ds_read_b32 v20, v4 offset:28
	v_cndmask_b32_e32 v5, v5, v66, vcc
	v_lshlrev_b32_e32 v5, 2, v5
	ds_bpermute_b32 v2, v5, v2
	v_cmp_eq_u32_e32 vcc, 0, v0
	s_and_saveexec_b64 s[0:1], vcc
	s_cbranch_execz .LBB3679_78
; %bb.77:
	v_mov_b32_e32 v4, 0
	v_mov_b32_e32 v21, 2
	s_waitcnt lgkmcnt(1)
	global_store_dwordx2 v4, v[20:21], s[36:37] offset:512 sc1
.LBB3679_78:
	s_or_b64 exec, exec, s[0:1]
	v_cmp_eq_u32_e64 s[0:1], 0, v66
	v_mov_b32_e32 v52, 0
	s_waitcnt lgkmcnt(0)
	v_cndmask_b32_e64 v2, v2, v3, s[0:1]
	v_cndmask_b32_e64 v2, v2, 0, vcc
	v_add_u32_e32 v3, v2, v51
	v_add_u32_e32 v4, v3, v53
	;; [unrolled: 1-line block ×14, first 2 shown]
	s_barrier
.LBB3679_79:
	v_add_u32_e32 v17, v20, v37
	v_sub_u32_e32 v2, v2, v52
	v_and_b32_e32 v37, 1, v50
	v_sub_u32_e32 v21, v17, v2
	v_cmp_eq_u32_e32 vcc, 1, v37
	s_add_u32 s0, s22, s30
	s_addc_u32 s1, s23, 0
	v_cndmask_b32_e32 v2, v21, v2, vcc
	v_lshlrev_b32_e32 v2, 2, v2
	ds_write_b32 v2, v34
	v_sub_u32_e32 v2, v3, v52
	v_sub_u32_e32 v3, v17, v2
	v_and_b32_e32 v21, 1, v49
	v_add_u32_e32 v3, 1, v3
	v_cmp_eq_u32_e32 vcc, 1, v21
	s_sub_u32 s0, s28, s0
	s_subb_u32 s1, s29, s1
	v_cndmask_b32_e32 v2, v3, v2, vcc
	v_lshlrev_b32_e32 v2, 2, v2
	ds_write_b32 v2, v35
	v_sub_u32_e32 v2, v4, v52
	v_sub_u32_e32 v3, v17, v2
	v_and_b32_e32 v4, 1, v48
	v_add_u32_e32 v3, 2, v3
	v_cmp_eq_u32_e32 vcc, 1, v4
	v_and_b32_e32 v4, 1, v47
	v_or_b32_e32 v50, 0x200, v0
	v_cndmask_b32_e32 v2, v3, v2, vcc
	v_lshlrev_b32_e32 v2, 2, v2
	ds_write_b32 v2, v32
	v_sub_u32_e32 v2, v5, v52
	v_sub_u32_e32 v3, v17, v2
	v_add_u32_e32 v3, 3, v3
	v_cmp_eq_u32_e32 vcc, 1, v4
	v_and_b32_e32 v4, 1, v46
	v_or_b32_e32 v46, 0x400, v0
	v_cndmask_b32_e32 v2, v3, v2, vcc
	v_lshlrev_b32_e32 v2, 2, v2
	ds_write_b32 v2, v33
	v_sub_u32_e32 v2, v6, v52
	v_sub_u32_e32 v3, v17, v2
	;; [unrolled: 9-line block ×12, first 2 shown]
	v_add_u32_e32 v3, 14, v3
	v_cmp_eq_u32_e32 vcc, 1, v4
	v_or_b32_e32 v16, 0x1600, v0
	v_or_b32_e32 v4, 0x1c00, v0
	v_cndmask_b32_e32 v2, v3, v2, vcc
	v_lshlrev_b32_e32 v2, 2, v2
	ds_write_b32 v2, v1
	s_waitcnt lgkmcnt(0)
	s_barrier
	ds_read2st64_b32 v[48:49], v18 offset1:8
	ds_read2st64_b32 v[42:43], v18 offset0:16 offset1:24
	ds_read2st64_b32 v[36:37], v18 offset0:32 offset1:40
	;; [unrolled: 1-line block ×6, first 2 shown]
	ds_read_b32 v54, v18 offset:28672
	v_mov_b32_e32 v1, 0
	v_mov_b32_e32 v53, v1
	;; [unrolled: 1-line block ×3, first 2 shown]
	v_lshl_add_u64 v[2:3], s[34:35], 0, v[52:53]
	v_lshl_add_u64 v[6:7], s[0:1], 0, v[20:21]
	v_mov_b32_e32 v51, v1
	v_mov_b32_e32 v47, v1
	;; [unrolled: 1-line block ×14, first 2 shown]
	s_and_b64 vcc, exec, s[20:21]
	v_lshl_add_u64 v[6:7], v[6:7], 0, v[2:3]
	s_cbranch_vccnz .LBB3679_141
; %bb.80:
	v_cmp_ge_u32_e32 vcc, v0, v20
                                        ; implicit-def: $vgpr18_vgpr19
	s_and_saveexec_b64 s[0:1], vcc
	s_xor_b64 s[0:1], exec, s[0:1]
; %bb.81:
	v_not_b32_e32 v18, v0
	v_ashrrev_i32_e32 v19, 31, v18
	v_lshl_add_u64 v[18:19], v[6:7], 0, v[18:19]
; %bb.82:
	s_andn2_saveexec_b64 s[0:1], s[0:1]
; %bb.83:
	v_lshl_add_u64 v[18:19], v[2:3], 0, v[0:1]
; %bb.84:
	s_or_b64 exec, exec, s[0:1]
	v_lshl_add_u64 v[18:19], v[18:19], 2, s[2:3]
	v_cmp_ge_u32_e32 vcc, v50, v20
	s_waitcnt lgkmcnt(7)
	global_store_dword v[18:19], v48, off
                                        ; implicit-def: $vgpr18_vgpr19
	s_and_saveexec_b64 s[0:1], vcc
	s_xor_b64 s[0:1], exec, s[0:1]
; %bb.85:
	v_xor_b32_e32 v18, 0xfffffdff, v0
	v_ashrrev_i32_e32 v19, 31, v18
	v_lshl_add_u64 v[18:19], v[6:7], 0, v[18:19]
; %bb.86:
	s_andn2_saveexec_b64 s[0:1], s[0:1]
; %bb.87:
	v_lshl_add_u64 v[18:19], v[2:3], 0, v[50:51]
; %bb.88:
	s_or_b64 exec, exec, s[0:1]
	v_lshl_add_u64 v[18:19], v[18:19], 2, s[2:3]
	v_cmp_ge_u32_e32 vcc, v46, v20
	global_store_dword v[18:19], v49, off
                                        ; implicit-def: $vgpr18_vgpr19
	s_and_saveexec_b64 s[0:1], vcc
	s_xor_b64 s[0:1], exec, s[0:1]
; %bb.89:
	v_xor_b32_e32 v18, 0xfffffbff, v0
	v_ashrrev_i32_e32 v19, 31, v18
	v_lshl_add_u64 v[18:19], v[6:7], 0, v[18:19]
; %bb.90:
	s_andn2_saveexec_b64 s[0:1], s[0:1]
; %bb.91:
	v_lshl_add_u64 v[18:19], v[2:3], 0, v[46:47]
; %bb.92:
	s_or_b64 exec, exec, s[0:1]
	v_lshl_add_u64 v[18:19], v[18:19], 2, s[2:3]
	v_cmp_ge_u32_e32 vcc, v44, v20
	s_waitcnt lgkmcnt(6)
	global_store_dword v[18:19], v42, off
                                        ; implicit-def: $vgpr18_vgpr19
	s_and_saveexec_b64 s[0:1], vcc
	s_xor_b64 s[0:1], exec, s[0:1]
; %bb.93:
	v_xor_b32_e32 v18, 0xfffff9ff, v0
	v_ashrrev_i32_e32 v19, 31, v18
	v_lshl_add_u64 v[18:19], v[6:7], 0, v[18:19]
; %bb.94:
	s_andn2_saveexec_b64 s[0:1], s[0:1]
; %bb.95:
	v_lshl_add_u64 v[18:19], v[2:3], 0, v[44:45]
; %bb.96:
	s_or_b64 exec, exec, s[0:1]
	v_lshl_add_u64 v[18:19], v[18:19], 2, s[2:3]
	v_cmp_ge_u32_e32 vcc, v40, v20
	global_store_dword v[18:19], v43, off
                                        ; implicit-def: $vgpr18_vgpr19
	s_and_saveexec_b64 s[0:1], vcc
	s_xor_b64 s[0:1], exec, s[0:1]
; %bb.97:
	v_xor_b32_e32 v18, 0xfffff7ff, v0
	;; [unrolled: 33-line block ×7, first 2 shown]
	v_ashrrev_i32_e32 v19, 31, v18
	v_lshl_add_u64 v[18:19], v[6:7], 0, v[18:19]
; %bb.138:
	s_andn2_saveexec_b64 s[0:1], s[0:1]
; %bb.139:
	v_lshl_add_u64 v[18:19], v[2:3], 0, v[4:5]
; %bb.140:
	s_or_b64 exec, exec, s[0:1]
	s_mov_b64 s[0:1], -1
	s_branch .LBB3679_233
.LBB3679_141:
	s_mov_b64 s[0:1], 0
                                        ; implicit-def: $vgpr18_vgpr19
	s_cbranch_execz .LBB3679_233
; %bb.142:
	v_cmp_gt_u32_e32 vcc, s33, v0
	s_and_saveexec_b64 s[4:5], vcc
	s_cbranch_execz .LBB3679_184
; %bb.143:
	v_cmp_ge_u32_e32 vcc, v0, v20
                                        ; implicit-def: $vgpr18_vgpr19
	s_and_saveexec_b64 s[6:7], vcc
	s_xor_b64 s[6:7], exec, s[6:7]
; %bb.144:
	v_not_b32_e32 v18, v0
	v_ashrrev_i32_e32 v19, 31, v18
	v_lshl_add_u64 v[18:19], v[6:7], 0, v[18:19]
; %bb.145:
	s_andn2_saveexec_b64 s[6:7], s[6:7]
; %bb.146:
	v_lshl_add_u64 v[18:19], v[2:3], 0, v[0:1]
; %bb.147:
	s_or_b64 exec, exec, s[6:7]
	v_lshl_add_u64 v[18:19], v[18:19], 2, s[2:3]
	s_waitcnt lgkmcnt(7)
	global_store_dword v[18:19], v48, off
	s_or_b64 exec, exec, s[4:5]
	v_cmp_gt_u32_e32 vcc, s33, v50
	s_and_saveexec_b64 s[4:5], vcc
	s_cbranch_execnz .LBB3679_185
.LBB3679_148:
	s_or_b64 exec, exec, s[4:5]
	v_cmp_gt_u32_e32 vcc, s33, v46
	s_and_saveexec_b64 s[4:5], vcc
	s_cbranch_execz .LBB3679_190
.LBB3679_149:
	v_cmp_ge_u32_e32 vcc, v46, v20
                                        ; implicit-def: $vgpr18_vgpr19
	s_and_saveexec_b64 s[6:7], vcc
	s_xor_b64 s[6:7], exec, s[6:7]
; %bb.150:
	v_xor_b32_e32 v18, 0xfffffbff, v0
	v_ashrrev_i32_e32 v19, 31, v18
	v_lshl_add_u64 v[18:19], v[6:7], 0, v[18:19]
                                        ; implicit-def: $vgpr46_vgpr47
; %bb.151:
	s_andn2_saveexec_b64 s[6:7], s[6:7]
; %bb.152:
	v_lshl_add_u64 v[18:19], v[2:3], 0, v[46:47]
; %bb.153:
	s_or_b64 exec, exec, s[6:7]
	v_lshl_add_u64 v[18:19], v[18:19], 2, s[2:3]
	s_waitcnt lgkmcnt(6)
	global_store_dword v[18:19], v42, off
	s_or_b64 exec, exec, s[4:5]
	v_cmp_gt_u32_e32 vcc, s33, v44
	s_and_saveexec_b64 s[4:5], vcc
	s_cbranch_execnz .LBB3679_191
.LBB3679_154:
	s_or_b64 exec, exec, s[4:5]
	v_cmp_gt_u32_e32 vcc, s33, v40
	s_and_saveexec_b64 s[4:5], vcc
	s_cbranch_execz .LBB3679_196
.LBB3679_155:
	v_cmp_ge_u32_e32 vcc, v40, v20
                                        ; implicit-def: $vgpr18_vgpr19
	s_and_saveexec_b64 s[6:7], vcc
	s_xor_b64 s[6:7], exec, s[6:7]
; %bb.156:
	v_xor_b32_e32 v18, 0xfffff7ff, v0
	v_ashrrev_i32_e32 v19, 31, v18
	v_lshl_add_u64 v[18:19], v[6:7], 0, v[18:19]
                                        ; implicit-def: $vgpr40_vgpr41
; %bb.157:
	s_andn2_saveexec_b64 s[6:7], s[6:7]
; %bb.158:
	v_lshl_add_u64 v[18:19], v[2:3], 0, v[40:41]
; %bb.159:
	s_or_b64 exec, exec, s[6:7]
	v_lshl_add_u64 v[18:19], v[18:19], 2, s[2:3]
	s_waitcnt lgkmcnt(5)
	global_store_dword v[18:19], v36, off
	s_or_b64 exec, exec, s[4:5]
	v_cmp_gt_u32_e32 vcc, s33, v38
	s_and_saveexec_b64 s[4:5], vcc
	s_cbranch_execnz .LBB3679_197
.LBB3679_160:
	s_or_b64 exec, exec, s[4:5]
	v_cmp_gt_u32_e32 vcc, s33, v34
	s_and_saveexec_b64 s[4:5], vcc
	s_cbranch_execz .LBB3679_202
.LBB3679_161:
	v_cmp_ge_u32_e32 vcc, v34, v20
                                        ; implicit-def: $vgpr18_vgpr19
	s_and_saveexec_b64 s[6:7], vcc
	s_xor_b64 s[6:7], exec, s[6:7]
; %bb.162:
	v_xor_b32_e32 v18, 0xfffff3ff, v0
	v_ashrrev_i32_e32 v19, 31, v18
	v_lshl_add_u64 v[18:19], v[6:7], 0, v[18:19]
                                        ; implicit-def: $vgpr34_vgpr35
; %bb.163:
	s_andn2_saveexec_b64 s[6:7], s[6:7]
; %bb.164:
	v_lshl_add_u64 v[18:19], v[2:3], 0, v[34:35]
; %bb.165:
	s_or_b64 exec, exec, s[6:7]
	v_lshl_add_u64 v[18:19], v[18:19], 2, s[2:3]
	s_waitcnt lgkmcnt(4)
	global_store_dword v[18:19], v30, off
	s_or_b64 exec, exec, s[4:5]
	v_cmp_gt_u32_e32 vcc, s33, v32
	s_and_saveexec_b64 s[4:5], vcc
	s_cbranch_execnz .LBB3679_203
.LBB3679_166:
	s_or_b64 exec, exec, s[4:5]
	v_cmp_gt_u32_e32 vcc, s33, v28
	s_and_saveexec_b64 s[4:5], vcc
	s_cbranch_execz .LBB3679_208
.LBB3679_167:
	v_cmp_ge_u32_e32 vcc, v28, v20
                                        ; implicit-def: $vgpr18_vgpr19
	s_and_saveexec_b64 s[6:7], vcc
	s_xor_b64 s[6:7], exec, s[6:7]
; %bb.168:
	v_xor_b32_e32 v18, 0xffffefff, v0
	v_ashrrev_i32_e32 v19, 31, v18
	v_lshl_add_u64 v[18:19], v[6:7], 0, v[18:19]
                                        ; implicit-def: $vgpr28_vgpr29
; %bb.169:
	s_andn2_saveexec_b64 s[6:7], s[6:7]
; %bb.170:
	v_lshl_add_u64 v[18:19], v[2:3], 0, v[28:29]
; %bb.171:
	s_or_b64 exec, exec, s[6:7]
	v_lshl_add_u64 v[18:19], v[18:19], 2, s[2:3]
	s_waitcnt lgkmcnt(3)
	global_store_dword v[18:19], v24, off
	s_or_b64 exec, exec, s[4:5]
	v_cmp_gt_u32_e32 vcc, s33, v26
	s_and_saveexec_b64 s[4:5], vcc
	s_cbranch_execnz .LBB3679_209
.LBB3679_172:
	s_or_b64 exec, exec, s[4:5]
	v_cmp_gt_u32_e32 vcc, s33, v22
	s_and_saveexec_b64 s[4:5], vcc
	s_cbranch_execz .LBB3679_214
.LBB3679_173:
	v_cmp_ge_u32_e32 vcc, v22, v20
                                        ; implicit-def: $vgpr18_vgpr19
	s_and_saveexec_b64 s[6:7], vcc
	s_xor_b64 s[6:7], exec, s[6:7]
; %bb.174:
	v_xor_b32_e32 v18, 0xffffebff, v0
	v_ashrrev_i32_e32 v19, 31, v18
	v_lshl_add_u64 v[18:19], v[6:7], 0, v[18:19]
                                        ; implicit-def: $vgpr22_vgpr23
; %bb.175:
	s_andn2_saveexec_b64 s[6:7], s[6:7]
; %bb.176:
	v_lshl_add_u64 v[18:19], v[2:3], 0, v[22:23]
; %bb.177:
	s_or_b64 exec, exec, s[6:7]
	v_lshl_add_u64 v[18:19], v[18:19], 2, s[2:3]
	s_waitcnt lgkmcnt(2)
	global_store_dword v[18:19], v14, off
	s_or_b64 exec, exec, s[4:5]
	v_cmp_gt_u32_e32 vcc, s33, v16
	s_and_saveexec_b64 s[4:5], vcc
	s_cbranch_execnz .LBB3679_215
.LBB3679_178:
	s_or_b64 exec, exec, s[4:5]
	v_cmp_gt_u32_e32 vcc, s33, v12
	s_and_saveexec_b64 s[4:5], vcc
	s_cbranch_execz .LBB3679_220
.LBB3679_179:
	v_cmp_ge_u32_e32 vcc, v12, v20
                                        ; implicit-def: $vgpr14_vgpr15
	s_and_saveexec_b64 s[6:7], vcc
	s_xor_b64 s[6:7], exec, s[6:7]
	s_cbranch_execz .LBB3679_181
; %bb.180:
	v_xor_b32_e32 v12, 0xffffe7ff, v0
	v_ashrrev_i32_e32 v13, 31, v12
	s_waitcnt lgkmcnt(2)
	v_lshl_add_u64 v[14:15], v[6:7], 0, v[12:13]
                                        ; implicit-def: $vgpr12_vgpr13
.LBB3679_181:
	s_andn2_saveexec_b64 s[6:7], s[6:7]
	s_cbranch_execz .LBB3679_183
; %bb.182:
	s_waitcnt lgkmcnt(2)
	v_lshl_add_u64 v[14:15], v[2:3], 0, v[12:13]
.LBB3679_183:
	s_or_b64 exec, exec, s[6:7]
	s_waitcnt lgkmcnt(2)
	v_lshl_add_u64 v[12:13], v[14:15], 2, s[2:3]
	s_waitcnt lgkmcnt(1)
	global_store_dword v[12:13], v8, off
	s_or_b64 exec, exec, s[4:5]
	v_cmp_gt_u32_e32 vcc, s33, v10
	s_and_saveexec_b64 s[4:5], vcc
	s_cbranch_execz .LBB3679_226
	s_branch .LBB3679_221
.LBB3679_184:
	s_or_b64 exec, exec, s[4:5]
	v_cmp_gt_u32_e32 vcc, s33, v50
	s_and_saveexec_b64 s[4:5], vcc
	s_cbranch_execz .LBB3679_148
.LBB3679_185:
	v_cmp_ge_u32_e32 vcc, v50, v20
                                        ; implicit-def: $vgpr18_vgpr19
	s_and_saveexec_b64 s[6:7], vcc
	s_xor_b64 s[6:7], exec, s[6:7]
; %bb.186:
	v_xor_b32_e32 v18, 0xfffffdff, v0
	v_ashrrev_i32_e32 v19, 31, v18
	v_lshl_add_u64 v[18:19], v[6:7], 0, v[18:19]
                                        ; implicit-def: $vgpr50_vgpr51
; %bb.187:
	s_andn2_saveexec_b64 s[6:7], s[6:7]
; %bb.188:
	v_lshl_add_u64 v[18:19], v[2:3], 0, v[50:51]
; %bb.189:
	s_or_b64 exec, exec, s[6:7]
	v_lshl_add_u64 v[18:19], v[18:19], 2, s[2:3]
	s_waitcnt lgkmcnt(7)
	global_store_dword v[18:19], v49, off
	s_or_b64 exec, exec, s[4:5]
	v_cmp_gt_u32_e32 vcc, s33, v46
	s_and_saveexec_b64 s[4:5], vcc
	s_cbranch_execnz .LBB3679_149
.LBB3679_190:
	s_or_b64 exec, exec, s[4:5]
	v_cmp_gt_u32_e32 vcc, s33, v44
	s_and_saveexec_b64 s[4:5], vcc
	s_cbranch_execz .LBB3679_154
.LBB3679_191:
	v_cmp_ge_u32_e32 vcc, v44, v20
                                        ; implicit-def: $vgpr18_vgpr19
	s_and_saveexec_b64 s[6:7], vcc
	s_xor_b64 s[6:7], exec, s[6:7]
; %bb.192:
	v_xor_b32_e32 v18, 0xfffff9ff, v0
	v_ashrrev_i32_e32 v19, 31, v18
	v_lshl_add_u64 v[18:19], v[6:7], 0, v[18:19]
                                        ; implicit-def: $vgpr44_vgpr45
; %bb.193:
	s_andn2_saveexec_b64 s[6:7], s[6:7]
; %bb.194:
	v_lshl_add_u64 v[18:19], v[2:3], 0, v[44:45]
; %bb.195:
	s_or_b64 exec, exec, s[6:7]
	v_lshl_add_u64 v[18:19], v[18:19], 2, s[2:3]
	s_waitcnt lgkmcnt(6)
	global_store_dword v[18:19], v43, off
	s_or_b64 exec, exec, s[4:5]
	v_cmp_gt_u32_e32 vcc, s33, v40
	s_and_saveexec_b64 s[4:5], vcc
	s_cbranch_execnz .LBB3679_155
.LBB3679_196:
	s_or_b64 exec, exec, s[4:5]
	v_cmp_gt_u32_e32 vcc, s33, v38
	s_and_saveexec_b64 s[4:5], vcc
	s_cbranch_execz .LBB3679_160
.LBB3679_197:
	v_cmp_ge_u32_e32 vcc, v38, v20
                                        ; implicit-def: $vgpr18_vgpr19
	s_and_saveexec_b64 s[6:7], vcc
	s_xor_b64 s[6:7], exec, s[6:7]
; %bb.198:
	v_xor_b32_e32 v18, 0xfffff5ff, v0
	v_ashrrev_i32_e32 v19, 31, v18
	v_lshl_add_u64 v[18:19], v[6:7], 0, v[18:19]
                                        ; implicit-def: $vgpr38_vgpr39
; %bb.199:
	s_andn2_saveexec_b64 s[6:7], s[6:7]
; %bb.200:
	v_lshl_add_u64 v[18:19], v[2:3], 0, v[38:39]
; %bb.201:
	s_or_b64 exec, exec, s[6:7]
	v_lshl_add_u64 v[18:19], v[18:19], 2, s[2:3]
	s_waitcnt lgkmcnt(5)
	global_store_dword v[18:19], v37, off
	s_or_b64 exec, exec, s[4:5]
	v_cmp_gt_u32_e32 vcc, s33, v34
	s_and_saveexec_b64 s[4:5], vcc
	s_cbranch_execnz .LBB3679_161
.LBB3679_202:
	s_or_b64 exec, exec, s[4:5]
	v_cmp_gt_u32_e32 vcc, s33, v32
	s_and_saveexec_b64 s[4:5], vcc
	s_cbranch_execz .LBB3679_166
.LBB3679_203:
	v_cmp_ge_u32_e32 vcc, v32, v20
                                        ; implicit-def: $vgpr18_vgpr19
	s_and_saveexec_b64 s[6:7], vcc
	s_xor_b64 s[6:7], exec, s[6:7]
; %bb.204:
	v_xor_b32_e32 v18, 0xfffff1ff, v0
	v_ashrrev_i32_e32 v19, 31, v18
	v_lshl_add_u64 v[18:19], v[6:7], 0, v[18:19]
                                        ; implicit-def: $vgpr32_vgpr33
; %bb.205:
	s_andn2_saveexec_b64 s[6:7], s[6:7]
; %bb.206:
	v_lshl_add_u64 v[18:19], v[2:3], 0, v[32:33]
; %bb.207:
	s_or_b64 exec, exec, s[6:7]
	v_lshl_add_u64 v[18:19], v[18:19], 2, s[2:3]
	s_waitcnt lgkmcnt(4)
	global_store_dword v[18:19], v31, off
	s_or_b64 exec, exec, s[4:5]
	v_cmp_gt_u32_e32 vcc, s33, v28
	s_and_saveexec_b64 s[4:5], vcc
	s_cbranch_execnz .LBB3679_167
.LBB3679_208:
	s_or_b64 exec, exec, s[4:5]
	v_cmp_gt_u32_e32 vcc, s33, v26
	s_and_saveexec_b64 s[4:5], vcc
	s_cbranch_execz .LBB3679_172
.LBB3679_209:
	v_cmp_ge_u32_e32 vcc, v26, v20
                                        ; implicit-def: $vgpr18_vgpr19
	s_and_saveexec_b64 s[6:7], vcc
	s_xor_b64 s[6:7], exec, s[6:7]
; %bb.210:
	v_xor_b32_e32 v18, 0xffffedff, v0
	v_ashrrev_i32_e32 v19, 31, v18
	v_lshl_add_u64 v[18:19], v[6:7], 0, v[18:19]
                                        ; implicit-def: $vgpr26_vgpr27
; %bb.211:
	s_andn2_saveexec_b64 s[6:7], s[6:7]
; %bb.212:
	v_lshl_add_u64 v[18:19], v[2:3], 0, v[26:27]
; %bb.213:
	s_or_b64 exec, exec, s[6:7]
	v_lshl_add_u64 v[18:19], v[18:19], 2, s[2:3]
	s_waitcnt lgkmcnt(3)
	global_store_dword v[18:19], v25, off
	s_or_b64 exec, exec, s[4:5]
	v_cmp_gt_u32_e32 vcc, s33, v22
	s_and_saveexec_b64 s[4:5], vcc
	s_cbranch_execnz .LBB3679_173
.LBB3679_214:
	s_or_b64 exec, exec, s[4:5]
	v_cmp_gt_u32_e32 vcc, s33, v16
	s_and_saveexec_b64 s[4:5], vcc
	s_cbranch_execz .LBB3679_178
.LBB3679_215:
	v_cmp_ge_u32_e32 vcc, v16, v20
                                        ; implicit-def: $vgpr18_vgpr19
	s_and_saveexec_b64 s[6:7], vcc
	s_xor_b64 s[6:7], exec, s[6:7]
; %bb.216:
	v_xor_b32_e32 v16, 0xffffe9ff, v0
	v_ashrrev_i32_e32 v17, 31, v16
	v_lshl_add_u64 v[18:19], v[6:7], 0, v[16:17]
                                        ; implicit-def: $vgpr16_vgpr17
; %bb.217:
	s_andn2_saveexec_b64 s[6:7], s[6:7]
; %bb.218:
	v_lshl_add_u64 v[18:19], v[2:3], 0, v[16:17]
; %bb.219:
	s_or_b64 exec, exec, s[6:7]
	v_lshl_add_u64 v[16:17], v[18:19], 2, s[2:3]
	s_waitcnt lgkmcnt(2)
	global_store_dword v[16:17], v15, off
	s_or_b64 exec, exec, s[4:5]
	v_cmp_gt_u32_e32 vcc, s33, v12
	s_and_saveexec_b64 s[4:5], vcc
	s_cbranch_execnz .LBB3679_179
.LBB3679_220:
	s_or_b64 exec, exec, s[4:5]
	v_cmp_gt_u32_e32 vcc, s33, v10
	s_and_saveexec_b64 s[4:5], vcc
	s_cbranch_execz .LBB3679_226
.LBB3679_221:
	v_cmp_ge_u32_e32 vcc, v10, v20
                                        ; implicit-def: $vgpr12_vgpr13
	s_and_saveexec_b64 s[6:7], vcc
	s_xor_b64 s[6:7], exec, s[6:7]
; %bb.222:
	v_xor_b32_e32 v10, 0xffffe5ff, v0
	v_ashrrev_i32_e32 v11, 31, v10
	v_lshl_add_u64 v[12:13], v[6:7], 0, v[10:11]
                                        ; implicit-def: $vgpr10_vgpr11
; %bb.223:
	s_andn2_saveexec_b64 s[6:7], s[6:7]
; %bb.224:
	v_lshl_add_u64 v[12:13], v[2:3], 0, v[10:11]
; %bb.225:
	s_or_b64 exec, exec, s[6:7]
	v_lshl_add_u64 v[10:11], v[12:13], 2, s[2:3]
	s_waitcnt lgkmcnt(1)
	global_store_dword v[10:11], v9, off
.LBB3679_226:
	s_or_b64 exec, exec, s[4:5]
	v_cmp_gt_u32_e32 vcc, s33, v4
                                        ; implicit-def: $vgpr18_vgpr19
	s_and_saveexec_b64 s[4:5], vcc
	s_cbranch_execz .LBB3679_232
; %bb.227:
	v_cmp_ge_u32_e32 vcc, v4, v20
                                        ; implicit-def: $vgpr18_vgpr19
	s_and_saveexec_b64 s[6:7], vcc
	s_xor_b64 s[6:7], exec, s[6:7]
; %bb.228:
	v_xor_b32_e32 v4, 0xffffe3ff, v0
	v_ashrrev_i32_e32 v5, 31, v4
	v_lshl_add_u64 v[18:19], v[6:7], 0, v[4:5]
                                        ; implicit-def: $vgpr4_vgpr5
; %bb.229:
	s_andn2_saveexec_b64 s[6:7], s[6:7]
; %bb.230:
	v_lshl_add_u64 v[18:19], v[2:3], 0, v[4:5]
; %bb.231:
	s_or_b64 exec, exec, s[6:7]
	s_or_b64 s[0:1], s[0:1], exec
.LBB3679_232:
	s_or_b64 exec, exec, s[4:5]
.LBB3679_233:
	s_and_saveexec_b64 s[4:5], s[0:1]
	s_cbranch_execz .LBB3679_235
; %bb.234:
	v_lshl_add_u64 v[4:5], v[18:19], 2, s[2:3]
	s_waitcnt lgkmcnt(0)
	global_store_dword v[4:5], v54, off
.LBB3679_235:
	s_or_b64 exec, exec, s[4:5]
	v_cmp_eq_u32_e32 vcc, 0, v0
	s_and_b64 s[0:1], vcc, s[26:27]
	s_and_saveexec_b64 s[2:3], s[0:1]
	s_cbranch_execz .LBB3679_237
; %bb.236:
	v_mov_b32_e32 v4, 0
	v_lshl_add_u64 v[0:1], v[2:3], 0, v[20:21]
	global_store_dwordx2 v4, v[0:1], s[24:25]
.LBB3679_237:
	s_endpgm
	.section	.rodata,"a",@progbits
	.p2align	6, 0x0
	.amdhsa_kernel _ZN7rocprim17ROCPRIM_400000_NS6detail17trampoline_kernelINS0_14default_configENS1_25partition_config_selectorILNS1_17partition_subalgoE3EiNS0_10empty_typeEbEEZZNS1_14partition_implILS5_3ELb0ES3_jN6thrust23THRUST_200600_302600_NS6detail15normal_iteratorINSA_7pointerIiNSA_11hip_rocprim5par_tENSA_11use_defaultESG_EEEEPS6_SJ_NS0_5tupleIJPiSJ_EEENSK_IJSJ_SJ_EEES6_PlJ7is_evenIiEEEE10hipError_tPvRmT3_T4_T5_T6_T7_T9_mT8_P12ihipStream_tbDpT10_ENKUlT_T0_E_clISt17integral_constantIbLb1EES19_IbLb0EEEEDaS15_S16_EUlS15_E_NS1_11comp_targetILNS1_3genE5ELNS1_11target_archE942ELNS1_3gpuE9ELNS1_3repE0EEENS1_30default_config_static_selectorELNS0_4arch9wavefront6targetE1EEEvT1_
		.amdhsa_group_segment_fixed_size 30728
		.amdhsa_private_segment_fixed_size 0
		.amdhsa_kernarg_size 120
		.amdhsa_user_sgpr_count 2
		.amdhsa_user_sgpr_dispatch_ptr 0
		.amdhsa_user_sgpr_queue_ptr 0
		.amdhsa_user_sgpr_kernarg_segment_ptr 1
		.amdhsa_user_sgpr_dispatch_id 0
		.amdhsa_user_sgpr_kernarg_preload_length 0
		.amdhsa_user_sgpr_kernarg_preload_offset 0
		.amdhsa_user_sgpr_private_segment_size 0
		.amdhsa_uses_dynamic_stack 0
		.amdhsa_enable_private_segment 0
		.amdhsa_system_sgpr_workgroup_id_x 1
		.amdhsa_system_sgpr_workgroup_id_y 0
		.amdhsa_system_sgpr_workgroup_id_z 0
		.amdhsa_system_sgpr_workgroup_info 0
		.amdhsa_system_vgpr_workitem_id 0
		.amdhsa_next_free_vgpr 76
		.amdhsa_next_free_sgpr 46
		.amdhsa_accum_offset 76
		.amdhsa_reserve_vcc 1
		.amdhsa_float_round_mode_32 0
		.amdhsa_float_round_mode_16_64 0
		.amdhsa_float_denorm_mode_32 3
		.amdhsa_float_denorm_mode_16_64 3
		.amdhsa_dx10_clamp 1
		.amdhsa_ieee_mode 1
		.amdhsa_fp16_overflow 0
		.amdhsa_tg_split 0
		.amdhsa_exception_fp_ieee_invalid_op 0
		.amdhsa_exception_fp_denorm_src 0
		.amdhsa_exception_fp_ieee_div_zero 0
		.amdhsa_exception_fp_ieee_overflow 0
		.amdhsa_exception_fp_ieee_underflow 0
		.amdhsa_exception_fp_ieee_inexact 0
		.amdhsa_exception_int_div_zero 0
	.end_amdhsa_kernel
	.section	.text._ZN7rocprim17ROCPRIM_400000_NS6detail17trampoline_kernelINS0_14default_configENS1_25partition_config_selectorILNS1_17partition_subalgoE3EiNS0_10empty_typeEbEEZZNS1_14partition_implILS5_3ELb0ES3_jN6thrust23THRUST_200600_302600_NS6detail15normal_iteratorINSA_7pointerIiNSA_11hip_rocprim5par_tENSA_11use_defaultESG_EEEEPS6_SJ_NS0_5tupleIJPiSJ_EEENSK_IJSJ_SJ_EEES6_PlJ7is_evenIiEEEE10hipError_tPvRmT3_T4_T5_T6_T7_T9_mT8_P12ihipStream_tbDpT10_ENKUlT_T0_E_clISt17integral_constantIbLb1EES19_IbLb0EEEEDaS15_S16_EUlS15_E_NS1_11comp_targetILNS1_3genE5ELNS1_11target_archE942ELNS1_3gpuE9ELNS1_3repE0EEENS1_30default_config_static_selectorELNS0_4arch9wavefront6targetE1EEEvT1_,"axG",@progbits,_ZN7rocprim17ROCPRIM_400000_NS6detail17trampoline_kernelINS0_14default_configENS1_25partition_config_selectorILNS1_17partition_subalgoE3EiNS0_10empty_typeEbEEZZNS1_14partition_implILS5_3ELb0ES3_jN6thrust23THRUST_200600_302600_NS6detail15normal_iteratorINSA_7pointerIiNSA_11hip_rocprim5par_tENSA_11use_defaultESG_EEEEPS6_SJ_NS0_5tupleIJPiSJ_EEENSK_IJSJ_SJ_EEES6_PlJ7is_evenIiEEEE10hipError_tPvRmT3_T4_T5_T6_T7_T9_mT8_P12ihipStream_tbDpT10_ENKUlT_T0_E_clISt17integral_constantIbLb1EES19_IbLb0EEEEDaS15_S16_EUlS15_E_NS1_11comp_targetILNS1_3genE5ELNS1_11target_archE942ELNS1_3gpuE9ELNS1_3repE0EEENS1_30default_config_static_selectorELNS0_4arch9wavefront6targetE1EEEvT1_,comdat
.Lfunc_end3679:
	.size	_ZN7rocprim17ROCPRIM_400000_NS6detail17trampoline_kernelINS0_14default_configENS1_25partition_config_selectorILNS1_17partition_subalgoE3EiNS0_10empty_typeEbEEZZNS1_14partition_implILS5_3ELb0ES3_jN6thrust23THRUST_200600_302600_NS6detail15normal_iteratorINSA_7pointerIiNSA_11hip_rocprim5par_tENSA_11use_defaultESG_EEEEPS6_SJ_NS0_5tupleIJPiSJ_EEENSK_IJSJ_SJ_EEES6_PlJ7is_evenIiEEEE10hipError_tPvRmT3_T4_T5_T6_T7_T9_mT8_P12ihipStream_tbDpT10_ENKUlT_T0_E_clISt17integral_constantIbLb1EES19_IbLb0EEEEDaS15_S16_EUlS15_E_NS1_11comp_targetILNS1_3genE5ELNS1_11target_archE942ELNS1_3gpuE9ELNS1_3repE0EEENS1_30default_config_static_selectorELNS0_4arch9wavefront6targetE1EEEvT1_, .Lfunc_end3679-_ZN7rocprim17ROCPRIM_400000_NS6detail17trampoline_kernelINS0_14default_configENS1_25partition_config_selectorILNS1_17partition_subalgoE3EiNS0_10empty_typeEbEEZZNS1_14partition_implILS5_3ELb0ES3_jN6thrust23THRUST_200600_302600_NS6detail15normal_iteratorINSA_7pointerIiNSA_11hip_rocprim5par_tENSA_11use_defaultESG_EEEEPS6_SJ_NS0_5tupleIJPiSJ_EEENSK_IJSJ_SJ_EEES6_PlJ7is_evenIiEEEE10hipError_tPvRmT3_T4_T5_T6_T7_T9_mT8_P12ihipStream_tbDpT10_ENKUlT_T0_E_clISt17integral_constantIbLb1EES19_IbLb0EEEEDaS15_S16_EUlS15_E_NS1_11comp_targetILNS1_3genE5ELNS1_11target_archE942ELNS1_3gpuE9ELNS1_3repE0EEENS1_30default_config_static_selectorELNS0_4arch9wavefront6targetE1EEEvT1_
                                        ; -- End function
	.section	.AMDGPU.csdata,"",@progbits
; Kernel info:
; codeLenInByte = 7596
; NumSgprs: 52
; NumVgprs: 76
; NumAgprs: 0
; TotalNumVgprs: 76
; ScratchSize: 0
; MemoryBound: 0
; FloatMode: 240
; IeeeMode: 1
; LDSByteSize: 30728 bytes/workgroup (compile time only)
; SGPRBlocks: 6
; VGPRBlocks: 9
; NumSGPRsForWavesPerEU: 52
; NumVGPRsForWavesPerEU: 76
; AccumOffset: 76
; Occupancy: 4
; WaveLimiterHint : 1
; COMPUTE_PGM_RSRC2:SCRATCH_EN: 0
; COMPUTE_PGM_RSRC2:USER_SGPR: 2
; COMPUTE_PGM_RSRC2:TRAP_HANDLER: 0
; COMPUTE_PGM_RSRC2:TGID_X_EN: 1
; COMPUTE_PGM_RSRC2:TGID_Y_EN: 0
; COMPUTE_PGM_RSRC2:TGID_Z_EN: 0
; COMPUTE_PGM_RSRC2:TIDIG_COMP_CNT: 0
; COMPUTE_PGM_RSRC3_GFX90A:ACCUM_OFFSET: 18
; COMPUTE_PGM_RSRC3_GFX90A:TG_SPLIT: 0
	.section	.text._ZN7rocprim17ROCPRIM_400000_NS6detail17trampoline_kernelINS0_14default_configENS1_25partition_config_selectorILNS1_17partition_subalgoE3EiNS0_10empty_typeEbEEZZNS1_14partition_implILS5_3ELb0ES3_jN6thrust23THRUST_200600_302600_NS6detail15normal_iteratorINSA_7pointerIiNSA_11hip_rocprim5par_tENSA_11use_defaultESG_EEEEPS6_SJ_NS0_5tupleIJPiSJ_EEENSK_IJSJ_SJ_EEES6_PlJ7is_evenIiEEEE10hipError_tPvRmT3_T4_T5_T6_T7_T9_mT8_P12ihipStream_tbDpT10_ENKUlT_T0_E_clISt17integral_constantIbLb1EES19_IbLb0EEEEDaS15_S16_EUlS15_E_NS1_11comp_targetILNS1_3genE4ELNS1_11target_archE910ELNS1_3gpuE8ELNS1_3repE0EEENS1_30default_config_static_selectorELNS0_4arch9wavefront6targetE1EEEvT1_,"axG",@progbits,_ZN7rocprim17ROCPRIM_400000_NS6detail17trampoline_kernelINS0_14default_configENS1_25partition_config_selectorILNS1_17partition_subalgoE3EiNS0_10empty_typeEbEEZZNS1_14partition_implILS5_3ELb0ES3_jN6thrust23THRUST_200600_302600_NS6detail15normal_iteratorINSA_7pointerIiNSA_11hip_rocprim5par_tENSA_11use_defaultESG_EEEEPS6_SJ_NS0_5tupleIJPiSJ_EEENSK_IJSJ_SJ_EEES6_PlJ7is_evenIiEEEE10hipError_tPvRmT3_T4_T5_T6_T7_T9_mT8_P12ihipStream_tbDpT10_ENKUlT_T0_E_clISt17integral_constantIbLb1EES19_IbLb0EEEEDaS15_S16_EUlS15_E_NS1_11comp_targetILNS1_3genE4ELNS1_11target_archE910ELNS1_3gpuE8ELNS1_3repE0EEENS1_30default_config_static_selectorELNS0_4arch9wavefront6targetE1EEEvT1_,comdat
	.protected	_ZN7rocprim17ROCPRIM_400000_NS6detail17trampoline_kernelINS0_14default_configENS1_25partition_config_selectorILNS1_17partition_subalgoE3EiNS0_10empty_typeEbEEZZNS1_14partition_implILS5_3ELb0ES3_jN6thrust23THRUST_200600_302600_NS6detail15normal_iteratorINSA_7pointerIiNSA_11hip_rocprim5par_tENSA_11use_defaultESG_EEEEPS6_SJ_NS0_5tupleIJPiSJ_EEENSK_IJSJ_SJ_EEES6_PlJ7is_evenIiEEEE10hipError_tPvRmT3_T4_T5_T6_T7_T9_mT8_P12ihipStream_tbDpT10_ENKUlT_T0_E_clISt17integral_constantIbLb1EES19_IbLb0EEEEDaS15_S16_EUlS15_E_NS1_11comp_targetILNS1_3genE4ELNS1_11target_archE910ELNS1_3gpuE8ELNS1_3repE0EEENS1_30default_config_static_selectorELNS0_4arch9wavefront6targetE1EEEvT1_ ; -- Begin function _ZN7rocprim17ROCPRIM_400000_NS6detail17trampoline_kernelINS0_14default_configENS1_25partition_config_selectorILNS1_17partition_subalgoE3EiNS0_10empty_typeEbEEZZNS1_14partition_implILS5_3ELb0ES3_jN6thrust23THRUST_200600_302600_NS6detail15normal_iteratorINSA_7pointerIiNSA_11hip_rocprim5par_tENSA_11use_defaultESG_EEEEPS6_SJ_NS0_5tupleIJPiSJ_EEENSK_IJSJ_SJ_EEES6_PlJ7is_evenIiEEEE10hipError_tPvRmT3_T4_T5_T6_T7_T9_mT8_P12ihipStream_tbDpT10_ENKUlT_T0_E_clISt17integral_constantIbLb1EES19_IbLb0EEEEDaS15_S16_EUlS15_E_NS1_11comp_targetILNS1_3genE4ELNS1_11target_archE910ELNS1_3gpuE8ELNS1_3repE0EEENS1_30default_config_static_selectorELNS0_4arch9wavefront6targetE1EEEvT1_
	.globl	_ZN7rocprim17ROCPRIM_400000_NS6detail17trampoline_kernelINS0_14default_configENS1_25partition_config_selectorILNS1_17partition_subalgoE3EiNS0_10empty_typeEbEEZZNS1_14partition_implILS5_3ELb0ES3_jN6thrust23THRUST_200600_302600_NS6detail15normal_iteratorINSA_7pointerIiNSA_11hip_rocprim5par_tENSA_11use_defaultESG_EEEEPS6_SJ_NS0_5tupleIJPiSJ_EEENSK_IJSJ_SJ_EEES6_PlJ7is_evenIiEEEE10hipError_tPvRmT3_T4_T5_T6_T7_T9_mT8_P12ihipStream_tbDpT10_ENKUlT_T0_E_clISt17integral_constantIbLb1EES19_IbLb0EEEEDaS15_S16_EUlS15_E_NS1_11comp_targetILNS1_3genE4ELNS1_11target_archE910ELNS1_3gpuE8ELNS1_3repE0EEENS1_30default_config_static_selectorELNS0_4arch9wavefront6targetE1EEEvT1_
	.p2align	8
	.type	_ZN7rocprim17ROCPRIM_400000_NS6detail17trampoline_kernelINS0_14default_configENS1_25partition_config_selectorILNS1_17partition_subalgoE3EiNS0_10empty_typeEbEEZZNS1_14partition_implILS5_3ELb0ES3_jN6thrust23THRUST_200600_302600_NS6detail15normal_iteratorINSA_7pointerIiNSA_11hip_rocprim5par_tENSA_11use_defaultESG_EEEEPS6_SJ_NS0_5tupleIJPiSJ_EEENSK_IJSJ_SJ_EEES6_PlJ7is_evenIiEEEE10hipError_tPvRmT3_T4_T5_T6_T7_T9_mT8_P12ihipStream_tbDpT10_ENKUlT_T0_E_clISt17integral_constantIbLb1EES19_IbLb0EEEEDaS15_S16_EUlS15_E_NS1_11comp_targetILNS1_3genE4ELNS1_11target_archE910ELNS1_3gpuE8ELNS1_3repE0EEENS1_30default_config_static_selectorELNS0_4arch9wavefront6targetE1EEEvT1_,@function
_ZN7rocprim17ROCPRIM_400000_NS6detail17trampoline_kernelINS0_14default_configENS1_25partition_config_selectorILNS1_17partition_subalgoE3EiNS0_10empty_typeEbEEZZNS1_14partition_implILS5_3ELb0ES3_jN6thrust23THRUST_200600_302600_NS6detail15normal_iteratorINSA_7pointerIiNSA_11hip_rocprim5par_tENSA_11use_defaultESG_EEEEPS6_SJ_NS0_5tupleIJPiSJ_EEENSK_IJSJ_SJ_EEES6_PlJ7is_evenIiEEEE10hipError_tPvRmT3_T4_T5_T6_T7_T9_mT8_P12ihipStream_tbDpT10_ENKUlT_T0_E_clISt17integral_constantIbLb1EES19_IbLb0EEEEDaS15_S16_EUlS15_E_NS1_11comp_targetILNS1_3genE4ELNS1_11target_archE910ELNS1_3gpuE8ELNS1_3repE0EEENS1_30default_config_static_selectorELNS0_4arch9wavefront6targetE1EEEvT1_: ; @_ZN7rocprim17ROCPRIM_400000_NS6detail17trampoline_kernelINS0_14default_configENS1_25partition_config_selectorILNS1_17partition_subalgoE3EiNS0_10empty_typeEbEEZZNS1_14partition_implILS5_3ELb0ES3_jN6thrust23THRUST_200600_302600_NS6detail15normal_iteratorINSA_7pointerIiNSA_11hip_rocprim5par_tENSA_11use_defaultESG_EEEEPS6_SJ_NS0_5tupleIJPiSJ_EEENSK_IJSJ_SJ_EEES6_PlJ7is_evenIiEEEE10hipError_tPvRmT3_T4_T5_T6_T7_T9_mT8_P12ihipStream_tbDpT10_ENKUlT_T0_E_clISt17integral_constantIbLb1EES19_IbLb0EEEEDaS15_S16_EUlS15_E_NS1_11comp_targetILNS1_3genE4ELNS1_11target_archE910ELNS1_3gpuE8ELNS1_3repE0EEENS1_30default_config_static_selectorELNS0_4arch9wavefront6targetE1EEEvT1_
; %bb.0:
	.section	.rodata,"a",@progbits
	.p2align	6, 0x0
	.amdhsa_kernel _ZN7rocprim17ROCPRIM_400000_NS6detail17trampoline_kernelINS0_14default_configENS1_25partition_config_selectorILNS1_17partition_subalgoE3EiNS0_10empty_typeEbEEZZNS1_14partition_implILS5_3ELb0ES3_jN6thrust23THRUST_200600_302600_NS6detail15normal_iteratorINSA_7pointerIiNSA_11hip_rocprim5par_tENSA_11use_defaultESG_EEEEPS6_SJ_NS0_5tupleIJPiSJ_EEENSK_IJSJ_SJ_EEES6_PlJ7is_evenIiEEEE10hipError_tPvRmT3_T4_T5_T6_T7_T9_mT8_P12ihipStream_tbDpT10_ENKUlT_T0_E_clISt17integral_constantIbLb1EES19_IbLb0EEEEDaS15_S16_EUlS15_E_NS1_11comp_targetILNS1_3genE4ELNS1_11target_archE910ELNS1_3gpuE8ELNS1_3repE0EEENS1_30default_config_static_selectorELNS0_4arch9wavefront6targetE1EEEvT1_
		.amdhsa_group_segment_fixed_size 0
		.amdhsa_private_segment_fixed_size 0
		.amdhsa_kernarg_size 120
		.amdhsa_user_sgpr_count 2
		.amdhsa_user_sgpr_dispatch_ptr 0
		.amdhsa_user_sgpr_queue_ptr 0
		.amdhsa_user_sgpr_kernarg_segment_ptr 1
		.amdhsa_user_sgpr_dispatch_id 0
		.amdhsa_user_sgpr_kernarg_preload_length 0
		.amdhsa_user_sgpr_kernarg_preload_offset 0
		.amdhsa_user_sgpr_private_segment_size 0
		.amdhsa_uses_dynamic_stack 0
		.amdhsa_enable_private_segment 0
		.amdhsa_system_sgpr_workgroup_id_x 1
		.amdhsa_system_sgpr_workgroup_id_y 0
		.amdhsa_system_sgpr_workgroup_id_z 0
		.amdhsa_system_sgpr_workgroup_info 0
		.amdhsa_system_vgpr_workitem_id 0
		.amdhsa_next_free_vgpr 1
		.amdhsa_next_free_sgpr 0
		.amdhsa_accum_offset 4
		.amdhsa_reserve_vcc 0
		.amdhsa_float_round_mode_32 0
		.amdhsa_float_round_mode_16_64 0
		.amdhsa_float_denorm_mode_32 3
		.amdhsa_float_denorm_mode_16_64 3
		.amdhsa_dx10_clamp 1
		.amdhsa_ieee_mode 1
		.amdhsa_fp16_overflow 0
		.amdhsa_tg_split 0
		.amdhsa_exception_fp_ieee_invalid_op 0
		.amdhsa_exception_fp_denorm_src 0
		.amdhsa_exception_fp_ieee_div_zero 0
		.amdhsa_exception_fp_ieee_overflow 0
		.amdhsa_exception_fp_ieee_underflow 0
		.amdhsa_exception_fp_ieee_inexact 0
		.amdhsa_exception_int_div_zero 0
	.end_amdhsa_kernel
	.section	.text._ZN7rocprim17ROCPRIM_400000_NS6detail17trampoline_kernelINS0_14default_configENS1_25partition_config_selectorILNS1_17partition_subalgoE3EiNS0_10empty_typeEbEEZZNS1_14partition_implILS5_3ELb0ES3_jN6thrust23THRUST_200600_302600_NS6detail15normal_iteratorINSA_7pointerIiNSA_11hip_rocprim5par_tENSA_11use_defaultESG_EEEEPS6_SJ_NS0_5tupleIJPiSJ_EEENSK_IJSJ_SJ_EEES6_PlJ7is_evenIiEEEE10hipError_tPvRmT3_T4_T5_T6_T7_T9_mT8_P12ihipStream_tbDpT10_ENKUlT_T0_E_clISt17integral_constantIbLb1EES19_IbLb0EEEEDaS15_S16_EUlS15_E_NS1_11comp_targetILNS1_3genE4ELNS1_11target_archE910ELNS1_3gpuE8ELNS1_3repE0EEENS1_30default_config_static_selectorELNS0_4arch9wavefront6targetE1EEEvT1_,"axG",@progbits,_ZN7rocprim17ROCPRIM_400000_NS6detail17trampoline_kernelINS0_14default_configENS1_25partition_config_selectorILNS1_17partition_subalgoE3EiNS0_10empty_typeEbEEZZNS1_14partition_implILS5_3ELb0ES3_jN6thrust23THRUST_200600_302600_NS6detail15normal_iteratorINSA_7pointerIiNSA_11hip_rocprim5par_tENSA_11use_defaultESG_EEEEPS6_SJ_NS0_5tupleIJPiSJ_EEENSK_IJSJ_SJ_EEES6_PlJ7is_evenIiEEEE10hipError_tPvRmT3_T4_T5_T6_T7_T9_mT8_P12ihipStream_tbDpT10_ENKUlT_T0_E_clISt17integral_constantIbLb1EES19_IbLb0EEEEDaS15_S16_EUlS15_E_NS1_11comp_targetILNS1_3genE4ELNS1_11target_archE910ELNS1_3gpuE8ELNS1_3repE0EEENS1_30default_config_static_selectorELNS0_4arch9wavefront6targetE1EEEvT1_,comdat
.Lfunc_end3680:
	.size	_ZN7rocprim17ROCPRIM_400000_NS6detail17trampoline_kernelINS0_14default_configENS1_25partition_config_selectorILNS1_17partition_subalgoE3EiNS0_10empty_typeEbEEZZNS1_14partition_implILS5_3ELb0ES3_jN6thrust23THRUST_200600_302600_NS6detail15normal_iteratorINSA_7pointerIiNSA_11hip_rocprim5par_tENSA_11use_defaultESG_EEEEPS6_SJ_NS0_5tupleIJPiSJ_EEENSK_IJSJ_SJ_EEES6_PlJ7is_evenIiEEEE10hipError_tPvRmT3_T4_T5_T6_T7_T9_mT8_P12ihipStream_tbDpT10_ENKUlT_T0_E_clISt17integral_constantIbLb1EES19_IbLb0EEEEDaS15_S16_EUlS15_E_NS1_11comp_targetILNS1_3genE4ELNS1_11target_archE910ELNS1_3gpuE8ELNS1_3repE0EEENS1_30default_config_static_selectorELNS0_4arch9wavefront6targetE1EEEvT1_, .Lfunc_end3680-_ZN7rocprim17ROCPRIM_400000_NS6detail17trampoline_kernelINS0_14default_configENS1_25partition_config_selectorILNS1_17partition_subalgoE3EiNS0_10empty_typeEbEEZZNS1_14partition_implILS5_3ELb0ES3_jN6thrust23THRUST_200600_302600_NS6detail15normal_iteratorINSA_7pointerIiNSA_11hip_rocprim5par_tENSA_11use_defaultESG_EEEEPS6_SJ_NS0_5tupleIJPiSJ_EEENSK_IJSJ_SJ_EEES6_PlJ7is_evenIiEEEE10hipError_tPvRmT3_T4_T5_T6_T7_T9_mT8_P12ihipStream_tbDpT10_ENKUlT_T0_E_clISt17integral_constantIbLb1EES19_IbLb0EEEEDaS15_S16_EUlS15_E_NS1_11comp_targetILNS1_3genE4ELNS1_11target_archE910ELNS1_3gpuE8ELNS1_3repE0EEENS1_30default_config_static_selectorELNS0_4arch9wavefront6targetE1EEEvT1_
                                        ; -- End function
	.section	.AMDGPU.csdata,"",@progbits
; Kernel info:
; codeLenInByte = 0
; NumSgprs: 6
; NumVgprs: 0
; NumAgprs: 0
; TotalNumVgprs: 0
; ScratchSize: 0
; MemoryBound: 0
; FloatMode: 240
; IeeeMode: 1
; LDSByteSize: 0 bytes/workgroup (compile time only)
; SGPRBlocks: 0
; VGPRBlocks: 0
; NumSGPRsForWavesPerEU: 6
; NumVGPRsForWavesPerEU: 1
; AccumOffset: 4
; Occupancy: 8
; WaveLimiterHint : 0
; COMPUTE_PGM_RSRC2:SCRATCH_EN: 0
; COMPUTE_PGM_RSRC2:USER_SGPR: 2
; COMPUTE_PGM_RSRC2:TRAP_HANDLER: 0
; COMPUTE_PGM_RSRC2:TGID_X_EN: 1
; COMPUTE_PGM_RSRC2:TGID_Y_EN: 0
; COMPUTE_PGM_RSRC2:TGID_Z_EN: 0
; COMPUTE_PGM_RSRC2:TIDIG_COMP_CNT: 0
; COMPUTE_PGM_RSRC3_GFX90A:ACCUM_OFFSET: 0
; COMPUTE_PGM_RSRC3_GFX90A:TG_SPLIT: 0
	.section	.text._ZN7rocprim17ROCPRIM_400000_NS6detail17trampoline_kernelINS0_14default_configENS1_25partition_config_selectorILNS1_17partition_subalgoE3EiNS0_10empty_typeEbEEZZNS1_14partition_implILS5_3ELb0ES3_jN6thrust23THRUST_200600_302600_NS6detail15normal_iteratorINSA_7pointerIiNSA_11hip_rocprim5par_tENSA_11use_defaultESG_EEEEPS6_SJ_NS0_5tupleIJPiSJ_EEENSK_IJSJ_SJ_EEES6_PlJ7is_evenIiEEEE10hipError_tPvRmT3_T4_T5_T6_T7_T9_mT8_P12ihipStream_tbDpT10_ENKUlT_T0_E_clISt17integral_constantIbLb1EES19_IbLb0EEEEDaS15_S16_EUlS15_E_NS1_11comp_targetILNS1_3genE3ELNS1_11target_archE908ELNS1_3gpuE7ELNS1_3repE0EEENS1_30default_config_static_selectorELNS0_4arch9wavefront6targetE1EEEvT1_,"axG",@progbits,_ZN7rocprim17ROCPRIM_400000_NS6detail17trampoline_kernelINS0_14default_configENS1_25partition_config_selectorILNS1_17partition_subalgoE3EiNS0_10empty_typeEbEEZZNS1_14partition_implILS5_3ELb0ES3_jN6thrust23THRUST_200600_302600_NS6detail15normal_iteratorINSA_7pointerIiNSA_11hip_rocprim5par_tENSA_11use_defaultESG_EEEEPS6_SJ_NS0_5tupleIJPiSJ_EEENSK_IJSJ_SJ_EEES6_PlJ7is_evenIiEEEE10hipError_tPvRmT3_T4_T5_T6_T7_T9_mT8_P12ihipStream_tbDpT10_ENKUlT_T0_E_clISt17integral_constantIbLb1EES19_IbLb0EEEEDaS15_S16_EUlS15_E_NS1_11comp_targetILNS1_3genE3ELNS1_11target_archE908ELNS1_3gpuE7ELNS1_3repE0EEENS1_30default_config_static_selectorELNS0_4arch9wavefront6targetE1EEEvT1_,comdat
	.protected	_ZN7rocprim17ROCPRIM_400000_NS6detail17trampoline_kernelINS0_14default_configENS1_25partition_config_selectorILNS1_17partition_subalgoE3EiNS0_10empty_typeEbEEZZNS1_14partition_implILS5_3ELb0ES3_jN6thrust23THRUST_200600_302600_NS6detail15normal_iteratorINSA_7pointerIiNSA_11hip_rocprim5par_tENSA_11use_defaultESG_EEEEPS6_SJ_NS0_5tupleIJPiSJ_EEENSK_IJSJ_SJ_EEES6_PlJ7is_evenIiEEEE10hipError_tPvRmT3_T4_T5_T6_T7_T9_mT8_P12ihipStream_tbDpT10_ENKUlT_T0_E_clISt17integral_constantIbLb1EES19_IbLb0EEEEDaS15_S16_EUlS15_E_NS1_11comp_targetILNS1_3genE3ELNS1_11target_archE908ELNS1_3gpuE7ELNS1_3repE0EEENS1_30default_config_static_selectorELNS0_4arch9wavefront6targetE1EEEvT1_ ; -- Begin function _ZN7rocprim17ROCPRIM_400000_NS6detail17trampoline_kernelINS0_14default_configENS1_25partition_config_selectorILNS1_17partition_subalgoE3EiNS0_10empty_typeEbEEZZNS1_14partition_implILS5_3ELb0ES3_jN6thrust23THRUST_200600_302600_NS6detail15normal_iteratorINSA_7pointerIiNSA_11hip_rocprim5par_tENSA_11use_defaultESG_EEEEPS6_SJ_NS0_5tupleIJPiSJ_EEENSK_IJSJ_SJ_EEES6_PlJ7is_evenIiEEEE10hipError_tPvRmT3_T4_T5_T6_T7_T9_mT8_P12ihipStream_tbDpT10_ENKUlT_T0_E_clISt17integral_constantIbLb1EES19_IbLb0EEEEDaS15_S16_EUlS15_E_NS1_11comp_targetILNS1_3genE3ELNS1_11target_archE908ELNS1_3gpuE7ELNS1_3repE0EEENS1_30default_config_static_selectorELNS0_4arch9wavefront6targetE1EEEvT1_
	.globl	_ZN7rocprim17ROCPRIM_400000_NS6detail17trampoline_kernelINS0_14default_configENS1_25partition_config_selectorILNS1_17partition_subalgoE3EiNS0_10empty_typeEbEEZZNS1_14partition_implILS5_3ELb0ES3_jN6thrust23THRUST_200600_302600_NS6detail15normal_iteratorINSA_7pointerIiNSA_11hip_rocprim5par_tENSA_11use_defaultESG_EEEEPS6_SJ_NS0_5tupleIJPiSJ_EEENSK_IJSJ_SJ_EEES6_PlJ7is_evenIiEEEE10hipError_tPvRmT3_T4_T5_T6_T7_T9_mT8_P12ihipStream_tbDpT10_ENKUlT_T0_E_clISt17integral_constantIbLb1EES19_IbLb0EEEEDaS15_S16_EUlS15_E_NS1_11comp_targetILNS1_3genE3ELNS1_11target_archE908ELNS1_3gpuE7ELNS1_3repE0EEENS1_30default_config_static_selectorELNS0_4arch9wavefront6targetE1EEEvT1_
	.p2align	8
	.type	_ZN7rocprim17ROCPRIM_400000_NS6detail17trampoline_kernelINS0_14default_configENS1_25partition_config_selectorILNS1_17partition_subalgoE3EiNS0_10empty_typeEbEEZZNS1_14partition_implILS5_3ELb0ES3_jN6thrust23THRUST_200600_302600_NS6detail15normal_iteratorINSA_7pointerIiNSA_11hip_rocprim5par_tENSA_11use_defaultESG_EEEEPS6_SJ_NS0_5tupleIJPiSJ_EEENSK_IJSJ_SJ_EEES6_PlJ7is_evenIiEEEE10hipError_tPvRmT3_T4_T5_T6_T7_T9_mT8_P12ihipStream_tbDpT10_ENKUlT_T0_E_clISt17integral_constantIbLb1EES19_IbLb0EEEEDaS15_S16_EUlS15_E_NS1_11comp_targetILNS1_3genE3ELNS1_11target_archE908ELNS1_3gpuE7ELNS1_3repE0EEENS1_30default_config_static_selectorELNS0_4arch9wavefront6targetE1EEEvT1_,@function
_ZN7rocprim17ROCPRIM_400000_NS6detail17trampoline_kernelINS0_14default_configENS1_25partition_config_selectorILNS1_17partition_subalgoE3EiNS0_10empty_typeEbEEZZNS1_14partition_implILS5_3ELb0ES3_jN6thrust23THRUST_200600_302600_NS6detail15normal_iteratorINSA_7pointerIiNSA_11hip_rocprim5par_tENSA_11use_defaultESG_EEEEPS6_SJ_NS0_5tupleIJPiSJ_EEENSK_IJSJ_SJ_EEES6_PlJ7is_evenIiEEEE10hipError_tPvRmT3_T4_T5_T6_T7_T9_mT8_P12ihipStream_tbDpT10_ENKUlT_T0_E_clISt17integral_constantIbLb1EES19_IbLb0EEEEDaS15_S16_EUlS15_E_NS1_11comp_targetILNS1_3genE3ELNS1_11target_archE908ELNS1_3gpuE7ELNS1_3repE0EEENS1_30default_config_static_selectorELNS0_4arch9wavefront6targetE1EEEvT1_: ; @_ZN7rocprim17ROCPRIM_400000_NS6detail17trampoline_kernelINS0_14default_configENS1_25partition_config_selectorILNS1_17partition_subalgoE3EiNS0_10empty_typeEbEEZZNS1_14partition_implILS5_3ELb0ES3_jN6thrust23THRUST_200600_302600_NS6detail15normal_iteratorINSA_7pointerIiNSA_11hip_rocprim5par_tENSA_11use_defaultESG_EEEEPS6_SJ_NS0_5tupleIJPiSJ_EEENSK_IJSJ_SJ_EEES6_PlJ7is_evenIiEEEE10hipError_tPvRmT3_T4_T5_T6_T7_T9_mT8_P12ihipStream_tbDpT10_ENKUlT_T0_E_clISt17integral_constantIbLb1EES19_IbLb0EEEEDaS15_S16_EUlS15_E_NS1_11comp_targetILNS1_3genE3ELNS1_11target_archE908ELNS1_3gpuE7ELNS1_3repE0EEENS1_30default_config_static_selectorELNS0_4arch9wavefront6targetE1EEEvT1_
; %bb.0:
	.section	.rodata,"a",@progbits
	.p2align	6, 0x0
	.amdhsa_kernel _ZN7rocprim17ROCPRIM_400000_NS6detail17trampoline_kernelINS0_14default_configENS1_25partition_config_selectorILNS1_17partition_subalgoE3EiNS0_10empty_typeEbEEZZNS1_14partition_implILS5_3ELb0ES3_jN6thrust23THRUST_200600_302600_NS6detail15normal_iteratorINSA_7pointerIiNSA_11hip_rocprim5par_tENSA_11use_defaultESG_EEEEPS6_SJ_NS0_5tupleIJPiSJ_EEENSK_IJSJ_SJ_EEES6_PlJ7is_evenIiEEEE10hipError_tPvRmT3_T4_T5_T6_T7_T9_mT8_P12ihipStream_tbDpT10_ENKUlT_T0_E_clISt17integral_constantIbLb1EES19_IbLb0EEEEDaS15_S16_EUlS15_E_NS1_11comp_targetILNS1_3genE3ELNS1_11target_archE908ELNS1_3gpuE7ELNS1_3repE0EEENS1_30default_config_static_selectorELNS0_4arch9wavefront6targetE1EEEvT1_
		.amdhsa_group_segment_fixed_size 0
		.amdhsa_private_segment_fixed_size 0
		.amdhsa_kernarg_size 120
		.amdhsa_user_sgpr_count 2
		.amdhsa_user_sgpr_dispatch_ptr 0
		.amdhsa_user_sgpr_queue_ptr 0
		.amdhsa_user_sgpr_kernarg_segment_ptr 1
		.amdhsa_user_sgpr_dispatch_id 0
		.amdhsa_user_sgpr_kernarg_preload_length 0
		.amdhsa_user_sgpr_kernarg_preload_offset 0
		.amdhsa_user_sgpr_private_segment_size 0
		.amdhsa_uses_dynamic_stack 0
		.amdhsa_enable_private_segment 0
		.amdhsa_system_sgpr_workgroup_id_x 1
		.amdhsa_system_sgpr_workgroup_id_y 0
		.amdhsa_system_sgpr_workgroup_id_z 0
		.amdhsa_system_sgpr_workgroup_info 0
		.amdhsa_system_vgpr_workitem_id 0
		.amdhsa_next_free_vgpr 1
		.amdhsa_next_free_sgpr 0
		.amdhsa_accum_offset 4
		.amdhsa_reserve_vcc 0
		.amdhsa_float_round_mode_32 0
		.amdhsa_float_round_mode_16_64 0
		.amdhsa_float_denorm_mode_32 3
		.amdhsa_float_denorm_mode_16_64 3
		.amdhsa_dx10_clamp 1
		.amdhsa_ieee_mode 1
		.amdhsa_fp16_overflow 0
		.amdhsa_tg_split 0
		.amdhsa_exception_fp_ieee_invalid_op 0
		.amdhsa_exception_fp_denorm_src 0
		.amdhsa_exception_fp_ieee_div_zero 0
		.amdhsa_exception_fp_ieee_overflow 0
		.amdhsa_exception_fp_ieee_underflow 0
		.amdhsa_exception_fp_ieee_inexact 0
		.amdhsa_exception_int_div_zero 0
	.end_amdhsa_kernel
	.section	.text._ZN7rocprim17ROCPRIM_400000_NS6detail17trampoline_kernelINS0_14default_configENS1_25partition_config_selectorILNS1_17partition_subalgoE3EiNS0_10empty_typeEbEEZZNS1_14partition_implILS5_3ELb0ES3_jN6thrust23THRUST_200600_302600_NS6detail15normal_iteratorINSA_7pointerIiNSA_11hip_rocprim5par_tENSA_11use_defaultESG_EEEEPS6_SJ_NS0_5tupleIJPiSJ_EEENSK_IJSJ_SJ_EEES6_PlJ7is_evenIiEEEE10hipError_tPvRmT3_T4_T5_T6_T7_T9_mT8_P12ihipStream_tbDpT10_ENKUlT_T0_E_clISt17integral_constantIbLb1EES19_IbLb0EEEEDaS15_S16_EUlS15_E_NS1_11comp_targetILNS1_3genE3ELNS1_11target_archE908ELNS1_3gpuE7ELNS1_3repE0EEENS1_30default_config_static_selectorELNS0_4arch9wavefront6targetE1EEEvT1_,"axG",@progbits,_ZN7rocprim17ROCPRIM_400000_NS6detail17trampoline_kernelINS0_14default_configENS1_25partition_config_selectorILNS1_17partition_subalgoE3EiNS0_10empty_typeEbEEZZNS1_14partition_implILS5_3ELb0ES3_jN6thrust23THRUST_200600_302600_NS6detail15normal_iteratorINSA_7pointerIiNSA_11hip_rocprim5par_tENSA_11use_defaultESG_EEEEPS6_SJ_NS0_5tupleIJPiSJ_EEENSK_IJSJ_SJ_EEES6_PlJ7is_evenIiEEEE10hipError_tPvRmT3_T4_T5_T6_T7_T9_mT8_P12ihipStream_tbDpT10_ENKUlT_T0_E_clISt17integral_constantIbLb1EES19_IbLb0EEEEDaS15_S16_EUlS15_E_NS1_11comp_targetILNS1_3genE3ELNS1_11target_archE908ELNS1_3gpuE7ELNS1_3repE0EEENS1_30default_config_static_selectorELNS0_4arch9wavefront6targetE1EEEvT1_,comdat
.Lfunc_end3681:
	.size	_ZN7rocprim17ROCPRIM_400000_NS6detail17trampoline_kernelINS0_14default_configENS1_25partition_config_selectorILNS1_17partition_subalgoE3EiNS0_10empty_typeEbEEZZNS1_14partition_implILS5_3ELb0ES3_jN6thrust23THRUST_200600_302600_NS6detail15normal_iteratorINSA_7pointerIiNSA_11hip_rocprim5par_tENSA_11use_defaultESG_EEEEPS6_SJ_NS0_5tupleIJPiSJ_EEENSK_IJSJ_SJ_EEES6_PlJ7is_evenIiEEEE10hipError_tPvRmT3_T4_T5_T6_T7_T9_mT8_P12ihipStream_tbDpT10_ENKUlT_T0_E_clISt17integral_constantIbLb1EES19_IbLb0EEEEDaS15_S16_EUlS15_E_NS1_11comp_targetILNS1_3genE3ELNS1_11target_archE908ELNS1_3gpuE7ELNS1_3repE0EEENS1_30default_config_static_selectorELNS0_4arch9wavefront6targetE1EEEvT1_, .Lfunc_end3681-_ZN7rocprim17ROCPRIM_400000_NS6detail17trampoline_kernelINS0_14default_configENS1_25partition_config_selectorILNS1_17partition_subalgoE3EiNS0_10empty_typeEbEEZZNS1_14partition_implILS5_3ELb0ES3_jN6thrust23THRUST_200600_302600_NS6detail15normal_iteratorINSA_7pointerIiNSA_11hip_rocprim5par_tENSA_11use_defaultESG_EEEEPS6_SJ_NS0_5tupleIJPiSJ_EEENSK_IJSJ_SJ_EEES6_PlJ7is_evenIiEEEE10hipError_tPvRmT3_T4_T5_T6_T7_T9_mT8_P12ihipStream_tbDpT10_ENKUlT_T0_E_clISt17integral_constantIbLb1EES19_IbLb0EEEEDaS15_S16_EUlS15_E_NS1_11comp_targetILNS1_3genE3ELNS1_11target_archE908ELNS1_3gpuE7ELNS1_3repE0EEENS1_30default_config_static_selectorELNS0_4arch9wavefront6targetE1EEEvT1_
                                        ; -- End function
	.section	.AMDGPU.csdata,"",@progbits
; Kernel info:
; codeLenInByte = 0
; NumSgprs: 6
; NumVgprs: 0
; NumAgprs: 0
; TotalNumVgprs: 0
; ScratchSize: 0
; MemoryBound: 0
; FloatMode: 240
; IeeeMode: 1
; LDSByteSize: 0 bytes/workgroup (compile time only)
; SGPRBlocks: 0
; VGPRBlocks: 0
; NumSGPRsForWavesPerEU: 6
; NumVGPRsForWavesPerEU: 1
; AccumOffset: 4
; Occupancy: 8
; WaveLimiterHint : 0
; COMPUTE_PGM_RSRC2:SCRATCH_EN: 0
; COMPUTE_PGM_RSRC2:USER_SGPR: 2
; COMPUTE_PGM_RSRC2:TRAP_HANDLER: 0
; COMPUTE_PGM_RSRC2:TGID_X_EN: 1
; COMPUTE_PGM_RSRC2:TGID_Y_EN: 0
; COMPUTE_PGM_RSRC2:TGID_Z_EN: 0
; COMPUTE_PGM_RSRC2:TIDIG_COMP_CNT: 0
; COMPUTE_PGM_RSRC3_GFX90A:ACCUM_OFFSET: 0
; COMPUTE_PGM_RSRC3_GFX90A:TG_SPLIT: 0
	.section	.text._ZN7rocprim17ROCPRIM_400000_NS6detail17trampoline_kernelINS0_14default_configENS1_25partition_config_selectorILNS1_17partition_subalgoE3EiNS0_10empty_typeEbEEZZNS1_14partition_implILS5_3ELb0ES3_jN6thrust23THRUST_200600_302600_NS6detail15normal_iteratorINSA_7pointerIiNSA_11hip_rocprim5par_tENSA_11use_defaultESG_EEEEPS6_SJ_NS0_5tupleIJPiSJ_EEENSK_IJSJ_SJ_EEES6_PlJ7is_evenIiEEEE10hipError_tPvRmT3_T4_T5_T6_T7_T9_mT8_P12ihipStream_tbDpT10_ENKUlT_T0_E_clISt17integral_constantIbLb1EES19_IbLb0EEEEDaS15_S16_EUlS15_E_NS1_11comp_targetILNS1_3genE2ELNS1_11target_archE906ELNS1_3gpuE6ELNS1_3repE0EEENS1_30default_config_static_selectorELNS0_4arch9wavefront6targetE1EEEvT1_,"axG",@progbits,_ZN7rocprim17ROCPRIM_400000_NS6detail17trampoline_kernelINS0_14default_configENS1_25partition_config_selectorILNS1_17partition_subalgoE3EiNS0_10empty_typeEbEEZZNS1_14partition_implILS5_3ELb0ES3_jN6thrust23THRUST_200600_302600_NS6detail15normal_iteratorINSA_7pointerIiNSA_11hip_rocprim5par_tENSA_11use_defaultESG_EEEEPS6_SJ_NS0_5tupleIJPiSJ_EEENSK_IJSJ_SJ_EEES6_PlJ7is_evenIiEEEE10hipError_tPvRmT3_T4_T5_T6_T7_T9_mT8_P12ihipStream_tbDpT10_ENKUlT_T0_E_clISt17integral_constantIbLb1EES19_IbLb0EEEEDaS15_S16_EUlS15_E_NS1_11comp_targetILNS1_3genE2ELNS1_11target_archE906ELNS1_3gpuE6ELNS1_3repE0EEENS1_30default_config_static_selectorELNS0_4arch9wavefront6targetE1EEEvT1_,comdat
	.protected	_ZN7rocprim17ROCPRIM_400000_NS6detail17trampoline_kernelINS0_14default_configENS1_25partition_config_selectorILNS1_17partition_subalgoE3EiNS0_10empty_typeEbEEZZNS1_14partition_implILS5_3ELb0ES3_jN6thrust23THRUST_200600_302600_NS6detail15normal_iteratorINSA_7pointerIiNSA_11hip_rocprim5par_tENSA_11use_defaultESG_EEEEPS6_SJ_NS0_5tupleIJPiSJ_EEENSK_IJSJ_SJ_EEES6_PlJ7is_evenIiEEEE10hipError_tPvRmT3_T4_T5_T6_T7_T9_mT8_P12ihipStream_tbDpT10_ENKUlT_T0_E_clISt17integral_constantIbLb1EES19_IbLb0EEEEDaS15_S16_EUlS15_E_NS1_11comp_targetILNS1_3genE2ELNS1_11target_archE906ELNS1_3gpuE6ELNS1_3repE0EEENS1_30default_config_static_selectorELNS0_4arch9wavefront6targetE1EEEvT1_ ; -- Begin function _ZN7rocprim17ROCPRIM_400000_NS6detail17trampoline_kernelINS0_14default_configENS1_25partition_config_selectorILNS1_17partition_subalgoE3EiNS0_10empty_typeEbEEZZNS1_14partition_implILS5_3ELb0ES3_jN6thrust23THRUST_200600_302600_NS6detail15normal_iteratorINSA_7pointerIiNSA_11hip_rocprim5par_tENSA_11use_defaultESG_EEEEPS6_SJ_NS0_5tupleIJPiSJ_EEENSK_IJSJ_SJ_EEES6_PlJ7is_evenIiEEEE10hipError_tPvRmT3_T4_T5_T6_T7_T9_mT8_P12ihipStream_tbDpT10_ENKUlT_T0_E_clISt17integral_constantIbLb1EES19_IbLb0EEEEDaS15_S16_EUlS15_E_NS1_11comp_targetILNS1_3genE2ELNS1_11target_archE906ELNS1_3gpuE6ELNS1_3repE0EEENS1_30default_config_static_selectorELNS0_4arch9wavefront6targetE1EEEvT1_
	.globl	_ZN7rocprim17ROCPRIM_400000_NS6detail17trampoline_kernelINS0_14default_configENS1_25partition_config_selectorILNS1_17partition_subalgoE3EiNS0_10empty_typeEbEEZZNS1_14partition_implILS5_3ELb0ES3_jN6thrust23THRUST_200600_302600_NS6detail15normal_iteratorINSA_7pointerIiNSA_11hip_rocprim5par_tENSA_11use_defaultESG_EEEEPS6_SJ_NS0_5tupleIJPiSJ_EEENSK_IJSJ_SJ_EEES6_PlJ7is_evenIiEEEE10hipError_tPvRmT3_T4_T5_T6_T7_T9_mT8_P12ihipStream_tbDpT10_ENKUlT_T0_E_clISt17integral_constantIbLb1EES19_IbLb0EEEEDaS15_S16_EUlS15_E_NS1_11comp_targetILNS1_3genE2ELNS1_11target_archE906ELNS1_3gpuE6ELNS1_3repE0EEENS1_30default_config_static_selectorELNS0_4arch9wavefront6targetE1EEEvT1_
	.p2align	8
	.type	_ZN7rocprim17ROCPRIM_400000_NS6detail17trampoline_kernelINS0_14default_configENS1_25partition_config_selectorILNS1_17partition_subalgoE3EiNS0_10empty_typeEbEEZZNS1_14partition_implILS5_3ELb0ES3_jN6thrust23THRUST_200600_302600_NS6detail15normal_iteratorINSA_7pointerIiNSA_11hip_rocprim5par_tENSA_11use_defaultESG_EEEEPS6_SJ_NS0_5tupleIJPiSJ_EEENSK_IJSJ_SJ_EEES6_PlJ7is_evenIiEEEE10hipError_tPvRmT3_T4_T5_T6_T7_T9_mT8_P12ihipStream_tbDpT10_ENKUlT_T0_E_clISt17integral_constantIbLb1EES19_IbLb0EEEEDaS15_S16_EUlS15_E_NS1_11comp_targetILNS1_3genE2ELNS1_11target_archE906ELNS1_3gpuE6ELNS1_3repE0EEENS1_30default_config_static_selectorELNS0_4arch9wavefront6targetE1EEEvT1_,@function
_ZN7rocprim17ROCPRIM_400000_NS6detail17trampoline_kernelINS0_14default_configENS1_25partition_config_selectorILNS1_17partition_subalgoE3EiNS0_10empty_typeEbEEZZNS1_14partition_implILS5_3ELb0ES3_jN6thrust23THRUST_200600_302600_NS6detail15normal_iteratorINSA_7pointerIiNSA_11hip_rocprim5par_tENSA_11use_defaultESG_EEEEPS6_SJ_NS0_5tupleIJPiSJ_EEENSK_IJSJ_SJ_EEES6_PlJ7is_evenIiEEEE10hipError_tPvRmT3_T4_T5_T6_T7_T9_mT8_P12ihipStream_tbDpT10_ENKUlT_T0_E_clISt17integral_constantIbLb1EES19_IbLb0EEEEDaS15_S16_EUlS15_E_NS1_11comp_targetILNS1_3genE2ELNS1_11target_archE906ELNS1_3gpuE6ELNS1_3repE0EEENS1_30default_config_static_selectorELNS0_4arch9wavefront6targetE1EEEvT1_: ; @_ZN7rocprim17ROCPRIM_400000_NS6detail17trampoline_kernelINS0_14default_configENS1_25partition_config_selectorILNS1_17partition_subalgoE3EiNS0_10empty_typeEbEEZZNS1_14partition_implILS5_3ELb0ES3_jN6thrust23THRUST_200600_302600_NS6detail15normal_iteratorINSA_7pointerIiNSA_11hip_rocprim5par_tENSA_11use_defaultESG_EEEEPS6_SJ_NS0_5tupleIJPiSJ_EEENSK_IJSJ_SJ_EEES6_PlJ7is_evenIiEEEE10hipError_tPvRmT3_T4_T5_T6_T7_T9_mT8_P12ihipStream_tbDpT10_ENKUlT_T0_E_clISt17integral_constantIbLb1EES19_IbLb0EEEEDaS15_S16_EUlS15_E_NS1_11comp_targetILNS1_3genE2ELNS1_11target_archE906ELNS1_3gpuE6ELNS1_3repE0EEENS1_30default_config_static_selectorELNS0_4arch9wavefront6targetE1EEEvT1_
; %bb.0:
	.section	.rodata,"a",@progbits
	.p2align	6, 0x0
	.amdhsa_kernel _ZN7rocprim17ROCPRIM_400000_NS6detail17trampoline_kernelINS0_14default_configENS1_25partition_config_selectorILNS1_17partition_subalgoE3EiNS0_10empty_typeEbEEZZNS1_14partition_implILS5_3ELb0ES3_jN6thrust23THRUST_200600_302600_NS6detail15normal_iteratorINSA_7pointerIiNSA_11hip_rocprim5par_tENSA_11use_defaultESG_EEEEPS6_SJ_NS0_5tupleIJPiSJ_EEENSK_IJSJ_SJ_EEES6_PlJ7is_evenIiEEEE10hipError_tPvRmT3_T4_T5_T6_T7_T9_mT8_P12ihipStream_tbDpT10_ENKUlT_T0_E_clISt17integral_constantIbLb1EES19_IbLb0EEEEDaS15_S16_EUlS15_E_NS1_11comp_targetILNS1_3genE2ELNS1_11target_archE906ELNS1_3gpuE6ELNS1_3repE0EEENS1_30default_config_static_selectorELNS0_4arch9wavefront6targetE1EEEvT1_
		.amdhsa_group_segment_fixed_size 0
		.amdhsa_private_segment_fixed_size 0
		.amdhsa_kernarg_size 120
		.amdhsa_user_sgpr_count 2
		.amdhsa_user_sgpr_dispatch_ptr 0
		.amdhsa_user_sgpr_queue_ptr 0
		.amdhsa_user_sgpr_kernarg_segment_ptr 1
		.amdhsa_user_sgpr_dispatch_id 0
		.amdhsa_user_sgpr_kernarg_preload_length 0
		.amdhsa_user_sgpr_kernarg_preload_offset 0
		.amdhsa_user_sgpr_private_segment_size 0
		.amdhsa_uses_dynamic_stack 0
		.amdhsa_enable_private_segment 0
		.amdhsa_system_sgpr_workgroup_id_x 1
		.amdhsa_system_sgpr_workgroup_id_y 0
		.amdhsa_system_sgpr_workgroup_id_z 0
		.amdhsa_system_sgpr_workgroup_info 0
		.amdhsa_system_vgpr_workitem_id 0
		.amdhsa_next_free_vgpr 1
		.amdhsa_next_free_sgpr 0
		.amdhsa_accum_offset 4
		.amdhsa_reserve_vcc 0
		.amdhsa_float_round_mode_32 0
		.amdhsa_float_round_mode_16_64 0
		.amdhsa_float_denorm_mode_32 3
		.amdhsa_float_denorm_mode_16_64 3
		.amdhsa_dx10_clamp 1
		.amdhsa_ieee_mode 1
		.amdhsa_fp16_overflow 0
		.amdhsa_tg_split 0
		.amdhsa_exception_fp_ieee_invalid_op 0
		.amdhsa_exception_fp_denorm_src 0
		.amdhsa_exception_fp_ieee_div_zero 0
		.amdhsa_exception_fp_ieee_overflow 0
		.amdhsa_exception_fp_ieee_underflow 0
		.amdhsa_exception_fp_ieee_inexact 0
		.amdhsa_exception_int_div_zero 0
	.end_amdhsa_kernel
	.section	.text._ZN7rocprim17ROCPRIM_400000_NS6detail17trampoline_kernelINS0_14default_configENS1_25partition_config_selectorILNS1_17partition_subalgoE3EiNS0_10empty_typeEbEEZZNS1_14partition_implILS5_3ELb0ES3_jN6thrust23THRUST_200600_302600_NS6detail15normal_iteratorINSA_7pointerIiNSA_11hip_rocprim5par_tENSA_11use_defaultESG_EEEEPS6_SJ_NS0_5tupleIJPiSJ_EEENSK_IJSJ_SJ_EEES6_PlJ7is_evenIiEEEE10hipError_tPvRmT3_T4_T5_T6_T7_T9_mT8_P12ihipStream_tbDpT10_ENKUlT_T0_E_clISt17integral_constantIbLb1EES19_IbLb0EEEEDaS15_S16_EUlS15_E_NS1_11comp_targetILNS1_3genE2ELNS1_11target_archE906ELNS1_3gpuE6ELNS1_3repE0EEENS1_30default_config_static_selectorELNS0_4arch9wavefront6targetE1EEEvT1_,"axG",@progbits,_ZN7rocprim17ROCPRIM_400000_NS6detail17trampoline_kernelINS0_14default_configENS1_25partition_config_selectorILNS1_17partition_subalgoE3EiNS0_10empty_typeEbEEZZNS1_14partition_implILS5_3ELb0ES3_jN6thrust23THRUST_200600_302600_NS6detail15normal_iteratorINSA_7pointerIiNSA_11hip_rocprim5par_tENSA_11use_defaultESG_EEEEPS6_SJ_NS0_5tupleIJPiSJ_EEENSK_IJSJ_SJ_EEES6_PlJ7is_evenIiEEEE10hipError_tPvRmT3_T4_T5_T6_T7_T9_mT8_P12ihipStream_tbDpT10_ENKUlT_T0_E_clISt17integral_constantIbLb1EES19_IbLb0EEEEDaS15_S16_EUlS15_E_NS1_11comp_targetILNS1_3genE2ELNS1_11target_archE906ELNS1_3gpuE6ELNS1_3repE0EEENS1_30default_config_static_selectorELNS0_4arch9wavefront6targetE1EEEvT1_,comdat
.Lfunc_end3682:
	.size	_ZN7rocprim17ROCPRIM_400000_NS6detail17trampoline_kernelINS0_14default_configENS1_25partition_config_selectorILNS1_17partition_subalgoE3EiNS0_10empty_typeEbEEZZNS1_14partition_implILS5_3ELb0ES3_jN6thrust23THRUST_200600_302600_NS6detail15normal_iteratorINSA_7pointerIiNSA_11hip_rocprim5par_tENSA_11use_defaultESG_EEEEPS6_SJ_NS0_5tupleIJPiSJ_EEENSK_IJSJ_SJ_EEES6_PlJ7is_evenIiEEEE10hipError_tPvRmT3_T4_T5_T6_T7_T9_mT8_P12ihipStream_tbDpT10_ENKUlT_T0_E_clISt17integral_constantIbLb1EES19_IbLb0EEEEDaS15_S16_EUlS15_E_NS1_11comp_targetILNS1_3genE2ELNS1_11target_archE906ELNS1_3gpuE6ELNS1_3repE0EEENS1_30default_config_static_selectorELNS0_4arch9wavefront6targetE1EEEvT1_, .Lfunc_end3682-_ZN7rocprim17ROCPRIM_400000_NS6detail17trampoline_kernelINS0_14default_configENS1_25partition_config_selectorILNS1_17partition_subalgoE3EiNS0_10empty_typeEbEEZZNS1_14partition_implILS5_3ELb0ES3_jN6thrust23THRUST_200600_302600_NS6detail15normal_iteratorINSA_7pointerIiNSA_11hip_rocprim5par_tENSA_11use_defaultESG_EEEEPS6_SJ_NS0_5tupleIJPiSJ_EEENSK_IJSJ_SJ_EEES6_PlJ7is_evenIiEEEE10hipError_tPvRmT3_T4_T5_T6_T7_T9_mT8_P12ihipStream_tbDpT10_ENKUlT_T0_E_clISt17integral_constantIbLb1EES19_IbLb0EEEEDaS15_S16_EUlS15_E_NS1_11comp_targetILNS1_3genE2ELNS1_11target_archE906ELNS1_3gpuE6ELNS1_3repE0EEENS1_30default_config_static_selectorELNS0_4arch9wavefront6targetE1EEEvT1_
                                        ; -- End function
	.section	.AMDGPU.csdata,"",@progbits
; Kernel info:
; codeLenInByte = 0
; NumSgprs: 6
; NumVgprs: 0
; NumAgprs: 0
; TotalNumVgprs: 0
; ScratchSize: 0
; MemoryBound: 0
; FloatMode: 240
; IeeeMode: 1
; LDSByteSize: 0 bytes/workgroup (compile time only)
; SGPRBlocks: 0
; VGPRBlocks: 0
; NumSGPRsForWavesPerEU: 6
; NumVGPRsForWavesPerEU: 1
; AccumOffset: 4
; Occupancy: 8
; WaveLimiterHint : 0
; COMPUTE_PGM_RSRC2:SCRATCH_EN: 0
; COMPUTE_PGM_RSRC2:USER_SGPR: 2
; COMPUTE_PGM_RSRC2:TRAP_HANDLER: 0
; COMPUTE_PGM_RSRC2:TGID_X_EN: 1
; COMPUTE_PGM_RSRC2:TGID_Y_EN: 0
; COMPUTE_PGM_RSRC2:TGID_Z_EN: 0
; COMPUTE_PGM_RSRC2:TIDIG_COMP_CNT: 0
; COMPUTE_PGM_RSRC3_GFX90A:ACCUM_OFFSET: 0
; COMPUTE_PGM_RSRC3_GFX90A:TG_SPLIT: 0
	.section	.text._ZN7rocprim17ROCPRIM_400000_NS6detail17trampoline_kernelINS0_14default_configENS1_25partition_config_selectorILNS1_17partition_subalgoE3EiNS0_10empty_typeEbEEZZNS1_14partition_implILS5_3ELb0ES3_jN6thrust23THRUST_200600_302600_NS6detail15normal_iteratorINSA_7pointerIiNSA_11hip_rocprim5par_tENSA_11use_defaultESG_EEEEPS6_SJ_NS0_5tupleIJPiSJ_EEENSK_IJSJ_SJ_EEES6_PlJ7is_evenIiEEEE10hipError_tPvRmT3_T4_T5_T6_T7_T9_mT8_P12ihipStream_tbDpT10_ENKUlT_T0_E_clISt17integral_constantIbLb1EES19_IbLb0EEEEDaS15_S16_EUlS15_E_NS1_11comp_targetILNS1_3genE10ELNS1_11target_archE1200ELNS1_3gpuE4ELNS1_3repE0EEENS1_30default_config_static_selectorELNS0_4arch9wavefront6targetE1EEEvT1_,"axG",@progbits,_ZN7rocprim17ROCPRIM_400000_NS6detail17trampoline_kernelINS0_14default_configENS1_25partition_config_selectorILNS1_17partition_subalgoE3EiNS0_10empty_typeEbEEZZNS1_14partition_implILS5_3ELb0ES3_jN6thrust23THRUST_200600_302600_NS6detail15normal_iteratorINSA_7pointerIiNSA_11hip_rocprim5par_tENSA_11use_defaultESG_EEEEPS6_SJ_NS0_5tupleIJPiSJ_EEENSK_IJSJ_SJ_EEES6_PlJ7is_evenIiEEEE10hipError_tPvRmT3_T4_T5_T6_T7_T9_mT8_P12ihipStream_tbDpT10_ENKUlT_T0_E_clISt17integral_constantIbLb1EES19_IbLb0EEEEDaS15_S16_EUlS15_E_NS1_11comp_targetILNS1_3genE10ELNS1_11target_archE1200ELNS1_3gpuE4ELNS1_3repE0EEENS1_30default_config_static_selectorELNS0_4arch9wavefront6targetE1EEEvT1_,comdat
	.protected	_ZN7rocprim17ROCPRIM_400000_NS6detail17trampoline_kernelINS0_14default_configENS1_25partition_config_selectorILNS1_17partition_subalgoE3EiNS0_10empty_typeEbEEZZNS1_14partition_implILS5_3ELb0ES3_jN6thrust23THRUST_200600_302600_NS6detail15normal_iteratorINSA_7pointerIiNSA_11hip_rocprim5par_tENSA_11use_defaultESG_EEEEPS6_SJ_NS0_5tupleIJPiSJ_EEENSK_IJSJ_SJ_EEES6_PlJ7is_evenIiEEEE10hipError_tPvRmT3_T4_T5_T6_T7_T9_mT8_P12ihipStream_tbDpT10_ENKUlT_T0_E_clISt17integral_constantIbLb1EES19_IbLb0EEEEDaS15_S16_EUlS15_E_NS1_11comp_targetILNS1_3genE10ELNS1_11target_archE1200ELNS1_3gpuE4ELNS1_3repE0EEENS1_30default_config_static_selectorELNS0_4arch9wavefront6targetE1EEEvT1_ ; -- Begin function _ZN7rocprim17ROCPRIM_400000_NS6detail17trampoline_kernelINS0_14default_configENS1_25partition_config_selectorILNS1_17partition_subalgoE3EiNS0_10empty_typeEbEEZZNS1_14partition_implILS5_3ELb0ES3_jN6thrust23THRUST_200600_302600_NS6detail15normal_iteratorINSA_7pointerIiNSA_11hip_rocprim5par_tENSA_11use_defaultESG_EEEEPS6_SJ_NS0_5tupleIJPiSJ_EEENSK_IJSJ_SJ_EEES6_PlJ7is_evenIiEEEE10hipError_tPvRmT3_T4_T5_T6_T7_T9_mT8_P12ihipStream_tbDpT10_ENKUlT_T0_E_clISt17integral_constantIbLb1EES19_IbLb0EEEEDaS15_S16_EUlS15_E_NS1_11comp_targetILNS1_3genE10ELNS1_11target_archE1200ELNS1_3gpuE4ELNS1_3repE0EEENS1_30default_config_static_selectorELNS0_4arch9wavefront6targetE1EEEvT1_
	.globl	_ZN7rocprim17ROCPRIM_400000_NS6detail17trampoline_kernelINS0_14default_configENS1_25partition_config_selectorILNS1_17partition_subalgoE3EiNS0_10empty_typeEbEEZZNS1_14partition_implILS5_3ELb0ES3_jN6thrust23THRUST_200600_302600_NS6detail15normal_iteratorINSA_7pointerIiNSA_11hip_rocprim5par_tENSA_11use_defaultESG_EEEEPS6_SJ_NS0_5tupleIJPiSJ_EEENSK_IJSJ_SJ_EEES6_PlJ7is_evenIiEEEE10hipError_tPvRmT3_T4_T5_T6_T7_T9_mT8_P12ihipStream_tbDpT10_ENKUlT_T0_E_clISt17integral_constantIbLb1EES19_IbLb0EEEEDaS15_S16_EUlS15_E_NS1_11comp_targetILNS1_3genE10ELNS1_11target_archE1200ELNS1_3gpuE4ELNS1_3repE0EEENS1_30default_config_static_selectorELNS0_4arch9wavefront6targetE1EEEvT1_
	.p2align	8
	.type	_ZN7rocprim17ROCPRIM_400000_NS6detail17trampoline_kernelINS0_14default_configENS1_25partition_config_selectorILNS1_17partition_subalgoE3EiNS0_10empty_typeEbEEZZNS1_14partition_implILS5_3ELb0ES3_jN6thrust23THRUST_200600_302600_NS6detail15normal_iteratorINSA_7pointerIiNSA_11hip_rocprim5par_tENSA_11use_defaultESG_EEEEPS6_SJ_NS0_5tupleIJPiSJ_EEENSK_IJSJ_SJ_EEES6_PlJ7is_evenIiEEEE10hipError_tPvRmT3_T4_T5_T6_T7_T9_mT8_P12ihipStream_tbDpT10_ENKUlT_T0_E_clISt17integral_constantIbLb1EES19_IbLb0EEEEDaS15_S16_EUlS15_E_NS1_11comp_targetILNS1_3genE10ELNS1_11target_archE1200ELNS1_3gpuE4ELNS1_3repE0EEENS1_30default_config_static_selectorELNS0_4arch9wavefront6targetE1EEEvT1_,@function
_ZN7rocprim17ROCPRIM_400000_NS6detail17trampoline_kernelINS0_14default_configENS1_25partition_config_selectorILNS1_17partition_subalgoE3EiNS0_10empty_typeEbEEZZNS1_14partition_implILS5_3ELb0ES3_jN6thrust23THRUST_200600_302600_NS6detail15normal_iteratorINSA_7pointerIiNSA_11hip_rocprim5par_tENSA_11use_defaultESG_EEEEPS6_SJ_NS0_5tupleIJPiSJ_EEENSK_IJSJ_SJ_EEES6_PlJ7is_evenIiEEEE10hipError_tPvRmT3_T4_T5_T6_T7_T9_mT8_P12ihipStream_tbDpT10_ENKUlT_T0_E_clISt17integral_constantIbLb1EES19_IbLb0EEEEDaS15_S16_EUlS15_E_NS1_11comp_targetILNS1_3genE10ELNS1_11target_archE1200ELNS1_3gpuE4ELNS1_3repE0EEENS1_30default_config_static_selectorELNS0_4arch9wavefront6targetE1EEEvT1_: ; @_ZN7rocprim17ROCPRIM_400000_NS6detail17trampoline_kernelINS0_14default_configENS1_25partition_config_selectorILNS1_17partition_subalgoE3EiNS0_10empty_typeEbEEZZNS1_14partition_implILS5_3ELb0ES3_jN6thrust23THRUST_200600_302600_NS6detail15normal_iteratorINSA_7pointerIiNSA_11hip_rocprim5par_tENSA_11use_defaultESG_EEEEPS6_SJ_NS0_5tupleIJPiSJ_EEENSK_IJSJ_SJ_EEES6_PlJ7is_evenIiEEEE10hipError_tPvRmT3_T4_T5_T6_T7_T9_mT8_P12ihipStream_tbDpT10_ENKUlT_T0_E_clISt17integral_constantIbLb1EES19_IbLb0EEEEDaS15_S16_EUlS15_E_NS1_11comp_targetILNS1_3genE10ELNS1_11target_archE1200ELNS1_3gpuE4ELNS1_3repE0EEENS1_30default_config_static_selectorELNS0_4arch9wavefront6targetE1EEEvT1_
; %bb.0:
	.section	.rodata,"a",@progbits
	.p2align	6, 0x0
	.amdhsa_kernel _ZN7rocprim17ROCPRIM_400000_NS6detail17trampoline_kernelINS0_14default_configENS1_25partition_config_selectorILNS1_17partition_subalgoE3EiNS0_10empty_typeEbEEZZNS1_14partition_implILS5_3ELb0ES3_jN6thrust23THRUST_200600_302600_NS6detail15normal_iteratorINSA_7pointerIiNSA_11hip_rocprim5par_tENSA_11use_defaultESG_EEEEPS6_SJ_NS0_5tupleIJPiSJ_EEENSK_IJSJ_SJ_EEES6_PlJ7is_evenIiEEEE10hipError_tPvRmT3_T4_T5_T6_T7_T9_mT8_P12ihipStream_tbDpT10_ENKUlT_T0_E_clISt17integral_constantIbLb1EES19_IbLb0EEEEDaS15_S16_EUlS15_E_NS1_11comp_targetILNS1_3genE10ELNS1_11target_archE1200ELNS1_3gpuE4ELNS1_3repE0EEENS1_30default_config_static_selectorELNS0_4arch9wavefront6targetE1EEEvT1_
		.amdhsa_group_segment_fixed_size 0
		.amdhsa_private_segment_fixed_size 0
		.amdhsa_kernarg_size 120
		.amdhsa_user_sgpr_count 2
		.amdhsa_user_sgpr_dispatch_ptr 0
		.amdhsa_user_sgpr_queue_ptr 0
		.amdhsa_user_sgpr_kernarg_segment_ptr 1
		.amdhsa_user_sgpr_dispatch_id 0
		.amdhsa_user_sgpr_kernarg_preload_length 0
		.amdhsa_user_sgpr_kernarg_preload_offset 0
		.amdhsa_user_sgpr_private_segment_size 0
		.amdhsa_uses_dynamic_stack 0
		.amdhsa_enable_private_segment 0
		.amdhsa_system_sgpr_workgroup_id_x 1
		.amdhsa_system_sgpr_workgroup_id_y 0
		.amdhsa_system_sgpr_workgroup_id_z 0
		.amdhsa_system_sgpr_workgroup_info 0
		.amdhsa_system_vgpr_workitem_id 0
		.amdhsa_next_free_vgpr 1
		.amdhsa_next_free_sgpr 0
		.amdhsa_accum_offset 4
		.amdhsa_reserve_vcc 0
		.amdhsa_float_round_mode_32 0
		.amdhsa_float_round_mode_16_64 0
		.amdhsa_float_denorm_mode_32 3
		.amdhsa_float_denorm_mode_16_64 3
		.amdhsa_dx10_clamp 1
		.amdhsa_ieee_mode 1
		.amdhsa_fp16_overflow 0
		.amdhsa_tg_split 0
		.amdhsa_exception_fp_ieee_invalid_op 0
		.amdhsa_exception_fp_denorm_src 0
		.amdhsa_exception_fp_ieee_div_zero 0
		.amdhsa_exception_fp_ieee_overflow 0
		.amdhsa_exception_fp_ieee_underflow 0
		.amdhsa_exception_fp_ieee_inexact 0
		.amdhsa_exception_int_div_zero 0
	.end_amdhsa_kernel
	.section	.text._ZN7rocprim17ROCPRIM_400000_NS6detail17trampoline_kernelINS0_14default_configENS1_25partition_config_selectorILNS1_17partition_subalgoE3EiNS0_10empty_typeEbEEZZNS1_14partition_implILS5_3ELb0ES3_jN6thrust23THRUST_200600_302600_NS6detail15normal_iteratorINSA_7pointerIiNSA_11hip_rocprim5par_tENSA_11use_defaultESG_EEEEPS6_SJ_NS0_5tupleIJPiSJ_EEENSK_IJSJ_SJ_EEES6_PlJ7is_evenIiEEEE10hipError_tPvRmT3_T4_T5_T6_T7_T9_mT8_P12ihipStream_tbDpT10_ENKUlT_T0_E_clISt17integral_constantIbLb1EES19_IbLb0EEEEDaS15_S16_EUlS15_E_NS1_11comp_targetILNS1_3genE10ELNS1_11target_archE1200ELNS1_3gpuE4ELNS1_3repE0EEENS1_30default_config_static_selectorELNS0_4arch9wavefront6targetE1EEEvT1_,"axG",@progbits,_ZN7rocprim17ROCPRIM_400000_NS6detail17trampoline_kernelINS0_14default_configENS1_25partition_config_selectorILNS1_17partition_subalgoE3EiNS0_10empty_typeEbEEZZNS1_14partition_implILS5_3ELb0ES3_jN6thrust23THRUST_200600_302600_NS6detail15normal_iteratorINSA_7pointerIiNSA_11hip_rocprim5par_tENSA_11use_defaultESG_EEEEPS6_SJ_NS0_5tupleIJPiSJ_EEENSK_IJSJ_SJ_EEES6_PlJ7is_evenIiEEEE10hipError_tPvRmT3_T4_T5_T6_T7_T9_mT8_P12ihipStream_tbDpT10_ENKUlT_T0_E_clISt17integral_constantIbLb1EES19_IbLb0EEEEDaS15_S16_EUlS15_E_NS1_11comp_targetILNS1_3genE10ELNS1_11target_archE1200ELNS1_3gpuE4ELNS1_3repE0EEENS1_30default_config_static_selectorELNS0_4arch9wavefront6targetE1EEEvT1_,comdat
.Lfunc_end3683:
	.size	_ZN7rocprim17ROCPRIM_400000_NS6detail17trampoline_kernelINS0_14default_configENS1_25partition_config_selectorILNS1_17partition_subalgoE3EiNS0_10empty_typeEbEEZZNS1_14partition_implILS5_3ELb0ES3_jN6thrust23THRUST_200600_302600_NS6detail15normal_iteratorINSA_7pointerIiNSA_11hip_rocprim5par_tENSA_11use_defaultESG_EEEEPS6_SJ_NS0_5tupleIJPiSJ_EEENSK_IJSJ_SJ_EEES6_PlJ7is_evenIiEEEE10hipError_tPvRmT3_T4_T5_T6_T7_T9_mT8_P12ihipStream_tbDpT10_ENKUlT_T0_E_clISt17integral_constantIbLb1EES19_IbLb0EEEEDaS15_S16_EUlS15_E_NS1_11comp_targetILNS1_3genE10ELNS1_11target_archE1200ELNS1_3gpuE4ELNS1_3repE0EEENS1_30default_config_static_selectorELNS0_4arch9wavefront6targetE1EEEvT1_, .Lfunc_end3683-_ZN7rocprim17ROCPRIM_400000_NS6detail17trampoline_kernelINS0_14default_configENS1_25partition_config_selectorILNS1_17partition_subalgoE3EiNS0_10empty_typeEbEEZZNS1_14partition_implILS5_3ELb0ES3_jN6thrust23THRUST_200600_302600_NS6detail15normal_iteratorINSA_7pointerIiNSA_11hip_rocprim5par_tENSA_11use_defaultESG_EEEEPS6_SJ_NS0_5tupleIJPiSJ_EEENSK_IJSJ_SJ_EEES6_PlJ7is_evenIiEEEE10hipError_tPvRmT3_T4_T5_T6_T7_T9_mT8_P12ihipStream_tbDpT10_ENKUlT_T0_E_clISt17integral_constantIbLb1EES19_IbLb0EEEEDaS15_S16_EUlS15_E_NS1_11comp_targetILNS1_3genE10ELNS1_11target_archE1200ELNS1_3gpuE4ELNS1_3repE0EEENS1_30default_config_static_selectorELNS0_4arch9wavefront6targetE1EEEvT1_
                                        ; -- End function
	.section	.AMDGPU.csdata,"",@progbits
; Kernel info:
; codeLenInByte = 0
; NumSgprs: 6
; NumVgprs: 0
; NumAgprs: 0
; TotalNumVgprs: 0
; ScratchSize: 0
; MemoryBound: 0
; FloatMode: 240
; IeeeMode: 1
; LDSByteSize: 0 bytes/workgroup (compile time only)
; SGPRBlocks: 0
; VGPRBlocks: 0
; NumSGPRsForWavesPerEU: 6
; NumVGPRsForWavesPerEU: 1
; AccumOffset: 4
; Occupancy: 8
; WaveLimiterHint : 0
; COMPUTE_PGM_RSRC2:SCRATCH_EN: 0
; COMPUTE_PGM_RSRC2:USER_SGPR: 2
; COMPUTE_PGM_RSRC2:TRAP_HANDLER: 0
; COMPUTE_PGM_RSRC2:TGID_X_EN: 1
; COMPUTE_PGM_RSRC2:TGID_Y_EN: 0
; COMPUTE_PGM_RSRC2:TGID_Z_EN: 0
; COMPUTE_PGM_RSRC2:TIDIG_COMP_CNT: 0
; COMPUTE_PGM_RSRC3_GFX90A:ACCUM_OFFSET: 0
; COMPUTE_PGM_RSRC3_GFX90A:TG_SPLIT: 0
	.section	.text._ZN7rocprim17ROCPRIM_400000_NS6detail17trampoline_kernelINS0_14default_configENS1_25partition_config_selectorILNS1_17partition_subalgoE3EiNS0_10empty_typeEbEEZZNS1_14partition_implILS5_3ELb0ES3_jN6thrust23THRUST_200600_302600_NS6detail15normal_iteratorINSA_7pointerIiNSA_11hip_rocprim5par_tENSA_11use_defaultESG_EEEEPS6_SJ_NS0_5tupleIJPiSJ_EEENSK_IJSJ_SJ_EEES6_PlJ7is_evenIiEEEE10hipError_tPvRmT3_T4_T5_T6_T7_T9_mT8_P12ihipStream_tbDpT10_ENKUlT_T0_E_clISt17integral_constantIbLb1EES19_IbLb0EEEEDaS15_S16_EUlS15_E_NS1_11comp_targetILNS1_3genE9ELNS1_11target_archE1100ELNS1_3gpuE3ELNS1_3repE0EEENS1_30default_config_static_selectorELNS0_4arch9wavefront6targetE1EEEvT1_,"axG",@progbits,_ZN7rocprim17ROCPRIM_400000_NS6detail17trampoline_kernelINS0_14default_configENS1_25partition_config_selectorILNS1_17partition_subalgoE3EiNS0_10empty_typeEbEEZZNS1_14partition_implILS5_3ELb0ES3_jN6thrust23THRUST_200600_302600_NS6detail15normal_iteratorINSA_7pointerIiNSA_11hip_rocprim5par_tENSA_11use_defaultESG_EEEEPS6_SJ_NS0_5tupleIJPiSJ_EEENSK_IJSJ_SJ_EEES6_PlJ7is_evenIiEEEE10hipError_tPvRmT3_T4_T5_T6_T7_T9_mT8_P12ihipStream_tbDpT10_ENKUlT_T0_E_clISt17integral_constantIbLb1EES19_IbLb0EEEEDaS15_S16_EUlS15_E_NS1_11comp_targetILNS1_3genE9ELNS1_11target_archE1100ELNS1_3gpuE3ELNS1_3repE0EEENS1_30default_config_static_selectorELNS0_4arch9wavefront6targetE1EEEvT1_,comdat
	.protected	_ZN7rocprim17ROCPRIM_400000_NS6detail17trampoline_kernelINS0_14default_configENS1_25partition_config_selectorILNS1_17partition_subalgoE3EiNS0_10empty_typeEbEEZZNS1_14partition_implILS5_3ELb0ES3_jN6thrust23THRUST_200600_302600_NS6detail15normal_iteratorINSA_7pointerIiNSA_11hip_rocprim5par_tENSA_11use_defaultESG_EEEEPS6_SJ_NS0_5tupleIJPiSJ_EEENSK_IJSJ_SJ_EEES6_PlJ7is_evenIiEEEE10hipError_tPvRmT3_T4_T5_T6_T7_T9_mT8_P12ihipStream_tbDpT10_ENKUlT_T0_E_clISt17integral_constantIbLb1EES19_IbLb0EEEEDaS15_S16_EUlS15_E_NS1_11comp_targetILNS1_3genE9ELNS1_11target_archE1100ELNS1_3gpuE3ELNS1_3repE0EEENS1_30default_config_static_selectorELNS0_4arch9wavefront6targetE1EEEvT1_ ; -- Begin function _ZN7rocprim17ROCPRIM_400000_NS6detail17trampoline_kernelINS0_14default_configENS1_25partition_config_selectorILNS1_17partition_subalgoE3EiNS0_10empty_typeEbEEZZNS1_14partition_implILS5_3ELb0ES3_jN6thrust23THRUST_200600_302600_NS6detail15normal_iteratorINSA_7pointerIiNSA_11hip_rocprim5par_tENSA_11use_defaultESG_EEEEPS6_SJ_NS0_5tupleIJPiSJ_EEENSK_IJSJ_SJ_EEES6_PlJ7is_evenIiEEEE10hipError_tPvRmT3_T4_T5_T6_T7_T9_mT8_P12ihipStream_tbDpT10_ENKUlT_T0_E_clISt17integral_constantIbLb1EES19_IbLb0EEEEDaS15_S16_EUlS15_E_NS1_11comp_targetILNS1_3genE9ELNS1_11target_archE1100ELNS1_3gpuE3ELNS1_3repE0EEENS1_30default_config_static_selectorELNS0_4arch9wavefront6targetE1EEEvT1_
	.globl	_ZN7rocprim17ROCPRIM_400000_NS6detail17trampoline_kernelINS0_14default_configENS1_25partition_config_selectorILNS1_17partition_subalgoE3EiNS0_10empty_typeEbEEZZNS1_14partition_implILS5_3ELb0ES3_jN6thrust23THRUST_200600_302600_NS6detail15normal_iteratorINSA_7pointerIiNSA_11hip_rocprim5par_tENSA_11use_defaultESG_EEEEPS6_SJ_NS0_5tupleIJPiSJ_EEENSK_IJSJ_SJ_EEES6_PlJ7is_evenIiEEEE10hipError_tPvRmT3_T4_T5_T6_T7_T9_mT8_P12ihipStream_tbDpT10_ENKUlT_T0_E_clISt17integral_constantIbLb1EES19_IbLb0EEEEDaS15_S16_EUlS15_E_NS1_11comp_targetILNS1_3genE9ELNS1_11target_archE1100ELNS1_3gpuE3ELNS1_3repE0EEENS1_30default_config_static_selectorELNS0_4arch9wavefront6targetE1EEEvT1_
	.p2align	8
	.type	_ZN7rocprim17ROCPRIM_400000_NS6detail17trampoline_kernelINS0_14default_configENS1_25partition_config_selectorILNS1_17partition_subalgoE3EiNS0_10empty_typeEbEEZZNS1_14partition_implILS5_3ELb0ES3_jN6thrust23THRUST_200600_302600_NS6detail15normal_iteratorINSA_7pointerIiNSA_11hip_rocprim5par_tENSA_11use_defaultESG_EEEEPS6_SJ_NS0_5tupleIJPiSJ_EEENSK_IJSJ_SJ_EEES6_PlJ7is_evenIiEEEE10hipError_tPvRmT3_T4_T5_T6_T7_T9_mT8_P12ihipStream_tbDpT10_ENKUlT_T0_E_clISt17integral_constantIbLb1EES19_IbLb0EEEEDaS15_S16_EUlS15_E_NS1_11comp_targetILNS1_3genE9ELNS1_11target_archE1100ELNS1_3gpuE3ELNS1_3repE0EEENS1_30default_config_static_selectorELNS0_4arch9wavefront6targetE1EEEvT1_,@function
_ZN7rocprim17ROCPRIM_400000_NS6detail17trampoline_kernelINS0_14default_configENS1_25partition_config_selectorILNS1_17partition_subalgoE3EiNS0_10empty_typeEbEEZZNS1_14partition_implILS5_3ELb0ES3_jN6thrust23THRUST_200600_302600_NS6detail15normal_iteratorINSA_7pointerIiNSA_11hip_rocprim5par_tENSA_11use_defaultESG_EEEEPS6_SJ_NS0_5tupleIJPiSJ_EEENSK_IJSJ_SJ_EEES6_PlJ7is_evenIiEEEE10hipError_tPvRmT3_T4_T5_T6_T7_T9_mT8_P12ihipStream_tbDpT10_ENKUlT_T0_E_clISt17integral_constantIbLb1EES19_IbLb0EEEEDaS15_S16_EUlS15_E_NS1_11comp_targetILNS1_3genE9ELNS1_11target_archE1100ELNS1_3gpuE3ELNS1_3repE0EEENS1_30default_config_static_selectorELNS0_4arch9wavefront6targetE1EEEvT1_: ; @_ZN7rocprim17ROCPRIM_400000_NS6detail17trampoline_kernelINS0_14default_configENS1_25partition_config_selectorILNS1_17partition_subalgoE3EiNS0_10empty_typeEbEEZZNS1_14partition_implILS5_3ELb0ES3_jN6thrust23THRUST_200600_302600_NS6detail15normal_iteratorINSA_7pointerIiNSA_11hip_rocprim5par_tENSA_11use_defaultESG_EEEEPS6_SJ_NS0_5tupleIJPiSJ_EEENSK_IJSJ_SJ_EEES6_PlJ7is_evenIiEEEE10hipError_tPvRmT3_T4_T5_T6_T7_T9_mT8_P12ihipStream_tbDpT10_ENKUlT_T0_E_clISt17integral_constantIbLb1EES19_IbLb0EEEEDaS15_S16_EUlS15_E_NS1_11comp_targetILNS1_3genE9ELNS1_11target_archE1100ELNS1_3gpuE3ELNS1_3repE0EEENS1_30default_config_static_selectorELNS0_4arch9wavefront6targetE1EEEvT1_
; %bb.0:
	.section	.rodata,"a",@progbits
	.p2align	6, 0x0
	.amdhsa_kernel _ZN7rocprim17ROCPRIM_400000_NS6detail17trampoline_kernelINS0_14default_configENS1_25partition_config_selectorILNS1_17partition_subalgoE3EiNS0_10empty_typeEbEEZZNS1_14partition_implILS5_3ELb0ES3_jN6thrust23THRUST_200600_302600_NS6detail15normal_iteratorINSA_7pointerIiNSA_11hip_rocprim5par_tENSA_11use_defaultESG_EEEEPS6_SJ_NS0_5tupleIJPiSJ_EEENSK_IJSJ_SJ_EEES6_PlJ7is_evenIiEEEE10hipError_tPvRmT3_T4_T5_T6_T7_T9_mT8_P12ihipStream_tbDpT10_ENKUlT_T0_E_clISt17integral_constantIbLb1EES19_IbLb0EEEEDaS15_S16_EUlS15_E_NS1_11comp_targetILNS1_3genE9ELNS1_11target_archE1100ELNS1_3gpuE3ELNS1_3repE0EEENS1_30default_config_static_selectorELNS0_4arch9wavefront6targetE1EEEvT1_
		.amdhsa_group_segment_fixed_size 0
		.amdhsa_private_segment_fixed_size 0
		.amdhsa_kernarg_size 120
		.amdhsa_user_sgpr_count 2
		.amdhsa_user_sgpr_dispatch_ptr 0
		.amdhsa_user_sgpr_queue_ptr 0
		.amdhsa_user_sgpr_kernarg_segment_ptr 1
		.amdhsa_user_sgpr_dispatch_id 0
		.amdhsa_user_sgpr_kernarg_preload_length 0
		.amdhsa_user_sgpr_kernarg_preload_offset 0
		.amdhsa_user_sgpr_private_segment_size 0
		.amdhsa_uses_dynamic_stack 0
		.amdhsa_enable_private_segment 0
		.amdhsa_system_sgpr_workgroup_id_x 1
		.amdhsa_system_sgpr_workgroup_id_y 0
		.amdhsa_system_sgpr_workgroup_id_z 0
		.amdhsa_system_sgpr_workgroup_info 0
		.amdhsa_system_vgpr_workitem_id 0
		.amdhsa_next_free_vgpr 1
		.amdhsa_next_free_sgpr 0
		.amdhsa_accum_offset 4
		.amdhsa_reserve_vcc 0
		.amdhsa_float_round_mode_32 0
		.amdhsa_float_round_mode_16_64 0
		.amdhsa_float_denorm_mode_32 3
		.amdhsa_float_denorm_mode_16_64 3
		.amdhsa_dx10_clamp 1
		.amdhsa_ieee_mode 1
		.amdhsa_fp16_overflow 0
		.amdhsa_tg_split 0
		.amdhsa_exception_fp_ieee_invalid_op 0
		.amdhsa_exception_fp_denorm_src 0
		.amdhsa_exception_fp_ieee_div_zero 0
		.amdhsa_exception_fp_ieee_overflow 0
		.amdhsa_exception_fp_ieee_underflow 0
		.amdhsa_exception_fp_ieee_inexact 0
		.amdhsa_exception_int_div_zero 0
	.end_amdhsa_kernel
	.section	.text._ZN7rocprim17ROCPRIM_400000_NS6detail17trampoline_kernelINS0_14default_configENS1_25partition_config_selectorILNS1_17partition_subalgoE3EiNS0_10empty_typeEbEEZZNS1_14partition_implILS5_3ELb0ES3_jN6thrust23THRUST_200600_302600_NS6detail15normal_iteratorINSA_7pointerIiNSA_11hip_rocprim5par_tENSA_11use_defaultESG_EEEEPS6_SJ_NS0_5tupleIJPiSJ_EEENSK_IJSJ_SJ_EEES6_PlJ7is_evenIiEEEE10hipError_tPvRmT3_T4_T5_T6_T7_T9_mT8_P12ihipStream_tbDpT10_ENKUlT_T0_E_clISt17integral_constantIbLb1EES19_IbLb0EEEEDaS15_S16_EUlS15_E_NS1_11comp_targetILNS1_3genE9ELNS1_11target_archE1100ELNS1_3gpuE3ELNS1_3repE0EEENS1_30default_config_static_selectorELNS0_4arch9wavefront6targetE1EEEvT1_,"axG",@progbits,_ZN7rocprim17ROCPRIM_400000_NS6detail17trampoline_kernelINS0_14default_configENS1_25partition_config_selectorILNS1_17partition_subalgoE3EiNS0_10empty_typeEbEEZZNS1_14partition_implILS5_3ELb0ES3_jN6thrust23THRUST_200600_302600_NS6detail15normal_iteratorINSA_7pointerIiNSA_11hip_rocprim5par_tENSA_11use_defaultESG_EEEEPS6_SJ_NS0_5tupleIJPiSJ_EEENSK_IJSJ_SJ_EEES6_PlJ7is_evenIiEEEE10hipError_tPvRmT3_T4_T5_T6_T7_T9_mT8_P12ihipStream_tbDpT10_ENKUlT_T0_E_clISt17integral_constantIbLb1EES19_IbLb0EEEEDaS15_S16_EUlS15_E_NS1_11comp_targetILNS1_3genE9ELNS1_11target_archE1100ELNS1_3gpuE3ELNS1_3repE0EEENS1_30default_config_static_selectorELNS0_4arch9wavefront6targetE1EEEvT1_,comdat
.Lfunc_end3684:
	.size	_ZN7rocprim17ROCPRIM_400000_NS6detail17trampoline_kernelINS0_14default_configENS1_25partition_config_selectorILNS1_17partition_subalgoE3EiNS0_10empty_typeEbEEZZNS1_14partition_implILS5_3ELb0ES3_jN6thrust23THRUST_200600_302600_NS6detail15normal_iteratorINSA_7pointerIiNSA_11hip_rocprim5par_tENSA_11use_defaultESG_EEEEPS6_SJ_NS0_5tupleIJPiSJ_EEENSK_IJSJ_SJ_EEES6_PlJ7is_evenIiEEEE10hipError_tPvRmT3_T4_T5_T6_T7_T9_mT8_P12ihipStream_tbDpT10_ENKUlT_T0_E_clISt17integral_constantIbLb1EES19_IbLb0EEEEDaS15_S16_EUlS15_E_NS1_11comp_targetILNS1_3genE9ELNS1_11target_archE1100ELNS1_3gpuE3ELNS1_3repE0EEENS1_30default_config_static_selectorELNS0_4arch9wavefront6targetE1EEEvT1_, .Lfunc_end3684-_ZN7rocprim17ROCPRIM_400000_NS6detail17trampoline_kernelINS0_14default_configENS1_25partition_config_selectorILNS1_17partition_subalgoE3EiNS0_10empty_typeEbEEZZNS1_14partition_implILS5_3ELb0ES3_jN6thrust23THRUST_200600_302600_NS6detail15normal_iteratorINSA_7pointerIiNSA_11hip_rocprim5par_tENSA_11use_defaultESG_EEEEPS6_SJ_NS0_5tupleIJPiSJ_EEENSK_IJSJ_SJ_EEES6_PlJ7is_evenIiEEEE10hipError_tPvRmT3_T4_T5_T6_T7_T9_mT8_P12ihipStream_tbDpT10_ENKUlT_T0_E_clISt17integral_constantIbLb1EES19_IbLb0EEEEDaS15_S16_EUlS15_E_NS1_11comp_targetILNS1_3genE9ELNS1_11target_archE1100ELNS1_3gpuE3ELNS1_3repE0EEENS1_30default_config_static_selectorELNS0_4arch9wavefront6targetE1EEEvT1_
                                        ; -- End function
	.section	.AMDGPU.csdata,"",@progbits
; Kernel info:
; codeLenInByte = 0
; NumSgprs: 6
; NumVgprs: 0
; NumAgprs: 0
; TotalNumVgprs: 0
; ScratchSize: 0
; MemoryBound: 0
; FloatMode: 240
; IeeeMode: 1
; LDSByteSize: 0 bytes/workgroup (compile time only)
; SGPRBlocks: 0
; VGPRBlocks: 0
; NumSGPRsForWavesPerEU: 6
; NumVGPRsForWavesPerEU: 1
; AccumOffset: 4
; Occupancy: 8
; WaveLimiterHint : 0
; COMPUTE_PGM_RSRC2:SCRATCH_EN: 0
; COMPUTE_PGM_RSRC2:USER_SGPR: 2
; COMPUTE_PGM_RSRC2:TRAP_HANDLER: 0
; COMPUTE_PGM_RSRC2:TGID_X_EN: 1
; COMPUTE_PGM_RSRC2:TGID_Y_EN: 0
; COMPUTE_PGM_RSRC2:TGID_Z_EN: 0
; COMPUTE_PGM_RSRC2:TIDIG_COMP_CNT: 0
; COMPUTE_PGM_RSRC3_GFX90A:ACCUM_OFFSET: 0
; COMPUTE_PGM_RSRC3_GFX90A:TG_SPLIT: 0
	.section	.text._ZN7rocprim17ROCPRIM_400000_NS6detail17trampoline_kernelINS0_14default_configENS1_25partition_config_selectorILNS1_17partition_subalgoE3EiNS0_10empty_typeEbEEZZNS1_14partition_implILS5_3ELb0ES3_jN6thrust23THRUST_200600_302600_NS6detail15normal_iteratorINSA_7pointerIiNSA_11hip_rocprim5par_tENSA_11use_defaultESG_EEEEPS6_SJ_NS0_5tupleIJPiSJ_EEENSK_IJSJ_SJ_EEES6_PlJ7is_evenIiEEEE10hipError_tPvRmT3_T4_T5_T6_T7_T9_mT8_P12ihipStream_tbDpT10_ENKUlT_T0_E_clISt17integral_constantIbLb1EES19_IbLb0EEEEDaS15_S16_EUlS15_E_NS1_11comp_targetILNS1_3genE8ELNS1_11target_archE1030ELNS1_3gpuE2ELNS1_3repE0EEENS1_30default_config_static_selectorELNS0_4arch9wavefront6targetE1EEEvT1_,"axG",@progbits,_ZN7rocprim17ROCPRIM_400000_NS6detail17trampoline_kernelINS0_14default_configENS1_25partition_config_selectorILNS1_17partition_subalgoE3EiNS0_10empty_typeEbEEZZNS1_14partition_implILS5_3ELb0ES3_jN6thrust23THRUST_200600_302600_NS6detail15normal_iteratorINSA_7pointerIiNSA_11hip_rocprim5par_tENSA_11use_defaultESG_EEEEPS6_SJ_NS0_5tupleIJPiSJ_EEENSK_IJSJ_SJ_EEES6_PlJ7is_evenIiEEEE10hipError_tPvRmT3_T4_T5_T6_T7_T9_mT8_P12ihipStream_tbDpT10_ENKUlT_T0_E_clISt17integral_constantIbLb1EES19_IbLb0EEEEDaS15_S16_EUlS15_E_NS1_11comp_targetILNS1_3genE8ELNS1_11target_archE1030ELNS1_3gpuE2ELNS1_3repE0EEENS1_30default_config_static_selectorELNS0_4arch9wavefront6targetE1EEEvT1_,comdat
	.protected	_ZN7rocprim17ROCPRIM_400000_NS6detail17trampoline_kernelINS0_14default_configENS1_25partition_config_selectorILNS1_17partition_subalgoE3EiNS0_10empty_typeEbEEZZNS1_14partition_implILS5_3ELb0ES3_jN6thrust23THRUST_200600_302600_NS6detail15normal_iteratorINSA_7pointerIiNSA_11hip_rocprim5par_tENSA_11use_defaultESG_EEEEPS6_SJ_NS0_5tupleIJPiSJ_EEENSK_IJSJ_SJ_EEES6_PlJ7is_evenIiEEEE10hipError_tPvRmT3_T4_T5_T6_T7_T9_mT8_P12ihipStream_tbDpT10_ENKUlT_T0_E_clISt17integral_constantIbLb1EES19_IbLb0EEEEDaS15_S16_EUlS15_E_NS1_11comp_targetILNS1_3genE8ELNS1_11target_archE1030ELNS1_3gpuE2ELNS1_3repE0EEENS1_30default_config_static_selectorELNS0_4arch9wavefront6targetE1EEEvT1_ ; -- Begin function _ZN7rocprim17ROCPRIM_400000_NS6detail17trampoline_kernelINS0_14default_configENS1_25partition_config_selectorILNS1_17partition_subalgoE3EiNS0_10empty_typeEbEEZZNS1_14partition_implILS5_3ELb0ES3_jN6thrust23THRUST_200600_302600_NS6detail15normal_iteratorINSA_7pointerIiNSA_11hip_rocprim5par_tENSA_11use_defaultESG_EEEEPS6_SJ_NS0_5tupleIJPiSJ_EEENSK_IJSJ_SJ_EEES6_PlJ7is_evenIiEEEE10hipError_tPvRmT3_T4_T5_T6_T7_T9_mT8_P12ihipStream_tbDpT10_ENKUlT_T0_E_clISt17integral_constantIbLb1EES19_IbLb0EEEEDaS15_S16_EUlS15_E_NS1_11comp_targetILNS1_3genE8ELNS1_11target_archE1030ELNS1_3gpuE2ELNS1_3repE0EEENS1_30default_config_static_selectorELNS0_4arch9wavefront6targetE1EEEvT1_
	.globl	_ZN7rocprim17ROCPRIM_400000_NS6detail17trampoline_kernelINS0_14default_configENS1_25partition_config_selectorILNS1_17partition_subalgoE3EiNS0_10empty_typeEbEEZZNS1_14partition_implILS5_3ELb0ES3_jN6thrust23THRUST_200600_302600_NS6detail15normal_iteratorINSA_7pointerIiNSA_11hip_rocprim5par_tENSA_11use_defaultESG_EEEEPS6_SJ_NS0_5tupleIJPiSJ_EEENSK_IJSJ_SJ_EEES6_PlJ7is_evenIiEEEE10hipError_tPvRmT3_T4_T5_T6_T7_T9_mT8_P12ihipStream_tbDpT10_ENKUlT_T0_E_clISt17integral_constantIbLb1EES19_IbLb0EEEEDaS15_S16_EUlS15_E_NS1_11comp_targetILNS1_3genE8ELNS1_11target_archE1030ELNS1_3gpuE2ELNS1_3repE0EEENS1_30default_config_static_selectorELNS0_4arch9wavefront6targetE1EEEvT1_
	.p2align	8
	.type	_ZN7rocprim17ROCPRIM_400000_NS6detail17trampoline_kernelINS0_14default_configENS1_25partition_config_selectorILNS1_17partition_subalgoE3EiNS0_10empty_typeEbEEZZNS1_14partition_implILS5_3ELb0ES3_jN6thrust23THRUST_200600_302600_NS6detail15normal_iteratorINSA_7pointerIiNSA_11hip_rocprim5par_tENSA_11use_defaultESG_EEEEPS6_SJ_NS0_5tupleIJPiSJ_EEENSK_IJSJ_SJ_EEES6_PlJ7is_evenIiEEEE10hipError_tPvRmT3_T4_T5_T6_T7_T9_mT8_P12ihipStream_tbDpT10_ENKUlT_T0_E_clISt17integral_constantIbLb1EES19_IbLb0EEEEDaS15_S16_EUlS15_E_NS1_11comp_targetILNS1_3genE8ELNS1_11target_archE1030ELNS1_3gpuE2ELNS1_3repE0EEENS1_30default_config_static_selectorELNS0_4arch9wavefront6targetE1EEEvT1_,@function
_ZN7rocprim17ROCPRIM_400000_NS6detail17trampoline_kernelINS0_14default_configENS1_25partition_config_selectorILNS1_17partition_subalgoE3EiNS0_10empty_typeEbEEZZNS1_14partition_implILS5_3ELb0ES3_jN6thrust23THRUST_200600_302600_NS6detail15normal_iteratorINSA_7pointerIiNSA_11hip_rocprim5par_tENSA_11use_defaultESG_EEEEPS6_SJ_NS0_5tupleIJPiSJ_EEENSK_IJSJ_SJ_EEES6_PlJ7is_evenIiEEEE10hipError_tPvRmT3_T4_T5_T6_T7_T9_mT8_P12ihipStream_tbDpT10_ENKUlT_T0_E_clISt17integral_constantIbLb1EES19_IbLb0EEEEDaS15_S16_EUlS15_E_NS1_11comp_targetILNS1_3genE8ELNS1_11target_archE1030ELNS1_3gpuE2ELNS1_3repE0EEENS1_30default_config_static_selectorELNS0_4arch9wavefront6targetE1EEEvT1_: ; @_ZN7rocprim17ROCPRIM_400000_NS6detail17trampoline_kernelINS0_14default_configENS1_25partition_config_selectorILNS1_17partition_subalgoE3EiNS0_10empty_typeEbEEZZNS1_14partition_implILS5_3ELb0ES3_jN6thrust23THRUST_200600_302600_NS6detail15normal_iteratorINSA_7pointerIiNSA_11hip_rocprim5par_tENSA_11use_defaultESG_EEEEPS6_SJ_NS0_5tupleIJPiSJ_EEENSK_IJSJ_SJ_EEES6_PlJ7is_evenIiEEEE10hipError_tPvRmT3_T4_T5_T6_T7_T9_mT8_P12ihipStream_tbDpT10_ENKUlT_T0_E_clISt17integral_constantIbLb1EES19_IbLb0EEEEDaS15_S16_EUlS15_E_NS1_11comp_targetILNS1_3genE8ELNS1_11target_archE1030ELNS1_3gpuE2ELNS1_3repE0EEENS1_30default_config_static_selectorELNS0_4arch9wavefront6targetE1EEEvT1_
; %bb.0:
	.section	.rodata,"a",@progbits
	.p2align	6, 0x0
	.amdhsa_kernel _ZN7rocprim17ROCPRIM_400000_NS6detail17trampoline_kernelINS0_14default_configENS1_25partition_config_selectorILNS1_17partition_subalgoE3EiNS0_10empty_typeEbEEZZNS1_14partition_implILS5_3ELb0ES3_jN6thrust23THRUST_200600_302600_NS6detail15normal_iteratorINSA_7pointerIiNSA_11hip_rocprim5par_tENSA_11use_defaultESG_EEEEPS6_SJ_NS0_5tupleIJPiSJ_EEENSK_IJSJ_SJ_EEES6_PlJ7is_evenIiEEEE10hipError_tPvRmT3_T4_T5_T6_T7_T9_mT8_P12ihipStream_tbDpT10_ENKUlT_T0_E_clISt17integral_constantIbLb1EES19_IbLb0EEEEDaS15_S16_EUlS15_E_NS1_11comp_targetILNS1_3genE8ELNS1_11target_archE1030ELNS1_3gpuE2ELNS1_3repE0EEENS1_30default_config_static_selectorELNS0_4arch9wavefront6targetE1EEEvT1_
		.amdhsa_group_segment_fixed_size 0
		.amdhsa_private_segment_fixed_size 0
		.amdhsa_kernarg_size 120
		.amdhsa_user_sgpr_count 2
		.amdhsa_user_sgpr_dispatch_ptr 0
		.amdhsa_user_sgpr_queue_ptr 0
		.amdhsa_user_sgpr_kernarg_segment_ptr 1
		.amdhsa_user_sgpr_dispatch_id 0
		.amdhsa_user_sgpr_kernarg_preload_length 0
		.amdhsa_user_sgpr_kernarg_preload_offset 0
		.amdhsa_user_sgpr_private_segment_size 0
		.amdhsa_uses_dynamic_stack 0
		.amdhsa_enable_private_segment 0
		.amdhsa_system_sgpr_workgroup_id_x 1
		.amdhsa_system_sgpr_workgroup_id_y 0
		.amdhsa_system_sgpr_workgroup_id_z 0
		.amdhsa_system_sgpr_workgroup_info 0
		.amdhsa_system_vgpr_workitem_id 0
		.amdhsa_next_free_vgpr 1
		.amdhsa_next_free_sgpr 0
		.amdhsa_accum_offset 4
		.amdhsa_reserve_vcc 0
		.amdhsa_float_round_mode_32 0
		.amdhsa_float_round_mode_16_64 0
		.amdhsa_float_denorm_mode_32 3
		.amdhsa_float_denorm_mode_16_64 3
		.amdhsa_dx10_clamp 1
		.amdhsa_ieee_mode 1
		.amdhsa_fp16_overflow 0
		.amdhsa_tg_split 0
		.amdhsa_exception_fp_ieee_invalid_op 0
		.amdhsa_exception_fp_denorm_src 0
		.amdhsa_exception_fp_ieee_div_zero 0
		.amdhsa_exception_fp_ieee_overflow 0
		.amdhsa_exception_fp_ieee_underflow 0
		.amdhsa_exception_fp_ieee_inexact 0
		.amdhsa_exception_int_div_zero 0
	.end_amdhsa_kernel
	.section	.text._ZN7rocprim17ROCPRIM_400000_NS6detail17trampoline_kernelINS0_14default_configENS1_25partition_config_selectorILNS1_17partition_subalgoE3EiNS0_10empty_typeEbEEZZNS1_14partition_implILS5_3ELb0ES3_jN6thrust23THRUST_200600_302600_NS6detail15normal_iteratorINSA_7pointerIiNSA_11hip_rocprim5par_tENSA_11use_defaultESG_EEEEPS6_SJ_NS0_5tupleIJPiSJ_EEENSK_IJSJ_SJ_EEES6_PlJ7is_evenIiEEEE10hipError_tPvRmT3_T4_T5_T6_T7_T9_mT8_P12ihipStream_tbDpT10_ENKUlT_T0_E_clISt17integral_constantIbLb1EES19_IbLb0EEEEDaS15_S16_EUlS15_E_NS1_11comp_targetILNS1_3genE8ELNS1_11target_archE1030ELNS1_3gpuE2ELNS1_3repE0EEENS1_30default_config_static_selectorELNS0_4arch9wavefront6targetE1EEEvT1_,"axG",@progbits,_ZN7rocprim17ROCPRIM_400000_NS6detail17trampoline_kernelINS0_14default_configENS1_25partition_config_selectorILNS1_17partition_subalgoE3EiNS0_10empty_typeEbEEZZNS1_14partition_implILS5_3ELb0ES3_jN6thrust23THRUST_200600_302600_NS6detail15normal_iteratorINSA_7pointerIiNSA_11hip_rocprim5par_tENSA_11use_defaultESG_EEEEPS6_SJ_NS0_5tupleIJPiSJ_EEENSK_IJSJ_SJ_EEES6_PlJ7is_evenIiEEEE10hipError_tPvRmT3_T4_T5_T6_T7_T9_mT8_P12ihipStream_tbDpT10_ENKUlT_T0_E_clISt17integral_constantIbLb1EES19_IbLb0EEEEDaS15_S16_EUlS15_E_NS1_11comp_targetILNS1_3genE8ELNS1_11target_archE1030ELNS1_3gpuE2ELNS1_3repE0EEENS1_30default_config_static_selectorELNS0_4arch9wavefront6targetE1EEEvT1_,comdat
.Lfunc_end3685:
	.size	_ZN7rocprim17ROCPRIM_400000_NS6detail17trampoline_kernelINS0_14default_configENS1_25partition_config_selectorILNS1_17partition_subalgoE3EiNS0_10empty_typeEbEEZZNS1_14partition_implILS5_3ELb0ES3_jN6thrust23THRUST_200600_302600_NS6detail15normal_iteratorINSA_7pointerIiNSA_11hip_rocprim5par_tENSA_11use_defaultESG_EEEEPS6_SJ_NS0_5tupleIJPiSJ_EEENSK_IJSJ_SJ_EEES6_PlJ7is_evenIiEEEE10hipError_tPvRmT3_T4_T5_T6_T7_T9_mT8_P12ihipStream_tbDpT10_ENKUlT_T0_E_clISt17integral_constantIbLb1EES19_IbLb0EEEEDaS15_S16_EUlS15_E_NS1_11comp_targetILNS1_3genE8ELNS1_11target_archE1030ELNS1_3gpuE2ELNS1_3repE0EEENS1_30default_config_static_selectorELNS0_4arch9wavefront6targetE1EEEvT1_, .Lfunc_end3685-_ZN7rocprim17ROCPRIM_400000_NS6detail17trampoline_kernelINS0_14default_configENS1_25partition_config_selectorILNS1_17partition_subalgoE3EiNS0_10empty_typeEbEEZZNS1_14partition_implILS5_3ELb0ES3_jN6thrust23THRUST_200600_302600_NS6detail15normal_iteratorINSA_7pointerIiNSA_11hip_rocprim5par_tENSA_11use_defaultESG_EEEEPS6_SJ_NS0_5tupleIJPiSJ_EEENSK_IJSJ_SJ_EEES6_PlJ7is_evenIiEEEE10hipError_tPvRmT3_T4_T5_T6_T7_T9_mT8_P12ihipStream_tbDpT10_ENKUlT_T0_E_clISt17integral_constantIbLb1EES19_IbLb0EEEEDaS15_S16_EUlS15_E_NS1_11comp_targetILNS1_3genE8ELNS1_11target_archE1030ELNS1_3gpuE2ELNS1_3repE0EEENS1_30default_config_static_selectorELNS0_4arch9wavefront6targetE1EEEvT1_
                                        ; -- End function
	.section	.AMDGPU.csdata,"",@progbits
; Kernel info:
; codeLenInByte = 0
; NumSgprs: 6
; NumVgprs: 0
; NumAgprs: 0
; TotalNumVgprs: 0
; ScratchSize: 0
; MemoryBound: 0
; FloatMode: 240
; IeeeMode: 1
; LDSByteSize: 0 bytes/workgroup (compile time only)
; SGPRBlocks: 0
; VGPRBlocks: 0
; NumSGPRsForWavesPerEU: 6
; NumVGPRsForWavesPerEU: 1
; AccumOffset: 4
; Occupancy: 8
; WaveLimiterHint : 0
; COMPUTE_PGM_RSRC2:SCRATCH_EN: 0
; COMPUTE_PGM_RSRC2:USER_SGPR: 2
; COMPUTE_PGM_RSRC2:TRAP_HANDLER: 0
; COMPUTE_PGM_RSRC2:TGID_X_EN: 1
; COMPUTE_PGM_RSRC2:TGID_Y_EN: 0
; COMPUTE_PGM_RSRC2:TGID_Z_EN: 0
; COMPUTE_PGM_RSRC2:TIDIG_COMP_CNT: 0
; COMPUTE_PGM_RSRC3_GFX90A:ACCUM_OFFSET: 0
; COMPUTE_PGM_RSRC3_GFX90A:TG_SPLIT: 0
	.section	.text._ZN7rocprim17ROCPRIM_400000_NS6detail17trampoline_kernelINS0_14default_configENS1_25partition_config_selectorILNS1_17partition_subalgoE3EiNS0_10empty_typeEbEEZZNS1_14partition_implILS5_3ELb0ES3_jN6thrust23THRUST_200600_302600_NS6detail15normal_iteratorINSA_7pointerIiNSA_11hip_rocprim5par_tENSA_11use_defaultESG_EEEEPS6_SJ_NS0_5tupleIJPiSJ_EEENSK_IJSJ_SJ_EEES6_PlJ7is_evenIiEEEE10hipError_tPvRmT3_T4_T5_T6_T7_T9_mT8_P12ihipStream_tbDpT10_ENKUlT_T0_E_clISt17integral_constantIbLb0EES19_IbLb1EEEEDaS15_S16_EUlS15_E_NS1_11comp_targetILNS1_3genE0ELNS1_11target_archE4294967295ELNS1_3gpuE0ELNS1_3repE0EEENS1_30default_config_static_selectorELNS0_4arch9wavefront6targetE1EEEvT1_,"axG",@progbits,_ZN7rocprim17ROCPRIM_400000_NS6detail17trampoline_kernelINS0_14default_configENS1_25partition_config_selectorILNS1_17partition_subalgoE3EiNS0_10empty_typeEbEEZZNS1_14partition_implILS5_3ELb0ES3_jN6thrust23THRUST_200600_302600_NS6detail15normal_iteratorINSA_7pointerIiNSA_11hip_rocprim5par_tENSA_11use_defaultESG_EEEEPS6_SJ_NS0_5tupleIJPiSJ_EEENSK_IJSJ_SJ_EEES6_PlJ7is_evenIiEEEE10hipError_tPvRmT3_T4_T5_T6_T7_T9_mT8_P12ihipStream_tbDpT10_ENKUlT_T0_E_clISt17integral_constantIbLb0EES19_IbLb1EEEEDaS15_S16_EUlS15_E_NS1_11comp_targetILNS1_3genE0ELNS1_11target_archE4294967295ELNS1_3gpuE0ELNS1_3repE0EEENS1_30default_config_static_selectorELNS0_4arch9wavefront6targetE1EEEvT1_,comdat
	.protected	_ZN7rocprim17ROCPRIM_400000_NS6detail17trampoline_kernelINS0_14default_configENS1_25partition_config_selectorILNS1_17partition_subalgoE3EiNS0_10empty_typeEbEEZZNS1_14partition_implILS5_3ELb0ES3_jN6thrust23THRUST_200600_302600_NS6detail15normal_iteratorINSA_7pointerIiNSA_11hip_rocprim5par_tENSA_11use_defaultESG_EEEEPS6_SJ_NS0_5tupleIJPiSJ_EEENSK_IJSJ_SJ_EEES6_PlJ7is_evenIiEEEE10hipError_tPvRmT3_T4_T5_T6_T7_T9_mT8_P12ihipStream_tbDpT10_ENKUlT_T0_E_clISt17integral_constantIbLb0EES19_IbLb1EEEEDaS15_S16_EUlS15_E_NS1_11comp_targetILNS1_3genE0ELNS1_11target_archE4294967295ELNS1_3gpuE0ELNS1_3repE0EEENS1_30default_config_static_selectorELNS0_4arch9wavefront6targetE1EEEvT1_ ; -- Begin function _ZN7rocprim17ROCPRIM_400000_NS6detail17trampoline_kernelINS0_14default_configENS1_25partition_config_selectorILNS1_17partition_subalgoE3EiNS0_10empty_typeEbEEZZNS1_14partition_implILS5_3ELb0ES3_jN6thrust23THRUST_200600_302600_NS6detail15normal_iteratorINSA_7pointerIiNSA_11hip_rocprim5par_tENSA_11use_defaultESG_EEEEPS6_SJ_NS0_5tupleIJPiSJ_EEENSK_IJSJ_SJ_EEES6_PlJ7is_evenIiEEEE10hipError_tPvRmT3_T4_T5_T6_T7_T9_mT8_P12ihipStream_tbDpT10_ENKUlT_T0_E_clISt17integral_constantIbLb0EES19_IbLb1EEEEDaS15_S16_EUlS15_E_NS1_11comp_targetILNS1_3genE0ELNS1_11target_archE4294967295ELNS1_3gpuE0ELNS1_3repE0EEENS1_30default_config_static_selectorELNS0_4arch9wavefront6targetE1EEEvT1_
	.globl	_ZN7rocprim17ROCPRIM_400000_NS6detail17trampoline_kernelINS0_14default_configENS1_25partition_config_selectorILNS1_17partition_subalgoE3EiNS0_10empty_typeEbEEZZNS1_14partition_implILS5_3ELb0ES3_jN6thrust23THRUST_200600_302600_NS6detail15normal_iteratorINSA_7pointerIiNSA_11hip_rocprim5par_tENSA_11use_defaultESG_EEEEPS6_SJ_NS0_5tupleIJPiSJ_EEENSK_IJSJ_SJ_EEES6_PlJ7is_evenIiEEEE10hipError_tPvRmT3_T4_T5_T6_T7_T9_mT8_P12ihipStream_tbDpT10_ENKUlT_T0_E_clISt17integral_constantIbLb0EES19_IbLb1EEEEDaS15_S16_EUlS15_E_NS1_11comp_targetILNS1_3genE0ELNS1_11target_archE4294967295ELNS1_3gpuE0ELNS1_3repE0EEENS1_30default_config_static_selectorELNS0_4arch9wavefront6targetE1EEEvT1_
	.p2align	8
	.type	_ZN7rocprim17ROCPRIM_400000_NS6detail17trampoline_kernelINS0_14default_configENS1_25partition_config_selectorILNS1_17partition_subalgoE3EiNS0_10empty_typeEbEEZZNS1_14partition_implILS5_3ELb0ES3_jN6thrust23THRUST_200600_302600_NS6detail15normal_iteratorINSA_7pointerIiNSA_11hip_rocprim5par_tENSA_11use_defaultESG_EEEEPS6_SJ_NS0_5tupleIJPiSJ_EEENSK_IJSJ_SJ_EEES6_PlJ7is_evenIiEEEE10hipError_tPvRmT3_T4_T5_T6_T7_T9_mT8_P12ihipStream_tbDpT10_ENKUlT_T0_E_clISt17integral_constantIbLb0EES19_IbLb1EEEEDaS15_S16_EUlS15_E_NS1_11comp_targetILNS1_3genE0ELNS1_11target_archE4294967295ELNS1_3gpuE0ELNS1_3repE0EEENS1_30default_config_static_selectorELNS0_4arch9wavefront6targetE1EEEvT1_,@function
_ZN7rocprim17ROCPRIM_400000_NS6detail17trampoline_kernelINS0_14default_configENS1_25partition_config_selectorILNS1_17partition_subalgoE3EiNS0_10empty_typeEbEEZZNS1_14partition_implILS5_3ELb0ES3_jN6thrust23THRUST_200600_302600_NS6detail15normal_iteratorINSA_7pointerIiNSA_11hip_rocprim5par_tENSA_11use_defaultESG_EEEEPS6_SJ_NS0_5tupleIJPiSJ_EEENSK_IJSJ_SJ_EEES6_PlJ7is_evenIiEEEE10hipError_tPvRmT3_T4_T5_T6_T7_T9_mT8_P12ihipStream_tbDpT10_ENKUlT_T0_E_clISt17integral_constantIbLb0EES19_IbLb1EEEEDaS15_S16_EUlS15_E_NS1_11comp_targetILNS1_3genE0ELNS1_11target_archE4294967295ELNS1_3gpuE0ELNS1_3repE0EEENS1_30default_config_static_selectorELNS0_4arch9wavefront6targetE1EEEvT1_: ; @_ZN7rocprim17ROCPRIM_400000_NS6detail17trampoline_kernelINS0_14default_configENS1_25partition_config_selectorILNS1_17partition_subalgoE3EiNS0_10empty_typeEbEEZZNS1_14partition_implILS5_3ELb0ES3_jN6thrust23THRUST_200600_302600_NS6detail15normal_iteratorINSA_7pointerIiNSA_11hip_rocprim5par_tENSA_11use_defaultESG_EEEEPS6_SJ_NS0_5tupleIJPiSJ_EEENSK_IJSJ_SJ_EEES6_PlJ7is_evenIiEEEE10hipError_tPvRmT3_T4_T5_T6_T7_T9_mT8_P12ihipStream_tbDpT10_ENKUlT_T0_E_clISt17integral_constantIbLb0EES19_IbLb1EEEEDaS15_S16_EUlS15_E_NS1_11comp_targetILNS1_3genE0ELNS1_11target_archE4294967295ELNS1_3gpuE0ELNS1_3repE0EEENS1_30default_config_static_selectorELNS0_4arch9wavefront6targetE1EEEvT1_
; %bb.0:
	.section	.rodata,"a",@progbits
	.p2align	6, 0x0
	.amdhsa_kernel _ZN7rocprim17ROCPRIM_400000_NS6detail17trampoline_kernelINS0_14default_configENS1_25partition_config_selectorILNS1_17partition_subalgoE3EiNS0_10empty_typeEbEEZZNS1_14partition_implILS5_3ELb0ES3_jN6thrust23THRUST_200600_302600_NS6detail15normal_iteratorINSA_7pointerIiNSA_11hip_rocprim5par_tENSA_11use_defaultESG_EEEEPS6_SJ_NS0_5tupleIJPiSJ_EEENSK_IJSJ_SJ_EEES6_PlJ7is_evenIiEEEE10hipError_tPvRmT3_T4_T5_T6_T7_T9_mT8_P12ihipStream_tbDpT10_ENKUlT_T0_E_clISt17integral_constantIbLb0EES19_IbLb1EEEEDaS15_S16_EUlS15_E_NS1_11comp_targetILNS1_3genE0ELNS1_11target_archE4294967295ELNS1_3gpuE0ELNS1_3repE0EEENS1_30default_config_static_selectorELNS0_4arch9wavefront6targetE1EEEvT1_
		.amdhsa_group_segment_fixed_size 0
		.amdhsa_private_segment_fixed_size 0
		.amdhsa_kernarg_size 136
		.amdhsa_user_sgpr_count 2
		.amdhsa_user_sgpr_dispatch_ptr 0
		.amdhsa_user_sgpr_queue_ptr 0
		.amdhsa_user_sgpr_kernarg_segment_ptr 1
		.amdhsa_user_sgpr_dispatch_id 0
		.amdhsa_user_sgpr_kernarg_preload_length 0
		.amdhsa_user_sgpr_kernarg_preload_offset 0
		.amdhsa_user_sgpr_private_segment_size 0
		.amdhsa_uses_dynamic_stack 0
		.amdhsa_enable_private_segment 0
		.amdhsa_system_sgpr_workgroup_id_x 1
		.amdhsa_system_sgpr_workgroup_id_y 0
		.amdhsa_system_sgpr_workgroup_id_z 0
		.amdhsa_system_sgpr_workgroup_info 0
		.amdhsa_system_vgpr_workitem_id 0
		.amdhsa_next_free_vgpr 1
		.amdhsa_next_free_sgpr 0
		.amdhsa_accum_offset 4
		.amdhsa_reserve_vcc 0
		.amdhsa_float_round_mode_32 0
		.amdhsa_float_round_mode_16_64 0
		.amdhsa_float_denorm_mode_32 3
		.amdhsa_float_denorm_mode_16_64 3
		.amdhsa_dx10_clamp 1
		.amdhsa_ieee_mode 1
		.amdhsa_fp16_overflow 0
		.amdhsa_tg_split 0
		.amdhsa_exception_fp_ieee_invalid_op 0
		.amdhsa_exception_fp_denorm_src 0
		.amdhsa_exception_fp_ieee_div_zero 0
		.amdhsa_exception_fp_ieee_overflow 0
		.amdhsa_exception_fp_ieee_underflow 0
		.amdhsa_exception_fp_ieee_inexact 0
		.amdhsa_exception_int_div_zero 0
	.end_amdhsa_kernel
	.section	.text._ZN7rocprim17ROCPRIM_400000_NS6detail17trampoline_kernelINS0_14default_configENS1_25partition_config_selectorILNS1_17partition_subalgoE3EiNS0_10empty_typeEbEEZZNS1_14partition_implILS5_3ELb0ES3_jN6thrust23THRUST_200600_302600_NS6detail15normal_iteratorINSA_7pointerIiNSA_11hip_rocprim5par_tENSA_11use_defaultESG_EEEEPS6_SJ_NS0_5tupleIJPiSJ_EEENSK_IJSJ_SJ_EEES6_PlJ7is_evenIiEEEE10hipError_tPvRmT3_T4_T5_T6_T7_T9_mT8_P12ihipStream_tbDpT10_ENKUlT_T0_E_clISt17integral_constantIbLb0EES19_IbLb1EEEEDaS15_S16_EUlS15_E_NS1_11comp_targetILNS1_3genE0ELNS1_11target_archE4294967295ELNS1_3gpuE0ELNS1_3repE0EEENS1_30default_config_static_selectorELNS0_4arch9wavefront6targetE1EEEvT1_,"axG",@progbits,_ZN7rocprim17ROCPRIM_400000_NS6detail17trampoline_kernelINS0_14default_configENS1_25partition_config_selectorILNS1_17partition_subalgoE3EiNS0_10empty_typeEbEEZZNS1_14partition_implILS5_3ELb0ES3_jN6thrust23THRUST_200600_302600_NS6detail15normal_iteratorINSA_7pointerIiNSA_11hip_rocprim5par_tENSA_11use_defaultESG_EEEEPS6_SJ_NS0_5tupleIJPiSJ_EEENSK_IJSJ_SJ_EEES6_PlJ7is_evenIiEEEE10hipError_tPvRmT3_T4_T5_T6_T7_T9_mT8_P12ihipStream_tbDpT10_ENKUlT_T0_E_clISt17integral_constantIbLb0EES19_IbLb1EEEEDaS15_S16_EUlS15_E_NS1_11comp_targetILNS1_3genE0ELNS1_11target_archE4294967295ELNS1_3gpuE0ELNS1_3repE0EEENS1_30default_config_static_selectorELNS0_4arch9wavefront6targetE1EEEvT1_,comdat
.Lfunc_end3686:
	.size	_ZN7rocprim17ROCPRIM_400000_NS6detail17trampoline_kernelINS0_14default_configENS1_25partition_config_selectorILNS1_17partition_subalgoE3EiNS0_10empty_typeEbEEZZNS1_14partition_implILS5_3ELb0ES3_jN6thrust23THRUST_200600_302600_NS6detail15normal_iteratorINSA_7pointerIiNSA_11hip_rocprim5par_tENSA_11use_defaultESG_EEEEPS6_SJ_NS0_5tupleIJPiSJ_EEENSK_IJSJ_SJ_EEES6_PlJ7is_evenIiEEEE10hipError_tPvRmT3_T4_T5_T6_T7_T9_mT8_P12ihipStream_tbDpT10_ENKUlT_T0_E_clISt17integral_constantIbLb0EES19_IbLb1EEEEDaS15_S16_EUlS15_E_NS1_11comp_targetILNS1_3genE0ELNS1_11target_archE4294967295ELNS1_3gpuE0ELNS1_3repE0EEENS1_30default_config_static_selectorELNS0_4arch9wavefront6targetE1EEEvT1_, .Lfunc_end3686-_ZN7rocprim17ROCPRIM_400000_NS6detail17trampoline_kernelINS0_14default_configENS1_25partition_config_selectorILNS1_17partition_subalgoE3EiNS0_10empty_typeEbEEZZNS1_14partition_implILS5_3ELb0ES3_jN6thrust23THRUST_200600_302600_NS6detail15normal_iteratorINSA_7pointerIiNSA_11hip_rocprim5par_tENSA_11use_defaultESG_EEEEPS6_SJ_NS0_5tupleIJPiSJ_EEENSK_IJSJ_SJ_EEES6_PlJ7is_evenIiEEEE10hipError_tPvRmT3_T4_T5_T6_T7_T9_mT8_P12ihipStream_tbDpT10_ENKUlT_T0_E_clISt17integral_constantIbLb0EES19_IbLb1EEEEDaS15_S16_EUlS15_E_NS1_11comp_targetILNS1_3genE0ELNS1_11target_archE4294967295ELNS1_3gpuE0ELNS1_3repE0EEENS1_30default_config_static_selectorELNS0_4arch9wavefront6targetE1EEEvT1_
                                        ; -- End function
	.section	.AMDGPU.csdata,"",@progbits
; Kernel info:
; codeLenInByte = 0
; NumSgprs: 6
; NumVgprs: 0
; NumAgprs: 0
; TotalNumVgprs: 0
; ScratchSize: 0
; MemoryBound: 0
; FloatMode: 240
; IeeeMode: 1
; LDSByteSize: 0 bytes/workgroup (compile time only)
; SGPRBlocks: 0
; VGPRBlocks: 0
; NumSGPRsForWavesPerEU: 6
; NumVGPRsForWavesPerEU: 1
; AccumOffset: 4
; Occupancy: 8
; WaveLimiterHint : 0
; COMPUTE_PGM_RSRC2:SCRATCH_EN: 0
; COMPUTE_PGM_RSRC2:USER_SGPR: 2
; COMPUTE_PGM_RSRC2:TRAP_HANDLER: 0
; COMPUTE_PGM_RSRC2:TGID_X_EN: 1
; COMPUTE_PGM_RSRC2:TGID_Y_EN: 0
; COMPUTE_PGM_RSRC2:TGID_Z_EN: 0
; COMPUTE_PGM_RSRC2:TIDIG_COMP_CNT: 0
; COMPUTE_PGM_RSRC3_GFX90A:ACCUM_OFFSET: 0
; COMPUTE_PGM_RSRC3_GFX90A:TG_SPLIT: 0
	.section	.text._ZN7rocprim17ROCPRIM_400000_NS6detail17trampoline_kernelINS0_14default_configENS1_25partition_config_selectorILNS1_17partition_subalgoE3EiNS0_10empty_typeEbEEZZNS1_14partition_implILS5_3ELb0ES3_jN6thrust23THRUST_200600_302600_NS6detail15normal_iteratorINSA_7pointerIiNSA_11hip_rocprim5par_tENSA_11use_defaultESG_EEEEPS6_SJ_NS0_5tupleIJPiSJ_EEENSK_IJSJ_SJ_EEES6_PlJ7is_evenIiEEEE10hipError_tPvRmT3_T4_T5_T6_T7_T9_mT8_P12ihipStream_tbDpT10_ENKUlT_T0_E_clISt17integral_constantIbLb0EES19_IbLb1EEEEDaS15_S16_EUlS15_E_NS1_11comp_targetILNS1_3genE5ELNS1_11target_archE942ELNS1_3gpuE9ELNS1_3repE0EEENS1_30default_config_static_selectorELNS0_4arch9wavefront6targetE1EEEvT1_,"axG",@progbits,_ZN7rocprim17ROCPRIM_400000_NS6detail17trampoline_kernelINS0_14default_configENS1_25partition_config_selectorILNS1_17partition_subalgoE3EiNS0_10empty_typeEbEEZZNS1_14partition_implILS5_3ELb0ES3_jN6thrust23THRUST_200600_302600_NS6detail15normal_iteratorINSA_7pointerIiNSA_11hip_rocprim5par_tENSA_11use_defaultESG_EEEEPS6_SJ_NS0_5tupleIJPiSJ_EEENSK_IJSJ_SJ_EEES6_PlJ7is_evenIiEEEE10hipError_tPvRmT3_T4_T5_T6_T7_T9_mT8_P12ihipStream_tbDpT10_ENKUlT_T0_E_clISt17integral_constantIbLb0EES19_IbLb1EEEEDaS15_S16_EUlS15_E_NS1_11comp_targetILNS1_3genE5ELNS1_11target_archE942ELNS1_3gpuE9ELNS1_3repE0EEENS1_30default_config_static_selectorELNS0_4arch9wavefront6targetE1EEEvT1_,comdat
	.protected	_ZN7rocprim17ROCPRIM_400000_NS6detail17trampoline_kernelINS0_14default_configENS1_25partition_config_selectorILNS1_17partition_subalgoE3EiNS0_10empty_typeEbEEZZNS1_14partition_implILS5_3ELb0ES3_jN6thrust23THRUST_200600_302600_NS6detail15normal_iteratorINSA_7pointerIiNSA_11hip_rocprim5par_tENSA_11use_defaultESG_EEEEPS6_SJ_NS0_5tupleIJPiSJ_EEENSK_IJSJ_SJ_EEES6_PlJ7is_evenIiEEEE10hipError_tPvRmT3_T4_T5_T6_T7_T9_mT8_P12ihipStream_tbDpT10_ENKUlT_T0_E_clISt17integral_constantIbLb0EES19_IbLb1EEEEDaS15_S16_EUlS15_E_NS1_11comp_targetILNS1_3genE5ELNS1_11target_archE942ELNS1_3gpuE9ELNS1_3repE0EEENS1_30default_config_static_selectorELNS0_4arch9wavefront6targetE1EEEvT1_ ; -- Begin function _ZN7rocprim17ROCPRIM_400000_NS6detail17trampoline_kernelINS0_14default_configENS1_25partition_config_selectorILNS1_17partition_subalgoE3EiNS0_10empty_typeEbEEZZNS1_14partition_implILS5_3ELb0ES3_jN6thrust23THRUST_200600_302600_NS6detail15normal_iteratorINSA_7pointerIiNSA_11hip_rocprim5par_tENSA_11use_defaultESG_EEEEPS6_SJ_NS0_5tupleIJPiSJ_EEENSK_IJSJ_SJ_EEES6_PlJ7is_evenIiEEEE10hipError_tPvRmT3_T4_T5_T6_T7_T9_mT8_P12ihipStream_tbDpT10_ENKUlT_T0_E_clISt17integral_constantIbLb0EES19_IbLb1EEEEDaS15_S16_EUlS15_E_NS1_11comp_targetILNS1_3genE5ELNS1_11target_archE942ELNS1_3gpuE9ELNS1_3repE0EEENS1_30default_config_static_selectorELNS0_4arch9wavefront6targetE1EEEvT1_
	.globl	_ZN7rocprim17ROCPRIM_400000_NS6detail17trampoline_kernelINS0_14default_configENS1_25partition_config_selectorILNS1_17partition_subalgoE3EiNS0_10empty_typeEbEEZZNS1_14partition_implILS5_3ELb0ES3_jN6thrust23THRUST_200600_302600_NS6detail15normal_iteratorINSA_7pointerIiNSA_11hip_rocprim5par_tENSA_11use_defaultESG_EEEEPS6_SJ_NS0_5tupleIJPiSJ_EEENSK_IJSJ_SJ_EEES6_PlJ7is_evenIiEEEE10hipError_tPvRmT3_T4_T5_T6_T7_T9_mT8_P12ihipStream_tbDpT10_ENKUlT_T0_E_clISt17integral_constantIbLb0EES19_IbLb1EEEEDaS15_S16_EUlS15_E_NS1_11comp_targetILNS1_3genE5ELNS1_11target_archE942ELNS1_3gpuE9ELNS1_3repE0EEENS1_30default_config_static_selectorELNS0_4arch9wavefront6targetE1EEEvT1_
	.p2align	8
	.type	_ZN7rocprim17ROCPRIM_400000_NS6detail17trampoline_kernelINS0_14default_configENS1_25partition_config_selectorILNS1_17partition_subalgoE3EiNS0_10empty_typeEbEEZZNS1_14partition_implILS5_3ELb0ES3_jN6thrust23THRUST_200600_302600_NS6detail15normal_iteratorINSA_7pointerIiNSA_11hip_rocprim5par_tENSA_11use_defaultESG_EEEEPS6_SJ_NS0_5tupleIJPiSJ_EEENSK_IJSJ_SJ_EEES6_PlJ7is_evenIiEEEE10hipError_tPvRmT3_T4_T5_T6_T7_T9_mT8_P12ihipStream_tbDpT10_ENKUlT_T0_E_clISt17integral_constantIbLb0EES19_IbLb1EEEEDaS15_S16_EUlS15_E_NS1_11comp_targetILNS1_3genE5ELNS1_11target_archE942ELNS1_3gpuE9ELNS1_3repE0EEENS1_30default_config_static_selectorELNS0_4arch9wavefront6targetE1EEEvT1_,@function
_ZN7rocprim17ROCPRIM_400000_NS6detail17trampoline_kernelINS0_14default_configENS1_25partition_config_selectorILNS1_17partition_subalgoE3EiNS0_10empty_typeEbEEZZNS1_14partition_implILS5_3ELb0ES3_jN6thrust23THRUST_200600_302600_NS6detail15normal_iteratorINSA_7pointerIiNSA_11hip_rocprim5par_tENSA_11use_defaultESG_EEEEPS6_SJ_NS0_5tupleIJPiSJ_EEENSK_IJSJ_SJ_EEES6_PlJ7is_evenIiEEEE10hipError_tPvRmT3_T4_T5_T6_T7_T9_mT8_P12ihipStream_tbDpT10_ENKUlT_T0_E_clISt17integral_constantIbLb0EES19_IbLb1EEEEDaS15_S16_EUlS15_E_NS1_11comp_targetILNS1_3genE5ELNS1_11target_archE942ELNS1_3gpuE9ELNS1_3repE0EEENS1_30default_config_static_selectorELNS0_4arch9wavefront6targetE1EEEvT1_: ; @_ZN7rocprim17ROCPRIM_400000_NS6detail17trampoline_kernelINS0_14default_configENS1_25partition_config_selectorILNS1_17partition_subalgoE3EiNS0_10empty_typeEbEEZZNS1_14partition_implILS5_3ELb0ES3_jN6thrust23THRUST_200600_302600_NS6detail15normal_iteratorINSA_7pointerIiNSA_11hip_rocprim5par_tENSA_11use_defaultESG_EEEEPS6_SJ_NS0_5tupleIJPiSJ_EEENSK_IJSJ_SJ_EEES6_PlJ7is_evenIiEEEE10hipError_tPvRmT3_T4_T5_T6_T7_T9_mT8_P12ihipStream_tbDpT10_ENKUlT_T0_E_clISt17integral_constantIbLb0EES19_IbLb1EEEEDaS15_S16_EUlS15_E_NS1_11comp_targetILNS1_3genE5ELNS1_11target_archE942ELNS1_3gpuE9ELNS1_3repE0EEENS1_30default_config_static_selectorELNS0_4arch9wavefront6targetE1EEEvT1_
; %bb.0:
	s_load_dwordx2 s[22:23], s[0:1], 0x28
	s_load_dwordx4 s[24:27], s[0:1], 0x48
	s_load_dwordx2 s[34:35], s[0:1], 0x58
	s_load_dwordx2 s[36:37], s[0:1], 0x68
	v_cmp_eq_u32_e64 s[20:21], 0, v0
	s_and_saveexec_b64 s[2:3], s[20:21]
	s_cbranch_execz .LBB3687_4
; %bb.1:
	s_mov_b64 s[6:7], exec
	v_mbcnt_lo_u32_b32 v1, s6, 0
	v_mbcnt_hi_u32_b32 v1, s7, v1
	v_cmp_eq_u32_e32 vcc, 0, v1
                                        ; implicit-def: $vgpr2
	s_and_saveexec_b64 s[4:5], vcc
	s_cbranch_execz .LBB3687_3
; %bb.2:
	s_load_dwordx2 s[8:9], s[0:1], 0x78
	s_bcnt1_i32_b64 s6, s[6:7]
	v_mov_b32_e32 v2, 0
	v_mov_b32_e32 v3, s6
	s_waitcnt lgkmcnt(0)
	global_atomic_add v2, v2, v3, s[8:9] sc0
.LBB3687_3:
	s_or_b64 exec, exec, s[4:5]
	s_waitcnt vmcnt(0)
	v_readfirstlane_b32 s4, v2
	v_mov_b32_e32 v2, 0
	s_nop 0
	v_add_u32_e32 v1, s4, v1
	ds_write_b32 v2, v1
.LBB3687_4:
	s_or_b64 exec, exec, s[2:3]
	v_mov_b32_e32 v19, 0
	s_load_dwordx4 s[28:31], s[0:1], 0x8
	s_load_dword s2, s[0:1], 0x70
	s_waitcnt lgkmcnt(0)
	s_barrier
	ds_read_b32 v1, v19
	s_waitcnt lgkmcnt(0)
	s_barrier
	global_load_dwordx2 v[20:21], v19, s[26:27]
	s_lshl_b64 s[0:1], s[30:31], 2
	s_add_u32 s0, s28, s0
	s_addc_u32 s1, s29, s1
	s_movk_i32 s3, 0x1e00
	s_add_i32 s4, s2, -1
	s_mulk_i32 s2, 0x1e00
	v_mul_lo_u32 v18, v1, s3
	s_add_i32 s3, s2, s30
	s_sub_i32 s33, s34, s3
	s_addk_i32 s33, 0x1e00
	s_add_u32 s2, s30, s2
	v_readfirstlane_b32 s40, v1
	s_addc_u32 s3, s31, 0
	s_cmp_eq_u32 s40, s4
	v_mov_b64_e32 v[2:3], s[34:35]
	s_cselect_b64 s[26:27], -1, 0
	s_cmp_lg_u32 s40, s4
	v_cmp_lt_u64_e32 vcc, s[2:3], v[2:3]
	s_cselect_b64 s[2:3], -1, 0
	s_or_b64 s[4:5], vcc, s[2:3]
	v_lshlrev_b64 v[2:3], 2, v[18:19]
	v_lshl_add_u64 v[24:25], s[0:1], 0, v[2:3]
	s_mov_b64 s[0:1], -1
	s_and_b64 vcc, exec, s[4:5]
	v_lshlrev_b32_e32 v22, 2, v0
	s_cbranch_vccz .LBB3687_6
; %bb.5:
	v_mov_b32_e32 v23, v19
	v_lshl_add_u64 v[2:3], v[24:25], 0, v[22:23]
	v_add_co_u32_e32 v4, vcc, 0x1000, v2
	s_mov_b64 s[0:1], 0
	s_nop 0
	v_addc_co_u32_e32 v5, vcc, 0, v3, vcc
	v_add_co_u32_e32 v6, vcc, 0x2000, v2
	s_nop 1
	v_addc_co_u32_e32 v7, vcc, 0, v3, vcc
	v_add_co_u32_e32 v8, vcc, 0x3000, v2
	s_nop 1
	v_addc_co_u32_e32 v9, vcc, 0, v3, vcc
	flat_load_dword v1, v[2:3]
	flat_load_dword v10, v[2:3] offset:2048
	flat_load_dword v11, v[4:5]
	flat_load_dword v12, v[4:5] offset:2048
	;; [unrolled: 2-line block ×4, first 2 shown]
	v_add_co_u32_e32 v4, vcc, 0x4000, v2
	s_nop 1
	v_addc_co_u32_e32 v5, vcc, 0, v3, vcc
	v_add_co_u32_e32 v6, vcc, 0x5000, v2
	s_nop 1
	v_addc_co_u32_e32 v7, vcc, 0, v3, vcc
	;; [unrolled: 3-line block ×4, first 2 shown]
	flat_load_dword v17, v[4:5]
	flat_load_dword v23, v[4:5] offset:2048
	flat_load_dword v26, v[6:7]
	flat_load_dword v27, v[6:7] offset:2048
	;; [unrolled: 2-line block ×3, first 2 shown]
	flat_load_dword v30, v[2:3]
	s_waitcnt vmcnt(0) lgkmcnt(0)
	ds_write2st64_b32 v22, v1, v10 offset1:8
	ds_write2st64_b32 v22, v11, v12 offset0:16 offset1:24
	ds_write2st64_b32 v22, v13, v14 offset0:32 offset1:40
	;; [unrolled: 1-line block ×6, first 2 shown]
	ds_write_b32 v22, v30 offset:28672
	s_waitcnt lgkmcnt(0)
	s_barrier
.LBB3687_6:
	s_andn2_b64 vcc, exec, s[0:1]
	v_cmp_gt_u32_e64 s[0:1], s33, v0
	s_cbranch_vccnz .LBB3687_38
; %bb.7:
                                        ; implicit-def: $vgpr2_vgpr3_vgpr4_vgpr5_vgpr6_vgpr7_vgpr8_vgpr9_vgpr10_vgpr11_vgpr12_vgpr13_vgpr14_vgpr15_vgpr16_vgpr17
	s_and_saveexec_b64 s[2:3], s[0:1]
	s_cbranch_execz .LBB3687_9
; %bb.8:
	v_mov_b32_e32 v23, 0
	v_lshl_add_u64 v[2:3], v[24:25], 0, v[22:23]
	flat_load_dword v2, v[2:3]
.LBB3687_9:
	s_or_b64 exec, exec, s[2:3]
	v_or_b32_e32 v1, 0x200, v0
	v_cmp_gt_u32_e32 vcc, s33, v1
	s_and_saveexec_b64 s[0:1], vcc
	s_cbranch_execz .LBB3687_11
; %bb.10:
	v_mov_b32_e32 v23, 0
	v_lshl_add_u64 v[26:27], v[24:25], 0, v[22:23]
	flat_load_dword v3, v[26:27] offset:2048
.LBB3687_11:
	s_or_b64 exec, exec, s[0:1]
	v_or_b32_e32 v1, 0x400, v0
	v_cmp_gt_u32_e32 vcc, s33, v1
	s_and_saveexec_b64 s[0:1], vcc
	s_cbranch_execz .LBB3687_13
; %bb.12:
	v_lshlrev_b32_e32 v26, 2, v1
	v_mov_b32_e32 v27, 0
	v_lshl_add_u64 v[26:27], v[24:25], 0, v[26:27]
	flat_load_dword v4, v[26:27]
.LBB3687_13:
	s_or_b64 exec, exec, s[0:1]
	v_or_b32_e32 v1, 0x600, v0
	v_cmp_gt_u32_e32 vcc, s33, v1
	s_and_saveexec_b64 s[0:1], vcc
	s_cbranch_execz .LBB3687_15
; %bb.14:
	v_lshlrev_b32_e32 v26, 2, v1
	v_mov_b32_e32 v27, 0
	v_lshl_add_u64 v[26:27], v[24:25], 0, v[26:27]
	flat_load_dword v5, v[26:27]
.LBB3687_15:
	;; [unrolled: 11-line block ×13, first 2 shown]
	s_or_b64 exec, exec, s[0:1]
	s_waitcnt vmcnt(0) lgkmcnt(0)
	ds_write2st64_b32 v22, v2, v3 offset1:8
	ds_write2st64_b32 v22, v4, v5 offset0:16 offset1:24
	ds_write2st64_b32 v22, v6, v7 offset0:32 offset1:40
	;; [unrolled: 1-line block ×6, first 2 shown]
	ds_write_b32 v22, v16 offset:28672
	s_waitcnt lgkmcnt(0)
	s_barrier
.LBB3687_38:
	v_mul_u32_u24_e32 v41, 15, v0
	v_lshlrev_b32_e32 v1, 2, v41
	ds_read2_b32 v[38:39], v1 offset1:1
	ds_read2_b32 v[36:37], v1 offset0:2 offset1:3
	ds_read2_b32 v[34:35], v1 offset0:4 offset1:5
	;; [unrolled: 1-line block ×6, first 2 shown]
	ds_read_b32 v1, v1 offset:56
	v_cndmask_b32_e64 v2, 0, 1, s[4:5]
	v_cmp_ne_u32_e64 s[2:3], 1, v2
	s_andn2_b64 vcc, exec, s[4:5]
	s_waitcnt lgkmcnt(7)
	v_xor_b32_e32 v16, -1, v38
	v_xor_b32_e32 v15, -1, v39
	s_waitcnt lgkmcnt(6)
	v_xor_b32_e32 v14, -1, v36
	v_xor_b32_e32 v13, -1, v37
	;; [unrolled: 3-line block ×7, first 2 shown]
	s_waitcnt lgkmcnt(0)
	v_xor_b32_e32 v2, -1, v1
	s_barrier
	s_cbranch_vccnz .LBB3687_40
; %bb.39:
	v_and_b32_e32 v54, 1, v16
	v_and_b32_e32 v53, 1, v15
	;; [unrolled: 1-line block ×15, first 2 shown]
	s_cbranch_execz .LBB3687_41
	s_branch .LBB3687_42
.LBB3687_40:
                                        ; implicit-def: $vgpr23
                                        ; implicit-def: $vgpr40
                                        ; implicit-def: $vgpr42
                                        ; implicit-def: $vgpr43
                                        ; implicit-def: $vgpr44
                                        ; implicit-def: $vgpr45
                                        ; implicit-def: $vgpr46
                                        ; implicit-def: $vgpr47
                                        ; implicit-def: $vgpr48
                                        ; implicit-def: $vgpr54
                                        ; implicit-def: $vgpr53
                                        ; implicit-def: $vgpr52
                                        ; implicit-def: $vgpr51
                                        ; implicit-def: $vgpr50
                                        ; implicit-def: $vgpr49
.LBB3687_41:
	v_add_u32_e32 v48, 1, v41
	v_cmp_gt_u32_e32 vcc, s33, v41
	v_add_u32_e32 v17, 2, v41
	v_add_u32_e32 v47, 3, v41
	v_cndmask_b32_e64 v49, 0, 1, vcc
	v_cmp_gt_u32_e32 vcc, s33, v48
	v_and_b32_e32 v54, v49, v16
	v_add_u32_e32 v23, 4, v41
	v_cndmask_b32_e64 v16, 0, 1, vcc
	v_cmp_gt_u32_e32 vcc, s33, v17
	v_and_b32_e32 v53, v16, v15
	;; [unrolled: 4-line block ×12, first 2 shown]
	s_nop 0
	v_cndmask_b32_e64 v5, 0, 1, vcc
	v_cmp_gt_u32_e32 vcc, s33, v56
	v_and_b32_e32 v42, v5, v4
	s_nop 0
	v_cndmask_b32_e64 v4, 0, 1, vcc
	v_cmp_gt_u32_e32 vcc, s33, v55
	v_and_b32_e32 v40, v4, v3
	s_nop 0
	v_cndmask_b32_e64 v3, 0, 1, vcc
	v_and_b32_e32 v23, v3, v2
.LBB3687_42:
	v_and_b32_e32 v59, 0xff, v51
	v_and_b32_e32 v60, 0xff, v50
	;; [unrolled: 1-line block ×5, first 2 shown]
	v_add3_u32 v3, v60, v61, v59
	v_and_b32_e32 v55, 0xff, v54
	v_and_b32_e32 v62, 0xff, v48
	v_add3_u32 v3, v3, v58, v57
	v_and_b32_e32 v63, 0xff, v47
	v_and_b32_e32 v64, 0xff, v46
	;; [unrolled: 3-line block ×5, first 2 shown]
	v_add3_u32 v3, v3, v67, v68
	v_add3_u32 v72, v3, v69, v2
	v_mbcnt_lo_u32_b32 v2, -1, 0
	v_mbcnt_hi_u32_b32 v70, -1, v2
	v_and_b32_e32 v2, 15, v70
	v_cmp_eq_u32_e64 s[16:17], 0, v2
	v_cmp_lt_u32_e64 s[14:15], 1, v2
	v_cmp_lt_u32_e64 s[12:13], 3, v2
	;; [unrolled: 1-line block ×3, first 2 shown]
	v_and_b32_e32 v2, 16, v70
	v_cmp_eq_u32_e64 s[8:9], 0, v2
	v_or_b32_e32 v2, 63, v0
	s_cmp_lg_u32 s40, 0
	v_cmp_lt_u32_e64 s[4:5], 31, v70
	v_lshrrev_b32_e32 v71, 6, v0
	v_cmp_eq_u32_e64 s[6:7], v2, v0
	s_cbranch_scc0 .LBB3687_69
; %bb.43:
	v_mov_b32_dpp v2, v72 row_shr:1 row_mask:0xf bank_mask:0xf
	v_cndmask_b32_e64 v2, v2, 0, s[16:17]
	v_add_u32_e32 v2, v2, v72
	s_nop 1
	v_mov_b32_dpp v3, v2 row_shr:2 row_mask:0xf bank_mask:0xf
	v_cndmask_b32_e64 v3, 0, v3, s[14:15]
	v_add_u32_e32 v2, v2, v3
	s_nop 1
	;; [unrolled: 4-line block ×4, first 2 shown]
	v_mov_b32_dpp v3, v2 row_bcast:15 row_mask:0xf bank_mask:0xf
	v_cndmask_b32_e64 v3, v3, 0, s[8:9]
	v_add_u32_e32 v2, v2, v3
	s_nop 1
	v_mov_b32_dpp v3, v2 row_bcast:31 row_mask:0xf bank_mask:0xf
	v_cndmask_b32_e64 v3, 0, v3, s[4:5]
	v_add_u32_e32 v2, v2, v3
	s_and_saveexec_b64 s[0:1], s[6:7]
	s_cbranch_execz .LBB3687_45
; %bb.44:
	v_lshlrev_b32_e32 v3, 2, v71
	ds_write_b32 v3, v2
.LBB3687_45:
	s_or_b64 exec, exec, s[0:1]
	v_cmp_gt_u32_e32 vcc, 8, v0
	s_waitcnt lgkmcnt(0)
	s_barrier
	s_and_saveexec_b64 s[0:1], vcc
	s_cbranch_execz .LBB3687_47
; %bb.46:
	ds_read_b32 v3, v22
	v_and_b32_e32 v4, 7, v70
	v_cmp_ne_u32_e32 vcc, 0, v4
	s_waitcnt lgkmcnt(0)
	v_mov_b32_dpp v5, v3 row_shr:1 row_mask:0xf bank_mask:0xf
	v_cndmask_b32_e32 v5, 0, v5, vcc
	v_add_u32_e32 v3, v5, v3
	v_cmp_lt_u32_e32 vcc, 1, v4
	s_nop 0
	v_mov_b32_dpp v5, v3 row_shr:2 row_mask:0xf bank_mask:0xf
	v_cndmask_b32_e32 v5, 0, v5, vcc
	v_add_u32_e32 v3, v3, v5
	v_cmp_lt_u32_e32 vcc, 3, v4
	s_nop 0
	v_mov_b32_dpp v5, v3 row_shr:4 row_mask:0xf bank_mask:0xf
	v_cndmask_b32_e32 v4, 0, v5, vcc
	v_add_u32_e32 v3, v3, v4
	ds_write_b32 v22, v3
.LBB3687_47:
	s_or_b64 exec, exec, s[0:1]
	v_cmp_gt_u32_e32 vcc, 64, v0
	v_cmp_lt_u32_e64 s[0:1], 63, v0
	s_waitcnt lgkmcnt(0)
	s_barrier
	s_waitcnt lgkmcnt(0)
                                        ; implicit-def: $vgpr12
	s_and_saveexec_b64 s[18:19], s[0:1]
	s_cbranch_execz .LBB3687_49
; %bb.48:
	v_lshl_add_u32 v3, v71, 2, -4
	ds_read_b32 v12, v3
	s_waitcnt lgkmcnt(0)
	v_add_u32_e32 v2, v12, v2
.LBB3687_49:
	s_or_b64 exec, exec, s[18:19]
	v_add_u32_e32 v3, -1, v70
	v_and_b32_e32 v4, 64, v70
	v_cmp_lt_i32_e64 s[0:1], v3, v4
	v_cmp_eq_u32_e64 s[18:19], 0, v70
	s_nop 0
	v_cndmask_b32_e64 v3, v3, v70, s[0:1]
	v_lshlrev_b32_e32 v3, 2, v3
	ds_bpermute_b32 v13, v3, v2
	s_and_saveexec_b64 s[0:1], vcc
	s_cbranch_execz .LBB3687_68
; %bb.50:
	v_mov_b32_e32 v9, 0
	ds_read_b32 v2, v9 offset:28
	s_and_saveexec_b64 s[28:29], s[18:19]
	s_cbranch_execz .LBB3687_52
; %bb.51:
	s_add_i32 s38, s40, 64
	s_mov_b32 s39, 0
	s_lshl_b64 s[38:39], s[38:39], 3
	s_add_u32 s38, s36, s38
	v_mov_b32_e32 v3, 1
	s_addc_u32 s39, s37, s39
	s_waitcnt lgkmcnt(0)
	global_store_dwordx2 v9, v[2:3], s[38:39] sc1
.LBB3687_52:
	s_or_b64 exec, exec, s[28:29]
	v_xad_u32 v4, v70, -1, s40
	v_add_u32_e32 v8, 64, v4
	v_lshl_add_u64 v[10:11], v[8:9], 3, s[36:37]
	global_load_dwordx2 v[6:7], v[10:11], off sc1
	s_waitcnt vmcnt(0)
	v_cmp_eq_u16_sdwa s[38:39], v7, v9 src0_sel:BYTE_0 src1_sel:DWORD
	s_and_saveexec_b64 s[28:29], s[38:39]
	s_cbranch_execz .LBB3687_56
; %bb.53:
	s_mov_b64 s[38:39], 0
	v_mov_b32_e32 v3, 0
.LBB3687_54:                            ; =>This Inner Loop Header: Depth=1
	global_load_dwordx2 v[6:7], v[10:11], off sc1
	s_waitcnt vmcnt(0)
	v_cmp_ne_u16_sdwa s[42:43], v7, v3 src0_sel:BYTE_0 src1_sel:DWORD
	s_or_b64 s[38:39], s[42:43], s[38:39]
	s_andn2_b64 exec, exec, s[38:39]
	s_cbranch_execnz .LBB3687_54
; %bb.55:
	s_or_b64 exec, exec, s[38:39]
.LBB3687_56:
	s_or_b64 exec, exec, s[28:29]
	v_and_b32_e32 v15, 63, v70
	v_mov_b32_e32 v14, 2
	v_cmp_ne_u32_e32 vcc, 63, v15
	v_cmp_eq_u16_sdwa s[28:29], v7, v14 src0_sel:BYTE_0 src1_sel:DWORD
	v_lshlrev_b64 v[8:9], v70, -1
	v_addc_co_u32_e32 v10, vcc, 0, v70, vcc
	v_and_b32_e32 v3, s29, v9
	v_lshlrev_b32_e32 v16, 2, v10
	v_or_b32_e32 v3, 0x80000000, v3
	ds_bpermute_b32 v10, v16, v6
	v_and_b32_e32 v5, s28, v8
	v_ffbl_b32_e32 v3, v3
	v_add_u32_e32 v3, 32, v3
	v_ffbl_b32_e32 v5, v5
	v_min_u32_e32 v3, v5, v3
	v_cmp_lt_u32_e32 vcc, v15, v3
	v_add_u32_e32 v24, 2, v15
	v_add_u32_e32 v56, 4, v15
	s_waitcnt lgkmcnt(0)
	v_cndmask_b32_e32 v5, 0, v10, vcc
	v_cmp_gt_u32_e32 vcc, 62, v15
	v_add_u32_e32 v5, v5, v6
	v_add_u32_e32 v74, 8, v15
	v_cndmask_b32_e64 v6, 0, 1, vcc
	v_lshlrev_b32_e32 v6, 1, v6
	v_add_lshl_u32 v17, v6, v70, 2
	ds_bpermute_b32 v6, v17, v5
	v_cmp_le_u32_e32 vcc, v24, v3
	v_add_u32_e32 v76, 16, v15
	v_add_u32_e32 v78, 32, v15
	s_waitcnt lgkmcnt(0)
	v_cndmask_b32_e32 v6, 0, v6, vcc
	v_cmp_gt_u32_e32 vcc, 60, v15
	v_add_u32_e32 v5, v5, v6
	s_nop 0
	v_cndmask_b32_e64 v6, 0, 1, vcc
	v_lshlrev_b32_e32 v6, 2, v6
	v_add_lshl_u32 v25, v6, v70, 2
	ds_bpermute_b32 v6, v25, v5
	v_cmp_le_u32_e32 vcc, v56, v3
	s_waitcnt lgkmcnt(0)
	s_nop 0
	v_cndmask_b32_e32 v6, 0, v6, vcc
	v_cmp_gt_u32_e32 vcc, 56, v15
	v_add_u32_e32 v5, v5, v6
	s_nop 0
	v_cndmask_b32_e64 v6, 0, 1, vcc
	v_lshlrev_b32_e32 v6, 3, v6
	v_add_lshl_u32 v73, v6, v70, 2
	ds_bpermute_b32 v6, v73, v5
	v_cmp_le_u32_e32 vcc, v74, v3
	s_waitcnt lgkmcnt(0)
	s_nop 0
	v_cndmask_b32_e32 v6, 0, v6, vcc
	v_cmp_gt_u32_e32 vcc, 48, v15
	v_add_u32_e32 v5, v5, v6
	s_nop 0
	v_cndmask_b32_e64 v6, 0, 1, vcc
	v_lshlrev_b32_e32 v6, 4, v6
	v_add_lshl_u32 v75, v6, v70, 2
	ds_bpermute_b32 v6, v75, v5
	v_cmp_le_u32_e32 vcc, v76, v3
	s_waitcnt lgkmcnt(0)
	s_nop 0
	v_cndmask_b32_e32 v6, 0, v6, vcc
	v_cmp_gt_u32_e32 vcc, 32, v15
	v_add_u32_e32 v5, v5, v6
	s_nop 0
	v_cndmask_b32_e64 v6, 0, 1, vcc
	v_lshlrev_b32_e32 v6, 5, v6
	v_add_lshl_u32 v77, v6, v70, 2
	ds_bpermute_b32 v6, v77, v5
	v_cmp_le_u32_e32 vcc, v78, v3
	s_waitcnt lgkmcnt(0)
	s_nop 0
	v_cndmask_b32_e32 v3, 0, v6, vcc
	v_add_u32_e32 v6, v5, v3
	v_mov_b32_e32 v5, 0
	s_branch .LBB3687_58
.LBB3687_57:                            ;   in Loop: Header=BB3687_58 Depth=1
	s_or_b64 exec, exec, s[28:29]
	v_cmp_eq_u16_sdwa s[28:29], v7, v14 src0_sel:BYTE_0 src1_sel:DWORD
	ds_bpermute_b32 v79, v16, v6
	v_subrev_u32_e32 v4, 64, v4
	v_and_b32_e32 v10, s29, v9
	v_or_b32_e32 v10, 0x80000000, v10
	v_and_b32_e32 v11, s28, v8
	v_ffbl_b32_e32 v10, v10
	v_add_u32_e32 v10, 32, v10
	v_ffbl_b32_e32 v11, v11
	v_min_u32_e32 v10, v11, v10
	v_cmp_lt_u32_e32 vcc, v15, v10
	s_waitcnt lgkmcnt(0)
	s_nop 0
	v_cndmask_b32_e32 v11, 0, v79, vcc
	v_add_u32_e32 v6, v11, v6
	ds_bpermute_b32 v11, v17, v6
	v_cmp_le_u32_e32 vcc, v24, v10
	s_waitcnt lgkmcnt(0)
	s_nop 0
	v_cndmask_b32_e32 v11, 0, v11, vcc
	v_add_u32_e32 v6, v6, v11
	ds_bpermute_b32 v11, v25, v6
	v_cmp_le_u32_e32 vcc, v56, v10
	;; [unrolled: 6-line block ×5, first 2 shown]
	s_waitcnt lgkmcnt(0)
	s_nop 0
	v_cndmask_b32_e32 v10, 0, v11, vcc
	v_add3_u32 v6, v10, v3, v6
.LBB3687_58:                            ; =>This Loop Header: Depth=1
                                        ;     Child Loop BB3687_61 Depth 2
	v_cmp_ne_u16_sdwa s[28:29], v7, v14 src0_sel:BYTE_0 src1_sel:DWORD
	s_nop 1
	v_cndmask_b32_e64 v3, 0, 1, s[28:29]
	;;#ASMSTART
	;;#ASMEND
	s_nop 0
	v_cmp_ne_u32_e32 vcc, 0, v3
	s_cmp_lg_u64 vcc, exec
	v_mov_b32_e32 v3, v6
	s_cbranch_scc1 .LBB3687_63
; %bb.59:                               ;   in Loop: Header=BB3687_58 Depth=1
	v_lshl_add_u64 v[10:11], v[4:5], 3, s[36:37]
	global_load_dwordx2 v[6:7], v[10:11], off sc1
	s_waitcnt vmcnt(0)
	v_cmp_eq_u16_sdwa s[38:39], v7, v5 src0_sel:BYTE_0 src1_sel:DWORD
	s_and_saveexec_b64 s[28:29], s[38:39]
	s_cbranch_execz .LBB3687_57
; %bb.60:                               ;   in Loop: Header=BB3687_58 Depth=1
	s_mov_b64 s[38:39], 0
.LBB3687_61:                            ;   Parent Loop BB3687_58 Depth=1
                                        ; =>  This Inner Loop Header: Depth=2
	global_load_dwordx2 v[6:7], v[10:11], off sc1
	s_waitcnt vmcnt(0)
	v_cmp_ne_u16_sdwa s[42:43], v7, v5 src0_sel:BYTE_0 src1_sel:DWORD
	s_or_b64 s[38:39], s[42:43], s[38:39]
	s_andn2_b64 exec, exec, s[38:39]
	s_cbranch_execnz .LBB3687_61
; %bb.62:                               ;   in Loop: Header=BB3687_58 Depth=1
	s_or_b64 exec, exec, s[38:39]
	s_branch .LBB3687_57
.LBB3687_63:                            ;   in Loop: Header=BB3687_58 Depth=1
                                        ; implicit-def: $vgpr6
                                        ; implicit-def: $vgpr7
	s_cbranch_execz .LBB3687_58
; %bb.64:
	s_and_saveexec_b64 s[28:29], s[18:19]
	s_cbranch_execz .LBB3687_66
; %bb.65:
	s_add_i32 s38, s40, 64
	s_mov_b32 s39, 0
	s_lshl_b64 s[38:39], s[38:39], 3
	s_add_u32 s38, s36, s38
	v_add_u32_e32 v4, v3, v2
	v_mov_b32_e32 v5, 2
	s_addc_u32 s39, s37, s39
	v_mov_b32_e32 v6, 0
	global_store_dwordx2 v6, v[4:5], s[38:39] sc1
	ds_write_b64 v6, v[2:3] offset:30720
.LBB3687_66:
	s_or_b64 exec, exec, s[28:29]
	s_and_b64 exec, exec, s[20:21]
	s_cbranch_execz .LBB3687_68
; %bb.67:
	v_mov_b32_e32 v2, 0
	ds_write_b32 v2, v3 offset:28
.LBB3687_68:
	s_or_b64 exec, exec, s[0:1]
	v_mov_b32_e32 v14, 0
	s_waitcnt lgkmcnt(0)
	s_barrier
	ds_read_b32 v2, v14 offset:28
	v_cndmask_b32_e64 v3, v13, v12, s[18:19]
	v_cndmask_b32_e64 v3, v3, 0, s[20:21]
	s_waitcnt lgkmcnt(0)
	s_barrier
	v_add_u32_e32 v2, v2, v3
	v_add_u32_e32 v3, v2, v55
	;; [unrolled: 1-line block ×10, first 2 shown]
	ds_read_b64 v[24:25], v14 offset:30720
	v_add_u32_e32 v12, v11, v65
	v_add_u32_e32 v13, v12, v66
	;; [unrolled: 1-line block ×5, first 2 shown]
	s_waitcnt lgkmcnt(0)
	v_mov_b32_e32 v56, v25
	s_branch .LBB3687_79
.LBB3687_69:
                                        ; implicit-def: $vgpr56
                                        ; implicit-def: $vgpr24
                                        ; implicit-def: $vgpr2_vgpr3_vgpr4_vgpr5_vgpr6_vgpr7_vgpr8_vgpr9_vgpr10_vgpr11_vgpr12_vgpr13_vgpr14_vgpr15_vgpr16_vgpr17
	s_cbranch_execz .LBB3687_79
; %bb.70:
	s_nop 0
	v_mov_b32_dpp v2, v72 row_shr:1 row_mask:0xf bank_mask:0xf
	v_cndmask_b32_e64 v2, v2, 0, s[16:17]
	v_add_u32_e32 v2, v2, v72
	s_nop 1
	v_mov_b32_dpp v3, v2 row_shr:2 row_mask:0xf bank_mask:0xf
	v_cndmask_b32_e64 v3, 0, v3, s[14:15]
	v_add_u32_e32 v2, v2, v3
	;; [unrolled: 4-line block ×4, first 2 shown]
	s_nop 1
	v_mov_b32_dpp v3, v2 row_bcast:15 row_mask:0xf bank_mask:0xf
	v_cndmask_b32_e64 v3, v3, 0, s[8:9]
	v_add_u32_e32 v2, v2, v3
	s_nop 1
	v_mov_b32_dpp v3, v2 row_bcast:31 row_mask:0xf bank_mask:0xf
	v_cndmask_b32_e64 v3, 0, v3, s[4:5]
	v_add_u32_e32 v2, v2, v3
	s_and_saveexec_b64 s[0:1], s[6:7]
	s_cbranch_execz .LBB3687_72
; %bb.71:
	v_lshlrev_b32_e32 v3, 2, v71
	ds_write_b32 v3, v2
.LBB3687_72:
	s_or_b64 exec, exec, s[0:1]
	v_cmp_gt_u32_e32 vcc, 8, v0
	s_waitcnt lgkmcnt(0)
	s_barrier
	s_and_saveexec_b64 s[0:1], vcc
	s_cbranch_execz .LBB3687_74
; %bb.73:
	ds_read_b32 v3, v22
	v_and_b32_e32 v4, 7, v70
	v_cmp_ne_u32_e32 vcc, 0, v4
	s_waitcnt lgkmcnt(0)
	v_mov_b32_dpp v5, v3 row_shr:1 row_mask:0xf bank_mask:0xf
	v_cndmask_b32_e32 v5, 0, v5, vcc
	v_add_u32_e32 v3, v5, v3
	v_cmp_lt_u32_e32 vcc, 1, v4
	s_nop 0
	v_mov_b32_dpp v5, v3 row_shr:2 row_mask:0xf bank_mask:0xf
	v_cndmask_b32_e32 v5, 0, v5, vcc
	v_add_u32_e32 v3, v3, v5
	v_cmp_lt_u32_e32 vcc, 3, v4
	s_nop 0
	v_mov_b32_dpp v5, v3 row_shr:4 row_mask:0xf bank_mask:0xf
	v_cndmask_b32_e32 v4, 0, v5, vcc
	v_add_u32_e32 v3, v3, v4
	ds_write_b32 v22, v3
.LBB3687_74:
	s_or_b64 exec, exec, s[0:1]
	v_cmp_lt_u32_e32 vcc, 63, v0
	v_mov_b32_e32 v4, 0
	v_mov_b32_e32 v3, 0
	s_waitcnt lgkmcnt(0)
	s_barrier
	s_and_saveexec_b64 s[0:1], vcc
	s_cbranch_execz .LBB3687_76
; %bb.75:
	v_lshl_add_u32 v3, v71, 2, -4
	ds_read_b32 v3, v3
.LBB3687_76:
	s_or_b64 exec, exec, s[0:1]
	v_add_u32_e32 v5, -1, v70
	v_and_b32_e32 v6, 64, v70
	v_cmp_lt_i32_e32 vcc, v5, v6
	s_waitcnt lgkmcnt(0)
	v_add_u32_e32 v2, v3, v2
	ds_read_b32 v24, v4 offset:28
	v_cndmask_b32_e32 v5, v5, v70, vcc
	v_lshlrev_b32_e32 v5, 2, v5
	ds_bpermute_b32 v2, v5, v2
	s_and_saveexec_b64 s[0:1], s[20:21]
	s_cbranch_execz .LBB3687_78
; %bb.77:
	v_mov_b32_e32 v4, 0
	v_mov_b32_e32 v25, 2
	s_waitcnt lgkmcnt(1)
	global_store_dwordx2 v4, v[24:25], s[36:37] offset:512 sc1
.LBB3687_78:
	s_or_b64 exec, exec, s[0:1]
	v_cmp_eq_u32_e32 vcc, 0, v70
	v_mov_b32_e32 v56, 0
	s_waitcnt lgkmcnt(0)
	v_cndmask_b32_e32 v2, v2, v3, vcc
	v_cndmask_b32_e64 v2, v2, 0, s[20:21]
	v_add_u32_e32 v3, v2, v55
	v_add_u32_e32 v4, v3, v57
	;; [unrolled: 1-line block ×14, first 2 shown]
	s_barrier
.LBB3687_79:
	v_add_u32_e32 v17, v24, v41
	v_sub_u32_e32 v2, v2, v56
	v_and_b32_e32 v41, 1, v54
	v_sub_u32_e32 v25, v17, v2
	v_cmp_eq_u32_e32 vcc, 1, v41
	v_or_b32_e32 v54, 0x200, v0
	s_nop 0
	v_cndmask_b32_e32 v2, v25, v2, vcc
	v_lshlrev_b32_e32 v2, 2, v2
	ds_write_b32 v2, v38
	v_sub_u32_e32 v2, v3, v56
	v_sub_u32_e32 v3, v17, v2
	v_and_b32_e32 v25, 1, v53
	v_add_u32_e32 v3, 1, v3
	v_cmp_eq_u32_e32 vcc, 1, v25
	v_or_b32_e32 v38, 0xc00, v0
	s_nop 0
	v_cndmask_b32_e32 v2, v3, v2, vcc
	v_lshlrev_b32_e32 v2, 2, v2
	ds_write_b32 v2, v39
	v_sub_u32_e32 v2, v4, v56
	v_sub_u32_e32 v3, v17, v2
	v_and_b32_e32 v4, 1, v52
	v_add_u32_e32 v3, 2, v3
	v_cmp_eq_u32_e32 vcc, 1, v4
	v_and_b32_e32 v4, 1, v51
	s_nop 0
	v_cndmask_b32_e32 v2, v3, v2, vcc
	v_lshlrev_b32_e32 v2, 2, v2
	ds_write_b32 v2, v36
	v_sub_u32_e32 v2, v5, v56
	v_sub_u32_e32 v3, v17, v2
	v_add_u32_e32 v3, 3, v3
	v_cmp_eq_u32_e32 vcc, 1, v4
	v_and_b32_e32 v4, 1, v50
	v_or_b32_e32 v50, 0x400, v0
	v_cndmask_b32_e32 v2, v3, v2, vcc
	v_lshlrev_b32_e32 v2, 2, v2
	ds_write_b32 v2, v37
	v_sub_u32_e32 v2, v6, v56
	v_sub_u32_e32 v3, v17, v2
	v_add_u32_e32 v3, 4, v3
	v_cmp_eq_u32_e32 vcc, 1, v4
	v_and_b32_e32 v4, 1, v49
	v_or_b32_e32 v36, 0xe00, v0
	v_cndmask_b32_e32 v2, v3, v2, vcc
	v_lshlrev_b32_e32 v2, 2, v2
	ds_write_b32 v2, v34
	v_sub_u32_e32 v2, v7, v56
	v_sub_u32_e32 v3, v17, v2
	v_add_u32_e32 v3, 5, v3
	v_cmp_eq_u32_e32 vcc, 1, v4
	v_and_b32_e32 v4, 1, v48
	v_lshl_add_u64 v[6:7], s[30:31], 0, v[18:19]
	v_cndmask_b32_e32 v2, v3, v2, vcc
	v_lshlrev_b32_e32 v2, 2, v2
	ds_write_b32 v2, v35
	v_sub_u32_e32 v2, v8, v56
	v_sub_u32_e32 v3, v17, v2
	v_add_u32_e32 v3, 6, v3
	v_cmp_eq_u32_e32 vcc, 1, v4
	v_and_b32_e32 v4, 1, v47
	v_mov_b32_e32 v18, s35
	v_cndmask_b32_e32 v2, v3, v2, vcc
	v_lshlrev_b32_e32 v2, 2, v2
	ds_write_b32 v2, v32
	v_sub_u32_e32 v2, v9, v56
	v_sub_u32_e32 v3, v17, v2
	v_add_u32_e32 v3, 7, v3
	v_cmp_eq_u32_e32 vcc, 1, v4
	v_and_b32_e32 v4, 1, v46
	v_or_b32_e32 v48, 0x600, v0
	v_cndmask_b32_e32 v2, v3, v2, vcc
	v_lshlrev_b32_e32 v2, 2, v2
	ds_write_b32 v2, v33
	v_sub_u32_e32 v2, v10, v56
	v_sub_u32_e32 v3, v17, v2
	v_add_u32_e32 v3, 8, v3
	v_cmp_eq_u32_e32 vcc, 1, v4
	v_and_b32_e32 v4, 1, v45
	v_or_b32_e32 v32, 0x1000, v0
	;; [unrolled: 9-line block ×7, first 2 shown]
	v_cndmask_b32_e32 v2, v3, v2, vcc
	v_lshlrev_b32_e32 v2, 2, v2
	ds_write_b32 v2, v27
	v_sub_u32_e32 v2, v16, v56
	v_sub_u32_e32 v3, v17, v2
	v_add_u32_e32 v3, 14, v3
	v_cmp_eq_u32_e32 vcc, 1, v4
	v_or_b32_e32 v16, 0x1600, v0
	v_or_b32_e32 v10, 0x1a00, v0
	v_cndmask_b32_e32 v2, v3, v2, vcc
	v_lshlrev_b32_e32 v2, 2, v2
	ds_write_b32 v2, v1
	s_waitcnt lgkmcnt(0)
	s_barrier
	ds_read2st64_b32 v[52:53], v22 offset1:8
	ds_read2st64_b32 v[46:47], v22 offset0:16 offset1:24
	ds_read2st64_b32 v[40:41], v22 offset0:32 offset1:40
	;; [unrolled: 1-line block ×6, first 2 shown]
	ds_read_b32 v22, v22 offset:28672
	v_mov_b32_e32 v1, 0
	v_sub_co_u32_e32 v6, vcc, s34, v6
	v_mov_b32_e32 v57, v1
	v_mov_b32_e32 v25, v1
	v_subb_co_u32_e32 v7, vcc, v18, v7, vcc
	s_waitcnt vmcnt(0)
	v_lshl_add_u64 v[2:3], v[20:21], 0, v[56:57]
	v_lshl_add_u64 v[6:7], v[6:7], 0, v[24:25]
	v_mov_b32_e32 v55, v1
	v_mov_b32_e32 v51, v1
	;; [unrolled: 1-line block ×13, first 2 shown]
	v_or_b32_e32 v4, 0x1c00, v0
	v_mov_b32_e32 v5, v1
	s_and_b64 vcc, exec, s[2:3]
	v_lshl_add_u64 v[6:7], v[6:7], 0, v[2:3]
	s_cbranch_vccnz .LBB3687_144
; %bb.80:
	v_cmp_ge_u32_e32 vcc, v0, v24
                                        ; implicit-def: $vgpr18_vgpr19
	s_and_saveexec_b64 s[0:1], vcc
	s_xor_b64 s[0:1], exec, s[0:1]
; %bb.81:
	v_not_b32_e32 v18, v0
	v_ashrrev_i32_e32 v19, 31, v18
	v_lshl_add_u64 v[18:19], v[6:7], 0, v[18:19]
; %bb.82:
	s_andn2_saveexec_b64 s[0:1], s[0:1]
; %bb.83:
	v_lshl_add_u64 v[18:19], v[2:3], 0, v[0:1]
; %bb.84:
	s_or_b64 exec, exec, s[0:1]
	v_lshl_add_u64 v[18:19], v[18:19], 2, s[22:23]
	v_cmp_ge_u32_e32 vcc, v54, v24
	s_waitcnt lgkmcnt(7)
	global_store_dword v[18:19], v52, off
                                        ; implicit-def: $vgpr18_vgpr19
	s_and_saveexec_b64 s[0:1], vcc
	s_xor_b64 s[0:1], exec, s[0:1]
; %bb.85:
	v_xor_b32_e32 v18, 0xfffffdff, v0
	v_ashrrev_i32_e32 v19, 31, v18
	v_lshl_add_u64 v[18:19], v[6:7], 0, v[18:19]
; %bb.86:
	s_andn2_saveexec_b64 s[0:1], s[0:1]
; %bb.87:
	v_lshl_add_u64 v[18:19], v[2:3], 0, v[54:55]
; %bb.88:
	s_or_b64 exec, exec, s[0:1]
	v_lshl_add_u64 v[18:19], v[18:19], 2, s[22:23]
	v_cmp_ge_u32_e32 vcc, v50, v24
	global_store_dword v[18:19], v53, off
                                        ; implicit-def: $vgpr18_vgpr19
	s_and_saveexec_b64 s[0:1], vcc
	s_xor_b64 s[0:1], exec, s[0:1]
; %bb.89:
	v_xor_b32_e32 v18, 0xfffffbff, v0
	v_ashrrev_i32_e32 v19, 31, v18
	v_lshl_add_u64 v[18:19], v[6:7], 0, v[18:19]
; %bb.90:
	s_andn2_saveexec_b64 s[0:1], s[0:1]
; %bb.91:
	v_lshl_add_u64 v[18:19], v[2:3], 0, v[50:51]
; %bb.92:
	s_or_b64 exec, exec, s[0:1]
	v_lshl_add_u64 v[18:19], v[18:19], 2, s[22:23]
	v_cmp_ge_u32_e32 vcc, v48, v24
	s_waitcnt lgkmcnt(6)
	global_store_dword v[18:19], v46, off
                                        ; implicit-def: $vgpr18_vgpr19
	s_and_saveexec_b64 s[0:1], vcc
	s_xor_b64 s[0:1], exec, s[0:1]
; %bb.93:
	v_xor_b32_e32 v18, 0xfffff9ff, v0
	v_ashrrev_i32_e32 v19, 31, v18
	v_lshl_add_u64 v[18:19], v[6:7], 0, v[18:19]
; %bb.94:
	s_andn2_saveexec_b64 s[0:1], s[0:1]
; %bb.95:
	v_lshl_add_u64 v[18:19], v[2:3], 0, v[48:49]
; %bb.96:
	s_or_b64 exec, exec, s[0:1]
	v_lshl_add_u64 v[18:19], v[18:19], 2, s[22:23]
	v_cmp_ge_u32_e32 vcc, v44, v24
	global_store_dword v[18:19], v47, off
                                        ; implicit-def: $vgpr18_vgpr19
	s_and_saveexec_b64 s[0:1], vcc
	s_xor_b64 s[0:1], exec, s[0:1]
; %bb.97:
	v_xor_b32_e32 v18, 0xfffff7ff, v0
	;; [unrolled: 33-line block ×7, first 2 shown]
	v_ashrrev_i32_e32 v19, 31, v18
	v_lshl_add_u64 v[18:19], v[6:7], 0, v[18:19]
; %bb.138:
	s_andn2_saveexec_b64 s[0:1], s[0:1]
; %bb.139:
	v_lshl_add_u64 v[18:19], v[2:3], 0, v[4:5]
; %bb.140:
	s_or_b64 exec, exec, s[0:1]
	s_mov_b64 s[0:1], -1
.LBB3687_141:
	s_and_saveexec_b64 s[2:3], s[0:1]
	s_cbranch_execz .LBB3687_236
.LBB3687_142:
	v_lshl_add_u64 v[0:1], v[18:19], 2, s[22:23]
	s_waitcnt lgkmcnt(0)
	global_store_dword v[0:1], v22, off
	s_or_b64 exec, exec, s[2:3]
	s_and_b64 s[0:1], s[20:21], s[26:27]
	s_and_saveexec_b64 s[2:3], s[0:1]
	s_cbranch_execnz .LBB3687_237
.LBB3687_143:
	s_endpgm
.LBB3687_144:
	s_mov_b64 s[0:1], 0
                                        ; implicit-def: $vgpr18_vgpr19
	s_cbranch_execz .LBB3687_141
; %bb.145:
	v_cmp_gt_u32_e32 vcc, s33, v0
	s_and_saveexec_b64 s[2:3], vcc
	s_cbranch_execz .LBB3687_187
; %bb.146:
	v_cmp_ge_u32_e32 vcc, v0, v24
                                        ; implicit-def: $vgpr18_vgpr19
	s_and_saveexec_b64 s[4:5], vcc
	s_xor_b64 s[4:5], exec, s[4:5]
; %bb.147:
	v_not_b32_e32 v18, v0
	v_ashrrev_i32_e32 v19, 31, v18
	v_lshl_add_u64 v[18:19], v[6:7], 0, v[18:19]
; %bb.148:
	s_andn2_saveexec_b64 s[4:5], s[4:5]
; %bb.149:
	v_lshl_add_u64 v[18:19], v[2:3], 0, v[0:1]
; %bb.150:
	s_or_b64 exec, exec, s[4:5]
	v_lshl_add_u64 v[18:19], v[18:19], 2, s[22:23]
	s_waitcnt lgkmcnt(7)
	global_store_dword v[18:19], v52, off
	s_or_b64 exec, exec, s[2:3]
	v_cmp_gt_u32_e32 vcc, s33, v54
	s_and_saveexec_b64 s[2:3], vcc
	s_cbranch_execnz .LBB3687_188
.LBB3687_151:
	s_or_b64 exec, exec, s[2:3]
	v_cmp_gt_u32_e32 vcc, s33, v50
	s_and_saveexec_b64 s[2:3], vcc
	s_cbranch_execz .LBB3687_193
.LBB3687_152:
	v_cmp_ge_u32_e32 vcc, v50, v24
                                        ; implicit-def: $vgpr18_vgpr19
	s_and_saveexec_b64 s[4:5], vcc
	s_xor_b64 s[4:5], exec, s[4:5]
; %bb.153:
	v_xor_b32_e32 v18, 0xfffffbff, v0
	v_ashrrev_i32_e32 v19, 31, v18
	v_lshl_add_u64 v[18:19], v[6:7], 0, v[18:19]
                                        ; implicit-def: $vgpr50_vgpr51
; %bb.154:
	s_andn2_saveexec_b64 s[4:5], s[4:5]
; %bb.155:
	v_lshl_add_u64 v[18:19], v[2:3], 0, v[50:51]
; %bb.156:
	s_or_b64 exec, exec, s[4:5]
	v_lshl_add_u64 v[18:19], v[18:19], 2, s[22:23]
	s_waitcnt lgkmcnt(6)
	global_store_dword v[18:19], v46, off
	s_or_b64 exec, exec, s[2:3]
	v_cmp_gt_u32_e32 vcc, s33, v48
	s_and_saveexec_b64 s[2:3], vcc
	s_cbranch_execnz .LBB3687_194
.LBB3687_157:
	s_or_b64 exec, exec, s[2:3]
	v_cmp_gt_u32_e32 vcc, s33, v44
	s_and_saveexec_b64 s[2:3], vcc
	s_cbranch_execz .LBB3687_199
.LBB3687_158:
	v_cmp_ge_u32_e32 vcc, v44, v24
                                        ; implicit-def: $vgpr18_vgpr19
	s_and_saveexec_b64 s[4:5], vcc
	s_xor_b64 s[4:5], exec, s[4:5]
; %bb.159:
	v_xor_b32_e32 v18, 0xfffff7ff, v0
	v_ashrrev_i32_e32 v19, 31, v18
	v_lshl_add_u64 v[18:19], v[6:7], 0, v[18:19]
                                        ; implicit-def: $vgpr44_vgpr45
; %bb.160:
	s_andn2_saveexec_b64 s[4:5], s[4:5]
; %bb.161:
	v_lshl_add_u64 v[18:19], v[2:3], 0, v[44:45]
; %bb.162:
	s_or_b64 exec, exec, s[4:5]
	v_lshl_add_u64 v[18:19], v[18:19], 2, s[22:23]
	s_waitcnt lgkmcnt(5)
	global_store_dword v[18:19], v40, off
	s_or_b64 exec, exec, s[2:3]
	v_cmp_gt_u32_e32 vcc, s33, v42
	s_and_saveexec_b64 s[2:3], vcc
	s_cbranch_execnz .LBB3687_200
.LBB3687_163:
	s_or_b64 exec, exec, s[2:3]
	v_cmp_gt_u32_e32 vcc, s33, v38
	s_and_saveexec_b64 s[2:3], vcc
	s_cbranch_execz .LBB3687_205
.LBB3687_164:
	v_cmp_ge_u32_e32 vcc, v38, v24
                                        ; implicit-def: $vgpr18_vgpr19
	s_and_saveexec_b64 s[4:5], vcc
	s_xor_b64 s[4:5], exec, s[4:5]
; %bb.165:
	v_xor_b32_e32 v18, 0xfffff3ff, v0
	v_ashrrev_i32_e32 v19, 31, v18
	v_lshl_add_u64 v[18:19], v[6:7], 0, v[18:19]
                                        ; implicit-def: $vgpr38_vgpr39
; %bb.166:
	s_andn2_saveexec_b64 s[4:5], s[4:5]
; %bb.167:
	v_lshl_add_u64 v[18:19], v[2:3], 0, v[38:39]
; %bb.168:
	s_or_b64 exec, exec, s[4:5]
	v_lshl_add_u64 v[18:19], v[18:19], 2, s[22:23]
	s_waitcnt lgkmcnt(4)
	global_store_dword v[18:19], v34, off
	s_or_b64 exec, exec, s[2:3]
	v_cmp_gt_u32_e32 vcc, s33, v36
	s_and_saveexec_b64 s[2:3], vcc
	s_cbranch_execnz .LBB3687_206
.LBB3687_169:
	s_or_b64 exec, exec, s[2:3]
	v_cmp_gt_u32_e32 vcc, s33, v32
	s_and_saveexec_b64 s[2:3], vcc
	s_cbranch_execz .LBB3687_211
.LBB3687_170:
	v_cmp_ge_u32_e32 vcc, v32, v24
                                        ; implicit-def: $vgpr18_vgpr19
	s_and_saveexec_b64 s[4:5], vcc
	s_xor_b64 s[4:5], exec, s[4:5]
; %bb.171:
	v_xor_b32_e32 v18, 0xffffefff, v0
	v_ashrrev_i32_e32 v19, 31, v18
	v_lshl_add_u64 v[18:19], v[6:7], 0, v[18:19]
                                        ; implicit-def: $vgpr32_vgpr33
; %bb.172:
	s_andn2_saveexec_b64 s[4:5], s[4:5]
; %bb.173:
	v_lshl_add_u64 v[18:19], v[2:3], 0, v[32:33]
; %bb.174:
	s_or_b64 exec, exec, s[4:5]
	v_lshl_add_u64 v[18:19], v[18:19], 2, s[22:23]
	s_waitcnt lgkmcnt(3)
	global_store_dword v[18:19], v28, off
	s_or_b64 exec, exec, s[2:3]
	v_cmp_gt_u32_e32 vcc, s33, v30
	s_and_saveexec_b64 s[2:3], vcc
	s_cbranch_execnz .LBB3687_212
.LBB3687_175:
	s_or_b64 exec, exec, s[2:3]
	v_cmp_gt_u32_e32 vcc, s33, v26
	s_and_saveexec_b64 s[2:3], vcc
	s_cbranch_execz .LBB3687_217
.LBB3687_176:
	v_cmp_ge_u32_e32 vcc, v26, v24
                                        ; implicit-def: $vgpr18_vgpr19
	s_and_saveexec_b64 s[4:5], vcc
	s_xor_b64 s[4:5], exec, s[4:5]
; %bb.177:
	v_xor_b32_e32 v18, 0xffffebff, v0
	v_ashrrev_i32_e32 v19, 31, v18
	v_lshl_add_u64 v[18:19], v[6:7], 0, v[18:19]
                                        ; implicit-def: $vgpr26_vgpr27
; %bb.178:
	s_andn2_saveexec_b64 s[4:5], s[4:5]
; %bb.179:
	v_lshl_add_u64 v[18:19], v[2:3], 0, v[26:27]
; %bb.180:
	s_or_b64 exec, exec, s[4:5]
	v_lshl_add_u64 v[18:19], v[18:19], 2, s[22:23]
	s_waitcnt lgkmcnt(2)
	global_store_dword v[18:19], v14, off
	s_or_b64 exec, exec, s[2:3]
	v_cmp_gt_u32_e32 vcc, s33, v16
	s_and_saveexec_b64 s[2:3], vcc
	s_cbranch_execnz .LBB3687_218
.LBB3687_181:
	s_or_b64 exec, exec, s[2:3]
	v_cmp_gt_u32_e32 vcc, s33, v12
	s_and_saveexec_b64 s[2:3], vcc
	s_cbranch_execz .LBB3687_223
.LBB3687_182:
	v_cmp_ge_u32_e32 vcc, v12, v24
                                        ; implicit-def: $vgpr14_vgpr15
	s_and_saveexec_b64 s[4:5], vcc
	s_xor_b64 s[4:5], exec, s[4:5]
	s_cbranch_execz .LBB3687_184
; %bb.183:
	v_xor_b32_e32 v12, 0xffffe7ff, v0
	v_ashrrev_i32_e32 v13, 31, v12
	s_waitcnt lgkmcnt(2)
	v_lshl_add_u64 v[14:15], v[6:7], 0, v[12:13]
                                        ; implicit-def: $vgpr12_vgpr13
.LBB3687_184:
	s_andn2_saveexec_b64 s[4:5], s[4:5]
	s_cbranch_execz .LBB3687_186
; %bb.185:
	s_waitcnt lgkmcnt(2)
	v_lshl_add_u64 v[14:15], v[2:3], 0, v[12:13]
.LBB3687_186:
	s_or_b64 exec, exec, s[4:5]
	s_waitcnt lgkmcnt(2)
	v_lshl_add_u64 v[12:13], v[14:15], 2, s[22:23]
	s_waitcnt lgkmcnt(1)
	global_store_dword v[12:13], v8, off
	s_or_b64 exec, exec, s[2:3]
	v_cmp_gt_u32_e32 vcc, s33, v10
	s_and_saveexec_b64 s[2:3], vcc
	s_cbranch_execz .LBB3687_229
	s_branch .LBB3687_224
.LBB3687_187:
	s_or_b64 exec, exec, s[2:3]
	v_cmp_gt_u32_e32 vcc, s33, v54
	s_and_saveexec_b64 s[2:3], vcc
	s_cbranch_execz .LBB3687_151
.LBB3687_188:
	v_cmp_ge_u32_e32 vcc, v54, v24
                                        ; implicit-def: $vgpr18_vgpr19
	s_and_saveexec_b64 s[4:5], vcc
	s_xor_b64 s[4:5], exec, s[4:5]
; %bb.189:
	v_xor_b32_e32 v18, 0xfffffdff, v0
	v_ashrrev_i32_e32 v19, 31, v18
	v_lshl_add_u64 v[18:19], v[6:7], 0, v[18:19]
                                        ; implicit-def: $vgpr54_vgpr55
; %bb.190:
	s_andn2_saveexec_b64 s[4:5], s[4:5]
; %bb.191:
	v_lshl_add_u64 v[18:19], v[2:3], 0, v[54:55]
; %bb.192:
	s_or_b64 exec, exec, s[4:5]
	v_lshl_add_u64 v[18:19], v[18:19], 2, s[22:23]
	s_waitcnt lgkmcnt(7)
	global_store_dword v[18:19], v53, off
	s_or_b64 exec, exec, s[2:3]
	v_cmp_gt_u32_e32 vcc, s33, v50
	s_and_saveexec_b64 s[2:3], vcc
	s_cbranch_execnz .LBB3687_152
.LBB3687_193:
	s_or_b64 exec, exec, s[2:3]
	v_cmp_gt_u32_e32 vcc, s33, v48
	s_and_saveexec_b64 s[2:3], vcc
	s_cbranch_execz .LBB3687_157
.LBB3687_194:
	v_cmp_ge_u32_e32 vcc, v48, v24
                                        ; implicit-def: $vgpr18_vgpr19
	s_and_saveexec_b64 s[4:5], vcc
	s_xor_b64 s[4:5], exec, s[4:5]
; %bb.195:
	v_xor_b32_e32 v18, 0xfffff9ff, v0
	v_ashrrev_i32_e32 v19, 31, v18
	v_lshl_add_u64 v[18:19], v[6:7], 0, v[18:19]
                                        ; implicit-def: $vgpr48_vgpr49
; %bb.196:
	s_andn2_saveexec_b64 s[4:5], s[4:5]
; %bb.197:
	v_lshl_add_u64 v[18:19], v[2:3], 0, v[48:49]
; %bb.198:
	s_or_b64 exec, exec, s[4:5]
	v_lshl_add_u64 v[18:19], v[18:19], 2, s[22:23]
	s_waitcnt lgkmcnt(6)
	global_store_dword v[18:19], v47, off
	s_or_b64 exec, exec, s[2:3]
	v_cmp_gt_u32_e32 vcc, s33, v44
	s_and_saveexec_b64 s[2:3], vcc
	s_cbranch_execnz .LBB3687_158
.LBB3687_199:
	s_or_b64 exec, exec, s[2:3]
	v_cmp_gt_u32_e32 vcc, s33, v42
	s_and_saveexec_b64 s[2:3], vcc
	s_cbranch_execz .LBB3687_163
.LBB3687_200:
	v_cmp_ge_u32_e32 vcc, v42, v24
                                        ; implicit-def: $vgpr18_vgpr19
	s_and_saveexec_b64 s[4:5], vcc
	s_xor_b64 s[4:5], exec, s[4:5]
; %bb.201:
	v_xor_b32_e32 v18, 0xfffff5ff, v0
	v_ashrrev_i32_e32 v19, 31, v18
	v_lshl_add_u64 v[18:19], v[6:7], 0, v[18:19]
                                        ; implicit-def: $vgpr42_vgpr43
; %bb.202:
	s_andn2_saveexec_b64 s[4:5], s[4:5]
; %bb.203:
	v_lshl_add_u64 v[18:19], v[2:3], 0, v[42:43]
; %bb.204:
	s_or_b64 exec, exec, s[4:5]
	v_lshl_add_u64 v[18:19], v[18:19], 2, s[22:23]
	s_waitcnt lgkmcnt(5)
	global_store_dword v[18:19], v41, off
	s_or_b64 exec, exec, s[2:3]
	v_cmp_gt_u32_e32 vcc, s33, v38
	s_and_saveexec_b64 s[2:3], vcc
	s_cbranch_execnz .LBB3687_164
.LBB3687_205:
	s_or_b64 exec, exec, s[2:3]
	v_cmp_gt_u32_e32 vcc, s33, v36
	s_and_saveexec_b64 s[2:3], vcc
	s_cbranch_execz .LBB3687_169
.LBB3687_206:
	v_cmp_ge_u32_e32 vcc, v36, v24
                                        ; implicit-def: $vgpr18_vgpr19
	s_and_saveexec_b64 s[4:5], vcc
	s_xor_b64 s[4:5], exec, s[4:5]
; %bb.207:
	v_xor_b32_e32 v18, 0xfffff1ff, v0
	v_ashrrev_i32_e32 v19, 31, v18
	v_lshl_add_u64 v[18:19], v[6:7], 0, v[18:19]
                                        ; implicit-def: $vgpr36_vgpr37
; %bb.208:
	s_andn2_saveexec_b64 s[4:5], s[4:5]
; %bb.209:
	v_lshl_add_u64 v[18:19], v[2:3], 0, v[36:37]
; %bb.210:
	s_or_b64 exec, exec, s[4:5]
	v_lshl_add_u64 v[18:19], v[18:19], 2, s[22:23]
	s_waitcnt lgkmcnt(4)
	global_store_dword v[18:19], v35, off
	s_or_b64 exec, exec, s[2:3]
	v_cmp_gt_u32_e32 vcc, s33, v32
	s_and_saveexec_b64 s[2:3], vcc
	s_cbranch_execnz .LBB3687_170
.LBB3687_211:
	s_or_b64 exec, exec, s[2:3]
	v_cmp_gt_u32_e32 vcc, s33, v30
	s_and_saveexec_b64 s[2:3], vcc
	s_cbranch_execz .LBB3687_175
.LBB3687_212:
	v_cmp_ge_u32_e32 vcc, v30, v24
                                        ; implicit-def: $vgpr18_vgpr19
	s_and_saveexec_b64 s[4:5], vcc
	s_xor_b64 s[4:5], exec, s[4:5]
; %bb.213:
	v_xor_b32_e32 v18, 0xffffedff, v0
	v_ashrrev_i32_e32 v19, 31, v18
	v_lshl_add_u64 v[18:19], v[6:7], 0, v[18:19]
                                        ; implicit-def: $vgpr30_vgpr31
; %bb.214:
	s_andn2_saveexec_b64 s[4:5], s[4:5]
; %bb.215:
	v_lshl_add_u64 v[18:19], v[2:3], 0, v[30:31]
; %bb.216:
	s_or_b64 exec, exec, s[4:5]
	v_lshl_add_u64 v[18:19], v[18:19], 2, s[22:23]
	s_waitcnt lgkmcnt(3)
	global_store_dword v[18:19], v29, off
	s_or_b64 exec, exec, s[2:3]
	v_cmp_gt_u32_e32 vcc, s33, v26
	s_and_saveexec_b64 s[2:3], vcc
	s_cbranch_execnz .LBB3687_176
.LBB3687_217:
	s_or_b64 exec, exec, s[2:3]
	v_cmp_gt_u32_e32 vcc, s33, v16
	s_and_saveexec_b64 s[2:3], vcc
	s_cbranch_execz .LBB3687_181
.LBB3687_218:
	v_cmp_ge_u32_e32 vcc, v16, v24
                                        ; implicit-def: $vgpr18_vgpr19
	s_and_saveexec_b64 s[4:5], vcc
	s_xor_b64 s[4:5], exec, s[4:5]
; %bb.219:
	v_xor_b32_e32 v16, 0xffffe9ff, v0
	v_ashrrev_i32_e32 v17, 31, v16
	v_lshl_add_u64 v[18:19], v[6:7], 0, v[16:17]
                                        ; implicit-def: $vgpr16_vgpr17
; %bb.220:
	s_andn2_saveexec_b64 s[4:5], s[4:5]
; %bb.221:
	v_lshl_add_u64 v[18:19], v[2:3], 0, v[16:17]
; %bb.222:
	s_or_b64 exec, exec, s[4:5]
	v_lshl_add_u64 v[16:17], v[18:19], 2, s[22:23]
	s_waitcnt lgkmcnt(2)
	global_store_dword v[16:17], v15, off
	s_or_b64 exec, exec, s[2:3]
	v_cmp_gt_u32_e32 vcc, s33, v12
	s_and_saveexec_b64 s[2:3], vcc
	s_cbranch_execnz .LBB3687_182
.LBB3687_223:
	s_or_b64 exec, exec, s[2:3]
	v_cmp_gt_u32_e32 vcc, s33, v10
	s_and_saveexec_b64 s[2:3], vcc
	s_cbranch_execz .LBB3687_229
.LBB3687_224:
	v_cmp_ge_u32_e32 vcc, v10, v24
                                        ; implicit-def: $vgpr12_vgpr13
	s_and_saveexec_b64 s[4:5], vcc
	s_xor_b64 s[4:5], exec, s[4:5]
; %bb.225:
	v_xor_b32_e32 v10, 0xffffe5ff, v0
	v_ashrrev_i32_e32 v11, 31, v10
	v_lshl_add_u64 v[12:13], v[6:7], 0, v[10:11]
                                        ; implicit-def: $vgpr10_vgpr11
; %bb.226:
	s_andn2_saveexec_b64 s[4:5], s[4:5]
; %bb.227:
	v_lshl_add_u64 v[12:13], v[2:3], 0, v[10:11]
; %bb.228:
	s_or_b64 exec, exec, s[4:5]
	v_lshl_add_u64 v[10:11], v[12:13], 2, s[22:23]
	s_waitcnt lgkmcnt(1)
	global_store_dword v[10:11], v9, off
.LBB3687_229:
	s_or_b64 exec, exec, s[2:3]
	v_cmp_gt_u32_e32 vcc, s33, v4
                                        ; implicit-def: $vgpr18_vgpr19
	s_and_saveexec_b64 s[2:3], vcc
	s_cbranch_execz .LBB3687_235
; %bb.230:
	v_cmp_ge_u32_e32 vcc, v4, v24
                                        ; implicit-def: $vgpr18_vgpr19
	s_and_saveexec_b64 s[4:5], vcc
	s_xor_b64 s[4:5], exec, s[4:5]
; %bb.231:
	v_xor_b32_e32 v0, 0xffffe3ff, v0
	v_ashrrev_i32_e32 v1, 31, v0
	v_lshl_add_u64 v[18:19], v[6:7], 0, v[0:1]
                                        ; implicit-def: $vgpr4_vgpr5
; %bb.232:
	s_andn2_saveexec_b64 s[4:5], s[4:5]
; %bb.233:
	v_lshl_add_u64 v[18:19], v[2:3], 0, v[4:5]
; %bb.234:
	s_or_b64 exec, exec, s[4:5]
	s_or_b64 s[0:1], s[0:1], exec
.LBB3687_235:
	s_or_b64 exec, exec, s[2:3]
	s_and_saveexec_b64 s[2:3], s[0:1]
	s_cbranch_execnz .LBB3687_142
.LBB3687_236:
	s_or_b64 exec, exec, s[2:3]
	s_and_b64 s[0:1], s[20:21], s[26:27]
	s_and_saveexec_b64 s[2:3], s[0:1]
	s_cbranch_execz .LBB3687_143
.LBB3687_237:
	v_mov_b32_e32 v4, 0
	v_lshl_add_u64 v[0:1], v[2:3], 0, v[24:25]
	global_store_dwordx2 v4, v[0:1], s[24:25]
	s_endpgm
	.section	.rodata,"a",@progbits
	.p2align	6, 0x0
	.amdhsa_kernel _ZN7rocprim17ROCPRIM_400000_NS6detail17trampoline_kernelINS0_14default_configENS1_25partition_config_selectorILNS1_17partition_subalgoE3EiNS0_10empty_typeEbEEZZNS1_14partition_implILS5_3ELb0ES3_jN6thrust23THRUST_200600_302600_NS6detail15normal_iteratorINSA_7pointerIiNSA_11hip_rocprim5par_tENSA_11use_defaultESG_EEEEPS6_SJ_NS0_5tupleIJPiSJ_EEENSK_IJSJ_SJ_EEES6_PlJ7is_evenIiEEEE10hipError_tPvRmT3_T4_T5_T6_T7_T9_mT8_P12ihipStream_tbDpT10_ENKUlT_T0_E_clISt17integral_constantIbLb0EES19_IbLb1EEEEDaS15_S16_EUlS15_E_NS1_11comp_targetILNS1_3genE5ELNS1_11target_archE942ELNS1_3gpuE9ELNS1_3repE0EEENS1_30default_config_static_selectorELNS0_4arch9wavefront6targetE1EEEvT1_
		.amdhsa_group_segment_fixed_size 30728
		.amdhsa_private_segment_fixed_size 0
		.amdhsa_kernarg_size 136
		.amdhsa_user_sgpr_count 2
		.amdhsa_user_sgpr_dispatch_ptr 0
		.amdhsa_user_sgpr_queue_ptr 0
		.amdhsa_user_sgpr_kernarg_segment_ptr 1
		.amdhsa_user_sgpr_dispatch_id 0
		.amdhsa_user_sgpr_kernarg_preload_length 0
		.amdhsa_user_sgpr_kernarg_preload_offset 0
		.amdhsa_user_sgpr_private_segment_size 0
		.amdhsa_uses_dynamic_stack 0
		.amdhsa_enable_private_segment 0
		.amdhsa_system_sgpr_workgroup_id_x 1
		.amdhsa_system_sgpr_workgroup_id_y 0
		.amdhsa_system_sgpr_workgroup_id_z 0
		.amdhsa_system_sgpr_workgroup_info 0
		.amdhsa_system_vgpr_workitem_id 0
		.amdhsa_next_free_vgpr 80
		.amdhsa_next_free_sgpr 44
		.amdhsa_accum_offset 80
		.amdhsa_reserve_vcc 1
		.amdhsa_float_round_mode_32 0
		.amdhsa_float_round_mode_16_64 0
		.amdhsa_float_denorm_mode_32 3
		.amdhsa_float_denorm_mode_16_64 3
		.amdhsa_dx10_clamp 1
		.amdhsa_ieee_mode 1
		.amdhsa_fp16_overflow 0
		.amdhsa_tg_split 0
		.amdhsa_exception_fp_ieee_invalid_op 0
		.amdhsa_exception_fp_denorm_src 0
		.amdhsa_exception_fp_ieee_div_zero 0
		.amdhsa_exception_fp_ieee_overflow 0
		.amdhsa_exception_fp_ieee_underflow 0
		.amdhsa_exception_fp_ieee_inexact 0
		.amdhsa_exception_int_div_zero 0
	.end_amdhsa_kernel
	.section	.text._ZN7rocprim17ROCPRIM_400000_NS6detail17trampoline_kernelINS0_14default_configENS1_25partition_config_selectorILNS1_17partition_subalgoE3EiNS0_10empty_typeEbEEZZNS1_14partition_implILS5_3ELb0ES3_jN6thrust23THRUST_200600_302600_NS6detail15normal_iteratorINSA_7pointerIiNSA_11hip_rocprim5par_tENSA_11use_defaultESG_EEEEPS6_SJ_NS0_5tupleIJPiSJ_EEENSK_IJSJ_SJ_EEES6_PlJ7is_evenIiEEEE10hipError_tPvRmT3_T4_T5_T6_T7_T9_mT8_P12ihipStream_tbDpT10_ENKUlT_T0_E_clISt17integral_constantIbLb0EES19_IbLb1EEEEDaS15_S16_EUlS15_E_NS1_11comp_targetILNS1_3genE5ELNS1_11target_archE942ELNS1_3gpuE9ELNS1_3repE0EEENS1_30default_config_static_selectorELNS0_4arch9wavefront6targetE1EEEvT1_,"axG",@progbits,_ZN7rocprim17ROCPRIM_400000_NS6detail17trampoline_kernelINS0_14default_configENS1_25partition_config_selectorILNS1_17partition_subalgoE3EiNS0_10empty_typeEbEEZZNS1_14partition_implILS5_3ELb0ES3_jN6thrust23THRUST_200600_302600_NS6detail15normal_iteratorINSA_7pointerIiNSA_11hip_rocprim5par_tENSA_11use_defaultESG_EEEEPS6_SJ_NS0_5tupleIJPiSJ_EEENSK_IJSJ_SJ_EEES6_PlJ7is_evenIiEEEE10hipError_tPvRmT3_T4_T5_T6_T7_T9_mT8_P12ihipStream_tbDpT10_ENKUlT_T0_E_clISt17integral_constantIbLb0EES19_IbLb1EEEEDaS15_S16_EUlS15_E_NS1_11comp_targetILNS1_3genE5ELNS1_11target_archE942ELNS1_3gpuE9ELNS1_3repE0EEENS1_30default_config_static_selectorELNS0_4arch9wavefront6targetE1EEEvT1_,comdat
.Lfunc_end3687:
	.size	_ZN7rocprim17ROCPRIM_400000_NS6detail17trampoline_kernelINS0_14default_configENS1_25partition_config_selectorILNS1_17partition_subalgoE3EiNS0_10empty_typeEbEEZZNS1_14partition_implILS5_3ELb0ES3_jN6thrust23THRUST_200600_302600_NS6detail15normal_iteratorINSA_7pointerIiNSA_11hip_rocprim5par_tENSA_11use_defaultESG_EEEEPS6_SJ_NS0_5tupleIJPiSJ_EEENSK_IJSJ_SJ_EEES6_PlJ7is_evenIiEEEE10hipError_tPvRmT3_T4_T5_T6_T7_T9_mT8_P12ihipStream_tbDpT10_ENKUlT_T0_E_clISt17integral_constantIbLb0EES19_IbLb1EEEEDaS15_S16_EUlS15_E_NS1_11comp_targetILNS1_3genE5ELNS1_11target_archE942ELNS1_3gpuE9ELNS1_3repE0EEENS1_30default_config_static_selectorELNS0_4arch9wavefront6targetE1EEEvT1_, .Lfunc_end3687-_ZN7rocprim17ROCPRIM_400000_NS6detail17trampoline_kernelINS0_14default_configENS1_25partition_config_selectorILNS1_17partition_subalgoE3EiNS0_10empty_typeEbEEZZNS1_14partition_implILS5_3ELb0ES3_jN6thrust23THRUST_200600_302600_NS6detail15normal_iteratorINSA_7pointerIiNSA_11hip_rocprim5par_tENSA_11use_defaultESG_EEEEPS6_SJ_NS0_5tupleIJPiSJ_EEENSK_IJSJ_SJ_EEES6_PlJ7is_evenIiEEEE10hipError_tPvRmT3_T4_T5_T6_T7_T9_mT8_P12ihipStream_tbDpT10_ENKUlT_T0_E_clISt17integral_constantIbLb0EES19_IbLb1EEEEDaS15_S16_EUlS15_E_NS1_11comp_targetILNS1_3genE5ELNS1_11target_archE942ELNS1_3gpuE9ELNS1_3repE0EEENS1_30default_config_static_selectorELNS0_4arch9wavefront6targetE1EEEvT1_
                                        ; -- End function
	.section	.AMDGPU.csdata,"",@progbits
; Kernel info:
; codeLenInByte = 7672
; NumSgprs: 50
; NumVgprs: 80
; NumAgprs: 0
; TotalNumVgprs: 80
; ScratchSize: 0
; MemoryBound: 0
; FloatMode: 240
; IeeeMode: 1
; LDSByteSize: 30728 bytes/workgroup (compile time only)
; SGPRBlocks: 6
; VGPRBlocks: 9
; NumSGPRsForWavesPerEU: 50
; NumVGPRsForWavesPerEU: 80
; AccumOffset: 80
; Occupancy: 4
; WaveLimiterHint : 1
; COMPUTE_PGM_RSRC2:SCRATCH_EN: 0
; COMPUTE_PGM_RSRC2:USER_SGPR: 2
; COMPUTE_PGM_RSRC2:TRAP_HANDLER: 0
; COMPUTE_PGM_RSRC2:TGID_X_EN: 1
; COMPUTE_PGM_RSRC2:TGID_Y_EN: 0
; COMPUTE_PGM_RSRC2:TGID_Z_EN: 0
; COMPUTE_PGM_RSRC2:TIDIG_COMP_CNT: 0
; COMPUTE_PGM_RSRC3_GFX90A:ACCUM_OFFSET: 19
; COMPUTE_PGM_RSRC3_GFX90A:TG_SPLIT: 0
	.section	.text._ZN7rocprim17ROCPRIM_400000_NS6detail17trampoline_kernelINS0_14default_configENS1_25partition_config_selectorILNS1_17partition_subalgoE3EiNS0_10empty_typeEbEEZZNS1_14partition_implILS5_3ELb0ES3_jN6thrust23THRUST_200600_302600_NS6detail15normal_iteratorINSA_7pointerIiNSA_11hip_rocprim5par_tENSA_11use_defaultESG_EEEEPS6_SJ_NS0_5tupleIJPiSJ_EEENSK_IJSJ_SJ_EEES6_PlJ7is_evenIiEEEE10hipError_tPvRmT3_T4_T5_T6_T7_T9_mT8_P12ihipStream_tbDpT10_ENKUlT_T0_E_clISt17integral_constantIbLb0EES19_IbLb1EEEEDaS15_S16_EUlS15_E_NS1_11comp_targetILNS1_3genE4ELNS1_11target_archE910ELNS1_3gpuE8ELNS1_3repE0EEENS1_30default_config_static_selectorELNS0_4arch9wavefront6targetE1EEEvT1_,"axG",@progbits,_ZN7rocprim17ROCPRIM_400000_NS6detail17trampoline_kernelINS0_14default_configENS1_25partition_config_selectorILNS1_17partition_subalgoE3EiNS0_10empty_typeEbEEZZNS1_14partition_implILS5_3ELb0ES3_jN6thrust23THRUST_200600_302600_NS6detail15normal_iteratorINSA_7pointerIiNSA_11hip_rocprim5par_tENSA_11use_defaultESG_EEEEPS6_SJ_NS0_5tupleIJPiSJ_EEENSK_IJSJ_SJ_EEES6_PlJ7is_evenIiEEEE10hipError_tPvRmT3_T4_T5_T6_T7_T9_mT8_P12ihipStream_tbDpT10_ENKUlT_T0_E_clISt17integral_constantIbLb0EES19_IbLb1EEEEDaS15_S16_EUlS15_E_NS1_11comp_targetILNS1_3genE4ELNS1_11target_archE910ELNS1_3gpuE8ELNS1_3repE0EEENS1_30default_config_static_selectorELNS0_4arch9wavefront6targetE1EEEvT1_,comdat
	.protected	_ZN7rocprim17ROCPRIM_400000_NS6detail17trampoline_kernelINS0_14default_configENS1_25partition_config_selectorILNS1_17partition_subalgoE3EiNS0_10empty_typeEbEEZZNS1_14partition_implILS5_3ELb0ES3_jN6thrust23THRUST_200600_302600_NS6detail15normal_iteratorINSA_7pointerIiNSA_11hip_rocprim5par_tENSA_11use_defaultESG_EEEEPS6_SJ_NS0_5tupleIJPiSJ_EEENSK_IJSJ_SJ_EEES6_PlJ7is_evenIiEEEE10hipError_tPvRmT3_T4_T5_T6_T7_T9_mT8_P12ihipStream_tbDpT10_ENKUlT_T0_E_clISt17integral_constantIbLb0EES19_IbLb1EEEEDaS15_S16_EUlS15_E_NS1_11comp_targetILNS1_3genE4ELNS1_11target_archE910ELNS1_3gpuE8ELNS1_3repE0EEENS1_30default_config_static_selectorELNS0_4arch9wavefront6targetE1EEEvT1_ ; -- Begin function _ZN7rocprim17ROCPRIM_400000_NS6detail17trampoline_kernelINS0_14default_configENS1_25partition_config_selectorILNS1_17partition_subalgoE3EiNS0_10empty_typeEbEEZZNS1_14partition_implILS5_3ELb0ES3_jN6thrust23THRUST_200600_302600_NS6detail15normal_iteratorINSA_7pointerIiNSA_11hip_rocprim5par_tENSA_11use_defaultESG_EEEEPS6_SJ_NS0_5tupleIJPiSJ_EEENSK_IJSJ_SJ_EEES6_PlJ7is_evenIiEEEE10hipError_tPvRmT3_T4_T5_T6_T7_T9_mT8_P12ihipStream_tbDpT10_ENKUlT_T0_E_clISt17integral_constantIbLb0EES19_IbLb1EEEEDaS15_S16_EUlS15_E_NS1_11comp_targetILNS1_3genE4ELNS1_11target_archE910ELNS1_3gpuE8ELNS1_3repE0EEENS1_30default_config_static_selectorELNS0_4arch9wavefront6targetE1EEEvT1_
	.globl	_ZN7rocprim17ROCPRIM_400000_NS6detail17trampoline_kernelINS0_14default_configENS1_25partition_config_selectorILNS1_17partition_subalgoE3EiNS0_10empty_typeEbEEZZNS1_14partition_implILS5_3ELb0ES3_jN6thrust23THRUST_200600_302600_NS6detail15normal_iteratorINSA_7pointerIiNSA_11hip_rocprim5par_tENSA_11use_defaultESG_EEEEPS6_SJ_NS0_5tupleIJPiSJ_EEENSK_IJSJ_SJ_EEES6_PlJ7is_evenIiEEEE10hipError_tPvRmT3_T4_T5_T6_T7_T9_mT8_P12ihipStream_tbDpT10_ENKUlT_T0_E_clISt17integral_constantIbLb0EES19_IbLb1EEEEDaS15_S16_EUlS15_E_NS1_11comp_targetILNS1_3genE4ELNS1_11target_archE910ELNS1_3gpuE8ELNS1_3repE0EEENS1_30default_config_static_selectorELNS0_4arch9wavefront6targetE1EEEvT1_
	.p2align	8
	.type	_ZN7rocprim17ROCPRIM_400000_NS6detail17trampoline_kernelINS0_14default_configENS1_25partition_config_selectorILNS1_17partition_subalgoE3EiNS0_10empty_typeEbEEZZNS1_14partition_implILS5_3ELb0ES3_jN6thrust23THRUST_200600_302600_NS6detail15normal_iteratorINSA_7pointerIiNSA_11hip_rocprim5par_tENSA_11use_defaultESG_EEEEPS6_SJ_NS0_5tupleIJPiSJ_EEENSK_IJSJ_SJ_EEES6_PlJ7is_evenIiEEEE10hipError_tPvRmT3_T4_T5_T6_T7_T9_mT8_P12ihipStream_tbDpT10_ENKUlT_T0_E_clISt17integral_constantIbLb0EES19_IbLb1EEEEDaS15_S16_EUlS15_E_NS1_11comp_targetILNS1_3genE4ELNS1_11target_archE910ELNS1_3gpuE8ELNS1_3repE0EEENS1_30default_config_static_selectorELNS0_4arch9wavefront6targetE1EEEvT1_,@function
_ZN7rocprim17ROCPRIM_400000_NS6detail17trampoline_kernelINS0_14default_configENS1_25partition_config_selectorILNS1_17partition_subalgoE3EiNS0_10empty_typeEbEEZZNS1_14partition_implILS5_3ELb0ES3_jN6thrust23THRUST_200600_302600_NS6detail15normal_iteratorINSA_7pointerIiNSA_11hip_rocprim5par_tENSA_11use_defaultESG_EEEEPS6_SJ_NS0_5tupleIJPiSJ_EEENSK_IJSJ_SJ_EEES6_PlJ7is_evenIiEEEE10hipError_tPvRmT3_T4_T5_T6_T7_T9_mT8_P12ihipStream_tbDpT10_ENKUlT_T0_E_clISt17integral_constantIbLb0EES19_IbLb1EEEEDaS15_S16_EUlS15_E_NS1_11comp_targetILNS1_3genE4ELNS1_11target_archE910ELNS1_3gpuE8ELNS1_3repE0EEENS1_30default_config_static_selectorELNS0_4arch9wavefront6targetE1EEEvT1_: ; @_ZN7rocprim17ROCPRIM_400000_NS6detail17trampoline_kernelINS0_14default_configENS1_25partition_config_selectorILNS1_17partition_subalgoE3EiNS0_10empty_typeEbEEZZNS1_14partition_implILS5_3ELb0ES3_jN6thrust23THRUST_200600_302600_NS6detail15normal_iteratorINSA_7pointerIiNSA_11hip_rocprim5par_tENSA_11use_defaultESG_EEEEPS6_SJ_NS0_5tupleIJPiSJ_EEENSK_IJSJ_SJ_EEES6_PlJ7is_evenIiEEEE10hipError_tPvRmT3_T4_T5_T6_T7_T9_mT8_P12ihipStream_tbDpT10_ENKUlT_T0_E_clISt17integral_constantIbLb0EES19_IbLb1EEEEDaS15_S16_EUlS15_E_NS1_11comp_targetILNS1_3genE4ELNS1_11target_archE910ELNS1_3gpuE8ELNS1_3repE0EEENS1_30default_config_static_selectorELNS0_4arch9wavefront6targetE1EEEvT1_
; %bb.0:
	.section	.rodata,"a",@progbits
	.p2align	6, 0x0
	.amdhsa_kernel _ZN7rocprim17ROCPRIM_400000_NS6detail17trampoline_kernelINS0_14default_configENS1_25partition_config_selectorILNS1_17partition_subalgoE3EiNS0_10empty_typeEbEEZZNS1_14partition_implILS5_3ELb0ES3_jN6thrust23THRUST_200600_302600_NS6detail15normal_iteratorINSA_7pointerIiNSA_11hip_rocprim5par_tENSA_11use_defaultESG_EEEEPS6_SJ_NS0_5tupleIJPiSJ_EEENSK_IJSJ_SJ_EEES6_PlJ7is_evenIiEEEE10hipError_tPvRmT3_T4_T5_T6_T7_T9_mT8_P12ihipStream_tbDpT10_ENKUlT_T0_E_clISt17integral_constantIbLb0EES19_IbLb1EEEEDaS15_S16_EUlS15_E_NS1_11comp_targetILNS1_3genE4ELNS1_11target_archE910ELNS1_3gpuE8ELNS1_3repE0EEENS1_30default_config_static_selectorELNS0_4arch9wavefront6targetE1EEEvT1_
		.amdhsa_group_segment_fixed_size 0
		.amdhsa_private_segment_fixed_size 0
		.amdhsa_kernarg_size 136
		.amdhsa_user_sgpr_count 2
		.amdhsa_user_sgpr_dispatch_ptr 0
		.amdhsa_user_sgpr_queue_ptr 0
		.amdhsa_user_sgpr_kernarg_segment_ptr 1
		.amdhsa_user_sgpr_dispatch_id 0
		.amdhsa_user_sgpr_kernarg_preload_length 0
		.amdhsa_user_sgpr_kernarg_preload_offset 0
		.amdhsa_user_sgpr_private_segment_size 0
		.amdhsa_uses_dynamic_stack 0
		.amdhsa_enable_private_segment 0
		.amdhsa_system_sgpr_workgroup_id_x 1
		.amdhsa_system_sgpr_workgroup_id_y 0
		.amdhsa_system_sgpr_workgroup_id_z 0
		.amdhsa_system_sgpr_workgroup_info 0
		.amdhsa_system_vgpr_workitem_id 0
		.amdhsa_next_free_vgpr 1
		.amdhsa_next_free_sgpr 0
		.amdhsa_accum_offset 4
		.amdhsa_reserve_vcc 0
		.amdhsa_float_round_mode_32 0
		.amdhsa_float_round_mode_16_64 0
		.amdhsa_float_denorm_mode_32 3
		.amdhsa_float_denorm_mode_16_64 3
		.amdhsa_dx10_clamp 1
		.amdhsa_ieee_mode 1
		.amdhsa_fp16_overflow 0
		.amdhsa_tg_split 0
		.amdhsa_exception_fp_ieee_invalid_op 0
		.amdhsa_exception_fp_denorm_src 0
		.amdhsa_exception_fp_ieee_div_zero 0
		.amdhsa_exception_fp_ieee_overflow 0
		.amdhsa_exception_fp_ieee_underflow 0
		.amdhsa_exception_fp_ieee_inexact 0
		.amdhsa_exception_int_div_zero 0
	.end_amdhsa_kernel
	.section	.text._ZN7rocprim17ROCPRIM_400000_NS6detail17trampoline_kernelINS0_14default_configENS1_25partition_config_selectorILNS1_17partition_subalgoE3EiNS0_10empty_typeEbEEZZNS1_14partition_implILS5_3ELb0ES3_jN6thrust23THRUST_200600_302600_NS6detail15normal_iteratorINSA_7pointerIiNSA_11hip_rocprim5par_tENSA_11use_defaultESG_EEEEPS6_SJ_NS0_5tupleIJPiSJ_EEENSK_IJSJ_SJ_EEES6_PlJ7is_evenIiEEEE10hipError_tPvRmT3_T4_T5_T6_T7_T9_mT8_P12ihipStream_tbDpT10_ENKUlT_T0_E_clISt17integral_constantIbLb0EES19_IbLb1EEEEDaS15_S16_EUlS15_E_NS1_11comp_targetILNS1_3genE4ELNS1_11target_archE910ELNS1_3gpuE8ELNS1_3repE0EEENS1_30default_config_static_selectorELNS0_4arch9wavefront6targetE1EEEvT1_,"axG",@progbits,_ZN7rocprim17ROCPRIM_400000_NS6detail17trampoline_kernelINS0_14default_configENS1_25partition_config_selectorILNS1_17partition_subalgoE3EiNS0_10empty_typeEbEEZZNS1_14partition_implILS5_3ELb0ES3_jN6thrust23THRUST_200600_302600_NS6detail15normal_iteratorINSA_7pointerIiNSA_11hip_rocprim5par_tENSA_11use_defaultESG_EEEEPS6_SJ_NS0_5tupleIJPiSJ_EEENSK_IJSJ_SJ_EEES6_PlJ7is_evenIiEEEE10hipError_tPvRmT3_T4_T5_T6_T7_T9_mT8_P12ihipStream_tbDpT10_ENKUlT_T0_E_clISt17integral_constantIbLb0EES19_IbLb1EEEEDaS15_S16_EUlS15_E_NS1_11comp_targetILNS1_3genE4ELNS1_11target_archE910ELNS1_3gpuE8ELNS1_3repE0EEENS1_30default_config_static_selectorELNS0_4arch9wavefront6targetE1EEEvT1_,comdat
.Lfunc_end3688:
	.size	_ZN7rocprim17ROCPRIM_400000_NS6detail17trampoline_kernelINS0_14default_configENS1_25partition_config_selectorILNS1_17partition_subalgoE3EiNS0_10empty_typeEbEEZZNS1_14partition_implILS5_3ELb0ES3_jN6thrust23THRUST_200600_302600_NS6detail15normal_iteratorINSA_7pointerIiNSA_11hip_rocprim5par_tENSA_11use_defaultESG_EEEEPS6_SJ_NS0_5tupleIJPiSJ_EEENSK_IJSJ_SJ_EEES6_PlJ7is_evenIiEEEE10hipError_tPvRmT3_T4_T5_T6_T7_T9_mT8_P12ihipStream_tbDpT10_ENKUlT_T0_E_clISt17integral_constantIbLb0EES19_IbLb1EEEEDaS15_S16_EUlS15_E_NS1_11comp_targetILNS1_3genE4ELNS1_11target_archE910ELNS1_3gpuE8ELNS1_3repE0EEENS1_30default_config_static_selectorELNS0_4arch9wavefront6targetE1EEEvT1_, .Lfunc_end3688-_ZN7rocprim17ROCPRIM_400000_NS6detail17trampoline_kernelINS0_14default_configENS1_25partition_config_selectorILNS1_17partition_subalgoE3EiNS0_10empty_typeEbEEZZNS1_14partition_implILS5_3ELb0ES3_jN6thrust23THRUST_200600_302600_NS6detail15normal_iteratorINSA_7pointerIiNSA_11hip_rocprim5par_tENSA_11use_defaultESG_EEEEPS6_SJ_NS0_5tupleIJPiSJ_EEENSK_IJSJ_SJ_EEES6_PlJ7is_evenIiEEEE10hipError_tPvRmT3_T4_T5_T6_T7_T9_mT8_P12ihipStream_tbDpT10_ENKUlT_T0_E_clISt17integral_constantIbLb0EES19_IbLb1EEEEDaS15_S16_EUlS15_E_NS1_11comp_targetILNS1_3genE4ELNS1_11target_archE910ELNS1_3gpuE8ELNS1_3repE0EEENS1_30default_config_static_selectorELNS0_4arch9wavefront6targetE1EEEvT1_
                                        ; -- End function
	.section	.AMDGPU.csdata,"",@progbits
; Kernel info:
; codeLenInByte = 0
; NumSgprs: 6
; NumVgprs: 0
; NumAgprs: 0
; TotalNumVgprs: 0
; ScratchSize: 0
; MemoryBound: 0
; FloatMode: 240
; IeeeMode: 1
; LDSByteSize: 0 bytes/workgroup (compile time only)
; SGPRBlocks: 0
; VGPRBlocks: 0
; NumSGPRsForWavesPerEU: 6
; NumVGPRsForWavesPerEU: 1
; AccumOffset: 4
; Occupancy: 8
; WaveLimiterHint : 0
; COMPUTE_PGM_RSRC2:SCRATCH_EN: 0
; COMPUTE_PGM_RSRC2:USER_SGPR: 2
; COMPUTE_PGM_RSRC2:TRAP_HANDLER: 0
; COMPUTE_PGM_RSRC2:TGID_X_EN: 1
; COMPUTE_PGM_RSRC2:TGID_Y_EN: 0
; COMPUTE_PGM_RSRC2:TGID_Z_EN: 0
; COMPUTE_PGM_RSRC2:TIDIG_COMP_CNT: 0
; COMPUTE_PGM_RSRC3_GFX90A:ACCUM_OFFSET: 0
; COMPUTE_PGM_RSRC3_GFX90A:TG_SPLIT: 0
	.section	.text._ZN7rocprim17ROCPRIM_400000_NS6detail17trampoline_kernelINS0_14default_configENS1_25partition_config_selectorILNS1_17partition_subalgoE3EiNS0_10empty_typeEbEEZZNS1_14partition_implILS5_3ELb0ES3_jN6thrust23THRUST_200600_302600_NS6detail15normal_iteratorINSA_7pointerIiNSA_11hip_rocprim5par_tENSA_11use_defaultESG_EEEEPS6_SJ_NS0_5tupleIJPiSJ_EEENSK_IJSJ_SJ_EEES6_PlJ7is_evenIiEEEE10hipError_tPvRmT3_T4_T5_T6_T7_T9_mT8_P12ihipStream_tbDpT10_ENKUlT_T0_E_clISt17integral_constantIbLb0EES19_IbLb1EEEEDaS15_S16_EUlS15_E_NS1_11comp_targetILNS1_3genE3ELNS1_11target_archE908ELNS1_3gpuE7ELNS1_3repE0EEENS1_30default_config_static_selectorELNS0_4arch9wavefront6targetE1EEEvT1_,"axG",@progbits,_ZN7rocprim17ROCPRIM_400000_NS6detail17trampoline_kernelINS0_14default_configENS1_25partition_config_selectorILNS1_17partition_subalgoE3EiNS0_10empty_typeEbEEZZNS1_14partition_implILS5_3ELb0ES3_jN6thrust23THRUST_200600_302600_NS6detail15normal_iteratorINSA_7pointerIiNSA_11hip_rocprim5par_tENSA_11use_defaultESG_EEEEPS6_SJ_NS0_5tupleIJPiSJ_EEENSK_IJSJ_SJ_EEES6_PlJ7is_evenIiEEEE10hipError_tPvRmT3_T4_T5_T6_T7_T9_mT8_P12ihipStream_tbDpT10_ENKUlT_T0_E_clISt17integral_constantIbLb0EES19_IbLb1EEEEDaS15_S16_EUlS15_E_NS1_11comp_targetILNS1_3genE3ELNS1_11target_archE908ELNS1_3gpuE7ELNS1_3repE0EEENS1_30default_config_static_selectorELNS0_4arch9wavefront6targetE1EEEvT1_,comdat
	.protected	_ZN7rocprim17ROCPRIM_400000_NS6detail17trampoline_kernelINS0_14default_configENS1_25partition_config_selectorILNS1_17partition_subalgoE3EiNS0_10empty_typeEbEEZZNS1_14partition_implILS5_3ELb0ES3_jN6thrust23THRUST_200600_302600_NS6detail15normal_iteratorINSA_7pointerIiNSA_11hip_rocprim5par_tENSA_11use_defaultESG_EEEEPS6_SJ_NS0_5tupleIJPiSJ_EEENSK_IJSJ_SJ_EEES6_PlJ7is_evenIiEEEE10hipError_tPvRmT3_T4_T5_T6_T7_T9_mT8_P12ihipStream_tbDpT10_ENKUlT_T0_E_clISt17integral_constantIbLb0EES19_IbLb1EEEEDaS15_S16_EUlS15_E_NS1_11comp_targetILNS1_3genE3ELNS1_11target_archE908ELNS1_3gpuE7ELNS1_3repE0EEENS1_30default_config_static_selectorELNS0_4arch9wavefront6targetE1EEEvT1_ ; -- Begin function _ZN7rocprim17ROCPRIM_400000_NS6detail17trampoline_kernelINS0_14default_configENS1_25partition_config_selectorILNS1_17partition_subalgoE3EiNS0_10empty_typeEbEEZZNS1_14partition_implILS5_3ELb0ES3_jN6thrust23THRUST_200600_302600_NS6detail15normal_iteratorINSA_7pointerIiNSA_11hip_rocprim5par_tENSA_11use_defaultESG_EEEEPS6_SJ_NS0_5tupleIJPiSJ_EEENSK_IJSJ_SJ_EEES6_PlJ7is_evenIiEEEE10hipError_tPvRmT3_T4_T5_T6_T7_T9_mT8_P12ihipStream_tbDpT10_ENKUlT_T0_E_clISt17integral_constantIbLb0EES19_IbLb1EEEEDaS15_S16_EUlS15_E_NS1_11comp_targetILNS1_3genE3ELNS1_11target_archE908ELNS1_3gpuE7ELNS1_3repE0EEENS1_30default_config_static_selectorELNS0_4arch9wavefront6targetE1EEEvT1_
	.globl	_ZN7rocprim17ROCPRIM_400000_NS6detail17trampoline_kernelINS0_14default_configENS1_25partition_config_selectorILNS1_17partition_subalgoE3EiNS0_10empty_typeEbEEZZNS1_14partition_implILS5_3ELb0ES3_jN6thrust23THRUST_200600_302600_NS6detail15normal_iteratorINSA_7pointerIiNSA_11hip_rocprim5par_tENSA_11use_defaultESG_EEEEPS6_SJ_NS0_5tupleIJPiSJ_EEENSK_IJSJ_SJ_EEES6_PlJ7is_evenIiEEEE10hipError_tPvRmT3_T4_T5_T6_T7_T9_mT8_P12ihipStream_tbDpT10_ENKUlT_T0_E_clISt17integral_constantIbLb0EES19_IbLb1EEEEDaS15_S16_EUlS15_E_NS1_11comp_targetILNS1_3genE3ELNS1_11target_archE908ELNS1_3gpuE7ELNS1_3repE0EEENS1_30default_config_static_selectorELNS0_4arch9wavefront6targetE1EEEvT1_
	.p2align	8
	.type	_ZN7rocprim17ROCPRIM_400000_NS6detail17trampoline_kernelINS0_14default_configENS1_25partition_config_selectorILNS1_17partition_subalgoE3EiNS0_10empty_typeEbEEZZNS1_14partition_implILS5_3ELb0ES3_jN6thrust23THRUST_200600_302600_NS6detail15normal_iteratorINSA_7pointerIiNSA_11hip_rocprim5par_tENSA_11use_defaultESG_EEEEPS6_SJ_NS0_5tupleIJPiSJ_EEENSK_IJSJ_SJ_EEES6_PlJ7is_evenIiEEEE10hipError_tPvRmT3_T4_T5_T6_T7_T9_mT8_P12ihipStream_tbDpT10_ENKUlT_T0_E_clISt17integral_constantIbLb0EES19_IbLb1EEEEDaS15_S16_EUlS15_E_NS1_11comp_targetILNS1_3genE3ELNS1_11target_archE908ELNS1_3gpuE7ELNS1_3repE0EEENS1_30default_config_static_selectorELNS0_4arch9wavefront6targetE1EEEvT1_,@function
_ZN7rocprim17ROCPRIM_400000_NS6detail17trampoline_kernelINS0_14default_configENS1_25partition_config_selectorILNS1_17partition_subalgoE3EiNS0_10empty_typeEbEEZZNS1_14partition_implILS5_3ELb0ES3_jN6thrust23THRUST_200600_302600_NS6detail15normal_iteratorINSA_7pointerIiNSA_11hip_rocprim5par_tENSA_11use_defaultESG_EEEEPS6_SJ_NS0_5tupleIJPiSJ_EEENSK_IJSJ_SJ_EEES6_PlJ7is_evenIiEEEE10hipError_tPvRmT3_T4_T5_T6_T7_T9_mT8_P12ihipStream_tbDpT10_ENKUlT_T0_E_clISt17integral_constantIbLb0EES19_IbLb1EEEEDaS15_S16_EUlS15_E_NS1_11comp_targetILNS1_3genE3ELNS1_11target_archE908ELNS1_3gpuE7ELNS1_3repE0EEENS1_30default_config_static_selectorELNS0_4arch9wavefront6targetE1EEEvT1_: ; @_ZN7rocprim17ROCPRIM_400000_NS6detail17trampoline_kernelINS0_14default_configENS1_25partition_config_selectorILNS1_17partition_subalgoE3EiNS0_10empty_typeEbEEZZNS1_14partition_implILS5_3ELb0ES3_jN6thrust23THRUST_200600_302600_NS6detail15normal_iteratorINSA_7pointerIiNSA_11hip_rocprim5par_tENSA_11use_defaultESG_EEEEPS6_SJ_NS0_5tupleIJPiSJ_EEENSK_IJSJ_SJ_EEES6_PlJ7is_evenIiEEEE10hipError_tPvRmT3_T4_T5_T6_T7_T9_mT8_P12ihipStream_tbDpT10_ENKUlT_T0_E_clISt17integral_constantIbLb0EES19_IbLb1EEEEDaS15_S16_EUlS15_E_NS1_11comp_targetILNS1_3genE3ELNS1_11target_archE908ELNS1_3gpuE7ELNS1_3repE0EEENS1_30default_config_static_selectorELNS0_4arch9wavefront6targetE1EEEvT1_
; %bb.0:
	.section	.rodata,"a",@progbits
	.p2align	6, 0x0
	.amdhsa_kernel _ZN7rocprim17ROCPRIM_400000_NS6detail17trampoline_kernelINS0_14default_configENS1_25partition_config_selectorILNS1_17partition_subalgoE3EiNS0_10empty_typeEbEEZZNS1_14partition_implILS5_3ELb0ES3_jN6thrust23THRUST_200600_302600_NS6detail15normal_iteratorINSA_7pointerIiNSA_11hip_rocprim5par_tENSA_11use_defaultESG_EEEEPS6_SJ_NS0_5tupleIJPiSJ_EEENSK_IJSJ_SJ_EEES6_PlJ7is_evenIiEEEE10hipError_tPvRmT3_T4_T5_T6_T7_T9_mT8_P12ihipStream_tbDpT10_ENKUlT_T0_E_clISt17integral_constantIbLb0EES19_IbLb1EEEEDaS15_S16_EUlS15_E_NS1_11comp_targetILNS1_3genE3ELNS1_11target_archE908ELNS1_3gpuE7ELNS1_3repE0EEENS1_30default_config_static_selectorELNS0_4arch9wavefront6targetE1EEEvT1_
		.amdhsa_group_segment_fixed_size 0
		.amdhsa_private_segment_fixed_size 0
		.amdhsa_kernarg_size 136
		.amdhsa_user_sgpr_count 2
		.amdhsa_user_sgpr_dispatch_ptr 0
		.amdhsa_user_sgpr_queue_ptr 0
		.amdhsa_user_sgpr_kernarg_segment_ptr 1
		.amdhsa_user_sgpr_dispatch_id 0
		.amdhsa_user_sgpr_kernarg_preload_length 0
		.amdhsa_user_sgpr_kernarg_preload_offset 0
		.amdhsa_user_sgpr_private_segment_size 0
		.amdhsa_uses_dynamic_stack 0
		.amdhsa_enable_private_segment 0
		.amdhsa_system_sgpr_workgroup_id_x 1
		.amdhsa_system_sgpr_workgroup_id_y 0
		.amdhsa_system_sgpr_workgroup_id_z 0
		.amdhsa_system_sgpr_workgroup_info 0
		.amdhsa_system_vgpr_workitem_id 0
		.amdhsa_next_free_vgpr 1
		.amdhsa_next_free_sgpr 0
		.amdhsa_accum_offset 4
		.amdhsa_reserve_vcc 0
		.amdhsa_float_round_mode_32 0
		.amdhsa_float_round_mode_16_64 0
		.amdhsa_float_denorm_mode_32 3
		.amdhsa_float_denorm_mode_16_64 3
		.amdhsa_dx10_clamp 1
		.amdhsa_ieee_mode 1
		.amdhsa_fp16_overflow 0
		.amdhsa_tg_split 0
		.amdhsa_exception_fp_ieee_invalid_op 0
		.amdhsa_exception_fp_denorm_src 0
		.amdhsa_exception_fp_ieee_div_zero 0
		.amdhsa_exception_fp_ieee_overflow 0
		.amdhsa_exception_fp_ieee_underflow 0
		.amdhsa_exception_fp_ieee_inexact 0
		.amdhsa_exception_int_div_zero 0
	.end_amdhsa_kernel
	.section	.text._ZN7rocprim17ROCPRIM_400000_NS6detail17trampoline_kernelINS0_14default_configENS1_25partition_config_selectorILNS1_17partition_subalgoE3EiNS0_10empty_typeEbEEZZNS1_14partition_implILS5_3ELb0ES3_jN6thrust23THRUST_200600_302600_NS6detail15normal_iteratorINSA_7pointerIiNSA_11hip_rocprim5par_tENSA_11use_defaultESG_EEEEPS6_SJ_NS0_5tupleIJPiSJ_EEENSK_IJSJ_SJ_EEES6_PlJ7is_evenIiEEEE10hipError_tPvRmT3_T4_T5_T6_T7_T9_mT8_P12ihipStream_tbDpT10_ENKUlT_T0_E_clISt17integral_constantIbLb0EES19_IbLb1EEEEDaS15_S16_EUlS15_E_NS1_11comp_targetILNS1_3genE3ELNS1_11target_archE908ELNS1_3gpuE7ELNS1_3repE0EEENS1_30default_config_static_selectorELNS0_4arch9wavefront6targetE1EEEvT1_,"axG",@progbits,_ZN7rocprim17ROCPRIM_400000_NS6detail17trampoline_kernelINS0_14default_configENS1_25partition_config_selectorILNS1_17partition_subalgoE3EiNS0_10empty_typeEbEEZZNS1_14partition_implILS5_3ELb0ES3_jN6thrust23THRUST_200600_302600_NS6detail15normal_iteratorINSA_7pointerIiNSA_11hip_rocprim5par_tENSA_11use_defaultESG_EEEEPS6_SJ_NS0_5tupleIJPiSJ_EEENSK_IJSJ_SJ_EEES6_PlJ7is_evenIiEEEE10hipError_tPvRmT3_T4_T5_T6_T7_T9_mT8_P12ihipStream_tbDpT10_ENKUlT_T0_E_clISt17integral_constantIbLb0EES19_IbLb1EEEEDaS15_S16_EUlS15_E_NS1_11comp_targetILNS1_3genE3ELNS1_11target_archE908ELNS1_3gpuE7ELNS1_3repE0EEENS1_30default_config_static_selectorELNS0_4arch9wavefront6targetE1EEEvT1_,comdat
.Lfunc_end3689:
	.size	_ZN7rocprim17ROCPRIM_400000_NS6detail17trampoline_kernelINS0_14default_configENS1_25partition_config_selectorILNS1_17partition_subalgoE3EiNS0_10empty_typeEbEEZZNS1_14partition_implILS5_3ELb0ES3_jN6thrust23THRUST_200600_302600_NS6detail15normal_iteratorINSA_7pointerIiNSA_11hip_rocprim5par_tENSA_11use_defaultESG_EEEEPS6_SJ_NS0_5tupleIJPiSJ_EEENSK_IJSJ_SJ_EEES6_PlJ7is_evenIiEEEE10hipError_tPvRmT3_T4_T5_T6_T7_T9_mT8_P12ihipStream_tbDpT10_ENKUlT_T0_E_clISt17integral_constantIbLb0EES19_IbLb1EEEEDaS15_S16_EUlS15_E_NS1_11comp_targetILNS1_3genE3ELNS1_11target_archE908ELNS1_3gpuE7ELNS1_3repE0EEENS1_30default_config_static_selectorELNS0_4arch9wavefront6targetE1EEEvT1_, .Lfunc_end3689-_ZN7rocprim17ROCPRIM_400000_NS6detail17trampoline_kernelINS0_14default_configENS1_25partition_config_selectorILNS1_17partition_subalgoE3EiNS0_10empty_typeEbEEZZNS1_14partition_implILS5_3ELb0ES3_jN6thrust23THRUST_200600_302600_NS6detail15normal_iteratorINSA_7pointerIiNSA_11hip_rocprim5par_tENSA_11use_defaultESG_EEEEPS6_SJ_NS0_5tupleIJPiSJ_EEENSK_IJSJ_SJ_EEES6_PlJ7is_evenIiEEEE10hipError_tPvRmT3_T4_T5_T6_T7_T9_mT8_P12ihipStream_tbDpT10_ENKUlT_T0_E_clISt17integral_constantIbLb0EES19_IbLb1EEEEDaS15_S16_EUlS15_E_NS1_11comp_targetILNS1_3genE3ELNS1_11target_archE908ELNS1_3gpuE7ELNS1_3repE0EEENS1_30default_config_static_selectorELNS0_4arch9wavefront6targetE1EEEvT1_
                                        ; -- End function
	.section	.AMDGPU.csdata,"",@progbits
; Kernel info:
; codeLenInByte = 0
; NumSgprs: 6
; NumVgprs: 0
; NumAgprs: 0
; TotalNumVgprs: 0
; ScratchSize: 0
; MemoryBound: 0
; FloatMode: 240
; IeeeMode: 1
; LDSByteSize: 0 bytes/workgroup (compile time only)
; SGPRBlocks: 0
; VGPRBlocks: 0
; NumSGPRsForWavesPerEU: 6
; NumVGPRsForWavesPerEU: 1
; AccumOffset: 4
; Occupancy: 8
; WaveLimiterHint : 0
; COMPUTE_PGM_RSRC2:SCRATCH_EN: 0
; COMPUTE_PGM_RSRC2:USER_SGPR: 2
; COMPUTE_PGM_RSRC2:TRAP_HANDLER: 0
; COMPUTE_PGM_RSRC2:TGID_X_EN: 1
; COMPUTE_PGM_RSRC2:TGID_Y_EN: 0
; COMPUTE_PGM_RSRC2:TGID_Z_EN: 0
; COMPUTE_PGM_RSRC2:TIDIG_COMP_CNT: 0
; COMPUTE_PGM_RSRC3_GFX90A:ACCUM_OFFSET: 0
; COMPUTE_PGM_RSRC3_GFX90A:TG_SPLIT: 0
	.section	.text._ZN7rocprim17ROCPRIM_400000_NS6detail17trampoline_kernelINS0_14default_configENS1_25partition_config_selectorILNS1_17partition_subalgoE3EiNS0_10empty_typeEbEEZZNS1_14partition_implILS5_3ELb0ES3_jN6thrust23THRUST_200600_302600_NS6detail15normal_iteratorINSA_7pointerIiNSA_11hip_rocprim5par_tENSA_11use_defaultESG_EEEEPS6_SJ_NS0_5tupleIJPiSJ_EEENSK_IJSJ_SJ_EEES6_PlJ7is_evenIiEEEE10hipError_tPvRmT3_T4_T5_T6_T7_T9_mT8_P12ihipStream_tbDpT10_ENKUlT_T0_E_clISt17integral_constantIbLb0EES19_IbLb1EEEEDaS15_S16_EUlS15_E_NS1_11comp_targetILNS1_3genE2ELNS1_11target_archE906ELNS1_3gpuE6ELNS1_3repE0EEENS1_30default_config_static_selectorELNS0_4arch9wavefront6targetE1EEEvT1_,"axG",@progbits,_ZN7rocprim17ROCPRIM_400000_NS6detail17trampoline_kernelINS0_14default_configENS1_25partition_config_selectorILNS1_17partition_subalgoE3EiNS0_10empty_typeEbEEZZNS1_14partition_implILS5_3ELb0ES3_jN6thrust23THRUST_200600_302600_NS6detail15normal_iteratorINSA_7pointerIiNSA_11hip_rocprim5par_tENSA_11use_defaultESG_EEEEPS6_SJ_NS0_5tupleIJPiSJ_EEENSK_IJSJ_SJ_EEES6_PlJ7is_evenIiEEEE10hipError_tPvRmT3_T4_T5_T6_T7_T9_mT8_P12ihipStream_tbDpT10_ENKUlT_T0_E_clISt17integral_constantIbLb0EES19_IbLb1EEEEDaS15_S16_EUlS15_E_NS1_11comp_targetILNS1_3genE2ELNS1_11target_archE906ELNS1_3gpuE6ELNS1_3repE0EEENS1_30default_config_static_selectorELNS0_4arch9wavefront6targetE1EEEvT1_,comdat
	.protected	_ZN7rocprim17ROCPRIM_400000_NS6detail17trampoline_kernelINS0_14default_configENS1_25partition_config_selectorILNS1_17partition_subalgoE3EiNS0_10empty_typeEbEEZZNS1_14partition_implILS5_3ELb0ES3_jN6thrust23THRUST_200600_302600_NS6detail15normal_iteratorINSA_7pointerIiNSA_11hip_rocprim5par_tENSA_11use_defaultESG_EEEEPS6_SJ_NS0_5tupleIJPiSJ_EEENSK_IJSJ_SJ_EEES6_PlJ7is_evenIiEEEE10hipError_tPvRmT3_T4_T5_T6_T7_T9_mT8_P12ihipStream_tbDpT10_ENKUlT_T0_E_clISt17integral_constantIbLb0EES19_IbLb1EEEEDaS15_S16_EUlS15_E_NS1_11comp_targetILNS1_3genE2ELNS1_11target_archE906ELNS1_3gpuE6ELNS1_3repE0EEENS1_30default_config_static_selectorELNS0_4arch9wavefront6targetE1EEEvT1_ ; -- Begin function _ZN7rocprim17ROCPRIM_400000_NS6detail17trampoline_kernelINS0_14default_configENS1_25partition_config_selectorILNS1_17partition_subalgoE3EiNS0_10empty_typeEbEEZZNS1_14partition_implILS5_3ELb0ES3_jN6thrust23THRUST_200600_302600_NS6detail15normal_iteratorINSA_7pointerIiNSA_11hip_rocprim5par_tENSA_11use_defaultESG_EEEEPS6_SJ_NS0_5tupleIJPiSJ_EEENSK_IJSJ_SJ_EEES6_PlJ7is_evenIiEEEE10hipError_tPvRmT3_T4_T5_T6_T7_T9_mT8_P12ihipStream_tbDpT10_ENKUlT_T0_E_clISt17integral_constantIbLb0EES19_IbLb1EEEEDaS15_S16_EUlS15_E_NS1_11comp_targetILNS1_3genE2ELNS1_11target_archE906ELNS1_3gpuE6ELNS1_3repE0EEENS1_30default_config_static_selectorELNS0_4arch9wavefront6targetE1EEEvT1_
	.globl	_ZN7rocprim17ROCPRIM_400000_NS6detail17trampoline_kernelINS0_14default_configENS1_25partition_config_selectorILNS1_17partition_subalgoE3EiNS0_10empty_typeEbEEZZNS1_14partition_implILS5_3ELb0ES3_jN6thrust23THRUST_200600_302600_NS6detail15normal_iteratorINSA_7pointerIiNSA_11hip_rocprim5par_tENSA_11use_defaultESG_EEEEPS6_SJ_NS0_5tupleIJPiSJ_EEENSK_IJSJ_SJ_EEES6_PlJ7is_evenIiEEEE10hipError_tPvRmT3_T4_T5_T6_T7_T9_mT8_P12ihipStream_tbDpT10_ENKUlT_T0_E_clISt17integral_constantIbLb0EES19_IbLb1EEEEDaS15_S16_EUlS15_E_NS1_11comp_targetILNS1_3genE2ELNS1_11target_archE906ELNS1_3gpuE6ELNS1_3repE0EEENS1_30default_config_static_selectorELNS0_4arch9wavefront6targetE1EEEvT1_
	.p2align	8
	.type	_ZN7rocprim17ROCPRIM_400000_NS6detail17trampoline_kernelINS0_14default_configENS1_25partition_config_selectorILNS1_17partition_subalgoE3EiNS0_10empty_typeEbEEZZNS1_14partition_implILS5_3ELb0ES3_jN6thrust23THRUST_200600_302600_NS6detail15normal_iteratorINSA_7pointerIiNSA_11hip_rocprim5par_tENSA_11use_defaultESG_EEEEPS6_SJ_NS0_5tupleIJPiSJ_EEENSK_IJSJ_SJ_EEES6_PlJ7is_evenIiEEEE10hipError_tPvRmT3_T4_T5_T6_T7_T9_mT8_P12ihipStream_tbDpT10_ENKUlT_T0_E_clISt17integral_constantIbLb0EES19_IbLb1EEEEDaS15_S16_EUlS15_E_NS1_11comp_targetILNS1_3genE2ELNS1_11target_archE906ELNS1_3gpuE6ELNS1_3repE0EEENS1_30default_config_static_selectorELNS0_4arch9wavefront6targetE1EEEvT1_,@function
_ZN7rocprim17ROCPRIM_400000_NS6detail17trampoline_kernelINS0_14default_configENS1_25partition_config_selectorILNS1_17partition_subalgoE3EiNS0_10empty_typeEbEEZZNS1_14partition_implILS5_3ELb0ES3_jN6thrust23THRUST_200600_302600_NS6detail15normal_iteratorINSA_7pointerIiNSA_11hip_rocprim5par_tENSA_11use_defaultESG_EEEEPS6_SJ_NS0_5tupleIJPiSJ_EEENSK_IJSJ_SJ_EEES6_PlJ7is_evenIiEEEE10hipError_tPvRmT3_T4_T5_T6_T7_T9_mT8_P12ihipStream_tbDpT10_ENKUlT_T0_E_clISt17integral_constantIbLb0EES19_IbLb1EEEEDaS15_S16_EUlS15_E_NS1_11comp_targetILNS1_3genE2ELNS1_11target_archE906ELNS1_3gpuE6ELNS1_3repE0EEENS1_30default_config_static_selectorELNS0_4arch9wavefront6targetE1EEEvT1_: ; @_ZN7rocprim17ROCPRIM_400000_NS6detail17trampoline_kernelINS0_14default_configENS1_25partition_config_selectorILNS1_17partition_subalgoE3EiNS0_10empty_typeEbEEZZNS1_14partition_implILS5_3ELb0ES3_jN6thrust23THRUST_200600_302600_NS6detail15normal_iteratorINSA_7pointerIiNSA_11hip_rocprim5par_tENSA_11use_defaultESG_EEEEPS6_SJ_NS0_5tupleIJPiSJ_EEENSK_IJSJ_SJ_EEES6_PlJ7is_evenIiEEEE10hipError_tPvRmT3_T4_T5_T6_T7_T9_mT8_P12ihipStream_tbDpT10_ENKUlT_T0_E_clISt17integral_constantIbLb0EES19_IbLb1EEEEDaS15_S16_EUlS15_E_NS1_11comp_targetILNS1_3genE2ELNS1_11target_archE906ELNS1_3gpuE6ELNS1_3repE0EEENS1_30default_config_static_selectorELNS0_4arch9wavefront6targetE1EEEvT1_
; %bb.0:
	.section	.rodata,"a",@progbits
	.p2align	6, 0x0
	.amdhsa_kernel _ZN7rocprim17ROCPRIM_400000_NS6detail17trampoline_kernelINS0_14default_configENS1_25partition_config_selectorILNS1_17partition_subalgoE3EiNS0_10empty_typeEbEEZZNS1_14partition_implILS5_3ELb0ES3_jN6thrust23THRUST_200600_302600_NS6detail15normal_iteratorINSA_7pointerIiNSA_11hip_rocprim5par_tENSA_11use_defaultESG_EEEEPS6_SJ_NS0_5tupleIJPiSJ_EEENSK_IJSJ_SJ_EEES6_PlJ7is_evenIiEEEE10hipError_tPvRmT3_T4_T5_T6_T7_T9_mT8_P12ihipStream_tbDpT10_ENKUlT_T0_E_clISt17integral_constantIbLb0EES19_IbLb1EEEEDaS15_S16_EUlS15_E_NS1_11comp_targetILNS1_3genE2ELNS1_11target_archE906ELNS1_3gpuE6ELNS1_3repE0EEENS1_30default_config_static_selectorELNS0_4arch9wavefront6targetE1EEEvT1_
		.amdhsa_group_segment_fixed_size 0
		.amdhsa_private_segment_fixed_size 0
		.amdhsa_kernarg_size 136
		.amdhsa_user_sgpr_count 2
		.amdhsa_user_sgpr_dispatch_ptr 0
		.amdhsa_user_sgpr_queue_ptr 0
		.amdhsa_user_sgpr_kernarg_segment_ptr 1
		.amdhsa_user_sgpr_dispatch_id 0
		.amdhsa_user_sgpr_kernarg_preload_length 0
		.amdhsa_user_sgpr_kernarg_preload_offset 0
		.amdhsa_user_sgpr_private_segment_size 0
		.amdhsa_uses_dynamic_stack 0
		.amdhsa_enable_private_segment 0
		.amdhsa_system_sgpr_workgroup_id_x 1
		.amdhsa_system_sgpr_workgroup_id_y 0
		.amdhsa_system_sgpr_workgroup_id_z 0
		.amdhsa_system_sgpr_workgroup_info 0
		.amdhsa_system_vgpr_workitem_id 0
		.amdhsa_next_free_vgpr 1
		.amdhsa_next_free_sgpr 0
		.amdhsa_accum_offset 4
		.amdhsa_reserve_vcc 0
		.amdhsa_float_round_mode_32 0
		.amdhsa_float_round_mode_16_64 0
		.amdhsa_float_denorm_mode_32 3
		.amdhsa_float_denorm_mode_16_64 3
		.amdhsa_dx10_clamp 1
		.amdhsa_ieee_mode 1
		.amdhsa_fp16_overflow 0
		.amdhsa_tg_split 0
		.amdhsa_exception_fp_ieee_invalid_op 0
		.amdhsa_exception_fp_denorm_src 0
		.amdhsa_exception_fp_ieee_div_zero 0
		.amdhsa_exception_fp_ieee_overflow 0
		.amdhsa_exception_fp_ieee_underflow 0
		.amdhsa_exception_fp_ieee_inexact 0
		.amdhsa_exception_int_div_zero 0
	.end_amdhsa_kernel
	.section	.text._ZN7rocprim17ROCPRIM_400000_NS6detail17trampoline_kernelINS0_14default_configENS1_25partition_config_selectorILNS1_17partition_subalgoE3EiNS0_10empty_typeEbEEZZNS1_14partition_implILS5_3ELb0ES3_jN6thrust23THRUST_200600_302600_NS6detail15normal_iteratorINSA_7pointerIiNSA_11hip_rocprim5par_tENSA_11use_defaultESG_EEEEPS6_SJ_NS0_5tupleIJPiSJ_EEENSK_IJSJ_SJ_EEES6_PlJ7is_evenIiEEEE10hipError_tPvRmT3_T4_T5_T6_T7_T9_mT8_P12ihipStream_tbDpT10_ENKUlT_T0_E_clISt17integral_constantIbLb0EES19_IbLb1EEEEDaS15_S16_EUlS15_E_NS1_11comp_targetILNS1_3genE2ELNS1_11target_archE906ELNS1_3gpuE6ELNS1_3repE0EEENS1_30default_config_static_selectorELNS0_4arch9wavefront6targetE1EEEvT1_,"axG",@progbits,_ZN7rocprim17ROCPRIM_400000_NS6detail17trampoline_kernelINS0_14default_configENS1_25partition_config_selectorILNS1_17partition_subalgoE3EiNS0_10empty_typeEbEEZZNS1_14partition_implILS5_3ELb0ES3_jN6thrust23THRUST_200600_302600_NS6detail15normal_iteratorINSA_7pointerIiNSA_11hip_rocprim5par_tENSA_11use_defaultESG_EEEEPS6_SJ_NS0_5tupleIJPiSJ_EEENSK_IJSJ_SJ_EEES6_PlJ7is_evenIiEEEE10hipError_tPvRmT3_T4_T5_T6_T7_T9_mT8_P12ihipStream_tbDpT10_ENKUlT_T0_E_clISt17integral_constantIbLb0EES19_IbLb1EEEEDaS15_S16_EUlS15_E_NS1_11comp_targetILNS1_3genE2ELNS1_11target_archE906ELNS1_3gpuE6ELNS1_3repE0EEENS1_30default_config_static_selectorELNS0_4arch9wavefront6targetE1EEEvT1_,comdat
.Lfunc_end3690:
	.size	_ZN7rocprim17ROCPRIM_400000_NS6detail17trampoline_kernelINS0_14default_configENS1_25partition_config_selectorILNS1_17partition_subalgoE3EiNS0_10empty_typeEbEEZZNS1_14partition_implILS5_3ELb0ES3_jN6thrust23THRUST_200600_302600_NS6detail15normal_iteratorINSA_7pointerIiNSA_11hip_rocprim5par_tENSA_11use_defaultESG_EEEEPS6_SJ_NS0_5tupleIJPiSJ_EEENSK_IJSJ_SJ_EEES6_PlJ7is_evenIiEEEE10hipError_tPvRmT3_T4_T5_T6_T7_T9_mT8_P12ihipStream_tbDpT10_ENKUlT_T0_E_clISt17integral_constantIbLb0EES19_IbLb1EEEEDaS15_S16_EUlS15_E_NS1_11comp_targetILNS1_3genE2ELNS1_11target_archE906ELNS1_3gpuE6ELNS1_3repE0EEENS1_30default_config_static_selectorELNS0_4arch9wavefront6targetE1EEEvT1_, .Lfunc_end3690-_ZN7rocprim17ROCPRIM_400000_NS6detail17trampoline_kernelINS0_14default_configENS1_25partition_config_selectorILNS1_17partition_subalgoE3EiNS0_10empty_typeEbEEZZNS1_14partition_implILS5_3ELb0ES3_jN6thrust23THRUST_200600_302600_NS6detail15normal_iteratorINSA_7pointerIiNSA_11hip_rocprim5par_tENSA_11use_defaultESG_EEEEPS6_SJ_NS0_5tupleIJPiSJ_EEENSK_IJSJ_SJ_EEES6_PlJ7is_evenIiEEEE10hipError_tPvRmT3_T4_T5_T6_T7_T9_mT8_P12ihipStream_tbDpT10_ENKUlT_T0_E_clISt17integral_constantIbLb0EES19_IbLb1EEEEDaS15_S16_EUlS15_E_NS1_11comp_targetILNS1_3genE2ELNS1_11target_archE906ELNS1_3gpuE6ELNS1_3repE0EEENS1_30default_config_static_selectorELNS0_4arch9wavefront6targetE1EEEvT1_
                                        ; -- End function
	.section	.AMDGPU.csdata,"",@progbits
; Kernel info:
; codeLenInByte = 0
; NumSgprs: 6
; NumVgprs: 0
; NumAgprs: 0
; TotalNumVgprs: 0
; ScratchSize: 0
; MemoryBound: 0
; FloatMode: 240
; IeeeMode: 1
; LDSByteSize: 0 bytes/workgroup (compile time only)
; SGPRBlocks: 0
; VGPRBlocks: 0
; NumSGPRsForWavesPerEU: 6
; NumVGPRsForWavesPerEU: 1
; AccumOffset: 4
; Occupancy: 8
; WaveLimiterHint : 0
; COMPUTE_PGM_RSRC2:SCRATCH_EN: 0
; COMPUTE_PGM_RSRC2:USER_SGPR: 2
; COMPUTE_PGM_RSRC2:TRAP_HANDLER: 0
; COMPUTE_PGM_RSRC2:TGID_X_EN: 1
; COMPUTE_PGM_RSRC2:TGID_Y_EN: 0
; COMPUTE_PGM_RSRC2:TGID_Z_EN: 0
; COMPUTE_PGM_RSRC2:TIDIG_COMP_CNT: 0
; COMPUTE_PGM_RSRC3_GFX90A:ACCUM_OFFSET: 0
; COMPUTE_PGM_RSRC3_GFX90A:TG_SPLIT: 0
	.section	.text._ZN7rocprim17ROCPRIM_400000_NS6detail17trampoline_kernelINS0_14default_configENS1_25partition_config_selectorILNS1_17partition_subalgoE3EiNS0_10empty_typeEbEEZZNS1_14partition_implILS5_3ELb0ES3_jN6thrust23THRUST_200600_302600_NS6detail15normal_iteratorINSA_7pointerIiNSA_11hip_rocprim5par_tENSA_11use_defaultESG_EEEEPS6_SJ_NS0_5tupleIJPiSJ_EEENSK_IJSJ_SJ_EEES6_PlJ7is_evenIiEEEE10hipError_tPvRmT3_T4_T5_T6_T7_T9_mT8_P12ihipStream_tbDpT10_ENKUlT_T0_E_clISt17integral_constantIbLb0EES19_IbLb1EEEEDaS15_S16_EUlS15_E_NS1_11comp_targetILNS1_3genE10ELNS1_11target_archE1200ELNS1_3gpuE4ELNS1_3repE0EEENS1_30default_config_static_selectorELNS0_4arch9wavefront6targetE1EEEvT1_,"axG",@progbits,_ZN7rocprim17ROCPRIM_400000_NS6detail17trampoline_kernelINS0_14default_configENS1_25partition_config_selectorILNS1_17partition_subalgoE3EiNS0_10empty_typeEbEEZZNS1_14partition_implILS5_3ELb0ES3_jN6thrust23THRUST_200600_302600_NS6detail15normal_iteratorINSA_7pointerIiNSA_11hip_rocprim5par_tENSA_11use_defaultESG_EEEEPS6_SJ_NS0_5tupleIJPiSJ_EEENSK_IJSJ_SJ_EEES6_PlJ7is_evenIiEEEE10hipError_tPvRmT3_T4_T5_T6_T7_T9_mT8_P12ihipStream_tbDpT10_ENKUlT_T0_E_clISt17integral_constantIbLb0EES19_IbLb1EEEEDaS15_S16_EUlS15_E_NS1_11comp_targetILNS1_3genE10ELNS1_11target_archE1200ELNS1_3gpuE4ELNS1_3repE0EEENS1_30default_config_static_selectorELNS0_4arch9wavefront6targetE1EEEvT1_,comdat
	.protected	_ZN7rocprim17ROCPRIM_400000_NS6detail17trampoline_kernelINS0_14default_configENS1_25partition_config_selectorILNS1_17partition_subalgoE3EiNS0_10empty_typeEbEEZZNS1_14partition_implILS5_3ELb0ES3_jN6thrust23THRUST_200600_302600_NS6detail15normal_iteratorINSA_7pointerIiNSA_11hip_rocprim5par_tENSA_11use_defaultESG_EEEEPS6_SJ_NS0_5tupleIJPiSJ_EEENSK_IJSJ_SJ_EEES6_PlJ7is_evenIiEEEE10hipError_tPvRmT3_T4_T5_T6_T7_T9_mT8_P12ihipStream_tbDpT10_ENKUlT_T0_E_clISt17integral_constantIbLb0EES19_IbLb1EEEEDaS15_S16_EUlS15_E_NS1_11comp_targetILNS1_3genE10ELNS1_11target_archE1200ELNS1_3gpuE4ELNS1_3repE0EEENS1_30default_config_static_selectorELNS0_4arch9wavefront6targetE1EEEvT1_ ; -- Begin function _ZN7rocprim17ROCPRIM_400000_NS6detail17trampoline_kernelINS0_14default_configENS1_25partition_config_selectorILNS1_17partition_subalgoE3EiNS0_10empty_typeEbEEZZNS1_14partition_implILS5_3ELb0ES3_jN6thrust23THRUST_200600_302600_NS6detail15normal_iteratorINSA_7pointerIiNSA_11hip_rocprim5par_tENSA_11use_defaultESG_EEEEPS6_SJ_NS0_5tupleIJPiSJ_EEENSK_IJSJ_SJ_EEES6_PlJ7is_evenIiEEEE10hipError_tPvRmT3_T4_T5_T6_T7_T9_mT8_P12ihipStream_tbDpT10_ENKUlT_T0_E_clISt17integral_constantIbLb0EES19_IbLb1EEEEDaS15_S16_EUlS15_E_NS1_11comp_targetILNS1_3genE10ELNS1_11target_archE1200ELNS1_3gpuE4ELNS1_3repE0EEENS1_30default_config_static_selectorELNS0_4arch9wavefront6targetE1EEEvT1_
	.globl	_ZN7rocprim17ROCPRIM_400000_NS6detail17trampoline_kernelINS0_14default_configENS1_25partition_config_selectorILNS1_17partition_subalgoE3EiNS0_10empty_typeEbEEZZNS1_14partition_implILS5_3ELb0ES3_jN6thrust23THRUST_200600_302600_NS6detail15normal_iteratorINSA_7pointerIiNSA_11hip_rocprim5par_tENSA_11use_defaultESG_EEEEPS6_SJ_NS0_5tupleIJPiSJ_EEENSK_IJSJ_SJ_EEES6_PlJ7is_evenIiEEEE10hipError_tPvRmT3_T4_T5_T6_T7_T9_mT8_P12ihipStream_tbDpT10_ENKUlT_T0_E_clISt17integral_constantIbLb0EES19_IbLb1EEEEDaS15_S16_EUlS15_E_NS1_11comp_targetILNS1_3genE10ELNS1_11target_archE1200ELNS1_3gpuE4ELNS1_3repE0EEENS1_30default_config_static_selectorELNS0_4arch9wavefront6targetE1EEEvT1_
	.p2align	8
	.type	_ZN7rocprim17ROCPRIM_400000_NS6detail17trampoline_kernelINS0_14default_configENS1_25partition_config_selectorILNS1_17partition_subalgoE3EiNS0_10empty_typeEbEEZZNS1_14partition_implILS5_3ELb0ES3_jN6thrust23THRUST_200600_302600_NS6detail15normal_iteratorINSA_7pointerIiNSA_11hip_rocprim5par_tENSA_11use_defaultESG_EEEEPS6_SJ_NS0_5tupleIJPiSJ_EEENSK_IJSJ_SJ_EEES6_PlJ7is_evenIiEEEE10hipError_tPvRmT3_T4_T5_T6_T7_T9_mT8_P12ihipStream_tbDpT10_ENKUlT_T0_E_clISt17integral_constantIbLb0EES19_IbLb1EEEEDaS15_S16_EUlS15_E_NS1_11comp_targetILNS1_3genE10ELNS1_11target_archE1200ELNS1_3gpuE4ELNS1_3repE0EEENS1_30default_config_static_selectorELNS0_4arch9wavefront6targetE1EEEvT1_,@function
_ZN7rocprim17ROCPRIM_400000_NS6detail17trampoline_kernelINS0_14default_configENS1_25partition_config_selectorILNS1_17partition_subalgoE3EiNS0_10empty_typeEbEEZZNS1_14partition_implILS5_3ELb0ES3_jN6thrust23THRUST_200600_302600_NS6detail15normal_iteratorINSA_7pointerIiNSA_11hip_rocprim5par_tENSA_11use_defaultESG_EEEEPS6_SJ_NS0_5tupleIJPiSJ_EEENSK_IJSJ_SJ_EEES6_PlJ7is_evenIiEEEE10hipError_tPvRmT3_T4_T5_T6_T7_T9_mT8_P12ihipStream_tbDpT10_ENKUlT_T0_E_clISt17integral_constantIbLb0EES19_IbLb1EEEEDaS15_S16_EUlS15_E_NS1_11comp_targetILNS1_3genE10ELNS1_11target_archE1200ELNS1_3gpuE4ELNS1_3repE0EEENS1_30default_config_static_selectorELNS0_4arch9wavefront6targetE1EEEvT1_: ; @_ZN7rocprim17ROCPRIM_400000_NS6detail17trampoline_kernelINS0_14default_configENS1_25partition_config_selectorILNS1_17partition_subalgoE3EiNS0_10empty_typeEbEEZZNS1_14partition_implILS5_3ELb0ES3_jN6thrust23THRUST_200600_302600_NS6detail15normal_iteratorINSA_7pointerIiNSA_11hip_rocprim5par_tENSA_11use_defaultESG_EEEEPS6_SJ_NS0_5tupleIJPiSJ_EEENSK_IJSJ_SJ_EEES6_PlJ7is_evenIiEEEE10hipError_tPvRmT3_T4_T5_T6_T7_T9_mT8_P12ihipStream_tbDpT10_ENKUlT_T0_E_clISt17integral_constantIbLb0EES19_IbLb1EEEEDaS15_S16_EUlS15_E_NS1_11comp_targetILNS1_3genE10ELNS1_11target_archE1200ELNS1_3gpuE4ELNS1_3repE0EEENS1_30default_config_static_selectorELNS0_4arch9wavefront6targetE1EEEvT1_
; %bb.0:
	.section	.rodata,"a",@progbits
	.p2align	6, 0x0
	.amdhsa_kernel _ZN7rocprim17ROCPRIM_400000_NS6detail17trampoline_kernelINS0_14default_configENS1_25partition_config_selectorILNS1_17partition_subalgoE3EiNS0_10empty_typeEbEEZZNS1_14partition_implILS5_3ELb0ES3_jN6thrust23THRUST_200600_302600_NS6detail15normal_iteratorINSA_7pointerIiNSA_11hip_rocprim5par_tENSA_11use_defaultESG_EEEEPS6_SJ_NS0_5tupleIJPiSJ_EEENSK_IJSJ_SJ_EEES6_PlJ7is_evenIiEEEE10hipError_tPvRmT3_T4_T5_T6_T7_T9_mT8_P12ihipStream_tbDpT10_ENKUlT_T0_E_clISt17integral_constantIbLb0EES19_IbLb1EEEEDaS15_S16_EUlS15_E_NS1_11comp_targetILNS1_3genE10ELNS1_11target_archE1200ELNS1_3gpuE4ELNS1_3repE0EEENS1_30default_config_static_selectorELNS0_4arch9wavefront6targetE1EEEvT1_
		.amdhsa_group_segment_fixed_size 0
		.amdhsa_private_segment_fixed_size 0
		.amdhsa_kernarg_size 136
		.amdhsa_user_sgpr_count 2
		.amdhsa_user_sgpr_dispatch_ptr 0
		.amdhsa_user_sgpr_queue_ptr 0
		.amdhsa_user_sgpr_kernarg_segment_ptr 1
		.amdhsa_user_sgpr_dispatch_id 0
		.amdhsa_user_sgpr_kernarg_preload_length 0
		.amdhsa_user_sgpr_kernarg_preload_offset 0
		.amdhsa_user_sgpr_private_segment_size 0
		.amdhsa_uses_dynamic_stack 0
		.amdhsa_enable_private_segment 0
		.amdhsa_system_sgpr_workgroup_id_x 1
		.amdhsa_system_sgpr_workgroup_id_y 0
		.amdhsa_system_sgpr_workgroup_id_z 0
		.amdhsa_system_sgpr_workgroup_info 0
		.amdhsa_system_vgpr_workitem_id 0
		.amdhsa_next_free_vgpr 1
		.amdhsa_next_free_sgpr 0
		.amdhsa_accum_offset 4
		.amdhsa_reserve_vcc 0
		.amdhsa_float_round_mode_32 0
		.amdhsa_float_round_mode_16_64 0
		.amdhsa_float_denorm_mode_32 3
		.amdhsa_float_denorm_mode_16_64 3
		.amdhsa_dx10_clamp 1
		.amdhsa_ieee_mode 1
		.amdhsa_fp16_overflow 0
		.amdhsa_tg_split 0
		.amdhsa_exception_fp_ieee_invalid_op 0
		.amdhsa_exception_fp_denorm_src 0
		.amdhsa_exception_fp_ieee_div_zero 0
		.amdhsa_exception_fp_ieee_overflow 0
		.amdhsa_exception_fp_ieee_underflow 0
		.amdhsa_exception_fp_ieee_inexact 0
		.amdhsa_exception_int_div_zero 0
	.end_amdhsa_kernel
	.section	.text._ZN7rocprim17ROCPRIM_400000_NS6detail17trampoline_kernelINS0_14default_configENS1_25partition_config_selectorILNS1_17partition_subalgoE3EiNS0_10empty_typeEbEEZZNS1_14partition_implILS5_3ELb0ES3_jN6thrust23THRUST_200600_302600_NS6detail15normal_iteratorINSA_7pointerIiNSA_11hip_rocprim5par_tENSA_11use_defaultESG_EEEEPS6_SJ_NS0_5tupleIJPiSJ_EEENSK_IJSJ_SJ_EEES6_PlJ7is_evenIiEEEE10hipError_tPvRmT3_T4_T5_T6_T7_T9_mT8_P12ihipStream_tbDpT10_ENKUlT_T0_E_clISt17integral_constantIbLb0EES19_IbLb1EEEEDaS15_S16_EUlS15_E_NS1_11comp_targetILNS1_3genE10ELNS1_11target_archE1200ELNS1_3gpuE4ELNS1_3repE0EEENS1_30default_config_static_selectorELNS0_4arch9wavefront6targetE1EEEvT1_,"axG",@progbits,_ZN7rocprim17ROCPRIM_400000_NS6detail17trampoline_kernelINS0_14default_configENS1_25partition_config_selectorILNS1_17partition_subalgoE3EiNS0_10empty_typeEbEEZZNS1_14partition_implILS5_3ELb0ES3_jN6thrust23THRUST_200600_302600_NS6detail15normal_iteratorINSA_7pointerIiNSA_11hip_rocprim5par_tENSA_11use_defaultESG_EEEEPS6_SJ_NS0_5tupleIJPiSJ_EEENSK_IJSJ_SJ_EEES6_PlJ7is_evenIiEEEE10hipError_tPvRmT3_T4_T5_T6_T7_T9_mT8_P12ihipStream_tbDpT10_ENKUlT_T0_E_clISt17integral_constantIbLb0EES19_IbLb1EEEEDaS15_S16_EUlS15_E_NS1_11comp_targetILNS1_3genE10ELNS1_11target_archE1200ELNS1_3gpuE4ELNS1_3repE0EEENS1_30default_config_static_selectorELNS0_4arch9wavefront6targetE1EEEvT1_,comdat
.Lfunc_end3691:
	.size	_ZN7rocprim17ROCPRIM_400000_NS6detail17trampoline_kernelINS0_14default_configENS1_25partition_config_selectorILNS1_17partition_subalgoE3EiNS0_10empty_typeEbEEZZNS1_14partition_implILS5_3ELb0ES3_jN6thrust23THRUST_200600_302600_NS6detail15normal_iteratorINSA_7pointerIiNSA_11hip_rocprim5par_tENSA_11use_defaultESG_EEEEPS6_SJ_NS0_5tupleIJPiSJ_EEENSK_IJSJ_SJ_EEES6_PlJ7is_evenIiEEEE10hipError_tPvRmT3_T4_T5_T6_T7_T9_mT8_P12ihipStream_tbDpT10_ENKUlT_T0_E_clISt17integral_constantIbLb0EES19_IbLb1EEEEDaS15_S16_EUlS15_E_NS1_11comp_targetILNS1_3genE10ELNS1_11target_archE1200ELNS1_3gpuE4ELNS1_3repE0EEENS1_30default_config_static_selectorELNS0_4arch9wavefront6targetE1EEEvT1_, .Lfunc_end3691-_ZN7rocprim17ROCPRIM_400000_NS6detail17trampoline_kernelINS0_14default_configENS1_25partition_config_selectorILNS1_17partition_subalgoE3EiNS0_10empty_typeEbEEZZNS1_14partition_implILS5_3ELb0ES3_jN6thrust23THRUST_200600_302600_NS6detail15normal_iteratorINSA_7pointerIiNSA_11hip_rocprim5par_tENSA_11use_defaultESG_EEEEPS6_SJ_NS0_5tupleIJPiSJ_EEENSK_IJSJ_SJ_EEES6_PlJ7is_evenIiEEEE10hipError_tPvRmT3_T4_T5_T6_T7_T9_mT8_P12ihipStream_tbDpT10_ENKUlT_T0_E_clISt17integral_constantIbLb0EES19_IbLb1EEEEDaS15_S16_EUlS15_E_NS1_11comp_targetILNS1_3genE10ELNS1_11target_archE1200ELNS1_3gpuE4ELNS1_3repE0EEENS1_30default_config_static_selectorELNS0_4arch9wavefront6targetE1EEEvT1_
                                        ; -- End function
	.section	.AMDGPU.csdata,"",@progbits
; Kernel info:
; codeLenInByte = 0
; NumSgprs: 6
; NumVgprs: 0
; NumAgprs: 0
; TotalNumVgprs: 0
; ScratchSize: 0
; MemoryBound: 0
; FloatMode: 240
; IeeeMode: 1
; LDSByteSize: 0 bytes/workgroup (compile time only)
; SGPRBlocks: 0
; VGPRBlocks: 0
; NumSGPRsForWavesPerEU: 6
; NumVGPRsForWavesPerEU: 1
; AccumOffset: 4
; Occupancy: 8
; WaveLimiterHint : 0
; COMPUTE_PGM_RSRC2:SCRATCH_EN: 0
; COMPUTE_PGM_RSRC2:USER_SGPR: 2
; COMPUTE_PGM_RSRC2:TRAP_HANDLER: 0
; COMPUTE_PGM_RSRC2:TGID_X_EN: 1
; COMPUTE_PGM_RSRC2:TGID_Y_EN: 0
; COMPUTE_PGM_RSRC2:TGID_Z_EN: 0
; COMPUTE_PGM_RSRC2:TIDIG_COMP_CNT: 0
; COMPUTE_PGM_RSRC3_GFX90A:ACCUM_OFFSET: 0
; COMPUTE_PGM_RSRC3_GFX90A:TG_SPLIT: 0
	.section	.text._ZN7rocprim17ROCPRIM_400000_NS6detail17trampoline_kernelINS0_14default_configENS1_25partition_config_selectorILNS1_17partition_subalgoE3EiNS0_10empty_typeEbEEZZNS1_14partition_implILS5_3ELb0ES3_jN6thrust23THRUST_200600_302600_NS6detail15normal_iteratorINSA_7pointerIiNSA_11hip_rocprim5par_tENSA_11use_defaultESG_EEEEPS6_SJ_NS0_5tupleIJPiSJ_EEENSK_IJSJ_SJ_EEES6_PlJ7is_evenIiEEEE10hipError_tPvRmT3_T4_T5_T6_T7_T9_mT8_P12ihipStream_tbDpT10_ENKUlT_T0_E_clISt17integral_constantIbLb0EES19_IbLb1EEEEDaS15_S16_EUlS15_E_NS1_11comp_targetILNS1_3genE9ELNS1_11target_archE1100ELNS1_3gpuE3ELNS1_3repE0EEENS1_30default_config_static_selectorELNS0_4arch9wavefront6targetE1EEEvT1_,"axG",@progbits,_ZN7rocprim17ROCPRIM_400000_NS6detail17trampoline_kernelINS0_14default_configENS1_25partition_config_selectorILNS1_17partition_subalgoE3EiNS0_10empty_typeEbEEZZNS1_14partition_implILS5_3ELb0ES3_jN6thrust23THRUST_200600_302600_NS6detail15normal_iteratorINSA_7pointerIiNSA_11hip_rocprim5par_tENSA_11use_defaultESG_EEEEPS6_SJ_NS0_5tupleIJPiSJ_EEENSK_IJSJ_SJ_EEES6_PlJ7is_evenIiEEEE10hipError_tPvRmT3_T4_T5_T6_T7_T9_mT8_P12ihipStream_tbDpT10_ENKUlT_T0_E_clISt17integral_constantIbLb0EES19_IbLb1EEEEDaS15_S16_EUlS15_E_NS1_11comp_targetILNS1_3genE9ELNS1_11target_archE1100ELNS1_3gpuE3ELNS1_3repE0EEENS1_30default_config_static_selectorELNS0_4arch9wavefront6targetE1EEEvT1_,comdat
	.protected	_ZN7rocprim17ROCPRIM_400000_NS6detail17trampoline_kernelINS0_14default_configENS1_25partition_config_selectorILNS1_17partition_subalgoE3EiNS0_10empty_typeEbEEZZNS1_14partition_implILS5_3ELb0ES3_jN6thrust23THRUST_200600_302600_NS6detail15normal_iteratorINSA_7pointerIiNSA_11hip_rocprim5par_tENSA_11use_defaultESG_EEEEPS6_SJ_NS0_5tupleIJPiSJ_EEENSK_IJSJ_SJ_EEES6_PlJ7is_evenIiEEEE10hipError_tPvRmT3_T4_T5_T6_T7_T9_mT8_P12ihipStream_tbDpT10_ENKUlT_T0_E_clISt17integral_constantIbLb0EES19_IbLb1EEEEDaS15_S16_EUlS15_E_NS1_11comp_targetILNS1_3genE9ELNS1_11target_archE1100ELNS1_3gpuE3ELNS1_3repE0EEENS1_30default_config_static_selectorELNS0_4arch9wavefront6targetE1EEEvT1_ ; -- Begin function _ZN7rocprim17ROCPRIM_400000_NS6detail17trampoline_kernelINS0_14default_configENS1_25partition_config_selectorILNS1_17partition_subalgoE3EiNS0_10empty_typeEbEEZZNS1_14partition_implILS5_3ELb0ES3_jN6thrust23THRUST_200600_302600_NS6detail15normal_iteratorINSA_7pointerIiNSA_11hip_rocprim5par_tENSA_11use_defaultESG_EEEEPS6_SJ_NS0_5tupleIJPiSJ_EEENSK_IJSJ_SJ_EEES6_PlJ7is_evenIiEEEE10hipError_tPvRmT3_T4_T5_T6_T7_T9_mT8_P12ihipStream_tbDpT10_ENKUlT_T0_E_clISt17integral_constantIbLb0EES19_IbLb1EEEEDaS15_S16_EUlS15_E_NS1_11comp_targetILNS1_3genE9ELNS1_11target_archE1100ELNS1_3gpuE3ELNS1_3repE0EEENS1_30default_config_static_selectorELNS0_4arch9wavefront6targetE1EEEvT1_
	.globl	_ZN7rocprim17ROCPRIM_400000_NS6detail17trampoline_kernelINS0_14default_configENS1_25partition_config_selectorILNS1_17partition_subalgoE3EiNS0_10empty_typeEbEEZZNS1_14partition_implILS5_3ELb0ES3_jN6thrust23THRUST_200600_302600_NS6detail15normal_iteratorINSA_7pointerIiNSA_11hip_rocprim5par_tENSA_11use_defaultESG_EEEEPS6_SJ_NS0_5tupleIJPiSJ_EEENSK_IJSJ_SJ_EEES6_PlJ7is_evenIiEEEE10hipError_tPvRmT3_T4_T5_T6_T7_T9_mT8_P12ihipStream_tbDpT10_ENKUlT_T0_E_clISt17integral_constantIbLb0EES19_IbLb1EEEEDaS15_S16_EUlS15_E_NS1_11comp_targetILNS1_3genE9ELNS1_11target_archE1100ELNS1_3gpuE3ELNS1_3repE0EEENS1_30default_config_static_selectorELNS0_4arch9wavefront6targetE1EEEvT1_
	.p2align	8
	.type	_ZN7rocprim17ROCPRIM_400000_NS6detail17trampoline_kernelINS0_14default_configENS1_25partition_config_selectorILNS1_17partition_subalgoE3EiNS0_10empty_typeEbEEZZNS1_14partition_implILS5_3ELb0ES3_jN6thrust23THRUST_200600_302600_NS6detail15normal_iteratorINSA_7pointerIiNSA_11hip_rocprim5par_tENSA_11use_defaultESG_EEEEPS6_SJ_NS0_5tupleIJPiSJ_EEENSK_IJSJ_SJ_EEES6_PlJ7is_evenIiEEEE10hipError_tPvRmT3_T4_T5_T6_T7_T9_mT8_P12ihipStream_tbDpT10_ENKUlT_T0_E_clISt17integral_constantIbLb0EES19_IbLb1EEEEDaS15_S16_EUlS15_E_NS1_11comp_targetILNS1_3genE9ELNS1_11target_archE1100ELNS1_3gpuE3ELNS1_3repE0EEENS1_30default_config_static_selectorELNS0_4arch9wavefront6targetE1EEEvT1_,@function
_ZN7rocprim17ROCPRIM_400000_NS6detail17trampoline_kernelINS0_14default_configENS1_25partition_config_selectorILNS1_17partition_subalgoE3EiNS0_10empty_typeEbEEZZNS1_14partition_implILS5_3ELb0ES3_jN6thrust23THRUST_200600_302600_NS6detail15normal_iteratorINSA_7pointerIiNSA_11hip_rocprim5par_tENSA_11use_defaultESG_EEEEPS6_SJ_NS0_5tupleIJPiSJ_EEENSK_IJSJ_SJ_EEES6_PlJ7is_evenIiEEEE10hipError_tPvRmT3_T4_T5_T6_T7_T9_mT8_P12ihipStream_tbDpT10_ENKUlT_T0_E_clISt17integral_constantIbLb0EES19_IbLb1EEEEDaS15_S16_EUlS15_E_NS1_11comp_targetILNS1_3genE9ELNS1_11target_archE1100ELNS1_3gpuE3ELNS1_3repE0EEENS1_30default_config_static_selectorELNS0_4arch9wavefront6targetE1EEEvT1_: ; @_ZN7rocprim17ROCPRIM_400000_NS6detail17trampoline_kernelINS0_14default_configENS1_25partition_config_selectorILNS1_17partition_subalgoE3EiNS0_10empty_typeEbEEZZNS1_14partition_implILS5_3ELb0ES3_jN6thrust23THRUST_200600_302600_NS6detail15normal_iteratorINSA_7pointerIiNSA_11hip_rocprim5par_tENSA_11use_defaultESG_EEEEPS6_SJ_NS0_5tupleIJPiSJ_EEENSK_IJSJ_SJ_EEES6_PlJ7is_evenIiEEEE10hipError_tPvRmT3_T4_T5_T6_T7_T9_mT8_P12ihipStream_tbDpT10_ENKUlT_T0_E_clISt17integral_constantIbLb0EES19_IbLb1EEEEDaS15_S16_EUlS15_E_NS1_11comp_targetILNS1_3genE9ELNS1_11target_archE1100ELNS1_3gpuE3ELNS1_3repE0EEENS1_30default_config_static_selectorELNS0_4arch9wavefront6targetE1EEEvT1_
; %bb.0:
	.section	.rodata,"a",@progbits
	.p2align	6, 0x0
	.amdhsa_kernel _ZN7rocprim17ROCPRIM_400000_NS6detail17trampoline_kernelINS0_14default_configENS1_25partition_config_selectorILNS1_17partition_subalgoE3EiNS0_10empty_typeEbEEZZNS1_14partition_implILS5_3ELb0ES3_jN6thrust23THRUST_200600_302600_NS6detail15normal_iteratorINSA_7pointerIiNSA_11hip_rocprim5par_tENSA_11use_defaultESG_EEEEPS6_SJ_NS0_5tupleIJPiSJ_EEENSK_IJSJ_SJ_EEES6_PlJ7is_evenIiEEEE10hipError_tPvRmT3_T4_T5_T6_T7_T9_mT8_P12ihipStream_tbDpT10_ENKUlT_T0_E_clISt17integral_constantIbLb0EES19_IbLb1EEEEDaS15_S16_EUlS15_E_NS1_11comp_targetILNS1_3genE9ELNS1_11target_archE1100ELNS1_3gpuE3ELNS1_3repE0EEENS1_30default_config_static_selectorELNS0_4arch9wavefront6targetE1EEEvT1_
		.amdhsa_group_segment_fixed_size 0
		.amdhsa_private_segment_fixed_size 0
		.amdhsa_kernarg_size 136
		.amdhsa_user_sgpr_count 2
		.amdhsa_user_sgpr_dispatch_ptr 0
		.amdhsa_user_sgpr_queue_ptr 0
		.amdhsa_user_sgpr_kernarg_segment_ptr 1
		.amdhsa_user_sgpr_dispatch_id 0
		.amdhsa_user_sgpr_kernarg_preload_length 0
		.amdhsa_user_sgpr_kernarg_preload_offset 0
		.amdhsa_user_sgpr_private_segment_size 0
		.amdhsa_uses_dynamic_stack 0
		.amdhsa_enable_private_segment 0
		.amdhsa_system_sgpr_workgroup_id_x 1
		.amdhsa_system_sgpr_workgroup_id_y 0
		.amdhsa_system_sgpr_workgroup_id_z 0
		.amdhsa_system_sgpr_workgroup_info 0
		.amdhsa_system_vgpr_workitem_id 0
		.amdhsa_next_free_vgpr 1
		.amdhsa_next_free_sgpr 0
		.amdhsa_accum_offset 4
		.amdhsa_reserve_vcc 0
		.amdhsa_float_round_mode_32 0
		.amdhsa_float_round_mode_16_64 0
		.amdhsa_float_denorm_mode_32 3
		.amdhsa_float_denorm_mode_16_64 3
		.amdhsa_dx10_clamp 1
		.amdhsa_ieee_mode 1
		.amdhsa_fp16_overflow 0
		.amdhsa_tg_split 0
		.amdhsa_exception_fp_ieee_invalid_op 0
		.amdhsa_exception_fp_denorm_src 0
		.amdhsa_exception_fp_ieee_div_zero 0
		.amdhsa_exception_fp_ieee_overflow 0
		.amdhsa_exception_fp_ieee_underflow 0
		.amdhsa_exception_fp_ieee_inexact 0
		.amdhsa_exception_int_div_zero 0
	.end_amdhsa_kernel
	.section	.text._ZN7rocprim17ROCPRIM_400000_NS6detail17trampoline_kernelINS0_14default_configENS1_25partition_config_selectorILNS1_17partition_subalgoE3EiNS0_10empty_typeEbEEZZNS1_14partition_implILS5_3ELb0ES3_jN6thrust23THRUST_200600_302600_NS6detail15normal_iteratorINSA_7pointerIiNSA_11hip_rocprim5par_tENSA_11use_defaultESG_EEEEPS6_SJ_NS0_5tupleIJPiSJ_EEENSK_IJSJ_SJ_EEES6_PlJ7is_evenIiEEEE10hipError_tPvRmT3_T4_T5_T6_T7_T9_mT8_P12ihipStream_tbDpT10_ENKUlT_T0_E_clISt17integral_constantIbLb0EES19_IbLb1EEEEDaS15_S16_EUlS15_E_NS1_11comp_targetILNS1_3genE9ELNS1_11target_archE1100ELNS1_3gpuE3ELNS1_3repE0EEENS1_30default_config_static_selectorELNS0_4arch9wavefront6targetE1EEEvT1_,"axG",@progbits,_ZN7rocprim17ROCPRIM_400000_NS6detail17trampoline_kernelINS0_14default_configENS1_25partition_config_selectorILNS1_17partition_subalgoE3EiNS0_10empty_typeEbEEZZNS1_14partition_implILS5_3ELb0ES3_jN6thrust23THRUST_200600_302600_NS6detail15normal_iteratorINSA_7pointerIiNSA_11hip_rocprim5par_tENSA_11use_defaultESG_EEEEPS6_SJ_NS0_5tupleIJPiSJ_EEENSK_IJSJ_SJ_EEES6_PlJ7is_evenIiEEEE10hipError_tPvRmT3_T4_T5_T6_T7_T9_mT8_P12ihipStream_tbDpT10_ENKUlT_T0_E_clISt17integral_constantIbLb0EES19_IbLb1EEEEDaS15_S16_EUlS15_E_NS1_11comp_targetILNS1_3genE9ELNS1_11target_archE1100ELNS1_3gpuE3ELNS1_3repE0EEENS1_30default_config_static_selectorELNS0_4arch9wavefront6targetE1EEEvT1_,comdat
.Lfunc_end3692:
	.size	_ZN7rocprim17ROCPRIM_400000_NS6detail17trampoline_kernelINS0_14default_configENS1_25partition_config_selectorILNS1_17partition_subalgoE3EiNS0_10empty_typeEbEEZZNS1_14partition_implILS5_3ELb0ES3_jN6thrust23THRUST_200600_302600_NS6detail15normal_iteratorINSA_7pointerIiNSA_11hip_rocprim5par_tENSA_11use_defaultESG_EEEEPS6_SJ_NS0_5tupleIJPiSJ_EEENSK_IJSJ_SJ_EEES6_PlJ7is_evenIiEEEE10hipError_tPvRmT3_T4_T5_T6_T7_T9_mT8_P12ihipStream_tbDpT10_ENKUlT_T0_E_clISt17integral_constantIbLb0EES19_IbLb1EEEEDaS15_S16_EUlS15_E_NS1_11comp_targetILNS1_3genE9ELNS1_11target_archE1100ELNS1_3gpuE3ELNS1_3repE0EEENS1_30default_config_static_selectorELNS0_4arch9wavefront6targetE1EEEvT1_, .Lfunc_end3692-_ZN7rocprim17ROCPRIM_400000_NS6detail17trampoline_kernelINS0_14default_configENS1_25partition_config_selectorILNS1_17partition_subalgoE3EiNS0_10empty_typeEbEEZZNS1_14partition_implILS5_3ELb0ES3_jN6thrust23THRUST_200600_302600_NS6detail15normal_iteratorINSA_7pointerIiNSA_11hip_rocprim5par_tENSA_11use_defaultESG_EEEEPS6_SJ_NS0_5tupleIJPiSJ_EEENSK_IJSJ_SJ_EEES6_PlJ7is_evenIiEEEE10hipError_tPvRmT3_T4_T5_T6_T7_T9_mT8_P12ihipStream_tbDpT10_ENKUlT_T0_E_clISt17integral_constantIbLb0EES19_IbLb1EEEEDaS15_S16_EUlS15_E_NS1_11comp_targetILNS1_3genE9ELNS1_11target_archE1100ELNS1_3gpuE3ELNS1_3repE0EEENS1_30default_config_static_selectorELNS0_4arch9wavefront6targetE1EEEvT1_
                                        ; -- End function
	.section	.AMDGPU.csdata,"",@progbits
; Kernel info:
; codeLenInByte = 0
; NumSgprs: 6
; NumVgprs: 0
; NumAgprs: 0
; TotalNumVgprs: 0
; ScratchSize: 0
; MemoryBound: 0
; FloatMode: 240
; IeeeMode: 1
; LDSByteSize: 0 bytes/workgroup (compile time only)
; SGPRBlocks: 0
; VGPRBlocks: 0
; NumSGPRsForWavesPerEU: 6
; NumVGPRsForWavesPerEU: 1
; AccumOffset: 4
; Occupancy: 8
; WaveLimiterHint : 0
; COMPUTE_PGM_RSRC2:SCRATCH_EN: 0
; COMPUTE_PGM_RSRC2:USER_SGPR: 2
; COMPUTE_PGM_RSRC2:TRAP_HANDLER: 0
; COMPUTE_PGM_RSRC2:TGID_X_EN: 1
; COMPUTE_PGM_RSRC2:TGID_Y_EN: 0
; COMPUTE_PGM_RSRC2:TGID_Z_EN: 0
; COMPUTE_PGM_RSRC2:TIDIG_COMP_CNT: 0
; COMPUTE_PGM_RSRC3_GFX90A:ACCUM_OFFSET: 0
; COMPUTE_PGM_RSRC3_GFX90A:TG_SPLIT: 0
	.section	.text._ZN7rocprim17ROCPRIM_400000_NS6detail17trampoline_kernelINS0_14default_configENS1_25partition_config_selectorILNS1_17partition_subalgoE3EiNS0_10empty_typeEbEEZZNS1_14partition_implILS5_3ELb0ES3_jN6thrust23THRUST_200600_302600_NS6detail15normal_iteratorINSA_7pointerIiNSA_11hip_rocprim5par_tENSA_11use_defaultESG_EEEEPS6_SJ_NS0_5tupleIJPiSJ_EEENSK_IJSJ_SJ_EEES6_PlJ7is_evenIiEEEE10hipError_tPvRmT3_T4_T5_T6_T7_T9_mT8_P12ihipStream_tbDpT10_ENKUlT_T0_E_clISt17integral_constantIbLb0EES19_IbLb1EEEEDaS15_S16_EUlS15_E_NS1_11comp_targetILNS1_3genE8ELNS1_11target_archE1030ELNS1_3gpuE2ELNS1_3repE0EEENS1_30default_config_static_selectorELNS0_4arch9wavefront6targetE1EEEvT1_,"axG",@progbits,_ZN7rocprim17ROCPRIM_400000_NS6detail17trampoline_kernelINS0_14default_configENS1_25partition_config_selectorILNS1_17partition_subalgoE3EiNS0_10empty_typeEbEEZZNS1_14partition_implILS5_3ELb0ES3_jN6thrust23THRUST_200600_302600_NS6detail15normal_iteratorINSA_7pointerIiNSA_11hip_rocprim5par_tENSA_11use_defaultESG_EEEEPS6_SJ_NS0_5tupleIJPiSJ_EEENSK_IJSJ_SJ_EEES6_PlJ7is_evenIiEEEE10hipError_tPvRmT3_T4_T5_T6_T7_T9_mT8_P12ihipStream_tbDpT10_ENKUlT_T0_E_clISt17integral_constantIbLb0EES19_IbLb1EEEEDaS15_S16_EUlS15_E_NS1_11comp_targetILNS1_3genE8ELNS1_11target_archE1030ELNS1_3gpuE2ELNS1_3repE0EEENS1_30default_config_static_selectorELNS0_4arch9wavefront6targetE1EEEvT1_,comdat
	.protected	_ZN7rocprim17ROCPRIM_400000_NS6detail17trampoline_kernelINS0_14default_configENS1_25partition_config_selectorILNS1_17partition_subalgoE3EiNS0_10empty_typeEbEEZZNS1_14partition_implILS5_3ELb0ES3_jN6thrust23THRUST_200600_302600_NS6detail15normal_iteratorINSA_7pointerIiNSA_11hip_rocprim5par_tENSA_11use_defaultESG_EEEEPS6_SJ_NS0_5tupleIJPiSJ_EEENSK_IJSJ_SJ_EEES6_PlJ7is_evenIiEEEE10hipError_tPvRmT3_T4_T5_T6_T7_T9_mT8_P12ihipStream_tbDpT10_ENKUlT_T0_E_clISt17integral_constantIbLb0EES19_IbLb1EEEEDaS15_S16_EUlS15_E_NS1_11comp_targetILNS1_3genE8ELNS1_11target_archE1030ELNS1_3gpuE2ELNS1_3repE0EEENS1_30default_config_static_selectorELNS0_4arch9wavefront6targetE1EEEvT1_ ; -- Begin function _ZN7rocprim17ROCPRIM_400000_NS6detail17trampoline_kernelINS0_14default_configENS1_25partition_config_selectorILNS1_17partition_subalgoE3EiNS0_10empty_typeEbEEZZNS1_14partition_implILS5_3ELb0ES3_jN6thrust23THRUST_200600_302600_NS6detail15normal_iteratorINSA_7pointerIiNSA_11hip_rocprim5par_tENSA_11use_defaultESG_EEEEPS6_SJ_NS0_5tupleIJPiSJ_EEENSK_IJSJ_SJ_EEES6_PlJ7is_evenIiEEEE10hipError_tPvRmT3_T4_T5_T6_T7_T9_mT8_P12ihipStream_tbDpT10_ENKUlT_T0_E_clISt17integral_constantIbLb0EES19_IbLb1EEEEDaS15_S16_EUlS15_E_NS1_11comp_targetILNS1_3genE8ELNS1_11target_archE1030ELNS1_3gpuE2ELNS1_3repE0EEENS1_30default_config_static_selectorELNS0_4arch9wavefront6targetE1EEEvT1_
	.globl	_ZN7rocprim17ROCPRIM_400000_NS6detail17trampoline_kernelINS0_14default_configENS1_25partition_config_selectorILNS1_17partition_subalgoE3EiNS0_10empty_typeEbEEZZNS1_14partition_implILS5_3ELb0ES3_jN6thrust23THRUST_200600_302600_NS6detail15normal_iteratorINSA_7pointerIiNSA_11hip_rocprim5par_tENSA_11use_defaultESG_EEEEPS6_SJ_NS0_5tupleIJPiSJ_EEENSK_IJSJ_SJ_EEES6_PlJ7is_evenIiEEEE10hipError_tPvRmT3_T4_T5_T6_T7_T9_mT8_P12ihipStream_tbDpT10_ENKUlT_T0_E_clISt17integral_constantIbLb0EES19_IbLb1EEEEDaS15_S16_EUlS15_E_NS1_11comp_targetILNS1_3genE8ELNS1_11target_archE1030ELNS1_3gpuE2ELNS1_3repE0EEENS1_30default_config_static_selectorELNS0_4arch9wavefront6targetE1EEEvT1_
	.p2align	8
	.type	_ZN7rocprim17ROCPRIM_400000_NS6detail17trampoline_kernelINS0_14default_configENS1_25partition_config_selectorILNS1_17partition_subalgoE3EiNS0_10empty_typeEbEEZZNS1_14partition_implILS5_3ELb0ES3_jN6thrust23THRUST_200600_302600_NS6detail15normal_iteratorINSA_7pointerIiNSA_11hip_rocprim5par_tENSA_11use_defaultESG_EEEEPS6_SJ_NS0_5tupleIJPiSJ_EEENSK_IJSJ_SJ_EEES6_PlJ7is_evenIiEEEE10hipError_tPvRmT3_T4_T5_T6_T7_T9_mT8_P12ihipStream_tbDpT10_ENKUlT_T0_E_clISt17integral_constantIbLb0EES19_IbLb1EEEEDaS15_S16_EUlS15_E_NS1_11comp_targetILNS1_3genE8ELNS1_11target_archE1030ELNS1_3gpuE2ELNS1_3repE0EEENS1_30default_config_static_selectorELNS0_4arch9wavefront6targetE1EEEvT1_,@function
_ZN7rocprim17ROCPRIM_400000_NS6detail17trampoline_kernelINS0_14default_configENS1_25partition_config_selectorILNS1_17partition_subalgoE3EiNS0_10empty_typeEbEEZZNS1_14partition_implILS5_3ELb0ES3_jN6thrust23THRUST_200600_302600_NS6detail15normal_iteratorINSA_7pointerIiNSA_11hip_rocprim5par_tENSA_11use_defaultESG_EEEEPS6_SJ_NS0_5tupleIJPiSJ_EEENSK_IJSJ_SJ_EEES6_PlJ7is_evenIiEEEE10hipError_tPvRmT3_T4_T5_T6_T7_T9_mT8_P12ihipStream_tbDpT10_ENKUlT_T0_E_clISt17integral_constantIbLb0EES19_IbLb1EEEEDaS15_S16_EUlS15_E_NS1_11comp_targetILNS1_3genE8ELNS1_11target_archE1030ELNS1_3gpuE2ELNS1_3repE0EEENS1_30default_config_static_selectorELNS0_4arch9wavefront6targetE1EEEvT1_: ; @_ZN7rocprim17ROCPRIM_400000_NS6detail17trampoline_kernelINS0_14default_configENS1_25partition_config_selectorILNS1_17partition_subalgoE3EiNS0_10empty_typeEbEEZZNS1_14partition_implILS5_3ELb0ES3_jN6thrust23THRUST_200600_302600_NS6detail15normal_iteratorINSA_7pointerIiNSA_11hip_rocprim5par_tENSA_11use_defaultESG_EEEEPS6_SJ_NS0_5tupleIJPiSJ_EEENSK_IJSJ_SJ_EEES6_PlJ7is_evenIiEEEE10hipError_tPvRmT3_T4_T5_T6_T7_T9_mT8_P12ihipStream_tbDpT10_ENKUlT_T0_E_clISt17integral_constantIbLb0EES19_IbLb1EEEEDaS15_S16_EUlS15_E_NS1_11comp_targetILNS1_3genE8ELNS1_11target_archE1030ELNS1_3gpuE2ELNS1_3repE0EEENS1_30default_config_static_selectorELNS0_4arch9wavefront6targetE1EEEvT1_
; %bb.0:
	.section	.rodata,"a",@progbits
	.p2align	6, 0x0
	.amdhsa_kernel _ZN7rocprim17ROCPRIM_400000_NS6detail17trampoline_kernelINS0_14default_configENS1_25partition_config_selectorILNS1_17partition_subalgoE3EiNS0_10empty_typeEbEEZZNS1_14partition_implILS5_3ELb0ES3_jN6thrust23THRUST_200600_302600_NS6detail15normal_iteratorINSA_7pointerIiNSA_11hip_rocprim5par_tENSA_11use_defaultESG_EEEEPS6_SJ_NS0_5tupleIJPiSJ_EEENSK_IJSJ_SJ_EEES6_PlJ7is_evenIiEEEE10hipError_tPvRmT3_T4_T5_T6_T7_T9_mT8_P12ihipStream_tbDpT10_ENKUlT_T0_E_clISt17integral_constantIbLb0EES19_IbLb1EEEEDaS15_S16_EUlS15_E_NS1_11comp_targetILNS1_3genE8ELNS1_11target_archE1030ELNS1_3gpuE2ELNS1_3repE0EEENS1_30default_config_static_selectorELNS0_4arch9wavefront6targetE1EEEvT1_
		.amdhsa_group_segment_fixed_size 0
		.amdhsa_private_segment_fixed_size 0
		.amdhsa_kernarg_size 136
		.amdhsa_user_sgpr_count 2
		.amdhsa_user_sgpr_dispatch_ptr 0
		.amdhsa_user_sgpr_queue_ptr 0
		.amdhsa_user_sgpr_kernarg_segment_ptr 1
		.amdhsa_user_sgpr_dispatch_id 0
		.amdhsa_user_sgpr_kernarg_preload_length 0
		.amdhsa_user_sgpr_kernarg_preload_offset 0
		.amdhsa_user_sgpr_private_segment_size 0
		.amdhsa_uses_dynamic_stack 0
		.amdhsa_enable_private_segment 0
		.amdhsa_system_sgpr_workgroup_id_x 1
		.amdhsa_system_sgpr_workgroup_id_y 0
		.amdhsa_system_sgpr_workgroup_id_z 0
		.amdhsa_system_sgpr_workgroup_info 0
		.amdhsa_system_vgpr_workitem_id 0
		.amdhsa_next_free_vgpr 1
		.amdhsa_next_free_sgpr 0
		.amdhsa_accum_offset 4
		.amdhsa_reserve_vcc 0
		.amdhsa_float_round_mode_32 0
		.amdhsa_float_round_mode_16_64 0
		.amdhsa_float_denorm_mode_32 3
		.amdhsa_float_denorm_mode_16_64 3
		.amdhsa_dx10_clamp 1
		.amdhsa_ieee_mode 1
		.amdhsa_fp16_overflow 0
		.amdhsa_tg_split 0
		.amdhsa_exception_fp_ieee_invalid_op 0
		.amdhsa_exception_fp_denorm_src 0
		.amdhsa_exception_fp_ieee_div_zero 0
		.amdhsa_exception_fp_ieee_overflow 0
		.amdhsa_exception_fp_ieee_underflow 0
		.amdhsa_exception_fp_ieee_inexact 0
		.amdhsa_exception_int_div_zero 0
	.end_amdhsa_kernel
	.section	.text._ZN7rocprim17ROCPRIM_400000_NS6detail17trampoline_kernelINS0_14default_configENS1_25partition_config_selectorILNS1_17partition_subalgoE3EiNS0_10empty_typeEbEEZZNS1_14partition_implILS5_3ELb0ES3_jN6thrust23THRUST_200600_302600_NS6detail15normal_iteratorINSA_7pointerIiNSA_11hip_rocprim5par_tENSA_11use_defaultESG_EEEEPS6_SJ_NS0_5tupleIJPiSJ_EEENSK_IJSJ_SJ_EEES6_PlJ7is_evenIiEEEE10hipError_tPvRmT3_T4_T5_T6_T7_T9_mT8_P12ihipStream_tbDpT10_ENKUlT_T0_E_clISt17integral_constantIbLb0EES19_IbLb1EEEEDaS15_S16_EUlS15_E_NS1_11comp_targetILNS1_3genE8ELNS1_11target_archE1030ELNS1_3gpuE2ELNS1_3repE0EEENS1_30default_config_static_selectorELNS0_4arch9wavefront6targetE1EEEvT1_,"axG",@progbits,_ZN7rocprim17ROCPRIM_400000_NS6detail17trampoline_kernelINS0_14default_configENS1_25partition_config_selectorILNS1_17partition_subalgoE3EiNS0_10empty_typeEbEEZZNS1_14partition_implILS5_3ELb0ES3_jN6thrust23THRUST_200600_302600_NS6detail15normal_iteratorINSA_7pointerIiNSA_11hip_rocprim5par_tENSA_11use_defaultESG_EEEEPS6_SJ_NS0_5tupleIJPiSJ_EEENSK_IJSJ_SJ_EEES6_PlJ7is_evenIiEEEE10hipError_tPvRmT3_T4_T5_T6_T7_T9_mT8_P12ihipStream_tbDpT10_ENKUlT_T0_E_clISt17integral_constantIbLb0EES19_IbLb1EEEEDaS15_S16_EUlS15_E_NS1_11comp_targetILNS1_3genE8ELNS1_11target_archE1030ELNS1_3gpuE2ELNS1_3repE0EEENS1_30default_config_static_selectorELNS0_4arch9wavefront6targetE1EEEvT1_,comdat
.Lfunc_end3693:
	.size	_ZN7rocprim17ROCPRIM_400000_NS6detail17trampoline_kernelINS0_14default_configENS1_25partition_config_selectorILNS1_17partition_subalgoE3EiNS0_10empty_typeEbEEZZNS1_14partition_implILS5_3ELb0ES3_jN6thrust23THRUST_200600_302600_NS6detail15normal_iteratorINSA_7pointerIiNSA_11hip_rocprim5par_tENSA_11use_defaultESG_EEEEPS6_SJ_NS0_5tupleIJPiSJ_EEENSK_IJSJ_SJ_EEES6_PlJ7is_evenIiEEEE10hipError_tPvRmT3_T4_T5_T6_T7_T9_mT8_P12ihipStream_tbDpT10_ENKUlT_T0_E_clISt17integral_constantIbLb0EES19_IbLb1EEEEDaS15_S16_EUlS15_E_NS1_11comp_targetILNS1_3genE8ELNS1_11target_archE1030ELNS1_3gpuE2ELNS1_3repE0EEENS1_30default_config_static_selectorELNS0_4arch9wavefront6targetE1EEEvT1_, .Lfunc_end3693-_ZN7rocprim17ROCPRIM_400000_NS6detail17trampoline_kernelINS0_14default_configENS1_25partition_config_selectorILNS1_17partition_subalgoE3EiNS0_10empty_typeEbEEZZNS1_14partition_implILS5_3ELb0ES3_jN6thrust23THRUST_200600_302600_NS6detail15normal_iteratorINSA_7pointerIiNSA_11hip_rocprim5par_tENSA_11use_defaultESG_EEEEPS6_SJ_NS0_5tupleIJPiSJ_EEENSK_IJSJ_SJ_EEES6_PlJ7is_evenIiEEEE10hipError_tPvRmT3_T4_T5_T6_T7_T9_mT8_P12ihipStream_tbDpT10_ENKUlT_T0_E_clISt17integral_constantIbLb0EES19_IbLb1EEEEDaS15_S16_EUlS15_E_NS1_11comp_targetILNS1_3genE8ELNS1_11target_archE1030ELNS1_3gpuE2ELNS1_3repE0EEENS1_30default_config_static_selectorELNS0_4arch9wavefront6targetE1EEEvT1_
                                        ; -- End function
	.section	.AMDGPU.csdata,"",@progbits
; Kernel info:
; codeLenInByte = 0
; NumSgprs: 6
; NumVgprs: 0
; NumAgprs: 0
; TotalNumVgprs: 0
; ScratchSize: 0
; MemoryBound: 0
; FloatMode: 240
; IeeeMode: 1
; LDSByteSize: 0 bytes/workgroup (compile time only)
; SGPRBlocks: 0
; VGPRBlocks: 0
; NumSGPRsForWavesPerEU: 6
; NumVGPRsForWavesPerEU: 1
; AccumOffset: 4
; Occupancy: 8
; WaveLimiterHint : 0
; COMPUTE_PGM_RSRC2:SCRATCH_EN: 0
; COMPUTE_PGM_RSRC2:USER_SGPR: 2
; COMPUTE_PGM_RSRC2:TRAP_HANDLER: 0
; COMPUTE_PGM_RSRC2:TGID_X_EN: 1
; COMPUTE_PGM_RSRC2:TGID_Y_EN: 0
; COMPUTE_PGM_RSRC2:TGID_Z_EN: 0
; COMPUTE_PGM_RSRC2:TIDIG_COMP_CNT: 0
; COMPUTE_PGM_RSRC3_GFX90A:ACCUM_OFFSET: 0
; COMPUTE_PGM_RSRC3_GFX90A:TG_SPLIT: 0
	.section	.text._ZN7rocprim17ROCPRIM_400000_NS6detail17trampoline_kernelINS0_14default_configENS1_25partition_config_selectorILNS1_17partition_subalgoE0EiNS0_10empty_typeEbEEZZNS1_14partition_implILS5_0ELb0ES3_jN6thrust23THRUST_200600_302600_NS10device_ptrIiEEPS6_SD_NS0_5tupleIJSC_SC_EEENSE_IJSD_SD_EEES6_PlJ7is_evenIiEEEE10hipError_tPvRmT3_T4_T5_T6_T7_T9_mT8_P12ihipStream_tbDpT10_ENKUlT_T0_E_clISt17integral_constantIbLb0EES13_EEDaSY_SZ_EUlSY_E_NS1_11comp_targetILNS1_3genE0ELNS1_11target_archE4294967295ELNS1_3gpuE0ELNS1_3repE0EEENS1_30default_config_static_selectorELNS0_4arch9wavefront6targetE1EEEvT1_,"axG",@progbits,_ZN7rocprim17ROCPRIM_400000_NS6detail17trampoline_kernelINS0_14default_configENS1_25partition_config_selectorILNS1_17partition_subalgoE0EiNS0_10empty_typeEbEEZZNS1_14partition_implILS5_0ELb0ES3_jN6thrust23THRUST_200600_302600_NS10device_ptrIiEEPS6_SD_NS0_5tupleIJSC_SC_EEENSE_IJSD_SD_EEES6_PlJ7is_evenIiEEEE10hipError_tPvRmT3_T4_T5_T6_T7_T9_mT8_P12ihipStream_tbDpT10_ENKUlT_T0_E_clISt17integral_constantIbLb0EES13_EEDaSY_SZ_EUlSY_E_NS1_11comp_targetILNS1_3genE0ELNS1_11target_archE4294967295ELNS1_3gpuE0ELNS1_3repE0EEENS1_30default_config_static_selectorELNS0_4arch9wavefront6targetE1EEEvT1_,comdat
	.protected	_ZN7rocprim17ROCPRIM_400000_NS6detail17trampoline_kernelINS0_14default_configENS1_25partition_config_selectorILNS1_17partition_subalgoE0EiNS0_10empty_typeEbEEZZNS1_14partition_implILS5_0ELb0ES3_jN6thrust23THRUST_200600_302600_NS10device_ptrIiEEPS6_SD_NS0_5tupleIJSC_SC_EEENSE_IJSD_SD_EEES6_PlJ7is_evenIiEEEE10hipError_tPvRmT3_T4_T5_T6_T7_T9_mT8_P12ihipStream_tbDpT10_ENKUlT_T0_E_clISt17integral_constantIbLb0EES13_EEDaSY_SZ_EUlSY_E_NS1_11comp_targetILNS1_3genE0ELNS1_11target_archE4294967295ELNS1_3gpuE0ELNS1_3repE0EEENS1_30default_config_static_selectorELNS0_4arch9wavefront6targetE1EEEvT1_ ; -- Begin function _ZN7rocprim17ROCPRIM_400000_NS6detail17trampoline_kernelINS0_14default_configENS1_25partition_config_selectorILNS1_17partition_subalgoE0EiNS0_10empty_typeEbEEZZNS1_14partition_implILS5_0ELb0ES3_jN6thrust23THRUST_200600_302600_NS10device_ptrIiEEPS6_SD_NS0_5tupleIJSC_SC_EEENSE_IJSD_SD_EEES6_PlJ7is_evenIiEEEE10hipError_tPvRmT3_T4_T5_T6_T7_T9_mT8_P12ihipStream_tbDpT10_ENKUlT_T0_E_clISt17integral_constantIbLb0EES13_EEDaSY_SZ_EUlSY_E_NS1_11comp_targetILNS1_3genE0ELNS1_11target_archE4294967295ELNS1_3gpuE0ELNS1_3repE0EEENS1_30default_config_static_selectorELNS0_4arch9wavefront6targetE1EEEvT1_
	.globl	_ZN7rocprim17ROCPRIM_400000_NS6detail17trampoline_kernelINS0_14default_configENS1_25partition_config_selectorILNS1_17partition_subalgoE0EiNS0_10empty_typeEbEEZZNS1_14partition_implILS5_0ELb0ES3_jN6thrust23THRUST_200600_302600_NS10device_ptrIiEEPS6_SD_NS0_5tupleIJSC_SC_EEENSE_IJSD_SD_EEES6_PlJ7is_evenIiEEEE10hipError_tPvRmT3_T4_T5_T6_T7_T9_mT8_P12ihipStream_tbDpT10_ENKUlT_T0_E_clISt17integral_constantIbLb0EES13_EEDaSY_SZ_EUlSY_E_NS1_11comp_targetILNS1_3genE0ELNS1_11target_archE4294967295ELNS1_3gpuE0ELNS1_3repE0EEENS1_30default_config_static_selectorELNS0_4arch9wavefront6targetE1EEEvT1_
	.p2align	8
	.type	_ZN7rocprim17ROCPRIM_400000_NS6detail17trampoline_kernelINS0_14default_configENS1_25partition_config_selectorILNS1_17partition_subalgoE0EiNS0_10empty_typeEbEEZZNS1_14partition_implILS5_0ELb0ES3_jN6thrust23THRUST_200600_302600_NS10device_ptrIiEEPS6_SD_NS0_5tupleIJSC_SC_EEENSE_IJSD_SD_EEES6_PlJ7is_evenIiEEEE10hipError_tPvRmT3_T4_T5_T6_T7_T9_mT8_P12ihipStream_tbDpT10_ENKUlT_T0_E_clISt17integral_constantIbLb0EES13_EEDaSY_SZ_EUlSY_E_NS1_11comp_targetILNS1_3genE0ELNS1_11target_archE4294967295ELNS1_3gpuE0ELNS1_3repE0EEENS1_30default_config_static_selectorELNS0_4arch9wavefront6targetE1EEEvT1_,@function
_ZN7rocprim17ROCPRIM_400000_NS6detail17trampoline_kernelINS0_14default_configENS1_25partition_config_selectorILNS1_17partition_subalgoE0EiNS0_10empty_typeEbEEZZNS1_14partition_implILS5_0ELb0ES3_jN6thrust23THRUST_200600_302600_NS10device_ptrIiEEPS6_SD_NS0_5tupleIJSC_SC_EEENSE_IJSD_SD_EEES6_PlJ7is_evenIiEEEE10hipError_tPvRmT3_T4_T5_T6_T7_T9_mT8_P12ihipStream_tbDpT10_ENKUlT_T0_E_clISt17integral_constantIbLb0EES13_EEDaSY_SZ_EUlSY_E_NS1_11comp_targetILNS1_3genE0ELNS1_11target_archE4294967295ELNS1_3gpuE0ELNS1_3repE0EEENS1_30default_config_static_selectorELNS0_4arch9wavefront6targetE1EEEvT1_: ; @_ZN7rocprim17ROCPRIM_400000_NS6detail17trampoline_kernelINS0_14default_configENS1_25partition_config_selectorILNS1_17partition_subalgoE0EiNS0_10empty_typeEbEEZZNS1_14partition_implILS5_0ELb0ES3_jN6thrust23THRUST_200600_302600_NS10device_ptrIiEEPS6_SD_NS0_5tupleIJSC_SC_EEENSE_IJSD_SD_EEES6_PlJ7is_evenIiEEEE10hipError_tPvRmT3_T4_T5_T6_T7_T9_mT8_P12ihipStream_tbDpT10_ENKUlT_T0_E_clISt17integral_constantIbLb0EES13_EEDaSY_SZ_EUlSY_E_NS1_11comp_targetILNS1_3genE0ELNS1_11target_archE4294967295ELNS1_3gpuE0ELNS1_3repE0EEENS1_30default_config_static_selectorELNS0_4arch9wavefront6targetE1EEEvT1_
; %bb.0:
	.section	.rodata,"a",@progbits
	.p2align	6, 0x0
	.amdhsa_kernel _ZN7rocprim17ROCPRIM_400000_NS6detail17trampoline_kernelINS0_14default_configENS1_25partition_config_selectorILNS1_17partition_subalgoE0EiNS0_10empty_typeEbEEZZNS1_14partition_implILS5_0ELb0ES3_jN6thrust23THRUST_200600_302600_NS10device_ptrIiEEPS6_SD_NS0_5tupleIJSC_SC_EEENSE_IJSD_SD_EEES6_PlJ7is_evenIiEEEE10hipError_tPvRmT3_T4_T5_T6_T7_T9_mT8_P12ihipStream_tbDpT10_ENKUlT_T0_E_clISt17integral_constantIbLb0EES13_EEDaSY_SZ_EUlSY_E_NS1_11comp_targetILNS1_3genE0ELNS1_11target_archE4294967295ELNS1_3gpuE0ELNS1_3repE0EEENS1_30default_config_static_selectorELNS0_4arch9wavefront6targetE1EEEvT1_
		.amdhsa_group_segment_fixed_size 0
		.amdhsa_private_segment_fixed_size 0
		.amdhsa_kernarg_size 120
		.amdhsa_user_sgpr_count 2
		.amdhsa_user_sgpr_dispatch_ptr 0
		.amdhsa_user_sgpr_queue_ptr 0
		.amdhsa_user_sgpr_kernarg_segment_ptr 1
		.amdhsa_user_sgpr_dispatch_id 0
		.amdhsa_user_sgpr_kernarg_preload_length 0
		.amdhsa_user_sgpr_kernarg_preload_offset 0
		.amdhsa_user_sgpr_private_segment_size 0
		.amdhsa_uses_dynamic_stack 0
		.amdhsa_enable_private_segment 0
		.amdhsa_system_sgpr_workgroup_id_x 1
		.amdhsa_system_sgpr_workgroup_id_y 0
		.amdhsa_system_sgpr_workgroup_id_z 0
		.amdhsa_system_sgpr_workgroup_info 0
		.amdhsa_system_vgpr_workitem_id 0
		.amdhsa_next_free_vgpr 1
		.amdhsa_next_free_sgpr 0
		.amdhsa_accum_offset 4
		.amdhsa_reserve_vcc 0
		.amdhsa_float_round_mode_32 0
		.amdhsa_float_round_mode_16_64 0
		.amdhsa_float_denorm_mode_32 3
		.amdhsa_float_denorm_mode_16_64 3
		.amdhsa_dx10_clamp 1
		.amdhsa_ieee_mode 1
		.amdhsa_fp16_overflow 0
		.amdhsa_tg_split 0
		.amdhsa_exception_fp_ieee_invalid_op 0
		.amdhsa_exception_fp_denorm_src 0
		.amdhsa_exception_fp_ieee_div_zero 0
		.amdhsa_exception_fp_ieee_overflow 0
		.amdhsa_exception_fp_ieee_underflow 0
		.amdhsa_exception_fp_ieee_inexact 0
		.amdhsa_exception_int_div_zero 0
	.end_amdhsa_kernel
	.section	.text._ZN7rocprim17ROCPRIM_400000_NS6detail17trampoline_kernelINS0_14default_configENS1_25partition_config_selectorILNS1_17partition_subalgoE0EiNS0_10empty_typeEbEEZZNS1_14partition_implILS5_0ELb0ES3_jN6thrust23THRUST_200600_302600_NS10device_ptrIiEEPS6_SD_NS0_5tupleIJSC_SC_EEENSE_IJSD_SD_EEES6_PlJ7is_evenIiEEEE10hipError_tPvRmT3_T4_T5_T6_T7_T9_mT8_P12ihipStream_tbDpT10_ENKUlT_T0_E_clISt17integral_constantIbLb0EES13_EEDaSY_SZ_EUlSY_E_NS1_11comp_targetILNS1_3genE0ELNS1_11target_archE4294967295ELNS1_3gpuE0ELNS1_3repE0EEENS1_30default_config_static_selectorELNS0_4arch9wavefront6targetE1EEEvT1_,"axG",@progbits,_ZN7rocprim17ROCPRIM_400000_NS6detail17trampoline_kernelINS0_14default_configENS1_25partition_config_selectorILNS1_17partition_subalgoE0EiNS0_10empty_typeEbEEZZNS1_14partition_implILS5_0ELb0ES3_jN6thrust23THRUST_200600_302600_NS10device_ptrIiEEPS6_SD_NS0_5tupleIJSC_SC_EEENSE_IJSD_SD_EEES6_PlJ7is_evenIiEEEE10hipError_tPvRmT3_T4_T5_T6_T7_T9_mT8_P12ihipStream_tbDpT10_ENKUlT_T0_E_clISt17integral_constantIbLb0EES13_EEDaSY_SZ_EUlSY_E_NS1_11comp_targetILNS1_3genE0ELNS1_11target_archE4294967295ELNS1_3gpuE0ELNS1_3repE0EEENS1_30default_config_static_selectorELNS0_4arch9wavefront6targetE1EEEvT1_,comdat
.Lfunc_end3694:
	.size	_ZN7rocprim17ROCPRIM_400000_NS6detail17trampoline_kernelINS0_14default_configENS1_25partition_config_selectorILNS1_17partition_subalgoE0EiNS0_10empty_typeEbEEZZNS1_14partition_implILS5_0ELb0ES3_jN6thrust23THRUST_200600_302600_NS10device_ptrIiEEPS6_SD_NS0_5tupleIJSC_SC_EEENSE_IJSD_SD_EEES6_PlJ7is_evenIiEEEE10hipError_tPvRmT3_T4_T5_T6_T7_T9_mT8_P12ihipStream_tbDpT10_ENKUlT_T0_E_clISt17integral_constantIbLb0EES13_EEDaSY_SZ_EUlSY_E_NS1_11comp_targetILNS1_3genE0ELNS1_11target_archE4294967295ELNS1_3gpuE0ELNS1_3repE0EEENS1_30default_config_static_selectorELNS0_4arch9wavefront6targetE1EEEvT1_, .Lfunc_end3694-_ZN7rocprim17ROCPRIM_400000_NS6detail17trampoline_kernelINS0_14default_configENS1_25partition_config_selectorILNS1_17partition_subalgoE0EiNS0_10empty_typeEbEEZZNS1_14partition_implILS5_0ELb0ES3_jN6thrust23THRUST_200600_302600_NS10device_ptrIiEEPS6_SD_NS0_5tupleIJSC_SC_EEENSE_IJSD_SD_EEES6_PlJ7is_evenIiEEEE10hipError_tPvRmT3_T4_T5_T6_T7_T9_mT8_P12ihipStream_tbDpT10_ENKUlT_T0_E_clISt17integral_constantIbLb0EES13_EEDaSY_SZ_EUlSY_E_NS1_11comp_targetILNS1_3genE0ELNS1_11target_archE4294967295ELNS1_3gpuE0ELNS1_3repE0EEENS1_30default_config_static_selectorELNS0_4arch9wavefront6targetE1EEEvT1_
                                        ; -- End function
	.section	.AMDGPU.csdata,"",@progbits
; Kernel info:
; codeLenInByte = 0
; NumSgprs: 6
; NumVgprs: 0
; NumAgprs: 0
; TotalNumVgprs: 0
; ScratchSize: 0
; MemoryBound: 0
; FloatMode: 240
; IeeeMode: 1
; LDSByteSize: 0 bytes/workgroup (compile time only)
; SGPRBlocks: 0
; VGPRBlocks: 0
; NumSGPRsForWavesPerEU: 6
; NumVGPRsForWavesPerEU: 1
; AccumOffset: 4
; Occupancy: 8
; WaveLimiterHint : 0
; COMPUTE_PGM_RSRC2:SCRATCH_EN: 0
; COMPUTE_PGM_RSRC2:USER_SGPR: 2
; COMPUTE_PGM_RSRC2:TRAP_HANDLER: 0
; COMPUTE_PGM_RSRC2:TGID_X_EN: 1
; COMPUTE_PGM_RSRC2:TGID_Y_EN: 0
; COMPUTE_PGM_RSRC2:TGID_Z_EN: 0
; COMPUTE_PGM_RSRC2:TIDIG_COMP_CNT: 0
; COMPUTE_PGM_RSRC3_GFX90A:ACCUM_OFFSET: 0
; COMPUTE_PGM_RSRC3_GFX90A:TG_SPLIT: 0
	.section	.text._ZN7rocprim17ROCPRIM_400000_NS6detail17trampoline_kernelINS0_14default_configENS1_25partition_config_selectorILNS1_17partition_subalgoE0EiNS0_10empty_typeEbEEZZNS1_14partition_implILS5_0ELb0ES3_jN6thrust23THRUST_200600_302600_NS10device_ptrIiEEPS6_SD_NS0_5tupleIJSC_SC_EEENSE_IJSD_SD_EEES6_PlJ7is_evenIiEEEE10hipError_tPvRmT3_T4_T5_T6_T7_T9_mT8_P12ihipStream_tbDpT10_ENKUlT_T0_E_clISt17integral_constantIbLb0EES13_EEDaSY_SZ_EUlSY_E_NS1_11comp_targetILNS1_3genE5ELNS1_11target_archE942ELNS1_3gpuE9ELNS1_3repE0EEENS1_30default_config_static_selectorELNS0_4arch9wavefront6targetE1EEEvT1_,"axG",@progbits,_ZN7rocprim17ROCPRIM_400000_NS6detail17trampoline_kernelINS0_14default_configENS1_25partition_config_selectorILNS1_17partition_subalgoE0EiNS0_10empty_typeEbEEZZNS1_14partition_implILS5_0ELb0ES3_jN6thrust23THRUST_200600_302600_NS10device_ptrIiEEPS6_SD_NS0_5tupleIJSC_SC_EEENSE_IJSD_SD_EEES6_PlJ7is_evenIiEEEE10hipError_tPvRmT3_T4_T5_T6_T7_T9_mT8_P12ihipStream_tbDpT10_ENKUlT_T0_E_clISt17integral_constantIbLb0EES13_EEDaSY_SZ_EUlSY_E_NS1_11comp_targetILNS1_3genE5ELNS1_11target_archE942ELNS1_3gpuE9ELNS1_3repE0EEENS1_30default_config_static_selectorELNS0_4arch9wavefront6targetE1EEEvT1_,comdat
	.protected	_ZN7rocprim17ROCPRIM_400000_NS6detail17trampoline_kernelINS0_14default_configENS1_25partition_config_selectorILNS1_17partition_subalgoE0EiNS0_10empty_typeEbEEZZNS1_14partition_implILS5_0ELb0ES3_jN6thrust23THRUST_200600_302600_NS10device_ptrIiEEPS6_SD_NS0_5tupleIJSC_SC_EEENSE_IJSD_SD_EEES6_PlJ7is_evenIiEEEE10hipError_tPvRmT3_T4_T5_T6_T7_T9_mT8_P12ihipStream_tbDpT10_ENKUlT_T0_E_clISt17integral_constantIbLb0EES13_EEDaSY_SZ_EUlSY_E_NS1_11comp_targetILNS1_3genE5ELNS1_11target_archE942ELNS1_3gpuE9ELNS1_3repE0EEENS1_30default_config_static_selectorELNS0_4arch9wavefront6targetE1EEEvT1_ ; -- Begin function _ZN7rocprim17ROCPRIM_400000_NS6detail17trampoline_kernelINS0_14default_configENS1_25partition_config_selectorILNS1_17partition_subalgoE0EiNS0_10empty_typeEbEEZZNS1_14partition_implILS5_0ELb0ES3_jN6thrust23THRUST_200600_302600_NS10device_ptrIiEEPS6_SD_NS0_5tupleIJSC_SC_EEENSE_IJSD_SD_EEES6_PlJ7is_evenIiEEEE10hipError_tPvRmT3_T4_T5_T6_T7_T9_mT8_P12ihipStream_tbDpT10_ENKUlT_T0_E_clISt17integral_constantIbLb0EES13_EEDaSY_SZ_EUlSY_E_NS1_11comp_targetILNS1_3genE5ELNS1_11target_archE942ELNS1_3gpuE9ELNS1_3repE0EEENS1_30default_config_static_selectorELNS0_4arch9wavefront6targetE1EEEvT1_
	.globl	_ZN7rocprim17ROCPRIM_400000_NS6detail17trampoline_kernelINS0_14default_configENS1_25partition_config_selectorILNS1_17partition_subalgoE0EiNS0_10empty_typeEbEEZZNS1_14partition_implILS5_0ELb0ES3_jN6thrust23THRUST_200600_302600_NS10device_ptrIiEEPS6_SD_NS0_5tupleIJSC_SC_EEENSE_IJSD_SD_EEES6_PlJ7is_evenIiEEEE10hipError_tPvRmT3_T4_T5_T6_T7_T9_mT8_P12ihipStream_tbDpT10_ENKUlT_T0_E_clISt17integral_constantIbLb0EES13_EEDaSY_SZ_EUlSY_E_NS1_11comp_targetILNS1_3genE5ELNS1_11target_archE942ELNS1_3gpuE9ELNS1_3repE0EEENS1_30default_config_static_selectorELNS0_4arch9wavefront6targetE1EEEvT1_
	.p2align	8
	.type	_ZN7rocprim17ROCPRIM_400000_NS6detail17trampoline_kernelINS0_14default_configENS1_25partition_config_selectorILNS1_17partition_subalgoE0EiNS0_10empty_typeEbEEZZNS1_14partition_implILS5_0ELb0ES3_jN6thrust23THRUST_200600_302600_NS10device_ptrIiEEPS6_SD_NS0_5tupleIJSC_SC_EEENSE_IJSD_SD_EEES6_PlJ7is_evenIiEEEE10hipError_tPvRmT3_T4_T5_T6_T7_T9_mT8_P12ihipStream_tbDpT10_ENKUlT_T0_E_clISt17integral_constantIbLb0EES13_EEDaSY_SZ_EUlSY_E_NS1_11comp_targetILNS1_3genE5ELNS1_11target_archE942ELNS1_3gpuE9ELNS1_3repE0EEENS1_30default_config_static_selectorELNS0_4arch9wavefront6targetE1EEEvT1_,@function
_ZN7rocprim17ROCPRIM_400000_NS6detail17trampoline_kernelINS0_14default_configENS1_25partition_config_selectorILNS1_17partition_subalgoE0EiNS0_10empty_typeEbEEZZNS1_14partition_implILS5_0ELb0ES3_jN6thrust23THRUST_200600_302600_NS10device_ptrIiEEPS6_SD_NS0_5tupleIJSC_SC_EEENSE_IJSD_SD_EEES6_PlJ7is_evenIiEEEE10hipError_tPvRmT3_T4_T5_T6_T7_T9_mT8_P12ihipStream_tbDpT10_ENKUlT_T0_E_clISt17integral_constantIbLb0EES13_EEDaSY_SZ_EUlSY_E_NS1_11comp_targetILNS1_3genE5ELNS1_11target_archE942ELNS1_3gpuE9ELNS1_3repE0EEENS1_30default_config_static_selectorELNS0_4arch9wavefront6targetE1EEEvT1_: ; @_ZN7rocprim17ROCPRIM_400000_NS6detail17trampoline_kernelINS0_14default_configENS1_25partition_config_selectorILNS1_17partition_subalgoE0EiNS0_10empty_typeEbEEZZNS1_14partition_implILS5_0ELb0ES3_jN6thrust23THRUST_200600_302600_NS10device_ptrIiEEPS6_SD_NS0_5tupleIJSC_SC_EEENSE_IJSD_SD_EEES6_PlJ7is_evenIiEEEE10hipError_tPvRmT3_T4_T5_T6_T7_T9_mT8_P12ihipStream_tbDpT10_ENKUlT_T0_E_clISt17integral_constantIbLb0EES13_EEDaSY_SZ_EUlSY_E_NS1_11comp_targetILNS1_3genE5ELNS1_11target_archE942ELNS1_3gpuE9ELNS1_3repE0EEENS1_30default_config_static_selectorELNS0_4arch9wavefront6targetE1EEEvT1_
; %bb.0:
	s_load_dwordx2 s[4:5], s[0:1], 0x58
	s_load_dwordx4 s[20:23], s[0:1], 0x8
	s_load_dwordx4 s[24:27], s[0:1], 0x48
	s_load_dword s3, s[0:1], 0x70
	s_mul_i32 s8, s2, 0x1e00
	s_waitcnt lgkmcnt(0)
	v_mov_b32_e32 v3, s5
	s_lshl_b64 s[6:7], s[22:23], 2
	s_add_u32 s10, s20, s6
	s_addc_u32 s11, s21, s7
	s_add_i32 s6, s3, -1
	s_mulk_i32 s3, 0x1e00
	s_add_i32 s5, s3, s22
	s_sub_i32 s33, s4, s5
	s_addk_i32 s33, 0x1e00
	v_mov_b32_e32 v2, s4
	s_add_u32 s4, s22, s3
	s_addc_u32 s5, s23, 0
	s_cmp_eq_u32 s2, s6
	s_load_dwordx2 s[28:29], s[26:27], 0x0
	s_cselect_b64 s[26:27], -1, 0
	s_cmp_lg_u32 s2, s6
	s_mov_b32 s9, 0
	v_cmp_lt_u64_e32 vcc, s[4:5], v[2:3]
	s_cselect_b64 s[4:5], -1, 0
	s_or_b64 s[6:7], s[4:5], vcc
	s_lshl_b64 s[30:31], s[8:9], 2
	s_add_u32 s8, s10, s30
	s_addc_u32 s9, s11, s31
	s_mov_b64 s[4:5], -1
	s_and_b64 vcc, exec, s[6:7]
	v_lshlrev_b32_e32 v18, 2, v0
	s_cbranch_vccz .LBB3695_2
; %bb.1:
	v_mov_b32_e32 v19, 0
	v_lshl_add_u64 v[2:3], s[8:9], 0, v[18:19]
	v_add_co_u32_e32 v4, vcc, 0x1000, v2
	s_mov_b64 s[4:5], 0
	s_nop 0
	v_addc_co_u32_e32 v5, vcc, 0, v3, vcc
	v_add_co_u32_e32 v6, vcc, 0x2000, v2
	s_nop 1
	v_addc_co_u32_e32 v7, vcc, 0, v3, vcc
	v_add_co_u32_e32 v8, vcc, 0x3000, v2
	s_nop 1
	v_addc_co_u32_e32 v9, vcc, 0, v3, vcc
	flat_load_dword v1, v[2:3]
	flat_load_dword v10, v[2:3] offset:2048
	flat_load_dword v11, v[4:5]
	flat_load_dword v12, v[4:5] offset:2048
	flat_load_dword v13, v[6:7]
	flat_load_dword v14, v[6:7] offset:2048
	flat_load_dword v15, v[8:9]
	flat_load_dword v16, v[8:9] offset:2048
	v_add_co_u32_e32 v4, vcc, 0x4000, v2
	s_nop 1
	v_addc_co_u32_e32 v5, vcc, 0, v3, vcc
	v_add_co_u32_e32 v6, vcc, 0x5000, v2
	s_nop 1
	v_addc_co_u32_e32 v7, vcc, 0, v3, vcc
	v_add_co_u32_e32 v8, vcc, 0x6000, v2
	s_nop 1
	v_addc_co_u32_e32 v9, vcc, 0, v3, vcc
	v_add_co_u32_e32 v2, vcc, 0x7000, v2
	s_nop 1
	v_addc_co_u32_e32 v3, vcc, 0, v3, vcc
	flat_load_dword v17, v[4:5]
	flat_load_dword v19, v[4:5] offset:2048
	flat_load_dword v20, v[6:7]
	flat_load_dword v21, v[6:7] offset:2048
	flat_load_dword v22, v[8:9]
	flat_load_dword v23, v[8:9] offset:2048
	flat_load_dword v24, v[2:3]
	s_waitcnt vmcnt(0) lgkmcnt(0)
	ds_write2st64_b32 v18, v1, v10 offset1:8
	ds_write2st64_b32 v18, v11, v12 offset0:16 offset1:24
	ds_write2st64_b32 v18, v13, v14 offset0:32 offset1:40
	;; [unrolled: 1-line block ×6, first 2 shown]
	ds_write_b32 v18, v24 offset:28672
	s_waitcnt lgkmcnt(0)
	s_barrier
.LBB3695_2:
	s_andn2_b64 vcc, exec, s[4:5]
	v_cmp_gt_u32_e64 s[4:5], s33, v0
	s_cbranch_vccnz .LBB3695_34
; %bb.3:
                                        ; implicit-def: $vgpr2_vgpr3_vgpr4_vgpr5_vgpr6_vgpr7_vgpr8_vgpr9_vgpr10_vgpr11_vgpr12_vgpr13_vgpr14_vgpr15_vgpr16_vgpr17
	s_and_saveexec_b64 s[10:11], s[4:5]
	s_cbranch_execz .LBB3695_5
; %bb.4:
	v_mov_b32_e32 v19, 0
	v_lshl_add_u64 v[2:3], s[8:9], 0, v[18:19]
	flat_load_dword v2, v[2:3]
.LBB3695_5:
	s_or_b64 exec, exec, s[10:11]
	v_or_b32_e32 v1, 0x200, v0
	v_cmp_gt_u32_e32 vcc, s33, v1
	s_and_saveexec_b64 s[4:5], vcc
	s_cbranch_execz .LBB3695_7
; %bb.6:
	v_mov_b32_e32 v19, 0
	v_lshl_add_u64 v[20:21], s[8:9], 0, v[18:19]
	flat_load_dword v3, v[20:21] offset:2048
.LBB3695_7:
	s_or_b64 exec, exec, s[4:5]
	v_or_b32_e32 v1, 0x400, v0
	v_cmp_gt_u32_e32 vcc, s33, v1
	s_and_saveexec_b64 s[4:5], vcc
	s_cbranch_execz .LBB3695_9
; %bb.8:
	v_lshlrev_b32_e32 v20, 2, v1
	v_mov_b32_e32 v21, 0
	v_lshl_add_u64 v[20:21], s[8:9], 0, v[20:21]
	flat_load_dword v4, v[20:21]
.LBB3695_9:
	s_or_b64 exec, exec, s[4:5]
	v_or_b32_e32 v1, 0x600, v0
	v_cmp_gt_u32_e32 vcc, s33, v1
	s_and_saveexec_b64 s[4:5], vcc
	s_cbranch_execz .LBB3695_11
; %bb.10:
	v_lshlrev_b32_e32 v20, 2, v1
	v_mov_b32_e32 v21, 0
	v_lshl_add_u64 v[20:21], s[8:9], 0, v[20:21]
	flat_load_dword v5, v[20:21]
.LBB3695_11:
	;; [unrolled: 11-line block ×13, first 2 shown]
	s_or_b64 exec, exec, s[4:5]
	s_waitcnt vmcnt(0) lgkmcnt(0)
	ds_write2st64_b32 v18, v2, v3 offset1:8
	ds_write2st64_b32 v18, v4, v5 offset0:16 offset1:24
	ds_write2st64_b32 v18, v6, v7 offset0:32 offset1:40
	;; [unrolled: 1-line block ×6, first 2 shown]
	ds_write_b32 v18, v16 offset:28672
	s_waitcnt lgkmcnt(0)
	s_barrier
.LBB3695_34:
	v_mul_u32_u24_e32 v38, 15, v0
	v_lshlrev_b32_e32 v1, 2, v38
	s_waitcnt lgkmcnt(0)
	ds_read2_b32 v[32:33], v1 offset1:1
	ds_read2_b32 v[30:31], v1 offset0:2 offset1:3
	ds_read2_b32 v[28:29], v1 offset0:4 offset1:5
	;; [unrolled: 1-line block ×6, first 2 shown]
	ds_read_b32 v1, v1 offset:56
	v_cndmask_b32_e64 v2, 0, 1, s[6:7]
	v_cmp_ne_u32_e64 s[20:21], 1, v2
	s_andn2_b64 vcc, exec, s[6:7]
	s_waitcnt lgkmcnt(7)
	v_xor_b32_e32 v16, -1, v32
	v_xor_b32_e32 v15, -1, v33
	s_waitcnt lgkmcnt(6)
	v_xor_b32_e32 v14, -1, v30
	v_xor_b32_e32 v13, -1, v31
	s_waitcnt lgkmcnt(5)
	v_xor_b32_e32 v12, -1, v28
	v_xor_b32_e32 v11, -1, v29
	s_waitcnt lgkmcnt(4)
	v_xor_b32_e32 v10, -1, v26
	v_xor_b32_e32 v9, -1, v27
	s_waitcnt lgkmcnt(3)
	v_xor_b32_e32 v8, -1, v24
	v_xor_b32_e32 v7, -1, v25
	s_waitcnt lgkmcnt(2)
	v_xor_b32_e32 v6, -1, v22
	v_xor_b32_e32 v5, -1, v23
	s_waitcnt lgkmcnt(1)
	v_xor_b32_e32 v4, -1, v20
	v_xor_b32_e32 v3, -1, v21
	s_waitcnt lgkmcnt(0)
	v_xor_b32_e32 v2, -1, v1
	s_barrier
	s_cbranch_vccnz .LBB3695_36
; %bb.35:
	v_and_b32_e32 v51, 1, v16
	v_and_b32_e32 v50, 1, v15
	;; [unrolled: 1-line block ×15, first 2 shown]
	s_load_dwordx2 s[34:35], s[0:1], 0x68
	s_cbranch_execz .LBB3695_37
	s_branch .LBB3695_38
.LBB3695_36:
                                        ; implicit-def: $vgpr19
                                        ; implicit-def: $vgpr37
                                        ; implicit-def: $vgpr39
                                        ; implicit-def: $vgpr40
                                        ; implicit-def: $vgpr41
                                        ; implicit-def: $vgpr42
                                        ; implicit-def: $vgpr43
                                        ; implicit-def: $vgpr44
                                        ; implicit-def: $vgpr45
                                        ; implicit-def: $vgpr51
                                        ; implicit-def: $vgpr50
                                        ; implicit-def: $vgpr49
                                        ; implicit-def: $vgpr48
                                        ; implicit-def: $vgpr47
                                        ; implicit-def: $vgpr46
	s_load_dwordx2 s[34:35], s[0:1], 0x68
.LBB3695_37:
	v_add_u32_e32 v44, 1, v38
	v_cmp_gt_u32_e32 vcc, s33, v38
	v_add_u32_e32 v17, 2, v38
	v_add_u32_e32 v43, 3, v38
	v_cndmask_b32_e64 v45, 0, 1, vcc
	v_cmp_gt_u32_e32 vcc, s33, v44
	v_and_b32_e32 v51, v45, v16
	v_add_u32_e32 v19, 4, v38
	v_cndmask_b32_e64 v16, 0, 1, vcc
	v_cmp_gt_u32_e32 vcc, s33, v17
	v_and_b32_e32 v50, v16, v15
	;; [unrolled: 4-line block ×12, first 2 shown]
	s_nop 0
	v_cndmask_b32_e64 v5, 0, 1, vcc
	v_cmp_gt_u32_e32 vcc, s33, v53
	v_and_b32_e32 v39, v5, v4
	s_nop 0
	v_cndmask_b32_e64 v4, 0, 1, vcc
	v_cmp_gt_u32_e32 vcc, s33, v52
	v_and_b32_e32 v37, v4, v3
	s_nop 0
	v_cndmask_b32_e64 v3, 0, 1, vcc
	v_and_b32_e32 v19, v3, v2
.LBB3695_38:
	v_and_b32_e32 v55, 0xff, v48
	v_and_b32_e32 v56, 0xff, v47
	;; [unrolled: 1-line block ×5, first 2 shown]
	v_add3_u32 v3, v56, v57, v55
	v_and_b32_e32 v52, 0xff, v51
	v_and_b32_e32 v58, 0xff, v45
	v_add3_u32 v3, v3, v54, v53
	v_and_b32_e32 v59, 0xff, v44
	v_and_b32_e32 v60, 0xff, v43
	;; [unrolled: 3-line block ×5, first 2 shown]
	v_add3_u32 v3, v3, v63, v64
	v_add3_u32 v68, v3, v65, v2
	v_mbcnt_lo_u32_b32 v2, -1, 0
	v_mbcnt_hi_u32_b32 v66, -1, v2
	v_and_b32_e32 v2, 15, v66
	v_cmp_eq_u32_e64 s[16:17], 0, v2
	v_cmp_lt_u32_e64 s[14:15], 1, v2
	v_cmp_lt_u32_e64 s[12:13], 3, v2
	;; [unrolled: 1-line block ×3, first 2 shown]
	v_and_b32_e32 v2, 16, v66
	v_cmp_eq_u32_e64 s[8:9], 0, v2
	v_or_b32_e32 v2, 63, v0
	s_cmp_lg_u32 s2, 0
	v_cmp_lt_u32_e64 s[4:5], 31, v66
	v_lshrrev_b32_e32 v67, 6, v0
	v_cmp_eq_u32_e64 s[6:7], v2, v0
	s_cbranch_scc0 .LBB3695_65
; %bb.39:
	v_mov_b32_dpp v2, v68 row_shr:1 row_mask:0xf bank_mask:0xf
	v_cndmask_b32_e64 v2, v2, 0, s[16:17]
	v_add_u32_e32 v2, v2, v68
	s_nop 1
	v_mov_b32_dpp v3, v2 row_shr:2 row_mask:0xf bank_mask:0xf
	v_cndmask_b32_e64 v3, 0, v3, s[14:15]
	v_add_u32_e32 v2, v2, v3
	s_nop 1
	;; [unrolled: 4-line block ×4, first 2 shown]
	v_mov_b32_dpp v3, v2 row_bcast:15 row_mask:0xf bank_mask:0xf
	v_cndmask_b32_e64 v3, v3, 0, s[8:9]
	v_add_u32_e32 v2, v2, v3
	s_nop 1
	v_mov_b32_dpp v3, v2 row_bcast:31 row_mask:0xf bank_mask:0xf
	v_cndmask_b32_e64 v3, 0, v3, s[4:5]
	v_add_u32_e32 v2, v2, v3
	s_and_saveexec_b64 s[18:19], s[6:7]
	s_cbranch_execz .LBB3695_41
; %bb.40:
	v_lshlrev_b32_e32 v3, 2, v67
	ds_write_b32 v3, v2
.LBB3695_41:
	s_or_b64 exec, exec, s[18:19]
	v_cmp_gt_u32_e32 vcc, 8, v0
	s_waitcnt lgkmcnt(0)
	s_barrier
	s_and_saveexec_b64 s[18:19], vcc
	s_cbranch_execz .LBB3695_43
; %bb.42:
	ds_read_b32 v3, v18
	v_and_b32_e32 v4, 7, v66
	v_cmp_ne_u32_e32 vcc, 0, v4
	s_waitcnt lgkmcnt(0)
	v_mov_b32_dpp v5, v3 row_shr:1 row_mask:0xf bank_mask:0xf
	v_cndmask_b32_e32 v5, 0, v5, vcc
	v_add_u32_e32 v3, v5, v3
	v_cmp_lt_u32_e32 vcc, 1, v4
	s_nop 0
	v_mov_b32_dpp v5, v3 row_shr:2 row_mask:0xf bank_mask:0xf
	v_cndmask_b32_e32 v5, 0, v5, vcc
	v_add_u32_e32 v3, v3, v5
	v_cmp_lt_u32_e32 vcc, 3, v4
	s_nop 0
	v_mov_b32_dpp v5, v3 row_shr:4 row_mask:0xf bank_mask:0xf
	v_cndmask_b32_e32 v4, 0, v5, vcc
	v_add_u32_e32 v3, v3, v4
	ds_write_b32 v18, v3
.LBB3695_43:
	s_or_b64 exec, exec, s[18:19]
	v_cmp_gt_u32_e32 vcc, 64, v0
	v_cmp_lt_u32_e64 s[18:19], 63, v0
	s_waitcnt lgkmcnt(0)
	s_barrier
	s_waitcnt lgkmcnt(0)
                                        ; implicit-def: $vgpr12
	s_and_saveexec_b64 s[36:37], s[18:19]
	s_cbranch_execz .LBB3695_45
; %bb.44:
	v_lshl_add_u32 v3, v67, 2, -4
	ds_read_b32 v12, v3
	s_waitcnt lgkmcnt(0)
	v_add_u32_e32 v2, v12, v2
.LBB3695_45:
	s_or_b64 exec, exec, s[36:37]
	v_add_u32_e32 v3, -1, v66
	v_and_b32_e32 v4, 64, v66
	v_cmp_lt_i32_e64 s[18:19], v3, v4
	s_nop 1
	v_cndmask_b32_e64 v3, v3, v66, s[18:19]
	v_lshlrev_b32_e32 v3, 2, v3
	ds_bpermute_b32 v13, v3, v2
	v_cmp_eq_u32_e64 s[18:19], 0, v66
	s_and_saveexec_b64 s[36:37], vcc
	s_cbranch_execz .LBB3695_64
; %bb.46:
	v_mov_b32_e32 v9, 0
	ds_read_b32 v2, v9 offset:28
	s_and_saveexec_b64 s[38:39], s[18:19]
	s_cbranch_execz .LBB3695_48
; %bb.47:
	s_add_i32 s40, s2, 64
	s_mov_b32 s41, 0
	s_lshl_b64 s[40:41], s[40:41], 3
	s_add_u32 s40, s34, s40
	v_mov_b32_e32 v3, 1
	s_addc_u32 s41, s35, s41
	s_waitcnt lgkmcnt(0)
	global_store_dwordx2 v9, v[2:3], s[40:41] sc1
.LBB3695_48:
	s_or_b64 exec, exec, s[38:39]
	v_xad_u32 v4, v66, -1, s2
	v_add_u32_e32 v8, 64, v4
	v_lshl_add_u64 v[10:11], v[8:9], 3, s[34:35]
	global_load_dwordx2 v[6:7], v[10:11], off sc1
	s_waitcnt vmcnt(0)
	v_cmp_eq_u16_sdwa s[40:41], v7, v9 src0_sel:BYTE_0 src1_sel:DWORD
	s_and_saveexec_b64 s[38:39], s[40:41]
	s_cbranch_execz .LBB3695_52
; %bb.49:
	s_mov_b64 s[40:41], 0
	v_mov_b32_e32 v3, 0
.LBB3695_50:                            ; =>This Inner Loop Header: Depth=1
	global_load_dwordx2 v[6:7], v[10:11], off sc1
	s_waitcnt vmcnt(0)
	v_cmp_ne_u16_sdwa s[42:43], v7, v3 src0_sel:BYTE_0 src1_sel:DWORD
	s_or_b64 s[40:41], s[42:43], s[40:41]
	s_andn2_b64 exec, exec, s[40:41]
	s_cbranch_execnz .LBB3695_50
; %bb.51:
	s_or_b64 exec, exec, s[40:41]
.LBB3695_52:
	s_or_b64 exec, exec, s[38:39]
	v_and_b32_e32 v15, 63, v66
	v_mov_b32_e32 v14, 2
	v_cmp_ne_u32_e32 vcc, 63, v15
	v_cmp_eq_u16_sdwa s[38:39], v7, v14 src0_sel:BYTE_0 src1_sel:DWORD
	v_lshlrev_b64 v[8:9], v66, -1
	v_addc_co_u32_e32 v10, vcc, 0, v66, vcc
	v_and_b32_e32 v3, s39, v9
	v_lshlrev_b32_e32 v16, 2, v10
	v_or_b32_e32 v3, 0x80000000, v3
	ds_bpermute_b32 v10, v16, v6
	v_and_b32_e32 v5, s38, v8
	v_ffbl_b32_e32 v3, v3
	v_add_u32_e32 v3, 32, v3
	v_ffbl_b32_e32 v5, v5
	v_min_u32_e32 v3, v5, v3
	v_cmp_lt_u32_e32 vcc, v15, v3
	v_add_u32_e32 v34, 2, v15
	v_add_u32_e32 v36, 4, v15
	s_waitcnt lgkmcnt(0)
	v_cndmask_b32_e32 v5, 0, v10, vcc
	v_cmp_gt_u32_e32 vcc, 62, v15
	v_add_u32_e32 v5, v5, v6
	v_add_u32_e32 v70, 8, v15
	v_cndmask_b32_e64 v6, 0, 1, vcc
	v_lshlrev_b32_e32 v6, 1, v6
	v_add_lshl_u32 v17, v6, v66, 2
	ds_bpermute_b32 v6, v17, v5
	v_cmp_le_u32_e32 vcc, v34, v3
	v_add_u32_e32 v72, 16, v15
	v_add_u32_e32 v74, 32, v15
	s_waitcnt lgkmcnt(0)
	v_cndmask_b32_e32 v6, 0, v6, vcc
	v_cmp_gt_u32_e32 vcc, 60, v15
	v_add_u32_e32 v5, v5, v6
	s_nop 0
	v_cndmask_b32_e64 v6, 0, 1, vcc
	v_lshlrev_b32_e32 v6, 2, v6
	v_add_lshl_u32 v35, v6, v66, 2
	ds_bpermute_b32 v6, v35, v5
	v_cmp_le_u32_e32 vcc, v36, v3
	s_waitcnt lgkmcnt(0)
	s_nop 0
	v_cndmask_b32_e32 v6, 0, v6, vcc
	v_cmp_gt_u32_e32 vcc, 56, v15
	v_add_u32_e32 v5, v5, v6
	s_nop 0
	v_cndmask_b32_e64 v6, 0, 1, vcc
	v_lshlrev_b32_e32 v6, 3, v6
	v_add_lshl_u32 v69, v6, v66, 2
	ds_bpermute_b32 v6, v69, v5
	v_cmp_le_u32_e32 vcc, v70, v3
	s_waitcnt lgkmcnt(0)
	s_nop 0
	;; [unrolled: 11-line block ×4, first 2 shown]
	v_cndmask_b32_e32 v3, 0, v6, vcc
	v_add_u32_e32 v6, v5, v3
	v_mov_b32_e32 v5, 0
	s_branch .LBB3695_54
.LBB3695_53:                            ;   in Loop: Header=BB3695_54 Depth=1
	s_or_b64 exec, exec, s[38:39]
	v_cmp_eq_u16_sdwa s[38:39], v7, v14 src0_sel:BYTE_0 src1_sel:DWORD
	ds_bpermute_b32 v75, v16, v6
	v_subrev_u32_e32 v4, 64, v4
	v_and_b32_e32 v10, s39, v9
	v_or_b32_e32 v10, 0x80000000, v10
	v_and_b32_e32 v11, s38, v8
	v_ffbl_b32_e32 v10, v10
	v_add_u32_e32 v10, 32, v10
	v_ffbl_b32_e32 v11, v11
	v_min_u32_e32 v10, v11, v10
	v_cmp_lt_u32_e32 vcc, v15, v10
	s_waitcnt lgkmcnt(0)
	s_nop 0
	v_cndmask_b32_e32 v11, 0, v75, vcc
	v_add_u32_e32 v6, v11, v6
	ds_bpermute_b32 v11, v17, v6
	v_cmp_le_u32_e32 vcc, v34, v10
	s_waitcnt lgkmcnt(0)
	s_nop 0
	v_cndmask_b32_e32 v11, 0, v11, vcc
	v_add_u32_e32 v6, v6, v11
	ds_bpermute_b32 v11, v35, v6
	v_cmp_le_u32_e32 vcc, v36, v10
	;; [unrolled: 6-line block ×5, first 2 shown]
	s_waitcnt lgkmcnt(0)
	s_nop 0
	v_cndmask_b32_e32 v10, 0, v11, vcc
	v_add3_u32 v6, v10, v3, v6
.LBB3695_54:                            ; =>This Loop Header: Depth=1
                                        ;     Child Loop BB3695_57 Depth 2
	v_cmp_ne_u16_sdwa s[38:39], v7, v14 src0_sel:BYTE_0 src1_sel:DWORD
	s_nop 1
	v_cndmask_b32_e64 v3, 0, 1, s[38:39]
	;;#ASMSTART
	;;#ASMEND
	s_nop 0
	v_cmp_ne_u32_e32 vcc, 0, v3
	s_cmp_lg_u64 vcc, exec
	v_mov_b32_e32 v3, v6
	s_cbranch_scc1 .LBB3695_59
; %bb.55:                               ;   in Loop: Header=BB3695_54 Depth=1
	v_lshl_add_u64 v[10:11], v[4:5], 3, s[34:35]
	global_load_dwordx2 v[6:7], v[10:11], off sc1
	s_waitcnt vmcnt(0)
	v_cmp_eq_u16_sdwa s[40:41], v7, v5 src0_sel:BYTE_0 src1_sel:DWORD
	s_and_saveexec_b64 s[38:39], s[40:41]
	s_cbranch_execz .LBB3695_53
; %bb.56:                               ;   in Loop: Header=BB3695_54 Depth=1
	s_mov_b64 s[40:41], 0
.LBB3695_57:                            ;   Parent Loop BB3695_54 Depth=1
                                        ; =>  This Inner Loop Header: Depth=2
	global_load_dwordx2 v[6:7], v[10:11], off sc1
	s_waitcnt vmcnt(0)
	v_cmp_ne_u16_sdwa s[42:43], v7, v5 src0_sel:BYTE_0 src1_sel:DWORD
	s_or_b64 s[40:41], s[42:43], s[40:41]
	s_andn2_b64 exec, exec, s[40:41]
	s_cbranch_execnz .LBB3695_57
; %bb.58:                               ;   in Loop: Header=BB3695_54 Depth=1
	s_or_b64 exec, exec, s[40:41]
	s_branch .LBB3695_53
.LBB3695_59:                            ;   in Loop: Header=BB3695_54 Depth=1
                                        ; implicit-def: $vgpr6
                                        ; implicit-def: $vgpr7
	s_cbranch_execz .LBB3695_54
; %bb.60:
	s_and_saveexec_b64 s[38:39], s[18:19]
	s_cbranch_execz .LBB3695_62
; %bb.61:
	s_add_i32 s2, s2, 64
	s_mov_b32 s3, 0
	s_lshl_b64 s[2:3], s[2:3], 3
	s_add_u32 s2, s34, s2
	v_add_u32_e32 v4, v3, v2
	v_mov_b32_e32 v5, 2
	s_addc_u32 s3, s35, s3
	v_mov_b32_e32 v6, 0
	global_store_dwordx2 v6, v[4:5], s[2:3] sc1
	ds_write_b64 v6, v[2:3] offset:30720
.LBB3695_62:
	s_or_b64 exec, exec, s[38:39]
	v_cmp_eq_u32_e32 vcc, 0, v0
	s_and_b64 exec, exec, vcc
	s_cbranch_execz .LBB3695_64
; %bb.63:
	v_mov_b32_e32 v2, 0
	ds_write_b32 v2, v3 offset:28
.LBB3695_64:
	s_or_b64 exec, exec, s[36:37]
	v_mov_b32_e32 v14, 0
	s_waitcnt lgkmcnt(0)
	s_barrier
	ds_read_b32 v2, v14 offset:28
	v_cndmask_b32_e64 v3, v13, v12, s[18:19]
	v_cmp_ne_u32_e32 vcc, 0, v0
	s_waitcnt lgkmcnt(0)
	s_barrier
	v_cndmask_b32_e32 v3, 0, v3, vcc
	v_add_u32_e32 v2, v2, v3
	v_add_u32_e32 v3, v2, v52
	;; [unrolled: 1-line block ×10, first 2 shown]
	ds_read_b64 v[34:35], v14 offset:30720
	v_add_u32_e32 v12, v11, v61
	v_add_u32_e32 v13, v12, v62
	;; [unrolled: 1-line block ×5, first 2 shown]
	s_waitcnt lgkmcnt(0)
	v_mov_b32_e32 v36, v35
	s_branch .LBB3695_75
.LBB3695_65:
                                        ; implicit-def: $vgpr36
                                        ; implicit-def: $vgpr34
                                        ; implicit-def: $vgpr2_vgpr3_vgpr4_vgpr5_vgpr6_vgpr7_vgpr8_vgpr9_vgpr10_vgpr11_vgpr12_vgpr13_vgpr14_vgpr15_vgpr16_vgpr17
	s_cbranch_execz .LBB3695_75
; %bb.66:
	s_nop 0
	v_mov_b32_dpp v2, v68 row_shr:1 row_mask:0xf bank_mask:0xf
	v_cndmask_b32_e64 v2, v2, 0, s[16:17]
	v_add_u32_e32 v2, v2, v68
	s_nop 1
	v_mov_b32_dpp v3, v2 row_shr:2 row_mask:0xf bank_mask:0xf
	v_cndmask_b32_e64 v3, 0, v3, s[14:15]
	v_add_u32_e32 v2, v2, v3
	;; [unrolled: 4-line block ×4, first 2 shown]
	s_nop 1
	v_mov_b32_dpp v3, v2 row_bcast:15 row_mask:0xf bank_mask:0xf
	v_cndmask_b32_e64 v3, v3, 0, s[8:9]
	v_add_u32_e32 v2, v2, v3
	s_nop 1
	v_mov_b32_dpp v3, v2 row_bcast:31 row_mask:0xf bank_mask:0xf
	v_cndmask_b32_e64 v3, 0, v3, s[4:5]
	v_add_u32_e32 v2, v2, v3
	s_and_saveexec_b64 s[2:3], s[6:7]
	s_cbranch_execz .LBB3695_68
; %bb.67:
	v_lshlrev_b32_e32 v3, 2, v67
	ds_write_b32 v3, v2
.LBB3695_68:
	s_or_b64 exec, exec, s[2:3]
	v_cmp_gt_u32_e32 vcc, 8, v0
	s_waitcnt lgkmcnt(0)
	s_barrier
	s_and_saveexec_b64 s[2:3], vcc
	s_cbranch_execz .LBB3695_70
; %bb.69:
	ds_read_b32 v3, v18
	v_and_b32_e32 v4, 7, v66
	v_cmp_ne_u32_e32 vcc, 0, v4
	s_waitcnt lgkmcnt(0)
	v_mov_b32_dpp v5, v3 row_shr:1 row_mask:0xf bank_mask:0xf
	v_cndmask_b32_e32 v5, 0, v5, vcc
	v_add_u32_e32 v3, v5, v3
	v_cmp_lt_u32_e32 vcc, 1, v4
	s_nop 0
	v_mov_b32_dpp v5, v3 row_shr:2 row_mask:0xf bank_mask:0xf
	v_cndmask_b32_e32 v5, 0, v5, vcc
	v_add_u32_e32 v3, v3, v5
	v_cmp_lt_u32_e32 vcc, 3, v4
	s_nop 0
	v_mov_b32_dpp v5, v3 row_shr:4 row_mask:0xf bank_mask:0xf
	v_cndmask_b32_e32 v4, 0, v5, vcc
	v_add_u32_e32 v3, v3, v4
	ds_write_b32 v18, v3
.LBB3695_70:
	s_or_b64 exec, exec, s[2:3]
	v_cmp_lt_u32_e32 vcc, 63, v0
	v_mov_b32_e32 v4, 0
	v_mov_b32_e32 v3, 0
	s_waitcnt lgkmcnt(0)
	s_barrier
	s_and_saveexec_b64 s[2:3], vcc
	s_cbranch_execz .LBB3695_72
; %bb.71:
	v_lshl_add_u32 v3, v67, 2, -4
	ds_read_b32 v3, v3
.LBB3695_72:
	s_or_b64 exec, exec, s[2:3]
	v_add_u32_e32 v5, -1, v66
	v_and_b32_e32 v6, 64, v66
	v_cmp_lt_i32_e32 vcc, v5, v6
	s_waitcnt lgkmcnt(0)
	v_add_u32_e32 v2, v3, v2
	ds_read_b32 v34, v4 offset:28
	v_cndmask_b32_e32 v5, v5, v66, vcc
	v_lshlrev_b32_e32 v5, 2, v5
	ds_bpermute_b32 v2, v5, v2
	v_cmp_eq_u32_e32 vcc, 0, v0
	s_and_saveexec_b64 s[2:3], vcc
	s_cbranch_execz .LBB3695_74
; %bb.73:
	v_mov_b32_e32 v4, 0
	v_mov_b32_e32 v35, 2
	s_waitcnt lgkmcnt(1)
	global_store_dwordx2 v4, v[34:35], s[34:35] offset:512 sc1
.LBB3695_74:
	s_or_b64 exec, exec, s[2:3]
	v_cmp_eq_u32_e64 s[2:3], 0, v66
	v_mov_b32_e32 v36, 0
	s_waitcnt lgkmcnt(0)
	v_cndmask_b32_e64 v2, v2, v3, s[2:3]
	v_cndmask_b32_e64 v2, v2, 0, vcc
	v_add_u32_e32 v3, v2, v52
	v_add_u32_e32 v4, v3, v53
	;; [unrolled: 1-line block ×14, first 2 shown]
	s_barrier
.LBB3695_75:
	v_add_u32_e32 v17, v34, v38
	v_sub_u32_e32 v2, v2, v36
	v_and_b32_e32 v38, 1, v51
	v_sub_u32_e32 v35, v17, v2
	v_cmp_eq_u32_e32 vcc, 1, v38
	s_load_dwordx4 s[0:3], s[0:1], 0x28
	v_or_b32_e32 v38, 0x800, v0
	v_cndmask_b32_e32 v2, v35, v2, vcc
	v_lshlrev_b32_e32 v2, 2, v2
	ds_write_b32 v2, v32
	v_sub_u32_e32 v2, v3, v36
	v_sub_u32_e32 v3, v17, v2
	v_and_b32_e32 v32, 1, v50
	v_add_u32_e32 v3, 1, v3
	v_cmp_eq_u32_e32 vcc, 1, v32
	v_or_b32_e32 v32, 0xc00, v0
	s_nop 0
	v_cndmask_b32_e32 v2, v3, v2, vcc
	v_lshlrev_b32_e32 v2, 2, v2
	ds_write_b32 v2, v33
	v_sub_u32_e32 v2, v4, v36
	v_sub_u32_e32 v3, v17, v2
	v_and_b32_e32 v4, 1, v49
	v_add_u32_e32 v3, 2, v3
	v_cmp_eq_u32_e32 vcc, 1, v4
	v_and_b32_e32 v4, 1, v48
	v_or_b32_e32 v33, 0xa00, v0
	v_cndmask_b32_e32 v2, v3, v2, vcc
	v_lshlrev_b32_e32 v2, 2, v2
	ds_write_b32 v2, v30
	v_sub_u32_e32 v2, v5, v36
	v_sub_u32_e32 v3, v17, v2
	v_add_u32_e32 v3, 3, v3
	v_cmp_eq_u32_e32 vcc, 1, v4
	v_and_b32_e32 v4, 1, v47
	v_or_b32_e32 v30, 0x1000, v0
	v_cndmask_b32_e32 v2, v3, v2, vcc
	v_lshlrev_b32_e32 v2, 2, v2
	ds_write_b32 v2, v31
	v_sub_u32_e32 v2, v6, v36
	v_sub_u32_e32 v3, v17, v2
	;; [unrolled: 9-line block ×3, first 2 shown]
	v_add_u32_e32 v3, 5, v3
	v_cmp_eq_u32_e32 vcc, 1, v4
	v_and_b32_e32 v4, 1, v45
	v_mov_b32_e32 v7, s23
	v_cndmask_b32_e32 v2, v3, v2, vcc
	v_lshlrev_b32_e32 v2, 2, v2
	ds_write_b32 v2, v29
	v_sub_u32_e32 v2, v8, v36
	v_sub_u32_e32 v3, v17, v2
	v_add_u32_e32 v3, 6, v3
	v_cmp_eq_u32_e32 vcc, 1, v4
	v_and_b32_e32 v4, 1, v44
	v_or_b32_e32 v29, 0x1200, v0
	v_cndmask_b32_e32 v2, v3, v2, vcc
	v_lshlrev_b32_e32 v2, 2, v2
	ds_write_b32 v2, v26
	v_sub_u32_e32 v2, v9, v36
	v_sub_u32_e32 v3, v17, v2
	v_add_u32_e32 v3, 7, v3
	v_cmp_eq_u32_e32 vcc, 1, v4
	v_and_b32_e32 v4, 1, v43
	v_or_b32_e32 v28, 0x1400, v0
	;; [unrolled: 9-line block ×6, first 2 shown]
	v_cndmask_b32_e32 v2, v3, v2, vcc
	v_lshlrev_b32_e32 v2, 2, v2
	ds_write_b32 v2, v23
	v_sub_u32_e32 v2, v14, v36
	v_sub_u32_e32 v3, v17, v2
	v_add_u32_e32 v3, 12, v3
	v_cmp_eq_u32_e32 vcc, 1, v4
	v_and_b32_e32 v4, 1, v37
	v_mov_b32_e32 v37, 0
	v_cndmask_b32_e32 v2, v3, v2, vcc
	v_lshlrev_b32_e32 v2, 2, v2
	ds_write_b32 v2, v20
	v_sub_u32_e32 v2, v15, v36
	v_sub_u32_e32 v3, v17, v2
	v_add_u32_e32 v3, 13, v3
	v_cmp_eq_u32_e32 vcc, 1, v4
	v_and_b32_e32 v4, 1, v19
	v_lshl_add_u64 v[8:9], s[28:29], 0, v[36:37]
	v_cndmask_b32_e32 v2, v3, v2, vcc
	v_lshlrev_b32_e32 v2, 2, v2
	ds_write_b32 v2, v21
	v_sub_u32_e32 v2, v16, v36
	v_sub_u32_e32 v3, v17, v2
	v_add_u32_e32 v3, 14, v3
	v_cmp_eq_u32_e32 vcc, 1, v4
	v_mov_b32_e32 v35, v37
	v_or_b32_e32 v26, 0x1800, v0
	v_cndmask_b32_e32 v2, v3, v2, vcc
	v_lshlrev_b32_e32 v2, 2, v2
	ds_write_b32 v2, v1
	v_lshl_add_u64 v[2:3], v[8:9], 0, v[34:35]
	s_waitcnt lgkmcnt(0)
	s_barrier
	ds_read2st64_b32 v[22:23], v18 offset1:8
	ds_read2st64_b32 v[20:21], v18 offset0:16 offset1:24
	ds_read2st64_b32 v[16:17], v18 offset0:32 offset1:40
	;; [unrolled: 1-line block ×6, first 2 shown]
	ds_read_b32 v1, v18 offset:28672
	v_sub_co_u32_e32 v6, vcc, s22, v2
	v_lshlrev_b64 v[8:9], 2, v[8:9]
	s_nop 0
	v_subb_co_u32_e32 v7, vcc, v7, v3, vcc
	v_lshlrev_b64 v[6:7], 2, v[6:7]
	v_lshl_add_u64 v[6:7], s[2:3], 0, v[6:7]
	v_or_b32_e32 v25, 0x1a00, v0
	v_or_b32_e32 v24, 0x1c00, v0
	v_lshl_add_u64 v[6:7], v[6:7], 0, s[30:31]
	s_and_b64 vcc, exec, s[20:21]
	v_lshl_add_u64 v[8:9], s[0:1], 0, v[8:9]
	s_cbranch_vccnz .LBB3695_77
; %bb.76:
	v_cmp_gt_u32_e32 vcc, v34, v0
	v_mov_b32_e32 v19, v37
	v_lshlrev_b32_e32 v36, 2, v40
	v_cndmask_b32_e32 v43, v7, v9, vcc
	v_cndmask_b32_e32 v42, v6, v8, vcc
	v_lshl_add_u64 v[42:43], v[42:43], 0, v[18:19]
	v_cmp_lt_u32_e32 vcc, v41, v34
	s_waitcnt lgkmcnt(7)
	global_store_dword v[42:43], v22, off
	v_cndmask_b32_e32 v43, v7, v9, vcc
	v_cndmask_b32_e32 v42, v6, v8, vcc
	v_lshl_add_u64 v[42:43], v[42:43], 0, v[18:19]
	v_cmp_lt_u32_e32 vcc, v40, v34
	global_store_dword v[42:43], v23, off offset:2048
	s_mov_b64 s[0:1], -1
	v_cndmask_b32_e32 v43, v7, v9, vcc
	v_cndmask_b32_e32 v42, v6, v8, vcc
	v_lshl_add_u64 v[42:43], v[42:43], 0, v[36:37]
	v_cmp_lt_u32_e32 vcc, v39, v34
	s_waitcnt lgkmcnt(6)
	global_store_dword v[42:43], v20, off
	v_lshlrev_b32_e32 v36, 2, v39
	v_cndmask_b32_e32 v43, v7, v9, vcc
	v_cndmask_b32_e32 v42, v6, v8, vcc
	v_lshl_add_u64 v[42:43], v[42:43], 0, v[36:37]
	v_cmp_lt_u32_e32 vcc, v38, v34
	global_store_dword v[42:43], v21, off
	v_lshlrev_b32_e32 v36, 2, v38
	v_cndmask_b32_e32 v43, v7, v9, vcc
	v_cndmask_b32_e32 v42, v6, v8, vcc
	v_lshl_add_u64 v[42:43], v[42:43], 0, v[36:37]
	v_cmp_lt_u32_e32 vcc, v33, v34
	s_waitcnt lgkmcnt(5)
	global_store_dword v[42:43], v16, off
	v_lshlrev_b32_e32 v36, 2, v33
	v_cndmask_b32_e32 v43, v7, v9, vcc
	v_cndmask_b32_e32 v42, v6, v8, vcc
	v_lshl_add_u64 v[42:43], v[42:43], 0, v[36:37]
	v_cmp_lt_u32_e32 vcc, v32, v34
	global_store_dword v[42:43], v17, off
	v_lshlrev_b32_e32 v36, 2, v32
	;; [unrolled: 13-line block ×5, first 2 shown]
	v_cndmask_b32_e32 v43, v7, v9, vcc
	v_cndmask_b32_e32 v42, v6, v8, vcc
	v_lshl_add_u64 v[42:43], v[42:43], 0, v[36:37]
	v_cmp_lt_u32_e32 vcc, v25, v34
	s_waitcnt lgkmcnt(1)
	global_store_dword v[42:43], v4, off
	v_lshlrev_b32_e32 v36, 2, v25
	v_cndmask_b32_e32 v43, v7, v9, vcc
	v_cndmask_b32_e32 v42, v6, v8, vcc
	v_lshl_add_u64 v[36:37], v[42:43], 0, v[36:37]
	global_store_dword v[36:37], v5, off
	s_cbranch_execz .LBB3695_78
	s_branch .LBB3695_94
.LBB3695_77:
	s_mov_b64 s[0:1], 0
.LBB3695_78:
	v_cmp_gt_u32_e32 vcc, s33, v0
	s_and_saveexec_b64 s[0:1], vcc
	s_cbranch_execnz .LBB3695_99
; %bb.79:
	s_or_b64 exec, exec, s[0:1]
	v_cmp_gt_u32_e32 vcc, s33, v41
	s_and_saveexec_b64 s[0:1], vcc
	s_cbranch_execnz .LBB3695_100
.LBB3695_80:
	s_or_b64 exec, exec, s[0:1]
	v_cmp_gt_u32_e32 vcc, s33, v40
	s_and_saveexec_b64 s[0:1], vcc
	s_cbranch_execnz .LBB3695_101
.LBB3695_81:
	s_or_b64 exec, exec, s[0:1]
	v_cmp_gt_u32_e32 vcc, s33, v39
	s_and_saveexec_b64 s[0:1], vcc
	s_cbranch_execnz .LBB3695_102
.LBB3695_82:
	s_or_b64 exec, exec, s[0:1]
	v_cmp_gt_u32_e32 vcc, s33, v38
	s_and_saveexec_b64 s[0:1], vcc
	s_cbranch_execnz .LBB3695_103
.LBB3695_83:
	s_or_b64 exec, exec, s[0:1]
	v_cmp_gt_u32_e32 vcc, s33, v33
	s_and_saveexec_b64 s[0:1], vcc
	s_cbranch_execnz .LBB3695_104
.LBB3695_84:
	s_or_b64 exec, exec, s[0:1]
	v_cmp_gt_u32_e32 vcc, s33, v32
	s_and_saveexec_b64 s[0:1], vcc
	s_cbranch_execnz .LBB3695_105
.LBB3695_85:
	s_or_b64 exec, exec, s[0:1]
	v_cmp_gt_u32_e32 vcc, s33, v31
	s_and_saveexec_b64 s[0:1], vcc
	s_cbranch_execnz .LBB3695_106
.LBB3695_86:
	s_or_b64 exec, exec, s[0:1]
	v_cmp_gt_u32_e32 vcc, s33, v30
	s_and_saveexec_b64 s[0:1], vcc
	s_cbranch_execnz .LBB3695_107
.LBB3695_87:
	s_or_b64 exec, exec, s[0:1]
	v_cmp_gt_u32_e32 vcc, s33, v29
	s_and_saveexec_b64 s[0:1], vcc
	s_cbranch_execnz .LBB3695_108
.LBB3695_88:
	s_or_b64 exec, exec, s[0:1]
	v_cmp_gt_u32_e32 vcc, s33, v28
	s_and_saveexec_b64 s[0:1], vcc
	s_cbranch_execnz .LBB3695_109
.LBB3695_89:
	s_or_b64 exec, exec, s[0:1]
	v_cmp_gt_u32_e32 vcc, s33, v27
	s_and_saveexec_b64 s[0:1], vcc
	s_cbranch_execnz .LBB3695_110
.LBB3695_90:
	s_or_b64 exec, exec, s[0:1]
	v_cmp_gt_u32_e32 vcc, s33, v26
	s_and_saveexec_b64 s[0:1], vcc
	s_cbranch_execnz .LBB3695_111
.LBB3695_91:
	s_or_b64 exec, exec, s[0:1]
	v_cmp_gt_u32_e32 vcc, s33, v25
	s_and_saveexec_b64 s[0:1], vcc
	s_cbranch_execz .LBB3695_93
.LBB3695_92:
	v_cmp_lt_u32_e32 vcc, v25, v34
	s_waitcnt lgkmcnt(3)
	v_lshlrev_b32_e32 v12, 2, v25
	v_mov_b32_e32 v13, 0
	s_waitcnt lgkmcnt(2)
	v_cndmask_b32_e32 v11, v7, v9, vcc
	v_cndmask_b32_e32 v10, v6, v8, vcc
	v_lshl_add_u64 v[10:11], v[10:11], 0, v[12:13]
	s_waitcnt lgkmcnt(1)
	global_store_dword v[10:11], v5, off
.LBB3695_93:
	s_or_b64 exec, exec, s[0:1]
	v_cmp_gt_u32_e64 s[0:1], s33, v24
.LBB3695_94:
	s_and_saveexec_b64 s[2:3], s[0:1]
	s_cbranch_execz .LBB3695_96
; %bb.95:
	v_cmp_lt_u32_e32 vcc, v24, v34
	s_waitcnt lgkmcnt(1)
	s_nop 0
	v_cndmask_b32_e32 v5, v7, v9, vcc
	v_cndmask_b32_e32 v4, v6, v8, vcc
	v_lshlrev_b32_e32 v6, 2, v24
	v_mov_b32_e32 v7, 0
	v_lshl_add_u64 v[4:5], v[4:5], 0, v[6:7]
	s_waitcnt lgkmcnt(0)
	global_store_dword v[4:5], v1, off
.LBB3695_96:
	s_or_b64 exec, exec, s[2:3]
	v_cmp_eq_u32_e32 vcc, 0, v0
	s_and_b64 s[0:1], vcc, s[26:27]
	s_and_saveexec_b64 s[2:3], s[0:1]
	s_cbranch_execz .LBB3695_98
; %bb.97:
	v_mov_b32_e32 v0, 0
	global_store_dwordx2 v0, v[2:3], s[24:25]
.LBB3695_98:
	s_endpgm
.LBB3695_99:
	v_cmp_gt_u32_e32 vcc, v34, v0
	v_mov_b32_e32 v19, 0
	s_nop 0
	v_cndmask_b32_e32 v37, v7, v9, vcc
	v_cndmask_b32_e32 v36, v6, v8, vcc
	v_lshl_add_u64 v[36:37], v[36:37], 0, v[18:19]
	s_waitcnt lgkmcnt(7)
	global_store_dword v[36:37], v22, off
	s_or_b64 exec, exec, s[0:1]
	v_cmp_gt_u32_e32 vcc, s33, v41
	s_and_saveexec_b64 s[0:1], vcc
	s_cbranch_execz .LBB3695_80
.LBB3695_100:
	v_cmp_lt_u32_e32 vcc, v41, v34
	v_mov_b32_e32 v19, 0
	s_nop 0
	v_cndmask_b32_e32 v37, v7, v9, vcc
	v_cndmask_b32_e32 v36, v6, v8, vcc
	v_lshl_add_u64 v[18:19], v[36:37], 0, v[18:19]
	s_waitcnt lgkmcnt(7)
	global_store_dword v[18:19], v23, off offset:2048
	s_or_b64 exec, exec, s[0:1]
	v_cmp_gt_u32_e32 vcc, s33, v40
	s_and_saveexec_b64 s[0:1], vcc
	s_cbranch_execz .LBB3695_81
.LBB3695_101:
	v_cmp_lt_u32_e32 vcc, v40, v34
	s_waitcnt lgkmcnt(7)
	v_lshlrev_b32_e32 v22, 2, v40
	v_mov_b32_e32 v23, 0
	v_cndmask_b32_e32 v19, v7, v9, vcc
	v_cndmask_b32_e32 v18, v6, v8, vcc
	v_lshl_add_u64 v[18:19], v[18:19], 0, v[22:23]
	s_waitcnt lgkmcnt(6)
	global_store_dword v[18:19], v20, off
	s_or_b64 exec, exec, s[0:1]
	v_cmp_gt_u32_e32 vcc, s33, v39
	s_and_saveexec_b64 s[0:1], vcc
	s_cbranch_execz .LBB3695_82
.LBB3695_102:
	v_cmp_lt_u32_e32 vcc, v39, v34
	s_waitcnt lgkmcnt(7)
	v_lshlrev_b32_e32 v22, 2, v39
	v_mov_b32_e32 v23, 0
	v_cndmask_b32_e32 v19, v7, v9, vcc
	v_cndmask_b32_e32 v18, v6, v8, vcc
	v_lshl_add_u64 v[18:19], v[18:19], 0, v[22:23]
	s_waitcnt lgkmcnt(6)
	global_store_dword v[18:19], v21, off
	s_or_b64 exec, exec, s[0:1]
	v_cmp_gt_u32_e32 vcc, s33, v38
	s_and_saveexec_b64 s[0:1], vcc
	s_cbranch_execz .LBB3695_83
.LBB3695_103:
	v_cmp_lt_u32_e32 vcc, v38, v34
	s_waitcnt lgkmcnt(6)
	v_lshlrev_b32_e32 v20, 2, v38
	v_mov_b32_e32 v21, 0
	v_cndmask_b32_e32 v19, v7, v9, vcc
	v_cndmask_b32_e32 v18, v6, v8, vcc
	v_lshl_add_u64 v[18:19], v[18:19], 0, v[20:21]
	s_waitcnt lgkmcnt(5)
	global_store_dword v[18:19], v16, off
	s_or_b64 exec, exec, s[0:1]
	v_cmp_gt_u32_e32 vcc, s33, v33
	s_and_saveexec_b64 s[0:1], vcc
	s_cbranch_execz .LBB3695_84
.LBB3695_104:
	v_cmp_lt_u32_e32 vcc, v33, v34
	s_waitcnt lgkmcnt(6)
	v_lshlrev_b32_e32 v20, 2, v33
	v_mov_b32_e32 v21, 0
	v_cndmask_b32_e32 v19, v7, v9, vcc
	v_cndmask_b32_e32 v18, v6, v8, vcc
	v_lshl_add_u64 v[18:19], v[18:19], 0, v[20:21]
	s_waitcnt lgkmcnt(5)
	global_store_dword v[18:19], v17, off
	s_or_b64 exec, exec, s[0:1]
	v_cmp_gt_u32_e32 vcc, s33, v32
	s_and_saveexec_b64 s[0:1], vcc
	s_cbranch_execz .LBB3695_85
.LBB3695_105:
	v_cmp_lt_u32_e32 vcc, v32, v34
	v_lshlrev_b32_e32 v18, 2, v32
	v_mov_b32_e32 v19, 0
	s_waitcnt lgkmcnt(5)
	v_cndmask_b32_e32 v17, v7, v9, vcc
	v_cndmask_b32_e32 v16, v6, v8, vcc
	v_lshl_add_u64 v[16:17], v[16:17], 0, v[18:19]
	s_waitcnt lgkmcnt(4)
	global_store_dword v[16:17], v14, off
	s_or_b64 exec, exec, s[0:1]
	v_cmp_gt_u32_e32 vcc, s33, v31
	s_and_saveexec_b64 s[0:1], vcc
	s_cbranch_execz .LBB3695_86
.LBB3695_106:
	v_cmp_lt_u32_e32 vcc, v31, v34
	v_lshlrev_b32_e32 v18, 2, v31
	v_mov_b32_e32 v19, 0
	s_waitcnt lgkmcnt(5)
	v_cndmask_b32_e32 v17, v7, v9, vcc
	v_cndmask_b32_e32 v16, v6, v8, vcc
	v_lshl_add_u64 v[16:17], v[16:17], 0, v[18:19]
	s_waitcnt lgkmcnt(4)
	global_store_dword v[16:17], v15, off
	s_or_b64 exec, exec, s[0:1]
	v_cmp_gt_u32_e32 vcc, s33, v30
	s_and_saveexec_b64 s[0:1], vcc
	s_cbranch_execz .LBB3695_87
.LBB3695_107:
	v_cmp_lt_u32_e32 vcc, v30, v34
	s_waitcnt lgkmcnt(5)
	v_lshlrev_b32_e32 v16, 2, v30
	v_mov_b32_e32 v17, 0
	s_waitcnt lgkmcnt(4)
	v_cndmask_b32_e32 v15, v7, v9, vcc
	v_cndmask_b32_e32 v14, v6, v8, vcc
	v_lshl_add_u64 v[14:15], v[14:15], 0, v[16:17]
	s_waitcnt lgkmcnt(3)
	global_store_dword v[14:15], v12, off
	s_or_b64 exec, exec, s[0:1]
	v_cmp_gt_u32_e32 vcc, s33, v29
	s_and_saveexec_b64 s[0:1], vcc
	s_cbranch_execz .LBB3695_88
.LBB3695_108:
	v_cmp_lt_u32_e32 vcc, v29, v34
	s_waitcnt lgkmcnt(5)
	v_lshlrev_b32_e32 v16, 2, v29
	v_mov_b32_e32 v17, 0
	s_waitcnt lgkmcnt(4)
	v_cndmask_b32_e32 v15, v7, v9, vcc
	v_cndmask_b32_e32 v14, v6, v8, vcc
	v_lshl_add_u64 v[14:15], v[14:15], 0, v[16:17]
	s_waitcnt lgkmcnt(3)
	global_store_dword v[14:15], v13, off
	s_or_b64 exec, exec, s[0:1]
	v_cmp_gt_u32_e32 vcc, s33, v28
	s_and_saveexec_b64 s[0:1], vcc
	s_cbranch_execz .LBB3695_89
.LBB3695_109:
	v_cmp_lt_u32_e32 vcc, v28, v34
	s_waitcnt lgkmcnt(4)
	v_lshlrev_b32_e32 v14, 2, v28
	v_mov_b32_e32 v15, 0
	s_waitcnt lgkmcnt(3)
	v_cndmask_b32_e32 v13, v7, v9, vcc
	v_cndmask_b32_e32 v12, v6, v8, vcc
	v_lshl_add_u64 v[12:13], v[12:13], 0, v[14:15]
	s_waitcnt lgkmcnt(2)
	global_store_dword v[12:13], v10, off
	s_or_b64 exec, exec, s[0:1]
	v_cmp_gt_u32_e32 vcc, s33, v27
	s_and_saveexec_b64 s[0:1], vcc
	s_cbranch_execz .LBB3695_90
.LBB3695_110:
	v_cmp_lt_u32_e32 vcc, v27, v34
	s_waitcnt lgkmcnt(4)
	v_lshlrev_b32_e32 v14, 2, v27
	v_mov_b32_e32 v15, 0
	s_waitcnt lgkmcnt(3)
	v_cndmask_b32_e32 v13, v7, v9, vcc
	v_cndmask_b32_e32 v12, v6, v8, vcc
	v_lshl_add_u64 v[12:13], v[12:13], 0, v[14:15]
	s_waitcnt lgkmcnt(2)
	global_store_dword v[12:13], v11, off
	s_or_b64 exec, exec, s[0:1]
	v_cmp_gt_u32_e32 vcc, s33, v26
	s_and_saveexec_b64 s[0:1], vcc
	s_cbranch_execz .LBB3695_91
.LBB3695_111:
	v_cmp_lt_u32_e32 vcc, v26, v34
	s_waitcnt lgkmcnt(3)
	v_lshlrev_b32_e32 v12, 2, v26
	v_mov_b32_e32 v13, 0
	s_waitcnt lgkmcnt(2)
	v_cndmask_b32_e32 v11, v7, v9, vcc
	v_cndmask_b32_e32 v10, v6, v8, vcc
	v_lshl_add_u64 v[10:11], v[10:11], 0, v[12:13]
	s_waitcnt lgkmcnt(1)
	global_store_dword v[10:11], v4, off
	s_or_b64 exec, exec, s[0:1]
	v_cmp_gt_u32_e32 vcc, s33, v25
	s_and_saveexec_b64 s[0:1], vcc
	s_cbranch_execnz .LBB3695_92
	s_branch .LBB3695_93
	.section	.rodata,"a",@progbits
	.p2align	6, 0x0
	.amdhsa_kernel _ZN7rocprim17ROCPRIM_400000_NS6detail17trampoline_kernelINS0_14default_configENS1_25partition_config_selectorILNS1_17partition_subalgoE0EiNS0_10empty_typeEbEEZZNS1_14partition_implILS5_0ELb0ES3_jN6thrust23THRUST_200600_302600_NS10device_ptrIiEEPS6_SD_NS0_5tupleIJSC_SC_EEENSE_IJSD_SD_EEES6_PlJ7is_evenIiEEEE10hipError_tPvRmT3_T4_T5_T6_T7_T9_mT8_P12ihipStream_tbDpT10_ENKUlT_T0_E_clISt17integral_constantIbLb0EES13_EEDaSY_SZ_EUlSY_E_NS1_11comp_targetILNS1_3genE5ELNS1_11target_archE942ELNS1_3gpuE9ELNS1_3repE0EEENS1_30default_config_static_selectorELNS0_4arch9wavefront6targetE1EEEvT1_
		.amdhsa_group_segment_fixed_size 30728
		.amdhsa_private_segment_fixed_size 0
		.amdhsa_kernarg_size 120
		.amdhsa_user_sgpr_count 2
		.amdhsa_user_sgpr_dispatch_ptr 0
		.amdhsa_user_sgpr_queue_ptr 0
		.amdhsa_user_sgpr_kernarg_segment_ptr 1
		.amdhsa_user_sgpr_dispatch_id 0
		.amdhsa_user_sgpr_kernarg_preload_length 0
		.amdhsa_user_sgpr_kernarg_preload_offset 0
		.amdhsa_user_sgpr_private_segment_size 0
		.amdhsa_uses_dynamic_stack 0
		.amdhsa_enable_private_segment 0
		.amdhsa_system_sgpr_workgroup_id_x 1
		.amdhsa_system_sgpr_workgroup_id_y 0
		.amdhsa_system_sgpr_workgroup_id_z 0
		.amdhsa_system_sgpr_workgroup_info 0
		.amdhsa_system_vgpr_workitem_id 0
		.amdhsa_next_free_vgpr 76
		.amdhsa_next_free_sgpr 44
		.amdhsa_accum_offset 76
		.amdhsa_reserve_vcc 1
		.amdhsa_float_round_mode_32 0
		.amdhsa_float_round_mode_16_64 0
		.amdhsa_float_denorm_mode_32 3
		.amdhsa_float_denorm_mode_16_64 3
		.amdhsa_dx10_clamp 1
		.amdhsa_ieee_mode 1
		.amdhsa_fp16_overflow 0
		.amdhsa_tg_split 0
		.amdhsa_exception_fp_ieee_invalid_op 0
		.amdhsa_exception_fp_denorm_src 0
		.amdhsa_exception_fp_ieee_div_zero 0
		.amdhsa_exception_fp_ieee_overflow 0
		.amdhsa_exception_fp_ieee_underflow 0
		.amdhsa_exception_fp_ieee_inexact 0
		.amdhsa_exception_int_div_zero 0
	.end_amdhsa_kernel
	.section	.text._ZN7rocprim17ROCPRIM_400000_NS6detail17trampoline_kernelINS0_14default_configENS1_25partition_config_selectorILNS1_17partition_subalgoE0EiNS0_10empty_typeEbEEZZNS1_14partition_implILS5_0ELb0ES3_jN6thrust23THRUST_200600_302600_NS10device_ptrIiEEPS6_SD_NS0_5tupleIJSC_SC_EEENSE_IJSD_SD_EEES6_PlJ7is_evenIiEEEE10hipError_tPvRmT3_T4_T5_T6_T7_T9_mT8_P12ihipStream_tbDpT10_ENKUlT_T0_E_clISt17integral_constantIbLb0EES13_EEDaSY_SZ_EUlSY_E_NS1_11comp_targetILNS1_3genE5ELNS1_11target_archE942ELNS1_3gpuE9ELNS1_3repE0EEENS1_30default_config_static_selectorELNS0_4arch9wavefront6targetE1EEEvT1_,"axG",@progbits,_ZN7rocprim17ROCPRIM_400000_NS6detail17trampoline_kernelINS0_14default_configENS1_25partition_config_selectorILNS1_17partition_subalgoE0EiNS0_10empty_typeEbEEZZNS1_14partition_implILS5_0ELb0ES3_jN6thrust23THRUST_200600_302600_NS10device_ptrIiEEPS6_SD_NS0_5tupleIJSC_SC_EEENSE_IJSD_SD_EEES6_PlJ7is_evenIiEEEE10hipError_tPvRmT3_T4_T5_T6_T7_T9_mT8_P12ihipStream_tbDpT10_ENKUlT_T0_E_clISt17integral_constantIbLb0EES13_EEDaSY_SZ_EUlSY_E_NS1_11comp_targetILNS1_3genE5ELNS1_11target_archE942ELNS1_3gpuE9ELNS1_3repE0EEENS1_30default_config_static_selectorELNS0_4arch9wavefront6targetE1EEEvT1_,comdat
.Lfunc_end3695:
	.size	_ZN7rocprim17ROCPRIM_400000_NS6detail17trampoline_kernelINS0_14default_configENS1_25partition_config_selectorILNS1_17partition_subalgoE0EiNS0_10empty_typeEbEEZZNS1_14partition_implILS5_0ELb0ES3_jN6thrust23THRUST_200600_302600_NS10device_ptrIiEEPS6_SD_NS0_5tupleIJSC_SC_EEENSE_IJSD_SD_EEES6_PlJ7is_evenIiEEEE10hipError_tPvRmT3_T4_T5_T6_T7_T9_mT8_P12ihipStream_tbDpT10_ENKUlT_T0_E_clISt17integral_constantIbLb0EES13_EEDaSY_SZ_EUlSY_E_NS1_11comp_targetILNS1_3genE5ELNS1_11target_archE942ELNS1_3gpuE9ELNS1_3repE0EEENS1_30default_config_static_selectorELNS0_4arch9wavefront6targetE1EEEvT1_, .Lfunc_end3695-_ZN7rocprim17ROCPRIM_400000_NS6detail17trampoline_kernelINS0_14default_configENS1_25partition_config_selectorILNS1_17partition_subalgoE0EiNS0_10empty_typeEbEEZZNS1_14partition_implILS5_0ELb0ES3_jN6thrust23THRUST_200600_302600_NS10device_ptrIiEEPS6_SD_NS0_5tupleIJSC_SC_EEENSE_IJSD_SD_EEES6_PlJ7is_evenIiEEEE10hipError_tPvRmT3_T4_T5_T6_T7_T9_mT8_P12ihipStream_tbDpT10_ENKUlT_T0_E_clISt17integral_constantIbLb0EES13_EEDaSY_SZ_EUlSY_E_NS1_11comp_targetILNS1_3genE5ELNS1_11target_archE942ELNS1_3gpuE9ELNS1_3repE0EEENS1_30default_config_static_selectorELNS0_4arch9wavefront6targetE1EEEvT1_
                                        ; -- End function
	.section	.AMDGPU.csdata,"",@progbits
; Kernel info:
; codeLenInByte = 6620
; NumSgprs: 50
; NumVgprs: 76
; NumAgprs: 0
; TotalNumVgprs: 76
; ScratchSize: 0
; MemoryBound: 0
; FloatMode: 240
; IeeeMode: 1
; LDSByteSize: 30728 bytes/workgroup (compile time only)
; SGPRBlocks: 6
; VGPRBlocks: 9
; NumSGPRsForWavesPerEU: 50
; NumVGPRsForWavesPerEU: 76
; AccumOffset: 76
; Occupancy: 4
; WaveLimiterHint : 1
; COMPUTE_PGM_RSRC2:SCRATCH_EN: 0
; COMPUTE_PGM_RSRC2:USER_SGPR: 2
; COMPUTE_PGM_RSRC2:TRAP_HANDLER: 0
; COMPUTE_PGM_RSRC2:TGID_X_EN: 1
; COMPUTE_PGM_RSRC2:TGID_Y_EN: 0
; COMPUTE_PGM_RSRC2:TGID_Z_EN: 0
; COMPUTE_PGM_RSRC2:TIDIG_COMP_CNT: 0
; COMPUTE_PGM_RSRC3_GFX90A:ACCUM_OFFSET: 18
; COMPUTE_PGM_RSRC3_GFX90A:TG_SPLIT: 0
	.section	.text._ZN7rocprim17ROCPRIM_400000_NS6detail17trampoline_kernelINS0_14default_configENS1_25partition_config_selectorILNS1_17partition_subalgoE0EiNS0_10empty_typeEbEEZZNS1_14partition_implILS5_0ELb0ES3_jN6thrust23THRUST_200600_302600_NS10device_ptrIiEEPS6_SD_NS0_5tupleIJSC_SC_EEENSE_IJSD_SD_EEES6_PlJ7is_evenIiEEEE10hipError_tPvRmT3_T4_T5_T6_T7_T9_mT8_P12ihipStream_tbDpT10_ENKUlT_T0_E_clISt17integral_constantIbLb0EES13_EEDaSY_SZ_EUlSY_E_NS1_11comp_targetILNS1_3genE4ELNS1_11target_archE910ELNS1_3gpuE8ELNS1_3repE0EEENS1_30default_config_static_selectorELNS0_4arch9wavefront6targetE1EEEvT1_,"axG",@progbits,_ZN7rocprim17ROCPRIM_400000_NS6detail17trampoline_kernelINS0_14default_configENS1_25partition_config_selectorILNS1_17partition_subalgoE0EiNS0_10empty_typeEbEEZZNS1_14partition_implILS5_0ELb0ES3_jN6thrust23THRUST_200600_302600_NS10device_ptrIiEEPS6_SD_NS0_5tupleIJSC_SC_EEENSE_IJSD_SD_EEES6_PlJ7is_evenIiEEEE10hipError_tPvRmT3_T4_T5_T6_T7_T9_mT8_P12ihipStream_tbDpT10_ENKUlT_T0_E_clISt17integral_constantIbLb0EES13_EEDaSY_SZ_EUlSY_E_NS1_11comp_targetILNS1_3genE4ELNS1_11target_archE910ELNS1_3gpuE8ELNS1_3repE0EEENS1_30default_config_static_selectorELNS0_4arch9wavefront6targetE1EEEvT1_,comdat
	.protected	_ZN7rocprim17ROCPRIM_400000_NS6detail17trampoline_kernelINS0_14default_configENS1_25partition_config_selectorILNS1_17partition_subalgoE0EiNS0_10empty_typeEbEEZZNS1_14partition_implILS5_0ELb0ES3_jN6thrust23THRUST_200600_302600_NS10device_ptrIiEEPS6_SD_NS0_5tupleIJSC_SC_EEENSE_IJSD_SD_EEES6_PlJ7is_evenIiEEEE10hipError_tPvRmT3_T4_T5_T6_T7_T9_mT8_P12ihipStream_tbDpT10_ENKUlT_T0_E_clISt17integral_constantIbLb0EES13_EEDaSY_SZ_EUlSY_E_NS1_11comp_targetILNS1_3genE4ELNS1_11target_archE910ELNS1_3gpuE8ELNS1_3repE0EEENS1_30default_config_static_selectorELNS0_4arch9wavefront6targetE1EEEvT1_ ; -- Begin function _ZN7rocprim17ROCPRIM_400000_NS6detail17trampoline_kernelINS0_14default_configENS1_25partition_config_selectorILNS1_17partition_subalgoE0EiNS0_10empty_typeEbEEZZNS1_14partition_implILS5_0ELb0ES3_jN6thrust23THRUST_200600_302600_NS10device_ptrIiEEPS6_SD_NS0_5tupleIJSC_SC_EEENSE_IJSD_SD_EEES6_PlJ7is_evenIiEEEE10hipError_tPvRmT3_T4_T5_T6_T7_T9_mT8_P12ihipStream_tbDpT10_ENKUlT_T0_E_clISt17integral_constantIbLb0EES13_EEDaSY_SZ_EUlSY_E_NS1_11comp_targetILNS1_3genE4ELNS1_11target_archE910ELNS1_3gpuE8ELNS1_3repE0EEENS1_30default_config_static_selectorELNS0_4arch9wavefront6targetE1EEEvT1_
	.globl	_ZN7rocprim17ROCPRIM_400000_NS6detail17trampoline_kernelINS0_14default_configENS1_25partition_config_selectorILNS1_17partition_subalgoE0EiNS0_10empty_typeEbEEZZNS1_14partition_implILS5_0ELb0ES3_jN6thrust23THRUST_200600_302600_NS10device_ptrIiEEPS6_SD_NS0_5tupleIJSC_SC_EEENSE_IJSD_SD_EEES6_PlJ7is_evenIiEEEE10hipError_tPvRmT3_T4_T5_T6_T7_T9_mT8_P12ihipStream_tbDpT10_ENKUlT_T0_E_clISt17integral_constantIbLb0EES13_EEDaSY_SZ_EUlSY_E_NS1_11comp_targetILNS1_3genE4ELNS1_11target_archE910ELNS1_3gpuE8ELNS1_3repE0EEENS1_30default_config_static_selectorELNS0_4arch9wavefront6targetE1EEEvT1_
	.p2align	8
	.type	_ZN7rocprim17ROCPRIM_400000_NS6detail17trampoline_kernelINS0_14default_configENS1_25partition_config_selectorILNS1_17partition_subalgoE0EiNS0_10empty_typeEbEEZZNS1_14partition_implILS5_0ELb0ES3_jN6thrust23THRUST_200600_302600_NS10device_ptrIiEEPS6_SD_NS0_5tupleIJSC_SC_EEENSE_IJSD_SD_EEES6_PlJ7is_evenIiEEEE10hipError_tPvRmT3_T4_T5_T6_T7_T9_mT8_P12ihipStream_tbDpT10_ENKUlT_T0_E_clISt17integral_constantIbLb0EES13_EEDaSY_SZ_EUlSY_E_NS1_11comp_targetILNS1_3genE4ELNS1_11target_archE910ELNS1_3gpuE8ELNS1_3repE0EEENS1_30default_config_static_selectorELNS0_4arch9wavefront6targetE1EEEvT1_,@function
_ZN7rocprim17ROCPRIM_400000_NS6detail17trampoline_kernelINS0_14default_configENS1_25partition_config_selectorILNS1_17partition_subalgoE0EiNS0_10empty_typeEbEEZZNS1_14partition_implILS5_0ELb0ES3_jN6thrust23THRUST_200600_302600_NS10device_ptrIiEEPS6_SD_NS0_5tupleIJSC_SC_EEENSE_IJSD_SD_EEES6_PlJ7is_evenIiEEEE10hipError_tPvRmT3_T4_T5_T6_T7_T9_mT8_P12ihipStream_tbDpT10_ENKUlT_T0_E_clISt17integral_constantIbLb0EES13_EEDaSY_SZ_EUlSY_E_NS1_11comp_targetILNS1_3genE4ELNS1_11target_archE910ELNS1_3gpuE8ELNS1_3repE0EEENS1_30default_config_static_selectorELNS0_4arch9wavefront6targetE1EEEvT1_: ; @_ZN7rocprim17ROCPRIM_400000_NS6detail17trampoline_kernelINS0_14default_configENS1_25partition_config_selectorILNS1_17partition_subalgoE0EiNS0_10empty_typeEbEEZZNS1_14partition_implILS5_0ELb0ES3_jN6thrust23THRUST_200600_302600_NS10device_ptrIiEEPS6_SD_NS0_5tupleIJSC_SC_EEENSE_IJSD_SD_EEES6_PlJ7is_evenIiEEEE10hipError_tPvRmT3_T4_T5_T6_T7_T9_mT8_P12ihipStream_tbDpT10_ENKUlT_T0_E_clISt17integral_constantIbLb0EES13_EEDaSY_SZ_EUlSY_E_NS1_11comp_targetILNS1_3genE4ELNS1_11target_archE910ELNS1_3gpuE8ELNS1_3repE0EEENS1_30default_config_static_selectorELNS0_4arch9wavefront6targetE1EEEvT1_
; %bb.0:
	.section	.rodata,"a",@progbits
	.p2align	6, 0x0
	.amdhsa_kernel _ZN7rocprim17ROCPRIM_400000_NS6detail17trampoline_kernelINS0_14default_configENS1_25partition_config_selectorILNS1_17partition_subalgoE0EiNS0_10empty_typeEbEEZZNS1_14partition_implILS5_0ELb0ES3_jN6thrust23THRUST_200600_302600_NS10device_ptrIiEEPS6_SD_NS0_5tupleIJSC_SC_EEENSE_IJSD_SD_EEES6_PlJ7is_evenIiEEEE10hipError_tPvRmT3_T4_T5_T6_T7_T9_mT8_P12ihipStream_tbDpT10_ENKUlT_T0_E_clISt17integral_constantIbLb0EES13_EEDaSY_SZ_EUlSY_E_NS1_11comp_targetILNS1_3genE4ELNS1_11target_archE910ELNS1_3gpuE8ELNS1_3repE0EEENS1_30default_config_static_selectorELNS0_4arch9wavefront6targetE1EEEvT1_
		.amdhsa_group_segment_fixed_size 0
		.amdhsa_private_segment_fixed_size 0
		.amdhsa_kernarg_size 120
		.amdhsa_user_sgpr_count 2
		.amdhsa_user_sgpr_dispatch_ptr 0
		.amdhsa_user_sgpr_queue_ptr 0
		.amdhsa_user_sgpr_kernarg_segment_ptr 1
		.amdhsa_user_sgpr_dispatch_id 0
		.amdhsa_user_sgpr_kernarg_preload_length 0
		.amdhsa_user_sgpr_kernarg_preload_offset 0
		.amdhsa_user_sgpr_private_segment_size 0
		.amdhsa_uses_dynamic_stack 0
		.amdhsa_enable_private_segment 0
		.amdhsa_system_sgpr_workgroup_id_x 1
		.amdhsa_system_sgpr_workgroup_id_y 0
		.amdhsa_system_sgpr_workgroup_id_z 0
		.amdhsa_system_sgpr_workgroup_info 0
		.amdhsa_system_vgpr_workitem_id 0
		.amdhsa_next_free_vgpr 1
		.amdhsa_next_free_sgpr 0
		.amdhsa_accum_offset 4
		.amdhsa_reserve_vcc 0
		.amdhsa_float_round_mode_32 0
		.amdhsa_float_round_mode_16_64 0
		.amdhsa_float_denorm_mode_32 3
		.amdhsa_float_denorm_mode_16_64 3
		.amdhsa_dx10_clamp 1
		.amdhsa_ieee_mode 1
		.amdhsa_fp16_overflow 0
		.amdhsa_tg_split 0
		.amdhsa_exception_fp_ieee_invalid_op 0
		.amdhsa_exception_fp_denorm_src 0
		.amdhsa_exception_fp_ieee_div_zero 0
		.amdhsa_exception_fp_ieee_overflow 0
		.amdhsa_exception_fp_ieee_underflow 0
		.amdhsa_exception_fp_ieee_inexact 0
		.amdhsa_exception_int_div_zero 0
	.end_amdhsa_kernel
	.section	.text._ZN7rocprim17ROCPRIM_400000_NS6detail17trampoline_kernelINS0_14default_configENS1_25partition_config_selectorILNS1_17partition_subalgoE0EiNS0_10empty_typeEbEEZZNS1_14partition_implILS5_0ELb0ES3_jN6thrust23THRUST_200600_302600_NS10device_ptrIiEEPS6_SD_NS0_5tupleIJSC_SC_EEENSE_IJSD_SD_EEES6_PlJ7is_evenIiEEEE10hipError_tPvRmT3_T4_T5_T6_T7_T9_mT8_P12ihipStream_tbDpT10_ENKUlT_T0_E_clISt17integral_constantIbLb0EES13_EEDaSY_SZ_EUlSY_E_NS1_11comp_targetILNS1_3genE4ELNS1_11target_archE910ELNS1_3gpuE8ELNS1_3repE0EEENS1_30default_config_static_selectorELNS0_4arch9wavefront6targetE1EEEvT1_,"axG",@progbits,_ZN7rocprim17ROCPRIM_400000_NS6detail17trampoline_kernelINS0_14default_configENS1_25partition_config_selectorILNS1_17partition_subalgoE0EiNS0_10empty_typeEbEEZZNS1_14partition_implILS5_0ELb0ES3_jN6thrust23THRUST_200600_302600_NS10device_ptrIiEEPS6_SD_NS0_5tupleIJSC_SC_EEENSE_IJSD_SD_EEES6_PlJ7is_evenIiEEEE10hipError_tPvRmT3_T4_T5_T6_T7_T9_mT8_P12ihipStream_tbDpT10_ENKUlT_T0_E_clISt17integral_constantIbLb0EES13_EEDaSY_SZ_EUlSY_E_NS1_11comp_targetILNS1_3genE4ELNS1_11target_archE910ELNS1_3gpuE8ELNS1_3repE0EEENS1_30default_config_static_selectorELNS0_4arch9wavefront6targetE1EEEvT1_,comdat
.Lfunc_end3696:
	.size	_ZN7rocprim17ROCPRIM_400000_NS6detail17trampoline_kernelINS0_14default_configENS1_25partition_config_selectorILNS1_17partition_subalgoE0EiNS0_10empty_typeEbEEZZNS1_14partition_implILS5_0ELb0ES3_jN6thrust23THRUST_200600_302600_NS10device_ptrIiEEPS6_SD_NS0_5tupleIJSC_SC_EEENSE_IJSD_SD_EEES6_PlJ7is_evenIiEEEE10hipError_tPvRmT3_T4_T5_T6_T7_T9_mT8_P12ihipStream_tbDpT10_ENKUlT_T0_E_clISt17integral_constantIbLb0EES13_EEDaSY_SZ_EUlSY_E_NS1_11comp_targetILNS1_3genE4ELNS1_11target_archE910ELNS1_3gpuE8ELNS1_3repE0EEENS1_30default_config_static_selectorELNS0_4arch9wavefront6targetE1EEEvT1_, .Lfunc_end3696-_ZN7rocprim17ROCPRIM_400000_NS6detail17trampoline_kernelINS0_14default_configENS1_25partition_config_selectorILNS1_17partition_subalgoE0EiNS0_10empty_typeEbEEZZNS1_14partition_implILS5_0ELb0ES3_jN6thrust23THRUST_200600_302600_NS10device_ptrIiEEPS6_SD_NS0_5tupleIJSC_SC_EEENSE_IJSD_SD_EEES6_PlJ7is_evenIiEEEE10hipError_tPvRmT3_T4_T5_T6_T7_T9_mT8_P12ihipStream_tbDpT10_ENKUlT_T0_E_clISt17integral_constantIbLb0EES13_EEDaSY_SZ_EUlSY_E_NS1_11comp_targetILNS1_3genE4ELNS1_11target_archE910ELNS1_3gpuE8ELNS1_3repE0EEENS1_30default_config_static_selectorELNS0_4arch9wavefront6targetE1EEEvT1_
                                        ; -- End function
	.section	.AMDGPU.csdata,"",@progbits
; Kernel info:
; codeLenInByte = 0
; NumSgprs: 6
; NumVgprs: 0
; NumAgprs: 0
; TotalNumVgprs: 0
; ScratchSize: 0
; MemoryBound: 0
; FloatMode: 240
; IeeeMode: 1
; LDSByteSize: 0 bytes/workgroup (compile time only)
; SGPRBlocks: 0
; VGPRBlocks: 0
; NumSGPRsForWavesPerEU: 6
; NumVGPRsForWavesPerEU: 1
; AccumOffset: 4
; Occupancy: 8
; WaveLimiterHint : 0
; COMPUTE_PGM_RSRC2:SCRATCH_EN: 0
; COMPUTE_PGM_RSRC2:USER_SGPR: 2
; COMPUTE_PGM_RSRC2:TRAP_HANDLER: 0
; COMPUTE_PGM_RSRC2:TGID_X_EN: 1
; COMPUTE_PGM_RSRC2:TGID_Y_EN: 0
; COMPUTE_PGM_RSRC2:TGID_Z_EN: 0
; COMPUTE_PGM_RSRC2:TIDIG_COMP_CNT: 0
; COMPUTE_PGM_RSRC3_GFX90A:ACCUM_OFFSET: 0
; COMPUTE_PGM_RSRC3_GFX90A:TG_SPLIT: 0
	.section	.text._ZN7rocprim17ROCPRIM_400000_NS6detail17trampoline_kernelINS0_14default_configENS1_25partition_config_selectorILNS1_17partition_subalgoE0EiNS0_10empty_typeEbEEZZNS1_14partition_implILS5_0ELb0ES3_jN6thrust23THRUST_200600_302600_NS10device_ptrIiEEPS6_SD_NS0_5tupleIJSC_SC_EEENSE_IJSD_SD_EEES6_PlJ7is_evenIiEEEE10hipError_tPvRmT3_T4_T5_T6_T7_T9_mT8_P12ihipStream_tbDpT10_ENKUlT_T0_E_clISt17integral_constantIbLb0EES13_EEDaSY_SZ_EUlSY_E_NS1_11comp_targetILNS1_3genE3ELNS1_11target_archE908ELNS1_3gpuE7ELNS1_3repE0EEENS1_30default_config_static_selectorELNS0_4arch9wavefront6targetE1EEEvT1_,"axG",@progbits,_ZN7rocprim17ROCPRIM_400000_NS6detail17trampoline_kernelINS0_14default_configENS1_25partition_config_selectorILNS1_17partition_subalgoE0EiNS0_10empty_typeEbEEZZNS1_14partition_implILS5_0ELb0ES3_jN6thrust23THRUST_200600_302600_NS10device_ptrIiEEPS6_SD_NS0_5tupleIJSC_SC_EEENSE_IJSD_SD_EEES6_PlJ7is_evenIiEEEE10hipError_tPvRmT3_T4_T5_T6_T7_T9_mT8_P12ihipStream_tbDpT10_ENKUlT_T0_E_clISt17integral_constantIbLb0EES13_EEDaSY_SZ_EUlSY_E_NS1_11comp_targetILNS1_3genE3ELNS1_11target_archE908ELNS1_3gpuE7ELNS1_3repE0EEENS1_30default_config_static_selectorELNS0_4arch9wavefront6targetE1EEEvT1_,comdat
	.protected	_ZN7rocprim17ROCPRIM_400000_NS6detail17trampoline_kernelINS0_14default_configENS1_25partition_config_selectorILNS1_17partition_subalgoE0EiNS0_10empty_typeEbEEZZNS1_14partition_implILS5_0ELb0ES3_jN6thrust23THRUST_200600_302600_NS10device_ptrIiEEPS6_SD_NS0_5tupleIJSC_SC_EEENSE_IJSD_SD_EEES6_PlJ7is_evenIiEEEE10hipError_tPvRmT3_T4_T5_T6_T7_T9_mT8_P12ihipStream_tbDpT10_ENKUlT_T0_E_clISt17integral_constantIbLb0EES13_EEDaSY_SZ_EUlSY_E_NS1_11comp_targetILNS1_3genE3ELNS1_11target_archE908ELNS1_3gpuE7ELNS1_3repE0EEENS1_30default_config_static_selectorELNS0_4arch9wavefront6targetE1EEEvT1_ ; -- Begin function _ZN7rocprim17ROCPRIM_400000_NS6detail17trampoline_kernelINS0_14default_configENS1_25partition_config_selectorILNS1_17partition_subalgoE0EiNS0_10empty_typeEbEEZZNS1_14partition_implILS5_0ELb0ES3_jN6thrust23THRUST_200600_302600_NS10device_ptrIiEEPS6_SD_NS0_5tupleIJSC_SC_EEENSE_IJSD_SD_EEES6_PlJ7is_evenIiEEEE10hipError_tPvRmT3_T4_T5_T6_T7_T9_mT8_P12ihipStream_tbDpT10_ENKUlT_T0_E_clISt17integral_constantIbLb0EES13_EEDaSY_SZ_EUlSY_E_NS1_11comp_targetILNS1_3genE3ELNS1_11target_archE908ELNS1_3gpuE7ELNS1_3repE0EEENS1_30default_config_static_selectorELNS0_4arch9wavefront6targetE1EEEvT1_
	.globl	_ZN7rocprim17ROCPRIM_400000_NS6detail17trampoline_kernelINS0_14default_configENS1_25partition_config_selectorILNS1_17partition_subalgoE0EiNS0_10empty_typeEbEEZZNS1_14partition_implILS5_0ELb0ES3_jN6thrust23THRUST_200600_302600_NS10device_ptrIiEEPS6_SD_NS0_5tupleIJSC_SC_EEENSE_IJSD_SD_EEES6_PlJ7is_evenIiEEEE10hipError_tPvRmT3_T4_T5_T6_T7_T9_mT8_P12ihipStream_tbDpT10_ENKUlT_T0_E_clISt17integral_constantIbLb0EES13_EEDaSY_SZ_EUlSY_E_NS1_11comp_targetILNS1_3genE3ELNS1_11target_archE908ELNS1_3gpuE7ELNS1_3repE0EEENS1_30default_config_static_selectorELNS0_4arch9wavefront6targetE1EEEvT1_
	.p2align	8
	.type	_ZN7rocprim17ROCPRIM_400000_NS6detail17trampoline_kernelINS0_14default_configENS1_25partition_config_selectorILNS1_17partition_subalgoE0EiNS0_10empty_typeEbEEZZNS1_14partition_implILS5_0ELb0ES3_jN6thrust23THRUST_200600_302600_NS10device_ptrIiEEPS6_SD_NS0_5tupleIJSC_SC_EEENSE_IJSD_SD_EEES6_PlJ7is_evenIiEEEE10hipError_tPvRmT3_T4_T5_T6_T7_T9_mT8_P12ihipStream_tbDpT10_ENKUlT_T0_E_clISt17integral_constantIbLb0EES13_EEDaSY_SZ_EUlSY_E_NS1_11comp_targetILNS1_3genE3ELNS1_11target_archE908ELNS1_3gpuE7ELNS1_3repE0EEENS1_30default_config_static_selectorELNS0_4arch9wavefront6targetE1EEEvT1_,@function
_ZN7rocprim17ROCPRIM_400000_NS6detail17trampoline_kernelINS0_14default_configENS1_25partition_config_selectorILNS1_17partition_subalgoE0EiNS0_10empty_typeEbEEZZNS1_14partition_implILS5_0ELb0ES3_jN6thrust23THRUST_200600_302600_NS10device_ptrIiEEPS6_SD_NS0_5tupleIJSC_SC_EEENSE_IJSD_SD_EEES6_PlJ7is_evenIiEEEE10hipError_tPvRmT3_T4_T5_T6_T7_T9_mT8_P12ihipStream_tbDpT10_ENKUlT_T0_E_clISt17integral_constantIbLb0EES13_EEDaSY_SZ_EUlSY_E_NS1_11comp_targetILNS1_3genE3ELNS1_11target_archE908ELNS1_3gpuE7ELNS1_3repE0EEENS1_30default_config_static_selectorELNS0_4arch9wavefront6targetE1EEEvT1_: ; @_ZN7rocprim17ROCPRIM_400000_NS6detail17trampoline_kernelINS0_14default_configENS1_25partition_config_selectorILNS1_17partition_subalgoE0EiNS0_10empty_typeEbEEZZNS1_14partition_implILS5_0ELb0ES3_jN6thrust23THRUST_200600_302600_NS10device_ptrIiEEPS6_SD_NS0_5tupleIJSC_SC_EEENSE_IJSD_SD_EEES6_PlJ7is_evenIiEEEE10hipError_tPvRmT3_T4_T5_T6_T7_T9_mT8_P12ihipStream_tbDpT10_ENKUlT_T0_E_clISt17integral_constantIbLb0EES13_EEDaSY_SZ_EUlSY_E_NS1_11comp_targetILNS1_3genE3ELNS1_11target_archE908ELNS1_3gpuE7ELNS1_3repE0EEENS1_30default_config_static_selectorELNS0_4arch9wavefront6targetE1EEEvT1_
; %bb.0:
	.section	.rodata,"a",@progbits
	.p2align	6, 0x0
	.amdhsa_kernel _ZN7rocprim17ROCPRIM_400000_NS6detail17trampoline_kernelINS0_14default_configENS1_25partition_config_selectorILNS1_17partition_subalgoE0EiNS0_10empty_typeEbEEZZNS1_14partition_implILS5_0ELb0ES3_jN6thrust23THRUST_200600_302600_NS10device_ptrIiEEPS6_SD_NS0_5tupleIJSC_SC_EEENSE_IJSD_SD_EEES6_PlJ7is_evenIiEEEE10hipError_tPvRmT3_T4_T5_T6_T7_T9_mT8_P12ihipStream_tbDpT10_ENKUlT_T0_E_clISt17integral_constantIbLb0EES13_EEDaSY_SZ_EUlSY_E_NS1_11comp_targetILNS1_3genE3ELNS1_11target_archE908ELNS1_3gpuE7ELNS1_3repE0EEENS1_30default_config_static_selectorELNS0_4arch9wavefront6targetE1EEEvT1_
		.amdhsa_group_segment_fixed_size 0
		.amdhsa_private_segment_fixed_size 0
		.amdhsa_kernarg_size 120
		.amdhsa_user_sgpr_count 2
		.amdhsa_user_sgpr_dispatch_ptr 0
		.amdhsa_user_sgpr_queue_ptr 0
		.amdhsa_user_sgpr_kernarg_segment_ptr 1
		.amdhsa_user_sgpr_dispatch_id 0
		.amdhsa_user_sgpr_kernarg_preload_length 0
		.amdhsa_user_sgpr_kernarg_preload_offset 0
		.amdhsa_user_sgpr_private_segment_size 0
		.amdhsa_uses_dynamic_stack 0
		.amdhsa_enable_private_segment 0
		.amdhsa_system_sgpr_workgroup_id_x 1
		.amdhsa_system_sgpr_workgroup_id_y 0
		.amdhsa_system_sgpr_workgroup_id_z 0
		.amdhsa_system_sgpr_workgroup_info 0
		.amdhsa_system_vgpr_workitem_id 0
		.amdhsa_next_free_vgpr 1
		.amdhsa_next_free_sgpr 0
		.amdhsa_accum_offset 4
		.amdhsa_reserve_vcc 0
		.amdhsa_float_round_mode_32 0
		.amdhsa_float_round_mode_16_64 0
		.amdhsa_float_denorm_mode_32 3
		.amdhsa_float_denorm_mode_16_64 3
		.amdhsa_dx10_clamp 1
		.amdhsa_ieee_mode 1
		.amdhsa_fp16_overflow 0
		.amdhsa_tg_split 0
		.amdhsa_exception_fp_ieee_invalid_op 0
		.amdhsa_exception_fp_denorm_src 0
		.amdhsa_exception_fp_ieee_div_zero 0
		.amdhsa_exception_fp_ieee_overflow 0
		.amdhsa_exception_fp_ieee_underflow 0
		.amdhsa_exception_fp_ieee_inexact 0
		.amdhsa_exception_int_div_zero 0
	.end_amdhsa_kernel
	.section	.text._ZN7rocprim17ROCPRIM_400000_NS6detail17trampoline_kernelINS0_14default_configENS1_25partition_config_selectorILNS1_17partition_subalgoE0EiNS0_10empty_typeEbEEZZNS1_14partition_implILS5_0ELb0ES3_jN6thrust23THRUST_200600_302600_NS10device_ptrIiEEPS6_SD_NS0_5tupleIJSC_SC_EEENSE_IJSD_SD_EEES6_PlJ7is_evenIiEEEE10hipError_tPvRmT3_T4_T5_T6_T7_T9_mT8_P12ihipStream_tbDpT10_ENKUlT_T0_E_clISt17integral_constantIbLb0EES13_EEDaSY_SZ_EUlSY_E_NS1_11comp_targetILNS1_3genE3ELNS1_11target_archE908ELNS1_3gpuE7ELNS1_3repE0EEENS1_30default_config_static_selectorELNS0_4arch9wavefront6targetE1EEEvT1_,"axG",@progbits,_ZN7rocprim17ROCPRIM_400000_NS6detail17trampoline_kernelINS0_14default_configENS1_25partition_config_selectorILNS1_17partition_subalgoE0EiNS0_10empty_typeEbEEZZNS1_14partition_implILS5_0ELb0ES3_jN6thrust23THRUST_200600_302600_NS10device_ptrIiEEPS6_SD_NS0_5tupleIJSC_SC_EEENSE_IJSD_SD_EEES6_PlJ7is_evenIiEEEE10hipError_tPvRmT3_T4_T5_T6_T7_T9_mT8_P12ihipStream_tbDpT10_ENKUlT_T0_E_clISt17integral_constantIbLb0EES13_EEDaSY_SZ_EUlSY_E_NS1_11comp_targetILNS1_3genE3ELNS1_11target_archE908ELNS1_3gpuE7ELNS1_3repE0EEENS1_30default_config_static_selectorELNS0_4arch9wavefront6targetE1EEEvT1_,comdat
.Lfunc_end3697:
	.size	_ZN7rocprim17ROCPRIM_400000_NS6detail17trampoline_kernelINS0_14default_configENS1_25partition_config_selectorILNS1_17partition_subalgoE0EiNS0_10empty_typeEbEEZZNS1_14partition_implILS5_0ELb0ES3_jN6thrust23THRUST_200600_302600_NS10device_ptrIiEEPS6_SD_NS0_5tupleIJSC_SC_EEENSE_IJSD_SD_EEES6_PlJ7is_evenIiEEEE10hipError_tPvRmT3_T4_T5_T6_T7_T9_mT8_P12ihipStream_tbDpT10_ENKUlT_T0_E_clISt17integral_constantIbLb0EES13_EEDaSY_SZ_EUlSY_E_NS1_11comp_targetILNS1_3genE3ELNS1_11target_archE908ELNS1_3gpuE7ELNS1_3repE0EEENS1_30default_config_static_selectorELNS0_4arch9wavefront6targetE1EEEvT1_, .Lfunc_end3697-_ZN7rocprim17ROCPRIM_400000_NS6detail17trampoline_kernelINS0_14default_configENS1_25partition_config_selectorILNS1_17partition_subalgoE0EiNS0_10empty_typeEbEEZZNS1_14partition_implILS5_0ELb0ES3_jN6thrust23THRUST_200600_302600_NS10device_ptrIiEEPS6_SD_NS0_5tupleIJSC_SC_EEENSE_IJSD_SD_EEES6_PlJ7is_evenIiEEEE10hipError_tPvRmT3_T4_T5_T6_T7_T9_mT8_P12ihipStream_tbDpT10_ENKUlT_T0_E_clISt17integral_constantIbLb0EES13_EEDaSY_SZ_EUlSY_E_NS1_11comp_targetILNS1_3genE3ELNS1_11target_archE908ELNS1_3gpuE7ELNS1_3repE0EEENS1_30default_config_static_selectorELNS0_4arch9wavefront6targetE1EEEvT1_
                                        ; -- End function
	.section	.AMDGPU.csdata,"",@progbits
; Kernel info:
; codeLenInByte = 0
; NumSgprs: 6
; NumVgprs: 0
; NumAgprs: 0
; TotalNumVgprs: 0
; ScratchSize: 0
; MemoryBound: 0
; FloatMode: 240
; IeeeMode: 1
; LDSByteSize: 0 bytes/workgroup (compile time only)
; SGPRBlocks: 0
; VGPRBlocks: 0
; NumSGPRsForWavesPerEU: 6
; NumVGPRsForWavesPerEU: 1
; AccumOffset: 4
; Occupancy: 8
; WaveLimiterHint : 0
; COMPUTE_PGM_RSRC2:SCRATCH_EN: 0
; COMPUTE_PGM_RSRC2:USER_SGPR: 2
; COMPUTE_PGM_RSRC2:TRAP_HANDLER: 0
; COMPUTE_PGM_RSRC2:TGID_X_EN: 1
; COMPUTE_PGM_RSRC2:TGID_Y_EN: 0
; COMPUTE_PGM_RSRC2:TGID_Z_EN: 0
; COMPUTE_PGM_RSRC2:TIDIG_COMP_CNT: 0
; COMPUTE_PGM_RSRC3_GFX90A:ACCUM_OFFSET: 0
; COMPUTE_PGM_RSRC3_GFX90A:TG_SPLIT: 0
	.section	.text._ZN7rocprim17ROCPRIM_400000_NS6detail17trampoline_kernelINS0_14default_configENS1_25partition_config_selectorILNS1_17partition_subalgoE0EiNS0_10empty_typeEbEEZZNS1_14partition_implILS5_0ELb0ES3_jN6thrust23THRUST_200600_302600_NS10device_ptrIiEEPS6_SD_NS0_5tupleIJSC_SC_EEENSE_IJSD_SD_EEES6_PlJ7is_evenIiEEEE10hipError_tPvRmT3_T4_T5_T6_T7_T9_mT8_P12ihipStream_tbDpT10_ENKUlT_T0_E_clISt17integral_constantIbLb0EES13_EEDaSY_SZ_EUlSY_E_NS1_11comp_targetILNS1_3genE2ELNS1_11target_archE906ELNS1_3gpuE6ELNS1_3repE0EEENS1_30default_config_static_selectorELNS0_4arch9wavefront6targetE1EEEvT1_,"axG",@progbits,_ZN7rocprim17ROCPRIM_400000_NS6detail17trampoline_kernelINS0_14default_configENS1_25partition_config_selectorILNS1_17partition_subalgoE0EiNS0_10empty_typeEbEEZZNS1_14partition_implILS5_0ELb0ES3_jN6thrust23THRUST_200600_302600_NS10device_ptrIiEEPS6_SD_NS0_5tupleIJSC_SC_EEENSE_IJSD_SD_EEES6_PlJ7is_evenIiEEEE10hipError_tPvRmT3_T4_T5_T6_T7_T9_mT8_P12ihipStream_tbDpT10_ENKUlT_T0_E_clISt17integral_constantIbLb0EES13_EEDaSY_SZ_EUlSY_E_NS1_11comp_targetILNS1_3genE2ELNS1_11target_archE906ELNS1_3gpuE6ELNS1_3repE0EEENS1_30default_config_static_selectorELNS0_4arch9wavefront6targetE1EEEvT1_,comdat
	.protected	_ZN7rocprim17ROCPRIM_400000_NS6detail17trampoline_kernelINS0_14default_configENS1_25partition_config_selectorILNS1_17partition_subalgoE0EiNS0_10empty_typeEbEEZZNS1_14partition_implILS5_0ELb0ES3_jN6thrust23THRUST_200600_302600_NS10device_ptrIiEEPS6_SD_NS0_5tupleIJSC_SC_EEENSE_IJSD_SD_EEES6_PlJ7is_evenIiEEEE10hipError_tPvRmT3_T4_T5_T6_T7_T9_mT8_P12ihipStream_tbDpT10_ENKUlT_T0_E_clISt17integral_constantIbLb0EES13_EEDaSY_SZ_EUlSY_E_NS1_11comp_targetILNS1_3genE2ELNS1_11target_archE906ELNS1_3gpuE6ELNS1_3repE0EEENS1_30default_config_static_selectorELNS0_4arch9wavefront6targetE1EEEvT1_ ; -- Begin function _ZN7rocprim17ROCPRIM_400000_NS6detail17trampoline_kernelINS0_14default_configENS1_25partition_config_selectorILNS1_17partition_subalgoE0EiNS0_10empty_typeEbEEZZNS1_14partition_implILS5_0ELb0ES3_jN6thrust23THRUST_200600_302600_NS10device_ptrIiEEPS6_SD_NS0_5tupleIJSC_SC_EEENSE_IJSD_SD_EEES6_PlJ7is_evenIiEEEE10hipError_tPvRmT3_T4_T5_T6_T7_T9_mT8_P12ihipStream_tbDpT10_ENKUlT_T0_E_clISt17integral_constantIbLb0EES13_EEDaSY_SZ_EUlSY_E_NS1_11comp_targetILNS1_3genE2ELNS1_11target_archE906ELNS1_3gpuE6ELNS1_3repE0EEENS1_30default_config_static_selectorELNS0_4arch9wavefront6targetE1EEEvT1_
	.globl	_ZN7rocprim17ROCPRIM_400000_NS6detail17trampoline_kernelINS0_14default_configENS1_25partition_config_selectorILNS1_17partition_subalgoE0EiNS0_10empty_typeEbEEZZNS1_14partition_implILS5_0ELb0ES3_jN6thrust23THRUST_200600_302600_NS10device_ptrIiEEPS6_SD_NS0_5tupleIJSC_SC_EEENSE_IJSD_SD_EEES6_PlJ7is_evenIiEEEE10hipError_tPvRmT3_T4_T5_T6_T7_T9_mT8_P12ihipStream_tbDpT10_ENKUlT_T0_E_clISt17integral_constantIbLb0EES13_EEDaSY_SZ_EUlSY_E_NS1_11comp_targetILNS1_3genE2ELNS1_11target_archE906ELNS1_3gpuE6ELNS1_3repE0EEENS1_30default_config_static_selectorELNS0_4arch9wavefront6targetE1EEEvT1_
	.p2align	8
	.type	_ZN7rocprim17ROCPRIM_400000_NS6detail17trampoline_kernelINS0_14default_configENS1_25partition_config_selectorILNS1_17partition_subalgoE0EiNS0_10empty_typeEbEEZZNS1_14partition_implILS5_0ELb0ES3_jN6thrust23THRUST_200600_302600_NS10device_ptrIiEEPS6_SD_NS0_5tupleIJSC_SC_EEENSE_IJSD_SD_EEES6_PlJ7is_evenIiEEEE10hipError_tPvRmT3_T4_T5_T6_T7_T9_mT8_P12ihipStream_tbDpT10_ENKUlT_T0_E_clISt17integral_constantIbLb0EES13_EEDaSY_SZ_EUlSY_E_NS1_11comp_targetILNS1_3genE2ELNS1_11target_archE906ELNS1_3gpuE6ELNS1_3repE0EEENS1_30default_config_static_selectorELNS0_4arch9wavefront6targetE1EEEvT1_,@function
_ZN7rocprim17ROCPRIM_400000_NS6detail17trampoline_kernelINS0_14default_configENS1_25partition_config_selectorILNS1_17partition_subalgoE0EiNS0_10empty_typeEbEEZZNS1_14partition_implILS5_0ELb0ES3_jN6thrust23THRUST_200600_302600_NS10device_ptrIiEEPS6_SD_NS0_5tupleIJSC_SC_EEENSE_IJSD_SD_EEES6_PlJ7is_evenIiEEEE10hipError_tPvRmT3_T4_T5_T6_T7_T9_mT8_P12ihipStream_tbDpT10_ENKUlT_T0_E_clISt17integral_constantIbLb0EES13_EEDaSY_SZ_EUlSY_E_NS1_11comp_targetILNS1_3genE2ELNS1_11target_archE906ELNS1_3gpuE6ELNS1_3repE0EEENS1_30default_config_static_selectorELNS0_4arch9wavefront6targetE1EEEvT1_: ; @_ZN7rocprim17ROCPRIM_400000_NS6detail17trampoline_kernelINS0_14default_configENS1_25partition_config_selectorILNS1_17partition_subalgoE0EiNS0_10empty_typeEbEEZZNS1_14partition_implILS5_0ELb0ES3_jN6thrust23THRUST_200600_302600_NS10device_ptrIiEEPS6_SD_NS0_5tupleIJSC_SC_EEENSE_IJSD_SD_EEES6_PlJ7is_evenIiEEEE10hipError_tPvRmT3_T4_T5_T6_T7_T9_mT8_P12ihipStream_tbDpT10_ENKUlT_T0_E_clISt17integral_constantIbLb0EES13_EEDaSY_SZ_EUlSY_E_NS1_11comp_targetILNS1_3genE2ELNS1_11target_archE906ELNS1_3gpuE6ELNS1_3repE0EEENS1_30default_config_static_selectorELNS0_4arch9wavefront6targetE1EEEvT1_
; %bb.0:
	.section	.rodata,"a",@progbits
	.p2align	6, 0x0
	.amdhsa_kernel _ZN7rocprim17ROCPRIM_400000_NS6detail17trampoline_kernelINS0_14default_configENS1_25partition_config_selectorILNS1_17partition_subalgoE0EiNS0_10empty_typeEbEEZZNS1_14partition_implILS5_0ELb0ES3_jN6thrust23THRUST_200600_302600_NS10device_ptrIiEEPS6_SD_NS0_5tupleIJSC_SC_EEENSE_IJSD_SD_EEES6_PlJ7is_evenIiEEEE10hipError_tPvRmT3_T4_T5_T6_T7_T9_mT8_P12ihipStream_tbDpT10_ENKUlT_T0_E_clISt17integral_constantIbLb0EES13_EEDaSY_SZ_EUlSY_E_NS1_11comp_targetILNS1_3genE2ELNS1_11target_archE906ELNS1_3gpuE6ELNS1_3repE0EEENS1_30default_config_static_selectorELNS0_4arch9wavefront6targetE1EEEvT1_
		.amdhsa_group_segment_fixed_size 0
		.amdhsa_private_segment_fixed_size 0
		.amdhsa_kernarg_size 120
		.amdhsa_user_sgpr_count 2
		.amdhsa_user_sgpr_dispatch_ptr 0
		.amdhsa_user_sgpr_queue_ptr 0
		.amdhsa_user_sgpr_kernarg_segment_ptr 1
		.amdhsa_user_sgpr_dispatch_id 0
		.amdhsa_user_sgpr_kernarg_preload_length 0
		.amdhsa_user_sgpr_kernarg_preload_offset 0
		.amdhsa_user_sgpr_private_segment_size 0
		.amdhsa_uses_dynamic_stack 0
		.amdhsa_enable_private_segment 0
		.amdhsa_system_sgpr_workgroup_id_x 1
		.amdhsa_system_sgpr_workgroup_id_y 0
		.amdhsa_system_sgpr_workgroup_id_z 0
		.amdhsa_system_sgpr_workgroup_info 0
		.amdhsa_system_vgpr_workitem_id 0
		.amdhsa_next_free_vgpr 1
		.amdhsa_next_free_sgpr 0
		.amdhsa_accum_offset 4
		.amdhsa_reserve_vcc 0
		.amdhsa_float_round_mode_32 0
		.amdhsa_float_round_mode_16_64 0
		.amdhsa_float_denorm_mode_32 3
		.amdhsa_float_denorm_mode_16_64 3
		.amdhsa_dx10_clamp 1
		.amdhsa_ieee_mode 1
		.amdhsa_fp16_overflow 0
		.amdhsa_tg_split 0
		.amdhsa_exception_fp_ieee_invalid_op 0
		.amdhsa_exception_fp_denorm_src 0
		.amdhsa_exception_fp_ieee_div_zero 0
		.amdhsa_exception_fp_ieee_overflow 0
		.amdhsa_exception_fp_ieee_underflow 0
		.amdhsa_exception_fp_ieee_inexact 0
		.amdhsa_exception_int_div_zero 0
	.end_amdhsa_kernel
	.section	.text._ZN7rocprim17ROCPRIM_400000_NS6detail17trampoline_kernelINS0_14default_configENS1_25partition_config_selectorILNS1_17partition_subalgoE0EiNS0_10empty_typeEbEEZZNS1_14partition_implILS5_0ELb0ES3_jN6thrust23THRUST_200600_302600_NS10device_ptrIiEEPS6_SD_NS0_5tupleIJSC_SC_EEENSE_IJSD_SD_EEES6_PlJ7is_evenIiEEEE10hipError_tPvRmT3_T4_T5_T6_T7_T9_mT8_P12ihipStream_tbDpT10_ENKUlT_T0_E_clISt17integral_constantIbLb0EES13_EEDaSY_SZ_EUlSY_E_NS1_11comp_targetILNS1_3genE2ELNS1_11target_archE906ELNS1_3gpuE6ELNS1_3repE0EEENS1_30default_config_static_selectorELNS0_4arch9wavefront6targetE1EEEvT1_,"axG",@progbits,_ZN7rocprim17ROCPRIM_400000_NS6detail17trampoline_kernelINS0_14default_configENS1_25partition_config_selectorILNS1_17partition_subalgoE0EiNS0_10empty_typeEbEEZZNS1_14partition_implILS5_0ELb0ES3_jN6thrust23THRUST_200600_302600_NS10device_ptrIiEEPS6_SD_NS0_5tupleIJSC_SC_EEENSE_IJSD_SD_EEES6_PlJ7is_evenIiEEEE10hipError_tPvRmT3_T4_T5_T6_T7_T9_mT8_P12ihipStream_tbDpT10_ENKUlT_T0_E_clISt17integral_constantIbLb0EES13_EEDaSY_SZ_EUlSY_E_NS1_11comp_targetILNS1_3genE2ELNS1_11target_archE906ELNS1_3gpuE6ELNS1_3repE0EEENS1_30default_config_static_selectorELNS0_4arch9wavefront6targetE1EEEvT1_,comdat
.Lfunc_end3698:
	.size	_ZN7rocprim17ROCPRIM_400000_NS6detail17trampoline_kernelINS0_14default_configENS1_25partition_config_selectorILNS1_17partition_subalgoE0EiNS0_10empty_typeEbEEZZNS1_14partition_implILS5_0ELb0ES3_jN6thrust23THRUST_200600_302600_NS10device_ptrIiEEPS6_SD_NS0_5tupleIJSC_SC_EEENSE_IJSD_SD_EEES6_PlJ7is_evenIiEEEE10hipError_tPvRmT3_T4_T5_T6_T7_T9_mT8_P12ihipStream_tbDpT10_ENKUlT_T0_E_clISt17integral_constantIbLb0EES13_EEDaSY_SZ_EUlSY_E_NS1_11comp_targetILNS1_3genE2ELNS1_11target_archE906ELNS1_3gpuE6ELNS1_3repE0EEENS1_30default_config_static_selectorELNS0_4arch9wavefront6targetE1EEEvT1_, .Lfunc_end3698-_ZN7rocprim17ROCPRIM_400000_NS6detail17trampoline_kernelINS0_14default_configENS1_25partition_config_selectorILNS1_17partition_subalgoE0EiNS0_10empty_typeEbEEZZNS1_14partition_implILS5_0ELb0ES3_jN6thrust23THRUST_200600_302600_NS10device_ptrIiEEPS6_SD_NS0_5tupleIJSC_SC_EEENSE_IJSD_SD_EEES6_PlJ7is_evenIiEEEE10hipError_tPvRmT3_T4_T5_T6_T7_T9_mT8_P12ihipStream_tbDpT10_ENKUlT_T0_E_clISt17integral_constantIbLb0EES13_EEDaSY_SZ_EUlSY_E_NS1_11comp_targetILNS1_3genE2ELNS1_11target_archE906ELNS1_3gpuE6ELNS1_3repE0EEENS1_30default_config_static_selectorELNS0_4arch9wavefront6targetE1EEEvT1_
                                        ; -- End function
	.section	.AMDGPU.csdata,"",@progbits
; Kernel info:
; codeLenInByte = 0
; NumSgprs: 6
; NumVgprs: 0
; NumAgprs: 0
; TotalNumVgprs: 0
; ScratchSize: 0
; MemoryBound: 0
; FloatMode: 240
; IeeeMode: 1
; LDSByteSize: 0 bytes/workgroup (compile time only)
; SGPRBlocks: 0
; VGPRBlocks: 0
; NumSGPRsForWavesPerEU: 6
; NumVGPRsForWavesPerEU: 1
; AccumOffset: 4
; Occupancy: 8
; WaveLimiterHint : 0
; COMPUTE_PGM_RSRC2:SCRATCH_EN: 0
; COMPUTE_PGM_RSRC2:USER_SGPR: 2
; COMPUTE_PGM_RSRC2:TRAP_HANDLER: 0
; COMPUTE_PGM_RSRC2:TGID_X_EN: 1
; COMPUTE_PGM_RSRC2:TGID_Y_EN: 0
; COMPUTE_PGM_RSRC2:TGID_Z_EN: 0
; COMPUTE_PGM_RSRC2:TIDIG_COMP_CNT: 0
; COMPUTE_PGM_RSRC3_GFX90A:ACCUM_OFFSET: 0
; COMPUTE_PGM_RSRC3_GFX90A:TG_SPLIT: 0
	.section	.text._ZN7rocprim17ROCPRIM_400000_NS6detail17trampoline_kernelINS0_14default_configENS1_25partition_config_selectorILNS1_17partition_subalgoE0EiNS0_10empty_typeEbEEZZNS1_14partition_implILS5_0ELb0ES3_jN6thrust23THRUST_200600_302600_NS10device_ptrIiEEPS6_SD_NS0_5tupleIJSC_SC_EEENSE_IJSD_SD_EEES6_PlJ7is_evenIiEEEE10hipError_tPvRmT3_T4_T5_T6_T7_T9_mT8_P12ihipStream_tbDpT10_ENKUlT_T0_E_clISt17integral_constantIbLb0EES13_EEDaSY_SZ_EUlSY_E_NS1_11comp_targetILNS1_3genE10ELNS1_11target_archE1200ELNS1_3gpuE4ELNS1_3repE0EEENS1_30default_config_static_selectorELNS0_4arch9wavefront6targetE1EEEvT1_,"axG",@progbits,_ZN7rocprim17ROCPRIM_400000_NS6detail17trampoline_kernelINS0_14default_configENS1_25partition_config_selectorILNS1_17partition_subalgoE0EiNS0_10empty_typeEbEEZZNS1_14partition_implILS5_0ELb0ES3_jN6thrust23THRUST_200600_302600_NS10device_ptrIiEEPS6_SD_NS0_5tupleIJSC_SC_EEENSE_IJSD_SD_EEES6_PlJ7is_evenIiEEEE10hipError_tPvRmT3_T4_T5_T6_T7_T9_mT8_P12ihipStream_tbDpT10_ENKUlT_T0_E_clISt17integral_constantIbLb0EES13_EEDaSY_SZ_EUlSY_E_NS1_11comp_targetILNS1_3genE10ELNS1_11target_archE1200ELNS1_3gpuE4ELNS1_3repE0EEENS1_30default_config_static_selectorELNS0_4arch9wavefront6targetE1EEEvT1_,comdat
	.protected	_ZN7rocprim17ROCPRIM_400000_NS6detail17trampoline_kernelINS0_14default_configENS1_25partition_config_selectorILNS1_17partition_subalgoE0EiNS0_10empty_typeEbEEZZNS1_14partition_implILS5_0ELb0ES3_jN6thrust23THRUST_200600_302600_NS10device_ptrIiEEPS6_SD_NS0_5tupleIJSC_SC_EEENSE_IJSD_SD_EEES6_PlJ7is_evenIiEEEE10hipError_tPvRmT3_T4_T5_T6_T7_T9_mT8_P12ihipStream_tbDpT10_ENKUlT_T0_E_clISt17integral_constantIbLb0EES13_EEDaSY_SZ_EUlSY_E_NS1_11comp_targetILNS1_3genE10ELNS1_11target_archE1200ELNS1_3gpuE4ELNS1_3repE0EEENS1_30default_config_static_selectorELNS0_4arch9wavefront6targetE1EEEvT1_ ; -- Begin function _ZN7rocprim17ROCPRIM_400000_NS6detail17trampoline_kernelINS0_14default_configENS1_25partition_config_selectorILNS1_17partition_subalgoE0EiNS0_10empty_typeEbEEZZNS1_14partition_implILS5_0ELb0ES3_jN6thrust23THRUST_200600_302600_NS10device_ptrIiEEPS6_SD_NS0_5tupleIJSC_SC_EEENSE_IJSD_SD_EEES6_PlJ7is_evenIiEEEE10hipError_tPvRmT3_T4_T5_T6_T7_T9_mT8_P12ihipStream_tbDpT10_ENKUlT_T0_E_clISt17integral_constantIbLb0EES13_EEDaSY_SZ_EUlSY_E_NS1_11comp_targetILNS1_3genE10ELNS1_11target_archE1200ELNS1_3gpuE4ELNS1_3repE0EEENS1_30default_config_static_selectorELNS0_4arch9wavefront6targetE1EEEvT1_
	.globl	_ZN7rocprim17ROCPRIM_400000_NS6detail17trampoline_kernelINS0_14default_configENS1_25partition_config_selectorILNS1_17partition_subalgoE0EiNS0_10empty_typeEbEEZZNS1_14partition_implILS5_0ELb0ES3_jN6thrust23THRUST_200600_302600_NS10device_ptrIiEEPS6_SD_NS0_5tupleIJSC_SC_EEENSE_IJSD_SD_EEES6_PlJ7is_evenIiEEEE10hipError_tPvRmT3_T4_T5_T6_T7_T9_mT8_P12ihipStream_tbDpT10_ENKUlT_T0_E_clISt17integral_constantIbLb0EES13_EEDaSY_SZ_EUlSY_E_NS1_11comp_targetILNS1_3genE10ELNS1_11target_archE1200ELNS1_3gpuE4ELNS1_3repE0EEENS1_30default_config_static_selectorELNS0_4arch9wavefront6targetE1EEEvT1_
	.p2align	8
	.type	_ZN7rocprim17ROCPRIM_400000_NS6detail17trampoline_kernelINS0_14default_configENS1_25partition_config_selectorILNS1_17partition_subalgoE0EiNS0_10empty_typeEbEEZZNS1_14partition_implILS5_0ELb0ES3_jN6thrust23THRUST_200600_302600_NS10device_ptrIiEEPS6_SD_NS0_5tupleIJSC_SC_EEENSE_IJSD_SD_EEES6_PlJ7is_evenIiEEEE10hipError_tPvRmT3_T4_T5_T6_T7_T9_mT8_P12ihipStream_tbDpT10_ENKUlT_T0_E_clISt17integral_constantIbLb0EES13_EEDaSY_SZ_EUlSY_E_NS1_11comp_targetILNS1_3genE10ELNS1_11target_archE1200ELNS1_3gpuE4ELNS1_3repE0EEENS1_30default_config_static_selectorELNS0_4arch9wavefront6targetE1EEEvT1_,@function
_ZN7rocprim17ROCPRIM_400000_NS6detail17trampoline_kernelINS0_14default_configENS1_25partition_config_selectorILNS1_17partition_subalgoE0EiNS0_10empty_typeEbEEZZNS1_14partition_implILS5_0ELb0ES3_jN6thrust23THRUST_200600_302600_NS10device_ptrIiEEPS6_SD_NS0_5tupleIJSC_SC_EEENSE_IJSD_SD_EEES6_PlJ7is_evenIiEEEE10hipError_tPvRmT3_T4_T5_T6_T7_T9_mT8_P12ihipStream_tbDpT10_ENKUlT_T0_E_clISt17integral_constantIbLb0EES13_EEDaSY_SZ_EUlSY_E_NS1_11comp_targetILNS1_3genE10ELNS1_11target_archE1200ELNS1_3gpuE4ELNS1_3repE0EEENS1_30default_config_static_selectorELNS0_4arch9wavefront6targetE1EEEvT1_: ; @_ZN7rocprim17ROCPRIM_400000_NS6detail17trampoline_kernelINS0_14default_configENS1_25partition_config_selectorILNS1_17partition_subalgoE0EiNS0_10empty_typeEbEEZZNS1_14partition_implILS5_0ELb0ES3_jN6thrust23THRUST_200600_302600_NS10device_ptrIiEEPS6_SD_NS0_5tupleIJSC_SC_EEENSE_IJSD_SD_EEES6_PlJ7is_evenIiEEEE10hipError_tPvRmT3_T4_T5_T6_T7_T9_mT8_P12ihipStream_tbDpT10_ENKUlT_T0_E_clISt17integral_constantIbLb0EES13_EEDaSY_SZ_EUlSY_E_NS1_11comp_targetILNS1_3genE10ELNS1_11target_archE1200ELNS1_3gpuE4ELNS1_3repE0EEENS1_30default_config_static_selectorELNS0_4arch9wavefront6targetE1EEEvT1_
; %bb.0:
	.section	.rodata,"a",@progbits
	.p2align	6, 0x0
	.amdhsa_kernel _ZN7rocprim17ROCPRIM_400000_NS6detail17trampoline_kernelINS0_14default_configENS1_25partition_config_selectorILNS1_17partition_subalgoE0EiNS0_10empty_typeEbEEZZNS1_14partition_implILS5_0ELb0ES3_jN6thrust23THRUST_200600_302600_NS10device_ptrIiEEPS6_SD_NS0_5tupleIJSC_SC_EEENSE_IJSD_SD_EEES6_PlJ7is_evenIiEEEE10hipError_tPvRmT3_T4_T5_T6_T7_T9_mT8_P12ihipStream_tbDpT10_ENKUlT_T0_E_clISt17integral_constantIbLb0EES13_EEDaSY_SZ_EUlSY_E_NS1_11comp_targetILNS1_3genE10ELNS1_11target_archE1200ELNS1_3gpuE4ELNS1_3repE0EEENS1_30default_config_static_selectorELNS0_4arch9wavefront6targetE1EEEvT1_
		.amdhsa_group_segment_fixed_size 0
		.amdhsa_private_segment_fixed_size 0
		.amdhsa_kernarg_size 120
		.amdhsa_user_sgpr_count 2
		.amdhsa_user_sgpr_dispatch_ptr 0
		.amdhsa_user_sgpr_queue_ptr 0
		.amdhsa_user_sgpr_kernarg_segment_ptr 1
		.amdhsa_user_sgpr_dispatch_id 0
		.amdhsa_user_sgpr_kernarg_preload_length 0
		.amdhsa_user_sgpr_kernarg_preload_offset 0
		.amdhsa_user_sgpr_private_segment_size 0
		.amdhsa_uses_dynamic_stack 0
		.amdhsa_enable_private_segment 0
		.amdhsa_system_sgpr_workgroup_id_x 1
		.amdhsa_system_sgpr_workgroup_id_y 0
		.amdhsa_system_sgpr_workgroup_id_z 0
		.amdhsa_system_sgpr_workgroup_info 0
		.amdhsa_system_vgpr_workitem_id 0
		.amdhsa_next_free_vgpr 1
		.amdhsa_next_free_sgpr 0
		.amdhsa_accum_offset 4
		.amdhsa_reserve_vcc 0
		.amdhsa_float_round_mode_32 0
		.amdhsa_float_round_mode_16_64 0
		.amdhsa_float_denorm_mode_32 3
		.amdhsa_float_denorm_mode_16_64 3
		.amdhsa_dx10_clamp 1
		.amdhsa_ieee_mode 1
		.amdhsa_fp16_overflow 0
		.amdhsa_tg_split 0
		.amdhsa_exception_fp_ieee_invalid_op 0
		.amdhsa_exception_fp_denorm_src 0
		.amdhsa_exception_fp_ieee_div_zero 0
		.amdhsa_exception_fp_ieee_overflow 0
		.amdhsa_exception_fp_ieee_underflow 0
		.amdhsa_exception_fp_ieee_inexact 0
		.amdhsa_exception_int_div_zero 0
	.end_amdhsa_kernel
	.section	.text._ZN7rocprim17ROCPRIM_400000_NS6detail17trampoline_kernelINS0_14default_configENS1_25partition_config_selectorILNS1_17partition_subalgoE0EiNS0_10empty_typeEbEEZZNS1_14partition_implILS5_0ELb0ES3_jN6thrust23THRUST_200600_302600_NS10device_ptrIiEEPS6_SD_NS0_5tupleIJSC_SC_EEENSE_IJSD_SD_EEES6_PlJ7is_evenIiEEEE10hipError_tPvRmT3_T4_T5_T6_T7_T9_mT8_P12ihipStream_tbDpT10_ENKUlT_T0_E_clISt17integral_constantIbLb0EES13_EEDaSY_SZ_EUlSY_E_NS1_11comp_targetILNS1_3genE10ELNS1_11target_archE1200ELNS1_3gpuE4ELNS1_3repE0EEENS1_30default_config_static_selectorELNS0_4arch9wavefront6targetE1EEEvT1_,"axG",@progbits,_ZN7rocprim17ROCPRIM_400000_NS6detail17trampoline_kernelINS0_14default_configENS1_25partition_config_selectorILNS1_17partition_subalgoE0EiNS0_10empty_typeEbEEZZNS1_14partition_implILS5_0ELb0ES3_jN6thrust23THRUST_200600_302600_NS10device_ptrIiEEPS6_SD_NS0_5tupleIJSC_SC_EEENSE_IJSD_SD_EEES6_PlJ7is_evenIiEEEE10hipError_tPvRmT3_T4_T5_T6_T7_T9_mT8_P12ihipStream_tbDpT10_ENKUlT_T0_E_clISt17integral_constantIbLb0EES13_EEDaSY_SZ_EUlSY_E_NS1_11comp_targetILNS1_3genE10ELNS1_11target_archE1200ELNS1_3gpuE4ELNS1_3repE0EEENS1_30default_config_static_selectorELNS0_4arch9wavefront6targetE1EEEvT1_,comdat
.Lfunc_end3699:
	.size	_ZN7rocprim17ROCPRIM_400000_NS6detail17trampoline_kernelINS0_14default_configENS1_25partition_config_selectorILNS1_17partition_subalgoE0EiNS0_10empty_typeEbEEZZNS1_14partition_implILS5_0ELb0ES3_jN6thrust23THRUST_200600_302600_NS10device_ptrIiEEPS6_SD_NS0_5tupleIJSC_SC_EEENSE_IJSD_SD_EEES6_PlJ7is_evenIiEEEE10hipError_tPvRmT3_T4_T5_T6_T7_T9_mT8_P12ihipStream_tbDpT10_ENKUlT_T0_E_clISt17integral_constantIbLb0EES13_EEDaSY_SZ_EUlSY_E_NS1_11comp_targetILNS1_3genE10ELNS1_11target_archE1200ELNS1_3gpuE4ELNS1_3repE0EEENS1_30default_config_static_selectorELNS0_4arch9wavefront6targetE1EEEvT1_, .Lfunc_end3699-_ZN7rocprim17ROCPRIM_400000_NS6detail17trampoline_kernelINS0_14default_configENS1_25partition_config_selectorILNS1_17partition_subalgoE0EiNS0_10empty_typeEbEEZZNS1_14partition_implILS5_0ELb0ES3_jN6thrust23THRUST_200600_302600_NS10device_ptrIiEEPS6_SD_NS0_5tupleIJSC_SC_EEENSE_IJSD_SD_EEES6_PlJ7is_evenIiEEEE10hipError_tPvRmT3_T4_T5_T6_T7_T9_mT8_P12ihipStream_tbDpT10_ENKUlT_T0_E_clISt17integral_constantIbLb0EES13_EEDaSY_SZ_EUlSY_E_NS1_11comp_targetILNS1_3genE10ELNS1_11target_archE1200ELNS1_3gpuE4ELNS1_3repE0EEENS1_30default_config_static_selectorELNS0_4arch9wavefront6targetE1EEEvT1_
                                        ; -- End function
	.section	.AMDGPU.csdata,"",@progbits
; Kernel info:
; codeLenInByte = 0
; NumSgprs: 6
; NumVgprs: 0
; NumAgprs: 0
; TotalNumVgprs: 0
; ScratchSize: 0
; MemoryBound: 0
; FloatMode: 240
; IeeeMode: 1
; LDSByteSize: 0 bytes/workgroup (compile time only)
; SGPRBlocks: 0
; VGPRBlocks: 0
; NumSGPRsForWavesPerEU: 6
; NumVGPRsForWavesPerEU: 1
; AccumOffset: 4
; Occupancy: 8
; WaveLimiterHint : 0
; COMPUTE_PGM_RSRC2:SCRATCH_EN: 0
; COMPUTE_PGM_RSRC2:USER_SGPR: 2
; COMPUTE_PGM_RSRC2:TRAP_HANDLER: 0
; COMPUTE_PGM_RSRC2:TGID_X_EN: 1
; COMPUTE_PGM_RSRC2:TGID_Y_EN: 0
; COMPUTE_PGM_RSRC2:TGID_Z_EN: 0
; COMPUTE_PGM_RSRC2:TIDIG_COMP_CNT: 0
; COMPUTE_PGM_RSRC3_GFX90A:ACCUM_OFFSET: 0
; COMPUTE_PGM_RSRC3_GFX90A:TG_SPLIT: 0
	.section	.text._ZN7rocprim17ROCPRIM_400000_NS6detail17trampoline_kernelINS0_14default_configENS1_25partition_config_selectorILNS1_17partition_subalgoE0EiNS0_10empty_typeEbEEZZNS1_14partition_implILS5_0ELb0ES3_jN6thrust23THRUST_200600_302600_NS10device_ptrIiEEPS6_SD_NS0_5tupleIJSC_SC_EEENSE_IJSD_SD_EEES6_PlJ7is_evenIiEEEE10hipError_tPvRmT3_T4_T5_T6_T7_T9_mT8_P12ihipStream_tbDpT10_ENKUlT_T0_E_clISt17integral_constantIbLb0EES13_EEDaSY_SZ_EUlSY_E_NS1_11comp_targetILNS1_3genE9ELNS1_11target_archE1100ELNS1_3gpuE3ELNS1_3repE0EEENS1_30default_config_static_selectorELNS0_4arch9wavefront6targetE1EEEvT1_,"axG",@progbits,_ZN7rocprim17ROCPRIM_400000_NS6detail17trampoline_kernelINS0_14default_configENS1_25partition_config_selectorILNS1_17partition_subalgoE0EiNS0_10empty_typeEbEEZZNS1_14partition_implILS5_0ELb0ES3_jN6thrust23THRUST_200600_302600_NS10device_ptrIiEEPS6_SD_NS0_5tupleIJSC_SC_EEENSE_IJSD_SD_EEES6_PlJ7is_evenIiEEEE10hipError_tPvRmT3_T4_T5_T6_T7_T9_mT8_P12ihipStream_tbDpT10_ENKUlT_T0_E_clISt17integral_constantIbLb0EES13_EEDaSY_SZ_EUlSY_E_NS1_11comp_targetILNS1_3genE9ELNS1_11target_archE1100ELNS1_3gpuE3ELNS1_3repE0EEENS1_30default_config_static_selectorELNS0_4arch9wavefront6targetE1EEEvT1_,comdat
	.protected	_ZN7rocprim17ROCPRIM_400000_NS6detail17trampoline_kernelINS0_14default_configENS1_25partition_config_selectorILNS1_17partition_subalgoE0EiNS0_10empty_typeEbEEZZNS1_14partition_implILS5_0ELb0ES3_jN6thrust23THRUST_200600_302600_NS10device_ptrIiEEPS6_SD_NS0_5tupleIJSC_SC_EEENSE_IJSD_SD_EEES6_PlJ7is_evenIiEEEE10hipError_tPvRmT3_T4_T5_T6_T7_T9_mT8_P12ihipStream_tbDpT10_ENKUlT_T0_E_clISt17integral_constantIbLb0EES13_EEDaSY_SZ_EUlSY_E_NS1_11comp_targetILNS1_3genE9ELNS1_11target_archE1100ELNS1_3gpuE3ELNS1_3repE0EEENS1_30default_config_static_selectorELNS0_4arch9wavefront6targetE1EEEvT1_ ; -- Begin function _ZN7rocprim17ROCPRIM_400000_NS6detail17trampoline_kernelINS0_14default_configENS1_25partition_config_selectorILNS1_17partition_subalgoE0EiNS0_10empty_typeEbEEZZNS1_14partition_implILS5_0ELb0ES3_jN6thrust23THRUST_200600_302600_NS10device_ptrIiEEPS6_SD_NS0_5tupleIJSC_SC_EEENSE_IJSD_SD_EEES6_PlJ7is_evenIiEEEE10hipError_tPvRmT3_T4_T5_T6_T7_T9_mT8_P12ihipStream_tbDpT10_ENKUlT_T0_E_clISt17integral_constantIbLb0EES13_EEDaSY_SZ_EUlSY_E_NS1_11comp_targetILNS1_3genE9ELNS1_11target_archE1100ELNS1_3gpuE3ELNS1_3repE0EEENS1_30default_config_static_selectorELNS0_4arch9wavefront6targetE1EEEvT1_
	.globl	_ZN7rocprim17ROCPRIM_400000_NS6detail17trampoline_kernelINS0_14default_configENS1_25partition_config_selectorILNS1_17partition_subalgoE0EiNS0_10empty_typeEbEEZZNS1_14partition_implILS5_0ELb0ES3_jN6thrust23THRUST_200600_302600_NS10device_ptrIiEEPS6_SD_NS0_5tupleIJSC_SC_EEENSE_IJSD_SD_EEES6_PlJ7is_evenIiEEEE10hipError_tPvRmT3_T4_T5_T6_T7_T9_mT8_P12ihipStream_tbDpT10_ENKUlT_T0_E_clISt17integral_constantIbLb0EES13_EEDaSY_SZ_EUlSY_E_NS1_11comp_targetILNS1_3genE9ELNS1_11target_archE1100ELNS1_3gpuE3ELNS1_3repE0EEENS1_30default_config_static_selectorELNS0_4arch9wavefront6targetE1EEEvT1_
	.p2align	8
	.type	_ZN7rocprim17ROCPRIM_400000_NS6detail17trampoline_kernelINS0_14default_configENS1_25partition_config_selectorILNS1_17partition_subalgoE0EiNS0_10empty_typeEbEEZZNS1_14partition_implILS5_0ELb0ES3_jN6thrust23THRUST_200600_302600_NS10device_ptrIiEEPS6_SD_NS0_5tupleIJSC_SC_EEENSE_IJSD_SD_EEES6_PlJ7is_evenIiEEEE10hipError_tPvRmT3_T4_T5_T6_T7_T9_mT8_P12ihipStream_tbDpT10_ENKUlT_T0_E_clISt17integral_constantIbLb0EES13_EEDaSY_SZ_EUlSY_E_NS1_11comp_targetILNS1_3genE9ELNS1_11target_archE1100ELNS1_3gpuE3ELNS1_3repE0EEENS1_30default_config_static_selectorELNS0_4arch9wavefront6targetE1EEEvT1_,@function
_ZN7rocprim17ROCPRIM_400000_NS6detail17trampoline_kernelINS0_14default_configENS1_25partition_config_selectorILNS1_17partition_subalgoE0EiNS0_10empty_typeEbEEZZNS1_14partition_implILS5_0ELb0ES3_jN6thrust23THRUST_200600_302600_NS10device_ptrIiEEPS6_SD_NS0_5tupleIJSC_SC_EEENSE_IJSD_SD_EEES6_PlJ7is_evenIiEEEE10hipError_tPvRmT3_T4_T5_T6_T7_T9_mT8_P12ihipStream_tbDpT10_ENKUlT_T0_E_clISt17integral_constantIbLb0EES13_EEDaSY_SZ_EUlSY_E_NS1_11comp_targetILNS1_3genE9ELNS1_11target_archE1100ELNS1_3gpuE3ELNS1_3repE0EEENS1_30default_config_static_selectorELNS0_4arch9wavefront6targetE1EEEvT1_: ; @_ZN7rocprim17ROCPRIM_400000_NS6detail17trampoline_kernelINS0_14default_configENS1_25partition_config_selectorILNS1_17partition_subalgoE0EiNS0_10empty_typeEbEEZZNS1_14partition_implILS5_0ELb0ES3_jN6thrust23THRUST_200600_302600_NS10device_ptrIiEEPS6_SD_NS0_5tupleIJSC_SC_EEENSE_IJSD_SD_EEES6_PlJ7is_evenIiEEEE10hipError_tPvRmT3_T4_T5_T6_T7_T9_mT8_P12ihipStream_tbDpT10_ENKUlT_T0_E_clISt17integral_constantIbLb0EES13_EEDaSY_SZ_EUlSY_E_NS1_11comp_targetILNS1_3genE9ELNS1_11target_archE1100ELNS1_3gpuE3ELNS1_3repE0EEENS1_30default_config_static_selectorELNS0_4arch9wavefront6targetE1EEEvT1_
; %bb.0:
	.section	.rodata,"a",@progbits
	.p2align	6, 0x0
	.amdhsa_kernel _ZN7rocprim17ROCPRIM_400000_NS6detail17trampoline_kernelINS0_14default_configENS1_25partition_config_selectorILNS1_17partition_subalgoE0EiNS0_10empty_typeEbEEZZNS1_14partition_implILS5_0ELb0ES3_jN6thrust23THRUST_200600_302600_NS10device_ptrIiEEPS6_SD_NS0_5tupleIJSC_SC_EEENSE_IJSD_SD_EEES6_PlJ7is_evenIiEEEE10hipError_tPvRmT3_T4_T5_T6_T7_T9_mT8_P12ihipStream_tbDpT10_ENKUlT_T0_E_clISt17integral_constantIbLb0EES13_EEDaSY_SZ_EUlSY_E_NS1_11comp_targetILNS1_3genE9ELNS1_11target_archE1100ELNS1_3gpuE3ELNS1_3repE0EEENS1_30default_config_static_selectorELNS0_4arch9wavefront6targetE1EEEvT1_
		.amdhsa_group_segment_fixed_size 0
		.amdhsa_private_segment_fixed_size 0
		.amdhsa_kernarg_size 120
		.amdhsa_user_sgpr_count 2
		.amdhsa_user_sgpr_dispatch_ptr 0
		.amdhsa_user_sgpr_queue_ptr 0
		.amdhsa_user_sgpr_kernarg_segment_ptr 1
		.amdhsa_user_sgpr_dispatch_id 0
		.amdhsa_user_sgpr_kernarg_preload_length 0
		.amdhsa_user_sgpr_kernarg_preload_offset 0
		.amdhsa_user_sgpr_private_segment_size 0
		.amdhsa_uses_dynamic_stack 0
		.amdhsa_enable_private_segment 0
		.amdhsa_system_sgpr_workgroup_id_x 1
		.amdhsa_system_sgpr_workgroup_id_y 0
		.amdhsa_system_sgpr_workgroup_id_z 0
		.amdhsa_system_sgpr_workgroup_info 0
		.amdhsa_system_vgpr_workitem_id 0
		.amdhsa_next_free_vgpr 1
		.amdhsa_next_free_sgpr 0
		.amdhsa_accum_offset 4
		.amdhsa_reserve_vcc 0
		.amdhsa_float_round_mode_32 0
		.amdhsa_float_round_mode_16_64 0
		.amdhsa_float_denorm_mode_32 3
		.amdhsa_float_denorm_mode_16_64 3
		.amdhsa_dx10_clamp 1
		.amdhsa_ieee_mode 1
		.amdhsa_fp16_overflow 0
		.amdhsa_tg_split 0
		.amdhsa_exception_fp_ieee_invalid_op 0
		.amdhsa_exception_fp_denorm_src 0
		.amdhsa_exception_fp_ieee_div_zero 0
		.amdhsa_exception_fp_ieee_overflow 0
		.amdhsa_exception_fp_ieee_underflow 0
		.amdhsa_exception_fp_ieee_inexact 0
		.amdhsa_exception_int_div_zero 0
	.end_amdhsa_kernel
	.section	.text._ZN7rocprim17ROCPRIM_400000_NS6detail17trampoline_kernelINS0_14default_configENS1_25partition_config_selectorILNS1_17partition_subalgoE0EiNS0_10empty_typeEbEEZZNS1_14partition_implILS5_0ELb0ES3_jN6thrust23THRUST_200600_302600_NS10device_ptrIiEEPS6_SD_NS0_5tupleIJSC_SC_EEENSE_IJSD_SD_EEES6_PlJ7is_evenIiEEEE10hipError_tPvRmT3_T4_T5_T6_T7_T9_mT8_P12ihipStream_tbDpT10_ENKUlT_T0_E_clISt17integral_constantIbLb0EES13_EEDaSY_SZ_EUlSY_E_NS1_11comp_targetILNS1_3genE9ELNS1_11target_archE1100ELNS1_3gpuE3ELNS1_3repE0EEENS1_30default_config_static_selectorELNS0_4arch9wavefront6targetE1EEEvT1_,"axG",@progbits,_ZN7rocprim17ROCPRIM_400000_NS6detail17trampoline_kernelINS0_14default_configENS1_25partition_config_selectorILNS1_17partition_subalgoE0EiNS0_10empty_typeEbEEZZNS1_14partition_implILS5_0ELb0ES3_jN6thrust23THRUST_200600_302600_NS10device_ptrIiEEPS6_SD_NS0_5tupleIJSC_SC_EEENSE_IJSD_SD_EEES6_PlJ7is_evenIiEEEE10hipError_tPvRmT3_T4_T5_T6_T7_T9_mT8_P12ihipStream_tbDpT10_ENKUlT_T0_E_clISt17integral_constantIbLb0EES13_EEDaSY_SZ_EUlSY_E_NS1_11comp_targetILNS1_3genE9ELNS1_11target_archE1100ELNS1_3gpuE3ELNS1_3repE0EEENS1_30default_config_static_selectorELNS0_4arch9wavefront6targetE1EEEvT1_,comdat
.Lfunc_end3700:
	.size	_ZN7rocprim17ROCPRIM_400000_NS6detail17trampoline_kernelINS0_14default_configENS1_25partition_config_selectorILNS1_17partition_subalgoE0EiNS0_10empty_typeEbEEZZNS1_14partition_implILS5_0ELb0ES3_jN6thrust23THRUST_200600_302600_NS10device_ptrIiEEPS6_SD_NS0_5tupleIJSC_SC_EEENSE_IJSD_SD_EEES6_PlJ7is_evenIiEEEE10hipError_tPvRmT3_T4_T5_T6_T7_T9_mT8_P12ihipStream_tbDpT10_ENKUlT_T0_E_clISt17integral_constantIbLb0EES13_EEDaSY_SZ_EUlSY_E_NS1_11comp_targetILNS1_3genE9ELNS1_11target_archE1100ELNS1_3gpuE3ELNS1_3repE0EEENS1_30default_config_static_selectorELNS0_4arch9wavefront6targetE1EEEvT1_, .Lfunc_end3700-_ZN7rocprim17ROCPRIM_400000_NS6detail17trampoline_kernelINS0_14default_configENS1_25partition_config_selectorILNS1_17partition_subalgoE0EiNS0_10empty_typeEbEEZZNS1_14partition_implILS5_0ELb0ES3_jN6thrust23THRUST_200600_302600_NS10device_ptrIiEEPS6_SD_NS0_5tupleIJSC_SC_EEENSE_IJSD_SD_EEES6_PlJ7is_evenIiEEEE10hipError_tPvRmT3_T4_T5_T6_T7_T9_mT8_P12ihipStream_tbDpT10_ENKUlT_T0_E_clISt17integral_constantIbLb0EES13_EEDaSY_SZ_EUlSY_E_NS1_11comp_targetILNS1_3genE9ELNS1_11target_archE1100ELNS1_3gpuE3ELNS1_3repE0EEENS1_30default_config_static_selectorELNS0_4arch9wavefront6targetE1EEEvT1_
                                        ; -- End function
	.section	.AMDGPU.csdata,"",@progbits
; Kernel info:
; codeLenInByte = 0
; NumSgprs: 6
; NumVgprs: 0
; NumAgprs: 0
; TotalNumVgprs: 0
; ScratchSize: 0
; MemoryBound: 0
; FloatMode: 240
; IeeeMode: 1
; LDSByteSize: 0 bytes/workgroup (compile time only)
; SGPRBlocks: 0
; VGPRBlocks: 0
; NumSGPRsForWavesPerEU: 6
; NumVGPRsForWavesPerEU: 1
; AccumOffset: 4
; Occupancy: 8
; WaveLimiterHint : 0
; COMPUTE_PGM_RSRC2:SCRATCH_EN: 0
; COMPUTE_PGM_RSRC2:USER_SGPR: 2
; COMPUTE_PGM_RSRC2:TRAP_HANDLER: 0
; COMPUTE_PGM_RSRC2:TGID_X_EN: 1
; COMPUTE_PGM_RSRC2:TGID_Y_EN: 0
; COMPUTE_PGM_RSRC2:TGID_Z_EN: 0
; COMPUTE_PGM_RSRC2:TIDIG_COMP_CNT: 0
; COMPUTE_PGM_RSRC3_GFX90A:ACCUM_OFFSET: 0
; COMPUTE_PGM_RSRC3_GFX90A:TG_SPLIT: 0
	.section	.text._ZN7rocprim17ROCPRIM_400000_NS6detail17trampoline_kernelINS0_14default_configENS1_25partition_config_selectorILNS1_17partition_subalgoE0EiNS0_10empty_typeEbEEZZNS1_14partition_implILS5_0ELb0ES3_jN6thrust23THRUST_200600_302600_NS10device_ptrIiEEPS6_SD_NS0_5tupleIJSC_SC_EEENSE_IJSD_SD_EEES6_PlJ7is_evenIiEEEE10hipError_tPvRmT3_T4_T5_T6_T7_T9_mT8_P12ihipStream_tbDpT10_ENKUlT_T0_E_clISt17integral_constantIbLb0EES13_EEDaSY_SZ_EUlSY_E_NS1_11comp_targetILNS1_3genE8ELNS1_11target_archE1030ELNS1_3gpuE2ELNS1_3repE0EEENS1_30default_config_static_selectorELNS0_4arch9wavefront6targetE1EEEvT1_,"axG",@progbits,_ZN7rocprim17ROCPRIM_400000_NS6detail17trampoline_kernelINS0_14default_configENS1_25partition_config_selectorILNS1_17partition_subalgoE0EiNS0_10empty_typeEbEEZZNS1_14partition_implILS5_0ELb0ES3_jN6thrust23THRUST_200600_302600_NS10device_ptrIiEEPS6_SD_NS0_5tupleIJSC_SC_EEENSE_IJSD_SD_EEES6_PlJ7is_evenIiEEEE10hipError_tPvRmT3_T4_T5_T6_T7_T9_mT8_P12ihipStream_tbDpT10_ENKUlT_T0_E_clISt17integral_constantIbLb0EES13_EEDaSY_SZ_EUlSY_E_NS1_11comp_targetILNS1_3genE8ELNS1_11target_archE1030ELNS1_3gpuE2ELNS1_3repE0EEENS1_30default_config_static_selectorELNS0_4arch9wavefront6targetE1EEEvT1_,comdat
	.protected	_ZN7rocprim17ROCPRIM_400000_NS6detail17trampoline_kernelINS0_14default_configENS1_25partition_config_selectorILNS1_17partition_subalgoE0EiNS0_10empty_typeEbEEZZNS1_14partition_implILS5_0ELb0ES3_jN6thrust23THRUST_200600_302600_NS10device_ptrIiEEPS6_SD_NS0_5tupleIJSC_SC_EEENSE_IJSD_SD_EEES6_PlJ7is_evenIiEEEE10hipError_tPvRmT3_T4_T5_T6_T7_T9_mT8_P12ihipStream_tbDpT10_ENKUlT_T0_E_clISt17integral_constantIbLb0EES13_EEDaSY_SZ_EUlSY_E_NS1_11comp_targetILNS1_3genE8ELNS1_11target_archE1030ELNS1_3gpuE2ELNS1_3repE0EEENS1_30default_config_static_selectorELNS0_4arch9wavefront6targetE1EEEvT1_ ; -- Begin function _ZN7rocprim17ROCPRIM_400000_NS6detail17trampoline_kernelINS0_14default_configENS1_25partition_config_selectorILNS1_17partition_subalgoE0EiNS0_10empty_typeEbEEZZNS1_14partition_implILS5_0ELb0ES3_jN6thrust23THRUST_200600_302600_NS10device_ptrIiEEPS6_SD_NS0_5tupleIJSC_SC_EEENSE_IJSD_SD_EEES6_PlJ7is_evenIiEEEE10hipError_tPvRmT3_T4_T5_T6_T7_T9_mT8_P12ihipStream_tbDpT10_ENKUlT_T0_E_clISt17integral_constantIbLb0EES13_EEDaSY_SZ_EUlSY_E_NS1_11comp_targetILNS1_3genE8ELNS1_11target_archE1030ELNS1_3gpuE2ELNS1_3repE0EEENS1_30default_config_static_selectorELNS0_4arch9wavefront6targetE1EEEvT1_
	.globl	_ZN7rocprim17ROCPRIM_400000_NS6detail17trampoline_kernelINS0_14default_configENS1_25partition_config_selectorILNS1_17partition_subalgoE0EiNS0_10empty_typeEbEEZZNS1_14partition_implILS5_0ELb0ES3_jN6thrust23THRUST_200600_302600_NS10device_ptrIiEEPS6_SD_NS0_5tupleIJSC_SC_EEENSE_IJSD_SD_EEES6_PlJ7is_evenIiEEEE10hipError_tPvRmT3_T4_T5_T6_T7_T9_mT8_P12ihipStream_tbDpT10_ENKUlT_T0_E_clISt17integral_constantIbLb0EES13_EEDaSY_SZ_EUlSY_E_NS1_11comp_targetILNS1_3genE8ELNS1_11target_archE1030ELNS1_3gpuE2ELNS1_3repE0EEENS1_30default_config_static_selectorELNS0_4arch9wavefront6targetE1EEEvT1_
	.p2align	8
	.type	_ZN7rocprim17ROCPRIM_400000_NS6detail17trampoline_kernelINS0_14default_configENS1_25partition_config_selectorILNS1_17partition_subalgoE0EiNS0_10empty_typeEbEEZZNS1_14partition_implILS5_0ELb0ES3_jN6thrust23THRUST_200600_302600_NS10device_ptrIiEEPS6_SD_NS0_5tupleIJSC_SC_EEENSE_IJSD_SD_EEES6_PlJ7is_evenIiEEEE10hipError_tPvRmT3_T4_T5_T6_T7_T9_mT8_P12ihipStream_tbDpT10_ENKUlT_T0_E_clISt17integral_constantIbLb0EES13_EEDaSY_SZ_EUlSY_E_NS1_11comp_targetILNS1_3genE8ELNS1_11target_archE1030ELNS1_3gpuE2ELNS1_3repE0EEENS1_30default_config_static_selectorELNS0_4arch9wavefront6targetE1EEEvT1_,@function
_ZN7rocprim17ROCPRIM_400000_NS6detail17trampoline_kernelINS0_14default_configENS1_25partition_config_selectorILNS1_17partition_subalgoE0EiNS0_10empty_typeEbEEZZNS1_14partition_implILS5_0ELb0ES3_jN6thrust23THRUST_200600_302600_NS10device_ptrIiEEPS6_SD_NS0_5tupleIJSC_SC_EEENSE_IJSD_SD_EEES6_PlJ7is_evenIiEEEE10hipError_tPvRmT3_T4_T5_T6_T7_T9_mT8_P12ihipStream_tbDpT10_ENKUlT_T0_E_clISt17integral_constantIbLb0EES13_EEDaSY_SZ_EUlSY_E_NS1_11comp_targetILNS1_3genE8ELNS1_11target_archE1030ELNS1_3gpuE2ELNS1_3repE0EEENS1_30default_config_static_selectorELNS0_4arch9wavefront6targetE1EEEvT1_: ; @_ZN7rocprim17ROCPRIM_400000_NS6detail17trampoline_kernelINS0_14default_configENS1_25partition_config_selectorILNS1_17partition_subalgoE0EiNS0_10empty_typeEbEEZZNS1_14partition_implILS5_0ELb0ES3_jN6thrust23THRUST_200600_302600_NS10device_ptrIiEEPS6_SD_NS0_5tupleIJSC_SC_EEENSE_IJSD_SD_EEES6_PlJ7is_evenIiEEEE10hipError_tPvRmT3_T4_T5_T6_T7_T9_mT8_P12ihipStream_tbDpT10_ENKUlT_T0_E_clISt17integral_constantIbLb0EES13_EEDaSY_SZ_EUlSY_E_NS1_11comp_targetILNS1_3genE8ELNS1_11target_archE1030ELNS1_3gpuE2ELNS1_3repE0EEENS1_30default_config_static_selectorELNS0_4arch9wavefront6targetE1EEEvT1_
; %bb.0:
	.section	.rodata,"a",@progbits
	.p2align	6, 0x0
	.amdhsa_kernel _ZN7rocprim17ROCPRIM_400000_NS6detail17trampoline_kernelINS0_14default_configENS1_25partition_config_selectorILNS1_17partition_subalgoE0EiNS0_10empty_typeEbEEZZNS1_14partition_implILS5_0ELb0ES3_jN6thrust23THRUST_200600_302600_NS10device_ptrIiEEPS6_SD_NS0_5tupleIJSC_SC_EEENSE_IJSD_SD_EEES6_PlJ7is_evenIiEEEE10hipError_tPvRmT3_T4_T5_T6_T7_T9_mT8_P12ihipStream_tbDpT10_ENKUlT_T0_E_clISt17integral_constantIbLb0EES13_EEDaSY_SZ_EUlSY_E_NS1_11comp_targetILNS1_3genE8ELNS1_11target_archE1030ELNS1_3gpuE2ELNS1_3repE0EEENS1_30default_config_static_selectorELNS0_4arch9wavefront6targetE1EEEvT1_
		.amdhsa_group_segment_fixed_size 0
		.amdhsa_private_segment_fixed_size 0
		.amdhsa_kernarg_size 120
		.amdhsa_user_sgpr_count 2
		.amdhsa_user_sgpr_dispatch_ptr 0
		.amdhsa_user_sgpr_queue_ptr 0
		.amdhsa_user_sgpr_kernarg_segment_ptr 1
		.amdhsa_user_sgpr_dispatch_id 0
		.amdhsa_user_sgpr_kernarg_preload_length 0
		.amdhsa_user_sgpr_kernarg_preload_offset 0
		.amdhsa_user_sgpr_private_segment_size 0
		.amdhsa_uses_dynamic_stack 0
		.amdhsa_enable_private_segment 0
		.amdhsa_system_sgpr_workgroup_id_x 1
		.amdhsa_system_sgpr_workgroup_id_y 0
		.amdhsa_system_sgpr_workgroup_id_z 0
		.amdhsa_system_sgpr_workgroup_info 0
		.amdhsa_system_vgpr_workitem_id 0
		.amdhsa_next_free_vgpr 1
		.amdhsa_next_free_sgpr 0
		.amdhsa_accum_offset 4
		.amdhsa_reserve_vcc 0
		.amdhsa_float_round_mode_32 0
		.amdhsa_float_round_mode_16_64 0
		.amdhsa_float_denorm_mode_32 3
		.amdhsa_float_denorm_mode_16_64 3
		.amdhsa_dx10_clamp 1
		.amdhsa_ieee_mode 1
		.amdhsa_fp16_overflow 0
		.amdhsa_tg_split 0
		.amdhsa_exception_fp_ieee_invalid_op 0
		.amdhsa_exception_fp_denorm_src 0
		.amdhsa_exception_fp_ieee_div_zero 0
		.amdhsa_exception_fp_ieee_overflow 0
		.amdhsa_exception_fp_ieee_underflow 0
		.amdhsa_exception_fp_ieee_inexact 0
		.amdhsa_exception_int_div_zero 0
	.end_amdhsa_kernel
	.section	.text._ZN7rocprim17ROCPRIM_400000_NS6detail17trampoline_kernelINS0_14default_configENS1_25partition_config_selectorILNS1_17partition_subalgoE0EiNS0_10empty_typeEbEEZZNS1_14partition_implILS5_0ELb0ES3_jN6thrust23THRUST_200600_302600_NS10device_ptrIiEEPS6_SD_NS0_5tupleIJSC_SC_EEENSE_IJSD_SD_EEES6_PlJ7is_evenIiEEEE10hipError_tPvRmT3_T4_T5_T6_T7_T9_mT8_P12ihipStream_tbDpT10_ENKUlT_T0_E_clISt17integral_constantIbLb0EES13_EEDaSY_SZ_EUlSY_E_NS1_11comp_targetILNS1_3genE8ELNS1_11target_archE1030ELNS1_3gpuE2ELNS1_3repE0EEENS1_30default_config_static_selectorELNS0_4arch9wavefront6targetE1EEEvT1_,"axG",@progbits,_ZN7rocprim17ROCPRIM_400000_NS6detail17trampoline_kernelINS0_14default_configENS1_25partition_config_selectorILNS1_17partition_subalgoE0EiNS0_10empty_typeEbEEZZNS1_14partition_implILS5_0ELb0ES3_jN6thrust23THRUST_200600_302600_NS10device_ptrIiEEPS6_SD_NS0_5tupleIJSC_SC_EEENSE_IJSD_SD_EEES6_PlJ7is_evenIiEEEE10hipError_tPvRmT3_T4_T5_T6_T7_T9_mT8_P12ihipStream_tbDpT10_ENKUlT_T0_E_clISt17integral_constantIbLb0EES13_EEDaSY_SZ_EUlSY_E_NS1_11comp_targetILNS1_3genE8ELNS1_11target_archE1030ELNS1_3gpuE2ELNS1_3repE0EEENS1_30default_config_static_selectorELNS0_4arch9wavefront6targetE1EEEvT1_,comdat
.Lfunc_end3701:
	.size	_ZN7rocprim17ROCPRIM_400000_NS6detail17trampoline_kernelINS0_14default_configENS1_25partition_config_selectorILNS1_17partition_subalgoE0EiNS0_10empty_typeEbEEZZNS1_14partition_implILS5_0ELb0ES3_jN6thrust23THRUST_200600_302600_NS10device_ptrIiEEPS6_SD_NS0_5tupleIJSC_SC_EEENSE_IJSD_SD_EEES6_PlJ7is_evenIiEEEE10hipError_tPvRmT3_T4_T5_T6_T7_T9_mT8_P12ihipStream_tbDpT10_ENKUlT_T0_E_clISt17integral_constantIbLb0EES13_EEDaSY_SZ_EUlSY_E_NS1_11comp_targetILNS1_3genE8ELNS1_11target_archE1030ELNS1_3gpuE2ELNS1_3repE0EEENS1_30default_config_static_selectorELNS0_4arch9wavefront6targetE1EEEvT1_, .Lfunc_end3701-_ZN7rocprim17ROCPRIM_400000_NS6detail17trampoline_kernelINS0_14default_configENS1_25partition_config_selectorILNS1_17partition_subalgoE0EiNS0_10empty_typeEbEEZZNS1_14partition_implILS5_0ELb0ES3_jN6thrust23THRUST_200600_302600_NS10device_ptrIiEEPS6_SD_NS0_5tupleIJSC_SC_EEENSE_IJSD_SD_EEES6_PlJ7is_evenIiEEEE10hipError_tPvRmT3_T4_T5_T6_T7_T9_mT8_P12ihipStream_tbDpT10_ENKUlT_T0_E_clISt17integral_constantIbLb0EES13_EEDaSY_SZ_EUlSY_E_NS1_11comp_targetILNS1_3genE8ELNS1_11target_archE1030ELNS1_3gpuE2ELNS1_3repE0EEENS1_30default_config_static_selectorELNS0_4arch9wavefront6targetE1EEEvT1_
                                        ; -- End function
	.section	.AMDGPU.csdata,"",@progbits
; Kernel info:
; codeLenInByte = 0
; NumSgprs: 6
; NumVgprs: 0
; NumAgprs: 0
; TotalNumVgprs: 0
; ScratchSize: 0
; MemoryBound: 0
; FloatMode: 240
; IeeeMode: 1
; LDSByteSize: 0 bytes/workgroup (compile time only)
; SGPRBlocks: 0
; VGPRBlocks: 0
; NumSGPRsForWavesPerEU: 6
; NumVGPRsForWavesPerEU: 1
; AccumOffset: 4
; Occupancy: 8
; WaveLimiterHint : 0
; COMPUTE_PGM_RSRC2:SCRATCH_EN: 0
; COMPUTE_PGM_RSRC2:USER_SGPR: 2
; COMPUTE_PGM_RSRC2:TRAP_HANDLER: 0
; COMPUTE_PGM_RSRC2:TGID_X_EN: 1
; COMPUTE_PGM_RSRC2:TGID_Y_EN: 0
; COMPUTE_PGM_RSRC2:TGID_Z_EN: 0
; COMPUTE_PGM_RSRC2:TIDIG_COMP_CNT: 0
; COMPUTE_PGM_RSRC3_GFX90A:ACCUM_OFFSET: 0
; COMPUTE_PGM_RSRC3_GFX90A:TG_SPLIT: 0
	.section	.text._ZN7rocprim17ROCPRIM_400000_NS6detail17trampoline_kernelINS0_14default_configENS1_25partition_config_selectorILNS1_17partition_subalgoE0EiNS0_10empty_typeEbEEZZNS1_14partition_implILS5_0ELb0ES3_jN6thrust23THRUST_200600_302600_NS10device_ptrIiEEPS6_SD_NS0_5tupleIJSC_SC_EEENSE_IJSD_SD_EEES6_PlJ7is_evenIiEEEE10hipError_tPvRmT3_T4_T5_T6_T7_T9_mT8_P12ihipStream_tbDpT10_ENKUlT_T0_E_clISt17integral_constantIbLb1EES13_EEDaSY_SZ_EUlSY_E_NS1_11comp_targetILNS1_3genE0ELNS1_11target_archE4294967295ELNS1_3gpuE0ELNS1_3repE0EEENS1_30default_config_static_selectorELNS0_4arch9wavefront6targetE1EEEvT1_,"axG",@progbits,_ZN7rocprim17ROCPRIM_400000_NS6detail17trampoline_kernelINS0_14default_configENS1_25partition_config_selectorILNS1_17partition_subalgoE0EiNS0_10empty_typeEbEEZZNS1_14partition_implILS5_0ELb0ES3_jN6thrust23THRUST_200600_302600_NS10device_ptrIiEEPS6_SD_NS0_5tupleIJSC_SC_EEENSE_IJSD_SD_EEES6_PlJ7is_evenIiEEEE10hipError_tPvRmT3_T4_T5_T6_T7_T9_mT8_P12ihipStream_tbDpT10_ENKUlT_T0_E_clISt17integral_constantIbLb1EES13_EEDaSY_SZ_EUlSY_E_NS1_11comp_targetILNS1_3genE0ELNS1_11target_archE4294967295ELNS1_3gpuE0ELNS1_3repE0EEENS1_30default_config_static_selectorELNS0_4arch9wavefront6targetE1EEEvT1_,comdat
	.protected	_ZN7rocprim17ROCPRIM_400000_NS6detail17trampoline_kernelINS0_14default_configENS1_25partition_config_selectorILNS1_17partition_subalgoE0EiNS0_10empty_typeEbEEZZNS1_14partition_implILS5_0ELb0ES3_jN6thrust23THRUST_200600_302600_NS10device_ptrIiEEPS6_SD_NS0_5tupleIJSC_SC_EEENSE_IJSD_SD_EEES6_PlJ7is_evenIiEEEE10hipError_tPvRmT3_T4_T5_T6_T7_T9_mT8_P12ihipStream_tbDpT10_ENKUlT_T0_E_clISt17integral_constantIbLb1EES13_EEDaSY_SZ_EUlSY_E_NS1_11comp_targetILNS1_3genE0ELNS1_11target_archE4294967295ELNS1_3gpuE0ELNS1_3repE0EEENS1_30default_config_static_selectorELNS0_4arch9wavefront6targetE1EEEvT1_ ; -- Begin function _ZN7rocprim17ROCPRIM_400000_NS6detail17trampoline_kernelINS0_14default_configENS1_25partition_config_selectorILNS1_17partition_subalgoE0EiNS0_10empty_typeEbEEZZNS1_14partition_implILS5_0ELb0ES3_jN6thrust23THRUST_200600_302600_NS10device_ptrIiEEPS6_SD_NS0_5tupleIJSC_SC_EEENSE_IJSD_SD_EEES6_PlJ7is_evenIiEEEE10hipError_tPvRmT3_T4_T5_T6_T7_T9_mT8_P12ihipStream_tbDpT10_ENKUlT_T0_E_clISt17integral_constantIbLb1EES13_EEDaSY_SZ_EUlSY_E_NS1_11comp_targetILNS1_3genE0ELNS1_11target_archE4294967295ELNS1_3gpuE0ELNS1_3repE0EEENS1_30default_config_static_selectorELNS0_4arch9wavefront6targetE1EEEvT1_
	.globl	_ZN7rocprim17ROCPRIM_400000_NS6detail17trampoline_kernelINS0_14default_configENS1_25partition_config_selectorILNS1_17partition_subalgoE0EiNS0_10empty_typeEbEEZZNS1_14partition_implILS5_0ELb0ES3_jN6thrust23THRUST_200600_302600_NS10device_ptrIiEEPS6_SD_NS0_5tupleIJSC_SC_EEENSE_IJSD_SD_EEES6_PlJ7is_evenIiEEEE10hipError_tPvRmT3_T4_T5_T6_T7_T9_mT8_P12ihipStream_tbDpT10_ENKUlT_T0_E_clISt17integral_constantIbLb1EES13_EEDaSY_SZ_EUlSY_E_NS1_11comp_targetILNS1_3genE0ELNS1_11target_archE4294967295ELNS1_3gpuE0ELNS1_3repE0EEENS1_30default_config_static_selectorELNS0_4arch9wavefront6targetE1EEEvT1_
	.p2align	8
	.type	_ZN7rocprim17ROCPRIM_400000_NS6detail17trampoline_kernelINS0_14default_configENS1_25partition_config_selectorILNS1_17partition_subalgoE0EiNS0_10empty_typeEbEEZZNS1_14partition_implILS5_0ELb0ES3_jN6thrust23THRUST_200600_302600_NS10device_ptrIiEEPS6_SD_NS0_5tupleIJSC_SC_EEENSE_IJSD_SD_EEES6_PlJ7is_evenIiEEEE10hipError_tPvRmT3_T4_T5_T6_T7_T9_mT8_P12ihipStream_tbDpT10_ENKUlT_T0_E_clISt17integral_constantIbLb1EES13_EEDaSY_SZ_EUlSY_E_NS1_11comp_targetILNS1_3genE0ELNS1_11target_archE4294967295ELNS1_3gpuE0ELNS1_3repE0EEENS1_30default_config_static_selectorELNS0_4arch9wavefront6targetE1EEEvT1_,@function
_ZN7rocprim17ROCPRIM_400000_NS6detail17trampoline_kernelINS0_14default_configENS1_25partition_config_selectorILNS1_17partition_subalgoE0EiNS0_10empty_typeEbEEZZNS1_14partition_implILS5_0ELb0ES3_jN6thrust23THRUST_200600_302600_NS10device_ptrIiEEPS6_SD_NS0_5tupleIJSC_SC_EEENSE_IJSD_SD_EEES6_PlJ7is_evenIiEEEE10hipError_tPvRmT3_T4_T5_T6_T7_T9_mT8_P12ihipStream_tbDpT10_ENKUlT_T0_E_clISt17integral_constantIbLb1EES13_EEDaSY_SZ_EUlSY_E_NS1_11comp_targetILNS1_3genE0ELNS1_11target_archE4294967295ELNS1_3gpuE0ELNS1_3repE0EEENS1_30default_config_static_selectorELNS0_4arch9wavefront6targetE1EEEvT1_: ; @_ZN7rocprim17ROCPRIM_400000_NS6detail17trampoline_kernelINS0_14default_configENS1_25partition_config_selectorILNS1_17partition_subalgoE0EiNS0_10empty_typeEbEEZZNS1_14partition_implILS5_0ELb0ES3_jN6thrust23THRUST_200600_302600_NS10device_ptrIiEEPS6_SD_NS0_5tupleIJSC_SC_EEENSE_IJSD_SD_EEES6_PlJ7is_evenIiEEEE10hipError_tPvRmT3_T4_T5_T6_T7_T9_mT8_P12ihipStream_tbDpT10_ENKUlT_T0_E_clISt17integral_constantIbLb1EES13_EEDaSY_SZ_EUlSY_E_NS1_11comp_targetILNS1_3genE0ELNS1_11target_archE4294967295ELNS1_3gpuE0ELNS1_3repE0EEENS1_30default_config_static_selectorELNS0_4arch9wavefront6targetE1EEEvT1_
; %bb.0:
	.section	.rodata,"a",@progbits
	.p2align	6, 0x0
	.amdhsa_kernel _ZN7rocprim17ROCPRIM_400000_NS6detail17trampoline_kernelINS0_14default_configENS1_25partition_config_selectorILNS1_17partition_subalgoE0EiNS0_10empty_typeEbEEZZNS1_14partition_implILS5_0ELb0ES3_jN6thrust23THRUST_200600_302600_NS10device_ptrIiEEPS6_SD_NS0_5tupleIJSC_SC_EEENSE_IJSD_SD_EEES6_PlJ7is_evenIiEEEE10hipError_tPvRmT3_T4_T5_T6_T7_T9_mT8_P12ihipStream_tbDpT10_ENKUlT_T0_E_clISt17integral_constantIbLb1EES13_EEDaSY_SZ_EUlSY_E_NS1_11comp_targetILNS1_3genE0ELNS1_11target_archE4294967295ELNS1_3gpuE0ELNS1_3repE0EEENS1_30default_config_static_selectorELNS0_4arch9wavefront6targetE1EEEvT1_
		.amdhsa_group_segment_fixed_size 0
		.amdhsa_private_segment_fixed_size 0
		.amdhsa_kernarg_size 136
		.amdhsa_user_sgpr_count 2
		.amdhsa_user_sgpr_dispatch_ptr 0
		.amdhsa_user_sgpr_queue_ptr 0
		.amdhsa_user_sgpr_kernarg_segment_ptr 1
		.amdhsa_user_sgpr_dispatch_id 0
		.amdhsa_user_sgpr_kernarg_preload_length 0
		.amdhsa_user_sgpr_kernarg_preload_offset 0
		.amdhsa_user_sgpr_private_segment_size 0
		.amdhsa_uses_dynamic_stack 0
		.amdhsa_enable_private_segment 0
		.amdhsa_system_sgpr_workgroup_id_x 1
		.amdhsa_system_sgpr_workgroup_id_y 0
		.amdhsa_system_sgpr_workgroup_id_z 0
		.amdhsa_system_sgpr_workgroup_info 0
		.amdhsa_system_vgpr_workitem_id 0
		.amdhsa_next_free_vgpr 1
		.amdhsa_next_free_sgpr 0
		.amdhsa_accum_offset 4
		.amdhsa_reserve_vcc 0
		.amdhsa_float_round_mode_32 0
		.amdhsa_float_round_mode_16_64 0
		.amdhsa_float_denorm_mode_32 3
		.amdhsa_float_denorm_mode_16_64 3
		.amdhsa_dx10_clamp 1
		.amdhsa_ieee_mode 1
		.amdhsa_fp16_overflow 0
		.amdhsa_tg_split 0
		.amdhsa_exception_fp_ieee_invalid_op 0
		.amdhsa_exception_fp_denorm_src 0
		.amdhsa_exception_fp_ieee_div_zero 0
		.amdhsa_exception_fp_ieee_overflow 0
		.amdhsa_exception_fp_ieee_underflow 0
		.amdhsa_exception_fp_ieee_inexact 0
		.amdhsa_exception_int_div_zero 0
	.end_amdhsa_kernel
	.section	.text._ZN7rocprim17ROCPRIM_400000_NS6detail17trampoline_kernelINS0_14default_configENS1_25partition_config_selectorILNS1_17partition_subalgoE0EiNS0_10empty_typeEbEEZZNS1_14partition_implILS5_0ELb0ES3_jN6thrust23THRUST_200600_302600_NS10device_ptrIiEEPS6_SD_NS0_5tupleIJSC_SC_EEENSE_IJSD_SD_EEES6_PlJ7is_evenIiEEEE10hipError_tPvRmT3_T4_T5_T6_T7_T9_mT8_P12ihipStream_tbDpT10_ENKUlT_T0_E_clISt17integral_constantIbLb1EES13_EEDaSY_SZ_EUlSY_E_NS1_11comp_targetILNS1_3genE0ELNS1_11target_archE4294967295ELNS1_3gpuE0ELNS1_3repE0EEENS1_30default_config_static_selectorELNS0_4arch9wavefront6targetE1EEEvT1_,"axG",@progbits,_ZN7rocprim17ROCPRIM_400000_NS6detail17trampoline_kernelINS0_14default_configENS1_25partition_config_selectorILNS1_17partition_subalgoE0EiNS0_10empty_typeEbEEZZNS1_14partition_implILS5_0ELb0ES3_jN6thrust23THRUST_200600_302600_NS10device_ptrIiEEPS6_SD_NS0_5tupleIJSC_SC_EEENSE_IJSD_SD_EEES6_PlJ7is_evenIiEEEE10hipError_tPvRmT3_T4_T5_T6_T7_T9_mT8_P12ihipStream_tbDpT10_ENKUlT_T0_E_clISt17integral_constantIbLb1EES13_EEDaSY_SZ_EUlSY_E_NS1_11comp_targetILNS1_3genE0ELNS1_11target_archE4294967295ELNS1_3gpuE0ELNS1_3repE0EEENS1_30default_config_static_selectorELNS0_4arch9wavefront6targetE1EEEvT1_,comdat
.Lfunc_end3702:
	.size	_ZN7rocprim17ROCPRIM_400000_NS6detail17trampoline_kernelINS0_14default_configENS1_25partition_config_selectorILNS1_17partition_subalgoE0EiNS0_10empty_typeEbEEZZNS1_14partition_implILS5_0ELb0ES3_jN6thrust23THRUST_200600_302600_NS10device_ptrIiEEPS6_SD_NS0_5tupleIJSC_SC_EEENSE_IJSD_SD_EEES6_PlJ7is_evenIiEEEE10hipError_tPvRmT3_T4_T5_T6_T7_T9_mT8_P12ihipStream_tbDpT10_ENKUlT_T0_E_clISt17integral_constantIbLb1EES13_EEDaSY_SZ_EUlSY_E_NS1_11comp_targetILNS1_3genE0ELNS1_11target_archE4294967295ELNS1_3gpuE0ELNS1_3repE0EEENS1_30default_config_static_selectorELNS0_4arch9wavefront6targetE1EEEvT1_, .Lfunc_end3702-_ZN7rocprim17ROCPRIM_400000_NS6detail17trampoline_kernelINS0_14default_configENS1_25partition_config_selectorILNS1_17partition_subalgoE0EiNS0_10empty_typeEbEEZZNS1_14partition_implILS5_0ELb0ES3_jN6thrust23THRUST_200600_302600_NS10device_ptrIiEEPS6_SD_NS0_5tupleIJSC_SC_EEENSE_IJSD_SD_EEES6_PlJ7is_evenIiEEEE10hipError_tPvRmT3_T4_T5_T6_T7_T9_mT8_P12ihipStream_tbDpT10_ENKUlT_T0_E_clISt17integral_constantIbLb1EES13_EEDaSY_SZ_EUlSY_E_NS1_11comp_targetILNS1_3genE0ELNS1_11target_archE4294967295ELNS1_3gpuE0ELNS1_3repE0EEENS1_30default_config_static_selectorELNS0_4arch9wavefront6targetE1EEEvT1_
                                        ; -- End function
	.section	.AMDGPU.csdata,"",@progbits
; Kernel info:
; codeLenInByte = 0
; NumSgprs: 6
; NumVgprs: 0
; NumAgprs: 0
; TotalNumVgprs: 0
; ScratchSize: 0
; MemoryBound: 0
; FloatMode: 240
; IeeeMode: 1
; LDSByteSize: 0 bytes/workgroup (compile time only)
; SGPRBlocks: 0
; VGPRBlocks: 0
; NumSGPRsForWavesPerEU: 6
; NumVGPRsForWavesPerEU: 1
; AccumOffset: 4
; Occupancy: 8
; WaveLimiterHint : 0
; COMPUTE_PGM_RSRC2:SCRATCH_EN: 0
; COMPUTE_PGM_RSRC2:USER_SGPR: 2
; COMPUTE_PGM_RSRC2:TRAP_HANDLER: 0
; COMPUTE_PGM_RSRC2:TGID_X_EN: 1
; COMPUTE_PGM_RSRC2:TGID_Y_EN: 0
; COMPUTE_PGM_RSRC2:TGID_Z_EN: 0
; COMPUTE_PGM_RSRC2:TIDIG_COMP_CNT: 0
; COMPUTE_PGM_RSRC3_GFX90A:ACCUM_OFFSET: 0
; COMPUTE_PGM_RSRC3_GFX90A:TG_SPLIT: 0
	.section	.text._ZN7rocprim17ROCPRIM_400000_NS6detail17trampoline_kernelINS0_14default_configENS1_25partition_config_selectorILNS1_17partition_subalgoE0EiNS0_10empty_typeEbEEZZNS1_14partition_implILS5_0ELb0ES3_jN6thrust23THRUST_200600_302600_NS10device_ptrIiEEPS6_SD_NS0_5tupleIJSC_SC_EEENSE_IJSD_SD_EEES6_PlJ7is_evenIiEEEE10hipError_tPvRmT3_T4_T5_T6_T7_T9_mT8_P12ihipStream_tbDpT10_ENKUlT_T0_E_clISt17integral_constantIbLb1EES13_EEDaSY_SZ_EUlSY_E_NS1_11comp_targetILNS1_3genE5ELNS1_11target_archE942ELNS1_3gpuE9ELNS1_3repE0EEENS1_30default_config_static_selectorELNS0_4arch9wavefront6targetE1EEEvT1_,"axG",@progbits,_ZN7rocprim17ROCPRIM_400000_NS6detail17trampoline_kernelINS0_14default_configENS1_25partition_config_selectorILNS1_17partition_subalgoE0EiNS0_10empty_typeEbEEZZNS1_14partition_implILS5_0ELb0ES3_jN6thrust23THRUST_200600_302600_NS10device_ptrIiEEPS6_SD_NS0_5tupleIJSC_SC_EEENSE_IJSD_SD_EEES6_PlJ7is_evenIiEEEE10hipError_tPvRmT3_T4_T5_T6_T7_T9_mT8_P12ihipStream_tbDpT10_ENKUlT_T0_E_clISt17integral_constantIbLb1EES13_EEDaSY_SZ_EUlSY_E_NS1_11comp_targetILNS1_3genE5ELNS1_11target_archE942ELNS1_3gpuE9ELNS1_3repE0EEENS1_30default_config_static_selectorELNS0_4arch9wavefront6targetE1EEEvT1_,comdat
	.protected	_ZN7rocprim17ROCPRIM_400000_NS6detail17trampoline_kernelINS0_14default_configENS1_25partition_config_selectorILNS1_17partition_subalgoE0EiNS0_10empty_typeEbEEZZNS1_14partition_implILS5_0ELb0ES3_jN6thrust23THRUST_200600_302600_NS10device_ptrIiEEPS6_SD_NS0_5tupleIJSC_SC_EEENSE_IJSD_SD_EEES6_PlJ7is_evenIiEEEE10hipError_tPvRmT3_T4_T5_T6_T7_T9_mT8_P12ihipStream_tbDpT10_ENKUlT_T0_E_clISt17integral_constantIbLb1EES13_EEDaSY_SZ_EUlSY_E_NS1_11comp_targetILNS1_3genE5ELNS1_11target_archE942ELNS1_3gpuE9ELNS1_3repE0EEENS1_30default_config_static_selectorELNS0_4arch9wavefront6targetE1EEEvT1_ ; -- Begin function _ZN7rocprim17ROCPRIM_400000_NS6detail17trampoline_kernelINS0_14default_configENS1_25partition_config_selectorILNS1_17partition_subalgoE0EiNS0_10empty_typeEbEEZZNS1_14partition_implILS5_0ELb0ES3_jN6thrust23THRUST_200600_302600_NS10device_ptrIiEEPS6_SD_NS0_5tupleIJSC_SC_EEENSE_IJSD_SD_EEES6_PlJ7is_evenIiEEEE10hipError_tPvRmT3_T4_T5_T6_T7_T9_mT8_P12ihipStream_tbDpT10_ENKUlT_T0_E_clISt17integral_constantIbLb1EES13_EEDaSY_SZ_EUlSY_E_NS1_11comp_targetILNS1_3genE5ELNS1_11target_archE942ELNS1_3gpuE9ELNS1_3repE0EEENS1_30default_config_static_selectorELNS0_4arch9wavefront6targetE1EEEvT1_
	.globl	_ZN7rocprim17ROCPRIM_400000_NS6detail17trampoline_kernelINS0_14default_configENS1_25partition_config_selectorILNS1_17partition_subalgoE0EiNS0_10empty_typeEbEEZZNS1_14partition_implILS5_0ELb0ES3_jN6thrust23THRUST_200600_302600_NS10device_ptrIiEEPS6_SD_NS0_5tupleIJSC_SC_EEENSE_IJSD_SD_EEES6_PlJ7is_evenIiEEEE10hipError_tPvRmT3_T4_T5_T6_T7_T9_mT8_P12ihipStream_tbDpT10_ENKUlT_T0_E_clISt17integral_constantIbLb1EES13_EEDaSY_SZ_EUlSY_E_NS1_11comp_targetILNS1_3genE5ELNS1_11target_archE942ELNS1_3gpuE9ELNS1_3repE0EEENS1_30default_config_static_selectorELNS0_4arch9wavefront6targetE1EEEvT1_
	.p2align	8
	.type	_ZN7rocprim17ROCPRIM_400000_NS6detail17trampoline_kernelINS0_14default_configENS1_25partition_config_selectorILNS1_17partition_subalgoE0EiNS0_10empty_typeEbEEZZNS1_14partition_implILS5_0ELb0ES3_jN6thrust23THRUST_200600_302600_NS10device_ptrIiEEPS6_SD_NS0_5tupleIJSC_SC_EEENSE_IJSD_SD_EEES6_PlJ7is_evenIiEEEE10hipError_tPvRmT3_T4_T5_T6_T7_T9_mT8_P12ihipStream_tbDpT10_ENKUlT_T0_E_clISt17integral_constantIbLb1EES13_EEDaSY_SZ_EUlSY_E_NS1_11comp_targetILNS1_3genE5ELNS1_11target_archE942ELNS1_3gpuE9ELNS1_3repE0EEENS1_30default_config_static_selectorELNS0_4arch9wavefront6targetE1EEEvT1_,@function
_ZN7rocprim17ROCPRIM_400000_NS6detail17trampoline_kernelINS0_14default_configENS1_25partition_config_selectorILNS1_17partition_subalgoE0EiNS0_10empty_typeEbEEZZNS1_14partition_implILS5_0ELb0ES3_jN6thrust23THRUST_200600_302600_NS10device_ptrIiEEPS6_SD_NS0_5tupleIJSC_SC_EEENSE_IJSD_SD_EEES6_PlJ7is_evenIiEEEE10hipError_tPvRmT3_T4_T5_T6_T7_T9_mT8_P12ihipStream_tbDpT10_ENKUlT_T0_E_clISt17integral_constantIbLb1EES13_EEDaSY_SZ_EUlSY_E_NS1_11comp_targetILNS1_3genE5ELNS1_11target_archE942ELNS1_3gpuE9ELNS1_3repE0EEENS1_30default_config_static_selectorELNS0_4arch9wavefront6targetE1EEEvT1_: ; @_ZN7rocprim17ROCPRIM_400000_NS6detail17trampoline_kernelINS0_14default_configENS1_25partition_config_selectorILNS1_17partition_subalgoE0EiNS0_10empty_typeEbEEZZNS1_14partition_implILS5_0ELb0ES3_jN6thrust23THRUST_200600_302600_NS10device_ptrIiEEPS6_SD_NS0_5tupleIJSC_SC_EEENSE_IJSD_SD_EEES6_PlJ7is_evenIiEEEE10hipError_tPvRmT3_T4_T5_T6_T7_T9_mT8_P12ihipStream_tbDpT10_ENKUlT_T0_E_clISt17integral_constantIbLb1EES13_EEDaSY_SZ_EUlSY_E_NS1_11comp_targetILNS1_3genE5ELNS1_11target_archE942ELNS1_3gpuE9ELNS1_3repE0EEENS1_30default_config_static_selectorELNS0_4arch9wavefront6targetE1EEEvT1_
; %bb.0:
	s_load_dwordx2 s[2:3], s[0:1], 0x58
	s_load_dwordx4 s[24:27], s[0:1], 0x48
	s_load_dwordx2 s[34:35], s[0:1], 0x68
	v_cmp_eq_u32_e64 s[20:21], 0, v0
	s_and_saveexec_b64 s[4:5], s[20:21]
	s_cbranch_execz .LBB3703_4
; %bb.1:
	s_mov_b64 s[8:9], exec
	v_mbcnt_lo_u32_b32 v1, s8, 0
	v_mbcnt_hi_u32_b32 v1, s9, v1
	v_cmp_eq_u32_e32 vcc, 0, v1
                                        ; implicit-def: $vgpr2
	s_and_saveexec_b64 s[6:7], vcc
	s_cbranch_execz .LBB3703_3
; %bb.2:
	s_load_dwordx2 s[10:11], s[0:1], 0x78
	s_bcnt1_i32_b64 s8, s[8:9]
	v_mov_b32_e32 v2, 0
	v_mov_b32_e32 v3, s8
	s_waitcnt lgkmcnt(0)
	global_atomic_add v2, v2, v3, s[10:11] sc0
.LBB3703_3:
	s_or_b64 exec, exec, s[6:7]
	s_waitcnt vmcnt(0)
	v_readfirstlane_b32 s6, v2
	v_mov_b32_e32 v2, 0
	s_nop 0
	v_add_u32_e32 v1, s6, v1
	ds_write_b32 v2, v1
.LBB3703_4:
	s_or_b64 exec, exec, s[4:5]
	v_mov_b32_e32 v19, 0
	s_load_dwordx4 s[36:39], s[0:1], 0x8
	s_load_dwordx4 s[28:31], s[0:1], 0x28
	s_load_dword s4, s[0:1], 0x70
	s_waitcnt lgkmcnt(0)
	s_barrier
	ds_read_b32 v1, v19
	s_waitcnt lgkmcnt(0)
	s_barrier
	global_load_dwordx2 v[20:21], v19, s[26:27]
	v_mov_b32_e32 v3, s3
	s_lshl_b64 s[0:1], s[38:39], 2
	s_movk_i32 s3, 0x1e00
	s_add_u32 s0, s36, s0
	v_mul_lo_u32 v18, v1, s3
	s_mul_i32 s3, s4, 0x1e00
	s_addc_u32 s1, s37, s1
	s_add_i32 s5, s4, -1
	s_add_i32 s4, s3, s38
	s_sub_i32 s33, s2, s4
	s_addk_i32 s33, 0x1e00
	v_mov_b32_e32 v2, s2
	s_add_u32 s2, s38, s3
	v_readfirstlane_b32 s40, v1
	s_addc_u32 s3, s39, 0
	s_cmp_eq_u32 s40, s5
	s_cselect_b64 s[22:23], -1, 0
	s_cmp_lg_u32 s40, s5
	v_cmp_lt_u64_e32 vcc, s[2:3], v[2:3]
	s_cselect_b64 s[2:3], -1, 0
	s_or_b64 s[4:5], vcc, s[2:3]
	v_lshlrev_b64 v[22:23], 2, v[18:19]
	v_lshl_add_u64 v[24:25], s[0:1], 0, v[22:23]
	s_mov_b64 s[0:1], -1
	s_and_b64 vcc, exec, s[4:5]
	v_lshlrev_b32_e32 v18, 2, v0
	s_cbranch_vccz .LBB3703_6
; %bb.5:
	v_lshl_add_u64 v[2:3], v[24:25], 0, v[18:19]
	v_add_co_u32_e32 v4, vcc, 0x1000, v2
	s_mov_b64 s[0:1], 0
	s_nop 0
	v_addc_co_u32_e32 v5, vcc, 0, v3, vcc
	v_add_co_u32_e32 v6, vcc, 0x2000, v2
	s_nop 1
	v_addc_co_u32_e32 v7, vcc, 0, v3, vcc
	v_add_co_u32_e32 v8, vcc, 0x3000, v2
	s_nop 1
	v_addc_co_u32_e32 v9, vcc, 0, v3, vcc
	flat_load_dword v1, v[2:3]
	flat_load_dword v10, v[2:3] offset:2048
	flat_load_dword v11, v[4:5]
	flat_load_dword v12, v[4:5] offset:2048
	;; [unrolled: 2-line block ×4, first 2 shown]
	v_add_co_u32_e32 v4, vcc, 0x4000, v2
	s_nop 1
	v_addc_co_u32_e32 v5, vcc, 0, v3, vcc
	v_add_co_u32_e32 v6, vcc, 0x5000, v2
	s_nop 1
	v_addc_co_u32_e32 v7, vcc, 0, v3, vcc
	;; [unrolled: 3-line block ×4, first 2 shown]
	flat_load_dword v17, v[4:5]
	flat_load_dword v19, v[4:5] offset:2048
	flat_load_dword v26, v[6:7]
	flat_load_dword v27, v[6:7] offset:2048
	;; [unrolled: 2-line block ×3, first 2 shown]
	flat_load_dword v30, v[2:3]
	s_waitcnt vmcnt(0) lgkmcnt(0)
	ds_write2st64_b32 v18, v1, v10 offset1:8
	ds_write2st64_b32 v18, v11, v12 offset0:16 offset1:24
	ds_write2st64_b32 v18, v13, v14 offset0:32 offset1:40
	;; [unrolled: 1-line block ×6, first 2 shown]
	ds_write_b32 v18, v30 offset:28672
	s_waitcnt lgkmcnt(0)
	s_barrier
.LBB3703_6:
	s_andn2_b64 vcc, exec, s[0:1]
	v_cmp_gt_u32_e64 s[0:1], s33, v0
	s_cbranch_vccnz .LBB3703_38
; %bb.7:
                                        ; implicit-def: $vgpr2_vgpr3_vgpr4_vgpr5_vgpr6_vgpr7_vgpr8_vgpr9_vgpr10_vgpr11_vgpr12_vgpr13_vgpr14_vgpr15_vgpr16_vgpr17
	s_and_saveexec_b64 s[2:3], s[0:1]
	s_cbranch_execz .LBB3703_9
; %bb.8:
	v_mov_b32_e32 v19, 0
	v_lshl_add_u64 v[2:3], v[24:25], 0, v[18:19]
	flat_load_dword v2, v[2:3]
.LBB3703_9:
	s_or_b64 exec, exec, s[2:3]
	v_or_b32_e32 v1, 0x200, v0
	v_cmp_gt_u32_e32 vcc, s33, v1
	s_and_saveexec_b64 s[0:1], vcc
	s_cbranch_execz .LBB3703_11
; %bb.10:
	v_mov_b32_e32 v19, 0
	v_lshl_add_u64 v[26:27], v[24:25], 0, v[18:19]
	flat_load_dword v3, v[26:27] offset:2048
.LBB3703_11:
	s_or_b64 exec, exec, s[0:1]
	v_or_b32_e32 v1, 0x400, v0
	v_cmp_gt_u32_e32 vcc, s33, v1
	s_and_saveexec_b64 s[0:1], vcc
	s_cbranch_execz .LBB3703_13
; %bb.12:
	v_lshlrev_b32_e32 v26, 2, v1
	v_mov_b32_e32 v27, 0
	v_lshl_add_u64 v[26:27], v[24:25], 0, v[26:27]
	flat_load_dword v4, v[26:27]
.LBB3703_13:
	s_or_b64 exec, exec, s[0:1]
	v_or_b32_e32 v1, 0x600, v0
	v_cmp_gt_u32_e32 vcc, s33, v1
	s_and_saveexec_b64 s[0:1], vcc
	s_cbranch_execz .LBB3703_15
; %bb.14:
	v_lshlrev_b32_e32 v26, 2, v1
	v_mov_b32_e32 v27, 0
	v_lshl_add_u64 v[26:27], v[24:25], 0, v[26:27]
	flat_load_dword v5, v[26:27]
.LBB3703_15:
	;; [unrolled: 11-line block ×13, first 2 shown]
	s_or_b64 exec, exec, s[0:1]
	s_waitcnt vmcnt(0) lgkmcnt(0)
	ds_write2st64_b32 v18, v2, v3 offset1:8
	ds_write2st64_b32 v18, v4, v5 offset0:16 offset1:24
	ds_write2st64_b32 v18, v6, v7 offset0:32 offset1:40
	ds_write2st64_b32 v18, v8, v9 offset0:48 offset1:56
	ds_write2st64_b32 v18, v10, v11 offset0:64 offset1:72
	ds_write2st64_b32 v18, v12, v13 offset0:80 offset1:88
	ds_write2st64_b32 v18, v14, v15 offset0:96 offset1:104
	ds_write_b32 v18, v16 offset:28672
	s_waitcnt lgkmcnt(0)
	s_barrier
.LBB3703_38:
	v_mul_u32_u24_e32 v42, 15, v0
	v_lshlrev_b32_e32 v1, 2, v42
	ds_read2_b32 v[36:37], v1 offset1:1
	ds_read2_b32 v[34:35], v1 offset0:2 offset1:3
	ds_read2_b32 v[32:33], v1 offset0:4 offset1:5
	;; [unrolled: 1-line block ×6, first 2 shown]
	ds_read_b32 v1, v1 offset:56
	v_cndmask_b32_e64 v2, 0, 1, s[4:5]
	v_cmp_ne_u32_e64 s[2:3], 1, v2
	s_andn2_b64 vcc, exec, s[4:5]
	s_waitcnt lgkmcnt(7)
	v_xor_b32_e32 v16, -1, v36
	v_xor_b32_e32 v15, -1, v37
	s_waitcnt lgkmcnt(6)
	v_xor_b32_e32 v14, -1, v34
	v_xor_b32_e32 v13, -1, v35
	;; [unrolled: 3-line block ×7, first 2 shown]
	s_waitcnt lgkmcnt(0)
	v_xor_b32_e32 v2, -1, v1
	s_barrier
	s_cbranch_vccnz .LBB3703_40
; %bb.39:
	v_and_b32_e32 v55, 1, v16
	v_and_b32_e32 v54, 1, v15
	;; [unrolled: 1-line block ×15, first 2 shown]
	s_cbranch_execz .LBB3703_41
	s_branch .LBB3703_42
.LBB3703_40:
                                        ; implicit-def: $vgpr19
                                        ; implicit-def: $vgpr41
                                        ; implicit-def: $vgpr43
                                        ; implicit-def: $vgpr44
                                        ; implicit-def: $vgpr45
                                        ; implicit-def: $vgpr46
                                        ; implicit-def: $vgpr47
                                        ; implicit-def: $vgpr48
                                        ; implicit-def: $vgpr49
                                        ; implicit-def: $vgpr55
                                        ; implicit-def: $vgpr54
                                        ; implicit-def: $vgpr53
                                        ; implicit-def: $vgpr52
                                        ; implicit-def: $vgpr51
                                        ; implicit-def: $vgpr50
.LBB3703_41:
	v_add_u32_e32 v48, 1, v42
	v_cmp_gt_u32_e32 vcc, s33, v42
	v_add_u32_e32 v17, 2, v42
	v_add_u32_e32 v47, 3, v42
	v_cndmask_b32_e64 v49, 0, 1, vcc
	v_cmp_gt_u32_e32 vcc, s33, v48
	v_and_b32_e32 v55, v49, v16
	v_add_u32_e32 v19, 4, v42
	v_cndmask_b32_e64 v16, 0, 1, vcc
	v_cmp_gt_u32_e32 vcc, s33, v17
	v_and_b32_e32 v54, v16, v15
	;; [unrolled: 4-line block ×12, first 2 shown]
	s_nop 0
	v_cndmask_b32_e64 v5, 0, 1, vcc
	v_cmp_gt_u32_e32 vcc, s33, v57
	v_and_b32_e32 v43, v5, v4
	s_nop 0
	v_cndmask_b32_e64 v4, 0, 1, vcc
	v_cmp_gt_u32_e32 vcc, s33, v56
	v_and_b32_e32 v41, v4, v3
	s_nop 0
	v_cndmask_b32_e64 v3, 0, 1, vcc
	v_and_b32_e32 v19, v3, v2
.LBB3703_42:
	v_and_b32_e32 v59, 0xff, v52
	v_and_b32_e32 v60, 0xff, v51
	;; [unrolled: 1-line block ×5, first 2 shown]
	v_add3_u32 v3, v60, v61, v59
	v_and_b32_e32 v56, 0xff, v55
	v_and_b32_e32 v62, 0xff, v49
	v_add3_u32 v3, v3, v58, v57
	v_and_b32_e32 v63, 0xff, v48
	v_and_b32_e32 v64, 0xff, v47
	;; [unrolled: 3-line block ×5, first 2 shown]
	v_add3_u32 v3, v3, v67, v68
	v_add3_u32 v72, v3, v69, v2
	v_mbcnt_lo_u32_b32 v2, -1, 0
	v_mbcnt_hi_u32_b32 v70, -1, v2
	v_and_b32_e32 v2, 15, v70
	v_cmp_eq_u32_e64 s[16:17], 0, v2
	v_cmp_lt_u32_e64 s[14:15], 1, v2
	v_cmp_lt_u32_e64 s[12:13], 3, v2
	;; [unrolled: 1-line block ×3, first 2 shown]
	v_and_b32_e32 v2, 16, v70
	v_cmp_eq_u32_e64 s[8:9], 0, v2
	v_or_b32_e32 v2, 63, v0
	s_cmp_lg_u32 s40, 0
	v_cmp_lt_u32_e64 s[4:5], 31, v70
	v_lshrrev_b32_e32 v71, 6, v0
	v_cmp_eq_u32_e64 s[6:7], v2, v0
	s_cbranch_scc0 .LBB3703_73
; %bb.43:
	v_mov_b32_dpp v2, v72 row_shr:1 row_mask:0xf bank_mask:0xf
	v_cndmask_b32_e64 v2, v2, 0, s[16:17]
	v_add_u32_e32 v2, v2, v72
	s_nop 1
	v_mov_b32_dpp v3, v2 row_shr:2 row_mask:0xf bank_mask:0xf
	v_cndmask_b32_e64 v3, 0, v3, s[14:15]
	v_add_u32_e32 v2, v2, v3
	s_nop 1
	;; [unrolled: 4-line block ×4, first 2 shown]
	v_mov_b32_dpp v3, v2 row_bcast:15 row_mask:0xf bank_mask:0xf
	v_cndmask_b32_e64 v3, v3, 0, s[8:9]
	v_add_u32_e32 v2, v2, v3
	s_nop 1
	v_mov_b32_dpp v3, v2 row_bcast:31 row_mask:0xf bank_mask:0xf
	v_cndmask_b32_e64 v3, 0, v3, s[4:5]
	v_add_u32_e32 v2, v2, v3
	s_and_saveexec_b64 s[0:1], s[6:7]
	s_cbranch_execz .LBB3703_45
; %bb.44:
	v_lshlrev_b32_e32 v3, 2, v71
	ds_write_b32 v3, v2
.LBB3703_45:
	s_or_b64 exec, exec, s[0:1]
	v_cmp_gt_u32_e32 vcc, 8, v0
	s_waitcnt lgkmcnt(0)
	s_barrier
	s_and_saveexec_b64 s[0:1], vcc
	s_cbranch_execz .LBB3703_47
; %bb.46:
	ds_read_b32 v3, v18
	v_and_b32_e32 v4, 7, v70
	v_cmp_ne_u32_e32 vcc, 0, v4
	s_waitcnt lgkmcnt(0)
	v_mov_b32_dpp v5, v3 row_shr:1 row_mask:0xf bank_mask:0xf
	v_cndmask_b32_e32 v5, 0, v5, vcc
	v_add_u32_e32 v3, v5, v3
	v_cmp_lt_u32_e32 vcc, 1, v4
	s_nop 0
	v_mov_b32_dpp v5, v3 row_shr:2 row_mask:0xf bank_mask:0xf
	v_cndmask_b32_e32 v5, 0, v5, vcc
	v_add_u32_e32 v3, v3, v5
	v_cmp_lt_u32_e32 vcc, 3, v4
	s_nop 0
	v_mov_b32_dpp v5, v3 row_shr:4 row_mask:0xf bank_mask:0xf
	v_cndmask_b32_e32 v4, 0, v5, vcc
	v_add_u32_e32 v3, v3, v4
	ds_write_b32 v18, v3
.LBB3703_47:
	s_or_b64 exec, exec, s[0:1]
	v_cmp_gt_u32_e32 vcc, 64, v0
	v_cmp_lt_u32_e64 s[0:1], 63, v0
	s_waitcnt lgkmcnt(0)
	s_barrier
	s_waitcnt lgkmcnt(0)
                                        ; implicit-def: $vgpr12
	s_and_saveexec_b64 s[18:19], s[0:1]
	s_cbranch_execz .LBB3703_49
; %bb.48:
	v_lshl_add_u32 v3, v71, 2, -4
	ds_read_b32 v12, v3
	s_waitcnt lgkmcnt(0)
	v_add_u32_e32 v2, v12, v2
.LBB3703_49:
	s_or_b64 exec, exec, s[18:19]
	v_add_u32_e32 v3, -1, v70
	v_and_b32_e32 v4, 64, v70
	v_cmp_lt_i32_e64 s[0:1], v3, v4
	v_cmp_eq_u32_e64 s[18:19], 0, v70
	s_nop 0
	v_cndmask_b32_e64 v3, v3, v70, s[0:1]
	v_lshlrev_b32_e32 v3, 2, v3
	ds_bpermute_b32 v13, v3, v2
	s_and_saveexec_b64 s[0:1], vcc
	s_cbranch_execz .LBB3703_72
; %bb.50:
	v_mov_b32_e32 v11, 0
	ds_read_b32 v2, v11 offset:28
	s_and_saveexec_b64 s[26:27], s[18:19]
	s_cbranch_execz .LBB3703_52
; %bb.51:
	s_add_i32 s36, s40, 64
	s_mov_b32 s37, 0
	s_lshl_b64 s[36:37], s[36:37], 3
	s_add_u32 s36, s34, s36
	v_mov_b32_e32 v3, 1
	s_addc_u32 s37, s35, s37
	s_waitcnt lgkmcnt(0)
	global_store_dwordx2 v11, v[2:3], s[36:37] sc1
.LBB3703_52:
	s_or_b64 exec, exec, s[26:27]
	v_xad_u32 v4, v70, -1, s40
	v_add_u32_e32 v10, 64, v4
	v_lshl_add_u64 v[6:7], v[10:11], 3, s[34:35]
	global_load_dwordx2 v[8:9], v[6:7], off sc1
	s_waitcnt vmcnt(0)
	v_cmp_eq_u16_sdwa s[36:37], v9, v11 src0_sel:BYTE_0 src1_sel:DWORD
	s_and_saveexec_b64 s[26:27], s[36:37]
	s_cbranch_execz .LBB3703_58
; %bb.53:
	s_mov_b32 s41, 1
	s_mov_b64 s[36:37], 0
	v_mov_b32_e32 v3, 0
.LBB3703_54:                            ; =>This Loop Header: Depth=1
                                        ;     Child Loop BB3703_55 Depth 2
	s_max_u32 s42, s41, 1
.LBB3703_55:                            ;   Parent Loop BB3703_54 Depth=1
                                        ; =>  This Inner Loop Header: Depth=2
	s_add_i32 s42, s42, -1
	s_cmp_eq_u32 s42, 0
	s_sleep 1
	s_cbranch_scc0 .LBB3703_55
; %bb.56:                               ;   in Loop: Header=BB3703_54 Depth=1
	global_load_dwordx2 v[8:9], v[6:7], off sc1
	s_cmp_lt_u32 s41, 32
	s_cselect_b64 s[42:43], -1, 0
	s_cmp_lg_u64 s[42:43], 0
	s_addc_u32 s41, s41, 0
	s_waitcnt vmcnt(0)
	v_cmp_ne_u16_sdwa s[42:43], v9, v3 src0_sel:BYTE_0 src1_sel:DWORD
	s_or_b64 s[36:37], s[42:43], s[36:37]
	s_andn2_b64 exec, exec, s[36:37]
	s_cbranch_execnz .LBB3703_54
; %bb.57:
	s_or_b64 exec, exec, s[36:37]
.LBB3703_58:
	s_or_b64 exec, exec, s[26:27]
	v_and_b32_e32 v15, 63, v70
	v_mov_b32_e32 v14, 2
	v_cmp_ne_u32_e32 vcc, 63, v15
	v_cmp_eq_u16_sdwa s[26:27], v9, v14 src0_sel:BYTE_0 src1_sel:DWORD
	v_lshlrev_b64 v[6:7], v70, -1
	v_addc_co_u32_e32 v10, vcc, 0, v70, vcc
	v_and_b32_e32 v3, s27, v7
	v_lshlrev_b32_e32 v16, 2, v10
	v_or_b32_e32 v3, 0x80000000, v3
	ds_bpermute_b32 v10, v16, v8
	v_and_b32_e32 v5, s26, v6
	v_ffbl_b32_e32 v3, v3
	v_add_u32_e32 v3, 32, v3
	v_ffbl_b32_e32 v5, v5
	v_min_u32_e32 v3, v5, v3
	v_cmp_lt_u32_e32 vcc, v15, v3
	v_add_u32_e32 v38, 2, v15
	v_add_u32_e32 v40, 4, v15
	s_waitcnt lgkmcnt(0)
	v_cndmask_b32_e32 v5, 0, v10, vcc
	v_cmp_gt_u32_e32 vcc, 62, v15
	v_add_u32_e32 v5, v5, v8
	v_add_u32_e32 v74, 8, v15
	v_cndmask_b32_e64 v8, 0, 1, vcc
	v_lshlrev_b32_e32 v8, 1, v8
	v_add_lshl_u32 v17, v8, v70, 2
	ds_bpermute_b32 v8, v17, v5
	v_cmp_le_u32_e32 vcc, v38, v3
	v_add_u32_e32 v76, 16, v15
	v_add_u32_e32 v78, 32, v15
	s_waitcnt lgkmcnt(0)
	v_cndmask_b32_e32 v8, 0, v8, vcc
	v_cmp_gt_u32_e32 vcc, 60, v15
	v_add_u32_e32 v5, v5, v8
	s_nop 0
	v_cndmask_b32_e64 v8, 0, 1, vcc
	v_lshlrev_b32_e32 v8, 2, v8
	v_add_lshl_u32 v39, v8, v70, 2
	ds_bpermute_b32 v8, v39, v5
	v_cmp_le_u32_e32 vcc, v40, v3
	s_waitcnt lgkmcnt(0)
	s_nop 0
	v_cndmask_b32_e32 v8, 0, v8, vcc
	v_cmp_gt_u32_e32 vcc, 56, v15
	v_add_u32_e32 v5, v5, v8
	s_nop 0
	v_cndmask_b32_e64 v8, 0, 1, vcc
	v_lshlrev_b32_e32 v8, 3, v8
	v_add_lshl_u32 v73, v8, v70, 2
	ds_bpermute_b32 v8, v73, v5
	v_cmp_le_u32_e32 vcc, v74, v3
	s_waitcnt lgkmcnt(0)
	s_nop 0
	;; [unrolled: 11-line block ×4, first 2 shown]
	v_cndmask_b32_e32 v3, 0, v8, vcc
	v_add_u32_e32 v8, v5, v3
	v_mov_b32_e32 v5, 0
	s_branch .LBB3703_60
.LBB3703_59:                            ;   in Loop: Header=BB3703_60 Depth=1
	s_or_b64 exec, exec, s[26:27]
	v_cmp_eq_u16_sdwa s[26:27], v9, v14 src0_sel:BYTE_0 src1_sel:DWORD
	ds_bpermute_b32 v79, v16, v8
	v_subrev_u32_e32 v4, 64, v4
	v_and_b32_e32 v10, s27, v7
	v_or_b32_e32 v10, 0x80000000, v10
	v_and_b32_e32 v11, s26, v6
	v_ffbl_b32_e32 v10, v10
	v_add_u32_e32 v10, 32, v10
	v_ffbl_b32_e32 v11, v11
	v_min_u32_e32 v10, v11, v10
	v_cmp_lt_u32_e32 vcc, v15, v10
	s_waitcnt lgkmcnt(0)
	s_nop 0
	v_cndmask_b32_e32 v11, 0, v79, vcc
	v_add_u32_e32 v8, v11, v8
	ds_bpermute_b32 v11, v17, v8
	v_cmp_le_u32_e32 vcc, v38, v10
	s_waitcnt lgkmcnt(0)
	s_nop 0
	v_cndmask_b32_e32 v11, 0, v11, vcc
	v_add_u32_e32 v8, v8, v11
	ds_bpermute_b32 v11, v39, v8
	v_cmp_le_u32_e32 vcc, v40, v10
	;; [unrolled: 6-line block ×5, first 2 shown]
	s_waitcnt lgkmcnt(0)
	s_nop 0
	v_cndmask_b32_e32 v10, 0, v11, vcc
	v_add3_u32 v8, v10, v3, v8
.LBB3703_60:                            ; =>This Loop Header: Depth=1
                                        ;     Child Loop BB3703_63 Depth 2
                                        ;       Child Loop BB3703_64 Depth 3
	v_cmp_ne_u16_sdwa s[26:27], v9, v14 src0_sel:BYTE_0 src1_sel:DWORD
	s_nop 1
	v_cndmask_b32_e64 v3, 0, 1, s[26:27]
	;;#ASMSTART
	;;#ASMEND
	s_nop 0
	v_cmp_ne_u32_e32 vcc, 0, v3
	s_cmp_lg_u64 vcc, exec
	v_mov_b32_e32 v3, v8
	s_cbranch_scc1 .LBB3703_67
; %bb.61:                               ;   in Loop: Header=BB3703_60 Depth=1
	v_lshl_add_u64 v[10:11], v[4:5], 3, s[34:35]
	global_load_dwordx2 v[8:9], v[10:11], off sc1
	s_waitcnt vmcnt(0)
	v_cmp_eq_u16_sdwa s[36:37], v9, v5 src0_sel:BYTE_0 src1_sel:DWORD
	s_and_saveexec_b64 s[26:27], s[36:37]
	s_cbranch_execz .LBB3703_59
; %bb.62:                               ;   in Loop: Header=BB3703_60 Depth=1
	s_mov_b32 s41, 1
	s_mov_b64 s[36:37], 0
.LBB3703_63:                            ;   Parent Loop BB3703_60 Depth=1
                                        ; =>  This Loop Header: Depth=2
                                        ;       Child Loop BB3703_64 Depth 3
	s_max_u32 s42, s41, 1
.LBB3703_64:                            ;   Parent Loop BB3703_60 Depth=1
                                        ;     Parent Loop BB3703_63 Depth=2
                                        ; =>    This Inner Loop Header: Depth=3
	s_add_i32 s42, s42, -1
	s_cmp_eq_u32 s42, 0
	s_sleep 1
	s_cbranch_scc0 .LBB3703_64
; %bb.65:                               ;   in Loop: Header=BB3703_63 Depth=2
	global_load_dwordx2 v[8:9], v[10:11], off sc1
	s_cmp_lt_u32 s41, 32
	s_cselect_b64 s[42:43], -1, 0
	s_cmp_lg_u64 s[42:43], 0
	s_addc_u32 s41, s41, 0
	s_waitcnt vmcnt(0)
	v_cmp_ne_u16_sdwa s[42:43], v9, v5 src0_sel:BYTE_0 src1_sel:DWORD
	s_or_b64 s[36:37], s[42:43], s[36:37]
	s_andn2_b64 exec, exec, s[36:37]
	s_cbranch_execnz .LBB3703_63
; %bb.66:                               ;   in Loop: Header=BB3703_60 Depth=1
	s_or_b64 exec, exec, s[36:37]
	s_branch .LBB3703_59
.LBB3703_67:                            ;   in Loop: Header=BB3703_60 Depth=1
                                        ; implicit-def: $vgpr8
                                        ; implicit-def: $vgpr9
	s_cbranch_execz .LBB3703_60
; %bb.68:
	s_and_saveexec_b64 s[26:27], s[18:19]
	s_cbranch_execz .LBB3703_70
; %bb.69:
	s_add_i32 s36, s40, 64
	s_mov_b32 s37, 0
	s_lshl_b64 s[36:37], s[36:37], 3
	s_add_u32 s36, s34, s36
	v_add_u32_e32 v4, v3, v2
	v_mov_b32_e32 v5, 2
	s_addc_u32 s37, s35, s37
	v_mov_b32_e32 v6, 0
	global_store_dwordx2 v6, v[4:5], s[36:37] sc1
	ds_write_b64 v6, v[2:3] offset:30720
.LBB3703_70:
	s_or_b64 exec, exec, s[26:27]
	s_and_b64 exec, exec, s[20:21]
	s_cbranch_execz .LBB3703_72
; %bb.71:
	v_mov_b32_e32 v2, 0
	ds_write_b32 v2, v3 offset:28
.LBB3703_72:
	s_or_b64 exec, exec, s[0:1]
	v_mov_b32_e32 v14, 0
	s_waitcnt lgkmcnt(0)
	s_barrier
	ds_read_b32 v2, v14 offset:28
	v_cndmask_b32_e64 v3, v13, v12, s[18:19]
	v_cndmask_b32_e64 v3, v3, 0, s[20:21]
	s_waitcnt lgkmcnt(0)
	s_barrier
	v_add_u32_e32 v2, v2, v3
	v_add_u32_e32 v3, v2, v56
	;; [unrolled: 1-line block ×10, first 2 shown]
	ds_read_b64 v[38:39], v14 offset:30720
	v_add_u32_e32 v12, v11, v65
	v_add_u32_e32 v13, v12, v66
	;; [unrolled: 1-line block ×5, first 2 shown]
	s_waitcnt lgkmcnt(0)
	v_mov_b32_e32 v40, v39
	s_branch .LBB3703_83
.LBB3703_73:
                                        ; implicit-def: $vgpr40
                                        ; implicit-def: $vgpr38
                                        ; implicit-def: $vgpr2_vgpr3_vgpr4_vgpr5_vgpr6_vgpr7_vgpr8_vgpr9_vgpr10_vgpr11_vgpr12_vgpr13_vgpr14_vgpr15_vgpr16_vgpr17
	s_cbranch_execz .LBB3703_83
; %bb.74:
	s_nop 0
	v_mov_b32_dpp v2, v72 row_shr:1 row_mask:0xf bank_mask:0xf
	v_cndmask_b32_e64 v2, v2, 0, s[16:17]
	v_add_u32_e32 v2, v2, v72
	s_nop 1
	v_mov_b32_dpp v3, v2 row_shr:2 row_mask:0xf bank_mask:0xf
	v_cndmask_b32_e64 v3, 0, v3, s[14:15]
	v_add_u32_e32 v2, v2, v3
	s_nop 1
	v_mov_b32_dpp v3, v2 row_shr:4 row_mask:0xf bank_mask:0xf
	v_cndmask_b32_e64 v3, 0, v3, s[12:13]
	v_add_u32_e32 v2, v2, v3
	s_nop 1
	v_mov_b32_dpp v3, v2 row_shr:8 row_mask:0xf bank_mask:0xf
	v_cndmask_b32_e64 v3, 0, v3, s[10:11]
	v_add_u32_e32 v2, v2, v3
	s_nop 1
	v_mov_b32_dpp v3, v2 row_bcast:15 row_mask:0xf bank_mask:0xf
	v_cndmask_b32_e64 v3, v3, 0, s[8:9]
	v_add_u32_e32 v2, v2, v3
	s_nop 1
	v_mov_b32_dpp v3, v2 row_bcast:31 row_mask:0xf bank_mask:0xf
	v_cndmask_b32_e64 v3, 0, v3, s[4:5]
	v_add_u32_e32 v2, v2, v3
	s_and_saveexec_b64 s[0:1], s[6:7]
	s_cbranch_execz .LBB3703_76
; %bb.75:
	v_lshlrev_b32_e32 v3, 2, v71
	ds_write_b32 v3, v2
.LBB3703_76:
	s_or_b64 exec, exec, s[0:1]
	v_cmp_gt_u32_e32 vcc, 8, v0
	s_waitcnt lgkmcnt(0)
	s_barrier
	s_and_saveexec_b64 s[0:1], vcc
	s_cbranch_execz .LBB3703_78
; %bb.77:
	ds_read_b32 v3, v18
	v_and_b32_e32 v4, 7, v70
	v_cmp_ne_u32_e32 vcc, 0, v4
	s_waitcnt lgkmcnt(0)
	v_mov_b32_dpp v5, v3 row_shr:1 row_mask:0xf bank_mask:0xf
	v_cndmask_b32_e32 v5, 0, v5, vcc
	v_add_u32_e32 v3, v5, v3
	v_cmp_lt_u32_e32 vcc, 1, v4
	s_nop 0
	v_mov_b32_dpp v5, v3 row_shr:2 row_mask:0xf bank_mask:0xf
	v_cndmask_b32_e32 v5, 0, v5, vcc
	v_add_u32_e32 v3, v3, v5
	v_cmp_lt_u32_e32 vcc, 3, v4
	s_nop 0
	v_mov_b32_dpp v5, v3 row_shr:4 row_mask:0xf bank_mask:0xf
	v_cndmask_b32_e32 v4, 0, v5, vcc
	v_add_u32_e32 v3, v3, v4
	ds_write_b32 v18, v3
.LBB3703_78:
	s_or_b64 exec, exec, s[0:1]
	v_cmp_lt_u32_e32 vcc, 63, v0
	v_mov_b32_e32 v4, 0
	v_mov_b32_e32 v3, 0
	s_waitcnt lgkmcnt(0)
	s_barrier
	s_and_saveexec_b64 s[0:1], vcc
	s_cbranch_execz .LBB3703_80
; %bb.79:
	v_lshl_add_u32 v3, v71, 2, -4
	ds_read_b32 v3, v3
.LBB3703_80:
	s_or_b64 exec, exec, s[0:1]
	v_add_u32_e32 v5, -1, v70
	v_and_b32_e32 v6, 64, v70
	v_cmp_lt_i32_e32 vcc, v5, v6
	s_waitcnt lgkmcnt(0)
	v_add_u32_e32 v2, v3, v2
	ds_read_b32 v38, v4 offset:28
	v_cndmask_b32_e32 v5, v5, v70, vcc
	v_lshlrev_b32_e32 v5, 2, v5
	ds_bpermute_b32 v2, v5, v2
	s_and_saveexec_b64 s[0:1], s[20:21]
	s_cbranch_execz .LBB3703_82
; %bb.81:
	v_mov_b32_e32 v4, 0
	v_mov_b32_e32 v39, 2
	s_waitcnt lgkmcnt(1)
	global_store_dwordx2 v4, v[38:39], s[34:35] offset:512 sc1
.LBB3703_82:
	s_or_b64 exec, exec, s[0:1]
	v_cmp_eq_u32_e32 vcc, 0, v70
	v_mov_b32_e32 v40, 0
	s_waitcnt lgkmcnt(0)
	v_cndmask_b32_e32 v2, v2, v3, vcc
	v_cndmask_b32_e64 v2, v2, 0, s[20:21]
	v_add_u32_e32 v3, v2, v56
	v_add_u32_e32 v4, v3, v57
	;; [unrolled: 1-line block ×14, first 2 shown]
	s_barrier
.LBB3703_83:
	v_add_u32_e32 v17, v38, v42
	v_sub_u32_e32 v2, v2, v40
	v_and_b32_e32 v42, 1, v55
	v_sub_u32_e32 v39, v17, v2
	v_cmp_eq_u32_e32 vcc, 1, v42
	v_or_b32_e32 v42, 0x800, v0
	s_nop 0
	v_cndmask_b32_e32 v2, v39, v2, vcc
	v_lshlrev_b32_e32 v2, 2, v2
	ds_write_b32 v2, v36
	v_sub_u32_e32 v2, v3, v40
	v_sub_u32_e32 v3, v17, v2
	v_and_b32_e32 v36, 1, v54
	v_add_u32_e32 v3, 1, v3
	v_cmp_eq_u32_e32 vcc, 1, v36
	v_or_b32_e32 v36, 0xc00, v0
	s_nop 0
	v_cndmask_b32_e32 v2, v3, v2, vcc
	v_lshlrev_b32_e32 v2, 2, v2
	ds_write_b32 v2, v37
	v_sub_u32_e32 v2, v4, v40
	v_sub_u32_e32 v3, v17, v2
	v_and_b32_e32 v4, 1, v53
	v_add_u32_e32 v3, 2, v3
	v_cmp_eq_u32_e32 vcc, 1, v4
	v_and_b32_e32 v4, 1, v52
	v_or_b32_e32 v37, 0xa00, v0
	v_cndmask_b32_e32 v2, v3, v2, vcc
	v_lshlrev_b32_e32 v2, 2, v2
	ds_write_b32 v2, v34
	v_sub_u32_e32 v2, v5, v40
	v_sub_u32_e32 v3, v17, v2
	v_add_u32_e32 v3, 3, v3
	v_cmp_eq_u32_e32 vcc, 1, v4
	v_and_b32_e32 v4, 1, v51
	v_or_b32_e32 v34, 0x1000, v0
	v_cndmask_b32_e32 v2, v3, v2, vcc
	v_lshlrev_b32_e32 v2, 2, v2
	ds_write_b32 v2, v35
	v_sub_u32_e32 v2, v6, v40
	v_sub_u32_e32 v3, v17, v2
	v_add_u32_e32 v3, 4, v3
	v_cmp_eq_u32_e32 vcc, 1, v4
	v_and_b32_e32 v4, 1, v50
	v_or_b32_e32 v35, 0xe00, v0
	v_cndmask_b32_e32 v2, v3, v2, vcc
	v_lshlrev_b32_e32 v2, 2, v2
	ds_write_b32 v2, v32
	v_sub_u32_e32 v2, v7, v40
	v_sub_u32_e32 v3, v17, v2
	v_add_u32_e32 v3, 5, v3
	v_cmp_eq_u32_e32 vcc, 1, v4
	v_and_b32_e32 v4, 1, v49
	v_mov_b32_e32 v7, s39
	v_cndmask_b32_e32 v2, v3, v2, vcc
	v_lshlrev_b32_e32 v2, 2, v2
	ds_write_b32 v2, v33
	v_sub_u32_e32 v2, v8, v40
	v_sub_u32_e32 v3, v17, v2
	v_add_u32_e32 v3, 6, v3
	v_cmp_eq_u32_e32 vcc, 1, v4
	v_and_b32_e32 v4, 1, v48
	v_or_b32_e32 v33, 0x1200, v0
	v_cndmask_b32_e32 v2, v3, v2, vcc
	v_lshlrev_b32_e32 v2, 2, v2
	ds_write_b32 v2, v30
	v_sub_u32_e32 v2, v9, v40
	v_sub_u32_e32 v3, v17, v2
	v_add_u32_e32 v3, 7, v3
	v_cmp_eq_u32_e32 vcc, 1, v4
	v_and_b32_e32 v4, 1, v47
	v_or_b32_e32 v32, 0x1400, v0
	;; [unrolled: 9-line block ×6, first 2 shown]
	v_cndmask_b32_e32 v2, v3, v2, vcc
	v_lshlrev_b32_e32 v2, 2, v2
	ds_write_b32 v2, v27
	v_sub_u32_e32 v2, v14, v40
	v_sub_u32_e32 v3, v17, v2
	v_add_u32_e32 v3, 12, v3
	v_cmp_eq_u32_e32 vcc, 1, v4
	v_and_b32_e32 v4, 1, v41
	v_mov_b32_e32 v41, 0
	v_cndmask_b32_e32 v2, v3, v2, vcc
	v_lshlrev_b32_e32 v2, 2, v2
	ds_write_b32 v2, v24
	v_sub_u32_e32 v2, v15, v40
	v_sub_u32_e32 v3, v17, v2
	v_add_u32_e32 v3, 13, v3
	v_cmp_eq_u32_e32 vcc, 1, v4
	v_and_b32_e32 v4, 1, v19
	s_waitcnt vmcnt(0)
	v_lshl_add_u64 v[8:9], v[20:21], 0, v[40:41]
	v_cndmask_b32_e32 v2, v3, v2, vcc
	v_lshlrev_b32_e32 v2, 2, v2
	ds_write_b32 v2, v25
	v_sub_u32_e32 v2, v16, v40
	v_sub_u32_e32 v3, v17, v2
	v_add_u32_e32 v3, 14, v3
	v_cmp_eq_u32_e32 vcc, 1, v4
	v_mov_b32_e32 v39, v41
	v_or_b32_e32 v30, 0x1800, v0
	v_cndmask_b32_e32 v2, v3, v2, vcc
	v_lshlrev_b32_e32 v2, 2, v2
	ds_write_b32 v2, v1
	v_lshl_add_u64 v[2:3], v[8:9], 0, v[38:39]
	s_waitcnt lgkmcnt(0)
	s_barrier
	ds_read2st64_b32 v[26:27], v18 offset1:8
	ds_read2st64_b32 v[24:25], v18 offset0:16 offset1:24
	ds_read2st64_b32 v[16:17], v18 offset0:32 offset1:40
	;; [unrolled: 1-line block ×6, first 2 shown]
	ds_read_b32 v1, v18 offset:28672
	v_sub_co_u32_e32 v6, vcc, s38, v2
	v_lshlrev_b64 v[8:9], 2, v[8:9]
	s_nop 0
	v_subb_co_u32_e32 v7, vcc, v7, v3, vcc
	v_lshlrev_b64 v[6:7], 2, v[6:7]
	v_lshl_add_u64 v[6:7], s[30:31], 0, v[6:7]
	v_or_b32_e32 v29, 0x1a00, v0
	v_or_b32_e32 v28, 0x1c00, v0
	v_lshl_add_u64 v[6:7], v[6:7], 0, v[22:23]
	s_and_b64 vcc, exec, s[2:3]
	v_lshl_add_u64 v[8:9], s[28:29], 0, v[8:9]
	s_cbranch_vccnz .LBB3703_85
; %bb.84:
	v_cmp_gt_u32_e32 vcc, v38, v0
	v_mov_b32_e32 v19, v41
	v_lshlrev_b32_e32 v40, 2, v44
	v_cndmask_b32_e32 v21, v7, v9, vcc
	v_cndmask_b32_e32 v20, v6, v8, vcc
	v_lshl_add_u64 v[20:21], v[20:21], 0, v[18:19]
	v_cmp_lt_u32_e32 vcc, v45, v38
	s_waitcnt lgkmcnt(7)
	global_store_dword v[20:21], v26, off
	v_cndmask_b32_e32 v21, v7, v9, vcc
	v_cndmask_b32_e32 v20, v6, v8, vcc
	v_lshl_add_u64 v[20:21], v[20:21], 0, v[18:19]
	v_cmp_lt_u32_e32 vcc, v44, v38
	global_store_dword v[20:21], v27, off offset:2048
	s_mov_b64 s[0:1], -1
	v_cndmask_b32_e32 v21, v7, v9, vcc
	v_cndmask_b32_e32 v20, v6, v8, vcc
	v_lshl_add_u64 v[20:21], v[20:21], 0, v[40:41]
	v_cmp_lt_u32_e32 vcc, v43, v38
	s_waitcnt lgkmcnt(6)
	global_store_dword v[20:21], v24, off
	v_lshlrev_b32_e32 v40, 2, v43
	v_cndmask_b32_e32 v21, v7, v9, vcc
	v_cndmask_b32_e32 v20, v6, v8, vcc
	v_lshl_add_u64 v[20:21], v[20:21], 0, v[40:41]
	v_cmp_lt_u32_e32 vcc, v42, v38
	global_store_dword v[20:21], v25, off
	v_lshlrev_b32_e32 v40, 2, v42
	v_cndmask_b32_e32 v21, v7, v9, vcc
	v_cndmask_b32_e32 v20, v6, v8, vcc
	v_lshl_add_u64 v[20:21], v[20:21], 0, v[40:41]
	v_cmp_lt_u32_e32 vcc, v37, v38
	s_waitcnt lgkmcnt(5)
	global_store_dword v[20:21], v16, off
	v_lshlrev_b32_e32 v40, 2, v37
	v_cndmask_b32_e32 v21, v7, v9, vcc
	v_cndmask_b32_e32 v20, v6, v8, vcc
	v_lshl_add_u64 v[20:21], v[20:21], 0, v[40:41]
	v_cmp_lt_u32_e32 vcc, v36, v38
	global_store_dword v[20:21], v17, off
	v_lshlrev_b32_e32 v40, 2, v36
	v_cndmask_b32_e32 v21, v7, v9, vcc
	v_cndmask_b32_e32 v20, v6, v8, vcc
	v_lshl_add_u64 v[20:21], v[20:21], 0, v[40:41]
	v_cmp_lt_u32_e32 vcc, v35, v38
	s_waitcnt lgkmcnt(4)
	global_store_dword v[20:21], v14, off
	v_lshlrev_b32_e32 v40, 2, v35
	v_cndmask_b32_e32 v21, v7, v9, vcc
	v_cndmask_b32_e32 v20, v6, v8, vcc
	v_lshl_add_u64 v[20:21], v[20:21], 0, v[40:41]
	v_cmp_lt_u32_e32 vcc, v34, v38
	global_store_dword v[20:21], v15, off
	v_lshlrev_b32_e32 v40, 2, v34
	v_cndmask_b32_e32 v21, v7, v9, vcc
	v_cndmask_b32_e32 v20, v6, v8, vcc
	v_lshl_add_u64 v[20:21], v[20:21], 0, v[40:41]
	v_cmp_lt_u32_e32 vcc, v33, v38
	s_waitcnt lgkmcnt(3)
	global_store_dword v[20:21], v12, off
	v_lshlrev_b32_e32 v40, 2, v33
	v_cndmask_b32_e32 v21, v7, v9, vcc
	v_cndmask_b32_e32 v20, v6, v8, vcc
	v_lshl_add_u64 v[20:21], v[20:21], 0, v[40:41]
	v_cmp_lt_u32_e32 vcc, v32, v38
	global_store_dword v[20:21], v13, off
	v_lshlrev_b32_e32 v40, 2, v32
	v_cndmask_b32_e32 v21, v7, v9, vcc
	v_cndmask_b32_e32 v20, v6, v8, vcc
	v_lshl_add_u64 v[20:21], v[20:21], 0, v[40:41]
	v_cmp_lt_u32_e32 vcc, v31, v38
	s_waitcnt lgkmcnt(2)
	global_store_dword v[20:21], v10, off
	v_lshlrev_b32_e32 v40, 2, v31
	v_cndmask_b32_e32 v21, v7, v9, vcc
	v_cndmask_b32_e32 v20, v6, v8, vcc
	v_lshl_add_u64 v[20:21], v[20:21], 0, v[40:41]
	v_cmp_lt_u32_e32 vcc, v30, v38
	global_store_dword v[20:21], v11, off
	v_lshlrev_b32_e32 v40, 2, v30
	v_cndmask_b32_e32 v21, v7, v9, vcc
	v_cndmask_b32_e32 v20, v6, v8, vcc
	v_lshl_add_u64 v[20:21], v[20:21], 0, v[40:41]
	v_cmp_lt_u32_e32 vcc, v29, v38
	s_waitcnt lgkmcnt(1)
	global_store_dword v[20:21], v4, off
	v_lshlrev_b32_e32 v40, 2, v29
	v_cndmask_b32_e32 v21, v7, v9, vcc
	v_cndmask_b32_e32 v20, v6, v8, vcc
	v_lshl_add_u64 v[20:21], v[20:21], 0, v[40:41]
	global_store_dword v[20:21], v5, off
	s_cbranch_execz .LBB3703_86
	s_branch .LBB3703_102
.LBB3703_85:
	s_mov_b64 s[0:1], 0
.LBB3703_86:
	v_cmp_gt_u32_e32 vcc, s33, v0
	s_and_saveexec_b64 s[0:1], vcc
	s_cbranch_execnz .LBB3703_107
; %bb.87:
	s_or_b64 exec, exec, s[0:1]
	v_cmp_gt_u32_e32 vcc, s33, v45
	s_and_saveexec_b64 s[0:1], vcc
	s_cbranch_execnz .LBB3703_108
.LBB3703_88:
	s_or_b64 exec, exec, s[0:1]
	v_cmp_gt_u32_e32 vcc, s33, v44
	s_and_saveexec_b64 s[0:1], vcc
	s_cbranch_execnz .LBB3703_109
.LBB3703_89:
	s_or_b64 exec, exec, s[0:1]
	v_cmp_gt_u32_e32 vcc, s33, v43
	s_and_saveexec_b64 s[0:1], vcc
	s_cbranch_execnz .LBB3703_110
.LBB3703_90:
	s_or_b64 exec, exec, s[0:1]
	v_cmp_gt_u32_e32 vcc, s33, v42
	s_and_saveexec_b64 s[0:1], vcc
	s_cbranch_execnz .LBB3703_111
.LBB3703_91:
	s_or_b64 exec, exec, s[0:1]
	v_cmp_gt_u32_e32 vcc, s33, v37
	s_and_saveexec_b64 s[0:1], vcc
	s_cbranch_execnz .LBB3703_112
.LBB3703_92:
	s_or_b64 exec, exec, s[0:1]
	v_cmp_gt_u32_e32 vcc, s33, v36
	s_and_saveexec_b64 s[0:1], vcc
	s_cbranch_execnz .LBB3703_113
.LBB3703_93:
	s_or_b64 exec, exec, s[0:1]
	v_cmp_gt_u32_e32 vcc, s33, v35
	s_and_saveexec_b64 s[0:1], vcc
	s_cbranch_execnz .LBB3703_114
.LBB3703_94:
	s_or_b64 exec, exec, s[0:1]
	v_cmp_gt_u32_e32 vcc, s33, v34
	s_and_saveexec_b64 s[0:1], vcc
	s_cbranch_execnz .LBB3703_115
.LBB3703_95:
	s_or_b64 exec, exec, s[0:1]
	v_cmp_gt_u32_e32 vcc, s33, v33
	s_and_saveexec_b64 s[0:1], vcc
	s_cbranch_execnz .LBB3703_116
.LBB3703_96:
	s_or_b64 exec, exec, s[0:1]
	v_cmp_gt_u32_e32 vcc, s33, v32
	s_and_saveexec_b64 s[0:1], vcc
	s_cbranch_execnz .LBB3703_117
.LBB3703_97:
	s_or_b64 exec, exec, s[0:1]
	v_cmp_gt_u32_e32 vcc, s33, v31
	s_and_saveexec_b64 s[0:1], vcc
	s_cbranch_execnz .LBB3703_118
.LBB3703_98:
	s_or_b64 exec, exec, s[0:1]
	v_cmp_gt_u32_e32 vcc, s33, v30
	s_and_saveexec_b64 s[0:1], vcc
	s_cbranch_execnz .LBB3703_119
.LBB3703_99:
	s_or_b64 exec, exec, s[0:1]
	v_cmp_gt_u32_e32 vcc, s33, v29
	s_and_saveexec_b64 s[0:1], vcc
	s_cbranch_execz .LBB3703_101
.LBB3703_100:
	v_cmp_lt_u32_e32 vcc, v29, v38
	s_waitcnt lgkmcnt(3)
	v_lshlrev_b32_e32 v12, 2, v29
	v_mov_b32_e32 v13, 0
	s_waitcnt lgkmcnt(2)
	v_cndmask_b32_e32 v11, v7, v9, vcc
	v_cndmask_b32_e32 v10, v6, v8, vcc
	v_lshl_add_u64 v[10:11], v[10:11], 0, v[12:13]
	s_waitcnt lgkmcnt(1)
	global_store_dword v[10:11], v5, off
.LBB3703_101:
	s_or_b64 exec, exec, s[0:1]
	v_cmp_gt_u32_e64 s[0:1], s33, v28
.LBB3703_102:
	s_and_saveexec_b64 s[2:3], s[0:1]
	s_cbranch_execnz .LBB3703_105
; %bb.103:
	s_or_b64 exec, exec, s[2:3]
	s_and_b64 s[0:1], s[20:21], s[22:23]
	s_and_saveexec_b64 s[2:3], s[0:1]
	s_cbranch_execnz .LBB3703_106
.LBB3703_104:
	s_endpgm
.LBB3703_105:
	v_cmp_lt_u32_e32 vcc, v28, v38
	s_waitcnt lgkmcnt(1)
	s_nop 0
	v_cndmask_b32_e32 v5, v7, v9, vcc
	v_cndmask_b32_e32 v4, v6, v8, vcc
	v_lshlrev_b32_e32 v6, 2, v28
	v_mov_b32_e32 v7, 0
	v_lshl_add_u64 v[4:5], v[4:5], 0, v[6:7]
	s_waitcnt lgkmcnt(0)
	global_store_dword v[4:5], v1, off
	s_or_b64 exec, exec, s[2:3]
	s_and_b64 s[0:1], s[20:21], s[22:23]
	s_and_saveexec_b64 s[2:3], s[0:1]
	s_cbranch_execz .LBB3703_104
.LBB3703_106:
	v_mov_b32_e32 v0, 0
	global_store_dwordx2 v0, v[2:3], s[24:25]
	s_endpgm
.LBB3703_107:
	v_cmp_gt_u32_e32 vcc, v38, v0
	v_mov_b32_e32 v19, 0
	s_nop 0
	v_cndmask_b32_e32 v21, v7, v9, vcc
	v_cndmask_b32_e32 v20, v6, v8, vcc
	v_lshl_add_u64 v[20:21], v[20:21], 0, v[18:19]
	s_waitcnt lgkmcnt(7)
	global_store_dword v[20:21], v26, off
	s_or_b64 exec, exec, s[0:1]
	v_cmp_gt_u32_e32 vcc, s33, v45
	s_and_saveexec_b64 s[0:1], vcc
	s_cbranch_execz .LBB3703_88
.LBB3703_108:
	v_cmp_lt_u32_e32 vcc, v45, v38
	v_mov_b32_e32 v19, 0
	s_nop 0
	v_cndmask_b32_e32 v21, v7, v9, vcc
	v_cndmask_b32_e32 v20, v6, v8, vcc
	v_lshl_add_u64 v[18:19], v[20:21], 0, v[18:19]
	s_waitcnt lgkmcnt(7)
	global_store_dword v[18:19], v27, off offset:2048
	s_or_b64 exec, exec, s[0:1]
	v_cmp_gt_u32_e32 vcc, s33, v44
	s_and_saveexec_b64 s[0:1], vcc
	s_cbranch_execz .LBB3703_89
.LBB3703_109:
	v_cmp_lt_u32_e32 vcc, v44, v38
	v_lshlrev_b32_e32 v20, 2, v44
	v_mov_b32_e32 v21, 0
	v_cndmask_b32_e32 v19, v7, v9, vcc
	v_cndmask_b32_e32 v18, v6, v8, vcc
	v_lshl_add_u64 v[18:19], v[18:19], 0, v[20:21]
	s_waitcnt lgkmcnt(6)
	global_store_dword v[18:19], v24, off
	s_or_b64 exec, exec, s[0:1]
	v_cmp_gt_u32_e32 vcc, s33, v43
	s_and_saveexec_b64 s[0:1], vcc
	s_cbranch_execz .LBB3703_90
.LBB3703_110:
	v_cmp_lt_u32_e32 vcc, v43, v38
	v_lshlrev_b32_e32 v20, 2, v43
	v_mov_b32_e32 v21, 0
	v_cndmask_b32_e32 v19, v7, v9, vcc
	v_cndmask_b32_e32 v18, v6, v8, vcc
	v_lshl_add_u64 v[18:19], v[18:19], 0, v[20:21]
	s_waitcnt lgkmcnt(6)
	global_store_dword v[18:19], v25, off
	s_or_b64 exec, exec, s[0:1]
	v_cmp_gt_u32_e32 vcc, s33, v42
	s_and_saveexec_b64 s[0:1], vcc
	s_cbranch_execz .LBB3703_91
.LBB3703_111:
	v_cmp_lt_u32_e32 vcc, v42, v38
	v_lshlrev_b32_e32 v20, 2, v42
	v_mov_b32_e32 v21, 0
	v_cndmask_b32_e32 v19, v7, v9, vcc
	v_cndmask_b32_e32 v18, v6, v8, vcc
	v_lshl_add_u64 v[18:19], v[18:19], 0, v[20:21]
	s_waitcnt lgkmcnt(5)
	global_store_dword v[18:19], v16, off
	s_or_b64 exec, exec, s[0:1]
	v_cmp_gt_u32_e32 vcc, s33, v37
	s_and_saveexec_b64 s[0:1], vcc
	s_cbranch_execz .LBB3703_92
.LBB3703_112:
	v_cmp_lt_u32_e32 vcc, v37, v38
	v_lshlrev_b32_e32 v20, 2, v37
	v_mov_b32_e32 v21, 0
	v_cndmask_b32_e32 v19, v7, v9, vcc
	v_cndmask_b32_e32 v18, v6, v8, vcc
	v_lshl_add_u64 v[18:19], v[18:19], 0, v[20:21]
	s_waitcnt lgkmcnt(5)
	global_store_dword v[18:19], v17, off
	s_or_b64 exec, exec, s[0:1]
	v_cmp_gt_u32_e32 vcc, s33, v36
	s_and_saveexec_b64 s[0:1], vcc
	s_cbranch_execz .LBB3703_93
.LBB3703_113:
	v_cmp_lt_u32_e32 vcc, v36, v38
	v_lshlrev_b32_e32 v18, 2, v36
	v_mov_b32_e32 v19, 0
	s_waitcnt lgkmcnt(5)
	v_cndmask_b32_e32 v17, v7, v9, vcc
	v_cndmask_b32_e32 v16, v6, v8, vcc
	v_lshl_add_u64 v[16:17], v[16:17], 0, v[18:19]
	s_waitcnt lgkmcnt(4)
	global_store_dword v[16:17], v14, off
	s_or_b64 exec, exec, s[0:1]
	v_cmp_gt_u32_e32 vcc, s33, v35
	s_and_saveexec_b64 s[0:1], vcc
	s_cbranch_execz .LBB3703_94
.LBB3703_114:
	v_cmp_lt_u32_e32 vcc, v35, v38
	v_lshlrev_b32_e32 v18, 2, v35
	v_mov_b32_e32 v19, 0
	s_waitcnt lgkmcnt(5)
	v_cndmask_b32_e32 v17, v7, v9, vcc
	v_cndmask_b32_e32 v16, v6, v8, vcc
	v_lshl_add_u64 v[16:17], v[16:17], 0, v[18:19]
	s_waitcnt lgkmcnt(4)
	global_store_dword v[16:17], v15, off
	s_or_b64 exec, exec, s[0:1]
	v_cmp_gt_u32_e32 vcc, s33, v34
	s_and_saveexec_b64 s[0:1], vcc
	s_cbranch_execz .LBB3703_95
.LBB3703_115:
	v_cmp_lt_u32_e32 vcc, v34, v38
	s_waitcnt lgkmcnt(5)
	v_lshlrev_b32_e32 v16, 2, v34
	v_mov_b32_e32 v17, 0
	s_waitcnt lgkmcnt(4)
	v_cndmask_b32_e32 v15, v7, v9, vcc
	v_cndmask_b32_e32 v14, v6, v8, vcc
	v_lshl_add_u64 v[14:15], v[14:15], 0, v[16:17]
	s_waitcnt lgkmcnt(3)
	global_store_dword v[14:15], v12, off
	s_or_b64 exec, exec, s[0:1]
	v_cmp_gt_u32_e32 vcc, s33, v33
	s_and_saveexec_b64 s[0:1], vcc
	s_cbranch_execz .LBB3703_96
.LBB3703_116:
	v_cmp_lt_u32_e32 vcc, v33, v38
	s_waitcnt lgkmcnt(5)
	v_lshlrev_b32_e32 v16, 2, v33
	v_mov_b32_e32 v17, 0
	s_waitcnt lgkmcnt(4)
	v_cndmask_b32_e32 v15, v7, v9, vcc
	v_cndmask_b32_e32 v14, v6, v8, vcc
	v_lshl_add_u64 v[14:15], v[14:15], 0, v[16:17]
	s_waitcnt lgkmcnt(3)
	global_store_dword v[14:15], v13, off
	s_or_b64 exec, exec, s[0:1]
	v_cmp_gt_u32_e32 vcc, s33, v32
	s_and_saveexec_b64 s[0:1], vcc
	s_cbranch_execz .LBB3703_97
.LBB3703_117:
	v_cmp_lt_u32_e32 vcc, v32, v38
	s_waitcnt lgkmcnt(4)
	v_lshlrev_b32_e32 v14, 2, v32
	v_mov_b32_e32 v15, 0
	s_waitcnt lgkmcnt(3)
	v_cndmask_b32_e32 v13, v7, v9, vcc
	v_cndmask_b32_e32 v12, v6, v8, vcc
	v_lshl_add_u64 v[12:13], v[12:13], 0, v[14:15]
	s_waitcnt lgkmcnt(2)
	global_store_dword v[12:13], v10, off
	s_or_b64 exec, exec, s[0:1]
	v_cmp_gt_u32_e32 vcc, s33, v31
	s_and_saveexec_b64 s[0:1], vcc
	s_cbranch_execz .LBB3703_98
.LBB3703_118:
	v_cmp_lt_u32_e32 vcc, v31, v38
	s_waitcnt lgkmcnt(4)
	v_lshlrev_b32_e32 v14, 2, v31
	v_mov_b32_e32 v15, 0
	s_waitcnt lgkmcnt(3)
	v_cndmask_b32_e32 v13, v7, v9, vcc
	v_cndmask_b32_e32 v12, v6, v8, vcc
	v_lshl_add_u64 v[12:13], v[12:13], 0, v[14:15]
	s_waitcnt lgkmcnt(2)
	global_store_dword v[12:13], v11, off
	s_or_b64 exec, exec, s[0:1]
	v_cmp_gt_u32_e32 vcc, s33, v30
	s_and_saveexec_b64 s[0:1], vcc
	s_cbranch_execz .LBB3703_99
.LBB3703_119:
	v_cmp_lt_u32_e32 vcc, v30, v38
	s_waitcnt lgkmcnt(3)
	v_lshlrev_b32_e32 v12, 2, v30
	v_mov_b32_e32 v13, 0
	s_waitcnt lgkmcnt(2)
	v_cndmask_b32_e32 v11, v7, v9, vcc
	v_cndmask_b32_e32 v10, v6, v8, vcc
	v_lshl_add_u64 v[10:11], v[10:11], 0, v[12:13]
	s_waitcnt lgkmcnt(1)
	global_store_dword v[10:11], v4, off
	s_or_b64 exec, exec, s[0:1]
	v_cmp_gt_u32_e32 vcc, s33, v29
	s_and_saveexec_b64 s[0:1], vcc
	s_cbranch_execnz .LBB3703_100
	s_branch .LBB3703_101
	.section	.rodata,"a",@progbits
	.p2align	6, 0x0
	.amdhsa_kernel _ZN7rocprim17ROCPRIM_400000_NS6detail17trampoline_kernelINS0_14default_configENS1_25partition_config_selectorILNS1_17partition_subalgoE0EiNS0_10empty_typeEbEEZZNS1_14partition_implILS5_0ELb0ES3_jN6thrust23THRUST_200600_302600_NS10device_ptrIiEEPS6_SD_NS0_5tupleIJSC_SC_EEENSE_IJSD_SD_EEES6_PlJ7is_evenIiEEEE10hipError_tPvRmT3_T4_T5_T6_T7_T9_mT8_P12ihipStream_tbDpT10_ENKUlT_T0_E_clISt17integral_constantIbLb1EES13_EEDaSY_SZ_EUlSY_E_NS1_11comp_targetILNS1_3genE5ELNS1_11target_archE942ELNS1_3gpuE9ELNS1_3repE0EEENS1_30default_config_static_selectorELNS0_4arch9wavefront6targetE1EEEvT1_
		.amdhsa_group_segment_fixed_size 30728
		.amdhsa_private_segment_fixed_size 0
		.amdhsa_kernarg_size 136
		.amdhsa_user_sgpr_count 2
		.amdhsa_user_sgpr_dispatch_ptr 0
		.amdhsa_user_sgpr_queue_ptr 0
		.amdhsa_user_sgpr_kernarg_segment_ptr 1
		.amdhsa_user_sgpr_dispatch_id 0
		.amdhsa_user_sgpr_kernarg_preload_length 0
		.amdhsa_user_sgpr_kernarg_preload_offset 0
		.amdhsa_user_sgpr_private_segment_size 0
		.amdhsa_uses_dynamic_stack 0
		.amdhsa_enable_private_segment 0
		.amdhsa_system_sgpr_workgroup_id_x 1
		.amdhsa_system_sgpr_workgroup_id_y 0
		.amdhsa_system_sgpr_workgroup_id_z 0
		.amdhsa_system_sgpr_workgroup_info 0
		.amdhsa_system_vgpr_workitem_id 0
		.amdhsa_next_free_vgpr 80
		.amdhsa_next_free_sgpr 44
		.amdhsa_accum_offset 80
		.amdhsa_reserve_vcc 1
		.amdhsa_float_round_mode_32 0
		.amdhsa_float_round_mode_16_64 0
		.amdhsa_float_denorm_mode_32 3
		.amdhsa_float_denorm_mode_16_64 3
		.amdhsa_dx10_clamp 1
		.amdhsa_ieee_mode 1
		.amdhsa_fp16_overflow 0
		.amdhsa_tg_split 0
		.amdhsa_exception_fp_ieee_invalid_op 0
		.amdhsa_exception_fp_denorm_src 0
		.amdhsa_exception_fp_ieee_div_zero 0
		.amdhsa_exception_fp_ieee_overflow 0
		.amdhsa_exception_fp_ieee_underflow 0
		.amdhsa_exception_fp_ieee_inexact 0
		.amdhsa_exception_int_div_zero 0
	.end_amdhsa_kernel
	.section	.text._ZN7rocprim17ROCPRIM_400000_NS6detail17trampoline_kernelINS0_14default_configENS1_25partition_config_selectorILNS1_17partition_subalgoE0EiNS0_10empty_typeEbEEZZNS1_14partition_implILS5_0ELb0ES3_jN6thrust23THRUST_200600_302600_NS10device_ptrIiEEPS6_SD_NS0_5tupleIJSC_SC_EEENSE_IJSD_SD_EEES6_PlJ7is_evenIiEEEE10hipError_tPvRmT3_T4_T5_T6_T7_T9_mT8_P12ihipStream_tbDpT10_ENKUlT_T0_E_clISt17integral_constantIbLb1EES13_EEDaSY_SZ_EUlSY_E_NS1_11comp_targetILNS1_3genE5ELNS1_11target_archE942ELNS1_3gpuE9ELNS1_3repE0EEENS1_30default_config_static_selectorELNS0_4arch9wavefront6targetE1EEEvT1_,"axG",@progbits,_ZN7rocprim17ROCPRIM_400000_NS6detail17trampoline_kernelINS0_14default_configENS1_25partition_config_selectorILNS1_17partition_subalgoE0EiNS0_10empty_typeEbEEZZNS1_14partition_implILS5_0ELb0ES3_jN6thrust23THRUST_200600_302600_NS10device_ptrIiEEPS6_SD_NS0_5tupleIJSC_SC_EEENSE_IJSD_SD_EEES6_PlJ7is_evenIiEEEE10hipError_tPvRmT3_T4_T5_T6_T7_T9_mT8_P12ihipStream_tbDpT10_ENKUlT_T0_E_clISt17integral_constantIbLb1EES13_EEDaSY_SZ_EUlSY_E_NS1_11comp_targetILNS1_3genE5ELNS1_11target_archE942ELNS1_3gpuE9ELNS1_3repE0EEENS1_30default_config_static_selectorELNS0_4arch9wavefront6targetE1EEEvT1_,comdat
.Lfunc_end3703:
	.size	_ZN7rocprim17ROCPRIM_400000_NS6detail17trampoline_kernelINS0_14default_configENS1_25partition_config_selectorILNS1_17partition_subalgoE0EiNS0_10empty_typeEbEEZZNS1_14partition_implILS5_0ELb0ES3_jN6thrust23THRUST_200600_302600_NS10device_ptrIiEEPS6_SD_NS0_5tupleIJSC_SC_EEENSE_IJSD_SD_EEES6_PlJ7is_evenIiEEEE10hipError_tPvRmT3_T4_T5_T6_T7_T9_mT8_P12ihipStream_tbDpT10_ENKUlT_T0_E_clISt17integral_constantIbLb1EES13_EEDaSY_SZ_EUlSY_E_NS1_11comp_targetILNS1_3genE5ELNS1_11target_archE942ELNS1_3gpuE9ELNS1_3repE0EEENS1_30default_config_static_selectorELNS0_4arch9wavefront6targetE1EEEvT1_, .Lfunc_end3703-_ZN7rocprim17ROCPRIM_400000_NS6detail17trampoline_kernelINS0_14default_configENS1_25partition_config_selectorILNS1_17partition_subalgoE0EiNS0_10empty_typeEbEEZZNS1_14partition_implILS5_0ELb0ES3_jN6thrust23THRUST_200600_302600_NS10device_ptrIiEEPS6_SD_NS0_5tupleIJSC_SC_EEENSE_IJSD_SD_EEES6_PlJ7is_evenIiEEEE10hipError_tPvRmT3_T4_T5_T6_T7_T9_mT8_P12ihipStream_tbDpT10_ENKUlT_T0_E_clISt17integral_constantIbLb1EES13_EEDaSY_SZ_EUlSY_E_NS1_11comp_targetILNS1_3genE5ELNS1_11target_archE942ELNS1_3gpuE9ELNS1_3repE0EEENS1_30default_config_static_selectorELNS0_4arch9wavefront6targetE1EEEvT1_
                                        ; -- End function
	.section	.AMDGPU.csdata,"",@progbits
; Kernel info:
; codeLenInByte = 6828
; NumSgprs: 50
; NumVgprs: 80
; NumAgprs: 0
; TotalNumVgprs: 80
; ScratchSize: 0
; MemoryBound: 0
; FloatMode: 240
; IeeeMode: 1
; LDSByteSize: 30728 bytes/workgroup (compile time only)
; SGPRBlocks: 6
; VGPRBlocks: 9
; NumSGPRsForWavesPerEU: 50
; NumVGPRsForWavesPerEU: 80
; AccumOffset: 80
; Occupancy: 4
; WaveLimiterHint : 1
; COMPUTE_PGM_RSRC2:SCRATCH_EN: 0
; COMPUTE_PGM_RSRC2:USER_SGPR: 2
; COMPUTE_PGM_RSRC2:TRAP_HANDLER: 0
; COMPUTE_PGM_RSRC2:TGID_X_EN: 1
; COMPUTE_PGM_RSRC2:TGID_Y_EN: 0
; COMPUTE_PGM_RSRC2:TGID_Z_EN: 0
; COMPUTE_PGM_RSRC2:TIDIG_COMP_CNT: 0
; COMPUTE_PGM_RSRC3_GFX90A:ACCUM_OFFSET: 19
; COMPUTE_PGM_RSRC3_GFX90A:TG_SPLIT: 0
	.section	.text._ZN7rocprim17ROCPRIM_400000_NS6detail17trampoline_kernelINS0_14default_configENS1_25partition_config_selectorILNS1_17partition_subalgoE0EiNS0_10empty_typeEbEEZZNS1_14partition_implILS5_0ELb0ES3_jN6thrust23THRUST_200600_302600_NS10device_ptrIiEEPS6_SD_NS0_5tupleIJSC_SC_EEENSE_IJSD_SD_EEES6_PlJ7is_evenIiEEEE10hipError_tPvRmT3_T4_T5_T6_T7_T9_mT8_P12ihipStream_tbDpT10_ENKUlT_T0_E_clISt17integral_constantIbLb1EES13_EEDaSY_SZ_EUlSY_E_NS1_11comp_targetILNS1_3genE4ELNS1_11target_archE910ELNS1_3gpuE8ELNS1_3repE0EEENS1_30default_config_static_selectorELNS0_4arch9wavefront6targetE1EEEvT1_,"axG",@progbits,_ZN7rocprim17ROCPRIM_400000_NS6detail17trampoline_kernelINS0_14default_configENS1_25partition_config_selectorILNS1_17partition_subalgoE0EiNS0_10empty_typeEbEEZZNS1_14partition_implILS5_0ELb0ES3_jN6thrust23THRUST_200600_302600_NS10device_ptrIiEEPS6_SD_NS0_5tupleIJSC_SC_EEENSE_IJSD_SD_EEES6_PlJ7is_evenIiEEEE10hipError_tPvRmT3_T4_T5_T6_T7_T9_mT8_P12ihipStream_tbDpT10_ENKUlT_T0_E_clISt17integral_constantIbLb1EES13_EEDaSY_SZ_EUlSY_E_NS1_11comp_targetILNS1_3genE4ELNS1_11target_archE910ELNS1_3gpuE8ELNS1_3repE0EEENS1_30default_config_static_selectorELNS0_4arch9wavefront6targetE1EEEvT1_,comdat
	.protected	_ZN7rocprim17ROCPRIM_400000_NS6detail17trampoline_kernelINS0_14default_configENS1_25partition_config_selectorILNS1_17partition_subalgoE0EiNS0_10empty_typeEbEEZZNS1_14partition_implILS5_0ELb0ES3_jN6thrust23THRUST_200600_302600_NS10device_ptrIiEEPS6_SD_NS0_5tupleIJSC_SC_EEENSE_IJSD_SD_EEES6_PlJ7is_evenIiEEEE10hipError_tPvRmT3_T4_T5_T6_T7_T9_mT8_P12ihipStream_tbDpT10_ENKUlT_T0_E_clISt17integral_constantIbLb1EES13_EEDaSY_SZ_EUlSY_E_NS1_11comp_targetILNS1_3genE4ELNS1_11target_archE910ELNS1_3gpuE8ELNS1_3repE0EEENS1_30default_config_static_selectorELNS0_4arch9wavefront6targetE1EEEvT1_ ; -- Begin function _ZN7rocprim17ROCPRIM_400000_NS6detail17trampoline_kernelINS0_14default_configENS1_25partition_config_selectorILNS1_17partition_subalgoE0EiNS0_10empty_typeEbEEZZNS1_14partition_implILS5_0ELb0ES3_jN6thrust23THRUST_200600_302600_NS10device_ptrIiEEPS6_SD_NS0_5tupleIJSC_SC_EEENSE_IJSD_SD_EEES6_PlJ7is_evenIiEEEE10hipError_tPvRmT3_T4_T5_T6_T7_T9_mT8_P12ihipStream_tbDpT10_ENKUlT_T0_E_clISt17integral_constantIbLb1EES13_EEDaSY_SZ_EUlSY_E_NS1_11comp_targetILNS1_3genE4ELNS1_11target_archE910ELNS1_3gpuE8ELNS1_3repE0EEENS1_30default_config_static_selectorELNS0_4arch9wavefront6targetE1EEEvT1_
	.globl	_ZN7rocprim17ROCPRIM_400000_NS6detail17trampoline_kernelINS0_14default_configENS1_25partition_config_selectorILNS1_17partition_subalgoE0EiNS0_10empty_typeEbEEZZNS1_14partition_implILS5_0ELb0ES3_jN6thrust23THRUST_200600_302600_NS10device_ptrIiEEPS6_SD_NS0_5tupleIJSC_SC_EEENSE_IJSD_SD_EEES6_PlJ7is_evenIiEEEE10hipError_tPvRmT3_T4_T5_T6_T7_T9_mT8_P12ihipStream_tbDpT10_ENKUlT_T0_E_clISt17integral_constantIbLb1EES13_EEDaSY_SZ_EUlSY_E_NS1_11comp_targetILNS1_3genE4ELNS1_11target_archE910ELNS1_3gpuE8ELNS1_3repE0EEENS1_30default_config_static_selectorELNS0_4arch9wavefront6targetE1EEEvT1_
	.p2align	8
	.type	_ZN7rocprim17ROCPRIM_400000_NS6detail17trampoline_kernelINS0_14default_configENS1_25partition_config_selectorILNS1_17partition_subalgoE0EiNS0_10empty_typeEbEEZZNS1_14partition_implILS5_0ELb0ES3_jN6thrust23THRUST_200600_302600_NS10device_ptrIiEEPS6_SD_NS0_5tupleIJSC_SC_EEENSE_IJSD_SD_EEES6_PlJ7is_evenIiEEEE10hipError_tPvRmT3_T4_T5_T6_T7_T9_mT8_P12ihipStream_tbDpT10_ENKUlT_T0_E_clISt17integral_constantIbLb1EES13_EEDaSY_SZ_EUlSY_E_NS1_11comp_targetILNS1_3genE4ELNS1_11target_archE910ELNS1_3gpuE8ELNS1_3repE0EEENS1_30default_config_static_selectorELNS0_4arch9wavefront6targetE1EEEvT1_,@function
_ZN7rocprim17ROCPRIM_400000_NS6detail17trampoline_kernelINS0_14default_configENS1_25partition_config_selectorILNS1_17partition_subalgoE0EiNS0_10empty_typeEbEEZZNS1_14partition_implILS5_0ELb0ES3_jN6thrust23THRUST_200600_302600_NS10device_ptrIiEEPS6_SD_NS0_5tupleIJSC_SC_EEENSE_IJSD_SD_EEES6_PlJ7is_evenIiEEEE10hipError_tPvRmT3_T4_T5_T6_T7_T9_mT8_P12ihipStream_tbDpT10_ENKUlT_T0_E_clISt17integral_constantIbLb1EES13_EEDaSY_SZ_EUlSY_E_NS1_11comp_targetILNS1_3genE4ELNS1_11target_archE910ELNS1_3gpuE8ELNS1_3repE0EEENS1_30default_config_static_selectorELNS0_4arch9wavefront6targetE1EEEvT1_: ; @_ZN7rocprim17ROCPRIM_400000_NS6detail17trampoline_kernelINS0_14default_configENS1_25partition_config_selectorILNS1_17partition_subalgoE0EiNS0_10empty_typeEbEEZZNS1_14partition_implILS5_0ELb0ES3_jN6thrust23THRUST_200600_302600_NS10device_ptrIiEEPS6_SD_NS0_5tupleIJSC_SC_EEENSE_IJSD_SD_EEES6_PlJ7is_evenIiEEEE10hipError_tPvRmT3_T4_T5_T6_T7_T9_mT8_P12ihipStream_tbDpT10_ENKUlT_T0_E_clISt17integral_constantIbLb1EES13_EEDaSY_SZ_EUlSY_E_NS1_11comp_targetILNS1_3genE4ELNS1_11target_archE910ELNS1_3gpuE8ELNS1_3repE0EEENS1_30default_config_static_selectorELNS0_4arch9wavefront6targetE1EEEvT1_
; %bb.0:
	.section	.rodata,"a",@progbits
	.p2align	6, 0x0
	.amdhsa_kernel _ZN7rocprim17ROCPRIM_400000_NS6detail17trampoline_kernelINS0_14default_configENS1_25partition_config_selectorILNS1_17partition_subalgoE0EiNS0_10empty_typeEbEEZZNS1_14partition_implILS5_0ELb0ES3_jN6thrust23THRUST_200600_302600_NS10device_ptrIiEEPS6_SD_NS0_5tupleIJSC_SC_EEENSE_IJSD_SD_EEES6_PlJ7is_evenIiEEEE10hipError_tPvRmT3_T4_T5_T6_T7_T9_mT8_P12ihipStream_tbDpT10_ENKUlT_T0_E_clISt17integral_constantIbLb1EES13_EEDaSY_SZ_EUlSY_E_NS1_11comp_targetILNS1_3genE4ELNS1_11target_archE910ELNS1_3gpuE8ELNS1_3repE0EEENS1_30default_config_static_selectorELNS0_4arch9wavefront6targetE1EEEvT1_
		.amdhsa_group_segment_fixed_size 0
		.amdhsa_private_segment_fixed_size 0
		.amdhsa_kernarg_size 136
		.amdhsa_user_sgpr_count 2
		.amdhsa_user_sgpr_dispatch_ptr 0
		.amdhsa_user_sgpr_queue_ptr 0
		.amdhsa_user_sgpr_kernarg_segment_ptr 1
		.amdhsa_user_sgpr_dispatch_id 0
		.amdhsa_user_sgpr_kernarg_preload_length 0
		.amdhsa_user_sgpr_kernarg_preload_offset 0
		.amdhsa_user_sgpr_private_segment_size 0
		.amdhsa_uses_dynamic_stack 0
		.amdhsa_enable_private_segment 0
		.amdhsa_system_sgpr_workgroup_id_x 1
		.amdhsa_system_sgpr_workgroup_id_y 0
		.amdhsa_system_sgpr_workgroup_id_z 0
		.amdhsa_system_sgpr_workgroup_info 0
		.amdhsa_system_vgpr_workitem_id 0
		.amdhsa_next_free_vgpr 1
		.amdhsa_next_free_sgpr 0
		.amdhsa_accum_offset 4
		.amdhsa_reserve_vcc 0
		.amdhsa_float_round_mode_32 0
		.amdhsa_float_round_mode_16_64 0
		.amdhsa_float_denorm_mode_32 3
		.amdhsa_float_denorm_mode_16_64 3
		.amdhsa_dx10_clamp 1
		.amdhsa_ieee_mode 1
		.amdhsa_fp16_overflow 0
		.amdhsa_tg_split 0
		.amdhsa_exception_fp_ieee_invalid_op 0
		.amdhsa_exception_fp_denorm_src 0
		.amdhsa_exception_fp_ieee_div_zero 0
		.amdhsa_exception_fp_ieee_overflow 0
		.amdhsa_exception_fp_ieee_underflow 0
		.amdhsa_exception_fp_ieee_inexact 0
		.amdhsa_exception_int_div_zero 0
	.end_amdhsa_kernel
	.section	.text._ZN7rocprim17ROCPRIM_400000_NS6detail17trampoline_kernelINS0_14default_configENS1_25partition_config_selectorILNS1_17partition_subalgoE0EiNS0_10empty_typeEbEEZZNS1_14partition_implILS5_0ELb0ES3_jN6thrust23THRUST_200600_302600_NS10device_ptrIiEEPS6_SD_NS0_5tupleIJSC_SC_EEENSE_IJSD_SD_EEES6_PlJ7is_evenIiEEEE10hipError_tPvRmT3_T4_T5_T6_T7_T9_mT8_P12ihipStream_tbDpT10_ENKUlT_T0_E_clISt17integral_constantIbLb1EES13_EEDaSY_SZ_EUlSY_E_NS1_11comp_targetILNS1_3genE4ELNS1_11target_archE910ELNS1_3gpuE8ELNS1_3repE0EEENS1_30default_config_static_selectorELNS0_4arch9wavefront6targetE1EEEvT1_,"axG",@progbits,_ZN7rocprim17ROCPRIM_400000_NS6detail17trampoline_kernelINS0_14default_configENS1_25partition_config_selectorILNS1_17partition_subalgoE0EiNS0_10empty_typeEbEEZZNS1_14partition_implILS5_0ELb0ES3_jN6thrust23THRUST_200600_302600_NS10device_ptrIiEEPS6_SD_NS0_5tupleIJSC_SC_EEENSE_IJSD_SD_EEES6_PlJ7is_evenIiEEEE10hipError_tPvRmT3_T4_T5_T6_T7_T9_mT8_P12ihipStream_tbDpT10_ENKUlT_T0_E_clISt17integral_constantIbLb1EES13_EEDaSY_SZ_EUlSY_E_NS1_11comp_targetILNS1_3genE4ELNS1_11target_archE910ELNS1_3gpuE8ELNS1_3repE0EEENS1_30default_config_static_selectorELNS0_4arch9wavefront6targetE1EEEvT1_,comdat
.Lfunc_end3704:
	.size	_ZN7rocprim17ROCPRIM_400000_NS6detail17trampoline_kernelINS0_14default_configENS1_25partition_config_selectorILNS1_17partition_subalgoE0EiNS0_10empty_typeEbEEZZNS1_14partition_implILS5_0ELb0ES3_jN6thrust23THRUST_200600_302600_NS10device_ptrIiEEPS6_SD_NS0_5tupleIJSC_SC_EEENSE_IJSD_SD_EEES6_PlJ7is_evenIiEEEE10hipError_tPvRmT3_T4_T5_T6_T7_T9_mT8_P12ihipStream_tbDpT10_ENKUlT_T0_E_clISt17integral_constantIbLb1EES13_EEDaSY_SZ_EUlSY_E_NS1_11comp_targetILNS1_3genE4ELNS1_11target_archE910ELNS1_3gpuE8ELNS1_3repE0EEENS1_30default_config_static_selectorELNS0_4arch9wavefront6targetE1EEEvT1_, .Lfunc_end3704-_ZN7rocprim17ROCPRIM_400000_NS6detail17trampoline_kernelINS0_14default_configENS1_25partition_config_selectorILNS1_17partition_subalgoE0EiNS0_10empty_typeEbEEZZNS1_14partition_implILS5_0ELb0ES3_jN6thrust23THRUST_200600_302600_NS10device_ptrIiEEPS6_SD_NS0_5tupleIJSC_SC_EEENSE_IJSD_SD_EEES6_PlJ7is_evenIiEEEE10hipError_tPvRmT3_T4_T5_T6_T7_T9_mT8_P12ihipStream_tbDpT10_ENKUlT_T0_E_clISt17integral_constantIbLb1EES13_EEDaSY_SZ_EUlSY_E_NS1_11comp_targetILNS1_3genE4ELNS1_11target_archE910ELNS1_3gpuE8ELNS1_3repE0EEENS1_30default_config_static_selectorELNS0_4arch9wavefront6targetE1EEEvT1_
                                        ; -- End function
	.section	.AMDGPU.csdata,"",@progbits
; Kernel info:
; codeLenInByte = 0
; NumSgprs: 6
; NumVgprs: 0
; NumAgprs: 0
; TotalNumVgprs: 0
; ScratchSize: 0
; MemoryBound: 0
; FloatMode: 240
; IeeeMode: 1
; LDSByteSize: 0 bytes/workgroup (compile time only)
; SGPRBlocks: 0
; VGPRBlocks: 0
; NumSGPRsForWavesPerEU: 6
; NumVGPRsForWavesPerEU: 1
; AccumOffset: 4
; Occupancy: 8
; WaveLimiterHint : 0
; COMPUTE_PGM_RSRC2:SCRATCH_EN: 0
; COMPUTE_PGM_RSRC2:USER_SGPR: 2
; COMPUTE_PGM_RSRC2:TRAP_HANDLER: 0
; COMPUTE_PGM_RSRC2:TGID_X_EN: 1
; COMPUTE_PGM_RSRC2:TGID_Y_EN: 0
; COMPUTE_PGM_RSRC2:TGID_Z_EN: 0
; COMPUTE_PGM_RSRC2:TIDIG_COMP_CNT: 0
; COMPUTE_PGM_RSRC3_GFX90A:ACCUM_OFFSET: 0
; COMPUTE_PGM_RSRC3_GFX90A:TG_SPLIT: 0
	.section	.text._ZN7rocprim17ROCPRIM_400000_NS6detail17trampoline_kernelINS0_14default_configENS1_25partition_config_selectorILNS1_17partition_subalgoE0EiNS0_10empty_typeEbEEZZNS1_14partition_implILS5_0ELb0ES3_jN6thrust23THRUST_200600_302600_NS10device_ptrIiEEPS6_SD_NS0_5tupleIJSC_SC_EEENSE_IJSD_SD_EEES6_PlJ7is_evenIiEEEE10hipError_tPvRmT3_T4_T5_T6_T7_T9_mT8_P12ihipStream_tbDpT10_ENKUlT_T0_E_clISt17integral_constantIbLb1EES13_EEDaSY_SZ_EUlSY_E_NS1_11comp_targetILNS1_3genE3ELNS1_11target_archE908ELNS1_3gpuE7ELNS1_3repE0EEENS1_30default_config_static_selectorELNS0_4arch9wavefront6targetE1EEEvT1_,"axG",@progbits,_ZN7rocprim17ROCPRIM_400000_NS6detail17trampoline_kernelINS0_14default_configENS1_25partition_config_selectorILNS1_17partition_subalgoE0EiNS0_10empty_typeEbEEZZNS1_14partition_implILS5_0ELb0ES3_jN6thrust23THRUST_200600_302600_NS10device_ptrIiEEPS6_SD_NS0_5tupleIJSC_SC_EEENSE_IJSD_SD_EEES6_PlJ7is_evenIiEEEE10hipError_tPvRmT3_T4_T5_T6_T7_T9_mT8_P12ihipStream_tbDpT10_ENKUlT_T0_E_clISt17integral_constantIbLb1EES13_EEDaSY_SZ_EUlSY_E_NS1_11comp_targetILNS1_3genE3ELNS1_11target_archE908ELNS1_3gpuE7ELNS1_3repE0EEENS1_30default_config_static_selectorELNS0_4arch9wavefront6targetE1EEEvT1_,comdat
	.protected	_ZN7rocprim17ROCPRIM_400000_NS6detail17trampoline_kernelINS0_14default_configENS1_25partition_config_selectorILNS1_17partition_subalgoE0EiNS0_10empty_typeEbEEZZNS1_14partition_implILS5_0ELb0ES3_jN6thrust23THRUST_200600_302600_NS10device_ptrIiEEPS6_SD_NS0_5tupleIJSC_SC_EEENSE_IJSD_SD_EEES6_PlJ7is_evenIiEEEE10hipError_tPvRmT3_T4_T5_T6_T7_T9_mT8_P12ihipStream_tbDpT10_ENKUlT_T0_E_clISt17integral_constantIbLb1EES13_EEDaSY_SZ_EUlSY_E_NS1_11comp_targetILNS1_3genE3ELNS1_11target_archE908ELNS1_3gpuE7ELNS1_3repE0EEENS1_30default_config_static_selectorELNS0_4arch9wavefront6targetE1EEEvT1_ ; -- Begin function _ZN7rocprim17ROCPRIM_400000_NS6detail17trampoline_kernelINS0_14default_configENS1_25partition_config_selectorILNS1_17partition_subalgoE0EiNS0_10empty_typeEbEEZZNS1_14partition_implILS5_0ELb0ES3_jN6thrust23THRUST_200600_302600_NS10device_ptrIiEEPS6_SD_NS0_5tupleIJSC_SC_EEENSE_IJSD_SD_EEES6_PlJ7is_evenIiEEEE10hipError_tPvRmT3_T4_T5_T6_T7_T9_mT8_P12ihipStream_tbDpT10_ENKUlT_T0_E_clISt17integral_constantIbLb1EES13_EEDaSY_SZ_EUlSY_E_NS1_11comp_targetILNS1_3genE3ELNS1_11target_archE908ELNS1_3gpuE7ELNS1_3repE0EEENS1_30default_config_static_selectorELNS0_4arch9wavefront6targetE1EEEvT1_
	.globl	_ZN7rocprim17ROCPRIM_400000_NS6detail17trampoline_kernelINS0_14default_configENS1_25partition_config_selectorILNS1_17partition_subalgoE0EiNS0_10empty_typeEbEEZZNS1_14partition_implILS5_0ELb0ES3_jN6thrust23THRUST_200600_302600_NS10device_ptrIiEEPS6_SD_NS0_5tupleIJSC_SC_EEENSE_IJSD_SD_EEES6_PlJ7is_evenIiEEEE10hipError_tPvRmT3_T4_T5_T6_T7_T9_mT8_P12ihipStream_tbDpT10_ENKUlT_T0_E_clISt17integral_constantIbLb1EES13_EEDaSY_SZ_EUlSY_E_NS1_11comp_targetILNS1_3genE3ELNS1_11target_archE908ELNS1_3gpuE7ELNS1_3repE0EEENS1_30default_config_static_selectorELNS0_4arch9wavefront6targetE1EEEvT1_
	.p2align	8
	.type	_ZN7rocprim17ROCPRIM_400000_NS6detail17trampoline_kernelINS0_14default_configENS1_25partition_config_selectorILNS1_17partition_subalgoE0EiNS0_10empty_typeEbEEZZNS1_14partition_implILS5_0ELb0ES3_jN6thrust23THRUST_200600_302600_NS10device_ptrIiEEPS6_SD_NS0_5tupleIJSC_SC_EEENSE_IJSD_SD_EEES6_PlJ7is_evenIiEEEE10hipError_tPvRmT3_T4_T5_T6_T7_T9_mT8_P12ihipStream_tbDpT10_ENKUlT_T0_E_clISt17integral_constantIbLb1EES13_EEDaSY_SZ_EUlSY_E_NS1_11comp_targetILNS1_3genE3ELNS1_11target_archE908ELNS1_3gpuE7ELNS1_3repE0EEENS1_30default_config_static_selectorELNS0_4arch9wavefront6targetE1EEEvT1_,@function
_ZN7rocprim17ROCPRIM_400000_NS6detail17trampoline_kernelINS0_14default_configENS1_25partition_config_selectorILNS1_17partition_subalgoE0EiNS0_10empty_typeEbEEZZNS1_14partition_implILS5_0ELb0ES3_jN6thrust23THRUST_200600_302600_NS10device_ptrIiEEPS6_SD_NS0_5tupleIJSC_SC_EEENSE_IJSD_SD_EEES6_PlJ7is_evenIiEEEE10hipError_tPvRmT3_T4_T5_T6_T7_T9_mT8_P12ihipStream_tbDpT10_ENKUlT_T0_E_clISt17integral_constantIbLb1EES13_EEDaSY_SZ_EUlSY_E_NS1_11comp_targetILNS1_3genE3ELNS1_11target_archE908ELNS1_3gpuE7ELNS1_3repE0EEENS1_30default_config_static_selectorELNS0_4arch9wavefront6targetE1EEEvT1_: ; @_ZN7rocprim17ROCPRIM_400000_NS6detail17trampoline_kernelINS0_14default_configENS1_25partition_config_selectorILNS1_17partition_subalgoE0EiNS0_10empty_typeEbEEZZNS1_14partition_implILS5_0ELb0ES3_jN6thrust23THRUST_200600_302600_NS10device_ptrIiEEPS6_SD_NS0_5tupleIJSC_SC_EEENSE_IJSD_SD_EEES6_PlJ7is_evenIiEEEE10hipError_tPvRmT3_T4_T5_T6_T7_T9_mT8_P12ihipStream_tbDpT10_ENKUlT_T0_E_clISt17integral_constantIbLb1EES13_EEDaSY_SZ_EUlSY_E_NS1_11comp_targetILNS1_3genE3ELNS1_11target_archE908ELNS1_3gpuE7ELNS1_3repE0EEENS1_30default_config_static_selectorELNS0_4arch9wavefront6targetE1EEEvT1_
; %bb.0:
	.section	.rodata,"a",@progbits
	.p2align	6, 0x0
	.amdhsa_kernel _ZN7rocprim17ROCPRIM_400000_NS6detail17trampoline_kernelINS0_14default_configENS1_25partition_config_selectorILNS1_17partition_subalgoE0EiNS0_10empty_typeEbEEZZNS1_14partition_implILS5_0ELb0ES3_jN6thrust23THRUST_200600_302600_NS10device_ptrIiEEPS6_SD_NS0_5tupleIJSC_SC_EEENSE_IJSD_SD_EEES6_PlJ7is_evenIiEEEE10hipError_tPvRmT3_T4_T5_T6_T7_T9_mT8_P12ihipStream_tbDpT10_ENKUlT_T0_E_clISt17integral_constantIbLb1EES13_EEDaSY_SZ_EUlSY_E_NS1_11comp_targetILNS1_3genE3ELNS1_11target_archE908ELNS1_3gpuE7ELNS1_3repE0EEENS1_30default_config_static_selectorELNS0_4arch9wavefront6targetE1EEEvT1_
		.amdhsa_group_segment_fixed_size 0
		.amdhsa_private_segment_fixed_size 0
		.amdhsa_kernarg_size 136
		.amdhsa_user_sgpr_count 2
		.amdhsa_user_sgpr_dispatch_ptr 0
		.amdhsa_user_sgpr_queue_ptr 0
		.amdhsa_user_sgpr_kernarg_segment_ptr 1
		.amdhsa_user_sgpr_dispatch_id 0
		.amdhsa_user_sgpr_kernarg_preload_length 0
		.amdhsa_user_sgpr_kernarg_preload_offset 0
		.amdhsa_user_sgpr_private_segment_size 0
		.amdhsa_uses_dynamic_stack 0
		.amdhsa_enable_private_segment 0
		.amdhsa_system_sgpr_workgroup_id_x 1
		.amdhsa_system_sgpr_workgroup_id_y 0
		.amdhsa_system_sgpr_workgroup_id_z 0
		.amdhsa_system_sgpr_workgroup_info 0
		.amdhsa_system_vgpr_workitem_id 0
		.amdhsa_next_free_vgpr 1
		.amdhsa_next_free_sgpr 0
		.amdhsa_accum_offset 4
		.amdhsa_reserve_vcc 0
		.amdhsa_float_round_mode_32 0
		.amdhsa_float_round_mode_16_64 0
		.amdhsa_float_denorm_mode_32 3
		.amdhsa_float_denorm_mode_16_64 3
		.amdhsa_dx10_clamp 1
		.amdhsa_ieee_mode 1
		.amdhsa_fp16_overflow 0
		.amdhsa_tg_split 0
		.amdhsa_exception_fp_ieee_invalid_op 0
		.amdhsa_exception_fp_denorm_src 0
		.amdhsa_exception_fp_ieee_div_zero 0
		.amdhsa_exception_fp_ieee_overflow 0
		.amdhsa_exception_fp_ieee_underflow 0
		.amdhsa_exception_fp_ieee_inexact 0
		.amdhsa_exception_int_div_zero 0
	.end_amdhsa_kernel
	.section	.text._ZN7rocprim17ROCPRIM_400000_NS6detail17trampoline_kernelINS0_14default_configENS1_25partition_config_selectorILNS1_17partition_subalgoE0EiNS0_10empty_typeEbEEZZNS1_14partition_implILS5_0ELb0ES3_jN6thrust23THRUST_200600_302600_NS10device_ptrIiEEPS6_SD_NS0_5tupleIJSC_SC_EEENSE_IJSD_SD_EEES6_PlJ7is_evenIiEEEE10hipError_tPvRmT3_T4_T5_T6_T7_T9_mT8_P12ihipStream_tbDpT10_ENKUlT_T0_E_clISt17integral_constantIbLb1EES13_EEDaSY_SZ_EUlSY_E_NS1_11comp_targetILNS1_3genE3ELNS1_11target_archE908ELNS1_3gpuE7ELNS1_3repE0EEENS1_30default_config_static_selectorELNS0_4arch9wavefront6targetE1EEEvT1_,"axG",@progbits,_ZN7rocprim17ROCPRIM_400000_NS6detail17trampoline_kernelINS0_14default_configENS1_25partition_config_selectorILNS1_17partition_subalgoE0EiNS0_10empty_typeEbEEZZNS1_14partition_implILS5_0ELb0ES3_jN6thrust23THRUST_200600_302600_NS10device_ptrIiEEPS6_SD_NS0_5tupleIJSC_SC_EEENSE_IJSD_SD_EEES6_PlJ7is_evenIiEEEE10hipError_tPvRmT3_T4_T5_T6_T7_T9_mT8_P12ihipStream_tbDpT10_ENKUlT_T0_E_clISt17integral_constantIbLb1EES13_EEDaSY_SZ_EUlSY_E_NS1_11comp_targetILNS1_3genE3ELNS1_11target_archE908ELNS1_3gpuE7ELNS1_3repE0EEENS1_30default_config_static_selectorELNS0_4arch9wavefront6targetE1EEEvT1_,comdat
.Lfunc_end3705:
	.size	_ZN7rocprim17ROCPRIM_400000_NS6detail17trampoline_kernelINS0_14default_configENS1_25partition_config_selectorILNS1_17partition_subalgoE0EiNS0_10empty_typeEbEEZZNS1_14partition_implILS5_0ELb0ES3_jN6thrust23THRUST_200600_302600_NS10device_ptrIiEEPS6_SD_NS0_5tupleIJSC_SC_EEENSE_IJSD_SD_EEES6_PlJ7is_evenIiEEEE10hipError_tPvRmT3_T4_T5_T6_T7_T9_mT8_P12ihipStream_tbDpT10_ENKUlT_T0_E_clISt17integral_constantIbLb1EES13_EEDaSY_SZ_EUlSY_E_NS1_11comp_targetILNS1_3genE3ELNS1_11target_archE908ELNS1_3gpuE7ELNS1_3repE0EEENS1_30default_config_static_selectorELNS0_4arch9wavefront6targetE1EEEvT1_, .Lfunc_end3705-_ZN7rocprim17ROCPRIM_400000_NS6detail17trampoline_kernelINS0_14default_configENS1_25partition_config_selectorILNS1_17partition_subalgoE0EiNS0_10empty_typeEbEEZZNS1_14partition_implILS5_0ELb0ES3_jN6thrust23THRUST_200600_302600_NS10device_ptrIiEEPS6_SD_NS0_5tupleIJSC_SC_EEENSE_IJSD_SD_EEES6_PlJ7is_evenIiEEEE10hipError_tPvRmT3_T4_T5_T6_T7_T9_mT8_P12ihipStream_tbDpT10_ENKUlT_T0_E_clISt17integral_constantIbLb1EES13_EEDaSY_SZ_EUlSY_E_NS1_11comp_targetILNS1_3genE3ELNS1_11target_archE908ELNS1_3gpuE7ELNS1_3repE0EEENS1_30default_config_static_selectorELNS0_4arch9wavefront6targetE1EEEvT1_
                                        ; -- End function
	.section	.AMDGPU.csdata,"",@progbits
; Kernel info:
; codeLenInByte = 0
; NumSgprs: 6
; NumVgprs: 0
; NumAgprs: 0
; TotalNumVgprs: 0
; ScratchSize: 0
; MemoryBound: 0
; FloatMode: 240
; IeeeMode: 1
; LDSByteSize: 0 bytes/workgroup (compile time only)
; SGPRBlocks: 0
; VGPRBlocks: 0
; NumSGPRsForWavesPerEU: 6
; NumVGPRsForWavesPerEU: 1
; AccumOffset: 4
; Occupancy: 8
; WaveLimiterHint : 0
; COMPUTE_PGM_RSRC2:SCRATCH_EN: 0
; COMPUTE_PGM_RSRC2:USER_SGPR: 2
; COMPUTE_PGM_RSRC2:TRAP_HANDLER: 0
; COMPUTE_PGM_RSRC2:TGID_X_EN: 1
; COMPUTE_PGM_RSRC2:TGID_Y_EN: 0
; COMPUTE_PGM_RSRC2:TGID_Z_EN: 0
; COMPUTE_PGM_RSRC2:TIDIG_COMP_CNT: 0
; COMPUTE_PGM_RSRC3_GFX90A:ACCUM_OFFSET: 0
; COMPUTE_PGM_RSRC3_GFX90A:TG_SPLIT: 0
	.section	.text._ZN7rocprim17ROCPRIM_400000_NS6detail17trampoline_kernelINS0_14default_configENS1_25partition_config_selectorILNS1_17partition_subalgoE0EiNS0_10empty_typeEbEEZZNS1_14partition_implILS5_0ELb0ES3_jN6thrust23THRUST_200600_302600_NS10device_ptrIiEEPS6_SD_NS0_5tupleIJSC_SC_EEENSE_IJSD_SD_EEES6_PlJ7is_evenIiEEEE10hipError_tPvRmT3_T4_T5_T6_T7_T9_mT8_P12ihipStream_tbDpT10_ENKUlT_T0_E_clISt17integral_constantIbLb1EES13_EEDaSY_SZ_EUlSY_E_NS1_11comp_targetILNS1_3genE2ELNS1_11target_archE906ELNS1_3gpuE6ELNS1_3repE0EEENS1_30default_config_static_selectorELNS0_4arch9wavefront6targetE1EEEvT1_,"axG",@progbits,_ZN7rocprim17ROCPRIM_400000_NS6detail17trampoline_kernelINS0_14default_configENS1_25partition_config_selectorILNS1_17partition_subalgoE0EiNS0_10empty_typeEbEEZZNS1_14partition_implILS5_0ELb0ES3_jN6thrust23THRUST_200600_302600_NS10device_ptrIiEEPS6_SD_NS0_5tupleIJSC_SC_EEENSE_IJSD_SD_EEES6_PlJ7is_evenIiEEEE10hipError_tPvRmT3_T4_T5_T6_T7_T9_mT8_P12ihipStream_tbDpT10_ENKUlT_T0_E_clISt17integral_constantIbLb1EES13_EEDaSY_SZ_EUlSY_E_NS1_11comp_targetILNS1_3genE2ELNS1_11target_archE906ELNS1_3gpuE6ELNS1_3repE0EEENS1_30default_config_static_selectorELNS0_4arch9wavefront6targetE1EEEvT1_,comdat
	.protected	_ZN7rocprim17ROCPRIM_400000_NS6detail17trampoline_kernelINS0_14default_configENS1_25partition_config_selectorILNS1_17partition_subalgoE0EiNS0_10empty_typeEbEEZZNS1_14partition_implILS5_0ELb0ES3_jN6thrust23THRUST_200600_302600_NS10device_ptrIiEEPS6_SD_NS0_5tupleIJSC_SC_EEENSE_IJSD_SD_EEES6_PlJ7is_evenIiEEEE10hipError_tPvRmT3_T4_T5_T6_T7_T9_mT8_P12ihipStream_tbDpT10_ENKUlT_T0_E_clISt17integral_constantIbLb1EES13_EEDaSY_SZ_EUlSY_E_NS1_11comp_targetILNS1_3genE2ELNS1_11target_archE906ELNS1_3gpuE6ELNS1_3repE0EEENS1_30default_config_static_selectorELNS0_4arch9wavefront6targetE1EEEvT1_ ; -- Begin function _ZN7rocprim17ROCPRIM_400000_NS6detail17trampoline_kernelINS0_14default_configENS1_25partition_config_selectorILNS1_17partition_subalgoE0EiNS0_10empty_typeEbEEZZNS1_14partition_implILS5_0ELb0ES3_jN6thrust23THRUST_200600_302600_NS10device_ptrIiEEPS6_SD_NS0_5tupleIJSC_SC_EEENSE_IJSD_SD_EEES6_PlJ7is_evenIiEEEE10hipError_tPvRmT3_T4_T5_T6_T7_T9_mT8_P12ihipStream_tbDpT10_ENKUlT_T0_E_clISt17integral_constantIbLb1EES13_EEDaSY_SZ_EUlSY_E_NS1_11comp_targetILNS1_3genE2ELNS1_11target_archE906ELNS1_3gpuE6ELNS1_3repE0EEENS1_30default_config_static_selectorELNS0_4arch9wavefront6targetE1EEEvT1_
	.globl	_ZN7rocprim17ROCPRIM_400000_NS6detail17trampoline_kernelINS0_14default_configENS1_25partition_config_selectorILNS1_17partition_subalgoE0EiNS0_10empty_typeEbEEZZNS1_14partition_implILS5_0ELb0ES3_jN6thrust23THRUST_200600_302600_NS10device_ptrIiEEPS6_SD_NS0_5tupleIJSC_SC_EEENSE_IJSD_SD_EEES6_PlJ7is_evenIiEEEE10hipError_tPvRmT3_T4_T5_T6_T7_T9_mT8_P12ihipStream_tbDpT10_ENKUlT_T0_E_clISt17integral_constantIbLb1EES13_EEDaSY_SZ_EUlSY_E_NS1_11comp_targetILNS1_3genE2ELNS1_11target_archE906ELNS1_3gpuE6ELNS1_3repE0EEENS1_30default_config_static_selectorELNS0_4arch9wavefront6targetE1EEEvT1_
	.p2align	8
	.type	_ZN7rocprim17ROCPRIM_400000_NS6detail17trampoline_kernelINS0_14default_configENS1_25partition_config_selectorILNS1_17partition_subalgoE0EiNS0_10empty_typeEbEEZZNS1_14partition_implILS5_0ELb0ES3_jN6thrust23THRUST_200600_302600_NS10device_ptrIiEEPS6_SD_NS0_5tupleIJSC_SC_EEENSE_IJSD_SD_EEES6_PlJ7is_evenIiEEEE10hipError_tPvRmT3_T4_T5_T6_T7_T9_mT8_P12ihipStream_tbDpT10_ENKUlT_T0_E_clISt17integral_constantIbLb1EES13_EEDaSY_SZ_EUlSY_E_NS1_11comp_targetILNS1_3genE2ELNS1_11target_archE906ELNS1_3gpuE6ELNS1_3repE0EEENS1_30default_config_static_selectorELNS0_4arch9wavefront6targetE1EEEvT1_,@function
_ZN7rocprim17ROCPRIM_400000_NS6detail17trampoline_kernelINS0_14default_configENS1_25partition_config_selectorILNS1_17partition_subalgoE0EiNS0_10empty_typeEbEEZZNS1_14partition_implILS5_0ELb0ES3_jN6thrust23THRUST_200600_302600_NS10device_ptrIiEEPS6_SD_NS0_5tupleIJSC_SC_EEENSE_IJSD_SD_EEES6_PlJ7is_evenIiEEEE10hipError_tPvRmT3_T4_T5_T6_T7_T9_mT8_P12ihipStream_tbDpT10_ENKUlT_T0_E_clISt17integral_constantIbLb1EES13_EEDaSY_SZ_EUlSY_E_NS1_11comp_targetILNS1_3genE2ELNS1_11target_archE906ELNS1_3gpuE6ELNS1_3repE0EEENS1_30default_config_static_selectorELNS0_4arch9wavefront6targetE1EEEvT1_: ; @_ZN7rocprim17ROCPRIM_400000_NS6detail17trampoline_kernelINS0_14default_configENS1_25partition_config_selectorILNS1_17partition_subalgoE0EiNS0_10empty_typeEbEEZZNS1_14partition_implILS5_0ELb0ES3_jN6thrust23THRUST_200600_302600_NS10device_ptrIiEEPS6_SD_NS0_5tupleIJSC_SC_EEENSE_IJSD_SD_EEES6_PlJ7is_evenIiEEEE10hipError_tPvRmT3_T4_T5_T6_T7_T9_mT8_P12ihipStream_tbDpT10_ENKUlT_T0_E_clISt17integral_constantIbLb1EES13_EEDaSY_SZ_EUlSY_E_NS1_11comp_targetILNS1_3genE2ELNS1_11target_archE906ELNS1_3gpuE6ELNS1_3repE0EEENS1_30default_config_static_selectorELNS0_4arch9wavefront6targetE1EEEvT1_
; %bb.0:
	.section	.rodata,"a",@progbits
	.p2align	6, 0x0
	.amdhsa_kernel _ZN7rocprim17ROCPRIM_400000_NS6detail17trampoline_kernelINS0_14default_configENS1_25partition_config_selectorILNS1_17partition_subalgoE0EiNS0_10empty_typeEbEEZZNS1_14partition_implILS5_0ELb0ES3_jN6thrust23THRUST_200600_302600_NS10device_ptrIiEEPS6_SD_NS0_5tupleIJSC_SC_EEENSE_IJSD_SD_EEES6_PlJ7is_evenIiEEEE10hipError_tPvRmT3_T4_T5_T6_T7_T9_mT8_P12ihipStream_tbDpT10_ENKUlT_T0_E_clISt17integral_constantIbLb1EES13_EEDaSY_SZ_EUlSY_E_NS1_11comp_targetILNS1_3genE2ELNS1_11target_archE906ELNS1_3gpuE6ELNS1_3repE0EEENS1_30default_config_static_selectorELNS0_4arch9wavefront6targetE1EEEvT1_
		.amdhsa_group_segment_fixed_size 0
		.amdhsa_private_segment_fixed_size 0
		.amdhsa_kernarg_size 136
		.amdhsa_user_sgpr_count 2
		.amdhsa_user_sgpr_dispatch_ptr 0
		.amdhsa_user_sgpr_queue_ptr 0
		.amdhsa_user_sgpr_kernarg_segment_ptr 1
		.amdhsa_user_sgpr_dispatch_id 0
		.amdhsa_user_sgpr_kernarg_preload_length 0
		.amdhsa_user_sgpr_kernarg_preload_offset 0
		.amdhsa_user_sgpr_private_segment_size 0
		.amdhsa_uses_dynamic_stack 0
		.amdhsa_enable_private_segment 0
		.amdhsa_system_sgpr_workgroup_id_x 1
		.amdhsa_system_sgpr_workgroup_id_y 0
		.amdhsa_system_sgpr_workgroup_id_z 0
		.amdhsa_system_sgpr_workgroup_info 0
		.amdhsa_system_vgpr_workitem_id 0
		.amdhsa_next_free_vgpr 1
		.amdhsa_next_free_sgpr 0
		.amdhsa_accum_offset 4
		.amdhsa_reserve_vcc 0
		.amdhsa_float_round_mode_32 0
		.amdhsa_float_round_mode_16_64 0
		.amdhsa_float_denorm_mode_32 3
		.amdhsa_float_denorm_mode_16_64 3
		.amdhsa_dx10_clamp 1
		.amdhsa_ieee_mode 1
		.amdhsa_fp16_overflow 0
		.amdhsa_tg_split 0
		.amdhsa_exception_fp_ieee_invalid_op 0
		.amdhsa_exception_fp_denorm_src 0
		.amdhsa_exception_fp_ieee_div_zero 0
		.amdhsa_exception_fp_ieee_overflow 0
		.amdhsa_exception_fp_ieee_underflow 0
		.amdhsa_exception_fp_ieee_inexact 0
		.amdhsa_exception_int_div_zero 0
	.end_amdhsa_kernel
	.section	.text._ZN7rocprim17ROCPRIM_400000_NS6detail17trampoline_kernelINS0_14default_configENS1_25partition_config_selectorILNS1_17partition_subalgoE0EiNS0_10empty_typeEbEEZZNS1_14partition_implILS5_0ELb0ES3_jN6thrust23THRUST_200600_302600_NS10device_ptrIiEEPS6_SD_NS0_5tupleIJSC_SC_EEENSE_IJSD_SD_EEES6_PlJ7is_evenIiEEEE10hipError_tPvRmT3_T4_T5_T6_T7_T9_mT8_P12ihipStream_tbDpT10_ENKUlT_T0_E_clISt17integral_constantIbLb1EES13_EEDaSY_SZ_EUlSY_E_NS1_11comp_targetILNS1_3genE2ELNS1_11target_archE906ELNS1_3gpuE6ELNS1_3repE0EEENS1_30default_config_static_selectorELNS0_4arch9wavefront6targetE1EEEvT1_,"axG",@progbits,_ZN7rocprim17ROCPRIM_400000_NS6detail17trampoline_kernelINS0_14default_configENS1_25partition_config_selectorILNS1_17partition_subalgoE0EiNS0_10empty_typeEbEEZZNS1_14partition_implILS5_0ELb0ES3_jN6thrust23THRUST_200600_302600_NS10device_ptrIiEEPS6_SD_NS0_5tupleIJSC_SC_EEENSE_IJSD_SD_EEES6_PlJ7is_evenIiEEEE10hipError_tPvRmT3_T4_T5_T6_T7_T9_mT8_P12ihipStream_tbDpT10_ENKUlT_T0_E_clISt17integral_constantIbLb1EES13_EEDaSY_SZ_EUlSY_E_NS1_11comp_targetILNS1_3genE2ELNS1_11target_archE906ELNS1_3gpuE6ELNS1_3repE0EEENS1_30default_config_static_selectorELNS0_4arch9wavefront6targetE1EEEvT1_,comdat
.Lfunc_end3706:
	.size	_ZN7rocprim17ROCPRIM_400000_NS6detail17trampoline_kernelINS0_14default_configENS1_25partition_config_selectorILNS1_17partition_subalgoE0EiNS0_10empty_typeEbEEZZNS1_14partition_implILS5_0ELb0ES3_jN6thrust23THRUST_200600_302600_NS10device_ptrIiEEPS6_SD_NS0_5tupleIJSC_SC_EEENSE_IJSD_SD_EEES6_PlJ7is_evenIiEEEE10hipError_tPvRmT3_T4_T5_T6_T7_T9_mT8_P12ihipStream_tbDpT10_ENKUlT_T0_E_clISt17integral_constantIbLb1EES13_EEDaSY_SZ_EUlSY_E_NS1_11comp_targetILNS1_3genE2ELNS1_11target_archE906ELNS1_3gpuE6ELNS1_3repE0EEENS1_30default_config_static_selectorELNS0_4arch9wavefront6targetE1EEEvT1_, .Lfunc_end3706-_ZN7rocprim17ROCPRIM_400000_NS6detail17trampoline_kernelINS0_14default_configENS1_25partition_config_selectorILNS1_17partition_subalgoE0EiNS0_10empty_typeEbEEZZNS1_14partition_implILS5_0ELb0ES3_jN6thrust23THRUST_200600_302600_NS10device_ptrIiEEPS6_SD_NS0_5tupleIJSC_SC_EEENSE_IJSD_SD_EEES6_PlJ7is_evenIiEEEE10hipError_tPvRmT3_T4_T5_T6_T7_T9_mT8_P12ihipStream_tbDpT10_ENKUlT_T0_E_clISt17integral_constantIbLb1EES13_EEDaSY_SZ_EUlSY_E_NS1_11comp_targetILNS1_3genE2ELNS1_11target_archE906ELNS1_3gpuE6ELNS1_3repE0EEENS1_30default_config_static_selectorELNS0_4arch9wavefront6targetE1EEEvT1_
                                        ; -- End function
	.section	.AMDGPU.csdata,"",@progbits
; Kernel info:
; codeLenInByte = 0
; NumSgprs: 6
; NumVgprs: 0
; NumAgprs: 0
; TotalNumVgprs: 0
; ScratchSize: 0
; MemoryBound: 0
; FloatMode: 240
; IeeeMode: 1
; LDSByteSize: 0 bytes/workgroup (compile time only)
; SGPRBlocks: 0
; VGPRBlocks: 0
; NumSGPRsForWavesPerEU: 6
; NumVGPRsForWavesPerEU: 1
; AccumOffset: 4
; Occupancy: 8
; WaveLimiterHint : 0
; COMPUTE_PGM_RSRC2:SCRATCH_EN: 0
; COMPUTE_PGM_RSRC2:USER_SGPR: 2
; COMPUTE_PGM_RSRC2:TRAP_HANDLER: 0
; COMPUTE_PGM_RSRC2:TGID_X_EN: 1
; COMPUTE_PGM_RSRC2:TGID_Y_EN: 0
; COMPUTE_PGM_RSRC2:TGID_Z_EN: 0
; COMPUTE_PGM_RSRC2:TIDIG_COMP_CNT: 0
; COMPUTE_PGM_RSRC3_GFX90A:ACCUM_OFFSET: 0
; COMPUTE_PGM_RSRC3_GFX90A:TG_SPLIT: 0
	.section	.text._ZN7rocprim17ROCPRIM_400000_NS6detail17trampoline_kernelINS0_14default_configENS1_25partition_config_selectorILNS1_17partition_subalgoE0EiNS0_10empty_typeEbEEZZNS1_14partition_implILS5_0ELb0ES3_jN6thrust23THRUST_200600_302600_NS10device_ptrIiEEPS6_SD_NS0_5tupleIJSC_SC_EEENSE_IJSD_SD_EEES6_PlJ7is_evenIiEEEE10hipError_tPvRmT3_T4_T5_T6_T7_T9_mT8_P12ihipStream_tbDpT10_ENKUlT_T0_E_clISt17integral_constantIbLb1EES13_EEDaSY_SZ_EUlSY_E_NS1_11comp_targetILNS1_3genE10ELNS1_11target_archE1200ELNS1_3gpuE4ELNS1_3repE0EEENS1_30default_config_static_selectorELNS0_4arch9wavefront6targetE1EEEvT1_,"axG",@progbits,_ZN7rocprim17ROCPRIM_400000_NS6detail17trampoline_kernelINS0_14default_configENS1_25partition_config_selectorILNS1_17partition_subalgoE0EiNS0_10empty_typeEbEEZZNS1_14partition_implILS5_0ELb0ES3_jN6thrust23THRUST_200600_302600_NS10device_ptrIiEEPS6_SD_NS0_5tupleIJSC_SC_EEENSE_IJSD_SD_EEES6_PlJ7is_evenIiEEEE10hipError_tPvRmT3_T4_T5_T6_T7_T9_mT8_P12ihipStream_tbDpT10_ENKUlT_T0_E_clISt17integral_constantIbLb1EES13_EEDaSY_SZ_EUlSY_E_NS1_11comp_targetILNS1_3genE10ELNS1_11target_archE1200ELNS1_3gpuE4ELNS1_3repE0EEENS1_30default_config_static_selectorELNS0_4arch9wavefront6targetE1EEEvT1_,comdat
	.protected	_ZN7rocprim17ROCPRIM_400000_NS6detail17trampoline_kernelINS0_14default_configENS1_25partition_config_selectorILNS1_17partition_subalgoE0EiNS0_10empty_typeEbEEZZNS1_14partition_implILS5_0ELb0ES3_jN6thrust23THRUST_200600_302600_NS10device_ptrIiEEPS6_SD_NS0_5tupleIJSC_SC_EEENSE_IJSD_SD_EEES6_PlJ7is_evenIiEEEE10hipError_tPvRmT3_T4_T5_T6_T7_T9_mT8_P12ihipStream_tbDpT10_ENKUlT_T0_E_clISt17integral_constantIbLb1EES13_EEDaSY_SZ_EUlSY_E_NS1_11comp_targetILNS1_3genE10ELNS1_11target_archE1200ELNS1_3gpuE4ELNS1_3repE0EEENS1_30default_config_static_selectorELNS0_4arch9wavefront6targetE1EEEvT1_ ; -- Begin function _ZN7rocprim17ROCPRIM_400000_NS6detail17trampoline_kernelINS0_14default_configENS1_25partition_config_selectorILNS1_17partition_subalgoE0EiNS0_10empty_typeEbEEZZNS1_14partition_implILS5_0ELb0ES3_jN6thrust23THRUST_200600_302600_NS10device_ptrIiEEPS6_SD_NS0_5tupleIJSC_SC_EEENSE_IJSD_SD_EEES6_PlJ7is_evenIiEEEE10hipError_tPvRmT3_T4_T5_T6_T7_T9_mT8_P12ihipStream_tbDpT10_ENKUlT_T0_E_clISt17integral_constantIbLb1EES13_EEDaSY_SZ_EUlSY_E_NS1_11comp_targetILNS1_3genE10ELNS1_11target_archE1200ELNS1_3gpuE4ELNS1_3repE0EEENS1_30default_config_static_selectorELNS0_4arch9wavefront6targetE1EEEvT1_
	.globl	_ZN7rocprim17ROCPRIM_400000_NS6detail17trampoline_kernelINS0_14default_configENS1_25partition_config_selectorILNS1_17partition_subalgoE0EiNS0_10empty_typeEbEEZZNS1_14partition_implILS5_0ELb0ES3_jN6thrust23THRUST_200600_302600_NS10device_ptrIiEEPS6_SD_NS0_5tupleIJSC_SC_EEENSE_IJSD_SD_EEES6_PlJ7is_evenIiEEEE10hipError_tPvRmT3_T4_T5_T6_T7_T9_mT8_P12ihipStream_tbDpT10_ENKUlT_T0_E_clISt17integral_constantIbLb1EES13_EEDaSY_SZ_EUlSY_E_NS1_11comp_targetILNS1_3genE10ELNS1_11target_archE1200ELNS1_3gpuE4ELNS1_3repE0EEENS1_30default_config_static_selectorELNS0_4arch9wavefront6targetE1EEEvT1_
	.p2align	8
	.type	_ZN7rocprim17ROCPRIM_400000_NS6detail17trampoline_kernelINS0_14default_configENS1_25partition_config_selectorILNS1_17partition_subalgoE0EiNS0_10empty_typeEbEEZZNS1_14partition_implILS5_0ELb0ES3_jN6thrust23THRUST_200600_302600_NS10device_ptrIiEEPS6_SD_NS0_5tupleIJSC_SC_EEENSE_IJSD_SD_EEES6_PlJ7is_evenIiEEEE10hipError_tPvRmT3_T4_T5_T6_T7_T9_mT8_P12ihipStream_tbDpT10_ENKUlT_T0_E_clISt17integral_constantIbLb1EES13_EEDaSY_SZ_EUlSY_E_NS1_11comp_targetILNS1_3genE10ELNS1_11target_archE1200ELNS1_3gpuE4ELNS1_3repE0EEENS1_30default_config_static_selectorELNS0_4arch9wavefront6targetE1EEEvT1_,@function
_ZN7rocprim17ROCPRIM_400000_NS6detail17trampoline_kernelINS0_14default_configENS1_25partition_config_selectorILNS1_17partition_subalgoE0EiNS0_10empty_typeEbEEZZNS1_14partition_implILS5_0ELb0ES3_jN6thrust23THRUST_200600_302600_NS10device_ptrIiEEPS6_SD_NS0_5tupleIJSC_SC_EEENSE_IJSD_SD_EEES6_PlJ7is_evenIiEEEE10hipError_tPvRmT3_T4_T5_T6_T7_T9_mT8_P12ihipStream_tbDpT10_ENKUlT_T0_E_clISt17integral_constantIbLb1EES13_EEDaSY_SZ_EUlSY_E_NS1_11comp_targetILNS1_3genE10ELNS1_11target_archE1200ELNS1_3gpuE4ELNS1_3repE0EEENS1_30default_config_static_selectorELNS0_4arch9wavefront6targetE1EEEvT1_: ; @_ZN7rocprim17ROCPRIM_400000_NS6detail17trampoline_kernelINS0_14default_configENS1_25partition_config_selectorILNS1_17partition_subalgoE0EiNS0_10empty_typeEbEEZZNS1_14partition_implILS5_0ELb0ES3_jN6thrust23THRUST_200600_302600_NS10device_ptrIiEEPS6_SD_NS0_5tupleIJSC_SC_EEENSE_IJSD_SD_EEES6_PlJ7is_evenIiEEEE10hipError_tPvRmT3_T4_T5_T6_T7_T9_mT8_P12ihipStream_tbDpT10_ENKUlT_T0_E_clISt17integral_constantIbLb1EES13_EEDaSY_SZ_EUlSY_E_NS1_11comp_targetILNS1_3genE10ELNS1_11target_archE1200ELNS1_3gpuE4ELNS1_3repE0EEENS1_30default_config_static_selectorELNS0_4arch9wavefront6targetE1EEEvT1_
; %bb.0:
	.section	.rodata,"a",@progbits
	.p2align	6, 0x0
	.amdhsa_kernel _ZN7rocprim17ROCPRIM_400000_NS6detail17trampoline_kernelINS0_14default_configENS1_25partition_config_selectorILNS1_17partition_subalgoE0EiNS0_10empty_typeEbEEZZNS1_14partition_implILS5_0ELb0ES3_jN6thrust23THRUST_200600_302600_NS10device_ptrIiEEPS6_SD_NS0_5tupleIJSC_SC_EEENSE_IJSD_SD_EEES6_PlJ7is_evenIiEEEE10hipError_tPvRmT3_T4_T5_T6_T7_T9_mT8_P12ihipStream_tbDpT10_ENKUlT_T0_E_clISt17integral_constantIbLb1EES13_EEDaSY_SZ_EUlSY_E_NS1_11comp_targetILNS1_3genE10ELNS1_11target_archE1200ELNS1_3gpuE4ELNS1_3repE0EEENS1_30default_config_static_selectorELNS0_4arch9wavefront6targetE1EEEvT1_
		.amdhsa_group_segment_fixed_size 0
		.amdhsa_private_segment_fixed_size 0
		.amdhsa_kernarg_size 136
		.amdhsa_user_sgpr_count 2
		.amdhsa_user_sgpr_dispatch_ptr 0
		.amdhsa_user_sgpr_queue_ptr 0
		.amdhsa_user_sgpr_kernarg_segment_ptr 1
		.amdhsa_user_sgpr_dispatch_id 0
		.amdhsa_user_sgpr_kernarg_preload_length 0
		.amdhsa_user_sgpr_kernarg_preload_offset 0
		.amdhsa_user_sgpr_private_segment_size 0
		.amdhsa_uses_dynamic_stack 0
		.amdhsa_enable_private_segment 0
		.amdhsa_system_sgpr_workgroup_id_x 1
		.amdhsa_system_sgpr_workgroup_id_y 0
		.amdhsa_system_sgpr_workgroup_id_z 0
		.amdhsa_system_sgpr_workgroup_info 0
		.amdhsa_system_vgpr_workitem_id 0
		.amdhsa_next_free_vgpr 1
		.amdhsa_next_free_sgpr 0
		.amdhsa_accum_offset 4
		.amdhsa_reserve_vcc 0
		.amdhsa_float_round_mode_32 0
		.amdhsa_float_round_mode_16_64 0
		.amdhsa_float_denorm_mode_32 3
		.amdhsa_float_denorm_mode_16_64 3
		.amdhsa_dx10_clamp 1
		.amdhsa_ieee_mode 1
		.amdhsa_fp16_overflow 0
		.amdhsa_tg_split 0
		.amdhsa_exception_fp_ieee_invalid_op 0
		.amdhsa_exception_fp_denorm_src 0
		.amdhsa_exception_fp_ieee_div_zero 0
		.amdhsa_exception_fp_ieee_overflow 0
		.amdhsa_exception_fp_ieee_underflow 0
		.amdhsa_exception_fp_ieee_inexact 0
		.amdhsa_exception_int_div_zero 0
	.end_amdhsa_kernel
	.section	.text._ZN7rocprim17ROCPRIM_400000_NS6detail17trampoline_kernelINS0_14default_configENS1_25partition_config_selectorILNS1_17partition_subalgoE0EiNS0_10empty_typeEbEEZZNS1_14partition_implILS5_0ELb0ES3_jN6thrust23THRUST_200600_302600_NS10device_ptrIiEEPS6_SD_NS0_5tupleIJSC_SC_EEENSE_IJSD_SD_EEES6_PlJ7is_evenIiEEEE10hipError_tPvRmT3_T4_T5_T6_T7_T9_mT8_P12ihipStream_tbDpT10_ENKUlT_T0_E_clISt17integral_constantIbLb1EES13_EEDaSY_SZ_EUlSY_E_NS1_11comp_targetILNS1_3genE10ELNS1_11target_archE1200ELNS1_3gpuE4ELNS1_3repE0EEENS1_30default_config_static_selectorELNS0_4arch9wavefront6targetE1EEEvT1_,"axG",@progbits,_ZN7rocprim17ROCPRIM_400000_NS6detail17trampoline_kernelINS0_14default_configENS1_25partition_config_selectorILNS1_17partition_subalgoE0EiNS0_10empty_typeEbEEZZNS1_14partition_implILS5_0ELb0ES3_jN6thrust23THRUST_200600_302600_NS10device_ptrIiEEPS6_SD_NS0_5tupleIJSC_SC_EEENSE_IJSD_SD_EEES6_PlJ7is_evenIiEEEE10hipError_tPvRmT3_T4_T5_T6_T7_T9_mT8_P12ihipStream_tbDpT10_ENKUlT_T0_E_clISt17integral_constantIbLb1EES13_EEDaSY_SZ_EUlSY_E_NS1_11comp_targetILNS1_3genE10ELNS1_11target_archE1200ELNS1_3gpuE4ELNS1_3repE0EEENS1_30default_config_static_selectorELNS0_4arch9wavefront6targetE1EEEvT1_,comdat
.Lfunc_end3707:
	.size	_ZN7rocprim17ROCPRIM_400000_NS6detail17trampoline_kernelINS0_14default_configENS1_25partition_config_selectorILNS1_17partition_subalgoE0EiNS0_10empty_typeEbEEZZNS1_14partition_implILS5_0ELb0ES3_jN6thrust23THRUST_200600_302600_NS10device_ptrIiEEPS6_SD_NS0_5tupleIJSC_SC_EEENSE_IJSD_SD_EEES6_PlJ7is_evenIiEEEE10hipError_tPvRmT3_T4_T5_T6_T7_T9_mT8_P12ihipStream_tbDpT10_ENKUlT_T0_E_clISt17integral_constantIbLb1EES13_EEDaSY_SZ_EUlSY_E_NS1_11comp_targetILNS1_3genE10ELNS1_11target_archE1200ELNS1_3gpuE4ELNS1_3repE0EEENS1_30default_config_static_selectorELNS0_4arch9wavefront6targetE1EEEvT1_, .Lfunc_end3707-_ZN7rocprim17ROCPRIM_400000_NS6detail17trampoline_kernelINS0_14default_configENS1_25partition_config_selectorILNS1_17partition_subalgoE0EiNS0_10empty_typeEbEEZZNS1_14partition_implILS5_0ELb0ES3_jN6thrust23THRUST_200600_302600_NS10device_ptrIiEEPS6_SD_NS0_5tupleIJSC_SC_EEENSE_IJSD_SD_EEES6_PlJ7is_evenIiEEEE10hipError_tPvRmT3_T4_T5_T6_T7_T9_mT8_P12ihipStream_tbDpT10_ENKUlT_T0_E_clISt17integral_constantIbLb1EES13_EEDaSY_SZ_EUlSY_E_NS1_11comp_targetILNS1_3genE10ELNS1_11target_archE1200ELNS1_3gpuE4ELNS1_3repE0EEENS1_30default_config_static_selectorELNS0_4arch9wavefront6targetE1EEEvT1_
                                        ; -- End function
	.section	.AMDGPU.csdata,"",@progbits
; Kernel info:
; codeLenInByte = 0
; NumSgprs: 6
; NumVgprs: 0
; NumAgprs: 0
; TotalNumVgprs: 0
; ScratchSize: 0
; MemoryBound: 0
; FloatMode: 240
; IeeeMode: 1
; LDSByteSize: 0 bytes/workgroup (compile time only)
; SGPRBlocks: 0
; VGPRBlocks: 0
; NumSGPRsForWavesPerEU: 6
; NumVGPRsForWavesPerEU: 1
; AccumOffset: 4
; Occupancy: 8
; WaveLimiterHint : 0
; COMPUTE_PGM_RSRC2:SCRATCH_EN: 0
; COMPUTE_PGM_RSRC2:USER_SGPR: 2
; COMPUTE_PGM_RSRC2:TRAP_HANDLER: 0
; COMPUTE_PGM_RSRC2:TGID_X_EN: 1
; COMPUTE_PGM_RSRC2:TGID_Y_EN: 0
; COMPUTE_PGM_RSRC2:TGID_Z_EN: 0
; COMPUTE_PGM_RSRC2:TIDIG_COMP_CNT: 0
; COMPUTE_PGM_RSRC3_GFX90A:ACCUM_OFFSET: 0
; COMPUTE_PGM_RSRC3_GFX90A:TG_SPLIT: 0
	.section	.text._ZN7rocprim17ROCPRIM_400000_NS6detail17trampoline_kernelINS0_14default_configENS1_25partition_config_selectorILNS1_17partition_subalgoE0EiNS0_10empty_typeEbEEZZNS1_14partition_implILS5_0ELb0ES3_jN6thrust23THRUST_200600_302600_NS10device_ptrIiEEPS6_SD_NS0_5tupleIJSC_SC_EEENSE_IJSD_SD_EEES6_PlJ7is_evenIiEEEE10hipError_tPvRmT3_T4_T5_T6_T7_T9_mT8_P12ihipStream_tbDpT10_ENKUlT_T0_E_clISt17integral_constantIbLb1EES13_EEDaSY_SZ_EUlSY_E_NS1_11comp_targetILNS1_3genE9ELNS1_11target_archE1100ELNS1_3gpuE3ELNS1_3repE0EEENS1_30default_config_static_selectorELNS0_4arch9wavefront6targetE1EEEvT1_,"axG",@progbits,_ZN7rocprim17ROCPRIM_400000_NS6detail17trampoline_kernelINS0_14default_configENS1_25partition_config_selectorILNS1_17partition_subalgoE0EiNS0_10empty_typeEbEEZZNS1_14partition_implILS5_0ELb0ES3_jN6thrust23THRUST_200600_302600_NS10device_ptrIiEEPS6_SD_NS0_5tupleIJSC_SC_EEENSE_IJSD_SD_EEES6_PlJ7is_evenIiEEEE10hipError_tPvRmT3_T4_T5_T6_T7_T9_mT8_P12ihipStream_tbDpT10_ENKUlT_T0_E_clISt17integral_constantIbLb1EES13_EEDaSY_SZ_EUlSY_E_NS1_11comp_targetILNS1_3genE9ELNS1_11target_archE1100ELNS1_3gpuE3ELNS1_3repE0EEENS1_30default_config_static_selectorELNS0_4arch9wavefront6targetE1EEEvT1_,comdat
	.protected	_ZN7rocprim17ROCPRIM_400000_NS6detail17trampoline_kernelINS0_14default_configENS1_25partition_config_selectorILNS1_17partition_subalgoE0EiNS0_10empty_typeEbEEZZNS1_14partition_implILS5_0ELb0ES3_jN6thrust23THRUST_200600_302600_NS10device_ptrIiEEPS6_SD_NS0_5tupleIJSC_SC_EEENSE_IJSD_SD_EEES6_PlJ7is_evenIiEEEE10hipError_tPvRmT3_T4_T5_T6_T7_T9_mT8_P12ihipStream_tbDpT10_ENKUlT_T0_E_clISt17integral_constantIbLb1EES13_EEDaSY_SZ_EUlSY_E_NS1_11comp_targetILNS1_3genE9ELNS1_11target_archE1100ELNS1_3gpuE3ELNS1_3repE0EEENS1_30default_config_static_selectorELNS0_4arch9wavefront6targetE1EEEvT1_ ; -- Begin function _ZN7rocprim17ROCPRIM_400000_NS6detail17trampoline_kernelINS0_14default_configENS1_25partition_config_selectorILNS1_17partition_subalgoE0EiNS0_10empty_typeEbEEZZNS1_14partition_implILS5_0ELb0ES3_jN6thrust23THRUST_200600_302600_NS10device_ptrIiEEPS6_SD_NS0_5tupleIJSC_SC_EEENSE_IJSD_SD_EEES6_PlJ7is_evenIiEEEE10hipError_tPvRmT3_T4_T5_T6_T7_T9_mT8_P12ihipStream_tbDpT10_ENKUlT_T0_E_clISt17integral_constantIbLb1EES13_EEDaSY_SZ_EUlSY_E_NS1_11comp_targetILNS1_3genE9ELNS1_11target_archE1100ELNS1_3gpuE3ELNS1_3repE0EEENS1_30default_config_static_selectorELNS0_4arch9wavefront6targetE1EEEvT1_
	.globl	_ZN7rocprim17ROCPRIM_400000_NS6detail17trampoline_kernelINS0_14default_configENS1_25partition_config_selectorILNS1_17partition_subalgoE0EiNS0_10empty_typeEbEEZZNS1_14partition_implILS5_0ELb0ES3_jN6thrust23THRUST_200600_302600_NS10device_ptrIiEEPS6_SD_NS0_5tupleIJSC_SC_EEENSE_IJSD_SD_EEES6_PlJ7is_evenIiEEEE10hipError_tPvRmT3_T4_T5_T6_T7_T9_mT8_P12ihipStream_tbDpT10_ENKUlT_T0_E_clISt17integral_constantIbLb1EES13_EEDaSY_SZ_EUlSY_E_NS1_11comp_targetILNS1_3genE9ELNS1_11target_archE1100ELNS1_3gpuE3ELNS1_3repE0EEENS1_30default_config_static_selectorELNS0_4arch9wavefront6targetE1EEEvT1_
	.p2align	8
	.type	_ZN7rocprim17ROCPRIM_400000_NS6detail17trampoline_kernelINS0_14default_configENS1_25partition_config_selectorILNS1_17partition_subalgoE0EiNS0_10empty_typeEbEEZZNS1_14partition_implILS5_0ELb0ES3_jN6thrust23THRUST_200600_302600_NS10device_ptrIiEEPS6_SD_NS0_5tupleIJSC_SC_EEENSE_IJSD_SD_EEES6_PlJ7is_evenIiEEEE10hipError_tPvRmT3_T4_T5_T6_T7_T9_mT8_P12ihipStream_tbDpT10_ENKUlT_T0_E_clISt17integral_constantIbLb1EES13_EEDaSY_SZ_EUlSY_E_NS1_11comp_targetILNS1_3genE9ELNS1_11target_archE1100ELNS1_3gpuE3ELNS1_3repE0EEENS1_30default_config_static_selectorELNS0_4arch9wavefront6targetE1EEEvT1_,@function
_ZN7rocprim17ROCPRIM_400000_NS6detail17trampoline_kernelINS0_14default_configENS1_25partition_config_selectorILNS1_17partition_subalgoE0EiNS0_10empty_typeEbEEZZNS1_14partition_implILS5_0ELb0ES3_jN6thrust23THRUST_200600_302600_NS10device_ptrIiEEPS6_SD_NS0_5tupleIJSC_SC_EEENSE_IJSD_SD_EEES6_PlJ7is_evenIiEEEE10hipError_tPvRmT3_T4_T5_T6_T7_T9_mT8_P12ihipStream_tbDpT10_ENKUlT_T0_E_clISt17integral_constantIbLb1EES13_EEDaSY_SZ_EUlSY_E_NS1_11comp_targetILNS1_3genE9ELNS1_11target_archE1100ELNS1_3gpuE3ELNS1_3repE0EEENS1_30default_config_static_selectorELNS0_4arch9wavefront6targetE1EEEvT1_: ; @_ZN7rocprim17ROCPRIM_400000_NS6detail17trampoline_kernelINS0_14default_configENS1_25partition_config_selectorILNS1_17partition_subalgoE0EiNS0_10empty_typeEbEEZZNS1_14partition_implILS5_0ELb0ES3_jN6thrust23THRUST_200600_302600_NS10device_ptrIiEEPS6_SD_NS0_5tupleIJSC_SC_EEENSE_IJSD_SD_EEES6_PlJ7is_evenIiEEEE10hipError_tPvRmT3_T4_T5_T6_T7_T9_mT8_P12ihipStream_tbDpT10_ENKUlT_T0_E_clISt17integral_constantIbLb1EES13_EEDaSY_SZ_EUlSY_E_NS1_11comp_targetILNS1_3genE9ELNS1_11target_archE1100ELNS1_3gpuE3ELNS1_3repE0EEENS1_30default_config_static_selectorELNS0_4arch9wavefront6targetE1EEEvT1_
; %bb.0:
	.section	.rodata,"a",@progbits
	.p2align	6, 0x0
	.amdhsa_kernel _ZN7rocprim17ROCPRIM_400000_NS6detail17trampoline_kernelINS0_14default_configENS1_25partition_config_selectorILNS1_17partition_subalgoE0EiNS0_10empty_typeEbEEZZNS1_14partition_implILS5_0ELb0ES3_jN6thrust23THRUST_200600_302600_NS10device_ptrIiEEPS6_SD_NS0_5tupleIJSC_SC_EEENSE_IJSD_SD_EEES6_PlJ7is_evenIiEEEE10hipError_tPvRmT3_T4_T5_T6_T7_T9_mT8_P12ihipStream_tbDpT10_ENKUlT_T0_E_clISt17integral_constantIbLb1EES13_EEDaSY_SZ_EUlSY_E_NS1_11comp_targetILNS1_3genE9ELNS1_11target_archE1100ELNS1_3gpuE3ELNS1_3repE0EEENS1_30default_config_static_selectorELNS0_4arch9wavefront6targetE1EEEvT1_
		.amdhsa_group_segment_fixed_size 0
		.amdhsa_private_segment_fixed_size 0
		.amdhsa_kernarg_size 136
		.amdhsa_user_sgpr_count 2
		.amdhsa_user_sgpr_dispatch_ptr 0
		.amdhsa_user_sgpr_queue_ptr 0
		.amdhsa_user_sgpr_kernarg_segment_ptr 1
		.amdhsa_user_sgpr_dispatch_id 0
		.amdhsa_user_sgpr_kernarg_preload_length 0
		.amdhsa_user_sgpr_kernarg_preload_offset 0
		.amdhsa_user_sgpr_private_segment_size 0
		.amdhsa_uses_dynamic_stack 0
		.amdhsa_enable_private_segment 0
		.amdhsa_system_sgpr_workgroup_id_x 1
		.amdhsa_system_sgpr_workgroup_id_y 0
		.amdhsa_system_sgpr_workgroup_id_z 0
		.amdhsa_system_sgpr_workgroup_info 0
		.amdhsa_system_vgpr_workitem_id 0
		.amdhsa_next_free_vgpr 1
		.amdhsa_next_free_sgpr 0
		.amdhsa_accum_offset 4
		.amdhsa_reserve_vcc 0
		.amdhsa_float_round_mode_32 0
		.amdhsa_float_round_mode_16_64 0
		.amdhsa_float_denorm_mode_32 3
		.amdhsa_float_denorm_mode_16_64 3
		.amdhsa_dx10_clamp 1
		.amdhsa_ieee_mode 1
		.amdhsa_fp16_overflow 0
		.amdhsa_tg_split 0
		.amdhsa_exception_fp_ieee_invalid_op 0
		.amdhsa_exception_fp_denorm_src 0
		.amdhsa_exception_fp_ieee_div_zero 0
		.amdhsa_exception_fp_ieee_overflow 0
		.amdhsa_exception_fp_ieee_underflow 0
		.amdhsa_exception_fp_ieee_inexact 0
		.amdhsa_exception_int_div_zero 0
	.end_amdhsa_kernel
	.section	.text._ZN7rocprim17ROCPRIM_400000_NS6detail17trampoline_kernelINS0_14default_configENS1_25partition_config_selectorILNS1_17partition_subalgoE0EiNS0_10empty_typeEbEEZZNS1_14partition_implILS5_0ELb0ES3_jN6thrust23THRUST_200600_302600_NS10device_ptrIiEEPS6_SD_NS0_5tupleIJSC_SC_EEENSE_IJSD_SD_EEES6_PlJ7is_evenIiEEEE10hipError_tPvRmT3_T4_T5_T6_T7_T9_mT8_P12ihipStream_tbDpT10_ENKUlT_T0_E_clISt17integral_constantIbLb1EES13_EEDaSY_SZ_EUlSY_E_NS1_11comp_targetILNS1_3genE9ELNS1_11target_archE1100ELNS1_3gpuE3ELNS1_3repE0EEENS1_30default_config_static_selectorELNS0_4arch9wavefront6targetE1EEEvT1_,"axG",@progbits,_ZN7rocprim17ROCPRIM_400000_NS6detail17trampoline_kernelINS0_14default_configENS1_25partition_config_selectorILNS1_17partition_subalgoE0EiNS0_10empty_typeEbEEZZNS1_14partition_implILS5_0ELb0ES3_jN6thrust23THRUST_200600_302600_NS10device_ptrIiEEPS6_SD_NS0_5tupleIJSC_SC_EEENSE_IJSD_SD_EEES6_PlJ7is_evenIiEEEE10hipError_tPvRmT3_T4_T5_T6_T7_T9_mT8_P12ihipStream_tbDpT10_ENKUlT_T0_E_clISt17integral_constantIbLb1EES13_EEDaSY_SZ_EUlSY_E_NS1_11comp_targetILNS1_3genE9ELNS1_11target_archE1100ELNS1_3gpuE3ELNS1_3repE0EEENS1_30default_config_static_selectorELNS0_4arch9wavefront6targetE1EEEvT1_,comdat
.Lfunc_end3708:
	.size	_ZN7rocprim17ROCPRIM_400000_NS6detail17trampoline_kernelINS0_14default_configENS1_25partition_config_selectorILNS1_17partition_subalgoE0EiNS0_10empty_typeEbEEZZNS1_14partition_implILS5_0ELb0ES3_jN6thrust23THRUST_200600_302600_NS10device_ptrIiEEPS6_SD_NS0_5tupleIJSC_SC_EEENSE_IJSD_SD_EEES6_PlJ7is_evenIiEEEE10hipError_tPvRmT3_T4_T5_T6_T7_T9_mT8_P12ihipStream_tbDpT10_ENKUlT_T0_E_clISt17integral_constantIbLb1EES13_EEDaSY_SZ_EUlSY_E_NS1_11comp_targetILNS1_3genE9ELNS1_11target_archE1100ELNS1_3gpuE3ELNS1_3repE0EEENS1_30default_config_static_selectorELNS0_4arch9wavefront6targetE1EEEvT1_, .Lfunc_end3708-_ZN7rocprim17ROCPRIM_400000_NS6detail17trampoline_kernelINS0_14default_configENS1_25partition_config_selectorILNS1_17partition_subalgoE0EiNS0_10empty_typeEbEEZZNS1_14partition_implILS5_0ELb0ES3_jN6thrust23THRUST_200600_302600_NS10device_ptrIiEEPS6_SD_NS0_5tupleIJSC_SC_EEENSE_IJSD_SD_EEES6_PlJ7is_evenIiEEEE10hipError_tPvRmT3_T4_T5_T6_T7_T9_mT8_P12ihipStream_tbDpT10_ENKUlT_T0_E_clISt17integral_constantIbLb1EES13_EEDaSY_SZ_EUlSY_E_NS1_11comp_targetILNS1_3genE9ELNS1_11target_archE1100ELNS1_3gpuE3ELNS1_3repE0EEENS1_30default_config_static_selectorELNS0_4arch9wavefront6targetE1EEEvT1_
                                        ; -- End function
	.section	.AMDGPU.csdata,"",@progbits
; Kernel info:
; codeLenInByte = 0
; NumSgprs: 6
; NumVgprs: 0
; NumAgprs: 0
; TotalNumVgprs: 0
; ScratchSize: 0
; MemoryBound: 0
; FloatMode: 240
; IeeeMode: 1
; LDSByteSize: 0 bytes/workgroup (compile time only)
; SGPRBlocks: 0
; VGPRBlocks: 0
; NumSGPRsForWavesPerEU: 6
; NumVGPRsForWavesPerEU: 1
; AccumOffset: 4
; Occupancy: 8
; WaveLimiterHint : 0
; COMPUTE_PGM_RSRC2:SCRATCH_EN: 0
; COMPUTE_PGM_RSRC2:USER_SGPR: 2
; COMPUTE_PGM_RSRC2:TRAP_HANDLER: 0
; COMPUTE_PGM_RSRC2:TGID_X_EN: 1
; COMPUTE_PGM_RSRC2:TGID_Y_EN: 0
; COMPUTE_PGM_RSRC2:TGID_Z_EN: 0
; COMPUTE_PGM_RSRC2:TIDIG_COMP_CNT: 0
; COMPUTE_PGM_RSRC3_GFX90A:ACCUM_OFFSET: 0
; COMPUTE_PGM_RSRC3_GFX90A:TG_SPLIT: 0
	.section	.text._ZN7rocprim17ROCPRIM_400000_NS6detail17trampoline_kernelINS0_14default_configENS1_25partition_config_selectorILNS1_17partition_subalgoE0EiNS0_10empty_typeEbEEZZNS1_14partition_implILS5_0ELb0ES3_jN6thrust23THRUST_200600_302600_NS10device_ptrIiEEPS6_SD_NS0_5tupleIJSC_SC_EEENSE_IJSD_SD_EEES6_PlJ7is_evenIiEEEE10hipError_tPvRmT3_T4_T5_T6_T7_T9_mT8_P12ihipStream_tbDpT10_ENKUlT_T0_E_clISt17integral_constantIbLb1EES13_EEDaSY_SZ_EUlSY_E_NS1_11comp_targetILNS1_3genE8ELNS1_11target_archE1030ELNS1_3gpuE2ELNS1_3repE0EEENS1_30default_config_static_selectorELNS0_4arch9wavefront6targetE1EEEvT1_,"axG",@progbits,_ZN7rocprim17ROCPRIM_400000_NS6detail17trampoline_kernelINS0_14default_configENS1_25partition_config_selectorILNS1_17partition_subalgoE0EiNS0_10empty_typeEbEEZZNS1_14partition_implILS5_0ELb0ES3_jN6thrust23THRUST_200600_302600_NS10device_ptrIiEEPS6_SD_NS0_5tupleIJSC_SC_EEENSE_IJSD_SD_EEES6_PlJ7is_evenIiEEEE10hipError_tPvRmT3_T4_T5_T6_T7_T9_mT8_P12ihipStream_tbDpT10_ENKUlT_T0_E_clISt17integral_constantIbLb1EES13_EEDaSY_SZ_EUlSY_E_NS1_11comp_targetILNS1_3genE8ELNS1_11target_archE1030ELNS1_3gpuE2ELNS1_3repE0EEENS1_30default_config_static_selectorELNS0_4arch9wavefront6targetE1EEEvT1_,comdat
	.protected	_ZN7rocprim17ROCPRIM_400000_NS6detail17trampoline_kernelINS0_14default_configENS1_25partition_config_selectorILNS1_17partition_subalgoE0EiNS0_10empty_typeEbEEZZNS1_14partition_implILS5_0ELb0ES3_jN6thrust23THRUST_200600_302600_NS10device_ptrIiEEPS6_SD_NS0_5tupleIJSC_SC_EEENSE_IJSD_SD_EEES6_PlJ7is_evenIiEEEE10hipError_tPvRmT3_T4_T5_T6_T7_T9_mT8_P12ihipStream_tbDpT10_ENKUlT_T0_E_clISt17integral_constantIbLb1EES13_EEDaSY_SZ_EUlSY_E_NS1_11comp_targetILNS1_3genE8ELNS1_11target_archE1030ELNS1_3gpuE2ELNS1_3repE0EEENS1_30default_config_static_selectorELNS0_4arch9wavefront6targetE1EEEvT1_ ; -- Begin function _ZN7rocprim17ROCPRIM_400000_NS6detail17trampoline_kernelINS0_14default_configENS1_25partition_config_selectorILNS1_17partition_subalgoE0EiNS0_10empty_typeEbEEZZNS1_14partition_implILS5_0ELb0ES3_jN6thrust23THRUST_200600_302600_NS10device_ptrIiEEPS6_SD_NS0_5tupleIJSC_SC_EEENSE_IJSD_SD_EEES6_PlJ7is_evenIiEEEE10hipError_tPvRmT3_T4_T5_T6_T7_T9_mT8_P12ihipStream_tbDpT10_ENKUlT_T0_E_clISt17integral_constantIbLb1EES13_EEDaSY_SZ_EUlSY_E_NS1_11comp_targetILNS1_3genE8ELNS1_11target_archE1030ELNS1_3gpuE2ELNS1_3repE0EEENS1_30default_config_static_selectorELNS0_4arch9wavefront6targetE1EEEvT1_
	.globl	_ZN7rocprim17ROCPRIM_400000_NS6detail17trampoline_kernelINS0_14default_configENS1_25partition_config_selectorILNS1_17partition_subalgoE0EiNS0_10empty_typeEbEEZZNS1_14partition_implILS5_0ELb0ES3_jN6thrust23THRUST_200600_302600_NS10device_ptrIiEEPS6_SD_NS0_5tupleIJSC_SC_EEENSE_IJSD_SD_EEES6_PlJ7is_evenIiEEEE10hipError_tPvRmT3_T4_T5_T6_T7_T9_mT8_P12ihipStream_tbDpT10_ENKUlT_T0_E_clISt17integral_constantIbLb1EES13_EEDaSY_SZ_EUlSY_E_NS1_11comp_targetILNS1_3genE8ELNS1_11target_archE1030ELNS1_3gpuE2ELNS1_3repE0EEENS1_30default_config_static_selectorELNS0_4arch9wavefront6targetE1EEEvT1_
	.p2align	8
	.type	_ZN7rocprim17ROCPRIM_400000_NS6detail17trampoline_kernelINS0_14default_configENS1_25partition_config_selectorILNS1_17partition_subalgoE0EiNS0_10empty_typeEbEEZZNS1_14partition_implILS5_0ELb0ES3_jN6thrust23THRUST_200600_302600_NS10device_ptrIiEEPS6_SD_NS0_5tupleIJSC_SC_EEENSE_IJSD_SD_EEES6_PlJ7is_evenIiEEEE10hipError_tPvRmT3_T4_T5_T6_T7_T9_mT8_P12ihipStream_tbDpT10_ENKUlT_T0_E_clISt17integral_constantIbLb1EES13_EEDaSY_SZ_EUlSY_E_NS1_11comp_targetILNS1_3genE8ELNS1_11target_archE1030ELNS1_3gpuE2ELNS1_3repE0EEENS1_30default_config_static_selectorELNS0_4arch9wavefront6targetE1EEEvT1_,@function
_ZN7rocprim17ROCPRIM_400000_NS6detail17trampoline_kernelINS0_14default_configENS1_25partition_config_selectorILNS1_17partition_subalgoE0EiNS0_10empty_typeEbEEZZNS1_14partition_implILS5_0ELb0ES3_jN6thrust23THRUST_200600_302600_NS10device_ptrIiEEPS6_SD_NS0_5tupleIJSC_SC_EEENSE_IJSD_SD_EEES6_PlJ7is_evenIiEEEE10hipError_tPvRmT3_T4_T5_T6_T7_T9_mT8_P12ihipStream_tbDpT10_ENKUlT_T0_E_clISt17integral_constantIbLb1EES13_EEDaSY_SZ_EUlSY_E_NS1_11comp_targetILNS1_3genE8ELNS1_11target_archE1030ELNS1_3gpuE2ELNS1_3repE0EEENS1_30default_config_static_selectorELNS0_4arch9wavefront6targetE1EEEvT1_: ; @_ZN7rocprim17ROCPRIM_400000_NS6detail17trampoline_kernelINS0_14default_configENS1_25partition_config_selectorILNS1_17partition_subalgoE0EiNS0_10empty_typeEbEEZZNS1_14partition_implILS5_0ELb0ES3_jN6thrust23THRUST_200600_302600_NS10device_ptrIiEEPS6_SD_NS0_5tupleIJSC_SC_EEENSE_IJSD_SD_EEES6_PlJ7is_evenIiEEEE10hipError_tPvRmT3_T4_T5_T6_T7_T9_mT8_P12ihipStream_tbDpT10_ENKUlT_T0_E_clISt17integral_constantIbLb1EES13_EEDaSY_SZ_EUlSY_E_NS1_11comp_targetILNS1_3genE8ELNS1_11target_archE1030ELNS1_3gpuE2ELNS1_3repE0EEENS1_30default_config_static_selectorELNS0_4arch9wavefront6targetE1EEEvT1_
; %bb.0:
	.section	.rodata,"a",@progbits
	.p2align	6, 0x0
	.amdhsa_kernel _ZN7rocprim17ROCPRIM_400000_NS6detail17trampoline_kernelINS0_14default_configENS1_25partition_config_selectorILNS1_17partition_subalgoE0EiNS0_10empty_typeEbEEZZNS1_14partition_implILS5_0ELb0ES3_jN6thrust23THRUST_200600_302600_NS10device_ptrIiEEPS6_SD_NS0_5tupleIJSC_SC_EEENSE_IJSD_SD_EEES6_PlJ7is_evenIiEEEE10hipError_tPvRmT3_T4_T5_T6_T7_T9_mT8_P12ihipStream_tbDpT10_ENKUlT_T0_E_clISt17integral_constantIbLb1EES13_EEDaSY_SZ_EUlSY_E_NS1_11comp_targetILNS1_3genE8ELNS1_11target_archE1030ELNS1_3gpuE2ELNS1_3repE0EEENS1_30default_config_static_selectorELNS0_4arch9wavefront6targetE1EEEvT1_
		.amdhsa_group_segment_fixed_size 0
		.amdhsa_private_segment_fixed_size 0
		.amdhsa_kernarg_size 136
		.amdhsa_user_sgpr_count 2
		.amdhsa_user_sgpr_dispatch_ptr 0
		.amdhsa_user_sgpr_queue_ptr 0
		.amdhsa_user_sgpr_kernarg_segment_ptr 1
		.amdhsa_user_sgpr_dispatch_id 0
		.amdhsa_user_sgpr_kernarg_preload_length 0
		.amdhsa_user_sgpr_kernarg_preload_offset 0
		.amdhsa_user_sgpr_private_segment_size 0
		.amdhsa_uses_dynamic_stack 0
		.amdhsa_enable_private_segment 0
		.amdhsa_system_sgpr_workgroup_id_x 1
		.amdhsa_system_sgpr_workgroup_id_y 0
		.amdhsa_system_sgpr_workgroup_id_z 0
		.amdhsa_system_sgpr_workgroup_info 0
		.amdhsa_system_vgpr_workitem_id 0
		.amdhsa_next_free_vgpr 1
		.amdhsa_next_free_sgpr 0
		.amdhsa_accum_offset 4
		.amdhsa_reserve_vcc 0
		.amdhsa_float_round_mode_32 0
		.amdhsa_float_round_mode_16_64 0
		.amdhsa_float_denorm_mode_32 3
		.amdhsa_float_denorm_mode_16_64 3
		.amdhsa_dx10_clamp 1
		.amdhsa_ieee_mode 1
		.amdhsa_fp16_overflow 0
		.amdhsa_tg_split 0
		.amdhsa_exception_fp_ieee_invalid_op 0
		.amdhsa_exception_fp_denorm_src 0
		.amdhsa_exception_fp_ieee_div_zero 0
		.amdhsa_exception_fp_ieee_overflow 0
		.amdhsa_exception_fp_ieee_underflow 0
		.amdhsa_exception_fp_ieee_inexact 0
		.amdhsa_exception_int_div_zero 0
	.end_amdhsa_kernel
	.section	.text._ZN7rocprim17ROCPRIM_400000_NS6detail17trampoline_kernelINS0_14default_configENS1_25partition_config_selectorILNS1_17partition_subalgoE0EiNS0_10empty_typeEbEEZZNS1_14partition_implILS5_0ELb0ES3_jN6thrust23THRUST_200600_302600_NS10device_ptrIiEEPS6_SD_NS0_5tupleIJSC_SC_EEENSE_IJSD_SD_EEES6_PlJ7is_evenIiEEEE10hipError_tPvRmT3_T4_T5_T6_T7_T9_mT8_P12ihipStream_tbDpT10_ENKUlT_T0_E_clISt17integral_constantIbLb1EES13_EEDaSY_SZ_EUlSY_E_NS1_11comp_targetILNS1_3genE8ELNS1_11target_archE1030ELNS1_3gpuE2ELNS1_3repE0EEENS1_30default_config_static_selectorELNS0_4arch9wavefront6targetE1EEEvT1_,"axG",@progbits,_ZN7rocprim17ROCPRIM_400000_NS6detail17trampoline_kernelINS0_14default_configENS1_25partition_config_selectorILNS1_17partition_subalgoE0EiNS0_10empty_typeEbEEZZNS1_14partition_implILS5_0ELb0ES3_jN6thrust23THRUST_200600_302600_NS10device_ptrIiEEPS6_SD_NS0_5tupleIJSC_SC_EEENSE_IJSD_SD_EEES6_PlJ7is_evenIiEEEE10hipError_tPvRmT3_T4_T5_T6_T7_T9_mT8_P12ihipStream_tbDpT10_ENKUlT_T0_E_clISt17integral_constantIbLb1EES13_EEDaSY_SZ_EUlSY_E_NS1_11comp_targetILNS1_3genE8ELNS1_11target_archE1030ELNS1_3gpuE2ELNS1_3repE0EEENS1_30default_config_static_selectorELNS0_4arch9wavefront6targetE1EEEvT1_,comdat
.Lfunc_end3709:
	.size	_ZN7rocprim17ROCPRIM_400000_NS6detail17trampoline_kernelINS0_14default_configENS1_25partition_config_selectorILNS1_17partition_subalgoE0EiNS0_10empty_typeEbEEZZNS1_14partition_implILS5_0ELb0ES3_jN6thrust23THRUST_200600_302600_NS10device_ptrIiEEPS6_SD_NS0_5tupleIJSC_SC_EEENSE_IJSD_SD_EEES6_PlJ7is_evenIiEEEE10hipError_tPvRmT3_T4_T5_T6_T7_T9_mT8_P12ihipStream_tbDpT10_ENKUlT_T0_E_clISt17integral_constantIbLb1EES13_EEDaSY_SZ_EUlSY_E_NS1_11comp_targetILNS1_3genE8ELNS1_11target_archE1030ELNS1_3gpuE2ELNS1_3repE0EEENS1_30default_config_static_selectorELNS0_4arch9wavefront6targetE1EEEvT1_, .Lfunc_end3709-_ZN7rocprim17ROCPRIM_400000_NS6detail17trampoline_kernelINS0_14default_configENS1_25partition_config_selectorILNS1_17partition_subalgoE0EiNS0_10empty_typeEbEEZZNS1_14partition_implILS5_0ELb0ES3_jN6thrust23THRUST_200600_302600_NS10device_ptrIiEEPS6_SD_NS0_5tupleIJSC_SC_EEENSE_IJSD_SD_EEES6_PlJ7is_evenIiEEEE10hipError_tPvRmT3_T4_T5_T6_T7_T9_mT8_P12ihipStream_tbDpT10_ENKUlT_T0_E_clISt17integral_constantIbLb1EES13_EEDaSY_SZ_EUlSY_E_NS1_11comp_targetILNS1_3genE8ELNS1_11target_archE1030ELNS1_3gpuE2ELNS1_3repE0EEENS1_30default_config_static_selectorELNS0_4arch9wavefront6targetE1EEEvT1_
                                        ; -- End function
	.section	.AMDGPU.csdata,"",@progbits
; Kernel info:
; codeLenInByte = 0
; NumSgprs: 6
; NumVgprs: 0
; NumAgprs: 0
; TotalNumVgprs: 0
; ScratchSize: 0
; MemoryBound: 0
; FloatMode: 240
; IeeeMode: 1
; LDSByteSize: 0 bytes/workgroup (compile time only)
; SGPRBlocks: 0
; VGPRBlocks: 0
; NumSGPRsForWavesPerEU: 6
; NumVGPRsForWavesPerEU: 1
; AccumOffset: 4
; Occupancy: 8
; WaveLimiterHint : 0
; COMPUTE_PGM_RSRC2:SCRATCH_EN: 0
; COMPUTE_PGM_RSRC2:USER_SGPR: 2
; COMPUTE_PGM_RSRC2:TRAP_HANDLER: 0
; COMPUTE_PGM_RSRC2:TGID_X_EN: 1
; COMPUTE_PGM_RSRC2:TGID_Y_EN: 0
; COMPUTE_PGM_RSRC2:TGID_Z_EN: 0
; COMPUTE_PGM_RSRC2:TIDIG_COMP_CNT: 0
; COMPUTE_PGM_RSRC3_GFX90A:ACCUM_OFFSET: 0
; COMPUTE_PGM_RSRC3_GFX90A:TG_SPLIT: 0
	.section	.text._ZN7rocprim17ROCPRIM_400000_NS6detail17trampoline_kernelINS0_14default_configENS1_25partition_config_selectorILNS1_17partition_subalgoE0EiNS0_10empty_typeEbEEZZNS1_14partition_implILS5_0ELb0ES3_jN6thrust23THRUST_200600_302600_NS10device_ptrIiEEPS6_SD_NS0_5tupleIJSC_SC_EEENSE_IJSD_SD_EEES6_PlJ7is_evenIiEEEE10hipError_tPvRmT3_T4_T5_T6_T7_T9_mT8_P12ihipStream_tbDpT10_ENKUlT_T0_E_clISt17integral_constantIbLb1EES12_IbLb0EEEEDaSY_SZ_EUlSY_E_NS1_11comp_targetILNS1_3genE0ELNS1_11target_archE4294967295ELNS1_3gpuE0ELNS1_3repE0EEENS1_30default_config_static_selectorELNS0_4arch9wavefront6targetE1EEEvT1_,"axG",@progbits,_ZN7rocprim17ROCPRIM_400000_NS6detail17trampoline_kernelINS0_14default_configENS1_25partition_config_selectorILNS1_17partition_subalgoE0EiNS0_10empty_typeEbEEZZNS1_14partition_implILS5_0ELb0ES3_jN6thrust23THRUST_200600_302600_NS10device_ptrIiEEPS6_SD_NS0_5tupleIJSC_SC_EEENSE_IJSD_SD_EEES6_PlJ7is_evenIiEEEE10hipError_tPvRmT3_T4_T5_T6_T7_T9_mT8_P12ihipStream_tbDpT10_ENKUlT_T0_E_clISt17integral_constantIbLb1EES12_IbLb0EEEEDaSY_SZ_EUlSY_E_NS1_11comp_targetILNS1_3genE0ELNS1_11target_archE4294967295ELNS1_3gpuE0ELNS1_3repE0EEENS1_30default_config_static_selectorELNS0_4arch9wavefront6targetE1EEEvT1_,comdat
	.protected	_ZN7rocprim17ROCPRIM_400000_NS6detail17trampoline_kernelINS0_14default_configENS1_25partition_config_selectorILNS1_17partition_subalgoE0EiNS0_10empty_typeEbEEZZNS1_14partition_implILS5_0ELb0ES3_jN6thrust23THRUST_200600_302600_NS10device_ptrIiEEPS6_SD_NS0_5tupleIJSC_SC_EEENSE_IJSD_SD_EEES6_PlJ7is_evenIiEEEE10hipError_tPvRmT3_T4_T5_T6_T7_T9_mT8_P12ihipStream_tbDpT10_ENKUlT_T0_E_clISt17integral_constantIbLb1EES12_IbLb0EEEEDaSY_SZ_EUlSY_E_NS1_11comp_targetILNS1_3genE0ELNS1_11target_archE4294967295ELNS1_3gpuE0ELNS1_3repE0EEENS1_30default_config_static_selectorELNS0_4arch9wavefront6targetE1EEEvT1_ ; -- Begin function _ZN7rocprim17ROCPRIM_400000_NS6detail17trampoline_kernelINS0_14default_configENS1_25partition_config_selectorILNS1_17partition_subalgoE0EiNS0_10empty_typeEbEEZZNS1_14partition_implILS5_0ELb0ES3_jN6thrust23THRUST_200600_302600_NS10device_ptrIiEEPS6_SD_NS0_5tupleIJSC_SC_EEENSE_IJSD_SD_EEES6_PlJ7is_evenIiEEEE10hipError_tPvRmT3_T4_T5_T6_T7_T9_mT8_P12ihipStream_tbDpT10_ENKUlT_T0_E_clISt17integral_constantIbLb1EES12_IbLb0EEEEDaSY_SZ_EUlSY_E_NS1_11comp_targetILNS1_3genE0ELNS1_11target_archE4294967295ELNS1_3gpuE0ELNS1_3repE0EEENS1_30default_config_static_selectorELNS0_4arch9wavefront6targetE1EEEvT1_
	.globl	_ZN7rocprim17ROCPRIM_400000_NS6detail17trampoline_kernelINS0_14default_configENS1_25partition_config_selectorILNS1_17partition_subalgoE0EiNS0_10empty_typeEbEEZZNS1_14partition_implILS5_0ELb0ES3_jN6thrust23THRUST_200600_302600_NS10device_ptrIiEEPS6_SD_NS0_5tupleIJSC_SC_EEENSE_IJSD_SD_EEES6_PlJ7is_evenIiEEEE10hipError_tPvRmT3_T4_T5_T6_T7_T9_mT8_P12ihipStream_tbDpT10_ENKUlT_T0_E_clISt17integral_constantIbLb1EES12_IbLb0EEEEDaSY_SZ_EUlSY_E_NS1_11comp_targetILNS1_3genE0ELNS1_11target_archE4294967295ELNS1_3gpuE0ELNS1_3repE0EEENS1_30default_config_static_selectorELNS0_4arch9wavefront6targetE1EEEvT1_
	.p2align	8
	.type	_ZN7rocprim17ROCPRIM_400000_NS6detail17trampoline_kernelINS0_14default_configENS1_25partition_config_selectorILNS1_17partition_subalgoE0EiNS0_10empty_typeEbEEZZNS1_14partition_implILS5_0ELb0ES3_jN6thrust23THRUST_200600_302600_NS10device_ptrIiEEPS6_SD_NS0_5tupleIJSC_SC_EEENSE_IJSD_SD_EEES6_PlJ7is_evenIiEEEE10hipError_tPvRmT3_T4_T5_T6_T7_T9_mT8_P12ihipStream_tbDpT10_ENKUlT_T0_E_clISt17integral_constantIbLb1EES12_IbLb0EEEEDaSY_SZ_EUlSY_E_NS1_11comp_targetILNS1_3genE0ELNS1_11target_archE4294967295ELNS1_3gpuE0ELNS1_3repE0EEENS1_30default_config_static_selectorELNS0_4arch9wavefront6targetE1EEEvT1_,@function
_ZN7rocprim17ROCPRIM_400000_NS6detail17trampoline_kernelINS0_14default_configENS1_25partition_config_selectorILNS1_17partition_subalgoE0EiNS0_10empty_typeEbEEZZNS1_14partition_implILS5_0ELb0ES3_jN6thrust23THRUST_200600_302600_NS10device_ptrIiEEPS6_SD_NS0_5tupleIJSC_SC_EEENSE_IJSD_SD_EEES6_PlJ7is_evenIiEEEE10hipError_tPvRmT3_T4_T5_T6_T7_T9_mT8_P12ihipStream_tbDpT10_ENKUlT_T0_E_clISt17integral_constantIbLb1EES12_IbLb0EEEEDaSY_SZ_EUlSY_E_NS1_11comp_targetILNS1_3genE0ELNS1_11target_archE4294967295ELNS1_3gpuE0ELNS1_3repE0EEENS1_30default_config_static_selectorELNS0_4arch9wavefront6targetE1EEEvT1_: ; @_ZN7rocprim17ROCPRIM_400000_NS6detail17trampoline_kernelINS0_14default_configENS1_25partition_config_selectorILNS1_17partition_subalgoE0EiNS0_10empty_typeEbEEZZNS1_14partition_implILS5_0ELb0ES3_jN6thrust23THRUST_200600_302600_NS10device_ptrIiEEPS6_SD_NS0_5tupleIJSC_SC_EEENSE_IJSD_SD_EEES6_PlJ7is_evenIiEEEE10hipError_tPvRmT3_T4_T5_T6_T7_T9_mT8_P12ihipStream_tbDpT10_ENKUlT_T0_E_clISt17integral_constantIbLb1EES12_IbLb0EEEEDaSY_SZ_EUlSY_E_NS1_11comp_targetILNS1_3genE0ELNS1_11target_archE4294967295ELNS1_3gpuE0ELNS1_3repE0EEENS1_30default_config_static_selectorELNS0_4arch9wavefront6targetE1EEEvT1_
; %bb.0:
	.section	.rodata,"a",@progbits
	.p2align	6, 0x0
	.amdhsa_kernel _ZN7rocprim17ROCPRIM_400000_NS6detail17trampoline_kernelINS0_14default_configENS1_25partition_config_selectorILNS1_17partition_subalgoE0EiNS0_10empty_typeEbEEZZNS1_14partition_implILS5_0ELb0ES3_jN6thrust23THRUST_200600_302600_NS10device_ptrIiEEPS6_SD_NS0_5tupleIJSC_SC_EEENSE_IJSD_SD_EEES6_PlJ7is_evenIiEEEE10hipError_tPvRmT3_T4_T5_T6_T7_T9_mT8_P12ihipStream_tbDpT10_ENKUlT_T0_E_clISt17integral_constantIbLb1EES12_IbLb0EEEEDaSY_SZ_EUlSY_E_NS1_11comp_targetILNS1_3genE0ELNS1_11target_archE4294967295ELNS1_3gpuE0ELNS1_3repE0EEENS1_30default_config_static_selectorELNS0_4arch9wavefront6targetE1EEEvT1_
		.amdhsa_group_segment_fixed_size 0
		.amdhsa_private_segment_fixed_size 0
		.amdhsa_kernarg_size 120
		.amdhsa_user_sgpr_count 2
		.amdhsa_user_sgpr_dispatch_ptr 0
		.amdhsa_user_sgpr_queue_ptr 0
		.amdhsa_user_sgpr_kernarg_segment_ptr 1
		.amdhsa_user_sgpr_dispatch_id 0
		.amdhsa_user_sgpr_kernarg_preload_length 0
		.amdhsa_user_sgpr_kernarg_preload_offset 0
		.amdhsa_user_sgpr_private_segment_size 0
		.amdhsa_uses_dynamic_stack 0
		.amdhsa_enable_private_segment 0
		.amdhsa_system_sgpr_workgroup_id_x 1
		.amdhsa_system_sgpr_workgroup_id_y 0
		.amdhsa_system_sgpr_workgroup_id_z 0
		.amdhsa_system_sgpr_workgroup_info 0
		.amdhsa_system_vgpr_workitem_id 0
		.amdhsa_next_free_vgpr 1
		.amdhsa_next_free_sgpr 0
		.amdhsa_accum_offset 4
		.amdhsa_reserve_vcc 0
		.amdhsa_float_round_mode_32 0
		.amdhsa_float_round_mode_16_64 0
		.amdhsa_float_denorm_mode_32 3
		.amdhsa_float_denorm_mode_16_64 3
		.amdhsa_dx10_clamp 1
		.amdhsa_ieee_mode 1
		.amdhsa_fp16_overflow 0
		.amdhsa_tg_split 0
		.amdhsa_exception_fp_ieee_invalid_op 0
		.amdhsa_exception_fp_denorm_src 0
		.amdhsa_exception_fp_ieee_div_zero 0
		.amdhsa_exception_fp_ieee_overflow 0
		.amdhsa_exception_fp_ieee_underflow 0
		.amdhsa_exception_fp_ieee_inexact 0
		.amdhsa_exception_int_div_zero 0
	.end_amdhsa_kernel
	.section	.text._ZN7rocprim17ROCPRIM_400000_NS6detail17trampoline_kernelINS0_14default_configENS1_25partition_config_selectorILNS1_17partition_subalgoE0EiNS0_10empty_typeEbEEZZNS1_14partition_implILS5_0ELb0ES3_jN6thrust23THRUST_200600_302600_NS10device_ptrIiEEPS6_SD_NS0_5tupleIJSC_SC_EEENSE_IJSD_SD_EEES6_PlJ7is_evenIiEEEE10hipError_tPvRmT3_T4_T5_T6_T7_T9_mT8_P12ihipStream_tbDpT10_ENKUlT_T0_E_clISt17integral_constantIbLb1EES12_IbLb0EEEEDaSY_SZ_EUlSY_E_NS1_11comp_targetILNS1_3genE0ELNS1_11target_archE4294967295ELNS1_3gpuE0ELNS1_3repE0EEENS1_30default_config_static_selectorELNS0_4arch9wavefront6targetE1EEEvT1_,"axG",@progbits,_ZN7rocprim17ROCPRIM_400000_NS6detail17trampoline_kernelINS0_14default_configENS1_25partition_config_selectorILNS1_17partition_subalgoE0EiNS0_10empty_typeEbEEZZNS1_14partition_implILS5_0ELb0ES3_jN6thrust23THRUST_200600_302600_NS10device_ptrIiEEPS6_SD_NS0_5tupleIJSC_SC_EEENSE_IJSD_SD_EEES6_PlJ7is_evenIiEEEE10hipError_tPvRmT3_T4_T5_T6_T7_T9_mT8_P12ihipStream_tbDpT10_ENKUlT_T0_E_clISt17integral_constantIbLb1EES12_IbLb0EEEEDaSY_SZ_EUlSY_E_NS1_11comp_targetILNS1_3genE0ELNS1_11target_archE4294967295ELNS1_3gpuE0ELNS1_3repE0EEENS1_30default_config_static_selectorELNS0_4arch9wavefront6targetE1EEEvT1_,comdat
.Lfunc_end3710:
	.size	_ZN7rocprim17ROCPRIM_400000_NS6detail17trampoline_kernelINS0_14default_configENS1_25partition_config_selectorILNS1_17partition_subalgoE0EiNS0_10empty_typeEbEEZZNS1_14partition_implILS5_0ELb0ES3_jN6thrust23THRUST_200600_302600_NS10device_ptrIiEEPS6_SD_NS0_5tupleIJSC_SC_EEENSE_IJSD_SD_EEES6_PlJ7is_evenIiEEEE10hipError_tPvRmT3_T4_T5_T6_T7_T9_mT8_P12ihipStream_tbDpT10_ENKUlT_T0_E_clISt17integral_constantIbLb1EES12_IbLb0EEEEDaSY_SZ_EUlSY_E_NS1_11comp_targetILNS1_3genE0ELNS1_11target_archE4294967295ELNS1_3gpuE0ELNS1_3repE0EEENS1_30default_config_static_selectorELNS0_4arch9wavefront6targetE1EEEvT1_, .Lfunc_end3710-_ZN7rocprim17ROCPRIM_400000_NS6detail17trampoline_kernelINS0_14default_configENS1_25partition_config_selectorILNS1_17partition_subalgoE0EiNS0_10empty_typeEbEEZZNS1_14partition_implILS5_0ELb0ES3_jN6thrust23THRUST_200600_302600_NS10device_ptrIiEEPS6_SD_NS0_5tupleIJSC_SC_EEENSE_IJSD_SD_EEES6_PlJ7is_evenIiEEEE10hipError_tPvRmT3_T4_T5_T6_T7_T9_mT8_P12ihipStream_tbDpT10_ENKUlT_T0_E_clISt17integral_constantIbLb1EES12_IbLb0EEEEDaSY_SZ_EUlSY_E_NS1_11comp_targetILNS1_3genE0ELNS1_11target_archE4294967295ELNS1_3gpuE0ELNS1_3repE0EEENS1_30default_config_static_selectorELNS0_4arch9wavefront6targetE1EEEvT1_
                                        ; -- End function
	.section	.AMDGPU.csdata,"",@progbits
; Kernel info:
; codeLenInByte = 0
; NumSgprs: 6
; NumVgprs: 0
; NumAgprs: 0
; TotalNumVgprs: 0
; ScratchSize: 0
; MemoryBound: 0
; FloatMode: 240
; IeeeMode: 1
; LDSByteSize: 0 bytes/workgroup (compile time only)
; SGPRBlocks: 0
; VGPRBlocks: 0
; NumSGPRsForWavesPerEU: 6
; NumVGPRsForWavesPerEU: 1
; AccumOffset: 4
; Occupancy: 8
; WaveLimiterHint : 0
; COMPUTE_PGM_RSRC2:SCRATCH_EN: 0
; COMPUTE_PGM_RSRC2:USER_SGPR: 2
; COMPUTE_PGM_RSRC2:TRAP_HANDLER: 0
; COMPUTE_PGM_RSRC2:TGID_X_EN: 1
; COMPUTE_PGM_RSRC2:TGID_Y_EN: 0
; COMPUTE_PGM_RSRC2:TGID_Z_EN: 0
; COMPUTE_PGM_RSRC2:TIDIG_COMP_CNT: 0
; COMPUTE_PGM_RSRC3_GFX90A:ACCUM_OFFSET: 0
; COMPUTE_PGM_RSRC3_GFX90A:TG_SPLIT: 0
	.section	.text._ZN7rocprim17ROCPRIM_400000_NS6detail17trampoline_kernelINS0_14default_configENS1_25partition_config_selectorILNS1_17partition_subalgoE0EiNS0_10empty_typeEbEEZZNS1_14partition_implILS5_0ELb0ES3_jN6thrust23THRUST_200600_302600_NS10device_ptrIiEEPS6_SD_NS0_5tupleIJSC_SC_EEENSE_IJSD_SD_EEES6_PlJ7is_evenIiEEEE10hipError_tPvRmT3_T4_T5_T6_T7_T9_mT8_P12ihipStream_tbDpT10_ENKUlT_T0_E_clISt17integral_constantIbLb1EES12_IbLb0EEEEDaSY_SZ_EUlSY_E_NS1_11comp_targetILNS1_3genE5ELNS1_11target_archE942ELNS1_3gpuE9ELNS1_3repE0EEENS1_30default_config_static_selectorELNS0_4arch9wavefront6targetE1EEEvT1_,"axG",@progbits,_ZN7rocprim17ROCPRIM_400000_NS6detail17trampoline_kernelINS0_14default_configENS1_25partition_config_selectorILNS1_17partition_subalgoE0EiNS0_10empty_typeEbEEZZNS1_14partition_implILS5_0ELb0ES3_jN6thrust23THRUST_200600_302600_NS10device_ptrIiEEPS6_SD_NS0_5tupleIJSC_SC_EEENSE_IJSD_SD_EEES6_PlJ7is_evenIiEEEE10hipError_tPvRmT3_T4_T5_T6_T7_T9_mT8_P12ihipStream_tbDpT10_ENKUlT_T0_E_clISt17integral_constantIbLb1EES12_IbLb0EEEEDaSY_SZ_EUlSY_E_NS1_11comp_targetILNS1_3genE5ELNS1_11target_archE942ELNS1_3gpuE9ELNS1_3repE0EEENS1_30default_config_static_selectorELNS0_4arch9wavefront6targetE1EEEvT1_,comdat
	.protected	_ZN7rocprim17ROCPRIM_400000_NS6detail17trampoline_kernelINS0_14default_configENS1_25partition_config_selectorILNS1_17partition_subalgoE0EiNS0_10empty_typeEbEEZZNS1_14partition_implILS5_0ELb0ES3_jN6thrust23THRUST_200600_302600_NS10device_ptrIiEEPS6_SD_NS0_5tupleIJSC_SC_EEENSE_IJSD_SD_EEES6_PlJ7is_evenIiEEEE10hipError_tPvRmT3_T4_T5_T6_T7_T9_mT8_P12ihipStream_tbDpT10_ENKUlT_T0_E_clISt17integral_constantIbLb1EES12_IbLb0EEEEDaSY_SZ_EUlSY_E_NS1_11comp_targetILNS1_3genE5ELNS1_11target_archE942ELNS1_3gpuE9ELNS1_3repE0EEENS1_30default_config_static_selectorELNS0_4arch9wavefront6targetE1EEEvT1_ ; -- Begin function _ZN7rocprim17ROCPRIM_400000_NS6detail17trampoline_kernelINS0_14default_configENS1_25partition_config_selectorILNS1_17partition_subalgoE0EiNS0_10empty_typeEbEEZZNS1_14partition_implILS5_0ELb0ES3_jN6thrust23THRUST_200600_302600_NS10device_ptrIiEEPS6_SD_NS0_5tupleIJSC_SC_EEENSE_IJSD_SD_EEES6_PlJ7is_evenIiEEEE10hipError_tPvRmT3_T4_T5_T6_T7_T9_mT8_P12ihipStream_tbDpT10_ENKUlT_T0_E_clISt17integral_constantIbLb1EES12_IbLb0EEEEDaSY_SZ_EUlSY_E_NS1_11comp_targetILNS1_3genE5ELNS1_11target_archE942ELNS1_3gpuE9ELNS1_3repE0EEENS1_30default_config_static_selectorELNS0_4arch9wavefront6targetE1EEEvT1_
	.globl	_ZN7rocprim17ROCPRIM_400000_NS6detail17trampoline_kernelINS0_14default_configENS1_25partition_config_selectorILNS1_17partition_subalgoE0EiNS0_10empty_typeEbEEZZNS1_14partition_implILS5_0ELb0ES3_jN6thrust23THRUST_200600_302600_NS10device_ptrIiEEPS6_SD_NS0_5tupleIJSC_SC_EEENSE_IJSD_SD_EEES6_PlJ7is_evenIiEEEE10hipError_tPvRmT3_T4_T5_T6_T7_T9_mT8_P12ihipStream_tbDpT10_ENKUlT_T0_E_clISt17integral_constantIbLb1EES12_IbLb0EEEEDaSY_SZ_EUlSY_E_NS1_11comp_targetILNS1_3genE5ELNS1_11target_archE942ELNS1_3gpuE9ELNS1_3repE0EEENS1_30default_config_static_selectorELNS0_4arch9wavefront6targetE1EEEvT1_
	.p2align	8
	.type	_ZN7rocprim17ROCPRIM_400000_NS6detail17trampoline_kernelINS0_14default_configENS1_25partition_config_selectorILNS1_17partition_subalgoE0EiNS0_10empty_typeEbEEZZNS1_14partition_implILS5_0ELb0ES3_jN6thrust23THRUST_200600_302600_NS10device_ptrIiEEPS6_SD_NS0_5tupleIJSC_SC_EEENSE_IJSD_SD_EEES6_PlJ7is_evenIiEEEE10hipError_tPvRmT3_T4_T5_T6_T7_T9_mT8_P12ihipStream_tbDpT10_ENKUlT_T0_E_clISt17integral_constantIbLb1EES12_IbLb0EEEEDaSY_SZ_EUlSY_E_NS1_11comp_targetILNS1_3genE5ELNS1_11target_archE942ELNS1_3gpuE9ELNS1_3repE0EEENS1_30default_config_static_selectorELNS0_4arch9wavefront6targetE1EEEvT1_,@function
_ZN7rocprim17ROCPRIM_400000_NS6detail17trampoline_kernelINS0_14default_configENS1_25partition_config_selectorILNS1_17partition_subalgoE0EiNS0_10empty_typeEbEEZZNS1_14partition_implILS5_0ELb0ES3_jN6thrust23THRUST_200600_302600_NS10device_ptrIiEEPS6_SD_NS0_5tupleIJSC_SC_EEENSE_IJSD_SD_EEES6_PlJ7is_evenIiEEEE10hipError_tPvRmT3_T4_T5_T6_T7_T9_mT8_P12ihipStream_tbDpT10_ENKUlT_T0_E_clISt17integral_constantIbLb1EES12_IbLb0EEEEDaSY_SZ_EUlSY_E_NS1_11comp_targetILNS1_3genE5ELNS1_11target_archE942ELNS1_3gpuE9ELNS1_3repE0EEENS1_30default_config_static_selectorELNS0_4arch9wavefront6targetE1EEEvT1_: ; @_ZN7rocprim17ROCPRIM_400000_NS6detail17trampoline_kernelINS0_14default_configENS1_25partition_config_selectorILNS1_17partition_subalgoE0EiNS0_10empty_typeEbEEZZNS1_14partition_implILS5_0ELb0ES3_jN6thrust23THRUST_200600_302600_NS10device_ptrIiEEPS6_SD_NS0_5tupleIJSC_SC_EEENSE_IJSD_SD_EEES6_PlJ7is_evenIiEEEE10hipError_tPvRmT3_T4_T5_T6_T7_T9_mT8_P12ihipStream_tbDpT10_ENKUlT_T0_E_clISt17integral_constantIbLb1EES12_IbLb0EEEEDaSY_SZ_EUlSY_E_NS1_11comp_targetILNS1_3genE5ELNS1_11target_archE942ELNS1_3gpuE9ELNS1_3repE0EEENS1_30default_config_static_selectorELNS0_4arch9wavefront6targetE1EEEvT1_
; %bb.0:
	s_load_dwordx2 s[4:5], s[0:1], 0x58
	s_load_dwordx4 s[20:23], s[0:1], 0x8
	s_load_dwordx4 s[24:27], s[0:1], 0x48
	s_load_dword s3, s[0:1], 0x70
	s_mul_i32 s8, s2, 0x1e00
	s_waitcnt lgkmcnt(0)
	v_mov_b32_e32 v3, s5
	s_lshl_b64 s[6:7], s[22:23], 2
	s_add_u32 s10, s20, s6
	s_addc_u32 s11, s21, s7
	s_add_i32 s6, s3, -1
	s_mulk_i32 s3, 0x1e00
	s_add_i32 s5, s3, s22
	s_sub_i32 s33, s4, s5
	s_addk_i32 s33, 0x1e00
	v_mov_b32_e32 v2, s4
	s_add_u32 s4, s22, s3
	s_addc_u32 s5, s23, 0
	s_cmp_eq_u32 s2, s6
	s_load_dwordx2 s[28:29], s[26:27], 0x0
	s_cselect_b64 s[26:27], -1, 0
	s_cmp_lg_u32 s2, s6
	s_mov_b32 s9, 0
	v_cmp_lt_u64_e32 vcc, s[4:5], v[2:3]
	s_cselect_b64 s[4:5], -1, 0
	s_or_b64 s[6:7], s[4:5], vcc
	s_lshl_b64 s[30:31], s[8:9], 2
	s_add_u32 s8, s10, s30
	s_addc_u32 s9, s11, s31
	s_mov_b64 s[4:5], -1
	s_and_b64 vcc, exec, s[6:7]
	v_lshlrev_b32_e32 v18, 2, v0
	s_cbranch_vccz .LBB3711_2
; %bb.1:
	v_mov_b32_e32 v19, 0
	v_lshl_add_u64 v[2:3], s[8:9], 0, v[18:19]
	v_add_co_u32_e32 v4, vcc, 0x1000, v2
	s_mov_b64 s[4:5], 0
	s_nop 0
	v_addc_co_u32_e32 v5, vcc, 0, v3, vcc
	v_add_co_u32_e32 v6, vcc, 0x2000, v2
	s_nop 1
	v_addc_co_u32_e32 v7, vcc, 0, v3, vcc
	v_add_co_u32_e32 v8, vcc, 0x3000, v2
	s_nop 1
	v_addc_co_u32_e32 v9, vcc, 0, v3, vcc
	flat_load_dword v1, v[2:3]
	flat_load_dword v10, v[2:3] offset:2048
	flat_load_dword v11, v[4:5]
	flat_load_dword v12, v[4:5] offset:2048
	;; [unrolled: 2-line block ×4, first 2 shown]
	v_add_co_u32_e32 v4, vcc, 0x4000, v2
	s_nop 1
	v_addc_co_u32_e32 v5, vcc, 0, v3, vcc
	v_add_co_u32_e32 v6, vcc, 0x5000, v2
	s_nop 1
	v_addc_co_u32_e32 v7, vcc, 0, v3, vcc
	;; [unrolled: 3-line block ×4, first 2 shown]
	flat_load_dword v17, v[4:5]
	flat_load_dword v19, v[4:5] offset:2048
	flat_load_dword v20, v[6:7]
	flat_load_dword v21, v[6:7] offset:2048
	;; [unrolled: 2-line block ×3, first 2 shown]
	flat_load_dword v24, v[2:3]
	s_waitcnt vmcnt(0) lgkmcnt(0)
	ds_write2st64_b32 v18, v1, v10 offset1:8
	ds_write2st64_b32 v18, v11, v12 offset0:16 offset1:24
	ds_write2st64_b32 v18, v13, v14 offset0:32 offset1:40
	;; [unrolled: 1-line block ×6, first 2 shown]
	ds_write_b32 v18, v24 offset:28672
	s_waitcnt lgkmcnt(0)
	s_barrier
.LBB3711_2:
	s_andn2_b64 vcc, exec, s[4:5]
	v_cmp_gt_u32_e64 s[4:5], s33, v0
	s_cbranch_vccnz .LBB3711_34
; %bb.3:
                                        ; implicit-def: $vgpr2_vgpr3_vgpr4_vgpr5_vgpr6_vgpr7_vgpr8_vgpr9_vgpr10_vgpr11_vgpr12_vgpr13_vgpr14_vgpr15_vgpr16_vgpr17
	s_and_saveexec_b64 s[10:11], s[4:5]
	s_cbranch_execz .LBB3711_5
; %bb.4:
	v_mov_b32_e32 v19, 0
	v_lshl_add_u64 v[2:3], s[8:9], 0, v[18:19]
	flat_load_dword v2, v[2:3]
.LBB3711_5:
	s_or_b64 exec, exec, s[10:11]
	v_or_b32_e32 v1, 0x200, v0
	v_cmp_gt_u32_e32 vcc, s33, v1
	s_and_saveexec_b64 s[4:5], vcc
	s_cbranch_execz .LBB3711_7
; %bb.6:
	v_mov_b32_e32 v19, 0
	v_lshl_add_u64 v[20:21], s[8:9], 0, v[18:19]
	flat_load_dword v3, v[20:21] offset:2048
.LBB3711_7:
	s_or_b64 exec, exec, s[4:5]
	v_or_b32_e32 v1, 0x400, v0
	v_cmp_gt_u32_e32 vcc, s33, v1
	s_and_saveexec_b64 s[4:5], vcc
	s_cbranch_execz .LBB3711_9
; %bb.8:
	v_lshlrev_b32_e32 v20, 2, v1
	v_mov_b32_e32 v21, 0
	v_lshl_add_u64 v[20:21], s[8:9], 0, v[20:21]
	flat_load_dword v4, v[20:21]
.LBB3711_9:
	s_or_b64 exec, exec, s[4:5]
	v_or_b32_e32 v1, 0x600, v0
	v_cmp_gt_u32_e32 vcc, s33, v1
	s_and_saveexec_b64 s[4:5], vcc
	s_cbranch_execz .LBB3711_11
; %bb.10:
	v_lshlrev_b32_e32 v20, 2, v1
	v_mov_b32_e32 v21, 0
	v_lshl_add_u64 v[20:21], s[8:9], 0, v[20:21]
	flat_load_dword v5, v[20:21]
.LBB3711_11:
	;; [unrolled: 11-line block ×13, first 2 shown]
	s_or_b64 exec, exec, s[4:5]
	s_waitcnt vmcnt(0) lgkmcnt(0)
	ds_write2st64_b32 v18, v2, v3 offset1:8
	ds_write2st64_b32 v18, v4, v5 offset0:16 offset1:24
	ds_write2st64_b32 v18, v6, v7 offset0:32 offset1:40
	;; [unrolled: 1-line block ×6, first 2 shown]
	ds_write_b32 v18, v16 offset:28672
	s_waitcnt lgkmcnt(0)
	s_barrier
.LBB3711_34:
	v_mul_u32_u24_e32 v38, 15, v0
	v_lshlrev_b32_e32 v1, 2, v38
	s_waitcnt lgkmcnt(0)
	ds_read2_b32 v[32:33], v1 offset1:1
	ds_read2_b32 v[30:31], v1 offset0:2 offset1:3
	ds_read2_b32 v[28:29], v1 offset0:4 offset1:5
	ds_read2_b32 v[26:27], v1 offset0:6 offset1:7
	ds_read2_b32 v[24:25], v1 offset0:8 offset1:9
	ds_read2_b32 v[22:23], v1 offset0:10 offset1:11
	ds_read2_b32 v[20:21], v1 offset0:12 offset1:13
	ds_read_b32 v1, v1 offset:56
	v_cndmask_b32_e64 v2, 0, 1, s[6:7]
	v_cmp_ne_u32_e64 s[20:21], 1, v2
	s_andn2_b64 vcc, exec, s[6:7]
	s_waitcnt lgkmcnt(7)
	v_xor_b32_e32 v16, -1, v32
	v_xor_b32_e32 v15, -1, v33
	s_waitcnt lgkmcnt(6)
	v_xor_b32_e32 v14, -1, v30
	v_xor_b32_e32 v13, -1, v31
	s_waitcnt lgkmcnt(5)
	v_xor_b32_e32 v12, -1, v28
	v_xor_b32_e32 v11, -1, v29
	s_waitcnt lgkmcnt(4)
	v_xor_b32_e32 v10, -1, v26
	v_xor_b32_e32 v9, -1, v27
	s_waitcnt lgkmcnt(3)
	v_xor_b32_e32 v8, -1, v24
	v_xor_b32_e32 v7, -1, v25
	s_waitcnt lgkmcnt(2)
	v_xor_b32_e32 v6, -1, v22
	v_xor_b32_e32 v5, -1, v23
	s_waitcnt lgkmcnt(1)
	v_xor_b32_e32 v4, -1, v20
	v_xor_b32_e32 v3, -1, v21
	s_waitcnt lgkmcnt(0)
	v_xor_b32_e32 v2, -1, v1
	s_barrier
	s_cbranch_vccnz .LBB3711_36
; %bb.35:
	v_and_b32_e32 v51, 1, v16
	v_and_b32_e32 v50, 1, v15
	;; [unrolled: 1-line block ×15, first 2 shown]
	s_load_dwordx2 s[34:35], s[0:1], 0x68
	s_cbranch_execz .LBB3711_37
	s_branch .LBB3711_38
.LBB3711_36:
                                        ; implicit-def: $vgpr19
                                        ; implicit-def: $vgpr37
                                        ; implicit-def: $vgpr39
                                        ; implicit-def: $vgpr40
                                        ; implicit-def: $vgpr41
                                        ; implicit-def: $vgpr42
                                        ; implicit-def: $vgpr43
                                        ; implicit-def: $vgpr44
                                        ; implicit-def: $vgpr45
                                        ; implicit-def: $vgpr51
                                        ; implicit-def: $vgpr50
                                        ; implicit-def: $vgpr49
                                        ; implicit-def: $vgpr48
                                        ; implicit-def: $vgpr47
                                        ; implicit-def: $vgpr46
	s_load_dwordx2 s[34:35], s[0:1], 0x68
.LBB3711_37:
	v_add_u32_e32 v44, 1, v38
	v_cmp_gt_u32_e32 vcc, s33, v38
	v_add_u32_e32 v17, 2, v38
	v_add_u32_e32 v43, 3, v38
	v_cndmask_b32_e64 v45, 0, 1, vcc
	v_cmp_gt_u32_e32 vcc, s33, v44
	v_and_b32_e32 v51, v45, v16
	v_add_u32_e32 v19, 4, v38
	v_cndmask_b32_e64 v16, 0, 1, vcc
	v_cmp_gt_u32_e32 vcc, s33, v17
	v_and_b32_e32 v50, v16, v15
	;; [unrolled: 4-line block ×12, first 2 shown]
	s_nop 0
	v_cndmask_b32_e64 v5, 0, 1, vcc
	v_cmp_gt_u32_e32 vcc, s33, v53
	v_and_b32_e32 v39, v5, v4
	s_nop 0
	v_cndmask_b32_e64 v4, 0, 1, vcc
	v_cmp_gt_u32_e32 vcc, s33, v52
	v_and_b32_e32 v37, v4, v3
	s_nop 0
	v_cndmask_b32_e64 v3, 0, 1, vcc
	v_and_b32_e32 v19, v3, v2
.LBB3711_38:
	v_and_b32_e32 v55, 0xff, v48
	v_and_b32_e32 v56, 0xff, v47
	;; [unrolled: 1-line block ×5, first 2 shown]
	v_add3_u32 v3, v56, v57, v55
	v_and_b32_e32 v52, 0xff, v51
	v_and_b32_e32 v58, 0xff, v45
	v_add3_u32 v3, v3, v54, v53
	v_and_b32_e32 v59, 0xff, v44
	v_and_b32_e32 v60, 0xff, v43
	;; [unrolled: 3-line block ×5, first 2 shown]
	v_add3_u32 v3, v3, v63, v64
	v_add3_u32 v68, v3, v65, v2
	v_mbcnt_lo_u32_b32 v2, -1, 0
	v_mbcnt_hi_u32_b32 v66, -1, v2
	v_and_b32_e32 v2, 15, v66
	v_cmp_eq_u32_e64 s[16:17], 0, v2
	v_cmp_lt_u32_e64 s[14:15], 1, v2
	v_cmp_lt_u32_e64 s[12:13], 3, v2
	;; [unrolled: 1-line block ×3, first 2 shown]
	v_and_b32_e32 v2, 16, v66
	v_cmp_eq_u32_e64 s[8:9], 0, v2
	v_or_b32_e32 v2, 63, v0
	s_cmp_lg_u32 s2, 0
	v_cmp_lt_u32_e64 s[4:5], 31, v66
	v_lshrrev_b32_e32 v67, 6, v0
	v_cmp_eq_u32_e64 s[6:7], v2, v0
	s_cbranch_scc0 .LBB3711_69
; %bb.39:
	v_mov_b32_dpp v2, v68 row_shr:1 row_mask:0xf bank_mask:0xf
	v_cndmask_b32_e64 v2, v2, 0, s[16:17]
	v_add_u32_e32 v2, v2, v68
	s_nop 1
	v_mov_b32_dpp v3, v2 row_shr:2 row_mask:0xf bank_mask:0xf
	v_cndmask_b32_e64 v3, 0, v3, s[14:15]
	v_add_u32_e32 v2, v2, v3
	s_nop 1
	;; [unrolled: 4-line block ×4, first 2 shown]
	v_mov_b32_dpp v3, v2 row_bcast:15 row_mask:0xf bank_mask:0xf
	v_cndmask_b32_e64 v3, v3, 0, s[8:9]
	v_add_u32_e32 v2, v2, v3
	s_nop 1
	v_mov_b32_dpp v3, v2 row_bcast:31 row_mask:0xf bank_mask:0xf
	v_cndmask_b32_e64 v3, 0, v3, s[4:5]
	v_add_u32_e32 v2, v2, v3
	s_and_saveexec_b64 s[18:19], s[6:7]
	s_cbranch_execz .LBB3711_41
; %bb.40:
	v_lshlrev_b32_e32 v3, 2, v67
	ds_write_b32 v3, v2
.LBB3711_41:
	s_or_b64 exec, exec, s[18:19]
	v_cmp_gt_u32_e32 vcc, 8, v0
	s_waitcnt lgkmcnt(0)
	s_barrier
	s_and_saveexec_b64 s[18:19], vcc
	s_cbranch_execz .LBB3711_43
; %bb.42:
	ds_read_b32 v3, v18
	v_and_b32_e32 v4, 7, v66
	v_cmp_ne_u32_e32 vcc, 0, v4
	s_waitcnt lgkmcnt(0)
	v_mov_b32_dpp v5, v3 row_shr:1 row_mask:0xf bank_mask:0xf
	v_cndmask_b32_e32 v5, 0, v5, vcc
	v_add_u32_e32 v3, v5, v3
	v_cmp_lt_u32_e32 vcc, 1, v4
	s_nop 0
	v_mov_b32_dpp v5, v3 row_shr:2 row_mask:0xf bank_mask:0xf
	v_cndmask_b32_e32 v5, 0, v5, vcc
	v_add_u32_e32 v3, v3, v5
	v_cmp_lt_u32_e32 vcc, 3, v4
	s_nop 0
	v_mov_b32_dpp v5, v3 row_shr:4 row_mask:0xf bank_mask:0xf
	v_cndmask_b32_e32 v4, 0, v5, vcc
	v_add_u32_e32 v3, v3, v4
	ds_write_b32 v18, v3
.LBB3711_43:
	s_or_b64 exec, exec, s[18:19]
	v_cmp_gt_u32_e32 vcc, 64, v0
	v_cmp_lt_u32_e64 s[18:19], 63, v0
	s_waitcnt lgkmcnt(0)
	s_barrier
	s_waitcnt lgkmcnt(0)
                                        ; implicit-def: $vgpr12
	s_and_saveexec_b64 s[36:37], s[18:19]
	s_cbranch_execz .LBB3711_45
; %bb.44:
	v_lshl_add_u32 v3, v67, 2, -4
	ds_read_b32 v12, v3
	s_waitcnt lgkmcnt(0)
	v_add_u32_e32 v2, v12, v2
.LBB3711_45:
	s_or_b64 exec, exec, s[36:37]
	v_add_u32_e32 v3, -1, v66
	v_and_b32_e32 v4, 64, v66
	v_cmp_lt_i32_e64 s[18:19], v3, v4
	s_nop 1
	v_cndmask_b32_e64 v3, v3, v66, s[18:19]
	v_lshlrev_b32_e32 v3, 2, v3
	ds_bpermute_b32 v13, v3, v2
	v_cmp_eq_u32_e64 s[18:19], 0, v66
	s_and_saveexec_b64 s[36:37], vcc
	s_cbranch_execz .LBB3711_68
; %bb.46:
	v_mov_b32_e32 v11, 0
	ds_read_b32 v2, v11 offset:28
	s_and_saveexec_b64 s[38:39], s[18:19]
	s_cbranch_execz .LBB3711_48
; %bb.47:
	s_add_i32 s40, s2, 64
	s_mov_b32 s41, 0
	s_lshl_b64 s[40:41], s[40:41], 3
	s_add_u32 s40, s34, s40
	v_mov_b32_e32 v3, 1
	s_addc_u32 s41, s35, s41
	s_waitcnt lgkmcnt(0)
	global_store_dwordx2 v11, v[2:3], s[40:41] sc1
.LBB3711_48:
	s_or_b64 exec, exec, s[38:39]
	v_xad_u32 v4, v66, -1, s2
	v_add_u32_e32 v10, 64, v4
	v_lshl_add_u64 v[6:7], v[10:11], 3, s[34:35]
	global_load_dwordx2 v[8:9], v[6:7], off sc1
	s_waitcnt vmcnt(0)
	v_cmp_eq_u16_sdwa s[40:41], v9, v11 src0_sel:BYTE_0 src1_sel:DWORD
	s_and_saveexec_b64 s[38:39], s[40:41]
	s_cbranch_execz .LBB3711_54
; %bb.49:
	s_mov_b32 s3, 1
	s_mov_b64 s[40:41], 0
	v_mov_b32_e32 v3, 0
.LBB3711_50:                            ; =>This Loop Header: Depth=1
                                        ;     Child Loop BB3711_51 Depth 2
	s_max_u32 s42, s3, 1
.LBB3711_51:                            ;   Parent Loop BB3711_50 Depth=1
                                        ; =>  This Inner Loop Header: Depth=2
	s_add_i32 s42, s42, -1
	s_cmp_eq_u32 s42, 0
	s_sleep 1
	s_cbranch_scc0 .LBB3711_51
; %bb.52:                               ;   in Loop: Header=BB3711_50 Depth=1
	global_load_dwordx2 v[8:9], v[6:7], off sc1
	s_cmp_lt_u32 s3, 32
	s_cselect_b64 s[42:43], -1, 0
	s_cmp_lg_u64 s[42:43], 0
	s_addc_u32 s3, s3, 0
	s_waitcnt vmcnt(0)
	v_cmp_ne_u16_sdwa s[42:43], v9, v3 src0_sel:BYTE_0 src1_sel:DWORD
	s_or_b64 s[40:41], s[42:43], s[40:41]
	s_andn2_b64 exec, exec, s[40:41]
	s_cbranch_execnz .LBB3711_50
; %bb.53:
	s_or_b64 exec, exec, s[40:41]
.LBB3711_54:
	s_or_b64 exec, exec, s[38:39]
	v_and_b32_e32 v15, 63, v66
	v_mov_b32_e32 v14, 2
	v_cmp_ne_u32_e32 vcc, 63, v15
	v_cmp_eq_u16_sdwa s[38:39], v9, v14 src0_sel:BYTE_0 src1_sel:DWORD
	v_lshlrev_b64 v[6:7], v66, -1
	v_addc_co_u32_e32 v10, vcc, 0, v66, vcc
	v_and_b32_e32 v3, s39, v7
	v_lshlrev_b32_e32 v16, 2, v10
	v_or_b32_e32 v3, 0x80000000, v3
	ds_bpermute_b32 v10, v16, v8
	v_and_b32_e32 v5, s38, v6
	v_ffbl_b32_e32 v3, v3
	v_add_u32_e32 v3, 32, v3
	v_ffbl_b32_e32 v5, v5
	v_min_u32_e32 v3, v5, v3
	v_cmp_lt_u32_e32 vcc, v15, v3
	v_add_u32_e32 v34, 2, v15
	v_add_u32_e32 v36, 4, v15
	s_waitcnt lgkmcnt(0)
	v_cndmask_b32_e32 v5, 0, v10, vcc
	v_cmp_gt_u32_e32 vcc, 62, v15
	v_add_u32_e32 v5, v5, v8
	v_add_u32_e32 v70, 8, v15
	v_cndmask_b32_e64 v8, 0, 1, vcc
	v_lshlrev_b32_e32 v8, 1, v8
	v_add_lshl_u32 v17, v8, v66, 2
	ds_bpermute_b32 v8, v17, v5
	v_cmp_le_u32_e32 vcc, v34, v3
	v_add_u32_e32 v72, 16, v15
	v_add_u32_e32 v74, 32, v15
	s_waitcnt lgkmcnt(0)
	v_cndmask_b32_e32 v8, 0, v8, vcc
	v_cmp_gt_u32_e32 vcc, 60, v15
	v_add_u32_e32 v5, v5, v8
	s_nop 0
	v_cndmask_b32_e64 v8, 0, 1, vcc
	v_lshlrev_b32_e32 v8, 2, v8
	v_add_lshl_u32 v35, v8, v66, 2
	ds_bpermute_b32 v8, v35, v5
	v_cmp_le_u32_e32 vcc, v36, v3
	s_waitcnt lgkmcnt(0)
	s_nop 0
	v_cndmask_b32_e32 v8, 0, v8, vcc
	v_cmp_gt_u32_e32 vcc, 56, v15
	v_add_u32_e32 v5, v5, v8
	s_nop 0
	v_cndmask_b32_e64 v8, 0, 1, vcc
	v_lshlrev_b32_e32 v8, 3, v8
	v_add_lshl_u32 v69, v8, v66, 2
	ds_bpermute_b32 v8, v69, v5
	v_cmp_le_u32_e32 vcc, v70, v3
	s_waitcnt lgkmcnt(0)
	s_nop 0
	;; [unrolled: 11-line block ×4, first 2 shown]
	v_cndmask_b32_e32 v3, 0, v8, vcc
	v_add_u32_e32 v8, v5, v3
	v_mov_b32_e32 v5, 0
	s_branch .LBB3711_56
.LBB3711_55:                            ;   in Loop: Header=BB3711_56 Depth=1
	s_or_b64 exec, exec, s[38:39]
	v_cmp_eq_u16_sdwa s[38:39], v9, v14 src0_sel:BYTE_0 src1_sel:DWORD
	ds_bpermute_b32 v75, v16, v8
	v_subrev_u32_e32 v4, 64, v4
	v_and_b32_e32 v10, s39, v7
	v_or_b32_e32 v10, 0x80000000, v10
	v_and_b32_e32 v11, s38, v6
	v_ffbl_b32_e32 v10, v10
	v_add_u32_e32 v10, 32, v10
	v_ffbl_b32_e32 v11, v11
	v_min_u32_e32 v10, v11, v10
	v_cmp_lt_u32_e32 vcc, v15, v10
	s_waitcnt lgkmcnt(0)
	s_nop 0
	v_cndmask_b32_e32 v11, 0, v75, vcc
	v_add_u32_e32 v8, v11, v8
	ds_bpermute_b32 v11, v17, v8
	v_cmp_le_u32_e32 vcc, v34, v10
	s_waitcnt lgkmcnt(0)
	s_nop 0
	v_cndmask_b32_e32 v11, 0, v11, vcc
	v_add_u32_e32 v8, v8, v11
	ds_bpermute_b32 v11, v35, v8
	v_cmp_le_u32_e32 vcc, v36, v10
	;; [unrolled: 6-line block ×5, first 2 shown]
	s_waitcnt lgkmcnt(0)
	s_nop 0
	v_cndmask_b32_e32 v10, 0, v11, vcc
	v_add3_u32 v8, v10, v3, v8
.LBB3711_56:                            ; =>This Loop Header: Depth=1
                                        ;     Child Loop BB3711_59 Depth 2
                                        ;       Child Loop BB3711_60 Depth 3
	v_cmp_ne_u16_sdwa s[38:39], v9, v14 src0_sel:BYTE_0 src1_sel:DWORD
	s_nop 1
	v_cndmask_b32_e64 v3, 0, 1, s[38:39]
	;;#ASMSTART
	;;#ASMEND
	s_nop 0
	v_cmp_ne_u32_e32 vcc, 0, v3
	s_cmp_lg_u64 vcc, exec
	v_mov_b32_e32 v3, v8
	s_cbranch_scc1 .LBB3711_63
; %bb.57:                               ;   in Loop: Header=BB3711_56 Depth=1
	v_lshl_add_u64 v[10:11], v[4:5], 3, s[34:35]
	global_load_dwordx2 v[8:9], v[10:11], off sc1
	s_waitcnt vmcnt(0)
	v_cmp_eq_u16_sdwa s[40:41], v9, v5 src0_sel:BYTE_0 src1_sel:DWORD
	s_and_saveexec_b64 s[38:39], s[40:41]
	s_cbranch_execz .LBB3711_55
; %bb.58:                               ;   in Loop: Header=BB3711_56 Depth=1
	s_mov_b32 s3, 1
	s_mov_b64 s[40:41], 0
.LBB3711_59:                            ;   Parent Loop BB3711_56 Depth=1
                                        ; =>  This Loop Header: Depth=2
                                        ;       Child Loop BB3711_60 Depth 3
	s_max_u32 s42, s3, 1
.LBB3711_60:                            ;   Parent Loop BB3711_56 Depth=1
                                        ;     Parent Loop BB3711_59 Depth=2
                                        ; =>    This Inner Loop Header: Depth=3
	s_add_i32 s42, s42, -1
	s_cmp_eq_u32 s42, 0
	s_sleep 1
	s_cbranch_scc0 .LBB3711_60
; %bb.61:                               ;   in Loop: Header=BB3711_59 Depth=2
	global_load_dwordx2 v[8:9], v[10:11], off sc1
	s_cmp_lt_u32 s3, 32
	s_cselect_b64 s[42:43], -1, 0
	s_cmp_lg_u64 s[42:43], 0
	s_addc_u32 s3, s3, 0
	s_waitcnt vmcnt(0)
	v_cmp_ne_u16_sdwa s[42:43], v9, v5 src0_sel:BYTE_0 src1_sel:DWORD
	s_or_b64 s[40:41], s[42:43], s[40:41]
	s_andn2_b64 exec, exec, s[40:41]
	s_cbranch_execnz .LBB3711_59
; %bb.62:                               ;   in Loop: Header=BB3711_56 Depth=1
	s_or_b64 exec, exec, s[40:41]
	s_branch .LBB3711_55
.LBB3711_63:                            ;   in Loop: Header=BB3711_56 Depth=1
                                        ; implicit-def: $vgpr8
                                        ; implicit-def: $vgpr9
	s_cbranch_execz .LBB3711_56
; %bb.64:
	s_and_saveexec_b64 s[38:39], s[18:19]
	s_cbranch_execz .LBB3711_66
; %bb.65:
	s_add_i32 s2, s2, 64
	s_mov_b32 s3, 0
	s_lshl_b64 s[2:3], s[2:3], 3
	s_add_u32 s2, s34, s2
	v_add_u32_e32 v4, v3, v2
	v_mov_b32_e32 v5, 2
	s_addc_u32 s3, s35, s3
	v_mov_b32_e32 v6, 0
	global_store_dwordx2 v6, v[4:5], s[2:3] sc1
	ds_write_b64 v6, v[2:3] offset:30720
.LBB3711_66:
	s_or_b64 exec, exec, s[38:39]
	v_cmp_eq_u32_e32 vcc, 0, v0
	s_and_b64 exec, exec, vcc
	s_cbranch_execz .LBB3711_68
; %bb.67:
	v_mov_b32_e32 v2, 0
	ds_write_b32 v2, v3 offset:28
.LBB3711_68:
	s_or_b64 exec, exec, s[36:37]
	v_mov_b32_e32 v14, 0
	s_waitcnt lgkmcnt(0)
	s_barrier
	ds_read_b32 v2, v14 offset:28
	v_cndmask_b32_e64 v3, v13, v12, s[18:19]
	v_cmp_ne_u32_e32 vcc, 0, v0
	s_waitcnt lgkmcnt(0)
	s_barrier
	v_cndmask_b32_e32 v3, 0, v3, vcc
	v_add_u32_e32 v2, v2, v3
	v_add_u32_e32 v3, v2, v52
	;; [unrolled: 1-line block ×10, first 2 shown]
	ds_read_b64 v[34:35], v14 offset:30720
	v_add_u32_e32 v12, v11, v61
	v_add_u32_e32 v13, v12, v62
	;; [unrolled: 1-line block ×5, first 2 shown]
	s_waitcnt lgkmcnt(0)
	v_mov_b32_e32 v36, v35
	s_branch .LBB3711_79
.LBB3711_69:
                                        ; implicit-def: $vgpr36
                                        ; implicit-def: $vgpr34
                                        ; implicit-def: $vgpr2_vgpr3_vgpr4_vgpr5_vgpr6_vgpr7_vgpr8_vgpr9_vgpr10_vgpr11_vgpr12_vgpr13_vgpr14_vgpr15_vgpr16_vgpr17
	s_cbranch_execz .LBB3711_79
; %bb.70:
	s_nop 0
	v_mov_b32_dpp v2, v68 row_shr:1 row_mask:0xf bank_mask:0xf
	v_cndmask_b32_e64 v2, v2, 0, s[16:17]
	v_add_u32_e32 v2, v2, v68
	s_nop 1
	v_mov_b32_dpp v3, v2 row_shr:2 row_mask:0xf bank_mask:0xf
	v_cndmask_b32_e64 v3, 0, v3, s[14:15]
	v_add_u32_e32 v2, v2, v3
	;; [unrolled: 4-line block ×4, first 2 shown]
	s_nop 1
	v_mov_b32_dpp v3, v2 row_bcast:15 row_mask:0xf bank_mask:0xf
	v_cndmask_b32_e64 v3, v3, 0, s[8:9]
	v_add_u32_e32 v2, v2, v3
	s_nop 1
	v_mov_b32_dpp v3, v2 row_bcast:31 row_mask:0xf bank_mask:0xf
	v_cndmask_b32_e64 v3, 0, v3, s[4:5]
	v_add_u32_e32 v2, v2, v3
	s_and_saveexec_b64 s[2:3], s[6:7]
	s_cbranch_execz .LBB3711_72
; %bb.71:
	v_lshlrev_b32_e32 v3, 2, v67
	ds_write_b32 v3, v2
.LBB3711_72:
	s_or_b64 exec, exec, s[2:3]
	v_cmp_gt_u32_e32 vcc, 8, v0
	s_waitcnt lgkmcnt(0)
	s_barrier
	s_and_saveexec_b64 s[2:3], vcc
	s_cbranch_execz .LBB3711_74
; %bb.73:
	ds_read_b32 v3, v18
	v_and_b32_e32 v4, 7, v66
	v_cmp_ne_u32_e32 vcc, 0, v4
	s_waitcnt lgkmcnt(0)
	v_mov_b32_dpp v5, v3 row_shr:1 row_mask:0xf bank_mask:0xf
	v_cndmask_b32_e32 v5, 0, v5, vcc
	v_add_u32_e32 v3, v5, v3
	v_cmp_lt_u32_e32 vcc, 1, v4
	s_nop 0
	v_mov_b32_dpp v5, v3 row_shr:2 row_mask:0xf bank_mask:0xf
	v_cndmask_b32_e32 v5, 0, v5, vcc
	v_add_u32_e32 v3, v3, v5
	v_cmp_lt_u32_e32 vcc, 3, v4
	s_nop 0
	v_mov_b32_dpp v5, v3 row_shr:4 row_mask:0xf bank_mask:0xf
	v_cndmask_b32_e32 v4, 0, v5, vcc
	v_add_u32_e32 v3, v3, v4
	ds_write_b32 v18, v3
.LBB3711_74:
	s_or_b64 exec, exec, s[2:3]
	v_cmp_lt_u32_e32 vcc, 63, v0
	v_mov_b32_e32 v4, 0
	v_mov_b32_e32 v3, 0
	s_waitcnt lgkmcnt(0)
	s_barrier
	s_and_saveexec_b64 s[2:3], vcc
	s_cbranch_execz .LBB3711_76
; %bb.75:
	v_lshl_add_u32 v3, v67, 2, -4
	ds_read_b32 v3, v3
.LBB3711_76:
	s_or_b64 exec, exec, s[2:3]
	v_add_u32_e32 v5, -1, v66
	v_and_b32_e32 v6, 64, v66
	v_cmp_lt_i32_e32 vcc, v5, v6
	s_waitcnt lgkmcnt(0)
	v_add_u32_e32 v2, v3, v2
	ds_read_b32 v34, v4 offset:28
	v_cndmask_b32_e32 v5, v5, v66, vcc
	v_lshlrev_b32_e32 v5, 2, v5
	ds_bpermute_b32 v2, v5, v2
	v_cmp_eq_u32_e32 vcc, 0, v0
	s_and_saveexec_b64 s[2:3], vcc
	s_cbranch_execz .LBB3711_78
; %bb.77:
	v_mov_b32_e32 v4, 0
	v_mov_b32_e32 v35, 2
	s_waitcnt lgkmcnt(1)
	global_store_dwordx2 v4, v[34:35], s[34:35] offset:512 sc1
.LBB3711_78:
	s_or_b64 exec, exec, s[2:3]
	v_cmp_eq_u32_e64 s[2:3], 0, v66
	v_mov_b32_e32 v36, 0
	s_waitcnt lgkmcnt(0)
	v_cndmask_b32_e64 v2, v2, v3, s[2:3]
	v_cndmask_b32_e64 v2, v2, 0, vcc
	v_add_u32_e32 v3, v2, v52
	v_add_u32_e32 v4, v3, v53
	;; [unrolled: 1-line block ×14, first 2 shown]
	s_barrier
.LBB3711_79:
	v_add_u32_e32 v17, v34, v38
	v_sub_u32_e32 v2, v2, v36
	v_and_b32_e32 v38, 1, v51
	v_sub_u32_e32 v35, v17, v2
	v_cmp_eq_u32_e32 vcc, 1, v38
	s_load_dwordx4 s[0:3], s[0:1], 0x28
	v_or_b32_e32 v38, 0x800, v0
	v_cndmask_b32_e32 v2, v35, v2, vcc
	v_lshlrev_b32_e32 v2, 2, v2
	ds_write_b32 v2, v32
	v_sub_u32_e32 v2, v3, v36
	v_sub_u32_e32 v3, v17, v2
	v_and_b32_e32 v32, 1, v50
	v_add_u32_e32 v3, 1, v3
	v_cmp_eq_u32_e32 vcc, 1, v32
	v_or_b32_e32 v32, 0xc00, v0
	s_nop 0
	v_cndmask_b32_e32 v2, v3, v2, vcc
	v_lshlrev_b32_e32 v2, 2, v2
	ds_write_b32 v2, v33
	v_sub_u32_e32 v2, v4, v36
	v_sub_u32_e32 v3, v17, v2
	v_and_b32_e32 v4, 1, v49
	v_add_u32_e32 v3, 2, v3
	v_cmp_eq_u32_e32 vcc, 1, v4
	v_and_b32_e32 v4, 1, v48
	v_or_b32_e32 v33, 0xa00, v0
	v_cndmask_b32_e32 v2, v3, v2, vcc
	v_lshlrev_b32_e32 v2, 2, v2
	ds_write_b32 v2, v30
	v_sub_u32_e32 v2, v5, v36
	v_sub_u32_e32 v3, v17, v2
	v_add_u32_e32 v3, 3, v3
	v_cmp_eq_u32_e32 vcc, 1, v4
	v_and_b32_e32 v4, 1, v47
	v_or_b32_e32 v30, 0x1000, v0
	v_cndmask_b32_e32 v2, v3, v2, vcc
	v_lshlrev_b32_e32 v2, 2, v2
	ds_write_b32 v2, v31
	v_sub_u32_e32 v2, v6, v36
	v_sub_u32_e32 v3, v17, v2
	;; [unrolled: 9-line block ×3, first 2 shown]
	v_add_u32_e32 v3, 5, v3
	v_cmp_eq_u32_e32 vcc, 1, v4
	v_and_b32_e32 v4, 1, v45
	v_mov_b32_e32 v7, s23
	v_cndmask_b32_e32 v2, v3, v2, vcc
	v_lshlrev_b32_e32 v2, 2, v2
	ds_write_b32 v2, v29
	v_sub_u32_e32 v2, v8, v36
	v_sub_u32_e32 v3, v17, v2
	v_add_u32_e32 v3, 6, v3
	v_cmp_eq_u32_e32 vcc, 1, v4
	v_and_b32_e32 v4, 1, v44
	v_or_b32_e32 v29, 0x1200, v0
	v_cndmask_b32_e32 v2, v3, v2, vcc
	v_lshlrev_b32_e32 v2, 2, v2
	ds_write_b32 v2, v26
	v_sub_u32_e32 v2, v9, v36
	v_sub_u32_e32 v3, v17, v2
	v_add_u32_e32 v3, 7, v3
	v_cmp_eq_u32_e32 vcc, 1, v4
	v_and_b32_e32 v4, 1, v43
	v_or_b32_e32 v28, 0x1400, v0
	;; [unrolled: 9-line block ×6, first 2 shown]
	v_cndmask_b32_e32 v2, v3, v2, vcc
	v_lshlrev_b32_e32 v2, 2, v2
	ds_write_b32 v2, v23
	v_sub_u32_e32 v2, v14, v36
	v_sub_u32_e32 v3, v17, v2
	v_add_u32_e32 v3, 12, v3
	v_cmp_eq_u32_e32 vcc, 1, v4
	v_and_b32_e32 v4, 1, v37
	v_mov_b32_e32 v37, 0
	v_cndmask_b32_e32 v2, v3, v2, vcc
	v_lshlrev_b32_e32 v2, 2, v2
	ds_write_b32 v2, v20
	v_sub_u32_e32 v2, v15, v36
	v_sub_u32_e32 v3, v17, v2
	v_add_u32_e32 v3, 13, v3
	v_cmp_eq_u32_e32 vcc, 1, v4
	v_and_b32_e32 v4, 1, v19
	v_lshl_add_u64 v[8:9], s[28:29], 0, v[36:37]
	v_cndmask_b32_e32 v2, v3, v2, vcc
	v_lshlrev_b32_e32 v2, 2, v2
	ds_write_b32 v2, v21
	v_sub_u32_e32 v2, v16, v36
	v_sub_u32_e32 v3, v17, v2
	v_add_u32_e32 v3, 14, v3
	v_cmp_eq_u32_e32 vcc, 1, v4
	v_mov_b32_e32 v35, v37
	v_or_b32_e32 v26, 0x1800, v0
	v_cndmask_b32_e32 v2, v3, v2, vcc
	v_lshlrev_b32_e32 v2, 2, v2
	ds_write_b32 v2, v1
	v_lshl_add_u64 v[2:3], v[8:9], 0, v[34:35]
	s_waitcnt lgkmcnt(0)
	s_barrier
	ds_read2st64_b32 v[22:23], v18 offset1:8
	ds_read2st64_b32 v[20:21], v18 offset0:16 offset1:24
	ds_read2st64_b32 v[16:17], v18 offset0:32 offset1:40
	;; [unrolled: 1-line block ×6, first 2 shown]
	ds_read_b32 v1, v18 offset:28672
	v_sub_co_u32_e32 v6, vcc, s22, v2
	v_lshlrev_b64 v[8:9], 2, v[8:9]
	s_nop 0
	v_subb_co_u32_e32 v7, vcc, v7, v3, vcc
	v_lshlrev_b64 v[6:7], 2, v[6:7]
	v_lshl_add_u64 v[6:7], s[2:3], 0, v[6:7]
	v_or_b32_e32 v25, 0x1a00, v0
	v_or_b32_e32 v24, 0x1c00, v0
	v_lshl_add_u64 v[6:7], v[6:7], 0, s[30:31]
	s_and_b64 vcc, exec, s[20:21]
	v_lshl_add_u64 v[8:9], s[0:1], 0, v[8:9]
	s_cbranch_vccnz .LBB3711_81
; %bb.80:
	v_cmp_gt_u32_e32 vcc, v34, v0
	v_mov_b32_e32 v19, v37
	v_lshlrev_b32_e32 v36, 2, v40
	v_cndmask_b32_e32 v43, v7, v9, vcc
	v_cndmask_b32_e32 v42, v6, v8, vcc
	v_lshl_add_u64 v[42:43], v[42:43], 0, v[18:19]
	v_cmp_lt_u32_e32 vcc, v41, v34
	s_waitcnt lgkmcnt(7)
	global_store_dword v[42:43], v22, off
	v_cndmask_b32_e32 v43, v7, v9, vcc
	v_cndmask_b32_e32 v42, v6, v8, vcc
	v_lshl_add_u64 v[42:43], v[42:43], 0, v[18:19]
	v_cmp_lt_u32_e32 vcc, v40, v34
	global_store_dword v[42:43], v23, off offset:2048
	s_mov_b64 s[0:1], -1
	v_cndmask_b32_e32 v43, v7, v9, vcc
	v_cndmask_b32_e32 v42, v6, v8, vcc
	v_lshl_add_u64 v[42:43], v[42:43], 0, v[36:37]
	v_cmp_lt_u32_e32 vcc, v39, v34
	s_waitcnt lgkmcnt(6)
	global_store_dword v[42:43], v20, off
	v_lshlrev_b32_e32 v36, 2, v39
	v_cndmask_b32_e32 v43, v7, v9, vcc
	v_cndmask_b32_e32 v42, v6, v8, vcc
	v_lshl_add_u64 v[42:43], v[42:43], 0, v[36:37]
	v_cmp_lt_u32_e32 vcc, v38, v34
	global_store_dword v[42:43], v21, off
	v_lshlrev_b32_e32 v36, 2, v38
	v_cndmask_b32_e32 v43, v7, v9, vcc
	v_cndmask_b32_e32 v42, v6, v8, vcc
	v_lshl_add_u64 v[42:43], v[42:43], 0, v[36:37]
	v_cmp_lt_u32_e32 vcc, v33, v34
	s_waitcnt lgkmcnt(5)
	global_store_dword v[42:43], v16, off
	v_lshlrev_b32_e32 v36, 2, v33
	v_cndmask_b32_e32 v43, v7, v9, vcc
	v_cndmask_b32_e32 v42, v6, v8, vcc
	v_lshl_add_u64 v[42:43], v[42:43], 0, v[36:37]
	v_cmp_lt_u32_e32 vcc, v32, v34
	global_store_dword v[42:43], v17, off
	v_lshlrev_b32_e32 v36, 2, v32
	;; [unrolled: 13-line block ×5, first 2 shown]
	v_cndmask_b32_e32 v43, v7, v9, vcc
	v_cndmask_b32_e32 v42, v6, v8, vcc
	v_lshl_add_u64 v[42:43], v[42:43], 0, v[36:37]
	v_cmp_lt_u32_e32 vcc, v25, v34
	s_waitcnt lgkmcnt(1)
	global_store_dword v[42:43], v4, off
	v_lshlrev_b32_e32 v36, 2, v25
	v_cndmask_b32_e32 v43, v7, v9, vcc
	v_cndmask_b32_e32 v42, v6, v8, vcc
	v_lshl_add_u64 v[36:37], v[42:43], 0, v[36:37]
	global_store_dword v[36:37], v5, off
	s_cbranch_execz .LBB3711_82
	s_branch .LBB3711_98
.LBB3711_81:
	s_mov_b64 s[0:1], 0
.LBB3711_82:
	v_cmp_gt_u32_e32 vcc, s33, v0
	s_and_saveexec_b64 s[0:1], vcc
	s_cbranch_execnz .LBB3711_103
; %bb.83:
	s_or_b64 exec, exec, s[0:1]
	v_cmp_gt_u32_e32 vcc, s33, v41
	s_and_saveexec_b64 s[0:1], vcc
	s_cbranch_execnz .LBB3711_104
.LBB3711_84:
	s_or_b64 exec, exec, s[0:1]
	v_cmp_gt_u32_e32 vcc, s33, v40
	s_and_saveexec_b64 s[0:1], vcc
	s_cbranch_execnz .LBB3711_105
.LBB3711_85:
	s_or_b64 exec, exec, s[0:1]
	v_cmp_gt_u32_e32 vcc, s33, v39
	s_and_saveexec_b64 s[0:1], vcc
	s_cbranch_execnz .LBB3711_106
.LBB3711_86:
	s_or_b64 exec, exec, s[0:1]
	v_cmp_gt_u32_e32 vcc, s33, v38
	s_and_saveexec_b64 s[0:1], vcc
	s_cbranch_execnz .LBB3711_107
.LBB3711_87:
	s_or_b64 exec, exec, s[0:1]
	v_cmp_gt_u32_e32 vcc, s33, v33
	s_and_saveexec_b64 s[0:1], vcc
	s_cbranch_execnz .LBB3711_108
.LBB3711_88:
	s_or_b64 exec, exec, s[0:1]
	v_cmp_gt_u32_e32 vcc, s33, v32
	s_and_saveexec_b64 s[0:1], vcc
	s_cbranch_execnz .LBB3711_109
.LBB3711_89:
	s_or_b64 exec, exec, s[0:1]
	v_cmp_gt_u32_e32 vcc, s33, v31
	s_and_saveexec_b64 s[0:1], vcc
	s_cbranch_execnz .LBB3711_110
.LBB3711_90:
	s_or_b64 exec, exec, s[0:1]
	v_cmp_gt_u32_e32 vcc, s33, v30
	s_and_saveexec_b64 s[0:1], vcc
	s_cbranch_execnz .LBB3711_111
.LBB3711_91:
	s_or_b64 exec, exec, s[0:1]
	v_cmp_gt_u32_e32 vcc, s33, v29
	s_and_saveexec_b64 s[0:1], vcc
	s_cbranch_execnz .LBB3711_112
.LBB3711_92:
	s_or_b64 exec, exec, s[0:1]
	v_cmp_gt_u32_e32 vcc, s33, v28
	s_and_saveexec_b64 s[0:1], vcc
	s_cbranch_execnz .LBB3711_113
.LBB3711_93:
	s_or_b64 exec, exec, s[0:1]
	v_cmp_gt_u32_e32 vcc, s33, v27
	s_and_saveexec_b64 s[0:1], vcc
	s_cbranch_execnz .LBB3711_114
.LBB3711_94:
	s_or_b64 exec, exec, s[0:1]
	v_cmp_gt_u32_e32 vcc, s33, v26
	s_and_saveexec_b64 s[0:1], vcc
	s_cbranch_execnz .LBB3711_115
.LBB3711_95:
	s_or_b64 exec, exec, s[0:1]
	v_cmp_gt_u32_e32 vcc, s33, v25
	s_and_saveexec_b64 s[0:1], vcc
	s_cbranch_execz .LBB3711_97
.LBB3711_96:
	v_cmp_lt_u32_e32 vcc, v25, v34
	s_waitcnt lgkmcnt(3)
	v_lshlrev_b32_e32 v12, 2, v25
	v_mov_b32_e32 v13, 0
	s_waitcnt lgkmcnt(2)
	v_cndmask_b32_e32 v11, v7, v9, vcc
	v_cndmask_b32_e32 v10, v6, v8, vcc
	v_lshl_add_u64 v[10:11], v[10:11], 0, v[12:13]
	s_waitcnt lgkmcnt(1)
	global_store_dword v[10:11], v5, off
.LBB3711_97:
	s_or_b64 exec, exec, s[0:1]
	v_cmp_gt_u32_e64 s[0:1], s33, v24
.LBB3711_98:
	s_and_saveexec_b64 s[2:3], s[0:1]
	s_cbranch_execz .LBB3711_100
; %bb.99:
	v_cmp_lt_u32_e32 vcc, v24, v34
	s_waitcnt lgkmcnt(1)
	s_nop 0
	v_cndmask_b32_e32 v5, v7, v9, vcc
	v_cndmask_b32_e32 v4, v6, v8, vcc
	v_lshlrev_b32_e32 v6, 2, v24
	v_mov_b32_e32 v7, 0
	v_lshl_add_u64 v[4:5], v[4:5], 0, v[6:7]
	s_waitcnt lgkmcnt(0)
	global_store_dword v[4:5], v1, off
.LBB3711_100:
	s_or_b64 exec, exec, s[2:3]
	v_cmp_eq_u32_e32 vcc, 0, v0
	s_and_b64 s[0:1], vcc, s[26:27]
	s_and_saveexec_b64 s[2:3], s[0:1]
	s_cbranch_execz .LBB3711_102
; %bb.101:
	v_mov_b32_e32 v0, 0
	global_store_dwordx2 v0, v[2:3], s[24:25]
.LBB3711_102:
	s_endpgm
.LBB3711_103:
	v_cmp_gt_u32_e32 vcc, v34, v0
	v_mov_b32_e32 v19, 0
	s_nop 0
	v_cndmask_b32_e32 v37, v7, v9, vcc
	v_cndmask_b32_e32 v36, v6, v8, vcc
	v_lshl_add_u64 v[36:37], v[36:37], 0, v[18:19]
	s_waitcnt lgkmcnt(7)
	global_store_dword v[36:37], v22, off
	s_or_b64 exec, exec, s[0:1]
	v_cmp_gt_u32_e32 vcc, s33, v41
	s_and_saveexec_b64 s[0:1], vcc
	s_cbranch_execz .LBB3711_84
.LBB3711_104:
	v_cmp_lt_u32_e32 vcc, v41, v34
	v_mov_b32_e32 v19, 0
	s_nop 0
	v_cndmask_b32_e32 v37, v7, v9, vcc
	v_cndmask_b32_e32 v36, v6, v8, vcc
	v_lshl_add_u64 v[18:19], v[36:37], 0, v[18:19]
	s_waitcnt lgkmcnt(7)
	global_store_dword v[18:19], v23, off offset:2048
	s_or_b64 exec, exec, s[0:1]
	v_cmp_gt_u32_e32 vcc, s33, v40
	s_and_saveexec_b64 s[0:1], vcc
	s_cbranch_execz .LBB3711_85
.LBB3711_105:
	v_cmp_lt_u32_e32 vcc, v40, v34
	s_waitcnt lgkmcnt(7)
	v_lshlrev_b32_e32 v22, 2, v40
	v_mov_b32_e32 v23, 0
	v_cndmask_b32_e32 v19, v7, v9, vcc
	v_cndmask_b32_e32 v18, v6, v8, vcc
	v_lshl_add_u64 v[18:19], v[18:19], 0, v[22:23]
	s_waitcnt lgkmcnt(6)
	global_store_dword v[18:19], v20, off
	s_or_b64 exec, exec, s[0:1]
	v_cmp_gt_u32_e32 vcc, s33, v39
	s_and_saveexec_b64 s[0:1], vcc
	s_cbranch_execz .LBB3711_86
.LBB3711_106:
	v_cmp_lt_u32_e32 vcc, v39, v34
	s_waitcnt lgkmcnt(7)
	v_lshlrev_b32_e32 v22, 2, v39
	v_mov_b32_e32 v23, 0
	v_cndmask_b32_e32 v19, v7, v9, vcc
	v_cndmask_b32_e32 v18, v6, v8, vcc
	v_lshl_add_u64 v[18:19], v[18:19], 0, v[22:23]
	s_waitcnt lgkmcnt(6)
	global_store_dword v[18:19], v21, off
	s_or_b64 exec, exec, s[0:1]
	v_cmp_gt_u32_e32 vcc, s33, v38
	s_and_saveexec_b64 s[0:1], vcc
	s_cbranch_execz .LBB3711_87
.LBB3711_107:
	v_cmp_lt_u32_e32 vcc, v38, v34
	s_waitcnt lgkmcnt(6)
	v_lshlrev_b32_e32 v20, 2, v38
	v_mov_b32_e32 v21, 0
	v_cndmask_b32_e32 v19, v7, v9, vcc
	v_cndmask_b32_e32 v18, v6, v8, vcc
	v_lshl_add_u64 v[18:19], v[18:19], 0, v[20:21]
	s_waitcnt lgkmcnt(5)
	global_store_dword v[18:19], v16, off
	s_or_b64 exec, exec, s[0:1]
	v_cmp_gt_u32_e32 vcc, s33, v33
	s_and_saveexec_b64 s[0:1], vcc
	s_cbranch_execz .LBB3711_88
.LBB3711_108:
	v_cmp_lt_u32_e32 vcc, v33, v34
	s_waitcnt lgkmcnt(6)
	v_lshlrev_b32_e32 v20, 2, v33
	v_mov_b32_e32 v21, 0
	v_cndmask_b32_e32 v19, v7, v9, vcc
	v_cndmask_b32_e32 v18, v6, v8, vcc
	v_lshl_add_u64 v[18:19], v[18:19], 0, v[20:21]
	s_waitcnt lgkmcnt(5)
	global_store_dword v[18:19], v17, off
	s_or_b64 exec, exec, s[0:1]
	v_cmp_gt_u32_e32 vcc, s33, v32
	s_and_saveexec_b64 s[0:1], vcc
	s_cbranch_execz .LBB3711_89
.LBB3711_109:
	v_cmp_lt_u32_e32 vcc, v32, v34
	v_lshlrev_b32_e32 v18, 2, v32
	v_mov_b32_e32 v19, 0
	s_waitcnt lgkmcnt(5)
	v_cndmask_b32_e32 v17, v7, v9, vcc
	v_cndmask_b32_e32 v16, v6, v8, vcc
	v_lshl_add_u64 v[16:17], v[16:17], 0, v[18:19]
	s_waitcnt lgkmcnt(4)
	global_store_dword v[16:17], v14, off
	s_or_b64 exec, exec, s[0:1]
	v_cmp_gt_u32_e32 vcc, s33, v31
	s_and_saveexec_b64 s[0:1], vcc
	s_cbranch_execz .LBB3711_90
.LBB3711_110:
	v_cmp_lt_u32_e32 vcc, v31, v34
	v_lshlrev_b32_e32 v18, 2, v31
	v_mov_b32_e32 v19, 0
	s_waitcnt lgkmcnt(5)
	v_cndmask_b32_e32 v17, v7, v9, vcc
	v_cndmask_b32_e32 v16, v6, v8, vcc
	v_lshl_add_u64 v[16:17], v[16:17], 0, v[18:19]
	s_waitcnt lgkmcnt(4)
	global_store_dword v[16:17], v15, off
	s_or_b64 exec, exec, s[0:1]
	v_cmp_gt_u32_e32 vcc, s33, v30
	s_and_saveexec_b64 s[0:1], vcc
	s_cbranch_execz .LBB3711_91
.LBB3711_111:
	v_cmp_lt_u32_e32 vcc, v30, v34
	s_waitcnt lgkmcnt(5)
	v_lshlrev_b32_e32 v16, 2, v30
	v_mov_b32_e32 v17, 0
	s_waitcnt lgkmcnt(4)
	v_cndmask_b32_e32 v15, v7, v9, vcc
	v_cndmask_b32_e32 v14, v6, v8, vcc
	v_lshl_add_u64 v[14:15], v[14:15], 0, v[16:17]
	s_waitcnt lgkmcnt(3)
	global_store_dword v[14:15], v12, off
	s_or_b64 exec, exec, s[0:1]
	v_cmp_gt_u32_e32 vcc, s33, v29
	s_and_saveexec_b64 s[0:1], vcc
	s_cbranch_execz .LBB3711_92
.LBB3711_112:
	v_cmp_lt_u32_e32 vcc, v29, v34
	s_waitcnt lgkmcnt(5)
	v_lshlrev_b32_e32 v16, 2, v29
	v_mov_b32_e32 v17, 0
	s_waitcnt lgkmcnt(4)
	v_cndmask_b32_e32 v15, v7, v9, vcc
	v_cndmask_b32_e32 v14, v6, v8, vcc
	v_lshl_add_u64 v[14:15], v[14:15], 0, v[16:17]
	s_waitcnt lgkmcnt(3)
	global_store_dword v[14:15], v13, off
	s_or_b64 exec, exec, s[0:1]
	v_cmp_gt_u32_e32 vcc, s33, v28
	s_and_saveexec_b64 s[0:1], vcc
	s_cbranch_execz .LBB3711_93
.LBB3711_113:
	v_cmp_lt_u32_e32 vcc, v28, v34
	s_waitcnt lgkmcnt(4)
	v_lshlrev_b32_e32 v14, 2, v28
	v_mov_b32_e32 v15, 0
	s_waitcnt lgkmcnt(3)
	v_cndmask_b32_e32 v13, v7, v9, vcc
	v_cndmask_b32_e32 v12, v6, v8, vcc
	v_lshl_add_u64 v[12:13], v[12:13], 0, v[14:15]
	s_waitcnt lgkmcnt(2)
	global_store_dword v[12:13], v10, off
	s_or_b64 exec, exec, s[0:1]
	v_cmp_gt_u32_e32 vcc, s33, v27
	s_and_saveexec_b64 s[0:1], vcc
	s_cbranch_execz .LBB3711_94
.LBB3711_114:
	v_cmp_lt_u32_e32 vcc, v27, v34
	s_waitcnt lgkmcnt(4)
	v_lshlrev_b32_e32 v14, 2, v27
	v_mov_b32_e32 v15, 0
	s_waitcnt lgkmcnt(3)
	v_cndmask_b32_e32 v13, v7, v9, vcc
	v_cndmask_b32_e32 v12, v6, v8, vcc
	v_lshl_add_u64 v[12:13], v[12:13], 0, v[14:15]
	s_waitcnt lgkmcnt(2)
	global_store_dword v[12:13], v11, off
	s_or_b64 exec, exec, s[0:1]
	v_cmp_gt_u32_e32 vcc, s33, v26
	s_and_saveexec_b64 s[0:1], vcc
	s_cbranch_execz .LBB3711_95
.LBB3711_115:
	v_cmp_lt_u32_e32 vcc, v26, v34
	s_waitcnt lgkmcnt(3)
	v_lshlrev_b32_e32 v12, 2, v26
	v_mov_b32_e32 v13, 0
	s_waitcnt lgkmcnt(2)
	v_cndmask_b32_e32 v11, v7, v9, vcc
	v_cndmask_b32_e32 v10, v6, v8, vcc
	v_lshl_add_u64 v[10:11], v[10:11], 0, v[12:13]
	s_waitcnt lgkmcnt(1)
	global_store_dword v[10:11], v4, off
	s_or_b64 exec, exec, s[0:1]
	v_cmp_gt_u32_e32 vcc, s33, v25
	s_and_saveexec_b64 s[0:1], vcc
	s_cbranch_execnz .LBB3711_96
	s_branch .LBB3711_97
	.section	.rodata,"a",@progbits
	.p2align	6, 0x0
	.amdhsa_kernel _ZN7rocprim17ROCPRIM_400000_NS6detail17trampoline_kernelINS0_14default_configENS1_25partition_config_selectorILNS1_17partition_subalgoE0EiNS0_10empty_typeEbEEZZNS1_14partition_implILS5_0ELb0ES3_jN6thrust23THRUST_200600_302600_NS10device_ptrIiEEPS6_SD_NS0_5tupleIJSC_SC_EEENSE_IJSD_SD_EEES6_PlJ7is_evenIiEEEE10hipError_tPvRmT3_T4_T5_T6_T7_T9_mT8_P12ihipStream_tbDpT10_ENKUlT_T0_E_clISt17integral_constantIbLb1EES12_IbLb0EEEEDaSY_SZ_EUlSY_E_NS1_11comp_targetILNS1_3genE5ELNS1_11target_archE942ELNS1_3gpuE9ELNS1_3repE0EEENS1_30default_config_static_selectorELNS0_4arch9wavefront6targetE1EEEvT1_
		.amdhsa_group_segment_fixed_size 30728
		.amdhsa_private_segment_fixed_size 0
		.amdhsa_kernarg_size 120
		.amdhsa_user_sgpr_count 2
		.amdhsa_user_sgpr_dispatch_ptr 0
		.amdhsa_user_sgpr_queue_ptr 0
		.amdhsa_user_sgpr_kernarg_segment_ptr 1
		.amdhsa_user_sgpr_dispatch_id 0
		.amdhsa_user_sgpr_kernarg_preload_length 0
		.amdhsa_user_sgpr_kernarg_preload_offset 0
		.amdhsa_user_sgpr_private_segment_size 0
		.amdhsa_uses_dynamic_stack 0
		.amdhsa_enable_private_segment 0
		.amdhsa_system_sgpr_workgroup_id_x 1
		.amdhsa_system_sgpr_workgroup_id_y 0
		.amdhsa_system_sgpr_workgroup_id_z 0
		.amdhsa_system_sgpr_workgroup_info 0
		.amdhsa_system_vgpr_workitem_id 0
		.amdhsa_next_free_vgpr 76
		.amdhsa_next_free_sgpr 44
		.amdhsa_accum_offset 76
		.amdhsa_reserve_vcc 1
		.amdhsa_float_round_mode_32 0
		.amdhsa_float_round_mode_16_64 0
		.amdhsa_float_denorm_mode_32 3
		.amdhsa_float_denorm_mode_16_64 3
		.amdhsa_dx10_clamp 1
		.amdhsa_ieee_mode 1
		.amdhsa_fp16_overflow 0
		.amdhsa_tg_split 0
		.amdhsa_exception_fp_ieee_invalid_op 0
		.amdhsa_exception_fp_denorm_src 0
		.amdhsa_exception_fp_ieee_div_zero 0
		.amdhsa_exception_fp_ieee_overflow 0
		.amdhsa_exception_fp_ieee_underflow 0
		.amdhsa_exception_fp_ieee_inexact 0
		.amdhsa_exception_int_div_zero 0
	.end_amdhsa_kernel
	.section	.text._ZN7rocprim17ROCPRIM_400000_NS6detail17trampoline_kernelINS0_14default_configENS1_25partition_config_selectorILNS1_17partition_subalgoE0EiNS0_10empty_typeEbEEZZNS1_14partition_implILS5_0ELb0ES3_jN6thrust23THRUST_200600_302600_NS10device_ptrIiEEPS6_SD_NS0_5tupleIJSC_SC_EEENSE_IJSD_SD_EEES6_PlJ7is_evenIiEEEE10hipError_tPvRmT3_T4_T5_T6_T7_T9_mT8_P12ihipStream_tbDpT10_ENKUlT_T0_E_clISt17integral_constantIbLb1EES12_IbLb0EEEEDaSY_SZ_EUlSY_E_NS1_11comp_targetILNS1_3genE5ELNS1_11target_archE942ELNS1_3gpuE9ELNS1_3repE0EEENS1_30default_config_static_selectorELNS0_4arch9wavefront6targetE1EEEvT1_,"axG",@progbits,_ZN7rocprim17ROCPRIM_400000_NS6detail17trampoline_kernelINS0_14default_configENS1_25partition_config_selectorILNS1_17partition_subalgoE0EiNS0_10empty_typeEbEEZZNS1_14partition_implILS5_0ELb0ES3_jN6thrust23THRUST_200600_302600_NS10device_ptrIiEEPS6_SD_NS0_5tupleIJSC_SC_EEENSE_IJSD_SD_EEES6_PlJ7is_evenIiEEEE10hipError_tPvRmT3_T4_T5_T6_T7_T9_mT8_P12ihipStream_tbDpT10_ENKUlT_T0_E_clISt17integral_constantIbLb1EES12_IbLb0EEEEDaSY_SZ_EUlSY_E_NS1_11comp_targetILNS1_3genE5ELNS1_11target_archE942ELNS1_3gpuE9ELNS1_3repE0EEENS1_30default_config_static_selectorELNS0_4arch9wavefront6targetE1EEEvT1_,comdat
.Lfunc_end3711:
	.size	_ZN7rocprim17ROCPRIM_400000_NS6detail17trampoline_kernelINS0_14default_configENS1_25partition_config_selectorILNS1_17partition_subalgoE0EiNS0_10empty_typeEbEEZZNS1_14partition_implILS5_0ELb0ES3_jN6thrust23THRUST_200600_302600_NS10device_ptrIiEEPS6_SD_NS0_5tupleIJSC_SC_EEENSE_IJSD_SD_EEES6_PlJ7is_evenIiEEEE10hipError_tPvRmT3_T4_T5_T6_T7_T9_mT8_P12ihipStream_tbDpT10_ENKUlT_T0_E_clISt17integral_constantIbLb1EES12_IbLb0EEEEDaSY_SZ_EUlSY_E_NS1_11comp_targetILNS1_3genE5ELNS1_11target_archE942ELNS1_3gpuE9ELNS1_3repE0EEENS1_30default_config_static_selectorELNS0_4arch9wavefront6targetE1EEEvT1_, .Lfunc_end3711-_ZN7rocprim17ROCPRIM_400000_NS6detail17trampoline_kernelINS0_14default_configENS1_25partition_config_selectorILNS1_17partition_subalgoE0EiNS0_10empty_typeEbEEZZNS1_14partition_implILS5_0ELb0ES3_jN6thrust23THRUST_200600_302600_NS10device_ptrIiEEPS6_SD_NS0_5tupleIJSC_SC_EEENSE_IJSD_SD_EEES6_PlJ7is_evenIiEEEE10hipError_tPvRmT3_T4_T5_T6_T7_T9_mT8_P12ihipStream_tbDpT10_ENKUlT_T0_E_clISt17integral_constantIbLb1EES12_IbLb0EEEEDaSY_SZ_EUlSY_E_NS1_11comp_targetILNS1_3genE5ELNS1_11target_archE942ELNS1_3gpuE9ELNS1_3repE0EEENS1_30default_config_static_selectorELNS0_4arch9wavefront6targetE1EEEvT1_
                                        ; -- End function
	.section	.AMDGPU.csdata,"",@progbits
; Kernel info:
; codeLenInByte = 6700
; NumSgprs: 50
; NumVgprs: 76
; NumAgprs: 0
; TotalNumVgprs: 76
; ScratchSize: 0
; MemoryBound: 0
; FloatMode: 240
; IeeeMode: 1
; LDSByteSize: 30728 bytes/workgroup (compile time only)
; SGPRBlocks: 6
; VGPRBlocks: 9
; NumSGPRsForWavesPerEU: 50
; NumVGPRsForWavesPerEU: 76
; AccumOffset: 76
; Occupancy: 4
; WaveLimiterHint : 1
; COMPUTE_PGM_RSRC2:SCRATCH_EN: 0
; COMPUTE_PGM_RSRC2:USER_SGPR: 2
; COMPUTE_PGM_RSRC2:TRAP_HANDLER: 0
; COMPUTE_PGM_RSRC2:TGID_X_EN: 1
; COMPUTE_PGM_RSRC2:TGID_Y_EN: 0
; COMPUTE_PGM_RSRC2:TGID_Z_EN: 0
; COMPUTE_PGM_RSRC2:TIDIG_COMP_CNT: 0
; COMPUTE_PGM_RSRC3_GFX90A:ACCUM_OFFSET: 18
; COMPUTE_PGM_RSRC3_GFX90A:TG_SPLIT: 0
	.section	.text._ZN7rocprim17ROCPRIM_400000_NS6detail17trampoline_kernelINS0_14default_configENS1_25partition_config_selectorILNS1_17partition_subalgoE0EiNS0_10empty_typeEbEEZZNS1_14partition_implILS5_0ELb0ES3_jN6thrust23THRUST_200600_302600_NS10device_ptrIiEEPS6_SD_NS0_5tupleIJSC_SC_EEENSE_IJSD_SD_EEES6_PlJ7is_evenIiEEEE10hipError_tPvRmT3_T4_T5_T6_T7_T9_mT8_P12ihipStream_tbDpT10_ENKUlT_T0_E_clISt17integral_constantIbLb1EES12_IbLb0EEEEDaSY_SZ_EUlSY_E_NS1_11comp_targetILNS1_3genE4ELNS1_11target_archE910ELNS1_3gpuE8ELNS1_3repE0EEENS1_30default_config_static_selectorELNS0_4arch9wavefront6targetE1EEEvT1_,"axG",@progbits,_ZN7rocprim17ROCPRIM_400000_NS6detail17trampoline_kernelINS0_14default_configENS1_25partition_config_selectorILNS1_17partition_subalgoE0EiNS0_10empty_typeEbEEZZNS1_14partition_implILS5_0ELb0ES3_jN6thrust23THRUST_200600_302600_NS10device_ptrIiEEPS6_SD_NS0_5tupleIJSC_SC_EEENSE_IJSD_SD_EEES6_PlJ7is_evenIiEEEE10hipError_tPvRmT3_T4_T5_T6_T7_T9_mT8_P12ihipStream_tbDpT10_ENKUlT_T0_E_clISt17integral_constantIbLb1EES12_IbLb0EEEEDaSY_SZ_EUlSY_E_NS1_11comp_targetILNS1_3genE4ELNS1_11target_archE910ELNS1_3gpuE8ELNS1_3repE0EEENS1_30default_config_static_selectorELNS0_4arch9wavefront6targetE1EEEvT1_,comdat
	.protected	_ZN7rocprim17ROCPRIM_400000_NS6detail17trampoline_kernelINS0_14default_configENS1_25partition_config_selectorILNS1_17partition_subalgoE0EiNS0_10empty_typeEbEEZZNS1_14partition_implILS5_0ELb0ES3_jN6thrust23THRUST_200600_302600_NS10device_ptrIiEEPS6_SD_NS0_5tupleIJSC_SC_EEENSE_IJSD_SD_EEES6_PlJ7is_evenIiEEEE10hipError_tPvRmT3_T4_T5_T6_T7_T9_mT8_P12ihipStream_tbDpT10_ENKUlT_T0_E_clISt17integral_constantIbLb1EES12_IbLb0EEEEDaSY_SZ_EUlSY_E_NS1_11comp_targetILNS1_3genE4ELNS1_11target_archE910ELNS1_3gpuE8ELNS1_3repE0EEENS1_30default_config_static_selectorELNS0_4arch9wavefront6targetE1EEEvT1_ ; -- Begin function _ZN7rocprim17ROCPRIM_400000_NS6detail17trampoline_kernelINS0_14default_configENS1_25partition_config_selectorILNS1_17partition_subalgoE0EiNS0_10empty_typeEbEEZZNS1_14partition_implILS5_0ELb0ES3_jN6thrust23THRUST_200600_302600_NS10device_ptrIiEEPS6_SD_NS0_5tupleIJSC_SC_EEENSE_IJSD_SD_EEES6_PlJ7is_evenIiEEEE10hipError_tPvRmT3_T4_T5_T6_T7_T9_mT8_P12ihipStream_tbDpT10_ENKUlT_T0_E_clISt17integral_constantIbLb1EES12_IbLb0EEEEDaSY_SZ_EUlSY_E_NS1_11comp_targetILNS1_3genE4ELNS1_11target_archE910ELNS1_3gpuE8ELNS1_3repE0EEENS1_30default_config_static_selectorELNS0_4arch9wavefront6targetE1EEEvT1_
	.globl	_ZN7rocprim17ROCPRIM_400000_NS6detail17trampoline_kernelINS0_14default_configENS1_25partition_config_selectorILNS1_17partition_subalgoE0EiNS0_10empty_typeEbEEZZNS1_14partition_implILS5_0ELb0ES3_jN6thrust23THRUST_200600_302600_NS10device_ptrIiEEPS6_SD_NS0_5tupleIJSC_SC_EEENSE_IJSD_SD_EEES6_PlJ7is_evenIiEEEE10hipError_tPvRmT3_T4_T5_T6_T7_T9_mT8_P12ihipStream_tbDpT10_ENKUlT_T0_E_clISt17integral_constantIbLb1EES12_IbLb0EEEEDaSY_SZ_EUlSY_E_NS1_11comp_targetILNS1_3genE4ELNS1_11target_archE910ELNS1_3gpuE8ELNS1_3repE0EEENS1_30default_config_static_selectorELNS0_4arch9wavefront6targetE1EEEvT1_
	.p2align	8
	.type	_ZN7rocprim17ROCPRIM_400000_NS6detail17trampoline_kernelINS0_14default_configENS1_25partition_config_selectorILNS1_17partition_subalgoE0EiNS0_10empty_typeEbEEZZNS1_14partition_implILS5_0ELb0ES3_jN6thrust23THRUST_200600_302600_NS10device_ptrIiEEPS6_SD_NS0_5tupleIJSC_SC_EEENSE_IJSD_SD_EEES6_PlJ7is_evenIiEEEE10hipError_tPvRmT3_T4_T5_T6_T7_T9_mT8_P12ihipStream_tbDpT10_ENKUlT_T0_E_clISt17integral_constantIbLb1EES12_IbLb0EEEEDaSY_SZ_EUlSY_E_NS1_11comp_targetILNS1_3genE4ELNS1_11target_archE910ELNS1_3gpuE8ELNS1_3repE0EEENS1_30default_config_static_selectorELNS0_4arch9wavefront6targetE1EEEvT1_,@function
_ZN7rocprim17ROCPRIM_400000_NS6detail17trampoline_kernelINS0_14default_configENS1_25partition_config_selectorILNS1_17partition_subalgoE0EiNS0_10empty_typeEbEEZZNS1_14partition_implILS5_0ELb0ES3_jN6thrust23THRUST_200600_302600_NS10device_ptrIiEEPS6_SD_NS0_5tupleIJSC_SC_EEENSE_IJSD_SD_EEES6_PlJ7is_evenIiEEEE10hipError_tPvRmT3_T4_T5_T6_T7_T9_mT8_P12ihipStream_tbDpT10_ENKUlT_T0_E_clISt17integral_constantIbLb1EES12_IbLb0EEEEDaSY_SZ_EUlSY_E_NS1_11comp_targetILNS1_3genE4ELNS1_11target_archE910ELNS1_3gpuE8ELNS1_3repE0EEENS1_30default_config_static_selectorELNS0_4arch9wavefront6targetE1EEEvT1_: ; @_ZN7rocprim17ROCPRIM_400000_NS6detail17trampoline_kernelINS0_14default_configENS1_25partition_config_selectorILNS1_17partition_subalgoE0EiNS0_10empty_typeEbEEZZNS1_14partition_implILS5_0ELb0ES3_jN6thrust23THRUST_200600_302600_NS10device_ptrIiEEPS6_SD_NS0_5tupleIJSC_SC_EEENSE_IJSD_SD_EEES6_PlJ7is_evenIiEEEE10hipError_tPvRmT3_T4_T5_T6_T7_T9_mT8_P12ihipStream_tbDpT10_ENKUlT_T0_E_clISt17integral_constantIbLb1EES12_IbLb0EEEEDaSY_SZ_EUlSY_E_NS1_11comp_targetILNS1_3genE4ELNS1_11target_archE910ELNS1_3gpuE8ELNS1_3repE0EEENS1_30default_config_static_selectorELNS0_4arch9wavefront6targetE1EEEvT1_
; %bb.0:
	.section	.rodata,"a",@progbits
	.p2align	6, 0x0
	.amdhsa_kernel _ZN7rocprim17ROCPRIM_400000_NS6detail17trampoline_kernelINS0_14default_configENS1_25partition_config_selectorILNS1_17partition_subalgoE0EiNS0_10empty_typeEbEEZZNS1_14partition_implILS5_0ELb0ES3_jN6thrust23THRUST_200600_302600_NS10device_ptrIiEEPS6_SD_NS0_5tupleIJSC_SC_EEENSE_IJSD_SD_EEES6_PlJ7is_evenIiEEEE10hipError_tPvRmT3_T4_T5_T6_T7_T9_mT8_P12ihipStream_tbDpT10_ENKUlT_T0_E_clISt17integral_constantIbLb1EES12_IbLb0EEEEDaSY_SZ_EUlSY_E_NS1_11comp_targetILNS1_3genE4ELNS1_11target_archE910ELNS1_3gpuE8ELNS1_3repE0EEENS1_30default_config_static_selectorELNS0_4arch9wavefront6targetE1EEEvT1_
		.amdhsa_group_segment_fixed_size 0
		.amdhsa_private_segment_fixed_size 0
		.amdhsa_kernarg_size 120
		.amdhsa_user_sgpr_count 2
		.amdhsa_user_sgpr_dispatch_ptr 0
		.amdhsa_user_sgpr_queue_ptr 0
		.amdhsa_user_sgpr_kernarg_segment_ptr 1
		.amdhsa_user_sgpr_dispatch_id 0
		.amdhsa_user_sgpr_kernarg_preload_length 0
		.amdhsa_user_sgpr_kernarg_preload_offset 0
		.amdhsa_user_sgpr_private_segment_size 0
		.amdhsa_uses_dynamic_stack 0
		.amdhsa_enable_private_segment 0
		.amdhsa_system_sgpr_workgroup_id_x 1
		.amdhsa_system_sgpr_workgroup_id_y 0
		.amdhsa_system_sgpr_workgroup_id_z 0
		.amdhsa_system_sgpr_workgroup_info 0
		.amdhsa_system_vgpr_workitem_id 0
		.amdhsa_next_free_vgpr 1
		.amdhsa_next_free_sgpr 0
		.amdhsa_accum_offset 4
		.amdhsa_reserve_vcc 0
		.amdhsa_float_round_mode_32 0
		.amdhsa_float_round_mode_16_64 0
		.amdhsa_float_denorm_mode_32 3
		.amdhsa_float_denorm_mode_16_64 3
		.amdhsa_dx10_clamp 1
		.amdhsa_ieee_mode 1
		.amdhsa_fp16_overflow 0
		.amdhsa_tg_split 0
		.amdhsa_exception_fp_ieee_invalid_op 0
		.amdhsa_exception_fp_denorm_src 0
		.amdhsa_exception_fp_ieee_div_zero 0
		.amdhsa_exception_fp_ieee_overflow 0
		.amdhsa_exception_fp_ieee_underflow 0
		.amdhsa_exception_fp_ieee_inexact 0
		.amdhsa_exception_int_div_zero 0
	.end_amdhsa_kernel
	.section	.text._ZN7rocprim17ROCPRIM_400000_NS6detail17trampoline_kernelINS0_14default_configENS1_25partition_config_selectorILNS1_17partition_subalgoE0EiNS0_10empty_typeEbEEZZNS1_14partition_implILS5_0ELb0ES3_jN6thrust23THRUST_200600_302600_NS10device_ptrIiEEPS6_SD_NS0_5tupleIJSC_SC_EEENSE_IJSD_SD_EEES6_PlJ7is_evenIiEEEE10hipError_tPvRmT3_T4_T5_T6_T7_T9_mT8_P12ihipStream_tbDpT10_ENKUlT_T0_E_clISt17integral_constantIbLb1EES12_IbLb0EEEEDaSY_SZ_EUlSY_E_NS1_11comp_targetILNS1_3genE4ELNS1_11target_archE910ELNS1_3gpuE8ELNS1_3repE0EEENS1_30default_config_static_selectorELNS0_4arch9wavefront6targetE1EEEvT1_,"axG",@progbits,_ZN7rocprim17ROCPRIM_400000_NS6detail17trampoline_kernelINS0_14default_configENS1_25partition_config_selectorILNS1_17partition_subalgoE0EiNS0_10empty_typeEbEEZZNS1_14partition_implILS5_0ELb0ES3_jN6thrust23THRUST_200600_302600_NS10device_ptrIiEEPS6_SD_NS0_5tupleIJSC_SC_EEENSE_IJSD_SD_EEES6_PlJ7is_evenIiEEEE10hipError_tPvRmT3_T4_T5_T6_T7_T9_mT8_P12ihipStream_tbDpT10_ENKUlT_T0_E_clISt17integral_constantIbLb1EES12_IbLb0EEEEDaSY_SZ_EUlSY_E_NS1_11comp_targetILNS1_3genE4ELNS1_11target_archE910ELNS1_3gpuE8ELNS1_3repE0EEENS1_30default_config_static_selectorELNS0_4arch9wavefront6targetE1EEEvT1_,comdat
.Lfunc_end3712:
	.size	_ZN7rocprim17ROCPRIM_400000_NS6detail17trampoline_kernelINS0_14default_configENS1_25partition_config_selectorILNS1_17partition_subalgoE0EiNS0_10empty_typeEbEEZZNS1_14partition_implILS5_0ELb0ES3_jN6thrust23THRUST_200600_302600_NS10device_ptrIiEEPS6_SD_NS0_5tupleIJSC_SC_EEENSE_IJSD_SD_EEES6_PlJ7is_evenIiEEEE10hipError_tPvRmT3_T4_T5_T6_T7_T9_mT8_P12ihipStream_tbDpT10_ENKUlT_T0_E_clISt17integral_constantIbLb1EES12_IbLb0EEEEDaSY_SZ_EUlSY_E_NS1_11comp_targetILNS1_3genE4ELNS1_11target_archE910ELNS1_3gpuE8ELNS1_3repE0EEENS1_30default_config_static_selectorELNS0_4arch9wavefront6targetE1EEEvT1_, .Lfunc_end3712-_ZN7rocprim17ROCPRIM_400000_NS6detail17trampoline_kernelINS0_14default_configENS1_25partition_config_selectorILNS1_17partition_subalgoE0EiNS0_10empty_typeEbEEZZNS1_14partition_implILS5_0ELb0ES3_jN6thrust23THRUST_200600_302600_NS10device_ptrIiEEPS6_SD_NS0_5tupleIJSC_SC_EEENSE_IJSD_SD_EEES6_PlJ7is_evenIiEEEE10hipError_tPvRmT3_T4_T5_T6_T7_T9_mT8_P12ihipStream_tbDpT10_ENKUlT_T0_E_clISt17integral_constantIbLb1EES12_IbLb0EEEEDaSY_SZ_EUlSY_E_NS1_11comp_targetILNS1_3genE4ELNS1_11target_archE910ELNS1_3gpuE8ELNS1_3repE0EEENS1_30default_config_static_selectorELNS0_4arch9wavefront6targetE1EEEvT1_
                                        ; -- End function
	.section	.AMDGPU.csdata,"",@progbits
; Kernel info:
; codeLenInByte = 0
; NumSgprs: 6
; NumVgprs: 0
; NumAgprs: 0
; TotalNumVgprs: 0
; ScratchSize: 0
; MemoryBound: 0
; FloatMode: 240
; IeeeMode: 1
; LDSByteSize: 0 bytes/workgroup (compile time only)
; SGPRBlocks: 0
; VGPRBlocks: 0
; NumSGPRsForWavesPerEU: 6
; NumVGPRsForWavesPerEU: 1
; AccumOffset: 4
; Occupancy: 8
; WaveLimiterHint : 0
; COMPUTE_PGM_RSRC2:SCRATCH_EN: 0
; COMPUTE_PGM_RSRC2:USER_SGPR: 2
; COMPUTE_PGM_RSRC2:TRAP_HANDLER: 0
; COMPUTE_PGM_RSRC2:TGID_X_EN: 1
; COMPUTE_PGM_RSRC2:TGID_Y_EN: 0
; COMPUTE_PGM_RSRC2:TGID_Z_EN: 0
; COMPUTE_PGM_RSRC2:TIDIG_COMP_CNT: 0
; COMPUTE_PGM_RSRC3_GFX90A:ACCUM_OFFSET: 0
; COMPUTE_PGM_RSRC3_GFX90A:TG_SPLIT: 0
	.section	.text._ZN7rocprim17ROCPRIM_400000_NS6detail17trampoline_kernelINS0_14default_configENS1_25partition_config_selectorILNS1_17partition_subalgoE0EiNS0_10empty_typeEbEEZZNS1_14partition_implILS5_0ELb0ES3_jN6thrust23THRUST_200600_302600_NS10device_ptrIiEEPS6_SD_NS0_5tupleIJSC_SC_EEENSE_IJSD_SD_EEES6_PlJ7is_evenIiEEEE10hipError_tPvRmT3_T4_T5_T6_T7_T9_mT8_P12ihipStream_tbDpT10_ENKUlT_T0_E_clISt17integral_constantIbLb1EES12_IbLb0EEEEDaSY_SZ_EUlSY_E_NS1_11comp_targetILNS1_3genE3ELNS1_11target_archE908ELNS1_3gpuE7ELNS1_3repE0EEENS1_30default_config_static_selectorELNS0_4arch9wavefront6targetE1EEEvT1_,"axG",@progbits,_ZN7rocprim17ROCPRIM_400000_NS6detail17trampoline_kernelINS0_14default_configENS1_25partition_config_selectorILNS1_17partition_subalgoE0EiNS0_10empty_typeEbEEZZNS1_14partition_implILS5_0ELb0ES3_jN6thrust23THRUST_200600_302600_NS10device_ptrIiEEPS6_SD_NS0_5tupleIJSC_SC_EEENSE_IJSD_SD_EEES6_PlJ7is_evenIiEEEE10hipError_tPvRmT3_T4_T5_T6_T7_T9_mT8_P12ihipStream_tbDpT10_ENKUlT_T0_E_clISt17integral_constantIbLb1EES12_IbLb0EEEEDaSY_SZ_EUlSY_E_NS1_11comp_targetILNS1_3genE3ELNS1_11target_archE908ELNS1_3gpuE7ELNS1_3repE0EEENS1_30default_config_static_selectorELNS0_4arch9wavefront6targetE1EEEvT1_,comdat
	.protected	_ZN7rocprim17ROCPRIM_400000_NS6detail17trampoline_kernelINS0_14default_configENS1_25partition_config_selectorILNS1_17partition_subalgoE0EiNS0_10empty_typeEbEEZZNS1_14partition_implILS5_0ELb0ES3_jN6thrust23THRUST_200600_302600_NS10device_ptrIiEEPS6_SD_NS0_5tupleIJSC_SC_EEENSE_IJSD_SD_EEES6_PlJ7is_evenIiEEEE10hipError_tPvRmT3_T4_T5_T6_T7_T9_mT8_P12ihipStream_tbDpT10_ENKUlT_T0_E_clISt17integral_constantIbLb1EES12_IbLb0EEEEDaSY_SZ_EUlSY_E_NS1_11comp_targetILNS1_3genE3ELNS1_11target_archE908ELNS1_3gpuE7ELNS1_3repE0EEENS1_30default_config_static_selectorELNS0_4arch9wavefront6targetE1EEEvT1_ ; -- Begin function _ZN7rocprim17ROCPRIM_400000_NS6detail17trampoline_kernelINS0_14default_configENS1_25partition_config_selectorILNS1_17partition_subalgoE0EiNS0_10empty_typeEbEEZZNS1_14partition_implILS5_0ELb0ES3_jN6thrust23THRUST_200600_302600_NS10device_ptrIiEEPS6_SD_NS0_5tupleIJSC_SC_EEENSE_IJSD_SD_EEES6_PlJ7is_evenIiEEEE10hipError_tPvRmT3_T4_T5_T6_T7_T9_mT8_P12ihipStream_tbDpT10_ENKUlT_T0_E_clISt17integral_constantIbLb1EES12_IbLb0EEEEDaSY_SZ_EUlSY_E_NS1_11comp_targetILNS1_3genE3ELNS1_11target_archE908ELNS1_3gpuE7ELNS1_3repE0EEENS1_30default_config_static_selectorELNS0_4arch9wavefront6targetE1EEEvT1_
	.globl	_ZN7rocprim17ROCPRIM_400000_NS6detail17trampoline_kernelINS0_14default_configENS1_25partition_config_selectorILNS1_17partition_subalgoE0EiNS0_10empty_typeEbEEZZNS1_14partition_implILS5_0ELb0ES3_jN6thrust23THRUST_200600_302600_NS10device_ptrIiEEPS6_SD_NS0_5tupleIJSC_SC_EEENSE_IJSD_SD_EEES6_PlJ7is_evenIiEEEE10hipError_tPvRmT3_T4_T5_T6_T7_T9_mT8_P12ihipStream_tbDpT10_ENKUlT_T0_E_clISt17integral_constantIbLb1EES12_IbLb0EEEEDaSY_SZ_EUlSY_E_NS1_11comp_targetILNS1_3genE3ELNS1_11target_archE908ELNS1_3gpuE7ELNS1_3repE0EEENS1_30default_config_static_selectorELNS0_4arch9wavefront6targetE1EEEvT1_
	.p2align	8
	.type	_ZN7rocprim17ROCPRIM_400000_NS6detail17trampoline_kernelINS0_14default_configENS1_25partition_config_selectorILNS1_17partition_subalgoE0EiNS0_10empty_typeEbEEZZNS1_14partition_implILS5_0ELb0ES3_jN6thrust23THRUST_200600_302600_NS10device_ptrIiEEPS6_SD_NS0_5tupleIJSC_SC_EEENSE_IJSD_SD_EEES6_PlJ7is_evenIiEEEE10hipError_tPvRmT3_T4_T5_T6_T7_T9_mT8_P12ihipStream_tbDpT10_ENKUlT_T0_E_clISt17integral_constantIbLb1EES12_IbLb0EEEEDaSY_SZ_EUlSY_E_NS1_11comp_targetILNS1_3genE3ELNS1_11target_archE908ELNS1_3gpuE7ELNS1_3repE0EEENS1_30default_config_static_selectorELNS0_4arch9wavefront6targetE1EEEvT1_,@function
_ZN7rocprim17ROCPRIM_400000_NS6detail17trampoline_kernelINS0_14default_configENS1_25partition_config_selectorILNS1_17partition_subalgoE0EiNS0_10empty_typeEbEEZZNS1_14partition_implILS5_0ELb0ES3_jN6thrust23THRUST_200600_302600_NS10device_ptrIiEEPS6_SD_NS0_5tupleIJSC_SC_EEENSE_IJSD_SD_EEES6_PlJ7is_evenIiEEEE10hipError_tPvRmT3_T4_T5_T6_T7_T9_mT8_P12ihipStream_tbDpT10_ENKUlT_T0_E_clISt17integral_constantIbLb1EES12_IbLb0EEEEDaSY_SZ_EUlSY_E_NS1_11comp_targetILNS1_3genE3ELNS1_11target_archE908ELNS1_3gpuE7ELNS1_3repE0EEENS1_30default_config_static_selectorELNS0_4arch9wavefront6targetE1EEEvT1_: ; @_ZN7rocprim17ROCPRIM_400000_NS6detail17trampoline_kernelINS0_14default_configENS1_25partition_config_selectorILNS1_17partition_subalgoE0EiNS0_10empty_typeEbEEZZNS1_14partition_implILS5_0ELb0ES3_jN6thrust23THRUST_200600_302600_NS10device_ptrIiEEPS6_SD_NS0_5tupleIJSC_SC_EEENSE_IJSD_SD_EEES6_PlJ7is_evenIiEEEE10hipError_tPvRmT3_T4_T5_T6_T7_T9_mT8_P12ihipStream_tbDpT10_ENKUlT_T0_E_clISt17integral_constantIbLb1EES12_IbLb0EEEEDaSY_SZ_EUlSY_E_NS1_11comp_targetILNS1_3genE3ELNS1_11target_archE908ELNS1_3gpuE7ELNS1_3repE0EEENS1_30default_config_static_selectorELNS0_4arch9wavefront6targetE1EEEvT1_
; %bb.0:
	.section	.rodata,"a",@progbits
	.p2align	6, 0x0
	.amdhsa_kernel _ZN7rocprim17ROCPRIM_400000_NS6detail17trampoline_kernelINS0_14default_configENS1_25partition_config_selectorILNS1_17partition_subalgoE0EiNS0_10empty_typeEbEEZZNS1_14partition_implILS5_0ELb0ES3_jN6thrust23THRUST_200600_302600_NS10device_ptrIiEEPS6_SD_NS0_5tupleIJSC_SC_EEENSE_IJSD_SD_EEES6_PlJ7is_evenIiEEEE10hipError_tPvRmT3_T4_T5_T6_T7_T9_mT8_P12ihipStream_tbDpT10_ENKUlT_T0_E_clISt17integral_constantIbLb1EES12_IbLb0EEEEDaSY_SZ_EUlSY_E_NS1_11comp_targetILNS1_3genE3ELNS1_11target_archE908ELNS1_3gpuE7ELNS1_3repE0EEENS1_30default_config_static_selectorELNS0_4arch9wavefront6targetE1EEEvT1_
		.amdhsa_group_segment_fixed_size 0
		.amdhsa_private_segment_fixed_size 0
		.amdhsa_kernarg_size 120
		.amdhsa_user_sgpr_count 2
		.amdhsa_user_sgpr_dispatch_ptr 0
		.amdhsa_user_sgpr_queue_ptr 0
		.amdhsa_user_sgpr_kernarg_segment_ptr 1
		.amdhsa_user_sgpr_dispatch_id 0
		.amdhsa_user_sgpr_kernarg_preload_length 0
		.amdhsa_user_sgpr_kernarg_preload_offset 0
		.amdhsa_user_sgpr_private_segment_size 0
		.amdhsa_uses_dynamic_stack 0
		.amdhsa_enable_private_segment 0
		.amdhsa_system_sgpr_workgroup_id_x 1
		.amdhsa_system_sgpr_workgroup_id_y 0
		.amdhsa_system_sgpr_workgroup_id_z 0
		.amdhsa_system_sgpr_workgroup_info 0
		.amdhsa_system_vgpr_workitem_id 0
		.amdhsa_next_free_vgpr 1
		.amdhsa_next_free_sgpr 0
		.amdhsa_accum_offset 4
		.amdhsa_reserve_vcc 0
		.amdhsa_float_round_mode_32 0
		.amdhsa_float_round_mode_16_64 0
		.amdhsa_float_denorm_mode_32 3
		.amdhsa_float_denorm_mode_16_64 3
		.amdhsa_dx10_clamp 1
		.amdhsa_ieee_mode 1
		.amdhsa_fp16_overflow 0
		.amdhsa_tg_split 0
		.amdhsa_exception_fp_ieee_invalid_op 0
		.amdhsa_exception_fp_denorm_src 0
		.amdhsa_exception_fp_ieee_div_zero 0
		.amdhsa_exception_fp_ieee_overflow 0
		.amdhsa_exception_fp_ieee_underflow 0
		.amdhsa_exception_fp_ieee_inexact 0
		.amdhsa_exception_int_div_zero 0
	.end_amdhsa_kernel
	.section	.text._ZN7rocprim17ROCPRIM_400000_NS6detail17trampoline_kernelINS0_14default_configENS1_25partition_config_selectorILNS1_17partition_subalgoE0EiNS0_10empty_typeEbEEZZNS1_14partition_implILS5_0ELb0ES3_jN6thrust23THRUST_200600_302600_NS10device_ptrIiEEPS6_SD_NS0_5tupleIJSC_SC_EEENSE_IJSD_SD_EEES6_PlJ7is_evenIiEEEE10hipError_tPvRmT3_T4_T5_T6_T7_T9_mT8_P12ihipStream_tbDpT10_ENKUlT_T0_E_clISt17integral_constantIbLb1EES12_IbLb0EEEEDaSY_SZ_EUlSY_E_NS1_11comp_targetILNS1_3genE3ELNS1_11target_archE908ELNS1_3gpuE7ELNS1_3repE0EEENS1_30default_config_static_selectorELNS0_4arch9wavefront6targetE1EEEvT1_,"axG",@progbits,_ZN7rocprim17ROCPRIM_400000_NS6detail17trampoline_kernelINS0_14default_configENS1_25partition_config_selectorILNS1_17partition_subalgoE0EiNS0_10empty_typeEbEEZZNS1_14partition_implILS5_0ELb0ES3_jN6thrust23THRUST_200600_302600_NS10device_ptrIiEEPS6_SD_NS0_5tupleIJSC_SC_EEENSE_IJSD_SD_EEES6_PlJ7is_evenIiEEEE10hipError_tPvRmT3_T4_T5_T6_T7_T9_mT8_P12ihipStream_tbDpT10_ENKUlT_T0_E_clISt17integral_constantIbLb1EES12_IbLb0EEEEDaSY_SZ_EUlSY_E_NS1_11comp_targetILNS1_3genE3ELNS1_11target_archE908ELNS1_3gpuE7ELNS1_3repE0EEENS1_30default_config_static_selectorELNS0_4arch9wavefront6targetE1EEEvT1_,comdat
.Lfunc_end3713:
	.size	_ZN7rocprim17ROCPRIM_400000_NS6detail17trampoline_kernelINS0_14default_configENS1_25partition_config_selectorILNS1_17partition_subalgoE0EiNS0_10empty_typeEbEEZZNS1_14partition_implILS5_0ELb0ES3_jN6thrust23THRUST_200600_302600_NS10device_ptrIiEEPS6_SD_NS0_5tupleIJSC_SC_EEENSE_IJSD_SD_EEES6_PlJ7is_evenIiEEEE10hipError_tPvRmT3_T4_T5_T6_T7_T9_mT8_P12ihipStream_tbDpT10_ENKUlT_T0_E_clISt17integral_constantIbLb1EES12_IbLb0EEEEDaSY_SZ_EUlSY_E_NS1_11comp_targetILNS1_3genE3ELNS1_11target_archE908ELNS1_3gpuE7ELNS1_3repE0EEENS1_30default_config_static_selectorELNS0_4arch9wavefront6targetE1EEEvT1_, .Lfunc_end3713-_ZN7rocprim17ROCPRIM_400000_NS6detail17trampoline_kernelINS0_14default_configENS1_25partition_config_selectorILNS1_17partition_subalgoE0EiNS0_10empty_typeEbEEZZNS1_14partition_implILS5_0ELb0ES3_jN6thrust23THRUST_200600_302600_NS10device_ptrIiEEPS6_SD_NS0_5tupleIJSC_SC_EEENSE_IJSD_SD_EEES6_PlJ7is_evenIiEEEE10hipError_tPvRmT3_T4_T5_T6_T7_T9_mT8_P12ihipStream_tbDpT10_ENKUlT_T0_E_clISt17integral_constantIbLb1EES12_IbLb0EEEEDaSY_SZ_EUlSY_E_NS1_11comp_targetILNS1_3genE3ELNS1_11target_archE908ELNS1_3gpuE7ELNS1_3repE0EEENS1_30default_config_static_selectorELNS0_4arch9wavefront6targetE1EEEvT1_
                                        ; -- End function
	.section	.AMDGPU.csdata,"",@progbits
; Kernel info:
; codeLenInByte = 0
; NumSgprs: 6
; NumVgprs: 0
; NumAgprs: 0
; TotalNumVgprs: 0
; ScratchSize: 0
; MemoryBound: 0
; FloatMode: 240
; IeeeMode: 1
; LDSByteSize: 0 bytes/workgroup (compile time only)
; SGPRBlocks: 0
; VGPRBlocks: 0
; NumSGPRsForWavesPerEU: 6
; NumVGPRsForWavesPerEU: 1
; AccumOffset: 4
; Occupancy: 8
; WaveLimiterHint : 0
; COMPUTE_PGM_RSRC2:SCRATCH_EN: 0
; COMPUTE_PGM_RSRC2:USER_SGPR: 2
; COMPUTE_PGM_RSRC2:TRAP_HANDLER: 0
; COMPUTE_PGM_RSRC2:TGID_X_EN: 1
; COMPUTE_PGM_RSRC2:TGID_Y_EN: 0
; COMPUTE_PGM_RSRC2:TGID_Z_EN: 0
; COMPUTE_PGM_RSRC2:TIDIG_COMP_CNT: 0
; COMPUTE_PGM_RSRC3_GFX90A:ACCUM_OFFSET: 0
; COMPUTE_PGM_RSRC3_GFX90A:TG_SPLIT: 0
	.section	.text._ZN7rocprim17ROCPRIM_400000_NS6detail17trampoline_kernelINS0_14default_configENS1_25partition_config_selectorILNS1_17partition_subalgoE0EiNS0_10empty_typeEbEEZZNS1_14partition_implILS5_0ELb0ES3_jN6thrust23THRUST_200600_302600_NS10device_ptrIiEEPS6_SD_NS0_5tupleIJSC_SC_EEENSE_IJSD_SD_EEES6_PlJ7is_evenIiEEEE10hipError_tPvRmT3_T4_T5_T6_T7_T9_mT8_P12ihipStream_tbDpT10_ENKUlT_T0_E_clISt17integral_constantIbLb1EES12_IbLb0EEEEDaSY_SZ_EUlSY_E_NS1_11comp_targetILNS1_3genE2ELNS1_11target_archE906ELNS1_3gpuE6ELNS1_3repE0EEENS1_30default_config_static_selectorELNS0_4arch9wavefront6targetE1EEEvT1_,"axG",@progbits,_ZN7rocprim17ROCPRIM_400000_NS6detail17trampoline_kernelINS0_14default_configENS1_25partition_config_selectorILNS1_17partition_subalgoE0EiNS0_10empty_typeEbEEZZNS1_14partition_implILS5_0ELb0ES3_jN6thrust23THRUST_200600_302600_NS10device_ptrIiEEPS6_SD_NS0_5tupleIJSC_SC_EEENSE_IJSD_SD_EEES6_PlJ7is_evenIiEEEE10hipError_tPvRmT3_T4_T5_T6_T7_T9_mT8_P12ihipStream_tbDpT10_ENKUlT_T0_E_clISt17integral_constantIbLb1EES12_IbLb0EEEEDaSY_SZ_EUlSY_E_NS1_11comp_targetILNS1_3genE2ELNS1_11target_archE906ELNS1_3gpuE6ELNS1_3repE0EEENS1_30default_config_static_selectorELNS0_4arch9wavefront6targetE1EEEvT1_,comdat
	.protected	_ZN7rocprim17ROCPRIM_400000_NS6detail17trampoline_kernelINS0_14default_configENS1_25partition_config_selectorILNS1_17partition_subalgoE0EiNS0_10empty_typeEbEEZZNS1_14partition_implILS5_0ELb0ES3_jN6thrust23THRUST_200600_302600_NS10device_ptrIiEEPS6_SD_NS0_5tupleIJSC_SC_EEENSE_IJSD_SD_EEES6_PlJ7is_evenIiEEEE10hipError_tPvRmT3_T4_T5_T6_T7_T9_mT8_P12ihipStream_tbDpT10_ENKUlT_T0_E_clISt17integral_constantIbLb1EES12_IbLb0EEEEDaSY_SZ_EUlSY_E_NS1_11comp_targetILNS1_3genE2ELNS1_11target_archE906ELNS1_3gpuE6ELNS1_3repE0EEENS1_30default_config_static_selectorELNS0_4arch9wavefront6targetE1EEEvT1_ ; -- Begin function _ZN7rocprim17ROCPRIM_400000_NS6detail17trampoline_kernelINS0_14default_configENS1_25partition_config_selectorILNS1_17partition_subalgoE0EiNS0_10empty_typeEbEEZZNS1_14partition_implILS5_0ELb0ES3_jN6thrust23THRUST_200600_302600_NS10device_ptrIiEEPS6_SD_NS0_5tupleIJSC_SC_EEENSE_IJSD_SD_EEES6_PlJ7is_evenIiEEEE10hipError_tPvRmT3_T4_T5_T6_T7_T9_mT8_P12ihipStream_tbDpT10_ENKUlT_T0_E_clISt17integral_constantIbLb1EES12_IbLb0EEEEDaSY_SZ_EUlSY_E_NS1_11comp_targetILNS1_3genE2ELNS1_11target_archE906ELNS1_3gpuE6ELNS1_3repE0EEENS1_30default_config_static_selectorELNS0_4arch9wavefront6targetE1EEEvT1_
	.globl	_ZN7rocprim17ROCPRIM_400000_NS6detail17trampoline_kernelINS0_14default_configENS1_25partition_config_selectorILNS1_17partition_subalgoE0EiNS0_10empty_typeEbEEZZNS1_14partition_implILS5_0ELb0ES3_jN6thrust23THRUST_200600_302600_NS10device_ptrIiEEPS6_SD_NS0_5tupleIJSC_SC_EEENSE_IJSD_SD_EEES6_PlJ7is_evenIiEEEE10hipError_tPvRmT3_T4_T5_T6_T7_T9_mT8_P12ihipStream_tbDpT10_ENKUlT_T0_E_clISt17integral_constantIbLb1EES12_IbLb0EEEEDaSY_SZ_EUlSY_E_NS1_11comp_targetILNS1_3genE2ELNS1_11target_archE906ELNS1_3gpuE6ELNS1_3repE0EEENS1_30default_config_static_selectorELNS0_4arch9wavefront6targetE1EEEvT1_
	.p2align	8
	.type	_ZN7rocprim17ROCPRIM_400000_NS6detail17trampoline_kernelINS0_14default_configENS1_25partition_config_selectorILNS1_17partition_subalgoE0EiNS0_10empty_typeEbEEZZNS1_14partition_implILS5_0ELb0ES3_jN6thrust23THRUST_200600_302600_NS10device_ptrIiEEPS6_SD_NS0_5tupleIJSC_SC_EEENSE_IJSD_SD_EEES6_PlJ7is_evenIiEEEE10hipError_tPvRmT3_T4_T5_T6_T7_T9_mT8_P12ihipStream_tbDpT10_ENKUlT_T0_E_clISt17integral_constantIbLb1EES12_IbLb0EEEEDaSY_SZ_EUlSY_E_NS1_11comp_targetILNS1_3genE2ELNS1_11target_archE906ELNS1_3gpuE6ELNS1_3repE0EEENS1_30default_config_static_selectorELNS0_4arch9wavefront6targetE1EEEvT1_,@function
_ZN7rocprim17ROCPRIM_400000_NS6detail17trampoline_kernelINS0_14default_configENS1_25partition_config_selectorILNS1_17partition_subalgoE0EiNS0_10empty_typeEbEEZZNS1_14partition_implILS5_0ELb0ES3_jN6thrust23THRUST_200600_302600_NS10device_ptrIiEEPS6_SD_NS0_5tupleIJSC_SC_EEENSE_IJSD_SD_EEES6_PlJ7is_evenIiEEEE10hipError_tPvRmT3_T4_T5_T6_T7_T9_mT8_P12ihipStream_tbDpT10_ENKUlT_T0_E_clISt17integral_constantIbLb1EES12_IbLb0EEEEDaSY_SZ_EUlSY_E_NS1_11comp_targetILNS1_3genE2ELNS1_11target_archE906ELNS1_3gpuE6ELNS1_3repE0EEENS1_30default_config_static_selectorELNS0_4arch9wavefront6targetE1EEEvT1_: ; @_ZN7rocprim17ROCPRIM_400000_NS6detail17trampoline_kernelINS0_14default_configENS1_25partition_config_selectorILNS1_17partition_subalgoE0EiNS0_10empty_typeEbEEZZNS1_14partition_implILS5_0ELb0ES3_jN6thrust23THRUST_200600_302600_NS10device_ptrIiEEPS6_SD_NS0_5tupleIJSC_SC_EEENSE_IJSD_SD_EEES6_PlJ7is_evenIiEEEE10hipError_tPvRmT3_T4_T5_T6_T7_T9_mT8_P12ihipStream_tbDpT10_ENKUlT_T0_E_clISt17integral_constantIbLb1EES12_IbLb0EEEEDaSY_SZ_EUlSY_E_NS1_11comp_targetILNS1_3genE2ELNS1_11target_archE906ELNS1_3gpuE6ELNS1_3repE0EEENS1_30default_config_static_selectorELNS0_4arch9wavefront6targetE1EEEvT1_
; %bb.0:
	.section	.rodata,"a",@progbits
	.p2align	6, 0x0
	.amdhsa_kernel _ZN7rocprim17ROCPRIM_400000_NS6detail17trampoline_kernelINS0_14default_configENS1_25partition_config_selectorILNS1_17partition_subalgoE0EiNS0_10empty_typeEbEEZZNS1_14partition_implILS5_0ELb0ES3_jN6thrust23THRUST_200600_302600_NS10device_ptrIiEEPS6_SD_NS0_5tupleIJSC_SC_EEENSE_IJSD_SD_EEES6_PlJ7is_evenIiEEEE10hipError_tPvRmT3_T4_T5_T6_T7_T9_mT8_P12ihipStream_tbDpT10_ENKUlT_T0_E_clISt17integral_constantIbLb1EES12_IbLb0EEEEDaSY_SZ_EUlSY_E_NS1_11comp_targetILNS1_3genE2ELNS1_11target_archE906ELNS1_3gpuE6ELNS1_3repE0EEENS1_30default_config_static_selectorELNS0_4arch9wavefront6targetE1EEEvT1_
		.amdhsa_group_segment_fixed_size 0
		.amdhsa_private_segment_fixed_size 0
		.amdhsa_kernarg_size 120
		.amdhsa_user_sgpr_count 2
		.amdhsa_user_sgpr_dispatch_ptr 0
		.amdhsa_user_sgpr_queue_ptr 0
		.amdhsa_user_sgpr_kernarg_segment_ptr 1
		.amdhsa_user_sgpr_dispatch_id 0
		.amdhsa_user_sgpr_kernarg_preload_length 0
		.amdhsa_user_sgpr_kernarg_preload_offset 0
		.amdhsa_user_sgpr_private_segment_size 0
		.amdhsa_uses_dynamic_stack 0
		.amdhsa_enable_private_segment 0
		.amdhsa_system_sgpr_workgroup_id_x 1
		.amdhsa_system_sgpr_workgroup_id_y 0
		.amdhsa_system_sgpr_workgroup_id_z 0
		.amdhsa_system_sgpr_workgroup_info 0
		.amdhsa_system_vgpr_workitem_id 0
		.amdhsa_next_free_vgpr 1
		.amdhsa_next_free_sgpr 0
		.amdhsa_accum_offset 4
		.amdhsa_reserve_vcc 0
		.amdhsa_float_round_mode_32 0
		.amdhsa_float_round_mode_16_64 0
		.amdhsa_float_denorm_mode_32 3
		.amdhsa_float_denorm_mode_16_64 3
		.amdhsa_dx10_clamp 1
		.amdhsa_ieee_mode 1
		.amdhsa_fp16_overflow 0
		.amdhsa_tg_split 0
		.amdhsa_exception_fp_ieee_invalid_op 0
		.amdhsa_exception_fp_denorm_src 0
		.amdhsa_exception_fp_ieee_div_zero 0
		.amdhsa_exception_fp_ieee_overflow 0
		.amdhsa_exception_fp_ieee_underflow 0
		.amdhsa_exception_fp_ieee_inexact 0
		.amdhsa_exception_int_div_zero 0
	.end_amdhsa_kernel
	.section	.text._ZN7rocprim17ROCPRIM_400000_NS6detail17trampoline_kernelINS0_14default_configENS1_25partition_config_selectorILNS1_17partition_subalgoE0EiNS0_10empty_typeEbEEZZNS1_14partition_implILS5_0ELb0ES3_jN6thrust23THRUST_200600_302600_NS10device_ptrIiEEPS6_SD_NS0_5tupleIJSC_SC_EEENSE_IJSD_SD_EEES6_PlJ7is_evenIiEEEE10hipError_tPvRmT3_T4_T5_T6_T7_T9_mT8_P12ihipStream_tbDpT10_ENKUlT_T0_E_clISt17integral_constantIbLb1EES12_IbLb0EEEEDaSY_SZ_EUlSY_E_NS1_11comp_targetILNS1_3genE2ELNS1_11target_archE906ELNS1_3gpuE6ELNS1_3repE0EEENS1_30default_config_static_selectorELNS0_4arch9wavefront6targetE1EEEvT1_,"axG",@progbits,_ZN7rocprim17ROCPRIM_400000_NS6detail17trampoline_kernelINS0_14default_configENS1_25partition_config_selectorILNS1_17partition_subalgoE0EiNS0_10empty_typeEbEEZZNS1_14partition_implILS5_0ELb0ES3_jN6thrust23THRUST_200600_302600_NS10device_ptrIiEEPS6_SD_NS0_5tupleIJSC_SC_EEENSE_IJSD_SD_EEES6_PlJ7is_evenIiEEEE10hipError_tPvRmT3_T4_T5_T6_T7_T9_mT8_P12ihipStream_tbDpT10_ENKUlT_T0_E_clISt17integral_constantIbLb1EES12_IbLb0EEEEDaSY_SZ_EUlSY_E_NS1_11comp_targetILNS1_3genE2ELNS1_11target_archE906ELNS1_3gpuE6ELNS1_3repE0EEENS1_30default_config_static_selectorELNS0_4arch9wavefront6targetE1EEEvT1_,comdat
.Lfunc_end3714:
	.size	_ZN7rocprim17ROCPRIM_400000_NS6detail17trampoline_kernelINS0_14default_configENS1_25partition_config_selectorILNS1_17partition_subalgoE0EiNS0_10empty_typeEbEEZZNS1_14partition_implILS5_0ELb0ES3_jN6thrust23THRUST_200600_302600_NS10device_ptrIiEEPS6_SD_NS0_5tupleIJSC_SC_EEENSE_IJSD_SD_EEES6_PlJ7is_evenIiEEEE10hipError_tPvRmT3_T4_T5_T6_T7_T9_mT8_P12ihipStream_tbDpT10_ENKUlT_T0_E_clISt17integral_constantIbLb1EES12_IbLb0EEEEDaSY_SZ_EUlSY_E_NS1_11comp_targetILNS1_3genE2ELNS1_11target_archE906ELNS1_3gpuE6ELNS1_3repE0EEENS1_30default_config_static_selectorELNS0_4arch9wavefront6targetE1EEEvT1_, .Lfunc_end3714-_ZN7rocprim17ROCPRIM_400000_NS6detail17trampoline_kernelINS0_14default_configENS1_25partition_config_selectorILNS1_17partition_subalgoE0EiNS0_10empty_typeEbEEZZNS1_14partition_implILS5_0ELb0ES3_jN6thrust23THRUST_200600_302600_NS10device_ptrIiEEPS6_SD_NS0_5tupleIJSC_SC_EEENSE_IJSD_SD_EEES6_PlJ7is_evenIiEEEE10hipError_tPvRmT3_T4_T5_T6_T7_T9_mT8_P12ihipStream_tbDpT10_ENKUlT_T0_E_clISt17integral_constantIbLb1EES12_IbLb0EEEEDaSY_SZ_EUlSY_E_NS1_11comp_targetILNS1_3genE2ELNS1_11target_archE906ELNS1_3gpuE6ELNS1_3repE0EEENS1_30default_config_static_selectorELNS0_4arch9wavefront6targetE1EEEvT1_
                                        ; -- End function
	.section	.AMDGPU.csdata,"",@progbits
; Kernel info:
; codeLenInByte = 0
; NumSgprs: 6
; NumVgprs: 0
; NumAgprs: 0
; TotalNumVgprs: 0
; ScratchSize: 0
; MemoryBound: 0
; FloatMode: 240
; IeeeMode: 1
; LDSByteSize: 0 bytes/workgroup (compile time only)
; SGPRBlocks: 0
; VGPRBlocks: 0
; NumSGPRsForWavesPerEU: 6
; NumVGPRsForWavesPerEU: 1
; AccumOffset: 4
; Occupancy: 8
; WaveLimiterHint : 0
; COMPUTE_PGM_RSRC2:SCRATCH_EN: 0
; COMPUTE_PGM_RSRC2:USER_SGPR: 2
; COMPUTE_PGM_RSRC2:TRAP_HANDLER: 0
; COMPUTE_PGM_RSRC2:TGID_X_EN: 1
; COMPUTE_PGM_RSRC2:TGID_Y_EN: 0
; COMPUTE_PGM_RSRC2:TGID_Z_EN: 0
; COMPUTE_PGM_RSRC2:TIDIG_COMP_CNT: 0
; COMPUTE_PGM_RSRC3_GFX90A:ACCUM_OFFSET: 0
; COMPUTE_PGM_RSRC3_GFX90A:TG_SPLIT: 0
	.section	.text._ZN7rocprim17ROCPRIM_400000_NS6detail17trampoline_kernelINS0_14default_configENS1_25partition_config_selectorILNS1_17partition_subalgoE0EiNS0_10empty_typeEbEEZZNS1_14partition_implILS5_0ELb0ES3_jN6thrust23THRUST_200600_302600_NS10device_ptrIiEEPS6_SD_NS0_5tupleIJSC_SC_EEENSE_IJSD_SD_EEES6_PlJ7is_evenIiEEEE10hipError_tPvRmT3_T4_T5_T6_T7_T9_mT8_P12ihipStream_tbDpT10_ENKUlT_T0_E_clISt17integral_constantIbLb1EES12_IbLb0EEEEDaSY_SZ_EUlSY_E_NS1_11comp_targetILNS1_3genE10ELNS1_11target_archE1200ELNS1_3gpuE4ELNS1_3repE0EEENS1_30default_config_static_selectorELNS0_4arch9wavefront6targetE1EEEvT1_,"axG",@progbits,_ZN7rocprim17ROCPRIM_400000_NS6detail17trampoline_kernelINS0_14default_configENS1_25partition_config_selectorILNS1_17partition_subalgoE0EiNS0_10empty_typeEbEEZZNS1_14partition_implILS5_0ELb0ES3_jN6thrust23THRUST_200600_302600_NS10device_ptrIiEEPS6_SD_NS0_5tupleIJSC_SC_EEENSE_IJSD_SD_EEES6_PlJ7is_evenIiEEEE10hipError_tPvRmT3_T4_T5_T6_T7_T9_mT8_P12ihipStream_tbDpT10_ENKUlT_T0_E_clISt17integral_constantIbLb1EES12_IbLb0EEEEDaSY_SZ_EUlSY_E_NS1_11comp_targetILNS1_3genE10ELNS1_11target_archE1200ELNS1_3gpuE4ELNS1_3repE0EEENS1_30default_config_static_selectorELNS0_4arch9wavefront6targetE1EEEvT1_,comdat
	.protected	_ZN7rocprim17ROCPRIM_400000_NS6detail17trampoline_kernelINS0_14default_configENS1_25partition_config_selectorILNS1_17partition_subalgoE0EiNS0_10empty_typeEbEEZZNS1_14partition_implILS5_0ELb0ES3_jN6thrust23THRUST_200600_302600_NS10device_ptrIiEEPS6_SD_NS0_5tupleIJSC_SC_EEENSE_IJSD_SD_EEES6_PlJ7is_evenIiEEEE10hipError_tPvRmT3_T4_T5_T6_T7_T9_mT8_P12ihipStream_tbDpT10_ENKUlT_T0_E_clISt17integral_constantIbLb1EES12_IbLb0EEEEDaSY_SZ_EUlSY_E_NS1_11comp_targetILNS1_3genE10ELNS1_11target_archE1200ELNS1_3gpuE4ELNS1_3repE0EEENS1_30default_config_static_selectorELNS0_4arch9wavefront6targetE1EEEvT1_ ; -- Begin function _ZN7rocprim17ROCPRIM_400000_NS6detail17trampoline_kernelINS0_14default_configENS1_25partition_config_selectorILNS1_17partition_subalgoE0EiNS0_10empty_typeEbEEZZNS1_14partition_implILS5_0ELb0ES3_jN6thrust23THRUST_200600_302600_NS10device_ptrIiEEPS6_SD_NS0_5tupleIJSC_SC_EEENSE_IJSD_SD_EEES6_PlJ7is_evenIiEEEE10hipError_tPvRmT3_T4_T5_T6_T7_T9_mT8_P12ihipStream_tbDpT10_ENKUlT_T0_E_clISt17integral_constantIbLb1EES12_IbLb0EEEEDaSY_SZ_EUlSY_E_NS1_11comp_targetILNS1_3genE10ELNS1_11target_archE1200ELNS1_3gpuE4ELNS1_3repE0EEENS1_30default_config_static_selectorELNS0_4arch9wavefront6targetE1EEEvT1_
	.globl	_ZN7rocprim17ROCPRIM_400000_NS6detail17trampoline_kernelINS0_14default_configENS1_25partition_config_selectorILNS1_17partition_subalgoE0EiNS0_10empty_typeEbEEZZNS1_14partition_implILS5_0ELb0ES3_jN6thrust23THRUST_200600_302600_NS10device_ptrIiEEPS6_SD_NS0_5tupleIJSC_SC_EEENSE_IJSD_SD_EEES6_PlJ7is_evenIiEEEE10hipError_tPvRmT3_T4_T5_T6_T7_T9_mT8_P12ihipStream_tbDpT10_ENKUlT_T0_E_clISt17integral_constantIbLb1EES12_IbLb0EEEEDaSY_SZ_EUlSY_E_NS1_11comp_targetILNS1_3genE10ELNS1_11target_archE1200ELNS1_3gpuE4ELNS1_3repE0EEENS1_30default_config_static_selectorELNS0_4arch9wavefront6targetE1EEEvT1_
	.p2align	8
	.type	_ZN7rocprim17ROCPRIM_400000_NS6detail17trampoline_kernelINS0_14default_configENS1_25partition_config_selectorILNS1_17partition_subalgoE0EiNS0_10empty_typeEbEEZZNS1_14partition_implILS5_0ELb0ES3_jN6thrust23THRUST_200600_302600_NS10device_ptrIiEEPS6_SD_NS0_5tupleIJSC_SC_EEENSE_IJSD_SD_EEES6_PlJ7is_evenIiEEEE10hipError_tPvRmT3_T4_T5_T6_T7_T9_mT8_P12ihipStream_tbDpT10_ENKUlT_T0_E_clISt17integral_constantIbLb1EES12_IbLb0EEEEDaSY_SZ_EUlSY_E_NS1_11comp_targetILNS1_3genE10ELNS1_11target_archE1200ELNS1_3gpuE4ELNS1_3repE0EEENS1_30default_config_static_selectorELNS0_4arch9wavefront6targetE1EEEvT1_,@function
_ZN7rocprim17ROCPRIM_400000_NS6detail17trampoline_kernelINS0_14default_configENS1_25partition_config_selectorILNS1_17partition_subalgoE0EiNS0_10empty_typeEbEEZZNS1_14partition_implILS5_0ELb0ES3_jN6thrust23THRUST_200600_302600_NS10device_ptrIiEEPS6_SD_NS0_5tupleIJSC_SC_EEENSE_IJSD_SD_EEES6_PlJ7is_evenIiEEEE10hipError_tPvRmT3_T4_T5_T6_T7_T9_mT8_P12ihipStream_tbDpT10_ENKUlT_T0_E_clISt17integral_constantIbLb1EES12_IbLb0EEEEDaSY_SZ_EUlSY_E_NS1_11comp_targetILNS1_3genE10ELNS1_11target_archE1200ELNS1_3gpuE4ELNS1_3repE0EEENS1_30default_config_static_selectorELNS0_4arch9wavefront6targetE1EEEvT1_: ; @_ZN7rocprim17ROCPRIM_400000_NS6detail17trampoline_kernelINS0_14default_configENS1_25partition_config_selectorILNS1_17partition_subalgoE0EiNS0_10empty_typeEbEEZZNS1_14partition_implILS5_0ELb0ES3_jN6thrust23THRUST_200600_302600_NS10device_ptrIiEEPS6_SD_NS0_5tupleIJSC_SC_EEENSE_IJSD_SD_EEES6_PlJ7is_evenIiEEEE10hipError_tPvRmT3_T4_T5_T6_T7_T9_mT8_P12ihipStream_tbDpT10_ENKUlT_T0_E_clISt17integral_constantIbLb1EES12_IbLb0EEEEDaSY_SZ_EUlSY_E_NS1_11comp_targetILNS1_3genE10ELNS1_11target_archE1200ELNS1_3gpuE4ELNS1_3repE0EEENS1_30default_config_static_selectorELNS0_4arch9wavefront6targetE1EEEvT1_
; %bb.0:
	.section	.rodata,"a",@progbits
	.p2align	6, 0x0
	.amdhsa_kernel _ZN7rocprim17ROCPRIM_400000_NS6detail17trampoline_kernelINS0_14default_configENS1_25partition_config_selectorILNS1_17partition_subalgoE0EiNS0_10empty_typeEbEEZZNS1_14partition_implILS5_0ELb0ES3_jN6thrust23THRUST_200600_302600_NS10device_ptrIiEEPS6_SD_NS0_5tupleIJSC_SC_EEENSE_IJSD_SD_EEES6_PlJ7is_evenIiEEEE10hipError_tPvRmT3_T4_T5_T6_T7_T9_mT8_P12ihipStream_tbDpT10_ENKUlT_T0_E_clISt17integral_constantIbLb1EES12_IbLb0EEEEDaSY_SZ_EUlSY_E_NS1_11comp_targetILNS1_3genE10ELNS1_11target_archE1200ELNS1_3gpuE4ELNS1_3repE0EEENS1_30default_config_static_selectorELNS0_4arch9wavefront6targetE1EEEvT1_
		.amdhsa_group_segment_fixed_size 0
		.amdhsa_private_segment_fixed_size 0
		.amdhsa_kernarg_size 120
		.amdhsa_user_sgpr_count 2
		.amdhsa_user_sgpr_dispatch_ptr 0
		.amdhsa_user_sgpr_queue_ptr 0
		.amdhsa_user_sgpr_kernarg_segment_ptr 1
		.amdhsa_user_sgpr_dispatch_id 0
		.amdhsa_user_sgpr_kernarg_preload_length 0
		.amdhsa_user_sgpr_kernarg_preload_offset 0
		.amdhsa_user_sgpr_private_segment_size 0
		.amdhsa_uses_dynamic_stack 0
		.amdhsa_enable_private_segment 0
		.amdhsa_system_sgpr_workgroup_id_x 1
		.amdhsa_system_sgpr_workgroup_id_y 0
		.amdhsa_system_sgpr_workgroup_id_z 0
		.amdhsa_system_sgpr_workgroup_info 0
		.amdhsa_system_vgpr_workitem_id 0
		.amdhsa_next_free_vgpr 1
		.amdhsa_next_free_sgpr 0
		.amdhsa_accum_offset 4
		.amdhsa_reserve_vcc 0
		.amdhsa_float_round_mode_32 0
		.amdhsa_float_round_mode_16_64 0
		.amdhsa_float_denorm_mode_32 3
		.amdhsa_float_denorm_mode_16_64 3
		.amdhsa_dx10_clamp 1
		.amdhsa_ieee_mode 1
		.amdhsa_fp16_overflow 0
		.amdhsa_tg_split 0
		.amdhsa_exception_fp_ieee_invalid_op 0
		.amdhsa_exception_fp_denorm_src 0
		.amdhsa_exception_fp_ieee_div_zero 0
		.amdhsa_exception_fp_ieee_overflow 0
		.amdhsa_exception_fp_ieee_underflow 0
		.amdhsa_exception_fp_ieee_inexact 0
		.amdhsa_exception_int_div_zero 0
	.end_amdhsa_kernel
	.section	.text._ZN7rocprim17ROCPRIM_400000_NS6detail17trampoline_kernelINS0_14default_configENS1_25partition_config_selectorILNS1_17partition_subalgoE0EiNS0_10empty_typeEbEEZZNS1_14partition_implILS5_0ELb0ES3_jN6thrust23THRUST_200600_302600_NS10device_ptrIiEEPS6_SD_NS0_5tupleIJSC_SC_EEENSE_IJSD_SD_EEES6_PlJ7is_evenIiEEEE10hipError_tPvRmT3_T4_T5_T6_T7_T9_mT8_P12ihipStream_tbDpT10_ENKUlT_T0_E_clISt17integral_constantIbLb1EES12_IbLb0EEEEDaSY_SZ_EUlSY_E_NS1_11comp_targetILNS1_3genE10ELNS1_11target_archE1200ELNS1_3gpuE4ELNS1_3repE0EEENS1_30default_config_static_selectorELNS0_4arch9wavefront6targetE1EEEvT1_,"axG",@progbits,_ZN7rocprim17ROCPRIM_400000_NS6detail17trampoline_kernelINS0_14default_configENS1_25partition_config_selectorILNS1_17partition_subalgoE0EiNS0_10empty_typeEbEEZZNS1_14partition_implILS5_0ELb0ES3_jN6thrust23THRUST_200600_302600_NS10device_ptrIiEEPS6_SD_NS0_5tupleIJSC_SC_EEENSE_IJSD_SD_EEES6_PlJ7is_evenIiEEEE10hipError_tPvRmT3_T4_T5_T6_T7_T9_mT8_P12ihipStream_tbDpT10_ENKUlT_T0_E_clISt17integral_constantIbLb1EES12_IbLb0EEEEDaSY_SZ_EUlSY_E_NS1_11comp_targetILNS1_3genE10ELNS1_11target_archE1200ELNS1_3gpuE4ELNS1_3repE0EEENS1_30default_config_static_selectorELNS0_4arch9wavefront6targetE1EEEvT1_,comdat
.Lfunc_end3715:
	.size	_ZN7rocprim17ROCPRIM_400000_NS6detail17trampoline_kernelINS0_14default_configENS1_25partition_config_selectorILNS1_17partition_subalgoE0EiNS0_10empty_typeEbEEZZNS1_14partition_implILS5_0ELb0ES3_jN6thrust23THRUST_200600_302600_NS10device_ptrIiEEPS6_SD_NS0_5tupleIJSC_SC_EEENSE_IJSD_SD_EEES6_PlJ7is_evenIiEEEE10hipError_tPvRmT3_T4_T5_T6_T7_T9_mT8_P12ihipStream_tbDpT10_ENKUlT_T0_E_clISt17integral_constantIbLb1EES12_IbLb0EEEEDaSY_SZ_EUlSY_E_NS1_11comp_targetILNS1_3genE10ELNS1_11target_archE1200ELNS1_3gpuE4ELNS1_3repE0EEENS1_30default_config_static_selectorELNS0_4arch9wavefront6targetE1EEEvT1_, .Lfunc_end3715-_ZN7rocprim17ROCPRIM_400000_NS6detail17trampoline_kernelINS0_14default_configENS1_25partition_config_selectorILNS1_17partition_subalgoE0EiNS0_10empty_typeEbEEZZNS1_14partition_implILS5_0ELb0ES3_jN6thrust23THRUST_200600_302600_NS10device_ptrIiEEPS6_SD_NS0_5tupleIJSC_SC_EEENSE_IJSD_SD_EEES6_PlJ7is_evenIiEEEE10hipError_tPvRmT3_T4_T5_T6_T7_T9_mT8_P12ihipStream_tbDpT10_ENKUlT_T0_E_clISt17integral_constantIbLb1EES12_IbLb0EEEEDaSY_SZ_EUlSY_E_NS1_11comp_targetILNS1_3genE10ELNS1_11target_archE1200ELNS1_3gpuE4ELNS1_3repE0EEENS1_30default_config_static_selectorELNS0_4arch9wavefront6targetE1EEEvT1_
                                        ; -- End function
	.section	.AMDGPU.csdata,"",@progbits
; Kernel info:
; codeLenInByte = 0
; NumSgprs: 6
; NumVgprs: 0
; NumAgprs: 0
; TotalNumVgprs: 0
; ScratchSize: 0
; MemoryBound: 0
; FloatMode: 240
; IeeeMode: 1
; LDSByteSize: 0 bytes/workgroup (compile time only)
; SGPRBlocks: 0
; VGPRBlocks: 0
; NumSGPRsForWavesPerEU: 6
; NumVGPRsForWavesPerEU: 1
; AccumOffset: 4
; Occupancy: 8
; WaveLimiterHint : 0
; COMPUTE_PGM_RSRC2:SCRATCH_EN: 0
; COMPUTE_PGM_RSRC2:USER_SGPR: 2
; COMPUTE_PGM_RSRC2:TRAP_HANDLER: 0
; COMPUTE_PGM_RSRC2:TGID_X_EN: 1
; COMPUTE_PGM_RSRC2:TGID_Y_EN: 0
; COMPUTE_PGM_RSRC2:TGID_Z_EN: 0
; COMPUTE_PGM_RSRC2:TIDIG_COMP_CNT: 0
; COMPUTE_PGM_RSRC3_GFX90A:ACCUM_OFFSET: 0
; COMPUTE_PGM_RSRC3_GFX90A:TG_SPLIT: 0
	.section	.text._ZN7rocprim17ROCPRIM_400000_NS6detail17trampoline_kernelINS0_14default_configENS1_25partition_config_selectorILNS1_17partition_subalgoE0EiNS0_10empty_typeEbEEZZNS1_14partition_implILS5_0ELb0ES3_jN6thrust23THRUST_200600_302600_NS10device_ptrIiEEPS6_SD_NS0_5tupleIJSC_SC_EEENSE_IJSD_SD_EEES6_PlJ7is_evenIiEEEE10hipError_tPvRmT3_T4_T5_T6_T7_T9_mT8_P12ihipStream_tbDpT10_ENKUlT_T0_E_clISt17integral_constantIbLb1EES12_IbLb0EEEEDaSY_SZ_EUlSY_E_NS1_11comp_targetILNS1_3genE9ELNS1_11target_archE1100ELNS1_3gpuE3ELNS1_3repE0EEENS1_30default_config_static_selectorELNS0_4arch9wavefront6targetE1EEEvT1_,"axG",@progbits,_ZN7rocprim17ROCPRIM_400000_NS6detail17trampoline_kernelINS0_14default_configENS1_25partition_config_selectorILNS1_17partition_subalgoE0EiNS0_10empty_typeEbEEZZNS1_14partition_implILS5_0ELb0ES3_jN6thrust23THRUST_200600_302600_NS10device_ptrIiEEPS6_SD_NS0_5tupleIJSC_SC_EEENSE_IJSD_SD_EEES6_PlJ7is_evenIiEEEE10hipError_tPvRmT3_T4_T5_T6_T7_T9_mT8_P12ihipStream_tbDpT10_ENKUlT_T0_E_clISt17integral_constantIbLb1EES12_IbLb0EEEEDaSY_SZ_EUlSY_E_NS1_11comp_targetILNS1_3genE9ELNS1_11target_archE1100ELNS1_3gpuE3ELNS1_3repE0EEENS1_30default_config_static_selectorELNS0_4arch9wavefront6targetE1EEEvT1_,comdat
	.protected	_ZN7rocprim17ROCPRIM_400000_NS6detail17trampoline_kernelINS0_14default_configENS1_25partition_config_selectorILNS1_17partition_subalgoE0EiNS0_10empty_typeEbEEZZNS1_14partition_implILS5_0ELb0ES3_jN6thrust23THRUST_200600_302600_NS10device_ptrIiEEPS6_SD_NS0_5tupleIJSC_SC_EEENSE_IJSD_SD_EEES6_PlJ7is_evenIiEEEE10hipError_tPvRmT3_T4_T5_T6_T7_T9_mT8_P12ihipStream_tbDpT10_ENKUlT_T0_E_clISt17integral_constantIbLb1EES12_IbLb0EEEEDaSY_SZ_EUlSY_E_NS1_11comp_targetILNS1_3genE9ELNS1_11target_archE1100ELNS1_3gpuE3ELNS1_3repE0EEENS1_30default_config_static_selectorELNS0_4arch9wavefront6targetE1EEEvT1_ ; -- Begin function _ZN7rocprim17ROCPRIM_400000_NS6detail17trampoline_kernelINS0_14default_configENS1_25partition_config_selectorILNS1_17partition_subalgoE0EiNS0_10empty_typeEbEEZZNS1_14partition_implILS5_0ELb0ES3_jN6thrust23THRUST_200600_302600_NS10device_ptrIiEEPS6_SD_NS0_5tupleIJSC_SC_EEENSE_IJSD_SD_EEES6_PlJ7is_evenIiEEEE10hipError_tPvRmT3_T4_T5_T6_T7_T9_mT8_P12ihipStream_tbDpT10_ENKUlT_T0_E_clISt17integral_constantIbLb1EES12_IbLb0EEEEDaSY_SZ_EUlSY_E_NS1_11comp_targetILNS1_3genE9ELNS1_11target_archE1100ELNS1_3gpuE3ELNS1_3repE0EEENS1_30default_config_static_selectorELNS0_4arch9wavefront6targetE1EEEvT1_
	.globl	_ZN7rocprim17ROCPRIM_400000_NS6detail17trampoline_kernelINS0_14default_configENS1_25partition_config_selectorILNS1_17partition_subalgoE0EiNS0_10empty_typeEbEEZZNS1_14partition_implILS5_0ELb0ES3_jN6thrust23THRUST_200600_302600_NS10device_ptrIiEEPS6_SD_NS0_5tupleIJSC_SC_EEENSE_IJSD_SD_EEES6_PlJ7is_evenIiEEEE10hipError_tPvRmT3_T4_T5_T6_T7_T9_mT8_P12ihipStream_tbDpT10_ENKUlT_T0_E_clISt17integral_constantIbLb1EES12_IbLb0EEEEDaSY_SZ_EUlSY_E_NS1_11comp_targetILNS1_3genE9ELNS1_11target_archE1100ELNS1_3gpuE3ELNS1_3repE0EEENS1_30default_config_static_selectorELNS0_4arch9wavefront6targetE1EEEvT1_
	.p2align	8
	.type	_ZN7rocprim17ROCPRIM_400000_NS6detail17trampoline_kernelINS0_14default_configENS1_25partition_config_selectorILNS1_17partition_subalgoE0EiNS0_10empty_typeEbEEZZNS1_14partition_implILS5_0ELb0ES3_jN6thrust23THRUST_200600_302600_NS10device_ptrIiEEPS6_SD_NS0_5tupleIJSC_SC_EEENSE_IJSD_SD_EEES6_PlJ7is_evenIiEEEE10hipError_tPvRmT3_T4_T5_T6_T7_T9_mT8_P12ihipStream_tbDpT10_ENKUlT_T0_E_clISt17integral_constantIbLb1EES12_IbLb0EEEEDaSY_SZ_EUlSY_E_NS1_11comp_targetILNS1_3genE9ELNS1_11target_archE1100ELNS1_3gpuE3ELNS1_3repE0EEENS1_30default_config_static_selectorELNS0_4arch9wavefront6targetE1EEEvT1_,@function
_ZN7rocprim17ROCPRIM_400000_NS6detail17trampoline_kernelINS0_14default_configENS1_25partition_config_selectorILNS1_17partition_subalgoE0EiNS0_10empty_typeEbEEZZNS1_14partition_implILS5_0ELb0ES3_jN6thrust23THRUST_200600_302600_NS10device_ptrIiEEPS6_SD_NS0_5tupleIJSC_SC_EEENSE_IJSD_SD_EEES6_PlJ7is_evenIiEEEE10hipError_tPvRmT3_T4_T5_T6_T7_T9_mT8_P12ihipStream_tbDpT10_ENKUlT_T0_E_clISt17integral_constantIbLb1EES12_IbLb0EEEEDaSY_SZ_EUlSY_E_NS1_11comp_targetILNS1_3genE9ELNS1_11target_archE1100ELNS1_3gpuE3ELNS1_3repE0EEENS1_30default_config_static_selectorELNS0_4arch9wavefront6targetE1EEEvT1_: ; @_ZN7rocprim17ROCPRIM_400000_NS6detail17trampoline_kernelINS0_14default_configENS1_25partition_config_selectorILNS1_17partition_subalgoE0EiNS0_10empty_typeEbEEZZNS1_14partition_implILS5_0ELb0ES3_jN6thrust23THRUST_200600_302600_NS10device_ptrIiEEPS6_SD_NS0_5tupleIJSC_SC_EEENSE_IJSD_SD_EEES6_PlJ7is_evenIiEEEE10hipError_tPvRmT3_T4_T5_T6_T7_T9_mT8_P12ihipStream_tbDpT10_ENKUlT_T0_E_clISt17integral_constantIbLb1EES12_IbLb0EEEEDaSY_SZ_EUlSY_E_NS1_11comp_targetILNS1_3genE9ELNS1_11target_archE1100ELNS1_3gpuE3ELNS1_3repE0EEENS1_30default_config_static_selectorELNS0_4arch9wavefront6targetE1EEEvT1_
; %bb.0:
	.section	.rodata,"a",@progbits
	.p2align	6, 0x0
	.amdhsa_kernel _ZN7rocprim17ROCPRIM_400000_NS6detail17trampoline_kernelINS0_14default_configENS1_25partition_config_selectorILNS1_17partition_subalgoE0EiNS0_10empty_typeEbEEZZNS1_14partition_implILS5_0ELb0ES3_jN6thrust23THRUST_200600_302600_NS10device_ptrIiEEPS6_SD_NS0_5tupleIJSC_SC_EEENSE_IJSD_SD_EEES6_PlJ7is_evenIiEEEE10hipError_tPvRmT3_T4_T5_T6_T7_T9_mT8_P12ihipStream_tbDpT10_ENKUlT_T0_E_clISt17integral_constantIbLb1EES12_IbLb0EEEEDaSY_SZ_EUlSY_E_NS1_11comp_targetILNS1_3genE9ELNS1_11target_archE1100ELNS1_3gpuE3ELNS1_3repE0EEENS1_30default_config_static_selectorELNS0_4arch9wavefront6targetE1EEEvT1_
		.amdhsa_group_segment_fixed_size 0
		.amdhsa_private_segment_fixed_size 0
		.amdhsa_kernarg_size 120
		.amdhsa_user_sgpr_count 2
		.amdhsa_user_sgpr_dispatch_ptr 0
		.amdhsa_user_sgpr_queue_ptr 0
		.amdhsa_user_sgpr_kernarg_segment_ptr 1
		.amdhsa_user_sgpr_dispatch_id 0
		.amdhsa_user_sgpr_kernarg_preload_length 0
		.amdhsa_user_sgpr_kernarg_preload_offset 0
		.amdhsa_user_sgpr_private_segment_size 0
		.amdhsa_uses_dynamic_stack 0
		.amdhsa_enable_private_segment 0
		.amdhsa_system_sgpr_workgroup_id_x 1
		.amdhsa_system_sgpr_workgroup_id_y 0
		.amdhsa_system_sgpr_workgroup_id_z 0
		.amdhsa_system_sgpr_workgroup_info 0
		.amdhsa_system_vgpr_workitem_id 0
		.amdhsa_next_free_vgpr 1
		.amdhsa_next_free_sgpr 0
		.amdhsa_accum_offset 4
		.amdhsa_reserve_vcc 0
		.amdhsa_float_round_mode_32 0
		.amdhsa_float_round_mode_16_64 0
		.amdhsa_float_denorm_mode_32 3
		.amdhsa_float_denorm_mode_16_64 3
		.amdhsa_dx10_clamp 1
		.amdhsa_ieee_mode 1
		.amdhsa_fp16_overflow 0
		.amdhsa_tg_split 0
		.amdhsa_exception_fp_ieee_invalid_op 0
		.amdhsa_exception_fp_denorm_src 0
		.amdhsa_exception_fp_ieee_div_zero 0
		.amdhsa_exception_fp_ieee_overflow 0
		.amdhsa_exception_fp_ieee_underflow 0
		.amdhsa_exception_fp_ieee_inexact 0
		.amdhsa_exception_int_div_zero 0
	.end_amdhsa_kernel
	.section	.text._ZN7rocprim17ROCPRIM_400000_NS6detail17trampoline_kernelINS0_14default_configENS1_25partition_config_selectorILNS1_17partition_subalgoE0EiNS0_10empty_typeEbEEZZNS1_14partition_implILS5_0ELb0ES3_jN6thrust23THRUST_200600_302600_NS10device_ptrIiEEPS6_SD_NS0_5tupleIJSC_SC_EEENSE_IJSD_SD_EEES6_PlJ7is_evenIiEEEE10hipError_tPvRmT3_T4_T5_T6_T7_T9_mT8_P12ihipStream_tbDpT10_ENKUlT_T0_E_clISt17integral_constantIbLb1EES12_IbLb0EEEEDaSY_SZ_EUlSY_E_NS1_11comp_targetILNS1_3genE9ELNS1_11target_archE1100ELNS1_3gpuE3ELNS1_3repE0EEENS1_30default_config_static_selectorELNS0_4arch9wavefront6targetE1EEEvT1_,"axG",@progbits,_ZN7rocprim17ROCPRIM_400000_NS6detail17trampoline_kernelINS0_14default_configENS1_25partition_config_selectorILNS1_17partition_subalgoE0EiNS0_10empty_typeEbEEZZNS1_14partition_implILS5_0ELb0ES3_jN6thrust23THRUST_200600_302600_NS10device_ptrIiEEPS6_SD_NS0_5tupleIJSC_SC_EEENSE_IJSD_SD_EEES6_PlJ7is_evenIiEEEE10hipError_tPvRmT3_T4_T5_T6_T7_T9_mT8_P12ihipStream_tbDpT10_ENKUlT_T0_E_clISt17integral_constantIbLb1EES12_IbLb0EEEEDaSY_SZ_EUlSY_E_NS1_11comp_targetILNS1_3genE9ELNS1_11target_archE1100ELNS1_3gpuE3ELNS1_3repE0EEENS1_30default_config_static_selectorELNS0_4arch9wavefront6targetE1EEEvT1_,comdat
.Lfunc_end3716:
	.size	_ZN7rocprim17ROCPRIM_400000_NS6detail17trampoline_kernelINS0_14default_configENS1_25partition_config_selectorILNS1_17partition_subalgoE0EiNS0_10empty_typeEbEEZZNS1_14partition_implILS5_0ELb0ES3_jN6thrust23THRUST_200600_302600_NS10device_ptrIiEEPS6_SD_NS0_5tupleIJSC_SC_EEENSE_IJSD_SD_EEES6_PlJ7is_evenIiEEEE10hipError_tPvRmT3_T4_T5_T6_T7_T9_mT8_P12ihipStream_tbDpT10_ENKUlT_T0_E_clISt17integral_constantIbLb1EES12_IbLb0EEEEDaSY_SZ_EUlSY_E_NS1_11comp_targetILNS1_3genE9ELNS1_11target_archE1100ELNS1_3gpuE3ELNS1_3repE0EEENS1_30default_config_static_selectorELNS0_4arch9wavefront6targetE1EEEvT1_, .Lfunc_end3716-_ZN7rocprim17ROCPRIM_400000_NS6detail17trampoline_kernelINS0_14default_configENS1_25partition_config_selectorILNS1_17partition_subalgoE0EiNS0_10empty_typeEbEEZZNS1_14partition_implILS5_0ELb0ES3_jN6thrust23THRUST_200600_302600_NS10device_ptrIiEEPS6_SD_NS0_5tupleIJSC_SC_EEENSE_IJSD_SD_EEES6_PlJ7is_evenIiEEEE10hipError_tPvRmT3_T4_T5_T6_T7_T9_mT8_P12ihipStream_tbDpT10_ENKUlT_T0_E_clISt17integral_constantIbLb1EES12_IbLb0EEEEDaSY_SZ_EUlSY_E_NS1_11comp_targetILNS1_3genE9ELNS1_11target_archE1100ELNS1_3gpuE3ELNS1_3repE0EEENS1_30default_config_static_selectorELNS0_4arch9wavefront6targetE1EEEvT1_
                                        ; -- End function
	.section	.AMDGPU.csdata,"",@progbits
; Kernel info:
; codeLenInByte = 0
; NumSgprs: 6
; NumVgprs: 0
; NumAgprs: 0
; TotalNumVgprs: 0
; ScratchSize: 0
; MemoryBound: 0
; FloatMode: 240
; IeeeMode: 1
; LDSByteSize: 0 bytes/workgroup (compile time only)
; SGPRBlocks: 0
; VGPRBlocks: 0
; NumSGPRsForWavesPerEU: 6
; NumVGPRsForWavesPerEU: 1
; AccumOffset: 4
; Occupancy: 8
; WaveLimiterHint : 0
; COMPUTE_PGM_RSRC2:SCRATCH_EN: 0
; COMPUTE_PGM_RSRC2:USER_SGPR: 2
; COMPUTE_PGM_RSRC2:TRAP_HANDLER: 0
; COMPUTE_PGM_RSRC2:TGID_X_EN: 1
; COMPUTE_PGM_RSRC2:TGID_Y_EN: 0
; COMPUTE_PGM_RSRC2:TGID_Z_EN: 0
; COMPUTE_PGM_RSRC2:TIDIG_COMP_CNT: 0
; COMPUTE_PGM_RSRC3_GFX90A:ACCUM_OFFSET: 0
; COMPUTE_PGM_RSRC3_GFX90A:TG_SPLIT: 0
	.section	.text._ZN7rocprim17ROCPRIM_400000_NS6detail17trampoline_kernelINS0_14default_configENS1_25partition_config_selectorILNS1_17partition_subalgoE0EiNS0_10empty_typeEbEEZZNS1_14partition_implILS5_0ELb0ES3_jN6thrust23THRUST_200600_302600_NS10device_ptrIiEEPS6_SD_NS0_5tupleIJSC_SC_EEENSE_IJSD_SD_EEES6_PlJ7is_evenIiEEEE10hipError_tPvRmT3_T4_T5_T6_T7_T9_mT8_P12ihipStream_tbDpT10_ENKUlT_T0_E_clISt17integral_constantIbLb1EES12_IbLb0EEEEDaSY_SZ_EUlSY_E_NS1_11comp_targetILNS1_3genE8ELNS1_11target_archE1030ELNS1_3gpuE2ELNS1_3repE0EEENS1_30default_config_static_selectorELNS0_4arch9wavefront6targetE1EEEvT1_,"axG",@progbits,_ZN7rocprim17ROCPRIM_400000_NS6detail17trampoline_kernelINS0_14default_configENS1_25partition_config_selectorILNS1_17partition_subalgoE0EiNS0_10empty_typeEbEEZZNS1_14partition_implILS5_0ELb0ES3_jN6thrust23THRUST_200600_302600_NS10device_ptrIiEEPS6_SD_NS0_5tupleIJSC_SC_EEENSE_IJSD_SD_EEES6_PlJ7is_evenIiEEEE10hipError_tPvRmT3_T4_T5_T6_T7_T9_mT8_P12ihipStream_tbDpT10_ENKUlT_T0_E_clISt17integral_constantIbLb1EES12_IbLb0EEEEDaSY_SZ_EUlSY_E_NS1_11comp_targetILNS1_3genE8ELNS1_11target_archE1030ELNS1_3gpuE2ELNS1_3repE0EEENS1_30default_config_static_selectorELNS0_4arch9wavefront6targetE1EEEvT1_,comdat
	.protected	_ZN7rocprim17ROCPRIM_400000_NS6detail17trampoline_kernelINS0_14default_configENS1_25partition_config_selectorILNS1_17partition_subalgoE0EiNS0_10empty_typeEbEEZZNS1_14partition_implILS5_0ELb0ES3_jN6thrust23THRUST_200600_302600_NS10device_ptrIiEEPS6_SD_NS0_5tupleIJSC_SC_EEENSE_IJSD_SD_EEES6_PlJ7is_evenIiEEEE10hipError_tPvRmT3_T4_T5_T6_T7_T9_mT8_P12ihipStream_tbDpT10_ENKUlT_T0_E_clISt17integral_constantIbLb1EES12_IbLb0EEEEDaSY_SZ_EUlSY_E_NS1_11comp_targetILNS1_3genE8ELNS1_11target_archE1030ELNS1_3gpuE2ELNS1_3repE0EEENS1_30default_config_static_selectorELNS0_4arch9wavefront6targetE1EEEvT1_ ; -- Begin function _ZN7rocprim17ROCPRIM_400000_NS6detail17trampoline_kernelINS0_14default_configENS1_25partition_config_selectorILNS1_17partition_subalgoE0EiNS0_10empty_typeEbEEZZNS1_14partition_implILS5_0ELb0ES3_jN6thrust23THRUST_200600_302600_NS10device_ptrIiEEPS6_SD_NS0_5tupleIJSC_SC_EEENSE_IJSD_SD_EEES6_PlJ7is_evenIiEEEE10hipError_tPvRmT3_T4_T5_T6_T7_T9_mT8_P12ihipStream_tbDpT10_ENKUlT_T0_E_clISt17integral_constantIbLb1EES12_IbLb0EEEEDaSY_SZ_EUlSY_E_NS1_11comp_targetILNS1_3genE8ELNS1_11target_archE1030ELNS1_3gpuE2ELNS1_3repE0EEENS1_30default_config_static_selectorELNS0_4arch9wavefront6targetE1EEEvT1_
	.globl	_ZN7rocprim17ROCPRIM_400000_NS6detail17trampoline_kernelINS0_14default_configENS1_25partition_config_selectorILNS1_17partition_subalgoE0EiNS0_10empty_typeEbEEZZNS1_14partition_implILS5_0ELb0ES3_jN6thrust23THRUST_200600_302600_NS10device_ptrIiEEPS6_SD_NS0_5tupleIJSC_SC_EEENSE_IJSD_SD_EEES6_PlJ7is_evenIiEEEE10hipError_tPvRmT3_T4_T5_T6_T7_T9_mT8_P12ihipStream_tbDpT10_ENKUlT_T0_E_clISt17integral_constantIbLb1EES12_IbLb0EEEEDaSY_SZ_EUlSY_E_NS1_11comp_targetILNS1_3genE8ELNS1_11target_archE1030ELNS1_3gpuE2ELNS1_3repE0EEENS1_30default_config_static_selectorELNS0_4arch9wavefront6targetE1EEEvT1_
	.p2align	8
	.type	_ZN7rocprim17ROCPRIM_400000_NS6detail17trampoline_kernelINS0_14default_configENS1_25partition_config_selectorILNS1_17partition_subalgoE0EiNS0_10empty_typeEbEEZZNS1_14partition_implILS5_0ELb0ES3_jN6thrust23THRUST_200600_302600_NS10device_ptrIiEEPS6_SD_NS0_5tupleIJSC_SC_EEENSE_IJSD_SD_EEES6_PlJ7is_evenIiEEEE10hipError_tPvRmT3_T4_T5_T6_T7_T9_mT8_P12ihipStream_tbDpT10_ENKUlT_T0_E_clISt17integral_constantIbLb1EES12_IbLb0EEEEDaSY_SZ_EUlSY_E_NS1_11comp_targetILNS1_3genE8ELNS1_11target_archE1030ELNS1_3gpuE2ELNS1_3repE0EEENS1_30default_config_static_selectorELNS0_4arch9wavefront6targetE1EEEvT1_,@function
_ZN7rocprim17ROCPRIM_400000_NS6detail17trampoline_kernelINS0_14default_configENS1_25partition_config_selectorILNS1_17partition_subalgoE0EiNS0_10empty_typeEbEEZZNS1_14partition_implILS5_0ELb0ES3_jN6thrust23THRUST_200600_302600_NS10device_ptrIiEEPS6_SD_NS0_5tupleIJSC_SC_EEENSE_IJSD_SD_EEES6_PlJ7is_evenIiEEEE10hipError_tPvRmT3_T4_T5_T6_T7_T9_mT8_P12ihipStream_tbDpT10_ENKUlT_T0_E_clISt17integral_constantIbLb1EES12_IbLb0EEEEDaSY_SZ_EUlSY_E_NS1_11comp_targetILNS1_3genE8ELNS1_11target_archE1030ELNS1_3gpuE2ELNS1_3repE0EEENS1_30default_config_static_selectorELNS0_4arch9wavefront6targetE1EEEvT1_: ; @_ZN7rocprim17ROCPRIM_400000_NS6detail17trampoline_kernelINS0_14default_configENS1_25partition_config_selectorILNS1_17partition_subalgoE0EiNS0_10empty_typeEbEEZZNS1_14partition_implILS5_0ELb0ES3_jN6thrust23THRUST_200600_302600_NS10device_ptrIiEEPS6_SD_NS0_5tupleIJSC_SC_EEENSE_IJSD_SD_EEES6_PlJ7is_evenIiEEEE10hipError_tPvRmT3_T4_T5_T6_T7_T9_mT8_P12ihipStream_tbDpT10_ENKUlT_T0_E_clISt17integral_constantIbLb1EES12_IbLb0EEEEDaSY_SZ_EUlSY_E_NS1_11comp_targetILNS1_3genE8ELNS1_11target_archE1030ELNS1_3gpuE2ELNS1_3repE0EEENS1_30default_config_static_selectorELNS0_4arch9wavefront6targetE1EEEvT1_
; %bb.0:
	.section	.rodata,"a",@progbits
	.p2align	6, 0x0
	.amdhsa_kernel _ZN7rocprim17ROCPRIM_400000_NS6detail17trampoline_kernelINS0_14default_configENS1_25partition_config_selectorILNS1_17partition_subalgoE0EiNS0_10empty_typeEbEEZZNS1_14partition_implILS5_0ELb0ES3_jN6thrust23THRUST_200600_302600_NS10device_ptrIiEEPS6_SD_NS0_5tupleIJSC_SC_EEENSE_IJSD_SD_EEES6_PlJ7is_evenIiEEEE10hipError_tPvRmT3_T4_T5_T6_T7_T9_mT8_P12ihipStream_tbDpT10_ENKUlT_T0_E_clISt17integral_constantIbLb1EES12_IbLb0EEEEDaSY_SZ_EUlSY_E_NS1_11comp_targetILNS1_3genE8ELNS1_11target_archE1030ELNS1_3gpuE2ELNS1_3repE0EEENS1_30default_config_static_selectorELNS0_4arch9wavefront6targetE1EEEvT1_
		.amdhsa_group_segment_fixed_size 0
		.amdhsa_private_segment_fixed_size 0
		.amdhsa_kernarg_size 120
		.amdhsa_user_sgpr_count 2
		.amdhsa_user_sgpr_dispatch_ptr 0
		.amdhsa_user_sgpr_queue_ptr 0
		.amdhsa_user_sgpr_kernarg_segment_ptr 1
		.amdhsa_user_sgpr_dispatch_id 0
		.amdhsa_user_sgpr_kernarg_preload_length 0
		.amdhsa_user_sgpr_kernarg_preload_offset 0
		.amdhsa_user_sgpr_private_segment_size 0
		.amdhsa_uses_dynamic_stack 0
		.amdhsa_enable_private_segment 0
		.amdhsa_system_sgpr_workgroup_id_x 1
		.amdhsa_system_sgpr_workgroup_id_y 0
		.amdhsa_system_sgpr_workgroup_id_z 0
		.amdhsa_system_sgpr_workgroup_info 0
		.amdhsa_system_vgpr_workitem_id 0
		.amdhsa_next_free_vgpr 1
		.amdhsa_next_free_sgpr 0
		.amdhsa_accum_offset 4
		.amdhsa_reserve_vcc 0
		.amdhsa_float_round_mode_32 0
		.amdhsa_float_round_mode_16_64 0
		.amdhsa_float_denorm_mode_32 3
		.amdhsa_float_denorm_mode_16_64 3
		.amdhsa_dx10_clamp 1
		.amdhsa_ieee_mode 1
		.amdhsa_fp16_overflow 0
		.amdhsa_tg_split 0
		.amdhsa_exception_fp_ieee_invalid_op 0
		.amdhsa_exception_fp_denorm_src 0
		.amdhsa_exception_fp_ieee_div_zero 0
		.amdhsa_exception_fp_ieee_overflow 0
		.amdhsa_exception_fp_ieee_underflow 0
		.amdhsa_exception_fp_ieee_inexact 0
		.amdhsa_exception_int_div_zero 0
	.end_amdhsa_kernel
	.section	.text._ZN7rocprim17ROCPRIM_400000_NS6detail17trampoline_kernelINS0_14default_configENS1_25partition_config_selectorILNS1_17partition_subalgoE0EiNS0_10empty_typeEbEEZZNS1_14partition_implILS5_0ELb0ES3_jN6thrust23THRUST_200600_302600_NS10device_ptrIiEEPS6_SD_NS0_5tupleIJSC_SC_EEENSE_IJSD_SD_EEES6_PlJ7is_evenIiEEEE10hipError_tPvRmT3_T4_T5_T6_T7_T9_mT8_P12ihipStream_tbDpT10_ENKUlT_T0_E_clISt17integral_constantIbLb1EES12_IbLb0EEEEDaSY_SZ_EUlSY_E_NS1_11comp_targetILNS1_3genE8ELNS1_11target_archE1030ELNS1_3gpuE2ELNS1_3repE0EEENS1_30default_config_static_selectorELNS0_4arch9wavefront6targetE1EEEvT1_,"axG",@progbits,_ZN7rocprim17ROCPRIM_400000_NS6detail17trampoline_kernelINS0_14default_configENS1_25partition_config_selectorILNS1_17partition_subalgoE0EiNS0_10empty_typeEbEEZZNS1_14partition_implILS5_0ELb0ES3_jN6thrust23THRUST_200600_302600_NS10device_ptrIiEEPS6_SD_NS0_5tupleIJSC_SC_EEENSE_IJSD_SD_EEES6_PlJ7is_evenIiEEEE10hipError_tPvRmT3_T4_T5_T6_T7_T9_mT8_P12ihipStream_tbDpT10_ENKUlT_T0_E_clISt17integral_constantIbLb1EES12_IbLb0EEEEDaSY_SZ_EUlSY_E_NS1_11comp_targetILNS1_3genE8ELNS1_11target_archE1030ELNS1_3gpuE2ELNS1_3repE0EEENS1_30default_config_static_selectorELNS0_4arch9wavefront6targetE1EEEvT1_,comdat
.Lfunc_end3717:
	.size	_ZN7rocprim17ROCPRIM_400000_NS6detail17trampoline_kernelINS0_14default_configENS1_25partition_config_selectorILNS1_17partition_subalgoE0EiNS0_10empty_typeEbEEZZNS1_14partition_implILS5_0ELb0ES3_jN6thrust23THRUST_200600_302600_NS10device_ptrIiEEPS6_SD_NS0_5tupleIJSC_SC_EEENSE_IJSD_SD_EEES6_PlJ7is_evenIiEEEE10hipError_tPvRmT3_T4_T5_T6_T7_T9_mT8_P12ihipStream_tbDpT10_ENKUlT_T0_E_clISt17integral_constantIbLb1EES12_IbLb0EEEEDaSY_SZ_EUlSY_E_NS1_11comp_targetILNS1_3genE8ELNS1_11target_archE1030ELNS1_3gpuE2ELNS1_3repE0EEENS1_30default_config_static_selectorELNS0_4arch9wavefront6targetE1EEEvT1_, .Lfunc_end3717-_ZN7rocprim17ROCPRIM_400000_NS6detail17trampoline_kernelINS0_14default_configENS1_25partition_config_selectorILNS1_17partition_subalgoE0EiNS0_10empty_typeEbEEZZNS1_14partition_implILS5_0ELb0ES3_jN6thrust23THRUST_200600_302600_NS10device_ptrIiEEPS6_SD_NS0_5tupleIJSC_SC_EEENSE_IJSD_SD_EEES6_PlJ7is_evenIiEEEE10hipError_tPvRmT3_T4_T5_T6_T7_T9_mT8_P12ihipStream_tbDpT10_ENKUlT_T0_E_clISt17integral_constantIbLb1EES12_IbLb0EEEEDaSY_SZ_EUlSY_E_NS1_11comp_targetILNS1_3genE8ELNS1_11target_archE1030ELNS1_3gpuE2ELNS1_3repE0EEENS1_30default_config_static_selectorELNS0_4arch9wavefront6targetE1EEEvT1_
                                        ; -- End function
	.section	.AMDGPU.csdata,"",@progbits
; Kernel info:
; codeLenInByte = 0
; NumSgprs: 6
; NumVgprs: 0
; NumAgprs: 0
; TotalNumVgprs: 0
; ScratchSize: 0
; MemoryBound: 0
; FloatMode: 240
; IeeeMode: 1
; LDSByteSize: 0 bytes/workgroup (compile time only)
; SGPRBlocks: 0
; VGPRBlocks: 0
; NumSGPRsForWavesPerEU: 6
; NumVGPRsForWavesPerEU: 1
; AccumOffset: 4
; Occupancy: 8
; WaveLimiterHint : 0
; COMPUTE_PGM_RSRC2:SCRATCH_EN: 0
; COMPUTE_PGM_RSRC2:USER_SGPR: 2
; COMPUTE_PGM_RSRC2:TRAP_HANDLER: 0
; COMPUTE_PGM_RSRC2:TGID_X_EN: 1
; COMPUTE_PGM_RSRC2:TGID_Y_EN: 0
; COMPUTE_PGM_RSRC2:TGID_Z_EN: 0
; COMPUTE_PGM_RSRC2:TIDIG_COMP_CNT: 0
; COMPUTE_PGM_RSRC3_GFX90A:ACCUM_OFFSET: 0
; COMPUTE_PGM_RSRC3_GFX90A:TG_SPLIT: 0
	.section	.text._ZN7rocprim17ROCPRIM_400000_NS6detail17trampoline_kernelINS0_14default_configENS1_25partition_config_selectorILNS1_17partition_subalgoE0EiNS0_10empty_typeEbEEZZNS1_14partition_implILS5_0ELb0ES3_jN6thrust23THRUST_200600_302600_NS10device_ptrIiEEPS6_SD_NS0_5tupleIJSC_SC_EEENSE_IJSD_SD_EEES6_PlJ7is_evenIiEEEE10hipError_tPvRmT3_T4_T5_T6_T7_T9_mT8_P12ihipStream_tbDpT10_ENKUlT_T0_E_clISt17integral_constantIbLb0EES12_IbLb1EEEEDaSY_SZ_EUlSY_E_NS1_11comp_targetILNS1_3genE0ELNS1_11target_archE4294967295ELNS1_3gpuE0ELNS1_3repE0EEENS1_30default_config_static_selectorELNS0_4arch9wavefront6targetE1EEEvT1_,"axG",@progbits,_ZN7rocprim17ROCPRIM_400000_NS6detail17trampoline_kernelINS0_14default_configENS1_25partition_config_selectorILNS1_17partition_subalgoE0EiNS0_10empty_typeEbEEZZNS1_14partition_implILS5_0ELb0ES3_jN6thrust23THRUST_200600_302600_NS10device_ptrIiEEPS6_SD_NS0_5tupleIJSC_SC_EEENSE_IJSD_SD_EEES6_PlJ7is_evenIiEEEE10hipError_tPvRmT3_T4_T5_T6_T7_T9_mT8_P12ihipStream_tbDpT10_ENKUlT_T0_E_clISt17integral_constantIbLb0EES12_IbLb1EEEEDaSY_SZ_EUlSY_E_NS1_11comp_targetILNS1_3genE0ELNS1_11target_archE4294967295ELNS1_3gpuE0ELNS1_3repE0EEENS1_30default_config_static_selectorELNS0_4arch9wavefront6targetE1EEEvT1_,comdat
	.protected	_ZN7rocprim17ROCPRIM_400000_NS6detail17trampoline_kernelINS0_14default_configENS1_25partition_config_selectorILNS1_17partition_subalgoE0EiNS0_10empty_typeEbEEZZNS1_14partition_implILS5_0ELb0ES3_jN6thrust23THRUST_200600_302600_NS10device_ptrIiEEPS6_SD_NS0_5tupleIJSC_SC_EEENSE_IJSD_SD_EEES6_PlJ7is_evenIiEEEE10hipError_tPvRmT3_T4_T5_T6_T7_T9_mT8_P12ihipStream_tbDpT10_ENKUlT_T0_E_clISt17integral_constantIbLb0EES12_IbLb1EEEEDaSY_SZ_EUlSY_E_NS1_11comp_targetILNS1_3genE0ELNS1_11target_archE4294967295ELNS1_3gpuE0ELNS1_3repE0EEENS1_30default_config_static_selectorELNS0_4arch9wavefront6targetE1EEEvT1_ ; -- Begin function _ZN7rocprim17ROCPRIM_400000_NS6detail17trampoline_kernelINS0_14default_configENS1_25partition_config_selectorILNS1_17partition_subalgoE0EiNS0_10empty_typeEbEEZZNS1_14partition_implILS5_0ELb0ES3_jN6thrust23THRUST_200600_302600_NS10device_ptrIiEEPS6_SD_NS0_5tupleIJSC_SC_EEENSE_IJSD_SD_EEES6_PlJ7is_evenIiEEEE10hipError_tPvRmT3_T4_T5_T6_T7_T9_mT8_P12ihipStream_tbDpT10_ENKUlT_T0_E_clISt17integral_constantIbLb0EES12_IbLb1EEEEDaSY_SZ_EUlSY_E_NS1_11comp_targetILNS1_3genE0ELNS1_11target_archE4294967295ELNS1_3gpuE0ELNS1_3repE0EEENS1_30default_config_static_selectorELNS0_4arch9wavefront6targetE1EEEvT1_
	.globl	_ZN7rocprim17ROCPRIM_400000_NS6detail17trampoline_kernelINS0_14default_configENS1_25partition_config_selectorILNS1_17partition_subalgoE0EiNS0_10empty_typeEbEEZZNS1_14partition_implILS5_0ELb0ES3_jN6thrust23THRUST_200600_302600_NS10device_ptrIiEEPS6_SD_NS0_5tupleIJSC_SC_EEENSE_IJSD_SD_EEES6_PlJ7is_evenIiEEEE10hipError_tPvRmT3_T4_T5_T6_T7_T9_mT8_P12ihipStream_tbDpT10_ENKUlT_T0_E_clISt17integral_constantIbLb0EES12_IbLb1EEEEDaSY_SZ_EUlSY_E_NS1_11comp_targetILNS1_3genE0ELNS1_11target_archE4294967295ELNS1_3gpuE0ELNS1_3repE0EEENS1_30default_config_static_selectorELNS0_4arch9wavefront6targetE1EEEvT1_
	.p2align	8
	.type	_ZN7rocprim17ROCPRIM_400000_NS6detail17trampoline_kernelINS0_14default_configENS1_25partition_config_selectorILNS1_17partition_subalgoE0EiNS0_10empty_typeEbEEZZNS1_14partition_implILS5_0ELb0ES3_jN6thrust23THRUST_200600_302600_NS10device_ptrIiEEPS6_SD_NS0_5tupleIJSC_SC_EEENSE_IJSD_SD_EEES6_PlJ7is_evenIiEEEE10hipError_tPvRmT3_T4_T5_T6_T7_T9_mT8_P12ihipStream_tbDpT10_ENKUlT_T0_E_clISt17integral_constantIbLb0EES12_IbLb1EEEEDaSY_SZ_EUlSY_E_NS1_11comp_targetILNS1_3genE0ELNS1_11target_archE4294967295ELNS1_3gpuE0ELNS1_3repE0EEENS1_30default_config_static_selectorELNS0_4arch9wavefront6targetE1EEEvT1_,@function
_ZN7rocprim17ROCPRIM_400000_NS6detail17trampoline_kernelINS0_14default_configENS1_25partition_config_selectorILNS1_17partition_subalgoE0EiNS0_10empty_typeEbEEZZNS1_14partition_implILS5_0ELb0ES3_jN6thrust23THRUST_200600_302600_NS10device_ptrIiEEPS6_SD_NS0_5tupleIJSC_SC_EEENSE_IJSD_SD_EEES6_PlJ7is_evenIiEEEE10hipError_tPvRmT3_T4_T5_T6_T7_T9_mT8_P12ihipStream_tbDpT10_ENKUlT_T0_E_clISt17integral_constantIbLb0EES12_IbLb1EEEEDaSY_SZ_EUlSY_E_NS1_11comp_targetILNS1_3genE0ELNS1_11target_archE4294967295ELNS1_3gpuE0ELNS1_3repE0EEENS1_30default_config_static_selectorELNS0_4arch9wavefront6targetE1EEEvT1_: ; @_ZN7rocprim17ROCPRIM_400000_NS6detail17trampoline_kernelINS0_14default_configENS1_25partition_config_selectorILNS1_17partition_subalgoE0EiNS0_10empty_typeEbEEZZNS1_14partition_implILS5_0ELb0ES3_jN6thrust23THRUST_200600_302600_NS10device_ptrIiEEPS6_SD_NS0_5tupleIJSC_SC_EEENSE_IJSD_SD_EEES6_PlJ7is_evenIiEEEE10hipError_tPvRmT3_T4_T5_T6_T7_T9_mT8_P12ihipStream_tbDpT10_ENKUlT_T0_E_clISt17integral_constantIbLb0EES12_IbLb1EEEEDaSY_SZ_EUlSY_E_NS1_11comp_targetILNS1_3genE0ELNS1_11target_archE4294967295ELNS1_3gpuE0ELNS1_3repE0EEENS1_30default_config_static_selectorELNS0_4arch9wavefront6targetE1EEEvT1_
; %bb.0:
	.section	.rodata,"a",@progbits
	.p2align	6, 0x0
	.amdhsa_kernel _ZN7rocprim17ROCPRIM_400000_NS6detail17trampoline_kernelINS0_14default_configENS1_25partition_config_selectorILNS1_17partition_subalgoE0EiNS0_10empty_typeEbEEZZNS1_14partition_implILS5_0ELb0ES3_jN6thrust23THRUST_200600_302600_NS10device_ptrIiEEPS6_SD_NS0_5tupleIJSC_SC_EEENSE_IJSD_SD_EEES6_PlJ7is_evenIiEEEE10hipError_tPvRmT3_T4_T5_T6_T7_T9_mT8_P12ihipStream_tbDpT10_ENKUlT_T0_E_clISt17integral_constantIbLb0EES12_IbLb1EEEEDaSY_SZ_EUlSY_E_NS1_11comp_targetILNS1_3genE0ELNS1_11target_archE4294967295ELNS1_3gpuE0ELNS1_3repE0EEENS1_30default_config_static_selectorELNS0_4arch9wavefront6targetE1EEEvT1_
		.amdhsa_group_segment_fixed_size 0
		.amdhsa_private_segment_fixed_size 0
		.amdhsa_kernarg_size 136
		.amdhsa_user_sgpr_count 2
		.amdhsa_user_sgpr_dispatch_ptr 0
		.amdhsa_user_sgpr_queue_ptr 0
		.amdhsa_user_sgpr_kernarg_segment_ptr 1
		.amdhsa_user_sgpr_dispatch_id 0
		.amdhsa_user_sgpr_kernarg_preload_length 0
		.amdhsa_user_sgpr_kernarg_preload_offset 0
		.amdhsa_user_sgpr_private_segment_size 0
		.amdhsa_uses_dynamic_stack 0
		.amdhsa_enable_private_segment 0
		.amdhsa_system_sgpr_workgroup_id_x 1
		.amdhsa_system_sgpr_workgroup_id_y 0
		.amdhsa_system_sgpr_workgroup_id_z 0
		.amdhsa_system_sgpr_workgroup_info 0
		.amdhsa_system_vgpr_workitem_id 0
		.amdhsa_next_free_vgpr 1
		.amdhsa_next_free_sgpr 0
		.amdhsa_accum_offset 4
		.amdhsa_reserve_vcc 0
		.amdhsa_float_round_mode_32 0
		.amdhsa_float_round_mode_16_64 0
		.amdhsa_float_denorm_mode_32 3
		.amdhsa_float_denorm_mode_16_64 3
		.amdhsa_dx10_clamp 1
		.amdhsa_ieee_mode 1
		.amdhsa_fp16_overflow 0
		.amdhsa_tg_split 0
		.amdhsa_exception_fp_ieee_invalid_op 0
		.amdhsa_exception_fp_denorm_src 0
		.amdhsa_exception_fp_ieee_div_zero 0
		.amdhsa_exception_fp_ieee_overflow 0
		.amdhsa_exception_fp_ieee_underflow 0
		.amdhsa_exception_fp_ieee_inexact 0
		.amdhsa_exception_int_div_zero 0
	.end_amdhsa_kernel
	.section	.text._ZN7rocprim17ROCPRIM_400000_NS6detail17trampoline_kernelINS0_14default_configENS1_25partition_config_selectorILNS1_17partition_subalgoE0EiNS0_10empty_typeEbEEZZNS1_14partition_implILS5_0ELb0ES3_jN6thrust23THRUST_200600_302600_NS10device_ptrIiEEPS6_SD_NS0_5tupleIJSC_SC_EEENSE_IJSD_SD_EEES6_PlJ7is_evenIiEEEE10hipError_tPvRmT3_T4_T5_T6_T7_T9_mT8_P12ihipStream_tbDpT10_ENKUlT_T0_E_clISt17integral_constantIbLb0EES12_IbLb1EEEEDaSY_SZ_EUlSY_E_NS1_11comp_targetILNS1_3genE0ELNS1_11target_archE4294967295ELNS1_3gpuE0ELNS1_3repE0EEENS1_30default_config_static_selectorELNS0_4arch9wavefront6targetE1EEEvT1_,"axG",@progbits,_ZN7rocprim17ROCPRIM_400000_NS6detail17trampoline_kernelINS0_14default_configENS1_25partition_config_selectorILNS1_17partition_subalgoE0EiNS0_10empty_typeEbEEZZNS1_14partition_implILS5_0ELb0ES3_jN6thrust23THRUST_200600_302600_NS10device_ptrIiEEPS6_SD_NS0_5tupleIJSC_SC_EEENSE_IJSD_SD_EEES6_PlJ7is_evenIiEEEE10hipError_tPvRmT3_T4_T5_T6_T7_T9_mT8_P12ihipStream_tbDpT10_ENKUlT_T0_E_clISt17integral_constantIbLb0EES12_IbLb1EEEEDaSY_SZ_EUlSY_E_NS1_11comp_targetILNS1_3genE0ELNS1_11target_archE4294967295ELNS1_3gpuE0ELNS1_3repE0EEENS1_30default_config_static_selectorELNS0_4arch9wavefront6targetE1EEEvT1_,comdat
.Lfunc_end3718:
	.size	_ZN7rocprim17ROCPRIM_400000_NS6detail17trampoline_kernelINS0_14default_configENS1_25partition_config_selectorILNS1_17partition_subalgoE0EiNS0_10empty_typeEbEEZZNS1_14partition_implILS5_0ELb0ES3_jN6thrust23THRUST_200600_302600_NS10device_ptrIiEEPS6_SD_NS0_5tupleIJSC_SC_EEENSE_IJSD_SD_EEES6_PlJ7is_evenIiEEEE10hipError_tPvRmT3_T4_T5_T6_T7_T9_mT8_P12ihipStream_tbDpT10_ENKUlT_T0_E_clISt17integral_constantIbLb0EES12_IbLb1EEEEDaSY_SZ_EUlSY_E_NS1_11comp_targetILNS1_3genE0ELNS1_11target_archE4294967295ELNS1_3gpuE0ELNS1_3repE0EEENS1_30default_config_static_selectorELNS0_4arch9wavefront6targetE1EEEvT1_, .Lfunc_end3718-_ZN7rocprim17ROCPRIM_400000_NS6detail17trampoline_kernelINS0_14default_configENS1_25partition_config_selectorILNS1_17partition_subalgoE0EiNS0_10empty_typeEbEEZZNS1_14partition_implILS5_0ELb0ES3_jN6thrust23THRUST_200600_302600_NS10device_ptrIiEEPS6_SD_NS0_5tupleIJSC_SC_EEENSE_IJSD_SD_EEES6_PlJ7is_evenIiEEEE10hipError_tPvRmT3_T4_T5_T6_T7_T9_mT8_P12ihipStream_tbDpT10_ENKUlT_T0_E_clISt17integral_constantIbLb0EES12_IbLb1EEEEDaSY_SZ_EUlSY_E_NS1_11comp_targetILNS1_3genE0ELNS1_11target_archE4294967295ELNS1_3gpuE0ELNS1_3repE0EEENS1_30default_config_static_selectorELNS0_4arch9wavefront6targetE1EEEvT1_
                                        ; -- End function
	.section	.AMDGPU.csdata,"",@progbits
; Kernel info:
; codeLenInByte = 0
; NumSgprs: 6
; NumVgprs: 0
; NumAgprs: 0
; TotalNumVgprs: 0
; ScratchSize: 0
; MemoryBound: 0
; FloatMode: 240
; IeeeMode: 1
; LDSByteSize: 0 bytes/workgroup (compile time only)
; SGPRBlocks: 0
; VGPRBlocks: 0
; NumSGPRsForWavesPerEU: 6
; NumVGPRsForWavesPerEU: 1
; AccumOffset: 4
; Occupancy: 8
; WaveLimiterHint : 0
; COMPUTE_PGM_RSRC2:SCRATCH_EN: 0
; COMPUTE_PGM_RSRC2:USER_SGPR: 2
; COMPUTE_PGM_RSRC2:TRAP_HANDLER: 0
; COMPUTE_PGM_RSRC2:TGID_X_EN: 1
; COMPUTE_PGM_RSRC2:TGID_Y_EN: 0
; COMPUTE_PGM_RSRC2:TGID_Z_EN: 0
; COMPUTE_PGM_RSRC2:TIDIG_COMP_CNT: 0
; COMPUTE_PGM_RSRC3_GFX90A:ACCUM_OFFSET: 0
; COMPUTE_PGM_RSRC3_GFX90A:TG_SPLIT: 0
	.section	.text._ZN7rocprim17ROCPRIM_400000_NS6detail17trampoline_kernelINS0_14default_configENS1_25partition_config_selectorILNS1_17partition_subalgoE0EiNS0_10empty_typeEbEEZZNS1_14partition_implILS5_0ELb0ES3_jN6thrust23THRUST_200600_302600_NS10device_ptrIiEEPS6_SD_NS0_5tupleIJSC_SC_EEENSE_IJSD_SD_EEES6_PlJ7is_evenIiEEEE10hipError_tPvRmT3_T4_T5_T6_T7_T9_mT8_P12ihipStream_tbDpT10_ENKUlT_T0_E_clISt17integral_constantIbLb0EES12_IbLb1EEEEDaSY_SZ_EUlSY_E_NS1_11comp_targetILNS1_3genE5ELNS1_11target_archE942ELNS1_3gpuE9ELNS1_3repE0EEENS1_30default_config_static_selectorELNS0_4arch9wavefront6targetE1EEEvT1_,"axG",@progbits,_ZN7rocprim17ROCPRIM_400000_NS6detail17trampoline_kernelINS0_14default_configENS1_25partition_config_selectorILNS1_17partition_subalgoE0EiNS0_10empty_typeEbEEZZNS1_14partition_implILS5_0ELb0ES3_jN6thrust23THRUST_200600_302600_NS10device_ptrIiEEPS6_SD_NS0_5tupleIJSC_SC_EEENSE_IJSD_SD_EEES6_PlJ7is_evenIiEEEE10hipError_tPvRmT3_T4_T5_T6_T7_T9_mT8_P12ihipStream_tbDpT10_ENKUlT_T0_E_clISt17integral_constantIbLb0EES12_IbLb1EEEEDaSY_SZ_EUlSY_E_NS1_11comp_targetILNS1_3genE5ELNS1_11target_archE942ELNS1_3gpuE9ELNS1_3repE0EEENS1_30default_config_static_selectorELNS0_4arch9wavefront6targetE1EEEvT1_,comdat
	.protected	_ZN7rocprim17ROCPRIM_400000_NS6detail17trampoline_kernelINS0_14default_configENS1_25partition_config_selectorILNS1_17partition_subalgoE0EiNS0_10empty_typeEbEEZZNS1_14partition_implILS5_0ELb0ES3_jN6thrust23THRUST_200600_302600_NS10device_ptrIiEEPS6_SD_NS0_5tupleIJSC_SC_EEENSE_IJSD_SD_EEES6_PlJ7is_evenIiEEEE10hipError_tPvRmT3_T4_T5_T6_T7_T9_mT8_P12ihipStream_tbDpT10_ENKUlT_T0_E_clISt17integral_constantIbLb0EES12_IbLb1EEEEDaSY_SZ_EUlSY_E_NS1_11comp_targetILNS1_3genE5ELNS1_11target_archE942ELNS1_3gpuE9ELNS1_3repE0EEENS1_30default_config_static_selectorELNS0_4arch9wavefront6targetE1EEEvT1_ ; -- Begin function _ZN7rocprim17ROCPRIM_400000_NS6detail17trampoline_kernelINS0_14default_configENS1_25partition_config_selectorILNS1_17partition_subalgoE0EiNS0_10empty_typeEbEEZZNS1_14partition_implILS5_0ELb0ES3_jN6thrust23THRUST_200600_302600_NS10device_ptrIiEEPS6_SD_NS0_5tupleIJSC_SC_EEENSE_IJSD_SD_EEES6_PlJ7is_evenIiEEEE10hipError_tPvRmT3_T4_T5_T6_T7_T9_mT8_P12ihipStream_tbDpT10_ENKUlT_T0_E_clISt17integral_constantIbLb0EES12_IbLb1EEEEDaSY_SZ_EUlSY_E_NS1_11comp_targetILNS1_3genE5ELNS1_11target_archE942ELNS1_3gpuE9ELNS1_3repE0EEENS1_30default_config_static_selectorELNS0_4arch9wavefront6targetE1EEEvT1_
	.globl	_ZN7rocprim17ROCPRIM_400000_NS6detail17trampoline_kernelINS0_14default_configENS1_25partition_config_selectorILNS1_17partition_subalgoE0EiNS0_10empty_typeEbEEZZNS1_14partition_implILS5_0ELb0ES3_jN6thrust23THRUST_200600_302600_NS10device_ptrIiEEPS6_SD_NS0_5tupleIJSC_SC_EEENSE_IJSD_SD_EEES6_PlJ7is_evenIiEEEE10hipError_tPvRmT3_T4_T5_T6_T7_T9_mT8_P12ihipStream_tbDpT10_ENKUlT_T0_E_clISt17integral_constantIbLb0EES12_IbLb1EEEEDaSY_SZ_EUlSY_E_NS1_11comp_targetILNS1_3genE5ELNS1_11target_archE942ELNS1_3gpuE9ELNS1_3repE0EEENS1_30default_config_static_selectorELNS0_4arch9wavefront6targetE1EEEvT1_
	.p2align	8
	.type	_ZN7rocprim17ROCPRIM_400000_NS6detail17trampoline_kernelINS0_14default_configENS1_25partition_config_selectorILNS1_17partition_subalgoE0EiNS0_10empty_typeEbEEZZNS1_14partition_implILS5_0ELb0ES3_jN6thrust23THRUST_200600_302600_NS10device_ptrIiEEPS6_SD_NS0_5tupleIJSC_SC_EEENSE_IJSD_SD_EEES6_PlJ7is_evenIiEEEE10hipError_tPvRmT3_T4_T5_T6_T7_T9_mT8_P12ihipStream_tbDpT10_ENKUlT_T0_E_clISt17integral_constantIbLb0EES12_IbLb1EEEEDaSY_SZ_EUlSY_E_NS1_11comp_targetILNS1_3genE5ELNS1_11target_archE942ELNS1_3gpuE9ELNS1_3repE0EEENS1_30default_config_static_selectorELNS0_4arch9wavefront6targetE1EEEvT1_,@function
_ZN7rocprim17ROCPRIM_400000_NS6detail17trampoline_kernelINS0_14default_configENS1_25partition_config_selectorILNS1_17partition_subalgoE0EiNS0_10empty_typeEbEEZZNS1_14partition_implILS5_0ELb0ES3_jN6thrust23THRUST_200600_302600_NS10device_ptrIiEEPS6_SD_NS0_5tupleIJSC_SC_EEENSE_IJSD_SD_EEES6_PlJ7is_evenIiEEEE10hipError_tPvRmT3_T4_T5_T6_T7_T9_mT8_P12ihipStream_tbDpT10_ENKUlT_T0_E_clISt17integral_constantIbLb0EES12_IbLb1EEEEDaSY_SZ_EUlSY_E_NS1_11comp_targetILNS1_3genE5ELNS1_11target_archE942ELNS1_3gpuE9ELNS1_3repE0EEENS1_30default_config_static_selectorELNS0_4arch9wavefront6targetE1EEEvT1_: ; @_ZN7rocprim17ROCPRIM_400000_NS6detail17trampoline_kernelINS0_14default_configENS1_25partition_config_selectorILNS1_17partition_subalgoE0EiNS0_10empty_typeEbEEZZNS1_14partition_implILS5_0ELb0ES3_jN6thrust23THRUST_200600_302600_NS10device_ptrIiEEPS6_SD_NS0_5tupleIJSC_SC_EEENSE_IJSD_SD_EEES6_PlJ7is_evenIiEEEE10hipError_tPvRmT3_T4_T5_T6_T7_T9_mT8_P12ihipStream_tbDpT10_ENKUlT_T0_E_clISt17integral_constantIbLb0EES12_IbLb1EEEEDaSY_SZ_EUlSY_E_NS1_11comp_targetILNS1_3genE5ELNS1_11target_archE942ELNS1_3gpuE9ELNS1_3repE0EEENS1_30default_config_static_selectorELNS0_4arch9wavefront6targetE1EEEvT1_
; %bb.0:
	s_load_dwordx2 s[2:3], s[0:1], 0x58
	s_load_dwordx4 s[24:27], s[0:1], 0x48
	s_load_dwordx2 s[34:35], s[0:1], 0x68
	v_cmp_eq_u32_e64 s[20:21], 0, v0
	s_and_saveexec_b64 s[4:5], s[20:21]
	s_cbranch_execz .LBB3719_4
; %bb.1:
	s_mov_b64 s[8:9], exec
	v_mbcnt_lo_u32_b32 v1, s8, 0
	v_mbcnt_hi_u32_b32 v1, s9, v1
	v_cmp_eq_u32_e32 vcc, 0, v1
                                        ; implicit-def: $vgpr2
	s_and_saveexec_b64 s[6:7], vcc
	s_cbranch_execz .LBB3719_3
; %bb.2:
	s_load_dwordx2 s[10:11], s[0:1], 0x78
	s_bcnt1_i32_b64 s8, s[8:9]
	v_mov_b32_e32 v2, 0
	v_mov_b32_e32 v3, s8
	s_waitcnt lgkmcnt(0)
	global_atomic_add v2, v2, v3, s[10:11] sc0
.LBB3719_3:
	s_or_b64 exec, exec, s[6:7]
	s_waitcnt vmcnt(0)
	v_readfirstlane_b32 s6, v2
	v_mov_b32_e32 v2, 0
	s_nop 0
	v_add_u32_e32 v1, s6, v1
	ds_write_b32 v2, v1
.LBB3719_4:
	s_or_b64 exec, exec, s[4:5]
	v_mov_b32_e32 v19, 0
	s_load_dwordx4 s[36:39], s[0:1], 0x8
	s_load_dwordx4 s[28:31], s[0:1], 0x28
	s_load_dword s4, s[0:1], 0x70
	s_waitcnt lgkmcnt(0)
	s_barrier
	ds_read_b32 v1, v19
	s_waitcnt lgkmcnt(0)
	s_barrier
	global_load_dwordx2 v[20:21], v19, s[26:27]
	v_mov_b32_e32 v3, s3
	s_lshl_b64 s[0:1], s[38:39], 2
	s_movk_i32 s3, 0x1e00
	s_add_u32 s0, s36, s0
	v_mul_lo_u32 v18, v1, s3
	s_mul_i32 s3, s4, 0x1e00
	s_addc_u32 s1, s37, s1
	s_add_i32 s5, s4, -1
	s_add_i32 s4, s3, s38
	s_sub_i32 s33, s2, s4
	s_addk_i32 s33, 0x1e00
	v_mov_b32_e32 v2, s2
	s_add_u32 s2, s38, s3
	v_readfirstlane_b32 s40, v1
	s_addc_u32 s3, s39, 0
	s_cmp_eq_u32 s40, s5
	s_cselect_b64 s[22:23], -1, 0
	s_cmp_lg_u32 s40, s5
	v_cmp_lt_u64_e32 vcc, s[2:3], v[2:3]
	s_cselect_b64 s[2:3], -1, 0
	s_or_b64 s[4:5], vcc, s[2:3]
	v_lshlrev_b64 v[22:23], 2, v[18:19]
	v_lshl_add_u64 v[24:25], s[0:1], 0, v[22:23]
	s_mov_b64 s[0:1], -1
	s_and_b64 vcc, exec, s[4:5]
	v_lshlrev_b32_e32 v18, 2, v0
	s_cbranch_vccz .LBB3719_6
; %bb.5:
	v_lshl_add_u64 v[2:3], v[24:25], 0, v[18:19]
	v_add_co_u32_e32 v4, vcc, 0x1000, v2
	s_mov_b64 s[0:1], 0
	s_nop 0
	v_addc_co_u32_e32 v5, vcc, 0, v3, vcc
	v_add_co_u32_e32 v6, vcc, 0x2000, v2
	s_nop 1
	v_addc_co_u32_e32 v7, vcc, 0, v3, vcc
	v_add_co_u32_e32 v8, vcc, 0x3000, v2
	s_nop 1
	v_addc_co_u32_e32 v9, vcc, 0, v3, vcc
	flat_load_dword v1, v[2:3]
	flat_load_dword v10, v[2:3] offset:2048
	flat_load_dword v11, v[4:5]
	flat_load_dword v12, v[4:5] offset:2048
	flat_load_dword v13, v[6:7]
	flat_load_dword v14, v[6:7] offset:2048
	flat_load_dword v15, v[8:9]
	flat_load_dword v16, v[8:9] offset:2048
	v_add_co_u32_e32 v4, vcc, 0x4000, v2
	s_nop 1
	v_addc_co_u32_e32 v5, vcc, 0, v3, vcc
	v_add_co_u32_e32 v6, vcc, 0x5000, v2
	s_nop 1
	v_addc_co_u32_e32 v7, vcc, 0, v3, vcc
	;; [unrolled: 3-line block ×4, first 2 shown]
	flat_load_dword v17, v[4:5]
	flat_load_dword v19, v[4:5] offset:2048
	flat_load_dword v26, v[6:7]
	flat_load_dword v27, v[6:7] offset:2048
	;; [unrolled: 2-line block ×3, first 2 shown]
	flat_load_dword v30, v[2:3]
	s_waitcnt vmcnt(0) lgkmcnt(0)
	ds_write2st64_b32 v18, v1, v10 offset1:8
	ds_write2st64_b32 v18, v11, v12 offset0:16 offset1:24
	ds_write2st64_b32 v18, v13, v14 offset0:32 offset1:40
	;; [unrolled: 1-line block ×6, first 2 shown]
	ds_write_b32 v18, v30 offset:28672
	s_waitcnt lgkmcnt(0)
	s_barrier
.LBB3719_6:
	s_andn2_b64 vcc, exec, s[0:1]
	v_cmp_gt_u32_e64 s[0:1], s33, v0
	s_cbranch_vccnz .LBB3719_38
; %bb.7:
                                        ; implicit-def: $vgpr2_vgpr3_vgpr4_vgpr5_vgpr6_vgpr7_vgpr8_vgpr9_vgpr10_vgpr11_vgpr12_vgpr13_vgpr14_vgpr15_vgpr16_vgpr17
	s_and_saveexec_b64 s[2:3], s[0:1]
	s_cbranch_execz .LBB3719_9
; %bb.8:
	v_mov_b32_e32 v19, 0
	v_lshl_add_u64 v[2:3], v[24:25], 0, v[18:19]
	flat_load_dword v2, v[2:3]
.LBB3719_9:
	s_or_b64 exec, exec, s[2:3]
	v_or_b32_e32 v1, 0x200, v0
	v_cmp_gt_u32_e32 vcc, s33, v1
	s_and_saveexec_b64 s[0:1], vcc
	s_cbranch_execz .LBB3719_11
; %bb.10:
	v_mov_b32_e32 v19, 0
	v_lshl_add_u64 v[26:27], v[24:25], 0, v[18:19]
	flat_load_dword v3, v[26:27] offset:2048
.LBB3719_11:
	s_or_b64 exec, exec, s[0:1]
	v_or_b32_e32 v1, 0x400, v0
	v_cmp_gt_u32_e32 vcc, s33, v1
	s_and_saveexec_b64 s[0:1], vcc
	s_cbranch_execz .LBB3719_13
; %bb.12:
	v_lshlrev_b32_e32 v26, 2, v1
	v_mov_b32_e32 v27, 0
	v_lshl_add_u64 v[26:27], v[24:25], 0, v[26:27]
	flat_load_dword v4, v[26:27]
.LBB3719_13:
	s_or_b64 exec, exec, s[0:1]
	v_or_b32_e32 v1, 0x600, v0
	v_cmp_gt_u32_e32 vcc, s33, v1
	s_and_saveexec_b64 s[0:1], vcc
	s_cbranch_execz .LBB3719_15
; %bb.14:
	v_lshlrev_b32_e32 v26, 2, v1
	v_mov_b32_e32 v27, 0
	v_lshl_add_u64 v[26:27], v[24:25], 0, v[26:27]
	flat_load_dword v5, v[26:27]
.LBB3719_15:
	;; [unrolled: 11-line block ×13, first 2 shown]
	s_or_b64 exec, exec, s[0:1]
	s_waitcnt vmcnt(0) lgkmcnt(0)
	ds_write2st64_b32 v18, v2, v3 offset1:8
	ds_write2st64_b32 v18, v4, v5 offset0:16 offset1:24
	ds_write2st64_b32 v18, v6, v7 offset0:32 offset1:40
	ds_write2st64_b32 v18, v8, v9 offset0:48 offset1:56
	ds_write2st64_b32 v18, v10, v11 offset0:64 offset1:72
	ds_write2st64_b32 v18, v12, v13 offset0:80 offset1:88
	ds_write2st64_b32 v18, v14, v15 offset0:96 offset1:104
	ds_write_b32 v18, v16 offset:28672
	s_waitcnt lgkmcnt(0)
	s_barrier
.LBB3719_38:
	v_mul_u32_u24_e32 v42, 15, v0
	v_lshlrev_b32_e32 v1, 2, v42
	ds_read2_b32 v[36:37], v1 offset1:1
	ds_read2_b32 v[34:35], v1 offset0:2 offset1:3
	ds_read2_b32 v[32:33], v1 offset0:4 offset1:5
	;; [unrolled: 1-line block ×6, first 2 shown]
	ds_read_b32 v1, v1 offset:56
	v_cndmask_b32_e64 v2, 0, 1, s[4:5]
	v_cmp_ne_u32_e64 s[2:3], 1, v2
	s_andn2_b64 vcc, exec, s[4:5]
	s_waitcnt lgkmcnt(7)
	v_xor_b32_e32 v16, -1, v36
	v_xor_b32_e32 v15, -1, v37
	s_waitcnt lgkmcnt(6)
	v_xor_b32_e32 v14, -1, v34
	v_xor_b32_e32 v13, -1, v35
	;; [unrolled: 3-line block ×7, first 2 shown]
	s_waitcnt lgkmcnt(0)
	v_xor_b32_e32 v2, -1, v1
	s_barrier
	s_cbranch_vccnz .LBB3719_40
; %bb.39:
	v_and_b32_e32 v55, 1, v16
	v_and_b32_e32 v54, 1, v15
	;; [unrolled: 1-line block ×15, first 2 shown]
	s_cbranch_execz .LBB3719_41
	s_branch .LBB3719_42
.LBB3719_40:
                                        ; implicit-def: $vgpr19
                                        ; implicit-def: $vgpr41
                                        ; implicit-def: $vgpr43
                                        ; implicit-def: $vgpr44
                                        ; implicit-def: $vgpr45
                                        ; implicit-def: $vgpr46
                                        ; implicit-def: $vgpr47
                                        ; implicit-def: $vgpr48
                                        ; implicit-def: $vgpr49
                                        ; implicit-def: $vgpr55
                                        ; implicit-def: $vgpr54
                                        ; implicit-def: $vgpr53
                                        ; implicit-def: $vgpr52
                                        ; implicit-def: $vgpr51
                                        ; implicit-def: $vgpr50
.LBB3719_41:
	v_add_u32_e32 v48, 1, v42
	v_cmp_gt_u32_e32 vcc, s33, v42
	v_add_u32_e32 v17, 2, v42
	v_add_u32_e32 v47, 3, v42
	v_cndmask_b32_e64 v49, 0, 1, vcc
	v_cmp_gt_u32_e32 vcc, s33, v48
	v_and_b32_e32 v55, v49, v16
	v_add_u32_e32 v19, 4, v42
	v_cndmask_b32_e64 v16, 0, 1, vcc
	v_cmp_gt_u32_e32 vcc, s33, v17
	v_and_b32_e32 v54, v16, v15
	;; [unrolled: 4-line block ×12, first 2 shown]
	s_nop 0
	v_cndmask_b32_e64 v5, 0, 1, vcc
	v_cmp_gt_u32_e32 vcc, s33, v57
	v_and_b32_e32 v43, v5, v4
	s_nop 0
	v_cndmask_b32_e64 v4, 0, 1, vcc
	v_cmp_gt_u32_e32 vcc, s33, v56
	v_and_b32_e32 v41, v4, v3
	s_nop 0
	v_cndmask_b32_e64 v3, 0, 1, vcc
	v_and_b32_e32 v19, v3, v2
.LBB3719_42:
	v_and_b32_e32 v59, 0xff, v52
	v_and_b32_e32 v60, 0xff, v51
	;; [unrolled: 1-line block ×5, first 2 shown]
	v_add3_u32 v3, v60, v61, v59
	v_and_b32_e32 v56, 0xff, v55
	v_and_b32_e32 v62, 0xff, v49
	v_add3_u32 v3, v3, v58, v57
	v_and_b32_e32 v63, 0xff, v48
	v_and_b32_e32 v64, 0xff, v47
	;; [unrolled: 3-line block ×5, first 2 shown]
	v_add3_u32 v3, v3, v67, v68
	v_add3_u32 v72, v3, v69, v2
	v_mbcnt_lo_u32_b32 v2, -1, 0
	v_mbcnt_hi_u32_b32 v70, -1, v2
	v_and_b32_e32 v2, 15, v70
	v_cmp_eq_u32_e64 s[16:17], 0, v2
	v_cmp_lt_u32_e64 s[14:15], 1, v2
	v_cmp_lt_u32_e64 s[12:13], 3, v2
	;; [unrolled: 1-line block ×3, first 2 shown]
	v_and_b32_e32 v2, 16, v70
	v_cmp_eq_u32_e64 s[8:9], 0, v2
	v_or_b32_e32 v2, 63, v0
	s_cmp_lg_u32 s40, 0
	v_cmp_lt_u32_e64 s[4:5], 31, v70
	v_lshrrev_b32_e32 v71, 6, v0
	v_cmp_eq_u32_e64 s[6:7], v2, v0
	s_cbranch_scc0 .LBB3719_69
; %bb.43:
	v_mov_b32_dpp v2, v72 row_shr:1 row_mask:0xf bank_mask:0xf
	v_cndmask_b32_e64 v2, v2, 0, s[16:17]
	v_add_u32_e32 v2, v2, v72
	s_nop 1
	v_mov_b32_dpp v3, v2 row_shr:2 row_mask:0xf bank_mask:0xf
	v_cndmask_b32_e64 v3, 0, v3, s[14:15]
	v_add_u32_e32 v2, v2, v3
	s_nop 1
	;; [unrolled: 4-line block ×4, first 2 shown]
	v_mov_b32_dpp v3, v2 row_bcast:15 row_mask:0xf bank_mask:0xf
	v_cndmask_b32_e64 v3, v3, 0, s[8:9]
	v_add_u32_e32 v2, v2, v3
	s_nop 1
	v_mov_b32_dpp v3, v2 row_bcast:31 row_mask:0xf bank_mask:0xf
	v_cndmask_b32_e64 v3, 0, v3, s[4:5]
	v_add_u32_e32 v2, v2, v3
	s_and_saveexec_b64 s[0:1], s[6:7]
	s_cbranch_execz .LBB3719_45
; %bb.44:
	v_lshlrev_b32_e32 v3, 2, v71
	ds_write_b32 v3, v2
.LBB3719_45:
	s_or_b64 exec, exec, s[0:1]
	v_cmp_gt_u32_e32 vcc, 8, v0
	s_waitcnt lgkmcnt(0)
	s_barrier
	s_and_saveexec_b64 s[0:1], vcc
	s_cbranch_execz .LBB3719_47
; %bb.46:
	ds_read_b32 v3, v18
	v_and_b32_e32 v4, 7, v70
	v_cmp_ne_u32_e32 vcc, 0, v4
	s_waitcnt lgkmcnt(0)
	v_mov_b32_dpp v5, v3 row_shr:1 row_mask:0xf bank_mask:0xf
	v_cndmask_b32_e32 v5, 0, v5, vcc
	v_add_u32_e32 v3, v5, v3
	v_cmp_lt_u32_e32 vcc, 1, v4
	s_nop 0
	v_mov_b32_dpp v5, v3 row_shr:2 row_mask:0xf bank_mask:0xf
	v_cndmask_b32_e32 v5, 0, v5, vcc
	v_add_u32_e32 v3, v3, v5
	v_cmp_lt_u32_e32 vcc, 3, v4
	s_nop 0
	v_mov_b32_dpp v5, v3 row_shr:4 row_mask:0xf bank_mask:0xf
	v_cndmask_b32_e32 v4, 0, v5, vcc
	v_add_u32_e32 v3, v3, v4
	ds_write_b32 v18, v3
.LBB3719_47:
	s_or_b64 exec, exec, s[0:1]
	v_cmp_gt_u32_e32 vcc, 64, v0
	v_cmp_lt_u32_e64 s[0:1], 63, v0
	s_waitcnt lgkmcnt(0)
	s_barrier
	s_waitcnt lgkmcnt(0)
                                        ; implicit-def: $vgpr12
	s_and_saveexec_b64 s[18:19], s[0:1]
	s_cbranch_execz .LBB3719_49
; %bb.48:
	v_lshl_add_u32 v3, v71, 2, -4
	ds_read_b32 v12, v3
	s_waitcnt lgkmcnt(0)
	v_add_u32_e32 v2, v12, v2
.LBB3719_49:
	s_or_b64 exec, exec, s[18:19]
	v_add_u32_e32 v3, -1, v70
	v_and_b32_e32 v4, 64, v70
	v_cmp_lt_i32_e64 s[0:1], v3, v4
	v_cmp_eq_u32_e64 s[18:19], 0, v70
	s_nop 0
	v_cndmask_b32_e64 v3, v3, v70, s[0:1]
	v_lshlrev_b32_e32 v3, 2, v3
	ds_bpermute_b32 v13, v3, v2
	s_and_saveexec_b64 s[0:1], vcc
	s_cbranch_execz .LBB3719_68
; %bb.50:
	v_mov_b32_e32 v9, 0
	ds_read_b32 v2, v9 offset:28
	s_and_saveexec_b64 s[26:27], s[18:19]
	s_cbranch_execz .LBB3719_52
; %bb.51:
	s_add_i32 s36, s40, 64
	s_mov_b32 s37, 0
	s_lshl_b64 s[36:37], s[36:37], 3
	s_add_u32 s36, s34, s36
	v_mov_b32_e32 v3, 1
	s_addc_u32 s37, s35, s37
	s_waitcnt lgkmcnt(0)
	global_store_dwordx2 v9, v[2:3], s[36:37] sc1
.LBB3719_52:
	s_or_b64 exec, exec, s[26:27]
	v_xad_u32 v4, v70, -1, s40
	v_add_u32_e32 v8, 64, v4
	v_lshl_add_u64 v[10:11], v[8:9], 3, s[34:35]
	global_load_dwordx2 v[6:7], v[10:11], off sc1
	s_waitcnt vmcnt(0)
	v_cmp_eq_u16_sdwa s[36:37], v7, v9 src0_sel:BYTE_0 src1_sel:DWORD
	s_and_saveexec_b64 s[26:27], s[36:37]
	s_cbranch_execz .LBB3719_56
; %bb.53:
	s_mov_b64 s[36:37], 0
	v_mov_b32_e32 v3, 0
.LBB3719_54:                            ; =>This Inner Loop Header: Depth=1
	global_load_dwordx2 v[6:7], v[10:11], off sc1
	s_waitcnt vmcnt(0)
	v_cmp_ne_u16_sdwa s[42:43], v7, v3 src0_sel:BYTE_0 src1_sel:DWORD
	s_or_b64 s[36:37], s[42:43], s[36:37]
	s_andn2_b64 exec, exec, s[36:37]
	s_cbranch_execnz .LBB3719_54
; %bb.55:
	s_or_b64 exec, exec, s[36:37]
.LBB3719_56:
	s_or_b64 exec, exec, s[26:27]
	v_and_b32_e32 v15, 63, v70
	v_mov_b32_e32 v14, 2
	v_cmp_ne_u32_e32 vcc, 63, v15
	v_cmp_eq_u16_sdwa s[26:27], v7, v14 src0_sel:BYTE_0 src1_sel:DWORD
	v_lshlrev_b64 v[8:9], v70, -1
	v_addc_co_u32_e32 v10, vcc, 0, v70, vcc
	v_and_b32_e32 v3, s27, v9
	v_lshlrev_b32_e32 v16, 2, v10
	v_or_b32_e32 v3, 0x80000000, v3
	ds_bpermute_b32 v10, v16, v6
	v_and_b32_e32 v5, s26, v8
	v_ffbl_b32_e32 v3, v3
	v_add_u32_e32 v3, 32, v3
	v_ffbl_b32_e32 v5, v5
	v_min_u32_e32 v3, v5, v3
	v_cmp_lt_u32_e32 vcc, v15, v3
	v_add_u32_e32 v38, 2, v15
	v_add_u32_e32 v40, 4, v15
	s_waitcnt lgkmcnt(0)
	v_cndmask_b32_e32 v5, 0, v10, vcc
	v_cmp_gt_u32_e32 vcc, 62, v15
	v_add_u32_e32 v5, v5, v6
	v_add_u32_e32 v74, 8, v15
	v_cndmask_b32_e64 v6, 0, 1, vcc
	v_lshlrev_b32_e32 v6, 1, v6
	v_add_lshl_u32 v17, v6, v70, 2
	ds_bpermute_b32 v6, v17, v5
	v_cmp_le_u32_e32 vcc, v38, v3
	v_add_u32_e32 v76, 16, v15
	v_add_u32_e32 v78, 32, v15
	s_waitcnt lgkmcnt(0)
	v_cndmask_b32_e32 v6, 0, v6, vcc
	v_cmp_gt_u32_e32 vcc, 60, v15
	v_add_u32_e32 v5, v5, v6
	s_nop 0
	v_cndmask_b32_e64 v6, 0, 1, vcc
	v_lshlrev_b32_e32 v6, 2, v6
	v_add_lshl_u32 v39, v6, v70, 2
	ds_bpermute_b32 v6, v39, v5
	v_cmp_le_u32_e32 vcc, v40, v3
	s_waitcnt lgkmcnt(0)
	s_nop 0
	v_cndmask_b32_e32 v6, 0, v6, vcc
	v_cmp_gt_u32_e32 vcc, 56, v15
	v_add_u32_e32 v5, v5, v6
	s_nop 0
	v_cndmask_b32_e64 v6, 0, 1, vcc
	v_lshlrev_b32_e32 v6, 3, v6
	v_add_lshl_u32 v73, v6, v70, 2
	ds_bpermute_b32 v6, v73, v5
	v_cmp_le_u32_e32 vcc, v74, v3
	s_waitcnt lgkmcnt(0)
	s_nop 0
	;; [unrolled: 11-line block ×4, first 2 shown]
	v_cndmask_b32_e32 v3, 0, v6, vcc
	v_add_u32_e32 v6, v5, v3
	v_mov_b32_e32 v5, 0
	s_branch .LBB3719_58
.LBB3719_57:                            ;   in Loop: Header=BB3719_58 Depth=1
	s_or_b64 exec, exec, s[26:27]
	v_cmp_eq_u16_sdwa s[26:27], v7, v14 src0_sel:BYTE_0 src1_sel:DWORD
	ds_bpermute_b32 v79, v16, v6
	v_subrev_u32_e32 v4, 64, v4
	v_and_b32_e32 v10, s27, v9
	v_or_b32_e32 v10, 0x80000000, v10
	v_and_b32_e32 v11, s26, v8
	v_ffbl_b32_e32 v10, v10
	v_add_u32_e32 v10, 32, v10
	v_ffbl_b32_e32 v11, v11
	v_min_u32_e32 v10, v11, v10
	v_cmp_lt_u32_e32 vcc, v15, v10
	s_waitcnt lgkmcnt(0)
	s_nop 0
	v_cndmask_b32_e32 v11, 0, v79, vcc
	v_add_u32_e32 v6, v11, v6
	ds_bpermute_b32 v11, v17, v6
	v_cmp_le_u32_e32 vcc, v38, v10
	s_waitcnt lgkmcnt(0)
	s_nop 0
	v_cndmask_b32_e32 v11, 0, v11, vcc
	v_add_u32_e32 v6, v6, v11
	ds_bpermute_b32 v11, v39, v6
	v_cmp_le_u32_e32 vcc, v40, v10
	s_waitcnt lgkmcnt(0)
	s_nop 0
	v_cndmask_b32_e32 v11, 0, v11, vcc
	v_add_u32_e32 v6, v6, v11
	ds_bpermute_b32 v11, v73, v6
	v_cmp_le_u32_e32 vcc, v74, v10
	s_waitcnt lgkmcnt(0)
	s_nop 0
	v_cndmask_b32_e32 v11, 0, v11, vcc
	v_add_u32_e32 v6, v6, v11
	ds_bpermute_b32 v11, v75, v6
	v_cmp_le_u32_e32 vcc, v76, v10
	s_waitcnt lgkmcnt(0)
	s_nop 0
	v_cndmask_b32_e32 v11, 0, v11, vcc
	v_add_u32_e32 v6, v6, v11
	ds_bpermute_b32 v11, v77, v6
	v_cmp_le_u32_e32 vcc, v78, v10
	s_waitcnt lgkmcnt(0)
	s_nop 0
	v_cndmask_b32_e32 v10, 0, v11, vcc
	v_add3_u32 v6, v10, v3, v6
.LBB3719_58:                            ; =>This Loop Header: Depth=1
                                        ;     Child Loop BB3719_61 Depth 2
	v_cmp_ne_u16_sdwa s[26:27], v7, v14 src0_sel:BYTE_0 src1_sel:DWORD
	s_nop 1
	v_cndmask_b32_e64 v3, 0, 1, s[26:27]
	;;#ASMSTART
	;;#ASMEND
	s_nop 0
	v_cmp_ne_u32_e32 vcc, 0, v3
	s_cmp_lg_u64 vcc, exec
	v_mov_b32_e32 v3, v6
	s_cbranch_scc1 .LBB3719_63
; %bb.59:                               ;   in Loop: Header=BB3719_58 Depth=1
	v_lshl_add_u64 v[10:11], v[4:5], 3, s[34:35]
	global_load_dwordx2 v[6:7], v[10:11], off sc1
	s_waitcnt vmcnt(0)
	v_cmp_eq_u16_sdwa s[36:37], v7, v5 src0_sel:BYTE_0 src1_sel:DWORD
	s_and_saveexec_b64 s[26:27], s[36:37]
	s_cbranch_execz .LBB3719_57
; %bb.60:                               ;   in Loop: Header=BB3719_58 Depth=1
	s_mov_b64 s[36:37], 0
.LBB3719_61:                            ;   Parent Loop BB3719_58 Depth=1
                                        ; =>  This Inner Loop Header: Depth=2
	global_load_dwordx2 v[6:7], v[10:11], off sc1
	s_waitcnt vmcnt(0)
	v_cmp_ne_u16_sdwa s[42:43], v7, v5 src0_sel:BYTE_0 src1_sel:DWORD
	s_or_b64 s[36:37], s[42:43], s[36:37]
	s_andn2_b64 exec, exec, s[36:37]
	s_cbranch_execnz .LBB3719_61
; %bb.62:                               ;   in Loop: Header=BB3719_58 Depth=1
	s_or_b64 exec, exec, s[36:37]
	s_branch .LBB3719_57
.LBB3719_63:                            ;   in Loop: Header=BB3719_58 Depth=1
                                        ; implicit-def: $vgpr6
                                        ; implicit-def: $vgpr7
	s_cbranch_execz .LBB3719_58
; %bb.64:
	s_and_saveexec_b64 s[26:27], s[18:19]
	s_cbranch_execz .LBB3719_66
; %bb.65:
	s_add_i32 s36, s40, 64
	s_mov_b32 s37, 0
	s_lshl_b64 s[36:37], s[36:37], 3
	s_add_u32 s36, s34, s36
	v_add_u32_e32 v4, v3, v2
	v_mov_b32_e32 v5, 2
	s_addc_u32 s37, s35, s37
	v_mov_b32_e32 v6, 0
	global_store_dwordx2 v6, v[4:5], s[36:37] sc1
	ds_write_b64 v6, v[2:3] offset:30720
.LBB3719_66:
	s_or_b64 exec, exec, s[26:27]
	s_and_b64 exec, exec, s[20:21]
	s_cbranch_execz .LBB3719_68
; %bb.67:
	v_mov_b32_e32 v2, 0
	ds_write_b32 v2, v3 offset:28
.LBB3719_68:
	s_or_b64 exec, exec, s[0:1]
	v_mov_b32_e32 v14, 0
	s_waitcnt lgkmcnt(0)
	s_barrier
	ds_read_b32 v2, v14 offset:28
	v_cndmask_b32_e64 v3, v13, v12, s[18:19]
	v_cndmask_b32_e64 v3, v3, 0, s[20:21]
	s_waitcnt lgkmcnt(0)
	s_barrier
	v_add_u32_e32 v2, v2, v3
	v_add_u32_e32 v3, v2, v56
	;; [unrolled: 1-line block ×10, first 2 shown]
	ds_read_b64 v[38:39], v14 offset:30720
	v_add_u32_e32 v12, v11, v65
	v_add_u32_e32 v13, v12, v66
	v_add_u32_e32 v14, v13, v67
	v_add_u32_e32 v15, v14, v68
	v_add_u32_e32 v16, v15, v69
	s_waitcnt lgkmcnt(0)
	v_mov_b32_e32 v40, v39
	s_branch .LBB3719_79
.LBB3719_69:
                                        ; implicit-def: $vgpr40
                                        ; implicit-def: $vgpr38
                                        ; implicit-def: $vgpr2_vgpr3_vgpr4_vgpr5_vgpr6_vgpr7_vgpr8_vgpr9_vgpr10_vgpr11_vgpr12_vgpr13_vgpr14_vgpr15_vgpr16_vgpr17
	s_cbranch_execz .LBB3719_79
; %bb.70:
	s_nop 0
	v_mov_b32_dpp v2, v72 row_shr:1 row_mask:0xf bank_mask:0xf
	v_cndmask_b32_e64 v2, v2, 0, s[16:17]
	v_add_u32_e32 v2, v2, v72
	s_nop 1
	v_mov_b32_dpp v3, v2 row_shr:2 row_mask:0xf bank_mask:0xf
	v_cndmask_b32_e64 v3, 0, v3, s[14:15]
	v_add_u32_e32 v2, v2, v3
	;; [unrolled: 4-line block ×4, first 2 shown]
	s_nop 1
	v_mov_b32_dpp v3, v2 row_bcast:15 row_mask:0xf bank_mask:0xf
	v_cndmask_b32_e64 v3, v3, 0, s[8:9]
	v_add_u32_e32 v2, v2, v3
	s_nop 1
	v_mov_b32_dpp v3, v2 row_bcast:31 row_mask:0xf bank_mask:0xf
	v_cndmask_b32_e64 v3, 0, v3, s[4:5]
	v_add_u32_e32 v2, v2, v3
	s_and_saveexec_b64 s[0:1], s[6:7]
	s_cbranch_execz .LBB3719_72
; %bb.71:
	v_lshlrev_b32_e32 v3, 2, v71
	ds_write_b32 v3, v2
.LBB3719_72:
	s_or_b64 exec, exec, s[0:1]
	v_cmp_gt_u32_e32 vcc, 8, v0
	s_waitcnt lgkmcnt(0)
	s_barrier
	s_and_saveexec_b64 s[0:1], vcc
	s_cbranch_execz .LBB3719_74
; %bb.73:
	ds_read_b32 v3, v18
	v_and_b32_e32 v4, 7, v70
	v_cmp_ne_u32_e32 vcc, 0, v4
	s_waitcnt lgkmcnt(0)
	v_mov_b32_dpp v5, v3 row_shr:1 row_mask:0xf bank_mask:0xf
	v_cndmask_b32_e32 v5, 0, v5, vcc
	v_add_u32_e32 v3, v5, v3
	v_cmp_lt_u32_e32 vcc, 1, v4
	s_nop 0
	v_mov_b32_dpp v5, v3 row_shr:2 row_mask:0xf bank_mask:0xf
	v_cndmask_b32_e32 v5, 0, v5, vcc
	v_add_u32_e32 v3, v3, v5
	v_cmp_lt_u32_e32 vcc, 3, v4
	s_nop 0
	v_mov_b32_dpp v5, v3 row_shr:4 row_mask:0xf bank_mask:0xf
	v_cndmask_b32_e32 v4, 0, v5, vcc
	v_add_u32_e32 v3, v3, v4
	ds_write_b32 v18, v3
.LBB3719_74:
	s_or_b64 exec, exec, s[0:1]
	v_cmp_lt_u32_e32 vcc, 63, v0
	v_mov_b32_e32 v4, 0
	v_mov_b32_e32 v3, 0
	s_waitcnt lgkmcnt(0)
	s_barrier
	s_and_saveexec_b64 s[0:1], vcc
	s_cbranch_execz .LBB3719_76
; %bb.75:
	v_lshl_add_u32 v3, v71, 2, -4
	ds_read_b32 v3, v3
.LBB3719_76:
	s_or_b64 exec, exec, s[0:1]
	v_add_u32_e32 v5, -1, v70
	v_and_b32_e32 v6, 64, v70
	v_cmp_lt_i32_e32 vcc, v5, v6
	s_waitcnt lgkmcnt(0)
	v_add_u32_e32 v2, v3, v2
	ds_read_b32 v38, v4 offset:28
	v_cndmask_b32_e32 v5, v5, v70, vcc
	v_lshlrev_b32_e32 v5, 2, v5
	ds_bpermute_b32 v2, v5, v2
	s_and_saveexec_b64 s[0:1], s[20:21]
	s_cbranch_execz .LBB3719_78
; %bb.77:
	v_mov_b32_e32 v4, 0
	v_mov_b32_e32 v39, 2
	s_waitcnt lgkmcnt(1)
	global_store_dwordx2 v4, v[38:39], s[34:35] offset:512 sc1
.LBB3719_78:
	s_or_b64 exec, exec, s[0:1]
	v_cmp_eq_u32_e32 vcc, 0, v70
	v_mov_b32_e32 v40, 0
	s_waitcnt lgkmcnt(0)
	v_cndmask_b32_e32 v2, v2, v3, vcc
	v_cndmask_b32_e64 v2, v2, 0, s[20:21]
	v_add_u32_e32 v3, v2, v56
	v_add_u32_e32 v4, v3, v57
	v_add_u32_e32 v5, v4, v58
	v_add_u32_e32 v6, v5, v59
	v_add_u32_e32 v7, v6, v60
	v_add_u32_e32 v8, v7, v61
	v_add_u32_e32 v9, v8, v62
	v_add_u32_e32 v10, v9, v63
	v_add_u32_e32 v11, v10, v64
	v_add_u32_e32 v12, v11, v65
	v_add_u32_e32 v13, v12, v66
	v_add_u32_e32 v14, v13, v67
	v_add_u32_e32 v15, v14, v68
	v_add_u32_e32 v16, v15, v69
	s_barrier
.LBB3719_79:
	v_add_u32_e32 v17, v38, v42
	v_sub_u32_e32 v2, v2, v40
	v_and_b32_e32 v42, 1, v55
	v_sub_u32_e32 v39, v17, v2
	v_cmp_eq_u32_e32 vcc, 1, v42
	v_or_b32_e32 v42, 0x800, v0
	s_nop 0
	v_cndmask_b32_e32 v2, v39, v2, vcc
	v_lshlrev_b32_e32 v2, 2, v2
	ds_write_b32 v2, v36
	v_sub_u32_e32 v2, v3, v40
	v_sub_u32_e32 v3, v17, v2
	v_and_b32_e32 v36, 1, v54
	v_add_u32_e32 v3, 1, v3
	v_cmp_eq_u32_e32 vcc, 1, v36
	v_or_b32_e32 v36, 0xc00, v0
	s_nop 0
	v_cndmask_b32_e32 v2, v3, v2, vcc
	v_lshlrev_b32_e32 v2, 2, v2
	ds_write_b32 v2, v37
	v_sub_u32_e32 v2, v4, v40
	v_sub_u32_e32 v3, v17, v2
	v_and_b32_e32 v4, 1, v53
	v_add_u32_e32 v3, 2, v3
	v_cmp_eq_u32_e32 vcc, 1, v4
	v_and_b32_e32 v4, 1, v52
	v_or_b32_e32 v37, 0xa00, v0
	v_cndmask_b32_e32 v2, v3, v2, vcc
	v_lshlrev_b32_e32 v2, 2, v2
	ds_write_b32 v2, v34
	v_sub_u32_e32 v2, v5, v40
	v_sub_u32_e32 v3, v17, v2
	v_add_u32_e32 v3, 3, v3
	v_cmp_eq_u32_e32 vcc, 1, v4
	v_and_b32_e32 v4, 1, v51
	v_or_b32_e32 v34, 0x1000, v0
	v_cndmask_b32_e32 v2, v3, v2, vcc
	v_lshlrev_b32_e32 v2, 2, v2
	ds_write_b32 v2, v35
	v_sub_u32_e32 v2, v6, v40
	v_sub_u32_e32 v3, v17, v2
	;; [unrolled: 9-line block ×3, first 2 shown]
	v_add_u32_e32 v3, 5, v3
	v_cmp_eq_u32_e32 vcc, 1, v4
	v_and_b32_e32 v4, 1, v49
	v_mov_b32_e32 v7, s39
	v_cndmask_b32_e32 v2, v3, v2, vcc
	v_lshlrev_b32_e32 v2, 2, v2
	ds_write_b32 v2, v33
	v_sub_u32_e32 v2, v8, v40
	v_sub_u32_e32 v3, v17, v2
	v_add_u32_e32 v3, 6, v3
	v_cmp_eq_u32_e32 vcc, 1, v4
	v_and_b32_e32 v4, 1, v48
	v_or_b32_e32 v33, 0x1200, v0
	v_cndmask_b32_e32 v2, v3, v2, vcc
	v_lshlrev_b32_e32 v2, 2, v2
	ds_write_b32 v2, v30
	v_sub_u32_e32 v2, v9, v40
	v_sub_u32_e32 v3, v17, v2
	v_add_u32_e32 v3, 7, v3
	v_cmp_eq_u32_e32 vcc, 1, v4
	v_and_b32_e32 v4, 1, v47
	v_or_b32_e32 v32, 0x1400, v0
	;; [unrolled: 9-line block ×6, first 2 shown]
	v_cndmask_b32_e32 v2, v3, v2, vcc
	v_lshlrev_b32_e32 v2, 2, v2
	ds_write_b32 v2, v27
	v_sub_u32_e32 v2, v14, v40
	v_sub_u32_e32 v3, v17, v2
	v_add_u32_e32 v3, 12, v3
	v_cmp_eq_u32_e32 vcc, 1, v4
	v_and_b32_e32 v4, 1, v41
	v_mov_b32_e32 v41, 0
	v_cndmask_b32_e32 v2, v3, v2, vcc
	v_lshlrev_b32_e32 v2, 2, v2
	ds_write_b32 v2, v24
	v_sub_u32_e32 v2, v15, v40
	v_sub_u32_e32 v3, v17, v2
	v_add_u32_e32 v3, 13, v3
	v_cmp_eq_u32_e32 vcc, 1, v4
	v_and_b32_e32 v4, 1, v19
	s_waitcnt vmcnt(0)
	v_lshl_add_u64 v[8:9], v[20:21], 0, v[40:41]
	v_cndmask_b32_e32 v2, v3, v2, vcc
	v_lshlrev_b32_e32 v2, 2, v2
	ds_write_b32 v2, v25
	v_sub_u32_e32 v2, v16, v40
	v_sub_u32_e32 v3, v17, v2
	v_add_u32_e32 v3, 14, v3
	v_cmp_eq_u32_e32 vcc, 1, v4
	v_mov_b32_e32 v39, v41
	v_or_b32_e32 v30, 0x1800, v0
	v_cndmask_b32_e32 v2, v3, v2, vcc
	v_lshlrev_b32_e32 v2, 2, v2
	ds_write_b32 v2, v1
	v_lshl_add_u64 v[2:3], v[8:9], 0, v[38:39]
	s_waitcnt lgkmcnt(0)
	s_barrier
	ds_read2st64_b32 v[26:27], v18 offset1:8
	ds_read2st64_b32 v[24:25], v18 offset0:16 offset1:24
	ds_read2st64_b32 v[16:17], v18 offset0:32 offset1:40
	;; [unrolled: 1-line block ×6, first 2 shown]
	ds_read_b32 v1, v18 offset:28672
	v_sub_co_u32_e32 v6, vcc, s38, v2
	v_lshlrev_b64 v[8:9], 2, v[8:9]
	s_nop 0
	v_subb_co_u32_e32 v7, vcc, v7, v3, vcc
	v_lshlrev_b64 v[6:7], 2, v[6:7]
	v_lshl_add_u64 v[6:7], s[30:31], 0, v[6:7]
	v_or_b32_e32 v29, 0x1a00, v0
	v_or_b32_e32 v28, 0x1c00, v0
	v_lshl_add_u64 v[6:7], v[6:7], 0, v[22:23]
	s_and_b64 vcc, exec, s[2:3]
	v_lshl_add_u64 v[8:9], s[28:29], 0, v[8:9]
	s_cbranch_vccnz .LBB3719_81
; %bb.80:
	v_cmp_gt_u32_e32 vcc, v38, v0
	v_mov_b32_e32 v19, v41
	v_lshlrev_b32_e32 v40, 2, v44
	v_cndmask_b32_e32 v21, v7, v9, vcc
	v_cndmask_b32_e32 v20, v6, v8, vcc
	v_lshl_add_u64 v[20:21], v[20:21], 0, v[18:19]
	v_cmp_lt_u32_e32 vcc, v45, v38
	s_waitcnt lgkmcnt(7)
	global_store_dword v[20:21], v26, off
	v_cndmask_b32_e32 v21, v7, v9, vcc
	v_cndmask_b32_e32 v20, v6, v8, vcc
	v_lshl_add_u64 v[20:21], v[20:21], 0, v[18:19]
	v_cmp_lt_u32_e32 vcc, v44, v38
	global_store_dword v[20:21], v27, off offset:2048
	s_mov_b64 s[0:1], -1
	v_cndmask_b32_e32 v21, v7, v9, vcc
	v_cndmask_b32_e32 v20, v6, v8, vcc
	v_lshl_add_u64 v[20:21], v[20:21], 0, v[40:41]
	v_cmp_lt_u32_e32 vcc, v43, v38
	s_waitcnt lgkmcnt(6)
	global_store_dword v[20:21], v24, off
	v_lshlrev_b32_e32 v40, 2, v43
	v_cndmask_b32_e32 v21, v7, v9, vcc
	v_cndmask_b32_e32 v20, v6, v8, vcc
	v_lshl_add_u64 v[20:21], v[20:21], 0, v[40:41]
	v_cmp_lt_u32_e32 vcc, v42, v38
	global_store_dword v[20:21], v25, off
	v_lshlrev_b32_e32 v40, 2, v42
	v_cndmask_b32_e32 v21, v7, v9, vcc
	v_cndmask_b32_e32 v20, v6, v8, vcc
	v_lshl_add_u64 v[20:21], v[20:21], 0, v[40:41]
	v_cmp_lt_u32_e32 vcc, v37, v38
	s_waitcnt lgkmcnt(5)
	global_store_dword v[20:21], v16, off
	v_lshlrev_b32_e32 v40, 2, v37
	v_cndmask_b32_e32 v21, v7, v9, vcc
	v_cndmask_b32_e32 v20, v6, v8, vcc
	v_lshl_add_u64 v[20:21], v[20:21], 0, v[40:41]
	v_cmp_lt_u32_e32 vcc, v36, v38
	global_store_dword v[20:21], v17, off
	v_lshlrev_b32_e32 v40, 2, v36
	v_cndmask_b32_e32 v21, v7, v9, vcc
	v_cndmask_b32_e32 v20, v6, v8, vcc
	v_lshl_add_u64 v[20:21], v[20:21], 0, v[40:41]
	v_cmp_lt_u32_e32 vcc, v35, v38
	s_waitcnt lgkmcnt(4)
	global_store_dword v[20:21], v14, off
	v_lshlrev_b32_e32 v40, 2, v35
	v_cndmask_b32_e32 v21, v7, v9, vcc
	v_cndmask_b32_e32 v20, v6, v8, vcc
	v_lshl_add_u64 v[20:21], v[20:21], 0, v[40:41]
	v_cmp_lt_u32_e32 vcc, v34, v38
	global_store_dword v[20:21], v15, off
	v_lshlrev_b32_e32 v40, 2, v34
	v_cndmask_b32_e32 v21, v7, v9, vcc
	v_cndmask_b32_e32 v20, v6, v8, vcc
	v_lshl_add_u64 v[20:21], v[20:21], 0, v[40:41]
	v_cmp_lt_u32_e32 vcc, v33, v38
	s_waitcnt lgkmcnt(3)
	global_store_dword v[20:21], v12, off
	v_lshlrev_b32_e32 v40, 2, v33
	v_cndmask_b32_e32 v21, v7, v9, vcc
	v_cndmask_b32_e32 v20, v6, v8, vcc
	v_lshl_add_u64 v[20:21], v[20:21], 0, v[40:41]
	v_cmp_lt_u32_e32 vcc, v32, v38
	global_store_dword v[20:21], v13, off
	v_lshlrev_b32_e32 v40, 2, v32
	v_cndmask_b32_e32 v21, v7, v9, vcc
	v_cndmask_b32_e32 v20, v6, v8, vcc
	v_lshl_add_u64 v[20:21], v[20:21], 0, v[40:41]
	v_cmp_lt_u32_e32 vcc, v31, v38
	s_waitcnt lgkmcnt(2)
	global_store_dword v[20:21], v10, off
	v_lshlrev_b32_e32 v40, 2, v31
	v_cndmask_b32_e32 v21, v7, v9, vcc
	v_cndmask_b32_e32 v20, v6, v8, vcc
	v_lshl_add_u64 v[20:21], v[20:21], 0, v[40:41]
	v_cmp_lt_u32_e32 vcc, v30, v38
	global_store_dword v[20:21], v11, off
	v_lshlrev_b32_e32 v40, 2, v30
	v_cndmask_b32_e32 v21, v7, v9, vcc
	v_cndmask_b32_e32 v20, v6, v8, vcc
	v_lshl_add_u64 v[20:21], v[20:21], 0, v[40:41]
	v_cmp_lt_u32_e32 vcc, v29, v38
	s_waitcnt lgkmcnt(1)
	global_store_dword v[20:21], v4, off
	v_lshlrev_b32_e32 v40, 2, v29
	v_cndmask_b32_e32 v21, v7, v9, vcc
	v_cndmask_b32_e32 v20, v6, v8, vcc
	v_lshl_add_u64 v[20:21], v[20:21], 0, v[40:41]
	global_store_dword v[20:21], v5, off
	s_cbranch_execz .LBB3719_82
	s_branch .LBB3719_98
.LBB3719_81:
	s_mov_b64 s[0:1], 0
.LBB3719_82:
	v_cmp_gt_u32_e32 vcc, s33, v0
	s_and_saveexec_b64 s[0:1], vcc
	s_cbranch_execnz .LBB3719_103
; %bb.83:
	s_or_b64 exec, exec, s[0:1]
	v_cmp_gt_u32_e32 vcc, s33, v45
	s_and_saveexec_b64 s[0:1], vcc
	s_cbranch_execnz .LBB3719_104
.LBB3719_84:
	s_or_b64 exec, exec, s[0:1]
	v_cmp_gt_u32_e32 vcc, s33, v44
	s_and_saveexec_b64 s[0:1], vcc
	s_cbranch_execnz .LBB3719_105
.LBB3719_85:
	s_or_b64 exec, exec, s[0:1]
	v_cmp_gt_u32_e32 vcc, s33, v43
	s_and_saveexec_b64 s[0:1], vcc
	s_cbranch_execnz .LBB3719_106
.LBB3719_86:
	s_or_b64 exec, exec, s[0:1]
	v_cmp_gt_u32_e32 vcc, s33, v42
	s_and_saveexec_b64 s[0:1], vcc
	s_cbranch_execnz .LBB3719_107
.LBB3719_87:
	s_or_b64 exec, exec, s[0:1]
	v_cmp_gt_u32_e32 vcc, s33, v37
	s_and_saveexec_b64 s[0:1], vcc
	s_cbranch_execnz .LBB3719_108
.LBB3719_88:
	s_or_b64 exec, exec, s[0:1]
	v_cmp_gt_u32_e32 vcc, s33, v36
	s_and_saveexec_b64 s[0:1], vcc
	s_cbranch_execnz .LBB3719_109
.LBB3719_89:
	s_or_b64 exec, exec, s[0:1]
	v_cmp_gt_u32_e32 vcc, s33, v35
	s_and_saveexec_b64 s[0:1], vcc
	s_cbranch_execnz .LBB3719_110
.LBB3719_90:
	s_or_b64 exec, exec, s[0:1]
	v_cmp_gt_u32_e32 vcc, s33, v34
	s_and_saveexec_b64 s[0:1], vcc
	s_cbranch_execnz .LBB3719_111
.LBB3719_91:
	s_or_b64 exec, exec, s[0:1]
	v_cmp_gt_u32_e32 vcc, s33, v33
	s_and_saveexec_b64 s[0:1], vcc
	s_cbranch_execnz .LBB3719_112
.LBB3719_92:
	s_or_b64 exec, exec, s[0:1]
	v_cmp_gt_u32_e32 vcc, s33, v32
	s_and_saveexec_b64 s[0:1], vcc
	s_cbranch_execnz .LBB3719_113
.LBB3719_93:
	s_or_b64 exec, exec, s[0:1]
	v_cmp_gt_u32_e32 vcc, s33, v31
	s_and_saveexec_b64 s[0:1], vcc
	s_cbranch_execnz .LBB3719_114
.LBB3719_94:
	s_or_b64 exec, exec, s[0:1]
	v_cmp_gt_u32_e32 vcc, s33, v30
	s_and_saveexec_b64 s[0:1], vcc
	s_cbranch_execnz .LBB3719_115
.LBB3719_95:
	s_or_b64 exec, exec, s[0:1]
	v_cmp_gt_u32_e32 vcc, s33, v29
	s_and_saveexec_b64 s[0:1], vcc
	s_cbranch_execz .LBB3719_97
.LBB3719_96:
	v_cmp_lt_u32_e32 vcc, v29, v38
	s_waitcnt lgkmcnt(3)
	v_lshlrev_b32_e32 v12, 2, v29
	v_mov_b32_e32 v13, 0
	s_waitcnt lgkmcnt(2)
	v_cndmask_b32_e32 v11, v7, v9, vcc
	v_cndmask_b32_e32 v10, v6, v8, vcc
	v_lshl_add_u64 v[10:11], v[10:11], 0, v[12:13]
	s_waitcnt lgkmcnt(1)
	global_store_dword v[10:11], v5, off
.LBB3719_97:
	s_or_b64 exec, exec, s[0:1]
	v_cmp_gt_u32_e64 s[0:1], s33, v28
.LBB3719_98:
	s_and_saveexec_b64 s[2:3], s[0:1]
	s_cbranch_execnz .LBB3719_101
; %bb.99:
	s_or_b64 exec, exec, s[2:3]
	s_and_b64 s[0:1], s[20:21], s[22:23]
	s_and_saveexec_b64 s[2:3], s[0:1]
	s_cbranch_execnz .LBB3719_102
.LBB3719_100:
	s_endpgm
.LBB3719_101:
	v_cmp_lt_u32_e32 vcc, v28, v38
	s_waitcnt lgkmcnt(1)
	s_nop 0
	v_cndmask_b32_e32 v5, v7, v9, vcc
	v_cndmask_b32_e32 v4, v6, v8, vcc
	v_lshlrev_b32_e32 v6, 2, v28
	v_mov_b32_e32 v7, 0
	v_lshl_add_u64 v[4:5], v[4:5], 0, v[6:7]
	s_waitcnt lgkmcnt(0)
	global_store_dword v[4:5], v1, off
	s_or_b64 exec, exec, s[2:3]
	s_and_b64 s[0:1], s[20:21], s[22:23]
	s_and_saveexec_b64 s[2:3], s[0:1]
	s_cbranch_execz .LBB3719_100
.LBB3719_102:
	v_mov_b32_e32 v0, 0
	global_store_dwordx2 v0, v[2:3], s[24:25]
	s_endpgm
.LBB3719_103:
	v_cmp_gt_u32_e32 vcc, v38, v0
	v_mov_b32_e32 v19, 0
	s_nop 0
	v_cndmask_b32_e32 v21, v7, v9, vcc
	v_cndmask_b32_e32 v20, v6, v8, vcc
	v_lshl_add_u64 v[20:21], v[20:21], 0, v[18:19]
	s_waitcnt lgkmcnt(7)
	global_store_dword v[20:21], v26, off
	s_or_b64 exec, exec, s[0:1]
	v_cmp_gt_u32_e32 vcc, s33, v45
	s_and_saveexec_b64 s[0:1], vcc
	s_cbranch_execz .LBB3719_84
.LBB3719_104:
	v_cmp_lt_u32_e32 vcc, v45, v38
	v_mov_b32_e32 v19, 0
	s_nop 0
	v_cndmask_b32_e32 v21, v7, v9, vcc
	v_cndmask_b32_e32 v20, v6, v8, vcc
	v_lshl_add_u64 v[18:19], v[20:21], 0, v[18:19]
	s_waitcnt lgkmcnt(7)
	global_store_dword v[18:19], v27, off offset:2048
	s_or_b64 exec, exec, s[0:1]
	v_cmp_gt_u32_e32 vcc, s33, v44
	s_and_saveexec_b64 s[0:1], vcc
	s_cbranch_execz .LBB3719_85
.LBB3719_105:
	v_cmp_lt_u32_e32 vcc, v44, v38
	v_lshlrev_b32_e32 v20, 2, v44
	v_mov_b32_e32 v21, 0
	v_cndmask_b32_e32 v19, v7, v9, vcc
	v_cndmask_b32_e32 v18, v6, v8, vcc
	v_lshl_add_u64 v[18:19], v[18:19], 0, v[20:21]
	s_waitcnt lgkmcnt(6)
	global_store_dword v[18:19], v24, off
	s_or_b64 exec, exec, s[0:1]
	v_cmp_gt_u32_e32 vcc, s33, v43
	s_and_saveexec_b64 s[0:1], vcc
	s_cbranch_execz .LBB3719_86
.LBB3719_106:
	v_cmp_lt_u32_e32 vcc, v43, v38
	v_lshlrev_b32_e32 v20, 2, v43
	v_mov_b32_e32 v21, 0
	v_cndmask_b32_e32 v19, v7, v9, vcc
	v_cndmask_b32_e32 v18, v6, v8, vcc
	v_lshl_add_u64 v[18:19], v[18:19], 0, v[20:21]
	s_waitcnt lgkmcnt(6)
	global_store_dword v[18:19], v25, off
	s_or_b64 exec, exec, s[0:1]
	v_cmp_gt_u32_e32 vcc, s33, v42
	s_and_saveexec_b64 s[0:1], vcc
	s_cbranch_execz .LBB3719_87
.LBB3719_107:
	v_cmp_lt_u32_e32 vcc, v42, v38
	v_lshlrev_b32_e32 v20, 2, v42
	v_mov_b32_e32 v21, 0
	v_cndmask_b32_e32 v19, v7, v9, vcc
	v_cndmask_b32_e32 v18, v6, v8, vcc
	v_lshl_add_u64 v[18:19], v[18:19], 0, v[20:21]
	s_waitcnt lgkmcnt(5)
	global_store_dword v[18:19], v16, off
	s_or_b64 exec, exec, s[0:1]
	v_cmp_gt_u32_e32 vcc, s33, v37
	s_and_saveexec_b64 s[0:1], vcc
	s_cbranch_execz .LBB3719_88
.LBB3719_108:
	v_cmp_lt_u32_e32 vcc, v37, v38
	v_lshlrev_b32_e32 v20, 2, v37
	v_mov_b32_e32 v21, 0
	v_cndmask_b32_e32 v19, v7, v9, vcc
	v_cndmask_b32_e32 v18, v6, v8, vcc
	v_lshl_add_u64 v[18:19], v[18:19], 0, v[20:21]
	s_waitcnt lgkmcnt(5)
	global_store_dword v[18:19], v17, off
	s_or_b64 exec, exec, s[0:1]
	v_cmp_gt_u32_e32 vcc, s33, v36
	s_and_saveexec_b64 s[0:1], vcc
	s_cbranch_execz .LBB3719_89
.LBB3719_109:
	v_cmp_lt_u32_e32 vcc, v36, v38
	v_lshlrev_b32_e32 v18, 2, v36
	v_mov_b32_e32 v19, 0
	s_waitcnt lgkmcnt(5)
	v_cndmask_b32_e32 v17, v7, v9, vcc
	v_cndmask_b32_e32 v16, v6, v8, vcc
	v_lshl_add_u64 v[16:17], v[16:17], 0, v[18:19]
	s_waitcnt lgkmcnt(4)
	global_store_dword v[16:17], v14, off
	s_or_b64 exec, exec, s[0:1]
	v_cmp_gt_u32_e32 vcc, s33, v35
	s_and_saveexec_b64 s[0:1], vcc
	s_cbranch_execz .LBB3719_90
.LBB3719_110:
	v_cmp_lt_u32_e32 vcc, v35, v38
	v_lshlrev_b32_e32 v18, 2, v35
	v_mov_b32_e32 v19, 0
	s_waitcnt lgkmcnt(5)
	v_cndmask_b32_e32 v17, v7, v9, vcc
	v_cndmask_b32_e32 v16, v6, v8, vcc
	v_lshl_add_u64 v[16:17], v[16:17], 0, v[18:19]
	s_waitcnt lgkmcnt(4)
	global_store_dword v[16:17], v15, off
	s_or_b64 exec, exec, s[0:1]
	v_cmp_gt_u32_e32 vcc, s33, v34
	s_and_saveexec_b64 s[0:1], vcc
	s_cbranch_execz .LBB3719_91
.LBB3719_111:
	v_cmp_lt_u32_e32 vcc, v34, v38
	s_waitcnt lgkmcnt(5)
	v_lshlrev_b32_e32 v16, 2, v34
	v_mov_b32_e32 v17, 0
	s_waitcnt lgkmcnt(4)
	v_cndmask_b32_e32 v15, v7, v9, vcc
	v_cndmask_b32_e32 v14, v6, v8, vcc
	v_lshl_add_u64 v[14:15], v[14:15], 0, v[16:17]
	s_waitcnt lgkmcnt(3)
	global_store_dword v[14:15], v12, off
	s_or_b64 exec, exec, s[0:1]
	v_cmp_gt_u32_e32 vcc, s33, v33
	s_and_saveexec_b64 s[0:1], vcc
	s_cbranch_execz .LBB3719_92
.LBB3719_112:
	v_cmp_lt_u32_e32 vcc, v33, v38
	s_waitcnt lgkmcnt(5)
	v_lshlrev_b32_e32 v16, 2, v33
	v_mov_b32_e32 v17, 0
	s_waitcnt lgkmcnt(4)
	v_cndmask_b32_e32 v15, v7, v9, vcc
	v_cndmask_b32_e32 v14, v6, v8, vcc
	v_lshl_add_u64 v[14:15], v[14:15], 0, v[16:17]
	s_waitcnt lgkmcnt(3)
	global_store_dword v[14:15], v13, off
	s_or_b64 exec, exec, s[0:1]
	v_cmp_gt_u32_e32 vcc, s33, v32
	s_and_saveexec_b64 s[0:1], vcc
	s_cbranch_execz .LBB3719_93
.LBB3719_113:
	v_cmp_lt_u32_e32 vcc, v32, v38
	s_waitcnt lgkmcnt(4)
	v_lshlrev_b32_e32 v14, 2, v32
	v_mov_b32_e32 v15, 0
	s_waitcnt lgkmcnt(3)
	v_cndmask_b32_e32 v13, v7, v9, vcc
	v_cndmask_b32_e32 v12, v6, v8, vcc
	v_lshl_add_u64 v[12:13], v[12:13], 0, v[14:15]
	s_waitcnt lgkmcnt(2)
	global_store_dword v[12:13], v10, off
	s_or_b64 exec, exec, s[0:1]
	v_cmp_gt_u32_e32 vcc, s33, v31
	s_and_saveexec_b64 s[0:1], vcc
	s_cbranch_execz .LBB3719_94
.LBB3719_114:
	v_cmp_lt_u32_e32 vcc, v31, v38
	s_waitcnt lgkmcnt(4)
	v_lshlrev_b32_e32 v14, 2, v31
	v_mov_b32_e32 v15, 0
	s_waitcnt lgkmcnt(3)
	v_cndmask_b32_e32 v13, v7, v9, vcc
	v_cndmask_b32_e32 v12, v6, v8, vcc
	v_lshl_add_u64 v[12:13], v[12:13], 0, v[14:15]
	s_waitcnt lgkmcnt(2)
	global_store_dword v[12:13], v11, off
	s_or_b64 exec, exec, s[0:1]
	v_cmp_gt_u32_e32 vcc, s33, v30
	s_and_saveexec_b64 s[0:1], vcc
	s_cbranch_execz .LBB3719_95
.LBB3719_115:
	v_cmp_lt_u32_e32 vcc, v30, v38
	s_waitcnt lgkmcnt(3)
	v_lshlrev_b32_e32 v12, 2, v30
	v_mov_b32_e32 v13, 0
	s_waitcnt lgkmcnt(2)
	v_cndmask_b32_e32 v11, v7, v9, vcc
	v_cndmask_b32_e32 v10, v6, v8, vcc
	v_lshl_add_u64 v[10:11], v[10:11], 0, v[12:13]
	s_waitcnt lgkmcnt(1)
	global_store_dword v[10:11], v4, off
	s_or_b64 exec, exec, s[0:1]
	v_cmp_gt_u32_e32 vcc, s33, v29
	s_and_saveexec_b64 s[0:1], vcc
	s_cbranch_execnz .LBB3719_96
	s_branch .LBB3719_97
	.section	.rodata,"a",@progbits
	.p2align	6, 0x0
	.amdhsa_kernel _ZN7rocprim17ROCPRIM_400000_NS6detail17trampoline_kernelINS0_14default_configENS1_25partition_config_selectorILNS1_17partition_subalgoE0EiNS0_10empty_typeEbEEZZNS1_14partition_implILS5_0ELb0ES3_jN6thrust23THRUST_200600_302600_NS10device_ptrIiEEPS6_SD_NS0_5tupleIJSC_SC_EEENSE_IJSD_SD_EEES6_PlJ7is_evenIiEEEE10hipError_tPvRmT3_T4_T5_T6_T7_T9_mT8_P12ihipStream_tbDpT10_ENKUlT_T0_E_clISt17integral_constantIbLb0EES12_IbLb1EEEEDaSY_SZ_EUlSY_E_NS1_11comp_targetILNS1_3genE5ELNS1_11target_archE942ELNS1_3gpuE9ELNS1_3repE0EEENS1_30default_config_static_selectorELNS0_4arch9wavefront6targetE1EEEvT1_
		.amdhsa_group_segment_fixed_size 30728
		.amdhsa_private_segment_fixed_size 0
		.amdhsa_kernarg_size 136
		.amdhsa_user_sgpr_count 2
		.amdhsa_user_sgpr_dispatch_ptr 0
		.amdhsa_user_sgpr_queue_ptr 0
		.amdhsa_user_sgpr_kernarg_segment_ptr 1
		.amdhsa_user_sgpr_dispatch_id 0
		.amdhsa_user_sgpr_kernarg_preload_length 0
		.amdhsa_user_sgpr_kernarg_preload_offset 0
		.amdhsa_user_sgpr_private_segment_size 0
		.amdhsa_uses_dynamic_stack 0
		.amdhsa_enable_private_segment 0
		.amdhsa_system_sgpr_workgroup_id_x 1
		.amdhsa_system_sgpr_workgroup_id_y 0
		.amdhsa_system_sgpr_workgroup_id_z 0
		.amdhsa_system_sgpr_workgroup_info 0
		.amdhsa_system_vgpr_workitem_id 0
		.amdhsa_next_free_vgpr 80
		.amdhsa_next_free_sgpr 44
		.amdhsa_accum_offset 80
		.amdhsa_reserve_vcc 1
		.amdhsa_float_round_mode_32 0
		.amdhsa_float_round_mode_16_64 0
		.amdhsa_float_denorm_mode_32 3
		.amdhsa_float_denorm_mode_16_64 3
		.amdhsa_dx10_clamp 1
		.amdhsa_ieee_mode 1
		.amdhsa_fp16_overflow 0
		.amdhsa_tg_split 0
		.amdhsa_exception_fp_ieee_invalid_op 0
		.amdhsa_exception_fp_denorm_src 0
		.amdhsa_exception_fp_ieee_div_zero 0
		.amdhsa_exception_fp_ieee_overflow 0
		.amdhsa_exception_fp_ieee_underflow 0
		.amdhsa_exception_fp_ieee_inexact 0
		.amdhsa_exception_int_div_zero 0
	.end_amdhsa_kernel
	.section	.text._ZN7rocprim17ROCPRIM_400000_NS6detail17trampoline_kernelINS0_14default_configENS1_25partition_config_selectorILNS1_17partition_subalgoE0EiNS0_10empty_typeEbEEZZNS1_14partition_implILS5_0ELb0ES3_jN6thrust23THRUST_200600_302600_NS10device_ptrIiEEPS6_SD_NS0_5tupleIJSC_SC_EEENSE_IJSD_SD_EEES6_PlJ7is_evenIiEEEE10hipError_tPvRmT3_T4_T5_T6_T7_T9_mT8_P12ihipStream_tbDpT10_ENKUlT_T0_E_clISt17integral_constantIbLb0EES12_IbLb1EEEEDaSY_SZ_EUlSY_E_NS1_11comp_targetILNS1_3genE5ELNS1_11target_archE942ELNS1_3gpuE9ELNS1_3repE0EEENS1_30default_config_static_selectorELNS0_4arch9wavefront6targetE1EEEvT1_,"axG",@progbits,_ZN7rocprim17ROCPRIM_400000_NS6detail17trampoline_kernelINS0_14default_configENS1_25partition_config_selectorILNS1_17partition_subalgoE0EiNS0_10empty_typeEbEEZZNS1_14partition_implILS5_0ELb0ES3_jN6thrust23THRUST_200600_302600_NS10device_ptrIiEEPS6_SD_NS0_5tupleIJSC_SC_EEENSE_IJSD_SD_EEES6_PlJ7is_evenIiEEEE10hipError_tPvRmT3_T4_T5_T6_T7_T9_mT8_P12ihipStream_tbDpT10_ENKUlT_T0_E_clISt17integral_constantIbLb0EES12_IbLb1EEEEDaSY_SZ_EUlSY_E_NS1_11comp_targetILNS1_3genE5ELNS1_11target_archE942ELNS1_3gpuE9ELNS1_3repE0EEENS1_30default_config_static_selectorELNS0_4arch9wavefront6targetE1EEEvT1_,comdat
.Lfunc_end3719:
	.size	_ZN7rocprim17ROCPRIM_400000_NS6detail17trampoline_kernelINS0_14default_configENS1_25partition_config_selectorILNS1_17partition_subalgoE0EiNS0_10empty_typeEbEEZZNS1_14partition_implILS5_0ELb0ES3_jN6thrust23THRUST_200600_302600_NS10device_ptrIiEEPS6_SD_NS0_5tupleIJSC_SC_EEENSE_IJSD_SD_EEES6_PlJ7is_evenIiEEEE10hipError_tPvRmT3_T4_T5_T6_T7_T9_mT8_P12ihipStream_tbDpT10_ENKUlT_T0_E_clISt17integral_constantIbLb0EES12_IbLb1EEEEDaSY_SZ_EUlSY_E_NS1_11comp_targetILNS1_3genE5ELNS1_11target_archE942ELNS1_3gpuE9ELNS1_3repE0EEENS1_30default_config_static_selectorELNS0_4arch9wavefront6targetE1EEEvT1_, .Lfunc_end3719-_ZN7rocprim17ROCPRIM_400000_NS6detail17trampoline_kernelINS0_14default_configENS1_25partition_config_selectorILNS1_17partition_subalgoE0EiNS0_10empty_typeEbEEZZNS1_14partition_implILS5_0ELb0ES3_jN6thrust23THRUST_200600_302600_NS10device_ptrIiEEPS6_SD_NS0_5tupleIJSC_SC_EEENSE_IJSD_SD_EEES6_PlJ7is_evenIiEEEE10hipError_tPvRmT3_T4_T5_T6_T7_T9_mT8_P12ihipStream_tbDpT10_ENKUlT_T0_E_clISt17integral_constantIbLb0EES12_IbLb1EEEEDaSY_SZ_EUlSY_E_NS1_11comp_targetILNS1_3genE5ELNS1_11target_archE942ELNS1_3gpuE9ELNS1_3repE0EEENS1_30default_config_static_selectorELNS0_4arch9wavefront6targetE1EEEvT1_
                                        ; -- End function
	.section	.AMDGPU.csdata,"",@progbits
; Kernel info:
; codeLenInByte = 6748
; NumSgprs: 50
; NumVgprs: 80
; NumAgprs: 0
; TotalNumVgprs: 80
; ScratchSize: 0
; MemoryBound: 0
; FloatMode: 240
; IeeeMode: 1
; LDSByteSize: 30728 bytes/workgroup (compile time only)
; SGPRBlocks: 6
; VGPRBlocks: 9
; NumSGPRsForWavesPerEU: 50
; NumVGPRsForWavesPerEU: 80
; AccumOffset: 80
; Occupancy: 4
; WaveLimiterHint : 1
; COMPUTE_PGM_RSRC2:SCRATCH_EN: 0
; COMPUTE_PGM_RSRC2:USER_SGPR: 2
; COMPUTE_PGM_RSRC2:TRAP_HANDLER: 0
; COMPUTE_PGM_RSRC2:TGID_X_EN: 1
; COMPUTE_PGM_RSRC2:TGID_Y_EN: 0
; COMPUTE_PGM_RSRC2:TGID_Z_EN: 0
; COMPUTE_PGM_RSRC2:TIDIG_COMP_CNT: 0
; COMPUTE_PGM_RSRC3_GFX90A:ACCUM_OFFSET: 19
; COMPUTE_PGM_RSRC3_GFX90A:TG_SPLIT: 0
	.section	.text._ZN7rocprim17ROCPRIM_400000_NS6detail17trampoline_kernelINS0_14default_configENS1_25partition_config_selectorILNS1_17partition_subalgoE0EiNS0_10empty_typeEbEEZZNS1_14partition_implILS5_0ELb0ES3_jN6thrust23THRUST_200600_302600_NS10device_ptrIiEEPS6_SD_NS0_5tupleIJSC_SC_EEENSE_IJSD_SD_EEES6_PlJ7is_evenIiEEEE10hipError_tPvRmT3_T4_T5_T6_T7_T9_mT8_P12ihipStream_tbDpT10_ENKUlT_T0_E_clISt17integral_constantIbLb0EES12_IbLb1EEEEDaSY_SZ_EUlSY_E_NS1_11comp_targetILNS1_3genE4ELNS1_11target_archE910ELNS1_3gpuE8ELNS1_3repE0EEENS1_30default_config_static_selectorELNS0_4arch9wavefront6targetE1EEEvT1_,"axG",@progbits,_ZN7rocprim17ROCPRIM_400000_NS6detail17trampoline_kernelINS0_14default_configENS1_25partition_config_selectorILNS1_17partition_subalgoE0EiNS0_10empty_typeEbEEZZNS1_14partition_implILS5_0ELb0ES3_jN6thrust23THRUST_200600_302600_NS10device_ptrIiEEPS6_SD_NS0_5tupleIJSC_SC_EEENSE_IJSD_SD_EEES6_PlJ7is_evenIiEEEE10hipError_tPvRmT3_T4_T5_T6_T7_T9_mT8_P12ihipStream_tbDpT10_ENKUlT_T0_E_clISt17integral_constantIbLb0EES12_IbLb1EEEEDaSY_SZ_EUlSY_E_NS1_11comp_targetILNS1_3genE4ELNS1_11target_archE910ELNS1_3gpuE8ELNS1_3repE0EEENS1_30default_config_static_selectorELNS0_4arch9wavefront6targetE1EEEvT1_,comdat
	.protected	_ZN7rocprim17ROCPRIM_400000_NS6detail17trampoline_kernelINS0_14default_configENS1_25partition_config_selectorILNS1_17partition_subalgoE0EiNS0_10empty_typeEbEEZZNS1_14partition_implILS5_0ELb0ES3_jN6thrust23THRUST_200600_302600_NS10device_ptrIiEEPS6_SD_NS0_5tupleIJSC_SC_EEENSE_IJSD_SD_EEES6_PlJ7is_evenIiEEEE10hipError_tPvRmT3_T4_T5_T6_T7_T9_mT8_P12ihipStream_tbDpT10_ENKUlT_T0_E_clISt17integral_constantIbLb0EES12_IbLb1EEEEDaSY_SZ_EUlSY_E_NS1_11comp_targetILNS1_3genE4ELNS1_11target_archE910ELNS1_3gpuE8ELNS1_3repE0EEENS1_30default_config_static_selectorELNS0_4arch9wavefront6targetE1EEEvT1_ ; -- Begin function _ZN7rocprim17ROCPRIM_400000_NS6detail17trampoline_kernelINS0_14default_configENS1_25partition_config_selectorILNS1_17partition_subalgoE0EiNS0_10empty_typeEbEEZZNS1_14partition_implILS5_0ELb0ES3_jN6thrust23THRUST_200600_302600_NS10device_ptrIiEEPS6_SD_NS0_5tupleIJSC_SC_EEENSE_IJSD_SD_EEES6_PlJ7is_evenIiEEEE10hipError_tPvRmT3_T4_T5_T6_T7_T9_mT8_P12ihipStream_tbDpT10_ENKUlT_T0_E_clISt17integral_constantIbLb0EES12_IbLb1EEEEDaSY_SZ_EUlSY_E_NS1_11comp_targetILNS1_3genE4ELNS1_11target_archE910ELNS1_3gpuE8ELNS1_3repE0EEENS1_30default_config_static_selectorELNS0_4arch9wavefront6targetE1EEEvT1_
	.globl	_ZN7rocprim17ROCPRIM_400000_NS6detail17trampoline_kernelINS0_14default_configENS1_25partition_config_selectorILNS1_17partition_subalgoE0EiNS0_10empty_typeEbEEZZNS1_14partition_implILS5_0ELb0ES3_jN6thrust23THRUST_200600_302600_NS10device_ptrIiEEPS6_SD_NS0_5tupleIJSC_SC_EEENSE_IJSD_SD_EEES6_PlJ7is_evenIiEEEE10hipError_tPvRmT3_T4_T5_T6_T7_T9_mT8_P12ihipStream_tbDpT10_ENKUlT_T0_E_clISt17integral_constantIbLb0EES12_IbLb1EEEEDaSY_SZ_EUlSY_E_NS1_11comp_targetILNS1_3genE4ELNS1_11target_archE910ELNS1_3gpuE8ELNS1_3repE0EEENS1_30default_config_static_selectorELNS0_4arch9wavefront6targetE1EEEvT1_
	.p2align	8
	.type	_ZN7rocprim17ROCPRIM_400000_NS6detail17trampoline_kernelINS0_14default_configENS1_25partition_config_selectorILNS1_17partition_subalgoE0EiNS0_10empty_typeEbEEZZNS1_14partition_implILS5_0ELb0ES3_jN6thrust23THRUST_200600_302600_NS10device_ptrIiEEPS6_SD_NS0_5tupleIJSC_SC_EEENSE_IJSD_SD_EEES6_PlJ7is_evenIiEEEE10hipError_tPvRmT3_T4_T5_T6_T7_T9_mT8_P12ihipStream_tbDpT10_ENKUlT_T0_E_clISt17integral_constantIbLb0EES12_IbLb1EEEEDaSY_SZ_EUlSY_E_NS1_11comp_targetILNS1_3genE4ELNS1_11target_archE910ELNS1_3gpuE8ELNS1_3repE0EEENS1_30default_config_static_selectorELNS0_4arch9wavefront6targetE1EEEvT1_,@function
_ZN7rocprim17ROCPRIM_400000_NS6detail17trampoline_kernelINS0_14default_configENS1_25partition_config_selectorILNS1_17partition_subalgoE0EiNS0_10empty_typeEbEEZZNS1_14partition_implILS5_0ELb0ES3_jN6thrust23THRUST_200600_302600_NS10device_ptrIiEEPS6_SD_NS0_5tupleIJSC_SC_EEENSE_IJSD_SD_EEES6_PlJ7is_evenIiEEEE10hipError_tPvRmT3_T4_T5_T6_T7_T9_mT8_P12ihipStream_tbDpT10_ENKUlT_T0_E_clISt17integral_constantIbLb0EES12_IbLb1EEEEDaSY_SZ_EUlSY_E_NS1_11comp_targetILNS1_3genE4ELNS1_11target_archE910ELNS1_3gpuE8ELNS1_3repE0EEENS1_30default_config_static_selectorELNS0_4arch9wavefront6targetE1EEEvT1_: ; @_ZN7rocprim17ROCPRIM_400000_NS6detail17trampoline_kernelINS0_14default_configENS1_25partition_config_selectorILNS1_17partition_subalgoE0EiNS0_10empty_typeEbEEZZNS1_14partition_implILS5_0ELb0ES3_jN6thrust23THRUST_200600_302600_NS10device_ptrIiEEPS6_SD_NS0_5tupleIJSC_SC_EEENSE_IJSD_SD_EEES6_PlJ7is_evenIiEEEE10hipError_tPvRmT3_T4_T5_T6_T7_T9_mT8_P12ihipStream_tbDpT10_ENKUlT_T0_E_clISt17integral_constantIbLb0EES12_IbLb1EEEEDaSY_SZ_EUlSY_E_NS1_11comp_targetILNS1_3genE4ELNS1_11target_archE910ELNS1_3gpuE8ELNS1_3repE0EEENS1_30default_config_static_selectorELNS0_4arch9wavefront6targetE1EEEvT1_
; %bb.0:
	.section	.rodata,"a",@progbits
	.p2align	6, 0x0
	.amdhsa_kernel _ZN7rocprim17ROCPRIM_400000_NS6detail17trampoline_kernelINS0_14default_configENS1_25partition_config_selectorILNS1_17partition_subalgoE0EiNS0_10empty_typeEbEEZZNS1_14partition_implILS5_0ELb0ES3_jN6thrust23THRUST_200600_302600_NS10device_ptrIiEEPS6_SD_NS0_5tupleIJSC_SC_EEENSE_IJSD_SD_EEES6_PlJ7is_evenIiEEEE10hipError_tPvRmT3_T4_T5_T6_T7_T9_mT8_P12ihipStream_tbDpT10_ENKUlT_T0_E_clISt17integral_constantIbLb0EES12_IbLb1EEEEDaSY_SZ_EUlSY_E_NS1_11comp_targetILNS1_3genE4ELNS1_11target_archE910ELNS1_3gpuE8ELNS1_3repE0EEENS1_30default_config_static_selectorELNS0_4arch9wavefront6targetE1EEEvT1_
		.amdhsa_group_segment_fixed_size 0
		.amdhsa_private_segment_fixed_size 0
		.amdhsa_kernarg_size 136
		.amdhsa_user_sgpr_count 2
		.amdhsa_user_sgpr_dispatch_ptr 0
		.amdhsa_user_sgpr_queue_ptr 0
		.amdhsa_user_sgpr_kernarg_segment_ptr 1
		.amdhsa_user_sgpr_dispatch_id 0
		.amdhsa_user_sgpr_kernarg_preload_length 0
		.amdhsa_user_sgpr_kernarg_preload_offset 0
		.amdhsa_user_sgpr_private_segment_size 0
		.amdhsa_uses_dynamic_stack 0
		.amdhsa_enable_private_segment 0
		.amdhsa_system_sgpr_workgroup_id_x 1
		.amdhsa_system_sgpr_workgroup_id_y 0
		.amdhsa_system_sgpr_workgroup_id_z 0
		.amdhsa_system_sgpr_workgroup_info 0
		.amdhsa_system_vgpr_workitem_id 0
		.amdhsa_next_free_vgpr 1
		.amdhsa_next_free_sgpr 0
		.amdhsa_accum_offset 4
		.amdhsa_reserve_vcc 0
		.amdhsa_float_round_mode_32 0
		.amdhsa_float_round_mode_16_64 0
		.amdhsa_float_denorm_mode_32 3
		.amdhsa_float_denorm_mode_16_64 3
		.amdhsa_dx10_clamp 1
		.amdhsa_ieee_mode 1
		.amdhsa_fp16_overflow 0
		.amdhsa_tg_split 0
		.amdhsa_exception_fp_ieee_invalid_op 0
		.amdhsa_exception_fp_denorm_src 0
		.amdhsa_exception_fp_ieee_div_zero 0
		.amdhsa_exception_fp_ieee_overflow 0
		.amdhsa_exception_fp_ieee_underflow 0
		.amdhsa_exception_fp_ieee_inexact 0
		.amdhsa_exception_int_div_zero 0
	.end_amdhsa_kernel
	.section	.text._ZN7rocprim17ROCPRIM_400000_NS6detail17trampoline_kernelINS0_14default_configENS1_25partition_config_selectorILNS1_17partition_subalgoE0EiNS0_10empty_typeEbEEZZNS1_14partition_implILS5_0ELb0ES3_jN6thrust23THRUST_200600_302600_NS10device_ptrIiEEPS6_SD_NS0_5tupleIJSC_SC_EEENSE_IJSD_SD_EEES6_PlJ7is_evenIiEEEE10hipError_tPvRmT3_T4_T5_T6_T7_T9_mT8_P12ihipStream_tbDpT10_ENKUlT_T0_E_clISt17integral_constantIbLb0EES12_IbLb1EEEEDaSY_SZ_EUlSY_E_NS1_11comp_targetILNS1_3genE4ELNS1_11target_archE910ELNS1_3gpuE8ELNS1_3repE0EEENS1_30default_config_static_selectorELNS0_4arch9wavefront6targetE1EEEvT1_,"axG",@progbits,_ZN7rocprim17ROCPRIM_400000_NS6detail17trampoline_kernelINS0_14default_configENS1_25partition_config_selectorILNS1_17partition_subalgoE0EiNS0_10empty_typeEbEEZZNS1_14partition_implILS5_0ELb0ES3_jN6thrust23THRUST_200600_302600_NS10device_ptrIiEEPS6_SD_NS0_5tupleIJSC_SC_EEENSE_IJSD_SD_EEES6_PlJ7is_evenIiEEEE10hipError_tPvRmT3_T4_T5_T6_T7_T9_mT8_P12ihipStream_tbDpT10_ENKUlT_T0_E_clISt17integral_constantIbLb0EES12_IbLb1EEEEDaSY_SZ_EUlSY_E_NS1_11comp_targetILNS1_3genE4ELNS1_11target_archE910ELNS1_3gpuE8ELNS1_3repE0EEENS1_30default_config_static_selectorELNS0_4arch9wavefront6targetE1EEEvT1_,comdat
.Lfunc_end3720:
	.size	_ZN7rocprim17ROCPRIM_400000_NS6detail17trampoline_kernelINS0_14default_configENS1_25partition_config_selectorILNS1_17partition_subalgoE0EiNS0_10empty_typeEbEEZZNS1_14partition_implILS5_0ELb0ES3_jN6thrust23THRUST_200600_302600_NS10device_ptrIiEEPS6_SD_NS0_5tupleIJSC_SC_EEENSE_IJSD_SD_EEES6_PlJ7is_evenIiEEEE10hipError_tPvRmT3_T4_T5_T6_T7_T9_mT8_P12ihipStream_tbDpT10_ENKUlT_T0_E_clISt17integral_constantIbLb0EES12_IbLb1EEEEDaSY_SZ_EUlSY_E_NS1_11comp_targetILNS1_3genE4ELNS1_11target_archE910ELNS1_3gpuE8ELNS1_3repE0EEENS1_30default_config_static_selectorELNS0_4arch9wavefront6targetE1EEEvT1_, .Lfunc_end3720-_ZN7rocprim17ROCPRIM_400000_NS6detail17trampoline_kernelINS0_14default_configENS1_25partition_config_selectorILNS1_17partition_subalgoE0EiNS0_10empty_typeEbEEZZNS1_14partition_implILS5_0ELb0ES3_jN6thrust23THRUST_200600_302600_NS10device_ptrIiEEPS6_SD_NS0_5tupleIJSC_SC_EEENSE_IJSD_SD_EEES6_PlJ7is_evenIiEEEE10hipError_tPvRmT3_T4_T5_T6_T7_T9_mT8_P12ihipStream_tbDpT10_ENKUlT_T0_E_clISt17integral_constantIbLb0EES12_IbLb1EEEEDaSY_SZ_EUlSY_E_NS1_11comp_targetILNS1_3genE4ELNS1_11target_archE910ELNS1_3gpuE8ELNS1_3repE0EEENS1_30default_config_static_selectorELNS0_4arch9wavefront6targetE1EEEvT1_
                                        ; -- End function
	.section	.AMDGPU.csdata,"",@progbits
; Kernel info:
; codeLenInByte = 0
; NumSgprs: 6
; NumVgprs: 0
; NumAgprs: 0
; TotalNumVgprs: 0
; ScratchSize: 0
; MemoryBound: 0
; FloatMode: 240
; IeeeMode: 1
; LDSByteSize: 0 bytes/workgroup (compile time only)
; SGPRBlocks: 0
; VGPRBlocks: 0
; NumSGPRsForWavesPerEU: 6
; NumVGPRsForWavesPerEU: 1
; AccumOffset: 4
; Occupancy: 8
; WaveLimiterHint : 0
; COMPUTE_PGM_RSRC2:SCRATCH_EN: 0
; COMPUTE_PGM_RSRC2:USER_SGPR: 2
; COMPUTE_PGM_RSRC2:TRAP_HANDLER: 0
; COMPUTE_PGM_RSRC2:TGID_X_EN: 1
; COMPUTE_PGM_RSRC2:TGID_Y_EN: 0
; COMPUTE_PGM_RSRC2:TGID_Z_EN: 0
; COMPUTE_PGM_RSRC2:TIDIG_COMP_CNT: 0
; COMPUTE_PGM_RSRC3_GFX90A:ACCUM_OFFSET: 0
; COMPUTE_PGM_RSRC3_GFX90A:TG_SPLIT: 0
	.section	.text._ZN7rocprim17ROCPRIM_400000_NS6detail17trampoline_kernelINS0_14default_configENS1_25partition_config_selectorILNS1_17partition_subalgoE0EiNS0_10empty_typeEbEEZZNS1_14partition_implILS5_0ELb0ES3_jN6thrust23THRUST_200600_302600_NS10device_ptrIiEEPS6_SD_NS0_5tupleIJSC_SC_EEENSE_IJSD_SD_EEES6_PlJ7is_evenIiEEEE10hipError_tPvRmT3_T4_T5_T6_T7_T9_mT8_P12ihipStream_tbDpT10_ENKUlT_T0_E_clISt17integral_constantIbLb0EES12_IbLb1EEEEDaSY_SZ_EUlSY_E_NS1_11comp_targetILNS1_3genE3ELNS1_11target_archE908ELNS1_3gpuE7ELNS1_3repE0EEENS1_30default_config_static_selectorELNS0_4arch9wavefront6targetE1EEEvT1_,"axG",@progbits,_ZN7rocprim17ROCPRIM_400000_NS6detail17trampoline_kernelINS0_14default_configENS1_25partition_config_selectorILNS1_17partition_subalgoE0EiNS0_10empty_typeEbEEZZNS1_14partition_implILS5_0ELb0ES3_jN6thrust23THRUST_200600_302600_NS10device_ptrIiEEPS6_SD_NS0_5tupleIJSC_SC_EEENSE_IJSD_SD_EEES6_PlJ7is_evenIiEEEE10hipError_tPvRmT3_T4_T5_T6_T7_T9_mT8_P12ihipStream_tbDpT10_ENKUlT_T0_E_clISt17integral_constantIbLb0EES12_IbLb1EEEEDaSY_SZ_EUlSY_E_NS1_11comp_targetILNS1_3genE3ELNS1_11target_archE908ELNS1_3gpuE7ELNS1_3repE0EEENS1_30default_config_static_selectorELNS0_4arch9wavefront6targetE1EEEvT1_,comdat
	.protected	_ZN7rocprim17ROCPRIM_400000_NS6detail17trampoline_kernelINS0_14default_configENS1_25partition_config_selectorILNS1_17partition_subalgoE0EiNS0_10empty_typeEbEEZZNS1_14partition_implILS5_0ELb0ES3_jN6thrust23THRUST_200600_302600_NS10device_ptrIiEEPS6_SD_NS0_5tupleIJSC_SC_EEENSE_IJSD_SD_EEES6_PlJ7is_evenIiEEEE10hipError_tPvRmT3_T4_T5_T6_T7_T9_mT8_P12ihipStream_tbDpT10_ENKUlT_T0_E_clISt17integral_constantIbLb0EES12_IbLb1EEEEDaSY_SZ_EUlSY_E_NS1_11comp_targetILNS1_3genE3ELNS1_11target_archE908ELNS1_3gpuE7ELNS1_3repE0EEENS1_30default_config_static_selectorELNS0_4arch9wavefront6targetE1EEEvT1_ ; -- Begin function _ZN7rocprim17ROCPRIM_400000_NS6detail17trampoline_kernelINS0_14default_configENS1_25partition_config_selectorILNS1_17partition_subalgoE0EiNS0_10empty_typeEbEEZZNS1_14partition_implILS5_0ELb0ES3_jN6thrust23THRUST_200600_302600_NS10device_ptrIiEEPS6_SD_NS0_5tupleIJSC_SC_EEENSE_IJSD_SD_EEES6_PlJ7is_evenIiEEEE10hipError_tPvRmT3_T4_T5_T6_T7_T9_mT8_P12ihipStream_tbDpT10_ENKUlT_T0_E_clISt17integral_constantIbLb0EES12_IbLb1EEEEDaSY_SZ_EUlSY_E_NS1_11comp_targetILNS1_3genE3ELNS1_11target_archE908ELNS1_3gpuE7ELNS1_3repE0EEENS1_30default_config_static_selectorELNS0_4arch9wavefront6targetE1EEEvT1_
	.globl	_ZN7rocprim17ROCPRIM_400000_NS6detail17trampoline_kernelINS0_14default_configENS1_25partition_config_selectorILNS1_17partition_subalgoE0EiNS0_10empty_typeEbEEZZNS1_14partition_implILS5_0ELb0ES3_jN6thrust23THRUST_200600_302600_NS10device_ptrIiEEPS6_SD_NS0_5tupleIJSC_SC_EEENSE_IJSD_SD_EEES6_PlJ7is_evenIiEEEE10hipError_tPvRmT3_T4_T5_T6_T7_T9_mT8_P12ihipStream_tbDpT10_ENKUlT_T0_E_clISt17integral_constantIbLb0EES12_IbLb1EEEEDaSY_SZ_EUlSY_E_NS1_11comp_targetILNS1_3genE3ELNS1_11target_archE908ELNS1_3gpuE7ELNS1_3repE0EEENS1_30default_config_static_selectorELNS0_4arch9wavefront6targetE1EEEvT1_
	.p2align	8
	.type	_ZN7rocprim17ROCPRIM_400000_NS6detail17trampoline_kernelINS0_14default_configENS1_25partition_config_selectorILNS1_17partition_subalgoE0EiNS0_10empty_typeEbEEZZNS1_14partition_implILS5_0ELb0ES3_jN6thrust23THRUST_200600_302600_NS10device_ptrIiEEPS6_SD_NS0_5tupleIJSC_SC_EEENSE_IJSD_SD_EEES6_PlJ7is_evenIiEEEE10hipError_tPvRmT3_T4_T5_T6_T7_T9_mT8_P12ihipStream_tbDpT10_ENKUlT_T0_E_clISt17integral_constantIbLb0EES12_IbLb1EEEEDaSY_SZ_EUlSY_E_NS1_11comp_targetILNS1_3genE3ELNS1_11target_archE908ELNS1_3gpuE7ELNS1_3repE0EEENS1_30default_config_static_selectorELNS0_4arch9wavefront6targetE1EEEvT1_,@function
_ZN7rocprim17ROCPRIM_400000_NS6detail17trampoline_kernelINS0_14default_configENS1_25partition_config_selectorILNS1_17partition_subalgoE0EiNS0_10empty_typeEbEEZZNS1_14partition_implILS5_0ELb0ES3_jN6thrust23THRUST_200600_302600_NS10device_ptrIiEEPS6_SD_NS0_5tupleIJSC_SC_EEENSE_IJSD_SD_EEES6_PlJ7is_evenIiEEEE10hipError_tPvRmT3_T4_T5_T6_T7_T9_mT8_P12ihipStream_tbDpT10_ENKUlT_T0_E_clISt17integral_constantIbLb0EES12_IbLb1EEEEDaSY_SZ_EUlSY_E_NS1_11comp_targetILNS1_3genE3ELNS1_11target_archE908ELNS1_3gpuE7ELNS1_3repE0EEENS1_30default_config_static_selectorELNS0_4arch9wavefront6targetE1EEEvT1_: ; @_ZN7rocprim17ROCPRIM_400000_NS6detail17trampoline_kernelINS0_14default_configENS1_25partition_config_selectorILNS1_17partition_subalgoE0EiNS0_10empty_typeEbEEZZNS1_14partition_implILS5_0ELb0ES3_jN6thrust23THRUST_200600_302600_NS10device_ptrIiEEPS6_SD_NS0_5tupleIJSC_SC_EEENSE_IJSD_SD_EEES6_PlJ7is_evenIiEEEE10hipError_tPvRmT3_T4_T5_T6_T7_T9_mT8_P12ihipStream_tbDpT10_ENKUlT_T0_E_clISt17integral_constantIbLb0EES12_IbLb1EEEEDaSY_SZ_EUlSY_E_NS1_11comp_targetILNS1_3genE3ELNS1_11target_archE908ELNS1_3gpuE7ELNS1_3repE0EEENS1_30default_config_static_selectorELNS0_4arch9wavefront6targetE1EEEvT1_
; %bb.0:
	.section	.rodata,"a",@progbits
	.p2align	6, 0x0
	.amdhsa_kernel _ZN7rocprim17ROCPRIM_400000_NS6detail17trampoline_kernelINS0_14default_configENS1_25partition_config_selectorILNS1_17partition_subalgoE0EiNS0_10empty_typeEbEEZZNS1_14partition_implILS5_0ELb0ES3_jN6thrust23THRUST_200600_302600_NS10device_ptrIiEEPS6_SD_NS0_5tupleIJSC_SC_EEENSE_IJSD_SD_EEES6_PlJ7is_evenIiEEEE10hipError_tPvRmT3_T4_T5_T6_T7_T9_mT8_P12ihipStream_tbDpT10_ENKUlT_T0_E_clISt17integral_constantIbLb0EES12_IbLb1EEEEDaSY_SZ_EUlSY_E_NS1_11comp_targetILNS1_3genE3ELNS1_11target_archE908ELNS1_3gpuE7ELNS1_3repE0EEENS1_30default_config_static_selectorELNS0_4arch9wavefront6targetE1EEEvT1_
		.amdhsa_group_segment_fixed_size 0
		.amdhsa_private_segment_fixed_size 0
		.amdhsa_kernarg_size 136
		.amdhsa_user_sgpr_count 2
		.amdhsa_user_sgpr_dispatch_ptr 0
		.amdhsa_user_sgpr_queue_ptr 0
		.amdhsa_user_sgpr_kernarg_segment_ptr 1
		.amdhsa_user_sgpr_dispatch_id 0
		.amdhsa_user_sgpr_kernarg_preload_length 0
		.amdhsa_user_sgpr_kernarg_preload_offset 0
		.amdhsa_user_sgpr_private_segment_size 0
		.amdhsa_uses_dynamic_stack 0
		.amdhsa_enable_private_segment 0
		.amdhsa_system_sgpr_workgroup_id_x 1
		.amdhsa_system_sgpr_workgroup_id_y 0
		.amdhsa_system_sgpr_workgroup_id_z 0
		.amdhsa_system_sgpr_workgroup_info 0
		.amdhsa_system_vgpr_workitem_id 0
		.amdhsa_next_free_vgpr 1
		.amdhsa_next_free_sgpr 0
		.amdhsa_accum_offset 4
		.amdhsa_reserve_vcc 0
		.amdhsa_float_round_mode_32 0
		.amdhsa_float_round_mode_16_64 0
		.amdhsa_float_denorm_mode_32 3
		.amdhsa_float_denorm_mode_16_64 3
		.amdhsa_dx10_clamp 1
		.amdhsa_ieee_mode 1
		.amdhsa_fp16_overflow 0
		.amdhsa_tg_split 0
		.amdhsa_exception_fp_ieee_invalid_op 0
		.amdhsa_exception_fp_denorm_src 0
		.amdhsa_exception_fp_ieee_div_zero 0
		.amdhsa_exception_fp_ieee_overflow 0
		.amdhsa_exception_fp_ieee_underflow 0
		.amdhsa_exception_fp_ieee_inexact 0
		.amdhsa_exception_int_div_zero 0
	.end_amdhsa_kernel
	.section	.text._ZN7rocprim17ROCPRIM_400000_NS6detail17trampoline_kernelINS0_14default_configENS1_25partition_config_selectorILNS1_17partition_subalgoE0EiNS0_10empty_typeEbEEZZNS1_14partition_implILS5_0ELb0ES3_jN6thrust23THRUST_200600_302600_NS10device_ptrIiEEPS6_SD_NS0_5tupleIJSC_SC_EEENSE_IJSD_SD_EEES6_PlJ7is_evenIiEEEE10hipError_tPvRmT3_T4_T5_T6_T7_T9_mT8_P12ihipStream_tbDpT10_ENKUlT_T0_E_clISt17integral_constantIbLb0EES12_IbLb1EEEEDaSY_SZ_EUlSY_E_NS1_11comp_targetILNS1_3genE3ELNS1_11target_archE908ELNS1_3gpuE7ELNS1_3repE0EEENS1_30default_config_static_selectorELNS0_4arch9wavefront6targetE1EEEvT1_,"axG",@progbits,_ZN7rocprim17ROCPRIM_400000_NS6detail17trampoline_kernelINS0_14default_configENS1_25partition_config_selectorILNS1_17partition_subalgoE0EiNS0_10empty_typeEbEEZZNS1_14partition_implILS5_0ELb0ES3_jN6thrust23THRUST_200600_302600_NS10device_ptrIiEEPS6_SD_NS0_5tupleIJSC_SC_EEENSE_IJSD_SD_EEES6_PlJ7is_evenIiEEEE10hipError_tPvRmT3_T4_T5_T6_T7_T9_mT8_P12ihipStream_tbDpT10_ENKUlT_T0_E_clISt17integral_constantIbLb0EES12_IbLb1EEEEDaSY_SZ_EUlSY_E_NS1_11comp_targetILNS1_3genE3ELNS1_11target_archE908ELNS1_3gpuE7ELNS1_3repE0EEENS1_30default_config_static_selectorELNS0_4arch9wavefront6targetE1EEEvT1_,comdat
.Lfunc_end3721:
	.size	_ZN7rocprim17ROCPRIM_400000_NS6detail17trampoline_kernelINS0_14default_configENS1_25partition_config_selectorILNS1_17partition_subalgoE0EiNS0_10empty_typeEbEEZZNS1_14partition_implILS5_0ELb0ES3_jN6thrust23THRUST_200600_302600_NS10device_ptrIiEEPS6_SD_NS0_5tupleIJSC_SC_EEENSE_IJSD_SD_EEES6_PlJ7is_evenIiEEEE10hipError_tPvRmT3_T4_T5_T6_T7_T9_mT8_P12ihipStream_tbDpT10_ENKUlT_T0_E_clISt17integral_constantIbLb0EES12_IbLb1EEEEDaSY_SZ_EUlSY_E_NS1_11comp_targetILNS1_3genE3ELNS1_11target_archE908ELNS1_3gpuE7ELNS1_3repE0EEENS1_30default_config_static_selectorELNS0_4arch9wavefront6targetE1EEEvT1_, .Lfunc_end3721-_ZN7rocprim17ROCPRIM_400000_NS6detail17trampoline_kernelINS0_14default_configENS1_25partition_config_selectorILNS1_17partition_subalgoE0EiNS0_10empty_typeEbEEZZNS1_14partition_implILS5_0ELb0ES3_jN6thrust23THRUST_200600_302600_NS10device_ptrIiEEPS6_SD_NS0_5tupleIJSC_SC_EEENSE_IJSD_SD_EEES6_PlJ7is_evenIiEEEE10hipError_tPvRmT3_T4_T5_T6_T7_T9_mT8_P12ihipStream_tbDpT10_ENKUlT_T0_E_clISt17integral_constantIbLb0EES12_IbLb1EEEEDaSY_SZ_EUlSY_E_NS1_11comp_targetILNS1_3genE3ELNS1_11target_archE908ELNS1_3gpuE7ELNS1_3repE0EEENS1_30default_config_static_selectorELNS0_4arch9wavefront6targetE1EEEvT1_
                                        ; -- End function
	.section	.AMDGPU.csdata,"",@progbits
; Kernel info:
; codeLenInByte = 0
; NumSgprs: 6
; NumVgprs: 0
; NumAgprs: 0
; TotalNumVgprs: 0
; ScratchSize: 0
; MemoryBound: 0
; FloatMode: 240
; IeeeMode: 1
; LDSByteSize: 0 bytes/workgroup (compile time only)
; SGPRBlocks: 0
; VGPRBlocks: 0
; NumSGPRsForWavesPerEU: 6
; NumVGPRsForWavesPerEU: 1
; AccumOffset: 4
; Occupancy: 8
; WaveLimiterHint : 0
; COMPUTE_PGM_RSRC2:SCRATCH_EN: 0
; COMPUTE_PGM_RSRC2:USER_SGPR: 2
; COMPUTE_PGM_RSRC2:TRAP_HANDLER: 0
; COMPUTE_PGM_RSRC2:TGID_X_EN: 1
; COMPUTE_PGM_RSRC2:TGID_Y_EN: 0
; COMPUTE_PGM_RSRC2:TGID_Z_EN: 0
; COMPUTE_PGM_RSRC2:TIDIG_COMP_CNT: 0
; COMPUTE_PGM_RSRC3_GFX90A:ACCUM_OFFSET: 0
; COMPUTE_PGM_RSRC3_GFX90A:TG_SPLIT: 0
	.section	.text._ZN7rocprim17ROCPRIM_400000_NS6detail17trampoline_kernelINS0_14default_configENS1_25partition_config_selectorILNS1_17partition_subalgoE0EiNS0_10empty_typeEbEEZZNS1_14partition_implILS5_0ELb0ES3_jN6thrust23THRUST_200600_302600_NS10device_ptrIiEEPS6_SD_NS0_5tupleIJSC_SC_EEENSE_IJSD_SD_EEES6_PlJ7is_evenIiEEEE10hipError_tPvRmT3_T4_T5_T6_T7_T9_mT8_P12ihipStream_tbDpT10_ENKUlT_T0_E_clISt17integral_constantIbLb0EES12_IbLb1EEEEDaSY_SZ_EUlSY_E_NS1_11comp_targetILNS1_3genE2ELNS1_11target_archE906ELNS1_3gpuE6ELNS1_3repE0EEENS1_30default_config_static_selectorELNS0_4arch9wavefront6targetE1EEEvT1_,"axG",@progbits,_ZN7rocprim17ROCPRIM_400000_NS6detail17trampoline_kernelINS0_14default_configENS1_25partition_config_selectorILNS1_17partition_subalgoE0EiNS0_10empty_typeEbEEZZNS1_14partition_implILS5_0ELb0ES3_jN6thrust23THRUST_200600_302600_NS10device_ptrIiEEPS6_SD_NS0_5tupleIJSC_SC_EEENSE_IJSD_SD_EEES6_PlJ7is_evenIiEEEE10hipError_tPvRmT3_T4_T5_T6_T7_T9_mT8_P12ihipStream_tbDpT10_ENKUlT_T0_E_clISt17integral_constantIbLb0EES12_IbLb1EEEEDaSY_SZ_EUlSY_E_NS1_11comp_targetILNS1_3genE2ELNS1_11target_archE906ELNS1_3gpuE6ELNS1_3repE0EEENS1_30default_config_static_selectorELNS0_4arch9wavefront6targetE1EEEvT1_,comdat
	.protected	_ZN7rocprim17ROCPRIM_400000_NS6detail17trampoline_kernelINS0_14default_configENS1_25partition_config_selectorILNS1_17partition_subalgoE0EiNS0_10empty_typeEbEEZZNS1_14partition_implILS5_0ELb0ES3_jN6thrust23THRUST_200600_302600_NS10device_ptrIiEEPS6_SD_NS0_5tupleIJSC_SC_EEENSE_IJSD_SD_EEES6_PlJ7is_evenIiEEEE10hipError_tPvRmT3_T4_T5_T6_T7_T9_mT8_P12ihipStream_tbDpT10_ENKUlT_T0_E_clISt17integral_constantIbLb0EES12_IbLb1EEEEDaSY_SZ_EUlSY_E_NS1_11comp_targetILNS1_3genE2ELNS1_11target_archE906ELNS1_3gpuE6ELNS1_3repE0EEENS1_30default_config_static_selectorELNS0_4arch9wavefront6targetE1EEEvT1_ ; -- Begin function _ZN7rocprim17ROCPRIM_400000_NS6detail17trampoline_kernelINS0_14default_configENS1_25partition_config_selectorILNS1_17partition_subalgoE0EiNS0_10empty_typeEbEEZZNS1_14partition_implILS5_0ELb0ES3_jN6thrust23THRUST_200600_302600_NS10device_ptrIiEEPS6_SD_NS0_5tupleIJSC_SC_EEENSE_IJSD_SD_EEES6_PlJ7is_evenIiEEEE10hipError_tPvRmT3_T4_T5_T6_T7_T9_mT8_P12ihipStream_tbDpT10_ENKUlT_T0_E_clISt17integral_constantIbLb0EES12_IbLb1EEEEDaSY_SZ_EUlSY_E_NS1_11comp_targetILNS1_3genE2ELNS1_11target_archE906ELNS1_3gpuE6ELNS1_3repE0EEENS1_30default_config_static_selectorELNS0_4arch9wavefront6targetE1EEEvT1_
	.globl	_ZN7rocprim17ROCPRIM_400000_NS6detail17trampoline_kernelINS0_14default_configENS1_25partition_config_selectorILNS1_17partition_subalgoE0EiNS0_10empty_typeEbEEZZNS1_14partition_implILS5_0ELb0ES3_jN6thrust23THRUST_200600_302600_NS10device_ptrIiEEPS6_SD_NS0_5tupleIJSC_SC_EEENSE_IJSD_SD_EEES6_PlJ7is_evenIiEEEE10hipError_tPvRmT3_T4_T5_T6_T7_T9_mT8_P12ihipStream_tbDpT10_ENKUlT_T0_E_clISt17integral_constantIbLb0EES12_IbLb1EEEEDaSY_SZ_EUlSY_E_NS1_11comp_targetILNS1_3genE2ELNS1_11target_archE906ELNS1_3gpuE6ELNS1_3repE0EEENS1_30default_config_static_selectorELNS0_4arch9wavefront6targetE1EEEvT1_
	.p2align	8
	.type	_ZN7rocprim17ROCPRIM_400000_NS6detail17trampoline_kernelINS0_14default_configENS1_25partition_config_selectorILNS1_17partition_subalgoE0EiNS0_10empty_typeEbEEZZNS1_14partition_implILS5_0ELb0ES3_jN6thrust23THRUST_200600_302600_NS10device_ptrIiEEPS6_SD_NS0_5tupleIJSC_SC_EEENSE_IJSD_SD_EEES6_PlJ7is_evenIiEEEE10hipError_tPvRmT3_T4_T5_T6_T7_T9_mT8_P12ihipStream_tbDpT10_ENKUlT_T0_E_clISt17integral_constantIbLb0EES12_IbLb1EEEEDaSY_SZ_EUlSY_E_NS1_11comp_targetILNS1_3genE2ELNS1_11target_archE906ELNS1_3gpuE6ELNS1_3repE0EEENS1_30default_config_static_selectorELNS0_4arch9wavefront6targetE1EEEvT1_,@function
_ZN7rocprim17ROCPRIM_400000_NS6detail17trampoline_kernelINS0_14default_configENS1_25partition_config_selectorILNS1_17partition_subalgoE0EiNS0_10empty_typeEbEEZZNS1_14partition_implILS5_0ELb0ES3_jN6thrust23THRUST_200600_302600_NS10device_ptrIiEEPS6_SD_NS0_5tupleIJSC_SC_EEENSE_IJSD_SD_EEES6_PlJ7is_evenIiEEEE10hipError_tPvRmT3_T4_T5_T6_T7_T9_mT8_P12ihipStream_tbDpT10_ENKUlT_T0_E_clISt17integral_constantIbLb0EES12_IbLb1EEEEDaSY_SZ_EUlSY_E_NS1_11comp_targetILNS1_3genE2ELNS1_11target_archE906ELNS1_3gpuE6ELNS1_3repE0EEENS1_30default_config_static_selectorELNS0_4arch9wavefront6targetE1EEEvT1_: ; @_ZN7rocprim17ROCPRIM_400000_NS6detail17trampoline_kernelINS0_14default_configENS1_25partition_config_selectorILNS1_17partition_subalgoE0EiNS0_10empty_typeEbEEZZNS1_14partition_implILS5_0ELb0ES3_jN6thrust23THRUST_200600_302600_NS10device_ptrIiEEPS6_SD_NS0_5tupleIJSC_SC_EEENSE_IJSD_SD_EEES6_PlJ7is_evenIiEEEE10hipError_tPvRmT3_T4_T5_T6_T7_T9_mT8_P12ihipStream_tbDpT10_ENKUlT_T0_E_clISt17integral_constantIbLb0EES12_IbLb1EEEEDaSY_SZ_EUlSY_E_NS1_11comp_targetILNS1_3genE2ELNS1_11target_archE906ELNS1_3gpuE6ELNS1_3repE0EEENS1_30default_config_static_selectorELNS0_4arch9wavefront6targetE1EEEvT1_
; %bb.0:
	.section	.rodata,"a",@progbits
	.p2align	6, 0x0
	.amdhsa_kernel _ZN7rocprim17ROCPRIM_400000_NS6detail17trampoline_kernelINS0_14default_configENS1_25partition_config_selectorILNS1_17partition_subalgoE0EiNS0_10empty_typeEbEEZZNS1_14partition_implILS5_0ELb0ES3_jN6thrust23THRUST_200600_302600_NS10device_ptrIiEEPS6_SD_NS0_5tupleIJSC_SC_EEENSE_IJSD_SD_EEES6_PlJ7is_evenIiEEEE10hipError_tPvRmT3_T4_T5_T6_T7_T9_mT8_P12ihipStream_tbDpT10_ENKUlT_T0_E_clISt17integral_constantIbLb0EES12_IbLb1EEEEDaSY_SZ_EUlSY_E_NS1_11comp_targetILNS1_3genE2ELNS1_11target_archE906ELNS1_3gpuE6ELNS1_3repE0EEENS1_30default_config_static_selectorELNS0_4arch9wavefront6targetE1EEEvT1_
		.amdhsa_group_segment_fixed_size 0
		.amdhsa_private_segment_fixed_size 0
		.amdhsa_kernarg_size 136
		.amdhsa_user_sgpr_count 2
		.amdhsa_user_sgpr_dispatch_ptr 0
		.amdhsa_user_sgpr_queue_ptr 0
		.amdhsa_user_sgpr_kernarg_segment_ptr 1
		.amdhsa_user_sgpr_dispatch_id 0
		.amdhsa_user_sgpr_kernarg_preload_length 0
		.amdhsa_user_sgpr_kernarg_preload_offset 0
		.amdhsa_user_sgpr_private_segment_size 0
		.amdhsa_uses_dynamic_stack 0
		.amdhsa_enable_private_segment 0
		.amdhsa_system_sgpr_workgroup_id_x 1
		.amdhsa_system_sgpr_workgroup_id_y 0
		.amdhsa_system_sgpr_workgroup_id_z 0
		.amdhsa_system_sgpr_workgroup_info 0
		.amdhsa_system_vgpr_workitem_id 0
		.amdhsa_next_free_vgpr 1
		.amdhsa_next_free_sgpr 0
		.amdhsa_accum_offset 4
		.amdhsa_reserve_vcc 0
		.amdhsa_float_round_mode_32 0
		.amdhsa_float_round_mode_16_64 0
		.amdhsa_float_denorm_mode_32 3
		.amdhsa_float_denorm_mode_16_64 3
		.amdhsa_dx10_clamp 1
		.amdhsa_ieee_mode 1
		.amdhsa_fp16_overflow 0
		.amdhsa_tg_split 0
		.amdhsa_exception_fp_ieee_invalid_op 0
		.amdhsa_exception_fp_denorm_src 0
		.amdhsa_exception_fp_ieee_div_zero 0
		.amdhsa_exception_fp_ieee_overflow 0
		.amdhsa_exception_fp_ieee_underflow 0
		.amdhsa_exception_fp_ieee_inexact 0
		.amdhsa_exception_int_div_zero 0
	.end_amdhsa_kernel
	.section	.text._ZN7rocprim17ROCPRIM_400000_NS6detail17trampoline_kernelINS0_14default_configENS1_25partition_config_selectorILNS1_17partition_subalgoE0EiNS0_10empty_typeEbEEZZNS1_14partition_implILS5_0ELb0ES3_jN6thrust23THRUST_200600_302600_NS10device_ptrIiEEPS6_SD_NS0_5tupleIJSC_SC_EEENSE_IJSD_SD_EEES6_PlJ7is_evenIiEEEE10hipError_tPvRmT3_T4_T5_T6_T7_T9_mT8_P12ihipStream_tbDpT10_ENKUlT_T0_E_clISt17integral_constantIbLb0EES12_IbLb1EEEEDaSY_SZ_EUlSY_E_NS1_11comp_targetILNS1_3genE2ELNS1_11target_archE906ELNS1_3gpuE6ELNS1_3repE0EEENS1_30default_config_static_selectorELNS0_4arch9wavefront6targetE1EEEvT1_,"axG",@progbits,_ZN7rocprim17ROCPRIM_400000_NS6detail17trampoline_kernelINS0_14default_configENS1_25partition_config_selectorILNS1_17partition_subalgoE0EiNS0_10empty_typeEbEEZZNS1_14partition_implILS5_0ELb0ES3_jN6thrust23THRUST_200600_302600_NS10device_ptrIiEEPS6_SD_NS0_5tupleIJSC_SC_EEENSE_IJSD_SD_EEES6_PlJ7is_evenIiEEEE10hipError_tPvRmT3_T4_T5_T6_T7_T9_mT8_P12ihipStream_tbDpT10_ENKUlT_T0_E_clISt17integral_constantIbLb0EES12_IbLb1EEEEDaSY_SZ_EUlSY_E_NS1_11comp_targetILNS1_3genE2ELNS1_11target_archE906ELNS1_3gpuE6ELNS1_3repE0EEENS1_30default_config_static_selectorELNS0_4arch9wavefront6targetE1EEEvT1_,comdat
.Lfunc_end3722:
	.size	_ZN7rocprim17ROCPRIM_400000_NS6detail17trampoline_kernelINS0_14default_configENS1_25partition_config_selectorILNS1_17partition_subalgoE0EiNS0_10empty_typeEbEEZZNS1_14partition_implILS5_0ELb0ES3_jN6thrust23THRUST_200600_302600_NS10device_ptrIiEEPS6_SD_NS0_5tupleIJSC_SC_EEENSE_IJSD_SD_EEES6_PlJ7is_evenIiEEEE10hipError_tPvRmT3_T4_T5_T6_T7_T9_mT8_P12ihipStream_tbDpT10_ENKUlT_T0_E_clISt17integral_constantIbLb0EES12_IbLb1EEEEDaSY_SZ_EUlSY_E_NS1_11comp_targetILNS1_3genE2ELNS1_11target_archE906ELNS1_3gpuE6ELNS1_3repE0EEENS1_30default_config_static_selectorELNS0_4arch9wavefront6targetE1EEEvT1_, .Lfunc_end3722-_ZN7rocprim17ROCPRIM_400000_NS6detail17trampoline_kernelINS0_14default_configENS1_25partition_config_selectorILNS1_17partition_subalgoE0EiNS0_10empty_typeEbEEZZNS1_14partition_implILS5_0ELb0ES3_jN6thrust23THRUST_200600_302600_NS10device_ptrIiEEPS6_SD_NS0_5tupleIJSC_SC_EEENSE_IJSD_SD_EEES6_PlJ7is_evenIiEEEE10hipError_tPvRmT3_T4_T5_T6_T7_T9_mT8_P12ihipStream_tbDpT10_ENKUlT_T0_E_clISt17integral_constantIbLb0EES12_IbLb1EEEEDaSY_SZ_EUlSY_E_NS1_11comp_targetILNS1_3genE2ELNS1_11target_archE906ELNS1_3gpuE6ELNS1_3repE0EEENS1_30default_config_static_selectorELNS0_4arch9wavefront6targetE1EEEvT1_
                                        ; -- End function
	.section	.AMDGPU.csdata,"",@progbits
; Kernel info:
; codeLenInByte = 0
; NumSgprs: 6
; NumVgprs: 0
; NumAgprs: 0
; TotalNumVgprs: 0
; ScratchSize: 0
; MemoryBound: 0
; FloatMode: 240
; IeeeMode: 1
; LDSByteSize: 0 bytes/workgroup (compile time only)
; SGPRBlocks: 0
; VGPRBlocks: 0
; NumSGPRsForWavesPerEU: 6
; NumVGPRsForWavesPerEU: 1
; AccumOffset: 4
; Occupancy: 8
; WaveLimiterHint : 0
; COMPUTE_PGM_RSRC2:SCRATCH_EN: 0
; COMPUTE_PGM_RSRC2:USER_SGPR: 2
; COMPUTE_PGM_RSRC2:TRAP_HANDLER: 0
; COMPUTE_PGM_RSRC2:TGID_X_EN: 1
; COMPUTE_PGM_RSRC2:TGID_Y_EN: 0
; COMPUTE_PGM_RSRC2:TGID_Z_EN: 0
; COMPUTE_PGM_RSRC2:TIDIG_COMP_CNT: 0
; COMPUTE_PGM_RSRC3_GFX90A:ACCUM_OFFSET: 0
; COMPUTE_PGM_RSRC3_GFX90A:TG_SPLIT: 0
	.section	.text._ZN7rocprim17ROCPRIM_400000_NS6detail17trampoline_kernelINS0_14default_configENS1_25partition_config_selectorILNS1_17partition_subalgoE0EiNS0_10empty_typeEbEEZZNS1_14partition_implILS5_0ELb0ES3_jN6thrust23THRUST_200600_302600_NS10device_ptrIiEEPS6_SD_NS0_5tupleIJSC_SC_EEENSE_IJSD_SD_EEES6_PlJ7is_evenIiEEEE10hipError_tPvRmT3_T4_T5_T6_T7_T9_mT8_P12ihipStream_tbDpT10_ENKUlT_T0_E_clISt17integral_constantIbLb0EES12_IbLb1EEEEDaSY_SZ_EUlSY_E_NS1_11comp_targetILNS1_3genE10ELNS1_11target_archE1200ELNS1_3gpuE4ELNS1_3repE0EEENS1_30default_config_static_selectorELNS0_4arch9wavefront6targetE1EEEvT1_,"axG",@progbits,_ZN7rocprim17ROCPRIM_400000_NS6detail17trampoline_kernelINS0_14default_configENS1_25partition_config_selectorILNS1_17partition_subalgoE0EiNS0_10empty_typeEbEEZZNS1_14partition_implILS5_0ELb0ES3_jN6thrust23THRUST_200600_302600_NS10device_ptrIiEEPS6_SD_NS0_5tupleIJSC_SC_EEENSE_IJSD_SD_EEES6_PlJ7is_evenIiEEEE10hipError_tPvRmT3_T4_T5_T6_T7_T9_mT8_P12ihipStream_tbDpT10_ENKUlT_T0_E_clISt17integral_constantIbLb0EES12_IbLb1EEEEDaSY_SZ_EUlSY_E_NS1_11comp_targetILNS1_3genE10ELNS1_11target_archE1200ELNS1_3gpuE4ELNS1_3repE0EEENS1_30default_config_static_selectorELNS0_4arch9wavefront6targetE1EEEvT1_,comdat
	.protected	_ZN7rocprim17ROCPRIM_400000_NS6detail17trampoline_kernelINS0_14default_configENS1_25partition_config_selectorILNS1_17partition_subalgoE0EiNS0_10empty_typeEbEEZZNS1_14partition_implILS5_0ELb0ES3_jN6thrust23THRUST_200600_302600_NS10device_ptrIiEEPS6_SD_NS0_5tupleIJSC_SC_EEENSE_IJSD_SD_EEES6_PlJ7is_evenIiEEEE10hipError_tPvRmT3_T4_T5_T6_T7_T9_mT8_P12ihipStream_tbDpT10_ENKUlT_T0_E_clISt17integral_constantIbLb0EES12_IbLb1EEEEDaSY_SZ_EUlSY_E_NS1_11comp_targetILNS1_3genE10ELNS1_11target_archE1200ELNS1_3gpuE4ELNS1_3repE0EEENS1_30default_config_static_selectorELNS0_4arch9wavefront6targetE1EEEvT1_ ; -- Begin function _ZN7rocprim17ROCPRIM_400000_NS6detail17trampoline_kernelINS0_14default_configENS1_25partition_config_selectorILNS1_17partition_subalgoE0EiNS0_10empty_typeEbEEZZNS1_14partition_implILS5_0ELb0ES3_jN6thrust23THRUST_200600_302600_NS10device_ptrIiEEPS6_SD_NS0_5tupleIJSC_SC_EEENSE_IJSD_SD_EEES6_PlJ7is_evenIiEEEE10hipError_tPvRmT3_T4_T5_T6_T7_T9_mT8_P12ihipStream_tbDpT10_ENKUlT_T0_E_clISt17integral_constantIbLb0EES12_IbLb1EEEEDaSY_SZ_EUlSY_E_NS1_11comp_targetILNS1_3genE10ELNS1_11target_archE1200ELNS1_3gpuE4ELNS1_3repE0EEENS1_30default_config_static_selectorELNS0_4arch9wavefront6targetE1EEEvT1_
	.globl	_ZN7rocprim17ROCPRIM_400000_NS6detail17trampoline_kernelINS0_14default_configENS1_25partition_config_selectorILNS1_17partition_subalgoE0EiNS0_10empty_typeEbEEZZNS1_14partition_implILS5_0ELb0ES3_jN6thrust23THRUST_200600_302600_NS10device_ptrIiEEPS6_SD_NS0_5tupleIJSC_SC_EEENSE_IJSD_SD_EEES6_PlJ7is_evenIiEEEE10hipError_tPvRmT3_T4_T5_T6_T7_T9_mT8_P12ihipStream_tbDpT10_ENKUlT_T0_E_clISt17integral_constantIbLb0EES12_IbLb1EEEEDaSY_SZ_EUlSY_E_NS1_11comp_targetILNS1_3genE10ELNS1_11target_archE1200ELNS1_3gpuE4ELNS1_3repE0EEENS1_30default_config_static_selectorELNS0_4arch9wavefront6targetE1EEEvT1_
	.p2align	8
	.type	_ZN7rocprim17ROCPRIM_400000_NS6detail17trampoline_kernelINS0_14default_configENS1_25partition_config_selectorILNS1_17partition_subalgoE0EiNS0_10empty_typeEbEEZZNS1_14partition_implILS5_0ELb0ES3_jN6thrust23THRUST_200600_302600_NS10device_ptrIiEEPS6_SD_NS0_5tupleIJSC_SC_EEENSE_IJSD_SD_EEES6_PlJ7is_evenIiEEEE10hipError_tPvRmT3_T4_T5_T6_T7_T9_mT8_P12ihipStream_tbDpT10_ENKUlT_T0_E_clISt17integral_constantIbLb0EES12_IbLb1EEEEDaSY_SZ_EUlSY_E_NS1_11comp_targetILNS1_3genE10ELNS1_11target_archE1200ELNS1_3gpuE4ELNS1_3repE0EEENS1_30default_config_static_selectorELNS0_4arch9wavefront6targetE1EEEvT1_,@function
_ZN7rocprim17ROCPRIM_400000_NS6detail17trampoline_kernelINS0_14default_configENS1_25partition_config_selectorILNS1_17partition_subalgoE0EiNS0_10empty_typeEbEEZZNS1_14partition_implILS5_0ELb0ES3_jN6thrust23THRUST_200600_302600_NS10device_ptrIiEEPS6_SD_NS0_5tupleIJSC_SC_EEENSE_IJSD_SD_EEES6_PlJ7is_evenIiEEEE10hipError_tPvRmT3_T4_T5_T6_T7_T9_mT8_P12ihipStream_tbDpT10_ENKUlT_T0_E_clISt17integral_constantIbLb0EES12_IbLb1EEEEDaSY_SZ_EUlSY_E_NS1_11comp_targetILNS1_3genE10ELNS1_11target_archE1200ELNS1_3gpuE4ELNS1_3repE0EEENS1_30default_config_static_selectorELNS0_4arch9wavefront6targetE1EEEvT1_: ; @_ZN7rocprim17ROCPRIM_400000_NS6detail17trampoline_kernelINS0_14default_configENS1_25partition_config_selectorILNS1_17partition_subalgoE0EiNS0_10empty_typeEbEEZZNS1_14partition_implILS5_0ELb0ES3_jN6thrust23THRUST_200600_302600_NS10device_ptrIiEEPS6_SD_NS0_5tupleIJSC_SC_EEENSE_IJSD_SD_EEES6_PlJ7is_evenIiEEEE10hipError_tPvRmT3_T4_T5_T6_T7_T9_mT8_P12ihipStream_tbDpT10_ENKUlT_T0_E_clISt17integral_constantIbLb0EES12_IbLb1EEEEDaSY_SZ_EUlSY_E_NS1_11comp_targetILNS1_3genE10ELNS1_11target_archE1200ELNS1_3gpuE4ELNS1_3repE0EEENS1_30default_config_static_selectorELNS0_4arch9wavefront6targetE1EEEvT1_
; %bb.0:
	.section	.rodata,"a",@progbits
	.p2align	6, 0x0
	.amdhsa_kernel _ZN7rocprim17ROCPRIM_400000_NS6detail17trampoline_kernelINS0_14default_configENS1_25partition_config_selectorILNS1_17partition_subalgoE0EiNS0_10empty_typeEbEEZZNS1_14partition_implILS5_0ELb0ES3_jN6thrust23THRUST_200600_302600_NS10device_ptrIiEEPS6_SD_NS0_5tupleIJSC_SC_EEENSE_IJSD_SD_EEES6_PlJ7is_evenIiEEEE10hipError_tPvRmT3_T4_T5_T6_T7_T9_mT8_P12ihipStream_tbDpT10_ENKUlT_T0_E_clISt17integral_constantIbLb0EES12_IbLb1EEEEDaSY_SZ_EUlSY_E_NS1_11comp_targetILNS1_3genE10ELNS1_11target_archE1200ELNS1_3gpuE4ELNS1_3repE0EEENS1_30default_config_static_selectorELNS0_4arch9wavefront6targetE1EEEvT1_
		.amdhsa_group_segment_fixed_size 0
		.amdhsa_private_segment_fixed_size 0
		.amdhsa_kernarg_size 136
		.amdhsa_user_sgpr_count 2
		.amdhsa_user_sgpr_dispatch_ptr 0
		.amdhsa_user_sgpr_queue_ptr 0
		.amdhsa_user_sgpr_kernarg_segment_ptr 1
		.amdhsa_user_sgpr_dispatch_id 0
		.amdhsa_user_sgpr_kernarg_preload_length 0
		.amdhsa_user_sgpr_kernarg_preload_offset 0
		.amdhsa_user_sgpr_private_segment_size 0
		.amdhsa_uses_dynamic_stack 0
		.amdhsa_enable_private_segment 0
		.amdhsa_system_sgpr_workgroup_id_x 1
		.amdhsa_system_sgpr_workgroup_id_y 0
		.amdhsa_system_sgpr_workgroup_id_z 0
		.amdhsa_system_sgpr_workgroup_info 0
		.amdhsa_system_vgpr_workitem_id 0
		.amdhsa_next_free_vgpr 1
		.amdhsa_next_free_sgpr 0
		.amdhsa_accum_offset 4
		.amdhsa_reserve_vcc 0
		.amdhsa_float_round_mode_32 0
		.amdhsa_float_round_mode_16_64 0
		.amdhsa_float_denorm_mode_32 3
		.amdhsa_float_denorm_mode_16_64 3
		.amdhsa_dx10_clamp 1
		.amdhsa_ieee_mode 1
		.amdhsa_fp16_overflow 0
		.amdhsa_tg_split 0
		.amdhsa_exception_fp_ieee_invalid_op 0
		.amdhsa_exception_fp_denorm_src 0
		.amdhsa_exception_fp_ieee_div_zero 0
		.amdhsa_exception_fp_ieee_overflow 0
		.amdhsa_exception_fp_ieee_underflow 0
		.amdhsa_exception_fp_ieee_inexact 0
		.amdhsa_exception_int_div_zero 0
	.end_amdhsa_kernel
	.section	.text._ZN7rocprim17ROCPRIM_400000_NS6detail17trampoline_kernelINS0_14default_configENS1_25partition_config_selectorILNS1_17partition_subalgoE0EiNS0_10empty_typeEbEEZZNS1_14partition_implILS5_0ELb0ES3_jN6thrust23THRUST_200600_302600_NS10device_ptrIiEEPS6_SD_NS0_5tupleIJSC_SC_EEENSE_IJSD_SD_EEES6_PlJ7is_evenIiEEEE10hipError_tPvRmT3_T4_T5_T6_T7_T9_mT8_P12ihipStream_tbDpT10_ENKUlT_T0_E_clISt17integral_constantIbLb0EES12_IbLb1EEEEDaSY_SZ_EUlSY_E_NS1_11comp_targetILNS1_3genE10ELNS1_11target_archE1200ELNS1_3gpuE4ELNS1_3repE0EEENS1_30default_config_static_selectorELNS0_4arch9wavefront6targetE1EEEvT1_,"axG",@progbits,_ZN7rocprim17ROCPRIM_400000_NS6detail17trampoline_kernelINS0_14default_configENS1_25partition_config_selectorILNS1_17partition_subalgoE0EiNS0_10empty_typeEbEEZZNS1_14partition_implILS5_0ELb0ES3_jN6thrust23THRUST_200600_302600_NS10device_ptrIiEEPS6_SD_NS0_5tupleIJSC_SC_EEENSE_IJSD_SD_EEES6_PlJ7is_evenIiEEEE10hipError_tPvRmT3_T4_T5_T6_T7_T9_mT8_P12ihipStream_tbDpT10_ENKUlT_T0_E_clISt17integral_constantIbLb0EES12_IbLb1EEEEDaSY_SZ_EUlSY_E_NS1_11comp_targetILNS1_3genE10ELNS1_11target_archE1200ELNS1_3gpuE4ELNS1_3repE0EEENS1_30default_config_static_selectorELNS0_4arch9wavefront6targetE1EEEvT1_,comdat
.Lfunc_end3723:
	.size	_ZN7rocprim17ROCPRIM_400000_NS6detail17trampoline_kernelINS0_14default_configENS1_25partition_config_selectorILNS1_17partition_subalgoE0EiNS0_10empty_typeEbEEZZNS1_14partition_implILS5_0ELb0ES3_jN6thrust23THRUST_200600_302600_NS10device_ptrIiEEPS6_SD_NS0_5tupleIJSC_SC_EEENSE_IJSD_SD_EEES6_PlJ7is_evenIiEEEE10hipError_tPvRmT3_T4_T5_T6_T7_T9_mT8_P12ihipStream_tbDpT10_ENKUlT_T0_E_clISt17integral_constantIbLb0EES12_IbLb1EEEEDaSY_SZ_EUlSY_E_NS1_11comp_targetILNS1_3genE10ELNS1_11target_archE1200ELNS1_3gpuE4ELNS1_3repE0EEENS1_30default_config_static_selectorELNS0_4arch9wavefront6targetE1EEEvT1_, .Lfunc_end3723-_ZN7rocprim17ROCPRIM_400000_NS6detail17trampoline_kernelINS0_14default_configENS1_25partition_config_selectorILNS1_17partition_subalgoE0EiNS0_10empty_typeEbEEZZNS1_14partition_implILS5_0ELb0ES3_jN6thrust23THRUST_200600_302600_NS10device_ptrIiEEPS6_SD_NS0_5tupleIJSC_SC_EEENSE_IJSD_SD_EEES6_PlJ7is_evenIiEEEE10hipError_tPvRmT3_T4_T5_T6_T7_T9_mT8_P12ihipStream_tbDpT10_ENKUlT_T0_E_clISt17integral_constantIbLb0EES12_IbLb1EEEEDaSY_SZ_EUlSY_E_NS1_11comp_targetILNS1_3genE10ELNS1_11target_archE1200ELNS1_3gpuE4ELNS1_3repE0EEENS1_30default_config_static_selectorELNS0_4arch9wavefront6targetE1EEEvT1_
                                        ; -- End function
	.section	.AMDGPU.csdata,"",@progbits
; Kernel info:
; codeLenInByte = 0
; NumSgprs: 6
; NumVgprs: 0
; NumAgprs: 0
; TotalNumVgprs: 0
; ScratchSize: 0
; MemoryBound: 0
; FloatMode: 240
; IeeeMode: 1
; LDSByteSize: 0 bytes/workgroup (compile time only)
; SGPRBlocks: 0
; VGPRBlocks: 0
; NumSGPRsForWavesPerEU: 6
; NumVGPRsForWavesPerEU: 1
; AccumOffset: 4
; Occupancy: 8
; WaveLimiterHint : 0
; COMPUTE_PGM_RSRC2:SCRATCH_EN: 0
; COMPUTE_PGM_RSRC2:USER_SGPR: 2
; COMPUTE_PGM_RSRC2:TRAP_HANDLER: 0
; COMPUTE_PGM_RSRC2:TGID_X_EN: 1
; COMPUTE_PGM_RSRC2:TGID_Y_EN: 0
; COMPUTE_PGM_RSRC2:TGID_Z_EN: 0
; COMPUTE_PGM_RSRC2:TIDIG_COMP_CNT: 0
; COMPUTE_PGM_RSRC3_GFX90A:ACCUM_OFFSET: 0
; COMPUTE_PGM_RSRC3_GFX90A:TG_SPLIT: 0
	.section	.text._ZN7rocprim17ROCPRIM_400000_NS6detail17trampoline_kernelINS0_14default_configENS1_25partition_config_selectorILNS1_17partition_subalgoE0EiNS0_10empty_typeEbEEZZNS1_14partition_implILS5_0ELb0ES3_jN6thrust23THRUST_200600_302600_NS10device_ptrIiEEPS6_SD_NS0_5tupleIJSC_SC_EEENSE_IJSD_SD_EEES6_PlJ7is_evenIiEEEE10hipError_tPvRmT3_T4_T5_T6_T7_T9_mT8_P12ihipStream_tbDpT10_ENKUlT_T0_E_clISt17integral_constantIbLb0EES12_IbLb1EEEEDaSY_SZ_EUlSY_E_NS1_11comp_targetILNS1_3genE9ELNS1_11target_archE1100ELNS1_3gpuE3ELNS1_3repE0EEENS1_30default_config_static_selectorELNS0_4arch9wavefront6targetE1EEEvT1_,"axG",@progbits,_ZN7rocprim17ROCPRIM_400000_NS6detail17trampoline_kernelINS0_14default_configENS1_25partition_config_selectorILNS1_17partition_subalgoE0EiNS0_10empty_typeEbEEZZNS1_14partition_implILS5_0ELb0ES3_jN6thrust23THRUST_200600_302600_NS10device_ptrIiEEPS6_SD_NS0_5tupleIJSC_SC_EEENSE_IJSD_SD_EEES6_PlJ7is_evenIiEEEE10hipError_tPvRmT3_T4_T5_T6_T7_T9_mT8_P12ihipStream_tbDpT10_ENKUlT_T0_E_clISt17integral_constantIbLb0EES12_IbLb1EEEEDaSY_SZ_EUlSY_E_NS1_11comp_targetILNS1_3genE9ELNS1_11target_archE1100ELNS1_3gpuE3ELNS1_3repE0EEENS1_30default_config_static_selectorELNS0_4arch9wavefront6targetE1EEEvT1_,comdat
	.protected	_ZN7rocprim17ROCPRIM_400000_NS6detail17trampoline_kernelINS0_14default_configENS1_25partition_config_selectorILNS1_17partition_subalgoE0EiNS0_10empty_typeEbEEZZNS1_14partition_implILS5_0ELb0ES3_jN6thrust23THRUST_200600_302600_NS10device_ptrIiEEPS6_SD_NS0_5tupleIJSC_SC_EEENSE_IJSD_SD_EEES6_PlJ7is_evenIiEEEE10hipError_tPvRmT3_T4_T5_T6_T7_T9_mT8_P12ihipStream_tbDpT10_ENKUlT_T0_E_clISt17integral_constantIbLb0EES12_IbLb1EEEEDaSY_SZ_EUlSY_E_NS1_11comp_targetILNS1_3genE9ELNS1_11target_archE1100ELNS1_3gpuE3ELNS1_3repE0EEENS1_30default_config_static_selectorELNS0_4arch9wavefront6targetE1EEEvT1_ ; -- Begin function _ZN7rocprim17ROCPRIM_400000_NS6detail17trampoline_kernelINS0_14default_configENS1_25partition_config_selectorILNS1_17partition_subalgoE0EiNS0_10empty_typeEbEEZZNS1_14partition_implILS5_0ELb0ES3_jN6thrust23THRUST_200600_302600_NS10device_ptrIiEEPS6_SD_NS0_5tupleIJSC_SC_EEENSE_IJSD_SD_EEES6_PlJ7is_evenIiEEEE10hipError_tPvRmT3_T4_T5_T6_T7_T9_mT8_P12ihipStream_tbDpT10_ENKUlT_T0_E_clISt17integral_constantIbLb0EES12_IbLb1EEEEDaSY_SZ_EUlSY_E_NS1_11comp_targetILNS1_3genE9ELNS1_11target_archE1100ELNS1_3gpuE3ELNS1_3repE0EEENS1_30default_config_static_selectorELNS0_4arch9wavefront6targetE1EEEvT1_
	.globl	_ZN7rocprim17ROCPRIM_400000_NS6detail17trampoline_kernelINS0_14default_configENS1_25partition_config_selectorILNS1_17partition_subalgoE0EiNS0_10empty_typeEbEEZZNS1_14partition_implILS5_0ELb0ES3_jN6thrust23THRUST_200600_302600_NS10device_ptrIiEEPS6_SD_NS0_5tupleIJSC_SC_EEENSE_IJSD_SD_EEES6_PlJ7is_evenIiEEEE10hipError_tPvRmT3_T4_T5_T6_T7_T9_mT8_P12ihipStream_tbDpT10_ENKUlT_T0_E_clISt17integral_constantIbLb0EES12_IbLb1EEEEDaSY_SZ_EUlSY_E_NS1_11comp_targetILNS1_3genE9ELNS1_11target_archE1100ELNS1_3gpuE3ELNS1_3repE0EEENS1_30default_config_static_selectorELNS0_4arch9wavefront6targetE1EEEvT1_
	.p2align	8
	.type	_ZN7rocprim17ROCPRIM_400000_NS6detail17trampoline_kernelINS0_14default_configENS1_25partition_config_selectorILNS1_17partition_subalgoE0EiNS0_10empty_typeEbEEZZNS1_14partition_implILS5_0ELb0ES3_jN6thrust23THRUST_200600_302600_NS10device_ptrIiEEPS6_SD_NS0_5tupleIJSC_SC_EEENSE_IJSD_SD_EEES6_PlJ7is_evenIiEEEE10hipError_tPvRmT3_T4_T5_T6_T7_T9_mT8_P12ihipStream_tbDpT10_ENKUlT_T0_E_clISt17integral_constantIbLb0EES12_IbLb1EEEEDaSY_SZ_EUlSY_E_NS1_11comp_targetILNS1_3genE9ELNS1_11target_archE1100ELNS1_3gpuE3ELNS1_3repE0EEENS1_30default_config_static_selectorELNS0_4arch9wavefront6targetE1EEEvT1_,@function
_ZN7rocprim17ROCPRIM_400000_NS6detail17trampoline_kernelINS0_14default_configENS1_25partition_config_selectorILNS1_17partition_subalgoE0EiNS0_10empty_typeEbEEZZNS1_14partition_implILS5_0ELb0ES3_jN6thrust23THRUST_200600_302600_NS10device_ptrIiEEPS6_SD_NS0_5tupleIJSC_SC_EEENSE_IJSD_SD_EEES6_PlJ7is_evenIiEEEE10hipError_tPvRmT3_T4_T5_T6_T7_T9_mT8_P12ihipStream_tbDpT10_ENKUlT_T0_E_clISt17integral_constantIbLb0EES12_IbLb1EEEEDaSY_SZ_EUlSY_E_NS1_11comp_targetILNS1_3genE9ELNS1_11target_archE1100ELNS1_3gpuE3ELNS1_3repE0EEENS1_30default_config_static_selectorELNS0_4arch9wavefront6targetE1EEEvT1_: ; @_ZN7rocprim17ROCPRIM_400000_NS6detail17trampoline_kernelINS0_14default_configENS1_25partition_config_selectorILNS1_17partition_subalgoE0EiNS0_10empty_typeEbEEZZNS1_14partition_implILS5_0ELb0ES3_jN6thrust23THRUST_200600_302600_NS10device_ptrIiEEPS6_SD_NS0_5tupleIJSC_SC_EEENSE_IJSD_SD_EEES6_PlJ7is_evenIiEEEE10hipError_tPvRmT3_T4_T5_T6_T7_T9_mT8_P12ihipStream_tbDpT10_ENKUlT_T0_E_clISt17integral_constantIbLb0EES12_IbLb1EEEEDaSY_SZ_EUlSY_E_NS1_11comp_targetILNS1_3genE9ELNS1_11target_archE1100ELNS1_3gpuE3ELNS1_3repE0EEENS1_30default_config_static_selectorELNS0_4arch9wavefront6targetE1EEEvT1_
; %bb.0:
	.section	.rodata,"a",@progbits
	.p2align	6, 0x0
	.amdhsa_kernel _ZN7rocprim17ROCPRIM_400000_NS6detail17trampoline_kernelINS0_14default_configENS1_25partition_config_selectorILNS1_17partition_subalgoE0EiNS0_10empty_typeEbEEZZNS1_14partition_implILS5_0ELb0ES3_jN6thrust23THRUST_200600_302600_NS10device_ptrIiEEPS6_SD_NS0_5tupleIJSC_SC_EEENSE_IJSD_SD_EEES6_PlJ7is_evenIiEEEE10hipError_tPvRmT3_T4_T5_T6_T7_T9_mT8_P12ihipStream_tbDpT10_ENKUlT_T0_E_clISt17integral_constantIbLb0EES12_IbLb1EEEEDaSY_SZ_EUlSY_E_NS1_11comp_targetILNS1_3genE9ELNS1_11target_archE1100ELNS1_3gpuE3ELNS1_3repE0EEENS1_30default_config_static_selectorELNS0_4arch9wavefront6targetE1EEEvT1_
		.amdhsa_group_segment_fixed_size 0
		.amdhsa_private_segment_fixed_size 0
		.amdhsa_kernarg_size 136
		.amdhsa_user_sgpr_count 2
		.amdhsa_user_sgpr_dispatch_ptr 0
		.amdhsa_user_sgpr_queue_ptr 0
		.amdhsa_user_sgpr_kernarg_segment_ptr 1
		.amdhsa_user_sgpr_dispatch_id 0
		.amdhsa_user_sgpr_kernarg_preload_length 0
		.amdhsa_user_sgpr_kernarg_preload_offset 0
		.amdhsa_user_sgpr_private_segment_size 0
		.amdhsa_uses_dynamic_stack 0
		.amdhsa_enable_private_segment 0
		.amdhsa_system_sgpr_workgroup_id_x 1
		.amdhsa_system_sgpr_workgroup_id_y 0
		.amdhsa_system_sgpr_workgroup_id_z 0
		.amdhsa_system_sgpr_workgroup_info 0
		.amdhsa_system_vgpr_workitem_id 0
		.amdhsa_next_free_vgpr 1
		.amdhsa_next_free_sgpr 0
		.amdhsa_accum_offset 4
		.amdhsa_reserve_vcc 0
		.amdhsa_float_round_mode_32 0
		.amdhsa_float_round_mode_16_64 0
		.amdhsa_float_denorm_mode_32 3
		.amdhsa_float_denorm_mode_16_64 3
		.amdhsa_dx10_clamp 1
		.amdhsa_ieee_mode 1
		.amdhsa_fp16_overflow 0
		.amdhsa_tg_split 0
		.amdhsa_exception_fp_ieee_invalid_op 0
		.amdhsa_exception_fp_denorm_src 0
		.amdhsa_exception_fp_ieee_div_zero 0
		.amdhsa_exception_fp_ieee_overflow 0
		.amdhsa_exception_fp_ieee_underflow 0
		.amdhsa_exception_fp_ieee_inexact 0
		.amdhsa_exception_int_div_zero 0
	.end_amdhsa_kernel
	.section	.text._ZN7rocprim17ROCPRIM_400000_NS6detail17trampoline_kernelINS0_14default_configENS1_25partition_config_selectorILNS1_17partition_subalgoE0EiNS0_10empty_typeEbEEZZNS1_14partition_implILS5_0ELb0ES3_jN6thrust23THRUST_200600_302600_NS10device_ptrIiEEPS6_SD_NS0_5tupleIJSC_SC_EEENSE_IJSD_SD_EEES6_PlJ7is_evenIiEEEE10hipError_tPvRmT3_T4_T5_T6_T7_T9_mT8_P12ihipStream_tbDpT10_ENKUlT_T0_E_clISt17integral_constantIbLb0EES12_IbLb1EEEEDaSY_SZ_EUlSY_E_NS1_11comp_targetILNS1_3genE9ELNS1_11target_archE1100ELNS1_3gpuE3ELNS1_3repE0EEENS1_30default_config_static_selectorELNS0_4arch9wavefront6targetE1EEEvT1_,"axG",@progbits,_ZN7rocprim17ROCPRIM_400000_NS6detail17trampoline_kernelINS0_14default_configENS1_25partition_config_selectorILNS1_17partition_subalgoE0EiNS0_10empty_typeEbEEZZNS1_14partition_implILS5_0ELb0ES3_jN6thrust23THRUST_200600_302600_NS10device_ptrIiEEPS6_SD_NS0_5tupleIJSC_SC_EEENSE_IJSD_SD_EEES6_PlJ7is_evenIiEEEE10hipError_tPvRmT3_T4_T5_T6_T7_T9_mT8_P12ihipStream_tbDpT10_ENKUlT_T0_E_clISt17integral_constantIbLb0EES12_IbLb1EEEEDaSY_SZ_EUlSY_E_NS1_11comp_targetILNS1_3genE9ELNS1_11target_archE1100ELNS1_3gpuE3ELNS1_3repE0EEENS1_30default_config_static_selectorELNS0_4arch9wavefront6targetE1EEEvT1_,comdat
.Lfunc_end3724:
	.size	_ZN7rocprim17ROCPRIM_400000_NS6detail17trampoline_kernelINS0_14default_configENS1_25partition_config_selectorILNS1_17partition_subalgoE0EiNS0_10empty_typeEbEEZZNS1_14partition_implILS5_0ELb0ES3_jN6thrust23THRUST_200600_302600_NS10device_ptrIiEEPS6_SD_NS0_5tupleIJSC_SC_EEENSE_IJSD_SD_EEES6_PlJ7is_evenIiEEEE10hipError_tPvRmT3_T4_T5_T6_T7_T9_mT8_P12ihipStream_tbDpT10_ENKUlT_T0_E_clISt17integral_constantIbLb0EES12_IbLb1EEEEDaSY_SZ_EUlSY_E_NS1_11comp_targetILNS1_3genE9ELNS1_11target_archE1100ELNS1_3gpuE3ELNS1_3repE0EEENS1_30default_config_static_selectorELNS0_4arch9wavefront6targetE1EEEvT1_, .Lfunc_end3724-_ZN7rocprim17ROCPRIM_400000_NS6detail17trampoline_kernelINS0_14default_configENS1_25partition_config_selectorILNS1_17partition_subalgoE0EiNS0_10empty_typeEbEEZZNS1_14partition_implILS5_0ELb0ES3_jN6thrust23THRUST_200600_302600_NS10device_ptrIiEEPS6_SD_NS0_5tupleIJSC_SC_EEENSE_IJSD_SD_EEES6_PlJ7is_evenIiEEEE10hipError_tPvRmT3_T4_T5_T6_T7_T9_mT8_P12ihipStream_tbDpT10_ENKUlT_T0_E_clISt17integral_constantIbLb0EES12_IbLb1EEEEDaSY_SZ_EUlSY_E_NS1_11comp_targetILNS1_3genE9ELNS1_11target_archE1100ELNS1_3gpuE3ELNS1_3repE0EEENS1_30default_config_static_selectorELNS0_4arch9wavefront6targetE1EEEvT1_
                                        ; -- End function
	.section	.AMDGPU.csdata,"",@progbits
; Kernel info:
; codeLenInByte = 0
; NumSgprs: 6
; NumVgprs: 0
; NumAgprs: 0
; TotalNumVgprs: 0
; ScratchSize: 0
; MemoryBound: 0
; FloatMode: 240
; IeeeMode: 1
; LDSByteSize: 0 bytes/workgroup (compile time only)
; SGPRBlocks: 0
; VGPRBlocks: 0
; NumSGPRsForWavesPerEU: 6
; NumVGPRsForWavesPerEU: 1
; AccumOffset: 4
; Occupancy: 8
; WaveLimiterHint : 0
; COMPUTE_PGM_RSRC2:SCRATCH_EN: 0
; COMPUTE_PGM_RSRC2:USER_SGPR: 2
; COMPUTE_PGM_RSRC2:TRAP_HANDLER: 0
; COMPUTE_PGM_RSRC2:TGID_X_EN: 1
; COMPUTE_PGM_RSRC2:TGID_Y_EN: 0
; COMPUTE_PGM_RSRC2:TGID_Z_EN: 0
; COMPUTE_PGM_RSRC2:TIDIG_COMP_CNT: 0
; COMPUTE_PGM_RSRC3_GFX90A:ACCUM_OFFSET: 0
; COMPUTE_PGM_RSRC3_GFX90A:TG_SPLIT: 0
	.section	.text._ZN7rocprim17ROCPRIM_400000_NS6detail17trampoline_kernelINS0_14default_configENS1_25partition_config_selectorILNS1_17partition_subalgoE0EiNS0_10empty_typeEbEEZZNS1_14partition_implILS5_0ELb0ES3_jN6thrust23THRUST_200600_302600_NS10device_ptrIiEEPS6_SD_NS0_5tupleIJSC_SC_EEENSE_IJSD_SD_EEES6_PlJ7is_evenIiEEEE10hipError_tPvRmT3_T4_T5_T6_T7_T9_mT8_P12ihipStream_tbDpT10_ENKUlT_T0_E_clISt17integral_constantIbLb0EES12_IbLb1EEEEDaSY_SZ_EUlSY_E_NS1_11comp_targetILNS1_3genE8ELNS1_11target_archE1030ELNS1_3gpuE2ELNS1_3repE0EEENS1_30default_config_static_selectorELNS0_4arch9wavefront6targetE1EEEvT1_,"axG",@progbits,_ZN7rocprim17ROCPRIM_400000_NS6detail17trampoline_kernelINS0_14default_configENS1_25partition_config_selectorILNS1_17partition_subalgoE0EiNS0_10empty_typeEbEEZZNS1_14partition_implILS5_0ELb0ES3_jN6thrust23THRUST_200600_302600_NS10device_ptrIiEEPS6_SD_NS0_5tupleIJSC_SC_EEENSE_IJSD_SD_EEES6_PlJ7is_evenIiEEEE10hipError_tPvRmT3_T4_T5_T6_T7_T9_mT8_P12ihipStream_tbDpT10_ENKUlT_T0_E_clISt17integral_constantIbLb0EES12_IbLb1EEEEDaSY_SZ_EUlSY_E_NS1_11comp_targetILNS1_3genE8ELNS1_11target_archE1030ELNS1_3gpuE2ELNS1_3repE0EEENS1_30default_config_static_selectorELNS0_4arch9wavefront6targetE1EEEvT1_,comdat
	.protected	_ZN7rocprim17ROCPRIM_400000_NS6detail17trampoline_kernelINS0_14default_configENS1_25partition_config_selectorILNS1_17partition_subalgoE0EiNS0_10empty_typeEbEEZZNS1_14partition_implILS5_0ELb0ES3_jN6thrust23THRUST_200600_302600_NS10device_ptrIiEEPS6_SD_NS0_5tupleIJSC_SC_EEENSE_IJSD_SD_EEES6_PlJ7is_evenIiEEEE10hipError_tPvRmT3_T4_T5_T6_T7_T9_mT8_P12ihipStream_tbDpT10_ENKUlT_T0_E_clISt17integral_constantIbLb0EES12_IbLb1EEEEDaSY_SZ_EUlSY_E_NS1_11comp_targetILNS1_3genE8ELNS1_11target_archE1030ELNS1_3gpuE2ELNS1_3repE0EEENS1_30default_config_static_selectorELNS0_4arch9wavefront6targetE1EEEvT1_ ; -- Begin function _ZN7rocprim17ROCPRIM_400000_NS6detail17trampoline_kernelINS0_14default_configENS1_25partition_config_selectorILNS1_17partition_subalgoE0EiNS0_10empty_typeEbEEZZNS1_14partition_implILS5_0ELb0ES3_jN6thrust23THRUST_200600_302600_NS10device_ptrIiEEPS6_SD_NS0_5tupleIJSC_SC_EEENSE_IJSD_SD_EEES6_PlJ7is_evenIiEEEE10hipError_tPvRmT3_T4_T5_T6_T7_T9_mT8_P12ihipStream_tbDpT10_ENKUlT_T0_E_clISt17integral_constantIbLb0EES12_IbLb1EEEEDaSY_SZ_EUlSY_E_NS1_11comp_targetILNS1_3genE8ELNS1_11target_archE1030ELNS1_3gpuE2ELNS1_3repE0EEENS1_30default_config_static_selectorELNS0_4arch9wavefront6targetE1EEEvT1_
	.globl	_ZN7rocprim17ROCPRIM_400000_NS6detail17trampoline_kernelINS0_14default_configENS1_25partition_config_selectorILNS1_17partition_subalgoE0EiNS0_10empty_typeEbEEZZNS1_14partition_implILS5_0ELb0ES3_jN6thrust23THRUST_200600_302600_NS10device_ptrIiEEPS6_SD_NS0_5tupleIJSC_SC_EEENSE_IJSD_SD_EEES6_PlJ7is_evenIiEEEE10hipError_tPvRmT3_T4_T5_T6_T7_T9_mT8_P12ihipStream_tbDpT10_ENKUlT_T0_E_clISt17integral_constantIbLb0EES12_IbLb1EEEEDaSY_SZ_EUlSY_E_NS1_11comp_targetILNS1_3genE8ELNS1_11target_archE1030ELNS1_3gpuE2ELNS1_3repE0EEENS1_30default_config_static_selectorELNS0_4arch9wavefront6targetE1EEEvT1_
	.p2align	8
	.type	_ZN7rocprim17ROCPRIM_400000_NS6detail17trampoline_kernelINS0_14default_configENS1_25partition_config_selectorILNS1_17partition_subalgoE0EiNS0_10empty_typeEbEEZZNS1_14partition_implILS5_0ELb0ES3_jN6thrust23THRUST_200600_302600_NS10device_ptrIiEEPS6_SD_NS0_5tupleIJSC_SC_EEENSE_IJSD_SD_EEES6_PlJ7is_evenIiEEEE10hipError_tPvRmT3_T4_T5_T6_T7_T9_mT8_P12ihipStream_tbDpT10_ENKUlT_T0_E_clISt17integral_constantIbLb0EES12_IbLb1EEEEDaSY_SZ_EUlSY_E_NS1_11comp_targetILNS1_3genE8ELNS1_11target_archE1030ELNS1_3gpuE2ELNS1_3repE0EEENS1_30default_config_static_selectorELNS0_4arch9wavefront6targetE1EEEvT1_,@function
_ZN7rocprim17ROCPRIM_400000_NS6detail17trampoline_kernelINS0_14default_configENS1_25partition_config_selectorILNS1_17partition_subalgoE0EiNS0_10empty_typeEbEEZZNS1_14partition_implILS5_0ELb0ES3_jN6thrust23THRUST_200600_302600_NS10device_ptrIiEEPS6_SD_NS0_5tupleIJSC_SC_EEENSE_IJSD_SD_EEES6_PlJ7is_evenIiEEEE10hipError_tPvRmT3_T4_T5_T6_T7_T9_mT8_P12ihipStream_tbDpT10_ENKUlT_T0_E_clISt17integral_constantIbLb0EES12_IbLb1EEEEDaSY_SZ_EUlSY_E_NS1_11comp_targetILNS1_3genE8ELNS1_11target_archE1030ELNS1_3gpuE2ELNS1_3repE0EEENS1_30default_config_static_selectorELNS0_4arch9wavefront6targetE1EEEvT1_: ; @_ZN7rocprim17ROCPRIM_400000_NS6detail17trampoline_kernelINS0_14default_configENS1_25partition_config_selectorILNS1_17partition_subalgoE0EiNS0_10empty_typeEbEEZZNS1_14partition_implILS5_0ELb0ES3_jN6thrust23THRUST_200600_302600_NS10device_ptrIiEEPS6_SD_NS0_5tupleIJSC_SC_EEENSE_IJSD_SD_EEES6_PlJ7is_evenIiEEEE10hipError_tPvRmT3_T4_T5_T6_T7_T9_mT8_P12ihipStream_tbDpT10_ENKUlT_T0_E_clISt17integral_constantIbLb0EES12_IbLb1EEEEDaSY_SZ_EUlSY_E_NS1_11comp_targetILNS1_3genE8ELNS1_11target_archE1030ELNS1_3gpuE2ELNS1_3repE0EEENS1_30default_config_static_selectorELNS0_4arch9wavefront6targetE1EEEvT1_
; %bb.0:
	.section	.rodata,"a",@progbits
	.p2align	6, 0x0
	.amdhsa_kernel _ZN7rocprim17ROCPRIM_400000_NS6detail17trampoline_kernelINS0_14default_configENS1_25partition_config_selectorILNS1_17partition_subalgoE0EiNS0_10empty_typeEbEEZZNS1_14partition_implILS5_0ELb0ES3_jN6thrust23THRUST_200600_302600_NS10device_ptrIiEEPS6_SD_NS0_5tupleIJSC_SC_EEENSE_IJSD_SD_EEES6_PlJ7is_evenIiEEEE10hipError_tPvRmT3_T4_T5_T6_T7_T9_mT8_P12ihipStream_tbDpT10_ENKUlT_T0_E_clISt17integral_constantIbLb0EES12_IbLb1EEEEDaSY_SZ_EUlSY_E_NS1_11comp_targetILNS1_3genE8ELNS1_11target_archE1030ELNS1_3gpuE2ELNS1_3repE0EEENS1_30default_config_static_selectorELNS0_4arch9wavefront6targetE1EEEvT1_
		.amdhsa_group_segment_fixed_size 0
		.amdhsa_private_segment_fixed_size 0
		.amdhsa_kernarg_size 136
		.amdhsa_user_sgpr_count 2
		.amdhsa_user_sgpr_dispatch_ptr 0
		.amdhsa_user_sgpr_queue_ptr 0
		.amdhsa_user_sgpr_kernarg_segment_ptr 1
		.amdhsa_user_sgpr_dispatch_id 0
		.amdhsa_user_sgpr_kernarg_preload_length 0
		.amdhsa_user_sgpr_kernarg_preload_offset 0
		.amdhsa_user_sgpr_private_segment_size 0
		.amdhsa_uses_dynamic_stack 0
		.amdhsa_enable_private_segment 0
		.amdhsa_system_sgpr_workgroup_id_x 1
		.amdhsa_system_sgpr_workgroup_id_y 0
		.amdhsa_system_sgpr_workgroup_id_z 0
		.amdhsa_system_sgpr_workgroup_info 0
		.amdhsa_system_vgpr_workitem_id 0
		.amdhsa_next_free_vgpr 1
		.amdhsa_next_free_sgpr 0
		.amdhsa_accum_offset 4
		.amdhsa_reserve_vcc 0
		.amdhsa_float_round_mode_32 0
		.amdhsa_float_round_mode_16_64 0
		.amdhsa_float_denorm_mode_32 3
		.amdhsa_float_denorm_mode_16_64 3
		.amdhsa_dx10_clamp 1
		.amdhsa_ieee_mode 1
		.amdhsa_fp16_overflow 0
		.amdhsa_tg_split 0
		.amdhsa_exception_fp_ieee_invalid_op 0
		.amdhsa_exception_fp_denorm_src 0
		.amdhsa_exception_fp_ieee_div_zero 0
		.amdhsa_exception_fp_ieee_overflow 0
		.amdhsa_exception_fp_ieee_underflow 0
		.amdhsa_exception_fp_ieee_inexact 0
		.amdhsa_exception_int_div_zero 0
	.end_amdhsa_kernel
	.section	.text._ZN7rocprim17ROCPRIM_400000_NS6detail17trampoline_kernelINS0_14default_configENS1_25partition_config_selectorILNS1_17partition_subalgoE0EiNS0_10empty_typeEbEEZZNS1_14partition_implILS5_0ELb0ES3_jN6thrust23THRUST_200600_302600_NS10device_ptrIiEEPS6_SD_NS0_5tupleIJSC_SC_EEENSE_IJSD_SD_EEES6_PlJ7is_evenIiEEEE10hipError_tPvRmT3_T4_T5_T6_T7_T9_mT8_P12ihipStream_tbDpT10_ENKUlT_T0_E_clISt17integral_constantIbLb0EES12_IbLb1EEEEDaSY_SZ_EUlSY_E_NS1_11comp_targetILNS1_3genE8ELNS1_11target_archE1030ELNS1_3gpuE2ELNS1_3repE0EEENS1_30default_config_static_selectorELNS0_4arch9wavefront6targetE1EEEvT1_,"axG",@progbits,_ZN7rocprim17ROCPRIM_400000_NS6detail17trampoline_kernelINS0_14default_configENS1_25partition_config_selectorILNS1_17partition_subalgoE0EiNS0_10empty_typeEbEEZZNS1_14partition_implILS5_0ELb0ES3_jN6thrust23THRUST_200600_302600_NS10device_ptrIiEEPS6_SD_NS0_5tupleIJSC_SC_EEENSE_IJSD_SD_EEES6_PlJ7is_evenIiEEEE10hipError_tPvRmT3_T4_T5_T6_T7_T9_mT8_P12ihipStream_tbDpT10_ENKUlT_T0_E_clISt17integral_constantIbLb0EES12_IbLb1EEEEDaSY_SZ_EUlSY_E_NS1_11comp_targetILNS1_3genE8ELNS1_11target_archE1030ELNS1_3gpuE2ELNS1_3repE0EEENS1_30default_config_static_selectorELNS0_4arch9wavefront6targetE1EEEvT1_,comdat
.Lfunc_end3725:
	.size	_ZN7rocprim17ROCPRIM_400000_NS6detail17trampoline_kernelINS0_14default_configENS1_25partition_config_selectorILNS1_17partition_subalgoE0EiNS0_10empty_typeEbEEZZNS1_14partition_implILS5_0ELb0ES3_jN6thrust23THRUST_200600_302600_NS10device_ptrIiEEPS6_SD_NS0_5tupleIJSC_SC_EEENSE_IJSD_SD_EEES6_PlJ7is_evenIiEEEE10hipError_tPvRmT3_T4_T5_T6_T7_T9_mT8_P12ihipStream_tbDpT10_ENKUlT_T0_E_clISt17integral_constantIbLb0EES12_IbLb1EEEEDaSY_SZ_EUlSY_E_NS1_11comp_targetILNS1_3genE8ELNS1_11target_archE1030ELNS1_3gpuE2ELNS1_3repE0EEENS1_30default_config_static_selectorELNS0_4arch9wavefront6targetE1EEEvT1_, .Lfunc_end3725-_ZN7rocprim17ROCPRIM_400000_NS6detail17trampoline_kernelINS0_14default_configENS1_25partition_config_selectorILNS1_17partition_subalgoE0EiNS0_10empty_typeEbEEZZNS1_14partition_implILS5_0ELb0ES3_jN6thrust23THRUST_200600_302600_NS10device_ptrIiEEPS6_SD_NS0_5tupleIJSC_SC_EEENSE_IJSD_SD_EEES6_PlJ7is_evenIiEEEE10hipError_tPvRmT3_T4_T5_T6_T7_T9_mT8_P12ihipStream_tbDpT10_ENKUlT_T0_E_clISt17integral_constantIbLb0EES12_IbLb1EEEEDaSY_SZ_EUlSY_E_NS1_11comp_targetILNS1_3genE8ELNS1_11target_archE1030ELNS1_3gpuE2ELNS1_3repE0EEENS1_30default_config_static_selectorELNS0_4arch9wavefront6targetE1EEEvT1_
                                        ; -- End function
	.section	.AMDGPU.csdata,"",@progbits
; Kernel info:
; codeLenInByte = 0
; NumSgprs: 6
; NumVgprs: 0
; NumAgprs: 0
; TotalNumVgprs: 0
; ScratchSize: 0
; MemoryBound: 0
; FloatMode: 240
; IeeeMode: 1
; LDSByteSize: 0 bytes/workgroup (compile time only)
; SGPRBlocks: 0
; VGPRBlocks: 0
; NumSGPRsForWavesPerEU: 6
; NumVGPRsForWavesPerEU: 1
; AccumOffset: 4
; Occupancy: 8
; WaveLimiterHint : 0
; COMPUTE_PGM_RSRC2:SCRATCH_EN: 0
; COMPUTE_PGM_RSRC2:USER_SGPR: 2
; COMPUTE_PGM_RSRC2:TRAP_HANDLER: 0
; COMPUTE_PGM_RSRC2:TGID_X_EN: 1
; COMPUTE_PGM_RSRC2:TGID_Y_EN: 0
; COMPUTE_PGM_RSRC2:TGID_Z_EN: 0
; COMPUTE_PGM_RSRC2:TIDIG_COMP_CNT: 0
; COMPUTE_PGM_RSRC3_GFX90A:ACCUM_OFFSET: 0
; COMPUTE_PGM_RSRC3_GFX90A:TG_SPLIT: 0
	.text
	.p2alignl 6, 3212836864
	.fill 256, 4, 3212836864
	.protected	_ZN7rocprim17ROCPRIM_400000_NS16block_radix_sortIyLj256ELj4ENS0_10empty_typeELj1ELj1ELj0ELNS0_26block_radix_rank_algorithmE1ELNS0_18block_padding_hintE2ELNS0_4arch9wavefront6targetE1EE19radix_bits_per_passE ; @_ZN7rocprim17ROCPRIM_400000_NS16block_radix_sortIyLj256ELj4ENS0_10empty_typeELj1ELj1ELj0ELNS0_26block_radix_rank_algorithmE1ELNS0_18block_padding_hintE2ELNS0_4arch9wavefront6targetE1EE19radix_bits_per_passE
	.type	_ZN7rocprim17ROCPRIM_400000_NS16block_radix_sortIyLj256ELj4ENS0_10empty_typeELj1ELj1ELj0ELNS0_26block_radix_rank_algorithmE1ELNS0_18block_padding_hintE2ELNS0_4arch9wavefront6targetE1EE19radix_bits_per_passE,@object
	.section	.rodata._ZN7rocprim17ROCPRIM_400000_NS16block_radix_sortIyLj256ELj4ENS0_10empty_typeELj1ELj1ELj0ELNS0_26block_radix_rank_algorithmE1ELNS0_18block_padding_hintE2ELNS0_4arch9wavefront6targetE1EE19radix_bits_per_passE,"aG",@progbits,_ZN7rocprim17ROCPRIM_400000_NS16block_radix_sortIyLj256ELj4ENS0_10empty_typeELj1ELj1ELj0ELNS0_26block_radix_rank_algorithmE1ELNS0_18block_padding_hintE2ELNS0_4arch9wavefront6targetE1EE19radix_bits_per_passE,comdat
	.weak	_ZN7rocprim17ROCPRIM_400000_NS16block_radix_sortIyLj256ELj4ENS0_10empty_typeELj1ELj1ELj0ELNS0_26block_radix_rank_algorithmE1ELNS0_18block_padding_hintE2ELNS0_4arch9wavefront6targetE1EE19radix_bits_per_passE
	.p2align	2, 0x0
_ZN7rocprim17ROCPRIM_400000_NS16block_radix_sortIyLj256ELj4ENS0_10empty_typeELj1ELj1ELj0ELNS0_26block_radix_rank_algorithmE1ELNS0_18block_padding_hintE2ELNS0_4arch9wavefront6targetE1EE19radix_bits_per_passE:
	.long	8                               ; 0x8
	.size	_ZN7rocprim17ROCPRIM_400000_NS16block_radix_sortIyLj256ELj4ENS0_10empty_typeELj1ELj1ELj0ELNS0_26block_radix_rank_algorithmE1ELNS0_18block_padding_hintE2ELNS0_4arch9wavefront6targetE1EE19radix_bits_per_passE, 4

	.protected	_ZN7rocprim17ROCPRIM_400000_NS16block_radix_sortIjLj256ELj4ENS0_10empty_typeELj1ELj1ELj0ELNS0_26block_radix_rank_algorithmE1ELNS0_18block_padding_hintE2ELNS0_4arch9wavefront6targetE1EE19radix_bits_per_passE ; @_ZN7rocprim17ROCPRIM_400000_NS16block_radix_sortIjLj256ELj4ENS0_10empty_typeELj1ELj1ELj0ELNS0_26block_radix_rank_algorithmE1ELNS0_18block_padding_hintE2ELNS0_4arch9wavefront6targetE1EE19radix_bits_per_passE
	.type	_ZN7rocprim17ROCPRIM_400000_NS16block_radix_sortIjLj256ELj4ENS0_10empty_typeELj1ELj1ELj0ELNS0_26block_radix_rank_algorithmE1ELNS0_18block_padding_hintE2ELNS0_4arch9wavefront6targetE1EE19radix_bits_per_passE,@object
	.section	.rodata._ZN7rocprim17ROCPRIM_400000_NS16block_radix_sortIjLj256ELj4ENS0_10empty_typeELj1ELj1ELj0ELNS0_26block_radix_rank_algorithmE1ELNS0_18block_padding_hintE2ELNS0_4arch9wavefront6targetE1EE19radix_bits_per_passE,"aG",@progbits,_ZN7rocprim17ROCPRIM_400000_NS16block_radix_sortIjLj256ELj4ENS0_10empty_typeELj1ELj1ELj0ELNS0_26block_radix_rank_algorithmE1ELNS0_18block_padding_hintE2ELNS0_4arch9wavefront6targetE1EE19radix_bits_per_passE,comdat
	.weak	_ZN7rocprim17ROCPRIM_400000_NS16block_radix_sortIjLj256ELj4ENS0_10empty_typeELj1ELj1ELj0ELNS0_26block_radix_rank_algorithmE1ELNS0_18block_padding_hintE2ELNS0_4arch9wavefront6targetE1EE19radix_bits_per_passE
	.p2align	2, 0x0
_ZN7rocprim17ROCPRIM_400000_NS16block_radix_sortIjLj256ELj4ENS0_10empty_typeELj1ELj1ELj0ELNS0_26block_radix_rank_algorithmE1ELNS0_18block_padding_hintE2ELNS0_4arch9wavefront6targetE1EE19radix_bits_per_passE:
	.long	8                               ; 0x8
	.size	_ZN7rocprim17ROCPRIM_400000_NS16block_radix_sortIjLj256ELj4ENS0_10empty_typeELj1ELj1ELj0ELNS0_26block_radix_rank_algorithmE1ELNS0_18block_padding_hintE2ELNS0_4arch9wavefront6targetE1EE19radix_bits_per_passE, 4

	.protected	_ZN7rocprim17ROCPRIM_400000_NS16block_radix_sortItLj256ELj4ENS0_10empty_typeELj1ELj1ELj0ELNS0_26block_radix_rank_algorithmE1ELNS0_18block_padding_hintE2ELNS0_4arch9wavefront6targetE1EE19radix_bits_per_passE ; @_ZN7rocprim17ROCPRIM_400000_NS16block_radix_sortItLj256ELj4ENS0_10empty_typeELj1ELj1ELj0ELNS0_26block_radix_rank_algorithmE1ELNS0_18block_padding_hintE2ELNS0_4arch9wavefront6targetE1EE19radix_bits_per_passE
	.type	_ZN7rocprim17ROCPRIM_400000_NS16block_radix_sortItLj256ELj4ENS0_10empty_typeELj1ELj1ELj0ELNS0_26block_radix_rank_algorithmE1ELNS0_18block_padding_hintE2ELNS0_4arch9wavefront6targetE1EE19radix_bits_per_passE,@object
	.section	.rodata._ZN7rocprim17ROCPRIM_400000_NS16block_radix_sortItLj256ELj4ENS0_10empty_typeELj1ELj1ELj0ELNS0_26block_radix_rank_algorithmE1ELNS0_18block_padding_hintE2ELNS0_4arch9wavefront6targetE1EE19radix_bits_per_passE,"aG",@progbits,_ZN7rocprim17ROCPRIM_400000_NS16block_radix_sortItLj256ELj4ENS0_10empty_typeELj1ELj1ELj0ELNS0_26block_radix_rank_algorithmE1ELNS0_18block_padding_hintE2ELNS0_4arch9wavefront6targetE1EE19radix_bits_per_passE,comdat
	.weak	_ZN7rocprim17ROCPRIM_400000_NS16block_radix_sortItLj256ELj4ENS0_10empty_typeELj1ELj1ELj0ELNS0_26block_radix_rank_algorithmE1ELNS0_18block_padding_hintE2ELNS0_4arch9wavefront6targetE1EE19radix_bits_per_passE
	.p2align	2, 0x0
_ZN7rocprim17ROCPRIM_400000_NS16block_radix_sortItLj256ELj4ENS0_10empty_typeELj1ELj1ELj0ELNS0_26block_radix_rank_algorithmE1ELNS0_18block_padding_hintE2ELNS0_4arch9wavefront6targetE1EE19radix_bits_per_passE:
	.long	8                               ; 0x8
	.size	_ZN7rocprim17ROCPRIM_400000_NS16block_radix_sortItLj256ELj4ENS0_10empty_typeELj1ELj1ELj0ELNS0_26block_radix_rank_algorithmE1ELNS0_18block_padding_hintE2ELNS0_4arch9wavefront6targetE1EE19radix_bits_per_passE, 4

	.protected	_ZN7rocprim17ROCPRIM_400000_NS16block_radix_sortIxLj256ELj4ENS0_10empty_typeELj1ELj1ELj0ELNS0_26block_radix_rank_algorithmE1ELNS0_18block_padding_hintE2ELNS0_4arch9wavefront6targetE1EE19radix_bits_per_passE ; @_ZN7rocprim17ROCPRIM_400000_NS16block_radix_sortIxLj256ELj4ENS0_10empty_typeELj1ELj1ELj0ELNS0_26block_radix_rank_algorithmE1ELNS0_18block_padding_hintE2ELNS0_4arch9wavefront6targetE1EE19radix_bits_per_passE
	.type	_ZN7rocprim17ROCPRIM_400000_NS16block_radix_sortIxLj256ELj4ENS0_10empty_typeELj1ELj1ELj0ELNS0_26block_radix_rank_algorithmE1ELNS0_18block_padding_hintE2ELNS0_4arch9wavefront6targetE1EE19radix_bits_per_passE,@object
	.section	.rodata._ZN7rocprim17ROCPRIM_400000_NS16block_radix_sortIxLj256ELj4ENS0_10empty_typeELj1ELj1ELj0ELNS0_26block_radix_rank_algorithmE1ELNS0_18block_padding_hintE2ELNS0_4arch9wavefront6targetE1EE19radix_bits_per_passE,"aG",@progbits,_ZN7rocprim17ROCPRIM_400000_NS16block_radix_sortIxLj256ELj4ENS0_10empty_typeELj1ELj1ELj0ELNS0_26block_radix_rank_algorithmE1ELNS0_18block_padding_hintE2ELNS0_4arch9wavefront6targetE1EE19radix_bits_per_passE,comdat
	.weak	_ZN7rocprim17ROCPRIM_400000_NS16block_radix_sortIxLj256ELj4ENS0_10empty_typeELj1ELj1ELj0ELNS0_26block_radix_rank_algorithmE1ELNS0_18block_padding_hintE2ELNS0_4arch9wavefront6targetE1EE19radix_bits_per_passE
	.p2align	2, 0x0
_ZN7rocprim17ROCPRIM_400000_NS16block_radix_sortIxLj256ELj4ENS0_10empty_typeELj1ELj1ELj0ELNS0_26block_radix_rank_algorithmE1ELNS0_18block_padding_hintE2ELNS0_4arch9wavefront6targetE1EE19radix_bits_per_passE:
	.long	8                               ; 0x8
	.size	_ZN7rocprim17ROCPRIM_400000_NS16block_radix_sortIxLj256ELj4ENS0_10empty_typeELj1ELj1ELj0ELNS0_26block_radix_rank_algorithmE1ELNS0_18block_padding_hintE2ELNS0_4arch9wavefront6targetE1EE19radix_bits_per_passE, 4

	.protected	_ZN7rocprim17ROCPRIM_400000_NS16block_radix_sortIiLj256ELj4ENS0_10empty_typeELj1ELj1ELj0ELNS0_26block_radix_rank_algorithmE1ELNS0_18block_padding_hintE2ELNS0_4arch9wavefront6targetE1EE19radix_bits_per_passE ; @_ZN7rocprim17ROCPRIM_400000_NS16block_radix_sortIiLj256ELj4ENS0_10empty_typeELj1ELj1ELj0ELNS0_26block_radix_rank_algorithmE1ELNS0_18block_padding_hintE2ELNS0_4arch9wavefront6targetE1EE19radix_bits_per_passE
	.type	_ZN7rocprim17ROCPRIM_400000_NS16block_radix_sortIiLj256ELj4ENS0_10empty_typeELj1ELj1ELj0ELNS0_26block_radix_rank_algorithmE1ELNS0_18block_padding_hintE2ELNS0_4arch9wavefront6targetE1EE19radix_bits_per_passE,@object
	.section	.rodata._ZN7rocprim17ROCPRIM_400000_NS16block_radix_sortIiLj256ELj4ENS0_10empty_typeELj1ELj1ELj0ELNS0_26block_radix_rank_algorithmE1ELNS0_18block_padding_hintE2ELNS0_4arch9wavefront6targetE1EE19radix_bits_per_passE,"aG",@progbits,_ZN7rocprim17ROCPRIM_400000_NS16block_radix_sortIiLj256ELj4ENS0_10empty_typeELj1ELj1ELj0ELNS0_26block_radix_rank_algorithmE1ELNS0_18block_padding_hintE2ELNS0_4arch9wavefront6targetE1EE19radix_bits_per_passE,comdat
	.weak	_ZN7rocprim17ROCPRIM_400000_NS16block_radix_sortIiLj256ELj4ENS0_10empty_typeELj1ELj1ELj0ELNS0_26block_radix_rank_algorithmE1ELNS0_18block_padding_hintE2ELNS0_4arch9wavefront6targetE1EE19radix_bits_per_passE
	.p2align	2, 0x0
_ZN7rocprim17ROCPRIM_400000_NS16block_radix_sortIiLj256ELj4ENS0_10empty_typeELj1ELj1ELj0ELNS0_26block_radix_rank_algorithmE1ELNS0_18block_padding_hintE2ELNS0_4arch9wavefront6targetE1EE19radix_bits_per_passE:
	.long	8                               ; 0x8
	.size	_ZN7rocprim17ROCPRIM_400000_NS16block_radix_sortIiLj256ELj4ENS0_10empty_typeELj1ELj1ELj0ELNS0_26block_radix_rank_algorithmE1ELNS0_18block_padding_hintE2ELNS0_4arch9wavefront6targetE1EE19radix_bits_per_passE, 4

	.protected	_ZN7rocprim17ROCPRIM_400000_NS16block_radix_sortIsLj256ELj4ENS0_10empty_typeELj1ELj1ELj0ELNS0_26block_radix_rank_algorithmE1ELNS0_18block_padding_hintE2ELNS0_4arch9wavefront6targetE1EE19radix_bits_per_passE ; @_ZN7rocprim17ROCPRIM_400000_NS16block_radix_sortIsLj256ELj4ENS0_10empty_typeELj1ELj1ELj0ELNS0_26block_radix_rank_algorithmE1ELNS0_18block_padding_hintE2ELNS0_4arch9wavefront6targetE1EE19radix_bits_per_passE
	.type	_ZN7rocprim17ROCPRIM_400000_NS16block_radix_sortIsLj256ELj4ENS0_10empty_typeELj1ELj1ELj0ELNS0_26block_radix_rank_algorithmE1ELNS0_18block_padding_hintE2ELNS0_4arch9wavefront6targetE1EE19radix_bits_per_passE,@object
	.section	.rodata._ZN7rocprim17ROCPRIM_400000_NS16block_radix_sortIsLj256ELj4ENS0_10empty_typeELj1ELj1ELj0ELNS0_26block_radix_rank_algorithmE1ELNS0_18block_padding_hintE2ELNS0_4arch9wavefront6targetE1EE19radix_bits_per_passE,"aG",@progbits,_ZN7rocprim17ROCPRIM_400000_NS16block_radix_sortIsLj256ELj4ENS0_10empty_typeELj1ELj1ELj0ELNS0_26block_radix_rank_algorithmE1ELNS0_18block_padding_hintE2ELNS0_4arch9wavefront6targetE1EE19radix_bits_per_passE,comdat
	.weak	_ZN7rocprim17ROCPRIM_400000_NS16block_radix_sortIsLj256ELj4ENS0_10empty_typeELj1ELj1ELj0ELNS0_26block_radix_rank_algorithmE1ELNS0_18block_padding_hintE2ELNS0_4arch9wavefront6targetE1EE19radix_bits_per_passE
	.p2align	2, 0x0
_ZN7rocprim17ROCPRIM_400000_NS16block_radix_sortIsLj256ELj4ENS0_10empty_typeELj1ELj1ELj0ELNS0_26block_radix_rank_algorithmE1ELNS0_18block_padding_hintE2ELNS0_4arch9wavefront6targetE1EE19radix_bits_per_passE:
	.long	8                               ; 0x8
	.size	_ZN7rocprim17ROCPRIM_400000_NS16block_radix_sortIsLj256ELj4ENS0_10empty_typeELj1ELj1ELj0ELNS0_26block_radix_rank_algorithmE1ELNS0_18block_padding_hintE2ELNS0_4arch9wavefront6targetE1EE19radix_bits_per_passE, 4

	.type	__hip_cuid_15c47b952eeb7c10,@object ; @__hip_cuid_15c47b952eeb7c10
	.section	.bss,"aw",@nobits
	.globl	__hip_cuid_15c47b952eeb7c10
__hip_cuid_15c47b952eeb7c10:
	.byte	0                               ; 0x0
	.size	__hip_cuid_15c47b952eeb7c10, 1

	.ident	"AMD clang version 19.0.0git (https://github.com/RadeonOpenCompute/llvm-project roc-6.4.0 25133 c7fe45cf4b819c5991fe208aaa96edf142730f1d)"
	.section	".note.GNU-stack","",@progbits
	.addrsig
	.addrsig_sym __hip_cuid_15c47b952eeb7c10
	.amdgpu_metadata
---
amdhsa.kernels:
  - .agpr_count:     0
    .args:
      - .offset:         0
        .size:           4
        .value_kind:     by_value
      - .address_space:  global
        .offset:         8
        .size:           8
        .value_kind:     global_buffer
    .group_segment_fixed_size: 0
    .kernarg_segment_align: 8
    .kernarg_segment_size: 16
    .language:       OpenCL C
    .language_version:
      - 2
      - 0
    .max_flat_workgroup_size: 256
    .name:           _Z15PartitionKerneliPi
    .private_segment_fixed_size: 0
    .sgpr_count:     18
    .sgpr_spill_count: 0
    .symbol:         _Z15PartitionKerneliPi.kd
    .uniform_work_group_size: 1
    .uses_dynamic_stack: false
    .vgpr_count:     3
    .vgpr_spill_count: 0
    .wavefront_size: 64
  - .agpr_count:     0
    .args:
      - .offset:         0
        .size:           4
        .value_kind:     by_value
      - .address_space:  global
        .offset:         8
        .size:           8
        .value_kind:     global_buffer
      - .address_space:  global
        .offset:         16
        .size:           8
        .value_kind:     global_buffer
      - .address_space:  global
        .offset:         24
        .size:           8
        .value_kind:     global_buffer
      - .address_space:  global
        .offset:         32
        .size:           8
        .value_kind:     global_buffer
    .group_segment_fixed_size: 0
    .kernarg_segment_align: 8
    .kernarg_segment_size: 40
    .language:       OpenCL C
    .language_version:
      - 2
      - 0
    .max_flat_workgroup_size: 256
    .name:           _Z19PartitionCopyKerneliPiS_S_S_
    .private_segment_fixed_size: 0
    .sgpr_count:     30
    .sgpr_spill_count: 0
    .symbol:         _Z19PartitionCopyKerneliPiS_S_S_.kd
    .uniform_work_group_size: 1
    .uses_dynamic_stack: false
    .vgpr_count:     4
    .vgpr_spill_count: 0
    .wavefront_size: 64
  - .agpr_count:     0
    .args:
      - .offset:         0
        .size:           16
        .value_kind:     by_value
      - .offset:         16
        .size:           8
        .value_kind:     by_value
      - .offset:         24
        .size:           8
        .value_kind:     by_value
    .group_segment_fixed_size: 0
    .kernarg_segment_align: 8
    .kernarg_segment_size: 32
    .language:       OpenCL C
    .language_version:
      - 2
      - 0
    .max_flat_workgroup_size: 256
    .name:           _ZN6thrust23THRUST_200600_302600_NS11hip_rocprim14__parallel_for6kernelILj256ENS1_20__uninitialized_fill7functorINS0_10device_ptrIxEExEEmLj1EEEvT0_T1_SA_
    .private_segment_fixed_size: 0
    .sgpr_count:     18
    .sgpr_spill_count: 0
    .symbol:         _ZN6thrust23THRUST_200600_302600_NS11hip_rocprim14__parallel_for6kernelILj256ENS1_20__uninitialized_fill7functorINS0_10device_ptrIxEExEEmLj1EEEvT0_T1_SA_.kd
    .uniform_work_group_size: 1
    .uses_dynamic_stack: false
    .vgpr_count:     4
    .vgpr_spill_count: 0
    .wavefront_size: 64
  - .agpr_count:     0
    .args:
      - .offset:         0
        .size:           16
        .value_kind:     by_value
      - .offset:         16
        .size:           8
        .value_kind:     by_value
      - .offset:         24
        .size:           8
        .value_kind:     by_value
    .group_segment_fixed_size: 0
    .kernarg_segment_align: 8
    .kernarg_segment_size: 32
    .language:       OpenCL C
    .language_version:
      - 2
      - 0
    .max_flat_workgroup_size: 256
    .name:           _ZN6thrust23THRUST_200600_302600_NS11hip_rocprim14__parallel_for6kernelILj256ENS1_20__uninitialized_copy7functorINS0_6detail15normal_iteratorINS0_10device_ptrIxEEEENS7_INS0_7pointerIxNS1_3tagENS0_11use_defaultESD_EEEEEElLj1EEEvT0_T1_SI_
    .private_segment_fixed_size: 0
    .sgpr_count:     18
    .sgpr_spill_count: 0
    .symbol:         _ZN6thrust23THRUST_200600_302600_NS11hip_rocprim14__parallel_for6kernelILj256ENS1_20__uninitialized_copy7functorINS0_6detail15normal_iteratorINS0_10device_ptrIxEEEENS7_INS0_7pointerIxNS1_3tagENS0_11use_defaultESD_EEEEEElLj1EEEvT0_T1_SI_.kd
    .uniform_work_group_size: 1
    .uses_dynamic_stack: false
    .vgpr_count:     6
    .vgpr_spill_count: 0
    .wavefront_size: 64
  - .agpr_count:     0
    .args:
      - .address_space:  global
        .offset:         0
        .size:           8
        .value_kind:     global_buffer
      - .offset:         8
        .size:           4
        .value_kind:     by_value
      - .offset:         12
        .size:           1
        .value_kind:     by_value
      - .offset:         16
        .size:           4
        .value_kind:     by_value
      - .address_space:  global
        .offset:         24
        .size:           8
        .value_kind:     global_buffer
      - .offset:         32
        .size:           4
        .value_kind:     hidden_block_count_x
      - .offset:         36
        .size:           4
        .value_kind:     hidden_block_count_y
      - .offset:         40
        .size:           4
        .value_kind:     hidden_block_count_z
      - .offset:         44
        .size:           2
        .value_kind:     hidden_group_size_x
      - .offset:         46
        .size:           2
        .value_kind:     hidden_group_size_y
      - .offset:         48
        .size:           2
        .value_kind:     hidden_group_size_z
      - .offset:         50
        .size:           2
        .value_kind:     hidden_remainder_x
      - .offset:         52
        .size:           2
        .value_kind:     hidden_remainder_y
      - .offset:         54
        .size:           2
        .value_kind:     hidden_remainder_z
      - .offset:         72
        .size:           8
        .value_kind:     hidden_global_offset_x
      - .offset:         80
        .size:           8
        .value_kind:     hidden_global_offset_y
      - .offset:         88
        .size:           8
        .value_kind:     hidden_global_offset_z
      - .offset:         96
        .size:           2
        .value_kind:     hidden_grid_dims
    .group_segment_fixed_size: 0
    .kernarg_segment_align: 8
    .kernarg_segment_size: 288
    .language:       OpenCL C
    .language_version:
      - 2
      - 0
    .max_flat_workgroup_size: 256
    .name:           _ZN7rocprim17ROCPRIM_400000_NS6detail31init_lookback_scan_state_kernelINS1_19lookback_scan_stateIjLb0ELb1EEENS1_16block_id_wrapperIjLb0EEEEEvT_jT0_jPNS7_10value_typeE
    .private_segment_fixed_size: 0
    .sgpr_count:     15
    .sgpr_spill_count: 0
    .symbol:         _ZN7rocprim17ROCPRIM_400000_NS6detail31init_lookback_scan_state_kernelINS1_19lookback_scan_stateIjLb0ELb1EEENS1_16block_id_wrapperIjLb0EEEEEvT_jT0_jPNS7_10value_typeE.kd
    .uniform_work_group_size: 1
    .uses_dynamic_stack: false
    .vgpr_count:     6
    .vgpr_spill_count: 0
    .wavefront_size: 64
  - .agpr_count:     0
    .args:
      - .offset:         0
        .size:           120
        .value_kind:     by_value
    .group_segment_fixed_size: 0
    .kernarg_segment_align: 8
    .kernarg_segment_size: 120
    .language:       OpenCL C
    .language_version:
      - 2
      - 0
    .max_flat_workgroup_size: 192
    .name:           _ZN7rocprim17ROCPRIM_400000_NS6detail17trampoline_kernelINS0_14default_configENS1_25partition_config_selectorILNS1_17partition_subalgoE3ExNS0_10empty_typeEbEEZZNS1_14partition_implILS5_3ELb0ES3_jN6thrust23THRUST_200600_302600_NS6detail15normal_iteratorINSA_7pointerIxNSA_11hip_rocprim3tagENSA_11use_defaultESG_EEEEPS6_SJ_NS0_5tupleIJPxSJ_EEENSK_IJSJ_SJ_EEES6_PlJ7is_evenIxEEEE10hipError_tPvRmT3_T4_T5_T6_T7_T9_mT8_P12ihipStream_tbDpT10_ENKUlT_T0_E_clISt17integral_constantIbLb0EES1A_EEDaS15_S16_EUlS15_E_NS1_11comp_targetILNS1_3genE0ELNS1_11target_archE4294967295ELNS1_3gpuE0ELNS1_3repE0EEENS1_30default_config_static_selectorELNS0_4arch9wavefront6targetE1EEEvT1_
    .private_segment_fixed_size: 0
    .sgpr_count:     6
    .sgpr_spill_count: 0
    .symbol:         _ZN7rocprim17ROCPRIM_400000_NS6detail17trampoline_kernelINS0_14default_configENS1_25partition_config_selectorILNS1_17partition_subalgoE3ExNS0_10empty_typeEbEEZZNS1_14partition_implILS5_3ELb0ES3_jN6thrust23THRUST_200600_302600_NS6detail15normal_iteratorINSA_7pointerIxNSA_11hip_rocprim3tagENSA_11use_defaultESG_EEEEPS6_SJ_NS0_5tupleIJPxSJ_EEENSK_IJSJ_SJ_EEES6_PlJ7is_evenIxEEEE10hipError_tPvRmT3_T4_T5_T6_T7_T9_mT8_P12ihipStream_tbDpT10_ENKUlT_T0_E_clISt17integral_constantIbLb0EES1A_EEDaS15_S16_EUlS15_E_NS1_11comp_targetILNS1_3genE0ELNS1_11target_archE4294967295ELNS1_3gpuE0ELNS1_3repE0EEENS1_30default_config_static_selectorELNS0_4arch9wavefront6targetE1EEEvT1_.kd
    .uniform_work_group_size: 1
    .uses_dynamic_stack: false
    .vgpr_count:     0
    .vgpr_spill_count: 0
    .wavefront_size: 64
  - .agpr_count:     0
    .args:
      - .offset:         0
        .size:           120
        .value_kind:     by_value
    .group_segment_fixed_size: 28680
    .kernarg_segment_align: 8
    .kernarg_segment_size: 120
    .language:       OpenCL C
    .language_version:
      - 2
      - 0
    .max_flat_workgroup_size: 512
    .name:           _ZN7rocprim17ROCPRIM_400000_NS6detail17trampoline_kernelINS0_14default_configENS1_25partition_config_selectorILNS1_17partition_subalgoE3ExNS0_10empty_typeEbEEZZNS1_14partition_implILS5_3ELb0ES3_jN6thrust23THRUST_200600_302600_NS6detail15normal_iteratorINSA_7pointerIxNSA_11hip_rocprim3tagENSA_11use_defaultESG_EEEEPS6_SJ_NS0_5tupleIJPxSJ_EEENSK_IJSJ_SJ_EEES6_PlJ7is_evenIxEEEE10hipError_tPvRmT3_T4_T5_T6_T7_T9_mT8_P12ihipStream_tbDpT10_ENKUlT_T0_E_clISt17integral_constantIbLb0EES1A_EEDaS15_S16_EUlS15_E_NS1_11comp_targetILNS1_3genE5ELNS1_11target_archE942ELNS1_3gpuE9ELNS1_3repE0EEENS1_30default_config_static_selectorELNS0_4arch9wavefront6targetE1EEEvT1_
    .private_segment_fixed_size: 0
    .sgpr_count:     52
    .sgpr_spill_count: 0
    .symbol:         _ZN7rocprim17ROCPRIM_400000_NS6detail17trampoline_kernelINS0_14default_configENS1_25partition_config_selectorILNS1_17partition_subalgoE3ExNS0_10empty_typeEbEEZZNS1_14partition_implILS5_3ELb0ES3_jN6thrust23THRUST_200600_302600_NS6detail15normal_iteratorINSA_7pointerIxNSA_11hip_rocprim3tagENSA_11use_defaultESG_EEEEPS6_SJ_NS0_5tupleIJPxSJ_EEENSK_IJSJ_SJ_EEES6_PlJ7is_evenIxEEEE10hipError_tPvRmT3_T4_T5_T6_T7_T9_mT8_P12ihipStream_tbDpT10_ENKUlT_T0_E_clISt17integral_constantIbLb0EES1A_EEDaS15_S16_EUlS15_E_NS1_11comp_targetILNS1_3genE5ELNS1_11target_archE942ELNS1_3gpuE9ELNS1_3repE0EEENS1_30default_config_static_selectorELNS0_4arch9wavefront6targetE1EEEvT1_.kd
    .uniform_work_group_size: 1
    .uses_dynamic_stack: false
    .vgpr_count:     57
    .vgpr_spill_count: 0
    .wavefront_size: 64
  - .agpr_count:     0
    .args:
      - .offset:         0
        .size:           120
        .value_kind:     by_value
    .group_segment_fixed_size: 0
    .kernarg_segment_align: 8
    .kernarg_segment_size: 120
    .language:       OpenCL C
    .language_version:
      - 2
      - 0
    .max_flat_workgroup_size: 192
    .name:           _ZN7rocprim17ROCPRIM_400000_NS6detail17trampoline_kernelINS0_14default_configENS1_25partition_config_selectorILNS1_17partition_subalgoE3ExNS0_10empty_typeEbEEZZNS1_14partition_implILS5_3ELb0ES3_jN6thrust23THRUST_200600_302600_NS6detail15normal_iteratorINSA_7pointerIxNSA_11hip_rocprim3tagENSA_11use_defaultESG_EEEEPS6_SJ_NS0_5tupleIJPxSJ_EEENSK_IJSJ_SJ_EEES6_PlJ7is_evenIxEEEE10hipError_tPvRmT3_T4_T5_T6_T7_T9_mT8_P12ihipStream_tbDpT10_ENKUlT_T0_E_clISt17integral_constantIbLb0EES1A_EEDaS15_S16_EUlS15_E_NS1_11comp_targetILNS1_3genE4ELNS1_11target_archE910ELNS1_3gpuE8ELNS1_3repE0EEENS1_30default_config_static_selectorELNS0_4arch9wavefront6targetE1EEEvT1_
    .private_segment_fixed_size: 0
    .sgpr_count:     6
    .sgpr_spill_count: 0
    .symbol:         _ZN7rocprim17ROCPRIM_400000_NS6detail17trampoline_kernelINS0_14default_configENS1_25partition_config_selectorILNS1_17partition_subalgoE3ExNS0_10empty_typeEbEEZZNS1_14partition_implILS5_3ELb0ES3_jN6thrust23THRUST_200600_302600_NS6detail15normal_iteratorINSA_7pointerIxNSA_11hip_rocprim3tagENSA_11use_defaultESG_EEEEPS6_SJ_NS0_5tupleIJPxSJ_EEENSK_IJSJ_SJ_EEES6_PlJ7is_evenIxEEEE10hipError_tPvRmT3_T4_T5_T6_T7_T9_mT8_P12ihipStream_tbDpT10_ENKUlT_T0_E_clISt17integral_constantIbLb0EES1A_EEDaS15_S16_EUlS15_E_NS1_11comp_targetILNS1_3genE4ELNS1_11target_archE910ELNS1_3gpuE8ELNS1_3repE0EEENS1_30default_config_static_selectorELNS0_4arch9wavefront6targetE1EEEvT1_.kd
    .uniform_work_group_size: 1
    .uses_dynamic_stack: false
    .vgpr_count:     0
    .vgpr_spill_count: 0
    .wavefront_size: 64
  - .agpr_count:     0
    .args:
      - .offset:         0
        .size:           120
        .value_kind:     by_value
    .group_segment_fixed_size: 0
    .kernarg_segment_align: 8
    .kernarg_segment_size: 120
    .language:       OpenCL C
    .language_version:
      - 2
      - 0
    .max_flat_workgroup_size: 192
    .name:           _ZN7rocprim17ROCPRIM_400000_NS6detail17trampoline_kernelINS0_14default_configENS1_25partition_config_selectorILNS1_17partition_subalgoE3ExNS0_10empty_typeEbEEZZNS1_14partition_implILS5_3ELb0ES3_jN6thrust23THRUST_200600_302600_NS6detail15normal_iteratorINSA_7pointerIxNSA_11hip_rocprim3tagENSA_11use_defaultESG_EEEEPS6_SJ_NS0_5tupleIJPxSJ_EEENSK_IJSJ_SJ_EEES6_PlJ7is_evenIxEEEE10hipError_tPvRmT3_T4_T5_T6_T7_T9_mT8_P12ihipStream_tbDpT10_ENKUlT_T0_E_clISt17integral_constantIbLb0EES1A_EEDaS15_S16_EUlS15_E_NS1_11comp_targetILNS1_3genE3ELNS1_11target_archE908ELNS1_3gpuE7ELNS1_3repE0EEENS1_30default_config_static_selectorELNS0_4arch9wavefront6targetE1EEEvT1_
    .private_segment_fixed_size: 0
    .sgpr_count:     6
    .sgpr_spill_count: 0
    .symbol:         _ZN7rocprim17ROCPRIM_400000_NS6detail17trampoline_kernelINS0_14default_configENS1_25partition_config_selectorILNS1_17partition_subalgoE3ExNS0_10empty_typeEbEEZZNS1_14partition_implILS5_3ELb0ES3_jN6thrust23THRUST_200600_302600_NS6detail15normal_iteratorINSA_7pointerIxNSA_11hip_rocprim3tagENSA_11use_defaultESG_EEEEPS6_SJ_NS0_5tupleIJPxSJ_EEENSK_IJSJ_SJ_EEES6_PlJ7is_evenIxEEEE10hipError_tPvRmT3_T4_T5_T6_T7_T9_mT8_P12ihipStream_tbDpT10_ENKUlT_T0_E_clISt17integral_constantIbLb0EES1A_EEDaS15_S16_EUlS15_E_NS1_11comp_targetILNS1_3genE3ELNS1_11target_archE908ELNS1_3gpuE7ELNS1_3repE0EEENS1_30default_config_static_selectorELNS0_4arch9wavefront6targetE1EEEvT1_.kd
    .uniform_work_group_size: 1
    .uses_dynamic_stack: false
    .vgpr_count:     0
    .vgpr_spill_count: 0
    .wavefront_size: 64
  - .agpr_count:     0
    .args:
      - .offset:         0
        .size:           120
        .value_kind:     by_value
    .group_segment_fixed_size: 0
    .kernarg_segment_align: 8
    .kernarg_segment_size: 120
    .language:       OpenCL C
    .language_version:
      - 2
      - 0
    .max_flat_workgroup_size: 256
    .name:           _ZN7rocprim17ROCPRIM_400000_NS6detail17trampoline_kernelINS0_14default_configENS1_25partition_config_selectorILNS1_17partition_subalgoE3ExNS0_10empty_typeEbEEZZNS1_14partition_implILS5_3ELb0ES3_jN6thrust23THRUST_200600_302600_NS6detail15normal_iteratorINSA_7pointerIxNSA_11hip_rocprim3tagENSA_11use_defaultESG_EEEEPS6_SJ_NS0_5tupleIJPxSJ_EEENSK_IJSJ_SJ_EEES6_PlJ7is_evenIxEEEE10hipError_tPvRmT3_T4_T5_T6_T7_T9_mT8_P12ihipStream_tbDpT10_ENKUlT_T0_E_clISt17integral_constantIbLb0EES1A_EEDaS15_S16_EUlS15_E_NS1_11comp_targetILNS1_3genE2ELNS1_11target_archE906ELNS1_3gpuE6ELNS1_3repE0EEENS1_30default_config_static_selectorELNS0_4arch9wavefront6targetE1EEEvT1_
    .private_segment_fixed_size: 0
    .sgpr_count:     6
    .sgpr_spill_count: 0
    .symbol:         _ZN7rocprim17ROCPRIM_400000_NS6detail17trampoline_kernelINS0_14default_configENS1_25partition_config_selectorILNS1_17partition_subalgoE3ExNS0_10empty_typeEbEEZZNS1_14partition_implILS5_3ELb0ES3_jN6thrust23THRUST_200600_302600_NS6detail15normal_iteratorINSA_7pointerIxNSA_11hip_rocprim3tagENSA_11use_defaultESG_EEEEPS6_SJ_NS0_5tupleIJPxSJ_EEENSK_IJSJ_SJ_EEES6_PlJ7is_evenIxEEEE10hipError_tPvRmT3_T4_T5_T6_T7_T9_mT8_P12ihipStream_tbDpT10_ENKUlT_T0_E_clISt17integral_constantIbLb0EES1A_EEDaS15_S16_EUlS15_E_NS1_11comp_targetILNS1_3genE2ELNS1_11target_archE906ELNS1_3gpuE6ELNS1_3repE0EEENS1_30default_config_static_selectorELNS0_4arch9wavefront6targetE1EEEvT1_.kd
    .uniform_work_group_size: 1
    .uses_dynamic_stack: false
    .vgpr_count:     0
    .vgpr_spill_count: 0
    .wavefront_size: 64
  - .agpr_count:     0
    .args:
      - .offset:         0
        .size:           120
        .value_kind:     by_value
    .group_segment_fixed_size: 0
    .kernarg_segment_align: 8
    .kernarg_segment_size: 120
    .language:       OpenCL C
    .language_version:
      - 2
      - 0
    .max_flat_workgroup_size: 512
    .name:           _ZN7rocprim17ROCPRIM_400000_NS6detail17trampoline_kernelINS0_14default_configENS1_25partition_config_selectorILNS1_17partition_subalgoE3ExNS0_10empty_typeEbEEZZNS1_14partition_implILS5_3ELb0ES3_jN6thrust23THRUST_200600_302600_NS6detail15normal_iteratorINSA_7pointerIxNSA_11hip_rocprim3tagENSA_11use_defaultESG_EEEEPS6_SJ_NS0_5tupleIJPxSJ_EEENSK_IJSJ_SJ_EEES6_PlJ7is_evenIxEEEE10hipError_tPvRmT3_T4_T5_T6_T7_T9_mT8_P12ihipStream_tbDpT10_ENKUlT_T0_E_clISt17integral_constantIbLb0EES1A_EEDaS15_S16_EUlS15_E_NS1_11comp_targetILNS1_3genE10ELNS1_11target_archE1200ELNS1_3gpuE4ELNS1_3repE0EEENS1_30default_config_static_selectorELNS0_4arch9wavefront6targetE1EEEvT1_
    .private_segment_fixed_size: 0
    .sgpr_count:     6
    .sgpr_spill_count: 0
    .symbol:         _ZN7rocprim17ROCPRIM_400000_NS6detail17trampoline_kernelINS0_14default_configENS1_25partition_config_selectorILNS1_17partition_subalgoE3ExNS0_10empty_typeEbEEZZNS1_14partition_implILS5_3ELb0ES3_jN6thrust23THRUST_200600_302600_NS6detail15normal_iteratorINSA_7pointerIxNSA_11hip_rocprim3tagENSA_11use_defaultESG_EEEEPS6_SJ_NS0_5tupleIJPxSJ_EEENSK_IJSJ_SJ_EEES6_PlJ7is_evenIxEEEE10hipError_tPvRmT3_T4_T5_T6_T7_T9_mT8_P12ihipStream_tbDpT10_ENKUlT_T0_E_clISt17integral_constantIbLb0EES1A_EEDaS15_S16_EUlS15_E_NS1_11comp_targetILNS1_3genE10ELNS1_11target_archE1200ELNS1_3gpuE4ELNS1_3repE0EEENS1_30default_config_static_selectorELNS0_4arch9wavefront6targetE1EEEvT1_.kd
    .uniform_work_group_size: 1
    .uses_dynamic_stack: false
    .vgpr_count:     0
    .vgpr_spill_count: 0
    .wavefront_size: 64
  - .agpr_count:     0
    .args:
      - .offset:         0
        .size:           120
        .value_kind:     by_value
    .group_segment_fixed_size: 0
    .kernarg_segment_align: 8
    .kernarg_segment_size: 120
    .language:       OpenCL C
    .language_version:
      - 2
      - 0
    .max_flat_workgroup_size: 512
    .name:           _ZN7rocprim17ROCPRIM_400000_NS6detail17trampoline_kernelINS0_14default_configENS1_25partition_config_selectorILNS1_17partition_subalgoE3ExNS0_10empty_typeEbEEZZNS1_14partition_implILS5_3ELb0ES3_jN6thrust23THRUST_200600_302600_NS6detail15normal_iteratorINSA_7pointerIxNSA_11hip_rocprim3tagENSA_11use_defaultESG_EEEEPS6_SJ_NS0_5tupleIJPxSJ_EEENSK_IJSJ_SJ_EEES6_PlJ7is_evenIxEEEE10hipError_tPvRmT3_T4_T5_T6_T7_T9_mT8_P12ihipStream_tbDpT10_ENKUlT_T0_E_clISt17integral_constantIbLb0EES1A_EEDaS15_S16_EUlS15_E_NS1_11comp_targetILNS1_3genE9ELNS1_11target_archE1100ELNS1_3gpuE3ELNS1_3repE0EEENS1_30default_config_static_selectorELNS0_4arch9wavefront6targetE1EEEvT1_
    .private_segment_fixed_size: 0
    .sgpr_count:     6
    .sgpr_spill_count: 0
    .symbol:         _ZN7rocprim17ROCPRIM_400000_NS6detail17trampoline_kernelINS0_14default_configENS1_25partition_config_selectorILNS1_17partition_subalgoE3ExNS0_10empty_typeEbEEZZNS1_14partition_implILS5_3ELb0ES3_jN6thrust23THRUST_200600_302600_NS6detail15normal_iteratorINSA_7pointerIxNSA_11hip_rocprim3tagENSA_11use_defaultESG_EEEEPS6_SJ_NS0_5tupleIJPxSJ_EEENSK_IJSJ_SJ_EEES6_PlJ7is_evenIxEEEE10hipError_tPvRmT3_T4_T5_T6_T7_T9_mT8_P12ihipStream_tbDpT10_ENKUlT_T0_E_clISt17integral_constantIbLb0EES1A_EEDaS15_S16_EUlS15_E_NS1_11comp_targetILNS1_3genE9ELNS1_11target_archE1100ELNS1_3gpuE3ELNS1_3repE0EEENS1_30default_config_static_selectorELNS0_4arch9wavefront6targetE1EEEvT1_.kd
    .uniform_work_group_size: 1
    .uses_dynamic_stack: false
    .vgpr_count:     0
    .vgpr_spill_count: 0
    .wavefront_size: 64
  - .agpr_count:     0
    .args:
      - .offset:         0
        .size:           120
        .value_kind:     by_value
    .group_segment_fixed_size: 0
    .kernarg_segment_align: 8
    .kernarg_segment_size: 120
    .language:       OpenCL C
    .language_version:
      - 2
      - 0
    .max_flat_workgroup_size: 512
    .name:           _ZN7rocprim17ROCPRIM_400000_NS6detail17trampoline_kernelINS0_14default_configENS1_25partition_config_selectorILNS1_17partition_subalgoE3ExNS0_10empty_typeEbEEZZNS1_14partition_implILS5_3ELb0ES3_jN6thrust23THRUST_200600_302600_NS6detail15normal_iteratorINSA_7pointerIxNSA_11hip_rocprim3tagENSA_11use_defaultESG_EEEEPS6_SJ_NS0_5tupleIJPxSJ_EEENSK_IJSJ_SJ_EEES6_PlJ7is_evenIxEEEE10hipError_tPvRmT3_T4_T5_T6_T7_T9_mT8_P12ihipStream_tbDpT10_ENKUlT_T0_E_clISt17integral_constantIbLb0EES1A_EEDaS15_S16_EUlS15_E_NS1_11comp_targetILNS1_3genE8ELNS1_11target_archE1030ELNS1_3gpuE2ELNS1_3repE0EEENS1_30default_config_static_selectorELNS0_4arch9wavefront6targetE1EEEvT1_
    .private_segment_fixed_size: 0
    .sgpr_count:     6
    .sgpr_spill_count: 0
    .symbol:         _ZN7rocprim17ROCPRIM_400000_NS6detail17trampoline_kernelINS0_14default_configENS1_25partition_config_selectorILNS1_17partition_subalgoE3ExNS0_10empty_typeEbEEZZNS1_14partition_implILS5_3ELb0ES3_jN6thrust23THRUST_200600_302600_NS6detail15normal_iteratorINSA_7pointerIxNSA_11hip_rocprim3tagENSA_11use_defaultESG_EEEEPS6_SJ_NS0_5tupleIJPxSJ_EEENSK_IJSJ_SJ_EEES6_PlJ7is_evenIxEEEE10hipError_tPvRmT3_T4_T5_T6_T7_T9_mT8_P12ihipStream_tbDpT10_ENKUlT_T0_E_clISt17integral_constantIbLb0EES1A_EEDaS15_S16_EUlS15_E_NS1_11comp_targetILNS1_3genE8ELNS1_11target_archE1030ELNS1_3gpuE2ELNS1_3repE0EEENS1_30default_config_static_selectorELNS0_4arch9wavefront6targetE1EEEvT1_.kd
    .uniform_work_group_size: 1
    .uses_dynamic_stack: false
    .vgpr_count:     0
    .vgpr_spill_count: 0
    .wavefront_size: 64
  - .agpr_count:     0
    .args:
      - .offset:         0
        .size:           40
        .value_kind:     by_value
    .group_segment_fixed_size: 0
    .kernarg_segment_align: 8
    .kernarg_segment_size: 40
    .language:       OpenCL C
    .language_version:
      - 2
      - 0
    .max_flat_workgroup_size: 128
    .name:           _ZN7rocprim17ROCPRIM_400000_NS6detail17trampoline_kernelINS0_14default_configENS1_25transform_config_selectorImLb1EEEZNS1_14transform_implILb1ES3_S5_PmPlNS0_8identityIvEEEE10hipError_tT2_T3_mT4_P12ihipStream_tbEUlT_E_NS1_11comp_targetILNS1_3genE0ELNS1_11target_archE4294967295ELNS1_3gpuE0ELNS1_3repE0EEENS1_30default_config_static_selectorELNS0_4arch9wavefront6targetE1EEEvT1_
    .private_segment_fixed_size: 0
    .sgpr_count:     6
    .sgpr_spill_count: 0
    .symbol:         _ZN7rocprim17ROCPRIM_400000_NS6detail17trampoline_kernelINS0_14default_configENS1_25transform_config_selectorImLb1EEEZNS1_14transform_implILb1ES3_S5_PmPlNS0_8identityIvEEEE10hipError_tT2_T3_mT4_P12ihipStream_tbEUlT_E_NS1_11comp_targetILNS1_3genE0ELNS1_11target_archE4294967295ELNS1_3gpuE0ELNS1_3repE0EEENS1_30default_config_static_selectorELNS0_4arch9wavefront6targetE1EEEvT1_.kd
    .uniform_work_group_size: 1
    .uses_dynamic_stack: false
    .vgpr_count:     0
    .vgpr_spill_count: 0
    .wavefront_size: 64
  - .agpr_count:     0
    .args:
      - .offset:         0
        .size:           40
        .value_kind:     by_value
    .group_segment_fixed_size: 0
    .kernarg_segment_align: 8
    .kernarg_segment_size: 40
    .language:       OpenCL C
    .language_version:
      - 2
      - 0
    .max_flat_workgroup_size: 1024
    .name:           _ZN7rocprim17ROCPRIM_400000_NS6detail17trampoline_kernelINS0_14default_configENS1_25transform_config_selectorImLb1EEEZNS1_14transform_implILb1ES3_S5_PmPlNS0_8identityIvEEEE10hipError_tT2_T3_mT4_P12ihipStream_tbEUlT_E_NS1_11comp_targetILNS1_3genE10ELNS1_11target_archE1201ELNS1_3gpuE5ELNS1_3repE0EEENS1_30default_config_static_selectorELNS0_4arch9wavefront6targetE1EEEvT1_
    .private_segment_fixed_size: 0
    .sgpr_count:     6
    .sgpr_spill_count: 0
    .symbol:         _ZN7rocprim17ROCPRIM_400000_NS6detail17trampoline_kernelINS0_14default_configENS1_25transform_config_selectorImLb1EEEZNS1_14transform_implILb1ES3_S5_PmPlNS0_8identityIvEEEE10hipError_tT2_T3_mT4_P12ihipStream_tbEUlT_E_NS1_11comp_targetILNS1_3genE10ELNS1_11target_archE1201ELNS1_3gpuE5ELNS1_3repE0EEENS1_30default_config_static_selectorELNS0_4arch9wavefront6targetE1EEEvT1_.kd
    .uniform_work_group_size: 1
    .uses_dynamic_stack: false
    .vgpr_count:     0
    .vgpr_spill_count: 0
    .wavefront_size: 64
  - .agpr_count:     0
    .args:
      - .offset:         0
        .size:           40
        .value_kind:     by_value
      - .offset:         40
        .size:           4
        .value_kind:     hidden_block_count_x
      - .offset:         44
        .size:           4
        .value_kind:     hidden_block_count_y
      - .offset:         48
        .size:           4
        .value_kind:     hidden_block_count_z
      - .offset:         52
        .size:           2
        .value_kind:     hidden_group_size_x
      - .offset:         54
        .size:           2
        .value_kind:     hidden_group_size_y
      - .offset:         56
        .size:           2
        .value_kind:     hidden_group_size_z
      - .offset:         58
        .size:           2
        .value_kind:     hidden_remainder_x
      - .offset:         60
        .size:           2
        .value_kind:     hidden_remainder_y
      - .offset:         62
        .size:           2
        .value_kind:     hidden_remainder_z
      - .offset:         80
        .size:           8
        .value_kind:     hidden_global_offset_x
      - .offset:         88
        .size:           8
        .value_kind:     hidden_global_offset_y
      - .offset:         96
        .size:           8
        .value_kind:     hidden_global_offset_z
      - .offset:         104
        .size:           2
        .value_kind:     hidden_grid_dims
    .group_segment_fixed_size: 0
    .kernarg_segment_align: 8
    .kernarg_segment_size: 296
    .language:       OpenCL C
    .language_version:
      - 2
      - 0
    .max_flat_workgroup_size: 512
    .name:           _ZN7rocprim17ROCPRIM_400000_NS6detail17trampoline_kernelINS0_14default_configENS1_25transform_config_selectorImLb1EEEZNS1_14transform_implILb1ES3_S5_PmPlNS0_8identityIvEEEE10hipError_tT2_T3_mT4_P12ihipStream_tbEUlT_E_NS1_11comp_targetILNS1_3genE5ELNS1_11target_archE942ELNS1_3gpuE9ELNS1_3repE0EEENS1_30default_config_static_selectorELNS0_4arch9wavefront6targetE1EEEvT1_
    .private_segment_fixed_size: 0
    .sgpr_count:     18
    .sgpr_spill_count: 0
    .symbol:         _ZN7rocprim17ROCPRIM_400000_NS6detail17trampoline_kernelINS0_14default_configENS1_25transform_config_selectorImLb1EEEZNS1_14transform_implILb1ES3_S5_PmPlNS0_8identityIvEEEE10hipError_tT2_T3_mT4_P12ihipStream_tbEUlT_E_NS1_11comp_targetILNS1_3genE5ELNS1_11target_archE942ELNS1_3gpuE9ELNS1_3repE0EEENS1_30default_config_static_selectorELNS0_4arch9wavefront6targetE1EEEvT1_.kd
    .uniform_work_group_size: 1
    .uses_dynamic_stack: false
    .vgpr_count:     8
    .vgpr_spill_count: 0
    .wavefront_size: 64
  - .agpr_count:     0
    .args:
      - .offset:         0
        .size:           40
        .value_kind:     by_value
    .group_segment_fixed_size: 0
    .kernarg_segment_align: 8
    .kernarg_segment_size: 40
    .language:       OpenCL C
    .language_version:
      - 2
      - 0
    .max_flat_workgroup_size: 1024
    .name:           _ZN7rocprim17ROCPRIM_400000_NS6detail17trampoline_kernelINS0_14default_configENS1_25transform_config_selectorImLb1EEEZNS1_14transform_implILb1ES3_S5_PmPlNS0_8identityIvEEEE10hipError_tT2_T3_mT4_P12ihipStream_tbEUlT_E_NS1_11comp_targetILNS1_3genE4ELNS1_11target_archE910ELNS1_3gpuE8ELNS1_3repE0EEENS1_30default_config_static_selectorELNS0_4arch9wavefront6targetE1EEEvT1_
    .private_segment_fixed_size: 0
    .sgpr_count:     6
    .sgpr_spill_count: 0
    .symbol:         _ZN7rocprim17ROCPRIM_400000_NS6detail17trampoline_kernelINS0_14default_configENS1_25transform_config_selectorImLb1EEEZNS1_14transform_implILb1ES3_S5_PmPlNS0_8identityIvEEEE10hipError_tT2_T3_mT4_P12ihipStream_tbEUlT_E_NS1_11comp_targetILNS1_3genE4ELNS1_11target_archE910ELNS1_3gpuE8ELNS1_3repE0EEENS1_30default_config_static_selectorELNS0_4arch9wavefront6targetE1EEEvT1_.kd
    .uniform_work_group_size: 1
    .uses_dynamic_stack: false
    .vgpr_count:     0
    .vgpr_spill_count: 0
    .wavefront_size: 64
  - .agpr_count:     0
    .args:
      - .offset:         0
        .size:           40
        .value_kind:     by_value
    .group_segment_fixed_size: 0
    .kernarg_segment_align: 8
    .kernarg_segment_size: 40
    .language:       OpenCL C
    .language_version:
      - 2
      - 0
    .max_flat_workgroup_size: 128
    .name:           _ZN7rocprim17ROCPRIM_400000_NS6detail17trampoline_kernelINS0_14default_configENS1_25transform_config_selectorImLb1EEEZNS1_14transform_implILb1ES3_S5_PmPlNS0_8identityIvEEEE10hipError_tT2_T3_mT4_P12ihipStream_tbEUlT_E_NS1_11comp_targetILNS1_3genE3ELNS1_11target_archE908ELNS1_3gpuE7ELNS1_3repE0EEENS1_30default_config_static_selectorELNS0_4arch9wavefront6targetE1EEEvT1_
    .private_segment_fixed_size: 0
    .sgpr_count:     6
    .sgpr_spill_count: 0
    .symbol:         _ZN7rocprim17ROCPRIM_400000_NS6detail17trampoline_kernelINS0_14default_configENS1_25transform_config_selectorImLb1EEEZNS1_14transform_implILb1ES3_S5_PmPlNS0_8identityIvEEEE10hipError_tT2_T3_mT4_P12ihipStream_tbEUlT_E_NS1_11comp_targetILNS1_3genE3ELNS1_11target_archE908ELNS1_3gpuE7ELNS1_3repE0EEENS1_30default_config_static_selectorELNS0_4arch9wavefront6targetE1EEEvT1_.kd
    .uniform_work_group_size: 1
    .uses_dynamic_stack: false
    .vgpr_count:     0
    .vgpr_spill_count: 0
    .wavefront_size: 64
  - .agpr_count:     0
    .args:
      - .offset:         0
        .size:           40
        .value_kind:     by_value
    .group_segment_fixed_size: 0
    .kernarg_segment_align: 8
    .kernarg_segment_size: 40
    .language:       OpenCL C
    .language_version:
      - 2
      - 0
    .max_flat_workgroup_size: 512
    .name:           _ZN7rocprim17ROCPRIM_400000_NS6detail17trampoline_kernelINS0_14default_configENS1_25transform_config_selectorImLb1EEEZNS1_14transform_implILb1ES3_S5_PmPlNS0_8identityIvEEEE10hipError_tT2_T3_mT4_P12ihipStream_tbEUlT_E_NS1_11comp_targetILNS1_3genE2ELNS1_11target_archE906ELNS1_3gpuE6ELNS1_3repE0EEENS1_30default_config_static_selectorELNS0_4arch9wavefront6targetE1EEEvT1_
    .private_segment_fixed_size: 0
    .sgpr_count:     6
    .sgpr_spill_count: 0
    .symbol:         _ZN7rocprim17ROCPRIM_400000_NS6detail17trampoline_kernelINS0_14default_configENS1_25transform_config_selectorImLb1EEEZNS1_14transform_implILb1ES3_S5_PmPlNS0_8identityIvEEEE10hipError_tT2_T3_mT4_P12ihipStream_tbEUlT_E_NS1_11comp_targetILNS1_3genE2ELNS1_11target_archE906ELNS1_3gpuE6ELNS1_3repE0EEENS1_30default_config_static_selectorELNS0_4arch9wavefront6targetE1EEEvT1_.kd
    .uniform_work_group_size: 1
    .uses_dynamic_stack: false
    .vgpr_count:     0
    .vgpr_spill_count: 0
    .wavefront_size: 64
  - .agpr_count:     0
    .args:
      - .offset:         0
        .size:           40
        .value_kind:     by_value
    .group_segment_fixed_size: 0
    .kernarg_segment_align: 8
    .kernarg_segment_size: 40
    .language:       OpenCL C
    .language_version:
      - 2
      - 0
    .max_flat_workgroup_size: 1024
    .name:           _ZN7rocprim17ROCPRIM_400000_NS6detail17trampoline_kernelINS0_14default_configENS1_25transform_config_selectorImLb1EEEZNS1_14transform_implILb1ES3_S5_PmPlNS0_8identityIvEEEE10hipError_tT2_T3_mT4_P12ihipStream_tbEUlT_E_NS1_11comp_targetILNS1_3genE9ELNS1_11target_archE1100ELNS1_3gpuE3ELNS1_3repE0EEENS1_30default_config_static_selectorELNS0_4arch9wavefront6targetE1EEEvT1_
    .private_segment_fixed_size: 0
    .sgpr_count:     6
    .sgpr_spill_count: 0
    .symbol:         _ZN7rocprim17ROCPRIM_400000_NS6detail17trampoline_kernelINS0_14default_configENS1_25transform_config_selectorImLb1EEEZNS1_14transform_implILb1ES3_S5_PmPlNS0_8identityIvEEEE10hipError_tT2_T3_mT4_P12ihipStream_tbEUlT_E_NS1_11comp_targetILNS1_3genE9ELNS1_11target_archE1100ELNS1_3gpuE3ELNS1_3repE0EEENS1_30default_config_static_selectorELNS0_4arch9wavefront6targetE1EEEvT1_.kd
    .uniform_work_group_size: 1
    .uses_dynamic_stack: false
    .vgpr_count:     0
    .vgpr_spill_count: 0
    .wavefront_size: 64
  - .agpr_count:     0
    .args:
      - .offset:         0
        .size:           40
        .value_kind:     by_value
    .group_segment_fixed_size: 0
    .kernarg_segment_align: 8
    .kernarg_segment_size: 40
    .language:       OpenCL C
    .language_version:
      - 2
      - 0
    .max_flat_workgroup_size: 1024
    .name:           _ZN7rocprim17ROCPRIM_400000_NS6detail17trampoline_kernelINS0_14default_configENS1_25transform_config_selectorImLb1EEEZNS1_14transform_implILb1ES3_S5_PmPlNS0_8identityIvEEEE10hipError_tT2_T3_mT4_P12ihipStream_tbEUlT_E_NS1_11comp_targetILNS1_3genE8ELNS1_11target_archE1030ELNS1_3gpuE2ELNS1_3repE0EEENS1_30default_config_static_selectorELNS0_4arch9wavefront6targetE1EEEvT1_
    .private_segment_fixed_size: 0
    .sgpr_count:     6
    .sgpr_spill_count: 0
    .symbol:         _ZN7rocprim17ROCPRIM_400000_NS6detail17trampoline_kernelINS0_14default_configENS1_25transform_config_selectorImLb1EEEZNS1_14transform_implILb1ES3_S5_PmPlNS0_8identityIvEEEE10hipError_tT2_T3_mT4_P12ihipStream_tbEUlT_E_NS1_11comp_targetILNS1_3genE8ELNS1_11target_archE1030ELNS1_3gpuE2ELNS1_3repE0EEENS1_30default_config_static_selectorELNS0_4arch9wavefront6targetE1EEEvT1_.kd
    .uniform_work_group_size: 1
    .uses_dynamic_stack: false
    .vgpr_count:     0
    .vgpr_spill_count: 0
    .wavefront_size: 64
  - .agpr_count:     0
    .args:
      - .address_space:  global
        .offset:         0
        .size:           8
        .value_kind:     global_buffer
      - .offset:         8
        .size:           4
        .value_kind:     by_value
      - .address_space:  global
        .offset:         16
        .size:           8
        .value_kind:     global_buffer
      - .offset:         24
        .size:           4
        .value_kind:     by_value
      - .address_space:  global
        .offset:         32
        .size:           8
        .value_kind:     global_buffer
      - .offset:         40
        .size:           4
        .value_kind:     hidden_block_count_x
      - .offset:         44
        .size:           4
        .value_kind:     hidden_block_count_y
      - .offset:         48
        .size:           4
        .value_kind:     hidden_block_count_z
      - .offset:         52
        .size:           2
        .value_kind:     hidden_group_size_x
      - .offset:         54
        .size:           2
        .value_kind:     hidden_group_size_y
      - .offset:         56
        .size:           2
        .value_kind:     hidden_group_size_z
      - .offset:         58
        .size:           2
        .value_kind:     hidden_remainder_x
      - .offset:         60
        .size:           2
        .value_kind:     hidden_remainder_y
      - .offset:         62
        .size:           2
        .value_kind:     hidden_remainder_z
      - .offset:         80
        .size:           8
        .value_kind:     hidden_global_offset_x
      - .offset:         88
        .size:           8
        .value_kind:     hidden_global_offset_y
      - .offset:         96
        .size:           8
        .value_kind:     hidden_global_offset_z
      - .offset:         104
        .size:           2
        .value_kind:     hidden_grid_dims
    .group_segment_fixed_size: 0
    .kernarg_segment_align: 8
    .kernarg_segment_size: 296
    .language:       OpenCL C
    .language_version:
      - 2
      - 0
    .max_flat_workgroup_size: 256
    .name:           _ZN7rocprim17ROCPRIM_400000_NS6detail31init_lookback_scan_state_kernelINS1_19lookback_scan_stateIjLb1ELb1EEENS1_16block_id_wrapperIjLb1EEEEEvT_jT0_jPNS7_10value_typeE
    .private_segment_fixed_size: 0
    .sgpr_count:     20
    .sgpr_spill_count: 0
    .symbol:         _ZN7rocprim17ROCPRIM_400000_NS6detail31init_lookback_scan_state_kernelINS1_19lookback_scan_stateIjLb1ELb1EEENS1_16block_id_wrapperIjLb1EEEEEvT_jT0_jPNS7_10value_typeE.kd
    .uniform_work_group_size: 1
    .uses_dynamic_stack: false
    .vgpr_count:     6
    .vgpr_spill_count: 0
    .wavefront_size: 64
  - .agpr_count:     0
    .args:
      - .offset:         0
        .size:           136
        .value_kind:     by_value
    .group_segment_fixed_size: 0
    .kernarg_segment_align: 8
    .kernarg_segment_size: 136
    .language:       OpenCL C
    .language_version:
      - 2
      - 0
    .max_flat_workgroup_size: 192
    .name:           _ZN7rocprim17ROCPRIM_400000_NS6detail17trampoline_kernelINS0_14default_configENS1_25partition_config_selectorILNS1_17partition_subalgoE3ExNS0_10empty_typeEbEEZZNS1_14partition_implILS5_3ELb0ES3_jN6thrust23THRUST_200600_302600_NS6detail15normal_iteratorINSA_7pointerIxNSA_11hip_rocprim3tagENSA_11use_defaultESG_EEEEPS6_SJ_NS0_5tupleIJPxSJ_EEENSK_IJSJ_SJ_EEES6_PlJ7is_evenIxEEEE10hipError_tPvRmT3_T4_T5_T6_T7_T9_mT8_P12ihipStream_tbDpT10_ENKUlT_T0_E_clISt17integral_constantIbLb1EES1A_EEDaS15_S16_EUlS15_E_NS1_11comp_targetILNS1_3genE0ELNS1_11target_archE4294967295ELNS1_3gpuE0ELNS1_3repE0EEENS1_30default_config_static_selectorELNS0_4arch9wavefront6targetE1EEEvT1_
    .private_segment_fixed_size: 0
    .sgpr_count:     6
    .sgpr_spill_count: 0
    .symbol:         _ZN7rocprim17ROCPRIM_400000_NS6detail17trampoline_kernelINS0_14default_configENS1_25partition_config_selectorILNS1_17partition_subalgoE3ExNS0_10empty_typeEbEEZZNS1_14partition_implILS5_3ELb0ES3_jN6thrust23THRUST_200600_302600_NS6detail15normal_iteratorINSA_7pointerIxNSA_11hip_rocprim3tagENSA_11use_defaultESG_EEEEPS6_SJ_NS0_5tupleIJPxSJ_EEENSK_IJSJ_SJ_EEES6_PlJ7is_evenIxEEEE10hipError_tPvRmT3_T4_T5_T6_T7_T9_mT8_P12ihipStream_tbDpT10_ENKUlT_T0_E_clISt17integral_constantIbLb1EES1A_EEDaS15_S16_EUlS15_E_NS1_11comp_targetILNS1_3genE0ELNS1_11target_archE4294967295ELNS1_3gpuE0ELNS1_3repE0EEENS1_30default_config_static_selectorELNS0_4arch9wavefront6targetE1EEEvT1_.kd
    .uniform_work_group_size: 1
    .uses_dynamic_stack: false
    .vgpr_count:     0
    .vgpr_spill_count: 0
    .wavefront_size: 64
  - .agpr_count:     0
    .args:
      - .offset:         0
        .size:           136
        .value_kind:     by_value
    .group_segment_fixed_size: 28680
    .kernarg_segment_align: 8
    .kernarg_segment_size: 136
    .language:       OpenCL C
    .language_version:
      - 2
      - 0
    .max_flat_workgroup_size: 512
    .name:           _ZN7rocprim17ROCPRIM_400000_NS6detail17trampoline_kernelINS0_14default_configENS1_25partition_config_selectorILNS1_17partition_subalgoE3ExNS0_10empty_typeEbEEZZNS1_14partition_implILS5_3ELb0ES3_jN6thrust23THRUST_200600_302600_NS6detail15normal_iteratorINSA_7pointerIxNSA_11hip_rocprim3tagENSA_11use_defaultESG_EEEEPS6_SJ_NS0_5tupleIJPxSJ_EEENSK_IJSJ_SJ_EEES6_PlJ7is_evenIxEEEE10hipError_tPvRmT3_T4_T5_T6_T7_T9_mT8_P12ihipStream_tbDpT10_ENKUlT_T0_E_clISt17integral_constantIbLb1EES1A_EEDaS15_S16_EUlS15_E_NS1_11comp_targetILNS1_3genE5ELNS1_11target_archE942ELNS1_3gpuE9ELNS1_3repE0EEENS1_30default_config_static_selectorELNS0_4arch9wavefront6targetE1EEEvT1_
    .private_segment_fixed_size: 0
    .sgpr_count:     50
    .sgpr_spill_count: 0
    .symbol:         _ZN7rocprim17ROCPRIM_400000_NS6detail17trampoline_kernelINS0_14default_configENS1_25partition_config_selectorILNS1_17partition_subalgoE3ExNS0_10empty_typeEbEEZZNS1_14partition_implILS5_3ELb0ES3_jN6thrust23THRUST_200600_302600_NS6detail15normal_iteratorINSA_7pointerIxNSA_11hip_rocprim3tagENSA_11use_defaultESG_EEEEPS6_SJ_NS0_5tupleIJPxSJ_EEENSK_IJSJ_SJ_EEES6_PlJ7is_evenIxEEEE10hipError_tPvRmT3_T4_T5_T6_T7_T9_mT8_P12ihipStream_tbDpT10_ENKUlT_T0_E_clISt17integral_constantIbLb1EES1A_EEDaS15_S16_EUlS15_E_NS1_11comp_targetILNS1_3genE5ELNS1_11target_archE942ELNS1_3gpuE9ELNS1_3repE0EEENS1_30default_config_static_selectorELNS0_4arch9wavefront6targetE1EEEvT1_.kd
    .uniform_work_group_size: 1
    .uses_dynamic_stack: false
    .vgpr_count:     61
    .vgpr_spill_count: 0
    .wavefront_size: 64
  - .agpr_count:     0
    .args:
      - .offset:         0
        .size:           136
        .value_kind:     by_value
    .group_segment_fixed_size: 0
    .kernarg_segment_align: 8
    .kernarg_segment_size: 136
    .language:       OpenCL C
    .language_version:
      - 2
      - 0
    .max_flat_workgroup_size: 192
    .name:           _ZN7rocprim17ROCPRIM_400000_NS6detail17trampoline_kernelINS0_14default_configENS1_25partition_config_selectorILNS1_17partition_subalgoE3ExNS0_10empty_typeEbEEZZNS1_14partition_implILS5_3ELb0ES3_jN6thrust23THRUST_200600_302600_NS6detail15normal_iteratorINSA_7pointerIxNSA_11hip_rocprim3tagENSA_11use_defaultESG_EEEEPS6_SJ_NS0_5tupleIJPxSJ_EEENSK_IJSJ_SJ_EEES6_PlJ7is_evenIxEEEE10hipError_tPvRmT3_T4_T5_T6_T7_T9_mT8_P12ihipStream_tbDpT10_ENKUlT_T0_E_clISt17integral_constantIbLb1EES1A_EEDaS15_S16_EUlS15_E_NS1_11comp_targetILNS1_3genE4ELNS1_11target_archE910ELNS1_3gpuE8ELNS1_3repE0EEENS1_30default_config_static_selectorELNS0_4arch9wavefront6targetE1EEEvT1_
    .private_segment_fixed_size: 0
    .sgpr_count:     6
    .sgpr_spill_count: 0
    .symbol:         _ZN7rocprim17ROCPRIM_400000_NS6detail17trampoline_kernelINS0_14default_configENS1_25partition_config_selectorILNS1_17partition_subalgoE3ExNS0_10empty_typeEbEEZZNS1_14partition_implILS5_3ELb0ES3_jN6thrust23THRUST_200600_302600_NS6detail15normal_iteratorINSA_7pointerIxNSA_11hip_rocprim3tagENSA_11use_defaultESG_EEEEPS6_SJ_NS0_5tupleIJPxSJ_EEENSK_IJSJ_SJ_EEES6_PlJ7is_evenIxEEEE10hipError_tPvRmT3_T4_T5_T6_T7_T9_mT8_P12ihipStream_tbDpT10_ENKUlT_T0_E_clISt17integral_constantIbLb1EES1A_EEDaS15_S16_EUlS15_E_NS1_11comp_targetILNS1_3genE4ELNS1_11target_archE910ELNS1_3gpuE8ELNS1_3repE0EEENS1_30default_config_static_selectorELNS0_4arch9wavefront6targetE1EEEvT1_.kd
    .uniform_work_group_size: 1
    .uses_dynamic_stack: false
    .vgpr_count:     0
    .vgpr_spill_count: 0
    .wavefront_size: 64
  - .agpr_count:     0
    .args:
      - .offset:         0
        .size:           136
        .value_kind:     by_value
    .group_segment_fixed_size: 0
    .kernarg_segment_align: 8
    .kernarg_segment_size: 136
    .language:       OpenCL C
    .language_version:
      - 2
      - 0
    .max_flat_workgroup_size: 192
    .name:           _ZN7rocprim17ROCPRIM_400000_NS6detail17trampoline_kernelINS0_14default_configENS1_25partition_config_selectorILNS1_17partition_subalgoE3ExNS0_10empty_typeEbEEZZNS1_14partition_implILS5_3ELb0ES3_jN6thrust23THRUST_200600_302600_NS6detail15normal_iteratorINSA_7pointerIxNSA_11hip_rocprim3tagENSA_11use_defaultESG_EEEEPS6_SJ_NS0_5tupleIJPxSJ_EEENSK_IJSJ_SJ_EEES6_PlJ7is_evenIxEEEE10hipError_tPvRmT3_T4_T5_T6_T7_T9_mT8_P12ihipStream_tbDpT10_ENKUlT_T0_E_clISt17integral_constantIbLb1EES1A_EEDaS15_S16_EUlS15_E_NS1_11comp_targetILNS1_3genE3ELNS1_11target_archE908ELNS1_3gpuE7ELNS1_3repE0EEENS1_30default_config_static_selectorELNS0_4arch9wavefront6targetE1EEEvT1_
    .private_segment_fixed_size: 0
    .sgpr_count:     6
    .sgpr_spill_count: 0
    .symbol:         _ZN7rocprim17ROCPRIM_400000_NS6detail17trampoline_kernelINS0_14default_configENS1_25partition_config_selectorILNS1_17partition_subalgoE3ExNS0_10empty_typeEbEEZZNS1_14partition_implILS5_3ELb0ES3_jN6thrust23THRUST_200600_302600_NS6detail15normal_iteratorINSA_7pointerIxNSA_11hip_rocprim3tagENSA_11use_defaultESG_EEEEPS6_SJ_NS0_5tupleIJPxSJ_EEENSK_IJSJ_SJ_EEES6_PlJ7is_evenIxEEEE10hipError_tPvRmT3_T4_T5_T6_T7_T9_mT8_P12ihipStream_tbDpT10_ENKUlT_T0_E_clISt17integral_constantIbLb1EES1A_EEDaS15_S16_EUlS15_E_NS1_11comp_targetILNS1_3genE3ELNS1_11target_archE908ELNS1_3gpuE7ELNS1_3repE0EEENS1_30default_config_static_selectorELNS0_4arch9wavefront6targetE1EEEvT1_.kd
    .uniform_work_group_size: 1
    .uses_dynamic_stack: false
    .vgpr_count:     0
    .vgpr_spill_count: 0
    .wavefront_size: 64
  - .agpr_count:     0
    .args:
      - .offset:         0
        .size:           136
        .value_kind:     by_value
    .group_segment_fixed_size: 0
    .kernarg_segment_align: 8
    .kernarg_segment_size: 136
    .language:       OpenCL C
    .language_version:
      - 2
      - 0
    .max_flat_workgroup_size: 256
    .name:           _ZN7rocprim17ROCPRIM_400000_NS6detail17trampoline_kernelINS0_14default_configENS1_25partition_config_selectorILNS1_17partition_subalgoE3ExNS0_10empty_typeEbEEZZNS1_14partition_implILS5_3ELb0ES3_jN6thrust23THRUST_200600_302600_NS6detail15normal_iteratorINSA_7pointerIxNSA_11hip_rocprim3tagENSA_11use_defaultESG_EEEEPS6_SJ_NS0_5tupleIJPxSJ_EEENSK_IJSJ_SJ_EEES6_PlJ7is_evenIxEEEE10hipError_tPvRmT3_T4_T5_T6_T7_T9_mT8_P12ihipStream_tbDpT10_ENKUlT_T0_E_clISt17integral_constantIbLb1EES1A_EEDaS15_S16_EUlS15_E_NS1_11comp_targetILNS1_3genE2ELNS1_11target_archE906ELNS1_3gpuE6ELNS1_3repE0EEENS1_30default_config_static_selectorELNS0_4arch9wavefront6targetE1EEEvT1_
    .private_segment_fixed_size: 0
    .sgpr_count:     6
    .sgpr_spill_count: 0
    .symbol:         _ZN7rocprim17ROCPRIM_400000_NS6detail17trampoline_kernelINS0_14default_configENS1_25partition_config_selectorILNS1_17partition_subalgoE3ExNS0_10empty_typeEbEEZZNS1_14partition_implILS5_3ELb0ES3_jN6thrust23THRUST_200600_302600_NS6detail15normal_iteratorINSA_7pointerIxNSA_11hip_rocprim3tagENSA_11use_defaultESG_EEEEPS6_SJ_NS0_5tupleIJPxSJ_EEENSK_IJSJ_SJ_EEES6_PlJ7is_evenIxEEEE10hipError_tPvRmT3_T4_T5_T6_T7_T9_mT8_P12ihipStream_tbDpT10_ENKUlT_T0_E_clISt17integral_constantIbLb1EES1A_EEDaS15_S16_EUlS15_E_NS1_11comp_targetILNS1_3genE2ELNS1_11target_archE906ELNS1_3gpuE6ELNS1_3repE0EEENS1_30default_config_static_selectorELNS0_4arch9wavefront6targetE1EEEvT1_.kd
    .uniform_work_group_size: 1
    .uses_dynamic_stack: false
    .vgpr_count:     0
    .vgpr_spill_count: 0
    .wavefront_size: 64
  - .agpr_count:     0
    .args:
      - .offset:         0
        .size:           136
        .value_kind:     by_value
    .group_segment_fixed_size: 0
    .kernarg_segment_align: 8
    .kernarg_segment_size: 136
    .language:       OpenCL C
    .language_version:
      - 2
      - 0
    .max_flat_workgroup_size: 512
    .name:           _ZN7rocprim17ROCPRIM_400000_NS6detail17trampoline_kernelINS0_14default_configENS1_25partition_config_selectorILNS1_17partition_subalgoE3ExNS0_10empty_typeEbEEZZNS1_14partition_implILS5_3ELb0ES3_jN6thrust23THRUST_200600_302600_NS6detail15normal_iteratorINSA_7pointerIxNSA_11hip_rocprim3tagENSA_11use_defaultESG_EEEEPS6_SJ_NS0_5tupleIJPxSJ_EEENSK_IJSJ_SJ_EEES6_PlJ7is_evenIxEEEE10hipError_tPvRmT3_T4_T5_T6_T7_T9_mT8_P12ihipStream_tbDpT10_ENKUlT_T0_E_clISt17integral_constantIbLb1EES1A_EEDaS15_S16_EUlS15_E_NS1_11comp_targetILNS1_3genE10ELNS1_11target_archE1200ELNS1_3gpuE4ELNS1_3repE0EEENS1_30default_config_static_selectorELNS0_4arch9wavefront6targetE1EEEvT1_
    .private_segment_fixed_size: 0
    .sgpr_count:     6
    .sgpr_spill_count: 0
    .symbol:         _ZN7rocprim17ROCPRIM_400000_NS6detail17trampoline_kernelINS0_14default_configENS1_25partition_config_selectorILNS1_17partition_subalgoE3ExNS0_10empty_typeEbEEZZNS1_14partition_implILS5_3ELb0ES3_jN6thrust23THRUST_200600_302600_NS6detail15normal_iteratorINSA_7pointerIxNSA_11hip_rocprim3tagENSA_11use_defaultESG_EEEEPS6_SJ_NS0_5tupleIJPxSJ_EEENSK_IJSJ_SJ_EEES6_PlJ7is_evenIxEEEE10hipError_tPvRmT3_T4_T5_T6_T7_T9_mT8_P12ihipStream_tbDpT10_ENKUlT_T0_E_clISt17integral_constantIbLb1EES1A_EEDaS15_S16_EUlS15_E_NS1_11comp_targetILNS1_3genE10ELNS1_11target_archE1200ELNS1_3gpuE4ELNS1_3repE0EEENS1_30default_config_static_selectorELNS0_4arch9wavefront6targetE1EEEvT1_.kd
    .uniform_work_group_size: 1
    .uses_dynamic_stack: false
    .vgpr_count:     0
    .vgpr_spill_count: 0
    .wavefront_size: 64
  - .agpr_count:     0
    .args:
      - .offset:         0
        .size:           136
        .value_kind:     by_value
    .group_segment_fixed_size: 0
    .kernarg_segment_align: 8
    .kernarg_segment_size: 136
    .language:       OpenCL C
    .language_version:
      - 2
      - 0
    .max_flat_workgroup_size: 512
    .name:           _ZN7rocprim17ROCPRIM_400000_NS6detail17trampoline_kernelINS0_14default_configENS1_25partition_config_selectorILNS1_17partition_subalgoE3ExNS0_10empty_typeEbEEZZNS1_14partition_implILS5_3ELb0ES3_jN6thrust23THRUST_200600_302600_NS6detail15normal_iteratorINSA_7pointerIxNSA_11hip_rocprim3tagENSA_11use_defaultESG_EEEEPS6_SJ_NS0_5tupleIJPxSJ_EEENSK_IJSJ_SJ_EEES6_PlJ7is_evenIxEEEE10hipError_tPvRmT3_T4_T5_T6_T7_T9_mT8_P12ihipStream_tbDpT10_ENKUlT_T0_E_clISt17integral_constantIbLb1EES1A_EEDaS15_S16_EUlS15_E_NS1_11comp_targetILNS1_3genE9ELNS1_11target_archE1100ELNS1_3gpuE3ELNS1_3repE0EEENS1_30default_config_static_selectorELNS0_4arch9wavefront6targetE1EEEvT1_
    .private_segment_fixed_size: 0
    .sgpr_count:     6
    .sgpr_spill_count: 0
    .symbol:         _ZN7rocprim17ROCPRIM_400000_NS6detail17trampoline_kernelINS0_14default_configENS1_25partition_config_selectorILNS1_17partition_subalgoE3ExNS0_10empty_typeEbEEZZNS1_14partition_implILS5_3ELb0ES3_jN6thrust23THRUST_200600_302600_NS6detail15normal_iteratorINSA_7pointerIxNSA_11hip_rocprim3tagENSA_11use_defaultESG_EEEEPS6_SJ_NS0_5tupleIJPxSJ_EEENSK_IJSJ_SJ_EEES6_PlJ7is_evenIxEEEE10hipError_tPvRmT3_T4_T5_T6_T7_T9_mT8_P12ihipStream_tbDpT10_ENKUlT_T0_E_clISt17integral_constantIbLb1EES1A_EEDaS15_S16_EUlS15_E_NS1_11comp_targetILNS1_3genE9ELNS1_11target_archE1100ELNS1_3gpuE3ELNS1_3repE0EEENS1_30default_config_static_selectorELNS0_4arch9wavefront6targetE1EEEvT1_.kd
    .uniform_work_group_size: 1
    .uses_dynamic_stack: false
    .vgpr_count:     0
    .vgpr_spill_count: 0
    .wavefront_size: 64
  - .agpr_count:     0
    .args:
      - .offset:         0
        .size:           136
        .value_kind:     by_value
    .group_segment_fixed_size: 0
    .kernarg_segment_align: 8
    .kernarg_segment_size: 136
    .language:       OpenCL C
    .language_version:
      - 2
      - 0
    .max_flat_workgroup_size: 512
    .name:           _ZN7rocprim17ROCPRIM_400000_NS6detail17trampoline_kernelINS0_14default_configENS1_25partition_config_selectorILNS1_17partition_subalgoE3ExNS0_10empty_typeEbEEZZNS1_14partition_implILS5_3ELb0ES3_jN6thrust23THRUST_200600_302600_NS6detail15normal_iteratorINSA_7pointerIxNSA_11hip_rocprim3tagENSA_11use_defaultESG_EEEEPS6_SJ_NS0_5tupleIJPxSJ_EEENSK_IJSJ_SJ_EEES6_PlJ7is_evenIxEEEE10hipError_tPvRmT3_T4_T5_T6_T7_T9_mT8_P12ihipStream_tbDpT10_ENKUlT_T0_E_clISt17integral_constantIbLb1EES1A_EEDaS15_S16_EUlS15_E_NS1_11comp_targetILNS1_3genE8ELNS1_11target_archE1030ELNS1_3gpuE2ELNS1_3repE0EEENS1_30default_config_static_selectorELNS0_4arch9wavefront6targetE1EEEvT1_
    .private_segment_fixed_size: 0
    .sgpr_count:     6
    .sgpr_spill_count: 0
    .symbol:         _ZN7rocprim17ROCPRIM_400000_NS6detail17trampoline_kernelINS0_14default_configENS1_25partition_config_selectorILNS1_17partition_subalgoE3ExNS0_10empty_typeEbEEZZNS1_14partition_implILS5_3ELb0ES3_jN6thrust23THRUST_200600_302600_NS6detail15normal_iteratorINSA_7pointerIxNSA_11hip_rocprim3tagENSA_11use_defaultESG_EEEEPS6_SJ_NS0_5tupleIJPxSJ_EEENSK_IJSJ_SJ_EEES6_PlJ7is_evenIxEEEE10hipError_tPvRmT3_T4_T5_T6_T7_T9_mT8_P12ihipStream_tbDpT10_ENKUlT_T0_E_clISt17integral_constantIbLb1EES1A_EEDaS15_S16_EUlS15_E_NS1_11comp_targetILNS1_3genE8ELNS1_11target_archE1030ELNS1_3gpuE2ELNS1_3repE0EEENS1_30default_config_static_selectorELNS0_4arch9wavefront6targetE1EEEvT1_.kd
    .uniform_work_group_size: 1
    .uses_dynamic_stack: false
    .vgpr_count:     0
    .vgpr_spill_count: 0
    .wavefront_size: 64
  - .agpr_count:     0
    .args:
      - .address_space:  global
        .offset:         0
        .size:           8
        .value_kind:     global_buffer
      - .offset:         8
        .size:           4
        .value_kind:     by_value
      - .offset:         12
        .size:           1
        .value_kind:     by_value
      - .offset:         16
        .size:           4
        .value_kind:     by_value
      - .address_space:  global
        .offset:         24
        .size:           8
        .value_kind:     global_buffer
      - .offset:         32
        .size:           4
        .value_kind:     hidden_block_count_x
      - .offset:         36
        .size:           4
        .value_kind:     hidden_block_count_y
      - .offset:         40
        .size:           4
        .value_kind:     hidden_block_count_z
      - .offset:         44
        .size:           2
        .value_kind:     hidden_group_size_x
      - .offset:         46
        .size:           2
        .value_kind:     hidden_group_size_y
      - .offset:         48
        .size:           2
        .value_kind:     hidden_group_size_z
      - .offset:         50
        .size:           2
        .value_kind:     hidden_remainder_x
      - .offset:         52
        .size:           2
        .value_kind:     hidden_remainder_y
      - .offset:         54
        .size:           2
        .value_kind:     hidden_remainder_z
      - .offset:         72
        .size:           8
        .value_kind:     hidden_global_offset_x
      - .offset:         80
        .size:           8
        .value_kind:     hidden_global_offset_y
      - .offset:         88
        .size:           8
        .value_kind:     hidden_global_offset_z
      - .offset:         96
        .size:           2
        .value_kind:     hidden_grid_dims
    .group_segment_fixed_size: 0
    .kernarg_segment_align: 8
    .kernarg_segment_size: 288
    .language:       OpenCL C
    .language_version:
      - 2
      - 0
    .max_flat_workgroup_size: 256
    .name:           _ZN7rocprim17ROCPRIM_400000_NS6detail31init_lookback_scan_state_kernelINS1_19lookback_scan_stateIjLb1ELb1EEENS1_16block_id_wrapperIjLb0EEEEEvT_jT0_jPNS7_10value_typeE
    .private_segment_fixed_size: 0
    .sgpr_count:     18
    .sgpr_spill_count: 0
    .symbol:         _ZN7rocprim17ROCPRIM_400000_NS6detail31init_lookback_scan_state_kernelINS1_19lookback_scan_stateIjLb1ELb1EEENS1_16block_id_wrapperIjLb0EEEEEvT_jT0_jPNS7_10value_typeE.kd
    .uniform_work_group_size: 1
    .uses_dynamic_stack: false
    .vgpr_count:     6
    .vgpr_spill_count: 0
    .wavefront_size: 64
  - .agpr_count:     0
    .args:
      - .offset:         0
        .size:           120
        .value_kind:     by_value
    .group_segment_fixed_size: 0
    .kernarg_segment_align: 8
    .kernarg_segment_size: 120
    .language:       OpenCL C
    .language_version:
      - 2
      - 0
    .max_flat_workgroup_size: 192
    .name:           _ZN7rocprim17ROCPRIM_400000_NS6detail17trampoline_kernelINS0_14default_configENS1_25partition_config_selectorILNS1_17partition_subalgoE3ExNS0_10empty_typeEbEEZZNS1_14partition_implILS5_3ELb0ES3_jN6thrust23THRUST_200600_302600_NS6detail15normal_iteratorINSA_7pointerIxNSA_11hip_rocprim3tagENSA_11use_defaultESG_EEEEPS6_SJ_NS0_5tupleIJPxSJ_EEENSK_IJSJ_SJ_EEES6_PlJ7is_evenIxEEEE10hipError_tPvRmT3_T4_T5_T6_T7_T9_mT8_P12ihipStream_tbDpT10_ENKUlT_T0_E_clISt17integral_constantIbLb1EES19_IbLb0EEEEDaS15_S16_EUlS15_E_NS1_11comp_targetILNS1_3genE0ELNS1_11target_archE4294967295ELNS1_3gpuE0ELNS1_3repE0EEENS1_30default_config_static_selectorELNS0_4arch9wavefront6targetE1EEEvT1_
    .private_segment_fixed_size: 0
    .sgpr_count:     6
    .sgpr_spill_count: 0
    .symbol:         _ZN7rocprim17ROCPRIM_400000_NS6detail17trampoline_kernelINS0_14default_configENS1_25partition_config_selectorILNS1_17partition_subalgoE3ExNS0_10empty_typeEbEEZZNS1_14partition_implILS5_3ELb0ES3_jN6thrust23THRUST_200600_302600_NS6detail15normal_iteratorINSA_7pointerIxNSA_11hip_rocprim3tagENSA_11use_defaultESG_EEEEPS6_SJ_NS0_5tupleIJPxSJ_EEENSK_IJSJ_SJ_EEES6_PlJ7is_evenIxEEEE10hipError_tPvRmT3_T4_T5_T6_T7_T9_mT8_P12ihipStream_tbDpT10_ENKUlT_T0_E_clISt17integral_constantIbLb1EES19_IbLb0EEEEDaS15_S16_EUlS15_E_NS1_11comp_targetILNS1_3genE0ELNS1_11target_archE4294967295ELNS1_3gpuE0ELNS1_3repE0EEENS1_30default_config_static_selectorELNS0_4arch9wavefront6targetE1EEEvT1_.kd
    .uniform_work_group_size: 1
    .uses_dynamic_stack: false
    .vgpr_count:     0
    .vgpr_spill_count: 0
    .wavefront_size: 64
  - .agpr_count:     0
    .args:
      - .offset:         0
        .size:           120
        .value_kind:     by_value
    .group_segment_fixed_size: 28680
    .kernarg_segment_align: 8
    .kernarg_segment_size: 120
    .language:       OpenCL C
    .language_version:
      - 2
      - 0
    .max_flat_workgroup_size: 512
    .name:           _ZN7rocprim17ROCPRIM_400000_NS6detail17trampoline_kernelINS0_14default_configENS1_25partition_config_selectorILNS1_17partition_subalgoE3ExNS0_10empty_typeEbEEZZNS1_14partition_implILS5_3ELb0ES3_jN6thrust23THRUST_200600_302600_NS6detail15normal_iteratorINSA_7pointerIxNSA_11hip_rocprim3tagENSA_11use_defaultESG_EEEEPS6_SJ_NS0_5tupleIJPxSJ_EEENSK_IJSJ_SJ_EEES6_PlJ7is_evenIxEEEE10hipError_tPvRmT3_T4_T5_T6_T7_T9_mT8_P12ihipStream_tbDpT10_ENKUlT_T0_E_clISt17integral_constantIbLb1EES19_IbLb0EEEEDaS15_S16_EUlS15_E_NS1_11comp_targetILNS1_3genE5ELNS1_11target_archE942ELNS1_3gpuE9ELNS1_3repE0EEENS1_30default_config_static_selectorELNS0_4arch9wavefront6targetE1EEEvT1_
    .private_segment_fixed_size: 0
    .sgpr_count:     52
    .sgpr_spill_count: 0
    .symbol:         _ZN7rocprim17ROCPRIM_400000_NS6detail17trampoline_kernelINS0_14default_configENS1_25partition_config_selectorILNS1_17partition_subalgoE3ExNS0_10empty_typeEbEEZZNS1_14partition_implILS5_3ELb0ES3_jN6thrust23THRUST_200600_302600_NS6detail15normal_iteratorINSA_7pointerIxNSA_11hip_rocprim3tagENSA_11use_defaultESG_EEEEPS6_SJ_NS0_5tupleIJPxSJ_EEENSK_IJSJ_SJ_EEES6_PlJ7is_evenIxEEEE10hipError_tPvRmT3_T4_T5_T6_T7_T9_mT8_P12ihipStream_tbDpT10_ENKUlT_T0_E_clISt17integral_constantIbLb1EES19_IbLb0EEEEDaS15_S16_EUlS15_E_NS1_11comp_targetILNS1_3genE5ELNS1_11target_archE942ELNS1_3gpuE9ELNS1_3repE0EEENS1_30default_config_static_selectorELNS0_4arch9wavefront6targetE1EEEvT1_.kd
    .uniform_work_group_size: 1
    .uses_dynamic_stack: false
    .vgpr_count:     57
    .vgpr_spill_count: 0
    .wavefront_size: 64
  - .agpr_count:     0
    .args:
      - .offset:         0
        .size:           120
        .value_kind:     by_value
    .group_segment_fixed_size: 0
    .kernarg_segment_align: 8
    .kernarg_segment_size: 120
    .language:       OpenCL C
    .language_version:
      - 2
      - 0
    .max_flat_workgroup_size: 192
    .name:           _ZN7rocprim17ROCPRIM_400000_NS6detail17trampoline_kernelINS0_14default_configENS1_25partition_config_selectorILNS1_17partition_subalgoE3ExNS0_10empty_typeEbEEZZNS1_14partition_implILS5_3ELb0ES3_jN6thrust23THRUST_200600_302600_NS6detail15normal_iteratorINSA_7pointerIxNSA_11hip_rocprim3tagENSA_11use_defaultESG_EEEEPS6_SJ_NS0_5tupleIJPxSJ_EEENSK_IJSJ_SJ_EEES6_PlJ7is_evenIxEEEE10hipError_tPvRmT3_T4_T5_T6_T7_T9_mT8_P12ihipStream_tbDpT10_ENKUlT_T0_E_clISt17integral_constantIbLb1EES19_IbLb0EEEEDaS15_S16_EUlS15_E_NS1_11comp_targetILNS1_3genE4ELNS1_11target_archE910ELNS1_3gpuE8ELNS1_3repE0EEENS1_30default_config_static_selectorELNS0_4arch9wavefront6targetE1EEEvT1_
    .private_segment_fixed_size: 0
    .sgpr_count:     6
    .sgpr_spill_count: 0
    .symbol:         _ZN7rocprim17ROCPRIM_400000_NS6detail17trampoline_kernelINS0_14default_configENS1_25partition_config_selectorILNS1_17partition_subalgoE3ExNS0_10empty_typeEbEEZZNS1_14partition_implILS5_3ELb0ES3_jN6thrust23THRUST_200600_302600_NS6detail15normal_iteratorINSA_7pointerIxNSA_11hip_rocprim3tagENSA_11use_defaultESG_EEEEPS6_SJ_NS0_5tupleIJPxSJ_EEENSK_IJSJ_SJ_EEES6_PlJ7is_evenIxEEEE10hipError_tPvRmT3_T4_T5_T6_T7_T9_mT8_P12ihipStream_tbDpT10_ENKUlT_T0_E_clISt17integral_constantIbLb1EES19_IbLb0EEEEDaS15_S16_EUlS15_E_NS1_11comp_targetILNS1_3genE4ELNS1_11target_archE910ELNS1_3gpuE8ELNS1_3repE0EEENS1_30default_config_static_selectorELNS0_4arch9wavefront6targetE1EEEvT1_.kd
    .uniform_work_group_size: 1
    .uses_dynamic_stack: false
    .vgpr_count:     0
    .vgpr_spill_count: 0
    .wavefront_size: 64
  - .agpr_count:     0
    .args:
      - .offset:         0
        .size:           120
        .value_kind:     by_value
    .group_segment_fixed_size: 0
    .kernarg_segment_align: 8
    .kernarg_segment_size: 120
    .language:       OpenCL C
    .language_version:
      - 2
      - 0
    .max_flat_workgroup_size: 192
    .name:           _ZN7rocprim17ROCPRIM_400000_NS6detail17trampoline_kernelINS0_14default_configENS1_25partition_config_selectorILNS1_17partition_subalgoE3ExNS0_10empty_typeEbEEZZNS1_14partition_implILS5_3ELb0ES3_jN6thrust23THRUST_200600_302600_NS6detail15normal_iteratorINSA_7pointerIxNSA_11hip_rocprim3tagENSA_11use_defaultESG_EEEEPS6_SJ_NS0_5tupleIJPxSJ_EEENSK_IJSJ_SJ_EEES6_PlJ7is_evenIxEEEE10hipError_tPvRmT3_T4_T5_T6_T7_T9_mT8_P12ihipStream_tbDpT10_ENKUlT_T0_E_clISt17integral_constantIbLb1EES19_IbLb0EEEEDaS15_S16_EUlS15_E_NS1_11comp_targetILNS1_3genE3ELNS1_11target_archE908ELNS1_3gpuE7ELNS1_3repE0EEENS1_30default_config_static_selectorELNS0_4arch9wavefront6targetE1EEEvT1_
    .private_segment_fixed_size: 0
    .sgpr_count:     6
    .sgpr_spill_count: 0
    .symbol:         _ZN7rocprim17ROCPRIM_400000_NS6detail17trampoline_kernelINS0_14default_configENS1_25partition_config_selectorILNS1_17partition_subalgoE3ExNS0_10empty_typeEbEEZZNS1_14partition_implILS5_3ELb0ES3_jN6thrust23THRUST_200600_302600_NS6detail15normal_iteratorINSA_7pointerIxNSA_11hip_rocprim3tagENSA_11use_defaultESG_EEEEPS6_SJ_NS0_5tupleIJPxSJ_EEENSK_IJSJ_SJ_EEES6_PlJ7is_evenIxEEEE10hipError_tPvRmT3_T4_T5_T6_T7_T9_mT8_P12ihipStream_tbDpT10_ENKUlT_T0_E_clISt17integral_constantIbLb1EES19_IbLb0EEEEDaS15_S16_EUlS15_E_NS1_11comp_targetILNS1_3genE3ELNS1_11target_archE908ELNS1_3gpuE7ELNS1_3repE0EEENS1_30default_config_static_selectorELNS0_4arch9wavefront6targetE1EEEvT1_.kd
    .uniform_work_group_size: 1
    .uses_dynamic_stack: false
    .vgpr_count:     0
    .vgpr_spill_count: 0
    .wavefront_size: 64
  - .agpr_count:     0
    .args:
      - .offset:         0
        .size:           120
        .value_kind:     by_value
    .group_segment_fixed_size: 0
    .kernarg_segment_align: 8
    .kernarg_segment_size: 120
    .language:       OpenCL C
    .language_version:
      - 2
      - 0
    .max_flat_workgroup_size: 256
    .name:           _ZN7rocprim17ROCPRIM_400000_NS6detail17trampoline_kernelINS0_14default_configENS1_25partition_config_selectorILNS1_17partition_subalgoE3ExNS0_10empty_typeEbEEZZNS1_14partition_implILS5_3ELb0ES3_jN6thrust23THRUST_200600_302600_NS6detail15normal_iteratorINSA_7pointerIxNSA_11hip_rocprim3tagENSA_11use_defaultESG_EEEEPS6_SJ_NS0_5tupleIJPxSJ_EEENSK_IJSJ_SJ_EEES6_PlJ7is_evenIxEEEE10hipError_tPvRmT3_T4_T5_T6_T7_T9_mT8_P12ihipStream_tbDpT10_ENKUlT_T0_E_clISt17integral_constantIbLb1EES19_IbLb0EEEEDaS15_S16_EUlS15_E_NS1_11comp_targetILNS1_3genE2ELNS1_11target_archE906ELNS1_3gpuE6ELNS1_3repE0EEENS1_30default_config_static_selectorELNS0_4arch9wavefront6targetE1EEEvT1_
    .private_segment_fixed_size: 0
    .sgpr_count:     6
    .sgpr_spill_count: 0
    .symbol:         _ZN7rocprim17ROCPRIM_400000_NS6detail17trampoline_kernelINS0_14default_configENS1_25partition_config_selectorILNS1_17partition_subalgoE3ExNS0_10empty_typeEbEEZZNS1_14partition_implILS5_3ELb0ES3_jN6thrust23THRUST_200600_302600_NS6detail15normal_iteratorINSA_7pointerIxNSA_11hip_rocprim3tagENSA_11use_defaultESG_EEEEPS6_SJ_NS0_5tupleIJPxSJ_EEENSK_IJSJ_SJ_EEES6_PlJ7is_evenIxEEEE10hipError_tPvRmT3_T4_T5_T6_T7_T9_mT8_P12ihipStream_tbDpT10_ENKUlT_T0_E_clISt17integral_constantIbLb1EES19_IbLb0EEEEDaS15_S16_EUlS15_E_NS1_11comp_targetILNS1_3genE2ELNS1_11target_archE906ELNS1_3gpuE6ELNS1_3repE0EEENS1_30default_config_static_selectorELNS0_4arch9wavefront6targetE1EEEvT1_.kd
    .uniform_work_group_size: 1
    .uses_dynamic_stack: false
    .vgpr_count:     0
    .vgpr_spill_count: 0
    .wavefront_size: 64
  - .agpr_count:     0
    .args:
      - .offset:         0
        .size:           120
        .value_kind:     by_value
    .group_segment_fixed_size: 0
    .kernarg_segment_align: 8
    .kernarg_segment_size: 120
    .language:       OpenCL C
    .language_version:
      - 2
      - 0
    .max_flat_workgroup_size: 512
    .name:           _ZN7rocprim17ROCPRIM_400000_NS6detail17trampoline_kernelINS0_14default_configENS1_25partition_config_selectorILNS1_17partition_subalgoE3ExNS0_10empty_typeEbEEZZNS1_14partition_implILS5_3ELb0ES3_jN6thrust23THRUST_200600_302600_NS6detail15normal_iteratorINSA_7pointerIxNSA_11hip_rocprim3tagENSA_11use_defaultESG_EEEEPS6_SJ_NS0_5tupleIJPxSJ_EEENSK_IJSJ_SJ_EEES6_PlJ7is_evenIxEEEE10hipError_tPvRmT3_T4_T5_T6_T7_T9_mT8_P12ihipStream_tbDpT10_ENKUlT_T0_E_clISt17integral_constantIbLb1EES19_IbLb0EEEEDaS15_S16_EUlS15_E_NS1_11comp_targetILNS1_3genE10ELNS1_11target_archE1200ELNS1_3gpuE4ELNS1_3repE0EEENS1_30default_config_static_selectorELNS0_4arch9wavefront6targetE1EEEvT1_
    .private_segment_fixed_size: 0
    .sgpr_count:     6
    .sgpr_spill_count: 0
    .symbol:         _ZN7rocprim17ROCPRIM_400000_NS6detail17trampoline_kernelINS0_14default_configENS1_25partition_config_selectorILNS1_17partition_subalgoE3ExNS0_10empty_typeEbEEZZNS1_14partition_implILS5_3ELb0ES3_jN6thrust23THRUST_200600_302600_NS6detail15normal_iteratorINSA_7pointerIxNSA_11hip_rocprim3tagENSA_11use_defaultESG_EEEEPS6_SJ_NS0_5tupleIJPxSJ_EEENSK_IJSJ_SJ_EEES6_PlJ7is_evenIxEEEE10hipError_tPvRmT3_T4_T5_T6_T7_T9_mT8_P12ihipStream_tbDpT10_ENKUlT_T0_E_clISt17integral_constantIbLb1EES19_IbLb0EEEEDaS15_S16_EUlS15_E_NS1_11comp_targetILNS1_3genE10ELNS1_11target_archE1200ELNS1_3gpuE4ELNS1_3repE0EEENS1_30default_config_static_selectorELNS0_4arch9wavefront6targetE1EEEvT1_.kd
    .uniform_work_group_size: 1
    .uses_dynamic_stack: false
    .vgpr_count:     0
    .vgpr_spill_count: 0
    .wavefront_size: 64
  - .agpr_count:     0
    .args:
      - .offset:         0
        .size:           120
        .value_kind:     by_value
    .group_segment_fixed_size: 0
    .kernarg_segment_align: 8
    .kernarg_segment_size: 120
    .language:       OpenCL C
    .language_version:
      - 2
      - 0
    .max_flat_workgroup_size: 512
    .name:           _ZN7rocprim17ROCPRIM_400000_NS6detail17trampoline_kernelINS0_14default_configENS1_25partition_config_selectorILNS1_17partition_subalgoE3ExNS0_10empty_typeEbEEZZNS1_14partition_implILS5_3ELb0ES3_jN6thrust23THRUST_200600_302600_NS6detail15normal_iteratorINSA_7pointerIxNSA_11hip_rocprim3tagENSA_11use_defaultESG_EEEEPS6_SJ_NS0_5tupleIJPxSJ_EEENSK_IJSJ_SJ_EEES6_PlJ7is_evenIxEEEE10hipError_tPvRmT3_T4_T5_T6_T7_T9_mT8_P12ihipStream_tbDpT10_ENKUlT_T0_E_clISt17integral_constantIbLb1EES19_IbLb0EEEEDaS15_S16_EUlS15_E_NS1_11comp_targetILNS1_3genE9ELNS1_11target_archE1100ELNS1_3gpuE3ELNS1_3repE0EEENS1_30default_config_static_selectorELNS0_4arch9wavefront6targetE1EEEvT1_
    .private_segment_fixed_size: 0
    .sgpr_count:     6
    .sgpr_spill_count: 0
    .symbol:         _ZN7rocprim17ROCPRIM_400000_NS6detail17trampoline_kernelINS0_14default_configENS1_25partition_config_selectorILNS1_17partition_subalgoE3ExNS0_10empty_typeEbEEZZNS1_14partition_implILS5_3ELb0ES3_jN6thrust23THRUST_200600_302600_NS6detail15normal_iteratorINSA_7pointerIxNSA_11hip_rocprim3tagENSA_11use_defaultESG_EEEEPS6_SJ_NS0_5tupleIJPxSJ_EEENSK_IJSJ_SJ_EEES6_PlJ7is_evenIxEEEE10hipError_tPvRmT3_T4_T5_T6_T7_T9_mT8_P12ihipStream_tbDpT10_ENKUlT_T0_E_clISt17integral_constantIbLb1EES19_IbLb0EEEEDaS15_S16_EUlS15_E_NS1_11comp_targetILNS1_3genE9ELNS1_11target_archE1100ELNS1_3gpuE3ELNS1_3repE0EEENS1_30default_config_static_selectorELNS0_4arch9wavefront6targetE1EEEvT1_.kd
    .uniform_work_group_size: 1
    .uses_dynamic_stack: false
    .vgpr_count:     0
    .vgpr_spill_count: 0
    .wavefront_size: 64
  - .agpr_count:     0
    .args:
      - .offset:         0
        .size:           120
        .value_kind:     by_value
    .group_segment_fixed_size: 0
    .kernarg_segment_align: 8
    .kernarg_segment_size: 120
    .language:       OpenCL C
    .language_version:
      - 2
      - 0
    .max_flat_workgroup_size: 512
    .name:           _ZN7rocprim17ROCPRIM_400000_NS6detail17trampoline_kernelINS0_14default_configENS1_25partition_config_selectorILNS1_17partition_subalgoE3ExNS0_10empty_typeEbEEZZNS1_14partition_implILS5_3ELb0ES3_jN6thrust23THRUST_200600_302600_NS6detail15normal_iteratorINSA_7pointerIxNSA_11hip_rocprim3tagENSA_11use_defaultESG_EEEEPS6_SJ_NS0_5tupleIJPxSJ_EEENSK_IJSJ_SJ_EEES6_PlJ7is_evenIxEEEE10hipError_tPvRmT3_T4_T5_T6_T7_T9_mT8_P12ihipStream_tbDpT10_ENKUlT_T0_E_clISt17integral_constantIbLb1EES19_IbLb0EEEEDaS15_S16_EUlS15_E_NS1_11comp_targetILNS1_3genE8ELNS1_11target_archE1030ELNS1_3gpuE2ELNS1_3repE0EEENS1_30default_config_static_selectorELNS0_4arch9wavefront6targetE1EEEvT1_
    .private_segment_fixed_size: 0
    .sgpr_count:     6
    .sgpr_spill_count: 0
    .symbol:         _ZN7rocprim17ROCPRIM_400000_NS6detail17trampoline_kernelINS0_14default_configENS1_25partition_config_selectorILNS1_17partition_subalgoE3ExNS0_10empty_typeEbEEZZNS1_14partition_implILS5_3ELb0ES3_jN6thrust23THRUST_200600_302600_NS6detail15normal_iteratorINSA_7pointerIxNSA_11hip_rocprim3tagENSA_11use_defaultESG_EEEEPS6_SJ_NS0_5tupleIJPxSJ_EEENSK_IJSJ_SJ_EEES6_PlJ7is_evenIxEEEE10hipError_tPvRmT3_T4_T5_T6_T7_T9_mT8_P12ihipStream_tbDpT10_ENKUlT_T0_E_clISt17integral_constantIbLb1EES19_IbLb0EEEEDaS15_S16_EUlS15_E_NS1_11comp_targetILNS1_3genE8ELNS1_11target_archE1030ELNS1_3gpuE2ELNS1_3repE0EEENS1_30default_config_static_selectorELNS0_4arch9wavefront6targetE1EEEvT1_.kd
    .uniform_work_group_size: 1
    .uses_dynamic_stack: false
    .vgpr_count:     0
    .vgpr_spill_count: 0
    .wavefront_size: 64
  - .agpr_count:     0
    .args:
      - .address_space:  global
        .offset:         0
        .size:           8
        .value_kind:     global_buffer
      - .offset:         8
        .size:           4
        .value_kind:     by_value
      - .address_space:  global
        .offset:         16
        .size:           8
        .value_kind:     global_buffer
      - .offset:         24
        .size:           4
        .value_kind:     by_value
      - .address_space:  global
        .offset:         32
        .size:           8
        .value_kind:     global_buffer
      - .offset:         40
        .size:           4
        .value_kind:     hidden_block_count_x
      - .offset:         44
        .size:           4
        .value_kind:     hidden_block_count_y
      - .offset:         48
        .size:           4
        .value_kind:     hidden_block_count_z
      - .offset:         52
        .size:           2
        .value_kind:     hidden_group_size_x
      - .offset:         54
        .size:           2
        .value_kind:     hidden_group_size_y
      - .offset:         56
        .size:           2
        .value_kind:     hidden_group_size_z
      - .offset:         58
        .size:           2
        .value_kind:     hidden_remainder_x
      - .offset:         60
        .size:           2
        .value_kind:     hidden_remainder_y
      - .offset:         62
        .size:           2
        .value_kind:     hidden_remainder_z
      - .offset:         80
        .size:           8
        .value_kind:     hidden_global_offset_x
      - .offset:         88
        .size:           8
        .value_kind:     hidden_global_offset_y
      - .offset:         96
        .size:           8
        .value_kind:     hidden_global_offset_z
      - .offset:         104
        .size:           2
        .value_kind:     hidden_grid_dims
    .group_segment_fixed_size: 0
    .kernarg_segment_align: 8
    .kernarg_segment_size: 296
    .language:       OpenCL C
    .language_version:
      - 2
      - 0
    .max_flat_workgroup_size: 256
    .name:           _ZN7rocprim17ROCPRIM_400000_NS6detail31init_lookback_scan_state_kernelINS1_19lookback_scan_stateIjLb0ELb1EEENS1_16block_id_wrapperIjLb1EEEEEvT_jT0_jPNS7_10value_typeE
    .private_segment_fixed_size: 0
    .sgpr_count:     17
    .sgpr_spill_count: 0
    .symbol:         _ZN7rocprim17ROCPRIM_400000_NS6detail31init_lookback_scan_state_kernelINS1_19lookback_scan_stateIjLb0ELb1EEENS1_16block_id_wrapperIjLb1EEEEEvT_jT0_jPNS7_10value_typeE.kd
    .uniform_work_group_size: 1
    .uses_dynamic_stack: false
    .vgpr_count:     6
    .vgpr_spill_count: 0
    .wavefront_size: 64
  - .agpr_count:     0
    .args:
      - .offset:         0
        .size:           136
        .value_kind:     by_value
    .group_segment_fixed_size: 0
    .kernarg_segment_align: 8
    .kernarg_segment_size: 136
    .language:       OpenCL C
    .language_version:
      - 2
      - 0
    .max_flat_workgroup_size: 192
    .name:           _ZN7rocprim17ROCPRIM_400000_NS6detail17trampoline_kernelINS0_14default_configENS1_25partition_config_selectorILNS1_17partition_subalgoE3ExNS0_10empty_typeEbEEZZNS1_14partition_implILS5_3ELb0ES3_jN6thrust23THRUST_200600_302600_NS6detail15normal_iteratorINSA_7pointerIxNSA_11hip_rocprim3tagENSA_11use_defaultESG_EEEEPS6_SJ_NS0_5tupleIJPxSJ_EEENSK_IJSJ_SJ_EEES6_PlJ7is_evenIxEEEE10hipError_tPvRmT3_T4_T5_T6_T7_T9_mT8_P12ihipStream_tbDpT10_ENKUlT_T0_E_clISt17integral_constantIbLb0EES19_IbLb1EEEEDaS15_S16_EUlS15_E_NS1_11comp_targetILNS1_3genE0ELNS1_11target_archE4294967295ELNS1_3gpuE0ELNS1_3repE0EEENS1_30default_config_static_selectorELNS0_4arch9wavefront6targetE1EEEvT1_
    .private_segment_fixed_size: 0
    .sgpr_count:     6
    .sgpr_spill_count: 0
    .symbol:         _ZN7rocprim17ROCPRIM_400000_NS6detail17trampoline_kernelINS0_14default_configENS1_25partition_config_selectorILNS1_17partition_subalgoE3ExNS0_10empty_typeEbEEZZNS1_14partition_implILS5_3ELb0ES3_jN6thrust23THRUST_200600_302600_NS6detail15normal_iteratorINSA_7pointerIxNSA_11hip_rocprim3tagENSA_11use_defaultESG_EEEEPS6_SJ_NS0_5tupleIJPxSJ_EEENSK_IJSJ_SJ_EEES6_PlJ7is_evenIxEEEE10hipError_tPvRmT3_T4_T5_T6_T7_T9_mT8_P12ihipStream_tbDpT10_ENKUlT_T0_E_clISt17integral_constantIbLb0EES19_IbLb1EEEEDaS15_S16_EUlS15_E_NS1_11comp_targetILNS1_3genE0ELNS1_11target_archE4294967295ELNS1_3gpuE0ELNS1_3repE0EEENS1_30default_config_static_selectorELNS0_4arch9wavefront6targetE1EEEvT1_.kd
    .uniform_work_group_size: 1
    .uses_dynamic_stack: false
    .vgpr_count:     0
    .vgpr_spill_count: 0
    .wavefront_size: 64
  - .agpr_count:     0
    .args:
      - .offset:         0
        .size:           136
        .value_kind:     by_value
    .group_segment_fixed_size: 28680
    .kernarg_segment_align: 8
    .kernarg_segment_size: 136
    .language:       OpenCL C
    .language_version:
      - 2
      - 0
    .max_flat_workgroup_size: 512
    .name:           _ZN7rocprim17ROCPRIM_400000_NS6detail17trampoline_kernelINS0_14default_configENS1_25partition_config_selectorILNS1_17partition_subalgoE3ExNS0_10empty_typeEbEEZZNS1_14partition_implILS5_3ELb0ES3_jN6thrust23THRUST_200600_302600_NS6detail15normal_iteratorINSA_7pointerIxNSA_11hip_rocprim3tagENSA_11use_defaultESG_EEEEPS6_SJ_NS0_5tupleIJPxSJ_EEENSK_IJSJ_SJ_EEES6_PlJ7is_evenIxEEEE10hipError_tPvRmT3_T4_T5_T6_T7_T9_mT8_P12ihipStream_tbDpT10_ENKUlT_T0_E_clISt17integral_constantIbLb0EES19_IbLb1EEEEDaS15_S16_EUlS15_E_NS1_11comp_targetILNS1_3genE5ELNS1_11target_archE942ELNS1_3gpuE9ELNS1_3repE0EEENS1_30default_config_static_selectorELNS0_4arch9wavefront6targetE1EEEvT1_
    .private_segment_fixed_size: 0
    .sgpr_count:     50
    .sgpr_spill_count: 0
    .symbol:         _ZN7rocprim17ROCPRIM_400000_NS6detail17trampoline_kernelINS0_14default_configENS1_25partition_config_selectorILNS1_17partition_subalgoE3ExNS0_10empty_typeEbEEZZNS1_14partition_implILS5_3ELb0ES3_jN6thrust23THRUST_200600_302600_NS6detail15normal_iteratorINSA_7pointerIxNSA_11hip_rocprim3tagENSA_11use_defaultESG_EEEEPS6_SJ_NS0_5tupleIJPxSJ_EEENSK_IJSJ_SJ_EEES6_PlJ7is_evenIxEEEE10hipError_tPvRmT3_T4_T5_T6_T7_T9_mT8_P12ihipStream_tbDpT10_ENKUlT_T0_E_clISt17integral_constantIbLb0EES19_IbLb1EEEEDaS15_S16_EUlS15_E_NS1_11comp_targetILNS1_3genE5ELNS1_11target_archE942ELNS1_3gpuE9ELNS1_3repE0EEENS1_30default_config_static_selectorELNS0_4arch9wavefront6targetE1EEEvT1_.kd
    .uniform_work_group_size: 1
    .uses_dynamic_stack: false
    .vgpr_count:     61
    .vgpr_spill_count: 0
    .wavefront_size: 64
  - .agpr_count:     0
    .args:
      - .offset:         0
        .size:           136
        .value_kind:     by_value
    .group_segment_fixed_size: 0
    .kernarg_segment_align: 8
    .kernarg_segment_size: 136
    .language:       OpenCL C
    .language_version:
      - 2
      - 0
    .max_flat_workgroup_size: 192
    .name:           _ZN7rocprim17ROCPRIM_400000_NS6detail17trampoline_kernelINS0_14default_configENS1_25partition_config_selectorILNS1_17partition_subalgoE3ExNS0_10empty_typeEbEEZZNS1_14partition_implILS5_3ELb0ES3_jN6thrust23THRUST_200600_302600_NS6detail15normal_iteratorINSA_7pointerIxNSA_11hip_rocprim3tagENSA_11use_defaultESG_EEEEPS6_SJ_NS0_5tupleIJPxSJ_EEENSK_IJSJ_SJ_EEES6_PlJ7is_evenIxEEEE10hipError_tPvRmT3_T4_T5_T6_T7_T9_mT8_P12ihipStream_tbDpT10_ENKUlT_T0_E_clISt17integral_constantIbLb0EES19_IbLb1EEEEDaS15_S16_EUlS15_E_NS1_11comp_targetILNS1_3genE4ELNS1_11target_archE910ELNS1_3gpuE8ELNS1_3repE0EEENS1_30default_config_static_selectorELNS0_4arch9wavefront6targetE1EEEvT1_
    .private_segment_fixed_size: 0
    .sgpr_count:     6
    .sgpr_spill_count: 0
    .symbol:         _ZN7rocprim17ROCPRIM_400000_NS6detail17trampoline_kernelINS0_14default_configENS1_25partition_config_selectorILNS1_17partition_subalgoE3ExNS0_10empty_typeEbEEZZNS1_14partition_implILS5_3ELb0ES3_jN6thrust23THRUST_200600_302600_NS6detail15normal_iteratorINSA_7pointerIxNSA_11hip_rocprim3tagENSA_11use_defaultESG_EEEEPS6_SJ_NS0_5tupleIJPxSJ_EEENSK_IJSJ_SJ_EEES6_PlJ7is_evenIxEEEE10hipError_tPvRmT3_T4_T5_T6_T7_T9_mT8_P12ihipStream_tbDpT10_ENKUlT_T0_E_clISt17integral_constantIbLb0EES19_IbLb1EEEEDaS15_S16_EUlS15_E_NS1_11comp_targetILNS1_3genE4ELNS1_11target_archE910ELNS1_3gpuE8ELNS1_3repE0EEENS1_30default_config_static_selectorELNS0_4arch9wavefront6targetE1EEEvT1_.kd
    .uniform_work_group_size: 1
    .uses_dynamic_stack: false
    .vgpr_count:     0
    .vgpr_spill_count: 0
    .wavefront_size: 64
  - .agpr_count:     0
    .args:
      - .offset:         0
        .size:           136
        .value_kind:     by_value
    .group_segment_fixed_size: 0
    .kernarg_segment_align: 8
    .kernarg_segment_size: 136
    .language:       OpenCL C
    .language_version:
      - 2
      - 0
    .max_flat_workgroup_size: 192
    .name:           _ZN7rocprim17ROCPRIM_400000_NS6detail17trampoline_kernelINS0_14default_configENS1_25partition_config_selectorILNS1_17partition_subalgoE3ExNS0_10empty_typeEbEEZZNS1_14partition_implILS5_3ELb0ES3_jN6thrust23THRUST_200600_302600_NS6detail15normal_iteratorINSA_7pointerIxNSA_11hip_rocprim3tagENSA_11use_defaultESG_EEEEPS6_SJ_NS0_5tupleIJPxSJ_EEENSK_IJSJ_SJ_EEES6_PlJ7is_evenIxEEEE10hipError_tPvRmT3_T4_T5_T6_T7_T9_mT8_P12ihipStream_tbDpT10_ENKUlT_T0_E_clISt17integral_constantIbLb0EES19_IbLb1EEEEDaS15_S16_EUlS15_E_NS1_11comp_targetILNS1_3genE3ELNS1_11target_archE908ELNS1_3gpuE7ELNS1_3repE0EEENS1_30default_config_static_selectorELNS0_4arch9wavefront6targetE1EEEvT1_
    .private_segment_fixed_size: 0
    .sgpr_count:     6
    .sgpr_spill_count: 0
    .symbol:         _ZN7rocprim17ROCPRIM_400000_NS6detail17trampoline_kernelINS0_14default_configENS1_25partition_config_selectorILNS1_17partition_subalgoE3ExNS0_10empty_typeEbEEZZNS1_14partition_implILS5_3ELb0ES3_jN6thrust23THRUST_200600_302600_NS6detail15normal_iteratorINSA_7pointerIxNSA_11hip_rocprim3tagENSA_11use_defaultESG_EEEEPS6_SJ_NS0_5tupleIJPxSJ_EEENSK_IJSJ_SJ_EEES6_PlJ7is_evenIxEEEE10hipError_tPvRmT3_T4_T5_T6_T7_T9_mT8_P12ihipStream_tbDpT10_ENKUlT_T0_E_clISt17integral_constantIbLb0EES19_IbLb1EEEEDaS15_S16_EUlS15_E_NS1_11comp_targetILNS1_3genE3ELNS1_11target_archE908ELNS1_3gpuE7ELNS1_3repE0EEENS1_30default_config_static_selectorELNS0_4arch9wavefront6targetE1EEEvT1_.kd
    .uniform_work_group_size: 1
    .uses_dynamic_stack: false
    .vgpr_count:     0
    .vgpr_spill_count: 0
    .wavefront_size: 64
  - .agpr_count:     0
    .args:
      - .offset:         0
        .size:           136
        .value_kind:     by_value
    .group_segment_fixed_size: 0
    .kernarg_segment_align: 8
    .kernarg_segment_size: 136
    .language:       OpenCL C
    .language_version:
      - 2
      - 0
    .max_flat_workgroup_size: 256
    .name:           _ZN7rocprim17ROCPRIM_400000_NS6detail17trampoline_kernelINS0_14default_configENS1_25partition_config_selectorILNS1_17partition_subalgoE3ExNS0_10empty_typeEbEEZZNS1_14partition_implILS5_3ELb0ES3_jN6thrust23THRUST_200600_302600_NS6detail15normal_iteratorINSA_7pointerIxNSA_11hip_rocprim3tagENSA_11use_defaultESG_EEEEPS6_SJ_NS0_5tupleIJPxSJ_EEENSK_IJSJ_SJ_EEES6_PlJ7is_evenIxEEEE10hipError_tPvRmT3_T4_T5_T6_T7_T9_mT8_P12ihipStream_tbDpT10_ENKUlT_T0_E_clISt17integral_constantIbLb0EES19_IbLb1EEEEDaS15_S16_EUlS15_E_NS1_11comp_targetILNS1_3genE2ELNS1_11target_archE906ELNS1_3gpuE6ELNS1_3repE0EEENS1_30default_config_static_selectorELNS0_4arch9wavefront6targetE1EEEvT1_
    .private_segment_fixed_size: 0
    .sgpr_count:     6
    .sgpr_spill_count: 0
    .symbol:         _ZN7rocprim17ROCPRIM_400000_NS6detail17trampoline_kernelINS0_14default_configENS1_25partition_config_selectorILNS1_17partition_subalgoE3ExNS0_10empty_typeEbEEZZNS1_14partition_implILS5_3ELb0ES3_jN6thrust23THRUST_200600_302600_NS6detail15normal_iteratorINSA_7pointerIxNSA_11hip_rocprim3tagENSA_11use_defaultESG_EEEEPS6_SJ_NS0_5tupleIJPxSJ_EEENSK_IJSJ_SJ_EEES6_PlJ7is_evenIxEEEE10hipError_tPvRmT3_T4_T5_T6_T7_T9_mT8_P12ihipStream_tbDpT10_ENKUlT_T0_E_clISt17integral_constantIbLb0EES19_IbLb1EEEEDaS15_S16_EUlS15_E_NS1_11comp_targetILNS1_3genE2ELNS1_11target_archE906ELNS1_3gpuE6ELNS1_3repE0EEENS1_30default_config_static_selectorELNS0_4arch9wavefront6targetE1EEEvT1_.kd
    .uniform_work_group_size: 1
    .uses_dynamic_stack: false
    .vgpr_count:     0
    .vgpr_spill_count: 0
    .wavefront_size: 64
  - .agpr_count:     0
    .args:
      - .offset:         0
        .size:           136
        .value_kind:     by_value
    .group_segment_fixed_size: 0
    .kernarg_segment_align: 8
    .kernarg_segment_size: 136
    .language:       OpenCL C
    .language_version:
      - 2
      - 0
    .max_flat_workgroup_size: 512
    .name:           _ZN7rocprim17ROCPRIM_400000_NS6detail17trampoline_kernelINS0_14default_configENS1_25partition_config_selectorILNS1_17partition_subalgoE3ExNS0_10empty_typeEbEEZZNS1_14partition_implILS5_3ELb0ES3_jN6thrust23THRUST_200600_302600_NS6detail15normal_iteratorINSA_7pointerIxNSA_11hip_rocprim3tagENSA_11use_defaultESG_EEEEPS6_SJ_NS0_5tupleIJPxSJ_EEENSK_IJSJ_SJ_EEES6_PlJ7is_evenIxEEEE10hipError_tPvRmT3_T4_T5_T6_T7_T9_mT8_P12ihipStream_tbDpT10_ENKUlT_T0_E_clISt17integral_constantIbLb0EES19_IbLb1EEEEDaS15_S16_EUlS15_E_NS1_11comp_targetILNS1_3genE10ELNS1_11target_archE1200ELNS1_3gpuE4ELNS1_3repE0EEENS1_30default_config_static_selectorELNS0_4arch9wavefront6targetE1EEEvT1_
    .private_segment_fixed_size: 0
    .sgpr_count:     6
    .sgpr_spill_count: 0
    .symbol:         _ZN7rocprim17ROCPRIM_400000_NS6detail17trampoline_kernelINS0_14default_configENS1_25partition_config_selectorILNS1_17partition_subalgoE3ExNS0_10empty_typeEbEEZZNS1_14partition_implILS5_3ELb0ES3_jN6thrust23THRUST_200600_302600_NS6detail15normal_iteratorINSA_7pointerIxNSA_11hip_rocprim3tagENSA_11use_defaultESG_EEEEPS6_SJ_NS0_5tupleIJPxSJ_EEENSK_IJSJ_SJ_EEES6_PlJ7is_evenIxEEEE10hipError_tPvRmT3_T4_T5_T6_T7_T9_mT8_P12ihipStream_tbDpT10_ENKUlT_T0_E_clISt17integral_constantIbLb0EES19_IbLb1EEEEDaS15_S16_EUlS15_E_NS1_11comp_targetILNS1_3genE10ELNS1_11target_archE1200ELNS1_3gpuE4ELNS1_3repE0EEENS1_30default_config_static_selectorELNS0_4arch9wavefront6targetE1EEEvT1_.kd
    .uniform_work_group_size: 1
    .uses_dynamic_stack: false
    .vgpr_count:     0
    .vgpr_spill_count: 0
    .wavefront_size: 64
  - .agpr_count:     0
    .args:
      - .offset:         0
        .size:           136
        .value_kind:     by_value
    .group_segment_fixed_size: 0
    .kernarg_segment_align: 8
    .kernarg_segment_size: 136
    .language:       OpenCL C
    .language_version:
      - 2
      - 0
    .max_flat_workgroup_size: 512
    .name:           _ZN7rocprim17ROCPRIM_400000_NS6detail17trampoline_kernelINS0_14default_configENS1_25partition_config_selectorILNS1_17partition_subalgoE3ExNS0_10empty_typeEbEEZZNS1_14partition_implILS5_3ELb0ES3_jN6thrust23THRUST_200600_302600_NS6detail15normal_iteratorINSA_7pointerIxNSA_11hip_rocprim3tagENSA_11use_defaultESG_EEEEPS6_SJ_NS0_5tupleIJPxSJ_EEENSK_IJSJ_SJ_EEES6_PlJ7is_evenIxEEEE10hipError_tPvRmT3_T4_T5_T6_T7_T9_mT8_P12ihipStream_tbDpT10_ENKUlT_T0_E_clISt17integral_constantIbLb0EES19_IbLb1EEEEDaS15_S16_EUlS15_E_NS1_11comp_targetILNS1_3genE9ELNS1_11target_archE1100ELNS1_3gpuE3ELNS1_3repE0EEENS1_30default_config_static_selectorELNS0_4arch9wavefront6targetE1EEEvT1_
    .private_segment_fixed_size: 0
    .sgpr_count:     6
    .sgpr_spill_count: 0
    .symbol:         _ZN7rocprim17ROCPRIM_400000_NS6detail17trampoline_kernelINS0_14default_configENS1_25partition_config_selectorILNS1_17partition_subalgoE3ExNS0_10empty_typeEbEEZZNS1_14partition_implILS5_3ELb0ES3_jN6thrust23THRUST_200600_302600_NS6detail15normal_iteratorINSA_7pointerIxNSA_11hip_rocprim3tagENSA_11use_defaultESG_EEEEPS6_SJ_NS0_5tupleIJPxSJ_EEENSK_IJSJ_SJ_EEES6_PlJ7is_evenIxEEEE10hipError_tPvRmT3_T4_T5_T6_T7_T9_mT8_P12ihipStream_tbDpT10_ENKUlT_T0_E_clISt17integral_constantIbLb0EES19_IbLb1EEEEDaS15_S16_EUlS15_E_NS1_11comp_targetILNS1_3genE9ELNS1_11target_archE1100ELNS1_3gpuE3ELNS1_3repE0EEENS1_30default_config_static_selectorELNS0_4arch9wavefront6targetE1EEEvT1_.kd
    .uniform_work_group_size: 1
    .uses_dynamic_stack: false
    .vgpr_count:     0
    .vgpr_spill_count: 0
    .wavefront_size: 64
  - .agpr_count:     0
    .args:
      - .offset:         0
        .size:           136
        .value_kind:     by_value
    .group_segment_fixed_size: 0
    .kernarg_segment_align: 8
    .kernarg_segment_size: 136
    .language:       OpenCL C
    .language_version:
      - 2
      - 0
    .max_flat_workgroup_size: 512
    .name:           _ZN7rocprim17ROCPRIM_400000_NS6detail17trampoline_kernelINS0_14default_configENS1_25partition_config_selectorILNS1_17partition_subalgoE3ExNS0_10empty_typeEbEEZZNS1_14partition_implILS5_3ELb0ES3_jN6thrust23THRUST_200600_302600_NS6detail15normal_iteratorINSA_7pointerIxNSA_11hip_rocprim3tagENSA_11use_defaultESG_EEEEPS6_SJ_NS0_5tupleIJPxSJ_EEENSK_IJSJ_SJ_EEES6_PlJ7is_evenIxEEEE10hipError_tPvRmT3_T4_T5_T6_T7_T9_mT8_P12ihipStream_tbDpT10_ENKUlT_T0_E_clISt17integral_constantIbLb0EES19_IbLb1EEEEDaS15_S16_EUlS15_E_NS1_11comp_targetILNS1_3genE8ELNS1_11target_archE1030ELNS1_3gpuE2ELNS1_3repE0EEENS1_30default_config_static_selectorELNS0_4arch9wavefront6targetE1EEEvT1_
    .private_segment_fixed_size: 0
    .sgpr_count:     6
    .sgpr_spill_count: 0
    .symbol:         _ZN7rocprim17ROCPRIM_400000_NS6detail17trampoline_kernelINS0_14default_configENS1_25partition_config_selectorILNS1_17partition_subalgoE3ExNS0_10empty_typeEbEEZZNS1_14partition_implILS5_3ELb0ES3_jN6thrust23THRUST_200600_302600_NS6detail15normal_iteratorINSA_7pointerIxNSA_11hip_rocprim3tagENSA_11use_defaultESG_EEEEPS6_SJ_NS0_5tupleIJPxSJ_EEENSK_IJSJ_SJ_EEES6_PlJ7is_evenIxEEEE10hipError_tPvRmT3_T4_T5_T6_T7_T9_mT8_P12ihipStream_tbDpT10_ENKUlT_T0_E_clISt17integral_constantIbLb0EES19_IbLb1EEEEDaS15_S16_EUlS15_E_NS1_11comp_targetILNS1_3genE8ELNS1_11target_archE1030ELNS1_3gpuE2ELNS1_3repE0EEENS1_30default_config_static_selectorELNS0_4arch9wavefront6targetE1EEEvT1_.kd
    .uniform_work_group_size: 1
    .uses_dynamic_stack: false
    .vgpr_count:     0
    .vgpr_spill_count: 0
    .wavefront_size: 64
  - .agpr_count:     0
    .args:
      - .offset:         0
        .size:           72
        .value_kind:     by_value
    .group_segment_fixed_size: 0
    .kernarg_segment_align: 8
    .kernarg_segment_size: 72
    .language:       OpenCL C
    .language_version:
      - 2
      - 0
    .max_flat_workgroup_size: 128
    .name:           _ZN7rocprim17ROCPRIM_400000_NS6detail17trampoline_kernelINS0_14default_configENS1_22reduce_config_selectorIN6thrust23THRUST_200600_302600_NS5tupleIblNS6_9null_typeES8_S8_S8_S8_S8_S8_S8_EEEEZNS1_11reduce_implILb1ES3_PS9_SC_S9_NS6_11hip_rocprim9__find_if7functorIS9_EEEE10hipError_tPvRmT1_T2_T3_mT4_P12ihipStream_tbEUlT_E0_NS1_11comp_targetILNS1_3genE0ELNS1_11target_archE4294967295ELNS1_3gpuE0ELNS1_3repE0EEENS1_30default_config_static_selectorELNS0_4arch9wavefront6targetE1EEEvSK_
    .private_segment_fixed_size: 0
    .sgpr_count:     6
    .sgpr_spill_count: 0
    .symbol:         _ZN7rocprim17ROCPRIM_400000_NS6detail17trampoline_kernelINS0_14default_configENS1_22reduce_config_selectorIN6thrust23THRUST_200600_302600_NS5tupleIblNS6_9null_typeES8_S8_S8_S8_S8_S8_S8_EEEEZNS1_11reduce_implILb1ES3_PS9_SC_S9_NS6_11hip_rocprim9__find_if7functorIS9_EEEE10hipError_tPvRmT1_T2_T3_mT4_P12ihipStream_tbEUlT_E0_NS1_11comp_targetILNS1_3genE0ELNS1_11target_archE4294967295ELNS1_3gpuE0ELNS1_3repE0EEENS1_30default_config_static_selectorELNS0_4arch9wavefront6targetE1EEEvSK_.kd
    .uniform_work_group_size: 1
    .uses_dynamic_stack: false
    .vgpr_count:     0
    .vgpr_spill_count: 0
    .wavefront_size: 64
  - .agpr_count:     0
    .args:
      - .offset:         0
        .size:           72
        .value_kind:     by_value
    .group_segment_fixed_size: 128
    .kernarg_segment_align: 8
    .kernarg_segment_size: 72
    .language:       OpenCL C
    .language_version:
      - 2
      - 0
    .max_flat_workgroup_size: 256
    .name:           _ZN7rocprim17ROCPRIM_400000_NS6detail17trampoline_kernelINS0_14default_configENS1_22reduce_config_selectorIN6thrust23THRUST_200600_302600_NS5tupleIblNS6_9null_typeES8_S8_S8_S8_S8_S8_S8_EEEEZNS1_11reduce_implILb1ES3_PS9_SC_S9_NS6_11hip_rocprim9__find_if7functorIS9_EEEE10hipError_tPvRmT1_T2_T3_mT4_P12ihipStream_tbEUlT_E0_NS1_11comp_targetILNS1_3genE5ELNS1_11target_archE942ELNS1_3gpuE9ELNS1_3repE0EEENS1_30default_config_static_selectorELNS0_4arch9wavefront6targetE1EEEvSK_
    .private_segment_fixed_size: 0
    .sgpr_count:     54
    .sgpr_spill_count: 0
    .symbol:         _ZN7rocprim17ROCPRIM_400000_NS6detail17trampoline_kernelINS0_14default_configENS1_22reduce_config_selectorIN6thrust23THRUST_200600_302600_NS5tupleIblNS6_9null_typeES8_S8_S8_S8_S8_S8_S8_EEEEZNS1_11reduce_implILb1ES3_PS9_SC_S9_NS6_11hip_rocprim9__find_if7functorIS9_EEEE10hipError_tPvRmT1_T2_T3_mT4_P12ihipStream_tbEUlT_E0_NS1_11comp_targetILNS1_3genE5ELNS1_11target_archE942ELNS1_3gpuE9ELNS1_3repE0EEENS1_30default_config_static_selectorELNS0_4arch9wavefront6targetE1EEEvSK_.kd
    .uniform_work_group_size: 1
    .uses_dynamic_stack: false
    .vgpr_count:     54
    .vgpr_spill_count: 0
    .wavefront_size: 64
  - .agpr_count:     0
    .args:
      - .offset:         0
        .size:           72
        .value_kind:     by_value
    .group_segment_fixed_size: 0
    .kernarg_segment_align: 8
    .kernarg_segment_size: 72
    .language:       OpenCL C
    .language_version:
      - 2
      - 0
    .max_flat_workgroup_size: 256
    .name:           _ZN7rocprim17ROCPRIM_400000_NS6detail17trampoline_kernelINS0_14default_configENS1_22reduce_config_selectorIN6thrust23THRUST_200600_302600_NS5tupleIblNS6_9null_typeES8_S8_S8_S8_S8_S8_S8_EEEEZNS1_11reduce_implILb1ES3_PS9_SC_S9_NS6_11hip_rocprim9__find_if7functorIS9_EEEE10hipError_tPvRmT1_T2_T3_mT4_P12ihipStream_tbEUlT_E0_NS1_11comp_targetILNS1_3genE4ELNS1_11target_archE910ELNS1_3gpuE8ELNS1_3repE0EEENS1_30default_config_static_selectorELNS0_4arch9wavefront6targetE1EEEvSK_
    .private_segment_fixed_size: 0
    .sgpr_count:     6
    .sgpr_spill_count: 0
    .symbol:         _ZN7rocprim17ROCPRIM_400000_NS6detail17trampoline_kernelINS0_14default_configENS1_22reduce_config_selectorIN6thrust23THRUST_200600_302600_NS5tupleIblNS6_9null_typeES8_S8_S8_S8_S8_S8_S8_EEEEZNS1_11reduce_implILb1ES3_PS9_SC_S9_NS6_11hip_rocprim9__find_if7functorIS9_EEEE10hipError_tPvRmT1_T2_T3_mT4_P12ihipStream_tbEUlT_E0_NS1_11comp_targetILNS1_3genE4ELNS1_11target_archE910ELNS1_3gpuE8ELNS1_3repE0EEENS1_30default_config_static_selectorELNS0_4arch9wavefront6targetE1EEEvSK_.kd
    .uniform_work_group_size: 1
    .uses_dynamic_stack: false
    .vgpr_count:     0
    .vgpr_spill_count: 0
    .wavefront_size: 64
  - .agpr_count:     0
    .args:
      - .offset:         0
        .size:           72
        .value_kind:     by_value
    .group_segment_fixed_size: 0
    .kernarg_segment_align: 8
    .kernarg_segment_size: 72
    .language:       OpenCL C
    .language_version:
      - 2
      - 0
    .max_flat_workgroup_size: 128
    .name:           _ZN7rocprim17ROCPRIM_400000_NS6detail17trampoline_kernelINS0_14default_configENS1_22reduce_config_selectorIN6thrust23THRUST_200600_302600_NS5tupleIblNS6_9null_typeES8_S8_S8_S8_S8_S8_S8_EEEEZNS1_11reduce_implILb1ES3_PS9_SC_S9_NS6_11hip_rocprim9__find_if7functorIS9_EEEE10hipError_tPvRmT1_T2_T3_mT4_P12ihipStream_tbEUlT_E0_NS1_11comp_targetILNS1_3genE3ELNS1_11target_archE908ELNS1_3gpuE7ELNS1_3repE0EEENS1_30default_config_static_selectorELNS0_4arch9wavefront6targetE1EEEvSK_
    .private_segment_fixed_size: 0
    .sgpr_count:     6
    .sgpr_spill_count: 0
    .symbol:         _ZN7rocprim17ROCPRIM_400000_NS6detail17trampoline_kernelINS0_14default_configENS1_22reduce_config_selectorIN6thrust23THRUST_200600_302600_NS5tupleIblNS6_9null_typeES8_S8_S8_S8_S8_S8_S8_EEEEZNS1_11reduce_implILb1ES3_PS9_SC_S9_NS6_11hip_rocprim9__find_if7functorIS9_EEEE10hipError_tPvRmT1_T2_T3_mT4_P12ihipStream_tbEUlT_E0_NS1_11comp_targetILNS1_3genE3ELNS1_11target_archE908ELNS1_3gpuE7ELNS1_3repE0EEENS1_30default_config_static_selectorELNS0_4arch9wavefront6targetE1EEEvSK_.kd
    .uniform_work_group_size: 1
    .uses_dynamic_stack: false
    .vgpr_count:     0
    .vgpr_spill_count: 0
    .wavefront_size: 64
  - .agpr_count:     0
    .args:
      - .offset:         0
        .size:           72
        .value_kind:     by_value
    .group_segment_fixed_size: 0
    .kernarg_segment_align: 8
    .kernarg_segment_size: 72
    .language:       OpenCL C
    .language_version:
      - 2
      - 0
    .max_flat_workgroup_size: 128
    .name:           _ZN7rocprim17ROCPRIM_400000_NS6detail17trampoline_kernelINS0_14default_configENS1_22reduce_config_selectorIN6thrust23THRUST_200600_302600_NS5tupleIblNS6_9null_typeES8_S8_S8_S8_S8_S8_S8_EEEEZNS1_11reduce_implILb1ES3_PS9_SC_S9_NS6_11hip_rocprim9__find_if7functorIS9_EEEE10hipError_tPvRmT1_T2_T3_mT4_P12ihipStream_tbEUlT_E0_NS1_11comp_targetILNS1_3genE2ELNS1_11target_archE906ELNS1_3gpuE6ELNS1_3repE0EEENS1_30default_config_static_selectorELNS0_4arch9wavefront6targetE1EEEvSK_
    .private_segment_fixed_size: 0
    .sgpr_count:     6
    .sgpr_spill_count: 0
    .symbol:         _ZN7rocprim17ROCPRIM_400000_NS6detail17trampoline_kernelINS0_14default_configENS1_22reduce_config_selectorIN6thrust23THRUST_200600_302600_NS5tupleIblNS6_9null_typeES8_S8_S8_S8_S8_S8_S8_EEEEZNS1_11reduce_implILb1ES3_PS9_SC_S9_NS6_11hip_rocprim9__find_if7functorIS9_EEEE10hipError_tPvRmT1_T2_T3_mT4_P12ihipStream_tbEUlT_E0_NS1_11comp_targetILNS1_3genE2ELNS1_11target_archE906ELNS1_3gpuE6ELNS1_3repE0EEENS1_30default_config_static_selectorELNS0_4arch9wavefront6targetE1EEEvSK_.kd
    .uniform_work_group_size: 1
    .uses_dynamic_stack: false
    .vgpr_count:     0
    .vgpr_spill_count: 0
    .wavefront_size: 64
  - .agpr_count:     0
    .args:
      - .offset:         0
        .size:           72
        .value_kind:     by_value
    .group_segment_fixed_size: 0
    .kernarg_segment_align: 8
    .kernarg_segment_size: 72
    .language:       OpenCL C
    .language_version:
      - 2
      - 0
    .max_flat_workgroup_size: 256
    .name:           _ZN7rocprim17ROCPRIM_400000_NS6detail17trampoline_kernelINS0_14default_configENS1_22reduce_config_selectorIN6thrust23THRUST_200600_302600_NS5tupleIblNS6_9null_typeES8_S8_S8_S8_S8_S8_S8_EEEEZNS1_11reduce_implILb1ES3_PS9_SC_S9_NS6_11hip_rocprim9__find_if7functorIS9_EEEE10hipError_tPvRmT1_T2_T3_mT4_P12ihipStream_tbEUlT_E0_NS1_11comp_targetILNS1_3genE10ELNS1_11target_archE1201ELNS1_3gpuE5ELNS1_3repE0EEENS1_30default_config_static_selectorELNS0_4arch9wavefront6targetE1EEEvSK_
    .private_segment_fixed_size: 0
    .sgpr_count:     6
    .sgpr_spill_count: 0
    .symbol:         _ZN7rocprim17ROCPRIM_400000_NS6detail17trampoline_kernelINS0_14default_configENS1_22reduce_config_selectorIN6thrust23THRUST_200600_302600_NS5tupleIblNS6_9null_typeES8_S8_S8_S8_S8_S8_S8_EEEEZNS1_11reduce_implILb1ES3_PS9_SC_S9_NS6_11hip_rocprim9__find_if7functorIS9_EEEE10hipError_tPvRmT1_T2_T3_mT4_P12ihipStream_tbEUlT_E0_NS1_11comp_targetILNS1_3genE10ELNS1_11target_archE1201ELNS1_3gpuE5ELNS1_3repE0EEENS1_30default_config_static_selectorELNS0_4arch9wavefront6targetE1EEEvSK_.kd
    .uniform_work_group_size: 1
    .uses_dynamic_stack: false
    .vgpr_count:     0
    .vgpr_spill_count: 0
    .wavefront_size: 64
  - .agpr_count:     0
    .args:
      - .offset:         0
        .size:           72
        .value_kind:     by_value
    .group_segment_fixed_size: 0
    .kernarg_segment_align: 8
    .kernarg_segment_size: 72
    .language:       OpenCL C
    .language_version:
      - 2
      - 0
    .max_flat_workgroup_size: 256
    .name:           _ZN7rocprim17ROCPRIM_400000_NS6detail17trampoline_kernelINS0_14default_configENS1_22reduce_config_selectorIN6thrust23THRUST_200600_302600_NS5tupleIblNS6_9null_typeES8_S8_S8_S8_S8_S8_S8_EEEEZNS1_11reduce_implILb1ES3_PS9_SC_S9_NS6_11hip_rocprim9__find_if7functorIS9_EEEE10hipError_tPvRmT1_T2_T3_mT4_P12ihipStream_tbEUlT_E0_NS1_11comp_targetILNS1_3genE10ELNS1_11target_archE1200ELNS1_3gpuE4ELNS1_3repE0EEENS1_30default_config_static_selectorELNS0_4arch9wavefront6targetE1EEEvSK_
    .private_segment_fixed_size: 0
    .sgpr_count:     6
    .sgpr_spill_count: 0
    .symbol:         _ZN7rocprim17ROCPRIM_400000_NS6detail17trampoline_kernelINS0_14default_configENS1_22reduce_config_selectorIN6thrust23THRUST_200600_302600_NS5tupleIblNS6_9null_typeES8_S8_S8_S8_S8_S8_S8_EEEEZNS1_11reduce_implILb1ES3_PS9_SC_S9_NS6_11hip_rocprim9__find_if7functorIS9_EEEE10hipError_tPvRmT1_T2_T3_mT4_P12ihipStream_tbEUlT_E0_NS1_11comp_targetILNS1_3genE10ELNS1_11target_archE1200ELNS1_3gpuE4ELNS1_3repE0EEENS1_30default_config_static_selectorELNS0_4arch9wavefront6targetE1EEEvSK_.kd
    .uniform_work_group_size: 1
    .uses_dynamic_stack: false
    .vgpr_count:     0
    .vgpr_spill_count: 0
    .wavefront_size: 64
  - .agpr_count:     0
    .args:
      - .offset:         0
        .size:           72
        .value_kind:     by_value
    .group_segment_fixed_size: 0
    .kernarg_segment_align: 8
    .kernarg_segment_size: 72
    .language:       OpenCL C
    .language_version:
      - 2
      - 0
    .max_flat_workgroup_size: 256
    .name:           _ZN7rocprim17ROCPRIM_400000_NS6detail17trampoline_kernelINS0_14default_configENS1_22reduce_config_selectorIN6thrust23THRUST_200600_302600_NS5tupleIblNS6_9null_typeES8_S8_S8_S8_S8_S8_S8_EEEEZNS1_11reduce_implILb1ES3_PS9_SC_S9_NS6_11hip_rocprim9__find_if7functorIS9_EEEE10hipError_tPvRmT1_T2_T3_mT4_P12ihipStream_tbEUlT_E0_NS1_11comp_targetILNS1_3genE9ELNS1_11target_archE1100ELNS1_3gpuE3ELNS1_3repE0EEENS1_30default_config_static_selectorELNS0_4arch9wavefront6targetE1EEEvSK_
    .private_segment_fixed_size: 0
    .sgpr_count:     6
    .sgpr_spill_count: 0
    .symbol:         _ZN7rocprim17ROCPRIM_400000_NS6detail17trampoline_kernelINS0_14default_configENS1_22reduce_config_selectorIN6thrust23THRUST_200600_302600_NS5tupleIblNS6_9null_typeES8_S8_S8_S8_S8_S8_S8_EEEEZNS1_11reduce_implILb1ES3_PS9_SC_S9_NS6_11hip_rocprim9__find_if7functorIS9_EEEE10hipError_tPvRmT1_T2_T3_mT4_P12ihipStream_tbEUlT_E0_NS1_11comp_targetILNS1_3genE9ELNS1_11target_archE1100ELNS1_3gpuE3ELNS1_3repE0EEENS1_30default_config_static_selectorELNS0_4arch9wavefront6targetE1EEEvSK_.kd
    .uniform_work_group_size: 1
    .uses_dynamic_stack: false
    .vgpr_count:     0
    .vgpr_spill_count: 0
    .wavefront_size: 64
  - .agpr_count:     0
    .args:
      - .offset:         0
        .size:           72
        .value_kind:     by_value
    .group_segment_fixed_size: 0
    .kernarg_segment_align: 8
    .kernarg_segment_size: 72
    .language:       OpenCL C
    .language_version:
      - 2
      - 0
    .max_flat_workgroup_size: 256
    .name:           _ZN7rocprim17ROCPRIM_400000_NS6detail17trampoline_kernelINS0_14default_configENS1_22reduce_config_selectorIN6thrust23THRUST_200600_302600_NS5tupleIblNS6_9null_typeES8_S8_S8_S8_S8_S8_S8_EEEEZNS1_11reduce_implILb1ES3_PS9_SC_S9_NS6_11hip_rocprim9__find_if7functorIS9_EEEE10hipError_tPvRmT1_T2_T3_mT4_P12ihipStream_tbEUlT_E0_NS1_11comp_targetILNS1_3genE8ELNS1_11target_archE1030ELNS1_3gpuE2ELNS1_3repE0EEENS1_30default_config_static_selectorELNS0_4arch9wavefront6targetE1EEEvSK_
    .private_segment_fixed_size: 0
    .sgpr_count:     6
    .sgpr_spill_count: 0
    .symbol:         _ZN7rocprim17ROCPRIM_400000_NS6detail17trampoline_kernelINS0_14default_configENS1_22reduce_config_selectorIN6thrust23THRUST_200600_302600_NS5tupleIblNS6_9null_typeES8_S8_S8_S8_S8_S8_S8_EEEEZNS1_11reduce_implILb1ES3_PS9_SC_S9_NS6_11hip_rocprim9__find_if7functorIS9_EEEE10hipError_tPvRmT1_T2_T3_mT4_P12ihipStream_tbEUlT_E0_NS1_11comp_targetILNS1_3genE8ELNS1_11target_archE1030ELNS1_3gpuE2ELNS1_3repE0EEENS1_30default_config_static_selectorELNS0_4arch9wavefront6targetE1EEEvSK_.kd
    .uniform_work_group_size: 1
    .uses_dynamic_stack: false
    .vgpr_count:     0
    .vgpr_spill_count: 0
    .wavefront_size: 64
  - .agpr_count:     0
    .args:
      - .offset:         0
        .size:           56
        .value_kind:     by_value
    .group_segment_fixed_size: 0
    .kernarg_segment_align: 8
    .kernarg_segment_size: 56
    .language:       OpenCL C
    .language_version:
      - 2
      - 0
    .max_flat_workgroup_size: 128
    .name:           _ZN7rocprim17ROCPRIM_400000_NS6detail17trampoline_kernelINS0_14default_configENS1_22reduce_config_selectorIN6thrust23THRUST_200600_302600_NS5tupleIblNS6_9null_typeES8_S8_S8_S8_S8_S8_S8_EEEEZNS1_11reduce_implILb1ES3_PS9_SC_S9_NS6_11hip_rocprim9__find_if7functorIS9_EEEE10hipError_tPvRmT1_T2_T3_mT4_P12ihipStream_tbEUlT_E1_NS1_11comp_targetILNS1_3genE0ELNS1_11target_archE4294967295ELNS1_3gpuE0ELNS1_3repE0EEENS1_30default_config_static_selectorELNS0_4arch9wavefront6targetE1EEEvSK_
    .private_segment_fixed_size: 0
    .sgpr_count:     6
    .sgpr_spill_count: 0
    .symbol:         _ZN7rocprim17ROCPRIM_400000_NS6detail17trampoline_kernelINS0_14default_configENS1_22reduce_config_selectorIN6thrust23THRUST_200600_302600_NS5tupleIblNS6_9null_typeES8_S8_S8_S8_S8_S8_S8_EEEEZNS1_11reduce_implILb1ES3_PS9_SC_S9_NS6_11hip_rocprim9__find_if7functorIS9_EEEE10hipError_tPvRmT1_T2_T3_mT4_P12ihipStream_tbEUlT_E1_NS1_11comp_targetILNS1_3genE0ELNS1_11target_archE4294967295ELNS1_3gpuE0ELNS1_3repE0EEENS1_30default_config_static_selectorELNS0_4arch9wavefront6targetE1EEEvSK_.kd
    .uniform_work_group_size: 1
    .uses_dynamic_stack: false
    .vgpr_count:     0
    .vgpr_spill_count: 0
    .wavefront_size: 64
  - .agpr_count:     0
    .args:
      - .offset:         0
        .size:           56
        .value_kind:     by_value
    .group_segment_fixed_size: 384
    .kernarg_segment_align: 8
    .kernarg_segment_size: 56
    .language:       OpenCL C
    .language_version:
      - 2
      - 0
    .max_flat_workgroup_size: 256
    .name:           _ZN7rocprim17ROCPRIM_400000_NS6detail17trampoline_kernelINS0_14default_configENS1_22reduce_config_selectorIN6thrust23THRUST_200600_302600_NS5tupleIblNS6_9null_typeES8_S8_S8_S8_S8_S8_S8_EEEEZNS1_11reduce_implILb1ES3_PS9_SC_S9_NS6_11hip_rocprim9__find_if7functorIS9_EEEE10hipError_tPvRmT1_T2_T3_mT4_P12ihipStream_tbEUlT_E1_NS1_11comp_targetILNS1_3genE5ELNS1_11target_archE942ELNS1_3gpuE9ELNS1_3repE0EEENS1_30default_config_static_selectorELNS0_4arch9wavefront6targetE1EEEvSK_
    .private_segment_fixed_size: 0
    .sgpr_count:     54
    .sgpr_spill_count: 0
    .symbol:         _ZN7rocprim17ROCPRIM_400000_NS6detail17trampoline_kernelINS0_14default_configENS1_22reduce_config_selectorIN6thrust23THRUST_200600_302600_NS5tupleIblNS6_9null_typeES8_S8_S8_S8_S8_S8_S8_EEEEZNS1_11reduce_implILb1ES3_PS9_SC_S9_NS6_11hip_rocprim9__find_if7functorIS9_EEEE10hipError_tPvRmT1_T2_T3_mT4_P12ihipStream_tbEUlT_E1_NS1_11comp_targetILNS1_3genE5ELNS1_11target_archE942ELNS1_3gpuE9ELNS1_3repE0EEENS1_30default_config_static_selectorELNS0_4arch9wavefront6targetE1EEEvSK_.kd
    .uniform_work_group_size: 1
    .uses_dynamic_stack: false
    .vgpr_count:     54
    .vgpr_spill_count: 0
    .wavefront_size: 64
  - .agpr_count:     0
    .args:
      - .offset:         0
        .size:           56
        .value_kind:     by_value
    .group_segment_fixed_size: 0
    .kernarg_segment_align: 8
    .kernarg_segment_size: 56
    .language:       OpenCL C
    .language_version:
      - 2
      - 0
    .max_flat_workgroup_size: 256
    .name:           _ZN7rocprim17ROCPRIM_400000_NS6detail17trampoline_kernelINS0_14default_configENS1_22reduce_config_selectorIN6thrust23THRUST_200600_302600_NS5tupleIblNS6_9null_typeES8_S8_S8_S8_S8_S8_S8_EEEEZNS1_11reduce_implILb1ES3_PS9_SC_S9_NS6_11hip_rocprim9__find_if7functorIS9_EEEE10hipError_tPvRmT1_T2_T3_mT4_P12ihipStream_tbEUlT_E1_NS1_11comp_targetILNS1_3genE4ELNS1_11target_archE910ELNS1_3gpuE8ELNS1_3repE0EEENS1_30default_config_static_selectorELNS0_4arch9wavefront6targetE1EEEvSK_
    .private_segment_fixed_size: 0
    .sgpr_count:     6
    .sgpr_spill_count: 0
    .symbol:         _ZN7rocprim17ROCPRIM_400000_NS6detail17trampoline_kernelINS0_14default_configENS1_22reduce_config_selectorIN6thrust23THRUST_200600_302600_NS5tupleIblNS6_9null_typeES8_S8_S8_S8_S8_S8_S8_EEEEZNS1_11reduce_implILb1ES3_PS9_SC_S9_NS6_11hip_rocprim9__find_if7functorIS9_EEEE10hipError_tPvRmT1_T2_T3_mT4_P12ihipStream_tbEUlT_E1_NS1_11comp_targetILNS1_3genE4ELNS1_11target_archE910ELNS1_3gpuE8ELNS1_3repE0EEENS1_30default_config_static_selectorELNS0_4arch9wavefront6targetE1EEEvSK_.kd
    .uniform_work_group_size: 1
    .uses_dynamic_stack: false
    .vgpr_count:     0
    .vgpr_spill_count: 0
    .wavefront_size: 64
  - .agpr_count:     0
    .args:
      - .offset:         0
        .size:           56
        .value_kind:     by_value
    .group_segment_fixed_size: 0
    .kernarg_segment_align: 8
    .kernarg_segment_size: 56
    .language:       OpenCL C
    .language_version:
      - 2
      - 0
    .max_flat_workgroup_size: 128
    .name:           _ZN7rocprim17ROCPRIM_400000_NS6detail17trampoline_kernelINS0_14default_configENS1_22reduce_config_selectorIN6thrust23THRUST_200600_302600_NS5tupleIblNS6_9null_typeES8_S8_S8_S8_S8_S8_S8_EEEEZNS1_11reduce_implILb1ES3_PS9_SC_S9_NS6_11hip_rocprim9__find_if7functorIS9_EEEE10hipError_tPvRmT1_T2_T3_mT4_P12ihipStream_tbEUlT_E1_NS1_11comp_targetILNS1_3genE3ELNS1_11target_archE908ELNS1_3gpuE7ELNS1_3repE0EEENS1_30default_config_static_selectorELNS0_4arch9wavefront6targetE1EEEvSK_
    .private_segment_fixed_size: 0
    .sgpr_count:     6
    .sgpr_spill_count: 0
    .symbol:         _ZN7rocprim17ROCPRIM_400000_NS6detail17trampoline_kernelINS0_14default_configENS1_22reduce_config_selectorIN6thrust23THRUST_200600_302600_NS5tupleIblNS6_9null_typeES8_S8_S8_S8_S8_S8_S8_EEEEZNS1_11reduce_implILb1ES3_PS9_SC_S9_NS6_11hip_rocprim9__find_if7functorIS9_EEEE10hipError_tPvRmT1_T2_T3_mT4_P12ihipStream_tbEUlT_E1_NS1_11comp_targetILNS1_3genE3ELNS1_11target_archE908ELNS1_3gpuE7ELNS1_3repE0EEENS1_30default_config_static_selectorELNS0_4arch9wavefront6targetE1EEEvSK_.kd
    .uniform_work_group_size: 1
    .uses_dynamic_stack: false
    .vgpr_count:     0
    .vgpr_spill_count: 0
    .wavefront_size: 64
  - .agpr_count:     0
    .args:
      - .offset:         0
        .size:           56
        .value_kind:     by_value
    .group_segment_fixed_size: 0
    .kernarg_segment_align: 8
    .kernarg_segment_size: 56
    .language:       OpenCL C
    .language_version:
      - 2
      - 0
    .max_flat_workgroup_size: 128
    .name:           _ZN7rocprim17ROCPRIM_400000_NS6detail17trampoline_kernelINS0_14default_configENS1_22reduce_config_selectorIN6thrust23THRUST_200600_302600_NS5tupleIblNS6_9null_typeES8_S8_S8_S8_S8_S8_S8_EEEEZNS1_11reduce_implILb1ES3_PS9_SC_S9_NS6_11hip_rocprim9__find_if7functorIS9_EEEE10hipError_tPvRmT1_T2_T3_mT4_P12ihipStream_tbEUlT_E1_NS1_11comp_targetILNS1_3genE2ELNS1_11target_archE906ELNS1_3gpuE6ELNS1_3repE0EEENS1_30default_config_static_selectorELNS0_4arch9wavefront6targetE1EEEvSK_
    .private_segment_fixed_size: 0
    .sgpr_count:     6
    .sgpr_spill_count: 0
    .symbol:         _ZN7rocprim17ROCPRIM_400000_NS6detail17trampoline_kernelINS0_14default_configENS1_22reduce_config_selectorIN6thrust23THRUST_200600_302600_NS5tupleIblNS6_9null_typeES8_S8_S8_S8_S8_S8_S8_EEEEZNS1_11reduce_implILb1ES3_PS9_SC_S9_NS6_11hip_rocprim9__find_if7functorIS9_EEEE10hipError_tPvRmT1_T2_T3_mT4_P12ihipStream_tbEUlT_E1_NS1_11comp_targetILNS1_3genE2ELNS1_11target_archE906ELNS1_3gpuE6ELNS1_3repE0EEENS1_30default_config_static_selectorELNS0_4arch9wavefront6targetE1EEEvSK_.kd
    .uniform_work_group_size: 1
    .uses_dynamic_stack: false
    .vgpr_count:     0
    .vgpr_spill_count: 0
    .wavefront_size: 64
  - .agpr_count:     0
    .args:
      - .offset:         0
        .size:           56
        .value_kind:     by_value
    .group_segment_fixed_size: 0
    .kernarg_segment_align: 8
    .kernarg_segment_size: 56
    .language:       OpenCL C
    .language_version:
      - 2
      - 0
    .max_flat_workgroup_size: 256
    .name:           _ZN7rocprim17ROCPRIM_400000_NS6detail17trampoline_kernelINS0_14default_configENS1_22reduce_config_selectorIN6thrust23THRUST_200600_302600_NS5tupleIblNS6_9null_typeES8_S8_S8_S8_S8_S8_S8_EEEEZNS1_11reduce_implILb1ES3_PS9_SC_S9_NS6_11hip_rocprim9__find_if7functorIS9_EEEE10hipError_tPvRmT1_T2_T3_mT4_P12ihipStream_tbEUlT_E1_NS1_11comp_targetILNS1_3genE10ELNS1_11target_archE1201ELNS1_3gpuE5ELNS1_3repE0EEENS1_30default_config_static_selectorELNS0_4arch9wavefront6targetE1EEEvSK_
    .private_segment_fixed_size: 0
    .sgpr_count:     6
    .sgpr_spill_count: 0
    .symbol:         _ZN7rocprim17ROCPRIM_400000_NS6detail17trampoline_kernelINS0_14default_configENS1_22reduce_config_selectorIN6thrust23THRUST_200600_302600_NS5tupleIblNS6_9null_typeES8_S8_S8_S8_S8_S8_S8_EEEEZNS1_11reduce_implILb1ES3_PS9_SC_S9_NS6_11hip_rocprim9__find_if7functorIS9_EEEE10hipError_tPvRmT1_T2_T3_mT4_P12ihipStream_tbEUlT_E1_NS1_11comp_targetILNS1_3genE10ELNS1_11target_archE1201ELNS1_3gpuE5ELNS1_3repE0EEENS1_30default_config_static_selectorELNS0_4arch9wavefront6targetE1EEEvSK_.kd
    .uniform_work_group_size: 1
    .uses_dynamic_stack: false
    .vgpr_count:     0
    .vgpr_spill_count: 0
    .wavefront_size: 64
  - .agpr_count:     0
    .args:
      - .offset:         0
        .size:           56
        .value_kind:     by_value
    .group_segment_fixed_size: 0
    .kernarg_segment_align: 8
    .kernarg_segment_size: 56
    .language:       OpenCL C
    .language_version:
      - 2
      - 0
    .max_flat_workgroup_size: 256
    .name:           _ZN7rocprim17ROCPRIM_400000_NS6detail17trampoline_kernelINS0_14default_configENS1_22reduce_config_selectorIN6thrust23THRUST_200600_302600_NS5tupleIblNS6_9null_typeES8_S8_S8_S8_S8_S8_S8_EEEEZNS1_11reduce_implILb1ES3_PS9_SC_S9_NS6_11hip_rocprim9__find_if7functorIS9_EEEE10hipError_tPvRmT1_T2_T3_mT4_P12ihipStream_tbEUlT_E1_NS1_11comp_targetILNS1_3genE10ELNS1_11target_archE1200ELNS1_3gpuE4ELNS1_3repE0EEENS1_30default_config_static_selectorELNS0_4arch9wavefront6targetE1EEEvSK_
    .private_segment_fixed_size: 0
    .sgpr_count:     6
    .sgpr_spill_count: 0
    .symbol:         _ZN7rocprim17ROCPRIM_400000_NS6detail17trampoline_kernelINS0_14default_configENS1_22reduce_config_selectorIN6thrust23THRUST_200600_302600_NS5tupleIblNS6_9null_typeES8_S8_S8_S8_S8_S8_S8_EEEEZNS1_11reduce_implILb1ES3_PS9_SC_S9_NS6_11hip_rocprim9__find_if7functorIS9_EEEE10hipError_tPvRmT1_T2_T3_mT4_P12ihipStream_tbEUlT_E1_NS1_11comp_targetILNS1_3genE10ELNS1_11target_archE1200ELNS1_3gpuE4ELNS1_3repE0EEENS1_30default_config_static_selectorELNS0_4arch9wavefront6targetE1EEEvSK_.kd
    .uniform_work_group_size: 1
    .uses_dynamic_stack: false
    .vgpr_count:     0
    .vgpr_spill_count: 0
    .wavefront_size: 64
  - .agpr_count:     0
    .args:
      - .offset:         0
        .size:           56
        .value_kind:     by_value
    .group_segment_fixed_size: 0
    .kernarg_segment_align: 8
    .kernarg_segment_size: 56
    .language:       OpenCL C
    .language_version:
      - 2
      - 0
    .max_flat_workgroup_size: 256
    .name:           _ZN7rocprim17ROCPRIM_400000_NS6detail17trampoline_kernelINS0_14default_configENS1_22reduce_config_selectorIN6thrust23THRUST_200600_302600_NS5tupleIblNS6_9null_typeES8_S8_S8_S8_S8_S8_S8_EEEEZNS1_11reduce_implILb1ES3_PS9_SC_S9_NS6_11hip_rocprim9__find_if7functorIS9_EEEE10hipError_tPvRmT1_T2_T3_mT4_P12ihipStream_tbEUlT_E1_NS1_11comp_targetILNS1_3genE9ELNS1_11target_archE1100ELNS1_3gpuE3ELNS1_3repE0EEENS1_30default_config_static_selectorELNS0_4arch9wavefront6targetE1EEEvSK_
    .private_segment_fixed_size: 0
    .sgpr_count:     6
    .sgpr_spill_count: 0
    .symbol:         _ZN7rocprim17ROCPRIM_400000_NS6detail17trampoline_kernelINS0_14default_configENS1_22reduce_config_selectorIN6thrust23THRUST_200600_302600_NS5tupleIblNS6_9null_typeES8_S8_S8_S8_S8_S8_S8_EEEEZNS1_11reduce_implILb1ES3_PS9_SC_S9_NS6_11hip_rocprim9__find_if7functorIS9_EEEE10hipError_tPvRmT1_T2_T3_mT4_P12ihipStream_tbEUlT_E1_NS1_11comp_targetILNS1_3genE9ELNS1_11target_archE1100ELNS1_3gpuE3ELNS1_3repE0EEENS1_30default_config_static_selectorELNS0_4arch9wavefront6targetE1EEEvSK_.kd
    .uniform_work_group_size: 1
    .uses_dynamic_stack: false
    .vgpr_count:     0
    .vgpr_spill_count: 0
    .wavefront_size: 64
  - .agpr_count:     0
    .args:
      - .offset:         0
        .size:           56
        .value_kind:     by_value
    .group_segment_fixed_size: 0
    .kernarg_segment_align: 8
    .kernarg_segment_size: 56
    .language:       OpenCL C
    .language_version:
      - 2
      - 0
    .max_flat_workgroup_size: 256
    .name:           _ZN7rocprim17ROCPRIM_400000_NS6detail17trampoline_kernelINS0_14default_configENS1_22reduce_config_selectorIN6thrust23THRUST_200600_302600_NS5tupleIblNS6_9null_typeES8_S8_S8_S8_S8_S8_S8_EEEEZNS1_11reduce_implILb1ES3_PS9_SC_S9_NS6_11hip_rocprim9__find_if7functorIS9_EEEE10hipError_tPvRmT1_T2_T3_mT4_P12ihipStream_tbEUlT_E1_NS1_11comp_targetILNS1_3genE8ELNS1_11target_archE1030ELNS1_3gpuE2ELNS1_3repE0EEENS1_30default_config_static_selectorELNS0_4arch9wavefront6targetE1EEEvSK_
    .private_segment_fixed_size: 0
    .sgpr_count:     6
    .sgpr_spill_count: 0
    .symbol:         _ZN7rocprim17ROCPRIM_400000_NS6detail17trampoline_kernelINS0_14default_configENS1_22reduce_config_selectorIN6thrust23THRUST_200600_302600_NS5tupleIblNS6_9null_typeES8_S8_S8_S8_S8_S8_S8_EEEEZNS1_11reduce_implILb1ES3_PS9_SC_S9_NS6_11hip_rocprim9__find_if7functorIS9_EEEE10hipError_tPvRmT1_T2_T3_mT4_P12ihipStream_tbEUlT_E1_NS1_11comp_targetILNS1_3genE8ELNS1_11target_archE1030ELNS1_3gpuE2ELNS1_3repE0EEENS1_30default_config_static_selectorELNS0_4arch9wavefront6targetE1EEEvSK_.kd
    .uniform_work_group_size: 1
    .uses_dynamic_stack: false
    .vgpr_count:     0
    .vgpr_spill_count: 0
    .wavefront_size: 64
  - .agpr_count:     0
    .args:
      - .offset:         0
        .size:           104
        .value_kind:     by_value
    .group_segment_fixed_size: 0
    .kernarg_segment_align: 8
    .kernarg_segment_size: 104
    .language:       OpenCL C
    .language_version:
      - 2
      - 0
    .max_flat_workgroup_size: 128
    .name:           _ZN7rocprim17ROCPRIM_400000_NS6detail17trampoline_kernelINS0_14default_configENS1_22reduce_config_selectorIN6thrust23THRUST_200600_302600_NS5tupleIblNS6_9null_typeES8_S8_S8_S8_S8_S8_S8_EEEEZNS1_11reduce_implILb1ES3_NS6_12zip_iteratorINS7_INS6_11hip_rocprim26transform_input_iterator_tIbNSD_35transform_pair_of_input_iterators_tIbNS6_6detail15normal_iteratorINS6_10device_ptrIKxEEEESL_NS6_8equal_toIxEEEENSG_9not_fun_tINSD_8identityEEEEENSD_19counting_iterator_tIlEES8_S8_S8_S8_S8_S8_S8_S8_EEEEPS9_S9_NSD_9__find_if7functorIS9_EEEE10hipError_tPvRmT1_T2_T3_mT4_P12ihipStream_tbEUlT_E0_NS1_11comp_targetILNS1_3genE0ELNS1_11target_archE4294967295ELNS1_3gpuE0ELNS1_3repE0EEENS1_30default_config_static_selectorELNS0_4arch9wavefront6targetE1EEEvS14_
    .private_segment_fixed_size: 0
    .sgpr_count:     6
    .sgpr_spill_count: 0
    .symbol:         _ZN7rocprim17ROCPRIM_400000_NS6detail17trampoline_kernelINS0_14default_configENS1_22reduce_config_selectorIN6thrust23THRUST_200600_302600_NS5tupleIblNS6_9null_typeES8_S8_S8_S8_S8_S8_S8_EEEEZNS1_11reduce_implILb1ES3_NS6_12zip_iteratorINS7_INS6_11hip_rocprim26transform_input_iterator_tIbNSD_35transform_pair_of_input_iterators_tIbNS6_6detail15normal_iteratorINS6_10device_ptrIKxEEEESL_NS6_8equal_toIxEEEENSG_9not_fun_tINSD_8identityEEEEENSD_19counting_iterator_tIlEES8_S8_S8_S8_S8_S8_S8_S8_EEEEPS9_S9_NSD_9__find_if7functorIS9_EEEE10hipError_tPvRmT1_T2_T3_mT4_P12ihipStream_tbEUlT_E0_NS1_11comp_targetILNS1_3genE0ELNS1_11target_archE4294967295ELNS1_3gpuE0ELNS1_3repE0EEENS1_30default_config_static_selectorELNS0_4arch9wavefront6targetE1EEEvS14_.kd
    .uniform_work_group_size: 1
    .uses_dynamic_stack: false
    .vgpr_count:     0
    .vgpr_spill_count: 0
    .wavefront_size: 64
  - .agpr_count:     0
    .args:
      - .offset:         0
        .size:           104
        .value_kind:     by_value
    .group_segment_fixed_size: 128
    .kernarg_segment_align: 8
    .kernarg_segment_size: 104
    .language:       OpenCL C
    .language_version:
      - 2
      - 0
    .max_flat_workgroup_size: 256
    .name:           _ZN7rocprim17ROCPRIM_400000_NS6detail17trampoline_kernelINS0_14default_configENS1_22reduce_config_selectorIN6thrust23THRUST_200600_302600_NS5tupleIblNS6_9null_typeES8_S8_S8_S8_S8_S8_S8_EEEEZNS1_11reduce_implILb1ES3_NS6_12zip_iteratorINS7_INS6_11hip_rocprim26transform_input_iterator_tIbNSD_35transform_pair_of_input_iterators_tIbNS6_6detail15normal_iteratorINS6_10device_ptrIKxEEEESL_NS6_8equal_toIxEEEENSG_9not_fun_tINSD_8identityEEEEENSD_19counting_iterator_tIlEES8_S8_S8_S8_S8_S8_S8_S8_EEEEPS9_S9_NSD_9__find_if7functorIS9_EEEE10hipError_tPvRmT1_T2_T3_mT4_P12ihipStream_tbEUlT_E0_NS1_11comp_targetILNS1_3genE5ELNS1_11target_archE942ELNS1_3gpuE9ELNS1_3repE0EEENS1_30default_config_static_selectorELNS0_4arch9wavefront6targetE1EEEvS14_
    .private_segment_fixed_size: 0
    .sgpr_count:     57
    .sgpr_spill_count: 0
    .symbol:         _ZN7rocprim17ROCPRIM_400000_NS6detail17trampoline_kernelINS0_14default_configENS1_22reduce_config_selectorIN6thrust23THRUST_200600_302600_NS5tupleIblNS6_9null_typeES8_S8_S8_S8_S8_S8_S8_EEEEZNS1_11reduce_implILb1ES3_NS6_12zip_iteratorINS7_INS6_11hip_rocprim26transform_input_iterator_tIbNSD_35transform_pair_of_input_iterators_tIbNS6_6detail15normal_iteratorINS6_10device_ptrIKxEEEESL_NS6_8equal_toIxEEEENSG_9not_fun_tINSD_8identityEEEEENSD_19counting_iterator_tIlEES8_S8_S8_S8_S8_S8_S8_S8_EEEEPS9_S9_NSD_9__find_if7functorIS9_EEEE10hipError_tPvRmT1_T2_T3_mT4_P12ihipStream_tbEUlT_E0_NS1_11comp_targetILNS1_3genE5ELNS1_11target_archE942ELNS1_3gpuE9ELNS1_3repE0EEENS1_30default_config_static_selectorELNS0_4arch9wavefront6targetE1EEEvS14_.kd
    .uniform_work_group_size: 1
    .uses_dynamic_stack: false
    .vgpr_count:     64
    .vgpr_spill_count: 0
    .wavefront_size: 64
  - .agpr_count:     0
    .args:
      - .offset:         0
        .size:           104
        .value_kind:     by_value
    .group_segment_fixed_size: 0
    .kernarg_segment_align: 8
    .kernarg_segment_size: 104
    .language:       OpenCL C
    .language_version:
      - 2
      - 0
    .max_flat_workgroup_size: 256
    .name:           _ZN7rocprim17ROCPRIM_400000_NS6detail17trampoline_kernelINS0_14default_configENS1_22reduce_config_selectorIN6thrust23THRUST_200600_302600_NS5tupleIblNS6_9null_typeES8_S8_S8_S8_S8_S8_S8_EEEEZNS1_11reduce_implILb1ES3_NS6_12zip_iteratorINS7_INS6_11hip_rocprim26transform_input_iterator_tIbNSD_35transform_pair_of_input_iterators_tIbNS6_6detail15normal_iteratorINS6_10device_ptrIKxEEEESL_NS6_8equal_toIxEEEENSG_9not_fun_tINSD_8identityEEEEENSD_19counting_iterator_tIlEES8_S8_S8_S8_S8_S8_S8_S8_EEEEPS9_S9_NSD_9__find_if7functorIS9_EEEE10hipError_tPvRmT1_T2_T3_mT4_P12ihipStream_tbEUlT_E0_NS1_11comp_targetILNS1_3genE4ELNS1_11target_archE910ELNS1_3gpuE8ELNS1_3repE0EEENS1_30default_config_static_selectorELNS0_4arch9wavefront6targetE1EEEvS14_
    .private_segment_fixed_size: 0
    .sgpr_count:     6
    .sgpr_spill_count: 0
    .symbol:         _ZN7rocprim17ROCPRIM_400000_NS6detail17trampoline_kernelINS0_14default_configENS1_22reduce_config_selectorIN6thrust23THRUST_200600_302600_NS5tupleIblNS6_9null_typeES8_S8_S8_S8_S8_S8_S8_EEEEZNS1_11reduce_implILb1ES3_NS6_12zip_iteratorINS7_INS6_11hip_rocprim26transform_input_iterator_tIbNSD_35transform_pair_of_input_iterators_tIbNS6_6detail15normal_iteratorINS6_10device_ptrIKxEEEESL_NS6_8equal_toIxEEEENSG_9not_fun_tINSD_8identityEEEEENSD_19counting_iterator_tIlEES8_S8_S8_S8_S8_S8_S8_S8_EEEEPS9_S9_NSD_9__find_if7functorIS9_EEEE10hipError_tPvRmT1_T2_T3_mT4_P12ihipStream_tbEUlT_E0_NS1_11comp_targetILNS1_3genE4ELNS1_11target_archE910ELNS1_3gpuE8ELNS1_3repE0EEENS1_30default_config_static_selectorELNS0_4arch9wavefront6targetE1EEEvS14_.kd
    .uniform_work_group_size: 1
    .uses_dynamic_stack: false
    .vgpr_count:     0
    .vgpr_spill_count: 0
    .wavefront_size: 64
  - .agpr_count:     0
    .args:
      - .offset:         0
        .size:           104
        .value_kind:     by_value
    .group_segment_fixed_size: 0
    .kernarg_segment_align: 8
    .kernarg_segment_size: 104
    .language:       OpenCL C
    .language_version:
      - 2
      - 0
    .max_flat_workgroup_size: 128
    .name:           _ZN7rocprim17ROCPRIM_400000_NS6detail17trampoline_kernelINS0_14default_configENS1_22reduce_config_selectorIN6thrust23THRUST_200600_302600_NS5tupleIblNS6_9null_typeES8_S8_S8_S8_S8_S8_S8_EEEEZNS1_11reduce_implILb1ES3_NS6_12zip_iteratorINS7_INS6_11hip_rocprim26transform_input_iterator_tIbNSD_35transform_pair_of_input_iterators_tIbNS6_6detail15normal_iteratorINS6_10device_ptrIKxEEEESL_NS6_8equal_toIxEEEENSG_9not_fun_tINSD_8identityEEEEENSD_19counting_iterator_tIlEES8_S8_S8_S8_S8_S8_S8_S8_EEEEPS9_S9_NSD_9__find_if7functorIS9_EEEE10hipError_tPvRmT1_T2_T3_mT4_P12ihipStream_tbEUlT_E0_NS1_11comp_targetILNS1_3genE3ELNS1_11target_archE908ELNS1_3gpuE7ELNS1_3repE0EEENS1_30default_config_static_selectorELNS0_4arch9wavefront6targetE1EEEvS14_
    .private_segment_fixed_size: 0
    .sgpr_count:     6
    .sgpr_spill_count: 0
    .symbol:         _ZN7rocprim17ROCPRIM_400000_NS6detail17trampoline_kernelINS0_14default_configENS1_22reduce_config_selectorIN6thrust23THRUST_200600_302600_NS5tupleIblNS6_9null_typeES8_S8_S8_S8_S8_S8_S8_EEEEZNS1_11reduce_implILb1ES3_NS6_12zip_iteratorINS7_INS6_11hip_rocprim26transform_input_iterator_tIbNSD_35transform_pair_of_input_iterators_tIbNS6_6detail15normal_iteratorINS6_10device_ptrIKxEEEESL_NS6_8equal_toIxEEEENSG_9not_fun_tINSD_8identityEEEEENSD_19counting_iterator_tIlEES8_S8_S8_S8_S8_S8_S8_S8_EEEEPS9_S9_NSD_9__find_if7functorIS9_EEEE10hipError_tPvRmT1_T2_T3_mT4_P12ihipStream_tbEUlT_E0_NS1_11comp_targetILNS1_3genE3ELNS1_11target_archE908ELNS1_3gpuE7ELNS1_3repE0EEENS1_30default_config_static_selectorELNS0_4arch9wavefront6targetE1EEEvS14_.kd
    .uniform_work_group_size: 1
    .uses_dynamic_stack: false
    .vgpr_count:     0
    .vgpr_spill_count: 0
    .wavefront_size: 64
  - .agpr_count:     0
    .args:
      - .offset:         0
        .size:           104
        .value_kind:     by_value
    .group_segment_fixed_size: 0
    .kernarg_segment_align: 8
    .kernarg_segment_size: 104
    .language:       OpenCL C
    .language_version:
      - 2
      - 0
    .max_flat_workgroup_size: 128
    .name:           _ZN7rocprim17ROCPRIM_400000_NS6detail17trampoline_kernelINS0_14default_configENS1_22reduce_config_selectorIN6thrust23THRUST_200600_302600_NS5tupleIblNS6_9null_typeES8_S8_S8_S8_S8_S8_S8_EEEEZNS1_11reduce_implILb1ES3_NS6_12zip_iteratorINS7_INS6_11hip_rocprim26transform_input_iterator_tIbNSD_35transform_pair_of_input_iterators_tIbNS6_6detail15normal_iteratorINS6_10device_ptrIKxEEEESL_NS6_8equal_toIxEEEENSG_9not_fun_tINSD_8identityEEEEENSD_19counting_iterator_tIlEES8_S8_S8_S8_S8_S8_S8_S8_EEEEPS9_S9_NSD_9__find_if7functorIS9_EEEE10hipError_tPvRmT1_T2_T3_mT4_P12ihipStream_tbEUlT_E0_NS1_11comp_targetILNS1_3genE2ELNS1_11target_archE906ELNS1_3gpuE6ELNS1_3repE0EEENS1_30default_config_static_selectorELNS0_4arch9wavefront6targetE1EEEvS14_
    .private_segment_fixed_size: 0
    .sgpr_count:     6
    .sgpr_spill_count: 0
    .symbol:         _ZN7rocprim17ROCPRIM_400000_NS6detail17trampoline_kernelINS0_14default_configENS1_22reduce_config_selectorIN6thrust23THRUST_200600_302600_NS5tupleIblNS6_9null_typeES8_S8_S8_S8_S8_S8_S8_EEEEZNS1_11reduce_implILb1ES3_NS6_12zip_iteratorINS7_INS6_11hip_rocprim26transform_input_iterator_tIbNSD_35transform_pair_of_input_iterators_tIbNS6_6detail15normal_iteratorINS6_10device_ptrIKxEEEESL_NS6_8equal_toIxEEEENSG_9not_fun_tINSD_8identityEEEEENSD_19counting_iterator_tIlEES8_S8_S8_S8_S8_S8_S8_S8_EEEEPS9_S9_NSD_9__find_if7functorIS9_EEEE10hipError_tPvRmT1_T2_T3_mT4_P12ihipStream_tbEUlT_E0_NS1_11comp_targetILNS1_3genE2ELNS1_11target_archE906ELNS1_3gpuE6ELNS1_3repE0EEENS1_30default_config_static_selectorELNS0_4arch9wavefront6targetE1EEEvS14_.kd
    .uniform_work_group_size: 1
    .uses_dynamic_stack: false
    .vgpr_count:     0
    .vgpr_spill_count: 0
    .wavefront_size: 64
  - .agpr_count:     0
    .args:
      - .offset:         0
        .size:           104
        .value_kind:     by_value
    .group_segment_fixed_size: 0
    .kernarg_segment_align: 8
    .kernarg_segment_size: 104
    .language:       OpenCL C
    .language_version:
      - 2
      - 0
    .max_flat_workgroup_size: 256
    .name:           _ZN7rocprim17ROCPRIM_400000_NS6detail17trampoline_kernelINS0_14default_configENS1_22reduce_config_selectorIN6thrust23THRUST_200600_302600_NS5tupleIblNS6_9null_typeES8_S8_S8_S8_S8_S8_S8_EEEEZNS1_11reduce_implILb1ES3_NS6_12zip_iteratorINS7_INS6_11hip_rocprim26transform_input_iterator_tIbNSD_35transform_pair_of_input_iterators_tIbNS6_6detail15normal_iteratorINS6_10device_ptrIKxEEEESL_NS6_8equal_toIxEEEENSG_9not_fun_tINSD_8identityEEEEENSD_19counting_iterator_tIlEES8_S8_S8_S8_S8_S8_S8_S8_EEEEPS9_S9_NSD_9__find_if7functorIS9_EEEE10hipError_tPvRmT1_T2_T3_mT4_P12ihipStream_tbEUlT_E0_NS1_11comp_targetILNS1_3genE10ELNS1_11target_archE1201ELNS1_3gpuE5ELNS1_3repE0EEENS1_30default_config_static_selectorELNS0_4arch9wavefront6targetE1EEEvS14_
    .private_segment_fixed_size: 0
    .sgpr_count:     6
    .sgpr_spill_count: 0
    .symbol:         _ZN7rocprim17ROCPRIM_400000_NS6detail17trampoline_kernelINS0_14default_configENS1_22reduce_config_selectorIN6thrust23THRUST_200600_302600_NS5tupleIblNS6_9null_typeES8_S8_S8_S8_S8_S8_S8_EEEEZNS1_11reduce_implILb1ES3_NS6_12zip_iteratorINS7_INS6_11hip_rocprim26transform_input_iterator_tIbNSD_35transform_pair_of_input_iterators_tIbNS6_6detail15normal_iteratorINS6_10device_ptrIKxEEEESL_NS6_8equal_toIxEEEENSG_9not_fun_tINSD_8identityEEEEENSD_19counting_iterator_tIlEES8_S8_S8_S8_S8_S8_S8_S8_EEEEPS9_S9_NSD_9__find_if7functorIS9_EEEE10hipError_tPvRmT1_T2_T3_mT4_P12ihipStream_tbEUlT_E0_NS1_11comp_targetILNS1_3genE10ELNS1_11target_archE1201ELNS1_3gpuE5ELNS1_3repE0EEENS1_30default_config_static_selectorELNS0_4arch9wavefront6targetE1EEEvS14_.kd
    .uniform_work_group_size: 1
    .uses_dynamic_stack: false
    .vgpr_count:     0
    .vgpr_spill_count: 0
    .wavefront_size: 64
  - .agpr_count:     0
    .args:
      - .offset:         0
        .size:           104
        .value_kind:     by_value
    .group_segment_fixed_size: 0
    .kernarg_segment_align: 8
    .kernarg_segment_size: 104
    .language:       OpenCL C
    .language_version:
      - 2
      - 0
    .max_flat_workgroup_size: 256
    .name:           _ZN7rocprim17ROCPRIM_400000_NS6detail17trampoline_kernelINS0_14default_configENS1_22reduce_config_selectorIN6thrust23THRUST_200600_302600_NS5tupleIblNS6_9null_typeES8_S8_S8_S8_S8_S8_S8_EEEEZNS1_11reduce_implILb1ES3_NS6_12zip_iteratorINS7_INS6_11hip_rocprim26transform_input_iterator_tIbNSD_35transform_pair_of_input_iterators_tIbNS6_6detail15normal_iteratorINS6_10device_ptrIKxEEEESL_NS6_8equal_toIxEEEENSG_9not_fun_tINSD_8identityEEEEENSD_19counting_iterator_tIlEES8_S8_S8_S8_S8_S8_S8_S8_EEEEPS9_S9_NSD_9__find_if7functorIS9_EEEE10hipError_tPvRmT1_T2_T3_mT4_P12ihipStream_tbEUlT_E0_NS1_11comp_targetILNS1_3genE10ELNS1_11target_archE1200ELNS1_3gpuE4ELNS1_3repE0EEENS1_30default_config_static_selectorELNS0_4arch9wavefront6targetE1EEEvS14_
    .private_segment_fixed_size: 0
    .sgpr_count:     6
    .sgpr_spill_count: 0
    .symbol:         _ZN7rocprim17ROCPRIM_400000_NS6detail17trampoline_kernelINS0_14default_configENS1_22reduce_config_selectorIN6thrust23THRUST_200600_302600_NS5tupleIblNS6_9null_typeES8_S8_S8_S8_S8_S8_S8_EEEEZNS1_11reduce_implILb1ES3_NS6_12zip_iteratorINS7_INS6_11hip_rocprim26transform_input_iterator_tIbNSD_35transform_pair_of_input_iterators_tIbNS6_6detail15normal_iteratorINS6_10device_ptrIKxEEEESL_NS6_8equal_toIxEEEENSG_9not_fun_tINSD_8identityEEEEENSD_19counting_iterator_tIlEES8_S8_S8_S8_S8_S8_S8_S8_EEEEPS9_S9_NSD_9__find_if7functorIS9_EEEE10hipError_tPvRmT1_T2_T3_mT4_P12ihipStream_tbEUlT_E0_NS1_11comp_targetILNS1_3genE10ELNS1_11target_archE1200ELNS1_3gpuE4ELNS1_3repE0EEENS1_30default_config_static_selectorELNS0_4arch9wavefront6targetE1EEEvS14_.kd
    .uniform_work_group_size: 1
    .uses_dynamic_stack: false
    .vgpr_count:     0
    .vgpr_spill_count: 0
    .wavefront_size: 64
  - .agpr_count:     0
    .args:
      - .offset:         0
        .size:           104
        .value_kind:     by_value
    .group_segment_fixed_size: 0
    .kernarg_segment_align: 8
    .kernarg_segment_size: 104
    .language:       OpenCL C
    .language_version:
      - 2
      - 0
    .max_flat_workgroup_size: 256
    .name:           _ZN7rocprim17ROCPRIM_400000_NS6detail17trampoline_kernelINS0_14default_configENS1_22reduce_config_selectorIN6thrust23THRUST_200600_302600_NS5tupleIblNS6_9null_typeES8_S8_S8_S8_S8_S8_S8_EEEEZNS1_11reduce_implILb1ES3_NS6_12zip_iteratorINS7_INS6_11hip_rocprim26transform_input_iterator_tIbNSD_35transform_pair_of_input_iterators_tIbNS6_6detail15normal_iteratorINS6_10device_ptrIKxEEEESL_NS6_8equal_toIxEEEENSG_9not_fun_tINSD_8identityEEEEENSD_19counting_iterator_tIlEES8_S8_S8_S8_S8_S8_S8_S8_EEEEPS9_S9_NSD_9__find_if7functorIS9_EEEE10hipError_tPvRmT1_T2_T3_mT4_P12ihipStream_tbEUlT_E0_NS1_11comp_targetILNS1_3genE9ELNS1_11target_archE1100ELNS1_3gpuE3ELNS1_3repE0EEENS1_30default_config_static_selectorELNS0_4arch9wavefront6targetE1EEEvS14_
    .private_segment_fixed_size: 0
    .sgpr_count:     6
    .sgpr_spill_count: 0
    .symbol:         _ZN7rocprim17ROCPRIM_400000_NS6detail17trampoline_kernelINS0_14default_configENS1_22reduce_config_selectorIN6thrust23THRUST_200600_302600_NS5tupleIblNS6_9null_typeES8_S8_S8_S8_S8_S8_S8_EEEEZNS1_11reduce_implILb1ES3_NS6_12zip_iteratorINS7_INS6_11hip_rocprim26transform_input_iterator_tIbNSD_35transform_pair_of_input_iterators_tIbNS6_6detail15normal_iteratorINS6_10device_ptrIKxEEEESL_NS6_8equal_toIxEEEENSG_9not_fun_tINSD_8identityEEEEENSD_19counting_iterator_tIlEES8_S8_S8_S8_S8_S8_S8_S8_EEEEPS9_S9_NSD_9__find_if7functorIS9_EEEE10hipError_tPvRmT1_T2_T3_mT4_P12ihipStream_tbEUlT_E0_NS1_11comp_targetILNS1_3genE9ELNS1_11target_archE1100ELNS1_3gpuE3ELNS1_3repE0EEENS1_30default_config_static_selectorELNS0_4arch9wavefront6targetE1EEEvS14_.kd
    .uniform_work_group_size: 1
    .uses_dynamic_stack: false
    .vgpr_count:     0
    .vgpr_spill_count: 0
    .wavefront_size: 64
  - .agpr_count:     0
    .args:
      - .offset:         0
        .size:           104
        .value_kind:     by_value
    .group_segment_fixed_size: 0
    .kernarg_segment_align: 8
    .kernarg_segment_size: 104
    .language:       OpenCL C
    .language_version:
      - 2
      - 0
    .max_flat_workgroup_size: 256
    .name:           _ZN7rocprim17ROCPRIM_400000_NS6detail17trampoline_kernelINS0_14default_configENS1_22reduce_config_selectorIN6thrust23THRUST_200600_302600_NS5tupleIblNS6_9null_typeES8_S8_S8_S8_S8_S8_S8_EEEEZNS1_11reduce_implILb1ES3_NS6_12zip_iteratorINS7_INS6_11hip_rocprim26transform_input_iterator_tIbNSD_35transform_pair_of_input_iterators_tIbNS6_6detail15normal_iteratorINS6_10device_ptrIKxEEEESL_NS6_8equal_toIxEEEENSG_9not_fun_tINSD_8identityEEEEENSD_19counting_iterator_tIlEES8_S8_S8_S8_S8_S8_S8_S8_EEEEPS9_S9_NSD_9__find_if7functorIS9_EEEE10hipError_tPvRmT1_T2_T3_mT4_P12ihipStream_tbEUlT_E0_NS1_11comp_targetILNS1_3genE8ELNS1_11target_archE1030ELNS1_3gpuE2ELNS1_3repE0EEENS1_30default_config_static_selectorELNS0_4arch9wavefront6targetE1EEEvS14_
    .private_segment_fixed_size: 0
    .sgpr_count:     6
    .sgpr_spill_count: 0
    .symbol:         _ZN7rocprim17ROCPRIM_400000_NS6detail17trampoline_kernelINS0_14default_configENS1_22reduce_config_selectorIN6thrust23THRUST_200600_302600_NS5tupleIblNS6_9null_typeES8_S8_S8_S8_S8_S8_S8_EEEEZNS1_11reduce_implILb1ES3_NS6_12zip_iteratorINS7_INS6_11hip_rocprim26transform_input_iterator_tIbNSD_35transform_pair_of_input_iterators_tIbNS6_6detail15normal_iteratorINS6_10device_ptrIKxEEEESL_NS6_8equal_toIxEEEENSG_9not_fun_tINSD_8identityEEEEENSD_19counting_iterator_tIlEES8_S8_S8_S8_S8_S8_S8_S8_EEEEPS9_S9_NSD_9__find_if7functorIS9_EEEE10hipError_tPvRmT1_T2_T3_mT4_P12ihipStream_tbEUlT_E0_NS1_11comp_targetILNS1_3genE8ELNS1_11target_archE1030ELNS1_3gpuE2ELNS1_3repE0EEENS1_30default_config_static_selectorELNS0_4arch9wavefront6targetE1EEEvS14_.kd
    .uniform_work_group_size: 1
    .uses_dynamic_stack: false
    .vgpr_count:     0
    .vgpr_spill_count: 0
    .wavefront_size: 64
  - .agpr_count:     0
    .args:
      - .offset:         0
        .size:           88
        .value_kind:     by_value
    .group_segment_fixed_size: 0
    .kernarg_segment_align: 8
    .kernarg_segment_size: 88
    .language:       OpenCL C
    .language_version:
      - 2
      - 0
    .max_flat_workgroup_size: 128
    .name:           _ZN7rocprim17ROCPRIM_400000_NS6detail17trampoline_kernelINS0_14default_configENS1_22reduce_config_selectorIN6thrust23THRUST_200600_302600_NS5tupleIblNS6_9null_typeES8_S8_S8_S8_S8_S8_S8_EEEEZNS1_11reduce_implILb1ES3_NS6_12zip_iteratorINS7_INS6_11hip_rocprim26transform_input_iterator_tIbNSD_35transform_pair_of_input_iterators_tIbNS6_6detail15normal_iteratorINS6_10device_ptrIKxEEEESL_NS6_8equal_toIxEEEENSG_9not_fun_tINSD_8identityEEEEENSD_19counting_iterator_tIlEES8_S8_S8_S8_S8_S8_S8_S8_EEEEPS9_S9_NSD_9__find_if7functorIS9_EEEE10hipError_tPvRmT1_T2_T3_mT4_P12ihipStream_tbEUlT_E1_NS1_11comp_targetILNS1_3genE0ELNS1_11target_archE4294967295ELNS1_3gpuE0ELNS1_3repE0EEENS1_30default_config_static_selectorELNS0_4arch9wavefront6targetE1EEEvS14_
    .private_segment_fixed_size: 0
    .sgpr_count:     6
    .sgpr_spill_count: 0
    .symbol:         _ZN7rocprim17ROCPRIM_400000_NS6detail17trampoline_kernelINS0_14default_configENS1_22reduce_config_selectorIN6thrust23THRUST_200600_302600_NS5tupleIblNS6_9null_typeES8_S8_S8_S8_S8_S8_S8_EEEEZNS1_11reduce_implILb1ES3_NS6_12zip_iteratorINS7_INS6_11hip_rocprim26transform_input_iterator_tIbNSD_35transform_pair_of_input_iterators_tIbNS6_6detail15normal_iteratorINS6_10device_ptrIKxEEEESL_NS6_8equal_toIxEEEENSG_9not_fun_tINSD_8identityEEEEENSD_19counting_iterator_tIlEES8_S8_S8_S8_S8_S8_S8_S8_EEEEPS9_S9_NSD_9__find_if7functorIS9_EEEE10hipError_tPvRmT1_T2_T3_mT4_P12ihipStream_tbEUlT_E1_NS1_11comp_targetILNS1_3genE0ELNS1_11target_archE4294967295ELNS1_3gpuE0ELNS1_3repE0EEENS1_30default_config_static_selectorELNS0_4arch9wavefront6targetE1EEEvS14_.kd
    .uniform_work_group_size: 1
    .uses_dynamic_stack: false
    .vgpr_count:     0
    .vgpr_spill_count: 0
    .wavefront_size: 64
  - .agpr_count:     0
    .args:
      - .offset:         0
        .size:           88
        .value_kind:     by_value
    .group_segment_fixed_size: 384
    .kernarg_segment_align: 8
    .kernarg_segment_size: 88
    .language:       OpenCL C
    .language_version:
      - 2
      - 0
    .max_flat_workgroup_size: 256
    .name:           _ZN7rocprim17ROCPRIM_400000_NS6detail17trampoline_kernelINS0_14default_configENS1_22reduce_config_selectorIN6thrust23THRUST_200600_302600_NS5tupleIblNS6_9null_typeES8_S8_S8_S8_S8_S8_S8_EEEEZNS1_11reduce_implILb1ES3_NS6_12zip_iteratorINS7_INS6_11hip_rocprim26transform_input_iterator_tIbNSD_35transform_pair_of_input_iterators_tIbNS6_6detail15normal_iteratorINS6_10device_ptrIKxEEEESL_NS6_8equal_toIxEEEENSG_9not_fun_tINSD_8identityEEEEENSD_19counting_iterator_tIlEES8_S8_S8_S8_S8_S8_S8_S8_EEEEPS9_S9_NSD_9__find_if7functorIS9_EEEE10hipError_tPvRmT1_T2_T3_mT4_P12ihipStream_tbEUlT_E1_NS1_11comp_targetILNS1_3genE5ELNS1_11target_archE942ELNS1_3gpuE9ELNS1_3repE0EEENS1_30default_config_static_selectorELNS0_4arch9wavefront6targetE1EEEvS14_
    .private_segment_fixed_size: 0
    .sgpr_count:     62
    .sgpr_spill_count: 0
    .symbol:         _ZN7rocprim17ROCPRIM_400000_NS6detail17trampoline_kernelINS0_14default_configENS1_22reduce_config_selectorIN6thrust23THRUST_200600_302600_NS5tupleIblNS6_9null_typeES8_S8_S8_S8_S8_S8_S8_EEEEZNS1_11reduce_implILb1ES3_NS6_12zip_iteratorINS7_INS6_11hip_rocprim26transform_input_iterator_tIbNSD_35transform_pair_of_input_iterators_tIbNS6_6detail15normal_iteratorINS6_10device_ptrIKxEEEESL_NS6_8equal_toIxEEEENSG_9not_fun_tINSD_8identityEEEEENSD_19counting_iterator_tIlEES8_S8_S8_S8_S8_S8_S8_S8_EEEEPS9_S9_NSD_9__find_if7functorIS9_EEEE10hipError_tPvRmT1_T2_T3_mT4_P12ihipStream_tbEUlT_E1_NS1_11comp_targetILNS1_3genE5ELNS1_11target_archE942ELNS1_3gpuE9ELNS1_3repE0EEENS1_30default_config_static_selectorELNS0_4arch9wavefront6targetE1EEEvS14_.kd
    .uniform_work_group_size: 1
    .uses_dynamic_stack: false
    .vgpr_count:     64
    .vgpr_spill_count: 0
    .wavefront_size: 64
  - .agpr_count:     0
    .args:
      - .offset:         0
        .size:           88
        .value_kind:     by_value
    .group_segment_fixed_size: 0
    .kernarg_segment_align: 8
    .kernarg_segment_size: 88
    .language:       OpenCL C
    .language_version:
      - 2
      - 0
    .max_flat_workgroup_size: 256
    .name:           _ZN7rocprim17ROCPRIM_400000_NS6detail17trampoline_kernelINS0_14default_configENS1_22reduce_config_selectorIN6thrust23THRUST_200600_302600_NS5tupleIblNS6_9null_typeES8_S8_S8_S8_S8_S8_S8_EEEEZNS1_11reduce_implILb1ES3_NS6_12zip_iteratorINS7_INS6_11hip_rocprim26transform_input_iterator_tIbNSD_35transform_pair_of_input_iterators_tIbNS6_6detail15normal_iteratorINS6_10device_ptrIKxEEEESL_NS6_8equal_toIxEEEENSG_9not_fun_tINSD_8identityEEEEENSD_19counting_iterator_tIlEES8_S8_S8_S8_S8_S8_S8_S8_EEEEPS9_S9_NSD_9__find_if7functorIS9_EEEE10hipError_tPvRmT1_T2_T3_mT4_P12ihipStream_tbEUlT_E1_NS1_11comp_targetILNS1_3genE4ELNS1_11target_archE910ELNS1_3gpuE8ELNS1_3repE0EEENS1_30default_config_static_selectorELNS0_4arch9wavefront6targetE1EEEvS14_
    .private_segment_fixed_size: 0
    .sgpr_count:     6
    .sgpr_spill_count: 0
    .symbol:         _ZN7rocprim17ROCPRIM_400000_NS6detail17trampoline_kernelINS0_14default_configENS1_22reduce_config_selectorIN6thrust23THRUST_200600_302600_NS5tupleIblNS6_9null_typeES8_S8_S8_S8_S8_S8_S8_EEEEZNS1_11reduce_implILb1ES3_NS6_12zip_iteratorINS7_INS6_11hip_rocprim26transform_input_iterator_tIbNSD_35transform_pair_of_input_iterators_tIbNS6_6detail15normal_iteratorINS6_10device_ptrIKxEEEESL_NS6_8equal_toIxEEEENSG_9not_fun_tINSD_8identityEEEEENSD_19counting_iterator_tIlEES8_S8_S8_S8_S8_S8_S8_S8_EEEEPS9_S9_NSD_9__find_if7functorIS9_EEEE10hipError_tPvRmT1_T2_T3_mT4_P12ihipStream_tbEUlT_E1_NS1_11comp_targetILNS1_3genE4ELNS1_11target_archE910ELNS1_3gpuE8ELNS1_3repE0EEENS1_30default_config_static_selectorELNS0_4arch9wavefront6targetE1EEEvS14_.kd
    .uniform_work_group_size: 1
    .uses_dynamic_stack: false
    .vgpr_count:     0
    .vgpr_spill_count: 0
    .wavefront_size: 64
  - .agpr_count:     0
    .args:
      - .offset:         0
        .size:           88
        .value_kind:     by_value
    .group_segment_fixed_size: 0
    .kernarg_segment_align: 8
    .kernarg_segment_size: 88
    .language:       OpenCL C
    .language_version:
      - 2
      - 0
    .max_flat_workgroup_size: 128
    .name:           _ZN7rocprim17ROCPRIM_400000_NS6detail17trampoline_kernelINS0_14default_configENS1_22reduce_config_selectorIN6thrust23THRUST_200600_302600_NS5tupleIblNS6_9null_typeES8_S8_S8_S8_S8_S8_S8_EEEEZNS1_11reduce_implILb1ES3_NS6_12zip_iteratorINS7_INS6_11hip_rocprim26transform_input_iterator_tIbNSD_35transform_pair_of_input_iterators_tIbNS6_6detail15normal_iteratorINS6_10device_ptrIKxEEEESL_NS6_8equal_toIxEEEENSG_9not_fun_tINSD_8identityEEEEENSD_19counting_iterator_tIlEES8_S8_S8_S8_S8_S8_S8_S8_EEEEPS9_S9_NSD_9__find_if7functorIS9_EEEE10hipError_tPvRmT1_T2_T3_mT4_P12ihipStream_tbEUlT_E1_NS1_11comp_targetILNS1_3genE3ELNS1_11target_archE908ELNS1_3gpuE7ELNS1_3repE0EEENS1_30default_config_static_selectorELNS0_4arch9wavefront6targetE1EEEvS14_
    .private_segment_fixed_size: 0
    .sgpr_count:     6
    .sgpr_spill_count: 0
    .symbol:         _ZN7rocprim17ROCPRIM_400000_NS6detail17trampoline_kernelINS0_14default_configENS1_22reduce_config_selectorIN6thrust23THRUST_200600_302600_NS5tupleIblNS6_9null_typeES8_S8_S8_S8_S8_S8_S8_EEEEZNS1_11reduce_implILb1ES3_NS6_12zip_iteratorINS7_INS6_11hip_rocprim26transform_input_iterator_tIbNSD_35transform_pair_of_input_iterators_tIbNS6_6detail15normal_iteratorINS6_10device_ptrIKxEEEESL_NS6_8equal_toIxEEEENSG_9not_fun_tINSD_8identityEEEEENSD_19counting_iterator_tIlEES8_S8_S8_S8_S8_S8_S8_S8_EEEEPS9_S9_NSD_9__find_if7functorIS9_EEEE10hipError_tPvRmT1_T2_T3_mT4_P12ihipStream_tbEUlT_E1_NS1_11comp_targetILNS1_3genE3ELNS1_11target_archE908ELNS1_3gpuE7ELNS1_3repE0EEENS1_30default_config_static_selectorELNS0_4arch9wavefront6targetE1EEEvS14_.kd
    .uniform_work_group_size: 1
    .uses_dynamic_stack: false
    .vgpr_count:     0
    .vgpr_spill_count: 0
    .wavefront_size: 64
  - .agpr_count:     0
    .args:
      - .offset:         0
        .size:           88
        .value_kind:     by_value
    .group_segment_fixed_size: 0
    .kernarg_segment_align: 8
    .kernarg_segment_size: 88
    .language:       OpenCL C
    .language_version:
      - 2
      - 0
    .max_flat_workgroup_size: 128
    .name:           _ZN7rocprim17ROCPRIM_400000_NS6detail17trampoline_kernelINS0_14default_configENS1_22reduce_config_selectorIN6thrust23THRUST_200600_302600_NS5tupleIblNS6_9null_typeES8_S8_S8_S8_S8_S8_S8_EEEEZNS1_11reduce_implILb1ES3_NS6_12zip_iteratorINS7_INS6_11hip_rocprim26transform_input_iterator_tIbNSD_35transform_pair_of_input_iterators_tIbNS6_6detail15normal_iteratorINS6_10device_ptrIKxEEEESL_NS6_8equal_toIxEEEENSG_9not_fun_tINSD_8identityEEEEENSD_19counting_iterator_tIlEES8_S8_S8_S8_S8_S8_S8_S8_EEEEPS9_S9_NSD_9__find_if7functorIS9_EEEE10hipError_tPvRmT1_T2_T3_mT4_P12ihipStream_tbEUlT_E1_NS1_11comp_targetILNS1_3genE2ELNS1_11target_archE906ELNS1_3gpuE6ELNS1_3repE0EEENS1_30default_config_static_selectorELNS0_4arch9wavefront6targetE1EEEvS14_
    .private_segment_fixed_size: 0
    .sgpr_count:     6
    .sgpr_spill_count: 0
    .symbol:         _ZN7rocprim17ROCPRIM_400000_NS6detail17trampoline_kernelINS0_14default_configENS1_22reduce_config_selectorIN6thrust23THRUST_200600_302600_NS5tupleIblNS6_9null_typeES8_S8_S8_S8_S8_S8_S8_EEEEZNS1_11reduce_implILb1ES3_NS6_12zip_iteratorINS7_INS6_11hip_rocprim26transform_input_iterator_tIbNSD_35transform_pair_of_input_iterators_tIbNS6_6detail15normal_iteratorINS6_10device_ptrIKxEEEESL_NS6_8equal_toIxEEEENSG_9not_fun_tINSD_8identityEEEEENSD_19counting_iterator_tIlEES8_S8_S8_S8_S8_S8_S8_S8_EEEEPS9_S9_NSD_9__find_if7functorIS9_EEEE10hipError_tPvRmT1_T2_T3_mT4_P12ihipStream_tbEUlT_E1_NS1_11comp_targetILNS1_3genE2ELNS1_11target_archE906ELNS1_3gpuE6ELNS1_3repE0EEENS1_30default_config_static_selectorELNS0_4arch9wavefront6targetE1EEEvS14_.kd
    .uniform_work_group_size: 1
    .uses_dynamic_stack: false
    .vgpr_count:     0
    .vgpr_spill_count: 0
    .wavefront_size: 64
  - .agpr_count:     0
    .args:
      - .offset:         0
        .size:           88
        .value_kind:     by_value
    .group_segment_fixed_size: 0
    .kernarg_segment_align: 8
    .kernarg_segment_size: 88
    .language:       OpenCL C
    .language_version:
      - 2
      - 0
    .max_flat_workgroup_size: 256
    .name:           _ZN7rocprim17ROCPRIM_400000_NS6detail17trampoline_kernelINS0_14default_configENS1_22reduce_config_selectorIN6thrust23THRUST_200600_302600_NS5tupleIblNS6_9null_typeES8_S8_S8_S8_S8_S8_S8_EEEEZNS1_11reduce_implILb1ES3_NS6_12zip_iteratorINS7_INS6_11hip_rocprim26transform_input_iterator_tIbNSD_35transform_pair_of_input_iterators_tIbNS6_6detail15normal_iteratorINS6_10device_ptrIKxEEEESL_NS6_8equal_toIxEEEENSG_9not_fun_tINSD_8identityEEEEENSD_19counting_iterator_tIlEES8_S8_S8_S8_S8_S8_S8_S8_EEEEPS9_S9_NSD_9__find_if7functorIS9_EEEE10hipError_tPvRmT1_T2_T3_mT4_P12ihipStream_tbEUlT_E1_NS1_11comp_targetILNS1_3genE10ELNS1_11target_archE1201ELNS1_3gpuE5ELNS1_3repE0EEENS1_30default_config_static_selectorELNS0_4arch9wavefront6targetE1EEEvS14_
    .private_segment_fixed_size: 0
    .sgpr_count:     6
    .sgpr_spill_count: 0
    .symbol:         _ZN7rocprim17ROCPRIM_400000_NS6detail17trampoline_kernelINS0_14default_configENS1_22reduce_config_selectorIN6thrust23THRUST_200600_302600_NS5tupleIblNS6_9null_typeES8_S8_S8_S8_S8_S8_S8_EEEEZNS1_11reduce_implILb1ES3_NS6_12zip_iteratorINS7_INS6_11hip_rocprim26transform_input_iterator_tIbNSD_35transform_pair_of_input_iterators_tIbNS6_6detail15normal_iteratorINS6_10device_ptrIKxEEEESL_NS6_8equal_toIxEEEENSG_9not_fun_tINSD_8identityEEEEENSD_19counting_iterator_tIlEES8_S8_S8_S8_S8_S8_S8_S8_EEEEPS9_S9_NSD_9__find_if7functorIS9_EEEE10hipError_tPvRmT1_T2_T3_mT4_P12ihipStream_tbEUlT_E1_NS1_11comp_targetILNS1_3genE10ELNS1_11target_archE1201ELNS1_3gpuE5ELNS1_3repE0EEENS1_30default_config_static_selectorELNS0_4arch9wavefront6targetE1EEEvS14_.kd
    .uniform_work_group_size: 1
    .uses_dynamic_stack: false
    .vgpr_count:     0
    .vgpr_spill_count: 0
    .wavefront_size: 64
  - .agpr_count:     0
    .args:
      - .offset:         0
        .size:           88
        .value_kind:     by_value
    .group_segment_fixed_size: 0
    .kernarg_segment_align: 8
    .kernarg_segment_size: 88
    .language:       OpenCL C
    .language_version:
      - 2
      - 0
    .max_flat_workgroup_size: 256
    .name:           _ZN7rocprim17ROCPRIM_400000_NS6detail17trampoline_kernelINS0_14default_configENS1_22reduce_config_selectorIN6thrust23THRUST_200600_302600_NS5tupleIblNS6_9null_typeES8_S8_S8_S8_S8_S8_S8_EEEEZNS1_11reduce_implILb1ES3_NS6_12zip_iteratorINS7_INS6_11hip_rocprim26transform_input_iterator_tIbNSD_35transform_pair_of_input_iterators_tIbNS6_6detail15normal_iteratorINS6_10device_ptrIKxEEEESL_NS6_8equal_toIxEEEENSG_9not_fun_tINSD_8identityEEEEENSD_19counting_iterator_tIlEES8_S8_S8_S8_S8_S8_S8_S8_EEEEPS9_S9_NSD_9__find_if7functorIS9_EEEE10hipError_tPvRmT1_T2_T3_mT4_P12ihipStream_tbEUlT_E1_NS1_11comp_targetILNS1_3genE10ELNS1_11target_archE1200ELNS1_3gpuE4ELNS1_3repE0EEENS1_30default_config_static_selectorELNS0_4arch9wavefront6targetE1EEEvS14_
    .private_segment_fixed_size: 0
    .sgpr_count:     6
    .sgpr_spill_count: 0
    .symbol:         _ZN7rocprim17ROCPRIM_400000_NS6detail17trampoline_kernelINS0_14default_configENS1_22reduce_config_selectorIN6thrust23THRUST_200600_302600_NS5tupleIblNS6_9null_typeES8_S8_S8_S8_S8_S8_S8_EEEEZNS1_11reduce_implILb1ES3_NS6_12zip_iteratorINS7_INS6_11hip_rocprim26transform_input_iterator_tIbNSD_35transform_pair_of_input_iterators_tIbNS6_6detail15normal_iteratorINS6_10device_ptrIKxEEEESL_NS6_8equal_toIxEEEENSG_9not_fun_tINSD_8identityEEEEENSD_19counting_iterator_tIlEES8_S8_S8_S8_S8_S8_S8_S8_EEEEPS9_S9_NSD_9__find_if7functorIS9_EEEE10hipError_tPvRmT1_T2_T3_mT4_P12ihipStream_tbEUlT_E1_NS1_11comp_targetILNS1_3genE10ELNS1_11target_archE1200ELNS1_3gpuE4ELNS1_3repE0EEENS1_30default_config_static_selectorELNS0_4arch9wavefront6targetE1EEEvS14_.kd
    .uniform_work_group_size: 1
    .uses_dynamic_stack: false
    .vgpr_count:     0
    .vgpr_spill_count: 0
    .wavefront_size: 64
  - .agpr_count:     0
    .args:
      - .offset:         0
        .size:           88
        .value_kind:     by_value
    .group_segment_fixed_size: 0
    .kernarg_segment_align: 8
    .kernarg_segment_size: 88
    .language:       OpenCL C
    .language_version:
      - 2
      - 0
    .max_flat_workgroup_size: 256
    .name:           _ZN7rocprim17ROCPRIM_400000_NS6detail17trampoline_kernelINS0_14default_configENS1_22reduce_config_selectorIN6thrust23THRUST_200600_302600_NS5tupleIblNS6_9null_typeES8_S8_S8_S8_S8_S8_S8_EEEEZNS1_11reduce_implILb1ES3_NS6_12zip_iteratorINS7_INS6_11hip_rocprim26transform_input_iterator_tIbNSD_35transform_pair_of_input_iterators_tIbNS6_6detail15normal_iteratorINS6_10device_ptrIKxEEEESL_NS6_8equal_toIxEEEENSG_9not_fun_tINSD_8identityEEEEENSD_19counting_iterator_tIlEES8_S8_S8_S8_S8_S8_S8_S8_EEEEPS9_S9_NSD_9__find_if7functorIS9_EEEE10hipError_tPvRmT1_T2_T3_mT4_P12ihipStream_tbEUlT_E1_NS1_11comp_targetILNS1_3genE9ELNS1_11target_archE1100ELNS1_3gpuE3ELNS1_3repE0EEENS1_30default_config_static_selectorELNS0_4arch9wavefront6targetE1EEEvS14_
    .private_segment_fixed_size: 0
    .sgpr_count:     6
    .sgpr_spill_count: 0
    .symbol:         _ZN7rocprim17ROCPRIM_400000_NS6detail17trampoline_kernelINS0_14default_configENS1_22reduce_config_selectorIN6thrust23THRUST_200600_302600_NS5tupleIblNS6_9null_typeES8_S8_S8_S8_S8_S8_S8_EEEEZNS1_11reduce_implILb1ES3_NS6_12zip_iteratorINS7_INS6_11hip_rocprim26transform_input_iterator_tIbNSD_35transform_pair_of_input_iterators_tIbNS6_6detail15normal_iteratorINS6_10device_ptrIKxEEEESL_NS6_8equal_toIxEEEENSG_9not_fun_tINSD_8identityEEEEENSD_19counting_iterator_tIlEES8_S8_S8_S8_S8_S8_S8_S8_EEEEPS9_S9_NSD_9__find_if7functorIS9_EEEE10hipError_tPvRmT1_T2_T3_mT4_P12ihipStream_tbEUlT_E1_NS1_11comp_targetILNS1_3genE9ELNS1_11target_archE1100ELNS1_3gpuE3ELNS1_3repE0EEENS1_30default_config_static_selectorELNS0_4arch9wavefront6targetE1EEEvS14_.kd
    .uniform_work_group_size: 1
    .uses_dynamic_stack: false
    .vgpr_count:     0
    .vgpr_spill_count: 0
    .wavefront_size: 64
  - .agpr_count:     0
    .args:
      - .offset:         0
        .size:           88
        .value_kind:     by_value
    .group_segment_fixed_size: 0
    .kernarg_segment_align: 8
    .kernarg_segment_size: 88
    .language:       OpenCL C
    .language_version:
      - 2
      - 0
    .max_flat_workgroup_size: 256
    .name:           _ZN7rocprim17ROCPRIM_400000_NS6detail17trampoline_kernelINS0_14default_configENS1_22reduce_config_selectorIN6thrust23THRUST_200600_302600_NS5tupleIblNS6_9null_typeES8_S8_S8_S8_S8_S8_S8_EEEEZNS1_11reduce_implILb1ES3_NS6_12zip_iteratorINS7_INS6_11hip_rocprim26transform_input_iterator_tIbNSD_35transform_pair_of_input_iterators_tIbNS6_6detail15normal_iteratorINS6_10device_ptrIKxEEEESL_NS6_8equal_toIxEEEENSG_9not_fun_tINSD_8identityEEEEENSD_19counting_iterator_tIlEES8_S8_S8_S8_S8_S8_S8_S8_EEEEPS9_S9_NSD_9__find_if7functorIS9_EEEE10hipError_tPvRmT1_T2_T3_mT4_P12ihipStream_tbEUlT_E1_NS1_11comp_targetILNS1_3genE8ELNS1_11target_archE1030ELNS1_3gpuE2ELNS1_3repE0EEENS1_30default_config_static_selectorELNS0_4arch9wavefront6targetE1EEEvS14_
    .private_segment_fixed_size: 0
    .sgpr_count:     6
    .sgpr_spill_count: 0
    .symbol:         _ZN7rocprim17ROCPRIM_400000_NS6detail17trampoline_kernelINS0_14default_configENS1_22reduce_config_selectorIN6thrust23THRUST_200600_302600_NS5tupleIblNS6_9null_typeES8_S8_S8_S8_S8_S8_S8_EEEEZNS1_11reduce_implILb1ES3_NS6_12zip_iteratorINS7_INS6_11hip_rocprim26transform_input_iterator_tIbNSD_35transform_pair_of_input_iterators_tIbNS6_6detail15normal_iteratorINS6_10device_ptrIKxEEEESL_NS6_8equal_toIxEEEENSG_9not_fun_tINSD_8identityEEEEENSD_19counting_iterator_tIlEES8_S8_S8_S8_S8_S8_S8_S8_EEEEPS9_S9_NSD_9__find_if7functorIS9_EEEE10hipError_tPvRmT1_T2_T3_mT4_P12ihipStream_tbEUlT_E1_NS1_11comp_targetILNS1_3genE8ELNS1_11target_archE1030ELNS1_3gpuE2ELNS1_3repE0EEENS1_30default_config_static_selectorELNS0_4arch9wavefront6targetE1EEEvS14_.kd
    .uniform_work_group_size: 1
    .uses_dynamic_stack: false
    .vgpr_count:     0
    .vgpr_spill_count: 0
    .wavefront_size: 64
  - .agpr_count:     0
    .args:
      - .offset:         0
        .size:           16
        .value_kind:     by_value
      - .offset:         16
        .size:           8
        .value_kind:     by_value
      - .offset:         24
        .size:           8
        .value_kind:     by_value
    .group_segment_fixed_size: 0
    .kernarg_segment_align: 8
    .kernarg_segment_size: 32
    .language:       OpenCL C
    .language_version:
      - 2
      - 0
    .max_flat_workgroup_size: 256
    .name:           _ZN6thrust23THRUST_200600_302600_NS11hip_rocprim14__parallel_for6kernelILj256ENS1_10for_each_fINS0_7pointerINS0_5tupleIblNS0_9null_typeES7_S7_S7_S7_S7_S7_S7_EENS1_3tagENS0_11use_defaultESA_EENS0_6detail16wrapped_functionINSC_23allocator_traits_detail24construct1_via_allocatorINSC_18no_throw_allocatorINSC_19temporary_allocatorIS8_S9_EEEEEEvEEEEmLj1EEEvT0_T1_SO_
    .private_segment_fixed_size: 0
    .sgpr_count:     18
    .sgpr_spill_count: 0
    .symbol:         _ZN6thrust23THRUST_200600_302600_NS11hip_rocprim14__parallel_for6kernelILj256ENS1_10for_each_fINS0_7pointerINS0_5tupleIblNS0_9null_typeES7_S7_S7_S7_S7_S7_S7_EENS1_3tagENS0_11use_defaultESA_EENS0_6detail16wrapped_functionINSC_23allocator_traits_detail24construct1_via_allocatorINSC_18no_throw_allocatorINSC_19temporary_allocatorIS8_S9_EEEEEEvEEEEmLj1EEEvT0_T1_SO_.kd
    .uniform_work_group_size: 1
    .uses_dynamic_stack: false
    .vgpr_count:     4
    .vgpr_spill_count: 0
    .wavefront_size: 64
  - .agpr_count:     0
    .args:
      - .offset:         0
        .size:           16
        .value_kind:     by_value
      - .offset:         16
        .size:           8
        .value_kind:     by_value
      - .offset:         24
        .size:           8
        .value_kind:     by_value
    .group_segment_fixed_size: 0
    .kernarg_segment_align: 8
    .kernarg_segment_size: 32
    .language:       OpenCL C
    .language_version:
      - 2
      - 0
    .max_flat_workgroup_size: 256
    .name:           _ZN6thrust23THRUST_200600_302600_NS11hip_rocprim14__parallel_for6kernelILj256ENS1_10for_each_fINS0_7pointerINS0_5tupleIblNS0_9null_typeES7_S7_S7_S7_S7_S7_S7_EENS1_3tagENS0_11use_defaultESA_EENS0_6detail16wrapped_functionINSC_23allocator_traits_detail5gozerEvEEEElLj1EEEvT0_T1_SJ_
    .private_segment_fixed_size: 0
    .sgpr_count:     6
    .sgpr_spill_count: 0
    .symbol:         _ZN6thrust23THRUST_200600_302600_NS11hip_rocprim14__parallel_for6kernelILj256ENS1_10for_each_fINS0_7pointerINS0_5tupleIblNS0_9null_typeES7_S7_S7_S7_S7_S7_S7_EENS1_3tagENS0_11use_defaultESA_EENS0_6detail16wrapped_functionINSC_23allocator_traits_detail5gozerEvEEEElLj1EEEvT0_T1_SJ_.kd
    .uniform_work_group_size: 1
    .uses_dynamic_stack: false
    .vgpr_count:     0
    .vgpr_spill_count: 0
    .wavefront_size: 64
  - .agpr_count:     0
    .args:
      - .offset:         0
        .size:           16
        .value_kind:     by_value
      - .offset:         16
        .size:           8
        .value_kind:     by_value
      - .offset:         24
        .size:           8
        .value_kind:     by_value
    .group_segment_fixed_size: 0
    .kernarg_segment_align: 8
    .kernarg_segment_size: 32
    .language:       OpenCL C
    .language_version:
      - 2
      - 0
    .max_flat_workgroup_size: 256
    .name:           _ZN6thrust23THRUST_200600_302600_NS11hip_rocprim14__parallel_for6kernelILj256ENS1_20__uninitialized_copy7functorIPNS0_5tupleIblNS0_9null_typeES7_S7_S7_S7_S7_S7_S7_EENS0_7pointerIS8_NS1_3tagENS0_11use_defaultESC_EEEEmLj1EEEvT0_T1_SG_
    .private_segment_fixed_size: 0
    .sgpr_count:     18
    .sgpr_spill_count: 0
    .symbol:         _ZN6thrust23THRUST_200600_302600_NS11hip_rocprim14__parallel_for6kernelILj256ENS1_20__uninitialized_copy7functorIPNS0_5tupleIblNS0_9null_typeES7_S7_S7_S7_S7_S7_S7_EENS0_7pointerIS8_NS1_3tagENS0_11use_defaultESC_EEEEmLj1EEEvT0_T1_SG_.kd
    .uniform_work_group_size: 1
    .uses_dynamic_stack: false
    .vgpr_count:     8
    .vgpr_spill_count: 0
    .wavefront_size: 64
  - .agpr_count:     0
    .args:
      - .offset:         0
        .size:           16
        .value_kind:     by_value
      - .offset:         16
        .size:           8
        .value_kind:     by_value
      - .offset:         24
        .size:           8
        .value_kind:     by_value
    .group_segment_fixed_size: 0
    .kernarg_segment_align: 8
    .kernarg_segment_size: 32
    .language:       OpenCL C
    .language_version:
      - 2
      - 0
    .max_flat_workgroup_size: 256
    .name:           _ZN6thrust23THRUST_200600_302600_NS11hip_rocprim14__parallel_for6kernelILj256ENS1_20__uninitialized_copy7functorINS0_6detail15normal_iteratorINS0_10device_ptrIiEEEENS7_INS0_7pointerIiNS1_3tagENS0_11use_defaultESD_EEEEEElLj1EEEvT0_T1_SI_
    .private_segment_fixed_size: 0
    .sgpr_count:     18
    .sgpr_spill_count: 0
    .symbol:         _ZN6thrust23THRUST_200600_302600_NS11hip_rocprim14__parallel_for6kernelILj256ENS1_20__uninitialized_copy7functorINS0_6detail15normal_iteratorINS0_10device_ptrIiEEEENS7_INS0_7pointerIiNS1_3tagENS0_11use_defaultESD_EEEEEElLj1EEEvT0_T1_SI_.kd
    .uniform_work_group_size: 1
    .uses_dynamic_stack: false
    .vgpr_count:     6
    .vgpr_spill_count: 0
    .wavefront_size: 64
  - .agpr_count:     0
    .args:
      - .offset:         0
        .size:           120
        .value_kind:     by_value
    .group_segment_fixed_size: 0
    .kernarg_segment_align: 8
    .kernarg_segment_size: 120
    .language:       OpenCL C
    .language_version:
      - 2
      - 0
    .max_flat_workgroup_size: 256
    .name:           _ZN7rocprim17ROCPRIM_400000_NS6detail17trampoline_kernelINS0_14default_configENS1_25partition_config_selectorILNS1_17partition_subalgoE3EiNS0_10empty_typeEbEEZZNS1_14partition_implILS5_3ELb0ES3_jN6thrust23THRUST_200600_302600_NS6detail15normal_iteratorINSA_7pointerIiNSA_11hip_rocprim3tagENSA_11use_defaultESG_EEEEPS6_SJ_NS0_5tupleIJPiSJ_EEENSK_IJSJ_SJ_EEES6_PlJ7is_evenIiEEEE10hipError_tPvRmT3_T4_T5_T6_T7_T9_mT8_P12ihipStream_tbDpT10_ENKUlT_T0_E_clISt17integral_constantIbLb0EES1A_EEDaS15_S16_EUlS15_E_NS1_11comp_targetILNS1_3genE0ELNS1_11target_archE4294967295ELNS1_3gpuE0ELNS1_3repE0EEENS1_30default_config_static_selectorELNS0_4arch9wavefront6targetE1EEEvT1_
    .private_segment_fixed_size: 0
    .sgpr_count:     6
    .sgpr_spill_count: 0
    .symbol:         _ZN7rocprim17ROCPRIM_400000_NS6detail17trampoline_kernelINS0_14default_configENS1_25partition_config_selectorILNS1_17partition_subalgoE3EiNS0_10empty_typeEbEEZZNS1_14partition_implILS5_3ELb0ES3_jN6thrust23THRUST_200600_302600_NS6detail15normal_iteratorINSA_7pointerIiNSA_11hip_rocprim3tagENSA_11use_defaultESG_EEEEPS6_SJ_NS0_5tupleIJPiSJ_EEENSK_IJSJ_SJ_EEES6_PlJ7is_evenIiEEEE10hipError_tPvRmT3_T4_T5_T6_T7_T9_mT8_P12ihipStream_tbDpT10_ENKUlT_T0_E_clISt17integral_constantIbLb0EES1A_EEDaS15_S16_EUlS15_E_NS1_11comp_targetILNS1_3genE0ELNS1_11target_archE4294967295ELNS1_3gpuE0ELNS1_3repE0EEENS1_30default_config_static_selectorELNS0_4arch9wavefront6targetE1EEEvT1_.kd
    .uniform_work_group_size: 1
    .uses_dynamic_stack: false
    .vgpr_count:     0
    .vgpr_spill_count: 0
    .wavefront_size: 64
  - .agpr_count:     0
    .args:
      - .offset:         0
        .size:           120
        .value_kind:     by_value
    .group_segment_fixed_size: 30728
    .kernarg_segment_align: 8
    .kernarg_segment_size: 120
    .language:       OpenCL C
    .language_version:
      - 2
      - 0
    .max_flat_workgroup_size: 512
    .name:           _ZN7rocprim17ROCPRIM_400000_NS6detail17trampoline_kernelINS0_14default_configENS1_25partition_config_selectorILNS1_17partition_subalgoE3EiNS0_10empty_typeEbEEZZNS1_14partition_implILS5_3ELb0ES3_jN6thrust23THRUST_200600_302600_NS6detail15normal_iteratorINSA_7pointerIiNSA_11hip_rocprim3tagENSA_11use_defaultESG_EEEEPS6_SJ_NS0_5tupleIJPiSJ_EEENSK_IJSJ_SJ_EEES6_PlJ7is_evenIiEEEE10hipError_tPvRmT3_T4_T5_T6_T7_T9_mT8_P12ihipStream_tbDpT10_ENKUlT_T0_E_clISt17integral_constantIbLb0EES1A_EEDaS15_S16_EUlS15_E_NS1_11comp_targetILNS1_3genE5ELNS1_11target_archE942ELNS1_3gpuE9ELNS1_3repE0EEENS1_30default_config_static_selectorELNS0_4arch9wavefront6targetE1EEEvT1_
    .private_segment_fixed_size: 0
    .sgpr_count:     52
    .sgpr_spill_count: 0
    .symbol:         _ZN7rocprim17ROCPRIM_400000_NS6detail17trampoline_kernelINS0_14default_configENS1_25partition_config_selectorILNS1_17partition_subalgoE3EiNS0_10empty_typeEbEEZZNS1_14partition_implILS5_3ELb0ES3_jN6thrust23THRUST_200600_302600_NS6detail15normal_iteratorINSA_7pointerIiNSA_11hip_rocprim3tagENSA_11use_defaultESG_EEEEPS6_SJ_NS0_5tupleIJPiSJ_EEENSK_IJSJ_SJ_EEES6_PlJ7is_evenIiEEEE10hipError_tPvRmT3_T4_T5_T6_T7_T9_mT8_P12ihipStream_tbDpT10_ENKUlT_T0_E_clISt17integral_constantIbLb0EES1A_EEDaS15_S16_EUlS15_E_NS1_11comp_targetILNS1_3genE5ELNS1_11target_archE942ELNS1_3gpuE9ELNS1_3repE0EEENS1_30default_config_static_selectorELNS0_4arch9wavefront6targetE1EEEvT1_.kd
    .uniform_work_group_size: 1
    .uses_dynamic_stack: false
    .vgpr_count:     76
    .vgpr_spill_count: 0
    .wavefront_size: 64
  - .agpr_count:     0
    .args:
      - .offset:         0
        .size:           120
        .value_kind:     by_value
    .group_segment_fixed_size: 0
    .kernarg_segment_align: 8
    .kernarg_segment_size: 120
    .language:       OpenCL C
    .language_version:
      - 2
      - 0
    .max_flat_workgroup_size: 256
    .name:           _ZN7rocprim17ROCPRIM_400000_NS6detail17trampoline_kernelINS0_14default_configENS1_25partition_config_selectorILNS1_17partition_subalgoE3EiNS0_10empty_typeEbEEZZNS1_14partition_implILS5_3ELb0ES3_jN6thrust23THRUST_200600_302600_NS6detail15normal_iteratorINSA_7pointerIiNSA_11hip_rocprim3tagENSA_11use_defaultESG_EEEEPS6_SJ_NS0_5tupleIJPiSJ_EEENSK_IJSJ_SJ_EEES6_PlJ7is_evenIiEEEE10hipError_tPvRmT3_T4_T5_T6_T7_T9_mT8_P12ihipStream_tbDpT10_ENKUlT_T0_E_clISt17integral_constantIbLb0EES1A_EEDaS15_S16_EUlS15_E_NS1_11comp_targetILNS1_3genE4ELNS1_11target_archE910ELNS1_3gpuE8ELNS1_3repE0EEENS1_30default_config_static_selectorELNS0_4arch9wavefront6targetE1EEEvT1_
    .private_segment_fixed_size: 0
    .sgpr_count:     6
    .sgpr_spill_count: 0
    .symbol:         _ZN7rocprim17ROCPRIM_400000_NS6detail17trampoline_kernelINS0_14default_configENS1_25partition_config_selectorILNS1_17partition_subalgoE3EiNS0_10empty_typeEbEEZZNS1_14partition_implILS5_3ELb0ES3_jN6thrust23THRUST_200600_302600_NS6detail15normal_iteratorINSA_7pointerIiNSA_11hip_rocprim3tagENSA_11use_defaultESG_EEEEPS6_SJ_NS0_5tupleIJPiSJ_EEENSK_IJSJ_SJ_EEES6_PlJ7is_evenIiEEEE10hipError_tPvRmT3_T4_T5_T6_T7_T9_mT8_P12ihipStream_tbDpT10_ENKUlT_T0_E_clISt17integral_constantIbLb0EES1A_EEDaS15_S16_EUlS15_E_NS1_11comp_targetILNS1_3genE4ELNS1_11target_archE910ELNS1_3gpuE8ELNS1_3repE0EEENS1_30default_config_static_selectorELNS0_4arch9wavefront6targetE1EEEvT1_.kd
    .uniform_work_group_size: 1
    .uses_dynamic_stack: false
    .vgpr_count:     0
    .vgpr_spill_count: 0
    .wavefront_size: 64
  - .agpr_count:     0
    .args:
      - .offset:         0
        .size:           120
        .value_kind:     by_value
    .group_segment_fixed_size: 0
    .kernarg_segment_align: 8
    .kernarg_segment_size: 120
    .language:       OpenCL C
    .language_version:
      - 2
      - 0
    .max_flat_workgroup_size: 256
    .name:           _ZN7rocprim17ROCPRIM_400000_NS6detail17trampoline_kernelINS0_14default_configENS1_25partition_config_selectorILNS1_17partition_subalgoE3EiNS0_10empty_typeEbEEZZNS1_14partition_implILS5_3ELb0ES3_jN6thrust23THRUST_200600_302600_NS6detail15normal_iteratorINSA_7pointerIiNSA_11hip_rocprim3tagENSA_11use_defaultESG_EEEEPS6_SJ_NS0_5tupleIJPiSJ_EEENSK_IJSJ_SJ_EEES6_PlJ7is_evenIiEEEE10hipError_tPvRmT3_T4_T5_T6_T7_T9_mT8_P12ihipStream_tbDpT10_ENKUlT_T0_E_clISt17integral_constantIbLb0EES1A_EEDaS15_S16_EUlS15_E_NS1_11comp_targetILNS1_3genE3ELNS1_11target_archE908ELNS1_3gpuE7ELNS1_3repE0EEENS1_30default_config_static_selectorELNS0_4arch9wavefront6targetE1EEEvT1_
    .private_segment_fixed_size: 0
    .sgpr_count:     6
    .sgpr_spill_count: 0
    .symbol:         _ZN7rocprim17ROCPRIM_400000_NS6detail17trampoline_kernelINS0_14default_configENS1_25partition_config_selectorILNS1_17partition_subalgoE3EiNS0_10empty_typeEbEEZZNS1_14partition_implILS5_3ELb0ES3_jN6thrust23THRUST_200600_302600_NS6detail15normal_iteratorINSA_7pointerIiNSA_11hip_rocprim3tagENSA_11use_defaultESG_EEEEPS6_SJ_NS0_5tupleIJPiSJ_EEENSK_IJSJ_SJ_EEES6_PlJ7is_evenIiEEEE10hipError_tPvRmT3_T4_T5_T6_T7_T9_mT8_P12ihipStream_tbDpT10_ENKUlT_T0_E_clISt17integral_constantIbLb0EES1A_EEDaS15_S16_EUlS15_E_NS1_11comp_targetILNS1_3genE3ELNS1_11target_archE908ELNS1_3gpuE7ELNS1_3repE0EEENS1_30default_config_static_selectorELNS0_4arch9wavefront6targetE1EEEvT1_.kd
    .uniform_work_group_size: 1
    .uses_dynamic_stack: false
    .vgpr_count:     0
    .vgpr_spill_count: 0
    .wavefront_size: 64
  - .agpr_count:     0
    .args:
      - .offset:         0
        .size:           120
        .value_kind:     by_value
    .group_segment_fixed_size: 0
    .kernarg_segment_align: 8
    .kernarg_segment_size: 120
    .language:       OpenCL C
    .language_version:
      - 2
      - 0
    .max_flat_workgroup_size: 192
    .name:           _ZN7rocprim17ROCPRIM_400000_NS6detail17trampoline_kernelINS0_14default_configENS1_25partition_config_selectorILNS1_17partition_subalgoE3EiNS0_10empty_typeEbEEZZNS1_14partition_implILS5_3ELb0ES3_jN6thrust23THRUST_200600_302600_NS6detail15normal_iteratorINSA_7pointerIiNSA_11hip_rocprim3tagENSA_11use_defaultESG_EEEEPS6_SJ_NS0_5tupleIJPiSJ_EEENSK_IJSJ_SJ_EEES6_PlJ7is_evenIiEEEE10hipError_tPvRmT3_T4_T5_T6_T7_T9_mT8_P12ihipStream_tbDpT10_ENKUlT_T0_E_clISt17integral_constantIbLb0EES1A_EEDaS15_S16_EUlS15_E_NS1_11comp_targetILNS1_3genE2ELNS1_11target_archE906ELNS1_3gpuE6ELNS1_3repE0EEENS1_30default_config_static_selectorELNS0_4arch9wavefront6targetE1EEEvT1_
    .private_segment_fixed_size: 0
    .sgpr_count:     6
    .sgpr_spill_count: 0
    .symbol:         _ZN7rocprim17ROCPRIM_400000_NS6detail17trampoline_kernelINS0_14default_configENS1_25partition_config_selectorILNS1_17partition_subalgoE3EiNS0_10empty_typeEbEEZZNS1_14partition_implILS5_3ELb0ES3_jN6thrust23THRUST_200600_302600_NS6detail15normal_iteratorINSA_7pointerIiNSA_11hip_rocprim3tagENSA_11use_defaultESG_EEEEPS6_SJ_NS0_5tupleIJPiSJ_EEENSK_IJSJ_SJ_EEES6_PlJ7is_evenIiEEEE10hipError_tPvRmT3_T4_T5_T6_T7_T9_mT8_P12ihipStream_tbDpT10_ENKUlT_T0_E_clISt17integral_constantIbLb0EES1A_EEDaS15_S16_EUlS15_E_NS1_11comp_targetILNS1_3genE2ELNS1_11target_archE906ELNS1_3gpuE6ELNS1_3repE0EEENS1_30default_config_static_selectorELNS0_4arch9wavefront6targetE1EEEvT1_.kd
    .uniform_work_group_size: 1
    .uses_dynamic_stack: false
    .vgpr_count:     0
    .vgpr_spill_count: 0
    .wavefront_size: 64
  - .agpr_count:     0
    .args:
      - .offset:         0
        .size:           120
        .value_kind:     by_value
    .group_segment_fixed_size: 0
    .kernarg_segment_align: 8
    .kernarg_segment_size: 120
    .language:       OpenCL C
    .language_version:
      - 2
      - 0
    .max_flat_workgroup_size: 384
    .name:           _ZN7rocprim17ROCPRIM_400000_NS6detail17trampoline_kernelINS0_14default_configENS1_25partition_config_selectorILNS1_17partition_subalgoE3EiNS0_10empty_typeEbEEZZNS1_14partition_implILS5_3ELb0ES3_jN6thrust23THRUST_200600_302600_NS6detail15normal_iteratorINSA_7pointerIiNSA_11hip_rocprim3tagENSA_11use_defaultESG_EEEEPS6_SJ_NS0_5tupleIJPiSJ_EEENSK_IJSJ_SJ_EEES6_PlJ7is_evenIiEEEE10hipError_tPvRmT3_T4_T5_T6_T7_T9_mT8_P12ihipStream_tbDpT10_ENKUlT_T0_E_clISt17integral_constantIbLb0EES1A_EEDaS15_S16_EUlS15_E_NS1_11comp_targetILNS1_3genE10ELNS1_11target_archE1200ELNS1_3gpuE4ELNS1_3repE0EEENS1_30default_config_static_selectorELNS0_4arch9wavefront6targetE1EEEvT1_
    .private_segment_fixed_size: 0
    .sgpr_count:     6
    .sgpr_spill_count: 0
    .symbol:         _ZN7rocprim17ROCPRIM_400000_NS6detail17trampoline_kernelINS0_14default_configENS1_25partition_config_selectorILNS1_17partition_subalgoE3EiNS0_10empty_typeEbEEZZNS1_14partition_implILS5_3ELb0ES3_jN6thrust23THRUST_200600_302600_NS6detail15normal_iteratorINSA_7pointerIiNSA_11hip_rocprim3tagENSA_11use_defaultESG_EEEEPS6_SJ_NS0_5tupleIJPiSJ_EEENSK_IJSJ_SJ_EEES6_PlJ7is_evenIiEEEE10hipError_tPvRmT3_T4_T5_T6_T7_T9_mT8_P12ihipStream_tbDpT10_ENKUlT_T0_E_clISt17integral_constantIbLb0EES1A_EEDaS15_S16_EUlS15_E_NS1_11comp_targetILNS1_3genE10ELNS1_11target_archE1200ELNS1_3gpuE4ELNS1_3repE0EEENS1_30default_config_static_selectorELNS0_4arch9wavefront6targetE1EEEvT1_.kd
    .uniform_work_group_size: 1
    .uses_dynamic_stack: false
    .vgpr_count:     0
    .vgpr_spill_count: 0
    .wavefront_size: 64
  - .agpr_count:     0
    .args:
      - .offset:         0
        .size:           120
        .value_kind:     by_value
    .group_segment_fixed_size: 0
    .kernarg_segment_align: 8
    .kernarg_segment_size: 120
    .language:       OpenCL C
    .language_version:
      - 2
      - 0
    .max_flat_workgroup_size: 384
    .name:           _ZN7rocprim17ROCPRIM_400000_NS6detail17trampoline_kernelINS0_14default_configENS1_25partition_config_selectorILNS1_17partition_subalgoE3EiNS0_10empty_typeEbEEZZNS1_14partition_implILS5_3ELb0ES3_jN6thrust23THRUST_200600_302600_NS6detail15normal_iteratorINSA_7pointerIiNSA_11hip_rocprim3tagENSA_11use_defaultESG_EEEEPS6_SJ_NS0_5tupleIJPiSJ_EEENSK_IJSJ_SJ_EEES6_PlJ7is_evenIiEEEE10hipError_tPvRmT3_T4_T5_T6_T7_T9_mT8_P12ihipStream_tbDpT10_ENKUlT_T0_E_clISt17integral_constantIbLb0EES1A_EEDaS15_S16_EUlS15_E_NS1_11comp_targetILNS1_3genE9ELNS1_11target_archE1100ELNS1_3gpuE3ELNS1_3repE0EEENS1_30default_config_static_selectorELNS0_4arch9wavefront6targetE1EEEvT1_
    .private_segment_fixed_size: 0
    .sgpr_count:     6
    .sgpr_spill_count: 0
    .symbol:         _ZN7rocprim17ROCPRIM_400000_NS6detail17trampoline_kernelINS0_14default_configENS1_25partition_config_selectorILNS1_17partition_subalgoE3EiNS0_10empty_typeEbEEZZNS1_14partition_implILS5_3ELb0ES3_jN6thrust23THRUST_200600_302600_NS6detail15normal_iteratorINSA_7pointerIiNSA_11hip_rocprim3tagENSA_11use_defaultESG_EEEEPS6_SJ_NS0_5tupleIJPiSJ_EEENSK_IJSJ_SJ_EEES6_PlJ7is_evenIiEEEE10hipError_tPvRmT3_T4_T5_T6_T7_T9_mT8_P12ihipStream_tbDpT10_ENKUlT_T0_E_clISt17integral_constantIbLb0EES1A_EEDaS15_S16_EUlS15_E_NS1_11comp_targetILNS1_3genE9ELNS1_11target_archE1100ELNS1_3gpuE3ELNS1_3repE0EEENS1_30default_config_static_selectorELNS0_4arch9wavefront6targetE1EEEvT1_.kd
    .uniform_work_group_size: 1
    .uses_dynamic_stack: false
    .vgpr_count:     0
    .vgpr_spill_count: 0
    .wavefront_size: 64
  - .agpr_count:     0
    .args:
      - .offset:         0
        .size:           120
        .value_kind:     by_value
    .group_segment_fixed_size: 0
    .kernarg_segment_align: 8
    .kernarg_segment_size: 120
    .language:       OpenCL C
    .language_version:
      - 2
      - 0
    .max_flat_workgroup_size: 512
    .name:           _ZN7rocprim17ROCPRIM_400000_NS6detail17trampoline_kernelINS0_14default_configENS1_25partition_config_selectorILNS1_17partition_subalgoE3EiNS0_10empty_typeEbEEZZNS1_14partition_implILS5_3ELb0ES3_jN6thrust23THRUST_200600_302600_NS6detail15normal_iteratorINSA_7pointerIiNSA_11hip_rocprim3tagENSA_11use_defaultESG_EEEEPS6_SJ_NS0_5tupleIJPiSJ_EEENSK_IJSJ_SJ_EEES6_PlJ7is_evenIiEEEE10hipError_tPvRmT3_T4_T5_T6_T7_T9_mT8_P12ihipStream_tbDpT10_ENKUlT_T0_E_clISt17integral_constantIbLb0EES1A_EEDaS15_S16_EUlS15_E_NS1_11comp_targetILNS1_3genE8ELNS1_11target_archE1030ELNS1_3gpuE2ELNS1_3repE0EEENS1_30default_config_static_selectorELNS0_4arch9wavefront6targetE1EEEvT1_
    .private_segment_fixed_size: 0
    .sgpr_count:     6
    .sgpr_spill_count: 0
    .symbol:         _ZN7rocprim17ROCPRIM_400000_NS6detail17trampoline_kernelINS0_14default_configENS1_25partition_config_selectorILNS1_17partition_subalgoE3EiNS0_10empty_typeEbEEZZNS1_14partition_implILS5_3ELb0ES3_jN6thrust23THRUST_200600_302600_NS6detail15normal_iteratorINSA_7pointerIiNSA_11hip_rocprim3tagENSA_11use_defaultESG_EEEEPS6_SJ_NS0_5tupleIJPiSJ_EEENSK_IJSJ_SJ_EEES6_PlJ7is_evenIiEEEE10hipError_tPvRmT3_T4_T5_T6_T7_T9_mT8_P12ihipStream_tbDpT10_ENKUlT_T0_E_clISt17integral_constantIbLb0EES1A_EEDaS15_S16_EUlS15_E_NS1_11comp_targetILNS1_3genE8ELNS1_11target_archE1030ELNS1_3gpuE2ELNS1_3repE0EEENS1_30default_config_static_selectorELNS0_4arch9wavefront6targetE1EEEvT1_.kd
    .uniform_work_group_size: 1
    .uses_dynamic_stack: false
    .vgpr_count:     0
    .vgpr_spill_count: 0
    .wavefront_size: 64
  - .agpr_count:     0
    .args:
      - .offset:         0
        .size:           136
        .value_kind:     by_value
    .group_segment_fixed_size: 0
    .kernarg_segment_align: 8
    .kernarg_segment_size: 136
    .language:       OpenCL C
    .language_version:
      - 2
      - 0
    .max_flat_workgroup_size: 256
    .name:           _ZN7rocprim17ROCPRIM_400000_NS6detail17trampoline_kernelINS0_14default_configENS1_25partition_config_selectorILNS1_17partition_subalgoE3EiNS0_10empty_typeEbEEZZNS1_14partition_implILS5_3ELb0ES3_jN6thrust23THRUST_200600_302600_NS6detail15normal_iteratorINSA_7pointerIiNSA_11hip_rocprim3tagENSA_11use_defaultESG_EEEEPS6_SJ_NS0_5tupleIJPiSJ_EEENSK_IJSJ_SJ_EEES6_PlJ7is_evenIiEEEE10hipError_tPvRmT3_T4_T5_T6_T7_T9_mT8_P12ihipStream_tbDpT10_ENKUlT_T0_E_clISt17integral_constantIbLb1EES1A_EEDaS15_S16_EUlS15_E_NS1_11comp_targetILNS1_3genE0ELNS1_11target_archE4294967295ELNS1_3gpuE0ELNS1_3repE0EEENS1_30default_config_static_selectorELNS0_4arch9wavefront6targetE1EEEvT1_
    .private_segment_fixed_size: 0
    .sgpr_count:     6
    .sgpr_spill_count: 0
    .symbol:         _ZN7rocprim17ROCPRIM_400000_NS6detail17trampoline_kernelINS0_14default_configENS1_25partition_config_selectorILNS1_17partition_subalgoE3EiNS0_10empty_typeEbEEZZNS1_14partition_implILS5_3ELb0ES3_jN6thrust23THRUST_200600_302600_NS6detail15normal_iteratorINSA_7pointerIiNSA_11hip_rocprim3tagENSA_11use_defaultESG_EEEEPS6_SJ_NS0_5tupleIJPiSJ_EEENSK_IJSJ_SJ_EEES6_PlJ7is_evenIiEEEE10hipError_tPvRmT3_T4_T5_T6_T7_T9_mT8_P12ihipStream_tbDpT10_ENKUlT_T0_E_clISt17integral_constantIbLb1EES1A_EEDaS15_S16_EUlS15_E_NS1_11comp_targetILNS1_3genE0ELNS1_11target_archE4294967295ELNS1_3gpuE0ELNS1_3repE0EEENS1_30default_config_static_selectorELNS0_4arch9wavefront6targetE1EEEvT1_.kd
    .uniform_work_group_size: 1
    .uses_dynamic_stack: false
    .vgpr_count:     0
    .vgpr_spill_count: 0
    .wavefront_size: 64
  - .agpr_count:     0
    .args:
      - .offset:         0
        .size:           136
        .value_kind:     by_value
    .group_segment_fixed_size: 30728
    .kernarg_segment_align: 8
    .kernarg_segment_size: 136
    .language:       OpenCL C
    .language_version:
      - 2
      - 0
    .max_flat_workgroup_size: 512
    .name:           _ZN7rocprim17ROCPRIM_400000_NS6detail17trampoline_kernelINS0_14default_configENS1_25partition_config_selectorILNS1_17partition_subalgoE3EiNS0_10empty_typeEbEEZZNS1_14partition_implILS5_3ELb0ES3_jN6thrust23THRUST_200600_302600_NS6detail15normal_iteratorINSA_7pointerIiNSA_11hip_rocprim3tagENSA_11use_defaultESG_EEEEPS6_SJ_NS0_5tupleIJPiSJ_EEENSK_IJSJ_SJ_EEES6_PlJ7is_evenIiEEEE10hipError_tPvRmT3_T4_T5_T6_T7_T9_mT8_P12ihipStream_tbDpT10_ENKUlT_T0_E_clISt17integral_constantIbLb1EES1A_EEDaS15_S16_EUlS15_E_NS1_11comp_targetILNS1_3genE5ELNS1_11target_archE942ELNS1_3gpuE9ELNS1_3repE0EEENS1_30default_config_static_selectorELNS0_4arch9wavefront6targetE1EEEvT1_
    .private_segment_fixed_size: 0
    .sgpr_count:     50
    .sgpr_spill_count: 0
    .symbol:         _ZN7rocprim17ROCPRIM_400000_NS6detail17trampoline_kernelINS0_14default_configENS1_25partition_config_selectorILNS1_17partition_subalgoE3EiNS0_10empty_typeEbEEZZNS1_14partition_implILS5_3ELb0ES3_jN6thrust23THRUST_200600_302600_NS6detail15normal_iteratorINSA_7pointerIiNSA_11hip_rocprim3tagENSA_11use_defaultESG_EEEEPS6_SJ_NS0_5tupleIJPiSJ_EEENSK_IJSJ_SJ_EEES6_PlJ7is_evenIiEEEE10hipError_tPvRmT3_T4_T5_T6_T7_T9_mT8_P12ihipStream_tbDpT10_ENKUlT_T0_E_clISt17integral_constantIbLb1EES1A_EEDaS15_S16_EUlS15_E_NS1_11comp_targetILNS1_3genE5ELNS1_11target_archE942ELNS1_3gpuE9ELNS1_3repE0EEENS1_30default_config_static_selectorELNS0_4arch9wavefront6targetE1EEEvT1_.kd
    .uniform_work_group_size: 1
    .uses_dynamic_stack: false
    .vgpr_count:     80
    .vgpr_spill_count: 0
    .wavefront_size: 64
  - .agpr_count:     0
    .args:
      - .offset:         0
        .size:           136
        .value_kind:     by_value
    .group_segment_fixed_size: 0
    .kernarg_segment_align: 8
    .kernarg_segment_size: 136
    .language:       OpenCL C
    .language_version:
      - 2
      - 0
    .max_flat_workgroup_size: 256
    .name:           _ZN7rocprim17ROCPRIM_400000_NS6detail17trampoline_kernelINS0_14default_configENS1_25partition_config_selectorILNS1_17partition_subalgoE3EiNS0_10empty_typeEbEEZZNS1_14partition_implILS5_3ELb0ES3_jN6thrust23THRUST_200600_302600_NS6detail15normal_iteratorINSA_7pointerIiNSA_11hip_rocprim3tagENSA_11use_defaultESG_EEEEPS6_SJ_NS0_5tupleIJPiSJ_EEENSK_IJSJ_SJ_EEES6_PlJ7is_evenIiEEEE10hipError_tPvRmT3_T4_T5_T6_T7_T9_mT8_P12ihipStream_tbDpT10_ENKUlT_T0_E_clISt17integral_constantIbLb1EES1A_EEDaS15_S16_EUlS15_E_NS1_11comp_targetILNS1_3genE4ELNS1_11target_archE910ELNS1_3gpuE8ELNS1_3repE0EEENS1_30default_config_static_selectorELNS0_4arch9wavefront6targetE1EEEvT1_
    .private_segment_fixed_size: 0
    .sgpr_count:     6
    .sgpr_spill_count: 0
    .symbol:         _ZN7rocprim17ROCPRIM_400000_NS6detail17trampoline_kernelINS0_14default_configENS1_25partition_config_selectorILNS1_17partition_subalgoE3EiNS0_10empty_typeEbEEZZNS1_14partition_implILS5_3ELb0ES3_jN6thrust23THRUST_200600_302600_NS6detail15normal_iteratorINSA_7pointerIiNSA_11hip_rocprim3tagENSA_11use_defaultESG_EEEEPS6_SJ_NS0_5tupleIJPiSJ_EEENSK_IJSJ_SJ_EEES6_PlJ7is_evenIiEEEE10hipError_tPvRmT3_T4_T5_T6_T7_T9_mT8_P12ihipStream_tbDpT10_ENKUlT_T0_E_clISt17integral_constantIbLb1EES1A_EEDaS15_S16_EUlS15_E_NS1_11comp_targetILNS1_3genE4ELNS1_11target_archE910ELNS1_3gpuE8ELNS1_3repE0EEENS1_30default_config_static_selectorELNS0_4arch9wavefront6targetE1EEEvT1_.kd
    .uniform_work_group_size: 1
    .uses_dynamic_stack: false
    .vgpr_count:     0
    .vgpr_spill_count: 0
    .wavefront_size: 64
  - .agpr_count:     0
    .args:
      - .offset:         0
        .size:           136
        .value_kind:     by_value
    .group_segment_fixed_size: 0
    .kernarg_segment_align: 8
    .kernarg_segment_size: 136
    .language:       OpenCL C
    .language_version:
      - 2
      - 0
    .max_flat_workgroup_size: 256
    .name:           _ZN7rocprim17ROCPRIM_400000_NS6detail17trampoline_kernelINS0_14default_configENS1_25partition_config_selectorILNS1_17partition_subalgoE3EiNS0_10empty_typeEbEEZZNS1_14partition_implILS5_3ELb0ES3_jN6thrust23THRUST_200600_302600_NS6detail15normal_iteratorINSA_7pointerIiNSA_11hip_rocprim3tagENSA_11use_defaultESG_EEEEPS6_SJ_NS0_5tupleIJPiSJ_EEENSK_IJSJ_SJ_EEES6_PlJ7is_evenIiEEEE10hipError_tPvRmT3_T4_T5_T6_T7_T9_mT8_P12ihipStream_tbDpT10_ENKUlT_T0_E_clISt17integral_constantIbLb1EES1A_EEDaS15_S16_EUlS15_E_NS1_11comp_targetILNS1_3genE3ELNS1_11target_archE908ELNS1_3gpuE7ELNS1_3repE0EEENS1_30default_config_static_selectorELNS0_4arch9wavefront6targetE1EEEvT1_
    .private_segment_fixed_size: 0
    .sgpr_count:     6
    .sgpr_spill_count: 0
    .symbol:         _ZN7rocprim17ROCPRIM_400000_NS6detail17trampoline_kernelINS0_14default_configENS1_25partition_config_selectorILNS1_17partition_subalgoE3EiNS0_10empty_typeEbEEZZNS1_14partition_implILS5_3ELb0ES3_jN6thrust23THRUST_200600_302600_NS6detail15normal_iteratorINSA_7pointerIiNSA_11hip_rocprim3tagENSA_11use_defaultESG_EEEEPS6_SJ_NS0_5tupleIJPiSJ_EEENSK_IJSJ_SJ_EEES6_PlJ7is_evenIiEEEE10hipError_tPvRmT3_T4_T5_T6_T7_T9_mT8_P12ihipStream_tbDpT10_ENKUlT_T0_E_clISt17integral_constantIbLb1EES1A_EEDaS15_S16_EUlS15_E_NS1_11comp_targetILNS1_3genE3ELNS1_11target_archE908ELNS1_3gpuE7ELNS1_3repE0EEENS1_30default_config_static_selectorELNS0_4arch9wavefront6targetE1EEEvT1_.kd
    .uniform_work_group_size: 1
    .uses_dynamic_stack: false
    .vgpr_count:     0
    .vgpr_spill_count: 0
    .wavefront_size: 64
  - .agpr_count:     0
    .args:
      - .offset:         0
        .size:           136
        .value_kind:     by_value
    .group_segment_fixed_size: 0
    .kernarg_segment_align: 8
    .kernarg_segment_size: 136
    .language:       OpenCL C
    .language_version:
      - 2
      - 0
    .max_flat_workgroup_size: 192
    .name:           _ZN7rocprim17ROCPRIM_400000_NS6detail17trampoline_kernelINS0_14default_configENS1_25partition_config_selectorILNS1_17partition_subalgoE3EiNS0_10empty_typeEbEEZZNS1_14partition_implILS5_3ELb0ES3_jN6thrust23THRUST_200600_302600_NS6detail15normal_iteratorINSA_7pointerIiNSA_11hip_rocprim3tagENSA_11use_defaultESG_EEEEPS6_SJ_NS0_5tupleIJPiSJ_EEENSK_IJSJ_SJ_EEES6_PlJ7is_evenIiEEEE10hipError_tPvRmT3_T4_T5_T6_T7_T9_mT8_P12ihipStream_tbDpT10_ENKUlT_T0_E_clISt17integral_constantIbLb1EES1A_EEDaS15_S16_EUlS15_E_NS1_11comp_targetILNS1_3genE2ELNS1_11target_archE906ELNS1_3gpuE6ELNS1_3repE0EEENS1_30default_config_static_selectorELNS0_4arch9wavefront6targetE1EEEvT1_
    .private_segment_fixed_size: 0
    .sgpr_count:     6
    .sgpr_spill_count: 0
    .symbol:         _ZN7rocprim17ROCPRIM_400000_NS6detail17trampoline_kernelINS0_14default_configENS1_25partition_config_selectorILNS1_17partition_subalgoE3EiNS0_10empty_typeEbEEZZNS1_14partition_implILS5_3ELb0ES3_jN6thrust23THRUST_200600_302600_NS6detail15normal_iteratorINSA_7pointerIiNSA_11hip_rocprim3tagENSA_11use_defaultESG_EEEEPS6_SJ_NS0_5tupleIJPiSJ_EEENSK_IJSJ_SJ_EEES6_PlJ7is_evenIiEEEE10hipError_tPvRmT3_T4_T5_T6_T7_T9_mT8_P12ihipStream_tbDpT10_ENKUlT_T0_E_clISt17integral_constantIbLb1EES1A_EEDaS15_S16_EUlS15_E_NS1_11comp_targetILNS1_3genE2ELNS1_11target_archE906ELNS1_3gpuE6ELNS1_3repE0EEENS1_30default_config_static_selectorELNS0_4arch9wavefront6targetE1EEEvT1_.kd
    .uniform_work_group_size: 1
    .uses_dynamic_stack: false
    .vgpr_count:     0
    .vgpr_spill_count: 0
    .wavefront_size: 64
  - .agpr_count:     0
    .args:
      - .offset:         0
        .size:           136
        .value_kind:     by_value
    .group_segment_fixed_size: 0
    .kernarg_segment_align: 8
    .kernarg_segment_size: 136
    .language:       OpenCL C
    .language_version:
      - 2
      - 0
    .max_flat_workgroup_size: 384
    .name:           _ZN7rocprim17ROCPRIM_400000_NS6detail17trampoline_kernelINS0_14default_configENS1_25partition_config_selectorILNS1_17partition_subalgoE3EiNS0_10empty_typeEbEEZZNS1_14partition_implILS5_3ELb0ES3_jN6thrust23THRUST_200600_302600_NS6detail15normal_iteratorINSA_7pointerIiNSA_11hip_rocprim3tagENSA_11use_defaultESG_EEEEPS6_SJ_NS0_5tupleIJPiSJ_EEENSK_IJSJ_SJ_EEES6_PlJ7is_evenIiEEEE10hipError_tPvRmT3_T4_T5_T6_T7_T9_mT8_P12ihipStream_tbDpT10_ENKUlT_T0_E_clISt17integral_constantIbLb1EES1A_EEDaS15_S16_EUlS15_E_NS1_11comp_targetILNS1_3genE10ELNS1_11target_archE1200ELNS1_3gpuE4ELNS1_3repE0EEENS1_30default_config_static_selectorELNS0_4arch9wavefront6targetE1EEEvT1_
    .private_segment_fixed_size: 0
    .sgpr_count:     6
    .sgpr_spill_count: 0
    .symbol:         _ZN7rocprim17ROCPRIM_400000_NS6detail17trampoline_kernelINS0_14default_configENS1_25partition_config_selectorILNS1_17partition_subalgoE3EiNS0_10empty_typeEbEEZZNS1_14partition_implILS5_3ELb0ES3_jN6thrust23THRUST_200600_302600_NS6detail15normal_iteratorINSA_7pointerIiNSA_11hip_rocprim3tagENSA_11use_defaultESG_EEEEPS6_SJ_NS0_5tupleIJPiSJ_EEENSK_IJSJ_SJ_EEES6_PlJ7is_evenIiEEEE10hipError_tPvRmT3_T4_T5_T6_T7_T9_mT8_P12ihipStream_tbDpT10_ENKUlT_T0_E_clISt17integral_constantIbLb1EES1A_EEDaS15_S16_EUlS15_E_NS1_11comp_targetILNS1_3genE10ELNS1_11target_archE1200ELNS1_3gpuE4ELNS1_3repE0EEENS1_30default_config_static_selectorELNS0_4arch9wavefront6targetE1EEEvT1_.kd
    .uniform_work_group_size: 1
    .uses_dynamic_stack: false
    .vgpr_count:     0
    .vgpr_spill_count: 0
    .wavefront_size: 64
  - .agpr_count:     0
    .args:
      - .offset:         0
        .size:           136
        .value_kind:     by_value
    .group_segment_fixed_size: 0
    .kernarg_segment_align: 8
    .kernarg_segment_size: 136
    .language:       OpenCL C
    .language_version:
      - 2
      - 0
    .max_flat_workgroup_size: 384
    .name:           _ZN7rocprim17ROCPRIM_400000_NS6detail17trampoline_kernelINS0_14default_configENS1_25partition_config_selectorILNS1_17partition_subalgoE3EiNS0_10empty_typeEbEEZZNS1_14partition_implILS5_3ELb0ES3_jN6thrust23THRUST_200600_302600_NS6detail15normal_iteratorINSA_7pointerIiNSA_11hip_rocprim3tagENSA_11use_defaultESG_EEEEPS6_SJ_NS0_5tupleIJPiSJ_EEENSK_IJSJ_SJ_EEES6_PlJ7is_evenIiEEEE10hipError_tPvRmT3_T4_T5_T6_T7_T9_mT8_P12ihipStream_tbDpT10_ENKUlT_T0_E_clISt17integral_constantIbLb1EES1A_EEDaS15_S16_EUlS15_E_NS1_11comp_targetILNS1_3genE9ELNS1_11target_archE1100ELNS1_3gpuE3ELNS1_3repE0EEENS1_30default_config_static_selectorELNS0_4arch9wavefront6targetE1EEEvT1_
    .private_segment_fixed_size: 0
    .sgpr_count:     6
    .sgpr_spill_count: 0
    .symbol:         _ZN7rocprim17ROCPRIM_400000_NS6detail17trampoline_kernelINS0_14default_configENS1_25partition_config_selectorILNS1_17partition_subalgoE3EiNS0_10empty_typeEbEEZZNS1_14partition_implILS5_3ELb0ES3_jN6thrust23THRUST_200600_302600_NS6detail15normal_iteratorINSA_7pointerIiNSA_11hip_rocprim3tagENSA_11use_defaultESG_EEEEPS6_SJ_NS0_5tupleIJPiSJ_EEENSK_IJSJ_SJ_EEES6_PlJ7is_evenIiEEEE10hipError_tPvRmT3_T4_T5_T6_T7_T9_mT8_P12ihipStream_tbDpT10_ENKUlT_T0_E_clISt17integral_constantIbLb1EES1A_EEDaS15_S16_EUlS15_E_NS1_11comp_targetILNS1_3genE9ELNS1_11target_archE1100ELNS1_3gpuE3ELNS1_3repE0EEENS1_30default_config_static_selectorELNS0_4arch9wavefront6targetE1EEEvT1_.kd
    .uniform_work_group_size: 1
    .uses_dynamic_stack: false
    .vgpr_count:     0
    .vgpr_spill_count: 0
    .wavefront_size: 64
  - .agpr_count:     0
    .args:
      - .offset:         0
        .size:           136
        .value_kind:     by_value
    .group_segment_fixed_size: 0
    .kernarg_segment_align: 8
    .kernarg_segment_size: 136
    .language:       OpenCL C
    .language_version:
      - 2
      - 0
    .max_flat_workgroup_size: 512
    .name:           _ZN7rocprim17ROCPRIM_400000_NS6detail17trampoline_kernelINS0_14default_configENS1_25partition_config_selectorILNS1_17partition_subalgoE3EiNS0_10empty_typeEbEEZZNS1_14partition_implILS5_3ELb0ES3_jN6thrust23THRUST_200600_302600_NS6detail15normal_iteratorINSA_7pointerIiNSA_11hip_rocprim3tagENSA_11use_defaultESG_EEEEPS6_SJ_NS0_5tupleIJPiSJ_EEENSK_IJSJ_SJ_EEES6_PlJ7is_evenIiEEEE10hipError_tPvRmT3_T4_T5_T6_T7_T9_mT8_P12ihipStream_tbDpT10_ENKUlT_T0_E_clISt17integral_constantIbLb1EES1A_EEDaS15_S16_EUlS15_E_NS1_11comp_targetILNS1_3genE8ELNS1_11target_archE1030ELNS1_3gpuE2ELNS1_3repE0EEENS1_30default_config_static_selectorELNS0_4arch9wavefront6targetE1EEEvT1_
    .private_segment_fixed_size: 0
    .sgpr_count:     6
    .sgpr_spill_count: 0
    .symbol:         _ZN7rocprim17ROCPRIM_400000_NS6detail17trampoline_kernelINS0_14default_configENS1_25partition_config_selectorILNS1_17partition_subalgoE3EiNS0_10empty_typeEbEEZZNS1_14partition_implILS5_3ELb0ES3_jN6thrust23THRUST_200600_302600_NS6detail15normal_iteratorINSA_7pointerIiNSA_11hip_rocprim3tagENSA_11use_defaultESG_EEEEPS6_SJ_NS0_5tupleIJPiSJ_EEENSK_IJSJ_SJ_EEES6_PlJ7is_evenIiEEEE10hipError_tPvRmT3_T4_T5_T6_T7_T9_mT8_P12ihipStream_tbDpT10_ENKUlT_T0_E_clISt17integral_constantIbLb1EES1A_EEDaS15_S16_EUlS15_E_NS1_11comp_targetILNS1_3genE8ELNS1_11target_archE1030ELNS1_3gpuE2ELNS1_3repE0EEENS1_30default_config_static_selectorELNS0_4arch9wavefront6targetE1EEEvT1_.kd
    .uniform_work_group_size: 1
    .uses_dynamic_stack: false
    .vgpr_count:     0
    .vgpr_spill_count: 0
    .wavefront_size: 64
  - .agpr_count:     0
    .args:
      - .offset:         0
        .size:           120
        .value_kind:     by_value
    .group_segment_fixed_size: 0
    .kernarg_segment_align: 8
    .kernarg_segment_size: 120
    .language:       OpenCL C
    .language_version:
      - 2
      - 0
    .max_flat_workgroup_size: 256
    .name:           _ZN7rocprim17ROCPRIM_400000_NS6detail17trampoline_kernelINS0_14default_configENS1_25partition_config_selectorILNS1_17partition_subalgoE3EiNS0_10empty_typeEbEEZZNS1_14partition_implILS5_3ELb0ES3_jN6thrust23THRUST_200600_302600_NS6detail15normal_iteratorINSA_7pointerIiNSA_11hip_rocprim3tagENSA_11use_defaultESG_EEEEPS6_SJ_NS0_5tupleIJPiSJ_EEENSK_IJSJ_SJ_EEES6_PlJ7is_evenIiEEEE10hipError_tPvRmT3_T4_T5_T6_T7_T9_mT8_P12ihipStream_tbDpT10_ENKUlT_T0_E_clISt17integral_constantIbLb1EES19_IbLb0EEEEDaS15_S16_EUlS15_E_NS1_11comp_targetILNS1_3genE0ELNS1_11target_archE4294967295ELNS1_3gpuE0ELNS1_3repE0EEENS1_30default_config_static_selectorELNS0_4arch9wavefront6targetE1EEEvT1_
    .private_segment_fixed_size: 0
    .sgpr_count:     6
    .sgpr_spill_count: 0
    .symbol:         _ZN7rocprim17ROCPRIM_400000_NS6detail17trampoline_kernelINS0_14default_configENS1_25partition_config_selectorILNS1_17partition_subalgoE3EiNS0_10empty_typeEbEEZZNS1_14partition_implILS5_3ELb0ES3_jN6thrust23THRUST_200600_302600_NS6detail15normal_iteratorINSA_7pointerIiNSA_11hip_rocprim3tagENSA_11use_defaultESG_EEEEPS6_SJ_NS0_5tupleIJPiSJ_EEENSK_IJSJ_SJ_EEES6_PlJ7is_evenIiEEEE10hipError_tPvRmT3_T4_T5_T6_T7_T9_mT8_P12ihipStream_tbDpT10_ENKUlT_T0_E_clISt17integral_constantIbLb1EES19_IbLb0EEEEDaS15_S16_EUlS15_E_NS1_11comp_targetILNS1_3genE0ELNS1_11target_archE4294967295ELNS1_3gpuE0ELNS1_3repE0EEENS1_30default_config_static_selectorELNS0_4arch9wavefront6targetE1EEEvT1_.kd
    .uniform_work_group_size: 1
    .uses_dynamic_stack: false
    .vgpr_count:     0
    .vgpr_spill_count: 0
    .wavefront_size: 64
  - .agpr_count:     0
    .args:
      - .offset:         0
        .size:           120
        .value_kind:     by_value
    .group_segment_fixed_size: 30728
    .kernarg_segment_align: 8
    .kernarg_segment_size: 120
    .language:       OpenCL C
    .language_version:
      - 2
      - 0
    .max_flat_workgroup_size: 512
    .name:           _ZN7rocprim17ROCPRIM_400000_NS6detail17trampoline_kernelINS0_14default_configENS1_25partition_config_selectorILNS1_17partition_subalgoE3EiNS0_10empty_typeEbEEZZNS1_14partition_implILS5_3ELb0ES3_jN6thrust23THRUST_200600_302600_NS6detail15normal_iteratorINSA_7pointerIiNSA_11hip_rocprim3tagENSA_11use_defaultESG_EEEEPS6_SJ_NS0_5tupleIJPiSJ_EEENSK_IJSJ_SJ_EEES6_PlJ7is_evenIiEEEE10hipError_tPvRmT3_T4_T5_T6_T7_T9_mT8_P12ihipStream_tbDpT10_ENKUlT_T0_E_clISt17integral_constantIbLb1EES19_IbLb0EEEEDaS15_S16_EUlS15_E_NS1_11comp_targetILNS1_3genE5ELNS1_11target_archE942ELNS1_3gpuE9ELNS1_3repE0EEENS1_30default_config_static_selectorELNS0_4arch9wavefront6targetE1EEEvT1_
    .private_segment_fixed_size: 0
    .sgpr_count:     52
    .sgpr_spill_count: 0
    .symbol:         _ZN7rocprim17ROCPRIM_400000_NS6detail17trampoline_kernelINS0_14default_configENS1_25partition_config_selectorILNS1_17partition_subalgoE3EiNS0_10empty_typeEbEEZZNS1_14partition_implILS5_3ELb0ES3_jN6thrust23THRUST_200600_302600_NS6detail15normal_iteratorINSA_7pointerIiNSA_11hip_rocprim3tagENSA_11use_defaultESG_EEEEPS6_SJ_NS0_5tupleIJPiSJ_EEENSK_IJSJ_SJ_EEES6_PlJ7is_evenIiEEEE10hipError_tPvRmT3_T4_T5_T6_T7_T9_mT8_P12ihipStream_tbDpT10_ENKUlT_T0_E_clISt17integral_constantIbLb1EES19_IbLb0EEEEDaS15_S16_EUlS15_E_NS1_11comp_targetILNS1_3genE5ELNS1_11target_archE942ELNS1_3gpuE9ELNS1_3repE0EEENS1_30default_config_static_selectorELNS0_4arch9wavefront6targetE1EEEvT1_.kd
    .uniform_work_group_size: 1
    .uses_dynamic_stack: false
    .vgpr_count:     76
    .vgpr_spill_count: 0
    .wavefront_size: 64
  - .agpr_count:     0
    .args:
      - .offset:         0
        .size:           120
        .value_kind:     by_value
    .group_segment_fixed_size: 0
    .kernarg_segment_align: 8
    .kernarg_segment_size: 120
    .language:       OpenCL C
    .language_version:
      - 2
      - 0
    .max_flat_workgroup_size: 256
    .name:           _ZN7rocprim17ROCPRIM_400000_NS6detail17trampoline_kernelINS0_14default_configENS1_25partition_config_selectorILNS1_17partition_subalgoE3EiNS0_10empty_typeEbEEZZNS1_14partition_implILS5_3ELb0ES3_jN6thrust23THRUST_200600_302600_NS6detail15normal_iteratorINSA_7pointerIiNSA_11hip_rocprim3tagENSA_11use_defaultESG_EEEEPS6_SJ_NS0_5tupleIJPiSJ_EEENSK_IJSJ_SJ_EEES6_PlJ7is_evenIiEEEE10hipError_tPvRmT3_T4_T5_T6_T7_T9_mT8_P12ihipStream_tbDpT10_ENKUlT_T0_E_clISt17integral_constantIbLb1EES19_IbLb0EEEEDaS15_S16_EUlS15_E_NS1_11comp_targetILNS1_3genE4ELNS1_11target_archE910ELNS1_3gpuE8ELNS1_3repE0EEENS1_30default_config_static_selectorELNS0_4arch9wavefront6targetE1EEEvT1_
    .private_segment_fixed_size: 0
    .sgpr_count:     6
    .sgpr_spill_count: 0
    .symbol:         _ZN7rocprim17ROCPRIM_400000_NS6detail17trampoline_kernelINS0_14default_configENS1_25partition_config_selectorILNS1_17partition_subalgoE3EiNS0_10empty_typeEbEEZZNS1_14partition_implILS5_3ELb0ES3_jN6thrust23THRUST_200600_302600_NS6detail15normal_iteratorINSA_7pointerIiNSA_11hip_rocprim3tagENSA_11use_defaultESG_EEEEPS6_SJ_NS0_5tupleIJPiSJ_EEENSK_IJSJ_SJ_EEES6_PlJ7is_evenIiEEEE10hipError_tPvRmT3_T4_T5_T6_T7_T9_mT8_P12ihipStream_tbDpT10_ENKUlT_T0_E_clISt17integral_constantIbLb1EES19_IbLb0EEEEDaS15_S16_EUlS15_E_NS1_11comp_targetILNS1_3genE4ELNS1_11target_archE910ELNS1_3gpuE8ELNS1_3repE0EEENS1_30default_config_static_selectorELNS0_4arch9wavefront6targetE1EEEvT1_.kd
    .uniform_work_group_size: 1
    .uses_dynamic_stack: false
    .vgpr_count:     0
    .vgpr_spill_count: 0
    .wavefront_size: 64
  - .agpr_count:     0
    .args:
      - .offset:         0
        .size:           120
        .value_kind:     by_value
    .group_segment_fixed_size: 0
    .kernarg_segment_align: 8
    .kernarg_segment_size: 120
    .language:       OpenCL C
    .language_version:
      - 2
      - 0
    .max_flat_workgroup_size: 256
    .name:           _ZN7rocprim17ROCPRIM_400000_NS6detail17trampoline_kernelINS0_14default_configENS1_25partition_config_selectorILNS1_17partition_subalgoE3EiNS0_10empty_typeEbEEZZNS1_14partition_implILS5_3ELb0ES3_jN6thrust23THRUST_200600_302600_NS6detail15normal_iteratorINSA_7pointerIiNSA_11hip_rocprim3tagENSA_11use_defaultESG_EEEEPS6_SJ_NS0_5tupleIJPiSJ_EEENSK_IJSJ_SJ_EEES6_PlJ7is_evenIiEEEE10hipError_tPvRmT3_T4_T5_T6_T7_T9_mT8_P12ihipStream_tbDpT10_ENKUlT_T0_E_clISt17integral_constantIbLb1EES19_IbLb0EEEEDaS15_S16_EUlS15_E_NS1_11comp_targetILNS1_3genE3ELNS1_11target_archE908ELNS1_3gpuE7ELNS1_3repE0EEENS1_30default_config_static_selectorELNS0_4arch9wavefront6targetE1EEEvT1_
    .private_segment_fixed_size: 0
    .sgpr_count:     6
    .sgpr_spill_count: 0
    .symbol:         _ZN7rocprim17ROCPRIM_400000_NS6detail17trampoline_kernelINS0_14default_configENS1_25partition_config_selectorILNS1_17partition_subalgoE3EiNS0_10empty_typeEbEEZZNS1_14partition_implILS5_3ELb0ES3_jN6thrust23THRUST_200600_302600_NS6detail15normal_iteratorINSA_7pointerIiNSA_11hip_rocprim3tagENSA_11use_defaultESG_EEEEPS6_SJ_NS0_5tupleIJPiSJ_EEENSK_IJSJ_SJ_EEES6_PlJ7is_evenIiEEEE10hipError_tPvRmT3_T4_T5_T6_T7_T9_mT8_P12ihipStream_tbDpT10_ENKUlT_T0_E_clISt17integral_constantIbLb1EES19_IbLb0EEEEDaS15_S16_EUlS15_E_NS1_11comp_targetILNS1_3genE3ELNS1_11target_archE908ELNS1_3gpuE7ELNS1_3repE0EEENS1_30default_config_static_selectorELNS0_4arch9wavefront6targetE1EEEvT1_.kd
    .uniform_work_group_size: 1
    .uses_dynamic_stack: false
    .vgpr_count:     0
    .vgpr_spill_count: 0
    .wavefront_size: 64
  - .agpr_count:     0
    .args:
      - .offset:         0
        .size:           120
        .value_kind:     by_value
    .group_segment_fixed_size: 0
    .kernarg_segment_align: 8
    .kernarg_segment_size: 120
    .language:       OpenCL C
    .language_version:
      - 2
      - 0
    .max_flat_workgroup_size: 192
    .name:           _ZN7rocprim17ROCPRIM_400000_NS6detail17trampoline_kernelINS0_14default_configENS1_25partition_config_selectorILNS1_17partition_subalgoE3EiNS0_10empty_typeEbEEZZNS1_14partition_implILS5_3ELb0ES3_jN6thrust23THRUST_200600_302600_NS6detail15normal_iteratorINSA_7pointerIiNSA_11hip_rocprim3tagENSA_11use_defaultESG_EEEEPS6_SJ_NS0_5tupleIJPiSJ_EEENSK_IJSJ_SJ_EEES6_PlJ7is_evenIiEEEE10hipError_tPvRmT3_T4_T5_T6_T7_T9_mT8_P12ihipStream_tbDpT10_ENKUlT_T0_E_clISt17integral_constantIbLb1EES19_IbLb0EEEEDaS15_S16_EUlS15_E_NS1_11comp_targetILNS1_3genE2ELNS1_11target_archE906ELNS1_3gpuE6ELNS1_3repE0EEENS1_30default_config_static_selectorELNS0_4arch9wavefront6targetE1EEEvT1_
    .private_segment_fixed_size: 0
    .sgpr_count:     6
    .sgpr_spill_count: 0
    .symbol:         _ZN7rocprim17ROCPRIM_400000_NS6detail17trampoline_kernelINS0_14default_configENS1_25partition_config_selectorILNS1_17partition_subalgoE3EiNS0_10empty_typeEbEEZZNS1_14partition_implILS5_3ELb0ES3_jN6thrust23THRUST_200600_302600_NS6detail15normal_iteratorINSA_7pointerIiNSA_11hip_rocprim3tagENSA_11use_defaultESG_EEEEPS6_SJ_NS0_5tupleIJPiSJ_EEENSK_IJSJ_SJ_EEES6_PlJ7is_evenIiEEEE10hipError_tPvRmT3_T4_T5_T6_T7_T9_mT8_P12ihipStream_tbDpT10_ENKUlT_T0_E_clISt17integral_constantIbLb1EES19_IbLb0EEEEDaS15_S16_EUlS15_E_NS1_11comp_targetILNS1_3genE2ELNS1_11target_archE906ELNS1_3gpuE6ELNS1_3repE0EEENS1_30default_config_static_selectorELNS0_4arch9wavefront6targetE1EEEvT1_.kd
    .uniform_work_group_size: 1
    .uses_dynamic_stack: false
    .vgpr_count:     0
    .vgpr_spill_count: 0
    .wavefront_size: 64
  - .agpr_count:     0
    .args:
      - .offset:         0
        .size:           120
        .value_kind:     by_value
    .group_segment_fixed_size: 0
    .kernarg_segment_align: 8
    .kernarg_segment_size: 120
    .language:       OpenCL C
    .language_version:
      - 2
      - 0
    .max_flat_workgroup_size: 384
    .name:           _ZN7rocprim17ROCPRIM_400000_NS6detail17trampoline_kernelINS0_14default_configENS1_25partition_config_selectorILNS1_17partition_subalgoE3EiNS0_10empty_typeEbEEZZNS1_14partition_implILS5_3ELb0ES3_jN6thrust23THRUST_200600_302600_NS6detail15normal_iteratorINSA_7pointerIiNSA_11hip_rocprim3tagENSA_11use_defaultESG_EEEEPS6_SJ_NS0_5tupleIJPiSJ_EEENSK_IJSJ_SJ_EEES6_PlJ7is_evenIiEEEE10hipError_tPvRmT3_T4_T5_T6_T7_T9_mT8_P12ihipStream_tbDpT10_ENKUlT_T0_E_clISt17integral_constantIbLb1EES19_IbLb0EEEEDaS15_S16_EUlS15_E_NS1_11comp_targetILNS1_3genE10ELNS1_11target_archE1200ELNS1_3gpuE4ELNS1_3repE0EEENS1_30default_config_static_selectorELNS0_4arch9wavefront6targetE1EEEvT1_
    .private_segment_fixed_size: 0
    .sgpr_count:     6
    .sgpr_spill_count: 0
    .symbol:         _ZN7rocprim17ROCPRIM_400000_NS6detail17trampoline_kernelINS0_14default_configENS1_25partition_config_selectorILNS1_17partition_subalgoE3EiNS0_10empty_typeEbEEZZNS1_14partition_implILS5_3ELb0ES3_jN6thrust23THRUST_200600_302600_NS6detail15normal_iteratorINSA_7pointerIiNSA_11hip_rocprim3tagENSA_11use_defaultESG_EEEEPS6_SJ_NS0_5tupleIJPiSJ_EEENSK_IJSJ_SJ_EEES6_PlJ7is_evenIiEEEE10hipError_tPvRmT3_T4_T5_T6_T7_T9_mT8_P12ihipStream_tbDpT10_ENKUlT_T0_E_clISt17integral_constantIbLb1EES19_IbLb0EEEEDaS15_S16_EUlS15_E_NS1_11comp_targetILNS1_3genE10ELNS1_11target_archE1200ELNS1_3gpuE4ELNS1_3repE0EEENS1_30default_config_static_selectorELNS0_4arch9wavefront6targetE1EEEvT1_.kd
    .uniform_work_group_size: 1
    .uses_dynamic_stack: false
    .vgpr_count:     0
    .vgpr_spill_count: 0
    .wavefront_size: 64
  - .agpr_count:     0
    .args:
      - .offset:         0
        .size:           120
        .value_kind:     by_value
    .group_segment_fixed_size: 0
    .kernarg_segment_align: 8
    .kernarg_segment_size: 120
    .language:       OpenCL C
    .language_version:
      - 2
      - 0
    .max_flat_workgroup_size: 384
    .name:           _ZN7rocprim17ROCPRIM_400000_NS6detail17trampoline_kernelINS0_14default_configENS1_25partition_config_selectorILNS1_17partition_subalgoE3EiNS0_10empty_typeEbEEZZNS1_14partition_implILS5_3ELb0ES3_jN6thrust23THRUST_200600_302600_NS6detail15normal_iteratorINSA_7pointerIiNSA_11hip_rocprim3tagENSA_11use_defaultESG_EEEEPS6_SJ_NS0_5tupleIJPiSJ_EEENSK_IJSJ_SJ_EEES6_PlJ7is_evenIiEEEE10hipError_tPvRmT3_T4_T5_T6_T7_T9_mT8_P12ihipStream_tbDpT10_ENKUlT_T0_E_clISt17integral_constantIbLb1EES19_IbLb0EEEEDaS15_S16_EUlS15_E_NS1_11comp_targetILNS1_3genE9ELNS1_11target_archE1100ELNS1_3gpuE3ELNS1_3repE0EEENS1_30default_config_static_selectorELNS0_4arch9wavefront6targetE1EEEvT1_
    .private_segment_fixed_size: 0
    .sgpr_count:     6
    .sgpr_spill_count: 0
    .symbol:         _ZN7rocprim17ROCPRIM_400000_NS6detail17trampoline_kernelINS0_14default_configENS1_25partition_config_selectorILNS1_17partition_subalgoE3EiNS0_10empty_typeEbEEZZNS1_14partition_implILS5_3ELb0ES3_jN6thrust23THRUST_200600_302600_NS6detail15normal_iteratorINSA_7pointerIiNSA_11hip_rocprim3tagENSA_11use_defaultESG_EEEEPS6_SJ_NS0_5tupleIJPiSJ_EEENSK_IJSJ_SJ_EEES6_PlJ7is_evenIiEEEE10hipError_tPvRmT3_T4_T5_T6_T7_T9_mT8_P12ihipStream_tbDpT10_ENKUlT_T0_E_clISt17integral_constantIbLb1EES19_IbLb0EEEEDaS15_S16_EUlS15_E_NS1_11comp_targetILNS1_3genE9ELNS1_11target_archE1100ELNS1_3gpuE3ELNS1_3repE0EEENS1_30default_config_static_selectorELNS0_4arch9wavefront6targetE1EEEvT1_.kd
    .uniform_work_group_size: 1
    .uses_dynamic_stack: false
    .vgpr_count:     0
    .vgpr_spill_count: 0
    .wavefront_size: 64
  - .agpr_count:     0
    .args:
      - .offset:         0
        .size:           120
        .value_kind:     by_value
    .group_segment_fixed_size: 0
    .kernarg_segment_align: 8
    .kernarg_segment_size: 120
    .language:       OpenCL C
    .language_version:
      - 2
      - 0
    .max_flat_workgroup_size: 512
    .name:           _ZN7rocprim17ROCPRIM_400000_NS6detail17trampoline_kernelINS0_14default_configENS1_25partition_config_selectorILNS1_17partition_subalgoE3EiNS0_10empty_typeEbEEZZNS1_14partition_implILS5_3ELb0ES3_jN6thrust23THRUST_200600_302600_NS6detail15normal_iteratorINSA_7pointerIiNSA_11hip_rocprim3tagENSA_11use_defaultESG_EEEEPS6_SJ_NS0_5tupleIJPiSJ_EEENSK_IJSJ_SJ_EEES6_PlJ7is_evenIiEEEE10hipError_tPvRmT3_T4_T5_T6_T7_T9_mT8_P12ihipStream_tbDpT10_ENKUlT_T0_E_clISt17integral_constantIbLb1EES19_IbLb0EEEEDaS15_S16_EUlS15_E_NS1_11comp_targetILNS1_3genE8ELNS1_11target_archE1030ELNS1_3gpuE2ELNS1_3repE0EEENS1_30default_config_static_selectorELNS0_4arch9wavefront6targetE1EEEvT1_
    .private_segment_fixed_size: 0
    .sgpr_count:     6
    .sgpr_spill_count: 0
    .symbol:         _ZN7rocprim17ROCPRIM_400000_NS6detail17trampoline_kernelINS0_14default_configENS1_25partition_config_selectorILNS1_17partition_subalgoE3EiNS0_10empty_typeEbEEZZNS1_14partition_implILS5_3ELb0ES3_jN6thrust23THRUST_200600_302600_NS6detail15normal_iteratorINSA_7pointerIiNSA_11hip_rocprim3tagENSA_11use_defaultESG_EEEEPS6_SJ_NS0_5tupleIJPiSJ_EEENSK_IJSJ_SJ_EEES6_PlJ7is_evenIiEEEE10hipError_tPvRmT3_T4_T5_T6_T7_T9_mT8_P12ihipStream_tbDpT10_ENKUlT_T0_E_clISt17integral_constantIbLb1EES19_IbLb0EEEEDaS15_S16_EUlS15_E_NS1_11comp_targetILNS1_3genE8ELNS1_11target_archE1030ELNS1_3gpuE2ELNS1_3repE0EEENS1_30default_config_static_selectorELNS0_4arch9wavefront6targetE1EEEvT1_.kd
    .uniform_work_group_size: 1
    .uses_dynamic_stack: false
    .vgpr_count:     0
    .vgpr_spill_count: 0
    .wavefront_size: 64
  - .agpr_count:     0
    .args:
      - .offset:         0
        .size:           136
        .value_kind:     by_value
    .group_segment_fixed_size: 0
    .kernarg_segment_align: 8
    .kernarg_segment_size: 136
    .language:       OpenCL C
    .language_version:
      - 2
      - 0
    .max_flat_workgroup_size: 256
    .name:           _ZN7rocprim17ROCPRIM_400000_NS6detail17trampoline_kernelINS0_14default_configENS1_25partition_config_selectorILNS1_17partition_subalgoE3EiNS0_10empty_typeEbEEZZNS1_14partition_implILS5_3ELb0ES3_jN6thrust23THRUST_200600_302600_NS6detail15normal_iteratorINSA_7pointerIiNSA_11hip_rocprim3tagENSA_11use_defaultESG_EEEEPS6_SJ_NS0_5tupleIJPiSJ_EEENSK_IJSJ_SJ_EEES6_PlJ7is_evenIiEEEE10hipError_tPvRmT3_T4_T5_T6_T7_T9_mT8_P12ihipStream_tbDpT10_ENKUlT_T0_E_clISt17integral_constantIbLb0EES19_IbLb1EEEEDaS15_S16_EUlS15_E_NS1_11comp_targetILNS1_3genE0ELNS1_11target_archE4294967295ELNS1_3gpuE0ELNS1_3repE0EEENS1_30default_config_static_selectorELNS0_4arch9wavefront6targetE1EEEvT1_
    .private_segment_fixed_size: 0
    .sgpr_count:     6
    .sgpr_spill_count: 0
    .symbol:         _ZN7rocprim17ROCPRIM_400000_NS6detail17trampoline_kernelINS0_14default_configENS1_25partition_config_selectorILNS1_17partition_subalgoE3EiNS0_10empty_typeEbEEZZNS1_14partition_implILS5_3ELb0ES3_jN6thrust23THRUST_200600_302600_NS6detail15normal_iteratorINSA_7pointerIiNSA_11hip_rocprim3tagENSA_11use_defaultESG_EEEEPS6_SJ_NS0_5tupleIJPiSJ_EEENSK_IJSJ_SJ_EEES6_PlJ7is_evenIiEEEE10hipError_tPvRmT3_T4_T5_T6_T7_T9_mT8_P12ihipStream_tbDpT10_ENKUlT_T0_E_clISt17integral_constantIbLb0EES19_IbLb1EEEEDaS15_S16_EUlS15_E_NS1_11comp_targetILNS1_3genE0ELNS1_11target_archE4294967295ELNS1_3gpuE0ELNS1_3repE0EEENS1_30default_config_static_selectorELNS0_4arch9wavefront6targetE1EEEvT1_.kd
    .uniform_work_group_size: 1
    .uses_dynamic_stack: false
    .vgpr_count:     0
    .vgpr_spill_count: 0
    .wavefront_size: 64
  - .agpr_count:     0
    .args:
      - .offset:         0
        .size:           136
        .value_kind:     by_value
    .group_segment_fixed_size: 30728
    .kernarg_segment_align: 8
    .kernarg_segment_size: 136
    .language:       OpenCL C
    .language_version:
      - 2
      - 0
    .max_flat_workgroup_size: 512
    .name:           _ZN7rocprim17ROCPRIM_400000_NS6detail17trampoline_kernelINS0_14default_configENS1_25partition_config_selectorILNS1_17partition_subalgoE3EiNS0_10empty_typeEbEEZZNS1_14partition_implILS5_3ELb0ES3_jN6thrust23THRUST_200600_302600_NS6detail15normal_iteratorINSA_7pointerIiNSA_11hip_rocprim3tagENSA_11use_defaultESG_EEEEPS6_SJ_NS0_5tupleIJPiSJ_EEENSK_IJSJ_SJ_EEES6_PlJ7is_evenIiEEEE10hipError_tPvRmT3_T4_T5_T6_T7_T9_mT8_P12ihipStream_tbDpT10_ENKUlT_T0_E_clISt17integral_constantIbLb0EES19_IbLb1EEEEDaS15_S16_EUlS15_E_NS1_11comp_targetILNS1_3genE5ELNS1_11target_archE942ELNS1_3gpuE9ELNS1_3repE0EEENS1_30default_config_static_selectorELNS0_4arch9wavefront6targetE1EEEvT1_
    .private_segment_fixed_size: 0
    .sgpr_count:     50
    .sgpr_spill_count: 0
    .symbol:         _ZN7rocprim17ROCPRIM_400000_NS6detail17trampoline_kernelINS0_14default_configENS1_25partition_config_selectorILNS1_17partition_subalgoE3EiNS0_10empty_typeEbEEZZNS1_14partition_implILS5_3ELb0ES3_jN6thrust23THRUST_200600_302600_NS6detail15normal_iteratorINSA_7pointerIiNSA_11hip_rocprim3tagENSA_11use_defaultESG_EEEEPS6_SJ_NS0_5tupleIJPiSJ_EEENSK_IJSJ_SJ_EEES6_PlJ7is_evenIiEEEE10hipError_tPvRmT3_T4_T5_T6_T7_T9_mT8_P12ihipStream_tbDpT10_ENKUlT_T0_E_clISt17integral_constantIbLb0EES19_IbLb1EEEEDaS15_S16_EUlS15_E_NS1_11comp_targetILNS1_3genE5ELNS1_11target_archE942ELNS1_3gpuE9ELNS1_3repE0EEENS1_30default_config_static_selectorELNS0_4arch9wavefront6targetE1EEEvT1_.kd
    .uniform_work_group_size: 1
    .uses_dynamic_stack: false
    .vgpr_count:     80
    .vgpr_spill_count: 0
    .wavefront_size: 64
  - .agpr_count:     0
    .args:
      - .offset:         0
        .size:           136
        .value_kind:     by_value
    .group_segment_fixed_size: 0
    .kernarg_segment_align: 8
    .kernarg_segment_size: 136
    .language:       OpenCL C
    .language_version:
      - 2
      - 0
    .max_flat_workgroup_size: 256
    .name:           _ZN7rocprim17ROCPRIM_400000_NS6detail17trampoline_kernelINS0_14default_configENS1_25partition_config_selectorILNS1_17partition_subalgoE3EiNS0_10empty_typeEbEEZZNS1_14partition_implILS5_3ELb0ES3_jN6thrust23THRUST_200600_302600_NS6detail15normal_iteratorINSA_7pointerIiNSA_11hip_rocprim3tagENSA_11use_defaultESG_EEEEPS6_SJ_NS0_5tupleIJPiSJ_EEENSK_IJSJ_SJ_EEES6_PlJ7is_evenIiEEEE10hipError_tPvRmT3_T4_T5_T6_T7_T9_mT8_P12ihipStream_tbDpT10_ENKUlT_T0_E_clISt17integral_constantIbLb0EES19_IbLb1EEEEDaS15_S16_EUlS15_E_NS1_11comp_targetILNS1_3genE4ELNS1_11target_archE910ELNS1_3gpuE8ELNS1_3repE0EEENS1_30default_config_static_selectorELNS0_4arch9wavefront6targetE1EEEvT1_
    .private_segment_fixed_size: 0
    .sgpr_count:     6
    .sgpr_spill_count: 0
    .symbol:         _ZN7rocprim17ROCPRIM_400000_NS6detail17trampoline_kernelINS0_14default_configENS1_25partition_config_selectorILNS1_17partition_subalgoE3EiNS0_10empty_typeEbEEZZNS1_14partition_implILS5_3ELb0ES3_jN6thrust23THRUST_200600_302600_NS6detail15normal_iteratorINSA_7pointerIiNSA_11hip_rocprim3tagENSA_11use_defaultESG_EEEEPS6_SJ_NS0_5tupleIJPiSJ_EEENSK_IJSJ_SJ_EEES6_PlJ7is_evenIiEEEE10hipError_tPvRmT3_T4_T5_T6_T7_T9_mT8_P12ihipStream_tbDpT10_ENKUlT_T0_E_clISt17integral_constantIbLb0EES19_IbLb1EEEEDaS15_S16_EUlS15_E_NS1_11comp_targetILNS1_3genE4ELNS1_11target_archE910ELNS1_3gpuE8ELNS1_3repE0EEENS1_30default_config_static_selectorELNS0_4arch9wavefront6targetE1EEEvT1_.kd
    .uniform_work_group_size: 1
    .uses_dynamic_stack: false
    .vgpr_count:     0
    .vgpr_spill_count: 0
    .wavefront_size: 64
  - .agpr_count:     0
    .args:
      - .offset:         0
        .size:           136
        .value_kind:     by_value
    .group_segment_fixed_size: 0
    .kernarg_segment_align: 8
    .kernarg_segment_size: 136
    .language:       OpenCL C
    .language_version:
      - 2
      - 0
    .max_flat_workgroup_size: 256
    .name:           _ZN7rocprim17ROCPRIM_400000_NS6detail17trampoline_kernelINS0_14default_configENS1_25partition_config_selectorILNS1_17partition_subalgoE3EiNS0_10empty_typeEbEEZZNS1_14partition_implILS5_3ELb0ES3_jN6thrust23THRUST_200600_302600_NS6detail15normal_iteratorINSA_7pointerIiNSA_11hip_rocprim3tagENSA_11use_defaultESG_EEEEPS6_SJ_NS0_5tupleIJPiSJ_EEENSK_IJSJ_SJ_EEES6_PlJ7is_evenIiEEEE10hipError_tPvRmT3_T4_T5_T6_T7_T9_mT8_P12ihipStream_tbDpT10_ENKUlT_T0_E_clISt17integral_constantIbLb0EES19_IbLb1EEEEDaS15_S16_EUlS15_E_NS1_11comp_targetILNS1_3genE3ELNS1_11target_archE908ELNS1_3gpuE7ELNS1_3repE0EEENS1_30default_config_static_selectorELNS0_4arch9wavefront6targetE1EEEvT1_
    .private_segment_fixed_size: 0
    .sgpr_count:     6
    .sgpr_spill_count: 0
    .symbol:         _ZN7rocprim17ROCPRIM_400000_NS6detail17trampoline_kernelINS0_14default_configENS1_25partition_config_selectorILNS1_17partition_subalgoE3EiNS0_10empty_typeEbEEZZNS1_14partition_implILS5_3ELb0ES3_jN6thrust23THRUST_200600_302600_NS6detail15normal_iteratorINSA_7pointerIiNSA_11hip_rocprim3tagENSA_11use_defaultESG_EEEEPS6_SJ_NS0_5tupleIJPiSJ_EEENSK_IJSJ_SJ_EEES6_PlJ7is_evenIiEEEE10hipError_tPvRmT3_T4_T5_T6_T7_T9_mT8_P12ihipStream_tbDpT10_ENKUlT_T0_E_clISt17integral_constantIbLb0EES19_IbLb1EEEEDaS15_S16_EUlS15_E_NS1_11comp_targetILNS1_3genE3ELNS1_11target_archE908ELNS1_3gpuE7ELNS1_3repE0EEENS1_30default_config_static_selectorELNS0_4arch9wavefront6targetE1EEEvT1_.kd
    .uniform_work_group_size: 1
    .uses_dynamic_stack: false
    .vgpr_count:     0
    .vgpr_spill_count: 0
    .wavefront_size: 64
  - .agpr_count:     0
    .args:
      - .offset:         0
        .size:           136
        .value_kind:     by_value
    .group_segment_fixed_size: 0
    .kernarg_segment_align: 8
    .kernarg_segment_size: 136
    .language:       OpenCL C
    .language_version:
      - 2
      - 0
    .max_flat_workgroup_size: 192
    .name:           _ZN7rocprim17ROCPRIM_400000_NS6detail17trampoline_kernelINS0_14default_configENS1_25partition_config_selectorILNS1_17partition_subalgoE3EiNS0_10empty_typeEbEEZZNS1_14partition_implILS5_3ELb0ES3_jN6thrust23THRUST_200600_302600_NS6detail15normal_iteratorINSA_7pointerIiNSA_11hip_rocprim3tagENSA_11use_defaultESG_EEEEPS6_SJ_NS0_5tupleIJPiSJ_EEENSK_IJSJ_SJ_EEES6_PlJ7is_evenIiEEEE10hipError_tPvRmT3_T4_T5_T6_T7_T9_mT8_P12ihipStream_tbDpT10_ENKUlT_T0_E_clISt17integral_constantIbLb0EES19_IbLb1EEEEDaS15_S16_EUlS15_E_NS1_11comp_targetILNS1_3genE2ELNS1_11target_archE906ELNS1_3gpuE6ELNS1_3repE0EEENS1_30default_config_static_selectorELNS0_4arch9wavefront6targetE1EEEvT1_
    .private_segment_fixed_size: 0
    .sgpr_count:     6
    .sgpr_spill_count: 0
    .symbol:         _ZN7rocprim17ROCPRIM_400000_NS6detail17trampoline_kernelINS0_14default_configENS1_25partition_config_selectorILNS1_17partition_subalgoE3EiNS0_10empty_typeEbEEZZNS1_14partition_implILS5_3ELb0ES3_jN6thrust23THRUST_200600_302600_NS6detail15normal_iteratorINSA_7pointerIiNSA_11hip_rocprim3tagENSA_11use_defaultESG_EEEEPS6_SJ_NS0_5tupleIJPiSJ_EEENSK_IJSJ_SJ_EEES6_PlJ7is_evenIiEEEE10hipError_tPvRmT3_T4_T5_T6_T7_T9_mT8_P12ihipStream_tbDpT10_ENKUlT_T0_E_clISt17integral_constantIbLb0EES19_IbLb1EEEEDaS15_S16_EUlS15_E_NS1_11comp_targetILNS1_3genE2ELNS1_11target_archE906ELNS1_3gpuE6ELNS1_3repE0EEENS1_30default_config_static_selectorELNS0_4arch9wavefront6targetE1EEEvT1_.kd
    .uniform_work_group_size: 1
    .uses_dynamic_stack: false
    .vgpr_count:     0
    .vgpr_spill_count: 0
    .wavefront_size: 64
  - .agpr_count:     0
    .args:
      - .offset:         0
        .size:           136
        .value_kind:     by_value
    .group_segment_fixed_size: 0
    .kernarg_segment_align: 8
    .kernarg_segment_size: 136
    .language:       OpenCL C
    .language_version:
      - 2
      - 0
    .max_flat_workgroup_size: 384
    .name:           _ZN7rocprim17ROCPRIM_400000_NS6detail17trampoline_kernelINS0_14default_configENS1_25partition_config_selectorILNS1_17partition_subalgoE3EiNS0_10empty_typeEbEEZZNS1_14partition_implILS5_3ELb0ES3_jN6thrust23THRUST_200600_302600_NS6detail15normal_iteratorINSA_7pointerIiNSA_11hip_rocprim3tagENSA_11use_defaultESG_EEEEPS6_SJ_NS0_5tupleIJPiSJ_EEENSK_IJSJ_SJ_EEES6_PlJ7is_evenIiEEEE10hipError_tPvRmT3_T4_T5_T6_T7_T9_mT8_P12ihipStream_tbDpT10_ENKUlT_T0_E_clISt17integral_constantIbLb0EES19_IbLb1EEEEDaS15_S16_EUlS15_E_NS1_11comp_targetILNS1_3genE10ELNS1_11target_archE1200ELNS1_3gpuE4ELNS1_3repE0EEENS1_30default_config_static_selectorELNS0_4arch9wavefront6targetE1EEEvT1_
    .private_segment_fixed_size: 0
    .sgpr_count:     6
    .sgpr_spill_count: 0
    .symbol:         _ZN7rocprim17ROCPRIM_400000_NS6detail17trampoline_kernelINS0_14default_configENS1_25partition_config_selectorILNS1_17partition_subalgoE3EiNS0_10empty_typeEbEEZZNS1_14partition_implILS5_3ELb0ES3_jN6thrust23THRUST_200600_302600_NS6detail15normal_iteratorINSA_7pointerIiNSA_11hip_rocprim3tagENSA_11use_defaultESG_EEEEPS6_SJ_NS0_5tupleIJPiSJ_EEENSK_IJSJ_SJ_EEES6_PlJ7is_evenIiEEEE10hipError_tPvRmT3_T4_T5_T6_T7_T9_mT8_P12ihipStream_tbDpT10_ENKUlT_T0_E_clISt17integral_constantIbLb0EES19_IbLb1EEEEDaS15_S16_EUlS15_E_NS1_11comp_targetILNS1_3genE10ELNS1_11target_archE1200ELNS1_3gpuE4ELNS1_3repE0EEENS1_30default_config_static_selectorELNS0_4arch9wavefront6targetE1EEEvT1_.kd
    .uniform_work_group_size: 1
    .uses_dynamic_stack: false
    .vgpr_count:     0
    .vgpr_spill_count: 0
    .wavefront_size: 64
  - .agpr_count:     0
    .args:
      - .offset:         0
        .size:           136
        .value_kind:     by_value
    .group_segment_fixed_size: 0
    .kernarg_segment_align: 8
    .kernarg_segment_size: 136
    .language:       OpenCL C
    .language_version:
      - 2
      - 0
    .max_flat_workgroup_size: 384
    .name:           _ZN7rocprim17ROCPRIM_400000_NS6detail17trampoline_kernelINS0_14default_configENS1_25partition_config_selectorILNS1_17partition_subalgoE3EiNS0_10empty_typeEbEEZZNS1_14partition_implILS5_3ELb0ES3_jN6thrust23THRUST_200600_302600_NS6detail15normal_iteratorINSA_7pointerIiNSA_11hip_rocprim3tagENSA_11use_defaultESG_EEEEPS6_SJ_NS0_5tupleIJPiSJ_EEENSK_IJSJ_SJ_EEES6_PlJ7is_evenIiEEEE10hipError_tPvRmT3_T4_T5_T6_T7_T9_mT8_P12ihipStream_tbDpT10_ENKUlT_T0_E_clISt17integral_constantIbLb0EES19_IbLb1EEEEDaS15_S16_EUlS15_E_NS1_11comp_targetILNS1_3genE9ELNS1_11target_archE1100ELNS1_3gpuE3ELNS1_3repE0EEENS1_30default_config_static_selectorELNS0_4arch9wavefront6targetE1EEEvT1_
    .private_segment_fixed_size: 0
    .sgpr_count:     6
    .sgpr_spill_count: 0
    .symbol:         _ZN7rocprim17ROCPRIM_400000_NS6detail17trampoline_kernelINS0_14default_configENS1_25partition_config_selectorILNS1_17partition_subalgoE3EiNS0_10empty_typeEbEEZZNS1_14partition_implILS5_3ELb0ES3_jN6thrust23THRUST_200600_302600_NS6detail15normal_iteratorINSA_7pointerIiNSA_11hip_rocprim3tagENSA_11use_defaultESG_EEEEPS6_SJ_NS0_5tupleIJPiSJ_EEENSK_IJSJ_SJ_EEES6_PlJ7is_evenIiEEEE10hipError_tPvRmT3_T4_T5_T6_T7_T9_mT8_P12ihipStream_tbDpT10_ENKUlT_T0_E_clISt17integral_constantIbLb0EES19_IbLb1EEEEDaS15_S16_EUlS15_E_NS1_11comp_targetILNS1_3genE9ELNS1_11target_archE1100ELNS1_3gpuE3ELNS1_3repE0EEENS1_30default_config_static_selectorELNS0_4arch9wavefront6targetE1EEEvT1_.kd
    .uniform_work_group_size: 1
    .uses_dynamic_stack: false
    .vgpr_count:     0
    .vgpr_spill_count: 0
    .wavefront_size: 64
  - .agpr_count:     0
    .args:
      - .offset:         0
        .size:           136
        .value_kind:     by_value
    .group_segment_fixed_size: 0
    .kernarg_segment_align: 8
    .kernarg_segment_size: 136
    .language:       OpenCL C
    .language_version:
      - 2
      - 0
    .max_flat_workgroup_size: 512
    .name:           _ZN7rocprim17ROCPRIM_400000_NS6detail17trampoline_kernelINS0_14default_configENS1_25partition_config_selectorILNS1_17partition_subalgoE3EiNS0_10empty_typeEbEEZZNS1_14partition_implILS5_3ELb0ES3_jN6thrust23THRUST_200600_302600_NS6detail15normal_iteratorINSA_7pointerIiNSA_11hip_rocprim3tagENSA_11use_defaultESG_EEEEPS6_SJ_NS0_5tupleIJPiSJ_EEENSK_IJSJ_SJ_EEES6_PlJ7is_evenIiEEEE10hipError_tPvRmT3_T4_T5_T6_T7_T9_mT8_P12ihipStream_tbDpT10_ENKUlT_T0_E_clISt17integral_constantIbLb0EES19_IbLb1EEEEDaS15_S16_EUlS15_E_NS1_11comp_targetILNS1_3genE8ELNS1_11target_archE1030ELNS1_3gpuE2ELNS1_3repE0EEENS1_30default_config_static_selectorELNS0_4arch9wavefront6targetE1EEEvT1_
    .private_segment_fixed_size: 0
    .sgpr_count:     6
    .sgpr_spill_count: 0
    .symbol:         _ZN7rocprim17ROCPRIM_400000_NS6detail17trampoline_kernelINS0_14default_configENS1_25partition_config_selectorILNS1_17partition_subalgoE3EiNS0_10empty_typeEbEEZZNS1_14partition_implILS5_3ELb0ES3_jN6thrust23THRUST_200600_302600_NS6detail15normal_iteratorINSA_7pointerIiNSA_11hip_rocprim3tagENSA_11use_defaultESG_EEEEPS6_SJ_NS0_5tupleIJPiSJ_EEENSK_IJSJ_SJ_EEES6_PlJ7is_evenIiEEEE10hipError_tPvRmT3_T4_T5_T6_T7_T9_mT8_P12ihipStream_tbDpT10_ENKUlT_T0_E_clISt17integral_constantIbLb0EES19_IbLb1EEEEDaS15_S16_EUlS15_E_NS1_11comp_targetILNS1_3genE8ELNS1_11target_archE1030ELNS1_3gpuE2ELNS1_3repE0EEENS1_30default_config_static_selectorELNS0_4arch9wavefront6targetE1EEEvT1_.kd
    .uniform_work_group_size: 1
    .uses_dynamic_stack: false
    .vgpr_count:     0
    .vgpr_spill_count: 0
    .wavefront_size: 64
  - .agpr_count:     0
    .args:
      - .offset:         0
        .size:           104
        .value_kind:     by_value
    .group_segment_fixed_size: 0
    .kernarg_segment_align: 8
    .kernarg_segment_size: 104
    .language:       OpenCL C
    .language_version:
      - 2
      - 0
    .max_flat_workgroup_size: 128
    .name:           _ZN7rocprim17ROCPRIM_400000_NS6detail17trampoline_kernelINS0_14default_configENS1_22reduce_config_selectorIN6thrust23THRUST_200600_302600_NS5tupleIblNS6_9null_typeES8_S8_S8_S8_S8_S8_S8_EEEEZNS1_11reduce_implILb1ES3_NS6_12zip_iteratorINS7_INS6_11hip_rocprim26transform_input_iterator_tIbNSD_35transform_pair_of_input_iterators_tIbNS6_6detail15normal_iteratorINS6_10device_ptrIKiEEEESL_NS6_8equal_toIiEEEENSG_9not_fun_tINSD_8identityEEEEENSD_19counting_iterator_tIlEES8_S8_S8_S8_S8_S8_S8_S8_EEEEPS9_S9_NSD_9__find_if7functorIS9_EEEE10hipError_tPvRmT1_T2_T3_mT4_P12ihipStream_tbEUlT_E0_NS1_11comp_targetILNS1_3genE0ELNS1_11target_archE4294967295ELNS1_3gpuE0ELNS1_3repE0EEENS1_30default_config_static_selectorELNS0_4arch9wavefront6targetE1EEEvS14_
    .private_segment_fixed_size: 0
    .sgpr_count:     6
    .sgpr_spill_count: 0
    .symbol:         _ZN7rocprim17ROCPRIM_400000_NS6detail17trampoline_kernelINS0_14default_configENS1_22reduce_config_selectorIN6thrust23THRUST_200600_302600_NS5tupleIblNS6_9null_typeES8_S8_S8_S8_S8_S8_S8_EEEEZNS1_11reduce_implILb1ES3_NS6_12zip_iteratorINS7_INS6_11hip_rocprim26transform_input_iterator_tIbNSD_35transform_pair_of_input_iterators_tIbNS6_6detail15normal_iteratorINS6_10device_ptrIKiEEEESL_NS6_8equal_toIiEEEENSG_9not_fun_tINSD_8identityEEEEENSD_19counting_iterator_tIlEES8_S8_S8_S8_S8_S8_S8_S8_EEEEPS9_S9_NSD_9__find_if7functorIS9_EEEE10hipError_tPvRmT1_T2_T3_mT4_P12ihipStream_tbEUlT_E0_NS1_11comp_targetILNS1_3genE0ELNS1_11target_archE4294967295ELNS1_3gpuE0ELNS1_3repE0EEENS1_30default_config_static_selectorELNS0_4arch9wavefront6targetE1EEEvS14_.kd
    .uniform_work_group_size: 1
    .uses_dynamic_stack: false
    .vgpr_count:     0
    .vgpr_spill_count: 0
    .wavefront_size: 64
  - .agpr_count:     0
    .args:
      - .offset:         0
        .size:           104
        .value_kind:     by_value
    .group_segment_fixed_size: 128
    .kernarg_segment_align: 8
    .kernarg_segment_size: 104
    .language:       OpenCL C
    .language_version:
      - 2
      - 0
    .max_flat_workgroup_size: 256
    .name:           _ZN7rocprim17ROCPRIM_400000_NS6detail17trampoline_kernelINS0_14default_configENS1_22reduce_config_selectorIN6thrust23THRUST_200600_302600_NS5tupleIblNS6_9null_typeES8_S8_S8_S8_S8_S8_S8_EEEEZNS1_11reduce_implILb1ES3_NS6_12zip_iteratorINS7_INS6_11hip_rocprim26transform_input_iterator_tIbNSD_35transform_pair_of_input_iterators_tIbNS6_6detail15normal_iteratorINS6_10device_ptrIKiEEEESL_NS6_8equal_toIiEEEENSG_9not_fun_tINSD_8identityEEEEENSD_19counting_iterator_tIlEES8_S8_S8_S8_S8_S8_S8_S8_EEEEPS9_S9_NSD_9__find_if7functorIS9_EEEE10hipError_tPvRmT1_T2_T3_mT4_P12ihipStream_tbEUlT_E0_NS1_11comp_targetILNS1_3genE5ELNS1_11target_archE942ELNS1_3gpuE9ELNS1_3repE0EEENS1_30default_config_static_selectorELNS0_4arch9wavefront6targetE1EEEvS14_
    .private_segment_fixed_size: 0
    .sgpr_count:     57
    .sgpr_spill_count: 0
    .symbol:         _ZN7rocprim17ROCPRIM_400000_NS6detail17trampoline_kernelINS0_14default_configENS1_22reduce_config_selectorIN6thrust23THRUST_200600_302600_NS5tupleIblNS6_9null_typeES8_S8_S8_S8_S8_S8_S8_EEEEZNS1_11reduce_implILb1ES3_NS6_12zip_iteratorINS7_INS6_11hip_rocprim26transform_input_iterator_tIbNSD_35transform_pair_of_input_iterators_tIbNS6_6detail15normal_iteratorINS6_10device_ptrIKiEEEESL_NS6_8equal_toIiEEEENSG_9not_fun_tINSD_8identityEEEEENSD_19counting_iterator_tIlEES8_S8_S8_S8_S8_S8_S8_S8_EEEEPS9_S9_NSD_9__find_if7functorIS9_EEEE10hipError_tPvRmT1_T2_T3_mT4_P12ihipStream_tbEUlT_E0_NS1_11comp_targetILNS1_3genE5ELNS1_11target_archE942ELNS1_3gpuE9ELNS1_3repE0EEENS1_30default_config_static_selectorELNS0_4arch9wavefront6targetE1EEEvS14_.kd
    .uniform_work_group_size: 1
    .uses_dynamic_stack: false
    .vgpr_count:     52
    .vgpr_spill_count: 0
    .wavefront_size: 64
  - .agpr_count:     0
    .args:
      - .offset:         0
        .size:           104
        .value_kind:     by_value
    .group_segment_fixed_size: 0
    .kernarg_segment_align: 8
    .kernarg_segment_size: 104
    .language:       OpenCL C
    .language_version:
      - 2
      - 0
    .max_flat_workgroup_size: 256
    .name:           _ZN7rocprim17ROCPRIM_400000_NS6detail17trampoline_kernelINS0_14default_configENS1_22reduce_config_selectorIN6thrust23THRUST_200600_302600_NS5tupleIblNS6_9null_typeES8_S8_S8_S8_S8_S8_S8_EEEEZNS1_11reduce_implILb1ES3_NS6_12zip_iteratorINS7_INS6_11hip_rocprim26transform_input_iterator_tIbNSD_35transform_pair_of_input_iterators_tIbNS6_6detail15normal_iteratorINS6_10device_ptrIKiEEEESL_NS6_8equal_toIiEEEENSG_9not_fun_tINSD_8identityEEEEENSD_19counting_iterator_tIlEES8_S8_S8_S8_S8_S8_S8_S8_EEEEPS9_S9_NSD_9__find_if7functorIS9_EEEE10hipError_tPvRmT1_T2_T3_mT4_P12ihipStream_tbEUlT_E0_NS1_11comp_targetILNS1_3genE4ELNS1_11target_archE910ELNS1_3gpuE8ELNS1_3repE0EEENS1_30default_config_static_selectorELNS0_4arch9wavefront6targetE1EEEvS14_
    .private_segment_fixed_size: 0
    .sgpr_count:     6
    .sgpr_spill_count: 0
    .symbol:         _ZN7rocprim17ROCPRIM_400000_NS6detail17trampoline_kernelINS0_14default_configENS1_22reduce_config_selectorIN6thrust23THRUST_200600_302600_NS5tupleIblNS6_9null_typeES8_S8_S8_S8_S8_S8_S8_EEEEZNS1_11reduce_implILb1ES3_NS6_12zip_iteratorINS7_INS6_11hip_rocprim26transform_input_iterator_tIbNSD_35transform_pair_of_input_iterators_tIbNS6_6detail15normal_iteratorINS6_10device_ptrIKiEEEESL_NS6_8equal_toIiEEEENSG_9not_fun_tINSD_8identityEEEEENSD_19counting_iterator_tIlEES8_S8_S8_S8_S8_S8_S8_S8_EEEEPS9_S9_NSD_9__find_if7functorIS9_EEEE10hipError_tPvRmT1_T2_T3_mT4_P12ihipStream_tbEUlT_E0_NS1_11comp_targetILNS1_3genE4ELNS1_11target_archE910ELNS1_3gpuE8ELNS1_3repE0EEENS1_30default_config_static_selectorELNS0_4arch9wavefront6targetE1EEEvS14_.kd
    .uniform_work_group_size: 1
    .uses_dynamic_stack: false
    .vgpr_count:     0
    .vgpr_spill_count: 0
    .wavefront_size: 64
  - .agpr_count:     0
    .args:
      - .offset:         0
        .size:           104
        .value_kind:     by_value
    .group_segment_fixed_size: 0
    .kernarg_segment_align: 8
    .kernarg_segment_size: 104
    .language:       OpenCL C
    .language_version:
      - 2
      - 0
    .max_flat_workgroup_size: 128
    .name:           _ZN7rocprim17ROCPRIM_400000_NS6detail17trampoline_kernelINS0_14default_configENS1_22reduce_config_selectorIN6thrust23THRUST_200600_302600_NS5tupleIblNS6_9null_typeES8_S8_S8_S8_S8_S8_S8_EEEEZNS1_11reduce_implILb1ES3_NS6_12zip_iteratorINS7_INS6_11hip_rocprim26transform_input_iterator_tIbNSD_35transform_pair_of_input_iterators_tIbNS6_6detail15normal_iteratorINS6_10device_ptrIKiEEEESL_NS6_8equal_toIiEEEENSG_9not_fun_tINSD_8identityEEEEENSD_19counting_iterator_tIlEES8_S8_S8_S8_S8_S8_S8_S8_EEEEPS9_S9_NSD_9__find_if7functorIS9_EEEE10hipError_tPvRmT1_T2_T3_mT4_P12ihipStream_tbEUlT_E0_NS1_11comp_targetILNS1_3genE3ELNS1_11target_archE908ELNS1_3gpuE7ELNS1_3repE0EEENS1_30default_config_static_selectorELNS0_4arch9wavefront6targetE1EEEvS14_
    .private_segment_fixed_size: 0
    .sgpr_count:     6
    .sgpr_spill_count: 0
    .symbol:         _ZN7rocprim17ROCPRIM_400000_NS6detail17trampoline_kernelINS0_14default_configENS1_22reduce_config_selectorIN6thrust23THRUST_200600_302600_NS5tupleIblNS6_9null_typeES8_S8_S8_S8_S8_S8_S8_EEEEZNS1_11reduce_implILb1ES3_NS6_12zip_iteratorINS7_INS6_11hip_rocprim26transform_input_iterator_tIbNSD_35transform_pair_of_input_iterators_tIbNS6_6detail15normal_iteratorINS6_10device_ptrIKiEEEESL_NS6_8equal_toIiEEEENSG_9not_fun_tINSD_8identityEEEEENSD_19counting_iterator_tIlEES8_S8_S8_S8_S8_S8_S8_S8_EEEEPS9_S9_NSD_9__find_if7functorIS9_EEEE10hipError_tPvRmT1_T2_T3_mT4_P12ihipStream_tbEUlT_E0_NS1_11comp_targetILNS1_3genE3ELNS1_11target_archE908ELNS1_3gpuE7ELNS1_3repE0EEENS1_30default_config_static_selectorELNS0_4arch9wavefront6targetE1EEEvS14_.kd
    .uniform_work_group_size: 1
    .uses_dynamic_stack: false
    .vgpr_count:     0
    .vgpr_spill_count: 0
    .wavefront_size: 64
  - .agpr_count:     0
    .args:
      - .offset:         0
        .size:           104
        .value_kind:     by_value
    .group_segment_fixed_size: 0
    .kernarg_segment_align: 8
    .kernarg_segment_size: 104
    .language:       OpenCL C
    .language_version:
      - 2
      - 0
    .max_flat_workgroup_size: 128
    .name:           _ZN7rocprim17ROCPRIM_400000_NS6detail17trampoline_kernelINS0_14default_configENS1_22reduce_config_selectorIN6thrust23THRUST_200600_302600_NS5tupleIblNS6_9null_typeES8_S8_S8_S8_S8_S8_S8_EEEEZNS1_11reduce_implILb1ES3_NS6_12zip_iteratorINS7_INS6_11hip_rocprim26transform_input_iterator_tIbNSD_35transform_pair_of_input_iterators_tIbNS6_6detail15normal_iteratorINS6_10device_ptrIKiEEEESL_NS6_8equal_toIiEEEENSG_9not_fun_tINSD_8identityEEEEENSD_19counting_iterator_tIlEES8_S8_S8_S8_S8_S8_S8_S8_EEEEPS9_S9_NSD_9__find_if7functorIS9_EEEE10hipError_tPvRmT1_T2_T3_mT4_P12ihipStream_tbEUlT_E0_NS1_11comp_targetILNS1_3genE2ELNS1_11target_archE906ELNS1_3gpuE6ELNS1_3repE0EEENS1_30default_config_static_selectorELNS0_4arch9wavefront6targetE1EEEvS14_
    .private_segment_fixed_size: 0
    .sgpr_count:     6
    .sgpr_spill_count: 0
    .symbol:         _ZN7rocprim17ROCPRIM_400000_NS6detail17trampoline_kernelINS0_14default_configENS1_22reduce_config_selectorIN6thrust23THRUST_200600_302600_NS5tupleIblNS6_9null_typeES8_S8_S8_S8_S8_S8_S8_EEEEZNS1_11reduce_implILb1ES3_NS6_12zip_iteratorINS7_INS6_11hip_rocprim26transform_input_iterator_tIbNSD_35transform_pair_of_input_iterators_tIbNS6_6detail15normal_iteratorINS6_10device_ptrIKiEEEESL_NS6_8equal_toIiEEEENSG_9not_fun_tINSD_8identityEEEEENSD_19counting_iterator_tIlEES8_S8_S8_S8_S8_S8_S8_S8_EEEEPS9_S9_NSD_9__find_if7functorIS9_EEEE10hipError_tPvRmT1_T2_T3_mT4_P12ihipStream_tbEUlT_E0_NS1_11comp_targetILNS1_3genE2ELNS1_11target_archE906ELNS1_3gpuE6ELNS1_3repE0EEENS1_30default_config_static_selectorELNS0_4arch9wavefront6targetE1EEEvS14_.kd
    .uniform_work_group_size: 1
    .uses_dynamic_stack: false
    .vgpr_count:     0
    .vgpr_spill_count: 0
    .wavefront_size: 64
  - .agpr_count:     0
    .args:
      - .offset:         0
        .size:           104
        .value_kind:     by_value
    .group_segment_fixed_size: 0
    .kernarg_segment_align: 8
    .kernarg_segment_size: 104
    .language:       OpenCL C
    .language_version:
      - 2
      - 0
    .max_flat_workgroup_size: 256
    .name:           _ZN7rocprim17ROCPRIM_400000_NS6detail17trampoline_kernelINS0_14default_configENS1_22reduce_config_selectorIN6thrust23THRUST_200600_302600_NS5tupleIblNS6_9null_typeES8_S8_S8_S8_S8_S8_S8_EEEEZNS1_11reduce_implILb1ES3_NS6_12zip_iteratorINS7_INS6_11hip_rocprim26transform_input_iterator_tIbNSD_35transform_pair_of_input_iterators_tIbNS6_6detail15normal_iteratorINS6_10device_ptrIKiEEEESL_NS6_8equal_toIiEEEENSG_9not_fun_tINSD_8identityEEEEENSD_19counting_iterator_tIlEES8_S8_S8_S8_S8_S8_S8_S8_EEEEPS9_S9_NSD_9__find_if7functorIS9_EEEE10hipError_tPvRmT1_T2_T3_mT4_P12ihipStream_tbEUlT_E0_NS1_11comp_targetILNS1_3genE10ELNS1_11target_archE1201ELNS1_3gpuE5ELNS1_3repE0EEENS1_30default_config_static_selectorELNS0_4arch9wavefront6targetE1EEEvS14_
    .private_segment_fixed_size: 0
    .sgpr_count:     6
    .sgpr_spill_count: 0
    .symbol:         _ZN7rocprim17ROCPRIM_400000_NS6detail17trampoline_kernelINS0_14default_configENS1_22reduce_config_selectorIN6thrust23THRUST_200600_302600_NS5tupleIblNS6_9null_typeES8_S8_S8_S8_S8_S8_S8_EEEEZNS1_11reduce_implILb1ES3_NS6_12zip_iteratorINS7_INS6_11hip_rocprim26transform_input_iterator_tIbNSD_35transform_pair_of_input_iterators_tIbNS6_6detail15normal_iteratorINS6_10device_ptrIKiEEEESL_NS6_8equal_toIiEEEENSG_9not_fun_tINSD_8identityEEEEENSD_19counting_iterator_tIlEES8_S8_S8_S8_S8_S8_S8_S8_EEEEPS9_S9_NSD_9__find_if7functorIS9_EEEE10hipError_tPvRmT1_T2_T3_mT4_P12ihipStream_tbEUlT_E0_NS1_11comp_targetILNS1_3genE10ELNS1_11target_archE1201ELNS1_3gpuE5ELNS1_3repE0EEENS1_30default_config_static_selectorELNS0_4arch9wavefront6targetE1EEEvS14_.kd
    .uniform_work_group_size: 1
    .uses_dynamic_stack: false
    .vgpr_count:     0
    .vgpr_spill_count: 0
    .wavefront_size: 64
  - .agpr_count:     0
    .args:
      - .offset:         0
        .size:           104
        .value_kind:     by_value
    .group_segment_fixed_size: 0
    .kernarg_segment_align: 8
    .kernarg_segment_size: 104
    .language:       OpenCL C
    .language_version:
      - 2
      - 0
    .max_flat_workgroup_size: 256
    .name:           _ZN7rocprim17ROCPRIM_400000_NS6detail17trampoline_kernelINS0_14default_configENS1_22reduce_config_selectorIN6thrust23THRUST_200600_302600_NS5tupleIblNS6_9null_typeES8_S8_S8_S8_S8_S8_S8_EEEEZNS1_11reduce_implILb1ES3_NS6_12zip_iteratorINS7_INS6_11hip_rocprim26transform_input_iterator_tIbNSD_35transform_pair_of_input_iterators_tIbNS6_6detail15normal_iteratorINS6_10device_ptrIKiEEEESL_NS6_8equal_toIiEEEENSG_9not_fun_tINSD_8identityEEEEENSD_19counting_iterator_tIlEES8_S8_S8_S8_S8_S8_S8_S8_EEEEPS9_S9_NSD_9__find_if7functorIS9_EEEE10hipError_tPvRmT1_T2_T3_mT4_P12ihipStream_tbEUlT_E0_NS1_11comp_targetILNS1_3genE10ELNS1_11target_archE1200ELNS1_3gpuE4ELNS1_3repE0EEENS1_30default_config_static_selectorELNS0_4arch9wavefront6targetE1EEEvS14_
    .private_segment_fixed_size: 0
    .sgpr_count:     6
    .sgpr_spill_count: 0
    .symbol:         _ZN7rocprim17ROCPRIM_400000_NS6detail17trampoline_kernelINS0_14default_configENS1_22reduce_config_selectorIN6thrust23THRUST_200600_302600_NS5tupleIblNS6_9null_typeES8_S8_S8_S8_S8_S8_S8_EEEEZNS1_11reduce_implILb1ES3_NS6_12zip_iteratorINS7_INS6_11hip_rocprim26transform_input_iterator_tIbNSD_35transform_pair_of_input_iterators_tIbNS6_6detail15normal_iteratorINS6_10device_ptrIKiEEEESL_NS6_8equal_toIiEEEENSG_9not_fun_tINSD_8identityEEEEENSD_19counting_iterator_tIlEES8_S8_S8_S8_S8_S8_S8_S8_EEEEPS9_S9_NSD_9__find_if7functorIS9_EEEE10hipError_tPvRmT1_T2_T3_mT4_P12ihipStream_tbEUlT_E0_NS1_11comp_targetILNS1_3genE10ELNS1_11target_archE1200ELNS1_3gpuE4ELNS1_3repE0EEENS1_30default_config_static_selectorELNS0_4arch9wavefront6targetE1EEEvS14_.kd
    .uniform_work_group_size: 1
    .uses_dynamic_stack: false
    .vgpr_count:     0
    .vgpr_spill_count: 0
    .wavefront_size: 64
  - .agpr_count:     0
    .args:
      - .offset:         0
        .size:           104
        .value_kind:     by_value
    .group_segment_fixed_size: 0
    .kernarg_segment_align: 8
    .kernarg_segment_size: 104
    .language:       OpenCL C
    .language_version:
      - 2
      - 0
    .max_flat_workgroup_size: 256
    .name:           _ZN7rocprim17ROCPRIM_400000_NS6detail17trampoline_kernelINS0_14default_configENS1_22reduce_config_selectorIN6thrust23THRUST_200600_302600_NS5tupleIblNS6_9null_typeES8_S8_S8_S8_S8_S8_S8_EEEEZNS1_11reduce_implILb1ES3_NS6_12zip_iteratorINS7_INS6_11hip_rocprim26transform_input_iterator_tIbNSD_35transform_pair_of_input_iterators_tIbNS6_6detail15normal_iteratorINS6_10device_ptrIKiEEEESL_NS6_8equal_toIiEEEENSG_9not_fun_tINSD_8identityEEEEENSD_19counting_iterator_tIlEES8_S8_S8_S8_S8_S8_S8_S8_EEEEPS9_S9_NSD_9__find_if7functorIS9_EEEE10hipError_tPvRmT1_T2_T3_mT4_P12ihipStream_tbEUlT_E0_NS1_11comp_targetILNS1_3genE9ELNS1_11target_archE1100ELNS1_3gpuE3ELNS1_3repE0EEENS1_30default_config_static_selectorELNS0_4arch9wavefront6targetE1EEEvS14_
    .private_segment_fixed_size: 0
    .sgpr_count:     6
    .sgpr_spill_count: 0
    .symbol:         _ZN7rocprim17ROCPRIM_400000_NS6detail17trampoline_kernelINS0_14default_configENS1_22reduce_config_selectorIN6thrust23THRUST_200600_302600_NS5tupleIblNS6_9null_typeES8_S8_S8_S8_S8_S8_S8_EEEEZNS1_11reduce_implILb1ES3_NS6_12zip_iteratorINS7_INS6_11hip_rocprim26transform_input_iterator_tIbNSD_35transform_pair_of_input_iterators_tIbNS6_6detail15normal_iteratorINS6_10device_ptrIKiEEEESL_NS6_8equal_toIiEEEENSG_9not_fun_tINSD_8identityEEEEENSD_19counting_iterator_tIlEES8_S8_S8_S8_S8_S8_S8_S8_EEEEPS9_S9_NSD_9__find_if7functorIS9_EEEE10hipError_tPvRmT1_T2_T3_mT4_P12ihipStream_tbEUlT_E0_NS1_11comp_targetILNS1_3genE9ELNS1_11target_archE1100ELNS1_3gpuE3ELNS1_3repE0EEENS1_30default_config_static_selectorELNS0_4arch9wavefront6targetE1EEEvS14_.kd
    .uniform_work_group_size: 1
    .uses_dynamic_stack: false
    .vgpr_count:     0
    .vgpr_spill_count: 0
    .wavefront_size: 64
  - .agpr_count:     0
    .args:
      - .offset:         0
        .size:           104
        .value_kind:     by_value
    .group_segment_fixed_size: 0
    .kernarg_segment_align: 8
    .kernarg_segment_size: 104
    .language:       OpenCL C
    .language_version:
      - 2
      - 0
    .max_flat_workgroup_size: 256
    .name:           _ZN7rocprim17ROCPRIM_400000_NS6detail17trampoline_kernelINS0_14default_configENS1_22reduce_config_selectorIN6thrust23THRUST_200600_302600_NS5tupleIblNS6_9null_typeES8_S8_S8_S8_S8_S8_S8_EEEEZNS1_11reduce_implILb1ES3_NS6_12zip_iteratorINS7_INS6_11hip_rocprim26transform_input_iterator_tIbNSD_35transform_pair_of_input_iterators_tIbNS6_6detail15normal_iteratorINS6_10device_ptrIKiEEEESL_NS6_8equal_toIiEEEENSG_9not_fun_tINSD_8identityEEEEENSD_19counting_iterator_tIlEES8_S8_S8_S8_S8_S8_S8_S8_EEEEPS9_S9_NSD_9__find_if7functorIS9_EEEE10hipError_tPvRmT1_T2_T3_mT4_P12ihipStream_tbEUlT_E0_NS1_11comp_targetILNS1_3genE8ELNS1_11target_archE1030ELNS1_3gpuE2ELNS1_3repE0EEENS1_30default_config_static_selectorELNS0_4arch9wavefront6targetE1EEEvS14_
    .private_segment_fixed_size: 0
    .sgpr_count:     6
    .sgpr_spill_count: 0
    .symbol:         _ZN7rocprim17ROCPRIM_400000_NS6detail17trampoline_kernelINS0_14default_configENS1_22reduce_config_selectorIN6thrust23THRUST_200600_302600_NS5tupleIblNS6_9null_typeES8_S8_S8_S8_S8_S8_S8_EEEEZNS1_11reduce_implILb1ES3_NS6_12zip_iteratorINS7_INS6_11hip_rocprim26transform_input_iterator_tIbNSD_35transform_pair_of_input_iterators_tIbNS6_6detail15normal_iteratorINS6_10device_ptrIKiEEEESL_NS6_8equal_toIiEEEENSG_9not_fun_tINSD_8identityEEEEENSD_19counting_iterator_tIlEES8_S8_S8_S8_S8_S8_S8_S8_EEEEPS9_S9_NSD_9__find_if7functorIS9_EEEE10hipError_tPvRmT1_T2_T3_mT4_P12ihipStream_tbEUlT_E0_NS1_11comp_targetILNS1_3genE8ELNS1_11target_archE1030ELNS1_3gpuE2ELNS1_3repE0EEENS1_30default_config_static_selectorELNS0_4arch9wavefront6targetE1EEEvS14_.kd
    .uniform_work_group_size: 1
    .uses_dynamic_stack: false
    .vgpr_count:     0
    .vgpr_spill_count: 0
    .wavefront_size: 64
  - .agpr_count:     0
    .args:
      - .offset:         0
        .size:           88
        .value_kind:     by_value
    .group_segment_fixed_size: 0
    .kernarg_segment_align: 8
    .kernarg_segment_size: 88
    .language:       OpenCL C
    .language_version:
      - 2
      - 0
    .max_flat_workgroup_size: 128
    .name:           _ZN7rocprim17ROCPRIM_400000_NS6detail17trampoline_kernelINS0_14default_configENS1_22reduce_config_selectorIN6thrust23THRUST_200600_302600_NS5tupleIblNS6_9null_typeES8_S8_S8_S8_S8_S8_S8_EEEEZNS1_11reduce_implILb1ES3_NS6_12zip_iteratorINS7_INS6_11hip_rocprim26transform_input_iterator_tIbNSD_35transform_pair_of_input_iterators_tIbNS6_6detail15normal_iteratorINS6_10device_ptrIKiEEEESL_NS6_8equal_toIiEEEENSG_9not_fun_tINSD_8identityEEEEENSD_19counting_iterator_tIlEES8_S8_S8_S8_S8_S8_S8_S8_EEEEPS9_S9_NSD_9__find_if7functorIS9_EEEE10hipError_tPvRmT1_T2_T3_mT4_P12ihipStream_tbEUlT_E1_NS1_11comp_targetILNS1_3genE0ELNS1_11target_archE4294967295ELNS1_3gpuE0ELNS1_3repE0EEENS1_30default_config_static_selectorELNS0_4arch9wavefront6targetE1EEEvS14_
    .private_segment_fixed_size: 0
    .sgpr_count:     6
    .sgpr_spill_count: 0
    .symbol:         _ZN7rocprim17ROCPRIM_400000_NS6detail17trampoline_kernelINS0_14default_configENS1_22reduce_config_selectorIN6thrust23THRUST_200600_302600_NS5tupleIblNS6_9null_typeES8_S8_S8_S8_S8_S8_S8_EEEEZNS1_11reduce_implILb1ES3_NS6_12zip_iteratorINS7_INS6_11hip_rocprim26transform_input_iterator_tIbNSD_35transform_pair_of_input_iterators_tIbNS6_6detail15normal_iteratorINS6_10device_ptrIKiEEEESL_NS6_8equal_toIiEEEENSG_9not_fun_tINSD_8identityEEEEENSD_19counting_iterator_tIlEES8_S8_S8_S8_S8_S8_S8_S8_EEEEPS9_S9_NSD_9__find_if7functorIS9_EEEE10hipError_tPvRmT1_T2_T3_mT4_P12ihipStream_tbEUlT_E1_NS1_11comp_targetILNS1_3genE0ELNS1_11target_archE4294967295ELNS1_3gpuE0ELNS1_3repE0EEENS1_30default_config_static_selectorELNS0_4arch9wavefront6targetE1EEEvS14_.kd
    .uniform_work_group_size: 1
    .uses_dynamic_stack: false
    .vgpr_count:     0
    .vgpr_spill_count: 0
    .wavefront_size: 64
  - .agpr_count:     0
    .args:
      - .offset:         0
        .size:           88
        .value_kind:     by_value
    .group_segment_fixed_size: 384
    .kernarg_segment_align: 8
    .kernarg_segment_size: 88
    .language:       OpenCL C
    .language_version:
      - 2
      - 0
    .max_flat_workgroup_size: 256
    .name:           _ZN7rocprim17ROCPRIM_400000_NS6detail17trampoline_kernelINS0_14default_configENS1_22reduce_config_selectorIN6thrust23THRUST_200600_302600_NS5tupleIblNS6_9null_typeES8_S8_S8_S8_S8_S8_S8_EEEEZNS1_11reduce_implILb1ES3_NS6_12zip_iteratorINS7_INS6_11hip_rocprim26transform_input_iterator_tIbNSD_35transform_pair_of_input_iterators_tIbNS6_6detail15normal_iteratorINS6_10device_ptrIKiEEEESL_NS6_8equal_toIiEEEENSG_9not_fun_tINSD_8identityEEEEENSD_19counting_iterator_tIlEES8_S8_S8_S8_S8_S8_S8_S8_EEEEPS9_S9_NSD_9__find_if7functorIS9_EEEE10hipError_tPvRmT1_T2_T3_mT4_P12ihipStream_tbEUlT_E1_NS1_11comp_targetILNS1_3genE5ELNS1_11target_archE942ELNS1_3gpuE9ELNS1_3repE0EEENS1_30default_config_static_selectorELNS0_4arch9wavefront6targetE1EEEvS14_
    .private_segment_fixed_size: 0
    .sgpr_count:     62
    .sgpr_spill_count: 0
    .symbol:         _ZN7rocprim17ROCPRIM_400000_NS6detail17trampoline_kernelINS0_14default_configENS1_22reduce_config_selectorIN6thrust23THRUST_200600_302600_NS5tupleIblNS6_9null_typeES8_S8_S8_S8_S8_S8_S8_EEEEZNS1_11reduce_implILb1ES3_NS6_12zip_iteratorINS7_INS6_11hip_rocprim26transform_input_iterator_tIbNSD_35transform_pair_of_input_iterators_tIbNS6_6detail15normal_iteratorINS6_10device_ptrIKiEEEESL_NS6_8equal_toIiEEEENSG_9not_fun_tINSD_8identityEEEEENSD_19counting_iterator_tIlEES8_S8_S8_S8_S8_S8_S8_S8_EEEEPS9_S9_NSD_9__find_if7functorIS9_EEEE10hipError_tPvRmT1_T2_T3_mT4_P12ihipStream_tbEUlT_E1_NS1_11comp_targetILNS1_3genE5ELNS1_11target_archE942ELNS1_3gpuE9ELNS1_3repE0EEENS1_30default_config_static_selectorELNS0_4arch9wavefront6targetE1EEEvS14_.kd
    .uniform_work_group_size: 1
    .uses_dynamic_stack: false
    .vgpr_count:     52
    .vgpr_spill_count: 0
    .wavefront_size: 64
  - .agpr_count:     0
    .args:
      - .offset:         0
        .size:           88
        .value_kind:     by_value
    .group_segment_fixed_size: 0
    .kernarg_segment_align: 8
    .kernarg_segment_size: 88
    .language:       OpenCL C
    .language_version:
      - 2
      - 0
    .max_flat_workgroup_size: 256
    .name:           _ZN7rocprim17ROCPRIM_400000_NS6detail17trampoline_kernelINS0_14default_configENS1_22reduce_config_selectorIN6thrust23THRUST_200600_302600_NS5tupleIblNS6_9null_typeES8_S8_S8_S8_S8_S8_S8_EEEEZNS1_11reduce_implILb1ES3_NS6_12zip_iteratorINS7_INS6_11hip_rocprim26transform_input_iterator_tIbNSD_35transform_pair_of_input_iterators_tIbNS6_6detail15normal_iteratorINS6_10device_ptrIKiEEEESL_NS6_8equal_toIiEEEENSG_9not_fun_tINSD_8identityEEEEENSD_19counting_iterator_tIlEES8_S8_S8_S8_S8_S8_S8_S8_EEEEPS9_S9_NSD_9__find_if7functorIS9_EEEE10hipError_tPvRmT1_T2_T3_mT4_P12ihipStream_tbEUlT_E1_NS1_11comp_targetILNS1_3genE4ELNS1_11target_archE910ELNS1_3gpuE8ELNS1_3repE0EEENS1_30default_config_static_selectorELNS0_4arch9wavefront6targetE1EEEvS14_
    .private_segment_fixed_size: 0
    .sgpr_count:     6
    .sgpr_spill_count: 0
    .symbol:         _ZN7rocprim17ROCPRIM_400000_NS6detail17trampoline_kernelINS0_14default_configENS1_22reduce_config_selectorIN6thrust23THRUST_200600_302600_NS5tupleIblNS6_9null_typeES8_S8_S8_S8_S8_S8_S8_EEEEZNS1_11reduce_implILb1ES3_NS6_12zip_iteratorINS7_INS6_11hip_rocprim26transform_input_iterator_tIbNSD_35transform_pair_of_input_iterators_tIbNS6_6detail15normal_iteratorINS6_10device_ptrIKiEEEESL_NS6_8equal_toIiEEEENSG_9not_fun_tINSD_8identityEEEEENSD_19counting_iterator_tIlEES8_S8_S8_S8_S8_S8_S8_S8_EEEEPS9_S9_NSD_9__find_if7functorIS9_EEEE10hipError_tPvRmT1_T2_T3_mT4_P12ihipStream_tbEUlT_E1_NS1_11comp_targetILNS1_3genE4ELNS1_11target_archE910ELNS1_3gpuE8ELNS1_3repE0EEENS1_30default_config_static_selectorELNS0_4arch9wavefront6targetE1EEEvS14_.kd
    .uniform_work_group_size: 1
    .uses_dynamic_stack: false
    .vgpr_count:     0
    .vgpr_spill_count: 0
    .wavefront_size: 64
  - .agpr_count:     0
    .args:
      - .offset:         0
        .size:           88
        .value_kind:     by_value
    .group_segment_fixed_size: 0
    .kernarg_segment_align: 8
    .kernarg_segment_size: 88
    .language:       OpenCL C
    .language_version:
      - 2
      - 0
    .max_flat_workgroup_size: 128
    .name:           _ZN7rocprim17ROCPRIM_400000_NS6detail17trampoline_kernelINS0_14default_configENS1_22reduce_config_selectorIN6thrust23THRUST_200600_302600_NS5tupleIblNS6_9null_typeES8_S8_S8_S8_S8_S8_S8_EEEEZNS1_11reduce_implILb1ES3_NS6_12zip_iteratorINS7_INS6_11hip_rocprim26transform_input_iterator_tIbNSD_35transform_pair_of_input_iterators_tIbNS6_6detail15normal_iteratorINS6_10device_ptrIKiEEEESL_NS6_8equal_toIiEEEENSG_9not_fun_tINSD_8identityEEEEENSD_19counting_iterator_tIlEES8_S8_S8_S8_S8_S8_S8_S8_EEEEPS9_S9_NSD_9__find_if7functorIS9_EEEE10hipError_tPvRmT1_T2_T3_mT4_P12ihipStream_tbEUlT_E1_NS1_11comp_targetILNS1_3genE3ELNS1_11target_archE908ELNS1_3gpuE7ELNS1_3repE0EEENS1_30default_config_static_selectorELNS0_4arch9wavefront6targetE1EEEvS14_
    .private_segment_fixed_size: 0
    .sgpr_count:     6
    .sgpr_spill_count: 0
    .symbol:         _ZN7rocprim17ROCPRIM_400000_NS6detail17trampoline_kernelINS0_14default_configENS1_22reduce_config_selectorIN6thrust23THRUST_200600_302600_NS5tupleIblNS6_9null_typeES8_S8_S8_S8_S8_S8_S8_EEEEZNS1_11reduce_implILb1ES3_NS6_12zip_iteratorINS7_INS6_11hip_rocprim26transform_input_iterator_tIbNSD_35transform_pair_of_input_iterators_tIbNS6_6detail15normal_iteratorINS6_10device_ptrIKiEEEESL_NS6_8equal_toIiEEEENSG_9not_fun_tINSD_8identityEEEEENSD_19counting_iterator_tIlEES8_S8_S8_S8_S8_S8_S8_S8_EEEEPS9_S9_NSD_9__find_if7functorIS9_EEEE10hipError_tPvRmT1_T2_T3_mT4_P12ihipStream_tbEUlT_E1_NS1_11comp_targetILNS1_3genE3ELNS1_11target_archE908ELNS1_3gpuE7ELNS1_3repE0EEENS1_30default_config_static_selectorELNS0_4arch9wavefront6targetE1EEEvS14_.kd
    .uniform_work_group_size: 1
    .uses_dynamic_stack: false
    .vgpr_count:     0
    .vgpr_spill_count: 0
    .wavefront_size: 64
  - .agpr_count:     0
    .args:
      - .offset:         0
        .size:           88
        .value_kind:     by_value
    .group_segment_fixed_size: 0
    .kernarg_segment_align: 8
    .kernarg_segment_size: 88
    .language:       OpenCL C
    .language_version:
      - 2
      - 0
    .max_flat_workgroup_size: 128
    .name:           _ZN7rocprim17ROCPRIM_400000_NS6detail17trampoline_kernelINS0_14default_configENS1_22reduce_config_selectorIN6thrust23THRUST_200600_302600_NS5tupleIblNS6_9null_typeES8_S8_S8_S8_S8_S8_S8_EEEEZNS1_11reduce_implILb1ES3_NS6_12zip_iteratorINS7_INS6_11hip_rocprim26transform_input_iterator_tIbNSD_35transform_pair_of_input_iterators_tIbNS6_6detail15normal_iteratorINS6_10device_ptrIKiEEEESL_NS6_8equal_toIiEEEENSG_9not_fun_tINSD_8identityEEEEENSD_19counting_iterator_tIlEES8_S8_S8_S8_S8_S8_S8_S8_EEEEPS9_S9_NSD_9__find_if7functorIS9_EEEE10hipError_tPvRmT1_T2_T3_mT4_P12ihipStream_tbEUlT_E1_NS1_11comp_targetILNS1_3genE2ELNS1_11target_archE906ELNS1_3gpuE6ELNS1_3repE0EEENS1_30default_config_static_selectorELNS0_4arch9wavefront6targetE1EEEvS14_
    .private_segment_fixed_size: 0
    .sgpr_count:     6
    .sgpr_spill_count: 0
    .symbol:         _ZN7rocprim17ROCPRIM_400000_NS6detail17trampoline_kernelINS0_14default_configENS1_22reduce_config_selectorIN6thrust23THRUST_200600_302600_NS5tupleIblNS6_9null_typeES8_S8_S8_S8_S8_S8_S8_EEEEZNS1_11reduce_implILb1ES3_NS6_12zip_iteratorINS7_INS6_11hip_rocprim26transform_input_iterator_tIbNSD_35transform_pair_of_input_iterators_tIbNS6_6detail15normal_iteratorINS6_10device_ptrIKiEEEESL_NS6_8equal_toIiEEEENSG_9not_fun_tINSD_8identityEEEEENSD_19counting_iterator_tIlEES8_S8_S8_S8_S8_S8_S8_S8_EEEEPS9_S9_NSD_9__find_if7functorIS9_EEEE10hipError_tPvRmT1_T2_T3_mT4_P12ihipStream_tbEUlT_E1_NS1_11comp_targetILNS1_3genE2ELNS1_11target_archE906ELNS1_3gpuE6ELNS1_3repE0EEENS1_30default_config_static_selectorELNS0_4arch9wavefront6targetE1EEEvS14_.kd
    .uniform_work_group_size: 1
    .uses_dynamic_stack: false
    .vgpr_count:     0
    .vgpr_spill_count: 0
    .wavefront_size: 64
  - .agpr_count:     0
    .args:
      - .offset:         0
        .size:           88
        .value_kind:     by_value
    .group_segment_fixed_size: 0
    .kernarg_segment_align: 8
    .kernarg_segment_size: 88
    .language:       OpenCL C
    .language_version:
      - 2
      - 0
    .max_flat_workgroup_size: 256
    .name:           _ZN7rocprim17ROCPRIM_400000_NS6detail17trampoline_kernelINS0_14default_configENS1_22reduce_config_selectorIN6thrust23THRUST_200600_302600_NS5tupleIblNS6_9null_typeES8_S8_S8_S8_S8_S8_S8_EEEEZNS1_11reduce_implILb1ES3_NS6_12zip_iteratorINS7_INS6_11hip_rocprim26transform_input_iterator_tIbNSD_35transform_pair_of_input_iterators_tIbNS6_6detail15normal_iteratorINS6_10device_ptrIKiEEEESL_NS6_8equal_toIiEEEENSG_9not_fun_tINSD_8identityEEEEENSD_19counting_iterator_tIlEES8_S8_S8_S8_S8_S8_S8_S8_EEEEPS9_S9_NSD_9__find_if7functorIS9_EEEE10hipError_tPvRmT1_T2_T3_mT4_P12ihipStream_tbEUlT_E1_NS1_11comp_targetILNS1_3genE10ELNS1_11target_archE1201ELNS1_3gpuE5ELNS1_3repE0EEENS1_30default_config_static_selectorELNS0_4arch9wavefront6targetE1EEEvS14_
    .private_segment_fixed_size: 0
    .sgpr_count:     6
    .sgpr_spill_count: 0
    .symbol:         _ZN7rocprim17ROCPRIM_400000_NS6detail17trampoline_kernelINS0_14default_configENS1_22reduce_config_selectorIN6thrust23THRUST_200600_302600_NS5tupleIblNS6_9null_typeES8_S8_S8_S8_S8_S8_S8_EEEEZNS1_11reduce_implILb1ES3_NS6_12zip_iteratorINS7_INS6_11hip_rocprim26transform_input_iterator_tIbNSD_35transform_pair_of_input_iterators_tIbNS6_6detail15normal_iteratorINS6_10device_ptrIKiEEEESL_NS6_8equal_toIiEEEENSG_9not_fun_tINSD_8identityEEEEENSD_19counting_iterator_tIlEES8_S8_S8_S8_S8_S8_S8_S8_EEEEPS9_S9_NSD_9__find_if7functorIS9_EEEE10hipError_tPvRmT1_T2_T3_mT4_P12ihipStream_tbEUlT_E1_NS1_11comp_targetILNS1_3genE10ELNS1_11target_archE1201ELNS1_3gpuE5ELNS1_3repE0EEENS1_30default_config_static_selectorELNS0_4arch9wavefront6targetE1EEEvS14_.kd
    .uniform_work_group_size: 1
    .uses_dynamic_stack: false
    .vgpr_count:     0
    .vgpr_spill_count: 0
    .wavefront_size: 64
  - .agpr_count:     0
    .args:
      - .offset:         0
        .size:           88
        .value_kind:     by_value
    .group_segment_fixed_size: 0
    .kernarg_segment_align: 8
    .kernarg_segment_size: 88
    .language:       OpenCL C
    .language_version:
      - 2
      - 0
    .max_flat_workgroup_size: 256
    .name:           _ZN7rocprim17ROCPRIM_400000_NS6detail17trampoline_kernelINS0_14default_configENS1_22reduce_config_selectorIN6thrust23THRUST_200600_302600_NS5tupleIblNS6_9null_typeES8_S8_S8_S8_S8_S8_S8_EEEEZNS1_11reduce_implILb1ES3_NS6_12zip_iteratorINS7_INS6_11hip_rocprim26transform_input_iterator_tIbNSD_35transform_pair_of_input_iterators_tIbNS6_6detail15normal_iteratorINS6_10device_ptrIKiEEEESL_NS6_8equal_toIiEEEENSG_9not_fun_tINSD_8identityEEEEENSD_19counting_iterator_tIlEES8_S8_S8_S8_S8_S8_S8_S8_EEEEPS9_S9_NSD_9__find_if7functorIS9_EEEE10hipError_tPvRmT1_T2_T3_mT4_P12ihipStream_tbEUlT_E1_NS1_11comp_targetILNS1_3genE10ELNS1_11target_archE1200ELNS1_3gpuE4ELNS1_3repE0EEENS1_30default_config_static_selectorELNS0_4arch9wavefront6targetE1EEEvS14_
    .private_segment_fixed_size: 0
    .sgpr_count:     6
    .sgpr_spill_count: 0
    .symbol:         _ZN7rocprim17ROCPRIM_400000_NS6detail17trampoline_kernelINS0_14default_configENS1_22reduce_config_selectorIN6thrust23THRUST_200600_302600_NS5tupleIblNS6_9null_typeES8_S8_S8_S8_S8_S8_S8_EEEEZNS1_11reduce_implILb1ES3_NS6_12zip_iteratorINS7_INS6_11hip_rocprim26transform_input_iterator_tIbNSD_35transform_pair_of_input_iterators_tIbNS6_6detail15normal_iteratorINS6_10device_ptrIKiEEEESL_NS6_8equal_toIiEEEENSG_9not_fun_tINSD_8identityEEEEENSD_19counting_iterator_tIlEES8_S8_S8_S8_S8_S8_S8_S8_EEEEPS9_S9_NSD_9__find_if7functorIS9_EEEE10hipError_tPvRmT1_T2_T3_mT4_P12ihipStream_tbEUlT_E1_NS1_11comp_targetILNS1_3genE10ELNS1_11target_archE1200ELNS1_3gpuE4ELNS1_3repE0EEENS1_30default_config_static_selectorELNS0_4arch9wavefront6targetE1EEEvS14_.kd
    .uniform_work_group_size: 1
    .uses_dynamic_stack: false
    .vgpr_count:     0
    .vgpr_spill_count: 0
    .wavefront_size: 64
  - .agpr_count:     0
    .args:
      - .offset:         0
        .size:           88
        .value_kind:     by_value
    .group_segment_fixed_size: 0
    .kernarg_segment_align: 8
    .kernarg_segment_size: 88
    .language:       OpenCL C
    .language_version:
      - 2
      - 0
    .max_flat_workgroup_size: 256
    .name:           _ZN7rocprim17ROCPRIM_400000_NS6detail17trampoline_kernelINS0_14default_configENS1_22reduce_config_selectorIN6thrust23THRUST_200600_302600_NS5tupleIblNS6_9null_typeES8_S8_S8_S8_S8_S8_S8_EEEEZNS1_11reduce_implILb1ES3_NS6_12zip_iteratorINS7_INS6_11hip_rocprim26transform_input_iterator_tIbNSD_35transform_pair_of_input_iterators_tIbNS6_6detail15normal_iteratorINS6_10device_ptrIKiEEEESL_NS6_8equal_toIiEEEENSG_9not_fun_tINSD_8identityEEEEENSD_19counting_iterator_tIlEES8_S8_S8_S8_S8_S8_S8_S8_EEEEPS9_S9_NSD_9__find_if7functorIS9_EEEE10hipError_tPvRmT1_T2_T3_mT4_P12ihipStream_tbEUlT_E1_NS1_11comp_targetILNS1_3genE9ELNS1_11target_archE1100ELNS1_3gpuE3ELNS1_3repE0EEENS1_30default_config_static_selectorELNS0_4arch9wavefront6targetE1EEEvS14_
    .private_segment_fixed_size: 0
    .sgpr_count:     6
    .sgpr_spill_count: 0
    .symbol:         _ZN7rocprim17ROCPRIM_400000_NS6detail17trampoline_kernelINS0_14default_configENS1_22reduce_config_selectorIN6thrust23THRUST_200600_302600_NS5tupleIblNS6_9null_typeES8_S8_S8_S8_S8_S8_S8_EEEEZNS1_11reduce_implILb1ES3_NS6_12zip_iteratorINS7_INS6_11hip_rocprim26transform_input_iterator_tIbNSD_35transform_pair_of_input_iterators_tIbNS6_6detail15normal_iteratorINS6_10device_ptrIKiEEEESL_NS6_8equal_toIiEEEENSG_9not_fun_tINSD_8identityEEEEENSD_19counting_iterator_tIlEES8_S8_S8_S8_S8_S8_S8_S8_EEEEPS9_S9_NSD_9__find_if7functorIS9_EEEE10hipError_tPvRmT1_T2_T3_mT4_P12ihipStream_tbEUlT_E1_NS1_11comp_targetILNS1_3genE9ELNS1_11target_archE1100ELNS1_3gpuE3ELNS1_3repE0EEENS1_30default_config_static_selectorELNS0_4arch9wavefront6targetE1EEEvS14_.kd
    .uniform_work_group_size: 1
    .uses_dynamic_stack: false
    .vgpr_count:     0
    .vgpr_spill_count: 0
    .wavefront_size: 64
  - .agpr_count:     0
    .args:
      - .offset:         0
        .size:           88
        .value_kind:     by_value
    .group_segment_fixed_size: 0
    .kernarg_segment_align: 8
    .kernarg_segment_size: 88
    .language:       OpenCL C
    .language_version:
      - 2
      - 0
    .max_flat_workgroup_size: 256
    .name:           _ZN7rocprim17ROCPRIM_400000_NS6detail17trampoline_kernelINS0_14default_configENS1_22reduce_config_selectorIN6thrust23THRUST_200600_302600_NS5tupleIblNS6_9null_typeES8_S8_S8_S8_S8_S8_S8_EEEEZNS1_11reduce_implILb1ES3_NS6_12zip_iteratorINS7_INS6_11hip_rocprim26transform_input_iterator_tIbNSD_35transform_pair_of_input_iterators_tIbNS6_6detail15normal_iteratorINS6_10device_ptrIKiEEEESL_NS6_8equal_toIiEEEENSG_9not_fun_tINSD_8identityEEEEENSD_19counting_iterator_tIlEES8_S8_S8_S8_S8_S8_S8_S8_EEEEPS9_S9_NSD_9__find_if7functorIS9_EEEE10hipError_tPvRmT1_T2_T3_mT4_P12ihipStream_tbEUlT_E1_NS1_11comp_targetILNS1_3genE8ELNS1_11target_archE1030ELNS1_3gpuE2ELNS1_3repE0EEENS1_30default_config_static_selectorELNS0_4arch9wavefront6targetE1EEEvS14_
    .private_segment_fixed_size: 0
    .sgpr_count:     6
    .sgpr_spill_count: 0
    .symbol:         _ZN7rocprim17ROCPRIM_400000_NS6detail17trampoline_kernelINS0_14default_configENS1_22reduce_config_selectorIN6thrust23THRUST_200600_302600_NS5tupleIblNS6_9null_typeES8_S8_S8_S8_S8_S8_S8_EEEEZNS1_11reduce_implILb1ES3_NS6_12zip_iteratorINS7_INS6_11hip_rocprim26transform_input_iterator_tIbNSD_35transform_pair_of_input_iterators_tIbNS6_6detail15normal_iteratorINS6_10device_ptrIKiEEEESL_NS6_8equal_toIiEEEENSG_9not_fun_tINSD_8identityEEEEENSD_19counting_iterator_tIlEES8_S8_S8_S8_S8_S8_S8_S8_EEEEPS9_S9_NSD_9__find_if7functorIS9_EEEE10hipError_tPvRmT1_T2_T3_mT4_P12ihipStream_tbEUlT_E1_NS1_11comp_targetILNS1_3genE8ELNS1_11target_archE1030ELNS1_3gpuE2ELNS1_3repE0EEENS1_30default_config_static_selectorELNS0_4arch9wavefront6targetE1EEEvS14_.kd
    .uniform_work_group_size: 1
    .uses_dynamic_stack: false
    .vgpr_count:     0
    .vgpr_spill_count: 0
    .wavefront_size: 64
  - .agpr_count:     0
    .args:
      - .offset:         0
        .size:           16
        .value_kind:     by_value
      - .offset:         16
        .size:           8
        .value_kind:     by_value
      - .offset:         24
        .size:           8
        .value_kind:     by_value
    .group_segment_fixed_size: 0
    .kernarg_segment_align: 8
    .kernarg_segment_size: 32
    .language:       OpenCL C
    .language_version:
      - 2
      - 0
    .max_flat_workgroup_size: 256
    .name:           _ZN6thrust23THRUST_200600_302600_NS11hip_rocprim14__parallel_for6kernelILj256ENS1_20__uninitialized_fill7functorINS0_10device_ptrIsEEsEEmLj1EEEvT0_T1_SA_
    .private_segment_fixed_size: 0
    .sgpr_count:     14
    .sgpr_spill_count: 0
    .symbol:         _ZN6thrust23THRUST_200600_302600_NS11hip_rocprim14__parallel_for6kernelILj256ENS1_20__uninitialized_fill7functorINS0_10device_ptrIsEEsEEmLj1EEEvT0_T1_SA_.kd
    .uniform_work_group_size: 1
    .uses_dynamic_stack: false
    .vgpr_count:     4
    .vgpr_spill_count: 0
    .wavefront_size: 64
  - .agpr_count:     0
    .args:
      - .offset:         0
        .size:           16
        .value_kind:     by_value
      - .offset:         16
        .size:           8
        .value_kind:     by_value
      - .offset:         24
        .size:           8
        .value_kind:     by_value
    .group_segment_fixed_size: 0
    .kernarg_segment_align: 8
    .kernarg_segment_size: 32
    .language:       OpenCL C
    .language_version:
      - 2
      - 0
    .max_flat_workgroup_size: 256
    .name:           _ZN6thrust23THRUST_200600_302600_NS11hip_rocprim14__parallel_for6kernelILj256ENS1_20__uninitialized_copy7functorINS0_6detail15normal_iteratorINS0_10device_ptrIsEEEENS7_INS0_7pointerIsNS1_3tagENS0_11use_defaultESD_EEEEEElLj1EEEvT0_T1_SI_
    .private_segment_fixed_size: 0
    .sgpr_count:     18
    .sgpr_spill_count: 0
    .symbol:         _ZN6thrust23THRUST_200600_302600_NS11hip_rocprim14__parallel_for6kernelILj256ENS1_20__uninitialized_copy7functorINS0_6detail15normal_iteratorINS0_10device_ptrIsEEEENS7_INS0_7pointerIsNS1_3tagENS0_11use_defaultESD_EEEEEElLj1EEEvT0_T1_SI_.kd
    .uniform_work_group_size: 1
    .uses_dynamic_stack: false
    .vgpr_count:     6
    .vgpr_spill_count: 0
    .wavefront_size: 64
  - .agpr_count:     0
    .args:
      - .offset:         0
        .size:           120
        .value_kind:     by_value
    .group_segment_fixed_size: 0
    .kernarg_segment_align: 8
    .kernarg_segment_size: 120
    .language:       OpenCL C
    .language_version:
      - 2
      - 0
    .max_flat_workgroup_size: 256
    .name:           _ZN7rocprim17ROCPRIM_400000_NS6detail17trampoline_kernelINS0_14default_configENS1_25partition_config_selectorILNS1_17partition_subalgoE3EsNS0_10empty_typeEbEEZZNS1_14partition_implILS5_3ELb0ES3_jN6thrust23THRUST_200600_302600_NS6detail15normal_iteratorINSA_7pointerIsNSA_11hip_rocprim3tagENSA_11use_defaultESG_EEEEPS6_SJ_NS0_5tupleIJPsSJ_EEENSK_IJSJ_SJ_EEES6_PlJ7is_evenIsEEEE10hipError_tPvRmT3_T4_T5_T6_T7_T9_mT8_P12ihipStream_tbDpT10_ENKUlT_T0_E_clISt17integral_constantIbLb0EES1A_EEDaS15_S16_EUlS15_E_NS1_11comp_targetILNS1_3genE0ELNS1_11target_archE4294967295ELNS1_3gpuE0ELNS1_3repE0EEENS1_30default_config_static_selectorELNS0_4arch9wavefront6targetE1EEEvT1_
    .private_segment_fixed_size: 0
    .sgpr_count:     6
    .sgpr_spill_count: 0
    .symbol:         _ZN7rocprim17ROCPRIM_400000_NS6detail17trampoline_kernelINS0_14default_configENS1_25partition_config_selectorILNS1_17partition_subalgoE3EsNS0_10empty_typeEbEEZZNS1_14partition_implILS5_3ELb0ES3_jN6thrust23THRUST_200600_302600_NS6detail15normal_iteratorINSA_7pointerIsNSA_11hip_rocprim3tagENSA_11use_defaultESG_EEEEPS6_SJ_NS0_5tupleIJPsSJ_EEENSK_IJSJ_SJ_EEES6_PlJ7is_evenIsEEEE10hipError_tPvRmT3_T4_T5_T6_T7_T9_mT8_P12ihipStream_tbDpT10_ENKUlT_T0_E_clISt17integral_constantIbLb0EES1A_EEDaS15_S16_EUlS15_E_NS1_11comp_targetILNS1_3genE0ELNS1_11target_archE4294967295ELNS1_3gpuE0ELNS1_3repE0EEENS1_30default_config_static_selectorELNS0_4arch9wavefront6targetE1EEEvT1_.kd
    .uniform_work_group_size: 1
    .uses_dynamic_stack: false
    .vgpr_count:     0
    .vgpr_spill_count: 0
    .wavefront_size: 64
  - .agpr_count:     0
    .args:
      - .offset:         0
        .size:           120
        .value_kind:     by_value
    .group_segment_fixed_size: 30728
    .kernarg_segment_align: 8
    .kernarg_segment_size: 120
    .language:       OpenCL C
    .language_version:
      - 2
      - 0
    .max_flat_workgroup_size: 512
    .name:           _ZN7rocprim17ROCPRIM_400000_NS6detail17trampoline_kernelINS0_14default_configENS1_25partition_config_selectorILNS1_17partition_subalgoE3EsNS0_10empty_typeEbEEZZNS1_14partition_implILS5_3ELb0ES3_jN6thrust23THRUST_200600_302600_NS6detail15normal_iteratorINSA_7pointerIsNSA_11hip_rocprim3tagENSA_11use_defaultESG_EEEEPS6_SJ_NS0_5tupleIJPsSJ_EEENSK_IJSJ_SJ_EEES6_PlJ7is_evenIsEEEE10hipError_tPvRmT3_T4_T5_T6_T7_T9_mT8_P12ihipStream_tbDpT10_ENKUlT_T0_E_clISt17integral_constantIbLb0EES1A_EEDaS15_S16_EUlS15_E_NS1_11comp_targetILNS1_3genE5ELNS1_11target_archE942ELNS1_3gpuE9ELNS1_3repE0EEENS1_30default_config_static_selectorELNS0_4arch9wavefront6targetE1EEEvT1_
    .private_segment_fixed_size: 0
    .sgpr_count:     52
    .sgpr_spill_count: 0
    .symbol:         _ZN7rocprim17ROCPRIM_400000_NS6detail17trampoline_kernelINS0_14default_configENS1_25partition_config_selectorILNS1_17partition_subalgoE3EsNS0_10empty_typeEbEEZZNS1_14partition_implILS5_3ELb0ES3_jN6thrust23THRUST_200600_302600_NS6detail15normal_iteratorINSA_7pointerIsNSA_11hip_rocprim3tagENSA_11use_defaultESG_EEEEPS6_SJ_NS0_5tupleIJPsSJ_EEENSK_IJSJ_SJ_EEES6_PlJ7is_evenIsEEEE10hipError_tPvRmT3_T4_T5_T6_T7_T9_mT8_P12ihipStream_tbDpT10_ENKUlT_T0_E_clISt17integral_constantIbLb0EES1A_EEDaS15_S16_EUlS15_E_NS1_11comp_targetILNS1_3genE5ELNS1_11target_archE942ELNS1_3gpuE9ELNS1_3repE0EEENS1_30default_config_static_selectorELNS0_4arch9wavefront6targetE1EEEvT1_.kd
    .uniform_work_group_size: 1
    .uses_dynamic_stack: false
    .vgpr_count:     120
    .vgpr_spill_count: 0
    .wavefront_size: 64
  - .agpr_count:     0
    .args:
      - .offset:         0
        .size:           120
        .value_kind:     by_value
    .group_segment_fixed_size: 0
    .kernarg_segment_align: 8
    .kernarg_segment_size: 120
    .language:       OpenCL C
    .language_version:
      - 2
      - 0
    .max_flat_workgroup_size: 256
    .name:           _ZN7rocprim17ROCPRIM_400000_NS6detail17trampoline_kernelINS0_14default_configENS1_25partition_config_selectorILNS1_17partition_subalgoE3EsNS0_10empty_typeEbEEZZNS1_14partition_implILS5_3ELb0ES3_jN6thrust23THRUST_200600_302600_NS6detail15normal_iteratorINSA_7pointerIsNSA_11hip_rocprim3tagENSA_11use_defaultESG_EEEEPS6_SJ_NS0_5tupleIJPsSJ_EEENSK_IJSJ_SJ_EEES6_PlJ7is_evenIsEEEE10hipError_tPvRmT3_T4_T5_T6_T7_T9_mT8_P12ihipStream_tbDpT10_ENKUlT_T0_E_clISt17integral_constantIbLb0EES1A_EEDaS15_S16_EUlS15_E_NS1_11comp_targetILNS1_3genE4ELNS1_11target_archE910ELNS1_3gpuE8ELNS1_3repE0EEENS1_30default_config_static_selectorELNS0_4arch9wavefront6targetE1EEEvT1_
    .private_segment_fixed_size: 0
    .sgpr_count:     6
    .sgpr_spill_count: 0
    .symbol:         _ZN7rocprim17ROCPRIM_400000_NS6detail17trampoline_kernelINS0_14default_configENS1_25partition_config_selectorILNS1_17partition_subalgoE3EsNS0_10empty_typeEbEEZZNS1_14partition_implILS5_3ELb0ES3_jN6thrust23THRUST_200600_302600_NS6detail15normal_iteratorINSA_7pointerIsNSA_11hip_rocprim3tagENSA_11use_defaultESG_EEEEPS6_SJ_NS0_5tupleIJPsSJ_EEENSK_IJSJ_SJ_EEES6_PlJ7is_evenIsEEEE10hipError_tPvRmT3_T4_T5_T6_T7_T9_mT8_P12ihipStream_tbDpT10_ENKUlT_T0_E_clISt17integral_constantIbLb0EES1A_EEDaS15_S16_EUlS15_E_NS1_11comp_targetILNS1_3genE4ELNS1_11target_archE910ELNS1_3gpuE8ELNS1_3repE0EEENS1_30default_config_static_selectorELNS0_4arch9wavefront6targetE1EEEvT1_.kd
    .uniform_work_group_size: 1
    .uses_dynamic_stack: false
    .vgpr_count:     0
    .vgpr_spill_count: 0
    .wavefront_size: 64
  - .agpr_count:     0
    .args:
      - .offset:         0
        .size:           120
        .value_kind:     by_value
    .group_segment_fixed_size: 0
    .kernarg_segment_align: 8
    .kernarg_segment_size: 120
    .language:       OpenCL C
    .language_version:
      - 2
      - 0
    .max_flat_workgroup_size: 256
    .name:           _ZN7rocprim17ROCPRIM_400000_NS6detail17trampoline_kernelINS0_14default_configENS1_25partition_config_selectorILNS1_17partition_subalgoE3EsNS0_10empty_typeEbEEZZNS1_14partition_implILS5_3ELb0ES3_jN6thrust23THRUST_200600_302600_NS6detail15normal_iteratorINSA_7pointerIsNSA_11hip_rocprim3tagENSA_11use_defaultESG_EEEEPS6_SJ_NS0_5tupleIJPsSJ_EEENSK_IJSJ_SJ_EEES6_PlJ7is_evenIsEEEE10hipError_tPvRmT3_T4_T5_T6_T7_T9_mT8_P12ihipStream_tbDpT10_ENKUlT_T0_E_clISt17integral_constantIbLb0EES1A_EEDaS15_S16_EUlS15_E_NS1_11comp_targetILNS1_3genE3ELNS1_11target_archE908ELNS1_3gpuE7ELNS1_3repE0EEENS1_30default_config_static_selectorELNS0_4arch9wavefront6targetE1EEEvT1_
    .private_segment_fixed_size: 0
    .sgpr_count:     6
    .sgpr_spill_count: 0
    .symbol:         _ZN7rocprim17ROCPRIM_400000_NS6detail17trampoline_kernelINS0_14default_configENS1_25partition_config_selectorILNS1_17partition_subalgoE3EsNS0_10empty_typeEbEEZZNS1_14partition_implILS5_3ELb0ES3_jN6thrust23THRUST_200600_302600_NS6detail15normal_iteratorINSA_7pointerIsNSA_11hip_rocprim3tagENSA_11use_defaultESG_EEEEPS6_SJ_NS0_5tupleIJPsSJ_EEENSK_IJSJ_SJ_EEES6_PlJ7is_evenIsEEEE10hipError_tPvRmT3_T4_T5_T6_T7_T9_mT8_P12ihipStream_tbDpT10_ENKUlT_T0_E_clISt17integral_constantIbLb0EES1A_EEDaS15_S16_EUlS15_E_NS1_11comp_targetILNS1_3genE3ELNS1_11target_archE908ELNS1_3gpuE7ELNS1_3repE0EEENS1_30default_config_static_selectorELNS0_4arch9wavefront6targetE1EEEvT1_.kd
    .uniform_work_group_size: 1
    .uses_dynamic_stack: false
    .vgpr_count:     0
    .vgpr_spill_count: 0
    .wavefront_size: 64
  - .agpr_count:     0
    .args:
      - .offset:         0
        .size:           120
        .value_kind:     by_value
    .group_segment_fixed_size: 0
    .kernarg_segment_align: 8
    .kernarg_segment_size: 120
    .language:       OpenCL C
    .language_version:
      - 2
      - 0
    .max_flat_workgroup_size: 256
    .name:           _ZN7rocprim17ROCPRIM_400000_NS6detail17trampoline_kernelINS0_14default_configENS1_25partition_config_selectorILNS1_17partition_subalgoE3EsNS0_10empty_typeEbEEZZNS1_14partition_implILS5_3ELb0ES3_jN6thrust23THRUST_200600_302600_NS6detail15normal_iteratorINSA_7pointerIsNSA_11hip_rocprim3tagENSA_11use_defaultESG_EEEEPS6_SJ_NS0_5tupleIJPsSJ_EEENSK_IJSJ_SJ_EEES6_PlJ7is_evenIsEEEE10hipError_tPvRmT3_T4_T5_T6_T7_T9_mT8_P12ihipStream_tbDpT10_ENKUlT_T0_E_clISt17integral_constantIbLb0EES1A_EEDaS15_S16_EUlS15_E_NS1_11comp_targetILNS1_3genE2ELNS1_11target_archE906ELNS1_3gpuE6ELNS1_3repE0EEENS1_30default_config_static_selectorELNS0_4arch9wavefront6targetE1EEEvT1_
    .private_segment_fixed_size: 0
    .sgpr_count:     6
    .sgpr_spill_count: 0
    .symbol:         _ZN7rocprim17ROCPRIM_400000_NS6detail17trampoline_kernelINS0_14default_configENS1_25partition_config_selectorILNS1_17partition_subalgoE3EsNS0_10empty_typeEbEEZZNS1_14partition_implILS5_3ELb0ES3_jN6thrust23THRUST_200600_302600_NS6detail15normal_iteratorINSA_7pointerIsNSA_11hip_rocprim3tagENSA_11use_defaultESG_EEEEPS6_SJ_NS0_5tupleIJPsSJ_EEENSK_IJSJ_SJ_EEES6_PlJ7is_evenIsEEEE10hipError_tPvRmT3_T4_T5_T6_T7_T9_mT8_P12ihipStream_tbDpT10_ENKUlT_T0_E_clISt17integral_constantIbLb0EES1A_EEDaS15_S16_EUlS15_E_NS1_11comp_targetILNS1_3genE2ELNS1_11target_archE906ELNS1_3gpuE6ELNS1_3repE0EEENS1_30default_config_static_selectorELNS0_4arch9wavefront6targetE1EEEvT1_.kd
    .uniform_work_group_size: 1
    .uses_dynamic_stack: false
    .vgpr_count:     0
    .vgpr_spill_count: 0
    .wavefront_size: 64
  - .agpr_count:     0
    .args:
      - .offset:         0
        .size:           120
        .value_kind:     by_value
    .group_segment_fixed_size: 0
    .kernarg_segment_align: 8
    .kernarg_segment_size: 120
    .language:       OpenCL C
    .language_version:
      - 2
      - 0
    .max_flat_workgroup_size: 512
    .name:           _ZN7rocprim17ROCPRIM_400000_NS6detail17trampoline_kernelINS0_14default_configENS1_25partition_config_selectorILNS1_17partition_subalgoE3EsNS0_10empty_typeEbEEZZNS1_14partition_implILS5_3ELb0ES3_jN6thrust23THRUST_200600_302600_NS6detail15normal_iteratorINSA_7pointerIsNSA_11hip_rocprim3tagENSA_11use_defaultESG_EEEEPS6_SJ_NS0_5tupleIJPsSJ_EEENSK_IJSJ_SJ_EEES6_PlJ7is_evenIsEEEE10hipError_tPvRmT3_T4_T5_T6_T7_T9_mT8_P12ihipStream_tbDpT10_ENKUlT_T0_E_clISt17integral_constantIbLb0EES1A_EEDaS15_S16_EUlS15_E_NS1_11comp_targetILNS1_3genE10ELNS1_11target_archE1200ELNS1_3gpuE4ELNS1_3repE0EEENS1_30default_config_static_selectorELNS0_4arch9wavefront6targetE1EEEvT1_
    .private_segment_fixed_size: 0
    .sgpr_count:     6
    .sgpr_spill_count: 0
    .symbol:         _ZN7rocprim17ROCPRIM_400000_NS6detail17trampoline_kernelINS0_14default_configENS1_25partition_config_selectorILNS1_17partition_subalgoE3EsNS0_10empty_typeEbEEZZNS1_14partition_implILS5_3ELb0ES3_jN6thrust23THRUST_200600_302600_NS6detail15normal_iteratorINSA_7pointerIsNSA_11hip_rocprim3tagENSA_11use_defaultESG_EEEEPS6_SJ_NS0_5tupleIJPsSJ_EEENSK_IJSJ_SJ_EEES6_PlJ7is_evenIsEEEE10hipError_tPvRmT3_T4_T5_T6_T7_T9_mT8_P12ihipStream_tbDpT10_ENKUlT_T0_E_clISt17integral_constantIbLb0EES1A_EEDaS15_S16_EUlS15_E_NS1_11comp_targetILNS1_3genE10ELNS1_11target_archE1200ELNS1_3gpuE4ELNS1_3repE0EEENS1_30default_config_static_selectorELNS0_4arch9wavefront6targetE1EEEvT1_.kd
    .uniform_work_group_size: 1
    .uses_dynamic_stack: false
    .vgpr_count:     0
    .vgpr_spill_count: 0
    .wavefront_size: 64
  - .agpr_count:     0
    .args:
      - .offset:         0
        .size:           120
        .value_kind:     by_value
    .group_segment_fixed_size: 0
    .kernarg_segment_align: 8
    .kernarg_segment_size: 120
    .language:       OpenCL C
    .language_version:
      - 2
      - 0
    .max_flat_workgroup_size: 128
    .name:           _ZN7rocprim17ROCPRIM_400000_NS6detail17trampoline_kernelINS0_14default_configENS1_25partition_config_selectorILNS1_17partition_subalgoE3EsNS0_10empty_typeEbEEZZNS1_14partition_implILS5_3ELb0ES3_jN6thrust23THRUST_200600_302600_NS6detail15normal_iteratorINSA_7pointerIsNSA_11hip_rocprim3tagENSA_11use_defaultESG_EEEEPS6_SJ_NS0_5tupleIJPsSJ_EEENSK_IJSJ_SJ_EEES6_PlJ7is_evenIsEEEE10hipError_tPvRmT3_T4_T5_T6_T7_T9_mT8_P12ihipStream_tbDpT10_ENKUlT_T0_E_clISt17integral_constantIbLb0EES1A_EEDaS15_S16_EUlS15_E_NS1_11comp_targetILNS1_3genE9ELNS1_11target_archE1100ELNS1_3gpuE3ELNS1_3repE0EEENS1_30default_config_static_selectorELNS0_4arch9wavefront6targetE1EEEvT1_
    .private_segment_fixed_size: 0
    .sgpr_count:     6
    .sgpr_spill_count: 0
    .symbol:         _ZN7rocprim17ROCPRIM_400000_NS6detail17trampoline_kernelINS0_14default_configENS1_25partition_config_selectorILNS1_17partition_subalgoE3EsNS0_10empty_typeEbEEZZNS1_14partition_implILS5_3ELb0ES3_jN6thrust23THRUST_200600_302600_NS6detail15normal_iteratorINSA_7pointerIsNSA_11hip_rocprim3tagENSA_11use_defaultESG_EEEEPS6_SJ_NS0_5tupleIJPsSJ_EEENSK_IJSJ_SJ_EEES6_PlJ7is_evenIsEEEE10hipError_tPvRmT3_T4_T5_T6_T7_T9_mT8_P12ihipStream_tbDpT10_ENKUlT_T0_E_clISt17integral_constantIbLb0EES1A_EEDaS15_S16_EUlS15_E_NS1_11comp_targetILNS1_3genE9ELNS1_11target_archE1100ELNS1_3gpuE3ELNS1_3repE0EEENS1_30default_config_static_selectorELNS0_4arch9wavefront6targetE1EEEvT1_.kd
    .uniform_work_group_size: 1
    .uses_dynamic_stack: false
    .vgpr_count:     0
    .vgpr_spill_count: 0
    .wavefront_size: 64
  - .agpr_count:     0
    .args:
      - .offset:         0
        .size:           120
        .value_kind:     by_value
    .group_segment_fixed_size: 0
    .kernarg_segment_align: 8
    .kernarg_segment_size: 120
    .language:       OpenCL C
    .language_version:
      - 2
      - 0
    .max_flat_workgroup_size: 256
    .name:           _ZN7rocprim17ROCPRIM_400000_NS6detail17trampoline_kernelINS0_14default_configENS1_25partition_config_selectorILNS1_17partition_subalgoE3EsNS0_10empty_typeEbEEZZNS1_14partition_implILS5_3ELb0ES3_jN6thrust23THRUST_200600_302600_NS6detail15normal_iteratorINSA_7pointerIsNSA_11hip_rocprim3tagENSA_11use_defaultESG_EEEEPS6_SJ_NS0_5tupleIJPsSJ_EEENSK_IJSJ_SJ_EEES6_PlJ7is_evenIsEEEE10hipError_tPvRmT3_T4_T5_T6_T7_T9_mT8_P12ihipStream_tbDpT10_ENKUlT_T0_E_clISt17integral_constantIbLb0EES1A_EEDaS15_S16_EUlS15_E_NS1_11comp_targetILNS1_3genE8ELNS1_11target_archE1030ELNS1_3gpuE2ELNS1_3repE0EEENS1_30default_config_static_selectorELNS0_4arch9wavefront6targetE1EEEvT1_
    .private_segment_fixed_size: 0
    .sgpr_count:     6
    .sgpr_spill_count: 0
    .symbol:         _ZN7rocprim17ROCPRIM_400000_NS6detail17trampoline_kernelINS0_14default_configENS1_25partition_config_selectorILNS1_17partition_subalgoE3EsNS0_10empty_typeEbEEZZNS1_14partition_implILS5_3ELb0ES3_jN6thrust23THRUST_200600_302600_NS6detail15normal_iteratorINSA_7pointerIsNSA_11hip_rocprim3tagENSA_11use_defaultESG_EEEEPS6_SJ_NS0_5tupleIJPsSJ_EEENSK_IJSJ_SJ_EEES6_PlJ7is_evenIsEEEE10hipError_tPvRmT3_T4_T5_T6_T7_T9_mT8_P12ihipStream_tbDpT10_ENKUlT_T0_E_clISt17integral_constantIbLb0EES1A_EEDaS15_S16_EUlS15_E_NS1_11comp_targetILNS1_3genE8ELNS1_11target_archE1030ELNS1_3gpuE2ELNS1_3repE0EEENS1_30default_config_static_selectorELNS0_4arch9wavefront6targetE1EEEvT1_.kd
    .uniform_work_group_size: 1
    .uses_dynamic_stack: false
    .vgpr_count:     0
    .vgpr_spill_count: 0
    .wavefront_size: 64
  - .agpr_count:     0
    .args:
      - .offset:         0
        .size:           136
        .value_kind:     by_value
    .group_segment_fixed_size: 0
    .kernarg_segment_align: 8
    .kernarg_segment_size: 136
    .language:       OpenCL C
    .language_version:
      - 2
      - 0
    .max_flat_workgroup_size: 256
    .name:           _ZN7rocprim17ROCPRIM_400000_NS6detail17trampoline_kernelINS0_14default_configENS1_25partition_config_selectorILNS1_17partition_subalgoE3EsNS0_10empty_typeEbEEZZNS1_14partition_implILS5_3ELb0ES3_jN6thrust23THRUST_200600_302600_NS6detail15normal_iteratorINSA_7pointerIsNSA_11hip_rocprim3tagENSA_11use_defaultESG_EEEEPS6_SJ_NS0_5tupleIJPsSJ_EEENSK_IJSJ_SJ_EEES6_PlJ7is_evenIsEEEE10hipError_tPvRmT3_T4_T5_T6_T7_T9_mT8_P12ihipStream_tbDpT10_ENKUlT_T0_E_clISt17integral_constantIbLb1EES1A_EEDaS15_S16_EUlS15_E_NS1_11comp_targetILNS1_3genE0ELNS1_11target_archE4294967295ELNS1_3gpuE0ELNS1_3repE0EEENS1_30default_config_static_selectorELNS0_4arch9wavefront6targetE1EEEvT1_
    .private_segment_fixed_size: 0
    .sgpr_count:     6
    .sgpr_spill_count: 0
    .symbol:         _ZN7rocprim17ROCPRIM_400000_NS6detail17trampoline_kernelINS0_14default_configENS1_25partition_config_selectorILNS1_17partition_subalgoE3EsNS0_10empty_typeEbEEZZNS1_14partition_implILS5_3ELb0ES3_jN6thrust23THRUST_200600_302600_NS6detail15normal_iteratorINSA_7pointerIsNSA_11hip_rocprim3tagENSA_11use_defaultESG_EEEEPS6_SJ_NS0_5tupleIJPsSJ_EEENSK_IJSJ_SJ_EEES6_PlJ7is_evenIsEEEE10hipError_tPvRmT3_T4_T5_T6_T7_T9_mT8_P12ihipStream_tbDpT10_ENKUlT_T0_E_clISt17integral_constantIbLb1EES1A_EEDaS15_S16_EUlS15_E_NS1_11comp_targetILNS1_3genE0ELNS1_11target_archE4294967295ELNS1_3gpuE0ELNS1_3repE0EEENS1_30default_config_static_selectorELNS0_4arch9wavefront6targetE1EEEvT1_.kd
    .uniform_work_group_size: 1
    .uses_dynamic_stack: false
    .vgpr_count:     0
    .vgpr_spill_count: 0
    .wavefront_size: 64
  - .agpr_count:     0
    .args:
      - .offset:         0
        .size:           136
        .value_kind:     by_value
    .group_segment_fixed_size: 30728
    .kernarg_segment_align: 8
    .kernarg_segment_size: 136
    .language:       OpenCL C
    .language_version:
      - 2
      - 0
    .max_flat_workgroup_size: 512
    .name:           _ZN7rocprim17ROCPRIM_400000_NS6detail17trampoline_kernelINS0_14default_configENS1_25partition_config_selectorILNS1_17partition_subalgoE3EsNS0_10empty_typeEbEEZZNS1_14partition_implILS5_3ELb0ES3_jN6thrust23THRUST_200600_302600_NS6detail15normal_iteratorINSA_7pointerIsNSA_11hip_rocprim3tagENSA_11use_defaultESG_EEEEPS6_SJ_NS0_5tupleIJPsSJ_EEENSK_IJSJ_SJ_EEES6_PlJ7is_evenIsEEEE10hipError_tPvRmT3_T4_T5_T6_T7_T9_mT8_P12ihipStream_tbDpT10_ENKUlT_T0_E_clISt17integral_constantIbLb1EES1A_EEDaS15_S16_EUlS15_E_NS1_11comp_targetILNS1_3genE5ELNS1_11target_archE942ELNS1_3gpuE9ELNS1_3repE0EEENS1_30default_config_static_selectorELNS0_4arch9wavefront6targetE1EEEvT1_
    .private_segment_fixed_size: 0
    .sgpr_count:     50
    .sgpr_spill_count: 0
    .symbol:         _ZN7rocprim17ROCPRIM_400000_NS6detail17trampoline_kernelINS0_14default_configENS1_25partition_config_selectorILNS1_17partition_subalgoE3EsNS0_10empty_typeEbEEZZNS1_14partition_implILS5_3ELb0ES3_jN6thrust23THRUST_200600_302600_NS6detail15normal_iteratorINSA_7pointerIsNSA_11hip_rocprim3tagENSA_11use_defaultESG_EEEEPS6_SJ_NS0_5tupleIJPsSJ_EEENSK_IJSJ_SJ_EEES6_PlJ7is_evenIsEEEE10hipError_tPvRmT3_T4_T5_T6_T7_T9_mT8_P12ihipStream_tbDpT10_ENKUlT_T0_E_clISt17integral_constantIbLb1EES1A_EEDaS15_S16_EUlS15_E_NS1_11comp_targetILNS1_3genE5ELNS1_11target_archE942ELNS1_3gpuE9ELNS1_3repE0EEENS1_30default_config_static_selectorELNS0_4arch9wavefront6targetE1EEEvT1_.kd
    .uniform_work_group_size: 1
    .uses_dynamic_stack: false
    .vgpr_count:     124
    .vgpr_spill_count: 0
    .wavefront_size: 64
  - .agpr_count:     0
    .args:
      - .offset:         0
        .size:           136
        .value_kind:     by_value
    .group_segment_fixed_size: 0
    .kernarg_segment_align: 8
    .kernarg_segment_size: 136
    .language:       OpenCL C
    .language_version:
      - 2
      - 0
    .max_flat_workgroup_size: 256
    .name:           _ZN7rocprim17ROCPRIM_400000_NS6detail17trampoline_kernelINS0_14default_configENS1_25partition_config_selectorILNS1_17partition_subalgoE3EsNS0_10empty_typeEbEEZZNS1_14partition_implILS5_3ELb0ES3_jN6thrust23THRUST_200600_302600_NS6detail15normal_iteratorINSA_7pointerIsNSA_11hip_rocprim3tagENSA_11use_defaultESG_EEEEPS6_SJ_NS0_5tupleIJPsSJ_EEENSK_IJSJ_SJ_EEES6_PlJ7is_evenIsEEEE10hipError_tPvRmT3_T4_T5_T6_T7_T9_mT8_P12ihipStream_tbDpT10_ENKUlT_T0_E_clISt17integral_constantIbLb1EES1A_EEDaS15_S16_EUlS15_E_NS1_11comp_targetILNS1_3genE4ELNS1_11target_archE910ELNS1_3gpuE8ELNS1_3repE0EEENS1_30default_config_static_selectorELNS0_4arch9wavefront6targetE1EEEvT1_
    .private_segment_fixed_size: 0
    .sgpr_count:     6
    .sgpr_spill_count: 0
    .symbol:         _ZN7rocprim17ROCPRIM_400000_NS6detail17trampoline_kernelINS0_14default_configENS1_25partition_config_selectorILNS1_17partition_subalgoE3EsNS0_10empty_typeEbEEZZNS1_14partition_implILS5_3ELb0ES3_jN6thrust23THRUST_200600_302600_NS6detail15normal_iteratorINSA_7pointerIsNSA_11hip_rocprim3tagENSA_11use_defaultESG_EEEEPS6_SJ_NS0_5tupleIJPsSJ_EEENSK_IJSJ_SJ_EEES6_PlJ7is_evenIsEEEE10hipError_tPvRmT3_T4_T5_T6_T7_T9_mT8_P12ihipStream_tbDpT10_ENKUlT_T0_E_clISt17integral_constantIbLb1EES1A_EEDaS15_S16_EUlS15_E_NS1_11comp_targetILNS1_3genE4ELNS1_11target_archE910ELNS1_3gpuE8ELNS1_3repE0EEENS1_30default_config_static_selectorELNS0_4arch9wavefront6targetE1EEEvT1_.kd
    .uniform_work_group_size: 1
    .uses_dynamic_stack: false
    .vgpr_count:     0
    .vgpr_spill_count: 0
    .wavefront_size: 64
  - .agpr_count:     0
    .args:
      - .offset:         0
        .size:           136
        .value_kind:     by_value
    .group_segment_fixed_size: 0
    .kernarg_segment_align: 8
    .kernarg_segment_size: 136
    .language:       OpenCL C
    .language_version:
      - 2
      - 0
    .max_flat_workgroup_size: 256
    .name:           _ZN7rocprim17ROCPRIM_400000_NS6detail17trampoline_kernelINS0_14default_configENS1_25partition_config_selectorILNS1_17partition_subalgoE3EsNS0_10empty_typeEbEEZZNS1_14partition_implILS5_3ELb0ES3_jN6thrust23THRUST_200600_302600_NS6detail15normal_iteratorINSA_7pointerIsNSA_11hip_rocprim3tagENSA_11use_defaultESG_EEEEPS6_SJ_NS0_5tupleIJPsSJ_EEENSK_IJSJ_SJ_EEES6_PlJ7is_evenIsEEEE10hipError_tPvRmT3_T4_T5_T6_T7_T9_mT8_P12ihipStream_tbDpT10_ENKUlT_T0_E_clISt17integral_constantIbLb1EES1A_EEDaS15_S16_EUlS15_E_NS1_11comp_targetILNS1_3genE3ELNS1_11target_archE908ELNS1_3gpuE7ELNS1_3repE0EEENS1_30default_config_static_selectorELNS0_4arch9wavefront6targetE1EEEvT1_
    .private_segment_fixed_size: 0
    .sgpr_count:     6
    .sgpr_spill_count: 0
    .symbol:         _ZN7rocprim17ROCPRIM_400000_NS6detail17trampoline_kernelINS0_14default_configENS1_25partition_config_selectorILNS1_17partition_subalgoE3EsNS0_10empty_typeEbEEZZNS1_14partition_implILS5_3ELb0ES3_jN6thrust23THRUST_200600_302600_NS6detail15normal_iteratorINSA_7pointerIsNSA_11hip_rocprim3tagENSA_11use_defaultESG_EEEEPS6_SJ_NS0_5tupleIJPsSJ_EEENSK_IJSJ_SJ_EEES6_PlJ7is_evenIsEEEE10hipError_tPvRmT3_T4_T5_T6_T7_T9_mT8_P12ihipStream_tbDpT10_ENKUlT_T0_E_clISt17integral_constantIbLb1EES1A_EEDaS15_S16_EUlS15_E_NS1_11comp_targetILNS1_3genE3ELNS1_11target_archE908ELNS1_3gpuE7ELNS1_3repE0EEENS1_30default_config_static_selectorELNS0_4arch9wavefront6targetE1EEEvT1_.kd
    .uniform_work_group_size: 1
    .uses_dynamic_stack: false
    .vgpr_count:     0
    .vgpr_spill_count: 0
    .wavefront_size: 64
  - .agpr_count:     0
    .args:
      - .offset:         0
        .size:           136
        .value_kind:     by_value
    .group_segment_fixed_size: 0
    .kernarg_segment_align: 8
    .kernarg_segment_size: 136
    .language:       OpenCL C
    .language_version:
      - 2
      - 0
    .max_flat_workgroup_size: 256
    .name:           _ZN7rocprim17ROCPRIM_400000_NS6detail17trampoline_kernelINS0_14default_configENS1_25partition_config_selectorILNS1_17partition_subalgoE3EsNS0_10empty_typeEbEEZZNS1_14partition_implILS5_3ELb0ES3_jN6thrust23THRUST_200600_302600_NS6detail15normal_iteratorINSA_7pointerIsNSA_11hip_rocprim3tagENSA_11use_defaultESG_EEEEPS6_SJ_NS0_5tupleIJPsSJ_EEENSK_IJSJ_SJ_EEES6_PlJ7is_evenIsEEEE10hipError_tPvRmT3_T4_T5_T6_T7_T9_mT8_P12ihipStream_tbDpT10_ENKUlT_T0_E_clISt17integral_constantIbLb1EES1A_EEDaS15_S16_EUlS15_E_NS1_11comp_targetILNS1_3genE2ELNS1_11target_archE906ELNS1_3gpuE6ELNS1_3repE0EEENS1_30default_config_static_selectorELNS0_4arch9wavefront6targetE1EEEvT1_
    .private_segment_fixed_size: 0
    .sgpr_count:     6
    .sgpr_spill_count: 0
    .symbol:         _ZN7rocprim17ROCPRIM_400000_NS6detail17trampoline_kernelINS0_14default_configENS1_25partition_config_selectorILNS1_17partition_subalgoE3EsNS0_10empty_typeEbEEZZNS1_14partition_implILS5_3ELb0ES3_jN6thrust23THRUST_200600_302600_NS6detail15normal_iteratorINSA_7pointerIsNSA_11hip_rocprim3tagENSA_11use_defaultESG_EEEEPS6_SJ_NS0_5tupleIJPsSJ_EEENSK_IJSJ_SJ_EEES6_PlJ7is_evenIsEEEE10hipError_tPvRmT3_T4_T5_T6_T7_T9_mT8_P12ihipStream_tbDpT10_ENKUlT_T0_E_clISt17integral_constantIbLb1EES1A_EEDaS15_S16_EUlS15_E_NS1_11comp_targetILNS1_3genE2ELNS1_11target_archE906ELNS1_3gpuE6ELNS1_3repE0EEENS1_30default_config_static_selectorELNS0_4arch9wavefront6targetE1EEEvT1_.kd
    .uniform_work_group_size: 1
    .uses_dynamic_stack: false
    .vgpr_count:     0
    .vgpr_spill_count: 0
    .wavefront_size: 64
  - .agpr_count:     0
    .args:
      - .offset:         0
        .size:           136
        .value_kind:     by_value
    .group_segment_fixed_size: 0
    .kernarg_segment_align: 8
    .kernarg_segment_size: 136
    .language:       OpenCL C
    .language_version:
      - 2
      - 0
    .max_flat_workgroup_size: 512
    .name:           _ZN7rocprim17ROCPRIM_400000_NS6detail17trampoline_kernelINS0_14default_configENS1_25partition_config_selectorILNS1_17partition_subalgoE3EsNS0_10empty_typeEbEEZZNS1_14partition_implILS5_3ELb0ES3_jN6thrust23THRUST_200600_302600_NS6detail15normal_iteratorINSA_7pointerIsNSA_11hip_rocprim3tagENSA_11use_defaultESG_EEEEPS6_SJ_NS0_5tupleIJPsSJ_EEENSK_IJSJ_SJ_EEES6_PlJ7is_evenIsEEEE10hipError_tPvRmT3_T4_T5_T6_T7_T9_mT8_P12ihipStream_tbDpT10_ENKUlT_T0_E_clISt17integral_constantIbLb1EES1A_EEDaS15_S16_EUlS15_E_NS1_11comp_targetILNS1_3genE10ELNS1_11target_archE1200ELNS1_3gpuE4ELNS1_3repE0EEENS1_30default_config_static_selectorELNS0_4arch9wavefront6targetE1EEEvT1_
    .private_segment_fixed_size: 0
    .sgpr_count:     6
    .sgpr_spill_count: 0
    .symbol:         _ZN7rocprim17ROCPRIM_400000_NS6detail17trampoline_kernelINS0_14default_configENS1_25partition_config_selectorILNS1_17partition_subalgoE3EsNS0_10empty_typeEbEEZZNS1_14partition_implILS5_3ELb0ES3_jN6thrust23THRUST_200600_302600_NS6detail15normal_iteratorINSA_7pointerIsNSA_11hip_rocprim3tagENSA_11use_defaultESG_EEEEPS6_SJ_NS0_5tupleIJPsSJ_EEENSK_IJSJ_SJ_EEES6_PlJ7is_evenIsEEEE10hipError_tPvRmT3_T4_T5_T6_T7_T9_mT8_P12ihipStream_tbDpT10_ENKUlT_T0_E_clISt17integral_constantIbLb1EES1A_EEDaS15_S16_EUlS15_E_NS1_11comp_targetILNS1_3genE10ELNS1_11target_archE1200ELNS1_3gpuE4ELNS1_3repE0EEENS1_30default_config_static_selectorELNS0_4arch9wavefront6targetE1EEEvT1_.kd
    .uniform_work_group_size: 1
    .uses_dynamic_stack: false
    .vgpr_count:     0
    .vgpr_spill_count: 0
    .wavefront_size: 64
  - .agpr_count:     0
    .args:
      - .offset:         0
        .size:           136
        .value_kind:     by_value
    .group_segment_fixed_size: 0
    .kernarg_segment_align: 8
    .kernarg_segment_size: 136
    .language:       OpenCL C
    .language_version:
      - 2
      - 0
    .max_flat_workgroup_size: 128
    .name:           _ZN7rocprim17ROCPRIM_400000_NS6detail17trampoline_kernelINS0_14default_configENS1_25partition_config_selectorILNS1_17partition_subalgoE3EsNS0_10empty_typeEbEEZZNS1_14partition_implILS5_3ELb0ES3_jN6thrust23THRUST_200600_302600_NS6detail15normal_iteratorINSA_7pointerIsNSA_11hip_rocprim3tagENSA_11use_defaultESG_EEEEPS6_SJ_NS0_5tupleIJPsSJ_EEENSK_IJSJ_SJ_EEES6_PlJ7is_evenIsEEEE10hipError_tPvRmT3_T4_T5_T6_T7_T9_mT8_P12ihipStream_tbDpT10_ENKUlT_T0_E_clISt17integral_constantIbLb1EES1A_EEDaS15_S16_EUlS15_E_NS1_11comp_targetILNS1_3genE9ELNS1_11target_archE1100ELNS1_3gpuE3ELNS1_3repE0EEENS1_30default_config_static_selectorELNS0_4arch9wavefront6targetE1EEEvT1_
    .private_segment_fixed_size: 0
    .sgpr_count:     6
    .sgpr_spill_count: 0
    .symbol:         _ZN7rocprim17ROCPRIM_400000_NS6detail17trampoline_kernelINS0_14default_configENS1_25partition_config_selectorILNS1_17partition_subalgoE3EsNS0_10empty_typeEbEEZZNS1_14partition_implILS5_3ELb0ES3_jN6thrust23THRUST_200600_302600_NS6detail15normal_iteratorINSA_7pointerIsNSA_11hip_rocprim3tagENSA_11use_defaultESG_EEEEPS6_SJ_NS0_5tupleIJPsSJ_EEENSK_IJSJ_SJ_EEES6_PlJ7is_evenIsEEEE10hipError_tPvRmT3_T4_T5_T6_T7_T9_mT8_P12ihipStream_tbDpT10_ENKUlT_T0_E_clISt17integral_constantIbLb1EES1A_EEDaS15_S16_EUlS15_E_NS1_11comp_targetILNS1_3genE9ELNS1_11target_archE1100ELNS1_3gpuE3ELNS1_3repE0EEENS1_30default_config_static_selectorELNS0_4arch9wavefront6targetE1EEEvT1_.kd
    .uniform_work_group_size: 1
    .uses_dynamic_stack: false
    .vgpr_count:     0
    .vgpr_spill_count: 0
    .wavefront_size: 64
  - .agpr_count:     0
    .args:
      - .offset:         0
        .size:           136
        .value_kind:     by_value
    .group_segment_fixed_size: 0
    .kernarg_segment_align: 8
    .kernarg_segment_size: 136
    .language:       OpenCL C
    .language_version:
      - 2
      - 0
    .max_flat_workgroup_size: 256
    .name:           _ZN7rocprim17ROCPRIM_400000_NS6detail17trampoline_kernelINS0_14default_configENS1_25partition_config_selectorILNS1_17partition_subalgoE3EsNS0_10empty_typeEbEEZZNS1_14partition_implILS5_3ELb0ES3_jN6thrust23THRUST_200600_302600_NS6detail15normal_iteratorINSA_7pointerIsNSA_11hip_rocprim3tagENSA_11use_defaultESG_EEEEPS6_SJ_NS0_5tupleIJPsSJ_EEENSK_IJSJ_SJ_EEES6_PlJ7is_evenIsEEEE10hipError_tPvRmT3_T4_T5_T6_T7_T9_mT8_P12ihipStream_tbDpT10_ENKUlT_T0_E_clISt17integral_constantIbLb1EES1A_EEDaS15_S16_EUlS15_E_NS1_11comp_targetILNS1_3genE8ELNS1_11target_archE1030ELNS1_3gpuE2ELNS1_3repE0EEENS1_30default_config_static_selectorELNS0_4arch9wavefront6targetE1EEEvT1_
    .private_segment_fixed_size: 0
    .sgpr_count:     6
    .sgpr_spill_count: 0
    .symbol:         _ZN7rocprim17ROCPRIM_400000_NS6detail17trampoline_kernelINS0_14default_configENS1_25partition_config_selectorILNS1_17partition_subalgoE3EsNS0_10empty_typeEbEEZZNS1_14partition_implILS5_3ELb0ES3_jN6thrust23THRUST_200600_302600_NS6detail15normal_iteratorINSA_7pointerIsNSA_11hip_rocprim3tagENSA_11use_defaultESG_EEEEPS6_SJ_NS0_5tupleIJPsSJ_EEENSK_IJSJ_SJ_EEES6_PlJ7is_evenIsEEEE10hipError_tPvRmT3_T4_T5_T6_T7_T9_mT8_P12ihipStream_tbDpT10_ENKUlT_T0_E_clISt17integral_constantIbLb1EES1A_EEDaS15_S16_EUlS15_E_NS1_11comp_targetILNS1_3genE8ELNS1_11target_archE1030ELNS1_3gpuE2ELNS1_3repE0EEENS1_30default_config_static_selectorELNS0_4arch9wavefront6targetE1EEEvT1_.kd
    .uniform_work_group_size: 1
    .uses_dynamic_stack: false
    .vgpr_count:     0
    .vgpr_spill_count: 0
    .wavefront_size: 64
  - .agpr_count:     0
    .args:
      - .offset:         0
        .size:           120
        .value_kind:     by_value
    .group_segment_fixed_size: 0
    .kernarg_segment_align: 8
    .kernarg_segment_size: 120
    .language:       OpenCL C
    .language_version:
      - 2
      - 0
    .max_flat_workgroup_size: 256
    .name:           _ZN7rocprim17ROCPRIM_400000_NS6detail17trampoline_kernelINS0_14default_configENS1_25partition_config_selectorILNS1_17partition_subalgoE3EsNS0_10empty_typeEbEEZZNS1_14partition_implILS5_3ELb0ES3_jN6thrust23THRUST_200600_302600_NS6detail15normal_iteratorINSA_7pointerIsNSA_11hip_rocprim3tagENSA_11use_defaultESG_EEEEPS6_SJ_NS0_5tupleIJPsSJ_EEENSK_IJSJ_SJ_EEES6_PlJ7is_evenIsEEEE10hipError_tPvRmT3_T4_T5_T6_T7_T9_mT8_P12ihipStream_tbDpT10_ENKUlT_T0_E_clISt17integral_constantIbLb1EES19_IbLb0EEEEDaS15_S16_EUlS15_E_NS1_11comp_targetILNS1_3genE0ELNS1_11target_archE4294967295ELNS1_3gpuE0ELNS1_3repE0EEENS1_30default_config_static_selectorELNS0_4arch9wavefront6targetE1EEEvT1_
    .private_segment_fixed_size: 0
    .sgpr_count:     6
    .sgpr_spill_count: 0
    .symbol:         _ZN7rocprim17ROCPRIM_400000_NS6detail17trampoline_kernelINS0_14default_configENS1_25partition_config_selectorILNS1_17partition_subalgoE3EsNS0_10empty_typeEbEEZZNS1_14partition_implILS5_3ELb0ES3_jN6thrust23THRUST_200600_302600_NS6detail15normal_iteratorINSA_7pointerIsNSA_11hip_rocprim3tagENSA_11use_defaultESG_EEEEPS6_SJ_NS0_5tupleIJPsSJ_EEENSK_IJSJ_SJ_EEES6_PlJ7is_evenIsEEEE10hipError_tPvRmT3_T4_T5_T6_T7_T9_mT8_P12ihipStream_tbDpT10_ENKUlT_T0_E_clISt17integral_constantIbLb1EES19_IbLb0EEEEDaS15_S16_EUlS15_E_NS1_11comp_targetILNS1_3genE0ELNS1_11target_archE4294967295ELNS1_3gpuE0ELNS1_3repE0EEENS1_30default_config_static_selectorELNS0_4arch9wavefront6targetE1EEEvT1_.kd
    .uniform_work_group_size: 1
    .uses_dynamic_stack: false
    .vgpr_count:     0
    .vgpr_spill_count: 0
    .wavefront_size: 64
  - .agpr_count:     0
    .args:
      - .offset:         0
        .size:           120
        .value_kind:     by_value
    .group_segment_fixed_size: 30728
    .kernarg_segment_align: 8
    .kernarg_segment_size: 120
    .language:       OpenCL C
    .language_version:
      - 2
      - 0
    .max_flat_workgroup_size: 512
    .name:           _ZN7rocprim17ROCPRIM_400000_NS6detail17trampoline_kernelINS0_14default_configENS1_25partition_config_selectorILNS1_17partition_subalgoE3EsNS0_10empty_typeEbEEZZNS1_14partition_implILS5_3ELb0ES3_jN6thrust23THRUST_200600_302600_NS6detail15normal_iteratorINSA_7pointerIsNSA_11hip_rocprim3tagENSA_11use_defaultESG_EEEEPS6_SJ_NS0_5tupleIJPsSJ_EEENSK_IJSJ_SJ_EEES6_PlJ7is_evenIsEEEE10hipError_tPvRmT3_T4_T5_T6_T7_T9_mT8_P12ihipStream_tbDpT10_ENKUlT_T0_E_clISt17integral_constantIbLb1EES19_IbLb0EEEEDaS15_S16_EUlS15_E_NS1_11comp_targetILNS1_3genE5ELNS1_11target_archE942ELNS1_3gpuE9ELNS1_3repE0EEENS1_30default_config_static_selectorELNS0_4arch9wavefront6targetE1EEEvT1_
    .private_segment_fixed_size: 0
    .sgpr_count:     52
    .sgpr_spill_count: 0
    .symbol:         _ZN7rocprim17ROCPRIM_400000_NS6detail17trampoline_kernelINS0_14default_configENS1_25partition_config_selectorILNS1_17partition_subalgoE3EsNS0_10empty_typeEbEEZZNS1_14partition_implILS5_3ELb0ES3_jN6thrust23THRUST_200600_302600_NS6detail15normal_iteratorINSA_7pointerIsNSA_11hip_rocprim3tagENSA_11use_defaultESG_EEEEPS6_SJ_NS0_5tupleIJPsSJ_EEENSK_IJSJ_SJ_EEES6_PlJ7is_evenIsEEEE10hipError_tPvRmT3_T4_T5_T6_T7_T9_mT8_P12ihipStream_tbDpT10_ENKUlT_T0_E_clISt17integral_constantIbLb1EES19_IbLb0EEEEDaS15_S16_EUlS15_E_NS1_11comp_targetILNS1_3genE5ELNS1_11target_archE942ELNS1_3gpuE9ELNS1_3repE0EEENS1_30default_config_static_selectorELNS0_4arch9wavefront6targetE1EEEvT1_.kd
    .uniform_work_group_size: 1
    .uses_dynamic_stack: false
    .vgpr_count:     120
    .vgpr_spill_count: 0
    .wavefront_size: 64
  - .agpr_count:     0
    .args:
      - .offset:         0
        .size:           120
        .value_kind:     by_value
    .group_segment_fixed_size: 0
    .kernarg_segment_align: 8
    .kernarg_segment_size: 120
    .language:       OpenCL C
    .language_version:
      - 2
      - 0
    .max_flat_workgroup_size: 256
    .name:           _ZN7rocprim17ROCPRIM_400000_NS6detail17trampoline_kernelINS0_14default_configENS1_25partition_config_selectorILNS1_17partition_subalgoE3EsNS0_10empty_typeEbEEZZNS1_14partition_implILS5_3ELb0ES3_jN6thrust23THRUST_200600_302600_NS6detail15normal_iteratorINSA_7pointerIsNSA_11hip_rocprim3tagENSA_11use_defaultESG_EEEEPS6_SJ_NS0_5tupleIJPsSJ_EEENSK_IJSJ_SJ_EEES6_PlJ7is_evenIsEEEE10hipError_tPvRmT3_T4_T5_T6_T7_T9_mT8_P12ihipStream_tbDpT10_ENKUlT_T0_E_clISt17integral_constantIbLb1EES19_IbLb0EEEEDaS15_S16_EUlS15_E_NS1_11comp_targetILNS1_3genE4ELNS1_11target_archE910ELNS1_3gpuE8ELNS1_3repE0EEENS1_30default_config_static_selectorELNS0_4arch9wavefront6targetE1EEEvT1_
    .private_segment_fixed_size: 0
    .sgpr_count:     6
    .sgpr_spill_count: 0
    .symbol:         _ZN7rocprim17ROCPRIM_400000_NS6detail17trampoline_kernelINS0_14default_configENS1_25partition_config_selectorILNS1_17partition_subalgoE3EsNS0_10empty_typeEbEEZZNS1_14partition_implILS5_3ELb0ES3_jN6thrust23THRUST_200600_302600_NS6detail15normal_iteratorINSA_7pointerIsNSA_11hip_rocprim3tagENSA_11use_defaultESG_EEEEPS6_SJ_NS0_5tupleIJPsSJ_EEENSK_IJSJ_SJ_EEES6_PlJ7is_evenIsEEEE10hipError_tPvRmT3_T4_T5_T6_T7_T9_mT8_P12ihipStream_tbDpT10_ENKUlT_T0_E_clISt17integral_constantIbLb1EES19_IbLb0EEEEDaS15_S16_EUlS15_E_NS1_11comp_targetILNS1_3genE4ELNS1_11target_archE910ELNS1_3gpuE8ELNS1_3repE0EEENS1_30default_config_static_selectorELNS0_4arch9wavefront6targetE1EEEvT1_.kd
    .uniform_work_group_size: 1
    .uses_dynamic_stack: false
    .vgpr_count:     0
    .vgpr_spill_count: 0
    .wavefront_size: 64
  - .agpr_count:     0
    .args:
      - .offset:         0
        .size:           120
        .value_kind:     by_value
    .group_segment_fixed_size: 0
    .kernarg_segment_align: 8
    .kernarg_segment_size: 120
    .language:       OpenCL C
    .language_version:
      - 2
      - 0
    .max_flat_workgroup_size: 256
    .name:           _ZN7rocprim17ROCPRIM_400000_NS6detail17trampoline_kernelINS0_14default_configENS1_25partition_config_selectorILNS1_17partition_subalgoE3EsNS0_10empty_typeEbEEZZNS1_14partition_implILS5_3ELb0ES3_jN6thrust23THRUST_200600_302600_NS6detail15normal_iteratorINSA_7pointerIsNSA_11hip_rocprim3tagENSA_11use_defaultESG_EEEEPS6_SJ_NS0_5tupleIJPsSJ_EEENSK_IJSJ_SJ_EEES6_PlJ7is_evenIsEEEE10hipError_tPvRmT3_T4_T5_T6_T7_T9_mT8_P12ihipStream_tbDpT10_ENKUlT_T0_E_clISt17integral_constantIbLb1EES19_IbLb0EEEEDaS15_S16_EUlS15_E_NS1_11comp_targetILNS1_3genE3ELNS1_11target_archE908ELNS1_3gpuE7ELNS1_3repE0EEENS1_30default_config_static_selectorELNS0_4arch9wavefront6targetE1EEEvT1_
    .private_segment_fixed_size: 0
    .sgpr_count:     6
    .sgpr_spill_count: 0
    .symbol:         _ZN7rocprim17ROCPRIM_400000_NS6detail17trampoline_kernelINS0_14default_configENS1_25partition_config_selectorILNS1_17partition_subalgoE3EsNS0_10empty_typeEbEEZZNS1_14partition_implILS5_3ELb0ES3_jN6thrust23THRUST_200600_302600_NS6detail15normal_iteratorINSA_7pointerIsNSA_11hip_rocprim3tagENSA_11use_defaultESG_EEEEPS6_SJ_NS0_5tupleIJPsSJ_EEENSK_IJSJ_SJ_EEES6_PlJ7is_evenIsEEEE10hipError_tPvRmT3_T4_T5_T6_T7_T9_mT8_P12ihipStream_tbDpT10_ENKUlT_T0_E_clISt17integral_constantIbLb1EES19_IbLb0EEEEDaS15_S16_EUlS15_E_NS1_11comp_targetILNS1_3genE3ELNS1_11target_archE908ELNS1_3gpuE7ELNS1_3repE0EEENS1_30default_config_static_selectorELNS0_4arch9wavefront6targetE1EEEvT1_.kd
    .uniform_work_group_size: 1
    .uses_dynamic_stack: false
    .vgpr_count:     0
    .vgpr_spill_count: 0
    .wavefront_size: 64
  - .agpr_count:     0
    .args:
      - .offset:         0
        .size:           120
        .value_kind:     by_value
    .group_segment_fixed_size: 0
    .kernarg_segment_align: 8
    .kernarg_segment_size: 120
    .language:       OpenCL C
    .language_version:
      - 2
      - 0
    .max_flat_workgroup_size: 256
    .name:           _ZN7rocprim17ROCPRIM_400000_NS6detail17trampoline_kernelINS0_14default_configENS1_25partition_config_selectorILNS1_17partition_subalgoE3EsNS0_10empty_typeEbEEZZNS1_14partition_implILS5_3ELb0ES3_jN6thrust23THRUST_200600_302600_NS6detail15normal_iteratorINSA_7pointerIsNSA_11hip_rocprim3tagENSA_11use_defaultESG_EEEEPS6_SJ_NS0_5tupleIJPsSJ_EEENSK_IJSJ_SJ_EEES6_PlJ7is_evenIsEEEE10hipError_tPvRmT3_T4_T5_T6_T7_T9_mT8_P12ihipStream_tbDpT10_ENKUlT_T0_E_clISt17integral_constantIbLb1EES19_IbLb0EEEEDaS15_S16_EUlS15_E_NS1_11comp_targetILNS1_3genE2ELNS1_11target_archE906ELNS1_3gpuE6ELNS1_3repE0EEENS1_30default_config_static_selectorELNS0_4arch9wavefront6targetE1EEEvT1_
    .private_segment_fixed_size: 0
    .sgpr_count:     6
    .sgpr_spill_count: 0
    .symbol:         _ZN7rocprim17ROCPRIM_400000_NS6detail17trampoline_kernelINS0_14default_configENS1_25partition_config_selectorILNS1_17partition_subalgoE3EsNS0_10empty_typeEbEEZZNS1_14partition_implILS5_3ELb0ES3_jN6thrust23THRUST_200600_302600_NS6detail15normal_iteratorINSA_7pointerIsNSA_11hip_rocprim3tagENSA_11use_defaultESG_EEEEPS6_SJ_NS0_5tupleIJPsSJ_EEENSK_IJSJ_SJ_EEES6_PlJ7is_evenIsEEEE10hipError_tPvRmT3_T4_T5_T6_T7_T9_mT8_P12ihipStream_tbDpT10_ENKUlT_T0_E_clISt17integral_constantIbLb1EES19_IbLb0EEEEDaS15_S16_EUlS15_E_NS1_11comp_targetILNS1_3genE2ELNS1_11target_archE906ELNS1_3gpuE6ELNS1_3repE0EEENS1_30default_config_static_selectorELNS0_4arch9wavefront6targetE1EEEvT1_.kd
    .uniform_work_group_size: 1
    .uses_dynamic_stack: false
    .vgpr_count:     0
    .vgpr_spill_count: 0
    .wavefront_size: 64
  - .agpr_count:     0
    .args:
      - .offset:         0
        .size:           120
        .value_kind:     by_value
    .group_segment_fixed_size: 0
    .kernarg_segment_align: 8
    .kernarg_segment_size: 120
    .language:       OpenCL C
    .language_version:
      - 2
      - 0
    .max_flat_workgroup_size: 512
    .name:           _ZN7rocprim17ROCPRIM_400000_NS6detail17trampoline_kernelINS0_14default_configENS1_25partition_config_selectorILNS1_17partition_subalgoE3EsNS0_10empty_typeEbEEZZNS1_14partition_implILS5_3ELb0ES3_jN6thrust23THRUST_200600_302600_NS6detail15normal_iteratorINSA_7pointerIsNSA_11hip_rocprim3tagENSA_11use_defaultESG_EEEEPS6_SJ_NS0_5tupleIJPsSJ_EEENSK_IJSJ_SJ_EEES6_PlJ7is_evenIsEEEE10hipError_tPvRmT3_T4_T5_T6_T7_T9_mT8_P12ihipStream_tbDpT10_ENKUlT_T0_E_clISt17integral_constantIbLb1EES19_IbLb0EEEEDaS15_S16_EUlS15_E_NS1_11comp_targetILNS1_3genE10ELNS1_11target_archE1200ELNS1_3gpuE4ELNS1_3repE0EEENS1_30default_config_static_selectorELNS0_4arch9wavefront6targetE1EEEvT1_
    .private_segment_fixed_size: 0
    .sgpr_count:     6
    .sgpr_spill_count: 0
    .symbol:         _ZN7rocprim17ROCPRIM_400000_NS6detail17trampoline_kernelINS0_14default_configENS1_25partition_config_selectorILNS1_17partition_subalgoE3EsNS0_10empty_typeEbEEZZNS1_14partition_implILS5_3ELb0ES3_jN6thrust23THRUST_200600_302600_NS6detail15normal_iteratorINSA_7pointerIsNSA_11hip_rocprim3tagENSA_11use_defaultESG_EEEEPS6_SJ_NS0_5tupleIJPsSJ_EEENSK_IJSJ_SJ_EEES6_PlJ7is_evenIsEEEE10hipError_tPvRmT3_T4_T5_T6_T7_T9_mT8_P12ihipStream_tbDpT10_ENKUlT_T0_E_clISt17integral_constantIbLb1EES19_IbLb0EEEEDaS15_S16_EUlS15_E_NS1_11comp_targetILNS1_3genE10ELNS1_11target_archE1200ELNS1_3gpuE4ELNS1_3repE0EEENS1_30default_config_static_selectorELNS0_4arch9wavefront6targetE1EEEvT1_.kd
    .uniform_work_group_size: 1
    .uses_dynamic_stack: false
    .vgpr_count:     0
    .vgpr_spill_count: 0
    .wavefront_size: 64
  - .agpr_count:     0
    .args:
      - .offset:         0
        .size:           120
        .value_kind:     by_value
    .group_segment_fixed_size: 0
    .kernarg_segment_align: 8
    .kernarg_segment_size: 120
    .language:       OpenCL C
    .language_version:
      - 2
      - 0
    .max_flat_workgroup_size: 128
    .name:           _ZN7rocprim17ROCPRIM_400000_NS6detail17trampoline_kernelINS0_14default_configENS1_25partition_config_selectorILNS1_17partition_subalgoE3EsNS0_10empty_typeEbEEZZNS1_14partition_implILS5_3ELb0ES3_jN6thrust23THRUST_200600_302600_NS6detail15normal_iteratorINSA_7pointerIsNSA_11hip_rocprim3tagENSA_11use_defaultESG_EEEEPS6_SJ_NS0_5tupleIJPsSJ_EEENSK_IJSJ_SJ_EEES6_PlJ7is_evenIsEEEE10hipError_tPvRmT3_T4_T5_T6_T7_T9_mT8_P12ihipStream_tbDpT10_ENKUlT_T0_E_clISt17integral_constantIbLb1EES19_IbLb0EEEEDaS15_S16_EUlS15_E_NS1_11comp_targetILNS1_3genE9ELNS1_11target_archE1100ELNS1_3gpuE3ELNS1_3repE0EEENS1_30default_config_static_selectorELNS0_4arch9wavefront6targetE1EEEvT1_
    .private_segment_fixed_size: 0
    .sgpr_count:     6
    .sgpr_spill_count: 0
    .symbol:         _ZN7rocprim17ROCPRIM_400000_NS6detail17trampoline_kernelINS0_14default_configENS1_25partition_config_selectorILNS1_17partition_subalgoE3EsNS0_10empty_typeEbEEZZNS1_14partition_implILS5_3ELb0ES3_jN6thrust23THRUST_200600_302600_NS6detail15normal_iteratorINSA_7pointerIsNSA_11hip_rocprim3tagENSA_11use_defaultESG_EEEEPS6_SJ_NS0_5tupleIJPsSJ_EEENSK_IJSJ_SJ_EEES6_PlJ7is_evenIsEEEE10hipError_tPvRmT3_T4_T5_T6_T7_T9_mT8_P12ihipStream_tbDpT10_ENKUlT_T0_E_clISt17integral_constantIbLb1EES19_IbLb0EEEEDaS15_S16_EUlS15_E_NS1_11comp_targetILNS1_3genE9ELNS1_11target_archE1100ELNS1_3gpuE3ELNS1_3repE0EEENS1_30default_config_static_selectorELNS0_4arch9wavefront6targetE1EEEvT1_.kd
    .uniform_work_group_size: 1
    .uses_dynamic_stack: false
    .vgpr_count:     0
    .vgpr_spill_count: 0
    .wavefront_size: 64
  - .agpr_count:     0
    .args:
      - .offset:         0
        .size:           120
        .value_kind:     by_value
    .group_segment_fixed_size: 0
    .kernarg_segment_align: 8
    .kernarg_segment_size: 120
    .language:       OpenCL C
    .language_version:
      - 2
      - 0
    .max_flat_workgroup_size: 256
    .name:           _ZN7rocprim17ROCPRIM_400000_NS6detail17trampoline_kernelINS0_14default_configENS1_25partition_config_selectorILNS1_17partition_subalgoE3EsNS0_10empty_typeEbEEZZNS1_14partition_implILS5_3ELb0ES3_jN6thrust23THRUST_200600_302600_NS6detail15normal_iteratorINSA_7pointerIsNSA_11hip_rocprim3tagENSA_11use_defaultESG_EEEEPS6_SJ_NS0_5tupleIJPsSJ_EEENSK_IJSJ_SJ_EEES6_PlJ7is_evenIsEEEE10hipError_tPvRmT3_T4_T5_T6_T7_T9_mT8_P12ihipStream_tbDpT10_ENKUlT_T0_E_clISt17integral_constantIbLb1EES19_IbLb0EEEEDaS15_S16_EUlS15_E_NS1_11comp_targetILNS1_3genE8ELNS1_11target_archE1030ELNS1_3gpuE2ELNS1_3repE0EEENS1_30default_config_static_selectorELNS0_4arch9wavefront6targetE1EEEvT1_
    .private_segment_fixed_size: 0
    .sgpr_count:     6
    .sgpr_spill_count: 0
    .symbol:         _ZN7rocprim17ROCPRIM_400000_NS6detail17trampoline_kernelINS0_14default_configENS1_25partition_config_selectorILNS1_17partition_subalgoE3EsNS0_10empty_typeEbEEZZNS1_14partition_implILS5_3ELb0ES3_jN6thrust23THRUST_200600_302600_NS6detail15normal_iteratorINSA_7pointerIsNSA_11hip_rocprim3tagENSA_11use_defaultESG_EEEEPS6_SJ_NS0_5tupleIJPsSJ_EEENSK_IJSJ_SJ_EEES6_PlJ7is_evenIsEEEE10hipError_tPvRmT3_T4_T5_T6_T7_T9_mT8_P12ihipStream_tbDpT10_ENKUlT_T0_E_clISt17integral_constantIbLb1EES19_IbLb0EEEEDaS15_S16_EUlS15_E_NS1_11comp_targetILNS1_3genE8ELNS1_11target_archE1030ELNS1_3gpuE2ELNS1_3repE0EEENS1_30default_config_static_selectorELNS0_4arch9wavefront6targetE1EEEvT1_.kd
    .uniform_work_group_size: 1
    .uses_dynamic_stack: false
    .vgpr_count:     0
    .vgpr_spill_count: 0
    .wavefront_size: 64
  - .agpr_count:     0
    .args:
      - .offset:         0
        .size:           136
        .value_kind:     by_value
    .group_segment_fixed_size: 0
    .kernarg_segment_align: 8
    .kernarg_segment_size: 136
    .language:       OpenCL C
    .language_version:
      - 2
      - 0
    .max_flat_workgroup_size: 256
    .name:           _ZN7rocprim17ROCPRIM_400000_NS6detail17trampoline_kernelINS0_14default_configENS1_25partition_config_selectorILNS1_17partition_subalgoE3EsNS0_10empty_typeEbEEZZNS1_14partition_implILS5_3ELb0ES3_jN6thrust23THRUST_200600_302600_NS6detail15normal_iteratorINSA_7pointerIsNSA_11hip_rocprim3tagENSA_11use_defaultESG_EEEEPS6_SJ_NS0_5tupleIJPsSJ_EEENSK_IJSJ_SJ_EEES6_PlJ7is_evenIsEEEE10hipError_tPvRmT3_T4_T5_T6_T7_T9_mT8_P12ihipStream_tbDpT10_ENKUlT_T0_E_clISt17integral_constantIbLb0EES19_IbLb1EEEEDaS15_S16_EUlS15_E_NS1_11comp_targetILNS1_3genE0ELNS1_11target_archE4294967295ELNS1_3gpuE0ELNS1_3repE0EEENS1_30default_config_static_selectorELNS0_4arch9wavefront6targetE1EEEvT1_
    .private_segment_fixed_size: 0
    .sgpr_count:     6
    .sgpr_spill_count: 0
    .symbol:         _ZN7rocprim17ROCPRIM_400000_NS6detail17trampoline_kernelINS0_14default_configENS1_25partition_config_selectorILNS1_17partition_subalgoE3EsNS0_10empty_typeEbEEZZNS1_14partition_implILS5_3ELb0ES3_jN6thrust23THRUST_200600_302600_NS6detail15normal_iteratorINSA_7pointerIsNSA_11hip_rocprim3tagENSA_11use_defaultESG_EEEEPS6_SJ_NS0_5tupleIJPsSJ_EEENSK_IJSJ_SJ_EEES6_PlJ7is_evenIsEEEE10hipError_tPvRmT3_T4_T5_T6_T7_T9_mT8_P12ihipStream_tbDpT10_ENKUlT_T0_E_clISt17integral_constantIbLb0EES19_IbLb1EEEEDaS15_S16_EUlS15_E_NS1_11comp_targetILNS1_3genE0ELNS1_11target_archE4294967295ELNS1_3gpuE0ELNS1_3repE0EEENS1_30default_config_static_selectorELNS0_4arch9wavefront6targetE1EEEvT1_.kd
    .uniform_work_group_size: 1
    .uses_dynamic_stack: false
    .vgpr_count:     0
    .vgpr_spill_count: 0
    .wavefront_size: 64
  - .agpr_count:     0
    .args:
      - .offset:         0
        .size:           136
        .value_kind:     by_value
    .group_segment_fixed_size: 30728
    .kernarg_segment_align: 8
    .kernarg_segment_size: 136
    .language:       OpenCL C
    .language_version:
      - 2
      - 0
    .max_flat_workgroup_size: 512
    .name:           _ZN7rocprim17ROCPRIM_400000_NS6detail17trampoline_kernelINS0_14default_configENS1_25partition_config_selectorILNS1_17partition_subalgoE3EsNS0_10empty_typeEbEEZZNS1_14partition_implILS5_3ELb0ES3_jN6thrust23THRUST_200600_302600_NS6detail15normal_iteratorINSA_7pointerIsNSA_11hip_rocprim3tagENSA_11use_defaultESG_EEEEPS6_SJ_NS0_5tupleIJPsSJ_EEENSK_IJSJ_SJ_EEES6_PlJ7is_evenIsEEEE10hipError_tPvRmT3_T4_T5_T6_T7_T9_mT8_P12ihipStream_tbDpT10_ENKUlT_T0_E_clISt17integral_constantIbLb0EES19_IbLb1EEEEDaS15_S16_EUlS15_E_NS1_11comp_targetILNS1_3genE5ELNS1_11target_archE942ELNS1_3gpuE9ELNS1_3repE0EEENS1_30default_config_static_selectorELNS0_4arch9wavefront6targetE1EEEvT1_
    .private_segment_fixed_size: 0
    .sgpr_count:     50
    .sgpr_spill_count: 0
    .symbol:         _ZN7rocprim17ROCPRIM_400000_NS6detail17trampoline_kernelINS0_14default_configENS1_25partition_config_selectorILNS1_17partition_subalgoE3EsNS0_10empty_typeEbEEZZNS1_14partition_implILS5_3ELb0ES3_jN6thrust23THRUST_200600_302600_NS6detail15normal_iteratorINSA_7pointerIsNSA_11hip_rocprim3tagENSA_11use_defaultESG_EEEEPS6_SJ_NS0_5tupleIJPsSJ_EEENSK_IJSJ_SJ_EEES6_PlJ7is_evenIsEEEE10hipError_tPvRmT3_T4_T5_T6_T7_T9_mT8_P12ihipStream_tbDpT10_ENKUlT_T0_E_clISt17integral_constantIbLb0EES19_IbLb1EEEEDaS15_S16_EUlS15_E_NS1_11comp_targetILNS1_3genE5ELNS1_11target_archE942ELNS1_3gpuE9ELNS1_3repE0EEENS1_30default_config_static_selectorELNS0_4arch9wavefront6targetE1EEEvT1_.kd
    .uniform_work_group_size: 1
    .uses_dynamic_stack: false
    .vgpr_count:     124
    .vgpr_spill_count: 0
    .wavefront_size: 64
  - .agpr_count:     0
    .args:
      - .offset:         0
        .size:           136
        .value_kind:     by_value
    .group_segment_fixed_size: 0
    .kernarg_segment_align: 8
    .kernarg_segment_size: 136
    .language:       OpenCL C
    .language_version:
      - 2
      - 0
    .max_flat_workgroup_size: 256
    .name:           _ZN7rocprim17ROCPRIM_400000_NS6detail17trampoline_kernelINS0_14default_configENS1_25partition_config_selectorILNS1_17partition_subalgoE3EsNS0_10empty_typeEbEEZZNS1_14partition_implILS5_3ELb0ES3_jN6thrust23THRUST_200600_302600_NS6detail15normal_iteratorINSA_7pointerIsNSA_11hip_rocprim3tagENSA_11use_defaultESG_EEEEPS6_SJ_NS0_5tupleIJPsSJ_EEENSK_IJSJ_SJ_EEES6_PlJ7is_evenIsEEEE10hipError_tPvRmT3_T4_T5_T6_T7_T9_mT8_P12ihipStream_tbDpT10_ENKUlT_T0_E_clISt17integral_constantIbLb0EES19_IbLb1EEEEDaS15_S16_EUlS15_E_NS1_11comp_targetILNS1_3genE4ELNS1_11target_archE910ELNS1_3gpuE8ELNS1_3repE0EEENS1_30default_config_static_selectorELNS0_4arch9wavefront6targetE1EEEvT1_
    .private_segment_fixed_size: 0
    .sgpr_count:     6
    .sgpr_spill_count: 0
    .symbol:         _ZN7rocprim17ROCPRIM_400000_NS6detail17trampoline_kernelINS0_14default_configENS1_25partition_config_selectorILNS1_17partition_subalgoE3EsNS0_10empty_typeEbEEZZNS1_14partition_implILS5_3ELb0ES3_jN6thrust23THRUST_200600_302600_NS6detail15normal_iteratorINSA_7pointerIsNSA_11hip_rocprim3tagENSA_11use_defaultESG_EEEEPS6_SJ_NS0_5tupleIJPsSJ_EEENSK_IJSJ_SJ_EEES6_PlJ7is_evenIsEEEE10hipError_tPvRmT3_T4_T5_T6_T7_T9_mT8_P12ihipStream_tbDpT10_ENKUlT_T0_E_clISt17integral_constantIbLb0EES19_IbLb1EEEEDaS15_S16_EUlS15_E_NS1_11comp_targetILNS1_3genE4ELNS1_11target_archE910ELNS1_3gpuE8ELNS1_3repE0EEENS1_30default_config_static_selectorELNS0_4arch9wavefront6targetE1EEEvT1_.kd
    .uniform_work_group_size: 1
    .uses_dynamic_stack: false
    .vgpr_count:     0
    .vgpr_spill_count: 0
    .wavefront_size: 64
  - .agpr_count:     0
    .args:
      - .offset:         0
        .size:           136
        .value_kind:     by_value
    .group_segment_fixed_size: 0
    .kernarg_segment_align: 8
    .kernarg_segment_size: 136
    .language:       OpenCL C
    .language_version:
      - 2
      - 0
    .max_flat_workgroup_size: 256
    .name:           _ZN7rocprim17ROCPRIM_400000_NS6detail17trampoline_kernelINS0_14default_configENS1_25partition_config_selectorILNS1_17partition_subalgoE3EsNS0_10empty_typeEbEEZZNS1_14partition_implILS5_3ELb0ES3_jN6thrust23THRUST_200600_302600_NS6detail15normal_iteratorINSA_7pointerIsNSA_11hip_rocprim3tagENSA_11use_defaultESG_EEEEPS6_SJ_NS0_5tupleIJPsSJ_EEENSK_IJSJ_SJ_EEES6_PlJ7is_evenIsEEEE10hipError_tPvRmT3_T4_T5_T6_T7_T9_mT8_P12ihipStream_tbDpT10_ENKUlT_T0_E_clISt17integral_constantIbLb0EES19_IbLb1EEEEDaS15_S16_EUlS15_E_NS1_11comp_targetILNS1_3genE3ELNS1_11target_archE908ELNS1_3gpuE7ELNS1_3repE0EEENS1_30default_config_static_selectorELNS0_4arch9wavefront6targetE1EEEvT1_
    .private_segment_fixed_size: 0
    .sgpr_count:     6
    .sgpr_spill_count: 0
    .symbol:         _ZN7rocprim17ROCPRIM_400000_NS6detail17trampoline_kernelINS0_14default_configENS1_25partition_config_selectorILNS1_17partition_subalgoE3EsNS0_10empty_typeEbEEZZNS1_14partition_implILS5_3ELb0ES3_jN6thrust23THRUST_200600_302600_NS6detail15normal_iteratorINSA_7pointerIsNSA_11hip_rocprim3tagENSA_11use_defaultESG_EEEEPS6_SJ_NS0_5tupleIJPsSJ_EEENSK_IJSJ_SJ_EEES6_PlJ7is_evenIsEEEE10hipError_tPvRmT3_T4_T5_T6_T7_T9_mT8_P12ihipStream_tbDpT10_ENKUlT_T0_E_clISt17integral_constantIbLb0EES19_IbLb1EEEEDaS15_S16_EUlS15_E_NS1_11comp_targetILNS1_3genE3ELNS1_11target_archE908ELNS1_3gpuE7ELNS1_3repE0EEENS1_30default_config_static_selectorELNS0_4arch9wavefront6targetE1EEEvT1_.kd
    .uniform_work_group_size: 1
    .uses_dynamic_stack: false
    .vgpr_count:     0
    .vgpr_spill_count: 0
    .wavefront_size: 64
  - .agpr_count:     0
    .args:
      - .offset:         0
        .size:           136
        .value_kind:     by_value
    .group_segment_fixed_size: 0
    .kernarg_segment_align: 8
    .kernarg_segment_size: 136
    .language:       OpenCL C
    .language_version:
      - 2
      - 0
    .max_flat_workgroup_size: 256
    .name:           _ZN7rocprim17ROCPRIM_400000_NS6detail17trampoline_kernelINS0_14default_configENS1_25partition_config_selectorILNS1_17partition_subalgoE3EsNS0_10empty_typeEbEEZZNS1_14partition_implILS5_3ELb0ES3_jN6thrust23THRUST_200600_302600_NS6detail15normal_iteratorINSA_7pointerIsNSA_11hip_rocprim3tagENSA_11use_defaultESG_EEEEPS6_SJ_NS0_5tupleIJPsSJ_EEENSK_IJSJ_SJ_EEES6_PlJ7is_evenIsEEEE10hipError_tPvRmT3_T4_T5_T6_T7_T9_mT8_P12ihipStream_tbDpT10_ENKUlT_T0_E_clISt17integral_constantIbLb0EES19_IbLb1EEEEDaS15_S16_EUlS15_E_NS1_11comp_targetILNS1_3genE2ELNS1_11target_archE906ELNS1_3gpuE6ELNS1_3repE0EEENS1_30default_config_static_selectorELNS0_4arch9wavefront6targetE1EEEvT1_
    .private_segment_fixed_size: 0
    .sgpr_count:     6
    .sgpr_spill_count: 0
    .symbol:         _ZN7rocprim17ROCPRIM_400000_NS6detail17trampoline_kernelINS0_14default_configENS1_25partition_config_selectorILNS1_17partition_subalgoE3EsNS0_10empty_typeEbEEZZNS1_14partition_implILS5_3ELb0ES3_jN6thrust23THRUST_200600_302600_NS6detail15normal_iteratorINSA_7pointerIsNSA_11hip_rocprim3tagENSA_11use_defaultESG_EEEEPS6_SJ_NS0_5tupleIJPsSJ_EEENSK_IJSJ_SJ_EEES6_PlJ7is_evenIsEEEE10hipError_tPvRmT3_T4_T5_T6_T7_T9_mT8_P12ihipStream_tbDpT10_ENKUlT_T0_E_clISt17integral_constantIbLb0EES19_IbLb1EEEEDaS15_S16_EUlS15_E_NS1_11comp_targetILNS1_3genE2ELNS1_11target_archE906ELNS1_3gpuE6ELNS1_3repE0EEENS1_30default_config_static_selectorELNS0_4arch9wavefront6targetE1EEEvT1_.kd
    .uniform_work_group_size: 1
    .uses_dynamic_stack: false
    .vgpr_count:     0
    .vgpr_spill_count: 0
    .wavefront_size: 64
  - .agpr_count:     0
    .args:
      - .offset:         0
        .size:           136
        .value_kind:     by_value
    .group_segment_fixed_size: 0
    .kernarg_segment_align: 8
    .kernarg_segment_size: 136
    .language:       OpenCL C
    .language_version:
      - 2
      - 0
    .max_flat_workgroup_size: 512
    .name:           _ZN7rocprim17ROCPRIM_400000_NS6detail17trampoline_kernelINS0_14default_configENS1_25partition_config_selectorILNS1_17partition_subalgoE3EsNS0_10empty_typeEbEEZZNS1_14partition_implILS5_3ELb0ES3_jN6thrust23THRUST_200600_302600_NS6detail15normal_iteratorINSA_7pointerIsNSA_11hip_rocprim3tagENSA_11use_defaultESG_EEEEPS6_SJ_NS0_5tupleIJPsSJ_EEENSK_IJSJ_SJ_EEES6_PlJ7is_evenIsEEEE10hipError_tPvRmT3_T4_T5_T6_T7_T9_mT8_P12ihipStream_tbDpT10_ENKUlT_T0_E_clISt17integral_constantIbLb0EES19_IbLb1EEEEDaS15_S16_EUlS15_E_NS1_11comp_targetILNS1_3genE10ELNS1_11target_archE1200ELNS1_3gpuE4ELNS1_3repE0EEENS1_30default_config_static_selectorELNS0_4arch9wavefront6targetE1EEEvT1_
    .private_segment_fixed_size: 0
    .sgpr_count:     6
    .sgpr_spill_count: 0
    .symbol:         _ZN7rocprim17ROCPRIM_400000_NS6detail17trampoline_kernelINS0_14default_configENS1_25partition_config_selectorILNS1_17partition_subalgoE3EsNS0_10empty_typeEbEEZZNS1_14partition_implILS5_3ELb0ES3_jN6thrust23THRUST_200600_302600_NS6detail15normal_iteratorINSA_7pointerIsNSA_11hip_rocprim3tagENSA_11use_defaultESG_EEEEPS6_SJ_NS0_5tupleIJPsSJ_EEENSK_IJSJ_SJ_EEES6_PlJ7is_evenIsEEEE10hipError_tPvRmT3_T4_T5_T6_T7_T9_mT8_P12ihipStream_tbDpT10_ENKUlT_T0_E_clISt17integral_constantIbLb0EES19_IbLb1EEEEDaS15_S16_EUlS15_E_NS1_11comp_targetILNS1_3genE10ELNS1_11target_archE1200ELNS1_3gpuE4ELNS1_3repE0EEENS1_30default_config_static_selectorELNS0_4arch9wavefront6targetE1EEEvT1_.kd
    .uniform_work_group_size: 1
    .uses_dynamic_stack: false
    .vgpr_count:     0
    .vgpr_spill_count: 0
    .wavefront_size: 64
  - .agpr_count:     0
    .args:
      - .offset:         0
        .size:           136
        .value_kind:     by_value
    .group_segment_fixed_size: 0
    .kernarg_segment_align: 8
    .kernarg_segment_size: 136
    .language:       OpenCL C
    .language_version:
      - 2
      - 0
    .max_flat_workgroup_size: 128
    .name:           _ZN7rocprim17ROCPRIM_400000_NS6detail17trampoline_kernelINS0_14default_configENS1_25partition_config_selectorILNS1_17partition_subalgoE3EsNS0_10empty_typeEbEEZZNS1_14partition_implILS5_3ELb0ES3_jN6thrust23THRUST_200600_302600_NS6detail15normal_iteratorINSA_7pointerIsNSA_11hip_rocprim3tagENSA_11use_defaultESG_EEEEPS6_SJ_NS0_5tupleIJPsSJ_EEENSK_IJSJ_SJ_EEES6_PlJ7is_evenIsEEEE10hipError_tPvRmT3_T4_T5_T6_T7_T9_mT8_P12ihipStream_tbDpT10_ENKUlT_T0_E_clISt17integral_constantIbLb0EES19_IbLb1EEEEDaS15_S16_EUlS15_E_NS1_11comp_targetILNS1_3genE9ELNS1_11target_archE1100ELNS1_3gpuE3ELNS1_3repE0EEENS1_30default_config_static_selectorELNS0_4arch9wavefront6targetE1EEEvT1_
    .private_segment_fixed_size: 0
    .sgpr_count:     6
    .sgpr_spill_count: 0
    .symbol:         _ZN7rocprim17ROCPRIM_400000_NS6detail17trampoline_kernelINS0_14default_configENS1_25partition_config_selectorILNS1_17partition_subalgoE3EsNS0_10empty_typeEbEEZZNS1_14partition_implILS5_3ELb0ES3_jN6thrust23THRUST_200600_302600_NS6detail15normal_iteratorINSA_7pointerIsNSA_11hip_rocprim3tagENSA_11use_defaultESG_EEEEPS6_SJ_NS0_5tupleIJPsSJ_EEENSK_IJSJ_SJ_EEES6_PlJ7is_evenIsEEEE10hipError_tPvRmT3_T4_T5_T6_T7_T9_mT8_P12ihipStream_tbDpT10_ENKUlT_T0_E_clISt17integral_constantIbLb0EES19_IbLb1EEEEDaS15_S16_EUlS15_E_NS1_11comp_targetILNS1_3genE9ELNS1_11target_archE1100ELNS1_3gpuE3ELNS1_3repE0EEENS1_30default_config_static_selectorELNS0_4arch9wavefront6targetE1EEEvT1_.kd
    .uniform_work_group_size: 1
    .uses_dynamic_stack: false
    .vgpr_count:     0
    .vgpr_spill_count: 0
    .wavefront_size: 64
  - .agpr_count:     0
    .args:
      - .offset:         0
        .size:           136
        .value_kind:     by_value
    .group_segment_fixed_size: 0
    .kernarg_segment_align: 8
    .kernarg_segment_size: 136
    .language:       OpenCL C
    .language_version:
      - 2
      - 0
    .max_flat_workgroup_size: 256
    .name:           _ZN7rocprim17ROCPRIM_400000_NS6detail17trampoline_kernelINS0_14default_configENS1_25partition_config_selectorILNS1_17partition_subalgoE3EsNS0_10empty_typeEbEEZZNS1_14partition_implILS5_3ELb0ES3_jN6thrust23THRUST_200600_302600_NS6detail15normal_iteratorINSA_7pointerIsNSA_11hip_rocprim3tagENSA_11use_defaultESG_EEEEPS6_SJ_NS0_5tupleIJPsSJ_EEENSK_IJSJ_SJ_EEES6_PlJ7is_evenIsEEEE10hipError_tPvRmT3_T4_T5_T6_T7_T9_mT8_P12ihipStream_tbDpT10_ENKUlT_T0_E_clISt17integral_constantIbLb0EES19_IbLb1EEEEDaS15_S16_EUlS15_E_NS1_11comp_targetILNS1_3genE8ELNS1_11target_archE1030ELNS1_3gpuE2ELNS1_3repE0EEENS1_30default_config_static_selectorELNS0_4arch9wavefront6targetE1EEEvT1_
    .private_segment_fixed_size: 0
    .sgpr_count:     6
    .sgpr_spill_count: 0
    .symbol:         _ZN7rocprim17ROCPRIM_400000_NS6detail17trampoline_kernelINS0_14default_configENS1_25partition_config_selectorILNS1_17partition_subalgoE3EsNS0_10empty_typeEbEEZZNS1_14partition_implILS5_3ELb0ES3_jN6thrust23THRUST_200600_302600_NS6detail15normal_iteratorINSA_7pointerIsNSA_11hip_rocprim3tagENSA_11use_defaultESG_EEEEPS6_SJ_NS0_5tupleIJPsSJ_EEENSK_IJSJ_SJ_EEES6_PlJ7is_evenIsEEEE10hipError_tPvRmT3_T4_T5_T6_T7_T9_mT8_P12ihipStream_tbDpT10_ENKUlT_T0_E_clISt17integral_constantIbLb0EES19_IbLb1EEEEDaS15_S16_EUlS15_E_NS1_11comp_targetILNS1_3genE8ELNS1_11target_archE1030ELNS1_3gpuE2ELNS1_3repE0EEENS1_30default_config_static_selectorELNS0_4arch9wavefront6targetE1EEEvT1_.kd
    .uniform_work_group_size: 1
    .uses_dynamic_stack: false
    .vgpr_count:     0
    .vgpr_spill_count: 0
    .wavefront_size: 64
  - .agpr_count:     0
    .args:
      - .offset:         0
        .size:           104
        .value_kind:     by_value
    .group_segment_fixed_size: 0
    .kernarg_segment_align: 8
    .kernarg_segment_size: 104
    .language:       OpenCL C
    .language_version:
      - 2
      - 0
    .max_flat_workgroup_size: 128
    .name:           _ZN7rocprim17ROCPRIM_400000_NS6detail17trampoline_kernelINS0_14default_configENS1_22reduce_config_selectorIN6thrust23THRUST_200600_302600_NS5tupleIblNS6_9null_typeES8_S8_S8_S8_S8_S8_S8_EEEEZNS1_11reduce_implILb1ES3_NS6_12zip_iteratorINS7_INS6_11hip_rocprim26transform_input_iterator_tIbNSD_35transform_pair_of_input_iterators_tIbNS6_6detail15normal_iteratorINS6_10device_ptrIKsEEEESL_NS6_8equal_toIsEEEENSG_9not_fun_tINSD_8identityEEEEENSD_19counting_iterator_tIlEES8_S8_S8_S8_S8_S8_S8_S8_EEEEPS9_S9_NSD_9__find_if7functorIS9_EEEE10hipError_tPvRmT1_T2_T3_mT4_P12ihipStream_tbEUlT_E0_NS1_11comp_targetILNS1_3genE0ELNS1_11target_archE4294967295ELNS1_3gpuE0ELNS1_3repE0EEENS1_30default_config_static_selectorELNS0_4arch9wavefront6targetE1EEEvS14_
    .private_segment_fixed_size: 0
    .sgpr_count:     6
    .sgpr_spill_count: 0
    .symbol:         _ZN7rocprim17ROCPRIM_400000_NS6detail17trampoline_kernelINS0_14default_configENS1_22reduce_config_selectorIN6thrust23THRUST_200600_302600_NS5tupleIblNS6_9null_typeES8_S8_S8_S8_S8_S8_S8_EEEEZNS1_11reduce_implILb1ES3_NS6_12zip_iteratorINS7_INS6_11hip_rocprim26transform_input_iterator_tIbNSD_35transform_pair_of_input_iterators_tIbNS6_6detail15normal_iteratorINS6_10device_ptrIKsEEEESL_NS6_8equal_toIsEEEENSG_9not_fun_tINSD_8identityEEEEENSD_19counting_iterator_tIlEES8_S8_S8_S8_S8_S8_S8_S8_EEEEPS9_S9_NSD_9__find_if7functorIS9_EEEE10hipError_tPvRmT1_T2_T3_mT4_P12ihipStream_tbEUlT_E0_NS1_11comp_targetILNS1_3genE0ELNS1_11target_archE4294967295ELNS1_3gpuE0ELNS1_3repE0EEENS1_30default_config_static_selectorELNS0_4arch9wavefront6targetE1EEEvS14_.kd
    .uniform_work_group_size: 1
    .uses_dynamic_stack: false
    .vgpr_count:     0
    .vgpr_spill_count: 0
    .wavefront_size: 64
  - .agpr_count:     0
    .args:
      - .offset:         0
        .size:           104
        .value_kind:     by_value
    .group_segment_fixed_size: 128
    .kernarg_segment_align: 8
    .kernarg_segment_size: 104
    .language:       OpenCL C
    .language_version:
      - 2
      - 0
    .max_flat_workgroup_size: 256
    .name:           _ZN7rocprim17ROCPRIM_400000_NS6detail17trampoline_kernelINS0_14default_configENS1_22reduce_config_selectorIN6thrust23THRUST_200600_302600_NS5tupleIblNS6_9null_typeES8_S8_S8_S8_S8_S8_S8_EEEEZNS1_11reduce_implILb1ES3_NS6_12zip_iteratorINS7_INS6_11hip_rocprim26transform_input_iterator_tIbNSD_35transform_pair_of_input_iterators_tIbNS6_6detail15normal_iteratorINS6_10device_ptrIKsEEEESL_NS6_8equal_toIsEEEENSG_9not_fun_tINSD_8identityEEEEENSD_19counting_iterator_tIlEES8_S8_S8_S8_S8_S8_S8_S8_EEEEPS9_S9_NSD_9__find_if7functorIS9_EEEE10hipError_tPvRmT1_T2_T3_mT4_P12ihipStream_tbEUlT_E0_NS1_11comp_targetILNS1_3genE5ELNS1_11target_archE942ELNS1_3gpuE9ELNS1_3repE0EEENS1_30default_config_static_selectorELNS0_4arch9wavefront6targetE1EEEvS14_
    .private_segment_fixed_size: 0
    .sgpr_count:     57
    .sgpr_spill_count: 0
    .symbol:         _ZN7rocprim17ROCPRIM_400000_NS6detail17trampoline_kernelINS0_14default_configENS1_22reduce_config_selectorIN6thrust23THRUST_200600_302600_NS5tupleIblNS6_9null_typeES8_S8_S8_S8_S8_S8_S8_EEEEZNS1_11reduce_implILb1ES3_NS6_12zip_iteratorINS7_INS6_11hip_rocprim26transform_input_iterator_tIbNSD_35transform_pair_of_input_iterators_tIbNS6_6detail15normal_iteratorINS6_10device_ptrIKsEEEESL_NS6_8equal_toIsEEEENSG_9not_fun_tINSD_8identityEEEEENSD_19counting_iterator_tIlEES8_S8_S8_S8_S8_S8_S8_S8_EEEEPS9_S9_NSD_9__find_if7functorIS9_EEEE10hipError_tPvRmT1_T2_T3_mT4_P12ihipStream_tbEUlT_E0_NS1_11comp_targetILNS1_3genE5ELNS1_11target_archE942ELNS1_3gpuE9ELNS1_3repE0EEENS1_30default_config_static_selectorELNS0_4arch9wavefront6targetE1EEEvS14_.kd
    .uniform_work_group_size: 1
    .uses_dynamic_stack: false
    .vgpr_count:     52
    .vgpr_spill_count: 0
    .wavefront_size: 64
  - .agpr_count:     0
    .args:
      - .offset:         0
        .size:           104
        .value_kind:     by_value
    .group_segment_fixed_size: 0
    .kernarg_segment_align: 8
    .kernarg_segment_size: 104
    .language:       OpenCL C
    .language_version:
      - 2
      - 0
    .max_flat_workgroup_size: 256
    .name:           _ZN7rocprim17ROCPRIM_400000_NS6detail17trampoline_kernelINS0_14default_configENS1_22reduce_config_selectorIN6thrust23THRUST_200600_302600_NS5tupleIblNS6_9null_typeES8_S8_S8_S8_S8_S8_S8_EEEEZNS1_11reduce_implILb1ES3_NS6_12zip_iteratorINS7_INS6_11hip_rocprim26transform_input_iterator_tIbNSD_35transform_pair_of_input_iterators_tIbNS6_6detail15normal_iteratorINS6_10device_ptrIKsEEEESL_NS6_8equal_toIsEEEENSG_9not_fun_tINSD_8identityEEEEENSD_19counting_iterator_tIlEES8_S8_S8_S8_S8_S8_S8_S8_EEEEPS9_S9_NSD_9__find_if7functorIS9_EEEE10hipError_tPvRmT1_T2_T3_mT4_P12ihipStream_tbEUlT_E0_NS1_11comp_targetILNS1_3genE4ELNS1_11target_archE910ELNS1_3gpuE8ELNS1_3repE0EEENS1_30default_config_static_selectorELNS0_4arch9wavefront6targetE1EEEvS14_
    .private_segment_fixed_size: 0
    .sgpr_count:     6
    .sgpr_spill_count: 0
    .symbol:         _ZN7rocprim17ROCPRIM_400000_NS6detail17trampoline_kernelINS0_14default_configENS1_22reduce_config_selectorIN6thrust23THRUST_200600_302600_NS5tupleIblNS6_9null_typeES8_S8_S8_S8_S8_S8_S8_EEEEZNS1_11reduce_implILb1ES3_NS6_12zip_iteratorINS7_INS6_11hip_rocprim26transform_input_iterator_tIbNSD_35transform_pair_of_input_iterators_tIbNS6_6detail15normal_iteratorINS6_10device_ptrIKsEEEESL_NS6_8equal_toIsEEEENSG_9not_fun_tINSD_8identityEEEEENSD_19counting_iterator_tIlEES8_S8_S8_S8_S8_S8_S8_S8_EEEEPS9_S9_NSD_9__find_if7functorIS9_EEEE10hipError_tPvRmT1_T2_T3_mT4_P12ihipStream_tbEUlT_E0_NS1_11comp_targetILNS1_3genE4ELNS1_11target_archE910ELNS1_3gpuE8ELNS1_3repE0EEENS1_30default_config_static_selectorELNS0_4arch9wavefront6targetE1EEEvS14_.kd
    .uniform_work_group_size: 1
    .uses_dynamic_stack: false
    .vgpr_count:     0
    .vgpr_spill_count: 0
    .wavefront_size: 64
  - .agpr_count:     0
    .args:
      - .offset:         0
        .size:           104
        .value_kind:     by_value
    .group_segment_fixed_size: 0
    .kernarg_segment_align: 8
    .kernarg_segment_size: 104
    .language:       OpenCL C
    .language_version:
      - 2
      - 0
    .max_flat_workgroup_size: 128
    .name:           _ZN7rocprim17ROCPRIM_400000_NS6detail17trampoline_kernelINS0_14default_configENS1_22reduce_config_selectorIN6thrust23THRUST_200600_302600_NS5tupleIblNS6_9null_typeES8_S8_S8_S8_S8_S8_S8_EEEEZNS1_11reduce_implILb1ES3_NS6_12zip_iteratorINS7_INS6_11hip_rocprim26transform_input_iterator_tIbNSD_35transform_pair_of_input_iterators_tIbNS6_6detail15normal_iteratorINS6_10device_ptrIKsEEEESL_NS6_8equal_toIsEEEENSG_9not_fun_tINSD_8identityEEEEENSD_19counting_iterator_tIlEES8_S8_S8_S8_S8_S8_S8_S8_EEEEPS9_S9_NSD_9__find_if7functorIS9_EEEE10hipError_tPvRmT1_T2_T3_mT4_P12ihipStream_tbEUlT_E0_NS1_11comp_targetILNS1_3genE3ELNS1_11target_archE908ELNS1_3gpuE7ELNS1_3repE0EEENS1_30default_config_static_selectorELNS0_4arch9wavefront6targetE1EEEvS14_
    .private_segment_fixed_size: 0
    .sgpr_count:     6
    .sgpr_spill_count: 0
    .symbol:         _ZN7rocprim17ROCPRIM_400000_NS6detail17trampoline_kernelINS0_14default_configENS1_22reduce_config_selectorIN6thrust23THRUST_200600_302600_NS5tupleIblNS6_9null_typeES8_S8_S8_S8_S8_S8_S8_EEEEZNS1_11reduce_implILb1ES3_NS6_12zip_iteratorINS7_INS6_11hip_rocprim26transform_input_iterator_tIbNSD_35transform_pair_of_input_iterators_tIbNS6_6detail15normal_iteratorINS6_10device_ptrIKsEEEESL_NS6_8equal_toIsEEEENSG_9not_fun_tINSD_8identityEEEEENSD_19counting_iterator_tIlEES8_S8_S8_S8_S8_S8_S8_S8_EEEEPS9_S9_NSD_9__find_if7functorIS9_EEEE10hipError_tPvRmT1_T2_T3_mT4_P12ihipStream_tbEUlT_E0_NS1_11comp_targetILNS1_3genE3ELNS1_11target_archE908ELNS1_3gpuE7ELNS1_3repE0EEENS1_30default_config_static_selectorELNS0_4arch9wavefront6targetE1EEEvS14_.kd
    .uniform_work_group_size: 1
    .uses_dynamic_stack: false
    .vgpr_count:     0
    .vgpr_spill_count: 0
    .wavefront_size: 64
  - .agpr_count:     0
    .args:
      - .offset:         0
        .size:           104
        .value_kind:     by_value
    .group_segment_fixed_size: 0
    .kernarg_segment_align: 8
    .kernarg_segment_size: 104
    .language:       OpenCL C
    .language_version:
      - 2
      - 0
    .max_flat_workgroup_size: 128
    .name:           _ZN7rocprim17ROCPRIM_400000_NS6detail17trampoline_kernelINS0_14default_configENS1_22reduce_config_selectorIN6thrust23THRUST_200600_302600_NS5tupleIblNS6_9null_typeES8_S8_S8_S8_S8_S8_S8_EEEEZNS1_11reduce_implILb1ES3_NS6_12zip_iteratorINS7_INS6_11hip_rocprim26transform_input_iterator_tIbNSD_35transform_pair_of_input_iterators_tIbNS6_6detail15normal_iteratorINS6_10device_ptrIKsEEEESL_NS6_8equal_toIsEEEENSG_9not_fun_tINSD_8identityEEEEENSD_19counting_iterator_tIlEES8_S8_S8_S8_S8_S8_S8_S8_EEEEPS9_S9_NSD_9__find_if7functorIS9_EEEE10hipError_tPvRmT1_T2_T3_mT4_P12ihipStream_tbEUlT_E0_NS1_11comp_targetILNS1_3genE2ELNS1_11target_archE906ELNS1_3gpuE6ELNS1_3repE0EEENS1_30default_config_static_selectorELNS0_4arch9wavefront6targetE1EEEvS14_
    .private_segment_fixed_size: 0
    .sgpr_count:     6
    .sgpr_spill_count: 0
    .symbol:         _ZN7rocprim17ROCPRIM_400000_NS6detail17trampoline_kernelINS0_14default_configENS1_22reduce_config_selectorIN6thrust23THRUST_200600_302600_NS5tupleIblNS6_9null_typeES8_S8_S8_S8_S8_S8_S8_EEEEZNS1_11reduce_implILb1ES3_NS6_12zip_iteratorINS7_INS6_11hip_rocprim26transform_input_iterator_tIbNSD_35transform_pair_of_input_iterators_tIbNS6_6detail15normal_iteratorINS6_10device_ptrIKsEEEESL_NS6_8equal_toIsEEEENSG_9not_fun_tINSD_8identityEEEEENSD_19counting_iterator_tIlEES8_S8_S8_S8_S8_S8_S8_S8_EEEEPS9_S9_NSD_9__find_if7functorIS9_EEEE10hipError_tPvRmT1_T2_T3_mT4_P12ihipStream_tbEUlT_E0_NS1_11comp_targetILNS1_3genE2ELNS1_11target_archE906ELNS1_3gpuE6ELNS1_3repE0EEENS1_30default_config_static_selectorELNS0_4arch9wavefront6targetE1EEEvS14_.kd
    .uniform_work_group_size: 1
    .uses_dynamic_stack: false
    .vgpr_count:     0
    .vgpr_spill_count: 0
    .wavefront_size: 64
  - .agpr_count:     0
    .args:
      - .offset:         0
        .size:           104
        .value_kind:     by_value
    .group_segment_fixed_size: 0
    .kernarg_segment_align: 8
    .kernarg_segment_size: 104
    .language:       OpenCL C
    .language_version:
      - 2
      - 0
    .max_flat_workgroup_size: 256
    .name:           _ZN7rocprim17ROCPRIM_400000_NS6detail17trampoline_kernelINS0_14default_configENS1_22reduce_config_selectorIN6thrust23THRUST_200600_302600_NS5tupleIblNS6_9null_typeES8_S8_S8_S8_S8_S8_S8_EEEEZNS1_11reduce_implILb1ES3_NS6_12zip_iteratorINS7_INS6_11hip_rocprim26transform_input_iterator_tIbNSD_35transform_pair_of_input_iterators_tIbNS6_6detail15normal_iteratorINS6_10device_ptrIKsEEEESL_NS6_8equal_toIsEEEENSG_9not_fun_tINSD_8identityEEEEENSD_19counting_iterator_tIlEES8_S8_S8_S8_S8_S8_S8_S8_EEEEPS9_S9_NSD_9__find_if7functorIS9_EEEE10hipError_tPvRmT1_T2_T3_mT4_P12ihipStream_tbEUlT_E0_NS1_11comp_targetILNS1_3genE10ELNS1_11target_archE1201ELNS1_3gpuE5ELNS1_3repE0EEENS1_30default_config_static_selectorELNS0_4arch9wavefront6targetE1EEEvS14_
    .private_segment_fixed_size: 0
    .sgpr_count:     6
    .sgpr_spill_count: 0
    .symbol:         _ZN7rocprim17ROCPRIM_400000_NS6detail17trampoline_kernelINS0_14default_configENS1_22reduce_config_selectorIN6thrust23THRUST_200600_302600_NS5tupleIblNS6_9null_typeES8_S8_S8_S8_S8_S8_S8_EEEEZNS1_11reduce_implILb1ES3_NS6_12zip_iteratorINS7_INS6_11hip_rocprim26transform_input_iterator_tIbNSD_35transform_pair_of_input_iterators_tIbNS6_6detail15normal_iteratorINS6_10device_ptrIKsEEEESL_NS6_8equal_toIsEEEENSG_9not_fun_tINSD_8identityEEEEENSD_19counting_iterator_tIlEES8_S8_S8_S8_S8_S8_S8_S8_EEEEPS9_S9_NSD_9__find_if7functorIS9_EEEE10hipError_tPvRmT1_T2_T3_mT4_P12ihipStream_tbEUlT_E0_NS1_11comp_targetILNS1_3genE10ELNS1_11target_archE1201ELNS1_3gpuE5ELNS1_3repE0EEENS1_30default_config_static_selectorELNS0_4arch9wavefront6targetE1EEEvS14_.kd
    .uniform_work_group_size: 1
    .uses_dynamic_stack: false
    .vgpr_count:     0
    .vgpr_spill_count: 0
    .wavefront_size: 64
  - .agpr_count:     0
    .args:
      - .offset:         0
        .size:           104
        .value_kind:     by_value
    .group_segment_fixed_size: 0
    .kernarg_segment_align: 8
    .kernarg_segment_size: 104
    .language:       OpenCL C
    .language_version:
      - 2
      - 0
    .max_flat_workgroup_size: 256
    .name:           _ZN7rocprim17ROCPRIM_400000_NS6detail17trampoline_kernelINS0_14default_configENS1_22reduce_config_selectorIN6thrust23THRUST_200600_302600_NS5tupleIblNS6_9null_typeES8_S8_S8_S8_S8_S8_S8_EEEEZNS1_11reduce_implILb1ES3_NS6_12zip_iteratorINS7_INS6_11hip_rocprim26transform_input_iterator_tIbNSD_35transform_pair_of_input_iterators_tIbNS6_6detail15normal_iteratorINS6_10device_ptrIKsEEEESL_NS6_8equal_toIsEEEENSG_9not_fun_tINSD_8identityEEEEENSD_19counting_iterator_tIlEES8_S8_S8_S8_S8_S8_S8_S8_EEEEPS9_S9_NSD_9__find_if7functorIS9_EEEE10hipError_tPvRmT1_T2_T3_mT4_P12ihipStream_tbEUlT_E0_NS1_11comp_targetILNS1_3genE10ELNS1_11target_archE1200ELNS1_3gpuE4ELNS1_3repE0EEENS1_30default_config_static_selectorELNS0_4arch9wavefront6targetE1EEEvS14_
    .private_segment_fixed_size: 0
    .sgpr_count:     6
    .sgpr_spill_count: 0
    .symbol:         _ZN7rocprim17ROCPRIM_400000_NS6detail17trampoline_kernelINS0_14default_configENS1_22reduce_config_selectorIN6thrust23THRUST_200600_302600_NS5tupleIblNS6_9null_typeES8_S8_S8_S8_S8_S8_S8_EEEEZNS1_11reduce_implILb1ES3_NS6_12zip_iteratorINS7_INS6_11hip_rocprim26transform_input_iterator_tIbNSD_35transform_pair_of_input_iterators_tIbNS6_6detail15normal_iteratorINS6_10device_ptrIKsEEEESL_NS6_8equal_toIsEEEENSG_9not_fun_tINSD_8identityEEEEENSD_19counting_iterator_tIlEES8_S8_S8_S8_S8_S8_S8_S8_EEEEPS9_S9_NSD_9__find_if7functorIS9_EEEE10hipError_tPvRmT1_T2_T3_mT4_P12ihipStream_tbEUlT_E0_NS1_11comp_targetILNS1_3genE10ELNS1_11target_archE1200ELNS1_3gpuE4ELNS1_3repE0EEENS1_30default_config_static_selectorELNS0_4arch9wavefront6targetE1EEEvS14_.kd
    .uniform_work_group_size: 1
    .uses_dynamic_stack: false
    .vgpr_count:     0
    .vgpr_spill_count: 0
    .wavefront_size: 64
  - .agpr_count:     0
    .args:
      - .offset:         0
        .size:           104
        .value_kind:     by_value
    .group_segment_fixed_size: 0
    .kernarg_segment_align: 8
    .kernarg_segment_size: 104
    .language:       OpenCL C
    .language_version:
      - 2
      - 0
    .max_flat_workgroup_size: 256
    .name:           _ZN7rocprim17ROCPRIM_400000_NS6detail17trampoline_kernelINS0_14default_configENS1_22reduce_config_selectorIN6thrust23THRUST_200600_302600_NS5tupleIblNS6_9null_typeES8_S8_S8_S8_S8_S8_S8_EEEEZNS1_11reduce_implILb1ES3_NS6_12zip_iteratorINS7_INS6_11hip_rocprim26transform_input_iterator_tIbNSD_35transform_pair_of_input_iterators_tIbNS6_6detail15normal_iteratorINS6_10device_ptrIKsEEEESL_NS6_8equal_toIsEEEENSG_9not_fun_tINSD_8identityEEEEENSD_19counting_iterator_tIlEES8_S8_S8_S8_S8_S8_S8_S8_EEEEPS9_S9_NSD_9__find_if7functorIS9_EEEE10hipError_tPvRmT1_T2_T3_mT4_P12ihipStream_tbEUlT_E0_NS1_11comp_targetILNS1_3genE9ELNS1_11target_archE1100ELNS1_3gpuE3ELNS1_3repE0EEENS1_30default_config_static_selectorELNS0_4arch9wavefront6targetE1EEEvS14_
    .private_segment_fixed_size: 0
    .sgpr_count:     6
    .sgpr_spill_count: 0
    .symbol:         _ZN7rocprim17ROCPRIM_400000_NS6detail17trampoline_kernelINS0_14default_configENS1_22reduce_config_selectorIN6thrust23THRUST_200600_302600_NS5tupleIblNS6_9null_typeES8_S8_S8_S8_S8_S8_S8_EEEEZNS1_11reduce_implILb1ES3_NS6_12zip_iteratorINS7_INS6_11hip_rocprim26transform_input_iterator_tIbNSD_35transform_pair_of_input_iterators_tIbNS6_6detail15normal_iteratorINS6_10device_ptrIKsEEEESL_NS6_8equal_toIsEEEENSG_9not_fun_tINSD_8identityEEEEENSD_19counting_iterator_tIlEES8_S8_S8_S8_S8_S8_S8_S8_EEEEPS9_S9_NSD_9__find_if7functorIS9_EEEE10hipError_tPvRmT1_T2_T3_mT4_P12ihipStream_tbEUlT_E0_NS1_11comp_targetILNS1_3genE9ELNS1_11target_archE1100ELNS1_3gpuE3ELNS1_3repE0EEENS1_30default_config_static_selectorELNS0_4arch9wavefront6targetE1EEEvS14_.kd
    .uniform_work_group_size: 1
    .uses_dynamic_stack: false
    .vgpr_count:     0
    .vgpr_spill_count: 0
    .wavefront_size: 64
  - .agpr_count:     0
    .args:
      - .offset:         0
        .size:           104
        .value_kind:     by_value
    .group_segment_fixed_size: 0
    .kernarg_segment_align: 8
    .kernarg_segment_size: 104
    .language:       OpenCL C
    .language_version:
      - 2
      - 0
    .max_flat_workgroup_size: 256
    .name:           _ZN7rocprim17ROCPRIM_400000_NS6detail17trampoline_kernelINS0_14default_configENS1_22reduce_config_selectorIN6thrust23THRUST_200600_302600_NS5tupleIblNS6_9null_typeES8_S8_S8_S8_S8_S8_S8_EEEEZNS1_11reduce_implILb1ES3_NS6_12zip_iteratorINS7_INS6_11hip_rocprim26transform_input_iterator_tIbNSD_35transform_pair_of_input_iterators_tIbNS6_6detail15normal_iteratorINS6_10device_ptrIKsEEEESL_NS6_8equal_toIsEEEENSG_9not_fun_tINSD_8identityEEEEENSD_19counting_iterator_tIlEES8_S8_S8_S8_S8_S8_S8_S8_EEEEPS9_S9_NSD_9__find_if7functorIS9_EEEE10hipError_tPvRmT1_T2_T3_mT4_P12ihipStream_tbEUlT_E0_NS1_11comp_targetILNS1_3genE8ELNS1_11target_archE1030ELNS1_3gpuE2ELNS1_3repE0EEENS1_30default_config_static_selectorELNS0_4arch9wavefront6targetE1EEEvS14_
    .private_segment_fixed_size: 0
    .sgpr_count:     6
    .sgpr_spill_count: 0
    .symbol:         _ZN7rocprim17ROCPRIM_400000_NS6detail17trampoline_kernelINS0_14default_configENS1_22reduce_config_selectorIN6thrust23THRUST_200600_302600_NS5tupleIblNS6_9null_typeES8_S8_S8_S8_S8_S8_S8_EEEEZNS1_11reduce_implILb1ES3_NS6_12zip_iteratorINS7_INS6_11hip_rocprim26transform_input_iterator_tIbNSD_35transform_pair_of_input_iterators_tIbNS6_6detail15normal_iteratorINS6_10device_ptrIKsEEEESL_NS6_8equal_toIsEEEENSG_9not_fun_tINSD_8identityEEEEENSD_19counting_iterator_tIlEES8_S8_S8_S8_S8_S8_S8_S8_EEEEPS9_S9_NSD_9__find_if7functorIS9_EEEE10hipError_tPvRmT1_T2_T3_mT4_P12ihipStream_tbEUlT_E0_NS1_11comp_targetILNS1_3genE8ELNS1_11target_archE1030ELNS1_3gpuE2ELNS1_3repE0EEENS1_30default_config_static_selectorELNS0_4arch9wavefront6targetE1EEEvS14_.kd
    .uniform_work_group_size: 1
    .uses_dynamic_stack: false
    .vgpr_count:     0
    .vgpr_spill_count: 0
    .wavefront_size: 64
  - .agpr_count:     0
    .args:
      - .offset:         0
        .size:           88
        .value_kind:     by_value
    .group_segment_fixed_size: 0
    .kernarg_segment_align: 8
    .kernarg_segment_size: 88
    .language:       OpenCL C
    .language_version:
      - 2
      - 0
    .max_flat_workgroup_size: 128
    .name:           _ZN7rocprim17ROCPRIM_400000_NS6detail17trampoline_kernelINS0_14default_configENS1_22reduce_config_selectorIN6thrust23THRUST_200600_302600_NS5tupleIblNS6_9null_typeES8_S8_S8_S8_S8_S8_S8_EEEEZNS1_11reduce_implILb1ES3_NS6_12zip_iteratorINS7_INS6_11hip_rocprim26transform_input_iterator_tIbNSD_35transform_pair_of_input_iterators_tIbNS6_6detail15normal_iteratorINS6_10device_ptrIKsEEEESL_NS6_8equal_toIsEEEENSG_9not_fun_tINSD_8identityEEEEENSD_19counting_iterator_tIlEES8_S8_S8_S8_S8_S8_S8_S8_EEEEPS9_S9_NSD_9__find_if7functorIS9_EEEE10hipError_tPvRmT1_T2_T3_mT4_P12ihipStream_tbEUlT_E1_NS1_11comp_targetILNS1_3genE0ELNS1_11target_archE4294967295ELNS1_3gpuE0ELNS1_3repE0EEENS1_30default_config_static_selectorELNS0_4arch9wavefront6targetE1EEEvS14_
    .private_segment_fixed_size: 0
    .sgpr_count:     6
    .sgpr_spill_count: 0
    .symbol:         _ZN7rocprim17ROCPRIM_400000_NS6detail17trampoline_kernelINS0_14default_configENS1_22reduce_config_selectorIN6thrust23THRUST_200600_302600_NS5tupleIblNS6_9null_typeES8_S8_S8_S8_S8_S8_S8_EEEEZNS1_11reduce_implILb1ES3_NS6_12zip_iteratorINS7_INS6_11hip_rocprim26transform_input_iterator_tIbNSD_35transform_pair_of_input_iterators_tIbNS6_6detail15normal_iteratorINS6_10device_ptrIKsEEEESL_NS6_8equal_toIsEEEENSG_9not_fun_tINSD_8identityEEEEENSD_19counting_iterator_tIlEES8_S8_S8_S8_S8_S8_S8_S8_EEEEPS9_S9_NSD_9__find_if7functorIS9_EEEE10hipError_tPvRmT1_T2_T3_mT4_P12ihipStream_tbEUlT_E1_NS1_11comp_targetILNS1_3genE0ELNS1_11target_archE4294967295ELNS1_3gpuE0ELNS1_3repE0EEENS1_30default_config_static_selectorELNS0_4arch9wavefront6targetE1EEEvS14_.kd
    .uniform_work_group_size: 1
    .uses_dynamic_stack: false
    .vgpr_count:     0
    .vgpr_spill_count: 0
    .wavefront_size: 64
  - .agpr_count:     0
    .args:
      - .offset:         0
        .size:           88
        .value_kind:     by_value
    .group_segment_fixed_size: 384
    .kernarg_segment_align: 8
    .kernarg_segment_size: 88
    .language:       OpenCL C
    .language_version:
      - 2
      - 0
    .max_flat_workgroup_size: 256
    .name:           _ZN7rocprim17ROCPRIM_400000_NS6detail17trampoline_kernelINS0_14default_configENS1_22reduce_config_selectorIN6thrust23THRUST_200600_302600_NS5tupleIblNS6_9null_typeES8_S8_S8_S8_S8_S8_S8_EEEEZNS1_11reduce_implILb1ES3_NS6_12zip_iteratorINS7_INS6_11hip_rocprim26transform_input_iterator_tIbNSD_35transform_pair_of_input_iterators_tIbNS6_6detail15normal_iteratorINS6_10device_ptrIKsEEEESL_NS6_8equal_toIsEEEENSG_9not_fun_tINSD_8identityEEEEENSD_19counting_iterator_tIlEES8_S8_S8_S8_S8_S8_S8_S8_EEEEPS9_S9_NSD_9__find_if7functorIS9_EEEE10hipError_tPvRmT1_T2_T3_mT4_P12ihipStream_tbEUlT_E1_NS1_11comp_targetILNS1_3genE5ELNS1_11target_archE942ELNS1_3gpuE9ELNS1_3repE0EEENS1_30default_config_static_selectorELNS0_4arch9wavefront6targetE1EEEvS14_
    .private_segment_fixed_size: 0
    .sgpr_count:     62
    .sgpr_spill_count: 0
    .symbol:         _ZN7rocprim17ROCPRIM_400000_NS6detail17trampoline_kernelINS0_14default_configENS1_22reduce_config_selectorIN6thrust23THRUST_200600_302600_NS5tupleIblNS6_9null_typeES8_S8_S8_S8_S8_S8_S8_EEEEZNS1_11reduce_implILb1ES3_NS6_12zip_iteratorINS7_INS6_11hip_rocprim26transform_input_iterator_tIbNSD_35transform_pair_of_input_iterators_tIbNS6_6detail15normal_iteratorINS6_10device_ptrIKsEEEESL_NS6_8equal_toIsEEEENSG_9not_fun_tINSD_8identityEEEEENSD_19counting_iterator_tIlEES8_S8_S8_S8_S8_S8_S8_S8_EEEEPS9_S9_NSD_9__find_if7functorIS9_EEEE10hipError_tPvRmT1_T2_T3_mT4_P12ihipStream_tbEUlT_E1_NS1_11comp_targetILNS1_3genE5ELNS1_11target_archE942ELNS1_3gpuE9ELNS1_3repE0EEENS1_30default_config_static_selectorELNS0_4arch9wavefront6targetE1EEEvS14_.kd
    .uniform_work_group_size: 1
    .uses_dynamic_stack: false
    .vgpr_count:     52
    .vgpr_spill_count: 0
    .wavefront_size: 64
  - .agpr_count:     0
    .args:
      - .offset:         0
        .size:           88
        .value_kind:     by_value
    .group_segment_fixed_size: 0
    .kernarg_segment_align: 8
    .kernarg_segment_size: 88
    .language:       OpenCL C
    .language_version:
      - 2
      - 0
    .max_flat_workgroup_size: 256
    .name:           _ZN7rocprim17ROCPRIM_400000_NS6detail17trampoline_kernelINS0_14default_configENS1_22reduce_config_selectorIN6thrust23THRUST_200600_302600_NS5tupleIblNS6_9null_typeES8_S8_S8_S8_S8_S8_S8_EEEEZNS1_11reduce_implILb1ES3_NS6_12zip_iteratorINS7_INS6_11hip_rocprim26transform_input_iterator_tIbNSD_35transform_pair_of_input_iterators_tIbNS6_6detail15normal_iteratorINS6_10device_ptrIKsEEEESL_NS6_8equal_toIsEEEENSG_9not_fun_tINSD_8identityEEEEENSD_19counting_iterator_tIlEES8_S8_S8_S8_S8_S8_S8_S8_EEEEPS9_S9_NSD_9__find_if7functorIS9_EEEE10hipError_tPvRmT1_T2_T3_mT4_P12ihipStream_tbEUlT_E1_NS1_11comp_targetILNS1_3genE4ELNS1_11target_archE910ELNS1_3gpuE8ELNS1_3repE0EEENS1_30default_config_static_selectorELNS0_4arch9wavefront6targetE1EEEvS14_
    .private_segment_fixed_size: 0
    .sgpr_count:     6
    .sgpr_spill_count: 0
    .symbol:         _ZN7rocprim17ROCPRIM_400000_NS6detail17trampoline_kernelINS0_14default_configENS1_22reduce_config_selectorIN6thrust23THRUST_200600_302600_NS5tupleIblNS6_9null_typeES8_S8_S8_S8_S8_S8_S8_EEEEZNS1_11reduce_implILb1ES3_NS6_12zip_iteratorINS7_INS6_11hip_rocprim26transform_input_iterator_tIbNSD_35transform_pair_of_input_iterators_tIbNS6_6detail15normal_iteratorINS6_10device_ptrIKsEEEESL_NS6_8equal_toIsEEEENSG_9not_fun_tINSD_8identityEEEEENSD_19counting_iterator_tIlEES8_S8_S8_S8_S8_S8_S8_S8_EEEEPS9_S9_NSD_9__find_if7functorIS9_EEEE10hipError_tPvRmT1_T2_T3_mT4_P12ihipStream_tbEUlT_E1_NS1_11comp_targetILNS1_3genE4ELNS1_11target_archE910ELNS1_3gpuE8ELNS1_3repE0EEENS1_30default_config_static_selectorELNS0_4arch9wavefront6targetE1EEEvS14_.kd
    .uniform_work_group_size: 1
    .uses_dynamic_stack: false
    .vgpr_count:     0
    .vgpr_spill_count: 0
    .wavefront_size: 64
  - .agpr_count:     0
    .args:
      - .offset:         0
        .size:           88
        .value_kind:     by_value
    .group_segment_fixed_size: 0
    .kernarg_segment_align: 8
    .kernarg_segment_size: 88
    .language:       OpenCL C
    .language_version:
      - 2
      - 0
    .max_flat_workgroup_size: 128
    .name:           _ZN7rocprim17ROCPRIM_400000_NS6detail17trampoline_kernelINS0_14default_configENS1_22reduce_config_selectorIN6thrust23THRUST_200600_302600_NS5tupleIblNS6_9null_typeES8_S8_S8_S8_S8_S8_S8_EEEEZNS1_11reduce_implILb1ES3_NS6_12zip_iteratorINS7_INS6_11hip_rocprim26transform_input_iterator_tIbNSD_35transform_pair_of_input_iterators_tIbNS6_6detail15normal_iteratorINS6_10device_ptrIKsEEEESL_NS6_8equal_toIsEEEENSG_9not_fun_tINSD_8identityEEEEENSD_19counting_iterator_tIlEES8_S8_S8_S8_S8_S8_S8_S8_EEEEPS9_S9_NSD_9__find_if7functorIS9_EEEE10hipError_tPvRmT1_T2_T3_mT4_P12ihipStream_tbEUlT_E1_NS1_11comp_targetILNS1_3genE3ELNS1_11target_archE908ELNS1_3gpuE7ELNS1_3repE0EEENS1_30default_config_static_selectorELNS0_4arch9wavefront6targetE1EEEvS14_
    .private_segment_fixed_size: 0
    .sgpr_count:     6
    .sgpr_spill_count: 0
    .symbol:         _ZN7rocprim17ROCPRIM_400000_NS6detail17trampoline_kernelINS0_14default_configENS1_22reduce_config_selectorIN6thrust23THRUST_200600_302600_NS5tupleIblNS6_9null_typeES8_S8_S8_S8_S8_S8_S8_EEEEZNS1_11reduce_implILb1ES3_NS6_12zip_iteratorINS7_INS6_11hip_rocprim26transform_input_iterator_tIbNSD_35transform_pair_of_input_iterators_tIbNS6_6detail15normal_iteratorINS6_10device_ptrIKsEEEESL_NS6_8equal_toIsEEEENSG_9not_fun_tINSD_8identityEEEEENSD_19counting_iterator_tIlEES8_S8_S8_S8_S8_S8_S8_S8_EEEEPS9_S9_NSD_9__find_if7functorIS9_EEEE10hipError_tPvRmT1_T2_T3_mT4_P12ihipStream_tbEUlT_E1_NS1_11comp_targetILNS1_3genE3ELNS1_11target_archE908ELNS1_3gpuE7ELNS1_3repE0EEENS1_30default_config_static_selectorELNS0_4arch9wavefront6targetE1EEEvS14_.kd
    .uniform_work_group_size: 1
    .uses_dynamic_stack: false
    .vgpr_count:     0
    .vgpr_spill_count: 0
    .wavefront_size: 64
  - .agpr_count:     0
    .args:
      - .offset:         0
        .size:           88
        .value_kind:     by_value
    .group_segment_fixed_size: 0
    .kernarg_segment_align: 8
    .kernarg_segment_size: 88
    .language:       OpenCL C
    .language_version:
      - 2
      - 0
    .max_flat_workgroup_size: 128
    .name:           _ZN7rocprim17ROCPRIM_400000_NS6detail17trampoline_kernelINS0_14default_configENS1_22reduce_config_selectorIN6thrust23THRUST_200600_302600_NS5tupleIblNS6_9null_typeES8_S8_S8_S8_S8_S8_S8_EEEEZNS1_11reduce_implILb1ES3_NS6_12zip_iteratorINS7_INS6_11hip_rocprim26transform_input_iterator_tIbNSD_35transform_pair_of_input_iterators_tIbNS6_6detail15normal_iteratorINS6_10device_ptrIKsEEEESL_NS6_8equal_toIsEEEENSG_9not_fun_tINSD_8identityEEEEENSD_19counting_iterator_tIlEES8_S8_S8_S8_S8_S8_S8_S8_EEEEPS9_S9_NSD_9__find_if7functorIS9_EEEE10hipError_tPvRmT1_T2_T3_mT4_P12ihipStream_tbEUlT_E1_NS1_11comp_targetILNS1_3genE2ELNS1_11target_archE906ELNS1_3gpuE6ELNS1_3repE0EEENS1_30default_config_static_selectorELNS0_4arch9wavefront6targetE1EEEvS14_
    .private_segment_fixed_size: 0
    .sgpr_count:     6
    .sgpr_spill_count: 0
    .symbol:         _ZN7rocprim17ROCPRIM_400000_NS6detail17trampoline_kernelINS0_14default_configENS1_22reduce_config_selectorIN6thrust23THRUST_200600_302600_NS5tupleIblNS6_9null_typeES8_S8_S8_S8_S8_S8_S8_EEEEZNS1_11reduce_implILb1ES3_NS6_12zip_iteratorINS7_INS6_11hip_rocprim26transform_input_iterator_tIbNSD_35transform_pair_of_input_iterators_tIbNS6_6detail15normal_iteratorINS6_10device_ptrIKsEEEESL_NS6_8equal_toIsEEEENSG_9not_fun_tINSD_8identityEEEEENSD_19counting_iterator_tIlEES8_S8_S8_S8_S8_S8_S8_S8_EEEEPS9_S9_NSD_9__find_if7functorIS9_EEEE10hipError_tPvRmT1_T2_T3_mT4_P12ihipStream_tbEUlT_E1_NS1_11comp_targetILNS1_3genE2ELNS1_11target_archE906ELNS1_3gpuE6ELNS1_3repE0EEENS1_30default_config_static_selectorELNS0_4arch9wavefront6targetE1EEEvS14_.kd
    .uniform_work_group_size: 1
    .uses_dynamic_stack: false
    .vgpr_count:     0
    .vgpr_spill_count: 0
    .wavefront_size: 64
  - .agpr_count:     0
    .args:
      - .offset:         0
        .size:           88
        .value_kind:     by_value
    .group_segment_fixed_size: 0
    .kernarg_segment_align: 8
    .kernarg_segment_size: 88
    .language:       OpenCL C
    .language_version:
      - 2
      - 0
    .max_flat_workgroup_size: 256
    .name:           _ZN7rocprim17ROCPRIM_400000_NS6detail17trampoline_kernelINS0_14default_configENS1_22reduce_config_selectorIN6thrust23THRUST_200600_302600_NS5tupleIblNS6_9null_typeES8_S8_S8_S8_S8_S8_S8_EEEEZNS1_11reduce_implILb1ES3_NS6_12zip_iteratorINS7_INS6_11hip_rocprim26transform_input_iterator_tIbNSD_35transform_pair_of_input_iterators_tIbNS6_6detail15normal_iteratorINS6_10device_ptrIKsEEEESL_NS6_8equal_toIsEEEENSG_9not_fun_tINSD_8identityEEEEENSD_19counting_iterator_tIlEES8_S8_S8_S8_S8_S8_S8_S8_EEEEPS9_S9_NSD_9__find_if7functorIS9_EEEE10hipError_tPvRmT1_T2_T3_mT4_P12ihipStream_tbEUlT_E1_NS1_11comp_targetILNS1_3genE10ELNS1_11target_archE1201ELNS1_3gpuE5ELNS1_3repE0EEENS1_30default_config_static_selectorELNS0_4arch9wavefront6targetE1EEEvS14_
    .private_segment_fixed_size: 0
    .sgpr_count:     6
    .sgpr_spill_count: 0
    .symbol:         _ZN7rocprim17ROCPRIM_400000_NS6detail17trampoline_kernelINS0_14default_configENS1_22reduce_config_selectorIN6thrust23THRUST_200600_302600_NS5tupleIblNS6_9null_typeES8_S8_S8_S8_S8_S8_S8_EEEEZNS1_11reduce_implILb1ES3_NS6_12zip_iteratorINS7_INS6_11hip_rocprim26transform_input_iterator_tIbNSD_35transform_pair_of_input_iterators_tIbNS6_6detail15normal_iteratorINS6_10device_ptrIKsEEEESL_NS6_8equal_toIsEEEENSG_9not_fun_tINSD_8identityEEEEENSD_19counting_iterator_tIlEES8_S8_S8_S8_S8_S8_S8_S8_EEEEPS9_S9_NSD_9__find_if7functorIS9_EEEE10hipError_tPvRmT1_T2_T3_mT4_P12ihipStream_tbEUlT_E1_NS1_11comp_targetILNS1_3genE10ELNS1_11target_archE1201ELNS1_3gpuE5ELNS1_3repE0EEENS1_30default_config_static_selectorELNS0_4arch9wavefront6targetE1EEEvS14_.kd
    .uniform_work_group_size: 1
    .uses_dynamic_stack: false
    .vgpr_count:     0
    .vgpr_spill_count: 0
    .wavefront_size: 64
  - .agpr_count:     0
    .args:
      - .offset:         0
        .size:           88
        .value_kind:     by_value
    .group_segment_fixed_size: 0
    .kernarg_segment_align: 8
    .kernarg_segment_size: 88
    .language:       OpenCL C
    .language_version:
      - 2
      - 0
    .max_flat_workgroup_size: 256
    .name:           _ZN7rocprim17ROCPRIM_400000_NS6detail17trampoline_kernelINS0_14default_configENS1_22reduce_config_selectorIN6thrust23THRUST_200600_302600_NS5tupleIblNS6_9null_typeES8_S8_S8_S8_S8_S8_S8_EEEEZNS1_11reduce_implILb1ES3_NS6_12zip_iteratorINS7_INS6_11hip_rocprim26transform_input_iterator_tIbNSD_35transform_pair_of_input_iterators_tIbNS6_6detail15normal_iteratorINS6_10device_ptrIKsEEEESL_NS6_8equal_toIsEEEENSG_9not_fun_tINSD_8identityEEEEENSD_19counting_iterator_tIlEES8_S8_S8_S8_S8_S8_S8_S8_EEEEPS9_S9_NSD_9__find_if7functorIS9_EEEE10hipError_tPvRmT1_T2_T3_mT4_P12ihipStream_tbEUlT_E1_NS1_11comp_targetILNS1_3genE10ELNS1_11target_archE1200ELNS1_3gpuE4ELNS1_3repE0EEENS1_30default_config_static_selectorELNS0_4arch9wavefront6targetE1EEEvS14_
    .private_segment_fixed_size: 0
    .sgpr_count:     6
    .sgpr_spill_count: 0
    .symbol:         _ZN7rocprim17ROCPRIM_400000_NS6detail17trampoline_kernelINS0_14default_configENS1_22reduce_config_selectorIN6thrust23THRUST_200600_302600_NS5tupleIblNS6_9null_typeES8_S8_S8_S8_S8_S8_S8_EEEEZNS1_11reduce_implILb1ES3_NS6_12zip_iteratorINS7_INS6_11hip_rocprim26transform_input_iterator_tIbNSD_35transform_pair_of_input_iterators_tIbNS6_6detail15normal_iteratorINS6_10device_ptrIKsEEEESL_NS6_8equal_toIsEEEENSG_9not_fun_tINSD_8identityEEEEENSD_19counting_iterator_tIlEES8_S8_S8_S8_S8_S8_S8_S8_EEEEPS9_S9_NSD_9__find_if7functorIS9_EEEE10hipError_tPvRmT1_T2_T3_mT4_P12ihipStream_tbEUlT_E1_NS1_11comp_targetILNS1_3genE10ELNS1_11target_archE1200ELNS1_3gpuE4ELNS1_3repE0EEENS1_30default_config_static_selectorELNS0_4arch9wavefront6targetE1EEEvS14_.kd
    .uniform_work_group_size: 1
    .uses_dynamic_stack: false
    .vgpr_count:     0
    .vgpr_spill_count: 0
    .wavefront_size: 64
  - .agpr_count:     0
    .args:
      - .offset:         0
        .size:           88
        .value_kind:     by_value
    .group_segment_fixed_size: 0
    .kernarg_segment_align: 8
    .kernarg_segment_size: 88
    .language:       OpenCL C
    .language_version:
      - 2
      - 0
    .max_flat_workgroup_size: 256
    .name:           _ZN7rocprim17ROCPRIM_400000_NS6detail17trampoline_kernelINS0_14default_configENS1_22reduce_config_selectorIN6thrust23THRUST_200600_302600_NS5tupleIblNS6_9null_typeES8_S8_S8_S8_S8_S8_S8_EEEEZNS1_11reduce_implILb1ES3_NS6_12zip_iteratorINS7_INS6_11hip_rocprim26transform_input_iterator_tIbNSD_35transform_pair_of_input_iterators_tIbNS6_6detail15normal_iteratorINS6_10device_ptrIKsEEEESL_NS6_8equal_toIsEEEENSG_9not_fun_tINSD_8identityEEEEENSD_19counting_iterator_tIlEES8_S8_S8_S8_S8_S8_S8_S8_EEEEPS9_S9_NSD_9__find_if7functorIS9_EEEE10hipError_tPvRmT1_T2_T3_mT4_P12ihipStream_tbEUlT_E1_NS1_11comp_targetILNS1_3genE9ELNS1_11target_archE1100ELNS1_3gpuE3ELNS1_3repE0EEENS1_30default_config_static_selectorELNS0_4arch9wavefront6targetE1EEEvS14_
    .private_segment_fixed_size: 0
    .sgpr_count:     6
    .sgpr_spill_count: 0
    .symbol:         _ZN7rocprim17ROCPRIM_400000_NS6detail17trampoline_kernelINS0_14default_configENS1_22reduce_config_selectorIN6thrust23THRUST_200600_302600_NS5tupleIblNS6_9null_typeES8_S8_S8_S8_S8_S8_S8_EEEEZNS1_11reduce_implILb1ES3_NS6_12zip_iteratorINS7_INS6_11hip_rocprim26transform_input_iterator_tIbNSD_35transform_pair_of_input_iterators_tIbNS6_6detail15normal_iteratorINS6_10device_ptrIKsEEEESL_NS6_8equal_toIsEEEENSG_9not_fun_tINSD_8identityEEEEENSD_19counting_iterator_tIlEES8_S8_S8_S8_S8_S8_S8_S8_EEEEPS9_S9_NSD_9__find_if7functorIS9_EEEE10hipError_tPvRmT1_T2_T3_mT4_P12ihipStream_tbEUlT_E1_NS1_11comp_targetILNS1_3genE9ELNS1_11target_archE1100ELNS1_3gpuE3ELNS1_3repE0EEENS1_30default_config_static_selectorELNS0_4arch9wavefront6targetE1EEEvS14_.kd
    .uniform_work_group_size: 1
    .uses_dynamic_stack: false
    .vgpr_count:     0
    .vgpr_spill_count: 0
    .wavefront_size: 64
  - .agpr_count:     0
    .args:
      - .offset:         0
        .size:           88
        .value_kind:     by_value
    .group_segment_fixed_size: 0
    .kernarg_segment_align: 8
    .kernarg_segment_size: 88
    .language:       OpenCL C
    .language_version:
      - 2
      - 0
    .max_flat_workgroup_size: 256
    .name:           _ZN7rocprim17ROCPRIM_400000_NS6detail17trampoline_kernelINS0_14default_configENS1_22reduce_config_selectorIN6thrust23THRUST_200600_302600_NS5tupleIblNS6_9null_typeES8_S8_S8_S8_S8_S8_S8_EEEEZNS1_11reduce_implILb1ES3_NS6_12zip_iteratorINS7_INS6_11hip_rocprim26transform_input_iterator_tIbNSD_35transform_pair_of_input_iterators_tIbNS6_6detail15normal_iteratorINS6_10device_ptrIKsEEEESL_NS6_8equal_toIsEEEENSG_9not_fun_tINSD_8identityEEEEENSD_19counting_iterator_tIlEES8_S8_S8_S8_S8_S8_S8_S8_EEEEPS9_S9_NSD_9__find_if7functorIS9_EEEE10hipError_tPvRmT1_T2_T3_mT4_P12ihipStream_tbEUlT_E1_NS1_11comp_targetILNS1_3genE8ELNS1_11target_archE1030ELNS1_3gpuE2ELNS1_3repE0EEENS1_30default_config_static_selectorELNS0_4arch9wavefront6targetE1EEEvS14_
    .private_segment_fixed_size: 0
    .sgpr_count:     6
    .sgpr_spill_count: 0
    .symbol:         _ZN7rocprim17ROCPRIM_400000_NS6detail17trampoline_kernelINS0_14default_configENS1_22reduce_config_selectorIN6thrust23THRUST_200600_302600_NS5tupleIblNS6_9null_typeES8_S8_S8_S8_S8_S8_S8_EEEEZNS1_11reduce_implILb1ES3_NS6_12zip_iteratorINS7_INS6_11hip_rocprim26transform_input_iterator_tIbNSD_35transform_pair_of_input_iterators_tIbNS6_6detail15normal_iteratorINS6_10device_ptrIKsEEEESL_NS6_8equal_toIsEEEENSG_9not_fun_tINSD_8identityEEEEENSD_19counting_iterator_tIlEES8_S8_S8_S8_S8_S8_S8_S8_EEEEPS9_S9_NSD_9__find_if7functorIS9_EEEE10hipError_tPvRmT1_T2_T3_mT4_P12ihipStream_tbEUlT_E1_NS1_11comp_targetILNS1_3genE8ELNS1_11target_archE1030ELNS1_3gpuE2ELNS1_3repE0EEENS1_30default_config_static_selectorELNS0_4arch9wavefront6targetE1EEEvS14_.kd
    .uniform_work_group_size: 1
    .uses_dynamic_stack: false
    .vgpr_count:     0
    .vgpr_spill_count: 0
    .wavefront_size: 64
  - .agpr_count:     0
    .args:
      - .offset:         0
        .size:           128
        .value_kind:     by_value
    .group_segment_fixed_size: 0
    .kernarg_segment_align: 8
    .kernarg_segment_size: 128
    .language:       OpenCL C
    .language_version:
      - 2
      - 0
    .max_flat_workgroup_size: 128
    .name:           _ZN7rocprim17ROCPRIM_400000_NS6detail17trampoline_kernelINS0_14default_configENS1_25partition_config_selectorILNS1_17partition_subalgoE2ExNS0_10empty_typeEbEEZZNS1_14partition_implILS5_2ELb0ES3_jN6thrust23THRUST_200600_302600_NS6detail15normal_iteratorINSA_7pointerIxNSA_11hip_rocprim3tagENSA_11use_defaultESG_EEEEPS6_NSA_18transform_iteratorI7is_evenIxENSC_INSA_10device_ptrIxEEEESG_SG_EENS0_5tupleIJPxSJ_EEENSR_IJSJ_SJ_EEES6_PlJS6_EEE10hipError_tPvRmT3_T4_T5_T6_T7_T9_mT8_P12ihipStream_tbDpT10_ENKUlT_T0_E_clISt17integral_constantIbLb0EES1F_EEDaS1A_S1B_EUlS1A_E_NS1_11comp_targetILNS1_3genE0ELNS1_11target_archE4294967295ELNS1_3gpuE0ELNS1_3repE0EEENS1_30default_config_static_selectorELNS0_4arch9wavefront6targetE1EEEvT1_
    .private_segment_fixed_size: 0
    .sgpr_count:     6
    .sgpr_spill_count: 0
    .symbol:         _ZN7rocprim17ROCPRIM_400000_NS6detail17trampoline_kernelINS0_14default_configENS1_25partition_config_selectorILNS1_17partition_subalgoE2ExNS0_10empty_typeEbEEZZNS1_14partition_implILS5_2ELb0ES3_jN6thrust23THRUST_200600_302600_NS6detail15normal_iteratorINSA_7pointerIxNSA_11hip_rocprim3tagENSA_11use_defaultESG_EEEEPS6_NSA_18transform_iteratorI7is_evenIxENSC_INSA_10device_ptrIxEEEESG_SG_EENS0_5tupleIJPxSJ_EEENSR_IJSJ_SJ_EEES6_PlJS6_EEE10hipError_tPvRmT3_T4_T5_T6_T7_T9_mT8_P12ihipStream_tbDpT10_ENKUlT_T0_E_clISt17integral_constantIbLb0EES1F_EEDaS1A_S1B_EUlS1A_E_NS1_11comp_targetILNS1_3genE0ELNS1_11target_archE4294967295ELNS1_3gpuE0ELNS1_3repE0EEENS1_30default_config_static_selectorELNS0_4arch9wavefront6targetE1EEEvT1_.kd
    .uniform_work_group_size: 1
    .uses_dynamic_stack: false
    .vgpr_count:     0
    .vgpr_spill_count: 0
    .wavefront_size: 64
  - .agpr_count:     0
    .args:
      - .offset:         0
        .size:           128
        .value_kind:     by_value
    .group_segment_fixed_size: 28680
    .kernarg_segment_align: 8
    .kernarg_segment_size: 128
    .language:       OpenCL C
    .language_version:
      - 2
      - 0
    .max_flat_workgroup_size: 512
    .name:           _ZN7rocprim17ROCPRIM_400000_NS6detail17trampoline_kernelINS0_14default_configENS1_25partition_config_selectorILNS1_17partition_subalgoE2ExNS0_10empty_typeEbEEZZNS1_14partition_implILS5_2ELb0ES3_jN6thrust23THRUST_200600_302600_NS6detail15normal_iteratorINSA_7pointerIxNSA_11hip_rocprim3tagENSA_11use_defaultESG_EEEEPS6_NSA_18transform_iteratorI7is_evenIxENSC_INSA_10device_ptrIxEEEESG_SG_EENS0_5tupleIJPxSJ_EEENSR_IJSJ_SJ_EEES6_PlJS6_EEE10hipError_tPvRmT3_T4_T5_T6_T7_T9_mT8_P12ihipStream_tbDpT10_ENKUlT_T0_E_clISt17integral_constantIbLb0EES1F_EEDaS1A_S1B_EUlS1A_E_NS1_11comp_targetILNS1_3genE5ELNS1_11target_archE942ELNS1_3gpuE9ELNS1_3repE0EEENS1_30default_config_static_selectorELNS0_4arch9wavefront6targetE1EEEvT1_
    .private_segment_fixed_size: 0
    .sgpr_count:     52
    .sgpr_spill_count: 0
    .symbol:         _ZN7rocprim17ROCPRIM_400000_NS6detail17trampoline_kernelINS0_14default_configENS1_25partition_config_selectorILNS1_17partition_subalgoE2ExNS0_10empty_typeEbEEZZNS1_14partition_implILS5_2ELb0ES3_jN6thrust23THRUST_200600_302600_NS6detail15normal_iteratorINSA_7pointerIxNSA_11hip_rocprim3tagENSA_11use_defaultESG_EEEEPS6_NSA_18transform_iteratorI7is_evenIxENSC_INSA_10device_ptrIxEEEESG_SG_EENS0_5tupleIJPxSJ_EEENSR_IJSJ_SJ_EEES6_PlJS6_EEE10hipError_tPvRmT3_T4_T5_T6_T7_T9_mT8_P12ihipStream_tbDpT10_ENKUlT_T0_E_clISt17integral_constantIbLb0EES1F_EEDaS1A_S1B_EUlS1A_E_NS1_11comp_targetILNS1_3genE5ELNS1_11target_archE942ELNS1_3gpuE9ELNS1_3repE0EEENS1_30default_config_static_selectorELNS0_4arch9wavefront6targetE1EEEvT1_.kd
    .uniform_work_group_size: 1
    .uses_dynamic_stack: false
    .vgpr_count:     54
    .vgpr_spill_count: 0
    .wavefront_size: 64
  - .agpr_count:     0
    .args:
      - .offset:         0
        .size:           128
        .value_kind:     by_value
    .group_segment_fixed_size: 0
    .kernarg_segment_align: 8
    .kernarg_segment_size: 128
    .language:       OpenCL C
    .language_version:
      - 2
      - 0
    .max_flat_workgroup_size: 192
    .name:           _ZN7rocprim17ROCPRIM_400000_NS6detail17trampoline_kernelINS0_14default_configENS1_25partition_config_selectorILNS1_17partition_subalgoE2ExNS0_10empty_typeEbEEZZNS1_14partition_implILS5_2ELb0ES3_jN6thrust23THRUST_200600_302600_NS6detail15normal_iteratorINSA_7pointerIxNSA_11hip_rocprim3tagENSA_11use_defaultESG_EEEEPS6_NSA_18transform_iteratorI7is_evenIxENSC_INSA_10device_ptrIxEEEESG_SG_EENS0_5tupleIJPxSJ_EEENSR_IJSJ_SJ_EEES6_PlJS6_EEE10hipError_tPvRmT3_T4_T5_T6_T7_T9_mT8_P12ihipStream_tbDpT10_ENKUlT_T0_E_clISt17integral_constantIbLb0EES1F_EEDaS1A_S1B_EUlS1A_E_NS1_11comp_targetILNS1_3genE4ELNS1_11target_archE910ELNS1_3gpuE8ELNS1_3repE0EEENS1_30default_config_static_selectorELNS0_4arch9wavefront6targetE1EEEvT1_
    .private_segment_fixed_size: 0
    .sgpr_count:     6
    .sgpr_spill_count: 0
    .symbol:         _ZN7rocprim17ROCPRIM_400000_NS6detail17trampoline_kernelINS0_14default_configENS1_25partition_config_selectorILNS1_17partition_subalgoE2ExNS0_10empty_typeEbEEZZNS1_14partition_implILS5_2ELb0ES3_jN6thrust23THRUST_200600_302600_NS6detail15normal_iteratorINSA_7pointerIxNSA_11hip_rocprim3tagENSA_11use_defaultESG_EEEEPS6_NSA_18transform_iteratorI7is_evenIxENSC_INSA_10device_ptrIxEEEESG_SG_EENS0_5tupleIJPxSJ_EEENSR_IJSJ_SJ_EEES6_PlJS6_EEE10hipError_tPvRmT3_T4_T5_T6_T7_T9_mT8_P12ihipStream_tbDpT10_ENKUlT_T0_E_clISt17integral_constantIbLb0EES1F_EEDaS1A_S1B_EUlS1A_E_NS1_11comp_targetILNS1_3genE4ELNS1_11target_archE910ELNS1_3gpuE8ELNS1_3repE0EEENS1_30default_config_static_selectorELNS0_4arch9wavefront6targetE1EEEvT1_.kd
    .uniform_work_group_size: 1
    .uses_dynamic_stack: false
    .vgpr_count:     0
    .vgpr_spill_count: 0
    .wavefront_size: 64
  - .agpr_count:     0
    .args:
      - .offset:         0
        .size:           128
        .value_kind:     by_value
    .group_segment_fixed_size: 0
    .kernarg_segment_align: 8
    .kernarg_segment_size: 128
    .language:       OpenCL C
    .language_version:
      - 2
      - 0
    .max_flat_workgroup_size: 128
    .name:           _ZN7rocprim17ROCPRIM_400000_NS6detail17trampoline_kernelINS0_14default_configENS1_25partition_config_selectorILNS1_17partition_subalgoE2ExNS0_10empty_typeEbEEZZNS1_14partition_implILS5_2ELb0ES3_jN6thrust23THRUST_200600_302600_NS6detail15normal_iteratorINSA_7pointerIxNSA_11hip_rocprim3tagENSA_11use_defaultESG_EEEEPS6_NSA_18transform_iteratorI7is_evenIxENSC_INSA_10device_ptrIxEEEESG_SG_EENS0_5tupleIJPxSJ_EEENSR_IJSJ_SJ_EEES6_PlJS6_EEE10hipError_tPvRmT3_T4_T5_T6_T7_T9_mT8_P12ihipStream_tbDpT10_ENKUlT_T0_E_clISt17integral_constantIbLb0EES1F_EEDaS1A_S1B_EUlS1A_E_NS1_11comp_targetILNS1_3genE3ELNS1_11target_archE908ELNS1_3gpuE7ELNS1_3repE0EEENS1_30default_config_static_selectorELNS0_4arch9wavefront6targetE1EEEvT1_
    .private_segment_fixed_size: 0
    .sgpr_count:     6
    .sgpr_spill_count: 0
    .symbol:         _ZN7rocprim17ROCPRIM_400000_NS6detail17trampoline_kernelINS0_14default_configENS1_25partition_config_selectorILNS1_17partition_subalgoE2ExNS0_10empty_typeEbEEZZNS1_14partition_implILS5_2ELb0ES3_jN6thrust23THRUST_200600_302600_NS6detail15normal_iteratorINSA_7pointerIxNSA_11hip_rocprim3tagENSA_11use_defaultESG_EEEEPS6_NSA_18transform_iteratorI7is_evenIxENSC_INSA_10device_ptrIxEEEESG_SG_EENS0_5tupleIJPxSJ_EEENSR_IJSJ_SJ_EEES6_PlJS6_EEE10hipError_tPvRmT3_T4_T5_T6_T7_T9_mT8_P12ihipStream_tbDpT10_ENKUlT_T0_E_clISt17integral_constantIbLb0EES1F_EEDaS1A_S1B_EUlS1A_E_NS1_11comp_targetILNS1_3genE3ELNS1_11target_archE908ELNS1_3gpuE7ELNS1_3repE0EEENS1_30default_config_static_selectorELNS0_4arch9wavefront6targetE1EEEvT1_.kd
    .uniform_work_group_size: 1
    .uses_dynamic_stack: false
    .vgpr_count:     0
    .vgpr_spill_count: 0
    .wavefront_size: 64
  - .agpr_count:     0
    .args:
      - .offset:         0
        .size:           128
        .value_kind:     by_value
    .group_segment_fixed_size: 0
    .kernarg_segment_align: 8
    .kernarg_segment_size: 128
    .language:       OpenCL C
    .language_version:
      - 2
      - 0
    .max_flat_workgroup_size: 256
    .name:           _ZN7rocprim17ROCPRIM_400000_NS6detail17trampoline_kernelINS0_14default_configENS1_25partition_config_selectorILNS1_17partition_subalgoE2ExNS0_10empty_typeEbEEZZNS1_14partition_implILS5_2ELb0ES3_jN6thrust23THRUST_200600_302600_NS6detail15normal_iteratorINSA_7pointerIxNSA_11hip_rocprim3tagENSA_11use_defaultESG_EEEEPS6_NSA_18transform_iteratorI7is_evenIxENSC_INSA_10device_ptrIxEEEESG_SG_EENS0_5tupleIJPxSJ_EEENSR_IJSJ_SJ_EEES6_PlJS6_EEE10hipError_tPvRmT3_T4_T5_T6_T7_T9_mT8_P12ihipStream_tbDpT10_ENKUlT_T0_E_clISt17integral_constantIbLb0EES1F_EEDaS1A_S1B_EUlS1A_E_NS1_11comp_targetILNS1_3genE2ELNS1_11target_archE906ELNS1_3gpuE6ELNS1_3repE0EEENS1_30default_config_static_selectorELNS0_4arch9wavefront6targetE1EEEvT1_
    .private_segment_fixed_size: 0
    .sgpr_count:     6
    .sgpr_spill_count: 0
    .symbol:         _ZN7rocprim17ROCPRIM_400000_NS6detail17trampoline_kernelINS0_14default_configENS1_25partition_config_selectorILNS1_17partition_subalgoE2ExNS0_10empty_typeEbEEZZNS1_14partition_implILS5_2ELb0ES3_jN6thrust23THRUST_200600_302600_NS6detail15normal_iteratorINSA_7pointerIxNSA_11hip_rocprim3tagENSA_11use_defaultESG_EEEEPS6_NSA_18transform_iteratorI7is_evenIxENSC_INSA_10device_ptrIxEEEESG_SG_EENS0_5tupleIJPxSJ_EEENSR_IJSJ_SJ_EEES6_PlJS6_EEE10hipError_tPvRmT3_T4_T5_T6_T7_T9_mT8_P12ihipStream_tbDpT10_ENKUlT_T0_E_clISt17integral_constantIbLb0EES1F_EEDaS1A_S1B_EUlS1A_E_NS1_11comp_targetILNS1_3genE2ELNS1_11target_archE906ELNS1_3gpuE6ELNS1_3repE0EEENS1_30default_config_static_selectorELNS0_4arch9wavefront6targetE1EEEvT1_.kd
    .uniform_work_group_size: 1
    .uses_dynamic_stack: false
    .vgpr_count:     0
    .vgpr_spill_count: 0
    .wavefront_size: 64
  - .agpr_count:     0
    .args:
      - .offset:         0
        .size:           128
        .value_kind:     by_value
    .group_segment_fixed_size: 0
    .kernarg_segment_align: 8
    .kernarg_segment_size: 128
    .language:       OpenCL C
    .language_version:
      - 2
      - 0
    .max_flat_workgroup_size: 256
    .name:           _ZN7rocprim17ROCPRIM_400000_NS6detail17trampoline_kernelINS0_14default_configENS1_25partition_config_selectorILNS1_17partition_subalgoE2ExNS0_10empty_typeEbEEZZNS1_14partition_implILS5_2ELb0ES3_jN6thrust23THRUST_200600_302600_NS6detail15normal_iteratorINSA_7pointerIxNSA_11hip_rocprim3tagENSA_11use_defaultESG_EEEEPS6_NSA_18transform_iteratorI7is_evenIxENSC_INSA_10device_ptrIxEEEESG_SG_EENS0_5tupleIJPxSJ_EEENSR_IJSJ_SJ_EEES6_PlJS6_EEE10hipError_tPvRmT3_T4_T5_T6_T7_T9_mT8_P12ihipStream_tbDpT10_ENKUlT_T0_E_clISt17integral_constantIbLb0EES1F_EEDaS1A_S1B_EUlS1A_E_NS1_11comp_targetILNS1_3genE10ELNS1_11target_archE1200ELNS1_3gpuE4ELNS1_3repE0EEENS1_30default_config_static_selectorELNS0_4arch9wavefront6targetE1EEEvT1_
    .private_segment_fixed_size: 0
    .sgpr_count:     6
    .sgpr_spill_count: 0
    .symbol:         _ZN7rocprim17ROCPRIM_400000_NS6detail17trampoline_kernelINS0_14default_configENS1_25partition_config_selectorILNS1_17partition_subalgoE2ExNS0_10empty_typeEbEEZZNS1_14partition_implILS5_2ELb0ES3_jN6thrust23THRUST_200600_302600_NS6detail15normal_iteratorINSA_7pointerIxNSA_11hip_rocprim3tagENSA_11use_defaultESG_EEEEPS6_NSA_18transform_iteratorI7is_evenIxENSC_INSA_10device_ptrIxEEEESG_SG_EENS0_5tupleIJPxSJ_EEENSR_IJSJ_SJ_EEES6_PlJS6_EEE10hipError_tPvRmT3_T4_T5_T6_T7_T9_mT8_P12ihipStream_tbDpT10_ENKUlT_T0_E_clISt17integral_constantIbLb0EES1F_EEDaS1A_S1B_EUlS1A_E_NS1_11comp_targetILNS1_3genE10ELNS1_11target_archE1200ELNS1_3gpuE4ELNS1_3repE0EEENS1_30default_config_static_selectorELNS0_4arch9wavefront6targetE1EEEvT1_.kd
    .uniform_work_group_size: 1
    .uses_dynamic_stack: false
    .vgpr_count:     0
    .vgpr_spill_count: 0
    .wavefront_size: 64
  - .agpr_count:     0
    .args:
      - .offset:         0
        .size:           128
        .value_kind:     by_value
    .group_segment_fixed_size: 0
    .kernarg_segment_align: 8
    .kernarg_segment_size: 128
    .language:       OpenCL C
    .language_version:
      - 2
      - 0
    .max_flat_workgroup_size: 512
    .name:           _ZN7rocprim17ROCPRIM_400000_NS6detail17trampoline_kernelINS0_14default_configENS1_25partition_config_selectorILNS1_17partition_subalgoE2ExNS0_10empty_typeEbEEZZNS1_14partition_implILS5_2ELb0ES3_jN6thrust23THRUST_200600_302600_NS6detail15normal_iteratorINSA_7pointerIxNSA_11hip_rocprim3tagENSA_11use_defaultESG_EEEEPS6_NSA_18transform_iteratorI7is_evenIxENSC_INSA_10device_ptrIxEEEESG_SG_EENS0_5tupleIJPxSJ_EEENSR_IJSJ_SJ_EEES6_PlJS6_EEE10hipError_tPvRmT3_T4_T5_T6_T7_T9_mT8_P12ihipStream_tbDpT10_ENKUlT_T0_E_clISt17integral_constantIbLb0EES1F_EEDaS1A_S1B_EUlS1A_E_NS1_11comp_targetILNS1_3genE9ELNS1_11target_archE1100ELNS1_3gpuE3ELNS1_3repE0EEENS1_30default_config_static_selectorELNS0_4arch9wavefront6targetE1EEEvT1_
    .private_segment_fixed_size: 0
    .sgpr_count:     6
    .sgpr_spill_count: 0
    .symbol:         _ZN7rocprim17ROCPRIM_400000_NS6detail17trampoline_kernelINS0_14default_configENS1_25partition_config_selectorILNS1_17partition_subalgoE2ExNS0_10empty_typeEbEEZZNS1_14partition_implILS5_2ELb0ES3_jN6thrust23THRUST_200600_302600_NS6detail15normal_iteratorINSA_7pointerIxNSA_11hip_rocprim3tagENSA_11use_defaultESG_EEEEPS6_NSA_18transform_iteratorI7is_evenIxENSC_INSA_10device_ptrIxEEEESG_SG_EENS0_5tupleIJPxSJ_EEENSR_IJSJ_SJ_EEES6_PlJS6_EEE10hipError_tPvRmT3_T4_T5_T6_T7_T9_mT8_P12ihipStream_tbDpT10_ENKUlT_T0_E_clISt17integral_constantIbLb0EES1F_EEDaS1A_S1B_EUlS1A_E_NS1_11comp_targetILNS1_3genE9ELNS1_11target_archE1100ELNS1_3gpuE3ELNS1_3repE0EEENS1_30default_config_static_selectorELNS0_4arch9wavefront6targetE1EEEvT1_.kd
    .uniform_work_group_size: 1
    .uses_dynamic_stack: false
    .vgpr_count:     0
    .vgpr_spill_count: 0
    .wavefront_size: 64
  - .agpr_count:     0
    .args:
      - .offset:         0
        .size:           128
        .value_kind:     by_value
    .group_segment_fixed_size: 0
    .kernarg_segment_align: 8
    .kernarg_segment_size: 128
    .language:       OpenCL C
    .language_version:
      - 2
      - 0
    .max_flat_workgroup_size: 512
    .name:           _ZN7rocprim17ROCPRIM_400000_NS6detail17trampoline_kernelINS0_14default_configENS1_25partition_config_selectorILNS1_17partition_subalgoE2ExNS0_10empty_typeEbEEZZNS1_14partition_implILS5_2ELb0ES3_jN6thrust23THRUST_200600_302600_NS6detail15normal_iteratorINSA_7pointerIxNSA_11hip_rocprim3tagENSA_11use_defaultESG_EEEEPS6_NSA_18transform_iteratorI7is_evenIxENSC_INSA_10device_ptrIxEEEESG_SG_EENS0_5tupleIJPxSJ_EEENSR_IJSJ_SJ_EEES6_PlJS6_EEE10hipError_tPvRmT3_T4_T5_T6_T7_T9_mT8_P12ihipStream_tbDpT10_ENKUlT_T0_E_clISt17integral_constantIbLb0EES1F_EEDaS1A_S1B_EUlS1A_E_NS1_11comp_targetILNS1_3genE8ELNS1_11target_archE1030ELNS1_3gpuE2ELNS1_3repE0EEENS1_30default_config_static_selectorELNS0_4arch9wavefront6targetE1EEEvT1_
    .private_segment_fixed_size: 0
    .sgpr_count:     6
    .sgpr_spill_count: 0
    .symbol:         _ZN7rocprim17ROCPRIM_400000_NS6detail17trampoline_kernelINS0_14default_configENS1_25partition_config_selectorILNS1_17partition_subalgoE2ExNS0_10empty_typeEbEEZZNS1_14partition_implILS5_2ELb0ES3_jN6thrust23THRUST_200600_302600_NS6detail15normal_iteratorINSA_7pointerIxNSA_11hip_rocprim3tagENSA_11use_defaultESG_EEEEPS6_NSA_18transform_iteratorI7is_evenIxENSC_INSA_10device_ptrIxEEEESG_SG_EENS0_5tupleIJPxSJ_EEENSR_IJSJ_SJ_EEES6_PlJS6_EEE10hipError_tPvRmT3_T4_T5_T6_T7_T9_mT8_P12ihipStream_tbDpT10_ENKUlT_T0_E_clISt17integral_constantIbLb0EES1F_EEDaS1A_S1B_EUlS1A_E_NS1_11comp_targetILNS1_3genE8ELNS1_11target_archE1030ELNS1_3gpuE2ELNS1_3repE0EEENS1_30default_config_static_selectorELNS0_4arch9wavefront6targetE1EEEvT1_.kd
    .uniform_work_group_size: 1
    .uses_dynamic_stack: false
    .vgpr_count:     0
    .vgpr_spill_count: 0
    .wavefront_size: 64
  - .agpr_count:     0
    .args:
      - .offset:         0
        .size:           144
        .value_kind:     by_value
    .group_segment_fixed_size: 0
    .kernarg_segment_align: 8
    .kernarg_segment_size: 144
    .language:       OpenCL C
    .language_version:
      - 2
      - 0
    .max_flat_workgroup_size: 128
    .name:           _ZN7rocprim17ROCPRIM_400000_NS6detail17trampoline_kernelINS0_14default_configENS1_25partition_config_selectorILNS1_17partition_subalgoE2ExNS0_10empty_typeEbEEZZNS1_14partition_implILS5_2ELb0ES3_jN6thrust23THRUST_200600_302600_NS6detail15normal_iteratorINSA_7pointerIxNSA_11hip_rocprim3tagENSA_11use_defaultESG_EEEEPS6_NSA_18transform_iteratorI7is_evenIxENSC_INSA_10device_ptrIxEEEESG_SG_EENS0_5tupleIJPxSJ_EEENSR_IJSJ_SJ_EEES6_PlJS6_EEE10hipError_tPvRmT3_T4_T5_T6_T7_T9_mT8_P12ihipStream_tbDpT10_ENKUlT_T0_E_clISt17integral_constantIbLb1EES1F_EEDaS1A_S1B_EUlS1A_E_NS1_11comp_targetILNS1_3genE0ELNS1_11target_archE4294967295ELNS1_3gpuE0ELNS1_3repE0EEENS1_30default_config_static_selectorELNS0_4arch9wavefront6targetE1EEEvT1_
    .private_segment_fixed_size: 0
    .sgpr_count:     6
    .sgpr_spill_count: 0
    .symbol:         _ZN7rocprim17ROCPRIM_400000_NS6detail17trampoline_kernelINS0_14default_configENS1_25partition_config_selectorILNS1_17partition_subalgoE2ExNS0_10empty_typeEbEEZZNS1_14partition_implILS5_2ELb0ES3_jN6thrust23THRUST_200600_302600_NS6detail15normal_iteratorINSA_7pointerIxNSA_11hip_rocprim3tagENSA_11use_defaultESG_EEEEPS6_NSA_18transform_iteratorI7is_evenIxENSC_INSA_10device_ptrIxEEEESG_SG_EENS0_5tupleIJPxSJ_EEENSR_IJSJ_SJ_EEES6_PlJS6_EEE10hipError_tPvRmT3_T4_T5_T6_T7_T9_mT8_P12ihipStream_tbDpT10_ENKUlT_T0_E_clISt17integral_constantIbLb1EES1F_EEDaS1A_S1B_EUlS1A_E_NS1_11comp_targetILNS1_3genE0ELNS1_11target_archE4294967295ELNS1_3gpuE0ELNS1_3repE0EEENS1_30default_config_static_selectorELNS0_4arch9wavefront6targetE1EEEvT1_.kd
    .uniform_work_group_size: 1
    .uses_dynamic_stack: false
    .vgpr_count:     0
    .vgpr_spill_count: 0
    .wavefront_size: 64
  - .agpr_count:     0
    .args:
      - .offset:         0
        .size:           144
        .value_kind:     by_value
    .group_segment_fixed_size: 28680
    .kernarg_segment_align: 8
    .kernarg_segment_size: 144
    .language:       OpenCL C
    .language_version:
      - 2
      - 0
    .max_flat_workgroup_size: 512
    .name:           _ZN7rocprim17ROCPRIM_400000_NS6detail17trampoline_kernelINS0_14default_configENS1_25partition_config_selectorILNS1_17partition_subalgoE2ExNS0_10empty_typeEbEEZZNS1_14partition_implILS5_2ELb0ES3_jN6thrust23THRUST_200600_302600_NS6detail15normal_iteratorINSA_7pointerIxNSA_11hip_rocprim3tagENSA_11use_defaultESG_EEEEPS6_NSA_18transform_iteratorI7is_evenIxENSC_INSA_10device_ptrIxEEEESG_SG_EENS0_5tupleIJPxSJ_EEENSR_IJSJ_SJ_EEES6_PlJS6_EEE10hipError_tPvRmT3_T4_T5_T6_T7_T9_mT8_P12ihipStream_tbDpT10_ENKUlT_T0_E_clISt17integral_constantIbLb1EES1F_EEDaS1A_S1B_EUlS1A_E_NS1_11comp_targetILNS1_3genE5ELNS1_11target_archE942ELNS1_3gpuE9ELNS1_3repE0EEENS1_30default_config_static_selectorELNS0_4arch9wavefront6targetE1EEEvT1_
    .private_segment_fixed_size: 0
    .sgpr_count:     52
    .sgpr_spill_count: 0
    .symbol:         _ZN7rocprim17ROCPRIM_400000_NS6detail17trampoline_kernelINS0_14default_configENS1_25partition_config_selectorILNS1_17partition_subalgoE2ExNS0_10empty_typeEbEEZZNS1_14partition_implILS5_2ELb0ES3_jN6thrust23THRUST_200600_302600_NS6detail15normal_iteratorINSA_7pointerIxNSA_11hip_rocprim3tagENSA_11use_defaultESG_EEEEPS6_NSA_18transform_iteratorI7is_evenIxENSC_INSA_10device_ptrIxEEEESG_SG_EENS0_5tupleIJPxSJ_EEENSR_IJSJ_SJ_EEES6_PlJS6_EEE10hipError_tPvRmT3_T4_T5_T6_T7_T9_mT8_P12ihipStream_tbDpT10_ENKUlT_T0_E_clISt17integral_constantIbLb1EES1F_EEDaS1A_S1B_EUlS1A_E_NS1_11comp_targetILNS1_3genE5ELNS1_11target_archE942ELNS1_3gpuE9ELNS1_3repE0EEENS1_30default_config_static_selectorELNS0_4arch9wavefront6targetE1EEEvT1_.kd
    .uniform_work_group_size: 1
    .uses_dynamic_stack: false
    .vgpr_count:     56
    .vgpr_spill_count: 0
    .wavefront_size: 64
  - .agpr_count:     0
    .args:
      - .offset:         0
        .size:           144
        .value_kind:     by_value
    .group_segment_fixed_size: 0
    .kernarg_segment_align: 8
    .kernarg_segment_size: 144
    .language:       OpenCL C
    .language_version:
      - 2
      - 0
    .max_flat_workgroup_size: 192
    .name:           _ZN7rocprim17ROCPRIM_400000_NS6detail17trampoline_kernelINS0_14default_configENS1_25partition_config_selectorILNS1_17partition_subalgoE2ExNS0_10empty_typeEbEEZZNS1_14partition_implILS5_2ELb0ES3_jN6thrust23THRUST_200600_302600_NS6detail15normal_iteratorINSA_7pointerIxNSA_11hip_rocprim3tagENSA_11use_defaultESG_EEEEPS6_NSA_18transform_iteratorI7is_evenIxENSC_INSA_10device_ptrIxEEEESG_SG_EENS0_5tupleIJPxSJ_EEENSR_IJSJ_SJ_EEES6_PlJS6_EEE10hipError_tPvRmT3_T4_T5_T6_T7_T9_mT8_P12ihipStream_tbDpT10_ENKUlT_T0_E_clISt17integral_constantIbLb1EES1F_EEDaS1A_S1B_EUlS1A_E_NS1_11comp_targetILNS1_3genE4ELNS1_11target_archE910ELNS1_3gpuE8ELNS1_3repE0EEENS1_30default_config_static_selectorELNS0_4arch9wavefront6targetE1EEEvT1_
    .private_segment_fixed_size: 0
    .sgpr_count:     6
    .sgpr_spill_count: 0
    .symbol:         _ZN7rocprim17ROCPRIM_400000_NS6detail17trampoline_kernelINS0_14default_configENS1_25partition_config_selectorILNS1_17partition_subalgoE2ExNS0_10empty_typeEbEEZZNS1_14partition_implILS5_2ELb0ES3_jN6thrust23THRUST_200600_302600_NS6detail15normal_iteratorINSA_7pointerIxNSA_11hip_rocprim3tagENSA_11use_defaultESG_EEEEPS6_NSA_18transform_iteratorI7is_evenIxENSC_INSA_10device_ptrIxEEEESG_SG_EENS0_5tupleIJPxSJ_EEENSR_IJSJ_SJ_EEES6_PlJS6_EEE10hipError_tPvRmT3_T4_T5_T6_T7_T9_mT8_P12ihipStream_tbDpT10_ENKUlT_T0_E_clISt17integral_constantIbLb1EES1F_EEDaS1A_S1B_EUlS1A_E_NS1_11comp_targetILNS1_3genE4ELNS1_11target_archE910ELNS1_3gpuE8ELNS1_3repE0EEENS1_30default_config_static_selectorELNS0_4arch9wavefront6targetE1EEEvT1_.kd
    .uniform_work_group_size: 1
    .uses_dynamic_stack: false
    .vgpr_count:     0
    .vgpr_spill_count: 0
    .wavefront_size: 64
  - .agpr_count:     0
    .args:
      - .offset:         0
        .size:           144
        .value_kind:     by_value
    .group_segment_fixed_size: 0
    .kernarg_segment_align: 8
    .kernarg_segment_size: 144
    .language:       OpenCL C
    .language_version:
      - 2
      - 0
    .max_flat_workgroup_size: 128
    .name:           _ZN7rocprim17ROCPRIM_400000_NS6detail17trampoline_kernelINS0_14default_configENS1_25partition_config_selectorILNS1_17partition_subalgoE2ExNS0_10empty_typeEbEEZZNS1_14partition_implILS5_2ELb0ES3_jN6thrust23THRUST_200600_302600_NS6detail15normal_iteratorINSA_7pointerIxNSA_11hip_rocprim3tagENSA_11use_defaultESG_EEEEPS6_NSA_18transform_iteratorI7is_evenIxENSC_INSA_10device_ptrIxEEEESG_SG_EENS0_5tupleIJPxSJ_EEENSR_IJSJ_SJ_EEES6_PlJS6_EEE10hipError_tPvRmT3_T4_T5_T6_T7_T9_mT8_P12ihipStream_tbDpT10_ENKUlT_T0_E_clISt17integral_constantIbLb1EES1F_EEDaS1A_S1B_EUlS1A_E_NS1_11comp_targetILNS1_3genE3ELNS1_11target_archE908ELNS1_3gpuE7ELNS1_3repE0EEENS1_30default_config_static_selectorELNS0_4arch9wavefront6targetE1EEEvT1_
    .private_segment_fixed_size: 0
    .sgpr_count:     6
    .sgpr_spill_count: 0
    .symbol:         _ZN7rocprim17ROCPRIM_400000_NS6detail17trampoline_kernelINS0_14default_configENS1_25partition_config_selectorILNS1_17partition_subalgoE2ExNS0_10empty_typeEbEEZZNS1_14partition_implILS5_2ELb0ES3_jN6thrust23THRUST_200600_302600_NS6detail15normal_iteratorINSA_7pointerIxNSA_11hip_rocprim3tagENSA_11use_defaultESG_EEEEPS6_NSA_18transform_iteratorI7is_evenIxENSC_INSA_10device_ptrIxEEEESG_SG_EENS0_5tupleIJPxSJ_EEENSR_IJSJ_SJ_EEES6_PlJS6_EEE10hipError_tPvRmT3_T4_T5_T6_T7_T9_mT8_P12ihipStream_tbDpT10_ENKUlT_T0_E_clISt17integral_constantIbLb1EES1F_EEDaS1A_S1B_EUlS1A_E_NS1_11comp_targetILNS1_3genE3ELNS1_11target_archE908ELNS1_3gpuE7ELNS1_3repE0EEENS1_30default_config_static_selectorELNS0_4arch9wavefront6targetE1EEEvT1_.kd
    .uniform_work_group_size: 1
    .uses_dynamic_stack: false
    .vgpr_count:     0
    .vgpr_spill_count: 0
    .wavefront_size: 64
  - .agpr_count:     0
    .args:
      - .offset:         0
        .size:           144
        .value_kind:     by_value
    .group_segment_fixed_size: 0
    .kernarg_segment_align: 8
    .kernarg_segment_size: 144
    .language:       OpenCL C
    .language_version:
      - 2
      - 0
    .max_flat_workgroup_size: 256
    .name:           _ZN7rocprim17ROCPRIM_400000_NS6detail17trampoline_kernelINS0_14default_configENS1_25partition_config_selectorILNS1_17partition_subalgoE2ExNS0_10empty_typeEbEEZZNS1_14partition_implILS5_2ELb0ES3_jN6thrust23THRUST_200600_302600_NS6detail15normal_iteratorINSA_7pointerIxNSA_11hip_rocprim3tagENSA_11use_defaultESG_EEEEPS6_NSA_18transform_iteratorI7is_evenIxENSC_INSA_10device_ptrIxEEEESG_SG_EENS0_5tupleIJPxSJ_EEENSR_IJSJ_SJ_EEES6_PlJS6_EEE10hipError_tPvRmT3_T4_T5_T6_T7_T9_mT8_P12ihipStream_tbDpT10_ENKUlT_T0_E_clISt17integral_constantIbLb1EES1F_EEDaS1A_S1B_EUlS1A_E_NS1_11comp_targetILNS1_3genE2ELNS1_11target_archE906ELNS1_3gpuE6ELNS1_3repE0EEENS1_30default_config_static_selectorELNS0_4arch9wavefront6targetE1EEEvT1_
    .private_segment_fixed_size: 0
    .sgpr_count:     6
    .sgpr_spill_count: 0
    .symbol:         _ZN7rocprim17ROCPRIM_400000_NS6detail17trampoline_kernelINS0_14default_configENS1_25partition_config_selectorILNS1_17partition_subalgoE2ExNS0_10empty_typeEbEEZZNS1_14partition_implILS5_2ELb0ES3_jN6thrust23THRUST_200600_302600_NS6detail15normal_iteratorINSA_7pointerIxNSA_11hip_rocprim3tagENSA_11use_defaultESG_EEEEPS6_NSA_18transform_iteratorI7is_evenIxENSC_INSA_10device_ptrIxEEEESG_SG_EENS0_5tupleIJPxSJ_EEENSR_IJSJ_SJ_EEES6_PlJS6_EEE10hipError_tPvRmT3_T4_T5_T6_T7_T9_mT8_P12ihipStream_tbDpT10_ENKUlT_T0_E_clISt17integral_constantIbLb1EES1F_EEDaS1A_S1B_EUlS1A_E_NS1_11comp_targetILNS1_3genE2ELNS1_11target_archE906ELNS1_3gpuE6ELNS1_3repE0EEENS1_30default_config_static_selectorELNS0_4arch9wavefront6targetE1EEEvT1_.kd
    .uniform_work_group_size: 1
    .uses_dynamic_stack: false
    .vgpr_count:     0
    .vgpr_spill_count: 0
    .wavefront_size: 64
  - .agpr_count:     0
    .args:
      - .offset:         0
        .size:           144
        .value_kind:     by_value
    .group_segment_fixed_size: 0
    .kernarg_segment_align: 8
    .kernarg_segment_size: 144
    .language:       OpenCL C
    .language_version:
      - 2
      - 0
    .max_flat_workgroup_size: 256
    .name:           _ZN7rocprim17ROCPRIM_400000_NS6detail17trampoline_kernelINS0_14default_configENS1_25partition_config_selectorILNS1_17partition_subalgoE2ExNS0_10empty_typeEbEEZZNS1_14partition_implILS5_2ELb0ES3_jN6thrust23THRUST_200600_302600_NS6detail15normal_iteratorINSA_7pointerIxNSA_11hip_rocprim3tagENSA_11use_defaultESG_EEEEPS6_NSA_18transform_iteratorI7is_evenIxENSC_INSA_10device_ptrIxEEEESG_SG_EENS0_5tupleIJPxSJ_EEENSR_IJSJ_SJ_EEES6_PlJS6_EEE10hipError_tPvRmT3_T4_T5_T6_T7_T9_mT8_P12ihipStream_tbDpT10_ENKUlT_T0_E_clISt17integral_constantIbLb1EES1F_EEDaS1A_S1B_EUlS1A_E_NS1_11comp_targetILNS1_3genE10ELNS1_11target_archE1200ELNS1_3gpuE4ELNS1_3repE0EEENS1_30default_config_static_selectorELNS0_4arch9wavefront6targetE1EEEvT1_
    .private_segment_fixed_size: 0
    .sgpr_count:     6
    .sgpr_spill_count: 0
    .symbol:         _ZN7rocprim17ROCPRIM_400000_NS6detail17trampoline_kernelINS0_14default_configENS1_25partition_config_selectorILNS1_17partition_subalgoE2ExNS0_10empty_typeEbEEZZNS1_14partition_implILS5_2ELb0ES3_jN6thrust23THRUST_200600_302600_NS6detail15normal_iteratorINSA_7pointerIxNSA_11hip_rocprim3tagENSA_11use_defaultESG_EEEEPS6_NSA_18transform_iteratorI7is_evenIxENSC_INSA_10device_ptrIxEEEESG_SG_EENS0_5tupleIJPxSJ_EEENSR_IJSJ_SJ_EEES6_PlJS6_EEE10hipError_tPvRmT3_T4_T5_T6_T7_T9_mT8_P12ihipStream_tbDpT10_ENKUlT_T0_E_clISt17integral_constantIbLb1EES1F_EEDaS1A_S1B_EUlS1A_E_NS1_11comp_targetILNS1_3genE10ELNS1_11target_archE1200ELNS1_3gpuE4ELNS1_3repE0EEENS1_30default_config_static_selectorELNS0_4arch9wavefront6targetE1EEEvT1_.kd
    .uniform_work_group_size: 1
    .uses_dynamic_stack: false
    .vgpr_count:     0
    .vgpr_spill_count: 0
    .wavefront_size: 64
  - .agpr_count:     0
    .args:
      - .offset:         0
        .size:           144
        .value_kind:     by_value
    .group_segment_fixed_size: 0
    .kernarg_segment_align: 8
    .kernarg_segment_size: 144
    .language:       OpenCL C
    .language_version:
      - 2
      - 0
    .max_flat_workgroup_size: 512
    .name:           _ZN7rocprim17ROCPRIM_400000_NS6detail17trampoline_kernelINS0_14default_configENS1_25partition_config_selectorILNS1_17partition_subalgoE2ExNS0_10empty_typeEbEEZZNS1_14partition_implILS5_2ELb0ES3_jN6thrust23THRUST_200600_302600_NS6detail15normal_iteratorINSA_7pointerIxNSA_11hip_rocprim3tagENSA_11use_defaultESG_EEEEPS6_NSA_18transform_iteratorI7is_evenIxENSC_INSA_10device_ptrIxEEEESG_SG_EENS0_5tupleIJPxSJ_EEENSR_IJSJ_SJ_EEES6_PlJS6_EEE10hipError_tPvRmT3_T4_T5_T6_T7_T9_mT8_P12ihipStream_tbDpT10_ENKUlT_T0_E_clISt17integral_constantIbLb1EES1F_EEDaS1A_S1B_EUlS1A_E_NS1_11comp_targetILNS1_3genE9ELNS1_11target_archE1100ELNS1_3gpuE3ELNS1_3repE0EEENS1_30default_config_static_selectorELNS0_4arch9wavefront6targetE1EEEvT1_
    .private_segment_fixed_size: 0
    .sgpr_count:     6
    .sgpr_spill_count: 0
    .symbol:         _ZN7rocprim17ROCPRIM_400000_NS6detail17trampoline_kernelINS0_14default_configENS1_25partition_config_selectorILNS1_17partition_subalgoE2ExNS0_10empty_typeEbEEZZNS1_14partition_implILS5_2ELb0ES3_jN6thrust23THRUST_200600_302600_NS6detail15normal_iteratorINSA_7pointerIxNSA_11hip_rocprim3tagENSA_11use_defaultESG_EEEEPS6_NSA_18transform_iteratorI7is_evenIxENSC_INSA_10device_ptrIxEEEESG_SG_EENS0_5tupleIJPxSJ_EEENSR_IJSJ_SJ_EEES6_PlJS6_EEE10hipError_tPvRmT3_T4_T5_T6_T7_T9_mT8_P12ihipStream_tbDpT10_ENKUlT_T0_E_clISt17integral_constantIbLb1EES1F_EEDaS1A_S1B_EUlS1A_E_NS1_11comp_targetILNS1_3genE9ELNS1_11target_archE1100ELNS1_3gpuE3ELNS1_3repE0EEENS1_30default_config_static_selectorELNS0_4arch9wavefront6targetE1EEEvT1_.kd
    .uniform_work_group_size: 1
    .uses_dynamic_stack: false
    .vgpr_count:     0
    .vgpr_spill_count: 0
    .wavefront_size: 64
  - .agpr_count:     0
    .args:
      - .offset:         0
        .size:           144
        .value_kind:     by_value
    .group_segment_fixed_size: 0
    .kernarg_segment_align: 8
    .kernarg_segment_size: 144
    .language:       OpenCL C
    .language_version:
      - 2
      - 0
    .max_flat_workgroup_size: 512
    .name:           _ZN7rocprim17ROCPRIM_400000_NS6detail17trampoline_kernelINS0_14default_configENS1_25partition_config_selectorILNS1_17partition_subalgoE2ExNS0_10empty_typeEbEEZZNS1_14partition_implILS5_2ELb0ES3_jN6thrust23THRUST_200600_302600_NS6detail15normal_iteratorINSA_7pointerIxNSA_11hip_rocprim3tagENSA_11use_defaultESG_EEEEPS6_NSA_18transform_iteratorI7is_evenIxENSC_INSA_10device_ptrIxEEEESG_SG_EENS0_5tupleIJPxSJ_EEENSR_IJSJ_SJ_EEES6_PlJS6_EEE10hipError_tPvRmT3_T4_T5_T6_T7_T9_mT8_P12ihipStream_tbDpT10_ENKUlT_T0_E_clISt17integral_constantIbLb1EES1F_EEDaS1A_S1B_EUlS1A_E_NS1_11comp_targetILNS1_3genE8ELNS1_11target_archE1030ELNS1_3gpuE2ELNS1_3repE0EEENS1_30default_config_static_selectorELNS0_4arch9wavefront6targetE1EEEvT1_
    .private_segment_fixed_size: 0
    .sgpr_count:     6
    .sgpr_spill_count: 0
    .symbol:         _ZN7rocprim17ROCPRIM_400000_NS6detail17trampoline_kernelINS0_14default_configENS1_25partition_config_selectorILNS1_17partition_subalgoE2ExNS0_10empty_typeEbEEZZNS1_14partition_implILS5_2ELb0ES3_jN6thrust23THRUST_200600_302600_NS6detail15normal_iteratorINSA_7pointerIxNSA_11hip_rocprim3tagENSA_11use_defaultESG_EEEEPS6_NSA_18transform_iteratorI7is_evenIxENSC_INSA_10device_ptrIxEEEESG_SG_EENS0_5tupleIJPxSJ_EEENSR_IJSJ_SJ_EEES6_PlJS6_EEE10hipError_tPvRmT3_T4_T5_T6_T7_T9_mT8_P12ihipStream_tbDpT10_ENKUlT_T0_E_clISt17integral_constantIbLb1EES1F_EEDaS1A_S1B_EUlS1A_E_NS1_11comp_targetILNS1_3genE8ELNS1_11target_archE1030ELNS1_3gpuE2ELNS1_3repE0EEENS1_30default_config_static_selectorELNS0_4arch9wavefront6targetE1EEEvT1_.kd
    .uniform_work_group_size: 1
    .uses_dynamic_stack: false
    .vgpr_count:     0
    .vgpr_spill_count: 0
    .wavefront_size: 64
  - .agpr_count:     0
    .args:
      - .offset:         0
        .size:           128
        .value_kind:     by_value
    .group_segment_fixed_size: 0
    .kernarg_segment_align: 8
    .kernarg_segment_size: 128
    .language:       OpenCL C
    .language_version:
      - 2
      - 0
    .max_flat_workgroup_size: 128
    .name:           _ZN7rocprim17ROCPRIM_400000_NS6detail17trampoline_kernelINS0_14default_configENS1_25partition_config_selectorILNS1_17partition_subalgoE2ExNS0_10empty_typeEbEEZZNS1_14partition_implILS5_2ELb0ES3_jN6thrust23THRUST_200600_302600_NS6detail15normal_iteratorINSA_7pointerIxNSA_11hip_rocprim3tagENSA_11use_defaultESG_EEEEPS6_NSA_18transform_iteratorI7is_evenIxENSC_INSA_10device_ptrIxEEEESG_SG_EENS0_5tupleIJPxSJ_EEENSR_IJSJ_SJ_EEES6_PlJS6_EEE10hipError_tPvRmT3_T4_T5_T6_T7_T9_mT8_P12ihipStream_tbDpT10_ENKUlT_T0_E_clISt17integral_constantIbLb1EES1E_IbLb0EEEEDaS1A_S1B_EUlS1A_E_NS1_11comp_targetILNS1_3genE0ELNS1_11target_archE4294967295ELNS1_3gpuE0ELNS1_3repE0EEENS1_30default_config_static_selectorELNS0_4arch9wavefront6targetE1EEEvT1_
    .private_segment_fixed_size: 0
    .sgpr_count:     6
    .sgpr_spill_count: 0
    .symbol:         _ZN7rocprim17ROCPRIM_400000_NS6detail17trampoline_kernelINS0_14default_configENS1_25partition_config_selectorILNS1_17partition_subalgoE2ExNS0_10empty_typeEbEEZZNS1_14partition_implILS5_2ELb0ES3_jN6thrust23THRUST_200600_302600_NS6detail15normal_iteratorINSA_7pointerIxNSA_11hip_rocprim3tagENSA_11use_defaultESG_EEEEPS6_NSA_18transform_iteratorI7is_evenIxENSC_INSA_10device_ptrIxEEEESG_SG_EENS0_5tupleIJPxSJ_EEENSR_IJSJ_SJ_EEES6_PlJS6_EEE10hipError_tPvRmT3_T4_T5_T6_T7_T9_mT8_P12ihipStream_tbDpT10_ENKUlT_T0_E_clISt17integral_constantIbLb1EES1E_IbLb0EEEEDaS1A_S1B_EUlS1A_E_NS1_11comp_targetILNS1_3genE0ELNS1_11target_archE4294967295ELNS1_3gpuE0ELNS1_3repE0EEENS1_30default_config_static_selectorELNS0_4arch9wavefront6targetE1EEEvT1_.kd
    .uniform_work_group_size: 1
    .uses_dynamic_stack: false
    .vgpr_count:     0
    .vgpr_spill_count: 0
    .wavefront_size: 64
  - .agpr_count:     0
    .args:
      - .offset:         0
        .size:           128
        .value_kind:     by_value
    .group_segment_fixed_size: 28680
    .kernarg_segment_align: 8
    .kernarg_segment_size: 128
    .language:       OpenCL C
    .language_version:
      - 2
      - 0
    .max_flat_workgroup_size: 512
    .name:           _ZN7rocprim17ROCPRIM_400000_NS6detail17trampoline_kernelINS0_14default_configENS1_25partition_config_selectorILNS1_17partition_subalgoE2ExNS0_10empty_typeEbEEZZNS1_14partition_implILS5_2ELb0ES3_jN6thrust23THRUST_200600_302600_NS6detail15normal_iteratorINSA_7pointerIxNSA_11hip_rocprim3tagENSA_11use_defaultESG_EEEEPS6_NSA_18transform_iteratorI7is_evenIxENSC_INSA_10device_ptrIxEEEESG_SG_EENS0_5tupleIJPxSJ_EEENSR_IJSJ_SJ_EEES6_PlJS6_EEE10hipError_tPvRmT3_T4_T5_T6_T7_T9_mT8_P12ihipStream_tbDpT10_ENKUlT_T0_E_clISt17integral_constantIbLb1EES1E_IbLb0EEEEDaS1A_S1B_EUlS1A_E_NS1_11comp_targetILNS1_3genE5ELNS1_11target_archE942ELNS1_3gpuE9ELNS1_3repE0EEENS1_30default_config_static_selectorELNS0_4arch9wavefront6targetE1EEEvT1_
    .private_segment_fixed_size: 0
    .sgpr_count:     52
    .sgpr_spill_count: 0
    .symbol:         _ZN7rocprim17ROCPRIM_400000_NS6detail17trampoline_kernelINS0_14default_configENS1_25partition_config_selectorILNS1_17partition_subalgoE2ExNS0_10empty_typeEbEEZZNS1_14partition_implILS5_2ELb0ES3_jN6thrust23THRUST_200600_302600_NS6detail15normal_iteratorINSA_7pointerIxNSA_11hip_rocprim3tagENSA_11use_defaultESG_EEEEPS6_NSA_18transform_iteratorI7is_evenIxENSC_INSA_10device_ptrIxEEEESG_SG_EENS0_5tupleIJPxSJ_EEENSR_IJSJ_SJ_EEES6_PlJS6_EEE10hipError_tPvRmT3_T4_T5_T6_T7_T9_mT8_P12ihipStream_tbDpT10_ENKUlT_T0_E_clISt17integral_constantIbLb1EES1E_IbLb0EEEEDaS1A_S1B_EUlS1A_E_NS1_11comp_targetILNS1_3genE5ELNS1_11target_archE942ELNS1_3gpuE9ELNS1_3repE0EEENS1_30default_config_static_selectorELNS0_4arch9wavefront6targetE1EEEvT1_.kd
    .uniform_work_group_size: 1
    .uses_dynamic_stack: false
    .vgpr_count:     54
    .vgpr_spill_count: 0
    .wavefront_size: 64
  - .agpr_count:     0
    .args:
      - .offset:         0
        .size:           128
        .value_kind:     by_value
    .group_segment_fixed_size: 0
    .kernarg_segment_align: 8
    .kernarg_segment_size: 128
    .language:       OpenCL C
    .language_version:
      - 2
      - 0
    .max_flat_workgroup_size: 192
    .name:           _ZN7rocprim17ROCPRIM_400000_NS6detail17trampoline_kernelINS0_14default_configENS1_25partition_config_selectorILNS1_17partition_subalgoE2ExNS0_10empty_typeEbEEZZNS1_14partition_implILS5_2ELb0ES3_jN6thrust23THRUST_200600_302600_NS6detail15normal_iteratorINSA_7pointerIxNSA_11hip_rocprim3tagENSA_11use_defaultESG_EEEEPS6_NSA_18transform_iteratorI7is_evenIxENSC_INSA_10device_ptrIxEEEESG_SG_EENS0_5tupleIJPxSJ_EEENSR_IJSJ_SJ_EEES6_PlJS6_EEE10hipError_tPvRmT3_T4_T5_T6_T7_T9_mT8_P12ihipStream_tbDpT10_ENKUlT_T0_E_clISt17integral_constantIbLb1EES1E_IbLb0EEEEDaS1A_S1B_EUlS1A_E_NS1_11comp_targetILNS1_3genE4ELNS1_11target_archE910ELNS1_3gpuE8ELNS1_3repE0EEENS1_30default_config_static_selectorELNS0_4arch9wavefront6targetE1EEEvT1_
    .private_segment_fixed_size: 0
    .sgpr_count:     6
    .sgpr_spill_count: 0
    .symbol:         _ZN7rocprim17ROCPRIM_400000_NS6detail17trampoline_kernelINS0_14default_configENS1_25partition_config_selectorILNS1_17partition_subalgoE2ExNS0_10empty_typeEbEEZZNS1_14partition_implILS5_2ELb0ES3_jN6thrust23THRUST_200600_302600_NS6detail15normal_iteratorINSA_7pointerIxNSA_11hip_rocprim3tagENSA_11use_defaultESG_EEEEPS6_NSA_18transform_iteratorI7is_evenIxENSC_INSA_10device_ptrIxEEEESG_SG_EENS0_5tupleIJPxSJ_EEENSR_IJSJ_SJ_EEES6_PlJS6_EEE10hipError_tPvRmT3_T4_T5_T6_T7_T9_mT8_P12ihipStream_tbDpT10_ENKUlT_T0_E_clISt17integral_constantIbLb1EES1E_IbLb0EEEEDaS1A_S1B_EUlS1A_E_NS1_11comp_targetILNS1_3genE4ELNS1_11target_archE910ELNS1_3gpuE8ELNS1_3repE0EEENS1_30default_config_static_selectorELNS0_4arch9wavefront6targetE1EEEvT1_.kd
    .uniform_work_group_size: 1
    .uses_dynamic_stack: false
    .vgpr_count:     0
    .vgpr_spill_count: 0
    .wavefront_size: 64
  - .agpr_count:     0
    .args:
      - .offset:         0
        .size:           128
        .value_kind:     by_value
    .group_segment_fixed_size: 0
    .kernarg_segment_align: 8
    .kernarg_segment_size: 128
    .language:       OpenCL C
    .language_version:
      - 2
      - 0
    .max_flat_workgroup_size: 128
    .name:           _ZN7rocprim17ROCPRIM_400000_NS6detail17trampoline_kernelINS0_14default_configENS1_25partition_config_selectorILNS1_17partition_subalgoE2ExNS0_10empty_typeEbEEZZNS1_14partition_implILS5_2ELb0ES3_jN6thrust23THRUST_200600_302600_NS6detail15normal_iteratorINSA_7pointerIxNSA_11hip_rocprim3tagENSA_11use_defaultESG_EEEEPS6_NSA_18transform_iteratorI7is_evenIxENSC_INSA_10device_ptrIxEEEESG_SG_EENS0_5tupleIJPxSJ_EEENSR_IJSJ_SJ_EEES6_PlJS6_EEE10hipError_tPvRmT3_T4_T5_T6_T7_T9_mT8_P12ihipStream_tbDpT10_ENKUlT_T0_E_clISt17integral_constantIbLb1EES1E_IbLb0EEEEDaS1A_S1B_EUlS1A_E_NS1_11comp_targetILNS1_3genE3ELNS1_11target_archE908ELNS1_3gpuE7ELNS1_3repE0EEENS1_30default_config_static_selectorELNS0_4arch9wavefront6targetE1EEEvT1_
    .private_segment_fixed_size: 0
    .sgpr_count:     6
    .sgpr_spill_count: 0
    .symbol:         _ZN7rocprim17ROCPRIM_400000_NS6detail17trampoline_kernelINS0_14default_configENS1_25partition_config_selectorILNS1_17partition_subalgoE2ExNS0_10empty_typeEbEEZZNS1_14partition_implILS5_2ELb0ES3_jN6thrust23THRUST_200600_302600_NS6detail15normal_iteratorINSA_7pointerIxNSA_11hip_rocprim3tagENSA_11use_defaultESG_EEEEPS6_NSA_18transform_iteratorI7is_evenIxENSC_INSA_10device_ptrIxEEEESG_SG_EENS0_5tupleIJPxSJ_EEENSR_IJSJ_SJ_EEES6_PlJS6_EEE10hipError_tPvRmT3_T4_T5_T6_T7_T9_mT8_P12ihipStream_tbDpT10_ENKUlT_T0_E_clISt17integral_constantIbLb1EES1E_IbLb0EEEEDaS1A_S1B_EUlS1A_E_NS1_11comp_targetILNS1_3genE3ELNS1_11target_archE908ELNS1_3gpuE7ELNS1_3repE0EEENS1_30default_config_static_selectorELNS0_4arch9wavefront6targetE1EEEvT1_.kd
    .uniform_work_group_size: 1
    .uses_dynamic_stack: false
    .vgpr_count:     0
    .vgpr_spill_count: 0
    .wavefront_size: 64
  - .agpr_count:     0
    .args:
      - .offset:         0
        .size:           128
        .value_kind:     by_value
    .group_segment_fixed_size: 0
    .kernarg_segment_align: 8
    .kernarg_segment_size: 128
    .language:       OpenCL C
    .language_version:
      - 2
      - 0
    .max_flat_workgroup_size: 256
    .name:           _ZN7rocprim17ROCPRIM_400000_NS6detail17trampoline_kernelINS0_14default_configENS1_25partition_config_selectorILNS1_17partition_subalgoE2ExNS0_10empty_typeEbEEZZNS1_14partition_implILS5_2ELb0ES3_jN6thrust23THRUST_200600_302600_NS6detail15normal_iteratorINSA_7pointerIxNSA_11hip_rocprim3tagENSA_11use_defaultESG_EEEEPS6_NSA_18transform_iteratorI7is_evenIxENSC_INSA_10device_ptrIxEEEESG_SG_EENS0_5tupleIJPxSJ_EEENSR_IJSJ_SJ_EEES6_PlJS6_EEE10hipError_tPvRmT3_T4_T5_T6_T7_T9_mT8_P12ihipStream_tbDpT10_ENKUlT_T0_E_clISt17integral_constantIbLb1EES1E_IbLb0EEEEDaS1A_S1B_EUlS1A_E_NS1_11comp_targetILNS1_3genE2ELNS1_11target_archE906ELNS1_3gpuE6ELNS1_3repE0EEENS1_30default_config_static_selectorELNS0_4arch9wavefront6targetE1EEEvT1_
    .private_segment_fixed_size: 0
    .sgpr_count:     6
    .sgpr_spill_count: 0
    .symbol:         _ZN7rocprim17ROCPRIM_400000_NS6detail17trampoline_kernelINS0_14default_configENS1_25partition_config_selectorILNS1_17partition_subalgoE2ExNS0_10empty_typeEbEEZZNS1_14partition_implILS5_2ELb0ES3_jN6thrust23THRUST_200600_302600_NS6detail15normal_iteratorINSA_7pointerIxNSA_11hip_rocprim3tagENSA_11use_defaultESG_EEEEPS6_NSA_18transform_iteratorI7is_evenIxENSC_INSA_10device_ptrIxEEEESG_SG_EENS0_5tupleIJPxSJ_EEENSR_IJSJ_SJ_EEES6_PlJS6_EEE10hipError_tPvRmT3_T4_T5_T6_T7_T9_mT8_P12ihipStream_tbDpT10_ENKUlT_T0_E_clISt17integral_constantIbLb1EES1E_IbLb0EEEEDaS1A_S1B_EUlS1A_E_NS1_11comp_targetILNS1_3genE2ELNS1_11target_archE906ELNS1_3gpuE6ELNS1_3repE0EEENS1_30default_config_static_selectorELNS0_4arch9wavefront6targetE1EEEvT1_.kd
    .uniform_work_group_size: 1
    .uses_dynamic_stack: false
    .vgpr_count:     0
    .vgpr_spill_count: 0
    .wavefront_size: 64
  - .agpr_count:     0
    .args:
      - .offset:         0
        .size:           128
        .value_kind:     by_value
    .group_segment_fixed_size: 0
    .kernarg_segment_align: 8
    .kernarg_segment_size: 128
    .language:       OpenCL C
    .language_version:
      - 2
      - 0
    .max_flat_workgroup_size: 256
    .name:           _ZN7rocprim17ROCPRIM_400000_NS6detail17trampoline_kernelINS0_14default_configENS1_25partition_config_selectorILNS1_17partition_subalgoE2ExNS0_10empty_typeEbEEZZNS1_14partition_implILS5_2ELb0ES3_jN6thrust23THRUST_200600_302600_NS6detail15normal_iteratorINSA_7pointerIxNSA_11hip_rocprim3tagENSA_11use_defaultESG_EEEEPS6_NSA_18transform_iteratorI7is_evenIxENSC_INSA_10device_ptrIxEEEESG_SG_EENS0_5tupleIJPxSJ_EEENSR_IJSJ_SJ_EEES6_PlJS6_EEE10hipError_tPvRmT3_T4_T5_T6_T7_T9_mT8_P12ihipStream_tbDpT10_ENKUlT_T0_E_clISt17integral_constantIbLb1EES1E_IbLb0EEEEDaS1A_S1B_EUlS1A_E_NS1_11comp_targetILNS1_3genE10ELNS1_11target_archE1200ELNS1_3gpuE4ELNS1_3repE0EEENS1_30default_config_static_selectorELNS0_4arch9wavefront6targetE1EEEvT1_
    .private_segment_fixed_size: 0
    .sgpr_count:     6
    .sgpr_spill_count: 0
    .symbol:         _ZN7rocprim17ROCPRIM_400000_NS6detail17trampoline_kernelINS0_14default_configENS1_25partition_config_selectorILNS1_17partition_subalgoE2ExNS0_10empty_typeEbEEZZNS1_14partition_implILS5_2ELb0ES3_jN6thrust23THRUST_200600_302600_NS6detail15normal_iteratorINSA_7pointerIxNSA_11hip_rocprim3tagENSA_11use_defaultESG_EEEEPS6_NSA_18transform_iteratorI7is_evenIxENSC_INSA_10device_ptrIxEEEESG_SG_EENS0_5tupleIJPxSJ_EEENSR_IJSJ_SJ_EEES6_PlJS6_EEE10hipError_tPvRmT3_T4_T5_T6_T7_T9_mT8_P12ihipStream_tbDpT10_ENKUlT_T0_E_clISt17integral_constantIbLb1EES1E_IbLb0EEEEDaS1A_S1B_EUlS1A_E_NS1_11comp_targetILNS1_3genE10ELNS1_11target_archE1200ELNS1_3gpuE4ELNS1_3repE0EEENS1_30default_config_static_selectorELNS0_4arch9wavefront6targetE1EEEvT1_.kd
    .uniform_work_group_size: 1
    .uses_dynamic_stack: false
    .vgpr_count:     0
    .vgpr_spill_count: 0
    .wavefront_size: 64
  - .agpr_count:     0
    .args:
      - .offset:         0
        .size:           128
        .value_kind:     by_value
    .group_segment_fixed_size: 0
    .kernarg_segment_align: 8
    .kernarg_segment_size: 128
    .language:       OpenCL C
    .language_version:
      - 2
      - 0
    .max_flat_workgroup_size: 512
    .name:           _ZN7rocprim17ROCPRIM_400000_NS6detail17trampoline_kernelINS0_14default_configENS1_25partition_config_selectorILNS1_17partition_subalgoE2ExNS0_10empty_typeEbEEZZNS1_14partition_implILS5_2ELb0ES3_jN6thrust23THRUST_200600_302600_NS6detail15normal_iteratorINSA_7pointerIxNSA_11hip_rocprim3tagENSA_11use_defaultESG_EEEEPS6_NSA_18transform_iteratorI7is_evenIxENSC_INSA_10device_ptrIxEEEESG_SG_EENS0_5tupleIJPxSJ_EEENSR_IJSJ_SJ_EEES6_PlJS6_EEE10hipError_tPvRmT3_T4_T5_T6_T7_T9_mT8_P12ihipStream_tbDpT10_ENKUlT_T0_E_clISt17integral_constantIbLb1EES1E_IbLb0EEEEDaS1A_S1B_EUlS1A_E_NS1_11comp_targetILNS1_3genE9ELNS1_11target_archE1100ELNS1_3gpuE3ELNS1_3repE0EEENS1_30default_config_static_selectorELNS0_4arch9wavefront6targetE1EEEvT1_
    .private_segment_fixed_size: 0
    .sgpr_count:     6
    .sgpr_spill_count: 0
    .symbol:         _ZN7rocprim17ROCPRIM_400000_NS6detail17trampoline_kernelINS0_14default_configENS1_25partition_config_selectorILNS1_17partition_subalgoE2ExNS0_10empty_typeEbEEZZNS1_14partition_implILS5_2ELb0ES3_jN6thrust23THRUST_200600_302600_NS6detail15normal_iteratorINSA_7pointerIxNSA_11hip_rocprim3tagENSA_11use_defaultESG_EEEEPS6_NSA_18transform_iteratorI7is_evenIxENSC_INSA_10device_ptrIxEEEESG_SG_EENS0_5tupleIJPxSJ_EEENSR_IJSJ_SJ_EEES6_PlJS6_EEE10hipError_tPvRmT3_T4_T5_T6_T7_T9_mT8_P12ihipStream_tbDpT10_ENKUlT_T0_E_clISt17integral_constantIbLb1EES1E_IbLb0EEEEDaS1A_S1B_EUlS1A_E_NS1_11comp_targetILNS1_3genE9ELNS1_11target_archE1100ELNS1_3gpuE3ELNS1_3repE0EEENS1_30default_config_static_selectorELNS0_4arch9wavefront6targetE1EEEvT1_.kd
    .uniform_work_group_size: 1
    .uses_dynamic_stack: false
    .vgpr_count:     0
    .vgpr_spill_count: 0
    .wavefront_size: 64
  - .agpr_count:     0
    .args:
      - .offset:         0
        .size:           128
        .value_kind:     by_value
    .group_segment_fixed_size: 0
    .kernarg_segment_align: 8
    .kernarg_segment_size: 128
    .language:       OpenCL C
    .language_version:
      - 2
      - 0
    .max_flat_workgroup_size: 512
    .name:           _ZN7rocprim17ROCPRIM_400000_NS6detail17trampoline_kernelINS0_14default_configENS1_25partition_config_selectorILNS1_17partition_subalgoE2ExNS0_10empty_typeEbEEZZNS1_14partition_implILS5_2ELb0ES3_jN6thrust23THRUST_200600_302600_NS6detail15normal_iteratorINSA_7pointerIxNSA_11hip_rocprim3tagENSA_11use_defaultESG_EEEEPS6_NSA_18transform_iteratorI7is_evenIxENSC_INSA_10device_ptrIxEEEESG_SG_EENS0_5tupleIJPxSJ_EEENSR_IJSJ_SJ_EEES6_PlJS6_EEE10hipError_tPvRmT3_T4_T5_T6_T7_T9_mT8_P12ihipStream_tbDpT10_ENKUlT_T0_E_clISt17integral_constantIbLb1EES1E_IbLb0EEEEDaS1A_S1B_EUlS1A_E_NS1_11comp_targetILNS1_3genE8ELNS1_11target_archE1030ELNS1_3gpuE2ELNS1_3repE0EEENS1_30default_config_static_selectorELNS0_4arch9wavefront6targetE1EEEvT1_
    .private_segment_fixed_size: 0
    .sgpr_count:     6
    .sgpr_spill_count: 0
    .symbol:         _ZN7rocprim17ROCPRIM_400000_NS6detail17trampoline_kernelINS0_14default_configENS1_25partition_config_selectorILNS1_17partition_subalgoE2ExNS0_10empty_typeEbEEZZNS1_14partition_implILS5_2ELb0ES3_jN6thrust23THRUST_200600_302600_NS6detail15normal_iteratorINSA_7pointerIxNSA_11hip_rocprim3tagENSA_11use_defaultESG_EEEEPS6_NSA_18transform_iteratorI7is_evenIxENSC_INSA_10device_ptrIxEEEESG_SG_EENS0_5tupleIJPxSJ_EEENSR_IJSJ_SJ_EEES6_PlJS6_EEE10hipError_tPvRmT3_T4_T5_T6_T7_T9_mT8_P12ihipStream_tbDpT10_ENKUlT_T0_E_clISt17integral_constantIbLb1EES1E_IbLb0EEEEDaS1A_S1B_EUlS1A_E_NS1_11comp_targetILNS1_3genE8ELNS1_11target_archE1030ELNS1_3gpuE2ELNS1_3repE0EEENS1_30default_config_static_selectorELNS0_4arch9wavefront6targetE1EEEvT1_.kd
    .uniform_work_group_size: 1
    .uses_dynamic_stack: false
    .vgpr_count:     0
    .vgpr_spill_count: 0
    .wavefront_size: 64
  - .agpr_count:     0
    .args:
      - .offset:         0
        .size:           144
        .value_kind:     by_value
    .group_segment_fixed_size: 0
    .kernarg_segment_align: 8
    .kernarg_segment_size: 144
    .language:       OpenCL C
    .language_version:
      - 2
      - 0
    .max_flat_workgroup_size: 128
    .name:           _ZN7rocprim17ROCPRIM_400000_NS6detail17trampoline_kernelINS0_14default_configENS1_25partition_config_selectorILNS1_17partition_subalgoE2ExNS0_10empty_typeEbEEZZNS1_14partition_implILS5_2ELb0ES3_jN6thrust23THRUST_200600_302600_NS6detail15normal_iteratorINSA_7pointerIxNSA_11hip_rocprim3tagENSA_11use_defaultESG_EEEEPS6_NSA_18transform_iteratorI7is_evenIxENSC_INSA_10device_ptrIxEEEESG_SG_EENS0_5tupleIJPxSJ_EEENSR_IJSJ_SJ_EEES6_PlJS6_EEE10hipError_tPvRmT3_T4_T5_T6_T7_T9_mT8_P12ihipStream_tbDpT10_ENKUlT_T0_E_clISt17integral_constantIbLb0EES1E_IbLb1EEEEDaS1A_S1B_EUlS1A_E_NS1_11comp_targetILNS1_3genE0ELNS1_11target_archE4294967295ELNS1_3gpuE0ELNS1_3repE0EEENS1_30default_config_static_selectorELNS0_4arch9wavefront6targetE1EEEvT1_
    .private_segment_fixed_size: 0
    .sgpr_count:     6
    .sgpr_spill_count: 0
    .symbol:         _ZN7rocprim17ROCPRIM_400000_NS6detail17trampoline_kernelINS0_14default_configENS1_25partition_config_selectorILNS1_17partition_subalgoE2ExNS0_10empty_typeEbEEZZNS1_14partition_implILS5_2ELb0ES3_jN6thrust23THRUST_200600_302600_NS6detail15normal_iteratorINSA_7pointerIxNSA_11hip_rocprim3tagENSA_11use_defaultESG_EEEEPS6_NSA_18transform_iteratorI7is_evenIxENSC_INSA_10device_ptrIxEEEESG_SG_EENS0_5tupleIJPxSJ_EEENSR_IJSJ_SJ_EEES6_PlJS6_EEE10hipError_tPvRmT3_T4_T5_T6_T7_T9_mT8_P12ihipStream_tbDpT10_ENKUlT_T0_E_clISt17integral_constantIbLb0EES1E_IbLb1EEEEDaS1A_S1B_EUlS1A_E_NS1_11comp_targetILNS1_3genE0ELNS1_11target_archE4294967295ELNS1_3gpuE0ELNS1_3repE0EEENS1_30default_config_static_selectorELNS0_4arch9wavefront6targetE1EEEvT1_.kd
    .uniform_work_group_size: 1
    .uses_dynamic_stack: false
    .vgpr_count:     0
    .vgpr_spill_count: 0
    .wavefront_size: 64
  - .agpr_count:     0
    .args:
      - .offset:         0
        .size:           144
        .value_kind:     by_value
    .group_segment_fixed_size: 28680
    .kernarg_segment_align: 8
    .kernarg_segment_size: 144
    .language:       OpenCL C
    .language_version:
      - 2
      - 0
    .max_flat_workgroup_size: 512
    .name:           _ZN7rocprim17ROCPRIM_400000_NS6detail17trampoline_kernelINS0_14default_configENS1_25partition_config_selectorILNS1_17partition_subalgoE2ExNS0_10empty_typeEbEEZZNS1_14partition_implILS5_2ELb0ES3_jN6thrust23THRUST_200600_302600_NS6detail15normal_iteratorINSA_7pointerIxNSA_11hip_rocprim3tagENSA_11use_defaultESG_EEEEPS6_NSA_18transform_iteratorI7is_evenIxENSC_INSA_10device_ptrIxEEEESG_SG_EENS0_5tupleIJPxSJ_EEENSR_IJSJ_SJ_EEES6_PlJS6_EEE10hipError_tPvRmT3_T4_T5_T6_T7_T9_mT8_P12ihipStream_tbDpT10_ENKUlT_T0_E_clISt17integral_constantIbLb0EES1E_IbLb1EEEEDaS1A_S1B_EUlS1A_E_NS1_11comp_targetILNS1_3genE5ELNS1_11target_archE942ELNS1_3gpuE9ELNS1_3repE0EEENS1_30default_config_static_selectorELNS0_4arch9wavefront6targetE1EEEvT1_
    .private_segment_fixed_size: 0
    .sgpr_count:     52
    .sgpr_spill_count: 0
    .symbol:         _ZN7rocprim17ROCPRIM_400000_NS6detail17trampoline_kernelINS0_14default_configENS1_25partition_config_selectorILNS1_17partition_subalgoE2ExNS0_10empty_typeEbEEZZNS1_14partition_implILS5_2ELb0ES3_jN6thrust23THRUST_200600_302600_NS6detail15normal_iteratorINSA_7pointerIxNSA_11hip_rocprim3tagENSA_11use_defaultESG_EEEEPS6_NSA_18transform_iteratorI7is_evenIxENSC_INSA_10device_ptrIxEEEESG_SG_EENS0_5tupleIJPxSJ_EEENSR_IJSJ_SJ_EEES6_PlJS6_EEE10hipError_tPvRmT3_T4_T5_T6_T7_T9_mT8_P12ihipStream_tbDpT10_ENKUlT_T0_E_clISt17integral_constantIbLb0EES1E_IbLb1EEEEDaS1A_S1B_EUlS1A_E_NS1_11comp_targetILNS1_3genE5ELNS1_11target_archE942ELNS1_3gpuE9ELNS1_3repE0EEENS1_30default_config_static_selectorELNS0_4arch9wavefront6targetE1EEEvT1_.kd
    .uniform_work_group_size: 1
    .uses_dynamic_stack: false
    .vgpr_count:     56
    .vgpr_spill_count: 0
    .wavefront_size: 64
  - .agpr_count:     0
    .args:
      - .offset:         0
        .size:           144
        .value_kind:     by_value
    .group_segment_fixed_size: 0
    .kernarg_segment_align: 8
    .kernarg_segment_size: 144
    .language:       OpenCL C
    .language_version:
      - 2
      - 0
    .max_flat_workgroup_size: 192
    .name:           _ZN7rocprim17ROCPRIM_400000_NS6detail17trampoline_kernelINS0_14default_configENS1_25partition_config_selectorILNS1_17partition_subalgoE2ExNS0_10empty_typeEbEEZZNS1_14partition_implILS5_2ELb0ES3_jN6thrust23THRUST_200600_302600_NS6detail15normal_iteratorINSA_7pointerIxNSA_11hip_rocprim3tagENSA_11use_defaultESG_EEEEPS6_NSA_18transform_iteratorI7is_evenIxENSC_INSA_10device_ptrIxEEEESG_SG_EENS0_5tupleIJPxSJ_EEENSR_IJSJ_SJ_EEES6_PlJS6_EEE10hipError_tPvRmT3_T4_T5_T6_T7_T9_mT8_P12ihipStream_tbDpT10_ENKUlT_T0_E_clISt17integral_constantIbLb0EES1E_IbLb1EEEEDaS1A_S1B_EUlS1A_E_NS1_11comp_targetILNS1_3genE4ELNS1_11target_archE910ELNS1_3gpuE8ELNS1_3repE0EEENS1_30default_config_static_selectorELNS0_4arch9wavefront6targetE1EEEvT1_
    .private_segment_fixed_size: 0
    .sgpr_count:     6
    .sgpr_spill_count: 0
    .symbol:         _ZN7rocprim17ROCPRIM_400000_NS6detail17trampoline_kernelINS0_14default_configENS1_25partition_config_selectorILNS1_17partition_subalgoE2ExNS0_10empty_typeEbEEZZNS1_14partition_implILS5_2ELb0ES3_jN6thrust23THRUST_200600_302600_NS6detail15normal_iteratorINSA_7pointerIxNSA_11hip_rocprim3tagENSA_11use_defaultESG_EEEEPS6_NSA_18transform_iteratorI7is_evenIxENSC_INSA_10device_ptrIxEEEESG_SG_EENS0_5tupleIJPxSJ_EEENSR_IJSJ_SJ_EEES6_PlJS6_EEE10hipError_tPvRmT3_T4_T5_T6_T7_T9_mT8_P12ihipStream_tbDpT10_ENKUlT_T0_E_clISt17integral_constantIbLb0EES1E_IbLb1EEEEDaS1A_S1B_EUlS1A_E_NS1_11comp_targetILNS1_3genE4ELNS1_11target_archE910ELNS1_3gpuE8ELNS1_3repE0EEENS1_30default_config_static_selectorELNS0_4arch9wavefront6targetE1EEEvT1_.kd
    .uniform_work_group_size: 1
    .uses_dynamic_stack: false
    .vgpr_count:     0
    .vgpr_spill_count: 0
    .wavefront_size: 64
  - .agpr_count:     0
    .args:
      - .offset:         0
        .size:           144
        .value_kind:     by_value
    .group_segment_fixed_size: 0
    .kernarg_segment_align: 8
    .kernarg_segment_size: 144
    .language:       OpenCL C
    .language_version:
      - 2
      - 0
    .max_flat_workgroup_size: 128
    .name:           _ZN7rocprim17ROCPRIM_400000_NS6detail17trampoline_kernelINS0_14default_configENS1_25partition_config_selectorILNS1_17partition_subalgoE2ExNS0_10empty_typeEbEEZZNS1_14partition_implILS5_2ELb0ES3_jN6thrust23THRUST_200600_302600_NS6detail15normal_iteratorINSA_7pointerIxNSA_11hip_rocprim3tagENSA_11use_defaultESG_EEEEPS6_NSA_18transform_iteratorI7is_evenIxENSC_INSA_10device_ptrIxEEEESG_SG_EENS0_5tupleIJPxSJ_EEENSR_IJSJ_SJ_EEES6_PlJS6_EEE10hipError_tPvRmT3_T4_T5_T6_T7_T9_mT8_P12ihipStream_tbDpT10_ENKUlT_T0_E_clISt17integral_constantIbLb0EES1E_IbLb1EEEEDaS1A_S1B_EUlS1A_E_NS1_11comp_targetILNS1_3genE3ELNS1_11target_archE908ELNS1_3gpuE7ELNS1_3repE0EEENS1_30default_config_static_selectorELNS0_4arch9wavefront6targetE1EEEvT1_
    .private_segment_fixed_size: 0
    .sgpr_count:     6
    .sgpr_spill_count: 0
    .symbol:         _ZN7rocprim17ROCPRIM_400000_NS6detail17trampoline_kernelINS0_14default_configENS1_25partition_config_selectorILNS1_17partition_subalgoE2ExNS0_10empty_typeEbEEZZNS1_14partition_implILS5_2ELb0ES3_jN6thrust23THRUST_200600_302600_NS6detail15normal_iteratorINSA_7pointerIxNSA_11hip_rocprim3tagENSA_11use_defaultESG_EEEEPS6_NSA_18transform_iteratorI7is_evenIxENSC_INSA_10device_ptrIxEEEESG_SG_EENS0_5tupleIJPxSJ_EEENSR_IJSJ_SJ_EEES6_PlJS6_EEE10hipError_tPvRmT3_T4_T5_T6_T7_T9_mT8_P12ihipStream_tbDpT10_ENKUlT_T0_E_clISt17integral_constantIbLb0EES1E_IbLb1EEEEDaS1A_S1B_EUlS1A_E_NS1_11comp_targetILNS1_3genE3ELNS1_11target_archE908ELNS1_3gpuE7ELNS1_3repE0EEENS1_30default_config_static_selectorELNS0_4arch9wavefront6targetE1EEEvT1_.kd
    .uniform_work_group_size: 1
    .uses_dynamic_stack: false
    .vgpr_count:     0
    .vgpr_spill_count: 0
    .wavefront_size: 64
  - .agpr_count:     0
    .args:
      - .offset:         0
        .size:           144
        .value_kind:     by_value
    .group_segment_fixed_size: 0
    .kernarg_segment_align: 8
    .kernarg_segment_size: 144
    .language:       OpenCL C
    .language_version:
      - 2
      - 0
    .max_flat_workgroup_size: 256
    .name:           _ZN7rocprim17ROCPRIM_400000_NS6detail17trampoline_kernelINS0_14default_configENS1_25partition_config_selectorILNS1_17partition_subalgoE2ExNS0_10empty_typeEbEEZZNS1_14partition_implILS5_2ELb0ES3_jN6thrust23THRUST_200600_302600_NS6detail15normal_iteratorINSA_7pointerIxNSA_11hip_rocprim3tagENSA_11use_defaultESG_EEEEPS6_NSA_18transform_iteratorI7is_evenIxENSC_INSA_10device_ptrIxEEEESG_SG_EENS0_5tupleIJPxSJ_EEENSR_IJSJ_SJ_EEES6_PlJS6_EEE10hipError_tPvRmT3_T4_T5_T6_T7_T9_mT8_P12ihipStream_tbDpT10_ENKUlT_T0_E_clISt17integral_constantIbLb0EES1E_IbLb1EEEEDaS1A_S1B_EUlS1A_E_NS1_11comp_targetILNS1_3genE2ELNS1_11target_archE906ELNS1_3gpuE6ELNS1_3repE0EEENS1_30default_config_static_selectorELNS0_4arch9wavefront6targetE1EEEvT1_
    .private_segment_fixed_size: 0
    .sgpr_count:     6
    .sgpr_spill_count: 0
    .symbol:         _ZN7rocprim17ROCPRIM_400000_NS6detail17trampoline_kernelINS0_14default_configENS1_25partition_config_selectorILNS1_17partition_subalgoE2ExNS0_10empty_typeEbEEZZNS1_14partition_implILS5_2ELb0ES3_jN6thrust23THRUST_200600_302600_NS6detail15normal_iteratorINSA_7pointerIxNSA_11hip_rocprim3tagENSA_11use_defaultESG_EEEEPS6_NSA_18transform_iteratorI7is_evenIxENSC_INSA_10device_ptrIxEEEESG_SG_EENS0_5tupleIJPxSJ_EEENSR_IJSJ_SJ_EEES6_PlJS6_EEE10hipError_tPvRmT3_T4_T5_T6_T7_T9_mT8_P12ihipStream_tbDpT10_ENKUlT_T0_E_clISt17integral_constantIbLb0EES1E_IbLb1EEEEDaS1A_S1B_EUlS1A_E_NS1_11comp_targetILNS1_3genE2ELNS1_11target_archE906ELNS1_3gpuE6ELNS1_3repE0EEENS1_30default_config_static_selectorELNS0_4arch9wavefront6targetE1EEEvT1_.kd
    .uniform_work_group_size: 1
    .uses_dynamic_stack: false
    .vgpr_count:     0
    .vgpr_spill_count: 0
    .wavefront_size: 64
  - .agpr_count:     0
    .args:
      - .offset:         0
        .size:           144
        .value_kind:     by_value
    .group_segment_fixed_size: 0
    .kernarg_segment_align: 8
    .kernarg_segment_size: 144
    .language:       OpenCL C
    .language_version:
      - 2
      - 0
    .max_flat_workgroup_size: 256
    .name:           _ZN7rocprim17ROCPRIM_400000_NS6detail17trampoline_kernelINS0_14default_configENS1_25partition_config_selectorILNS1_17partition_subalgoE2ExNS0_10empty_typeEbEEZZNS1_14partition_implILS5_2ELb0ES3_jN6thrust23THRUST_200600_302600_NS6detail15normal_iteratorINSA_7pointerIxNSA_11hip_rocprim3tagENSA_11use_defaultESG_EEEEPS6_NSA_18transform_iteratorI7is_evenIxENSC_INSA_10device_ptrIxEEEESG_SG_EENS0_5tupleIJPxSJ_EEENSR_IJSJ_SJ_EEES6_PlJS6_EEE10hipError_tPvRmT3_T4_T5_T6_T7_T9_mT8_P12ihipStream_tbDpT10_ENKUlT_T0_E_clISt17integral_constantIbLb0EES1E_IbLb1EEEEDaS1A_S1B_EUlS1A_E_NS1_11comp_targetILNS1_3genE10ELNS1_11target_archE1200ELNS1_3gpuE4ELNS1_3repE0EEENS1_30default_config_static_selectorELNS0_4arch9wavefront6targetE1EEEvT1_
    .private_segment_fixed_size: 0
    .sgpr_count:     6
    .sgpr_spill_count: 0
    .symbol:         _ZN7rocprim17ROCPRIM_400000_NS6detail17trampoline_kernelINS0_14default_configENS1_25partition_config_selectorILNS1_17partition_subalgoE2ExNS0_10empty_typeEbEEZZNS1_14partition_implILS5_2ELb0ES3_jN6thrust23THRUST_200600_302600_NS6detail15normal_iteratorINSA_7pointerIxNSA_11hip_rocprim3tagENSA_11use_defaultESG_EEEEPS6_NSA_18transform_iteratorI7is_evenIxENSC_INSA_10device_ptrIxEEEESG_SG_EENS0_5tupleIJPxSJ_EEENSR_IJSJ_SJ_EEES6_PlJS6_EEE10hipError_tPvRmT3_T4_T5_T6_T7_T9_mT8_P12ihipStream_tbDpT10_ENKUlT_T0_E_clISt17integral_constantIbLb0EES1E_IbLb1EEEEDaS1A_S1B_EUlS1A_E_NS1_11comp_targetILNS1_3genE10ELNS1_11target_archE1200ELNS1_3gpuE4ELNS1_3repE0EEENS1_30default_config_static_selectorELNS0_4arch9wavefront6targetE1EEEvT1_.kd
    .uniform_work_group_size: 1
    .uses_dynamic_stack: false
    .vgpr_count:     0
    .vgpr_spill_count: 0
    .wavefront_size: 64
  - .agpr_count:     0
    .args:
      - .offset:         0
        .size:           144
        .value_kind:     by_value
    .group_segment_fixed_size: 0
    .kernarg_segment_align: 8
    .kernarg_segment_size: 144
    .language:       OpenCL C
    .language_version:
      - 2
      - 0
    .max_flat_workgroup_size: 512
    .name:           _ZN7rocprim17ROCPRIM_400000_NS6detail17trampoline_kernelINS0_14default_configENS1_25partition_config_selectorILNS1_17partition_subalgoE2ExNS0_10empty_typeEbEEZZNS1_14partition_implILS5_2ELb0ES3_jN6thrust23THRUST_200600_302600_NS6detail15normal_iteratorINSA_7pointerIxNSA_11hip_rocprim3tagENSA_11use_defaultESG_EEEEPS6_NSA_18transform_iteratorI7is_evenIxENSC_INSA_10device_ptrIxEEEESG_SG_EENS0_5tupleIJPxSJ_EEENSR_IJSJ_SJ_EEES6_PlJS6_EEE10hipError_tPvRmT3_T4_T5_T6_T7_T9_mT8_P12ihipStream_tbDpT10_ENKUlT_T0_E_clISt17integral_constantIbLb0EES1E_IbLb1EEEEDaS1A_S1B_EUlS1A_E_NS1_11comp_targetILNS1_3genE9ELNS1_11target_archE1100ELNS1_3gpuE3ELNS1_3repE0EEENS1_30default_config_static_selectorELNS0_4arch9wavefront6targetE1EEEvT1_
    .private_segment_fixed_size: 0
    .sgpr_count:     6
    .sgpr_spill_count: 0
    .symbol:         _ZN7rocprim17ROCPRIM_400000_NS6detail17trampoline_kernelINS0_14default_configENS1_25partition_config_selectorILNS1_17partition_subalgoE2ExNS0_10empty_typeEbEEZZNS1_14partition_implILS5_2ELb0ES3_jN6thrust23THRUST_200600_302600_NS6detail15normal_iteratorINSA_7pointerIxNSA_11hip_rocprim3tagENSA_11use_defaultESG_EEEEPS6_NSA_18transform_iteratorI7is_evenIxENSC_INSA_10device_ptrIxEEEESG_SG_EENS0_5tupleIJPxSJ_EEENSR_IJSJ_SJ_EEES6_PlJS6_EEE10hipError_tPvRmT3_T4_T5_T6_T7_T9_mT8_P12ihipStream_tbDpT10_ENKUlT_T0_E_clISt17integral_constantIbLb0EES1E_IbLb1EEEEDaS1A_S1B_EUlS1A_E_NS1_11comp_targetILNS1_3genE9ELNS1_11target_archE1100ELNS1_3gpuE3ELNS1_3repE0EEENS1_30default_config_static_selectorELNS0_4arch9wavefront6targetE1EEEvT1_.kd
    .uniform_work_group_size: 1
    .uses_dynamic_stack: false
    .vgpr_count:     0
    .vgpr_spill_count: 0
    .wavefront_size: 64
  - .agpr_count:     0
    .args:
      - .offset:         0
        .size:           144
        .value_kind:     by_value
    .group_segment_fixed_size: 0
    .kernarg_segment_align: 8
    .kernarg_segment_size: 144
    .language:       OpenCL C
    .language_version:
      - 2
      - 0
    .max_flat_workgroup_size: 512
    .name:           _ZN7rocprim17ROCPRIM_400000_NS6detail17trampoline_kernelINS0_14default_configENS1_25partition_config_selectorILNS1_17partition_subalgoE2ExNS0_10empty_typeEbEEZZNS1_14partition_implILS5_2ELb0ES3_jN6thrust23THRUST_200600_302600_NS6detail15normal_iteratorINSA_7pointerIxNSA_11hip_rocprim3tagENSA_11use_defaultESG_EEEEPS6_NSA_18transform_iteratorI7is_evenIxENSC_INSA_10device_ptrIxEEEESG_SG_EENS0_5tupleIJPxSJ_EEENSR_IJSJ_SJ_EEES6_PlJS6_EEE10hipError_tPvRmT3_T4_T5_T6_T7_T9_mT8_P12ihipStream_tbDpT10_ENKUlT_T0_E_clISt17integral_constantIbLb0EES1E_IbLb1EEEEDaS1A_S1B_EUlS1A_E_NS1_11comp_targetILNS1_3genE8ELNS1_11target_archE1030ELNS1_3gpuE2ELNS1_3repE0EEENS1_30default_config_static_selectorELNS0_4arch9wavefront6targetE1EEEvT1_
    .private_segment_fixed_size: 0
    .sgpr_count:     6
    .sgpr_spill_count: 0
    .symbol:         _ZN7rocprim17ROCPRIM_400000_NS6detail17trampoline_kernelINS0_14default_configENS1_25partition_config_selectorILNS1_17partition_subalgoE2ExNS0_10empty_typeEbEEZZNS1_14partition_implILS5_2ELb0ES3_jN6thrust23THRUST_200600_302600_NS6detail15normal_iteratorINSA_7pointerIxNSA_11hip_rocprim3tagENSA_11use_defaultESG_EEEEPS6_NSA_18transform_iteratorI7is_evenIxENSC_INSA_10device_ptrIxEEEESG_SG_EENS0_5tupleIJPxSJ_EEENSR_IJSJ_SJ_EEES6_PlJS6_EEE10hipError_tPvRmT3_T4_T5_T6_T7_T9_mT8_P12ihipStream_tbDpT10_ENKUlT_T0_E_clISt17integral_constantIbLb0EES1E_IbLb1EEEEDaS1A_S1B_EUlS1A_E_NS1_11comp_targetILNS1_3genE8ELNS1_11target_archE1030ELNS1_3gpuE2ELNS1_3repE0EEENS1_30default_config_static_selectorELNS0_4arch9wavefront6targetE1EEEvT1_.kd
    .uniform_work_group_size: 1
    .uses_dynamic_stack: false
    .vgpr_count:     0
    .vgpr_spill_count: 0
    .wavefront_size: 64
  - .agpr_count:     0
    .args:
      - .offset:         0
        .size:           16
        .value_kind:     by_value
      - .offset:         16
        .size:           8
        .value_kind:     by_value
      - .offset:         24
        .size:           8
        .value_kind:     by_value
    .group_segment_fixed_size: 0
    .kernarg_segment_align: 8
    .kernarg_segment_size: 32
    .language:       OpenCL C
    .language_version:
      - 2
      - 0
    .max_flat_workgroup_size: 256
    .name:           _ZN6thrust23THRUST_200600_302600_NS11hip_rocprim14__parallel_for6kernelILj256ENS1_13__swap_ranges6swap_fINS0_6detail15normal_iteratorINS0_10device_ptrIxEEEENS0_16reverse_iteratorISA_EEEElLj1EEEvT0_T1_SF_
    .private_segment_fixed_size: 0
    .sgpr_count:     18
    .sgpr_spill_count: 0
    .symbol:         _ZN6thrust23THRUST_200600_302600_NS11hip_rocprim14__parallel_for6kernelILj256ENS1_13__swap_ranges6swap_fINS0_6detail15normal_iteratorINS0_10device_ptrIxEEEENS0_16reverse_iteratorISA_EEEElLj1EEEvT0_T1_SF_.kd
    .uniform_work_group_size: 1
    .uses_dynamic_stack: false
    .vgpr_count:     10
    .vgpr_spill_count: 0
    .wavefront_size: 64
  - .agpr_count:     0
    .args:
      - .offset:         0
        .size:           128
        .value_kind:     by_value
    .group_segment_fixed_size: 0
    .kernarg_segment_align: 8
    .kernarg_segment_size: 128
    .language:       OpenCL C
    .language_version:
      - 2
      - 0
    .max_flat_workgroup_size: 128
    .name:           _ZN7rocprim17ROCPRIM_400000_NS6detail17trampoline_kernelINS0_14default_configENS1_25partition_config_selectorILNS1_17partition_subalgoE2EiNS0_10empty_typeEbEEZZNS1_14partition_implILS5_2ELb0ES3_jN6thrust23THRUST_200600_302600_NS6detail15normal_iteratorINSA_7pointerIiNSA_11hip_rocprim3tagENSA_11use_defaultESG_EEEEPS6_NSA_18transform_iteratorI7is_evenIiENSC_INSA_10device_ptrIiEEEESG_SG_EENS0_5tupleIJPiSJ_EEENSR_IJSJ_SJ_EEES6_PlJS6_EEE10hipError_tPvRmT3_T4_T5_T6_T7_T9_mT8_P12ihipStream_tbDpT10_ENKUlT_T0_E_clISt17integral_constantIbLb0EES1F_EEDaS1A_S1B_EUlS1A_E_NS1_11comp_targetILNS1_3genE0ELNS1_11target_archE4294967295ELNS1_3gpuE0ELNS1_3repE0EEENS1_30default_config_static_selectorELNS0_4arch9wavefront6targetE1EEEvT1_
    .private_segment_fixed_size: 0
    .sgpr_count:     6
    .sgpr_spill_count: 0
    .symbol:         _ZN7rocprim17ROCPRIM_400000_NS6detail17trampoline_kernelINS0_14default_configENS1_25partition_config_selectorILNS1_17partition_subalgoE2EiNS0_10empty_typeEbEEZZNS1_14partition_implILS5_2ELb0ES3_jN6thrust23THRUST_200600_302600_NS6detail15normal_iteratorINSA_7pointerIiNSA_11hip_rocprim3tagENSA_11use_defaultESG_EEEEPS6_NSA_18transform_iteratorI7is_evenIiENSC_INSA_10device_ptrIiEEEESG_SG_EENS0_5tupleIJPiSJ_EEENSR_IJSJ_SJ_EEES6_PlJS6_EEE10hipError_tPvRmT3_T4_T5_T6_T7_T9_mT8_P12ihipStream_tbDpT10_ENKUlT_T0_E_clISt17integral_constantIbLb0EES1F_EEDaS1A_S1B_EUlS1A_E_NS1_11comp_targetILNS1_3genE0ELNS1_11target_archE4294967295ELNS1_3gpuE0ELNS1_3repE0EEENS1_30default_config_static_selectorELNS0_4arch9wavefront6targetE1EEEvT1_.kd
    .uniform_work_group_size: 1
    .uses_dynamic_stack: false
    .vgpr_count:     0
    .vgpr_spill_count: 0
    .wavefront_size: 64
  - .agpr_count:     0
    .args:
      - .offset:         0
        .size:           128
        .value_kind:     by_value
    .group_segment_fixed_size: 30728
    .kernarg_segment_align: 8
    .kernarg_segment_size: 128
    .language:       OpenCL C
    .language_version:
      - 2
      - 0
    .max_flat_workgroup_size: 512
    .name:           _ZN7rocprim17ROCPRIM_400000_NS6detail17trampoline_kernelINS0_14default_configENS1_25partition_config_selectorILNS1_17partition_subalgoE2EiNS0_10empty_typeEbEEZZNS1_14partition_implILS5_2ELb0ES3_jN6thrust23THRUST_200600_302600_NS6detail15normal_iteratorINSA_7pointerIiNSA_11hip_rocprim3tagENSA_11use_defaultESG_EEEEPS6_NSA_18transform_iteratorI7is_evenIiENSC_INSA_10device_ptrIiEEEESG_SG_EENS0_5tupleIJPiSJ_EEENSR_IJSJ_SJ_EEES6_PlJS6_EEE10hipError_tPvRmT3_T4_T5_T6_T7_T9_mT8_P12ihipStream_tbDpT10_ENKUlT_T0_E_clISt17integral_constantIbLb0EES1F_EEDaS1A_S1B_EUlS1A_E_NS1_11comp_targetILNS1_3genE5ELNS1_11target_archE942ELNS1_3gpuE9ELNS1_3repE0EEENS1_30default_config_static_selectorELNS0_4arch9wavefront6targetE1EEEvT1_
    .private_segment_fixed_size: 0
    .sgpr_count:     52
    .sgpr_spill_count: 0
    .symbol:         _ZN7rocprim17ROCPRIM_400000_NS6detail17trampoline_kernelINS0_14default_configENS1_25partition_config_selectorILNS1_17partition_subalgoE2EiNS0_10empty_typeEbEEZZNS1_14partition_implILS5_2ELb0ES3_jN6thrust23THRUST_200600_302600_NS6detail15normal_iteratorINSA_7pointerIiNSA_11hip_rocprim3tagENSA_11use_defaultESG_EEEEPS6_NSA_18transform_iteratorI7is_evenIiENSC_INSA_10device_ptrIiEEEESG_SG_EENS0_5tupleIJPiSJ_EEENSR_IJSJ_SJ_EEES6_PlJS6_EEE10hipError_tPvRmT3_T4_T5_T6_T7_T9_mT8_P12ihipStream_tbDpT10_ENKUlT_T0_E_clISt17integral_constantIbLb0EES1F_EEDaS1A_S1B_EUlS1A_E_NS1_11comp_targetILNS1_3genE5ELNS1_11target_archE942ELNS1_3gpuE9ELNS1_3repE0EEENS1_30default_config_static_selectorELNS0_4arch9wavefront6targetE1EEEvT1_.kd
    .uniform_work_group_size: 1
    .uses_dynamic_stack: false
    .vgpr_count:     65
    .vgpr_spill_count: 0
    .wavefront_size: 64
  - .agpr_count:     0
    .args:
      - .offset:         0
        .size:           128
        .value_kind:     by_value
    .group_segment_fixed_size: 0
    .kernarg_segment_align: 8
    .kernarg_segment_size: 128
    .language:       OpenCL C
    .language_version:
      - 2
      - 0
    .max_flat_workgroup_size: 256
    .name:           _ZN7rocprim17ROCPRIM_400000_NS6detail17trampoline_kernelINS0_14default_configENS1_25partition_config_selectorILNS1_17partition_subalgoE2EiNS0_10empty_typeEbEEZZNS1_14partition_implILS5_2ELb0ES3_jN6thrust23THRUST_200600_302600_NS6detail15normal_iteratorINSA_7pointerIiNSA_11hip_rocprim3tagENSA_11use_defaultESG_EEEEPS6_NSA_18transform_iteratorI7is_evenIiENSC_INSA_10device_ptrIiEEEESG_SG_EENS0_5tupleIJPiSJ_EEENSR_IJSJ_SJ_EEES6_PlJS6_EEE10hipError_tPvRmT3_T4_T5_T6_T7_T9_mT8_P12ihipStream_tbDpT10_ENKUlT_T0_E_clISt17integral_constantIbLb0EES1F_EEDaS1A_S1B_EUlS1A_E_NS1_11comp_targetILNS1_3genE4ELNS1_11target_archE910ELNS1_3gpuE8ELNS1_3repE0EEENS1_30default_config_static_selectorELNS0_4arch9wavefront6targetE1EEEvT1_
    .private_segment_fixed_size: 0
    .sgpr_count:     6
    .sgpr_spill_count: 0
    .symbol:         _ZN7rocprim17ROCPRIM_400000_NS6detail17trampoline_kernelINS0_14default_configENS1_25partition_config_selectorILNS1_17partition_subalgoE2EiNS0_10empty_typeEbEEZZNS1_14partition_implILS5_2ELb0ES3_jN6thrust23THRUST_200600_302600_NS6detail15normal_iteratorINSA_7pointerIiNSA_11hip_rocprim3tagENSA_11use_defaultESG_EEEEPS6_NSA_18transform_iteratorI7is_evenIiENSC_INSA_10device_ptrIiEEEESG_SG_EENS0_5tupleIJPiSJ_EEENSR_IJSJ_SJ_EEES6_PlJS6_EEE10hipError_tPvRmT3_T4_T5_T6_T7_T9_mT8_P12ihipStream_tbDpT10_ENKUlT_T0_E_clISt17integral_constantIbLb0EES1F_EEDaS1A_S1B_EUlS1A_E_NS1_11comp_targetILNS1_3genE4ELNS1_11target_archE910ELNS1_3gpuE8ELNS1_3repE0EEENS1_30default_config_static_selectorELNS0_4arch9wavefront6targetE1EEEvT1_.kd
    .uniform_work_group_size: 1
    .uses_dynamic_stack: false
    .vgpr_count:     0
    .vgpr_spill_count: 0
    .wavefront_size: 64
  - .agpr_count:     0
    .args:
      - .offset:         0
        .size:           128
        .value_kind:     by_value
    .group_segment_fixed_size: 0
    .kernarg_segment_align: 8
    .kernarg_segment_size: 128
    .language:       OpenCL C
    .language_version:
      - 2
      - 0
    .max_flat_workgroup_size: 128
    .name:           _ZN7rocprim17ROCPRIM_400000_NS6detail17trampoline_kernelINS0_14default_configENS1_25partition_config_selectorILNS1_17partition_subalgoE2EiNS0_10empty_typeEbEEZZNS1_14partition_implILS5_2ELb0ES3_jN6thrust23THRUST_200600_302600_NS6detail15normal_iteratorINSA_7pointerIiNSA_11hip_rocprim3tagENSA_11use_defaultESG_EEEEPS6_NSA_18transform_iteratorI7is_evenIiENSC_INSA_10device_ptrIiEEEESG_SG_EENS0_5tupleIJPiSJ_EEENSR_IJSJ_SJ_EEES6_PlJS6_EEE10hipError_tPvRmT3_T4_T5_T6_T7_T9_mT8_P12ihipStream_tbDpT10_ENKUlT_T0_E_clISt17integral_constantIbLb0EES1F_EEDaS1A_S1B_EUlS1A_E_NS1_11comp_targetILNS1_3genE3ELNS1_11target_archE908ELNS1_3gpuE7ELNS1_3repE0EEENS1_30default_config_static_selectorELNS0_4arch9wavefront6targetE1EEEvT1_
    .private_segment_fixed_size: 0
    .sgpr_count:     6
    .sgpr_spill_count: 0
    .symbol:         _ZN7rocprim17ROCPRIM_400000_NS6detail17trampoline_kernelINS0_14default_configENS1_25partition_config_selectorILNS1_17partition_subalgoE2EiNS0_10empty_typeEbEEZZNS1_14partition_implILS5_2ELb0ES3_jN6thrust23THRUST_200600_302600_NS6detail15normal_iteratorINSA_7pointerIiNSA_11hip_rocprim3tagENSA_11use_defaultESG_EEEEPS6_NSA_18transform_iteratorI7is_evenIiENSC_INSA_10device_ptrIiEEEESG_SG_EENS0_5tupleIJPiSJ_EEENSR_IJSJ_SJ_EEES6_PlJS6_EEE10hipError_tPvRmT3_T4_T5_T6_T7_T9_mT8_P12ihipStream_tbDpT10_ENKUlT_T0_E_clISt17integral_constantIbLb0EES1F_EEDaS1A_S1B_EUlS1A_E_NS1_11comp_targetILNS1_3genE3ELNS1_11target_archE908ELNS1_3gpuE7ELNS1_3repE0EEENS1_30default_config_static_selectorELNS0_4arch9wavefront6targetE1EEEvT1_.kd
    .uniform_work_group_size: 1
    .uses_dynamic_stack: false
    .vgpr_count:     0
    .vgpr_spill_count: 0
    .wavefront_size: 64
  - .agpr_count:     0
    .args:
      - .offset:         0
        .size:           128
        .value_kind:     by_value
    .group_segment_fixed_size: 0
    .kernarg_segment_align: 8
    .kernarg_segment_size: 128
    .language:       OpenCL C
    .language_version:
      - 2
      - 0
    .max_flat_workgroup_size: 256
    .name:           _ZN7rocprim17ROCPRIM_400000_NS6detail17trampoline_kernelINS0_14default_configENS1_25partition_config_selectorILNS1_17partition_subalgoE2EiNS0_10empty_typeEbEEZZNS1_14partition_implILS5_2ELb0ES3_jN6thrust23THRUST_200600_302600_NS6detail15normal_iteratorINSA_7pointerIiNSA_11hip_rocprim3tagENSA_11use_defaultESG_EEEEPS6_NSA_18transform_iteratorI7is_evenIiENSC_INSA_10device_ptrIiEEEESG_SG_EENS0_5tupleIJPiSJ_EEENSR_IJSJ_SJ_EEES6_PlJS6_EEE10hipError_tPvRmT3_T4_T5_T6_T7_T9_mT8_P12ihipStream_tbDpT10_ENKUlT_T0_E_clISt17integral_constantIbLb0EES1F_EEDaS1A_S1B_EUlS1A_E_NS1_11comp_targetILNS1_3genE2ELNS1_11target_archE906ELNS1_3gpuE6ELNS1_3repE0EEENS1_30default_config_static_selectorELNS0_4arch9wavefront6targetE1EEEvT1_
    .private_segment_fixed_size: 0
    .sgpr_count:     6
    .sgpr_spill_count: 0
    .symbol:         _ZN7rocprim17ROCPRIM_400000_NS6detail17trampoline_kernelINS0_14default_configENS1_25partition_config_selectorILNS1_17partition_subalgoE2EiNS0_10empty_typeEbEEZZNS1_14partition_implILS5_2ELb0ES3_jN6thrust23THRUST_200600_302600_NS6detail15normal_iteratorINSA_7pointerIiNSA_11hip_rocprim3tagENSA_11use_defaultESG_EEEEPS6_NSA_18transform_iteratorI7is_evenIiENSC_INSA_10device_ptrIiEEEESG_SG_EENS0_5tupleIJPiSJ_EEENSR_IJSJ_SJ_EEES6_PlJS6_EEE10hipError_tPvRmT3_T4_T5_T6_T7_T9_mT8_P12ihipStream_tbDpT10_ENKUlT_T0_E_clISt17integral_constantIbLb0EES1F_EEDaS1A_S1B_EUlS1A_E_NS1_11comp_targetILNS1_3genE2ELNS1_11target_archE906ELNS1_3gpuE6ELNS1_3repE0EEENS1_30default_config_static_selectorELNS0_4arch9wavefront6targetE1EEEvT1_.kd
    .uniform_work_group_size: 1
    .uses_dynamic_stack: false
    .vgpr_count:     0
    .vgpr_spill_count: 0
    .wavefront_size: 64
  - .agpr_count:     0
    .args:
      - .offset:         0
        .size:           128
        .value_kind:     by_value
    .group_segment_fixed_size: 0
    .kernarg_segment_align: 8
    .kernarg_segment_size: 128
    .language:       OpenCL C
    .language_version:
      - 2
      - 0
    .max_flat_workgroup_size: 384
    .name:           _ZN7rocprim17ROCPRIM_400000_NS6detail17trampoline_kernelINS0_14default_configENS1_25partition_config_selectorILNS1_17partition_subalgoE2EiNS0_10empty_typeEbEEZZNS1_14partition_implILS5_2ELb0ES3_jN6thrust23THRUST_200600_302600_NS6detail15normal_iteratorINSA_7pointerIiNSA_11hip_rocprim3tagENSA_11use_defaultESG_EEEEPS6_NSA_18transform_iteratorI7is_evenIiENSC_INSA_10device_ptrIiEEEESG_SG_EENS0_5tupleIJPiSJ_EEENSR_IJSJ_SJ_EEES6_PlJS6_EEE10hipError_tPvRmT3_T4_T5_T6_T7_T9_mT8_P12ihipStream_tbDpT10_ENKUlT_T0_E_clISt17integral_constantIbLb0EES1F_EEDaS1A_S1B_EUlS1A_E_NS1_11comp_targetILNS1_3genE10ELNS1_11target_archE1200ELNS1_3gpuE4ELNS1_3repE0EEENS1_30default_config_static_selectorELNS0_4arch9wavefront6targetE1EEEvT1_
    .private_segment_fixed_size: 0
    .sgpr_count:     6
    .sgpr_spill_count: 0
    .symbol:         _ZN7rocprim17ROCPRIM_400000_NS6detail17trampoline_kernelINS0_14default_configENS1_25partition_config_selectorILNS1_17partition_subalgoE2EiNS0_10empty_typeEbEEZZNS1_14partition_implILS5_2ELb0ES3_jN6thrust23THRUST_200600_302600_NS6detail15normal_iteratorINSA_7pointerIiNSA_11hip_rocprim3tagENSA_11use_defaultESG_EEEEPS6_NSA_18transform_iteratorI7is_evenIiENSC_INSA_10device_ptrIiEEEESG_SG_EENS0_5tupleIJPiSJ_EEENSR_IJSJ_SJ_EEES6_PlJS6_EEE10hipError_tPvRmT3_T4_T5_T6_T7_T9_mT8_P12ihipStream_tbDpT10_ENKUlT_T0_E_clISt17integral_constantIbLb0EES1F_EEDaS1A_S1B_EUlS1A_E_NS1_11comp_targetILNS1_3genE10ELNS1_11target_archE1200ELNS1_3gpuE4ELNS1_3repE0EEENS1_30default_config_static_selectorELNS0_4arch9wavefront6targetE1EEEvT1_.kd
    .uniform_work_group_size: 1
    .uses_dynamic_stack: false
    .vgpr_count:     0
    .vgpr_spill_count: 0
    .wavefront_size: 64
  - .agpr_count:     0
    .args:
      - .offset:         0
        .size:           128
        .value_kind:     by_value
    .group_segment_fixed_size: 0
    .kernarg_segment_align: 8
    .kernarg_segment_size: 128
    .language:       OpenCL C
    .language_version:
      - 2
      - 0
    .max_flat_workgroup_size: 128
    .name:           _ZN7rocprim17ROCPRIM_400000_NS6detail17trampoline_kernelINS0_14default_configENS1_25partition_config_selectorILNS1_17partition_subalgoE2EiNS0_10empty_typeEbEEZZNS1_14partition_implILS5_2ELb0ES3_jN6thrust23THRUST_200600_302600_NS6detail15normal_iteratorINSA_7pointerIiNSA_11hip_rocprim3tagENSA_11use_defaultESG_EEEEPS6_NSA_18transform_iteratorI7is_evenIiENSC_INSA_10device_ptrIiEEEESG_SG_EENS0_5tupleIJPiSJ_EEENSR_IJSJ_SJ_EEES6_PlJS6_EEE10hipError_tPvRmT3_T4_T5_T6_T7_T9_mT8_P12ihipStream_tbDpT10_ENKUlT_T0_E_clISt17integral_constantIbLb0EES1F_EEDaS1A_S1B_EUlS1A_E_NS1_11comp_targetILNS1_3genE9ELNS1_11target_archE1100ELNS1_3gpuE3ELNS1_3repE0EEENS1_30default_config_static_selectorELNS0_4arch9wavefront6targetE1EEEvT1_
    .private_segment_fixed_size: 0
    .sgpr_count:     6
    .sgpr_spill_count: 0
    .symbol:         _ZN7rocprim17ROCPRIM_400000_NS6detail17trampoline_kernelINS0_14default_configENS1_25partition_config_selectorILNS1_17partition_subalgoE2EiNS0_10empty_typeEbEEZZNS1_14partition_implILS5_2ELb0ES3_jN6thrust23THRUST_200600_302600_NS6detail15normal_iteratorINSA_7pointerIiNSA_11hip_rocprim3tagENSA_11use_defaultESG_EEEEPS6_NSA_18transform_iteratorI7is_evenIiENSC_INSA_10device_ptrIiEEEESG_SG_EENS0_5tupleIJPiSJ_EEENSR_IJSJ_SJ_EEES6_PlJS6_EEE10hipError_tPvRmT3_T4_T5_T6_T7_T9_mT8_P12ihipStream_tbDpT10_ENKUlT_T0_E_clISt17integral_constantIbLb0EES1F_EEDaS1A_S1B_EUlS1A_E_NS1_11comp_targetILNS1_3genE9ELNS1_11target_archE1100ELNS1_3gpuE3ELNS1_3repE0EEENS1_30default_config_static_selectorELNS0_4arch9wavefront6targetE1EEEvT1_.kd
    .uniform_work_group_size: 1
    .uses_dynamic_stack: false
    .vgpr_count:     0
    .vgpr_spill_count: 0
    .wavefront_size: 64
  - .agpr_count:     0
    .args:
      - .offset:         0
        .size:           128
        .value_kind:     by_value
    .group_segment_fixed_size: 0
    .kernarg_segment_align: 8
    .kernarg_segment_size: 128
    .language:       OpenCL C
    .language_version:
      - 2
      - 0
    .max_flat_workgroup_size: 512
    .name:           _ZN7rocprim17ROCPRIM_400000_NS6detail17trampoline_kernelINS0_14default_configENS1_25partition_config_selectorILNS1_17partition_subalgoE2EiNS0_10empty_typeEbEEZZNS1_14partition_implILS5_2ELb0ES3_jN6thrust23THRUST_200600_302600_NS6detail15normal_iteratorINSA_7pointerIiNSA_11hip_rocprim3tagENSA_11use_defaultESG_EEEEPS6_NSA_18transform_iteratorI7is_evenIiENSC_INSA_10device_ptrIiEEEESG_SG_EENS0_5tupleIJPiSJ_EEENSR_IJSJ_SJ_EEES6_PlJS6_EEE10hipError_tPvRmT3_T4_T5_T6_T7_T9_mT8_P12ihipStream_tbDpT10_ENKUlT_T0_E_clISt17integral_constantIbLb0EES1F_EEDaS1A_S1B_EUlS1A_E_NS1_11comp_targetILNS1_3genE8ELNS1_11target_archE1030ELNS1_3gpuE2ELNS1_3repE0EEENS1_30default_config_static_selectorELNS0_4arch9wavefront6targetE1EEEvT1_
    .private_segment_fixed_size: 0
    .sgpr_count:     6
    .sgpr_spill_count: 0
    .symbol:         _ZN7rocprim17ROCPRIM_400000_NS6detail17trampoline_kernelINS0_14default_configENS1_25partition_config_selectorILNS1_17partition_subalgoE2EiNS0_10empty_typeEbEEZZNS1_14partition_implILS5_2ELb0ES3_jN6thrust23THRUST_200600_302600_NS6detail15normal_iteratorINSA_7pointerIiNSA_11hip_rocprim3tagENSA_11use_defaultESG_EEEEPS6_NSA_18transform_iteratorI7is_evenIiENSC_INSA_10device_ptrIiEEEESG_SG_EENS0_5tupleIJPiSJ_EEENSR_IJSJ_SJ_EEES6_PlJS6_EEE10hipError_tPvRmT3_T4_T5_T6_T7_T9_mT8_P12ihipStream_tbDpT10_ENKUlT_T0_E_clISt17integral_constantIbLb0EES1F_EEDaS1A_S1B_EUlS1A_E_NS1_11comp_targetILNS1_3genE8ELNS1_11target_archE1030ELNS1_3gpuE2ELNS1_3repE0EEENS1_30default_config_static_selectorELNS0_4arch9wavefront6targetE1EEEvT1_.kd
    .uniform_work_group_size: 1
    .uses_dynamic_stack: false
    .vgpr_count:     0
    .vgpr_spill_count: 0
    .wavefront_size: 64
  - .agpr_count:     0
    .args:
      - .offset:         0
        .size:           144
        .value_kind:     by_value
    .group_segment_fixed_size: 0
    .kernarg_segment_align: 8
    .kernarg_segment_size: 144
    .language:       OpenCL C
    .language_version:
      - 2
      - 0
    .max_flat_workgroup_size: 128
    .name:           _ZN7rocprim17ROCPRIM_400000_NS6detail17trampoline_kernelINS0_14default_configENS1_25partition_config_selectorILNS1_17partition_subalgoE2EiNS0_10empty_typeEbEEZZNS1_14partition_implILS5_2ELb0ES3_jN6thrust23THRUST_200600_302600_NS6detail15normal_iteratorINSA_7pointerIiNSA_11hip_rocprim3tagENSA_11use_defaultESG_EEEEPS6_NSA_18transform_iteratorI7is_evenIiENSC_INSA_10device_ptrIiEEEESG_SG_EENS0_5tupleIJPiSJ_EEENSR_IJSJ_SJ_EEES6_PlJS6_EEE10hipError_tPvRmT3_T4_T5_T6_T7_T9_mT8_P12ihipStream_tbDpT10_ENKUlT_T0_E_clISt17integral_constantIbLb1EES1F_EEDaS1A_S1B_EUlS1A_E_NS1_11comp_targetILNS1_3genE0ELNS1_11target_archE4294967295ELNS1_3gpuE0ELNS1_3repE0EEENS1_30default_config_static_selectorELNS0_4arch9wavefront6targetE1EEEvT1_
    .private_segment_fixed_size: 0
    .sgpr_count:     6
    .sgpr_spill_count: 0
    .symbol:         _ZN7rocprim17ROCPRIM_400000_NS6detail17trampoline_kernelINS0_14default_configENS1_25partition_config_selectorILNS1_17partition_subalgoE2EiNS0_10empty_typeEbEEZZNS1_14partition_implILS5_2ELb0ES3_jN6thrust23THRUST_200600_302600_NS6detail15normal_iteratorINSA_7pointerIiNSA_11hip_rocprim3tagENSA_11use_defaultESG_EEEEPS6_NSA_18transform_iteratorI7is_evenIiENSC_INSA_10device_ptrIiEEEESG_SG_EENS0_5tupleIJPiSJ_EEENSR_IJSJ_SJ_EEES6_PlJS6_EEE10hipError_tPvRmT3_T4_T5_T6_T7_T9_mT8_P12ihipStream_tbDpT10_ENKUlT_T0_E_clISt17integral_constantIbLb1EES1F_EEDaS1A_S1B_EUlS1A_E_NS1_11comp_targetILNS1_3genE0ELNS1_11target_archE4294967295ELNS1_3gpuE0ELNS1_3repE0EEENS1_30default_config_static_selectorELNS0_4arch9wavefront6targetE1EEEvT1_.kd
    .uniform_work_group_size: 1
    .uses_dynamic_stack: false
    .vgpr_count:     0
    .vgpr_spill_count: 0
    .wavefront_size: 64
  - .agpr_count:     0
    .args:
      - .offset:         0
        .size:           144
        .value_kind:     by_value
    .group_segment_fixed_size: 30728
    .kernarg_segment_align: 8
    .kernarg_segment_size: 144
    .language:       OpenCL C
    .language_version:
      - 2
      - 0
    .max_flat_workgroup_size: 512
    .name:           _ZN7rocprim17ROCPRIM_400000_NS6detail17trampoline_kernelINS0_14default_configENS1_25partition_config_selectorILNS1_17partition_subalgoE2EiNS0_10empty_typeEbEEZZNS1_14partition_implILS5_2ELb0ES3_jN6thrust23THRUST_200600_302600_NS6detail15normal_iteratorINSA_7pointerIiNSA_11hip_rocprim3tagENSA_11use_defaultESG_EEEEPS6_NSA_18transform_iteratorI7is_evenIiENSC_INSA_10device_ptrIiEEEESG_SG_EENS0_5tupleIJPiSJ_EEENSR_IJSJ_SJ_EEES6_PlJS6_EEE10hipError_tPvRmT3_T4_T5_T6_T7_T9_mT8_P12ihipStream_tbDpT10_ENKUlT_T0_E_clISt17integral_constantIbLb1EES1F_EEDaS1A_S1B_EUlS1A_E_NS1_11comp_targetILNS1_3genE5ELNS1_11target_archE942ELNS1_3gpuE9ELNS1_3repE0EEENS1_30default_config_static_selectorELNS0_4arch9wavefront6targetE1EEEvT1_
    .private_segment_fixed_size: 0
    .sgpr_count:     52
    .sgpr_spill_count: 0
    .symbol:         _ZN7rocprim17ROCPRIM_400000_NS6detail17trampoline_kernelINS0_14default_configENS1_25partition_config_selectorILNS1_17partition_subalgoE2EiNS0_10empty_typeEbEEZZNS1_14partition_implILS5_2ELb0ES3_jN6thrust23THRUST_200600_302600_NS6detail15normal_iteratorINSA_7pointerIiNSA_11hip_rocprim3tagENSA_11use_defaultESG_EEEEPS6_NSA_18transform_iteratorI7is_evenIiENSC_INSA_10device_ptrIiEEEESG_SG_EENS0_5tupleIJPiSJ_EEENSR_IJSJ_SJ_EEES6_PlJS6_EEE10hipError_tPvRmT3_T4_T5_T6_T7_T9_mT8_P12ihipStream_tbDpT10_ENKUlT_T0_E_clISt17integral_constantIbLb1EES1F_EEDaS1A_S1B_EUlS1A_E_NS1_11comp_targetILNS1_3genE5ELNS1_11target_archE942ELNS1_3gpuE9ELNS1_3repE0EEENS1_30default_config_static_selectorELNS0_4arch9wavefront6targetE1EEEvT1_.kd
    .uniform_work_group_size: 1
    .uses_dynamic_stack: false
    .vgpr_count:     67
    .vgpr_spill_count: 0
    .wavefront_size: 64
  - .agpr_count:     0
    .args:
      - .offset:         0
        .size:           144
        .value_kind:     by_value
    .group_segment_fixed_size: 0
    .kernarg_segment_align: 8
    .kernarg_segment_size: 144
    .language:       OpenCL C
    .language_version:
      - 2
      - 0
    .max_flat_workgroup_size: 256
    .name:           _ZN7rocprim17ROCPRIM_400000_NS6detail17trampoline_kernelINS0_14default_configENS1_25partition_config_selectorILNS1_17partition_subalgoE2EiNS0_10empty_typeEbEEZZNS1_14partition_implILS5_2ELb0ES3_jN6thrust23THRUST_200600_302600_NS6detail15normal_iteratorINSA_7pointerIiNSA_11hip_rocprim3tagENSA_11use_defaultESG_EEEEPS6_NSA_18transform_iteratorI7is_evenIiENSC_INSA_10device_ptrIiEEEESG_SG_EENS0_5tupleIJPiSJ_EEENSR_IJSJ_SJ_EEES6_PlJS6_EEE10hipError_tPvRmT3_T4_T5_T6_T7_T9_mT8_P12ihipStream_tbDpT10_ENKUlT_T0_E_clISt17integral_constantIbLb1EES1F_EEDaS1A_S1B_EUlS1A_E_NS1_11comp_targetILNS1_3genE4ELNS1_11target_archE910ELNS1_3gpuE8ELNS1_3repE0EEENS1_30default_config_static_selectorELNS0_4arch9wavefront6targetE1EEEvT1_
    .private_segment_fixed_size: 0
    .sgpr_count:     6
    .sgpr_spill_count: 0
    .symbol:         _ZN7rocprim17ROCPRIM_400000_NS6detail17trampoline_kernelINS0_14default_configENS1_25partition_config_selectorILNS1_17partition_subalgoE2EiNS0_10empty_typeEbEEZZNS1_14partition_implILS5_2ELb0ES3_jN6thrust23THRUST_200600_302600_NS6detail15normal_iteratorINSA_7pointerIiNSA_11hip_rocprim3tagENSA_11use_defaultESG_EEEEPS6_NSA_18transform_iteratorI7is_evenIiENSC_INSA_10device_ptrIiEEEESG_SG_EENS0_5tupleIJPiSJ_EEENSR_IJSJ_SJ_EEES6_PlJS6_EEE10hipError_tPvRmT3_T4_T5_T6_T7_T9_mT8_P12ihipStream_tbDpT10_ENKUlT_T0_E_clISt17integral_constantIbLb1EES1F_EEDaS1A_S1B_EUlS1A_E_NS1_11comp_targetILNS1_3genE4ELNS1_11target_archE910ELNS1_3gpuE8ELNS1_3repE0EEENS1_30default_config_static_selectorELNS0_4arch9wavefront6targetE1EEEvT1_.kd
    .uniform_work_group_size: 1
    .uses_dynamic_stack: false
    .vgpr_count:     0
    .vgpr_spill_count: 0
    .wavefront_size: 64
  - .agpr_count:     0
    .args:
      - .offset:         0
        .size:           144
        .value_kind:     by_value
    .group_segment_fixed_size: 0
    .kernarg_segment_align: 8
    .kernarg_segment_size: 144
    .language:       OpenCL C
    .language_version:
      - 2
      - 0
    .max_flat_workgroup_size: 128
    .name:           _ZN7rocprim17ROCPRIM_400000_NS6detail17trampoline_kernelINS0_14default_configENS1_25partition_config_selectorILNS1_17partition_subalgoE2EiNS0_10empty_typeEbEEZZNS1_14partition_implILS5_2ELb0ES3_jN6thrust23THRUST_200600_302600_NS6detail15normal_iteratorINSA_7pointerIiNSA_11hip_rocprim3tagENSA_11use_defaultESG_EEEEPS6_NSA_18transform_iteratorI7is_evenIiENSC_INSA_10device_ptrIiEEEESG_SG_EENS0_5tupleIJPiSJ_EEENSR_IJSJ_SJ_EEES6_PlJS6_EEE10hipError_tPvRmT3_T4_T5_T6_T7_T9_mT8_P12ihipStream_tbDpT10_ENKUlT_T0_E_clISt17integral_constantIbLb1EES1F_EEDaS1A_S1B_EUlS1A_E_NS1_11comp_targetILNS1_3genE3ELNS1_11target_archE908ELNS1_3gpuE7ELNS1_3repE0EEENS1_30default_config_static_selectorELNS0_4arch9wavefront6targetE1EEEvT1_
    .private_segment_fixed_size: 0
    .sgpr_count:     6
    .sgpr_spill_count: 0
    .symbol:         _ZN7rocprim17ROCPRIM_400000_NS6detail17trampoline_kernelINS0_14default_configENS1_25partition_config_selectorILNS1_17partition_subalgoE2EiNS0_10empty_typeEbEEZZNS1_14partition_implILS5_2ELb0ES3_jN6thrust23THRUST_200600_302600_NS6detail15normal_iteratorINSA_7pointerIiNSA_11hip_rocprim3tagENSA_11use_defaultESG_EEEEPS6_NSA_18transform_iteratorI7is_evenIiENSC_INSA_10device_ptrIiEEEESG_SG_EENS0_5tupleIJPiSJ_EEENSR_IJSJ_SJ_EEES6_PlJS6_EEE10hipError_tPvRmT3_T4_T5_T6_T7_T9_mT8_P12ihipStream_tbDpT10_ENKUlT_T0_E_clISt17integral_constantIbLb1EES1F_EEDaS1A_S1B_EUlS1A_E_NS1_11comp_targetILNS1_3genE3ELNS1_11target_archE908ELNS1_3gpuE7ELNS1_3repE0EEENS1_30default_config_static_selectorELNS0_4arch9wavefront6targetE1EEEvT1_.kd
    .uniform_work_group_size: 1
    .uses_dynamic_stack: false
    .vgpr_count:     0
    .vgpr_spill_count: 0
    .wavefront_size: 64
  - .agpr_count:     0
    .args:
      - .offset:         0
        .size:           144
        .value_kind:     by_value
    .group_segment_fixed_size: 0
    .kernarg_segment_align: 8
    .kernarg_segment_size: 144
    .language:       OpenCL C
    .language_version:
      - 2
      - 0
    .max_flat_workgroup_size: 256
    .name:           _ZN7rocprim17ROCPRIM_400000_NS6detail17trampoline_kernelINS0_14default_configENS1_25partition_config_selectorILNS1_17partition_subalgoE2EiNS0_10empty_typeEbEEZZNS1_14partition_implILS5_2ELb0ES3_jN6thrust23THRUST_200600_302600_NS6detail15normal_iteratorINSA_7pointerIiNSA_11hip_rocprim3tagENSA_11use_defaultESG_EEEEPS6_NSA_18transform_iteratorI7is_evenIiENSC_INSA_10device_ptrIiEEEESG_SG_EENS0_5tupleIJPiSJ_EEENSR_IJSJ_SJ_EEES6_PlJS6_EEE10hipError_tPvRmT3_T4_T5_T6_T7_T9_mT8_P12ihipStream_tbDpT10_ENKUlT_T0_E_clISt17integral_constantIbLb1EES1F_EEDaS1A_S1B_EUlS1A_E_NS1_11comp_targetILNS1_3genE2ELNS1_11target_archE906ELNS1_3gpuE6ELNS1_3repE0EEENS1_30default_config_static_selectorELNS0_4arch9wavefront6targetE1EEEvT1_
    .private_segment_fixed_size: 0
    .sgpr_count:     6
    .sgpr_spill_count: 0
    .symbol:         _ZN7rocprim17ROCPRIM_400000_NS6detail17trampoline_kernelINS0_14default_configENS1_25partition_config_selectorILNS1_17partition_subalgoE2EiNS0_10empty_typeEbEEZZNS1_14partition_implILS5_2ELb0ES3_jN6thrust23THRUST_200600_302600_NS6detail15normal_iteratorINSA_7pointerIiNSA_11hip_rocprim3tagENSA_11use_defaultESG_EEEEPS6_NSA_18transform_iteratorI7is_evenIiENSC_INSA_10device_ptrIiEEEESG_SG_EENS0_5tupleIJPiSJ_EEENSR_IJSJ_SJ_EEES6_PlJS6_EEE10hipError_tPvRmT3_T4_T5_T6_T7_T9_mT8_P12ihipStream_tbDpT10_ENKUlT_T0_E_clISt17integral_constantIbLb1EES1F_EEDaS1A_S1B_EUlS1A_E_NS1_11comp_targetILNS1_3genE2ELNS1_11target_archE906ELNS1_3gpuE6ELNS1_3repE0EEENS1_30default_config_static_selectorELNS0_4arch9wavefront6targetE1EEEvT1_.kd
    .uniform_work_group_size: 1
    .uses_dynamic_stack: false
    .vgpr_count:     0
    .vgpr_spill_count: 0
    .wavefront_size: 64
  - .agpr_count:     0
    .args:
      - .offset:         0
        .size:           144
        .value_kind:     by_value
    .group_segment_fixed_size: 0
    .kernarg_segment_align: 8
    .kernarg_segment_size: 144
    .language:       OpenCL C
    .language_version:
      - 2
      - 0
    .max_flat_workgroup_size: 384
    .name:           _ZN7rocprim17ROCPRIM_400000_NS6detail17trampoline_kernelINS0_14default_configENS1_25partition_config_selectorILNS1_17partition_subalgoE2EiNS0_10empty_typeEbEEZZNS1_14partition_implILS5_2ELb0ES3_jN6thrust23THRUST_200600_302600_NS6detail15normal_iteratorINSA_7pointerIiNSA_11hip_rocprim3tagENSA_11use_defaultESG_EEEEPS6_NSA_18transform_iteratorI7is_evenIiENSC_INSA_10device_ptrIiEEEESG_SG_EENS0_5tupleIJPiSJ_EEENSR_IJSJ_SJ_EEES6_PlJS6_EEE10hipError_tPvRmT3_T4_T5_T6_T7_T9_mT8_P12ihipStream_tbDpT10_ENKUlT_T0_E_clISt17integral_constantIbLb1EES1F_EEDaS1A_S1B_EUlS1A_E_NS1_11comp_targetILNS1_3genE10ELNS1_11target_archE1200ELNS1_3gpuE4ELNS1_3repE0EEENS1_30default_config_static_selectorELNS0_4arch9wavefront6targetE1EEEvT1_
    .private_segment_fixed_size: 0
    .sgpr_count:     6
    .sgpr_spill_count: 0
    .symbol:         _ZN7rocprim17ROCPRIM_400000_NS6detail17trampoline_kernelINS0_14default_configENS1_25partition_config_selectorILNS1_17partition_subalgoE2EiNS0_10empty_typeEbEEZZNS1_14partition_implILS5_2ELb0ES3_jN6thrust23THRUST_200600_302600_NS6detail15normal_iteratorINSA_7pointerIiNSA_11hip_rocprim3tagENSA_11use_defaultESG_EEEEPS6_NSA_18transform_iteratorI7is_evenIiENSC_INSA_10device_ptrIiEEEESG_SG_EENS0_5tupleIJPiSJ_EEENSR_IJSJ_SJ_EEES6_PlJS6_EEE10hipError_tPvRmT3_T4_T5_T6_T7_T9_mT8_P12ihipStream_tbDpT10_ENKUlT_T0_E_clISt17integral_constantIbLb1EES1F_EEDaS1A_S1B_EUlS1A_E_NS1_11comp_targetILNS1_3genE10ELNS1_11target_archE1200ELNS1_3gpuE4ELNS1_3repE0EEENS1_30default_config_static_selectorELNS0_4arch9wavefront6targetE1EEEvT1_.kd
    .uniform_work_group_size: 1
    .uses_dynamic_stack: false
    .vgpr_count:     0
    .vgpr_spill_count: 0
    .wavefront_size: 64
  - .agpr_count:     0
    .args:
      - .offset:         0
        .size:           144
        .value_kind:     by_value
    .group_segment_fixed_size: 0
    .kernarg_segment_align: 8
    .kernarg_segment_size: 144
    .language:       OpenCL C
    .language_version:
      - 2
      - 0
    .max_flat_workgroup_size: 128
    .name:           _ZN7rocprim17ROCPRIM_400000_NS6detail17trampoline_kernelINS0_14default_configENS1_25partition_config_selectorILNS1_17partition_subalgoE2EiNS0_10empty_typeEbEEZZNS1_14partition_implILS5_2ELb0ES3_jN6thrust23THRUST_200600_302600_NS6detail15normal_iteratorINSA_7pointerIiNSA_11hip_rocprim3tagENSA_11use_defaultESG_EEEEPS6_NSA_18transform_iteratorI7is_evenIiENSC_INSA_10device_ptrIiEEEESG_SG_EENS0_5tupleIJPiSJ_EEENSR_IJSJ_SJ_EEES6_PlJS6_EEE10hipError_tPvRmT3_T4_T5_T6_T7_T9_mT8_P12ihipStream_tbDpT10_ENKUlT_T0_E_clISt17integral_constantIbLb1EES1F_EEDaS1A_S1B_EUlS1A_E_NS1_11comp_targetILNS1_3genE9ELNS1_11target_archE1100ELNS1_3gpuE3ELNS1_3repE0EEENS1_30default_config_static_selectorELNS0_4arch9wavefront6targetE1EEEvT1_
    .private_segment_fixed_size: 0
    .sgpr_count:     6
    .sgpr_spill_count: 0
    .symbol:         _ZN7rocprim17ROCPRIM_400000_NS6detail17trampoline_kernelINS0_14default_configENS1_25partition_config_selectorILNS1_17partition_subalgoE2EiNS0_10empty_typeEbEEZZNS1_14partition_implILS5_2ELb0ES3_jN6thrust23THRUST_200600_302600_NS6detail15normal_iteratorINSA_7pointerIiNSA_11hip_rocprim3tagENSA_11use_defaultESG_EEEEPS6_NSA_18transform_iteratorI7is_evenIiENSC_INSA_10device_ptrIiEEEESG_SG_EENS0_5tupleIJPiSJ_EEENSR_IJSJ_SJ_EEES6_PlJS6_EEE10hipError_tPvRmT3_T4_T5_T6_T7_T9_mT8_P12ihipStream_tbDpT10_ENKUlT_T0_E_clISt17integral_constantIbLb1EES1F_EEDaS1A_S1B_EUlS1A_E_NS1_11comp_targetILNS1_3genE9ELNS1_11target_archE1100ELNS1_3gpuE3ELNS1_3repE0EEENS1_30default_config_static_selectorELNS0_4arch9wavefront6targetE1EEEvT1_.kd
    .uniform_work_group_size: 1
    .uses_dynamic_stack: false
    .vgpr_count:     0
    .vgpr_spill_count: 0
    .wavefront_size: 64
  - .agpr_count:     0
    .args:
      - .offset:         0
        .size:           144
        .value_kind:     by_value
    .group_segment_fixed_size: 0
    .kernarg_segment_align: 8
    .kernarg_segment_size: 144
    .language:       OpenCL C
    .language_version:
      - 2
      - 0
    .max_flat_workgroup_size: 512
    .name:           _ZN7rocprim17ROCPRIM_400000_NS6detail17trampoline_kernelINS0_14default_configENS1_25partition_config_selectorILNS1_17partition_subalgoE2EiNS0_10empty_typeEbEEZZNS1_14partition_implILS5_2ELb0ES3_jN6thrust23THRUST_200600_302600_NS6detail15normal_iteratorINSA_7pointerIiNSA_11hip_rocprim3tagENSA_11use_defaultESG_EEEEPS6_NSA_18transform_iteratorI7is_evenIiENSC_INSA_10device_ptrIiEEEESG_SG_EENS0_5tupleIJPiSJ_EEENSR_IJSJ_SJ_EEES6_PlJS6_EEE10hipError_tPvRmT3_T4_T5_T6_T7_T9_mT8_P12ihipStream_tbDpT10_ENKUlT_T0_E_clISt17integral_constantIbLb1EES1F_EEDaS1A_S1B_EUlS1A_E_NS1_11comp_targetILNS1_3genE8ELNS1_11target_archE1030ELNS1_3gpuE2ELNS1_3repE0EEENS1_30default_config_static_selectorELNS0_4arch9wavefront6targetE1EEEvT1_
    .private_segment_fixed_size: 0
    .sgpr_count:     6
    .sgpr_spill_count: 0
    .symbol:         _ZN7rocprim17ROCPRIM_400000_NS6detail17trampoline_kernelINS0_14default_configENS1_25partition_config_selectorILNS1_17partition_subalgoE2EiNS0_10empty_typeEbEEZZNS1_14partition_implILS5_2ELb0ES3_jN6thrust23THRUST_200600_302600_NS6detail15normal_iteratorINSA_7pointerIiNSA_11hip_rocprim3tagENSA_11use_defaultESG_EEEEPS6_NSA_18transform_iteratorI7is_evenIiENSC_INSA_10device_ptrIiEEEESG_SG_EENS0_5tupleIJPiSJ_EEENSR_IJSJ_SJ_EEES6_PlJS6_EEE10hipError_tPvRmT3_T4_T5_T6_T7_T9_mT8_P12ihipStream_tbDpT10_ENKUlT_T0_E_clISt17integral_constantIbLb1EES1F_EEDaS1A_S1B_EUlS1A_E_NS1_11comp_targetILNS1_3genE8ELNS1_11target_archE1030ELNS1_3gpuE2ELNS1_3repE0EEENS1_30default_config_static_selectorELNS0_4arch9wavefront6targetE1EEEvT1_.kd
    .uniform_work_group_size: 1
    .uses_dynamic_stack: false
    .vgpr_count:     0
    .vgpr_spill_count: 0
    .wavefront_size: 64
  - .agpr_count:     0
    .args:
      - .offset:         0
        .size:           128
        .value_kind:     by_value
    .group_segment_fixed_size: 0
    .kernarg_segment_align: 8
    .kernarg_segment_size: 128
    .language:       OpenCL C
    .language_version:
      - 2
      - 0
    .max_flat_workgroup_size: 128
    .name:           _ZN7rocprim17ROCPRIM_400000_NS6detail17trampoline_kernelINS0_14default_configENS1_25partition_config_selectorILNS1_17partition_subalgoE2EiNS0_10empty_typeEbEEZZNS1_14partition_implILS5_2ELb0ES3_jN6thrust23THRUST_200600_302600_NS6detail15normal_iteratorINSA_7pointerIiNSA_11hip_rocprim3tagENSA_11use_defaultESG_EEEEPS6_NSA_18transform_iteratorI7is_evenIiENSC_INSA_10device_ptrIiEEEESG_SG_EENS0_5tupleIJPiSJ_EEENSR_IJSJ_SJ_EEES6_PlJS6_EEE10hipError_tPvRmT3_T4_T5_T6_T7_T9_mT8_P12ihipStream_tbDpT10_ENKUlT_T0_E_clISt17integral_constantIbLb1EES1E_IbLb0EEEEDaS1A_S1B_EUlS1A_E_NS1_11comp_targetILNS1_3genE0ELNS1_11target_archE4294967295ELNS1_3gpuE0ELNS1_3repE0EEENS1_30default_config_static_selectorELNS0_4arch9wavefront6targetE1EEEvT1_
    .private_segment_fixed_size: 0
    .sgpr_count:     6
    .sgpr_spill_count: 0
    .symbol:         _ZN7rocprim17ROCPRIM_400000_NS6detail17trampoline_kernelINS0_14default_configENS1_25partition_config_selectorILNS1_17partition_subalgoE2EiNS0_10empty_typeEbEEZZNS1_14partition_implILS5_2ELb0ES3_jN6thrust23THRUST_200600_302600_NS6detail15normal_iteratorINSA_7pointerIiNSA_11hip_rocprim3tagENSA_11use_defaultESG_EEEEPS6_NSA_18transform_iteratorI7is_evenIiENSC_INSA_10device_ptrIiEEEESG_SG_EENS0_5tupleIJPiSJ_EEENSR_IJSJ_SJ_EEES6_PlJS6_EEE10hipError_tPvRmT3_T4_T5_T6_T7_T9_mT8_P12ihipStream_tbDpT10_ENKUlT_T0_E_clISt17integral_constantIbLb1EES1E_IbLb0EEEEDaS1A_S1B_EUlS1A_E_NS1_11comp_targetILNS1_3genE0ELNS1_11target_archE4294967295ELNS1_3gpuE0ELNS1_3repE0EEENS1_30default_config_static_selectorELNS0_4arch9wavefront6targetE1EEEvT1_.kd
    .uniform_work_group_size: 1
    .uses_dynamic_stack: false
    .vgpr_count:     0
    .vgpr_spill_count: 0
    .wavefront_size: 64
  - .agpr_count:     0
    .args:
      - .offset:         0
        .size:           128
        .value_kind:     by_value
    .group_segment_fixed_size: 30728
    .kernarg_segment_align: 8
    .kernarg_segment_size: 128
    .language:       OpenCL C
    .language_version:
      - 2
      - 0
    .max_flat_workgroup_size: 512
    .name:           _ZN7rocprim17ROCPRIM_400000_NS6detail17trampoline_kernelINS0_14default_configENS1_25partition_config_selectorILNS1_17partition_subalgoE2EiNS0_10empty_typeEbEEZZNS1_14partition_implILS5_2ELb0ES3_jN6thrust23THRUST_200600_302600_NS6detail15normal_iteratorINSA_7pointerIiNSA_11hip_rocprim3tagENSA_11use_defaultESG_EEEEPS6_NSA_18transform_iteratorI7is_evenIiENSC_INSA_10device_ptrIiEEEESG_SG_EENS0_5tupleIJPiSJ_EEENSR_IJSJ_SJ_EEES6_PlJS6_EEE10hipError_tPvRmT3_T4_T5_T6_T7_T9_mT8_P12ihipStream_tbDpT10_ENKUlT_T0_E_clISt17integral_constantIbLb1EES1E_IbLb0EEEEDaS1A_S1B_EUlS1A_E_NS1_11comp_targetILNS1_3genE5ELNS1_11target_archE942ELNS1_3gpuE9ELNS1_3repE0EEENS1_30default_config_static_selectorELNS0_4arch9wavefront6targetE1EEEvT1_
    .private_segment_fixed_size: 0
    .sgpr_count:     52
    .sgpr_spill_count: 0
    .symbol:         _ZN7rocprim17ROCPRIM_400000_NS6detail17trampoline_kernelINS0_14default_configENS1_25partition_config_selectorILNS1_17partition_subalgoE2EiNS0_10empty_typeEbEEZZNS1_14partition_implILS5_2ELb0ES3_jN6thrust23THRUST_200600_302600_NS6detail15normal_iteratorINSA_7pointerIiNSA_11hip_rocprim3tagENSA_11use_defaultESG_EEEEPS6_NSA_18transform_iteratorI7is_evenIiENSC_INSA_10device_ptrIiEEEESG_SG_EENS0_5tupleIJPiSJ_EEENSR_IJSJ_SJ_EEES6_PlJS6_EEE10hipError_tPvRmT3_T4_T5_T6_T7_T9_mT8_P12ihipStream_tbDpT10_ENKUlT_T0_E_clISt17integral_constantIbLb1EES1E_IbLb0EEEEDaS1A_S1B_EUlS1A_E_NS1_11comp_targetILNS1_3genE5ELNS1_11target_archE942ELNS1_3gpuE9ELNS1_3repE0EEENS1_30default_config_static_selectorELNS0_4arch9wavefront6targetE1EEEvT1_.kd
    .uniform_work_group_size: 1
    .uses_dynamic_stack: false
    .vgpr_count:     65
    .vgpr_spill_count: 0
    .wavefront_size: 64
  - .agpr_count:     0
    .args:
      - .offset:         0
        .size:           128
        .value_kind:     by_value
    .group_segment_fixed_size: 0
    .kernarg_segment_align: 8
    .kernarg_segment_size: 128
    .language:       OpenCL C
    .language_version:
      - 2
      - 0
    .max_flat_workgroup_size: 256
    .name:           _ZN7rocprim17ROCPRIM_400000_NS6detail17trampoline_kernelINS0_14default_configENS1_25partition_config_selectorILNS1_17partition_subalgoE2EiNS0_10empty_typeEbEEZZNS1_14partition_implILS5_2ELb0ES3_jN6thrust23THRUST_200600_302600_NS6detail15normal_iteratorINSA_7pointerIiNSA_11hip_rocprim3tagENSA_11use_defaultESG_EEEEPS6_NSA_18transform_iteratorI7is_evenIiENSC_INSA_10device_ptrIiEEEESG_SG_EENS0_5tupleIJPiSJ_EEENSR_IJSJ_SJ_EEES6_PlJS6_EEE10hipError_tPvRmT3_T4_T5_T6_T7_T9_mT8_P12ihipStream_tbDpT10_ENKUlT_T0_E_clISt17integral_constantIbLb1EES1E_IbLb0EEEEDaS1A_S1B_EUlS1A_E_NS1_11comp_targetILNS1_3genE4ELNS1_11target_archE910ELNS1_3gpuE8ELNS1_3repE0EEENS1_30default_config_static_selectorELNS0_4arch9wavefront6targetE1EEEvT1_
    .private_segment_fixed_size: 0
    .sgpr_count:     6
    .sgpr_spill_count: 0
    .symbol:         _ZN7rocprim17ROCPRIM_400000_NS6detail17trampoline_kernelINS0_14default_configENS1_25partition_config_selectorILNS1_17partition_subalgoE2EiNS0_10empty_typeEbEEZZNS1_14partition_implILS5_2ELb0ES3_jN6thrust23THRUST_200600_302600_NS6detail15normal_iteratorINSA_7pointerIiNSA_11hip_rocprim3tagENSA_11use_defaultESG_EEEEPS6_NSA_18transform_iteratorI7is_evenIiENSC_INSA_10device_ptrIiEEEESG_SG_EENS0_5tupleIJPiSJ_EEENSR_IJSJ_SJ_EEES6_PlJS6_EEE10hipError_tPvRmT3_T4_T5_T6_T7_T9_mT8_P12ihipStream_tbDpT10_ENKUlT_T0_E_clISt17integral_constantIbLb1EES1E_IbLb0EEEEDaS1A_S1B_EUlS1A_E_NS1_11comp_targetILNS1_3genE4ELNS1_11target_archE910ELNS1_3gpuE8ELNS1_3repE0EEENS1_30default_config_static_selectorELNS0_4arch9wavefront6targetE1EEEvT1_.kd
    .uniform_work_group_size: 1
    .uses_dynamic_stack: false
    .vgpr_count:     0
    .vgpr_spill_count: 0
    .wavefront_size: 64
  - .agpr_count:     0
    .args:
      - .offset:         0
        .size:           128
        .value_kind:     by_value
    .group_segment_fixed_size: 0
    .kernarg_segment_align: 8
    .kernarg_segment_size: 128
    .language:       OpenCL C
    .language_version:
      - 2
      - 0
    .max_flat_workgroup_size: 128
    .name:           _ZN7rocprim17ROCPRIM_400000_NS6detail17trampoline_kernelINS0_14default_configENS1_25partition_config_selectorILNS1_17partition_subalgoE2EiNS0_10empty_typeEbEEZZNS1_14partition_implILS5_2ELb0ES3_jN6thrust23THRUST_200600_302600_NS6detail15normal_iteratorINSA_7pointerIiNSA_11hip_rocprim3tagENSA_11use_defaultESG_EEEEPS6_NSA_18transform_iteratorI7is_evenIiENSC_INSA_10device_ptrIiEEEESG_SG_EENS0_5tupleIJPiSJ_EEENSR_IJSJ_SJ_EEES6_PlJS6_EEE10hipError_tPvRmT3_T4_T5_T6_T7_T9_mT8_P12ihipStream_tbDpT10_ENKUlT_T0_E_clISt17integral_constantIbLb1EES1E_IbLb0EEEEDaS1A_S1B_EUlS1A_E_NS1_11comp_targetILNS1_3genE3ELNS1_11target_archE908ELNS1_3gpuE7ELNS1_3repE0EEENS1_30default_config_static_selectorELNS0_4arch9wavefront6targetE1EEEvT1_
    .private_segment_fixed_size: 0
    .sgpr_count:     6
    .sgpr_spill_count: 0
    .symbol:         _ZN7rocprim17ROCPRIM_400000_NS6detail17trampoline_kernelINS0_14default_configENS1_25partition_config_selectorILNS1_17partition_subalgoE2EiNS0_10empty_typeEbEEZZNS1_14partition_implILS5_2ELb0ES3_jN6thrust23THRUST_200600_302600_NS6detail15normal_iteratorINSA_7pointerIiNSA_11hip_rocprim3tagENSA_11use_defaultESG_EEEEPS6_NSA_18transform_iteratorI7is_evenIiENSC_INSA_10device_ptrIiEEEESG_SG_EENS0_5tupleIJPiSJ_EEENSR_IJSJ_SJ_EEES6_PlJS6_EEE10hipError_tPvRmT3_T4_T5_T6_T7_T9_mT8_P12ihipStream_tbDpT10_ENKUlT_T0_E_clISt17integral_constantIbLb1EES1E_IbLb0EEEEDaS1A_S1B_EUlS1A_E_NS1_11comp_targetILNS1_3genE3ELNS1_11target_archE908ELNS1_3gpuE7ELNS1_3repE0EEENS1_30default_config_static_selectorELNS0_4arch9wavefront6targetE1EEEvT1_.kd
    .uniform_work_group_size: 1
    .uses_dynamic_stack: false
    .vgpr_count:     0
    .vgpr_spill_count: 0
    .wavefront_size: 64
  - .agpr_count:     0
    .args:
      - .offset:         0
        .size:           128
        .value_kind:     by_value
    .group_segment_fixed_size: 0
    .kernarg_segment_align: 8
    .kernarg_segment_size: 128
    .language:       OpenCL C
    .language_version:
      - 2
      - 0
    .max_flat_workgroup_size: 256
    .name:           _ZN7rocprim17ROCPRIM_400000_NS6detail17trampoline_kernelINS0_14default_configENS1_25partition_config_selectorILNS1_17partition_subalgoE2EiNS0_10empty_typeEbEEZZNS1_14partition_implILS5_2ELb0ES3_jN6thrust23THRUST_200600_302600_NS6detail15normal_iteratorINSA_7pointerIiNSA_11hip_rocprim3tagENSA_11use_defaultESG_EEEEPS6_NSA_18transform_iteratorI7is_evenIiENSC_INSA_10device_ptrIiEEEESG_SG_EENS0_5tupleIJPiSJ_EEENSR_IJSJ_SJ_EEES6_PlJS6_EEE10hipError_tPvRmT3_T4_T5_T6_T7_T9_mT8_P12ihipStream_tbDpT10_ENKUlT_T0_E_clISt17integral_constantIbLb1EES1E_IbLb0EEEEDaS1A_S1B_EUlS1A_E_NS1_11comp_targetILNS1_3genE2ELNS1_11target_archE906ELNS1_3gpuE6ELNS1_3repE0EEENS1_30default_config_static_selectorELNS0_4arch9wavefront6targetE1EEEvT1_
    .private_segment_fixed_size: 0
    .sgpr_count:     6
    .sgpr_spill_count: 0
    .symbol:         _ZN7rocprim17ROCPRIM_400000_NS6detail17trampoline_kernelINS0_14default_configENS1_25partition_config_selectorILNS1_17partition_subalgoE2EiNS0_10empty_typeEbEEZZNS1_14partition_implILS5_2ELb0ES3_jN6thrust23THRUST_200600_302600_NS6detail15normal_iteratorINSA_7pointerIiNSA_11hip_rocprim3tagENSA_11use_defaultESG_EEEEPS6_NSA_18transform_iteratorI7is_evenIiENSC_INSA_10device_ptrIiEEEESG_SG_EENS0_5tupleIJPiSJ_EEENSR_IJSJ_SJ_EEES6_PlJS6_EEE10hipError_tPvRmT3_T4_T5_T6_T7_T9_mT8_P12ihipStream_tbDpT10_ENKUlT_T0_E_clISt17integral_constantIbLb1EES1E_IbLb0EEEEDaS1A_S1B_EUlS1A_E_NS1_11comp_targetILNS1_3genE2ELNS1_11target_archE906ELNS1_3gpuE6ELNS1_3repE0EEENS1_30default_config_static_selectorELNS0_4arch9wavefront6targetE1EEEvT1_.kd
    .uniform_work_group_size: 1
    .uses_dynamic_stack: false
    .vgpr_count:     0
    .vgpr_spill_count: 0
    .wavefront_size: 64
  - .agpr_count:     0
    .args:
      - .offset:         0
        .size:           128
        .value_kind:     by_value
    .group_segment_fixed_size: 0
    .kernarg_segment_align: 8
    .kernarg_segment_size: 128
    .language:       OpenCL C
    .language_version:
      - 2
      - 0
    .max_flat_workgroup_size: 384
    .name:           _ZN7rocprim17ROCPRIM_400000_NS6detail17trampoline_kernelINS0_14default_configENS1_25partition_config_selectorILNS1_17partition_subalgoE2EiNS0_10empty_typeEbEEZZNS1_14partition_implILS5_2ELb0ES3_jN6thrust23THRUST_200600_302600_NS6detail15normal_iteratorINSA_7pointerIiNSA_11hip_rocprim3tagENSA_11use_defaultESG_EEEEPS6_NSA_18transform_iteratorI7is_evenIiENSC_INSA_10device_ptrIiEEEESG_SG_EENS0_5tupleIJPiSJ_EEENSR_IJSJ_SJ_EEES6_PlJS6_EEE10hipError_tPvRmT3_T4_T5_T6_T7_T9_mT8_P12ihipStream_tbDpT10_ENKUlT_T0_E_clISt17integral_constantIbLb1EES1E_IbLb0EEEEDaS1A_S1B_EUlS1A_E_NS1_11comp_targetILNS1_3genE10ELNS1_11target_archE1200ELNS1_3gpuE4ELNS1_3repE0EEENS1_30default_config_static_selectorELNS0_4arch9wavefront6targetE1EEEvT1_
    .private_segment_fixed_size: 0
    .sgpr_count:     6
    .sgpr_spill_count: 0
    .symbol:         _ZN7rocprim17ROCPRIM_400000_NS6detail17trampoline_kernelINS0_14default_configENS1_25partition_config_selectorILNS1_17partition_subalgoE2EiNS0_10empty_typeEbEEZZNS1_14partition_implILS5_2ELb0ES3_jN6thrust23THRUST_200600_302600_NS6detail15normal_iteratorINSA_7pointerIiNSA_11hip_rocprim3tagENSA_11use_defaultESG_EEEEPS6_NSA_18transform_iteratorI7is_evenIiENSC_INSA_10device_ptrIiEEEESG_SG_EENS0_5tupleIJPiSJ_EEENSR_IJSJ_SJ_EEES6_PlJS6_EEE10hipError_tPvRmT3_T4_T5_T6_T7_T9_mT8_P12ihipStream_tbDpT10_ENKUlT_T0_E_clISt17integral_constantIbLb1EES1E_IbLb0EEEEDaS1A_S1B_EUlS1A_E_NS1_11comp_targetILNS1_3genE10ELNS1_11target_archE1200ELNS1_3gpuE4ELNS1_3repE0EEENS1_30default_config_static_selectorELNS0_4arch9wavefront6targetE1EEEvT1_.kd
    .uniform_work_group_size: 1
    .uses_dynamic_stack: false
    .vgpr_count:     0
    .vgpr_spill_count: 0
    .wavefront_size: 64
  - .agpr_count:     0
    .args:
      - .offset:         0
        .size:           128
        .value_kind:     by_value
    .group_segment_fixed_size: 0
    .kernarg_segment_align: 8
    .kernarg_segment_size: 128
    .language:       OpenCL C
    .language_version:
      - 2
      - 0
    .max_flat_workgroup_size: 128
    .name:           _ZN7rocprim17ROCPRIM_400000_NS6detail17trampoline_kernelINS0_14default_configENS1_25partition_config_selectorILNS1_17partition_subalgoE2EiNS0_10empty_typeEbEEZZNS1_14partition_implILS5_2ELb0ES3_jN6thrust23THRUST_200600_302600_NS6detail15normal_iteratorINSA_7pointerIiNSA_11hip_rocprim3tagENSA_11use_defaultESG_EEEEPS6_NSA_18transform_iteratorI7is_evenIiENSC_INSA_10device_ptrIiEEEESG_SG_EENS0_5tupleIJPiSJ_EEENSR_IJSJ_SJ_EEES6_PlJS6_EEE10hipError_tPvRmT3_T4_T5_T6_T7_T9_mT8_P12ihipStream_tbDpT10_ENKUlT_T0_E_clISt17integral_constantIbLb1EES1E_IbLb0EEEEDaS1A_S1B_EUlS1A_E_NS1_11comp_targetILNS1_3genE9ELNS1_11target_archE1100ELNS1_3gpuE3ELNS1_3repE0EEENS1_30default_config_static_selectorELNS0_4arch9wavefront6targetE1EEEvT1_
    .private_segment_fixed_size: 0
    .sgpr_count:     6
    .sgpr_spill_count: 0
    .symbol:         _ZN7rocprim17ROCPRIM_400000_NS6detail17trampoline_kernelINS0_14default_configENS1_25partition_config_selectorILNS1_17partition_subalgoE2EiNS0_10empty_typeEbEEZZNS1_14partition_implILS5_2ELb0ES3_jN6thrust23THRUST_200600_302600_NS6detail15normal_iteratorINSA_7pointerIiNSA_11hip_rocprim3tagENSA_11use_defaultESG_EEEEPS6_NSA_18transform_iteratorI7is_evenIiENSC_INSA_10device_ptrIiEEEESG_SG_EENS0_5tupleIJPiSJ_EEENSR_IJSJ_SJ_EEES6_PlJS6_EEE10hipError_tPvRmT3_T4_T5_T6_T7_T9_mT8_P12ihipStream_tbDpT10_ENKUlT_T0_E_clISt17integral_constantIbLb1EES1E_IbLb0EEEEDaS1A_S1B_EUlS1A_E_NS1_11comp_targetILNS1_3genE9ELNS1_11target_archE1100ELNS1_3gpuE3ELNS1_3repE0EEENS1_30default_config_static_selectorELNS0_4arch9wavefront6targetE1EEEvT1_.kd
    .uniform_work_group_size: 1
    .uses_dynamic_stack: false
    .vgpr_count:     0
    .vgpr_spill_count: 0
    .wavefront_size: 64
  - .agpr_count:     0
    .args:
      - .offset:         0
        .size:           128
        .value_kind:     by_value
    .group_segment_fixed_size: 0
    .kernarg_segment_align: 8
    .kernarg_segment_size: 128
    .language:       OpenCL C
    .language_version:
      - 2
      - 0
    .max_flat_workgroup_size: 512
    .name:           _ZN7rocprim17ROCPRIM_400000_NS6detail17trampoline_kernelINS0_14default_configENS1_25partition_config_selectorILNS1_17partition_subalgoE2EiNS0_10empty_typeEbEEZZNS1_14partition_implILS5_2ELb0ES3_jN6thrust23THRUST_200600_302600_NS6detail15normal_iteratorINSA_7pointerIiNSA_11hip_rocprim3tagENSA_11use_defaultESG_EEEEPS6_NSA_18transform_iteratorI7is_evenIiENSC_INSA_10device_ptrIiEEEESG_SG_EENS0_5tupleIJPiSJ_EEENSR_IJSJ_SJ_EEES6_PlJS6_EEE10hipError_tPvRmT3_T4_T5_T6_T7_T9_mT8_P12ihipStream_tbDpT10_ENKUlT_T0_E_clISt17integral_constantIbLb1EES1E_IbLb0EEEEDaS1A_S1B_EUlS1A_E_NS1_11comp_targetILNS1_3genE8ELNS1_11target_archE1030ELNS1_3gpuE2ELNS1_3repE0EEENS1_30default_config_static_selectorELNS0_4arch9wavefront6targetE1EEEvT1_
    .private_segment_fixed_size: 0
    .sgpr_count:     6
    .sgpr_spill_count: 0
    .symbol:         _ZN7rocprim17ROCPRIM_400000_NS6detail17trampoline_kernelINS0_14default_configENS1_25partition_config_selectorILNS1_17partition_subalgoE2EiNS0_10empty_typeEbEEZZNS1_14partition_implILS5_2ELb0ES3_jN6thrust23THRUST_200600_302600_NS6detail15normal_iteratorINSA_7pointerIiNSA_11hip_rocprim3tagENSA_11use_defaultESG_EEEEPS6_NSA_18transform_iteratorI7is_evenIiENSC_INSA_10device_ptrIiEEEESG_SG_EENS0_5tupleIJPiSJ_EEENSR_IJSJ_SJ_EEES6_PlJS6_EEE10hipError_tPvRmT3_T4_T5_T6_T7_T9_mT8_P12ihipStream_tbDpT10_ENKUlT_T0_E_clISt17integral_constantIbLb1EES1E_IbLb0EEEEDaS1A_S1B_EUlS1A_E_NS1_11comp_targetILNS1_3genE8ELNS1_11target_archE1030ELNS1_3gpuE2ELNS1_3repE0EEENS1_30default_config_static_selectorELNS0_4arch9wavefront6targetE1EEEvT1_.kd
    .uniform_work_group_size: 1
    .uses_dynamic_stack: false
    .vgpr_count:     0
    .vgpr_spill_count: 0
    .wavefront_size: 64
  - .agpr_count:     0
    .args:
      - .offset:         0
        .size:           144
        .value_kind:     by_value
    .group_segment_fixed_size: 0
    .kernarg_segment_align: 8
    .kernarg_segment_size: 144
    .language:       OpenCL C
    .language_version:
      - 2
      - 0
    .max_flat_workgroup_size: 128
    .name:           _ZN7rocprim17ROCPRIM_400000_NS6detail17trampoline_kernelINS0_14default_configENS1_25partition_config_selectorILNS1_17partition_subalgoE2EiNS0_10empty_typeEbEEZZNS1_14partition_implILS5_2ELb0ES3_jN6thrust23THRUST_200600_302600_NS6detail15normal_iteratorINSA_7pointerIiNSA_11hip_rocprim3tagENSA_11use_defaultESG_EEEEPS6_NSA_18transform_iteratorI7is_evenIiENSC_INSA_10device_ptrIiEEEESG_SG_EENS0_5tupleIJPiSJ_EEENSR_IJSJ_SJ_EEES6_PlJS6_EEE10hipError_tPvRmT3_T4_T5_T6_T7_T9_mT8_P12ihipStream_tbDpT10_ENKUlT_T0_E_clISt17integral_constantIbLb0EES1E_IbLb1EEEEDaS1A_S1B_EUlS1A_E_NS1_11comp_targetILNS1_3genE0ELNS1_11target_archE4294967295ELNS1_3gpuE0ELNS1_3repE0EEENS1_30default_config_static_selectorELNS0_4arch9wavefront6targetE1EEEvT1_
    .private_segment_fixed_size: 0
    .sgpr_count:     6
    .sgpr_spill_count: 0
    .symbol:         _ZN7rocprim17ROCPRIM_400000_NS6detail17trampoline_kernelINS0_14default_configENS1_25partition_config_selectorILNS1_17partition_subalgoE2EiNS0_10empty_typeEbEEZZNS1_14partition_implILS5_2ELb0ES3_jN6thrust23THRUST_200600_302600_NS6detail15normal_iteratorINSA_7pointerIiNSA_11hip_rocprim3tagENSA_11use_defaultESG_EEEEPS6_NSA_18transform_iteratorI7is_evenIiENSC_INSA_10device_ptrIiEEEESG_SG_EENS0_5tupleIJPiSJ_EEENSR_IJSJ_SJ_EEES6_PlJS6_EEE10hipError_tPvRmT3_T4_T5_T6_T7_T9_mT8_P12ihipStream_tbDpT10_ENKUlT_T0_E_clISt17integral_constantIbLb0EES1E_IbLb1EEEEDaS1A_S1B_EUlS1A_E_NS1_11comp_targetILNS1_3genE0ELNS1_11target_archE4294967295ELNS1_3gpuE0ELNS1_3repE0EEENS1_30default_config_static_selectorELNS0_4arch9wavefront6targetE1EEEvT1_.kd
    .uniform_work_group_size: 1
    .uses_dynamic_stack: false
    .vgpr_count:     0
    .vgpr_spill_count: 0
    .wavefront_size: 64
  - .agpr_count:     0
    .args:
      - .offset:         0
        .size:           144
        .value_kind:     by_value
    .group_segment_fixed_size: 30728
    .kernarg_segment_align: 8
    .kernarg_segment_size: 144
    .language:       OpenCL C
    .language_version:
      - 2
      - 0
    .max_flat_workgroup_size: 512
    .name:           _ZN7rocprim17ROCPRIM_400000_NS6detail17trampoline_kernelINS0_14default_configENS1_25partition_config_selectorILNS1_17partition_subalgoE2EiNS0_10empty_typeEbEEZZNS1_14partition_implILS5_2ELb0ES3_jN6thrust23THRUST_200600_302600_NS6detail15normal_iteratorINSA_7pointerIiNSA_11hip_rocprim3tagENSA_11use_defaultESG_EEEEPS6_NSA_18transform_iteratorI7is_evenIiENSC_INSA_10device_ptrIiEEEESG_SG_EENS0_5tupleIJPiSJ_EEENSR_IJSJ_SJ_EEES6_PlJS6_EEE10hipError_tPvRmT3_T4_T5_T6_T7_T9_mT8_P12ihipStream_tbDpT10_ENKUlT_T0_E_clISt17integral_constantIbLb0EES1E_IbLb1EEEEDaS1A_S1B_EUlS1A_E_NS1_11comp_targetILNS1_3genE5ELNS1_11target_archE942ELNS1_3gpuE9ELNS1_3repE0EEENS1_30default_config_static_selectorELNS0_4arch9wavefront6targetE1EEEvT1_
    .private_segment_fixed_size: 0
    .sgpr_count:     52
    .sgpr_spill_count: 0
    .symbol:         _ZN7rocprim17ROCPRIM_400000_NS6detail17trampoline_kernelINS0_14default_configENS1_25partition_config_selectorILNS1_17partition_subalgoE2EiNS0_10empty_typeEbEEZZNS1_14partition_implILS5_2ELb0ES3_jN6thrust23THRUST_200600_302600_NS6detail15normal_iteratorINSA_7pointerIiNSA_11hip_rocprim3tagENSA_11use_defaultESG_EEEEPS6_NSA_18transform_iteratorI7is_evenIiENSC_INSA_10device_ptrIiEEEESG_SG_EENS0_5tupleIJPiSJ_EEENSR_IJSJ_SJ_EEES6_PlJS6_EEE10hipError_tPvRmT3_T4_T5_T6_T7_T9_mT8_P12ihipStream_tbDpT10_ENKUlT_T0_E_clISt17integral_constantIbLb0EES1E_IbLb1EEEEDaS1A_S1B_EUlS1A_E_NS1_11comp_targetILNS1_3genE5ELNS1_11target_archE942ELNS1_3gpuE9ELNS1_3repE0EEENS1_30default_config_static_selectorELNS0_4arch9wavefront6targetE1EEEvT1_.kd
    .uniform_work_group_size: 1
    .uses_dynamic_stack: false
    .vgpr_count:     67
    .vgpr_spill_count: 0
    .wavefront_size: 64
  - .agpr_count:     0
    .args:
      - .offset:         0
        .size:           144
        .value_kind:     by_value
    .group_segment_fixed_size: 0
    .kernarg_segment_align: 8
    .kernarg_segment_size: 144
    .language:       OpenCL C
    .language_version:
      - 2
      - 0
    .max_flat_workgroup_size: 256
    .name:           _ZN7rocprim17ROCPRIM_400000_NS6detail17trampoline_kernelINS0_14default_configENS1_25partition_config_selectorILNS1_17partition_subalgoE2EiNS0_10empty_typeEbEEZZNS1_14partition_implILS5_2ELb0ES3_jN6thrust23THRUST_200600_302600_NS6detail15normal_iteratorINSA_7pointerIiNSA_11hip_rocprim3tagENSA_11use_defaultESG_EEEEPS6_NSA_18transform_iteratorI7is_evenIiENSC_INSA_10device_ptrIiEEEESG_SG_EENS0_5tupleIJPiSJ_EEENSR_IJSJ_SJ_EEES6_PlJS6_EEE10hipError_tPvRmT3_T4_T5_T6_T7_T9_mT8_P12ihipStream_tbDpT10_ENKUlT_T0_E_clISt17integral_constantIbLb0EES1E_IbLb1EEEEDaS1A_S1B_EUlS1A_E_NS1_11comp_targetILNS1_3genE4ELNS1_11target_archE910ELNS1_3gpuE8ELNS1_3repE0EEENS1_30default_config_static_selectorELNS0_4arch9wavefront6targetE1EEEvT1_
    .private_segment_fixed_size: 0
    .sgpr_count:     6
    .sgpr_spill_count: 0
    .symbol:         _ZN7rocprim17ROCPRIM_400000_NS6detail17trampoline_kernelINS0_14default_configENS1_25partition_config_selectorILNS1_17partition_subalgoE2EiNS0_10empty_typeEbEEZZNS1_14partition_implILS5_2ELb0ES3_jN6thrust23THRUST_200600_302600_NS6detail15normal_iteratorINSA_7pointerIiNSA_11hip_rocprim3tagENSA_11use_defaultESG_EEEEPS6_NSA_18transform_iteratorI7is_evenIiENSC_INSA_10device_ptrIiEEEESG_SG_EENS0_5tupleIJPiSJ_EEENSR_IJSJ_SJ_EEES6_PlJS6_EEE10hipError_tPvRmT3_T4_T5_T6_T7_T9_mT8_P12ihipStream_tbDpT10_ENKUlT_T0_E_clISt17integral_constantIbLb0EES1E_IbLb1EEEEDaS1A_S1B_EUlS1A_E_NS1_11comp_targetILNS1_3genE4ELNS1_11target_archE910ELNS1_3gpuE8ELNS1_3repE0EEENS1_30default_config_static_selectorELNS0_4arch9wavefront6targetE1EEEvT1_.kd
    .uniform_work_group_size: 1
    .uses_dynamic_stack: false
    .vgpr_count:     0
    .vgpr_spill_count: 0
    .wavefront_size: 64
  - .agpr_count:     0
    .args:
      - .offset:         0
        .size:           144
        .value_kind:     by_value
    .group_segment_fixed_size: 0
    .kernarg_segment_align: 8
    .kernarg_segment_size: 144
    .language:       OpenCL C
    .language_version:
      - 2
      - 0
    .max_flat_workgroup_size: 128
    .name:           _ZN7rocprim17ROCPRIM_400000_NS6detail17trampoline_kernelINS0_14default_configENS1_25partition_config_selectorILNS1_17partition_subalgoE2EiNS0_10empty_typeEbEEZZNS1_14partition_implILS5_2ELb0ES3_jN6thrust23THRUST_200600_302600_NS6detail15normal_iteratorINSA_7pointerIiNSA_11hip_rocprim3tagENSA_11use_defaultESG_EEEEPS6_NSA_18transform_iteratorI7is_evenIiENSC_INSA_10device_ptrIiEEEESG_SG_EENS0_5tupleIJPiSJ_EEENSR_IJSJ_SJ_EEES6_PlJS6_EEE10hipError_tPvRmT3_T4_T5_T6_T7_T9_mT8_P12ihipStream_tbDpT10_ENKUlT_T0_E_clISt17integral_constantIbLb0EES1E_IbLb1EEEEDaS1A_S1B_EUlS1A_E_NS1_11comp_targetILNS1_3genE3ELNS1_11target_archE908ELNS1_3gpuE7ELNS1_3repE0EEENS1_30default_config_static_selectorELNS0_4arch9wavefront6targetE1EEEvT1_
    .private_segment_fixed_size: 0
    .sgpr_count:     6
    .sgpr_spill_count: 0
    .symbol:         _ZN7rocprim17ROCPRIM_400000_NS6detail17trampoline_kernelINS0_14default_configENS1_25partition_config_selectorILNS1_17partition_subalgoE2EiNS0_10empty_typeEbEEZZNS1_14partition_implILS5_2ELb0ES3_jN6thrust23THRUST_200600_302600_NS6detail15normal_iteratorINSA_7pointerIiNSA_11hip_rocprim3tagENSA_11use_defaultESG_EEEEPS6_NSA_18transform_iteratorI7is_evenIiENSC_INSA_10device_ptrIiEEEESG_SG_EENS0_5tupleIJPiSJ_EEENSR_IJSJ_SJ_EEES6_PlJS6_EEE10hipError_tPvRmT3_T4_T5_T6_T7_T9_mT8_P12ihipStream_tbDpT10_ENKUlT_T0_E_clISt17integral_constantIbLb0EES1E_IbLb1EEEEDaS1A_S1B_EUlS1A_E_NS1_11comp_targetILNS1_3genE3ELNS1_11target_archE908ELNS1_3gpuE7ELNS1_3repE0EEENS1_30default_config_static_selectorELNS0_4arch9wavefront6targetE1EEEvT1_.kd
    .uniform_work_group_size: 1
    .uses_dynamic_stack: false
    .vgpr_count:     0
    .vgpr_spill_count: 0
    .wavefront_size: 64
  - .agpr_count:     0
    .args:
      - .offset:         0
        .size:           144
        .value_kind:     by_value
    .group_segment_fixed_size: 0
    .kernarg_segment_align: 8
    .kernarg_segment_size: 144
    .language:       OpenCL C
    .language_version:
      - 2
      - 0
    .max_flat_workgroup_size: 256
    .name:           _ZN7rocprim17ROCPRIM_400000_NS6detail17trampoline_kernelINS0_14default_configENS1_25partition_config_selectorILNS1_17partition_subalgoE2EiNS0_10empty_typeEbEEZZNS1_14partition_implILS5_2ELb0ES3_jN6thrust23THRUST_200600_302600_NS6detail15normal_iteratorINSA_7pointerIiNSA_11hip_rocprim3tagENSA_11use_defaultESG_EEEEPS6_NSA_18transform_iteratorI7is_evenIiENSC_INSA_10device_ptrIiEEEESG_SG_EENS0_5tupleIJPiSJ_EEENSR_IJSJ_SJ_EEES6_PlJS6_EEE10hipError_tPvRmT3_T4_T5_T6_T7_T9_mT8_P12ihipStream_tbDpT10_ENKUlT_T0_E_clISt17integral_constantIbLb0EES1E_IbLb1EEEEDaS1A_S1B_EUlS1A_E_NS1_11comp_targetILNS1_3genE2ELNS1_11target_archE906ELNS1_3gpuE6ELNS1_3repE0EEENS1_30default_config_static_selectorELNS0_4arch9wavefront6targetE1EEEvT1_
    .private_segment_fixed_size: 0
    .sgpr_count:     6
    .sgpr_spill_count: 0
    .symbol:         _ZN7rocprim17ROCPRIM_400000_NS6detail17trampoline_kernelINS0_14default_configENS1_25partition_config_selectorILNS1_17partition_subalgoE2EiNS0_10empty_typeEbEEZZNS1_14partition_implILS5_2ELb0ES3_jN6thrust23THRUST_200600_302600_NS6detail15normal_iteratorINSA_7pointerIiNSA_11hip_rocprim3tagENSA_11use_defaultESG_EEEEPS6_NSA_18transform_iteratorI7is_evenIiENSC_INSA_10device_ptrIiEEEESG_SG_EENS0_5tupleIJPiSJ_EEENSR_IJSJ_SJ_EEES6_PlJS6_EEE10hipError_tPvRmT3_T4_T5_T6_T7_T9_mT8_P12ihipStream_tbDpT10_ENKUlT_T0_E_clISt17integral_constantIbLb0EES1E_IbLb1EEEEDaS1A_S1B_EUlS1A_E_NS1_11comp_targetILNS1_3genE2ELNS1_11target_archE906ELNS1_3gpuE6ELNS1_3repE0EEENS1_30default_config_static_selectorELNS0_4arch9wavefront6targetE1EEEvT1_.kd
    .uniform_work_group_size: 1
    .uses_dynamic_stack: false
    .vgpr_count:     0
    .vgpr_spill_count: 0
    .wavefront_size: 64
  - .agpr_count:     0
    .args:
      - .offset:         0
        .size:           144
        .value_kind:     by_value
    .group_segment_fixed_size: 0
    .kernarg_segment_align: 8
    .kernarg_segment_size: 144
    .language:       OpenCL C
    .language_version:
      - 2
      - 0
    .max_flat_workgroup_size: 384
    .name:           _ZN7rocprim17ROCPRIM_400000_NS6detail17trampoline_kernelINS0_14default_configENS1_25partition_config_selectorILNS1_17partition_subalgoE2EiNS0_10empty_typeEbEEZZNS1_14partition_implILS5_2ELb0ES3_jN6thrust23THRUST_200600_302600_NS6detail15normal_iteratorINSA_7pointerIiNSA_11hip_rocprim3tagENSA_11use_defaultESG_EEEEPS6_NSA_18transform_iteratorI7is_evenIiENSC_INSA_10device_ptrIiEEEESG_SG_EENS0_5tupleIJPiSJ_EEENSR_IJSJ_SJ_EEES6_PlJS6_EEE10hipError_tPvRmT3_T4_T5_T6_T7_T9_mT8_P12ihipStream_tbDpT10_ENKUlT_T0_E_clISt17integral_constantIbLb0EES1E_IbLb1EEEEDaS1A_S1B_EUlS1A_E_NS1_11comp_targetILNS1_3genE10ELNS1_11target_archE1200ELNS1_3gpuE4ELNS1_3repE0EEENS1_30default_config_static_selectorELNS0_4arch9wavefront6targetE1EEEvT1_
    .private_segment_fixed_size: 0
    .sgpr_count:     6
    .sgpr_spill_count: 0
    .symbol:         _ZN7rocprim17ROCPRIM_400000_NS6detail17trampoline_kernelINS0_14default_configENS1_25partition_config_selectorILNS1_17partition_subalgoE2EiNS0_10empty_typeEbEEZZNS1_14partition_implILS5_2ELb0ES3_jN6thrust23THRUST_200600_302600_NS6detail15normal_iteratorINSA_7pointerIiNSA_11hip_rocprim3tagENSA_11use_defaultESG_EEEEPS6_NSA_18transform_iteratorI7is_evenIiENSC_INSA_10device_ptrIiEEEESG_SG_EENS0_5tupleIJPiSJ_EEENSR_IJSJ_SJ_EEES6_PlJS6_EEE10hipError_tPvRmT3_T4_T5_T6_T7_T9_mT8_P12ihipStream_tbDpT10_ENKUlT_T0_E_clISt17integral_constantIbLb0EES1E_IbLb1EEEEDaS1A_S1B_EUlS1A_E_NS1_11comp_targetILNS1_3genE10ELNS1_11target_archE1200ELNS1_3gpuE4ELNS1_3repE0EEENS1_30default_config_static_selectorELNS0_4arch9wavefront6targetE1EEEvT1_.kd
    .uniform_work_group_size: 1
    .uses_dynamic_stack: false
    .vgpr_count:     0
    .vgpr_spill_count: 0
    .wavefront_size: 64
  - .agpr_count:     0
    .args:
      - .offset:         0
        .size:           144
        .value_kind:     by_value
    .group_segment_fixed_size: 0
    .kernarg_segment_align: 8
    .kernarg_segment_size: 144
    .language:       OpenCL C
    .language_version:
      - 2
      - 0
    .max_flat_workgroup_size: 128
    .name:           _ZN7rocprim17ROCPRIM_400000_NS6detail17trampoline_kernelINS0_14default_configENS1_25partition_config_selectorILNS1_17partition_subalgoE2EiNS0_10empty_typeEbEEZZNS1_14partition_implILS5_2ELb0ES3_jN6thrust23THRUST_200600_302600_NS6detail15normal_iteratorINSA_7pointerIiNSA_11hip_rocprim3tagENSA_11use_defaultESG_EEEEPS6_NSA_18transform_iteratorI7is_evenIiENSC_INSA_10device_ptrIiEEEESG_SG_EENS0_5tupleIJPiSJ_EEENSR_IJSJ_SJ_EEES6_PlJS6_EEE10hipError_tPvRmT3_T4_T5_T6_T7_T9_mT8_P12ihipStream_tbDpT10_ENKUlT_T0_E_clISt17integral_constantIbLb0EES1E_IbLb1EEEEDaS1A_S1B_EUlS1A_E_NS1_11comp_targetILNS1_3genE9ELNS1_11target_archE1100ELNS1_3gpuE3ELNS1_3repE0EEENS1_30default_config_static_selectorELNS0_4arch9wavefront6targetE1EEEvT1_
    .private_segment_fixed_size: 0
    .sgpr_count:     6
    .sgpr_spill_count: 0
    .symbol:         _ZN7rocprim17ROCPRIM_400000_NS6detail17trampoline_kernelINS0_14default_configENS1_25partition_config_selectorILNS1_17partition_subalgoE2EiNS0_10empty_typeEbEEZZNS1_14partition_implILS5_2ELb0ES3_jN6thrust23THRUST_200600_302600_NS6detail15normal_iteratorINSA_7pointerIiNSA_11hip_rocprim3tagENSA_11use_defaultESG_EEEEPS6_NSA_18transform_iteratorI7is_evenIiENSC_INSA_10device_ptrIiEEEESG_SG_EENS0_5tupleIJPiSJ_EEENSR_IJSJ_SJ_EEES6_PlJS6_EEE10hipError_tPvRmT3_T4_T5_T6_T7_T9_mT8_P12ihipStream_tbDpT10_ENKUlT_T0_E_clISt17integral_constantIbLb0EES1E_IbLb1EEEEDaS1A_S1B_EUlS1A_E_NS1_11comp_targetILNS1_3genE9ELNS1_11target_archE1100ELNS1_3gpuE3ELNS1_3repE0EEENS1_30default_config_static_selectorELNS0_4arch9wavefront6targetE1EEEvT1_.kd
    .uniform_work_group_size: 1
    .uses_dynamic_stack: false
    .vgpr_count:     0
    .vgpr_spill_count: 0
    .wavefront_size: 64
  - .agpr_count:     0
    .args:
      - .offset:         0
        .size:           144
        .value_kind:     by_value
    .group_segment_fixed_size: 0
    .kernarg_segment_align: 8
    .kernarg_segment_size: 144
    .language:       OpenCL C
    .language_version:
      - 2
      - 0
    .max_flat_workgroup_size: 512
    .name:           _ZN7rocprim17ROCPRIM_400000_NS6detail17trampoline_kernelINS0_14default_configENS1_25partition_config_selectorILNS1_17partition_subalgoE2EiNS0_10empty_typeEbEEZZNS1_14partition_implILS5_2ELb0ES3_jN6thrust23THRUST_200600_302600_NS6detail15normal_iteratorINSA_7pointerIiNSA_11hip_rocprim3tagENSA_11use_defaultESG_EEEEPS6_NSA_18transform_iteratorI7is_evenIiENSC_INSA_10device_ptrIiEEEESG_SG_EENS0_5tupleIJPiSJ_EEENSR_IJSJ_SJ_EEES6_PlJS6_EEE10hipError_tPvRmT3_T4_T5_T6_T7_T9_mT8_P12ihipStream_tbDpT10_ENKUlT_T0_E_clISt17integral_constantIbLb0EES1E_IbLb1EEEEDaS1A_S1B_EUlS1A_E_NS1_11comp_targetILNS1_3genE8ELNS1_11target_archE1030ELNS1_3gpuE2ELNS1_3repE0EEENS1_30default_config_static_selectorELNS0_4arch9wavefront6targetE1EEEvT1_
    .private_segment_fixed_size: 0
    .sgpr_count:     6
    .sgpr_spill_count: 0
    .symbol:         _ZN7rocprim17ROCPRIM_400000_NS6detail17trampoline_kernelINS0_14default_configENS1_25partition_config_selectorILNS1_17partition_subalgoE2EiNS0_10empty_typeEbEEZZNS1_14partition_implILS5_2ELb0ES3_jN6thrust23THRUST_200600_302600_NS6detail15normal_iteratorINSA_7pointerIiNSA_11hip_rocprim3tagENSA_11use_defaultESG_EEEEPS6_NSA_18transform_iteratorI7is_evenIiENSC_INSA_10device_ptrIiEEEESG_SG_EENS0_5tupleIJPiSJ_EEENSR_IJSJ_SJ_EEES6_PlJS6_EEE10hipError_tPvRmT3_T4_T5_T6_T7_T9_mT8_P12ihipStream_tbDpT10_ENKUlT_T0_E_clISt17integral_constantIbLb0EES1E_IbLb1EEEEDaS1A_S1B_EUlS1A_E_NS1_11comp_targetILNS1_3genE8ELNS1_11target_archE1030ELNS1_3gpuE2ELNS1_3repE0EEENS1_30default_config_static_selectorELNS0_4arch9wavefront6targetE1EEEvT1_.kd
    .uniform_work_group_size: 1
    .uses_dynamic_stack: false
    .vgpr_count:     0
    .vgpr_spill_count: 0
    .wavefront_size: 64
  - .agpr_count:     0
    .args:
      - .offset:         0
        .size:           16
        .value_kind:     by_value
      - .offset:         16
        .size:           8
        .value_kind:     by_value
      - .offset:         24
        .size:           8
        .value_kind:     by_value
    .group_segment_fixed_size: 0
    .kernarg_segment_align: 8
    .kernarg_segment_size: 32
    .language:       OpenCL C
    .language_version:
      - 2
      - 0
    .max_flat_workgroup_size: 256
    .name:           _ZN6thrust23THRUST_200600_302600_NS11hip_rocprim14__parallel_for6kernelILj256ENS1_13__swap_ranges6swap_fINS0_6detail15normal_iteratorINS0_10device_ptrIiEEEENS0_16reverse_iteratorISA_EEEElLj1EEEvT0_T1_SF_
    .private_segment_fixed_size: 0
    .sgpr_count:     18
    .sgpr_spill_count: 0
    .symbol:         _ZN6thrust23THRUST_200600_302600_NS11hip_rocprim14__parallel_for6kernelILj256ENS1_13__swap_ranges6swap_fINS0_6detail15normal_iteratorINS0_10device_ptrIiEEEENS0_16reverse_iteratorISA_EEEElLj1EEEvT0_T1_SF_.kd
    .uniform_work_group_size: 1
    .uses_dynamic_stack: false
    .vgpr_count:     7
    .vgpr_spill_count: 0
    .wavefront_size: 64
  - .agpr_count:     0
    .args:
      - .offset:         0
        .size:           128
        .value_kind:     by_value
    .group_segment_fixed_size: 0
    .kernarg_segment_align: 8
    .kernarg_segment_size: 128
    .language:       OpenCL C
    .language_version:
      - 2
      - 0
    .max_flat_workgroup_size: 256
    .name:           _ZN7rocprim17ROCPRIM_400000_NS6detail17trampoline_kernelINS0_14default_configENS1_25partition_config_selectorILNS1_17partition_subalgoE2EsNS0_10empty_typeEbEEZZNS1_14partition_implILS5_2ELb0ES3_jN6thrust23THRUST_200600_302600_NS6detail15normal_iteratorINSA_7pointerIsNSA_11hip_rocprim3tagENSA_11use_defaultESG_EEEEPS6_NSA_18transform_iteratorI7is_evenIsENSC_INSA_10device_ptrIsEEEESG_SG_EENS0_5tupleIJPsSJ_EEENSR_IJSJ_SJ_EEES6_PlJS6_EEE10hipError_tPvRmT3_T4_T5_T6_T7_T9_mT8_P12ihipStream_tbDpT10_ENKUlT_T0_E_clISt17integral_constantIbLb0EES1F_EEDaS1A_S1B_EUlS1A_E_NS1_11comp_targetILNS1_3genE0ELNS1_11target_archE4294967295ELNS1_3gpuE0ELNS1_3repE0EEENS1_30default_config_static_selectorELNS0_4arch9wavefront6targetE1EEEvT1_
    .private_segment_fixed_size: 0
    .sgpr_count:     6
    .sgpr_spill_count: 0
    .symbol:         _ZN7rocprim17ROCPRIM_400000_NS6detail17trampoline_kernelINS0_14default_configENS1_25partition_config_selectorILNS1_17partition_subalgoE2EsNS0_10empty_typeEbEEZZNS1_14partition_implILS5_2ELb0ES3_jN6thrust23THRUST_200600_302600_NS6detail15normal_iteratorINSA_7pointerIsNSA_11hip_rocprim3tagENSA_11use_defaultESG_EEEEPS6_NSA_18transform_iteratorI7is_evenIsENSC_INSA_10device_ptrIsEEEESG_SG_EENS0_5tupleIJPsSJ_EEENSR_IJSJ_SJ_EEES6_PlJS6_EEE10hipError_tPvRmT3_T4_T5_T6_T7_T9_mT8_P12ihipStream_tbDpT10_ENKUlT_T0_E_clISt17integral_constantIbLb0EES1F_EEDaS1A_S1B_EUlS1A_E_NS1_11comp_targetILNS1_3genE0ELNS1_11target_archE4294967295ELNS1_3gpuE0ELNS1_3repE0EEENS1_30default_config_static_selectorELNS0_4arch9wavefront6targetE1EEEvT1_.kd
    .uniform_work_group_size: 1
    .uses_dynamic_stack: false
    .vgpr_count:     0
    .vgpr_spill_count: 0
    .wavefront_size: 64
  - .agpr_count:     0
    .args:
      - .offset:         0
        .size:           128
        .value_kind:     by_value
    .group_segment_fixed_size: 30728
    .kernarg_segment_align: 8
    .kernarg_segment_size: 128
    .language:       OpenCL C
    .language_version:
      - 2
      - 0
    .max_flat_workgroup_size: 512
    .name:           _ZN7rocprim17ROCPRIM_400000_NS6detail17trampoline_kernelINS0_14default_configENS1_25partition_config_selectorILNS1_17partition_subalgoE2EsNS0_10empty_typeEbEEZZNS1_14partition_implILS5_2ELb0ES3_jN6thrust23THRUST_200600_302600_NS6detail15normal_iteratorINSA_7pointerIsNSA_11hip_rocprim3tagENSA_11use_defaultESG_EEEEPS6_NSA_18transform_iteratorI7is_evenIsENSC_INSA_10device_ptrIsEEEESG_SG_EENS0_5tupleIJPsSJ_EEENSR_IJSJ_SJ_EEES6_PlJS6_EEE10hipError_tPvRmT3_T4_T5_T6_T7_T9_mT8_P12ihipStream_tbDpT10_ENKUlT_T0_E_clISt17integral_constantIbLb0EES1F_EEDaS1A_S1B_EUlS1A_E_NS1_11comp_targetILNS1_3genE5ELNS1_11target_archE942ELNS1_3gpuE9ELNS1_3repE0EEENS1_30default_config_static_selectorELNS0_4arch9wavefront6targetE1EEEvT1_
    .private_segment_fixed_size: 0
    .sgpr_count:     52
    .sgpr_spill_count: 0
    .symbol:         _ZN7rocprim17ROCPRIM_400000_NS6detail17trampoline_kernelINS0_14default_configENS1_25partition_config_selectorILNS1_17partition_subalgoE2EsNS0_10empty_typeEbEEZZNS1_14partition_implILS5_2ELb0ES3_jN6thrust23THRUST_200600_302600_NS6detail15normal_iteratorINSA_7pointerIsNSA_11hip_rocprim3tagENSA_11use_defaultESG_EEEEPS6_NSA_18transform_iteratorI7is_evenIsENSC_INSA_10device_ptrIsEEEESG_SG_EENS0_5tupleIJPsSJ_EEENSR_IJSJ_SJ_EEES6_PlJS6_EEE10hipError_tPvRmT3_T4_T5_T6_T7_T9_mT8_P12ihipStream_tbDpT10_ENKUlT_T0_E_clISt17integral_constantIbLb0EES1F_EEDaS1A_S1B_EUlS1A_E_NS1_11comp_targetILNS1_3genE5ELNS1_11target_archE942ELNS1_3gpuE9ELNS1_3repE0EEENS1_30default_config_static_selectorELNS0_4arch9wavefront6targetE1EEEvT1_.kd
    .uniform_work_group_size: 1
    .uses_dynamic_stack: false
    .vgpr_count:     100
    .vgpr_spill_count: 0
    .wavefront_size: 64
  - .agpr_count:     0
    .args:
      - .offset:         0
        .size:           128
        .value_kind:     by_value
    .group_segment_fixed_size: 0
    .kernarg_segment_align: 8
    .kernarg_segment_size: 128
    .language:       OpenCL C
    .language_version:
      - 2
      - 0
    .max_flat_workgroup_size: 256
    .name:           _ZN7rocprim17ROCPRIM_400000_NS6detail17trampoline_kernelINS0_14default_configENS1_25partition_config_selectorILNS1_17partition_subalgoE2EsNS0_10empty_typeEbEEZZNS1_14partition_implILS5_2ELb0ES3_jN6thrust23THRUST_200600_302600_NS6detail15normal_iteratorINSA_7pointerIsNSA_11hip_rocprim3tagENSA_11use_defaultESG_EEEEPS6_NSA_18transform_iteratorI7is_evenIsENSC_INSA_10device_ptrIsEEEESG_SG_EENS0_5tupleIJPsSJ_EEENSR_IJSJ_SJ_EEES6_PlJS6_EEE10hipError_tPvRmT3_T4_T5_T6_T7_T9_mT8_P12ihipStream_tbDpT10_ENKUlT_T0_E_clISt17integral_constantIbLb0EES1F_EEDaS1A_S1B_EUlS1A_E_NS1_11comp_targetILNS1_3genE4ELNS1_11target_archE910ELNS1_3gpuE8ELNS1_3repE0EEENS1_30default_config_static_selectorELNS0_4arch9wavefront6targetE1EEEvT1_
    .private_segment_fixed_size: 0
    .sgpr_count:     6
    .sgpr_spill_count: 0
    .symbol:         _ZN7rocprim17ROCPRIM_400000_NS6detail17trampoline_kernelINS0_14default_configENS1_25partition_config_selectorILNS1_17partition_subalgoE2EsNS0_10empty_typeEbEEZZNS1_14partition_implILS5_2ELb0ES3_jN6thrust23THRUST_200600_302600_NS6detail15normal_iteratorINSA_7pointerIsNSA_11hip_rocprim3tagENSA_11use_defaultESG_EEEEPS6_NSA_18transform_iteratorI7is_evenIsENSC_INSA_10device_ptrIsEEEESG_SG_EENS0_5tupleIJPsSJ_EEENSR_IJSJ_SJ_EEES6_PlJS6_EEE10hipError_tPvRmT3_T4_T5_T6_T7_T9_mT8_P12ihipStream_tbDpT10_ENKUlT_T0_E_clISt17integral_constantIbLb0EES1F_EEDaS1A_S1B_EUlS1A_E_NS1_11comp_targetILNS1_3genE4ELNS1_11target_archE910ELNS1_3gpuE8ELNS1_3repE0EEENS1_30default_config_static_selectorELNS0_4arch9wavefront6targetE1EEEvT1_.kd
    .uniform_work_group_size: 1
    .uses_dynamic_stack: false
    .vgpr_count:     0
    .vgpr_spill_count: 0
    .wavefront_size: 64
  - .agpr_count:     0
    .args:
      - .offset:         0
        .size:           128
        .value_kind:     by_value
    .group_segment_fixed_size: 0
    .kernarg_segment_align: 8
    .kernarg_segment_size: 128
    .language:       OpenCL C
    .language_version:
      - 2
      - 0
    .max_flat_workgroup_size: 256
    .name:           _ZN7rocprim17ROCPRIM_400000_NS6detail17trampoline_kernelINS0_14default_configENS1_25partition_config_selectorILNS1_17partition_subalgoE2EsNS0_10empty_typeEbEEZZNS1_14partition_implILS5_2ELb0ES3_jN6thrust23THRUST_200600_302600_NS6detail15normal_iteratorINSA_7pointerIsNSA_11hip_rocprim3tagENSA_11use_defaultESG_EEEEPS6_NSA_18transform_iteratorI7is_evenIsENSC_INSA_10device_ptrIsEEEESG_SG_EENS0_5tupleIJPsSJ_EEENSR_IJSJ_SJ_EEES6_PlJS6_EEE10hipError_tPvRmT3_T4_T5_T6_T7_T9_mT8_P12ihipStream_tbDpT10_ENKUlT_T0_E_clISt17integral_constantIbLb0EES1F_EEDaS1A_S1B_EUlS1A_E_NS1_11comp_targetILNS1_3genE3ELNS1_11target_archE908ELNS1_3gpuE7ELNS1_3repE0EEENS1_30default_config_static_selectorELNS0_4arch9wavefront6targetE1EEEvT1_
    .private_segment_fixed_size: 0
    .sgpr_count:     6
    .sgpr_spill_count: 0
    .symbol:         _ZN7rocprim17ROCPRIM_400000_NS6detail17trampoline_kernelINS0_14default_configENS1_25partition_config_selectorILNS1_17partition_subalgoE2EsNS0_10empty_typeEbEEZZNS1_14partition_implILS5_2ELb0ES3_jN6thrust23THRUST_200600_302600_NS6detail15normal_iteratorINSA_7pointerIsNSA_11hip_rocprim3tagENSA_11use_defaultESG_EEEEPS6_NSA_18transform_iteratorI7is_evenIsENSC_INSA_10device_ptrIsEEEESG_SG_EENS0_5tupleIJPsSJ_EEENSR_IJSJ_SJ_EEES6_PlJS6_EEE10hipError_tPvRmT3_T4_T5_T6_T7_T9_mT8_P12ihipStream_tbDpT10_ENKUlT_T0_E_clISt17integral_constantIbLb0EES1F_EEDaS1A_S1B_EUlS1A_E_NS1_11comp_targetILNS1_3genE3ELNS1_11target_archE908ELNS1_3gpuE7ELNS1_3repE0EEENS1_30default_config_static_selectorELNS0_4arch9wavefront6targetE1EEEvT1_.kd
    .uniform_work_group_size: 1
    .uses_dynamic_stack: false
    .vgpr_count:     0
    .vgpr_spill_count: 0
    .wavefront_size: 64
  - .agpr_count:     0
    .args:
      - .offset:         0
        .size:           128
        .value_kind:     by_value
    .group_segment_fixed_size: 0
    .kernarg_segment_align: 8
    .kernarg_segment_size: 128
    .language:       OpenCL C
    .language_version:
      - 2
      - 0
    .max_flat_workgroup_size: 256
    .name:           _ZN7rocprim17ROCPRIM_400000_NS6detail17trampoline_kernelINS0_14default_configENS1_25partition_config_selectorILNS1_17partition_subalgoE2EsNS0_10empty_typeEbEEZZNS1_14partition_implILS5_2ELb0ES3_jN6thrust23THRUST_200600_302600_NS6detail15normal_iteratorINSA_7pointerIsNSA_11hip_rocprim3tagENSA_11use_defaultESG_EEEEPS6_NSA_18transform_iteratorI7is_evenIsENSC_INSA_10device_ptrIsEEEESG_SG_EENS0_5tupleIJPsSJ_EEENSR_IJSJ_SJ_EEES6_PlJS6_EEE10hipError_tPvRmT3_T4_T5_T6_T7_T9_mT8_P12ihipStream_tbDpT10_ENKUlT_T0_E_clISt17integral_constantIbLb0EES1F_EEDaS1A_S1B_EUlS1A_E_NS1_11comp_targetILNS1_3genE2ELNS1_11target_archE906ELNS1_3gpuE6ELNS1_3repE0EEENS1_30default_config_static_selectorELNS0_4arch9wavefront6targetE1EEEvT1_
    .private_segment_fixed_size: 0
    .sgpr_count:     6
    .sgpr_spill_count: 0
    .symbol:         _ZN7rocprim17ROCPRIM_400000_NS6detail17trampoline_kernelINS0_14default_configENS1_25partition_config_selectorILNS1_17partition_subalgoE2EsNS0_10empty_typeEbEEZZNS1_14partition_implILS5_2ELb0ES3_jN6thrust23THRUST_200600_302600_NS6detail15normal_iteratorINSA_7pointerIsNSA_11hip_rocprim3tagENSA_11use_defaultESG_EEEEPS6_NSA_18transform_iteratorI7is_evenIsENSC_INSA_10device_ptrIsEEEESG_SG_EENS0_5tupleIJPsSJ_EEENSR_IJSJ_SJ_EEES6_PlJS6_EEE10hipError_tPvRmT3_T4_T5_T6_T7_T9_mT8_P12ihipStream_tbDpT10_ENKUlT_T0_E_clISt17integral_constantIbLb0EES1F_EEDaS1A_S1B_EUlS1A_E_NS1_11comp_targetILNS1_3genE2ELNS1_11target_archE906ELNS1_3gpuE6ELNS1_3repE0EEENS1_30default_config_static_selectorELNS0_4arch9wavefront6targetE1EEEvT1_.kd
    .uniform_work_group_size: 1
    .uses_dynamic_stack: false
    .vgpr_count:     0
    .vgpr_spill_count: 0
    .wavefront_size: 64
  - .agpr_count:     0
    .args:
      - .offset:         0
        .size:           128
        .value_kind:     by_value
    .group_segment_fixed_size: 0
    .kernarg_segment_align: 8
    .kernarg_segment_size: 128
    .language:       OpenCL C
    .language_version:
      - 2
      - 0
    .max_flat_workgroup_size: 256
    .name:           _ZN7rocprim17ROCPRIM_400000_NS6detail17trampoline_kernelINS0_14default_configENS1_25partition_config_selectorILNS1_17partition_subalgoE2EsNS0_10empty_typeEbEEZZNS1_14partition_implILS5_2ELb0ES3_jN6thrust23THRUST_200600_302600_NS6detail15normal_iteratorINSA_7pointerIsNSA_11hip_rocprim3tagENSA_11use_defaultESG_EEEEPS6_NSA_18transform_iteratorI7is_evenIsENSC_INSA_10device_ptrIsEEEESG_SG_EENS0_5tupleIJPsSJ_EEENSR_IJSJ_SJ_EEES6_PlJS6_EEE10hipError_tPvRmT3_T4_T5_T6_T7_T9_mT8_P12ihipStream_tbDpT10_ENKUlT_T0_E_clISt17integral_constantIbLb0EES1F_EEDaS1A_S1B_EUlS1A_E_NS1_11comp_targetILNS1_3genE10ELNS1_11target_archE1200ELNS1_3gpuE4ELNS1_3repE0EEENS1_30default_config_static_selectorELNS0_4arch9wavefront6targetE1EEEvT1_
    .private_segment_fixed_size: 0
    .sgpr_count:     6
    .sgpr_spill_count: 0
    .symbol:         _ZN7rocprim17ROCPRIM_400000_NS6detail17trampoline_kernelINS0_14default_configENS1_25partition_config_selectorILNS1_17partition_subalgoE2EsNS0_10empty_typeEbEEZZNS1_14partition_implILS5_2ELb0ES3_jN6thrust23THRUST_200600_302600_NS6detail15normal_iteratorINSA_7pointerIsNSA_11hip_rocprim3tagENSA_11use_defaultESG_EEEEPS6_NSA_18transform_iteratorI7is_evenIsENSC_INSA_10device_ptrIsEEEESG_SG_EENS0_5tupleIJPsSJ_EEENSR_IJSJ_SJ_EEES6_PlJS6_EEE10hipError_tPvRmT3_T4_T5_T6_T7_T9_mT8_P12ihipStream_tbDpT10_ENKUlT_T0_E_clISt17integral_constantIbLb0EES1F_EEDaS1A_S1B_EUlS1A_E_NS1_11comp_targetILNS1_3genE10ELNS1_11target_archE1200ELNS1_3gpuE4ELNS1_3repE0EEENS1_30default_config_static_selectorELNS0_4arch9wavefront6targetE1EEEvT1_.kd
    .uniform_work_group_size: 1
    .uses_dynamic_stack: false
    .vgpr_count:     0
    .vgpr_spill_count: 0
    .wavefront_size: 64
  - .agpr_count:     0
    .args:
      - .offset:         0
        .size:           128
        .value_kind:     by_value
    .group_segment_fixed_size: 0
    .kernarg_segment_align: 8
    .kernarg_segment_size: 128
    .language:       OpenCL C
    .language_version:
      - 2
      - 0
    .max_flat_workgroup_size: 128
    .name:           _ZN7rocprim17ROCPRIM_400000_NS6detail17trampoline_kernelINS0_14default_configENS1_25partition_config_selectorILNS1_17partition_subalgoE2EsNS0_10empty_typeEbEEZZNS1_14partition_implILS5_2ELb0ES3_jN6thrust23THRUST_200600_302600_NS6detail15normal_iteratorINSA_7pointerIsNSA_11hip_rocprim3tagENSA_11use_defaultESG_EEEEPS6_NSA_18transform_iteratorI7is_evenIsENSC_INSA_10device_ptrIsEEEESG_SG_EENS0_5tupleIJPsSJ_EEENSR_IJSJ_SJ_EEES6_PlJS6_EEE10hipError_tPvRmT3_T4_T5_T6_T7_T9_mT8_P12ihipStream_tbDpT10_ENKUlT_T0_E_clISt17integral_constantIbLb0EES1F_EEDaS1A_S1B_EUlS1A_E_NS1_11comp_targetILNS1_3genE9ELNS1_11target_archE1100ELNS1_3gpuE3ELNS1_3repE0EEENS1_30default_config_static_selectorELNS0_4arch9wavefront6targetE1EEEvT1_
    .private_segment_fixed_size: 0
    .sgpr_count:     6
    .sgpr_spill_count: 0
    .symbol:         _ZN7rocprim17ROCPRIM_400000_NS6detail17trampoline_kernelINS0_14default_configENS1_25partition_config_selectorILNS1_17partition_subalgoE2EsNS0_10empty_typeEbEEZZNS1_14partition_implILS5_2ELb0ES3_jN6thrust23THRUST_200600_302600_NS6detail15normal_iteratorINSA_7pointerIsNSA_11hip_rocprim3tagENSA_11use_defaultESG_EEEEPS6_NSA_18transform_iteratorI7is_evenIsENSC_INSA_10device_ptrIsEEEESG_SG_EENS0_5tupleIJPsSJ_EEENSR_IJSJ_SJ_EEES6_PlJS6_EEE10hipError_tPvRmT3_T4_T5_T6_T7_T9_mT8_P12ihipStream_tbDpT10_ENKUlT_T0_E_clISt17integral_constantIbLb0EES1F_EEDaS1A_S1B_EUlS1A_E_NS1_11comp_targetILNS1_3genE9ELNS1_11target_archE1100ELNS1_3gpuE3ELNS1_3repE0EEENS1_30default_config_static_selectorELNS0_4arch9wavefront6targetE1EEEvT1_.kd
    .uniform_work_group_size: 1
    .uses_dynamic_stack: false
    .vgpr_count:     0
    .vgpr_spill_count: 0
    .wavefront_size: 64
  - .agpr_count:     0
    .args:
      - .offset:         0
        .size:           128
        .value_kind:     by_value
    .group_segment_fixed_size: 0
    .kernarg_segment_align: 8
    .kernarg_segment_size: 128
    .language:       OpenCL C
    .language_version:
      - 2
      - 0
    .max_flat_workgroup_size: 512
    .name:           _ZN7rocprim17ROCPRIM_400000_NS6detail17trampoline_kernelINS0_14default_configENS1_25partition_config_selectorILNS1_17partition_subalgoE2EsNS0_10empty_typeEbEEZZNS1_14partition_implILS5_2ELb0ES3_jN6thrust23THRUST_200600_302600_NS6detail15normal_iteratorINSA_7pointerIsNSA_11hip_rocprim3tagENSA_11use_defaultESG_EEEEPS6_NSA_18transform_iteratorI7is_evenIsENSC_INSA_10device_ptrIsEEEESG_SG_EENS0_5tupleIJPsSJ_EEENSR_IJSJ_SJ_EEES6_PlJS6_EEE10hipError_tPvRmT3_T4_T5_T6_T7_T9_mT8_P12ihipStream_tbDpT10_ENKUlT_T0_E_clISt17integral_constantIbLb0EES1F_EEDaS1A_S1B_EUlS1A_E_NS1_11comp_targetILNS1_3genE8ELNS1_11target_archE1030ELNS1_3gpuE2ELNS1_3repE0EEENS1_30default_config_static_selectorELNS0_4arch9wavefront6targetE1EEEvT1_
    .private_segment_fixed_size: 0
    .sgpr_count:     6
    .sgpr_spill_count: 0
    .symbol:         _ZN7rocprim17ROCPRIM_400000_NS6detail17trampoline_kernelINS0_14default_configENS1_25partition_config_selectorILNS1_17partition_subalgoE2EsNS0_10empty_typeEbEEZZNS1_14partition_implILS5_2ELb0ES3_jN6thrust23THRUST_200600_302600_NS6detail15normal_iteratorINSA_7pointerIsNSA_11hip_rocprim3tagENSA_11use_defaultESG_EEEEPS6_NSA_18transform_iteratorI7is_evenIsENSC_INSA_10device_ptrIsEEEESG_SG_EENS0_5tupleIJPsSJ_EEENSR_IJSJ_SJ_EEES6_PlJS6_EEE10hipError_tPvRmT3_T4_T5_T6_T7_T9_mT8_P12ihipStream_tbDpT10_ENKUlT_T0_E_clISt17integral_constantIbLb0EES1F_EEDaS1A_S1B_EUlS1A_E_NS1_11comp_targetILNS1_3genE8ELNS1_11target_archE1030ELNS1_3gpuE2ELNS1_3repE0EEENS1_30default_config_static_selectorELNS0_4arch9wavefront6targetE1EEEvT1_.kd
    .uniform_work_group_size: 1
    .uses_dynamic_stack: false
    .vgpr_count:     0
    .vgpr_spill_count: 0
    .wavefront_size: 64
  - .agpr_count:     0
    .args:
      - .offset:         0
        .size:           144
        .value_kind:     by_value
    .group_segment_fixed_size: 0
    .kernarg_segment_align: 8
    .kernarg_segment_size: 144
    .language:       OpenCL C
    .language_version:
      - 2
      - 0
    .max_flat_workgroup_size: 256
    .name:           _ZN7rocprim17ROCPRIM_400000_NS6detail17trampoline_kernelINS0_14default_configENS1_25partition_config_selectorILNS1_17partition_subalgoE2EsNS0_10empty_typeEbEEZZNS1_14partition_implILS5_2ELb0ES3_jN6thrust23THRUST_200600_302600_NS6detail15normal_iteratorINSA_7pointerIsNSA_11hip_rocprim3tagENSA_11use_defaultESG_EEEEPS6_NSA_18transform_iteratorI7is_evenIsENSC_INSA_10device_ptrIsEEEESG_SG_EENS0_5tupleIJPsSJ_EEENSR_IJSJ_SJ_EEES6_PlJS6_EEE10hipError_tPvRmT3_T4_T5_T6_T7_T9_mT8_P12ihipStream_tbDpT10_ENKUlT_T0_E_clISt17integral_constantIbLb1EES1F_EEDaS1A_S1B_EUlS1A_E_NS1_11comp_targetILNS1_3genE0ELNS1_11target_archE4294967295ELNS1_3gpuE0ELNS1_3repE0EEENS1_30default_config_static_selectorELNS0_4arch9wavefront6targetE1EEEvT1_
    .private_segment_fixed_size: 0
    .sgpr_count:     6
    .sgpr_spill_count: 0
    .symbol:         _ZN7rocprim17ROCPRIM_400000_NS6detail17trampoline_kernelINS0_14default_configENS1_25partition_config_selectorILNS1_17partition_subalgoE2EsNS0_10empty_typeEbEEZZNS1_14partition_implILS5_2ELb0ES3_jN6thrust23THRUST_200600_302600_NS6detail15normal_iteratorINSA_7pointerIsNSA_11hip_rocprim3tagENSA_11use_defaultESG_EEEEPS6_NSA_18transform_iteratorI7is_evenIsENSC_INSA_10device_ptrIsEEEESG_SG_EENS0_5tupleIJPsSJ_EEENSR_IJSJ_SJ_EEES6_PlJS6_EEE10hipError_tPvRmT3_T4_T5_T6_T7_T9_mT8_P12ihipStream_tbDpT10_ENKUlT_T0_E_clISt17integral_constantIbLb1EES1F_EEDaS1A_S1B_EUlS1A_E_NS1_11comp_targetILNS1_3genE0ELNS1_11target_archE4294967295ELNS1_3gpuE0ELNS1_3repE0EEENS1_30default_config_static_selectorELNS0_4arch9wavefront6targetE1EEEvT1_.kd
    .uniform_work_group_size: 1
    .uses_dynamic_stack: false
    .vgpr_count:     0
    .vgpr_spill_count: 0
    .wavefront_size: 64
  - .agpr_count:     0
    .args:
      - .offset:         0
        .size:           144
        .value_kind:     by_value
    .group_segment_fixed_size: 30728
    .kernarg_segment_align: 8
    .kernarg_segment_size: 144
    .language:       OpenCL C
    .language_version:
      - 2
      - 0
    .max_flat_workgroup_size: 512
    .name:           _ZN7rocprim17ROCPRIM_400000_NS6detail17trampoline_kernelINS0_14default_configENS1_25partition_config_selectorILNS1_17partition_subalgoE2EsNS0_10empty_typeEbEEZZNS1_14partition_implILS5_2ELb0ES3_jN6thrust23THRUST_200600_302600_NS6detail15normal_iteratorINSA_7pointerIsNSA_11hip_rocprim3tagENSA_11use_defaultESG_EEEEPS6_NSA_18transform_iteratorI7is_evenIsENSC_INSA_10device_ptrIsEEEESG_SG_EENS0_5tupleIJPsSJ_EEENSR_IJSJ_SJ_EEES6_PlJS6_EEE10hipError_tPvRmT3_T4_T5_T6_T7_T9_mT8_P12ihipStream_tbDpT10_ENKUlT_T0_E_clISt17integral_constantIbLb1EES1F_EEDaS1A_S1B_EUlS1A_E_NS1_11comp_targetILNS1_3genE5ELNS1_11target_archE942ELNS1_3gpuE9ELNS1_3repE0EEENS1_30default_config_static_selectorELNS0_4arch9wavefront6targetE1EEEvT1_
    .private_segment_fixed_size: 0
    .sgpr_count:     52
    .sgpr_spill_count: 0
    .symbol:         _ZN7rocprim17ROCPRIM_400000_NS6detail17trampoline_kernelINS0_14default_configENS1_25partition_config_selectorILNS1_17partition_subalgoE2EsNS0_10empty_typeEbEEZZNS1_14partition_implILS5_2ELb0ES3_jN6thrust23THRUST_200600_302600_NS6detail15normal_iteratorINSA_7pointerIsNSA_11hip_rocprim3tagENSA_11use_defaultESG_EEEEPS6_NSA_18transform_iteratorI7is_evenIsENSC_INSA_10device_ptrIsEEEESG_SG_EENS0_5tupleIJPsSJ_EEENSR_IJSJ_SJ_EEES6_PlJS6_EEE10hipError_tPvRmT3_T4_T5_T6_T7_T9_mT8_P12ihipStream_tbDpT10_ENKUlT_T0_E_clISt17integral_constantIbLb1EES1F_EEDaS1A_S1B_EUlS1A_E_NS1_11comp_targetILNS1_3genE5ELNS1_11target_archE942ELNS1_3gpuE9ELNS1_3repE0EEENS1_30default_config_static_selectorELNS0_4arch9wavefront6targetE1EEEvT1_.kd
    .uniform_work_group_size: 1
    .uses_dynamic_stack: false
    .vgpr_count:     102
    .vgpr_spill_count: 0
    .wavefront_size: 64
  - .agpr_count:     0
    .args:
      - .offset:         0
        .size:           144
        .value_kind:     by_value
    .group_segment_fixed_size: 0
    .kernarg_segment_align: 8
    .kernarg_segment_size: 144
    .language:       OpenCL C
    .language_version:
      - 2
      - 0
    .max_flat_workgroup_size: 256
    .name:           _ZN7rocprim17ROCPRIM_400000_NS6detail17trampoline_kernelINS0_14default_configENS1_25partition_config_selectorILNS1_17partition_subalgoE2EsNS0_10empty_typeEbEEZZNS1_14partition_implILS5_2ELb0ES3_jN6thrust23THRUST_200600_302600_NS6detail15normal_iteratorINSA_7pointerIsNSA_11hip_rocprim3tagENSA_11use_defaultESG_EEEEPS6_NSA_18transform_iteratorI7is_evenIsENSC_INSA_10device_ptrIsEEEESG_SG_EENS0_5tupleIJPsSJ_EEENSR_IJSJ_SJ_EEES6_PlJS6_EEE10hipError_tPvRmT3_T4_T5_T6_T7_T9_mT8_P12ihipStream_tbDpT10_ENKUlT_T0_E_clISt17integral_constantIbLb1EES1F_EEDaS1A_S1B_EUlS1A_E_NS1_11comp_targetILNS1_3genE4ELNS1_11target_archE910ELNS1_3gpuE8ELNS1_3repE0EEENS1_30default_config_static_selectorELNS0_4arch9wavefront6targetE1EEEvT1_
    .private_segment_fixed_size: 0
    .sgpr_count:     6
    .sgpr_spill_count: 0
    .symbol:         _ZN7rocprim17ROCPRIM_400000_NS6detail17trampoline_kernelINS0_14default_configENS1_25partition_config_selectorILNS1_17partition_subalgoE2EsNS0_10empty_typeEbEEZZNS1_14partition_implILS5_2ELb0ES3_jN6thrust23THRUST_200600_302600_NS6detail15normal_iteratorINSA_7pointerIsNSA_11hip_rocprim3tagENSA_11use_defaultESG_EEEEPS6_NSA_18transform_iteratorI7is_evenIsENSC_INSA_10device_ptrIsEEEESG_SG_EENS0_5tupleIJPsSJ_EEENSR_IJSJ_SJ_EEES6_PlJS6_EEE10hipError_tPvRmT3_T4_T5_T6_T7_T9_mT8_P12ihipStream_tbDpT10_ENKUlT_T0_E_clISt17integral_constantIbLb1EES1F_EEDaS1A_S1B_EUlS1A_E_NS1_11comp_targetILNS1_3genE4ELNS1_11target_archE910ELNS1_3gpuE8ELNS1_3repE0EEENS1_30default_config_static_selectorELNS0_4arch9wavefront6targetE1EEEvT1_.kd
    .uniform_work_group_size: 1
    .uses_dynamic_stack: false
    .vgpr_count:     0
    .vgpr_spill_count: 0
    .wavefront_size: 64
  - .agpr_count:     0
    .args:
      - .offset:         0
        .size:           144
        .value_kind:     by_value
    .group_segment_fixed_size: 0
    .kernarg_segment_align: 8
    .kernarg_segment_size: 144
    .language:       OpenCL C
    .language_version:
      - 2
      - 0
    .max_flat_workgroup_size: 256
    .name:           _ZN7rocprim17ROCPRIM_400000_NS6detail17trampoline_kernelINS0_14default_configENS1_25partition_config_selectorILNS1_17partition_subalgoE2EsNS0_10empty_typeEbEEZZNS1_14partition_implILS5_2ELb0ES3_jN6thrust23THRUST_200600_302600_NS6detail15normal_iteratorINSA_7pointerIsNSA_11hip_rocprim3tagENSA_11use_defaultESG_EEEEPS6_NSA_18transform_iteratorI7is_evenIsENSC_INSA_10device_ptrIsEEEESG_SG_EENS0_5tupleIJPsSJ_EEENSR_IJSJ_SJ_EEES6_PlJS6_EEE10hipError_tPvRmT3_T4_T5_T6_T7_T9_mT8_P12ihipStream_tbDpT10_ENKUlT_T0_E_clISt17integral_constantIbLb1EES1F_EEDaS1A_S1B_EUlS1A_E_NS1_11comp_targetILNS1_3genE3ELNS1_11target_archE908ELNS1_3gpuE7ELNS1_3repE0EEENS1_30default_config_static_selectorELNS0_4arch9wavefront6targetE1EEEvT1_
    .private_segment_fixed_size: 0
    .sgpr_count:     6
    .sgpr_spill_count: 0
    .symbol:         _ZN7rocprim17ROCPRIM_400000_NS6detail17trampoline_kernelINS0_14default_configENS1_25partition_config_selectorILNS1_17partition_subalgoE2EsNS0_10empty_typeEbEEZZNS1_14partition_implILS5_2ELb0ES3_jN6thrust23THRUST_200600_302600_NS6detail15normal_iteratorINSA_7pointerIsNSA_11hip_rocprim3tagENSA_11use_defaultESG_EEEEPS6_NSA_18transform_iteratorI7is_evenIsENSC_INSA_10device_ptrIsEEEESG_SG_EENS0_5tupleIJPsSJ_EEENSR_IJSJ_SJ_EEES6_PlJS6_EEE10hipError_tPvRmT3_T4_T5_T6_T7_T9_mT8_P12ihipStream_tbDpT10_ENKUlT_T0_E_clISt17integral_constantIbLb1EES1F_EEDaS1A_S1B_EUlS1A_E_NS1_11comp_targetILNS1_3genE3ELNS1_11target_archE908ELNS1_3gpuE7ELNS1_3repE0EEENS1_30default_config_static_selectorELNS0_4arch9wavefront6targetE1EEEvT1_.kd
    .uniform_work_group_size: 1
    .uses_dynamic_stack: false
    .vgpr_count:     0
    .vgpr_spill_count: 0
    .wavefront_size: 64
  - .agpr_count:     0
    .args:
      - .offset:         0
        .size:           144
        .value_kind:     by_value
    .group_segment_fixed_size: 0
    .kernarg_segment_align: 8
    .kernarg_segment_size: 144
    .language:       OpenCL C
    .language_version:
      - 2
      - 0
    .max_flat_workgroup_size: 256
    .name:           _ZN7rocprim17ROCPRIM_400000_NS6detail17trampoline_kernelINS0_14default_configENS1_25partition_config_selectorILNS1_17partition_subalgoE2EsNS0_10empty_typeEbEEZZNS1_14partition_implILS5_2ELb0ES3_jN6thrust23THRUST_200600_302600_NS6detail15normal_iteratorINSA_7pointerIsNSA_11hip_rocprim3tagENSA_11use_defaultESG_EEEEPS6_NSA_18transform_iteratorI7is_evenIsENSC_INSA_10device_ptrIsEEEESG_SG_EENS0_5tupleIJPsSJ_EEENSR_IJSJ_SJ_EEES6_PlJS6_EEE10hipError_tPvRmT3_T4_T5_T6_T7_T9_mT8_P12ihipStream_tbDpT10_ENKUlT_T0_E_clISt17integral_constantIbLb1EES1F_EEDaS1A_S1B_EUlS1A_E_NS1_11comp_targetILNS1_3genE2ELNS1_11target_archE906ELNS1_3gpuE6ELNS1_3repE0EEENS1_30default_config_static_selectorELNS0_4arch9wavefront6targetE1EEEvT1_
    .private_segment_fixed_size: 0
    .sgpr_count:     6
    .sgpr_spill_count: 0
    .symbol:         _ZN7rocprim17ROCPRIM_400000_NS6detail17trampoline_kernelINS0_14default_configENS1_25partition_config_selectorILNS1_17partition_subalgoE2EsNS0_10empty_typeEbEEZZNS1_14partition_implILS5_2ELb0ES3_jN6thrust23THRUST_200600_302600_NS6detail15normal_iteratorINSA_7pointerIsNSA_11hip_rocprim3tagENSA_11use_defaultESG_EEEEPS6_NSA_18transform_iteratorI7is_evenIsENSC_INSA_10device_ptrIsEEEESG_SG_EENS0_5tupleIJPsSJ_EEENSR_IJSJ_SJ_EEES6_PlJS6_EEE10hipError_tPvRmT3_T4_T5_T6_T7_T9_mT8_P12ihipStream_tbDpT10_ENKUlT_T0_E_clISt17integral_constantIbLb1EES1F_EEDaS1A_S1B_EUlS1A_E_NS1_11comp_targetILNS1_3genE2ELNS1_11target_archE906ELNS1_3gpuE6ELNS1_3repE0EEENS1_30default_config_static_selectorELNS0_4arch9wavefront6targetE1EEEvT1_.kd
    .uniform_work_group_size: 1
    .uses_dynamic_stack: false
    .vgpr_count:     0
    .vgpr_spill_count: 0
    .wavefront_size: 64
  - .agpr_count:     0
    .args:
      - .offset:         0
        .size:           144
        .value_kind:     by_value
    .group_segment_fixed_size: 0
    .kernarg_segment_align: 8
    .kernarg_segment_size: 144
    .language:       OpenCL C
    .language_version:
      - 2
      - 0
    .max_flat_workgroup_size: 256
    .name:           _ZN7rocprim17ROCPRIM_400000_NS6detail17trampoline_kernelINS0_14default_configENS1_25partition_config_selectorILNS1_17partition_subalgoE2EsNS0_10empty_typeEbEEZZNS1_14partition_implILS5_2ELb0ES3_jN6thrust23THRUST_200600_302600_NS6detail15normal_iteratorINSA_7pointerIsNSA_11hip_rocprim3tagENSA_11use_defaultESG_EEEEPS6_NSA_18transform_iteratorI7is_evenIsENSC_INSA_10device_ptrIsEEEESG_SG_EENS0_5tupleIJPsSJ_EEENSR_IJSJ_SJ_EEES6_PlJS6_EEE10hipError_tPvRmT3_T4_T5_T6_T7_T9_mT8_P12ihipStream_tbDpT10_ENKUlT_T0_E_clISt17integral_constantIbLb1EES1F_EEDaS1A_S1B_EUlS1A_E_NS1_11comp_targetILNS1_3genE10ELNS1_11target_archE1200ELNS1_3gpuE4ELNS1_3repE0EEENS1_30default_config_static_selectorELNS0_4arch9wavefront6targetE1EEEvT1_
    .private_segment_fixed_size: 0
    .sgpr_count:     6
    .sgpr_spill_count: 0
    .symbol:         _ZN7rocprim17ROCPRIM_400000_NS6detail17trampoline_kernelINS0_14default_configENS1_25partition_config_selectorILNS1_17partition_subalgoE2EsNS0_10empty_typeEbEEZZNS1_14partition_implILS5_2ELb0ES3_jN6thrust23THRUST_200600_302600_NS6detail15normal_iteratorINSA_7pointerIsNSA_11hip_rocprim3tagENSA_11use_defaultESG_EEEEPS6_NSA_18transform_iteratorI7is_evenIsENSC_INSA_10device_ptrIsEEEESG_SG_EENS0_5tupleIJPsSJ_EEENSR_IJSJ_SJ_EEES6_PlJS6_EEE10hipError_tPvRmT3_T4_T5_T6_T7_T9_mT8_P12ihipStream_tbDpT10_ENKUlT_T0_E_clISt17integral_constantIbLb1EES1F_EEDaS1A_S1B_EUlS1A_E_NS1_11comp_targetILNS1_3genE10ELNS1_11target_archE1200ELNS1_3gpuE4ELNS1_3repE0EEENS1_30default_config_static_selectorELNS0_4arch9wavefront6targetE1EEEvT1_.kd
    .uniform_work_group_size: 1
    .uses_dynamic_stack: false
    .vgpr_count:     0
    .vgpr_spill_count: 0
    .wavefront_size: 64
  - .agpr_count:     0
    .args:
      - .offset:         0
        .size:           144
        .value_kind:     by_value
    .group_segment_fixed_size: 0
    .kernarg_segment_align: 8
    .kernarg_segment_size: 144
    .language:       OpenCL C
    .language_version:
      - 2
      - 0
    .max_flat_workgroup_size: 128
    .name:           _ZN7rocprim17ROCPRIM_400000_NS6detail17trampoline_kernelINS0_14default_configENS1_25partition_config_selectorILNS1_17partition_subalgoE2EsNS0_10empty_typeEbEEZZNS1_14partition_implILS5_2ELb0ES3_jN6thrust23THRUST_200600_302600_NS6detail15normal_iteratorINSA_7pointerIsNSA_11hip_rocprim3tagENSA_11use_defaultESG_EEEEPS6_NSA_18transform_iteratorI7is_evenIsENSC_INSA_10device_ptrIsEEEESG_SG_EENS0_5tupleIJPsSJ_EEENSR_IJSJ_SJ_EEES6_PlJS6_EEE10hipError_tPvRmT3_T4_T5_T6_T7_T9_mT8_P12ihipStream_tbDpT10_ENKUlT_T0_E_clISt17integral_constantIbLb1EES1F_EEDaS1A_S1B_EUlS1A_E_NS1_11comp_targetILNS1_3genE9ELNS1_11target_archE1100ELNS1_3gpuE3ELNS1_3repE0EEENS1_30default_config_static_selectorELNS0_4arch9wavefront6targetE1EEEvT1_
    .private_segment_fixed_size: 0
    .sgpr_count:     6
    .sgpr_spill_count: 0
    .symbol:         _ZN7rocprim17ROCPRIM_400000_NS6detail17trampoline_kernelINS0_14default_configENS1_25partition_config_selectorILNS1_17partition_subalgoE2EsNS0_10empty_typeEbEEZZNS1_14partition_implILS5_2ELb0ES3_jN6thrust23THRUST_200600_302600_NS6detail15normal_iteratorINSA_7pointerIsNSA_11hip_rocprim3tagENSA_11use_defaultESG_EEEEPS6_NSA_18transform_iteratorI7is_evenIsENSC_INSA_10device_ptrIsEEEESG_SG_EENS0_5tupleIJPsSJ_EEENSR_IJSJ_SJ_EEES6_PlJS6_EEE10hipError_tPvRmT3_T4_T5_T6_T7_T9_mT8_P12ihipStream_tbDpT10_ENKUlT_T0_E_clISt17integral_constantIbLb1EES1F_EEDaS1A_S1B_EUlS1A_E_NS1_11comp_targetILNS1_3genE9ELNS1_11target_archE1100ELNS1_3gpuE3ELNS1_3repE0EEENS1_30default_config_static_selectorELNS0_4arch9wavefront6targetE1EEEvT1_.kd
    .uniform_work_group_size: 1
    .uses_dynamic_stack: false
    .vgpr_count:     0
    .vgpr_spill_count: 0
    .wavefront_size: 64
  - .agpr_count:     0
    .args:
      - .offset:         0
        .size:           144
        .value_kind:     by_value
    .group_segment_fixed_size: 0
    .kernarg_segment_align: 8
    .kernarg_segment_size: 144
    .language:       OpenCL C
    .language_version:
      - 2
      - 0
    .max_flat_workgroup_size: 512
    .name:           _ZN7rocprim17ROCPRIM_400000_NS6detail17trampoline_kernelINS0_14default_configENS1_25partition_config_selectorILNS1_17partition_subalgoE2EsNS0_10empty_typeEbEEZZNS1_14partition_implILS5_2ELb0ES3_jN6thrust23THRUST_200600_302600_NS6detail15normal_iteratorINSA_7pointerIsNSA_11hip_rocprim3tagENSA_11use_defaultESG_EEEEPS6_NSA_18transform_iteratorI7is_evenIsENSC_INSA_10device_ptrIsEEEESG_SG_EENS0_5tupleIJPsSJ_EEENSR_IJSJ_SJ_EEES6_PlJS6_EEE10hipError_tPvRmT3_T4_T5_T6_T7_T9_mT8_P12ihipStream_tbDpT10_ENKUlT_T0_E_clISt17integral_constantIbLb1EES1F_EEDaS1A_S1B_EUlS1A_E_NS1_11comp_targetILNS1_3genE8ELNS1_11target_archE1030ELNS1_3gpuE2ELNS1_3repE0EEENS1_30default_config_static_selectorELNS0_4arch9wavefront6targetE1EEEvT1_
    .private_segment_fixed_size: 0
    .sgpr_count:     6
    .sgpr_spill_count: 0
    .symbol:         _ZN7rocprim17ROCPRIM_400000_NS6detail17trampoline_kernelINS0_14default_configENS1_25partition_config_selectorILNS1_17partition_subalgoE2EsNS0_10empty_typeEbEEZZNS1_14partition_implILS5_2ELb0ES3_jN6thrust23THRUST_200600_302600_NS6detail15normal_iteratorINSA_7pointerIsNSA_11hip_rocprim3tagENSA_11use_defaultESG_EEEEPS6_NSA_18transform_iteratorI7is_evenIsENSC_INSA_10device_ptrIsEEEESG_SG_EENS0_5tupleIJPsSJ_EEENSR_IJSJ_SJ_EEES6_PlJS6_EEE10hipError_tPvRmT3_T4_T5_T6_T7_T9_mT8_P12ihipStream_tbDpT10_ENKUlT_T0_E_clISt17integral_constantIbLb1EES1F_EEDaS1A_S1B_EUlS1A_E_NS1_11comp_targetILNS1_3genE8ELNS1_11target_archE1030ELNS1_3gpuE2ELNS1_3repE0EEENS1_30default_config_static_selectorELNS0_4arch9wavefront6targetE1EEEvT1_.kd
    .uniform_work_group_size: 1
    .uses_dynamic_stack: false
    .vgpr_count:     0
    .vgpr_spill_count: 0
    .wavefront_size: 64
  - .agpr_count:     0
    .args:
      - .offset:         0
        .size:           128
        .value_kind:     by_value
    .group_segment_fixed_size: 0
    .kernarg_segment_align: 8
    .kernarg_segment_size: 128
    .language:       OpenCL C
    .language_version:
      - 2
      - 0
    .max_flat_workgroup_size: 256
    .name:           _ZN7rocprim17ROCPRIM_400000_NS6detail17trampoline_kernelINS0_14default_configENS1_25partition_config_selectorILNS1_17partition_subalgoE2EsNS0_10empty_typeEbEEZZNS1_14partition_implILS5_2ELb0ES3_jN6thrust23THRUST_200600_302600_NS6detail15normal_iteratorINSA_7pointerIsNSA_11hip_rocprim3tagENSA_11use_defaultESG_EEEEPS6_NSA_18transform_iteratorI7is_evenIsENSC_INSA_10device_ptrIsEEEESG_SG_EENS0_5tupleIJPsSJ_EEENSR_IJSJ_SJ_EEES6_PlJS6_EEE10hipError_tPvRmT3_T4_T5_T6_T7_T9_mT8_P12ihipStream_tbDpT10_ENKUlT_T0_E_clISt17integral_constantIbLb1EES1E_IbLb0EEEEDaS1A_S1B_EUlS1A_E_NS1_11comp_targetILNS1_3genE0ELNS1_11target_archE4294967295ELNS1_3gpuE0ELNS1_3repE0EEENS1_30default_config_static_selectorELNS0_4arch9wavefront6targetE1EEEvT1_
    .private_segment_fixed_size: 0
    .sgpr_count:     6
    .sgpr_spill_count: 0
    .symbol:         _ZN7rocprim17ROCPRIM_400000_NS6detail17trampoline_kernelINS0_14default_configENS1_25partition_config_selectorILNS1_17partition_subalgoE2EsNS0_10empty_typeEbEEZZNS1_14partition_implILS5_2ELb0ES3_jN6thrust23THRUST_200600_302600_NS6detail15normal_iteratorINSA_7pointerIsNSA_11hip_rocprim3tagENSA_11use_defaultESG_EEEEPS6_NSA_18transform_iteratorI7is_evenIsENSC_INSA_10device_ptrIsEEEESG_SG_EENS0_5tupleIJPsSJ_EEENSR_IJSJ_SJ_EEES6_PlJS6_EEE10hipError_tPvRmT3_T4_T5_T6_T7_T9_mT8_P12ihipStream_tbDpT10_ENKUlT_T0_E_clISt17integral_constantIbLb1EES1E_IbLb0EEEEDaS1A_S1B_EUlS1A_E_NS1_11comp_targetILNS1_3genE0ELNS1_11target_archE4294967295ELNS1_3gpuE0ELNS1_3repE0EEENS1_30default_config_static_selectorELNS0_4arch9wavefront6targetE1EEEvT1_.kd
    .uniform_work_group_size: 1
    .uses_dynamic_stack: false
    .vgpr_count:     0
    .vgpr_spill_count: 0
    .wavefront_size: 64
  - .agpr_count:     0
    .args:
      - .offset:         0
        .size:           128
        .value_kind:     by_value
    .group_segment_fixed_size: 30728
    .kernarg_segment_align: 8
    .kernarg_segment_size: 128
    .language:       OpenCL C
    .language_version:
      - 2
      - 0
    .max_flat_workgroup_size: 512
    .name:           _ZN7rocprim17ROCPRIM_400000_NS6detail17trampoline_kernelINS0_14default_configENS1_25partition_config_selectorILNS1_17partition_subalgoE2EsNS0_10empty_typeEbEEZZNS1_14partition_implILS5_2ELb0ES3_jN6thrust23THRUST_200600_302600_NS6detail15normal_iteratorINSA_7pointerIsNSA_11hip_rocprim3tagENSA_11use_defaultESG_EEEEPS6_NSA_18transform_iteratorI7is_evenIsENSC_INSA_10device_ptrIsEEEESG_SG_EENS0_5tupleIJPsSJ_EEENSR_IJSJ_SJ_EEES6_PlJS6_EEE10hipError_tPvRmT3_T4_T5_T6_T7_T9_mT8_P12ihipStream_tbDpT10_ENKUlT_T0_E_clISt17integral_constantIbLb1EES1E_IbLb0EEEEDaS1A_S1B_EUlS1A_E_NS1_11comp_targetILNS1_3genE5ELNS1_11target_archE942ELNS1_3gpuE9ELNS1_3repE0EEENS1_30default_config_static_selectorELNS0_4arch9wavefront6targetE1EEEvT1_
    .private_segment_fixed_size: 0
    .sgpr_count:     52
    .sgpr_spill_count: 0
    .symbol:         _ZN7rocprim17ROCPRIM_400000_NS6detail17trampoline_kernelINS0_14default_configENS1_25partition_config_selectorILNS1_17partition_subalgoE2EsNS0_10empty_typeEbEEZZNS1_14partition_implILS5_2ELb0ES3_jN6thrust23THRUST_200600_302600_NS6detail15normal_iteratorINSA_7pointerIsNSA_11hip_rocprim3tagENSA_11use_defaultESG_EEEEPS6_NSA_18transform_iteratorI7is_evenIsENSC_INSA_10device_ptrIsEEEESG_SG_EENS0_5tupleIJPsSJ_EEENSR_IJSJ_SJ_EEES6_PlJS6_EEE10hipError_tPvRmT3_T4_T5_T6_T7_T9_mT8_P12ihipStream_tbDpT10_ENKUlT_T0_E_clISt17integral_constantIbLb1EES1E_IbLb0EEEEDaS1A_S1B_EUlS1A_E_NS1_11comp_targetILNS1_3genE5ELNS1_11target_archE942ELNS1_3gpuE9ELNS1_3repE0EEENS1_30default_config_static_selectorELNS0_4arch9wavefront6targetE1EEEvT1_.kd
    .uniform_work_group_size: 1
    .uses_dynamic_stack: false
    .vgpr_count:     100
    .vgpr_spill_count: 0
    .wavefront_size: 64
  - .agpr_count:     0
    .args:
      - .offset:         0
        .size:           128
        .value_kind:     by_value
    .group_segment_fixed_size: 0
    .kernarg_segment_align: 8
    .kernarg_segment_size: 128
    .language:       OpenCL C
    .language_version:
      - 2
      - 0
    .max_flat_workgroup_size: 256
    .name:           _ZN7rocprim17ROCPRIM_400000_NS6detail17trampoline_kernelINS0_14default_configENS1_25partition_config_selectorILNS1_17partition_subalgoE2EsNS0_10empty_typeEbEEZZNS1_14partition_implILS5_2ELb0ES3_jN6thrust23THRUST_200600_302600_NS6detail15normal_iteratorINSA_7pointerIsNSA_11hip_rocprim3tagENSA_11use_defaultESG_EEEEPS6_NSA_18transform_iteratorI7is_evenIsENSC_INSA_10device_ptrIsEEEESG_SG_EENS0_5tupleIJPsSJ_EEENSR_IJSJ_SJ_EEES6_PlJS6_EEE10hipError_tPvRmT3_T4_T5_T6_T7_T9_mT8_P12ihipStream_tbDpT10_ENKUlT_T0_E_clISt17integral_constantIbLb1EES1E_IbLb0EEEEDaS1A_S1B_EUlS1A_E_NS1_11comp_targetILNS1_3genE4ELNS1_11target_archE910ELNS1_3gpuE8ELNS1_3repE0EEENS1_30default_config_static_selectorELNS0_4arch9wavefront6targetE1EEEvT1_
    .private_segment_fixed_size: 0
    .sgpr_count:     6
    .sgpr_spill_count: 0
    .symbol:         _ZN7rocprim17ROCPRIM_400000_NS6detail17trampoline_kernelINS0_14default_configENS1_25partition_config_selectorILNS1_17partition_subalgoE2EsNS0_10empty_typeEbEEZZNS1_14partition_implILS5_2ELb0ES3_jN6thrust23THRUST_200600_302600_NS6detail15normal_iteratorINSA_7pointerIsNSA_11hip_rocprim3tagENSA_11use_defaultESG_EEEEPS6_NSA_18transform_iteratorI7is_evenIsENSC_INSA_10device_ptrIsEEEESG_SG_EENS0_5tupleIJPsSJ_EEENSR_IJSJ_SJ_EEES6_PlJS6_EEE10hipError_tPvRmT3_T4_T5_T6_T7_T9_mT8_P12ihipStream_tbDpT10_ENKUlT_T0_E_clISt17integral_constantIbLb1EES1E_IbLb0EEEEDaS1A_S1B_EUlS1A_E_NS1_11comp_targetILNS1_3genE4ELNS1_11target_archE910ELNS1_3gpuE8ELNS1_3repE0EEENS1_30default_config_static_selectorELNS0_4arch9wavefront6targetE1EEEvT1_.kd
    .uniform_work_group_size: 1
    .uses_dynamic_stack: false
    .vgpr_count:     0
    .vgpr_spill_count: 0
    .wavefront_size: 64
  - .agpr_count:     0
    .args:
      - .offset:         0
        .size:           128
        .value_kind:     by_value
    .group_segment_fixed_size: 0
    .kernarg_segment_align: 8
    .kernarg_segment_size: 128
    .language:       OpenCL C
    .language_version:
      - 2
      - 0
    .max_flat_workgroup_size: 256
    .name:           _ZN7rocprim17ROCPRIM_400000_NS6detail17trampoline_kernelINS0_14default_configENS1_25partition_config_selectorILNS1_17partition_subalgoE2EsNS0_10empty_typeEbEEZZNS1_14partition_implILS5_2ELb0ES3_jN6thrust23THRUST_200600_302600_NS6detail15normal_iteratorINSA_7pointerIsNSA_11hip_rocprim3tagENSA_11use_defaultESG_EEEEPS6_NSA_18transform_iteratorI7is_evenIsENSC_INSA_10device_ptrIsEEEESG_SG_EENS0_5tupleIJPsSJ_EEENSR_IJSJ_SJ_EEES6_PlJS6_EEE10hipError_tPvRmT3_T4_T5_T6_T7_T9_mT8_P12ihipStream_tbDpT10_ENKUlT_T0_E_clISt17integral_constantIbLb1EES1E_IbLb0EEEEDaS1A_S1B_EUlS1A_E_NS1_11comp_targetILNS1_3genE3ELNS1_11target_archE908ELNS1_3gpuE7ELNS1_3repE0EEENS1_30default_config_static_selectorELNS0_4arch9wavefront6targetE1EEEvT1_
    .private_segment_fixed_size: 0
    .sgpr_count:     6
    .sgpr_spill_count: 0
    .symbol:         _ZN7rocprim17ROCPRIM_400000_NS6detail17trampoline_kernelINS0_14default_configENS1_25partition_config_selectorILNS1_17partition_subalgoE2EsNS0_10empty_typeEbEEZZNS1_14partition_implILS5_2ELb0ES3_jN6thrust23THRUST_200600_302600_NS6detail15normal_iteratorINSA_7pointerIsNSA_11hip_rocprim3tagENSA_11use_defaultESG_EEEEPS6_NSA_18transform_iteratorI7is_evenIsENSC_INSA_10device_ptrIsEEEESG_SG_EENS0_5tupleIJPsSJ_EEENSR_IJSJ_SJ_EEES6_PlJS6_EEE10hipError_tPvRmT3_T4_T5_T6_T7_T9_mT8_P12ihipStream_tbDpT10_ENKUlT_T0_E_clISt17integral_constantIbLb1EES1E_IbLb0EEEEDaS1A_S1B_EUlS1A_E_NS1_11comp_targetILNS1_3genE3ELNS1_11target_archE908ELNS1_3gpuE7ELNS1_3repE0EEENS1_30default_config_static_selectorELNS0_4arch9wavefront6targetE1EEEvT1_.kd
    .uniform_work_group_size: 1
    .uses_dynamic_stack: false
    .vgpr_count:     0
    .vgpr_spill_count: 0
    .wavefront_size: 64
  - .agpr_count:     0
    .args:
      - .offset:         0
        .size:           128
        .value_kind:     by_value
    .group_segment_fixed_size: 0
    .kernarg_segment_align: 8
    .kernarg_segment_size: 128
    .language:       OpenCL C
    .language_version:
      - 2
      - 0
    .max_flat_workgroup_size: 256
    .name:           _ZN7rocprim17ROCPRIM_400000_NS6detail17trampoline_kernelINS0_14default_configENS1_25partition_config_selectorILNS1_17partition_subalgoE2EsNS0_10empty_typeEbEEZZNS1_14partition_implILS5_2ELb0ES3_jN6thrust23THRUST_200600_302600_NS6detail15normal_iteratorINSA_7pointerIsNSA_11hip_rocprim3tagENSA_11use_defaultESG_EEEEPS6_NSA_18transform_iteratorI7is_evenIsENSC_INSA_10device_ptrIsEEEESG_SG_EENS0_5tupleIJPsSJ_EEENSR_IJSJ_SJ_EEES6_PlJS6_EEE10hipError_tPvRmT3_T4_T5_T6_T7_T9_mT8_P12ihipStream_tbDpT10_ENKUlT_T0_E_clISt17integral_constantIbLb1EES1E_IbLb0EEEEDaS1A_S1B_EUlS1A_E_NS1_11comp_targetILNS1_3genE2ELNS1_11target_archE906ELNS1_3gpuE6ELNS1_3repE0EEENS1_30default_config_static_selectorELNS0_4arch9wavefront6targetE1EEEvT1_
    .private_segment_fixed_size: 0
    .sgpr_count:     6
    .sgpr_spill_count: 0
    .symbol:         _ZN7rocprim17ROCPRIM_400000_NS6detail17trampoline_kernelINS0_14default_configENS1_25partition_config_selectorILNS1_17partition_subalgoE2EsNS0_10empty_typeEbEEZZNS1_14partition_implILS5_2ELb0ES3_jN6thrust23THRUST_200600_302600_NS6detail15normal_iteratorINSA_7pointerIsNSA_11hip_rocprim3tagENSA_11use_defaultESG_EEEEPS6_NSA_18transform_iteratorI7is_evenIsENSC_INSA_10device_ptrIsEEEESG_SG_EENS0_5tupleIJPsSJ_EEENSR_IJSJ_SJ_EEES6_PlJS6_EEE10hipError_tPvRmT3_T4_T5_T6_T7_T9_mT8_P12ihipStream_tbDpT10_ENKUlT_T0_E_clISt17integral_constantIbLb1EES1E_IbLb0EEEEDaS1A_S1B_EUlS1A_E_NS1_11comp_targetILNS1_3genE2ELNS1_11target_archE906ELNS1_3gpuE6ELNS1_3repE0EEENS1_30default_config_static_selectorELNS0_4arch9wavefront6targetE1EEEvT1_.kd
    .uniform_work_group_size: 1
    .uses_dynamic_stack: false
    .vgpr_count:     0
    .vgpr_spill_count: 0
    .wavefront_size: 64
  - .agpr_count:     0
    .args:
      - .offset:         0
        .size:           128
        .value_kind:     by_value
    .group_segment_fixed_size: 0
    .kernarg_segment_align: 8
    .kernarg_segment_size: 128
    .language:       OpenCL C
    .language_version:
      - 2
      - 0
    .max_flat_workgroup_size: 256
    .name:           _ZN7rocprim17ROCPRIM_400000_NS6detail17trampoline_kernelINS0_14default_configENS1_25partition_config_selectorILNS1_17partition_subalgoE2EsNS0_10empty_typeEbEEZZNS1_14partition_implILS5_2ELb0ES3_jN6thrust23THRUST_200600_302600_NS6detail15normal_iteratorINSA_7pointerIsNSA_11hip_rocprim3tagENSA_11use_defaultESG_EEEEPS6_NSA_18transform_iteratorI7is_evenIsENSC_INSA_10device_ptrIsEEEESG_SG_EENS0_5tupleIJPsSJ_EEENSR_IJSJ_SJ_EEES6_PlJS6_EEE10hipError_tPvRmT3_T4_T5_T6_T7_T9_mT8_P12ihipStream_tbDpT10_ENKUlT_T0_E_clISt17integral_constantIbLb1EES1E_IbLb0EEEEDaS1A_S1B_EUlS1A_E_NS1_11comp_targetILNS1_3genE10ELNS1_11target_archE1200ELNS1_3gpuE4ELNS1_3repE0EEENS1_30default_config_static_selectorELNS0_4arch9wavefront6targetE1EEEvT1_
    .private_segment_fixed_size: 0
    .sgpr_count:     6
    .sgpr_spill_count: 0
    .symbol:         _ZN7rocprim17ROCPRIM_400000_NS6detail17trampoline_kernelINS0_14default_configENS1_25partition_config_selectorILNS1_17partition_subalgoE2EsNS0_10empty_typeEbEEZZNS1_14partition_implILS5_2ELb0ES3_jN6thrust23THRUST_200600_302600_NS6detail15normal_iteratorINSA_7pointerIsNSA_11hip_rocprim3tagENSA_11use_defaultESG_EEEEPS6_NSA_18transform_iteratorI7is_evenIsENSC_INSA_10device_ptrIsEEEESG_SG_EENS0_5tupleIJPsSJ_EEENSR_IJSJ_SJ_EEES6_PlJS6_EEE10hipError_tPvRmT3_T4_T5_T6_T7_T9_mT8_P12ihipStream_tbDpT10_ENKUlT_T0_E_clISt17integral_constantIbLb1EES1E_IbLb0EEEEDaS1A_S1B_EUlS1A_E_NS1_11comp_targetILNS1_3genE10ELNS1_11target_archE1200ELNS1_3gpuE4ELNS1_3repE0EEENS1_30default_config_static_selectorELNS0_4arch9wavefront6targetE1EEEvT1_.kd
    .uniform_work_group_size: 1
    .uses_dynamic_stack: false
    .vgpr_count:     0
    .vgpr_spill_count: 0
    .wavefront_size: 64
  - .agpr_count:     0
    .args:
      - .offset:         0
        .size:           128
        .value_kind:     by_value
    .group_segment_fixed_size: 0
    .kernarg_segment_align: 8
    .kernarg_segment_size: 128
    .language:       OpenCL C
    .language_version:
      - 2
      - 0
    .max_flat_workgroup_size: 128
    .name:           _ZN7rocprim17ROCPRIM_400000_NS6detail17trampoline_kernelINS0_14default_configENS1_25partition_config_selectorILNS1_17partition_subalgoE2EsNS0_10empty_typeEbEEZZNS1_14partition_implILS5_2ELb0ES3_jN6thrust23THRUST_200600_302600_NS6detail15normal_iteratorINSA_7pointerIsNSA_11hip_rocprim3tagENSA_11use_defaultESG_EEEEPS6_NSA_18transform_iteratorI7is_evenIsENSC_INSA_10device_ptrIsEEEESG_SG_EENS0_5tupleIJPsSJ_EEENSR_IJSJ_SJ_EEES6_PlJS6_EEE10hipError_tPvRmT3_T4_T5_T6_T7_T9_mT8_P12ihipStream_tbDpT10_ENKUlT_T0_E_clISt17integral_constantIbLb1EES1E_IbLb0EEEEDaS1A_S1B_EUlS1A_E_NS1_11comp_targetILNS1_3genE9ELNS1_11target_archE1100ELNS1_3gpuE3ELNS1_3repE0EEENS1_30default_config_static_selectorELNS0_4arch9wavefront6targetE1EEEvT1_
    .private_segment_fixed_size: 0
    .sgpr_count:     6
    .sgpr_spill_count: 0
    .symbol:         _ZN7rocprim17ROCPRIM_400000_NS6detail17trampoline_kernelINS0_14default_configENS1_25partition_config_selectorILNS1_17partition_subalgoE2EsNS0_10empty_typeEbEEZZNS1_14partition_implILS5_2ELb0ES3_jN6thrust23THRUST_200600_302600_NS6detail15normal_iteratorINSA_7pointerIsNSA_11hip_rocprim3tagENSA_11use_defaultESG_EEEEPS6_NSA_18transform_iteratorI7is_evenIsENSC_INSA_10device_ptrIsEEEESG_SG_EENS0_5tupleIJPsSJ_EEENSR_IJSJ_SJ_EEES6_PlJS6_EEE10hipError_tPvRmT3_T4_T5_T6_T7_T9_mT8_P12ihipStream_tbDpT10_ENKUlT_T0_E_clISt17integral_constantIbLb1EES1E_IbLb0EEEEDaS1A_S1B_EUlS1A_E_NS1_11comp_targetILNS1_3genE9ELNS1_11target_archE1100ELNS1_3gpuE3ELNS1_3repE0EEENS1_30default_config_static_selectorELNS0_4arch9wavefront6targetE1EEEvT1_.kd
    .uniform_work_group_size: 1
    .uses_dynamic_stack: false
    .vgpr_count:     0
    .vgpr_spill_count: 0
    .wavefront_size: 64
  - .agpr_count:     0
    .args:
      - .offset:         0
        .size:           128
        .value_kind:     by_value
    .group_segment_fixed_size: 0
    .kernarg_segment_align: 8
    .kernarg_segment_size: 128
    .language:       OpenCL C
    .language_version:
      - 2
      - 0
    .max_flat_workgroup_size: 512
    .name:           _ZN7rocprim17ROCPRIM_400000_NS6detail17trampoline_kernelINS0_14default_configENS1_25partition_config_selectorILNS1_17partition_subalgoE2EsNS0_10empty_typeEbEEZZNS1_14partition_implILS5_2ELb0ES3_jN6thrust23THRUST_200600_302600_NS6detail15normal_iteratorINSA_7pointerIsNSA_11hip_rocprim3tagENSA_11use_defaultESG_EEEEPS6_NSA_18transform_iteratorI7is_evenIsENSC_INSA_10device_ptrIsEEEESG_SG_EENS0_5tupleIJPsSJ_EEENSR_IJSJ_SJ_EEES6_PlJS6_EEE10hipError_tPvRmT3_T4_T5_T6_T7_T9_mT8_P12ihipStream_tbDpT10_ENKUlT_T0_E_clISt17integral_constantIbLb1EES1E_IbLb0EEEEDaS1A_S1B_EUlS1A_E_NS1_11comp_targetILNS1_3genE8ELNS1_11target_archE1030ELNS1_3gpuE2ELNS1_3repE0EEENS1_30default_config_static_selectorELNS0_4arch9wavefront6targetE1EEEvT1_
    .private_segment_fixed_size: 0
    .sgpr_count:     6
    .sgpr_spill_count: 0
    .symbol:         _ZN7rocprim17ROCPRIM_400000_NS6detail17trampoline_kernelINS0_14default_configENS1_25partition_config_selectorILNS1_17partition_subalgoE2EsNS0_10empty_typeEbEEZZNS1_14partition_implILS5_2ELb0ES3_jN6thrust23THRUST_200600_302600_NS6detail15normal_iteratorINSA_7pointerIsNSA_11hip_rocprim3tagENSA_11use_defaultESG_EEEEPS6_NSA_18transform_iteratorI7is_evenIsENSC_INSA_10device_ptrIsEEEESG_SG_EENS0_5tupleIJPsSJ_EEENSR_IJSJ_SJ_EEES6_PlJS6_EEE10hipError_tPvRmT3_T4_T5_T6_T7_T9_mT8_P12ihipStream_tbDpT10_ENKUlT_T0_E_clISt17integral_constantIbLb1EES1E_IbLb0EEEEDaS1A_S1B_EUlS1A_E_NS1_11comp_targetILNS1_3genE8ELNS1_11target_archE1030ELNS1_3gpuE2ELNS1_3repE0EEENS1_30default_config_static_selectorELNS0_4arch9wavefront6targetE1EEEvT1_.kd
    .uniform_work_group_size: 1
    .uses_dynamic_stack: false
    .vgpr_count:     0
    .vgpr_spill_count: 0
    .wavefront_size: 64
  - .agpr_count:     0
    .args:
      - .offset:         0
        .size:           144
        .value_kind:     by_value
    .group_segment_fixed_size: 0
    .kernarg_segment_align: 8
    .kernarg_segment_size: 144
    .language:       OpenCL C
    .language_version:
      - 2
      - 0
    .max_flat_workgroup_size: 256
    .name:           _ZN7rocprim17ROCPRIM_400000_NS6detail17trampoline_kernelINS0_14default_configENS1_25partition_config_selectorILNS1_17partition_subalgoE2EsNS0_10empty_typeEbEEZZNS1_14partition_implILS5_2ELb0ES3_jN6thrust23THRUST_200600_302600_NS6detail15normal_iteratorINSA_7pointerIsNSA_11hip_rocprim3tagENSA_11use_defaultESG_EEEEPS6_NSA_18transform_iteratorI7is_evenIsENSC_INSA_10device_ptrIsEEEESG_SG_EENS0_5tupleIJPsSJ_EEENSR_IJSJ_SJ_EEES6_PlJS6_EEE10hipError_tPvRmT3_T4_T5_T6_T7_T9_mT8_P12ihipStream_tbDpT10_ENKUlT_T0_E_clISt17integral_constantIbLb0EES1E_IbLb1EEEEDaS1A_S1B_EUlS1A_E_NS1_11comp_targetILNS1_3genE0ELNS1_11target_archE4294967295ELNS1_3gpuE0ELNS1_3repE0EEENS1_30default_config_static_selectorELNS0_4arch9wavefront6targetE1EEEvT1_
    .private_segment_fixed_size: 0
    .sgpr_count:     6
    .sgpr_spill_count: 0
    .symbol:         _ZN7rocprim17ROCPRIM_400000_NS6detail17trampoline_kernelINS0_14default_configENS1_25partition_config_selectorILNS1_17partition_subalgoE2EsNS0_10empty_typeEbEEZZNS1_14partition_implILS5_2ELb0ES3_jN6thrust23THRUST_200600_302600_NS6detail15normal_iteratorINSA_7pointerIsNSA_11hip_rocprim3tagENSA_11use_defaultESG_EEEEPS6_NSA_18transform_iteratorI7is_evenIsENSC_INSA_10device_ptrIsEEEESG_SG_EENS0_5tupleIJPsSJ_EEENSR_IJSJ_SJ_EEES6_PlJS6_EEE10hipError_tPvRmT3_T4_T5_T6_T7_T9_mT8_P12ihipStream_tbDpT10_ENKUlT_T0_E_clISt17integral_constantIbLb0EES1E_IbLb1EEEEDaS1A_S1B_EUlS1A_E_NS1_11comp_targetILNS1_3genE0ELNS1_11target_archE4294967295ELNS1_3gpuE0ELNS1_3repE0EEENS1_30default_config_static_selectorELNS0_4arch9wavefront6targetE1EEEvT1_.kd
    .uniform_work_group_size: 1
    .uses_dynamic_stack: false
    .vgpr_count:     0
    .vgpr_spill_count: 0
    .wavefront_size: 64
  - .agpr_count:     0
    .args:
      - .offset:         0
        .size:           144
        .value_kind:     by_value
    .group_segment_fixed_size: 30728
    .kernarg_segment_align: 8
    .kernarg_segment_size: 144
    .language:       OpenCL C
    .language_version:
      - 2
      - 0
    .max_flat_workgroup_size: 512
    .name:           _ZN7rocprim17ROCPRIM_400000_NS6detail17trampoline_kernelINS0_14default_configENS1_25partition_config_selectorILNS1_17partition_subalgoE2EsNS0_10empty_typeEbEEZZNS1_14partition_implILS5_2ELb0ES3_jN6thrust23THRUST_200600_302600_NS6detail15normal_iteratorINSA_7pointerIsNSA_11hip_rocprim3tagENSA_11use_defaultESG_EEEEPS6_NSA_18transform_iteratorI7is_evenIsENSC_INSA_10device_ptrIsEEEESG_SG_EENS0_5tupleIJPsSJ_EEENSR_IJSJ_SJ_EEES6_PlJS6_EEE10hipError_tPvRmT3_T4_T5_T6_T7_T9_mT8_P12ihipStream_tbDpT10_ENKUlT_T0_E_clISt17integral_constantIbLb0EES1E_IbLb1EEEEDaS1A_S1B_EUlS1A_E_NS1_11comp_targetILNS1_3genE5ELNS1_11target_archE942ELNS1_3gpuE9ELNS1_3repE0EEENS1_30default_config_static_selectorELNS0_4arch9wavefront6targetE1EEEvT1_
    .private_segment_fixed_size: 0
    .sgpr_count:     52
    .sgpr_spill_count: 0
    .symbol:         _ZN7rocprim17ROCPRIM_400000_NS6detail17trampoline_kernelINS0_14default_configENS1_25partition_config_selectorILNS1_17partition_subalgoE2EsNS0_10empty_typeEbEEZZNS1_14partition_implILS5_2ELb0ES3_jN6thrust23THRUST_200600_302600_NS6detail15normal_iteratorINSA_7pointerIsNSA_11hip_rocprim3tagENSA_11use_defaultESG_EEEEPS6_NSA_18transform_iteratorI7is_evenIsENSC_INSA_10device_ptrIsEEEESG_SG_EENS0_5tupleIJPsSJ_EEENSR_IJSJ_SJ_EEES6_PlJS6_EEE10hipError_tPvRmT3_T4_T5_T6_T7_T9_mT8_P12ihipStream_tbDpT10_ENKUlT_T0_E_clISt17integral_constantIbLb0EES1E_IbLb1EEEEDaS1A_S1B_EUlS1A_E_NS1_11comp_targetILNS1_3genE5ELNS1_11target_archE942ELNS1_3gpuE9ELNS1_3repE0EEENS1_30default_config_static_selectorELNS0_4arch9wavefront6targetE1EEEvT1_.kd
    .uniform_work_group_size: 1
    .uses_dynamic_stack: false
    .vgpr_count:     102
    .vgpr_spill_count: 0
    .wavefront_size: 64
  - .agpr_count:     0
    .args:
      - .offset:         0
        .size:           144
        .value_kind:     by_value
    .group_segment_fixed_size: 0
    .kernarg_segment_align: 8
    .kernarg_segment_size: 144
    .language:       OpenCL C
    .language_version:
      - 2
      - 0
    .max_flat_workgroup_size: 256
    .name:           _ZN7rocprim17ROCPRIM_400000_NS6detail17trampoline_kernelINS0_14default_configENS1_25partition_config_selectorILNS1_17partition_subalgoE2EsNS0_10empty_typeEbEEZZNS1_14partition_implILS5_2ELb0ES3_jN6thrust23THRUST_200600_302600_NS6detail15normal_iteratorINSA_7pointerIsNSA_11hip_rocprim3tagENSA_11use_defaultESG_EEEEPS6_NSA_18transform_iteratorI7is_evenIsENSC_INSA_10device_ptrIsEEEESG_SG_EENS0_5tupleIJPsSJ_EEENSR_IJSJ_SJ_EEES6_PlJS6_EEE10hipError_tPvRmT3_T4_T5_T6_T7_T9_mT8_P12ihipStream_tbDpT10_ENKUlT_T0_E_clISt17integral_constantIbLb0EES1E_IbLb1EEEEDaS1A_S1B_EUlS1A_E_NS1_11comp_targetILNS1_3genE4ELNS1_11target_archE910ELNS1_3gpuE8ELNS1_3repE0EEENS1_30default_config_static_selectorELNS0_4arch9wavefront6targetE1EEEvT1_
    .private_segment_fixed_size: 0
    .sgpr_count:     6
    .sgpr_spill_count: 0
    .symbol:         _ZN7rocprim17ROCPRIM_400000_NS6detail17trampoline_kernelINS0_14default_configENS1_25partition_config_selectorILNS1_17partition_subalgoE2EsNS0_10empty_typeEbEEZZNS1_14partition_implILS5_2ELb0ES3_jN6thrust23THRUST_200600_302600_NS6detail15normal_iteratorINSA_7pointerIsNSA_11hip_rocprim3tagENSA_11use_defaultESG_EEEEPS6_NSA_18transform_iteratorI7is_evenIsENSC_INSA_10device_ptrIsEEEESG_SG_EENS0_5tupleIJPsSJ_EEENSR_IJSJ_SJ_EEES6_PlJS6_EEE10hipError_tPvRmT3_T4_T5_T6_T7_T9_mT8_P12ihipStream_tbDpT10_ENKUlT_T0_E_clISt17integral_constantIbLb0EES1E_IbLb1EEEEDaS1A_S1B_EUlS1A_E_NS1_11comp_targetILNS1_3genE4ELNS1_11target_archE910ELNS1_3gpuE8ELNS1_3repE0EEENS1_30default_config_static_selectorELNS0_4arch9wavefront6targetE1EEEvT1_.kd
    .uniform_work_group_size: 1
    .uses_dynamic_stack: false
    .vgpr_count:     0
    .vgpr_spill_count: 0
    .wavefront_size: 64
  - .agpr_count:     0
    .args:
      - .offset:         0
        .size:           144
        .value_kind:     by_value
    .group_segment_fixed_size: 0
    .kernarg_segment_align: 8
    .kernarg_segment_size: 144
    .language:       OpenCL C
    .language_version:
      - 2
      - 0
    .max_flat_workgroup_size: 256
    .name:           _ZN7rocprim17ROCPRIM_400000_NS6detail17trampoline_kernelINS0_14default_configENS1_25partition_config_selectorILNS1_17partition_subalgoE2EsNS0_10empty_typeEbEEZZNS1_14partition_implILS5_2ELb0ES3_jN6thrust23THRUST_200600_302600_NS6detail15normal_iteratorINSA_7pointerIsNSA_11hip_rocprim3tagENSA_11use_defaultESG_EEEEPS6_NSA_18transform_iteratorI7is_evenIsENSC_INSA_10device_ptrIsEEEESG_SG_EENS0_5tupleIJPsSJ_EEENSR_IJSJ_SJ_EEES6_PlJS6_EEE10hipError_tPvRmT3_T4_T5_T6_T7_T9_mT8_P12ihipStream_tbDpT10_ENKUlT_T0_E_clISt17integral_constantIbLb0EES1E_IbLb1EEEEDaS1A_S1B_EUlS1A_E_NS1_11comp_targetILNS1_3genE3ELNS1_11target_archE908ELNS1_3gpuE7ELNS1_3repE0EEENS1_30default_config_static_selectorELNS0_4arch9wavefront6targetE1EEEvT1_
    .private_segment_fixed_size: 0
    .sgpr_count:     6
    .sgpr_spill_count: 0
    .symbol:         _ZN7rocprim17ROCPRIM_400000_NS6detail17trampoline_kernelINS0_14default_configENS1_25partition_config_selectorILNS1_17partition_subalgoE2EsNS0_10empty_typeEbEEZZNS1_14partition_implILS5_2ELb0ES3_jN6thrust23THRUST_200600_302600_NS6detail15normal_iteratorINSA_7pointerIsNSA_11hip_rocprim3tagENSA_11use_defaultESG_EEEEPS6_NSA_18transform_iteratorI7is_evenIsENSC_INSA_10device_ptrIsEEEESG_SG_EENS0_5tupleIJPsSJ_EEENSR_IJSJ_SJ_EEES6_PlJS6_EEE10hipError_tPvRmT3_T4_T5_T6_T7_T9_mT8_P12ihipStream_tbDpT10_ENKUlT_T0_E_clISt17integral_constantIbLb0EES1E_IbLb1EEEEDaS1A_S1B_EUlS1A_E_NS1_11comp_targetILNS1_3genE3ELNS1_11target_archE908ELNS1_3gpuE7ELNS1_3repE0EEENS1_30default_config_static_selectorELNS0_4arch9wavefront6targetE1EEEvT1_.kd
    .uniform_work_group_size: 1
    .uses_dynamic_stack: false
    .vgpr_count:     0
    .vgpr_spill_count: 0
    .wavefront_size: 64
  - .agpr_count:     0
    .args:
      - .offset:         0
        .size:           144
        .value_kind:     by_value
    .group_segment_fixed_size: 0
    .kernarg_segment_align: 8
    .kernarg_segment_size: 144
    .language:       OpenCL C
    .language_version:
      - 2
      - 0
    .max_flat_workgroup_size: 256
    .name:           _ZN7rocprim17ROCPRIM_400000_NS6detail17trampoline_kernelINS0_14default_configENS1_25partition_config_selectorILNS1_17partition_subalgoE2EsNS0_10empty_typeEbEEZZNS1_14partition_implILS5_2ELb0ES3_jN6thrust23THRUST_200600_302600_NS6detail15normal_iteratorINSA_7pointerIsNSA_11hip_rocprim3tagENSA_11use_defaultESG_EEEEPS6_NSA_18transform_iteratorI7is_evenIsENSC_INSA_10device_ptrIsEEEESG_SG_EENS0_5tupleIJPsSJ_EEENSR_IJSJ_SJ_EEES6_PlJS6_EEE10hipError_tPvRmT3_T4_T5_T6_T7_T9_mT8_P12ihipStream_tbDpT10_ENKUlT_T0_E_clISt17integral_constantIbLb0EES1E_IbLb1EEEEDaS1A_S1B_EUlS1A_E_NS1_11comp_targetILNS1_3genE2ELNS1_11target_archE906ELNS1_3gpuE6ELNS1_3repE0EEENS1_30default_config_static_selectorELNS0_4arch9wavefront6targetE1EEEvT1_
    .private_segment_fixed_size: 0
    .sgpr_count:     6
    .sgpr_spill_count: 0
    .symbol:         _ZN7rocprim17ROCPRIM_400000_NS6detail17trampoline_kernelINS0_14default_configENS1_25partition_config_selectorILNS1_17partition_subalgoE2EsNS0_10empty_typeEbEEZZNS1_14partition_implILS5_2ELb0ES3_jN6thrust23THRUST_200600_302600_NS6detail15normal_iteratorINSA_7pointerIsNSA_11hip_rocprim3tagENSA_11use_defaultESG_EEEEPS6_NSA_18transform_iteratorI7is_evenIsENSC_INSA_10device_ptrIsEEEESG_SG_EENS0_5tupleIJPsSJ_EEENSR_IJSJ_SJ_EEES6_PlJS6_EEE10hipError_tPvRmT3_T4_T5_T6_T7_T9_mT8_P12ihipStream_tbDpT10_ENKUlT_T0_E_clISt17integral_constantIbLb0EES1E_IbLb1EEEEDaS1A_S1B_EUlS1A_E_NS1_11comp_targetILNS1_3genE2ELNS1_11target_archE906ELNS1_3gpuE6ELNS1_3repE0EEENS1_30default_config_static_selectorELNS0_4arch9wavefront6targetE1EEEvT1_.kd
    .uniform_work_group_size: 1
    .uses_dynamic_stack: false
    .vgpr_count:     0
    .vgpr_spill_count: 0
    .wavefront_size: 64
  - .agpr_count:     0
    .args:
      - .offset:         0
        .size:           144
        .value_kind:     by_value
    .group_segment_fixed_size: 0
    .kernarg_segment_align: 8
    .kernarg_segment_size: 144
    .language:       OpenCL C
    .language_version:
      - 2
      - 0
    .max_flat_workgroup_size: 256
    .name:           _ZN7rocprim17ROCPRIM_400000_NS6detail17trampoline_kernelINS0_14default_configENS1_25partition_config_selectorILNS1_17partition_subalgoE2EsNS0_10empty_typeEbEEZZNS1_14partition_implILS5_2ELb0ES3_jN6thrust23THRUST_200600_302600_NS6detail15normal_iteratorINSA_7pointerIsNSA_11hip_rocprim3tagENSA_11use_defaultESG_EEEEPS6_NSA_18transform_iteratorI7is_evenIsENSC_INSA_10device_ptrIsEEEESG_SG_EENS0_5tupleIJPsSJ_EEENSR_IJSJ_SJ_EEES6_PlJS6_EEE10hipError_tPvRmT3_T4_T5_T6_T7_T9_mT8_P12ihipStream_tbDpT10_ENKUlT_T0_E_clISt17integral_constantIbLb0EES1E_IbLb1EEEEDaS1A_S1B_EUlS1A_E_NS1_11comp_targetILNS1_3genE10ELNS1_11target_archE1200ELNS1_3gpuE4ELNS1_3repE0EEENS1_30default_config_static_selectorELNS0_4arch9wavefront6targetE1EEEvT1_
    .private_segment_fixed_size: 0
    .sgpr_count:     6
    .sgpr_spill_count: 0
    .symbol:         _ZN7rocprim17ROCPRIM_400000_NS6detail17trampoline_kernelINS0_14default_configENS1_25partition_config_selectorILNS1_17partition_subalgoE2EsNS0_10empty_typeEbEEZZNS1_14partition_implILS5_2ELb0ES3_jN6thrust23THRUST_200600_302600_NS6detail15normal_iteratorINSA_7pointerIsNSA_11hip_rocprim3tagENSA_11use_defaultESG_EEEEPS6_NSA_18transform_iteratorI7is_evenIsENSC_INSA_10device_ptrIsEEEESG_SG_EENS0_5tupleIJPsSJ_EEENSR_IJSJ_SJ_EEES6_PlJS6_EEE10hipError_tPvRmT3_T4_T5_T6_T7_T9_mT8_P12ihipStream_tbDpT10_ENKUlT_T0_E_clISt17integral_constantIbLb0EES1E_IbLb1EEEEDaS1A_S1B_EUlS1A_E_NS1_11comp_targetILNS1_3genE10ELNS1_11target_archE1200ELNS1_3gpuE4ELNS1_3repE0EEENS1_30default_config_static_selectorELNS0_4arch9wavefront6targetE1EEEvT1_.kd
    .uniform_work_group_size: 1
    .uses_dynamic_stack: false
    .vgpr_count:     0
    .vgpr_spill_count: 0
    .wavefront_size: 64
  - .agpr_count:     0
    .args:
      - .offset:         0
        .size:           144
        .value_kind:     by_value
    .group_segment_fixed_size: 0
    .kernarg_segment_align: 8
    .kernarg_segment_size: 144
    .language:       OpenCL C
    .language_version:
      - 2
      - 0
    .max_flat_workgroup_size: 128
    .name:           _ZN7rocprim17ROCPRIM_400000_NS6detail17trampoline_kernelINS0_14default_configENS1_25partition_config_selectorILNS1_17partition_subalgoE2EsNS0_10empty_typeEbEEZZNS1_14partition_implILS5_2ELb0ES3_jN6thrust23THRUST_200600_302600_NS6detail15normal_iteratorINSA_7pointerIsNSA_11hip_rocprim3tagENSA_11use_defaultESG_EEEEPS6_NSA_18transform_iteratorI7is_evenIsENSC_INSA_10device_ptrIsEEEESG_SG_EENS0_5tupleIJPsSJ_EEENSR_IJSJ_SJ_EEES6_PlJS6_EEE10hipError_tPvRmT3_T4_T5_T6_T7_T9_mT8_P12ihipStream_tbDpT10_ENKUlT_T0_E_clISt17integral_constantIbLb0EES1E_IbLb1EEEEDaS1A_S1B_EUlS1A_E_NS1_11comp_targetILNS1_3genE9ELNS1_11target_archE1100ELNS1_3gpuE3ELNS1_3repE0EEENS1_30default_config_static_selectorELNS0_4arch9wavefront6targetE1EEEvT1_
    .private_segment_fixed_size: 0
    .sgpr_count:     6
    .sgpr_spill_count: 0
    .symbol:         _ZN7rocprim17ROCPRIM_400000_NS6detail17trampoline_kernelINS0_14default_configENS1_25partition_config_selectorILNS1_17partition_subalgoE2EsNS0_10empty_typeEbEEZZNS1_14partition_implILS5_2ELb0ES3_jN6thrust23THRUST_200600_302600_NS6detail15normal_iteratorINSA_7pointerIsNSA_11hip_rocprim3tagENSA_11use_defaultESG_EEEEPS6_NSA_18transform_iteratorI7is_evenIsENSC_INSA_10device_ptrIsEEEESG_SG_EENS0_5tupleIJPsSJ_EEENSR_IJSJ_SJ_EEES6_PlJS6_EEE10hipError_tPvRmT3_T4_T5_T6_T7_T9_mT8_P12ihipStream_tbDpT10_ENKUlT_T0_E_clISt17integral_constantIbLb0EES1E_IbLb1EEEEDaS1A_S1B_EUlS1A_E_NS1_11comp_targetILNS1_3genE9ELNS1_11target_archE1100ELNS1_3gpuE3ELNS1_3repE0EEENS1_30default_config_static_selectorELNS0_4arch9wavefront6targetE1EEEvT1_.kd
    .uniform_work_group_size: 1
    .uses_dynamic_stack: false
    .vgpr_count:     0
    .vgpr_spill_count: 0
    .wavefront_size: 64
  - .agpr_count:     0
    .args:
      - .offset:         0
        .size:           144
        .value_kind:     by_value
    .group_segment_fixed_size: 0
    .kernarg_segment_align: 8
    .kernarg_segment_size: 144
    .language:       OpenCL C
    .language_version:
      - 2
      - 0
    .max_flat_workgroup_size: 512
    .name:           _ZN7rocprim17ROCPRIM_400000_NS6detail17trampoline_kernelINS0_14default_configENS1_25partition_config_selectorILNS1_17partition_subalgoE2EsNS0_10empty_typeEbEEZZNS1_14partition_implILS5_2ELb0ES3_jN6thrust23THRUST_200600_302600_NS6detail15normal_iteratorINSA_7pointerIsNSA_11hip_rocprim3tagENSA_11use_defaultESG_EEEEPS6_NSA_18transform_iteratorI7is_evenIsENSC_INSA_10device_ptrIsEEEESG_SG_EENS0_5tupleIJPsSJ_EEENSR_IJSJ_SJ_EEES6_PlJS6_EEE10hipError_tPvRmT3_T4_T5_T6_T7_T9_mT8_P12ihipStream_tbDpT10_ENKUlT_T0_E_clISt17integral_constantIbLb0EES1E_IbLb1EEEEDaS1A_S1B_EUlS1A_E_NS1_11comp_targetILNS1_3genE8ELNS1_11target_archE1030ELNS1_3gpuE2ELNS1_3repE0EEENS1_30default_config_static_selectorELNS0_4arch9wavefront6targetE1EEEvT1_
    .private_segment_fixed_size: 0
    .sgpr_count:     6
    .sgpr_spill_count: 0
    .symbol:         _ZN7rocprim17ROCPRIM_400000_NS6detail17trampoline_kernelINS0_14default_configENS1_25partition_config_selectorILNS1_17partition_subalgoE2EsNS0_10empty_typeEbEEZZNS1_14partition_implILS5_2ELb0ES3_jN6thrust23THRUST_200600_302600_NS6detail15normal_iteratorINSA_7pointerIsNSA_11hip_rocprim3tagENSA_11use_defaultESG_EEEEPS6_NSA_18transform_iteratorI7is_evenIsENSC_INSA_10device_ptrIsEEEESG_SG_EENS0_5tupleIJPsSJ_EEENSR_IJSJ_SJ_EEES6_PlJS6_EEE10hipError_tPvRmT3_T4_T5_T6_T7_T9_mT8_P12ihipStream_tbDpT10_ENKUlT_T0_E_clISt17integral_constantIbLb0EES1E_IbLb1EEEEDaS1A_S1B_EUlS1A_E_NS1_11comp_targetILNS1_3genE8ELNS1_11target_archE1030ELNS1_3gpuE2ELNS1_3repE0EEENS1_30default_config_static_selectorELNS0_4arch9wavefront6targetE1EEEvT1_.kd
    .uniform_work_group_size: 1
    .uses_dynamic_stack: false
    .vgpr_count:     0
    .vgpr_spill_count: 0
    .wavefront_size: 64
  - .agpr_count:     0
    .args:
      - .offset:         0
        .size:           16
        .value_kind:     by_value
      - .offset:         16
        .size:           8
        .value_kind:     by_value
      - .offset:         24
        .size:           8
        .value_kind:     by_value
    .group_segment_fixed_size: 0
    .kernarg_segment_align: 8
    .kernarg_segment_size: 32
    .language:       OpenCL C
    .language_version:
      - 2
      - 0
    .max_flat_workgroup_size: 256
    .name:           _ZN6thrust23THRUST_200600_302600_NS11hip_rocprim14__parallel_for6kernelILj256ENS1_13__swap_ranges6swap_fINS0_6detail15normal_iteratorINS0_10device_ptrIsEEEENS0_16reverse_iteratorISA_EEEElLj1EEEvT0_T1_SF_
    .private_segment_fixed_size: 0
    .sgpr_count:     18
    .sgpr_spill_count: 0
    .symbol:         _ZN6thrust23THRUST_200600_302600_NS11hip_rocprim14__parallel_for6kernelILj256ENS1_13__swap_ranges6swap_fINS0_6detail15normal_iteratorINS0_10device_ptrIsEEEENS0_16reverse_iteratorISA_EEEElLj1EEEvT0_T1_SF_.kd
    .uniform_work_group_size: 1
    .uses_dynamic_stack: false
    .vgpr_count:     7
    .vgpr_spill_count: 0
    .wavefront_size: 64
  - .agpr_count:     0
    .args:
      - .offset:         0
        .size:           120
        .value_kind:     by_value
    .group_segment_fixed_size: 0
    .kernarg_segment_align: 8
    .kernarg_segment_size: 120
    .language:       OpenCL C
    .language_version:
      - 2
      - 0
    .max_flat_workgroup_size: 128
    .name:           _ZN7rocprim17ROCPRIM_400000_NS6detail17trampoline_kernelINS0_14default_configENS1_25partition_config_selectorILNS1_17partition_subalgoE0ExNS0_10empty_typeEbEEZZNS1_14partition_implILS5_0ELb0ES3_jN6thrust23THRUST_200600_302600_NS6detail15normal_iteratorINSA_10device_ptrIxEEEEPS6_SG_NS0_5tupleIJSF_SF_EEENSH_IJSG_SG_EEES6_PlJ7is_evenIxEEEE10hipError_tPvRmT3_T4_T5_T6_T7_T9_mT8_P12ihipStream_tbDpT10_ENKUlT_T0_E_clISt17integral_constantIbLb0EES16_EEDaS11_S12_EUlS11_E_NS1_11comp_targetILNS1_3genE0ELNS1_11target_archE4294967295ELNS1_3gpuE0ELNS1_3repE0EEENS1_30default_config_static_selectorELNS0_4arch9wavefront6targetE1EEEvT1_
    .private_segment_fixed_size: 0
    .sgpr_count:     6
    .sgpr_spill_count: 0
    .symbol:         _ZN7rocprim17ROCPRIM_400000_NS6detail17trampoline_kernelINS0_14default_configENS1_25partition_config_selectorILNS1_17partition_subalgoE0ExNS0_10empty_typeEbEEZZNS1_14partition_implILS5_0ELb0ES3_jN6thrust23THRUST_200600_302600_NS6detail15normal_iteratorINSA_10device_ptrIxEEEEPS6_SG_NS0_5tupleIJSF_SF_EEENSH_IJSG_SG_EEES6_PlJ7is_evenIxEEEE10hipError_tPvRmT3_T4_T5_T6_T7_T9_mT8_P12ihipStream_tbDpT10_ENKUlT_T0_E_clISt17integral_constantIbLb0EES16_EEDaS11_S12_EUlS11_E_NS1_11comp_targetILNS1_3genE0ELNS1_11target_archE4294967295ELNS1_3gpuE0ELNS1_3repE0EEENS1_30default_config_static_selectorELNS0_4arch9wavefront6targetE1EEEvT1_.kd
    .uniform_work_group_size: 1
    .uses_dynamic_stack: false
    .vgpr_count:     0
    .vgpr_spill_count: 0
    .wavefront_size: 64
  - .agpr_count:     0
    .args:
      - .offset:         0
        .size:           120
        .value_kind:     by_value
    .group_segment_fixed_size: 28680
    .kernarg_segment_align: 8
    .kernarg_segment_size: 120
    .language:       OpenCL C
    .language_version:
      - 2
      - 0
    .max_flat_workgroup_size: 512
    .name:           _ZN7rocprim17ROCPRIM_400000_NS6detail17trampoline_kernelINS0_14default_configENS1_25partition_config_selectorILNS1_17partition_subalgoE0ExNS0_10empty_typeEbEEZZNS1_14partition_implILS5_0ELb0ES3_jN6thrust23THRUST_200600_302600_NS6detail15normal_iteratorINSA_10device_ptrIxEEEEPS6_SG_NS0_5tupleIJSF_SF_EEENSH_IJSG_SG_EEES6_PlJ7is_evenIxEEEE10hipError_tPvRmT3_T4_T5_T6_T7_T9_mT8_P12ihipStream_tbDpT10_ENKUlT_T0_E_clISt17integral_constantIbLb0EES16_EEDaS11_S12_EUlS11_E_NS1_11comp_targetILNS1_3genE5ELNS1_11target_archE942ELNS1_3gpuE9ELNS1_3repE0EEENS1_30default_config_static_selectorELNS0_4arch9wavefront6targetE1EEEvT1_
    .private_segment_fixed_size: 0
    .sgpr_count:     50
    .sgpr_spill_count: 0
    .symbol:         _ZN7rocprim17ROCPRIM_400000_NS6detail17trampoline_kernelINS0_14default_configENS1_25partition_config_selectorILNS1_17partition_subalgoE0ExNS0_10empty_typeEbEEZZNS1_14partition_implILS5_0ELb0ES3_jN6thrust23THRUST_200600_302600_NS6detail15normal_iteratorINSA_10device_ptrIxEEEEPS6_SG_NS0_5tupleIJSF_SF_EEENSH_IJSG_SG_EEES6_PlJ7is_evenIxEEEE10hipError_tPvRmT3_T4_T5_T6_T7_T9_mT8_P12ihipStream_tbDpT10_ENKUlT_T0_E_clISt17integral_constantIbLb0EES16_EEDaS11_S12_EUlS11_E_NS1_11comp_targetILNS1_3genE5ELNS1_11target_archE942ELNS1_3gpuE9ELNS1_3repE0EEENS1_30default_config_static_selectorELNS0_4arch9wavefront6targetE1EEEvT1_.kd
    .uniform_work_group_size: 1
    .uses_dynamic_stack: false
    .vgpr_count:     57
    .vgpr_spill_count: 0
    .wavefront_size: 64
  - .agpr_count:     0
    .args:
      - .offset:         0
        .size:           120
        .value_kind:     by_value
    .group_segment_fixed_size: 0
    .kernarg_segment_align: 8
    .kernarg_segment_size: 120
    .language:       OpenCL C
    .language_version:
      - 2
      - 0
    .max_flat_workgroup_size: 192
    .name:           _ZN7rocprim17ROCPRIM_400000_NS6detail17trampoline_kernelINS0_14default_configENS1_25partition_config_selectorILNS1_17partition_subalgoE0ExNS0_10empty_typeEbEEZZNS1_14partition_implILS5_0ELb0ES3_jN6thrust23THRUST_200600_302600_NS6detail15normal_iteratorINSA_10device_ptrIxEEEEPS6_SG_NS0_5tupleIJSF_SF_EEENSH_IJSG_SG_EEES6_PlJ7is_evenIxEEEE10hipError_tPvRmT3_T4_T5_T6_T7_T9_mT8_P12ihipStream_tbDpT10_ENKUlT_T0_E_clISt17integral_constantIbLb0EES16_EEDaS11_S12_EUlS11_E_NS1_11comp_targetILNS1_3genE4ELNS1_11target_archE910ELNS1_3gpuE8ELNS1_3repE0EEENS1_30default_config_static_selectorELNS0_4arch9wavefront6targetE1EEEvT1_
    .private_segment_fixed_size: 0
    .sgpr_count:     6
    .sgpr_spill_count: 0
    .symbol:         _ZN7rocprim17ROCPRIM_400000_NS6detail17trampoline_kernelINS0_14default_configENS1_25partition_config_selectorILNS1_17partition_subalgoE0ExNS0_10empty_typeEbEEZZNS1_14partition_implILS5_0ELb0ES3_jN6thrust23THRUST_200600_302600_NS6detail15normal_iteratorINSA_10device_ptrIxEEEEPS6_SG_NS0_5tupleIJSF_SF_EEENSH_IJSG_SG_EEES6_PlJ7is_evenIxEEEE10hipError_tPvRmT3_T4_T5_T6_T7_T9_mT8_P12ihipStream_tbDpT10_ENKUlT_T0_E_clISt17integral_constantIbLb0EES16_EEDaS11_S12_EUlS11_E_NS1_11comp_targetILNS1_3genE4ELNS1_11target_archE910ELNS1_3gpuE8ELNS1_3repE0EEENS1_30default_config_static_selectorELNS0_4arch9wavefront6targetE1EEEvT1_.kd
    .uniform_work_group_size: 1
    .uses_dynamic_stack: false
    .vgpr_count:     0
    .vgpr_spill_count: 0
    .wavefront_size: 64
  - .agpr_count:     0
    .args:
      - .offset:         0
        .size:           120
        .value_kind:     by_value
    .group_segment_fixed_size: 0
    .kernarg_segment_align: 8
    .kernarg_segment_size: 120
    .language:       OpenCL C
    .language_version:
      - 2
      - 0
    .max_flat_workgroup_size: 128
    .name:           _ZN7rocprim17ROCPRIM_400000_NS6detail17trampoline_kernelINS0_14default_configENS1_25partition_config_selectorILNS1_17partition_subalgoE0ExNS0_10empty_typeEbEEZZNS1_14partition_implILS5_0ELb0ES3_jN6thrust23THRUST_200600_302600_NS6detail15normal_iteratorINSA_10device_ptrIxEEEEPS6_SG_NS0_5tupleIJSF_SF_EEENSH_IJSG_SG_EEES6_PlJ7is_evenIxEEEE10hipError_tPvRmT3_T4_T5_T6_T7_T9_mT8_P12ihipStream_tbDpT10_ENKUlT_T0_E_clISt17integral_constantIbLb0EES16_EEDaS11_S12_EUlS11_E_NS1_11comp_targetILNS1_3genE3ELNS1_11target_archE908ELNS1_3gpuE7ELNS1_3repE0EEENS1_30default_config_static_selectorELNS0_4arch9wavefront6targetE1EEEvT1_
    .private_segment_fixed_size: 0
    .sgpr_count:     6
    .sgpr_spill_count: 0
    .symbol:         _ZN7rocprim17ROCPRIM_400000_NS6detail17trampoline_kernelINS0_14default_configENS1_25partition_config_selectorILNS1_17partition_subalgoE0ExNS0_10empty_typeEbEEZZNS1_14partition_implILS5_0ELb0ES3_jN6thrust23THRUST_200600_302600_NS6detail15normal_iteratorINSA_10device_ptrIxEEEEPS6_SG_NS0_5tupleIJSF_SF_EEENSH_IJSG_SG_EEES6_PlJ7is_evenIxEEEE10hipError_tPvRmT3_T4_T5_T6_T7_T9_mT8_P12ihipStream_tbDpT10_ENKUlT_T0_E_clISt17integral_constantIbLb0EES16_EEDaS11_S12_EUlS11_E_NS1_11comp_targetILNS1_3genE3ELNS1_11target_archE908ELNS1_3gpuE7ELNS1_3repE0EEENS1_30default_config_static_selectorELNS0_4arch9wavefront6targetE1EEEvT1_.kd
    .uniform_work_group_size: 1
    .uses_dynamic_stack: false
    .vgpr_count:     0
    .vgpr_spill_count: 0
    .wavefront_size: 64
  - .agpr_count:     0
    .args:
      - .offset:         0
        .size:           120
        .value_kind:     by_value
    .group_segment_fixed_size: 0
    .kernarg_segment_align: 8
    .kernarg_segment_size: 120
    .language:       OpenCL C
    .language_version:
      - 2
      - 0
    .max_flat_workgroup_size: 256
    .name:           _ZN7rocprim17ROCPRIM_400000_NS6detail17trampoline_kernelINS0_14default_configENS1_25partition_config_selectorILNS1_17partition_subalgoE0ExNS0_10empty_typeEbEEZZNS1_14partition_implILS5_0ELb0ES3_jN6thrust23THRUST_200600_302600_NS6detail15normal_iteratorINSA_10device_ptrIxEEEEPS6_SG_NS0_5tupleIJSF_SF_EEENSH_IJSG_SG_EEES6_PlJ7is_evenIxEEEE10hipError_tPvRmT3_T4_T5_T6_T7_T9_mT8_P12ihipStream_tbDpT10_ENKUlT_T0_E_clISt17integral_constantIbLb0EES16_EEDaS11_S12_EUlS11_E_NS1_11comp_targetILNS1_3genE2ELNS1_11target_archE906ELNS1_3gpuE6ELNS1_3repE0EEENS1_30default_config_static_selectorELNS0_4arch9wavefront6targetE1EEEvT1_
    .private_segment_fixed_size: 0
    .sgpr_count:     6
    .sgpr_spill_count: 0
    .symbol:         _ZN7rocprim17ROCPRIM_400000_NS6detail17trampoline_kernelINS0_14default_configENS1_25partition_config_selectorILNS1_17partition_subalgoE0ExNS0_10empty_typeEbEEZZNS1_14partition_implILS5_0ELb0ES3_jN6thrust23THRUST_200600_302600_NS6detail15normal_iteratorINSA_10device_ptrIxEEEEPS6_SG_NS0_5tupleIJSF_SF_EEENSH_IJSG_SG_EEES6_PlJ7is_evenIxEEEE10hipError_tPvRmT3_T4_T5_T6_T7_T9_mT8_P12ihipStream_tbDpT10_ENKUlT_T0_E_clISt17integral_constantIbLb0EES16_EEDaS11_S12_EUlS11_E_NS1_11comp_targetILNS1_3genE2ELNS1_11target_archE906ELNS1_3gpuE6ELNS1_3repE0EEENS1_30default_config_static_selectorELNS0_4arch9wavefront6targetE1EEEvT1_.kd
    .uniform_work_group_size: 1
    .uses_dynamic_stack: false
    .vgpr_count:     0
    .vgpr_spill_count: 0
    .wavefront_size: 64
  - .agpr_count:     0
    .args:
      - .offset:         0
        .size:           120
        .value_kind:     by_value
    .group_segment_fixed_size: 0
    .kernarg_segment_align: 8
    .kernarg_segment_size: 120
    .language:       OpenCL C
    .language_version:
      - 2
      - 0
    .max_flat_workgroup_size: 512
    .name:           _ZN7rocprim17ROCPRIM_400000_NS6detail17trampoline_kernelINS0_14default_configENS1_25partition_config_selectorILNS1_17partition_subalgoE0ExNS0_10empty_typeEbEEZZNS1_14partition_implILS5_0ELb0ES3_jN6thrust23THRUST_200600_302600_NS6detail15normal_iteratorINSA_10device_ptrIxEEEEPS6_SG_NS0_5tupleIJSF_SF_EEENSH_IJSG_SG_EEES6_PlJ7is_evenIxEEEE10hipError_tPvRmT3_T4_T5_T6_T7_T9_mT8_P12ihipStream_tbDpT10_ENKUlT_T0_E_clISt17integral_constantIbLb0EES16_EEDaS11_S12_EUlS11_E_NS1_11comp_targetILNS1_3genE10ELNS1_11target_archE1200ELNS1_3gpuE4ELNS1_3repE0EEENS1_30default_config_static_selectorELNS0_4arch9wavefront6targetE1EEEvT1_
    .private_segment_fixed_size: 0
    .sgpr_count:     6
    .sgpr_spill_count: 0
    .symbol:         _ZN7rocprim17ROCPRIM_400000_NS6detail17trampoline_kernelINS0_14default_configENS1_25partition_config_selectorILNS1_17partition_subalgoE0ExNS0_10empty_typeEbEEZZNS1_14partition_implILS5_0ELb0ES3_jN6thrust23THRUST_200600_302600_NS6detail15normal_iteratorINSA_10device_ptrIxEEEEPS6_SG_NS0_5tupleIJSF_SF_EEENSH_IJSG_SG_EEES6_PlJ7is_evenIxEEEE10hipError_tPvRmT3_T4_T5_T6_T7_T9_mT8_P12ihipStream_tbDpT10_ENKUlT_T0_E_clISt17integral_constantIbLb0EES16_EEDaS11_S12_EUlS11_E_NS1_11comp_targetILNS1_3genE10ELNS1_11target_archE1200ELNS1_3gpuE4ELNS1_3repE0EEENS1_30default_config_static_selectorELNS0_4arch9wavefront6targetE1EEEvT1_.kd
    .uniform_work_group_size: 1
    .uses_dynamic_stack: false
    .vgpr_count:     0
    .vgpr_spill_count: 0
    .wavefront_size: 64
  - .agpr_count:     0
    .args:
      - .offset:         0
        .size:           120
        .value_kind:     by_value
    .group_segment_fixed_size: 0
    .kernarg_segment_align: 8
    .kernarg_segment_size: 120
    .language:       OpenCL C
    .language_version:
      - 2
      - 0
    .max_flat_workgroup_size: 512
    .name:           _ZN7rocprim17ROCPRIM_400000_NS6detail17trampoline_kernelINS0_14default_configENS1_25partition_config_selectorILNS1_17partition_subalgoE0ExNS0_10empty_typeEbEEZZNS1_14partition_implILS5_0ELb0ES3_jN6thrust23THRUST_200600_302600_NS6detail15normal_iteratorINSA_10device_ptrIxEEEEPS6_SG_NS0_5tupleIJSF_SF_EEENSH_IJSG_SG_EEES6_PlJ7is_evenIxEEEE10hipError_tPvRmT3_T4_T5_T6_T7_T9_mT8_P12ihipStream_tbDpT10_ENKUlT_T0_E_clISt17integral_constantIbLb0EES16_EEDaS11_S12_EUlS11_E_NS1_11comp_targetILNS1_3genE9ELNS1_11target_archE1100ELNS1_3gpuE3ELNS1_3repE0EEENS1_30default_config_static_selectorELNS0_4arch9wavefront6targetE1EEEvT1_
    .private_segment_fixed_size: 0
    .sgpr_count:     6
    .sgpr_spill_count: 0
    .symbol:         _ZN7rocprim17ROCPRIM_400000_NS6detail17trampoline_kernelINS0_14default_configENS1_25partition_config_selectorILNS1_17partition_subalgoE0ExNS0_10empty_typeEbEEZZNS1_14partition_implILS5_0ELb0ES3_jN6thrust23THRUST_200600_302600_NS6detail15normal_iteratorINSA_10device_ptrIxEEEEPS6_SG_NS0_5tupleIJSF_SF_EEENSH_IJSG_SG_EEES6_PlJ7is_evenIxEEEE10hipError_tPvRmT3_T4_T5_T6_T7_T9_mT8_P12ihipStream_tbDpT10_ENKUlT_T0_E_clISt17integral_constantIbLb0EES16_EEDaS11_S12_EUlS11_E_NS1_11comp_targetILNS1_3genE9ELNS1_11target_archE1100ELNS1_3gpuE3ELNS1_3repE0EEENS1_30default_config_static_selectorELNS0_4arch9wavefront6targetE1EEEvT1_.kd
    .uniform_work_group_size: 1
    .uses_dynamic_stack: false
    .vgpr_count:     0
    .vgpr_spill_count: 0
    .wavefront_size: 64
  - .agpr_count:     0
    .args:
      - .offset:         0
        .size:           120
        .value_kind:     by_value
    .group_segment_fixed_size: 0
    .kernarg_segment_align: 8
    .kernarg_segment_size: 120
    .language:       OpenCL C
    .language_version:
      - 2
      - 0
    .max_flat_workgroup_size: 512
    .name:           _ZN7rocprim17ROCPRIM_400000_NS6detail17trampoline_kernelINS0_14default_configENS1_25partition_config_selectorILNS1_17partition_subalgoE0ExNS0_10empty_typeEbEEZZNS1_14partition_implILS5_0ELb0ES3_jN6thrust23THRUST_200600_302600_NS6detail15normal_iteratorINSA_10device_ptrIxEEEEPS6_SG_NS0_5tupleIJSF_SF_EEENSH_IJSG_SG_EEES6_PlJ7is_evenIxEEEE10hipError_tPvRmT3_T4_T5_T6_T7_T9_mT8_P12ihipStream_tbDpT10_ENKUlT_T0_E_clISt17integral_constantIbLb0EES16_EEDaS11_S12_EUlS11_E_NS1_11comp_targetILNS1_3genE8ELNS1_11target_archE1030ELNS1_3gpuE2ELNS1_3repE0EEENS1_30default_config_static_selectorELNS0_4arch9wavefront6targetE1EEEvT1_
    .private_segment_fixed_size: 0
    .sgpr_count:     6
    .sgpr_spill_count: 0
    .symbol:         _ZN7rocprim17ROCPRIM_400000_NS6detail17trampoline_kernelINS0_14default_configENS1_25partition_config_selectorILNS1_17partition_subalgoE0ExNS0_10empty_typeEbEEZZNS1_14partition_implILS5_0ELb0ES3_jN6thrust23THRUST_200600_302600_NS6detail15normal_iteratorINSA_10device_ptrIxEEEEPS6_SG_NS0_5tupleIJSF_SF_EEENSH_IJSG_SG_EEES6_PlJ7is_evenIxEEEE10hipError_tPvRmT3_T4_T5_T6_T7_T9_mT8_P12ihipStream_tbDpT10_ENKUlT_T0_E_clISt17integral_constantIbLb0EES16_EEDaS11_S12_EUlS11_E_NS1_11comp_targetILNS1_3genE8ELNS1_11target_archE1030ELNS1_3gpuE2ELNS1_3repE0EEENS1_30default_config_static_selectorELNS0_4arch9wavefront6targetE1EEEvT1_.kd
    .uniform_work_group_size: 1
    .uses_dynamic_stack: false
    .vgpr_count:     0
    .vgpr_spill_count: 0
    .wavefront_size: 64
  - .agpr_count:     0
    .args:
      - .offset:         0
        .size:           136
        .value_kind:     by_value
    .group_segment_fixed_size: 0
    .kernarg_segment_align: 8
    .kernarg_segment_size: 136
    .language:       OpenCL C
    .language_version:
      - 2
      - 0
    .max_flat_workgroup_size: 128
    .name:           _ZN7rocprim17ROCPRIM_400000_NS6detail17trampoline_kernelINS0_14default_configENS1_25partition_config_selectorILNS1_17partition_subalgoE0ExNS0_10empty_typeEbEEZZNS1_14partition_implILS5_0ELb0ES3_jN6thrust23THRUST_200600_302600_NS6detail15normal_iteratorINSA_10device_ptrIxEEEEPS6_SG_NS0_5tupleIJSF_SF_EEENSH_IJSG_SG_EEES6_PlJ7is_evenIxEEEE10hipError_tPvRmT3_T4_T5_T6_T7_T9_mT8_P12ihipStream_tbDpT10_ENKUlT_T0_E_clISt17integral_constantIbLb1EES16_EEDaS11_S12_EUlS11_E_NS1_11comp_targetILNS1_3genE0ELNS1_11target_archE4294967295ELNS1_3gpuE0ELNS1_3repE0EEENS1_30default_config_static_selectorELNS0_4arch9wavefront6targetE1EEEvT1_
    .private_segment_fixed_size: 0
    .sgpr_count:     6
    .sgpr_spill_count: 0
    .symbol:         _ZN7rocprim17ROCPRIM_400000_NS6detail17trampoline_kernelINS0_14default_configENS1_25partition_config_selectorILNS1_17partition_subalgoE0ExNS0_10empty_typeEbEEZZNS1_14partition_implILS5_0ELb0ES3_jN6thrust23THRUST_200600_302600_NS6detail15normal_iteratorINSA_10device_ptrIxEEEEPS6_SG_NS0_5tupleIJSF_SF_EEENSH_IJSG_SG_EEES6_PlJ7is_evenIxEEEE10hipError_tPvRmT3_T4_T5_T6_T7_T9_mT8_P12ihipStream_tbDpT10_ENKUlT_T0_E_clISt17integral_constantIbLb1EES16_EEDaS11_S12_EUlS11_E_NS1_11comp_targetILNS1_3genE0ELNS1_11target_archE4294967295ELNS1_3gpuE0ELNS1_3repE0EEENS1_30default_config_static_selectorELNS0_4arch9wavefront6targetE1EEEvT1_.kd
    .uniform_work_group_size: 1
    .uses_dynamic_stack: false
    .vgpr_count:     0
    .vgpr_spill_count: 0
    .wavefront_size: 64
  - .agpr_count:     0
    .args:
      - .offset:         0
        .size:           136
        .value_kind:     by_value
    .group_segment_fixed_size: 28680
    .kernarg_segment_align: 8
    .kernarg_segment_size: 136
    .language:       OpenCL C
    .language_version:
      - 2
      - 0
    .max_flat_workgroup_size: 512
    .name:           _ZN7rocprim17ROCPRIM_400000_NS6detail17trampoline_kernelINS0_14default_configENS1_25partition_config_selectorILNS1_17partition_subalgoE0ExNS0_10empty_typeEbEEZZNS1_14partition_implILS5_0ELb0ES3_jN6thrust23THRUST_200600_302600_NS6detail15normal_iteratorINSA_10device_ptrIxEEEEPS6_SG_NS0_5tupleIJSF_SF_EEENSH_IJSG_SG_EEES6_PlJ7is_evenIxEEEE10hipError_tPvRmT3_T4_T5_T6_T7_T9_mT8_P12ihipStream_tbDpT10_ENKUlT_T0_E_clISt17integral_constantIbLb1EES16_EEDaS11_S12_EUlS11_E_NS1_11comp_targetILNS1_3genE5ELNS1_11target_archE942ELNS1_3gpuE9ELNS1_3repE0EEENS1_30default_config_static_selectorELNS0_4arch9wavefront6targetE1EEEvT1_
    .private_segment_fixed_size: 0
    .sgpr_count:     50
    .sgpr_spill_count: 0
    .symbol:         _ZN7rocprim17ROCPRIM_400000_NS6detail17trampoline_kernelINS0_14default_configENS1_25partition_config_selectorILNS1_17partition_subalgoE0ExNS0_10empty_typeEbEEZZNS1_14partition_implILS5_0ELb0ES3_jN6thrust23THRUST_200600_302600_NS6detail15normal_iteratorINSA_10device_ptrIxEEEEPS6_SG_NS0_5tupleIJSF_SF_EEENSH_IJSG_SG_EEES6_PlJ7is_evenIxEEEE10hipError_tPvRmT3_T4_T5_T6_T7_T9_mT8_P12ihipStream_tbDpT10_ENKUlT_T0_E_clISt17integral_constantIbLb1EES16_EEDaS11_S12_EUlS11_E_NS1_11comp_targetILNS1_3genE5ELNS1_11target_archE942ELNS1_3gpuE9ELNS1_3repE0EEENS1_30default_config_static_selectorELNS0_4arch9wavefront6targetE1EEEvT1_.kd
    .uniform_work_group_size: 1
    .uses_dynamic_stack: false
    .vgpr_count:     61
    .vgpr_spill_count: 0
    .wavefront_size: 64
  - .agpr_count:     0
    .args:
      - .offset:         0
        .size:           136
        .value_kind:     by_value
    .group_segment_fixed_size: 0
    .kernarg_segment_align: 8
    .kernarg_segment_size: 136
    .language:       OpenCL C
    .language_version:
      - 2
      - 0
    .max_flat_workgroup_size: 192
    .name:           _ZN7rocprim17ROCPRIM_400000_NS6detail17trampoline_kernelINS0_14default_configENS1_25partition_config_selectorILNS1_17partition_subalgoE0ExNS0_10empty_typeEbEEZZNS1_14partition_implILS5_0ELb0ES3_jN6thrust23THRUST_200600_302600_NS6detail15normal_iteratorINSA_10device_ptrIxEEEEPS6_SG_NS0_5tupleIJSF_SF_EEENSH_IJSG_SG_EEES6_PlJ7is_evenIxEEEE10hipError_tPvRmT3_T4_T5_T6_T7_T9_mT8_P12ihipStream_tbDpT10_ENKUlT_T0_E_clISt17integral_constantIbLb1EES16_EEDaS11_S12_EUlS11_E_NS1_11comp_targetILNS1_3genE4ELNS1_11target_archE910ELNS1_3gpuE8ELNS1_3repE0EEENS1_30default_config_static_selectorELNS0_4arch9wavefront6targetE1EEEvT1_
    .private_segment_fixed_size: 0
    .sgpr_count:     6
    .sgpr_spill_count: 0
    .symbol:         _ZN7rocprim17ROCPRIM_400000_NS6detail17trampoline_kernelINS0_14default_configENS1_25partition_config_selectorILNS1_17partition_subalgoE0ExNS0_10empty_typeEbEEZZNS1_14partition_implILS5_0ELb0ES3_jN6thrust23THRUST_200600_302600_NS6detail15normal_iteratorINSA_10device_ptrIxEEEEPS6_SG_NS0_5tupleIJSF_SF_EEENSH_IJSG_SG_EEES6_PlJ7is_evenIxEEEE10hipError_tPvRmT3_T4_T5_T6_T7_T9_mT8_P12ihipStream_tbDpT10_ENKUlT_T0_E_clISt17integral_constantIbLb1EES16_EEDaS11_S12_EUlS11_E_NS1_11comp_targetILNS1_3genE4ELNS1_11target_archE910ELNS1_3gpuE8ELNS1_3repE0EEENS1_30default_config_static_selectorELNS0_4arch9wavefront6targetE1EEEvT1_.kd
    .uniform_work_group_size: 1
    .uses_dynamic_stack: false
    .vgpr_count:     0
    .vgpr_spill_count: 0
    .wavefront_size: 64
  - .agpr_count:     0
    .args:
      - .offset:         0
        .size:           136
        .value_kind:     by_value
    .group_segment_fixed_size: 0
    .kernarg_segment_align: 8
    .kernarg_segment_size: 136
    .language:       OpenCL C
    .language_version:
      - 2
      - 0
    .max_flat_workgroup_size: 128
    .name:           _ZN7rocprim17ROCPRIM_400000_NS6detail17trampoline_kernelINS0_14default_configENS1_25partition_config_selectorILNS1_17partition_subalgoE0ExNS0_10empty_typeEbEEZZNS1_14partition_implILS5_0ELb0ES3_jN6thrust23THRUST_200600_302600_NS6detail15normal_iteratorINSA_10device_ptrIxEEEEPS6_SG_NS0_5tupleIJSF_SF_EEENSH_IJSG_SG_EEES6_PlJ7is_evenIxEEEE10hipError_tPvRmT3_T4_T5_T6_T7_T9_mT8_P12ihipStream_tbDpT10_ENKUlT_T0_E_clISt17integral_constantIbLb1EES16_EEDaS11_S12_EUlS11_E_NS1_11comp_targetILNS1_3genE3ELNS1_11target_archE908ELNS1_3gpuE7ELNS1_3repE0EEENS1_30default_config_static_selectorELNS0_4arch9wavefront6targetE1EEEvT1_
    .private_segment_fixed_size: 0
    .sgpr_count:     6
    .sgpr_spill_count: 0
    .symbol:         _ZN7rocprim17ROCPRIM_400000_NS6detail17trampoline_kernelINS0_14default_configENS1_25partition_config_selectorILNS1_17partition_subalgoE0ExNS0_10empty_typeEbEEZZNS1_14partition_implILS5_0ELb0ES3_jN6thrust23THRUST_200600_302600_NS6detail15normal_iteratorINSA_10device_ptrIxEEEEPS6_SG_NS0_5tupleIJSF_SF_EEENSH_IJSG_SG_EEES6_PlJ7is_evenIxEEEE10hipError_tPvRmT3_T4_T5_T6_T7_T9_mT8_P12ihipStream_tbDpT10_ENKUlT_T0_E_clISt17integral_constantIbLb1EES16_EEDaS11_S12_EUlS11_E_NS1_11comp_targetILNS1_3genE3ELNS1_11target_archE908ELNS1_3gpuE7ELNS1_3repE0EEENS1_30default_config_static_selectorELNS0_4arch9wavefront6targetE1EEEvT1_.kd
    .uniform_work_group_size: 1
    .uses_dynamic_stack: false
    .vgpr_count:     0
    .vgpr_spill_count: 0
    .wavefront_size: 64
  - .agpr_count:     0
    .args:
      - .offset:         0
        .size:           136
        .value_kind:     by_value
    .group_segment_fixed_size: 0
    .kernarg_segment_align: 8
    .kernarg_segment_size: 136
    .language:       OpenCL C
    .language_version:
      - 2
      - 0
    .max_flat_workgroup_size: 256
    .name:           _ZN7rocprim17ROCPRIM_400000_NS6detail17trampoline_kernelINS0_14default_configENS1_25partition_config_selectorILNS1_17partition_subalgoE0ExNS0_10empty_typeEbEEZZNS1_14partition_implILS5_0ELb0ES3_jN6thrust23THRUST_200600_302600_NS6detail15normal_iteratorINSA_10device_ptrIxEEEEPS6_SG_NS0_5tupleIJSF_SF_EEENSH_IJSG_SG_EEES6_PlJ7is_evenIxEEEE10hipError_tPvRmT3_T4_T5_T6_T7_T9_mT8_P12ihipStream_tbDpT10_ENKUlT_T0_E_clISt17integral_constantIbLb1EES16_EEDaS11_S12_EUlS11_E_NS1_11comp_targetILNS1_3genE2ELNS1_11target_archE906ELNS1_3gpuE6ELNS1_3repE0EEENS1_30default_config_static_selectorELNS0_4arch9wavefront6targetE1EEEvT1_
    .private_segment_fixed_size: 0
    .sgpr_count:     6
    .sgpr_spill_count: 0
    .symbol:         _ZN7rocprim17ROCPRIM_400000_NS6detail17trampoline_kernelINS0_14default_configENS1_25partition_config_selectorILNS1_17partition_subalgoE0ExNS0_10empty_typeEbEEZZNS1_14partition_implILS5_0ELb0ES3_jN6thrust23THRUST_200600_302600_NS6detail15normal_iteratorINSA_10device_ptrIxEEEEPS6_SG_NS0_5tupleIJSF_SF_EEENSH_IJSG_SG_EEES6_PlJ7is_evenIxEEEE10hipError_tPvRmT3_T4_T5_T6_T7_T9_mT8_P12ihipStream_tbDpT10_ENKUlT_T0_E_clISt17integral_constantIbLb1EES16_EEDaS11_S12_EUlS11_E_NS1_11comp_targetILNS1_3genE2ELNS1_11target_archE906ELNS1_3gpuE6ELNS1_3repE0EEENS1_30default_config_static_selectorELNS0_4arch9wavefront6targetE1EEEvT1_.kd
    .uniform_work_group_size: 1
    .uses_dynamic_stack: false
    .vgpr_count:     0
    .vgpr_spill_count: 0
    .wavefront_size: 64
  - .agpr_count:     0
    .args:
      - .offset:         0
        .size:           136
        .value_kind:     by_value
    .group_segment_fixed_size: 0
    .kernarg_segment_align: 8
    .kernarg_segment_size: 136
    .language:       OpenCL C
    .language_version:
      - 2
      - 0
    .max_flat_workgroup_size: 512
    .name:           _ZN7rocprim17ROCPRIM_400000_NS6detail17trampoline_kernelINS0_14default_configENS1_25partition_config_selectorILNS1_17partition_subalgoE0ExNS0_10empty_typeEbEEZZNS1_14partition_implILS5_0ELb0ES3_jN6thrust23THRUST_200600_302600_NS6detail15normal_iteratorINSA_10device_ptrIxEEEEPS6_SG_NS0_5tupleIJSF_SF_EEENSH_IJSG_SG_EEES6_PlJ7is_evenIxEEEE10hipError_tPvRmT3_T4_T5_T6_T7_T9_mT8_P12ihipStream_tbDpT10_ENKUlT_T0_E_clISt17integral_constantIbLb1EES16_EEDaS11_S12_EUlS11_E_NS1_11comp_targetILNS1_3genE10ELNS1_11target_archE1200ELNS1_3gpuE4ELNS1_3repE0EEENS1_30default_config_static_selectorELNS0_4arch9wavefront6targetE1EEEvT1_
    .private_segment_fixed_size: 0
    .sgpr_count:     6
    .sgpr_spill_count: 0
    .symbol:         _ZN7rocprim17ROCPRIM_400000_NS6detail17trampoline_kernelINS0_14default_configENS1_25partition_config_selectorILNS1_17partition_subalgoE0ExNS0_10empty_typeEbEEZZNS1_14partition_implILS5_0ELb0ES3_jN6thrust23THRUST_200600_302600_NS6detail15normal_iteratorINSA_10device_ptrIxEEEEPS6_SG_NS0_5tupleIJSF_SF_EEENSH_IJSG_SG_EEES6_PlJ7is_evenIxEEEE10hipError_tPvRmT3_T4_T5_T6_T7_T9_mT8_P12ihipStream_tbDpT10_ENKUlT_T0_E_clISt17integral_constantIbLb1EES16_EEDaS11_S12_EUlS11_E_NS1_11comp_targetILNS1_3genE10ELNS1_11target_archE1200ELNS1_3gpuE4ELNS1_3repE0EEENS1_30default_config_static_selectorELNS0_4arch9wavefront6targetE1EEEvT1_.kd
    .uniform_work_group_size: 1
    .uses_dynamic_stack: false
    .vgpr_count:     0
    .vgpr_spill_count: 0
    .wavefront_size: 64
  - .agpr_count:     0
    .args:
      - .offset:         0
        .size:           136
        .value_kind:     by_value
    .group_segment_fixed_size: 0
    .kernarg_segment_align: 8
    .kernarg_segment_size: 136
    .language:       OpenCL C
    .language_version:
      - 2
      - 0
    .max_flat_workgroup_size: 512
    .name:           _ZN7rocprim17ROCPRIM_400000_NS6detail17trampoline_kernelINS0_14default_configENS1_25partition_config_selectorILNS1_17partition_subalgoE0ExNS0_10empty_typeEbEEZZNS1_14partition_implILS5_0ELb0ES3_jN6thrust23THRUST_200600_302600_NS6detail15normal_iteratorINSA_10device_ptrIxEEEEPS6_SG_NS0_5tupleIJSF_SF_EEENSH_IJSG_SG_EEES6_PlJ7is_evenIxEEEE10hipError_tPvRmT3_T4_T5_T6_T7_T9_mT8_P12ihipStream_tbDpT10_ENKUlT_T0_E_clISt17integral_constantIbLb1EES16_EEDaS11_S12_EUlS11_E_NS1_11comp_targetILNS1_3genE9ELNS1_11target_archE1100ELNS1_3gpuE3ELNS1_3repE0EEENS1_30default_config_static_selectorELNS0_4arch9wavefront6targetE1EEEvT1_
    .private_segment_fixed_size: 0
    .sgpr_count:     6
    .sgpr_spill_count: 0
    .symbol:         _ZN7rocprim17ROCPRIM_400000_NS6detail17trampoline_kernelINS0_14default_configENS1_25partition_config_selectorILNS1_17partition_subalgoE0ExNS0_10empty_typeEbEEZZNS1_14partition_implILS5_0ELb0ES3_jN6thrust23THRUST_200600_302600_NS6detail15normal_iteratorINSA_10device_ptrIxEEEEPS6_SG_NS0_5tupleIJSF_SF_EEENSH_IJSG_SG_EEES6_PlJ7is_evenIxEEEE10hipError_tPvRmT3_T4_T5_T6_T7_T9_mT8_P12ihipStream_tbDpT10_ENKUlT_T0_E_clISt17integral_constantIbLb1EES16_EEDaS11_S12_EUlS11_E_NS1_11comp_targetILNS1_3genE9ELNS1_11target_archE1100ELNS1_3gpuE3ELNS1_3repE0EEENS1_30default_config_static_selectorELNS0_4arch9wavefront6targetE1EEEvT1_.kd
    .uniform_work_group_size: 1
    .uses_dynamic_stack: false
    .vgpr_count:     0
    .vgpr_spill_count: 0
    .wavefront_size: 64
  - .agpr_count:     0
    .args:
      - .offset:         0
        .size:           136
        .value_kind:     by_value
    .group_segment_fixed_size: 0
    .kernarg_segment_align: 8
    .kernarg_segment_size: 136
    .language:       OpenCL C
    .language_version:
      - 2
      - 0
    .max_flat_workgroup_size: 512
    .name:           _ZN7rocprim17ROCPRIM_400000_NS6detail17trampoline_kernelINS0_14default_configENS1_25partition_config_selectorILNS1_17partition_subalgoE0ExNS0_10empty_typeEbEEZZNS1_14partition_implILS5_0ELb0ES3_jN6thrust23THRUST_200600_302600_NS6detail15normal_iteratorINSA_10device_ptrIxEEEEPS6_SG_NS0_5tupleIJSF_SF_EEENSH_IJSG_SG_EEES6_PlJ7is_evenIxEEEE10hipError_tPvRmT3_T4_T5_T6_T7_T9_mT8_P12ihipStream_tbDpT10_ENKUlT_T0_E_clISt17integral_constantIbLb1EES16_EEDaS11_S12_EUlS11_E_NS1_11comp_targetILNS1_3genE8ELNS1_11target_archE1030ELNS1_3gpuE2ELNS1_3repE0EEENS1_30default_config_static_selectorELNS0_4arch9wavefront6targetE1EEEvT1_
    .private_segment_fixed_size: 0
    .sgpr_count:     6
    .sgpr_spill_count: 0
    .symbol:         _ZN7rocprim17ROCPRIM_400000_NS6detail17trampoline_kernelINS0_14default_configENS1_25partition_config_selectorILNS1_17partition_subalgoE0ExNS0_10empty_typeEbEEZZNS1_14partition_implILS5_0ELb0ES3_jN6thrust23THRUST_200600_302600_NS6detail15normal_iteratorINSA_10device_ptrIxEEEEPS6_SG_NS0_5tupleIJSF_SF_EEENSH_IJSG_SG_EEES6_PlJ7is_evenIxEEEE10hipError_tPvRmT3_T4_T5_T6_T7_T9_mT8_P12ihipStream_tbDpT10_ENKUlT_T0_E_clISt17integral_constantIbLb1EES16_EEDaS11_S12_EUlS11_E_NS1_11comp_targetILNS1_3genE8ELNS1_11target_archE1030ELNS1_3gpuE2ELNS1_3repE0EEENS1_30default_config_static_selectorELNS0_4arch9wavefront6targetE1EEEvT1_.kd
    .uniform_work_group_size: 1
    .uses_dynamic_stack: false
    .vgpr_count:     0
    .vgpr_spill_count: 0
    .wavefront_size: 64
  - .agpr_count:     0
    .args:
      - .offset:         0
        .size:           120
        .value_kind:     by_value
    .group_segment_fixed_size: 0
    .kernarg_segment_align: 8
    .kernarg_segment_size: 120
    .language:       OpenCL C
    .language_version:
      - 2
      - 0
    .max_flat_workgroup_size: 128
    .name:           _ZN7rocprim17ROCPRIM_400000_NS6detail17trampoline_kernelINS0_14default_configENS1_25partition_config_selectorILNS1_17partition_subalgoE0ExNS0_10empty_typeEbEEZZNS1_14partition_implILS5_0ELb0ES3_jN6thrust23THRUST_200600_302600_NS6detail15normal_iteratorINSA_10device_ptrIxEEEEPS6_SG_NS0_5tupleIJSF_SF_EEENSH_IJSG_SG_EEES6_PlJ7is_evenIxEEEE10hipError_tPvRmT3_T4_T5_T6_T7_T9_mT8_P12ihipStream_tbDpT10_ENKUlT_T0_E_clISt17integral_constantIbLb1EES15_IbLb0EEEEDaS11_S12_EUlS11_E_NS1_11comp_targetILNS1_3genE0ELNS1_11target_archE4294967295ELNS1_3gpuE0ELNS1_3repE0EEENS1_30default_config_static_selectorELNS0_4arch9wavefront6targetE1EEEvT1_
    .private_segment_fixed_size: 0
    .sgpr_count:     6
    .sgpr_spill_count: 0
    .symbol:         _ZN7rocprim17ROCPRIM_400000_NS6detail17trampoline_kernelINS0_14default_configENS1_25partition_config_selectorILNS1_17partition_subalgoE0ExNS0_10empty_typeEbEEZZNS1_14partition_implILS5_0ELb0ES3_jN6thrust23THRUST_200600_302600_NS6detail15normal_iteratorINSA_10device_ptrIxEEEEPS6_SG_NS0_5tupleIJSF_SF_EEENSH_IJSG_SG_EEES6_PlJ7is_evenIxEEEE10hipError_tPvRmT3_T4_T5_T6_T7_T9_mT8_P12ihipStream_tbDpT10_ENKUlT_T0_E_clISt17integral_constantIbLb1EES15_IbLb0EEEEDaS11_S12_EUlS11_E_NS1_11comp_targetILNS1_3genE0ELNS1_11target_archE4294967295ELNS1_3gpuE0ELNS1_3repE0EEENS1_30default_config_static_selectorELNS0_4arch9wavefront6targetE1EEEvT1_.kd
    .uniform_work_group_size: 1
    .uses_dynamic_stack: false
    .vgpr_count:     0
    .vgpr_spill_count: 0
    .wavefront_size: 64
  - .agpr_count:     0
    .args:
      - .offset:         0
        .size:           120
        .value_kind:     by_value
    .group_segment_fixed_size: 28680
    .kernarg_segment_align: 8
    .kernarg_segment_size: 120
    .language:       OpenCL C
    .language_version:
      - 2
      - 0
    .max_flat_workgroup_size: 512
    .name:           _ZN7rocprim17ROCPRIM_400000_NS6detail17trampoline_kernelINS0_14default_configENS1_25partition_config_selectorILNS1_17partition_subalgoE0ExNS0_10empty_typeEbEEZZNS1_14partition_implILS5_0ELb0ES3_jN6thrust23THRUST_200600_302600_NS6detail15normal_iteratorINSA_10device_ptrIxEEEEPS6_SG_NS0_5tupleIJSF_SF_EEENSH_IJSG_SG_EEES6_PlJ7is_evenIxEEEE10hipError_tPvRmT3_T4_T5_T6_T7_T9_mT8_P12ihipStream_tbDpT10_ENKUlT_T0_E_clISt17integral_constantIbLb1EES15_IbLb0EEEEDaS11_S12_EUlS11_E_NS1_11comp_targetILNS1_3genE5ELNS1_11target_archE942ELNS1_3gpuE9ELNS1_3repE0EEENS1_30default_config_static_selectorELNS0_4arch9wavefront6targetE1EEEvT1_
    .private_segment_fixed_size: 0
    .sgpr_count:     50
    .sgpr_spill_count: 0
    .symbol:         _ZN7rocprim17ROCPRIM_400000_NS6detail17trampoline_kernelINS0_14default_configENS1_25partition_config_selectorILNS1_17partition_subalgoE0ExNS0_10empty_typeEbEEZZNS1_14partition_implILS5_0ELb0ES3_jN6thrust23THRUST_200600_302600_NS6detail15normal_iteratorINSA_10device_ptrIxEEEEPS6_SG_NS0_5tupleIJSF_SF_EEENSH_IJSG_SG_EEES6_PlJ7is_evenIxEEEE10hipError_tPvRmT3_T4_T5_T6_T7_T9_mT8_P12ihipStream_tbDpT10_ENKUlT_T0_E_clISt17integral_constantIbLb1EES15_IbLb0EEEEDaS11_S12_EUlS11_E_NS1_11comp_targetILNS1_3genE5ELNS1_11target_archE942ELNS1_3gpuE9ELNS1_3repE0EEENS1_30default_config_static_selectorELNS0_4arch9wavefront6targetE1EEEvT1_.kd
    .uniform_work_group_size: 1
    .uses_dynamic_stack: false
    .vgpr_count:     57
    .vgpr_spill_count: 0
    .wavefront_size: 64
  - .agpr_count:     0
    .args:
      - .offset:         0
        .size:           120
        .value_kind:     by_value
    .group_segment_fixed_size: 0
    .kernarg_segment_align: 8
    .kernarg_segment_size: 120
    .language:       OpenCL C
    .language_version:
      - 2
      - 0
    .max_flat_workgroup_size: 192
    .name:           _ZN7rocprim17ROCPRIM_400000_NS6detail17trampoline_kernelINS0_14default_configENS1_25partition_config_selectorILNS1_17partition_subalgoE0ExNS0_10empty_typeEbEEZZNS1_14partition_implILS5_0ELb0ES3_jN6thrust23THRUST_200600_302600_NS6detail15normal_iteratorINSA_10device_ptrIxEEEEPS6_SG_NS0_5tupleIJSF_SF_EEENSH_IJSG_SG_EEES6_PlJ7is_evenIxEEEE10hipError_tPvRmT3_T4_T5_T6_T7_T9_mT8_P12ihipStream_tbDpT10_ENKUlT_T0_E_clISt17integral_constantIbLb1EES15_IbLb0EEEEDaS11_S12_EUlS11_E_NS1_11comp_targetILNS1_3genE4ELNS1_11target_archE910ELNS1_3gpuE8ELNS1_3repE0EEENS1_30default_config_static_selectorELNS0_4arch9wavefront6targetE1EEEvT1_
    .private_segment_fixed_size: 0
    .sgpr_count:     6
    .sgpr_spill_count: 0
    .symbol:         _ZN7rocprim17ROCPRIM_400000_NS6detail17trampoline_kernelINS0_14default_configENS1_25partition_config_selectorILNS1_17partition_subalgoE0ExNS0_10empty_typeEbEEZZNS1_14partition_implILS5_0ELb0ES3_jN6thrust23THRUST_200600_302600_NS6detail15normal_iteratorINSA_10device_ptrIxEEEEPS6_SG_NS0_5tupleIJSF_SF_EEENSH_IJSG_SG_EEES6_PlJ7is_evenIxEEEE10hipError_tPvRmT3_T4_T5_T6_T7_T9_mT8_P12ihipStream_tbDpT10_ENKUlT_T0_E_clISt17integral_constantIbLb1EES15_IbLb0EEEEDaS11_S12_EUlS11_E_NS1_11comp_targetILNS1_3genE4ELNS1_11target_archE910ELNS1_3gpuE8ELNS1_3repE0EEENS1_30default_config_static_selectorELNS0_4arch9wavefront6targetE1EEEvT1_.kd
    .uniform_work_group_size: 1
    .uses_dynamic_stack: false
    .vgpr_count:     0
    .vgpr_spill_count: 0
    .wavefront_size: 64
  - .agpr_count:     0
    .args:
      - .offset:         0
        .size:           120
        .value_kind:     by_value
    .group_segment_fixed_size: 0
    .kernarg_segment_align: 8
    .kernarg_segment_size: 120
    .language:       OpenCL C
    .language_version:
      - 2
      - 0
    .max_flat_workgroup_size: 128
    .name:           _ZN7rocprim17ROCPRIM_400000_NS6detail17trampoline_kernelINS0_14default_configENS1_25partition_config_selectorILNS1_17partition_subalgoE0ExNS0_10empty_typeEbEEZZNS1_14partition_implILS5_0ELb0ES3_jN6thrust23THRUST_200600_302600_NS6detail15normal_iteratorINSA_10device_ptrIxEEEEPS6_SG_NS0_5tupleIJSF_SF_EEENSH_IJSG_SG_EEES6_PlJ7is_evenIxEEEE10hipError_tPvRmT3_T4_T5_T6_T7_T9_mT8_P12ihipStream_tbDpT10_ENKUlT_T0_E_clISt17integral_constantIbLb1EES15_IbLb0EEEEDaS11_S12_EUlS11_E_NS1_11comp_targetILNS1_3genE3ELNS1_11target_archE908ELNS1_3gpuE7ELNS1_3repE0EEENS1_30default_config_static_selectorELNS0_4arch9wavefront6targetE1EEEvT1_
    .private_segment_fixed_size: 0
    .sgpr_count:     6
    .sgpr_spill_count: 0
    .symbol:         _ZN7rocprim17ROCPRIM_400000_NS6detail17trampoline_kernelINS0_14default_configENS1_25partition_config_selectorILNS1_17partition_subalgoE0ExNS0_10empty_typeEbEEZZNS1_14partition_implILS5_0ELb0ES3_jN6thrust23THRUST_200600_302600_NS6detail15normal_iteratorINSA_10device_ptrIxEEEEPS6_SG_NS0_5tupleIJSF_SF_EEENSH_IJSG_SG_EEES6_PlJ7is_evenIxEEEE10hipError_tPvRmT3_T4_T5_T6_T7_T9_mT8_P12ihipStream_tbDpT10_ENKUlT_T0_E_clISt17integral_constantIbLb1EES15_IbLb0EEEEDaS11_S12_EUlS11_E_NS1_11comp_targetILNS1_3genE3ELNS1_11target_archE908ELNS1_3gpuE7ELNS1_3repE0EEENS1_30default_config_static_selectorELNS0_4arch9wavefront6targetE1EEEvT1_.kd
    .uniform_work_group_size: 1
    .uses_dynamic_stack: false
    .vgpr_count:     0
    .vgpr_spill_count: 0
    .wavefront_size: 64
  - .agpr_count:     0
    .args:
      - .offset:         0
        .size:           120
        .value_kind:     by_value
    .group_segment_fixed_size: 0
    .kernarg_segment_align: 8
    .kernarg_segment_size: 120
    .language:       OpenCL C
    .language_version:
      - 2
      - 0
    .max_flat_workgroup_size: 256
    .name:           _ZN7rocprim17ROCPRIM_400000_NS6detail17trampoline_kernelINS0_14default_configENS1_25partition_config_selectorILNS1_17partition_subalgoE0ExNS0_10empty_typeEbEEZZNS1_14partition_implILS5_0ELb0ES3_jN6thrust23THRUST_200600_302600_NS6detail15normal_iteratorINSA_10device_ptrIxEEEEPS6_SG_NS0_5tupleIJSF_SF_EEENSH_IJSG_SG_EEES6_PlJ7is_evenIxEEEE10hipError_tPvRmT3_T4_T5_T6_T7_T9_mT8_P12ihipStream_tbDpT10_ENKUlT_T0_E_clISt17integral_constantIbLb1EES15_IbLb0EEEEDaS11_S12_EUlS11_E_NS1_11comp_targetILNS1_3genE2ELNS1_11target_archE906ELNS1_3gpuE6ELNS1_3repE0EEENS1_30default_config_static_selectorELNS0_4arch9wavefront6targetE1EEEvT1_
    .private_segment_fixed_size: 0
    .sgpr_count:     6
    .sgpr_spill_count: 0
    .symbol:         _ZN7rocprim17ROCPRIM_400000_NS6detail17trampoline_kernelINS0_14default_configENS1_25partition_config_selectorILNS1_17partition_subalgoE0ExNS0_10empty_typeEbEEZZNS1_14partition_implILS5_0ELb0ES3_jN6thrust23THRUST_200600_302600_NS6detail15normal_iteratorINSA_10device_ptrIxEEEEPS6_SG_NS0_5tupleIJSF_SF_EEENSH_IJSG_SG_EEES6_PlJ7is_evenIxEEEE10hipError_tPvRmT3_T4_T5_T6_T7_T9_mT8_P12ihipStream_tbDpT10_ENKUlT_T0_E_clISt17integral_constantIbLb1EES15_IbLb0EEEEDaS11_S12_EUlS11_E_NS1_11comp_targetILNS1_3genE2ELNS1_11target_archE906ELNS1_3gpuE6ELNS1_3repE0EEENS1_30default_config_static_selectorELNS0_4arch9wavefront6targetE1EEEvT1_.kd
    .uniform_work_group_size: 1
    .uses_dynamic_stack: false
    .vgpr_count:     0
    .vgpr_spill_count: 0
    .wavefront_size: 64
  - .agpr_count:     0
    .args:
      - .offset:         0
        .size:           120
        .value_kind:     by_value
    .group_segment_fixed_size: 0
    .kernarg_segment_align: 8
    .kernarg_segment_size: 120
    .language:       OpenCL C
    .language_version:
      - 2
      - 0
    .max_flat_workgroup_size: 512
    .name:           _ZN7rocprim17ROCPRIM_400000_NS6detail17trampoline_kernelINS0_14default_configENS1_25partition_config_selectorILNS1_17partition_subalgoE0ExNS0_10empty_typeEbEEZZNS1_14partition_implILS5_0ELb0ES3_jN6thrust23THRUST_200600_302600_NS6detail15normal_iteratorINSA_10device_ptrIxEEEEPS6_SG_NS0_5tupleIJSF_SF_EEENSH_IJSG_SG_EEES6_PlJ7is_evenIxEEEE10hipError_tPvRmT3_T4_T5_T6_T7_T9_mT8_P12ihipStream_tbDpT10_ENKUlT_T0_E_clISt17integral_constantIbLb1EES15_IbLb0EEEEDaS11_S12_EUlS11_E_NS1_11comp_targetILNS1_3genE10ELNS1_11target_archE1200ELNS1_3gpuE4ELNS1_3repE0EEENS1_30default_config_static_selectorELNS0_4arch9wavefront6targetE1EEEvT1_
    .private_segment_fixed_size: 0
    .sgpr_count:     6
    .sgpr_spill_count: 0
    .symbol:         _ZN7rocprim17ROCPRIM_400000_NS6detail17trampoline_kernelINS0_14default_configENS1_25partition_config_selectorILNS1_17partition_subalgoE0ExNS0_10empty_typeEbEEZZNS1_14partition_implILS5_0ELb0ES3_jN6thrust23THRUST_200600_302600_NS6detail15normal_iteratorINSA_10device_ptrIxEEEEPS6_SG_NS0_5tupleIJSF_SF_EEENSH_IJSG_SG_EEES6_PlJ7is_evenIxEEEE10hipError_tPvRmT3_T4_T5_T6_T7_T9_mT8_P12ihipStream_tbDpT10_ENKUlT_T0_E_clISt17integral_constantIbLb1EES15_IbLb0EEEEDaS11_S12_EUlS11_E_NS1_11comp_targetILNS1_3genE10ELNS1_11target_archE1200ELNS1_3gpuE4ELNS1_3repE0EEENS1_30default_config_static_selectorELNS0_4arch9wavefront6targetE1EEEvT1_.kd
    .uniform_work_group_size: 1
    .uses_dynamic_stack: false
    .vgpr_count:     0
    .vgpr_spill_count: 0
    .wavefront_size: 64
  - .agpr_count:     0
    .args:
      - .offset:         0
        .size:           120
        .value_kind:     by_value
    .group_segment_fixed_size: 0
    .kernarg_segment_align: 8
    .kernarg_segment_size: 120
    .language:       OpenCL C
    .language_version:
      - 2
      - 0
    .max_flat_workgroup_size: 512
    .name:           _ZN7rocprim17ROCPRIM_400000_NS6detail17trampoline_kernelINS0_14default_configENS1_25partition_config_selectorILNS1_17partition_subalgoE0ExNS0_10empty_typeEbEEZZNS1_14partition_implILS5_0ELb0ES3_jN6thrust23THRUST_200600_302600_NS6detail15normal_iteratorINSA_10device_ptrIxEEEEPS6_SG_NS0_5tupleIJSF_SF_EEENSH_IJSG_SG_EEES6_PlJ7is_evenIxEEEE10hipError_tPvRmT3_T4_T5_T6_T7_T9_mT8_P12ihipStream_tbDpT10_ENKUlT_T0_E_clISt17integral_constantIbLb1EES15_IbLb0EEEEDaS11_S12_EUlS11_E_NS1_11comp_targetILNS1_3genE9ELNS1_11target_archE1100ELNS1_3gpuE3ELNS1_3repE0EEENS1_30default_config_static_selectorELNS0_4arch9wavefront6targetE1EEEvT1_
    .private_segment_fixed_size: 0
    .sgpr_count:     6
    .sgpr_spill_count: 0
    .symbol:         _ZN7rocprim17ROCPRIM_400000_NS6detail17trampoline_kernelINS0_14default_configENS1_25partition_config_selectorILNS1_17partition_subalgoE0ExNS0_10empty_typeEbEEZZNS1_14partition_implILS5_0ELb0ES3_jN6thrust23THRUST_200600_302600_NS6detail15normal_iteratorINSA_10device_ptrIxEEEEPS6_SG_NS0_5tupleIJSF_SF_EEENSH_IJSG_SG_EEES6_PlJ7is_evenIxEEEE10hipError_tPvRmT3_T4_T5_T6_T7_T9_mT8_P12ihipStream_tbDpT10_ENKUlT_T0_E_clISt17integral_constantIbLb1EES15_IbLb0EEEEDaS11_S12_EUlS11_E_NS1_11comp_targetILNS1_3genE9ELNS1_11target_archE1100ELNS1_3gpuE3ELNS1_3repE0EEENS1_30default_config_static_selectorELNS0_4arch9wavefront6targetE1EEEvT1_.kd
    .uniform_work_group_size: 1
    .uses_dynamic_stack: false
    .vgpr_count:     0
    .vgpr_spill_count: 0
    .wavefront_size: 64
  - .agpr_count:     0
    .args:
      - .offset:         0
        .size:           120
        .value_kind:     by_value
    .group_segment_fixed_size: 0
    .kernarg_segment_align: 8
    .kernarg_segment_size: 120
    .language:       OpenCL C
    .language_version:
      - 2
      - 0
    .max_flat_workgroup_size: 512
    .name:           _ZN7rocprim17ROCPRIM_400000_NS6detail17trampoline_kernelINS0_14default_configENS1_25partition_config_selectorILNS1_17partition_subalgoE0ExNS0_10empty_typeEbEEZZNS1_14partition_implILS5_0ELb0ES3_jN6thrust23THRUST_200600_302600_NS6detail15normal_iteratorINSA_10device_ptrIxEEEEPS6_SG_NS0_5tupleIJSF_SF_EEENSH_IJSG_SG_EEES6_PlJ7is_evenIxEEEE10hipError_tPvRmT3_T4_T5_T6_T7_T9_mT8_P12ihipStream_tbDpT10_ENKUlT_T0_E_clISt17integral_constantIbLb1EES15_IbLb0EEEEDaS11_S12_EUlS11_E_NS1_11comp_targetILNS1_3genE8ELNS1_11target_archE1030ELNS1_3gpuE2ELNS1_3repE0EEENS1_30default_config_static_selectorELNS0_4arch9wavefront6targetE1EEEvT1_
    .private_segment_fixed_size: 0
    .sgpr_count:     6
    .sgpr_spill_count: 0
    .symbol:         _ZN7rocprim17ROCPRIM_400000_NS6detail17trampoline_kernelINS0_14default_configENS1_25partition_config_selectorILNS1_17partition_subalgoE0ExNS0_10empty_typeEbEEZZNS1_14partition_implILS5_0ELb0ES3_jN6thrust23THRUST_200600_302600_NS6detail15normal_iteratorINSA_10device_ptrIxEEEEPS6_SG_NS0_5tupleIJSF_SF_EEENSH_IJSG_SG_EEES6_PlJ7is_evenIxEEEE10hipError_tPvRmT3_T4_T5_T6_T7_T9_mT8_P12ihipStream_tbDpT10_ENKUlT_T0_E_clISt17integral_constantIbLb1EES15_IbLb0EEEEDaS11_S12_EUlS11_E_NS1_11comp_targetILNS1_3genE8ELNS1_11target_archE1030ELNS1_3gpuE2ELNS1_3repE0EEENS1_30default_config_static_selectorELNS0_4arch9wavefront6targetE1EEEvT1_.kd
    .uniform_work_group_size: 1
    .uses_dynamic_stack: false
    .vgpr_count:     0
    .vgpr_spill_count: 0
    .wavefront_size: 64
  - .agpr_count:     0
    .args:
      - .offset:         0
        .size:           136
        .value_kind:     by_value
    .group_segment_fixed_size: 0
    .kernarg_segment_align: 8
    .kernarg_segment_size: 136
    .language:       OpenCL C
    .language_version:
      - 2
      - 0
    .max_flat_workgroup_size: 128
    .name:           _ZN7rocprim17ROCPRIM_400000_NS6detail17trampoline_kernelINS0_14default_configENS1_25partition_config_selectorILNS1_17partition_subalgoE0ExNS0_10empty_typeEbEEZZNS1_14partition_implILS5_0ELb0ES3_jN6thrust23THRUST_200600_302600_NS6detail15normal_iteratorINSA_10device_ptrIxEEEEPS6_SG_NS0_5tupleIJSF_SF_EEENSH_IJSG_SG_EEES6_PlJ7is_evenIxEEEE10hipError_tPvRmT3_T4_T5_T6_T7_T9_mT8_P12ihipStream_tbDpT10_ENKUlT_T0_E_clISt17integral_constantIbLb0EES15_IbLb1EEEEDaS11_S12_EUlS11_E_NS1_11comp_targetILNS1_3genE0ELNS1_11target_archE4294967295ELNS1_3gpuE0ELNS1_3repE0EEENS1_30default_config_static_selectorELNS0_4arch9wavefront6targetE1EEEvT1_
    .private_segment_fixed_size: 0
    .sgpr_count:     6
    .sgpr_spill_count: 0
    .symbol:         _ZN7rocprim17ROCPRIM_400000_NS6detail17trampoline_kernelINS0_14default_configENS1_25partition_config_selectorILNS1_17partition_subalgoE0ExNS0_10empty_typeEbEEZZNS1_14partition_implILS5_0ELb0ES3_jN6thrust23THRUST_200600_302600_NS6detail15normal_iteratorINSA_10device_ptrIxEEEEPS6_SG_NS0_5tupleIJSF_SF_EEENSH_IJSG_SG_EEES6_PlJ7is_evenIxEEEE10hipError_tPvRmT3_T4_T5_T6_T7_T9_mT8_P12ihipStream_tbDpT10_ENKUlT_T0_E_clISt17integral_constantIbLb0EES15_IbLb1EEEEDaS11_S12_EUlS11_E_NS1_11comp_targetILNS1_3genE0ELNS1_11target_archE4294967295ELNS1_3gpuE0ELNS1_3repE0EEENS1_30default_config_static_selectorELNS0_4arch9wavefront6targetE1EEEvT1_.kd
    .uniform_work_group_size: 1
    .uses_dynamic_stack: false
    .vgpr_count:     0
    .vgpr_spill_count: 0
    .wavefront_size: 64
  - .agpr_count:     0
    .args:
      - .offset:         0
        .size:           136
        .value_kind:     by_value
    .group_segment_fixed_size: 28680
    .kernarg_segment_align: 8
    .kernarg_segment_size: 136
    .language:       OpenCL C
    .language_version:
      - 2
      - 0
    .max_flat_workgroup_size: 512
    .name:           _ZN7rocprim17ROCPRIM_400000_NS6detail17trampoline_kernelINS0_14default_configENS1_25partition_config_selectorILNS1_17partition_subalgoE0ExNS0_10empty_typeEbEEZZNS1_14partition_implILS5_0ELb0ES3_jN6thrust23THRUST_200600_302600_NS6detail15normal_iteratorINSA_10device_ptrIxEEEEPS6_SG_NS0_5tupleIJSF_SF_EEENSH_IJSG_SG_EEES6_PlJ7is_evenIxEEEE10hipError_tPvRmT3_T4_T5_T6_T7_T9_mT8_P12ihipStream_tbDpT10_ENKUlT_T0_E_clISt17integral_constantIbLb0EES15_IbLb1EEEEDaS11_S12_EUlS11_E_NS1_11comp_targetILNS1_3genE5ELNS1_11target_archE942ELNS1_3gpuE9ELNS1_3repE0EEENS1_30default_config_static_selectorELNS0_4arch9wavefront6targetE1EEEvT1_
    .private_segment_fixed_size: 0
    .sgpr_count:     50
    .sgpr_spill_count: 0
    .symbol:         _ZN7rocprim17ROCPRIM_400000_NS6detail17trampoline_kernelINS0_14default_configENS1_25partition_config_selectorILNS1_17partition_subalgoE0ExNS0_10empty_typeEbEEZZNS1_14partition_implILS5_0ELb0ES3_jN6thrust23THRUST_200600_302600_NS6detail15normal_iteratorINSA_10device_ptrIxEEEEPS6_SG_NS0_5tupleIJSF_SF_EEENSH_IJSG_SG_EEES6_PlJ7is_evenIxEEEE10hipError_tPvRmT3_T4_T5_T6_T7_T9_mT8_P12ihipStream_tbDpT10_ENKUlT_T0_E_clISt17integral_constantIbLb0EES15_IbLb1EEEEDaS11_S12_EUlS11_E_NS1_11comp_targetILNS1_3genE5ELNS1_11target_archE942ELNS1_3gpuE9ELNS1_3repE0EEENS1_30default_config_static_selectorELNS0_4arch9wavefront6targetE1EEEvT1_.kd
    .uniform_work_group_size: 1
    .uses_dynamic_stack: false
    .vgpr_count:     61
    .vgpr_spill_count: 0
    .wavefront_size: 64
  - .agpr_count:     0
    .args:
      - .offset:         0
        .size:           136
        .value_kind:     by_value
    .group_segment_fixed_size: 0
    .kernarg_segment_align: 8
    .kernarg_segment_size: 136
    .language:       OpenCL C
    .language_version:
      - 2
      - 0
    .max_flat_workgroup_size: 192
    .name:           _ZN7rocprim17ROCPRIM_400000_NS6detail17trampoline_kernelINS0_14default_configENS1_25partition_config_selectorILNS1_17partition_subalgoE0ExNS0_10empty_typeEbEEZZNS1_14partition_implILS5_0ELb0ES3_jN6thrust23THRUST_200600_302600_NS6detail15normal_iteratorINSA_10device_ptrIxEEEEPS6_SG_NS0_5tupleIJSF_SF_EEENSH_IJSG_SG_EEES6_PlJ7is_evenIxEEEE10hipError_tPvRmT3_T4_T5_T6_T7_T9_mT8_P12ihipStream_tbDpT10_ENKUlT_T0_E_clISt17integral_constantIbLb0EES15_IbLb1EEEEDaS11_S12_EUlS11_E_NS1_11comp_targetILNS1_3genE4ELNS1_11target_archE910ELNS1_3gpuE8ELNS1_3repE0EEENS1_30default_config_static_selectorELNS0_4arch9wavefront6targetE1EEEvT1_
    .private_segment_fixed_size: 0
    .sgpr_count:     6
    .sgpr_spill_count: 0
    .symbol:         _ZN7rocprim17ROCPRIM_400000_NS6detail17trampoline_kernelINS0_14default_configENS1_25partition_config_selectorILNS1_17partition_subalgoE0ExNS0_10empty_typeEbEEZZNS1_14partition_implILS5_0ELb0ES3_jN6thrust23THRUST_200600_302600_NS6detail15normal_iteratorINSA_10device_ptrIxEEEEPS6_SG_NS0_5tupleIJSF_SF_EEENSH_IJSG_SG_EEES6_PlJ7is_evenIxEEEE10hipError_tPvRmT3_T4_T5_T6_T7_T9_mT8_P12ihipStream_tbDpT10_ENKUlT_T0_E_clISt17integral_constantIbLb0EES15_IbLb1EEEEDaS11_S12_EUlS11_E_NS1_11comp_targetILNS1_3genE4ELNS1_11target_archE910ELNS1_3gpuE8ELNS1_3repE0EEENS1_30default_config_static_selectorELNS0_4arch9wavefront6targetE1EEEvT1_.kd
    .uniform_work_group_size: 1
    .uses_dynamic_stack: false
    .vgpr_count:     0
    .vgpr_spill_count: 0
    .wavefront_size: 64
  - .agpr_count:     0
    .args:
      - .offset:         0
        .size:           136
        .value_kind:     by_value
    .group_segment_fixed_size: 0
    .kernarg_segment_align: 8
    .kernarg_segment_size: 136
    .language:       OpenCL C
    .language_version:
      - 2
      - 0
    .max_flat_workgroup_size: 128
    .name:           _ZN7rocprim17ROCPRIM_400000_NS6detail17trampoline_kernelINS0_14default_configENS1_25partition_config_selectorILNS1_17partition_subalgoE0ExNS0_10empty_typeEbEEZZNS1_14partition_implILS5_0ELb0ES3_jN6thrust23THRUST_200600_302600_NS6detail15normal_iteratorINSA_10device_ptrIxEEEEPS6_SG_NS0_5tupleIJSF_SF_EEENSH_IJSG_SG_EEES6_PlJ7is_evenIxEEEE10hipError_tPvRmT3_T4_T5_T6_T7_T9_mT8_P12ihipStream_tbDpT10_ENKUlT_T0_E_clISt17integral_constantIbLb0EES15_IbLb1EEEEDaS11_S12_EUlS11_E_NS1_11comp_targetILNS1_3genE3ELNS1_11target_archE908ELNS1_3gpuE7ELNS1_3repE0EEENS1_30default_config_static_selectorELNS0_4arch9wavefront6targetE1EEEvT1_
    .private_segment_fixed_size: 0
    .sgpr_count:     6
    .sgpr_spill_count: 0
    .symbol:         _ZN7rocprim17ROCPRIM_400000_NS6detail17trampoline_kernelINS0_14default_configENS1_25partition_config_selectorILNS1_17partition_subalgoE0ExNS0_10empty_typeEbEEZZNS1_14partition_implILS5_0ELb0ES3_jN6thrust23THRUST_200600_302600_NS6detail15normal_iteratorINSA_10device_ptrIxEEEEPS6_SG_NS0_5tupleIJSF_SF_EEENSH_IJSG_SG_EEES6_PlJ7is_evenIxEEEE10hipError_tPvRmT3_T4_T5_T6_T7_T9_mT8_P12ihipStream_tbDpT10_ENKUlT_T0_E_clISt17integral_constantIbLb0EES15_IbLb1EEEEDaS11_S12_EUlS11_E_NS1_11comp_targetILNS1_3genE3ELNS1_11target_archE908ELNS1_3gpuE7ELNS1_3repE0EEENS1_30default_config_static_selectorELNS0_4arch9wavefront6targetE1EEEvT1_.kd
    .uniform_work_group_size: 1
    .uses_dynamic_stack: false
    .vgpr_count:     0
    .vgpr_spill_count: 0
    .wavefront_size: 64
  - .agpr_count:     0
    .args:
      - .offset:         0
        .size:           136
        .value_kind:     by_value
    .group_segment_fixed_size: 0
    .kernarg_segment_align: 8
    .kernarg_segment_size: 136
    .language:       OpenCL C
    .language_version:
      - 2
      - 0
    .max_flat_workgroup_size: 256
    .name:           _ZN7rocprim17ROCPRIM_400000_NS6detail17trampoline_kernelINS0_14default_configENS1_25partition_config_selectorILNS1_17partition_subalgoE0ExNS0_10empty_typeEbEEZZNS1_14partition_implILS5_0ELb0ES3_jN6thrust23THRUST_200600_302600_NS6detail15normal_iteratorINSA_10device_ptrIxEEEEPS6_SG_NS0_5tupleIJSF_SF_EEENSH_IJSG_SG_EEES6_PlJ7is_evenIxEEEE10hipError_tPvRmT3_T4_T5_T6_T7_T9_mT8_P12ihipStream_tbDpT10_ENKUlT_T0_E_clISt17integral_constantIbLb0EES15_IbLb1EEEEDaS11_S12_EUlS11_E_NS1_11comp_targetILNS1_3genE2ELNS1_11target_archE906ELNS1_3gpuE6ELNS1_3repE0EEENS1_30default_config_static_selectorELNS0_4arch9wavefront6targetE1EEEvT1_
    .private_segment_fixed_size: 0
    .sgpr_count:     6
    .sgpr_spill_count: 0
    .symbol:         _ZN7rocprim17ROCPRIM_400000_NS6detail17trampoline_kernelINS0_14default_configENS1_25partition_config_selectorILNS1_17partition_subalgoE0ExNS0_10empty_typeEbEEZZNS1_14partition_implILS5_0ELb0ES3_jN6thrust23THRUST_200600_302600_NS6detail15normal_iteratorINSA_10device_ptrIxEEEEPS6_SG_NS0_5tupleIJSF_SF_EEENSH_IJSG_SG_EEES6_PlJ7is_evenIxEEEE10hipError_tPvRmT3_T4_T5_T6_T7_T9_mT8_P12ihipStream_tbDpT10_ENKUlT_T0_E_clISt17integral_constantIbLb0EES15_IbLb1EEEEDaS11_S12_EUlS11_E_NS1_11comp_targetILNS1_3genE2ELNS1_11target_archE906ELNS1_3gpuE6ELNS1_3repE0EEENS1_30default_config_static_selectorELNS0_4arch9wavefront6targetE1EEEvT1_.kd
    .uniform_work_group_size: 1
    .uses_dynamic_stack: false
    .vgpr_count:     0
    .vgpr_spill_count: 0
    .wavefront_size: 64
  - .agpr_count:     0
    .args:
      - .offset:         0
        .size:           136
        .value_kind:     by_value
    .group_segment_fixed_size: 0
    .kernarg_segment_align: 8
    .kernarg_segment_size: 136
    .language:       OpenCL C
    .language_version:
      - 2
      - 0
    .max_flat_workgroup_size: 512
    .name:           _ZN7rocprim17ROCPRIM_400000_NS6detail17trampoline_kernelINS0_14default_configENS1_25partition_config_selectorILNS1_17partition_subalgoE0ExNS0_10empty_typeEbEEZZNS1_14partition_implILS5_0ELb0ES3_jN6thrust23THRUST_200600_302600_NS6detail15normal_iteratorINSA_10device_ptrIxEEEEPS6_SG_NS0_5tupleIJSF_SF_EEENSH_IJSG_SG_EEES6_PlJ7is_evenIxEEEE10hipError_tPvRmT3_T4_T5_T6_T7_T9_mT8_P12ihipStream_tbDpT10_ENKUlT_T0_E_clISt17integral_constantIbLb0EES15_IbLb1EEEEDaS11_S12_EUlS11_E_NS1_11comp_targetILNS1_3genE10ELNS1_11target_archE1200ELNS1_3gpuE4ELNS1_3repE0EEENS1_30default_config_static_selectorELNS0_4arch9wavefront6targetE1EEEvT1_
    .private_segment_fixed_size: 0
    .sgpr_count:     6
    .sgpr_spill_count: 0
    .symbol:         _ZN7rocprim17ROCPRIM_400000_NS6detail17trampoline_kernelINS0_14default_configENS1_25partition_config_selectorILNS1_17partition_subalgoE0ExNS0_10empty_typeEbEEZZNS1_14partition_implILS5_0ELb0ES3_jN6thrust23THRUST_200600_302600_NS6detail15normal_iteratorINSA_10device_ptrIxEEEEPS6_SG_NS0_5tupleIJSF_SF_EEENSH_IJSG_SG_EEES6_PlJ7is_evenIxEEEE10hipError_tPvRmT3_T4_T5_T6_T7_T9_mT8_P12ihipStream_tbDpT10_ENKUlT_T0_E_clISt17integral_constantIbLb0EES15_IbLb1EEEEDaS11_S12_EUlS11_E_NS1_11comp_targetILNS1_3genE10ELNS1_11target_archE1200ELNS1_3gpuE4ELNS1_3repE0EEENS1_30default_config_static_selectorELNS0_4arch9wavefront6targetE1EEEvT1_.kd
    .uniform_work_group_size: 1
    .uses_dynamic_stack: false
    .vgpr_count:     0
    .vgpr_spill_count: 0
    .wavefront_size: 64
  - .agpr_count:     0
    .args:
      - .offset:         0
        .size:           136
        .value_kind:     by_value
    .group_segment_fixed_size: 0
    .kernarg_segment_align: 8
    .kernarg_segment_size: 136
    .language:       OpenCL C
    .language_version:
      - 2
      - 0
    .max_flat_workgroup_size: 512
    .name:           _ZN7rocprim17ROCPRIM_400000_NS6detail17trampoline_kernelINS0_14default_configENS1_25partition_config_selectorILNS1_17partition_subalgoE0ExNS0_10empty_typeEbEEZZNS1_14partition_implILS5_0ELb0ES3_jN6thrust23THRUST_200600_302600_NS6detail15normal_iteratorINSA_10device_ptrIxEEEEPS6_SG_NS0_5tupleIJSF_SF_EEENSH_IJSG_SG_EEES6_PlJ7is_evenIxEEEE10hipError_tPvRmT3_T4_T5_T6_T7_T9_mT8_P12ihipStream_tbDpT10_ENKUlT_T0_E_clISt17integral_constantIbLb0EES15_IbLb1EEEEDaS11_S12_EUlS11_E_NS1_11comp_targetILNS1_3genE9ELNS1_11target_archE1100ELNS1_3gpuE3ELNS1_3repE0EEENS1_30default_config_static_selectorELNS0_4arch9wavefront6targetE1EEEvT1_
    .private_segment_fixed_size: 0
    .sgpr_count:     6
    .sgpr_spill_count: 0
    .symbol:         _ZN7rocprim17ROCPRIM_400000_NS6detail17trampoline_kernelINS0_14default_configENS1_25partition_config_selectorILNS1_17partition_subalgoE0ExNS0_10empty_typeEbEEZZNS1_14partition_implILS5_0ELb0ES3_jN6thrust23THRUST_200600_302600_NS6detail15normal_iteratorINSA_10device_ptrIxEEEEPS6_SG_NS0_5tupleIJSF_SF_EEENSH_IJSG_SG_EEES6_PlJ7is_evenIxEEEE10hipError_tPvRmT3_T4_T5_T6_T7_T9_mT8_P12ihipStream_tbDpT10_ENKUlT_T0_E_clISt17integral_constantIbLb0EES15_IbLb1EEEEDaS11_S12_EUlS11_E_NS1_11comp_targetILNS1_3genE9ELNS1_11target_archE1100ELNS1_3gpuE3ELNS1_3repE0EEENS1_30default_config_static_selectorELNS0_4arch9wavefront6targetE1EEEvT1_.kd
    .uniform_work_group_size: 1
    .uses_dynamic_stack: false
    .vgpr_count:     0
    .vgpr_spill_count: 0
    .wavefront_size: 64
  - .agpr_count:     0
    .args:
      - .offset:         0
        .size:           136
        .value_kind:     by_value
    .group_segment_fixed_size: 0
    .kernarg_segment_align: 8
    .kernarg_segment_size: 136
    .language:       OpenCL C
    .language_version:
      - 2
      - 0
    .max_flat_workgroup_size: 512
    .name:           _ZN7rocprim17ROCPRIM_400000_NS6detail17trampoline_kernelINS0_14default_configENS1_25partition_config_selectorILNS1_17partition_subalgoE0ExNS0_10empty_typeEbEEZZNS1_14partition_implILS5_0ELb0ES3_jN6thrust23THRUST_200600_302600_NS6detail15normal_iteratorINSA_10device_ptrIxEEEEPS6_SG_NS0_5tupleIJSF_SF_EEENSH_IJSG_SG_EEES6_PlJ7is_evenIxEEEE10hipError_tPvRmT3_T4_T5_T6_T7_T9_mT8_P12ihipStream_tbDpT10_ENKUlT_T0_E_clISt17integral_constantIbLb0EES15_IbLb1EEEEDaS11_S12_EUlS11_E_NS1_11comp_targetILNS1_3genE8ELNS1_11target_archE1030ELNS1_3gpuE2ELNS1_3repE0EEENS1_30default_config_static_selectorELNS0_4arch9wavefront6targetE1EEEvT1_
    .private_segment_fixed_size: 0
    .sgpr_count:     6
    .sgpr_spill_count: 0
    .symbol:         _ZN7rocprim17ROCPRIM_400000_NS6detail17trampoline_kernelINS0_14default_configENS1_25partition_config_selectorILNS1_17partition_subalgoE0ExNS0_10empty_typeEbEEZZNS1_14partition_implILS5_0ELb0ES3_jN6thrust23THRUST_200600_302600_NS6detail15normal_iteratorINSA_10device_ptrIxEEEEPS6_SG_NS0_5tupleIJSF_SF_EEENSH_IJSG_SG_EEES6_PlJ7is_evenIxEEEE10hipError_tPvRmT3_T4_T5_T6_T7_T9_mT8_P12ihipStream_tbDpT10_ENKUlT_T0_E_clISt17integral_constantIbLb0EES15_IbLb1EEEEDaS11_S12_EUlS11_E_NS1_11comp_targetILNS1_3genE8ELNS1_11target_archE1030ELNS1_3gpuE2ELNS1_3repE0EEENS1_30default_config_static_selectorELNS0_4arch9wavefront6targetE1EEEvT1_.kd
    .uniform_work_group_size: 1
    .uses_dynamic_stack: false
    .vgpr_count:     0
    .vgpr_spill_count: 0
    .wavefront_size: 64
  - .agpr_count:     0
    .args:
      - .offset:         0
        .size:           120
        .value_kind:     by_value
    .group_segment_fixed_size: 0
    .kernarg_segment_align: 8
    .kernarg_segment_size: 120
    .language:       OpenCL C
    .language_version:
      - 2
      - 0
    .max_flat_workgroup_size: 256
    .name:           _ZN7rocprim17ROCPRIM_400000_NS6detail17trampoline_kernelINS0_14default_configENS1_25partition_config_selectorILNS1_17partition_subalgoE0EiNS0_10empty_typeEbEEZZNS1_14partition_implILS5_0ELb0ES3_jN6thrust23THRUST_200600_302600_NS6detail15normal_iteratorINSA_10device_ptrIiEEEEPS6_SG_NS0_5tupleIJSF_SF_EEENSH_IJSG_SG_EEES6_PlJ7is_evenIiEEEE10hipError_tPvRmT3_T4_T5_T6_T7_T9_mT8_P12ihipStream_tbDpT10_ENKUlT_T0_E_clISt17integral_constantIbLb0EES16_EEDaS11_S12_EUlS11_E_NS1_11comp_targetILNS1_3genE0ELNS1_11target_archE4294967295ELNS1_3gpuE0ELNS1_3repE0EEENS1_30default_config_static_selectorELNS0_4arch9wavefront6targetE1EEEvT1_
    .private_segment_fixed_size: 0
    .sgpr_count:     6
    .sgpr_spill_count: 0
    .symbol:         _ZN7rocprim17ROCPRIM_400000_NS6detail17trampoline_kernelINS0_14default_configENS1_25partition_config_selectorILNS1_17partition_subalgoE0EiNS0_10empty_typeEbEEZZNS1_14partition_implILS5_0ELb0ES3_jN6thrust23THRUST_200600_302600_NS6detail15normal_iteratorINSA_10device_ptrIiEEEEPS6_SG_NS0_5tupleIJSF_SF_EEENSH_IJSG_SG_EEES6_PlJ7is_evenIiEEEE10hipError_tPvRmT3_T4_T5_T6_T7_T9_mT8_P12ihipStream_tbDpT10_ENKUlT_T0_E_clISt17integral_constantIbLb0EES16_EEDaS11_S12_EUlS11_E_NS1_11comp_targetILNS1_3genE0ELNS1_11target_archE4294967295ELNS1_3gpuE0ELNS1_3repE0EEENS1_30default_config_static_selectorELNS0_4arch9wavefront6targetE1EEEvT1_.kd
    .uniform_work_group_size: 1
    .uses_dynamic_stack: false
    .vgpr_count:     0
    .vgpr_spill_count: 0
    .wavefront_size: 64
  - .agpr_count:     0
    .args:
      - .offset:         0
        .size:           120
        .value_kind:     by_value
    .group_segment_fixed_size: 30728
    .kernarg_segment_align: 8
    .kernarg_segment_size: 120
    .language:       OpenCL C
    .language_version:
      - 2
      - 0
    .max_flat_workgroup_size: 512
    .name:           _ZN7rocprim17ROCPRIM_400000_NS6detail17trampoline_kernelINS0_14default_configENS1_25partition_config_selectorILNS1_17partition_subalgoE0EiNS0_10empty_typeEbEEZZNS1_14partition_implILS5_0ELb0ES3_jN6thrust23THRUST_200600_302600_NS6detail15normal_iteratorINSA_10device_ptrIiEEEEPS6_SG_NS0_5tupleIJSF_SF_EEENSH_IJSG_SG_EEES6_PlJ7is_evenIiEEEE10hipError_tPvRmT3_T4_T5_T6_T7_T9_mT8_P12ihipStream_tbDpT10_ENKUlT_T0_E_clISt17integral_constantIbLb0EES16_EEDaS11_S12_EUlS11_E_NS1_11comp_targetILNS1_3genE5ELNS1_11target_archE942ELNS1_3gpuE9ELNS1_3repE0EEENS1_30default_config_static_selectorELNS0_4arch9wavefront6targetE1EEEvT1_
    .private_segment_fixed_size: 0
    .sgpr_count:     50
    .sgpr_spill_count: 0
    .symbol:         _ZN7rocprim17ROCPRIM_400000_NS6detail17trampoline_kernelINS0_14default_configENS1_25partition_config_selectorILNS1_17partition_subalgoE0EiNS0_10empty_typeEbEEZZNS1_14partition_implILS5_0ELb0ES3_jN6thrust23THRUST_200600_302600_NS6detail15normal_iteratorINSA_10device_ptrIiEEEEPS6_SG_NS0_5tupleIJSF_SF_EEENSH_IJSG_SG_EEES6_PlJ7is_evenIiEEEE10hipError_tPvRmT3_T4_T5_T6_T7_T9_mT8_P12ihipStream_tbDpT10_ENKUlT_T0_E_clISt17integral_constantIbLb0EES16_EEDaS11_S12_EUlS11_E_NS1_11comp_targetILNS1_3genE5ELNS1_11target_archE942ELNS1_3gpuE9ELNS1_3repE0EEENS1_30default_config_static_selectorELNS0_4arch9wavefront6targetE1EEEvT1_.kd
    .uniform_work_group_size: 1
    .uses_dynamic_stack: false
    .vgpr_count:     76
    .vgpr_spill_count: 0
    .wavefront_size: 64
  - .agpr_count:     0
    .args:
      - .offset:         0
        .size:           120
        .value_kind:     by_value
    .group_segment_fixed_size: 0
    .kernarg_segment_align: 8
    .kernarg_segment_size: 120
    .language:       OpenCL C
    .language_version:
      - 2
      - 0
    .max_flat_workgroup_size: 256
    .name:           _ZN7rocprim17ROCPRIM_400000_NS6detail17trampoline_kernelINS0_14default_configENS1_25partition_config_selectorILNS1_17partition_subalgoE0EiNS0_10empty_typeEbEEZZNS1_14partition_implILS5_0ELb0ES3_jN6thrust23THRUST_200600_302600_NS6detail15normal_iteratorINSA_10device_ptrIiEEEEPS6_SG_NS0_5tupleIJSF_SF_EEENSH_IJSG_SG_EEES6_PlJ7is_evenIiEEEE10hipError_tPvRmT3_T4_T5_T6_T7_T9_mT8_P12ihipStream_tbDpT10_ENKUlT_T0_E_clISt17integral_constantIbLb0EES16_EEDaS11_S12_EUlS11_E_NS1_11comp_targetILNS1_3genE4ELNS1_11target_archE910ELNS1_3gpuE8ELNS1_3repE0EEENS1_30default_config_static_selectorELNS0_4arch9wavefront6targetE1EEEvT1_
    .private_segment_fixed_size: 0
    .sgpr_count:     6
    .sgpr_spill_count: 0
    .symbol:         _ZN7rocprim17ROCPRIM_400000_NS6detail17trampoline_kernelINS0_14default_configENS1_25partition_config_selectorILNS1_17partition_subalgoE0EiNS0_10empty_typeEbEEZZNS1_14partition_implILS5_0ELb0ES3_jN6thrust23THRUST_200600_302600_NS6detail15normal_iteratorINSA_10device_ptrIiEEEEPS6_SG_NS0_5tupleIJSF_SF_EEENSH_IJSG_SG_EEES6_PlJ7is_evenIiEEEE10hipError_tPvRmT3_T4_T5_T6_T7_T9_mT8_P12ihipStream_tbDpT10_ENKUlT_T0_E_clISt17integral_constantIbLb0EES16_EEDaS11_S12_EUlS11_E_NS1_11comp_targetILNS1_3genE4ELNS1_11target_archE910ELNS1_3gpuE8ELNS1_3repE0EEENS1_30default_config_static_selectorELNS0_4arch9wavefront6targetE1EEEvT1_.kd
    .uniform_work_group_size: 1
    .uses_dynamic_stack: false
    .vgpr_count:     0
    .vgpr_spill_count: 0
    .wavefront_size: 64
  - .agpr_count:     0
    .args:
      - .offset:         0
        .size:           120
        .value_kind:     by_value
    .group_segment_fixed_size: 0
    .kernarg_segment_align: 8
    .kernarg_segment_size: 120
    .language:       OpenCL C
    .language_version:
      - 2
      - 0
    .max_flat_workgroup_size: 256
    .name:           _ZN7rocprim17ROCPRIM_400000_NS6detail17trampoline_kernelINS0_14default_configENS1_25partition_config_selectorILNS1_17partition_subalgoE0EiNS0_10empty_typeEbEEZZNS1_14partition_implILS5_0ELb0ES3_jN6thrust23THRUST_200600_302600_NS6detail15normal_iteratorINSA_10device_ptrIiEEEEPS6_SG_NS0_5tupleIJSF_SF_EEENSH_IJSG_SG_EEES6_PlJ7is_evenIiEEEE10hipError_tPvRmT3_T4_T5_T6_T7_T9_mT8_P12ihipStream_tbDpT10_ENKUlT_T0_E_clISt17integral_constantIbLb0EES16_EEDaS11_S12_EUlS11_E_NS1_11comp_targetILNS1_3genE3ELNS1_11target_archE908ELNS1_3gpuE7ELNS1_3repE0EEENS1_30default_config_static_selectorELNS0_4arch9wavefront6targetE1EEEvT1_
    .private_segment_fixed_size: 0
    .sgpr_count:     6
    .sgpr_spill_count: 0
    .symbol:         _ZN7rocprim17ROCPRIM_400000_NS6detail17trampoline_kernelINS0_14default_configENS1_25partition_config_selectorILNS1_17partition_subalgoE0EiNS0_10empty_typeEbEEZZNS1_14partition_implILS5_0ELb0ES3_jN6thrust23THRUST_200600_302600_NS6detail15normal_iteratorINSA_10device_ptrIiEEEEPS6_SG_NS0_5tupleIJSF_SF_EEENSH_IJSG_SG_EEES6_PlJ7is_evenIiEEEE10hipError_tPvRmT3_T4_T5_T6_T7_T9_mT8_P12ihipStream_tbDpT10_ENKUlT_T0_E_clISt17integral_constantIbLb0EES16_EEDaS11_S12_EUlS11_E_NS1_11comp_targetILNS1_3genE3ELNS1_11target_archE908ELNS1_3gpuE7ELNS1_3repE0EEENS1_30default_config_static_selectorELNS0_4arch9wavefront6targetE1EEEvT1_.kd
    .uniform_work_group_size: 1
    .uses_dynamic_stack: false
    .vgpr_count:     0
    .vgpr_spill_count: 0
    .wavefront_size: 64
  - .agpr_count:     0
    .args:
      - .offset:         0
        .size:           120
        .value_kind:     by_value
    .group_segment_fixed_size: 0
    .kernarg_segment_align: 8
    .kernarg_segment_size: 120
    .language:       OpenCL C
    .language_version:
      - 2
      - 0
    .max_flat_workgroup_size: 192
    .name:           _ZN7rocprim17ROCPRIM_400000_NS6detail17trampoline_kernelINS0_14default_configENS1_25partition_config_selectorILNS1_17partition_subalgoE0EiNS0_10empty_typeEbEEZZNS1_14partition_implILS5_0ELb0ES3_jN6thrust23THRUST_200600_302600_NS6detail15normal_iteratorINSA_10device_ptrIiEEEEPS6_SG_NS0_5tupleIJSF_SF_EEENSH_IJSG_SG_EEES6_PlJ7is_evenIiEEEE10hipError_tPvRmT3_T4_T5_T6_T7_T9_mT8_P12ihipStream_tbDpT10_ENKUlT_T0_E_clISt17integral_constantIbLb0EES16_EEDaS11_S12_EUlS11_E_NS1_11comp_targetILNS1_3genE2ELNS1_11target_archE906ELNS1_3gpuE6ELNS1_3repE0EEENS1_30default_config_static_selectorELNS0_4arch9wavefront6targetE1EEEvT1_
    .private_segment_fixed_size: 0
    .sgpr_count:     6
    .sgpr_spill_count: 0
    .symbol:         _ZN7rocprim17ROCPRIM_400000_NS6detail17trampoline_kernelINS0_14default_configENS1_25partition_config_selectorILNS1_17partition_subalgoE0EiNS0_10empty_typeEbEEZZNS1_14partition_implILS5_0ELb0ES3_jN6thrust23THRUST_200600_302600_NS6detail15normal_iteratorINSA_10device_ptrIiEEEEPS6_SG_NS0_5tupleIJSF_SF_EEENSH_IJSG_SG_EEES6_PlJ7is_evenIiEEEE10hipError_tPvRmT3_T4_T5_T6_T7_T9_mT8_P12ihipStream_tbDpT10_ENKUlT_T0_E_clISt17integral_constantIbLb0EES16_EEDaS11_S12_EUlS11_E_NS1_11comp_targetILNS1_3genE2ELNS1_11target_archE906ELNS1_3gpuE6ELNS1_3repE0EEENS1_30default_config_static_selectorELNS0_4arch9wavefront6targetE1EEEvT1_.kd
    .uniform_work_group_size: 1
    .uses_dynamic_stack: false
    .vgpr_count:     0
    .vgpr_spill_count: 0
    .wavefront_size: 64
  - .agpr_count:     0
    .args:
      - .offset:         0
        .size:           120
        .value_kind:     by_value
    .group_segment_fixed_size: 0
    .kernarg_segment_align: 8
    .kernarg_segment_size: 120
    .language:       OpenCL C
    .language_version:
      - 2
      - 0
    .max_flat_workgroup_size: 512
    .name:           _ZN7rocprim17ROCPRIM_400000_NS6detail17trampoline_kernelINS0_14default_configENS1_25partition_config_selectorILNS1_17partition_subalgoE0EiNS0_10empty_typeEbEEZZNS1_14partition_implILS5_0ELb0ES3_jN6thrust23THRUST_200600_302600_NS6detail15normal_iteratorINSA_10device_ptrIiEEEEPS6_SG_NS0_5tupleIJSF_SF_EEENSH_IJSG_SG_EEES6_PlJ7is_evenIiEEEE10hipError_tPvRmT3_T4_T5_T6_T7_T9_mT8_P12ihipStream_tbDpT10_ENKUlT_T0_E_clISt17integral_constantIbLb0EES16_EEDaS11_S12_EUlS11_E_NS1_11comp_targetILNS1_3genE10ELNS1_11target_archE1200ELNS1_3gpuE4ELNS1_3repE0EEENS1_30default_config_static_selectorELNS0_4arch9wavefront6targetE1EEEvT1_
    .private_segment_fixed_size: 0
    .sgpr_count:     6
    .sgpr_spill_count: 0
    .symbol:         _ZN7rocprim17ROCPRIM_400000_NS6detail17trampoline_kernelINS0_14default_configENS1_25partition_config_selectorILNS1_17partition_subalgoE0EiNS0_10empty_typeEbEEZZNS1_14partition_implILS5_0ELb0ES3_jN6thrust23THRUST_200600_302600_NS6detail15normal_iteratorINSA_10device_ptrIiEEEEPS6_SG_NS0_5tupleIJSF_SF_EEENSH_IJSG_SG_EEES6_PlJ7is_evenIiEEEE10hipError_tPvRmT3_T4_T5_T6_T7_T9_mT8_P12ihipStream_tbDpT10_ENKUlT_T0_E_clISt17integral_constantIbLb0EES16_EEDaS11_S12_EUlS11_E_NS1_11comp_targetILNS1_3genE10ELNS1_11target_archE1200ELNS1_3gpuE4ELNS1_3repE0EEENS1_30default_config_static_selectorELNS0_4arch9wavefront6targetE1EEEvT1_.kd
    .uniform_work_group_size: 1
    .uses_dynamic_stack: false
    .vgpr_count:     0
    .vgpr_spill_count: 0
    .wavefront_size: 64
  - .agpr_count:     0
    .args:
      - .offset:         0
        .size:           120
        .value_kind:     by_value
    .group_segment_fixed_size: 0
    .kernarg_segment_align: 8
    .kernarg_segment_size: 120
    .language:       OpenCL C
    .language_version:
      - 2
      - 0
    .max_flat_workgroup_size: 128
    .name:           _ZN7rocprim17ROCPRIM_400000_NS6detail17trampoline_kernelINS0_14default_configENS1_25partition_config_selectorILNS1_17partition_subalgoE0EiNS0_10empty_typeEbEEZZNS1_14partition_implILS5_0ELb0ES3_jN6thrust23THRUST_200600_302600_NS6detail15normal_iteratorINSA_10device_ptrIiEEEEPS6_SG_NS0_5tupleIJSF_SF_EEENSH_IJSG_SG_EEES6_PlJ7is_evenIiEEEE10hipError_tPvRmT3_T4_T5_T6_T7_T9_mT8_P12ihipStream_tbDpT10_ENKUlT_T0_E_clISt17integral_constantIbLb0EES16_EEDaS11_S12_EUlS11_E_NS1_11comp_targetILNS1_3genE9ELNS1_11target_archE1100ELNS1_3gpuE3ELNS1_3repE0EEENS1_30default_config_static_selectorELNS0_4arch9wavefront6targetE1EEEvT1_
    .private_segment_fixed_size: 0
    .sgpr_count:     6
    .sgpr_spill_count: 0
    .symbol:         _ZN7rocprim17ROCPRIM_400000_NS6detail17trampoline_kernelINS0_14default_configENS1_25partition_config_selectorILNS1_17partition_subalgoE0EiNS0_10empty_typeEbEEZZNS1_14partition_implILS5_0ELb0ES3_jN6thrust23THRUST_200600_302600_NS6detail15normal_iteratorINSA_10device_ptrIiEEEEPS6_SG_NS0_5tupleIJSF_SF_EEENSH_IJSG_SG_EEES6_PlJ7is_evenIiEEEE10hipError_tPvRmT3_T4_T5_T6_T7_T9_mT8_P12ihipStream_tbDpT10_ENKUlT_T0_E_clISt17integral_constantIbLb0EES16_EEDaS11_S12_EUlS11_E_NS1_11comp_targetILNS1_3genE9ELNS1_11target_archE1100ELNS1_3gpuE3ELNS1_3repE0EEENS1_30default_config_static_selectorELNS0_4arch9wavefront6targetE1EEEvT1_.kd
    .uniform_work_group_size: 1
    .uses_dynamic_stack: false
    .vgpr_count:     0
    .vgpr_spill_count: 0
    .wavefront_size: 64
  - .agpr_count:     0
    .args:
      - .offset:         0
        .size:           120
        .value_kind:     by_value
    .group_segment_fixed_size: 0
    .kernarg_segment_align: 8
    .kernarg_segment_size: 120
    .language:       OpenCL C
    .language_version:
      - 2
      - 0
    .max_flat_workgroup_size: 512
    .name:           _ZN7rocprim17ROCPRIM_400000_NS6detail17trampoline_kernelINS0_14default_configENS1_25partition_config_selectorILNS1_17partition_subalgoE0EiNS0_10empty_typeEbEEZZNS1_14partition_implILS5_0ELb0ES3_jN6thrust23THRUST_200600_302600_NS6detail15normal_iteratorINSA_10device_ptrIiEEEEPS6_SG_NS0_5tupleIJSF_SF_EEENSH_IJSG_SG_EEES6_PlJ7is_evenIiEEEE10hipError_tPvRmT3_T4_T5_T6_T7_T9_mT8_P12ihipStream_tbDpT10_ENKUlT_T0_E_clISt17integral_constantIbLb0EES16_EEDaS11_S12_EUlS11_E_NS1_11comp_targetILNS1_3genE8ELNS1_11target_archE1030ELNS1_3gpuE2ELNS1_3repE0EEENS1_30default_config_static_selectorELNS0_4arch9wavefront6targetE1EEEvT1_
    .private_segment_fixed_size: 0
    .sgpr_count:     6
    .sgpr_spill_count: 0
    .symbol:         _ZN7rocprim17ROCPRIM_400000_NS6detail17trampoline_kernelINS0_14default_configENS1_25partition_config_selectorILNS1_17partition_subalgoE0EiNS0_10empty_typeEbEEZZNS1_14partition_implILS5_0ELb0ES3_jN6thrust23THRUST_200600_302600_NS6detail15normal_iteratorINSA_10device_ptrIiEEEEPS6_SG_NS0_5tupleIJSF_SF_EEENSH_IJSG_SG_EEES6_PlJ7is_evenIiEEEE10hipError_tPvRmT3_T4_T5_T6_T7_T9_mT8_P12ihipStream_tbDpT10_ENKUlT_T0_E_clISt17integral_constantIbLb0EES16_EEDaS11_S12_EUlS11_E_NS1_11comp_targetILNS1_3genE8ELNS1_11target_archE1030ELNS1_3gpuE2ELNS1_3repE0EEENS1_30default_config_static_selectorELNS0_4arch9wavefront6targetE1EEEvT1_.kd
    .uniform_work_group_size: 1
    .uses_dynamic_stack: false
    .vgpr_count:     0
    .vgpr_spill_count: 0
    .wavefront_size: 64
  - .agpr_count:     0
    .args:
      - .offset:         0
        .size:           136
        .value_kind:     by_value
    .group_segment_fixed_size: 0
    .kernarg_segment_align: 8
    .kernarg_segment_size: 136
    .language:       OpenCL C
    .language_version:
      - 2
      - 0
    .max_flat_workgroup_size: 256
    .name:           _ZN7rocprim17ROCPRIM_400000_NS6detail17trampoline_kernelINS0_14default_configENS1_25partition_config_selectorILNS1_17partition_subalgoE0EiNS0_10empty_typeEbEEZZNS1_14partition_implILS5_0ELb0ES3_jN6thrust23THRUST_200600_302600_NS6detail15normal_iteratorINSA_10device_ptrIiEEEEPS6_SG_NS0_5tupleIJSF_SF_EEENSH_IJSG_SG_EEES6_PlJ7is_evenIiEEEE10hipError_tPvRmT3_T4_T5_T6_T7_T9_mT8_P12ihipStream_tbDpT10_ENKUlT_T0_E_clISt17integral_constantIbLb1EES16_EEDaS11_S12_EUlS11_E_NS1_11comp_targetILNS1_3genE0ELNS1_11target_archE4294967295ELNS1_3gpuE0ELNS1_3repE0EEENS1_30default_config_static_selectorELNS0_4arch9wavefront6targetE1EEEvT1_
    .private_segment_fixed_size: 0
    .sgpr_count:     6
    .sgpr_spill_count: 0
    .symbol:         _ZN7rocprim17ROCPRIM_400000_NS6detail17trampoline_kernelINS0_14default_configENS1_25partition_config_selectorILNS1_17partition_subalgoE0EiNS0_10empty_typeEbEEZZNS1_14partition_implILS5_0ELb0ES3_jN6thrust23THRUST_200600_302600_NS6detail15normal_iteratorINSA_10device_ptrIiEEEEPS6_SG_NS0_5tupleIJSF_SF_EEENSH_IJSG_SG_EEES6_PlJ7is_evenIiEEEE10hipError_tPvRmT3_T4_T5_T6_T7_T9_mT8_P12ihipStream_tbDpT10_ENKUlT_T0_E_clISt17integral_constantIbLb1EES16_EEDaS11_S12_EUlS11_E_NS1_11comp_targetILNS1_3genE0ELNS1_11target_archE4294967295ELNS1_3gpuE0ELNS1_3repE0EEENS1_30default_config_static_selectorELNS0_4arch9wavefront6targetE1EEEvT1_.kd
    .uniform_work_group_size: 1
    .uses_dynamic_stack: false
    .vgpr_count:     0
    .vgpr_spill_count: 0
    .wavefront_size: 64
  - .agpr_count:     0
    .args:
      - .offset:         0
        .size:           136
        .value_kind:     by_value
    .group_segment_fixed_size: 30728
    .kernarg_segment_align: 8
    .kernarg_segment_size: 136
    .language:       OpenCL C
    .language_version:
      - 2
      - 0
    .max_flat_workgroup_size: 512
    .name:           _ZN7rocprim17ROCPRIM_400000_NS6detail17trampoline_kernelINS0_14default_configENS1_25partition_config_selectorILNS1_17partition_subalgoE0EiNS0_10empty_typeEbEEZZNS1_14partition_implILS5_0ELb0ES3_jN6thrust23THRUST_200600_302600_NS6detail15normal_iteratorINSA_10device_ptrIiEEEEPS6_SG_NS0_5tupleIJSF_SF_EEENSH_IJSG_SG_EEES6_PlJ7is_evenIiEEEE10hipError_tPvRmT3_T4_T5_T6_T7_T9_mT8_P12ihipStream_tbDpT10_ENKUlT_T0_E_clISt17integral_constantIbLb1EES16_EEDaS11_S12_EUlS11_E_NS1_11comp_targetILNS1_3genE5ELNS1_11target_archE942ELNS1_3gpuE9ELNS1_3repE0EEENS1_30default_config_static_selectorELNS0_4arch9wavefront6targetE1EEEvT1_
    .private_segment_fixed_size: 0
    .sgpr_count:     50
    .sgpr_spill_count: 0
    .symbol:         _ZN7rocprim17ROCPRIM_400000_NS6detail17trampoline_kernelINS0_14default_configENS1_25partition_config_selectorILNS1_17partition_subalgoE0EiNS0_10empty_typeEbEEZZNS1_14partition_implILS5_0ELb0ES3_jN6thrust23THRUST_200600_302600_NS6detail15normal_iteratorINSA_10device_ptrIiEEEEPS6_SG_NS0_5tupleIJSF_SF_EEENSH_IJSG_SG_EEES6_PlJ7is_evenIiEEEE10hipError_tPvRmT3_T4_T5_T6_T7_T9_mT8_P12ihipStream_tbDpT10_ENKUlT_T0_E_clISt17integral_constantIbLb1EES16_EEDaS11_S12_EUlS11_E_NS1_11comp_targetILNS1_3genE5ELNS1_11target_archE942ELNS1_3gpuE9ELNS1_3repE0EEENS1_30default_config_static_selectorELNS0_4arch9wavefront6targetE1EEEvT1_.kd
    .uniform_work_group_size: 1
    .uses_dynamic_stack: false
    .vgpr_count:     80
    .vgpr_spill_count: 0
    .wavefront_size: 64
  - .agpr_count:     0
    .args:
      - .offset:         0
        .size:           136
        .value_kind:     by_value
    .group_segment_fixed_size: 0
    .kernarg_segment_align: 8
    .kernarg_segment_size: 136
    .language:       OpenCL C
    .language_version:
      - 2
      - 0
    .max_flat_workgroup_size: 256
    .name:           _ZN7rocprim17ROCPRIM_400000_NS6detail17trampoline_kernelINS0_14default_configENS1_25partition_config_selectorILNS1_17partition_subalgoE0EiNS0_10empty_typeEbEEZZNS1_14partition_implILS5_0ELb0ES3_jN6thrust23THRUST_200600_302600_NS6detail15normal_iteratorINSA_10device_ptrIiEEEEPS6_SG_NS0_5tupleIJSF_SF_EEENSH_IJSG_SG_EEES6_PlJ7is_evenIiEEEE10hipError_tPvRmT3_T4_T5_T6_T7_T9_mT8_P12ihipStream_tbDpT10_ENKUlT_T0_E_clISt17integral_constantIbLb1EES16_EEDaS11_S12_EUlS11_E_NS1_11comp_targetILNS1_3genE4ELNS1_11target_archE910ELNS1_3gpuE8ELNS1_3repE0EEENS1_30default_config_static_selectorELNS0_4arch9wavefront6targetE1EEEvT1_
    .private_segment_fixed_size: 0
    .sgpr_count:     6
    .sgpr_spill_count: 0
    .symbol:         _ZN7rocprim17ROCPRIM_400000_NS6detail17trampoline_kernelINS0_14default_configENS1_25partition_config_selectorILNS1_17partition_subalgoE0EiNS0_10empty_typeEbEEZZNS1_14partition_implILS5_0ELb0ES3_jN6thrust23THRUST_200600_302600_NS6detail15normal_iteratorINSA_10device_ptrIiEEEEPS6_SG_NS0_5tupleIJSF_SF_EEENSH_IJSG_SG_EEES6_PlJ7is_evenIiEEEE10hipError_tPvRmT3_T4_T5_T6_T7_T9_mT8_P12ihipStream_tbDpT10_ENKUlT_T0_E_clISt17integral_constantIbLb1EES16_EEDaS11_S12_EUlS11_E_NS1_11comp_targetILNS1_3genE4ELNS1_11target_archE910ELNS1_3gpuE8ELNS1_3repE0EEENS1_30default_config_static_selectorELNS0_4arch9wavefront6targetE1EEEvT1_.kd
    .uniform_work_group_size: 1
    .uses_dynamic_stack: false
    .vgpr_count:     0
    .vgpr_spill_count: 0
    .wavefront_size: 64
  - .agpr_count:     0
    .args:
      - .offset:         0
        .size:           136
        .value_kind:     by_value
    .group_segment_fixed_size: 0
    .kernarg_segment_align: 8
    .kernarg_segment_size: 136
    .language:       OpenCL C
    .language_version:
      - 2
      - 0
    .max_flat_workgroup_size: 256
    .name:           _ZN7rocprim17ROCPRIM_400000_NS6detail17trampoline_kernelINS0_14default_configENS1_25partition_config_selectorILNS1_17partition_subalgoE0EiNS0_10empty_typeEbEEZZNS1_14partition_implILS5_0ELb0ES3_jN6thrust23THRUST_200600_302600_NS6detail15normal_iteratorINSA_10device_ptrIiEEEEPS6_SG_NS0_5tupleIJSF_SF_EEENSH_IJSG_SG_EEES6_PlJ7is_evenIiEEEE10hipError_tPvRmT3_T4_T5_T6_T7_T9_mT8_P12ihipStream_tbDpT10_ENKUlT_T0_E_clISt17integral_constantIbLb1EES16_EEDaS11_S12_EUlS11_E_NS1_11comp_targetILNS1_3genE3ELNS1_11target_archE908ELNS1_3gpuE7ELNS1_3repE0EEENS1_30default_config_static_selectorELNS0_4arch9wavefront6targetE1EEEvT1_
    .private_segment_fixed_size: 0
    .sgpr_count:     6
    .sgpr_spill_count: 0
    .symbol:         _ZN7rocprim17ROCPRIM_400000_NS6detail17trampoline_kernelINS0_14default_configENS1_25partition_config_selectorILNS1_17partition_subalgoE0EiNS0_10empty_typeEbEEZZNS1_14partition_implILS5_0ELb0ES3_jN6thrust23THRUST_200600_302600_NS6detail15normal_iteratorINSA_10device_ptrIiEEEEPS6_SG_NS0_5tupleIJSF_SF_EEENSH_IJSG_SG_EEES6_PlJ7is_evenIiEEEE10hipError_tPvRmT3_T4_T5_T6_T7_T9_mT8_P12ihipStream_tbDpT10_ENKUlT_T0_E_clISt17integral_constantIbLb1EES16_EEDaS11_S12_EUlS11_E_NS1_11comp_targetILNS1_3genE3ELNS1_11target_archE908ELNS1_3gpuE7ELNS1_3repE0EEENS1_30default_config_static_selectorELNS0_4arch9wavefront6targetE1EEEvT1_.kd
    .uniform_work_group_size: 1
    .uses_dynamic_stack: false
    .vgpr_count:     0
    .vgpr_spill_count: 0
    .wavefront_size: 64
  - .agpr_count:     0
    .args:
      - .offset:         0
        .size:           136
        .value_kind:     by_value
    .group_segment_fixed_size: 0
    .kernarg_segment_align: 8
    .kernarg_segment_size: 136
    .language:       OpenCL C
    .language_version:
      - 2
      - 0
    .max_flat_workgroup_size: 192
    .name:           _ZN7rocprim17ROCPRIM_400000_NS6detail17trampoline_kernelINS0_14default_configENS1_25partition_config_selectorILNS1_17partition_subalgoE0EiNS0_10empty_typeEbEEZZNS1_14partition_implILS5_0ELb0ES3_jN6thrust23THRUST_200600_302600_NS6detail15normal_iteratorINSA_10device_ptrIiEEEEPS6_SG_NS0_5tupleIJSF_SF_EEENSH_IJSG_SG_EEES6_PlJ7is_evenIiEEEE10hipError_tPvRmT3_T4_T5_T6_T7_T9_mT8_P12ihipStream_tbDpT10_ENKUlT_T0_E_clISt17integral_constantIbLb1EES16_EEDaS11_S12_EUlS11_E_NS1_11comp_targetILNS1_3genE2ELNS1_11target_archE906ELNS1_3gpuE6ELNS1_3repE0EEENS1_30default_config_static_selectorELNS0_4arch9wavefront6targetE1EEEvT1_
    .private_segment_fixed_size: 0
    .sgpr_count:     6
    .sgpr_spill_count: 0
    .symbol:         _ZN7rocprim17ROCPRIM_400000_NS6detail17trampoline_kernelINS0_14default_configENS1_25partition_config_selectorILNS1_17partition_subalgoE0EiNS0_10empty_typeEbEEZZNS1_14partition_implILS5_0ELb0ES3_jN6thrust23THRUST_200600_302600_NS6detail15normal_iteratorINSA_10device_ptrIiEEEEPS6_SG_NS0_5tupleIJSF_SF_EEENSH_IJSG_SG_EEES6_PlJ7is_evenIiEEEE10hipError_tPvRmT3_T4_T5_T6_T7_T9_mT8_P12ihipStream_tbDpT10_ENKUlT_T0_E_clISt17integral_constantIbLb1EES16_EEDaS11_S12_EUlS11_E_NS1_11comp_targetILNS1_3genE2ELNS1_11target_archE906ELNS1_3gpuE6ELNS1_3repE0EEENS1_30default_config_static_selectorELNS0_4arch9wavefront6targetE1EEEvT1_.kd
    .uniform_work_group_size: 1
    .uses_dynamic_stack: false
    .vgpr_count:     0
    .vgpr_spill_count: 0
    .wavefront_size: 64
  - .agpr_count:     0
    .args:
      - .offset:         0
        .size:           136
        .value_kind:     by_value
    .group_segment_fixed_size: 0
    .kernarg_segment_align: 8
    .kernarg_segment_size: 136
    .language:       OpenCL C
    .language_version:
      - 2
      - 0
    .max_flat_workgroup_size: 512
    .name:           _ZN7rocprim17ROCPRIM_400000_NS6detail17trampoline_kernelINS0_14default_configENS1_25partition_config_selectorILNS1_17partition_subalgoE0EiNS0_10empty_typeEbEEZZNS1_14partition_implILS5_0ELb0ES3_jN6thrust23THRUST_200600_302600_NS6detail15normal_iteratorINSA_10device_ptrIiEEEEPS6_SG_NS0_5tupleIJSF_SF_EEENSH_IJSG_SG_EEES6_PlJ7is_evenIiEEEE10hipError_tPvRmT3_T4_T5_T6_T7_T9_mT8_P12ihipStream_tbDpT10_ENKUlT_T0_E_clISt17integral_constantIbLb1EES16_EEDaS11_S12_EUlS11_E_NS1_11comp_targetILNS1_3genE10ELNS1_11target_archE1200ELNS1_3gpuE4ELNS1_3repE0EEENS1_30default_config_static_selectorELNS0_4arch9wavefront6targetE1EEEvT1_
    .private_segment_fixed_size: 0
    .sgpr_count:     6
    .sgpr_spill_count: 0
    .symbol:         _ZN7rocprim17ROCPRIM_400000_NS6detail17trampoline_kernelINS0_14default_configENS1_25partition_config_selectorILNS1_17partition_subalgoE0EiNS0_10empty_typeEbEEZZNS1_14partition_implILS5_0ELb0ES3_jN6thrust23THRUST_200600_302600_NS6detail15normal_iteratorINSA_10device_ptrIiEEEEPS6_SG_NS0_5tupleIJSF_SF_EEENSH_IJSG_SG_EEES6_PlJ7is_evenIiEEEE10hipError_tPvRmT3_T4_T5_T6_T7_T9_mT8_P12ihipStream_tbDpT10_ENKUlT_T0_E_clISt17integral_constantIbLb1EES16_EEDaS11_S12_EUlS11_E_NS1_11comp_targetILNS1_3genE10ELNS1_11target_archE1200ELNS1_3gpuE4ELNS1_3repE0EEENS1_30default_config_static_selectorELNS0_4arch9wavefront6targetE1EEEvT1_.kd
    .uniform_work_group_size: 1
    .uses_dynamic_stack: false
    .vgpr_count:     0
    .vgpr_spill_count: 0
    .wavefront_size: 64
  - .agpr_count:     0
    .args:
      - .offset:         0
        .size:           136
        .value_kind:     by_value
    .group_segment_fixed_size: 0
    .kernarg_segment_align: 8
    .kernarg_segment_size: 136
    .language:       OpenCL C
    .language_version:
      - 2
      - 0
    .max_flat_workgroup_size: 128
    .name:           _ZN7rocprim17ROCPRIM_400000_NS6detail17trampoline_kernelINS0_14default_configENS1_25partition_config_selectorILNS1_17partition_subalgoE0EiNS0_10empty_typeEbEEZZNS1_14partition_implILS5_0ELb0ES3_jN6thrust23THRUST_200600_302600_NS6detail15normal_iteratorINSA_10device_ptrIiEEEEPS6_SG_NS0_5tupleIJSF_SF_EEENSH_IJSG_SG_EEES6_PlJ7is_evenIiEEEE10hipError_tPvRmT3_T4_T5_T6_T7_T9_mT8_P12ihipStream_tbDpT10_ENKUlT_T0_E_clISt17integral_constantIbLb1EES16_EEDaS11_S12_EUlS11_E_NS1_11comp_targetILNS1_3genE9ELNS1_11target_archE1100ELNS1_3gpuE3ELNS1_3repE0EEENS1_30default_config_static_selectorELNS0_4arch9wavefront6targetE1EEEvT1_
    .private_segment_fixed_size: 0
    .sgpr_count:     6
    .sgpr_spill_count: 0
    .symbol:         _ZN7rocprim17ROCPRIM_400000_NS6detail17trampoline_kernelINS0_14default_configENS1_25partition_config_selectorILNS1_17partition_subalgoE0EiNS0_10empty_typeEbEEZZNS1_14partition_implILS5_0ELb0ES3_jN6thrust23THRUST_200600_302600_NS6detail15normal_iteratorINSA_10device_ptrIiEEEEPS6_SG_NS0_5tupleIJSF_SF_EEENSH_IJSG_SG_EEES6_PlJ7is_evenIiEEEE10hipError_tPvRmT3_T4_T5_T6_T7_T9_mT8_P12ihipStream_tbDpT10_ENKUlT_T0_E_clISt17integral_constantIbLb1EES16_EEDaS11_S12_EUlS11_E_NS1_11comp_targetILNS1_3genE9ELNS1_11target_archE1100ELNS1_3gpuE3ELNS1_3repE0EEENS1_30default_config_static_selectorELNS0_4arch9wavefront6targetE1EEEvT1_.kd
    .uniform_work_group_size: 1
    .uses_dynamic_stack: false
    .vgpr_count:     0
    .vgpr_spill_count: 0
    .wavefront_size: 64
  - .agpr_count:     0
    .args:
      - .offset:         0
        .size:           136
        .value_kind:     by_value
    .group_segment_fixed_size: 0
    .kernarg_segment_align: 8
    .kernarg_segment_size: 136
    .language:       OpenCL C
    .language_version:
      - 2
      - 0
    .max_flat_workgroup_size: 512
    .name:           _ZN7rocprim17ROCPRIM_400000_NS6detail17trampoline_kernelINS0_14default_configENS1_25partition_config_selectorILNS1_17partition_subalgoE0EiNS0_10empty_typeEbEEZZNS1_14partition_implILS5_0ELb0ES3_jN6thrust23THRUST_200600_302600_NS6detail15normal_iteratorINSA_10device_ptrIiEEEEPS6_SG_NS0_5tupleIJSF_SF_EEENSH_IJSG_SG_EEES6_PlJ7is_evenIiEEEE10hipError_tPvRmT3_T4_T5_T6_T7_T9_mT8_P12ihipStream_tbDpT10_ENKUlT_T0_E_clISt17integral_constantIbLb1EES16_EEDaS11_S12_EUlS11_E_NS1_11comp_targetILNS1_3genE8ELNS1_11target_archE1030ELNS1_3gpuE2ELNS1_3repE0EEENS1_30default_config_static_selectorELNS0_4arch9wavefront6targetE1EEEvT1_
    .private_segment_fixed_size: 0
    .sgpr_count:     6
    .sgpr_spill_count: 0
    .symbol:         _ZN7rocprim17ROCPRIM_400000_NS6detail17trampoline_kernelINS0_14default_configENS1_25partition_config_selectorILNS1_17partition_subalgoE0EiNS0_10empty_typeEbEEZZNS1_14partition_implILS5_0ELb0ES3_jN6thrust23THRUST_200600_302600_NS6detail15normal_iteratorINSA_10device_ptrIiEEEEPS6_SG_NS0_5tupleIJSF_SF_EEENSH_IJSG_SG_EEES6_PlJ7is_evenIiEEEE10hipError_tPvRmT3_T4_T5_T6_T7_T9_mT8_P12ihipStream_tbDpT10_ENKUlT_T0_E_clISt17integral_constantIbLb1EES16_EEDaS11_S12_EUlS11_E_NS1_11comp_targetILNS1_3genE8ELNS1_11target_archE1030ELNS1_3gpuE2ELNS1_3repE0EEENS1_30default_config_static_selectorELNS0_4arch9wavefront6targetE1EEEvT1_.kd
    .uniform_work_group_size: 1
    .uses_dynamic_stack: false
    .vgpr_count:     0
    .vgpr_spill_count: 0
    .wavefront_size: 64
  - .agpr_count:     0
    .args:
      - .offset:         0
        .size:           120
        .value_kind:     by_value
    .group_segment_fixed_size: 0
    .kernarg_segment_align: 8
    .kernarg_segment_size: 120
    .language:       OpenCL C
    .language_version:
      - 2
      - 0
    .max_flat_workgroup_size: 256
    .name:           _ZN7rocprim17ROCPRIM_400000_NS6detail17trampoline_kernelINS0_14default_configENS1_25partition_config_selectorILNS1_17partition_subalgoE0EiNS0_10empty_typeEbEEZZNS1_14partition_implILS5_0ELb0ES3_jN6thrust23THRUST_200600_302600_NS6detail15normal_iteratorINSA_10device_ptrIiEEEEPS6_SG_NS0_5tupleIJSF_SF_EEENSH_IJSG_SG_EEES6_PlJ7is_evenIiEEEE10hipError_tPvRmT3_T4_T5_T6_T7_T9_mT8_P12ihipStream_tbDpT10_ENKUlT_T0_E_clISt17integral_constantIbLb1EES15_IbLb0EEEEDaS11_S12_EUlS11_E_NS1_11comp_targetILNS1_3genE0ELNS1_11target_archE4294967295ELNS1_3gpuE0ELNS1_3repE0EEENS1_30default_config_static_selectorELNS0_4arch9wavefront6targetE1EEEvT1_
    .private_segment_fixed_size: 0
    .sgpr_count:     6
    .sgpr_spill_count: 0
    .symbol:         _ZN7rocprim17ROCPRIM_400000_NS6detail17trampoline_kernelINS0_14default_configENS1_25partition_config_selectorILNS1_17partition_subalgoE0EiNS0_10empty_typeEbEEZZNS1_14partition_implILS5_0ELb0ES3_jN6thrust23THRUST_200600_302600_NS6detail15normal_iteratorINSA_10device_ptrIiEEEEPS6_SG_NS0_5tupleIJSF_SF_EEENSH_IJSG_SG_EEES6_PlJ7is_evenIiEEEE10hipError_tPvRmT3_T4_T5_T6_T7_T9_mT8_P12ihipStream_tbDpT10_ENKUlT_T0_E_clISt17integral_constantIbLb1EES15_IbLb0EEEEDaS11_S12_EUlS11_E_NS1_11comp_targetILNS1_3genE0ELNS1_11target_archE4294967295ELNS1_3gpuE0ELNS1_3repE0EEENS1_30default_config_static_selectorELNS0_4arch9wavefront6targetE1EEEvT1_.kd
    .uniform_work_group_size: 1
    .uses_dynamic_stack: false
    .vgpr_count:     0
    .vgpr_spill_count: 0
    .wavefront_size: 64
  - .agpr_count:     0
    .args:
      - .offset:         0
        .size:           120
        .value_kind:     by_value
    .group_segment_fixed_size: 30728
    .kernarg_segment_align: 8
    .kernarg_segment_size: 120
    .language:       OpenCL C
    .language_version:
      - 2
      - 0
    .max_flat_workgroup_size: 512
    .name:           _ZN7rocprim17ROCPRIM_400000_NS6detail17trampoline_kernelINS0_14default_configENS1_25partition_config_selectorILNS1_17partition_subalgoE0EiNS0_10empty_typeEbEEZZNS1_14partition_implILS5_0ELb0ES3_jN6thrust23THRUST_200600_302600_NS6detail15normal_iteratorINSA_10device_ptrIiEEEEPS6_SG_NS0_5tupleIJSF_SF_EEENSH_IJSG_SG_EEES6_PlJ7is_evenIiEEEE10hipError_tPvRmT3_T4_T5_T6_T7_T9_mT8_P12ihipStream_tbDpT10_ENKUlT_T0_E_clISt17integral_constantIbLb1EES15_IbLb0EEEEDaS11_S12_EUlS11_E_NS1_11comp_targetILNS1_3genE5ELNS1_11target_archE942ELNS1_3gpuE9ELNS1_3repE0EEENS1_30default_config_static_selectorELNS0_4arch9wavefront6targetE1EEEvT1_
    .private_segment_fixed_size: 0
    .sgpr_count:     50
    .sgpr_spill_count: 0
    .symbol:         _ZN7rocprim17ROCPRIM_400000_NS6detail17trampoline_kernelINS0_14default_configENS1_25partition_config_selectorILNS1_17partition_subalgoE0EiNS0_10empty_typeEbEEZZNS1_14partition_implILS5_0ELb0ES3_jN6thrust23THRUST_200600_302600_NS6detail15normal_iteratorINSA_10device_ptrIiEEEEPS6_SG_NS0_5tupleIJSF_SF_EEENSH_IJSG_SG_EEES6_PlJ7is_evenIiEEEE10hipError_tPvRmT3_T4_T5_T6_T7_T9_mT8_P12ihipStream_tbDpT10_ENKUlT_T0_E_clISt17integral_constantIbLb1EES15_IbLb0EEEEDaS11_S12_EUlS11_E_NS1_11comp_targetILNS1_3genE5ELNS1_11target_archE942ELNS1_3gpuE9ELNS1_3repE0EEENS1_30default_config_static_selectorELNS0_4arch9wavefront6targetE1EEEvT1_.kd
    .uniform_work_group_size: 1
    .uses_dynamic_stack: false
    .vgpr_count:     76
    .vgpr_spill_count: 0
    .wavefront_size: 64
  - .agpr_count:     0
    .args:
      - .offset:         0
        .size:           120
        .value_kind:     by_value
    .group_segment_fixed_size: 0
    .kernarg_segment_align: 8
    .kernarg_segment_size: 120
    .language:       OpenCL C
    .language_version:
      - 2
      - 0
    .max_flat_workgroup_size: 256
    .name:           _ZN7rocprim17ROCPRIM_400000_NS6detail17trampoline_kernelINS0_14default_configENS1_25partition_config_selectorILNS1_17partition_subalgoE0EiNS0_10empty_typeEbEEZZNS1_14partition_implILS5_0ELb0ES3_jN6thrust23THRUST_200600_302600_NS6detail15normal_iteratorINSA_10device_ptrIiEEEEPS6_SG_NS0_5tupleIJSF_SF_EEENSH_IJSG_SG_EEES6_PlJ7is_evenIiEEEE10hipError_tPvRmT3_T4_T5_T6_T7_T9_mT8_P12ihipStream_tbDpT10_ENKUlT_T0_E_clISt17integral_constantIbLb1EES15_IbLb0EEEEDaS11_S12_EUlS11_E_NS1_11comp_targetILNS1_3genE4ELNS1_11target_archE910ELNS1_3gpuE8ELNS1_3repE0EEENS1_30default_config_static_selectorELNS0_4arch9wavefront6targetE1EEEvT1_
    .private_segment_fixed_size: 0
    .sgpr_count:     6
    .sgpr_spill_count: 0
    .symbol:         _ZN7rocprim17ROCPRIM_400000_NS6detail17trampoline_kernelINS0_14default_configENS1_25partition_config_selectorILNS1_17partition_subalgoE0EiNS0_10empty_typeEbEEZZNS1_14partition_implILS5_0ELb0ES3_jN6thrust23THRUST_200600_302600_NS6detail15normal_iteratorINSA_10device_ptrIiEEEEPS6_SG_NS0_5tupleIJSF_SF_EEENSH_IJSG_SG_EEES6_PlJ7is_evenIiEEEE10hipError_tPvRmT3_T4_T5_T6_T7_T9_mT8_P12ihipStream_tbDpT10_ENKUlT_T0_E_clISt17integral_constantIbLb1EES15_IbLb0EEEEDaS11_S12_EUlS11_E_NS1_11comp_targetILNS1_3genE4ELNS1_11target_archE910ELNS1_3gpuE8ELNS1_3repE0EEENS1_30default_config_static_selectorELNS0_4arch9wavefront6targetE1EEEvT1_.kd
    .uniform_work_group_size: 1
    .uses_dynamic_stack: false
    .vgpr_count:     0
    .vgpr_spill_count: 0
    .wavefront_size: 64
  - .agpr_count:     0
    .args:
      - .offset:         0
        .size:           120
        .value_kind:     by_value
    .group_segment_fixed_size: 0
    .kernarg_segment_align: 8
    .kernarg_segment_size: 120
    .language:       OpenCL C
    .language_version:
      - 2
      - 0
    .max_flat_workgroup_size: 256
    .name:           _ZN7rocprim17ROCPRIM_400000_NS6detail17trampoline_kernelINS0_14default_configENS1_25partition_config_selectorILNS1_17partition_subalgoE0EiNS0_10empty_typeEbEEZZNS1_14partition_implILS5_0ELb0ES3_jN6thrust23THRUST_200600_302600_NS6detail15normal_iteratorINSA_10device_ptrIiEEEEPS6_SG_NS0_5tupleIJSF_SF_EEENSH_IJSG_SG_EEES6_PlJ7is_evenIiEEEE10hipError_tPvRmT3_T4_T5_T6_T7_T9_mT8_P12ihipStream_tbDpT10_ENKUlT_T0_E_clISt17integral_constantIbLb1EES15_IbLb0EEEEDaS11_S12_EUlS11_E_NS1_11comp_targetILNS1_3genE3ELNS1_11target_archE908ELNS1_3gpuE7ELNS1_3repE0EEENS1_30default_config_static_selectorELNS0_4arch9wavefront6targetE1EEEvT1_
    .private_segment_fixed_size: 0
    .sgpr_count:     6
    .sgpr_spill_count: 0
    .symbol:         _ZN7rocprim17ROCPRIM_400000_NS6detail17trampoline_kernelINS0_14default_configENS1_25partition_config_selectorILNS1_17partition_subalgoE0EiNS0_10empty_typeEbEEZZNS1_14partition_implILS5_0ELb0ES3_jN6thrust23THRUST_200600_302600_NS6detail15normal_iteratorINSA_10device_ptrIiEEEEPS6_SG_NS0_5tupleIJSF_SF_EEENSH_IJSG_SG_EEES6_PlJ7is_evenIiEEEE10hipError_tPvRmT3_T4_T5_T6_T7_T9_mT8_P12ihipStream_tbDpT10_ENKUlT_T0_E_clISt17integral_constantIbLb1EES15_IbLb0EEEEDaS11_S12_EUlS11_E_NS1_11comp_targetILNS1_3genE3ELNS1_11target_archE908ELNS1_3gpuE7ELNS1_3repE0EEENS1_30default_config_static_selectorELNS0_4arch9wavefront6targetE1EEEvT1_.kd
    .uniform_work_group_size: 1
    .uses_dynamic_stack: false
    .vgpr_count:     0
    .vgpr_spill_count: 0
    .wavefront_size: 64
  - .agpr_count:     0
    .args:
      - .offset:         0
        .size:           120
        .value_kind:     by_value
    .group_segment_fixed_size: 0
    .kernarg_segment_align: 8
    .kernarg_segment_size: 120
    .language:       OpenCL C
    .language_version:
      - 2
      - 0
    .max_flat_workgroup_size: 192
    .name:           _ZN7rocprim17ROCPRIM_400000_NS6detail17trampoline_kernelINS0_14default_configENS1_25partition_config_selectorILNS1_17partition_subalgoE0EiNS0_10empty_typeEbEEZZNS1_14partition_implILS5_0ELb0ES3_jN6thrust23THRUST_200600_302600_NS6detail15normal_iteratorINSA_10device_ptrIiEEEEPS6_SG_NS0_5tupleIJSF_SF_EEENSH_IJSG_SG_EEES6_PlJ7is_evenIiEEEE10hipError_tPvRmT3_T4_T5_T6_T7_T9_mT8_P12ihipStream_tbDpT10_ENKUlT_T0_E_clISt17integral_constantIbLb1EES15_IbLb0EEEEDaS11_S12_EUlS11_E_NS1_11comp_targetILNS1_3genE2ELNS1_11target_archE906ELNS1_3gpuE6ELNS1_3repE0EEENS1_30default_config_static_selectorELNS0_4arch9wavefront6targetE1EEEvT1_
    .private_segment_fixed_size: 0
    .sgpr_count:     6
    .sgpr_spill_count: 0
    .symbol:         _ZN7rocprim17ROCPRIM_400000_NS6detail17trampoline_kernelINS0_14default_configENS1_25partition_config_selectorILNS1_17partition_subalgoE0EiNS0_10empty_typeEbEEZZNS1_14partition_implILS5_0ELb0ES3_jN6thrust23THRUST_200600_302600_NS6detail15normal_iteratorINSA_10device_ptrIiEEEEPS6_SG_NS0_5tupleIJSF_SF_EEENSH_IJSG_SG_EEES6_PlJ7is_evenIiEEEE10hipError_tPvRmT3_T4_T5_T6_T7_T9_mT8_P12ihipStream_tbDpT10_ENKUlT_T0_E_clISt17integral_constantIbLb1EES15_IbLb0EEEEDaS11_S12_EUlS11_E_NS1_11comp_targetILNS1_3genE2ELNS1_11target_archE906ELNS1_3gpuE6ELNS1_3repE0EEENS1_30default_config_static_selectorELNS0_4arch9wavefront6targetE1EEEvT1_.kd
    .uniform_work_group_size: 1
    .uses_dynamic_stack: false
    .vgpr_count:     0
    .vgpr_spill_count: 0
    .wavefront_size: 64
  - .agpr_count:     0
    .args:
      - .offset:         0
        .size:           120
        .value_kind:     by_value
    .group_segment_fixed_size: 0
    .kernarg_segment_align: 8
    .kernarg_segment_size: 120
    .language:       OpenCL C
    .language_version:
      - 2
      - 0
    .max_flat_workgroup_size: 512
    .name:           _ZN7rocprim17ROCPRIM_400000_NS6detail17trampoline_kernelINS0_14default_configENS1_25partition_config_selectorILNS1_17partition_subalgoE0EiNS0_10empty_typeEbEEZZNS1_14partition_implILS5_0ELb0ES3_jN6thrust23THRUST_200600_302600_NS6detail15normal_iteratorINSA_10device_ptrIiEEEEPS6_SG_NS0_5tupleIJSF_SF_EEENSH_IJSG_SG_EEES6_PlJ7is_evenIiEEEE10hipError_tPvRmT3_T4_T5_T6_T7_T9_mT8_P12ihipStream_tbDpT10_ENKUlT_T0_E_clISt17integral_constantIbLb1EES15_IbLb0EEEEDaS11_S12_EUlS11_E_NS1_11comp_targetILNS1_3genE10ELNS1_11target_archE1200ELNS1_3gpuE4ELNS1_3repE0EEENS1_30default_config_static_selectorELNS0_4arch9wavefront6targetE1EEEvT1_
    .private_segment_fixed_size: 0
    .sgpr_count:     6
    .sgpr_spill_count: 0
    .symbol:         _ZN7rocprim17ROCPRIM_400000_NS6detail17trampoline_kernelINS0_14default_configENS1_25partition_config_selectorILNS1_17partition_subalgoE0EiNS0_10empty_typeEbEEZZNS1_14partition_implILS5_0ELb0ES3_jN6thrust23THRUST_200600_302600_NS6detail15normal_iteratorINSA_10device_ptrIiEEEEPS6_SG_NS0_5tupleIJSF_SF_EEENSH_IJSG_SG_EEES6_PlJ7is_evenIiEEEE10hipError_tPvRmT3_T4_T5_T6_T7_T9_mT8_P12ihipStream_tbDpT10_ENKUlT_T0_E_clISt17integral_constantIbLb1EES15_IbLb0EEEEDaS11_S12_EUlS11_E_NS1_11comp_targetILNS1_3genE10ELNS1_11target_archE1200ELNS1_3gpuE4ELNS1_3repE0EEENS1_30default_config_static_selectorELNS0_4arch9wavefront6targetE1EEEvT1_.kd
    .uniform_work_group_size: 1
    .uses_dynamic_stack: false
    .vgpr_count:     0
    .vgpr_spill_count: 0
    .wavefront_size: 64
  - .agpr_count:     0
    .args:
      - .offset:         0
        .size:           120
        .value_kind:     by_value
    .group_segment_fixed_size: 0
    .kernarg_segment_align: 8
    .kernarg_segment_size: 120
    .language:       OpenCL C
    .language_version:
      - 2
      - 0
    .max_flat_workgroup_size: 128
    .name:           _ZN7rocprim17ROCPRIM_400000_NS6detail17trampoline_kernelINS0_14default_configENS1_25partition_config_selectorILNS1_17partition_subalgoE0EiNS0_10empty_typeEbEEZZNS1_14partition_implILS5_0ELb0ES3_jN6thrust23THRUST_200600_302600_NS6detail15normal_iteratorINSA_10device_ptrIiEEEEPS6_SG_NS0_5tupleIJSF_SF_EEENSH_IJSG_SG_EEES6_PlJ7is_evenIiEEEE10hipError_tPvRmT3_T4_T5_T6_T7_T9_mT8_P12ihipStream_tbDpT10_ENKUlT_T0_E_clISt17integral_constantIbLb1EES15_IbLb0EEEEDaS11_S12_EUlS11_E_NS1_11comp_targetILNS1_3genE9ELNS1_11target_archE1100ELNS1_3gpuE3ELNS1_3repE0EEENS1_30default_config_static_selectorELNS0_4arch9wavefront6targetE1EEEvT1_
    .private_segment_fixed_size: 0
    .sgpr_count:     6
    .sgpr_spill_count: 0
    .symbol:         _ZN7rocprim17ROCPRIM_400000_NS6detail17trampoline_kernelINS0_14default_configENS1_25partition_config_selectorILNS1_17partition_subalgoE0EiNS0_10empty_typeEbEEZZNS1_14partition_implILS5_0ELb0ES3_jN6thrust23THRUST_200600_302600_NS6detail15normal_iteratorINSA_10device_ptrIiEEEEPS6_SG_NS0_5tupleIJSF_SF_EEENSH_IJSG_SG_EEES6_PlJ7is_evenIiEEEE10hipError_tPvRmT3_T4_T5_T6_T7_T9_mT8_P12ihipStream_tbDpT10_ENKUlT_T0_E_clISt17integral_constantIbLb1EES15_IbLb0EEEEDaS11_S12_EUlS11_E_NS1_11comp_targetILNS1_3genE9ELNS1_11target_archE1100ELNS1_3gpuE3ELNS1_3repE0EEENS1_30default_config_static_selectorELNS0_4arch9wavefront6targetE1EEEvT1_.kd
    .uniform_work_group_size: 1
    .uses_dynamic_stack: false
    .vgpr_count:     0
    .vgpr_spill_count: 0
    .wavefront_size: 64
  - .agpr_count:     0
    .args:
      - .offset:         0
        .size:           120
        .value_kind:     by_value
    .group_segment_fixed_size: 0
    .kernarg_segment_align: 8
    .kernarg_segment_size: 120
    .language:       OpenCL C
    .language_version:
      - 2
      - 0
    .max_flat_workgroup_size: 512
    .name:           _ZN7rocprim17ROCPRIM_400000_NS6detail17trampoline_kernelINS0_14default_configENS1_25partition_config_selectorILNS1_17partition_subalgoE0EiNS0_10empty_typeEbEEZZNS1_14partition_implILS5_0ELb0ES3_jN6thrust23THRUST_200600_302600_NS6detail15normal_iteratorINSA_10device_ptrIiEEEEPS6_SG_NS0_5tupleIJSF_SF_EEENSH_IJSG_SG_EEES6_PlJ7is_evenIiEEEE10hipError_tPvRmT3_T4_T5_T6_T7_T9_mT8_P12ihipStream_tbDpT10_ENKUlT_T0_E_clISt17integral_constantIbLb1EES15_IbLb0EEEEDaS11_S12_EUlS11_E_NS1_11comp_targetILNS1_3genE8ELNS1_11target_archE1030ELNS1_3gpuE2ELNS1_3repE0EEENS1_30default_config_static_selectorELNS0_4arch9wavefront6targetE1EEEvT1_
    .private_segment_fixed_size: 0
    .sgpr_count:     6
    .sgpr_spill_count: 0
    .symbol:         _ZN7rocprim17ROCPRIM_400000_NS6detail17trampoline_kernelINS0_14default_configENS1_25partition_config_selectorILNS1_17partition_subalgoE0EiNS0_10empty_typeEbEEZZNS1_14partition_implILS5_0ELb0ES3_jN6thrust23THRUST_200600_302600_NS6detail15normal_iteratorINSA_10device_ptrIiEEEEPS6_SG_NS0_5tupleIJSF_SF_EEENSH_IJSG_SG_EEES6_PlJ7is_evenIiEEEE10hipError_tPvRmT3_T4_T5_T6_T7_T9_mT8_P12ihipStream_tbDpT10_ENKUlT_T0_E_clISt17integral_constantIbLb1EES15_IbLb0EEEEDaS11_S12_EUlS11_E_NS1_11comp_targetILNS1_3genE8ELNS1_11target_archE1030ELNS1_3gpuE2ELNS1_3repE0EEENS1_30default_config_static_selectorELNS0_4arch9wavefront6targetE1EEEvT1_.kd
    .uniform_work_group_size: 1
    .uses_dynamic_stack: false
    .vgpr_count:     0
    .vgpr_spill_count: 0
    .wavefront_size: 64
  - .agpr_count:     0
    .args:
      - .offset:         0
        .size:           136
        .value_kind:     by_value
    .group_segment_fixed_size: 0
    .kernarg_segment_align: 8
    .kernarg_segment_size: 136
    .language:       OpenCL C
    .language_version:
      - 2
      - 0
    .max_flat_workgroup_size: 256
    .name:           _ZN7rocprim17ROCPRIM_400000_NS6detail17trampoline_kernelINS0_14default_configENS1_25partition_config_selectorILNS1_17partition_subalgoE0EiNS0_10empty_typeEbEEZZNS1_14partition_implILS5_0ELb0ES3_jN6thrust23THRUST_200600_302600_NS6detail15normal_iteratorINSA_10device_ptrIiEEEEPS6_SG_NS0_5tupleIJSF_SF_EEENSH_IJSG_SG_EEES6_PlJ7is_evenIiEEEE10hipError_tPvRmT3_T4_T5_T6_T7_T9_mT8_P12ihipStream_tbDpT10_ENKUlT_T0_E_clISt17integral_constantIbLb0EES15_IbLb1EEEEDaS11_S12_EUlS11_E_NS1_11comp_targetILNS1_3genE0ELNS1_11target_archE4294967295ELNS1_3gpuE0ELNS1_3repE0EEENS1_30default_config_static_selectorELNS0_4arch9wavefront6targetE1EEEvT1_
    .private_segment_fixed_size: 0
    .sgpr_count:     6
    .sgpr_spill_count: 0
    .symbol:         _ZN7rocprim17ROCPRIM_400000_NS6detail17trampoline_kernelINS0_14default_configENS1_25partition_config_selectorILNS1_17partition_subalgoE0EiNS0_10empty_typeEbEEZZNS1_14partition_implILS5_0ELb0ES3_jN6thrust23THRUST_200600_302600_NS6detail15normal_iteratorINSA_10device_ptrIiEEEEPS6_SG_NS0_5tupleIJSF_SF_EEENSH_IJSG_SG_EEES6_PlJ7is_evenIiEEEE10hipError_tPvRmT3_T4_T5_T6_T7_T9_mT8_P12ihipStream_tbDpT10_ENKUlT_T0_E_clISt17integral_constantIbLb0EES15_IbLb1EEEEDaS11_S12_EUlS11_E_NS1_11comp_targetILNS1_3genE0ELNS1_11target_archE4294967295ELNS1_3gpuE0ELNS1_3repE0EEENS1_30default_config_static_selectorELNS0_4arch9wavefront6targetE1EEEvT1_.kd
    .uniform_work_group_size: 1
    .uses_dynamic_stack: false
    .vgpr_count:     0
    .vgpr_spill_count: 0
    .wavefront_size: 64
  - .agpr_count:     0
    .args:
      - .offset:         0
        .size:           136
        .value_kind:     by_value
    .group_segment_fixed_size: 30728
    .kernarg_segment_align: 8
    .kernarg_segment_size: 136
    .language:       OpenCL C
    .language_version:
      - 2
      - 0
    .max_flat_workgroup_size: 512
    .name:           _ZN7rocprim17ROCPRIM_400000_NS6detail17trampoline_kernelINS0_14default_configENS1_25partition_config_selectorILNS1_17partition_subalgoE0EiNS0_10empty_typeEbEEZZNS1_14partition_implILS5_0ELb0ES3_jN6thrust23THRUST_200600_302600_NS6detail15normal_iteratorINSA_10device_ptrIiEEEEPS6_SG_NS0_5tupleIJSF_SF_EEENSH_IJSG_SG_EEES6_PlJ7is_evenIiEEEE10hipError_tPvRmT3_T4_T5_T6_T7_T9_mT8_P12ihipStream_tbDpT10_ENKUlT_T0_E_clISt17integral_constantIbLb0EES15_IbLb1EEEEDaS11_S12_EUlS11_E_NS1_11comp_targetILNS1_3genE5ELNS1_11target_archE942ELNS1_3gpuE9ELNS1_3repE0EEENS1_30default_config_static_selectorELNS0_4arch9wavefront6targetE1EEEvT1_
    .private_segment_fixed_size: 0
    .sgpr_count:     50
    .sgpr_spill_count: 0
    .symbol:         _ZN7rocprim17ROCPRIM_400000_NS6detail17trampoline_kernelINS0_14default_configENS1_25partition_config_selectorILNS1_17partition_subalgoE0EiNS0_10empty_typeEbEEZZNS1_14partition_implILS5_0ELb0ES3_jN6thrust23THRUST_200600_302600_NS6detail15normal_iteratorINSA_10device_ptrIiEEEEPS6_SG_NS0_5tupleIJSF_SF_EEENSH_IJSG_SG_EEES6_PlJ7is_evenIiEEEE10hipError_tPvRmT3_T4_T5_T6_T7_T9_mT8_P12ihipStream_tbDpT10_ENKUlT_T0_E_clISt17integral_constantIbLb0EES15_IbLb1EEEEDaS11_S12_EUlS11_E_NS1_11comp_targetILNS1_3genE5ELNS1_11target_archE942ELNS1_3gpuE9ELNS1_3repE0EEENS1_30default_config_static_selectorELNS0_4arch9wavefront6targetE1EEEvT1_.kd
    .uniform_work_group_size: 1
    .uses_dynamic_stack: false
    .vgpr_count:     80
    .vgpr_spill_count: 0
    .wavefront_size: 64
  - .agpr_count:     0
    .args:
      - .offset:         0
        .size:           136
        .value_kind:     by_value
    .group_segment_fixed_size: 0
    .kernarg_segment_align: 8
    .kernarg_segment_size: 136
    .language:       OpenCL C
    .language_version:
      - 2
      - 0
    .max_flat_workgroup_size: 256
    .name:           _ZN7rocprim17ROCPRIM_400000_NS6detail17trampoline_kernelINS0_14default_configENS1_25partition_config_selectorILNS1_17partition_subalgoE0EiNS0_10empty_typeEbEEZZNS1_14partition_implILS5_0ELb0ES3_jN6thrust23THRUST_200600_302600_NS6detail15normal_iteratorINSA_10device_ptrIiEEEEPS6_SG_NS0_5tupleIJSF_SF_EEENSH_IJSG_SG_EEES6_PlJ7is_evenIiEEEE10hipError_tPvRmT3_T4_T5_T6_T7_T9_mT8_P12ihipStream_tbDpT10_ENKUlT_T0_E_clISt17integral_constantIbLb0EES15_IbLb1EEEEDaS11_S12_EUlS11_E_NS1_11comp_targetILNS1_3genE4ELNS1_11target_archE910ELNS1_3gpuE8ELNS1_3repE0EEENS1_30default_config_static_selectorELNS0_4arch9wavefront6targetE1EEEvT1_
    .private_segment_fixed_size: 0
    .sgpr_count:     6
    .sgpr_spill_count: 0
    .symbol:         _ZN7rocprim17ROCPRIM_400000_NS6detail17trampoline_kernelINS0_14default_configENS1_25partition_config_selectorILNS1_17partition_subalgoE0EiNS0_10empty_typeEbEEZZNS1_14partition_implILS5_0ELb0ES3_jN6thrust23THRUST_200600_302600_NS6detail15normal_iteratorINSA_10device_ptrIiEEEEPS6_SG_NS0_5tupleIJSF_SF_EEENSH_IJSG_SG_EEES6_PlJ7is_evenIiEEEE10hipError_tPvRmT3_T4_T5_T6_T7_T9_mT8_P12ihipStream_tbDpT10_ENKUlT_T0_E_clISt17integral_constantIbLb0EES15_IbLb1EEEEDaS11_S12_EUlS11_E_NS1_11comp_targetILNS1_3genE4ELNS1_11target_archE910ELNS1_3gpuE8ELNS1_3repE0EEENS1_30default_config_static_selectorELNS0_4arch9wavefront6targetE1EEEvT1_.kd
    .uniform_work_group_size: 1
    .uses_dynamic_stack: false
    .vgpr_count:     0
    .vgpr_spill_count: 0
    .wavefront_size: 64
  - .agpr_count:     0
    .args:
      - .offset:         0
        .size:           136
        .value_kind:     by_value
    .group_segment_fixed_size: 0
    .kernarg_segment_align: 8
    .kernarg_segment_size: 136
    .language:       OpenCL C
    .language_version:
      - 2
      - 0
    .max_flat_workgroup_size: 256
    .name:           _ZN7rocprim17ROCPRIM_400000_NS6detail17trampoline_kernelINS0_14default_configENS1_25partition_config_selectorILNS1_17partition_subalgoE0EiNS0_10empty_typeEbEEZZNS1_14partition_implILS5_0ELb0ES3_jN6thrust23THRUST_200600_302600_NS6detail15normal_iteratorINSA_10device_ptrIiEEEEPS6_SG_NS0_5tupleIJSF_SF_EEENSH_IJSG_SG_EEES6_PlJ7is_evenIiEEEE10hipError_tPvRmT3_T4_T5_T6_T7_T9_mT8_P12ihipStream_tbDpT10_ENKUlT_T0_E_clISt17integral_constantIbLb0EES15_IbLb1EEEEDaS11_S12_EUlS11_E_NS1_11comp_targetILNS1_3genE3ELNS1_11target_archE908ELNS1_3gpuE7ELNS1_3repE0EEENS1_30default_config_static_selectorELNS0_4arch9wavefront6targetE1EEEvT1_
    .private_segment_fixed_size: 0
    .sgpr_count:     6
    .sgpr_spill_count: 0
    .symbol:         _ZN7rocprim17ROCPRIM_400000_NS6detail17trampoline_kernelINS0_14default_configENS1_25partition_config_selectorILNS1_17partition_subalgoE0EiNS0_10empty_typeEbEEZZNS1_14partition_implILS5_0ELb0ES3_jN6thrust23THRUST_200600_302600_NS6detail15normal_iteratorINSA_10device_ptrIiEEEEPS6_SG_NS0_5tupleIJSF_SF_EEENSH_IJSG_SG_EEES6_PlJ7is_evenIiEEEE10hipError_tPvRmT3_T4_T5_T6_T7_T9_mT8_P12ihipStream_tbDpT10_ENKUlT_T0_E_clISt17integral_constantIbLb0EES15_IbLb1EEEEDaS11_S12_EUlS11_E_NS1_11comp_targetILNS1_3genE3ELNS1_11target_archE908ELNS1_3gpuE7ELNS1_3repE0EEENS1_30default_config_static_selectorELNS0_4arch9wavefront6targetE1EEEvT1_.kd
    .uniform_work_group_size: 1
    .uses_dynamic_stack: false
    .vgpr_count:     0
    .vgpr_spill_count: 0
    .wavefront_size: 64
  - .agpr_count:     0
    .args:
      - .offset:         0
        .size:           136
        .value_kind:     by_value
    .group_segment_fixed_size: 0
    .kernarg_segment_align: 8
    .kernarg_segment_size: 136
    .language:       OpenCL C
    .language_version:
      - 2
      - 0
    .max_flat_workgroup_size: 192
    .name:           _ZN7rocprim17ROCPRIM_400000_NS6detail17trampoline_kernelINS0_14default_configENS1_25partition_config_selectorILNS1_17partition_subalgoE0EiNS0_10empty_typeEbEEZZNS1_14partition_implILS5_0ELb0ES3_jN6thrust23THRUST_200600_302600_NS6detail15normal_iteratorINSA_10device_ptrIiEEEEPS6_SG_NS0_5tupleIJSF_SF_EEENSH_IJSG_SG_EEES6_PlJ7is_evenIiEEEE10hipError_tPvRmT3_T4_T5_T6_T7_T9_mT8_P12ihipStream_tbDpT10_ENKUlT_T0_E_clISt17integral_constantIbLb0EES15_IbLb1EEEEDaS11_S12_EUlS11_E_NS1_11comp_targetILNS1_3genE2ELNS1_11target_archE906ELNS1_3gpuE6ELNS1_3repE0EEENS1_30default_config_static_selectorELNS0_4arch9wavefront6targetE1EEEvT1_
    .private_segment_fixed_size: 0
    .sgpr_count:     6
    .sgpr_spill_count: 0
    .symbol:         _ZN7rocprim17ROCPRIM_400000_NS6detail17trampoline_kernelINS0_14default_configENS1_25partition_config_selectorILNS1_17partition_subalgoE0EiNS0_10empty_typeEbEEZZNS1_14partition_implILS5_0ELb0ES3_jN6thrust23THRUST_200600_302600_NS6detail15normal_iteratorINSA_10device_ptrIiEEEEPS6_SG_NS0_5tupleIJSF_SF_EEENSH_IJSG_SG_EEES6_PlJ7is_evenIiEEEE10hipError_tPvRmT3_T4_T5_T6_T7_T9_mT8_P12ihipStream_tbDpT10_ENKUlT_T0_E_clISt17integral_constantIbLb0EES15_IbLb1EEEEDaS11_S12_EUlS11_E_NS1_11comp_targetILNS1_3genE2ELNS1_11target_archE906ELNS1_3gpuE6ELNS1_3repE0EEENS1_30default_config_static_selectorELNS0_4arch9wavefront6targetE1EEEvT1_.kd
    .uniform_work_group_size: 1
    .uses_dynamic_stack: false
    .vgpr_count:     0
    .vgpr_spill_count: 0
    .wavefront_size: 64
  - .agpr_count:     0
    .args:
      - .offset:         0
        .size:           136
        .value_kind:     by_value
    .group_segment_fixed_size: 0
    .kernarg_segment_align: 8
    .kernarg_segment_size: 136
    .language:       OpenCL C
    .language_version:
      - 2
      - 0
    .max_flat_workgroup_size: 512
    .name:           _ZN7rocprim17ROCPRIM_400000_NS6detail17trampoline_kernelINS0_14default_configENS1_25partition_config_selectorILNS1_17partition_subalgoE0EiNS0_10empty_typeEbEEZZNS1_14partition_implILS5_0ELb0ES3_jN6thrust23THRUST_200600_302600_NS6detail15normal_iteratorINSA_10device_ptrIiEEEEPS6_SG_NS0_5tupleIJSF_SF_EEENSH_IJSG_SG_EEES6_PlJ7is_evenIiEEEE10hipError_tPvRmT3_T4_T5_T6_T7_T9_mT8_P12ihipStream_tbDpT10_ENKUlT_T0_E_clISt17integral_constantIbLb0EES15_IbLb1EEEEDaS11_S12_EUlS11_E_NS1_11comp_targetILNS1_3genE10ELNS1_11target_archE1200ELNS1_3gpuE4ELNS1_3repE0EEENS1_30default_config_static_selectorELNS0_4arch9wavefront6targetE1EEEvT1_
    .private_segment_fixed_size: 0
    .sgpr_count:     6
    .sgpr_spill_count: 0
    .symbol:         _ZN7rocprim17ROCPRIM_400000_NS6detail17trampoline_kernelINS0_14default_configENS1_25partition_config_selectorILNS1_17partition_subalgoE0EiNS0_10empty_typeEbEEZZNS1_14partition_implILS5_0ELb0ES3_jN6thrust23THRUST_200600_302600_NS6detail15normal_iteratorINSA_10device_ptrIiEEEEPS6_SG_NS0_5tupleIJSF_SF_EEENSH_IJSG_SG_EEES6_PlJ7is_evenIiEEEE10hipError_tPvRmT3_T4_T5_T6_T7_T9_mT8_P12ihipStream_tbDpT10_ENKUlT_T0_E_clISt17integral_constantIbLb0EES15_IbLb1EEEEDaS11_S12_EUlS11_E_NS1_11comp_targetILNS1_3genE10ELNS1_11target_archE1200ELNS1_3gpuE4ELNS1_3repE0EEENS1_30default_config_static_selectorELNS0_4arch9wavefront6targetE1EEEvT1_.kd
    .uniform_work_group_size: 1
    .uses_dynamic_stack: false
    .vgpr_count:     0
    .vgpr_spill_count: 0
    .wavefront_size: 64
  - .agpr_count:     0
    .args:
      - .offset:         0
        .size:           136
        .value_kind:     by_value
    .group_segment_fixed_size: 0
    .kernarg_segment_align: 8
    .kernarg_segment_size: 136
    .language:       OpenCL C
    .language_version:
      - 2
      - 0
    .max_flat_workgroup_size: 128
    .name:           _ZN7rocprim17ROCPRIM_400000_NS6detail17trampoline_kernelINS0_14default_configENS1_25partition_config_selectorILNS1_17partition_subalgoE0EiNS0_10empty_typeEbEEZZNS1_14partition_implILS5_0ELb0ES3_jN6thrust23THRUST_200600_302600_NS6detail15normal_iteratorINSA_10device_ptrIiEEEEPS6_SG_NS0_5tupleIJSF_SF_EEENSH_IJSG_SG_EEES6_PlJ7is_evenIiEEEE10hipError_tPvRmT3_T4_T5_T6_T7_T9_mT8_P12ihipStream_tbDpT10_ENKUlT_T0_E_clISt17integral_constantIbLb0EES15_IbLb1EEEEDaS11_S12_EUlS11_E_NS1_11comp_targetILNS1_3genE9ELNS1_11target_archE1100ELNS1_3gpuE3ELNS1_3repE0EEENS1_30default_config_static_selectorELNS0_4arch9wavefront6targetE1EEEvT1_
    .private_segment_fixed_size: 0
    .sgpr_count:     6
    .sgpr_spill_count: 0
    .symbol:         _ZN7rocprim17ROCPRIM_400000_NS6detail17trampoline_kernelINS0_14default_configENS1_25partition_config_selectorILNS1_17partition_subalgoE0EiNS0_10empty_typeEbEEZZNS1_14partition_implILS5_0ELb0ES3_jN6thrust23THRUST_200600_302600_NS6detail15normal_iteratorINSA_10device_ptrIiEEEEPS6_SG_NS0_5tupleIJSF_SF_EEENSH_IJSG_SG_EEES6_PlJ7is_evenIiEEEE10hipError_tPvRmT3_T4_T5_T6_T7_T9_mT8_P12ihipStream_tbDpT10_ENKUlT_T0_E_clISt17integral_constantIbLb0EES15_IbLb1EEEEDaS11_S12_EUlS11_E_NS1_11comp_targetILNS1_3genE9ELNS1_11target_archE1100ELNS1_3gpuE3ELNS1_3repE0EEENS1_30default_config_static_selectorELNS0_4arch9wavefront6targetE1EEEvT1_.kd
    .uniform_work_group_size: 1
    .uses_dynamic_stack: false
    .vgpr_count:     0
    .vgpr_spill_count: 0
    .wavefront_size: 64
  - .agpr_count:     0
    .args:
      - .offset:         0
        .size:           136
        .value_kind:     by_value
    .group_segment_fixed_size: 0
    .kernarg_segment_align: 8
    .kernarg_segment_size: 136
    .language:       OpenCL C
    .language_version:
      - 2
      - 0
    .max_flat_workgroup_size: 512
    .name:           _ZN7rocprim17ROCPRIM_400000_NS6detail17trampoline_kernelINS0_14default_configENS1_25partition_config_selectorILNS1_17partition_subalgoE0EiNS0_10empty_typeEbEEZZNS1_14partition_implILS5_0ELb0ES3_jN6thrust23THRUST_200600_302600_NS6detail15normal_iteratorINSA_10device_ptrIiEEEEPS6_SG_NS0_5tupleIJSF_SF_EEENSH_IJSG_SG_EEES6_PlJ7is_evenIiEEEE10hipError_tPvRmT3_T4_T5_T6_T7_T9_mT8_P12ihipStream_tbDpT10_ENKUlT_T0_E_clISt17integral_constantIbLb0EES15_IbLb1EEEEDaS11_S12_EUlS11_E_NS1_11comp_targetILNS1_3genE8ELNS1_11target_archE1030ELNS1_3gpuE2ELNS1_3repE0EEENS1_30default_config_static_selectorELNS0_4arch9wavefront6targetE1EEEvT1_
    .private_segment_fixed_size: 0
    .sgpr_count:     6
    .sgpr_spill_count: 0
    .symbol:         _ZN7rocprim17ROCPRIM_400000_NS6detail17trampoline_kernelINS0_14default_configENS1_25partition_config_selectorILNS1_17partition_subalgoE0EiNS0_10empty_typeEbEEZZNS1_14partition_implILS5_0ELb0ES3_jN6thrust23THRUST_200600_302600_NS6detail15normal_iteratorINSA_10device_ptrIiEEEEPS6_SG_NS0_5tupleIJSF_SF_EEENSH_IJSG_SG_EEES6_PlJ7is_evenIiEEEE10hipError_tPvRmT3_T4_T5_T6_T7_T9_mT8_P12ihipStream_tbDpT10_ENKUlT_T0_E_clISt17integral_constantIbLb0EES15_IbLb1EEEEDaS11_S12_EUlS11_E_NS1_11comp_targetILNS1_3genE8ELNS1_11target_archE1030ELNS1_3gpuE2ELNS1_3repE0EEENS1_30default_config_static_selectorELNS0_4arch9wavefront6targetE1EEEvT1_.kd
    .uniform_work_group_size: 1
    .uses_dynamic_stack: false
    .vgpr_count:     0
    .vgpr_spill_count: 0
    .wavefront_size: 64
  - .agpr_count:     0
    .args:
      - .offset:         0
        .size:           120
        .value_kind:     by_value
    .group_segment_fixed_size: 0
    .kernarg_segment_align: 8
    .kernarg_segment_size: 120
    .language:       OpenCL C
    .language_version:
      - 2
      - 0
    .max_flat_workgroup_size: 256
    .name:           _ZN7rocprim17ROCPRIM_400000_NS6detail17trampoline_kernelINS0_14default_configENS1_25partition_config_selectorILNS1_17partition_subalgoE0EsNS0_10empty_typeEbEEZZNS1_14partition_implILS5_0ELb0ES3_jN6thrust23THRUST_200600_302600_NS6detail15normal_iteratorINSA_10device_ptrIsEEEEPS6_SG_NS0_5tupleIJSF_SF_EEENSH_IJSG_SG_EEES6_PlJ7is_evenIsEEEE10hipError_tPvRmT3_T4_T5_T6_T7_T9_mT8_P12ihipStream_tbDpT10_ENKUlT_T0_E_clISt17integral_constantIbLb0EES16_EEDaS11_S12_EUlS11_E_NS1_11comp_targetILNS1_3genE0ELNS1_11target_archE4294967295ELNS1_3gpuE0ELNS1_3repE0EEENS1_30default_config_static_selectorELNS0_4arch9wavefront6targetE1EEEvT1_
    .private_segment_fixed_size: 0
    .sgpr_count:     6
    .sgpr_spill_count: 0
    .symbol:         _ZN7rocprim17ROCPRIM_400000_NS6detail17trampoline_kernelINS0_14default_configENS1_25partition_config_selectorILNS1_17partition_subalgoE0EsNS0_10empty_typeEbEEZZNS1_14partition_implILS5_0ELb0ES3_jN6thrust23THRUST_200600_302600_NS6detail15normal_iteratorINSA_10device_ptrIsEEEEPS6_SG_NS0_5tupleIJSF_SF_EEENSH_IJSG_SG_EEES6_PlJ7is_evenIsEEEE10hipError_tPvRmT3_T4_T5_T6_T7_T9_mT8_P12ihipStream_tbDpT10_ENKUlT_T0_E_clISt17integral_constantIbLb0EES16_EEDaS11_S12_EUlS11_E_NS1_11comp_targetILNS1_3genE0ELNS1_11target_archE4294967295ELNS1_3gpuE0ELNS1_3repE0EEENS1_30default_config_static_selectorELNS0_4arch9wavefront6targetE1EEEvT1_.kd
    .uniform_work_group_size: 1
    .uses_dynamic_stack: false
    .vgpr_count:     0
    .vgpr_spill_count: 0
    .wavefront_size: 64
  - .agpr_count:     0
    .args:
      - .offset:         0
        .size:           120
        .value_kind:     by_value
    .group_segment_fixed_size: 30728
    .kernarg_segment_align: 8
    .kernarg_segment_size: 120
    .language:       OpenCL C
    .language_version:
      - 2
      - 0
    .max_flat_workgroup_size: 512
    .name:           _ZN7rocprim17ROCPRIM_400000_NS6detail17trampoline_kernelINS0_14default_configENS1_25partition_config_selectorILNS1_17partition_subalgoE0EsNS0_10empty_typeEbEEZZNS1_14partition_implILS5_0ELb0ES3_jN6thrust23THRUST_200600_302600_NS6detail15normal_iteratorINSA_10device_ptrIsEEEEPS6_SG_NS0_5tupleIJSF_SF_EEENSH_IJSG_SG_EEES6_PlJ7is_evenIsEEEE10hipError_tPvRmT3_T4_T5_T6_T7_T9_mT8_P12ihipStream_tbDpT10_ENKUlT_T0_E_clISt17integral_constantIbLb0EES16_EEDaS11_S12_EUlS11_E_NS1_11comp_targetILNS1_3genE5ELNS1_11target_archE942ELNS1_3gpuE9ELNS1_3repE0EEENS1_30default_config_static_selectorELNS0_4arch9wavefront6targetE1EEEvT1_
    .private_segment_fixed_size: 0
    .sgpr_count:     50
    .sgpr_spill_count: 0
    .symbol:         _ZN7rocprim17ROCPRIM_400000_NS6detail17trampoline_kernelINS0_14default_configENS1_25partition_config_selectorILNS1_17partition_subalgoE0EsNS0_10empty_typeEbEEZZNS1_14partition_implILS5_0ELb0ES3_jN6thrust23THRUST_200600_302600_NS6detail15normal_iteratorINSA_10device_ptrIsEEEEPS6_SG_NS0_5tupleIJSF_SF_EEENSH_IJSG_SG_EEES6_PlJ7is_evenIsEEEE10hipError_tPvRmT3_T4_T5_T6_T7_T9_mT8_P12ihipStream_tbDpT10_ENKUlT_T0_E_clISt17integral_constantIbLb0EES16_EEDaS11_S12_EUlS11_E_NS1_11comp_targetILNS1_3genE5ELNS1_11target_archE942ELNS1_3gpuE9ELNS1_3repE0EEENS1_30default_config_static_selectorELNS0_4arch9wavefront6targetE1EEEvT1_.kd
    .uniform_work_group_size: 1
    .uses_dynamic_stack: false
    .vgpr_count:     120
    .vgpr_spill_count: 0
    .wavefront_size: 64
  - .agpr_count:     0
    .args:
      - .offset:         0
        .size:           120
        .value_kind:     by_value
    .group_segment_fixed_size: 0
    .kernarg_segment_align: 8
    .kernarg_segment_size: 120
    .language:       OpenCL C
    .language_version:
      - 2
      - 0
    .max_flat_workgroup_size: 256
    .name:           _ZN7rocprim17ROCPRIM_400000_NS6detail17trampoline_kernelINS0_14default_configENS1_25partition_config_selectorILNS1_17partition_subalgoE0EsNS0_10empty_typeEbEEZZNS1_14partition_implILS5_0ELb0ES3_jN6thrust23THRUST_200600_302600_NS6detail15normal_iteratorINSA_10device_ptrIsEEEEPS6_SG_NS0_5tupleIJSF_SF_EEENSH_IJSG_SG_EEES6_PlJ7is_evenIsEEEE10hipError_tPvRmT3_T4_T5_T6_T7_T9_mT8_P12ihipStream_tbDpT10_ENKUlT_T0_E_clISt17integral_constantIbLb0EES16_EEDaS11_S12_EUlS11_E_NS1_11comp_targetILNS1_3genE4ELNS1_11target_archE910ELNS1_3gpuE8ELNS1_3repE0EEENS1_30default_config_static_selectorELNS0_4arch9wavefront6targetE1EEEvT1_
    .private_segment_fixed_size: 0
    .sgpr_count:     6
    .sgpr_spill_count: 0
    .symbol:         _ZN7rocprim17ROCPRIM_400000_NS6detail17trampoline_kernelINS0_14default_configENS1_25partition_config_selectorILNS1_17partition_subalgoE0EsNS0_10empty_typeEbEEZZNS1_14partition_implILS5_0ELb0ES3_jN6thrust23THRUST_200600_302600_NS6detail15normal_iteratorINSA_10device_ptrIsEEEEPS6_SG_NS0_5tupleIJSF_SF_EEENSH_IJSG_SG_EEES6_PlJ7is_evenIsEEEE10hipError_tPvRmT3_T4_T5_T6_T7_T9_mT8_P12ihipStream_tbDpT10_ENKUlT_T0_E_clISt17integral_constantIbLb0EES16_EEDaS11_S12_EUlS11_E_NS1_11comp_targetILNS1_3genE4ELNS1_11target_archE910ELNS1_3gpuE8ELNS1_3repE0EEENS1_30default_config_static_selectorELNS0_4arch9wavefront6targetE1EEEvT1_.kd
    .uniform_work_group_size: 1
    .uses_dynamic_stack: false
    .vgpr_count:     0
    .vgpr_spill_count: 0
    .wavefront_size: 64
  - .agpr_count:     0
    .args:
      - .offset:         0
        .size:           120
        .value_kind:     by_value
    .group_segment_fixed_size: 0
    .kernarg_segment_align: 8
    .kernarg_segment_size: 120
    .language:       OpenCL C
    .language_version:
      - 2
      - 0
    .max_flat_workgroup_size: 256
    .name:           _ZN7rocprim17ROCPRIM_400000_NS6detail17trampoline_kernelINS0_14default_configENS1_25partition_config_selectorILNS1_17partition_subalgoE0EsNS0_10empty_typeEbEEZZNS1_14partition_implILS5_0ELb0ES3_jN6thrust23THRUST_200600_302600_NS6detail15normal_iteratorINSA_10device_ptrIsEEEEPS6_SG_NS0_5tupleIJSF_SF_EEENSH_IJSG_SG_EEES6_PlJ7is_evenIsEEEE10hipError_tPvRmT3_T4_T5_T6_T7_T9_mT8_P12ihipStream_tbDpT10_ENKUlT_T0_E_clISt17integral_constantIbLb0EES16_EEDaS11_S12_EUlS11_E_NS1_11comp_targetILNS1_3genE3ELNS1_11target_archE908ELNS1_3gpuE7ELNS1_3repE0EEENS1_30default_config_static_selectorELNS0_4arch9wavefront6targetE1EEEvT1_
    .private_segment_fixed_size: 0
    .sgpr_count:     6
    .sgpr_spill_count: 0
    .symbol:         _ZN7rocprim17ROCPRIM_400000_NS6detail17trampoline_kernelINS0_14default_configENS1_25partition_config_selectorILNS1_17partition_subalgoE0EsNS0_10empty_typeEbEEZZNS1_14partition_implILS5_0ELb0ES3_jN6thrust23THRUST_200600_302600_NS6detail15normal_iteratorINSA_10device_ptrIsEEEEPS6_SG_NS0_5tupleIJSF_SF_EEENSH_IJSG_SG_EEES6_PlJ7is_evenIsEEEE10hipError_tPvRmT3_T4_T5_T6_T7_T9_mT8_P12ihipStream_tbDpT10_ENKUlT_T0_E_clISt17integral_constantIbLb0EES16_EEDaS11_S12_EUlS11_E_NS1_11comp_targetILNS1_3genE3ELNS1_11target_archE908ELNS1_3gpuE7ELNS1_3repE0EEENS1_30default_config_static_selectorELNS0_4arch9wavefront6targetE1EEEvT1_.kd
    .uniform_work_group_size: 1
    .uses_dynamic_stack: false
    .vgpr_count:     0
    .vgpr_spill_count: 0
    .wavefront_size: 64
  - .agpr_count:     0
    .args:
      - .offset:         0
        .size:           120
        .value_kind:     by_value
    .group_segment_fixed_size: 0
    .kernarg_segment_align: 8
    .kernarg_segment_size: 120
    .language:       OpenCL C
    .language_version:
      - 2
      - 0
    .max_flat_workgroup_size: 256
    .name:           _ZN7rocprim17ROCPRIM_400000_NS6detail17trampoline_kernelINS0_14default_configENS1_25partition_config_selectorILNS1_17partition_subalgoE0EsNS0_10empty_typeEbEEZZNS1_14partition_implILS5_0ELb0ES3_jN6thrust23THRUST_200600_302600_NS6detail15normal_iteratorINSA_10device_ptrIsEEEEPS6_SG_NS0_5tupleIJSF_SF_EEENSH_IJSG_SG_EEES6_PlJ7is_evenIsEEEE10hipError_tPvRmT3_T4_T5_T6_T7_T9_mT8_P12ihipStream_tbDpT10_ENKUlT_T0_E_clISt17integral_constantIbLb0EES16_EEDaS11_S12_EUlS11_E_NS1_11comp_targetILNS1_3genE2ELNS1_11target_archE906ELNS1_3gpuE6ELNS1_3repE0EEENS1_30default_config_static_selectorELNS0_4arch9wavefront6targetE1EEEvT1_
    .private_segment_fixed_size: 0
    .sgpr_count:     6
    .sgpr_spill_count: 0
    .symbol:         _ZN7rocprim17ROCPRIM_400000_NS6detail17trampoline_kernelINS0_14default_configENS1_25partition_config_selectorILNS1_17partition_subalgoE0EsNS0_10empty_typeEbEEZZNS1_14partition_implILS5_0ELb0ES3_jN6thrust23THRUST_200600_302600_NS6detail15normal_iteratorINSA_10device_ptrIsEEEEPS6_SG_NS0_5tupleIJSF_SF_EEENSH_IJSG_SG_EEES6_PlJ7is_evenIsEEEE10hipError_tPvRmT3_T4_T5_T6_T7_T9_mT8_P12ihipStream_tbDpT10_ENKUlT_T0_E_clISt17integral_constantIbLb0EES16_EEDaS11_S12_EUlS11_E_NS1_11comp_targetILNS1_3genE2ELNS1_11target_archE906ELNS1_3gpuE6ELNS1_3repE0EEENS1_30default_config_static_selectorELNS0_4arch9wavefront6targetE1EEEvT1_.kd
    .uniform_work_group_size: 1
    .uses_dynamic_stack: false
    .vgpr_count:     0
    .vgpr_spill_count: 0
    .wavefront_size: 64
  - .agpr_count:     0
    .args:
      - .offset:         0
        .size:           120
        .value_kind:     by_value
    .group_segment_fixed_size: 0
    .kernarg_segment_align: 8
    .kernarg_segment_size: 120
    .language:       OpenCL C
    .language_version:
      - 2
      - 0
    .max_flat_workgroup_size: 384
    .name:           _ZN7rocprim17ROCPRIM_400000_NS6detail17trampoline_kernelINS0_14default_configENS1_25partition_config_selectorILNS1_17partition_subalgoE0EsNS0_10empty_typeEbEEZZNS1_14partition_implILS5_0ELb0ES3_jN6thrust23THRUST_200600_302600_NS6detail15normal_iteratorINSA_10device_ptrIsEEEEPS6_SG_NS0_5tupleIJSF_SF_EEENSH_IJSG_SG_EEES6_PlJ7is_evenIsEEEE10hipError_tPvRmT3_T4_T5_T6_T7_T9_mT8_P12ihipStream_tbDpT10_ENKUlT_T0_E_clISt17integral_constantIbLb0EES16_EEDaS11_S12_EUlS11_E_NS1_11comp_targetILNS1_3genE10ELNS1_11target_archE1200ELNS1_3gpuE4ELNS1_3repE0EEENS1_30default_config_static_selectorELNS0_4arch9wavefront6targetE1EEEvT1_
    .private_segment_fixed_size: 0
    .sgpr_count:     6
    .sgpr_spill_count: 0
    .symbol:         _ZN7rocprim17ROCPRIM_400000_NS6detail17trampoline_kernelINS0_14default_configENS1_25partition_config_selectorILNS1_17partition_subalgoE0EsNS0_10empty_typeEbEEZZNS1_14partition_implILS5_0ELb0ES3_jN6thrust23THRUST_200600_302600_NS6detail15normal_iteratorINSA_10device_ptrIsEEEEPS6_SG_NS0_5tupleIJSF_SF_EEENSH_IJSG_SG_EEES6_PlJ7is_evenIsEEEE10hipError_tPvRmT3_T4_T5_T6_T7_T9_mT8_P12ihipStream_tbDpT10_ENKUlT_T0_E_clISt17integral_constantIbLb0EES16_EEDaS11_S12_EUlS11_E_NS1_11comp_targetILNS1_3genE10ELNS1_11target_archE1200ELNS1_3gpuE4ELNS1_3repE0EEENS1_30default_config_static_selectorELNS0_4arch9wavefront6targetE1EEEvT1_.kd
    .uniform_work_group_size: 1
    .uses_dynamic_stack: false
    .vgpr_count:     0
    .vgpr_spill_count: 0
    .wavefront_size: 64
  - .agpr_count:     0
    .args:
      - .offset:         0
        .size:           120
        .value_kind:     by_value
    .group_segment_fixed_size: 0
    .kernarg_segment_align: 8
    .kernarg_segment_size: 120
    .language:       OpenCL C
    .language_version:
      - 2
      - 0
    .max_flat_workgroup_size: 128
    .name:           _ZN7rocprim17ROCPRIM_400000_NS6detail17trampoline_kernelINS0_14default_configENS1_25partition_config_selectorILNS1_17partition_subalgoE0EsNS0_10empty_typeEbEEZZNS1_14partition_implILS5_0ELb0ES3_jN6thrust23THRUST_200600_302600_NS6detail15normal_iteratorINSA_10device_ptrIsEEEEPS6_SG_NS0_5tupleIJSF_SF_EEENSH_IJSG_SG_EEES6_PlJ7is_evenIsEEEE10hipError_tPvRmT3_T4_T5_T6_T7_T9_mT8_P12ihipStream_tbDpT10_ENKUlT_T0_E_clISt17integral_constantIbLb0EES16_EEDaS11_S12_EUlS11_E_NS1_11comp_targetILNS1_3genE9ELNS1_11target_archE1100ELNS1_3gpuE3ELNS1_3repE0EEENS1_30default_config_static_selectorELNS0_4arch9wavefront6targetE1EEEvT1_
    .private_segment_fixed_size: 0
    .sgpr_count:     6
    .sgpr_spill_count: 0
    .symbol:         _ZN7rocprim17ROCPRIM_400000_NS6detail17trampoline_kernelINS0_14default_configENS1_25partition_config_selectorILNS1_17partition_subalgoE0EsNS0_10empty_typeEbEEZZNS1_14partition_implILS5_0ELb0ES3_jN6thrust23THRUST_200600_302600_NS6detail15normal_iteratorINSA_10device_ptrIsEEEEPS6_SG_NS0_5tupleIJSF_SF_EEENSH_IJSG_SG_EEES6_PlJ7is_evenIsEEEE10hipError_tPvRmT3_T4_T5_T6_T7_T9_mT8_P12ihipStream_tbDpT10_ENKUlT_T0_E_clISt17integral_constantIbLb0EES16_EEDaS11_S12_EUlS11_E_NS1_11comp_targetILNS1_3genE9ELNS1_11target_archE1100ELNS1_3gpuE3ELNS1_3repE0EEENS1_30default_config_static_selectorELNS0_4arch9wavefront6targetE1EEEvT1_.kd
    .uniform_work_group_size: 1
    .uses_dynamic_stack: false
    .vgpr_count:     0
    .vgpr_spill_count: 0
    .wavefront_size: 64
  - .agpr_count:     0
    .args:
      - .offset:         0
        .size:           120
        .value_kind:     by_value
    .group_segment_fixed_size: 0
    .kernarg_segment_align: 8
    .kernarg_segment_size: 120
    .language:       OpenCL C
    .language_version:
      - 2
      - 0
    .max_flat_workgroup_size: 128
    .name:           _ZN7rocprim17ROCPRIM_400000_NS6detail17trampoline_kernelINS0_14default_configENS1_25partition_config_selectorILNS1_17partition_subalgoE0EsNS0_10empty_typeEbEEZZNS1_14partition_implILS5_0ELb0ES3_jN6thrust23THRUST_200600_302600_NS6detail15normal_iteratorINSA_10device_ptrIsEEEEPS6_SG_NS0_5tupleIJSF_SF_EEENSH_IJSG_SG_EEES6_PlJ7is_evenIsEEEE10hipError_tPvRmT3_T4_T5_T6_T7_T9_mT8_P12ihipStream_tbDpT10_ENKUlT_T0_E_clISt17integral_constantIbLb0EES16_EEDaS11_S12_EUlS11_E_NS1_11comp_targetILNS1_3genE8ELNS1_11target_archE1030ELNS1_3gpuE2ELNS1_3repE0EEENS1_30default_config_static_selectorELNS0_4arch9wavefront6targetE1EEEvT1_
    .private_segment_fixed_size: 0
    .sgpr_count:     6
    .sgpr_spill_count: 0
    .symbol:         _ZN7rocprim17ROCPRIM_400000_NS6detail17trampoline_kernelINS0_14default_configENS1_25partition_config_selectorILNS1_17partition_subalgoE0EsNS0_10empty_typeEbEEZZNS1_14partition_implILS5_0ELb0ES3_jN6thrust23THRUST_200600_302600_NS6detail15normal_iteratorINSA_10device_ptrIsEEEEPS6_SG_NS0_5tupleIJSF_SF_EEENSH_IJSG_SG_EEES6_PlJ7is_evenIsEEEE10hipError_tPvRmT3_T4_T5_T6_T7_T9_mT8_P12ihipStream_tbDpT10_ENKUlT_T0_E_clISt17integral_constantIbLb0EES16_EEDaS11_S12_EUlS11_E_NS1_11comp_targetILNS1_3genE8ELNS1_11target_archE1030ELNS1_3gpuE2ELNS1_3repE0EEENS1_30default_config_static_selectorELNS0_4arch9wavefront6targetE1EEEvT1_.kd
    .uniform_work_group_size: 1
    .uses_dynamic_stack: false
    .vgpr_count:     0
    .vgpr_spill_count: 0
    .wavefront_size: 64
  - .agpr_count:     0
    .args:
      - .offset:         0
        .size:           136
        .value_kind:     by_value
    .group_segment_fixed_size: 0
    .kernarg_segment_align: 8
    .kernarg_segment_size: 136
    .language:       OpenCL C
    .language_version:
      - 2
      - 0
    .max_flat_workgroup_size: 256
    .name:           _ZN7rocprim17ROCPRIM_400000_NS6detail17trampoline_kernelINS0_14default_configENS1_25partition_config_selectorILNS1_17partition_subalgoE0EsNS0_10empty_typeEbEEZZNS1_14partition_implILS5_0ELb0ES3_jN6thrust23THRUST_200600_302600_NS6detail15normal_iteratorINSA_10device_ptrIsEEEEPS6_SG_NS0_5tupleIJSF_SF_EEENSH_IJSG_SG_EEES6_PlJ7is_evenIsEEEE10hipError_tPvRmT3_T4_T5_T6_T7_T9_mT8_P12ihipStream_tbDpT10_ENKUlT_T0_E_clISt17integral_constantIbLb1EES16_EEDaS11_S12_EUlS11_E_NS1_11comp_targetILNS1_3genE0ELNS1_11target_archE4294967295ELNS1_3gpuE0ELNS1_3repE0EEENS1_30default_config_static_selectorELNS0_4arch9wavefront6targetE1EEEvT1_
    .private_segment_fixed_size: 0
    .sgpr_count:     6
    .sgpr_spill_count: 0
    .symbol:         _ZN7rocprim17ROCPRIM_400000_NS6detail17trampoline_kernelINS0_14default_configENS1_25partition_config_selectorILNS1_17partition_subalgoE0EsNS0_10empty_typeEbEEZZNS1_14partition_implILS5_0ELb0ES3_jN6thrust23THRUST_200600_302600_NS6detail15normal_iteratorINSA_10device_ptrIsEEEEPS6_SG_NS0_5tupleIJSF_SF_EEENSH_IJSG_SG_EEES6_PlJ7is_evenIsEEEE10hipError_tPvRmT3_T4_T5_T6_T7_T9_mT8_P12ihipStream_tbDpT10_ENKUlT_T0_E_clISt17integral_constantIbLb1EES16_EEDaS11_S12_EUlS11_E_NS1_11comp_targetILNS1_3genE0ELNS1_11target_archE4294967295ELNS1_3gpuE0ELNS1_3repE0EEENS1_30default_config_static_selectorELNS0_4arch9wavefront6targetE1EEEvT1_.kd
    .uniform_work_group_size: 1
    .uses_dynamic_stack: false
    .vgpr_count:     0
    .vgpr_spill_count: 0
    .wavefront_size: 64
  - .agpr_count:     0
    .args:
      - .offset:         0
        .size:           136
        .value_kind:     by_value
    .group_segment_fixed_size: 30728
    .kernarg_segment_align: 8
    .kernarg_segment_size: 136
    .language:       OpenCL C
    .language_version:
      - 2
      - 0
    .max_flat_workgroup_size: 512
    .name:           _ZN7rocprim17ROCPRIM_400000_NS6detail17trampoline_kernelINS0_14default_configENS1_25partition_config_selectorILNS1_17partition_subalgoE0EsNS0_10empty_typeEbEEZZNS1_14partition_implILS5_0ELb0ES3_jN6thrust23THRUST_200600_302600_NS6detail15normal_iteratorINSA_10device_ptrIsEEEEPS6_SG_NS0_5tupleIJSF_SF_EEENSH_IJSG_SG_EEES6_PlJ7is_evenIsEEEE10hipError_tPvRmT3_T4_T5_T6_T7_T9_mT8_P12ihipStream_tbDpT10_ENKUlT_T0_E_clISt17integral_constantIbLb1EES16_EEDaS11_S12_EUlS11_E_NS1_11comp_targetILNS1_3genE5ELNS1_11target_archE942ELNS1_3gpuE9ELNS1_3repE0EEENS1_30default_config_static_selectorELNS0_4arch9wavefront6targetE1EEEvT1_
    .private_segment_fixed_size: 0
    .sgpr_count:     50
    .sgpr_spill_count: 0
    .symbol:         _ZN7rocprim17ROCPRIM_400000_NS6detail17trampoline_kernelINS0_14default_configENS1_25partition_config_selectorILNS1_17partition_subalgoE0EsNS0_10empty_typeEbEEZZNS1_14partition_implILS5_0ELb0ES3_jN6thrust23THRUST_200600_302600_NS6detail15normal_iteratorINSA_10device_ptrIsEEEEPS6_SG_NS0_5tupleIJSF_SF_EEENSH_IJSG_SG_EEES6_PlJ7is_evenIsEEEE10hipError_tPvRmT3_T4_T5_T6_T7_T9_mT8_P12ihipStream_tbDpT10_ENKUlT_T0_E_clISt17integral_constantIbLb1EES16_EEDaS11_S12_EUlS11_E_NS1_11comp_targetILNS1_3genE5ELNS1_11target_archE942ELNS1_3gpuE9ELNS1_3repE0EEENS1_30default_config_static_selectorELNS0_4arch9wavefront6targetE1EEEvT1_.kd
    .uniform_work_group_size: 1
    .uses_dynamic_stack: false
    .vgpr_count:     124
    .vgpr_spill_count: 0
    .wavefront_size: 64
  - .agpr_count:     0
    .args:
      - .offset:         0
        .size:           136
        .value_kind:     by_value
    .group_segment_fixed_size: 0
    .kernarg_segment_align: 8
    .kernarg_segment_size: 136
    .language:       OpenCL C
    .language_version:
      - 2
      - 0
    .max_flat_workgroup_size: 256
    .name:           _ZN7rocprim17ROCPRIM_400000_NS6detail17trampoline_kernelINS0_14default_configENS1_25partition_config_selectorILNS1_17partition_subalgoE0EsNS0_10empty_typeEbEEZZNS1_14partition_implILS5_0ELb0ES3_jN6thrust23THRUST_200600_302600_NS6detail15normal_iteratorINSA_10device_ptrIsEEEEPS6_SG_NS0_5tupleIJSF_SF_EEENSH_IJSG_SG_EEES6_PlJ7is_evenIsEEEE10hipError_tPvRmT3_T4_T5_T6_T7_T9_mT8_P12ihipStream_tbDpT10_ENKUlT_T0_E_clISt17integral_constantIbLb1EES16_EEDaS11_S12_EUlS11_E_NS1_11comp_targetILNS1_3genE4ELNS1_11target_archE910ELNS1_3gpuE8ELNS1_3repE0EEENS1_30default_config_static_selectorELNS0_4arch9wavefront6targetE1EEEvT1_
    .private_segment_fixed_size: 0
    .sgpr_count:     6
    .sgpr_spill_count: 0
    .symbol:         _ZN7rocprim17ROCPRIM_400000_NS6detail17trampoline_kernelINS0_14default_configENS1_25partition_config_selectorILNS1_17partition_subalgoE0EsNS0_10empty_typeEbEEZZNS1_14partition_implILS5_0ELb0ES3_jN6thrust23THRUST_200600_302600_NS6detail15normal_iteratorINSA_10device_ptrIsEEEEPS6_SG_NS0_5tupleIJSF_SF_EEENSH_IJSG_SG_EEES6_PlJ7is_evenIsEEEE10hipError_tPvRmT3_T4_T5_T6_T7_T9_mT8_P12ihipStream_tbDpT10_ENKUlT_T0_E_clISt17integral_constantIbLb1EES16_EEDaS11_S12_EUlS11_E_NS1_11comp_targetILNS1_3genE4ELNS1_11target_archE910ELNS1_3gpuE8ELNS1_3repE0EEENS1_30default_config_static_selectorELNS0_4arch9wavefront6targetE1EEEvT1_.kd
    .uniform_work_group_size: 1
    .uses_dynamic_stack: false
    .vgpr_count:     0
    .vgpr_spill_count: 0
    .wavefront_size: 64
  - .agpr_count:     0
    .args:
      - .offset:         0
        .size:           136
        .value_kind:     by_value
    .group_segment_fixed_size: 0
    .kernarg_segment_align: 8
    .kernarg_segment_size: 136
    .language:       OpenCL C
    .language_version:
      - 2
      - 0
    .max_flat_workgroup_size: 256
    .name:           _ZN7rocprim17ROCPRIM_400000_NS6detail17trampoline_kernelINS0_14default_configENS1_25partition_config_selectorILNS1_17partition_subalgoE0EsNS0_10empty_typeEbEEZZNS1_14partition_implILS5_0ELb0ES3_jN6thrust23THRUST_200600_302600_NS6detail15normal_iteratorINSA_10device_ptrIsEEEEPS6_SG_NS0_5tupleIJSF_SF_EEENSH_IJSG_SG_EEES6_PlJ7is_evenIsEEEE10hipError_tPvRmT3_T4_T5_T6_T7_T9_mT8_P12ihipStream_tbDpT10_ENKUlT_T0_E_clISt17integral_constantIbLb1EES16_EEDaS11_S12_EUlS11_E_NS1_11comp_targetILNS1_3genE3ELNS1_11target_archE908ELNS1_3gpuE7ELNS1_3repE0EEENS1_30default_config_static_selectorELNS0_4arch9wavefront6targetE1EEEvT1_
    .private_segment_fixed_size: 0
    .sgpr_count:     6
    .sgpr_spill_count: 0
    .symbol:         _ZN7rocprim17ROCPRIM_400000_NS6detail17trampoline_kernelINS0_14default_configENS1_25partition_config_selectorILNS1_17partition_subalgoE0EsNS0_10empty_typeEbEEZZNS1_14partition_implILS5_0ELb0ES3_jN6thrust23THRUST_200600_302600_NS6detail15normal_iteratorINSA_10device_ptrIsEEEEPS6_SG_NS0_5tupleIJSF_SF_EEENSH_IJSG_SG_EEES6_PlJ7is_evenIsEEEE10hipError_tPvRmT3_T4_T5_T6_T7_T9_mT8_P12ihipStream_tbDpT10_ENKUlT_T0_E_clISt17integral_constantIbLb1EES16_EEDaS11_S12_EUlS11_E_NS1_11comp_targetILNS1_3genE3ELNS1_11target_archE908ELNS1_3gpuE7ELNS1_3repE0EEENS1_30default_config_static_selectorELNS0_4arch9wavefront6targetE1EEEvT1_.kd
    .uniform_work_group_size: 1
    .uses_dynamic_stack: false
    .vgpr_count:     0
    .vgpr_spill_count: 0
    .wavefront_size: 64
  - .agpr_count:     0
    .args:
      - .offset:         0
        .size:           136
        .value_kind:     by_value
    .group_segment_fixed_size: 0
    .kernarg_segment_align: 8
    .kernarg_segment_size: 136
    .language:       OpenCL C
    .language_version:
      - 2
      - 0
    .max_flat_workgroup_size: 256
    .name:           _ZN7rocprim17ROCPRIM_400000_NS6detail17trampoline_kernelINS0_14default_configENS1_25partition_config_selectorILNS1_17partition_subalgoE0EsNS0_10empty_typeEbEEZZNS1_14partition_implILS5_0ELb0ES3_jN6thrust23THRUST_200600_302600_NS6detail15normal_iteratorINSA_10device_ptrIsEEEEPS6_SG_NS0_5tupleIJSF_SF_EEENSH_IJSG_SG_EEES6_PlJ7is_evenIsEEEE10hipError_tPvRmT3_T4_T5_T6_T7_T9_mT8_P12ihipStream_tbDpT10_ENKUlT_T0_E_clISt17integral_constantIbLb1EES16_EEDaS11_S12_EUlS11_E_NS1_11comp_targetILNS1_3genE2ELNS1_11target_archE906ELNS1_3gpuE6ELNS1_3repE0EEENS1_30default_config_static_selectorELNS0_4arch9wavefront6targetE1EEEvT1_
    .private_segment_fixed_size: 0
    .sgpr_count:     6
    .sgpr_spill_count: 0
    .symbol:         _ZN7rocprim17ROCPRIM_400000_NS6detail17trampoline_kernelINS0_14default_configENS1_25partition_config_selectorILNS1_17partition_subalgoE0EsNS0_10empty_typeEbEEZZNS1_14partition_implILS5_0ELb0ES3_jN6thrust23THRUST_200600_302600_NS6detail15normal_iteratorINSA_10device_ptrIsEEEEPS6_SG_NS0_5tupleIJSF_SF_EEENSH_IJSG_SG_EEES6_PlJ7is_evenIsEEEE10hipError_tPvRmT3_T4_T5_T6_T7_T9_mT8_P12ihipStream_tbDpT10_ENKUlT_T0_E_clISt17integral_constantIbLb1EES16_EEDaS11_S12_EUlS11_E_NS1_11comp_targetILNS1_3genE2ELNS1_11target_archE906ELNS1_3gpuE6ELNS1_3repE0EEENS1_30default_config_static_selectorELNS0_4arch9wavefront6targetE1EEEvT1_.kd
    .uniform_work_group_size: 1
    .uses_dynamic_stack: false
    .vgpr_count:     0
    .vgpr_spill_count: 0
    .wavefront_size: 64
  - .agpr_count:     0
    .args:
      - .offset:         0
        .size:           136
        .value_kind:     by_value
    .group_segment_fixed_size: 0
    .kernarg_segment_align: 8
    .kernarg_segment_size: 136
    .language:       OpenCL C
    .language_version:
      - 2
      - 0
    .max_flat_workgroup_size: 384
    .name:           _ZN7rocprim17ROCPRIM_400000_NS6detail17trampoline_kernelINS0_14default_configENS1_25partition_config_selectorILNS1_17partition_subalgoE0EsNS0_10empty_typeEbEEZZNS1_14partition_implILS5_0ELb0ES3_jN6thrust23THRUST_200600_302600_NS6detail15normal_iteratorINSA_10device_ptrIsEEEEPS6_SG_NS0_5tupleIJSF_SF_EEENSH_IJSG_SG_EEES6_PlJ7is_evenIsEEEE10hipError_tPvRmT3_T4_T5_T6_T7_T9_mT8_P12ihipStream_tbDpT10_ENKUlT_T0_E_clISt17integral_constantIbLb1EES16_EEDaS11_S12_EUlS11_E_NS1_11comp_targetILNS1_3genE10ELNS1_11target_archE1200ELNS1_3gpuE4ELNS1_3repE0EEENS1_30default_config_static_selectorELNS0_4arch9wavefront6targetE1EEEvT1_
    .private_segment_fixed_size: 0
    .sgpr_count:     6
    .sgpr_spill_count: 0
    .symbol:         _ZN7rocprim17ROCPRIM_400000_NS6detail17trampoline_kernelINS0_14default_configENS1_25partition_config_selectorILNS1_17partition_subalgoE0EsNS0_10empty_typeEbEEZZNS1_14partition_implILS5_0ELb0ES3_jN6thrust23THRUST_200600_302600_NS6detail15normal_iteratorINSA_10device_ptrIsEEEEPS6_SG_NS0_5tupleIJSF_SF_EEENSH_IJSG_SG_EEES6_PlJ7is_evenIsEEEE10hipError_tPvRmT3_T4_T5_T6_T7_T9_mT8_P12ihipStream_tbDpT10_ENKUlT_T0_E_clISt17integral_constantIbLb1EES16_EEDaS11_S12_EUlS11_E_NS1_11comp_targetILNS1_3genE10ELNS1_11target_archE1200ELNS1_3gpuE4ELNS1_3repE0EEENS1_30default_config_static_selectorELNS0_4arch9wavefront6targetE1EEEvT1_.kd
    .uniform_work_group_size: 1
    .uses_dynamic_stack: false
    .vgpr_count:     0
    .vgpr_spill_count: 0
    .wavefront_size: 64
  - .agpr_count:     0
    .args:
      - .offset:         0
        .size:           136
        .value_kind:     by_value
    .group_segment_fixed_size: 0
    .kernarg_segment_align: 8
    .kernarg_segment_size: 136
    .language:       OpenCL C
    .language_version:
      - 2
      - 0
    .max_flat_workgroup_size: 128
    .name:           _ZN7rocprim17ROCPRIM_400000_NS6detail17trampoline_kernelINS0_14default_configENS1_25partition_config_selectorILNS1_17partition_subalgoE0EsNS0_10empty_typeEbEEZZNS1_14partition_implILS5_0ELb0ES3_jN6thrust23THRUST_200600_302600_NS6detail15normal_iteratorINSA_10device_ptrIsEEEEPS6_SG_NS0_5tupleIJSF_SF_EEENSH_IJSG_SG_EEES6_PlJ7is_evenIsEEEE10hipError_tPvRmT3_T4_T5_T6_T7_T9_mT8_P12ihipStream_tbDpT10_ENKUlT_T0_E_clISt17integral_constantIbLb1EES16_EEDaS11_S12_EUlS11_E_NS1_11comp_targetILNS1_3genE9ELNS1_11target_archE1100ELNS1_3gpuE3ELNS1_3repE0EEENS1_30default_config_static_selectorELNS0_4arch9wavefront6targetE1EEEvT1_
    .private_segment_fixed_size: 0
    .sgpr_count:     6
    .sgpr_spill_count: 0
    .symbol:         _ZN7rocprim17ROCPRIM_400000_NS6detail17trampoline_kernelINS0_14default_configENS1_25partition_config_selectorILNS1_17partition_subalgoE0EsNS0_10empty_typeEbEEZZNS1_14partition_implILS5_0ELb0ES3_jN6thrust23THRUST_200600_302600_NS6detail15normal_iteratorINSA_10device_ptrIsEEEEPS6_SG_NS0_5tupleIJSF_SF_EEENSH_IJSG_SG_EEES6_PlJ7is_evenIsEEEE10hipError_tPvRmT3_T4_T5_T6_T7_T9_mT8_P12ihipStream_tbDpT10_ENKUlT_T0_E_clISt17integral_constantIbLb1EES16_EEDaS11_S12_EUlS11_E_NS1_11comp_targetILNS1_3genE9ELNS1_11target_archE1100ELNS1_3gpuE3ELNS1_3repE0EEENS1_30default_config_static_selectorELNS0_4arch9wavefront6targetE1EEEvT1_.kd
    .uniform_work_group_size: 1
    .uses_dynamic_stack: false
    .vgpr_count:     0
    .vgpr_spill_count: 0
    .wavefront_size: 64
  - .agpr_count:     0
    .args:
      - .offset:         0
        .size:           136
        .value_kind:     by_value
    .group_segment_fixed_size: 0
    .kernarg_segment_align: 8
    .kernarg_segment_size: 136
    .language:       OpenCL C
    .language_version:
      - 2
      - 0
    .max_flat_workgroup_size: 128
    .name:           _ZN7rocprim17ROCPRIM_400000_NS6detail17trampoline_kernelINS0_14default_configENS1_25partition_config_selectorILNS1_17partition_subalgoE0EsNS0_10empty_typeEbEEZZNS1_14partition_implILS5_0ELb0ES3_jN6thrust23THRUST_200600_302600_NS6detail15normal_iteratorINSA_10device_ptrIsEEEEPS6_SG_NS0_5tupleIJSF_SF_EEENSH_IJSG_SG_EEES6_PlJ7is_evenIsEEEE10hipError_tPvRmT3_T4_T5_T6_T7_T9_mT8_P12ihipStream_tbDpT10_ENKUlT_T0_E_clISt17integral_constantIbLb1EES16_EEDaS11_S12_EUlS11_E_NS1_11comp_targetILNS1_3genE8ELNS1_11target_archE1030ELNS1_3gpuE2ELNS1_3repE0EEENS1_30default_config_static_selectorELNS0_4arch9wavefront6targetE1EEEvT1_
    .private_segment_fixed_size: 0
    .sgpr_count:     6
    .sgpr_spill_count: 0
    .symbol:         _ZN7rocprim17ROCPRIM_400000_NS6detail17trampoline_kernelINS0_14default_configENS1_25partition_config_selectorILNS1_17partition_subalgoE0EsNS0_10empty_typeEbEEZZNS1_14partition_implILS5_0ELb0ES3_jN6thrust23THRUST_200600_302600_NS6detail15normal_iteratorINSA_10device_ptrIsEEEEPS6_SG_NS0_5tupleIJSF_SF_EEENSH_IJSG_SG_EEES6_PlJ7is_evenIsEEEE10hipError_tPvRmT3_T4_T5_T6_T7_T9_mT8_P12ihipStream_tbDpT10_ENKUlT_T0_E_clISt17integral_constantIbLb1EES16_EEDaS11_S12_EUlS11_E_NS1_11comp_targetILNS1_3genE8ELNS1_11target_archE1030ELNS1_3gpuE2ELNS1_3repE0EEENS1_30default_config_static_selectorELNS0_4arch9wavefront6targetE1EEEvT1_.kd
    .uniform_work_group_size: 1
    .uses_dynamic_stack: false
    .vgpr_count:     0
    .vgpr_spill_count: 0
    .wavefront_size: 64
  - .agpr_count:     0
    .args:
      - .offset:         0
        .size:           120
        .value_kind:     by_value
    .group_segment_fixed_size: 0
    .kernarg_segment_align: 8
    .kernarg_segment_size: 120
    .language:       OpenCL C
    .language_version:
      - 2
      - 0
    .max_flat_workgroup_size: 256
    .name:           _ZN7rocprim17ROCPRIM_400000_NS6detail17trampoline_kernelINS0_14default_configENS1_25partition_config_selectorILNS1_17partition_subalgoE0EsNS0_10empty_typeEbEEZZNS1_14partition_implILS5_0ELb0ES3_jN6thrust23THRUST_200600_302600_NS6detail15normal_iteratorINSA_10device_ptrIsEEEEPS6_SG_NS0_5tupleIJSF_SF_EEENSH_IJSG_SG_EEES6_PlJ7is_evenIsEEEE10hipError_tPvRmT3_T4_T5_T6_T7_T9_mT8_P12ihipStream_tbDpT10_ENKUlT_T0_E_clISt17integral_constantIbLb1EES15_IbLb0EEEEDaS11_S12_EUlS11_E_NS1_11comp_targetILNS1_3genE0ELNS1_11target_archE4294967295ELNS1_3gpuE0ELNS1_3repE0EEENS1_30default_config_static_selectorELNS0_4arch9wavefront6targetE1EEEvT1_
    .private_segment_fixed_size: 0
    .sgpr_count:     6
    .sgpr_spill_count: 0
    .symbol:         _ZN7rocprim17ROCPRIM_400000_NS6detail17trampoline_kernelINS0_14default_configENS1_25partition_config_selectorILNS1_17partition_subalgoE0EsNS0_10empty_typeEbEEZZNS1_14partition_implILS5_0ELb0ES3_jN6thrust23THRUST_200600_302600_NS6detail15normal_iteratorINSA_10device_ptrIsEEEEPS6_SG_NS0_5tupleIJSF_SF_EEENSH_IJSG_SG_EEES6_PlJ7is_evenIsEEEE10hipError_tPvRmT3_T4_T5_T6_T7_T9_mT8_P12ihipStream_tbDpT10_ENKUlT_T0_E_clISt17integral_constantIbLb1EES15_IbLb0EEEEDaS11_S12_EUlS11_E_NS1_11comp_targetILNS1_3genE0ELNS1_11target_archE4294967295ELNS1_3gpuE0ELNS1_3repE0EEENS1_30default_config_static_selectorELNS0_4arch9wavefront6targetE1EEEvT1_.kd
    .uniform_work_group_size: 1
    .uses_dynamic_stack: false
    .vgpr_count:     0
    .vgpr_spill_count: 0
    .wavefront_size: 64
  - .agpr_count:     0
    .args:
      - .offset:         0
        .size:           120
        .value_kind:     by_value
    .group_segment_fixed_size: 30728
    .kernarg_segment_align: 8
    .kernarg_segment_size: 120
    .language:       OpenCL C
    .language_version:
      - 2
      - 0
    .max_flat_workgroup_size: 512
    .name:           _ZN7rocprim17ROCPRIM_400000_NS6detail17trampoline_kernelINS0_14default_configENS1_25partition_config_selectorILNS1_17partition_subalgoE0EsNS0_10empty_typeEbEEZZNS1_14partition_implILS5_0ELb0ES3_jN6thrust23THRUST_200600_302600_NS6detail15normal_iteratorINSA_10device_ptrIsEEEEPS6_SG_NS0_5tupleIJSF_SF_EEENSH_IJSG_SG_EEES6_PlJ7is_evenIsEEEE10hipError_tPvRmT3_T4_T5_T6_T7_T9_mT8_P12ihipStream_tbDpT10_ENKUlT_T0_E_clISt17integral_constantIbLb1EES15_IbLb0EEEEDaS11_S12_EUlS11_E_NS1_11comp_targetILNS1_3genE5ELNS1_11target_archE942ELNS1_3gpuE9ELNS1_3repE0EEENS1_30default_config_static_selectorELNS0_4arch9wavefront6targetE1EEEvT1_
    .private_segment_fixed_size: 0
    .sgpr_count:     50
    .sgpr_spill_count: 0
    .symbol:         _ZN7rocprim17ROCPRIM_400000_NS6detail17trampoline_kernelINS0_14default_configENS1_25partition_config_selectorILNS1_17partition_subalgoE0EsNS0_10empty_typeEbEEZZNS1_14partition_implILS5_0ELb0ES3_jN6thrust23THRUST_200600_302600_NS6detail15normal_iteratorINSA_10device_ptrIsEEEEPS6_SG_NS0_5tupleIJSF_SF_EEENSH_IJSG_SG_EEES6_PlJ7is_evenIsEEEE10hipError_tPvRmT3_T4_T5_T6_T7_T9_mT8_P12ihipStream_tbDpT10_ENKUlT_T0_E_clISt17integral_constantIbLb1EES15_IbLb0EEEEDaS11_S12_EUlS11_E_NS1_11comp_targetILNS1_3genE5ELNS1_11target_archE942ELNS1_3gpuE9ELNS1_3repE0EEENS1_30default_config_static_selectorELNS0_4arch9wavefront6targetE1EEEvT1_.kd
    .uniform_work_group_size: 1
    .uses_dynamic_stack: false
    .vgpr_count:     120
    .vgpr_spill_count: 0
    .wavefront_size: 64
  - .agpr_count:     0
    .args:
      - .offset:         0
        .size:           120
        .value_kind:     by_value
    .group_segment_fixed_size: 0
    .kernarg_segment_align: 8
    .kernarg_segment_size: 120
    .language:       OpenCL C
    .language_version:
      - 2
      - 0
    .max_flat_workgroup_size: 256
    .name:           _ZN7rocprim17ROCPRIM_400000_NS6detail17trampoline_kernelINS0_14default_configENS1_25partition_config_selectorILNS1_17partition_subalgoE0EsNS0_10empty_typeEbEEZZNS1_14partition_implILS5_0ELb0ES3_jN6thrust23THRUST_200600_302600_NS6detail15normal_iteratorINSA_10device_ptrIsEEEEPS6_SG_NS0_5tupleIJSF_SF_EEENSH_IJSG_SG_EEES6_PlJ7is_evenIsEEEE10hipError_tPvRmT3_T4_T5_T6_T7_T9_mT8_P12ihipStream_tbDpT10_ENKUlT_T0_E_clISt17integral_constantIbLb1EES15_IbLb0EEEEDaS11_S12_EUlS11_E_NS1_11comp_targetILNS1_3genE4ELNS1_11target_archE910ELNS1_3gpuE8ELNS1_3repE0EEENS1_30default_config_static_selectorELNS0_4arch9wavefront6targetE1EEEvT1_
    .private_segment_fixed_size: 0
    .sgpr_count:     6
    .sgpr_spill_count: 0
    .symbol:         _ZN7rocprim17ROCPRIM_400000_NS6detail17trampoline_kernelINS0_14default_configENS1_25partition_config_selectorILNS1_17partition_subalgoE0EsNS0_10empty_typeEbEEZZNS1_14partition_implILS5_0ELb0ES3_jN6thrust23THRUST_200600_302600_NS6detail15normal_iteratorINSA_10device_ptrIsEEEEPS6_SG_NS0_5tupleIJSF_SF_EEENSH_IJSG_SG_EEES6_PlJ7is_evenIsEEEE10hipError_tPvRmT3_T4_T5_T6_T7_T9_mT8_P12ihipStream_tbDpT10_ENKUlT_T0_E_clISt17integral_constantIbLb1EES15_IbLb0EEEEDaS11_S12_EUlS11_E_NS1_11comp_targetILNS1_3genE4ELNS1_11target_archE910ELNS1_3gpuE8ELNS1_3repE0EEENS1_30default_config_static_selectorELNS0_4arch9wavefront6targetE1EEEvT1_.kd
    .uniform_work_group_size: 1
    .uses_dynamic_stack: false
    .vgpr_count:     0
    .vgpr_spill_count: 0
    .wavefront_size: 64
  - .agpr_count:     0
    .args:
      - .offset:         0
        .size:           120
        .value_kind:     by_value
    .group_segment_fixed_size: 0
    .kernarg_segment_align: 8
    .kernarg_segment_size: 120
    .language:       OpenCL C
    .language_version:
      - 2
      - 0
    .max_flat_workgroup_size: 256
    .name:           _ZN7rocprim17ROCPRIM_400000_NS6detail17trampoline_kernelINS0_14default_configENS1_25partition_config_selectorILNS1_17partition_subalgoE0EsNS0_10empty_typeEbEEZZNS1_14partition_implILS5_0ELb0ES3_jN6thrust23THRUST_200600_302600_NS6detail15normal_iteratorINSA_10device_ptrIsEEEEPS6_SG_NS0_5tupleIJSF_SF_EEENSH_IJSG_SG_EEES6_PlJ7is_evenIsEEEE10hipError_tPvRmT3_T4_T5_T6_T7_T9_mT8_P12ihipStream_tbDpT10_ENKUlT_T0_E_clISt17integral_constantIbLb1EES15_IbLb0EEEEDaS11_S12_EUlS11_E_NS1_11comp_targetILNS1_3genE3ELNS1_11target_archE908ELNS1_3gpuE7ELNS1_3repE0EEENS1_30default_config_static_selectorELNS0_4arch9wavefront6targetE1EEEvT1_
    .private_segment_fixed_size: 0
    .sgpr_count:     6
    .sgpr_spill_count: 0
    .symbol:         _ZN7rocprim17ROCPRIM_400000_NS6detail17trampoline_kernelINS0_14default_configENS1_25partition_config_selectorILNS1_17partition_subalgoE0EsNS0_10empty_typeEbEEZZNS1_14partition_implILS5_0ELb0ES3_jN6thrust23THRUST_200600_302600_NS6detail15normal_iteratorINSA_10device_ptrIsEEEEPS6_SG_NS0_5tupleIJSF_SF_EEENSH_IJSG_SG_EEES6_PlJ7is_evenIsEEEE10hipError_tPvRmT3_T4_T5_T6_T7_T9_mT8_P12ihipStream_tbDpT10_ENKUlT_T0_E_clISt17integral_constantIbLb1EES15_IbLb0EEEEDaS11_S12_EUlS11_E_NS1_11comp_targetILNS1_3genE3ELNS1_11target_archE908ELNS1_3gpuE7ELNS1_3repE0EEENS1_30default_config_static_selectorELNS0_4arch9wavefront6targetE1EEEvT1_.kd
    .uniform_work_group_size: 1
    .uses_dynamic_stack: false
    .vgpr_count:     0
    .vgpr_spill_count: 0
    .wavefront_size: 64
  - .agpr_count:     0
    .args:
      - .offset:         0
        .size:           120
        .value_kind:     by_value
    .group_segment_fixed_size: 0
    .kernarg_segment_align: 8
    .kernarg_segment_size: 120
    .language:       OpenCL C
    .language_version:
      - 2
      - 0
    .max_flat_workgroup_size: 256
    .name:           _ZN7rocprim17ROCPRIM_400000_NS6detail17trampoline_kernelINS0_14default_configENS1_25partition_config_selectorILNS1_17partition_subalgoE0EsNS0_10empty_typeEbEEZZNS1_14partition_implILS5_0ELb0ES3_jN6thrust23THRUST_200600_302600_NS6detail15normal_iteratorINSA_10device_ptrIsEEEEPS6_SG_NS0_5tupleIJSF_SF_EEENSH_IJSG_SG_EEES6_PlJ7is_evenIsEEEE10hipError_tPvRmT3_T4_T5_T6_T7_T9_mT8_P12ihipStream_tbDpT10_ENKUlT_T0_E_clISt17integral_constantIbLb1EES15_IbLb0EEEEDaS11_S12_EUlS11_E_NS1_11comp_targetILNS1_3genE2ELNS1_11target_archE906ELNS1_3gpuE6ELNS1_3repE0EEENS1_30default_config_static_selectorELNS0_4arch9wavefront6targetE1EEEvT1_
    .private_segment_fixed_size: 0
    .sgpr_count:     6
    .sgpr_spill_count: 0
    .symbol:         _ZN7rocprim17ROCPRIM_400000_NS6detail17trampoline_kernelINS0_14default_configENS1_25partition_config_selectorILNS1_17partition_subalgoE0EsNS0_10empty_typeEbEEZZNS1_14partition_implILS5_0ELb0ES3_jN6thrust23THRUST_200600_302600_NS6detail15normal_iteratorINSA_10device_ptrIsEEEEPS6_SG_NS0_5tupleIJSF_SF_EEENSH_IJSG_SG_EEES6_PlJ7is_evenIsEEEE10hipError_tPvRmT3_T4_T5_T6_T7_T9_mT8_P12ihipStream_tbDpT10_ENKUlT_T0_E_clISt17integral_constantIbLb1EES15_IbLb0EEEEDaS11_S12_EUlS11_E_NS1_11comp_targetILNS1_3genE2ELNS1_11target_archE906ELNS1_3gpuE6ELNS1_3repE0EEENS1_30default_config_static_selectorELNS0_4arch9wavefront6targetE1EEEvT1_.kd
    .uniform_work_group_size: 1
    .uses_dynamic_stack: false
    .vgpr_count:     0
    .vgpr_spill_count: 0
    .wavefront_size: 64
  - .agpr_count:     0
    .args:
      - .offset:         0
        .size:           120
        .value_kind:     by_value
    .group_segment_fixed_size: 0
    .kernarg_segment_align: 8
    .kernarg_segment_size: 120
    .language:       OpenCL C
    .language_version:
      - 2
      - 0
    .max_flat_workgroup_size: 384
    .name:           _ZN7rocprim17ROCPRIM_400000_NS6detail17trampoline_kernelINS0_14default_configENS1_25partition_config_selectorILNS1_17partition_subalgoE0EsNS0_10empty_typeEbEEZZNS1_14partition_implILS5_0ELb0ES3_jN6thrust23THRUST_200600_302600_NS6detail15normal_iteratorINSA_10device_ptrIsEEEEPS6_SG_NS0_5tupleIJSF_SF_EEENSH_IJSG_SG_EEES6_PlJ7is_evenIsEEEE10hipError_tPvRmT3_T4_T5_T6_T7_T9_mT8_P12ihipStream_tbDpT10_ENKUlT_T0_E_clISt17integral_constantIbLb1EES15_IbLb0EEEEDaS11_S12_EUlS11_E_NS1_11comp_targetILNS1_3genE10ELNS1_11target_archE1200ELNS1_3gpuE4ELNS1_3repE0EEENS1_30default_config_static_selectorELNS0_4arch9wavefront6targetE1EEEvT1_
    .private_segment_fixed_size: 0
    .sgpr_count:     6
    .sgpr_spill_count: 0
    .symbol:         _ZN7rocprim17ROCPRIM_400000_NS6detail17trampoline_kernelINS0_14default_configENS1_25partition_config_selectorILNS1_17partition_subalgoE0EsNS0_10empty_typeEbEEZZNS1_14partition_implILS5_0ELb0ES3_jN6thrust23THRUST_200600_302600_NS6detail15normal_iteratorINSA_10device_ptrIsEEEEPS6_SG_NS0_5tupleIJSF_SF_EEENSH_IJSG_SG_EEES6_PlJ7is_evenIsEEEE10hipError_tPvRmT3_T4_T5_T6_T7_T9_mT8_P12ihipStream_tbDpT10_ENKUlT_T0_E_clISt17integral_constantIbLb1EES15_IbLb0EEEEDaS11_S12_EUlS11_E_NS1_11comp_targetILNS1_3genE10ELNS1_11target_archE1200ELNS1_3gpuE4ELNS1_3repE0EEENS1_30default_config_static_selectorELNS0_4arch9wavefront6targetE1EEEvT1_.kd
    .uniform_work_group_size: 1
    .uses_dynamic_stack: false
    .vgpr_count:     0
    .vgpr_spill_count: 0
    .wavefront_size: 64
  - .agpr_count:     0
    .args:
      - .offset:         0
        .size:           120
        .value_kind:     by_value
    .group_segment_fixed_size: 0
    .kernarg_segment_align: 8
    .kernarg_segment_size: 120
    .language:       OpenCL C
    .language_version:
      - 2
      - 0
    .max_flat_workgroup_size: 128
    .name:           _ZN7rocprim17ROCPRIM_400000_NS6detail17trampoline_kernelINS0_14default_configENS1_25partition_config_selectorILNS1_17partition_subalgoE0EsNS0_10empty_typeEbEEZZNS1_14partition_implILS5_0ELb0ES3_jN6thrust23THRUST_200600_302600_NS6detail15normal_iteratorINSA_10device_ptrIsEEEEPS6_SG_NS0_5tupleIJSF_SF_EEENSH_IJSG_SG_EEES6_PlJ7is_evenIsEEEE10hipError_tPvRmT3_T4_T5_T6_T7_T9_mT8_P12ihipStream_tbDpT10_ENKUlT_T0_E_clISt17integral_constantIbLb1EES15_IbLb0EEEEDaS11_S12_EUlS11_E_NS1_11comp_targetILNS1_3genE9ELNS1_11target_archE1100ELNS1_3gpuE3ELNS1_3repE0EEENS1_30default_config_static_selectorELNS0_4arch9wavefront6targetE1EEEvT1_
    .private_segment_fixed_size: 0
    .sgpr_count:     6
    .sgpr_spill_count: 0
    .symbol:         _ZN7rocprim17ROCPRIM_400000_NS6detail17trampoline_kernelINS0_14default_configENS1_25partition_config_selectorILNS1_17partition_subalgoE0EsNS0_10empty_typeEbEEZZNS1_14partition_implILS5_0ELb0ES3_jN6thrust23THRUST_200600_302600_NS6detail15normal_iteratorINSA_10device_ptrIsEEEEPS6_SG_NS0_5tupleIJSF_SF_EEENSH_IJSG_SG_EEES6_PlJ7is_evenIsEEEE10hipError_tPvRmT3_T4_T5_T6_T7_T9_mT8_P12ihipStream_tbDpT10_ENKUlT_T0_E_clISt17integral_constantIbLb1EES15_IbLb0EEEEDaS11_S12_EUlS11_E_NS1_11comp_targetILNS1_3genE9ELNS1_11target_archE1100ELNS1_3gpuE3ELNS1_3repE0EEENS1_30default_config_static_selectorELNS0_4arch9wavefront6targetE1EEEvT1_.kd
    .uniform_work_group_size: 1
    .uses_dynamic_stack: false
    .vgpr_count:     0
    .vgpr_spill_count: 0
    .wavefront_size: 64
  - .agpr_count:     0
    .args:
      - .offset:         0
        .size:           120
        .value_kind:     by_value
    .group_segment_fixed_size: 0
    .kernarg_segment_align: 8
    .kernarg_segment_size: 120
    .language:       OpenCL C
    .language_version:
      - 2
      - 0
    .max_flat_workgroup_size: 128
    .name:           _ZN7rocprim17ROCPRIM_400000_NS6detail17trampoline_kernelINS0_14default_configENS1_25partition_config_selectorILNS1_17partition_subalgoE0EsNS0_10empty_typeEbEEZZNS1_14partition_implILS5_0ELb0ES3_jN6thrust23THRUST_200600_302600_NS6detail15normal_iteratorINSA_10device_ptrIsEEEEPS6_SG_NS0_5tupleIJSF_SF_EEENSH_IJSG_SG_EEES6_PlJ7is_evenIsEEEE10hipError_tPvRmT3_T4_T5_T6_T7_T9_mT8_P12ihipStream_tbDpT10_ENKUlT_T0_E_clISt17integral_constantIbLb1EES15_IbLb0EEEEDaS11_S12_EUlS11_E_NS1_11comp_targetILNS1_3genE8ELNS1_11target_archE1030ELNS1_3gpuE2ELNS1_3repE0EEENS1_30default_config_static_selectorELNS0_4arch9wavefront6targetE1EEEvT1_
    .private_segment_fixed_size: 0
    .sgpr_count:     6
    .sgpr_spill_count: 0
    .symbol:         _ZN7rocprim17ROCPRIM_400000_NS6detail17trampoline_kernelINS0_14default_configENS1_25partition_config_selectorILNS1_17partition_subalgoE0EsNS0_10empty_typeEbEEZZNS1_14partition_implILS5_0ELb0ES3_jN6thrust23THRUST_200600_302600_NS6detail15normal_iteratorINSA_10device_ptrIsEEEEPS6_SG_NS0_5tupleIJSF_SF_EEENSH_IJSG_SG_EEES6_PlJ7is_evenIsEEEE10hipError_tPvRmT3_T4_T5_T6_T7_T9_mT8_P12ihipStream_tbDpT10_ENKUlT_T0_E_clISt17integral_constantIbLb1EES15_IbLb0EEEEDaS11_S12_EUlS11_E_NS1_11comp_targetILNS1_3genE8ELNS1_11target_archE1030ELNS1_3gpuE2ELNS1_3repE0EEENS1_30default_config_static_selectorELNS0_4arch9wavefront6targetE1EEEvT1_.kd
    .uniform_work_group_size: 1
    .uses_dynamic_stack: false
    .vgpr_count:     0
    .vgpr_spill_count: 0
    .wavefront_size: 64
  - .agpr_count:     0
    .args:
      - .offset:         0
        .size:           136
        .value_kind:     by_value
    .group_segment_fixed_size: 0
    .kernarg_segment_align: 8
    .kernarg_segment_size: 136
    .language:       OpenCL C
    .language_version:
      - 2
      - 0
    .max_flat_workgroup_size: 256
    .name:           _ZN7rocprim17ROCPRIM_400000_NS6detail17trampoline_kernelINS0_14default_configENS1_25partition_config_selectorILNS1_17partition_subalgoE0EsNS0_10empty_typeEbEEZZNS1_14partition_implILS5_0ELb0ES3_jN6thrust23THRUST_200600_302600_NS6detail15normal_iteratorINSA_10device_ptrIsEEEEPS6_SG_NS0_5tupleIJSF_SF_EEENSH_IJSG_SG_EEES6_PlJ7is_evenIsEEEE10hipError_tPvRmT3_T4_T5_T6_T7_T9_mT8_P12ihipStream_tbDpT10_ENKUlT_T0_E_clISt17integral_constantIbLb0EES15_IbLb1EEEEDaS11_S12_EUlS11_E_NS1_11comp_targetILNS1_3genE0ELNS1_11target_archE4294967295ELNS1_3gpuE0ELNS1_3repE0EEENS1_30default_config_static_selectorELNS0_4arch9wavefront6targetE1EEEvT1_
    .private_segment_fixed_size: 0
    .sgpr_count:     6
    .sgpr_spill_count: 0
    .symbol:         _ZN7rocprim17ROCPRIM_400000_NS6detail17trampoline_kernelINS0_14default_configENS1_25partition_config_selectorILNS1_17partition_subalgoE0EsNS0_10empty_typeEbEEZZNS1_14partition_implILS5_0ELb0ES3_jN6thrust23THRUST_200600_302600_NS6detail15normal_iteratorINSA_10device_ptrIsEEEEPS6_SG_NS0_5tupleIJSF_SF_EEENSH_IJSG_SG_EEES6_PlJ7is_evenIsEEEE10hipError_tPvRmT3_T4_T5_T6_T7_T9_mT8_P12ihipStream_tbDpT10_ENKUlT_T0_E_clISt17integral_constantIbLb0EES15_IbLb1EEEEDaS11_S12_EUlS11_E_NS1_11comp_targetILNS1_3genE0ELNS1_11target_archE4294967295ELNS1_3gpuE0ELNS1_3repE0EEENS1_30default_config_static_selectorELNS0_4arch9wavefront6targetE1EEEvT1_.kd
    .uniform_work_group_size: 1
    .uses_dynamic_stack: false
    .vgpr_count:     0
    .vgpr_spill_count: 0
    .wavefront_size: 64
  - .agpr_count:     0
    .args:
      - .offset:         0
        .size:           136
        .value_kind:     by_value
    .group_segment_fixed_size: 30728
    .kernarg_segment_align: 8
    .kernarg_segment_size: 136
    .language:       OpenCL C
    .language_version:
      - 2
      - 0
    .max_flat_workgroup_size: 512
    .name:           _ZN7rocprim17ROCPRIM_400000_NS6detail17trampoline_kernelINS0_14default_configENS1_25partition_config_selectorILNS1_17partition_subalgoE0EsNS0_10empty_typeEbEEZZNS1_14partition_implILS5_0ELb0ES3_jN6thrust23THRUST_200600_302600_NS6detail15normal_iteratorINSA_10device_ptrIsEEEEPS6_SG_NS0_5tupleIJSF_SF_EEENSH_IJSG_SG_EEES6_PlJ7is_evenIsEEEE10hipError_tPvRmT3_T4_T5_T6_T7_T9_mT8_P12ihipStream_tbDpT10_ENKUlT_T0_E_clISt17integral_constantIbLb0EES15_IbLb1EEEEDaS11_S12_EUlS11_E_NS1_11comp_targetILNS1_3genE5ELNS1_11target_archE942ELNS1_3gpuE9ELNS1_3repE0EEENS1_30default_config_static_selectorELNS0_4arch9wavefront6targetE1EEEvT1_
    .private_segment_fixed_size: 0
    .sgpr_count:     50
    .sgpr_spill_count: 0
    .symbol:         _ZN7rocprim17ROCPRIM_400000_NS6detail17trampoline_kernelINS0_14default_configENS1_25partition_config_selectorILNS1_17partition_subalgoE0EsNS0_10empty_typeEbEEZZNS1_14partition_implILS5_0ELb0ES3_jN6thrust23THRUST_200600_302600_NS6detail15normal_iteratorINSA_10device_ptrIsEEEEPS6_SG_NS0_5tupleIJSF_SF_EEENSH_IJSG_SG_EEES6_PlJ7is_evenIsEEEE10hipError_tPvRmT3_T4_T5_T6_T7_T9_mT8_P12ihipStream_tbDpT10_ENKUlT_T0_E_clISt17integral_constantIbLb0EES15_IbLb1EEEEDaS11_S12_EUlS11_E_NS1_11comp_targetILNS1_3genE5ELNS1_11target_archE942ELNS1_3gpuE9ELNS1_3repE0EEENS1_30default_config_static_selectorELNS0_4arch9wavefront6targetE1EEEvT1_.kd
    .uniform_work_group_size: 1
    .uses_dynamic_stack: false
    .vgpr_count:     124
    .vgpr_spill_count: 0
    .wavefront_size: 64
  - .agpr_count:     0
    .args:
      - .offset:         0
        .size:           136
        .value_kind:     by_value
    .group_segment_fixed_size: 0
    .kernarg_segment_align: 8
    .kernarg_segment_size: 136
    .language:       OpenCL C
    .language_version:
      - 2
      - 0
    .max_flat_workgroup_size: 256
    .name:           _ZN7rocprim17ROCPRIM_400000_NS6detail17trampoline_kernelINS0_14default_configENS1_25partition_config_selectorILNS1_17partition_subalgoE0EsNS0_10empty_typeEbEEZZNS1_14partition_implILS5_0ELb0ES3_jN6thrust23THRUST_200600_302600_NS6detail15normal_iteratorINSA_10device_ptrIsEEEEPS6_SG_NS0_5tupleIJSF_SF_EEENSH_IJSG_SG_EEES6_PlJ7is_evenIsEEEE10hipError_tPvRmT3_T4_T5_T6_T7_T9_mT8_P12ihipStream_tbDpT10_ENKUlT_T0_E_clISt17integral_constantIbLb0EES15_IbLb1EEEEDaS11_S12_EUlS11_E_NS1_11comp_targetILNS1_3genE4ELNS1_11target_archE910ELNS1_3gpuE8ELNS1_3repE0EEENS1_30default_config_static_selectorELNS0_4arch9wavefront6targetE1EEEvT1_
    .private_segment_fixed_size: 0
    .sgpr_count:     6
    .sgpr_spill_count: 0
    .symbol:         _ZN7rocprim17ROCPRIM_400000_NS6detail17trampoline_kernelINS0_14default_configENS1_25partition_config_selectorILNS1_17partition_subalgoE0EsNS0_10empty_typeEbEEZZNS1_14partition_implILS5_0ELb0ES3_jN6thrust23THRUST_200600_302600_NS6detail15normal_iteratorINSA_10device_ptrIsEEEEPS6_SG_NS0_5tupleIJSF_SF_EEENSH_IJSG_SG_EEES6_PlJ7is_evenIsEEEE10hipError_tPvRmT3_T4_T5_T6_T7_T9_mT8_P12ihipStream_tbDpT10_ENKUlT_T0_E_clISt17integral_constantIbLb0EES15_IbLb1EEEEDaS11_S12_EUlS11_E_NS1_11comp_targetILNS1_3genE4ELNS1_11target_archE910ELNS1_3gpuE8ELNS1_3repE0EEENS1_30default_config_static_selectorELNS0_4arch9wavefront6targetE1EEEvT1_.kd
    .uniform_work_group_size: 1
    .uses_dynamic_stack: false
    .vgpr_count:     0
    .vgpr_spill_count: 0
    .wavefront_size: 64
  - .agpr_count:     0
    .args:
      - .offset:         0
        .size:           136
        .value_kind:     by_value
    .group_segment_fixed_size: 0
    .kernarg_segment_align: 8
    .kernarg_segment_size: 136
    .language:       OpenCL C
    .language_version:
      - 2
      - 0
    .max_flat_workgroup_size: 256
    .name:           _ZN7rocprim17ROCPRIM_400000_NS6detail17trampoline_kernelINS0_14default_configENS1_25partition_config_selectorILNS1_17partition_subalgoE0EsNS0_10empty_typeEbEEZZNS1_14partition_implILS5_0ELb0ES3_jN6thrust23THRUST_200600_302600_NS6detail15normal_iteratorINSA_10device_ptrIsEEEEPS6_SG_NS0_5tupleIJSF_SF_EEENSH_IJSG_SG_EEES6_PlJ7is_evenIsEEEE10hipError_tPvRmT3_T4_T5_T6_T7_T9_mT8_P12ihipStream_tbDpT10_ENKUlT_T0_E_clISt17integral_constantIbLb0EES15_IbLb1EEEEDaS11_S12_EUlS11_E_NS1_11comp_targetILNS1_3genE3ELNS1_11target_archE908ELNS1_3gpuE7ELNS1_3repE0EEENS1_30default_config_static_selectorELNS0_4arch9wavefront6targetE1EEEvT1_
    .private_segment_fixed_size: 0
    .sgpr_count:     6
    .sgpr_spill_count: 0
    .symbol:         _ZN7rocprim17ROCPRIM_400000_NS6detail17trampoline_kernelINS0_14default_configENS1_25partition_config_selectorILNS1_17partition_subalgoE0EsNS0_10empty_typeEbEEZZNS1_14partition_implILS5_0ELb0ES3_jN6thrust23THRUST_200600_302600_NS6detail15normal_iteratorINSA_10device_ptrIsEEEEPS6_SG_NS0_5tupleIJSF_SF_EEENSH_IJSG_SG_EEES6_PlJ7is_evenIsEEEE10hipError_tPvRmT3_T4_T5_T6_T7_T9_mT8_P12ihipStream_tbDpT10_ENKUlT_T0_E_clISt17integral_constantIbLb0EES15_IbLb1EEEEDaS11_S12_EUlS11_E_NS1_11comp_targetILNS1_3genE3ELNS1_11target_archE908ELNS1_3gpuE7ELNS1_3repE0EEENS1_30default_config_static_selectorELNS0_4arch9wavefront6targetE1EEEvT1_.kd
    .uniform_work_group_size: 1
    .uses_dynamic_stack: false
    .vgpr_count:     0
    .vgpr_spill_count: 0
    .wavefront_size: 64
  - .agpr_count:     0
    .args:
      - .offset:         0
        .size:           136
        .value_kind:     by_value
    .group_segment_fixed_size: 0
    .kernarg_segment_align: 8
    .kernarg_segment_size: 136
    .language:       OpenCL C
    .language_version:
      - 2
      - 0
    .max_flat_workgroup_size: 256
    .name:           _ZN7rocprim17ROCPRIM_400000_NS6detail17trampoline_kernelINS0_14default_configENS1_25partition_config_selectorILNS1_17partition_subalgoE0EsNS0_10empty_typeEbEEZZNS1_14partition_implILS5_0ELb0ES3_jN6thrust23THRUST_200600_302600_NS6detail15normal_iteratorINSA_10device_ptrIsEEEEPS6_SG_NS0_5tupleIJSF_SF_EEENSH_IJSG_SG_EEES6_PlJ7is_evenIsEEEE10hipError_tPvRmT3_T4_T5_T6_T7_T9_mT8_P12ihipStream_tbDpT10_ENKUlT_T0_E_clISt17integral_constantIbLb0EES15_IbLb1EEEEDaS11_S12_EUlS11_E_NS1_11comp_targetILNS1_3genE2ELNS1_11target_archE906ELNS1_3gpuE6ELNS1_3repE0EEENS1_30default_config_static_selectorELNS0_4arch9wavefront6targetE1EEEvT1_
    .private_segment_fixed_size: 0
    .sgpr_count:     6
    .sgpr_spill_count: 0
    .symbol:         _ZN7rocprim17ROCPRIM_400000_NS6detail17trampoline_kernelINS0_14default_configENS1_25partition_config_selectorILNS1_17partition_subalgoE0EsNS0_10empty_typeEbEEZZNS1_14partition_implILS5_0ELb0ES3_jN6thrust23THRUST_200600_302600_NS6detail15normal_iteratorINSA_10device_ptrIsEEEEPS6_SG_NS0_5tupleIJSF_SF_EEENSH_IJSG_SG_EEES6_PlJ7is_evenIsEEEE10hipError_tPvRmT3_T4_T5_T6_T7_T9_mT8_P12ihipStream_tbDpT10_ENKUlT_T0_E_clISt17integral_constantIbLb0EES15_IbLb1EEEEDaS11_S12_EUlS11_E_NS1_11comp_targetILNS1_3genE2ELNS1_11target_archE906ELNS1_3gpuE6ELNS1_3repE0EEENS1_30default_config_static_selectorELNS0_4arch9wavefront6targetE1EEEvT1_.kd
    .uniform_work_group_size: 1
    .uses_dynamic_stack: false
    .vgpr_count:     0
    .vgpr_spill_count: 0
    .wavefront_size: 64
  - .agpr_count:     0
    .args:
      - .offset:         0
        .size:           136
        .value_kind:     by_value
    .group_segment_fixed_size: 0
    .kernarg_segment_align: 8
    .kernarg_segment_size: 136
    .language:       OpenCL C
    .language_version:
      - 2
      - 0
    .max_flat_workgroup_size: 384
    .name:           _ZN7rocprim17ROCPRIM_400000_NS6detail17trampoline_kernelINS0_14default_configENS1_25partition_config_selectorILNS1_17partition_subalgoE0EsNS0_10empty_typeEbEEZZNS1_14partition_implILS5_0ELb0ES3_jN6thrust23THRUST_200600_302600_NS6detail15normal_iteratorINSA_10device_ptrIsEEEEPS6_SG_NS0_5tupleIJSF_SF_EEENSH_IJSG_SG_EEES6_PlJ7is_evenIsEEEE10hipError_tPvRmT3_T4_T5_T6_T7_T9_mT8_P12ihipStream_tbDpT10_ENKUlT_T0_E_clISt17integral_constantIbLb0EES15_IbLb1EEEEDaS11_S12_EUlS11_E_NS1_11comp_targetILNS1_3genE10ELNS1_11target_archE1200ELNS1_3gpuE4ELNS1_3repE0EEENS1_30default_config_static_selectorELNS0_4arch9wavefront6targetE1EEEvT1_
    .private_segment_fixed_size: 0
    .sgpr_count:     6
    .sgpr_spill_count: 0
    .symbol:         _ZN7rocprim17ROCPRIM_400000_NS6detail17trampoline_kernelINS0_14default_configENS1_25partition_config_selectorILNS1_17partition_subalgoE0EsNS0_10empty_typeEbEEZZNS1_14partition_implILS5_0ELb0ES3_jN6thrust23THRUST_200600_302600_NS6detail15normal_iteratorINSA_10device_ptrIsEEEEPS6_SG_NS0_5tupleIJSF_SF_EEENSH_IJSG_SG_EEES6_PlJ7is_evenIsEEEE10hipError_tPvRmT3_T4_T5_T6_T7_T9_mT8_P12ihipStream_tbDpT10_ENKUlT_T0_E_clISt17integral_constantIbLb0EES15_IbLb1EEEEDaS11_S12_EUlS11_E_NS1_11comp_targetILNS1_3genE10ELNS1_11target_archE1200ELNS1_3gpuE4ELNS1_3repE0EEENS1_30default_config_static_selectorELNS0_4arch9wavefront6targetE1EEEvT1_.kd
    .uniform_work_group_size: 1
    .uses_dynamic_stack: false
    .vgpr_count:     0
    .vgpr_spill_count: 0
    .wavefront_size: 64
  - .agpr_count:     0
    .args:
      - .offset:         0
        .size:           136
        .value_kind:     by_value
    .group_segment_fixed_size: 0
    .kernarg_segment_align: 8
    .kernarg_segment_size: 136
    .language:       OpenCL C
    .language_version:
      - 2
      - 0
    .max_flat_workgroup_size: 128
    .name:           _ZN7rocprim17ROCPRIM_400000_NS6detail17trampoline_kernelINS0_14default_configENS1_25partition_config_selectorILNS1_17partition_subalgoE0EsNS0_10empty_typeEbEEZZNS1_14partition_implILS5_0ELb0ES3_jN6thrust23THRUST_200600_302600_NS6detail15normal_iteratorINSA_10device_ptrIsEEEEPS6_SG_NS0_5tupleIJSF_SF_EEENSH_IJSG_SG_EEES6_PlJ7is_evenIsEEEE10hipError_tPvRmT3_T4_T5_T6_T7_T9_mT8_P12ihipStream_tbDpT10_ENKUlT_T0_E_clISt17integral_constantIbLb0EES15_IbLb1EEEEDaS11_S12_EUlS11_E_NS1_11comp_targetILNS1_3genE9ELNS1_11target_archE1100ELNS1_3gpuE3ELNS1_3repE0EEENS1_30default_config_static_selectorELNS0_4arch9wavefront6targetE1EEEvT1_
    .private_segment_fixed_size: 0
    .sgpr_count:     6
    .sgpr_spill_count: 0
    .symbol:         _ZN7rocprim17ROCPRIM_400000_NS6detail17trampoline_kernelINS0_14default_configENS1_25partition_config_selectorILNS1_17partition_subalgoE0EsNS0_10empty_typeEbEEZZNS1_14partition_implILS5_0ELb0ES3_jN6thrust23THRUST_200600_302600_NS6detail15normal_iteratorINSA_10device_ptrIsEEEEPS6_SG_NS0_5tupleIJSF_SF_EEENSH_IJSG_SG_EEES6_PlJ7is_evenIsEEEE10hipError_tPvRmT3_T4_T5_T6_T7_T9_mT8_P12ihipStream_tbDpT10_ENKUlT_T0_E_clISt17integral_constantIbLb0EES15_IbLb1EEEEDaS11_S12_EUlS11_E_NS1_11comp_targetILNS1_3genE9ELNS1_11target_archE1100ELNS1_3gpuE3ELNS1_3repE0EEENS1_30default_config_static_selectorELNS0_4arch9wavefront6targetE1EEEvT1_.kd
    .uniform_work_group_size: 1
    .uses_dynamic_stack: false
    .vgpr_count:     0
    .vgpr_spill_count: 0
    .wavefront_size: 64
  - .agpr_count:     0
    .args:
      - .offset:         0
        .size:           136
        .value_kind:     by_value
    .group_segment_fixed_size: 0
    .kernarg_segment_align: 8
    .kernarg_segment_size: 136
    .language:       OpenCL C
    .language_version:
      - 2
      - 0
    .max_flat_workgroup_size: 128
    .name:           _ZN7rocprim17ROCPRIM_400000_NS6detail17trampoline_kernelINS0_14default_configENS1_25partition_config_selectorILNS1_17partition_subalgoE0EsNS0_10empty_typeEbEEZZNS1_14partition_implILS5_0ELb0ES3_jN6thrust23THRUST_200600_302600_NS6detail15normal_iteratorINSA_10device_ptrIsEEEEPS6_SG_NS0_5tupleIJSF_SF_EEENSH_IJSG_SG_EEES6_PlJ7is_evenIsEEEE10hipError_tPvRmT3_T4_T5_T6_T7_T9_mT8_P12ihipStream_tbDpT10_ENKUlT_T0_E_clISt17integral_constantIbLb0EES15_IbLb1EEEEDaS11_S12_EUlS11_E_NS1_11comp_targetILNS1_3genE8ELNS1_11target_archE1030ELNS1_3gpuE2ELNS1_3repE0EEENS1_30default_config_static_selectorELNS0_4arch9wavefront6targetE1EEEvT1_
    .private_segment_fixed_size: 0
    .sgpr_count:     6
    .sgpr_spill_count: 0
    .symbol:         _ZN7rocprim17ROCPRIM_400000_NS6detail17trampoline_kernelINS0_14default_configENS1_25partition_config_selectorILNS1_17partition_subalgoE0EsNS0_10empty_typeEbEEZZNS1_14partition_implILS5_0ELb0ES3_jN6thrust23THRUST_200600_302600_NS6detail15normal_iteratorINSA_10device_ptrIsEEEEPS6_SG_NS0_5tupleIJSF_SF_EEENSH_IJSG_SG_EEES6_PlJ7is_evenIsEEEE10hipError_tPvRmT3_T4_T5_T6_T7_T9_mT8_P12ihipStream_tbDpT10_ENKUlT_T0_E_clISt17integral_constantIbLb0EES15_IbLb1EEEEDaS11_S12_EUlS11_E_NS1_11comp_targetILNS1_3genE8ELNS1_11target_archE1030ELNS1_3gpuE2ELNS1_3repE0EEENS1_30default_config_static_selectorELNS0_4arch9wavefront6targetE1EEEvT1_.kd
    .uniform_work_group_size: 1
    .uses_dynamic_stack: false
    .vgpr_count:     0
    .vgpr_spill_count: 0
    .wavefront_size: 64
  - .agpr_count:     0
    .args:
      - .offset:         0
        .size:           128
        .value_kind:     by_value
    .group_segment_fixed_size: 0
    .kernarg_segment_align: 8
    .kernarg_segment_size: 128
    .language:       OpenCL C
    .language_version:
      - 2
      - 0
    .max_flat_workgroup_size: 128
    .name:           _ZN7rocprim17ROCPRIM_400000_NS6detail17trampoline_kernelINS0_14default_configENS1_25partition_config_selectorILNS1_17partition_subalgoE1ExNS0_10empty_typeEbEEZZNS1_14partition_implILS5_1ELb0ES3_jN6thrust23THRUST_200600_302600_NS6detail15normal_iteratorINSA_10device_ptrIxEEEEPS6_NSA_18transform_iteratorI7is_evenIxESF_NSA_11use_defaultESK_EENS0_5tupleIJSF_SF_EEENSM_IJSG_SG_EEES6_PlJS6_EEE10hipError_tPvRmT3_T4_T5_T6_T7_T9_mT8_P12ihipStream_tbDpT10_ENKUlT_T0_E_clISt17integral_constantIbLb0EES19_EEDaS14_S15_EUlS14_E_NS1_11comp_targetILNS1_3genE0ELNS1_11target_archE4294967295ELNS1_3gpuE0ELNS1_3repE0EEENS1_30default_config_static_selectorELNS0_4arch9wavefront6targetE1EEEvT1_
    .private_segment_fixed_size: 0
    .sgpr_count:     6
    .sgpr_spill_count: 0
    .symbol:         _ZN7rocprim17ROCPRIM_400000_NS6detail17trampoline_kernelINS0_14default_configENS1_25partition_config_selectorILNS1_17partition_subalgoE1ExNS0_10empty_typeEbEEZZNS1_14partition_implILS5_1ELb0ES3_jN6thrust23THRUST_200600_302600_NS6detail15normal_iteratorINSA_10device_ptrIxEEEEPS6_NSA_18transform_iteratorI7is_evenIxESF_NSA_11use_defaultESK_EENS0_5tupleIJSF_SF_EEENSM_IJSG_SG_EEES6_PlJS6_EEE10hipError_tPvRmT3_T4_T5_T6_T7_T9_mT8_P12ihipStream_tbDpT10_ENKUlT_T0_E_clISt17integral_constantIbLb0EES19_EEDaS14_S15_EUlS14_E_NS1_11comp_targetILNS1_3genE0ELNS1_11target_archE4294967295ELNS1_3gpuE0ELNS1_3repE0EEENS1_30default_config_static_selectorELNS0_4arch9wavefront6targetE1EEEvT1_.kd
    .uniform_work_group_size: 1
    .uses_dynamic_stack: false
    .vgpr_count:     0
    .vgpr_spill_count: 0
    .wavefront_size: 64
  - .agpr_count:     0
    .args:
      - .offset:         0
        .size:           128
        .value_kind:     by_value
    .group_segment_fixed_size: 28680
    .kernarg_segment_align: 8
    .kernarg_segment_size: 128
    .language:       OpenCL C
    .language_version:
      - 2
      - 0
    .max_flat_workgroup_size: 512
    .name:           _ZN7rocprim17ROCPRIM_400000_NS6detail17trampoline_kernelINS0_14default_configENS1_25partition_config_selectorILNS1_17partition_subalgoE1ExNS0_10empty_typeEbEEZZNS1_14partition_implILS5_1ELb0ES3_jN6thrust23THRUST_200600_302600_NS6detail15normal_iteratorINSA_10device_ptrIxEEEEPS6_NSA_18transform_iteratorI7is_evenIxESF_NSA_11use_defaultESK_EENS0_5tupleIJSF_SF_EEENSM_IJSG_SG_EEES6_PlJS6_EEE10hipError_tPvRmT3_T4_T5_T6_T7_T9_mT8_P12ihipStream_tbDpT10_ENKUlT_T0_E_clISt17integral_constantIbLb0EES19_EEDaS14_S15_EUlS14_E_NS1_11comp_targetILNS1_3genE5ELNS1_11target_archE942ELNS1_3gpuE9ELNS1_3repE0EEENS1_30default_config_static_selectorELNS0_4arch9wavefront6targetE1EEEvT1_
    .private_segment_fixed_size: 0
    .sgpr_count:     50
    .sgpr_spill_count: 0
    .symbol:         _ZN7rocprim17ROCPRIM_400000_NS6detail17trampoline_kernelINS0_14default_configENS1_25partition_config_selectorILNS1_17partition_subalgoE1ExNS0_10empty_typeEbEEZZNS1_14partition_implILS5_1ELb0ES3_jN6thrust23THRUST_200600_302600_NS6detail15normal_iteratorINSA_10device_ptrIxEEEEPS6_NSA_18transform_iteratorI7is_evenIxESF_NSA_11use_defaultESK_EENS0_5tupleIJSF_SF_EEENSM_IJSG_SG_EEES6_PlJS6_EEE10hipError_tPvRmT3_T4_T5_T6_T7_T9_mT8_P12ihipStream_tbDpT10_ENKUlT_T0_E_clISt17integral_constantIbLb0EES19_EEDaS14_S15_EUlS14_E_NS1_11comp_targetILNS1_3genE5ELNS1_11target_archE942ELNS1_3gpuE9ELNS1_3repE0EEENS1_30default_config_static_selectorELNS0_4arch9wavefront6targetE1EEEvT1_.kd
    .uniform_work_group_size: 1
    .uses_dynamic_stack: false
    .vgpr_count:     54
    .vgpr_spill_count: 0
    .wavefront_size: 64
  - .agpr_count:     0
    .args:
      - .offset:         0
        .size:           128
        .value_kind:     by_value
    .group_segment_fixed_size: 0
    .kernarg_segment_align: 8
    .kernarg_segment_size: 128
    .language:       OpenCL C
    .language_version:
      - 2
      - 0
    .max_flat_workgroup_size: 192
    .name:           _ZN7rocprim17ROCPRIM_400000_NS6detail17trampoline_kernelINS0_14default_configENS1_25partition_config_selectorILNS1_17partition_subalgoE1ExNS0_10empty_typeEbEEZZNS1_14partition_implILS5_1ELb0ES3_jN6thrust23THRUST_200600_302600_NS6detail15normal_iteratorINSA_10device_ptrIxEEEEPS6_NSA_18transform_iteratorI7is_evenIxESF_NSA_11use_defaultESK_EENS0_5tupleIJSF_SF_EEENSM_IJSG_SG_EEES6_PlJS6_EEE10hipError_tPvRmT3_T4_T5_T6_T7_T9_mT8_P12ihipStream_tbDpT10_ENKUlT_T0_E_clISt17integral_constantIbLb0EES19_EEDaS14_S15_EUlS14_E_NS1_11comp_targetILNS1_3genE4ELNS1_11target_archE910ELNS1_3gpuE8ELNS1_3repE0EEENS1_30default_config_static_selectorELNS0_4arch9wavefront6targetE1EEEvT1_
    .private_segment_fixed_size: 0
    .sgpr_count:     6
    .sgpr_spill_count: 0
    .symbol:         _ZN7rocprim17ROCPRIM_400000_NS6detail17trampoline_kernelINS0_14default_configENS1_25partition_config_selectorILNS1_17partition_subalgoE1ExNS0_10empty_typeEbEEZZNS1_14partition_implILS5_1ELb0ES3_jN6thrust23THRUST_200600_302600_NS6detail15normal_iteratorINSA_10device_ptrIxEEEEPS6_NSA_18transform_iteratorI7is_evenIxESF_NSA_11use_defaultESK_EENS0_5tupleIJSF_SF_EEENSM_IJSG_SG_EEES6_PlJS6_EEE10hipError_tPvRmT3_T4_T5_T6_T7_T9_mT8_P12ihipStream_tbDpT10_ENKUlT_T0_E_clISt17integral_constantIbLb0EES19_EEDaS14_S15_EUlS14_E_NS1_11comp_targetILNS1_3genE4ELNS1_11target_archE910ELNS1_3gpuE8ELNS1_3repE0EEENS1_30default_config_static_selectorELNS0_4arch9wavefront6targetE1EEEvT1_.kd
    .uniform_work_group_size: 1
    .uses_dynamic_stack: false
    .vgpr_count:     0
    .vgpr_spill_count: 0
    .wavefront_size: 64
  - .agpr_count:     0
    .args:
      - .offset:         0
        .size:           128
        .value_kind:     by_value
    .group_segment_fixed_size: 0
    .kernarg_segment_align: 8
    .kernarg_segment_size: 128
    .language:       OpenCL C
    .language_version:
      - 2
      - 0
    .max_flat_workgroup_size: 128
    .name:           _ZN7rocprim17ROCPRIM_400000_NS6detail17trampoline_kernelINS0_14default_configENS1_25partition_config_selectorILNS1_17partition_subalgoE1ExNS0_10empty_typeEbEEZZNS1_14partition_implILS5_1ELb0ES3_jN6thrust23THRUST_200600_302600_NS6detail15normal_iteratorINSA_10device_ptrIxEEEEPS6_NSA_18transform_iteratorI7is_evenIxESF_NSA_11use_defaultESK_EENS0_5tupleIJSF_SF_EEENSM_IJSG_SG_EEES6_PlJS6_EEE10hipError_tPvRmT3_T4_T5_T6_T7_T9_mT8_P12ihipStream_tbDpT10_ENKUlT_T0_E_clISt17integral_constantIbLb0EES19_EEDaS14_S15_EUlS14_E_NS1_11comp_targetILNS1_3genE3ELNS1_11target_archE908ELNS1_3gpuE7ELNS1_3repE0EEENS1_30default_config_static_selectorELNS0_4arch9wavefront6targetE1EEEvT1_
    .private_segment_fixed_size: 0
    .sgpr_count:     6
    .sgpr_spill_count: 0
    .symbol:         _ZN7rocprim17ROCPRIM_400000_NS6detail17trampoline_kernelINS0_14default_configENS1_25partition_config_selectorILNS1_17partition_subalgoE1ExNS0_10empty_typeEbEEZZNS1_14partition_implILS5_1ELb0ES3_jN6thrust23THRUST_200600_302600_NS6detail15normal_iteratorINSA_10device_ptrIxEEEEPS6_NSA_18transform_iteratorI7is_evenIxESF_NSA_11use_defaultESK_EENS0_5tupleIJSF_SF_EEENSM_IJSG_SG_EEES6_PlJS6_EEE10hipError_tPvRmT3_T4_T5_T6_T7_T9_mT8_P12ihipStream_tbDpT10_ENKUlT_T0_E_clISt17integral_constantIbLb0EES19_EEDaS14_S15_EUlS14_E_NS1_11comp_targetILNS1_3genE3ELNS1_11target_archE908ELNS1_3gpuE7ELNS1_3repE0EEENS1_30default_config_static_selectorELNS0_4arch9wavefront6targetE1EEEvT1_.kd
    .uniform_work_group_size: 1
    .uses_dynamic_stack: false
    .vgpr_count:     0
    .vgpr_spill_count: 0
    .wavefront_size: 64
  - .agpr_count:     0
    .args:
      - .offset:         0
        .size:           128
        .value_kind:     by_value
    .group_segment_fixed_size: 0
    .kernarg_segment_align: 8
    .kernarg_segment_size: 128
    .language:       OpenCL C
    .language_version:
      - 2
      - 0
    .max_flat_workgroup_size: 256
    .name:           _ZN7rocprim17ROCPRIM_400000_NS6detail17trampoline_kernelINS0_14default_configENS1_25partition_config_selectorILNS1_17partition_subalgoE1ExNS0_10empty_typeEbEEZZNS1_14partition_implILS5_1ELb0ES3_jN6thrust23THRUST_200600_302600_NS6detail15normal_iteratorINSA_10device_ptrIxEEEEPS6_NSA_18transform_iteratorI7is_evenIxESF_NSA_11use_defaultESK_EENS0_5tupleIJSF_SF_EEENSM_IJSG_SG_EEES6_PlJS6_EEE10hipError_tPvRmT3_T4_T5_T6_T7_T9_mT8_P12ihipStream_tbDpT10_ENKUlT_T0_E_clISt17integral_constantIbLb0EES19_EEDaS14_S15_EUlS14_E_NS1_11comp_targetILNS1_3genE2ELNS1_11target_archE906ELNS1_3gpuE6ELNS1_3repE0EEENS1_30default_config_static_selectorELNS0_4arch9wavefront6targetE1EEEvT1_
    .private_segment_fixed_size: 0
    .sgpr_count:     6
    .sgpr_spill_count: 0
    .symbol:         _ZN7rocprim17ROCPRIM_400000_NS6detail17trampoline_kernelINS0_14default_configENS1_25partition_config_selectorILNS1_17partition_subalgoE1ExNS0_10empty_typeEbEEZZNS1_14partition_implILS5_1ELb0ES3_jN6thrust23THRUST_200600_302600_NS6detail15normal_iteratorINSA_10device_ptrIxEEEEPS6_NSA_18transform_iteratorI7is_evenIxESF_NSA_11use_defaultESK_EENS0_5tupleIJSF_SF_EEENSM_IJSG_SG_EEES6_PlJS6_EEE10hipError_tPvRmT3_T4_T5_T6_T7_T9_mT8_P12ihipStream_tbDpT10_ENKUlT_T0_E_clISt17integral_constantIbLb0EES19_EEDaS14_S15_EUlS14_E_NS1_11comp_targetILNS1_3genE2ELNS1_11target_archE906ELNS1_3gpuE6ELNS1_3repE0EEENS1_30default_config_static_selectorELNS0_4arch9wavefront6targetE1EEEvT1_.kd
    .uniform_work_group_size: 1
    .uses_dynamic_stack: false
    .vgpr_count:     0
    .vgpr_spill_count: 0
    .wavefront_size: 64
  - .agpr_count:     0
    .args:
      - .offset:         0
        .size:           128
        .value_kind:     by_value
    .group_segment_fixed_size: 0
    .kernarg_segment_align: 8
    .kernarg_segment_size: 128
    .language:       OpenCL C
    .language_version:
      - 2
      - 0
    .max_flat_workgroup_size: 256
    .name:           _ZN7rocprim17ROCPRIM_400000_NS6detail17trampoline_kernelINS0_14default_configENS1_25partition_config_selectorILNS1_17partition_subalgoE1ExNS0_10empty_typeEbEEZZNS1_14partition_implILS5_1ELb0ES3_jN6thrust23THRUST_200600_302600_NS6detail15normal_iteratorINSA_10device_ptrIxEEEEPS6_NSA_18transform_iteratorI7is_evenIxESF_NSA_11use_defaultESK_EENS0_5tupleIJSF_SF_EEENSM_IJSG_SG_EEES6_PlJS6_EEE10hipError_tPvRmT3_T4_T5_T6_T7_T9_mT8_P12ihipStream_tbDpT10_ENKUlT_T0_E_clISt17integral_constantIbLb0EES19_EEDaS14_S15_EUlS14_E_NS1_11comp_targetILNS1_3genE10ELNS1_11target_archE1200ELNS1_3gpuE4ELNS1_3repE0EEENS1_30default_config_static_selectorELNS0_4arch9wavefront6targetE1EEEvT1_
    .private_segment_fixed_size: 0
    .sgpr_count:     6
    .sgpr_spill_count: 0
    .symbol:         _ZN7rocprim17ROCPRIM_400000_NS6detail17trampoline_kernelINS0_14default_configENS1_25partition_config_selectorILNS1_17partition_subalgoE1ExNS0_10empty_typeEbEEZZNS1_14partition_implILS5_1ELb0ES3_jN6thrust23THRUST_200600_302600_NS6detail15normal_iteratorINSA_10device_ptrIxEEEEPS6_NSA_18transform_iteratorI7is_evenIxESF_NSA_11use_defaultESK_EENS0_5tupleIJSF_SF_EEENSM_IJSG_SG_EEES6_PlJS6_EEE10hipError_tPvRmT3_T4_T5_T6_T7_T9_mT8_P12ihipStream_tbDpT10_ENKUlT_T0_E_clISt17integral_constantIbLb0EES19_EEDaS14_S15_EUlS14_E_NS1_11comp_targetILNS1_3genE10ELNS1_11target_archE1200ELNS1_3gpuE4ELNS1_3repE0EEENS1_30default_config_static_selectorELNS0_4arch9wavefront6targetE1EEEvT1_.kd
    .uniform_work_group_size: 1
    .uses_dynamic_stack: false
    .vgpr_count:     0
    .vgpr_spill_count: 0
    .wavefront_size: 64
  - .agpr_count:     0
    .args:
      - .offset:         0
        .size:           128
        .value_kind:     by_value
    .group_segment_fixed_size: 0
    .kernarg_segment_align: 8
    .kernarg_segment_size: 128
    .language:       OpenCL C
    .language_version:
      - 2
      - 0
    .max_flat_workgroup_size: 128
    .name:           _ZN7rocprim17ROCPRIM_400000_NS6detail17trampoline_kernelINS0_14default_configENS1_25partition_config_selectorILNS1_17partition_subalgoE1ExNS0_10empty_typeEbEEZZNS1_14partition_implILS5_1ELb0ES3_jN6thrust23THRUST_200600_302600_NS6detail15normal_iteratorINSA_10device_ptrIxEEEEPS6_NSA_18transform_iteratorI7is_evenIxESF_NSA_11use_defaultESK_EENS0_5tupleIJSF_SF_EEENSM_IJSG_SG_EEES6_PlJS6_EEE10hipError_tPvRmT3_T4_T5_T6_T7_T9_mT8_P12ihipStream_tbDpT10_ENKUlT_T0_E_clISt17integral_constantIbLb0EES19_EEDaS14_S15_EUlS14_E_NS1_11comp_targetILNS1_3genE9ELNS1_11target_archE1100ELNS1_3gpuE3ELNS1_3repE0EEENS1_30default_config_static_selectorELNS0_4arch9wavefront6targetE1EEEvT1_
    .private_segment_fixed_size: 0
    .sgpr_count:     6
    .sgpr_spill_count: 0
    .symbol:         _ZN7rocprim17ROCPRIM_400000_NS6detail17trampoline_kernelINS0_14default_configENS1_25partition_config_selectorILNS1_17partition_subalgoE1ExNS0_10empty_typeEbEEZZNS1_14partition_implILS5_1ELb0ES3_jN6thrust23THRUST_200600_302600_NS6detail15normal_iteratorINSA_10device_ptrIxEEEEPS6_NSA_18transform_iteratorI7is_evenIxESF_NSA_11use_defaultESK_EENS0_5tupleIJSF_SF_EEENSM_IJSG_SG_EEES6_PlJS6_EEE10hipError_tPvRmT3_T4_T5_T6_T7_T9_mT8_P12ihipStream_tbDpT10_ENKUlT_T0_E_clISt17integral_constantIbLb0EES19_EEDaS14_S15_EUlS14_E_NS1_11comp_targetILNS1_3genE9ELNS1_11target_archE1100ELNS1_3gpuE3ELNS1_3repE0EEENS1_30default_config_static_selectorELNS0_4arch9wavefront6targetE1EEEvT1_.kd
    .uniform_work_group_size: 1
    .uses_dynamic_stack: false
    .vgpr_count:     0
    .vgpr_spill_count: 0
    .wavefront_size: 64
  - .agpr_count:     0
    .args:
      - .offset:         0
        .size:           128
        .value_kind:     by_value
    .group_segment_fixed_size: 0
    .kernarg_segment_align: 8
    .kernarg_segment_size: 128
    .language:       OpenCL C
    .language_version:
      - 2
      - 0
    .max_flat_workgroup_size: 512
    .name:           _ZN7rocprim17ROCPRIM_400000_NS6detail17trampoline_kernelINS0_14default_configENS1_25partition_config_selectorILNS1_17partition_subalgoE1ExNS0_10empty_typeEbEEZZNS1_14partition_implILS5_1ELb0ES3_jN6thrust23THRUST_200600_302600_NS6detail15normal_iteratorINSA_10device_ptrIxEEEEPS6_NSA_18transform_iteratorI7is_evenIxESF_NSA_11use_defaultESK_EENS0_5tupleIJSF_SF_EEENSM_IJSG_SG_EEES6_PlJS6_EEE10hipError_tPvRmT3_T4_T5_T6_T7_T9_mT8_P12ihipStream_tbDpT10_ENKUlT_T0_E_clISt17integral_constantIbLb0EES19_EEDaS14_S15_EUlS14_E_NS1_11comp_targetILNS1_3genE8ELNS1_11target_archE1030ELNS1_3gpuE2ELNS1_3repE0EEENS1_30default_config_static_selectorELNS0_4arch9wavefront6targetE1EEEvT1_
    .private_segment_fixed_size: 0
    .sgpr_count:     6
    .sgpr_spill_count: 0
    .symbol:         _ZN7rocprim17ROCPRIM_400000_NS6detail17trampoline_kernelINS0_14default_configENS1_25partition_config_selectorILNS1_17partition_subalgoE1ExNS0_10empty_typeEbEEZZNS1_14partition_implILS5_1ELb0ES3_jN6thrust23THRUST_200600_302600_NS6detail15normal_iteratorINSA_10device_ptrIxEEEEPS6_NSA_18transform_iteratorI7is_evenIxESF_NSA_11use_defaultESK_EENS0_5tupleIJSF_SF_EEENSM_IJSG_SG_EEES6_PlJS6_EEE10hipError_tPvRmT3_T4_T5_T6_T7_T9_mT8_P12ihipStream_tbDpT10_ENKUlT_T0_E_clISt17integral_constantIbLb0EES19_EEDaS14_S15_EUlS14_E_NS1_11comp_targetILNS1_3genE8ELNS1_11target_archE1030ELNS1_3gpuE2ELNS1_3repE0EEENS1_30default_config_static_selectorELNS0_4arch9wavefront6targetE1EEEvT1_.kd
    .uniform_work_group_size: 1
    .uses_dynamic_stack: false
    .vgpr_count:     0
    .vgpr_spill_count: 0
    .wavefront_size: 64
  - .agpr_count:     0
    .args:
      - .offset:         0
        .size:           144
        .value_kind:     by_value
    .group_segment_fixed_size: 0
    .kernarg_segment_align: 8
    .kernarg_segment_size: 144
    .language:       OpenCL C
    .language_version:
      - 2
      - 0
    .max_flat_workgroup_size: 128
    .name:           _ZN7rocprim17ROCPRIM_400000_NS6detail17trampoline_kernelINS0_14default_configENS1_25partition_config_selectorILNS1_17partition_subalgoE1ExNS0_10empty_typeEbEEZZNS1_14partition_implILS5_1ELb0ES3_jN6thrust23THRUST_200600_302600_NS6detail15normal_iteratorINSA_10device_ptrIxEEEEPS6_NSA_18transform_iteratorI7is_evenIxESF_NSA_11use_defaultESK_EENS0_5tupleIJSF_SF_EEENSM_IJSG_SG_EEES6_PlJS6_EEE10hipError_tPvRmT3_T4_T5_T6_T7_T9_mT8_P12ihipStream_tbDpT10_ENKUlT_T0_E_clISt17integral_constantIbLb1EES19_EEDaS14_S15_EUlS14_E_NS1_11comp_targetILNS1_3genE0ELNS1_11target_archE4294967295ELNS1_3gpuE0ELNS1_3repE0EEENS1_30default_config_static_selectorELNS0_4arch9wavefront6targetE1EEEvT1_
    .private_segment_fixed_size: 0
    .sgpr_count:     6
    .sgpr_spill_count: 0
    .symbol:         _ZN7rocprim17ROCPRIM_400000_NS6detail17trampoline_kernelINS0_14default_configENS1_25partition_config_selectorILNS1_17partition_subalgoE1ExNS0_10empty_typeEbEEZZNS1_14partition_implILS5_1ELb0ES3_jN6thrust23THRUST_200600_302600_NS6detail15normal_iteratorINSA_10device_ptrIxEEEEPS6_NSA_18transform_iteratorI7is_evenIxESF_NSA_11use_defaultESK_EENS0_5tupleIJSF_SF_EEENSM_IJSG_SG_EEES6_PlJS6_EEE10hipError_tPvRmT3_T4_T5_T6_T7_T9_mT8_P12ihipStream_tbDpT10_ENKUlT_T0_E_clISt17integral_constantIbLb1EES19_EEDaS14_S15_EUlS14_E_NS1_11comp_targetILNS1_3genE0ELNS1_11target_archE4294967295ELNS1_3gpuE0ELNS1_3repE0EEENS1_30default_config_static_selectorELNS0_4arch9wavefront6targetE1EEEvT1_.kd
    .uniform_work_group_size: 1
    .uses_dynamic_stack: false
    .vgpr_count:     0
    .vgpr_spill_count: 0
    .wavefront_size: 64
  - .agpr_count:     0
    .args:
      - .offset:         0
        .size:           144
        .value_kind:     by_value
    .group_segment_fixed_size: 28680
    .kernarg_segment_align: 8
    .kernarg_segment_size: 144
    .language:       OpenCL C
    .language_version:
      - 2
      - 0
    .max_flat_workgroup_size: 512
    .name:           _ZN7rocprim17ROCPRIM_400000_NS6detail17trampoline_kernelINS0_14default_configENS1_25partition_config_selectorILNS1_17partition_subalgoE1ExNS0_10empty_typeEbEEZZNS1_14partition_implILS5_1ELb0ES3_jN6thrust23THRUST_200600_302600_NS6detail15normal_iteratorINSA_10device_ptrIxEEEEPS6_NSA_18transform_iteratorI7is_evenIxESF_NSA_11use_defaultESK_EENS0_5tupleIJSF_SF_EEENSM_IJSG_SG_EEES6_PlJS6_EEE10hipError_tPvRmT3_T4_T5_T6_T7_T9_mT8_P12ihipStream_tbDpT10_ENKUlT_T0_E_clISt17integral_constantIbLb1EES19_EEDaS14_S15_EUlS14_E_NS1_11comp_targetILNS1_3genE5ELNS1_11target_archE942ELNS1_3gpuE9ELNS1_3repE0EEENS1_30default_config_static_selectorELNS0_4arch9wavefront6targetE1EEEvT1_
    .private_segment_fixed_size: 0
    .sgpr_count:     50
    .sgpr_spill_count: 0
    .symbol:         _ZN7rocprim17ROCPRIM_400000_NS6detail17trampoline_kernelINS0_14default_configENS1_25partition_config_selectorILNS1_17partition_subalgoE1ExNS0_10empty_typeEbEEZZNS1_14partition_implILS5_1ELb0ES3_jN6thrust23THRUST_200600_302600_NS6detail15normal_iteratorINSA_10device_ptrIxEEEEPS6_NSA_18transform_iteratorI7is_evenIxESF_NSA_11use_defaultESK_EENS0_5tupleIJSF_SF_EEENSM_IJSG_SG_EEES6_PlJS6_EEE10hipError_tPvRmT3_T4_T5_T6_T7_T9_mT8_P12ihipStream_tbDpT10_ENKUlT_T0_E_clISt17integral_constantIbLb1EES19_EEDaS14_S15_EUlS14_E_NS1_11comp_targetILNS1_3genE5ELNS1_11target_archE942ELNS1_3gpuE9ELNS1_3repE0EEENS1_30default_config_static_selectorELNS0_4arch9wavefront6targetE1EEEvT1_.kd
    .uniform_work_group_size: 1
    .uses_dynamic_stack: false
    .vgpr_count:     58
    .vgpr_spill_count: 0
    .wavefront_size: 64
  - .agpr_count:     0
    .args:
      - .offset:         0
        .size:           144
        .value_kind:     by_value
    .group_segment_fixed_size: 0
    .kernarg_segment_align: 8
    .kernarg_segment_size: 144
    .language:       OpenCL C
    .language_version:
      - 2
      - 0
    .max_flat_workgroup_size: 192
    .name:           _ZN7rocprim17ROCPRIM_400000_NS6detail17trampoline_kernelINS0_14default_configENS1_25partition_config_selectorILNS1_17partition_subalgoE1ExNS0_10empty_typeEbEEZZNS1_14partition_implILS5_1ELb0ES3_jN6thrust23THRUST_200600_302600_NS6detail15normal_iteratorINSA_10device_ptrIxEEEEPS6_NSA_18transform_iteratorI7is_evenIxESF_NSA_11use_defaultESK_EENS0_5tupleIJSF_SF_EEENSM_IJSG_SG_EEES6_PlJS6_EEE10hipError_tPvRmT3_T4_T5_T6_T7_T9_mT8_P12ihipStream_tbDpT10_ENKUlT_T0_E_clISt17integral_constantIbLb1EES19_EEDaS14_S15_EUlS14_E_NS1_11comp_targetILNS1_3genE4ELNS1_11target_archE910ELNS1_3gpuE8ELNS1_3repE0EEENS1_30default_config_static_selectorELNS0_4arch9wavefront6targetE1EEEvT1_
    .private_segment_fixed_size: 0
    .sgpr_count:     6
    .sgpr_spill_count: 0
    .symbol:         _ZN7rocprim17ROCPRIM_400000_NS6detail17trampoline_kernelINS0_14default_configENS1_25partition_config_selectorILNS1_17partition_subalgoE1ExNS0_10empty_typeEbEEZZNS1_14partition_implILS5_1ELb0ES3_jN6thrust23THRUST_200600_302600_NS6detail15normal_iteratorINSA_10device_ptrIxEEEEPS6_NSA_18transform_iteratorI7is_evenIxESF_NSA_11use_defaultESK_EENS0_5tupleIJSF_SF_EEENSM_IJSG_SG_EEES6_PlJS6_EEE10hipError_tPvRmT3_T4_T5_T6_T7_T9_mT8_P12ihipStream_tbDpT10_ENKUlT_T0_E_clISt17integral_constantIbLb1EES19_EEDaS14_S15_EUlS14_E_NS1_11comp_targetILNS1_3genE4ELNS1_11target_archE910ELNS1_3gpuE8ELNS1_3repE0EEENS1_30default_config_static_selectorELNS0_4arch9wavefront6targetE1EEEvT1_.kd
    .uniform_work_group_size: 1
    .uses_dynamic_stack: false
    .vgpr_count:     0
    .vgpr_spill_count: 0
    .wavefront_size: 64
  - .agpr_count:     0
    .args:
      - .offset:         0
        .size:           144
        .value_kind:     by_value
    .group_segment_fixed_size: 0
    .kernarg_segment_align: 8
    .kernarg_segment_size: 144
    .language:       OpenCL C
    .language_version:
      - 2
      - 0
    .max_flat_workgroup_size: 128
    .name:           _ZN7rocprim17ROCPRIM_400000_NS6detail17trampoline_kernelINS0_14default_configENS1_25partition_config_selectorILNS1_17partition_subalgoE1ExNS0_10empty_typeEbEEZZNS1_14partition_implILS5_1ELb0ES3_jN6thrust23THRUST_200600_302600_NS6detail15normal_iteratorINSA_10device_ptrIxEEEEPS6_NSA_18transform_iteratorI7is_evenIxESF_NSA_11use_defaultESK_EENS0_5tupleIJSF_SF_EEENSM_IJSG_SG_EEES6_PlJS6_EEE10hipError_tPvRmT3_T4_T5_T6_T7_T9_mT8_P12ihipStream_tbDpT10_ENKUlT_T0_E_clISt17integral_constantIbLb1EES19_EEDaS14_S15_EUlS14_E_NS1_11comp_targetILNS1_3genE3ELNS1_11target_archE908ELNS1_3gpuE7ELNS1_3repE0EEENS1_30default_config_static_selectorELNS0_4arch9wavefront6targetE1EEEvT1_
    .private_segment_fixed_size: 0
    .sgpr_count:     6
    .sgpr_spill_count: 0
    .symbol:         _ZN7rocprim17ROCPRIM_400000_NS6detail17trampoline_kernelINS0_14default_configENS1_25partition_config_selectorILNS1_17partition_subalgoE1ExNS0_10empty_typeEbEEZZNS1_14partition_implILS5_1ELb0ES3_jN6thrust23THRUST_200600_302600_NS6detail15normal_iteratorINSA_10device_ptrIxEEEEPS6_NSA_18transform_iteratorI7is_evenIxESF_NSA_11use_defaultESK_EENS0_5tupleIJSF_SF_EEENSM_IJSG_SG_EEES6_PlJS6_EEE10hipError_tPvRmT3_T4_T5_T6_T7_T9_mT8_P12ihipStream_tbDpT10_ENKUlT_T0_E_clISt17integral_constantIbLb1EES19_EEDaS14_S15_EUlS14_E_NS1_11comp_targetILNS1_3genE3ELNS1_11target_archE908ELNS1_3gpuE7ELNS1_3repE0EEENS1_30default_config_static_selectorELNS0_4arch9wavefront6targetE1EEEvT1_.kd
    .uniform_work_group_size: 1
    .uses_dynamic_stack: false
    .vgpr_count:     0
    .vgpr_spill_count: 0
    .wavefront_size: 64
  - .agpr_count:     0
    .args:
      - .offset:         0
        .size:           144
        .value_kind:     by_value
    .group_segment_fixed_size: 0
    .kernarg_segment_align: 8
    .kernarg_segment_size: 144
    .language:       OpenCL C
    .language_version:
      - 2
      - 0
    .max_flat_workgroup_size: 256
    .name:           _ZN7rocprim17ROCPRIM_400000_NS6detail17trampoline_kernelINS0_14default_configENS1_25partition_config_selectorILNS1_17partition_subalgoE1ExNS0_10empty_typeEbEEZZNS1_14partition_implILS5_1ELb0ES3_jN6thrust23THRUST_200600_302600_NS6detail15normal_iteratorINSA_10device_ptrIxEEEEPS6_NSA_18transform_iteratorI7is_evenIxESF_NSA_11use_defaultESK_EENS0_5tupleIJSF_SF_EEENSM_IJSG_SG_EEES6_PlJS6_EEE10hipError_tPvRmT3_T4_T5_T6_T7_T9_mT8_P12ihipStream_tbDpT10_ENKUlT_T0_E_clISt17integral_constantIbLb1EES19_EEDaS14_S15_EUlS14_E_NS1_11comp_targetILNS1_3genE2ELNS1_11target_archE906ELNS1_3gpuE6ELNS1_3repE0EEENS1_30default_config_static_selectorELNS0_4arch9wavefront6targetE1EEEvT1_
    .private_segment_fixed_size: 0
    .sgpr_count:     6
    .sgpr_spill_count: 0
    .symbol:         _ZN7rocprim17ROCPRIM_400000_NS6detail17trampoline_kernelINS0_14default_configENS1_25partition_config_selectorILNS1_17partition_subalgoE1ExNS0_10empty_typeEbEEZZNS1_14partition_implILS5_1ELb0ES3_jN6thrust23THRUST_200600_302600_NS6detail15normal_iteratorINSA_10device_ptrIxEEEEPS6_NSA_18transform_iteratorI7is_evenIxESF_NSA_11use_defaultESK_EENS0_5tupleIJSF_SF_EEENSM_IJSG_SG_EEES6_PlJS6_EEE10hipError_tPvRmT3_T4_T5_T6_T7_T9_mT8_P12ihipStream_tbDpT10_ENKUlT_T0_E_clISt17integral_constantIbLb1EES19_EEDaS14_S15_EUlS14_E_NS1_11comp_targetILNS1_3genE2ELNS1_11target_archE906ELNS1_3gpuE6ELNS1_3repE0EEENS1_30default_config_static_selectorELNS0_4arch9wavefront6targetE1EEEvT1_.kd
    .uniform_work_group_size: 1
    .uses_dynamic_stack: false
    .vgpr_count:     0
    .vgpr_spill_count: 0
    .wavefront_size: 64
  - .agpr_count:     0
    .args:
      - .offset:         0
        .size:           144
        .value_kind:     by_value
    .group_segment_fixed_size: 0
    .kernarg_segment_align: 8
    .kernarg_segment_size: 144
    .language:       OpenCL C
    .language_version:
      - 2
      - 0
    .max_flat_workgroup_size: 256
    .name:           _ZN7rocprim17ROCPRIM_400000_NS6detail17trampoline_kernelINS0_14default_configENS1_25partition_config_selectorILNS1_17partition_subalgoE1ExNS0_10empty_typeEbEEZZNS1_14partition_implILS5_1ELb0ES3_jN6thrust23THRUST_200600_302600_NS6detail15normal_iteratorINSA_10device_ptrIxEEEEPS6_NSA_18transform_iteratorI7is_evenIxESF_NSA_11use_defaultESK_EENS0_5tupleIJSF_SF_EEENSM_IJSG_SG_EEES6_PlJS6_EEE10hipError_tPvRmT3_T4_T5_T6_T7_T9_mT8_P12ihipStream_tbDpT10_ENKUlT_T0_E_clISt17integral_constantIbLb1EES19_EEDaS14_S15_EUlS14_E_NS1_11comp_targetILNS1_3genE10ELNS1_11target_archE1200ELNS1_3gpuE4ELNS1_3repE0EEENS1_30default_config_static_selectorELNS0_4arch9wavefront6targetE1EEEvT1_
    .private_segment_fixed_size: 0
    .sgpr_count:     6
    .sgpr_spill_count: 0
    .symbol:         _ZN7rocprim17ROCPRIM_400000_NS6detail17trampoline_kernelINS0_14default_configENS1_25partition_config_selectorILNS1_17partition_subalgoE1ExNS0_10empty_typeEbEEZZNS1_14partition_implILS5_1ELb0ES3_jN6thrust23THRUST_200600_302600_NS6detail15normal_iteratorINSA_10device_ptrIxEEEEPS6_NSA_18transform_iteratorI7is_evenIxESF_NSA_11use_defaultESK_EENS0_5tupleIJSF_SF_EEENSM_IJSG_SG_EEES6_PlJS6_EEE10hipError_tPvRmT3_T4_T5_T6_T7_T9_mT8_P12ihipStream_tbDpT10_ENKUlT_T0_E_clISt17integral_constantIbLb1EES19_EEDaS14_S15_EUlS14_E_NS1_11comp_targetILNS1_3genE10ELNS1_11target_archE1200ELNS1_3gpuE4ELNS1_3repE0EEENS1_30default_config_static_selectorELNS0_4arch9wavefront6targetE1EEEvT1_.kd
    .uniform_work_group_size: 1
    .uses_dynamic_stack: false
    .vgpr_count:     0
    .vgpr_spill_count: 0
    .wavefront_size: 64
  - .agpr_count:     0
    .args:
      - .offset:         0
        .size:           144
        .value_kind:     by_value
    .group_segment_fixed_size: 0
    .kernarg_segment_align: 8
    .kernarg_segment_size: 144
    .language:       OpenCL C
    .language_version:
      - 2
      - 0
    .max_flat_workgroup_size: 128
    .name:           _ZN7rocprim17ROCPRIM_400000_NS6detail17trampoline_kernelINS0_14default_configENS1_25partition_config_selectorILNS1_17partition_subalgoE1ExNS0_10empty_typeEbEEZZNS1_14partition_implILS5_1ELb0ES3_jN6thrust23THRUST_200600_302600_NS6detail15normal_iteratorINSA_10device_ptrIxEEEEPS6_NSA_18transform_iteratorI7is_evenIxESF_NSA_11use_defaultESK_EENS0_5tupleIJSF_SF_EEENSM_IJSG_SG_EEES6_PlJS6_EEE10hipError_tPvRmT3_T4_T5_T6_T7_T9_mT8_P12ihipStream_tbDpT10_ENKUlT_T0_E_clISt17integral_constantIbLb1EES19_EEDaS14_S15_EUlS14_E_NS1_11comp_targetILNS1_3genE9ELNS1_11target_archE1100ELNS1_3gpuE3ELNS1_3repE0EEENS1_30default_config_static_selectorELNS0_4arch9wavefront6targetE1EEEvT1_
    .private_segment_fixed_size: 0
    .sgpr_count:     6
    .sgpr_spill_count: 0
    .symbol:         _ZN7rocprim17ROCPRIM_400000_NS6detail17trampoline_kernelINS0_14default_configENS1_25partition_config_selectorILNS1_17partition_subalgoE1ExNS0_10empty_typeEbEEZZNS1_14partition_implILS5_1ELb0ES3_jN6thrust23THRUST_200600_302600_NS6detail15normal_iteratorINSA_10device_ptrIxEEEEPS6_NSA_18transform_iteratorI7is_evenIxESF_NSA_11use_defaultESK_EENS0_5tupleIJSF_SF_EEENSM_IJSG_SG_EEES6_PlJS6_EEE10hipError_tPvRmT3_T4_T5_T6_T7_T9_mT8_P12ihipStream_tbDpT10_ENKUlT_T0_E_clISt17integral_constantIbLb1EES19_EEDaS14_S15_EUlS14_E_NS1_11comp_targetILNS1_3genE9ELNS1_11target_archE1100ELNS1_3gpuE3ELNS1_3repE0EEENS1_30default_config_static_selectorELNS0_4arch9wavefront6targetE1EEEvT1_.kd
    .uniform_work_group_size: 1
    .uses_dynamic_stack: false
    .vgpr_count:     0
    .vgpr_spill_count: 0
    .wavefront_size: 64
  - .agpr_count:     0
    .args:
      - .offset:         0
        .size:           144
        .value_kind:     by_value
    .group_segment_fixed_size: 0
    .kernarg_segment_align: 8
    .kernarg_segment_size: 144
    .language:       OpenCL C
    .language_version:
      - 2
      - 0
    .max_flat_workgroup_size: 512
    .name:           _ZN7rocprim17ROCPRIM_400000_NS6detail17trampoline_kernelINS0_14default_configENS1_25partition_config_selectorILNS1_17partition_subalgoE1ExNS0_10empty_typeEbEEZZNS1_14partition_implILS5_1ELb0ES3_jN6thrust23THRUST_200600_302600_NS6detail15normal_iteratorINSA_10device_ptrIxEEEEPS6_NSA_18transform_iteratorI7is_evenIxESF_NSA_11use_defaultESK_EENS0_5tupleIJSF_SF_EEENSM_IJSG_SG_EEES6_PlJS6_EEE10hipError_tPvRmT3_T4_T5_T6_T7_T9_mT8_P12ihipStream_tbDpT10_ENKUlT_T0_E_clISt17integral_constantIbLb1EES19_EEDaS14_S15_EUlS14_E_NS1_11comp_targetILNS1_3genE8ELNS1_11target_archE1030ELNS1_3gpuE2ELNS1_3repE0EEENS1_30default_config_static_selectorELNS0_4arch9wavefront6targetE1EEEvT1_
    .private_segment_fixed_size: 0
    .sgpr_count:     6
    .sgpr_spill_count: 0
    .symbol:         _ZN7rocprim17ROCPRIM_400000_NS6detail17trampoline_kernelINS0_14default_configENS1_25partition_config_selectorILNS1_17partition_subalgoE1ExNS0_10empty_typeEbEEZZNS1_14partition_implILS5_1ELb0ES3_jN6thrust23THRUST_200600_302600_NS6detail15normal_iteratorINSA_10device_ptrIxEEEEPS6_NSA_18transform_iteratorI7is_evenIxESF_NSA_11use_defaultESK_EENS0_5tupleIJSF_SF_EEENSM_IJSG_SG_EEES6_PlJS6_EEE10hipError_tPvRmT3_T4_T5_T6_T7_T9_mT8_P12ihipStream_tbDpT10_ENKUlT_T0_E_clISt17integral_constantIbLb1EES19_EEDaS14_S15_EUlS14_E_NS1_11comp_targetILNS1_3genE8ELNS1_11target_archE1030ELNS1_3gpuE2ELNS1_3repE0EEENS1_30default_config_static_selectorELNS0_4arch9wavefront6targetE1EEEvT1_.kd
    .uniform_work_group_size: 1
    .uses_dynamic_stack: false
    .vgpr_count:     0
    .vgpr_spill_count: 0
    .wavefront_size: 64
  - .agpr_count:     0
    .args:
      - .offset:         0
        .size:           128
        .value_kind:     by_value
    .group_segment_fixed_size: 0
    .kernarg_segment_align: 8
    .kernarg_segment_size: 128
    .language:       OpenCL C
    .language_version:
      - 2
      - 0
    .max_flat_workgroup_size: 128
    .name:           _ZN7rocprim17ROCPRIM_400000_NS6detail17trampoline_kernelINS0_14default_configENS1_25partition_config_selectorILNS1_17partition_subalgoE1ExNS0_10empty_typeEbEEZZNS1_14partition_implILS5_1ELb0ES3_jN6thrust23THRUST_200600_302600_NS6detail15normal_iteratorINSA_10device_ptrIxEEEEPS6_NSA_18transform_iteratorI7is_evenIxESF_NSA_11use_defaultESK_EENS0_5tupleIJSF_SF_EEENSM_IJSG_SG_EEES6_PlJS6_EEE10hipError_tPvRmT3_T4_T5_T6_T7_T9_mT8_P12ihipStream_tbDpT10_ENKUlT_T0_E_clISt17integral_constantIbLb1EES18_IbLb0EEEEDaS14_S15_EUlS14_E_NS1_11comp_targetILNS1_3genE0ELNS1_11target_archE4294967295ELNS1_3gpuE0ELNS1_3repE0EEENS1_30default_config_static_selectorELNS0_4arch9wavefront6targetE1EEEvT1_
    .private_segment_fixed_size: 0
    .sgpr_count:     6
    .sgpr_spill_count: 0
    .symbol:         _ZN7rocprim17ROCPRIM_400000_NS6detail17trampoline_kernelINS0_14default_configENS1_25partition_config_selectorILNS1_17partition_subalgoE1ExNS0_10empty_typeEbEEZZNS1_14partition_implILS5_1ELb0ES3_jN6thrust23THRUST_200600_302600_NS6detail15normal_iteratorINSA_10device_ptrIxEEEEPS6_NSA_18transform_iteratorI7is_evenIxESF_NSA_11use_defaultESK_EENS0_5tupleIJSF_SF_EEENSM_IJSG_SG_EEES6_PlJS6_EEE10hipError_tPvRmT3_T4_T5_T6_T7_T9_mT8_P12ihipStream_tbDpT10_ENKUlT_T0_E_clISt17integral_constantIbLb1EES18_IbLb0EEEEDaS14_S15_EUlS14_E_NS1_11comp_targetILNS1_3genE0ELNS1_11target_archE4294967295ELNS1_3gpuE0ELNS1_3repE0EEENS1_30default_config_static_selectorELNS0_4arch9wavefront6targetE1EEEvT1_.kd
    .uniform_work_group_size: 1
    .uses_dynamic_stack: false
    .vgpr_count:     0
    .vgpr_spill_count: 0
    .wavefront_size: 64
  - .agpr_count:     0
    .args:
      - .offset:         0
        .size:           128
        .value_kind:     by_value
    .group_segment_fixed_size: 28680
    .kernarg_segment_align: 8
    .kernarg_segment_size: 128
    .language:       OpenCL C
    .language_version:
      - 2
      - 0
    .max_flat_workgroup_size: 512
    .name:           _ZN7rocprim17ROCPRIM_400000_NS6detail17trampoline_kernelINS0_14default_configENS1_25partition_config_selectorILNS1_17partition_subalgoE1ExNS0_10empty_typeEbEEZZNS1_14partition_implILS5_1ELb0ES3_jN6thrust23THRUST_200600_302600_NS6detail15normal_iteratorINSA_10device_ptrIxEEEEPS6_NSA_18transform_iteratorI7is_evenIxESF_NSA_11use_defaultESK_EENS0_5tupleIJSF_SF_EEENSM_IJSG_SG_EEES6_PlJS6_EEE10hipError_tPvRmT3_T4_T5_T6_T7_T9_mT8_P12ihipStream_tbDpT10_ENKUlT_T0_E_clISt17integral_constantIbLb1EES18_IbLb0EEEEDaS14_S15_EUlS14_E_NS1_11comp_targetILNS1_3genE5ELNS1_11target_archE942ELNS1_3gpuE9ELNS1_3repE0EEENS1_30default_config_static_selectorELNS0_4arch9wavefront6targetE1EEEvT1_
    .private_segment_fixed_size: 0
    .sgpr_count:     50
    .sgpr_spill_count: 0
    .symbol:         _ZN7rocprim17ROCPRIM_400000_NS6detail17trampoline_kernelINS0_14default_configENS1_25partition_config_selectorILNS1_17partition_subalgoE1ExNS0_10empty_typeEbEEZZNS1_14partition_implILS5_1ELb0ES3_jN6thrust23THRUST_200600_302600_NS6detail15normal_iteratorINSA_10device_ptrIxEEEEPS6_NSA_18transform_iteratorI7is_evenIxESF_NSA_11use_defaultESK_EENS0_5tupleIJSF_SF_EEENSM_IJSG_SG_EEES6_PlJS6_EEE10hipError_tPvRmT3_T4_T5_T6_T7_T9_mT8_P12ihipStream_tbDpT10_ENKUlT_T0_E_clISt17integral_constantIbLb1EES18_IbLb0EEEEDaS14_S15_EUlS14_E_NS1_11comp_targetILNS1_3genE5ELNS1_11target_archE942ELNS1_3gpuE9ELNS1_3repE0EEENS1_30default_config_static_selectorELNS0_4arch9wavefront6targetE1EEEvT1_.kd
    .uniform_work_group_size: 1
    .uses_dynamic_stack: false
    .vgpr_count:     54
    .vgpr_spill_count: 0
    .wavefront_size: 64
  - .agpr_count:     0
    .args:
      - .offset:         0
        .size:           128
        .value_kind:     by_value
    .group_segment_fixed_size: 0
    .kernarg_segment_align: 8
    .kernarg_segment_size: 128
    .language:       OpenCL C
    .language_version:
      - 2
      - 0
    .max_flat_workgroup_size: 192
    .name:           _ZN7rocprim17ROCPRIM_400000_NS6detail17trampoline_kernelINS0_14default_configENS1_25partition_config_selectorILNS1_17partition_subalgoE1ExNS0_10empty_typeEbEEZZNS1_14partition_implILS5_1ELb0ES3_jN6thrust23THRUST_200600_302600_NS6detail15normal_iteratorINSA_10device_ptrIxEEEEPS6_NSA_18transform_iteratorI7is_evenIxESF_NSA_11use_defaultESK_EENS0_5tupleIJSF_SF_EEENSM_IJSG_SG_EEES6_PlJS6_EEE10hipError_tPvRmT3_T4_T5_T6_T7_T9_mT8_P12ihipStream_tbDpT10_ENKUlT_T0_E_clISt17integral_constantIbLb1EES18_IbLb0EEEEDaS14_S15_EUlS14_E_NS1_11comp_targetILNS1_3genE4ELNS1_11target_archE910ELNS1_3gpuE8ELNS1_3repE0EEENS1_30default_config_static_selectorELNS0_4arch9wavefront6targetE1EEEvT1_
    .private_segment_fixed_size: 0
    .sgpr_count:     6
    .sgpr_spill_count: 0
    .symbol:         _ZN7rocprim17ROCPRIM_400000_NS6detail17trampoline_kernelINS0_14default_configENS1_25partition_config_selectorILNS1_17partition_subalgoE1ExNS0_10empty_typeEbEEZZNS1_14partition_implILS5_1ELb0ES3_jN6thrust23THRUST_200600_302600_NS6detail15normal_iteratorINSA_10device_ptrIxEEEEPS6_NSA_18transform_iteratorI7is_evenIxESF_NSA_11use_defaultESK_EENS0_5tupleIJSF_SF_EEENSM_IJSG_SG_EEES6_PlJS6_EEE10hipError_tPvRmT3_T4_T5_T6_T7_T9_mT8_P12ihipStream_tbDpT10_ENKUlT_T0_E_clISt17integral_constantIbLb1EES18_IbLb0EEEEDaS14_S15_EUlS14_E_NS1_11comp_targetILNS1_3genE4ELNS1_11target_archE910ELNS1_3gpuE8ELNS1_3repE0EEENS1_30default_config_static_selectorELNS0_4arch9wavefront6targetE1EEEvT1_.kd
    .uniform_work_group_size: 1
    .uses_dynamic_stack: false
    .vgpr_count:     0
    .vgpr_spill_count: 0
    .wavefront_size: 64
  - .agpr_count:     0
    .args:
      - .offset:         0
        .size:           128
        .value_kind:     by_value
    .group_segment_fixed_size: 0
    .kernarg_segment_align: 8
    .kernarg_segment_size: 128
    .language:       OpenCL C
    .language_version:
      - 2
      - 0
    .max_flat_workgroup_size: 128
    .name:           _ZN7rocprim17ROCPRIM_400000_NS6detail17trampoline_kernelINS0_14default_configENS1_25partition_config_selectorILNS1_17partition_subalgoE1ExNS0_10empty_typeEbEEZZNS1_14partition_implILS5_1ELb0ES3_jN6thrust23THRUST_200600_302600_NS6detail15normal_iteratorINSA_10device_ptrIxEEEEPS6_NSA_18transform_iteratorI7is_evenIxESF_NSA_11use_defaultESK_EENS0_5tupleIJSF_SF_EEENSM_IJSG_SG_EEES6_PlJS6_EEE10hipError_tPvRmT3_T4_T5_T6_T7_T9_mT8_P12ihipStream_tbDpT10_ENKUlT_T0_E_clISt17integral_constantIbLb1EES18_IbLb0EEEEDaS14_S15_EUlS14_E_NS1_11comp_targetILNS1_3genE3ELNS1_11target_archE908ELNS1_3gpuE7ELNS1_3repE0EEENS1_30default_config_static_selectorELNS0_4arch9wavefront6targetE1EEEvT1_
    .private_segment_fixed_size: 0
    .sgpr_count:     6
    .sgpr_spill_count: 0
    .symbol:         _ZN7rocprim17ROCPRIM_400000_NS6detail17trampoline_kernelINS0_14default_configENS1_25partition_config_selectorILNS1_17partition_subalgoE1ExNS0_10empty_typeEbEEZZNS1_14partition_implILS5_1ELb0ES3_jN6thrust23THRUST_200600_302600_NS6detail15normal_iteratorINSA_10device_ptrIxEEEEPS6_NSA_18transform_iteratorI7is_evenIxESF_NSA_11use_defaultESK_EENS0_5tupleIJSF_SF_EEENSM_IJSG_SG_EEES6_PlJS6_EEE10hipError_tPvRmT3_T4_T5_T6_T7_T9_mT8_P12ihipStream_tbDpT10_ENKUlT_T0_E_clISt17integral_constantIbLb1EES18_IbLb0EEEEDaS14_S15_EUlS14_E_NS1_11comp_targetILNS1_3genE3ELNS1_11target_archE908ELNS1_3gpuE7ELNS1_3repE0EEENS1_30default_config_static_selectorELNS0_4arch9wavefront6targetE1EEEvT1_.kd
    .uniform_work_group_size: 1
    .uses_dynamic_stack: false
    .vgpr_count:     0
    .vgpr_spill_count: 0
    .wavefront_size: 64
  - .agpr_count:     0
    .args:
      - .offset:         0
        .size:           128
        .value_kind:     by_value
    .group_segment_fixed_size: 0
    .kernarg_segment_align: 8
    .kernarg_segment_size: 128
    .language:       OpenCL C
    .language_version:
      - 2
      - 0
    .max_flat_workgroup_size: 256
    .name:           _ZN7rocprim17ROCPRIM_400000_NS6detail17trampoline_kernelINS0_14default_configENS1_25partition_config_selectorILNS1_17partition_subalgoE1ExNS0_10empty_typeEbEEZZNS1_14partition_implILS5_1ELb0ES3_jN6thrust23THRUST_200600_302600_NS6detail15normal_iteratorINSA_10device_ptrIxEEEEPS6_NSA_18transform_iteratorI7is_evenIxESF_NSA_11use_defaultESK_EENS0_5tupleIJSF_SF_EEENSM_IJSG_SG_EEES6_PlJS6_EEE10hipError_tPvRmT3_T4_T5_T6_T7_T9_mT8_P12ihipStream_tbDpT10_ENKUlT_T0_E_clISt17integral_constantIbLb1EES18_IbLb0EEEEDaS14_S15_EUlS14_E_NS1_11comp_targetILNS1_3genE2ELNS1_11target_archE906ELNS1_3gpuE6ELNS1_3repE0EEENS1_30default_config_static_selectorELNS0_4arch9wavefront6targetE1EEEvT1_
    .private_segment_fixed_size: 0
    .sgpr_count:     6
    .sgpr_spill_count: 0
    .symbol:         _ZN7rocprim17ROCPRIM_400000_NS6detail17trampoline_kernelINS0_14default_configENS1_25partition_config_selectorILNS1_17partition_subalgoE1ExNS0_10empty_typeEbEEZZNS1_14partition_implILS5_1ELb0ES3_jN6thrust23THRUST_200600_302600_NS6detail15normal_iteratorINSA_10device_ptrIxEEEEPS6_NSA_18transform_iteratorI7is_evenIxESF_NSA_11use_defaultESK_EENS0_5tupleIJSF_SF_EEENSM_IJSG_SG_EEES6_PlJS6_EEE10hipError_tPvRmT3_T4_T5_T6_T7_T9_mT8_P12ihipStream_tbDpT10_ENKUlT_T0_E_clISt17integral_constantIbLb1EES18_IbLb0EEEEDaS14_S15_EUlS14_E_NS1_11comp_targetILNS1_3genE2ELNS1_11target_archE906ELNS1_3gpuE6ELNS1_3repE0EEENS1_30default_config_static_selectorELNS0_4arch9wavefront6targetE1EEEvT1_.kd
    .uniform_work_group_size: 1
    .uses_dynamic_stack: false
    .vgpr_count:     0
    .vgpr_spill_count: 0
    .wavefront_size: 64
  - .agpr_count:     0
    .args:
      - .offset:         0
        .size:           128
        .value_kind:     by_value
    .group_segment_fixed_size: 0
    .kernarg_segment_align: 8
    .kernarg_segment_size: 128
    .language:       OpenCL C
    .language_version:
      - 2
      - 0
    .max_flat_workgroup_size: 256
    .name:           _ZN7rocprim17ROCPRIM_400000_NS6detail17trampoline_kernelINS0_14default_configENS1_25partition_config_selectorILNS1_17partition_subalgoE1ExNS0_10empty_typeEbEEZZNS1_14partition_implILS5_1ELb0ES3_jN6thrust23THRUST_200600_302600_NS6detail15normal_iteratorINSA_10device_ptrIxEEEEPS6_NSA_18transform_iteratorI7is_evenIxESF_NSA_11use_defaultESK_EENS0_5tupleIJSF_SF_EEENSM_IJSG_SG_EEES6_PlJS6_EEE10hipError_tPvRmT3_T4_T5_T6_T7_T9_mT8_P12ihipStream_tbDpT10_ENKUlT_T0_E_clISt17integral_constantIbLb1EES18_IbLb0EEEEDaS14_S15_EUlS14_E_NS1_11comp_targetILNS1_3genE10ELNS1_11target_archE1200ELNS1_3gpuE4ELNS1_3repE0EEENS1_30default_config_static_selectorELNS0_4arch9wavefront6targetE1EEEvT1_
    .private_segment_fixed_size: 0
    .sgpr_count:     6
    .sgpr_spill_count: 0
    .symbol:         _ZN7rocprim17ROCPRIM_400000_NS6detail17trampoline_kernelINS0_14default_configENS1_25partition_config_selectorILNS1_17partition_subalgoE1ExNS0_10empty_typeEbEEZZNS1_14partition_implILS5_1ELb0ES3_jN6thrust23THRUST_200600_302600_NS6detail15normal_iteratorINSA_10device_ptrIxEEEEPS6_NSA_18transform_iteratorI7is_evenIxESF_NSA_11use_defaultESK_EENS0_5tupleIJSF_SF_EEENSM_IJSG_SG_EEES6_PlJS6_EEE10hipError_tPvRmT3_T4_T5_T6_T7_T9_mT8_P12ihipStream_tbDpT10_ENKUlT_T0_E_clISt17integral_constantIbLb1EES18_IbLb0EEEEDaS14_S15_EUlS14_E_NS1_11comp_targetILNS1_3genE10ELNS1_11target_archE1200ELNS1_3gpuE4ELNS1_3repE0EEENS1_30default_config_static_selectorELNS0_4arch9wavefront6targetE1EEEvT1_.kd
    .uniform_work_group_size: 1
    .uses_dynamic_stack: false
    .vgpr_count:     0
    .vgpr_spill_count: 0
    .wavefront_size: 64
  - .agpr_count:     0
    .args:
      - .offset:         0
        .size:           128
        .value_kind:     by_value
    .group_segment_fixed_size: 0
    .kernarg_segment_align: 8
    .kernarg_segment_size: 128
    .language:       OpenCL C
    .language_version:
      - 2
      - 0
    .max_flat_workgroup_size: 128
    .name:           _ZN7rocprim17ROCPRIM_400000_NS6detail17trampoline_kernelINS0_14default_configENS1_25partition_config_selectorILNS1_17partition_subalgoE1ExNS0_10empty_typeEbEEZZNS1_14partition_implILS5_1ELb0ES3_jN6thrust23THRUST_200600_302600_NS6detail15normal_iteratorINSA_10device_ptrIxEEEEPS6_NSA_18transform_iteratorI7is_evenIxESF_NSA_11use_defaultESK_EENS0_5tupleIJSF_SF_EEENSM_IJSG_SG_EEES6_PlJS6_EEE10hipError_tPvRmT3_T4_T5_T6_T7_T9_mT8_P12ihipStream_tbDpT10_ENKUlT_T0_E_clISt17integral_constantIbLb1EES18_IbLb0EEEEDaS14_S15_EUlS14_E_NS1_11comp_targetILNS1_3genE9ELNS1_11target_archE1100ELNS1_3gpuE3ELNS1_3repE0EEENS1_30default_config_static_selectorELNS0_4arch9wavefront6targetE1EEEvT1_
    .private_segment_fixed_size: 0
    .sgpr_count:     6
    .sgpr_spill_count: 0
    .symbol:         _ZN7rocprim17ROCPRIM_400000_NS6detail17trampoline_kernelINS0_14default_configENS1_25partition_config_selectorILNS1_17partition_subalgoE1ExNS0_10empty_typeEbEEZZNS1_14partition_implILS5_1ELb0ES3_jN6thrust23THRUST_200600_302600_NS6detail15normal_iteratorINSA_10device_ptrIxEEEEPS6_NSA_18transform_iteratorI7is_evenIxESF_NSA_11use_defaultESK_EENS0_5tupleIJSF_SF_EEENSM_IJSG_SG_EEES6_PlJS6_EEE10hipError_tPvRmT3_T4_T5_T6_T7_T9_mT8_P12ihipStream_tbDpT10_ENKUlT_T0_E_clISt17integral_constantIbLb1EES18_IbLb0EEEEDaS14_S15_EUlS14_E_NS1_11comp_targetILNS1_3genE9ELNS1_11target_archE1100ELNS1_3gpuE3ELNS1_3repE0EEENS1_30default_config_static_selectorELNS0_4arch9wavefront6targetE1EEEvT1_.kd
    .uniform_work_group_size: 1
    .uses_dynamic_stack: false
    .vgpr_count:     0
    .vgpr_spill_count: 0
    .wavefront_size: 64
  - .agpr_count:     0
    .args:
      - .offset:         0
        .size:           128
        .value_kind:     by_value
    .group_segment_fixed_size: 0
    .kernarg_segment_align: 8
    .kernarg_segment_size: 128
    .language:       OpenCL C
    .language_version:
      - 2
      - 0
    .max_flat_workgroup_size: 512
    .name:           _ZN7rocprim17ROCPRIM_400000_NS6detail17trampoline_kernelINS0_14default_configENS1_25partition_config_selectorILNS1_17partition_subalgoE1ExNS0_10empty_typeEbEEZZNS1_14partition_implILS5_1ELb0ES3_jN6thrust23THRUST_200600_302600_NS6detail15normal_iteratorINSA_10device_ptrIxEEEEPS6_NSA_18transform_iteratorI7is_evenIxESF_NSA_11use_defaultESK_EENS0_5tupleIJSF_SF_EEENSM_IJSG_SG_EEES6_PlJS6_EEE10hipError_tPvRmT3_T4_T5_T6_T7_T9_mT8_P12ihipStream_tbDpT10_ENKUlT_T0_E_clISt17integral_constantIbLb1EES18_IbLb0EEEEDaS14_S15_EUlS14_E_NS1_11comp_targetILNS1_3genE8ELNS1_11target_archE1030ELNS1_3gpuE2ELNS1_3repE0EEENS1_30default_config_static_selectorELNS0_4arch9wavefront6targetE1EEEvT1_
    .private_segment_fixed_size: 0
    .sgpr_count:     6
    .sgpr_spill_count: 0
    .symbol:         _ZN7rocprim17ROCPRIM_400000_NS6detail17trampoline_kernelINS0_14default_configENS1_25partition_config_selectorILNS1_17partition_subalgoE1ExNS0_10empty_typeEbEEZZNS1_14partition_implILS5_1ELb0ES3_jN6thrust23THRUST_200600_302600_NS6detail15normal_iteratorINSA_10device_ptrIxEEEEPS6_NSA_18transform_iteratorI7is_evenIxESF_NSA_11use_defaultESK_EENS0_5tupleIJSF_SF_EEENSM_IJSG_SG_EEES6_PlJS6_EEE10hipError_tPvRmT3_T4_T5_T6_T7_T9_mT8_P12ihipStream_tbDpT10_ENKUlT_T0_E_clISt17integral_constantIbLb1EES18_IbLb0EEEEDaS14_S15_EUlS14_E_NS1_11comp_targetILNS1_3genE8ELNS1_11target_archE1030ELNS1_3gpuE2ELNS1_3repE0EEENS1_30default_config_static_selectorELNS0_4arch9wavefront6targetE1EEEvT1_.kd
    .uniform_work_group_size: 1
    .uses_dynamic_stack: false
    .vgpr_count:     0
    .vgpr_spill_count: 0
    .wavefront_size: 64
  - .agpr_count:     0
    .args:
      - .offset:         0
        .size:           144
        .value_kind:     by_value
    .group_segment_fixed_size: 0
    .kernarg_segment_align: 8
    .kernarg_segment_size: 144
    .language:       OpenCL C
    .language_version:
      - 2
      - 0
    .max_flat_workgroup_size: 128
    .name:           _ZN7rocprim17ROCPRIM_400000_NS6detail17trampoline_kernelINS0_14default_configENS1_25partition_config_selectorILNS1_17partition_subalgoE1ExNS0_10empty_typeEbEEZZNS1_14partition_implILS5_1ELb0ES3_jN6thrust23THRUST_200600_302600_NS6detail15normal_iteratorINSA_10device_ptrIxEEEEPS6_NSA_18transform_iteratorI7is_evenIxESF_NSA_11use_defaultESK_EENS0_5tupleIJSF_SF_EEENSM_IJSG_SG_EEES6_PlJS6_EEE10hipError_tPvRmT3_T4_T5_T6_T7_T9_mT8_P12ihipStream_tbDpT10_ENKUlT_T0_E_clISt17integral_constantIbLb0EES18_IbLb1EEEEDaS14_S15_EUlS14_E_NS1_11comp_targetILNS1_3genE0ELNS1_11target_archE4294967295ELNS1_3gpuE0ELNS1_3repE0EEENS1_30default_config_static_selectorELNS0_4arch9wavefront6targetE1EEEvT1_
    .private_segment_fixed_size: 0
    .sgpr_count:     6
    .sgpr_spill_count: 0
    .symbol:         _ZN7rocprim17ROCPRIM_400000_NS6detail17trampoline_kernelINS0_14default_configENS1_25partition_config_selectorILNS1_17partition_subalgoE1ExNS0_10empty_typeEbEEZZNS1_14partition_implILS5_1ELb0ES3_jN6thrust23THRUST_200600_302600_NS6detail15normal_iteratorINSA_10device_ptrIxEEEEPS6_NSA_18transform_iteratorI7is_evenIxESF_NSA_11use_defaultESK_EENS0_5tupleIJSF_SF_EEENSM_IJSG_SG_EEES6_PlJS6_EEE10hipError_tPvRmT3_T4_T5_T6_T7_T9_mT8_P12ihipStream_tbDpT10_ENKUlT_T0_E_clISt17integral_constantIbLb0EES18_IbLb1EEEEDaS14_S15_EUlS14_E_NS1_11comp_targetILNS1_3genE0ELNS1_11target_archE4294967295ELNS1_3gpuE0ELNS1_3repE0EEENS1_30default_config_static_selectorELNS0_4arch9wavefront6targetE1EEEvT1_.kd
    .uniform_work_group_size: 1
    .uses_dynamic_stack: false
    .vgpr_count:     0
    .vgpr_spill_count: 0
    .wavefront_size: 64
  - .agpr_count:     0
    .args:
      - .offset:         0
        .size:           144
        .value_kind:     by_value
    .group_segment_fixed_size: 28680
    .kernarg_segment_align: 8
    .kernarg_segment_size: 144
    .language:       OpenCL C
    .language_version:
      - 2
      - 0
    .max_flat_workgroup_size: 512
    .name:           _ZN7rocprim17ROCPRIM_400000_NS6detail17trampoline_kernelINS0_14default_configENS1_25partition_config_selectorILNS1_17partition_subalgoE1ExNS0_10empty_typeEbEEZZNS1_14partition_implILS5_1ELb0ES3_jN6thrust23THRUST_200600_302600_NS6detail15normal_iteratorINSA_10device_ptrIxEEEEPS6_NSA_18transform_iteratorI7is_evenIxESF_NSA_11use_defaultESK_EENS0_5tupleIJSF_SF_EEENSM_IJSG_SG_EEES6_PlJS6_EEE10hipError_tPvRmT3_T4_T5_T6_T7_T9_mT8_P12ihipStream_tbDpT10_ENKUlT_T0_E_clISt17integral_constantIbLb0EES18_IbLb1EEEEDaS14_S15_EUlS14_E_NS1_11comp_targetILNS1_3genE5ELNS1_11target_archE942ELNS1_3gpuE9ELNS1_3repE0EEENS1_30default_config_static_selectorELNS0_4arch9wavefront6targetE1EEEvT1_
    .private_segment_fixed_size: 0
    .sgpr_count:     50
    .sgpr_spill_count: 0
    .symbol:         _ZN7rocprim17ROCPRIM_400000_NS6detail17trampoline_kernelINS0_14default_configENS1_25partition_config_selectorILNS1_17partition_subalgoE1ExNS0_10empty_typeEbEEZZNS1_14partition_implILS5_1ELb0ES3_jN6thrust23THRUST_200600_302600_NS6detail15normal_iteratorINSA_10device_ptrIxEEEEPS6_NSA_18transform_iteratorI7is_evenIxESF_NSA_11use_defaultESK_EENS0_5tupleIJSF_SF_EEENSM_IJSG_SG_EEES6_PlJS6_EEE10hipError_tPvRmT3_T4_T5_T6_T7_T9_mT8_P12ihipStream_tbDpT10_ENKUlT_T0_E_clISt17integral_constantIbLb0EES18_IbLb1EEEEDaS14_S15_EUlS14_E_NS1_11comp_targetILNS1_3genE5ELNS1_11target_archE942ELNS1_3gpuE9ELNS1_3repE0EEENS1_30default_config_static_selectorELNS0_4arch9wavefront6targetE1EEEvT1_.kd
    .uniform_work_group_size: 1
    .uses_dynamic_stack: false
    .vgpr_count:     58
    .vgpr_spill_count: 0
    .wavefront_size: 64
  - .agpr_count:     0
    .args:
      - .offset:         0
        .size:           144
        .value_kind:     by_value
    .group_segment_fixed_size: 0
    .kernarg_segment_align: 8
    .kernarg_segment_size: 144
    .language:       OpenCL C
    .language_version:
      - 2
      - 0
    .max_flat_workgroup_size: 192
    .name:           _ZN7rocprim17ROCPRIM_400000_NS6detail17trampoline_kernelINS0_14default_configENS1_25partition_config_selectorILNS1_17partition_subalgoE1ExNS0_10empty_typeEbEEZZNS1_14partition_implILS5_1ELb0ES3_jN6thrust23THRUST_200600_302600_NS6detail15normal_iteratorINSA_10device_ptrIxEEEEPS6_NSA_18transform_iteratorI7is_evenIxESF_NSA_11use_defaultESK_EENS0_5tupleIJSF_SF_EEENSM_IJSG_SG_EEES6_PlJS6_EEE10hipError_tPvRmT3_T4_T5_T6_T7_T9_mT8_P12ihipStream_tbDpT10_ENKUlT_T0_E_clISt17integral_constantIbLb0EES18_IbLb1EEEEDaS14_S15_EUlS14_E_NS1_11comp_targetILNS1_3genE4ELNS1_11target_archE910ELNS1_3gpuE8ELNS1_3repE0EEENS1_30default_config_static_selectorELNS0_4arch9wavefront6targetE1EEEvT1_
    .private_segment_fixed_size: 0
    .sgpr_count:     6
    .sgpr_spill_count: 0
    .symbol:         _ZN7rocprim17ROCPRIM_400000_NS6detail17trampoline_kernelINS0_14default_configENS1_25partition_config_selectorILNS1_17partition_subalgoE1ExNS0_10empty_typeEbEEZZNS1_14partition_implILS5_1ELb0ES3_jN6thrust23THRUST_200600_302600_NS6detail15normal_iteratorINSA_10device_ptrIxEEEEPS6_NSA_18transform_iteratorI7is_evenIxESF_NSA_11use_defaultESK_EENS0_5tupleIJSF_SF_EEENSM_IJSG_SG_EEES6_PlJS6_EEE10hipError_tPvRmT3_T4_T5_T6_T7_T9_mT8_P12ihipStream_tbDpT10_ENKUlT_T0_E_clISt17integral_constantIbLb0EES18_IbLb1EEEEDaS14_S15_EUlS14_E_NS1_11comp_targetILNS1_3genE4ELNS1_11target_archE910ELNS1_3gpuE8ELNS1_3repE0EEENS1_30default_config_static_selectorELNS0_4arch9wavefront6targetE1EEEvT1_.kd
    .uniform_work_group_size: 1
    .uses_dynamic_stack: false
    .vgpr_count:     0
    .vgpr_spill_count: 0
    .wavefront_size: 64
  - .agpr_count:     0
    .args:
      - .offset:         0
        .size:           144
        .value_kind:     by_value
    .group_segment_fixed_size: 0
    .kernarg_segment_align: 8
    .kernarg_segment_size: 144
    .language:       OpenCL C
    .language_version:
      - 2
      - 0
    .max_flat_workgroup_size: 128
    .name:           _ZN7rocprim17ROCPRIM_400000_NS6detail17trampoline_kernelINS0_14default_configENS1_25partition_config_selectorILNS1_17partition_subalgoE1ExNS0_10empty_typeEbEEZZNS1_14partition_implILS5_1ELb0ES3_jN6thrust23THRUST_200600_302600_NS6detail15normal_iteratorINSA_10device_ptrIxEEEEPS6_NSA_18transform_iteratorI7is_evenIxESF_NSA_11use_defaultESK_EENS0_5tupleIJSF_SF_EEENSM_IJSG_SG_EEES6_PlJS6_EEE10hipError_tPvRmT3_T4_T5_T6_T7_T9_mT8_P12ihipStream_tbDpT10_ENKUlT_T0_E_clISt17integral_constantIbLb0EES18_IbLb1EEEEDaS14_S15_EUlS14_E_NS1_11comp_targetILNS1_3genE3ELNS1_11target_archE908ELNS1_3gpuE7ELNS1_3repE0EEENS1_30default_config_static_selectorELNS0_4arch9wavefront6targetE1EEEvT1_
    .private_segment_fixed_size: 0
    .sgpr_count:     6
    .sgpr_spill_count: 0
    .symbol:         _ZN7rocprim17ROCPRIM_400000_NS6detail17trampoline_kernelINS0_14default_configENS1_25partition_config_selectorILNS1_17partition_subalgoE1ExNS0_10empty_typeEbEEZZNS1_14partition_implILS5_1ELb0ES3_jN6thrust23THRUST_200600_302600_NS6detail15normal_iteratorINSA_10device_ptrIxEEEEPS6_NSA_18transform_iteratorI7is_evenIxESF_NSA_11use_defaultESK_EENS0_5tupleIJSF_SF_EEENSM_IJSG_SG_EEES6_PlJS6_EEE10hipError_tPvRmT3_T4_T5_T6_T7_T9_mT8_P12ihipStream_tbDpT10_ENKUlT_T0_E_clISt17integral_constantIbLb0EES18_IbLb1EEEEDaS14_S15_EUlS14_E_NS1_11comp_targetILNS1_3genE3ELNS1_11target_archE908ELNS1_3gpuE7ELNS1_3repE0EEENS1_30default_config_static_selectorELNS0_4arch9wavefront6targetE1EEEvT1_.kd
    .uniform_work_group_size: 1
    .uses_dynamic_stack: false
    .vgpr_count:     0
    .vgpr_spill_count: 0
    .wavefront_size: 64
  - .agpr_count:     0
    .args:
      - .offset:         0
        .size:           144
        .value_kind:     by_value
    .group_segment_fixed_size: 0
    .kernarg_segment_align: 8
    .kernarg_segment_size: 144
    .language:       OpenCL C
    .language_version:
      - 2
      - 0
    .max_flat_workgroup_size: 256
    .name:           _ZN7rocprim17ROCPRIM_400000_NS6detail17trampoline_kernelINS0_14default_configENS1_25partition_config_selectorILNS1_17partition_subalgoE1ExNS0_10empty_typeEbEEZZNS1_14partition_implILS5_1ELb0ES3_jN6thrust23THRUST_200600_302600_NS6detail15normal_iteratorINSA_10device_ptrIxEEEEPS6_NSA_18transform_iteratorI7is_evenIxESF_NSA_11use_defaultESK_EENS0_5tupleIJSF_SF_EEENSM_IJSG_SG_EEES6_PlJS6_EEE10hipError_tPvRmT3_T4_T5_T6_T7_T9_mT8_P12ihipStream_tbDpT10_ENKUlT_T0_E_clISt17integral_constantIbLb0EES18_IbLb1EEEEDaS14_S15_EUlS14_E_NS1_11comp_targetILNS1_3genE2ELNS1_11target_archE906ELNS1_3gpuE6ELNS1_3repE0EEENS1_30default_config_static_selectorELNS0_4arch9wavefront6targetE1EEEvT1_
    .private_segment_fixed_size: 0
    .sgpr_count:     6
    .sgpr_spill_count: 0
    .symbol:         _ZN7rocprim17ROCPRIM_400000_NS6detail17trampoline_kernelINS0_14default_configENS1_25partition_config_selectorILNS1_17partition_subalgoE1ExNS0_10empty_typeEbEEZZNS1_14partition_implILS5_1ELb0ES3_jN6thrust23THRUST_200600_302600_NS6detail15normal_iteratorINSA_10device_ptrIxEEEEPS6_NSA_18transform_iteratorI7is_evenIxESF_NSA_11use_defaultESK_EENS0_5tupleIJSF_SF_EEENSM_IJSG_SG_EEES6_PlJS6_EEE10hipError_tPvRmT3_T4_T5_T6_T7_T9_mT8_P12ihipStream_tbDpT10_ENKUlT_T0_E_clISt17integral_constantIbLb0EES18_IbLb1EEEEDaS14_S15_EUlS14_E_NS1_11comp_targetILNS1_3genE2ELNS1_11target_archE906ELNS1_3gpuE6ELNS1_3repE0EEENS1_30default_config_static_selectorELNS0_4arch9wavefront6targetE1EEEvT1_.kd
    .uniform_work_group_size: 1
    .uses_dynamic_stack: false
    .vgpr_count:     0
    .vgpr_spill_count: 0
    .wavefront_size: 64
  - .agpr_count:     0
    .args:
      - .offset:         0
        .size:           144
        .value_kind:     by_value
    .group_segment_fixed_size: 0
    .kernarg_segment_align: 8
    .kernarg_segment_size: 144
    .language:       OpenCL C
    .language_version:
      - 2
      - 0
    .max_flat_workgroup_size: 256
    .name:           _ZN7rocprim17ROCPRIM_400000_NS6detail17trampoline_kernelINS0_14default_configENS1_25partition_config_selectorILNS1_17partition_subalgoE1ExNS0_10empty_typeEbEEZZNS1_14partition_implILS5_1ELb0ES3_jN6thrust23THRUST_200600_302600_NS6detail15normal_iteratorINSA_10device_ptrIxEEEEPS6_NSA_18transform_iteratorI7is_evenIxESF_NSA_11use_defaultESK_EENS0_5tupleIJSF_SF_EEENSM_IJSG_SG_EEES6_PlJS6_EEE10hipError_tPvRmT3_T4_T5_T6_T7_T9_mT8_P12ihipStream_tbDpT10_ENKUlT_T0_E_clISt17integral_constantIbLb0EES18_IbLb1EEEEDaS14_S15_EUlS14_E_NS1_11comp_targetILNS1_3genE10ELNS1_11target_archE1200ELNS1_3gpuE4ELNS1_3repE0EEENS1_30default_config_static_selectorELNS0_4arch9wavefront6targetE1EEEvT1_
    .private_segment_fixed_size: 0
    .sgpr_count:     6
    .sgpr_spill_count: 0
    .symbol:         _ZN7rocprim17ROCPRIM_400000_NS6detail17trampoline_kernelINS0_14default_configENS1_25partition_config_selectorILNS1_17partition_subalgoE1ExNS0_10empty_typeEbEEZZNS1_14partition_implILS5_1ELb0ES3_jN6thrust23THRUST_200600_302600_NS6detail15normal_iteratorINSA_10device_ptrIxEEEEPS6_NSA_18transform_iteratorI7is_evenIxESF_NSA_11use_defaultESK_EENS0_5tupleIJSF_SF_EEENSM_IJSG_SG_EEES6_PlJS6_EEE10hipError_tPvRmT3_T4_T5_T6_T7_T9_mT8_P12ihipStream_tbDpT10_ENKUlT_T0_E_clISt17integral_constantIbLb0EES18_IbLb1EEEEDaS14_S15_EUlS14_E_NS1_11comp_targetILNS1_3genE10ELNS1_11target_archE1200ELNS1_3gpuE4ELNS1_3repE0EEENS1_30default_config_static_selectorELNS0_4arch9wavefront6targetE1EEEvT1_.kd
    .uniform_work_group_size: 1
    .uses_dynamic_stack: false
    .vgpr_count:     0
    .vgpr_spill_count: 0
    .wavefront_size: 64
  - .agpr_count:     0
    .args:
      - .offset:         0
        .size:           144
        .value_kind:     by_value
    .group_segment_fixed_size: 0
    .kernarg_segment_align: 8
    .kernarg_segment_size: 144
    .language:       OpenCL C
    .language_version:
      - 2
      - 0
    .max_flat_workgroup_size: 128
    .name:           _ZN7rocprim17ROCPRIM_400000_NS6detail17trampoline_kernelINS0_14default_configENS1_25partition_config_selectorILNS1_17partition_subalgoE1ExNS0_10empty_typeEbEEZZNS1_14partition_implILS5_1ELb0ES3_jN6thrust23THRUST_200600_302600_NS6detail15normal_iteratorINSA_10device_ptrIxEEEEPS6_NSA_18transform_iteratorI7is_evenIxESF_NSA_11use_defaultESK_EENS0_5tupleIJSF_SF_EEENSM_IJSG_SG_EEES6_PlJS6_EEE10hipError_tPvRmT3_T4_T5_T6_T7_T9_mT8_P12ihipStream_tbDpT10_ENKUlT_T0_E_clISt17integral_constantIbLb0EES18_IbLb1EEEEDaS14_S15_EUlS14_E_NS1_11comp_targetILNS1_3genE9ELNS1_11target_archE1100ELNS1_3gpuE3ELNS1_3repE0EEENS1_30default_config_static_selectorELNS0_4arch9wavefront6targetE1EEEvT1_
    .private_segment_fixed_size: 0
    .sgpr_count:     6
    .sgpr_spill_count: 0
    .symbol:         _ZN7rocprim17ROCPRIM_400000_NS6detail17trampoline_kernelINS0_14default_configENS1_25partition_config_selectorILNS1_17partition_subalgoE1ExNS0_10empty_typeEbEEZZNS1_14partition_implILS5_1ELb0ES3_jN6thrust23THRUST_200600_302600_NS6detail15normal_iteratorINSA_10device_ptrIxEEEEPS6_NSA_18transform_iteratorI7is_evenIxESF_NSA_11use_defaultESK_EENS0_5tupleIJSF_SF_EEENSM_IJSG_SG_EEES6_PlJS6_EEE10hipError_tPvRmT3_T4_T5_T6_T7_T9_mT8_P12ihipStream_tbDpT10_ENKUlT_T0_E_clISt17integral_constantIbLb0EES18_IbLb1EEEEDaS14_S15_EUlS14_E_NS1_11comp_targetILNS1_3genE9ELNS1_11target_archE1100ELNS1_3gpuE3ELNS1_3repE0EEENS1_30default_config_static_selectorELNS0_4arch9wavefront6targetE1EEEvT1_.kd
    .uniform_work_group_size: 1
    .uses_dynamic_stack: false
    .vgpr_count:     0
    .vgpr_spill_count: 0
    .wavefront_size: 64
  - .agpr_count:     0
    .args:
      - .offset:         0
        .size:           144
        .value_kind:     by_value
    .group_segment_fixed_size: 0
    .kernarg_segment_align: 8
    .kernarg_segment_size: 144
    .language:       OpenCL C
    .language_version:
      - 2
      - 0
    .max_flat_workgroup_size: 512
    .name:           _ZN7rocprim17ROCPRIM_400000_NS6detail17trampoline_kernelINS0_14default_configENS1_25partition_config_selectorILNS1_17partition_subalgoE1ExNS0_10empty_typeEbEEZZNS1_14partition_implILS5_1ELb0ES3_jN6thrust23THRUST_200600_302600_NS6detail15normal_iteratorINSA_10device_ptrIxEEEEPS6_NSA_18transform_iteratorI7is_evenIxESF_NSA_11use_defaultESK_EENS0_5tupleIJSF_SF_EEENSM_IJSG_SG_EEES6_PlJS6_EEE10hipError_tPvRmT3_T4_T5_T6_T7_T9_mT8_P12ihipStream_tbDpT10_ENKUlT_T0_E_clISt17integral_constantIbLb0EES18_IbLb1EEEEDaS14_S15_EUlS14_E_NS1_11comp_targetILNS1_3genE8ELNS1_11target_archE1030ELNS1_3gpuE2ELNS1_3repE0EEENS1_30default_config_static_selectorELNS0_4arch9wavefront6targetE1EEEvT1_
    .private_segment_fixed_size: 0
    .sgpr_count:     6
    .sgpr_spill_count: 0
    .symbol:         _ZN7rocprim17ROCPRIM_400000_NS6detail17trampoline_kernelINS0_14default_configENS1_25partition_config_selectorILNS1_17partition_subalgoE1ExNS0_10empty_typeEbEEZZNS1_14partition_implILS5_1ELb0ES3_jN6thrust23THRUST_200600_302600_NS6detail15normal_iteratorINSA_10device_ptrIxEEEEPS6_NSA_18transform_iteratorI7is_evenIxESF_NSA_11use_defaultESK_EENS0_5tupleIJSF_SF_EEENSM_IJSG_SG_EEES6_PlJS6_EEE10hipError_tPvRmT3_T4_T5_T6_T7_T9_mT8_P12ihipStream_tbDpT10_ENKUlT_T0_E_clISt17integral_constantIbLb0EES18_IbLb1EEEEDaS14_S15_EUlS14_E_NS1_11comp_targetILNS1_3genE8ELNS1_11target_archE1030ELNS1_3gpuE2ELNS1_3repE0EEENS1_30default_config_static_selectorELNS0_4arch9wavefront6targetE1EEEvT1_.kd
    .uniform_work_group_size: 1
    .uses_dynamic_stack: false
    .vgpr_count:     0
    .vgpr_spill_count: 0
    .wavefront_size: 64
  - .agpr_count:     0
    .args:
      - .offset:         0
        .size:           128
        .value_kind:     by_value
    .group_segment_fixed_size: 0
    .kernarg_segment_align: 8
    .kernarg_segment_size: 128
    .language:       OpenCL C
    .language_version:
      - 2
      - 0
    .max_flat_workgroup_size: 256
    .name:           _ZN7rocprim17ROCPRIM_400000_NS6detail17trampoline_kernelINS0_14default_configENS1_25partition_config_selectorILNS1_17partition_subalgoE1EiNS0_10empty_typeEbEEZZNS1_14partition_implILS5_1ELb0ES3_jN6thrust23THRUST_200600_302600_NS6detail15normal_iteratorINSA_10device_ptrIiEEEEPS6_NSA_18transform_iteratorI7is_evenIiESF_NSA_11use_defaultESK_EENS0_5tupleIJSF_SF_EEENSM_IJSG_SG_EEES6_PlJS6_EEE10hipError_tPvRmT3_T4_T5_T6_T7_T9_mT8_P12ihipStream_tbDpT10_ENKUlT_T0_E_clISt17integral_constantIbLb0EES19_EEDaS14_S15_EUlS14_E_NS1_11comp_targetILNS1_3genE0ELNS1_11target_archE4294967295ELNS1_3gpuE0ELNS1_3repE0EEENS1_30default_config_static_selectorELNS0_4arch9wavefront6targetE1EEEvT1_
    .private_segment_fixed_size: 0
    .sgpr_count:     6
    .sgpr_spill_count: 0
    .symbol:         _ZN7rocprim17ROCPRIM_400000_NS6detail17trampoline_kernelINS0_14default_configENS1_25partition_config_selectorILNS1_17partition_subalgoE1EiNS0_10empty_typeEbEEZZNS1_14partition_implILS5_1ELb0ES3_jN6thrust23THRUST_200600_302600_NS6detail15normal_iteratorINSA_10device_ptrIiEEEEPS6_NSA_18transform_iteratorI7is_evenIiESF_NSA_11use_defaultESK_EENS0_5tupleIJSF_SF_EEENSM_IJSG_SG_EEES6_PlJS6_EEE10hipError_tPvRmT3_T4_T5_T6_T7_T9_mT8_P12ihipStream_tbDpT10_ENKUlT_T0_E_clISt17integral_constantIbLb0EES19_EEDaS14_S15_EUlS14_E_NS1_11comp_targetILNS1_3genE0ELNS1_11target_archE4294967295ELNS1_3gpuE0ELNS1_3repE0EEENS1_30default_config_static_selectorELNS0_4arch9wavefront6targetE1EEEvT1_.kd
    .uniform_work_group_size: 1
    .uses_dynamic_stack: false
    .vgpr_count:     0
    .vgpr_spill_count: 0
    .wavefront_size: 64
  - .agpr_count:     0
    .args:
      - .offset:         0
        .size:           128
        .value_kind:     by_value
    .group_segment_fixed_size: 30728
    .kernarg_segment_align: 8
    .kernarg_segment_size: 128
    .language:       OpenCL C
    .language_version:
      - 2
      - 0
    .max_flat_workgroup_size: 512
    .name:           _ZN7rocprim17ROCPRIM_400000_NS6detail17trampoline_kernelINS0_14default_configENS1_25partition_config_selectorILNS1_17partition_subalgoE1EiNS0_10empty_typeEbEEZZNS1_14partition_implILS5_1ELb0ES3_jN6thrust23THRUST_200600_302600_NS6detail15normal_iteratorINSA_10device_ptrIiEEEEPS6_NSA_18transform_iteratorI7is_evenIiESF_NSA_11use_defaultESK_EENS0_5tupleIJSF_SF_EEENSM_IJSG_SG_EEES6_PlJS6_EEE10hipError_tPvRmT3_T4_T5_T6_T7_T9_mT8_P12ihipStream_tbDpT10_ENKUlT_T0_E_clISt17integral_constantIbLb0EES19_EEDaS14_S15_EUlS14_E_NS1_11comp_targetILNS1_3genE5ELNS1_11target_archE942ELNS1_3gpuE9ELNS1_3repE0EEENS1_30default_config_static_selectorELNS0_4arch9wavefront6targetE1EEEvT1_
    .private_segment_fixed_size: 0
    .sgpr_count:     50
    .sgpr_spill_count: 0
    .symbol:         _ZN7rocprim17ROCPRIM_400000_NS6detail17trampoline_kernelINS0_14default_configENS1_25partition_config_selectorILNS1_17partition_subalgoE1EiNS0_10empty_typeEbEEZZNS1_14partition_implILS5_1ELb0ES3_jN6thrust23THRUST_200600_302600_NS6detail15normal_iteratorINSA_10device_ptrIiEEEEPS6_NSA_18transform_iteratorI7is_evenIiESF_NSA_11use_defaultESK_EENS0_5tupleIJSF_SF_EEENSM_IJSG_SG_EEES6_PlJS6_EEE10hipError_tPvRmT3_T4_T5_T6_T7_T9_mT8_P12ihipStream_tbDpT10_ENKUlT_T0_E_clISt17integral_constantIbLb0EES19_EEDaS14_S15_EUlS14_E_NS1_11comp_targetILNS1_3genE5ELNS1_11target_archE942ELNS1_3gpuE9ELNS1_3repE0EEENS1_30default_config_static_selectorELNS0_4arch9wavefront6targetE1EEEvT1_.kd
    .uniform_work_group_size: 1
    .uses_dynamic_stack: false
    .vgpr_count:     65
    .vgpr_spill_count: 0
    .wavefront_size: 64
  - .agpr_count:     0
    .args:
      - .offset:         0
        .size:           128
        .value_kind:     by_value
    .group_segment_fixed_size: 0
    .kernarg_segment_align: 8
    .kernarg_segment_size: 128
    .language:       OpenCL C
    .language_version:
      - 2
      - 0
    .max_flat_workgroup_size: 256
    .name:           _ZN7rocprim17ROCPRIM_400000_NS6detail17trampoline_kernelINS0_14default_configENS1_25partition_config_selectorILNS1_17partition_subalgoE1EiNS0_10empty_typeEbEEZZNS1_14partition_implILS5_1ELb0ES3_jN6thrust23THRUST_200600_302600_NS6detail15normal_iteratorINSA_10device_ptrIiEEEEPS6_NSA_18transform_iteratorI7is_evenIiESF_NSA_11use_defaultESK_EENS0_5tupleIJSF_SF_EEENSM_IJSG_SG_EEES6_PlJS6_EEE10hipError_tPvRmT3_T4_T5_T6_T7_T9_mT8_P12ihipStream_tbDpT10_ENKUlT_T0_E_clISt17integral_constantIbLb0EES19_EEDaS14_S15_EUlS14_E_NS1_11comp_targetILNS1_3genE4ELNS1_11target_archE910ELNS1_3gpuE8ELNS1_3repE0EEENS1_30default_config_static_selectorELNS0_4arch9wavefront6targetE1EEEvT1_
    .private_segment_fixed_size: 0
    .sgpr_count:     6
    .sgpr_spill_count: 0
    .symbol:         _ZN7rocprim17ROCPRIM_400000_NS6detail17trampoline_kernelINS0_14default_configENS1_25partition_config_selectorILNS1_17partition_subalgoE1EiNS0_10empty_typeEbEEZZNS1_14partition_implILS5_1ELb0ES3_jN6thrust23THRUST_200600_302600_NS6detail15normal_iteratorINSA_10device_ptrIiEEEEPS6_NSA_18transform_iteratorI7is_evenIiESF_NSA_11use_defaultESK_EENS0_5tupleIJSF_SF_EEENSM_IJSG_SG_EEES6_PlJS6_EEE10hipError_tPvRmT3_T4_T5_T6_T7_T9_mT8_P12ihipStream_tbDpT10_ENKUlT_T0_E_clISt17integral_constantIbLb0EES19_EEDaS14_S15_EUlS14_E_NS1_11comp_targetILNS1_3genE4ELNS1_11target_archE910ELNS1_3gpuE8ELNS1_3repE0EEENS1_30default_config_static_selectorELNS0_4arch9wavefront6targetE1EEEvT1_.kd
    .uniform_work_group_size: 1
    .uses_dynamic_stack: false
    .vgpr_count:     0
    .vgpr_spill_count: 0
    .wavefront_size: 64
  - .agpr_count:     0
    .args:
      - .offset:         0
        .size:           128
        .value_kind:     by_value
    .group_segment_fixed_size: 0
    .kernarg_segment_align: 8
    .kernarg_segment_size: 128
    .language:       OpenCL C
    .language_version:
      - 2
      - 0
    .max_flat_workgroup_size: 256
    .name:           _ZN7rocprim17ROCPRIM_400000_NS6detail17trampoline_kernelINS0_14default_configENS1_25partition_config_selectorILNS1_17partition_subalgoE1EiNS0_10empty_typeEbEEZZNS1_14partition_implILS5_1ELb0ES3_jN6thrust23THRUST_200600_302600_NS6detail15normal_iteratorINSA_10device_ptrIiEEEEPS6_NSA_18transform_iteratorI7is_evenIiESF_NSA_11use_defaultESK_EENS0_5tupleIJSF_SF_EEENSM_IJSG_SG_EEES6_PlJS6_EEE10hipError_tPvRmT3_T4_T5_T6_T7_T9_mT8_P12ihipStream_tbDpT10_ENKUlT_T0_E_clISt17integral_constantIbLb0EES19_EEDaS14_S15_EUlS14_E_NS1_11comp_targetILNS1_3genE3ELNS1_11target_archE908ELNS1_3gpuE7ELNS1_3repE0EEENS1_30default_config_static_selectorELNS0_4arch9wavefront6targetE1EEEvT1_
    .private_segment_fixed_size: 0
    .sgpr_count:     6
    .sgpr_spill_count: 0
    .symbol:         _ZN7rocprim17ROCPRIM_400000_NS6detail17trampoline_kernelINS0_14default_configENS1_25partition_config_selectorILNS1_17partition_subalgoE1EiNS0_10empty_typeEbEEZZNS1_14partition_implILS5_1ELb0ES3_jN6thrust23THRUST_200600_302600_NS6detail15normal_iteratorINSA_10device_ptrIiEEEEPS6_NSA_18transform_iteratorI7is_evenIiESF_NSA_11use_defaultESK_EENS0_5tupleIJSF_SF_EEENSM_IJSG_SG_EEES6_PlJS6_EEE10hipError_tPvRmT3_T4_T5_T6_T7_T9_mT8_P12ihipStream_tbDpT10_ENKUlT_T0_E_clISt17integral_constantIbLb0EES19_EEDaS14_S15_EUlS14_E_NS1_11comp_targetILNS1_3genE3ELNS1_11target_archE908ELNS1_3gpuE7ELNS1_3repE0EEENS1_30default_config_static_selectorELNS0_4arch9wavefront6targetE1EEEvT1_.kd
    .uniform_work_group_size: 1
    .uses_dynamic_stack: false
    .vgpr_count:     0
    .vgpr_spill_count: 0
    .wavefront_size: 64
  - .agpr_count:     0
    .args:
      - .offset:         0
        .size:           128
        .value_kind:     by_value
    .group_segment_fixed_size: 0
    .kernarg_segment_align: 8
    .kernarg_segment_size: 128
    .language:       OpenCL C
    .language_version:
      - 2
      - 0
    .max_flat_workgroup_size: 256
    .name:           _ZN7rocprim17ROCPRIM_400000_NS6detail17trampoline_kernelINS0_14default_configENS1_25partition_config_selectorILNS1_17partition_subalgoE1EiNS0_10empty_typeEbEEZZNS1_14partition_implILS5_1ELb0ES3_jN6thrust23THRUST_200600_302600_NS6detail15normal_iteratorINSA_10device_ptrIiEEEEPS6_NSA_18transform_iteratorI7is_evenIiESF_NSA_11use_defaultESK_EENS0_5tupleIJSF_SF_EEENSM_IJSG_SG_EEES6_PlJS6_EEE10hipError_tPvRmT3_T4_T5_T6_T7_T9_mT8_P12ihipStream_tbDpT10_ENKUlT_T0_E_clISt17integral_constantIbLb0EES19_EEDaS14_S15_EUlS14_E_NS1_11comp_targetILNS1_3genE2ELNS1_11target_archE906ELNS1_3gpuE6ELNS1_3repE0EEENS1_30default_config_static_selectorELNS0_4arch9wavefront6targetE1EEEvT1_
    .private_segment_fixed_size: 0
    .sgpr_count:     6
    .sgpr_spill_count: 0
    .symbol:         _ZN7rocprim17ROCPRIM_400000_NS6detail17trampoline_kernelINS0_14default_configENS1_25partition_config_selectorILNS1_17partition_subalgoE1EiNS0_10empty_typeEbEEZZNS1_14partition_implILS5_1ELb0ES3_jN6thrust23THRUST_200600_302600_NS6detail15normal_iteratorINSA_10device_ptrIiEEEEPS6_NSA_18transform_iteratorI7is_evenIiESF_NSA_11use_defaultESK_EENS0_5tupleIJSF_SF_EEENSM_IJSG_SG_EEES6_PlJS6_EEE10hipError_tPvRmT3_T4_T5_T6_T7_T9_mT8_P12ihipStream_tbDpT10_ENKUlT_T0_E_clISt17integral_constantIbLb0EES19_EEDaS14_S15_EUlS14_E_NS1_11comp_targetILNS1_3genE2ELNS1_11target_archE906ELNS1_3gpuE6ELNS1_3repE0EEENS1_30default_config_static_selectorELNS0_4arch9wavefront6targetE1EEEvT1_.kd
    .uniform_work_group_size: 1
    .uses_dynamic_stack: false
    .vgpr_count:     0
    .vgpr_spill_count: 0
    .wavefront_size: 64
  - .agpr_count:     0
    .args:
      - .offset:         0
        .size:           128
        .value_kind:     by_value
    .group_segment_fixed_size: 0
    .kernarg_segment_align: 8
    .kernarg_segment_size: 128
    .language:       OpenCL C
    .language_version:
      - 2
      - 0
    .max_flat_workgroup_size: 256
    .name:           _ZN7rocprim17ROCPRIM_400000_NS6detail17trampoline_kernelINS0_14default_configENS1_25partition_config_selectorILNS1_17partition_subalgoE1EiNS0_10empty_typeEbEEZZNS1_14partition_implILS5_1ELb0ES3_jN6thrust23THRUST_200600_302600_NS6detail15normal_iteratorINSA_10device_ptrIiEEEEPS6_NSA_18transform_iteratorI7is_evenIiESF_NSA_11use_defaultESK_EENS0_5tupleIJSF_SF_EEENSM_IJSG_SG_EEES6_PlJS6_EEE10hipError_tPvRmT3_T4_T5_T6_T7_T9_mT8_P12ihipStream_tbDpT10_ENKUlT_T0_E_clISt17integral_constantIbLb0EES19_EEDaS14_S15_EUlS14_E_NS1_11comp_targetILNS1_3genE10ELNS1_11target_archE1200ELNS1_3gpuE4ELNS1_3repE0EEENS1_30default_config_static_selectorELNS0_4arch9wavefront6targetE1EEEvT1_
    .private_segment_fixed_size: 0
    .sgpr_count:     6
    .sgpr_spill_count: 0
    .symbol:         _ZN7rocprim17ROCPRIM_400000_NS6detail17trampoline_kernelINS0_14default_configENS1_25partition_config_selectorILNS1_17partition_subalgoE1EiNS0_10empty_typeEbEEZZNS1_14partition_implILS5_1ELb0ES3_jN6thrust23THRUST_200600_302600_NS6detail15normal_iteratorINSA_10device_ptrIiEEEEPS6_NSA_18transform_iteratorI7is_evenIiESF_NSA_11use_defaultESK_EENS0_5tupleIJSF_SF_EEENSM_IJSG_SG_EEES6_PlJS6_EEE10hipError_tPvRmT3_T4_T5_T6_T7_T9_mT8_P12ihipStream_tbDpT10_ENKUlT_T0_E_clISt17integral_constantIbLb0EES19_EEDaS14_S15_EUlS14_E_NS1_11comp_targetILNS1_3genE10ELNS1_11target_archE1200ELNS1_3gpuE4ELNS1_3repE0EEENS1_30default_config_static_selectorELNS0_4arch9wavefront6targetE1EEEvT1_.kd
    .uniform_work_group_size: 1
    .uses_dynamic_stack: false
    .vgpr_count:     0
    .vgpr_spill_count: 0
    .wavefront_size: 64
  - .agpr_count:     0
    .args:
      - .offset:         0
        .size:           128
        .value_kind:     by_value
    .group_segment_fixed_size: 0
    .kernarg_segment_align: 8
    .kernarg_segment_size: 128
    .language:       OpenCL C
    .language_version:
      - 2
      - 0
    .max_flat_workgroup_size: 128
    .name:           _ZN7rocprim17ROCPRIM_400000_NS6detail17trampoline_kernelINS0_14default_configENS1_25partition_config_selectorILNS1_17partition_subalgoE1EiNS0_10empty_typeEbEEZZNS1_14partition_implILS5_1ELb0ES3_jN6thrust23THRUST_200600_302600_NS6detail15normal_iteratorINSA_10device_ptrIiEEEEPS6_NSA_18transform_iteratorI7is_evenIiESF_NSA_11use_defaultESK_EENS0_5tupleIJSF_SF_EEENSM_IJSG_SG_EEES6_PlJS6_EEE10hipError_tPvRmT3_T4_T5_T6_T7_T9_mT8_P12ihipStream_tbDpT10_ENKUlT_T0_E_clISt17integral_constantIbLb0EES19_EEDaS14_S15_EUlS14_E_NS1_11comp_targetILNS1_3genE9ELNS1_11target_archE1100ELNS1_3gpuE3ELNS1_3repE0EEENS1_30default_config_static_selectorELNS0_4arch9wavefront6targetE1EEEvT1_
    .private_segment_fixed_size: 0
    .sgpr_count:     6
    .sgpr_spill_count: 0
    .symbol:         _ZN7rocprim17ROCPRIM_400000_NS6detail17trampoline_kernelINS0_14default_configENS1_25partition_config_selectorILNS1_17partition_subalgoE1EiNS0_10empty_typeEbEEZZNS1_14partition_implILS5_1ELb0ES3_jN6thrust23THRUST_200600_302600_NS6detail15normal_iteratorINSA_10device_ptrIiEEEEPS6_NSA_18transform_iteratorI7is_evenIiESF_NSA_11use_defaultESK_EENS0_5tupleIJSF_SF_EEENSM_IJSG_SG_EEES6_PlJS6_EEE10hipError_tPvRmT3_T4_T5_T6_T7_T9_mT8_P12ihipStream_tbDpT10_ENKUlT_T0_E_clISt17integral_constantIbLb0EES19_EEDaS14_S15_EUlS14_E_NS1_11comp_targetILNS1_3genE9ELNS1_11target_archE1100ELNS1_3gpuE3ELNS1_3repE0EEENS1_30default_config_static_selectorELNS0_4arch9wavefront6targetE1EEEvT1_.kd
    .uniform_work_group_size: 1
    .uses_dynamic_stack: false
    .vgpr_count:     0
    .vgpr_spill_count: 0
    .wavefront_size: 64
  - .agpr_count:     0
    .args:
      - .offset:         0
        .size:           128
        .value_kind:     by_value
    .group_segment_fixed_size: 0
    .kernarg_segment_align: 8
    .kernarg_segment_size: 128
    .language:       OpenCL C
    .language_version:
      - 2
      - 0
    .max_flat_workgroup_size: 512
    .name:           _ZN7rocprim17ROCPRIM_400000_NS6detail17trampoline_kernelINS0_14default_configENS1_25partition_config_selectorILNS1_17partition_subalgoE1EiNS0_10empty_typeEbEEZZNS1_14partition_implILS5_1ELb0ES3_jN6thrust23THRUST_200600_302600_NS6detail15normal_iteratorINSA_10device_ptrIiEEEEPS6_NSA_18transform_iteratorI7is_evenIiESF_NSA_11use_defaultESK_EENS0_5tupleIJSF_SF_EEENSM_IJSG_SG_EEES6_PlJS6_EEE10hipError_tPvRmT3_T4_T5_T6_T7_T9_mT8_P12ihipStream_tbDpT10_ENKUlT_T0_E_clISt17integral_constantIbLb0EES19_EEDaS14_S15_EUlS14_E_NS1_11comp_targetILNS1_3genE8ELNS1_11target_archE1030ELNS1_3gpuE2ELNS1_3repE0EEENS1_30default_config_static_selectorELNS0_4arch9wavefront6targetE1EEEvT1_
    .private_segment_fixed_size: 0
    .sgpr_count:     6
    .sgpr_spill_count: 0
    .symbol:         _ZN7rocprim17ROCPRIM_400000_NS6detail17trampoline_kernelINS0_14default_configENS1_25partition_config_selectorILNS1_17partition_subalgoE1EiNS0_10empty_typeEbEEZZNS1_14partition_implILS5_1ELb0ES3_jN6thrust23THRUST_200600_302600_NS6detail15normal_iteratorINSA_10device_ptrIiEEEEPS6_NSA_18transform_iteratorI7is_evenIiESF_NSA_11use_defaultESK_EENS0_5tupleIJSF_SF_EEENSM_IJSG_SG_EEES6_PlJS6_EEE10hipError_tPvRmT3_T4_T5_T6_T7_T9_mT8_P12ihipStream_tbDpT10_ENKUlT_T0_E_clISt17integral_constantIbLb0EES19_EEDaS14_S15_EUlS14_E_NS1_11comp_targetILNS1_3genE8ELNS1_11target_archE1030ELNS1_3gpuE2ELNS1_3repE0EEENS1_30default_config_static_selectorELNS0_4arch9wavefront6targetE1EEEvT1_.kd
    .uniform_work_group_size: 1
    .uses_dynamic_stack: false
    .vgpr_count:     0
    .vgpr_spill_count: 0
    .wavefront_size: 64
  - .agpr_count:     0
    .args:
      - .offset:         0
        .size:           144
        .value_kind:     by_value
    .group_segment_fixed_size: 0
    .kernarg_segment_align: 8
    .kernarg_segment_size: 144
    .language:       OpenCL C
    .language_version:
      - 2
      - 0
    .max_flat_workgroup_size: 256
    .name:           _ZN7rocprim17ROCPRIM_400000_NS6detail17trampoline_kernelINS0_14default_configENS1_25partition_config_selectorILNS1_17partition_subalgoE1EiNS0_10empty_typeEbEEZZNS1_14partition_implILS5_1ELb0ES3_jN6thrust23THRUST_200600_302600_NS6detail15normal_iteratorINSA_10device_ptrIiEEEEPS6_NSA_18transform_iteratorI7is_evenIiESF_NSA_11use_defaultESK_EENS0_5tupleIJSF_SF_EEENSM_IJSG_SG_EEES6_PlJS6_EEE10hipError_tPvRmT3_T4_T5_T6_T7_T9_mT8_P12ihipStream_tbDpT10_ENKUlT_T0_E_clISt17integral_constantIbLb1EES19_EEDaS14_S15_EUlS14_E_NS1_11comp_targetILNS1_3genE0ELNS1_11target_archE4294967295ELNS1_3gpuE0ELNS1_3repE0EEENS1_30default_config_static_selectorELNS0_4arch9wavefront6targetE1EEEvT1_
    .private_segment_fixed_size: 0
    .sgpr_count:     6
    .sgpr_spill_count: 0
    .symbol:         _ZN7rocprim17ROCPRIM_400000_NS6detail17trampoline_kernelINS0_14default_configENS1_25partition_config_selectorILNS1_17partition_subalgoE1EiNS0_10empty_typeEbEEZZNS1_14partition_implILS5_1ELb0ES3_jN6thrust23THRUST_200600_302600_NS6detail15normal_iteratorINSA_10device_ptrIiEEEEPS6_NSA_18transform_iteratorI7is_evenIiESF_NSA_11use_defaultESK_EENS0_5tupleIJSF_SF_EEENSM_IJSG_SG_EEES6_PlJS6_EEE10hipError_tPvRmT3_T4_T5_T6_T7_T9_mT8_P12ihipStream_tbDpT10_ENKUlT_T0_E_clISt17integral_constantIbLb1EES19_EEDaS14_S15_EUlS14_E_NS1_11comp_targetILNS1_3genE0ELNS1_11target_archE4294967295ELNS1_3gpuE0ELNS1_3repE0EEENS1_30default_config_static_selectorELNS0_4arch9wavefront6targetE1EEEvT1_.kd
    .uniform_work_group_size: 1
    .uses_dynamic_stack: false
    .vgpr_count:     0
    .vgpr_spill_count: 0
    .wavefront_size: 64
  - .agpr_count:     0
    .args:
      - .offset:         0
        .size:           144
        .value_kind:     by_value
    .group_segment_fixed_size: 30728
    .kernarg_segment_align: 8
    .kernarg_segment_size: 144
    .language:       OpenCL C
    .language_version:
      - 2
      - 0
    .max_flat_workgroup_size: 512
    .name:           _ZN7rocprim17ROCPRIM_400000_NS6detail17trampoline_kernelINS0_14default_configENS1_25partition_config_selectorILNS1_17partition_subalgoE1EiNS0_10empty_typeEbEEZZNS1_14partition_implILS5_1ELb0ES3_jN6thrust23THRUST_200600_302600_NS6detail15normal_iteratorINSA_10device_ptrIiEEEEPS6_NSA_18transform_iteratorI7is_evenIiESF_NSA_11use_defaultESK_EENS0_5tupleIJSF_SF_EEENSM_IJSG_SG_EEES6_PlJS6_EEE10hipError_tPvRmT3_T4_T5_T6_T7_T9_mT8_P12ihipStream_tbDpT10_ENKUlT_T0_E_clISt17integral_constantIbLb1EES19_EEDaS14_S15_EUlS14_E_NS1_11comp_targetILNS1_3genE5ELNS1_11target_archE942ELNS1_3gpuE9ELNS1_3repE0EEENS1_30default_config_static_selectorELNS0_4arch9wavefront6targetE1EEEvT1_
    .private_segment_fixed_size: 0
    .sgpr_count:     50
    .sgpr_spill_count: 0
    .symbol:         _ZN7rocprim17ROCPRIM_400000_NS6detail17trampoline_kernelINS0_14default_configENS1_25partition_config_selectorILNS1_17partition_subalgoE1EiNS0_10empty_typeEbEEZZNS1_14partition_implILS5_1ELb0ES3_jN6thrust23THRUST_200600_302600_NS6detail15normal_iteratorINSA_10device_ptrIiEEEEPS6_NSA_18transform_iteratorI7is_evenIiESF_NSA_11use_defaultESK_EENS0_5tupleIJSF_SF_EEENSM_IJSG_SG_EEES6_PlJS6_EEE10hipError_tPvRmT3_T4_T5_T6_T7_T9_mT8_P12ihipStream_tbDpT10_ENKUlT_T0_E_clISt17integral_constantIbLb1EES19_EEDaS14_S15_EUlS14_E_NS1_11comp_targetILNS1_3genE5ELNS1_11target_archE942ELNS1_3gpuE9ELNS1_3repE0EEENS1_30default_config_static_selectorELNS0_4arch9wavefront6targetE1EEEvT1_.kd
    .uniform_work_group_size: 1
    .uses_dynamic_stack: false
    .vgpr_count:     69
    .vgpr_spill_count: 0
    .wavefront_size: 64
  - .agpr_count:     0
    .args:
      - .offset:         0
        .size:           144
        .value_kind:     by_value
    .group_segment_fixed_size: 0
    .kernarg_segment_align: 8
    .kernarg_segment_size: 144
    .language:       OpenCL C
    .language_version:
      - 2
      - 0
    .max_flat_workgroup_size: 256
    .name:           _ZN7rocprim17ROCPRIM_400000_NS6detail17trampoline_kernelINS0_14default_configENS1_25partition_config_selectorILNS1_17partition_subalgoE1EiNS0_10empty_typeEbEEZZNS1_14partition_implILS5_1ELb0ES3_jN6thrust23THRUST_200600_302600_NS6detail15normal_iteratorINSA_10device_ptrIiEEEEPS6_NSA_18transform_iteratorI7is_evenIiESF_NSA_11use_defaultESK_EENS0_5tupleIJSF_SF_EEENSM_IJSG_SG_EEES6_PlJS6_EEE10hipError_tPvRmT3_T4_T5_T6_T7_T9_mT8_P12ihipStream_tbDpT10_ENKUlT_T0_E_clISt17integral_constantIbLb1EES19_EEDaS14_S15_EUlS14_E_NS1_11comp_targetILNS1_3genE4ELNS1_11target_archE910ELNS1_3gpuE8ELNS1_3repE0EEENS1_30default_config_static_selectorELNS0_4arch9wavefront6targetE1EEEvT1_
    .private_segment_fixed_size: 0
    .sgpr_count:     6
    .sgpr_spill_count: 0
    .symbol:         _ZN7rocprim17ROCPRIM_400000_NS6detail17trampoline_kernelINS0_14default_configENS1_25partition_config_selectorILNS1_17partition_subalgoE1EiNS0_10empty_typeEbEEZZNS1_14partition_implILS5_1ELb0ES3_jN6thrust23THRUST_200600_302600_NS6detail15normal_iteratorINSA_10device_ptrIiEEEEPS6_NSA_18transform_iteratorI7is_evenIiESF_NSA_11use_defaultESK_EENS0_5tupleIJSF_SF_EEENSM_IJSG_SG_EEES6_PlJS6_EEE10hipError_tPvRmT3_T4_T5_T6_T7_T9_mT8_P12ihipStream_tbDpT10_ENKUlT_T0_E_clISt17integral_constantIbLb1EES19_EEDaS14_S15_EUlS14_E_NS1_11comp_targetILNS1_3genE4ELNS1_11target_archE910ELNS1_3gpuE8ELNS1_3repE0EEENS1_30default_config_static_selectorELNS0_4arch9wavefront6targetE1EEEvT1_.kd
    .uniform_work_group_size: 1
    .uses_dynamic_stack: false
    .vgpr_count:     0
    .vgpr_spill_count: 0
    .wavefront_size: 64
  - .agpr_count:     0
    .args:
      - .offset:         0
        .size:           144
        .value_kind:     by_value
    .group_segment_fixed_size: 0
    .kernarg_segment_align: 8
    .kernarg_segment_size: 144
    .language:       OpenCL C
    .language_version:
      - 2
      - 0
    .max_flat_workgroup_size: 256
    .name:           _ZN7rocprim17ROCPRIM_400000_NS6detail17trampoline_kernelINS0_14default_configENS1_25partition_config_selectorILNS1_17partition_subalgoE1EiNS0_10empty_typeEbEEZZNS1_14partition_implILS5_1ELb0ES3_jN6thrust23THRUST_200600_302600_NS6detail15normal_iteratorINSA_10device_ptrIiEEEEPS6_NSA_18transform_iteratorI7is_evenIiESF_NSA_11use_defaultESK_EENS0_5tupleIJSF_SF_EEENSM_IJSG_SG_EEES6_PlJS6_EEE10hipError_tPvRmT3_T4_T5_T6_T7_T9_mT8_P12ihipStream_tbDpT10_ENKUlT_T0_E_clISt17integral_constantIbLb1EES19_EEDaS14_S15_EUlS14_E_NS1_11comp_targetILNS1_3genE3ELNS1_11target_archE908ELNS1_3gpuE7ELNS1_3repE0EEENS1_30default_config_static_selectorELNS0_4arch9wavefront6targetE1EEEvT1_
    .private_segment_fixed_size: 0
    .sgpr_count:     6
    .sgpr_spill_count: 0
    .symbol:         _ZN7rocprim17ROCPRIM_400000_NS6detail17trampoline_kernelINS0_14default_configENS1_25partition_config_selectorILNS1_17partition_subalgoE1EiNS0_10empty_typeEbEEZZNS1_14partition_implILS5_1ELb0ES3_jN6thrust23THRUST_200600_302600_NS6detail15normal_iteratorINSA_10device_ptrIiEEEEPS6_NSA_18transform_iteratorI7is_evenIiESF_NSA_11use_defaultESK_EENS0_5tupleIJSF_SF_EEENSM_IJSG_SG_EEES6_PlJS6_EEE10hipError_tPvRmT3_T4_T5_T6_T7_T9_mT8_P12ihipStream_tbDpT10_ENKUlT_T0_E_clISt17integral_constantIbLb1EES19_EEDaS14_S15_EUlS14_E_NS1_11comp_targetILNS1_3genE3ELNS1_11target_archE908ELNS1_3gpuE7ELNS1_3repE0EEENS1_30default_config_static_selectorELNS0_4arch9wavefront6targetE1EEEvT1_.kd
    .uniform_work_group_size: 1
    .uses_dynamic_stack: false
    .vgpr_count:     0
    .vgpr_spill_count: 0
    .wavefront_size: 64
  - .agpr_count:     0
    .args:
      - .offset:         0
        .size:           144
        .value_kind:     by_value
    .group_segment_fixed_size: 0
    .kernarg_segment_align: 8
    .kernarg_segment_size: 144
    .language:       OpenCL C
    .language_version:
      - 2
      - 0
    .max_flat_workgroup_size: 256
    .name:           _ZN7rocprim17ROCPRIM_400000_NS6detail17trampoline_kernelINS0_14default_configENS1_25partition_config_selectorILNS1_17partition_subalgoE1EiNS0_10empty_typeEbEEZZNS1_14partition_implILS5_1ELb0ES3_jN6thrust23THRUST_200600_302600_NS6detail15normal_iteratorINSA_10device_ptrIiEEEEPS6_NSA_18transform_iteratorI7is_evenIiESF_NSA_11use_defaultESK_EENS0_5tupleIJSF_SF_EEENSM_IJSG_SG_EEES6_PlJS6_EEE10hipError_tPvRmT3_T4_T5_T6_T7_T9_mT8_P12ihipStream_tbDpT10_ENKUlT_T0_E_clISt17integral_constantIbLb1EES19_EEDaS14_S15_EUlS14_E_NS1_11comp_targetILNS1_3genE2ELNS1_11target_archE906ELNS1_3gpuE6ELNS1_3repE0EEENS1_30default_config_static_selectorELNS0_4arch9wavefront6targetE1EEEvT1_
    .private_segment_fixed_size: 0
    .sgpr_count:     6
    .sgpr_spill_count: 0
    .symbol:         _ZN7rocprim17ROCPRIM_400000_NS6detail17trampoline_kernelINS0_14default_configENS1_25partition_config_selectorILNS1_17partition_subalgoE1EiNS0_10empty_typeEbEEZZNS1_14partition_implILS5_1ELb0ES3_jN6thrust23THRUST_200600_302600_NS6detail15normal_iteratorINSA_10device_ptrIiEEEEPS6_NSA_18transform_iteratorI7is_evenIiESF_NSA_11use_defaultESK_EENS0_5tupleIJSF_SF_EEENSM_IJSG_SG_EEES6_PlJS6_EEE10hipError_tPvRmT3_T4_T5_T6_T7_T9_mT8_P12ihipStream_tbDpT10_ENKUlT_T0_E_clISt17integral_constantIbLb1EES19_EEDaS14_S15_EUlS14_E_NS1_11comp_targetILNS1_3genE2ELNS1_11target_archE906ELNS1_3gpuE6ELNS1_3repE0EEENS1_30default_config_static_selectorELNS0_4arch9wavefront6targetE1EEEvT1_.kd
    .uniform_work_group_size: 1
    .uses_dynamic_stack: false
    .vgpr_count:     0
    .vgpr_spill_count: 0
    .wavefront_size: 64
  - .agpr_count:     0
    .args:
      - .offset:         0
        .size:           144
        .value_kind:     by_value
    .group_segment_fixed_size: 0
    .kernarg_segment_align: 8
    .kernarg_segment_size: 144
    .language:       OpenCL C
    .language_version:
      - 2
      - 0
    .max_flat_workgroup_size: 256
    .name:           _ZN7rocprim17ROCPRIM_400000_NS6detail17trampoline_kernelINS0_14default_configENS1_25partition_config_selectorILNS1_17partition_subalgoE1EiNS0_10empty_typeEbEEZZNS1_14partition_implILS5_1ELb0ES3_jN6thrust23THRUST_200600_302600_NS6detail15normal_iteratorINSA_10device_ptrIiEEEEPS6_NSA_18transform_iteratorI7is_evenIiESF_NSA_11use_defaultESK_EENS0_5tupleIJSF_SF_EEENSM_IJSG_SG_EEES6_PlJS6_EEE10hipError_tPvRmT3_T4_T5_T6_T7_T9_mT8_P12ihipStream_tbDpT10_ENKUlT_T0_E_clISt17integral_constantIbLb1EES19_EEDaS14_S15_EUlS14_E_NS1_11comp_targetILNS1_3genE10ELNS1_11target_archE1200ELNS1_3gpuE4ELNS1_3repE0EEENS1_30default_config_static_selectorELNS0_4arch9wavefront6targetE1EEEvT1_
    .private_segment_fixed_size: 0
    .sgpr_count:     6
    .sgpr_spill_count: 0
    .symbol:         _ZN7rocprim17ROCPRIM_400000_NS6detail17trampoline_kernelINS0_14default_configENS1_25partition_config_selectorILNS1_17partition_subalgoE1EiNS0_10empty_typeEbEEZZNS1_14partition_implILS5_1ELb0ES3_jN6thrust23THRUST_200600_302600_NS6detail15normal_iteratorINSA_10device_ptrIiEEEEPS6_NSA_18transform_iteratorI7is_evenIiESF_NSA_11use_defaultESK_EENS0_5tupleIJSF_SF_EEENSM_IJSG_SG_EEES6_PlJS6_EEE10hipError_tPvRmT3_T4_T5_T6_T7_T9_mT8_P12ihipStream_tbDpT10_ENKUlT_T0_E_clISt17integral_constantIbLb1EES19_EEDaS14_S15_EUlS14_E_NS1_11comp_targetILNS1_3genE10ELNS1_11target_archE1200ELNS1_3gpuE4ELNS1_3repE0EEENS1_30default_config_static_selectorELNS0_4arch9wavefront6targetE1EEEvT1_.kd
    .uniform_work_group_size: 1
    .uses_dynamic_stack: false
    .vgpr_count:     0
    .vgpr_spill_count: 0
    .wavefront_size: 64
  - .agpr_count:     0
    .args:
      - .offset:         0
        .size:           144
        .value_kind:     by_value
    .group_segment_fixed_size: 0
    .kernarg_segment_align: 8
    .kernarg_segment_size: 144
    .language:       OpenCL C
    .language_version:
      - 2
      - 0
    .max_flat_workgroup_size: 128
    .name:           _ZN7rocprim17ROCPRIM_400000_NS6detail17trampoline_kernelINS0_14default_configENS1_25partition_config_selectorILNS1_17partition_subalgoE1EiNS0_10empty_typeEbEEZZNS1_14partition_implILS5_1ELb0ES3_jN6thrust23THRUST_200600_302600_NS6detail15normal_iteratorINSA_10device_ptrIiEEEEPS6_NSA_18transform_iteratorI7is_evenIiESF_NSA_11use_defaultESK_EENS0_5tupleIJSF_SF_EEENSM_IJSG_SG_EEES6_PlJS6_EEE10hipError_tPvRmT3_T4_T5_T6_T7_T9_mT8_P12ihipStream_tbDpT10_ENKUlT_T0_E_clISt17integral_constantIbLb1EES19_EEDaS14_S15_EUlS14_E_NS1_11comp_targetILNS1_3genE9ELNS1_11target_archE1100ELNS1_3gpuE3ELNS1_3repE0EEENS1_30default_config_static_selectorELNS0_4arch9wavefront6targetE1EEEvT1_
    .private_segment_fixed_size: 0
    .sgpr_count:     6
    .sgpr_spill_count: 0
    .symbol:         _ZN7rocprim17ROCPRIM_400000_NS6detail17trampoline_kernelINS0_14default_configENS1_25partition_config_selectorILNS1_17partition_subalgoE1EiNS0_10empty_typeEbEEZZNS1_14partition_implILS5_1ELb0ES3_jN6thrust23THRUST_200600_302600_NS6detail15normal_iteratorINSA_10device_ptrIiEEEEPS6_NSA_18transform_iteratorI7is_evenIiESF_NSA_11use_defaultESK_EENS0_5tupleIJSF_SF_EEENSM_IJSG_SG_EEES6_PlJS6_EEE10hipError_tPvRmT3_T4_T5_T6_T7_T9_mT8_P12ihipStream_tbDpT10_ENKUlT_T0_E_clISt17integral_constantIbLb1EES19_EEDaS14_S15_EUlS14_E_NS1_11comp_targetILNS1_3genE9ELNS1_11target_archE1100ELNS1_3gpuE3ELNS1_3repE0EEENS1_30default_config_static_selectorELNS0_4arch9wavefront6targetE1EEEvT1_.kd
    .uniform_work_group_size: 1
    .uses_dynamic_stack: false
    .vgpr_count:     0
    .vgpr_spill_count: 0
    .wavefront_size: 64
  - .agpr_count:     0
    .args:
      - .offset:         0
        .size:           144
        .value_kind:     by_value
    .group_segment_fixed_size: 0
    .kernarg_segment_align: 8
    .kernarg_segment_size: 144
    .language:       OpenCL C
    .language_version:
      - 2
      - 0
    .max_flat_workgroup_size: 512
    .name:           _ZN7rocprim17ROCPRIM_400000_NS6detail17trampoline_kernelINS0_14default_configENS1_25partition_config_selectorILNS1_17partition_subalgoE1EiNS0_10empty_typeEbEEZZNS1_14partition_implILS5_1ELb0ES3_jN6thrust23THRUST_200600_302600_NS6detail15normal_iteratorINSA_10device_ptrIiEEEEPS6_NSA_18transform_iteratorI7is_evenIiESF_NSA_11use_defaultESK_EENS0_5tupleIJSF_SF_EEENSM_IJSG_SG_EEES6_PlJS6_EEE10hipError_tPvRmT3_T4_T5_T6_T7_T9_mT8_P12ihipStream_tbDpT10_ENKUlT_T0_E_clISt17integral_constantIbLb1EES19_EEDaS14_S15_EUlS14_E_NS1_11comp_targetILNS1_3genE8ELNS1_11target_archE1030ELNS1_3gpuE2ELNS1_3repE0EEENS1_30default_config_static_selectorELNS0_4arch9wavefront6targetE1EEEvT1_
    .private_segment_fixed_size: 0
    .sgpr_count:     6
    .sgpr_spill_count: 0
    .symbol:         _ZN7rocprim17ROCPRIM_400000_NS6detail17trampoline_kernelINS0_14default_configENS1_25partition_config_selectorILNS1_17partition_subalgoE1EiNS0_10empty_typeEbEEZZNS1_14partition_implILS5_1ELb0ES3_jN6thrust23THRUST_200600_302600_NS6detail15normal_iteratorINSA_10device_ptrIiEEEEPS6_NSA_18transform_iteratorI7is_evenIiESF_NSA_11use_defaultESK_EENS0_5tupleIJSF_SF_EEENSM_IJSG_SG_EEES6_PlJS6_EEE10hipError_tPvRmT3_T4_T5_T6_T7_T9_mT8_P12ihipStream_tbDpT10_ENKUlT_T0_E_clISt17integral_constantIbLb1EES19_EEDaS14_S15_EUlS14_E_NS1_11comp_targetILNS1_3genE8ELNS1_11target_archE1030ELNS1_3gpuE2ELNS1_3repE0EEENS1_30default_config_static_selectorELNS0_4arch9wavefront6targetE1EEEvT1_.kd
    .uniform_work_group_size: 1
    .uses_dynamic_stack: false
    .vgpr_count:     0
    .vgpr_spill_count: 0
    .wavefront_size: 64
  - .agpr_count:     0
    .args:
      - .offset:         0
        .size:           128
        .value_kind:     by_value
    .group_segment_fixed_size: 0
    .kernarg_segment_align: 8
    .kernarg_segment_size: 128
    .language:       OpenCL C
    .language_version:
      - 2
      - 0
    .max_flat_workgroup_size: 256
    .name:           _ZN7rocprim17ROCPRIM_400000_NS6detail17trampoline_kernelINS0_14default_configENS1_25partition_config_selectorILNS1_17partition_subalgoE1EiNS0_10empty_typeEbEEZZNS1_14partition_implILS5_1ELb0ES3_jN6thrust23THRUST_200600_302600_NS6detail15normal_iteratorINSA_10device_ptrIiEEEEPS6_NSA_18transform_iteratorI7is_evenIiESF_NSA_11use_defaultESK_EENS0_5tupleIJSF_SF_EEENSM_IJSG_SG_EEES6_PlJS6_EEE10hipError_tPvRmT3_T4_T5_T6_T7_T9_mT8_P12ihipStream_tbDpT10_ENKUlT_T0_E_clISt17integral_constantIbLb1EES18_IbLb0EEEEDaS14_S15_EUlS14_E_NS1_11comp_targetILNS1_3genE0ELNS1_11target_archE4294967295ELNS1_3gpuE0ELNS1_3repE0EEENS1_30default_config_static_selectorELNS0_4arch9wavefront6targetE1EEEvT1_
    .private_segment_fixed_size: 0
    .sgpr_count:     6
    .sgpr_spill_count: 0
    .symbol:         _ZN7rocprim17ROCPRIM_400000_NS6detail17trampoline_kernelINS0_14default_configENS1_25partition_config_selectorILNS1_17partition_subalgoE1EiNS0_10empty_typeEbEEZZNS1_14partition_implILS5_1ELb0ES3_jN6thrust23THRUST_200600_302600_NS6detail15normal_iteratorINSA_10device_ptrIiEEEEPS6_NSA_18transform_iteratorI7is_evenIiESF_NSA_11use_defaultESK_EENS0_5tupleIJSF_SF_EEENSM_IJSG_SG_EEES6_PlJS6_EEE10hipError_tPvRmT3_T4_T5_T6_T7_T9_mT8_P12ihipStream_tbDpT10_ENKUlT_T0_E_clISt17integral_constantIbLb1EES18_IbLb0EEEEDaS14_S15_EUlS14_E_NS1_11comp_targetILNS1_3genE0ELNS1_11target_archE4294967295ELNS1_3gpuE0ELNS1_3repE0EEENS1_30default_config_static_selectorELNS0_4arch9wavefront6targetE1EEEvT1_.kd
    .uniform_work_group_size: 1
    .uses_dynamic_stack: false
    .vgpr_count:     0
    .vgpr_spill_count: 0
    .wavefront_size: 64
  - .agpr_count:     0
    .args:
      - .offset:         0
        .size:           128
        .value_kind:     by_value
    .group_segment_fixed_size: 30728
    .kernarg_segment_align: 8
    .kernarg_segment_size: 128
    .language:       OpenCL C
    .language_version:
      - 2
      - 0
    .max_flat_workgroup_size: 512
    .name:           _ZN7rocprim17ROCPRIM_400000_NS6detail17trampoline_kernelINS0_14default_configENS1_25partition_config_selectorILNS1_17partition_subalgoE1EiNS0_10empty_typeEbEEZZNS1_14partition_implILS5_1ELb0ES3_jN6thrust23THRUST_200600_302600_NS6detail15normal_iteratorINSA_10device_ptrIiEEEEPS6_NSA_18transform_iteratorI7is_evenIiESF_NSA_11use_defaultESK_EENS0_5tupleIJSF_SF_EEENSM_IJSG_SG_EEES6_PlJS6_EEE10hipError_tPvRmT3_T4_T5_T6_T7_T9_mT8_P12ihipStream_tbDpT10_ENKUlT_T0_E_clISt17integral_constantIbLb1EES18_IbLb0EEEEDaS14_S15_EUlS14_E_NS1_11comp_targetILNS1_3genE5ELNS1_11target_archE942ELNS1_3gpuE9ELNS1_3repE0EEENS1_30default_config_static_selectorELNS0_4arch9wavefront6targetE1EEEvT1_
    .private_segment_fixed_size: 0
    .sgpr_count:     50
    .sgpr_spill_count: 0
    .symbol:         _ZN7rocprim17ROCPRIM_400000_NS6detail17trampoline_kernelINS0_14default_configENS1_25partition_config_selectorILNS1_17partition_subalgoE1EiNS0_10empty_typeEbEEZZNS1_14partition_implILS5_1ELb0ES3_jN6thrust23THRUST_200600_302600_NS6detail15normal_iteratorINSA_10device_ptrIiEEEEPS6_NSA_18transform_iteratorI7is_evenIiESF_NSA_11use_defaultESK_EENS0_5tupleIJSF_SF_EEENSM_IJSG_SG_EEES6_PlJS6_EEE10hipError_tPvRmT3_T4_T5_T6_T7_T9_mT8_P12ihipStream_tbDpT10_ENKUlT_T0_E_clISt17integral_constantIbLb1EES18_IbLb0EEEEDaS14_S15_EUlS14_E_NS1_11comp_targetILNS1_3genE5ELNS1_11target_archE942ELNS1_3gpuE9ELNS1_3repE0EEENS1_30default_config_static_selectorELNS0_4arch9wavefront6targetE1EEEvT1_.kd
    .uniform_work_group_size: 1
    .uses_dynamic_stack: false
    .vgpr_count:     65
    .vgpr_spill_count: 0
    .wavefront_size: 64
  - .agpr_count:     0
    .args:
      - .offset:         0
        .size:           128
        .value_kind:     by_value
    .group_segment_fixed_size: 0
    .kernarg_segment_align: 8
    .kernarg_segment_size: 128
    .language:       OpenCL C
    .language_version:
      - 2
      - 0
    .max_flat_workgroup_size: 256
    .name:           _ZN7rocprim17ROCPRIM_400000_NS6detail17trampoline_kernelINS0_14default_configENS1_25partition_config_selectorILNS1_17partition_subalgoE1EiNS0_10empty_typeEbEEZZNS1_14partition_implILS5_1ELb0ES3_jN6thrust23THRUST_200600_302600_NS6detail15normal_iteratorINSA_10device_ptrIiEEEEPS6_NSA_18transform_iteratorI7is_evenIiESF_NSA_11use_defaultESK_EENS0_5tupleIJSF_SF_EEENSM_IJSG_SG_EEES6_PlJS6_EEE10hipError_tPvRmT3_T4_T5_T6_T7_T9_mT8_P12ihipStream_tbDpT10_ENKUlT_T0_E_clISt17integral_constantIbLb1EES18_IbLb0EEEEDaS14_S15_EUlS14_E_NS1_11comp_targetILNS1_3genE4ELNS1_11target_archE910ELNS1_3gpuE8ELNS1_3repE0EEENS1_30default_config_static_selectorELNS0_4arch9wavefront6targetE1EEEvT1_
    .private_segment_fixed_size: 0
    .sgpr_count:     6
    .sgpr_spill_count: 0
    .symbol:         _ZN7rocprim17ROCPRIM_400000_NS6detail17trampoline_kernelINS0_14default_configENS1_25partition_config_selectorILNS1_17partition_subalgoE1EiNS0_10empty_typeEbEEZZNS1_14partition_implILS5_1ELb0ES3_jN6thrust23THRUST_200600_302600_NS6detail15normal_iteratorINSA_10device_ptrIiEEEEPS6_NSA_18transform_iteratorI7is_evenIiESF_NSA_11use_defaultESK_EENS0_5tupleIJSF_SF_EEENSM_IJSG_SG_EEES6_PlJS6_EEE10hipError_tPvRmT3_T4_T5_T6_T7_T9_mT8_P12ihipStream_tbDpT10_ENKUlT_T0_E_clISt17integral_constantIbLb1EES18_IbLb0EEEEDaS14_S15_EUlS14_E_NS1_11comp_targetILNS1_3genE4ELNS1_11target_archE910ELNS1_3gpuE8ELNS1_3repE0EEENS1_30default_config_static_selectorELNS0_4arch9wavefront6targetE1EEEvT1_.kd
    .uniform_work_group_size: 1
    .uses_dynamic_stack: false
    .vgpr_count:     0
    .vgpr_spill_count: 0
    .wavefront_size: 64
  - .agpr_count:     0
    .args:
      - .offset:         0
        .size:           128
        .value_kind:     by_value
    .group_segment_fixed_size: 0
    .kernarg_segment_align: 8
    .kernarg_segment_size: 128
    .language:       OpenCL C
    .language_version:
      - 2
      - 0
    .max_flat_workgroup_size: 256
    .name:           _ZN7rocprim17ROCPRIM_400000_NS6detail17trampoline_kernelINS0_14default_configENS1_25partition_config_selectorILNS1_17partition_subalgoE1EiNS0_10empty_typeEbEEZZNS1_14partition_implILS5_1ELb0ES3_jN6thrust23THRUST_200600_302600_NS6detail15normal_iteratorINSA_10device_ptrIiEEEEPS6_NSA_18transform_iteratorI7is_evenIiESF_NSA_11use_defaultESK_EENS0_5tupleIJSF_SF_EEENSM_IJSG_SG_EEES6_PlJS6_EEE10hipError_tPvRmT3_T4_T5_T6_T7_T9_mT8_P12ihipStream_tbDpT10_ENKUlT_T0_E_clISt17integral_constantIbLb1EES18_IbLb0EEEEDaS14_S15_EUlS14_E_NS1_11comp_targetILNS1_3genE3ELNS1_11target_archE908ELNS1_3gpuE7ELNS1_3repE0EEENS1_30default_config_static_selectorELNS0_4arch9wavefront6targetE1EEEvT1_
    .private_segment_fixed_size: 0
    .sgpr_count:     6
    .sgpr_spill_count: 0
    .symbol:         _ZN7rocprim17ROCPRIM_400000_NS6detail17trampoline_kernelINS0_14default_configENS1_25partition_config_selectorILNS1_17partition_subalgoE1EiNS0_10empty_typeEbEEZZNS1_14partition_implILS5_1ELb0ES3_jN6thrust23THRUST_200600_302600_NS6detail15normal_iteratorINSA_10device_ptrIiEEEEPS6_NSA_18transform_iteratorI7is_evenIiESF_NSA_11use_defaultESK_EENS0_5tupleIJSF_SF_EEENSM_IJSG_SG_EEES6_PlJS6_EEE10hipError_tPvRmT3_T4_T5_T6_T7_T9_mT8_P12ihipStream_tbDpT10_ENKUlT_T0_E_clISt17integral_constantIbLb1EES18_IbLb0EEEEDaS14_S15_EUlS14_E_NS1_11comp_targetILNS1_3genE3ELNS1_11target_archE908ELNS1_3gpuE7ELNS1_3repE0EEENS1_30default_config_static_selectorELNS0_4arch9wavefront6targetE1EEEvT1_.kd
    .uniform_work_group_size: 1
    .uses_dynamic_stack: false
    .vgpr_count:     0
    .vgpr_spill_count: 0
    .wavefront_size: 64
  - .agpr_count:     0
    .args:
      - .offset:         0
        .size:           128
        .value_kind:     by_value
    .group_segment_fixed_size: 0
    .kernarg_segment_align: 8
    .kernarg_segment_size: 128
    .language:       OpenCL C
    .language_version:
      - 2
      - 0
    .max_flat_workgroup_size: 256
    .name:           _ZN7rocprim17ROCPRIM_400000_NS6detail17trampoline_kernelINS0_14default_configENS1_25partition_config_selectorILNS1_17partition_subalgoE1EiNS0_10empty_typeEbEEZZNS1_14partition_implILS5_1ELb0ES3_jN6thrust23THRUST_200600_302600_NS6detail15normal_iteratorINSA_10device_ptrIiEEEEPS6_NSA_18transform_iteratorI7is_evenIiESF_NSA_11use_defaultESK_EENS0_5tupleIJSF_SF_EEENSM_IJSG_SG_EEES6_PlJS6_EEE10hipError_tPvRmT3_T4_T5_T6_T7_T9_mT8_P12ihipStream_tbDpT10_ENKUlT_T0_E_clISt17integral_constantIbLb1EES18_IbLb0EEEEDaS14_S15_EUlS14_E_NS1_11comp_targetILNS1_3genE2ELNS1_11target_archE906ELNS1_3gpuE6ELNS1_3repE0EEENS1_30default_config_static_selectorELNS0_4arch9wavefront6targetE1EEEvT1_
    .private_segment_fixed_size: 0
    .sgpr_count:     6
    .sgpr_spill_count: 0
    .symbol:         _ZN7rocprim17ROCPRIM_400000_NS6detail17trampoline_kernelINS0_14default_configENS1_25partition_config_selectorILNS1_17partition_subalgoE1EiNS0_10empty_typeEbEEZZNS1_14partition_implILS5_1ELb0ES3_jN6thrust23THRUST_200600_302600_NS6detail15normal_iteratorINSA_10device_ptrIiEEEEPS6_NSA_18transform_iteratorI7is_evenIiESF_NSA_11use_defaultESK_EENS0_5tupleIJSF_SF_EEENSM_IJSG_SG_EEES6_PlJS6_EEE10hipError_tPvRmT3_T4_T5_T6_T7_T9_mT8_P12ihipStream_tbDpT10_ENKUlT_T0_E_clISt17integral_constantIbLb1EES18_IbLb0EEEEDaS14_S15_EUlS14_E_NS1_11comp_targetILNS1_3genE2ELNS1_11target_archE906ELNS1_3gpuE6ELNS1_3repE0EEENS1_30default_config_static_selectorELNS0_4arch9wavefront6targetE1EEEvT1_.kd
    .uniform_work_group_size: 1
    .uses_dynamic_stack: false
    .vgpr_count:     0
    .vgpr_spill_count: 0
    .wavefront_size: 64
  - .agpr_count:     0
    .args:
      - .offset:         0
        .size:           128
        .value_kind:     by_value
    .group_segment_fixed_size: 0
    .kernarg_segment_align: 8
    .kernarg_segment_size: 128
    .language:       OpenCL C
    .language_version:
      - 2
      - 0
    .max_flat_workgroup_size: 256
    .name:           _ZN7rocprim17ROCPRIM_400000_NS6detail17trampoline_kernelINS0_14default_configENS1_25partition_config_selectorILNS1_17partition_subalgoE1EiNS0_10empty_typeEbEEZZNS1_14partition_implILS5_1ELb0ES3_jN6thrust23THRUST_200600_302600_NS6detail15normal_iteratorINSA_10device_ptrIiEEEEPS6_NSA_18transform_iteratorI7is_evenIiESF_NSA_11use_defaultESK_EENS0_5tupleIJSF_SF_EEENSM_IJSG_SG_EEES6_PlJS6_EEE10hipError_tPvRmT3_T4_T5_T6_T7_T9_mT8_P12ihipStream_tbDpT10_ENKUlT_T0_E_clISt17integral_constantIbLb1EES18_IbLb0EEEEDaS14_S15_EUlS14_E_NS1_11comp_targetILNS1_3genE10ELNS1_11target_archE1200ELNS1_3gpuE4ELNS1_3repE0EEENS1_30default_config_static_selectorELNS0_4arch9wavefront6targetE1EEEvT1_
    .private_segment_fixed_size: 0
    .sgpr_count:     6
    .sgpr_spill_count: 0
    .symbol:         _ZN7rocprim17ROCPRIM_400000_NS6detail17trampoline_kernelINS0_14default_configENS1_25partition_config_selectorILNS1_17partition_subalgoE1EiNS0_10empty_typeEbEEZZNS1_14partition_implILS5_1ELb0ES3_jN6thrust23THRUST_200600_302600_NS6detail15normal_iteratorINSA_10device_ptrIiEEEEPS6_NSA_18transform_iteratorI7is_evenIiESF_NSA_11use_defaultESK_EENS0_5tupleIJSF_SF_EEENSM_IJSG_SG_EEES6_PlJS6_EEE10hipError_tPvRmT3_T4_T5_T6_T7_T9_mT8_P12ihipStream_tbDpT10_ENKUlT_T0_E_clISt17integral_constantIbLb1EES18_IbLb0EEEEDaS14_S15_EUlS14_E_NS1_11comp_targetILNS1_3genE10ELNS1_11target_archE1200ELNS1_3gpuE4ELNS1_3repE0EEENS1_30default_config_static_selectorELNS0_4arch9wavefront6targetE1EEEvT1_.kd
    .uniform_work_group_size: 1
    .uses_dynamic_stack: false
    .vgpr_count:     0
    .vgpr_spill_count: 0
    .wavefront_size: 64
  - .agpr_count:     0
    .args:
      - .offset:         0
        .size:           128
        .value_kind:     by_value
    .group_segment_fixed_size: 0
    .kernarg_segment_align: 8
    .kernarg_segment_size: 128
    .language:       OpenCL C
    .language_version:
      - 2
      - 0
    .max_flat_workgroup_size: 128
    .name:           _ZN7rocprim17ROCPRIM_400000_NS6detail17trampoline_kernelINS0_14default_configENS1_25partition_config_selectorILNS1_17partition_subalgoE1EiNS0_10empty_typeEbEEZZNS1_14partition_implILS5_1ELb0ES3_jN6thrust23THRUST_200600_302600_NS6detail15normal_iteratorINSA_10device_ptrIiEEEEPS6_NSA_18transform_iteratorI7is_evenIiESF_NSA_11use_defaultESK_EENS0_5tupleIJSF_SF_EEENSM_IJSG_SG_EEES6_PlJS6_EEE10hipError_tPvRmT3_T4_T5_T6_T7_T9_mT8_P12ihipStream_tbDpT10_ENKUlT_T0_E_clISt17integral_constantIbLb1EES18_IbLb0EEEEDaS14_S15_EUlS14_E_NS1_11comp_targetILNS1_3genE9ELNS1_11target_archE1100ELNS1_3gpuE3ELNS1_3repE0EEENS1_30default_config_static_selectorELNS0_4arch9wavefront6targetE1EEEvT1_
    .private_segment_fixed_size: 0
    .sgpr_count:     6
    .sgpr_spill_count: 0
    .symbol:         _ZN7rocprim17ROCPRIM_400000_NS6detail17trampoline_kernelINS0_14default_configENS1_25partition_config_selectorILNS1_17partition_subalgoE1EiNS0_10empty_typeEbEEZZNS1_14partition_implILS5_1ELb0ES3_jN6thrust23THRUST_200600_302600_NS6detail15normal_iteratorINSA_10device_ptrIiEEEEPS6_NSA_18transform_iteratorI7is_evenIiESF_NSA_11use_defaultESK_EENS0_5tupleIJSF_SF_EEENSM_IJSG_SG_EEES6_PlJS6_EEE10hipError_tPvRmT3_T4_T5_T6_T7_T9_mT8_P12ihipStream_tbDpT10_ENKUlT_T0_E_clISt17integral_constantIbLb1EES18_IbLb0EEEEDaS14_S15_EUlS14_E_NS1_11comp_targetILNS1_3genE9ELNS1_11target_archE1100ELNS1_3gpuE3ELNS1_3repE0EEENS1_30default_config_static_selectorELNS0_4arch9wavefront6targetE1EEEvT1_.kd
    .uniform_work_group_size: 1
    .uses_dynamic_stack: false
    .vgpr_count:     0
    .vgpr_spill_count: 0
    .wavefront_size: 64
  - .agpr_count:     0
    .args:
      - .offset:         0
        .size:           128
        .value_kind:     by_value
    .group_segment_fixed_size: 0
    .kernarg_segment_align: 8
    .kernarg_segment_size: 128
    .language:       OpenCL C
    .language_version:
      - 2
      - 0
    .max_flat_workgroup_size: 512
    .name:           _ZN7rocprim17ROCPRIM_400000_NS6detail17trampoline_kernelINS0_14default_configENS1_25partition_config_selectorILNS1_17partition_subalgoE1EiNS0_10empty_typeEbEEZZNS1_14partition_implILS5_1ELb0ES3_jN6thrust23THRUST_200600_302600_NS6detail15normal_iteratorINSA_10device_ptrIiEEEEPS6_NSA_18transform_iteratorI7is_evenIiESF_NSA_11use_defaultESK_EENS0_5tupleIJSF_SF_EEENSM_IJSG_SG_EEES6_PlJS6_EEE10hipError_tPvRmT3_T4_T5_T6_T7_T9_mT8_P12ihipStream_tbDpT10_ENKUlT_T0_E_clISt17integral_constantIbLb1EES18_IbLb0EEEEDaS14_S15_EUlS14_E_NS1_11comp_targetILNS1_3genE8ELNS1_11target_archE1030ELNS1_3gpuE2ELNS1_3repE0EEENS1_30default_config_static_selectorELNS0_4arch9wavefront6targetE1EEEvT1_
    .private_segment_fixed_size: 0
    .sgpr_count:     6
    .sgpr_spill_count: 0
    .symbol:         _ZN7rocprim17ROCPRIM_400000_NS6detail17trampoline_kernelINS0_14default_configENS1_25partition_config_selectorILNS1_17partition_subalgoE1EiNS0_10empty_typeEbEEZZNS1_14partition_implILS5_1ELb0ES3_jN6thrust23THRUST_200600_302600_NS6detail15normal_iteratorINSA_10device_ptrIiEEEEPS6_NSA_18transform_iteratorI7is_evenIiESF_NSA_11use_defaultESK_EENS0_5tupleIJSF_SF_EEENSM_IJSG_SG_EEES6_PlJS6_EEE10hipError_tPvRmT3_T4_T5_T6_T7_T9_mT8_P12ihipStream_tbDpT10_ENKUlT_T0_E_clISt17integral_constantIbLb1EES18_IbLb0EEEEDaS14_S15_EUlS14_E_NS1_11comp_targetILNS1_3genE8ELNS1_11target_archE1030ELNS1_3gpuE2ELNS1_3repE0EEENS1_30default_config_static_selectorELNS0_4arch9wavefront6targetE1EEEvT1_.kd
    .uniform_work_group_size: 1
    .uses_dynamic_stack: false
    .vgpr_count:     0
    .vgpr_spill_count: 0
    .wavefront_size: 64
  - .agpr_count:     0
    .args:
      - .offset:         0
        .size:           144
        .value_kind:     by_value
    .group_segment_fixed_size: 0
    .kernarg_segment_align: 8
    .kernarg_segment_size: 144
    .language:       OpenCL C
    .language_version:
      - 2
      - 0
    .max_flat_workgroup_size: 256
    .name:           _ZN7rocprim17ROCPRIM_400000_NS6detail17trampoline_kernelINS0_14default_configENS1_25partition_config_selectorILNS1_17partition_subalgoE1EiNS0_10empty_typeEbEEZZNS1_14partition_implILS5_1ELb0ES3_jN6thrust23THRUST_200600_302600_NS6detail15normal_iteratorINSA_10device_ptrIiEEEEPS6_NSA_18transform_iteratorI7is_evenIiESF_NSA_11use_defaultESK_EENS0_5tupleIJSF_SF_EEENSM_IJSG_SG_EEES6_PlJS6_EEE10hipError_tPvRmT3_T4_T5_T6_T7_T9_mT8_P12ihipStream_tbDpT10_ENKUlT_T0_E_clISt17integral_constantIbLb0EES18_IbLb1EEEEDaS14_S15_EUlS14_E_NS1_11comp_targetILNS1_3genE0ELNS1_11target_archE4294967295ELNS1_3gpuE0ELNS1_3repE0EEENS1_30default_config_static_selectorELNS0_4arch9wavefront6targetE1EEEvT1_
    .private_segment_fixed_size: 0
    .sgpr_count:     6
    .sgpr_spill_count: 0
    .symbol:         _ZN7rocprim17ROCPRIM_400000_NS6detail17trampoline_kernelINS0_14default_configENS1_25partition_config_selectorILNS1_17partition_subalgoE1EiNS0_10empty_typeEbEEZZNS1_14partition_implILS5_1ELb0ES3_jN6thrust23THRUST_200600_302600_NS6detail15normal_iteratorINSA_10device_ptrIiEEEEPS6_NSA_18transform_iteratorI7is_evenIiESF_NSA_11use_defaultESK_EENS0_5tupleIJSF_SF_EEENSM_IJSG_SG_EEES6_PlJS6_EEE10hipError_tPvRmT3_T4_T5_T6_T7_T9_mT8_P12ihipStream_tbDpT10_ENKUlT_T0_E_clISt17integral_constantIbLb0EES18_IbLb1EEEEDaS14_S15_EUlS14_E_NS1_11comp_targetILNS1_3genE0ELNS1_11target_archE4294967295ELNS1_3gpuE0ELNS1_3repE0EEENS1_30default_config_static_selectorELNS0_4arch9wavefront6targetE1EEEvT1_.kd
    .uniform_work_group_size: 1
    .uses_dynamic_stack: false
    .vgpr_count:     0
    .vgpr_spill_count: 0
    .wavefront_size: 64
  - .agpr_count:     0
    .args:
      - .offset:         0
        .size:           144
        .value_kind:     by_value
    .group_segment_fixed_size: 30728
    .kernarg_segment_align: 8
    .kernarg_segment_size: 144
    .language:       OpenCL C
    .language_version:
      - 2
      - 0
    .max_flat_workgroup_size: 512
    .name:           _ZN7rocprim17ROCPRIM_400000_NS6detail17trampoline_kernelINS0_14default_configENS1_25partition_config_selectorILNS1_17partition_subalgoE1EiNS0_10empty_typeEbEEZZNS1_14partition_implILS5_1ELb0ES3_jN6thrust23THRUST_200600_302600_NS6detail15normal_iteratorINSA_10device_ptrIiEEEEPS6_NSA_18transform_iteratorI7is_evenIiESF_NSA_11use_defaultESK_EENS0_5tupleIJSF_SF_EEENSM_IJSG_SG_EEES6_PlJS6_EEE10hipError_tPvRmT3_T4_T5_T6_T7_T9_mT8_P12ihipStream_tbDpT10_ENKUlT_T0_E_clISt17integral_constantIbLb0EES18_IbLb1EEEEDaS14_S15_EUlS14_E_NS1_11comp_targetILNS1_3genE5ELNS1_11target_archE942ELNS1_3gpuE9ELNS1_3repE0EEENS1_30default_config_static_selectorELNS0_4arch9wavefront6targetE1EEEvT1_
    .private_segment_fixed_size: 0
    .sgpr_count:     50
    .sgpr_spill_count: 0
    .symbol:         _ZN7rocprim17ROCPRIM_400000_NS6detail17trampoline_kernelINS0_14default_configENS1_25partition_config_selectorILNS1_17partition_subalgoE1EiNS0_10empty_typeEbEEZZNS1_14partition_implILS5_1ELb0ES3_jN6thrust23THRUST_200600_302600_NS6detail15normal_iteratorINSA_10device_ptrIiEEEEPS6_NSA_18transform_iteratorI7is_evenIiESF_NSA_11use_defaultESK_EENS0_5tupleIJSF_SF_EEENSM_IJSG_SG_EEES6_PlJS6_EEE10hipError_tPvRmT3_T4_T5_T6_T7_T9_mT8_P12ihipStream_tbDpT10_ENKUlT_T0_E_clISt17integral_constantIbLb0EES18_IbLb1EEEEDaS14_S15_EUlS14_E_NS1_11comp_targetILNS1_3genE5ELNS1_11target_archE942ELNS1_3gpuE9ELNS1_3repE0EEENS1_30default_config_static_selectorELNS0_4arch9wavefront6targetE1EEEvT1_.kd
    .uniform_work_group_size: 1
    .uses_dynamic_stack: false
    .vgpr_count:     69
    .vgpr_spill_count: 0
    .wavefront_size: 64
  - .agpr_count:     0
    .args:
      - .offset:         0
        .size:           144
        .value_kind:     by_value
    .group_segment_fixed_size: 0
    .kernarg_segment_align: 8
    .kernarg_segment_size: 144
    .language:       OpenCL C
    .language_version:
      - 2
      - 0
    .max_flat_workgroup_size: 256
    .name:           _ZN7rocprim17ROCPRIM_400000_NS6detail17trampoline_kernelINS0_14default_configENS1_25partition_config_selectorILNS1_17partition_subalgoE1EiNS0_10empty_typeEbEEZZNS1_14partition_implILS5_1ELb0ES3_jN6thrust23THRUST_200600_302600_NS6detail15normal_iteratorINSA_10device_ptrIiEEEEPS6_NSA_18transform_iteratorI7is_evenIiESF_NSA_11use_defaultESK_EENS0_5tupleIJSF_SF_EEENSM_IJSG_SG_EEES6_PlJS6_EEE10hipError_tPvRmT3_T4_T5_T6_T7_T9_mT8_P12ihipStream_tbDpT10_ENKUlT_T0_E_clISt17integral_constantIbLb0EES18_IbLb1EEEEDaS14_S15_EUlS14_E_NS1_11comp_targetILNS1_3genE4ELNS1_11target_archE910ELNS1_3gpuE8ELNS1_3repE0EEENS1_30default_config_static_selectorELNS0_4arch9wavefront6targetE1EEEvT1_
    .private_segment_fixed_size: 0
    .sgpr_count:     6
    .sgpr_spill_count: 0
    .symbol:         _ZN7rocprim17ROCPRIM_400000_NS6detail17trampoline_kernelINS0_14default_configENS1_25partition_config_selectorILNS1_17partition_subalgoE1EiNS0_10empty_typeEbEEZZNS1_14partition_implILS5_1ELb0ES3_jN6thrust23THRUST_200600_302600_NS6detail15normal_iteratorINSA_10device_ptrIiEEEEPS6_NSA_18transform_iteratorI7is_evenIiESF_NSA_11use_defaultESK_EENS0_5tupleIJSF_SF_EEENSM_IJSG_SG_EEES6_PlJS6_EEE10hipError_tPvRmT3_T4_T5_T6_T7_T9_mT8_P12ihipStream_tbDpT10_ENKUlT_T0_E_clISt17integral_constantIbLb0EES18_IbLb1EEEEDaS14_S15_EUlS14_E_NS1_11comp_targetILNS1_3genE4ELNS1_11target_archE910ELNS1_3gpuE8ELNS1_3repE0EEENS1_30default_config_static_selectorELNS0_4arch9wavefront6targetE1EEEvT1_.kd
    .uniform_work_group_size: 1
    .uses_dynamic_stack: false
    .vgpr_count:     0
    .vgpr_spill_count: 0
    .wavefront_size: 64
  - .agpr_count:     0
    .args:
      - .offset:         0
        .size:           144
        .value_kind:     by_value
    .group_segment_fixed_size: 0
    .kernarg_segment_align: 8
    .kernarg_segment_size: 144
    .language:       OpenCL C
    .language_version:
      - 2
      - 0
    .max_flat_workgroup_size: 256
    .name:           _ZN7rocprim17ROCPRIM_400000_NS6detail17trampoline_kernelINS0_14default_configENS1_25partition_config_selectorILNS1_17partition_subalgoE1EiNS0_10empty_typeEbEEZZNS1_14partition_implILS5_1ELb0ES3_jN6thrust23THRUST_200600_302600_NS6detail15normal_iteratorINSA_10device_ptrIiEEEEPS6_NSA_18transform_iteratorI7is_evenIiESF_NSA_11use_defaultESK_EENS0_5tupleIJSF_SF_EEENSM_IJSG_SG_EEES6_PlJS6_EEE10hipError_tPvRmT3_T4_T5_T6_T7_T9_mT8_P12ihipStream_tbDpT10_ENKUlT_T0_E_clISt17integral_constantIbLb0EES18_IbLb1EEEEDaS14_S15_EUlS14_E_NS1_11comp_targetILNS1_3genE3ELNS1_11target_archE908ELNS1_3gpuE7ELNS1_3repE0EEENS1_30default_config_static_selectorELNS0_4arch9wavefront6targetE1EEEvT1_
    .private_segment_fixed_size: 0
    .sgpr_count:     6
    .sgpr_spill_count: 0
    .symbol:         _ZN7rocprim17ROCPRIM_400000_NS6detail17trampoline_kernelINS0_14default_configENS1_25partition_config_selectorILNS1_17partition_subalgoE1EiNS0_10empty_typeEbEEZZNS1_14partition_implILS5_1ELb0ES3_jN6thrust23THRUST_200600_302600_NS6detail15normal_iteratorINSA_10device_ptrIiEEEEPS6_NSA_18transform_iteratorI7is_evenIiESF_NSA_11use_defaultESK_EENS0_5tupleIJSF_SF_EEENSM_IJSG_SG_EEES6_PlJS6_EEE10hipError_tPvRmT3_T4_T5_T6_T7_T9_mT8_P12ihipStream_tbDpT10_ENKUlT_T0_E_clISt17integral_constantIbLb0EES18_IbLb1EEEEDaS14_S15_EUlS14_E_NS1_11comp_targetILNS1_3genE3ELNS1_11target_archE908ELNS1_3gpuE7ELNS1_3repE0EEENS1_30default_config_static_selectorELNS0_4arch9wavefront6targetE1EEEvT1_.kd
    .uniform_work_group_size: 1
    .uses_dynamic_stack: false
    .vgpr_count:     0
    .vgpr_spill_count: 0
    .wavefront_size: 64
  - .agpr_count:     0
    .args:
      - .offset:         0
        .size:           144
        .value_kind:     by_value
    .group_segment_fixed_size: 0
    .kernarg_segment_align: 8
    .kernarg_segment_size: 144
    .language:       OpenCL C
    .language_version:
      - 2
      - 0
    .max_flat_workgroup_size: 256
    .name:           _ZN7rocprim17ROCPRIM_400000_NS6detail17trampoline_kernelINS0_14default_configENS1_25partition_config_selectorILNS1_17partition_subalgoE1EiNS0_10empty_typeEbEEZZNS1_14partition_implILS5_1ELb0ES3_jN6thrust23THRUST_200600_302600_NS6detail15normal_iteratorINSA_10device_ptrIiEEEEPS6_NSA_18transform_iteratorI7is_evenIiESF_NSA_11use_defaultESK_EENS0_5tupleIJSF_SF_EEENSM_IJSG_SG_EEES6_PlJS6_EEE10hipError_tPvRmT3_T4_T5_T6_T7_T9_mT8_P12ihipStream_tbDpT10_ENKUlT_T0_E_clISt17integral_constantIbLb0EES18_IbLb1EEEEDaS14_S15_EUlS14_E_NS1_11comp_targetILNS1_3genE2ELNS1_11target_archE906ELNS1_3gpuE6ELNS1_3repE0EEENS1_30default_config_static_selectorELNS0_4arch9wavefront6targetE1EEEvT1_
    .private_segment_fixed_size: 0
    .sgpr_count:     6
    .sgpr_spill_count: 0
    .symbol:         _ZN7rocprim17ROCPRIM_400000_NS6detail17trampoline_kernelINS0_14default_configENS1_25partition_config_selectorILNS1_17partition_subalgoE1EiNS0_10empty_typeEbEEZZNS1_14partition_implILS5_1ELb0ES3_jN6thrust23THRUST_200600_302600_NS6detail15normal_iteratorINSA_10device_ptrIiEEEEPS6_NSA_18transform_iteratorI7is_evenIiESF_NSA_11use_defaultESK_EENS0_5tupleIJSF_SF_EEENSM_IJSG_SG_EEES6_PlJS6_EEE10hipError_tPvRmT3_T4_T5_T6_T7_T9_mT8_P12ihipStream_tbDpT10_ENKUlT_T0_E_clISt17integral_constantIbLb0EES18_IbLb1EEEEDaS14_S15_EUlS14_E_NS1_11comp_targetILNS1_3genE2ELNS1_11target_archE906ELNS1_3gpuE6ELNS1_3repE0EEENS1_30default_config_static_selectorELNS0_4arch9wavefront6targetE1EEEvT1_.kd
    .uniform_work_group_size: 1
    .uses_dynamic_stack: false
    .vgpr_count:     0
    .vgpr_spill_count: 0
    .wavefront_size: 64
  - .agpr_count:     0
    .args:
      - .offset:         0
        .size:           144
        .value_kind:     by_value
    .group_segment_fixed_size: 0
    .kernarg_segment_align: 8
    .kernarg_segment_size: 144
    .language:       OpenCL C
    .language_version:
      - 2
      - 0
    .max_flat_workgroup_size: 256
    .name:           _ZN7rocprim17ROCPRIM_400000_NS6detail17trampoline_kernelINS0_14default_configENS1_25partition_config_selectorILNS1_17partition_subalgoE1EiNS0_10empty_typeEbEEZZNS1_14partition_implILS5_1ELb0ES3_jN6thrust23THRUST_200600_302600_NS6detail15normal_iteratorINSA_10device_ptrIiEEEEPS6_NSA_18transform_iteratorI7is_evenIiESF_NSA_11use_defaultESK_EENS0_5tupleIJSF_SF_EEENSM_IJSG_SG_EEES6_PlJS6_EEE10hipError_tPvRmT3_T4_T5_T6_T7_T9_mT8_P12ihipStream_tbDpT10_ENKUlT_T0_E_clISt17integral_constantIbLb0EES18_IbLb1EEEEDaS14_S15_EUlS14_E_NS1_11comp_targetILNS1_3genE10ELNS1_11target_archE1200ELNS1_3gpuE4ELNS1_3repE0EEENS1_30default_config_static_selectorELNS0_4arch9wavefront6targetE1EEEvT1_
    .private_segment_fixed_size: 0
    .sgpr_count:     6
    .sgpr_spill_count: 0
    .symbol:         _ZN7rocprim17ROCPRIM_400000_NS6detail17trampoline_kernelINS0_14default_configENS1_25partition_config_selectorILNS1_17partition_subalgoE1EiNS0_10empty_typeEbEEZZNS1_14partition_implILS5_1ELb0ES3_jN6thrust23THRUST_200600_302600_NS6detail15normal_iteratorINSA_10device_ptrIiEEEEPS6_NSA_18transform_iteratorI7is_evenIiESF_NSA_11use_defaultESK_EENS0_5tupleIJSF_SF_EEENSM_IJSG_SG_EEES6_PlJS6_EEE10hipError_tPvRmT3_T4_T5_T6_T7_T9_mT8_P12ihipStream_tbDpT10_ENKUlT_T0_E_clISt17integral_constantIbLb0EES18_IbLb1EEEEDaS14_S15_EUlS14_E_NS1_11comp_targetILNS1_3genE10ELNS1_11target_archE1200ELNS1_3gpuE4ELNS1_3repE0EEENS1_30default_config_static_selectorELNS0_4arch9wavefront6targetE1EEEvT1_.kd
    .uniform_work_group_size: 1
    .uses_dynamic_stack: false
    .vgpr_count:     0
    .vgpr_spill_count: 0
    .wavefront_size: 64
  - .agpr_count:     0
    .args:
      - .offset:         0
        .size:           144
        .value_kind:     by_value
    .group_segment_fixed_size: 0
    .kernarg_segment_align: 8
    .kernarg_segment_size: 144
    .language:       OpenCL C
    .language_version:
      - 2
      - 0
    .max_flat_workgroup_size: 128
    .name:           _ZN7rocprim17ROCPRIM_400000_NS6detail17trampoline_kernelINS0_14default_configENS1_25partition_config_selectorILNS1_17partition_subalgoE1EiNS0_10empty_typeEbEEZZNS1_14partition_implILS5_1ELb0ES3_jN6thrust23THRUST_200600_302600_NS6detail15normal_iteratorINSA_10device_ptrIiEEEEPS6_NSA_18transform_iteratorI7is_evenIiESF_NSA_11use_defaultESK_EENS0_5tupleIJSF_SF_EEENSM_IJSG_SG_EEES6_PlJS6_EEE10hipError_tPvRmT3_T4_T5_T6_T7_T9_mT8_P12ihipStream_tbDpT10_ENKUlT_T0_E_clISt17integral_constantIbLb0EES18_IbLb1EEEEDaS14_S15_EUlS14_E_NS1_11comp_targetILNS1_3genE9ELNS1_11target_archE1100ELNS1_3gpuE3ELNS1_3repE0EEENS1_30default_config_static_selectorELNS0_4arch9wavefront6targetE1EEEvT1_
    .private_segment_fixed_size: 0
    .sgpr_count:     6
    .sgpr_spill_count: 0
    .symbol:         _ZN7rocprim17ROCPRIM_400000_NS6detail17trampoline_kernelINS0_14default_configENS1_25partition_config_selectorILNS1_17partition_subalgoE1EiNS0_10empty_typeEbEEZZNS1_14partition_implILS5_1ELb0ES3_jN6thrust23THRUST_200600_302600_NS6detail15normal_iteratorINSA_10device_ptrIiEEEEPS6_NSA_18transform_iteratorI7is_evenIiESF_NSA_11use_defaultESK_EENS0_5tupleIJSF_SF_EEENSM_IJSG_SG_EEES6_PlJS6_EEE10hipError_tPvRmT3_T4_T5_T6_T7_T9_mT8_P12ihipStream_tbDpT10_ENKUlT_T0_E_clISt17integral_constantIbLb0EES18_IbLb1EEEEDaS14_S15_EUlS14_E_NS1_11comp_targetILNS1_3genE9ELNS1_11target_archE1100ELNS1_3gpuE3ELNS1_3repE0EEENS1_30default_config_static_selectorELNS0_4arch9wavefront6targetE1EEEvT1_.kd
    .uniform_work_group_size: 1
    .uses_dynamic_stack: false
    .vgpr_count:     0
    .vgpr_spill_count: 0
    .wavefront_size: 64
  - .agpr_count:     0
    .args:
      - .offset:         0
        .size:           144
        .value_kind:     by_value
    .group_segment_fixed_size: 0
    .kernarg_segment_align: 8
    .kernarg_segment_size: 144
    .language:       OpenCL C
    .language_version:
      - 2
      - 0
    .max_flat_workgroup_size: 512
    .name:           _ZN7rocprim17ROCPRIM_400000_NS6detail17trampoline_kernelINS0_14default_configENS1_25partition_config_selectorILNS1_17partition_subalgoE1EiNS0_10empty_typeEbEEZZNS1_14partition_implILS5_1ELb0ES3_jN6thrust23THRUST_200600_302600_NS6detail15normal_iteratorINSA_10device_ptrIiEEEEPS6_NSA_18transform_iteratorI7is_evenIiESF_NSA_11use_defaultESK_EENS0_5tupleIJSF_SF_EEENSM_IJSG_SG_EEES6_PlJS6_EEE10hipError_tPvRmT3_T4_T5_T6_T7_T9_mT8_P12ihipStream_tbDpT10_ENKUlT_T0_E_clISt17integral_constantIbLb0EES18_IbLb1EEEEDaS14_S15_EUlS14_E_NS1_11comp_targetILNS1_3genE8ELNS1_11target_archE1030ELNS1_3gpuE2ELNS1_3repE0EEENS1_30default_config_static_selectorELNS0_4arch9wavefront6targetE1EEEvT1_
    .private_segment_fixed_size: 0
    .sgpr_count:     6
    .sgpr_spill_count: 0
    .symbol:         _ZN7rocprim17ROCPRIM_400000_NS6detail17trampoline_kernelINS0_14default_configENS1_25partition_config_selectorILNS1_17partition_subalgoE1EiNS0_10empty_typeEbEEZZNS1_14partition_implILS5_1ELb0ES3_jN6thrust23THRUST_200600_302600_NS6detail15normal_iteratorINSA_10device_ptrIiEEEEPS6_NSA_18transform_iteratorI7is_evenIiESF_NSA_11use_defaultESK_EENS0_5tupleIJSF_SF_EEENSM_IJSG_SG_EEES6_PlJS6_EEE10hipError_tPvRmT3_T4_T5_T6_T7_T9_mT8_P12ihipStream_tbDpT10_ENKUlT_T0_E_clISt17integral_constantIbLb0EES18_IbLb1EEEEDaS14_S15_EUlS14_E_NS1_11comp_targetILNS1_3genE8ELNS1_11target_archE1030ELNS1_3gpuE2ELNS1_3repE0EEENS1_30default_config_static_selectorELNS0_4arch9wavefront6targetE1EEEvT1_.kd
    .uniform_work_group_size: 1
    .uses_dynamic_stack: false
    .vgpr_count:     0
    .vgpr_spill_count: 0
    .wavefront_size: 64
  - .agpr_count:     0
    .args:
      - .offset:         0
        .size:           128
        .value_kind:     by_value
    .group_segment_fixed_size: 0
    .kernarg_segment_align: 8
    .kernarg_segment_size: 128
    .language:       OpenCL C
    .language_version:
      - 2
      - 0
    .max_flat_workgroup_size: 256
    .name:           _ZN7rocprim17ROCPRIM_400000_NS6detail17trampoline_kernelINS0_14default_configENS1_25partition_config_selectorILNS1_17partition_subalgoE1EsNS0_10empty_typeEbEEZZNS1_14partition_implILS5_1ELb0ES3_jN6thrust23THRUST_200600_302600_NS6detail15normal_iteratorINSA_10device_ptrIsEEEEPS6_NSA_18transform_iteratorI7is_evenIsESF_NSA_11use_defaultESK_EENS0_5tupleIJSF_SF_EEENSM_IJSG_SG_EEES6_PlJS6_EEE10hipError_tPvRmT3_T4_T5_T6_T7_T9_mT8_P12ihipStream_tbDpT10_ENKUlT_T0_E_clISt17integral_constantIbLb0EES19_EEDaS14_S15_EUlS14_E_NS1_11comp_targetILNS1_3genE0ELNS1_11target_archE4294967295ELNS1_3gpuE0ELNS1_3repE0EEENS1_30default_config_static_selectorELNS0_4arch9wavefront6targetE1EEEvT1_
    .private_segment_fixed_size: 0
    .sgpr_count:     6
    .sgpr_spill_count: 0
    .symbol:         _ZN7rocprim17ROCPRIM_400000_NS6detail17trampoline_kernelINS0_14default_configENS1_25partition_config_selectorILNS1_17partition_subalgoE1EsNS0_10empty_typeEbEEZZNS1_14partition_implILS5_1ELb0ES3_jN6thrust23THRUST_200600_302600_NS6detail15normal_iteratorINSA_10device_ptrIsEEEEPS6_NSA_18transform_iteratorI7is_evenIsESF_NSA_11use_defaultESK_EENS0_5tupleIJSF_SF_EEENSM_IJSG_SG_EEES6_PlJS6_EEE10hipError_tPvRmT3_T4_T5_T6_T7_T9_mT8_P12ihipStream_tbDpT10_ENKUlT_T0_E_clISt17integral_constantIbLb0EES19_EEDaS14_S15_EUlS14_E_NS1_11comp_targetILNS1_3genE0ELNS1_11target_archE4294967295ELNS1_3gpuE0ELNS1_3repE0EEENS1_30default_config_static_selectorELNS0_4arch9wavefront6targetE1EEEvT1_.kd
    .uniform_work_group_size: 1
    .uses_dynamic_stack: false
    .vgpr_count:     0
    .vgpr_spill_count: 0
    .wavefront_size: 64
  - .agpr_count:     0
    .args:
      - .offset:         0
        .size:           128
        .value_kind:     by_value
    .group_segment_fixed_size: 28680
    .kernarg_segment_align: 8
    .kernarg_segment_size: 128
    .language:       OpenCL C
    .language_version:
      - 2
      - 0
    .max_flat_workgroup_size: 512
    .name:           _ZN7rocprim17ROCPRIM_400000_NS6detail17trampoline_kernelINS0_14default_configENS1_25partition_config_selectorILNS1_17partition_subalgoE1EsNS0_10empty_typeEbEEZZNS1_14partition_implILS5_1ELb0ES3_jN6thrust23THRUST_200600_302600_NS6detail15normal_iteratorINSA_10device_ptrIsEEEEPS6_NSA_18transform_iteratorI7is_evenIsESF_NSA_11use_defaultESK_EENS0_5tupleIJSF_SF_EEENSM_IJSG_SG_EEES6_PlJS6_EEE10hipError_tPvRmT3_T4_T5_T6_T7_T9_mT8_P12ihipStream_tbDpT10_ENKUlT_T0_E_clISt17integral_constantIbLb0EES19_EEDaS14_S15_EUlS14_E_NS1_11comp_targetILNS1_3genE5ELNS1_11target_archE942ELNS1_3gpuE9ELNS1_3repE0EEENS1_30default_config_static_selectorELNS0_4arch9wavefront6targetE1EEEvT1_
    .private_segment_fixed_size: 0
    .sgpr_count:     50
    .sgpr_spill_count: 0
    .symbol:         _ZN7rocprim17ROCPRIM_400000_NS6detail17trampoline_kernelINS0_14default_configENS1_25partition_config_selectorILNS1_17partition_subalgoE1EsNS0_10empty_typeEbEEZZNS1_14partition_implILS5_1ELb0ES3_jN6thrust23THRUST_200600_302600_NS6detail15normal_iteratorINSA_10device_ptrIsEEEEPS6_NSA_18transform_iteratorI7is_evenIsESF_NSA_11use_defaultESK_EENS0_5tupleIJSF_SF_EEENSM_IJSG_SG_EEES6_PlJS6_EEE10hipError_tPvRmT3_T4_T5_T6_T7_T9_mT8_P12ihipStream_tbDpT10_ENKUlT_T0_E_clISt17integral_constantIbLb0EES19_EEDaS14_S15_EUlS14_E_NS1_11comp_targetILNS1_3genE5ELNS1_11target_archE942ELNS1_3gpuE9ELNS1_3repE0EEENS1_30default_config_static_selectorELNS0_4arch9wavefront6targetE1EEEvT1_.kd
    .uniform_work_group_size: 1
    .uses_dynamic_stack: false
    .vgpr_count:     79
    .vgpr_spill_count: 0
    .wavefront_size: 64
  - .agpr_count:     0
    .args:
      - .offset:         0
        .size:           128
        .value_kind:     by_value
    .group_segment_fixed_size: 0
    .kernarg_segment_align: 8
    .kernarg_segment_size: 128
    .language:       OpenCL C
    .language_version:
      - 2
      - 0
    .max_flat_workgroup_size: 256
    .name:           _ZN7rocprim17ROCPRIM_400000_NS6detail17trampoline_kernelINS0_14default_configENS1_25partition_config_selectorILNS1_17partition_subalgoE1EsNS0_10empty_typeEbEEZZNS1_14partition_implILS5_1ELb0ES3_jN6thrust23THRUST_200600_302600_NS6detail15normal_iteratorINSA_10device_ptrIsEEEEPS6_NSA_18transform_iteratorI7is_evenIsESF_NSA_11use_defaultESK_EENS0_5tupleIJSF_SF_EEENSM_IJSG_SG_EEES6_PlJS6_EEE10hipError_tPvRmT3_T4_T5_T6_T7_T9_mT8_P12ihipStream_tbDpT10_ENKUlT_T0_E_clISt17integral_constantIbLb0EES19_EEDaS14_S15_EUlS14_E_NS1_11comp_targetILNS1_3genE4ELNS1_11target_archE910ELNS1_3gpuE8ELNS1_3repE0EEENS1_30default_config_static_selectorELNS0_4arch9wavefront6targetE1EEEvT1_
    .private_segment_fixed_size: 0
    .sgpr_count:     6
    .sgpr_spill_count: 0
    .symbol:         _ZN7rocprim17ROCPRIM_400000_NS6detail17trampoline_kernelINS0_14default_configENS1_25partition_config_selectorILNS1_17partition_subalgoE1EsNS0_10empty_typeEbEEZZNS1_14partition_implILS5_1ELb0ES3_jN6thrust23THRUST_200600_302600_NS6detail15normal_iteratorINSA_10device_ptrIsEEEEPS6_NSA_18transform_iteratorI7is_evenIsESF_NSA_11use_defaultESK_EENS0_5tupleIJSF_SF_EEENSM_IJSG_SG_EEES6_PlJS6_EEE10hipError_tPvRmT3_T4_T5_T6_T7_T9_mT8_P12ihipStream_tbDpT10_ENKUlT_T0_E_clISt17integral_constantIbLb0EES19_EEDaS14_S15_EUlS14_E_NS1_11comp_targetILNS1_3genE4ELNS1_11target_archE910ELNS1_3gpuE8ELNS1_3repE0EEENS1_30default_config_static_selectorELNS0_4arch9wavefront6targetE1EEEvT1_.kd
    .uniform_work_group_size: 1
    .uses_dynamic_stack: false
    .vgpr_count:     0
    .vgpr_spill_count: 0
    .wavefront_size: 64
  - .agpr_count:     0
    .args:
      - .offset:         0
        .size:           128
        .value_kind:     by_value
    .group_segment_fixed_size: 0
    .kernarg_segment_align: 8
    .kernarg_segment_size: 128
    .language:       OpenCL C
    .language_version:
      - 2
      - 0
    .max_flat_workgroup_size: 256
    .name:           _ZN7rocprim17ROCPRIM_400000_NS6detail17trampoline_kernelINS0_14default_configENS1_25partition_config_selectorILNS1_17partition_subalgoE1EsNS0_10empty_typeEbEEZZNS1_14partition_implILS5_1ELb0ES3_jN6thrust23THRUST_200600_302600_NS6detail15normal_iteratorINSA_10device_ptrIsEEEEPS6_NSA_18transform_iteratorI7is_evenIsESF_NSA_11use_defaultESK_EENS0_5tupleIJSF_SF_EEENSM_IJSG_SG_EEES6_PlJS6_EEE10hipError_tPvRmT3_T4_T5_T6_T7_T9_mT8_P12ihipStream_tbDpT10_ENKUlT_T0_E_clISt17integral_constantIbLb0EES19_EEDaS14_S15_EUlS14_E_NS1_11comp_targetILNS1_3genE3ELNS1_11target_archE908ELNS1_3gpuE7ELNS1_3repE0EEENS1_30default_config_static_selectorELNS0_4arch9wavefront6targetE1EEEvT1_
    .private_segment_fixed_size: 0
    .sgpr_count:     6
    .sgpr_spill_count: 0
    .symbol:         _ZN7rocprim17ROCPRIM_400000_NS6detail17trampoline_kernelINS0_14default_configENS1_25partition_config_selectorILNS1_17partition_subalgoE1EsNS0_10empty_typeEbEEZZNS1_14partition_implILS5_1ELb0ES3_jN6thrust23THRUST_200600_302600_NS6detail15normal_iteratorINSA_10device_ptrIsEEEEPS6_NSA_18transform_iteratorI7is_evenIsESF_NSA_11use_defaultESK_EENS0_5tupleIJSF_SF_EEENSM_IJSG_SG_EEES6_PlJS6_EEE10hipError_tPvRmT3_T4_T5_T6_T7_T9_mT8_P12ihipStream_tbDpT10_ENKUlT_T0_E_clISt17integral_constantIbLb0EES19_EEDaS14_S15_EUlS14_E_NS1_11comp_targetILNS1_3genE3ELNS1_11target_archE908ELNS1_3gpuE7ELNS1_3repE0EEENS1_30default_config_static_selectorELNS0_4arch9wavefront6targetE1EEEvT1_.kd
    .uniform_work_group_size: 1
    .uses_dynamic_stack: false
    .vgpr_count:     0
    .vgpr_spill_count: 0
    .wavefront_size: 64
  - .agpr_count:     0
    .args:
      - .offset:         0
        .size:           128
        .value_kind:     by_value
    .group_segment_fixed_size: 0
    .kernarg_segment_align: 8
    .kernarg_segment_size: 128
    .language:       OpenCL C
    .language_version:
      - 2
      - 0
    .max_flat_workgroup_size: 256
    .name:           _ZN7rocprim17ROCPRIM_400000_NS6detail17trampoline_kernelINS0_14default_configENS1_25partition_config_selectorILNS1_17partition_subalgoE1EsNS0_10empty_typeEbEEZZNS1_14partition_implILS5_1ELb0ES3_jN6thrust23THRUST_200600_302600_NS6detail15normal_iteratorINSA_10device_ptrIsEEEEPS6_NSA_18transform_iteratorI7is_evenIsESF_NSA_11use_defaultESK_EENS0_5tupleIJSF_SF_EEENSM_IJSG_SG_EEES6_PlJS6_EEE10hipError_tPvRmT3_T4_T5_T6_T7_T9_mT8_P12ihipStream_tbDpT10_ENKUlT_T0_E_clISt17integral_constantIbLb0EES19_EEDaS14_S15_EUlS14_E_NS1_11comp_targetILNS1_3genE2ELNS1_11target_archE906ELNS1_3gpuE6ELNS1_3repE0EEENS1_30default_config_static_selectorELNS0_4arch9wavefront6targetE1EEEvT1_
    .private_segment_fixed_size: 0
    .sgpr_count:     6
    .sgpr_spill_count: 0
    .symbol:         _ZN7rocprim17ROCPRIM_400000_NS6detail17trampoline_kernelINS0_14default_configENS1_25partition_config_selectorILNS1_17partition_subalgoE1EsNS0_10empty_typeEbEEZZNS1_14partition_implILS5_1ELb0ES3_jN6thrust23THRUST_200600_302600_NS6detail15normal_iteratorINSA_10device_ptrIsEEEEPS6_NSA_18transform_iteratorI7is_evenIsESF_NSA_11use_defaultESK_EENS0_5tupleIJSF_SF_EEENSM_IJSG_SG_EEES6_PlJS6_EEE10hipError_tPvRmT3_T4_T5_T6_T7_T9_mT8_P12ihipStream_tbDpT10_ENKUlT_T0_E_clISt17integral_constantIbLb0EES19_EEDaS14_S15_EUlS14_E_NS1_11comp_targetILNS1_3genE2ELNS1_11target_archE906ELNS1_3gpuE6ELNS1_3repE0EEENS1_30default_config_static_selectorELNS0_4arch9wavefront6targetE1EEEvT1_.kd
    .uniform_work_group_size: 1
    .uses_dynamic_stack: false
    .vgpr_count:     0
    .vgpr_spill_count: 0
    .wavefront_size: 64
  - .agpr_count:     0
    .args:
      - .offset:         0
        .size:           128
        .value_kind:     by_value
    .group_segment_fixed_size: 0
    .kernarg_segment_align: 8
    .kernarg_segment_size: 128
    .language:       OpenCL C
    .language_version:
      - 2
      - 0
    .max_flat_workgroup_size: 384
    .name:           _ZN7rocprim17ROCPRIM_400000_NS6detail17trampoline_kernelINS0_14default_configENS1_25partition_config_selectorILNS1_17partition_subalgoE1EsNS0_10empty_typeEbEEZZNS1_14partition_implILS5_1ELb0ES3_jN6thrust23THRUST_200600_302600_NS6detail15normal_iteratorINSA_10device_ptrIsEEEEPS6_NSA_18transform_iteratorI7is_evenIsESF_NSA_11use_defaultESK_EENS0_5tupleIJSF_SF_EEENSM_IJSG_SG_EEES6_PlJS6_EEE10hipError_tPvRmT3_T4_T5_T6_T7_T9_mT8_P12ihipStream_tbDpT10_ENKUlT_T0_E_clISt17integral_constantIbLb0EES19_EEDaS14_S15_EUlS14_E_NS1_11comp_targetILNS1_3genE10ELNS1_11target_archE1200ELNS1_3gpuE4ELNS1_3repE0EEENS1_30default_config_static_selectorELNS0_4arch9wavefront6targetE1EEEvT1_
    .private_segment_fixed_size: 0
    .sgpr_count:     6
    .sgpr_spill_count: 0
    .symbol:         _ZN7rocprim17ROCPRIM_400000_NS6detail17trampoline_kernelINS0_14default_configENS1_25partition_config_selectorILNS1_17partition_subalgoE1EsNS0_10empty_typeEbEEZZNS1_14partition_implILS5_1ELb0ES3_jN6thrust23THRUST_200600_302600_NS6detail15normal_iteratorINSA_10device_ptrIsEEEEPS6_NSA_18transform_iteratorI7is_evenIsESF_NSA_11use_defaultESK_EENS0_5tupleIJSF_SF_EEENSM_IJSG_SG_EEES6_PlJS6_EEE10hipError_tPvRmT3_T4_T5_T6_T7_T9_mT8_P12ihipStream_tbDpT10_ENKUlT_T0_E_clISt17integral_constantIbLb0EES19_EEDaS14_S15_EUlS14_E_NS1_11comp_targetILNS1_3genE10ELNS1_11target_archE1200ELNS1_3gpuE4ELNS1_3repE0EEENS1_30default_config_static_selectorELNS0_4arch9wavefront6targetE1EEEvT1_.kd
    .uniform_work_group_size: 1
    .uses_dynamic_stack: false
    .vgpr_count:     0
    .vgpr_spill_count: 0
    .wavefront_size: 64
  - .agpr_count:     0
    .args:
      - .offset:         0
        .size:           128
        .value_kind:     by_value
    .group_segment_fixed_size: 0
    .kernarg_segment_align: 8
    .kernarg_segment_size: 128
    .language:       OpenCL C
    .language_version:
      - 2
      - 0
    .max_flat_workgroup_size: 128
    .name:           _ZN7rocprim17ROCPRIM_400000_NS6detail17trampoline_kernelINS0_14default_configENS1_25partition_config_selectorILNS1_17partition_subalgoE1EsNS0_10empty_typeEbEEZZNS1_14partition_implILS5_1ELb0ES3_jN6thrust23THRUST_200600_302600_NS6detail15normal_iteratorINSA_10device_ptrIsEEEEPS6_NSA_18transform_iteratorI7is_evenIsESF_NSA_11use_defaultESK_EENS0_5tupleIJSF_SF_EEENSM_IJSG_SG_EEES6_PlJS6_EEE10hipError_tPvRmT3_T4_T5_T6_T7_T9_mT8_P12ihipStream_tbDpT10_ENKUlT_T0_E_clISt17integral_constantIbLb0EES19_EEDaS14_S15_EUlS14_E_NS1_11comp_targetILNS1_3genE9ELNS1_11target_archE1100ELNS1_3gpuE3ELNS1_3repE0EEENS1_30default_config_static_selectorELNS0_4arch9wavefront6targetE1EEEvT1_
    .private_segment_fixed_size: 0
    .sgpr_count:     6
    .sgpr_spill_count: 0
    .symbol:         _ZN7rocprim17ROCPRIM_400000_NS6detail17trampoline_kernelINS0_14default_configENS1_25partition_config_selectorILNS1_17partition_subalgoE1EsNS0_10empty_typeEbEEZZNS1_14partition_implILS5_1ELb0ES3_jN6thrust23THRUST_200600_302600_NS6detail15normal_iteratorINSA_10device_ptrIsEEEEPS6_NSA_18transform_iteratorI7is_evenIsESF_NSA_11use_defaultESK_EENS0_5tupleIJSF_SF_EEENSM_IJSG_SG_EEES6_PlJS6_EEE10hipError_tPvRmT3_T4_T5_T6_T7_T9_mT8_P12ihipStream_tbDpT10_ENKUlT_T0_E_clISt17integral_constantIbLb0EES19_EEDaS14_S15_EUlS14_E_NS1_11comp_targetILNS1_3genE9ELNS1_11target_archE1100ELNS1_3gpuE3ELNS1_3repE0EEENS1_30default_config_static_selectorELNS0_4arch9wavefront6targetE1EEEvT1_.kd
    .uniform_work_group_size: 1
    .uses_dynamic_stack: false
    .vgpr_count:     0
    .vgpr_spill_count: 0
    .wavefront_size: 64
  - .agpr_count:     0
    .args:
      - .offset:         0
        .size:           128
        .value_kind:     by_value
    .group_segment_fixed_size: 0
    .kernarg_segment_align: 8
    .kernarg_segment_size: 128
    .language:       OpenCL C
    .language_version:
      - 2
      - 0
    .max_flat_workgroup_size: 512
    .name:           _ZN7rocprim17ROCPRIM_400000_NS6detail17trampoline_kernelINS0_14default_configENS1_25partition_config_selectorILNS1_17partition_subalgoE1EsNS0_10empty_typeEbEEZZNS1_14partition_implILS5_1ELb0ES3_jN6thrust23THRUST_200600_302600_NS6detail15normal_iteratorINSA_10device_ptrIsEEEEPS6_NSA_18transform_iteratorI7is_evenIsESF_NSA_11use_defaultESK_EENS0_5tupleIJSF_SF_EEENSM_IJSG_SG_EEES6_PlJS6_EEE10hipError_tPvRmT3_T4_T5_T6_T7_T9_mT8_P12ihipStream_tbDpT10_ENKUlT_T0_E_clISt17integral_constantIbLb0EES19_EEDaS14_S15_EUlS14_E_NS1_11comp_targetILNS1_3genE8ELNS1_11target_archE1030ELNS1_3gpuE2ELNS1_3repE0EEENS1_30default_config_static_selectorELNS0_4arch9wavefront6targetE1EEEvT1_
    .private_segment_fixed_size: 0
    .sgpr_count:     6
    .sgpr_spill_count: 0
    .symbol:         _ZN7rocprim17ROCPRIM_400000_NS6detail17trampoline_kernelINS0_14default_configENS1_25partition_config_selectorILNS1_17partition_subalgoE1EsNS0_10empty_typeEbEEZZNS1_14partition_implILS5_1ELb0ES3_jN6thrust23THRUST_200600_302600_NS6detail15normal_iteratorINSA_10device_ptrIsEEEEPS6_NSA_18transform_iteratorI7is_evenIsESF_NSA_11use_defaultESK_EENS0_5tupleIJSF_SF_EEENSM_IJSG_SG_EEES6_PlJS6_EEE10hipError_tPvRmT3_T4_T5_T6_T7_T9_mT8_P12ihipStream_tbDpT10_ENKUlT_T0_E_clISt17integral_constantIbLb0EES19_EEDaS14_S15_EUlS14_E_NS1_11comp_targetILNS1_3genE8ELNS1_11target_archE1030ELNS1_3gpuE2ELNS1_3repE0EEENS1_30default_config_static_selectorELNS0_4arch9wavefront6targetE1EEEvT1_.kd
    .uniform_work_group_size: 1
    .uses_dynamic_stack: false
    .vgpr_count:     0
    .vgpr_spill_count: 0
    .wavefront_size: 64
  - .agpr_count:     0
    .args:
      - .offset:         0
        .size:           144
        .value_kind:     by_value
    .group_segment_fixed_size: 0
    .kernarg_segment_align: 8
    .kernarg_segment_size: 144
    .language:       OpenCL C
    .language_version:
      - 2
      - 0
    .max_flat_workgroup_size: 256
    .name:           _ZN7rocprim17ROCPRIM_400000_NS6detail17trampoline_kernelINS0_14default_configENS1_25partition_config_selectorILNS1_17partition_subalgoE1EsNS0_10empty_typeEbEEZZNS1_14partition_implILS5_1ELb0ES3_jN6thrust23THRUST_200600_302600_NS6detail15normal_iteratorINSA_10device_ptrIsEEEEPS6_NSA_18transform_iteratorI7is_evenIsESF_NSA_11use_defaultESK_EENS0_5tupleIJSF_SF_EEENSM_IJSG_SG_EEES6_PlJS6_EEE10hipError_tPvRmT3_T4_T5_T6_T7_T9_mT8_P12ihipStream_tbDpT10_ENKUlT_T0_E_clISt17integral_constantIbLb1EES19_EEDaS14_S15_EUlS14_E_NS1_11comp_targetILNS1_3genE0ELNS1_11target_archE4294967295ELNS1_3gpuE0ELNS1_3repE0EEENS1_30default_config_static_selectorELNS0_4arch9wavefront6targetE1EEEvT1_
    .private_segment_fixed_size: 0
    .sgpr_count:     6
    .sgpr_spill_count: 0
    .symbol:         _ZN7rocprim17ROCPRIM_400000_NS6detail17trampoline_kernelINS0_14default_configENS1_25partition_config_selectorILNS1_17partition_subalgoE1EsNS0_10empty_typeEbEEZZNS1_14partition_implILS5_1ELb0ES3_jN6thrust23THRUST_200600_302600_NS6detail15normal_iteratorINSA_10device_ptrIsEEEEPS6_NSA_18transform_iteratorI7is_evenIsESF_NSA_11use_defaultESK_EENS0_5tupleIJSF_SF_EEENSM_IJSG_SG_EEES6_PlJS6_EEE10hipError_tPvRmT3_T4_T5_T6_T7_T9_mT8_P12ihipStream_tbDpT10_ENKUlT_T0_E_clISt17integral_constantIbLb1EES19_EEDaS14_S15_EUlS14_E_NS1_11comp_targetILNS1_3genE0ELNS1_11target_archE4294967295ELNS1_3gpuE0ELNS1_3repE0EEENS1_30default_config_static_selectorELNS0_4arch9wavefront6targetE1EEEvT1_.kd
    .uniform_work_group_size: 1
    .uses_dynamic_stack: false
    .vgpr_count:     0
    .vgpr_spill_count: 0
    .wavefront_size: 64
  - .agpr_count:     0
    .args:
      - .offset:         0
        .size:           144
        .value_kind:     by_value
    .group_segment_fixed_size: 28680
    .kernarg_segment_align: 8
    .kernarg_segment_size: 144
    .language:       OpenCL C
    .language_version:
      - 2
      - 0
    .max_flat_workgroup_size: 512
    .name:           _ZN7rocprim17ROCPRIM_400000_NS6detail17trampoline_kernelINS0_14default_configENS1_25partition_config_selectorILNS1_17partition_subalgoE1EsNS0_10empty_typeEbEEZZNS1_14partition_implILS5_1ELb0ES3_jN6thrust23THRUST_200600_302600_NS6detail15normal_iteratorINSA_10device_ptrIsEEEEPS6_NSA_18transform_iteratorI7is_evenIsESF_NSA_11use_defaultESK_EENS0_5tupleIJSF_SF_EEENSM_IJSG_SG_EEES6_PlJS6_EEE10hipError_tPvRmT3_T4_T5_T6_T7_T9_mT8_P12ihipStream_tbDpT10_ENKUlT_T0_E_clISt17integral_constantIbLb1EES19_EEDaS14_S15_EUlS14_E_NS1_11comp_targetILNS1_3genE5ELNS1_11target_archE942ELNS1_3gpuE9ELNS1_3repE0EEENS1_30default_config_static_selectorELNS0_4arch9wavefront6targetE1EEEvT1_
    .private_segment_fixed_size: 0
    .sgpr_count:     50
    .sgpr_spill_count: 0
    .symbol:         _ZN7rocprim17ROCPRIM_400000_NS6detail17trampoline_kernelINS0_14default_configENS1_25partition_config_selectorILNS1_17partition_subalgoE1EsNS0_10empty_typeEbEEZZNS1_14partition_implILS5_1ELb0ES3_jN6thrust23THRUST_200600_302600_NS6detail15normal_iteratorINSA_10device_ptrIsEEEEPS6_NSA_18transform_iteratorI7is_evenIsESF_NSA_11use_defaultESK_EENS0_5tupleIJSF_SF_EEENSM_IJSG_SG_EEES6_PlJS6_EEE10hipError_tPvRmT3_T4_T5_T6_T7_T9_mT8_P12ihipStream_tbDpT10_ENKUlT_T0_E_clISt17integral_constantIbLb1EES19_EEDaS14_S15_EUlS14_E_NS1_11comp_targetILNS1_3genE5ELNS1_11target_archE942ELNS1_3gpuE9ELNS1_3repE0EEENS1_30default_config_static_selectorELNS0_4arch9wavefront6targetE1EEEvT1_.kd
    .uniform_work_group_size: 1
    .uses_dynamic_stack: false
    .vgpr_count:     83
    .vgpr_spill_count: 0
    .wavefront_size: 64
  - .agpr_count:     0
    .args:
      - .offset:         0
        .size:           144
        .value_kind:     by_value
    .group_segment_fixed_size: 0
    .kernarg_segment_align: 8
    .kernarg_segment_size: 144
    .language:       OpenCL C
    .language_version:
      - 2
      - 0
    .max_flat_workgroup_size: 256
    .name:           _ZN7rocprim17ROCPRIM_400000_NS6detail17trampoline_kernelINS0_14default_configENS1_25partition_config_selectorILNS1_17partition_subalgoE1EsNS0_10empty_typeEbEEZZNS1_14partition_implILS5_1ELb0ES3_jN6thrust23THRUST_200600_302600_NS6detail15normal_iteratorINSA_10device_ptrIsEEEEPS6_NSA_18transform_iteratorI7is_evenIsESF_NSA_11use_defaultESK_EENS0_5tupleIJSF_SF_EEENSM_IJSG_SG_EEES6_PlJS6_EEE10hipError_tPvRmT3_T4_T5_T6_T7_T9_mT8_P12ihipStream_tbDpT10_ENKUlT_T0_E_clISt17integral_constantIbLb1EES19_EEDaS14_S15_EUlS14_E_NS1_11comp_targetILNS1_3genE4ELNS1_11target_archE910ELNS1_3gpuE8ELNS1_3repE0EEENS1_30default_config_static_selectorELNS0_4arch9wavefront6targetE1EEEvT1_
    .private_segment_fixed_size: 0
    .sgpr_count:     6
    .sgpr_spill_count: 0
    .symbol:         _ZN7rocprim17ROCPRIM_400000_NS6detail17trampoline_kernelINS0_14default_configENS1_25partition_config_selectorILNS1_17partition_subalgoE1EsNS0_10empty_typeEbEEZZNS1_14partition_implILS5_1ELb0ES3_jN6thrust23THRUST_200600_302600_NS6detail15normal_iteratorINSA_10device_ptrIsEEEEPS6_NSA_18transform_iteratorI7is_evenIsESF_NSA_11use_defaultESK_EENS0_5tupleIJSF_SF_EEENSM_IJSG_SG_EEES6_PlJS6_EEE10hipError_tPvRmT3_T4_T5_T6_T7_T9_mT8_P12ihipStream_tbDpT10_ENKUlT_T0_E_clISt17integral_constantIbLb1EES19_EEDaS14_S15_EUlS14_E_NS1_11comp_targetILNS1_3genE4ELNS1_11target_archE910ELNS1_3gpuE8ELNS1_3repE0EEENS1_30default_config_static_selectorELNS0_4arch9wavefront6targetE1EEEvT1_.kd
    .uniform_work_group_size: 1
    .uses_dynamic_stack: false
    .vgpr_count:     0
    .vgpr_spill_count: 0
    .wavefront_size: 64
  - .agpr_count:     0
    .args:
      - .offset:         0
        .size:           144
        .value_kind:     by_value
    .group_segment_fixed_size: 0
    .kernarg_segment_align: 8
    .kernarg_segment_size: 144
    .language:       OpenCL C
    .language_version:
      - 2
      - 0
    .max_flat_workgroup_size: 256
    .name:           _ZN7rocprim17ROCPRIM_400000_NS6detail17trampoline_kernelINS0_14default_configENS1_25partition_config_selectorILNS1_17partition_subalgoE1EsNS0_10empty_typeEbEEZZNS1_14partition_implILS5_1ELb0ES3_jN6thrust23THRUST_200600_302600_NS6detail15normal_iteratorINSA_10device_ptrIsEEEEPS6_NSA_18transform_iteratorI7is_evenIsESF_NSA_11use_defaultESK_EENS0_5tupleIJSF_SF_EEENSM_IJSG_SG_EEES6_PlJS6_EEE10hipError_tPvRmT3_T4_T5_T6_T7_T9_mT8_P12ihipStream_tbDpT10_ENKUlT_T0_E_clISt17integral_constantIbLb1EES19_EEDaS14_S15_EUlS14_E_NS1_11comp_targetILNS1_3genE3ELNS1_11target_archE908ELNS1_3gpuE7ELNS1_3repE0EEENS1_30default_config_static_selectorELNS0_4arch9wavefront6targetE1EEEvT1_
    .private_segment_fixed_size: 0
    .sgpr_count:     6
    .sgpr_spill_count: 0
    .symbol:         _ZN7rocprim17ROCPRIM_400000_NS6detail17trampoline_kernelINS0_14default_configENS1_25partition_config_selectorILNS1_17partition_subalgoE1EsNS0_10empty_typeEbEEZZNS1_14partition_implILS5_1ELb0ES3_jN6thrust23THRUST_200600_302600_NS6detail15normal_iteratorINSA_10device_ptrIsEEEEPS6_NSA_18transform_iteratorI7is_evenIsESF_NSA_11use_defaultESK_EENS0_5tupleIJSF_SF_EEENSM_IJSG_SG_EEES6_PlJS6_EEE10hipError_tPvRmT3_T4_T5_T6_T7_T9_mT8_P12ihipStream_tbDpT10_ENKUlT_T0_E_clISt17integral_constantIbLb1EES19_EEDaS14_S15_EUlS14_E_NS1_11comp_targetILNS1_3genE3ELNS1_11target_archE908ELNS1_3gpuE7ELNS1_3repE0EEENS1_30default_config_static_selectorELNS0_4arch9wavefront6targetE1EEEvT1_.kd
    .uniform_work_group_size: 1
    .uses_dynamic_stack: false
    .vgpr_count:     0
    .vgpr_spill_count: 0
    .wavefront_size: 64
  - .agpr_count:     0
    .args:
      - .offset:         0
        .size:           144
        .value_kind:     by_value
    .group_segment_fixed_size: 0
    .kernarg_segment_align: 8
    .kernarg_segment_size: 144
    .language:       OpenCL C
    .language_version:
      - 2
      - 0
    .max_flat_workgroup_size: 256
    .name:           _ZN7rocprim17ROCPRIM_400000_NS6detail17trampoline_kernelINS0_14default_configENS1_25partition_config_selectorILNS1_17partition_subalgoE1EsNS0_10empty_typeEbEEZZNS1_14partition_implILS5_1ELb0ES3_jN6thrust23THRUST_200600_302600_NS6detail15normal_iteratorINSA_10device_ptrIsEEEEPS6_NSA_18transform_iteratorI7is_evenIsESF_NSA_11use_defaultESK_EENS0_5tupleIJSF_SF_EEENSM_IJSG_SG_EEES6_PlJS6_EEE10hipError_tPvRmT3_T4_T5_T6_T7_T9_mT8_P12ihipStream_tbDpT10_ENKUlT_T0_E_clISt17integral_constantIbLb1EES19_EEDaS14_S15_EUlS14_E_NS1_11comp_targetILNS1_3genE2ELNS1_11target_archE906ELNS1_3gpuE6ELNS1_3repE0EEENS1_30default_config_static_selectorELNS0_4arch9wavefront6targetE1EEEvT1_
    .private_segment_fixed_size: 0
    .sgpr_count:     6
    .sgpr_spill_count: 0
    .symbol:         _ZN7rocprim17ROCPRIM_400000_NS6detail17trampoline_kernelINS0_14default_configENS1_25partition_config_selectorILNS1_17partition_subalgoE1EsNS0_10empty_typeEbEEZZNS1_14partition_implILS5_1ELb0ES3_jN6thrust23THRUST_200600_302600_NS6detail15normal_iteratorINSA_10device_ptrIsEEEEPS6_NSA_18transform_iteratorI7is_evenIsESF_NSA_11use_defaultESK_EENS0_5tupleIJSF_SF_EEENSM_IJSG_SG_EEES6_PlJS6_EEE10hipError_tPvRmT3_T4_T5_T6_T7_T9_mT8_P12ihipStream_tbDpT10_ENKUlT_T0_E_clISt17integral_constantIbLb1EES19_EEDaS14_S15_EUlS14_E_NS1_11comp_targetILNS1_3genE2ELNS1_11target_archE906ELNS1_3gpuE6ELNS1_3repE0EEENS1_30default_config_static_selectorELNS0_4arch9wavefront6targetE1EEEvT1_.kd
    .uniform_work_group_size: 1
    .uses_dynamic_stack: false
    .vgpr_count:     0
    .vgpr_spill_count: 0
    .wavefront_size: 64
  - .agpr_count:     0
    .args:
      - .offset:         0
        .size:           144
        .value_kind:     by_value
    .group_segment_fixed_size: 0
    .kernarg_segment_align: 8
    .kernarg_segment_size: 144
    .language:       OpenCL C
    .language_version:
      - 2
      - 0
    .max_flat_workgroup_size: 384
    .name:           _ZN7rocprim17ROCPRIM_400000_NS6detail17trampoline_kernelINS0_14default_configENS1_25partition_config_selectorILNS1_17partition_subalgoE1EsNS0_10empty_typeEbEEZZNS1_14partition_implILS5_1ELb0ES3_jN6thrust23THRUST_200600_302600_NS6detail15normal_iteratorINSA_10device_ptrIsEEEEPS6_NSA_18transform_iteratorI7is_evenIsESF_NSA_11use_defaultESK_EENS0_5tupleIJSF_SF_EEENSM_IJSG_SG_EEES6_PlJS6_EEE10hipError_tPvRmT3_T4_T5_T6_T7_T9_mT8_P12ihipStream_tbDpT10_ENKUlT_T0_E_clISt17integral_constantIbLb1EES19_EEDaS14_S15_EUlS14_E_NS1_11comp_targetILNS1_3genE10ELNS1_11target_archE1200ELNS1_3gpuE4ELNS1_3repE0EEENS1_30default_config_static_selectorELNS0_4arch9wavefront6targetE1EEEvT1_
    .private_segment_fixed_size: 0
    .sgpr_count:     6
    .sgpr_spill_count: 0
    .symbol:         _ZN7rocprim17ROCPRIM_400000_NS6detail17trampoline_kernelINS0_14default_configENS1_25partition_config_selectorILNS1_17partition_subalgoE1EsNS0_10empty_typeEbEEZZNS1_14partition_implILS5_1ELb0ES3_jN6thrust23THRUST_200600_302600_NS6detail15normal_iteratorINSA_10device_ptrIsEEEEPS6_NSA_18transform_iteratorI7is_evenIsESF_NSA_11use_defaultESK_EENS0_5tupleIJSF_SF_EEENSM_IJSG_SG_EEES6_PlJS6_EEE10hipError_tPvRmT3_T4_T5_T6_T7_T9_mT8_P12ihipStream_tbDpT10_ENKUlT_T0_E_clISt17integral_constantIbLb1EES19_EEDaS14_S15_EUlS14_E_NS1_11comp_targetILNS1_3genE10ELNS1_11target_archE1200ELNS1_3gpuE4ELNS1_3repE0EEENS1_30default_config_static_selectorELNS0_4arch9wavefront6targetE1EEEvT1_.kd
    .uniform_work_group_size: 1
    .uses_dynamic_stack: false
    .vgpr_count:     0
    .vgpr_spill_count: 0
    .wavefront_size: 64
  - .agpr_count:     0
    .args:
      - .offset:         0
        .size:           144
        .value_kind:     by_value
    .group_segment_fixed_size: 0
    .kernarg_segment_align: 8
    .kernarg_segment_size: 144
    .language:       OpenCL C
    .language_version:
      - 2
      - 0
    .max_flat_workgroup_size: 128
    .name:           _ZN7rocprim17ROCPRIM_400000_NS6detail17trampoline_kernelINS0_14default_configENS1_25partition_config_selectorILNS1_17partition_subalgoE1EsNS0_10empty_typeEbEEZZNS1_14partition_implILS5_1ELb0ES3_jN6thrust23THRUST_200600_302600_NS6detail15normal_iteratorINSA_10device_ptrIsEEEEPS6_NSA_18transform_iteratorI7is_evenIsESF_NSA_11use_defaultESK_EENS0_5tupleIJSF_SF_EEENSM_IJSG_SG_EEES6_PlJS6_EEE10hipError_tPvRmT3_T4_T5_T6_T7_T9_mT8_P12ihipStream_tbDpT10_ENKUlT_T0_E_clISt17integral_constantIbLb1EES19_EEDaS14_S15_EUlS14_E_NS1_11comp_targetILNS1_3genE9ELNS1_11target_archE1100ELNS1_3gpuE3ELNS1_3repE0EEENS1_30default_config_static_selectorELNS0_4arch9wavefront6targetE1EEEvT1_
    .private_segment_fixed_size: 0
    .sgpr_count:     6
    .sgpr_spill_count: 0
    .symbol:         _ZN7rocprim17ROCPRIM_400000_NS6detail17trampoline_kernelINS0_14default_configENS1_25partition_config_selectorILNS1_17partition_subalgoE1EsNS0_10empty_typeEbEEZZNS1_14partition_implILS5_1ELb0ES3_jN6thrust23THRUST_200600_302600_NS6detail15normal_iteratorINSA_10device_ptrIsEEEEPS6_NSA_18transform_iteratorI7is_evenIsESF_NSA_11use_defaultESK_EENS0_5tupleIJSF_SF_EEENSM_IJSG_SG_EEES6_PlJS6_EEE10hipError_tPvRmT3_T4_T5_T6_T7_T9_mT8_P12ihipStream_tbDpT10_ENKUlT_T0_E_clISt17integral_constantIbLb1EES19_EEDaS14_S15_EUlS14_E_NS1_11comp_targetILNS1_3genE9ELNS1_11target_archE1100ELNS1_3gpuE3ELNS1_3repE0EEENS1_30default_config_static_selectorELNS0_4arch9wavefront6targetE1EEEvT1_.kd
    .uniform_work_group_size: 1
    .uses_dynamic_stack: false
    .vgpr_count:     0
    .vgpr_spill_count: 0
    .wavefront_size: 64
  - .agpr_count:     0
    .args:
      - .offset:         0
        .size:           144
        .value_kind:     by_value
    .group_segment_fixed_size: 0
    .kernarg_segment_align: 8
    .kernarg_segment_size: 144
    .language:       OpenCL C
    .language_version:
      - 2
      - 0
    .max_flat_workgroup_size: 512
    .name:           _ZN7rocprim17ROCPRIM_400000_NS6detail17trampoline_kernelINS0_14default_configENS1_25partition_config_selectorILNS1_17partition_subalgoE1EsNS0_10empty_typeEbEEZZNS1_14partition_implILS5_1ELb0ES3_jN6thrust23THRUST_200600_302600_NS6detail15normal_iteratorINSA_10device_ptrIsEEEEPS6_NSA_18transform_iteratorI7is_evenIsESF_NSA_11use_defaultESK_EENS0_5tupleIJSF_SF_EEENSM_IJSG_SG_EEES6_PlJS6_EEE10hipError_tPvRmT3_T4_T5_T6_T7_T9_mT8_P12ihipStream_tbDpT10_ENKUlT_T0_E_clISt17integral_constantIbLb1EES19_EEDaS14_S15_EUlS14_E_NS1_11comp_targetILNS1_3genE8ELNS1_11target_archE1030ELNS1_3gpuE2ELNS1_3repE0EEENS1_30default_config_static_selectorELNS0_4arch9wavefront6targetE1EEEvT1_
    .private_segment_fixed_size: 0
    .sgpr_count:     6
    .sgpr_spill_count: 0
    .symbol:         _ZN7rocprim17ROCPRIM_400000_NS6detail17trampoline_kernelINS0_14default_configENS1_25partition_config_selectorILNS1_17partition_subalgoE1EsNS0_10empty_typeEbEEZZNS1_14partition_implILS5_1ELb0ES3_jN6thrust23THRUST_200600_302600_NS6detail15normal_iteratorINSA_10device_ptrIsEEEEPS6_NSA_18transform_iteratorI7is_evenIsESF_NSA_11use_defaultESK_EENS0_5tupleIJSF_SF_EEENSM_IJSG_SG_EEES6_PlJS6_EEE10hipError_tPvRmT3_T4_T5_T6_T7_T9_mT8_P12ihipStream_tbDpT10_ENKUlT_T0_E_clISt17integral_constantIbLb1EES19_EEDaS14_S15_EUlS14_E_NS1_11comp_targetILNS1_3genE8ELNS1_11target_archE1030ELNS1_3gpuE2ELNS1_3repE0EEENS1_30default_config_static_selectorELNS0_4arch9wavefront6targetE1EEEvT1_.kd
    .uniform_work_group_size: 1
    .uses_dynamic_stack: false
    .vgpr_count:     0
    .vgpr_spill_count: 0
    .wavefront_size: 64
  - .agpr_count:     0
    .args:
      - .offset:         0
        .size:           128
        .value_kind:     by_value
    .group_segment_fixed_size: 0
    .kernarg_segment_align: 8
    .kernarg_segment_size: 128
    .language:       OpenCL C
    .language_version:
      - 2
      - 0
    .max_flat_workgroup_size: 256
    .name:           _ZN7rocprim17ROCPRIM_400000_NS6detail17trampoline_kernelINS0_14default_configENS1_25partition_config_selectorILNS1_17partition_subalgoE1EsNS0_10empty_typeEbEEZZNS1_14partition_implILS5_1ELb0ES3_jN6thrust23THRUST_200600_302600_NS6detail15normal_iteratorINSA_10device_ptrIsEEEEPS6_NSA_18transform_iteratorI7is_evenIsESF_NSA_11use_defaultESK_EENS0_5tupleIJSF_SF_EEENSM_IJSG_SG_EEES6_PlJS6_EEE10hipError_tPvRmT3_T4_T5_T6_T7_T9_mT8_P12ihipStream_tbDpT10_ENKUlT_T0_E_clISt17integral_constantIbLb1EES18_IbLb0EEEEDaS14_S15_EUlS14_E_NS1_11comp_targetILNS1_3genE0ELNS1_11target_archE4294967295ELNS1_3gpuE0ELNS1_3repE0EEENS1_30default_config_static_selectorELNS0_4arch9wavefront6targetE1EEEvT1_
    .private_segment_fixed_size: 0
    .sgpr_count:     6
    .sgpr_spill_count: 0
    .symbol:         _ZN7rocprim17ROCPRIM_400000_NS6detail17trampoline_kernelINS0_14default_configENS1_25partition_config_selectorILNS1_17partition_subalgoE1EsNS0_10empty_typeEbEEZZNS1_14partition_implILS5_1ELb0ES3_jN6thrust23THRUST_200600_302600_NS6detail15normal_iteratorINSA_10device_ptrIsEEEEPS6_NSA_18transform_iteratorI7is_evenIsESF_NSA_11use_defaultESK_EENS0_5tupleIJSF_SF_EEENSM_IJSG_SG_EEES6_PlJS6_EEE10hipError_tPvRmT3_T4_T5_T6_T7_T9_mT8_P12ihipStream_tbDpT10_ENKUlT_T0_E_clISt17integral_constantIbLb1EES18_IbLb0EEEEDaS14_S15_EUlS14_E_NS1_11comp_targetILNS1_3genE0ELNS1_11target_archE4294967295ELNS1_3gpuE0ELNS1_3repE0EEENS1_30default_config_static_selectorELNS0_4arch9wavefront6targetE1EEEvT1_.kd
    .uniform_work_group_size: 1
    .uses_dynamic_stack: false
    .vgpr_count:     0
    .vgpr_spill_count: 0
    .wavefront_size: 64
  - .agpr_count:     0
    .args:
      - .offset:         0
        .size:           128
        .value_kind:     by_value
    .group_segment_fixed_size: 28680
    .kernarg_segment_align: 8
    .kernarg_segment_size: 128
    .language:       OpenCL C
    .language_version:
      - 2
      - 0
    .max_flat_workgroup_size: 512
    .name:           _ZN7rocprim17ROCPRIM_400000_NS6detail17trampoline_kernelINS0_14default_configENS1_25partition_config_selectorILNS1_17partition_subalgoE1EsNS0_10empty_typeEbEEZZNS1_14partition_implILS5_1ELb0ES3_jN6thrust23THRUST_200600_302600_NS6detail15normal_iteratorINSA_10device_ptrIsEEEEPS6_NSA_18transform_iteratorI7is_evenIsESF_NSA_11use_defaultESK_EENS0_5tupleIJSF_SF_EEENSM_IJSG_SG_EEES6_PlJS6_EEE10hipError_tPvRmT3_T4_T5_T6_T7_T9_mT8_P12ihipStream_tbDpT10_ENKUlT_T0_E_clISt17integral_constantIbLb1EES18_IbLb0EEEEDaS14_S15_EUlS14_E_NS1_11comp_targetILNS1_3genE5ELNS1_11target_archE942ELNS1_3gpuE9ELNS1_3repE0EEENS1_30default_config_static_selectorELNS0_4arch9wavefront6targetE1EEEvT1_
    .private_segment_fixed_size: 0
    .sgpr_count:     50
    .sgpr_spill_count: 0
    .symbol:         _ZN7rocprim17ROCPRIM_400000_NS6detail17trampoline_kernelINS0_14default_configENS1_25partition_config_selectorILNS1_17partition_subalgoE1EsNS0_10empty_typeEbEEZZNS1_14partition_implILS5_1ELb0ES3_jN6thrust23THRUST_200600_302600_NS6detail15normal_iteratorINSA_10device_ptrIsEEEEPS6_NSA_18transform_iteratorI7is_evenIsESF_NSA_11use_defaultESK_EENS0_5tupleIJSF_SF_EEENSM_IJSG_SG_EEES6_PlJS6_EEE10hipError_tPvRmT3_T4_T5_T6_T7_T9_mT8_P12ihipStream_tbDpT10_ENKUlT_T0_E_clISt17integral_constantIbLb1EES18_IbLb0EEEEDaS14_S15_EUlS14_E_NS1_11comp_targetILNS1_3genE5ELNS1_11target_archE942ELNS1_3gpuE9ELNS1_3repE0EEENS1_30default_config_static_selectorELNS0_4arch9wavefront6targetE1EEEvT1_.kd
    .uniform_work_group_size: 1
    .uses_dynamic_stack: false
    .vgpr_count:     79
    .vgpr_spill_count: 0
    .wavefront_size: 64
  - .agpr_count:     0
    .args:
      - .offset:         0
        .size:           128
        .value_kind:     by_value
    .group_segment_fixed_size: 0
    .kernarg_segment_align: 8
    .kernarg_segment_size: 128
    .language:       OpenCL C
    .language_version:
      - 2
      - 0
    .max_flat_workgroup_size: 256
    .name:           _ZN7rocprim17ROCPRIM_400000_NS6detail17trampoline_kernelINS0_14default_configENS1_25partition_config_selectorILNS1_17partition_subalgoE1EsNS0_10empty_typeEbEEZZNS1_14partition_implILS5_1ELb0ES3_jN6thrust23THRUST_200600_302600_NS6detail15normal_iteratorINSA_10device_ptrIsEEEEPS6_NSA_18transform_iteratorI7is_evenIsESF_NSA_11use_defaultESK_EENS0_5tupleIJSF_SF_EEENSM_IJSG_SG_EEES6_PlJS6_EEE10hipError_tPvRmT3_T4_T5_T6_T7_T9_mT8_P12ihipStream_tbDpT10_ENKUlT_T0_E_clISt17integral_constantIbLb1EES18_IbLb0EEEEDaS14_S15_EUlS14_E_NS1_11comp_targetILNS1_3genE4ELNS1_11target_archE910ELNS1_3gpuE8ELNS1_3repE0EEENS1_30default_config_static_selectorELNS0_4arch9wavefront6targetE1EEEvT1_
    .private_segment_fixed_size: 0
    .sgpr_count:     6
    .sgpr_spill_count: 0
    .symbol:         _ZN7rocprim17ROCPRIM_400000_NS6detail17trampoline_kernelINS0_14default_configENS1_25partition_config_selectorILNS1_17partition_subalgoE1EsNS0_10empty_typeEbEEZZNS1_14partition_implILS5_1ELb0ES3_jN6thrust23THRUST_200600_302600_NS6detail15normal_iteratorINSA_10device_ptrIsEEEEPS6_NSA_18transform_iteratorI7is_evenIsESF_NSA_11use_defaultESK_EENS0_5tupleIJSF_SF_EEENSM_IJSG_SG_EEES6_PlJS6_EEE10hipError_tPvRmT3_T4_T5_T6_T7_T9_mT8_P12ihipStream_tbDpT10_ENKUlT_T0_E_clISt17integral_constantIbLb1EES18_IbLb0EEEEDaS14_S15_EUlS14_E_NS1_11comp_targetILNS1_3genE4ELNS1_11target_archE910ELNS1_3gpuE8ELNS1_3repE0EEENS1_30default_config_static_selectorELNS0_4arch9wavefront6targetE1EEEvT1_.kd
    .uniform_work_group_size: 1
    .uses_dynamic_stack: false
    .vgpr_count:     0
    .vgpr_spill_count: 0
    .wavefront_size: 64
  - .agpr_count:     0
    .args:
      - .offset:         0
        .size:           128
        .value_kind:     by_value
    .group_segment_fixed_size: 0
    .kernarg_segment_align: 8
    .kernarg_segment_size: 128
    .language:       OpenCL C
    .language_version:
      - 2
      - 0
    .max_flat_workgroup_size: 256
    .name:           _ZN7rocprim17ROCPRIM_400000_NS6detail17trampoline_kernelINS0_14default_configENS1_25partition_config_selectorILNS1_17partition_subalgoE1EsNS0_10empty_typeEbEEZZNS1_14partition_implILS5_1ELb0ES3_jN6thrust23THRUST_200600_302600_NS6detail15normal_iteratorINSA_10device_ptrIsEEEEPS6_NSA_18transform_iteratorI7is_evenIsESF_NSA_11use_defaultESK_EENS0_5tupleIJSF_SF_EEENSM_IJSG_SG_EEES6_PlJS6_EEE10hipError_tPvRmT3_T4_T5_T6_T7_T9_mT8_P12ihipStream_tbDpT10_ENKUlT_T0_E_clISt17integral_constantIbLb1EES18_IbLb0EEEEDaS14_S15_EUlS14_E_NS1_11comp_targetILNS1_3genE3ELNS1_11target_archE908ELNS1_3gpuE7ELNS1_3repE0EEENS1_30default_config_static_selectorELNS0_4arch9wavefront6targetE1EEEvT1_
    .private_segment_fixed_size: 0
    .sgpr_count:     6
    .sgpr_spill_count: 0
    .symbol:         _ZN7rocprim17ROCPRIM_400000_NS6detail17trampoline_kernelINS0_14default_configENS1_25partition_config_selectorILNS1_17partition_subalgoE1EsNS0_10empty_typeEbEEZZNS1_14partition_implILS5_1ELb0ES3_jN6thrust23THRUST_200600_302600_NS6detail15normal_iteratorINSA_10device_ptrIsEEEEPS6_NSA_18transform_iteratorI7is_evenIsESF_NSA_11use_defaultESK_EENS0_5tupleIJSF_SF_EEENSM_IJSG_SG_EEES6_PlJS6_EEE10hipError_tPvRmT3_T4_T5_T6_T7_T9_mT8_P12ihipStream_tbDpT10_ENKUlT_T0_E_clISt17integral_constantIbLb1EES18_IbLb0EEEEDaS14_S15_EUlS14_E_NS1_11comp_targetILNS1_3genE3ELNS1_11target_archE908ELNS1_3gpuE7ELNS1_3repE0EEENS1_30default_config_static_selectorELNS0_4arch9wavefront6targetE1EEEvT1_.kd
    .uniform_work_group_size: 1
    .uses_dynamic_stack: false
    .vgpr_count:     0
    .vgpr_spill_count: 0
    .wavefront_size: 64
  - .agpr_count:     0
    .args:
      - .offset:         0
        .size:           128
        .value_kind:     by_value
    .group_segment_fixed_size: 0
    .kernarg_segment_align: 8
    .kernarg_segment_size: 128
    .language:       OpenCL C
    .language_version:
      - 2
      - 0
    .max_flat_workgroup_size: 256
    .name:           _ZN7rocprim17ROCPRIM_400000_NS6detail17trampoline_kernelINS0_14default_configENS1_25partition_config_selectorILNS1_17partition_subalgoE1EsNS0_10empty_typeEbEEZZNS1_14partition_implILS5_1ELb0ES3_jN6thrust23THRUST_200600_302600_NS6detail15normal_iteratorINSA_10device_ptrIsEEEEPS6_NSA_18transform_iteratorI7is_evenIsESF_NSA_11use_defaultESK_EENS0_5tupleIJSF_SF_EEENSM_IJSG_SG_EEES6_PlJS6_EEE10hipError_tPvRmT3_T4_T5_T6_T7_T9_mT8_P12ihipStream_tbDpT10_ENKUlT_T0_E_clISt17integral_constantIbLb1EES18_IbLb0EEEEDaS14_S15_EUlS14_E_NS1_11comp_targetILNS1_3genE2ELNS1_11target_archE906ELNS1_3gpuE6ELNS1_3repE0EEENS1_30default_config_static_selectorELNS0_4arch9wavefront6targetE1EEEvT1_
    .private_segment_fixed_size: 0
    .sgpr_count:     6
    .sgpr_spill_count: 0
    .symbol:         _ZN7rocprim17ROCPRIM_400000_NS6detail17trampoline_kernelINS0_14default_configENS1_25partition_config_selectorILNS1_17partition_subalgoE1EsNS0_10empty_typeEbEEZZNS1_14partition_implILS5_1ELb0ES3_jN6thrust23THRUST_200600_302600_NS6detail15normal_iteratorINSA_10device_ptrIsEEEEPS6_NSA_18transform_iteratorI7is_evenIsESF_NSA_11use_defaultESK_EENS0_5tupleIJSF_SF_EEENSM_IJSG_SG_EEES6_PlJS6_EEE10hipError_tPvRmT3_T4_T5_T6_T7_T9_mT8_P12ihipStream_tbDpT10_ENKUlT_T0_E_clISt17integral_constantIbLb1EES18_IbLb0EEEEDaS14_S15_EUlS14_E_NS1_11comp_targetILNS1_3genE2ELNS1_11target_archE906ELNS1_3gpuE6ELNS1_3repE0EEENS1_30default_config_static_selectorELNS0_4arch9wavefront6targetE1EEEvT1_.kd
    .uniform_work_group_size: 1
    .uses_dynamic_stack: false
    .vgpr_count:     0
    .vgpr_spill_count: 0
    .wavefront_size: 64
  - .agpr_count:     0
    .args:
      - .offset:         0
        .size:           128
        .value_kind:     by_value
    .group_segment_fixed_size: 0
    .kernarg_segment_align: 8
    .kernarg_segment_size: 128
    .language:       OpenCL C
    .language_version:
      - 2
      - 0
    .max_flat_workgroup_size: 384
    .name:           _ZN7rocprim17ROCPRIM_400000_NS6detail17trampoline_kernelINS0_14default_configENS1_25partition_config_selectorILNS1_17partition_subalgoE1EsNS0_10empty_typeEbEEZZNS1_14partition_implILS5_1ELb0ES3_jN6thrust23THRUST_200600_302600_NS6detail15normal_iteratorINSA_10device_ptrIsEEEEPS6_NSA_18transform_iteratorI7is_evenIsESF_NSA_11use_defaultESK_EENS0_5tupleIJSF_SF_EEENSM_IJSG_SG_EEES6_PlJS6_EEE10hipError_tPvRmT3_T4_T5_T6_T7_T9_mT8_P12ihipStream_tbDpT10_ENKUlT_T0_E_clISt17integral_constantIbLb1EES18_IbLb0EEEEDaS14_S15_EUlS14_E_NS1_11comp_targetILNS1_3genE10ELNS1_11target_archE1200ELNS1_3gpuE4ELNS1_3repE0EEENS1_30default_config_static_selectorELNS0_4arch9wavefront6targetE1EEEvT1_
    .private_segment_fixed_size: 0
    .sgpr_count:     6
    .sgpr_spill_count: 0
    .symbol:         _ZN7rocprim17ROCPRIM_400000_NS6detail17trampoline_kernelINS0_14default_configENS1_25partition_config_selectorILNS1_17partition_subalgoE1EsNS0_10empty_typeEbEEZZNS1_14partition_implILS5_1ELb0ES3_jN6thrust23THRUST_200600_302600_NS6detail15normal_iteratorINSA_10device_ptrIsEEEEPS6_NSA_18transform_iteratorI7is_evenIsESF_NSA_11use_defaultESK_EENS0_5tupleIJSF_SF_EEENSM_IJSG_SG_EEES6_PlJS6_EEE10hipError_tPvRmT3_T4_T5_T6_T7_T9_mT8_P12ihipStream_tbDpT10_ENKUlT_T0_E_clISt17integral_constantIbLb1EES18_IbLb0EEEEDaS14_S15_EUlS14_E_NS1_11comp_targetILNS1_3genE10ELNS1_11target_archE1200ELNS1_3gpuE4ELNS1_3repE0EEENS1_30default_config_static_selectorELNS0_4arch9wavefront6targetE1EEEvT1_.kd
    .uniform_work_group_size: 1
    .uses_dynamic_stack: false
    .vgpr_count:     0
    .vgpr_spill_count: 0
    .wavefront_size: 64
  - .agpr_count:     0
    .args:
      - .offset:         0
        .size:           128
        .value_kind:     by_value
    .group_segment_fixed_size: 0
    .kernarg_segment_align: 8
    .kernarg_segment_size: 128
    .language:       OpenCL C
    .language_version:
      - 2
      - 0
    .max_flat_workgroup_size: 128
    .name:           _ZN7rocprim17ROCPRIM_400000_NS6detail17trampoline_kernelINS0_14default_configENS1_25partition_config_selectorILNS1_17partition_subalgoE1EsNS0_10empty_typeEbEEZZNS1_14partition_implILS5_1ELb0ES3_jN6thrust23THRUST_200600_302600_NS6detail15normal_iteratorINSA_10device_ptrIsEEEEPS6_NSA_18transform_iteratorI7is_evenIsESF_NSA_11use_defaultESK_EENS0_5tupleIJSF_SF_EEENSM_IJSG_SG_EEES6_PlJS6_EEE10hipError_tPvRmT3_T4_T5_T6_T7_T9_mT8_P12ihipStream_tbDpT10_ENKUlT_T0_E_clISt17integral_constantIbLb1EES18_IbLb0EEEEDaS14_S15_EUlS14_E_NS1_11comp_targetILNS1_3genE9ELNS1_11target_archE1100ELNS1_3gpuE3ELNS1_3repE0EEENS1_30default_config_static_selectorELNS0_4arch9wavefront6targetE1EEEvT1_
    .private_segment_fixed_size: 0
    .sgpr_count:     6
    .sgpr_spill_count: 0
    .symbol:         _ZN7rocprim17ROCPRIM_400000_NS6detail17trampoline_kernelINS0_14default_configENS1_25partition_config_selectorILNS1_17partition_subalgoE1EsNS0_10empty_typeEbEEZZNS1_14partition_implILS5_1ELb0ES3_jN6thrust23THRUST_200600_302600_NS6detail15normal_iteratorINSA_10device_ptrIsEEEEPS6_NSA_18transform_iteratorI7is_evenIsESF_NSA_11use_defaultESK_EENS0_5tupleIJSF_SF_EEENSM_IJSG_SG_EEES6_PlJS6_EEE10hipError_tPvRmT3_T4_T5_T6_T7_T9_mT8_P12ihipStream_tbDpT10_ENKUlT_T0_E_clISt17integral_constantIbLb1EES18_IbLb0EEEEDaS14_S15_EUlS14_E_NS1_11comp_targetILNS1_3genE9ELNS1_11target_archE1100ELNS1_3gpuE3ELNS1_3repE0EEENS1_30default_config_static_selectorELNS0_4arch9wavefront6targetE1EEEvT1_.kd
    .uniform_work_group_size: 1
    .uses_dynamic_stack: false
    .vgpr_count:     0
    .vgpr_spill_count: 0
    .wavefront_size: 64
  - .agpr_count:     0
    .args:
      - .offset:         0
        .size:           128
        .value_kind:     by_value
    .group_segment_fixed_size: 0
    .kernarg_segment_align: 8
    .kernarg_segment_size: 128
    .language:       OpenCL C
    .language_version:
      - 2
      - 0
    .max_flat_workgroup_size: 512
    .name:           _ZN7rocprim17ROCPRIM_400000_NS6detail17trampoline_kernelINS0_14default_configENS1_25partition_config_selectorILNS1_17partition_subalgoE1EsNS0_10empty_typeEbEEZZNS1_14partition_implILS5_1ELb0ES3_jN6thrust23THRUST_200600_302600_NS6detail15normal_iteratorINSA_10device_ptrIsEEEEPS6_NSA_18transform_iteratorI7is_evenIsESF_NSA_11use_defaultESK_EENS0_5tupleIJSF_SF_EEENSM_IJSG_SG_EEES6_PlJS6_EEE10hipError_tPvRmT3_T4_T5_T6_T7_T9_mT8_P12ihipStream_tbDpT10_ENKUlT_T0_E_clISt17integral_constantIbLb1EES18_IbLb0EEEEDaS14_S15_EUlS14_E_NS1_11comp_targetILNS1_3genE8ELNS1_11target_archE1030ELNS1_3gpuE2ELNS1_3repE0EEENS1_30default_config_static_selectorELNS0_4arch9wavefront6targetE1EEEvT1_
    .private_segment_fixed_size: 0
    .sgpr_count:     6
    .sgpr_spill_count: 0
    .symbol:         _ZN7rocprim17ROCPRIM_400000_NS6detail17trampoline_kernelINS0_14default_configENS1_25partition_config_selectorILNS1_17partition_subalgoE1EsNS0_10empty_typeEbEEZZNS1_14partition_implILS5_1ELb0ES3_jN6thrust23THRUST_200600_302600_NS6detail15normal_iteratorINSA_10device_ptrIsEEEEPS6_NSA_18transform_iteratorI7is_evenIsESF_NSA_11use_defaultESK_EENS0_5tupleIJSF_SF_EEENSM_IJSG_SG_EEES6_PlJS6_EEE10hipError_tPvRmT3_T4_T5_T6_T7_T9_mT8_P12ihipStream_tbDpT10_ENKUlT_T0_E_clISt17integral_constantIbLb1EES18_IbLb0EEEEDaS14_S15_EUlS14_E_NS1_11comp_targetILNS1_3genE8ELNS1_11target_archE1030ELNS1_3gpuE2ELNS1_3repE0EEENS1_30default_config_static_selectorELNS0_4arch9wavefront6targetE1EEEvT1_.kd
    .uniform_work_group_size: 1
    .uses_dynamic_stack: false
    .vgpr_count:     0
    .vgpr_spill_count: 0
    .wavefront_size: 64
  - .agpr_count:     0
    .args:
      - .offset:         0
        .size:           144
        .value_kind:     by_value
    .group_segment_fixed_size: 0
    .kernarg_segment_align: 8
    .kernarg_segment_size: 144
    .language:       OpenCL C
    .language_version:
      - 2
      - 0
    .max_flat_workgroup_size: 256
    .name:           _ZN7rocprim17ROCPRIM_400000_NS6detail17trampoline_kernelINS0_14default_configENS1_25partition_config_selectorILNS1_17partition_subalgoE1EsNS0_10empty_typeEbEEZZNS1_14partition_implILS5_1ELb0ES3_jN6thrust23THRUST_200600_302600_NS6detail15normal_iteratorINSA_10device_ptrIsEEEEPS6_NSA_18transform_iteratorI7is_evenIsESF_NSA_11use_defaultESK_EENS0_5tupleIJSF_SF_EEENSM_IJSG_SG_EEES6_PlJS6_EEE10hipError_tPvRmT3_T4_T5_T6_T7_T9_mT8_P12ihipStream_tbDpT10_ENKUlT_T0_E_clISt17integral_constantIbLb0EES18_IbLb1EEEEDaS14_S15_EUlS14_E_NS1_11comp_targetILNS1_3genE0ELNS1_11target_archE4294967295ELNS1_3gpuE0ELNS1_3repE0EEENS1_30default_config_static_selectorELNS0_4arch9wavefront6targetE1EEEvT1_
    .private_segment_fixed_size: 0
    .sgpr_count:     6
    .sgpr_spill_count: 0
    .symbol:         _ZN7rocprim17ROCPRIM_400000_NS6detail17trampoline_kernelINS0_14default_configENS1_25partition_config_selectorILNS1_17partition_subalgoE1EsNS0_10empty_typeEbEEZZNS1_14partition_implILS5_1ELb0ES3_jN6thrust23THRUST_200600_302600_NS6detail15normal_iteratorINSA_10device_ptrIsEEEEPS6_NSA_18transform_iteratorI7is_evenIsESF_NSA_11use_defaultESK_EENS0_5tupleIJSF_SF_EEENSM_IJSG_SG_EEES6_PlJS6_EEE10hipError_tPvRmT3_T4_T5_T6_T7_T9_mT8_P12ihipStream_tbDpT10_ENKUlT_T0_E_clISt17integral_constantIbLb0EES18_IbLb1EEEEDaS14_S15_EUlS14_E_NS1_11comp_targetILNS1_3genE0ELNS1_11target_archE4294967295ELNS1_3gpuE0ELNS1_3repE0EEENS1_30default_config_static_selectorELNS0_4arch9wavefront6targetE1EEEvT1_.kd
    .uniform_work_group_size: 1
    .uses_dynamic_stack: false
    .vgpr_count:     0
    .vgpr_spill_count: 0
    .wavefront_size: 64
  - .agpr_count:     0
    .args:
      - .offset:         0
        .size:           144
        .value_kind:     by_value
    .group_segment_fixed_size: 28680
    .kernarg_segment_align: 8
    .kernarg_segment_size: 144
    .language:       OpenCL C
    .language_version:
      - 2
      - 0
    .max_flat_workgroup_size: 512
    .name:           _ZN7rocprim17ROCPRIM_400000_NS6detail17trampoline_kernelINS0_14default_configENS1_25partition_config_selectorILNS1_17partition_subalgoE1EsNS0_10empty_typeEbEEZZNS1_14partition_implILS5_1ELb0ES3_jN6thrust23THRUST_200600_302600_NS6detail15normal_iteratorINSA_10device_ptrIsEEEEPS6_NSA_18transform_iteratorI7is_evenIsESF_NSA_11use_defaultESK_EENS0_5tupleIJSF_SF_EEENSM_IJSG_SG_EEES6_PlJS6_EEE10hipError_tPvRmT3_T4_T5_T6_T7_T9_mT8_P12ihipStream_tbDpT10_ENKUlT_T0_E_clISt17integral_constantIbLb0EES18_IbLb1EEEEDaS14_S15_EUlS14_E_NS1_11comp_targetILNS1_3genE5ELNS1_11target_archE942ELNS1_3gpuE9ELNS1_3repE0EEENS1_30default_config_static_selectorELNS0_4arch9wavefront6targetE1EEEvT1_
    .private_segment_fixed_size: 0
    .sgpr_count:     50
    .sgpr_spill_count: 0
    .symbol:         _ZN7rocprim17ROCPRIM_400000_NS6detail17trampoline_kernelINS0_14default_configENS1_25partition_config_selectorILNS1_17partition_subalgoE1EsNS0_10empty_typeEbEEZZNS1_14partition_implILS5_1ELb0ES3_jN6thrust23THRUST_200600_302600_NS6detail15normal_iteratorINSA_10device_ptrIsEEEEPS6_NSA_18transform_iteratorI7is_evenIsESF_NSA_11use_defaultESK_EENS0_5tupleIJSF_SF_EEENSM_IJSG_SG_EEES6_PlJS6_EEE10hipError_tPvRmT3_T4_T5_T6_T7_T9_mT8_P12ihipStream_tbDpT10_ENKUlT_T0_E_clISt17integral_constantIbLb0EES18_IbLb1EEEEDaS14_S15_EUlS14_E_NS1_11comp_targetILNS1_3genE5ELNS1_11target_archE942ELNS1_3gpuE9ELNS1_3repE0EEENS1_30default_config_static_selectorELNS0_4arch9wavefront6targetE1EEEvT1_.kd
    .uniform_work_group_size: 1
    .uses_dynamic_stack: false
    .vgpr_count:     83
    .vgpr_spill_count: 0
    .wavefront_size: 64
  - .agpr_count:     0
    .args:
      - .offset:         0
        .size:           144
        .value_kind:     by_value
    .group_segment_fixed_size: 0
    .kernarg_segment_align: 8
    .kernarg_segment_size: 144
    .language:       OpenCL C
    .language_version:
      - 2
      - 0
    .max_flat_workgroup_size: 256
    .name:           _ZN7rocprim17ROCPRIM_400000_NS6detail17trampoline_kernelINS0_14default_configENS1_25partition_config_selectorILNS1_17partition_subalgoE1EsNS0_10empty_typeEbEEZZNS1_14partition_implILS5_1ELb0ES3_jN6thrust23THRUST_200600_302600_NS6detail15normal_iteratorINSA_10device_ptrIsEEEEPS6_NSA_18transform_iteratorI7is_evenIsESF_NSA_11use_defaultESK_EENS0_5tupleIJSF_SF_EEENSM_IJSG_SG_EEES6_PlJS6_EEE10hipError_tPvRmT3_T4_T5_T6_T7_T9_mT8_P12ihipStream_tbDpT10_ENKUlT_T0_E_clISt17integral_constantIbLb0EES18_IbLb1EEEEDaS14_S15_EUlS14_E_NS1_11comp_targetILNS1_3genE4ELNS1_11target_archE910ELNS1_3gpuE8ELNS1_3repE0EEENS1_30default_config_static_selectorELNS0_4arch9wavefront6targetE1EEEvT1_
    .private_segment_fixed_size: 0
    .sgpr_count:     6
    .sgpr_spill_count: 0
    .symbol:         _ZN7rocprim17ROCPRIM_400000_NS6detail17trampoline_kernelINS0_14default_configENS1_25partition_config_selectorILNS1_17partition_subalgoE1EsNS0_10empty_typeEbEEZZNS1_14partition_implILS5_1ELb0ES3_jN6thrust23THRUST_200600_302600_NS6detail15normal_iteratorINSA_10device_ptrIsEEEEPS6_NSA_18transform_iteratorI7is_evenIsESF_NSA_11use_defaultESK_EENS0_5tupleIJSF_SF_EEENSM_IJSG_SG_EEES6_PlJS6_EEE10hipError_tPvRmT3_T4_T5_T6_T7_T9_mT8_P12ihipStream_tbDpT10_ENKUlT_T0_E_clISt17integral_constantIbLb0EES18_IbLb1EEEEDaS14_S15_EUlS14_E_NS1_11comp_targetILNS1_3genE4ELNS1_11target_archE910ELNS1_3gpuE8ELNS1_3repE0EEENS1_30default_config_static_selectorELNS0_4arch9wavefront6targetE1EEEvT1_.kd
    .uniform_work_group_size: 1
    .uses_dynamic_stack: false
    .vgpr_count:     0
    .vgpr_spill_count: 0
    .wavefront_size: 64
  - .agpr_count:     0
    .args:
      - .offset:         0
        .size:           144
        .value_kind:     by_value
    .group_segment_fixed_size: 0
    .kernarg_segment_align: 8
    .kernarg_segment_size: 144
    .language:       OpenCL C
    .language_version:
      - 2
      - 0
    .max_flat_workgroup_size: 256
    .name:           _ZN7rocprim17ROCPRIM_400000_NS6detail17trampoline_kernelINS0_14default_configENS1_25partition_config_selectorILNS1_17partition_subalgoE1EsNS0_10empty_typeEbEEZZNS1_14partition_implILS5_1ELb0ES3_jN6thrust23THRUST_200600_302600_NS6detail15normal_iteratorINSA_10device_ptrIsEEEEPS6_NSA_18transform_iteratorI7is_evenIsESF_NSA_11use_defaultESK_EENS0_5tupleIJSF_SF_EEENSM_IJSG_SG_EEES6_PlJS6_EEE10hipError_tPvRmT3_T4_T5_T6_T7_T9_mT8_P12ihipStream_tbDpT10_ENKUlT_T0_E_clISt17integral_constantIbLb0EES18_IbLb1EEEEDaS14_S15_EUlS14_E_NS1_11comp_targetILNS1_3genE3ELNS1_11target_archE908ELNS1_3gpuE7ELNS1_3repE0EEENS1_30default_config_static_selectorELNS0_4arch9wavefront6targetE1EEEvT1_
    .private_segment_fixed_size: 0
    .sgpr_count:     6
    .sgpr_spill_count: 0
    .symbol:         _ZN7rocprim17ROCPRIM_400000_NS6detail17trampoline_kernelINS0_14default_configENS1_25partition_config_selectorILNS1_17partition_subalgoE1EsNS0_10empty_typeEbEEZZNS1_14partition_implILS5_1ELb0ES3_jN6thrust23THRUST_200600_302600_NS6detail15normal_iteratorINSA_10device_ptrIsEEEEPS6_NSA_18transform_iteratorI7is_evenIsESF_NSA_11use_defaultESK_EENS0_5tupleIJSF_SF_EEENSM_IJSG_SG_EEES6_PlJS6_EEE10hipError_tPvRmT3_T4_T5_T6_T7_T9_mT8_P12ihipStream_tbDpT10_ENKUlT_T0_E_clISt17integral_constantIbLb0EES18_IbLb1EEEEDaS14_S15_EUlS14_E_NS1_11comp_targetILNS1_3genE3ELNS1_11target_archE908ELNS1_3gpuE7ELNS1_3repE0EEENS1_30default_config_static_selectorELNS0_4arch9wavefront6targetE1EEEvT1_.kd
    .uniform_work_group_size: 1
    .uses_dynamic_stack: false
    .vgpr_count:     0
    .vgpr_spill_count: 0
    .wavefront_size: 64
  - .agpr_count:     0
    .args:
      - .offset:         0
        .size:           144
        .value_kind:     by_value
    .group_segment_fixed_size: 0
    .kernarg_segment_align: 8
    .kernarg_segment_size: 144
    .language:       OpenCL C
    .language_version:
      - 2
      - 0
    .max_flat_workgroup_size: 256
    .name:           _ZN7rocprim17ROCPRIM_400000_NS6detail17trampoline_kernelINS0_14default_configENS1_25partition_config_selectorILNS1_17partition_subalgoE1EsNS0_10empty_typeEbEEZZNS1_14partition_implILS5_1ELb0ES3_jN6thrust23THRUST_200600_302600_NS6detail15normal_iteratorINSA_10device_ptrIsEEEEPS6_NSA_18transform_iteratorI7is_evenIsESF_NSA_11use_defaultESK_EENS0_5tupleIJSF_SF_EEENSM_IJSG_SG_EEES6_PlJS6_EEE10hipError_tPvRmT3_T4_T5_T6_T7_T9_mT8_P12ihipStream_tbDpT10_ENKUlT_T0_E_clISt17integral_constantIbLb0EES18_IbLb1EEEEDaS14_S15_EUlS14_E_NS1_11comp_targetILNS1_3genE2ELNS1_11target_archE906ELNS1_3gpuE6ELNS1_3repE0EEENS1_30default_config_static_selectorELNS0_4arch9wavefront6targetE1EEEvT1_
    .private_segment_fixed_size: 0
    .sgpr_count:     6
    .sgpr_spill_count: 0
    .symbol:         _ZN7rocprim17ROCPRIM_400000_NS6detail17trampoline_kernelINS0_14default_configENS1_25partition_config_selectorILNS1_17partition_subalgoE1EsNS0_10empty_typeEbEEZZNS1_14partition_implILS5_1ELb0ES3_jN6thrust23THRUST_200600_302600_NS6detail15normal_iteratorINSA_10device_ptrIsEEEEPS6_NSA_18transform_iteratorI7is_evenIsESF_NSA_11use_defaultESK_EENS0_5tupleIJSF_SF_EEENSM_IJSG_SG_EEES6_PlJS6_EEE10hipError_tPvRmT3_T4_T5_T6_T7_T9_mT8_P12ihipStream_tbDpT10_ENKUlT_T0_E_clISt17integral_constantIbLb0EES18_IbLb1EEEEDaS14_S15_EUlS14_E_NS1_11comp_targetILNS1_3genE2ELNS1_11target_archE906ELNS1_3gpuE6ELNS1_3repE0EEENS1_30default_config_static_selectorELNS0_4arch9wavefront6targetE1EEEvT1_.kd
    .uniform_work_group_size: 1
    .uses_dynamic_stack: false
    .vgpr_count:     0
    .vgpr_spill_count: 0
    .wavefront_size: 64
  - .agpr_count:     0
    .args:
      - .offset:         0
        .size:           144
        .value_kind:     by_value
    .group_segment_fixed_size: 0
    .kernarg_segment_align: 8
    .kernarg_segment_size: 144
    .language:       OpenCL C
    .language_version:
      - 2
      - 0
    .max_flat_workgroup_size: 384
    .name:           _ZN7rocprim17ROCPRIM_400000_NS6detail17trampoline_kernelINS0_14default_configENS1_25partition_config_selectorILNS1_17partition_subalgoE1EsNS0_10empty_typeEbEEZZNS1_14partition_implILS5_1ELb0ES3_jN6thrust23THRUST_200600_302600_NS6detail15normal_iteratorINSA_10device_ptrIsEEEEPS6_NSA_18transform_iteratorI7is_evenIsESF_NSA_11use_defaultESK_EENS0_5tupleIJSF_SF_EEENSM_IJSG_SG_EEES6_PlJS6_EEE10hipError_tPvRmT3_T4_T5_T6_T7_T9_mT8_P12ihipStream_tbDpT10_ENKUlT_T0_E_clISt17integral_constantIbLb0EES18_IbLb1EEEEDaS14_S15_EUlS14_E_NS1_11comp_targetILNS1_3genE10ELNS1_11target_archE1200ELNS1_3gpuE4ELNS1_3repE0EEENS1_30default_config_static_selectorELNS0_4arch9wavefront6targetE1EEEvT1_
    .private_segment_fixed_size: 0
    .sgpr_count:     6
    .sgpr_spill_count: 0
    .symbol:         _ZN7rocprim17ROCPRIM_400000_NS6detail17trampoline_kernelINS0_14default_configENS1_25partition_config_selectorILNS1_17partition_subalgoE1EsNS0_10empty_typeEbEEZZNS1_14partition_implILS5_1ELb0ES3_jN6thrust23THRUST_200600_302600_NS6detail15normal_iteratorINSA_10device_ptrIsEEEEPS6_NSA_18transform_iteratorI7is_evenIsESF_NSA_11use_defaultESK_EENS0_5tupleIJSF_SF_EEENSM_IJSG_SG_EEES6_PlJS6_EEE10hipError_tPvRmT3_T4_T5_T6_T7_T9_mT8_P12ihipStream_tbDpT10_ENKUlT_T0_E_clISt17integral_constantIbLb0EES18_IbLb1EEEEDaS14_S15_EUlS14_E_NS1_11comp_targetILNS1_3genE10ELNS1_11target_archE1200ELNS1_3gpuE4ELNS1_3repE0EEENS1_30default_config_static_selectorELNS0_4arch9wavefront6targetE1EEEvT1_.kd
    .uniform_work_group_size: 1
    .uses_dynamic_stack: false
    .vgpr_count:     0
    .vgpr_spill_count: 0
    .wavefront_size: 64
  - .agpr_count:     0
    .args:
      - .offset:         0
        .size:           144
        .value_kind:     by_value
    .group_segment_fixed_size: 0
    .kernarg_segment_align: 8
    .kernarg_segment_size: 144
    .language:       OpenCL C
    .language_version:
      - 2
      - 0
    .max_flat_workgroup_size: 128
    .name:           _ZN7rocprim17ROCPRIM_400000_NS6detail17trampoline_kernelINS0_14default_configENS1_25partition_config_selectorILNS1_17partition_subalgoE1EsNS0_10empty_typeEbEEZZNS1_14partition_implILS5_1ELb0ES3_jN6thrust23THRUST_200600_302600_NS6detail15normal_iteratorINSA_10device_ptrIsEEEEPS6_NSA_18transform_iteratorI7is_evenIsESF_NSA_11use_defaultESK_EENS0_5tupleIJSF_SF_EEENSM_IJSG_SG_EEES6_PlJS6_EEE10hipError_tPvRmT3_T4_T5_T6_T7_T9_mT8_P12ihipStream_tbDpT10_ENKUlT_T0_E_clISt17integral_constantIbLb0EES18_IbLb1EEEEDaS14_S15_EUlS14_E_NS1_11comp_targetILNS1_3genE9ELNS1_11target_archE1100ELNS1_3gpuE3ELNS1_3repE0EEENS1_30default_config_static_selectorELNS0_4arch9wavefront6targetE1EEEvT1_
    .private_segment_fixed_size: 0
    .sgpr_count:     6
    .sgpr_spill_count: 0
    .symbol:         _ZN7rocprim17ROCPRIM_400000_NS6detail17trampoline_kernelINS0_14default_configENS1_25partition_config_selectorILNS1_17partition_subalgoE1EsNS0_10empty_typeEbEEZZNS1_14partition_implILS5_1ELb0ES3_jN6thrust23THRUST_200600_302600_NS6detail15normal_iteratorINSA_10device_ptrIsEEEEPS6_NSA_18transform_iteratorI7is_evenIsESF_NSA_11use_defaultESK_EENS0_5tupleIJSF_SF_EEENSM_IJSG_SG_EEES6_PlJS6_EEE10hipError_tPvRmT3_T4_T5_T6_T7_T9_mT8_P12ihipStream_tbDpT10_ENKUlT_T0_E_clISt17integral_constantIbLb0EES18_IbLb1EEEEDaS14_S15_EUlS14_E_NS1_11comp_targetILNS1_3genE9ELNS1_11target_archE1100ELNS1_3gpuE3ELNS1_3repE0EEENS1_30default_config_static_selectorELNS0_4arch9wavefront6targetE1EEEvT1_.kd
    .uniform_work_group_size: 1
    .uses_dynamic_stack: false
    .vgpr_count:     0
    .vgpr_spill_count: 0
    .wavefront_size: 64
  - .agpr_count:     0
    .args:
      - .offset:         0
        .size:           144
        .value_kind:     by_value
    .group_segment_fixed_size: 0
    .kernarg_segment_align: 8
    .kernarg_segment_size: 144
    .language:       OpenCL C
    .language_version:
      - 2
      - 0
    .max_flat_workgroup_size: 512
    .name:           _ZN7rocprim17ROCPRIM_400000_NS6detail17trampoline_kernelINS0_14default_configENS1_25partition_config_selectorILNS1_17partition_subalgoE1EsNS0_10empty_typeEbEEZZNS1_14partition_implILS5_1ELb0ES3_jN6thrust23THRUST_200600_302600_NS6detail15normal_iteratorINSA_10device_ptrIsEEEEPS6_NSA_18transform_iteratorI7is_evenIsESF_NSA_11use_defaultESK_EENS0_5tupleIJSF_SF_EEENSM_IJSG_SG_EEES6_PlJS6_EEE10hipError_tPvRmT3_T4_T5_T6_T7_T9_mT8_P12ihipStream_tbDpT10_ENKUlT_T0_E_clISt17integral_constantIbLb0EES18_IbLb1EEEEDaS14_S15_EUlS14_E_NS1_11comp_targetILNS1_3genE8ELNS1_11target_archE1030ELNS1_3gpuE2ELNS1_3repE0EEENS1_30default_config_static_selectorELNS0_4arch9wavefront6targetE1EEEvT1_
    .private_segment_fixed_size: 0
    .sgpr_count:     6
    .sgpr_spill_count: 0
    .symbol:         _ZN7rocprim17ROCPRIM_400000_NS6detail17trampoline_kernelINS0_14default_configENS1_25partition_config_selectorILNS1_17partition_subalgoE1EsNS0_10empty_typeEbEEZZNS1_14partition_implILS5_1ELb0ES3_jN6thrust23THRUST_200600_302600_NS6detail15normal_iteratorINSA_10device_ptrIsEEEEPS6_NSA_18transform_iteratorI7is_evenIsESF_NSA_11use_defaultESK_EENS0_5tupleIJSF_SF_EEENSM_IJSG_SG_EEES6_PlJS6_EEE10hipError_tPvRmT3_T4_T5_T6_T7_T9_mT8_P12ihipStream_tbDpT10_ENKUlT_T0_E_clISt17integral_constantIbLb0EES18_IbLb1EEEEDaS14_S15_EUlS14_E_NS1_11comp_targetILNS1_3genE8ELNS1_11target_archE1030ELNS1_3gpuE2ELNS1_3repE0EEENS1_30default_config_static_selectorELNS0_4arch9wavefront6targetE1EEEvT1_.kd
    .uniform_work_group_size: 1
    .uses_dynamic_stack: false
    .vgpr_count:     0
    .vgpr_spill_count: 0
    .wavefront_size: 64
  - .agpr_count:     0
    .args:
      - .offset:         0
        .size:           128
        .value_kind:     by_value
    .group_segment_fixed_size: 0
    .kernarg_segment_align: 8
    .kernarg_segment_size: 128
    .language:       OpenCL C
    .language_version:
      - 2
      - 0
    .max_flat_workgroup_size: 128
    .name:           _ZN7rocprim17ROCPRIM_400000_NS6detail17trampoline_kernelINS0_14default_configENS1_25partition_config_selectorILNS1_17partition_subalgoE2ExNS0_10empty_typeEbEEZZNS1_14partition_implILS5_2ELb0ES3_jN6thrust23THRUST_200600_302600_NS6detail15normal_iteratorINSA_7pointerIxNSA_11hip_rocprim3tagENSA_11use_defaultESG_EEEEPS6_NSA_18transform_iteratorINSA_8identityIxEENSC_INSA_10device_ptrIxEEEESG_SG_EENS0_5tupleIJPxSJ_EEENSR_IJSJ_SJ_EEES6_PlJS6_EEE10hipError_tPvRmT3_T4_T5_T6_T7_T9_mT8_P12ihipStream_tbDpT10_ENKUlT_T0_E_clISt17integral_constantIbLb0EES1F_EEDaS1A_S1B_EUlS1A_E_NS1_11comp_targetILNS1_3genE0ELNS1_11target_archE4294967295ELNS1_3gpuE0ELNS1_3repE0EEENS1_30default_config_static_selectorELNS0_4arch9wavefront6targetE1EEEvT1_
    .private_segment_fixed_size: 0
    .sgpr_count:     6
    .sgpr_spill_count: 0
    .symbol:         _ZN7rocprim17ROCPRIM_400000_NS6detail17trampoline_kernelINS0_14default_configENS1_25partition_config_selectorILNS1_17partition_subalgoE2ExNS0_10empty_typeEbEEZZNS1_14partition_implILS5_2ELb0ES3_jN6thrust23THRUST_200600_302600_NS6detail15normal_iteratorINSA_7pointerIxNSA_11hip_rocprim3tagENSA_11use_defaultESG_EEEEPS6_NSA_18transform_iteratorINSA_8identityIxEENSC_INSA_10device_ptrIxEEEESG_SG_EENS0_5tupleIJPxSJ_EEENSR_IJSJ_SJ_EEES6_PlJS6_EEE10hipError_tPvRmT3_T4_T5_T6_T7_T9_mT8_P12ihipStream_tbDpT10_ENKUlT_T0_E_clISt17integral_constantIbLb0EES1F_EEDaS1A_S1B_EUlS1A_E_NS1_11comp_targetILNS1_3genE0ELNS1_11target_archE4294967295ELNS1_3gpuE0ELNS1_3repE0EEENS1_30default_config_static_selectorELNS0_4arch9wavefront6targetE1EEEvT1_.kd
    .uniform_work_group_size: 1
    .uses_dynamic_stack: false
    .vgpr_count:     0
    .vgpr_spill_count: 0
    .wavefront_size: 64
  - .agpr_count:     0
    .args:
      - .offset:         0
        .size:           128
        .value_kind:     by_value
    .group_segment_fixed_size: 28680
    .kernarg_segment_align: 8
    .kernarg_segment_size: 128
    .language:       OpenCL C
    .language_version:
      - 2
      - 0
    .max_flat_workgroup_size: 512
    .name:           _ZN7rocprim17ROCPRIM_400000_NS6detail17trampoline_kernelINS0_14default_configENS1_25partition_config_selectorILNS1_17partition_subalgoE2ExNS0_10empty_typeEbEEZZNS1_14partition_implILS5_2ELb0ES3_jN6thrust23THRUST_200600_302600_NS6detail15normal_iteratorINSA_7pointerIxNSA_11hip_rocprim3tagENSA_11use_defaultESG_EEEEPS6_NSA_18transform_iteratorINSA_8identityIxEENSC_INSA_10device_ptrIxEEEESG_SG_EENS0_5tupleIJPxSJ_EEENSR_IJSJ_SJ_EEES6_PlJS6_EEE10hipError_tPvRmT3_T4_T5_T6_T7_T9_mT8_P12ihipStream_tbDpT10_ENKUlT_T0_E_clISt17integral_constantIbLb0EES1F_EEDaS1A_S1B_EUlS1A_E_NS1_11comp_targetILNS1_3genE5ELNS1_11target_archE942ELNS1_3gpuE9ELNS1_3repE0EEENS1_30default_config_static_selectorELNS0_4arch9wavefront6targetE1EEEvT1_
    .private_segment_fixed_size: 0
    .sgpr_count:     52
    .sgpr_spill_count: 0
    .symbol:         _ZN7rocprim17ROCPRIM_400000_NS6detail17trampoline_kernelINS0_14default_configENS1_25partition_config_selectorILNS1_17partition_subalgoE2ExNS0_10empty_typeEbEEZZNS1_14partition_implILS5_2ELb0ES3_jN6thrust23THRUST_200600_302600_NS6detail15normal_iteratorINSA_7pointerIxNSA_11hip_rocprim3tagENSA_11use_defaultESG_EEEEPS6_NSA_18transform_iteratorINSA_8identityIxEENSC_INSA_10device_ptrIxEEEESG_SG_EENS0_5tupleIJPxSJ_EEENSR_IJSJ_SJ_EEES6_PlJS6_EEE10hipError_tPvRmT3_T4_T5_T6_T7_T9_mT8_P12ihipStream_tbDpT10_ENKUlT_T0_E_clISt17integral_constantIbLb0EES1F_EEDaS1A_S1B_EUlS1A_E_NS1_11comp_targetILNS1_3genE5ELNS1_11target_archE942ELNS1_3gpuE9ELNS1_3repE0EEENS1_30default_config_static_selectorELNS0_4arch9wavefront6targetE1EEEvT1_.kd
    .uniform_work_group_size: 1
    .uses_dynamic_stack: false
    .vgpr_count:     54
    .vgpr_spill_count: 0
    .wavefront_size: 64
  - .agpr_count:     0
    .args:
      - .offset:         0
        .size:           128
        .value_kind:     by_value
    .group_segment_fixed_size: 0
    .kernarg_segment_align: 8
    .kernarg_segment_size: 128
    .language:       OpenCL C
    .language_version:
      - 2
      - 0
    .max_flat_workgroup_size: 192
    .name:           _ZN7rocprim17ROCPRIM_400000_NS6detail17trampoline_kernelINS0_14default_configENS1_25partition_config_selectorILNS1_17partition_subalgoE2ExNS0_10empty_typeEbEEZZNS1_14partition_implILS5_2ELb0ES3_jN6thrust23THRUST_200600_302600_NS6detail15normal_iteratorINSA_7pointerIxNSA_11hip_rocprim3tagENSA_11use_defaultESG_EEEEPS6_NSA_18transform_iteratorINSA_8identityIxEENSC_INSA_10device_ptrIxEEEESG_SG_EENS0_5tupleIJPxSJ_EEENSR_IJSJ_SJ_EEES6_PlJS6_EEE10hipError_tPvRmT3_T4_T5_T6_T7_T9_mT8_P12ihipStream_tbDpT10_ENKUlT_T0_E_clISt17integral_constantIbLb0EES1F_EEDaS1A_S1B_EUlS1A_E_NS1_11comp_targetILNS1_3genE4ELNS1_11target_archE910ELNS1_3gpuE8ELNS1_3repE0EEENS1_30default_config_static_selectorELNS0_4arch9wavefront6targetE1EEEvT1_
    .private_segment_fixed_size: 0
    .sgpr_count:     6
    .sgpr_spill_count: 0
    .symbol:         _ZN7rocprim17ROCPRIM_400000_NS6detail17trampoline_kernelINS0_14default_configENS1_25partition_config_selectorILNS1_17partition_subalgoE2ExNS0_10empty_typeEbEEZZNS1_14partition_implILS5_2ELb0ES3_jN6thrust23THRUST_200600_302600_NS6detail15normal_iteratorINSA_7pointerIxNSA_11hip_rocprim3tagENSA_11use_defaultESG_EEEEPS6_NSA_18transform_iteratorINSA_8identityIxEENSC_INSA_10device_ptrIxEEEESG_SG_EENS0_5tupleIJPxSJ_EEENSR_IJSJ_SJ_EEES6_PlJS6_EEE10hipError_tPvRmT3_T4_T5_T6_T7_T9_mT8_P12ihipStream_tbDpT10_ENKUlT_T0_E_clISt17integral_constantIbLb0EES1F_EEDaS1A_S1B_EUlS1A_E_NS1_11comp_targetILNS1_3genE4ELNS1_11target_archE910ELNS1_3gpuE8ELNS1_3repE0EEENS1_30default_config_static_selectorELNS0_4arch9wavefront6targetE1EEEvT1_.kd
    .uniform_work_group_size: 1
    .uses_dynamic_stack: false
    .vgpr_count:     0
    .vgpr_spill_count: 0
    .wavefront_size: 64
  - .agpr_count:     0
    .args:
      - .offset:         0
        .size:           128
        .value_kind:     by_value
    .group_segment_fixed_size: 0
    .kernarg_segment_align: 8
    .kernarg_segment_size: 128
    .language:       OpenCL C
    .language_version:
      - 2
      - 0
    .max_flat_workgroup_size: 128
    .name:           _ZN7rocprim17ROCPRIM_400000_NS6detail17trampoline_kernelINS0_14default_configENS1_25partition_config_selectorILNS1_17partition_subalgoE2ExNS0_10empty_typeEbEEZZNS1_14partition_implILS5_2ELb0ES3_jN6thrust23THRUST_200600_302600_NS6detail15normal_iteratorINSA_7pointerIxNSA_11hip_rocprim3tagENSA_11use_defaultESG_EEEEPS6_NSA_18transform_iteratorINSA_8identityIxEENSC_INSA_10device_ptrIxEEEESG_SG_EENS0_5tupleIJPxSJ_EEENSR_IJSJ_SJ_EEES6_PlJS6_EEE10hipError_tPvRmT3_T4_T5_T6_T7_T9_mT8_P12ihipStream_tbDpT10_ENKUlT_T0_E_clISt17integral_constantIbLb0EES1F_EEDaS1A_S1B_EUlS1A_E_NS1_11comp_targetILNS1_3genE3ELNS1_11target_archE908ELNS1_3gpuE7ELNS1_3repE0EEENS1_30default_config_static_selectorELNS0_4arch9wavefront6targetE1EEEvT1_
    .private_segment_fixed_size: 0
    .sgpr_count:     6
    .sgpr_spill_count: 0
    .symbol:         _ZN7rocprim17ROCPRIM_400000_NS6detail17trampoline_kernelINS0_14default_configENS1_25partition_config_selectorILNS1_17partition_subalgoE2ExNS0_10empty_typeEbEEZZNS1_14partition_implILS5_2ELb0ES3_jN6thrust23THRUST_200600_302600_NS6detail15normal_iteratorINSA_7pointerIxNSA_11hip_rocprim3tagENSA_11use_defaultESG_EEEEPS6_NSA_18transform_iteratorINSA_8identityIxEENSC_INSA_10device_ptrIxEEEESG_SG_EENS0_5tupleIJPxSJ_EEENSR_IJSJ_SJ_EEES6_PlJS6_EEE10hipError_tPvRmT3_T4_T5_T6_T7_T9_mT8_P12ihipStream_tbDpT10_ENKUlT_T0_E_clISt17integral_constantIbLb0EES1F_EEDaS1A_S1B_EUlS1A_E_NS1_11comp_targetILNS1_3genE3ELNS1_11target_archE908ELNS1_3gpuE7ELNS1_3repE0EEENS1_30default_config_static_selectorELNS0_4arch9wavefront6targetE1EEEvT1_.kd
    .uniform_work_group_size: 1
    .uses_dynamic_stack: false
    .vgpr_count:     0
    .vgpr_spill_count: 0
    .wavefront_size: 64
  - .agpr_count:     0
    .args:
      - .offset:         0
        .size:           128
        .value_kind:     by_value
    .group_segment_fixed_size: 0
    .kernarg_segment_align: 8
    .kernarg_segment_size: 128
    .language:       OpenCL C
    .language_version:
      - 2
      - 0
    .max_flat_workgroup_size: 256
    .name:           _ZN7rocprim17ROCPRIM_400000_NS6detail17trampoline_kernelINS0_14default_configENS1_25partition_config_selectorILNS1_17partition_subalgoE2ExNS0_10empty_typeEbEEZZNS1_14partition_implILS5_2ELb0ES3_jN6thrust23THRUST_200600_302600_NS6detail15normal_iteratorINSA_7pointerIxNSA_11hip_rocprim3tagENSA_11use_defaultESG_EEEEPS6_NSA_18transform_iteratorINSA_8identityIxEENSC_INSA_10device_ptrIxEEEESG_SG_EENS0_5tupleIJPxSJ_EEENSR_IJSJ_SJ_EEES6_PlJS6_EEE10hipError_tPvRmT3_T4_T5_T6_T7_T9_mT8_P12ihipStream_tbDpT10_ENKUlT_T0_E_clISt17integral_constantIbLb0EES1F_EEDaS1A_S1B_EUlS1A_E_NS1_11comp_targetILNS1_3genE2ELNS1_11target_archE906ELNS1_3gpuE6ELNS1_3repE0EEENS1_30default_config_static_selectorELNS0_4arch9wavefront6targetE1EEEvT1_
    .private_segment_fixed_size: 0
    .sgpr_count:     6
    .sgpr_spill_count: 0
    .symbol:         _ZN7rocprim17ROCPRIM_400000_NS6detail17trampoline_kernelINS0_14default_configENS1_25partition_config_selectorILNS1_17partition_subalgoE2ExNS0_10empty_typeEbEEZZNS1_14partition_implILS5_2ELb0ES3_jN6thrust23THRUST_200600_302600_NS6detail15normal_iteratorINSA_7pointerIxNSA_11hip_rocprim3tagENSA_11use_defaultESG_EEEEPS6_NSA_18transform_iteratorINSA_8identityIxEENSC_INSA_10device_ptrIxEEEESG_SG_EENS0_5tupleIJPxSJ_EEENSR_IJSJ_SJ_EEES6_PlJS6_EEE10hipError_tPvRmT3_T4_T5_T6_T7_T9_mT8_P12ihipStream_tbDpT10_ENKUlT_T0_E_clISt17integral_constantIbLb0EES1F_EEDaS1A_S1B_EUlS1A_E_NS1_11comp_targetILNS1_3genE2ELNS1_11target_archE906ELNS1_3gpuE6ELNS1_3repE0EEENS1_30default_config_static_selectorELNS0_4arch9wavefront6targetE1EEEvT1_.kd
    .uniform_work_group_size: 1
    .uses_dynamic_stack: false
    .vgpr_count:     0
    .vgpr_spill_count: 0
    .wavefront_size: 64
  - .agpr_count:     0
    .args:
      - .offset:         0
        .size:           128
        .value_kind:     by_value
    .group_segment_fixed_size: 0
    .kernarg_segment_align: 8
    .kernarg_segment_size: 128
    .language:       OpenCL C
    .language_version:
      - 2
      - 0
    .max_flat_workgroup_size: 256
    .name:           _ZN7rocprim17ROCPRIM_400000_NS6detail17trampoline_kernelINS0_14default_configENS1_25partition_config_selectorILNS1_17partition_subalgoE2ExNS0_10empty_typeEbEEZZNS1_14partition_implILS5_2ELb0ES3_jN6thrust23THRUST_200600_302600_NS6detail15normal_iteratorINSA_7pointerIxNSA_11hip_rocprim3tagENSA_11use_defaultESG_EEEEPS6_NSA_18transform_iteratorINSA_8identityIxEENSC_INSA_10device_ptrIxEEEESG_SG_EENS0_5tupleIJPxSJ_EEENSR_IJSJ_SJ_EEES6_PlJS6_EEE10hipError_tPvRmT3_T4_T5_T6_T7_T9_mT8_P12ihipStream_tbDpT10_ENKUlT_T0_E_clISt17integral_constantIbLb0EES1F_EEDaS1A_S1B_EUlS1A_E_NS1_11comp_targetILNS1_3genE10ELNS1_11target_archE1200ELNS1_3gpuE4ELNS1_3repE0EEENS1_30default_config_static_selectorELNS0_4arch9wavefront6targetE1EEEvT1_
    .private_segment_fixed_size: 0
    .sgpr_count:     6
    .sgpr_spill_count: 0
    .symbol:         _ZN7rocprim17ROCPRIM_400000_NS6detail17trampoline_kernelINS0_14default_configENS1_25partition_config_selectorILNS1_17partition_subalgoE2ExNS0_10empty_typeEbEEZZNS1_14partition_implILS5_2ELb0ES3_jN6thrust23THRUST_200600_302600_NS6detail15normal_iteratorINSA_7pointerIxNSA_11hip_rocprim3tagENSA_11use_defaultESG_EEEEPS6_NSA_18transform_iteratorINSA_8identityIxEENSC_INSA_10device_ptrIxEEEESG_SG_EENS0_5tupleIJPxSJ_EEENSR_IJSJ_SJ_EEES6_PlJS6_EEE10hipError_tPvRmT3_T4_T5_T6_T7_T9_mT8_P12ihipStream_tbDpT10_ENKUlT_T0_E_clISt17integral_constantIbLb0EES1F_EEDaS1A_S1B_EUlS1A_E_NS1_11comp_targetILNS1_3genE10ELNS1_11target_archE1200ELNS1_3gpuE4ELNS1_3repE0EEENS1_30default_config_static_selectorELNS0_4arch9wavefront6targetE1EEEvT1_.kd
    .uniform_work_group_size: 1
    .uses_dynamic_stack: false
    .vgpr_count:     0
    .vgpr_spill_count: 0
    .wavefront_size: 64
  - .agpr_count:     0
    .args:
      - .offset:         0
        .size:           128
        .value_kind:     by_value
    .group_segment_fixed_size: 0
    .kernarg_segment_align: 8
    .kernarg_segment_size: 128
    .language:       OpenCL C
    .language_version:
      - 2
      - 0
    .max_flat_workgroup_size: 512
    .name:           _ZN7rocprim17ROCPRIM_400000_NS6detail17trampoline_kernelINS0_14default_configENS1_25partition_config_selectorILNS1_17partition_subalgoE2ExNS0_10empty_typeEbEEZZNS1_14partition_implILS5_2ELb0ES3_jN6thrust23THRUST_200600_302600_NS6detail15normal_iteratorINSA_7pointerIxNSA_11hip_rocprim3tagENSA_11use_defaultESG_EEEEPS6_NSA_18transform_iteratorINSA_8identityIxEENSC_INSA_10device_ptrIxEEEESG_SG_EENS0_5tupleIJPxSJ_EEENSR_IJSJ_SJ_EEES6_PlJS6_EEE10hipError_tPvRmT3_T4_T5_T6_T7_T9_mT8_P12ihipStream_tbDpT10_ENKUlT_T0_E_clISt17integral_constantIbLb0EES1F_EEDaS1A_S1B_EUlS1A_E_NS1_11comp_targetILNS1_3genE9ELNS1_11target_archE1100ELNS1_3gpuE3ELNS1_3repE0EEENS1_30default_config_static_selectorELNS0_4arch9wavefront6targetE1EEEvT1_
    .private_segment_fixed_size: 0
    .sgpr_count:     6
    .sgpr_spill_count: 0
    .symbol:         _ZN7rocprim17ROCPRIM_400000_NS6detail17trampoline_kernelINS0_14default_configENS1_25partition_config_selectorILNS1_17partition_subalgoE2ExNS0_10empty_typeEbEEZZNS1_14partition_implILS5_2ELb0ES3_jN6thrust23THRUST_200600_302600_NS6detail15normal_iteratorINSA_7pointerIxNSA_11hip_rocprim3tagENSA_11use_defaultESG_EEEEPS6_NSA_18transform_iteratorINSA_8identityIxEENSC_INSA_10device_ptrIxEEEESG_SG_EENS0_5tupleIJPxSJ_EEENSR_IJSJ_SJ_EEES6_PlJS6_EEE10hipError_tPvRmT3_T4_T5_T6_T7_T9_mT8_P12ihipStream_tbDpT10_ENKUlT_T0_E_clISt17integral_constantIbLb0EES1F_EEDaS1A_S1B_EUlS1A_E_NS1_11comp_targetILNS1_3genE9ELNS1_11target_archE1100ELNS1_3gpuE3ELNS1_3repE0EEENS1_30default_config_static_selectorELNS0_4arch9wavefront6targetE1EEEvT1_.kd
    .uniform_work_group_size: 1
    .uses_dynamic_stack: false
    .vgpr_count:     0
    .vgpr_spill_count: 0
    .wavefront_size: 64
  - .agpr_count:     0
    .args:
      - .offset:         0
        .size:           128
        .value_kind:     by_value
    .group_segment_fixed_size: 0
    .kernarg_segment_align: 8
    .kernarg_segment_size: 128
    .language:       OpenCL C
    .language_version:
      - 2
      - 0
    .max_flat_workgroup_size: 512
    .name:           _ZN7rocprim17ROCPRIM_400000_NS6detail17trampoline_kernelINS0_14default_configENS1_25partition_config_selectorILNS1_17partition_subalgoE2ExNS0_10empty_typeEbEEZZNS1_14partition_implILS5_2ELb0ES3_jN6thrust23THRUST_200600_302600_NS6detail15normal_iteratorINSA_7pointerIxNSA_11hip_rocprim3tagENSA_11use_defaultESG_EEEEPS6_NSA_18transform_iteratorINSA_8identityIxEENSC_INSA_10device_ptrIxEEEESG_SG_EENS0_5tupleIJPxSJ_EEENSR_IJSJ_SJ_EEES6_PlJS6_EEE10hipError_tPvRmT3_T4_T5_T6_T7_T9_mT8_P12ihipStream_tbDpT10_ENKUlT_T0_E_clISt17integral_constantIbLb0EES1F_EEDaS1A_S1B_EUlS1A_E_NS1_11comp_targetILNS1_3genE8ELNS1_11target_archE1030ELNS1_3gpuE2ELNS1_3repE0EEENS1_30default_config_static_selectorELNS0_4arch9wavefront6targetE1EEEvT1_
    .private_segment_fixed_size: 0
    .sgpr_count:     6
    .sgpr_spill_count: 0
    .symbol:         _ZN7rocprim17ROCPRIM_400000_NS6detail17trampoline_kernelINS0_14default_configENS1_25partition_config_selectorILNS1_17partition_subalgoE2ExNS0_10empty_typeEbEEZZNS1_14partition_implILS5_2ELb0ES3_jN6thrust23THRUST_200600_302600_NS6detail15normal_iteratorINSA_7pointerIxNSA_11hip_rocprim3tagENSA_11use_defaultESG_EEEEPS6_NSA_18transform_iteratorINSA_8identityIxEENSC_INSA_10device_ptrIxEEEESG_SG_EENS0_5tupleIJPxSJ_EEENSR_IJSJ_SJ_EEES6_PlJS6_EEE10hipError_tPvRmT3_T4_T5_T6_T7_T9_mT8_P12ihipStream_tbDpT10_ENKUlT_T0_E_clISt17integral_constantIbLb0EES1F_EEDaS1A_S1B_EUlS1A_E_NS1_11comp_targetILNS1_3genE8ELNS1_11target_archE1030ELNS1_3gpuE2ELNS1_3repE0EEENS1_30default_config_static_selectorELNS0_4arch9wavefront6targetE1EEEvT1_.kd
    .uniform_work_group_size: 1
    .uses_dynamic_stack: false
    .vgpr_count:     0
    .vgpr_spill_count: 0
    .wavefront_size: 64
  - .agpr_count:     0
    .args:
      - .offset:         0
        .size:           144
        .value_kind:     by_value
    .group_segment_fixed_size: 0
    .kernarg_segment_align: 8
    .kernarg_segment_size: 144
    .language:       OpenCL C
    .language_version:
      - 2
      - 0
    .max_flat_workgroup_size: 128
    .name:           _ZN7rocprim17ROCPRIM_400000_NS6detail17trampoline_kernelINS0_14default_configENS1_25partition_config_selectorILNS1_17partition_subalgoE2ExNS0_10empty_typeEbEEZZNS1_14partition_implILS5_2ELb0ES3_jN6thrust23THRUST_200600_302600_NS6detail15normal_iteratorINSA_7pointerIxNSA_11hip_rocprim3tagENSA_11use_defaultESG_EEEEPS6_NSA_18transform_iteratorINSA_8identityIxEENSC_INSA_10device_ptrIxEEEESG_SG_EENS0_5tupleIJPxSJ_EEENSR_IJSJ_SJ_EEES6_PlJS6_EEE10hipError_tPvRmT3_T4_T5_T6_T7_T9_mT8_P12ihipStream_tbDpT10_ENKUlT_T0_E_clISt17integral_constantIbLb1EES1F_EEDaS1A_S1B_EUlS1A_E_NS1_11comp_targetILNS1_3genE0ELNS1_11target_archE4294967295ELNS1_3gpuE0ELNS1_3repE0EEENS1_30default_config_static_selectorELNS0_4arch9wavefront6targetE1EEEvT1_
    .private_segment_fixed_size: 0
    .sgpr_count:     6
    .sgpr_spill_count: 0
    .symbol:         _ZN7rocprim17ROCPRIM_400000_NS6detail17trampoline_kernelINS0_14default_configENS1_25partition_config_selectorILNS1_17partition_subalgoE2ExNS0_10empty_typeEbEEZZNS1_14partition_implILS5_2ELb0ES3_jN6thrust23THRUST_200600_302600_NS6detail15normal_iteratorINSA_7pointerIxNSA_11hip_rocprim3tagENSA_11use_defaultESG_EEEEPS6_NSA_18transform_iteratorINSA_8identityIxEENSC_INSA_10device_ptrIxEEEESG_SG_EENS0_5tupleIJPxSJ_EEENSR_IJSJ_SJ_EEES6_PlJS6_EEE10hipError_tPvRmT3_T4_T5_T6_T7_T9_mT8_P12ihipStream_tbDpT10_ENKUlT_T0_E_clISt17integral_constantIbLb1EES1F_EEDaS1A_S1B_EUlS1A_E_NS1_11comp_targetILNS1_3genE0ELNS1_11target_archE4294967295ELNS1_3gpuE0ELNS1_3repE0EEENS1_30default_config_static_selectorELNS0_4arch9wavefront6targetE1EEEvT1_.kd
    .uniform_work_group_size: 1
    .uses_dynamic_stack: false
    .vgpr_count:     0
    .vgpr_spill_count: 0
    .wavefront_size: 64
  - .agpr_count:     0
    .args:
      - .offset:         0
        .size:           144
        .value_kind:     by_value
    .group_segment_fixed_size: 28680
    .kernarg_segment_align: 8
    .kernarg_segment_size: 144
    .language:       OpenCL C
    .language_version:
      - 2
      - 0
    .max_flat_workgroup_size: 512
    .name:           _ZN7rocprim17ROCPRIM_400000_NS6detail17trampoline_kernelINS0_14default_configENS1_25partition_config_selectorILNS1_17partition_subalgoE2ExNS0_10empty_typeEbEEZZNS1_14partition_implILS5_2ELb0ES3_jN6thrust23THRUST_200600_302600_NS6detail15normal_iteratorINSA_7pointerIxNSA_11hip_rocprim3tagENSA_11use_defaultESG_EEEEPS6_NSA_18transform_iteratorINSA_8identityIxEENSC_INSA_10device_ptrIxEEEESG_SG_EENS0_5tupleIJPxSJ_EEENSR_IJSJ_SJ_EEES6_PlJS6_EEE10hipError_tPvRmT3_T4_T5_T6_T7_T9_mT8_P12ihipStream_tbDpT10_ENKUlT_T0_E_clISt17integral_constantIbLb1EES1F_EEDaS1A_S1B_EUlS1A_E_NS1_11comp_targetILNS1_3genE5ELNS1_11target_archE942ELNS1_3gpuE9ELNS1_3repE0EEENS1_30default_config_static_selectorELNS0_4arch9wavefront6targetE1EEEvT1_
    .private_segment_fixed_size: 0
    .sgpr_count:     52
    .sgpr_spill_count: 0
    .symbol:         _ZN7rocprim17ROCPRIM_400000_NS6detail17trampoline_kernelINS0_14default_configENS1_25partition_config_selectorILNS1_17partition_subalgoE2ExNS0_10empty_typeEbEEZZNS1_14partition_implILS5_2ELb0ES3_jN6thrust23THRUST_200600_302600_NS6detail15normal_iteratorINSA_7pointerIxNSA_11hip_rocprim3tagENSA_11use_defaultESG_EEEEPS6_NSA_18transform_iteratorINSA_8identityIxEENSC_INSA_10device_ptrIxEEEESG_SG_EENS0_5tupleIJPxSJ_EEENSR_IJSJ_SJ_EEES6_PlJS6_EEE10hipError_tPvRmT3_T4_T5_T6_T7_T9_mT8_P12ihipStream_tbDpT10_ENKUlT_T0_E_clISt17integral_constantIbLb1EES1F_EEDaS1A_S1B_EUlS1A_E_NS1_11comp_targetILNS1_3genE5ELNS1_11target_archE942ELNS1_3gpuE9ELNS1_3repE0EEENS1_30default_config_static_selectorELNS0_4arch9wavefront6targetE1EEEvT1_.kd
    .uniform_work_group_size: 1
    .uses_dynamic_stack: false
    .vgpr_count:     56
    .vgpr_spill_count: 0
    .wavefront_size: 64
  - .agpr_count:     0
    .args:
      - .offset:         0
        .size:           144
        .value_kind:     by_value
    .group_segment_fixed_size: 0
    .kernarg_segment_align: 8
    .kernarg_segment_size: 144
    .language:       OpenCL C
    .language_version:
      - 2
      - 0
    .max_flat_workgroup_size: 192
    .name:           _ZN7rocprim17ROCPRIM_400000_NS6detail17trampoline_kernelINS0_14default_configENS1_25partition_config_selectorILNS1_17partition_subalgoE2ExNS0_10empty_typeEbEEZZNS1_14partition_implILS5_2ELb0ES3_jN6thrust23THRUST_200600_302600_NS6detail15normal_iteratorINSA_7pointerIxNSA_11hip_rocprim3tagENSA_11use_defaultESG_EEEEPS6_NSA_18transform_iteratorINSA_8identityIxEENSC_INSA_10device_ptrIxEEEESG_SG_EENS0_5tupleIJPxSJ_EEENSR_IJSJ_SJ_EEES6_PlJS6_EEE10hipError_tPvRmT3_T4_T5_T6_T7_T9_mT8_P12ihipStream_tbDpT10_ENKUlT_T0_E_clISt17integral_constantIbLb1EES1F_EEDaS1A_S1B_EUlS1A_E_NS1_11comp_targetILNS1_3genE4ELNS1_11target_archE910ELNS1_3gpuE8ELNS1_3repE0EEENS1_30default_config_static_selectorELNS0_4arch9wavefront6targetE1EEEvT1_
    .private_segment_fixed_size: 0
    .sgpr_count:     6
    .sgpr_spill_count: 0
    .symbol:         _ZN7rocprim17ROCPRIM_400000_NS6detail17trampoline_kernelINS0_14default_configENS1_25partition_config_selectorILNS1_17partition_subalgoE2ExNS0_10empty_typeEbEEZZNS1_14partition_implILS5_2ELb0ES3_jN6thrust23THRUST_200600_302600_NS6detail15normal_iteratorINSA_7pointerIxNSA_11hip_rocprim3tagENSA_11use_defaultESG_EEEEPS6_NSA_18transform_iteratorINSA_8identityIxEENSC_INSA_10device_ptrIxEEEESG_SG_EENS0_5tupleIJPxSJ_EEENSR_IJSJ_SJ_EEES6_PlJS6_EEE10hipError_tPvRmT3_T4_T5_T6_T7_T9_mT8_P12ihipStream_tbDpT10_ENKUlT_T0_E_clISt17integral_constantIbLb1EES1F_EEDaS1A_S1B_EUlS1A_E_NS1_11comp_targetILNS1_3genE4ELNS1_11target_archE910ELNS1_3gpuE8ELNS1_3repE0EEENS1_30default_config_static_selectorELNS0_4arch9wavefront6targetE1EEEvT1_.kd
    .uniform_work_group_size: 1
    .uses_dynamic_stack: false
    .vgpr_count:     0
    .vgpr_spill_count: 0
    .wavefront_size: 64
  - .agpr_count:     0
    .args:
      - .offset:         0
        .size:           144
        .value_kind:     by_value
    .group_segment_fixed_size: 0
    .kernarg_segment_align: 8
    .kernarg_segment_size: 144
    .language:       OpenCL C
    .language_version:
      - 2
      - 0
    .max_flat_workgroup_size: 128
    .name:           _ZN7rocprim17ROCPRIM_400000_NS6detail17trampoline_kernelINS0_14default_configENS1_25partition_config_selectorILNS1_17partition_subalgoE2ExNS0_10empty_typeEbEEZZNS1_14partition_implILS5_2ELb0ES3_jN6thrust23THRUST_200600_302600_NS6detail15normal_iteratorINSA_7pointerIxNSA_11hip_rocprim3tagENSA_11use_defaultESG_EEEEPS6_NSA_18transform_iteratorINSA_8identityIxEENSC_INSA_10device_ptrIxEEEESG_SG_EENS0_5tupleIJPxSJ_EEENSR_IJSJ_SJ_EEES6_PlJS6_EEE10hipError_tPvRmT3_T4_T5_T6_T7_T9_mT8_P12ihipStream_tbDpT10_ENKUlT_T0_E_clISt17integral_constantIbLb1EES1F_EEDaS1A_S1B_EUlS1A_E_NS1_11comp_targetILNS1_3genE3ELNS1_11target_archE908ELNS1_3gpuE7ELNS1_3repE0EEENS1_30default_config_static_selectorELNS0_4arch9wavefront6targetE1EEEvT1_
    .private_segment_fixed_size: 0
    .sgpr_count:     6
    .sgpr_spill_count: 0
    .symbol:         _ZN7rocprim17ROCPRIM_400000_NS6detail17trampoline_kernelINS0_14default_configENS1_25partition_config_selectorILNS1_17partition_subalgoE2ExNS0_10empty_typeEbEEZZNS1_14partition_implILS5_2ELb0ES3_jN6thrust23THRUST_200600_302600_NS6detail15normal_iteratorINSA_7pointerIxNSA_11hip_rocprim3tagENSA_11use_defaultESG_EEEEPS6_NSA_18transform_iteratorINSA_8identityIxEENSC_INSA_10device_ptrIxEEEESG_SG_EENS0_5tupleIJPxSJ_EEENSR_IJSJ_SJ_EEES6_PlJS6_EEE10hipError_tPvRmT3_T4_T5_T6_T7_T9_mT8_P12ihipStream_tbDpT10_ENKUlT_T0_E_clISt17integral_constantIbLb1EES1F_EEDaS1A_S1B_EUlS1A_E_NS1_11comp_targetILNS1_3genE3ELNS1_11target_archE908ELNS1_3gpuE7ELNS1_3repE0EEENS1_30default_config_static_selectorELNS0_4arch9wavefront6targetE1EEEvT1_.kd
    .uniform_work_group_size: 1
    .uses_dynamic_stack: false
    .vgpr_count:     0
    .vgpr_spill_count: 0
    .wavefront_size: 64
  - .agpr_count:     0
    .args:
      - .offset:         0
        .size:           144
        .value_kind:     by_value
    .group_segment_fixed_size: 0
    .kernarg_segment_align: 8
    .kernarg_segment_size: 144
    .language:       OpenCL C
    .language_version:
      - 2
      - 0
    .max_flat_workgroup_size: 256
    .name:           _ZN7rocprim17ROCPRIM_400000_NS6detail17trampoline_kernelINS0_14default_configENS1_25partition_config_selectorILNS1_17partition_subalgoE2ExNS0_10empty_typeEbEEZZNS1_14partition_implILS5_2ELb0ES3_jN6thrust23THRUST_200600_302600_NS6detail15normal_iteratorINSA_7pointerIxNSA_11hip_rocprim3tagENSA_11use_defaultESG_EEEEPS6_NSA_18transform_iteratorINSA_8identityIxEENSC_INSA_10device_ptrIxEEEESG_SG_EENS0_5tupleIJPxSJ_EEENSR_IJSJ_SJ_EEES6_PlJS6_EEE10hipError_tPvRmT3_T4_T5_T6_T7_T9_mT8_P12ihipStream_tbDpT10_ENKUlT_T0_E_clISt17integral_constantIbLb1EES1F_EEDaS1A_S1B_EUlS1A_E_NS1_11comp_targetILNS1_3genE2ELNS1_11target_archE906ELNS1_3gpuE6ELNS1_3repE0EEENS1_30default_config_static_selectorELNS0_4arch9wavefront6targetE1EEEvT1_
    .private_segment_fixed_size: 0
    .sgpr_count:     6
    .sgpr_spill_count: 0
    .symbol:         _ZN7rocprim17ROCPRIM_400000_NS6detail17trampoline_kernelINS0_14default_configENS1_25partition_config_selectorILNS1_17partition_subalgoE2ExNS0_10empty_typeEbEEZZNS1_14partition_implILS5_2ELb0ES3_jN6thrust23THRUST_200600_302600_NS6detail15normal_iteratorINSA_7pointerIxNSA_11hip_rocprim3tagENSA_11use_defaultESG_EEEEPS6_NSA_18transform_iteratorINSA_8identityIxEENSC_INSA_10device_ptrIxEEEESG_SG_EENS0_5tupleIJPxSJ_EEENSR_IJSJ_SJ_EEES6_PlJS6_EEE10hipError_tPvRmT3_T4_T5_T6_T7_T9_mT8_P12ihipStream_tbDpT10_ENKUlT_T0_E_clISt17integral_constantIbLb1EES1F_EEDaS1A_S1B_EUlS1A_E_NS1_11comp_targetILNS1_3genE2ELNS1_11target_archE906ELNS1_3gpuE6ELNS1_3repE0EEENS1_30default_config_static_selectorELNS0_4arch9wavefront6targetE1EEEvT1_.kd
    .uniform_work_group_size: 1
    .uses_dynamic_stack: false
    .vgpr_count:     0
    .vgpr_spill_count: 0
    .wavefront_size: 64
  - .agpr_count:     0
    .args:
      - .offset:         0
        .size:           144
        .value_kind:     by_value
    .group_segment_fixed_size: 0
    .kernarg_segment_align: 8
    .kernarg_segment_size: 144
    .language:       OpenCL C
    .language_version:
      - 2
      - 0
    .max_flat_workgroup_size: 256
    .name:           _ZN7rocprim17ROCPRIM_400000_NS6detail17trampoline_kernelINS0_14default_configENS1_25partition_config_selectorILNS1_17partition_subalgoE2ExNS0_10empty_typeEbEEZZNS1_14partition_implILS5_2ELb0ES3_jN6thrust23THRUST_200600_302600_NS6detail15normal_iteratorINSA_7pointerIxNSA_11hip_rocprim3tagENSA_11use_defaultESG_EEEEPS6_NSA_18transform_iteratorINSA_8identityIxEENSC_INSA_10device_ptrIxEEEESG_SG_EENS0_5tupleIJPxSJ_EEENSR_IJSJ_SJ_EEES6_PlJS6_EEE10hipError_tPvRmT3_T4_T5_T6_T7_T9_mT8_P12ihipStream_tbDpT10_ENKUlT_T0_E_clISt17integral_constantIbLb1EES1F_EEDaS1A_S1B_EUlS1A_E_NS1_11comp_targetILNS1_3genE10ELNS1_11target_archE1200ELNS1_3gpuE4ELNS1_3repE0EEENS1_30default_config_static_selectorELNS0_4arch9wavefront6targetE1EEEvT1_
    .private_segment_fixed_size: 0
    .sgpr_count:     6
    .sgpr_spill_count: 0
    .symbol:         _ZN7rocprim17ROCPRIM_400000_NS6detail17trampoline_kernelINS0_14default_configENS1_25partition_config_selectorILNS1_17partition_subalgoE2ExNS0_10empty_typeEbEEZZNS1_14partition_implILS5_2ELb0ES3_jN6thrust23THRUST_200600_302600_NS6detail15normal_iteratorINSA_7pointerIxNSA_11hip_rocprim3tagENSA_11use_defaultESG_EEEEPS6_NSA_18transform_iteratorINSA_8identityIxEENSC_INSA_10device_ptrIxEEEESG_SG_EENS0_5tupleIJPxSJ_EEENSR_IJSJ_SJ_EEES6_PlJS6_EEE10hipError_tPvRmT3_T4_T5_T6_T7_T9_mT8_P12ihipStream_tbDpT10_ENKUlT_T0_E_clISt17integral_constantIbLb1EES1F_EEDaS1A_S1B_EUlS1A_E_NS1_11comp_targetILNS1_3genE10ELNS1_11target_archE1200ELNS1_3gpuE4ELNS1_3repE0EEENS1_30default_config_static_selectorELNS0_4arch9wavefront6targetE1EEEvT1_.kd
    .uniform_work_group_size: 1
    .uses_dynamic_stack: false
    .vgpr_count:     0
    .vgpr_spill_count: 0
    .wavefront_size: 64
  - .agpr_count:     0
    .args:
      - .offset:         0
        .size:           144
        .value_kind:     by_value
    .group_segment_fixed_size: 0
    .kernarg_segment_align: 8
    .kernarg_segment_size: 144
    .language:       OpenCL C
    .language_version:
      - 2
      - 0
    .max_flat_workgroup_size: 512
    .name:           _ZN7rocprim17ROCPRIM_400000_NS6detail17trampoline_kernelINS0_14default_configENS1_25partition_config_selectorILNS1_17partition_subalgoE2ExNS0_10empty_typeEbEEZZNS1_14partition_implILS5_2ELb0ES3_jN6thrust23THRUST_200600_302600_NS6detail15normal_iteratorINSA_7pointerIxNSA_11hip_rocprim3tagENSA_11use_defaultESG_EEEEPS6_NSA_18transform_iteratorINSA_8identityIxEENSC_INSA_10device_ptrIxEEEESG_SG_EENS0_5tupleIJPxSJ_EEENSR_IJSJ_SJ_EEES6_PlJS6_EEE10hipError_tPvRmT3_T4_T5_T6_T7_T9_mT8_P12ihipStream_tbDpT10_ENKUlT_T0_E_clISt17integral_constantIbLb1EES1F_EEDaS1A_S1B_EUlS1A_E_NS1_11comp_targetILNS1_3genE9ELNS1_11target_archE1100ELNS1_3gpuE3ELNS1_3repE0EEENS1_30default_config_static_selectorELNS0_4arch9wavefront6targetE1EEEvT1_
    .private_segment_fixed_size: 0
    .sgpr_count:     6
    .sgpr_spill_count: 0
    .symbol:         _ZN7rocprim17ROCPRIM_400000_NS6detail17trampoline_kernelINS0_14default_configENS1_25partition_config_selectorILNS1_17partition_subalgoE2ExNS0_10empty_typeEbEEZZNS1_14partition_implILS5_2ELb0ES3_jN6thrust23THRUST_200600_302600_NS6detail15normal_iteratorINSA_7pointerIxNSA_11hip_rocprim3tagENSA_11use_defaultESG_EEEEPS6_NSA_18transform_iteratorINSA_8identityIxEENSC_INSA_10device_ptrIxEEEESG_SG_EENS0_5tupleIJPxSJ_EEENSR_IJSJ_SJ_EEES6_PlJS6_EEE10hipError_tPvRmT3_T4_T5_T6_T7_T9_mT8_P12ihipStream_tbDpT10_ENKUlT_T0_E_clISt17integral_constantIbLb1EES1F_EEDaS1A_S1B_EUlS1A_E_NS1_11comp_targetILNS1_3genE9ELNS1_11target_archE1100ELNS1_3gpuE3ELNS1_3repE0EEENS1_30default_config_static_selectorELNS0_4arch9wavefront6targetE1EEEvT1_.kd
    .uniform_work_group_size: 1
    .uses_dynamic_stack: false
    .vgpr_count:     0
    .vgpr_spill_count: 0
    .wavefront_size: 64
  - .agpr_count:     0
    .args:
      - .offset:         0
        .size:           144
        .value_kind:     by_value
    .group_segment_fixed_size: 0
    .kernarg_segment_align: 8
    .kernarg_segment_size: 144
    .language:       OpenCL C
    .language_version:
      - 2
      - 0
    .max_flat_workgroup_size: 512
    .name:           _ZN7rocprim17ROCPRIM_400000_NS6detail17trampoline_kernelINS0_14default_configENS1_25partition_config_selectorILNS1_17partition_subalgoE2ExNS0_10empty_typeEbEEZZNS1_14partition_implILS5_2ELb0ES3_jN6thrust23THRUST_200600_302600_NS6detail15normal_iteratorINSA_7pointerIxNSA_11hip_rocprim3tagENSA_11use_defaultESG_EEEEPS6_NSA_18transform_iteratorINSA_8identityIxEENSC_INSA_10device_ptrIxEEEESG_SG_EENS0_5tupleIJPxSJ_EEENSR_IJSJ_SJ_EEES6_PlJS6_EEE10hipError_tPvRmT3_T4_T5_T6_T7_T9_mT8_P12ihipStream_tbDpT10_ENKUlT_T0_E_clISt17integral_constantIbLb1EES1F_EEDaS1A_S1B_EUlS1A_E_NS1_11comp_targetILNS1_3genE8ELNS1_11target_archE1030ELNS1_3gpuE2ELNS1_3repE0EEENS1_30default_config_static_selectorELNS0_4arch9wavefront6targetE1EEEvT1_
    .private_segment_fixed_size: 0
    .sgpr_count:     6
    .sgpr_spill_count: 0
    .symbol:         _ZN7rocprim17ROCPRIM_400000_NS6detail17trampoline_kernelINS0_14default_configENS1_25partition_config_selectorILNS1_17partition_subalgoE2ExNS0_10empty_typeEbEEZZNS1_14partition_implILS5_2ELb0ES3_jN6thrust23THRUST_200600_302600_NS6detail15normal_iteratorINSA_7pointerIxNSA_11hip_rocprim3tagENSA_11use_defaultESG_EEEEPS6_NSA_18transform_iteratorINSA_8identityIxEENSC_INSA_10device_ptrIxEEEESG_SG_EENS0_5tupleIJPxSJ_EEENSR_IJSJ_SJ_EEES6_PlJS6_EEE10hipError_tPvRmT3_T4_T5_T6_T7_T9_mT8_P12ihipStream_tbDpT10_ENKUlT_T0_E_clISt17integral_constantIbLb1EES1F_EEDaS1A_S1B_EUlS1A_E_NS1_11comp_targetILNS1_3genE8ELNS1_11target_archE1030ELNS1_3gpuE2ELNS1_3repE0EEENS1_30default_config_static_selectorELNS0_4arch9wavefront6targetE1EEEvT1_.kd
    .uniform_work_group_size: 1
    .uses_dynamic_stack: false
    .vgpr_count:     0
    .vgpr_spill_count: 0
    .wavefront_size: 64
  - .agpr_count:     0
    .args:
      - .offset:         0
        .size:           128
        .value_kind:     by_value
    .group_segment_fixed_size: 0
    .kernarg_segment_align: 8
    .kernarg_segment_size: 128
    .language:       OpenCL C
    .language_version:
      - 2
      - 0
    .max_flat_workgroup_size: 128
    .name:           _ZN7rocprim17ROCPRIM_400000_NS6detail17trampoline_kernelINS0_14default_configENS1_25partition_config_selectorILNS1_17partition_subalgoE2ExNS0_10empty_typeEbEEZZNS1_14partition_implILS5_2ELb0ES3_jN6thrust23THRUST_200600_302600_NS6detail15normal_iteratorINSA_7pointerIxNSA_11hip_rocprim3tagENSA_11use_defaultESG_EEEEPS6_NSA_18transform_iteratorINSA_8identityIxEENSC_INSA_10device_ptrIxEEEESG_SG_EENS0_5tupleIJPxSJ_EEENSR_IJSJ_SJ_EEES6_PlJS6_EEE10hipError_tPvRmT3_T4_T5_T6_T7_T9_mT8_P12ihipStream_tbDpT10_ENKUlT_T0_E_clISt17integral_constantIbLb1EES1E_IbLb0EEEEDaS1A_S1B_EUlS1A_E_NS1_11comp_targetILNS1_3genE0ELNS1_11target_archE4294967295ELNS1_3gpuE0ELNS1_3repE0EEENS1_30default_config_static_selectorELNS0_4arch9wavefront6targetE1EEEvT1_
    .private_segment_fixed_size: 0
    .sgpr_count:     6
    .sgpr_spill_count: 0
    .symbol:         _ZN7rocprim17ROCPRIM_400000_NS6detail17trampoline_kernelINS0_14default_configENS1_25partition_config_selectorILNS1_17partition_subalgoE2ExNS0_10empty_typeEbEEZZNS1_14partition_implILS5_2ELb0ES3_jN6thrust23THRUST_200600_302600_NS6detail15normal_iteratorINSA_7pointerIxNSA_11hip_rocprim3tagENSA_11use_defaultESG_EEEEPS6_NSA_18transform_iteratorINSA_8identityIxEENSC_INSA_10device_ptrIxEEEESG_SG_EENS0_5tupleIJPxSJ_EEENSR_IJSJ_SJ_EEES6_PlJS6_EEE10hipError_tPvRmT3_T4_T5_T6_T7_T9_mT8_P12ihipStream_tbDpT10_ENKUlT_T0_E_clISt17integral_constantIbLb1EES1E_IbLb0EEEEDaS1A_S1B_EUlS1A_E_NS1_11comp_targetILNS1_3genE0ELNS1_11target_archE4294967295ELNS1_3gpuE0ELNS1_3repE0EEENS1_30default_config_static_selectorELNS0_4arch9wavefront6targetE1EEEvT1_.kd
    .uniform_work_group_size: 1
    .uses_dynamic_stack: false
    .vgpr_count:     0
    .vgpr_spill_count: 0
    .wavefront_size: 64
  - .agpr_count:     0
    .args:
      - .offset:         0
        .size:           128
        .value_kind:     by_value
    .group_segment_fixed_size: 28680
    .kernarg_segment_align: 8
    .kernarg_segment_size: 128
    .language:       OpenCL C
    .language_version:
      - 2
      - 0
    .max_flat_workgroup_size: 512
    .name:           _ZN7rocprim17ROCPRIM_400000_NS6detail17trampoline_kernelINS0_14default_configENS1_25partition_config_selectorILNS1_17partition_subalgoE2ExNS0_10empty_typeEbEEZZNS1_14partition_implILS5_2ELb0ES3_jN6thrust23THRUST_200600_302600_NS6detail15normal_iteratorINSA_7pointerIxNSA_11hip_rocprim3tagENSA_11use_defaultESG_EEEEPS6_NSA_18transform_iteratorINSA_8identityIxEENSC_INSA_10device_ptrIxEEEESG_SG_EENS0_5tupleIJPxSJ_EEENSR_IJSJ_SJ_EEES6_PlJS6_EEE10hipError_tPvRmT3_T4_T5_T6_T7_T9_mT8_P12ihipStream_tbDpT10_ENKUlT_T0_E_clISt17integral_constantIbLb1EES1E_IbLb0EEEEDaS1A_S1B_EUlS1A_E_NS1_11comp_targetILNS1_3genE5ELNS1_11target_archE942ELNS1_3gpuE9ELNS1_3repE0EEENS1_30default_config_static_selectorELNS0_4arch9wavefront6targetE1EEEvT1_
    .private_segment_fixed_size: 0
    .sgpr_count:     52
    .sgpr_spill_count: 0
    .symbol:         _ZN7rocprim17ROCPRIM_400000_NS6detail17trampoline_kernelINS0_14default_configENS1_25partition_config_selectorILNS1_17partition_subalgoE2ExNS0_10empty_typeEbEEZZNS1_14partition_implILS5_2ELb0ES3_jN6thrust23THRUST_200600_302600_NS6detail15normal_iteratorINSA_7pointerIxNSA_11hip_rocprim3tagENSA_11use_defaultESG_EEEEPS6_NSA_18transform_iteratorINSA_8identityIxEENSC_INSA_10device_ptrIxEEEESG_SG_EENS0_5tupleIJPxSJ_EEENSR_IJSJ_SJ_EEES6_PlJS6_EEE10hipError_tPvRmT3_T4_T5_T6_T7_T9_mT8_P12ihipStream_tbDpT10_ENKUlT_T0_E_clISt17integral_constantIbLb1EES1E_IbLb0EEEEDaS1A_S1B_EUlS1A_E_NS1_11comp_targetILNS1_3genE5ELNS1_11target_archE942ELNS1_3gpuE9ELNS1_3repE0EEENS1_30default_config_static_selectorELNS0_4arch9wavefront6targetE1EEEvT1_.kd
    .uniform_work_group_size: 1
    .uses_dynamic_stack: false
    .vgpr_count:     54
    .vgpr_spill_count: 0
    .wavefront_size: 64
  - .agpr_count:     0
    .args:
      - .offset:         0
        .size:           128
        .value_kind:     by_value
    .group_segment_fixed_size: 0
    .kernarg_segment_align: 8
    .kernarg_segment_size: 128
    .language:       OpenCL C
    .language_version:
      - 2
      - 0
    .max_flat_workgroup_size: 192
    .name:           _ZN7rocprim17ROCPRIM_400000_NS6detail17trampoline_kernelINS0_14default_configENS1_25partition_config_selectorILNS1_17partition_subalgoE2ExNS0_10empty_typeEbEEZZNS1_14partition_implILS5_2ELb0ES3_jN6thrust23THRUST_200600_302600_NS6detail15normal_iteratorINSA_7pointerIxNSA_11hip_rocprim3tagENSA_11use_defaultESG_EEEEPS6_NSA_18transform_iteratorINSA_8identityIxEENSC_INSA_10device_ptrIxEEEESG_SG_EENS0_5tupleIJPxSJ_EEENSR_IJSJ_SJ_EEES6_PlJS6_EEE10hipError_tPvRmT3_T4_T5_T6_T7_T9_mT8_P12ihipStream_tbDpT10_ENKUlT_T0_E_clISt17integral_constantIbLb1EES1E_IbLb0EEEEDaS1A_S1B_EUlS1A_E_NS1_11comp_targetILNS1_3genE4ELNS1_11target_archE910ELNS1_3gpuE8ELNS1_3repE0EEENS1_30default_config_static_selectorELNS0_4arch9wavefront6targetE1EEEvT1_
    .private_segment_fixed_size: 0
    .sgpr_count:     6
    .sgpr_spill_count: 0
    .symbol:         _ZN7rocprim17ROCPRIM_400000_NS6detail17trampoline_kernelINS0_14default_configENS1_25partition_config_selectorILNS1_17partition_subalgoE2ExNS0_10empty_typeEbEEZZNS1_14partition_implILS5_2ELb0ES3_jN6thrust23THRUST_200600_302600_NS6detail15normal_iteratorINSA_7pointerIxNSA_11hip_rocprim3tagENSA_11use_defaultESG_EEEEPS6_NSA_18transform_iteratorINSA_8identityIxEENSC_INSA_10device_ptrIxEEEESG_SG_EENS0_5tupleIJPxSJ_EEENSR_IJSJ_SJ_EEES6_PlJS6_EEE10hipError_tPvRmT3_T4_T5_T6_T7_T9_mT8_P12ihipStream_tbDpT10_ENKUlT_T0_E_clISt17integral_constantIbLb1EES1E_IbLb0EEEEDaS1A_S1B_EUlS1A_E_NS1_11comp_targetILNS1_3genE4ELNS1_11target_archE910ELNS1_3gpuE8ELNS1_3repE0EEENS1_30default_config_static_selectorELNS0_4arch9wavefront6targetE1EEEvT1_.kd
    .uniform_work_group_size: 1
    .uses_dynamic_stack: false
    .vgpr_count:     0
    .vgpr_spill_count: 0
    .wavefront_size: 64
  - .agpr_count:     0
    .args:
      - .offset:         0
        .size:           128
        .value_kind:     by_value
    .group_segment_fixed_size: 0
    .kernarg_segment_align: 8
    .kernarg_segment_size: 128
    .language:       OpenCL C
    .language_version:
      - 2
      - 0
    .max_flat_workgroup_size: 128
    .name:           _ZN7rocprim17ROCPRIM_400000_NS6detail17trampoline_kernelINS0_14default_configENS1_25partition_config_selectorILNS1_17partition_subalgoE2ExNS0_10empty_typeEbEEZZNS1_14partition_implILS5_2ELb0ES3_jN6thrust23THRUST_200600_302600_NS6detail15normal_iteratorINSA_7pointerIxNSA_11hip_rocprim3tagENSA_11use_defaultESG_EEEEPS6_NSA_18transform_iteratorINSA_8identityIxEENSC_INSA_10device_ptrIxEEEESG_SG_EENS0_5tupleIJPxSJ_EEENSR_IJSJ_SJ_EEES6_PlJS6_EEE10hipError_tPvRmT3_T4_T5_T6_T7_T9_mT8_P12ihipStream_tbDpT10_ENKUlT_T0_E_clISt17integral_constantIbLb1EES1E_IbLb0EEEEDaS1A_S1B_EUlS1A_E_NS1_11comp_targetILNS1_3genE3ELNS1_11target_archE908ELNS1_3gpuE7ELNS1_3repE0EEENS1_30default_config_static_selectorELNS0_4arch9wavefront6targetE1EEEvT1_
    .private_segment_fixed_size: 0
    .sgpr_count:     6
    .sgpr_spill_count: 0
    .symbol:         _ZN7rocprim17ROCPRIM_400000_NS6detail17trampoline_kernelINS0_14default_configENS1_25partition_config_selectorILNS1_17partition_subalgoE2ExNS0_10empty_typeEbEEZZNS1_14partition_implILS5_2ELb0ES3_jN6thrust23THRUST_200600_302600_NS6detail15normal_iteratorINSA_7pointerIxNSA_11hip_rocprim3tagENSA_11use_defaultESG_EEEEPS6_NSA_18transform_iteratorINSA_8identityIxEENSC_INSA_10device_ptrIxEEEESG_SG_EENS0_5tupleIJPxSJ_EEENSR_IJSJ_SJ_EEES6_PlJS6_EEE10hipError_tPvRmT3_T4_T5_T6_T7_T9_mT8_P12ihipStream_tbDpT10_ENKUlT_T0_E_clISt17integral_constantIbLb1EES1E_IbLb0EEEEDaS1A_S1B_EUlS1A_E_NS1_11comp_targetILNS1_3genE3ELNS1_11target_archE908ELNS1_3gpuE7ELNS1_3repE0EEENS1_30default_config_static_selectorELNS0_4arch9wavefront6targetE1EEEvT1_.kd
    .uniform_work_group_size: 1
    .uses_dynamic_stack: false
    .vgpr_count:     0
    .vgpr_spill_count: 0
    .wavefront_size: 64
  - .agpr_count:     0
    .args:
      - .offset:         0
        .size:           128
        .value_kind:     by_value
    .group_segment_fixed_size: 0
    .kernarg_segment_align: 8
    .kernarg_segment_size: 128
    .language:       OpenCL C
    .language_version:
      - 2
      - 0
    .max_flat_workgroup_size: 256
    .name:           _ZN7rocprim17ROCPRIM_400000_NS6detail17trampoline_kernelINS0_14default_configENS1_25partition_config_selectorILNS1_17partition_subalgoE2ExNS0_10empty_typeEbEEZZNS1_14partition_implILS5_2ELb0ES3_jN6thrust23THRUST_200600_302600_NS6detail15normal_iteratorINSA_7pointerIxNSA_11hip_rocprim3tagENSA_11use_defaultESG_EEEEPS6_NSA_18transform_iteratorINSA_8identityIxEENSC_INSA_10device_ptrIxEEEESG_SG_EENS0_5tupleIJPxSJ_EEENSR_IJSJ_SJ_EEES6_PlJS6_EEE10hipError_tPvRmT3_T4_T5_T6_T7_T9_mT8_P12ihipStream_tbDpT10_ENKUlT_T0_E_clISt17integral_constantIbLb1EES1E_IbLb0EEEEDaS1A_S1B_EUlS1A_E_NS1_11comp_targetILNS1_3genE2ELNS1_11target_archE906ELNS1_3gpuE6ELNS1_3repE0EEENS1_30default_config_static_selectorELNS0_4arch9wavefront6targetE1EEEvT1_
    .private_segment_fixed_size: 0
    .sgpr_count:     6
    .sgpr_spill_count: 0
    .symbol:         _ZN7rocprim17ROCPRIM_400000_NS6detail17trampoline_kernelINS0_14default_configENS1_25partition_config_selectorILNS1_17partition_subalgoE2ExNS0_10empty_typeEbEEZZNS1_14partition_implILS5_2ELb0ES3_jN6thrust23THRUST_200600_302600_NS6detail15normal_iteratorINSA_7pointerIxNSA_11hip_rocprim3tagENSA_11use_defaultESG_EEEEPS6_NSA_18transform_iteratorINSA_8identityIxEENSC_INSA_10device_ptrIxEEEESG_SG_EENS0_5tupleIJPxSJ_EEENSR_IJSJ_SJ_EEES6_PlJS6_EEE10hipError_tPvRmT3_T4_T5_T6_T7_T9_mT8_P12ihipStream_tbDpT10_ENKUlT_T0_E_clISt17integral_constantIbLb1EES1E_IbLb0EEEEDaS1A_S1B_EUlS1A_E_NS1_11comp_targetILNS1_3genE2ELNS1_11target_archE906ELNS1_3gpuE6ELNS1_3repE0EEENS1_30default_config_static_selectorELNS0_4arch9wavefront6targetE1EEEvT1_.kd
    .uniform_work_group_size: 1
    .uses_dynamic_stack: false
    .vgpr_count:     0
    .vgpr_spill_count: 0
    .wavefront_size: 64
  - .agpr_count:     0
    .args:
      - .offset:         0
        .size:           128
        .value_kind:     by_value
    .group_segment_fixed_size: 0
    .kernarg_segment_align: 8
    .kernarg_segment_size: 128
    .language:       OpenCL C
    .language_version:
      - 2
      - 0
    .max_flat_workgroup_size: 256
    .name:           _ZN7rocprim17ROCPRIM_400000_NS6detail17trampoline_kernelINS0_14default_configENS1_25partition_config_selectorILNS1_17partition_subalgoE2ExNS0_10empty_typeEbEEZZNS1_14partition_implILS5_2ELb0ES3_jN6thrust23THRUST_200600_302600_NS6detail15normal_iteratorINSA_7pointerIxNSA_11hip_rocprim3tagENSA_11use_defaultESG_EEEEPS6_NSA_18transform_iteratorINSA_8identityIxEENSC_INSA_10device_ptrIxEEEESG_SG_EENS0_5tupleIJPxSJ_EEENSR_IJSJ_SJ_EEES6_PlJS6_EEE10hipError_tPvRmT3_T4_T5_T6_T7_T9_mT8_P12ihipStream_tbDpT10_ENKUlT_T0_E_clISt17integral_constantIbLb1EES1E_IbLb0EEEEDaS1A_S1B_EUlS1A_E_NS1_11comp_targetILNS1_3genE10ELNS1_11target_archE1200ELNS1_3gpuE4ELNS1_3repE0EEENS1_30default_config_static_selectorELNS0_4arch9wavefront6targetE1EEEvT1_
    .private_segment_fixed_size: 0
    .sgpr_count:     6
    .sgpr_spill_count: 0
    .symbol:         _ZN7rocprim17ROCPRIM_400000_NS6detail17trampoline_kernelINS0_14default_configENS1_25partition_config_selectorILNS1_17partition_subalgoE2ExNS0_10empty_typeEbEEZZNS1_14partition_implILS5_2ELb0ES3_jN6thrust23THRUST_200600_302600_NS6detail15normal_iteratorINSA_7pointerIxNSA_11hip_rocprim3tagENSA_11use_defaultESG_EEEEPS6_NSA_18transform_iteratorINSA_8identityIxEENSC_INSA_10device_ptrIxEEEESG_SG_EENS0_5tupleIJPxSJ_EEENSR_IJSJ_SJ_EEES6_PlJS6_EEE10hipError_tPvRmT3_T4_T5_T6_T7_T9_mT8_P12ihipStream_tbDpT10_ENKUlT_T0_E_clISt17integral_constantIbLb1EES1E_IbLb0EEEEDaS1A_S1B_EUlS1A_E_NS1_11comp_targetILNS1_3genE10ELNS1_11target_archE1200ELNS1_3gpuE4ELNS1_3repE0EEENS1_30default_config_static_selectorELNS0_4arch9wavefront6targetE1EEEvT1_.kd
    .uniform_work_group_size: 1
    .uses_dynamic_stack: false
    .vgpr_count:     0
    .vgpr_spill_count: 0
    .wavefront_size: 64
  - .agpr_count:     0
    .args:
      - .offset:         0
        .size:           128
        .value_kind:     by_value
    .group_segment_fixed_size: 0
    .kernarg_segment_align: 8
    .kernarg_segment_size: 128
    .language:       OpenCL C
    .language_version:
      - 2
      - 0
    .max_flat_workgroup_size: 512
    .name:           _ZN7rocprim17ROCPRIM_400000_NS6detail17trampoline_kernelINS0_14default_configENS1_25partition_config_selectorILNS1_17partition_subalgoE2ExNS0_10empty_typeEbEEZZNS1_14partition_implILS5_2ELb0ES3_jN6thrust23THRUST_200600_302600_NS6detail15normal_iteratorINSA_7pointerIxNSA_11hip_rocprim3tagENSA_11use_defaultESG_EEEEPS6_NSA_18transform_iteratorINSA_8identityIxEENSC_INSA_10device_ptrIxEEEESG_SG_EENS0_5tupleIJPxSJ_EEENSR_IJSJ_SJ_EEES6_PlJS6_EEE10hipError_tPvRmT3_T4_T5_T6_T7_T9_mT8_P12ihipStream_tbDpT10_ENKUlT_T0_E_clISt17integral_constantIbLb1EES1E_IbLb0EEEEDaS1A_S1B_EUlS1A_E_NS1_11comp_targetILNS1_3genE9ELNS1_11target_archE1100ELNS1_3gpuE3ELNS1_3repE0EEENS1_30default_config_static_selectorELNS0_4arch9wavefront6targetE1EEEvT1_
    .private_segment_fixed_size: 0
    .sgpr_count:     6
    .sgpr_spill_count: 0
    .symbol:         _ZN7rocprim17ROCPRIM_400000_NS6detail17trampoline_kernelINS0_14default_configENS1_25partition_config_selectorILNS1_17partition_subalgoE2ExNS0_10empty_typeEbEEZZNS1_14partition_implILS5_2ELb0ES3_jN6thrust23THRUST_200600_302600_NS6detail15normal_iteratorINSA_7pointerIxNSA_11hip_rocprim3tagENSA_11use_defaultESG_EEEEPS6_NSA_18transform_iteratorINSA_8identityIxEENSC_INSA_10device_ptrIxEEEESG_SG_EENS0_5tupleIJPxSJ_EEENSR_IJSJ_SJ_EEES6_PlJS6_EEE10hipError_tPvRmT3_T4_T5_T6_T7_T9_mT8_P12ihipStream_tbDpT10_ENKUlT_T0_E_clISt17integral_constantIbLb1EES1E_IbLb0EEEEDaS1A_S1B_EUlS1A_E_NS1_11comp_targetILNS1_3genE9ELNS1_11target_archE1100ELNS1_3gpuE3ELNS1_3repE0EEENS1_30default_config_static_selectorELNS0_4arch9wavefront6targetE1EEEvT1_.kd
    .uniform_work_group_size: 1
    .uses_dynamic_stack: false
    .vgpr_count:     0
    .vgpr_spill_count: 0
    .wavefront_size: 64
  - .agpr_count:     0
    .args:
      - .offset:         0
        .size:           128
        .value_kind:     by_value
    .group_segment_fixed_size: 0
    .kernarg_segment_align: 8
    .kernarg_segment_size: 128
    .language:       OpenCL C
    .language_version:
      - 2
      - 0
    .max_flat_workgroup_size: 512
    .name:           _ZN7rocprim17ROCPRIM_400000_NS6detail17trampoline_kernelINS0_14default_configENS1_25partition_config_selectorILNS1_17partition_subalgoE2ExNS0_10empty_typeEbEEZZNS1_14partition_implILS5_2ELb0ES3_jN6thrust23THRUST_200600_302600_NS6detail15normal_iteratorINSA_7pointerIxNSA_11hip_rocprim3tagENSA_11use_defaultESG_EEEEPS6_NSA_18transform_iteratorINSA_8identityIxEENSC_INSA_10device_ptrIxEEEESG_SG_EENS0_5tupleIJPxSJ_EEENSR_IJSJ_SJ_EEES6_PlJS6_EEE10hipError_tPvRmT3_T4_T5_T6_T7_T9_mT8_P12ihipStream_tbDpT10_ENKUlT_T0_E_clISt17integral_constantIbLb1EES1E_IbLb0EEEEDaS1A_S1B_EUlS1A_E_NS1_11comp_targetILNS1_3genE8ELNS1_11target_archE1030ELNS1_3gpuE2ELNS1_3repE0EEENS1_30default_config_static_selectorELNS0_4arch9wavefront6targetE1EEEvT1_
    .private_segment_fixed_size: 0
    .sgpr_count:     6
    .sgpr_spill_count: 0
    .symbol:         _ZN7rocprim17ROCPRIM_400000_NS6detail17trampoline_kernelINS0_14default_configENS1_25partition_config_selectorILNS1_17partition_subalgoE2ExNS0_10empty_typeEbEEZZNS1_14partition_implILS5_2ELb0ES3_jN6thrust23THRUST_200600_302600_NS6detail15normal_iteratorINSA_7pointerIxNSA_11hip_rocprim3tagENSA_11use_defaultESG_EEEEPS6_NSA_18transform_iteratorINSA_8identityIxEENSC_INSA_10device_ptrIxEEEESG_SG_EENS0_5tupleIJPxSJ_EEENSR_IJSJ_SJ_EEES6_PlJS6_EEE10hipError_tPvRmT3_T4_T5_T6_T7_T9_mT8_P12ihipStream_tbDpT10_ENKUlT_T0_E_clISt17integral_constantIbLb1EES1E_IbLb0EEEEDaS1A_S1B_EUlS1A_E_NS1_11comp_targetILNS1_3genE8ELNS1_11target_archE1030ELNS1_3gpuE2ELNS1_3repE0EEENS1_30default_config_static_selectorELNS0_4arch9wavefront6targetE1EEEvT1_.kd
    .uniform_work_group_size: 1
    .uses_dynamic_stack: false
    .vgpr_count:     0
    .vgpr_spill_count: 0
    .wavefront_size: 64
  - .agpr_count:     0
    .args:
      - .offset:         0
        .size:           144
        .value_kind:     by_value
    .group_segment_fixed_size: 0
    .kernarg_segment_align: 8
    .kernarg_segment_size: 144
    .language:       OpenCL C
    .language_version:
      - 2
      - 0
    .max_flat_workgroup_size: 128
    .name:           _ZN7rocprim17ROCPRIM_400000_NS6detail17trampoline_kernelINS0_14default_configENS1_25partition_config_selectorILNS1_17partition_subalgoE2ExNS0_10empty_typeEbEEZZNS1_14partition_implILS5_2ELb0ES3_jN6thrust23THRUST_200600_302600_NS6detail15normal_iteratorINSA_7pointerIxNSA_11hip_rocprim3tagENSA_11use_defaultESG_EEEEPS6_NSA_18transform_iteratorINSA_8identityIxEENSC_INSA_10device_ptrIxEEEESG_SG_EENS0_5tupleIJPxSJ_EEENSR_IJSJ_SJ_EEES6_PlJS6_EEE10hipError_tPvRmT3_T4_T5_T6_T7_T9_mT8_P12ihipStream_tbDpT10_ENKUlT_T0_E_clISt17integral_constantIbLb0EES1E_IbLb1EEEEDaS1A_S1B_EUlS1A_E_NS1_11comp_targetILNS1_3genE0ELNS1_11target_archE4294967295ELNS1_3gpuE0ELNS1_3repE0EEENS1_30default_config_static_selectorELNS0_4arch9wavefront6targetE1EEEvT1_
    .private_segment_fixed_size: 0
    .sgpr_count:     6
    .sgpr_spill_count: 0
    .symbol:         _ZN7rocprim17ROCPRIM_400000_NS6detail17trampoline_kernelINS0_14default_configENS1_25partition_config_selectorILNS1_17partition_subalgoE2ExNS0_10empty_typeEbEEZZNS1_14partition_implILS5_2ELb0ES3_jN6thrust23THRUST_200600_302600_NS6detail15normal_iteratorINSA_7pointerIxNSA_11hip_rocprim3tagENSA_11use_defaultESG_EEEEPS6_NSA_18transform_iteratorINSA_8identityIxEENSC_INSA_10device_ptrIxEEEESG_SG_EENS0_5tupleIJPxSJ_EEENSR_IJSJ_SJ_EEES6_PlJS6_EEE10hipError_tPvRmT3_T4_T5_T6_T7_T9_mT8_P12ihipStream_tbDpT10_ENKUlT_T0_E_clISt17integral_constantIbLb0EES1E_IbLb1EEEEDaS1A_S1B_EUlS1A_E_NS1_11comp_targetILNS1_3genE0ELNS1_11target_archE4294967295ELNS1_3gpuE0ELNS1_3repE0EEENS1_30default_config_static_selectorELNS0_4arch9wavefront6targetE1EEEvT1_.kd
    .uniform_work_group_size: 1
    .uses_dynamic_stack: false
    .vgpr_count:     0
    .vgpr_spill_count: 0
    .wavefront_size: 64
  - .agpr_count:     0
    .args:
      - .offset:         0
        .size:           144
        .value_kind:     by_value
    .group_segment_fixed_size: 28680
    .kernarg_segment_align: 8
    .kernarg_segment_size: 144
    .language:       OpenCL C
    .language_version:
      - 2
      - 0
    .max_flat_workgroup_size: 512
    .name:           _ZN7rocprim17ROCPRIM_400000_NS6detail17trampoline_kernelINS0_14default_configENS1_25partition_config_selectorILNS1_17partition_subalgoE2ExNS0_10empty_typeEbEEZZNS1_14partition_implILS5_2ELb0ES3_jN6thrust23THRUST_200600_302600_NS6detail15normal_iteratorINSA_7pointerIxNSA_11hip_rocprim3tagENSA_11use_defaultESG_EEEEPS6_NSA_18transform_iteratorINSA_8identityIxEENSC_INSA_10device_ptrIxEEEESG_SG_EENS0_5tupleIJPxSJ_EEENSR_IJSJ_SJ_EEES6_PlJS6_EEE10hipError_tPvRmT3_T4_T5_T6_T7_T9_mT8_P12ihipStream_tbDpT10_ENKUlT_T0_E_clISt17integral_constantIbLb0EES1E_IbLb1EEEEDaS1A_S1B_EUlS1A_E_NS1_11comp_targetILNS1_3genE5ELNS1_11target_archE942ELNS1_3gpuE9ELNS1_3repE0EEENS1_30default_config_static_selectorELNS0_4arch9wavefront6targetE1EEEvT1_
    .private_segment_fixed_size: 0
    .sgpr_count:     52
    .sgpr_spill_count: 0
    .symbol:         _ZN7rocprim17ROCPRIM_400000_NS6detail17trampoline_kernelINS0_14default_configENS1_25partition_config_selectorILNS1_17partition_subalgoE2ExNS0_10empty_typeEbEEZZNS1_14partition_implILS5_2ELb0ES3_jN6thrust23THRUST_200600_302600_NS6detail15normal_iteratorINSA_7pointerIxNSA_11hip_rocprim3tagENSA_11use_defaultESG_EEEEPS6_NSA_18transform_iteratorINSA_8identityIxEENSC_INSA_10device_ptrIxEEEESG_SG_EENS0_5tupleIJPxSJ_EEENSR_IJSJ_SJ_EEES6_PlJS6_EEE10hipError_tPvRmT3_T4_T5_T6_T7_T9_mT8_P12ihipStream_tbDpT10_ENKUlT_T0_E_clISt17integral_constantIbLb0EES1E_IbLb1EEEEDaS1A_S1B_EUlS1A_E_NS1_11comp_targetILNS1_3genE5ELNS1_11target_archE942ELNS1_3gpuE9ELNS1_3repE0EEENS1_30default_config_static_selectorELNS0_4arch9wavefront6targetE1EEEvT1_.kd
    .uniform_work_group_size: 1
    .uses_dynamic_stack: false
    .vgpr_count:     56
    .vgpr_spill_count: 0
    .wavefront_size: 64
  - .agpr_count:     0
    .args:
      - .offset:         0
        .size:           144
        .value_kind:     by_value
    .group_segment_fixed_size: 0
    .kernarg_segment_align: 8
    .kernarg_segment_size: 144
    .language:       OpenCL C
    .language_version:
      - 2
      - 0
    .max_flat_workgroup_size: 192
    .name:           _ZN7rocprim17ROCPRIM_400000_NS6detail17trampoline_kernelINS0_14default_configENS1_25partition_config_selectorILNS1_17partition_subalgoE2ExNS0_10empty_typeEbEEZZNS1_14partition_implILS5_2ELb0ES3_jN6thrust23THRUST_200600_302600_NS6detail15normal_iteratorINSA_7pointerIxNSA_11hip_rocprim3tagENSA_11use_defaultESG_EEEEPS6_NSA_18transform_iteratorINSA_8identityIxEENSC_INSA_10device_ptrIxEEEESG_SG_EENS0_5tupleIJPxSJ_EEENSR_IJSJ_SJ_EEES6_PlJS6_EEE10hipError_tPvRmT3_T4_T5_T6_T7_T9_mT8_P12ihipStream_tbDpT10_ENKUlT_T0_E_clISt17integral_constantIbLb0EES1E_IbLb1EEEEDaS1A_S1B_EUlS1A_E_NS1_11comp_targetILNS1_3genE4ELNS1_11target_archE910ELNS1_3gpuE8ELNS1_3repE0EEENS1_30default_config_static_selectorELNS0_4arch9wavefront6targetE1EEEvT1_
    .private_segment_fixed_size: 0
    .sgpr_count:     6
    .sgpr_spill_count: 0
    .symbol:         _ZN7rocprim17ROCPRIM_400000_NS6detail17trampoline_kernelINS0_14default_configENS1_25partition_config_selectorILNS1_17partition_subalgoE2ExNS0_10empty_typeEbEEZZNS1_14partition_implILS5_2ELb0ES3_jN6thrust23THRUST_200600_302600_NS6detail15normal_iteratorINSA_7pointerIxNSA_11hip_rocprim3tagENSA_11use_defaultESG_EEEEPS6_NSA_18transform_iteratorINSA_8identityIxEENSC_INSA_10device_ptrIxEEEESG_SG_EENS0_5tupleIJPxSJ_EEENSR_IJSJ_SJ_EEES6_PlJS6_EEE10hipError_tPvRmT3_T4_T5_T6_T7_T9_mT8_P12ihipStream_tbDpT10_ENKUlT_T0_E_clISt17integral_constantIbLb0EES1E_IbLb1EEEEDaS1A_S1B_EUlS1A_E_NS1_11comp_targetILNS1_3genE4ELNS1_11target_archE910ELNS1_3gpuE8ELNS1_3repE0EEENS1_30default_config_static_selectorELNS0_4arch9wavefront6targetE1EEEvT1_.kd
    .uniform_work_group_size: 1
    .uses_dynamic_stack: false
    .vgpr_count:     0
    .vgpr_spill_count: 0
    .wavefront_size: 64
  - .agpr_count:     0
    .args:
      - .offset:         0
        .size:           144
        .value_kind:     by_value
    .group_segment_fixed_size: 0
    .kernarg_segment_align: 8
    .kernarg_segment_size: 144
    .language:       OpenCL C
    .language_version:
      - 2
      - 0
    .max_flat_workgroup_size: 128
    .name:           _ZN7rocprim17ROCPRIM_400000_NS6detail17trampoline_kernelINS0_14default_configENS1_25partition_config_selectorILNS1_17partition_subalgoE2ExNS0_10empty_typeEbEEZZNS1_14partition_implILS5_2ELb0ES3_jN6thrust23THRUST_200600_302600_NS6detail15normal_iteratorINSA_7pointerIxNSA_11hip_rocprim3tagENSA_11use_defaultESG_EEEEPS6_NSA_18transform_iteratorINSA_8identityIxEENSC_INSA_10device_ptrIxEEEESG_SG_EENS0_5tupleIJPxSJ_EEENSR_IJSJ_SJ_EEES6_PlJS6_EEE10hipError_tPvRmT3_T4_T5_T6_T7_T9_mT8_P12ihipStream_tbDpT10_ENKUlT_T0_E_clISt17integral_constantIbLb0EES1E_IbLb1EEEEDaS1A_S1B_EUlS1A_E_NS1_11comp_targetILNS1_3genE3ELNS1_11target_archE908ELNS1_3gpuE7ELNS1_3repE0EEENS1_30default_config_static_selectorELNS0_4arch9wavefront6targetE1EEEvT1_
    .private_segment_fixed_size: 0
    .sgpr_count:     6
    .sgpr_spill_count: 0
    .symbol:         _ZN7rocprim17ROCPRIM_400000_NS6detail17trampoline_kernelINS0_14default_configENS1_25partition_config_selectorILNS1_17partition_subalgoE2ExNS0_10empty_typeEbEEZZNS1_14partition_implILS5_2ELb0ES3_jN6thrust23THRUST_200600_302600_NS6detail15normal_iteratorINSA_7pointerIxNSA_11hip_rocprim3tagENSA_11use_defaultESG_EEEEPS6_NSA_18transform_iteratorINSA_8identityIxEENSC_INSA_10device_ptrIxEEEESG_SG_EENS0_5tupleIJPxSJ_EEENSR_IJSJ_SJ_EEES6_PlJS6_EEE10hipError_tPvRmT3_T4_T5_T6_T7_T9_mT8_P12ihipStream_tbDpT10_ENKUlT_T0_E_clISt17integral_constantIbLb0EES1E_IbLb1EEEEDaS1A_S1B_EUlS1A_E_NS1_11comp_targetILNS1_3genE3ELNS1_11target_archE908ELNS1_3gpuE7ELNS1_3repE0EEENS1_30default_config_static_selectorELNS0_4arch9wavefront6targetE1EEEvT1_.kd
    .uniform_work_group_size: 1
    .uses_dynamic_stack: false
    .vgpr_count:     0
    .vgpr_spill_count: 0
    .wavefront_size: 64
  - .agpr_count:     0
    .args:
      - .offset:         0
        .size:           144
        .value_kind:     by_value
    .group_segment_fixed_size: 0
    .kernarg_segment_align: 8
    .kernarg_segment_size: 144
    .language:       OpenCL C
    .language_version:
      - 2
      - 0
    .max_flat_workgroup_size: 256
    .name:           _ZN7rocprim17ROCPRIM_400000_NS6detail17trampoline_kernelINS0_14default_configENS1_25partition_config_selectorILNS1_17partition_subalgoE2ExNS0_10empty_typeEbEEZZNS1_14partition_implILS5_2ELb0ES3_jN6thrust23THRUST_200600_302600_NS6detail15normal_iteratorINSA_7pointerIxNSA_11hip_rocprim3tagENSA_11use_defaultESG_EEEEPS6_NSA_18transform_iteratorINSA_8identityIxEENSC_INSA_10device_ptrIxEEEESG_SG_EENS0_5tupleIJPxSJ_EEENSR_IJSJ_SJ_EEES6_PlJS6_EEE10hipError_tPvRmT3_T4_T5_T6_T7_T9_mT8_P12ihipStream_tbDpT10_ENKUlT_T0_E_clISt17integral_constantIbLb0EES1E_IbLb1EEEEDaS1A_S1B_EUlS1A_E_NS1_11comp_targetILNS1_3genE2ELNS1_11target_archE906ELNS1_3gpuE6ELNS1_3repE0EEENS1_30default_config_static_selectorELNS0_4arch9wavefront6targetE1EEEvT1_
    .private_segment_fixed_size: 0
    .sgpr_count:     6
    .sgpr_spill_count: 0
    .symbol:         _ZN7rocprim17ROCPRIM_400000_NS6detail17trampoline_kernelINS0_14default_configENS1_25partition_config_selectorILNS1_17partition_subalgoE2ExNS0_10empty_typeEbEEZZNS1_14partition_implILS5_2ELb0ES3_jN6thrust23THRUST_200600_302600_NS6detail15normal_iteratorINSA_7pointerIxNSA_11hip_rocprim3tagENSA_11use_defaultESG_EEEEPS6_NSA_18transform_iteratorINSA_8identityIxEENSC_INSA_10device_ptrIxEEEESG_SG_EENS0_5tupleIJPxSJ_EEENSR_IJSJ_SJ_EEES6_PlJS6_EEE10hipError_tPvRmT3_T4_T5_T6_T7_T9_mT8_P12ihipStream_tbDpT10_ENKUlT_T0_E_clISt17integral_constantIbLb0EES1E_IbLb1EEEEDaS1A_S1B_EUlS1A_E_NS1_11comp_targetILNS1_3genE2ELNS1_11target_archE906ELNS1_3gpuE6ELNS1_3repE0EEENS1_30default_config_static_selectorELNS0_4arch9wavefront6targetE1EEEvT1_.kd
    .uniform_work_group_size: 1
    .uses_dynamic_stack: false
    .vgpr_count:     0
    .vgpr_spill_count: 0
    .wavefront_size: 64
  - .agpr_count:     0
    .args:
      - .offset:         0
        .size:           144
        .value_kind:     by_value
    .group_segment_fixed_size: 0
    .kernarg_segment_align: 8
    .kernarg_segment_size: 144
    .language:       OpenCL C
    .language_version:
      - 2
      - 0
    .max_flat_workgroup_size: 256
    .name:           _ZN7rocprim17ROCPRIM_400000_NS6detail17trampoline_kernelINS0_14default_configENS1_25partition_config_selectorILNS1_17partition_subalgoE2ExNS0_10empty_typeEbEEZZNS1_14partition_implILS5_2ELb0ES3_jN6thrust23THRUST_200600_302600_NS6detail15normal_iteratorINSA_7pointerIxNSA_11hip_rocprim3tagENSA_11use_defaultESG_EEEEPS6_NSA_18transform_iteratorINSA_8identityIxEENSC_INSA_10device_ptrIxEEEESG_SG_EENS0_5tupleIJPxSJ_EEENSR_IJSJ_SJ_EEES6_PlJS6_EEE10hipError_tPvRmT3_T4_T5_T6_T7_T9_mT8_P12ihipStream_tbDpT10_ENKUlT_T0_E_clISt17integral_constantIbLb0EES1E_IbLb1EEEEDaS1A_S1B_EUlS1A_E_NS1_11comp_targetILNS1_3genE10ELNS1_11target_archE1200ELNS1_3gpuE4ELNS1_3repE0EEENS1_30default_config_static_selectorELNS0_4arch9wavefront6targetE1EEEvT1_
    .private_segment_fixed_size: 0
    .sgpr_count:     6
    .sgpr_spill_count: 0
    .symbol:         _ZN7rocprim17ROCPRIM_400000_NS6detail17trampoline_kernelINS0_14default_configENS1_25partition_config_selectorILNS1_17partition_subalgoE2ExNS0_10empty_typeEbEEZZNS1_14partition_implILS5_2ELb0ES3_jN6thrust23THRUST_200600_302600_NS6detail15normal_iteratorINSA_7pointerIxNSA_11hip_rocprim3tagENSA_11use_defaultESG_EEEEPS6_NSA_18transform_iteratorINSA_8identityIxEENSC_INSA_10device_ptrIxEEEESG_SG_EENS0_5tupleIJPxSJ_EEENSR_IJSJ_SJ_EEES6_PlJS6_EEE10hipError_tPvRmT3_T4_T5_T6_T7_T9_mT8_P12ihipStream_tbDpT10_ENKUlT_T0_E_clISt17integral_constantIbLb0EES1E_IbLb1EEEEDaS1A_S1B_EUlS1A_E_NS1_11comp_targetILNS1_3genE10ELNS1_11target_archE1200ELNS1_3gpuE4ELNS1_3repE0EEENS1_30default_config_static_selectorELNS0_4arch9wavefront6targetE1EEEvT1_.kd
    .uniform_work_group_size: 1
    .uses_dynamic_stack: false
    .vgpr_count:     0
    .vgpr_spill_count: 0
    .wavefront_size: 64
  - .agpr_count:     0
    .args:
      - .offset:         0
        .size:           144
        .value_kind:     by_value
    .group_segment_fixed_size: 0
    .kernarg_segment_align: 8
    .kernarg_segment_size: 144
    .language:       OpenCL C
    .language_version:
      - 2
      - 0
    .max_flat_workgroup_size: 512
    .name:           _ZN7rocprim17ROCPRIM_400000_NS6detail17trampoline_kernelINS0_14default_configENS1_25partition_config_selectorILNS1_17partition_subalgoE2ExNS0_10empty_typeEbEEZZNS1_14partition_implILS5_2ELb0ES3_jN6thrust23THRUST_200600_302600_NS6detail15normal_iteratorINSA_7pointerIxNSA_11hip_rocprim3tagENSA_11use_defaultESG_EEEEPS6_NSA_18transform_iteratorINSA_8identityIxEENSC_INSA_10device_ptrIxEEEESG_SG_EENS0_5tupleIJPxSJ_EEENSR_IJSJ_SJ_EEES6_PlJS6_EEE10hipError_tPvRmT3_T4_T5_T6_T7_T9_mT8_P12ihipStream_tbDpT10_ENKUlT_T0_E_clISt17integral_constantIbLb0EES1E_IbLb1EEEEDaS1A_S1B_EUlS1A_E_NS1_11comp_targetILNS1_3genE9ELNS1_11target_archE1100ELNS1_3gpuE3ELNS1_3repE0EEENS1_30default_config_static_selectorELNS0_4arch9wavefront6targetE1EEEvT1_
    .private_segment_fixed_size: 0
    .sgpr_count:     6
    .sgpr_spill_count: 0
    .symbol:         _ZN7rocprim17ROCPRIM_400000_NS6detail17trampoline_kernelINS0_14default_configENS1_25partition_config_selectorILNS1_17partition_subalgoE2ExNS0_10empty_typeEbEEZZNS1_14partition_implILS5_2ELb0ES3_jN6thrust23THRUST_200600_302600_NS6detail15normal_iteratorINSA_7pointerIxNSA_11hip_rocprim3tagENSA_11use_defaultESG_EEEEPS6_NSA_18transform_iteratorINSA_8identityIxEENSC_INSA_10device_ptrIxEEEESG_SG_EENS0_5tupleIJPxSJ_EEENSR_IJSJ_SJ_EEES6_PlJS6_EEE10hipError_tPvRmT3_T4_T5_T6_T7_T9_mT8_P12ihipStream_tbDpT10_ENKUlT_T0_E_clISt17integral_constantIbLb0EES1E_IbLb1EEEEDaS1A_S1B_EUlS1A_E_NS1_11comp_targetILNS1_3genE9ELNS1_11target_archE1100ELNS1_3gpuE3ELNS1_3repE0EEENS1_30default_config_static_selectorELNS0_4arch9wavefront6targetE1EEEvT1_.kd
    .uniform_work_group_size: 1
    .uses_dynamic_stack: false
    .vgpr_count:     0
    .vgpr_spill_count: 0
    .wavefront_size: 64
  - .agpr_count:     0
    .args:
      - .offset:         0
        .size:           144
        .value_kind:     by_value
    .group_segment_fixed_size: 0
    .kernarg_segment_align: 8
    .kernarg_segment_size: 144
    .language:       OpenCL C
    .language_version:
      - 2
      - 0
    .max_flat_workgroup_size: 512
    .name:           _ZN7rocprim17ROCPRIM_400000_NS6detail17trampoline_kernelINS0_14default_configENS1_25partition_config_selectorILNS1_17partition_subalgoE2ExNS0_10empty_typeEbEEZZNS1_14partition_implILS5_2ELb0ES3_jN6thrust23THRUST_200600_302600_NS6detail15normal_iteratorINSA_7pointerIxNSA_11hip_rocprim3tagENSA_11use_defaultESG_EEEEPS6_NSA_18transform_iteratorINSA_8identityIxEENSC_INSA_10device_ptrIxEEEESG_SG_EENS0_5tupleIJPxSJ_EEENSR_IJSJ_SJ_EEES6_PlJS6_EEE10hipError_tPvRmT3_T4_T5_T6_T7_T9_mT8_P12ihipStream_tbDpT10_ENKUlT_T0_E_clISt17integral_constantIbLb0EES1E_IbLb1EEEEDaS1A_S1B_EUlS1A_E_NS1_11comp_targetILNS1_3genE8ELNS1_11target_archE1030ELNS1_3gpuE2ELNS1_3repE0EEENS1_30default_config_static_selectorELNS0_4arch9wavefront6targetE1EEEvT1_
    .private_segment_fixed_size: 0
    .sgpr_count:     6
    .sgpr_spill_count: 0
    .symbol:         _ZN7rocprim17ROCPRIM_400000_NS6detail17trampoline_kernelINS0_14default_configENS1_25partition_config_selectorILNS1_17partition_subalgoE2ExNS0_10empty_typeEbEEZZNS1_14partition_implILS5_2ELb0ES3_jN6thrust23THRUST_200600_302600_NS6detail15normal_iteratorINSA_7pointerIxNSA_11hip_rocprim3tagENSA_11use_defaultESG_EEEEPS6_NSA_18transform_iteratorINSA_8identityIxEENSC_INSA_10device_ptrIxEEEESG_SG_EENS0_5tupleIJPxSJ_EEENSR_IJSJ_SJ_EEES6_PlJS6_EEE10hipError_tPvRmT3_T4_T5_T6_T7_T9_mT8_P12ihipStream_tbDpT10_ENKUlT_T0_E_clISt17integral_constantIbLb0EES1E_IbLb1EEEEDaS1A_S1B_EUlS1A_E_NS1_11comp_targetILNS1_3genE8ELNS1_11target_archE1030ELNS1_3gpuE2ELNS1_3repE0EEENS1_30default_config_static_selectorELNS0_4arch9wavefront6targetE1EEEvT1_.kd
    .uniform_work_group_size: 1
    .uses_dynamic_stack: false
    .vgpr_count:     0
    .vgpr_spill_count: 0
    .wavefront_size: 64
  - .agpr_count:     0
    .args:
      - .offset:         0
        .size:           128
        .value_kind:     by_value
    .group_segment_fixed_size: 0
    .kernarg_segment_align: 8
    .kernarg_segment_size: 128
    .language:       OpenCL C
    .language_version:
      - 2
      - 0
    .max_flat_workgroup_size: 128
    .name:           _ZN7rocprim17ROCPRIM_400000_NS6detail17trampoline_kernelINS0_14default_configENS1_25partition_config_selectorILNS1_17partition_subalgoE2EiNS0_10empty_typeEbEEZZNS1_14partition_implILS5_2ELb0ES3_jN6thrust23THRUST_200600_302600_NS6detail15normal_iteratorINSA_7pointerIiNSA_11hip_rocprim3tagENSA_11use_defaultESG_EEEEPS6_NSA_18transform_iteratorINSA_8identityIiEENSC_INSA_10device_ptrIiEEEESG_SG_EENS0_5tupleIJPiSJ_EEENSR_IJSJ_SJ_EEES6_PlJS6_EEE10hipError_tPvRmT3_T4_T5_T6_T7_T9_mT8_P12ihipStream_tbDpT10_ENKUlT_T0_E_clISt17integral_constantIbLb0EES1F_EEDaS1A_S1B_EUlS1A_E_NS1_11comp_targetILNS1_3genE0ELNS1_11target_archE4294967295ELNS1_3gpuE0ELNS1_3repE0EEENS1_30default_config_static_selectorELNS0_4arch9wavefront6targetE1EEEvT1_
    .private_segment_fixed_size: 0
    .sgpr_count:     6
    .sgpr_spill_count: 0
    .symbol:         _ZN7rocprim17ROCPRIM_400000_NS6detail17trampoline_kernelINS0_14default_configENS1_25partition_config_selectorILNS1_17partition_subalgoE2EiNS0_10empty_typeEbEEZZNS1_14partition_implILS5_2ELb0ES3_jN6thrust23THRUST_200600_302600_NS6detail15normal_iteratorINSA_7pointerIiNSA_11hip_rocprim3tagENSA_11use_defaultESG_EEEEPS6_NSA_18transform_iteratorINSA_8identityIiEENSC_INSA_10device_ptrIiEEEESG_SG_EENS0_5tupleIJPiSJ_EEENSR_IJSJ_SJ_EEES6_PlJS6_EEE10hipError_tPvRmT3_T4_T5_T6_T7_T9_mT8_P12ihipStream_tbDpT10_ENKUlT_T0_E_clISt17integral_constantIbLb0EES1F_EEDaS1A_S1B_EUlS1A_E_NS1_11comp_targetILNS1_3genE0ELNS1_11target_archE4294967295ELNS1_3gpuE0ELNS1_3repE0EEENS1_30default_config_static_selectorELNS0_4arch9wavefront6targetE1EEEvT1_.kd
    .uniform_work_group_size: 1
    .uses_dynamic_stack: false
    .vgpr_count:     0
    .vgpr_spill_count: 0
    .wavefront_size: 64
  - .agpr_count:     0
    .args:
      - .offset:         0
        .size:           128
        .value_kind:     by_value
    .group_segment_fixed_size: 30728
    .kernarg_segment_align: 8
    .kernarg_segment_size: 128
    .language:       OpenCL C
    .language_version:
      - 2
      - 0
    .max_flat_workgroup_size: 512
    .name:           _ZN7rocprim17ROCPRIM_400000_NS6detail17trampoline_kernelINS0_14default_configENS1_25partition_config_selectorILNS1_17partition_subalgoE2EiNS0_10empty_typeEbEEZZNS1_14partition_implILS5_2ELb0ES3_jN6thrust23THRUST_200600_302600_NS6detail15normal_iteratorINSA_7pointerIiNSA_11hip_rocprim3tagENSA_11use_defaultESG_EEEEPS6_NSA_18transform_iteratorINSA_8identityIiEENSC_INSA_10device_ptrIiEEEESG_SG_EENS0_5tupleIJPiSJ_EEENSR_IJSJ_SJ_EEES6_PlJS6_EEE10hipError_tPvRmT3_T4_T5_T6_T7_T9_mT8_P12ihipStream_tbDpT10_ENKUlT_T0_E_clISt17integral_constantIbLb0EES1F_EEDaS1A_S1B_EUlS1A_E_NS1_11comp_targetILNS1_3genE5ELNS1_11target_archE942ELNS1_3gpuE9ELNS1_3repE0EEENS1_30default_config_static_selectorELNS0_4arch9wavefront6targetE1EEEvT1_
    .private_segment_fixed_size: 0
    .sgpr_count:     52
    .sgpr_spill_count: 0
    .symbol:         _ZN7rocprim17ROCPRIM_400000_NS6detail17trampoline_kernelINS0_14default_configENS1_25partition_config_selectorILNS1_17partition_subalgoE2EiNS0_10empty_typeEbEEZZNS1_14partition_implILS5_2ELb0ES3_jN6thrust23THRUST_200600_302600_NS6detail15normal_iteratorINSA_7pointerIiNSA_11hip_rocprim3tagENSA_11use_defaultESG_EEEEPS6_NSA_18transform_iteratorINSA_8identityIiEENSC_INSA_10device_ptrIiEEEESG_SG_EENS0_5tupleIJPiSJ_EEENSR_IJSJ_SJ_EEES6_PlJS6_EEE10hipError_tPvRmT3_T4_T5_T6_T7_T9_mT8_P12ihipStream_tbDpT10_ENKUlT_T0_E_clISt17integral_constantIbLb0EES1F_EEDaS1A_S1B_EUlS1A_E_NS1_11comp_targetILNS1_3genE5ELNS1_11target_archE942ELNS1_3gpuE9ELNS1_3repE0EEENS1_30default_config_static_selectorELNS0_4arch9wavefront6targetE1EEEvT1_.kd
    .uniform_work_group_size: 1
    .uses_dynamic_stack: false
    .vgpr_count:     65
    .vgpr_spill_count: 0
    .wavefront_size: 64
  - .agpr_count:     0
    .args:
      - .offset:         0
        .size:           128
        .value_kind:     by_value
    .group_segment_fixed_size: 0
    .kernarg_segment_align: 8
    .kernarg_segment_size: 128
    .language:       OpenCL C
    .language_version:
      - 2
      - 0
    .max_flat_workgroup_size: 256
    .name:           _ZN7rocprim17ROCPRIM_400000_NS6detail17trampoline_kernelINS0_14default_configENS1_25partition_config_selectorILNS1_17partition_subalgoE2EiNS0_10empty_typeEbEEZZNS1_14partition_implILS5_2ELb0ES3_jN6thrust23THRUST_200600_302600_NS6detail15normal_iteratorINSA_7pointerIiNSA_11hip_rocprim3tagENSA_11use_defaultESG_EEEEPS6_NSA_18transform_iteratorINSA_8identityIiEENSC_INSA_10device_ptrIiEEEESG_SG_EENS0_5tupleIJPiSJ_EEENSR_IJSJ_SJ_EEES6_PlJS6_EEE10hipError_tPvRmT3_T4_T5_T6_T7_T9_mT8_P12ihipStream_tbDpT10_ENKUlT_T0_E_clISt17integral_constantIbLb0EES1F_EEDaS1A_S1B_EUlS1A_E_NS1_11comp_targetILNS1_3genE4ELNS1_11target_archE910ELNS1_3gpuE8ELNS1_3repE0EEENS1_30default_config_static_selectorELNS0_4arch9wavefront6targetE1EEEvT1_
    .private_segment_fixed_size: 0
    .sgpr_count:     6
    .sgpr_spill_count: 0
    .symbol:         _ZN7rocprim17ROCPRIM_400000_NS6detail17trampoline_kernelINS0_14default_configENS1_25partition_config_selectorILNS1_17partition_subalgoE2EiNS0_10empty_typeEbEEZZNS1_14partition_implILS5_2ELb0ES3_jN6thrust23THRUST_200600_302600_NS6detail15normal_iteratorINSA_7pointerIiNSA_11hip_rocprim3tagENSA_11use_defaultESG_EEEEPS6_NSA_18transform_iteratorINSA_8identityIiEENSC_INSA_10device_ptrIiEEEESG_SG_EENS0_5tupleIJPiSJ_EEENSR_IJSJ_SJ_EEES6_PlJS6_EEE10hipError_tPvRmT3_T4_T5_T6_T7_T9_mT8_P12ihipStream_tbDpT10_ENKUlT_T0_E_clISt17integral_constantIbLb0EES1F_EEDaS1A_S1B_EUlS1A_E_NS1_11comp_targetILNS1_3genE4ELNS1_11target_archE910ELNS1_3gpuE8ELNS1_3repE0EEENS1_30default_config_static_selectorELNS0_4arch9wavefront6targetE1EEEvT1_.kd
    .uniform_work_group_size: 1
    .uses_dynamic_stack: false
    .vgpr_count:     0
    .vgpr_spill_count: 0
    .wavefront_size: 64
  - .agpr_count:     0
    .args:
      - .offset:         0
        .size:           128
        .value_kind:     by_value
    .group_segment_fixed_size: 0
    .kernarg_segment_align: 8
    .kernarg_segment_size: 128
    .language:       OpenCL C
    .language_version:
      - 2
      - 0
    .max_flat_workgroup_size: 128
    .name:           _ZN7rocprim17ROCPRIM_400000_NS6detail17trampoline_kernelINS0_14default_configENS1_25partition_config_selectorILNS1_17partition_subalgoE2EiNS0_10empty_typeEbEEZZNS1_14partition_implILS5_2ELb0ES3_jN6thrust23THRUST_200600_302600_NS6detail15normal_iteratorINSA_7pointerIiNSA_11hip_rocprim3tagENSA_11use_defaultESG_EEEEPS6_NSA_18transform_iteratorINSA_8identityIiEENSC_INSA_10device_ptrIiEEEESG_SG_EENS0_5tupleIJPiSJ_EEENSR_IJSJ_SJ_EEES6_PlJS6_EEE10hipError_tPvRmT3_T4_T5_T6_T7_T9_mT8_P12ihipStream_tbDpT10_ENKUlT_T0_E_clISt17integral_constantIbLb0EES1F_EEDaS1A_S1B_EUlS1A_E_NS1_11comp_targetILNS1_3genE3ELNS1_11target_archE908ELNS1_3gpuE7ELNS1_3repE0EEENS1_30default_config_static_selectorELNS0_4arch9wavefront6targetE1EEEvT1_
    .private_segment_fixed_size: 0
    .sgpr_count:     6
    .sgpr_spill_count: 0
    .symbol:         _ZN7rocprim17ROCPRIM_400000_NS6detail17trampoline_kernelINS0_14default_configENS1_25partition_config_selectorILNS1_17partition_subalgoE2EiNS0_10empty_typeEbEEZZNS1_14partition_implILS5_2ELb0ES3_jN6thrust23THRUST_200600_302600_NS6detail15normal_iteratorINSA_7pointerIiNSA_11hip_rocprim3tagENSA_11use_defaultESG_EEEEPS6_NSA_18transform_iteratorINSA_8identityIiEENSC_INSA_10device_ptrIiEEEESG_SG_EENS0_5tupleIJPiSJ_EEENSR_IJSJ_SJ_EEES6_PlJS6_EEE10hipError_tPvRmT3_T4_T5_T6_T7_T9_mT8_P12ihipStream_tbDpT10_ENKUlT_T0_E_clISt17integral_constantIbLb0EES1F_EEDaS1A_S1B_EUlS1A_E_NS1_11comp_targetILNS1_3genE3ELNS1_11target_archE908ELNS1_3gpuE7ELNS1_3repE0EEENS1_30default_config_static_selectorELNS0_4arch9wavefront6targetE1EEEvT1_.kd
    .uniform_work_group_size: 1
    .uses_dynamic_stack: false
    .vgpr_count:     0
    .vgpr_spill_count: 0
    .wavefront_size: 64
  - .agpr_count:     0
    .args:
      - .offset:         0
        .size:           128
        .value_kind:     by_value
    .group_segment_fixed_size: 0
    .kernarg_segment_align: 8
    .kernarg_segment_size: 128
    .language:       OpenCL C
    .language_version:
      - 2
      - 0
    .max_flat_workgroup_size: 256
    .name:           _ZN7rocprim17ROCPRIM_400000_NS6detail17trampoline_kernelINS0_14default_configENS1_25partition_config_selectorILNS1_17partition_subalgoE2EiNS0_10empty_typeEbEEZZNS1_14partition_implILS5_2ELb0ES3_jN6thrust23THRUST_200600_302600_NS6detail15normal_iteratorINSA_7pointerIiNSA_11hip_rocprim3tagENSA_11use_defaultESG_EEEEPS6_NSA_18transform_iteratorINSA_8identityIiEENSC_INSA_10device_ptrIiEEEESG_SG_EENS0_5tupleIJPiSJ_EEENSR_IJSJ_SJ_EEES6_PlJS6_EEE10hipError_tPvRmT3_T4_T5_T6_T7_T9_mT8_P12ihipStream_tbDpT10_ENKUlT_T0_E_clISt17integral_constantIbLb0EES1F_EEDaS1A_S1B_EUlS1A_E_NS1_11comp_targetILNS1_3genE2ELNS1_11target_archE906ELNS1_3gpuE6ELNS1_3repE0EEENS1_30default_config_static_selectorELNS0_4arch9wavefront6targetE1EEEvT1_
    .private_segment_fixed_size: 0
    .sgpr_count:     6
    .sgpr_spill_count: 0
    .symbol:         _ZN7rocprim17ROCPRIM_400000_NS6detail17trampoline_kernelINS0_14default_configENS1_25partition_config_selectorILNS1_17partition_subalgoE2EiNS0_10empty_typeEbEEZZNS1_14partition_implILS5_2ELb0ES3_jN6thrust23THRUST_200600_302600_NS6detail15normal_iteratorINSA_7pointerIiNSA_11hip_rocprim3tagENSA_11use_defaultESG_EEEEPS6_NSA_18transform_iteratorINSA_8identityIiEENSC_INSA_10device_ptrIiEEEESG_SG_EENS0_5tupleIJPiSJ_EEENSR_IJSJ_SJ_EEES6_PlJS6_EEE10hipError_tPvRmT3_T4_T5_T6_T7_T9_mT8_P12ihipStream_tbDpT10_ENKUlT_T0_E_clISt17integral_constantIbLb0EES1F_EEDaS1A_S1B_EUlS1A_E_NS1_11comp_targetILNS1_3genE2ELNS1_11target_archE906ELNS1_3gpuE6ELNS1_3repE0EEENS1_30default_config_static_selectorELNS0_4arch9wavefront6targetE1EEEvT1_.kd
    .uniform_work_group_size: 1
    .uses_dynamic_stack: false
    .vgpr_count:     0
    .vgpr_spill_count: 0
    .wavefront_size: 64
  - .agpr_count:     0
    .args:
      - .offset:         0
        .size:           128
        .value_kind:     by_value
    .group_segment_fixed_size: 0
    .kernarg_segment_align: 8
    .kernarg_segment_size: 128
    .language:       OpenCL C
    .language_version:
      - 2
      - 0
    .max_flat_workgroup_size: 384
    .name:           _ZN7rocprim17ROCPRIM_400000_NS6detail17trampoline_kernelINS0_14default_configENS1_25partition_config_selectorILNS1_17partition_subalgoE2EiNS0_10empty_typeEbEEZZNS1_14partition_implILS5_2ELb0ES3_jN6thrust23THRUST_200600_302600_NS6detail15normal_iteratorINSA_7pointerIiNSA_11hip_rocprim3tagENSA_11use_defaultESG_EEEEPS6_NSA_18transform_iteratorINSA_8identityIiEENSC_INSA_10device_ptrIiEEEESG_SG_EENS0_5tupleIJPiSJ_EEENSR_IJSJ_SJ_EEES6_PlJS6_EEE10hipError_tPvRmT3_T4_T5_T6_T7_T9_mT8_P12ihipStream_tbDpT10_ENKUlT_T0_E_clISt17integral_constantIbLb0EES1F_EEDaS1A_S1B_EUlS1A_E_NS1_11comp_targetILNS1_3genE10ELNS1_11target_archE1200ELNS1_3gpuE4ELNS1_3repE0EEENS1_30default_config_static_selectorELNS0_4arch9wavefront6targetE1EEEvT1_
    .private_segment_fixed_size: 0
    .sgpr_count:     6
    .sgpr_spill_count: 0
    .symbol:         _ZN7rocprim17ROCPRIM_400000_NS6detail17trampoline_kernelINS0_14default_configENS1_25partition_config_selectorILNS1_17partition_subalgoE2EiNS0_10empty_typeEbEEZZNS1_14partition_implILS5_2ELb0ES3_jN6thrust23THRUST_200600_302600_NS6detail15normal_iteratorINSA_7pointerIiNSA_11hip_rocprim3tagENSA_11use_defaultESG_EEEEPS6_NSA_18transform_iteratorINSA_8identityIiEENSC_INSA_10device_ptrIiEEEESG_SG_EENS0_5tupleIJPiSJ_EEENSR_IJSJ_SJ_EEES6_PlJS6_EEE10hipError_tPvRmT3_T4_T5_T6_T7_T9_mT8_P12ihipStream_tbDpT10_ENKUlT_T0_E_clISt17integral_constantIbLb0EES1F_EEDaS1A_S1B_EUlS1A_E_NS1_11comp_targetILNS1_3genE10ELNS1_11target_archE1200ELNS1_3gpuE4ELNS1_3repE0EEENS1_30default_config_static_selectorELNS0_4arch9wavefront6targetE1EEEvT1_.kd
    .uniform_work_group_size: 1
    .uses_dynamic_stack: false
    .vgpr_count:     0
    .vgpr_spill_count: 0
    .wavefront_size: 64
  - .agpr_count:     0
    .args:
      - .offset:         0
        .size:           128
        .value_kind:     by_value
    .group_segment_fixed_size: 0
    .kernarg_segment_align: 8
    .kernarg_segment_size: 128
    .language:       OpenCL C
    .language_version:
      - 2
      - 0
    .max_flat_workgroup_size: 128
    .name:           _ZN7rocprim17ROCPRIM_400000_NS6detail17trampoline_kernelINS0_14default_configENS1_25partition_config_selectorILNS1_17partition_subalgoE2EiNS0_10empty_typeEbEEZZNS1_14partition_implILS5_2ELb0ES3_jN6thrust23THRUST_200600_302600_NS6detail15normal_iteratorINSA_7pointerIiNSA_11hip_rocprim3tagENSA_11use_defaultESG_EEEEPS6_NSA_18transform_iteratorINSA_8identityIiEENSC_INSA_10device_ptrIiEEEESG_SG_EENS0_5tupleIJPiSJ_EEENSR_IJSJ_SJ_EEES6_PlJS6_EEE10hipError_tPvRmT3_T4_T5_T6_T7_T9_mT8_P12ihipStream_tbDpT10_ENKUlT_T0_E_clISt17integral_constantIbLb0EES1F_EEDaS1A_S1B_EUlS1A_E_NS1_11comp_targetILNS1_3genE9ELNS1_11target_archE1100ELNS1_3gpuE3ELNS1_3repE0EEENS1_30default_config_static_selectorELNS0_4arch9wavefront6targetE1EEEvT1_
    .private_segment_fixed_size: 0
    .sgpr_count:     6
    .sgpr_spill_count: 0
    .symbol:         _ZN7rocprim17ROCPRIM_400000_NS6detail17trampoline_kernelINS0_14default_configENS1_25partition_config_selectorILNS1_17partition_subalgoE2EiNS0_10empty_typeEbEEZZNS1_14partition_implILS5_2ELb0ES3_jN6thrust23THRUST_200600_302600_NS6detail15normal_iteratorINSA_7pointerIiNSA_11hip_rocprim3tagENSA_11use_defaultESG_EEEEPS6_NSA_18transform_iteratorINSA_8identityIiEENSC_INSA_10device_ptrIiEEEESG_SG_EENS0_5tupleIJPiSJ_EEENSR_IJSJ_SJ_EEES6_PlJS6_EEE10hipError_tPvRmT3_T4_T5_T6_T7_T9_mT8_P12ihipStream_tbDpT10_ENKUlT_T0_E_clISt17integral_constantIbLb0EES1F_EEDaS1A_S1B_EUlS1A_E_NS1_11comp_targetILNS1_3genE9ELNS1_11target_archE1100ELNS1_3gpuE3ELNS1_3repE0EEENS1_30default_config_static_selectorELNS0_4arch9wavefront6targetE1EEEvT1_.kd
    .uniform_work_group_size: 1
    .uses_dynamic_stack: false
    .vgpr_count:     0
    .vgpr_spill_count: 0
    .wavefront_size: 64
  - .agpr_count:     0
    .args:
      - .offset:         0
        .size:           128
        .value_kind:     by_value
    .group_segment_fixed_size: 0
    .kernarg_segment_align: 8
    .kernarg_segment_size: 128
    .language:       OpenCL C
    .language_version:
      - 2
      - 0
    .max_flat_workgroup_size: 512
    .name:           _ZN7rocprim17ROCPRIM_400000_NS6detail17trampoline_kernelINS0_14default_configENS1_25partition_config_selectorILNS1_17partition_subalgoE2EiNS0_10empty_typeEbEEZZNS1_14partition_implILS5_2ELb0ES3_jN6thrust23THRUST_200600_302600_NS6detail15normal_iteratorINSA_7pointerIiNSA_11hip_rocprim3tagENSA_11use_defaultESG_EEEEPS6_NSA_18transform_iteratorINSA_8identityIiEENSC_INSA_10device_ptrIiEEEESG_SG_EENS0_5tupleIJPiSJ_EEENSR_IJSJ_SJ_EEES6_PlJS6_EEE10hipError_tPvRmT3_T4_T5_T6_T7_T9_mT8_P12ihipStream_tbDpT10_ENKUlT_T0_E_clISt17integral_constantIbLb0EES1F_EEDaS1A_S1B_EUlS1A_E_NS1_11comp_targetILNS1_3genE8ELNS1_11target_archE1030ELNS1_3gpuE2ELNS1_3repE0EEENS1_30default_config_static_selectorELNS0_4arch9wavefront6targetE1EEEvT1_
    .private_segment_fixed_size: 0
    .sgpr_count:     6
    .sgpr_spill_count: 0
    .symbol:         _ZN7rocprim17ROCPRIM_400000_NS6detail17trampoline_kernelINS0_14default_configENS1_25partition_config_selectorILNS1_17partition_subalgoE2EiNS0_10empty_typeEbEEZZNS1_14partition_implILS5_2ELb0ES3_jN6thrust23THRUST_200600_302600_NS6detail15normal_iteratorINSA_7pointerIiNSA_11hip_rocprim3tagENSA_11use_defaultESG_EEEEPS6_NSA_18transform_iteratorINSA_8identityIiEENSC_INSA_10device_ptrIiEEEESG_SG_EENS0_5tupleIJPiSJ_EEENSR_IJSJ_SJ_EEES6_PlJS6_EEE10hipError_tPvRmT3_T4_T5_T6_T7_T9_mT8_P12ihipStream_tbDpT10_ENKUlT_T0_E_clISt17integral_constantIbLb0EES1F_EEDaS1A_S1B_EUlS1A_E_NS1_11comp_targetILNS1_3genE8ELNS1_11target_archE1030ELNS1_3gpuE2ELNS1_3repE0EEENS1_30default_config_static_selectorELNS0_4arch9wavefront6targetE1EEEvT1_.kd
    .uniform_work_group_size: 1
    .uses_dynamic_stack: false
    .vgpr_count:     0
    .vgpr_spill_count: 0
    .wavefront_size: 64
  - .agpr_count:     0
    .args:
      - .offset:         0
        .size:           144
        .value_kind:     by_value
    .group_segment_fixed_size: 0
    .kernarg_segment_align: 8
    .kernarg_segment_size: 144
    .language:       OpenCL C
    .language_version:
      - 2
      - 0
    .max_flat_workgroup_size: 128
    .name:           _ZN7rocprim17ROCPRIM_400000_NS6detail17trampoline_kernelINS0_14default_configENS1_25partition_config_selectorILNS1_17partition_subalgoE2EiNS0_10empty_typeEbEEZZNS1_14partition_implILS5_2ELb0ES3_jN6thrust23THRUST_200600_302600_NS6detail15normal_iteratorINSA_7pointerIiNSA_11hip_rocprim3tagENSA_11use_defaultESG_EEEEPS6_NSA_18transform_iteratorINSA_8identityIiEENSC_INSA_10device_ptrIiEEEESG_SG_EENS0_5tupleIJPiSJ_EEENSR_IJSJ_SJ_EEES6_PlJS6_EEE10hipError_tPvRmT3_T4_T5_T6_T7_T9_mT8_P12ihipStream_tbDpT10_ENKUlT_T0_E_clISt17integral_constantIbLb1EES1F_EEDaS1A_S1B_EUlS1A_E_NS1_11comp_targetILNS1_3genE0ELNS1_11target_archE4294967295ELNS1_3gpuE0ELNS1_3repE0EEENS1_30default_config_static_selectorELNS0_4arch9wavefront6targetE1EEEvT1_
    .private_segment_fixed_size: 0
    .sgpr_count:     6
    .sgpr_spill_count: 0
    .symbol:         _ZN7rocprim17ROCPRIM_400000_NS6detail17trampoline_kernelINS0_14default_configENS1_25partition_config_selectorILNS1_17partition_subalgoE2EiNS0_10empty_typeEbEEZZNS1_14partition_implILS5_2ELb0ES3_jN6thrust23THRUST_200600_302600_NS6detail15normal_iteratorINSA_7pointerIiNSA_11hip_rocprim3tagENSA_11use_defaultESG_EEEEPS6_NSA_18transform_iteratorINSA_8identityIiEENSC_INSA_10device_ptrIiEEEESG_SG_EENS0_5tupleIJPiSJ_EEENSR_IJSJ_SJ_EEES6_PlJS6_EEE10hipError_tPvRmT3_T4_T5_T6_T7_T9_mT8_P12ihipStream_tbDpT10_ENKUlT_T0_E_clISt17integral_constantIbLb1EES1F_EEDaS1A_S1B_EUlS1A_E_NS1_11comp_targetILNS1_3genE0ELNS1_11target_archE4294967295ELNS1_3gpuE0ELNS1_3repE0EEENS1_30default_config_static_selectorELNS0_4arch9wavefront6targetE1EEEvT1_.kd
    .uniform_work_group_size: 1
    .uses_dynamic_stack: false
    .vgpr_count:     0
    .vgpr_spill_count: 0
    .wavefront_size: 64
  - .agpr_count:     0
    .args:
      - .offset:         0
        .size:           144
        .value_kind:     by_value
    .group_segment_fixed_size: 30728
    .kernarg_segment_align: 8
    .kernarg_segment_size: 144
    .language:       OpenCL C
    .language_version:
      - 2
      - 0
    .max_flat_workgroup_size: 512
    .name:           _ZN7rocprim17ROCPRIM_400000_NS6detail17trampoline_kernelINS0_14default_configENS1_25partition_config_selectorILNS1_17partition_subalgoE2EiNS0_10empty_typeEbEEZZNS1_14partition_implILS5_2ELb0ES3_jN6thrust23THRUST_200600_302600_NS6detail15normal_iteratorINSA_7pointerIiNSA_11hip_rocprim3tagENSA_11use_defaultESG_EEEEPS6_NSA_18transform_iteratorINSA_8identityIiEENSC_INSA_10device_ptrIiEEEESG_SG_EENS0_5tupleIJPiSJ_EEENSR_IJSJ_SJ_EEES6_PlJS6_EEE10hipError_tPvRmT3_T4_T5_T6_T7_T9_mT8_P12ihipStream_tbDpT10_ENKUlT_T0_E_clISt17integral_constantIbLb1EES1F_EEDaS1A_S1B_EUlS1A_E_NS1_11comp_targetILNS1_3genE5ELNS1_11target_archE942ELNS1_3gpuE9ELNS1_3repE0EEENS1_30default_config_static_selectorELNS0_4arch9wavefront6targetE1EEEvT1_
    .private_segment_fixed_size: 0
    .sgpr_count:     52
    .sgpr_spill_count: 0
    .symbol:         _ZN7rocprim17ROCPRIM_400000_NS6detail17trampoline_kernelINS0_14default_configENS1_25partition_config_selectorILNS1_17partition_subalgoE2EiNS0_10empty_typeEbEEZZNS1_14partition_implILS5_2ELb0ES3_jN6thrust23THRUST_200600_302600_NS6detail15normal_iteratorINSA_7pointerIiNSA_11hip_rocprim3tagENSA_11use_defaultESG_EEEEPS6_NSA_18transform_iteratorINSA_8identityIiEENSC_INSA_10device_ptrIiEEEESG_SG_EENS0_5tupleIJPiSJ_EEENSR_IJSJ_SJ_EEES6_PlJS6_EEE10hipError_tPvRmT3_T4_T5_T6_T7_T9_mT8_P12ihipStream_tbDpT10_ENKUlT_T0_E_clISt17integral_constantIbLb1EES1F_EEDaS1A_S1B_EUlS1A_E_NS1_11comp_targetILNS1_3genE5ELNS1_11target_archE942ELNS1_3gpuE9ELNS1_3repE0EEENS1_30default_config_static_selectorELNS0_4arch9wavefront6targetE1EEEvT1_.kd
    .uniform_work_group_size: 1
    .uses_dynamic_stack: false
    .vgpr_count:     67
    .vgpr_spill_count: 0
    .wavefront_size: 64
  - .agpr_count:     0
    .args:
      - .offset:         0
        .size:           144
        .value_kind:     by_value
    .group_segment_fixed_size: 0
    .kernarg_segment_align: 8
    .kernarg_segment_size: 144
    .language:       OpenCL C
    .language_version:
      - 2
      - 0
    .max_flat_workgroup_size: 256
    .name:           _ZN7rocprim17ROCPRIM_400000_NS6detail17trampoline_kernelINS0_14default_configENS1_25partition_config_selectorILNS1_17partition_subalgoE2EiNS0_10empty_typeEbEEZZNS1_14partition_implILS5_2ELb0ES3_jN6thrust23THRUST_200600_302600_NS6detail15normal_iteratorINSA_7pointerIiNSA_11hip_rocprim3tagENSA_11use_defaultESG_EEEEPS6_NSA_18transform_iteratorINSA_8identityIiEENSC_INSA_10device_ptrIiEEEESG_SG_EENS0_5tupleIJPiSJ_EEENSR_IJSJ_SJ_EEES6_PlJS6_EEE10hipError_tPvRmT3_T4_T5_T6_T7_T9_mT8_P12ihipStream_tbDpT10_ENKUlT_T0_E_clISt17integral_constantIbLb1EES1F_EEDaS1A_S1B_EUlS1A_E_NS1_11comp_targetILNS1_3genE4ELNS1_11target_archE910ELNS1_3gpuE8ELNS1_3repE0EEENS1_30default_config_static_selectorELNS0_4arch9wavefront6targetE1EEEvT1_
    .private_segment_fixed_size: 0
    .sgpr_count:     6
    .sgpr_spill_count: 0
    .symbol:         _ZN7rocprim17ROCPRIM_400000_NS6detail17trampoline_kernelINS0_14default_configENS1_25partition_config_selectorILNS1_17partition_subalgoE2EiNS0_10empty_typeEbEEZZNS1_14partition_implILS5_2ELb0ES3_jN6thrust23THRUST_200600_302600_NS6detail15normal_iteratorINSA_7pointerIiNSA_11hip_rocprim3tagENSA_11use_defaultESG_EEEEPS6_NSA_18transform_iteratorINSA_8identityIiEENSC_INSA_10device_ptrIiEEEESG_SG_EENS0_5tupleIJPiSJ_EEENSR_IJSJ_SJ_EEES6_PlJS6_EEE10hipError_tPvRmT3_T4_T5_T6_T7_T9_mT8_P12ihipStream_tbDpT10_ENKUlT_T0_E_clISt17integral_constantIbLb1EES1F_EEDaS1A_S1B_EUlS1A_E_NS1_11comp_targetILNS1_3genE4ELNS1_11target_archE910ELNS1_3gpuE8ELNS1_3repE0EEENS1_30default_config_static_selectorELNS0_4arch9wavefront6targetE1EEEvT1_.kd
    .uniform_work_group_size: 1
    .uses_dynamic_stack: false
    .vgpr_count:     0
    .vgpr_spill_count: 0
    .wavefront_size: 64
  - .agpr_count:     0
    .args:
      - .offset:         0
        .size:           144
        .value_kind:     by_value
    .group_segment_fixed_size: 0
    .kernarg_segment_align: 8
    .kernarg_segment_size: 144
    .language:       OpenCL C
    .language_version:
      - 2
      - 0
    .max_flat_workgroup_size: 128
    .name:           _ZN7rocprim17ROCPRIM_400000_NS6detail17trampoline_kernelINS0_14default_configENS1_25partition_config_selectorILNS1_17partition_subalgoE2EiNS0_10empty_typeEbEEZZNS1_14partition_implILS5_2ELb0ES3_jN6thrust23THRUST_200600_302600_NS6detail15normal_iteratorINSA_7pointerIiNSA_11hip_rocprim3tagENSA_11use_defaultESG_EEEEPS6_NSA_18transform_iteratorINSA_8identityIiEENSC_INSA_10device_ptrIiEEEESG_SG_EENS0_5tupleIJPiSJ_EEENSR_IJSJ_SJ_EEES6_PlJS6_EEE10hipError_tPvRmT3_T4_T5_T6_T7_T9_mT8_P12ihipStream_tbDpT10_ENKUlT_T0_E_clISt17integral_constantIbLb1EES1F_EEDaS1A_S1B_EUlS1A_E_NS1_11comp_targetILNS1_3genE3ELNS1_11target_archE908ELNS1_3gpuE7ELNS1_3repE0EEENS1_30default_config_static_selectorELNS0_4arch9wavefront6targetE1EEEvT1_
    .private_segment_fixed_size: 0
    .sgpr_count:     6
    .sgpr_spill_count: 0
    .symbol:         _ZN7rocprim17ROCPRIM_400000_NS6detail17trampoline_kernelINS0_14default_configENS1_25partition_config_selectorILNS1_17partition_subalgoE2EiNS0_10empty_typeEbEEZZNS1_14partition_implILS5_2ELb0ES3_jN6thrust23THRUST_200600_302600_NS6detail15normal_iteratorINSA_7pointerIiNSA_11hip_rocprim3tagENSA_11use_defaultESG_EEEEPS6_NSA_18transform_iteratorINSA_8identityIiEENSC_INSA_10device_ptrIiEEEESG_SG_EENS0_5tupleIJPiSJ_EEENSR_IJSJ_SJ_EEES6_PlJS6_EEE10hipError_tPvRmT3_T4_T5_T6_T7_T9_mT8_P12ihipStream_tbDpT10_ENKUlT_T0_E_clISt17integral_constantIbLb1EES1F_EEDaS1A_S1B_EUlS1A_E_NS1_11comp_targetILNS1_3genE3ELNS1_11target_archE908ELNS1_3gpuE7ELNS1_3repE0EEENS1_30default_config_static_selectorELNS0_4arch9wavefront6targetE1EEEvT1_.kd
    .uniform_work_group_size: 1
    .uses_dynamic_stack: false
    .vgpr_count:     0
    .vgpr_spill_count: 0
    .wavefront_size: 64
  - .agpr_count:     0
    .args:
      - .offset:         0
        .size:           144
        .value_kind:     by_value
    .group_segment_fixed_size: 0
    .kernarg_segment_align: 8
    .kernarg_segment_size: 144
    .language:       OpenCL C
    .language_version:
      - 2
      - 0
    .max_flat_workgroup_size: 256
    .name:           _ZN7rocprim17ROCPRIM_400000_NS6detail17trampoline_kernelINS0_14default_configENS1_25partition_config_selectorILNS1_17partition_subalgoE2EiNS0_10empty_typeEbEEZZNS1_14partition_implILS5_2ELb0ES3_jN6thrust23THRUST_200600_302600_NS6detail15normal_iteratorINSA_7pointerIiNSA_11hip_rocprim3tagENSA_11use_defaultESG_EEEEPS6_NSA_18transform_iteratorINSA_8identityIiEENSC_INSA_10device_ptrIiEEEESG_SG_EENS0_5tupleIJPiSJ_EEENSR_IJSJ_SJ_EEES6_PlJS6_EEE10hipError_tPvRmT3_T4_T5_T6_T7_T9_mT8_P12ihipStream_tbDpT10_ENKUlT_T0_E_clISt17integral_constantIbLb1EES1F_EEDaS1A_S1B_EUlS1A_E_NS1_11comp_targetILNS1_3genE2ELNS1_11target_archE906ELNS1_3gpuE6ELNS1_3repE0EEENS1_30default_config_static_selectorELNS0_4arch9wavefront6targetE1EEEvT1_
    .private_segment_fixed_size: 0
    .sgpr_count:     6
    .sgpr_spill_count: 0
    .symbol:         _ZN7rocprim17ROCPRIM_400000_NS6detail17trampoline_kernelINS0_14default_configENS1_25partition_config_selectorILNS1_17partition_subalgoE2EiNS0_10empty_typeEbEEZZNS1_14partition_implILS5_2ELb0ES3_jN6thrust23THRUST_200600_302600_NS6detail15normal_iteratorINSA_7pointerIiNSA_11hip_rocprim3tagENSA_11use_defaultESG_EEEEPS6_NSA_18transform_iteratorINSA_8identityIiEENSC_INSA_10device_ptrIiEEEESG_SG_EENS0_5tupleIJPiSJ_EEENSR_IJSJ_SJ_EEES6_PlJS6_EEE10hipError_tPvRmT3_T4_T5_T6_T7_T9_mT8_P12ihipStream_tbDpT10_ENKUlT_T0_E_clISt17integral_constantIbLb1EES1F_EEDaS1A_S1B_EUlS1A_E_NS1_11comp_targetILNS1_3genE2ELNS1_11target_archE906ELNS1_3gpuE6ELNS1_3repE0EEENS1_30default_config_static_selectorELNS0_4arch9wavefront6targetE1EEEvT1_.kd
    .uniform_work_group_size: 1
    .uses_dynamic_stack: false
    .vgpr_count:     0
    .vgpr_spill_count: 0
    .wavefront_size: 64
  - .agpr_count:     0
    .args:
      - .offset:         0
        .size:           144
        .value_kind:     by_value
    .group_segment_fixed_size: 0
    .kernarg_segment_align: 8
    .kernarg_segment_size: 144
    .language:       OpenCL C
    .language_version:
      - 2
      - 0
    .max_flat_workgroup_size: 384
    .name:           _ZN7rocprim17ROCPRIM_400000_NS6detail17trampoline_kernelINS0_14default_configENS1_25partition_config_selectorILNS1_17partition_subalgoE2EiNS0_10empty_typeEbEEZZNS1_14partition_implILS5_2ELb0ES3_jN6thrust23THRUST_200600_302600_NS6detail15normal_iteratorINSA_7pointerIiNSA_11hip_rocprim3tagENSA_11use_defaultESG_EEEEPS6_NSA_18transform_iteratorINSA_8identityIiEENSC_INSA_10device_ptrIiEEEESG_SG_EENS0_5tupleIJPiSJ_EEENSR_IJSJ_SJ_EEES6_PlJS6_EEE10hipError_tPvRmT3_T4_T5_T6_T7_T9_mT8_P12ihipStream_tbDpT10_ENKUlT_T0_E_clISt17integral_constantIbLb1EES1F_EEDaS1A_S1B_EUlS1A_E_NS1_11comp_targetILNS1_3genE10ELNS1_11target_archE1200ELNS1_3gpuE4ELNS1_3repE0EEENS1_30default_config_static_selectorELNS0_4arch9wavefront6targetE1EEEvT1_
    .private_segment_fixed_size: 0
    .sgpr_count:     6
    .sgpr_spill_count: 0
    .symbol:         _ZN7rocprim17ROCPRIM_400000_NS6detail17trampoline_kernelINS0_14default_configENS1_25partition_config_selectorILNS1_17partition_subalgoE2EiNS0_10empty_typeEbEEZZNS1_14partition_implILS5_2ELb0ES3_jN6thrust23THRUST_200600_302600_NS6detail15normal_iteratorINSA_7pointerIiNSA_11hip_rocprim3tagENSA_11use_defaultESG_EEEEPS6_NSA_18transform_iteratorINSA_8identityIiEENSC_INSA_10device_ptrIiEEEESG_SG_EENS0_5tupleIJPiSJ_EEENSR_IJSJ_SJ_EEES6_PlJS6_EEE10hipError_tPvRmT3_T4_T5_T6_T7_T9_mT8_P12ihipStream_tbDpT10_ENKUlT_T0_E_clISt17integral_constantIbLb1EES1F_EEDaS1A_S1B_EUlS1A_E_NS1_11comp_targetILNS1_3genE10ELNS1_11target_archE1200ELNS1_3gpuE4ELNS1_3repE0EEENS1_30default_config_static_selectorELNS0_4arch9wavefront6targetE1EEEvT1_.kd
    .uniform_work_group_size: 1
    .uses_dynamic_stack: false
    .vgpr_count:     0
    .vgpr_spill_count: 0
    .wavefront_size: 64
  - .agpr_count:     0
    .args:
      - .offset:         0
        .size:           144
        .value_kind:     by_value
    .group_segment_fixed_size: 0
    .kernarg_segment_align: 8
    .kernarg_segment_size: 144
    .language:       OpenCL C
    .language_version:
      - 2
      - 0
    .max_flat_workgroup_size: 128
    .name:           _ZN7rocprim17ROCPRIM_400000_NS6detail17trampoline_kernelINS0_14default_configENS1_25partition_config_selectorILNS1_17partition_subalgoE2EiNS0_10empty_typeEbEEZZNS1_14partition_implILS5_2ELb0ES3_jN6thrust23THRUST_200600_302600_NS6detail15normal_iteratorINSA_7pointerIiNSA_11hip_rocprim3tagENSA_11use_defaultESG_EEEEPS6_NSA_18transform_iteratorINSA_8identityIiEENSC_INSA_10device_ptrIiEEEESG_SG_EENS0_5tupleIJPiSJ_EEENSR_IJSJ_SJ_EEES6_PlJS6_EEE10hipError_tPvRmT3_T4_T5_T6_T7_T9_mT8_P12ihipStream_tbDpT10_ENKUlT_T0_E_clISt17integral_constantIbLb1EES1F_EEDaS1A_S1B_EUlS1A_E_NS1_11comp_targetILNS1_3genE9ELNS1_11target_archE1100ELNS1_3gpuE3ELNS1_3repE0EEENS1_30default_config_static_selectorELNS0_4arch9wavefront6targetE1EEEvT1_
    .private_segment_fixed_size: 0
    .sgpr_count:     6
    .sgpr_spill_count: 0
    .symbol:         _ZN7rocprim17ROCPRIM_400000_NS6detail17trampoline_kernelINS0_14default_configENS1_25partition_config_selectorILNS1_17partition_subalgoE2EiNS0_10empty_typeEbEEZZNS1_14partition_implILS5_2ELb0ES3_jN6thrust23THRUST_200600_302600_NS6detail15normal_iteratorINSA_7pointerIiNSA_11hip_rocprim3tagENSA_11use_defaultESG_EEEEPS6_NSA_18transform_iteratorINSA_8identityIiEENSC_INSA_10device_ptrIiEEEESG_SG_EENS0_5tupleIJPiSJ_EEENSR_IJSJ_SJ_EEES6_PlJS6_EEE10hipError_tPvRmT3_T4_T5_T6_T7_T9_mT8_P12ihipStream_tbDpT10_ENKUlT_T0_E_clISt17integral_constantIbLb1EES1F_EEDaS1A_S1B_EUlS1A_E_NS1_11comp_targetILNS1_3genE9ELNS1_11target_archE1100ELNS1_3gpuE3ELNS1_3repE0EEENS1_30default_config_static_selectorELNS0_4arch9wavefront6targetE1EEEvT1_.kd
    .uniform_work_group_size: 1
    .uses_dynamic_stack: false
    .vgpr_count:     0
    .vgpr_spill_count: 0
    .wavefront_size: 64
  - .agpr_count:     0
    .args:
      - .offset:         0
        .size:           144
        .value_kind:     by_value
    .group_segment_fixed_size: 0
    .kernarg_segment_align: 8
    .kernarg_segment_size: 144
    .language:       OpenCL C
    .language_version:
      - 2
      - 0
    .max_flat_workgroup_size: 512
    .name:           _ZN7rocprim17ROCPRIM_400000_NS6detail17trampoline_kernelINS0_14default_configENS1_25partition_config_selectorILNS1_17partition_subalgoE2EiNS0_10empty_typeEbEEZZNS1_14partition_implILS5_2ELb0ES3_jN6thrust23THRUST_200600_302600_NS6detail15normal_iteratorINSA_7pointerIiNSA_11hip_rocprim3tagENSA_11use_defaultESG_EEEEPS6_NSA_18transform_iteratorINSA_8identityIiEENSC_INSA_10device_ptrIiEEEESG_SG_EENS0_5tupleIJPiSJ_EEENSR_IJSJ_SJ_EEES6_PlJS6_EEE10hipError_tPvRmT3_T4_T5_T6_T7_T9_mT8_P12ihipStream_tbDpT10_ENKUlT_T0_E_clISt17integral_constantIbLb1EES1F_EEDaS1A_S1B_EUlS1A_E_NS1_11comp_targetILNS1_3genE8ELNS1_11target_archE1030ELNS1_3gpuE2ELNS1_3repE0EEENS1_30default_config_static_selectorELNS0_4arch9wavefront6targetE1EEEvT1_
    .private_segment_fixed_size: 0
    .sgpr_count:     6
    .sgpr_spill_count: 0
    .symbol:         _ZN7rocprim17ROCPRIM_400000_NS6detail17trampoline_kernelINS0_14default_configENS1_25partition_config_selectorILNS1_17partition_subalgoE2EiNS0_10empty_typeEbEEZZNS1_14partition_implILS5_2ELb0ES3_jN6thrust23THRUST_200600_302600_NS6detail15normal_iteratorINSA_7pointerIiNSA_11hip_rocprim3tagENSA_11use_defaultESG_EEEEPS6_NSA_18transform_iteratorINSA_8identityIiEENSC_INSA_10device_ptrIiEEEESG_SG_EENS0_5tupleIJPiSJ_EEENSR_IJSJ_SJ_EEES6_PlJS6_EEE10hipError_tPvRmT3_T4_T5_T6_T7_T9_mT8_P12ihipStream_tbDpT10_ENKUlT_T0_E_clISt17integral_constantIbLb1EES1F_EEDaS1A_S1B_EUlS1A_E_NS1_11comp_targetILNS1_3genE8ELNS1_11target_archE1030ELNS1_3gpuE2ELNS1_3repE0EEENS1_30default_config_static_selectorELNS0_4arch9wavefront6targetE1EEEvT1_.kd
    .uniform_work_group_size: 1
    .uses_dynamic_stack: false
    .vgpr_count:     0
    .vgpr_spill_count: 0
    .wavefront_size: 64
  - .agpr_count:     0
    .args:
      - .offset:         0
        .size:           128
        .value_kind:     by_value
    .group_segment_fixed_size: 0
    .kernarg_segment_align: 8
    .kernarg_segment_size: 128
    .language:       OpenCL C
    .language_version:
      - 2
      - 0
    .max_flat_workgroup_size: 128
    .name:           _ZN7rocprim17ROCPRIM_400000_NS6detail17trampoline_kernelINS0_14default_configENS1_25partition_config_selectorILNS1_17partition_subalgoE2EiNS0_10empty_typeEbEEZZNS1_14partition_implILS5_2ELb0ES3_jN6thrust23THRUST_200600_302600_NS6detail15normal_iteratorINSA_7pointerIiNSA_11hip_rocprim3tagENSA_11use_defaultESG_EEEEPS6_NSA_18transform_iteratorINSA_8identityIiEENSC_INSA_10device_ptrIiEEEESG_SG_EENS0_5tupleIJPiSJ_EEENSR_IJSJ_SJ_EEES6_PlJS6_EEE10hipError_tPvRmT3_T4_T5_T6_T7_T9_mT8_P12ihipStream_tbDpT10_ENKUlT_T0_E_clISt17integral_constantIbLb1EES1E_IbLb0EEEEDaS1A_S1B_EUlS1A_E_NS1_11comp_targetILNS1_3genE0ELNS1_11target_archE4294967295ELNS1_3gpuE0ELNS1_3repE0EEENS1_30default_config_static_selectorELNS0_4arch9wavefront6targetE1EEEvT1_
    .private_segment_fixed_size: 0
    .sgpr_count:     6
    .sgpr_spill_count: 0
    .symbol:         _ZN7rocprim17ROCPRIM_400000_NS6detail17trampoline_kernelINS0_14default_configENS1_25partition_config_selectorILNS1_17partition_subalgoE2EiNS0_10empty_typeEbEEZZNS1_14partition_implILS5_2ELb0ES3_jN6thrust23THRUST_200600_302600_NS6detail15normal_iteratorINSA_7pointerIiNSA_11hip_rocprim3tagENSA_11use_defaultESG_EEEEPS6_NSA_18transform_iteratorINSA_8identityIiEENSC_INSA_10device_ptrIiEEEESG_SG_EENS0_5tupleIJPiSJ_EEENSR_IJSJ_SJ_EEES6_PlJS6_EEE10hipError_tPvRmT3_T4_T5_T6_T7_T9_mT8_P12ihipStream_tbDpT10_ENKUlT_T0_E_clISt17integral_constantIbLb1EES1E_IbLb0EEEEDaS1A_S1B_EUlS1A_E_NS1_11comp_targetILNS1_3genE0ELNS1_11target_archE4294967295ELNS1_3gpuE0ELNS1_3repE0EEENS1_30default_config_static_selectorELNS0_4arch9wavefront6targetE1EEEvT1_.kd
    .uniform_work_group_size: 1
    .uses_dynamic_stack: false
    .vgpr_count:     0
    .vgpr_spill_count: 0
    .wavefront_size: 64
  - .agpr_count:     0
    .args:
      - .offset:         0
        .size:           128
        .value_kind:     by_value
    .group_segment_fixed_size: 30728
    .kernarg_segment_align: 8
    .kernarg_segment_size: 128
    .language:       OpenCL C
    .language_version:
      - 2
      - 0
    .max_flat_workgroup_size: 512
    .name:           _ZN7rocprim17ROCPRIM_400000_NS6detail17trampoline_kernelINS0_14default_configENS1_25partition_config_selectorILNS1_17partition_subalgoE2EiNS0_10empty_typeEbEEZZNS1_14partition_implILS5_2ELb0ES3_jN6thrust23THRUST_200600_302600_NS6detail15normal_iteratorINSA_7pointerIiNSA_11hip_rocprim3tagENSA_11use_defaultESG_EEEEPS6_NSA_18transform_iteratorINSA_8identityIiEENSC_INSA_10device_ptrIiEEEESG_SG_EENS0_5tupleIJPiSJ_EEENSR_IJSJ_SJ_EEES6_PlJS6_EEE10hipError_tPvRmT3_T4_T5_T6_T7_T9_mT8_P12ihipStream_tbDpT10_ENKUlT_T0_E_clISt17integral_constantIbLb1EES1E_IbLb0EEEEDaS1A_S1B_EUlS1A_E_NS1_11comp_targetILNS1_3genE5ELNS1_11target_archE942ELNS1_3gpuE9ELNS1_3repE0EEENS1_30default_config_static_selectorELNS0_4arch9wavefront6targetE1EEEvT1_
    .private_segment_fixed_size: 0
    .sgpr_count:     52
    .sgpr_spill_count: 0
    .symbol:         _ZN7rocprim17ROCPRIM_400000_NS6detail17trampoline_kernelINS0_14default_configENS1_25partition_config_selectorILNS1_17partition_subalgoE2EiNS0_10empty_typeEbEEZZNS1_14partition_implILS5_2ELb0ES3_jN6thrust23THRUST_200600_302600_NS6detail15normal_iteratorINSA_7pointerIiNSA_11hip_rocprim3tagENSA_11use_defaultESG_EEEEPS6_NSA_18transform_iteratorINSA_8identityIiEENSC_INSA_10device_ptrIiEEEESG_SG_EENS0_5tupleIJPiSJ_EEENSR_IJSJ_SJ_EEES6_PlJS6_EEE10hipError_tPvRmT3_T4_T5_T6_T7_T9_mT8_P12ihipStream_tbDpT10_ENKUlT_T0_E_clISt17integral_constantIbLb1EES1E_IbLb0EEEEDaS1A_S1B_EUlS1A_E_NS1_11comp_targetILNS1_3genE5ELNS1_11target_archE942ELNS1_3gpuE9ELNS1_3repE0EEENS1_30default_config_static_selectorELNS0_4arch9wavefront6targetE1EEEvT1_.kd
    .uniform_work_group_size: 1
    .uses_dynamic_stack: false
    .vgpr_count:     65
    .vgpr_spill_count: 0
    .wavefront_size: 64
  - .agpr_count:     0
    .args:
      - .offset:         0
        .size:           128
        .value_kind:     by_value
    .group_segment_fixed_size: 0
    .kernarg_segment_align: 8
    .kernarg_segment_size: 128
    .language:       OpenCL C
    .language_version:
      - 2
      - 0
    .max_flat_workgroup_size: 256
    .name:           _ZN7rocprim17ROCPRIM_400000_NS6detail17trampoline_kernelINS0_14default_configENS1_25partition_config_selectorILNS1_17partition_subalgoE2EiNS0_10empty_typeEbEEZZNS1_14partition_implILS5_2ELb0ES3_jN6thrust23THRUST_200600_302600_NS6detail15normal_iteratorINSA_7pointerIiNSA_11hip_rocprim3tagENSA_11use_defaultESG_EEEEPS6_NSA_18transform_iteratorINSA_8identityIiEENSC_INSA_10device_ptrIiEEEESG_SG_EENS0_5tupleIJPiSJ_EEENSR_IJSJ_SJ_EEES6_PlJS6_EEE10hipError_tPvRmT3_T4_T5_T6_T7_T9_mT8_P12ihipStream_tbDpT10_ENKUlT_T0_E_clISt17integral_constantIbLb1EES1E_IbLb0EEEEDaS1A_S1B_EUlS1A_E_NS1_11comp_targetILNS1_3genE4ELNS1_11target_archE910ELNS1_3gpuE8ELNS1_3repE0EEENS1_30default_config_static_selectorELNS0_4arch9wavefront6targetE1EEEvT1_
    .private_segment_fixed_size: 0
    .sgpr_count:     6
    .sgpr_spill_count: 0
    .symbol:         _ZN7rocprim17ROCPRIM_400000_NS6detail17trampoline_kernelINS0_14default_configENS1_25partition_config_selectorILNS1_17partition_subalgoE2EiNS0_10empty_typeEbEEZZNS1_14partition_implILS5_2ELb0ES3_jN6thrust23THRUST_200600_302600_NS6detail15normal_iteratorINSA_7pointerIiNSA_11hip_rocprim3tagENSA_11use_defaultESG_EEEEPS6_NSA_18transform_iteratorINSA_8identityIiEENSC_INSA_10device_ptrIiEEEESG_SG_EENS0_5tupleIJPiSJ_EEENSR_IJSJ_SJ_EEES6_PlJS6_EEE10hipError_tPvRmT3_T4_T5_T6_T7_T9_mT8_P12ihipStream_tbDpT10_ENKUlT_T0_E_clISt17integral_constantIbLb1EES1E_IbLb0EEEEDaS1A_S1B_EUlS1A_E_NS1_11comp_targetILNS1_3genE4ELNS1_11target_archE910ELNS1_3gpuE8ELNS1_3repE0EEENS1_30default_config_static_selectorELNS0_4arch9wavefront6targetE1EEEvT1_.kd
    .uniform_work_group_size: 1
    .uses_dynamic_stack: false
    .vgpr_count:     0
    .vgpr_spill_count: 0
    .wavefront_size: 64
  - .agpr_count:     0
    .args:
      - .offset:         0
        .size:           128
        .value_kind:     by_value
    .group_segment_fixed_size: 0
    .kernarg_segment_align: 8
    .kernarg_segment_size: 128
    .language:       OpenCL C
    .language_version:
      - 2
      - 0
    .max_flat_workgroup_size: 128
    .name:           _ZN7rocprim17ROCPRIM_400000_NS6detail17trampoline_kernelINS0_14default_configENS1_25partition_config_selectorILNS1_17partition_subalgoE2EiNS0_10empty_typeEbEEZZNS1_14partition_implILS5_2ELb0ES3_jN6thrust23THRUST_200600_302600_NS6detail15normal_iteratorINSA_7pointerIiNSA_11hip_rocprim3tagENSA_11use_defaultESG_EEEEPS6_NSA_18transform_iteratorINSA_8identityIiEENSC_INSA_10device_ptrIiEEEESG_SG_EENS0_5tupleIJPiSJ_EEENSR_IJSJ_SJ_EEES6_PlJS6_EEE10hipError_tPvRmT3_T4_T5_T6_T7_T9_mT8_P12ihipStream_tbDpT10_ENKUlT_T0_E_clISt17integral_constantIbLb1EES1E_IbLb0EEEEDaS1A_S1B_EUlS1A_E_NS1_11comp_targetILNS1_3genE3ELNS1_11target_archE908ELNS1_3gpuE7ELNS1_3repE0EEENS1_30default_config_static_selectorELNS0_4arch9wavefront6targetE1EEEvT1_
    .private_segment_fixed_size: 0
    .sgpr_count:     6
    .sgpr_spill_count: 0
    .symbol:         _ZN7rocprim17ROCPRIM_400000_NS6detail17trampoline_kernelINS0_14default_configENS1_25partition_config_selectorILNS1_17partition_subalgoE2EiNS0_10empty_typeEbEEZZNS1_14partition_implILS5_2ELb0ES3_jN6thrust23THRUST_200600_302600_NS6detail15normal_iteratorINSA_7pointerIiNSA_11hip_rocprim3tagENSA_11use_defaultESG_EEEEPS6_NSA_18transform_iteratorINSA_8identityIiEENSC_INSA_10device_ptrIiEEEESG_SG_EENS0_5tupleIJPiSJ_EEENSR_IJSJ_SJ_EEES6_PlJS6_EEE10hipError_tPvRmT3_T4_T5_T6_T7_T9_mT8_P12ihipStream_tbDpT10_ENKUlT_T0_E_clISt17integral_constantIbLb1EES1E_IbLb0EEEEDaS1A_S1B_EUlS1A_E_NS1_11comp_targetILNS1_3genE3ELNS1_11target_archE908ELNS1_3gpuE7ELNS1_3repE0EEENS1_30default_config_static_selectorELNS0_4arch9wavefront6targetE1EEEvT1_.kd
    .uniform_work_group_size: 1
    .uses_dynamic_stack: false
    .vgpr_count:     0
    .vgpr_spill_count: 0
    .wavefront_size: 64
  - .agpr_count:     0
    .args:
      - .offset:         0
        .size:           128
        .value_kind:     by_value
    .group_segment_fixed_size: 0
    .kernarg_segment_align: 8
    .kernarg_segment_size: 128
    .language:       OpenCL C
    .language_version:
      - 2
      - 0
    .max_flat_workgroup_size: 256
    .name:           _ZN7rocprim17ROCPRIM_400000_NS6detail17trampoline_kernelINS0_14default_configENS1_25partition_config_selectorILNS1_17partition_subalgoE2EiNS0_10empty_typeEbEEZZNS1_14partition_implILS5_2ELb0ES3_jN6thrust23THRUST_200600_302600_NS6detail15normal_iteratorINSA_7pointerIiNSA_11hip_rocprim3tagENSA_11use_defaultESG_EEEEPS6_NSA_18transform_iteratorINSA_8identityIiEENSC_INSA_10device_ptrIiEEEESG_SG_EENS0_5tupleIJPiSJ_EEENSR_IJSJ_SJ_EEES6_PlJS6_EEE10hipError_tPvRmT3_T4_T5_T6_T7_T9_mT8_P12ihipStream_tbDpT10_ENKUlT_T0_E_clISt17integral_constantIbLb1EES1E_IbLb0EEEEDaS1A_S1B_EUlS1A_E_NS1_11comp_targetILNS1_3genE2ELNS1_11target_archE906ELNS1_3gpuE6ELNS1_3repE0EEENS1_30default_config_static_selectorELNS0_4arch9wavefront6targetE1EEEvT1_
    .private_segment_fixed_size: 0
    .sgpr_count:     6
    .sgpr_spill_count: 0
    .symbol:         _ZN7rocprim17ROCPRIM_400000_NS6detail17trampoline_kernelINS0_14default_configENS1_25partition_config_selectorILNS1_17partition_subalgoE2EiNS0_10empty_typeEbEEZZNS1_14partition_implILS5_2ELb0ES3_jN6thrust23THRUST_200600_302600_NS6detail15normal_iteratorINSA_7pointerIiNSA_11hip_rocprim3tagENSA_11use_defaultESG_EEEEPS6_NSA_18transform_iteratorINSA_8identityIiEENSC_INSA_10device_ptrIiEEEESG_SG_EENS0_5tupleIJPiSJ_EEENSR_IJSJ_SJ_EEES6_PlJS6_EEE10hipError_tPvRmT3_T4_T5_T6_T7_T9_mT8_P12ihipStream_tbDpT10_ENKUlT_T0_E_clISt17integral_constantIbLb1EES1E_IbLb0EEEEDaS1A_S1B_EUlS1A_E_NS1_11comp_targetILNS1_3genE2ELNS1_11target_archE906ELNS1_3gpuE6ELNS1_3repE0EEENS1_30default_config_static_selectorELNS0_4arch9wavefront6targetE1EEEvT1_.kd
    .uniform_work_group_size: 1
    .uses_dynamic_stack: false
    .vgpr_count:     0
    .vgpr_spill_count: 0
    .wavefront_size: 64
  - .agpr_count:     0
    .args:
      - .offset:         0
        .size:           128
        .value_kind:     by_value
    .group_segment_fixed_size: 0
    .kernarg_segment_align: 8
    .kernarg_segment_size: 128
    .language:       OpenCL C
    .language_version:
      - 2
      - 0
    .max_flat_workgroup_size: 384
    .name:           _ZN7rocprim17ROCPRIM_400000_NS6detail17trampoline_kernelINS0_14default_configENS1_25partition_config_selectorILNS1_17partition_subalgoE2EiNS0_10empty_typeEbEEZZNS1_14partition_implILS5_2ELb0ES3_jN6thrust23THRUST_200600_302600_NS6detail15normal_iteratorINSA_7pointerIiNSA_11hip_rocprim3tagENSA_11use_defaultESG_EEEEPS6_NSA_18transform_iteratorINSA_8identityIiEENSC_INSA_10device_ptrIiEEEESG_SG_EENS0_5tupleIJPiSJ_EEENSR_IJSJ_SJ_EEES6_PlJS6_EEE10hipError_tPvRmT3_T4_T5_T6_T7_T9_mT8_P12ihipStream_tbDpT10_ENKUlT_T0_E_clISt17integral_constantIbLb1EES1E_IbLb0EEEEDaS1A_S1B_EUlS1A_E_NS1_11comp_targetILNS1_3genE10ELNS1_11target_archE1200ELNS1_3gpuE4ELNS1_3repE0EEENS1_30default_config_static_selectorELNS0_4arch9wavefront6targetE1EEEvT1_
    .private_segment_fixed_size: 0
    .sgpr_count:     6
    .sgpr_spill_count: 0
    .symbol:         _ZN7rocprim17ROCPRIM_400000_NS6detail17trampoline_kernelINS0_14default_configENS1_25partition_config_selectorILNS1_17partition_subalgoE2EiNS0_10empty_typeEbEEZZNS1_14partition_implILS5_2ELb0ES3_jN6thrust23THRUST_200600_302600_NS6detail15normal_iteratorINSA_7pointerIiNSA_11hip_rocprim3tagENSA_11use_defaultESG_EEEEPS6_NSA_18transform_iteratorINSA_8identityIiEENSC_INSA_10device_ptrIiEEEESG_SG_EENS0_5tupleIJPiSJ_EEENSR_IJSJ_SJ_EEES6_PlJS6_EEE10hipError_tPvRmT3_T4_T5_T6_T7_T9_mT8_P12ihipStream_tbDpT10_ENKUlT_T0_E_clISt17integral_constantIbLb1EES1E_IbLb0EEEEDaS1A_S1B_EUlS1A_E_NS1_11comp_targetILNS1_3genE10ELNS1_11target_archE1200ELNS1_3gpuE4ELNS1_3repE0EEENS1_30default_config_static_selectorELNS0_4arch9wavefront6targetE1EEEvT1_.kd
    .uniform_work_group_size: 1
    .uses_dynamic_stack: false
    .vgpr_count:     0
    .vgpr_spill_count: 0
    .wavefront_size: 64
  - .agpr_count:     0
    .args:
      - .offset:         0
        .size:           128
        .value_kind:     by_value
    .group_segment_fixed_size: 0
    .kernarg_segment_align: 8
    .kernarg_segment_size: 128
    .language:       OpenCL C
    .language_version:
      - 2
      - 0
    .max_flat_workgroup_size: 128
    .name:           _ZN7rocprim17ROCPRIM_400000_NS6detail17trampoline_kernelINS0_14default_configENS1_25partition_config_selectorILNS1_17partition_subalgoE2EiNS0_10empty_typeEbEEZZNS1_14partition_implILS5_2ELb0ES3_jN6thrust23THRUST_200600_302600_NS6detail15normal_iteratorINSA_7pointerIiNSA_11hip_rocprim3tagENSA_11use_defaultESG_EEEEPS6_NSA_18transform_iteratorINSA_8identityIiEENSC_INSA_10device_ptrIiEEEESG_SG_EENS0_5tupleIJPiSJ_EEENSR_IJSJ_SJ_EEES6_PlJS6_EEE10hipError_tPvRmT3_T4_T5_T6_T7_T9_mT8_P12ihipStream_tbDpT10_ENKUlT_T0_E_clISt17integral_constantIbLb1EES1E_IbLb0EEEEDaS1A_S1B_EUlS1A_E_NS1_11comp_targetILNS1_3genE9ELNS1_11target_archE1100ELNS1_3gpuE3ELNS1_3repE0EEENS1_30default_config_static_selectorELNS0_4arch9wavefront6targetE1EEEvT1_
    .private_segment_fixed_size: 0
    .sgpr_count:     6
    .sgpr_spill_count: 0
    .symbol:         _ZN7rocprim17ROCPRIM_400000_NS6detail17trampoline_kernelINS0_14default_configENS1_25partition_config_selectorILNS1_17partition_subalgoE2EiNS0_10empty_typeEbEEZZNS1_14partition_implILS5_2ELb0ES3_jN6thrust23THRUST_200600_302600_NS6detail15normal_iteratorINSA_7pointerIiNSA_11hip_rocprim3tagENSA_11use_defaultESG_EEEEPS6_NSA_18transform_iteratorINSA_8identityIiEENSC_INSA_10device_ptrIiEEEESG_SG_EENS0_5tupleIJPiSJ_EEENSR_IJSJ_SJ_EEES6_PlJS6_EEE10hipError_tPvRmT3_T4_T5_T6_T7_T9_mT8_P12ihipStream_tbDpT10_ENKUlT_T0_E_clISt17integral_constantIbLb1EES1E_IbLb0EEEEDaS1A_S1B_EUlS1A_E_NS1_11comp_targetILNS1_3genE9ELNS1_11target_archE1100ELNS1_3gpuE3ELNS1_3repE0EEENS1_30default_config_static_selectorELNS0_4arch9wavefront6targetE1EEEvT1_.kd
    .uniform_work_group_size: 1
    .uses_dynamic_stack: false
    .vgpr_count:     0
    .vgpr_spill_count: 0
    .wavefront_size: 64
  - .agpr_count:     0
    .args:
      - .offset:         0
        .size:           128
        .value_kind:     by_value
    .group_segment_fixed_size: 0
    .kernarg_segment_align: 8
    .kernarg_segment_size: 128
    .language:       OpenCL C
    .language_version:
      - 2
      - 0
    .max_flat_workgroup_size: 512
    .name:           _ZN7rocprim17ROCPRIM_400000_NS6detail17trampoline_kernelINS0_14default_configENS1_25partition_config_selectorILNS1_17partition_subalgoE2EiNS0_10empty_typeEbEEZZNS1_14partition_implILS5_2ELb0ES3_jN6thrust23THRUST_200600_302600_NS6detail15normal_iteratorINSA_7pointerIiNSA_11hip_rocprim3tagENSA_11use_defaultESG_EEEEPS6_NSA_18transform_iteratorINSA_8identityIiEENSC_INSA_10device_ptrIiEEEESG_SG_EENS0_5tupleIJPiSJ_EEENSR_IJSJ_SJ_EEES6_PlJS6_EEE10hipError_tPvRmT3_T4_T5_T6_T7_T9_mT8_P12ihipStream_tbDpT10_ENKUlT_T0_E_clISt17integral_constantIbLb1EES1E_IbLb0EEEEDaS1A_S1B_EUlS1A_E_NS1_11comp_targetILNS1_3genE8ELNS1_11target_archE1030ELNS1_3gpuE2ELNS1_3repE0EEENS1_30default_config_static_selectorELNS0_4arch9wavefront6targetE1EEEvT1_
    .private_segment_fixed_size: 0
    .sgpr_count:     6
    .sgpr_spill_count: 0
    .symbol:         _ZN7rocprim17ROCPRIM_400000_NS6detail17trampoline_kernelINS0_14default_configENS1_25partition_config_selectorILNS1_17partition_subalgoE2EiNS0_10empty_typeEbEEZZNS1_14partition_implILS5_2ELb0ES3_jN6thrust23THRUST_200600_302600_NS6detail15normal_iteratorINSA_7pointerIiNSA_11hip_rocprim3tagENSA_11use_defaultESG_EEEEPS6_NSA_18transform_iteratorINSA_8identityIiEENSC_INSA_10device_ptrIiEEEESG_SG_EENS0_5tupleIJPiSJ_EEENSR_IJSJ_SJ_EEES6_PlJS6_EEE10hipError_tPvRmT3_T4_T5_T6_T7_T9_mT8_P12ihipStream_tbDpT10_ENKUlT_T0_E_clISt17integral_constantIbLb1EES1E_IbLb0EEEEDaS1A_S1B_EUlS1A_E_NS1_11comp_targetILNS1_3genE8ELNS1_11target_archE1030ELNS1_3gpuE2ELNS1_3repE0EEENS1_30default_config_static_selectorELNS0_4arch9wavefront6targetE1EEEvT1_.kd
    .uniform_work_group_size: 1
    .uses_dynamic_stack: false
    .vgpr_count:     0
    .vgpr_spill_count: 0
    .wavefront_size: 64
  - .agpr_count:     0
    .args:
      - .offset:         0
        .size:           144
        .value_kind:     by_value
    .group_segment_fixed_size: 0
    .kernarg_segment_align: 8
    .kernarg_segment_size: 144
    .language:       OpenCL C
    .language_version:
      - 2
      - 0
    .max_flat_workgroup_size: 128
    .name:           _ZN7rocprim17ROCPRIM_400000_NS6detail17trampoline_kernelINS0_14default_configENS1_25partition_config_selectorILNS1_17partition_subalgoE2EiNS0_10empty_typeEbEEZZNS1_14partition_implILS5_2ELb0ES3_jN6thrust23THRUST_200600_302600_NS6detail15normal_iteratorINSA_7pointerIiNSA_11hip_rocprim3tagENSA_11use_defaultESG_EEEEPS6_NSA_18transform_iteratorINSA_8identityIiEENSC_INSA_10device_ptrIiEEEESG_SG_EENS0_5tupleIJPiSJ_EEENSR_IJSJ_SJ_EEES6_PlJS6_EEE10hipError_tPvRmT3_T4_T5_T6_T7_T9_mT8_P12ihipStream_tbDpT10_ENKUlT_T0_E_clISt17integral_constantIbLb0EES1E_IbLb1EEEEDaS1A_S1B_EUlS1A_E_NS1_11comp_targetILNS1_3genE0ELNS1_11target_archE4294967295ELNS1_3gpuE0ELNS1_3repE0EEENS1_30default_config_static_selectorELNS0_4arch9wavefront6targetE1EEEvT1_
    .private_segment_fixed_size: 0
    .sgpr_count:     6
    .sgpr_spill_count: 0
    .symbol:         _ZN7rocprim17ROCPRIM_400000_NS6detail17trampoline_kernelINS0_14default_configENS1_25partition_config_selectorILNS1_17partition_subalgoE2EiNS0_10empty_typeEbEEZZNS1_14partition_implILS5_2ELb0ES3_jN6thrust23THRUST_200600_302600_NS6detail15normal_iteratorINSA_7pointerIiNSA_11hip_rocprim3tagENSA_11use_defaultESG_EEEEPS6_NSA_18transform_iteratorINSA_8identityIiEENSC_INSA_10device_ptrIiEEEESG_SG_EENS0_5tupleIJPiSJ_EEENSR_IJSJ_SJ_EEES6_PlJS6_EEE10hipError_tPvRmT3_T4_T5_T6_T7_T9_mT8_P12ihipStream_tbDpT10_ENKUlT_T0_E_clISt17integral_constantIbLb0EES1E_IbLb1EEEEDaS1A_S1B_EUlS1A_E_NS1_11comp_targetILNS1_3genE0ELNS1_11target_archE4294967295ELNS1_3gpuE0ELNS1_3repE0EEENS1_30default_config_static_selectorELNS0_4arch9wavefront6targetE1EEEvT1_.kd
    .uniform_work_group_size: 1
    .uses_dynamic_stack: false
    .vgpr_count:     0
    .vgpr_spill_count: 0
    .wavefront_size: 64
  - .agpr_count:     0
    .args:
      - .offset:         0
        .size:           144
        .value_kind:     by_value
    .group_segment_fixed_size: 30728
    .kernarg_segment_align: 8
    .kernarg_segment_size: 144
    .language:       OpenCL C
    .language_version:
      - 2
      - 0
    .max_flat_workgroup_size: 512
    .name:           _ZN7rocprim17ROCPRIM_400000_NS6detail17trampoline_kernelINS0_14default_configENS1_25partition_config_selectorILNS1_17partition_subalgoE2EiNS0_10empty_typeEbEEZZNS1_14partition_implILS5_2ELb0ES3_jN6thrust23THRUST_200600_302600_NS6detail15normal_iteratorINSA_7pointerIiNSA_11hip_rocprim3tagENSA_11use_defaultESG_EEEEPS6_NSA_18transform_iteratorINSA_8identityIiEENSC_INSA_10device_ptrIiEEEESG_SG_EENS0_5tupleIJPiSJ_EEENSR_IJSJ_SJ_EEES6_PlJS6_EEE10hipError_tPvRmT3_T4_T5_T6_T7_T9_mT8_P12ihipStream_tbDpT10_ENKUlT_T0_E_clISt17integral_constantIbLb0EES1E_IbLb1EEEEDaS1A_S1B_EUlS1A_E_NS1_11comp_targetILNS1_3genE5ELNS1_11target_archE942ELNS1_3gpuE9ELNS1_3repE0EEENS1_30default_config_static_selectorELNS0_4arch9wavefront6targetE1EEEvT1_
    .private_segment_fixed_size: 0
    .sgpr_count:     52
    .sgpr_spill_count: 0
    .symbol:         _ZN7rocprim17ROCPRIM_400000_NS6detail17trampoline_kernelINS0_14default_configENS1_25partition_config_selectorILNS1_17partition_subalgoE2EiNS0_10empty_typeEbEEZZNS1_14partition_implILS5_2ELb0ES3_jN6thrust23THRUST_200600_302600_NS6detail15normal_iteratorINSA_7pointerIiNSA_11hip_rocprim3tagENSA_11use_defaultESG_EEEEPS6_NSA_18transform_iteratorINSA_8identityIiEENSC_INSA_10device_ptrIiEEEESG_SG_EENS0_5tupleIJPiSJ_EEENSR_IJSJ_SJ_EEES6_PlJS6_EEE10hipError_tPvRmT3_T4_T5_T6_T7_T9_mT8_P12ihipStream_tbDpT10_ENKUlT_T0_E_clISt17integral_constantIbLb0EES1E_IbLb1EEEEDaS1A_S1B_EUlS1A_E_NS1_11comp_targetILNS1_3genE5ELNS1_11target_archE942ELNS1_3gpuE9ELNS1_3repE0EEENS1_30default_config_static_selectorELNS0_4arch9wavefront6targetE1EEEvT1_.kd
    .uniform_work_group_size: 1
    .uses_dynamic_stack: false
    .vgpr_count:     67
    .vgpr_spill_count: 0
    .wavefront_size: 64
  - .agpr_count:     0
    .args:
      - .offset:         0
        .size:           144
        .value_kind:     by_value
    .group_segment_fixed_size: 0
    .kernarg_segment_align: 8
    .kernarg_segment_size: 144
    .language:       OpenCL C
    .language_version:
      - 2
      - 0
    .max_flat_workgroup_size: 256
    .name:           _ZN7rocprim17ROCPRIM_400000_NS6detail17trampoline_kernelINS0_14default_configENS1_25partition_config_selectorILNS1_17partition_subalgoE2EiNS0_10empty_typeEbEEZZNS1_14partition_implILS5_2ELb0ES3_jN6thrust23THRUST_200600_302600_NS6detail15normal_iteratorINSA_7pointerIiNSA_11hip_rocprim3tagENSA_11use_defaultESG_EEEEPS6_NSA_18transform_iteratorINSA_8identityIiEENSC_INSA_10device_ptrIiEEEESG_SG_EENS0_5tupleIJPiSJ_EEENSR_IJSJ_SJ_EEES6_PlJS6_EEE10hipError_tPvRmT3_T4_T5_T6_T7_T9_mT8_P12ihipStream_tbDpT10_ENKUlT_T0_E_clISt17integral_constantIbLb0EES1E_IbLb1EEEEDaS1A_S1B_EUlS1A_E_NS1_11comp_targetILNS1_3genE4ELNS1_11target_archE910ELNS1_3gpuE8ELNS1_3repE0EEENS1_30default_config_static_selectorELNS0_4arch9wavefront6targetE1EEEvT1_
    .private_segment_fixed_size: 0
    .sgpr_count:     6
    .sgpr_spill_count: 0
    .symbol:         _ZN7rocprim17ROCPRIM_400000_NS6detail17trampoline_kernelINS0_14default_configENS1_25partition_config_selectorILNS1_17partition_subalgoE2EiNS0_10empty_typeEbEEZZNS1_14partition_implILS5_2ELb0ES3_jN6thrust23THRUST_200600_302600_NS6detail15normal_iteratorINSA_7pointerIiNSA_11hip_rocprim3tagENSA_11use_defaultESG_EEEEPS6_NSA_18transform_iteratorINSA_8identityIiEENSC_INSA_10device_ptrIiEEEESG_SG_EENS0_5tupleIJPiSJ_EEENSR_IJSJ_SJ_EEES6_PlJS6_EEE10hipError_tPvRmT3_T4_T5_T6_T7_T9_mT8_P12ihipStream_tbDpT10_ENKUlT_T0_E_clISt17integral_constantIbLb0EES1E_IbLb1EEEEDaS1A_S1B_EUlS1A_E_NS1_11comp_targetILNS1_3genE4ELNS1_11target_archE910ELNS1_3gpuE8ELNS1_3repE0EEENS1_30default_config_static_selectorELNS0_4arch9wavefront6targetE1EEEvT1_.kd
    .uniform_work_group_size: 1
    .uses_dynamic_stack: false
    .vgpr_count:     0
    .vgpr_spill_count: 0
    .wavefront_size: 64
  - .agpr_count:     0
    .args:
      - .offset:         0
        .size:           144
        .value_kind:     by_value
    .group_segment_fixed_size: 0
    .kernarg_segment_align: 8
    .kernarg_segment_size: 144
    .language:       OpenCL C
    .language_version:
      - 2
      - 0
    .max_flat_workgroup_size: 128
    .name:           _ZN7rocprim17ROCPRIM_400000_NS6detail17trampoline_kernelINS0_14default_configENS1_25partition_config_selectorILNS1_17partition_subalgoE2EiNS0_10empty_typeEbEEZZNS1_14partition_implILS5_2ELb0ES3_jN6thrust23THRUST_200600_302600_NS6detail15normal_iteratorINSA_7pointerIiNSA_11hip_rocprim3tagENSA_11use_defaultESG_EEEEPS6_NSA_18transform_iteratorINSA_8identityIiEENSC_INSA_10device_ptrIiEEEESG_SG_EENS0_5tupleIJPiSJ_EEENSR_IJSJ_SJ_EEES6_PlJS6_EEE10hipError_tPvRmT3_T4_T5_T6_T7_T9_mT8_P12ihipStream_tbDpT10_ENKUlT_T0_E_clISt17integral_constantIbLb0EES1E_IbLb1EEEEDaS1A_S1B_EUlS1A_E_NS1_11comp_targetILNS1_3genE3ELNS1_11target_archE908ELNS1_3gpuE7ELNS1_3repE0EEENS1_30default_config_static_selectorELNS0_4arch9wavefront6targetE1EEEvT1_
    .private_segment_fixed_size: 0
    .sgpr_count:     6
    .sgpr_spill_count: 0
    .symbol:         _ZN7rocprim17ROCPRIM_400000_NS6detail17trampoline_kernelINS0_14default_configENS1_25partition_config_selectorILNS1_17partition_subalgoE2EiNS0_10empty_typeEbEEZZNS1_14partition_implILS5_2ELb0ES3_jN6thrust23THRUST_200600_302600_NS6detail15normal_iteratorINSA_7pointerIiNSA_11hip_rocprim3tagENSA_11use_defaultESG_EEEEPS6_NSA_18transform_iteratorINSA_8identityIiEENSC_INSA_10device_ptrIiEEEESG_SG_EENS0_5tupleIJPiSJ_EEENSR_IJSJ_SJ_EEES6_PlJS6_EEE10hipError_tPvRmT3_T4_T5_T6_T7_T9_mT8_P12ihipStream_tbDpT10_ENKUlT_T0_E_clISt17integral_constantIbLb0EES1E_IbLb1EEEEDaS1A_S1B_EUlS1A_E_NS1_11comp_targetILNS1_3genE3ELNS1_11target_archE908ELNS1_3gpuE7ELNS1_3repE0EEENS1_30default_config_static_selectorELNS0_4arch9wavefront6targetE1EEEvT1_.kd
    .uniform_work_group_size: 1
    .uses_dynamic_stack: false
    .vgpr_count:     0
    .vgpr_spill_count: 0
    .wavefront_size: 64
  - .agpr_count:     0
    .args:
      - .offset:         0
        .size:           144
        .value_kind:     by_value
    .group_segment_fixed_size: 0
    .kernarg_segment_align: 8
    .kernarg_segment_size: 144
    .language:       OpenCL C
    .language_version:
      - 2
      - 0
    .max_flat_workgroup_size: 256
    .name:           _ZN7rocprim17ROCPRIM_400000_NS6detail17trampoline_kernelINS0_14default_configENS1_25partition_config_selectorILNS1_17partition_subalgoE2EiNS0_10empty_typeEbEEZZNS1_14partition_implILS5_2ELb0ES3_jN6thrust23THRUST_200600_302600_NS6detail15normal_iteratorINSA_7pointerIiNSA_11hip_rocprim3tagENSA_11use_defaultESG_EEEEPS6_NSA_18transform_iteratorINSA_8identityIiEENSC_INSA_10device_ptrIiEEEESG_SG_EENS0_5tupleIJPiSJ_EEENSR_IJSJ_SJ_EEES6_PlJS6_EEE10hipError_tPvRmT3_T4_T5_T6_T7_T9_mT8_P12ihipStream_tbDpT10_ENKUlT_T0_E_clISt17integral_constantIbLb0EES1E_IbLb1EEEEDaS1A_S1B_EUlS1A_E_NS1_11comp_targetILNS1_3genE2ELNS1_11target_archE906ELNS1_3gpuE6ELNS1_3repE0EEENS1_30default_config_static_selectorELNS0_4arch9wavefront6targetE1EEEvT1_
    .private_segment_fixed_size: 0
    .sgpr_count:     6
    .sgpr_spill_count: 0
    .symbol:         _ZN7rocprim17ROCPRIM_400000_NS6detail17trampoline_kernelINS0_14default_configENS1_25partition_config_selectorILNS1_17partition_subalgoE2EiNS0_10empty_typeEbEEZZNS1_14partition_implILS5_2ELb0ES3_jN6thrust23THRUST_200600_302600_NS6detail15normal_iteratorINSA_7pointerIiNSA_11hip_rocprim3tagENSA_11use_defaultESG_EEEEPS6_NSA_18transform_iteratorINSA_8identityIiEENSC_INSA_10device_ptrIiEEEESG_SG_EENS0_5tupleIJPiSJ_EEENSR_IJSJ_SJ_EEES6_PlJS6_EEE10hipError_tPvRmT3_T4_T5_T6_T7_T9_mT8_P12ihipStream_tbDpT10_ENKUlT_T0_E_clISt17integral_constantIbLb0EES1E_IbLb1EEEEDaS1A_S1B_EUlS1A_E_NS1_11comp_targetILNS1_3genE2ELNS1_11target_archE906ELNS1_3gpuE6ELNS1_3repE0EEENS1_30default_config_static_selectorELNS0_4arch9wavefront6targetE1EEEvT1_.kd
    .uniform_work_group_size: 1
    .uses_dynamic_stack: false
    .vgpr_count:     0
    .vgpr_spill_count: 0
    .wavefront_size: 64
  - .agpr_count:     0
    .args:
      - .offset:         0
        .size:           144
        .value_kind:     by_value
    .group_segment_fixed_size: 0
    .kernarg_segment_align: 8
    .kernarg_segment_size: 144
    .language:       OpenCL C
    .language_version:
      - 2
      - 0
    .max_flat_workgroup_size: 384
    .name:           _ZN7rocprim17ROCPRIM_400000_NS6detail17trampoline_kernelINS0_14default_configENS1_25partition_config_selectorILNS1_17partition_subalgoE2EiNS0_10empty_typeEbEEZZNS1_14partition_implILS5_2ELb0ES3_jN6thrust23THRUST_200600_302600_NS6detail15normal_iteratorINSA_7pointerIiNSA_11hip_rocprim3tagENSA_11use_defaultESG_EEEEPS6_NSA_18transform_iteratorINSA_8identityIiEENSC_INSA_10device_ptrIiEEEESG_SG_EENS0_5tupleIJPiSJ_EEENSR_IJSJ_SJ_EEES6_PlJS6_EEE10hipError_tPvRmT3_T4_T5_T6_T7_T9_mT8_P12ihipStream_tbDpT10_ENKUlT_T0_E_clISt17integral_constantIbLb0EES1E_IbLb1EEEEDaS1A_S1B_EUlS1A_E_NS1_11comp_targetILNS1_3genE10ELNS1_11target_archE1200ELNS1_3gpuE4ELNS1_3repE0EEENS1_30default_config_static_selectorELNS0_4arch9wavefront6targetE1EEEvT1_
    .private_segment_fixed_size: 0
    .sgpr_count:     6
    .sgpr_spill_count: 0
    .symbol:         _ZN7rocprim17ROCPRIM_400000_NS6detail17trampoline_kernelINS0_14default_configENS1_25partition_config_selectorILNS1_17partition_subalgoE2EiNS0_10empty_typeEbEEZZNS1_14partition_implILS5_2ELb0ES3_jN6thrust23THRUST_200600_302600_NS6detail15normal_iteratorINSA_7pointerIiNSA_11hip_rocprim3tagENSA_11use_defaultESG_EEEEPS6_NSA_18transform_iteratorINSA_8identityIiEENSC_INSA_10device_ptrIiEEEESG_SG_EENS0_5tupleIJPiSJ_EEENSR_IJSJ_SJ_EEES6_PlJS6_EEE10hipError_tPvRmT3_T4_T5_T6_T7_T9_mT8_P12ihipStream_tbDpT10_ENKUlT_T0_E_clISt17integral_constantIbLb0EES1E_IbLb1EEEEDaS1A_S1B_EUlS1A_E_NS1_11comp_targetILNS1_3genE10ELNS1_11target_archE1200ELNS1_3gpuE4ELNS1_3repE0EEENS1_30default_config_static_selectorELNS0_4arch9wavefront6targetE1EEEvT1_.kd
    .uniform_work_group_size: 1
    .uses_dynamic_stack: false
    .vgpr_count:     0
    .vgpr_spill_count: 0
    .wavefront_size: 64
  - .agpr_count:     0
    .args:
      - .offset:         0
        .size:           144
        .value_kind:     by_value
    .group_segment_fixed_size: 0
    .kernarg_segment_align: 8
    .kernarg_segment_size: 144
    .language:       OpenCL C
    .language_version:
      - 2
      - 0
    .max_flat_workgroup_size: 128
    .name:           _ZN7rocprim17ROCPRIM_400000_NS6detail17trampoline_kernelINS0_14default_configENS1_25partition_config_selectorILNS1_17partition_subalgoE2EiNS0_10empty_typeEbEEZZNS1_14partition_implILS5_2ELb0ES3_jN6thrust23THRUST_200600_302600_NS6detail15normal_iteratorINSA_7pointerIiNSA_11hip_rocprim3tagENSA_11use_defaultESG_EEEEPS6_NSA_18transform_iteratorINSA_8identityIiEENSC_INSA_10device_ptrIiEEEESG_SG_EENS0_5tupleIJPiSJ_EEENSR_IJSJ_SJ_EEES6_PlJS6_EEE10hipError_tPvRmT3_T4_T5_T6_T7_T9_mT8_P12ihipStream_tbDpT10_ENKUlT_T0_E_clISt17integral_constantIbLb0EES1E_IbLb1EEEEDaS1A_S1B_EUlS1A_E_NS1_11comp_targetILNS1_3genE9ELNS1_11target_archE1100ELNS1_3gpuE3ELNS1_3repE0EEENS1_30default_config_static_selectorELNS0_4arch9wavefront6targetE1EEEvT1_
    .private_segment_fixed_size: 0
    .sgpr_count:     6
    .sgpr_spill_count: 0
    .symbol:         _ZN7rocprim17ROCPRIM_400000_NS6detail17trampoline_kernelINS0_14default_configENS1_25partition_config_selectorILNS1_17partition_subalgoE2EiNS0_10empty_typeEbEEZZNS1_14partition_implILS5_2ELb0ES3_jN6thrust23THRUST_200600_302600_NS6detail15normal_iteratorINSA_7pointerIiNSA_11hip_rocprim3tagENSA_11use_defaultESG_EEEEPS6_NSA_18transform_iteratorINSA_8identityIiEENSC_INSA_10device_ptrIiEEEESG_SG_EENS0_5tupleIJPiSJ_EEENSR_IJSJ_SJ_EEES6_PlJS6_EEE10hipError_tPvRmT3_T4_T5_T6_T7_T9_mT8_P12ihipStream_tbDpT10_ENKUlT_T0_E_clISt17integral_constantIbLb0EES1E_IbLb1EEEEDaS1A_S1B_EUlS1A_E_NS1_11comp_targetILNS1_3genE9ELNS1_11target_archE1100ELNS1_3gpuE3ELNS1_3repE0EEENS1_30default_config_static_selectorELNS0_4arch9wavefront6targetE1EEEvT1_.kd
    .uniform_work_group_size: 1
    .uses_dynamic_stack: false
    .vgpr_count:     0
    .vgpr_spill_count: 0
    .wavefront_size: 64
  - .agpr_count:     0
    .args:
      - .offset:         0
        .size:           144
        .value_kind:     by_value
    .group_segment_fixed_size: 0
    .kernarg_segment_align: 8
    .kernarg_segment_size: 144
    .language:       OpenCL C
    .language_version:
      - 2
      - 0
    .max_flat_workgroup_size: 512
    .name:           _ZN7rocprim17ROCPRIM_400000_NS6detail17trampoline_kernelINS0_14default_configENS1_25partition_config_selectorILNS1_17partition_subalgoE2EiNS0_10empty_typeEbEEZZNS1_14partition_implILS5_2ELb0ES3_jN6thrust23THRUST_200600_302600_NS6detail15normal_iteratorINSA_7pointerIiNSA_11hip_rocprim3tagENSA_11use_defaultESG_EEEEPS6_NSA_18transform_iteratorINSA_8identityIiEENSC_INSA_10device_ptrIiEEEESG_SG_EENS0_5tupleIJPiSJ_EEENSR_IJSJ_SJ_EEES6_PlJS6_EEE10hipError_tPvRmT3_T4_T5_T6_T7_T9_mT8_P12ihipStream_tbDpT10_ENKUlT_T0_E_clISt17integral_constantIbLb0EES1E_IbLb1EEEEDaS1A_S1B_EUlS1A_E_NS1_11comp_targetILNS1_3genE8ELNS1_11target_archE1030ELNS1_3gpuE2ELNS1_3repE0EEENS1_30default_config_static_selectorELNS0_4arch9wavefront6targetE1EEEvT1_
    .private_segment_fixed_size: 0
    .sgpr_count:     6
    .sgpr_spill_count: 0
    .symbol:         _ZN7rocprim17ROCPRIM_400000_NS6detail17trampoline_kernelINS0_14default_configENS1_25partition_config_selectorILNS1_17partition_subalgoE2EiNS0_10empty_typeEbEEZZNS1_14partition_implILS5_2ELb0ES3_jN6thrust23THRUST_200600_302600_NS6detail15normal_iteratorINSA_7pointerIiNSA_11hip_rocprim3tagENSA_11use_defaultESG_EEEEPS6_NSA_18transform_iteratorINSA_8identityIiEENSC_INSA_10device_ptrIiEEEESG_SG_EENS0_5tupleIJPiSJ_EEENSR_IJSJ_SJ_EEES6_PlJS6_EEE10hipError_tPvRmT3_T4_T5_T6_T7_T9_mT8_P12ihipStream_tbDpT10_ENKUlT_T0_E_clISt17integral_constantIbLb0EES1E_IbLb1EEEEDaS1A_S1B_EUlS1A_E_NS1_11comp_targetILNS1_3genE8ELNS1_11target_archE1030ELNS1_3gpuE2ELNS1_3repE0EEENS1_30default_config_static_selectorELNS0_4arch9wavefront6targetE1EEEvT1_.kd
    .uniform_work_group_size: 1
    .uses_dynamic_stack: false
    .vgpr_count:     0
    .vgpr_spill_count: 0
    .wavefront_size: 64
  - .agpr_count:     0
    .args:
      - .offset:         0
        .size:           128
        .value_kind:     by_value
    .group_segment_fixed_size: 0
    .kernarg_segment_align: 8
    .kernarg_segment_size: 128
    .language:       OpenCL C
    .language_version:
      - 2
      - 0
    .max_flat_workgroup_size: 256
    .name:           _ZN7rocprim17ROCPRIM_400000_NS6detail17trampoline_kernelINS0_14default_configENS1_25partition_config_selectorILNS1_17partition_subalgoE2EsNS0_10empty_typeEbEEZZNS1_14partition_implILS5_2ELb0ES3_jN6thrust23THRUST_200600_302600_NS6detail15normal_iteratorINSA_7pointerIsNSA_11hip_rocprim3tagENSA_11use_defaultESG_EEEEPS6_NSA_18transform_iteratorINSA_8identityIsEENSC_INSA_10device_ptrIsEEEESG_SG_EENS0_5tupleIJPsSJ_EEENSR_IJSJ_SJ_EEES6_PlJS6_EEE10hipError_tPvRmT3_T4_T5_T6_T7_T9_mT8_P12ihipStream_tbDpT10_ENKUlT_T0_E_clISt17integral_constantIbLb0EES1F_EEDaS1A_S1B_EUlS1A_E_NS1_11comp_targetILNS1_3genE0ELNS1_11target_archE4294967295ELNS1_3gpuE0ELNS1_3repE0EEENS1_30default_config_static_selectorELNS0_4arch9wavefront6targetE1EEEvT1_
    .private_segment_fixed_size: 0
    .sgpr_count:     6
    .sgpr_spill_count: 0
    .symbol:         _ZN7rocprim17ROCPRIM_400000_NS6detail17trampoline_kernelINS0_14default_configENS1_25partition_config_selectorILNS1_17partition_subalgoE2EsNS0_10empty_typeEbEEZZNS1_14partition_implILS5_2ELb0ES3_jN6thrust23THRUST_200600_302600_NS6detail15normal_iteratorINSA_7pointerIsNSA_11hip_rocprim3tagENSA_11use_defaultESG_EEEEPS6_NSA_18transform_iteratorINSA_8identityIsEENSC_INSA_10device_ptrIsEEEESG_SG_EENS0_5tupleIJPsSJ_EEENSR_IJSJ_SJ_EEES6_PlJS6_EEE10hipError_tPvRmT3_T4_T5_T6_T7_T9_mT8_P12ihipStream_tbDpT10_ENKUlT_T0_E_clISt17integral_constantIbLb0EES1F_EEDaS1A_S1B_EUlS1A_E_NS1_11comp_targetILNS1_3genE0ELNS1_11target_archE4294967295ELNS1_3gpuE0ELNS1_3repE0EEENS1_30default_config_static_selectorELNS0_4arch9wavefront6targetE1EEEvT1_.kd
    .uniform_work_group_size: 1
    .uses_dynamic_stack: false
    .vgpr_count:     0
    .vgpr_spill_count: 0
    .wavefront_size: 64
  - .agpr_count:     0
    .args:
      - .offset:         0
        .size:           128
        .value_kind:     by_value
    .group_segment_fixed_size: 30728
    .kernarg_segment_align: 8
    .kernarg_segment_size: 128
    .language:       OpenCL C
    .language_version:
      - 2
      - 0
    .max_flat_workgroup_size: 512
    .name:           _ZN7rocprim17ROCPRIM_400000_NS6detail17trampoline_kernelINS0_14default_configENS1_25partition_config_selectorILNS1_17partition_subalgoE2EsNS0_10empty_typeEbEEZZNS1_14partition_implILS5_2ELb0ES3_jN6thrust23THRUST_200600_302600_NS6detail15normal_iteratorINSA_7pointerIsNSA_11hip_rocprim3tagENSA_11use_defaultESG_EEEEPS6_NSA_18transform_iteratorINSA_8identityIsEENSC_INSA_10device_ptrIsEEEESG_SG_EENS0_5tupleIJPsSJ_EEENSR_IJSJ_SJ_EEES6_PlJS6_EEE10hipError_tPvRmT3_T4_T5_T6_T7_T9_mT8_P12ihipStream_tbDpT10_ENKUlT_T0_E_clISt17integral_constantIbLb0EES1F_EEDaS1A_S1B_EUlS1A_E_NS1_11comp_targetILNS1_3genE5ELNS1_11target_archE942ELNS1_3gpuE9ELNS1_3repE0EEENS1_30default_config_static_selectorELNS0_4arch9wavefront6targetE1EEEvT1_
    .private_segment_fixed_size: 0
    .sgpr_count:     52
    .sgpr_spill_count: 0
    .symbol:         _ZN7rocprim17ROCPRIM_400000_NS6detail17trampoline_kernelINS0_14default_configENS1_25partition_config_selectorILNS1_17partition_subalgoE2EsNS0_10empty_typeEbEEZZNS1_14partition_implILS5_2ELb0ES3_jN6thrust23THRUST_200600_302600_NS6detail15normal_iteratorINSA_7pointerIsNSA_11hip_rocprim3tagENSA_11use_defaultESG_EEEEPS6_NSA_18transform_iteratorINSA_8identityIsEENSC_INSA_10device_ptrIsEEEESG_SG_EENS0_5tupleIJPsSJ_EEENSR_IJSJ_SJ_EEES6_PlJS6_EEE10hipError_tPvRmT3_T4_T5_T6_T7_T9_mT8_P12ihipStream_tbDpT10_ENKUlT_T0_E_clISt17integral_constantIbLb0EES1F_EEDaS1A_S1B_EUlS1A_E_NS1_11comp_targetILNS1_3genE5ELNS1_11target_archE942ELNS1_3gpuE9ELNS1_3repE0EEENS1_30default_config_static_selectorELNS0_4arch9wavefront6targetE1EEEvT1_.kd
    .uniform_work_group_size: 1
    .uses_dynamic_stack: false
    .vgpr_count:     100
    .vgpr_spill_count: 0
    .wavefront_size: 64
  - .agpr_count:     0
    .args:
      - .offset:         0
        .size:           128
        .value_kind:     by_value
    .group_segment_fixed_size: 0
    .kernarg_segment_align: 8
    .kernarg_segment_size: 128
    .language:       OpenCL C
    .language_version:
      - 2
      - 0
    .max_flat_workgroup_size: 256
    .name:           _ZN7rocprim17ROCPRIM_400000_NS6detail17trampoline_kernelINS0_14default_configENS1_25partition_config_selectorILNS1_17partition_subalgoE2EsNS0_10empty_typeEbEEZZNS1_14partition_implILS5_2ELb0ES3_jN6thrust23THRUST_200600_302600_NS6detail15normal_iteratorINSA_7pointerIsNSA_11hip_rocprim3tagENSA_11use_defaultESG_EEEEPS6_NSA_18transform_iteratorINSA_8identityIsEENSC_INSA_10device_ptrIsEEEESG_SG_EENS0_5tupleIJPsSJ_EEENSR_IJSJ_SJ_EEES6_PlJS6_EEE10hipError_tPvRmT3_T4_T5_T6_T7_T9_mT8_P12ihipStream_tbDpT10_ENKUlT_T0_E_clISt17integral_constantIbLb0EES1F_EEDaS1A_S1B_EUlS1A_E_NS1_11comp_targetILNS1_3genE4ELNS1_11target_archE910ELNS1_3gpuE8ELNS1_3repE0EEENS1_30default_config_static_selectorELNS0_4arch9wavefront6targetE1EEEvT1_
    .private_segment_fixed_size: 0
    .sgpr_count:     6
    .sgpr_spill_count: 0
    .symbol:         _ZN7rocprim17ROCPRIM_400000_NS6detail17trampoline_kernelINS0_14default_configENS1_25partition_config_selectorILNS1_17partition_subalgoE2EsNS0_10empty_typeEbEEZZNS1_14partition_implILS5_2ELb0ES3_jN6thrust23THRUST_200600_302600_NS6detail15normal_iteratorINSA_7pointerIsNSA_11hip_rocprim3tagENSA_11use_defaultESG_EEEEPS6_NSA_18transform_iteratorINSA_8identityIsEENSC_INSA_10device_ptrIsEEEESG_SG_EENS0_5tupleIJPsSJ_EEENSR_IJSJ_SJ_EEES6_PlJS6_EEE10hipError_tPvRmT3_T4_T5_T6_T7_T9_mT8_P12ihipStream_tbDpT10_ENKUlT_T0_E_clISt17integral_constantIbLb0EES1F_EEDaS1A_S1B_EUlS1A_E_NS1_11comp_targetILNS1_3genE4ELNS1_11target_archE910ELNS1_3gpuE8ELNS1_3repE0EEENS1_30default_config_static_selectorELNS0_4arch9wavefront6targetE1EEEvT1_.kd
    .uniform_work_group_size: 1
    .uses_dynamic_stack: false
    .vgpr_count:     0
    .vgpr_spill_count: 0
    .wavefront_size: 64
  - .agpr_count:     0
    .args:
      - .offset:         0
        .size:           128
        .value_kind:     by_value
    .group_segment_fixed_size: 0
    .kernarg_segment_align: 8
    .kernarg_segment_size: 128
    .language:       OpenCL C
    .language_version:
      - 2
      - 0
    .max_flat_workgroup_size: 256
    .name:           _ZN7rocprim17ROCPRIM_400000_NS6detail17trampoline_kernelINS0_14default_configENS1_25partition_config_selectorILNS1_17partition_subalgoE2EsNS0_10empty_typeEbEEZZNS1_14partition_implILS5_2ELb0ES3_jN6thrust23THRUST_200600_302600_NS6detail15normal_iteratorINSA_7pointerIsNSA_11hip_rocprim3tagENSA_11use_defaultESG_EEEEPS6_NSA_18transform_iteratorINSA_8identityIsEENSC_INSA_10device_ptrIsEEEESG_SG_EENS0_5tupleIJPsSJ_EEENSR_IJSJ_SJ_EEES6_PlJS6_EEE10hipError_tPvRmT3_T4_T5_T6_T7_T9_mT8_P12ihipStream_tbDpT10_ENKUlT_T0_E_clISt17integral_constantIbLb0EES1F_EEDaS1A_S1B_EUlS1A_E_NS1_11comp_targetILNS1_3genE3ELNS1_11target_archE908ELNS1_3gpuE7ELNS1_3repE0EEENS1_30default_config_static_selectorELNS0_4arch9wavefront6targetE1EEEvT1_
    .private_segment_fixed_size: 0
    .sgpr_count:     6
    .sgpr_spill_count: 0
    .symbol:         _ZN7rocprim17ROCPRIM_400000_NS6detail17trampoline_kernelINS0_14default_configENS1_25partition_config_selectorILNS1_17partition_subalgoE2EsNS0_10empty_typeEbEEZZNS1_14partition_implILS5_2ELb0ES3_jN6thrust23THRUST_200600_302600_NS6detail15normal_iteratorINSA_7pointerIsNSA_11hip_rocprim3tagENSA_11use_defaultESG_EEEEPS6_NSA_18transform_iteratorINSA_8identityIsEENSC_INSA_10device_ptrIsEEEESG_SG_EENS0_5tupleIJPsSJ_EEENSR_IJSJ_SJ_EEES6_PlJS6_EEE10hipError_tPvRmT3_T4_T5_T6_T7_T9_mT8_P12ihipStream_tbDpT10_ENKUlT_T0_E_clISt17integral_constantIbLb0EES1F_EEDaS1A_S1B_EUlS1A_E_NS1_11comp_targetILNS1_3genE3ELNS1_11target_archE908ELNS1_3gpuE7ELNS1_3repE0EEENS1_30default_config_static_selectorELNS0_4arch9wavefront6targetE1EEEvT1_.kd
    .uniform_work_group_size: 1
    .uses_dynamic_stack: false
    .vgpr_count:     0
    .vgpr_spill_count: 0
    .wavefront_size: 64
  - .agpr_count:     0
    .args:
      - .offset:         0
        .size:           128
        .value_kind:     by_value
    .group_segment_fixed_size: 0
    .kernarg_segment_align: 8
    .kernarg_segment_size: 128
    .language:       OpenCL C
    .language_version:
      - 2
      - 0
    .max_flat_workgroup_size: 256
    .name:           _ZN7rocprim17ROCPRIM_400000_NS6detail17trampoline_kernelINS0_14default_configENS1_25partition_config_selectorILNS1_17partition_subalgoE2EsNS0_10empty_typeEbEEZZNS1_14partition_implILS5_2ELb0ES3_jN6thrust23THRUST_200600_302600_NS6detail15normal_iteratorINSA_7pointerIsNSA_11hip_rocprim3tagENSA_11use_defaultESG_EEEEPS6_NSA_18transform_iteratorINSA_8identityIsEENSC_INSA_10device_ptrIsEEEESG_SG_EENS0_5tupleIJPsSJ_EEENSR_IJSJ_SJ_EEES6_PlJS6_EEE10hipError_tPvRmT3_T4_T5_T6_T7_T9_mT8_P12ihipStream_tbDpT10_ENKUlT_T0_E_clISt17integral_constantIbLb0EES1F_EEDaS1A_S1B_EUlS1A_E_NS1_11comp_targetILNS1_3genE2ELNS1_11target_archE906ELNS1_3gpuE6ELNS1_3repE0EEENS1_30default_config_static_selectorELNS0_4arch9wavefront6targetE1EEEvT1_
    .private_segment_fixed_size: 0
    .sgpr_count:     6
    .sgpr_spill_count: 0
    .symbol:         _ZN7rocprim17ROCPRIM_400000_NS6detail17trampoline_kernelINS0_14default_configENS1_25partition_config_selectorILNS1_17partition_subalgoE2EsNS0_10empty_typeEbEEZZNS1_14partition_implILS5_2ELb0ES3_jN6thrust23THRUST_200600_302600_NS6detail15normal_iteratorINSA_7pointerIsNSA_11hip_rocprim3tagENSA_11use_defaultESG_EEEEPS6_NSA_18transform_iteratorINSA_8identityIsEENSC_INSA_10device_ptrIsEEEESG_SG_EENS0_5tupleIJPsSJ_EEENSR_IJSJ_SJ_EEES6_PlJS6_EEE10hipError_tPvRmT3_T4_T5_T6_T7_T9_mT8_P12ihipStream_tbDpT10_ENKUlT_T0_E_clISt17integral_constantIbLb0EES1F_EEDaS1A_S1B_EUlS1A_E_NS1_11comp_targetILNS1_3genE2ELNS1_11target_archE906ELNS1_3gpuE6ELNS1_3repE0EEENS1_30default_config_static_selectorELNS0_4arch9wavefront6targetE1EEEvT1_.kd
    .uniform_work_group_size: 1
    .uses_dynamic_stack: false
    .vgpr_count:     0
    .vgpr_spill_count: 0
    .wavefront_size: 64
  - .agpr_count:     0
    .args:
      - .offset:         0
        .size:           128
        .value_kind:     by_value
    .group_segment_fixed_size: 0
    .kernarg_segment_align: 8
    .kernarg_segment_size: 128
    .language:       OpenCL C
    .language_version:
      - 2
      - 0
    .max_flat_workgroup_size: 256
    .name:           _ZN7rocprim17ROCPRIM_400000_NS6detail17trampoline_kernelINS0_14default_configENS1_25partition_config_selectorILNS1_17partition_subalgoE2EsNS0_10empty_typeEbEEZZNS1_14partition_implILS5_2ELb0ES3_jN6thrust23THRUST_200600_302600_NS6detail15normal_iteratorINSA_7pointerIsNSA_11hip_rocprim3tagENSA_11use_defaultESG_EEEEPS6_NSA_18transform_iteratorINSA_8identityIsEENSC_INSA_10device_ptrIsEEEESG_SG_EENS0_5tupleIJPsSJ_EEENSR_IJSJ_SJ_EEES6_PlJS6_EEE10hipError_tPvRmT3_T4_T5_T6_T7_T9_mT8_P12ihipStream_tbDpT10_ENKUlT_T0_E_clISt17integral_constantIbLb0EES1F_EEDaS1A_S1B_EUlS1A_E_NS1_11comp_targetILNS1_3genE10ELNS1_11target_archE1200ELNS1_3gpuE4ELNS1_3repE0EEENS1_30default_config_static_selectorELNS0_4arch9wavefront6targetE1EEEvT1_
    .private_segment_fixed_size: 0
    .sgpr_count:     6
    .sgpr_spill_count: 0
    .symbol:         _ZN7rocprim17ROCPRIM_400000_NS6detail17trampoline_kernelINS0_14default_configENS1_25partition_config_selectorILNS1_17partition_subalgoE2EsNS0_10empty_typeEbEEZZNS1_14partition_implILS5_2ELb0ES3_jN6thrust23THRUST_200600_302600_NS6detail15normal_iteratorINSA_7pointerIsNSA_11hip_rocprim3tagENSA_11use_defaultESG_EEEEPS6_NSA_18transform_iteratorINSA_8identityIsEENSC_INSA_10device_ptrIsEEEESG_SG_EENS0_5tupleIJPsSJ_EEENSR_IJSJ_SJ_EEES6_PlJS6_EEE10hipError_tPvRmT3_T4_T5_T6_T7_T9_mT8_P12ihipStream_tbDpT10_ENKUlT_T0_E_clISt17integral_constantIbLb0EES1F_EEDaS1A_S1B_EUlS1A_E_NS1_11comp_targetILNS1_3genE10ELNS1_11target_archE1200ELNS1_3gpuE4ELNS1_3repE0EEENS1_30default_config_static_selectorELNS0_4arch9wavefront6targetE1EEEvT1_.kd
    .uniform_work_group_size: 1
    .uses_dynamic_stack: false
    .vgpr_count:     0
    .vgpr_spill_count: 0
    .wavefront_size: 64
  - .agpr_count:     0
    .args:
      - .offset:         0
        .size:           128
        .value_kind:     by_value
    .group_segment_fixed_size: 0
    .kernarg_segment_align: 8
    .kernarg_segment_size: 128
    .language:       OpenCL C
    .language_version:
      - 2
      - 0
    .max_flat_workgroup_size: 128
    .name:           _ZN7rocprim17ROCPRIM_400000_NS6detail17trampoline_kernelINS0_14default_configENS1_25partition_config_selectorILNS1_17partition_subalgoE2EsNS0_10empty_typeEbEEZZNS1_14partition_implILS5_2ELb0ES3_jN6thrust23THRUST_200600_302600_NS6detail15normal_iteratorINSA_7pointerIsNSA_11hip_rocprim3tagENSA_11use_defaultESG_EEEEPS6_NSA_18transform_iteratorINSA_8identityIsEENSC_INSA_10device_ptrIsEEEESG_SG_EENS0_5tupleIJPsSJ_EEENSR_IJSJ_SJ_EEES6_PlJS6_EEE10hipError_tPvRmT3_T4_T5_T6_T7_T9_mT8_P12ihipStream_tbDpT10_ENKUlT_T0_E_clISt17integral_constantIbLb0EES1F_EEDaS1A_S1B_EUlS1A_E_NS1_11comp_targetILNS1_3genE9ELNS1_11target_archE1100ELNS1_3gpuE3ELNS1_3repE0EEENS1_30default_config_static_selectorELNS0_4arch9wavefront6targetE1EEEvT1_
    .private_segment_fixed_size: 0
    .sgpr_count:     6
    .sgpr_spill_count: 0
    .symbol:         _ZN7rocprim17ROCPRIM_400000_NS6detail17trampoline_kernelINS0_14default_configENS1_25partition_config_selectorILNS1_17partition_subalgoE2EsNS0_10empty_typeEbEEZZNS1_14partition_implILS5_2ELb0ES3_jN6thrust23THRUST_200600_302600_NS6detail15normal_iteratorINSA_7pointerIsNSA_11hip_rocprim3tagENSA_11use_defaultESG_EEEEPS6_NSA_18transform_iteratorINSA_8identityIsEENSC_INSA_10device_ptrIsEEEESG_SG_EENS0_5tupleIJPsSJ_EEENSR_IJSJ_SJ_EEES6_PlJS6_EEE10hipError_tPvRmT3_T4_T5_T6_T7_T9_mT8_P12ihipStream_tbDpT10_ENKUlT_T0_E_clISt17integral_constantIbLb0EES1F_EEDaS1A_S1B_EUlS1A_E_NS1_11comp_targetILNS1_3genE9ELNS1_11target_archE1100ELNS1_3gpuE3ELNS1_3repE0EEENS1_30default_config_static_selectorELNS0_4arch9wavefront6targetE1EEEvT1_.kd
    .uniform_work_group_size: 1
    .uses_dynamic_stack: false
    .vgpr_count:     0
    .vgpr_spill_count: 0
    .wavefront_size: 64
  - .agpr_count:     0
    .args:
      - .offset:         0
        .size:           128
        .value_kind:     by_value
    .group_segment_fixed_size: 0
    .kernarg_segment_align: 8
    .kernarg_segment_size: 128
    .language:       OpenCL C
    .language_version:
      - 2
      - 0
    .max_flat_workgroup_size: 512
    .name:           _ZN7rocprim17ROCPRIM_400000_NS6detail17trampoline_kernelINS0_14default_configENS1_25partition_config_selectorILNS1_17partition_subalgoE2EsNS0_10empty_typeEbEEZZNS1_14partition_implILS5_2ELb0ES3_jN6thrust23THRUST_200600_302600_NS6detail15normal_iteratorINSA_7pointerIsNSA_11hip_rocprim3tagENSA_11use_defaultESG_EEEEPS6_NSA_18transform_iteratorINSA_8identityIsEENSC_INSA_10device_ptrIsEEEESG_SG_EENS0_5tupleIJPsSJ_EEENSR_IJSJ_SJ_EEES6_PlJS6_EEE10hipError_tPvRmT3_T4_T5_T6_T7_T9_mT8_P12ihipStream_tbDpT10_ENKUlT_T0_E_clISt17integral_constantIbLb0EES1F_EEDaS1A_S1B_EUlS1A_E_NS1_11comp_targetILNS1_3genE8ELNS1_11target_archE1030ELNS1_3gpuE2ELNS1_3repE0EEENS1_30default_config_static_selectorELNS0_4arch9wavefront6targetE1EEEvT1_
    .private_segment_fixed_size: 0
    .sgpr_count:     6
    .sgpr_spill_count: 0
    .symbol:         _ZN7rocprim17ROCPRIM_400000_NS6detail17trampoline_kernelINS0_14default_configENS1_25partition_config_selectorILNS1_17partition_subalgoE2EsNS0_10empty_typeEbEEZZNS1_14partition_implILS5_2ELb0ES3_jN6thrust23THRUST_200600_302600_NS6detail15normal_iteratorINSA_7pointerIsNSA_11hip_rocprim3tagENSA_11use_defaultESG_EEEEPS6_NSA_18transform_iteratorINSA_8identityIsEENSC_INSA_10device_ptrIsEEEESG_SG_EENS0_5tupleIJPsSJ_EEENSR_IJSJ_SJ_EEES6_PlJS6_EEE10hipError_tPvRmT3_T4_T5_T6_T7_T9_mT8_P12ihipStream_tbDpT10_ENKUlT_T0_E_clISt17integral_constantIbLb0EES1F_EEDaS1A_S1B_EUlS1A_E_NS1_11comp_targetILNS1_3genE8ELNS1_11target_archE1030ELNS1_3gpuE2ELNS1_3repE0EEENS1_30default_config_static_selectorELNS0_4arch9wavefront6targetE1EEEvT1_.kd
    .uniform_work_group_size: 1
    .uses_dynamic_stack: false
    .vgpr_count:     0
    .vgpr_spill_count: 0
    .wavefront_size: 64
  - .agpr_count:     0
    .args:
      - .offset:         0
        .size:           144
        .value_kind:     by_value
    .group_segment_fixed_size: 0
    .kernarg_segment_align: 8
    .kernarg_segment_size: 144
    .language:       OpenCL C
    .language_version:
      - 2
      - 0
    .max_flat_workgroup_size: 256
    .name:           _ZN7rocprim17ROCPRIM_400000_NS6detail17trampoline_kernelINS0_14default_configENS1_25partition_config_selectorILNS1_17partition_subalgoE2EsNS0_10empty_typeEbEEZZNS1_14partition_implILS5_2ELb0ES3_jN6thrust23THRUST_200600_302600_NS6detail15normal_iteratorINSA_7pointerIsNSA_11hip_rocprim3tagENSA_11use_defaultESG_EEEEPS6_NSA_18transform_iteratorINSA_8identityIsEENSC_INSA_10device_ptrIsEEEESG_SG_EENS0_5tupleIJPsSJ_EEENSR_IJSJ_SJ_EEES6_PlJS6_EEE10hipError_tPvRmT3_T4_T5_T6_T7_T9_mT8_P12ihipStream_tbDpT10_ENKUlT_T0_E_clISt17integral_constantIbLb1EES1F_EEDaS1A_S1B_EUlS1A_E_NS1_11comp_targetILNS1_3genE0ELNS1_11target_archE4294967295ELNS1_3gpuE0ELNS1_3repE0EEENS1_30default_config_static_selectorELNS0_4arch9wavefront6targetE1EEEvT1_
    .private_segment_fixed_size: 0
    .sgpr_count:     6
    .sgpr_spill_count: 0
    .symbol:         _ZN7rocprim17ROCPRIM_400000_NS6detail17trampoline_kernelINS0_14default_configENS1_25partition_config_selectorILNS1_17partition_subalgoE2EsNS0_10empty_typeEbEEZZNS1_14partition_implILS5_2ELb0ES3_jN6thrust23THRUST_200600_302600_NS6detail15normal_iteratorINSA_7pointerIsNSA_11hip_rocprim3tagENSA_11use_defaultESG_EEEEPS6_NSA_18transform_iteratorINSA_8identityIsEENSC_INSA_10device_ptrIsEEEESG_SG_EENS0_5tupleIJPsSJ_EEENSR_IJSJ_SJ_EEES6_PlJS6_EEE10hipError_tPvRmT3_T4_T5_T6_T7_T9_mT8_P12ihipStream_tbDpT10_ENKUlT_T0_E_clISt17integral_constantIbLb1EES1F_EEDaS1A_S1B_EUlS1A_E_NS1_11comp_targetILNS1_3genE0ELNS1_11target_archE4294967295ELNS1_3gpuE0ELNS1_3repE0EEENS1_30default_config_static_selectorELNS0_4arch9wavefront6targetE1EEEvT1_.kd
    .uniform_work_group_size: 1
    .uses_dynamic_stack: false
    .vgpr_count:     0
    .vgpr_spill_count: 0
    .wavefront_size: 64
  - .agpr_count:     0
    .args:
      - .offset:         0
        .size:           144
        .value_kind:     by_value
    .group_segment_fixed_size: 30728
    .kernarg_segment_align: 8
    .kernarg_segment_size: 144
    .language:       OpenCL C
    .language_version:
      - 2
      - 0
    .max_flat_workgroup_size: 512
    .name:           _ZN7rocprim17ROCPRIM_400000_NS6detail17trampoline_kernelINS0_14default_configENS1_25partition_config_selectorILNS1_17partition_subalgoE2EsNS0_10empty_typeEbEEZZNS1_14partition_implILS5_2ELb0ES3_jN6thrust23THRUST_200600_302600_NS6detail15normal_iteratorINSA_7pointerIsNSA_11hip_rocprim3tagENSA_11use_defaultESG_EEEEPS6_NSA_18transform_iteratorINSA_8identityIsEENSC_INSA_10device_ptrIsEEEESG_SG_EENS0_5tupleIJPsSJ_EEENSR_IJSJ_SJ_EEES6_PlJS6_EEE10hipError_tPvRmT3_T4_T5_T6_T7_T9_mT8_P12ihipStream_tbDpT10_ENKUlT_T0_E_clISt17integral_constantIbLb1EES1F_EEDaS1A_S1B_EUlS1A_E_NS1_11comp_targetILNS1_3genE5ELNS1_11target_archE942ELNS1_3gpuE9ELNS1_3repE0EEENS1_30default_config_static_selectorELNS0_4arch9wavefront6targetE1EEEvT1_
    .private_segment_fixed_size: 0
    .sgpr_count:     52
    .sgpr_spill_count: 0
    .symbol:         _ZN7rocprim17ROCPRIM_400000_NS6detail17trampoline_kernelINS0_14default_configENS1_25partition_config_selectorILNS1_17partition_subalgoE2EsNS0_10empty_typeEbEEZZNS1_14partition_implILS5_2ELb0ES3_jN6thrust23THRUST_200600_302600_NS6detail15normal_iteratorINSA_7pointerIsNSA_11hip_rocprim3tagENSA_11use_defaultESG_EEEEPS6_NSA_18transform_iteratorINSA_8identityIsEENSC_INSA_10device_ptrIsEEEESG_SG_EENS0_5tupleIJPsSJ_EEENSR_IJSJ_SJ_EEES6_PlJS6_EEE10hipError_tPvRmT3_T4_T5_T6_T7_T9_mT8_P12ihipStream_tbDpT10_ENKUlT_T0_E_clISt17integral_constantIbLb1EES1F_EEDaS1A_S1B_EUlS1A_E_NS1_11comp_targetILNS1_3genE5ELNS1_11target_archE942ELNS1_3gpuE9ELNS1_3repE0EEENS1_30default_config_static_selectorELNS0_4arch9wavefront6targetE1EEEvT1_.kd
    .uniform_work_group_size: 1
    .uses_dynamic_stack: false
    .vgpr_count:     102
    .vgpr_spill_count: 0
    .wavefront_size: 64
  - .agpr_count:     0
    .args:
      - .offset:         0
        .size:           144
        .value_kind:     by_value
    .group_segment_fixed_size: 0
    .kernarg_segment_align: 8
    .kernarg_segment_size: 144
    .language:       OpenCL C
    .language_version:
      - 2
      - 0
    .max_flat_workgroup_size: 256
    .name:           _ZN7rocprim17ROCPRIM_400000_NS6detail17trampoline_kernelINS0_14default_configENS1_25partition_config_selectorILNS1_17partition_subalgoE2EsNS0_10empty_typeEbEEZZNS1_14partition_implILS5_2ELb0ES3_jN6thrust23THRUST_200600_302600_NS6detail15normal_iteratorINSA_7pointerIsNSA_11hip_rocprim3tagENSA_11use_defaultESG_EEEEPS6_NSA_18transform_iteratorINSA_8identityIsEENSC_INSA_10device_ptrIsEEEESG_SG_EENS0_5tupleIJPsSJ_EEENSR_IJSJ_SJ_EEES6_PlJS6_EEE10hipError_tPvRmT3_T4_T5_T6_T7_T9_mT8_P12ihipStream_tbDpT10_ENKUlT_T0_E_clISt17integral_constantIbLb1EES1F_EEDaS1A_S1B_EUlS1A_E_NS1_11comp_targetILNS1_3genE4ELNS1_11target_archE910ELNS1_3gpuE8ELNS1_3repE0EEENS1_30default_config_static_selectorELNS0_4arch9wavefront6targetE1EEEvT1_
    .private_segment_fixed_size: 0
    .sgpr_count:     6
    .sgpr_spill_count: 0
    .symbol:         _ZN7rocprim17ROCPRIM_400000_NS6detail17trampoline_kernelINS0_14default_configENS1_25partition_config_selectorILNS1_17partition_subalgoE2EsNS0_10empty_typeEbEEZZNS1_14partition_implILS5_2ELb0ES3_jN6thrust23THRUST_200600_302600_NS6detail15normal_iteratorINSA_7pointerIsNSA_11hip_rocprim3tagENSA_11use_defaultESG_EEEEPS6_NSA_18transform_iteratorINSA_8identityIsEENSC_INSA_10device_ptrIsEEEESG_SG_EENS0_5tupleIJPsSJ_EEENSR_IJSJ_SJ_EEES6_PlJS6_EEE10hipError_tPvRmT3_T4_T5_T6_T7_T9_mT8_P12ihipStream_tbDpT10_ENKUlT_T0_E_clISt17integral_constantIbLb1EES1F_EEDaS1A_S1B_EUlS1A_E_NS1_11comp_targetILNS1_3genE4ELNS1_11target_archE910ELNS1_3gpuE8ELNS1_3repE0EEENS1_30default_config_static_selectorELNS0_4arch9wavefront6targetE1EEEvT1_.kd
    .uniform_work_group_size: 1
    .uses_dynamic_stack: false
    .vgpr_count:     0
    .vgpr_spill_count: 0
    .wavefront_size: 64
  - .agpr_count:     0
    .args:
      - .offset:         0
        .size:           144
        .value_kind:     by_value
    .group_segment_fixed_size: 0
    .kernarg_segment_align: 8
    .kernarg_segment_size: 144
    .language:       OpenCL C
    .language_version:
      - 2
      - 0
    .max_flat_workgroup_size: 256
    .name:           _ZN7rocprim17ROCPRIM_400000_NS6detail17trampoline_kernelINS0_14default_configENS1_25partition_config_selectorILNS1_17partition_subalgoE2EsNS0_10empty_typeEbEEZZNS1_14partition_implILS5_2ELb0ES3_jN6thrust23THRUST_200600_302600_NS6detail15normal_iteratorINSA_7pointerIsNSA_11hip_rocprim3tagENSA_11use_defaultESG_EEEEPS6_NSA_18transform_iteratorINSA_8identityIsEENSC_INSA_10device_ptrIsEEEESG_SG_EENS0_5tupleIJPsSJ_EEENSR_IJSJ_SJ_EEES6_PlJS6_EEE10hipError_tPvRmT3_T4_T5_T6_T7_T9_mT8_P12ihipStream_tbDpT10_ENKUlT_T0_E_clISt17integral_constantIbLb1EES1F_EEDaS1A_S1B_EUlS1A_E_NS1_11comp_targetILNS1_3genE3ELNS1_11target_archE908ELNS1_3gpuE7ELNS1_3repE0EEENS1_30default_config_static_selectorELNS0_4arch9wavefront6targetE1EEEvT1_
    .private_segment_fixed_size: 0
    .sgpr_count:     6
    .sgpr_spill_count: 0
    .symbol:         _ZN7rocprim17ROCPRIM_400000_NS6detail17trampoline_kernelINS0_14default_configENS1_25partition_config_selectorILNS1_17partition_subalgoE2EsNS0_10empty_typeEbEEZZNS1_14partition_implILS5_2ELb0ES3_jN6thrust23THRUST_200600_302600_NS6detail15normal_iteratorINSA_7pointerIsNSA_11hip_rocprim3tagENSA_11use_defaultESG_EEEEPS6_NSA_18transform_iteratorINSA_8identityIsEENSC_INSA_10device_ptrIsEEEESG_SG_EENS0_5tupleIJPsSJ_EEENSR_IJSJ_SJ_EEES6_PlJS6_EEE10hipError_tPvRmT3_T4_T5_T6_T7_T9_mT8_P12ihipStream_tbDpT10_ENKUlT_T0_E_clISt17integral_constantIbLb1EES1F_EEDaS1A_S1B_EUlS1A_E_NS1_11comp_targetILNS1_3genE3ELNS1_11target_archE908ELNS1_3gpuE7ELNS1_3repE0EEENS1_30default_config_static_selectorELNS0_4arch9wavefront6targetE1EEEvT1_.kd
    .uniform_work_group_size: 1
    .uses_dynamic_stack: false
    .vgpr_count:     0
    .vgpr_spill_count: 0
    .wavefront_size: 64
  - .agpr_count:     0
    .args:
      - .offset:         0
        .size:           144
        .value_kind:     by_value
    .group_segment_fixed_size: 0
    .kernarg_segment_align: 8
    .kernarg_segment_size: 144
    .language:       OpenCL C
    .language_version:
      - 2
      - 0
    .max_flat_workgroup_size: 256
    .name:           _ZN7rocprim17ROCPRIM_400000_NS6detail17trampoline_kernelINS0_14default_configENS1_25partition_config_selectorILNS1_17partition_subalgoE2EsNS0_10empty_typeEbEEZZNS1_14partition_implILS5_2ELb0ES3_jN6thrust23THRUST_200600_302600_NS6detail15normal_iteratorINSA_7pointerIsNSA_11hip_rocprim3tagENSA_11use_defaultESG_EEEEPS6_NSA_18transform_iteratorINSA_8identityIsEENSC_INSA_10device_ptrIsEEEESG_SG_EENS0_5tupleIJPsSJ_EEENSR_IJSJ_SJ_EEES6_PlJS6_EEE10hipError_tPvRmT3_T4_T5_T6_T7_T9_mT8_P12ihipStream_tbDpT10_ENKUlT_T0_E_clISt17integral_constantIbLb1EES1F_EEDaS1A_S1B_EUlS1A_E_NS1_11comp_targetILNS1_3genE2ELNS1_11target_archE906ELNS1_3gpuE6ELNS1_3repE0EEENS1_30default_config_static_selectorELNS0_4arch9wavefront6targetE1EEEvT1_
    .private_segment_fixed_size: 0
    .sgpr_count:     6
    .sgpr_spill_count: 0
    .symbol:         _ZN7rocprim17ROCPRIM_400000_NS6detail17trampoline_kernelINS0_14default_configENS1_25partition_config_selectorILNS1_17partition_subalgoE2EsNS0_10empty_typeEbEEZZNS1_14partition_implILS5_2ELb0ES3_jN6thrust23THRUST_200600_302600_NS6detail15normal_iteratorINSA_7pointerIsNSA_11hip_rocprim3tagENSA_11use_defaultESG_EEEEPS6_NSA_18transform_iteratorINSA_8identityIsEENSC_INSA_10device_ptrIsEEEESG_SG_EENS0_5tupleIJPsSJ_EEENSR_IJSJ_SJ_EEES6_PlJS6_EEE10hipError_tPvRmT3_T4_T5_T6_T7_T9_mT8_P12ihipStream_tbDpT10_ENKUlT_T0_E_clISt17integral_constantIbLb1EES1F_EEDaS1A_S1B_EUlS1A_E_NS1_11comp_targetILNS1_3genE2ELNS1_11target_archE906ELNS1_3gpuE6ELNS1_3repE0EEENS1_30default_config_static_selectorELNS0_4arch9wavefront6targetE1EEEvT1_.kd
    .uniform_work_group_size: 1
    .uses_dynamic_stack: false
    .vgpr_count:     0
    .vgpr_spill_count: 0
    .wavefront_size: 64
  - .agpr_count:     0
    .args:
      - .offset:         0
        .size:           144
        .value_kind:     by_value
    .group_segment_fixed_size: 0
    .kernarg_segment_align: 8
    .kernarg_segment_size: 144
    .language:       OpenCL C
    .language_version:
      - 2
      - 0
    .max_flat_workgroup_size: 256
    .name:           _ZN7rocprim17ROCPRIM_400000_NS6detail17trampoline_kernelINS0_14default_configENS1_25partition_config_selectorILNS1_17partition_subalgoE2EsNS0_10empty_typeEbEEZZNS1_14partition_implILS5_2ELb0ES3_jN6thrust23THRUST_200600_302600_NS6detail15normal_iteratorINSA_7pointerIsNSA_11hip_rocprim3tagENSA_11use_defaultESG_EEEEPS6_NSA_18transform_iteratorINSA_8identityIsEENSC_INSA_10device_ptrIsEEEESG_SG_EENS0_5tupleIJPsSJ_EEENSR_IJSJ_SJ_EEES6_PlJS6_EEE10hipError_tPvRmT3_T4_T5_T6_T7_T9_mT8_P12ihipStream_tbDpT10_ENKUlT_T0_E_clISt17integral_constantIbLb1EES1F_EEDaS1A_S1B_EUlS1A_E_NS1_11comp_targetILNS1_3genE10ELNS1_11target_archE1200ELNS1_3gpuE4ELNS1_3repE0EEENS1_30default_config_static_selectorELNS0_4arch9wavefront6targetE1EEEvT1_
    .private_segment_fixed_size: 0
    .sgpr_count:     6
    .sgpr_spill_count: 0
    .symbol:         _ZN7rocprim17ROCPRIM_400000_NS6detail17trampoline_kernelINS0_14default_configENS1_25partition_config_selectorILNS1_17partition_subalgoE2EsNS0_10empty_typeEbEEZZNS1_14partition_implILS5_2ELb0ES3_jN6thrust23THRUST_200600_302600_NS6detail15normal_iteratorINSA_7pointerIsNSA_11hip_rocprim3tagENSA_11use_defaultESG_EEEEPS6_NSA_18transform_iteratorINSA_8identityIsEENSC_INSA_10device_ptrIsEEEESG_SG_EENS0_5tupleIJPsSJ_EEENSR_IJSJ_SJ_EEES6_PlJS6_EEE10hipError_tPvRmT3_T4_T5_T6_T7_T9_mT8_P12ihipStream_tbDpT10_ENKUlT_T0_E_clISt17integral_constantIbLb1EES1F_EEDaS1A_S1B_EUlS1A_E_NS1_11comp_targetILNS1_3genE10ELNS1_11target_archE1200ELNS1_3gpuE4ELNS1_3repE0EEENS1_30default_config_static_selectorELNS0_4arch9wavefront6targetE1EEEvT1_.kd
    .uniform_work_group_size: 1
    .uses_dynamic_stack: false
    .vgpr_count:     0
    .vgpr_spill_count: 0
    .wavefront_size: 64
  - .agpr_count:     0
    .args:
      - .offset:         0
        .size:           144
        .value_kind:     by_value
    .group_segment_fixed_size: 0
    .kernarg_segment_align: 8
    .kernarg_segment_size: 144
    .language:       OpenCL C
    .language_version:
      - 2
      - 0
    .max_flat_workgroup_size: 128
    .name:           _ZN7rocprim17ROCPRIM_400000_NS6detail17trampoline_kernelINS0_14default_configENS1_25partition_config_selectorILNS1_17partition_subalgoE2EsNS0_10empty_typeEbEEZZNS1_14partition_implILS5_2ELb0ES3_jN6thrust23THRUST_200600_302600_NS6detail15normal_iteratorINSA_7pointerIsNSA_11hip_rocprim3tagENSA_11use_defaultESG_EEEEPS6_NSA_18transform_iteratorINSA_8identityIsEENSC_INSA_10device_ptrIsEEEESG_SG_EENS0_5tupleIJPsSJ_EEENSR_IJSJ_SJ_EEES6_PlJS6_EEE10hipError_tPvRmT3_T4_T5_T6_T7_T9_mT8_P12ihipStream_tbDpT10_ENKUlT_T0_E_clISt17integral_constantIbLb1EES1F_EEDaS1A_S1B_EUlS1A_E_NS1_11comp_targetILNS1_3genE9ELNS1_11target_archE1100ELNS1_3gpuE3ELNS1_3repE0EEENS1_30default_config_static_selectorELNS0_4arch9wavefront6targetE1EEEvT1_
    .private_segment_fixed_size: 0
    .sgpr_count:     6
    .sgpr_spill_count: 0
    .symbol:         _ZN7rocprim17ROCPRIM_400000_NS6detail17trampoline_kernelINS0_14default_configENS1_25partition_config_selectorILNS1_17partition_subalgoE2EsNS0_10empty_typeEbEEZZNS1_14partition_implILS5_2ELb0ES3_jN6thrust23THRUST_200600_302600_NS6detail15normal_iteratorINSA_7pointerIsNSA_11hip_rocprim3tagENSA_11use_defaultESG_EEEEPS6_NSA_18transform_iteratorINSA_8identityIsEENSC_INSA_10device_ptrIsEEEESG_SG_EENS0_5tupleIJPsSJ_EEENSR_IJSJ_SJ_EEES6_PlJS6_EEE10hipError_tPvRmT3_T4_T5_T6_T7_T9_mT8_P12ihipStream_tbDpT10_ENKUlT_T0_E_clISt17integral_constantIbLb1EES1F_EEDaS1A_S1B_EUlS1A_E_NS1_11comp_targetILNS1_3genE9ELNS1_11target_archE1100ELNS1_3gpuE3ELNS1_3repE0EEENS1_30default_config_static_selectorELNS0_4arch9wavefront6targetE1EEEvT1_.kd
    .uniform_work_group_size: 1
    .uses_dynamic_stack: false
    .vgpr_count:     0
    .vgpr_spill_count: 0
    .wavefront_size: 64
  - .agpr_count:     0
    .args:
      - .offset:         0
        .size:           144
        .value_kind:     by_value
    .group_segment_fixed_size: 0
    .kernarg_segment_align: 8
    .kernarg_segment_size: 144
    .language:       OpenCL C
    .language_version:
      - 2
      - 0
    .max_flat_workgroup_size: 512
    .name:           _ZN7rocprim17ROCPRIM_400000_NS6detail17trampoline_kernelINS0_14default_configENS1_25partition_config_selectorILNS1_17partition_subalgoE2EsNS0_10empty_typeEbEEZZNS1_14partition_implILS5_2ELb0ES3_jN6thrust23THRUST_200600_302600_NS6detail15normal_iteratorINSA_7pointerIsNSA_11hip_rocprim3tagENSA_11use_defaultESG_EEEEPS6_NSA_18transform_iteratorINSA_8identityIsEENSC_INSA_10device_ptrIsEEEESG_SG_EENS0_5tupleIJPsSJ_EEENSR_IJSJ_SJ_EEES6_PlJS6_EEE10hipError_tPvRmT3_T4_T5_T6_T7_T9_mT8_P12ihipStream_tbDpT10_ENKUlT_T0_E_clISt17integral_constantIbLb1EES1F_EEDaS1A_S1B_EUlS1A_E_NS1_11comp_targetILNS1_3genE8ELNS1_11target_archE1030ELNS1_3gpuE2ELNS1_3repE0EEENS1_30default_config_static_selectorELNS0_4arch9wavefront6targetE1EEEvT1_
    .private_segment_fixed_size: 0
    .sgpr_count:     6
    .sgpr_spill_count: 0
    .symbol:         _ZN7rocprim17ROCPRIM_400000_NS6detail17trampoline_kernelINS0_14default_configENS1_25partition_config_selectorILNS1_17partition_subalgoE2EsNS0_10empty_typeEbEEZZNS1_14partition_implILS5_2ELb0ES3_jN6thrust23THRUST_200600_302600_NS6detail15normal_iteratorINSA_7pointerIsNSA_11hip_rocprim3tagENSA_11use_defaultESG_EEEEPS6_NSA_18transform_iteratorINSA_8identityIsEENSC_INSA_10device_ptrIsEEEESG_SG_EENS0_5tupleIJPsSJ_EEENSR_IJSJ_SJ_EEES6_PlJS6_EEE10hipError_tPvRmT3_T4_T5_T6_T7_T9_mT8_P12ihipStream_tbDpT10_ENKUlT_T0_E_clISt17integral_constantIbLb1EES1F_EEDaS1A_S1B_EUlS1A_E_NS1_11comp_targetILNS1_3genE8ELNS1_11target_archE1030ELNS1_3gpuE2ELNS1_3repE0EEENS1_30default_config_static_selectorELNS0_4arch9wavefront6targetE1EEEvT1_.kd
    .uniform_work_group_size: 1
    .uses_dynamic_stack: false
    .vgpr_count:     0
    .vgpr_spill_count: 0
    .wavefront_size: 64
  - .agpr_count:     0
    .args:
      - .offset:         0
        .size:           128
        .value_kind:     by_value
    .group_segment_fixed_size: 0
    .kernarg_segment_align: 8
    .kernarg_segment_size: 128
    .language:       OpenCL C
    .language_version:
      - 2
      - 0
    .max_flat_workgroup_size: 256
    .name:           _ZN7rocprim17ROCPRIM_400000_NS6detail17trampoline_kernelINS0_14default_configENS1_25partition_config_selectorILNS1_17partition_subalgoE2EsNS0_10empty_typeEbEEZZNS1_14partition_implILS5_2ELb0ES3_jN6thrust23THRUST_200600_302600_NS6detail15normal_iteratorINSA_7pointerIsNSA_11hip_rocprim3tagENSA_11use_defaultESG_EEEEPS6_NSA_18transform_iteratorINSA_8identityIsEENSC_INSA_10device_ptrIsEEEESG_SG_EENS0_5tupleIJPsSJ_EEENSR_IJSJ_SJ_EEES6_PlJS6_EEE10hipError_tPvRmT3_T4_T5_T6_T7_T9_mT8_P12ihipStream_tbDpT10_ENKUlT_T0_E_clISt17integral_constantIbLb1EES1E_IbLb0EEEEDaS1A_S1B_EUlS1A_E_NS1_11comp_targetILNS1_3genE0ELNS1_11target_archE4294967295ELNS1_3gpuE0ELNS1_3repE0EEENS1_30default_config_static_selectorELNS0_4arch9wavefront6targetE1EEEvT1_
    .private_segment_fixed_size: 0
    .sgpr_count:     6
    .sgpr_spill_count: 0
    .symbol:         _ZN7rocprim17ROCPRIM_400000_NS6detail17trampoline_kernelINS0_14default_configENS1_25partition_config_selectorILNS1_17partition_subalgoE2EsNS0_10empty_typeEbEEZZNS1_14partition_implILS5_2ELb0ES3_jN6thrust23THRUST_200600_302600_NS6detail15normal_iteratorINSA_7pointerIsNSA_11hip_rocprim3tagENSA_11use_defaultESG_EEEEPS6_NSA_18transform_iteratorINSA_8identityIsEENSC_INSA_10device_ptrIsEEEESG_SG_EENS0_5tupleIJPsSJ_EEENSR_IJSJ_SJ_EEES6_PlJS6_EEE10hipError_tPvRmT3_T4_T5_T6_T7_T9_mT8_P12ihipStream_tbDpT10_ENKUlT_T0_E_clISt17integral_constantIbLb1EES1E_IbLb0EEEEDaS1A_S1B_EUlS1A_E_NS1_11comp_targetILNS1_3genE0ELNS1_11target_archE4294967295ELNS1_3gpuE0ELNS1_3repE0EEENS1_30default_config_static_selectorELNS0_4arch9wavefront6targetE1EEEvT1_.kd
    .uniform_work_group_size: 1
    .uses_dynamic_stack: false
    .vgpr_count:     0
    .vgpr_spill_count: 0
    .wavefront_size: 64
  - .agpr_count:     0
    .args:
      - .offset:         0
        .size:           128
        .value_kind:     by_value
    .group_segment_fixed_size: 30728
    .kernarg_segment_align: 8
    .kernarg_segment_size: 128
    .language:       OpenCL C
    .language_version:
      - 2
      - 0
    .max_flat_workgroup_size: 512
    .name:           _ZN7rocprim17ROCPRIM_400000_NS6detail17trampoline_kernelINS0_14default_configENS1_25partition_config_selectorILNS1_17partition_subalgoE2EsNS0_10empty_typeEbEEZZNS1_14partition_implILS5_2ELb0ES3_jN6thrust23THRUST_200600_302600_NS6detail15normal_iteratorINSA_7pointerIsNSA_11hip_rocprim3tagENSA_11use_defaultESG_EEEEPS6_NSA_18transform_iteratorINSA_8identityIsEENSC_INSA_10device_ptrIsEEEESG_SG_EENS0_5tupleIJPsSJ_EEENSR_IJSJ_SJ_EEES6_PlJS6_EEE10hipError_tPvRmT3_T4_T5_T6_T7_T9_mT8_P12ihipStream_tbDpT10_ENKUlT_T0_E_clISt17integral_constantIbLb1EES1E_IbLb0EEEEDaS1A_S1B_EUlS1A_E_NS1_11comp_targetILNS1_3genE5ELNS1_11target_archE942ELNS1_3gpuE9ELNS1_3repE0EEENS1_30default_config_static_selectorELNS0_4arch9wavefront6targetE1EEEvT1_
    .private_segment_fixed_size: 0
    .sgpr_count:     52
    .sgpr_spill_count: 0
    .symbol:         _ZN7rocprim17ROCPRIM_400000_NS6detail17trampoline_kernelINS0_14default_configENS1_25partition_config_selectorILNS1_17partition_subalgoE2EsNS0_10empty_typeEbEEZZNS1_14partition_implILS5_2ELb0ES3_jN6thrust23THRUST_200600_302600_NS6detail15normal_iteratorINSA_7pointerIsNSA_11hip_rocprim3tagENSA_11use_defaultESG_EEEEPS6_NSA_18transform_iteratorINSA_8identityIsEENSC_INSA_10device_ptrIsEEEESG_SG_EENS0_5tupleIJPsSJ_EEENSR_IJSJ_SJ_EEES6_PlJS6_EEE10hipError_tPvRmT3_T4_T5_T6_T7_T9_mT8_P12ihipStream_tbDpT10_ENKUlT_T0_E_clISt17integral_constantIbLb1EES1E_IbLb0EEEEDaS1A_S1B_EUlS1A_E_NS1_11comp_targetILNS1_3genE5ELNS1_11target_archE942ELNS1_3gpuE9ELNS1_3repE0EEENS1_30default_config_static_selectorELNS0_4arch9wavefront6targetE1EEEvT1_.kd
    .uniform_work_group_size: 1
    .uses_dynamic_stack: false
    .vgpr_count:     100
    .vgpr_spill_count: 0
    .wavefront_size: 64
  - .agpr_count:     0
    .args:
      - .offset:         0
        .size:           128
        .value_kind:     by_value
    .group_segment_fixed_size: 0
    .kernarg_segment_align: 8
    .kernarg_segment_size: 128
    .language:       OpenCL C
    .language_version:
      - 2
      - 0
    .max_flat_workgroup_size: 256
    .name:           _ZN7rocprim17ROCPRIM_400000_NS6detail17trampoline_kernelINS0_14default_configENS1_25partition_config_selectorILNS1_17partition_subalgoE2EsNS0_10empty_typeEbEEZZNS1_14partition_implILS5_2ELb0ES3_jN6thrust23THRUST_200600_302600_NS6detail15normal_iteratorINSA_7pointerIsNSA_11hip_rocprim3tagENSA_11use_defaultESG_EEEEPS6_NSA_18transform_iteratorINSA_8identityIsEENSC_INSA_10device_ptrIsEEEESG_SG_EENS0_5tupleIJPsSJ_EEENSR_IJSJ_SJ_EEES6_PlJS6_EEE10hipError_tPvRmT3_T4_T5_T6_T7_T9_mT8_P12ihipStream_tbDpT10_ENKUlT_T0_E_clISt17integral_constantIbLb1EES1E_IbLb0EEEEDaS1A_S1B_EUlS1A_E_NS1_11comp_targetILNS1_3genE4ELNS1_11target_archE910ELNS1_3gpuE8ELNS1_3repE0EEENS1_30default_config_static_selectorELNS0_4arch9wavefront6targetE1EEEvT1_
    .private_segment_fixed_size: 0
    .sgpr_count:     6
    .sgpr_spill_count: 0
    .symbol:         _ZN7rocprim17ROCPRIM_400000_NS6detail17trampoline_kernelINS0_14default_configENS1_25partition_config_selectorILNS1_17partition_subalgoE2EsNS0_10empty_typeEbEEZZNS1_14partition_implILS5_2ELb0ES3_jN6thrust23THRUST_200600_302600_NS6detail15normal_iteratorINSA_7pointerIsNSA_11hip_rocprim3tagENSA_11use_defaultESG_EEEEPS6_NSA_18transform_iteratorINSA_8identityIsEENSC_INSA_10device_ptrIsEEEESG_SG_EENS0_5tupleIJPsSJ_EEENSR_IJSJ_SJ_EEES6_PlJS6_EEE10hipError_tPvRmT3_T4_T5_T6_T7_T9_mT8_P12ihipStream_tbDpT10_ENKUlT_T0_E_clISt17integral_constantIbLb1EES1E_IbLb0EEEEDaS1A_S1B_EUlS1A_E_NS1_11comp_targetILNS1_3genE4ELNS1_11target_archE910ELNS1_3gpuE8ELNS1_3repE0EEENS1_30default_config_static_selectorELNS0_4arch9wavefront6targetE1EEEvT1_.kd
    .uniform_work_group_size: 1
    .uses_dynamic_stack: false
    .vgpr_count:     0
    .vgpr_spill_count: 0
    .wavefront_size: 64
  - .agpr_count:     0
    .args:
      - .offset:         0
        .size:           128
        .value_kind:     by_value
    .group_segment_fixed_size: 0
    .kernarg_segment_align: 8
    .kernarg_segment_size: 128
    .language:       OpenCL C
    .language_version:
      - 2
      - 0
    .max_flat_workgroup_size: 256
    .name:           _ZN7rocprim17ROCPRIM_400000_NS6detail17trampoline_kernelINS0_14default_configENS1_25partition_config_selectorILNS1_17partition_subalgoE2EsNS0_10empty_typeEbEEZZNS1_14partition_implILS5_2ELb0ES3_jN6thrust23THRUST_200600_302600_NS6detail15normal_iteratorINSA_7pointerIsNSA_11hip_rocprim3tagENSA_11use_defaultESG_EEEEPS6_NSA_18transform_iteratorINSA_8identityIsEENSC_INSA_10device_ptrIsEEEESG_SG_EENS0_5tupleIJPsSJ_EEENSR_IJSJ_SJ_EEES6_PlJS6_EEE10hipError_tPvRmT3_T4_T5_T6_T7_T9_mT8_P12ihipStream_tbDpT10_ENKUlT_T0_E_clISt17integral_constantIbLb1EES1E_IbLb0EEEEDaS1A_S1B_EUlS1A_E_NS1_11comp_targetILNS1_3genE3ELNS1_11target_archE908ELNS1_3gpuE7ELNS1_3repE0EEENS1_30default_config_static_selectorELNS0_4arch9wavefront6targetE1EEEvT1_
    .private_segment_fixed_size: 0
    .sgpr_count:     6
    .sgpr_spill_count: 0
    .symbol:         _ZN7rocprim17ROCPRIM_400000_NS6detail17trampoline_kernelINS0_14default_configENS1_25partition_config_selectorILNS1_17partition_subalgoE2EsNS0_10empty_typeEbEEZZNS1_14partition_implILS5_2ELb0ES3_jN6thrust23THRUST_200600_302600_NS6detail15normal_iteratorINSA_7pointerIsNSA_11hip_rocprim3tagENSA_11use_defaultESG_EEEEPS6_NSA_18transform_iteratorINSA_8identityIsEENSC_INSA_10device_ptrIsEEEESG_SG_EENS0_5tupleIJPsSJ_EEENSR_IJSJ_SJ_EEES6_PlJS6_EEE10hipError_tPvRmT3_T4_T5_T6_T7_T9_mT8_P12ihipStream_tbDpT10_ENKUlT_T0_E_clISt17integral_constantIbLb1EES1E_IbLb0EEEEDaS1A_S1B_EUlS1A_E_NS1_11comp_targetILNS1_3genE3ELNS1_11target_archE908ELNS1_3gpuE7ELNS1_3repE0EEENS1_30default_config_static_selectorELNS0_4arch9wavefront6targetE1EEEvT1_.kd
    .uniform_work_group_size: 1
    .uses_dynamic_stack: false
    .vgpr_count:     0
    .vgpr_spill_count: 0
    .wavefront_size: 64
  - .agpr_count:     0
    .args:
      - .offset:         0
        .size:           128
        .value_kind:     by_value
    .group_segment_fixed_size: 0
    .kernarg_segment_align: 8
    .kernarg_segment_size: 128
    .language:       OpenCL C
    .language_version:
      - 2
      - 0
    .max_flat_workgroup_size: 256
    .name:           _ZN7rocprim17ROCPRIM_400000_NS6detail17trampoline_kernelINS0_14default_configENS1_25partition_config_selectorILNS1_17partition_subalgoE2EsNS0_10empty_typeEbEEZZNS1_14partition_implILS5_2ELb0ES3_jN6thrust23THRUST_200600_302600_NS6detail15normal_iteratorINSA_7pointerIsNSA_11hip_rocprim3tagENSA_11use_defaultESG_EEEEPS6_NSA_18transform_iteratorINSA_8identityIsEENSC_INSA_10device_ptrIsEEEESG_SG_EENS0_5tupleIJPsSJ_EEENSR_IJSJ_SJ_EEES6_PlJS6_EEE10hipError_tPvRmT3_T4_T5_T6_T7_T9_mT8_P12ihipStream_tbDpT10_ENKUlT_T0_E_clISt17integral_constantIbLb1EES1E_IbLb0EEEEDaS1A_S1B_EUlS1A_E_NS1_11comp_targetILNS1_3genE2ELNS1_11target_archE906ELNS1_3gpuE6ELNS1_3repE0EEENS1_30default_config_static_selectorELNS0_4arch9wavefront6targetE1EEEvT1_
    .private_segment_fixed_size: 0
    .sgpr_count:     6
    .sgpr_spill_count: 0
    .symbol:         _ZN7rocprim17ROCPRIM_400000_NS6detail17trampoline_kernelINS0_14default_configENS1_25partition_config_selectorILNS1_17partition_subalgoE2EsNS0_10empty_typeEbEEZZNS1_14partition_implILS5_2ELb0ES3_jN6thrust23THRUST_200600_302600_NS6detail15normal_iteratorINSA_7pointerIsNSA_11hip_rocprim3tagENSA_11use_defaultESG_EEEEPS6_NSA_18transform_iteratorINSA_8identityIsEENSC_INSA_10device_ptrIsEEEESG_SG_EENS0_5tupleIJPsSJ_EEENSR_IJSJ_SJ_EEES6_PlJS6_EEE10hipError_tPvRmT3_T4_T5_T6_T7_T9_mT8_P12ihipStream_tbDpT10_ENKUlT_T0_E_clISt17integral_constantIbLb1EES1E_IbLb0EEEEDaS1A_S1B_EUlS1A_E_NS1_11comp_targetILNS1_3genE2ELNS1_11target_archE906ELNS1_3gpuE6ELNS1_3repE0EEENS1_30default_config_static_selectorELNS0_4arch9wavefront6targetE1EEEvT1_.kd
    .uniform_work_group_size: 1
    .uses_dynamic_stack: false
    .vgpr_count:     0
    .vgpr_spill_count: 0
    .wavefront_size: 64
  - .agpr_count:     0
    .args:
      - .offset:         0
        .size:           128
        .value_kind:     by_value
    .group_segment_fixed_size: 0
    .kernarg_segment_align: 8
    .kernarg_segment_size: 128
    .language:       OpenCL C
    .language_version:
      - 2
      - 0
    .max_flat_workgroup_size: 256
    .name:           _ZN7rocprim17ROCPRIM_400000_NS6detail17trampoline_kernelINS0_14default_configENS1_25partition_config_selectorILNS1_17partition_subalgoE2EsNS0_10empty_typeEbEEZZNS1_14partition_implILS5_2ELb0ES3_jN6thrust23THRUST_200600_302600_NS6detail15normal_iteratorINSA_7pointerIsNSA_11hip_rocprim3tagENSA_11use_defaultESG_EEEEPS6_NSA_18transform_iteratorINSA_8identityIsEENSC_INSA_10device_ptrIsEEEESG_SG_EENS0_5tupleIJPsSJ_EEENSR_IJSJ_SJ_EEES6_PlJS6_EEE10hipError_tPvRmT3_T4_T5_T6_T7_T9_mT8_P12ihipStream_tbDpT10_ENKUlT_T0_E_clISt17integral_constantIbLb1EES1E_IbLb0EEEEDaS1A_S1B_EUlS1A_E_NS1_11comp_targetILNS1_3genE10ELNS1_11target_archE1200ELNS1_3gpuE4ELNS1_3repE0EEENS1_30default_config_static_selectorELNS0_4arch9wavefront6targetE1EEEvT1_
    .private_segment_fixed_size: 0
    .sgpr_count:     6
    .sgpr_spill_count: 0
    .symbol:         _ZN7rocprim17ROCPRIM_400000_NS6detail17trampoline_kernelINS0_14default_configENS1_25partition_config_selectorILNS1_17partition_subalgoE2EsNS0_10empty_typeEbEEZZNS1_14partition_implILS5_2ELb0ES3_jN6thrust23THRUST_200600_302600_NS6detail15normal_iteratorINSA_7pointerIsNSA_11hip_rocprim3tagENSA_11use_defaultESG_EEEEPS6_NSA_18transform_iteratorINSA_8identityIsEENSC_INSA_10device_ptrIsEEEESG_SG_EENS0_5tupleIJPsSJ_EEENSR_IJSJ_SJ_EEES6_PlJS6_EEE10hipError_tPvRmT3_T4_T5_T6_T7_T9_mT8_P12ihipStream_tbDpT10_ENKUlT_T0_E_clISt17integral_constantIbLb1EES1E_IbLb0EEEEDaS1A_S1B_EUlS1A_E_NS1_11comp_targetILNS1_3genE10ELNS1_11target_archE1200ELNS1_3gpuE4ELNS1_3repE0EEENS1_30default_config_static_selectorELNS0_4arch9wavefront6targetE1EEEvT1_.kd
    .uniform_work_group_size: 1
    .uses_dynamic_stack: false
    .vgpr_count:     0
    .vgpr_spill_count: 0
    .wavefront_size: 64
  - .agpr_count:     0
    .args:
      - .offset:         0
        .size:           128
        .value_kind:     by_value
    .group_segment_fixed_size: 0
    .kernarg_segment_align: 8
    .kernarg_segment_size: 128
    .language:       OpenCL C
    .language_version:
      - 2
      - 0
    .max_flat_workgroup_size: 128
    .name:           _ZN7rocprim17ROCPRIM_400000_NS6detail17trampoline_kernelINS0_14default_configENS1_25partition_config_selectorILNS1_17partition_subalgoE2EsNS0_10empty_typeEbEEZZNS1_14partition_implILS5_2ELb0ES3_jN6thrust23THRUST_200600_302600_NS6detail15normal_iteratorINSA_7pointerIsNSA_11hip_rocprim3tagENSA_11use_defaultESG_EEEEPS6_NSA_18transform_iteratorINSA_8identityIsEENSC_INSA_10device_ptrIsEEEESG_SG_EENS0_5tupleIJPsSJ_EEENSR_IJSJ_SJ_EEES6_PlJS6_EEE10hipError_tPvRmT3_T4_T5_T6_T7_T9_mT8_P12ihipStream_tbDpT10_ENKUlT_T0_E_clISt17integral_constantIbLb1EES1E_IbLb0EEEEDaS1A_S1B_EUlS1A_E_NS1_11comp_targetILNS1_3genE9ELNS1_11target_archE1100ELNS1_3gpuE3ELNS1_3repE0EEENS1_30default_config_static_selectorELNS0_4arch9wavefront6targetE1EEEvT1_
    .private_segment_fixed_size: 0
    .sgpr_count:     6
    .sgpr_spill_count: 0
    .symbol:         _ZN7rocprim17ROCPRIM_400000_NS6detail17trampoline_kernelINS0_14default_configENS1_25partition_config_selectorILNS1_17partition_subalgoE2EsNS0_10empty_typeEbEEZZNS1_14partition_implILS5_2ELb0ES3_jN6thrust23THRUST_200600_302600_NS6detail15normal_iteratorINSA_7pointerIsNSA_11hip_rocprim3tagENSA_11use_defaultESG_EEEEPS6_NSA_18transform_iteratorINSA_8identityIsEENSC_INSA_10device_ptrIsEEEESG_SG_EENS0_5tupleIJPsSJ_EEENSR_IJSJ_SJ_EEES6_PlJS6_EEE10hipError_tPvRmT3_T4_T5_T6_T7_T9_mT8_P12ihipStream_tbDpT10_ENKUlT_T0_E_clISt17integral_constantIbLb1EES1E_IbLb0EEEEDaS1A_S1B_EUlS1A_E_NS1_11comp_targetILNS1_3genE9ELNS1_11target_archE1100ELNS1_3gpuE3ELNS1_3repE0EEENS1_30default_config_static_selectorELNS0_4arch9wavefront6targetE1EEEvT1_.kd
    .uniform_work_group_size: 1
    .uses_dynamic_stack: false
    .vgpr_count:     0
    .vgpr_spill_count: 0
    .wavefront_size: 64
  - .agpr_count:     0
    .args:
      - .offset:         0
        .size:           128
        .value_kind:     by_value
    .group_segment_fixed_size: 0
    .kernarg_segment_align: 8
    .kernarg_segment_size: 128
    .language:       OpenCL C
    .language_version:
      - 2
      - 0
    .max_flat_workgroup_size: 512
    .name:           _ZN7rocprim17ROCPRIM_400000_NS6detail17trampoline_kernelINS0_14default_configENS1_25partition_config_selectorILNS1_17partition_subalgoE2EsNS0_10empty_typeEbEEZZNS1_14partition_implILS5_2ELb0ES3_jN6thrust23THRUST_200600_302600_NS6detail15normal_iteratorINSA_7pointerIsNSA_11hip_rocprim3tagENSA_11use_defaultESG_EEEEPS6_NSA_18transform_iteratorINSA_8identityIsEENSC_INSA_10device_ptrIsEEEESG_SG_EENS0_5tupleIJPsSJ_EEENSR_IJSJ_SJ_EEES6_PlJS6_EEE10hipError_tPvRmT3_T4_T5_T6_T7_T9_mT8_P12ihipStream_tbDpT10_ENKUlT_T0_E_clISt17integral_constantIbLb1EES1E_IbLb0EEEEDaS1A_S1B_EUlS1A_E_NS1_11comp_targetILNS1_3genE8ELNS1_11target_archE1030ELNS1_3gpuE2ELNS1_3repE0EEENS1_30default_config_static_selectorELNS0_4arch9wavefront6targetE1EEEvT1_
    .private_segment_fixed_size: 0
    .sgpr_count:     6
    .sgpr_spill_count: 0
    .symbol:         _ZN7rocprim17ROCPRIM_400000_NS6detail17trampoline_kernelINS0_14default_configENS1_25partition_config_selectorILNS1_17partition_subalgoE2EsNS0_10empty_typeEbEEZZNS1_14partition_implILS5_2ELb0ES3_jN6thrust23THRUST_200600_302600_NS6detail15normal_iteratorINSA_7pointerIsNSA_11hip_rocprim3tagENSA_11use_defaultESG_EEEEPS6_NSA_18transform_iteratorINSA_8identityIsEENSC_INSA_10device_ptrIsEEEESG_SG_EENS0_5tupleIJPsSJ_EEENSR_IJSJ_SJ_EEES6_PlJS6_EEE10hipError_tPvRmT3_T4_T5_T6_T7_T9_mT8_P12ihipStream_tbDpT10_ENKUlT_T0_E_clISt17integral_constantIbLb1EES1E_IbLb0EEEEDaS1A_S1B_EUlS1A_E_NS1_11comp_targetILNS1_3genE8ELNS1_11target_archE1030ELNS1_3gpuE2ELNS1_3repE0EEENS1_30default_config_static_selectorELNS0_4arch9wavefront6targetE1EEEvT1_.kd
    .uniform_work_group_size: 1
    .uses_dynamic_stack: false
    .vgpr_count:     0
    .vgpr_spill_count: 0
    .wavefront_size: 64
  - .agpr_count:     0
    .args:
      - .offset:         0
        .size:           144
        .value_kind:     by_value
    .group_segment_fixed_size: 0
    .kernarg_segment_align: 8
    .kernarg_segment_size: 144
    .language:       OpenCL C
    .language_version:
      - 2
      - 0
    .max_flat_workgroup_size: 256
    .name:           _ZN7rocprim17ROCPRIM_400000_NS6detail17trampoline_kernelINS0_14default_configENS1_25partition_config_selectorILNS1_17partition_subalgoE2EsNS0_10empty_typeEbEEZZNS1_14partition_implILS5_2ELb0ES3_jN6thrust23THRUST_200600_302600_NS6detail15normal_iteratorINSA_7pointerIsNSA_11hip_rocprim3tagENSA_11use_defaultESG_EEEEPS6_NSA_18transform_iteratorINSA_8identityIsEENSC_INSA_10device_ptrIsEEEESG_SG_EENS0_5tupleIJPsSJ_EEENSR_IJSJ_SJ_EEES6_PlJS6_EEE10hipError_tPvRmT3_T4_T5_T6_T7_T9_mT8_P12ihipStream_tbDpT10_ENKUlT_T0_E_clISt17integral_constantIbLb0EES1E_IbLb1EEEEDaS1A_S1B_EUlS1A_E_NS1_11comp_targetILNS1_3genE0ELNS1_11target_archE4294967295ELNS1_3gpuE0ELNS1_3repE0EEENS1_30default_config_static_selectorELNS0_4arch9wavefront6targetE1EEEvT1_
    .private_segment_fixed_size: 0
    .sgpr_count:     6
    .sgpr_spill_count: 0
    .symbol:         _ZN7rocprim17ROCPRIM_400000_NS6detail17trampoline_kernelINS0_14default_configENS1_25partition_config_selectorILNS1_17partition_subalgoE2EsNS0_10empty_typeEbEEZZNS1_14partition_implILS5_2ELb0ES3_jN6thrust23THRUST_200600_302600_NS6detail15normal_iteratorINSA_7pointerIsNSA_11hip_rocprim3tagENSA_11use_defaultESG_EEEEPS6_NSA_18transform_iteratorINSA_8identityIsEENSC_INSA_10device_ptrIsEEEESG_SG_EENS0_5tupleIJPsSJ_EEENSR_IJSJ_SJ_EEES6_PlJS6_EEE10hipError_tPvRmT3_T4_T5_T6_T7_T9_mT8_P12ihipStream_tbDpT10_ENKUlT_T0_E_clISt17integral_constantIbLb0EES1E_IbLb1EEEEDaS1A_S1B_EUlS1A_E_NS1_11comp_targetILNS1_3genE0ELNS1_11target_archE4294967295ELNS1_3gpuE0ELNS1_3repE0EEENS1_30default_config_static_selectorELNS0_4arch9wavefront6targetE1EEEvT1_.kd
    .uniform_work_group_size: 1
    .uses_dynamic_stack: false
    .vgpr_count:     0
    .vgpr_spill_count: 0
    .wavefront_size: 64
  - .agpr_count:     0
    .args:
      - .offset:         0
        .size:           144
        .value_kind:     by_value
    .group_segment_fixed_size: 30728
    .kernarg_segment_align: 8
    .kernarg_segment_size: 144
    .language:       OpenCL C
    .language_version:
      - 2
      - 0
    .max_flat_workgroup_size: 512
    .name:           _ZN7rocprim17ROCPRIM_400000_NS6detail17trampoline_kernelINS0_14default_configENS1_25partition_config_selectorILNS1_17partition_subalgoE2EsNS0_10empty_typeEbEEZZNS1_14partition_implILS5_2ELb0ES3_jN6thrust23THRUST_200600_302600_NS6detail15normal_iteratorINSA_7pointerIsNSA_11hip_rocprim3tagENSA_11use_defaultESG_EEEEPS6_NSA_18transform_iteratorINSA_8identityIsEENSC_INSA_10device_ptrIsEEEESG_SG_EENS0_5tupleIJPsSJ_EEENSR_IJSJ_SJ_EEES6_PlJS6_EEE10hipError_tPvRmT3_T4_T5_T6_T7_T9_mT8_P12ihipStream_tbDpT10_ENKUlT_T0_E_clISt17integral_constantIbLb0EES1E_IbLb1EEEEDaS1A_S1B_EUlS1A_E_NS1_11comp_targetILNS1_3genE5ELNS1_11target_archE942ELNS1_3gpuE9ELNS1_3repE0EEENS1_30default_config_static_selectorELNS0_4arch9wavefront6targetE1EEEvT1_
    .private_segment_fixed_size: 0
    .sgpr_count:     52
    .sgpr_spill_count: 0
    .symbol:         _ZN7rocprim17ROCPRIM_400000_NS6detail17trampoline_kernelINS0_14default_configENS1_25partition_config_selectorILNS1_17partition_subalgoE2EsNS0_10empty_typeEbEEZZNS1_14partition_implILS5_2ELb0ES3_jN6thrust23THRUST_200600_302600_NS6detail15normal_iteratorINSA_7pointerIsNSA_11hip_rocprim3tagENSA_11use_defaultESG_EEEEPS6_NSA_18transform_iteratorINSA_8identityIsEENSC_INSA_10device_ptrIsEEEESG_SG_EENS0_5tupleIJPsSJ_EEENSR_IJSJ_SJ_EEES6_PlJS6_EEE10hipError_tPvRmT3_T4_T5_T6_T7_T9_mT8_P12ihipStream_tbDpT10_ENKUlT_T0_E_clISt17integral_constantIbLb0EES1E_IbLb1EEEEDaS1A_S1B_EUlS1A_E_NS1_11comp_targetILNS1_3genE5ELNS1_11target_archE942ELNS1_3gpuE9ELNS1_3repE0EEENS1_30default_config_static_selectorELNS0_4arch9wavefront6targetE1EEEvT1_.kd
    .uniform_work_group_size: 1
    .uses_dynamic_stack: false
    .vgpr_count:     102
    .vgpr_spill_count: 0
    .wavefront_size: 64
  - .agpr_count:     0
    .args:
      - .offset:         0
        .size:           144
        .value_kind:     by_value
    .group_segment_fixed_size: 0
    .kernarg_segment_align: 8
    .kernarg_segment_size: 144
    .language:       OpenCL C
    .language_version:
      - 2
      - 0
    .max_flat_workgroup_size: 256
    .name:           _ZN7rocprim17ROCPRIM_400000_NS6detail17trampoline_kernelINS0_14default_configENS1_25partition_config_selectorILNS1_17partition_subalgoE2EsNS0_10empty_typeEbEEZZNS1_14partition_implILS5_2ELb0ES3_jN6thrust23THRUST_200600_302600_NS6detail15normal_iteratorINSA_7pointerIsNSA_11hip_rocprim3tagENSA_11use_defaultESG_EEEEPS6_NSA_18transform_iteratorINSA_8identityIsEENSC_INSA_10device_ptrIsEEEESG_SG_EENS0_5tupleIJPsSJ_EEENSR_IJSJ_SJ_EEES6_PlJS6_EEE10hipError_tPvRmT3_T4_T5_T6_T7_T9_mT8_P12ihipStream_tbDpT10_ENKUlT_T0_E_clISt17integral_constantIbLb0EES1E_IbLb1EEEEDaS1A_S1B_EUlS1A_E_NS1_11comp_targetILNS1_3genE4ELNS1_11target_archE910ELNS1_3gpuE8ELNS1_3repE0EEENS1_30default_config_static_selectorELNS0_4arch9wavefront6targetE1EEEvT1_
    .private_segment_fixed_size: 0
    .sgpr_count:     6
    .sgpr_spill_count: 0
    .symbol:         _ZN7rocprim17ROCPRIM_400000_NS6detail17trampoline_kernelINS0_14default_configENS1_25partition_config_selectorILNS1_17partition_subalgoE2EsNS0_10empty_typeEbEEZZNS1_14partition_implILS5_2ELb0ES3_jN6thrust23THRUST_200600_302600_NS6detail15normal_iteratorINSA_7pointerIsNSA_11hip_rocprim3tagENSA_11use_defaultESG_EEEEPS6_NSA_18transform_iteratorINSA_8identityIsEENSC_INSA_10device_ptrIsEEEESG_SG_EENS0_5tupleIJPsSJ_EEENSR_IJSJ_SJ_EEES6_PlJS6_EEE10hipError_tPvRmT3_T4_T5_T6_T7_T9_mT8_P12ihipStream_tbDpT10_ENKUlT_T0_E_clISt17integral_constantIbLb0EES1E_IbLb1EEEEDaS1A_S1B_EUlS1A_E_NS1_11comp_targetILNS1_3genE4ELNS1_11target_archE910ELNS1_3gpuE8ELNS1_3repE0EEENS1_30default_config_static_selectorELNS0_4arch9wavefront6targetE1EEEvT1_.kd
    .uniform_work_group_size: 1
    .uses_dynamic_stack: false
    .vgpr_count:     0
    .vgpr_spill_count: 0
    .wavefront_size: 64
  - .agpr_count:     0
    .args:
      - .offset:         0
        .size:           144
        .value_kind:     by_value
    .group_segment_fixed_size: 0
    .kernarg_segment_align: 8
    .kernarg_segment_size: 144
    .language:       OpenCL C
    .language_version:
      - 2
      - 0
    .max_flat_workgroup_size: 256
    .name:           _ZN7rocprim17ROCPRIM_400000_NS6detail17trampoline_kernelINS0_14default_configENS1_25partition_config_selectorILNS1_17partition_subalgoE2EsNS0_10empty_typeEbEEZZNS1_14partition_implILS5_2ELb0ES3_jN6thrust23THRUST_200600_302600_NS6detail15normal_iteratorINSA_7pointerIsNSA_11hip_rocprim3tagENSA_11use_defaultESG_EEEEPS6_NSA_18transform_iteratorINSA_8identityIsEENSC_INSA_10device_ptrIsEEEESG_SG_EENS0_5tupleIJPsSJ_EEENSR_IJSJ_SJ_EEES6_PlJS6_EEE10hipError_tPvRmT3_T4_T5_T6_T7_T9_mT8_P12ihipStream_tbDpT10_ENKUlT_T0_E_clISt17integral_constantIbLb0EES1E_IbLb1EEEEDaS1A_S1B_EUlS1A_E_NS1_11comp_targetILNS1_3genE3ELNS1_11target_archE908ELNS1_3gpuE7ELNS1_3repE0EEENS1_30default_config_static_selectorELNS0_4arch9wavefront6targetE1EEEvT1_
    .private_segment_fixed_size: 0
    .sgpr_count:     6
    .sgpr_spill_count: 0
    .symbol:         _ZN7rocprim17ROCPRIM_400000_NS6detail17trampoline_kernelINS0_14default_configENS1_25partition_config_selectorILNS1_17partition_subalgoE2EsNS0_10empty_typeEbEEZZNS1_14partition_implILS5_2ELb0ES3_jN6thrust23THRUST_200600_302600_NS6detail15normal_iteratorINSA_7pointerIsNSA_11hip_rocprim3tagENSA_11use_defaultESG_EEEEPS6_NSA_18transform_iteratorINSA_8identityIsEENSC_INSA_10device_ptrIsEEEESG_SG_EENS0_5tupleIJPsSJ_EEENSR_IJSJ_SJ_EEES6_PlJS6_EEE10hipError_tPvRmT3_T4_T5_T6_T7_T9_mT8_P12ihipStream_tbDpT10_ENKUlT_T0_E_clISt17integral_constantIbLb0EES1E_IbLb1EEEEDaS1A_S1B_EUlS1A_E_NS1_11comp_targetILNS1_3genE3ELNS1_11target_archE908ELNS1_3gpuE7ELNS1_3repE0EEENS1_30default_config_static_selectorELNS0_4arch9wavefront6targetE1EEEvT1_.kd
    .uniform_work_group_size: 1
    .uses_dynamic_stack: false
    .vgpr_count:     0
    .vgpr_spill_count: 0
    .wavefront_size: 64
  - .agpr_count:     0
    .args:
      - .offset:         0
        .size:           144
        .value_kind:     by_value
    .group_segment_fixed_size: 0
    .kernarg_segment_align: 8
    .kernarg_segment_size: 144
    .language:       OpenCL C
    .language_version:
      - 2
      - 0
    .max_flat_workgroup_size: 256
    .name:           _ZN7rocprim17ROCPRIM_400000_NS6detail17trampoline_kernelINS0_14default_configENS1_25partition_config_selectorILNS1_17partition_subalgoE2EsNS0_10empty_typeEbEEZZNS1_14partition_implILS5_2ELb0ES3_jN6thrust23THRUST_200600_302600_NS6detail15normal_iteratorINSA_7pointerIsNSA_11hip_rocprim3tagENSA_11use_defaultESG_EEEEPS6_NSA_18transform_iteratorINSA_8identityIsEENSC_INSA_10device_ptrIsEEEESG_SG_EENS0_5tupleIJPsSJ_EEENSR_IJSJ_SJ_EEES6_PlJS6_EEE10hipError_tPvRmT3_T4_T5_T6_T7_T9_mT8_P12ihipStream_tbDpT10_ENKUlT_T0_E_clISt17integral_constantIbLb0EES1E_IbLb1EEEEDaS1A_S1B_EUlS1A_E_NS1_11comp_targetILNS1_3genE2ELNS1_11target_archE906ELNS1_3gpuE6ELNS1_3repE0EEENS1_30default_config_static_selectorELNS0_4arch9wavefront6targetE1EEEvT1_
    .private_segment_fixed_size: 0
    .sgpr_count:     6
    .sgpr_spill_count: 0
    .symbol:         _ZN7rocprim17ROCPRIM_400000_NS6detail17trampoline_kernelINS0_14default_configENS1_25partition_config_selectorILNS1_17partition_subalgoE2EsNS0_10empty_typeEbEEZZNS1_14partition_implILS5_2ELb0ES3_jN6thrust23THRUST_200600_302600_NS6detail15normal_iteratorINSA_7pointerIsNSA_11hip_rocprim3tagENSA_11use_defaultESG_EEEEPS6_NSA_18transform_iteratorINSA_8identityIsEENSC_INSA_10device_ptrIsEEEESG_SG_EENS0_5tupleIJPsSJ_EEENSR_IJSJ_SJ_EEES6_PlJS6_EEE10hipError_tPvRmT3_T4_T5_T6_T7_T9_mT8_P12ihipStream_tbDpT10_ENKUlT_T0_E_clISt17integral_constantIbLb0EES1E_IbLb1EEEEDaS1A_S1B_EUlS1A_E_NS1_11comp_targetILNS1_3genE2ELNS1_11target_archE906ELNS1_3gpuE6ELNS1_3repE0EEENS1_30default_config_static_selectorELNS0_4arch9wavefront6targetE1EEEvT1_.kd
    .uniform_work_group_size: 1
    .uses_dynamic_stack: false
    .vgpr_count:     0
    .vgpr_spill_count: 0
    .wavefront_size: 64
  - .agpr_count:     0
    .args:
      - .offset:         0
        .size:           144
        .value_kind:     by_value
    .group_segment_fixed_size: 0
    .kernarg_segment_align: 8
    .kernarg_segment_size: 144
    .language:       OpenCL C
    .language_version:
      - 2
      - 0
    .max_flat_workgroup_size: 256
    .name:           _ZN7rocprim17ROCPRIM_400000_NS6detail17trampoline_kernelINS0_14default_configENS1_25partition_config_selectorILNS1_17partition_subalgoE2EsNS0_10empty_typeEbEEZZNS1_14partition_implILS5_2ELb0ES3_jN6thrust23THRUST_200600_302600_NS6detail15normal_iteratorINSA_7pointerIsNSA_11hip_rocprim3tagENSA_11use_defaultESG_EEEEPS6_NSA_18transform_iteratorINSA_8identityIsEENSC_INSA_10device_ptrIsEEEESG_SG_EENS0_5tupleIJPsSJ_EEENSR_IJSJ_SJ_EEES6_PlJS6_EEE10hipError_tPvRmT3_T4_T5_T6_T7_T9_mT8_P12ihipStream_tbDpT10_ENKUlT_T0_E_clISt17integral_constantIbLb0EES1E_IbLb1EEEEDaS1A_S1B_EUlS1A_E_NS1_11comp_targetILNS1_3genE10ELNS1_11target_archE1200ELNS1_3gpuE4ELNS1_3repE0EEENS1_30default_config_static_selectorELNS0_4arch9wavefront6targetE1EEEvT1_
    .private_segment_fixed_size: 0
    .sgpr_count:     6
    .sgpr_spill_count: 0
    .symbol:         _ZN7rocprim17ROCPRIM_400000_NS6detail17trampoline_kernelINS0_14default_configENS1_25partition_config_selectorILNS1_17partition_subalgoE2EsNS0_10empty_typeEbEEZZNS1_14partition_implILS5_2ELb0ES3_jN6thrust23THRUST_200600_302600_NS6detail15normal_iteratorINSA_7pointerIsNSA_11hip_rocprim3tagENSA_11use_defaultESG_EEEEPS6_NSA_18transform_iteratorINSA_8identityIsEENSC_INSA_10device_ptrIsEEEESG_SG_EENS0_5tupleIJPsSJ_EEENSR_IJSJ_SJ_EEES6_PlJS6_EEE10hipError_tPvRmT3_T4_T5_T6_T7_T9_mT8_P12ihipStream_tbDpT10_ENKUlT_T0_E_clISt17integral_constantIbLb0EES1E_IbLb1EEEEDaS1A_S1B_EUlS1A_E_NS1_11comp_targetILNS1_3genE10ELNS1_11target_archE1200ELNS1_3gpuE4ELNS1_3repE0EEENS1_30default_config_static_selectorELNS0_4arch9wavefront6targetE1EEEvT1_.kd
    .uniform_work_group_size: 1
    .uses_dynamic_stack: false
    .vgpr_count:     0
    .vgpr_spill_count: 0
    .wavefront_size: 64
  - .agpr_count:     0
    .args:
      - .offset:         0
        .size:           144
        .value_kind:     by_value
    .group_segment_fixed_size: 0
    .kernarg_segment_align: 8
    .kernarg_segment_size: 144
    .language:       OpenCL C
    .language_version:
      - 2
      - 0
    .max_flat_workgroup_size: 128
    .name:           _ZN7rocprim17ROCPRIM_400000_NS6detail17trampoline_kernelINS0_14default_configENS1_25partition_config_selectorILNS1_17partition_subalgoE2EsNS0_10empty_typeEbEEZZNS1_14partition_implILS5_2ELb0ES3_jN6thrust23THRUST_200600_302600_NS6detail15normal_iteratorINSA_7pointerIsNSA_11hip_rocprim3tagENSA_11use_defaultESG_EEEEPS6_NSA_18transform_iteratorINSA_8identityIsEENSC_INSA_10device_ptrIsEEEESG_SG_EENS0_5tupleIJPsSJ_EEENSR_IJSJ_SJ_EEES6_PlJS6_EEE10hipError_tPvRmT3_T4_T5_T6_T7_T9_mT8_P12ihipStream_tbDpT10_ENKUlT_T0_E_clISt17integral_constantIbLb0EES1E_IbLb1EEEEDaS1A_S1B_EUlS1A_E_NS1_11comp_targetILNS1_3genE9ELNS1_11target_archE1100ELNS1_3gpuE3ELNS1_3repE0EEENS1_30default_config_static_selectorELNS0_4arch9wavefront6targetE1EEEvT1_
    .private_segment_fixed_size: 0
    .sgpr_count:     6
    .sgpr_spill_count: 0
    .symbol:         _ZN7rocprim17ROCPRIM_400000_NS6detail17trampoline_kernelINS0_14default_configENS1_25partition_config_selectorILNS1_17partition_subalgoE2EsNS0_10empty_typeEbEEZZNS1_14partition_implILS5_2ELb0ES3_jN6thrust23THRUST_200600_302600_NS6detail15normal_iteratorINSA_7pointerIsNSA_11hip_rocprim3tagENSA_11use_defaultESG_EEEEPS6_NSA_18transform_iteratorINSA_8identityIsEENSC_INSA_10device_ptrIsEEEESG_SG_EENS0_5tupleIJPsSJ_EEENSR_IJSJ_SJ_EEES6_PlJS6_EEE10hipError_tPvRmT3_T4_T5_T6_T7_T9_mT8_P12ihipStream_tbDpT10_ENKUlT_T0_E_clISt17integral_constantIbLb0EES1E_IbLb1EEEEDaS1A_S1B_EUlS1A_E_NS1_11comp_targetILNS1_3genE9ELNS1_11target_archE1100ELNS1_3gpuE3ELNS1_3repE0EEENS1_30default_config_static_selectorELNS0_4arch9wavefront6targetE1EEEvT1_.kd
    .uniform_work_group_size: 1
    .uses_dynamic_stack: false
    .vgpr_count:     0
    .vgpr_spill_count: 0
    .wavefront_size: 64
  - .agpr_count:     0
    .args:
      - .offset:         0
        .size:           144
        .value_kind:     by_value
    .group_segment_fixed_size: 0
    .kernarg_segment_align: 8
    .kernarg_segment_size: 144
    .language:       OpenCL C
    .language_version:
      - 2
      - 0
    .max_flat_workgroup_size: 512
    .name:           _ZN7rocprim17ROCPRIM_400000_NS6detail17trampoline_kernelINS0_14default_configENS1_25partition_config_selectorILNS1_17partition_subalgoE2EsNS0_10empty_typeEbEEZZNS1_14partition_implILS5_2ELb0ES3_jN6thrust23THRUST_200600_302600_NS6detail15normal_iteratorINSA_7pointerIsNSA_11hip_rocprim3tagENSA_11use_defaultESG_EEEEPS6_NSA_18transform_iteratorINSA_8identityIsEENSC_INSA_10device_ptrIsEEEESG_SG_EENS0_5tupleIJPsSJ_EEENSR_IJSJ_SJ_EEES6_PlJS6_EEE10hipError_tPvRmT3_T4_T5_T6_T7_T9_mT8_P12ihipStream_tbDpT10_ENKUlT_T0_E_clISt17integral_constantIbLb0EES1E_IbLb1EEEEDaS1A_S1B_EUlS1A_E_NS1_11comp_targetILNS1_3genE8ELNS1_11target_archE1030ELNS1_3gpuE2ELNS1_3repE0EEENS1_30default_config_static_selectorELNS0_4arch9wavefront6targetE1EEEvT1_
    .private_segment_fixed_size: 0
    .sgpr_count:     6
    .sgpr_spill_count: 0
    .symbol:         _ZN7rocprim17ROCPRIM_400000_NS6detail17trampoline_kernelINS0_14default_configENS1_25partition_config_selectorILNS1_17partition_subalgoE2EsNS0_10empty_typeEbEEZZNS1_14partition_implILS5_2ELb0ES3_jN6thrust23THRUST_200600_302600_NS6detail15normal_iteratorINSA_7pointerIsNSA_11hip_rocprim3tagENSA_11use_defaultESG_EEEEPS6_NSA_18transform_iteratorINSA_8identityIsEENSC_INSA_10device_ptrIsEEEESG_SG_EENS0_5tupleIJPsSJ_EEENSR_IJSJ_SJ_EEES6_PlJS6_EEE10hipError_tPvRmT3_T4_T5_T6_T7_T9_mT8_P12ihipStream_tbDpT10_ENKUlT_T0_E_clISt17integral_constantIbLb0EES1E_IbLb1EEEEDaS1A_S1B_EUlS1A_E_NS1_11comp_targetILNS1_3genE8ELNS1_11target_archE1030ELNS1_3gpuE2ELNS1_3repE0EEENS1_30default_config_static_selectorELNS0_4arch9wavefront6targetE1EEEvT1_.kd
    .uniform_work_group_size: 1
    .uses_dynamic_stack: false
    .vgpr_count:     0
    .vgpr_spill_count: 0
    .wavefront_size: 64
  - .agpr_count:     0
    .args:
      - .offset:         0
        .size:           128
        .value_kind:     by_value
    .group_segment_fixed_size: 0
    .kernarg_segment_align: 8
    .kernarg_segment_size: 128
    .language:       OpenCL C
    .language_version:
      - 2
      - 0
    .max_flat_workgroup_size: 128
    .name:           _ZN7rocprim17ROCPRIM_400000_NS6detail17trampoline_kernelINS0_14default_configENS1_25partition_config_selectorILNS1_17partition_subalgoE1ExNS0_10empty_typeEbEEZZNS1_14partition_implILS5_1ELb0ES3_jN6thrust23THRUST_200600_302600_NS6detail15normal_iteratorINSA_10device_ptrIxEEEEPS6_NSA_18transform_iteratorINSA_8identityIxEESF_NSA_11use_defaultESK_EENS0_5tupleIJSF_SF_EEENSM_IJSG_SG_EEES6_PlJS6_EEE10hipError_tPvRmT3_T4_T5_T6_T7_T9_mT8_P12ihipStream_tbDpT10_ENKUlT_T0_E_clISt17integral_constantIbLb0EES19_EEDaS14_S15_EUlS14_E_NS1_11comp_targetILNS1_3genE0ELNS1_11target_archE4294967295ELNS1_3gpuE0ELNS1_3repE0EEENS1_30default_config_static_selectorELNS0_4arch9wavefront6targetE1EEEvT1_
    .private_segment_fixed_size: 0
    .sgpr_count:     6
    .sgpr_spill_count: 0
    .symbol:         _ZN7rocprim17ROCPRIM_400000_NS6detail17trampoline_kernelINS0_14default_configENS1_25partition_config_selectorILNS1_17partition_subalgoE1ExNS0_10empty_typeEbEEZZNS1_14partition_implILS5_1ELb0ES3_jN6thrust23THRUST_200600_302600_NS6detail15normal_iteratorINSA_10device_ptrIxEEEEPS6_NSA_18transform_iteratorINSA_8identityIxEESF_NSA_11use_defaultESK_EENS0_5tupleIJSF_SF_EEENSM_IJSG_SG_EEES6_PlJS6_EEE10hipError_tPvRmT3_T4_T5_T6_T7_T9_mT8_P12ihipStream_tbDpT10_ENKUlT_T0_E_clISt17integral_constantIbLb0EES19_EEDaS14_S15_EUlS14_E_NS1_11comp_targetILNS1_3genE0ELNS1_11target_archE4294967295ELNS1_3gpuE0ELNS1_3repE0EEENS1_30default_config_static_selectorELNS0_4arch9wavefront6targetE1EEEvT1_.kd
    .uniform_work_group_size: 1
    .uses_dynamic_stack: false
    .vgpr_count:     0
    .vgpr_spill_count: 0
    .wavefront_size: 64
  - .agpr_count:     0
    .args:
      - .offset:         0
        .size:           128
        .value_kind:     by_value
    .group_segment_fixed_size: 28680
    .kernarg_segment_align: 8
    .kernarg_segment_size: 128
    .language:       OpenCL C
    .language_version:
      - 2
      - 0
    .max_flat_workgroup_size: 512
    .name:           _ZN7rocprim17ROCPRIM_400000_NS6detail17trampoline_kernelINS0_14default_configENS1_25partition_config_selectorILNS1_17partition_subalgoE1ExNS0_10empty_typeEbEEZZNS1_14partition_implILS5_1ELb0ES3_jN6thrust23THRUST_200600_302600_NS6detail15normal_iteratorINSA_10device_ptrIxEEEEPS6_NSA_18transform_iteratorINSA_8identityIxEESF_NSA_11use_defaultESK_EENS0_5tupleIJSF_SF_EEENSM_IJSG_SG_EEES6_PlJS6_EEE10hipError_tPvRmT3_T4_T5_T6_T7_T9_mT8_P12ihipStream_tbDpT10_ENKUlT_T0_E_clISt17integral_constantIbLb0EES19_EEDaS14_S15_EUlS14_E_NS1_11comp_targetILNS1_3genE5ELNS1_11target_archE942ELNS1_3gpuE9ELNS1_3repE0EEENS1_30default_config_static_selectorELNS0_4arch9wavefront6targetE1EEEvT1_
    .private_segment_fixed_size: 0
    .sgpr_count:     50
    .sgpr_spill_count: 0
    .symbol:         _ZN7rocprim17ROCPRIM_400000_NS6detail17trampoline_kernelINS0_14default_configENS1_25partition_config_selectorILNS1_17partition_subalgoE1ExNS0_10empty_typeEbEEZZNS1_14partition_implILS5_1ELb0ES3_jN6thrust23THRUST_200600_302600_NS6detail15normal_iteratorINSA_10device_ptrIxEEEEPS6_NSA_18transform_iteratorINSA_8identityIxEESF_NSA_11use_defaultESK_EENS0_5tupleIJSF_SF_EEENSM_IJSG_SG_EEES6_PlJS6_EEE10hipError_tPvRmT3_T4_T5_T6_T7_T9_mT8_P12ihipStream_tbDpT10_ENKUlT_T0_E_clISt17integral_constantIbLb0EES19_EEDaS14_S15_EUlS14_E_NS1_11comp_targetILNS1_3genE5ELNS1_11target_archE942ELNS1_3gpuE9ELNS1_3repE0EEENS1_30default_config_static_selectorELNS0_4arch9wavefront6targetE1EEEvT1_.kd
    .uniform_work_group_size: 1
    .uses_dynamic_stack: false
    .vgpr_count:     54
    .vgpr_spill_count: 0
    .wavefront_size: 64
  - .agpr_count:     0
    .args:
      - .offset:         0
        .size:           128
        .value_kind:     by_value
    .group_segment_fixed_size: 0
    .kernarg_segment_align: 8
    .kernarg_segment_size: 128
    .language:       OpenCL C
    .language_version:
      - 2
      - 0
    .max_flat_workgroup_size: 192
    .name:           _ZN7rocprim17ROCPRIM_400000_NS6detail17trampoline_kernelINS0_14default_configENS1_25partition_config_selectorILNS1_17partition_subalgoE1ExNS0_10empty_typeEbEEZZNS1_14partition_implILS5_1ELb0ES3_jN6thrust23THRUST_200600_302600_NS6detail15normal_iteratorINSA_10device_ptrIxEEEEPS6_NSA_18transform_iteratorINSA_8identityIxEESF_NSA_11use_defaultESK_EENS0_5tupleIJSF_SF_EEENSM_IJSG_SG_EEES6_PlJS6_EEE10hipError_tPvRmT3_T4_T5_T6_T7_T9_mT8_P12ihipStream_tbDpT10_ENKUlT_T0_E_clISt17integral_constantIbLb0EES19_EEDaS14_S15_EUlS14_E_NS1_11comp_targetILNS1_3genE4ELNS1_11target_archE910ELNS1_3gpuE8ELNS1_3repE0EEENS1_30default_config_static_selectorELNS0_4arch9wavefront6targetE1EEEvT1_
    .private_segment_fixed_size: 0
    .sgpr_count:     6
    .sgpr_spill_count: 0
    .symbol:         _ZN7rocprim17ROCPRIM_400000_NS6detail17trampoline_kernelINS0_14default_configENS1_25partition_config_selectorILNS1_17partition_subalgoE1ExNS0_10empty_typeEbEEZZNS1_14partition_implILS5_1ELb0ES3_jN6thrust23THRUST_200600_302600_NS6detail15normal_iteratorINSA_10device_ptrIxEEEEPS6_NSA_18transform_iteratorINSA_8identityIxEESF_NSA_11use_defaultESK_EENS0_5tupleIJSF_SF_EEENSM_IJSG_SG_EEES6_PlJS6_EEE10hipError_tPvRmT3_T4_T5_T6_T7_T9_mT8_P12ihipStream_tbDpT10_ENKUlT_T0_E_clISt17integral_constantIbLb0EES19_EEDaS14_S15_EUlS14_E_NS1_11comp_targetILNS1_3genE4ELNS1_11target_archE910ELNS1_3gpuE8ELNS1_3repE0EEENS1_30default_config_static_selectorELNS0_4arch9wavefront6targetE1EEEvT1_.kd
    .uniform_work_group_size: 1
    .uses_dynamic_stack: false
    .vgpr_count:     0
    .vgpr_spill_count: 0
    .wavefront_size: 64
  - .agpr_count:     0
    .args:
      - .offset:         0
        .size:           128
        .value_kind:     by_value
    .group_segment_fixed_size: 0
    .kernarg_segment_align: 8
    .kernarg_segment_size: 128
    .language:       OpenCL C
    .language_version:
      - 2
      - 0
    .max_flat_workgroup_size: 128
    .name:           _ZN7rocprim17ROCPRIM_400000_NS6detail17trampoline_kernelINS0_14default_configENS1_25partition_config_selectorILNS1_17partition_subalgoE1ExNS0_10empty_typeEbEEZZNS1_14partition_implILS5_1ELb0ES3_jN6thrust23THRUST_200600_302600_NS6detail15normal_iteratorINSA_10device_ptrIxEEEEPS6_NSA_18transform_iteratorINSA_8identityIxEESF_NSA_11use_defaultESK_EENS0_5tupleIJSF_SF_EEENSM_IJSG_SG_EEES6_PlJS6_EEE10hipError_tPvRmT3_T4_T5_T6_T7_T9_mT8_P12ihipStream_tbDpT10_ENKUlT_T0_E_clISt17integral_constantIbLb0EES19_EEDaS14_S15_EUlS14_E_NS1_11comp_targetILNS1_3genE3ELNS1_11target_archE908ELNS1_3gpuE7ELNS1_3repE0EEENS1_30default_config_static_selectorELNS0_4arch9wavefront6targetE1EEEvT1_
    .private_segment_fixed_size: 0
    .sgpr_count:     6
    .sgpr_spill_count: 0
    .symbol:         _ZN7rocprim17ROCPRIM_400000_NS6detail17trampoline_kernelINS0_14default_configENS1_25partition_config_selectorILNS1_17partition_subalgoE1ExNS0_10empty_typeEbEEZZNS1_14partition_implILS5_1ELb0ES3_jN6thrust23THRUST_200600_302600_NS6detail15normal_iteratorINSA_10device_ptrIxEEEEPS6_NSA_18transform_iteratorINSA_8identityIxEESF_NSA_11use_defaultESK_EENS0_5tupleIJSF_SF_EEENSM_IJSG_SG_EEES6_PlJS6_EEE10hipError_tPvRmT3_T4_T5_T6_T7_T9_mT8_P12ihipStream_tbDpT10_ENKUlT_T0_E_clISt17integral_constantIbLb0EES19_EEDaS14_S15_EUlS14_E_NS1_11comp_targetILNS1_3genE3ELNS1_11target_archE908ELNS1_3gpuE7ELNS1_3repE0EEENS1_30default_config_static_selectorELNS0_4arch9wavefront6targetE1EEEvT1_.kd
    .uniform_work_group_size: 1
    .uses_dynamic_stack: false
    .vgpr_count:     0
    .vgpr_spill_count: 0
    .wavefront_size: 64
  - .agpr_count:     0
    .args:
      - .offset:         0
        .size:           128
        .value_kind:     by_value
    .group_segment_fixed_size: 0
    .kernarg_segment_align: 8
    .kernarg_segment_size: 128
    .language:       OpenCL C
    .language_version:
      - 2
      - 0
    .max_flat_workgroup_size: 256
    .name:           _ZN7rocprim17ROCPRIM_400000_NS6detail17trampoline_kernelINS0_14default_configENS1_25partition_config_selectorILNS1_17partition_subalgoE1ExNS0_10empty_typeEbEEZZNS1_14partition_implILS5_1ELb0ES3_jN6thrust23THRUST_200600_302600_NS6detail15normal_iteratorINSA_10device_ptrIxEEEEPS6_NSA_18transform_iteratorINSA_8identityIxEESF_NSA_11use_defaultESK_EENS0_5tupleIJSF_SF_EEENSM_IJSG_SG_EEES6_PlJS6_EEE10hipError_tPvRmT3_T4_T5_T6_T7_T9_mT8_P12ihipStream_tbDpT10_ENKUlT_T0_E_clISt17integral_constantIbLb0EES19_EEDaS14_S15_EUlS14_E_NS1_11comp_targetILNS1_3genE2ELNS1_11target_archE906ELNS1_3gpuE6ELNS1_3repE0EEENS1_30default_config_static_selectorELNS0_4arch9wavefront6targetE1EEEvT1_
    .private_segment_fixed_size: 0
    .sgpr_count:     6
    .sgpr_spill_count: 0
    .symbol:         _ZN7rocprim17ROCPRIM_400000_NS6detail17trampoline_kernelINS0_14default_configENS1_25partition_config_selectorILNS1_17partition_subalgoE1ExNS0_10empty_typeEbEEZZNS1_14partition_implILS5_1ELb0ES3_jN6thrust23THRUST_200600_302600_NS6detail15normal_iteratorINSA_10device_ptrIxEEEEPS6_NSA_18transform_iteratorINSA_8identityIxEESF_NSA_11use_defaultESK_EENS0_5tupleIJSF_SF_EEENSM_IJSG_SG_EEES6_PlJS6_EEE10hipError_tPvRmT3_T4_T5_T6_T7_T9_mT8_P12ihipStream_tbDpT10_ENKUlT_T0_E_clISt17integral_constantIbLb0EES19_EEDaS14_S15_EUlS14_E_NS1_11comp_targetILNS1_3genE2ELNS1_11target_archE906ELNS1_3gpuE6ELNS1_3repE0EEENS1_30default_config_static_selectorELNS0_4arch9wavefront6targetE1EEEvT1_.kd
    .uniform_work_group_size: 1
    .uses_dynamic_stack: false
    .vgpr_count:     0
    .vgpr_spill_count: 0
    .wavefront_size: 64
  - .agpr_count:     0
    .args:
      - .offset:         0
        .size:           128
        .value_kind:     by_value
    .group_segment_fixed_size: 0
    .kernarg_segment_align: 8
    .kernarg_segment_size: 128
    .language:       OpenCL C
    .language_version:
      - 2
      - 0
    .max_flat_workgroup_size: 256
    .name:           _ZN7rocprim17ROCPRIM_400000_NS6detail17trampoline_kernelINS0_14default_configENS1_25partition_config_selectorILNS1_17partition_subalgoE1ExNS0_10empty_typeEbEEZZNS1_14partition_implILS5_1ELb0ES3_jN6thrust23THRUST_200600_302600_NS6detail15normal_iteratorINSA_10device_ptrIxEEEEPS6_NSA_18transform_iteratorINSA_8identityIxEESF_NSA_11use_defaultESK_EENS0_5tupleIJSF_SF_EEENSM_IJSG_SG_EEES6_PlJS6_EEE10hipError_tPvRmT3_T4_T5_T6_T7_T9_mT8_P12ihipStream_tbDpT10_ENKUlT_T0_E_clISt17integral_constantIbLb0EES19_EEDaS14_S15_EUlS14_E_NS1_11comp_targetILNS1_3genE10ELNS1_11target_archE1200ELNS1_3gpuE4ELNS1_3repE0EEENS1_30default_config_static_selectorELNS0_4arch9wavefront6targetE1EEEvT1_
    .private_segment_fixed_size: 0
    .sgpr_count:     6
    .sgpr_spill_count: 0
    .symbol:         _ZN7rocprim17ROCPRIM_400000_NS6detail17trampoline_kernelINS0_14default_configENS1_25partition_config_selectorILNS1_17partition_subalgoE1ExNS0_10empty_typeEbEEZZNS1_14partition_implILS5_1ELb0ES3_jN6thrust23THRUST_200600_302600_NS6detail15normal_iteratorINSA_10device_ptrIxEEEEPS6_NSA_18transform_iteratorINSA_8identityIxEESF_NSA_11use_defaultESK_EENS0_5tupleIJSF_SF_EEENSM_IJSG_SG_EEES6_PlJS6_EEE10hipError_tPvRmT3_T4_T5_T6_T7_T9_mT8_P12ihipStream_tbDpT10_ENKUlT_T0_E_clISt17integral_constantIbLb0EES19_EEDaS14_S15_EUlS14_E_NS1_11comp_targetILNS1_3genE10ELNS1_11target_archE1200ELNS1_3gpuE4ELNS1_3repE0EEENS1_30default_config_static_selectorELNS0_4arch9wavefront6targetE1EEEvT1_.kd
    .uniform_work_group_size: 1
    .uses_dynamic_stack: false
    .vgpr_count:     0
    .vgpr_spill_count: 0
    .wavefront_size: 64
  - .agpr_count:     0
    .args:
      - .offset:         0
        .size:           128
        .value_kind:     by_value
    .group_segment_fixed_size: 0
    .kernarg_segment_align: 8
    .kernarg_segment_size: 128
    .language:       OpenCL C
    .language_version:
      - 2
      - 0
    .max_flat_workgroup_size: 128
    .name:           _ZN7rocprim17ROCPRIM_400000_NS6detail17trampoline_kernelINS0_14default_configENS1_25partition_config_selectorILNS1_17partition_subalgoE1ExNS0_10empty_typeEbEEZZNS1_14partition_implILS5_1ELb0ES3_jN6thrust23THRUST_200600_302600_NS6detail15normal_iteratorINSA_10device_ptrIxEEEEPS6_NSA_18transform_iteratorINSA_8identityIxEESF_NSA_11use_defaultESK_EENS0_5tupleIJSF_SF_EEENSM_IJSG_SG_EEES6_PlJS6_EEE10hipError_tPvRmT3_T4_T5_T6_T7_T9_mT8_P12ihipStream_tbDpT10_ENKUlT_T0_E_clISt17integral_constantIbLb0EES19_EEDaS14_S15_EUlS14_E_NS1_11comp_targetILNS1_3genE9ELNS1_11target_archE1100ELNS1_3gpuE3ELNS1_3repE0EEENS1_30default_config_static_selectorELNS0_4arch9wavefront6targetE1EEEvT1_
    .private_segment_fixed_size: 0
    .sgpr_count:     6
    .sgpr_spill_count: 0
    .symbol:         _ZN7rocprim17ROCPRIM_400000_NS6detail17trampoline_kernelINS0_14default_configENS1_25partition_config_selectorILNS1_17partition_subalgoE1ExNS0_10empty_typeEbEEZZNS1_14partition_implILS5_1ELb0ES3_jN6thrust23THRUST_200600_302600_NS6detail15normal_iteratorINSA_10device_ptrIxEEEEPS6_NSA_18transform_iteratorINSA_8identityIxEESF_NSA_11use_defaultESK_EENS0_5tupleIJSF_SF_EEENSM_IJSG_SG_EEES6_PlJS6_EEE10hipError_tPvRmT3_T4_T5_T6_T7_T9_mT8_P12ihipStream_tbDpT10_ENKUlT_T0_E_clISt17integral_constantIbLb0EES19_EEDaS14_S15_EUlS14_E_NS1_11comp_targetILNS1_3genE9ELNS1_11target_archE1100ELNS1_3gpuE3ELNS1_3repE0EEENS1_30default_config_static_selectorELNS0_4arch9wavefront6targetE1EEEvT1_.kd
    .uniform_work_group_size: 1
    .uses_dynamic_stack: false
    .vgpr_count:     0
    .vgpr_spill_count: 0
    .wavefront_size: 64
  - .agpr_count:     0
    .args:
      - .offset:         0
        .size:           128
        .value_kind:     by_value
    .group_segment_fixed_size: 0
    .kernarg_segment_align: 8
    .kernarg_segment_size: 128
    .language:       OpenCL C
    .language_version:
      - 2
      - 0
    .max_flat_workgroup_size: 512
    .name:           _ZN7rocprim17ROCPRIM_400000_NS6detail17trampoline_kernelINS0_14default_configENS1_25partition_config_selectorILNS1_17partition_subalgoE1ExNS0_10empty_typeEbEEZZNS1_14partition_implILS5_1ELb0ES3_jN6thrust23THRUST_200600_302600_NS6detail15normal_iteratorINSA_10device_ptrIxEEEEPS6_NSA_18transform_iteratorINSA_8identityIxEESF_NSA_11use_defaultESK_EENS0_5tupleIJSF_SF_EEENSM_IJSG_SG_EEES6_PlJS6_EEE10hipError_tPvRmT3_T4_T5_T6_T7_T9_mT8_P12ihipStream_tbDpT10_ENKUlT_T0_E_clISt17integral_constantIbLb0EES19_EEDaS14_S15_EUlS14_E_NS1_11comp_targetILNS1_3genE8ELNS1_11target_archE1030ELNS1_3gpuE2ELNS1_3repE0EEENS1_30default_config_static_selectorELNS0_4arch9wavefront6targetE1EEEvT1_
    .private_segment_fixed_size: 0
    .sgpr_count:     6
    .sgpr_spill_count: 0
    .symbol:         _ZN7rocprim17ROCPRIM_400000_NS6detail17trampoline_kernelINS0_14default_configENS1_25partition_config_selectorILNS1_17partition_subalgoE1ExNS0_10empty_typeEbEEZZNS1_14partition_implILS5_1ELb0ES3_jN6thrust23THRUST_200600_302600_NS6detail15normal_iteratorINSA_10device_ptrIxEEEEPS6_NSA_18transform_iteratorINSA_8identityIxEESF_NSA_11use_defaultESK_EENS0_5tupleIJSF_SF_EEENSM_IJSG_SG_EEES6_PlJS6_EEE10hipError_tPvRmT3_T4_T5_T6_T7_T9_mT8_P12ihipStream_tbDpT10_ENKUlT_T0_E_clISt17integral_constantIbLb0EES19_EEDaS14_S15_EUlS14_E_NS1_11comp_targetILNS1_3genE8ELNS1_11target_archE1030ELNS1_3gpuE2ELNS1_3repE0EEENS1_30default_config_static_selectorELNS0_4arch9wavefront6targetE1EEEvT1_.kd
    .uniform_work_group_size: 1
    .uses_dynamic_stack: false
    .vgpr_count:     0
    .vgpr_spill_count: 0
    .wavefront_size: 64
  - .agpr_count:     0
    .args:
      - .offset:         0
        .size:           144
        .value_kind:     by_value
    .group_segment_fixed_size: 0
    .kernarg_segment_align: 8
    .kernarg_segment_size: 144
    .language:       OpenCL C
    .language_version:
      - 2
      - 0
    .max_flat_workgroup_size: 128
    .name:           _ZN7rocprim17ROCPRIM_400000_NS6detail17trampoline_kernelINS0_14default_configENS1_25partition_config_selectorILNS1_17partition_subalgoE1ExNS0_10empty_typeEbEEZZNS1_14partition_implILS5_1ELb0ES3_jN6thrust23THRUST_200600_302600_NS6detail15normal_iteratorINSA_10device_ptrIxEEEEPS6_NSA_18transform_iteratorINSA_8identityIxEESF_NSA_11use_defaultESK_EENS0_5tupleIJSF_SF_EEENSM_IJSG_SG_EEES6_PlJS6_EEE10hipError_tPvRmT3_T4_T5_T6_T7_T9_mT8_P12ihipStream_tbDpT10_ENKUlT_T0_E_clISt17integral_constantIbLb1EES19_EEDaS14_S15_EUlS14_E_NS1_11comp_targetILNS1_3genE0ELNS1_11target_archE4294967295ELNS1_3gpuE0ELNS1_3repE0EEENS1_30default_config_static_selectorELNS0_4arch9wavefront6targetE1EEEvT1_
    .private_segment_fixed_size: 0
    .sgpr_count:     6
    .sgpr_spill_count: 0
    .symbol:         _ZN7rocprim17ROCPRIM_400000_NS6detail17trampoline_kernelINS0_14default_configENS1_25partition_config_selectorILNS1_17partition_subalgoE1ExNS0_10empty_typeEbEEZZNS1_14partition_implILS5_1ELb0ES3_jN6thrust23THRUST_200600_302600_NS6detail15normal_iteratorINSA_10device_ptrIxEEEEPS6_NSA_18transform_iteratorINSA_8identityIxEESF_NSA_11use_defaultESK_EENS0_5tupleIJSF_SF_EEENSM_IJSG_SG_EEES6_PlJS6_EEE10hipError_tPvRmT3_T4_T5_T6_T7_T9_mT8_P12ihipStream_tbDpT10_ENKUlT_T0_E_clISt17integral_constantIbLb1EES19_EEDaS14_S15_EUlS14_E_NS1_11comp_targetILNS1_3genE0ELNS1_11target_archE4294967295ELNS1_3gpuE0ELNS1_3repE0EEENS1_30default_config_static_selectorELNS0_4arch9wavefront6targetE1EEEvT1_.kd
    .uniform_work_group_size: 1
    .uses_dynamic_stack: false
    .vgpr_count:     0
    .vgpr_spill_count: 0
    .wavefront_size: 64
  - .agpr_count:     0
    .args:
      - .offset:         0
        .size:           144
        .value_kind:     by_value
    .group_segment_fixed_size: 28680
    .kernarg_segment_align: 8
    .kernarg_segment_size: 144
    .language:       OpenCL C
    .language_version:
      - 2
      - 0
    .max_flat_workgroup_size: 512
    .name:           _ZN7rocprim17ROCPRIM_400000_NS6detail17trampoline_kernelINS0_14default_configENS1_25partition_config_selectorILNS1_17partition_subalgoE1ExNS0_10empty_typeEbEEZZNS1_14partition_implILS5_1ELb0ES3_jN6thrust23THRUST_200600_302600_NS6detail15normal_iteratorINSA_10device_ptrIxEEEEPS6_NSA_18transform_iteratorINSA_8identityIxEESF_NSA_11use_defaultESK_EENS0_5tupleIJSF_SF_EEENSM_IJSG_SG_EEES6_PlJS6_EEE10hipError_tPvRmT3_T4_T5_T6_T7_T9_mT8_P12ihipStream_tbDpT10_ENKUlT_T0_E_clISt17integral_constantIbLb1EES19_EEDaS14_S15_EUlS14_E_NS1_11comp_targetILNS1_3genE5ELNS1_11target_archE942ELNS1_3gpuE9ELNS1_3repE0EEENS1_30default_config_static_selectorELNS0_4arch9wavefront6targetE1EEEvT1_
    .private_segment_fixed_size: 0
    .sgpr_count:     50
    .sgpr_spill_count: 0
    .symbol:         _ZN7rocprim17ROCPRIM_400000_NS6detail17trampoline_kernelINS0_14default_configENS1_25partition_config_selectorILNS1_17partition_subalgoE1ExNS0_10empty_typeEbEEZZNS1_14partition_implILS5_1ELb0ES3_jN6thrust23THRUST_200600_302600_NS6detail15normal_iteratorINSA_10device_ptrIxEEEEPS6_NSA_18transform_iteratorINSA_8identityIxEESF_NSA_11use_defaultESK_EENS0_5tupleIJSF_SF_EEENSM_IJSG_SG_EEES6_PlJS6_EEE10hipError_tPvRmT3_T4_T5_T6_T7_T9_mT8_P12ihipStream_tbDpT10_ENKUlT_T0_E_clISt17integral_constantIbLb1EES19_EEDaS14_S15_EUlS14_E_NS1_11comp_targetILNS1_3genE5ELNS1_11target_archE942ELNS1_3gpuE9ELNS1_3repE0EEENS1_30default_config_static_selectorELNS0_4arch9wavefront6targetE1EEEvT1_.kd
    .uniform_work_group_size: 1
    .uses_dynamic_stack: false
    .vgpr_count:     58
    .vgpr_spill_count: 0
    .wavefront_size: 64
  - .agpr_count:     0
    .args:
      - .offset:         0
        .size:           144
        .value_kind:     by_value
    .group_segment_fixed_size: 0
    .kernarg_segment_align: 8
    .kernarg_segment_size: 144
    .language:       OpenCL C
    .language_version:
      - 2
      - 0
    .max_flat_workgroup_size: 192
    .name:           _ZN7rocprim17ROCPRIM_400000_NS6detail17trampoline_kernelINS0_14default_configENS1_25partition_config_selectorILNS1_17partition_subalgoE1ExNS0_10empty_typeEbEEZZNS1_14partition_implILS5_1ELb0ES3_jN6thrust23THRUST_200600_302600_NS6detail15normal_iteratorINSA_10device_ptrIxEEEEPS6_NSA_18transform_iteratorINSA_8identityIxEESF_NSA_11use_defaultESK_EENS0_5tupleIJSF_SF_EEENSM_IJSG_SG_EEES6_PlJS6_EEE10hipError_tPvRmT3_T4_T5_T6_T7_T9_mT8_P12ihipStream_tbDpT10_ENKUlT_T0_E_clISt17integral_constantIbLb1EES19_EEDaS14_S15_EUlS14_E_NS1_11comp_targetILNS1_3genE4ELNS1_11target_archE910ELNS1_3gpuE8ELNS1_3repE0EEENS1_30default_config_static_selectorELNS0_4arch9wavefront6targetE1EEEvT1_
    .private_segment_fixed_size: 0
    .sgpr_count:     6
    .sgpr_spill_count: 0
    .symbol:         _ZN7rocprim17ROCPRIM_400000_NS6detail17trampoline_kernelINS0_14default_configENS1_25partition_config_selectorILNS1_17partition_subalgoE1ExNS0_10empty_typeEbEEZZNS1_14partition_implILS5_1ELb0ES3_jN6thrust23THRUST_200600_302600_NS6detail15normal_iteratorINSA_10device_ptrIxEEEEPS6_NSA_18transform_iteratorINSA_8identityIxEESF_NSA_11use_defaultESK_EENS0_5tupleIJSF_SF_EEENSM_IJSG_SG_EEES6_PlJS6_EEE10hipError_tPvRmT3_T4_T5_T6_T7_T9_mT8_P12ihipStream_tbDpT10_ENKUlT_T0_E_clISt17integral_constantIbLb1EES19_EEDaS14_S15_EUlS14_E_NS1_11comp_targetILNS1_3genE4ELNS1_11target_archE910ELNS1_3gpuE8ELNS1_3repE0EEENS1_30default_config_static_selectorELNS0_4arch9wavefront6targetE1EEEvT1_.kd
    .uniform_work_group_size: 1
    .uses_dynamic_stack: false
    .vgpr_count:     0
    .vgpr_spill_count: 0
    .wavefront_size: 64
  - .agpr_count:     0
    .args:
      - .offset:         0
        .size:           144
        .value_kind:     by_value
    .group_segment_fixed_size: 0
    .kernarg_segment_align: 8
    .kernarg_segment_size: 144
    .language:       OpenCL C
    .language_version:
      - 2
      - 0
    .max_flat_workgroup_size: 128
    .name:           _ZN7rocprim17ROCPRIM_400000_NS6detail17trampoline_kernelINS0_14default_configENS1_25partition_config_selectorILNS1_17partition_subalgoE1ExNS0_10empty_typeEbEEZZNS1_14partition_implILS5_1ELb0ES3_jN6thrust23THRUST_200600_302600_NS6detail15normal_iteratorINSA_10device_ptrIxEEEEPS6_NSA_18transform_iteratorINSA_8identityIxEESF_NSA_11use_defaultESK_EENS0_5tupleIJSF_SF_EEENSM_IJSG_SG_EEES6_PlJS6_EEE10hipError_tPvRmT3_T4_T5_T6_T7_T9_mT8_P12ihipStream_tbDpT10_ENKUlT_T0_E_clISt17integral_constantIbLb1EES19_EEDaS14_S15_EUlS14_E_NS1_11comp_targetILNS1_3genE3ELNS1_11target_archE908ELNS1_3gpuE7ELNS1_3repE0EEENS1_30default_config_static_selectorELNS0_4arch9wavefront6targetE1EEEvT1_
    .private_segment_fixed_size: 0
    .sgpr_count:     6
    .sgpr_spill_count: 0
    .symbol:         _ZN7rocprim17ROCPRIM_400000_NS6detail17trampoline_kernelINS0_14default_configENS1_25partition_config_selectorILNS1_17partition_subalgoE1ExNS0_10empty_typeEbEEZZNS1_14partition_implILS5_1ELb0ES3_jN6thrust23THRUST_200600_302600_NS6detail15normal_iteratorINSA_10device_ptrIxEEEEPS6_NSA_18transform_iteratorINSA_8identityIxEESF_NSA_11use_defaultESK_EENS0_5tupleIJSF_SF_EEENSM_IJSG_SG_EEES6_PlJS6_EEE10hipError_tPvRmT3_T4_T5_T6_T7_T9_mT8_P12ihipStream_tbDpT10_ENKUlT_T0_E_clISt17integral_constantIbLb1EES19_EEDaS14_S15_EUlS14_E_NS1_11comp_targetILNS1_3genE3ELNS1_11target_archE908ELNS1_3gpuE7ELNS1_3repE0EEENS1_30default_config_static_selectorELNS0_4arch9wavefront6targetE1EEEvT1_.kd
    .uniform_work_group_size: 1
    .uses_dynamic_stack: false
    .vgpr_count:     0
    .vgpr_spill_count: 0
    .wavefront_size: 64
  - .agpr_count:     0
    .args:
      - .offset:         0
        .size:           144
        .value_kind:     by_value
    .group_segment_fixed_size: 0
    .kernarg_segment_align: 8
    .kernarg_segment_size: 144
    .language:       OpenCL C
    .language_version:
      - 2
      - 0
    .max_flat_workgroup_size: 256
    .name:           _ZN7rocprim17ROCPRIM_400000_NS6detail17trampoline_kernelINS0_14default_configENS1_25partition_config_selectorILNS1_17partition_subalgoE1ExNS0_10empty_typeEbEEZZNS1_14partition_implILS5_1ELb0ES3_jN6thrust23THRUST_200600_302600_NS6detail15normal_iteratorINSA_10device_ptrIxEEEEPS6_NSA_18transform_iteratorINSA_8identityIxEESF_NSA_11use_defaultESK_EENS0_5tupleIJSF_SF_EEENSM_IJSG_SG_EEES6_PlJS6_EEE10hipError_tPvRmT3_T4_T5_T6_T7_T9_mT8_P12ihipStream_tbDpT10_ENKUlT_T0_E_clISt17integral_constantIbLb1EES19_EEDaS14_S15_EUlS14_E_NS1_11comp_targetILNS1_3genE2ELNS1_11target_archE906ELNS1_3gpuE6ELNS1_3repE0EEENS1_30default_config_static_selectorELNS0_4arch9wavefront6targetE1EEEvT1_
    .private_segment_fixed_size: 0
    .sgpr_count:     6
    .sgpr_spill_count: 0
    .symbol:         _ZN7rocprim17ROCPRIM_400000_NS6detail17trampoline_kernelINS0_14default_configENS1_25partition_config_selectorILNS1_17partition_subalgoE1ExNS0_10empty_typeEbEEZZNS1_14partition_implILS5_1ELb0ES3_jN6thrust23THRUST_200600_302600_NS6detail15normal_iteratorINSA_10device_ptrIxEEEEPS6_NSA_18transform_iteratorINSA_8identityIxEESF_NSA_11use_defaultESK_EENS0_5tupleIJSF_SF_EEENSM_IJSG_SG_EEES6_PlJS6_EEE10hipError_tPvRmT3_T4_T5_T6_T7_T9_mT8_P12ihipStream_tbDpT10_ENKUlT_T0_E_clISt17integral_constantIbLb1EES19_EEDaS14_S15_EUlS14_E_NS1_11comp_targetILNS1_3genE2ELNS1_11target_archE906ELNS1_3gpuE6ELNS1_3repE0EEENS1_30default_config_static_selectorELNS0_4arch9wavefront6targetE1EEEvT1_.kd
    .uniform_work_group_size: 1
    .uses_dynamic_stack: false
    .vgpr_count:     0
    .vgpr_spill_count: 0
    .wavefront_size: 64
  - .agpr_count:     0
    .args:
      - .offset:         0
        .size:           144
        .value_kind:     by_value
    .group_segment_fixed_size: 0
    .kernarg_segment_align: 8
    .kernarg_segment_size: 144
    .language:       OpenCL C
    .language_version:
      - 2
      - 0
    .max_flat_workgroup_size: 256
    .name:           _ZN7rocprim17ROCPRIM_400000_NS6detail17trampoline_kernelINS0_14default_configENS1_25partition_config_selectorILNS1_17partition_subalgoE1ExNS0_10empty_typeEbEEZZNS1_14partition_implILS5_1ELb0ES3_jN6thrust23THRUST_200600_302600_NS6detail15normal_iteratorINSA_10device_ptrIxEEEEPS6_NSA_18transform_iteratorINSA_8identityIxEESF_NSA_11use_defaultESK_EENS0_5tupleIJSF_SF_EEENSM_IJSG_SG_EEES6_PlJS6_EEE10hipError_tPvRmT3_T4_T5_T6_T7_T9_mT8_P12ihipStream_tbDpT10_ENKUlT_T0_E_clISt17integral_constantIbLb1EES19_EEDaS14_S15_EUlS14_E_NS1_11comp_targetILNS1_3genE10ELNS1_11target_archE1200ELNS1_3gpuE4ELNS1_3repE0EEENS1_30default_config_static_selectorELNS0_4arch9wavefront6targetE1EEEvT1_
    .private_segment_fixed_size: 0
    .sgpr_count:     6
    .sgpr_spill_count: 0
    .symbol:         _ZN7rocprim17ROCPRIM_400000_NS6detail17trampoline_kernelINS0_14default_configENS1_25partition_config_selectorILNS1_17partition_subalgoE1ExNS0_10empty_typeEbEEZZNS1_14partition_implILS5_1ELb0ES3_jN6thrust23THRUST_200600_302600_NS6detail15normal_iteratorINSA_10device_ptrIxEEEEPS6_NSA_18transform_iteratorINSA_8identityIxEESF_NSA_11use_defaultESK_EENS0_5tupleIJSF_SF_EEENSM_IJSG_SG_EEES6_PlJS6_EEE10hipError_tPvRmT3_T4_T5_T6_T7_T9_mT8_P12ihipStream_tbDpT10_ENKUlT_T0_E_clISt17integral_constantIbLb1EES19_EEDaS14_S15_EUlS14_E_NS1_11comp_targetILNS1_3genE10ELNS1_11target_archE1200ELNS1_3gpuE4ELNS1_3repE0EEENS1_30default_config_static_selectorELNS0_4arch9wavefront6targetE1EEEvT1_.kd
    .uniform_work_group_size: 1
    .uses_dynamic_stack: false
    .vgpr_count:     0
    .vgpr_spill_count: 0
    .wavefront_size: 64
  - .agpr_count:     0
    .args:
      - .offset:         0
        .size:           144
        .value_kind:     by_value
    .group_segment_fixed_size: 0
    .kernarg_segment_align: 8
    .kernarg_segment_size: 144
    .language:       OpenCL C
    .language_version:
      - 2
      - 0
    .max_flat_workgroup_size: 128
    .name:           _ZN7rocprim17ROCPRIM_400000_NS6detail17trampoline_kernelINS0_14default_configENS1_25partition_config_selectorILNS1_17partition_subalgoE1ExNS0_10empty_typeEbEEZZNS1_14partition_implILS5_1ELb0ES3_jN6thrust23THRUST_200600_302600_NS6detail15normal_iteratorINSA_10device_ptrIxEEEEPS6_NSA_18transform_iteratorINSA_8identityIxEESF_NSA_11use_defaultESK_EENS0_5tupleIJSF_SF_EEENSM_IJSG_SG_EEES6_PlJS6_EEE10hipError_tPvRmT3_T4_T5_T6_T7_T9_mT8_P12ihipStream_tbDpT10_ENKUlT_T0_E_clISt17integral_constantIbLb1EES19_EEDaS14_S15_EUlS14_E_NS1_11comp_targetILNS1_3genE9ELNS1_11target_archE1100ELNS1_3gpuE3ELNS1_3repE0EEENS1_30default_config_static_selectorELNS0_4arch9wavefront6targetE1EEEvT1_
    .private_segment_fixed_size: 0
    .sgpr_count:     6
    .sgpr_spill_count: 0
    .symbol:         _ZN7rocprim17ROCPRIM_400000_NS6detail17trampoline_kernelINS0_14default_configENS1_25partition_config_selectorILNS1_17partition_subalgoE1ExNS0_10empty_typeEbEEZZNS1_14partition_implILS5_1ELb0ES3_jN6thrust23THRUST_200600_302600_NS6detail15normal_iteratorINSA_10device_ptrIxEEEEPS6_NSA_18transform_iteratorINSA_8identityIxEESF_NSA_11use_defaultESK_EENS0_5tupleIJSF_SF_EEENSM_IJSG_SG_EEES6_PlJS6_EEE10hipError_tPvRmT3_T4_T5_T6_T7_T9_mT8_P12ihipStream_tbDpT10_ENKUlT_T0_E_clISt17integral_constantIbLb1EES19_EEDaS14_S15_EUlS14_E_NS1_11comp_targetILNS1_3genE9ELNS1_11target_archE1100ELNS1_3gpuE3ELNS1_3repE0EEENS1_30default_config_static_selectorELNS0_4arch9wavefront6targetE1EEEvT1_.kd
    .uniform_work_group_size: 1
    .uses_dynamic_stack: false
    .vgpr_count:     0
    .vgpr_spill_count: 0
    .wavefront_size: 64
  - .agpr_count:     0
    .args:
      - .offset:         0
        .size:           144
        .value_kind:     by_value
    .group_segment_fixed_size: 0
    .kernarg_segment_align: 8
    .kernarg_segment_size: 144
    .language:       OpenCL C
    .language_version:
      - 2
      - 0
    .max_flat_workgroup_size: 512
    .name:           _ZN7rocprim17ROCPRIM_400000_NS6detail17trampoline_kernelINS0_14default_configENS1_25partition_config_selectorILNS1_17partition_subalgoE1ExNS0_10empty_typeEbEEZZNS1_14partition_implILS5_1ELb0ES3_jN6thrust23THRUST_200600_302600_NS6detail15normal_iteratorINSA_10device_ptrIxEEEEPS6_NSA_18transform_iteratorINSA_8identityIxEESF_NSA_11use_defaultESK_EENS0_5tupleIJSF_SF_EEENSM_IJSG_SG_EEES6_PlJS6_EEE10hipError_tPvRmT3_T4_T5_T6_T7_T9_mT8_P12ihipStream_tbDpT10_ENKUlT_T0_E_clISt17integral_constantIbLb1EES19_EEDaS14_S15_EUlS14_E_NS1_11comp_targetILNS1_3genE8ELNS1_11target_archE1030ELNS1_3gpuE2ELNS1_3repE0EEENS1_30default_config_static_selectorELNS0_4arch9wavefront6targetE1EEEvT1_
    .private_segment_fixed_size: 0
    .sgpr_count:     6
    .sgpr_spill_count: 0
    .symbol:         _ZN7rocprim17ROCPRIM_400000_NS6detail17trampoline_kernelINS0_14default_configENS1_25partition_config_selectorILNS1_17partition_subalgoE1ExNS0_10empty_typeEbEEZZNS1_14partition_implILS5_1ELb0ES3_jN6thrust23THRUST_200600_302600_NS6detail15normal_iteratorINSA_10device_ptrIxEEEEPS6_NSA_18transform_iteratorINSA_8identityIxEESF_NSA_11use_defaultESK_EENS0_5tupleIJSF_SF_EEENSM_IJSG_SG_EEES6_PlJS6_EEE10hipError_tPvRmT3_T4_T5_T6_T7_T9_mT8_P12ihipStream_tbDpT10_ENKUlT_T0_E_clISt17integral_constantIbLb1EES19_EEDaS14_S15_EUlS14_E_NS1_11comp_targetILNS1_3genE8ELNS1_11target_archE1030ELNS1_3gpuE2ELNS1_3repE0EEENS1_30default_config_static_selectorELNS0_4arch9wavefront6targetE1EEEvT1_.kd
    .uniform_work_group_size: 1
    .uses_dynamic_stack: false
    .vgpr_count:     0
    .vgpr_spill_count: 0
    .wavefront_size: 64
  - .agpr_count:     0
    .args:
      - .offset:         0
        .size:           128
        .value_kind:     by_value
    .group_segment_fixed_size: 0
    .kernarg_segment_align: 8
    .kernarg_segment_size: 128
    .language:       OpenCL C
    .language_version:
      - 2
      - 0
    .max_flat_workgroup_size: 128
    .name:           _ZN7rocprim17ROCPRIM_400000_NS6detail17trampoline_kernelINS0_14default_configENS1_25partition_config_selectorILNS1_17partition_subalgoE1ExNS0_10empty_typeEbEEZZNS1_14partition_implILS5_1ELb0ES3_jN6thrust23THRUST_200600_302600_NS6detail15normal_iteratorINSA_10device_ptrIxEEEEPS6_NSA_18transform_iteratorINSA_8identityIxEESF_NSA_11use_defaultESK_EENS0_5tupleIJSF_SF_EEENSM_IJSG_SG_EEES6_PlJS6_EEE10hipError_tPvRmT3_T4_T5_T6_T7_T9_mT8_P12ihipStream_tbDpT10_ENKUlT_T0_E_clISt17integral_constantIbLb1EES18_IbLb0EEEEDaS14_S15_EUlS14_E_NS1_11comp_targetILNS1_3genE0ELNS1_11target_archE4294967295ELNS1_3gpuE0ELNS1_3repE0EEENS1_30default_config_static_selectorELNS0_4arch9wavefront6targetE1EEEvT1_
    .private_segment_fixed_size: 0
    .sgpr_count:     6
    .sgpr_spill_count: 0
    .symbol:         _ZN7rocprim17ROCPRIM_400000_NS6detail17trampoline_kernelINS0_14default_configENS1_25partition_config_selectorILNS1_17partition_subalgoE1ExNS0_10empty_typeEbEEZZNS1_14partition_implILS5_1ELb0ES3_jN6thrust23THRUST_200600_302600_NS6detail15normal_iteratorINSA_10device_ptrIxEEEEPS6_NSA_18transform_iteratorINSA_8identityIxEESF_NSA_11use_defaultESK_EENS0_5tupleIJSF_SF_EEENSM_IJSG_SG_EEES6_PlJS6_EEE10hipError_tPvRmT3_T4_T5_T6_T7_T9_mT8_P12ihipStream_tbDpT10_ENKUlT_T0_E_clISt17integral_constantIbLb1EES18_IbLb0EEEEDaS14_S15_EUlS14_E_NS1_11comp_targetILNS1_3genE0ELNS1_11target_archE4294967295ELNS1_3gpuE0ELNS1_3repE0EEENS1_30default_config_static_selectorELNS0_4arch9wavefront6targetE1EEEvT1_.kd
    .uniform_work_group_size: 1
    .uses_dynamic_stack: false
    .vgpr_count:     0
    .vgpr_spill_count: 0
    .wavefront_size: 64
  - .agpr_count:     0
    .args:
      - .offset:         0
        .size:           128
        .value_kind:     by_value
    .group_segment_fixed_size: 28680
    .kernarg_segment_align: 8
    .kernarg_segment_size: 128
    .language:       OpenCL C
    .language_version:
      - 2
      - 0
    .max_flat_workgroup_size: 512
    .name:           _ZN7rocprim17ROCPRIM_400000_NS6detail17trampoline_kernelINS0_14default_configENS1_25partition_config_selectorILNS1_17partition_subalgoE1ExNS0_10empty_typeEbEEZZNS1_14partition_implILS5_1ELb0ES3_jN6thrust23THRUST_200600_302600_NS6detail15normal_iteratorINSA_10device_ptrIxEEEEPS6_NSA_18transform_iteratorINSA_8identityIxEESF_NSA_11use_defaultESK_EENS0_5tupleIJSF_SF_EEENSM_IJSG_SG_EEES6_PlJS6_EEE10hipError_tPvRmT3_T4_T5_T6_T7_T9_mT8_P12ihipStream_tbDpT10_ENKUlT_T0_E_clISt17integral_constantIbLb1EES18_IbLb0EEEEDaS14_S15_EUlS14_E_NS1_11comp_targetILNS1_3genE5ELNS1_11target_archE942ELNS1_3gpuE9ELNS1_3repE0EEENS1_30default_config_static_selectorELNS0_4arch9wavefront6targetE1EEEvT1_
    .private_segment_fixed_size: 0
    .sgpr_count:     50
    .sgpr_spill_count: 0
    .symbol:         _ZN7rocprim17ROCPRIM_400000_NS6detail17trampoline_kernelINS0_14default_configENS1_25partition_config_selectorILNS1_17partition_subalgoE1ExNS0_10empty_typeEbEEZZNS1_14partition_implILS5_1ELb0ES3_jN6thrust23THRUST_200600_302600_NS6detail15normal_iteratorINSA_10device_ptrIxEEEEPS6_NSA_18transform_iteratorINSA_8identityIxEESF_NSA_11use_defaultESK_EENS0_5tupleIJSF_SF_EEENSM_IJSG_SG_EEES6_PlJS6_EEE10hipError_tPvRmT3_T4_T5_T6_T7_T9_mT8_P12ihipStream_tbDpT10_ENKUlT_T0_E_clISt17integral_constantIbLb1EES18_IbLb0EEEEDaS14_S15_EUlS14_E_NS1_11comp_targetILNS1_3genE5ELNS1_11target_archE942ELNS1_3gpuE9ELNS1_3repE0EEENS1_30default_config_static_selectorELNS0_4arch9wavefront6targetE1EEEvT1_.kd
    .uniform_work_group_size: 1
    .uses_dynamic_stack: false
    .vgpr_count:     54
    .vgpr_spill_count: 0
    .wavefront_size: 64
  - .agpr_count:     0
    .args:
      - .offset:         0
        .size:           128
        .value_kind:     by_value
    .group_segment_fixed_size: 0
    .kernarg_segment_align: 8
    .kernarg_segment_size: 128
    .language:       OpenCL C
    .language_version:
      - 2
      - 0
    .max_flat_workgroup_size: 192
    .name:           _ZN7rocprim17ROCPRIM_400000_NS6detail17trampoline_kernelINS0_14default_configENS1_25partition_config_selectorILNS1_17partition_subalgoE1ExNS0_10empty_typeEbEEZZNS1_14partition_implILS5_1ELb0ES3_jN6thrust23THRUST_200600_302600_NS6detail15normal_iteratorINSA_10device_ptrIxEEEEPS6_NSA_18transform_iteratorINSA_8identityIxEESF_NSA_11use_defaultESK_EENS0_5tupleIJSF_SF_EEENSM_IJSG_SG_EEES6_PlJS6_EEE10hipError_tPvRmT3_T4_T5_T6_T7_T9_mT8_P12ihipStream_tbDpT10_ENKUlT_T0_E_clISt17integral_constantIbLb1EES18_IbLb0EEEEDaS14_S15_EUlS14_E_NS1_11comp_targetILNS1_3genE4ELNS1_11target_archE910ELNS1_3gpuE8ELNS1_3repE0EEENS1_30default_config_static_selectorELNS0_4arch9wavefront6targetE1EEEvT1_
    .private_segment_fixed_size: 0
    .sgpr_count:     6
    .sgpr_spill_count: 0
    .symbol:         _ZN7rocprim17ROCPRIM_400000_NS6detail17trampoline_kernelINS0_14default_configENS1_25partition_config_selectorILNS1_17partition_subalgoE1ExNS0_10empty_typeEbEEZZNS1_14partition_implILS5_1ELb0ES3_jN6thrust23THRUST_200600_302600_NS6detail15normal_iteratorINSA_10device_ptrIxEEEEPS6_NSA_18transform_iteratorINSA_8identityIxEESF_NSA_11use_defaultESK_EENS0_5tupleIJSF_SF_EEENSM_IJSG_SG_EEES6_PlJS6_EEE10hipError_tPvRmT3_T4_T5_T6_T7_T9_mT8_P12ihipStream_tbDpT10_ENKUlT_T0_E_clISt17integral_constantIbLb1EES18_IbLb0EEEEDaS14_S15_EUlS14_E_NS1_11comp_targetILNS1_3genE4ELNS1_11target_archE910ELNS1_3gpuE8ELNS1_3repE0EEENS1_30default_config_static_selectorELNS0_4arch9wavefront6targetE1EEEvT1_.kd
    .uniform_work_group_size: 1
    .uses_dynamic_stack: false
    .vgpr_count:     0
    .vgpr_spill_count: 0
    .wavefront_size: 64
  - .agpr_count:     0
    .args:
      - .offset:         0
        .size:           128
        .value_kind:     by_value
    .group_segment_fixed_size: 0
    .kernarg_segment_align: 8
    .kernarg_segment_size: 128
    .language:       OpenCL C
    .language_version:
      - 2
      - 0
    .max_flat_workgroup_size: 128
    .name:           _ZN7rocprim17ROCPRIM_400000_NS6detail17trampoline_kernelINS0_14default_configENS1_25partition_config_selectorILNS1_17partition_subalgoE1ExNS0_10empty_typeEbEEZZNS1_14partition_implILS5_1ELb0ES3_jN6thrust23THRUST_200600_302600_NS6detail15normal_iteratorINSA_10device_ptrIxEEEEPS6_NSA_18transform_iteratorINSA_8identityIxEESF_NSA_11use_defaultESK_EENS0_5tupleIJSF_SF_EEENSM_IJSG_SG_EEES6_PlJS6_EEE10hipError_tPvRmT3_T4_T5_T6_T7_T9_mT8_P12ihipStream_tbDpT10_ENKUlT_T0_E_clISt17integral_constantIbLb1EES18_IbLb0EEEEDaS14_S15_EUlS14_E_NS1_11comp_targetILNS1_3genE3ELNS1_11target_archE908ELNS1_3gpuE7ELNS1_3repE0EEENS1_30default_config_static_selectorELNS0_4arch9wavefront6targetE1EEEvT1_
    .private_segment_fixed_size: 0
    .sgpr_count:     6
    .sgpr_spill_count: 0
    .symbol:         _ZN7rocprim17ROCPRIM_400000_NS6detail17trampoline_kernelINS0_14default_configENS1_25partition_config_selectorILNS1_17partition_subalgoE1ExNS0_10empty_typeEbEEZZNS1_14partition_implILS5_1ELb0ES3_jN6thrust23THRUST_200600_302600_NS6detail15normal_iteratorINSA_10device_ptrIxEEEEPS6_NSA_18transform_iteratorINSA_8identityIxEESF_NSA_11use_defaultESK_EENS0_5tupleIJSF_SF_EEENSM_IJSG_SG_EEES6_PlJS6_EEE10hipError_tPvRmT3_T4_T5_T6_T7_T9_mT8_P12ihipStream_tbDpT10_ENKUlT_T0_E_clISt17integral_constantIbLb1EES18_IbLb0EEEEDaS14_S15_EUlS14_E_NS1_11comp_targetILNS1_3genE3ELNS1_11target_archE908ELNS1_3gpuE7ELNS1_3repE0EEENS1_30default_config_static_selectorELNS0_4arch9wavefront6targetE1EEEvT1_.kd
    .uniform_work_group_size: 1
    .uses_dynamic_stack: false
    .vgpr_count:     0
    .vgpr_spill_count: 0
    .wavefront_size: 64
  - .agpr_count:     0
    .args:
      - .offset:         0
        .size:           128
        .value_kind:     by_value
    .group_segment_fixed_size: 0
    .kernarg_segment_align: 8
    .kernarg_segment_size: 128
    .language:       OpenCL C
    .language_version:
      - 2
      - 0
    .max_flat_workgroup_size: 256
    .name:           _ZN7rocprim17ROCPRIM_400000_NS6detail17trampoline_kernelINS0_14default_configENS1_25partition_config_selectorILNS1_17partition_subalgoE1ExNS0_10empty_typeEbEEZZNS1_14partition_implILS5_1ELb0ES3_jN6thrust23THRUST_200600_302600_NS6detail15normal_iteratorINSA_10device_ptrIxEEEEPS6_NSA_18transform_iteratorINSA_8identityIxEESF_NSA_11use_defaultESK_EENS0_5tupleIJSF_SF_EEENSM_IJSG_SG_EEES6_PlJS6_EEE10hipError_tPvRmT3_T4_T5_T6_T7_T9_mT8_P12ihipStream_tbDpT10_ENKUlT_T0_E_clISt17integral_constantIbLb1EES18_IbLb0EEEEDaS14_S15_EUlS14_E_NS1_11comp_targetILNS1_3genE2ELNS1_11target_archE906ELNS1_3gpuE6ELNS1_3repE0EEENS1_30default_config_static_selectorELNS0_4arch9wavefront6targetE1EEEvT1_
    .private_segment_fixed_size: 0
    .sgpr_count:     6
    .sgpr_spill_count: 0
    .symbol:         _ZN7rocprim17ROCPRIM_400000_NS6detail17trampoline_kernelINS0_14default_configENS1_25partition_config_selectorILNS1_17partition_subalgoE1ExNS0_10empty_typeEbEEZZNS1_14partition_implILS5_1ELb0ES3_jN6thrust23THRUST_200600_302600_NS6detail15normal_iteratorINSA_10device_ptrIxEEEEPS6_NSA_18transform_iteratorINSA_8identityIxEESF_NSA_11use_defaultESK_EENS0_5tupleIJSF_SF_EEENSM_IJSG_SG_EEES6_PlJS6_EEE10hipError_tPvRmT3_T4_T5_T6_T7_T9_mT8_P12ihipStream_tbDpT10_ENKUlT_T0_E_clISt17integral_constantIbLb1EES18_IbLb0EEEEDaS14_S15_EUlS14_E_NS1_11comp_targetILNS1_3genE2ELNS1_11target_archE906ELNS1_3gpuE6ELNS1_3repE0EEENS1_30default_config_static_selectorELNS0_4arch9wavefront6targetE1EEEvT1_.kd
    .uniform_work_group_size: 1
    .uses_dynamic_stack: false
    .vgpr_count:     0
    .vgpr_spill_count: 0
    .wavefront_size: 64
  - .agpr_count:     0
    .args:
      - .offset:         0
        .size:           128
        .value_kind:     by_value
    .group_segment_fixed_size: 0
    .kernarg_segment_align: 8
    .kernarg_segment_size: 128
    .language:       OpenCL C
    .language_version:
      - 2
      - 0
    .max_flat_workgroup_size: 256
    .name:           _ZN7rocprim17ROCPRIM_400000_NS6detail17trampoline_kernelINS0_14default_configENS1_25partition_config_selectorILNS1_17partition_subalgoE1ExNS0_10empty_typeEbEEZZNS1_14partition_implILS5_1ELb0ES3_jN6thrust23THRUST_200600_302600_NS6detail15normal_iteratorINSA_10device_ptrIxEEEEPS6_NSA_18transform_iteratorINSA_8identityIxEESF_NSA_11use_defaultESK_EENS0_5tupleIJSF_SF_EEENSM_IJSG_SG_EEES6_PlJS6_EEE10hipError_tPvRmT3_T4_T5_T6_T7_T9_mT8_P12ihipStream_tbDpT10_ENKUlT_T0_E_clISt17integral_constantIbLb1EES18_IbLb0EEEEDaS14_S15_EUlS14_E_NS1_11comp_targetILNS1_3genE10ELNS1_11target_archE1200ELNS1_3gpuE4ELNS1_3repE0EEENS1_30default_config_static_selectorELNS0_4arch9wavefront6targetE1EEEvT1_
    .private_segment_fixed_size: 0
    .sgpr_count:     6
    .sgpr_spill_count: 0
    .symbol:         _ZN7rocprim17ROCPRIM_400000_NS6detail17trampoline_kernelINS0_14default_configENS1_25partition_config_selectorILNS1_17partition_subalgoE1ExNS0_10empty_typeEbEEZZNS1_14partition_implILS5_1ELb0ES3_jN6thrust23THRUST_200600_302600_NS6detail15normal_iteratorINSA_10device_ptrIxEEEEPS6_NSA_18transform_iteratorINSA_8identityIxEESF_NSA_11use_defaultESK_EENS0_5tupleIJSF_SF_EEENSM_IJSG_SG_EEES6_PlJS6_EEE10hipError_tPvRmT3_T4_T5_T6_T7_T9_mT8_P12ihipStream_tbDpT10_ENKUlT_T0_E_clISt17integral_constantIbLb1EES18_IbLb0EEEEDaS14_S15_EUlS14_E_NS1_11comp_targetILNS1_3genE10ELNS1_11target_archE1200ELNS1_3gpuE4ELNS1_3repE0EEENS1_30default_config_static_selectorELNS0_4arch9wavefront6targetE1EEEvT1_.kd
    .uniform_work_group_size: 1
    .uses_dynamic_stack: false
    .vgpr_count:     0
    .vgpr_spill_count: 0
    .wavefront_size: 64
  - .agpr_count:     0
    .args:
      - .offset:         0
        .size:           128
        .value_kind:     by_value
    .group_segment_fixed_size: 0
    .kernarg_segment_align: 8
    .kernarg_segment_size: 128
    .language:       OpenCL C
    .language_version:
      - 2
      - 0
    .max_flat_workgroup_size: 128
    .name:           _ZN7rocprim17ROCPRIM_400000_NS6detail17trampoline_kernelINS0_14default_configENS1_25partition_config_selectorILNS1_17partition_subalgoE1ExNS0_10empty_typeEbEEZZNS1_14partition_implILS5_1ELb0ES3_jN6thrust23THRUST_200600_302600_NS6detail15normal_iteratorINSA_10device_ptrIxEEEEPS6_NSA_18transform_iteratorINSA_8identityIxEESF_NSA_11use_defaultESK_EENS0_5tupleIJSF_SF_EEENSM_IJSG_SG_EEES6_PlJS6_EEE10hipError_tPvRmT3_T4_T5_T6_T7_T9_mT8_P12ihipStream_tbDpT10_ENKUlT_T0_E_clISt17integral_constantIbLb1EES18_IbLb0EEEEDaS14_S15_EUlS14_E_NS1_11comp_targetILNS1_3genE9ELNS1_11target_archE1100ELNS1_3gpuE3ELNS1_3repE0EEENS1_30default_config_static_selectorELNS0_4arch9wavefront6targetE1EEEvT1_
    .private_segment_fixed_size: 0
    .sgpr_count:     6
    .sgpr_spill_count: 0
    .symbol:         _ZN7rocprim17ROCPRIM_400000_NS6detail17trampoline_kernelINS0_14default_configENS1_25partition_config_selectorILNS1_17partition_subalgoE1ExNS0_10empty_typeEbEEZZNS1_14partition_implILS5_1ELb0ES3_jN6thrust23THRUST_200600_302600_NS6detail15normal_iteratorINSA_10device_ptrIxEEEEPS6_NSA_18transform_iteratorINSA_8identityIxEESF_NSA_11use_defaultESK_EENS0_5tupleIJSF_SF_EEENSM_IJSG_SG_EEES6_PlJS6_EEE10hipError_tPvRmT3_T4_T5_T6_T7_T9_mT8_P12ihipStream_tbDpT10_ENKUlT_T0_E_clISt17integral_constantIbLb1EES18_IbLb0EEEEDaS14_S15_EUlS14_E_NS1_11comp_targetILNS1_3genE9ELNS1_11target_archE1100ELNS1_3gpuE3ELNS1_3repE0EEENS1_30default_config_static_selectorELNS0_4arch9wavefront6targetE1EEEvT1_.kd
    .uniform_work_group_size: 1
    .uses_dynamic_stack: false
    .vgpr_count:     0
    .vgpr_spill_count: 0
    .wavefront_size: 64
  - .agpr_count:     0
    .args:
      - .offset:         0
        .size:           128
        .value_kind:     by_value
    .group_segment_fixed_size: 0
    .kernarg_segment_align: 8
    .kernarg_segment_size: 128
    .language:       OpenCL C
    .language_version:
      - 2
      - 0
    .max_flat_workgroup_size: 512
    .name:           _ZN7rocprim17ROCPRIM_400000_NS6detail17trampoline_kernelINS0_14default_configENS1_25partition_config_selectorILNS1_17partition_subalgoE1ExNS0_10empty_typeEbEEZZNS1_14partition_implILS5_1ELb0ES3_jN6thrust23THRUST_200600_302600_NS6detail15normal_iteratorINSA_10device_ptrIxEEEEPS6_NSA_18transform_iteratorINSA_8identityIxEESF_NSA_11use_defaultESK_EENS0_5tupleIJSF_SF_EEENSM_IJSG_SG_EEES6_PlJS6_EEE10hipError_tPvRmT3_T4_T5_T6_T7_T9_mT8_P12ihipStream_tbDpT10_ENKUlT_T0_E_clISt17integral_constantIbLb1EES18_IbLb0EEEEDaS14_S15_EUlS14_E_NS1_11comp_targetILNS1_3genE8ELNS1_11target_archE1030ELNS1_3gpuE2ELNS1_3repE0EEENS1_30default_config_static_selectorELNS0_4arch9wavefront6targetE1EEEvT1_
    .private_segment_fixed_size: 0
    .sgpr_count:     6
    .sgpr_spill_count: 0
    .symbol:         _ZN7rocprim17ROCPRIM_400000_NS6detail17trampoline_kernelINS0_14default_configENS1_25partition_config_selectorILNS1_17partition_subalgoE1ExNS0_10empty_typeEbEEZZNS1_14partition_implILS5_1ELb0ES3_jN6thrust23THRUST_200600_302600_NS6detail15normal_iteratorINSA_10device_ptrIxEEEEPS6_NSA_18transform_iteratorINSA_8identityIxEESF_NSA_11use_defaultESK_EENS0_5tupleIJSF_SF_EEENSM_IJSG_SG_EEES6_PlJS6_EEE10hipError_tPvRmT3_T4_T5_T6_T7_T9_mT8_P12ihipStream_tbDpT10_ENKUlT_T0_E_clISt17integral_constantIbLb1EES18_IbLb0EEEEDaS14_S15_EUlS14_E_NS1_11comp_targetILNS1_3genE8ELNS1_11target_archE1030ELNS1_3gpuE2ELNS1_3repE0EEENS1_30default_config_static_selectorELNS0_4arch9wavefront6targetE1EEEvT1_.kd
    .uniform_work_group_size: 1
    .uses_dynamic_stack: false
    .vgpr_count:     0
    .vgpr_spill_count: 0
    .wavefront_size: 64
  - .agpr_count:     0
    .args:
      - .offset:         0
        .size:           144
        .value_kind:     by_value
    .group_segment_fixed_size: 0
    .kernarg_segment_align: 8
    .kernarg_segment_size: 144
    .language:       OpenCL C
    .language_version:
      - 2
      - 0
    .max_flat_workgroup_size: 128
    .name:           _ZN7rocprim17ROCPRIM_400000_NS6detail17trampoline_kernelINS0_14default_configENS1_25partition_config_selectorILNS1_17partition_subalgoE1ExNS0_10empty_typeEbEEZZNS1_14partition_implILS5_1ELb0ES3_jN6thrust23THRUST_200600_302600_NS6detail15normal_iteratorINSA_10device_ptrIxEEEEPS6_NSA_18transform_iteratorINSA_8identityIxEESF_NSA_11use_defaultESK_EENS0_5tupleIJSF_SF_EEENSM_IJSG_SG_EEES6_PlJS6_EEE10hipError_tPvRmT3_T4_T5_T6_T7_T9_mT8_P12ihipStream_tbDpT10_ENKUlT_T0_E_clISt17integral_constantIbLb0EES18_IbLb1EEEEDaS14_S15_EUlS14_E_NS1_11comp_targetILNS1_3genE0ELNS1_11target_archE4294967295ELNS1_3gpuE0ELNS1_3repE0EEENS1_30default_config_static_selectorELNS0_4arch9wavefront6targetE1EEEvT1_
    .private_segment_fixed_size: 0
    .sgpr_count:     6
    .sgpr_spill_count: 0
    .symbol:         _ZN7rocprim17ROCPRIM_400000_NS6detail17trampoline_kernelINS0_14default_configENS1_25partition_config_selectorILNS1_17partition_subalgoE1ExNS0_10empty_typeEbEEZZNS1_14partition_implILS5_1ELb0ES3_jN6thrust23THRUST_200600_302600_NS6detail15normal_iteratorINSA_10device_ptrIxEEEEPS6_NSA_18transform_iteratorINSA_8identityIxEESF_NSA_11use_defaultESK_EENS0_5tupleIJSF_SF_EEENSM_IJSG_SG_EEES6_PlJS6_EEE10hipError_tPvRmT3_T4_T5_T6_T7_T9_mT8_P12ihipStream_tbDpT10_ENKUlT_T0_E_clISt17integral_constantIbLb0EES18_IbLb1EEEEDaS14_S15_EUlS14_E_NS1_11comp_targetILNS1_3genE0ELNS1_11target_archE4294967295ELNS1_3gpuE0ELNS1_3repE0EEENS1_30default_config_static_selectorELNS0_4arch9wavefront6targetE1EEEvT1_.kd
    .uniform_work_group_size: 1
    .uses_dynamic_stack: false
    .vgpr_count:     0
    .vgpr_spill_count: 0
    .wavefront_size: 64
  - .agpr_count:     0
    .args:
      - .offset:         0
        .size:           144
        .value_kind:     by_value
    .group_segment_fixed_size: 28680
    .kernarg_segment_align: 8
    .kernarg_segment_size: 144
    .language:       OpenCL C
    .language_version:
      - 2
      - 0
    .max_flat_workgroup_size: 512
    .name:           _ZN7rocprim17ROCPRIM_400000_NS6detail17trampoline_kernelINS0_14default_configENS1_25partition_config_selectorILNS1_17partition_subalgoE1ExNS0_10empty_typeEbEEZZNS1_14partition_implILS5_1ELb0ES3_jN6thrust23THRUST_200600_302600_NS6detail15normal_iteratorINSA_10device_ptrIxEEEEPS6_NSA_18transform_iteratorINSA_8identityIxEESF_NSA_11use_defaultESK_EENS0_5tupleIJSF_SF_EEENSM_IJSG_SG_EEES6_PlJS6_EEE10hipError_tPvRmT3_T4_T5_T6_T7_T9_mT8_P12ihipStream_tbDpT10_ENKUlT_T0_E_clISt17integral_constantIbLb0EES18_IbLb1EEEEDaS14_S15_EUlS14_E_NS1_11comp_targetILNS1_3genE5ELNS1_11target_archE942ELNS1_3gpuE9ELNS1_3repE0EEENS1_30default_config_static_selectorELNS0_4arch9wavefront6targetE1EEEvT1_
    .private_segment_fixed_size: 0
    .sgpr_count:     50
    .sgpr_spill_count: 0
    .symbol:         _ZN7rocprim17ROCPRIM_400000_NS6detail17trampoline_kernelINS0_14default_configENS1_25partition_config_selectorILNS1_17partition_subalgoE1ExNS0_10empty_typeEbEEZZNS1_14partition_implILS5_1ELb0ES3_jN6thrust23THRUST_200600_302600_NS6detail15normal_iteratorINSA_10device_ptrIxEEEEPS6_NSA_18transform_iteratorINSA_8identityIxEESF_NSA_11use_defaultESK_EENS0_5tupleIJSF_SF_EEENSM_IJSG_SG_EEES6_PlJS6_EEE10hipError_tPvRmT3_T4_T5_T6_T7_T9_mT8_P12ihipStream_tbDpT10_ENKUlT_T0_E_clISt17integral_constantIbLb0EES18_IbLb1EEEEDaS14_S15_EUlS14_E_NS1_11comp_targetILNS1_3genE5ELNS1_11target_archE942ELNS1_3gpuE9ELNS1_3repE0EEENS1_30default_config_static_selectorELNS0_4arch9wavefront6targetE1EEEvT1_.kd
    .uniform_work_group_size: 1
    .uses_dynamic_stack: false
    .vgpr_count:     58
    .vgpr_spill_count: 0
    .wavefront_size: 64
  - .agpr_count:     0
    .args:
      - .offset:         0
        .size:           144
        .value_kind:     by_value
    .group_segment_fixed_size: 0
    .kernarg_segment_align: 8
    .kernarg_segment_size: 144
    .language:       OpenCL C
    .language_version:
      - 2
      - 0
    .max_flat_workgroup_size: 192
    .name:           _ZN7rocprim17ROCPRIM_400000_NS6detail17trampoline_kernelINS0_14default_configENS1_25partition_config_selectorILNS1_17partition_subalgoE1ExNS0_10empty_typeEbEEZZNS1_14partition_implILS5_1ELb0ES3_jN6thrust23THRUST_200600_302600_NS6detail15normal_iteratorINSA_10device_ptrIxEEEEPS6_NSA_18transform_iteratorINSA_8identityIxEESF_NSA_11use_defaultESK_EENS0_5tupleIJSF_SF_EEENSM_IJSG_SG_EEES6_PlJS6_EEE10hipError_tPvRmT3_T4_T5_T6_T7_T9_mT8_P12ihipStream_tbDpT10_ENKUlT_T0_E_clISt17integral_constantIbLb0EES18_IbLb1EEEEDaS14_S15_EUlS14_E_NS1_11comp_targetILNS1_3genE4ELNS1_11target_archE910ELNS1_3gpuE8ELNS1_3repE0EEENS1_30default_config_static_selectorELNS0_4arch9wavefront6targetE1EEEvT1_
    .private_segment_fixed_size: 0
    .sgpr_count:     6
    .sgpr_spill_count: 0
    .symbol:         _ZN7rocprim17ROCPRIM_400000_NS6detail17trampoline_kernelINS0_14default_configENS1_25partition_config_selectorILNS1_17partition_subalgoE1ExNS0_10empty_typeEbEEZZNS1_14partition_implILS5_1ELb0ES3_jN6thrust23THRUST_200600_302600_NS6detail15normal_iteratorINSA_10device_ptrIxEEEEPS6_NSA_18transform_iteratorINSA_8identityIxEESF_NSA_11use_defaultESK_EENS0_5tupleIJSF_SF_EEENSM_IJSG_SG_EEES6_PlJS6_EEE10hipError_tPvRmT3_T4_T5_T6_T7_T9_mT8_P12ihipStream_tbDpT10_ENKUlT_T0_E_clISt17integral_constantIbLb0EES18_IbLb1EEEEDaS14_S15_EUlS14_E_NS1_11comp_targetILNS1_3genE4ELNS1_11target_archE910ELNS1_3gpuE8ELNS1_3repE0EEENS1_30default_config_static_selectorELNS0_4arch9wavefront6targetE1EEEvT1_.kd
    .uniform_work_group_size: 1
    .uses_dynamic_stack: false
    .vgpr_count:     0
    .vgpr_spill_count: 0
    .wavefront_size: 64
  - .agpr_count:     0
    .args:
      - .offset:         0
        .size:           144
        .value_kind:     by_value
    .group_segment_fixed_size: 0
    .kernarg_segment_align: 8
    .kernarg_segment_size: 144
    .language:       OpenCL C
    .language_version:
      - 2
      - 0
    .max_flat_workgroup_size: 128
    .name:           _ZN7rocprim17ROCPRIM_400000_NS6detail17trampoline_kernelINS0_14default_configENS1_25partition_config_selectorILNS1_17partition_subalgoE1ExNS0_10empty_typeEbEEZZNS1_14partition_implILS5_1ELb0ES3_jN6thrust23THRUST_200600_302600_NS6detail15normal_iteratorINSA_10device_ptrIxEEEEPS6_NSA_18transform_iteratorINSA_8identityIxEESF_NSA_11use_defaultESK_EENS0_5tupleIJSF_SF_EEENSM_IJSG_SG_EEES6_PlJS6_EEE10hipError_tPvRmT3_T4_T5_T6_T7_T9_mT8_P12ihipStream_tbDpT10_ENKUlT_T0_E_clISt17integral_constantIbLb0EES18_IbLb1EEEEDaS14_S15_EUlS14_E_NS1_11comp_targetILNS1_3genE3ELNS1_11target_archE908ELNS1_3gpuE7ELNS1_3repE0EEENS1_30default_config_static_selectorELNS0_4arch9wavefront6targetE1EEEvT1_
    .private_segment_fixed_size: 0
    .sgpr_count:     6
    .sgpr_spill_count: 0
    .symbol:         _ZN7rocprim17ROCPRIM_400000_NS6detail17trampoline_kernelINS0_14default_configENS1_25partition_config_selectorILNS1_17partition_subalgoE1ExNS0_10empty_typeEbEEZZNS1_14partition_implILS5_1ELb0ES3_jN6thrust23THRUST_200600_302600_NS6detail15normal_iteratorINSA_10device_ptrIxEEEEPS6_NSA_18transform_iteratorINSA_8identityIxEESF_NSA_11use_defaultESK_EENS0_5tupleIJSF_SF_EEENSM_IJSG_SG_EEES6_PlJS6_EEE10hipError_tPvRmT3_T4_T5_T6_T7_T9_mT8_P12ihipStream_tbDpT10_ENKUlT_T0_E_clISt17integral_constantIbLb0EES18_IbLb1EEEEDaS14_S15_EUlS14_E_NS1_11comp_targetILNS1_3genE3ELNS1_11target_archE908ELNS1_3gpuE7ELNS1_3repE0EEENS1_30default_config_static_selectorELNS0_4arch9wavefront6targetE1EEEvT1_.kd
    .uniform_work_group_size: 1
    .uses_dynamic_stack: false
    .vgpr_count:     0
    .vgpr_spill_count: 0
    .wavefront_size: 64
  - .agpr_count:     0
    .args:
      - .offset:         0
        .size:           144
        .value_kind:     by_value
    .group_segment_fixed_size: 0
    .kernarg_segment_align: 8
    .kernarg_segment_size: 144
    .language:       OpenCL C
    .language_version:
      - 2
      - 0
    .max_flat_workgroup_size: 256
    .name:           _ZN7rocprim17ROCPRIM_400000_NS6detail17trampoline_kernelINS0_14default_configENS1_25partition_config_selectorILNS1_17partition_subalgoE1ExNS0_10empty_typeEbEEZZNS1_14partition_implILS5_1ELb0ES3_jN6thrust23THRUST_200600_302600_NS6detail15normal_iteratorINSA_10device_ptrIxEEEEPS6_NSA_18transform_iteratorINSA_8identityIxEESF_NSA_11use_defaultESK_EENS0_5tupleIJSF_SF_EEENSM_IJSG_SG_EEES6_PlJS6_EEE10hipError_tPvRmT3_T4_T5_T6_T7_T9_mT8_P12ihipStream_tbDpT10_ENKUlT_T0_E_clISt17integral_constantIbLb0EES18_IbLb1EEEEDaS14_S15_EUlS14_E_NS1_11comp_targetILNS1_3genE2ELNS1_11target_archE906ELNS1_3gpuE6ELNS1_3repE0EEENS1_30default_config_static_selectorELNS0_4arch9wavefront6targetE1EEEvT1_
    .private_segment_fixed_size: 0
    .sgpr_count:     6
    .sgpr_spill_count: 0
    .symbol:         _ZN7rocprim17ROCPRIM_400000_NS6detail17trampoline_kernelINS0_14default_configENS1_25partition_config_selectorILNS1_17partition_subalgoE1ExNS0_10empty_typeEbEEZZNS1_14partition_implILS5_1ELb0ES3_jN6thrust23THRUST_200600_302600_NS6detail15normal_iteratorINSA_10device_ptrIxEEEEPS6_NSA_18transform_iteratorINSA_8identityIxEESF_NSA_11use_defaultESK_EENS0_5tupleIJSF_SF_EEENSM_IJSG_SG_EEES6_PlJS6_EEE10hipError_tPvRmT3_T4_T5_T6_T7_T9_mT8_P12ihipStream_tbDpT10_ENKUlT_T0_E_clISt17integral_constantIbLb0EES18_IbLb1EEEEDaS14_S15_EUlS14_E_NS1_11comp_targetILNS1_3genE2ELNS1_11target_archE906ELNS1_3gpuE6ELNS1_3repE0EEENS1_30default_config_static_selectorELNS0_4arch9wavefront6targetE1EEEvT1_.kd
    .uniform_work_group_size: 1
    .uses_dynamic_stack: false
    .vgpr_count:     0
    .vgpr_spill_count: 0
    .wavefront_size: 64
  - .agpr_count:     0
    .args:
      - .offset:         0
        .size:           144
        .value_kind:     by_value
    .group_segment_fixed_size: 0
    .kernarg_segment_align: 8
    .kernarg_segment_size: 144
    .language:       OpenCL C
    .language_version:
      - 2
      - 0
    .max_flat_workgroup_size: 256
    .name:           _ZN7rocprim17ROCPRIM_400000_NS6detail17trampoline_kernelINS0_14default_configENS1_25partition_config_selectorILNS1_17partition_subalgoE1ExNS0_10empty_typeEbEEZZNS1_14partition_implILS5_1ELb0ES3_jN6thrust23THRUST_200600_302600_NS6detail15normal_iteratorINSA_10device_ptrIxEEEEPS6_NSA_18transform_iteratorINSA_8identityIxEESF_NSA_11use_defaultESK_EENS0_5tupleIJSF_SF_EEENSM_IJSG_SG_EEES6_PlJS6_EEE10hipError_tPvRmT3_T4_T5_T6_T7_T9_mT8_P12ihipStream_tbDpT10_ENKUlT_T0_E_clISt17integral_constantIbLb0EES18_IbLb1EEEEDaS14_S15_EUlS14_E_NS1_11comp_targetILNS1_3genE10ELNS1_11target_archE1200ELNS1_3gpuE4ELNS1_3repE0EEENS1_30default_config_static_selectorELNS0_4arch9wavefront6targetE1EEEvT1_
    .private_segment_fixed_size: 0
    .sgpr_count:     6
    .sgpr_spill_count: 0
    .symbol:         _ZN7rocprim17ROCPRIM_400000_NS6detail17trampoline_kernelINS0_14default_configENS1_25partition_config_selectorILNS1_17partition_subalgoE1ExNS0_10empty_typeEbEEZZNS1_14partition_implILS5_1ELb0ES3_jN6thrust23THRUST_200600_302600_NS6detail15normal_iteratorINSA_10device_ptrIxEEEEPS6_NSA_18transform_iteratorINSA_8identityIxEESF_NSA_11use_defaultESK_EENS0_5tupleIJSF_SF_EEENSM_IJSG_SG_EEES6_PlJS6_EEE10hipError_tPvRmT3_T4_T5_T6_T7_T9_mT8_P12ihipStream_tbDpT10_ENKUlT_T0_E_clISt17integral_constantIbLb0EES18_IbLb1EEEEDaS14_S15_EUlS14_E_NS1_11comp_targetILNS1_3genE10ELNS1_11target_archE1200ELNS1_3gpuE4ELNS1_3repE0EEENS1_30default_config_static_selectorELNS0_4arch9wavefront6targetE1EEEvT1_.kd
    .uniform_work_group_size: 1
    .uses_dynamic_stack: false
    .vgpr_count:     0
    .vgpr_spill_count: 0
    .wavefront_size: 64
  - .agpr_count:     0
    .args:
      - .offset:         0
        .size:           144
        .value_kind:     by_value
    .group_segment_fixed_size: 0
    .kernarg_segment_align: 8
    .kernarg_segment_size: 144
    .language:       OpenCL C
    .language_version:
      - 2
      - 0
    .max_flat_workgroup_size: 128
    .name:           _ZN7rocprim17ROCPRIM_400000_NS6detail17trampoline_kernelINS0_14default_configENS1_25partition_config_selectorILNS1_17partition_subalgoE1ExNS0_10empty_typeEbEEZZNS1_14partition_implILS5_1ELb0ES3_jN6thrust23THRUST_200600_302600_NS6detail15normal_iteratorINSA_10device_ptrIxEEEEPS6_NSA_18transform_iteratorINSA_8identityIxEESF_NSA_11use_defaultESK_EENS0_5tupleIJSF_SF_EEENSM_IJSG_SG_EEES6_PlJS6_EEE10hipError_tPvRmT3_T4_T5_T6_T7_T9_mT8_P12ihipStream_tbDpT10_ENKUlT_T0_E_clISt17integral_constantIbLb0EES18_IbLb1EEEEDaS14_S15_EUlS14_E_NS1_11comp_targetILNS1_3genE9ELNS1_11target_archE1100ELNS1_3gpuE3ELNS1_3repE0EEENS1_30default_config_static_selectorELNS0_4arch9wavefront6targetE1EEEvT1_
    .private_segment_fixed_size: 0
    .sgpr_count:     6
    .sgpr_spill_count: 0
    .symbol:         _ZN7rocprim17ROCPRIM_400000_NS6detail17trampoline_kernelINS0_14default_configENS1_25partition_config_selectorILNS1_17partition_subalgoE1ExNS0_10empty_typeEbEEZZNS1_14partition_implILS5_1ELb0ES3_jN6thrust23THRUST_200600_302600_NS6detail15normal_iteratorINSA_10device_ptrIxEEEEPS6_NSA_18transform_iteratorINSA_8identityIxEESF_NSA_11use_defaultESK_EENS0_5tupleIJSF_SF_EEENSM_IJSG_SG_EEES6_PlJS6_EEE10hipError_tPvRmT3_T4_T5_T6_T7_T9_mT8_P12ihipStream_tbDpT10_ENKUlT_T0_E_clISt17integral_constantIbLb0EES18_IbLb1EEEEDaS14_S15_EUlS14_E_NS1_11comp_targetILNS1_3genE9ELNS1_11target_archE1100ELNS1_3gpuE3ELNS1_3repE0EEENS1_30default_config_static_selectorELNS0_4arch9wavefront6targetE1EEEvT1_.kd
    .uniform_work_group_size: 1
    .uses_dynamic_stack: false
    .vgpr_count:     0
    .vgpr_spill_count: 0
    .wavefront_size: 64
  - .agpr_count:     0
    .args:
      - .offset:         0
        .size:           144
        .value_kind:     by_value
    .group_segment_fixed_size: 0
    .kernarg_segment_align: 8
    .kernarg_segment_size: 144
    .language:       OpenCL C
    .language_version:
      - 2
      - 0
    .max_flat_workgroup_size: 512
    .name:           _ZN7rocprim17ROCPRIM_400000_NS6detail17trampoline_kernelINS0_14default_configENS1_25partition_config_selectorILNS1_17partition_subalgoE1ExNS0_10empty_typeEbEEZZNS1_14partition_implILS5_1ELb0ES3_jN6thrust23THRUST_200600_302600_NS6detail15normal_iteratorINSA_10device_ptrIxEEEEPS6_NSA_18transform_iteratorINSA_8identityIxEESF_NSA_11use_defaultESK_EENS0_5tupleIJSF_SF_EEENSM_IJSG_SG_EEES6_PlJS6_EEE10hipError_tPvRmT3_T4_T5_T6_T7_T9_mT8_P12ihipStream_tbDpT10_ENKUlT_T0_E_clISt17integral_constantIbLb0EES18_IbLb1EEEEDaS14_S15_EUlS14_E_NS1_11comp_targetILNS1_3genE8ELNS1_11target_archE1030ELNS1_3gpuE2ELNS1_3repE0EEENS1_30default_config_static_selectorELNS0_4arch9wavefront6targetE1EEEvT1_
    .private_segment_fixed_size: 0
    .sgpr_count:     6
    .sgpr_spill_count: 0
    .symbol:         _ZN7rocprim17ROCPRIM_400000_NS6detail17trampoline_kernelINS0_14default_configENS1_25partition_config_selectorILNS1_17partition_subalgoE1ExNS0_10empty_typeEbEEZZNS1_14partition_implILS5_1ELb0ES3_jN6thrust23THRUST_200600_302600_NS6detail15normal_iteratorINSA_10device_ptrIxEEEEPS6_NSA_18transform_iteratorINSA_8identityIxEESF_NSA_11use_defaultESK_EENS0_5tupleIJSF_SF_EEENSM_IJSG_SG_EEES6_PlJS6_EEE10hipError_tPvRmT3_T4_T5_T6_T7_T9_mT8_P12ihipStream_tbDpT10_ENKUlT_T0_E_clISt17integral_constantIbLb0EES18_IbLb1EEEEDaS14_S15_EUlS14_E_NS1_11comp_targetILNS1_3genE8ELNS1_11target_archE1030ELNS1_3gpuE2ELNS1_3repE0EEENS1_30default_config_static_selectorELNS0_4arch9wavefront6targetE1EEEvT1_.kd
    .uniform_work_group_size: 1
    .uses_dynamic_stack: false
    .vgpr_count:     0
    .vgpr_spill_count: 0
    .wavefront_size: 64
  - .agpr_count:     0
    .args:
      - .offset:         0
        .size:           128
        .value_kind:     by_value
    .group_segment_fixed_size: 0
    .kernarg_segment_align: 8
    .kernarg_segment_size: 128
    .language:       OpenCL C
    .language_version:
      - 2
      - 0
    .max_flat_workgroup_size: 256
    .name:           _ZN7rocprim17ROCPRIM_400000_NS6detail17trampoline_kernelINS0_14default_configENS1_25partition_config_selectorILNS1_17partition_subalgoE1EiNS0_10empty_typeEbEEZZNS1_14partition_implILS5_1ELb0ES3_jN6thrust23THRUST_200600_302600_NS6detail15normal_iteratorINSA_10device_ptrIiEEEEPS6_NSA_18transform_iteratorINSA_8identityIiEESF_NSA_11use_defaultESK_EENS0_5tupleIJSF_SF_EEENSM_IJSG_SG_EEES6_PlJS6_EEE10hipError_tPvRmT3_T4_T5_T6_T7_T9_mT8_P12ihipStream_tbDpT10_ENKUlT_T0_E_clISt17integral_constantIbLb0EES19_EEDaS14_S15_EUlS14_E_NS1_11comp_targetILNS1_3genE0ELNS1_11target_archE4294967295ELNS1_3gpuE0ELNS1_3repE0EEENS1_30default_config_static_selectorELNS0_4arch9wavefront6targetE1EEEvT1_
    .private_segment_fixed_size: 0
    .sgpr_count:     6
    .sgpr_spill_count: 0
    .symbol:         _ZN7rocprim17ROCPRIM_400000_NS6detail17trampoline_kernelINS0_14default_configENS1_25partition_config_selectorILNS1_17partition_subalgoE1EiNS0_10empty_typeEbEEZZNS1_14partition_implILS5_1ELb0ES3_jN6thrust23THRUST_200600_302600_NS6detail15normal_iteratorINSA_10device_ptrIiEEEEPS6_NSA_18transform_iteratorINSA_8identityIiEESF_NSA_11use_defaultESK_EENS0_5tupleIJSF_SF_EEENSM_IJSG_SG_EEES6_PlJS6_EEE10hipError_tPvRmT3_T4_T5_T6_T7_T9_mT8_P12ihipStream_tbDpT10_ENKUlT_T0_E_clISt17integral_constantIbLb0EES19_EEDaS14_S15_EUlS14_E_NS1_11comp_targetILNS1_3genE0ELNS1_11target_archE4294967295ELNS1_3gpuE0ELNS1_3repE0EEENS1_30default_config_static_selectorELNS0_4arch9wavefront6targetE1EEEvT1_.kd
    .uniform_work_group_size: 1
    .uses_dynamic_stack: false
    .vgpr_count:     0
    .vgpr_spill_count: 0
    .wavefront_size: 64
  - .agpr_count:     0
    .args:
      - .offset:         0
        .size:           128
        .value_kind:     by_value
    .group_segment_fixed_size: 30728
    .kernarg_segment_align: 8
    .kernarg_segment_size: 128
    .language:       OpenCL C
    .language_version:
      - 2
      - 0
    .max_flat_workgroup_size: 512
    .name:           _ZN7rocprim17ROCPRIM_400000_NS6detail17trampoline_kernelINS0_14default_configENS1_25partition_config_selectorILNS1_17partition_subalgoE1EiNS0_10empty_typeEbEEZZNS1_14partition_implILS5_1ELb0ES3_jN6thrust23THRUST_200600_302600_NS6detail15normal_iteratorINSA_10device_ptrIiEEEEPS6_NSA_18transform_iteratorINSA_8identityIiEESF_NSA_11use_defaultESK_EENS0_5tupleIJSF_SF_EEENSM_IJSG_SG_EEES6_PlJS6_EEE10hipError_tPvRmT3_T4_T5_T6_T7_T9_mT8_P12ihipStream_tbDpT10_ENKUlT_T0_E_clISt17integral_constantIbLb0EES19_EEDaS14_S15_EUlS14_E_NS1_11comp_targetILNS1_3genE5ELNS1_11target_archE942ELNS1_3gpuE9ELNS1_3repE0EEENS1_30default_config_static_selectorELNS0_4arch9wavefront6targetE1EEEvT1_
    .private_segment_fixed_size: 0
    .sgpr_count:     50
    .sgpr_spill_count: 0
    .symbol:         _ZN7rocprim17ROCPRIM_400000_NS6detail17trampoline_kernelINS0_14default_configENS1_25partition_config_selectorILNS1_17partition_subalgoE1EiNS0_10empty_typeEbEEZZNS1_14partition_implILS5_1ELb0ES3_jN6thrust23THRUST_200600_302600_NS6detail15normal_iteratorINSA_10device_ptrIiEEEEPS6_NSA_18transform_iteratorINSA_8identityIiEESF_NSA_11use_defaultESK_EENS0_5tupleIJSF_SF_EEENSM_IJSG_SG_EEES6_PlJS6_EEE10hipError_tPvRmT3_T4_T5_T6_T7_T9_mT8_P12ihipStream_tbDpT10_ENKUlT_T0_E_clISt17integral_constantIbLb0EES19_EEDaS14_S15_EUlS14_E_NS1_11comp_targetILNS1_3genE5ELNS1_11target_archE942ELNS1_3gpuE9ELNS1_3repE0EEENS1_30default_config_static_selectorELNS0_4arch9wavefront6targetE1EEEvT1_.kd
    .uniform_work_group_size: 1
    .uses_dynamic_stack: false
    .vgpr_count:     65
    .vgpr_spill_count: 0
    .wavefront_size: 64
  - .agpr_count:     0
    .args:
      - .offset:         0
        .size:           128
        .value_kind:     by_value
    .group_segment_fixed_size: 0
    .kernarg_segment_align: 8
    .kernarg_segment_size: 128
    .language:       OpenCL C
    .language_version:
      - 2
      - 0
    .max_flat_workgroup_size: 256
    .name:           _ZN7rocprim17ROCPRIM_400000_NS6detail17trampoline_kernelINS0_14default_configENS1_25partition_config_selectorILNS1_17partition_subalgoE1EiNS0_10empty_typeEbEEZZNS1_14partition_implILS5_1ELb0ES3_jN6thrust23THRUST_200600_302600_NS6detail15normal_iteratorINSA_10device_ptrIiEEEEPS6_NSA_18transform_iteratorINSA_8identityIiEESF_NSA_11use_defaultESK_EENS0_5tupleIJSF_SF_EEENSM_IJSG_SG_EEES6_PlJS6_EEE10hipError_tPvRmT3_T4_T5_T6_T7_T9_mT8_P12ihipStream_tbDpT10_ENKUlT_T0_E_clISt17integral_constantIbLb0EES19_EEDaS14_S15_EUlS14_E_NS1_11comp_targetILNS1_3genE4ELNS1_11target_archE910ELNS1_3gpuE8ELNS1_3repE0EEENS1_30default_config_static_selectorELNS0_4arch9wavefront6targetE1EEEvT1_
    .private_segment_fixed_size: 0
    .sgpr_count:     6
    .sgpr_spill_count: 0
    .symbol:         _ZN7rocprim17ROCPRIM_400000_NS6detail17trampoline_kernelINS0_14default_configENS1_25partition_config_selectorILNS1_17partition_subalgoE1EiNS0_10empty_typeEbEEZZNS1_14partition_implILS5_1ELb0ES3_jN6thrust23THRUST_200600_302600_NS6detail15normal_iteratorINSA_10device_ptrIiEEEEPS6_NSA_18transform_iteratorINSA_8identityIiEESF_NSA_11use_defaultESK_EENS0_5tupleIJSF_SF_EEENSM_IJSG_SG_EEES6_PlJS6_EEE10hipError_tPvRmT3_T4_T5_T6_T7_T9_mT8_P12ihipStream_tbDpT10_ENKUlT_T0_E_clISt17integral_constantIbLb0EES19_EEDaS14_S15_EUlS14_E_NS1_11comp_targetILNS1_3genE4ELNS1_11target_archE910ELNS1_3gpuE8ELNS1_3repE0EEENS1_30default_config_static_selectorELNS0_4arch9wavefront6targetE1EEEvT1_.kd
    .uniform_work_group_size: 1
    .uses_dynamic_stack: false
    .vgpr_count:     0
    .vgpr_spill_count: 0
    .wavefront_size: 64
  - .agpr_count:     0
    .args:
      - .offset:         0
        .size:           128
        .value_kind:     by_value
    .group_segment_fixed_size: 0
    .kernarg_segment_align: 8
    .kernarg_segment_size: 128
    .language:       OpenCL C
    .language_version:
      - 2
      - 0
    .max_flat_workgroup_size: 256
    .name:           _ZN7rocprim17ROCPRIM_400000_NS6detail17trampoline_kernelINS0_14default_configENS1_25partition_config_selectorILNS1_17partition_subalgoE1EiNS0_10empty_typeEbEEZZNS1_14partition_implILS5_1ELb0ES3_jN6thrust23THRUST_200600_302600_NS6detail15normal_iteratorINSA_10device_ptrIiEEEEPS6_NSA_18transform_iteratorINSA_8identityIiEESF_NSA_11use_defaultESK_EENS0_5tupleIJSF_SF_EEENSM_IJSG_SG_EEES6_PlJS6_EEE10hipError_tPvRmT3_T4_T5_T6_T7_T9_mT8_P12ihipStream_tbDpT10_ENKUlT_T0_E_clISt17integral_constantIbLb0EES19_EEDaS14_S15_EUlS14_E_NS1_11comp_targetILNS1_3genE3ELNS1_11target_archE908ELNS1_3gpuE7ELNS1_3repE0EEENS1_30default_config_static_selectorELNS0_4arch9wavefront6targetE1EEEvT1_
    .private_segment_fixed_size: 0
    .sgpr_count:     6
    .sgpr_spill_count: 0
    .symbol:         _ZN7rocprim17ROCPRIM_400000_NS6detail17trampoline_kernelINS0_14default_configENS1_25partition_config_selectorILNS1_17partition_subalgoE1EiNS0_10empty_typeEbEEZZNS1_14partition_implILS5_1ELb0ES3_jN6thrust23THRUST_200600_302600_NS6detail15normal_iteratorINSA_10device_ptrIiEEEEPS6_NSA_18transform_iteratorINSA_8identityIiEESF_NSA_11use_defaultESK_EENS0_5tupleIJSF_SF_EEENSM_IJSG_SG_EEES6_PlJS6_EEE10hipError_tPvRmT3_T4_T5_T6_T7_T9_mT8_P12ihipStream_tbDpT10_ENKUlT_T0_E_clISt17integral_constantIbLb0EES19_EEDaS14_S15_EUlS14_E_NS1_11comp_targetILNS1_3genE3ELNS1_11target_archE908ELNS1_3gpuE7ELNS1_3repE0EEENS1_30default_config_static_selectorELNS0_4arch9wavefront6targetE1EEEvT1_.kd
    .uniform_work_group_size: 1
    .uses_dynamic_stack: false
    .vgpr_count:     0
    .vgpr_spill_count: 0
    .wavefront_size: 64
  - .agpr_count:     0
    .args:
      - .offset:         0
        .size:           128
        .value_kind:     by_value
    .group_segment_fixed_size: 0
    .kernarg_segment_align: 8
    .kernarg_segment_size: 128
    .language:       OpenCL C
    .language_version:
      - 2
      - 0
    .max_flat_workgroup_size: 256
    .name:           _ZN7rocprim17ROCPRIM_400000_NS6detail17trampoline_kernelINS0_14default_configENS1_25partition_config_selectorILNS1_17partition_subalgoE1EiNS0_10empty_typeEbEEZZNS1_14partition_implILS5_1ELb0ES3_jN6thrust23THRUST_200600_302600_NS6detail15normal_iteratorINSA_10device_ptrIiEEEEPS6_NSA_18transform_iteratorINSA_8identityIiEESF_NSA_11use_defaultESK_EENS0_5tupleIJSF_SF_EEENSM_IJSG_SG_EEES6_PlJS6_EEE10hipError_tPvRmT3_T4_T5_T6_T7_T9_mT8_P12ihipStream_tbDpT10_ENKUlT_T0_E_clISt17integral_constantIbLb0EES19_EEDaS14_S15_EUlS14_E_NS1_11comp_targetILNS1_3genE2ELNS1_11target_archE906ELNS1_3gpuE6ELNS1_3repE0EEENS1_30default_config_static_selectorELNS0_4arch9wavefront6targetE1EEEvT1_
    .private_segment_fixed_size: 0
    .sgpr_count:     6
    .sgpr_spill_count: 0
    .symbol:         _ZN7rocprim17ROCPRIM_400000_NS6detail17trampoline_kernelINS0_14default_configENS1_25partition_config_selectorILNS1_17partition_subalgoE1EiNS0_10empty_typeEbEEZZNS1_14partition_implILS5_1ELb0ES3_jN6thrust23THRUST_200600_302600_NS6detail15normal_iteratorINSA_10device_ptrIiEEEEPS6_NSA_18transform_iteratorINSA_8identityIiEESF_NSA_11use_defaultESK_EENS0_5tupleIJSF_SF_EEENSM_IJSG_SG_EEES6_PlJS6_EEE10hipError_tPvRmT3_T4_T5_T6_T7_T9_mT8_P12ihipStream_tbDpT10_ENKUlT_T0_E_clISt17integral_constantIbLb0EES19_EEDaS14_S15_EUlS14_E_NS1_11comp_targetILNS1_3genE2ELNS1_11target_archE906ELNS1_3gpuE6ELNS1_3repE0EEENS1_30default_config_static_selectorELNS0_4arch9wavefront6targetE1EEEvT1_.kd
    .uniform_work_group_size: 1
    .uses_dynamic_stack: false
    .vgpr_count:     0
    .vgpr_spill_count: 0
    .wavefront_size: 64
  - .agpr_count:     0
    .args:
      - .offset:         0
        .size:           128
        .value_kind:     by_value
    .group_segment_fixed_size: 0
    .kernarg_segment_align: 8
    .kernarg_segment_size: 128
    .language:       OpenCL C
    .language_version:
      - 2
      - 0
    .max_flat_workgroup_size: 256
    .name:           _ZN7rocprim17ROCPRIM_400000_NS6detail17trampoline_kernelINS0_14default_configENS1_25partition_config_selectorILNS1_17partition_subalgoE1EiNS0_10empty_typeEbEEZZNS1_14partition_implILS5_1ELb0ES3_jN6thrust23THRUST_200600_302600_NS6detail15normal_iteratorINSA_10device_ptrIiEEEEPS6_NSA_18transform_iteratorINSA_8identityIiEESF_NSA_11use_defaultESK_EENS0_5tupleIJSF_SF_EEENSM_IJSG_SG_EEES6_PlJS6_EEE10hipError_tPvRmT3_T4_T5_T6_T7_T9_mT8_P12ihipStream_tbDpT10_ENKUlT_T0_E_clISt17integral_constantIbLb0EES19_EEDaS14_S15_EUlS14_E_NS1_11comp_targetILNS1_3genE10ELNS1_11target_archE1200ELNS1_3gpuE4ELNS1_3repE0EEENS1_30default_config_static_selectorELNS0_4arch9wavefront6targetE1EEEvT1_
    .private_segment_fixed_size: 0
    .sgpr_count:     6
    .sgpr_spill_count: 0
    .symbol:         _ZN7rocprim17ROCPRIM_400000_NS6detail17trampoline_kernelINS0_14default_configENS1_25partition_config_selectorILNS1_17partition_subalgoE1EiNS0_10empty_typeEbEEZZNS1_14partition_implILS5_1ELb0ES3_jN6thrust23THRUST_200600_302600_NS6detail15normal_iteratorINSA_10device_ptrIiEEEEPS6_NSA_18transform_iteratorINSA_8identityIiEESF_NSA_11use_defaultESK_EENS0_5tupleIJSF_SF_EEENSM_IJSG_SG_EEES6_PlJS6_EEE10hipError_tPvRmT3_T4_T5_T6_T7_T9_mT8_P12ihipStream_tbDpT10_ENKUlT_T0_E_clISt17integral_constantIbLb0EES19_EEDaS14_S15_EUlS14_E_NS1_11comp_targetILNS1_3genE10ELNS1_11target_archE1200ELNS1_3gpuE4ELNS1_3repE0EEENS1_30default_config_static_selectorELNS0_4arch9wavefront6targetE1EEEvT1_.kd
    .uniform_work_group_size: 1
    .uses_dynamic_stack: false
    .vgpr_count:     0
    .vgpr_spill_count: 0
    .wavefront_size: 64
  - .agpr_count:     0
    .args:
      - .offset:         0
        .size:           128
        .value_kind:     by_value
    .group_segment_fixed_size: 0
    .kernarg_segment_align: 8
    .kernarg_segment_size: 128
    .language:       OpenCL C
    .language_version:
      - 2
      - 0
    .max_flat_workgroup_size: 128
    .name:           _ZN7rocprim17ROCPRIM_400000_NS6detail17trampoline_kernelINS0_14default_configENS1_25partition_config_selectorILNS1_17partition_subalgoE1EiNS0_10empty_typeEbEEZZNS1_14partition_implILS5_1ELb0ES3_jN6thrust23THRUST_200600_302600_NS6detail15normal_iteratorINSA_10device_ptrIiEEEEPS6_NSA_18transform_iteratorINSA_8identityIiEESF_NSA_11use_defaultESK_EENS0_5tupleIJSF_SF_EEENSM_IJSG_SG_EEES6_PlJS6_EEE10hipError_tPvRmT3_T4_T5_T6_T7_T9_mT8_P12ihipStream_tbDpT10_ENKUlT_T0_E_clISt17integral_constantIbLb0EES19_EEDaS14_S15_EUlS14_E_NS1_11comp_targetILNS1_3genE9ELNS1_11target_archE1100ELNS1_3gpuE3ELNS1_3repE0EEENS1_30default_config_static_selectorELNS0_4arch9wavefront6targetE1EEEvT1_
    .private_segment_fixed_size: 0
    .sgpr_count:     6
    .sgpr_spill_count: 0
    .symbol:         _ZN7rocprim17ROCPRIM_400000_NS6detail17trampoline_kernelINS0_14default_configENS1_25partition_config_selectorILNS1_17partition_subalgoE1EiNS0_10empty_typeEbEEZZNS1_14partition_implILS5_1ELb0ES3_jN6thrust23THRUST_200600_302600_NS6detail15normal_iteratorINSA_10device_ptrIiEEEEPS6_NSA_18transform_iteratorINSA_8identityIiEESF_NSA_11use_defaultESK_EENS0_5tupleIJSF_SF_EEENSM_IJSG_SG_EEES6_PlJS6_EEE10hipError_tPvRmT3_T4_T5_T6_T7_T9_mT8_P12ihipStream_tbDpT10_ENKUlT_T0_E_clISt17integral_constantIbLb0EES19_EEDaS14_S15_EUlS14_E_NS1_11comp_targetILNS1_3genE9ELNS1_11target_archE1100ELNS1_3gpuE3ELNS1_3repE0EEENS1_30default_config_static_selectorELNS0_4arch9wavefront6targetE1EEEvT1_.kd
    .uniform_work_group_size: 1
    .uses_dynamic_stack: false
    .vgpr_count:     0
    .vgpr_spill_count: 0
    .wavefront_size: 64
  - .agpr_count:     0
    .args:
      - .offset:         0
        .size:           128
        .value_kind:     by_value
    .group_segment_fixed_size: 0
    .kernarg_segment_align: 8
    .kernarg_segment_size: 128
    .language:       OpenCL C
    .language_version:
      - 2
      - 0
    .max_flat_workgroup_size: 512
    .name:           _ZN7rocprim17ROCPRIM_400000_NS6detail17trampoline_kernelINS0_14default_configENS1_25partition_config_selectorILNS1_17partition_subalgoE1EiNS0_10empty_typeEbEEZZNS1_14partition_implILS5_1ELb0ES3_jN6thrust23THRUST_200600_302600_NS6detail15normal_iteratorINSA_10device_ptrIiEEEEPS6_NSA_18transform_iteratorINSA_8identityIiEESF_NSA_11use_defaultESK_EENS0_5tupleIJSF_SF_EEENSM_IJSG_SG_EEES6_PlJS6_EEE10hipError_tPvRmT3_T4_T5_T6_T7_T9_mT8_P12ihipStream_tbDpT10_ENKUlT_T0_E_clISt17integral_constantIbLb0EES19_EEDaS14_S15_EUlS14_E_NS1_11comp_targetILNS1_3genE8ELNS1_11target_archE1030ELNS1_3gpuE2ELNS1_3repE0EEENS1_30default_config_static_selectorELNS0_4arch9wavefront6targetE1EEEvT1_
    .private_segment_fixed_size: 0
    .sgpr_count:     6
    .sgpr_spill_count: 0
    .symbol:         _ZN7rocprim17ROCPRIM_400000_NS6detail17trampoline_kernelINS0_14default_configENS1_25partition_config_selectorILNS1_17partition_subalgoE1EiNS0_10empty_typeEbEEZZNS1_14partition_implILS5_1ELb0ES3_jN6thrust23THRUST_200600_302600_NS6detail15normal_iteratorINSA_10device_ptrIiEEEEPS6_NSA_18transform_iteratorINSA_8identityIiEESF_NSA_11use_defaultESK_EENS0_5tupleIJSF_SF_EEENSM_IJSG_SG_EEES6_PlJS6_EEE10hipError_tPvRmT3_T4_T5_T6_T7_T9_mT8_P12ihipStream_tbDpT10_ENKUlT_T0_E_clISt17integral_constantIbLb0EES19_EEDaS14_S15_EUlS14_E_NS1_11comp_targetILNS1_3genE8ELNS1_11target_archE1030ELNS1_3gpuE2ELNS1_3repE0EEENS1_30default_config_static_selectorELNS0_4arch9wavefront6targetE1EEEvT1_.kd
    .uniform_work_group_size: 1
    .uses_dynamic_stack: false
    .vgpr_count:     0
    .vgpr_spill_count: 0
    .wavefront_size: 64
  - .agpr_count:     0
    .args:
      - .offset:         0
        .size:           144
        .value_kind:     by_value
    .group_segment_fixed_size: 0
    .kernarg_segment_align: 8
    .kernarg_segment_size: 144
    .language:       OpenCL C
    .language_version:
      - 2
      - 0
    .max_flat_workgroup_size: 256
    .name:           _ZN7rocprim17ROCPRIM_400000_NS6detail17trampoline_kernelINS0_14default_configENS1_25partition_config_selectorILNS1_17partition_subalgoE1EiNS0_10empty_typeEbEEZZNS1_14partition_implILS5_1ELb0ES3_jN6thrust23THRUST_200600_302600_NS6detail15normal_iteratorINSA_10device_ptrIiEEEEPS6_NSA_18transform_iteratorINSA_8identityIiEESF_NSA_11use_defaultESK_EENS0_5tupleIJSF_SF_EEENSM_IJSG_SG_EEES6_PlJS6_EEE10hipError_tPvRmT3_T4_T5_T6_T7_T9_mT8_P12ihipStream_tbDpT10_ENKUlT_T0_E_clISt17integral_constantIbLb1EES19_EEDaS14_S15_EUlS14_E_NS1_11comp_targetILNS1_3genE0ELNS1_11target_archE4294967295ELNS1_3gpuE0ELNS1_3repE0EEENS1_30default_config_static_selectorELNS0_4arch9wavefront6targetE1EEEvT1_
    .private_segment_fixed_size: 0
    .sgpr_count:     6
    .sgpr_spill_count: 0
    .symbol:         _ZN7rocprim17ROCPRIM_400000_NS6detail17trampoline_kernelINS0_14default_configENS1_25partition_config_selectorILNS1_17partition_subalgoE1EiNS0_10empty_typeEbEEZZNS1_14partition_implILS5_1ELb0ES3_jN6thrust23THRUST_200600_302600_NS6detail15normal_iteratorINSA_10device_ptrIiEEEEPS6_NSA_18transform_iteratorINSA_8identityIiEESF_NSA_11use_defaultESK_EENS0_5tupleIJSF_SF_EEENSM_IJSG_SG_EEES6_PlJS6_EEE10hipError_tPvRmT3_T4_T5_T6_T7_T9_mT8_P12ihipStream_tbDpT10_ENKUlT_T0_E_clISt17integral_constantIbLb1EES19_EEDaS14_S15_EUlS14_E_NS1_11comp_targetILNS1_3genE0ELNS1_11target_archE4294967295ELNS1_3gpuE0ELNS1_3repE0EEENS1_30default_config_static_selectorELNS0_4arch9wavefront6targetE1EEEvT1_.kd
    .uniform_work_group_size: 1
    .uses_dynamic_stack: false
    .vgpr_count:     0
    .vgpr_spill_count: 0
    .wavefront_size: 64
  - .agpr_count:     0
    .args:
      - .offset:         0
        .size:           144
        .value_kind:     by_value
    .group_segment_fixed_size: 30728
    .kernarg_segment_align: 8
    .kernarg_segment_size: 144
    .language:       OpenCL C
    .language_version:
      - 2
      - 0
    .max_flat_workgroup_size: 512
    .name:           _ZN7rocprim17ROCPRIM_400000_NS6detail17trampoline_kernelINS0_14default_configENS1_25partition_config_selectorILNS1_17partition_subalgoE1EiNS0_10empty_typeEbEEZZNS1_14partition_implILS5_1ELb0ES3_jN6thrust23THRUST_200600_302600_NS6detail15normal_iteratorINSA_10device_ptrIiEEEEPS6_NSA_18transform_iteratorINSA_8identityIiEESF_NSA_11use_defaultESK_EENS0_5tupleIJSF_SF_EEENSM_IJSG_SG_EEES6_PlJS6_EEE10hipError_tPvRmT3_T4_T5_T6_T7_T9_mT8_P12ihipStream_tbDpT10_ENKUlT_T0_E_clISt17integral_constantIbLb1EES19_EEDaS14_S15_EUlS14_E_NS1_11comp_targetILNS1_3genE5ELNS1_11target_archE942ELNS1_3gpuE9ELNS1_3repE0EEENS1_30default_config_static_selectorELNS0_4arch9wavefront6targetE1EEEvT1_
    .private_segment_fixed_size: 0
    .sgpr_count:     50
    .sgpr_spill_count: 0
    .symbol:         _ZN7rocprim17ROCPRIM_400000_NS6detail17trampoline_kernelINS0_14default_configENS1_25partition_config_selectorILNS1_17partition_subalgoE1EiNS0_10empty_typeEbEEZZNS1_14partition_implILS5_1ELb0ES3_jN6thrust23THRUST_200600_302600_NS6detail15normal_iteratorINSA_10device_ptrIiEEEEPS6_NSA_18transform_iteratorINSA_8identityIiEESF_NSA_11use_defaultESK_EENS0_5tupleIJSF_SF_EEENSM_IJSG_SG_EEES6_PlJS6_EEE10hipError_tPvRmT3_T4_T5_T6_T7_T9_mT8_P12ihipStream_tbDpT10_ENKUlT_T0_E_clISt17integral_constantIbLb1EES19_EEDaS14_S15_EUlS14_E_NS1_11comp_targetILNS1_3genE5ELNS1_11target_archE942ELNS1_3gpuE9ELNS1_3repE0EEENS1_30default_config_static_selectorELNS0_4arch9wavefront6targetE1EEEvT1_.kd
    .uniform_work_group_size: 1
    .uses_dynamic_stack: false
    .vgpr_count:     69
    .vgpr_spill_count: 0
    .wavefront_size: 64
  - .agpr_count:     0
    .args:
      - .offset:         0
        .size:           144
        .value_kind:     by_value
    .group_segment_fixed_size: 0
    .kernarg_segment_align: 8
    .kernarg_segment_size: 144
    .language:       OpenCL C
    .language_version:
      - 2
      - 0
    .max_flat_workgroup_size: 256
    .name:           _ZN7rocprim17ROCPRIM_400000_NS6detail17trampoline_kernelINS0_14default_configENS1_25partition_config_selectorILNS1_17partition_subalgoE1EiNS0_10empty_typeEbEEZZNS1_14partition_implILS5_1ELb0ES3_jN6thrust23THRUST_200600_302600_NS6detail15normal_iteratorINSA_10device_ptrIiEEEEPS6_NSA_18transform_iteratorINSA_8identityIiEESF_NSA_11use_defaultESK_EENS0_5tupleIJSF_SF_EEENSM_IJSG_SG_EEES6_PlJS6_EEE10hipError_tPvRmT3_T4_T5_T6_T7_T9_mT8_P12ihipStream_tbDpT10_ENKUlT_T0_E_clISt17integral_constantIbLb1EES19_EEDaS14_S15_EUlS14_E_NS1_11comp_targetILNS1_3genE4ELNS1_11target_archE910ELNS1_3gpuE8ELNS1_3repE0EEENS1_30default_config_static_selectorELNS0_4arch9wavefront6targetE1EEEvT1_
    .private_segment_fixed_size: 0
    .sgpr_count:     6
    .sgpr_spill_count: 0
    .symbol:         _ZN7rocprim17ROCPRIM_400000_NS6detail17trampoline_kernelINS0_14default_configENS1_25partition_config_selectorILNS1_17partition_subalgoE1EiNS0_10empty_typeEbEEZZNS1_14partition_implILS5_1ELb0ES3_jN6thrust23THRUST_200600_302600_NS6detail15normal_iteratorINSA_10device_ptrIiEEEEPS6_NSA_18transform_iteratorINSA_8identityIiEESF_NSA_11use_defaultESK_EENS0_5tupleIJSF_SF_EEENSM_IJSG_SG_EEES6_PlJS6_EEE10hipError_tPvRmT3_T4_T5_T6_T7_T9_mT8_P12ihipStream_tbDpT10_ENKUlT_T0_E_clISt17integral_constantIbLb1EES19_EEDaS14_S15_EUlS14_E_NS1_11comp_targetILNS1_3genE4ELNS1_11target_archE910ELNS1_3gpuE8ELNS1_3repE0EEENS1_30default_config_static_selectorELNS0_4arch9wavefront6targetE1EEEvT1_.kd
    .uniform_work_group_size: 1
    .uses_dynamic_stack: false
    .vgpr_count:     0
    .vgpr_spill_count: 0
    .wavefront_size: 64
  - .agpr_count:     0
    .args:
      - .offset:         0
        .size:           144
        .value_kind:     by_value
    .group_segment_fixed_size: 0
    .kernarg_segment_align: 8
    .kernarg_segment_size: 144
    .language:       OpenCL C
    .language_version:
      - 2
      - 0
    .max_flat_workgroup_size: 256
    .name:           _ZN7rocprim17ROCPRIM_400000_NS6detail17trampoline_kernelINS0_14default_configENS1_25partition_config_selectorILNS1_17partition_subalgoE1EiNS0_10empty_typeEbEEZZNS1_14partition_implILS5_1ELb0ES3_jN6thrust23THRUST_200600_302600_NS6detail15normal_iteratorINSA_10device_ptrIiEEEEPS6_NSA_18transform_iteratorINSA_8identityIiEESF_NSA_11use_defaultESK_EENS0_5tupleIJSF_SF_EEENSM_IJSG_SG_EEES6_PlJS6_EEE10hipError_tPvRmT3_T4_T5_T6_T7_T9_mT8_P12ihipStream_tbDpT10_ENKUlT_T0_E_clISt17integral_constantIbLb1EES19_EEDaS14_S15_EUlS14_E_NS1_11comp_targetILNS1_3genE3ELNS1_11target_archE908ELNS1_3gpuE7ELNS1_3repE0EEENS1_30default_config_static_selectorELNS0_4arch9wavefront6targetE1EEEvT1_
    .private_segment_fixed_size: 0
    .sgpr_count:     6
    .sgpr_spill_count: 0
    .symbol:         _ZN7rocprim17ROCPRIM_400000_NS6detail17trampoline_kernelINS0_14default_configENS1_25partition_config_selectorILNS1_17partition_subalgoE1EiNS0_10empty_typeEbEEZZNS1_14partition_implILS5_1ELb0ES3_jN6thrust23THRUST_200600_302600_NS6detail15normal_iteratorINSA_10device_ptrIiEEEEPS6_NSA_18transform_iteratorINSA_8identityIiEESF_NSA_11use_defaultESK_EENS0_5tupleIJSF_SF_EEENSM_IJSG_SG_EEES6_PlJS6_EEE10hipError_tPvRmT3_T4_T5_T6_T7_T9_mT8_P12ihipStream_tbDpT10_ENKUlT_T0_E_clISt17integral_constantIbLb1EES19_EEDaS14_S15_EUlS14_E_NS1_11comp_targetILNS1_3genE3ELNS1_11target_archE908ELNS1_3gpuE7ELNS1_3repE0EEENS1_30default_config_static_selectorELNS0_4arch9wavefront6targetE1EEEvT1_.kd
    .uniform_work_group_size: 1
    .uses_dynamic_stack: false
    .vgpr_count:     0
    .vgpr_spill_count: 0
    .wavefront_size: 64
  - .agpr_count:     0
    .args:
      - .offset:         0
        .size:           144
        .value_kind:     by_value
    .group_segment_fixed_size: 0
    .kernarg_segment_align: 8
    .kernarg_segment_size: 144
    .language:       OpenCL C
    .language_version:
      - 2
      - 0
    .max_flat_workgroup_size: 256
    .name:           _ZN7rocprim17ROCPRIM_400000_NS6detail17trampoline_kernelINS0_14default_configENS1_25partition_config_selectorILNS1_17partition_subalgoE1EiNS0_10empty_typeEbEEZZNS1_14partition_implILS5_1ELb0ES3_jN6thrust23THRUST_200600_302600_NS6detail15normal_iteratorINSA_10device_ptrIiEEEEPS6_NSA_18transform_iteratorINSA_8identityIiEESF_NSA_11use_defaultESK_EENS0_5tupleIJSF_SF_EEENSM_IJSG_SG_EEES6_PlJS6_EEE10hipError_tPvRmT3_T4_T5_T6_T7_T9_mT8_P12ihipStream_tbDpT10_ENKUlT_T0_E_clISt17integral_constantIbLb1EES19_EEDaS14_S15_EUlS14_E_NS1_11comp_targetILNS1_3genE2ELNS1_11target_archE906ELNS1_3gpuE6ELNS1_3repE0EEENS1_30default_config_static_selectorELNS0_4arch9wavefront6targetE1EEEvT1_
    .private_segment_fixed_size: 0
    .sgpr_count:     6
    .sgpr_spill_count: 0
    .symbol:         _ZN7rocprim17ROCPRIM_400000_NS6detail17trampoline_kernelINS0_14default_configENS1_25partition_config_selectorILNS1_17partition_subalgoE1EiNS0_10empty_typeEbEEZZNS1_14partition_implILS5_1ELb0ES3_jN6thrust23THRUST_200600_302600_NS6detail15normal_iteratorINSA_10device_ptrIiEEEEPS6_NSA_18transform_iteratorINSA_8identityIiEESF_NSA_11use_defaultESK_EENS0_5tupleIJSF_SF_EEENSM_IJSG_SG_EEES6_PlJS6_EEE10hipError_tPvRmT3_T4_T5_T6_T7_T9_mT8_P12ihipStream_tbDpT10_ENKUlT_T0_E_clISt17integral_constantIbLb1EES19_EEDaS14_S15_EUlS14_E_NS1_11comp_targetILNS1_3genE2ELNS1_11target_archE906ELNS1_3gpuE6ELNS1_3repE0EEENS1_30default_config_static_selectorELNS0_4arch9wavefront6targetE1EEEvT1_.kd
    .uniform_work_group_size: 1
    .uses_dynamic_stack: false
    .vgpr_count:     0
    .vgpr_spill_count: 0
    .wavefront_size: 64
  - .agpr_count:     0
    .args:
      - .offset:         0
        .size:           144
        .value_kind:     by_value
    .group_segment_fixed_size: 0
    .kernarg_segment_align: 8
    .kernarg_segment_size: 144
    .language:       OpenCL C
    .language_version:
      - 2
      - 0
    .max_flat_workgroup_size: 256
    .name:           _ZN7rocprim17ROCPRIM_400000_NS6detail17trampoline_kernelINS0_14default_configENS1_25partition_config_selectorILNS1_17partition_subalgoE1EiNS0_10empty_typeEbEEZZNS1_14partition_implILS5_1ELb0ES3_jN6thrust23THRUST_200600_302600_NS6detail15normal_iteratorINSA_10device_ptrIiEEEEPS6_NSA_18transform_iteratorINSA_8identityIiEESF_NSA_11use_defaultESK_EENS0_5tupleIJSF_SF_EEENSM_IJSG_SG_EEES6_PlJS6_EEE10hipError_tPvRmT3_T4_T5_T6_T7_T9_mT8_P12ihipStream_tbDpT10_ENKUlT_T0_E_clISt17integral_constantIbLb1EES19_EEDaS14_S15_EUlS14_E_NS1_11comp_targetILNS1_3genE10ELNS1_11target_archE1200ELNS1_3gpuE4ELNS1_3repE0EEENS1_30default_config_static_selectorELNS0_4arch9wavefront6targetE1EEEvT1_
    .private_segment_fixed_size: 0
    .sgpr_count:     6
    .sgpr_spill_count: 0
    .symbol:         _ZN7rocprim17ROCPRIM_400000_NS6detail17trampoline_kernelINS0_14default_configENS1_25partition_config_selectorILNS1_17partition_subalgoE1EiNS0_10empty_typeEbEEZZNS1_14partition_implILS5_1ELb0ES3_jN6thrust23THRUST_200600_302600_NS6detail15normal_iteratorINSA_10device_ptrIiEEEEPS6_NSA_18transform_iteratorINSA_8identityIiEESF_NSA_11use_defaultESK_EENS0_5tupleIJSF_SF_EEENSM_IJSG_SG_EEES6_PlJS6_EEE10hipError_tPvRmT3_T4_T5_T6_T7_T9_mT8_P12ihipStream_tbDpT10_ENKUlT_T0_E_clISt17integral_constantIbLb1EES19_EEDaS14_S15_EUlS14_E_NS1_11comp_targetILNS1_3genE10ELNS1_11target_archE1200ELNS1_3gpuE4ELNS1_3repE0EEENS1_30default_config_static_selectorELNS0_4arch9wavefront6targetE1EEEvT1_.kd
    .uniform_work_group_size: 1
    .uses_dynamic_stack: false
    .vgpr_count:     0
    .vgpr_spill_count: 0
    .wavefront_size: 64
  - .agpr_count:     0
    .args:
      - .offset:         0
        .size:           144
        .value_kind:     by_value
    .group_segment_fixed_size: 0
    .kernarg_segment_align: 8
    .kernarg_segment_size: 144
    .language:       OpenCL C
    .language_version:
      - 2
      - 0
    .max_flat_workgroup_size: 128
    .name:           _ZN7rocprim17ROCPRIM_400000_NS6detail17trampoline_kernelINS0_14default_configENS1_25partition_config_selectorILNS1_17partition_subalgoE1EiNS0_10empty_typeEbEEZZNS1_14partition_implILS5_1ELb0ES3_jN6thrust23THRUST_200600_302600_NS6detail15normal_iteratorINSA_10device_ptrIiEEEEPS6_NSA_18transform_iteratorINSA_8identityIiEESF_NSA_11use_defaultESK_EENS0_5tupleIJSF_SF_EEENSM_IJSG_SG_EEES6_PlJS6_EEE10hipError_tPvRmT3_T4_T5_T6_T7_T9_mT8_P12ihipStream_tbDpT10_ENKUlT_T0_E_clISt17integral_constantIbLb1EES19_EEDaS14_S15_EUlS14_E_NS1_11comp_targetILNS1_3genE9ELNS1_11target_archE1100ELNS1_3gpuE3ELNS1_3repE0EEENS1_30default_config_static_selectorELNS0_4arch9wavefront6targetE1EEEvT1_
    .private_segment_fixed_size: 0
    .sgpr_count:     6
    .sgpr_spill_count: 0
    .symbol:         _ZN7rocprim17ROCPRIM_400000_NS6detail17trampoline_kernelINS0_14default_configENS1_25partition_config_selectorILNS1_17partition_subalgoE1EiNS0_10empty_typeEbEEZZNS1_14partition_implILS5_1ELb0ES3_jN6thrust23THRUST_200600_302600_NS6detail15normal_iteratorINSA_10device_ptrIiEEEEPS6_NSA_18transform_iteratorINSA_8identityIiEESF_NSA_11use_defaultESK_EENS0_5tupleIJSF_SF_EEENSM_IJSG_SG_EEES6_PlJS6_EEE10hipError_tPvRmT3_T4_T5_T6_T7_T9_mT8_P12ihipStream_tbDpT10_ENKUlT_T0_E_clISt17integral_constantIbLb1EES19_EEDaS14_S15_EUlS14_E_NS1_11comp_targetILNS1_3genE9ELNS1_11target_archE1100ELNS1_3gpuE3ELNS1_3repE0EEENS1_30default_config_static_selectorELNS0_4arch9wavefront6targetE1EEEvT1_.kd
    .uniform_work_group_size: 1
    .uses_dynamic_stack: false
    .vgpr_count:     0
    .vgpr_spill_count: 0
    .wavefront_size: 64
  - .agpr_count:     0
    .args:
      - .offset:         0
        .size:           144
        .value_kind:     by_value
    .group_segment_fixed_size: 0
    .kernarg_segment_align: 8
    .kernarg_segment_size: 144
    .language:       OpenCL C
    .language_version:
      - 2
      - 0
    .max_flat_workgroup_size: 512
    .name:           _ZN7rocprim17ROCPRIM_400000_NS6detail17trampoline_kernelINS0_14default_configENS1_25partition_config_selectorILNS1_17partition_subalgoE1EiNS0_10empty_typeEbEEZZNS1_14partition_implILS5_1ELb0ES3_jN6thrust23THRUST_200600_302600_NS6detail15normal_iteratorINSA_10device_ptrIiEEEEPS6_NSA_18transform_iteratorINSA_8identityIiEESF_NSA_11use_defaultESK_EENS0_5tupleIJSF_SF_EEENSM_IJSG_SG_EEES6_PlJS6_EEE10hipError_tPvRmT3_T4_T5_T6_T7_T9_mT8_P12ihipStream_tbDpT10_ENKUlT_T0_E_clISt17integral_constantIbLb1EES19_EEDaS14_S15_EUlS14_E_NS1_11comp_targetILNS1_3genE8ELNS1_11target_archE1030ELNS1_3gpuE2ELNS1_3repE0EEENS1_30default_config_static_selectorELNS0_4arch9wavefront6targetE1EEEvT1_
    .private_segment_fixed_size: 0
    .sgpr_count:     6
    .sgpr_spill_count: 0
    .symbol:         _ZN7rocprim17ROCPRIM_400000_NS6detail17trampoline_kernelINS0_14default_configENS1_25partition_config_selectorILNS1_17partition_subalgoE1EiNS0_10empty_typeEbEEZZNS1_14partition_implILS5_1ELb0ES3_jN6thrust23THRUST_200600_302600_NS6detail15normal_iteratorINSA_10device_ptrIiEEEEPS6_NSA_18transform_iteratorINSA_8identityIiEESF_NSA_11use_defaultESK_EENS0_5tupleIJSF_SF_EEENSM_IJSG_SG_EEES6_PlJS6_EEE10hipError_tPvRmT3_T4_T5_T6_T7_T9_mT8_P12ihipStream_tbDpT10_ENKUlT_T0_E_clISt17integral_constantIbLb1EES19_EEDaS14_S15_EUlS14_E_NS1_11comp_targetILNS1_3genE8ELNS1_11target_archE1030ELNS1_3gpuE2ELNS1_3repE0EEENS1_30default_config_static_selectorELNS0_4arch9wavefront6targetE1EEEvT1_.kd
    .uniform_work_group_size: 1
    .uses_dynamic_stack: false
    .vgpr_count:     0
    .vgpr_spill_count: 0
    .wavefront_size: 64
  - .agpr_count:     0
    .args:
      - .offset:         0
        .size:           128
        .value_kind:     by_value
    .group_segment_fixed_size: 0
    .kernarg_segment_align: 8
    .kernarg_segment_size: 128
    .language:       OpenCL C
    .language_version:
      - 2
      - 0
    .max_flat_workgroup_size: 256
    .name:           _ZN7rocprim17ROCPRIM_400000_NS6detail17trampoline_kernelINS0_14default_configENS1_25partition_config_selectorILNS1_17partition_subalgoE1EiNS0_10empty_typeEbEEZZNS1_14partition_implILS5_1ELb0ES3_jN6thrust23THRUST_200600_302600_NS6detail15normal_iteratorINSA_10device_ptrIiEEEEPS6_NSA_18transform_iteratorINSA_8identityIiEESF_NSA_11use_defaultESK_EENS0_5tupleIJSF_SF_EEENSM_IJSG_SG_EEES6_PlJS6_EEE10hipError_tPvRmT3_T4_T5_T6_T7_T9_mT8_P12ihipStream_tbDpT10_ENKUlT_T0_E_clISt17integral_constantIbLb1EES18_IbLb0EEEEDaS14_S15_EUlS14_E_NS1_11comp_targetILNS1_3genE0ELNS1_11target_archE4294967295ELNS1_3gpuE0ELNS1_3repE0EEENS1_30default_config_static_selectorELNS0_4arch9wavefront6targetE1EEEvT1_
    .private_segment_fixed_size: 0
    .sgpr_count:     6
    .sgpr_spill_count: 0
    .symbol:         _ZN7rocprim17ROCPRIM_400000_NS6detail17trampoline_kernelINS0_14default_configENS1_25partition_config_selectorILNS1_17partition_subalgoE1EiNS0_10empty_typeEbEEZZNS1_14partition_implILS5_1ELb0ES3_jN6thrust23THRUST_200600_302600_NS6detail15normal_iteratorINSA_10device_ptrIiEEEEPS6_NSA_18transform_iteratorINSA_8identityIiEESF_NSA_11use_defaultESK_EENS0_5tupleIJSF_SF_EEENSM_IJSG_SG_EEES6_PlJS6_EEE10hipError_tPvRmT3_T4_T5_T6_T7_T9_mT8_P12ihipStream_tbDpT10_ENKUlT_T0_E_clISt17integral_constantIbLb1EES18_IbLb0EEEEDaS14_S15_EUlS14_E_NS1_11comp_targetILNS1_3genE0ELNS1_11target_archE4294967295ELNS1_3gpuE0ELNS1_3repE0EEENS1_30default_config_static_selectorELNS0_4arch9wavefront6targetE1EEEvT1_.kd
    .uniform_work_group_size: 1
    .uses_dynamic_stack: false
    .vgpr_count:     0
    .vgpr_spill_count: 0
    .wavefront_size: 64
  - .agpr_count:     0
    .args:
      - .offset:         0
        .size:           128
        .value_kind:     by_value
    .group_segment_fixed_size: 30728
    .kernarg_segment_align: 8
    .kernarg_segment_size: 128
    .language:       OpenCL C
    .language_version:
      - 2
      - 0
    .max_flat_workgroup_size: 512
    .name:           _ZN7rocprim17ROCPRIM_400000_NS6detail17trampoline_kernelINS0_14default_configENS1_25partition_config_selectorILNS1_17partition_subalgoE1EiNS0_10empty_typeEbEEZZNS1_14partition_implILS5_1ELb0ES3_jN6thrust23THRUST_200600_302600_NS6detail15normal_iteratorINSA_10device_ptrIiEEEEPS6_NSA_18transform_iteratorINSA_8identityIiEESF_NSA_11use_defaultESK_EENS0_5tupleIJSF_SF_EEENSM_IJSG_SG_EEES6_PlJS6_EEE10hipError_tPvRmT3_T4_T5_T6_T7_T9_mT8_P12ihipStream_tbDpT10_ENKUlT_T0_E_clISt17integral_constantIbLb1EES18_IbLb0EEEEDaS14_S15_EUlS14_E_NS1_11comp_targetILNS1_3genE5ELNS1_11target_archE942ELNS1_3gpuE9ELNS1_3repE0EEENS1_30default_config_static_selectorELNS0_4arch9wavefront6targetE1EEEvT1_
    .private_segment_fixed_size: 0
    .sgpr_count:     50
    .sgpr_spill_count: 0
    .symbol:         _ZN7rocprim17ROCPRIM_400000_NS6detail17trampoline_kernelINS0_14default_configENS1_25partition_config_selectorILNS1_17partition_subalgoE1EiNS0_10empty_typeEbEEZZNS1_14partition_implILS5_1ELb0ES3_jN6thrust23THRUST_200600_302600_NS6detail15normal_iteratorINSA_10device_ptrIiEEEEPS6_NSA_18transform_iteratorINSA_8identityIiEESF_NSA_11use_defaultESK_EENS0_5tupleIJSF_SF_EEENSM_IJSG_SG_EEES6_PlJS6_EEE10hipError_tPvRmT3_T4_T5_T6_T7_T9_mT8_P12ihipStream_tbDpT10_ENKUlT_T0_E_clISt17integral_constantIbLb1EES18_IbLb0EEEEDaS14_S15_EUlS14_E_NS1_11comp_targetILNS1_3genE5ELNS1_11target_archE942ELNS1_3gpuE9ELNS1_3repE0EEENS1_30default_config_static_selectorELNS0_4arch9wavefront6targetE1EEEvT1_.kd
    .uniform_work_group_size: 1
    .uses_dynamic_stack: false
    .vgpr_count:     65
    .vgpr_spill_count: 0
    .wavefront_size: 64
  - .agpr_count:     0
    .args:
      - .offset:         0
        .size:           128
        .value_kind:     by_value
    .group_segment_fixed_size: 0
    .kernarg_segment_align: 8
    .kernarg_segment_size: 128
    .language:       OpenCL C
    .language_version:
      - 2
      - 0
    .max_flat_workgroup_size: 256
    .name:           _ZN7rocprim17ROCPRIM_400000_NS6detail17trampoline_kernelINS0_14default_configENS1_25partition_config_selectorILNS1_17partition_subalgoE1EiNS0_10empty_typeEbEEZZNS1_14partition_implILS5_1ELb0ES3_jN6thrust23THRUST_200600_302600_NS6detail15normal_iteratorINSA_10device_ptrIiEEEEPS6_NSA_18transform_iteratorINSA_8identityIiEESF_NSA_11use_defaultESK_EENS0_5tupleIJSF_SF_EEENSM_IJSG_SG_EEES6_PlJS6_EEE10hipError_tPvRmT3_T4_T5_T6_T7_T9_mT8_P12ihipStream_tbDpT10_ENKUlT_T0_E_clISt17integral_constantIbLb1EES18_IbLb0EEEEDaS14_S15_EUlS14_E_NS1_11comp_targetILNS1_3genE4ELNS1_11target_archE910ELNS1_3gpuE8ELNS1_3repE0EEENS1_30default_config_static_selectorELNS0_4arch9wavefront6targetE1EEEvT1_
    .private_segment_fixed_size: 0
    .sgpr_count:     6
    .sgpr_spill_count: 0
    .symbol:         _ZN7rocprim17ROCPRIM_400000_NS6detail17trampoline_kernelINS0_14default_configENS1_25partition_config_selectorILNS1_17partition_subalgoE1EiNS0_10empty_typeEbEEZZNS1_14partition_implILS5_1ELb0ES3_jN6thrust23THRUST_200600_302600_NS6detail15normal_iteratorINSA_10device_ptrIiEEEEPS6_NSA_18transform_iteratorINSA_8identityIiEESF_NSA_11use_defaultESK_EENS0_5tupleIJSF_SF_EEENSM_IJSG_SG_EEES6_PlJS6_EEE10hipError_tPvRmT3_T4_T5_T6_T7_T9_mT8_P12ihipStream_tbDpT10_ENKUlT_T0_E_clISt17integral_constantIbLb1EES18_IbLb0EEEEDaS14_S15_EUlS14_E_NS1_11comp_targetILNS1_3genE4ELNS1_11target_archE910ELNS1_3gpuE8ELNS1_3repE0EEENS1_30default_config_static_selectorELNS0_4arch9wavefront6targetE1EEEvT1_.kd
    .uniform_work_group_size: 1
    .uses_dynamic_stack: false
    .vgpr_count:     0
    .vgpr_spill_count: 0
    .wavefront_size: 64
  - .agpr_count:     0
    .args:
      - .offset:         0
        .size:           128
        .value_kind:     by_value
    .group_segment_fixed_size: 0
    .kernarg_segment_align: 8
    .kernarg_segment_size: 128
    .language:       OpenCL C
    .language_version:
      - 2
      - 0
    .max_flat_workgroup_size: 256
    .name:           _ZN7rocprim17ROCPRIM_400000_NS6detail17trampoline_kernelINS0_14default_configENS1_25partition_config_selectorILNS1_17partition_subalgoE1EiNS0_10empty_typeEbEEZZNS1_14partition_implILS5_1ELb0ES3_jN6thrust23THRUST_200600_302600_NS6detail15normal_iteratorINSA_10device_ptrIiEEEEPS6_NSA_18transform_iteratorINSA_8identityIiEESF_NSA_11use_defaultESK_EENS0_5tupleIJSF_SF_EEENSM_IJSG_SG_EEES6_PlJS6_EEE10hipError_tPvRmT3_T4_T5_T6_T7_T9_mT8_P12ihipStream_tbDpT10_ENKUlT_T0_E_clISt17integral_constantIbLb1EES18_IbLb0EEEEDaS14_S15_EUlS14_E_NS1_11comp_targetILNS1_3genE3ELNS1_11target_archE908ELNS1_3gpuE7ELNS1_3repE0EEENS1_30default_config_static_selectorELNS0_4arch9wavefront6targetE1EEEvT1_
    .private_segment_fixed_size: 0
    .sgpr_count:     6
    .sgpr_spill_count: 0
    .symbol:         _ZN7rocprim17ROCPRIM_400000_NS6detail17trampoline_kernelINS0_14default_configENS1_25partition_config_selectorILNS1_17partition_subalgoE1EiNS0_10empty_typeEbEEZZNS1_14partition_implILS5_1ELb0ES3_jN6thrust23THRUST_200600_302600_NS6detail15normal_iteratorINSA_10device_ptrIiEEEEPS6_NSA_18transform_iteratorINSA_8identityIiEESF_NSA_11use_defaultESK_EENS0_5tupleIJSF_SF_EEENSM_IJSG_SG_EEES6_PlJS6_EEE10hipError_tPvRmT3_T4_T5_T6_T7_T9_mT8_P12ihipStream_tbDpT10_ENKUlT_T0_E_clISt17integral_constantIbLb1EES18_IbLb0EEEEDaS14_S15_EUlS14_E_NS1_11comp_targetILNS1_3genE3ELNS1_11target_archE908ELNS1_3gpuE7ELNS1_3repE0EEENS1_30default_config_static_selectorELNS0_4arch9wavefront6targetE1EEEvT1_.kd
    .uniform_work_group_size: 1
    .uses_dynamic_stack: false
    .vgpr_count:     0
    .vgpr_spill_count: 0
    .wavefront_size: 64
  - .agpr_count:     0
    .args:
      - .offset:         0
        .size:           128
        .value_kind:     by_value
    .group_segment_fixed_size: 0
    .kernarg_segment_align: 8
    .kernarg_segment_size: 128
    .language:       OpenCL C
    .language_version:
      - 2
      - 0
    .max_flat_workgroup_size: 256
    .name:           _ZN7rocprim17ROCPRIM_400000_NS6detail17trampoline_kernelINS0_14default_configENS1_25partition_config_selectorILNS1_17partition_subalgoE1EiNS0_10empty_typeEbEEZZNS1_14partition_implILS5_1ELb0ES3_jN6thrust23THRUST_200600_302600_NS6detail15normal_iteratorINSA_10device_ptrIiEEEEPS6_NSA_18transform_iteratorINSA_8identityIiEESF_NSA_11use_defaultESK_EENS0_5tupleIJSF_SF_EEENSM_IJSG_SG_EEES6_PlJS6_EEE10hipError_tPvRmT3_T4_T5_T6_T7_T9_mT8_P12ihipStream_tbDpT10_ENKUlT_T0_E_clISt17integral_constantIbLb1EES18_IbLb0EEEEDaS14_S15_EUlS14_E_NS1_11comp_targetILNS1_3genE2ELNS1_11target_archE906ELNS1_3gpuE6ELNS1_3repE0EEENS1_30default_config_static_selectorELNS0_4arch9wavefront6targetE1EEEvT1_
    .private_segment_fixed_size: 0
    .sgpr_count:     6
    .sgpr_spill_count: 0
    .symbol:         _ZN7rocprim17ROCPRIM_400000_NS6detail17trampoline_kernelINS0_14default_configENS1_25partition_config_selectorILNS1_17partition_subalgoE1EiNS0_10empty_typeEbEEZZNS1_14partition_implILS5_1ELb0ES3_jN6thrust23THRUST_200600_302600_NS6detail15normal_iteratorINSA_10device_ptrIiEEEEPS6_NSA_18transform_iteratorINSA_8identityIiEESF_NSA_11use_defaultESK_EENS0_5tupleIJSF_SF_EEENSM_IJSG_SG_EEES6_PlJS6_EEE10hipError_tPvRmT3_T4_T5_T6_T7_T9_mT8_P12ihipStream_tbDpT10_ENKUlT_T0_E_clISt17integral_constantIbLb1EES18_IbLb0EEEEDaS14_S15_EUlS14_E_NS1_11comp_targetILNS1_3genE2ELNS1_11target_archE906ELNS1_3gpuE6ELNS1_3repE0EEENS1_30default_config_static_selectorELNS0_4arch9wavefront6targetE1EEEvT1_.kd
    .uniform_work_group_size: 1
    .uses_dynamic_stack: false
    .vgpr_count:     0
    .vgpr_spill_count: 0
    .wavefront_size: 64
  - .agpr_count:     0
    .args:
      - .offset:         0
        .size:           128
        .value_kind:     by_value
    .group_segment_fixed_size: 0
    .kernarg_segment_align: 8
    .kernarg_segment_size: 128
    .language:       OpenCL C
    .language_version:
      - 2
      - 0
    .max_flat_workgroup_size: 256
    .name:           _ZN7rocprim17ROCPRIM_400000_NS6detail17trampoline_kernelINS0_14default_configENS1_25partition_config_selectorILNS1_17partition_subalgoE1EiNS0_10empty_typeEbEEZZNS1_14partition_implILS5_1ELb0ES3_jN6thrust23THRUST_200600_302600_NS6detail15normal_iteratorINSA_10device_ptrIiEEEEPS6_NSA_18transform_iteratorINSA_8identityIiEESF_NSA_11use_defaultESK_EENS0_5tupleIJSF_SF_EEENSM_IJSG_SG_EEES6_PlJS6_EEE10hipError_tPvRmT3_T4_T5_T6_T7_T9_mT8_P12ihipStream_tbDpT10_ENKUlT_T0_E_clISt17integral_constantIbLb1EES18_IbLb0EEEEDaS14_S15_EUlS14_E_NS1_11comp_targetILNS1_3genE10ELNS1_11target_archE1200ELNS1_3gpuE4ELNS1_3repE0EEENS1_30default_config_static_selectorELNS0_4arch9wavefront6targetE1EEEvT1_
    .private_segment_fixed_size: 0
    .sgpr_count:     6
    .sgpr_spill_count: 0
    .symbol:         _ZN7rocprim17ROCPRIM_400000_NS6detail17trampoline_kernelINS0_14default_configENS1_25partition_config_selectorILNS1_17partition_subalgoE1EiNS0_10empty_typeEbEEZZNS1_14partition_implILS5_1ELb0ES3_jN6thrust23THRUST_200600_302600_NS6detail15normal_iteratorINSA_10device_ptrIiEEEEPS6_NSA_18transform_iteratorINSA_8identityIiEESF_NSA_11use_defaultESK_EENS0_5tupleIJSF_SF_EEENSM_IJSG_SG_EEES6_PlJS6_EEE10hipError_tPvRmT3_T4_T5_T6_T7_T9_mT8_P12ihipStream_tbDpT10_ENKUlT_T0_E_clISt17integral_constantIbLb1EES18_IbLb0EEEEDaS14_S15_EUlS14_E_NS1_11comp_targetILNS1_3genE10ELNS1_11target_archE1200ELNS1_3gpuE4ELNS1_3repE0EEENS1_30default_config_static_selectorELNS0_4arch9wavefront6targetE1EEEvT1_.kd
    .uniform_work_group_size: 1
    .uses_dynamic_stack: false
    .vgpr_count:     0
    .vgpr_spill_count: 0
    .wavefront_size: 64
  - .agpr_count:     0
    .args:
      - .offset:         0
        .size:           128
        .value_kind:     by_value
    .group_segment_fixed_size: 0
    .kernarg_segment_align: 8
    .kernarg_segment_size: 128
    .language:       OpenCL C
    .language_version:
      - 2
      - 0
    .max_flat_workgroup_size: 128
    .name:           _ZN7rocprim17ROCPRIM_400000_NS6detail17trampoline_kernelINS0_14default_configENS1_25partition_config_selectorILNS1_17partition_subalgoE1EiNS0_10empty_typeEbEEZZNS1_14partition_implILS5_1ELb0ES3_jN6thrust23THRUST_200600_302600_NS6detail15normal_iteratorINSA_10device_ptrIiEEEEPS6_NSA_18transform_iteratorINSA_8identityIiEESF_NSA_11use_defaultESK_EENS0_5tupleIJSF_SF_EEENSM_IJSG_SG_EEES6_PlJS6_EEE10hipError_tPvRmT3_T4_T5_T6_T7_T9_mT8_P12ihipStream_tbDpT10_ENKUlT_T0_E_clISt17integral_constantIbLb1EES18_IbLb0EEEEDaS14_S15_EUlS14_E_NS1_11comp_targetILNS1_3genE9ELNS1_11target_archE1100ELNS1_3gpuE3ELNS1_3repE0EEENS1_30default_config_static_selectorELNS0_4arch9wavefront6targetE1EEEvT1_
    .private_segment_fixed_size: 0
    .sgpr_count:     6
    .sgpr_spill_count: 0
    .symbol:         _ZN7rocprim17ROCPRIM_400000_NS6detail17trampoline_kernelINS0_14default_configENS1_25partition_config_selectorILNS1_17partition_subalgoE1EiNS0_10empty_typeEbEEZZNS1_14partition_implILS5_1ELb0ES3_jN6thrust23THRUST_200600_302600_NS6detail15normal_iteratorINSA_10device_ptrIiEEEEPS6_NSA_18transform_iteratorINSA_8identityIiEESF_NSA_11use_defaultESK_EENS0_5tupleIJSF_SF_EEENSM_IJSG_SG_EEES6_PlJS6_EEE10hipError_tPvRmT3_T4_T5_T6_T7_T9_mT8_P12ihipStream_tbDpT10_ENKUlT_T0_E_clISt17integral_constantIbLb1EES18_IbLb0EEEEDaS14_S15_EUlS14_E_NS1_11comp_targetILNS1_3genE9ELNS1_11target_archE1100ELNS1_3gpuE3ELNS1_3repE0EEENS1_30default_config_static_selectorELNS0_4arch9wavefront6targetE1EEEvT1_.kd
    .uniform_work_group_size: 1
    .uses_dynamic_stack: false
    .vgpr_count:     0
    .vgpr_spill_count: 0
    .wavefront_size: 64
  - .agpr_count:     0
    .args:
      - .offset:         0
        .size:           128
        .value_kind:     by_value
    .group_segment_fixed_size: 0
    .kernarg_segment_align: 8
    .kernarg_segment_size: 128
    .language:       OpenCL C
    .language_version:
      - 2
      - 0
    .max_flat_workgroup_size: 512
    .name:           _ZN7rocprim17ROCPRIM_400000_NS6detail17trampoline_kernelINS0_14default_configENS1_25partition_config_selectorILNS1_17partition_subalgoE1EiNS0_10empty_typeEbEEZZNS1_14partition_implILS5_1ELb0ES3_jN6thrust23THRUST_200600_302600_NS6detail15normal_iteratorINSA_10device_ptrIiEEEEPS6_NSA_18transform_iteratorINSA_8identityIiEESF_NSA_11use_defaultESK_EENS0_5tupleIJSF_SF_EEENSM_IJSG_SG_EEES6_PlJS6_EEE10hipError_tPvRmT3_T4_T5_T6_T7_T9_mT8_P12ihipStream_tbDpT10_ENKUlT_T0_E_clISt17integral_constantIbLb1EES18_IbLb0EEEEDaS14_S15_EUlS14_E_NS1_11comp_targetILNS1_3genE8ELNS1_11target_archE1030ELNS1_3gpuE2ELNS1_3repE0EEENS1_30default_config_static_selectorELNS0_4arch9wavefront6targetE1EEEvT1_
    .private_segment_fixed_size: 0
    .sgpr_count:     6
    .sgpr_spill_count: 0
    .symbol:         _ZN7rocprim17ROCPRIM_400000_NS6detail17trampoline_kernelINS0_14default_configENS1_25partition_config_selectorILNS1_17partition_subalgoE1EiNS0_10empty_typeEbEEZZNS1_14partition_implILS5_1ELb0ES3_jN6thrust23THRUST_200600_302600_NS6detail15normal_iteratorINSA_10device_ptrIiEEEEPS6_NSA_18transform_iteratorINSA_8identityIiEESF_NSA_11use_defaultESK_EENS0_5tupleIJSF_SF_EEENSM_IJSG_SG_EEES6_PlJS6_EEE10hipError_tPvRmT3_T4_T5_T6_T7_T9_mT8_P12ihipStream_tbDpT10_ENKUlT_T0_E_clISt17integral_constantIbLb1EES18_IbLb0EEEEDaS14_S15_EUlS14_E_NS1_11comp_targetILNS1_3genE8ELNS1_11target_archE1030ELNS1_3gpuE2ELNS1_3repE0EEENS1_30default_config_static_selectorELNS0_4arch9wavefront6targetE1EEEvT1_.kd
    .uniform_work_group_size: 1
    .uses_dynamic_stack: false
    .vgpr_count:     0
    .vgpr_spill_count: 0
    .wavefront_size: 64
  - .agpr_count:     0
    .args:
      - .offset:         0
        .size:           144
        .value_kind:     by_value
    .group_segment_fixed_size: 0
    .kernarg_segment_align: 8
    .kernarg_segment_size: 144
    .language:       OpenCL C
    .language_version:
      - 2
      - 0
    .max_flat_workgroup_size: 256
    .name:           _ZN7rocprim17ROCPRIM_400000_NS6detail17trampoline_kernelINS0_14default_configENS1_25partition_config_selectorILNS1_17partition_subalgoE1EiNS0_10empty_typeEbEEZZNS1_14partition_implILS5_1ELb0ES3_jN6thrust23THRUST_200600_302600_NS6detail15normal_iteratorINSA_10device_ptrIiEEEEPS6_NSA_18transform_iteratorINSA_8identityIiEESF_NSA_11use_defaultESK_EENS0_5tupleIJSF_SF_EEENSM_IJSG_SG_EEES6_PlJS6_EEE10hipError_tPvRmT3_T4_T5_T6_T7_T9_mT8_P12ihipStream_tbDpT10_ENKUlT_T0_E_clISt17integral_constantIbLb0EES18_IbLb1EEEEDaS14_S15_EUlS14_E_NS1_11comp_targetILNS1_3genE0ELNS1_11target_archE4294967295ELNS1_3gpuE0ELNS1_3repE0EEENS1_30default_config_static_selectorELNS0_4arch9wavefront6targetE1EEEvT1_
    .private_segment_fixed_size: 0
    .sgpr_count:     6
    .sgpr_spill_count: 0
    .symbol:         _ZN7rocprim17ROCPRIM_400000_NS6detail17trampoline_kernelINS0_14default_configENS1_25partition_config_selectorILNS1_17partition_subalgoE1EiNS0_10empty_typeEbEEZZNS1_14partition_implILS5_1ELb0ES3_jN6thrust23THRUST_200600_302600_NS6detail15normal_iteratorINSA_10device_ptrIiEEEEPS6_NSA_18transform_iteratorINSA_8identityIiEESF_NSA_11use_defaultESK_EENS0_5tupleIJSF_SF_EEENSM_IJSG_SG_EEES6_PlJS6_EEE10hipError_tPvRmT3_T4_T5_T6_T7_T9_mT8_P12ihipStream_tbDpT10_ENKUlT_T0_E_clISt17integral_constantIbLb0EES18_IbLb1EEEEDaS14_S15_EUlS14_E_NS1_11comp_targetILNS1_3genE0ELNS1_11target_archE4294967295ELNS1_3gpuE0ELNS1_3repE0EEENS1_30default_config_static_selectorELNS0_4arch9wavefront6targetE1EEEvT1_.kd
    .uniform_work_group_size: 1
    .uses_dynamic_stack: false
    .vgpr_count:     0
    .vgpr_spill_count: 0
    .wavefront_size: 64
  - .agpr_count:     0
    .args:
      - .offset:         0
        .size:           144
        .value_kind:     by_value
    .group_segment_fixed_size: 30728
    .kernarg_segment_align: 8
    .kernarg_segment_size: 144
    .language:       OpenCL C
    .language_version:
      - 2
      - 0
    .max_flat_workgroup_size: 512
    .name:           _ZN7rocprim17ROCPRIM_400000_NS6detail17trampoline_kernelINS0_14default_configENS1_25partition_config_selectorILNS1_17partition_subalgoE1EiNS0_10empty_typeEbEEZZNS1_14partition_implILS5_1ELb0ES3_jN6thrust23THRUST_200600_302600_NS6detail15normal_iteratorINSA_10device_ptrIiEEEEPS6_NSA_18transform_iteratorINSA_8identityIiEESF_NSA_11use_defaultESK_EENS0_5tupleIJSF_SF_EEENSM_IJSG_SG_EEES6_PlJS6_EEE10hipError_tPvRmT3_T4_T5_T6_T7_T9_mT8_P12ihipStream_tbDpT10_ENKUlT_T0_E_clISt17integral_constantIbLb0EES18_IbLb1EEEEDaS14_S15_EUlS14_E_NS1_11comp_targetILNS1_3genE5ELNS1_11target_archE942ELNS1_3gpuE9ELNS1_3repE0EEENS1_30default_config_static_selectorELNS0_4arch9wavefront6targetE1EEEvT1_
    .private_segment_fixed_size: 0
    .sgpr_count:     50
    .sgpr_spill_count: 0
    .symbol:         _ZN7rocprim17ROCPRIM_400000_NS6detail17trampoline_kernelINS0_14default_configENS1_25partition_config_selectorILNS1_17partition_subalgoE1EiNS0_10empty_typeEbEEZZNS1_14partition_implILS5_1ELb0ES3_jN6thrust23THRUST_200600_302600_NS6detail15normal_iteratorINSA_10device_ptrIiEEEEPS6_NSA_18transform_iteratorINSA_8identityIiEESF_NSA_11use_defaultESK_EENS0_5tupleIJSF_SF_EEENSM_IJSG_SG_EEES6_PlJS6_EEE10hipError_tPvRmT3_T4_T5_T6_T7_T9_mT8_P12ihipStream_tbDpT10_ENKUlT_T0_E_clISt17integral_constantIbLb0EES18_IbLb1EEEEDaS14_S15_EUlS14_E_NS1_11comp_targetILNS1_3genE5ELNS1_11target_archE942ELNS1_3gpuE9ELNS1_3repE0EEENS1_30default_config_static_selectorELNS0_4arch9wavefront6targetE1EEEvT1_.kd
    .uniform_work_group_size: 1
    .uses_dynamic_stack: false
    .vgpr_count:     69
    .vgpr_spill_count: 0
    .wavefront_size: 64
  - .agpr_count:     0
    .args:
      - .offset:         0
        .size:           144
        .value_kind:     by_value
    .group_segment_fixed_size: 0
    .kernarg_segment_align: 8
    .kernarg_segment_size: 144
    .language:       OpenCL C
    .language_version:
      - 2
      - 0
    .max_flat_workgroup_size: 256
    .name:           _ZN7rocprim17ROCPRIM_400000_NS6detail17trampoline_kernelINS0_14default_configENS1_25partition_config_selectorILNS1_17partition_subalgoE1EiNS0_10empty_typeEbEEZZNS1_14partition_implILS5_1ELb0ES3_jN6thrust23THRUST_200600_302600_NS6detail15normal_iteratorINSA_10device_ptrIiEEEEPS6_NSA_18transform_iteratorINSA_8identityIiEESF_NSA_11use_defaultESK_EENS0_5tupleIJSF_SF_EEENSM_IJSG_SG_EEES6_PlJS6_EEE10hipError_tPvRmT3_T4_T5_T6_T7_T9_mT8_P12ihipStream_tbDpT10_ENKUlT_T0_E_clISt17integral_constantIbLb0EES18_IbLb1EEEEDaS14_S15_EUlS14_E_NS1_11comp_targetILNS1_3genE4ELNS1_11target_archE910ELNS1_3gpuE8ELNS1_3repE0EEENS1_30default_config_static_selectorELNS0_4arch9wavefront6targetE1EEEvT1_
    .private_segment_fixed_size: 0
    .sgpr_count:     6
    .sgpr_spill_count: 0
    .symbol:         _ZN7rocprim17ROCPRIM_400000_NS6detail17trampoline_kernelINS0_14default_configENS1_25partition_config_selectorILNS1_17partition_subalgoE1EiNS0_10empty_typeEbEEZZNS1_14partition_implILS5_1ELb0ES3_jN6thrust23THRUST_200600_302600_NS6detail15normal_iteratorINSA_10device_ptrIiEEEEPS6_NSA_18transform_iteratorINSA_8identityIiEESF_NSA_11use_defaultESK_EENS0_5tupleIJSF_SF_EEENSM_IJSG_SG_EEES6_PlJS6_EEE10hipError_tPvRmT3_T4_T5_T6_T7_T9_mT8_P12ihipStream_tbDpT10_ENKUlT_T0_E_clISt17integral_constantIbLb0EES18_IbLb1EEEEDaS14_S15_EUlS14_E_NS1_11comp_targetILNS1_3genE4ELNS1_11target_archE910ELNS1_3gpuE8ELNS1_3repE0EEENS1_30default_config_static_selectorELNS0_4arch9wavefront6targetE1EEEvT1_.kd
    .uniform_work_group_size: 1
    .uses_dynamic_stack: false
    .vgpr_count:     0
    .vgpr_spill_count: 0
    .wavefront_size: 64
  - .agpr_count:     0
    .args:
      - .offset:         0
        .size:           144
        .value_kind:     by_value
    .group_segment_fixed_size: 0
    .kernarg_segment_align: 8
    .kernarg_segment_size: 144
    .language:       OpenCL C
    .language_version:
      - 2
      - 0
    .max_flat_workgroup_size: 256
    .name:           _ZN7rocprim17ROCPRIM_400000_NS6detail17trampoline_kernelINS0_14default_configENS1_25partition_config_selectorILNS1_17partition_subalgoE1EiNS0_10empty_typeEbEEZZNS1_14partition_implILS5_1ELb0ES3_jN6thrust23THRUST_200600_302600_NS6detail15normal_iteratorINSA_10device_ptrIiEEEEPS6_NSA_18transform_iteratorINSA_8identityIiEESF_NSA_11use_defaultESK_EENS0_5tupleIJSF_SF_EEENSM_IJSG_SG_EEES6_PlJS6_EEE10hipError_tPvRmT3_T4_T5_T6_T7_T9_mT8_P12ihipStream_tbDpT10_ENKUlT_T0_E_clISt17integral_constantIbLb0EES18_IbLb1EEEEDaS14_S15_EUlS14_E_NS1_11comp_targetILNS1_3genE3ELNS1_11target_archE908ELNS1_3gpuE7ELNS1_3repE0EEENS1_30default_config_static_selectorELNS0_4arch9wavefront6targetE1EEEvT1_
    .private_segment_fixed_size: 0
    .sgpr_count:     6
    .sgpr_spill_count: 0
    .symbol:         _ZN7rocprim17ROCPRIM_400000_NS6detail17trampoline_kernelINS0_14default_configENS1_25partition_config_selectorILNS1_17partition_subalgoE1EiNS0_10empty_typeEbEEZZNS1_14partition_implILS5_1ELb0ES3_jN6thrust23THRUST_200600_302600_NS6detail15normal_iteratorINSA_10device_ptrIiEEEEPS6_NSA_18transform_iteratorINSA_8identityIiEESF_NSA_11use_defaultESK_EENS0_5tupleIJSF_SF_EEENSM_IJSG_SG_EEES6_PlJS6_EEE10hipError_tPvRmT3_T4_T5_T6_T7_T9_mT8_P12ihipStream_tbDpT10_ENKUlT_T0_E_clISt17integral_constantIbLb0EES18_IbLb1EEEEDaS14_S15_EUlS14_E_NS1_11comp_targetILNS1_3genE3ELNS1_11target_archE908ELNS1_3gpuE7ELNS1_3repE0EEENS1_30default_config_static_selectorELNS0_4arch9wavefront6targetE1EEEvT1_.kd
    .uniform_work_group_size: 1
    .uses_dynamic_stack: false
    .vgpr_count:     0
    .vgpr_spill_count: 0
    .wavefront_size: 64
  - .agpr_count:     0
    .args:
      - .offset:         0
        .size:           144
        .value_kind:     by_value
    .group_segment_fixed_size: 0
    .kernarg_segment_align: 8
    .kernarg_segment_size: 144
    .language:       OpenCL C
    .language_version:
      - 2
      - 0
    .max_flat_workgroup_size: 256
    .name:           _ZN7rocprim17ROCPRIM_400000_NS6detail17trampoline_kernelINS0_14default_configENS1_25partition_config_selectorILNS1_17partition_subalgoE1EiNS0_10empty_typeEbEEZZNS1_14partition_implILS5_1ELb0ES3_jN6thrust23THRUST_200600_302600_NS6detail15normal_iteratorINSA_10device_ptrIiEEEEPS6_NSA_18transform_iteratorINSA_8identityIiEESF_NSA_11use_defaultESK_EENS0_5tupleIJSF_SF_EEENSM_IJSG_SG_EEES6_PlJS6_EEE10hipError_tPvRmT3_T4_T5_T6_T7_T9_mT8_P12ihipStream_tbDpT10_ENKUlT_T0_E_clISt17integral_constantIbLb0EES18_IbLb1EEEEDaS14_S15_EUlS14_E_NS1_11comp_targetILNS1_3genE2ELNS1_11target_archE906ELNS1_3gpuE6ELNS1_3repE0EEENS1_30default_config_static_selectorELNS0_4arch9wavefront6targetE1EEEvT1_
    .private_segment_fixed_size: 0
    .sgpr_count:     6
    .sgpr_spill_count: 0
    .symbol:         _ZN7rocprim17ROCPRIM_400000_NS6detail17trampoline_kernelINS0_14default_configENS1_25partition_config_selectorILNS1_17partition_subalgoE1EiNS0_10empty_typeEbEEZZNS1_14partition_implILS5_1ELb0ES3_jN6thrust23THRUST_200600_302600_NS6detail15normal_iteratorINSA_10device_ptrIiEEEEPS6_NSA_18transform_iteratorINSA_8identityIiEESF_NSA_11use_defaultESK_EENS0_5tupleIJSF_SF_EEENSM_IJSG_SG_EEES6_PlJS6_EEE10hipError_tPvRmT3_T4_T5_T6_T7_T9_mT8_P12ihipStream_tbDpT10_ENKUlT_T0_E_clISt17integral_constantIbLb0EES18_IbLb1EEEEDaS14_S15_EUlS14_E_NS1_11comp_targetILNS1_3genE2ELNS1_11target_archE906ELNS1_3gpuE6ELNS1_3repE0EEENS1_30default_config_static_selectorELNS0_4arch9wavefront6targetE1EEEvT1_.kd
    .uniform_work_group_size: 1
    .uses_dynamic_stack: false
    .vgpr_count:     0
    .vgpr_spill_count: 0
    .wavefront_size: 64
  - .agpr_count:     0
    .args:
      - .offset:         0
        .size:           144
        .value_kind:     by_value
    .group_segment_fixed_size: 0
    .kernarg_segment_align: 8
    .kernarg_segment_size: 144
    .language:       OpenCL C
    .language_version:
      - 2
      - 0
    .max_flat_workgroup_size: 256
    .name:           _ZN7rocprim17ROCPRIM_400000_NS6detail17trampoline_kernelINS0_14default_configENS1_25partition_config_selectorILNS1_17partition_subalgoE1EiNS0_10empty_typeEbEEZZNS1_14partition_implILS5_1ELb0ES3_jN6thrust23THRUST_200600_302600_NS6detail15normal_iteratorINSA_10device_ptrIiEEEEPS6_NSA_18transform_iteratorINSA_8identityIiEESF_NSA_11use_defaultESK_EENS0_5tupleIJSF_SF_EEENSM_IJSG_SG_EEES6_PlJS6_EEE10hipError_tPvRmT3_T4_T5_T6_T7_T9_mT8_P12ihipStream_tbDpT10_ENKUlT_T0_E_clISt17integral_constantIbLb0EES18_IbLb1EEEEDaS14_S15_EUlS14_E_NS1_11comp_targetILNS1_3genE10ELNS1_11target_archE1200ELNS1_3gpuE4ELNS1_3repE0EEENS1_30default_config_static_selectorELNS0_4arch9wavefront6targetE1EEEvT1_
    .private_segment_fixed_size: 0
    .sgpr_count:     6
    .sgpr_spill_count: 0
    .symbol:         _ZN7rocprim17ROCPRIM_400000_NS6detail17trampoline_kernelINS0_14default_configENS1_25partition_config_selectorILNS1_17partition_subalgoE1EiNS0_10empty_typeEbEEZZNS1_14partition_implILS5_1ELb0ES3_jN6thrust23THRUST_200600_302600_NS6detail15normal_iteratorINSA_10device_ptrIiEEEEPS6_NSA_18transform_iteratorINSA_8identityIiEESF_NSA_11use_defaultESK_EENS0_5tupleIJSF_SF_EEENSM_IJSG_SG_EEES6_PlJS6_EEE10hipError_tPvRmT3_T4_T5_T6_T7_T9_mT8_P12ihipStream_tbDpT10_ENKUlT_T0_E_clISt17integral_constantIbLb0EES18_IbLb1EEEEDaS14_S15_EUlS14_E_NS1_11comp_targetILNS1_3genE10ELNS1_11target_archE1200ELNS1_3gpuE4ELNS1_3repE0EEENS1_30default_config_static_selectorELNS0_4arch9wavefront6targetE1EEEvT1_.kd
    .uniform_work_group_size: 1
    .uses_dynamic_stack: false
    .vgpr_count:     0
    .vgpr_spill_count: 0
    .wavefront_size: 64
  - .agpr_count:     0
    .args:
      - .offset:         0
        .size:           144
        .value_kind:     by_value
    .group_segment_fixed_size: 0
    .kernarg_segment_align: 8
    .kernarg_segment_size: 144
    .language:       OpenCL C
    .language_version:
      - 2
      - 0
    .max_flat_workgroup_size: 128
    .name:           _ZN7rocprim17ROCPRIM_400000_NS6detail17trampoline_kernelINS0_14default_configENS1_25partition_config_selectorILNS1_17partition_subalgoE1EiNS0_10empty_typeEbEEZZNS1_14partition_implILS5_1ELb0ES3_jN6thrust23THRUST_200600_302600_NS6detail15normal_iteratorINSA_10device_ptrIiEEEEPS6_NSA_18transform_iteratorINSA_8identityIiEESF_NSA_11use_defaultESK_EENS0_5tupleIJSF_SF_EEENSM_IJSG_SG_EEES6_PlJS6_EEE10hipError_tPvRmT3_T4_T5_T6_T7_T9_mT8_P12ihipStream_tbDpT10_ENKUlT_T0_E_clISt17integral_constantIbLb0EES18_IbLb1EEEEDaS14_S15_EUlS14_E_NS1_11comp_targetILNS1_3genE9ELNS1_11target_archE1100ELNS1_3gpuE3ELNS1_3repE0EEENS1_30default_config_static_selectorELNS0_4arch9wavefront6targetE1EEEvT1_
    .private_segment_fixed_size: 0
    .sgpr_count:     6
    .sgpr_spill_count: 0
    .symbol:         _ZN7rocprim17ROCPRIM_400000_NS6detail17trampoline_kernelINS0_14default_configENS1_25partition_config_selectorILNS1_17partition_subalgoE1EiNS0_10empty_typeEbEEZZNS1_14partition_implILS5_1ELb0ES3_jN6thrust23THRUST_200600_302600_NS6detail15normal_iteratorINSA_10device_ptrIiEEEEPS6_NSA_18transform_iteratorINSA_8identityIiEESF_NSA_11use_defaultESK_EENS0_5tupleIJSF_SF_EEENSM_IJSG_SG_EEES6_PlJS6_EEE10hipError_tPvRmT3_T4_T5_T6_T7_T9_mT8_P12ihipStream_tbDpT10_ENKUlT_T0_E_clISt17integral_constantIbLb0EES18_IbLb1EEEEDaS14_S15_EUlS14_E_NS1_11comp_targetILNS1_3genE9ELNS1_11target_archE1100ELNS1_3gpuE3ELNS1_3repE0EEENS1_30default_config_static_selectorELNS0_4arch9wavefront6targetE1EEEvT1_.kd
    .uniform_work_group_size: 1
    .uses_dynamic_stack: false
    .vgpr_count:     0
    .vgpr_spill_count: 0
    .wavefront_size: 64
  - .agpr_count:     0
    .args:
      - .offset:         0
        .size:           144
        .value_kind:     by_value
    .group_segment_fixed_size: 0
    .kernarg_segment_align: 8
    .kernarg_segment_size: 144
    .language:       OpenCL C
    .language_version:
      - 2
      - 0
    .max_flat_workgroup_size: 512
    .name:           _ZN7rocprim17ROCPRIM_400000_NS6detail17trampoline_kernelINS0_14default_configENS1_25partition_config_selectorILNS1_17partition_subalgoE1EiNS0_10empty_typeEbEEZZNS1_14partition_implILS5_1ELb0ES3_jN6thrust23THRUST_200600_302600_NS6detail15normal_iteratorINSA_10device_ptrIiEEEEPS6_NSA_18transform_iteratorINSA_8identityIiEESF_NSA_11use_defaultESK_EENS0_5tupleIJSF_SF_EEENSM_IJSG_SG_EEES6_PlJS6_EEE10hipError_tPvRmT3_T4_T5_T6_T7_T9_mT8_P12ihipStream_tbDpT10_ENKUlT_T0_E_clISt17integral_constantIbLb0EES18_IbLb1EEEEDaS14_S15_EUlS14_E_NS1_11comp_targetILNS1_3genE8ELNS1_11target_archE1030ELNS1_3gpuE2ELNS1_3repE0EEENS1_30default_config_static_selectorELNS0_4arch9wavefront6targetE1EEEvT1_
    .private_segment_fixed_size: 0
    .sgpr_count:     6
    .sgpr_spill_count: 0
    .symbol:         _ZN7rocprim17ROCPRIM_400000_NS6detail17trampoline_kernelINS0_14default_configENS1_25partition_config_selectorILNS1_17partition_subalgoE1EiNS0_10empty_typeEbEEZZNS1_14partition_implILS5_1ELb0ES3_jN6thrust23THRUST_200600_302600_NS6detail15normal_iteratorINSA_10device_ptrIiEEEEPS6_NSA_18transform_iteratorINSA_8identityIiEESF_NSA_11use_defaultESK_EENS0_5tupleIJSF_SF_EEENSM_IJSG_SG_EEES6_PlJS6_EEE10hipError_tPvRmT3_T4_T5_T6_T7_T9_mT8_P12ihipStream_tbDpT10_ENKUlT_T0_E_clISt17integral_constantIbLb0EES18_IbLb1EEEEDaS14_S15_EUlS14_E_NS1_11comp_targetILNS1_3genE8ELNS1_11target_archE1030ELNS1_3gpuE2ELNS1_3repE0EEENS1_30default_config_static_selectorELNS0_4arch9wavefront6targetE1EEEvT1_.kd
    .uniform_work_group_size: 1
    .uses_dynamic_stack: false
    .vgpr_count:     0
    .vgpr_spill_count: 0
    .wavefront_size: 64
  - .agpr_count:     0
    .args:
      - .offset:         0
        .size:           128
        .value_kind:     by_value
    .group_segment_fixed_size: 0
    .kernarg_segment_align: 8
    .kernarg_segment_size: 128
    .language:       OpenCL C
    .language_version:
      - 2
      - 0
    .max_flat_workgroup_size: 256
    .name:           _ZN7rocprim17ROCPRIM_400000_NS6detail17trampoline_kernelINS0_14default_configENS1_25partition_config_selectorILNS1_17partition_subalgoE1EsNS0_10empty_typeEbEEZZNS1_14partition_implILS5_1ELb0ES3_jN6thrust23THRUST_200600_302600_NS6detail15normal_iteratorINSA_10device_ptrIsEEEEPS6_NSA_18transform_iteratorINSA_8identityIsEESF_NSA_11use_defaultESK_EENS0_5tupleIJSF_SF_EEENSM_IJSG_SG_EEES6_PlJS6_EEE10hipError_tPvRmT3_T4_T5_T6_T7_T9_mT8_P12ihipStream_tbDpT10_ENKUlT_T0_E_clISt17integral_constantIbLb0EES19_EEDaS14_S15_EUlS14_E_NS1_11comp_targetILNS1_3genE0ELNS1_11target_archE4294967295ELNS1_3gpuE0ELNS1_3repE0EEENS1_30default_config_static_selectorELNS0_4arch9wavefront6targetE1EEEvT1_
    .private_segment_fixed_size: 0
    .sgpr_count:     6
    .sgpr_spill_count: 0
    .symbol:         _ZN7rocprim17ROCPRIM_400000_NS6detail17trampoline_kernelINS0_14default_configENS1_25partition_config_selectorILNS1_17partition_subalgoE1EsNS0_10empty_typeEbEEZZNS1_14partition_implILS5_1ELb0ES3_jN6thrust23THRUST_200600_302600_NS6detail15normal_iteratorINSA_10device_ptrIsEEEEPS6_NSA_18transform_iteratorINSA_8identityIsEESF_NSA_11use_defaultESK_EENS0_5tupleIJSF_SF_EEENSM_IJSG_SG_EEES6_PlJS6_EEE10hipError_tPvRmT3_T4_T5_T6_T7_T9_mT8_P12ihipStream_tbDpT10_ENKUlT_T0_E_clISt17integral_constantIbLb0EES19_EEDaS14_S15_EUlS14_E_NS1_11comp_targetILNS1_3genE0ELNS1_11target_archE4294967295ELNS1_3gpuE0ELNS1_3repE0EEENS1_30default_config_static_selectorELNS0_4arch9wavefront6targetE1EEEvT1_.kd
    .uniform_work_group_size: 1
    .uses_dynamic_stack: false
    .vgpr_count:     0
    .vgpr_spill_count: 0
    .wavefront_size: 64
  - .agpr_count:     0
    .args:
      - .offset:         0
        .size:           128
        .value_kind:     by_value
    .group_segment_fixed_size: 28680
    .kernarg_segment_align: 8
    .kernarg_segment_size: 128
    .language:       OpenCL C
    .language_version:
      - 2
      - 0
    .max_flat_workgroup_size: 512
    .name:           _ZN7rocprim17ROCPRIM_400000_NS6detail17trampoline_kernelINS0_14default_configENS1_25partition_config_selectorILNS1_17partition_subalgoE1EsNS0_10empty_typeEbEEZZNS1_14partition_implILS5_1ELb0ES3_jN6thrust23THRUST_200600_302600_NS6detail15normal_iteratorINSA_10device_ptrIsEEEEPS6_NSA_18transform_iteratorINSA_8identityIsEESF_NSA_11use_defaultESK_EENS0_5tupleIJSF_SF_EEENSM_IJSG_SG_EEES6_PlJS6_EEE10hipError_tPvRmT3_T4_T5_T6_T7_T9_mT8_P12ihipStream_tbDpT10_ENKUlT_T0_E_clISt17integral_constantIbLb0EES19_EEDaS14_S15_EUlS14_E_NS1_11comp_targetILNS1_3genE5ELNS1_11target_archE942ELNS1_3gpuE9ELNS1_3repE0EEENS1_30default_config_static_selectorELNS0_4arch9wavefront6targetE1EEEvT1_
    .private_segment_fixed_size: 0
    .sgpr_count:     50
    .sgpr_spill_count: 0
    .symbol:         _ZN7rocprim17ROCPRIM_400000_NS6detail17trampoline_kernelINS0_14default_configENS1_25partition_config_selectorILNS1_17partition_subalgoE1EsNS0_10empty_typeEbEEZZNS1_14partition_implILS5_1ELb0ES3_jN6thrust23THRUST_200600_302600_NS6detail15normal_iteratorINSA_10device_ptrIsEEEEPS6_NSA_18transform_iteratorINSA_8identityIsEESF_NSA_11use_defaultESK_EENS0_5tupleIJSF_SF_EEENSM_IJSG_SG_EEES6_PlJS6_EEE10hipError_tPvRmT3_T4_T5_T6_T7_T9_mT8_P12ihipStream_tbDpT10_ENKUlT_T0_E_clISt17integral_constantIbLb0EES19_EEDaS14_S15_EUlS14_E_NS1_11comp_targetILNS1_3genE5ELNS1_11target_archE942ELNS1_3gpuE9ELNS1_3repE0EEENS1_30default_config_static_selectorELNS0_4arch9wavefront6targetE1EEEvT1_.kd
    .uniform_work_group_size: 1
    .uses_dynamic_stack: false
    .vgpr_count:     79
    .vgpr_spill_count: 0
    .wavefront_size: 64
  - .agpr_count:     0
    .args:
      - .offset:         0
        .size:           128
        .value_kind:     by_value
    .group_segment_fixed_size: 0
    .kernarg_segment_align: 8
    .kernarg_segment_size: 128
    .language:       OpenCL C
    .language_version:
      - 2
      - 0
    .max_flat_workgroup_size: 256
    .name:           _ZN7rocprim17ROCPRIM_400000_NS6detail17trampoline_kernelINS0_14default_configENS1_25partition_config_selectorILNS1_17partition_subalgoE1EsNS0_10empty_typeEbEEZZNS1_14partition_implILS5_1ELb0ES3_jN6thrust23THRUST_200600_302600_NS6detail15normal_iteratorINSA_10device_ptrIsEEEEPS6_NSA_18transform_iteratorINSA_8identityIsEESF_NSA_11use_defaultESK_EENS0_5tupleIJSF_SF_EEENSM_IJSG_SG_EEES6_PlJS6_EEE10hipError_tPvRmT3_T4_T5_T6_T7_T9_mT8_P12ihipStream_tbDpT10_ENKUlT_T0_E_clISt17integral_constantIbLb0EES19_EEDaS14_S15_EUlS14_E_NS1_11comp_targetILNS1_3genE4ELNS1_11target_archE910ELNS1_3gpuE8ELNS1_3repE0EEENS1_30default_config_static_selectorELNS0_4arch9wavefront6targetE1EEEvT1_
    .private_segment_fixed_size: 0
    .sgpr_count:     6
    .sgpr_spill_count: 0
    .symbol:         _ZN7rocprim17ROCPRIM_400000_NS6detail17trampoline_kernelINS0_14default_configENS1_25partition_config_selectorILNS1_17partition_subalgoE1EsNS0_10empty_typeEbEEZZNS1_14partition_implILS5_1ELb0ES3_jN6thrust23THRUST_200600_302600_NS6detail15normal_iteratorINSA_10device_ptrIsEEEEPS6_NSA_18transform_iteratorINSA_8identityIsEESF_NSA_11use_defaultESK_EENS0_5tupleIJSF_SF_EEENSM_IJSG_SG_EEES6_PlJS6_EEE10hipError_tPvRmT3_T4_T5_T6_T7_T9_mT8_P12ihipStream_tbDpT10_ENKUlT_T0_E_clISt17integral_constantIbLb0EES19_EEDaS14_S15_EUlS14_E_NS1_11comp_targetILNS1_3genE4ELNS1_11target_archE910ELNS1_3gpuE8ELNS1_3repE0EEENS1_30default_config_static_selectorELNS0_4arch9wavefront6targetE1EEEvT1_.kd
    .uniform_work_group_size: 1
    .uses_dynamic_stack: false
    .vgpr_count:     0
    .vgpr_spill_count: 0
    .wavefront_size: 64
  - .agpr_count:     0
    .args:
      - .offset:         0
        .size:           128
        .value_kind:     by_value
    .group_segment_fixed_size: 0
    .kernarg_segment_align: 8
    .kernarg_segment_size: 128
    .language:       OpenCL C
    .language_version:
      - 2
      - 0
    .max_flat_workgroup_size: 256
    .name:           _ZN7rocprim17ROCPRIM_400000_NS6detail17trampoline_kernelINS0_14default_configENS1_25partition_config_selectorILNS1_17partition_subalgoE1EsNS0_10empty_typeEbEEZZNS1_14partition_implILS5_1ELb0ES3_jN6thrust23THRUST_200600_302600_NS6detail15normal_iteratorINSA_10device_ptrIsEEEEPS6_NSA_18transform_iteratorINSA_8identityIsEESF_NSA_11use_defaultESK_EENS0_5tupleIJSF_SF_EEENSM_IJSG_SG_EEES6_PlJS6_EEE10hipError_tPvRmT3_T4_T5_T6_T7_T9_mT8_P12ihipStream_tbDpT10_ENKUlT_T0_E_clISt17integral_constantIbLb0EES19_EEDaS14_S15_EUlS14_E_NS1_11comp_targetILNS1_3genE3ELNS1_11target_archE908ELNS1_3gpuE7ELNS1_3repE0EEENS1_30default_config_static_selectorELNS0_4arch9wavefront6targetE1EEEvT1_
    .private_segment_fixed_size: 0
    .sgpr_count:     6
    .sgpr_spill_count: 0
    .symbol:         _ZN7rocprim17ROCPRIM_400000_NS6detail17trampoline_kernelINS0_14default_configENS1_25partition_config_selectorILNS1_17partition_subalgoE1EsNS0_10empty_typeEbEEZZNS1_14partition_implILS5_1ELb0ES3_jN6thrust23THRUST_200600_302600_NS6detail15normal_iteratorINSA_10device_ptrIsEEEEPS6_NSA_18transform_iteratorINSA_8identityIsEESF_NSA_11use_defaultESK_EENS0_5tupleIJSF_SF_EEENSM_IJSG_SG_EEES6_PlJS6_EEE10hipError_tPvRmT3_T4_T5_T6_T7_T9_mT8_P12ihipStream_tbDpT10_ENKUlT_T0_E_clISt17integral_constantIbLb0EES19_EEDaS14_S15_EUlS14_E_NS1_11comp_targetILNS1_3genE3ELNS1_11target_archE908ELNS1_3gpuE7ELNS1_3repE0EEENS1_30default_config_static_selectorELNS0_4arch9wavefront6targetE1EEEvT1_.kd
    .uniform_work_group_size: 1
    .uses_dynamic_stack: false
    .vgpr_count:     0
    .vgpr_spill_count: 0
    .wavefront_size: 64
  - .agpr_count:     0
    .args:
      - .offset:         0
        .size:           128
        .value_kind:     by_value
    .group_segment_fixed_size: 0
    .kernarg_segment_align: 8
    .kernarg_segment_size: 128
    .language:       OpenCL C
    .language_version:
      - 2
      - 0
    .max_flat_workgroup_size: 256
    .name:           _ZN7rocprim17ROCPRIM_400000_NS6detail17trampoline_kernelINS0_14default_configENS1_25partition_config_selectorILNS1_17partition_subalgoE1EsNS0_10empty_typeEbEEZZNS1_14partition_implILS5_1ELb0ES3_jN6thrust23THRUST_200600_302600_NS6detail15normal_iteratorINSA_10device_ptrIsEEEEPS6_NSA_18transform_iteratorINSA_8identityIsEESF_NSA_11use_defaultESK_EENS0_5tupleIJSF_SF_EEENSM_IJSG_SG_EEES6_PlJS6_EEE10hipError_tPvRmT3_T4_T5_T6_T7_T9_mT8_P12ihipStream_tbDpT10_ENKUlT_T0_E_clISt17integral_constantIbLb0EES19_EEDaS14_S15_EUlS14_E_NS1_11comp_targetILNS1_3genE2ELNS1_11target_archE906ELNS1_3gpuE6ELNS1_3repE0EEENS1_30default_config_static_selectorELNS0_4arch9wavefront6targetE1EEEvT1_
    .private_segment_fixed_size: 0
    .sgpr_count:     6
    .sgpr_spill_count: 0
    .symbol:         _ZN7rocprim17ROCPRIM_400000_NS6detail17trampoline_kernelINS0_14default_configENS1_25partition_config_selectorILNS1_17partition_subalgoE1EsNS0_10empty_typeEbEEZZNS1_14partition_implILS5_1ELb0ES3_jN6thrust23THRUST_200600_302600_NS6detail15normal_iteratorINSA_10device_ptrIsEEEEPS6_NSA_18transform_iteratorINSA_8identityIsEESF_NSA_11use_defaultESK_EENS0_5tupleIJSF_SF_EEENSM_IJSG_SG_EEES6_PlJS6_EEE10hipError_tPvRmT3_T4_T5_T6_T7_T9_mT8_P12ihipStream_tbDpT10_ENKUlT_T0_E_clISt17integral_constantIbLb0EES19_EEDaS14_S15_EUlS14_E_NS1_11comp_targetILNS1_3genE2ELNS1_11target_archE906ELNS1_3gpuE6ELNS1_3repE0EEENS1_30default_config_static_selectorELNS0_4arch9wavefront6targetE1EEEvT1_.kd
    .uniform_work_group_size: 1
    .uses_dynamic_stack: false
    .vgpr_count:     0
    .vgpr_spill_count: 0
    .wavefront_size: 64
  - .agpr_count:     0
    .args:
      - .offset:         0
        .size:           128
        .value_kind:     by_value
    .group_segment_fixed_size: 0
    .kernarg_segment_align: 8
    .kernarg_segment_size: 128
    .language:       OpenCL C
    .language_version:
      - 2
      - 0
    .max_flat_workgroup_size: 384
    .name:           _ZN7rocprim17ROCPRIM_400000_NS6detail17trampoline_kernelINS0_14default_configENS1_25partition_config_selectorILNS1_17partition_subalgoE1EsNS0_10empty_typeEbEEZZNS1_14partition_implILS5_1ELb0ES3_jN6thrust23THRUST_200600_302600_NS6detail15normal_iteratorINSA_10device_ptrIsEEEEPS6_NSA_18transform_iteratorINSA_8identityIsEESF_NSA_11use_defaultESK_EENS0_5tupleIJSF_SF_EEENSM_IJSG_SG_EEES6_PlJS6_EEE10hipError_tPvRmT3_T4_T5_T6_T7_T9_mT8_P12ihipStream_tbDpT10_ENKUlT_T0_E_clISt17integral_constantIbLb0EES19_EEDaS14_S15_EUlS14_E_NS1_11comp_targetILNS1_3genE10ELNS1_11target_archE1200ELNS1_3gpuE4ELNS1_3repE0EEENS1_30default_config_static_selectorELNS0_4arch9wavefront6targetE1EEEvT1_
    .private_segment_fixed_size: 0
    .sgpr_count:     6
    .sgpr_spill_count: 0
    .symbol:         _ZN7rocprim17ROCPRIM_400000_NS6detail17trampoline_kernelINS0_14default_configENS1_25partition_config_selectorILNS1_17partition_subalgoE1EsNS0_10empty_typeEbEEZZNS1_14partition_implILS5_1ELb0ES3_jN6thrust23THRUST_200600_302600_NS6detail15normal_iteratorINSA_10device_ptrIsEEEEPS6_NSA_18transform_iteratorINSA_8identityIsEESF_NSA_11use_defaultESK_EENS0_5tupleIJSF_SF_EEENSM_IJSG_SG_EEES6_PlJS6_EEE10hipError_tPvRmT3_T4_T5_T6_T7_T9_mT8_P12ihipStream_tbDpT10_ENKUlT_T0_E_clISt17integral_constantIbLb0EES19_EEDaS14_S15_EUlS14_E_NS1_11comp_targetILNS1_3genE10ELNS1_11target_archE1200ELNS1_3gpuE4ELNS1_3repE0EEENS1_30default_config_static_selectorELNS0_4arch9wavefront6targetE1EEEvT1_.kd
    .uniform_work_group_size: 1
    .uses_dynamic_stack: false
    .vgpr_count:     0
    .vgpr_spill_count: 0
    .wavefront_size: 64
  - .agpr_count:     0
    .args:
      - .offset:         0
        .size:           128
        .value_kind:     by_value
    .group_segment_fixed_size: 0
    .kernarg_segment_align: 8
    .kernarg_segment_size: 128
    .language:       OpenCL C
    .language_version:
      - 2
      - 0
    .max_flat_workgroup_size: 128
    .name:           _ZN7rocprim17ROCPRIM_400000_NS6detail17trampoline_kernelINS0_14default_configENS1_25partition_config_selectorILNS1_17partition_subalgoE1EsNS0_10empty_typeEbEEZZNS1_14partition_implILS5_1ELb0ES3_jN6thrust23THRUST_200600_302600_NS6detail15normal_iteratorINSA_10device_ptrIsEEEEPS6_NSA_18transform_iteratorINSA_8identityIsEESF_NSA_11use_defaultESK_EENS0_5tupleIJSF_SF_EEENSM_IJSG_SG_EEES6_PlJS6_EEE10hipError_tPvRmT3_T4_T5_T6_T7_T9_mT8_P12ihipStream_tbDpT10_ENKUlT_T0_E_clISt17integral_constantIbLb0EES19_EEDaS14_S15_EUlS14_E_NS1_11comp_targetILNS1_3genE9ELNS1_11target_archE1100ELNS1_3gpuE3ELNS1_3repE0EEENS1_30default_config_static_selectorELNS0_4arch9wavefront6targetE1EEEvT1_
    .private_segment_fixed_size: 0
    .sgpr_count:     6
    .sgpr_spill_count: 0
    .symbol:         _ZN7rocprim17ROCPRIM_400000_NS6detail17trampoline_kernelINS0_14default_configENS1_25partition_config_selectorILNS1_17partition_subalgoE1EsNS0_10empty_typeEbEEZZNS1_14partition_implILS5_1ELb0ES3_jN6thrust23THRUST_200600_302600_NS6detail15normal_iteratorINSA_10device_ptrIsEEEEPS6_NSA_18transform_iteratorINSA_8identityIsEESF_NSA_11use_defaultESK_EENS0_5tupleIJSF_SF_EEENSM_IJSG_SG_EEES6_PlJS6_EEE10hipError_tPvRmT3_T4_T5_T6_T7_T9_mT8_P12ihipStream_tbDpT10_ENKUlT_T0_E_clISt17integral_constantIbLb0EES19_EEDaS14_S15_EUlS14_E_NS1_11comp_targetILNS1_3genE9ELNS1_11target_archE1100ELNS1_3gpuE3ELNS1_3repE0EEENS1_30default_config_static_selectorELNS0_4arch9wavefront6targetE1EEEvT1_.kd
    .uniform_work_group_size: 1
    .uses_dynamic_stack: false
    .vgpr_count:     0
    .vgpr_spill_count: 0
    .wavefront_size: 64
  - .agpr_count:     0
    .args:
      - .offset:         0
        .size:           128
        .value_kind:     by_value
    .group_segment_fixed_size: 0
    .kernarg_segment_align: 8
    .kernarg_segment_size: 128
    .language:       OpenCL C
    .language_version:
      - 2
      - 0
    .max_flat_workgroup_size: 512
    .name:           _ZN7rocprim17ROCPRIM_400000_NS6detail17trampoline_kernelINS0_14default_configENS1_25partition_config_selectorILNS1_17partition_subalgoE1EsNS0_10empty_typeEbEEZZNS1_14partition_implILS5_1ELb0ES3_jN6thrust23THRUST_200600_302600_NS6detail15normal_iteratorINSA_10device_ptrIsEEEEPS6_NSA_18transform_iteratorINSA_8identityIsEESF_NSA_11use_defaultESK_EENS0_5tupleIJSF_SF_EEENSM_IJSG_SG_EEES6_PlJS6_EEE10hipError_tPvRmT3_T4_T5_T6_T7_T9_mT8_P12ihipStream_tbDpT10_ENKUlT_T0_E_clISt17integral_constantIbLb0EES19_EEDaS14_S15_EUlS14_E_NS1_11comp_targetILNS1_3genE8ELNS1_11target_archE1030ELNS1_3gpuE2ELNS1_3repE0EEENS1_30default_config_static_selectorELNS0_4arch9wavefront6targetE1EEEvT1_
    .private_segment_fixed_size: 0
    .sgpr_count:     6
    .sgpr_spill_count: 0
    .symbol:         _ZN7rocprim17ROCPRIM_400000_NS6detail17trampoline_kernelINS0_14default_configENS1_25partition_config_selectorILNS1_17partition_subalgoE1EsNS0_10empty_typeEbEEZZNS1_14partition_implILS5_1ELb0ES3_jN6thrust23THRUST_200600_302600_NS6detail15normal_iteratorINSA_10device_ptrIsEEEEPS6_NSA_18transform_iteratorINSA_8identityIsEESF_NSA_11use_defaultESK_EENS0_5tupleIJSF_SF_EEENSM_IJSG_SG_EEES6_PlJS6_EEE10hipError_tPvRmT3_T4_T5_T6_T7_T9_mT8_P12ihipStream_tbDpT10_ENKUlT_T0_E_clISt17integral_constantIbLb0EES19_EEDaS14_S15_EUlS14_E_NS1_11comp_targetILNS1_3genE8ELNS1_11target_archE1030ELNS1_3gpuE2ELNS1_3repE0EEENS1_30default_config_static_selectorELNS0_4arch9wavefront6targetE1EEEvT1_.kd
    .uniform_work_group_size: 1
    .uses_dynamic_stack: false
    .vgpr_count:     0
    .vgpr_spill_count: 0
    .wavefront_size: 64
  - .agpr_count:     0
    .args:
      - .offset:         0
        .size:           144
        .value_kind:     by_value
    .group_segment_fixed_size: 0
    .kernarg_segment_align: 8
    .kernarg_segment_size: 144
    .language:       OpenCL C
    .language_version:
      - 2
      - 0
    .max_flat_workgroup_size: 256
    .name:           _ZN7rocprim17ROCPRIM_400000_NS6detail17trampoline_kernelINS0_14default_configENS1_25partition_config_selectorILNS1_17partition_subalgoE1EsNS0_10empty_typeEbEEZZNS1_14partition_implILS5_1ELb0ES3_jN6thrust23THRUST_200600_302600_NS6detail15normal_iteratorINSA_10device_ptrIsEEEEPS6_NSA_18transform_iteratorINSA_8identityIsEESF_NSA_11use_defaultESK_EENS0_5tupleIJSF_SF_EEENSM_IJSG_SG_EEES6_PlJS6_EEE10hipError_tPvRmT3_T4_T5_T6_T7_T9_mT8_P12ihipStream_tbDpT10_ENKUlT_T0_E_clISt17integral_constantIbLb1EES19_EEDaS14_S15_EUlS14_E_NS1_11comp_targetILNS1_3genE0ELNS1_11target_archE4294967295ELNS1_3gpuE0ELNS1_3repE0EEENS1_30default_config_static_selectorELNS0_4arch9wavefront6targetE1EEEvT1_
    .private_segment_fixed_size: 0
    .sgpr_count:     6
    .sgpr_spill_count: 0
    .symbol:         _ZN7rocprim17ROCPRIM_400000_NS6detail17trampoline_kernelINS0_14default_configENS1_25partition_config_selectorILNS1_17partition_subalgoE1EsNS0_10empty_typeEbEEZZNS1_14partition_implILS5_1ELb0ES3_jN6thrust23THRUST_200600_302600_NS6detail15normal_iteratorINSA_10device_ptrIsEEEEPS6_NSA_18transform_iteratorINSA_8identityIsEESF_NSA_11use_defaultESK_EENS0_5tupleIJSF_SF_EEENSM_IJSG_SG_EEES6_PlJS6_EEE10hipError_tPvRmT3_T4_T5_T6_T7_T9_mT8_P12ihipStream_tbDpT10_ENKUlT_T0_E_clISt17integral_constantIbLb1EES19_EEDaS14_S15_EUlS14_E_NS1_11comp_targetILNS1_3genE0ELNS1_11target_archE4294967295ELNS1_3gpuE0ELNS1_3repE0EEENS1_30default_config_static_selectorELNS0_4arch9wavefront6targetE1EEEvT1_.kd
    .uniform_work_group_size: 1
    .uses_dynamic_stack: false
    .vgpr_count:     0
    .vgpr_spill_count: 0
    .wavefront_size: 64
  - .agpr_count:     0
    .args:
      - .offset:         0
        .size:           144
        .value_kind:     by_value
    .group_segment_fixed_size: 28680
    .kernarg_segment_align: 8
    .kernarg_segment_size: 144
    .language:       OpenCL C
    .language_version:
      - 2
      - 0
    .max_flat_workgroup_size: 512
    .name:           _ZN7rocprim17ROCPRIM_400000_NS6detail17trampoline_kernelINS0_14default_configENS1_25partition_config_selectorILNS1_17partition_subalgoE1EsNS0_10empty_typeEbEEZZNS1_14partition_implILS5_1ELb0ES3_jN6thrust23THRUST_200600_302600_NS6detail15normal_iteratorINSA_10device_ptrIsEEEEPS6_NSA_18transform_iteratorINSA_8identityIsEESF_NSA_11use_defaultESK_EENS0_5tupleIJSF_SF_EEENSM_IJSG_SG_EEES6_PlJS6_EEE10hipError_tPvRmT3_T4_T5_T6_T7_T9_mT8_P12ihipStream_tbDpT10_ENKUlT_T0_E_clISt17integral_constantIbLb1EES19_EEDaS14_S15_EUlS14_E_NS1_11comp_targetILNS1_3genE5ELNS1_11target_archE942ELNS1_3gpuE9ELNS1_3repE0EEENS1_30default_config_static_selectorELNS0_4arch9wavefront6targetE1EEEvT1_
    .private_segment_fixed_size: 0
    .sgpr_count:     50
    .sgpr_spill_count: 0
    .symbol:         _ZN7rocprim17ROCPRIM_400000_NS6detail17trampoline_kernelINS0_14default_configENS1_25partition_config_selectorILNS1_17partition_subalgoE1EsNS0_10empty_typeEbEEZZNS1_14partition_implILS5_1ELb0ES3_jN6thrust23THRUST_200600_302600_NS6detail15normal_iteratorINSA_10device_ptrIsEEEEPS6_NSA_18transform_iteratorINSA_8identityIsEESF_NSA_11use_defaultESK_EENS0_5tupleIJSF_SF_EEENSM_IJSG_SG_EEES6_PlJS6_EEE10hipError_tPvRmT3_T4_T5_T6_T7_T9_mT8_P12ihipStream_tbDpT10_ENKUlT_T0_E_clISt17integral_constantIbLb1EES19_EEDaS14_S15_EUlS14_E_NS1_11comp_targetILNS1_3genE5ELNS1_11target_archE942ELNS1_3gpuE9ELNS1_3repE0EEENS1_30default_config_static_selectorELNS0_4arch9wavefront6targetE1EEEvT1_.kd
    .uniform_work_group_size: 1
    .uses_dynamic_stack: false
    .vgpr_count:     83
    .vgpr_spill_count: 0
    .wavefront_size: 64
  - .agpr_count:     0
    .args:
      - .offset:         0
        .size:           144
        .value_kind:     by_value
    .group_segment_fixed_size: 0
    .kernarg_segment_align: 8
    .kernarg_segment_size: 144
    .language:       OpenCL C
    .language_version:
      - 2
      - 0
    .max_flat_workgroup_size: 256
    .name:           _ZN7rocprim17ROCPRIM_400000_NS6detail17trampoline_kernelINS0_14default_configENS1_25partition_config_selectorILNS1_17partition_subalgoE1EsNS0_10empty_typeEbEEZZNS1_14partition_implILS5_1ELb0ES3_jN6thrust23THRUST_200600_302600_NS6detail15normal_iteratorINSA_10device_ptrIsEEEEPS6_NSA_18transform_iteratorINSA_8identityIsEESF_NSA_11use_defaultESK_EENS0_5tupleIJSF_SF_EEENSM_IJSG_SG_EEES6_PlJS6_EEE10hipError_tPvRmT3_T4_T5_T6_T7_T9_mT8_P12ihipStream_tbDpT10_ENKUlT_T0_E_clISt17integral_constantIbLb1EES19_EEDaS14_S15_EUlS14_E_NS1_11comp_targetILNS1_3genE4ELNS1_11target_archE910ELNS1_3gpuE8ELNS1_3repE0EEENS1_30default_config_static_selectorELNS0_4arch9wavefront6targetE1EEEvT1_
    .private_segment_fixed_size: 0
    .sgpr_count:     6
    .sgpr_spill_count: 0
    .symbol:         _ZN7rocprim17ROCPRIM_400000_NS6detail17trampoline_kernelINS0_14default_configENS1_25partition_config_selectorILNS1_17partition_subalgoE1EsNS0_10empty_typeEbEEZZNS1_14partition_implILS5_1ELb0ES3_jN6thrust23THRUST_200600_302600_NS6detail15normal_iteratorINSA_10device_ptrIsEEEEPS6_NSA_18transform_iteratorINSA_8identityIsEESF_NSA_11use_defaultESK_EENS0_5tupleIJSF_SF_EEENSM_IJSG_SG_EEES6_PlJS6_EEE10hipError_tPvRmT3_T4_T5_T6_T7_T9_mT8_P12ihipStream_tbDpT10_ENKUlT_T0_E_clISt17integral_constantIbLb1EES19_EEDaS14_S15_EUlS14_E_NS1_11comp_targetILNS1_3genE4ELNS1_11target_archE910ELNS1_3gpuE8ELNS1_3repE0EEENS1_30default_config_static_selectorELNS0_4arch9wavefront6targetE1EEEvT1_.kd
    .uniform_work_group_size: 1
    .uses_dynamic_stack: false
    .vgpr_count:     0
    .vgpr_spill_count: 0
    .wavefront_size: 64
  - .agpr_count:     0
    .args:
      - .offset:         0
        .size:           144
        .value_kind:     by_value
    .group_segment_fixed_size: 0
    .kernarg_segment_align: 8
    .kernarg_segment_size: 144
    .language:       OpenCL C
    .language_version:
      - 2
      - 0
    .max_flat_workgroup_size: 256
    .name:           _ZN7rocprim17ROCPRIM_400000_NS6detail17trampoline_kernelINS0_14default_configENS1_25partition_config_selectorILNS1_17partition_subalgoE1EsNS0_10empty_typeEbEEZZNS1_14partition_implILS5_1ELb0ES3_jN6thrust23THRUST_200600_302600_NS6detail15normal_iteratorINSA_10device_ptrIsEEEEPS6_NSA_18transform_iteratorINSA_8identityIsEESF_NSA_11use_defaultESK_EENS0_5tupleIJSF_SF_EEENSM_IJSG_SG_EEES6_PlJS6_EEE10hipError_tPvRmT3_T4_T5_T6_T7_T9_mT8_P12ihipStream_tbDpT10_ENKUlT_T0_E_clISt17integral_constantIbLb1EES19_EEDaS14_S15_EUlS14_E_NS1_11comp_targetILNS1_3genE3ELNS1_11target_archE908ELNS1_3gpuE7ELNS1_3repE0EEENS1_30default_config_static_selectorELNS0_4arch9wavefront6targetE1EEEvT1_
    .private_segment_fixed_size: 0
    .sgpr_count:     6
    .sgpr_spill_count: 0
    .symbol:         _ZN7rocprim17ROCPRIM_400000_NS6detail17trampoline_kernelINS0_14default_configENS1_25partition_config_selectorILNS1_17partition_subalgoE1EsNS0_10empty_typeEbEEZZNS1_14partition_implILS5_1ELb0ES3_jN6thrust23THRUST_200600_302600_NS6detail15normal_iteratorINSA_10device_ptrIsEEEEPS6_NSA_18transform_iteratorINSA_8identityIsEESF_NSA_11use_defaultESK_EENS0_5tupleIJSF_SF_EEENSM_IJSG_SG_EEES6_PlJS6_EEE10hipError_tPvRmT3_T4_T5_T6_T7_T9_mT8_P12ihipStream_tbDpT10_ENKUlT_T0_E_clISt17integral_constantIbLb1EES19_EEDaS14_S15_EUlS14_E_NS1_11comp_targetILNS1_3genE3ELNS1_11target_archE908ELNS1_3gpuE7ELNS1_3repE0EEENS1_30default_config_static_selectorELNS0_4arch9wavefront6targetE1EEEvT1_.kd
    .uniform_work_group_size: 1
    .uses_dynamic_stack: false
    .vgpr_count:     0
    .vgpr_spill_count: 0
    .wavefront_size: 64
  - .agpr_count:     0
    .args:
      - .offset:         0
        .size:           144
        .value_kind:     by_value
    .group_segment_fixed_size: 0
    .kernarg_segment_align: 8
    .kernarg_segment_size: 144
    .language:       OpenCL C
    .language_version:
      - 2
      - 0
    .max_flat_workgroup_size: 256
    .name:           _ZN7rocprim17ROCPRIM_400000_NS6detail17trampoline_kernelINS0_14default_configENS1_25partition_config_selectorILNS1_17partition_subalgoE1EsNS0_10empty_typeEbEEZZNS1_14partition_implILS5_1ELb0ES3_jN6thrust23THRUST_200600_302600_NS6detail15normal_iteratorINSA_10device_ptrIsEEEEPS6_NSA_18transform_iteratorINSA_8identityIsEESF_NSA_11use_defaultESK_EENS0_5tupleIJSF_SF_EEENSM_IJSG_SG_EEES6_PlJS6_EEE10hipError_tPvRmT3_T4_T5_T6_T7_T9_mT8_P12ihipStream_tbDpT10_ENKUlT_T0_E_clISt17integral_constantIbLb1EES19_EEDaS14_S15_EUlS14_E_NS1_11comp_targetILNS1_3genE2ELNS1_11target_archE906ELNS1_3gpuE6ELNS1_3repE0EEENS1_30default_config_static_selectorELNS0_4arch9wavefront6targetE1EEEvT1_
    .private_segment_fixed_size: 0
    .sgpr_count:     6
    .sgpr_spill_count: 0
    .symbol:         _ZN7rocprim17ROCPRIM_400000_NS6detail17trampoline_kernelINS0_14default_configENS1_25partition_config_selectorILNS1_17partition_subalgoE1EsNS0_10empty_typeEbEEZZNS1_14partition_implILS5_1ELb0ES3_jN6thrust23THRUST_200600_302600_NS6detail15normal_iteratorINSA_10device_ptrIsEEEEPS6_NSA_18transform_iteratorINSA_8identityIsEESF_NSA_11use_defaultESK_EENS0_5tupleIJSF_SF_EEENSM_IJSG_SG_EEES6_PlJS6_EEE10hipError_tPvRmT3_T4_T5_T6_T7_T9_mT8_P12ihipStream_tbDpT10_ENKUlT_T0_E_clISt17integral_constantIbLb1EES19_EEDaS14_S15_EUlS14_E_NS1_11comp_targetILNS1_3genE2ELNS1_11target_archE906ELNS1_3gpuE6ELNS1_3repE0EEENS1_30default_config_static_selectorELNS0_4arch9wavefront6targetE1EEEvT1_.kd
    .uniform_work_group_size: 1
    .uses_dynamic_stack: false
    .vgpr_count:     0
    .vgpr_spill_count: 0
    .wavefront_size: 64
  - .agpr_count:     0
    .args:
      - .offset:         0
        .size:           144
        .value_kind:     by_value
    .group_segment_fixed_size: 0
    .kernarg_segment_align: 8
    .kernarg_segment_size: 144
    .language:       OpenCL C
    .language_version:
      - 2
      - 0
    .max_flat_workgroup_size: 384
    .name:           _ZN7rocprim17ROCPRIM_400000_NS6detail17trampoline_kernelINS0_14default_configENS1_25partition_config_selectorILNS1_17partition_subalgoE1EsNS0_10empty_typeEbEEZZNS1_14partition_implILS5_1ELb0ES3_jN6thrust23THRUST_200600_302600_NS6detail15normal_iteratorINSA_10device_ptrIsEEEEPS6_NSA_18transform_iteratorINSA_8identityIsEESF_NSA_11use_defaultESK_EENS0_5tupleIJSF_SF_EEENSM_IJSG_SG_EEES6_PlJS6_EEE10hipError_tPvRmT3_T4_T5_T6_T7_T9_mT8_P12ihipStream_tbDpT10_ENKUlT_T0_E_clISt17integral_constantIbLb1EES19_EEDaS14_S15_EUlS14_E_NS1_11comp_targetILNS1_3genE10ELNS1_11target_archE1200ELNS1_3gpuE4ELNS1_3repE0EEENS1_30default_config_static_selectorELNS0_4arch9wavefront6targetE1EEEvT1_
    .private_segment_fixed_size: 0
    .sgpr_count:     6
    .sgpr_spill_count: 0
    .symbol:         _ZN7rocprim17ROCPRIM_400000_NS6detail17trampoline_kernelINS0_14default_configENS1_25partition_config_selectorILNS1_17partition_subalgoE1EsNS0_10empty_typeEbEEZZNS1_14partition_implILS5_1ELb0ES3_jN6thrust23THRUST_200600_302600_NS6detail15normal_iteratorINSA_10device_ptrIsEEEEPS6_NSA_18transform_iteratorINSA_8identityIsEESF_NSA_11use_defaultESK_EENS0_5tupleIJSF_SF_EEENSM_IJSG_SG_EEES6_PlJS6_EEE10hipError_tPvRmT3_T4_T5_T6_T7_T9_mT8_P12ihipStream_tbDpT10_ENKUlT_T0_E_clISt17integral_constantIbLb1EES19_EEDaS14_S15_EUlS14_E_NS1_11comp_targetILNS1_3genE10ELNS1_11target_archE1200ELNS1_3gpuE4ELNS1_3repE0EEENS1_30default_config_static_selectorELNS0_4arch9wavefront6targetE1EEEvT1_.kd
    .uniform_work_group_size: 1
    .uses_dynamic_stack: false
    .vgpr_count:     0
    .vgpr_spill_count: 0
    .wavefront_size: 64
  - .agpr_count:     0
    .args:
      - .offset:         0
        .size:           144
        .value_kind:     by_value
    .group_segment_fixed_size: 0
    .kernarg_segment_align: 8
    .kernarg_segment_size: 144
    .language:       OpenCL C
    .language_version:
      - 2
      - 0
    .max_flat_workgroup_size: 128
    .name:           _ZN7rocprim17ROCPRIM_400000_NS6detail17trampoline_kernelINS0_14default_configENS1_25partition_config_selectorILNS1_17partition_subalgoE1EsNS0_10empty_typeEbEEZZNS1_14partition_implILS5_1ELb0ES3_jN6thrust23THRUST_200600_302600_NS6detail15normal_iteratorINSA_10device_ptrIsEEEEPS6_NSA_18transform_iteratorINSA_8identityIsEESF_NSA_11use_defaultESK_EENS0_5tupleIJSF_SF_EEENSM_IJSG_SG_EEES6_PlJS6_EEE10hipError_tPvRmT3_T4_T5_T6_T7_T9_mT8_P12ihipStream_tbDpT10_ENKUlT_T0_E_clISt17integral_constantIbLb1EES19_EEDaS14_S15_EUlS14_E_NS1_11comp_targetILNS1_3genE9ELNS1_11target_archE1100ELNS1_3gpuE3ELNS1_3repE0EEENS1_30default_config_static_selectorELNS0_4arch9wavefront6targetE1EEEvT1_
    .private_segment_fixed_size: 0
    .sgpr_count:     6
    .sgpr_spill_count: 0
    .symbol:         _ZN7rocprim17ROCPRIM_400000_NS6detail17trampoline_kernelINS0_14default_configENS1_25partition_config_selectorILNS1_17partition_subalgoE1EsNS0_10empty_typeEbEEZZNS1_14partition_implILS5_1ELb0ES3_jN6thrust23THRUST_200600_302600_NS6detail15normal_iteratorINSA_10device_ptrIsEEEEPS6_NSA_18transform_iteratorINSA_8identityIsEESF_NSA_11use_defaultESK_EENS0_5tupleIJSF_SF_EEENSM_IJSG_SG_EEES6_PlJS6_EEE10hipError_tPvRmT3_T4_T5_T6_T7_T9_mT8_P12ihipStream_tbDpT10_ENKUlT_T0_E_clISt17integral_constantIbLb1EES19_EEDaS14_S15_EUlS14_E_NS1_11comp_targetILNS1_3genE9ELNS1_11target_archE1100ELNS1_3gpuE3ELNS1_3repE0EEENS1_30default_config_static_selectorELNS0_4arch9wavefront6targetE1EEEvT1_.kd
    .uniform_work_group_size: 1
    .uses_dynamic_stack: false
    .vgpr_count:     0
    .vgpr_spill_count: 0
    .wavefront_size: 64
  - .agpr_count:     0
    .args:
      - .offset:         0
        .size:           144
        .value_kind:     by_value
    .group_segment_fixed_size: 0
    .kernarg_segment_align: 8
    .kernarg_segment_size: 144
    .language:       OpenCL C
    .language_version:
      - 2
      - 0
    .max_flat_workgroup_size: 512
    .name:           _ZN7rocprim17ROCPRIM_400000_NS6detail17trampoline_kernelINS0_14default_configENS1_25partition_config_selectorILNS1_17partition_subalgoE1EsNS0_10empty_typeEbEEZZNS1_14partition_implILS5_1ELb0ES3_jN6thrust23THRUST_200600_302600_NS6detail15normal_iteratorINSA_10device_ptrIsEEEEPS6_NSA_18transform_iteratorINSA_8identityIsEESF_NSA_11use_defaultESK_EENS0_5tupleIJSF_SF_EEENSM_IJSG_SG_EEES6_PlJS6_EEE10hipError_tPvRmT3_T4_T5_T6_T7_T9_mT8_P12ihipStream_tbDpT10_ENKUlT_T0_E_clISt17integral_constantIbLb1EES19_EEDaS14_S15_EUlS14_E_NS1_11comp_targetILNS1_3genE8ELNS1_11target_archE1030ELNS1_3gpuE2ELNS1_3repE0EEENS1_30default_config_static_selectorELNS0_4arch9wavefront6targetE1EEEvT1_
    .private_segment_fixed_size: 0
    .sgpr_count:     6
    .sgpr_spill_count: 0
    .symbol:         _ZN7rocprim17ROCPRIM_400000_NS6detail17trampoline_kernelINS0_14default_configENS1_25partition_config_selectorILNS1_17partition_subalgoE1EsNS0_10empty_typeEbEEZZNS1_14partition_implILS5_1ELb0ES3_jN6thrust23THRUST_200600_302600_NS6detail15normal_iteratorINSA_10device_ptrIsEEEEPS6_NSA_18transform_iteratorINSA_8identityIsEESF_NSA_11use_defaultESK_EENS0_5tupleIJSF_SF_EEENSM_IJSG_SG_EEES6_PlJS6_EEE10hipError_tPvRmT3_T4_T5_T6_T7_T9_mT8_P12ihipStream_tbDpT10_ENKUlT_T0_E_clISt17integral_constantIbLb1EES19_EEDaS14_S15_EUlS14_E_NS1_11comp_targetILNS1_3genE8ELNS1_11target_archE1030ELNS1_3gpuE2ELNS1_3repE0EEENS1_30default_config_static_selectorELNS0_4arch9wavefront6targetE1EEEvT1_.kd
    .uniform_work_group_size: 1
    .uses_dynamic_stack: false
    .vgpr_count:     0
    .vgpr_spill_count: 0
    .wavefront_size: 64
  - .agpr_count:     0
    .args:
      - .offset:         0
        .size:           128
        .value_kind:     by_value
    .group_segment_fixed_size: 0
    .kernarg_segment_align: 8
    .kernarg_segment_size: 128
    .language:       OpenCL C
    .language_version:
      - 2
      - 0
    .max_flat_workgroup_size: 256
    .name:           _ZN7rocprim17ROCPRIM_400000_NS6detail17trampoline_kernelINS0_14default_configENS1_25partition_config_selectorILNS1_17partition_subalgoE1EsNS0_10empty_typeEbEEZZNS1_14partition_implILS5_1ELb0ES3_jN6thrust23THRUST_200600_302600_NS6detail15normal_iteratorINSA_10device_ptrIsEEEEPS6_NSA_18transform_iteratorINSA_8identityIsEESF_NSA_11use_defaultESK_EENS0_5tupleIJSF_SF_EEENSM_IJSG_SG_EEES6_PlJS6_EEE10hipError_tPvRmT3_T4_T5_T6_T7_T9_mT8_P12ihipStream_tbDpT10_ENKUlT_T0_E_clISt17integral_constantIbLb1EES18_IbLb0EEEEDaS14_S15_EUlS14_E_NS1_11comp_targetILNS1_3genE0ELNS1_11target_archE4294967295ELNS1_3gpuE0ELNS1_3repE0EEENS1_30default_config_static_selectorELNS0_4arch9wavefront6targetE1EEEvT1_
    .private_segment_fixed_size: 0
    .sgpr_count:     6
    .sgpr_spill_count: 0
    .symbol:         _ZN7rocprim17ROCPRIM_400000_NS6detail17trampoline_kernelINS0_14default_configENS1_25partition_config_selectorILNS1_17partition_subalgoE1EsNS0_10empty_typeEbEEZZNS1_14partition_implILS5_1ELb0ES3_jN6thrust23THRUST_200600_302600_NS6detail15normal_iteratorINSA_10device_ptrIsEEEEPS6_NSA_18transform_iteratorINSA_8identityIsEESF_NSA_11use_defaultESK_EENS0_5tupleIJSF_SF_EEENSM_IJSG_SG_EEES6_PlJS6_EEE10hipError_tPvRmT3_T4_T5_T6_T7_T9_mT8_P12ihipStream_tbDpT10_ENKUlT_T0_E_clISt17integral_constantIbLb1EES18_IbLb0EEEEDaS14_S15_EUlS14_E_NS1_11comp_targetILNS1_3genE0ELNS1_11target_archE4294967295ELNS1_3gpuE0ELNS1_3repE0EEENS1_30default_config_static_selectorELNS0_4arch9wavefront6targetE1EEEvT1_.kd
    .uniform_work_group_size: 1
    .uses_dynamic_stack: false
    .vgpr_count:     0
    .vgpr_spill_count: 0
    .wavefront_size: 64
  - .agpr_count:     0
    .args:
      - .offset:         0
        .size:           128
        .value_kind:     by_value
    .group_segment_fixed_size: 28680
    .kernarg_segment_align: 8
    .kernarg_segment_size: 128
    .language:       OpenCL C
    .language_version:
      - 2
      - 0
    .max_flat_workgroup_size: 512
    .name:           _ZN7rocprim17ROCPRIM_400000_NS6detail17trampoline_kernelINS0_14default_configENS1_25partition_config_selectorILNS1_17partition_subalgoE1EsNS0_10empty_typeEbEEZZNS1_14partition_implILS5_1ELb0ES3_jN6thrust23THRUST_200600_302600_NS6detail15normal_iteratorINSA_10device_ptrIsEEEEPS6_NSA_18transform_iteratorINSA_8identityIsEESF_NSA_11use_defaultESK_EENS0_5tupleIJSF_SF_EEENSM_IJSG_SG_EEES6_PlJS6_EEE10hipError_tPvRmT3_T4_T5_T6_T7_T9_mT8_P12ihipStream_tbDpT10_ENKUlT_T0_E_clISt17integral_constantIbLb1EES18_IbLb0EEEEDaS14_S15_EUlS14_E_NS1_11comp_targetILNS1_3genE5ELNS1_11target_archE942ELNS1_3gpuE9ELNS1_3repE0EEENS1_30default_config_static_selectorELNS0_4arch9wavefront6targetE1EEEvT1_
    .private_segment_fixed_size: 0
    .sgpr_count:     50
    .sgpr_spill_count: 0
    .symbol:         _ZN7rocprim17ROCPRIM_400000_NS6detail17trampoline_kernelINS0_14default_configENS1_25partition_config_selectorILNS1_17partition_subalgoE1EsNS0_10empty_typeEbEEZZNS1_14partition_implILS5_1ELb0ES3_jN6thrust23THRUST_200600_302600_NS6detail15normal_iteratorINSA_10device_ptrIsEEEEPS6_NSA_18transform_iteratorINSA_8identityIsEESF_NSA_11use_defaultESK_EENS0_5tupleIJSF_SF_EEENSM_IJSG_SG_EEES6_PlJS6_EEE10hipError_tPvRmT3_T4_T5_T6_T7_T9_mT8_P12ihipStream_tbDpT10_ENKUlT_T0_E_clISt17integral_constantIbLb1EES18_IbLb0EEEEDaS14_S15_EUlS14_E_NS1_11comp_targetILNS1_3genE5ELNS1_11target_archE942ELNS1_3gpuE9ELNS1_3repE0EEENS1_30default_config_static_selectorELNS0_4arch9wavefront6targetE1EEEvT1_.kd
    .uniform_work_group_size: 1
    .uses_dynamic_stack: false
    .vgpr_count:     79
    .vgpr_spill_count: 0
    .wavefront_size: 64
  - .agpr_count:     0
    .args:
      - .offset:         0
        .size:           128
        .value_kind:     by_value
    .group_segment_fixed_size: 0
    .kernarg_segment_align: 8
    .kernarg_segment_size: 128
    .language:       OpenCL C
    .language_version:
      - 2
      - 0
    .max_flat_workgroup_size: 256
    .name:           _ZN7rocprim17ROCPRIM_400000_NS6detail17trampoline_kernelINS0_14default_configENS1_25partition_config_selectorILNS1_17partition_subalgoE1EsNS0_10empty_typeEbEEZZNS1_14partition_implILS5_1ELb0ES3_jN6thrust23THRUST_200600_302600_NS6detail15normal_iteratorINSA_10device_ptrIsEEEEPS6_NSA_18transform_iteratorINSA_8identityIsEESF_NSA_11use_defaultESK_EENS0_5tupleIJSF_SF_EEENSM_IJSG_SG_EEES6_PlJS6_EEE10hipError_tPvRmT3_T4_T5_T6_T7_T9_mT8_P12ihipStream_tbDpT10_ENKUlT_T0_E_clISt17integral_constantIbLb1EES18_IbLb0EEEEDaS14_S15_EUlS14_E_NS1_11comp_targetILNS1_3genE4ELNS1_11target_archE910ELNS1_3gpuE8ELNS1_3repE0EEENS1_30default_config_static_selectorELNS0_4arch9wavefront6targetE1EEEvT1_
    .private_segment_fixed_size: 0
    .sgpr_count:     6
    .sgpr_spill_count: 0
    .symbol:         _ZN7rocprim17ROCPRIM_400000_NS6detail17trampoline_kernelINS0_14default_configENS1_25partition_config_selectorILNS1_17partition_subalgoE1EsNS0_10empty_typeEbEEZZNS1_14partition_implILS5_1ELb0ES3_jN6thrust23THRUST_200600_302600_NS6detail15normal_iteratorINSA_10device_ptrIsEEEEPS6_NSA_18transform_iteratorINSA_8identityIsEESF_NSA_11use_defaultESK_EENS0_5tupleIJSF_SF_EEENSM_IJSG_SG_EEES6_PlJS6_EEE10hipError_tPvRmT3_T4_T5_T6_T7_T9_mT8_P12ihipStream_tbDpT10_ENKUlT_T0_E_clISt17integral_constantIbLb1EES18_IbLb0EEEEDaS14_S15_EUlS14_E_NS1_11comp_targetILNS1_3genE4ELNS1_11target_archE910ELNS1_3gpuE8ELNS1_3repE0EEENS1_30default_config_static_selectorELNS0_4arch9wavefront6targetE1EEEvT1_.kd
    .uniform_work_group_size: 1
    .uses_dynamic_stack: false
    .vgpr_count:     0
    .vgpr_spill_count: 0
    .wavefront_size: 64
  - .agpr_count:     0
    .args:
      - .offset:         0
        .size:           128
        .value_kind:     by_value
    .group_segment_fixed_size: 0
    .kernarg_segment_align: 8
    .kernarg_segment_size: 128
    .language:       OpenCL C
    .language_version:
      - 2
      - 0
    .max_flat_workgroup_size: 256
    .name:           _ZN7rocprim17ROCPRIM_400000_NS6detail17trampoline_kernelINS0_14default_configENS1_25partition_config_selectorILNS1_17partition_subalgoE1EsNS0_10empty_typeEbEEZZNS1_14partition_implILS5_1ELb0ES3_jN6thrust23THRUST_200600_302600_NS6detail15normal_iteratorINSA_10device_ptrIsEEEEPS6_NSA_18transform_iteratorINSA_8identityIsEESF_NSA_11use_defaultESK_EENS0_5tupleIJSF_SF_EEENSM_IJSG_SG_EEES6_PlJS6_EEE10hipError_tPvRmT3_T4_T5_T6_T7_T9_mT8_P12ihipStream_tbDpT10_ENKUlT_T0_E_clISt17integral_constantIbLb1EES18_IbLb0EEEEDaS14_S15_EUlS14_E_NS1_11comp_targetILNS1_3genE3ELNS1_11target_archE908ELNS1_3gpuE7ELNS1_3repE0EEENS1_30default_config_static_selectorELNS0_4arch9wavefront6targetE1EEEvT1_
    .private_segment_fixed_size: 0
    .sgpr_count:     6
    .sgpr_spill_count: 0
    .symbol:         _ZN7rocprim17ROCPRIM_400000_NS6detail17trampoline_kernelINS0_14default_configENS1_25partition_config_selectorILNS1_17partition_subalgoE1EsNS0_10empty_typeEbEEZZNS1_14partition_implILS5_1ELb0ES3_jN6thrust23THRUST_200600_302600_NS6detail15normal_iteratorINSA_10device_ptrIsEEEEPS6_NSA_18transform_iteratorINSA_8identityIsEESF_NSA_11use_defaultESK_EENS0_5tupleIJSF_SF_EEENSM_IJSG_SG_EEES6_PlJS6_EEE10hipError_tPvRmT3_T4_T5_T6_T7_T9_mT8_P12ihipStream_tbDpT10_ENKUlT_T0_E_clISt17integral_constantIbLb1EES18_IbLb0EEEEDaS14_S15_EUlS14_E_NS1_11comp_targetILNS1_3genE3ELNS1_11target_archE908ELNS1_3gpuE7ELNS1_3repE0EEENS1_30default_config_static_selectorELNS0_4arch9wavefront6targetE1EEEvT1_.kd
    .uniform_work_group_size: 1
    .uses_dynamic_stack: false
    .vgpr_count:     0
    .vgpr_spill_count: 0
    .wavefront_size: 64
  - .agpr_count:     0
    .args:
      - .offset:         0
        .size:           128
        .value_kind:     by_value
    .group_segment_fixed_size: 0
    .kernarg_segment_align: 8
    .kernarg_segment_size: 128
    .language:       OpenCL C
    .language_version:
      - 2
      - 0
    .max_flat_workgroup_size: 256
    .name:           _ZN7rocprim17ROCPRIM_400000_NS6detail17trampoline_kernelINS0_14default_configENS1_25partition_config_selectorILNS1_17partition_subalgoE1EsNS0_10empty_typeEbEEZZNS1_14partition_implILS5_1ELb0ES3_jN6thrust23THRUST_200600_302600_NS6detail15normal_iteratorINSA_10device_ptrIsEEEEPS6_NSA_18transform_iteratorINSA_8identityIsEESF_NSA_11use_defaultESK_EENS0_5tupleIJSF_SF_EEENSM_IJSG_SG_EEES6_PlJS6_EEE10hipError_tPvRmT3_T4_T5_T6_T7_T9_mT8_P12ihipStream_tbDpT10_ENKUlT_T0_E_clISt17integral_constantIbLb1EES18_IbLb0EEEEDaS14_S15_EUlS14_E_NS1_11comp_targetILNS1_3genE2ELNS1_11target_archE906ELNS1_3gpuE6ELNS1_3repE0EEENS1_30default_config_static_selectorELNS0_4arch9wavefront6targetE1EEEvT1_
    .private_segment_fixed_size: 0
    .sgpr_count:     6
    .sgpr_spill_count: 0
    .symbol:         _ZN7rocprim17ROCPRIM_400000_NS6detail17trampoline_kernelINS0_14default_configENS1_25partition_config_selectorILNS1_17partition_subalgoE1EsNS0_10empty_typeEbEEZZNS1_14partition_implILS5_1ELb0ES3_jN6thrust23THRUST_200600_302600_NS6detail15normal_iteratorINSA_10device_ptrIsEEEEPS6_NSA_18transform_iteratorINSA_8identityIsEESF_NSA_11use_defaultESK_EENS0_5tupleIJSF_SF_EEENSM_IJSG_SG_EEES6_PlJS6_EEE10hipError_tPvRmT3_T4_T5_T6_T7_T9_mT8_P12ihipStream_tbDpT10_ENKUlT_T0_E_clISt17integral_constantIbLb1EES18_IbLb0EEEEDaS14_S15_EUlS14_E_NS1_11comp_targetILNS1_3genE2ELNS1_11target_archE906ELNS1_3gpuE6ELNS1_3repE0EEENS1_30default_config_static_selectorELNS0_4arch9wavefront6targetE1EEEvT1_.kd
    .uniform_work_group_size: 1
    .uses_dynamic_stack: false
    .vgpr_count:     0
    .vgpr_spill_count: 0
    .wavefront_size: 64
  - .agpr_count:     0
    .args:
      - .offset:         0
        .size:           128
        .value_kind:     by_value
    .group_segment_fixed_size: 0
    .kernarg_segment_align: 8
    .kernarg_segment_size: 128
    .language:       OpenCL C
    .language_version:
      - 2
      - 0
    .max_flat_workgroup_size: 384
    .name:           _ZN7rocprim17ROCPRIM_400000_NS6detail17trampoline_kernelINS0_14default_configENS1_25partition_config_selectorILNS1_17partition_subalgoE1EsNS0_10empty_typeEbEEZZNS1_14partition_implILS5_1ELb0ES3_jN6thrust23THRUST_200600_302600_NS6detail15normal_iteratorINSA_10device_ptrIsEEEEPS6_NSA_18transform_iteratorINSA_8identityIsEESF_NSA_11use_defaultESK_EENS0_5tupleIJSF_SF_EEENSM_IJSG_SG_EEES6_PlJS6_EEE10hipError_tPvRmT3_T4_T5_T6_T7_T9_mT8_P12ihipStream_tbDpT10_ENKUlT_T0_E_clISt17integral_constantIbLb1EES18_IbLb0EEEEDaS14_S15_EUlS14_E_NS1_11comp_targetILNS1_3genE10ELNS1_11target_archE1200ELNS1_3gpuE4ELNS1_3repE0EEENS1_30default_config_static_selectorELNS0_4arch9wavefront6targetE1EEEvT1_
    .private_segment_fixed_size: 0
    .sgpr_count:     6
    .sgpr_spill_count: 0
    .symbol:         _ZN7rocprim17ROCPRIM_400000_NS6detail17trampoline_kernelINS0_14default_configENS1_25partition_config_selectorILNS1_17partition_subalgoE1EsNS0_10empty_typeEbEEZZNS1_14partition_implILS5_1ELb0ES3_jN6thrust23THRUST_200600_302600_NS6detail15normal_iteratorINSA_10device_ptrIsEEEEPS6_NSA_18transform_iteratorINSA_8identityIsEESF_NSA_11use_defaultESK_EENS0_5tupleIJSF_SF_EEENSM_IJSG_SG_EEES6_PlJS6_EEE10hipError_tPvRmT3_T4_T5_T6_T7_T9_mT8_P12ihipStream_tbDpT10_ENKUlT_T0_E_clISt17integral_constantIbLb1EES18_IbLb0EEEEDaS14_S15_EUlS14_E_NS1_11comp_targetILNS1_3genE10ELNS1_11target_archE1200ELNS1_3gpuE4ELNS1_3repE0EEENS1_30default_config_static_selectorELNS0_4arch9wavefront6targetE1EEEvT1_.kd
    .uniform_work_group_size: 1
    .uses_dynamic_stack: false
    .vgpr_count:     0
    .vgpr_spill_count: 0
    .wavefront_size: 64
  - .agpr_count:     0
    .args:
      - .offset:         0
        .size:           128
        .value_kind:     by_value
    .group_segment_fixed_size: 0
    .kernarg_segment_align: 8
    .kernarg_segment_size: 128
    .language:       OpenCL C
    .language_version:
      - 2
      - 0
    .max_flat_workgroup_size: 128
    .name:           _ZN7rocprim17ROCPRIM_400000_NS6detail17trampoline_kernelINS0_14default_configENS1_25partition_config_selectorILNS1_17partition_subalgoE1EsNS0_10empty_typeEbEEZZNS1_14partition_implILS5_1ELb0ES3_jN6thrust23THRUST_200600_302600_NS6detail15normal_iteratorINSA_10device_ptrIsEEEEPS6_NSA_18transform_iteratorINSA_8identityIsEESF_NSA_11use_defaultESK_EENS0_5tupleIJSF_SF_EEENSM_IJSG_SG_EEES6_PlJS6_EEE10hipError_tPvRmT3_T4_T5_T6_T7_T9_mT8_P12ihipStream_tbDpT10_ENKUlT_T0_E_clISt17integral_constantIbLb1EES18_IbLb0EEEEDaS14_S15_EUlS14_E_NS1_11comp_targetILNS1_3genE9ELNS1_11target_archE1100ELNS1_3gpuE3ELNS1_3repE0EEENS1_30default_config_static_selectorELNS0_4arch9wavefront6targetE1EEEvT1_
    .private_segment_fixed_size: 0
    .sgpr_count:     6
    .sgpr_spill_count: 0
    .symbol:         _ZN7rocprim17ROCPRIM_400000_NS6detail17trampoline_kernelINS0_14default_configENS1_25partition_config_selectorILNS1_17partition_subalgoE1EsNS0_10empty_typeEbEEZZNS1_14partition_implILS5_1ELb0ES3_jN6thrust23THRUST_200600_302600_NS6detail15normal_iteratorINSA_10device_ptrIsEEEEPS6_NSA_18transform_iteratorINSA_8identityIsEESF_NSA_11use_defaultESK_EENS0_5tupleIJSF_SF_EEENSM_IJSG_SG_EEES6_PlJS6_EEE10hipError_tPvRmT3_T4_T5_T6_T7_T9_mT8_P12ihipStream_tbDpT10_ENKUlT_T0_E_clISt17integral_constantIbLb1EES18_IbLb0EEEEDaS14_S15_EUlS14_E_NS1_11comp_targetILNS1_3genE9ELNS1_11target_archE1100ELNS1_3gpuE3ELNS1_3repE0EEENS1_30default_config_static_selectorELNS0_4arch9wavefront6targetE1EEEvT1_.kd
    .uniform_work_group_size: 1
    .uses_dynamic_stack: false
    .vgpr_count:     0
    .vgpr_spill_count: 0
    .wavefront_size: 64
  - .agpr_count:     0
    .args:
      - .offset:         0
        .size:           128
        .value_kind:     by_value
    .group_segment_fixed_size: 0
    .kernarg_segment_align: 8
    .kernarg_segment_size: 128
    .language:       OpenCL C
    .language_version:
      - 2
      - 0
    .max_flat_workgroup_size: 512
    .name:           _ZN7rocprim17ROCPRIM_400000_NS6detail17trampoline_kernelINS0_14default_configENS1_25partition_config_selectorILNS1_17partition_subalgoE1EsNS0_10empty_typeEbEEZZNS1_14partition_implILS5_1ELb0ES3_jN6thrust23THRUST_200600_302600_NS6detail15normal_iteratorINSA_10device_ptrIsEEEEPS6_NSA_18transform_iteratorINSA_8identityIsEESF_NSA_11use_defaultESK_EENS0_5tupleIJSF_SF_EEENSM_IJSG_SG_EEES6_PlJS6_EEE10hipError_tPvRmT3_T4_T5_T6_T7_T9_mT8_P12ihipStream_tbDpT10_ENKUlT_T0_E_clISt17integral_constantIbLb1EES18_IbLb0EEEEDaS14_S15_EUlS14_E_NS1_11comp_targetILNS1_3genE8ELNS1_11target_archE1030ELNS1_3gpuE2ELNS1_3repE0EEENS1_30default_config_static_selectorELNS0_4arch9wavefront6targetE1EEEvT1_
    .private_segment_fixed_size: 0
    .sgpr_count:     6
    .sgpr_spill_count: 0
    .symbol:         _ZN7rocprim17ROCPRIM_400000_NS6detail17trampoline_kernelINS0_14default_configENS1_25partition_config_selectorILNS1_17partition_subalgoE1EsNS0_10empty_typeEbEEZZNS1_14partition_implILS5_1ELb0ES3_jN6thrust23THRUST_200600_302600_NS6detail15normal_iteratorINSA_10device_ptrIsEEEEPS6_NSA_18transform_iteratorINSA_8identityIsEESF_NSA_11use_defaultESK_EENS0_5tupleIJSF_SF_EEENSM_IJSG_SG_EEES6_PlJS6_EEE10hipError_tPvRmT3_T4_T5_T6_T7_T9_mT8_P12ihipStream_tbDpT10_ENKUlT_T0_E_clISt17integral_constantIbLb1EES18_IbLb0EEEEDaS14_S15_EUlS14_E_NS1_11comp_targetILNS1_3genE8ELNS1_11target_archE1030ELNS1_3gpuE2ELNS1_3repE0EEENS1_30default_config_static_selectorELNS0_4arch9wavefront6targetE1EEEvT1_.kd
    .uniform_work_group_size: 1
    .uses_dynamic_stack: false
    .vgpr_count:     0
    .vgpr_spill_count: 0
    .wavefront_size: 64
  - .agpr_count:     0
    .args:
      - .offset:         0
        .size:           144
        .value_kind:     by_value
    .group_segment_fixed_size: 0
    .kernarg_segment_align: 8
    .kernarg_segment_size: 144
    .language:       OpenCL C
    .language_version:
      - 2
      - 0
    .max_flat_workgroup_size: 256
    .name:           _ZN7rocprim17ROCPRIM_400000_NS6detail17trampoline_kernelINS0_14default_configENS1_25partition_config_selectorILNS1_17partition_subalgoE1EsNS0_10empty_typeEbEEZZNS1_14partition_implILS5_1ELb0ES3_jN6thrust23THRUST_200600_302600_NS6detail15normal_iteratorINSA_10device_ptrIsEEEEPS6_NSA_18transform_iteratorINSA_8identityIsEESF_NSA_11use_defaultESK_EENS0_5tupleIJSF_SF_EEENSM_IJSG_SG_EEES6_PlJS6_EEE10hipError_tPvRmT3_T4_T5_T6_T7_T9_mT8_P12ihipStream_tbDpT10_ENKUlT_T0_E_clISt17integral_constantIbLb0EES18_IbLb1EEEEDaS14_S15_EUlS14_E_NS1_11comp_targetILNS1_3genE0ELNS1_11target_archE4294967295ELNS1_3gpuE0ELNS1_3repE0EEENS1_30default_config_static_selectorELNS0_4arch9wavefront6targetE1EEEvT1_
    .private_segment_fixed_size: 0
    .sgpr_count:     6
    .sgpr_spill_count: 0
    .symbol:         _ZN7rocprim17ROCPRIM_400000_NS6detail17trampoline_kernelINS0_14default_configENS1_25partition_config_selectorILNS1_17partition_subalgoE1EsNS0_10empty_typeEbEEZZNS1_14partition_implILS5_1ELb0ES3_jN6thrust23THRUST_200600_302600_NS6detail15normal_iteratorINSA_10device_ptrIsEEEEPS6_NSA_18transform_iteratorINSA_8identityIsEESF_NSA_11use_defaultESK_EENS0_5tupleIJSF_SF_EEENSM_IJSG_SG_EEES6_PlJS6_EEE10hipError_tPvRmT3_T4_T5_T6_T7_T9_mT8_P12ihipStream_tbDpT10_ENKUlT_T0_E_clISt17integral_constantIbLb0EES18_IbLb1EEEEDaS14_S15_EUlS14_E_NS1_11comp_targetILNS1_3genE0ELNS1_11target_archE4294967295ELNS1_3gpuE0ELNS1_3repE0EEENS1_30default_config_static_selectorELNS0_4arch9wavefront6targetE1EEEvT1_.kd
    .uniform_work_group_size: 1
    .uses_dynamic_stack: false
    .vgpr_count:     0
    .vgpr_spill_count: 0
    .wavefront_size: 64
  - .agpr_count:     0
    .args:
      - .offset:         0
        .size:           144
        .value_kind:     by_value
    .group_segment_fixed_size: 28680
    .kernarg_segment_align: 8
    .kernarg_segment_size: 144
    .language:       OpenCL C
    .language_version:
      - 2
      - 0
    .max_flat_workgroup_size: 512
    .name:           _ZN7rocprim17ROCPRIM_400000_NS6detail17trampoline_kernelINS0_14default_configENS1_25partition_config_selectorILNS1_17partition_subalgoE1EsNS0_10empty_typeEbEEZZNS1_14partition_implILS5_1ELb0ES3_jN6thrust23THRUST_200600_302600_NS6detail15normal_iteratorINSA_10device_ptrIsEEEEPS6_NSA_18transform_iteratorINSA_8identityIsEESF_NSA_11use_defaultESK_EENS0_5tupleIJSF_SF_EEENSM_IJSG_SG_EEES6_PlJS6_EEE10hipError_tPvRmT3_T4_T5_T6_T7_T9_mT8_P12ihipStream_tbDpT10_ENKUlT_T0_E_clISt17integral_constantIbLb0EES18_IbLb1EEEEDaS14_S15_EUlS14_E_NS1_11comp_targetILNS1_3genE5ELNS1_11target_archE942ELNS1_3gpuE9ELNS1_3repE0EEENS1_30default_config_static_selectorELNS0_4arch9wavefront6targetE1EEEvT1_
    .private_segment_fixed_size: 0
    .sgpr_count:     50
    .sgpr_spill_count: 0
    .symbol:         _ZN7rocprim17ROCPRIM_400000_NS6detail17trampoline_kernelINS0_14default_configENS1_25partition_config_selectorILNS1_17partition_subalgoE1EsNS0_10empty_typeEbEEZZNS1_14partition_implILS5_1ELb0ES3_jN6thrust23THRUST_200600_302600_NS6detail15normal_iteratorINSA_10device_ptrIsEEEEPS6_NSA_18transform_iteratorINSA_8identityIsEESF_NSA_11use_defaultESK_EENS0_5tupleIJSF_SF_EEENSM_IJSG_SG_EEES6_PlJS6_EEE10hipError_tPvRmT3_T4_T5_T6_T7_T9_mT8_P12ihipStream_tbDpT10_ENKUlT_T0_E_clISt17integral_constantIbLb0EES18_IbLb1EEEEDaS14_S15_EUlS14_E_NS1_11comp_targetILNS1_3genE5ELNS1_11target_archE942ELNS1_3gpuE9ELNS1_3repE0EEENS1_30default_config_static_selectorELNS0_4arch9wavefront6targetE1EEEvT1_.kd
    .uniform_work_group_size: 1
    .uses_dynamic_stack: false
    .vgpr_count:     83
    .vgpr_spill_count: 0
    .wavefront_size: 64
  - .agpr_count:     0
    .args:
      - .offset:         0
        .size:           144
        .value_kind:     by_value
    .group_segment_fixed_size: 0
    .kernarg_segment_align: 8
    .kernarg_segment_size: 144
    .language:       OpenCL C
    .language_version:
      - 2
      - 0
    .max_flat_workgroup_size: 256
    .name:           _ZN7rocprim17ROCPRIM_400000_NS6detail17trampoline_kernelINS0_14default_configENS1_25partition_config_selectorILNS1_17partition_subalgoE1EsNS0_10empty_typeEbEEZZNS1_14partition_implILS5_1ELb0ES3_jN6thrust23THRUST_200600_302600_NS6detail15normal_iteratorINSA_10device_ptrIsEEEEPS6_NSA_18transform_iteratorINSA_8identityIsEESF_NSA_11use_defaultESK_EENS0_5tupleIJSF_SF_EEENSM_IJSG_SG_EEES6_PlJS6_EEE10hipError_tPvRmT3_T4_T5_T6_T7_T9_mT8_P12ihipStream_tbDpT10_ENKUlT_T0_E_clISt17integral_constantIbLb0EES18_IbLb1EEEEDaS14_S15_EUlS14_E_NS1_11comp_targetILNS1_3genE4ELNS1_11target_archE910ELNS1_3gpuE8ELNS1_3repE0EEENS1_30default_config_static_selectorELNS0_4arch9wavefront6targetE1EEEvT1_
    .private_segment_fixed_size: 0
    .sgpr_count:     6
    .sgpr_spill_count: 0
    .symbol:         _ZN7rocprim17ROCPRIM_400000_NS6detail17trampoline_kernelINS0_14default_configENS1_25partition_config_selectorILNS1_17partition_subalgoE1EsNS0_10empty_typeEbEEZZNS1_14partition_implILS5_1ELb0ES3_jN6thrust23THRUST_200600_302600_NS6detail15normal_iteratorINSA_10device_ptrIsEEEEPS6_NSA_18transform_iteratorINSA_8identityIsEESF_NSA_11use_defaultESK_EENS0_5tupleIJSF_SF_EEENSM_IJSG_SG_EEES6_PlJS6_EEE10hipError_tPvRmT3_T4_T5_T6_T7_T9_mT8_P12ihipStream_tbDpT10_ENKUlT_T0_E_clISt17integral_constantIbLb0EES18_IbLb1EEEEDaS14_S15_EUlS14_E_NS1_11comp_targetILNS1_3genE4ELNS1_11target_archE910ELNS1_3gpuE8ELNS1_3repE0EEENS1_30default_config_static_selectorELNS0_4arch9wavefront6targetE1EEEvT1_.kd
    .uniform_work_group_size: 1
    .uses_dynamic_stack: false
    .vgpr_count:     0
    .vgpr_spill_count: 0
    .wavefront_size: 64
  - .agpr_count:     0
    .args:
      - .offset:         0
        .size:           144
        .value_kind:     by_value
    .group_segment_fixed_size: 0
    .kernarg_segment_align: 8
    .kernarg_segment_size: 144
    .language:       OpenCL C
    .language_version:
      - 2
      - 0
    .max_flat_workgroup_size: 256
    .name:           _ZN7rocprim17ROCPRIM_400000_NS6detail17trampoline_kernelINS0_14default_configENS1_25partition_config_selectorILNS1_17partition_subalgoE1EsNS0_10empty_typeEbEEZZNS1_14partition_implILS5_1ELb0ES3_jN6thrust23THRUST_200600_302600_NS6detail15normal_iteratorINSA_10device_ptrIsEEEEPS6_NSA_18transform_iteratorINSA_8identityIsEESF_NSA_11use_defaultESK_EENS0_5tupleIJSF_SF_EEENSM_IJSG_SG_EEES6_PlJS6_EEE10hipError_tPvRmT3_T4_T5_T6_T7_T9_mT8_P12ihipStream_tbDpT10_ENKUlT_T0_E_clISt17integral_constantIbLb0EES18_IbLb1EEEEDaS14_S15_EUlS14_E_NS1_11comp_targetILNS1_3genE3ELNS1_11target_archE908ELNS1_3gpuE7ELNS1_3repE0EEENS1_30default_config_static_selectorELNS0_4arch9wavefront6targetE1EEEvT1_
    .private_segment_fixed_size: 0
    .sgpr_count:     6
    .sgpr_spill_count: 0
    .symbol:         _ZN7rocprim17ROCPRIM_400000_NS6detail17trampoline_kernelINS0_14default_configENS1_25partition_config_selectorILNS1_17partition_subalgoE1EsNS0_10empty_typeEbEEZZNS1_14partition_implILS5_1ELb0ES3_jN6thrust23THRUST_200600_302600_NS6detail15normal_iteratorINSA_10device_ptrIsEEEEPS6_NSA_18transform_iteratorINSA_8identityIsEESF_NSA_11use_defaultESK_EENS0_5tupleIJSF_SF_EEENSM_IJSG_SG_EEES6_PlJS6_EEE10hipError_tPvRmT3_T4_T5_T6_T7_T9_mT8_P12ihipStream_tbDpT10_ENKUlT_T0_E_clISt17integral_constantIbLb0EES18_IbLb1EEEEDaS14_S15_EUlS14_E_NS1_11comp_targetILNS1_3genE3ELNS1_11target_archE908ELNS1_3gpuE7ELNS1_3repE0EEENS1_30default_config_static_selectorELNS0_4arch9wavefront6targetE1EEEvT1_.kd
    .uniform_work_group_size: 1
    .uses_dynamic_stack: false
    .vgpr_count:     0
    .vgpr_spill_count: 0
    .wavefront_size: 64
  - .agpr_count:     0
    .args:
      - .offset:         0
        .size:           144
        .value_kind:     by_value
    .group_segment_fixed_size: 0
    .kernarg_segment_align: 8
    .kernarg_segment_size: 144
    .language:       OpenCL C
    .language_version:
      - 2
      - 0
    .max_flat_workgroup_size: 256
    .name:           _ZN7rocprim17ROCPRIM_400000_NS6detail17trampoline_kernelINS0_14default_configENS1_25partition_config_selectorILNS1_17partition_subalgoE1EsNS0_10empty_typeEbEEZZNS1_14partition_implILS5_1ELb0ES3_jN6thrust23THRUST_200600_302600_NS6detail15normal_iteratorINSA_10device_ptrIsEEEEPS6_NSA_18transform_iteratorINSA_8identityIsEESF_NSA_11use_defaultESK_EENS0_5tupleIJSF_SF_EEENSM_IJSG_SG_EEES6_PlJS6_EEE10hipError_tPvRmT3_T4_T5_T6_T7_T9_mT8_P12ihipStream_tbDpT10_ENKUlT_T0_E_clISt17integral_constantIbLb0EES18_IbLb1EEEEDaS14_S15_EUlS14_E_NS1_11comp_targetILNS1_3genE2ELNS1_11target_archE906ELNS1_3gpuE6ELNS1_3repE0EEENS1_30default_config_static_selectorELNS0_4arch9wavefront6targetE1EEEvT1_
    .private_segment_fixed_size: 0
    .sgpr_count:     6
    .sgpr_spill_count: 0
    .symbol:         _ZN7rocprim17ROCPRIM_400000_NS6detail17trampoline_kernelINS0_14default_configENS1_25partition_config_selectorILNS1_17partition_subalgoE1EsNS0_10empty_typeEbEEZZNS1_14partition_implILS5_1ELb0ES3_jN6thrust23THRUST_200600_302600_NS6detail15normal_iteratorINSA_10device_ptrIsEEEEPS6_NSA_18transform_iteratorINSA_8identityIsEESF_NSA_11use_defaultESK_EENS0_5tupleIJSF_SF_EEENSM_IJSG_SG_EEES6_PlJS6_EEE10hipError_tPvRmT3_T4_T5_T6_T7_T9_mT8_P12ihipStream_tbDpT10_ENKUlT_T0_E_clISt17integral_constantIbLb0EES18_IbLb1EEEEDaS14_S15_EUlS14_E_NS1_11comp_targetILNS1_3genE2ELNS1_11target_archE906ELNS1_3gpuE6ELNS1_3repE0EEENS1_30default_config_static_selectorELNS0_4arch9wavefront6targetE1EEEvT1_.kd
    .uniform_work_group_size: 1
    .uses_dynamic_stack: false
    .vgpr_count:     0
    .vgpr_spill_count: 0
    .wavefront_size: 64
  - .agpr_count:     0
    .args:
      - .offset:         0
        .size:           144
        .value_kind:     by_value
    .group_segment_fixed_size: 0
    .kernarg_segment_align: 8
    .kernarg_segment_size: 144
    .language:       OpenCL C
    .language_version:
      - 2
      - 0
    .max_flat_workgroup_size: 384
    .name:           _ZN7rocprim17ROCPRIM_400000_NS6detail17trampoline_kernelINS0_14default_configENS1_25partition_config_selectorILNS1_17partition_subalgoE1EsNS0_10empty_typeEbEEZZNS1_14partition_implILS5_1ELb0ES3_jN6thrust23THRUST_200600_302600_NS6detail15normal_iteratorINSA_10device_ptrIsEEEEPS6_NSA_18transform_iteratorINSA_8identityIsEESF_NSA_11use_defaultESK_EENS0_5tupleIJSF_SF_EEENSM_IJSG_SG_EEES6_PlJS6_EEE10hipError_tPvRmT3_T4_T5_T6_T7_T9_mT8_P12ihipStream_tbDpT10_ENKUlT_T0_E_clISt17integral_constantIbLb0EES18_IbLb1EEEEDaS14_S15_EUlS14_E_NS1_11comp_targetILNS1_3genE10ELNS1_11target_archE1200ELNS1_3gpuE4ELNS1_3repE0EEENS1_30default_config_static_selectorELNS0_4arch9wavefront6targetE1EEEvT1_
    .private_segment_fixed_size: 0
    .sgpr_count:     6
    .sgpr_spill_count: 0
    .symbol:         _ZN7rocprim17ROCPRIM_400000_NS6detail17trampoline_kernelINS0_14default_configENS1_25partition_config_selectorILNS1_17partition_subalgoE1EsNS0_10empty_typeEbEEZZNS1_14partition_implILS5_1ELb0ES3_jN6thrust23THRUST_200600_302600_NS6detail15normal_iteratorINSA_10device_ptrIsEEEEPS6_NSA_18transform_iteratorINSA_8identityIsEESF_NSA_11use_defaultESK_EENS0_5tupleIJSF_SF_EEENSM_IJSG_SG_EEES6_PlJS6_EEE10hipError_tPvRmT3_T4_T5_T6_T7_T9_mT8_P12ihipStream_tbDpT10_ENKUlT_T0_E_clISt17integral_constantIbLb0EES18_IbLb1EEEEDaS14_S15_EUlS14_E_NS1_11comp_targetILNS1_3genE10ELNS1_11target_archE1200ELNS1_3gpuE4ELNS1_3repE0EEENS1_30default_config_static_selectorELNS0_4arch9wavefront6targetE1EEEvT1_.kd
    .uniform_work_group_size: 1
    .uses_dynamic_stack: false
    .vgpr_count:     0
    .vgpr_spill_count: 0
    .wavefront_size: 64
  - .agpr_count:     0
    .args:
      - .offset:         0
        .size:           144
        .value_kind:     by_value
    .group_segment_fixed_size: 0
    .kernarg_segment_align: 8
    .kernarg_segment_size: 144
    .language:       OpenCL C
    .language_version:
      - 2
      - 0
    .max_flat_workgroup_size: 128
    .name:           _ZN7rocprim17ROCPRIM_400000_NS6detail17trampoline_kernelINS0_14default_configENS1_25partition_config_selectorILNS1_17partition_subalgoE1EsNS0_10empty_typeEbEEZZNS1_14partition_implILS5_1ELb0ES3_jN6thrust23THRUST_200600_302600_NS6detail15normal_iteratorINSA_10device_ptrIsEEEEPS6_NSA_18transform_iteratorINSA_8identityIsEESF_NSA_11use_defaultESK_EENS0_5tupleIJSF_SF_EEENSM_IJSG_SG_EEES6_PlJS6_EEE10hipError_tPvRmT3_T4_T5_T6_T7_T9_mT8_P12ihipStream_tbDpT10_ENKUlT_T0_E_clISt17integral_constantIbLb0EES18_IbLb1EEEEDaS14_S15_EUlS14_E_NS1_11comp_targetILNS1_3genE9ELNS1_11target_archE1100ELNS1_3gpuE3ELNS1_3repE0EEENS1_30default_config_static_selectorELNS0_4arch9wavefront6targetE1EEEvT1_
    .private_segment_fixed_size: 0
    .sgpr_count:     6
    .sgpr_spill_count: 0
    .symbol:         _ZN7rocprim17ROCPRIM_400000_NS6detail17trampoline_kernelINS0_14default_configENS1_25partition_config_selectorILNS1_17partition_subalgoE1EsNS0_10empty_typeEbEEZZNS1_14partition_implILS5_1ELb0ES3_jN6thrust23THRUST_200600_302600_NS6detail15normal_iteratorINSA_10device_ptrIsEEEEPS6_NSA_18transform_iteratorINSA_8identityIsEESF_NSA_11use_defaultESK_EENS0_5tupleIJSF_SF_EEENSM_IJSG_SG_EEES6_PlJS6_EEE10hipError_tPvRmT3_T4_T5_T6_T7_T9_mT8_P12ihipStream_tbDpT10_ENKUlT_T0_E_clISt17integral_constantIbLb0EES18_IbLb1EEEEDaS14_S15_EUlS14_E_NS1_11comp_targetILNS1_3genE9ELNS1_11target_archE1100ELNS1_3gpuE3ELNS1_3repE0EEENS1_30default_config_static_selectorELNS0_4arch9wavefront6targetE1EEEvT1_.kd
    .uniform_work_group_size: 1
    .uses_dynamic_stack: false
    .vgpr_count:     0
    .vgpr_spill_count: 0
    .wavefront_size: 64
  - .agpr_count:     0
    .args:
      - .offset:         0
        .size:           144
        .value_kind:     by_value
    .group_segment_fixed_size: 0
    .kernarg_segment_align: 8
    .kernarg_segment_size: 144
    .language:       OpenCL C
    .language_version:
      - 2
      - 0
    .max_flat_workgroup_size: 512
    .name:           _ZN7rocprim17ROCPRIM_400000_NS6detail17trampoline_kernelINS0_14default_configENS1_25partition_config_selectorILNS1_17partition_subalgoE1EsNS0_10empty_typeEbEEZZNS1_14partition_implILS5_1ELb0ES3_jN6thrust23THRUST_200600_302600_NS6detail15normal_iteratorINSA_10device_ptrIsEEEEPS6_NSA_18transform_iteratorINSA_8identityIsEESF_NSA_11use_defaultESK_EENS0_5tupleIJSF_SF_EEENSM_IJSG_SG_EEES6_PlJS6_EEE10hipError_tPvRmT3_T4_T5_T6_T7_T9_mT8_P12ihipStream_tbDpT10_ENKUlT_T0_E_clISt17integral_constantIbLb0EES18_IbLb1EEEEDaS14_S15_EUlS14_E_NS1_11comp_targetILNS1_3genE8ELNS1_11target_archE1030ELNS1_3gpuE2ELNS1_3repE0EEENS1_30default_config_static_selectorELNS0_4arch9wavefront6targetE1EEEvT1_
    .private_segment_fixed_size: 0
    .sgpr_count:     6
    .sgpr_spill_count: 0
    .symbol:         _ZN7rocprim17ROCPRIM_400000_NS6detail17trampoline_kernelINS0_14default_configENS1_25partition_config_selectorILNS1_17partition_subalgoE1EsNS0_10empty_typeEbEEZZNS1_14partition_implILS5_1ELb0ES3_jN6thrust23THRUST_200600_302600_NS6detail15normal_iteratorINSA_10device_ptrIsEEEEPS6_NSA_18transform_iteratorINSA_8identityIsEESF_NSA_11use_defaultESK_EENS0_5tupleIJSF_SF_EEENSM_IJSG_SG_EEES6_PlJS6_EEE10hipError_tPvRmT3_T4_T5_T6_T7_T9_mT8_P12ihipStream_tbDpT10_ENKUlT_T0_E_clISt17integral_constantIbLb0EES18_IbLb1EEEEDaS14_S15_EUlS14_E_NS1_11comp_targetILNS1_3genE8ELNS1_11target_archE1030ELNS1_3gpuE2ELNS1_3repE0EEENS1_30default_config_static_selectorELNS0_4arch9wavefront6targetE1EEEvT1_.kd
    .uniform_work_group_size: 1
    .uses_dynamic_stack: false
    .vgpr_count:     0
    .vgpr_spill_count: 0
    .wavefront_size: 64
  - .agpr_count:     0
    .args:
      - .offset:         0
        .size:           16
        .value_kind:     by_value
      - .offset:         16
        .size:           8
        .value_kind:     by_value
      - .offset:         24
        .size:           8
        .value_kind:     by_value
    .group_segment_fixed_size: 0
    .kernarg_segment_align: 8
    .kernarg_segment_size: 32
    .language:       OpenCL C
    .language_version:
      - 2
      - 0
    .max_flat_workgroup_size: 256
    .name:           _ZN6thrust23THRUST_200600_302600_NS11hip_rocprim14__parallel_for6kernelILj256ENS1_20__uninitialized_copy7functorINS0_6detail15normal_iteratorINS0_10device_ptrIyEEEENS7_INS0_7pointerIyNS1_3tagENS0_11use_defaultESD_EEEEEElLj1EEEvT0_T1_SI_
    .private_segment_fixed_size: 0
    .sgpr_count:     18
    .sgpr_spill_count: 0
    .symbol:         _ZN6thrust23THRUST_200600_302600_NS11hip_rocprim14__parallel_for6kernelILj256ENS1_20__uninitialized_copy7functorINS0_6detail15normal_iteratorINS0_10device_ptrIyEEEENS7_INS0_7pointerIyNS1_3tagENS0_11use_defaultESD_EEEEEElLj1EEEvT0_T1_SI_.kd
    .uniform_work_group_size: 1
    .uses_dynamic_stack: false
    .vgpr_count:     6
    .vgpr_spill_count: 0
    .wavefront_size: 64
  - .agpr_count:     0
    .args:
      - .offset:         0
        .size:           120
        .value_kind:     by_value
    .group_segment_fixed_size: 0
    .kernarg_segment_align: 8
    .kernarg_segment_size: 120
    .language:       OpenCL C
    .language_version:
      - 2
      - 0
    .max_flat_workgroup_size: 192
    .name:           _ZN7rocprim17ROCPRIM_400000_NS6detail17trampoline_kernelINS0_14default_configENS1_25partition_config_selectorILNS1_17partition_subalgoE3EyNS0_10empty_typeEbEEZZNS1_14partition_implILS5_3ELb0ES3_jN6thrust23THRUST_200600_302600_NS6detail15normal_iteratorINSA_7pointerIyNSA_11hip_rocprim3tagENSA_11use_defaultESG_EEEEPS6_SJ_NS0_5tupleIJPySJ_EEENSK_IJSJ_SJ_EEES6_PlJ7is_evenIyEEEE10hipError_tPvRmT3_T4_T5_T6_T7_T9_mT8_P12ihipStream_tbDpT10_ENKUlT_T0_E_clISt17integral_constantIbLb0EES1A_EEDaS15_S16_EUlS15_E_NS1_11comp_targetILNS1_3genE0ELNS1_11target_archE4294967295ELNS1_3gpuE0ELNS1_3repE0EEENS1_30default_config_static_selectorELNS0_4arch9wavefront6targetE1EEEvT1_
    .private_segment_fixed_size: 0
    .sgpr_count:     6
    .sgpr_spill_count: 0
    .symbol:         _ZN7rocprim17ROCPRIM_400000_NS6detail17trampoline_kernelINS0_14default_configENS1_25partition_config_selectorILNS1_17partition_subalgoE3EyNS0_10empty_typeEbEEZZNS1_14partition_implILS5_3ELb0ES3_jN6thrust23THRUST_200600_302600_NS6detail15normal_iteratorINSA_7pointerIyNSA_11hip_rocprim3tagENSA_11use_defaultESG_EEEEPS6_SJ_NS0_5tupleIJPySJ_EEENSK_IJSJ_SJ_EEES6_PlJ7is_evenIyEEEE10hipError_tPvRmT3_T4_T5_T6_T7_T9_mT8_P12ihipStream_tbDpT10_ENKUlT_T0_E_clISt17integral_constantIbLb0EES1A_EEDaS15_S16_EUlS15_E_NS1_11comp_targetILNS1_3genE0ELNS1_11target_archE4294967295ELNS1_3gpuE0ELNS1_3repE0EEENS1_30default_config_static_selectorELNS0_4arch9wavefront6targetE1EEEvT1_.kd
    .uniform_work_group_size: 1
    .uses_dynamic_stack: false
    .vgpr_count:     0
    .vgpr_spill_count: 0
    .wavefront_size: 64
  - .agpr_count:     0
    .args:
      - .offset:         0
        .size:           120
        .value_kind:     by_value
    .group_segment_fixed_size: 28680
    .kernarg_segment_align: 8
    .kernarg_segment_size: 120
    .language:       OpenCL C
    .language_version:
      - 2
      - 0
    .max_flat_workgroup_size: 512
    .name:           _ZN7rocprim17ROCPRIM_400000_NS6detail17trampoline_kernelINS0_14default_configENS1_25partition_config_selectorILNS1_17partition_subalgoE3EyNS0_10empty_typeEbEEZZNS1_14partition_implILS5_3ELb0ES3_jN6thrust23THRUST_200600_302600_NS6detail15normal_iteratorINSA_7pointerIyNSA_11hip_rocprim3tagENSA_11use_defaultESG_EEEEPS6_SJ_NS0_5tupleIJPySJ_EEENSK_IJSJ_SJ_EEES6_PlJ7is_evenIyEEEE10hipError_tPvRmT3_T4_T5_T6_T7_T9_mT8_P12ihipStream_tbDpT10_ENKUlT_T0_E_clISt17integral_constantIbLb0EES1A_EEDaS15_S16_EUlS15_E_NS1_11comp_targetILNS1_3genE5ELNS1_11target_archE942ELNS1_3gpuE9ELNS1_3repE0EEENS1_30default_config_static_selectorELNS0_4arch9wavefront6targetE1EEEvT1_
    .private_segment_fixed_size: 0
    .sgpr_count:     52
    .sgpr_spill_count: 0
    .symbol:         _ZN7rocprim17ROCPRIM_400000_NS6detail17trampoline_kernelINS0_14default_configENS1_25partition_config_selectorILNS1_17partition_subalgoE3EyNS0_10empty_typeEbEEZZNS1_14partition_implILS5_3ELb0ES3_jN6thrust23THRUST_200600_302600_NS6detail15normal_iteratorINSA_7pointerIyNSA_11hip_rocprim3tagENSA_11use_defaultESG_EEEEPS6_SJ_NS0_5tupleIJPySJ_EEENSK_IJSJ_SJ_EEES6_PlJ7is_evenIyEEEE10hipError_tPvRmT3_T4_T5_T6_T7_T9_mT8_P12ihipStream_tbDpT10_ENKUlT_T0_E_clISt17integral_constantIbLb0EES1A_EEDaS15_S16_EUlS15_E_NS1_11comp_targetILNS1_3genE5ELNS1_11target_archE942ELNS1_3gpuE9ELNS1_3repE0EEENS1_30default_config_static_selectorELNS0_4arch9wavefront6targetE1EEEvT1_.kd
    .uniform_work_group_size: 1
    .uses_dynamic_stack: false
    .vgpr_count:     57
    .vgpr_spill_count: 0
    .wavefront_size: 64
  - .agpr_count:     0
    .args:
      - .offset:         0
        .size:           120
        .value_kind:     by_value
    .group_segment_fixed_size: 0
    .kernarg_segment_align: 8
    .kernarg_segment_size: 120
    .language:       OpenCL C
    .language_version:
      - 2
      - 0
    .max_flat_workgroup_size: 192
    .name:           _ZN7rocprim17ROCPRIM_400000_NS6detail17trampoline_kernelINS0_14default_configENS1_25partition_config_selectorILNS1_17partition_subalgoE3EyNS0_10empty_typeEbEEZZNS1_14partition_implILS5_3ELb0ES3_jN6thrust23THRUST_200600_302600_NS6detail15normal_iteratorINSA_7pointerIyNSA_11hip_rocprim3tagENSA_11use_defaultESG_EEEEPS6_SJ_NS0_5tupleIJPySJ_EEENSK_IJSJ_SJ_EEES6_PlJ7is_evenIyEEEE10hipError_tPvRmT3_T4_T5_T6_T7_T9_mT8_P12ihipStream_tbDpT10_ENKUlT_T0_E_clISt17integral_constantIbLb0EES1A_EEDaS15_S16_EUlS15_E_NS1_11comp_targetILNS1_3genE4ELNS1_11target_archE910ELNS1_3gpuE8ELNS1_3repE0EEENS1_30default_config_static_selectorELNS0_4arch9wavefront6targetE1EEEvT1_
    .private_segment_fixed_size: 0
    .sgpr_count:     6
    .sgpr_spill_count: 0
    .symbol:         _ZN7rocprim17ROCPRIM_400000_NS6detail17trampoline_kernelINS0_14default_configENS1_25partition_config_selectorILNS1_17partition_subalgoE3EyNS0_10empty_typeEbEEZZNS1_14partition_implILS5_3ELb0ES3_jN6thrust23THRUST_200600_302600_NS6detail15normal_iteratorINSA_7pointerIyNSA_11hip_rocprim3tagENSA_11use_defaultESG_EEEEPS6_SJ_NS0_5tupleIJPySJ_EEENSK_IJSJ_SJ_EEES6_PlJ7is_evenIyEEEE10hipError_tPvRmT3_T4_T5_T6_T7_T9_mT8_P12ihipStream_tbDpT10_ENKUlT_T0_E_clISt17integral_constantIbLb0EES1A_EEDaS15_S16_EUlS15_E_NS1_11comp_targetILNS1_3genE4ELNS1_11target_archE910ELNS1_3gpuE8ELNS1_3repE0EEENS1_30default_config_static_selectorELNS0_4arch9wavefront6targetE1EEEvT1_.kd
    .uniform_work_group_size: 1
    .uses_dynamic_stack: false
    .vgpr_count:     0
    .vgpr_spill_count: 0
    .wavefront_size: 64
  - .agpr_count:     0
    .args:
      - .offset:         0
        .size:           120
        .value_kind:     by_value
    .group_segment_fixed_size: 0
    .kernarg_segment_align: 8
    .kernarg_segment_size: 120
    .language:       OpenCL C
    .language_version:
      - 2
      - 0
    .max_flat_workgroup_size: 192
    .name:           _ZN7rocprim17ROCPRIM_400000_NS6detail17trampoline_kernelINS0_14default_configENS1_25partition_config_selectorILNS1_17partition_subalgoE3EyNS0_10empty_typeEbEEZZNS1_14partition_implILS5_3ELb0ES3_jN6thrust23THRUST_200600_302600_NS6detail15normal_iteratorINSA_7pointerIyNSA_11hip_rocprim3tagENSA_11use_defaultESG_EEEEPS6_SJ_NS0_5tupleIJPySJ_EEENSK_IJSJ_SJ_EEES6_PlJ7is_evenIyEEEE10hipError_tPvRmT3_T4_T5_T6_T7_T9_mT8_P12ihipStream_tbDpT10_ENKUlT_T0_E_clISt17integral_constantIbLb0EES1A_EEDaS15_S16_EUlS15_E_NS1_11comp_targetILNS1_3genE3ELNS1_11target_archE908ELNS1_3gpuE7ELNS1_3repE0EEENS1_30default_config_static_selectorELNS0_4arch9wavefront6targetE1EEEvT1_
    .private_segment_fixed_size: 0
    .sgpr_count:     6
    .sgpr_spill_count: 0
    .symbol:         _ZN7rocprim17ROCPRIM_400000_NS6detail17trampoline_kernelINS0_14default_configENS1_25partition_config_selectorILNS1_17partition_subalgoE3EyNS0_10empty_typeEbEEZZNS1_14partition_implILS5_3ELb0ES3_jN6thrust23THRUST_200600_302600_NS6detail15normal_iteratorINSA_7pointerIyNSA_11hip_rocprim3tagENSA_11use_defaultESG_EEEEPS6_SJ_NS0_5tupleIJPySJ_EEENSK_IJSJ_SJ_EEES6_PlJ7is_evenIyEEEE10hipError_tPvRmT3_T4_T5_T6_T7_T9_mT8_P12ihipStream_tbDpT10_ENKUlT_T0_E_clISt17integral_constantIbLb0EES1A_EEDaS15_S16_EUlS15_E_NS1_11comp_targetILNS1_3genE3ELNS1_11target_archE908ELNS1_3gpuE7ELNS1_3repE0EEENS1_30default_config_static_selectorELNS0_4arch9wavefront6targetE1EEEvT1_.kd
    .uniform_work_group_size: 1
    .uses_dynamic_stack: false
    .vgpr_count:     0
    .vgpr_spill_count: 0
    .wavefront_size: 64
  - .agpr_count:     0
    .args:
      - .offset:         0
        .size:           120
        .value_kind:     by_value
    .group_segment_fixed_size: 0
    .kernarg_segment_align: 8
    .kernarg_segment_size: 120
    .language:       OpenCL C
    .language_version:
      - 2
      - 0
    .max_flat_workgroup_size: 256
    .name:           _ZN7rocprim17ROCPRIM_400000_NS6detail17trampoline_kernelINS0_14default_configENS1_25partition_config_selectorILNS1_17partition_subalgoE3EyNS0_10empty_typeEbEEZZNS1_14partition_implILS5_3ELb0ES3_jN6thrust23THRUST_200600_302600_NS6detail15normal_iteratorINSA_7pointerIyNSA_11hip_rocprim3tagENSA_11use_defaultESG_EEEEPS6_SJ_NS0_5tupleIJPySJ_EEENSK_IJSJ_SJ_EEES6_PlJ7is_evenIyEEEE10hipError_tPvRmT3_T4_T5_T6_T7_T9_mT8_P12ihipStream_tbDpT10_ENKUlT_T0_E_clISt17integral_constantIbLb0EES1A_EEDaS15_S16_EUlS15_E_NS1_11comp_targetILNS1_3genE2ELNS1_11target_archE906ELNS1_3gpuE6ELNS1_3repE0EEENS1_30default_config_static_selectorELNS0_4arch9wavefront6targetE1EEEvT1_
    .private_segment_fixed_size: 0
    .sgpr_count:     6
    .sgpr_spill_count: 0
    .symbol:         _ZN7rocprim17ROCPRIM_400000_NS6detail17trampoline_kernelINS0_14default_configENS1_25partition_config_selectorILNS1_17partition_subalgoE3EyNS0_10empty_typeEbEEZZNS1_14partition_implILS5_3ELb0ES3_jN6thrust23THRUST_200600_302600_NS6detail15normal_iteratorINSA_7pointerIyNSA_11hip_rocprim3tagENSA_11use_defaultESG_EEEEPS6_SJ_NS0_5tupleIJPySJ_EEENSK_IJSJ_SJ_EEES6_PlJ7is_evenIyEEEE10hipError_tPvRmT3_T4_T5_T6_T7_T9_mT8_P12ihipStream_tbDpT10_ENKUlT_T0_E_clISt17integral_constantIbLb0EES1A_EEDaS15_S16_EUlS15_E_NS1_11comp_targetILNS1_3genE2ELNS1_11target_archE906ELNS1_3gpuE6ELNS1_3repE0EEENS1_30default_config_static_selectorELNS0_4arch9wavefront6targetE1EEEvT1_.kd
    .uniform_work_group_size: 1
    .uses_dynamic_stack: false
    .vgpr_count:     0
    .vgpr_spill_count: 0
    .wavefront_size: 64
  - .agpr_count:     0
    .args:
      - .offset:         0
        .size:           120
        .value_kind:     by_value
    .group_segment_fixed_size: 0
    .kernarg_segment_align: 8
    .kernarg_segment_size: 120
    .language:       OpenCL C
    .language_version:
      - 2
      - 0
    .max_flat_workgroup_size: 512
    .name:           _ZN7rocprim17ROCPRIM_400000_NS6detail17trampoline_kernelINS0_14default_configENS1_25partition_config_selectorILNS1_17partition_subalgoE3EyNS0_10empty_typeEbEEZZNS1_14partition_implILS5_3ELb0ES3_jN6thrust23THRUST_200600_302600_NS6detail15normal_iteratorINSA_7pointerIyNSA_11hip_rocprim3tagENSA_11use_defaultESG_EEEEPS6_SJ_NS0_5tupleIJPySJ_EEENSK_IJSJ_SJ_EEES6_PlJ7is_evenIyEEEE10hipError_tPvRmT3_T4_T5_T6_T7_T9_mT8_P12ihipStream_tbDpT10_ENKUlT_T0_E_clISt17integral_constantIbLb0EES1A_EEDaS15_S16_EUlS15_E_NS1_11comp_targetILNS1_3genE10ELNS1_11target_archE1200ELNS1_3gpuE4ELNS1_3repE0EEENS1_30default_config_static_selectorELNS0_4arch9wavefront6targetE1EEEvT1_
    .private_segment_fixed_size: 0
    .sgpr_count:     6
    .sgpr_spill_count: 0
    .symbol:         _ZN7rocprim17ROCPRIM_400000_NS6detail17trampoline_kernelINS0_14default_configENS1_25partition_config_selectorILNS1_17partition_subalgoE3EyNS0_10empty_typeEbEEZZNS1_14partition_implILS5_3ELb0ES3_jN6thrust23THRUST_200600_302600_NS6detail15normal_iteratorINSA_7pointerIyNSA_11hip_rocprim3tagENSA_11use_defaultESG_EEEEPS6_SJ_NS0_5tupleIJPySJ_EEENSK_IJSJ_SJ_EEES6_PlJ7is_evenIyEEEE10hipError_tPvRmT3_T4_T5_T6_T7_T9_mT8_P12ihipStream_tbDpT10_ENKUlT_T0_E_clISt17integral_constantIbLb0EES1A_EEDaS15_S16_EUlS15_E_NS1_11comp_targetILNS1_3genE10ELNS1_11target_archE1200ELNS1_3gpuE4ELNS1_3repE0EEENS1_30default_config_static_selectorELNS0_4arch9wavefront6targetE1EEEvT1_.kd
    .uniform_work_group_size: 1
    .uses_dynamic_stack: false
    .vgpr_count:     0
    .vgpr_spill_count: 0
    .wavefront_size: 64
  - .agpr_count:     0
    .args:
      - .offset:         0
        .size:           120
        .value_kind:     by_value
    .group_segment_fixed_size: 0
    .kernarg_segment_align: 8
    .kernarg_segment_size: 120
    .language:       OpenCL C
    .language_version:
      - 2
      - 0
    .max_flat_workgroup_size: 512
    .name:           _ZN7rocprim17ROCPRIM_400000_NS6detail17trampoline_kernelINS0_14default_configENS1_25partition_config_selectorILNS1_17partition_subalgoE3EyNS0_10empty_typeEbEEZZNS1_14partition_implILS5_3ELb0ES3_jN6thrust23THRUST_200600_302600_NS6detail15normal_iteratorINSA_7pointerIyNSA_11hip_rocprim3tagENSA_11use_defaultESG_EEEEPS6_SJ_NS0_5tupleIJPySJ_EEENSK_IJSJ_SJ_EEES6_PlJ7is_evenIyEEEE10hipError_tPvRmT3_T4_T5_T6_T7_T9_mT8_P12ihipStream_tbDpT10_ENKUlT_T0_E_clISt17integral_constantIbLb0EES1A_EEDaS15_S16_EUlS15_E_NS1_11comp_targetILNS1_3genE9ELNS1_11target_archE1100ELNS1_3gpuE3ELNS1_3repE0EEENS1_30default_config_static_selectorELNS0_4arch9wavefront6targetE1EEEvT1_
    .private_segment_fixed_size: 0
    .sgpr_count:     6
    .sgpr_spill_count: 0
    .symbol:         _ZN7rocprim17ROCPRIM_400000_NS6detail17trampoline_kernelINS0_14default_configENS1_25partition_config_selectorILNS1_17partition_subalgoE3EyNS0_10empty_typeEbEEZZNS1_14partition_implILS5_3ELb0ES3_jN6thrust23THRUST_200600_302600_NS6detail15normal_iteratorINSA_7pointerIyNSA_11hip_rocprim3tagENSA_11use_defaultESG_EEEEPS6_SJ_NS0_5tupleIJPySJ_EEENSK_IJSJ_SJ_EEES6_PlJ7is_evenIyEEEE10hipError_tPvRmT3_T4_T5_T6_T7_T9_mT8_P12ihipStream_tbDpT10_ENKUlT_T0_E_clISt17integral_constantIbLb0EES1A_EEDaS15_S16_EUlS15_E_NS1_11comp_targetILNS1_3genE9ELNS1_11target_archE1100ELNS1_3gpuE3ELNS1_3repE0EEENS1_30default_config_static_selectorELNS0_4arch9wavefront6targetE1EEEvT1_.kd
    .uniform_work_group_size: 1
    .uses_dynamic_stack: false
    .vgpr_count:     0
    .vgpr_spill_count: 0
    .wavefront_size: 64
  - .agpr_count:     0
    .args:
      - .offset:         0
        .size:           120
        .value_kind:     by_value
    .group_segment_fixed_size: 0
    .kernarg_segment_align: 8
    .kernarg_segment_size: 120
    .language:       OpenCL C
    .language_version:
      - 2
      - 0
    .max_flat_workgroup_size: 512
    .name:           _ZN7rocprim17ROCPRIM_400000_NS6detail17trampoline_kernelINS0_14default_configENS1_25partition_config_selectorILNS1_17partition_subalgoE3EyNS0_10empty_typeEbEEZZNS1_14partition_implILS5_3ELb0ES3_jN6thrust23THRUST_200600_302600_NS6detail15normal_iteratorINSA_7pointerIyNSA_11hip_rocprim3tagENSA_11use_defaultESG_EEEEPS6_SJ_NS0_5tupleIJPySJ_EEENSK_IJSJ_SJ_EEES6_PlJ7is_evenIyEEEE10hipError_tPvRmT3_T4_T5_T6_T7_T9_mT8_P12ihipStream_tbDpT10_ENKUlT_T0_E_clISt17integral_constantIbLb0EES1A_EEDaS15_S16_EUlS15_E_NS1_11comp_targetILNS1_3genE8ELNS1_11target_archE1030ELNS1_3gpuE2ELNS1_3repE0EEENS1_30default_config_static_selectorELNS0_4arch9wavefront6targetE1EEEvT1_
    .private_segment_fixed_size: 0
    .sgpr_count:     6
    .sgpr_spill_count: 0
    .symbol:         _ZN7rocprim17ROCPRIM_400000_NS6detail17trampoline_kernelINS0_14default_configENS1_25partition_config_selectorILNS1_17partition_subalgoE3EyNS0_10empty_typeEbEEZZNS1_14partition_implILS5_3ELb0ES3_jN6thrust23THRUST_200600_302600_NS6detail15normal_iteratorINSA_7pointerIyNSA_11hip_rocprim3tagENSA_11use_defaultESG_EEEEPS6_SJ_NS0_5tupleIJPySJ_EEENSK_IJSJ_SJ_EEES6_PlJ7is_evenIyEEEE10hipError_tPvRmT3_T4_T5_T6_T7_T9_mT8_P12ihipStream_tbDpT10_ENKUlT_T0_E_clISt17integral_constantIbLb0EES1A_EEDaS15_S16_EUlS15_E_NS1_11comp_targetILNS1_3genE8ELNS1_11target_archE1030ELNS1_3gpuE2ELNS1_3repE0EEENS1_30default_config_static_selectorELNS0_4arch9wavefront6targetE1EEEvT1_.kd
    .uniform_work_group_size: 1
    .uses_dynamic_stack: false
    .vgpr_count:     0
    .vgpr_spill_count: 0
    .wavefront_size: 64
  - .agpr_count:     0
    .args:
      - .offset:         0
        .size:           136
        .value_kind:     by_value
    .group_segment_fixed_size: 0
    .kernarg_segment_align: 8
    .kernarg_segment_size: 136
    .language:       OpenCL C
    .language_version:
      - 2
      - 0
    .max_flat_workgroup_size: 192
    .name:           _ZN7rocprim17ROCPRIM_400000_NS6detail17trampoline_kernelINS0_14default_configENS1_25partition_config_selectorILNS1_17partition_subalgoE3EyNS0_10empty_typeEbEEZZNS1_14partition_implILS5_3ELb0ES3_jN6thrust23THRUST_200600_302600_NS6detail15normal_iteratorINSA_7pointerIyNSA_11hip_rocprim3tagENSA_11use_defaultESG_EEEEPS6_SJ_NS0_5tupleIJPySJ_EEENSK_IJSJ_SJ_EEES6_PlJ7is_evenIyEEEE10hipError_tPvRmT3_T4_T5_T6_T7_T9_mT8_P12ihipStream_tbDpT10_ENKUlT_T0_E_clISt17integral_constantIbLb1EES1A_EEDaS15_S16_EUlS15_E_NS1_11comp_targetILNS1_3genE0ELNS1_11target_archE4294967295ELNS1_3gpuE0ELNS1_3repE0EEENS1_30default_config_static_selectorELNS0_4arch9wavefront6targetE1EEEvT1_
    .private_segment_fixed_size: 0
    .sgpr_count:     6
    .sgpr_spill_count: 0
    .symbol:         _ZN7rocprim17ROCPRIM_400000_NS6detail17trampoline_kernelINS0_14default_configENS1_25partition_config_selectorILNS1_17partition_subalgoE3EyNS0_10empty_typeEbEEZZNS1_14partition_implILS5_3ELb0ES3_jN6thrust23THRUST_200600_302600_NS6detail15normal_iteratorINSA_7pointerIyNSA_11hip_rocprim3tagENSA_11use_defaultESG_EEEEPS6_SJ_NS0_5tupleIJPySJ_EEENSK_IJSJ_SJ_EEES6_PlJ7is_evenIyEEEE10hipError_tPvRmT3_T4_T5_T6_T7_T9_mT8_P12ihipStream_tbDpT10_ENKUlT_T0_E_clISt17integral_constantIbLb1EES1A_EEDaS15_S16_EUlS15_E_NS1_11comp_targetILNS1_3genE0ELNS1_11target_archE4294967295ELNS1_3gpuE0ELNS1_3repE0EEENS1_30default_config_static_selectorELNS0_4arch9wavefront6targetE1EEEvT1_.kd
    .uniform_work_group_size: 1
    .uses_dynamic_stack: false
    .vgpr_count:     0
    .vgpr_spill_count: 0
    .wavefront_size: 64
  - .agpr_count:     0
    .args:
      - .offset:         0
        .size:           136
        .value_kind:     by_value
    .group_segment_fixed_size: 28680
    .kernarg_segment_align: 8
    .kernarg_segment_size: 136
    .language:       OpenCL C
    .language_version:
      - 2
      - 0
    .max_flat_workgroup_size: 512
    .name:           _ZN7rocprim17ROCPRIM_400000_NS6detail17trampoline_kernelINS0_14default_configENS1_25partition_config_selectorILNS1_17partition_subalgoE3EyNS0_10empty_typeEbEEZZNS1_14partition_implILS5_3ELb0ES3_jN6thrust23THRUST_200600_302600_NS6detail15normal_iteratorINSA_7pointerIyNSA_11hip_rocprim3tagENSA_11use_defaultESG_EEEEPS6_SJ_NS0_5tupleIJPySJ_EEENSK_IJSJ_SJ_EEES6_PlJ7is_evenIyEEEE10hipError_tPvRmT3_T4_T5_T6_T7_T9_mT8_P12ihipStream_tbDpT10_ENKUlT_T0_E_clISt17integral_constantIbLb1EES1A_EEDaS15_S16_EUlS15_E_NS1_11comp_targetILNS1_3genE5ELNS1_11target_archE942ELNS1_3gpuE9ELNS1_3repE0EEENS1_30default_config_static_selectorELNS0_4arch9wavefront6targetE1EEEvT1_
    .private_segment_fixed_size: 0
    .sgpr_count:     50
    .sgpr_spill_count: 0
    .symbol:         _ZN7rocprim17ROCPRIM_400000_NS6detail17trampoline_kernelINS0_14default_configENS1_25partition_config_selectorILNS1_17partition_subalgoE3EyNS0_10empty_typeEbEEZZNS1_14partition_implILS5_3ELb0ES3_jN6thrust23THRUST_200600_302600_NS6detail15normal_iteratorINSA_7pointerIyNSA_11hip_rocprim3tagENSA_11use_defaultESG_EEEEPS6_SJ_NS0_5tupleIJPySJ_EEENSK_IJSJ_SJ_EEES6_PlJ7is_evenIyEEEE10hipError_tPvRmT3_T4_T5_T6_T7_T9_mT8_P12ihipStream_tbDpT10_ENKUlT_T0_E_clISt17integral_constantIbLb1EES1A_EEDaS15_S16_EUlS15_E_NS1_11comp_targetILNS1_3genE5ELNS1_11target_archE942ELNS1_3gpuE9ELNS1_3repE0EEENS1_30default_config_static_selectorELNS0_4arch9wavefront6targetE1EEEvT1_.kd
    .uniform_work_group_size: 1
    .uses_dynamic_stack: false
    .vgpr_count:     61
    .vgpr_spill_count: 0
    .wavefront_size: 64
  - .agpr_count:     0
    .args:
      - .offset:         0
        .size:           136
        .value_kind:     by_value
    .group_segment_fixed_size: 0
    .kernarg_segment_align: 8
    .kernarg_segment_size: 136
    .language:       OpenCL C
    .language_version:
      - 2
      - 0
    .max_flat_workgroup_size: 192
    .name:           _ZN7rocprim17ROCPRIM_400000_NS6detail17trampoline_kernelINS0_14default_configENS1_25partition_config_selectorILNS1_17partition_subalgoE3EyNS0_10empty_typeEbEEZZNS1_14partition_implILS5_3ELb0ES3_jN6thrust23THRUST_200600_302600_NS6detail15normal_iteratorINSA_7pointerIyNSA_11hip_rocprim3tagENSA_11use_defaultESG_EEEEPS6_SJ_NS0_5tupleIJPySJ_EEENSK_IJSJ_SJ_EEES6_PlJ7is_evenIyEEEE10hipError_tPvRmT3_T4_T5_T6_T7_T9_mT8_P12ihipStream_tbDpT10_ENKUlT_T0_E_clISt17integral_constantIbLb1EES1A_EEDaS15_S16_EUlS15_E_NS1_11comp_targetILNS1_3genE4ELNS1_11target_archE910ELNS1_3gpuE8ELNS1_3repE0EEENS1_30default_config_static_selectorELNS0_4arch9wavefront6targetE1EEEvT1_
    .private_segment_fixed_size: 0
    .sgpr_count:     6
    .sgpr_spill_count: 0
    .symbol:         _ZN7rocprim17ROCPRIM_400000_NS6detail17trampoline_kernelINS0_14default_configENS1_25partition_config_selectorILNS1_17partition_subalgoE3EyNS0_10empty_typeEbEEZZNS1_14partition_implILS5_3ELb0ES3_jN6thrust23THRUST_200600_302600_NS6detail15normal_iteratorINSA_7pointerIyNSA_11hip_rocprim3tagENSA_11use_defaultESG_EEEEPS6_SJ_NS0_5tupleIJPySJ_EEENSK_IJSJ_SJ_EEES6_PlJ7is_evenIyEEEE10hipError_tPvRmT3_T4_T5_T6_T7_T9_mT8_P12ihipStream_tbDpT10_ENKUlT_T0_E_clISt17integral_constantIbLb1EES1A_EEDaS15_S16_EUlS15_E_NS1_11comp_targetILNS1_3genE4ELNS1_11target_archE910ELNS1_3gpuE8ELNS1_3repE0EEENS1_30default_config_static_selectorELNS0_4arch9wavefront6targetE1EEEvT1_.kd
    .uniform_work_group_size: 1
    .uses_dynamic_stack: false
    .vgpr_count:     0
    .vgpr_spill_count: 0
    .wavefront_size: 64
  - .agpr_count:     0
    .args:
      - .offset:         0
        .size:           136
        .value_kind:     by_value
    .group_segment_fixed_size: 0
    .kernarg_segment_align: 8
    .kernarg_segment_size: 136
    .language:       OpenCL C
    .language_version:
      - 2
      - 0
    .max_flat_workgroup_size: 192
    .name:           _ZN7rocprim17ROCPRIM_400000_NS6detail17trampoline_kernelINS0_14default_configENS1_25partition_config_selectorILNS1_17partition_subalgoE3EyNS0_10empty_typeEbEEZZNS1_14partition_implILS5_3ELb0ES3_jN6thrust23THRUST_200600_302600_NS6detail15normal_iteratorINSA_7pointerIyNSA_11hip_rocprim3tagENSA_11use_defaultESG_EEEEPS6_SJ_NS0_5tupleIJPySJ_EEENSK_IJSJ_SJ_EEES6_PlJ7is_evenIyEEEE10hipError_tPvRmT3_T4_T5_T6_T7_T9_mT8_P12ihipStream_tbDpT10_ENKUlT_T0_E_clISt17integral_constantIbLb1EES1A_EEDaS15_S16_EUlS15_E_NS1_11comp_targetILNS1_3genE3ELNS1_11target_archE908ELNS1_3gpuE7ELNS1_3repE0EEENS1_30default_config_static_selectorELNS0_4arch9wavefront6targetE1EEEvT1_
    .private_segment_fixed_size: 0
    .sgpr_count:     6
    .sgpr_spill_count: 0
    .symbol:         _ZN7rocprim17ROCPRIM_400000_NS6detail17trampoline_kernelINS0_14default_configENS1_25partition_config_selectorILNS1_17partition_subalgoE3EyNS0_10empty_typeEbEEZZNS1_14partition_implILS5_3ELb0ES3_jN6thrust23THRUST_200600_302600_NS6detail15normal_iteratorINSA_7pointerIyNSA_11hip_rocprim3tagENSA_11use_defaultESG_EEEEPS6_SJ_NS0_5tupleIJPySJ_EEENSK_IJSJ_SJ_EEES6_PlJ7is_evenIyEEEE10hipError_tPvRmT3_T4_T5_T6_T7_T9_mT8_P12ihipStream_tbDpT10_ENKUlT_T0_E_clISt17integral_constantIbLb1EES1A_EEDaS15_S16_EUlS15_E_NS1_11comp_targetILNS1_3genE3ELNS1_11target_archE908ELNS1_3gpuE7ELNS1_3repE0EEENS1_30default_config_static_selectorELNS0_4arch9wavefront6targetE1EEEvT1_.kd
    .uniform_work_group_size: 1
    .uses_dynamic_stack: false
    .vgpr_count:     0
    .vgpr_spill_count: 0
    .wavefront_size: 64
  - .agpr_count:     0
    .args:
      - .offset:         0
        .size:           136
        .value_kind:     by_value
    .group_segment_fixed_size: 0
    .kernarg_segment_align: 8
    .kernarg_segment_size: 136
    .language:       OpenCL C
    .language_version:
      - 2
      - 0
    .max_flat_workgroup_size: 256
    .name:           _ZN7rocprim17ROCPRIM_400000_NS6detail17trampoline_kernelINS0_14default_configENS1_25partition_config_selectorILNS1_17partition_subalgoE3EyNS0_10empty_typeEbEEZZNS1_14partition_implILS5_3ELb0ES3_jN6thrust23THRUST_200600_302600_NS6detail15normal_iteratorINSA_7pointerIyNSA_11hip_rocprim3tagENSA_11use_defaultESG_EEEEPS6_SJ_NS0_5tupleIJPySJ_EEENSK_IJSJ_SJ_EEES6_PlJ7is_evenIyEEEE10hipError_tPvRmT3_T4_T5_T6_T7_T9_mT8_P12ihipStream_tbDpT10_ENKUlT_T0_E_clISt17integral_constantIbLb1EES1A_EEDaS15_S16_EUlS15_E_NS1_11comp_targetILNS1_3genE2ELNS1_11target_archE906ELNS1_3gpuE6ELNS1_3repE0EEENS1_30default_config_static_selectorELNS0_4arch9wavefront6targetE1EEEvT1_
    .private_segment_fixed_size: 0
    .sgpr_count:     6
    .sgpr_spill_count: 0
    .symbol:         _ZN7rocprim17ROCPRIM_400000_NS6detail17trampoline_kernelINS0_14default_configENS1_25partition_config_selectorILNS1_17partition_subalgoE3EyNS0_10empty_typeEbEEZZNS1_14partition_implILS5_3ELb0ES3_jN6thrust23THRUST_200600_302600_NS6detail15normal_iteratorINSA_7pointerIyNSA_11hip_rocprim3tagENSA_11use_defaultESG_EEEEPS6_SJ_NS0_5tupleIJPySJ_EEENSK_IJSJ_SJ_EEES6_PlJ7is_evenIyEEEE10hipError_tPvRmT3_T4_T5_T6_T7_T9_mT8_P12ihipStream_tbDpT10_ENKUlT_T0_E_clISt17integral_constantIbLb1EES1A_EEDaS15_S16_EUlS15_E_NS1_11comp_targetILNS1_3genE2ELNS1_11target_archE906ELNS1_3gpuE6ELNS1_3repE0EEENS1_30default_config_static_selectorELNS0_4arch9wavefront6targetE1EEEvT1_.kd
    .uniform_work_group_size: 1
    .uses_dynamic_stack: false
    .vgpr_count:     0
    .vgpr_spill_count: 0
    .wavefront_size: 64
  - .agpr_count:     0
    .args:
      - .offset:         0
        .size:           136
        .value_kind:     by_value
    .group_segment_fixed_size: 0
    .kernarg_segment_align: 8
    .kernarg_segment_size: 136
    .language:       OpenCL C
    .language_version:
      - 2
      - 0
    .max_flat_workgroup_size: 512
    .name:           _ZN7rocprim17ROCPRIM_400000_NS6detail17trampoline_kernelINS0_14default_configENS1_25partition_config_selectorILNS1_17partition_subalgoE3EyNS0_10empty_typeEbEEZZNS1_14partition_implILS5_3ELb0ES3_jN6thrust23THRUST_200600_302600_NS6detail15normal_iteratorINSA_7pointerIyNSA_11hip_rocprim3tagENSA_11use_defaultESG_EEEEPS6_SJ_NS0_5tupleIJPySJ_EEENSK_IJSJ_SJ_EEES6_PlJ7is_evenIyEEEE10hipError_tPvRmT3_T4_T5_T6_T7_T9_mT8_P12ihipStream_tbDpT10_ENKUlT_T0_E_clISt17integral_constantIbLb1EES1A_EEDaS15_S16_EUlS15_E_NS1_11comp_targetILNS1_3genE10ELNS1_11target_archE1200ELNS1_3gpuE4ELNS1_3repE0EEENS1_30default_config_static_selectorELNS0_4arch9wavefront6targetE1EEEvT1_
    .private_segment_fixed_size: 0
    .sgpr_count:     6
    .sgpr_spill_count: 0
    .symbol:         _ZN7rocprim17ROCPRIM_400000_NS6detail17trampoline_kernelINS0_14default_configENS1_25partition_config_selectorILNS1_17partition_subalgoE3EyNS0_10empty_typeEbEEZZNS1_14partition_implILS5_3ELb0ES3_jN6thrust23THRUST_200600_302600_NS6detail15normal_iteratorINSA_7pointerIyNSA_11hip_rocprim3tagENSA_11use_defaultESG_EEEEPS6_SJ_NS0_5tupleIJPySJ_EEENSK_IJSJ_SJ_EEES6_PlJ7is_evenIyEEEE10hipError_tPvRmT3_T4_T5_T6_T7_T9_mT8_P12ihipStream_tbDpT10_ENKUlT_T0_E_clISt17integral_constantIbLb1EES1A_EEDaS15_S16_EUlS15_E_NS1_11comp_targetILNS1_3genE10ELNS1_11target_archE1200ELNS1_3gpuE4ELNS1_3repE0EEENS1_30default_config_static_selectorELNS0_4arch9wavefront6targetE1EEEvT1_.kd
    .uniform_work_group_size: 1
    .uses_dynamic_stack: false
    .vgpr_count:     0
    .vgpr_spill_count: 0
    .wavefront_size: 64
  - .agpr_count:     0
    .args:
      - .offset:         0
        .size:           136
        .value_kind:     by_value
    .group_segment_fixed_size: 0
    .kernarg_segment_align: 8
    .kernarg_segment_size: 136
    .language:       OpenCL C
    .language_version:
      - 2
      - 0
    .max_flat_workgroup_size: 512
    .name:           _ZN7rocprim17ROCPRIM_400000_NS6detail17trampoline_kernelINS0_14default_configENS1_25partition_config_selectorILNS1_17partition_subalgoE3EyNS0_10empty_typeEbEEZZNS1_14partition_implILS5_3ELb0ES3_jN6thrust23THRUST_200600_302600_NS6detail15normal_iteratorINSA_7pointerIyNSA_11hip_rocprim3tagENSA_11use_defaultESG_EEEEPS6_SJ_NS0_5tupleIJPySJ_EEENSK_IJSJ_SJ_EEES6_PlJ7is_evenIyEEEE10hipError_tPvRmT3_T4_T5_T6_T7_T9_mT8_P12ihipStream_tbDpT10_ENKUlT_T0_E_clISt17integral_constantIbLb1EES1A_EEDaS15_S16_EUlS15_E_NS1_11comp_targetILNS1_3genE9ELNS1_11target_archE1100ELNS1_3gpuE3ELNS1_3repE0EEENS1_30default_config_static_selectorELNS0_4arch9wavefront6targetE1EEEvT1_
    .private_segment_fixed_size: 0
    .sgpr_count:     6
    .sgpr_spill_count: 0
    .symbol:         _ZN7rocprim17ROCPRIM_400000_NS6detail17trampoline_kernelINS0_14default_configENS1_25partition_config_selectorILNS1_17partition_subalgoE3EyNS0_10empty_typeEbEEZZNS1_14partition_implILS5_3ELb0ES3_jN6thrust23THRUST_200600_302600_NS6detail15normal_iteratorINSA_7pointerIyNSA_11hip_rocprim3tagENSA_11use_defaultESG_EEEEPS6_SJ_NS0_5tupleIJPySJ_EEENSK_IJSJ_SJ_EEES6_PlJ7is_evenIyEEEE10hipError_tPvRmT3_T4_T5_T6_T7_T9_mT8_P12ihipStream_tbDpT10_ENKUlT_T0_E_clISt17integral_constantIbLb1EES1A_EEDaS15_S16_EUlS15_E_NS1_11comp_targetILNS1_3genE9ELNS1_11target_archE1100ELNS1_3gpuE3ELNS1_3repE0EEENS1_30default_config_static_selectorELNS0_4arch9wavefront6targetE1EEEvT1_.kd
    .uniform_work_group_size: 1
    .uses_dynamic_stack: false
    .vgpr_count:     0
    .vgpr_spill_count: 0
    .wavefront_size: 64
  - .agpr_count:     0
    .args:
      - .offset:         0
        .size:           136
        .value_kind:     by_value
    .group_segment_fixed_size: 0
    .kernarg_segment_align: 8
    .kernarg_segment_size: 136
    .language:       OpenCL C
    .language_version:
      - 2
      - 0
    .max_flat_workgroup_size: 512
    .name:           _ZN7rocprim17ROCPRIM_400000_NS6detail17trampoline_kernelINS0_14default_configENS1_25partition_config_selectorILNS1_17partition_subalgoE3EyNS0_10empty_typeEbEEZZNS1_14partition_implILS5_3ELb0ES3_jN6thrust23THRUST_200600_302600_NS6detail15normal_iteratorINSA_7pointerIyNSA_11hip_rocprim3tagENSA_11use_defaultESG_EEEEPS6_SJ_NS0_5tupleIJPySJ_EEENSK_IJSJ_SJ_EEES6_PlJ7is_evenIyEEEE10hipError_tPvRmT3_T4_T5_T6_T7_T9_mT8_P12ihipStream_tbDpT10_ENKUlT_T0_E_clISt17integral_constantIbLb1EES1A_EEDaS15_S16_EUlS15_E_NS1_11comp_targetILNS1_3genE8ELNS1_11target_archE1030ELNS1_3gpuE2ELNS1_3repE0EEENS1_30default_config_static_selectorELNS0_4arch9wavefront6targetE1EEEvT1_
    .private_segment_fixed_size: 0
    .sgpr_count:     6
    .sgpr_spill_count: 0
    .symbol:         _ZN7rocprim17ROCPRIM_400000_NS6detail17trampoline_kernelINS0_14default_configENS1_25partition_config_selectorILNS1_17partition_subalgoE3EyNS0_10empty_typeEbEEZZNS1_14partition_implILS5_3ELb0ES3_jN6thrust23THRUST_200600_302600_NS6detail15normal_iteratorINSA_7pointerIyNSA_11hip_rocprim3tagENSA_11use_defaultESG_EEEEPS6_SJ_NS0_5tupleIJPySJ_EEENSK_IJSJ_SJ_EEES6_PlJ7is_evenIyEEEE10hipError_tPvRmT3_T4_T5_T6_T7_T9_mT8_P12ihipStream_tbDpT10_ENKUlT_T0_E_clISt17integral_constantIbLb1EES1A_EEDaS15_S16_EUlS15_E_NS1_11comp_targetILNS1_3genE8ELNS1_11target_archE1030ELNS1_3gpuE2ELNS1_3repE0EEENS1_30default_config_static_selectorELNS0_4arch9wavefront6targetE1EEEvT1_.kd
    .uniform_work_group_size: 1
    .uses_dynamic_stack: false
    .vgpr_count:     0
    .vgpr_spill_count: 0
    .wavefront_size: 64
  - .agpr_count:     0
    .args:
      - .offset:         0
        .size:           120
        .value_kind:     by_value
    .group_segment_fixed_size: 0
    .kernarg_segment_align: 8
    .kernarg_segment_size: 120
    .language:       OpenCL C
    .language_version:
      - 2
      - 0
    .max_flat_workgroup_size: 192
    .name:           _ZN7rocprim17ROCPRIM_400000_NS6detail17trampoline_kernelINS0_14default_configENS1_25partition_config_selectorILNS1_17partition_subalgoE3EyNS0_10empty_typeEbEEZZNS1_14partition_implILS5_3ELb0ES3_jN6thrust23THRUST_200600_302600_NS6detail15normal_iteratorINSA_7pointerIyNSA_11hip_rocprim3tagENSA_11use_defaultESG_EEEEPS6_SJ_NS0_5tupleIJPySJ_EEENSK_IJSJ_SJ_EEES6_PlJ7is_evenIyEEEE10hipError_tPvRmT3_T4_T5_T6_T7_T9_mT8_P12ihipStream_tbDpT10_ENKUlT_T0_E_clISt17integral_constantIbLb1EES19_IbLb0EEEEDaS15_S16_EUlS15_E_NS1_11comp_targetILNS1_3genE0ELNS1_11target_archE4294967295ELNS1_3gpuE0ELNS1_3repE0EEENS1_30default_config_static_selectorELNS0_4arch9wavefront6targetE1EEEvT1_
    .private_segment_fixed_size: 0
    .sgpr_count:     6
    .sgpr_spill_count: 0
    .symbol:         _ZN7rocprim17ROCPRIM_400000_NS6detail17trampoline_kernelINS0_14default_configENS1_25partition_config_selectorILNS1_17partition_subalgoE3EyNS0_10empty_typeEbEEZZNS1_14partition_implILS5_3ELb0ES3_jN6thrust23THRUST_200600_302600_NS6detail15normal_iteratorINSA_7pointerIyNSA_11hip_rocprim3tagENSA_11use_defaultESG_EEEEPS6_SJ_NS0_5tupleIJPySJ_EEENSK_IJSJ_SJ_EEES6_PlJ7is_evenIyEEEE10hipError_tPvRmT3_T4_T5_T6_T7_T9_mT8_P12ihipStream_tbDpT10_ENKUlT_T0_E_clISt17integral_constantIbLb1EES19_IbLb0EEEEDaS15_S16_EUlS15_E_NS1_11comp_targetILNS1_3genE0ELNS1_11target_archE4294967295ELNS1_3gpuE0ELNS1_3repE0EEENS1_30default_config_static_selectorELNS0_4arch9wavefront6targetE1EEEvT1_.kd
    .uniform_work_group_size: 1
    .uses_dynamic_stack: false
    .vgpr_count:     0
    .vgpr_spill_count: 0
    .wavefront_size: 64
  - .agpr_count:     0
    .args:
      - .offset:         0
        .size:           120
        .value_kind:     by_value
    .group_segment_fixed_size: 28680
    .kernarg_segment_align: 8
    .kernarg_segment_size: 120
    .language:       OpenCL C
    .language_version:
      - 2
      - 0
    .max_flat_workgroup_size: 512
    .name:           _ZN7rocprim17ROCPRIM_400000_NS6detail17trampoline_kernelINS0_14default_configENS1_25partition_config_selectorILNS1_17partition_subalgoE3EyNS0_10empty_typeEbEEZZNS1_14partition_implILS5_3ELb0ES3_jN6thrust23THRUST_200600_302600_NS6detail15normal_iteratorINSA_7pointerIyNSA_11hip_rocprim3tagENSA_11use_defaultESG_EEEEPS6_SJ_NS0_5tupleIJPySJ_EEENSK_IJSJ_SJ_EEES6_PlJ7is_evenIyEEEE10hipError_tPvRmT3_T4_T5_T6_T7_T9_mT8_P12ihipStream_tbDpT10_ENKUlT_T0_E_clISt17integral_constantIbLb1EES19_IbLb0EEEEDaS15_S16_EUlS15_E_NS1_11comp_targetILNS1_3genE5ELNS1_11target_archE942ELNS1_3gpuE9ELNS1_3repE0EEENS1_30default_config_static_selectorELNS0_4arch9wavefront6targetE1EEEvT1_
    .private_segment_fixed_size: 0
    .sgpr_count:     52
    .sgpr_spill_count: 0
    .symbol:         _ZN7rocprim17ROCPRIM_400000_NS6detail17trampoline_kernelINS0_14default_configENS1_25partition_config_selectorILNS1_17partition_subalgoE3EyNS0_10empty_typeEbEEZZNS1_14partition_implILS5_3ELb0ES3_jN6thrust23THRUST_200600_302600_NS6detail15normal_iteratorINSA_7pointerIyNSA_11hip_rocprim3tagENSA_11use_defaultESG_EEEEPS6_SJ_NS0_5tupleIJPySJ_EEENSK_IJSJ_SJ_EEES6_PlJ7is_evenIyEEEE10hipError_tPvRmT3_T4_T5_T6_T7_T9_mT8_P12ihipStream_tbDpT10_ENKUlT_T0_E_clISt17integral_constantIbLb1EES19_IbLb0EEEEDaS15_S16_EUlS15_E_NS1_11comp_targetILNS1_3genE5ELNS1_11target_archE942ELNS1_3gpuE9ELNS1_3repE0EEENS1_30default_config_static_selectorELNS0_4arch9wavefront6targetE1EEEvT1_.kd
    .uniform_work_group_size: 1
    .uses_dynamic_stack: false
    .vgpr_count:     57
    .vgpr_spill_count: 0
    .wavefront_size: 64
  - .agpr_count:     0
    .args:
      - .offset:         0
        .size:           120
        .value_kind:     by_value
    .group_segment_fixed_size: 0
    .kernarg_segment_align: 8
    .kernarg_segment_size: 120
    .language:       OpenCL C
    .language_version:
      - 2
      - 0
    .max_flat_workgroup_size: 192
    .name:           _ZN7rocprim17ROCPRIM_400000_NS6detail17trampoline_kernelINS0_14default_configENS1_25partition_config_selectorILNS1_17partition_subalgoE3EyNS0_10empty_typeEbEEZZNS1_14partition_implILS5_3ELb0ES3_jN6thrust23THRUST_200600_302600_NS6detail15normal_iteratorINSA_7pointerIyNSA_11hip_rocprim3tagENSA_11use_defaultESG_EEEEPS6_SJ_NS0_5tupleIJPySJ_EEENSK_IJSJ_SJ_EEES6_PlJ7is_evenIyEEEE10hipError_tPvRmT3_T4_T5_T6_T7_T9_mT8_P12ihipStream_tbDpT10_ENKUlT_T0_E_clISt17integral_constantIbLb1EES19_IbLb0EEEEDaS15_S16_EUlS15_E_NS1_11comp_targetILNS1_3genE4ELNS1_11target_archE910ELNS1_3gpuE8ELNS1_3repE0EEENS1_30default_config_static_selectorELNS0_4arch9wavefront6targetE1EEEvT1_
    .private_segment_fixed_size: 0
    .sgpr_count:     6
    .sgpr_spill_count: 0
    .symbol:         _ZN7rocprim17ROCPRIM_400000_NS6detail17trampoline_kernelINS0_14default_configENS1_25partition_config_selectorILNS1_17partition_subalgoE3EyNS0_10empty_typeEbEEZZNS1_14partition_implILS5_3ELb0ES3_jN6thrust23THRUST_200600_302600_NS6detail15normal_iteratorINSA_7pointerIyNSA_11hip_rocprim3tagENSA_11use_defaultESG_EEEEPS6_SJ_NS0_5tupleIJPySJ_EEENSK_IJSJ_SJ_EEES6_PlJ7is_evenIyEEEE10hipError_tPvRmT3_T4_T5_T6_T7_T9_mT8_P12ihipStream_tbDpT10_ENKUlT_T0_E_clISt17integral_constantIbLb1EES19_IbLb0EEEEDaS15_S16_EUlS15_E_NS1_11comp_targetILNS1_3genE4ELNS1_11target_archE910ELNS1_3gpuE8ELNS1_3repE0EEENS1_30default_config_static_selectorELNS0_4arch9wavefront6targetE1EEEvT1_.kd
    .uniform_work_group_size: 1
    .uses_dynamic_stack: false
    .vgpr_count:     0
    .vgpr_spill_count: 0
    .wavefront_size: 64
  - .agpr_count:     0
    .args:
      - .offset:         0
        .size:           120
        .value_kind:     by_value
    .group_segment_fixed_size: 0
    .kernarg_segment_align: 8
    .kernarg_segment_size: 120
    .language:       OpenCL C
    .language_version:
      - 2
      - 0
    .max_flat_workgroup_size: 192
    .name:           _ZN7rocprim17ROCPRIM_400000_NS6detail17trampoline_kernelINS0_14default_configENS1_25partition_config_selectorILNS1_17partition_subalgoE3EyNS0_10empty_typeEbEEZZNS1_14partition_implILS5_3ELb0ES3_jN6thrust23THRUST_200600_302600_NS6detail15normal_iteratorINSA_7pointerIyNSA_11hip_rocprim3tagENSA_11use_defaultESG_EEEEPS6_SJ_NS0_5tupleIJPySJ_EEENSK_IJSJ_SJ_EEES6_PlJ7is_evenIyEEEE10hipError_tPvRmT3_T4_T5_T6_T7_T9_mT8_P12ihipStream_tbDpT10_ENKUlT_T0_E_clISt17integral_constantIbLb1EES19_IbLb0EEEEDaS15_S16_EUlS15_E_NS1_11comp_targetILNS1_3genE3ELNS1_11target_archE908ELNS1_3gpuE7ELNS1_3repE0EEENS1_30default_config_static_selectorELNS0_4arch9wavefront6targetE1EEEvT1_
    .private_segment_fixed_size: 0
    .sgpr_count:     6
    .sgpr_spill_count: 0
    .symbol:         _ZN7rocprim17ROCPRIM_400000_NS6detail17trampoline_kernelINS0_14default_configENS1_25partition_config_selectorILNS1_17partition_subalgoE3EyNS0_10empty_typeEbEEZZNS1_14partition_implILS5_3ELb0ES3_jN6thrust23THRUST_200600_302600_NS6detail15normal_iteratorINSA_7pointerIyNSA_11hip_rocprim3tagENSA_11use_defaultESG_EEEEPS6_SJ_NS0_5tupleIJPySJ_EEENSK_IJSJ_SJ_EEES6_PlJ7is_evenIyEEEE10hipError_tPvRmT3_T4_T5_T6_T7_T9_mT8_P12ihipStream_tbDpT10_ENKUlT_T0_E_clISt17integral_constantIbLb1EES19_IbLb0EEEEDaS15_S16_EUlS15_E_NS1_11comp_targetILNS1_3genE3ELNS1_11target_archE908ELNS1_3gpuE7ELNS1_3repE0EEENS1_30default_config_static_selectorELNS0_4arch9wavefront6targetE1EEEvT1_.kd
    .uniform_work_group_size: 1
    .uses_dynamic_stack: false
    .vgpr_count:     0
    .vgpr_spill_count: 0
    .wavefront_size: 64
  - .agpr_count:     0
    .args:
      - .offset:         0
        .size:           120
        .value_kind:     by_value
    .group_segment_fixed_size: 0
    .kernarg_segment_align: 8
    .kernarg_segment_size: 120
    .language:       OpenCL C
    .language_version:
      - 2
      - 0
    .max_flat_workgroup_size: 256
    .name:           _ZN7rocprim17ROCPRIM_400000_NS6detail17trampoline_kernelINS0_14default_configENS1_25partition_config_selectorILNS1_17partition_subalgoE3EyNS0_10empty_typeEbEEZZNS1_14partition_implILS5_3ELb0ES3_jN6thrust23THRUST_200600_302600_NS6detail15normal_iteratorINSA_7pointerIyNSA_11hip_rocprim3tagENSA_11use_defaultESG_EEEEPS6_SJ_NS0_5tupleIJPySJ_EEENSK_IJSJ_SJ_EEES6_PlJ7is_evenIyEEEE10hipError_tPvRmT3_T4_T5_T6_T7_T9_mT8_P12ihipStream_tbDpT10_ENKUlT_T0_E_clISt17integral_constantIbLb1EES19_IbLb0EEEEDaS15_S16_EUlS15_E_NS1_11comp_targetILNS1_3genE2ELNS1_11target_archE906ELNS1_3gpuE6ELNS1_3repE0EEENS1_30default_config_static_selectorELNS0_4arch9wavefront6targetE1EEEvT1_
    .private_segment_fixed_size: 0
    .sgpr_count:     6
    .sgpr_spill_count: 0
    .symbol:         _ZN7rocprim17ROCPRIM_400000_NS6detail17trampoline_kernelINS0_14default_configENS1_25partition_config_selectorILNS1_17partition_subalgoE3EyNS0_10empty_typeEbEEZZNS1_14partition_implILS5_3ELb0ES3_jN6thrust23THRUST_200600_302600_NS6detail15normal_iteratorINSA_7pointerIyNSA_11hip_rocprim3tagENSA_11use_defaultESG_EEEEPS6_SJ_NS0_5tupleIJPySJ_EEENSK_IJSJ_SJ_EEES6_PlJ7is_evenIyEEEE10hipError_tPvRmT3_T4_T5_T6_T7_T9_mT8_P12ihipStream_tbDpT10_ENKUlT_T0_E_clISt17integral_constantIbLb1EES19_IbLb0EEEEDaS15_S16_EUlS15_E_NS1_11comp_targetILNS1_3genE2ELNS1_11target_archE906ELNS1_3gpuE6ELNS1_3repE0EEENS1_30default_config_static_selectorELNS0_4arch9wavefront6targetE1EEEvT1_.kd
    .uniform_work_group_size: 1
    .uses_dynamic_stack: false
    .vgpr_count:     0
    .vgpr_spill_count: 0
    .wavefront_size: 64
  - .agpr_count:     0
    .args:
      - .offset:         0
        .size:           120
        .value_kind:     by_value
    .group_segment_fixed_size: 0
    .kernarg_segment_align: 8
    .kernarg_segment_size: 120
    .language:       OpenCL C
    .language_version:
      - 2
      - 0
    .max_flat_workgroup_size: 512
    .name:           _ZN7rocprim17ROCPRIM_400000_NS6detail17trampoline_kernelINS0_14default_configENS1_25partition_config_selectorILNS1_17partition_subalgoE3EyNS0_10empty_typeEbEEZZNS1_14partition_implILS5_3ELb0ES3_jN6thrust23THRUST_200600_302600_NS6detail15normal_iteratorINSA_7pointerIyNSA_11hip_rocprim3tagENSA_11use_defaultESG_EEEEPS6_SJ_NS0_5tupleIJPySJ_EEENSK_IJSJ_SJ_EEES6_PlJ7is_evenIyEEEE10hipError_tPvRmT3_T4_T5_T6_T7_T9_mT8_P12ihipStream_tbDpT10_ENKUlT_T0_E_clISt17integral_constantIbLb1EES19_IbLb0EEEEDaS15_S16_EUlS15_E_NS1_11comp_targetILNS1_3genE10ELNS1_11target_archE1200ELNS1_3gpuE4ELNS1_3repE0EEENS1_30default_config_static_selectorELNS0_4arch9wavefront6targetE1EEEvT1_
    .private_segment_fixed_size: 0
    .sgpr_count:     6
    .sgpr_spill_count: 0
    .symbol:         _ZN7rocprim17ROCPRIM_400000_NS6detail17trampoline_kernelINS0_14default_configENS1_25partition_config_selectorILNS1_17partition_subalgoE3EyNS0_10empty_typeEbEEZZNS1_14partition_implILS5_3ELb0ES3_jN6thrust23THRUST_200600_302600_NS6detail15normal_iteratorINSA_7pointerIyNSA_11hip_rocprim3tagENSA_11use_defaultESG_EEEEPS6_SJ_NS0_5tupleIJPySJ_EEENSK_IJSJ_SJ_EEES6_PlJ7is_evenIyEEEE10hipError_tPvRmT3_T4_T5_T6_T7_T9_mT8_P12ihipStream_tbDpT10_ENKUlT_T0_E_clISt17integral_constantIbLb1EES19_IbLb0EEEEDaS15_S16_EUlS15_E_NS1_11comp_targetILNS1_3genE10ELNS1_11target_archE1200ELNS1_3gpuE4ELNS1_3repE0EEENS1_30default_config_static_selectorELNS0_4arch9wavefront6targetE1EEEvT1_.kd
    .uniform_work_group_size: 1
    .uses_dynamic_stack: false
    .vgpr_count:     0
    .vgpr_spill_count: 0
    .wavefront_size: 64
  - .agpr_count:     0
    .args:
      - .offset:         0
        .size:           120
        .value_kind:     by_value
    .group_segment_fixed_size: 0
    .kernarg_segment_align: 8
    .kernarg_segment_size: 120
    .language:       OpenCL C
    .language_version:
      - 2
      - 0
    .max_flat_workgroup_size: 512
    .name:           _ZN7rocprim17ROCPRIM_400000_NS6detail17trampoline_kernelINS0_14default_configENS1_25partition_config_selectorILNS1_17partition_subalgoE3EyNS0_10empty_typeEbEEZZNS1_14partition_implILS5_3ELb0ES3_jN6thrust23THRUST_200600_302600_NS6detail15normal_iteratorINSA_7pointerIyNSA_11hip_rocprim3tagENSA_11use_defaultESG_EEEEPS6_SJ_NS0_5tupleIJPySJ_EEENSK_IJSJ_SJ_EEES6_PlJ7is_evenIyEEEE10hipError_tPvRmT3_T4_T5_T6_T7_T9_mT8_P12ihipStream_tbDpT10_ENKUlT_T0_E_clISt17integral_constantIbLb1EES19_IbLb0EEEEDaS15_S16_EUlS15_E_NS1_11comp_targetILNS1_3genE9ELNS1_11target_archE1100ELNS1_3gpuE3ELNS1_3repE0EEENS1_30default_config_static_selectorELNS0_4arch9wavefront6targetE1EEEvT1_
    .private_segment_fixed_size: 0
    .sgpr_count:     6
    .sgpr_spill_count: 0
    .symbol:         _ZN7rocprim17ROCPRIM_400000_NS6detail17trampoline_kernelINS0_14default_configENS1_25partition_config_selectorILNS1_17partition_subalgoE3EyNS0_10empty_typeEbEEZZNS1_14partition_implILS5_3ELb0ES3_jN6thrust23THRUST_200600_302600_NS6detail15normal_iteratorINSA_7pointerIyNSA_11hip_rocprim3tagENSA_11use_defaultESG_EEEEPS6_SJ_NS0_5tupleIJPySJ_EEENSK_IJSJ_SJ_EEES6_PlJ7is_evenIyEEEE10hipError_tPvRmT3_T4_T5_T6_T7_T9_mT8_P12ihipStream_tbDpT10_ENKUlT_T0_E_clISt17integral_constantIbLb1EES19_IbLb0EEEEDaS15_S16_EUlS15_E_NS1_11comp_targetILNS1_3genE9ELNS1_11target_archE1100ELNS1_3gpuE3ELNS1_3repE0EEENS1_30default_config_static_selectorELNS0_4arch9wavefront6targetE1EEEvT1_.kd
    .uniform_work_group_size: 1
    .uses_dynamic_stack: false
    .vgpr_count:     0
    .vgpr_spill_count: 0
    .wavefront_size: 64
  - .agpr_count:     0
    .args:
      - .offset:         0
        .size:           120
        .value_kind:     by_value
    .group_segment_fixed_size: 0
    .kernarg_segment_align: 8
    .kernarg_segment_size: 120
    .language:       OpenCL C
    .language_version:
      - 2
      - 0
    .max_flat_workgroup_size: 512
    .name:           _ZN7rocprim17ROCPRIM_400000_NS6detail17trampoline_kernelINS0_14default_configENS1_25partition_config_selectorILNS1_17partition_subalgoE3EyNS0_10empty_typeEbEEZZNS1_14partition_implILS5_3ELb0ES3_jN6thrust23THRUST_200600_302600_NS6detail15normal_iteratorINSA_7pointerIyNSA_11hip_rocprim3tagENSA_11use_defaultESG_EEEEPS6_SJ_NS0_5tupleIJPySJ_EEENSK_IJSJ_SJ_EEES6_PlJ7is_evenIyEEEE10hipError_tPvRmT3_T4_T5_T6_T7_T9_mT8_P12ihipStream_tbDpT10_ENKUlT_T0_E_clISt17integral_constantIbLb1EES19_IbLb0EEEEDaS15_S16_EUlS15_E_NS1_11comp_targetILNS1_3genE8ELNS1_11target_archE1030ELNS1_3gpuE2ELNS1_3repE0EEENS1_30default_config_static_selectorELNS0_4arch9wavefront6targetE1EEEvT1_
    .private_segment_fixed_size: 0
    .sgpr_count:     6
    .sgpr_spill_count: 0
    .symbol:         _ZN7rocprim17ROCPRIM_400000_NS6detail17trampoline_kernelINS0_14default_configENS1_25partition_config_selectorILNS1_17partition_subalgoE3EyNS0_10empty_typeEbEEZZNS1_14partition_implILS5_3ELb0ES3_jN6thrust23THRUST_200600_302600_NS6detail15normal_iteratorINSA_7pointerIyNSA_11hip_rocprim3tagENSA_11use_defaultESG_EEEEPS6_SJ_NS0_5tupleIJPySJ_EEENSK_IJSJ_SJ_EEES6_PlJ7is_evenIyEEEE10hipError_tPvRmT3_T4_T5_T6_T7_T9_mT8_P12ihipStream_tbDpT10_ENKUlT_T0_E_clISt17integral_constantIbLb1EES19_IbLb0EEEEDaS15_S16_EUlS15_E_NS1_11comp_targetILNS1_3genE8ELNS1_11target_archE1030ELNS1_3gpuE2ELNS1_3repE0EEENS1_30default_config_static_selectorELNS0_4arch9wavefront6targetE1EEEvT1_.kd
    .uniform_work_group_size: 1
    .uses_dynamic_stack: false
    .vgpr_count:     0
    .vgpr_spill_count: 0
    .wavefront_size: 64
  - .agpr_count:     0
    .args:
      - .offset:         0
        .size:           136
        .value_kind:     by_value
    .group_segment_fixed_size: 0
    .kernarg_segment_align: 8
    .kernarg_segment_size: 136
    .language:       OpenCL C
    .language_version:
      - 2
      - 0
    .max_flat_workgroup_size: 192
    .name:           _ZN7rocprim17ROCPRIM_400000_NS6detail17trampoline_kernelINS0_14default_configENS1_25partition_config_selectorILNS1_17partition_subalgoE3EyNS0_10empty_typeEbEEZZNS1_14partition_implILS5_3ELb0ES3_jN6thrust23THRUST_200600_302600_NS6detail15normal_iteratorINSA_7pointerIyNSA_11hip_rocprim3tagENSA_11use_defaultESG_EEEEPS6_SJ_NS0_5tupleIJPySJ_EEENSK_IJSJ_SJ_EEES6_PlJ7is_evenIyEEEE10hipError_tPvRmT3_T4_T5_T6_T7_T9_mT8_P12ihipStream_tbDpT10_ENKUlT_T0_E_clISt17integral_constantIbLb0EES19_IbLb1EEEEDaS15_S16_EUlS15_E_NS1_11comp_targetILNS1_3genE0ELNS1_11target_archE4294967295ELNS1_3gpuE0ELNS1_3repE0EEENS1_30default_config_static_selectorELNS0_4arch9wavefront6targetE1EEEvT1_
    .private_segment_fixed_size: 0
    .sgpr_count:     6
    .sgpr_spill_count: 0
    .symbol:         _ZN7rocprim17ROCPRIM_400000_NS6detail17trampoline_kernelINS0_14default_configENS1_25partition_config_selectorILNS1_17partition_subalgoE3EyNS0_10empty_typeEbEEZZNS1_14partition_implILS5_3ELb0ES3_jN6thrust23THRUST_200600_302600_NS6detail15normal_iteratorINSA_7pointerIyNSA_11hip_rocprim3tagENSA_11use_defaultESG_EEEEPS6_SJ_NS0_5tupleIJPySJ_EEENSK_IJSJ_SJ_EEES6_PlJ7is_evenIyEEEE10hipError_tPvRmT3_T4_T5_T6_T7_T9_mT8_P12ihipStream_tbDpT10_ENKUlT_T0_E_clISt17integral_constantIbLb0EES19_IbLb1EEEEDaS15_S16_EUlS15_E_NS1_11comp_targetILNS1_3genE0ELNS1_11target_archE4294967295ELNS1_3gpuE0ELNS1_3repE0EEENS1_30default_config_static_selectorELNS0_4arch9wavefront6targetE1EEEvT1_.kd
    .uniform_work_group_size: 1
    .uses_dynamic_stack: false
    .vgpr_count:     0
    .vgpr_spill_count: 0
    .wavefront_size: 64
  - .agpr_count:     0
    .args:
      - .offset:         0
        .size:           136
        .value_kind:     by_value
    .group_segment_fixed_size: 28680
    .kernarg_segment_align: 8
    .kernarg_segment_size: 136
    .language:       OpenCL C
    .language_version:
      - 2
      - 0
    .max_flat_workgroup_size: 512
    .name:           _ZN7rocprim17ROCPRIM_400000_NS6detail17trampoline_kernelINS0_14default_configENS1_25partition_config_selectorILNS1_17partition_subalgoE3EyNS0_10empty_typeEbEEZZNS1_14partition_implILS5_3ELb0ES3_jN6thrust23THRUST_200600_302600_NS6detail15normal_iteratorINSA_7pointerIyNSA_11hip_rocprim3tagENSA_11use_defaultESG_EEEEPS6_SJ_NS0_5tupleIJPySJ_EEENSK_IJSJ_SJ_EEES6_PlJ7is_evenIyEEEE10hipError_tPvRmT3_T4_T5_T6_T7_T9_mT8_P12ihipStream_tbDpT10_ENKUlT_T0_E_clISt17integral_constantIbLb0EES19_IbLb1EEEEDaS15_S16_EUlS15_E_NS1_11comp_targetILNS1_3genE5ELNS1_11target_archE942ELNS1_3gpuE9ELNS1_3repE0EEENS1_30default_config_static_selectorELNS0_4arch9wavefront6targetE1EEEvT1_
    .private_segment_fixed_size: 0
    .sgpr_count:     50
    .sgpr_spill_count: 0
    .symbol:         _ZN7rocprim17ROCPRIM_400000_NS6detail17trampoline_kernelINS0_14default_configENS1_25partition_config_selectorILNS1_17partition_subalgoE3EyNS0_10empty_typeEbEEZZNS1_14partition_implILS5_3ELb0ES3_jN6thrust23THRUST_200600_302600_NS6detail15normal_iteratorINSA_7pointerIyNSA_11hip_rocprim3tagENSA_11use_defaultESG_EEEEPS6_SJ_NS0_5tupleIJPySJ_EEENSK_IJSJ_SJ_EEES6_PlJ7is_evenIyEEEE10hipError_tPvRmT3_T4_T5_T6_T7_T9_mT8_P12ihipStream_tbDpT10_ENKUlT_T0_E_clISt17integral_constantIbLb0EES19_IbLb1EEEEDaS15_S16_EUlS15_E_NS1_11comp_targetILNS1_3genE5ELNS1_11target_archE942ELNS1_3gpuE9ELNS1_3repE0EEENS1_30default_config_static_selectorELNS0_4arch9wavefront6targetE1EEEvT1_.kd
    .uniform_work_group_size: 1
    .uses_dynamic_stack: false
    .vgpr_count:     61
    .vgpr_spill_count: 0
    .wavefront_size: 64
  - .agpr_count:     0
    .args:
      - .offset:         0
        .size:           136
        .value_kind:     by_value
    .group_segment_fixed_size: 0
    .kernarg_segment_align: 8
    .kernarg_segment_size: 136
    .language:       OpenCL C
    .language_version:
      - 2
      - 0
    .max_flat_workgroup_size: 192
    .name:           _ZN7rocprim17ROCPRIM_400000_NS6detail17trampoline_kernelINS0_14default_configENS1_25partition_config_selectorILNS1_17partition_subalgoE3EyNS0_10empty_typeEbEEZZNS1_14partition_implILS5_3ELb0ES3_jN6thrust23THRUST_200600_302600_NS6detail15normal_iteratorINSA_7pointerIyNSA_11hip_rocprim3tagENSA_11use_defaultESG_EEEEPS6_SJ_NS0_5tupleIJPySJ_EEENSK_IJSJ_SJ_EEES6_PlJ7is_evenIyEEEE10hipError_tPvRmT3_T4_T5_T6_T7_T9_mT8_P12ihipStream_tbDpT10_ENKUlT_T0_E_clISt17integral_constantIbLb0EES19_IbLb1EEEEDaS15_S16_EUlS15_E_NS1_11comp_targetILNS1_3genE4ELNS1_11target_archE910ELNS1_3gpuE8ELNS1_3repE0EEENS1_30default_config_static_selectorELNS0_4arch9wavefront6targetE1EEEvT1_
    .private_segment_fixed_size: 0
    .sgpr_count:     6
    .sgpr_spill_count: 0
    .symbol:         _ZN7rocprim17ROCPRIM_400000_NS6detail17trampoline_kernelINS0_14default_configENS1_25partition_config_selectorILNS1_17partition_subalgoE3EyNS0_10empty_typeEbEEZZNS1_14partition_implILS5_3ELb0ES3_jN6thrust23THRUST_200600_302600_NS6detail15normal_iteratorINSA_7pointerIyNSA_11hip_rocprim3tagENSA_11use_defaultESG_EEEEPS6_SJ_NS0_5tupleIJPySJ_EEENSK_IJSJ_SJ_EEES6_PlJ7is_evenIyEEEE10hipError_tPvRmT3_T4_T5_T6_T7_T9_mT8_P12ihipStream_tbDpT10_ENKUlT_T0_E_clISt17integral_constantIbLb0EES19_IbLb1EEEEDaS15_S16_EUlS15_E_NS1_11comp_targetILNS1_3genE4ELNS1_11target_archE910ELNS1_3gpuE8ELNS1_3repE0EEENS1_30default_config_static_selectorELNS0_4arch9wavefront6targetE1EEEvT1_.kd
    .uniform_work_group_size: 1
    .uses_dynamic_stack: false
    .vgpr_count:     0
    .vgpr_spill_count: 0
    .wavefront_size: 64
  - .agpr_count:     0
    .args:
      - .offset:         0
        .size:           136
        .value_kind:     by_value
    .group_segment_fixed_size: 0
    .kernarg_segment_align: 8
    .kernarg_segment_size: 136
    .language:       OpenCL C
    .language_version:
      - 2
      - 0
    .max_flat_workgroup_size: 192
    .name:           _ZN7rocprim17ROCPRIM_400000_NS6detail17trampoline_kernelINS0_14default_configENS1_25partition_config_selectorILNS1_17partition_subalgoE3EyNS0_10empty_typeEbEEZZNS1_14partition_implILS5_3ELb0ES3_jN6thrust23THRUST_200600_302600_NS6detail15normal_iteratorINSA_7pointerIyNSA_11hip_rocprim3tagENSA_11use_defaultESG_EEEEPS6_SJ_NS0_5tupleIJPySJ_EEENSK_IJSJ_SJ_EEES6_PlJ7is_evenIyEEEE10hipError_tPvRmT3_T4_T5_T6_T7_T9_mT8_P12ihipStream_tbDpT10_ENKUlT_T0_E_clISt17integral_constantIbLb0EES19_IbLb1EEEEDaS15_S16_EUlS15_E_NS1_11comp_targetILNS1_3genE3ELNS1_11target_archE908ELNS1_3gpuE7ELNS1_3repE0EEENS1_30default_config_static_selectorELNS0_4arch9wavefront6targetE1EEEvT1_
    .private_segment_fixed_size: 0
    .sgpr_count:     6
    .sgpr_spill_count: 0
    .symbol:         _ZN7rocprim17ROCPRIM_400000_NS6detail17trampoline_kernelINS0_14default_configENS1_25partition_config_selectorILNS1_17partition_subalgoE3EyNS0_10empty_typeEbEEZZNS1_14partition_implILS5_3ELb0ES3_jN6thrust23THRUST_200600_302600_NS6detail15normal_iteratorINSA_7pointerIyNSA_11hip_rocprim3tagENSA_11use_defaultESG_EEEEPS6_SJ_NS0_5tupleIJPySJ_EEENSK_IJSJ_SJ_EEES6_PlJ7is_evenIyEEEE10hipError_tPvRmT3_T4_T5_T6_T7_T9_mT8_P12ihipStream_tbDpT10_ENKUlT_T0_E_clISt17integral_constantIbLb0EES19_IbLb1EEEEDaS15_S16_EUlS15_E_NS1_11comp_targetILNS1_3genE3ELNS1_11target_archE908ELNS1_3gpuE7ELNS1_3repE0EEENS1_30default_config_static_selectorELNS0_4arch9wavefront6targetE1EEEvT1_.kd
    .uniform_work_group_size: 1
    .uses_dynamic_stack: false
    .vgpr_count:     0
    .vgpr_spill_count: 0
    .wavefront_size: 64
  - .agpr_count:     0
    .args:
      - .offset:         0
        .size:           136
        .value_kind:     by_value
    .group_segment_fixed_size: 0
    .kernarg_segment_align: 8
    .kernarg_segment_size: 136
    .language:       OpenCL C
    .language_version:
      - 2
      - 0
    .max_flat_workgroup_size: 256
    .name:           _ZN7rocprim17ROCPRIM_400000_NS6detail17trampoline_kernelINS0_14default_configENS1_25partition_config_selectorILNS1_17partition_subalgoE3EyNS0_10empty_typeEbEEZZNS1_14partition_implILS5_3ELb0ES3_jN6thrust23THRUST_200600_302600_NS6detail15normal_iteratorINSA_7pointerIyNSA_11hip_rocprim3tagENSA_11use_defaultESG_EEEEPS6_SJ_NS0_5tupleIJPySJ_EEENSK_IJSJ_SJ_EEES6_PlJ7is_evenIyEEEE10hipError_tPvRmT3_T4_T5_T6_T7_T9_mT8_P12ihipStream_tbDpT10_ENKUlT_T0_E_clISt17integral_constantIbLb0EES19_IbLb1EEEEDaS15_S16_EUlS15_E_NS1_11comp_targetILNS1_3genE2ELNS1_11target_archE906ELNS1_3gpuE6ELNS1_3repE0EEENS1_30default_config_static_selectorELNS0_4arch9wavefront6targetE1EEEvT1_
    .private_segment_fixed_size: 0
    .sgpr_count:     6
    .sgpr_spill_count: 0
    .symbol:         _ZN7rocprim17ROCPRIM_400000_NS6detail17trampoline_kernelINS0_14default_configENS1_25partition_config_selectorILNS1_17partition_subalgoE3EyNS0_10empty_typeEbEEZZNS1_14partition_implILS5_3ELb0ES3_jN6thrust23THRUST_200600_302600_NS6detail15normal_iteratorINSA_7pointerIyNSA_11hip_rocprim3tagENSA_11use_defaultESG_EEEEPS6_SJ_NS0_5tupleIJPySJ_EEENSK_IJSJ_SJ_EEES6_PlJ7is_evenIyEEEE10hipError_tPvRmT3_T4_T5_T6_T7_T9_mT8_P12ihipStream_tbDpT10_ENKUlT_T0_E_clISt17integral_constantIbLb0EES19_IbLb1EEEEDaS15_S16_EUlS15_E_NS1_11comp_targetILNS1_3genE2ELNS1_11target_archE906ELNS1_3gpuE6ELNS1_3repE0EEENS1_30default_config_static_selectorELNS0_4arch9wavefront6targetE1EEEvT1_.kd
    .uniform_work_group_size: 1
    .uses_dynamic_stack: false
    .vgpr_count:     0
    .vgpr_spill_count: 0
    .wavefront_size: 64
  - .agpr_count:     0
    .args:
      - .offset:         0
        .size:           136
        .value_kind:     by_value
    .group_segment_fixed_size: 0
    .kernarg_segment_align: 8
    .kernarg_segment_size: 136
    .language:       OpenCL C
    .language_version:
      - 2
      - 0
    .max_flat_workgroup_size: 512
    .name:           _ZN7rocprim17ROCPRIM_400000_NS6detail17trampoline_kernelINS0_14default_configENS1_25partition_config_selectorILNS1_17partition_subalgoE3EyNS0_10empty_typeEbEEZZNS1_14partition_implILS5_3ELb0ES3_jN6thrust23THRUST_200600_302600_NS6detail15normal_iteratorINSA_7pointerIyNSA_11hip_rocprim3tagENSA_11use_defaultESG_EEEEPS6_SJ_NS0_5tupleIJPySJ_EEENSK_IJSJ_SJ_EEES6_PlJ7is_evenIyEEEE10hipError_tPvRmT3_T4_T5_T6_T7_T9_mT8_P12ihipStream_tbDpT10_ENKUlT_T0_E_clISt17integral_constantIbLb0EES19_IbLb1EEEEDaS15_S16_EUlS15_E_NS1_11comp_targetILNS1_3genE10ELNS1_11target_archE1200ELNS1_3gpuE4ELNS1_3repE0EEENS1_30default_config_static_selectorELNS0_4arch9wavefront6targetE1EEEvT1_
    .private_segment_fixed_size: 0
    .sgpr_count:     6
    .sgpr_spill_count: 0
    .symbol:         _ZN7rocprim17ROCPRIM_400000_NS6detail17trampoline_kernelINS0_14default_configENS1_25partition_config_selectorILNS1_17partition_subalgoE3EyNS0_10empty_typeEbEEZZNS1_14partition_implILS5_3ELb0ES3_jN6thrust23THRUST_200600_302600_NS6detail15normal_iteratorINSA_7pointerIyNSA_11hip_rocprim3tagENSA_11use_defaultESG_EEEEPS6_SJ_NS0_5tupleIJPySJ_EEENSK_IJSJ_SJ_EEES6_PlJ7is_evenIyEEEE10hipError_tPvRmT3_T4_T5_T6_T7_T9_mT8_P12ihipStream_tbDpT10_ENKUlT_T0_E_clISt17integral_constantIbLb0EES19_IbLb1EEEEDaS15_S16_EUlS15_E_NS1_11comp_targetILNS1_3genE10ELNS1_11target_archE1200ELNS1_3gpuE4ELNS1_3repE0EEENS1_30default_config_static_selectorELNS0_4arch9wavefront6targetE1EEEvT1_.kd
    .uniform_work_group_size: 1
    .uses_dynamic_stack: false
    .vgpr_count:     0
    .vgpr_spill_count: 0
    .wavefront_size: 64
  - .agpr_count:     0
    .args:
      - .offset:         0
        .size:           136
        .value_kind:     by_value
    .group_segment_fixed_size: 0
    .kernarg_segment_align: 8
    .kernarg_segment_size: 136
    .language:       OpenCL C
    .language_version:
      - 2
      - 0
    .max_flat_workgroup_size: 512
    .name:           _ZN7rocprim17ROCPRIM_400000_NS6detail17trampoline_kernelINS0_14default_configENS1_25partition_config_selectorILNS1_17partition_subalgoE3EyNS0_10empty_typeEbEEZZNS1_14partition_implILS5_3ELb0ES3_jN6thrust23THRUST_200600_302600_NS6detail15normal_iteratorINSA_7pointerIyNSA_11hip_rocprim3tagENSA_11use_defaultESG_EEEEPS6_SJ_NS0_5tupleIJPySJ_EEENSK_IJSJ_SJ_EEES6_PlJ7is_evenIyEEEE10hipError_tPvRmT3_T4_T5_T6_T7_T9_mT8_P12ihipStream_tbDpT10_ENKUlT_T0_E_clISt17integral_constantIbLb0EES19_IbLb1EEEEDaS15_S16_EUlS15_E_NS1_11comp_targetILNS1_3genE9ELNS1_11target_archE1100ELNS1_3gpuE3ELNS1_3repE0EEENS1_30default_config_static_selectorELNS0_4arch9wavefront6targetE1EEEvT1_
    .private_segment_fixed_size: 0
    .sgpr_count:     6
    .sgpr_spill_count: 0
    .symbol:         _ZN7rocprim17ROCPRIM_400000_NS6detail17trampoline_kernelINS0_14default_configENS1_25partition_config_selectorILNS1_17partition_subalgoE3EyNS0_10empty_typeEbEEZZNS1_14partition_implILS5_3ELb0ES3_jN6thrust23THRUST_200600_302600_NS6detail15normal_iteratorINSA_7pointerIyNSA_11hip_rocprim3tagENSA_11use_defaultESG_EEEEPS6_SJ_NS0_5tupleIJPySJ_EEENSK_IJSJ_SJ_EEES6_PlJ7is_evenIyEEEE10hipError_tPvRmT3_T4_T5_T6_T7_T9_mT8_P12ihipStream_tbDpT10_ENKUlT_T0_E_clISt17integral_constantIbLb0EES19_IbLb1EEEEDaS15_S16_EUlS15_E_NS1_11comp_targetILNS1_3genE9ELNS1_11target_archE1100ELNS1_3gpuE3ELNS1_3repE0EEENS1_30default_config_static_selectorELNS0_4arch9wavefront6targetE1EEEvT1_.kd
    .uniform_work_group_size: 1
    .uses_dynamic_stack: false
    .vgpr_count:     0
    .vgpr_spill_count: 0
    .wavefront_size: 64
  - .agpr_count:     0
    .args:
      - .offset:         0
        .size:           136
        .value_kind:     by_value
    .group_segment_fixed_size: 0
    .kernarg_segment_align: 8
    .kernarg_segment_size: 136
    .language:       OpenCL C
    .language_version:
      - 2
      - 0
    .max_flat_workgroup_size: 512
    .name:           _ZN7rocprim17ROCPRIM_400000_NS6detail17trampoline_kernelINS0_14default_configENS1_25partition_config_selectorILNS1_17partition_subalgoE3EyNS0_10empty_typeEbEEZZNS1_14partition_implILS5_3ELb0ES3_jN6thrust23THRUST_200600_302600_NS6detail15normal_iteratorINSA_7pointerIyNSA_11hip_rocprim3tagENSA_11use_defaultESG_EEEEPS6_SJ_NS0_5tupleIJPySJ_EEENSK_IJSJ_SJ_EEES6_PlJ7is_evenIyEEEE10hipError_tPvRmT3_T4_T5_T6_T7_T9_mT8_P12ihipStream_tbDpT10_ENKUlT_T0_E_clISt17integral_constantIbLb0EES19_IbLb1EEEEDaS15_S16_EUlS15_E_NS1_11comp_targetILNS1_3genE8ELNS1_11target_archE1030ELNS1_3gpuE2ELNS1_3repE0EEENS1_30default_config_static_selectorELNS0_4arch9wavefront6targetE1EEEvT1_
    .private_segment_fixed_size: 0
    .sgpr_count:     6
    .sgpr_spill_count: 0
    .symbol:         _ZN7rocprim17ROCPRIM_400000_NS6detail17trampoline_kernelINS0_14default_configENS1_25partition_config_selectorILNS1_17partition_subalgoE3EyNS0_10empty_typeEbEEZZNS1_14partition_implILS5_3ELb0ES3_jN6thrust23THRUST_200600_302600_NS6detail15normal_iteratorINSA_7pointerIyNSA_11hip_rocprim3tagENSA_11use_defaultESG_EEEEPS6_SJ_NS0_5tupleIJPySJ_EEENSK_IJSJ_SJ_EEES6_PlJ7is_evenIyEEEE10hipError_tPvRmT3_T4_T5_T6_T7_T9_mT8_P12ihipStream_tbDpT10_ENKUlT_T0_E_clISt17integral_constantIbLb0EES19_IbLb1EEEEDaS15_S16_EUlS15_E_NS1_11comp_targetILNS1_3genE8ELNS1_11target_archE1030ELNS1_3gpuE2ELNS1_3repE0EEENS1_30default_config_static_selectorELNS0_4arch9wavefront6targetE1EEEvT1_.kd
    .uniform_work_group_size: 1
    .uses_dynamic_stack: false
    .vgpr_count:     0
    .vgpr_spill_count: 0
    .wavefront_size: 64
  - .agpr_count:     0
    .args:
      - .offset:         0
        .size:           48
        .value_kind:     by_value
    .group_segment_fixed_size: 0
    .kernarg_segment_align: 8
    .kernarg_segment_size: 48
    .language:       OpenCL C
    .language_version:
      - 2
      - 0
    .max_flat_workgroup_size: 256
    .name:           _ZN7rocprim17ROCPRIM_400000_NS6detail17trampoline_kernelINS0_13kernel_configILj256ELj4ELj4294967295EEENS1_37radix_sort_block_sort_config_selectorIyNS0_10empty_typeEEEZNS1_21radix_sort_block_sortIS4_Lb0EN6thrust23THRUST_200600_302600_NS6detail15normal_iteratorINSA_10device_ptrIyEEEESF_PS6_SG_NS0_19identity_decomposerEEE10hipError_tT1_T2_T3_T4_jRjT5_jjP12ihipStream_tbEUlT_E_NS1_11comp_targetILNS1_3genE0ELNS1_11target_archE4294967295ELNS1_3gpuE0ELNS1_3repE0EEENS1_44radix_sort_block_sort_config_static_selectorELNS0_4arch9wavefront6targetE1EEEvSJ_
    .private_segment_fixed_size: 0
    .sgpr_count:     6
    .sgpr_spill_count: 0
    .symbol:         _ZN7rocprim17ROCPRIM_400000_NS6detail17trampoline_kernelINS0_13kernel_configILj256ELj4ELj4294967295EEENS1_37radix_sort_block_sort_config_selectorIyNS0_10empty_typeEEEZNS1_21radix_sort_block_sortIS4_Lb0EN6thrust23THRUST_200600_302600_NS6detail15normal_iteratorINSA_10device_ptrIyEEEESF_PS6_SG_NS0_19identity_decomposerEEE10hipError_tT1_T2_T3_T4_jRjT5_jjP12ihipStream_tbEUlT_E_NS1_11comp_targetILNS1_3genE0ELNS1_11target_archE4294967295ELNS1_3gpuE0ELNS1_3repE0EEENS1_44radix_sort_block_sort_config_static_selectorELNS0_4arch9wavefront6targetE1EEEvSJ_.kd
    .uniform_work_group_size: 1
    .uses_dynamic_stack: false
    .vgpr_count:     0
    .vgpr_spill_count: 0
    .wavefront_size: 64
  - .agpr_count:     0
    .args:
      - .offset:         0
        .size:           48
        .value_kind:     by_value
      - .offset:         48
        .size:           4
        .value_kind:     hidden_block_count_x
      - .offset:         52
        .size:           4
        .value_kind:     hidden_block_count_y
      - .offset:         56
        .size:           4
        .value_kind:     hidden_block_count_z
      - .offset:         60
        .size:           2
        .value_kind:     hidden_group_size_x
      - .offset:         62
        .size:           2
        .value_kind:     hidden_group_size_y
      - .offset:         64
        .size:           2
        .value_kind:     hidden_group_size_z
      - .offset:         66
        .size:           2
        .value_kind:     hidden_remainder_x
      - .offset:         68
        .size:           2
        .value_kind:     hidden_remainder_y
      - .offset:         70
        .size:           2
        .value_kind:     hidden_remainder_z
      - .offset:         88
        .size:           8
        .value_kind:     hidden_global_offset_x
      - .offset:         96
        .size:           8
        .value_kind:     hidden_global_offset_y
      - .offset:         104
        .size:           8
        .value_kind:     hidden_global_offset_z
      - .offset:         112
        .size:           2
        .value_kind:     hidden_grid_dims
    .group_segment_fixed_size: 8192
    .kernarg_segment_align: 8
    .kernarg_segment_size: 304
    .language:       OpenCL C
    .language_version:
      - 2
      - 0
    .max_flat_workgroup_size: 256
    .name:           _ZN7rocprim17ROCPRIM_400000_NS6detail17trampoline_kernelINS0_13kernel_configILj256ELj4ELj4294967295EEENS1_37radix_sort_block_sort_config_selectorIyNS0_10empty_typeEEEZNS1_21radix_sort_block_sortIS4_Lb0EN6thrust23THRUST_200600_302600_NS6detail15normal_iteratorINSA_10device_ptrIyEEEESF_PS6_SG_NS0_19identity_decomposerEEE10hipError_tT1_T2_T3_T4_jRjT5_jjP12ihipStream_tbEUlT_E_NS1_11comp_targetILNS1_3genE5ELNS1_11target_archE942ELNS1_3gpuE9ELNS1_3repE0EEENS1_44radix_sort_block_sort_config_static_selectorELNS0_4arch9wavefront6targetE1EEEvSJ_
    .private_segment_fixed_size: 0
    .sgpr_count:     50
    .sgpr_spill_count: 0
    .symbol:         _ZN7rocprim17ROCPRIM_400000_NS6detail17trampoline_kernelINS0_13kernel_configILj256ELj4ELj4294967295EEENS1_37radix_sort_block_sort_config_selectorIyNS0_10empty_typeEEEZNS1_21radix_sort_block_sortIS4_Lb0EN6thrust23THRUST_200600_302600_NS6detail15normal_iteratorINSA_10device_ptrIyEEEESF_PS6_SG_NS0_19identity_decomposerEEE10hipError_tT1_T2_T3_T4_jRjT5_jjP12ihipStream_tbEUlT_E_NS1_11comp_targetILNS1_3genE5ELNS1_11target_archE942ELNS1_3gpuE9ELNS1_3repE0EEENS1_44radix_sort_block_sort_config_static_selectorELNS0_4arch9wavefront6targetE1EEEvSJ_.kd
    .uniform_work_group_size: 1
    .uses_dynamic_stack: false
    .vgpr_count:     42
    .vgpr_spill_count: 0
    .wavefront_size: 64
  - .agpr_count:     0
    .args:
      - .offset:         0
        .size:           48
        .value_kind:     by_value
    .group_segment_fixed_size: 0
    .kernarg_segment_align: 8
    .kernarg_segment_size: 48
    .language:       OpenCL C
    .language_version:
      - 2
      - 0
    .max_flat_workgroup_size: 256
    .name:           _ZN7rocprim17ROCPRIM_400000_NS6detail17trampoline_kernelINS0_13kernel_configILj256ELj4ELj4294967295EEENS1_37radix_sort_block_sort_config_selectorIyNS0_10empty_typeEEEZNS1_21radix_sort_block_sortIS4_Lb0EN6thrust23THRUST_200600_302600_NS6detail15normal_iteratorINSA_10device_ptrIyEEEESF_PS6_SG_NS0_19identity_decomposerEEE10hipError_tT1_T2_T3_T4_jRjT5_jjP12ihipStream_tbEUlT_E_NS1_11comp_targetILNS1_3genE4ELNS1_11target_archE910ELNS1_3gpuE8ELNS1_3repE0EEENS1_44radix_sort_block_sort_config_static_selectorELNS0_4arch9wavefront6targetE1EEEvSJ_
    .private_segment_fixed_size: 0
    .sgpr_count:     6
    .sgpr_spill_count: 0
    .symbol:         _ZN7rocprim17ROCPRIM_400000_NS6detail17trampoline_kernelINS0_13kernel_configILj256ELj4ELj4294967295EEENS1_37radix_sort_block_sort_config_selectorIyNS0_10empty_typeEEEZNS1_21radix_sort_block_sortIS4_Lb0EN6thrust23THRUST_200600_302600_NS6detail15normal_iteratorINSA_10device_ptrIyEEEESF_PS6_SG_NS0_19identity_decomposerEEE10hipError_tT1_T2_T3_T4_jRjT5_jjP12ihipStream_tbEUlT_E_NS1_11comp_targetILNS1_3genE4ELNS1_11target_archE910ELNS1_3gpuE8ELNS1_3repE0EEENS1_44radix_sort_block_sort_config_static_selectorELNS0_4arch9wavefront6targetE1EEEvSJ_.kd
    .uniform_work_group_size: 1
    .uses_dynamic_stack: false
    .vgpr_count:     0
    .vgpr_spill_count: 0
    .wavefront_size: 64
  - .agpr_count:     0
    .args:
      - .offset:         0
        .size:           48
        .value_kind:     by_value
    .group_segment_fixed_size: 0
    .kernarg_segment_align: 8
    .kernarg_segment_size: 48
    .language:       OpenCL C
    .language_version:
      - 2
      - 0
    .max_flat_workgroup_size: 256
    .name:           _ZN7rocprim17ROCPRIM_400000_NS6detail17trampoline_kernelINS0_13kernel_configILj256ELj4ELj4294967295EEENS1_37radix_sort_block_sort_config_selectorIyNS0_10empty_typeEEEZNS1_21radix_sort_block_sortIS4_Lb0EN6thrust23THRUST_200600_302600_NS6detail15normal_iteratorINSA_10device_ptrIyEEEESF_PS6_SG_NS0_19identity_decomposerEEE10hipError_tT1_T2_T3_T4_jRjT5_jjP12ihipStream_tbEUlT_E_NS1_11comp_targetILNS1_3genE3ELNS1_11target_archE908ELNS1_3gpuE7ELNS1_3repE0EEENS1_44radix_sort_block_sort_config_static_selectorELNS0_4arch9wavefront6targetE1EEEvSJ_
    .private_segment_fixed_size: 0
    .sgpr_count:     6
    .sgpr_spill_count: 0
    .symbol:         _ZN7rocprim17ROCPRIM_400000_NS6detail17trampoline_kernelINS0_13kernel_configILj256ELj4ELj4294967295EEENS1_37radix_sort_block_sort_config_selectorIyNS0_10empty_typeEEEZNS1_21radix_sort_block_sortIS4_Lb0EN6thrust23THRUST_200600_302600_NS6detail15normal_iteratorINSA_10device_ptrIyEEEESF_PS6_SG_NS0_19identity_decomposerEEE10hipError_tT1_T2_T3_T4_jRjT5_jjP12ihipStream_tbEUlT_E_NS1_11comp_targetILNS1_3genE3ELNS1_11target_archE908ELNS1_3gpuE7ELNS1_3repE0EEENS1_44radix_sort_block_sort_config_static_selectorELNS0_4arch9wavefront6targetE1EEEvSJ_.kd
    .uniform_work_group_size: 1
    .uses_dynamic_stack: false
    .vgpr_count:     0
    .vgpr_spill_count: 0
    .wavefront_size: 64
  - .agpr_count:     0
    .args:
      - .offset:         0
        .size:           48
        .value_kind:     by_value
    .group_segment_fixed_size: 0
    .kernarg_segment_align: 8
    .kernarg_segment_size: 48
    .language:       OpenCL C
    .language_version:
      - 2
      - 0
    .max_flat_workgroup_size: 256
    .name:           _ZN7rocprim17ROCPRIM_400000_NS6detail17trampoline_kernelINS0_13kernel_configILj256ELj4ELj4294967295EEENS1_37radix_sort_block_sort_config_selectorIyNS0_10empty_typeEEEZNS1_21radix_sort_block_sortIS4_Lb0EN6thrust23THRUST_200600_302600_NS6detail15normal_iteratorINSA_10device_ptrIyEEEESF_PS6_SG_NS0_19identity_decomposerEEE10hipError_tT1_T2_T3_T4_jRjT5_jjP12ihipStream_tbEUlT_E_NS1_11comp_targetILNS1_3genE2ELNS1_11target_archE906ELNS1_3gpuE6ELNS1_3repE0EEENS1_44radix_sort_block_sort_config_static_selectorELNS0_4arch9wavefront6targetE1EEEvSJ_
    .private_segment_fixed_size: 0
    .sgpr_count:     6
    .sgpr_spill_count: 0
    .symbol:         _ZN7rocprim17ROCPRIM_400000_NS6detail17trampoline_kernelINS0_13kernel_configILj256ELj4ELj4294967295EEENS1_37radix_sort_block_sort_config_selectorIyNS0_10empty_typeEEEZNS1_21radix_sort_block_sortIS4_Lb0EN6thrust23THRUST_200600_302600_NS6detail15normal_iteratorINSA_10device_ptrIyEEEESF_PS6_SG_NS0_19identity_decomposerEEE10hipError_tT1_T2_T3_T4_jRjT5_jjP12ihipStream_tbEUlT_E_NS1_11comp_targetILNS1_3genE2ELNS1_11target_archE906ELNS1_3gpuE6ELNS1_3repE0EEENS1_44radix_sort_block_sort_config_static_selectorELNS0_4arch9wavefront6targetE1EEEvSJ_.kd
    .uniform_work_group_size: 1
    .uses_dynamic_stack: false
    .vgpr_count:     0
    .vgpr_spill_count: 0
    .wavefront_size: 64
  - .agpr_count:     0
    .args:
      - .offset:         0
        .size:           48
        .value_kind:     by_value
    .group_segment_fixed_size: 0
    .kernarg_segment_align: 8
    .kernarg_segment_size: 48
    .language:       OpenCL C
    .language_version:
      - 2
      - 0
    .max_flat_workgroup_size: 256
    .name:           _ZN7rocprim17ROCPRIM_400000_NS6detail17trampoline_kernelINS0_13kernel_configILj256ELj4ELj4294967295EEENS1_37radix_sort_block_sort_config_selectorIyNS0_10empty_typeEEEZNS1_21radix_sort_block_sortIS4_Lb0EN6thrust23THRUST_200600_302600_NS6detail15normal_iteratorINSA_10device_ptrIyEEEESF_PS6_SG_NS0_19identity_decomposerEEE10hipError_tT1_T2_T3_T4_jRjT5_jjP12ihipStream_tbEUlT_E_NS1_11comp_targetILNS1_3genE10ELNS1_11target_archE1201ELNS1_3gpuE5ELNS1_3repE0EEENS1_44radix_sort_block_sort_config_static_selectorELNS0_4arch9wavefront6targetE1EEEvSJ_
    .private_segment_fixed_size: 0
    .sgpr_count:     6
    .sgpr_spill_count: 0
    .symbol:         _ZN7rocprim17ROCPRIM_400000_NS6detail17trampoline_kernelINS0_13kernel_configILj256ELj4ELj4294967295EEENS1_37radix_sort_block_sort_config_selectorIyNS0_10empty_typeEEEZNS1_21radix_sort_block_sortIS4_Lb0EN6thrust23THRUST_200600_302600_NS6detail15normal_iteratorINSA_10device_ptrIyEEEESF_PS6_SG_NS0_19identity_decomposerEEE10hipError_tT1_T2_T3_T4_jRjT5_jjP12ihipStream_tbEUlT_E_NS1_11comp_targetILNS1_3genE10ELNS1_11target_archE1201ELNS1_3gpuE5ELNS1_3repE0EEENS1_44radix_sort_block_sort_config_static_selectorELNS0_4arch9wavefront6targetE1EEEvSJ_.kd
    .uniform_work_group_size: 1
    .uses_dynamic_stack: false
    .vgpr_count:     0
    .vgpr_spill_count: 0
    .wavefront_size: 64
  - .agpr_count:     0
    .args:
      - .offset:         0
        .size:           48
        .value_kind:     by_value
    .group_segment_fixed_size: 0
    .kernarg_segment_align: 8
    .kernarg_segment_size: 48
    .language:       OpenCL C
    .language_version:
      - 2
      - 0
    .max_flat_workgroup_size: 256
    .name:           _ZN7rocprim17ROCPRIM_400000_NS6detail17trampoline_kernelINS0_13kernel_configILj256ELj4ELj4294967295EEENS1_37radix_sort_block_sort_config_selectorIyNS0_10empty_typeEEEZNS1_21radix_sort_block_sortIS4_Lb0EN6thrust23THRUST_200600_302600_NS6detail15normal_iteratorINSA_10device_ptrIyEEEESF_PS6_SG_NS0_19identity_decomposerEEE10hipError_tT1_T2_T3_T4_jRjT5_jjP12ihipStream_tbEUlT_E_NS1_11comp_targetILNS1_3genE10ELNS1_11target_archE1200ELNS1_3gpuE4ELNS1_3repE0EEENS1_44radix_sort_block_sort_config_static_selectorELNS0_4arch9wavefront6targetE1EEEvSJ_
    .private_segment_fixed_size: 0
    .sgpr_count:     6
    .sgpr_spill_count: 0
    .symbol:         _ZN7rocprim17ROCPRIM_400000_NS6detail17trampoline_kernelINS0_13kernel_configILj256ELj4ELj4294967295EEENS1_37radix_sort_block_sort_config_selectorIyNS0_10empty_typeEEEZNS1_21radix_sort_block_sortIS4_Lb0EN6thrust23THRUST_200600_302600_NS6detail15normal_iteratorINSA_10device_ptrIyEEEESF_PS6_SG_NS0_19identity_decomposerEEE10hipError_tT1_T2_T3_T4_jRjT5_jjP12ihipStream_tbEUlT_E_NS1_11comp_targetILNS1_3genE10ELNS1_11target_archE1200ELNS1_3gpuE4ELNS1_3repE0EEENS1_44radix_sort_block_sort_config_static_selectorELNS0_4arch9wavefront6targetE1EEEvSJ_.kd
    .uniform_work_group_size: 1
    .uses_dynamic_stack: false
    .vgpr_count:     0
    .vgpr_spill_count: 0
    .wavefront_size: 64
  - .agpr_count:     0
    .args:
      - .offset:         0
        .size:           48
        .value_kind:     by_value
    .group_segment_fixed_size: 0
    .kernarg_segment_align: 8
    .kernarg_segment_size: 48
    .language:       OpenCL C
    .language_version:
      - 2
      - 0
    .max_flat_workgroup_size: 256
    .name:           _ZN7rocprim17ROCPRIM_400000_NS6detail17trampoline_kernelINS0_13kernel_configILj256ELj4ELj4294967295EEENS1_37radix_sort_block_sort_config_selectorIyNS0_10empty_typeEEEZNS1_21radix_sort_block_sortIS4_Lb0EN6thrust23THRUST_200600_302600_NS6detail15normal_iteratorINSA_10device_ptrIyEEEESF_PS6_SG_NS0_19identity_decomposerEEE10hipError_tT1_T2_T3_T4_jRjT5_jjP12ihipStream_tbEUlT_E_NS1_11comp_targetILNS1_3genE9ELNS1_11target_archE1100ELNS1_3gpuE3ELNS1_3repE0EEENS1_44radix_sort_block_sort_config_static_selectorELNS0_4arch9wavefront6targetE1EEEvSJ_
    .private_segment_fixed_size: 0
    .sgpr_count:     6
    .sgpr_spill_count: 0
    .symbol:         _ZN7rocprim17ROCPRIM_400000_NS6detail17trampoline_kernelINS0_13kernel_configILj256ELj4ELj4294967295EEENS1_37radix_sort_block_sort_config_selectorIyNS0_10empty_typeEEEZNS1_21radix_sort_block_sortIS4_Lb0EN6thrust23THRUST_200600_302600_NS6detail15normal_iteratorINSA_10device_ptrIyEEEESF_PS6_SG_NS0_19identity_decomposerEEE10hipError_tT1_T2_T3_T4_jRjT5_jjP12ihipStream_tbEUlT_E_NS1_11comp_targetILNS1_3genE9ELNS1_11target_archE1100ELNS1_3gpuE3ELNS1_3repE0EEENS1_44radix_sort_block_sort_config_static_selectorELNS0_4arch9wavefront6targetE1EEEvSJ_.kd
    .uniform_work_group_size: 1
    .uses_dynamic_stack: false
    .vgpr_count:     0
    .vgpr_spill_count: 0
    .wavefront_size: 64
  - .agpr_count:     0
    .args:
      - .offset:         0
        .size:           48
        .value_kind:     by_value
    .group_segment_fixed_size: 0
    .kernarg_segment_align: 8
    .kernarg_segment_size: 48
    .language:       OpenCL C
    .language_version:
      - 2
      - 0
    .max_flat_workgroup_size: 256
    .name:           _ZN7rocprim17ROCPRIM_400000_NS6detail17trampoline_kernelINS0_13kernel_configILj256ELj4ELj4294967295EEENS1_37radix_sort_block_sort_config_selectorIyNS0_10empty_typeEEEZNS1_21radix_sort_block_sortIS4_Lb0EN6thrust23THRUST_200600_302600_NS6detail15normal_iteratorINSA_10device_ptrIyEEEESF_PS6_SG_NS0_19identity_decomposerEEE10hipError_tT1_T2_T3_T4_jRjT5_jjP12ihipStream_tbEUlT_E_NS1_11comp_targetILNS1_3genE8ELNS1_11target_archE1030ELNS1_3gpuE2ELNS1_3repE0EEENS1_44radix_sort_block_sort_config_static_selectorELNS0_4arch9wavefront6targetE1EEEvSJ_
    .private_segment_fixed_size: 0
    .sgpr_count:     6
    .sgpr_spill_count: 0
    .symbol:         _ZN7rocprim17ROCPRIM_400000_NS6detail17trampoline_kernelINS0_13kernel_configILj256ELj4ELj4294967295EEENS1_37radix_sort_block_sort_config_selectorIyNS0_10empty_typeEEEZNS1_21radix_sort_block_sortIS4_Lb0EN6thrust23THRUST_200600_302600_NS6detail15normal_iteratorINSA_10device_ptrIyEEEESF_PS6_SG_NS0_19identity_decomposerEEE10hipError_tT1_T2_T3_T4_jRjT5_jjP12ihipStream_tbEUlT_E_NS1_11comp_targetILNS1_3genE8ELNS1_11target_archE1030ELNS1_3gpuE2ELNS1_3repE0EEENS1_44radix_sort_block_sort_config_static_selectorELNS0_4arch9wavefront6targetE1EEEvSJ_.kd
    .uniform_work_group_size: 1
    .uses_dynamic_stack: false
    .vgpr_count:     0
    .vgpr_spill_count: 0
    .wavefront_size: 64
  - .agpr_count:     0
    .args:           []
    .group_segment_fixed_size: 0
    .kernarg_segment_align: 4
    .kernarg_segment_size: 0
    .language:       OpenCL C
    .language_version:
      - 2
      - 0
    .max_flat_workgroup_size: 1024
    .name:           _ZN7rocprim17ROCPRIM_400000_NS6detail44device_merge_sort_compile_time_verifier_archINS1_11comp_targetILNS1_3genE0ELNS1_11target_archE4294967295ELNS1_3gpuE0ELNS1_3repE0EEES8_NS1_28merge_sort_block_sort_configILj256ELj4ELNS0_20block_sort_algorithmE0EEENS0_14default_configENS1_37merge_sort_block_sort_config_selectorIyNS0_10empty_typeEEENS1_38merge_sort_block_merge_config_selectorIySE_EEEEvv
    .private_segment_fixed_size: 0
    .sgpr_count:     6
    .sgpr_spill_count: 0
    .symbol:         _ZN7rocprim17ROCPRIM_400000_NS6detail44device_merge_sort_compile_time_verifier_archINS1_11comp_targetILNS1_3genE0ELNS1_11target_archE4294967295ELNS1_3gpuE0ELNS1_3repE0EEES8_NS1_28merge_sort_block_sort_configILj256ELj4ELNS0_20block_sort_algorithmE0EEENS0_14default_configENS1_37merge_sort_block_sort_config_selectorIyNS0_10empty_typeEEENS1_38merge_sort_block_merge_config_selectorIySE_EEEEvv.kd
    .uniform_work_group_size: 1
    .uses_dynamic_stack: false
    .vgpr_count:     0
    .vgpr_spill_count: 0
    .wavefront_size: 64
  - .agpr_count:     0
    .args:           []
    .group_segment_fixed_size: 0
    .kernarg_segment_align: 4
    .kernarg_segment_size: 0
    .language:       OpenCL C
    .language_version:
      - 2
      - 0
    .max_flat_workgroup_size: 1024
    .name:           _ZN7rocprim17ROCPRIM_400000_NS6detail44device_merge_sort_compile_time_verifier_archINS1_11comp_targetILNS1_3genE5ELNS1_11target_archE942ELNS1_3gpuE9ELNS1_3repE0EEES8_NS1_28merge_sort_block_sort_configILj256ELj4ELNS0_20block_sort_algorithmE0EEENS0_14default_configENS1_37merge_sort_block_sort_config_selectorIyNS0_10empty_typeEEENS1_38merge_sort_block_merge_config_selectorIySE_EEEEvv
    .private_segment_fixed_size: 0
    .sgpr_count:     6
    .sgpr_spill_count: 0
    .symbol:         _ZN7rocprim17ROCPRIM_400000_NS6detail44device_merge_sort_compile_time_verifier_archINS1_11comp_targetILNS1_3genE5ELNS1_11target_archE942ELNS1_3gpuE9ELNS1_3repE0EEES8_NS1_28merge_sort_block_sort_configILj256ELj4ELNS0_20block_sort_algorithmE0EEENS0_14default_configENS1_37merge_sort_block_sort_config_selectorIyNS0_10empty_typeEEENS1_38merge_sort_block_merge_config_selectorIySE_EEEEvv.kd
    .uniform_work_group_size: 1
    .uses_dynamic_stack: false
    .vgpr_count:     0
    .vgpr_spill_count: 0
    .wavefront_size: 64
  - .agpr_count:     0
    .args:           []
    .group_segment_fixed_size: 0
    .kernarg_segment_align: 4
    .kernarg_segment_size: 0
    .language:       OpenCL C
    .language_version:
      - 2
      - 0
    .max_flat_workgroup_size: 1024
    .name:           _ZN7rocprim17ROCPRIM_400000_NS6detail44device_merge_sort_compile_time_verifier_archINS1_11comp_targetILNS1_3genE4ELNS1_11target_archE910ELNS1_3gpuE8ELNS1_3repE0EEES8_NS1_28merge_sort_block_sort_configILj256ELj4ELNS0_20block_sort_algorithmE0EEENS0_14default_configENS1_37merge_sort_block_sort_config_selectorIyNS0_10empty_typeEEENS1_38merge_sort_block_merge_config_selectorIySE_EEEEvv
    .private_segment_fixed_size: 0
    .sgpr_count:     6
    .sgpr_spill_count: 0
    .symbol:         _ZN7rocprim17ROCPRIM_400000_NS6detail44device_merge_sort_compile_time_verifier_archINS1_11comp_targetILNS1_3genE4ELNS1_11target_archE910ELNS1_3gpuE8ELNS1_3repE0EEES8_NS1_28merge_sort_block_sort_configILj256ELj4ELNS0_20block_sort_algorithmE0EEENS0_14default_configENS1_37merge_sort_block_sort_config_selectorIyNS0_10empty_typeEEENS1_38merge_sort_block_merge_config_selectorIySE_EEEEvv.kd
    .uniform_work_group_size: 1
    .uses_dynamic_stack: false
    .vgpr_count:     0
    .vgpr_spill_count: 0
    .wavefront_size: 64
  - .agpr_count:     0
    .args:           []
    .group_segment_fixed_size: 0
    .kernarg_segment_align: 4
    .kernarg_segment_size: 0
    .language:       OpenCL C
    .language_version:
      - 2
      - 0
    .max_flat_workgroup_size: 1024
    .name:           _ZN7rocprim17ROCPRIM_400000_NS6detail44device_merge_sort_compile_time_verifier_archINS1_11comp_targetILNS1_3genE3ELNS1_11target_archE908ELNS1_3gpuE7ELNS1_3repE0EEES8_NS1_28merge_sort_block_sort_configILj256ELj4ELNS0_20block_sort_algorithmE0EEENS0_14default_configENS1_37merge_sort_block_sort_config_selectorIyNS0_10empty_typeEEENS1_38merge_sort_block_merge_config_selectorIySE_EEEEvv
    .private_segment_fixed_size: 0
    .sgpr_count:     6
    .sgpr_spill_count: 0
    .symbol:         _ZN7rocprim17ROCPRIM_400000_NS6detail44device_merge_sort_compile_time_verifier_archINS1_11comp_targetILNS1_3genE3ELNS1_11target_archE908ELNS1_3gpuE7ELNS1_3repE0EEES8_NS1_28merge_sort_block_sort_configILj256ELj4ELNS0_20block_sort_algorithmE0EEENS0_14default_configENS1_37merge_sort_block_sort_config_selectorIyNS0_10empty_typeEEENS1_38merge_sort_block_merge_config_selectorIySE_EEEEvv.kd
    .uniform_work_group_size: 1
    .uses_dynamic_stack: false
    .vgpr_count:     0
    .vgpr_spill_count: 0
    .wavefront_size: 64
  - .agpr_count:     0
    .args:           []
    .group_segment_fixed_size: 0
    .kernarg_segment_align: 4
    .kernarg_segment_size: 0
    .language:       OpenCL C
    .language_version:
      - 2
      - 0
    .max_flat_workgroup_size: 1024
    .name:           _ZN7rocprim17ROCPRIM_400000_NS6detail44device_merge_sort_compile_time_verifier_archINS1_11comp_targetILNS1_3genE2ELNS1_11target_archE906ELNS1_3gpuE6ELNS1_3repE0EEES8_NS1_28merge_sort_block_sort_configILj256ELj4ELNS0_20block_sort_algorithmE0EEENS0_14default_configENS1_37merge_sort_block_sort_config_selectorIyNS0_10empty_typeEEENS1_38merge_sort_block_merge_config_selectorIySE_EEEEvv
    .private_segment_fixed_size: 0
    .sgpr_count:     6
    .sgpr_spill_count: 0
    .symbol:         _ZN7rocprim17ROCPRIM_400000_NS6detail44device_merge_sort_compile_time_verifier_archINS1_11comp_targetILNS1_3genE2ELNS1_11target_archE906ELNS1_3gpuE6ELNS1_3repE0EEES8_NS1_28merge_sort_block_sort_configILj256ELj4ELNS0_20block_sort_algorithmE0EEENS0_14default_configENS1_37merge_sort_block_sort_config_selectorIyNS0_10empty_typeEEENS1_38merge_sort_block_merge_config_selectorIySE_EEEEvv.kd
    .uniform_work_group_size: 1
    .uses_dynamic_stack: false
    .vgpr_count:     0
    .vgpr_spill_count: 0
    .wavefront_size: 64
  - .agpr_count:     0
    .args:           []
    .group_segment_fixed_size: 0
    .kernarg_segment_align: 4
    .kernarg_segment_size: 0
    .language:       OpenCL C
    .language_version:
      - 2
      - 0
    .max_flat_workgroup_size: 1024
    .name:           _ZN7rocprim17ROCPRIM_400000_NS6detail44device_merge_sort_compile_time_verifier_archINS1_11comp_targetILNS1_3genE10ELNS1_11target_archE1201ELNS1_3gpuE5ELNS1_3repE0EEES8_NS1_28merge_sort_block_sort_configILj256ELj4ELNS0_20block_sort_algorithmE0EEENS0_14default_configENS1_37merge_sort_block_sort_config_selectorIyNS0_10empty_typeEEENS1_38merge_sort_block_merge_config_selectorIySE_EEEEvv
    .private_segment_fixed_size: 0
    .sgpr_count:     6
    .sgpr_spill_count: 0
    .symbol:         _ZN7rocprim17ROCPRIM_400000_NS6detail44device_merge_sort_compile_time_verifier_archINS1_11comp_targetILNS1_3genE10ELNS1_11target_archE1201ELNS1_3gpuE5ELNS1_3repE0EEES8_NS1_28merge_sort_block_sort_configILj256ELj4ELNS0_20block_sort_algorithmE0EEENS0_14default_configENS1_37merge_sort_block_sort_config_selectorIyNS0_10empty_typeEEENS1_38merge_sort_block_merge_config_selectorIySE_EEEEvv.kd
    .uniform_work_group_size: 1
    .uses_dynamic_stack: false
    .vgpr_count:     0
    .vgpr_spill_count: 0
    .wavefront_size: 64
  - .agpr_count:     0
    .args:           []
    .group_segment_fixed_size: 0
    .kernarg_segment_align: 4
    .kernarg_segment_size: 0
    .language:       OpenCL C
    .language_version:
      - 2
      - 0
    .max_flat_workgroup_size: 1024
    .name:           _ZN7rocprim17ROCPRIM_400000_NS6detail44device_merge_sort_compile_time_verifier_archINS1_11comp_targetILNS1_3genE10ELNS1_11target_archE1200ELNS1_3gpuE4ELNS1_3repE0EEENS3_ILS4_10ELS5_1201ELS6_5ELS7_0EEENS1_28merge_sort_block_sort_configILj256ELj4ELNS0_20block_sort_algorithmE0EEENS0_14default_configENS1_37merge_sort_block_sort_config_selectorIyNS0_10empty_typeEEENS1_38merge_sort_block_merge_config_selectorIySF_EEEEvv
    .private_segment_fixed_size: 0
    .sgpr_count:     6
    .sgpr_spill_count: 0
    .symbol:         _ZN7rocprim17ROCPRIM_400000_NS6detail44device_merge_sort_compile_time_verifier_archINS1_11comp_targetILNS1_3genE10ELNS1_11target_archE1200ELNS1_3gpuE4ELNS1_3repE0EEENS3_ILS4_10ELS5_1201ELS6_5ELS7_0EEENS1_28merge_sort_block_sort_configILj256ELj4ELNS0_20block_sort_algorithmE0EEENS0_14default_configENS1_37merge_sort_block_sort_config_selectorIyNS0_10empty_typeEEENS1_38merge_sort_block_merge_config_selectorIySF_EEEEvv.kd
    .uniform_work_group_size: 1
    .uses_dynamic_stack: false
    .vgpr_count:     0
    .vgpr_spill_count: 0
    .wavefront_size: 64
  - .agpr_count:     0
    .args:           []
    .group_segment_fixed_size: 0
    .kernarg_segment_align: 4
    .kernarg_segment_size: 0
    .language:       OpenCL C
    .language_version:
      - 2
      - 0
    .max_flat_workgroup_size: 1024
    .name:           _ZN7rocprim17ROCPRIM_400000_NS6detail44device_merge_sort_compile_time_verifier_archINS1_11comp_targetILNS1_3genE9ELNS1_11target_archE1100ELNS1_3gpuE3ELNS1_3repE0EEES8_NS1_28merge_sort_block_sort_configILj256ELj4ELNS0_20block_sort_algorithmE0EEENS0_14default_configENS1_37merge_sort_block_sort_config_selectorIyNS0_10empty_typeEEENS1_38merge_sort_block_merge_config_selectorIySE_EEEEvv
    .private_segment_fixed_size: 0
    .sgpr_count:     6
    .sgpr_spill_count: 0
    .symbol:         _ZN7rocprim17ROCPRIM_400000_NS6detail44device_merge_sort_compile_time_verifier_archINS1_11comp_targetILNS1_3genE9ELNS1_11target_archE1100ELNS1_3gpuE3ELNS1_3repE0EEES8_NS1_28merge_sort_block_sort_configILj256ELj4ELNS0_20block_sort_algorithmE0EEENS0_14default_configENS1_37merge_sort_block_sort_config_selectorIyNS0_10empty_typeEEENS1_38merge_sort_block_merge_config_selectorIySE_EEEEvv.kd
    .uniform_work_group_size: 1
    .uses_dynamic_stack: false
    .vgpr_count:     0
    .vgpr_spill_count: 0
    .wavefront_size: 64
  - .agpr_count:     0
    .args:           []
    .group_segment_fixed_size: 0
    .kernarg_segment_align: 4
    .kernarg_segment_size: 0
    .language:       OpenCL C
    .language_version:
      - 2
      - 0
    .max_flat_workgroup_size: 1024
    .name:           _ZN7rocprim17ROCPRIM_400000_NS6detail44device_merge_sort_compile_time_verifier_archINS1_11comp_targetILNS1_3genE8ELNS1_11target_archE1030ELNS1_3gpuE2ELNS1_3repE0EEES8_NS1_28merge_sort_block_sort_configILj256ELj4ELNS0_20block_sort_algorithmE0EEENS0_14default_configENS1_37merge_sort_block_sort_config_selectorIyNS0_10empty_typeEEENS1_38merge_sort_block_merge_config_selectorIySE_EEEEvv
    .private_segment_fixed_size: 0
    .sgpr_count:     6
    .sgpr_spill_count: 0
    .symbol:         _ZN7rocprim17ROCPRIM_400000_NS6detail44device_merge_sort_compile_time_verifier_archINS1_11comp_targetILNS1_3genE8ELNS1_11target_archE1030ELNS1_3gpuE2ELNS1_3repE0EEES8_NS1_28merge_sort_block_sort_configILj256ELj4ELNS0_20block_sort_algorithmE0EEENS0_14default_configENS1_37merge_sort_block_sort_config_selectorIyNS0_10empty_typeEEENS1_38merge_sort_block_merge_config_selectorIySE_EEEEvv.kd
    .uniform_work_group_size: 1
    .uses_dynamic_stack: false
    .vgpr_count:     0
    .vgpr_spill_count: 0
    .wavefront_size: 64
  - .agpr_count:     0
    .args:
      - .offset:         0
        .size:           40
        .value_kind:     by_value
    .group_segment_fixed_size: 0
    .kernarg_segment_align: 8
    .kernarg_segment_size: 40
    .language:       OpenCL C
    .language_version:
      - 2
      - 0
    .max_flat_workgroup_size: 128
    .name:           _ZN7rocprim17ROCPRIM_400000_NS6detail17trampoline_kernelINS0_14default_configENS1_38merge_sort_block_merge_config_selectorIyNS0_10empty_typeEEEZZNS1_27merge_sort_block_merge_implIS3_N6thrust23THRUST_200600_302600_NS6detail15normal_iteratorINS9_10device_ptrIyEEEEPS5_jNS1_19radix_merge_compareILb0ELb0EyNS0_19identity_decomposerEEEEE10hipError_tT0_T1_T2_jT3_P12ihipStream_tbPNSt15iterator_traitsISK_E10value_typeEPNSQ_ISL_E10value_typeEPSM_NS1_7vsmem_tEENKUlT_SK_SL_SM_E_clIPySE_SF_SF_EESJ_SZ_SK_SL_SM_EUlSZ_E_NS1_11comp_targetILNS1_3genE0ELNS1_11target_archE4294967295ELNS1_3gpuE0ELNS1_3repE0EEENS1_48merge_mergepath_partition_config_static_selectorELNS0_4arch9wavefront6targetE1EEEvSL_
    .private_segment_fixed_size: 0
    .sgpr_count:     6
    .sgpr_spill_count: 0
    .symbol:         _ZN7rocprim17ROCPRIM_400000_NS6detail17trampoline_kernelINS0_14default_configENS1_38merge_sort_block_merge_config_selectorIyNS0_10empty_typeEEEZZNS1_27merge_sort_block_merge_implIS3_N6thrust23THRUST_200600_302600_NS6detail15normal_iteratorINS9_10device_ptrIyEEEEPS5_jNS1_19radix_merge_compareILb0ELb0EyNS0_19identity_decomposerEEEEE10hipError_tT0_T1_T2_jT3_P12ihipStream_tbPNSt15iterator_traitsISK_E10value_typeEPNSQ_ISL_E10value_typeEPSM_NS1_7vsmem_tEENKUlT_SK_SL_SM_E_clIPySE_SF_SF_EESJ_SZ_SK_SL_SM_EUlSZ_E_NS1_11comp_targetILNS1_3genE0ELNS1_11target_archE4294967295ELNS1_3gpuE0ELNS1_3repE0EEENS1_48merge_mergepath_partition_config_static_selectorELNS0_4arch9wavefront6targetE1EEEvSL_.kd
    .uniform_work_group_size: 1
    .uses_dynamic_stack: false
    .vgpr_count:     0
    .vgpr_spill_count: 0
    .wavefront_size: 64
  - .agpr_count:     0
    .args:
      - .offset:         0
        .size:           40
        .value_kind:     by_value
    .group_segment_fixed_size: 0
    .kernarg_segment_align: 8
    .kernarg_segment_size: 40
    .language:       OpenCL C
    .language_version:
      - 2
      - 0
    .max_flat_workgroup_size: 128
    .name:           _ZN7rocprim17ROCPRIM_400000_NS6detail17trampoline_kernelINS0_14default_configENS1_38merge_sort_block_merge_config_selectorIyNS0_10empty_typeEEEZZNS1_27merge_sort_block_merge_implIS3_N6thrust23THRUST_200600_302600_NS6detail15normal_iteratorINS9_10device_ptrIyEEEEPS5_jNS1_19radix_merge_compareILb0ELb0EyNS0_19identity_decomposerEEEEE10hipError_tT0_T1_T2_jT3_P12ihipStream_tbPNSt15iterator_traitsISK_E10value_typeEPNSQ_ISL_E10value_typeEPSM_NS1_7vsmem_tEENKUlT_SK_SL_SM_E_clIPySE_SF_SF_EESJ_SZ_SK_SL_SM_EUlSZ_E_NS1_11comp_targetILNS1_3genE10ELNS1_11target_archE1201ELNS1_3gpuE5ELNS1_3repE0EEENS1_48merge_mergepath_partition_config_static_selectorELNS0_4arch9wavefront6targetE1EEEvSL_
    .private_segment_fixed_size: 0
    .sgpr_count:     6
    .sgpr_spill_count: 0
    .symbol:         _ZN7rocprim17ROCPRIM_400000_NS6detail17trampoline_kernelINS0_14default_configENS1_38merge_sort_block_merge_config_selectorIyNS0_10empty_typeEEEZZNS1_27merge_sort_block_merge_implIS3_N6thrust23THRUST_200600_302600_NS6detail15normal_iteratorINS9_10device_ptrIyEEEEPS5_jNS1_19radix_merge_compareILb0ELb0EyNS0_19identity_decomposerEEEEE10hipError_tT0_T1_T2_jT3_P12ihipStream_tbPNSt15iterator_traitsISK_E10value_typeEPNSQ_ISL_E10value_typeEPSM_NS1_7vsmem_tEENKUlT_SK_SL_SM_E_clIPySE_SF_SF_EESJ_SZ_SK_SL_SM_EUlSZ_E_NS1_11comp_targetILNS1_3genE10ELNS1_11target_archE1201ELNS1_3gpuE5ELNS1_3repE0EEENS1_48merge_mergepath_partition_config_static_selectorELNS0_4arch9wavefront6targetE1EEEvSL_.kd
    .uniform_work_group_size: 1
    .uses_dynamic_stack: false
    .vgpr_count:     0
    .vgpr_spill_count: 0
    .wavefront_size: 64
  - .agpr_count:     0
    .args:
      - .offset:         0
        .size:           40
        .value_kind:     by_value
    .group_segment_fixed_size: 0
    .kernarg_segment_align: 8
    .kernarg_segment_size: 40
    .language:       OpenCL C
    .language_version:
      - 2
      - 0
    .max_flat_workgroup_size: 128
    .name:           _ZN7rocprim17ROCPRIM_400000_NS6detail17trampoline_kernelINS0_14default_configENS1_38merge_sort_block_merge_config_selectorIyNS0_10empty_typeEEEZZNS1_27merge_sort_block_merge_implIS3_N6thrust23THRUST_200600_302600_NS6detail15normal_iteratorINS9_10device_ptrIyEEEEPS5_jNS1_19radix_merge_compareILb0ELb0EyNS0_19identity_decomposerEEEEE10hipError_tT0_T1_T2_jT3_P12ihipStream_tbPNSt15iterator_traitsISK_E10value_typeEPNSQ_ISL_E10value_typeEPSM_NS1_7vsmem_tEENKUlT_SK_SL_SM_E_clIPySE_SF_SF_EESJ_SZ_SK_SL_SM_EUlSZ_E_NS1_11comp_targetILNS1_3genE5ELNS1_11target_archE942ELNS1_3gpuE9ELNS1_3repE0EEENS1_48merge_mergepath_partition_config_static_selectorELNS0_4arch9wavefront6targetE1EEEvSL_
    .private_segment_fixed_size: 0
    .sgpr_count:     14
    .sgpr_spill_count: 0
    .symbol:         _ZN7rocprim17ROCPRIM_400000_NS6detail17trampoline_kernelINS0_14default_configENS1_38merge_sort_block_merge_config_selectorIyNS0_10empty_typeEEEZZNS1_27merge_sort_block_merge_implIS3_N6thrust23THRUST_200600_302600_NS6detail15normal_iteratorINS9_10device_ptrIyEEEEPS5_jNS1_19radix_merge_compareILb0ELb0EyNS0_19identity_decomposerEEEEE10hipError_tT0_T1_T2_jT3_P12ihipStream_tbPNSt15iterator_traitsISK_E10value_typeEPNSQ_ISL_E10value_typeEPSM_NS1_7vsmem_tEENKUlT_SK_SL_SM_E_clIPySE_SF_SF_EESJ_SZ_SK_SL_SM_EUlSZ_E_NS1_11comp_targetILNS1_3genE5ELNS1_11target_archE942ELNS1_3gpuE9ELNS1_3repE0EEENS1_48merge_mergepath_partition_config_static_selectorELNS0_4arch9wavefront6targetE1EEEvSL_.kd
    .uniform_work_group_size: 1
    .uses_dynamic_stack: false
    .vgpr_count:     20
    .vgpr_spill_count: 0
    .wavefront_size: 64
  - .agpr_count:     0
    .args:
      - .offset:         0
        .size:           40
        .value_kind:     by_value
    .group_segment_fixed_size: 0
    .kernarg_segment_align: 8
    .kernarg_segment_size: 40
    .language:       OpenCL C
    .language_version:
      - 2
      - 0
    .max_flat_workgroup_size: 128
    .name:           _ZN7rocprim17ROCPRIM_400000_NS6detail17trampoline_kernelINS0_14default_configENS1_38merge_sort_block_merge_config_selectorIyNS0_10empty_typeEEEZZNS1_27merge_sort_block_merge_implIS3_N6thrust23THRUST_200600_302600_NS6detail15normal_iteratorINS9_10device_ptrIyEEEEPS5_jNS1_19radix_merge_compareILb0ELb0EyNS0_19identity_decomposerEEEEE10hipError_tT0_T1_T2_jT3_P12ihipStream_tbPNSt15iterator_traitsISK_E10value_typeEPNSQ_ISL_E10value_typeEPSM_NS1_7vsmem_tEENKUlT_SK_SL_SM_E_clIPySE_SF_SF_EESJ_SZ_SK_SL_SM_EUlSZ_E_NS1_11comp_targetILNS1_3genE4ELNS1_11target_archE910ELNS1_3gpuE8ELNS1_3repE0EEENS1_48merge_mergepath_partition_config_static_selectorELNS0_4arch9wavefront6targetE1EEEvSL_
    .private_segment_fixed_size: 0
    .sgpr_count:     6
    .sgpr_spill_count: 0
    .symbol:         _ZN7rocprim17ROCPRIM_400000_NS6detail17trampoline_kernelINS0_14default_configENS1_38merge_sort_block_merge_config_selectorIyNS0_10empty_typeEEEZZNS1_27merge_sort_block_merge_implIS3_N6thrust23THRUST_200600_302600_NS6detail15normal_iteratorINS9_10device_ptrIyEEEEPS5_jNS1_19radix_merge_compareILb0ELb0EyNS0_19identity_decomposerEEEEE10hipError_tT0_T1_T2_jT3_P12ihipStream_tbPNSt15iterator_traitsISK_E10value_typeEPNSQ_ISL_E10value_typeEPSM_NS1_7vsmem_tEENKUlT_SK_SL_SM_E_clIPySE_SF_SF_EESJ_SZ_SK_SL_SM_EUlSZ_E_NS1_11comp_targetILNS1_3genE4ELNS1_11target_archE910ELNS1_3gpuE8ELNS1_3repE0EEENS1_48merge_mergepath_partition_config_static_selectorELNS0_4arch9wavefront6targetE1EEEvSL_.kd
    .uniform_work_group_size: 1
    .uses_dynamic_stack: false
    .vgpr_count:     0
    .vgpr_spill_count: 0
    .wavefront_size: 64
  - .agpr_count:     0
    .args:
      - .offset:         0
        .size:           40
        .value_kind:     by_value
    .group_segment_fixed_size: 0
    .kernarg_segment_align: 8
    .kernarg_segment_size: 40
    .language:       OpenCL C
    .language_version:
      - 2
      - 0
    .max_flat_workgroup_size: 128
    .name:           _ZN7rocprim17ROCPRIM_400000_NS6detail17trampoline_kernelINS0_14default_configENS1_38merge_sort_block_merge_config_selectorIyNS0_10empty_typeEEEZZNS1_27merge_sort_block_merge_implIS3_N6thrust23THRUST_200600_302600_NS6detail15normal_iteratorINS9_10device_ptrIyEEEEPS5_jNS1_19radix_merge_compareILb0ELb0EyNS0_19identity_decomposerEEEEE10hipError_tT0_T1_T2_jT3_P12ihipStream_tbPNSt15iterator_traitsISK_E10value_typeEPNSQ_ISL_E10value_typeEPSM_NS1_7vsmem_tEENKUlT_SK_SL_SM_E_clIPySE_SF_SF_EESJ_SZ_SK_SL_SM_EUlSZ_E_NS1_11comp_targetILNS1_3genE3ELNS1_11target_archE908ELNS1_3gpuE7ELNS1_3repE0EEENS1_48merge_mergepath_partition_config_static_selectorELNS0_4arch9wavefront6targetE1EEEvSL_
    .private_segment_fixed_size: 0
    .sgpr_count:     6
    .sgpr_spill_count: 0
    .symbol:         _ZN7rocprim17ROCPRIM_400000_NS6detail17trampoline_kernelINS0_14default_configENS1_38merge_sort_block_merge_config_selectorIyNS0_10empty_typeEEEZZNS1_27merge_sort_block_merge_implIS3_N6thrust23THRUST_200600_302600_NS6detail15normal_iteratorINS9_10device_ptrIyEEEEPS5_jNS1_19radix_merge_compareILb0ELb0EyNS0_19identity_decomposerEEEEE10hipError_tT0_T1_T2_jT3_P12ihipStream_tbPNSt15iterator_traitsISK_E10value_typeEPNSQ_ISL_E10value_typeEPSM_NS1_7vsmem_tEENKUlT_SK_SL_SM_E_clIPySE_SF_SF_EESJ_SZ_SK_SL_SM_EUlSZ_E_NS1_11comp_targetILNS1_3genE3ELNS1_11target_archE908ELNS1_3gpuE7ELNS1_3repE0EEENS1_48merge_mergepath_partition_config_static_selectorELNS0_4arch9wavefront6targetE1EEEvSL_.kd
    .uniform_work_group_size: 1
    .uses_dynamic_stack: false
    .vgpr_count:     0
    .vgpr_spill_count: 0
    .wavefront_size: 64
  - .agpr_count:     0
    .args:
      - .offset:         0
        .size:           40
        .value_kind:     by_value
    .group_segment_fixed_size: 0
    .kernarg_segment_align: 8
    .kernarg_segment_size: 40
    .language:       OpenCL C
    .language_version:
      - 2
      - 0
    .max_flat_workgroup_size: 128
    .name:           _ZN7rocprim17ROCPRIM_400000_NS6detail17trampoline_kernelINS0_14default_configENS1_38merge_sort_block_merge_config_selectorIyNS0_10empty_typeEEEZZNS1_27merge_sort_block_merge_implIS3_N6thrust23THRUST_200600_302600_NS6detail15normal_iteratorINS9_10device_ptrIyEEEEPS5_jNS1_19radix_merge_compareILb0ELb0EyNS0_19identity_decomposerEEEEE10hipError_tT0_T1_T2_jT3_P12ihipStream_tbPNSt15iterator_traitsISK_E10value_typeEPNSQ_ISL_E10value_typeEPSM_NS1_7vsmem_tEENKUlT_SK_SL_SM_E_clIPySE_SF_SF_EESJ_SZ_SK_SL_SM_EUlSZ_E_NS1_11comp_targetILNS1_3genE2ELNS1_11target_archE906ELNS1_3gpuE6ELNS1_3repE0EEENS1_48merge_mergepath_partition_config_static_selectorELNS0_4arch9wavefront6targetE1EEEvSL_
    .private_segment_fixed_size: 0
    .sgpr_count:     6
    .sgpr_spill_count: 0
    .symbol:         _ZN7rocprim17ROCPRIM_400000_NS6detail17trampoline_kernelINS0_14default_configENS1_38merge_sort_block_merge_config_selectorIyNS0_10empty_typeEEEZZNS1_27merge_sort_block_merge_implIS3_N6thrust23THRUST_200600_302600_NS6detail15normal_iteratorINS9_10device_ptrIyEEEEPS5_jNS1_19radix_merge_compareILb0ELb0EyNS0_19identity_decomposerEEEEE10hipError_tT0_T1_T2_jT3_P12ihipStream_tbPNSt15iterator_traitsISK_E10value_typeEPNSQ_ISL_E10value_typeEPSM_NS1_7vsmem_tEENKUlT_SK_SL_SM_E_clIPySE_SF_SF_EESJ_SZ_SK_SL_SM_EUlSZ_E_NS1_11comp_targetILNS1_3genE2ELNS1_11target_archE906ELNS1_3gpuE6ELNS1_3repE0EEENS1_48merge_mergepath_partition_config_static_selectorELNS0_4arch9wavefront6targetE1EEEvSL_.kd
    .uniform_work_group_size: 1
    .uses_dynamic_stack: false
    .vgpr_count:     0
    .vgpr_spill_count: 0
    .wavefront_size: 64
  - .agpr_count:     0
    .args:
      - .offset:         0
        .size:           40
        .value_kind:     by_value
    .group_segment_fixed_size: 0
    .kernarg_segment_align: 8
    .kernarg_segment_size: 40
    .language:       OpenCL C
    .language_version:
      - 2
      - 0
    .max_flat_workgroup_size: 128
    .name:           _ZN7rocprim17ROCPRIM_400000_NS6detail17trampoline_kernelINS0_14default_configENS1_38merge_sort_block_merge_config_selectorIyNS0_10empty_typeEEEZZNS1_27merge_sort_block_merge_implIS3_N6thrust23THRUST_200600_302600_NS6detail15normal_iteratorINS9_10device_ptrIyEEEEPS5_jNS1_19radix_merge_compareILb0ELb0EyNS0_19identity_decomposerEEEEE10hipError_tT0_T1_T2_jT3_P12ihipStream_tbPNSt15iterator_traitsISK_E10value_typeEPNSQ_ISL_E10value_typeEPSM_NS1_7vsmem_tEENKUlT_SK_SL_SM_E_clIPySE_SF_SF_EESJ_SZ_SK_SL_SM_EUlSZ_E_NS1_11comp_targetILNS1_3genE9ELNS1_11target_archE1100ELNS1_3gpuE3ELNS1_3repE0EEENS1_48merge_mergepath_partition_config_static_selectorELNS0_4arch9wavefront6targetE1EEEvSL_
    .private_segment_fixed_size: 0
    .sgpr_count:     6
    .sgpr_spill_count: 0
    .symbol:         _ZN7rocprim17ROCPRIM_400000_NS6detail17trampoline_kernelINS0_14default_configENS1_38merge_sort_block_merge_config_selectorIyNS0_10empty_typeEEEZZNS1_27merge_sort_block_merge_implIS3_N6thrust23THRUST_200600_302600_NS6detail15normal_iteratorINS9_10device_ptrIyEEEEPS5_jNS1_19radix_merge_compareILb0ELb0EyNS0_19identity_decomposerEEEEE10hipError_tT0_T1_T2_jT3_P12ihipStream_tbPNSt15iterator_traitsISK_E10value_typeEPNSQ_ISL_E10value_typeEPSM_NS1_7vsmem_tEENKUlT_SK_SL_SM_E_clIPySE_SF_SF_EESJ_SZ_SK_SL_SM_EUlSZ_E_NS1_11comp_targetILNS1_3genE9ELNS1_11target_archE1100ELNS1_3gpuE3ELNS1_3repE0EEENS1_48merge_mergepath_partition_config_static_selectorELNS0_4arch9wavefront6targetE1EEEvSL_.kd
    .uniform_work_group_size: 1
    .uses_dynamic_stack: false
    .vgpr_count:     0
    .vgpr_spill_count: 0
    .wavefront_size: 64
  - .agpr_count:     0
    .args:
      - .offset:         0
        .size:           40
        .value_kind:     by_value
    .group_segment_fixed_size: 0
    .kernarg_segment_align: 8
    .kernarg_segment_size: 40
    .language:       OpenCL C
    .language_version:
      - 2
      - 0
    .max_flat_workgroup_size: 128
    .name:           _ZN7rocprim17ROCPRIM_400000_NS6detail17trampoline_kernelINS0_14default_configENS1_38merge_sort_block_merge_config_selectorIyNS0_10empty_typeEEEZZNS1_27merge_sort_block_merge_implIS3_N6thrust23THRUST_200600_302600_NS6detail15normal_iteratorINS9_10device_ptrIyEEEEPS5_jNS1_19radix_merge_compareILb0ELb0EyNS0_19identity_decomposerEEEEE10hipError_tT0_T1_T2_jT3_P12ihipStream_tbPNSt15iterator_traitsISK_E10value_typeEPNSQ_ISL_E10value_typeEPSM_NS1_7vsmem_tEENKUlT_SK_SL_SM_E_clIPySE_SF_SF_EESJ_SZ_SK_SL_SM_EUlSZ_E_NS1_11comp_targetILNS1_3genE8ELNS1_11target_archE1030ELNS1_3gpuE2ELNS1_3repE0EEENS1_48merge_mergepath_partition_config_static_selectorELNS0_4arch9wavefront6targetE1EEEvSL_
    .private_segment_fixed_size: 0
    .sgpr_count:     6
    .sgpr_spill_count: 0
    .symbol:         _ZN7rocprim17ROCPRIM_400000_NS6detail17trampoline_kernelINS0_14default_configENS1_38merge_sort_block_merge_config_selectorIyNS0_10empty_typeEEEZZNS1_27merge_sort_block_merge_implIS3_N6thrust23THRUST_200600_302600_NS6detail15normal_iteratorINS9_10device_ptrIyEEEEPS5_jNS1_19radix_merge_compareILb0ELb0EyNS0_19identity_decomposerEEEEE10hipError_tT0_T1_T2_jT3_P12ihipStream_tbPNSt15iterator_traitsISK_E10value_typeEPNSQ_ISL_E10value_typeEPSM_NS1_7vsmem_tEENKUlT_SK_SL_SM_E_clIPySE_SF_SF_EESJ_SZ_SK_SL_SM_EUlSZ_E_NS1_11comp_targetILNS1_3genE8ELNS1_11target_archE1030ELNS1_3gpuE2ELNS1_3repE0EEENS1_48merge_mergepath_partition_config_static_selectorELNS0_4arch9wavefront6targetE1EEEvSL_.kd
    .uniform_work_group_size: 1
    .uses_dynamic_stack: false
    .vgpr_count:     0
    .vgpr_spill_count: 0
    .wavefront_size: 64
  - .agpr_count:     0
    .args:
      - .offset:         0
        .size:           64
        .value_kind:     by_value
    .group_segment_fixed_size: 0
    .kernarg_segment_align: 8
    .kernarg_segment_size: 64
    .language:       OpenCL C
    .language_version:
      - 2
      - 0
    .max_flat_workgroup_size: 128
    .name:           _ZN7rocprim17ROCPRIM_400000_NS6detail17trampoline_kernelINS0_14default_configENS1_38merge_sort_block_merge_config_selectorIyNS0_10empty_typeEEEZZNS1_27merge_sort_block_merge_implIS3_N6thrust23THRUST_200600_302600_NS6detail15normal_iteratorINS9_10device_ptrIyEEEEPS5_jNS1_19radix_merge_compareILb0ELb0EyNS0_19identity_decomposerEEEEE10hipError_tT0_T1_T2_jT3_P12ihipStream_tbPNSt15iterator_traitsISK_E10value_typeEPNSQ_ISL_E10value_typeEPSM_NS1_7vsmem_tEENKUlT_SK_SL_SM_E_clIPySE_SF_SF_EESJ_SZ_SK_SL_SM_EUlSZ_E0_NS1_11comp_targetILNS1_3genE0ELNS1_11target_archE4294967295ELNS1_3gpuE0ELNS1_3repE0EEENS1_38merge_mergepath_config_static_selectorELNS0_4arch9wavefront6targetE1EEEvSL_
    .private_segment_fixed_size: 0
    .sgpr_count:     6
    .sgpr_spill_count: 0
    .symbol:         _ZN7rocprim17ROCPRIM_400000_NS6detail17trampoline_kernelINS0_14default_configENS1_38merge_sort_block_merge_config_selectorIyNS0_10empty_typeEEEZZNS1_27merge_sort_block_merge_implIS3_N6thrust23THRUST_200600_302600_NS6detail15normal_iteratorINS9_10device_ptrIyEEEEPS5_jNS1_19radix_merge_compareILb0ELb0EyNS0_19identity_decomposerEEEEE10hipError_tT0_T1_T2_jT3_P12ihipStream_tbPNSt15iterator_traitsISK_E10value_typeEPNSQ_ISL_E10value_typeEPSM_NS1_7vsmem_tEENKUlT_SK_SL_SM_E_clIPySE_SF_SF_EESJ_SZ_SK_SL_SM_EUlSZ_E0_NS1_11comp_targetILNS1_3genE0ELNS1_11target_archE4294967295ELNS1_3gpuE0ELNS1_3repE0EEENS1_38merge_mergepath_config_static_selectorELNS0_4arch9wavefront6targetE1EEEvSL_.kd
    .uniform_work_group_size: 1
    .uses_dynamic_stack: false
    .vgpr_count:     0
    .vgpr_spill_count: 0
    .wavefront_size: 64
  - .agpr_count:     0
    .args:
      - .offset:         0
        .size:           64
        .value_kind:     by_value
    .group_segment_fixed_size: 0
    .kernarg_segment_align: 8
    .kernarg_segment_size: 64
    .language:       OpenCL C
    .language_version:
      - 2
      - 0
    .max_flat_workgroup_size: 512
    .name:           _ZN7rocprim17ROCPRIM_400000_NS6detail17trampoline_kernelINS0_14default_configENS1_38merge_sort_block_merge_config_selectorIyNS0_10empty_typeEEEZZNS1_27merge_sort_block_merge_implIS3_N6thrust23THRUST_200600_302600_NS6detail15normal_iteratorINS9_10device_ptrIyEEEEPS5_jNS1_19radix_merge_compareILb0ELb0EyNS0_19identity_decomposerEEEEE10hipError_tT0_T1_T2_jT3_P12ihipStream_tbPNSt15iterator_traitsISK_E10value_typeEPNSQ_ISL_E10value_typeEPSM_NS1_7vsmem_tEENKUlT_SK_SL_SM_E_clIPySE_SF_SF_EESJ_SZ_SK_SL_SM_EUlSZ_E0_NS1_11comp_targetILNS1_3genE10ELNS1_11target_archE1201ELNS1_3gpuE5ELNS1_3repE0EEENS1_38merge_mergepath_config_static_selectorELNS0_4arch9wavefront6targetE1EEEvSL_
    .private_segment_fixed_size: 0
    .sgpr_count:     6
    .sgpr_spill_count: 0
    .symbol:         _ZN7rocprim17ROCPRIM_400000_NS6detail17trampoline_kernelINS0_14default_configENS1_38merge_sort_block_merge_config_selectorIyNS0_10empty_typeEEEZZNS1_27merge_sort_block_merge_implIS3_N6thrust23THRUST_200600_302600_NS6detail15normal_iteratorINS9_10device_ptrIyEEEEPS5_jNS1_19radix_merge_compareILb0ELb0EyNS0_19identity_decomposerEEEEE10hipError_tT0_T1_T2_jT3_P12ihipStream_tbPNSt15iterator_traitsISK_E10value_typeEPNSQ_ISL_E10value_typeEPSM_NS1_7vsmem_tEENKUlT_SK_SL_SM_E_clIPySE_SF_SF_EESJ_SZ_SK_SL_SM_EUlSZ_E0_NS1_11comp_targetILNS1_3genE10ELNS1_11target_archE1201ELNS1_3gpuE5ELNS1_3repE0EEENS1_38merge_mergepath_config_static_selectorELNS0_4arch9wavefront6targetE1EEEvSL_.kd
    .uniform_work_group_size: 1
    .uses_dynamic_stack: false
    .vgpr_count:     0
    .vgpr_spill_count: 0
    .wavefront_size: 64
  - .agpr_count:     0
    .args:
      - .offset:         0
        .size:           64
        .value_kind:     by_value
      - .offset:         64
        .size:           4
        .value_kind:     hidden_block_count_x
      - .offset:         68
        .size:           4
        .value_kind:     hidden_block_count_y
      - .offset:         72
        .size:           4
        .value_kind:     hidden_block_count_z
      - .offset:         76
        .size:           2
        .value_kind:     hidden_group_size_x
      - .offset:         78
        .size:           2
        .value_kind:     hidden_group_size_y
      - .offset:         80
        .size:           2
        .value_kind:     hidden_group_size_z
      - .offset:         82
        .size:           2
        .value_kind:     hidden_remainder_x
      - .offset:         84
        .size:           2
        .value_kind:     hidden_remainder_y
      - .offset:         86
        .size:           2
        .value_kind:     hidden_remainder_z
      - .offset:         104
        .size:           8
        .value_kind:     hidden_global_offset_x
      - .offset:         112
        .size:           8
        .value_kind:     hidden_global_offset_y
      - .offset:         120
        .size:           8
        .value_kind:     hidden_global_offset_z
      - .offset:         128
        .size:           2
        .value_kind:     hidden_grid_dims
    .group_segment_fixed_size: 8448
    .kernarg_segment_align: 8
    .kernarg_segment_size: 320
    .language:       OpenCL C
    .language_version:
      - 2
      - 0
    .max_flat_workgroup_size: 128
    .name:           _ZN7rocprim17ROCPRIM_400000_NS6detail17trampoline_kernelINS0_14default_configENS1_38merge_sort_block_merge_config_selectorIyNS0_10empty_typeEEEZZNS1_27merge_sort_block_merge_implIS3_N6thrust23THRUST_200600_302600_NS6detail15normal_iteratorINS9_10device_ptrIyEEEEPS5_jNS1_19radix_merge_compareILb0ELb0EyNS0_19identity_decomposerEEEEE10hipError_tT0_T1_T2_jT3_P12ihipStream_tbPNSt15iterator_traitsISK_E10value_typeEPNSQ_ISL_E10value_typeEPSM_NS1_7vsmem_tEENKUlT_SK_SL_SM_E_clIPySE_SF_SF_EESJ_SZ_SK_SL_SM_EUlSZ_E0_NS1_11comp_targetILNS1_3genE5ELNS1_11target_archE942ELNS1_3gpuE9ELNS1_3repE0EEENS1_38merge_mergepath_config_static_selectorELNS0_4arch9wavefront6targetE1EEEvSL_
    .private_segment_fixed_size: 0
    .sgpr_count:     29
    .sgpr_spill_count: 0
    .symbol:         _ZN7rocprim17ROCPRIM_400000_NS6detail17trampoline_kernelINS0_14default_configENS1_38merge_sort_block_merge_config_selectorIyNS0_10empty_typeEEEZZNS1_27merge_sort_block_merge_implIS3_N6thrust23THRUST_200600_302600_NS6detail15normal_iteratorINS9_10device_ptrIyEEEEPS5_jNS1_19radix_merge_compareILb0ELb0EyNS0_19identity_decomposerEEEEE10hipError_tT0_T1_T2_jT3_P12ihipStream_tbPNSt15iterator_traitsISK_E10value_typeEPNSQ_ISL_E10value_typeEPSM_NS1_7vsmem_tEENKUlT_SK_SL_SM_E_clIPySE_SF_SF_EESJ_SZ_SK_SL_SM_EUlSZ_E0_NS1_11comp_targetILNS1_3genE5ELNS1_11target_archE942ELNS1_3gpuE9ELNS1_3repE0EEENS1_38merge_mergepath_config_static_selectorELNS0_4arch9wavefront6targetE1EEEvSL_.kd
    .uniform_work_group_size: 1
    .uses_dynamic_stack: false
    .vgpr_count:     34
    .vgpr_spill_count: 0
    .wavefront_size: 64
  - .agpr_count:     0
    .args:
      - .offset:         0
        .size:           64
        .value_kind:     by_value
    .group_segment_fixed_size: 0
    .kernarg_segment_align: 8
    .kernarg_segment_size: 64
    .language:       OpenCL C
    .language_version:
      - 2
      - 0
    .max_flat_workgroup_size: 256
    .name:           _ZN7rocprim17ROCPRIM_400000_NS6detail17trampoline_kernelINS0_14default_configENS1_38merge_sort_block_merge_config_selectorIyNS0_10empty_typeEEEZZNS1_27merge_sort_block_merge_implIS3_N6thrust23THRUST_200600_302600_NS6detail15normal_iteratorINS9_10device_ptrIyEEEEPS5_jNS1_19radix_merge_compareILb0ELb0EyNS0_19identity_decomposerEEEEE10hipError_tT0_T1_T2_jT3_P12ihipStream_tbPNSt15iterator_traitsISK_E10value_typeEPNSQ_ISL_E10value_typeEPSM_NS1_7vsmem_tEENKUlT_SK_SL_SM_E_clIPySE_SF_SF_EESJ_SZ_SK_SL_SM_EUlSZ_E0_NS1_11comp_targetILNS1_3genE4ELNS1_11target_archE910ELNS1_3gpuE8ELNS1_3repE0EEENS1_38merge_mergepath_config_static_selectorELNS0_4arch9wavefront6targetE1EEEvSL_
    .private_segment_fixed_size: 0
    .sgpr_count:     6
    .sgpr_spill_count: 0
    .symbol:         _ZN7rocprim17ROCPRIM_400000_NS6detail17trampoline_kernelINS0_14default_configENS1_38merge_sort_block_merge_config_selectorIyNS0_10empty_typeEEEZZNS1_27merge_sort_block_merge_implIS3_N6thrust23THRUST_200600_302600_NS6detail15normal_iteratorINS9_10device_ptrIyEEEEPS5_jNS1_19radix_merge_compareILb0ELb0EyNS0_19identity_decomposerEEEEE10hipError_tT0_T1_T2_jT3_P12ihipStream_tbPNSt15iterator_traitsISK_E10value_typeEPNSQ_ISL_E10value_typeEPSM_NS1_7vsmem_tEENKUlT_SK_SL_SM_E_clIPySE_SF_SF_EESJ_SZ_SK_SL_SM_EUlSZ_E0_NS1_11comp_targetILNS1_3genE4ELNS1_11target_archE910ELNS1_3gpuE8ELNS1_3repE0EEENS1_38merge_mergepath_config_static_selectorELNS0_4arch9wavefront6targetE1EEEvSL_.kd
    .uniform_work_group_size: 1
    .uses_dynamic_stack: false
    .vgpr_count:     0
    .vgpr_spill_count: 0
    .wavefront_size: 64
  - .agpr_count:     0
    .args:
      - .offset:         0
        .size:           64
        .value_kind:     by_value
    .group_segment_fixed_size: 0
    .kernarg_segment_align: 8
    .kernarg_segment_size: 64
    .language:       OpenCL C
    .language_version:
      - 2
      - 0
    .max_flat_workgroup_size: 128
    .name:           _ZN7rocprim17ROCPRIM_400000_NS6detail17trampoline_kernelINS0_14default_configENS1_38merge_sort_block_merge_config_selectorIyNS0_10empty_typeEEEZZNS1_27merge_sort_block_merge_implIS3_N6thrust23THRUST_200600_302600_NS6detail15normal_iteratorINS9_10device_ptrIyEEEEPS5_jNS1_19radix_merge_compareILb0ELb0EyNS0_19identity_decomposerEEEEE10hipError_tT0_T1_T2_jT3_P12ihipStream_tbPNSt15iterator_traitsISK_E10value_typeEPNSQ_ISL_E10value_typeEPSM_NS1_7vsmem_tEENKUlT_SK_SL_SM_E_clIPySE_SF_SF_EESJ_SZ_SK_SL_SM_EUlSZ_E0_NS1_11comp_targetILNS1_3genE3ELNS1_11target_archE908ELNS1_3gpuE7ELNS1_3repE0EEENS1_38merge_mergepath_config_static_selectorELNS0_4arch9wavefront6targetE1EEEvSL_
    .private_segment_fixed_size: 0
    .sgpr_count:     6
    .sgpr_spill_count: 0
    .symbol:         _ZN7rocprim17ROCPRIM_400000_NS6detail17trampoline_kernelINS0_14default_configENS1_38merge_sort_block_merge_config_selectorIyNS0_10empty_typeEEEZZNS1_27merge_sort_block_merge_implIS3_N6thrust23THRUST_200600_302600_NS6detail15normal_iteratorINS9_10device_ptrIyEEEEPS5_jNS1_19radix_merge_compareILb0ELb0EyNS0_19identity_decomposerEEEEE10hipError_tT0_T1_T2_jT3_P12ihipStream_tbPNSt15iterator_traitsISK_E10value_typeEPNSQ_ISL_E10value_typeEPSM_NS1_7vsmem_tEENKUlT_SK_SL_SM_E_clIPySE_SF_SF_EESJ_SZ_SK_SL_SM_EUlSZ_E0_NS1_11comp_targetILNS1_3genE3ELNS1_11target_archE908ELNS1_3gpuE7ELNS1_3repE0EEENS1_38merge_mergepath_config_static_selectorELNS0_4arch9wavefront6targetE1EEEvSL_.kd
    .uniform_work_group_size: 1
    .uses_dynamic_stack: false
    .vgpr_count:     0
    .vgpr_spill_count: 0
    .wavefront_size: 64
  - .agpr_count:     0
    .args:
      - .offset:         0
        .size:           64
        .value_kind:     by_value
    .group_segment_fixed_size: 0
    .kernarg_segment_align: 8
    .kernarg_segment_size: 64
    .language:       OpenCL C
    .language_version:
      - 2
      - 0
    .max_flat_workgroup_size: 256
    .name:           _ZN7rocprim17ROCPRIM_400000_NS6detail17trampoline_kernelINS0_14default_configENS1_38merge_sort_block_merge_config_selectorIyNS0_10empty_typeEEEZZNS1_27merge_sort_block_merge_implIS3_N6thrust23THRUST_200600_302600_NS6detail15normal_iteratorINS9_10device_ptrIyEEEEPS5_jNS1_19radix_merge_compareILb0ELb0EyNS0_19identity_decomposerEEEEE10hipError_tT0_T1_T2_jT3_P12ihipStream_tbPNSt15iterator_traitsISK_E10value_typeEPNSQ_ISL_E10value_typeEPSM_NS1_7vsmem_tEENKUlT_SK_SL_SM_E_clIPySE_SF_SF_EESJ_SZ_SK_SL_SM_EUlSZ_E0_NS1_11comp_targetILNS1_3genE2ELNS1_11target_archE906ELNS1_3gpuE6ELNS1_3repE0EEENS1_38merge_mergepath_config_static_selectorELNS0_4arch9wavefront6targetE1EEEvSL_
    .private_segment_fixed_size: 0
    .sgpr_count:     6
    .sgpr_spill_count: 0
    .symbol:         _ZN7rocprim17ROCPRIM_400000_NS6detail17trampoline_kernelINS0_14default_configENS1_38merge_sort_block_merge_config_selectorIyNS0_10empty_typeEEEZZNS1_27merge_sort_block_merge_implIS3_N6thrust23THRUST_200600_302600_NS6detail15normal_iteratorINS9_10device_ptrIyEEEEPS5_jNS1_19radix_merge_compareILb0ELb0EyNS0_19identity_decomposerEEEEE10hipError_tT0_T1_T2_jT3_P12ihipStream_tbPNSt15iterator_traitsISK_E10value_typeEPNSQ_ISL_E10value_typeEPSM_NS1_7vsmem_tEENKUlT_SK_SL_SM_E_clIPySE_SF_SF_EESJ_SZ_SK_SL_SM_EUlSZ_E0_NS1_11comp_targetILNS1_3genE2ELNS1_11target_archE906ELNS1_3gpuE6ELNS1_3repE0EEENS1_38merge_mergepath_config_static_selectorELNS0_4arch9wavefront6targetE1EEEvSL_.kd
    .uniform_work_group_size: 1
    .uses_dynamic_stack: false
    .vgpr_count:     0
    .vgpr_spill_count: 0
    .wavefront_size: 64
  - .agpr_count:     0
    .args:
      - .offset:         0
        .size:           64
        .value_kind:     by_value
    .group_segment_fixed_size: 0
    .kernarg_segment_align: 8
    .kernarg_segment_size: 64
    .language:       OpenCL C
    .language_version:
      - 2
      - 0
    .max_flat_workgroup_size: 512
    .name:           _ZN7rocprim17ROCPRIM_400000_NS6detail17trampoline_kernelINS0_14default_configENS1_38merge_sort_block_merge_config_selectorIyNS0_10empty_typeEEEZZNS1_27merge_sort_block_merge_implIS3_N6thrust23THRUST_200600_302600_NS6detail15normal_iteratorINS9_10device_ptrIyEEEEPS5_jNS1_19radix_merge_compareILb0ELb0EyNS0_19identity_decomposerEEEEE10hipError_tT0_T1_T2_jT3_P12ihipStream_tbPNSt15iterator_traitsISK_E10value_typeEPNSQ_ISL_E10value_typeEPSM_NS1_7vsmem_tEENKUlT_SK_SL_SM_E_clIPySE_SF_SF_EESJ_SZ_SK_SL_SM_EUlSZ_E0_NS1_11comp_targetILNS1_3genE9ELNS1_11target_archE1100ELNS1_3gpuE3ELNS1_3repE0EEENS1_38merge_mergepath_config_static_selectorELNS0_4arch9wavefront6targetE1EEEvSL_
    .private_segment_fixed_size: 0
    .sgpr_count:     6
    .sgpr_spill_count: 0
    .symbol:         _ZN7rocprim17ROCPRIM_400000_NS6detail17trampoline_kernelINS0_14default_configENS1_38merge_sort_block_merge_config_selectorIyNS0_10empty_typeEEEZZNS1_27merge_sort_block_merge_implIS3_N6thrust23THRUST_200600_302600_NS6detail15normal_iteratorINS9_10device_ptrIyEEEEPS5_jNS1_19radix_merge_compareILb0ELb0EyNS0_19identity_decomposerEEEEE10hipError_tT0_T1_T2_jT3_P12ihipStream_tbPNSt15iterator_traitsISK_E10value_typeEPNSQ_ISL_E10value_typeEPSM_NS1_7vsmem_tEENKUlT_SK_SL_SM_E_clIPySE_SF_SF_EESJ_SZ_SK_SL_SM_EUlSZ_E0_NS1_11comp_targetILNS1_3genE9ELNS1_11target_archE1100ELNS1_3gpuE3ELNS1_3repE0EEENS1_38merge_mergepath_config_static_selectorELNS0_4arch9wavefront6targetE1EEEvSL_.kd
    .uniform_work_group_size: 1
    .uses_dynamic_stack: false
    .vgpr_count:     0
    .vgpr_spill_count: 0
    .wavefront_size: 64
  - .agpr_count:     0
    .args:
      - .offset:         0
        .size:           64
        .value_kind:     by_value
    .group_segment_fixed_size: 0
    .kernarg_segment_align: 8
    .kernarg_segment_size: 64
    .language:       OpenCL C
    .language_version:
      - 2
      - 0
    .max_flat_workgroup_size: 1024
    .name:           _ZN7rocprim17ROCPRIM_400000_NS6detail17trampoline_kernelINS0_14default_configENS1_38merge_sort_block_merge_config_selectorIyNS0_10empty_typeEEEZZNS1_27merge_sort_block_merge_implIS3_N6thrust23THRUST_200600_302600_NS6detail15normal_iteratorINS9_10device_ptrIyEEEEPS5_jNS1_19radix_merge_compareILb0ELb0EyNS0_19identity_decomposerEEEEE10hipError_tT0_T1_T2_jT3_P12ihipStream_tbPNSt15iterator_traitsISK_E10value_typeEPNSQ_ISL_E10value_typeEPSM_NS1_7vsmem_tEENKUlT_SK_SL_SM_E_clIPySE_SF_SF_EESJ_SZ_SK_SL_SM_EUlSZ_E0_NS1_11comp_targetILNS1_3genE8ELNS1_11target_archE1030ELNS1_3gpuE2ELNS1_3repE0EEENS1_38merge_mergepath_config_static_selectorELNS0_4arch9wavefront6targetE1EEEvSL_
    .private_segment_fixed_size: 0
    .sgpr_count:     6
    .sgpr_spill_count: 0
    .symbol:         _ZN7rocprim17ROCPRIM_400000_NS6detail17trampoline_kernelINS0_14default_configENS1_38merge_sort_block_merge_config_selectorIyNS0_10empty_typeEEEZZNS1_27merge_sort_block_merge_implIS3_N6thrust23THRUST_200600_302600_NS6detail15normal_iteratorINS9_10device_ptrIyEEEEPS5_jNS1_19radix_merge_compareILb0ELb0EyNS0_19identity_decomposerEEEEE10hipError_tT0_T1_T2_jT3_P12ihipStream_tbPNSt15iterator_traitsISK_E10value_typeEPNSQ_ISL_E10value_typeEPSM_NS1_7vsmem_tEENKUlT_SK_SL_SM_E_clIPySE_SF_SF_EESJ_SZ_SK_SL_SM_EUlSZ_E0_NS1_11comp_targetILNS1_3genE8ELNS1_11target_archE1030ELNS1_3gpuE2ELNS1_3repE0EEENS1_38merge_mergepath_config_static_selectorELNS0_4arch9wavefront6targetE1EEEvSL_.kd
    .uniform_work_group_size: 1
    .uses_dynamic_stack: false
    .vgpr_count:     0
    .vgpr_spill_count: 0
    .wavefront_size: 64
  - .agpr_count:     0
    .args:
      - .offset:         0
        .size:           48
        .value_kind:     by_value
    .group_segment_fixed_size: 0
    .kernarg_segment_align: 8
    .kernarg_segment_size: 48
    .language:       OpenCL C
    .language_version:
      - 2
      - 0
    .max_flat_workgroup_size: 256
    .name:           _ZN7rocprim17ROCPRIM_400000_NS6detail17trampoline_kernelINS0_14default_configENS1_38merge_sort_block_merge_config_selectorIyNS0_10empty_typeEEEZZNS1_27merge_sort_block_merge_implIS3_N6thrust23THRUST_200600_302600_NS6detail15normal_iteratorINS9_10device_ptrIyEEEEPS5_jNS1_19radix_merge_compareILb0ELb0EyNS0_19identity_decomposerEEEEE10hipError_tT0_T1_T2_jT3_P12ihipStream_tbPNSt15iterator_traitsISK_E10value_typeEPNSQ_ISL_E10value_typeEPSM_NS1_7vsmem_tEENKUlT_SK_SL_SM_E_clIPySE_SF_SF_EESJ_SZ_SK_SL_SM_EUlSZ_E1_NS1_11comp_targetILNS1_3genE0ELNS1_11target_archE4294967295ELNS1_3gpuE0ELNS1_3repE0EEENS1_36merge_oddeven_config_static_selectorELNS0_4arch9wavefront6targetE1EEEvSL_
    .private_segment_fixed_size: 0
    .sgpr_count:     6
    .sgpr_spill_count: 0
    .symbol:         _ZN7rocprim17ROCPRIM_400000_NS6detail17trampoline_kernelINS0_14default_configENS1_38merge_sort_block_merge_config_selectorIyNS0_10empty_typeEEEZZNS1_27merge_sort_block_merge_implIS3_N6thrust23THRUST_200600_302600_NS6detail15normal_iteratorINS9_10device_ptrIyEEEEPS5_jNS1_19radix_merge_compareILb0ELb0EyNS0_19identity_decomposerEEEEE10hipError_tT0_T1_T2_jT3_P12ihipStream_tbPNSt15iterator_traitsISK_E10value_typeEPNSQ_ISL_E10value_typeEPSM_NS1_7vsmem_tEENKUlT_SK_SL_SM_E_clIPySE_SF_SF_EESJ_SZ_SK_SL_SM_EUlSZ_E1_NS1_11comp_targetILNS1_3genE0ELNS1_11target_archE4294967295ELNS1_3gpuE0ELNS1_3repE0EEENS1_36merge_oddeven_config_static_selectorELNS0_4arch9wavefront6targetE1EEEvSL_.kd
    .uniform_work_group_size: 1
    .uses_dynamic_stack: false
    .vgpr_count:     0
    .vgpr_spill_count: 0
    .wavefront_size: 64
  - .agpr_count:     0
    .args:
      - .offset:         0
        .size:           48
        .value_kind:     by_value
    .group_segment_fixed_size: 0
    .kernarg_segment_align: 8
    .kernarg_segment_size: 48
    .language:       OpenCL C
    .language_version:
      - 2
      - 0
    .max_flat_workgroup_size: 256
    .name:           _ZN7rocprim17ROCPRIM_400000_NS6detail17trampoline_kernelINS0_14default_configENS1_38merge_sort_block_merge_config_selectorIyNS0_10empty_typeEEEZZNS1_27merge_sort_block_merge_implIS3_N6thrust23THRUST_200600_302600_NS6detail15normal_iteratorINS9_10device_ptrIyEEEEPS5_jNS1_19radix_merge_compareILb0ELb0EyNS0_19identity_decomposerEEEEE10hipError_tT0_T1_T2_jT3_P12ihipStream_tbPNSt15iterator_traitsISK_E10value_typeEPNSQ_ISL_E10value_typeEPSM_NS1_7vsmem_tEENKUlT_SK_SL_SM_E_clIPySE_SF_SF_EESJ_SZ_SK_SL_SM_EUlSZ_E1_NS1_11comp_targetILNS1_3genE10ELNS1_11target_archE1201ELNS1_3gpuE5ELNS1_3repE0EEENS1_36merge_oddeven_config_static_selectorELNS0_4arch9wavefront6targetE1EEEvSL_
    .private_segment_fixed_size: 0
    .sgpr_count:     6
    .sgpr_spill_count: 0
    .symbol:         _ZN7rocprim17ROCPRIM_400000_NS6detail17trampoline_kernelINS0_14default_configENS1_38merge_sort_block_merge_config_selectorIyNS0_10empty_typeEEEZZNS1_27merge_sort_block_merge_implIS3_N6thrust23THRUST_200600_302600_NS6detail15normal_iteratorINS9_10device_ptrIyEEEEPS5_jNS1_19radix_merge_compareILb0ELb0EyNS0_19identity_decomposerEEEEE10hipError_tT0_T1_T2_jT3_P12ihipStream_tbPNSt15iterator_traitsISK_E10value_typeEPNSQ_ISL_E10value_typeEPSM_NS1_7vsmem_tEENKUlT_SK_SL_SM_E_clIPySE_SF_SF_EESJ_SZ_SK_SL_SM_EUlSZ_E1_NS1_11comp_targetILNS1_3genE10ELNS1_11target_archE1201ELNS1_3gpuE5ELNS1_3repE0EEENS1_36merge_oddeven_config_static_selectorELNS0_4arch9wavefront6targetE1EEEvSL_.kd
    .uniform_work_group_size: 1
    .uses_dynamic_stack: false
    .vgpr_count:     0
    .vgpr_spill_count: 0
    .wavefront_size: 64
  - .agpr_count:     0
    .args:
      - .offset:         0
        .size:           48
        .value_kind:     by_value
    .group_segment_fixed_size: 0
    .kernarg_segment_align: 8
    .kernarg_segment_size: 48
    .language:       OpenCL C
    .language_version:
      - 2
      - 0
    .max_flat_workgroup_size: 256
    .name:           _ZN7rocprim17ROCPRIM_400000_NS6detail17trampoline_kernelINS0_14default_configENS1_38merge_sort_block_merge_config_selectorIyNS0_10empty_typeEEEZZNS1_27merge_sort_block_merge_implIS3_N6thrust23THRUST_200600_302600_NS6detail15normal_iteratorINS9_10device_ptrIyEEEEPS5_jNS1_19radix_merge_compareILb0ELb0EyNS0_19identity_decomposerEEEEE10hipError_tT0_T1_T2_jT3_P12ihipStream_tbPNSt15iterator_traitsISK_E10value_typeEPNSQ_ISL_E10value_typeEPSM_NS1_7vsmem_tEENKUlT_SK_SL_SM_E_clIPySE_SF_SF_EESJ_SZ_SK_SL_SM_EUlSZ_E1_NS1_11comp_targetILNS1_3genE5ELNS1_11target_archE942ELNS1_3gpuE9ELNS1_3repE0EEENS1_36merge_oddeven_config_static_selectorELNS0_4arch9wavefront6targetE1EEEvSL_
    .private_segment_fixed_size: 0
    .sgpr_count:     25
    .sgpr_spill_count: 0
    .symbol:         _ZN7rocprim17ROCPRIM_400000_NS6detail17trampoline_kernelINS0_14default_configENS1_38merge_sort_block_merge_config_selectorIyNS0_10empty_typeEEEZZNS1_27merge_sort_block_merge_implIS3_N6thrust23THRUST_200600_302600_NS6detail15normal_iteratorINS9_10device_ptrIyEEEEPS5_jNS1_19radix_merge_compareILb0ELb0EyNS0_19identity_decomposerEEEEE10hipError_tT0_T1_T2_jT3_P12ihipStream_tbPNSt15iterator_traitsISK_E10value_typeEPNSQ_ISL_E10value_typeEPSM_NS1_7vsmem_tEENKUlT_SK_SL_SM_E_clIPySE_SF_SF_EESJ_SZ_SK_SL_SM_EUlSZ_E1_NS1_11comp_targetILNS1_3genE5ELNS1_11target_archE942ELNS1_3gpuE9ELNS1_3repE0EEENS1_36merge_oddeven_config_static_selectorELNS0_4arch9wavefront6targetE1EEEvSL_.kd
    .uniform_work_group_size: 1
    .uses_dynamic_stack: false
    .vgpr_count:     11
    .vgpr_spill_count: 0
    .wavefront_size: 64
  - .agpr_count:     0
    .args:
      - .offset:         0
        .size:           48
        .value_kind:     by_value
    .group_segment_fixed_size: 0
    .kernarg_segment_align: 8
    .kernarg_segment_size: 48
    .language:       OpenCL C
    .language_version:
      - 2
      - 0
    .max_flat_workgroup_size: 256
    .name:           _ZN7rocprim17ROCPRIM_400000_NS6detail17trampoline_kernelINS0_14default_configENS1_38merge_sort_block_merge_config_selectorIyNS0_10empty_typeEEEZZNS1_27merge_sort_block_merge_implIS3_N6thrust23THRUST_200600_302600_NS6detail15normal_iteratorINS9_10device_ptrIyEEEEPS5_jNS1_19radix_merge_compareILb0ELb0EyNS0_19identity_decomposerEEEEE10hipError_tT0_T1_T2_jT3_P12ihipStream_tbPNSt15iterator_traitsISK_E10value_typeEPNSQ_ISL_E10value_typeEPSM_NS1_7vsmem_tEENKUlT_SK_SL_SM_E_clIPySE_SF_SF_EESJ_SZ_SK_SL_SM_EUlSZ_E1_NS1_11comp_targetILNS1_3genE4ELNS1_11target_archE910ELNS1_3gpuE8ELNS1_3repE0EEENS1_36merge_oddeven_config_static_selectorELNS0_4arch9wavefront6targetE1EEEvSL_
    .private_segment_fixed_size: 0
    .sgpr_count:     6
    .sgpr_spill_count: 0
    .symbol:         _ZN7rocprim17ROCPRIM_400000_NS6detail17trampoline_kernelINS0_14default_configENS1_38merge_sort_block_merge_config_selectorIyNS0_10empty_typeEEEZZNS1_27merge_sort_block_merge_implIS3_N6thrust23THRUST_200600_302600_NS6detail15normal_iteratorINS9_10device_ptrIyEEEEPS5_jNS1_19radix_merge_compareILb0ELb0EyNS0_19identity_decomposerEEEEE10hipError_tT0_T1_T2_jT3_P12ihipStream_tbPNSt15iterator_traitsISK_E10value_typeEPNSQ_ISL_E10value_typeEPSM_NS1_7vsmem_tEENKUlT_SK_SL_SM_E_clIPySE_SF_SF_EESJ_SZ_SK_SL_SM_EUlSZ_E1_NS1_11comp_targetILNS1_3genE4ELNS1_11target_archE910ELNS1_3gpuE8ELNS1_3repE0EEENS1_36merge_oddeven_config_static_selectorELNS0_4arch9wavefront6targetE1EEEvSL_.kd
    .uniform_work_group_size: 1
    .uses_dynamic_stack: false
    .vgpr_count:     0
    .vgpr_spill_count: 0
    .wavefront_size: 64
  - .agpr_count:     0
    .args:
      - .offset:         0
        .size:           48
        .value_kind:     by_value
    .group_segment_fixed_size: 0
    .kernarg_segment_align: 8
    .kernarg_segment_size: 48
    .language:       OpenCL C
    .language_version:
      - 2
      - 0
    .max_flat_workgroup_size: 256
    .name:           _ZN7rocprim17ROCPRIM_400000_NS6detail17trampoline_kernelINS0_14default_configENS1_38merge_sort_block_merge_config_selectorIyNS0_10empty_typeEEEZZNS1_27merge_sort_block_merge_implIS3_N6thrust23THRUST_200600_302600_NS6detail15normal_iteratorINS9_10device_ptrIyEEEEPS5_jNS1_19radix_merge_compareILb0ELb0EyNS0_19identity_decomposerEEEEE10hipError_tT0_T1_T2_jT3_P12ihipStream_tbPNSt15iterator_traitsISK_E10value_typeEPNSQ_ISL_E10value_typeEPSM_NS1_7vsmem_tEENKUlT_SK_SL_SM_E_clIPySE_SF_SF_EESJ_SZ_SK_SL_SM_EUlSZ_E1_NS1_11comp_targetILNS1_3genE3ELNS1_11target_archE908ELNS1_3gpuE7ELNS1_3repE0EEENS1_36merge_oddeven_config_static_selectorELNS0_4arch9wavefront6targetE1EEEvSL_
    .private_segment_fixed_size: 0
    .sgpr_count:     6
    .sgpr_spill_count: 0
    .symbol:         _ZN7rocprim17ROCPRIM_400000_NS6detail17trampoline_kernelINS0_14default_configENS1_38merge_sort_block_merge_config_selectorIyNS0_10empty_typeEEEZZNS1_27merge_sort_block_merge_implIS3_N6thrust23THRUST_200600_302600_NS6detail15normal_iteratorINS9_10device_ptrIyEEEEPS5_jNS1_19radix_merge_compareILb0ELb0EyNS0_19identity_decomposerEEEEE10hipError_tT0_T1_T2_jT3_P12ihipStream_tbPNSt15iterator_traitsISK_E10value_typeEPNSQ_ISL_E10value_typeEPSM_NS1_7vsmem_tEENKUlT_SK_SL_SM_E_clIPySE_SF_SF_EESJ_SZ_SK_SL_SM_EUlSZ_E1_NS1_11comp_targetILNS1_3genE3ELNS1_11target_archE908ELNS1_3gpuE7ELNS1_3repE0EEENS1_36merge_oddeven_config_static_selectorELNS0_4arch9wavefront6targetE1EEEvSL_.kd
    .uniform_work_group_size: 1
    .uses_dynamic_stack: false
    .vgpr_count:     0
    .vgpr_spill_count: 0
    .wavefront_size: 64
  - .agpr_count:     0
    .args:
      - .offset:         0
        .size:           48
        .value_kind:     by_value
    .group_segment_fixed_size: 0
    .kernarg_segment_align: 8
    .kernarg_segment_size: 48
    .language:       OpenCL C
    .language_version:
      - 2
      - 0
    .max_flat_workgroup_size: 256
    .name:           _ZN7rocprim17ROCPRIM_400000_NS6detail17trampoline_kernelINS0_14default_configENS1_38merge_sort_block_merge_config_selectorIyNS0_10empty_typeEEEZZNS1_27merge_sort_block_merge_implIS3_N6thrust23THRUST_200600_302600_NS6detail15normal_iteratorINS9_10device_ptrIyEEEEPS5_jNS1_19radix_merge_compareILb0ELb0EyNS0_19identity_decomposerEEEEE10hipError_tT0_T1_T2_jT3_P12ihipStream_tbPNSt15iterator_traitsISK_E10value_typeEPNSQ_ISL_E10value_typeEPSM_NS1_7vsmem_tEENKUlT_SK_SL_SM_E_clIPySE_SF_SF_EESJ_SZ_SK_SL_SM_EUlSZ_E1_NS1_11comp_targetILNS1_3genE2ELNS1_11target_archE906ELNS1_3gpuE6ELNS1_3repE0EEENS1_36merge_oddeven_config_static_selectorELNS0_4arch9wavefront6targetE1EEEvSL_
    .private_segment_fixed_size: 0
    .sgpr_count:     6
    .sgpr_spill_count: 0
    .symbol:         _ZN7rocprim17ROCPRIM_400000_NS6detail17trampoline_kernelINS0_14default_configENS1_38merge_sort_block_merge_config_selectorIyNS0_10empty_typeEEEZZNS1_27merge_sort_block_merge_implIS3_N6thrust23THRUST_200600_302600_NS6detail15normal_iteratorINS9_10device_ptrIyEEEEPS5_jNS1_19radix_merge_compareILb0ELb0EyNS0_19identity_decomposerEEEEE10hipError_tT0_T1_T2_jT3_P12ihipStream_tbPNSt15iterator_traitsISK_E10value_typeEPNSQ_ISL_E10value_typeEPSM_NS1_7vsmem_tEENKUlT_SK_SL_SM_E_clIPySE_SF_SF_EESJ_SZ_SK_SL_SM_EUlSZ_E1_NS1_11comp_targetILNS1_3genE2ELNS1_11target_archE906ELNS1_3gpuE6ELNS1_3repE0EEENS1_36merge_oddeven_config_static_selectorELNS0_4arch9wavefront6targetE1EEEvSL_.kd
    .uniform_work_group_size: 1
    .uses_dynamic_stack: false
    .vgpr_count:     0
    .vgpr_spill_count: 0
    .wavefront_size: 64
  - .agpr_count:     0
    .args:
      - .offset:         0
        .size:           48
        .value_kind:     by_value
    .group_segment_fixed_size: 0
    .kernarg_segment_align: 8
    .kernarg_segment_size: 48
    .language:       OpenCL C
    .language_version:
      - 2
      - 0
    .max_flat_workgroup_size: 256
    .name:           _ZN7rocprim17ROCPRIM_400000_NS6detail17trampoline_kernelINS0_14default_configENS1_38merge_sort_block_merge_config_selectorIyNS0_10empty_typeEEEZZNS1_27merge_sort_block_merge_implIS3_N6thrust23THRUST_200600_302600_NS6detail15normal_iteratorINS9_10device_ptrIyEEEEPS5_jNS1_19radix_merge_compareILb0ELb0EyNS0_19identity_decomposerEEEEE10hipError_tT0_T1_T2_jT3_P12ihipStream_tbPNSt15iterator_traitsISK_E10value_typeEPNSQ_ISL_E10value_typeEPSM_NS1_7vsmem_tEENKUlT_SK_SL_SM_E_clIPySE_SF_SF_EESJ_SZ_SK_SL_SM_EUlSZ_E1_NS1_11comp_targetILNS1_3genE9ELNS1_11target_archE1100ELNS1_3gpuE3ELNS1_3repE0EEENS1_36merge_oddeven_config_static_selectorELNS0_4arch9wavefront6targetE1EEEvSL_
    .private_segment_fixed_size: 0
    .sgpr_count:     6
    .sgpr_spill_count: 0
    .symbol:         _ZN7rocprim17ROCPRIM_400000_NS6detail17trampoline_kernelINS0_14default_configENS1_38merge_sort_block_merge_config_selectorIyNS0_10empty_typeEEEZZNS1_27merge_sort_block_merge_implIS3_N6thrust23THRUST_200600_302600_NS6detail15normal_iteratorINS9_10device_ptrIyEEEEPS5_jNS1_19radix_merge_compareILb0ELb0EyNS0_19identity_decomposerEEEEE10hipError_tT0_T1_T2_jT3_P12ihipStream_tbPNSt15iterator_traitsISK_E10value_typeEPNSQ_ISL_E10value_typeEPSM_NS1_7vsmem_tEENKUlT_SK_SL_SM_E_clIPySE_SF_SF_EESJ_SZ_SK_SL_SM_EUlSZ_E1_NS1_11comp_targetILNS1_3genE9ELNS1_11target_archE1100ELNS1_3gpuE3ELNS1_3repE0EEENS1_36merge_oddeven_config_static_selectorELNS0_4arch9wavefront6targetE1EEEvSL_.kd
    .uniform_work_group_size: 1
    .uses_dynamic_stack: false
    .vgpr_count:     0
    .vgpr_spill_count: 0
    .wavefront_size: 64
  - .agpr_count:     0
    .args:
      - .offset:         0
        .size:           48
        .value_kind:     by_value
    .group_segment_fixed_size: 0
    .kernarg_segment_align: 8
    .kernarg_segment_size: 48
    .language:       OpenCL C
    .language_version:
      - 2
      - 0
    .max_flat_workgroup_size: 256
    .name:           _ZN7rocprim17ROCPRIM_400000_NS6detail17trampoline_kernelINS0_14default_configENS1_38merge_sort_block_merge_config_selectorIyNS0_10empty_typeEEEZZNS1_27merge_sort_block_merge_implIS3_N6thrust23THRUST_200600_302600_NS6detail15normal_iteratorINS9_10device_ptrIyEEEEPS5_jNS1_19radix_merge_compareILb0ELb0EyNS0_19identity_decomposerEEEEE10hipError_tT0_T1_T2_jT3_P12ihipStream_tbPNSt15iterator_traitsISK_E10value_typeEPNSQ_ISL_E10value_typeEPSM_NS1_7vsmem_tEENKUlT_SK_SL_SM_E_clIPySE_SF_SF_EESJ_SZ_SK_SL_SM_EUlSZ_E1_NS1_11comp_targetILNS1_3genE8ELNS1_11target_archE1030ELNS1_3gpuE2ELNS1_3repE0EEENS1_36merge_oddeven_config_static_selectorELNS0_4arch9wavefront6targetE1EEEvSL_
    .private_segment_fixed_size: 0
    .sgpr_count:     6
    .sgpr_spill_count: 0
    .symbol:         _ZN7rocprim17ROCPRIM_400000_NS6detail17trampoline_kernelINS0_14default_configENS1_38merge_sort_block_merge_config_selectorIyNS0_10empty_typeEEEZZNS1_27merge_sort_block_merge_implIS3_N6thrust23THRUST_200600_302600_NS6detail15normal_iteratorINS9_10device_ptrIyEEEEPS5_jNS1_19radix_merge_compareILb0ELb0EyNS0_19identity_decomposerEEEEE10hipError_tT0_T1_T2_jT3_P12ihipStream_tbPNSt15iterator_traitsISK_E10value_typeEPNSQ_ISL_E10value_typeEPSM_NS1_7vsmem_tEENKUlT_SK_SL_SM_E_clIPySE_SF_SF_EESJ_SZ_SK_SL_SM_EUlSZ_E1_NS1_11comp_targetILNS1_3genE8ELNS1_11target_archE1030ELNS1_3gpuE2ELNS1_3repE0EEENS1_36merge_oddeven_config_static_selectorELNS0_4arch9wavefront6targetE1EEEvSL_.kd
    .uniform_work_group_size: 1
    .uses_dynamic_stack: false
    .vgpr_count:     0
    .vgpr_spill_count: 0
    .wavefront_size: 64
  - .agpr_count:     0
    .args:
      - .offset:         0
        .size:           40
        .value_kind:     by_value
    .group_segment_fixed_size: 0
    .kernarg_segment_align: 8
    .kernarg_segment_size: 40
    .language:       OpenCL C
    .language_version:
      - 2
      - 0
    .max_flat_workgroup_size: 128
    .name:           _ZN7rocprim17ROCPRIM_400000_NS6detail17trampoline_kernelINS0_14default_configENS1_38merge_sort_block_merge_config_selectorIyNS0_10empty_typeEEEZZNS1_27merge_sort_block_merge_implIS3_N6thrust23THRUST_200600_302600_NS6detail15normal_iteratorINS9_10device_ptrIyEEEEPS5_jNS1_19radix_merge_compareILb0ELb0EyNS0_19identity_decomposerEEEEE10hipError_tT0_T1_T2_jT3_P12ihipStream_tbPNSt15iterator_traitsISK_E10value_typeEPNSQ_ISL_E10value_typeEPSM_NS1_7vsmem_tEENKUlT_SK_SL_SM_E_clISE_PySF_SF_EESJ_SZ_SK_SL_SM_EUlSZ_E_NS1_11comp_targetILNS1_3genE0ELNS1_11target_archE4294967295ELNS1_3gpuE0ELNS1_3repE0EEENS1_48merge_mergepath_partition_config_static_selectorELNS0_4arch9wavefront6targetE1EEEvSL_
    .private_segment_fixed_size: 0
    .sgpr_count:     6
    .sgpr_spill_count: 0
    .symbol:         _ZN7rocprim17ROCPRIM_400000_NS6detail17trampoline_kernelINS0_14default_configENS1_38merge_sort_block_merge_config_selectorIyNS0_10empty_typeEEEZZNS1_27merge_sort_block_merge_implIS3_N6thrust23THRUST_200600_302600_NS6detail15normal_iteratorINS9_10device_ptrIyEEEEPS5_jNS1_19radix_merge_compareILb0ELb0EyNS0_19identity_decomposerEEEEE10hipError_tT0_T1_T2_jT3_P12ihipStream_tbPNSt15iterator_traitsISK_E10value_typeEPNSQ_ISL_E10value_typeEPSM_NS1_7vsmem_tEENKUlT_SK_SL_SM_E_clISE_PySF_SF_EESJ_SZ_SK_SL_SM_EUlSZ_E_NS1_11comp_targetILNS1_3genE0ELNS1_11target_archE4294967295ELNS1_3gpuE0ELNS1_3repE0EEENS1_48merge_mergepath_partition_config_static_selectorELNS0_4arch9wavefront6targetE1EEEvSL_.kd
    .uniform_work_group_size: 1
    .uses_dynamic_stack: false
    .vgpr_count:     0
    .vgpr_spill_count: 0
    .wavefront_size: 64
  - .agpr_count:     0
    .args:
      - .offset:         0
        .size:           40
        .value_kind:     by_value
    .group_segment_fixed_size: 0
    .kernarg_segment_align: 8
    .kernarg_segment_size: 40
    .language:       OpenCL C
    .language_version:
      - 2
      - 0
    .max_flat_workgroup_size: 128
    .name:           _ZN7rocprim17ROCPRIM_400000_NS6detail17trampoline_kernelINS0_14default_configENS1_38merge_sort_block_merge_config_selectorIyNS0_10empty_typeEEEZZNS1_27merge_sort_block_merge_implIS3_N6thrust23THRUST_200600_302600_NS6detail15normal_iteratorINS9_10device_ptrIyEEEEPS5_jNS1_19radix_merge_compareILb0ELb0EyNS0_19identity_decomposerEEEEE10hipError_tT0_T1_T2_jT3_P12ihipStream_tbPNSt15iterator_traitsISK_E10value_typeEPNSQ_ISL_E10value_typeEPSM_NS1_7vsmem_tEENKUlT_SK_SL_SM_E_clISE_PySF_SF_EESJ_SZ_SK_SL_SM_EUlSZ_E_NS1_11comp_targetILNS1_3genE10ELNS1_11target_archE1201ELNS1_3gpuE5ELNS1_3repE0EEENS1_48merge_mergepath_partition_config_static_selectorELNS0_4arch9wavefront6targetE1EEEvSL_
    .private_segment_fixed_size: 0
    .sgpr_count:     6
    .sgpr_spill_count: 0
    .symbol:         _ZN7rocprim17ROCPRIM_400000_NS6detail17trampoline_kernelINS0_14default_configENS1_38merge_sort_block_merge_config_selectorIyNS0_10empty_typeEEEZZNS1_27merge_sort_block_merge_implIS3_N6thrust23THRUST_200600_302600_NS6detail15normal_iteratorINS9_10device_ptrIyEEEEPS5_jNS1_19radix_merge_compareILb0ELb0EyNS0_19identity_decomposerEEEEE10hipError_tT0_T1_T2_jT3_P12ihipStream_tbPNSt15iterator_traitsISK_E10value_typeEPNSQ_ISL_E10value_typeEPSM_NS1_7vsmem_tEENKUlT_SK_SL_SM_E_clISE_PySF_SF_EESJ_SZ_SK_SL_SM_EUlSZ_E_NS1_11comp_targetILNS1_3genE10ELNS1_11target_archE1201ELNS1_3gpuE5ELNS1_3repE0EEENS1_48merge_mergepath_partition_config_static_selectorELNS0_4arch9wavefront6targetE1EEEvSL_.kd
    .uniform_work_group_size: 1
    .uses_dynamic_stack: false
    .vgpr_count:     0
    .vgpr_spill_count: 0
    .wavefront_size: 64
  - .agpr_count:     0
    .args:
      - .offset:         0
        .size:           40
        .value_kind:     by_value
    .group_segment_fixed_size: 0
    .kernarg_segment_align: 8
    .kernarg_segment_size: 40
    .language:       OpenCL C
    .language_version:
      - 2
      - 0
    .max_flat_workgroup_size: 128
    .name:           _ZN7rocprim17ROCPRIM_400000_NS6detail17trampoline_kernelINS0_14default_configENS1_38merge_sort_block_merge_config_selectorIyNS0_10empty_typeEEEZZNS1_27merge_sort_block_merge_implIS3_N6thrust23THRUST_200600_302600_NS6detail15normal_iteratorINS9_10device_ptrIyEEEEPS5_jNS1_19radix_merge_compareILb0ELb0EyNS0_19identity_decomposerEEEEE10hipError_tT0_T1_T2_jT3_P12ihipStream_tbPNSt15iterator_traitsISK_E10value_typeEPNSQ_ISL_E10value_typeEPSM_NS1_7vsmem_tEENKUlT_SK_SL_SM_E_clISE_PySF_SF_EESJ_SZ_SK_SL_SM_EUlSZ_E_NS1_11comp_targetILNS1_3genE5ELNS1_11target_archE942ELNS1_3gpuE9ELNS1_3repE0EEENS1_48merge_mergepath_partition_config_static_selectorELNS0_4arch9wavefront6targetE1EEEvSL_
    .private_segment_fixed_size: 0
    .sgpr_count:     14
    .sgpr_spill_count: 0
    .symbol:         _ZN7rocprim17ROCPRIM_400000_NS6detail17trampoline_kernelINS0_14default_configENS1_38merge_sort_block_merge_config_selectorIyNS0_10empty_typeEEEZZNS1_27merge_sort_block_merge_implIS3_N6thrust23THRUST_200600_302600_NS6detail15normal_iteratorINS9_10device_ptrIyEEEEPS5_jNS1_19radix_merge_compareILb0ELb0EyNS0_19identity_decomposerEEEEE10hipError_tT0_T1_T2_jT3_P12ihipStream_tbPNSt15iterator_traitsISK_E10value_typeEPNSQ_ISL_E10value_typeEPSM_NS1_7vsmem_tEENKUlT_SK_SL_SM_E_clISE_PySF_SF_EESJ_SZ_SK_SL_SM_EUlSZ_E_NS1_11comp_targetILNS1_3genE5ELNS1_11target_archE942ELNS1_3gpuE9ELNS1_3repE0EEENS1_48merge_mergepath_partition_config_static_selectorELNS0_4arch9wavefront6targetE1EEEvSL_.kd
    .uniform_work_group_size: 1
    .uses_dynamic_stack: false
    .vgpr_count:     20
    .vgpr_spill_count: 0
    .wavefront_size: 64
  - .agpr_count:     0
    .args:
      - .offset:         0
        .size:           40
        .value_kind:     by_value
    .group_segment_fixed_size: 0
    .kernarg_segment_align: 8
    .kernarg_segment_size: 40
    .language:       OpenCL C
    .language_version:
      - 2
      - 0
    .max_flat_workgroup_size: 128
    .name:           _ZN7rocprim17ROCPRIM_400000_NS6detail17trampoline_kernelINS0_14default_configENS1_38merge_sort_block_merge_config_selectorIyNS0_10empty_typeEEEZZNS1_27merge_sort_block_merge_implIS3_N6thrust23THRUST_200600_302600_NS6detail15normal_iteratorINS9_10device_ptrIyEEEEPS5_jNS1_19radix_merge_compareILb0ELb0EyNS0_19identity_decomposerEEEEE10hipError_tT0_T1_T2_jT3_P12ihipStream_tbPNSt15iterator_traitsISK_E10value_typeEPNSQ_ISL_E10value_typeEPSM_NS1_7vsmem_tEENKUlT_SK_SL_SM_E_clISE_PySF_SF_EESJ_SZ_SK_SL_SM_EUlSZ_E_NS1_11comp_targetILNS1_3genE4ELNS1_11target_archE910ELNS1_3gpuE8ELNS1_3repE0EEENS1_48merge_mergepath_partition_config_static_selectorELNS0_4arch9wavefront6targetE1EEEvSL_
    .private_segment_fixed_size: 0
    .sgpr_count:     6
    .sgpr_spill_count: 0
    .symbol:         _ZN7rocprim17ROCPRIM_400000_NS6detail17trampoline_kernelINS0_14default_configENS1_38merge_sort_block_merge_config_selectorIyNS0_10empty_typeEEEZZNS1_27merge_sort_block_merge_implIS3_N6thrust23THRUST_200600_302600_NS6detail15normal_iteratorINS9_10device_ptrIyEEEEPS5_jNS1_19radix_merge_compareILb0ELb0EyNS0_19identity_decomposerEEEEE10hipError_tT0_T1_T2_jT3_P12ihipStream_tbPNSt15iterator_traitsISK_E10value_typeEPNSQ_ISL_E10value_typeEPSM_NS1_7vsmem_tEENKUlT_SK_SL_SM_E_clISE_PySF_SF_EESJ_SZ_SK_SL_SM_EUlSZ_E_NS1_11comp_targetILNS1_3genE4ELNS1_11target_archE910ELNS1_3gpuE8ELNS1_3repE0EEENS1_48merge_mergepath_partition_config_static_selectorELNS0_4arch9wavefront6targetE1EEEvSL_.kd
    .uniform_work_group_size: 1
    .uses_dynamic_stack: false
    .vgpr_count:     0
    .vgpr_spill_count: 0
    .wavefront_size: 64
  - .agpr_count:     0
    .args:
      - .offset:         0
        .size:           40
        .value_kind:     by_value
    .group_segment_fixed_size: 0
    .kernarg_segment_align: 8
    .kernarg_segment_size: 40
    .language:       OpenCL C
    .language_version:
      - 2
      - 0
    .max_flat_workgroup_size: 128
    .name:           _ZN7rocprim17ROCPRIM_400000_NS6detail17trampoline_kernelINS0_14default_configENS1_38merge_sort_block_merge_config_selectorIyNS0_10empty_typeEEEZZNS1_27merge_sort_block_merge_implIS3_N6thrust23THRUST_200600_302600_NS6detail15normal_iteratorINS9_10device_ptrIyEEEEPS5_jNS1_19radix_merge_compareILb0ELb0EyNS0_19identity_decomposerEEEEE10hipError_tT0_T1_T2_jT3_P12ihipStream_tbPNSt15iterator_traitsISK_E10value_typeEPNSQ_ISL_E10value_typeEPSM_NS1_7vsmem_tEENKUlT_SK_SL_SM_E_clISE_PySF_SF_EESJ_SZ_SK_SL_SM_EUlSZ_E_NS1_11comp_targetILNS1_3genE3ELNS1_11target_archE908ELNS1_3gpuE7ELNS1_3repE0EEENS1_48merge_mergepath_partition_config_static_selectorELNS0_4arch9wavefront6targetE1EEEvSL_
    .private_segment_fixed_size: 0
    .sgpr_count:     6
    .sgpr_spill_count: 0
    .symbol:         _ZN7rocprim17ROCPRIM_400000_NS6detail17trampoline_kernelINS0_14default_configENS1_38merge_sort_block_merge_config_selectorIyNS0_10empty_typeEEEZZNS1_27merge_sort_block_merge_implIS3_N6thrust23THRUST_200600_302600_NS6detail15normal_iteratorINS9_10device_ptrIyEEEEPS5_jNS1_19radix_merge_compareILb0ELb0EyNS0_19identity_decomposerEEEEE10hipError_tT0_T1_T2_jT3_P12ihipStream_tbPNSt15iterator_traitsISK_E10value_typeEPNSQ_ISL_E10value_typeEPSM_NS1_7vsmem_tEENKUlT_SK_SL_SM_E_clISE_PySF_SF_EESJ_SZ_SK_SL_SM_EUlSZ_E_NS1_11comp_targetILNS1_3genE3ELNS1_11target_archE908ELNS1_3gpuE7ELNS1_3repE0EEENS1_48merge_mergepath_partition_config_static_selectorELNS0_4arch9wavefront6targetE1EEEvSL_.kd
    .uniform_work_group_size: 1
    .uses_dynamic_stack: false
    .vgpr_count:     0
    .vgpr_spill_count: 0
    .wavefront_size: 64
  - .agpr_count:     0
    .args:
      - .offset:         0
        .size:           40
        .value_kind:     by_value
    .group_segment_fixed_size: 0
    .kernarg_segment_align: 8
    .kernarg_segment_size: 40
    .language:       OpenCL C
    .language_version:
      - 2
      - 0
    .max_flat_workgroup_size: 128
    .name:           _ZN7rocprim17ROCPRIM_400000_NS6detail17trampoline_kernelINS0_14default_configENS1_38merge_sort_block_merge_config_selectorIyNS0_10empty_typeEEEZZNS1_27merge_sort_block_merge_implIS3_N6thrust23THRUST_200600_302600_NS6detail15normal_iteratorINS9_10device_ptrIyEEEEPS5_jNS1_19radix_merge_compareILb0ELb0EyNS0_19identity_decomposerEEEEE10hipError_tT0_T1_T2_jT3_P12ihipStream_tbPNSt15iterator_traitsISK_E10value_typeEPNSQ_ISL_E10value_typeEPSM_NS1_7vsmem_tEENKUlT_SK_SL_SM_E_clISE_PySF_SF_EESJ_SZ_SK_SL_SM_EUlSZ_E_NS1_11comp_targetILNS1_3genE2ELNS1_11target_archE906ELNS1_3gpuE6ELNS1_3repE0EEENS1_48merge_mergepath_partition_config_static_selectorELNS0_4arch9wavefront6targetE1EEEvSL_
    .private_segment_fixed_size: 0
    .sgpr_count:     6
    .sgpr_spill_count: 0
    .symbol:         _ZN7rocprim17ROCPRIM_400000_NS6detail17trampoline_kernelINS0_14default_configENS1_38merge_sort_block_merge_config_selectorIyNS0_10empty_typeEEEZZNS1_27merge_sort_block_merge_implIS3_N6thrust23THRUST_200600_302600_NS6detail15normal_iteratorINS9_10device_ptrIyEEEEPS5_jNS1_19radix_merge_compareILb0ELb0EyNS0_19identity_decomposerEEEEE10hipError_tT0_T1_T2_jT3_P12ihipStream_tbPNSt15iterator_traitsISK_E10value_typeEPNSQ_ISL_E10value_typeEPSM_NS1_7vsmem_tEENKUlT_SK_SL_SM_E_clISE_PySF_SF_EESJ_SZ_SK_SL_SM_EUlSZ_E_NS1_11comp_targetILNS1_3genE2ELNS1_11target_archE906ELNS1_3gpuE6ELNS1_3repE0EEENS1_48merge_mergepath_partition_config_static_selectorELNS0_4arch9wavefront6targetE1EEEvSL_.kd
    .uniform_work_group_size: 1
    .uses_dynamic_stack: false
    .vgpr_count:     0
    .vgpr_spill_count: 0
    .wavefront_size: 64
  - .agpr_count:     0
    .args:
      - .offset:         0
        .size:           40
        .value_kind:     by_value
    .group_segment_fixed_size: 0
    .kernarg_segment_align: 8
    .kernarg_segment_size: 40
    .language:       OpenCL C
    .language_version:
      - 2
      - 0
    .max_flat_workgroup_size: 128
    .name:           _ZN7rocprim17ROCPRIM_400000_NS6detail17trampoline_kernelINS0_14default_configENS1_38merge_sort_block_merge_config_selectorIyNS0_10empty_typeEEEZZNS1_27merge_sort_block_merge_implIS3_N6thrust23THRUST_200600_302600_NS6detail15normal_iteratorINS9_10device_ptrIyEEEEPS5_jNS1_19radix_merge_compareILb0ELb0EyNS0_19identity_decomposerEEEEE10hipError_tT0_T1_T2_jT3_P12ihipStream_tbPNSt15iterator_traitsISK_E10value_typeEPNSQ_ISL_E10value_typeEPSM_NS1_7vsmem_tEENKUlT_SK_SL_SM_E_clISE_PySF_SF_EESJ_SZ_SK_SL_SM_EUlSZ_E_NS1_11comp_targetILNS1_3genE9ELNS1_11target_archE1100ELNS1_3gpuE3ELNS1_3repE0EEENS1_48merge_mergepath_partition_config_static_selectorELNS0_4arch9wavefront6targetE1EEEvSL_
    .private_segment_fixed_size: 0
    .sgpr_count:     6
    .sgpr_spill_count: 0
    .symbol:         _ZN7rocprim17ROCPRIM_400000_NS6detail17trampoline_kernelINS0_14default_configENS1_38merge_sort_block_merge_config_selectorIyNS0_10empty_typeEEEZZNS1_27merge_sort_block_merge_implIS3_N6thrust23THRUST_200600_302600_NS6detail15normal_iteratorINS9_10device_ptrIyEEEEPS5_jNS1_19radix_merge_compareILb0ELb0EyNS0_19identity_decomposerEEEEE10hipError_tT0_T1_T2_jT3_P12ihipStream_tbPNSt15iterator_traitsISK_E10value_typeEPNSQ_ISL_E10value_typeEPSM_NS1_7vsmem_tEENKUlT_SK_SL_SM_E_clISE_PySF_SF_EESJ_SZ_SK_SL_SM_EUlSZ_E_NS1_11comp_targetILNS1_3genE9ELNS1_11target_archE1100ELNS1_3gpuE3ELNS1_3repE0EEENS1_48merge_mergepath_partition_config_static_selectorELNS0_4arch9wavefront6targetE1EEEvSL_.kd
    .uniform_work_group_size: 1
    .uses_dynamic_stack: false
    .vgpr_count:     0
    .vgpr_spill_count: 0
    .wavefront_size: 64
  - .agpr_count:     0
    .args:
      - .offset:         0
        .size:           40
        .value_kind:     by_value
    .group_segment_fixed_size: 0
    .kernarg_segment_align: 8
    .kernarg_segment_size: 40
    .language:       OpenCL C
    .language_version:
      - 2
      - 0
    .max_flat_workgroup_size: 128
    .name:           _ZN7rocprim17ROCPRIM_400000_NS6detail17trampoline_kernelINS0_14default_configENS1_38merge_sort_block_merge_config_selectorIyNS0_10empty_typeEEEZZNS1_27merge_sort_block_merge_implIS3_N6thrust23THRUST_200600_302600_NS6detail15normal_iteratorINS9_10device_ptrIyEEEEPS5_jNS1_19radix_merge_compareILb0ELb0EyNS0_19identity_decomposerEEEEE10hipError_tT0_T1_T2_jT3_P12ihipStream_tbPNSt15iterator_traitsISK_E10value_typeEPNSQ_ISL_E10value_typeEPSM_NS1_7vsmem_tEENKUlT_SK_SL_SM_E_clISE_PySF_SF_EESJ_SZ_SK_SL_SM_EUlSZ_E_NS1_11comp_targetILNS1_3genE8ELNS1_11target_archE1030ELNS1_3gpuE2ELNS1_3repE0EEENS1_48merge_mergepath_partition_config_static_selectorELNS0_4arch9wavefront6targetE1EEEvSL_
    .private_segment_fixed_size: 0
    .sgpr_count:     6
    .sgpr_spill_count: 0
    .symbol:         _ZN7rocprim17ROCPRIM_400000_NS6detail17trampoline_kernelINS0_14default_configENS1_38merge_sort_block_merge_config_selectorIyNS0_10empty_typeEEEZZNS1_27merge_sort_block_merge_implIS3_N6thrust23THRUST_200600_302600_NS6detail15normal_iteratorINS9_10device_ptrIyEEEEPS5_jNS1_19radix_merge_compareILb0ELb0EyNS0_19identity_decomposerEEEEE10hipError_tT0_T1_T2_jT3_P12ihipStream_tbPNSt15iterator_traitsISK_E10value_typeEPNSQ_ISL_E10value_typeEPSM_NS1_7vsmem_tEENKUlT_SK_SL_SM_E_clISE_PySF_SF_EESJ_SZ_SK_SL_SM_EUlSZ_E_NS1_11comp_targetILNS1_3genE8ELNS1_11target_archE1030ELNS1_3gpuE2ELNS1_3repE0EEENS1_48merge_mergepath_partition_config_static_selectorELNS0_4arch9wavefront6targetE1EEEvSL_.kd
    .uniform_work_group_size: 1
    .uses_dynamic_stack: false
    .vgpr_count:     0
    .vgpr_spill_count: 0
    .wavefront_size: 64
  - .agpr_count:     0
    .args:
      - .offset:         0
        .size:           64
        .value_kind:     by_value
    .group_segment_fixed_size: 0
    .kernarg_segment_align: 8
    .kernarg_segment_size: 64
    .language:       OpenCL C
    .language_version:
      - 2
      - 0
    .max_flat_workgroup_size: 128
    .name:           _ZN7rocprim17ROCPRIM_400000_NS6detail17trampoline_kernelINS0_14default_configENS1_38merge_sort_block_merge_config_selectorIyNS0_10empty_typeEEEZZNS1_27merge_sort_block_merge_implIS3_N6thrust23THRUST_200600_302600_NS6detail15normal_iteratorINS9_10device_ptrIyEEEEPS5_jNS1_19radix_merge_compareILb0ELb0EyNS0_19identity_decomposerEEEEE10hipError_tT0_T1_T2_jT3_P12ihipStream_tbPNSt15iterator_traitsISK_E10value_typeEPNSQ_ISL_E10value_typeEPSM_NS1_7vsmem_tEENKUlT_SK_SL_SM_E_clISE_PySF_SF_EESJ_SZ_SK_SL_SM_EUlSZ_E0_NS1_11comp_targetILNS1_3genE0ELNS1_11target_archE4294967295ELNS1_3gpuE0ELNS1_3repE0EEENS1_38merge_mergepath_config_static_selectorELNS0_4arch9wavefront6targetE1EEEvSL_
    .private_segment_fixed_size: 0
    .sgpr_count:     6
    .sgpr_spill_count: 0
    .symbol:         _ZN7rocprim17ROCPRIM_400000_NS6detail17trampoline_kernelINS0_14default_configENS1_38merge_sort_block_merge_config_selectorIyNS0_10empty_typeEEEZZNS1_27merge_sort_block_merge_implIS3_N6thrust23THRUST_200600_302600_NS6detail15normal_iteratorINS9_10device_ptrIyEEEEPS5_jNS1_19radix_merge_compareILb0ELb0EyNS0_19identity_decomposerEEEEE10hipError_tT0_T1_T2_jT3_P12ihipStream_tbPNSt15iterator_traitsISK_E10value_typeEPNSQ_ISL_E10value_typeEPSM_NS1_7vsmem_tEENKUlT_SK_SL_SM_E_clISE_PySF_SF_EESJ_SZ_SK_SL_SM_EUlSZ_E0_NS1_11comp_targetILNS1_3genE0ELNS1_11target_archE4294967295ELNS1_3gpuE0ELNS1_3repE0EEENS1_38merge_mergepath_config_static_selectorELNS0_4arch9wavefront6targetE1EEEvSL_.kd
    .uniform_work_group_size: 1
    .uses_dynamic_stack: false
    .vgpr_count:     0
    .vgpr_spill_count: 0
    .wavefront_size: 64
  - .agpr_count:     0
    .args:
      - .offset:         0
        .size:           64
        .value_kind:     by_value
    .group_segment_fixed_size: 0
    .kernarg_segment_align: 8
    .kernarg_segment_size: 64
    .language:       OpenCL C
    .language_version:
      - 2
      - 0
    .max_flat_workgroup_size: 512
    .name:           _ZN7rocprim17ROCPRIM_400000_NS6detail17trampoline_kernelINS0_14default_configENS1_38merge_sort_block_merge_config_selectorIyNS0_10empty_typeEEEZZNS1_27merge_sort_block_merge_implIS3_N6thrust23THRUST_200600_302600_NS6detail15normal_iteratorINS9_10device_ptrIyEEEEPS5_jNS1_19radix_merge_compareILb0ELb0EyNS0_19identity_decomposerEEEEE10hipError_tT0_T1_T2_jT3_P12ihipStream_tbPNSt15iterator_traitsISK_E10value_typeEPNSQ_ISL_E10value_typeEPSM_NS1_7vsmem_tEENKUlT_SK_SL_SM_E_clISE_PySF_SF_EESJ_SZ_SK_SL_SM_EUlSZ_E0_NS1_11comp_targetILNS1_3genE10ELNS1_11target_archE1201ELNS1_3gpuE5ELNS1_3repE0EEENS1_38merge_mergepath_config_static_selectorELNS0_4arch9wavefront6targetE1EEEvSL_
    .private_segment_fixed_size: 0
    .sgpr_count:     6
    .sgpr_spill_count: 0
    .symbol:         _ZN7rocprim17ROCPRIM_400000_NS6detail17trampoline_kernelINS0_14default_configENS1_38merge_sort_block_merge_config_selectorIyNS0_10empty_typeEEEZZNS1_27merge_sort_block_merge_implIS3_N6thrust23THRUST_200600_302600_NS6detail15normal_iteratorINS9_10device_ptrIyEEEEPS5_jNS1_19radix_merge_compareILb0ELb0EyNS0_19identity_decomposerEEEEE10hipError_tT0_T1_T2_jT3_P12ihipStream_tbPNSt15iterator_traitsISK_E10value_typeEPNSQ_ISL_E10value_typeEPSM_NS1_7vsmem_tEENKUlT_SK_SL_SM_E_clISE_PySF_SF_EESJ_SZ_SK_SL_SM_EUlSZ_E0_NS1_11comp_targetILNS1_3genE10ELNS1_11target_archE1201ELNS1_3gpuE5ELNS1_3repE0EEENS1_38merge_mergepath_config_static_selectorELNS0_4arch9wavefront6targetE1EEEvSL_.kd
    .uniform_work_group_size: 1
    .uses_dynamic_stack: false
    .vgpr_count:     0
    .vgpr_spill_count: 0
    .wavefront_size: 64
  - .agpr_count:     0
    .args:
      - .offset:         0
        .size:           64
        .value_kind:     by_value
      - .offset:         64
        .size:           4
        .value_kind:     hidden_block_count_x
      - .offset:         68
        .size:           4
        .value_kind:     hidden_block_count_y
      - .offset:         72
        .size:           4
        .value_kind:     hidden_block_count_z
      - .offset:         76
        .size:           2
        .value_kind:     hidden_group_size_x
      - .offset:         78
        .size:           2
        .value_kind:     hidden_group_size_y
      - .offset:         80
        .size:           2
        .value_kind:     hidden_group_size_z
      - .offset:         82
        .size:           2
        .value_kind:     hidden_remainder_x
      - .offset:         84
        .size:           2
        .value_kind:     hidden_remainder_y
      - .offset:         86
        .size:           2
        .value_kind:     hidden_remainder_z
      - .offset:         104
        .size:           8
        .value_kind:     hidden_global_offset_x
      - .offset:         112
        .size:           8
        .value_kind:     hidden_global_offset_y
      - .offset:         120
        .size:           8
        .value_kind:     hidden_global_offset_z
      - .offset:         128
        .size:           2
        .value_kind:     hidden_grid_dims
    .group_segment_fixed_size: 8448
    .kernarg_segment_align: 8
    .kernarg_segment_size: 320
    .language:       OpenCL C
    .language_version:
      - 2
      - 0
    .max_flat_workgroup_size: 128
    .name:           _ZN7rocprim17ROCPRIM_400000_NS6detail17trampoline_kernelINS0_14default_configENS1_38merge_sort_block_merge_config_selectorIyNS0_10empty_typeEEEZZNS1_27merge_sort_block_merge_implIS3_N6thrust23THRUST_200600_302600_NS6detail15normal_iteratorINS9_10device_ptrIyEEEEPS5_jNS1_19radix_merge_compareILb0ELb0EyNS0_19identity_decomposerEEEEE10hipError_tT0_T1_T2_jT3_P12ihipStream_tbPNSt15iterator_traitsISK_E10value_typeEPNSQ_ISL_E10value_typeEPSM_NS1_7vsmem_tEENKUlT_SK_SL_SM_E_clISE_PySF_SF_EESJ_SZ_SK_SL_SM_EUlSZ_E0_NS1_11comp_targetILNS1_3genE5ELNS1_11target_archE942ELNS1_3gpuE9ELNS1_3repE0EEENS1_38merge_mergepath_config_static_selectorELNS0_4arch9wavefront6targetE1EEEvSL_
    .private_segment_fixed_size: 0
    .sgpr_count:     29
    .sgpr_spill_count: 0
    .symbol:         _ZN7rocprim17ROCPRIM_400000_NS6detail17trampoline_kernelINS0_14default_configENS1_38merge_sort_block_merge_config_selectorIyNS0_10empty_typeEEEZZNS1_27merge_sort_block_merge_implIS3_N6thrust23THRUST_200600_302600_NS6detail15normal_iteratorINS9_10device_ptrIyEEEEPS5_jNS1_19radix_merge_compareILb0ELb0EyNS0_19identity_decomposerEEEEE10hipError_tT0_T1_T2_jT3_P12ihipStream_tbPNSt15iterator_traitsISK_E10value_typeEPNSQ_ISL_E10value_typeEPSM_NS1_7vsmem_tEENKUlT_SK_SL_SM_E_clISE_PySF_SF_EESJ_SZ_SK_SL_SM_EUlSZ_E0_NS1_11comp_targetILNS1_3genE5ELNS1_11target_archE942ELNS1_3gpuE9ELNS1_3repE0EEENS1_38merge_mergepath_config_static_selectorELNS0_4arch9wavefront6targetE1EEEvSL_.kd
    .uniform_work_group_size: 1
    .uses_dynamic_stack: false
    .vgpr_count:     34
    .vgpr_spill_count: 0
    .wavefront_size: 64
  - .agpr_count:     0
    .args:
      - .offset:         0
        .size:           64
        .value_kind:     by_value
    .group_segment_fixed_size: 0
    .kernarg_segment_align: 8
    .kernarg_segment_size: 64
    .language:       OpenCL C
    .language_version:
      - 2
      - 0
    .max_flat_workgroup_size: 256
    .name:           _ZN7rocprim17ROCPRIM_400000_NS6detail17trampoline_kernelINS0_14default_configENS1_38merge_sort_block_merge_config_selectorIyNS0_10empty_typeEEEZZNS1_27merge_sort_block_merge_implIS3_N6thrust23THRUST_200600_302600_NS6detail15normal_iteratorINS9_10device_ptrIyEEEEPS5_jNS1_19radix_merge_compareILb0ELb0EyNS0_19identity_decomposerEEEEE10hipError_tT0_T1_T2_jT3_P12ihipStream_tbPNSt15iterator_traitsISK_E10value_typeEPNSQ_ISL_E10value_typeEPSM_NS1_7vsmem_tEENKUlT_SK_SL_SM_E_clISE_PySF_SF_EESJ_SZ_SK_SL_SM_EUlSZ_E0_NS1_11comp_targetILNS1_3genE4ELNS1_11target_archE910ELNS1_3gpuE8ELNS1_3repE0EEENS1_38merge_mergepath_config_static_selectorELNS0_4arch9wavefront6targetE1EEEvSL_
    .private_segment_fixed_size: 0
    .sgpr_count:     6
    .sgpr_spill_count: 0
    .symbol:         _ZN7rocprim17ROCPRIM_400000_NS6detail17trampoline_kernelINS0_14default_configENS1_38merge_sort_block_merge_config_selectorIyNS0_10empty_typeEEEZZNS1_27merge_sort_block_merge_implIS3_N6thrust23THRUST_200600_302600_NS6detail15normal_iteratorINS9_10device_ptrIyEEEEPS5_jNS1_19radix_merge_compareILb0ELb0EyNS0_19identity_decomposerEEEEE10hipError_tT0_T1_T2_jT3_P12ihipStream_tbPNSt15iterator_traitsISK_E10value_typeEPNSQ_ISL_E10value_typeEPSM_NS1_7vsmem_tEENKUlT_SK_SL_SM_E_clISE_PySF_SF_EESJ_SZ_SK_SL_SM_EUlSZ_E0_NS1_11comp_targetILNS1_3genE4ELNS1_11target_archE910ELNS1_3gpuE8ELNS1_3repE0EEENS1_38merge_mergepath_config_static_selectorELNS0_4arch9wavefront6targetE1EEEvSL_.kd
    .uniform_work_group_size: 1
    .uses_dynamic_stack: false
    .vgpr_count:     0
    .vgpr_spill_count: 0
    .wavefront_size: 64
  - .agpr_count:     0
    .args:
      - .offset:         0
        .size:           64
        .value_kind:     by_value
    .group_segment_fixed_size: 0
    .kernarg_segment_align: 8
    .kernarg_segment_size: 64
    .language:       OpenCL C
    .language_version:
      - 2
      - 0
    .max_flat_workgroup_size: 128
    .name:           _ZN7rocprim17ROCPRIM_400000_NS6detail17trampoline_kernelINS0_14default_configENS1_38merge_sort_block_merge_config_selectorIyNS0_10empty_typeEEEZZNS1_27merge_sort_block_merge_implIS3_N6thrust23THRUST_200600_302600_NS6detail15normal_iteratorINS9_10device_ptrIyEEEEPS5_jNS1_19radix_merge_compareILb0ELb0EyNS0_19identity_decomposerEEEEE10hipError_tT0_T1_T2_jT3_P12ihipStream_tbPNSt15iterator_traitsISK_E10value_typeEPNSQ_ISL_E10value_typeEPSM_NS1_7vsmem_tEENKUlT_SK_SL_SM_E_clISE_PySF_SF_EESJ_SZ_SK_SL_SM_EUlSZ_E0_NS1_11comp_targetILNS1_3genE3ELNS1_11target_archE908ELNS1_3gpuE7ELNS1_3repE0EEENS1_38merge_mergepath_config_static_selectorELNS0_4arch9wavefront6targetE1EEEvSL_
    .private_segment_fixed_size: 0
    .sgpr_count:     6
    .sgpr_spill_count: 0
    .symbol:         _ZN7rocprim17ROCPRIM_400000_NS6detail17trampoline_kernelINS0_14default_configENS1_38merge_sort_block_merge_config_selectorIyNS0_10empty_typeEEEZZNS1_27merge_sort_block_merge_implIS3_N6thrust23THRUST_200600_302600_NS6detail15normal_iteratorINS9_10device_ptrIyEEEEPS5_jNS1_19radix_merge_compareILb0ELb0EyNS0_19identity_decomposerEEEEE10hipError_tT0_T1_T2_jT3_P12ihipStream_tbPNSt15iterator_traitsISK_E10value_typeEPNSQ_ISL_E10value_typeEPSM_NS1_7vsmem_tEENKUlT_SK_SL_SM_E_clISE_PySF_SF_EESJ_SZ_SK_SL_SM_EUlSZ_E0_NS1_11comp_targetILNS1_3genE3ELNS1_11target_archE908ELNS1_3gpuE7ELNS1_3repE0EEENS1_38merge_mergepath_config_static_selectorELNS0_4arch9wavefront6targetE1EEEvSL_.kd
    .uniform_work_group_size: 1
    .uses_dynamic_stack: false
    .vgpr_count:     0
    .vgpr_spill_count: 0
    .wavefront_size: 64
  - .agpr_count:     0
    .args:
      - .offset:         0
        .size:           64
        .value_kind:     by_value
    .group_segment_fixed_size: 0
    .kernarg_segment_align: 8
    .kernarg_segment_size: 64
    .language:       OpenCL C
    .language_version:
      - 2
      - 0
    .max_flat_workgroup_size: 256
    .name:           _ZN7rocprim17ROCPRIM_400000_NS6detail17trampoline_kernelINS0_14default_configENS1_38merge_sort_block_merge_config_selectorIyNS0_10empty_typeEEEZZNS1_27merge_sort_block_merge_implIS3_N6thrust23THRUST_200600_302600_NS6detail15normal_iteratorINS9_10device_ptrIyEEEEPS5_jNS1_19radix_merge_compareILb0ELb0EyNS0_19identity_decomposerEEEEE10hipError_tT0_T1_T2_jT3_P12ihipStream_tbPNSt15iterator_traitsISK_E10value_typeEPNSQ_ISL_E10value_typeEPSM_NS1_7vsmem_tEENKUlT_SK_SL_SM_E_clISE_PySF_SF_EESJ_SZ_SK_SL_SM_EUlSZ_E0_NS1_11comp_targetILNS1_3genE2ELNS1_11target_archE906ELNS1_3gpuE6ELNS1_3repE0EEENS1_38merge_mergepath_config_static_selectorELNS0_4arch9wavefront6targetE1EEEvSL_
    .private_segment_fixed_size: 0
    .sgpr_count:     6
    .sgpr_spill_count: 0
    .symbol:         _ZN7rocprim17ROCPRIM_400000_NS6detail17trampoline_kernelINS0_14default_configENS1_38merge_sort_block_merge_config_selectorIyNS0_10empty_typeEEEZZNS1_27merge_sort_block_merge_implIS3_N6thrust23THRUST_200600_302600_NS6detail15normal_iteratorINS9_10device_ptrIyEEEEPS5_jNS1_19radix_merge_compareILb0ELb0EyNS0_19identity_decomposerEEEEE10hipError_tT0_T1_T2_jT3_P12ihipStream_tbPNSt15iterator_traitsISK_E10value_typeEPNSQ_ISL_E10value_typeEPSM_NS1_7vsmem_tEENKUlT_SK_SL_SM_E_clISE_PySF_SF_EESJ_SZ_SK_SL_SM_EUlSZ_E0_NS1_11comp_targetILNS1_3genE2ELNS1_11target_archE906ELNS1_3gpuE6ELNS1_3repE0EEENS1_38merge_mergepath_config_static_selectorELNS0_4arch9wavefront6targetE1EEEvSL_.kd
    .uniform_work_group_size: 1
    .uses_dynamic_stack: false
    .vgpr_count:     0
    .vgpr_spill_count: 0
    .wavefront_size: 64
  - .agpr_count:     0
    .args:
      - .offset:         0
        .size:           64
        .value_kind:     by_value
    .group_segment_fixed_size: 0
    .kernarg_segment_align: 8
    .kernarg_segment_size: 64
    .language:       OpenCL C
    .language_version:
      - 2
      - 0
    .max_flat_workgroup_size: 512
    .name:           _ZN7rocprim17ROCPRIM_400000_NS6detail17trampoline_kernelINS0_14default_configENS1_38merge_sort_block_merge_config_selectorIyNS0_10empty_typeEEEZZNS1_27merge_sort_block_merge_implIS3_N6thrust23THRUST_200600_302600_NS6detail15normal_iteratorINS9_10device_ptrIyEEEEPS5_jNS1_19radix_merge_compareILb0ELb0EyNS0_19identity_decomposerEEEEE10hipError_tT0_T1_T2_jT3_P12ihipStream_tbPNSt15iterator_traitsISK_E10value_typeEPNSQ_ISL_E10value_typeEPSM_NS1_7vsmem_tEENKUlT_SK_SL_SM_E_clISE_PySF_SF_EESJ_SZ_SK_SL_SM_EUlSZ_E0_NS1_11comp_targetILNS1_3genE9ELNS1_11target_archE1100ELNS1_3gpuE3ELNS1_3repE0EEENS1_38merge_mergepath_config_static_selectorELNS0_4arch9wavefront6targetE1EEEvSL_
    .private_segment_fixed_size: 0
    .sgpr_count:     6
    .sgpr_spill_count: 0
    .symbol:         _ZN7rocprim17ROCPRIM_400000_NS6detail17trampoline_kernelINS0_14default_configENS1_38merge_sort_block_merge_config_selectorIyNS0_10empty_typeEEEZZNS1_27merge_sort_block_merge_implIS3_N6thrust23THRUST_200600_302600_NS6detail15normal_iteratorINS9_10device_ptrIyEEEEPS5_jNS1_19radix_merge_compareILb0ELb0EyNS0_19identity_decomposerEEEEE10hipError_tT0_T1_T2_jT3_P12ihipStream_tbPNSt15iterator_traitsISK_E10value_typeEPNSQ_ISL_E10value_typeEPSM_NS1_7vsmem_tEENKUlT_SK_SL_SM_E_clISE_PySF_SF_EESJ_SZ_SK_SL_SM_EUlSZ_E0_NS1_11comp_targetILNS1_3genE9ELNS1_11target_archE1100ELNS1_3gpuE3ELNS1_3repE0EEENS1_38merge_mergepath_config_static_selectorELNS0_4arch9wavefront6targetE1EEEvSL_.kd
    .uniform_work_group_size: 1
    .uses_dynamic_stack: false
    .vgpr_count:     0
    .vgpr_spill_count: 0
    .wavefront_size: 64
  - .agpr_count:     0
    .args:
      - .offset:         0
        .size:           64
        .value_kind:     by_value
    .group_segment_fixed_size: 0
    .kernarg_segment_align: 8
    .kernarg_segment_size: 64
    .language:       OpenCL C
    .language_version:
      - 2
      - 0
    .max_flat_workgroup_size: 1024
    .name:           _ZN7rocprim17ROCPRIM_400000_NS6detail17trampoline_kernelINS0_14default_configENS1_38merge_sort_block_merge_config_selectorIyNS0_10empty_typeEEEZZNS1_27merge_sort_block_merge_implIS3_N6thrust23THRUST_200600_302600_NS6detail15normal_iteratorINS9_10device_ptrIyEEEEPS5_jNS1_19radix_merge_compareILb0ELb0EyNS0_19identity_decomposerEEEEE10hipError_tT0_T1_T2_jT3_P12ihipStream_tbPNSt15iterator_traitsISK_E10value_typeEPNSQ_ISL_E10value_typeEPSM_NS1_7vsmem_tEENKUlT_SK_SL_SM_E_clISE_PySF_SF_EESJ_SZ_SK_SL_SM_EUlSZ_E0_NS1_11comp_targetILNS1_3genE8ELNS1_11target_archE1030ELNS1_3gpuE2ELNS1_3repE0EEENS1_38merge_mergepath_config_static_selectorELNS0_4arch9wavefront6targetE1EEEvSL_
    .private_segment_fixed_size: 0
    .sgpr_count:     6
    .sgpr_spill_count: 0
    .symbol:         _ZN7rocprim17ROCPRIM_400000_NS6detail17trampoline_kernelINS0_14default_configENS1_38merge_sort_block_merge_config_selectorIyNS0_10empty_typeEEEZZNS1_27merge_sort_block_merge_implIS3_N6thrust23THRUST_200600_302600_NS6detail15normal_iteratorINS9_10device_ptrIyEEEEPS5_jNS1_19radix_merge_compareILb0ELb0EyNS0_19identity_decomposerEEEEE10hipError_tT0_T1_T2_jT3_P12ihipStream_tbPNSt15iterator_traitsISK_E10value_typeEPNSQ_ISL_E10value_typeEPSM_NS1_7vsmem_tEENKUlT_SK_SL_SM_E_clISE_PySF_SF_EESJ_SZ_SK_SL_SM_EUlSZ_E0_NS1_11comp_targetILNS1_3genE8ELNS1_11target_archE1030ELNS1_3gpuE2ELNS1_3repE0EEENS1_38merge_mergepath_config_static_selectorELNS0_4arch9wavefront6targetE1EEEvSL_.kd
    .uniform_work_group_size: 1
    .uses_dynamic_stack: false
    .vgpr_count:     0
    .vgpr_spill_count: 0
    .wavefront_size: 64
  - .agpr_count:     0
    .args:
      - .offset:         0
        .size:           48
        .value_kind:     by_value
    .group_segment_fixed_size: 0
    .kernarg_segment_align: 8
    .kernarg_segment_size: 48
    .language:       OpenCL C
    .language_version:
      - 2
      - 0
    .max_flat_workgroup_size: 256
    .name:           _ZN7rocprim17ROCPRIM_400000_NS6detail17trampoline_kernelINS0_14default_configENS1_38merge_sort_block_merge_config_selectorIyNS0_10empty_typeEEEZZNS1_27merge_sort_block_merge_implIS3_N6thrust23THRUST_200600_302600_NS6detail15normal_iteratorINS9_10device_ptrIyEEEEPS5_jNS1_19radix_merge_compareILb0ELb0EyNS0_19identity_decomposerEEEEE10hipError_tT0_T1_T2_jT3_P12ihipStream_tbPNSt15iterator_traitsISK_E10value_typeEPNSQ_ISL_E10value_typeEPSM_NS1_7vsmem_tEENKUlT_SK_SL_SM_E_clISE_PySF_SF_EESJ_SZ_SK_SL_SM_EUlSZ_E1_NS1_11comp_targetILNS1_3genE0ELNS1_11target_archE4294967295ELNS1_3gpuE0ELNS1_3repE0EEENS1_36merge_oddeven_config_static_selectorELNS0_4arch9wavefront6targetE1EEEvSL_
    .private_segment_fixed_size: 0
    .sgpr_count:     6
    .sgpr_spill_count: 0
    .symbol:         _ZN7rocprim17ROCPRIM_400000_NS6detail17trampoline_kernelINS0_14default_configENS1_38merge_sort_block_merge_config_selectorIyNS0_10empty_typeEEEZZNS1_27merge_sort_block_merge_implIS3_N6thrust23THRUST_200600_302600_NS6detail15normal_iteratorINS9_10device_ptrIyEEEEPS5_jNS1_19radix_merge_compareILb0ELb0EyNS0_19identity_decomposerEEEEE10hipError_tT0_T1_T2_jT3_P12ihipStream_tbPNSt15iterator_traitsISK_E10value_typeEPNSQ_ISL_E10value_typeEPSM_NS1_7vsmem_tEENKUlT_SK_SL_SM_E_clISE_PySF_SF_EESJ_SZ_SK_SL_SM_EUlSZ_E1_NS1_11comp_targetILNS1_3genE0ELNS1_11target_archE4294967295ELNS1_3gpuE0ELNS1_3repE0EEENS1_36merge_oddeven_config_static_selectorELNS0_4arch9wavefront6targetE1EEEvSL_.kd
    .uniform_work_group_size: 1
    .uses_dynamic_stack: false
    .vgpr_count:     0
    .vgpr_spill_count: 0
    .wavefront_size: 64
  - .agpr_count:     0
    .args:
      - .offset:         0
        .size:           48
        .value_kind:     by_value
    .group_segment_fixed_size: 0
    .kernarg_segment_align: 8
    .kernarg_segment_size: 48
    .language:       OpenCL C
    .language_version:
      - 2
      - 0
    .max_flat_workgroup_size: 256
    .name:           _ZN7rocprim17ROCPRIM_400000_NS6detail17trampoline_kernelINS0_14default_configENS1_38merge_sort_block_merge_config_selectorIyNS0_10empty_typeEEEZZNS1_27merge_sort_block_merge_implIS3_N6thrust23THRUST_200600_302600_NS6detail15normal_iteratorINS9_10device_ptrIyEEEEPS5_jNS1_19radix_merge_compareILb0ELb0EyNS0_19identity_decomposerEEEEE10hipError_tT0_T1_T2_jT3_P12ihipStream_tbPNSt15iterator_traitsISK_E10value_typeEPNSQ_ISL_E10value_typeEPSM_NS1_7vsmem_tEENKUlT_SK_SL_SM_E_clISE_PySF_SF_EESJ_SZ_SK_SL_SM_EUlSZ_E1_NS1_11comp_targetILNS1_3genE10ELNS1_11target_archE1201ELNS1_3gpuE5ELNS1_3repE0EEENS1_36merge_oddeven_config_static_selectorELNS0_4arch9wavefront6targetE1EEEvSL_
    .private_segment_fixed_size: 0
    .sgpr_count:     6
    .sgpr_spill_count: 0
    .symbol:         _ZN7rocprim17ROCPRIM_400000_NS6detail17trampoline_kernelINS0_14default_configENS1_38merge_sort_block_merge_config_selectorIyNS0_10empty_typeEEEZZNS1_27merge_sort_block_merge_implIS3_N6thrust23THRUST_200600_302600_NS6detail15normal_iteratorINS9_10device_ptrIyEEEEPS5_jNS1_19radix_merge_compareILb0ELb0EyNS0_19identity_decomposerEEEEE10hipError_tT0_T1_T2_jT3_P12ihipStream_tbPNSt15iterator_traitsISK_E10value_typeEPNSQ_ISL_E10value_typeEPSM_NS1_7vsmem_tEENKUlT_SK_SL_SM_E_clISE_PySF_SF_EESJ_SZ_SK_SL_SM_EUlSZ_E1_NS1_11comp_targetILNS1_3genE10ELNS1_11target_archE1201ELNS1_3gpuE5ELNS1_3repE0EEENS1_36merge_oddeven_config_static_selectorELNS0_4arch9wavefront6targetE1EEEvSL_.kd
    .uniform_work_group_size: 1
    .uses_dynamic_stack: false
    .vgpr_count:     0
    .vgpr_spill_count: 0
    .wavefront_size: 64
  - .agpr_count:     0
    .args:
      - .offset:         0
        .size:           48
        .value_kind:     by_value
    .group_segment_fixed_size: 0
    .kernarg_segment_align: 8
    .kernarg_segment_size: 48
    .language:       OpenCL C
    .language_version:
      - 2
      - 0
    .max_flat_workgroup_size: 256
    .name:           _ZN7rocprim17ROCPRIM_400000_NS6detail17trampoline_kernelINS0_14default_configENS1_38merge_sort_block_merge_config_selectorIyNS0_10empty_typeEEEZZNS1_27merge_sort_block_merge_implIS3_N6thrust23THRUST_200600_302600_NS6detail15normal_iteratorINS9_10device_ptrIyEEEEPS5_jNS1_19radix_merge_compareILb0ELb0EyNS0_19identity_decomposerEEEEE10hipError_tT0_T1_T2_jT3_P12ihipStream_tbPNSt15iterator_traitsISK_E10value_typeEPNSQ_ISL_E10value_typeEPSM_NS1_7vsmem_tEENKUlT_SK_SL_SM_E_clISE_PySF_SF_EESJ_SZ_SK_SL_SM_EUlSZ_E1_NS1_11comp_targetILNS1_3genE5ELNS1_11target_archE942ELNS1_3gpuE9ELNS1_3repE0EEENS1_36merge_oddeven_config_static_selectorELNS0_4arch9wavefront6targetE1EEEvSL_
    .private_segment_fixed_size: 0
    .sgpr_count:     25
    .sgpr_spill_count: 0
    .symbol:         _ZN7rocprim17ROCPRIM_400000_NS6detail17trampoline_kernelINS0_14default_configENS1_38merge_sort_block_merge_config_selectorIyNS0_10empty_typeEEEZZNS1_27merge_sort_block_merge_implIS3_N6thrust23THRUST_200600_302600_NS6detail15normal_iteratorINS9_10device_ptrIyEEEEPS5_jNS1_19radix_merge_compareILb0ELb0EyNS0_19identity_decomposerEEEEE10hipError_tT0_T1_T2_jT3_P12ihipStream_tbPNSt15iterator_traitsISK_E10value_typeEPNSQ_ISL_E10value_typeEPSM_NS1_7vsmem_tEENKUlT_SK_SL_SM_E_clISE_PySF_SF_EESJ_SZ_SK_SL_SM_EUlSZ_E1_NS1_11comp_targetILNS1_3genE5ELNS1_11target_archE942ELNS1_3gpuE9ELNS1_3repE0EEENS1_36merge_oddeven_config_static_selectorELNS0_4arch9wavefront6targetE1EEEvSL_.kd
    .uniform_work_group_size: 1
    .uses_dynamic_stack: false
    .vgpr_count:     11
    .vgpr_spill_count: 0
    .wavefront_size: 64
  - .agpr_count:     0
    .args:
      - .offset:         0
        .size:           48
        .value_kind:     by_value
    .group_segment_fixed_size: 0
    .kernarg_segment_align: 8
    .kernarg_segment_size: 48
    .language:       OpenCL C
    .language_version:
      - 2
      - 0
    .max_flat_workgroup_size: 256
    .name:           _ZN7rocprim17ROCPRIM_400000_NS6detail17trampoline_kernelINS0_14default_configENS1_38merge_sort_block_merge_config_selectorIyNS0_10empty_typeEEEZZNS1_27merge_sort_block_merge_implIS3_N6thrust23THRUST_200600_302600_NS6detail15normal_iteratorINS9_10device_ptrIyEEEEPS5_jNS1_19radix_merge_compareILb0ELb0EyNS0_19identity_decomposerEEEEE10hipError_tT0_T1_T2_jT3_P12ihipStream_tbPNSt15iterator_traitsISK_E10value_typeEPNSQ_ISL_E10value_typeEPSM_NS1_7vsmem_tEENKUlT_SK_SL_SM_E_clISE_PySF_SF_EESJ_SZ_SK_SL_SM_EUlSZ_E1_NS1_11comp_targetILNS1_3genE4ELNS1_11target_archE910ELNS1_3gpuE8ELNS1_3repE0EEENS1_36merge_oddeven_config_static_selectorELNS0_4arch9wavefront6targetE1EEEvSL_
    .private_segment_fixed_size: 0
    .sgpr_count:     6
    .sgpr_spill_count: 0
    .symbol:         _ZN7rocprim17ROCPRIM_400000_NS6detail17trampoline_kernelINS0_14default_configENS1_38merge_sort_block_merge_config_selectorIyNS0_10empty_typeEEEZZNS1_27merge_sort_block_merge_implIS3_N6thrust23THRUST_200600_302600_NS6detail15normal_iteratorINS9_10device_ptrIyEEEEPS5_jNS1_19radix_merge_compareILb0ELb0EyNS0_19identity_decomposerEEEEE10hipError_tT0_T1_T2_jT3_P12ihipStream_tbPNSt15iterator_traitsISK_E10value_typeEPNSQ_ISL_E10value_typeEPSM_NS1_7vsmem_tEENKUlT_SK_SL_SM_E_clISE_PySF_SF_EESJ_SZ_SK_SL_SM_EUlSZ_E1_NS1_11comp_targetILNS1_3genE4ELNS1_11target_archE910ELNS1_3gpuE8ELNS1_3repE0EEENS1_36merge_oddeven_config_static_selectorELNS0_4arch9wavefront6targetE1EEEvSL_.kd
    .uniform_work_group_size: 1
    .uses_dynamic_stack: false
    .vgpr_count:     0
    .vgpr_spill_count: 0
    .wavefront_size: 64
  - .agpr_count:     0
    .args:
      - .offset:         0
        .size:           48
        .value_kind:     by_value
    .group_segment_fixed_size: 0
    .kernarg_segment_align: 8
    .kernarg_segment_size: 48
    .language:       OpenCL C
    .language_version:
      - 2
      - 0
    .max_flat_workgroup_size: 256
    .name:           _ZN7rocprim17ROCPRIM_400000_NS6detail17trampoline_kernelINS0_14default_configENS1_38merge_sort_block_merge_config_selectorIyNS0_10empty_typeEEEZZNS1_27merge_sort_block_merge_implIS3_N6thrust23THRUST_200600_302600_NS6detail15normal_iteratorINS9_10device_ptrIyEEEEPS5_jNS1_19radix_merge_compareILb0ELb0EyNS0_19identity_decomposerEEEEE10hipError_tT0_T1_T2_jT3_P12ihipStream_tbPNSt15iterator_traitsISK_E10value_typeEPNSQ_ISL_E10value_typeEPSM_NS1_7vsmem_tEENKUlT_SK_SL_SM_E_clISE_PySF_SF_EESJ_SZ_SK_SL_SM_EUlSZ_E1_NS1_11comp_targetILNS1_3genE3ELNS1_11target_archE908ELNS1_3gpuE7ELNS1_3repE0EEENS1_36merge_oddeven_config_static_selectorELNS0_4arch9wavefront6targetE1EEEvSL_
    .private_segment_fixed_size: 0
    .sgpr_count:     6
    .sgpr_spill_count: 0
    .symbol:         _ZN7rocprim17ROCPRIM_400000_NS6detail17trampoline_kernelINS0_14default_configENS1_38merge_sort_block_merge_config_selectorIyNS0_10empty_typeEEEZZNS1_27merge_sort_block_merge_implIS3_N6thrust23THRUST_200600_302600_NS6detail15normal_iteratorINS9_10device_ptrIyEEEEPS5_jNS1_19radix_merge_compareILb0ELb0EyNS0_19identity_decomposerEEEEE10hipError_tT0_T1_T2_jT3_P12ihipStream_tbPNSt15iterator_traitsISK_E10value_typeEPNSQ_ISL_E10value_typeEPSM_NS1_7vsmem_tEENKUlT_SK_SL_SM_E_clISE_PySF_SF_EESJ_SZ_SK_SL_SM_EUlSZ_E1_NS1_11comp_targetILNS1_3genE3ELNS1_11target_archE908ELNS1_3gpuE7ELNS1_3repE0EEENS1_36merge_oddeven_config_static_selectorELNS0_4arch9wavefront6targetE1EEEvSL_.kd
    .uniform_work_group_size: 1
    .uses_dynamic_stack: false
    .vgpr_count:     0
    .vgpr_spill_count: 0
    .wavefront_size: 64
  - .agpr_count:     0
    .args:
      - .offset:         0
        .size:           48
        .value_kind:     by_value
    .group_segment_fixed_size: 0
    .kernarg_segment_align: 8
    .kernarg_segment_size: 48
    .language:       OpenCL C
    .language_version:
      - 2
      - 0
    .max_flat_workgroup_size: 256
    .name:           _ZN7rocprim17ROCPRIM_400000_NS6detail17trampoline_kernelINS0_14default_configENS1_38merge_sort_block_merge_config_selectorIyNS0_10empty_typeEEEZZNS1_27merge_sort_block_merge_implIS3_N6thrust23THRUST_200600_302600_NS6detail15normal_iteratorINS9_10device_ptrIyEEEEPS5_jNS1_19radix_merge_compareILb0ELb0EyNS0_19identity_decomposerEEEEE10hipError_tT0_T1_T2_jT3_P12ihipStream_tbPNSt15iterator_traitsISK_E10value_typeEPNSQ_ISL_E10value_typeEPSM_NS1_7vsmem_tEENKUlT_SK_SL_SM_E_clISE_PySF_SF_EESJ_SZ_SK_SL_SM_EUlSZ_E1_NS1_11comp_targetILNS1_3genE2ELNS1_11target_archE906ELNS1_3gpuE6ELNS1_3repE0EEENS1_36merge_oddeven_config_static_selectorELNS0_4arch9wavefront6targetE1EEEvSL_
    .private_segment_fixed_size: 0
    .sgpr_count:     6
    .sgpr_spill_count: 0
    .symbol:         _ZN7rocprim17ROCPRIM_400000_NS6detail17trampoline_kernelINS0_14default_configENS1_38merge_sort_block_merge_config_selectorIyNS0_10empty_typeEEEZZNS1_27merge_sort_block_merge_implIS3_N6thrust23THRUST_200600_302600_NS6detail15normal_iteratorINS9_10device_ptrIyEEEEPS5_jNS1_19radix_merge_compareILb0ELb0EyNS0_19identity_decomposerEEEEE10hipError_tT0_T1_T2_jT3_P12ihipStream_tbPNSt15iterator_traitsISK_E10value_typeEPNSQ_ISL_E10value_typeEPSM_NS1_7vsmem_tEENKUlT_SK_SL_SM_E_clISE_PySF_SF_EESJ_SZ_SK_SL_SM_EUlSZ_E1_NS1_11comp_targetILNS1_3genE2ELNS1_11target_archE906ELNS1_3gpuE6ELNS1_3repE0EEENS1_36merge_oddeven_config_static_selectorELNS0_4arch9wavefront6targetE1EEEvSL_.kd
    .uniform_work_group_size: 1
    .uses_dynamic_stack: false
    .vgpr_count:     0
    .vgpr_spill_count: 0
    .wavefront_size: 64
  - .agpr_count:     0
    .args:
      - .offset:         0
        .size:           48
        .value_kind:     by_value
    .group_segment_fixed_size: 0
    .kernarg_segment_align: 8
    .kernarg_segment_size: 48
    .language:       OpenCL C
    .language_version:
      - 2
      - 0
    .max_flat_workgroup_size: 256
    .name:           _ZN7rocprim17ROCPRIM_400000_NS6detail17trampoline_kernelINS0_14default_configENS1_38merge_sort_block_merge_config_selectorIyNS0_10empty_typeEEEZZNS1_27merge_sort_block_merge_implIS3_N6thrust23THRUST_200600_302600_NS6detail15normal_iteratorINS9_10device_ptrIyEEEEPS5_jNS1_19radix_merge_compareILb0ELb0EyNS0_19identity_decomposerEEEEE10hipError_tT0_T1_T2_jT3_P12ihipStream_tbPNSt15iterator_traitsISK_E10value_typeEPNSQ_ISL_E10value_typeEPSM_NS1_7vsmem_tEENKUlT_SK_SL_SM_E_clISE_PySF_SF_EESJ_SZ_SK_SL_SM_EUlSZ_E1_NS1_11comp_targetILNS1_3genE9ELNS1_11target_archE1100ELNS1_3gpuE3ELNS1_3repE0EEENS1_36merge_oddeven_config_static_selectorELNS0_4arch9wavefront6targetE1EEEvSL_
    .private_segment_fixed_size: 0
    .sgpr_count:     6
    .sgpr_spill_count: 0
    .symbol:         _ZN7rocprim17ROCPRIM_400000_NS6detail17trampoline_kernelINS0_14default_configENS1_38merge_sort_block_merge_config_selectorIyNS0_10empty_typeEEEZZNS1_27merge_sort_block_merge_implIS3_N6thrust23THRUST_200600_302600_NS6detail15normal_iteratorINS9_10device_ptrIyEEEEPS5_jNS1_19radix_merge_compareILb0ELb0EyNS0_19identity_decomposerEEEEE10hipError_tT0_T1_T2_jT3_P12ihipStream_tbPNSt15iterator_traitsISK_E10value_typeEPNSQ_ISL_E10value_typeEPSM_NS1_7vsmem_tEENKUlT_SK_SL_SM_E_clISE_PySF_SF_EESJ_SZ_SK_SL_SM_EUlSZ_E1_NS1_11comp_targetILNS1_3genE9ELNS1_11target_archE1100ELNS1_3gpuE3ELNS1_3repE0EEENS1_36merge_oddeven_config_static_selectorELNS0_4arch9wavefront6targetE1EEEvSL_.kd
    .uniform_work_group_size: 1
    .uses_dynamic_stack: false
    .vgpr_count:     0
    .vgpr_spill_count: 0
    .wavefront_size: 64
  - .agpr_count:     0
    .args:
      - .offset:         0
        .size:           48
        .value_kind:     by_value
    .group_segment_fixed_size: 0
    .kernarg_segment_align: 8
    .kernarg_segment_size: 48
    .language:       OpenCL C
    .language_version:
      - 2
      - 0
    .max_flat_workgroup_size: 256
    .name:           _ZN7rocprim17ROCPRIM_400000_NS6detail17trampoline_kernelINS0_14default_configENS1_38merge_sort_block_merge_config_selectorIyNS0_10empty_typeEEEZZNS1_27merge_sort_block_merge_implIS3_N6thrust23THRUST_200600_302600_NS6detail15normal_iteratorINS9_10device_ptrIyEEEEPS5_jNS1_19radix_merge_compareILb0ELb0EyNS0_19identity_decomposerEEEEE10hipError_tT0_T1_T2_jT3_P12ihipStream_tbPNSt15iterator_traitsISK_E10value_typeEPNSQ_ISL_E10value_typeEPSM_NS1_7vsmem_tEENKUlT_SK_SL_SM_E_clISE_PySF_SF_EESJ_SZ_SK_SL_SM_EUlSZ_E1_NS1_11comp_targetILNS1_3genE8ELNS1_11target_archE1030ELNS1_3gpuE2ELNS1_3repE0EEENS1_36merge_oddeven_config_static_selectorELNS0_4arch9wavefront6targetE1EEEvSL_
    .private_segment_fixed_size: 0
    .sgpr_count:     6
    .sgpr_spill_count: 0
    .symbol:         _ZN7rocprim17ROCPRIM_400000_NS6detail17trampoline_kernelINS0_14default_configENS1_38merge_sort_block_merge_config_selectorIyNS0_10empty_typeEEEZZNS1_27merge_sort_block_merge_implIS3_N6thrust23THRUST_200600_302600_NS6detail15normal_iteratorINS9_10device_ptrIyEEEEPS5_jNS1_19radix_merge_compareILb0ELb0EyNS0_19identity_decomposerEEEEE10hipError_tT0_T1_T2_jT3_P12ihipStream_tbPNSt15iterator_traitsISK_E10value_typeEPNSQ_ISL_E10value_typeEPSM_NS1_7vsmem_tEENKUlT_SK_SL_SM_E_clISE_PySF_SF_EESJ_SZ_SK_SL_SM_EUlSZ_E1_NS1_11comp_targetILNS1_3genE8ELNS1_11target_archE1030ELNS1_3gpuE2ELNS1_3repE0EEENS1_36merge_oddeven_config_static_selectorELNS0_4arch9wavefront6targetE1EEEvSL_.kd
    .uniform_work_group_size: 1
    .uses_dynamic_stack: false
    .vgpr_count:     0
    .vgpr_spill_count: 0
    .wavefront_size: 64
  - .agpr_count:     0
    .args:
      - .offset:         0
        .size:           40
        .value_kind:     by_value
    .group_segment_fixed_size: 0
    .kernarg_segment_align: 8
    .kernarg_segment_size: 40
    .language:       OpenCL C
    .language_version:
      - 2
      - 0
    .max_flat_workgroup_size: 128
    .name:           _ZN7rocprim17ROCPRIM_400000_NS6detail17trampoline_kernelINS0_14default_configENS1_25transform_config_selectorIyLb0EEEZNS1_14transform_implILb0ES3_S5_PyN6thrust23THRUST_200600_302600_NS6detail15normal_iteratorINS9_10device_ptrIyEEEENS0_8identityIyEEEE10hipError_tT2_T3_mT4_P12ihipStream_tbEUlT_E_NS1_11comp_targetILNS1_3genE0ELNS1_11target_archE4294967295ELNS1_3gpuE0ELNS1_3repE0EEENS1_30default_config_static_selectorELNS0_4arch9wavefront6targetE1EEEvT1_
    .private_segment_fixed_size: 0
    .sgpr_count:     6
    .sgpr_spill_count: 0
    .symbol:         _ZN7rocprim17ROCPRIM_400000_NS6detail17trampoline_kernelINS0_14default_configENS1_25transform_config_selectorIyLb0EEEZNS1_14transform_implILb0ES3_S5_PyN6thrust23THRUST_200600_302600_NS6detail15normal_iteratorINS9_10device_ptrIyEEEENS0_8identityIyEEEE10hipError_tT2_T3_mT4_P12ihipStream_tbEUlT_E_NS1_11comp_targetILNS1_3genE0ELNS1_11target_archE4294967295ELNS1_3gpuE0ELNS1_3repE0EEENS1_30default_config_static_selectorELNS0_4arch9wavefront6targetE1EEEvT1_.kd
    .uniform_work_group_size: 1
    .uses_dynamic_stack: false
    .vgpr_count:     0
    .vgpr_spill_count: 0
    .wavefront_size: 64
  - .agpr_count:     0
    .args:
      - .offset:         0
        .size:           40
        .value_kind:     by_value
      - .offset:         40
        .size:           4
        .value_kind:     hidden_block_count_x
      - .offset:         44
        .size:           4
        .value_kind:     hidden_block_count_y
      - .offset:         48
        .size:           4
        .value_kind:     hidden_block_count_z
      - .offset:         52
        .size:           2
        .value_kind:     hidden_group_size_x
      - .offset:         54
        .size:           2
        .value_kind:     hidden_group_size_y
      - .offset:         56
        .size:           2
        .value_kind:     hidden_group_size_z
      - .offset:         58
        .size:           2
        .value_kind:     hidden_remainder_x
      - .offset:         60
        .size:           2
        .value_kind:     hidden_remainder_y
      - .offset:         62
        .size:           2
        .value_kind:     hidden_remainder_z
      - .offset:         80
        .size:           8
        .value_kind:     hidden_global_offset_x
      - .offset:         88
        .size:           8
        .value_kind:     hidden_global_offset_y
      - .offset:         96
        .size:           8
        .value_kind:     hidden_global_offset_z
      - .offset:         104
        .size:           2
        .value_kind:     hidden_grid_dims
    .group_segment_fixed_size: 0
    .kernarg_segment_align: 8
    .kernarg_segment_size: 296
    .language:       OpenCL C
    .language_version:
      - 2
      - 0
    .max_flat_workgroup_size: 512
    .name:           _ZN7rocprim17ROCPRIM_400000_NS6detail17trampoline_kernelINS0_14default_configENS1_25transform_config_selectorIyLb0EEEZNS1_14transform_implILb0ES3_S5_PyN6thrust23THRUST_200600_302600_NS6detail15normal_iteratorINS9_10device_ptrIyEEEENS0_8identityIyEEEE10hipError_tT2_T3_mT4_P12ihipStream_tbEUlT_E_NS1_11comp_targetILNS1_3genE5ELNS1_11target_archE942ELNS1_3gpuE9ELNS1_3repE0EEENS1_30default_config_static_selectorELNS0_4arch9wavefront6targetE1EEEvT1_
    .private_segment_fixed_size: 0
    .sgpr_count:     20
    .sgpr_spill_count: 0
    .symbol:         _ZN7rocprim17ROCPRIM_400000_NS6detail17trampoline_kernelINS0_14default_configENS1_25transform_config_selectorIyLb0EEEZNS1_14transform_implILb0ES3_S5_PyN6thrust23THRUST_200600_302600_NS6detail15normal_iteratorINS9_10device_ptrIyEEEENS0_8identityIyEEEE10hipError_tT2_T3_mT4_P12ihipStream_tbEUlT_E_NS1_11comp_targetILNS1_3genE5ELNS1_11target_archE942ELNS1_3gpuE9ELNS1_3repE0EEENS1_30default_config_static_selectorELNS0_4arch9wavefront6targetE1EEEvT1_.kd
    .uniform_work_group_size: 1
    .uses_dynamic_stack: false
    .vgpr_count:     12
    .vgpr_spill_count: 0
    .wavefront_size: 64
  - .agpr_count:     0
    .args:
      - .offset:         0
        .size:           40
        .value_kind:     by_value
    .group_segment_fixed_size: 0
    .kernarg_segment_align: 8
    .kernarg_segment_size: 40
    .language:       OpenCL C
    .language_version:
      - 2
      - 0
    .max_flat_workgroup_size: 256
    .name:           _ZN7rocprim17ROCPRIM_400000_NS6detail17trampoline_kernelINS0_14default_configENS1_25transform_config_selectorIyLb0EEEZNS1_14transform_implILb0ES3_S5_PyN6thrust23THRUST_200600_302600_NS6detail15normal_iteratorINS9_10device_ptrIyEEEENS0_8identityIyEEEE10hipError_tT2_T3_mT4_P12ihipStream_tbEUlT_E_NS1_11comp_targetILNS1_3genE4ELNS1_11target_archE910ELNS1_3gpuE8ELNS1_3repE0EEENS1_30default_config_static_selectorELNS0_4arch9wavefront6targetE1EEEvT1_
    .private_segment_fixed_size: 0
    .sgpr_count:     6
    .sgpr_spill_count: 0
    .symbol:         _ZN7rocprim17ROCPRIM_400000_NS6detail17trampoline_kernelINS0_14default_configENS1_25transform_config_selectorIyLb0EEEZNS1_14transform_implILb0ES3_S5_PyN6thrust23THRUST_200600_302600_NS6detail15normal_iteratorINS9_10device_ptrIyEEEENS0_8identityIyEEEE10hipError_tT2_T3_mT4_P12ihipStream_tbEUlT_E_NS1_11comp_targetILNS1_3genE4ELNS1_11target_archE910ELNS1_3gpuE8ELNS1_3repE0EEENS1_30default_config_static_selectorELNS0_4arch9wavefront6targetE1EEEvT1_.kd
    .uniform_work_group_size: 1
    .uses_dynamic_stack: false
    .vgpr_count:     0
    .vgpr_spill_count: 0
    .wavefront_size: 64
  - .agpr_count:     0
    .args:
      - .offset:         0
        .size:           40
        .value_kind:     by_value
    .group_segment_fixed_size: 0
    .kernarg_segment_align: 8
    .kernarg_segment_size: 40
    .language:       OpenCL C
    .language_version:
      - 2
      - 0
    .max_flat_workgroup_size: 128
    .name:           _ZN7rocprim17ROCPRIM_400000_NS6detail17trampoline_kernelINS0_14default_configENS1_25transform_config_selectorIyLb0EEEZNS1_14transform_implILb0ES3_S5_PyN6thrust23THRUST_200600_302600_NS6detail15normal_iteratorINS9_10device_ptrIyEEEENS0_8identityIyEEEE10hipError_tT2_T3_mT4_P12ihipStream_tbEUlT_E_NS1_11comp_targetILNS1_3genE3ELNS1_11target_archE908ELNS1_3gpuE7ELNS1_3repE0EEENS1_30default_config_static_selectorELNS0_4arch9wavefront6targetE1EEEvT1_
    .private_segment_fixed_size: 0
    .sgpr_count:     6
    .sgpr_spill_count: 0
    .symbol:         _ZN7rocprim17ROCPRIM_400000_NS6detail17trampoline_kernelINS0_14default_configENS1_25transform_config_selectorIyLb0EEEZNS1_14transform_implILb0ES3_S5_PyN6thrust23THRUST_200600_302600_NS6detail15normal_iteratorINS9_10device_ptrIyEEEENS0_8identityIyEEEE10hipError_tT2_T3_mT4_P12ihipStream_tbEUlT_E_NS1_11comp_targetILNS1_3genE3ELNS1_11target_archE908ELNS1_3gpuE7ELNS1_3repE0EEENS1_30default_config_static_selectorELNS0_4arch9wavefront6targetE1EEEvT1_.kd
    .uniform_work_group_size: 1
    .uses_dynamic_stack: false
    .vgpr_count:     0
    .vgpr_spill_count: 0
    .wavefront_size: 64
  - .agpr_count:     0
    .args:
      - .offset:         0
        .size:           40
        .value_kind:     by_value
    .group_segment_fixed_size: 0
    .kernarg_segment_align: 8
    .kernarg_segment_size: 40
    .language:       OpenCL C
    .language_version:
      - 2
      - 0
    .max_flat_workgroup_size: 512
    .name:           _ZN7rocprim17ROCPRIM_400000_NS6detail17trampoline_kernelINS0_14default_configENS1_25transform_config_selectorIyLb0EEEZNS1_14transform_implILb0ES3_S5_PyN6thrust23THRUST_200600_302600_NS6detail15normal_iteratorINS9_10device_ptrIyEEEENS0_8identityIyEEEE10hipError_tT2_T3_mT4_P12ihipStream_tbEUlT_E_NS1_11comp_targetILNS1_3genE2ELNS1_11target_archE906ELNS1_3gpuE6ELNS1_3repE0EEENS1_30default_config_static_selectorELNS0_4arch9wavefront6targetE1EEEvT1_
    .private_segment_fixed_size: 0
    .sgpr_count:     6
    .sgpr_spill_count: 0
    .symbol:         _ZN7rocprim17ROCPRIM_400000_NS6detail17trampoline_kernelINS0_14default_configENS1_25transform_config_selectorIyLb0EEEZNS1_14transform_implILb0ES3_S5_PyN6thrust23THRUST_200600_302600_NS6detail15normal_iteratorINS9_10device_ptrIyEEEENS0_8identityIyEEEE10hipError_tT2_T3_mT4_P12ihipStream_tbEUlT_E_NS1_11comp_targetILNS1_3genE2ELNS1_11target_archE906ELNS1_3gpuE6ELNS1_3repE0EEENS1_30default_config_static_selectorELNS0_4arch9wavefront6targetE1EEEvT1_.kd
    .uniform_work_group_size: 1
    .uses_dynamic_stack: false
    .vgpr_count:     0
    .vgpr_spill_count: 0
    .wavefront_size: 64
  - .agpr_count:     0
    .args:
      - .offset:         0
        .size:           40
        .value_kind:     by_value
    .group_segment_fixed_size: 0
    .kernarg_segment_align: 8
    .kernarg_segment_size: 40
    .language:       OpenCL C
    .language_version:
      - 2
      - 0
    .max_flat_workgroup_size: 1024
    .name:           _ZN7rocprim17ROCPRIM_400000_NS6detail17trampoline_kernelINS0_14default_configENS1_25transform_config_selectorIyLb0EEEZNS1_14transform_implILb0ES3_S5_PyN6thrust23THRUST_200600_302600_NS6detail15normal_iteratorINS9_10device_ptrIyEEEENS0_8identityIyEEEE10hipError_tT2_T3_mT4_P12ihipStream_tbEUlT_E_NS1_11comp_targetILNS1_3genE10ELNS1_11target_archE1201ELNS1_3gpuE5ELNS1_3repE0EEENS1_30default_config_static_selectorELNS0_4arch9wavefront6targetE1EEEvT1_
    .private_segment_fixed_size: 0
    .sgpr_count:     6
    .sgpr_spill_count: 0
    .symbol:         _ZN7rocprim17ROCPRIM_400000_NS6detail17trampoline_kernelINS0_14default_configENS1_25transform_config_selectorIyLb0EEEZNS1_14transform_implILb0ES3_S5_PyN6thrust23THRUST_200600_302600_NS6detail15normal_iteratorINS9_10device_ptrIyEEEENS0_8identityIyEEEE10hipError_tT2_T3_mT4_P12ihipStream_tbEUlT_E_NS1_11comp_targetILNS1_3genE10ELNS1_11target_archE1201ELNS1_3gpuE5ELNS1_3repE0EEENS1_30default_config_static_selectorELNS0_4arch9wavefront6targetE1EEEvT1_.kd
    .uniform_work_group_size: 1
    .uses_dynamic_stack: false
    .vgpr_count:     0
    .vgpr_spill_count: 0
    .wavefront_size: 64
  - .agpr_count:     0
    .args:
      - .offset:         0
        .size:           40
        .value_kind:     by_value
    .group_segment_fixed_size: 0
    .kernarg_segment_align: 8
    .kernarg_segment_size: 40
    .language:       OpenCL C
    .language_version:
      - 2
      - 0
    .max_flat_workgroup_size: 512
    .name:           _ZN7rocprim17ROCPRIM_400000_NS6detail17trampoline_kernelINS0_14default_configENS1_25transform_config_selectorIyLb0EEEZNS1_14transform_implILb0ES3_S5_PyN6thrust23THRUST_200600_302600_NS6detail15normal_iteratorINS9_10device_ptrIyEEEENS0_8identityIyEEEE10hipError_tT2_T3_mT4_P12ihipStream_tbEUlT_E_NS1_11comp_targetILNS1_3genE10ELNS1_11target_archE1200ELNS1_3gpuE4ELNS1_3repE0EEENS1_30default_config_static_selectorELNS0_4arch9wavefront6targetE1EEEvT1_
    .private_segment_fixed_size: 0
    .sgpr_count:     6
    .sgpr_spill_count: 0
    .symbol:         _ZN7rocprim17ROCPRIM_400000_NS6detail17trampoline_kernelINS0_14default_configENS1_25transform_config_selectorIyLb0EEEZNS1_14transform_implILb0ES3_S5_PyN6thrust23THRUST_200600_302600_NS6detail15normal_iteratorINS9_10device_ptrIyEEEENS0_8identityIyEEEE10hipError_tT2_T3_mT4_P12ihipStream_tbEUlT_E_NS1_11comp_targetILNS1_3genE10ELNS1_11target_archE1200ELNS1_3gpuE4ELNS1_3repE0EEENS1_30default_config_static_selectorELNS0_4arch9wavefront6targetE1EEEvT1_.kd
    .uniform_work_group_size: 1
    .uses_dynamic_stack: false
    .vgpr_count:     0
    .vgpr_spill_count: 0
    .wavefront_size: 64
  - .agpr_count:     0
    .args:
      - .offset:         0
        .size:           40
        .value_kind:     by_value
    .group_segment_fixed_size: 0
    .kernarg_segment_align: 8
    .kernarg_segment_size: 40
    .language:       OpenCL C
    .language_version:
      - 2
      - 0
    .max_flat_workgroup_size: 512
    .name:           _ZN7rocprim17ROCPRIM_400000_NS6detail17trampoline_kernelINS0_14default_configENS1_25transform_config_selectorIyLb0EEEZNS1_14transform_implILb0ES3_S5_PyN6thrust23THRUST_200600_302600_NS6detail15normal_iteratorINS9_10device_ptrIyEEEENS0_8identityIyEEEE10hipError_tT2_T3_mT4_P12ihipStream_tbEUlT_E_NS1_11comp_targetILNS1_3genE9ELNS1_11target_archE1100ELNS1_3gpuE3ELNS1_3repE0EEENS1_30default_config_static_selectorELNS0_4arch9wavefront6targetE1EEEvT1_
    .private_segment_fixed_size: 0
    .sgpr_count:     6
    .sgpr_spill_count: 0
    .symbol:         _ZN7rocprim17ROCPRIM_400000_NS6detail17trampoline_kernelINS0_14default_configENS1_25transform_config_selectorIyLb0EEEZNS1_14transform_implILb0ES3_S5_PyN6thrust23THRUST_200600_302600_NS6detail15normal_iteratorINS9_10device_ptrIyEEEENS0_8identityIyEEEE10hipError_tT2_T3_mT4_P12ihipStream_tbEUlT_E_NS1_11comp_targetILNS1_3genE9ELNS1_11target_archE1100ELNS1_3gpuE3ELNS1_3repE0EEENS1_30default_config_static_selectorELNS0_4arch9wavefront6targetE1EEEvT1_.kd
    .uniform_work_group_size: 1
    .uses_dynamic_stack: false
    .vgpr_count:     0
    .vgpr_spill_count: 0
    .wavefront_size: 64
  - .agpr_count:     0
    .args:
      - .offset:         0
        .size:           40
        .value_kind:     by_value
    .group_segment_fixed_size: 0
    .kernarg_segment_align: 8
    .kernarg_segment_size: 40
    .language:       OpenCL C
    .language_version:
      - 2
      - 0
    .max_flat_workgroup_size: 512
    .name:           _ZN7rocprim17ROCPRIM_400000_NS6detail17trampoline_kernelINS0_14default_configENS1_25transform_config_selectorIyLb0EEEZNS1_14transform_implILb0ES3_S5_PyN6thrust23THRUST_200600_302600_NS6detail15normal_iteratorINS9_10device_ptrIyEEEENS0_8identityIyEEEE10hipError_tT2_T3_mT4_P12ihipStream_tbEUlT_E_NS1_11comp_targetILNS1_3genE8ELNS1_11target_archE1030ELNS1_3gpuE2ELNS1_3repE0EEENS1_30default_config_static_selectorELNS0_4arch9wavefront6targetE1EEEvT1_
    .private_segment_fixed_size: 0
    .sgpr_count:     6
    .sgpr_spill_count: 0
    .symbol:         _ZN7rocprim17ROCPRIM_400000_NS6detail17trampoline_kernelINS0_14default_configENS1_25transform_config_selectorIyLb0EEEZNS1_14transform_implILb0ES3_S5_PyN6thrust23THRUST_200600_302600_NS6detail15normal_iteratorINS9_10device_ptrIyEEEENS0_8identityIyEEEE10hipError_tT2_T3_mT4_P12ihipStream_tbEUlT_E_NS1_11comp_targetILNS1_3genE8ELNS1_11target_archE1030ELNS1_3gpuE2ELNS1_3repE0EEENS1_30default_config_static_selectorELNS0_4arch9wavefront6targetE1EEEvT1_.kd
    .uniform_work_group_size: 1
    .uses_dynamic_stack: false
    .vgpr_count:     0
    .vgpr_spill_count: 0
    .wavefront_size: 64
  - .agpr_count:     0
    .args:
      - .offset:         0
        .size:           40
        .value_kind:     by_value
    .group_segment_fixed_size: 0
    .kernarg_segment_align: 8
    .kernarg_segment_size: 40
    .language:       OpenCL C
    .language_version:
      - 2
      - 0
    .max_flat_workgroup_size: 128
    .name:           _ZN7rocprim17ROCPRIM_400000_NS6detail17trampoline_kernelINS0_14default_configENS1_25transform_config_selectorINS0_10empty_typeELb1EEEZNS1_14transform_implILb1ES3_S6_PS5_S8_NS0_8identityIS5_EEEE10hipError_tT2_T3_mT4_P12ihipStream_tbEUlT_E_NS1_11comp_targetILNS1_3genE0ELNS1_11target_archE4294967295ELNS1_3gpuE0ELNS1_3repE0EEENS1_30default_config_static_selectorELNS0_4arch9wavefront6targetE1EEEvT1_
    .private_segment_fixed_size: 0
    .sgpr_count:     6
    .sgpr_spill_count: 0
    .symbol:         _ZN7rocprim17ROCPRIM_400000_NS6detail17trampoline_kernelINS0_14default_configENS1_25transform_config_selectorINS0_10empty_typeELb1EEEZNS1_14transform_implILb1ES3_S6_PS5_S8_NS0_8identityIS5_EEEE10hipError_tT2_T3_mT4_P12ihipStream_tbEUlT_E_NS1_11comp_targetILNS1_3genE0ELNS1_11target_archE4294967295ELNS1_3gpuE0ELNS1_3repE0EEENS1_30default_config_static_selectorELNS0_4arch9wavefront6targetE1EEEvT1_.kd
    .uniform_work_group_size: 1
    .uses_dynamic_stack: false
    .vgpr_count:     0
    .vgpr_spill_count: 0
    .wavefront_size: 64
  - .agpr_count:     0
    .args:
      - .offset:         0
        .size:           40
        .value_kind:     by_value
    .group_segment_fixed_size: 0
    .kernarg_segment_align: 8
    .kernarg_segment_size: 40
    .language:       OpenCL C
    .language_version:
      - 2
      - 0
    .max_flat_workgroup_size: 1024
    .name:           _ZN7rocprim17ROCPRIM_400000_NS6detail17trampoline_kernelINS0_14default_configENS1_25transform_config_selectorINS0_10empty_typeELb1EEEZNS1_14transform_implILb1ES3_S6_PS5_S8_NS0_8identityIS5_EEEE10hipError_tT2_T3_mT4_P12ihipStream_tbEUlT_E_NS1_11comp_targetILNS1_3genE10ELNS1_11target_archE1201ELNS1_3gpuE5ELNS1_3repE0EEENS1_30default_config_static_selectorELNS0_4arch9wavefront6targetE1EEEvT1_
    .private_segment_fixed_size: 0
    .sgpr_count:     6
    .sgpr_spill_count: 0
    .symbol:         _ZN7rocprim17ROCPRIM_400000_NS6detail17trampoline_kernelINS0_14default_configENS1_25transform_config_selectorINS0_10empty_typeELb1EEEZNS1_14transform_implILb1ES3_S6_PS5_S8_NS0_8identityIS5_EEEE10hipError_tT2_T3_mT4_P12ihipStream_tbEUlT_E_NS1_11comp_targetILNS1_3genE10ELNS1_11target_archE1201ELNS1_3gpuE5ELNS1_3repE0EEENS1_30default_config_static_selectorELNS0_4arch9wavefront6targetE1EEEvT1_.kd
    .uniform_work_group_size: 1
    .uses_dynamic_stack: false
    .vgpr_count:     0
    .vgpr_spill_count: 0
    .wavefront_size: 64
  - .agpr_count:     0
    .args:
      - .offset:         0
        .size:           40
        .value_kind:     by_value
    .group_segment_fixed_size: 0
    .kernarg_segment_align: 8
    .kernarg_segment_size: 40
    .language:       OpenCL C
    .language_version:
      - 2
      - 0
    .max_flat_workgroup_size: 256
    .name:           _ZN7rocprim17ROCPRIM_400000_NS6detail17trampoline_kernelINS0_14default_configENS1_25transform_config_selectorINS0_10empty_typeELb1EEEZNS1_14transform_implILb1ES3_S6_PS5_S8_NS0_8identityIS5_EEEE10hipError_tT2_T3_mT4_P12ihipStream_tbEUlT_E_NS1_11comp_targetILNS1_3genE5ELNS1_11target_archE942ELNS1_3gpuE9ELNS1_3repE0EEENS1_30default_config_static_selectorELNS0_4arch9wavefront6targetE1EEEvT1_
    .private_segment_fixed_size: 0
    .sgpr_count:     6
    .sgpr_spill_count: 0
    .symbol:         _ZN7rocprim17ROCPRIM_400000_NS6detail17trampoline_kernelINS0_14default_configENS1_25transform_config_selectorINS0_10empty_typeELb1EEEZNS1_14transform_implILb1ES3_S6_PS5_S8_NS0_8identityIS5_EEEE10hipError_tT2_T3_mT4_P12ihipStream_tbEUlT_E_NS1_11comp_targetILNS1_3genE5ELNS1_11target_archE942ELNS1_3gpuE9ELNS1_3repE0EEENS1_30default_config_static_selectorELNS0_4arch9wavefront6targetE1EEEvT1_.kd
    .uniform_work_group_size: 1
    .uses_dynamic_stack: false
    .vgpr_count:     0
    .vgpr_spill_count: 0
    .wavefront_size: 64
  - .agpr_count:     0
    .args:
      - .offset:         0
        .size:           40
        .value_kind:     by_value
    .group_segment_fixed_size: 0
    .kernarg_segment_align: 8
    .kernarg_segment_size: 40
    .language:       OpenCL C
    .language_version:
      - 2
      - 0
    .max_flat_workgroup_size: 1024
    .name:           _ZN7rocprim17ROCPRIM_400000_NS6detail17trampoline_kernelINS0_14default_configENS1_25transform_config_selectorINS0_10empty_typeELb1EEEZNS1_14transform_implILb1ES3_S6_PS5_S8_NS0_8identityIS5_EEEE10hipError_tT2_T3_mT4_P12ihipStream_tbEUlT_E_NS1_11comp_targetILNS1_3genE4ELNS1_11target_archE910ELNS1_3gpuE8ELNS1_3repE0EEENS1_30default_config_static_selectorELNS0_4arch9wavefront6targetE1EEEvT1_
    .private_segment_fixed_size: 0
    .sgpr_count:     6
    .sgpr_spill_count: 0
    .symbol:         _ZN7rocprim17ROCPRIM_400000_NS6detail17trampoline_kernelINS0_14default_configENS1_25transform_config_selectorINS0_10empty_typeELb1EEEZNS1_14transform_implILb1ES3_S6_PS5_S8_NS0_8identityIS5_EEEE10hipError_tT2_T3_mT4_P12ihipStream_tbEUlT_E_NS1_11comp_targetILNS1_3genE4ELNS1_11target_archE910ELNS1_3gpuE8ELNS1_3repE0EEENS1_30default_config_static_selectorELNS0_4arch9wavefront6targetE1EEEvT1_.kd
    .uniform_work_group_size: 1
    .uses_dynamic_stack: false
    .vgpr_count:     0
    .vgpr_spill_count: 0
    .wavefront_size: 64
  - .agpr_count:     0
    .args:
      - .offset:         0
        .size:           40
        .value_kind:     by_value
    .group_segment_fixed_size: 0
    .kernarg_segment_align: 8
    .kernarg_segment_size: 40
    .language:       OpenCL C
    .language_version:
      - 2
      - 0
    .max_flat_workgroup_size: 128
    .name:           _ZN7rocprim17ROCPRIM_400000_NS6detail17trampoline_kernelINS0_14default_configENS1_25transform_config_selectorINS0_10empty_typeELb1EEEZNS1_14transform_implILb1ES3_S6_PS5_S8_NS0_8identityIS5_EEEE10hipError_tT2_T3_mT4_P12ihipStream_tbEUlT_E_NS1_11comp_targetILNS1_3genE3ELNS1_11target_archE908ELNS1_3gpuE7ELNS1_3repE0EEENS1_30default_config_static_selectorELNS0_4arch9wavefront6targetE1EEEvT1_
    .private_segment_fixed_size: 0
    .sgpr_count:     6
    .sgpr_spill_count: 0
    .symbol:         _ZN7rocprim17ROCPRIM_400000_NS6detail17trampoline_kernelINS0_14default_configENS1_25transform_config_selectorINS0_10empty_typeELb1EEEZNS1_14transform_implILb1ES3_S6_PS5_S8_NS0_8identityIS5_EEEE10hipError_tT2_T3_mT4_P12ihipStream_tbEUlT_E_NS1_11comp_targetILNS1_3genE3ELNS1_11target_archE908ELNS1_3gpuE7ELNS1_3repE0EEENS1_30default_config_static_selectorELNS0_4arch9wavefront6targetE1EEEvT1_.kd
    .uniform_work_group_size: 1
    .uses_dynamic_stack: false
    .vgpr_count:     0
    .vgpr_spill_count: 0
    .wavefront_size: 64
  - .agpr_count:     0
    .args:
      - .offset:         0
        .size:           40
        .value_kind:     by_value
    .group_segment_fixed_size: 0
    .kernarg_segment_align: 8
    .kernarg_segment_size: 40
    .language:       OpenCL C
    .language_version:
      - 2
      - 0
    .max_flat_workgroup_size: 512
    .name:           _ZN7rocprim17ROCPRIM_400000_NS6detail17trampoline_kernelINS0_14default_configENS1_25transform_config_selectorINS0_10empty_typeELb1EEEZNS1_14transform_implILb1ES3_S6_PS5_S8_NS0_8identityIS5_EEEE10hipError_tT2_T3_mT4_P12ihipStream_tbEUlT_E_NS1_11comp_targetILNS1_3genE2ELNS1_11target_archE906ELNS1_3gpuE6ELNS1_3repE0EEENS1_30default_config_static_selectorELNS0_4arch9wavefront6targetE1EEEvT1_
    .private_segment_fixed_size: 0
    .sgpr_count:     6
    .sgpr_spill_count: 0
    .symbol:         _ZN7rocprim17ROCPRIM_400000_NS6detail17trampoline_kernelINS0_14default_configENS1_25transform_config_selectorINS0_10empty_typeELb1EEEZNS1_14transform_implILb1ES3_S6_PS5_S8_NS0_8identityIS5_EEEE10hipError_tT2_T3_mT4_P12ihipStream_tbEUlT_E_NS1_11comp_targetILNS1_3genE2ELNS1_11target_archE906ELNS1_3gpuE6ELNS1_3repE0EEENS1_30default_config_static_selectorELNS0_4arch9wavefront6targetE1EEEvT1_.kd
    .uniform_work_group_size: 1
    .uses_dynamic_stack: false
    .vgpr_count:     0
    .vgpr_spill_count: 0
    .wavefront_size: 64
  - .agpr_count:     0
    .args:
      - .offset:         0
        .size:           40
        .value_kind:     by_value
    .group_segment_fixed_size: 0
    .kernarg_segment_align: 8
    .kernarg_segment_size: 40
    .language:       OpenCL C
    .language_version:
      - 2
      - 0
    .max_flat_workgroup_size: 1024
    .name:           _ZN7rocprim17ROCPRIM_400000_NS6detail17trampoline_kernelINS0_14default_configENS1_25transform_config_selectorINS0_10empty_typeELb1EEEZNS1_14transform_implILb1ES3_S6_PS5_S8_NS0_8identityIS5_EEEE10hipError_tT2_T3_mT4_P12ihipStream_tbEUlT_E_NS1_11comp_targetILNS1_3genE9ELNS1_11target_archE1100ELNS1_3gpuE3ELNS1_3repE0EEENS1_30default_config_static_selectorELNS0_4arch9wavefront6targetE1EEEvT1_
    .private_segment_fixed_size: 0
    .sgpr_count:     6
    .sgpr_spill_count: 0
    .symbol:         _ZN7rocprim17ROCPRIM_400000_NS6detail17trampoline_kernelINS0_14default_configENS1_25transform_config_selectorINS0_10empty_typeELb1EEEZNS1_14transform_implILb1ES3_S6_PS5_S8_NS0_8identityIS5_EEEE10hipError_tT2_T3_mT4_P12ihipStream_tbEUlT_E_NS1_11comp_targetILNS1_3genE9ELNS1_11target_archE1100ELNS1_3gpuE3ELNS1_3repE0EEENS1_30default_config_static_selectorELNS0_4arch9wavefront6targetE1EEEvT1_.kd
    .uniform_work_group_size: 1
    .uses_dynamic_stack: false
    .vgpr_count:     0
    .vgpr_spill_count: 0
    .wavefront_size: 64
  - .agpr_count:     0
    .args:
      - .offset:         0
        .size:           40
        .value_kind:     by_value
    .group_segment_fixed_size: 0
    .kernarg_segment_align: 8
    .kernarg_segment_size: 40
    .language:       OpenCL C
    .language_version:
      - 2
      - 0
    .max_flat_workgroup_size: 1024
    .name:           _ZN7rocprim17ROCPRIM_400000_NS6detail17trampoline_kernelINS0_14default_configENS1_25transform_config_selectorINS0_10empty_typeELb1EEEZNS1_14transform_implILb1ES3_S6_PS5_S8_NS0_8identityIS5_EEEE10hipError_tT2_T3_mT4_P12ihipStream_tbEUlT_E_NS1_11comp_targetILNS1_3genE8ELNS1_11target_archE1030ELNS1_3gpuE2ELNS1_3repE0EEENS1_30default_config_static_selectorELNS0_4arch9wavefront6targetE1EEEvT1_
    .private_segment_fixed_size: 0
    .sgpr_count:     6
    .sgpr_spill_count: 0
    .symbol:         _ZN7rocprim17ROCPRIM_400000_NS6detail17trampoline_kernelINS0_14default_configENS1_25transform_config_selectorINS0_10empty_typeELb1EEEZNS1_14transform_implILb1ES3_S6_PS5_S8_NS0_8identityIS5_EEEE10hipError_tT2_T3_mT4_P12ihipStream_tbEUlT_E_NS1_11comp_targetILNS1_3genE8ELNS1_11target_archE1030ELNS1_3gpuE2ELNS1_3repE0EEENS1_30default_config_static_selectorELNS0_4arch9wavefront6targetE1EEEvT1_.kd
    .uniform_work_group_size: 1
    .uses_dynamic_stack: false
    .vgpr_count:     0
    .vgpr_spill_count: 0
    .wavefront_size: 64
  - .agpr_count:     0
    .args:
      - .offset:         0
        .size:           40
        .value_kind:     by_value
    .group_segment_fixed_size: 0
    .kernarg_segment_align: 8
    .kernarg_segment_size: 40
    .language:       OpenCL C
    .language_version:
      - 2
      - 0
    .max_flat_workgroup_size: 128
    .name:           _ZN7rocprim17ROCPRIM_400000_NS6detail17trampoline_kernelINS0_14default_configENS1_38merge_sort_block_merge_config_selectorIyNS0_10empty_typeEEEZZNS1_27merge_sort_block_merge_implIS3_N6thrust23THRUST_200600_302600_NS6detail15normal_iteratorINS9_10device_ptrIyEEEEPS5_jNS1_19radix_merge_compareILb0ELb1EyNS0_19identity_decomposerEEEEE10hipError_tT0_T1_T2_jT3_P12ihipStream_tbPNSt15iterator_traitsISK_E10value_typeEPNSQ_ISL_E10value_typeEPSM_NS1_7vsmem_tEENKUlT_SK_SL_SM_E_clIPySE_SF_SF_EESJ_SZ_SK_SL_SM_EUlSZ_E_NS1_11comp_targetILNS1_3genE0ELNS1_11target_archE4294967295ELNS1_3gpuE0ELNS1_3repE0EEENS1_48merge_mergepath_partition_config_static_selectorELNS0_4arch9wavefront6targetE1EEEvSL_
    .private_segment_fixed_size: 0
    .sgpr_count:     6
    .sgpr_spill_count: 0
    .symbol:         _ZN7rocprim17ROCPRIM_400000_NS6detail17trampoline_kernelINS0_14default_configENS1_38merge_sort_block_merge_config_selectorIyNS0_10empty_typeEEEZZNS1_27merge_sort_block_merge_implIS3_N6thrust23THRUST_200600_302600_NS6detail15normal_iteratorINS9_10device_ptrIyEEEEPS5_jNS1_19radix_merge_compareILb0ELb1EyNS0_19identity_decomposerEEEEE10hipError_tT0_T1_T2_jT3_P12ihipStream_tbPNSt15iterator_traitsISK_E10value_typeEPNSQ_ISL_E10value_typeEPSM_NS1_7vsmem_tEENKUlT_SK_SL_SM_E_clIPySE_SF_SF_EESJ_SZ_SK_SL_SM_EUlSZ_E_NS1_11comp_targetILNS1_3genE0ELNS1_11target_archE4294967295ELNS1_3gpuE0ELNS1_3repE0EEENS1_48merge_mergepath_partition_config_static_selectorELNS0_4arch9wavefront6targetE1EEEvSL_.kd
    .uniform_work_group_size: 1
    .uses_dynamic_stack: false
    .vgpr_count:     0
    .vgpr_spill_count: 0
    .wavefront_size: 64
  - .agpr_count:     0
    .args:
      - .offset:         0
        .size:           40
        .value_kind:     by_value
    .group_segment_fixed_size: 0
    .kernarg_segment_align: 8
    .kernarg_segment_size: 40
    .language:       OpenCL C
    .language_version:
      - 2
      - 0
    .max_flat_workgroup_size: 128
    .name:           _ZN7rocprim17ROCPRIM_400000_NS6detail17trampoline_kernelINS0_14default_configENS1_38merge_sort_block_merge_config_selectorIyNS0_10empty_typeEEEZZNS1_27merge_sort_block_merge_implIS3_N6thrust23THRUST_200600_302600_NS6detail15normal_iteratorINS9_10device_ptrIyEEEEPS5_jNS1_19radix_merge_compareILb0ELb1EyNS0_19identity_decomposerEEEEE10hipError_tT0_T1_T2_jT3_P12ihipStream_tbPNSt15iterator_traitsISK_E10value_typeEPNSQ_ISL_E10value_typeEPSM_NS1_7vsmem_tEENKUlT_SK_SL_SM_E_clIPySE_SF_SF_EESJ_SZ_SK_SL_SM_EUlSZ_E_NS1_11comp_targetILNS1_3genE10ELNS1_11target_archE1201ELNS1_3gpuE5ELNS1_3repE0EEENS1_48merge_mergepath_partition_config_static_selectorELNS0_4arch9wavefront6targetE1EEEvSL_
    .private_segment_fixed_size: 0
    .sgpr_count:     6
    .sgpr_spill_count: 0
    .symbol:         _ZN7rocprim17ROCPRIM_400000_NS6detail17trampoline_kernelINS0_14default_configENS1_38merge_sort_block_merge_config_selectorIyNS0_10empty_typeEEEZZNS1_27merge_sort_block_merge_implIS3_N6thrust23THRUST_200600_302600_NS6detail15normal_iteratorINS9_10device_ptrIyEEEEPS5_jNS1_19radix_merge_compareILb0ELb1EyNS0_19identity_decomposerEEEEE10hipError_tT0_T1_T2_jT3_P12ihipStream_tbPNSt15iterator_traitsISK_E10value_typeEPNSQ_ISL_E10value_typeEPSM_NS1_7vsmem_tEENKUlT_SK_SL_SM_E_clIPySE_SF_SF_EESJ_SZ_SK_SL_SM_EUlSZ_E_NS1_11comp_targetILNS1_3genE10ELNS1_11target_archE1201ELNS1_3gpuE5ELNS1_3repE0EEENS1_48merge_mergepath_partition_config_static_selectorELNS0_4arch9wavefront6targetE1EEEvSL_.kd
    .uniform_work_group_size: 1
    .uses_dynamic_stack: false
    .vgpr_count:     0
    .vgpr_spill_count: 0
    .wavefront_size: 64
  - .agpr_count:     0
    .args:
      - .offset:         0
        .size:           40
        .value_kind:     by_value
    .group_segment_fixed_size: 0
    .kernarg_segment_align: 8
    .kernarg_segment_size: 40
    .language:       OpenCL C
    .language_version:
      - 2
      - 0
    .max_flat_workgroup_size: 128
    .name:           _ZN7rocprim17ROCPRIM_400000_NS6detail17trampoline_kernelINS0_14default_configENS1_38merge_sort_block_merge_config_selectorIyNS0_10empty_typeEEEZZNS1_27merge_sort_block_merge_implIS3_N6thrust23THRUST_200600_302600_NS6detail15normal_iteratorINS9_10device_ptrIyEEEEPS5_jNS1_19radix_merge_compareILb0ELb1EyNS0_19identity_decomposerEEEEE10hipError_tT0_T1_T2_jT3_P12ihipStream_tbPNSt15iterator_traitsISK_E10value_typeEPNSQ_ISL_E10value_typeEPSM_NS1_7vsmem_tEENKUlT_SK_SL_SM_E_clIPySE_SF_SF_EESJ_SZ_SK_SL_SM_EUlSZ_E_NS1_11comp_targetILNS1_3genE5ELNS1_11target_archE942ELNS1_3gpuE9ELNS1_3repE0EEENS1_48merge_mergepath_partition_config_static_selectorELNS0_4arch9wavefront6targetE1EEEvSL_
    .private_segment_fixed_size: 0
    .sgpr_count:     16
    .sgpr_spill_count: 0
    .symbol:         _ZN7rocprim17ROCPRIM_400000_NS6detail17trampoline_kernelINS0_14default_configENS1_38merge_sort_block_merge_config_selectorIyNS0_10empty_typeEEEZZNS1_27merge_sort_block_merge_implIS3_N6thrust23THRUST_200600_302600_NS6detail15normal_iteratorINS9_10device_ptrIyEEEEPS5_jNS1_19radix_merge_compareILb0ELb1EyNS0_19identity_decomposerEEEEE10hipError_tT0_T1_T2_jT3_P12ihipStream_tbPNSt15iterator_traitsISK_E10value_typeEPNSQ_ISL_E10value_typeEPSM_NS1_7vsmem_tEENKUlT_SK_SL_SM_E_clIPySE_SF_SF_EESJ_SZ_SK_SL_SM_EUlSZ_E_NS1_11comp_targetILNS1_3genE5ELNS1_11target_archE942ELNS1_3gpuE9ELNS1_3repE0EEENS1_48merge_mergepath_partition_config_static_selectorELNS0_4arch9wavefront6targetE1EEEvSL_.kd
    .uniform_work_group_size: 1
    .uses_dynamic_stack: false
    .vgpr_count:     16
    .vgpr_spill_count: 0
    .wavefront_size: 64
  - .agpr_count:     0
    .args:
      - .offset:         0
        .size:           40
        .value_kind:     by_value
    .group_segment_fixed_size: 0
    .kernarg_segment_align: 8
    .kernarg_segment_size: 40
    .language:       OpenCL C
    .language_version:
      - 2
      - 0
    .max_flat_workgroup_size: 128
    .name:           _ZN7rocprim17ROCPRIM_400000_NS6detail17trampoline_kernelINS0_14default_configENS1_38merge_sort_block_merge_config_selectorIyNS0_10empty_typeEEEZZNS1_27merge_sort_block_merge_implIS3_N6thrust23THRUST_200600_302600_NS6detail15normal_iteratorINS9_10device_ptrIyEEEEPS5_jNS1_19radix_merge_compareILb0ELb1EyNS0_19identity_decomposerEEEEE10hipError_tT0_T1_T2_jT3_P12ihipStream_tbPNSt15iterator_traitsISK_E10value_typeEPNSQ_ISL_E10value_typeEPSM_NS1_7vsmem_tEENKUlT_SK_SL_SM_E_clIPySE_SF_SF_EESJ_SZ_SK_SL_SM_EUlSZ_E_NS1_11comp_targetILNS1_3genE4ELNS1_11target_archE910ELNS1_3gpuE8ELNS1_3repE0EEENS1_48merge_mergepath_partition_config_static_selectorELNS0_4arch9wavefront6targetE1EEEvSL_
    .private_segment_fixed_size: 0
    .sgpr_count:     6
    .sgpr_spill_count: 0
    .symbol:         _ZN7rocprim17ROCPRIM_400000_NS6detail17trampoline_kernelINS0_14default_configENS1_38merge_sort_block_merge_config_selectorIyNS0_10empty_typeEEEZZNS1_27merge_sort_block_merge_implIS3_N6thrust23THRUST_200600_302600_NS6detail15normal_iteratorINS9_10device_ptrIyEEEEPS5_jNS1_19radix_merge_compareILb0ELb1EyNS0_19identity_decomposerEEEEE10hipError_tT0_T1_T2_jT3_P12ihipStream_tbPNSt15iterator_traitsISK_E10value_typeEPNSQ_ISL_E10value_typeEPSM_NS1_7vsmem_tEENKUlT_SK_SL_SM_E_clIPySE_SF_SF_EESJ_SZ_SK_SL_SM_EUlSZ_E_NS1_11comp_targetILNS1_3genE4ELNS1_11target_archE910ELNS1_3gpuE8ELNS1_3repE0EEENS1_48merge_mergepath_partition_config_static_selectorELNS0_4arch9wavefront6targetE1EEEvSL_.kd
    .uniform_work_group_size: 1
    .uses_dynamic_stack: false
    .vgpr_count:     0
    .vgpr_spill_count: 0
    .wavefront_size: 64
  - .agpr_count:     0
    .args:
      - .offset:         0
        .size:           40
        .value_kind:     by_value
    .group_segment_fixed_size: 0
    .kernarg_segment_align: 8
    .kernarg_segment_size: 40
    .language:       OpenCL C
    .language_version:
      - 2
      - 0
    .max_flat_workgroup_size: 128
    .name:           _ZN7rocprim17ROCPRIM_400000_NS6detail17trampoline_kernelINS0_14default_configENS1_38merge_sort_block_merge_config_selectorIyNS0_10empty_typeEEEZZNS1_27merge_sort_block_merge_implIS3_N6thrust23THRUST_200600_302600_NS6detail15normal_iteratorINS9_10device_ptrIyEEEEPS5_jNS1_19radix_merge_compareILb0ELb1EyNS0_19identity_decomposerEEEEE10hipError_tT0_T1_T2_jT3_P12ihipStream_tbPNSt15iterator_traitsISK_E10value_typeEPNSQ_ISL_E10value_typeEPSM_NS1_7vsmem_tEENKUlT_SK_SL_SM_E_clIPySE_SF_SF_EESJ_SZ_SK_SL_SM_EUlSZ_E_NS1_11comp_targetILNS1_3genE3ELNS1_11target_archE908ELNS1_3gpuE7ELNS1_3repE0EEENS1_48merge_mergepath_partition_config_static_selectorELNS0_4arch9wavefront6targetE1EEEvSL_
    .private_segment_fixed_size: 0
    .sgpr_count:     6
    .sgpr_spill_count: 0
    .symbol:         _ZN7rocprim17ROCPRIM_400000_NS6detail17trampoline_kernelINS0_14default_configENS1_38merge_sort_block_merge_config_selectorIyNS0_10empty_typeEEEZZNS1_27merge_sort_block_merge_implIS3_N6thrust23THRUST_200600_302600_NS6detail15normal_iteratorINS9_10device_ptrIyEEEEPS5_jNS1_19radix_merge_compareILb0ELb1EyNS0_19identity_decomposerEEEEE10hipError_tT0_T1_T2_jT3_P12ihipStream_tbPNSt15iterator_traitsISK_E10value_typeEPNSQ_ISL_E10value_typeEPSM_NS1_7vsmem_tEENKUlT_SK_SL_SM_E_clIPySE_SF_SF_EESJ_SZ_SK_SL_SM_EUlSZ_E_NS1_11comp_targetILNS1_3genE3ELNS1_11target_archE908ELNS1_3gpuE7ELNS1_3repE0EEENS1_48merge_mergepath_partition_config_static_selectorELNS0_4arch9wavefront6targetE1EEEvSL_.kd
    .uniform_work_group_size: 1
    .uses_dynamic_stack: false
    .vgpr_count:     0
    .vgpr_spill_count: 0
    .wavefront_size: 64
  - .agpr_count:     0
    .args:
      - .offset:         0
        .size:           40
        .value_kind:     by_value
    .group_segment_fixed_size: 0
    .kernarg_segment_align: 8
    .kernarg_segment_size: 40
    .language:       OpenCL C
    .language_version:
      - 2
      - 0
    .max_flat_workgroup_size: 128
    .name:           _ZN7rocprim17ROCPRIM_400000_NS6detail17trampoline_kernelINS0_14default_configENS1_38merge_sort_block_merge_config_selectorIyNS0_10empty_typeEEEZZNS1_27merge_sort_block_merge_implIS3_N6thrust23THRUST_200600_302600_NS6detail15normal_iteratorINS9_10device_ptrIyEEEEPS5_jNS1_19radix_merge_compareILb0ELb1EyNS0_19identity_decomposerEEEEE10hipError_tT0_T1_T2_jT3_P12ihipStream_tbPNSt15iterator_traitsISK_E10value_typeEPNSQ_ISL_E10value_typeEPSM_NS1_7vsmem_tEENKUlT_SK_SL_SM_E_clIPySE_SF_SF_EESJ_SZ_SK_SL_SM_EUlSZ_E_NS1_11comp_targetILNS1_3genE2ELNS1_11target_archE906ELNS1_3gpuE6ELNS1_3repE0EEENS1_48merge_mergepath_partition_config_static_selectorELNS0_4arch9wavefront6targetE1EEEvSL_
    .private_segment_fixed_size: 0
    .sgpr_count:     6
    .sgpr_spill_count: 0
    .symbol:         _ZN7rocprim17ROCPRIM_400000_NS6detail17trampoline_kernelINS0_14default_configENS1_38merge_sort_block_merge_config_selectorIyNS0_10empty_typeEEEZZNS1_27merge_sort_block_merge_implIS3_N6thrust23THRUST_200600_302600_NS6detail15normal_iteratorINS9_10device_ptrIyEEEEPS5_jNS1_19radix_merge_compareILb0ELb1EyNS0_19identity_decomposerEEEEE10hipError_tT0_T1_T2_jT3_P12ihipStream_tbPNSt15iterator_traitsISK_E10value_typeEPNSQ_ISL_E10value_typeEPSM_NS1_7vsmem_tEENKUlT_SK_SL_SM_E_clIPySE_SF_SF_EESJ_SZ_SK_SL_SM_EUlSZ_E_NS1_11comp_targetILNS1_3genE2ELNS1_11target_archE906ELNS1_3gpuE6ELNS1_3repE0EEENS1_48merge_mergepath_partition_config_static_selectorELNS0_4arch9wavefront6targetE1EEEvSL_.kd
    .uniform_work_group_size: 1
    .uses_dynamic_stack: false
    .vgpr_count:     0
    .vgpr_spill_count: 0
    .wavefront_size: 64
  - .agpr_count:     0
    .args:
      - .offset:         0
        .size:           40
        .value_kind:     by_value
    .group_segment_fixed_size: 0
    .kernarg_segment_align: 8
    .kernarg_segment_size: 40
    .language:       OpenCL C
    .language_version:
      - 2
      - 0
    .max_flat_workgroup_size: 128
    .name:           _ZN7rocprim17ROCPRIM_400000_NS6detail17trampoline_kernelINS0_14default_configENS1_38merge_sort_block_merge_config_selectorIyNS0_10empty_typeEEEZZNS1_27merge_sort_block_merge_implIS3_N6thrust23THRUST_200600_302600_NS6detail15normal_iteratorINS9_10device_ptrIyEEEEPS5_jNS1_19radix_merge_compareILb0ELb1EyNS0_19identity_decomposerEEEEE10hipError_tT0_T1_T2_jT3_P12ihipStream_tbPNSt15iterator_traitsISK_E10value_typeEPNSQ_ISL_E10value_typeEPSM_NS1_7vsmem_tEENKUlT_SK_SL_SM_E_clIPySE_SF_SF_EESJ_SZ_SK_SL_SM_EUlSZ_E_NS1_11comp_targetILNS1_3genE9ELNS1_11target_archE1100ELNS1_3gpuE3ELNS1_3repE0EEENS1_48merge_mergepath_partition_config_static_selectorELNS0_4arch9wavefront6targetE1EEEvSL_
    .private_segment_fixed_size: 0
    .sgpr_count:     6
    .sgpr_spill_count: 0
    .symbol:         _ZN7rocprim17ROCPRIM_400000_NS6detail17trampoline_kernelINS0_14default_configENS1_38merge_sort_block_merge_config_selectorIyNS0_10empty_typeEEEZZNS1_27merge_sort_block_merge_implIS3_N6thrust23THRUST_200600_302600_NS6detail15normal_iteratorINS9_10device_ptrIyEEEEPS5_jNS1_19radix_merge_compareILb0ELb1EyNS0_19identity_decomposerEEEEE10hipError_tT0_T1_T2_jT3_P12ihipStream_tbPNSt15iterator_traitsISK_E10value_typeEPNSQ_ISL_E10value_typeEPSM_NS1_7vsmem_tEENKUlT_SK_SL_SM_E_clIPySE_SF_SF_EESJ_SZ_SK_SL_SM_EUlSZ_E_NS1_11comp_targetILNS1_3genE9ELNS1_11target_archE1100ELNS1_3gpuE3ELNS1_3repE0EEENS1_48merge_mergepath_partition_config_static_selectorELNS0_4arch9wavefront6targetE1EEEvSL_.kd
    .uniform_work_group_size: 1
    .uses_dynamic_stack: false
    .vgpr_count:     0
    .vgpr_spill_count: 0
    .wavefront_size: 64
  - .agpr_count:     0
    .args:
      - .offset:         0
        .size:           40
        .value_kind:     by_value
    .group_segment_fixed_size: 0
    .kernarg_segment_align: 8
    .kernarg_segment_size: 40
    .language:       OpenCL C
    .language_version:
      - 2
      - 0
    .max_flat_workgroup_size: 128
    .name:           _ZN7rocprim17ROCPRIM_400000_NS6detail17trampoline_kernelINS0_14default_configENS1_38merge_sort_block_merge_config_selectorIyNS0_10empty_typeEEEZZNS1_27merge_sort_block_merge_implIS3_N6thrust23THRUST_200600_302600_NS6detail15normal_iteratorINS9_10device_ptrIyEEEEPS5_jNS1_19radix_merge_compareILb0ELb1EyNS0_19identity_decomposerEEEEE10hipError_tT0_T1_T2_jT3_P12ihipStream_tbPNSt15iterator_traitsISK_E10value_typeEPNSQ_ISL_E10value_typeEPSM_NS1_7vsmem_tEENKUlT_SK_SL_SM_E_clIPySE_SF_SF_EESJ_SZ_SK_SL_SM_EUlSZ_E_NS1_11comp_targetILNS1_3genE8ELNS1_11target_archE1030ELNS1_3gpuE2ELNS1_3repE0EEENS1_48merge_mergepath_partition_config_static_selectorELNS0_4arch9wavefront6targetE1EEEvSL_
    .private_segment_fixed_size: 0
    .sgpr_count:     6
    .sgpr_spill_count: 0
    .symbol:         _ZN7rocprim17ROCPRIM_400000_NS6detail17trampoline_kernelINS0_14default_configENS1_38merge_sort_block_merge_config_selectorIyNS0_10empty_typeEEEZZNS1_27merge_sort_block_merge_implIS3_N6thrust23THRUST_200600_302600_NS6detail15normal_iteratorINS9_10device_ptrIyEEEEPS5_jNS1_19radix_merge_compareILb0ELb1EyNS0_19identity_decomposerEEEEE10hipError_tT0_T1_T2_jT3_P12ihipStream_tbPNSt15iterator_traitsISK_E10value_typeEPNSQ_ISL_E10value_typeEPSM_NS1_7vsmem_tEENKUlT_SK_SL_SM_E_clIPySE_SF_SF_EESJ_SZ_SK_SL_SM_EUlSZ_E_NS1_11comp_targetILNS1_3genE8ELNS1_11target_archE1030ELNS1_3gpuE2ELNS1_3repE0EEENS1_48merge_mergepath_partition_config_static_selectorELNS0_4arch9wavefront6targetE1EEEvSL_.kd
    .uniform_work_group_size: 1
    .uses_dynamic_stack: false
    .vgpr_count:     0
    .vgpr_spill_count: 0
    .wavefront_size: 64
  - .agpr_count:     0
    .args:
      - .offset:         0
        .size:           72
        .value_kind:     by_value
    .group_segment_fixed_size: 0
    .kernarg_segment_align: 8
    .kernarg_segment_size: 72
    .language:       OpenCL C
    .language_version:
      - 2
      - 0
    .max_flat_workgroup_size: 128
    .name:           _ZN7rocprim17ROCPRIM_400000_NS6detail17trampoline_kernelINS0_14default_configENS1_38merge_sort_block_merge_config_selectorIyNS0_10empty_typeEEEZZNS1_27merge_sort_block_merge_implIS3_N6thrust23THRUST_200600_302600_NS6detail15normal_iteratorINS9_10device_ptrIyEEEEPS5_jNS1_19radix_merge_compareILb0ELb1EyNS0_19identity_decomposerEEEEE10hipError_tT0_T1_T2_jT3_P12ihipStream_tbPNSt15iterator_traitsISK_E10value_typeEPNSQ_ISL_E10value_typeEPSM_NS1_7vsmem_tEENKUlT_SK_SL_SM_E_clIPySE_SF_SF_EESJ_SZ_SK_SL_SM_EUlSZ_E0_NS1_11comp_targetILNS1_3genE0ELNS1_11target_archE4294967295ELNS1_3gpuE0ELNS1_3repE0EEENS1_38merge_mergepath_config_static_selectorELNS0_4arch9wavefront6targetE1EEEvSL_
    .private_segment_fixed_size: 0
    .sgpr_count:     6
    .sgpr_spill_count: 0
    .symbol:         _ZN7rocprim17ROCPRIM_400000_NS6detail17trampoline_kernelINS0_14default_configENS1_38merge_sort_block_merge_config_selectorIyNS0_10empty_typeEEEZZNS1_27merge_sort_block_merge_implIS3_N6thrust23THRUST_200600_302600_NS6detail15normal_iteratorINS9_10device_ptrIyEEEEPS5_jNS1_19radix_merge_compareILb0ELb1EyNS0_19identity_decomposerEEEEE10hipError_tT0_T1_T2_jT3_P12ihipStream_tbPNSt15iterator_traitsISK_E10value_typeEPNSQ_ISL_E10value_typeEPSM_NS1_7vsmem_tEENKUlT_SK_SL_SM_E_clIPySE_SF_SF_EESJ_SZ_SK_SL_SM_EUlSZ_E0_NS1_11comp_targetILNS1_3genE0ELNS1_11target_archE4294967295ELNS1_3gpuE0ELNS1_3repE0EEENS1_38merge_mergepath_config_static_selectorELNS0_4arch9wavefront6targetE1EEEvSL_.kd
    .uniform_work_group_size: 1
    .uses_dynamic_stack: false
    .vgpr_count:     0
    .vgpr_spill_count: 0
    .wavefront_size: 64
  - .agpr_count:     0
    .args:
      - .offset:         0
        .size:           72
        .value_kind:     by_value
    .group_segment_fixed_size: 0
    .kernarg_segment_align: 8
    .kernarg_segment_size: 72
    .language:       OpenCL C
    .language_version:
      - 2
      - 0
    .max_flat_workgroup_size: 512
    .name:           _ZN7rocprim17ROCPRIM_400000_NS6detail17trampoline_kernelINS0_14default_configENS1_38merge_sort_block_merge_config_selectorIyNS0_10empty_typeEEEZZNS1_27merge_sort_block_merge_implIS3_N6thrust23THRUST_200600_302600_NS6detail15normal_iteratorINS9_10device_ptrIyEEEEPS5_jNS1_19radix_merge_compareILb0ELb1EyNS0_19identity_decomposerEEEEE10hipError_tT0_T1_T2_jT3_P12ihipStream_tbPNSt15iterator_traitsISK_E10value_typeEPNSQ_ISL_E10value_typeEPSM_NS1_7vsmem_tEENKUlT_SK_SL_SM_E_clIPySE_SF_SF_EESJ_SZ_SK_SL_SM_EUlSZ_E0_NS1_11comp_targetILNS1_3genE10ELNS1_11target_archE1201ELNS1_3gpuE5ELNS1_3repE0EEENS1_38merge_mergepath_config_static_selectorELNS0_4arch9wavefront6targetE1EEEvSL_
    .private_segment_fixed_size: 0
    .sgpr_count:     6
    .sgpr_spill_count: 0
    .symbol:         _ZN7rocprim17ROCPRIM_400000_NS6detail17trampoline_kernelINS0_14default_configENS1_38merge_sort_block_merge_config_selectorIyNS0_10empty_typeEEEZZNS1_27merge_sort_block_merge_implIS3_N6thrust23THRUST_200600_302600_NS6detail15normal_iteratorINS9_10device_ptrIyEEEEPS5_jNS1_19radix_merge_compareILb0ELb1EyNS0_19identity_decomposerEEEEE10hipError_tT0_T1_T2_jT3_P12ihipStream_tbPNSt15iterator_traitsISK_E10value_typeEPNSQ_ISL_E10value_typeEPSM_NS1_7vsmem_tEENKUlT_SK_SL_SM_E_clIPySE_SF_SF_EESJ_SZ_SK_SL_SM_EUlSZ_E0_NS1_11comp_targetILNS1_3genE10ELNS1_11target_archE1201ELNS1_3gpuE5ELNS1_3repE0EEENS1_38merge_mergepath_config_static_selectorELNS0_4arch9wavefront6targetE1EEEvSL_.kd
    .uniform_work_group_size: 1
    .uses_dynamic_stack: false
    .vgpr_count:     0
    .vgpr_spill_count: 0
    .wavefront_size: 64
  - .agpr_count:     0
    .args:
      - .offset:         0
        .size:           72
        .value_kind:     by_value
      - .offset:         72
        .size:           4
        .value_kind:     hidden_block_count_x
      - .offset:         76
        .size:           4
        .value_kind:     hidden_block_count_y
      - .offset:         80
        .size:           4
        .value_kind:     hidden_block_count_z
      - .offset:         84
        .size:           2
        .value_kind:     hidden_group_size_x
      - .offset:         86
        .size:           2
        .value_kind:     hidden_group_size_y
      - .offset:         88
        .size:           2
        .value_kind:     hidden_group_size_z
      - .offset:         90
        .size:           2
        .value_kind:     hidden_remainder_x
      - .offset:         92
        .size:           2
        .value_kind:     hidden_remainder_y
      - .offset:         94
        .size:           2
        .value_kind:     hidden_remainder_z
      - .offset:         112
        .size:           8
        .value_kind:     hidden_global_offset_x
      - .offset:         120
        .size:           8
        .value_kind:     hidden_global_offset_y
      - .offset:         128
        .size:           8
        .value_kind:     hidden_global_offset_z
      - .offset:         136
        .size:           2
        .value_kind:     hidden_grid_dims
    .group_segment_fixed_size: 8448
    .kernarg_segment_align: 8
    .kernarg_segment_size: 328
    .language:       OpenCL C
    .language_version:
      - 2
      - 0
    .max_flat_workgroup_size: 128
    .name:           _ZN7rocprim17ROCPRIM_400000_NS6detail17trampoline_kernelINS0_14default_configENS1_38merge_sort_block_merge_config_selectorIyNS0_10empty_typeEEEZZNS1_27merge_sort_block_merge_implIS3_N6thrust23THRUST_200600_302600_NS6detail15normal_iteratorINS9_10device_ptrIyEEEEPS5_jNS1_19radix_merge_compareILb0ELb1EyNS0_19identity_decomposerEEEEE10hipError_tT0_T1_T2_jT3_P12ihipStream_tbPNSt15iterator_traitsISK_E10value_typeEPNSQ_ISL_E10value_typeEPSM_NS1_7vsmem_tEENKUlT_SK_SL_SM_E_clIPySE_SF_SF_EESJ_SZ_SK_SL_SM_EUlSZ_E0_NS1_11comp_targetILNS1_3genE5ELNS1_11target_archE942ELNS1_3gpuE9ELNS1_3repE0EEENS1_38merge_mergepath_config_static_selectorELNS0_4arch9wavefront6targetE1EEEvSL_
    .private_segment_fixed_size: 0
    .sgpr_count:     30
    .sgpr_spill_count: 0
    .symbol:         _ZN7rocprim17ROCPRIM_400000_NS6detail17trampoline_kernelINS0_14default_configENS1_38merge_sort_block_merge_config_selectorIyNS0_10empty_typeEEEZZNS1_27merge_sort_block_merge_implIS3_N6thrust23THRUST_200600_302600_NS6detail15normal_iteratorINS9_10device_ptrIyEEEEPS5_jNS1_19radix_merge_compareILb0ELb1EyNS0_19identity_decomposerEEEEE10hipError_tT0_T1_T2_jT3_P12ihipStream_tbPNSt15iterator_traitsISK_E10value_typeEPNSQ_ISL_E10value_typeEPSM_NS1_7vsmem_tEENKUlT_SK_SL_SM_E_clIPySE_SF_SF_EESJ_SZ_SK_SL_SM_EUlSZ_E0_NS1_11comp_targetILNS1_3genE5ELNS1_11target_archE942ELNS1_3gpuE9ELNS1_3repE0EEENS1_38merge_mergepath_config_static_selectorELNS0_4arch9wavefront6targetE1EEEvSL_.kd
    .uniform_work_group_size: 1
    .uses_dynamic_stack: false
    .vgpr_count:     34
    .vgpr_spill_count: 0
    .wavefront_size: 64
  - .agpr_count:     0
    .args:
      - .offset:         0
        .size:           72
        .value_kind:     by_value
    .group_segment_fixed_size: 0
    .kernarg_segment_align: 8
    .kernarg_segment_size: 72
    .language:       OpenCL C
    .language_version:
      - 2
      - 0
    .max_flat_workgroup_size: 256
    .name:           _ZN7rocprim17ROCPRIM_400000_NS6detail17trampoline_kernelINS0_14default_configENS1_38merge_sort_block_merge_config_selectorIyNS0_10empty_typeEEEZZNS1_27merge_sort_block_merge_implIS3_N6thrust23THRUST_200600_302600_NS6detail15normal_iteratorINS9_10device_ptrIyEEEEPS5_jNS1_19radix_merge_compareILb0ELb1EyNS0_19identity_decomposerEEEEE10hipError_tT0_T1_T2_jT3_P12ihipStream_tbPNSt15iterator_traitsISK_E10value_typeEPNSQ_ISL_E10value_typeEPSM_NS1_7vsmem_tEENKUlT_SK_SL_SM_E_clIPySE_SF_SF_EESJ_SZ_SK_SL_SM_EUlSZ_E0_NS1_11comp_targetILNS1_3genE4ELNS1_11target_archE910ELNS1_3gpuE8ELNS1_3repE0EEENS1_38merge_mergepath_config_static_selectorELNS0_4arch9wavefront6targetE1EEEvSL_
    .private_segment_fixed_size: 0
    .sgpr_count:     6
    .sgpr_spill_count: 0
    .symbol:         _ZN7rocprim17ROCPRIM_400000_NS6detail17trampoline_kernelINS0_14default_configENS1_38merge_sort_block_merge_config_selectorIyNS0_10empty_typeEEEZZNS1_27merge_sort_block_merge_implIS3_N6thrust23THRUST_200600_302600_NS6detail15normal_iteratorINS9_10device_ptrIyEEEEPS5_jNS1_19radix_merge_compareILb0ELb1EyNS0_19identity_decomposerEEEEE10hipError_tT0_T1_T2_jT3_P12ihipStream_tbPNSt15iterator_traitsISK_E10value_typeEPNSQ_ISL_E10value_typeEPSM_NS1_7vsmem_tEENKUlT_SK_SL_SM_E_clIPySE_SF_SF_EESJ_SZ_SK_SL_SM_EUlSZ_E0_NS1_11comp_targetILNS1_3genE4ELNS1_11target_archE910ELNS1_3gpuE8ELNS1_3repE0EEENS1_38merge_mergepath_config_static_selectorELNS0_4arch9wavefront6targetE1EEEvSL_.kd
    .uniform_work_group_size: 1
    .uses_dynamic_stack: false
    .vgpr_count:     0
    .vgpr_spill_count: 0
    .wavefront_size: 64
  - .agpr_count:     0
    .args:
      - .offset:         0
        .size:           72
        .value_kind:     by_value
    .group_segment_fixed_size: 0
    .kernarg_segment_align: 8
    .kernarg_segment_size: 72
    .language:       OpenCL C
    .language_version:
      - 2
      - 0
    .max_flat_workgroup_size: 128
    .name:           _ZN7rocprim17ROCPRIM_400000_NS6detail17trampoline_kernelINS0_14default_configENS1_38merge_sort_block_merge_config_selectorIyNS0_10empty_typeEEEZZNS1_27merge_sort_block_merge_implIS3_N6thrust23THRUST_200600_302600_NS6detail15normal_iteratorINS9_10device_ptrIyEEEEPS5_jNS1_19radix_merge_compareILb0ELb1EyNS0_19identity_decomposerEEEEE10hipError_tT0_T1_T2_jT3_P12ihipStream_tbPNSt15iterator_traitsISK_E10value_typeEPNSQ_ISL_E10value_typeEPSM_NS1_7vsmem_tEENKUlT_SK_SL_SM_E_clIPySE_SF_SF_EESJ_SZ_SK_SL_SM_EUlSZ_E0_NS1_11comp_targetILNS1_3genE3ELNS1_11target_archE908ELNS1_3gpuE7ELNS1_3repE0EEENS1_38merge_mergepath_config_static_selectorELNS0_4arch9wavefront6targetE1EEEvSL_
    .private_segment_fixed_size: 0
    .sgpr_count:     6
    .sgpr_spill_count: 0
    .symbol:         _ZN7rocprim17ROCPRIM_400000_NS6detail17trampoline_kernelINS0_14default_configENS1_38merge_sort_block_merge_config_selectorIyNS0_10empty_typeEEEZZNS1_27merge_sort_block_merge_implIS3_N6thrust23THRUST_200600_302600_NS6detail15normal_iteratorINS9_10device_ptrIyEEEEPS5_jNS1_19radix_merge_compareILb0ELb1EyNS0_19identity_decomposerEEEEE10hipError_tT0_T1_T2_jT3_P12ihipStream_tbPNSt15iterator_traitsISK_E10value_typeEPNSQ_ISL_E10value_typeEPSM_NS1_7vsmem_tEENKUlT_SK_SL_SM_E_clIPySE_SF_SF_EESJ_SZ_SK_SL_SM_EUlSZ_E0_NS1_11comp_targetILNS1_3genE3ELNS1_11target_archE908ELNS1_3gpuE7ELNS1_3repE0EEENS1_38merge_mergepath_config_static_selectorELNS0_4arch9wavefront6targetE1EEEvSL_.kd
    .uniform_work_group_size: 1
    .uses_dynamic_stack: false
    .vgpr_count:     0
    .vgpr_spill_count: 0
    .wavefront_size: 64
  - .agpr_count:     0
    .args:
      - .offset:         0
        .size:           72
        .value_kind:     by_value
    .group_segment_fixed_size: 0
    .kernarg_segment_align: 8
    .kernarg_segment_size: 72
    .language:       OpenCL C
    .language_version:
      - 2
      - 0
    .max_flat_workgroup_size: 256
    .name:           _ZN7rocprim17ROCPRIM_400000_NS6detail17trampoline_kernelINS0_14default_configENS1_38merge_sort_block_merge_config_selectorIyNS0_10empty_typeEEEZZNS1_27merge_sort_block_merge_implIS3_N6thrust23THRUST_200600_302600_NS6detail15normal_iteratorINS9_10device_ptrIyEEEEPS5_jNS1_19radix_merge_compareILb0ELb1EyNS0_19identity_decomposerEEEEE10hipError_tT0_T1_T2_jT3_P12ihipStream_tbPNSt15iterator_traitsISK_E10value_typeEPNSQ_ISL_E10value_typeEPSM_NS1_7vsmem_tEENKUlT_SK_SL_SM_E_clIPySE_SF_SF_EESJ_SZ_SK_SL_SM_EUlSZ_E0_NS1_11comp_targetILNS1_3genE2ELNS1_11target_archE906ELNS1_3gpuE6ELNS1_3repE0EEENS1_38merge_mergepath_config_static_selectorELNS0_4arch9wavefront6targetE1EEEvSL_
    .private_segment_fixed_size: 0
    .sgpr_count:     6
    .sgpr_spill_count: 0
    .symbol:         _ZN7rocprim17ROCPRIM_400000_NS6detail17trampoline_kernelINS0_14default_configENS1_38merge_sort_block_merge_config_selectorIyNS0_10empty_typeEEEZZNS1_27merge_sort_block_merge_implIS3_N6thrust23THRUST_200600_302600_NS6detail15normal_iteratorINS9_10device_ptrIyEEEEPS5_jNS1_19radix_merge_compareILb0ELb1EyNS0_19identity_decomposerEEEEE10hipError_tT0_T1_T2_jT3_P12ihipStream_tbPNSt15iterator_traitsISK_E10value_typeEPNSQ_ISL_E10value_typeEPSM_NS1_7vsmem_tEENKUlT_SK_SL_SM_E_clIPySE_SF_SF_EESJ_SZ_SK_SL_SM_EUlSZ_E0_NS1_11comp_targetILNS1_3genE2ELNS1_11target_archE906ELNS1_3gpuE6ELNS1_3repE0EEENS1_38merge_mergepath_config_static_selectorELNS0_4arch9wavefront6targetE1EEEvSL_.kd
    .uniform_work_group_size: 1
    .uses_dynamic_stack: false
    .vgpr_count:     0
    .vgpr_spill_count: 0
    .wavefront_size: 64
  - .agpr_count:     0
    .args:
      - .offset:         0
        .size:           72
        .value_kind:     by_value
    .group_segment_fixed_size: 0
    .kernarg_segment_align: 8
    .kernarg_segment_size: 72
    .language:       OpenCL C
    .language_version:
      - 2
      - 0
    .max_flat_workgroup_size: 512
    .name:           _ZN7rocprim17ROCPRIM_400000_NS6detail17trampoline_kernelINS0_14default_configENS1_38merge_sort_block_merge_config_selectorIyNS0_10empty_typeEEEZZNS1_27merge_sort_block_merge_implIS3_N6thrust23THRUST_200600_302600_NS6detail15normal_iteratorINS9_10device_ptrIyEEEEPS5_jNS1_19radix_merge_compareILb0ELb1EyNS0_19identity_decomposerEEEEE10hipError_tT0_T1_T2_jT3_P12ihipStream_tbPNSt15iterator_traitsISK_E10value_typeEPNSQ_ISL_E10value_typeEPSM_NS1_7vsmem_tEENKUlT_SK_SL_SM_E_clIPySE_SF_SF_EESJ_SZ_SK_SL_SM_EUlSZ_E0_NS1_11comp_targetILNS1_3genE9ELNS1_11target_archE1100ELNS1_3gpuE3ELNS1_3repE0EEENS1_38merge_mergepath_config_static_selectorELNS0_4arch9wavefront6targetE1EEEvSL_
    .private_segment_fixed_size: 0
    .sgpr_count:     6
    .sgpr_spill_count: 0
    .symbol:         _ZN7rocprim17ROCPRIM_400000_NS6detail17trampoline_kernelINS0_14default_configENS1_38merge_sort_block_merge_config_selectorIyNS0_10empty_typeEEEZZNS1_27merge_sort_block_merge_implIS3_N6thrust23THRUST_200600_302600_NS6detail15normal_iteratorINS9_10device_ptrIyEEEEPS5_jNS1_19radix_merge_compareILb0ELb1EyNS0_19identity_decomposerEEEEE10hipError_tT0_T1_T2_jT3_P12ihipStream_tbPNSt15iterator_traitsISK_E10value_typeEPNSQ_ISL_E10value_typeEPSM_NS1_7vsmem_tEENKUlT_SK_SL_SM_E_clIPySE_SF_SF_EESJ_SZ_SK_SL_SM_EUlSZ_E0_NS1_11comp_targetILNS1_3genE9ELNS1_11target_archE1100ELNS1_3gpuE3ELNS1_3repE0EEENS1_38merge_mergepath_config_static_selectorELNS0_4arch9wavefront6targetE1EEEvSL_.kd
    .uniform_work_group_size: 1
    .uses_dynamic_stack: false
    .vgpr_count:     0
    .vgpr_spill_count: 0
    .wavefront_size: 64
  - .agpr_count:     0
    .args:
      - .offset:         0
        .size:           72
        .value_kind:     by_value
    .group_segment_fixed_size: 0
    .kernarg_segment_align: 8
    .kernarg_segment_size: 72
    .language:       OpenCL C
    .language_version:
      - 2
      - 0
    .max_flat_workgroup_size: 1024
    .name:           _ZN7rocprim17ROCPRIM_400000_NS6detail17trampoline_kernelINS0_14default_configENS1_38merge_sort_block_merge_config_selectorIyNS0_10empty_typeEEEZZNS1_27merge_sort_block_merge_implIS3_N6thrust23THRUST_200600_302600_NS6detail15normal_iteratorINS9_10device_ptrIyEEEEPS5_jNS1_19radix_merge_compareILb0ELb1EyNS0_19identity_decomposerEEEEE10hipError_tT0_T1_T2_jT3_P12ihipStream_tbPNSt15iterator_traitsISK_E10value_typeEPNSQ_ISL_E10value_typeEPSM_NS1_7vsmem_tEENKUlT_SK_SL_SM_E_clIPySE_SF_SF_EESJ_SZ_SK_SL_SM_EUlSZ_E0_NS1_11comp_targetILNS1_3genE8ELNS1_11target_archE1030ELNS1_3gpuE2ELNS1_3repE0EEENS1_38merge_mergepath_config_static_selectorELNS0_4arch9wavefront6targetE1EEEvSL_
    .private_segment_fixed_size: 0
    .sgpr_count:     6
    .sgpr_spill_count: 0
    .symbol:         _ZN7rocprim17ROCPRIM_400000_NS6detail17trampoline_kernelINS0_14default_configENS1_38merge_sort_block_merge_config_selectorIyNS0_10empty_typeEEEZZNS1_27merge_sort_block_merge_implIS3_N6thrust23THRUST_200600_302600_NS6detail15normal_iteratorINS9_10device_ptrIyEEEEPS5_jNS1_19radix_merge_compareILb0ELb1EyNS0_19identity_decomposerEEEEE10hipError_tT0_T1_T2_jT3_P12ihipStream_tbPNSt15iterator_traitsISK_E10value_typeEPNSQ_ISL_E10value_typeEPSM_NS1_7vsmem_tEENKUlT_SK_SL_SM_E_clIPySE_SF_SF_EESJ_SZ_SK_SL_SM_EUlSZ_E0_NS1_11comp_targetILNS1_3genE8ELNS1_11target_archE1030ELNS1_3gpuE2ELNS1_3repE0EEENS1_38merge_mergepath_config_static_selectorELNS0_4arch9wavefront6targetE1EEEvSL_.kd
    .uniform_work_group_size: 1
    .uses_dynamic_stack: false
    .vgpr_count:     0
    .vgpr_spill_count: 0
    .wavefront_size: 64
  - .agpr_count:     0
    .args:
      - .offset:         0
        .size:           48
        .value_kind:     by_value
    .group_segment_fixed_size: 0
    .kernarg_segment_align: 8
    .kernarg_segment_size: 48
    .language:       OpenCL C
    .language_version:
      - 2
      - 0
    .max_flat_workgroup_size: 256
    .name:           _ZN7rocprim17ROCPRIM_400000_NS6detail17trampoline_kernelINS0_14default_configENS1_38merge_sort_block_merge_config_selectorIyNS0_10empty_typeEEEZZNS1_27merge_sort_block_merge_implIS3_N6thrust23THRUST_200600_302600_NS6detail15normal_iteratorINS9_10device_ptrIyEEEEPS5_jNS1_19radix_merge_compareILb0ELb1EyNS0_19identity_decomposerEEEEE10hipError_tT0_T1_T2_jT3_P12ihipStream_tbPNSt15iterator_traitsISK_E10value_typeEPNSQ_ISL_E10value_typeEPSM_NS1_7vsmem_tEENKUlT_SK_SL_SM_E_clIPySE_SF_SF_EESJ_SZ_SK_SL_SM_EUlSZ_E1_NS1_11comp_targetILNS1_3genE0ELNS1_11target_archE4294967295ELNS1_3gpuE0ELNS1_3repE0EEENS1_36merge_oddeven_config_static_selectorELNS0_4arch9wavefront6targetE1EEEvSL_
    .private_segment_fixed_size: 0
    .sgpr_count:     6
    .sgpr_spill_count: 0
    .symbol:         _ZN7rocprim17ROCPRIM_400000_NS6detail17trampoline_kernelINS0_14default_configENS1_38merge_sort_block_merge_config_selectorIyNS0_10empty_typeEEEZZNS1_27merge_sort_block_merge_implIS3_N6thrust23THRUST_200600_302600_NS6detail15normal_iteratorINS9_10device_ptrIyEEEEPS5_jNS1_19radix_merge_compareILb0ELb1EyNS0_19identity_decomposerEEEEE10hipError_tT0_T1_T2_jT3_P12ihipStream_tbPNSt15iterator_traitsISK_E10value_typeEPNSQ_ISL_E10value_typeEPSM_NS1_7vsmem_tEENKUlT_SK_SL_SM_E_clIPySE_SF_SF_EESJ_SZ_SK_SL_SM_EUlSZ_E1_NS1_11comp_targetILNS1_3genE0ELNS1_11target_archE4294967295ELNS1_3gpuE0ELNS1_3repE0EEENS1_36merge_oddeven_config_static_selectorELNS0_4arch9wavefront6targetE1EEEvSL_.kd
    .uniform_work_group_size: 1
    .uses_dynamic_stack: false
    .vgpr_count:     0
    .vgpr_spill_count: 0
    .wavefront_size: 64
  - .agpr_count:     0
    .args:
      - .offset:         0
        .size:           48
        .value_kind:     by_value
    .group_segment_fixed_size: 0
    .kernarg_segment_align: 8
    .kernarg_segment_size: 48
    .language:       OpenCL C
    .language_version:
      - 2
      - 0
    .max_flat_workgroup_size: 256
    .name:           _ZN7rocprim17ROCPRIM_400000_NS6detail17trampoline_kernelINS0_14default_configENS1_38merge_sort_block_merge_config_selectorIyNS0_10empty_typeEEEZZNS1_27merge_sort_block_merge_implIS3_N6thrust23THRUST_200600_302600_NS6detail15normal_iteratorINS9_10device_ptrIyEEEEPS5_jNS1_19radix_merge_compareILb0ELb1EyNS0_19identity_decomposerEEEEE10hipError_tT0_T1_T2_jT3_P12ihipStream_tbPNSt15iterator_traitsISK_E10value_typeEPNSQ_ISL_E10value_typeEPSM_NS1_7vsmem_tEENKUlT_SK_SL_SM_E_clIPySE_SF_SF_EESJ_SZ_SK_SL_SM_EUlSZ_E1_NS1_11comp_targetILNS1_3genE10ELNS1_11target_archE1201ELNS1_3gpuE5ELNS1_3repE0EEENS1_36merge_oddeven_config_static_selectorELNS0_4arch9wavefront6targetE1EEEvSL_
    .private_segment_fixed_size: 0
    .sgpr_count:     6
    .sgpr_spill_count: 0
    .symbol:         _ZN7rocprim17ROCPRIM_400000_NS6detail17trampoline_kernelINS0_14default_configENS1_38merge_sort_block_merge_config_selectorIyNS0_10empty_typeEEEZZNS1_27merge_sort_block_merge_implIS3_N6thrust23THRUST_200600_302600_NS6detail15normal_iteratorINS9_10device_ptrIyEEEEPS5_jNS1_19radix_merge_compareILb0ELb1EyNS0_19identity_decomposerEEEEE10hipError_tT0_T1_T2_jT3_P12ihipStream_tbPNSt15iterator_traitsISK_E10value_typeEPNSQ_ISL_E10value_typeEPSM_NS1_7vsmem_tEENKUlT_SK_SL_SM_E_clIPySE_SF_SF_EESJ_SZ_SK_SL_SM_EUlSZ_E1_NS1_11comp_targetILNS1_3genE10ELNS1_11target_archE1201ELNS1_3gpuE5ELNS1_3repE0EEENS1_36merge_oddeven_config_static_selectorELNS0_4arch9wavefront6targetE1EEEvSL_.kd
    .uniform_work_group_size: 1
    .uses_dynamic_stack: false
    .vgpr_count:     0
    .vgpr_spill_count: 0
    .wavefront_size: 64
  - .agpr_count:     0
    .args:
      - .offset:         0
        .size:           48
        .value_kind:     by_value
    .group_segment_fixed_size: 0
    .kernarg_segment_align: 8
    .kernarg_segment_size: 48
    .language:       OpenCL C
    .language_version:
      - 2
      - 0
    .max_flat_workgroup_size: 256
    .name:           _ZN7rocprim17ROCPRIM_400000_NS6detail17trampoline_kernelINS0_14default_configENS1_38merge_sort_block_merge_config_selectorIyNS0_10empty_typeEEEZZNS1_27merge_sort_block_merge_implIS3_N6thrust23THRUST_200600_302600_NS6detail15normal_iteratorINS9_10device_ptrIyEEEEPS5_jNS1_19radix_merge_compareILb0ELb1EyNS0_19identity_decomposerEEEEE10hipError_tT0_T1_T2_jT3_P12ihipStream_tbPNSt15iterator_traitsISK_E10value_typeEPNSQ_ISL_E10value_typeEPSM_NS1_7vsmem_tEENKUlT_SK_SL_SM_E_clIPySE_SF_SF_EESJ_SZ_SK_SL_SM_EUlSZ_E1_NS1_11comp_targetILNS1_3genE5ELNS1_11target_archE942ELNS1_3gpuE9ELNS1_3repE0EEENS1_36merge_oddeven_config_static_selectorELNS0_4arch9wavefront6targetE1EEEvSL_
    .private_segment_fixed_size: 0
    .sgpr_count:     27
    .sgpr_spill_count: 0
    .symbol:         _ZN7rocprim17ROCPRIM_400000_NS6detail17trampoline_kernelINS0_14default_configENS1_38merge_sort_block_merge_config_selectorIyNS0_10empty_typeEEEZZNS1_27merge_sort_block_merge_implIS3_N6thrust23THRUST_200600_302600_NS6detail15normal_iteratorINS9_10device_ptrIyEEEEPS5_jNS1_19radix_merge_compareILb0ELb1EyNS0_19identity_decomposerEEEEE10hipError_tT0_T1_T2_jT3_P12ihipStream_tbPNSt15iterator_traitsISK_E10value_typeEPNSQ_ISL_E10value_typeEPSM_NS1_7vsmem_tEENKUlT_SK_SL_SM_E_clIPySE_SF_SF_EESJ_SZ_SK_SL_SM_EUlSZ_E1_NS1_11comp_targetILNS1_3genE5ELNS1_11target_archE942ELNS1_3gpuE9ELNS1_3repE0EEENS1_36merge_oddeven_config_static_selectorELNS0_4arch9wavefront6targetE1EEEvSL_.kd
    .uniform_work_group_size: 1
    .uses_dynamic_stack: false
    .vgpr_count:     13
    .vgpr_spill_count: 0
    .wavefront_size: 64
  - .agpr_count:     0
    .args:
      - .offset:         0
        .size:           48
        .value_kind:     by_value
    .group_segment_fixed_size: 0
    .kernarg_segment_align: 8
    .kernarg_segment_size: 48
    .language:       OpenCL C
    .language_version:
      - 2
      - 0
    .max_flat_workgroup_size: 256
    .name:           _ZN7rocprim17ROCPRIM_400000_NS6detail17trampoline_kernelINS0_14default_configENS1_38merge_sort_block_merge_config_selectorIyNS0_10empty_typeEEEZZNS1_27merge_sort_block_merge_implIS3_N6thrust23THRUST_200600_302600_NS6detail15normal_iteratorINS9_10device_ptrIyEEEEPS5_jNS1_19radix_merge_compareILb0ELb1EyNS0_19identity_decomposerEEEEE10hipError_tT0_T1_T2_jT3_P12ihipStream_tbPNSt15iterator_traitsISK_E10value_typeEPNSQ_ISL_E10value_typeEPSM_NS1_7vsmem_tEENKUlT_SK_SL_SM_E_clIPySE_SF_SF_EESJ_SZ_SK_SL_SM_EUlSZ_E1_NS1_11comp_targetILNS1_3genE4ELNS1_11target_archE910ELNS1_3gpuE8ELNS1_3repE0EEENS1_36merge_oddeven_config_static_selectorELNS0_4arch9wavefront6targetE1EEEvSL_
    .private_segment_fixed_size: 0
    .sgpr_count:     6
    .sgpr_spill_count: 0
    .symbol:         _ZN7rocprim17ROCPRIM_400000_NS6detail17trampoline_kernelINS0_14default_configENS1_38merge_sort_block_merge_config_selectorIyNS0_10empty_typeEEEZZNS1_27merge_sort_block_merge_implIS3_N6thrust23THRUST_200600_302600_NS6detail15normal_iteratorINS9_10device_ptrIyEEEEPS5_jNS1_19radix_merge_compareILb0ELb1EyNS0_19identity_decomposerEEEEE10hipError_tT0_T1_T2_jT3_P12ihipStream_tbPNSt15iterator_traitsISK_E10value_typeEPNSQ_ISL_E10value_typeEPSM_NS1_7vsmem_tEENKUlT_SK_SL_SM_E_clIPySE_SF_SF_EESJ_SZ_SK_SL_SM_EUlSZ_E1_NS1_11comp_targetILNS1_3genE4ELNS1_11target_archE910ELNS1_3gpuE8ELNS1_3repE0EEENS1_36merge_oddeven_config_static_selectorELNS0_4arch9wavefront6targetE1EEEvSL_.kd
    .uniform_work_group_size: 1
    .uses_dynamic_stack: false
    .vgpr_count:     0
    .vgpr_spill_count: 0
    .wavefront_size: 64
  - .agpr_count:     0
    .args:
      - .offset:         0
        .size:           48
        .value_kind:     by_value
    .group_segment_fixed_size: 0
    .kernarg_segment_align: 8
    .kernarg_segment_size: 48
    .language:       OpenCL C
    .language_version:
      - 2
      - 0
    .max_flat_workgroup_size: 256
    .name:           _ZN7rocprim17ROCPRIM_400000_NS6detail17trampoline_kernelINS0_14default_configENS1_38merge_sort_block_merge_config_selectorIyNS0_10empty_typeEEEZZNS1_27merge_sort_block_merge_implIS3_N6thrust23THRUST_200600_302600_NS6detail15normal_iteratorINS9_10device_ptrIyEEEEPS5_jNS1_19radix_merge_compareILb0ELb1EyNS0_19identity_decomposerEEEEE10hipError_tT0_T1_T2_jT3_P12ihipStream_tbPNSt15iterator_traitsISK_E10value_typeEPNSQ_ISL_E10value_typeEPSM_NS1_7vsmem_tEENKUlT_SK_SL_SM_E_clIPySE_SF_SF_EESJ_SZ_SK_SL_SM_EUlSZ_E1_NS1_11comp_targetILNS1_3genE3ELNS1_11target_archE908ELNS1_3gpuE7ELNS1_3repE0EEENS1_36merge_oddeven_config_static_selectorELNS0_4arch9wavefront6targetE1EEEvSL_
    .private_segment_fixed_size: 0
    .sgpr_count:     6
    .sgpr_spill_count: 0
    .symbol:         _ZN7rocprim17ROCPRIM_400000_NS6detail17trampoline_kernelINS0_14default_configENS1_38merge_sort_block_merge_config_selectorIyNS0_10empty_typeEEEZZNS1_27merge_sort_block_merge_implIS3_N6thrust23THRUST_200600_302600_NS6detail15normal_iteratorINS9_10device_ptrIyEEEEPS5_jNS1_19radix_merge_compareILb0ELb1EyNS0_19identity_decomposerEEEEE10hipError_tT0_T1_T2_jT3_P12ihipStream_tbPNSt15iterator_traitsISK_E10value_typeEPNSQ_ISL_E10value_typeEPSM_NS1_7vsmem_tEENKUlT_SK_SL_SM_E_clIPySE_SF_SF_EESJ_SZ_SK_SL_SM_EUlSZ_E1_NS1_11comp_targetILNS1_3genE3ELNS1_11target_archE908ELNS1_3gpuE7ELNS1_3repE0EEENS1_36merge_oddeven_config_static_selectorELNS0_4arch9wavefront6targetE1EEEvSL_.kd
    .uniform_work_group_size: 1
    .uses_dynamic_stack: false
    .vgpr_count:     0
    .vgpr_spill_count: 0
    .wavefront_size: 64
  - .agpr_count:     0
    .args:
      - .offset:         0
        .size:           48
        .value_kind:     by_value
    .group_segment_fixed_size: 0
    .kernarg_segment_align: 8
    .kernarg_segment_size: 48
    .language:       OpenCL C
    .language_version:
      - 2
      - 0
    .max_flat_workgroup_size: 256
    .name:           _ZN7rocprim17ROCPRIM_400000_NS6detail17trampoline_kernelINS0_14default_configENS1_38merge_sort_block_merge_config_selectorIyNS0_10empty_typeEEEZZNS1_27merge_sort_block_merge_implIS3_N6thrust23THRUST_200600_302600_NS6detail15normal_iteratorINS9_10device_ptrIyEEEEPS5_jNS1_19radix_merge_compareILb0ELb1EyNS0_19identity_decomposerEEEEE10hipError_tT0_T1_T2_jT3_P12ihipStream_tbPNSt15iterator_traitsISK_E10value_typeEPNSQ_ISL_E10value_typeEPSM_NS1_7vsmem_tEENKUlT_SK_SL_SM_E_clIPySE_SF_SF_EESJ_SZ_SK_SL_SM_EUlSZ_E1_NS1_11comp_targetILNS1_3genE2ELNS1_11target_archE906ELNS1_3gpuE6ELNS1_3repE0EEENS1_36merge_oddeven_config_static_selectorELNS0_4arch9wavefront6targetE1EEEvSL_
    .private_segment_fixed_size: 0
    .sgpr_count:     6
    .sgpr_spill_count: 0
    .symbol:         _ZN7rocprim17ROCPRIM_400000_NS6detail17trampoline_kernelINS0_14default_configENS1_38merge_sort_block_merge_config_selectorIyNS0_10empty_typeEEEZZNS1_27merge_sort_block_merge_implIS3_N6thrust23THRUST_200600_302600_NS6detail15normal_iteratorINS9_10device_ptrIyEEEEPS5_jNS1_19radix_merge_compareILb0ELb1EyNS0_19identity_decomposerEEEEE10hipError_tT0_T1_T2_jT3_P12ihipStream_tbPNSt15iterator_traitsISK_E10value_typeEPNSQ_ISL_E10value_typeEPSM_NS1_7vsmem_tEENKUlT_SK_SL_SM_E_clIPySE_SF_SF_EESJ_SZ_SK_SL_SM_EUlSZ_E1_NS1_11comp_targetILNS1_3genE2ELNS1_11target_archE906ELNS1_3gpuE6ELNS1_3repE0EEENS1_36merge_oddeven_config_static_selectorELNS0_4arch9wavefront6targetE1EEEvSL_.kd
    .uniform_work_group_size: 1
    .uses_dynamic_stack: false
    .vgpr_count:     0
    .vgpr_spill_count: 0
    .wavefront_size: 64
  - .agpr_count:     0
    .args:
      - .offset:         0
        .size:           48
        .value_kind:     by_value
    .group_segment_fixed_size: 0
    .kernarg_segment_align: 8
    .kernarg_segment_size: 48
    .language:       OpenCL C
    .language_version:
      - 2
      - 0
    .max_flat_workgroup_size: 256
    .name:           _ZN7rocprim17ROCPRIM_400000_NS6detail17trampoline_kernelINS0_14default_configENS1_38merge_sort_block_merge_config_selectorIyNS0_10empty_typeEEEZZNS1_27merge_sort_block_merge_implIS3_N6thrust23THRUST_200600_302600_NS6detail15normal_iteratorINS9_10device_ptrIyEEEEPS5_jNS1_19radix_merge_compareILb0ELb1EyNS0_19identity_decomposerEEEEE10hipError_tT0_T1_T2_jT3_P12ihipStream_tbPNSt15iterator_traitsISK_E10value_typeEPNSQ_ISL_E10value_typeEPSM_NS1_7vsmem_tEENKUlT_SK_SL_SM_E_clIPySE_SF_SF_EESJ_SZ_SK_SL_SM_EUlSZ_E1_NS1_11comp_targetILNS1_3genE9ELNS1_11target_archE1100ELNS1_3gpuE3ELNS1_3repE0EEENS1_36merge_oddeven_config_static_selectorELNS0_4arch9wavefront6targetE1EEEvSL_
    .private_segment_fixed_size: 0
    .sgpr_count:     6
    .sgpr_spill_count: 0
    .symbol:         _ZN7rocprim17ROCPRIM_400000_NS6detail17trampoline_kernelINS0_14default_configENS1_38merge_sort_block_merge_config_selectorIyNS0_10empty_typeEEEZZNS1_27merge_sort_block_merge_implIS3_N6thrust23THRUST_200600_302600_NS6detail15normal_iteratorINS9_10device_ptrIyEEEEPS5_jNS1_19radix_merge_compareILb0ELb1EyNS0_19identity_decomposerEEEEE10hipError_tT0_T1_T2_jT3_P12ihipStream_tbPNSt15iterator_traitsISK_E10value_typeEPNSQ_ISL_E10value_typeEPSM_NS1_7vsmem_tEENKUlT_SK_SL_SM_E_clIPySE_SF_SF_EESJ_SZ_SK_SL_SM_EUlSZ_E1_NS1_11comp_targetILNS1_3genE9ELNS1_11target_archE1100ELNS1_3gpuE3ELNS1_3repE0EEENS1_36merge_oddeven_config_static_selectorELNS0_4arch9wavefront6targetE1EEEvSL_.kd
    .uniform_work_group_size: 1
    .uses_dynamic_stack: false
    .vgpr_count:     0
    .vgpr_spill_count: 0
    .wavefront_size: 64
  - .agpr_count:     0
    .args:
      - .offset:         0
        .size:           48
        .value_kind:     by_value
    .group_segment_fixed_size: 0
    .kernarg_segment_align: 8
    .kernarg_segment_size: 48
    .language:       OpenCL C
    .language_version:
      - 2
      - 0
    .max_flat_workgroup_size: 256
    .name:           _ZN7rocprim17ROCPRIM_400000_NS6detail17trampoline_kernelINS0_14default_configENS1_38merge_sort_block_merge_config_selectorIyNS0_10empty_typeEEEZZNS1_27merge_sort_block_merge_implIS3_N6thrust23THRUST_200600_302600_NS6detail15normal_iteratorINS9_10device_ptrIyEEEEPS5_jNS1_19radix_merge_compareILb0ELb1EyNS0_19identity_decomposerEEEEE10hipError_tT0_T1_T2_jT3_P12ihipStream_tbPNSt15iterator_traitsISK_E10value_typeEPNSQ_ISL_E10value_typeEPSM_NS1_7vsmem_tEENKUlT_SK_SL_SM_E_clIPySE_SF_SF_EESJ_SZ_SK_SL_SM_EUlSZ_E1_NS1_11comp_targetILNS1_3genE8ELNS1_11target_archE1030ELNS1_3gpuE2ELNS1_3repE0EEENS1_36merge_oddeven_config_static_selectorELNS0_4arch9wavefront6targetE1EEEvSL_
    .private_segment_fixed_size: 0
    .sgpr_count:     6
    .sgpr_spill_count: 0
    .symbol:         _ZN7rocprim17ROCPRIM_400000_NS6detail17trampoline_kernelINS0_14default_configENS1_38merge_sort_block_merge_config_selectorIyNS0_10empty_typeEEEZZNS1_27merge_sort_block_merge_implIS3_N6thrust23THRUST_200600_302600_NS6detail15normal_iteratorINS9_10device_ptrIyEEEEPS5_jNS1_19radix_merge_compareILb0ELb1EyNS0_19identity_decomposerEEEEE10hipError_tT0_T1_T2_jT3_P12ihipStream_tbPNSt15iterator_traitsISK_E10value_typeEPNSQ_ISL_E10value_typeEPSM_NS1_7vsmem_tEENKUlT_SK_SL_SM_E_clIPySE_SF_SF_EESJ_SZ_SK_SL_SM_EUlSZ_E1_NS1_11comp_targetILNS1_3genE8ELNS1_11target_archE1030ELNS1_3gpuE2ELNS1_3repE0EEENS1_36merge_oddeven_config_static_selectorELNS0_4arch9wavefront6targetE1EEEvSL_.kd
    .uniform_work_group_size: 1
    .uses_dynamic_stack: false
    .vgpr_count:     0
    .vgpr_spill_count: 0
    .wavefront_size: 64
  - .agpr_count:     0
    .args:
      - .offset:         0
        .size:           40
        .value_kind:     by_value
    .group_segment_fixed_size: 0
    .kernarg_segment_align: 8
    .kernarg_segment_size: 40
    .language:       OpenCL C
    .language_version:
      - 2
      - 0
    .max_flat_workgroup_size: 128
    .name:           _ZN7rocprim17ROCPRIM_400000_NS6detail17trampoline_kernelINS0_14default_configENS1_38merge_sort_block_merge_config_selectorIyNS0_10empty_typeEEEZZNS1_27merge_sort_block_merge_implIS3_N6thrust23THRUST_200600_302600_NS6detail15normal_iteratorINS9_10device_ptrIyEEEEPS5_jNS1_19radix_merge_compareILb0ELb1EyNS0_19identity_decomposerEEEEE10hipError_tT0_T1_T2_jT3_P12ihipStream_tbPNSt15iterator_traitsISK_E10value_typeEPNSQ_ISL_E10value_typeEPSM_NS1_7vsmem_tEENKUlT_SK_SL_SM_E_clISE_PySF_SF_EESJ_SZ_SK_SL_SM_EUlSZ_E_NS1_11comp_targetILNS1_3genE0ELNS1_11target_archE4294967295ELNS1_3gpuE0ELNS1_3repE0EEENS1_48merge_mergepath_partition_config_static_selectorELNS0_4arch9wavefront6targetE1EEEvSL_
    .private_segment_fixed_size: 0
    .sgpr_count:     6
    .sgpr_spill_count: 0
    .symbol:         _ZN7rocprim17ROCPRIM_400000_NS6detail17trampoline_kernelINS0_14default_configENS1_38merge_sort_block_merge_config_selectorIyNS0_10empty_typeEEEZZNS1_27merge_sort_block_merge_implIS3_N6thrust23THRUST_200600_302600_NS6detail15normal_iteratorINS9_10device_ptrIyEEEEPS5_jNS1_19radix_merge_compareILb0ELb1EyNS0_19identity_decomposerEEEEE10hipError_tT0_T1_T2_jT3_P12ihipStream_tbPNSt15iterator_traitsISK_E10value_typeEPNSQ_ISL_E10value_typeEPSM_NS1_7vsmem_tEENKUlT_SK_SL_SM_E_clISE_PySF_SF_EESJ_SZ_SK_SL_SM_EUlSZ_E_NS1_11comp_targetILNS1_3genE0ELNS1_11target_archE4294967295ELNS1_3gpuE0ELNS1_3repE0EEENS1_48merge_mergepath_partition_config_static_selectorELNS0_4arch9wavefront6targetE1EEEvSL_.kd
    .uniform_work_group_size: 1
    .uses_dynamic_stack: false
    .vgpr_count:     0
    .vgpr_spill_count: 0
    .wavefront_size: 64
  - .agpr_count:     0
    .args:
      - .offset:         0
        .size:           40
        .value_kind:     by_value
    .group_segment_fixed_size: 0
    .kernarg_segment_align: 8
    .kernarg_segment_size: 40
    .language:       OpenCL C
    .language_version:
      - 2
      - 0
    .max_flat_workgroup_size: 128
    .name:           _ZN7rocprim17ROCPRIM_400000_NS6detail17trampoline_kernelINS0_14default_configENS1_38merge_sort_block_merge_config_selectorIyNS0_10empty_typeEEEZZNS1_27merge_sort_block_merge_implIS3_N6thrust23THRUST_200600_302600_NS6detail15normal_iteratorINS9_10device_ptrIyEEEEPS5_jNS1_19radix_merge_compareILb0ELb1EyNS0_19identity_decomposerEEEEE10hipError_tT0_T1_T2_jT3_P12ihipStream_tbPNSt15iterator_traitsISK_E10value_typeEPNSQ_ISL_E10value_typeEPSM_NS1_7vsmem_tEENKUlT_SK_SL_SM_E_clISE_PySF_SF_EESJ_SZ_SK_SL_SM_EUlSZ_E_NS1_11comp_targetILNS1_3genE10ELNS1_11target_archE1201ELNS1_3gpuE5ELNS1_3repE0EEENS1_48merge_mergepath_partition_config_static_selectorELNS0_4arch9wavefront6targetE1EEEvSL_
    .private_segment_fixed_size: 0
    .sgpr_count:     6
    .sgpr_spill_count: 0
    .symbol:         _ZN7rocprim17ROCPRIM_400000_NS6detail17trampoline_kernelINS0_14default_configENS1_38merge_sort_block_merge_config_selectorIyNS0_10empty_typeEEEZZNS1_27merge_sort_block_merge_implIS3_N6thrust23THRUST_200600_302600_NS6detail15normal_iteratorINS9_10device_ptrIyEEEEPS5_jNS1_19radix_merge_compareILb0ELb1EyNS0_19identity_decomposerEEEEE10hipError_tT0_T1_T2_jT3_P12ihipStream_tbPNSt15iterator_traitsISK_E10value_typeEPNSQ_ISL_E10value_typeEPSM_NS1_7vsmem_tEENKUlT_SK_SL_SM_E_clISE_PySF_SF_EESJ_SZ_SK_SL_SM_EUlSZ_E_NS1_11comp_targetILNS1_3genE10ELNS1_11target_archE1201ELNS1_3gpuE5ELNS1_3repE0EEENS1_48merge_mergepath_partition_config_static_selectorELNS0_4arch9wavefront6targetE1EEEvSL_.kd
    .uniform_work_group_size: 1
    .uses_dynamic_stack: false
    .vgpr_count:     0
    .vgpr_spill_count: 0
    .wavefront_size: 64
  - .agpr_count:     0
    .args:
      - .offset:         0
        .size:           40
        .value_kind:     by_value
    .group_segment_fixed_size: 0
    .kernarg_segment_align: 8
    .kernarg_segment_size: 40
    .language:       OpenCL C
    .language_version:
      - 2
      - 0
    .max_flat_workgroup_size: 128
    .name:           _ZN7rocprim17ROCPRIM_400000_NS6detail17trampoline_kernelINS0_14default_configENS1_38merge_sort_block_merge_config_selectorIyNS0_10empty_typeEEEZZNS1_27merge_sort_block_merge_implIS3_N6thrust23THRUST_200600_302600_NS6detail15normal_iteratorINS9_10device_ptrIyEEEEPS5_jNS1_19radix_merge_compareILb0ELb1EyNS0_19identity_decomposerEEEEE10hipError_tT0_T1_T2_jT3_P12ihipStream_tbPNSt15iterator_traitsISK_E10value_typeEPNSQ_ISL_E10value_typeEPSM_NS1_7vsmem_tEENKUlT_SK_SL_SM_E_clISE_PySF_SF_EESJ_SZ_SK_SL_SM_EUlSZ_E_NS1_11comp_targetILNS1_3genE5ELNS1_11target_archE942ELNS1_3gpuE9ELNS1_3repE0EEENS1_48merge_mergepath_partition_config_static_selectorELNS0_4arch9wavefront6targetE1EEEvSL_
    .private_segment_fixed_size: 0
    .sgpr_count:     16
    .sgpr_spill_count: 0
    .symbol:         _ZN7rocprim17ROCPRIM_400000_NS6detail17trampoline_kernelINS0_14default_configENS1_38merge_sort_block_merge_config_selectorIyNS0_10empty_typeEEEZZNS1_27merge_sort_block_merge_implIS3_N6thrust23THRUST_200600_302600_NS6detail15normal_iteratorINS9_10device_ptrIyEEEEPS5_jNS1_19radix_merge_compareILb0ELb1EyNS0_19identity_decomposerEEEEE10hipError_tT0_T1_T2_jT3_P12ihipStream_tbPNSt15iterator_traitsISK_E10value_typeEPNSQ_ISL_E10value_typeEPSM_NS1_7vsmem_tEENKUlT_SK_SL_SM_E_clISE_PySF_SF_EESJ_SZ_SK_SL_SM_EUlSZ_E_NS1_11comp_targetILNS1_3genE5ELNS1_11target_archE942ELNS1_3gpuE9ELNS1_3repE0EEENS1_48merge_mergepath_partition_config_static_selectorELNS0_4arch9wavefront6targetE1EEEvSL_.kd
    .uniform_work_group_size: 1
    .uses_dynamic_stack: false
    .vgpr_count:     16
    .vgpr_spill_count: 0
    .wavefront_size: 64
  - .agpr_count:     0
    .args:
      - .offset:         0
        .size:           40
        .value_kind:     by_value
    .group_segment_fixed_size: 0
    .kernarg_segment_align: 8
    .kernarg_segment_size: 40
    .language:       OpenCL C
    .language_version:
      - 2
      - 0
    .max_flat_workgroup_size: 128
    .name:           _ZN7rocprim17ROCPRIM_400000_NS6detail17trampoline_kernelINS0_14default_configENS1_38merge_sort_block_merge_config_selectorIyNS0_10empty_typeEEEZZNS1_27merge_sort_block_merge_implIS3_N6thrust23THRUST_200600_302600_NS6detail15normal_iteratorINS9_10device_ptrIyEEEEPS5_jNS1_19radix_merge_compareILb0ELb1EyNS0_19identity_decomposerEEEEE10hipError_tT0_T1_T2_jT3_P12ihipStream_tbPNSt15iterator_traitsISK_E10value_typeEPNSQ_ISL_E10value_typeEPSM_NS1_7vsmem_tEENKUlT_SK_SL_SM_E_clISE_PySF_SF_EESJ_SZ_SK_SL_SM_EUlSZ_E_NS1_11comp_targetILNS1_3genE4ELNS1_11target_archE910ELNS1_3gpuE8ELNS1_3repE0EEENS1_48merge_mergepath_partition_config_static_selectorELNS0_4arch9wavefront6targetE1EEEvSL_
    .private_segment_fixed_size: 0
    .sgpr_count:     6
    .sgpr_spill_count: 0
    .symbol:         _ZN7rocprim17ROCPRIM_400000_NS6detail17trampoline_kernelINS0_14default_configENS1_38merge_sort_block_merge_config_selectorIyNS0_10empty_typeEEEZZNS1_27merge_sort_block_merge_implIS3_N6thrust23THRUST_200600_302600_NS6detail15normal_iteratorINS9_10device_ptrIyEEEEPS5_jNS1_19radix_merge_compareILb0ELb1EyNS0_19identity_decomposerEEEEE10hipError_tT0_T1_T2_jT3_P12ihipStream_tbPNSt15iterator_traitsISK_E10value_typeEPNSQ_ISL_E10value_typeEPSM_NS1_7vsmem_tEENKUlT_SK_SL_SM_E_clISE_PySF_SF_EESJ_SZ_SK_SL_SM_EUlSZ_E_NS1_11comp_targetILNS1_3genE4ELNS1_11target_archE910ELNS1_3gpuE8ELNS1_3repE0EEENS1_48merge_mergepath_partition_config_static_selectorELNS0_4arch9wavefront6targetE1EEEvSL_.kd
    .uniform_work_group_size: 1
    .uses_dynamic_stack: false
    .vgpr_count:     0
    .vgpr_spill_count: 0
    .wavefront_size: 64
  - .agpr_count:     0
    .args:
      - .offset:         0
        .size:           40
        .value_kind:     by_value
    .group_segment_fixed_size: 0
    .kernarg_segment_align: 8
    .kernarg_segment_size: 40
    .language:       OpenCL C
    .language_version:
      - 2
      - 0
    .max_flat_workgroup_size: 128
    .name:           _ZN7rocprim17ROCPRIM_400000_NS6detail17trampoline_kernelINS0_14default_configENS1_38merge_sort_block_merge_config_selectorIyNS0_10empty_typeEEEZZNS1_27merge_sort_block_merge_implIS3_N6thrust23THRUST_200600_302600_NS6detail15normal_iteratorINS9_10device_ptrIyEEEEPS5_jNS1_19radix_merge_compareILb0ELb1EyNS0_19identity_decomposerEEEEE10hipError_tT0_T1_T2_jT3_P12ihipStream_tbPNSt15iterator_traitsISK_E10value_typeEPNSQ_ISL_E10value_typeEPSM_NS1_7vsmem_tEENKUlT_SK_SL_SM_E_clISE_PySF_SF_EESJ_SZ_SK_SL_SM_EUlSZ_E_NS1_11comp_targetILNS1_3genE3ELNS1_11target_archE908ELNS1_3gpuE7ELNS1_3repE0EEENS1_48merge_mergepath_partition_config_static_selectorELNS0_4arch9wavefront6targetE1EEEvSL_
    .private_segment_fixed_size: 0
    .sgpr_count:     6
    .sgpr_spill_count: 0
    .symbol:         _ZN7rocprim17ROCPRIM_400000_NS6detail17trampoline_kernelINS0_14default_configENS1_38merge_sort_block_merge_config_selectorIyNS0_10empty_typeEEEZZNS1_27merge_sort_block_merge_implIS3_N6thrust23THRUST_200600_302600_NS6detail15normal_iteratorINS9_10device_ptrIyEEEEPS5_jNS1_19radix_merge_compareILb0ELb1EyNS0_19identity_decomposerEEEEE10hipError_tT0_T1_T2_jT3_P12ihipStream_tbPNSt15iterator_traitsISK_E10value_typeEPNSQ_ISL_E10value_typeEPSM_NS1_7vsmem_tEENKUlT_SK_SL_SM_E_clISE_PySF_SF_EESJ_SZ_SK_SL_SM_EUlSZ_E_NS1_11comp_targetILNS1_3genE3ELNS1_11target_archE908ELNS1_3gpuE7ELNS1_3repE0EEENS1_48merge_mergepath_partition_config_static_selectorELNS0_4arch9wavefront6targetE1EEEvSL_.kd
    .uniform_work_group_size: 1
    .uses_dynamic_stack: false
    .vgpr_count:     0
    .vgpr_spill_count: 0
    .wavefront_size: 64
  - .agpr_count:     0
    .args:
      - .offset:         0
        .size:           40
        .value_kind:     by_value
    .group_segment_fixed_size: 0
    .kernarg_segment_align: 8
    .kernarg_segment_size: 40
    .language:       OpenCL C
    .language_version:
      - 2
      - 0
    .max_flat_workgroup_size: 128
    .name:           _ZN7rocprim17ROCPRIM_400000_NS6detail17trampoline_kernelINS0_14default_configENS1_38merge_sort_block_merge_config_selectorIyNS0_10empty_typeEEEZZNS1_27merge_sort_block_merge_implIS3_N6thrust23THRUST_200600_302600_NS6detail15normal_iteratorINS9_10device_ptrIyEEEEPS5_jNS1_19radix_merge_compareILb0ELb1EyNS0_19identity_decomposerEEEEE10hipError_tT0_T1_T2_jT3_P12ihipStream_tbPNSt15iterator_traitsISK_E10value_typeEPNSQ_ISL_E10value_typeEPSM_NS1_7vsmem_tEENKUlT_SK_SL_SM_E_clISE_PySF_SF_EESJ_SZ_SK_SL_SM_EUlSZ_E_NS1_11comp_targetILNS1_3genE2ELNS1_11target_archE906ELNS1_3gpuE6ELNS1_3repE0EEENS1_48merge_mergepath_partition_config_static_selectorELNS0_4arch9wavefront6targetE1EEEvSL_
    .private_segment_fixed_size: 0
    .sgpr_count:     6
    .sgpr_spill_count: 0
    .symbol:         _ZN7rocprim17ROCPRIM_400000_NS6detail17trampoline_kernelINS0_14default_configENS1_38merge_sort_block_merge_config_selectorIyNS0_10empty_typeEEEZZNS1_27merge_sort_block_merge_implIS3_N6thrust23THRUST_200600_302600_NS6detail15normal_iteratorINS9_10device_ptrIyEEEEPS5_jNS1_19radix_merge_compareILb0ELb1EyNS0_19identity_decomposerEEEEE10hipError_tT0_T1_T2_jT3_P12ihipStream_tbPNSt15iterator_traitsISK_E10value_typeEPNSQ_ISL_E10value_typeEPSM_NS1_7vsmem_tEENKUlT_SK_SL_SM_E_clISE_PySF_SF_EESJ_SZ_SK_SL_SM_EUlSZ_E_NS1_11comp_targetILNS1_3genE2ELNS1_11target_archE906ELNS1_3gpuE6ELNS1_3repE0EEENS1_48merge_mergepath_partition_config_static_selectorELNS0_4arch9wavefront6targetE1EEEvSL_.kd
    .uniform_work_group_size: 1
    .uses_dynamic_stack: false
    .vgpr_count:     0
    .vgpr_spill_count: 0
    .wavefront_size: 64
  - .agpr_count:     0
    .args:
      - .offset:         0
        .size:           40
        .value_kind:     by_value
    .group_segment_fixed_size: 0
    .kernarg_segment_align: 8
    .kernarg_segment_size: 40
    .language:       OpenCL C
    .language_version:
      - 2
      - 0
    .max_flat_workgroup_size: 128
    .name:           _ZN7rocprim17ROCPRIM_400000_NS6detail17trampoline_kernelINS0_14default_configENS1_38merge_sort_block_merge_config_selectorIyNS0_10empty_typeEEEZZNS1_27merge_sort_block_merge_implIS3_N6thrust23THRUST_200600_302600_NS6detail15normal_iteratorINS9_10device_ptrIyEEEEPS5_jNS1_19radix_merge_compareILb0ELb1EyNS0_19identity_decomposerEEEEE10hipError_tT0_T1_T2_jT3_P12ihipStream_tbPNSt15iterator_traitsISK_E10value_typeEPNSQ_ISL_E10value_typeEPSM_NS1_7vsmem_tEENKUlT_SK_SL_SM_E_clISE_PySF_SF_EESJ_SZ_SK_SL_SM_EUlSZ_E_NS1_11comp_targetILNS1_3genE9ELNS1_11target_archE1100ELNS1_3gpuE3ELNS1_3repE0EEENS1_48merge_mergepath_partition_config_static_selectorELNS0_4arch9wavefront6targetE1EEEvSL_
    .private_segment_fixed_size: 0
    .sgpr_count:     6
    .sgpr_spill_count: 0
    .symbol:         _ZN7rocprim17ROCPRIM_400000_NS6detail17trampoline_kernelINS0_14default_configENS1_38merge_sort_block_merge_config_selectorIyNS0_10empty_typeEEEZZNS1_27merge_sort_block_merge_implIS3_N6thrust23THRUST_200600_302600_NS6detail15normal_iteratorINS9_10device_ptrIyEEEEPS5_jNS1_19radix_merge_compareILb0ELb1EyNS0_19identity_decomposerEEEEE10hipError_tT0_T1_T2_jT3_P12ihipStream_tbPNSt15iterator_traitsISK_E10value_typeEPNSQ_ISL_E10value_typeEPSM_NS1_7vsmem_tEENKUlT_SK_SL_SM_E_clISE_PySF_SF_EESJ_SZ_SK_SL_SM_EUlSZ_E_NS1_11comp_targetILNS1_3genE9ELNS1_11target_archE1100ELNS1_3gpuE3ELNS1_3repE0EEENS1_48merge_mergepath_partition_config_static_selectorELNS0_4arch9wavefront6targetE1EEEvSL_.kd
    .uniform_work_group_size: 1
    .uses_dynamic_stack: false
    .vgpr_count:     0
    .vgpr_spill_count: 0
    .wavefront_size: 64
  - .agpr_count:     0
    .args:
      - .offset:         0
        .size:           40
        .value_kind:     by_value
    .group_segment_fixed_size: 0
    .kernarg_segment_align: 8
    .kernarg_segment_size: 40
    .language:       OpenCL C
    .language_version:
      - 2
      - 0
    .max_flat_workgroup_size: 128
    .name:           _ZN7rocprim17ROCPRIM_400000_NS6detail17trampoline_kernelINS0_14default_configENS1_38merge_sort_block_merge_config_selectorIyNS0_10empty_typeEEEZZNS1_27merge_sort_block_merge_implIS3_N6thrust23THRUST_200600_302600_NS6detail15normal_iteratorINS9_10device_ptrIyEEEEPS5_jNS1_19radix_merge_compareILb0ELb1EyNS0_19identity_decomposerEEEEE10hipError_tT0_T1_T2_jT3_P12ihipStream_tbPNSt15iterator_traitsISK_E10value_typeEPNSQ_ISL_E10value_typeEPSM_NS1_7vsmem_tEENKUlT_SK_SL_SM_E_clISE_PySF_SF_EESJ_SZ_SK_SL_SM_EUlSZ_E_NS1_11comp_targetILNS1_3genE8ELNS1_11target_archE1030ELNS1_3gpuE2ELNS1_3repE0EEENS1_48merge_mergepath_partition_config_static_selectorELNS0_4arch9wavefront6targetE1EEEvSL_
    .private_segment_fixed_size: 0
    .sgpr_count:     6
    .sgpr_spill_count: 0
    .symbol:         _ZN7rocprim17ROCPRIM_400000_NS6detail17trampoline_kernelINS0_14default_configENS1_38merge_sort_block_merge_config_selectorIyNS0_10empty_typeEEEZZNS1_27merge_sort_block_merge_implIS3_N6thrust23THRUST_200600_302600_NS6detail15normal_iteratorINS9_10device_ptrIyEEEEPS5_jNS1_19radix_merge_compareILb0ELb1EyNS0_19identity_decomposerEEEEE10hipError_tT0_T1_T2_jT3_P12ihipStream_tbPNSt15iterator_traitsISK_E10value_typeEPNSQ_ISL_E10value_typeEPSM_NS1_7vsmem_tEENKUlT_SK_SL_SM_E_clISE_PySF_SF_EESJ_SZ_SK_SL_SM_EUlSZ_E_NS1_11comp_targetILNS1_3genE8ELNS1_11target_archE1030ELNS1_3gpuE2ELNS1_3repE0EEENS1_48merge_mergepath_partition_config_static_selectorELNS0_4arch9wavefront6targetE1EEEvSL_.kd
    .uniform_work_group_size: 1
    .uses_dynamic_stack: false
    .vgpr_count:     0
    .vgpr_spill_count: 0
    .wavefront_size: 64
  - .agpr_count:     0
    .args:
      - .offset:         0
        .size:           72
        .value_kind:     by_value
    .group_segment_fixed_size: 0
    .kernarg_segment_align: 8
    .kernarg_segment_size: 72
    .language:       OpenCL C
    .language_version:
      - 2
      - 0
    .max_flat_workgroup_size: 128
    .name:           _ZN7rocprim17ROCPRIM_400000_NS6detail17trampoline_kernelINS0_14default_configENS1_38merge_sort_block_merge_config_selectorIyNS0_10empty_typeEEEZZNS1_27merge_sort_block_merge_implIS3_N6thrust23THRUST_200600_302600_NS6detail15normal_iteratorINS9_10device_ptrIyEEEEPS5_jNS1_19radix_merge_compareILb0ELb1EyNS0_19identity_decomposerEEEEE10hipError_tT0_T1_T2_jT3_P12ihipStream_tbPNSt15iterator_traitsISK_E10value_typeEPNSQ_ISL_E10value_typeEPSM_NS1_7vsmem_tEENKUlT_SK_SL_SM_E_clISE_PySF_SF_EESJ_SZ_SK_SL_SM_EUlSZ_E0_NS1_11comp_targetILNS1_3genE0ELNS1_11target_archE4294967295ELNS1_3gpuE0ELNS1_3repE0EEENS1_38merge_mergepath_config_static_selectorELNS0_4arch9wavefront6targetE1EEEvSL_
    .private_segment_fixed_size: 0
    .sgpr_count:     6
    .sgpr_spill_count: 0
    .symbol:         _ZN7rocprim17ROCPRIM_400000_NS6detail17trampoline_kernelINS0_14default_configENS1_38merge_sort_block_merge_config_selectorIyNS0_10empty_typeEEEZZNS1_27merge_sort_block_merge_implIS3_N6thrust23THRUST_200600_302600_NS6detail15normal_iteratorINS9_10device_ptrIyEEEEPS5_jNS1_19radix_merge_compareILb0ELb1EyNS0_19identity_decomposerEEEEE10hipError_tT0_T1_T2_jT3_P12ihipStream_tbPNSt15iterator_traitsISK_E10value_typeEPNSQ_ISL_E10value_typeEPSM_NS1_7vsmem_tEENKUlT_SK_SL_SM_E_clISE_PySF_SF_EESJ_SZ_SK_SL_SM_EUlSZ_E0_NS1_11comp_targetILNS1_3genE0ELNS1_11target_archE4294967295ELNS1_3gpuE0ELNS1_3repE0EEENS1_38merge_mergepath_config_static_selectorELNS0_4arch9wavefront6targetE1EEEvSL_.kd
    .uniform_work_group_size: 1
    .uses_dynamic_stack: false
    .vgpr_count:     0
    .vgpr_spill_count: 0
    .wavefront_size: 64
  - .agpr_count:     0
    .args:
      - .offset:         0
        .size:           72
        .value_kind:     by_value
    .group_segment_fixed_size: 0
    .kernarg_segment_align: 8
    .kernarg_segment_size: 72
    .language:       OpenCL C
    .language_version:
      - 2
      - 0
    .max_flat_workgroup_size: 512
    .name:           _ZN7rocprim17ROCPRIM_400000_NS6detail17trampoline_kernelINS0_14default_configENS1_38merge_sort_block_merge_config_selectorIyNS0_10empty_typeEEEZZNS1_27merge_sort_block_merge_implIS3_N6thrust23THRUST_200600_302600_NS6detail15normal_iteratorINS9_10device_ptrIyEEEEPS5_jNS1_19radix_merge_compareILb0ELb1EyNS0_19identity_decomposerEEEEE10hipError_tT0_T1_T2_jT3_P12ihipStream_tbPNSt15iterator_traitsISK_E10value_typeEPNSQ_ISL_E10value_typeEPSM_NS1_7vsmem_tEENKUlT_SK_SL_SM_E_clISE_PySF_SF_EESJ_SZ_SK_SL_SM_EUlSZ_E0_NS1_11comp_targetILNS1_3genE10ELNS1_11target_archE1201ELNS1_3gpuE5ELNS1_3repE0EEENS1_38merge_mergepath_config_static_selectorELNS0_4arch9wavefront6targetE1EEEvSL_
    .private_segment_fixed_size: 0
    .sgpr_count:     6
    .sgpr_spill_count: 0
    .symbol:         _ZN7rocprim17ROCPRIM_400000_NS6detail17trampoline_kernelINS0_14default_configENS1_38merge_sort_block_merge_config_selectorIyNS0_10empty_typeEEEZZNS1_27merge_sort_block_merge_implIS3_N6thrust23THRUST_200600_302600_NS6detail15normal_iteratorINS9_10device_ptrIyEEEEPS5_jNS1_19radix_merge_compareILb0ELb1EyNS0_19identity_decomposerEEEEE10hipError_tT0_T1_T2_jT3_P12ihipStream_tbPNSt15iterator_traitsISK_E10value_typeEPNSQ_ISL_E10value_typeEPSM_NS1_7vsmem_tEENKUlT_SK_SL_SM_E_clISE_PySF_SF_EESJ_SZ_SK_SL_SM_EUlSZ_E0_NS1_11comp_targetILNS1_3genE10ELNS1_11target_archE1201ELNS1_3gpuE5ELNS1_3repE0EEENS1_38merge_mergepath_config_static_selectorELNS0_4arch9wavefront6targetE1EEEvSL_.kd
    .uniform_work_group_size: 1
    .uses_dynamic_stack: false
    .vgpr_count:     0
    .vgpr_spill_count: 0
    .wavefront_size: 64
  - .agpr_count:     0
    .args:
      - .offset:         0
        .size:           72
        .value_kind:     by_value
      - .offset:         72
        .size:           4
        .value_kind:     hidden_block_count_x
      - .offset:         76
        .size:           4
        .value_kind:     hidden_block_count_y
      - .offset:         80
        .size:           4
        .value_kind:     hidden_block_count_z
      - .offset:         84
        .size:           2
        .value_kind:     hidden_group_size_x
      - .offset:         86
        .size:           2
        .value_kind:     hidden_group_size_y
      - .offset:         88
        .size:           2
        .value_kind:     hidden_group_size_z
      - .offset:         90
        .size:           2
        .value_kind:     hidden_remainder_x
      - .offset:         92
        .size:           2
        .value_kind:     hidden_remainder_y
      - .offset:         94
        .size:           2
        .value_kind:     hidden_remainder_z
      - .offset:         112
        .size:           8
        .value_kind:     hidden_global_offset_x
      - .offset:         120
        .size:           8
        .value_kind:     hidden_global_offset_y
      - .offset:         128
        .size:           8
        .value_kind:     hidden_global_offset_z
      - .offset:         136
        .size:           2
        .value_kind:     hidden_grid_dims
    .group_segment_fixed_size: 8448
    .kernarg_segment_align: 8
    .kernarg_segment_size: 328
    .language:       OpenCL C
    .language_version:
      - 2
      - 0
    .max_flat_workgroup_size: 128
    .name:           _ZN7rocprim17ROCPRIM_400000_NS6detail17trampoline_kernelINS0_14default_configENS1_38merge_sort_block_merge_config_selectorIyNS0_10empty_typeEEEZZNS1_27merge_sort_block_merge_implIS3_N6thrust23THRUST_200600_302600_NS6detail15normal_iteratorINS9_10device_ptrIyEEEEPS5_jNS1_19radix_merge_compareILb0ELb1EyNS0_19identity_decomposerEEEEE10hipError_tT0_T1_T2_jT3_P12ihipStream_tbPNSt15iterator_traitsISK_E10value_typeEPNSQ_ISL_E10value_typeEPSM_NS1_7vsmem_tEENKUlT_SK_SL_SM_E_clISE_PySF_SF_EESJ_SZ_SK_SL_SM_EUlSZ_E0_NS1_11comp_targetILNS1_3genE5ELNS1_11target_archE942ELNS1_3gpuE9ELNS1_3repE0EEENS1_38merge_mergepath_config_static_selectorELNS0_4arch9wavefront6targetE1EEEvSL_
    .private_segment_fixed_size: 0
    .sgpr_count:     29
    .sgpr_spill_count: 0
    .symbol:         _ZN7rocprim17ROCPRIM_400000_NS6detail17trampoline_kernelINS0_14default_configENS1_38merge_sort_block_merge_config_selectorIyNS0_10empty_typeEEEZZNS1_27merge_sort_block_merge_implIS3_N6thrust23THRUST_200600_302600_NS6detail15normal_iteratorINS9_10device_ptrIyEEEEPS5_jNS1_19radix_merge_compareILb0ELb1EyNS0_19identity_decomposerEEEEE10hipError_tT0_T1_T2_jT3_P12ihipStream_tbPNSt15iterator_traitsISK_E10value_typeEPNSQ_ISL_E10value_typeEPSM_NS1_7vsmem_tEENKUlT_SK_SL_SM_E_clISE_PySF_SF_EESJ_SZ_SK_SL_SM_EUlSZ_E0_NS1_11comp_targetILNS1_3genE5ELNS1_11target_archE942ELNS1_3gpuE9ELNS1_3repE0EEENS1_38merge_mergepath_config_static_selectorELNS0_4arch9wavefront6targetE1EEEvSL_.kd
    .uniform_work_group_size: 1
    .uses_dynamic_stack: false
    .vgpr_count:     34
    .vgpr_spill_count: 0
    .wavefront_size: 64
  - .agpr_count:     0
    .args:
      - .offset:         0
        .size:           72
        .value_kind:     by_value
    .group_segment_fixed_size: 0
    .kernarg_segment_align: 8
    .kernarg_segment_size: 72
    .language:       OpenCL C
    .language_version:
      - 2
      - 0
    .max_flat_workgroup_size: 256
    .name:           _ZN7rocprim17ROCPRIM_400000_NS6detail17trampoline_kernelINS0_14default_configENS1_38merge_sort_block_merge_config_selectorIyNS0_10empty_typeEEEZZNS1_27merge_sort_block_merge_implIS3_N6thrust23THRUST_200600_302600_NS6detail15normal_iteratorINS9_10device_ptrIyEEEEPS5_jNS1_19radix_merge_compareILb0ELb1EyNS0_19identity_decomposerEEEEE10hipError_tT0_T1_T2_jT3_P12ihipStream_tbPNSt15iterator_traitsISK_E10value_typeEPNSQ_ISL_E10value_typeEPSM_NS1_7vsmem_tEENKUlT_SK_SL_SM_E_clISE_PySF_SF_EESJ_SZ_SK_SL_SM_EUlSZ_E0_NS1_11comp_targetILNS1_3genE4ELNS1_11target_archE910ELNS1_3gpuE8ELNS1_3repE0EEENS1_38merge_mergepath_config_static_selectorELNS0_4arch9wavefront6targetE1EEEvSL_
    .private_segment_fixed_size: 0
    .sgpr_count:     6
    .sgpr_spill_count: 0
    .symbol:         _ZN7rocprim17ROCPRIM_400000_NS6detail17trampoline_kernelINS0_14default_configENS1_38merge_sort_block_merge_config_selectorIyNS0_10empty_typeEEEZZNS1_27merge_sort_block_merge_implIS3_N6thrust23THRUST_200600_302600_NS6detail15normal_iteratorINS9_10device_ptrIyEEEEPS5_jNS1_19radix_merge_compareILb0ELb1EyNS0_19identity_decomposerEEEEE10hipError_tT0_T1_T2_jT3_P12ihipStream_tbPNSt15iterator_traitsISK_E10value_typeEPNSQ_ISL_E10value_typeEPSM_NS1_7vsmem_tEENKUlT_SK_SL_SM_E_clISE_PySF_SF_EESJ_SZ_SK_SL_SM_EUlSZ_E0_NS1_11comp_targetILNS1_3genE4ELNS1_11target_archE910ELNS1_3gpuE8ELNS1_3repE0EEENS1_38merge_mergepath_config_static_selectorELNS0_4arch9wavefront6targetE1EEEvSL_.kd
    .uniform_work_group_size: 1
    .uses_dynamic_stack: false
    .vgpr_count:     0
    .vgpr_spill_count: 0
    .wavefront_size: 64
  - .agpr_count:     0
    .args:
      - .offset:         0
        .size:           72
        .value_kind:     by_value
    .group_segment_fixed_size: 0
    .kernarg_segment_align: 8
    .kernarg_segment_size: 72
    .language:       OpenCL C
    .language_version:
      - 2
      - 0
    .max_flat_workgroup_size: 128
    .name:           _ZN7rocprim17ROCPRIM_400000_NS6detail17trampoline_kernelINS0_14default_configENS1_38merge_sort_block_merge_config_selectorIyNS0_10empty_typeEEEZZNS1_27merge_sort_block_merge_implIS3_N6thrust23THRUST_200600_302600_NS6detail15normal_iteratorINS9_10device_ptrIyEEEEPS5_jNS1_19radix_merge_compareILb0ELb1EyNS0_19identity_decomposerEEEEE10hipError_tT0_T1_T2_jT3_P12ihipStream_tbPNSt15iterator_traitsISK_E10value_typeEPNSQ_ISL_E10value_typeEPSM_NS1_7vsmem_tEENKUlT_SK_SL_SM_E_clISE_PySF_SF_EESJ_SZ_SK_SL_SM_EUlSZ_E0_NS1_11comp_targetILNS1_3genE3ELNS1_11target_archE908ELNS1_3gpuE7ELNS1_3repE0EEENS1_38merge_mergepath_config_static_selectorELNS0_4arch9wavefront6targetE1EEEvSL_
    .private_segment_fixed_size: 0
    .sgpr_count:     6
    .sgpr_spill_count: 0
    .symbol:         _ZN7rocprim17ROCPRIM_400000_NS6detail17trampoline_kernelINS0_14default_configENS1_38merge_sort_block_merge_config_selectorIyNS0_10empty_typeEEEZZNS1_27merge_sort_block_merge_implIS3_N6thrust23THRUST_200600_302600_NS6detail15normal_iteratorINS9_10device_ptrIyEEEEPS5_jNS1_19radix_merge_compareILb0ELb1EyNS0_19identity_decomposerEEEEE10hipError_tT0_T1_T2_jT3_P12ihipStream_tbPNSt15iterator_traitsISK_E10value_typeEPNSQ_ISL_E10value_typeEPSM_NS1_7vsmem_tEENKUlT_SK_SL_SM_E_clISE_PySF_SF_EESJ_SZ_SK_SL_SM_EUlSZ_E0_NS1_11comp_targetILNS1_3genE3ELNS1_11target_archE908ELNS1_3gpuE7ELNS1_3repE0EEENS1_38merge_mergepath_config_static_selectorELNS0_4arch9wavefront6targetE1EEEvSL_.kd
    .uniform_work_group_size: 1
    .uses_dynamic_stack: false
    .vgpr_count:     0
    .vgpr_spill_count: 0
    .wavefront_size: 64
  - .agpr_count:     0
    .args:
      - .offset:         0
        .size:           72
        .value_kind:     by_value
    .group_segment_fixed_size: 0
    .kernarg_segment_align: 8
    .kernarg_segment_size: 72
    .language:       OpenCL C
    .language_version:
      - 2
      - 0
    .max_flat_workgroup_size: 256
    .name:           _ZN7rocprim17ROCPRIM_400000_NS6detail17trampoline_kernelINS0_14default_configENS1_38merge_sort_block_merge_config_selectorIyNS0_10empty_typeEEEZZNS1_27merge_sort_block_merge_implIS3_N6thrust23THRUST_200600_302600_NS6detail15normal_iteratorINS9_10device_ptrIyEEEEPS5_jNS1_19radix_merge_compareILb0ELb1EyNS0_19identity_decomposerEEEEE10hipError_tT0_T1_T2_jT3_P12ihipStream_tbPNSt15iterator_traitsISK_E10value_typeEPNSQ_ISL_E10value_typeEPSM_NS1_7vsmem_tEENKUlT_SK_SL_SM_E_clISE_PySF_SF_EESJ_SZ_SK_SL_SM_EUlSZ_E0_NS1_11comp_targetILNS1_3genE2ELNS1_11target_archE906ELNS1_3gpuE6ELNS1_3repE0EEENS1_38merge_mergepath_config_static_selectorELNS0_4arch9wavefront6targetE1EEEvSL_
    .private_segment_fixed_size: 0
    .sgpr_count:     6
    .sgpr_spill_count: 0
    .symbol:         _ZN7rocprim17ROCPRIM_400000_NS6detail17trampoline_kernelINS0_14default_configENS1_38merge_sort_block_merge_config_selectorIyNS0_10empty_typeEEEZZNS1_27merge_sort_block_merge_implIS3_N6thrust23THRUST_200600_302600_NS6detail15normal_iteratorINS9_10device_ptrIyEEEEPS5_jNS1_19radix_merge_compareILb0ELb1EyNS0_19identity_decomposerEEEEE10hipError_tT0_T1_T2_jT3_P12ihipStream_tbPNSt15iterator_traitsISK_E10value_typeEPNSQ_ISL_E10value_typeEPSM_NS1_7vsmem_tEENKUlT_SK_SL_SM_E_clISE_PySF_SF_EESJ_SZ_SK_SL_SM_EUlSZ_E0_NS1_11comp_targetILNS1_3genE2ELNS1_11target_archE906ELNS1_3gpuE6ELNS1_3repE0EEENS1_38merge_mergepath_config_static_selectorELNS0_4arch9wavefront6targetE1EEEvSL_.kd
    .uniform_work_group_size: 1
    .uses_dynamic_stack: false
    .vgpr_count:     0
    .vgpr_spill_count: 0
    .wavefront_size: 64
  - .agpr_count:     0
    .args:
      - .offset:         0
        .size:           72
        .value_kind:     by_value
    .group_segment_fixed_size: 0
    .kernarg_segment_align: 8
    .kernarg_segment_size: 72
    .language:       OpenCL C
    .language_version:
      - 2
      - 0
    .max_flat_workgroup_size: 512
    .name:           _ZN7rocprim17ROCPRIM_400000_NS6detail17trampoline_kernelINS0_14default_configENS1_38merge_sort_block_merge_config_selectorIyNS0_10empty_typeEEEZZNS1_27merge_sort_block_merge_implIS3_N6thrust23THRUST_200600_302600_NS6detail15normal_iteratorINS9_10device_ptrIyEEEEPS5_jNS1_19radix_merge_compareILb0ELb1EyNS0_19identity_decomposerEEEEE10hipError_tT0_T1_T2_jT3_P12ihipStream_tbPNSt15iterator_traitsISK_E10value_typeEPNSQ_ISL_E10value_typeEPSM_NS1_7vsmem_tEENKUlT_SK_SL_SM_E_clISE_PySF_SF_EESJ_SZ_SK_SL_SM_EUlSZ_E0_NS1_11comp_targetILNS1_3genE9ELNS1_11target_archE1100ELNS1_3gpuE3ELNS1_3repE0EEENS1_38merge_mergepath_config_static_selectorELNS0_4arch9wavefront6targetE1EEEvSL_
    .private_segment_fixed_size: 0
    .sgpr_count:     6
    .sgpr_spill_count: 0
    .symbol:         _ZN7rocprim17ROCPRIM_400000_NS6detail17trampoline_kernelINS0_14default_configENS1_38merge_sort_block_merge_config_selectorIyNS0_10empty_typeEEEZZNS1_27merge_sort_block_merge_implIS3_N6thrust23THRUST_200600_302600_NS6detail15normal_iteratorINS9_10device_ptrIyEEEEPS5_jNS1_19radix_merge_compareILb0ELb1EyNS0_19identity_decomposerEEEEE10hipError_tT0_T1_T2_jT3_P12ihipStream_tbPNSt15iterator_traitsISK_E10value_typeEPNSQ_ISL_E10value_typeEPSM_NS1_7vsmem_tEENKUlT_SK_SL_SM_E_clISE_PySF_SF_EESJ_SZ_SK_SL_SM_EUlSZ_E0_NS1_11comp_targetILNS1_3genE9ELNS1_11target_archE1100ELNS1_3gpuE3ELNS1_3repE0EEENS1_38merge_mergepath_config_static_selectorELNS0_4arch9wavefront6targetE1EEEvSL_.kd
    .uniform_work_group_size: 1
    .uses_dynamic_stack: false
    .vgpr_count:     0
    .vgpr_spill_count: 0
    .wavefront_size: 64
  - .agpr_count:     0
    .args:
      - .offset:         0
        .size:           72
        .value_kind:     by_value
    .group_segment_fixed_size: 0
    .kernarg_segment_align: 8
    .kernarg_segment_size: 72
    .language:       OpenCL C
    .language_version:
      - 2
      - 0
    .max_flat_workgroup_size: 1024
    .name:           _ZN7rocprim17ROCPRIM_400000_NS6detail17trampoline_kernelINS0_14default_configENS1_38merge_sort_block_merge_config_selectorIyNS0_10empty_typeEEEZZNS1_27merge_sort_block_merge_implIS3_N6thrust23THRUST_200600_302600_NS6detail15normal_iteratorINS9_10device_ptrIyEEEEPS5_jNS1_19radix_merge_compareILb0ELb1EyNS0_19identity_decomposerEEEEE10hipError_tT0_T1_T2_jT3_P12ihipStream_tbPNSt15iterator_traitsISK_E10value_typeEPNSQ_ISL_E10value_typeEPSM_NS1_7vsmem_tEENKUlT_SK_SL_SM_E_clISE_PySF_SF_EESJ_SZ_SK_SL_SM_EUlSZ_E0_NS1_11comp_targetILNS1_3genE8ELNS1_11target_archE1030ELNS1_3gpuE2ELNS1_3repE0EEENS1_38merge_mergepath_config_static_selectorELNS0_4arch9wavefront6targetE1EEEvSL_
    .private_segment_fixed_size: 0
    .sgpr_count:     6
    .sgpr_spill_count: 0
    .symbol:         _ZN7rocprim17ROCPRIM_400000_NS6detail17trampoline_kernelINS0_14default_configENS1_38merge_sort_block_merge_config_selectorIyNS0_10empty_typeEEEZZNS1_27merge_sort_block_merge_implIS3_N6thrust23THRUST_200600_302600_NS6detail15normal_iteratorINS9_10device_ptrIyEEEEPS5_jNS1_19radix_merge_compareILb0ELb1EyNS0_19identity_decomposerEEEEE10hipError_tT0_T1_T2_jT3_P12ihipStream_tbPNSt15iterator_traitsISK_E10value_typeEPNSQ_ISL_E10value_typeEPSM_NS1_7vsmem_tEENKUlT_SK_SL_SM_E_clISE_PySF_SF_EESJ_SZ_SK_SL_SM_EUlSZ_E0_NS1_11comp_targetILNS1_3genE8ELNS1_11target_archE1030ELNS1_3gpuE2ELNS1_3repE0EEENS1_38merge_mergepath_config_static_selectorELNS0_4arch9wavefront6targetE1EEEvSL_.kd
    .uniform_work_group_size: 1
    .uses_dynamic_stack: false
    .vgpr_count:     0
    .vgpr_spill_count: 0
    .wavefront_size: 64
  - .agpr_count:     0
    .args:
      - .offset:         0
        .size:           48
        .value_kind:     by_value
    .group_segment_fixed_size: 0
    .kernarg_segment_align: 8
    .kernarg_segment_size: 48
    .language:       OpenCL C
    .language_version:
      - 2
      - 0
    .max_flat_workgroup_size: 256
    .name:           _ZN7rocprim17ROCPRIM_400000_NS6detail17trampoline_kernelINS0_14default_configENS1_38merge_sort_block_merge_config_selectorIyNS0_10empty_typeEEEZZNS1_27merge_sort_block_merge_implIS3_N6thrust23THRUST_200600_302600_NS6detail15normal_iteratorINS9_10device_ptrIyEEEEPS5_jNS1_19radix_merge_compareILb0ELb1EyNS0_19identity_decomposerEEEEE10hipError_tT0_T1_T2_jT3_P12ihipStream_tbPNSt15iterator_traitsISK_E10value_typeEPNSQ_ISL_E10value_typeEPSM_NS1_7vsmem_tEENKUlT_SK_SL_SM_E_clISE_PySF_SF_EESJ_SZ_SK_SL_SM_EUlSZ_E1_NS1_11comp_targetILNS1_3genE0ELNS1_11target_archE4294967295ELNS1_3gpuE0ELNS1_3repE0EEENS1_36merge_oddeven_config_static_selectorELNS0_4arch9wavefront6targetE1EEEvSL_
    .private_segment_fixed_size: 0
    .sgpr_count:     6
    .sgpr_spill_count: 0
    .symbol:         _ZN7rocprim17ROCPRIM_400000_NS6detail17trampoline_kernelINS0_14default_configENS1_38merge_sort_block_merge_config_selectorIyNS0_10empty_typeEEEZZNS1_27merge_sort_block_merge_implIS3_N6thrust23THRUST_200600_302600_NS6detail15normal_iteratorINS9_10device_ptrIyEEEEPS5_jNS1_19radix_merge_compareILb0ELb1EyNS0_19identity_decomposerEEEEE10hipError_tT0_T1_T2_jT3_P12ihipStream_tbPNSt15iterator_traitsISK_E10value_typeEPNSQ_ISL_E10value_typeEPSM_NS1_7vsmem_tEENKUlT_SK_SL_SM_E_clISE_PySF_SF_EESJ_SZ_SK_SL_SM_EUlSZ_E1_NS1_11comp_targetILNS1_3genE0ELNS1_11target_archE4294967295ELNS1_3gpuE0ELNS1_3repE0EEENS1_36merge_oddeven_config_static_selectorELNS0_4arch9wavefront6targetE1EEEvSL_.kd
    .uniform_work_group_size: 1
    .uses_dynamic_stack: false
    .vgpr_count:     0
    .vgpr_spill_count: 0
    .wavefront_size: 64
  - .agpr_count:     0
    .args:
      - .offset:         0
        .size:           48
        .value_kind:     by_value
    .group_segment_fixed_size: 0
    .kernarg_segment_align: 8
    .kernarg_segment_size: 48
    .language:       OpenCL C
    .language_version:
      - 2
      - 0
    .max_flat_workgroup_size: 256
    .name:           _ZN7rocprim17ROCPRIM_400000_NS6detail17trampoline_kernelINS0_14default_configENS1_38merge_sort_block_merge_config_selectorIyNS0_10empty_typeEEEZZNS1_27merge_sort_block_merge_implIS3_N6thrust23THRUST_200600_302600_NS6detail15normal_iteratorINS9_10device_ptrIyEEEEPS5_jNS1_19radix_merge_compareILb0ELb1EyNS0_19identity_decomposerEEEEE10hipError_tT0_T1_T2_jT3_P12ihipStream_tbPNSt15iterator_traitsISK_E10value_typeEPNSQ_ISL_E10value_typeEPSM_NS1_7vsmem_tEENKUlT_SK_SL_SM_E_clISE_PySF_SF_EESJ_SZ_SK_SL_SM_EUlSZ_E1_NS1_11comp_targetILNS1_3genE10ELNS1_11target_archE1201ELNS1_3gpuE5ELNS1_3repE0EEENS1_36merge_oddeven_config_static_selectorELNS0_4arch9wavefront6targetE1EEEvSL_
    .private_segment_fixed_size: 0
    .sgpr_count:     6
    .sgpr_spill_count: 0
    .symbol:         _ZN7rocprim17ROCPRIM_400000_NS6detail17trampoline_kernelINS0_14default_configENS1_38merge_sort_block_merge_config_selectorIyNS0_10empty_typeEEEZZNS1_27merge_sort_block_merge_implIS3_N6thrust23THRUST_200600_302600_NS6detail15normal_iteratorINS9_10device_ptrIyEEEEPS5_jNS1_19radix_merge_compareILb0ELb1EyNS0_19identity_decomposerEEEEE10hipError_tT0_T1_T2_jT3_P12ihipStream_tbPNSt15iterator_traitsISK_E10value_typeEPNSQ_ISL_E10value_typeEPSM_NS1_7vsmem_tEENKUlT_SK_SL_SM_E_clISE_PySF_SF_EESJ_SZ_SK_SL_SM_EUlSZ_E1_NS1_11comp_targetILNS1_3genE10ELNS1_11target_archE1201ELNS1_3gpuE5ELNS1_3repE0EEENS1_36merge_oddeven_config_static_selectorELNS0_4arch9wavefront6targetE1EEEvSL_.kd
    .uniform_work_group_size: 1
    .uses_dynamic_stack: false
    .vgpr_count:     0
    .vgpr_spill_count: 0
    .wavefront_size: 64
  - .agpr_count:     0
    .args:
      - .offset:         0
        .size:           48
        .value_kind:     by_value
    .group_segment_fixed_size: 0
    .kernarg_segment_align: 8
    .kernarg_segment_size: 48
    .language:       OpenCL C
    .language_version:
      - 2
      - 0
    .max_flat_workgroup_size: 256
    .name:           _ZN7rocprim17ROCPRIM_400000_NS6detail17trampoline_kernelINS0_14default_configENS1_38merge_sort_block_merge_config_selectorIyNS0_10empty_typeEEEZZNS1_27merge_sort_block_merge_implIS3_N6thrust23THRUST_200600_302600_NS6detail15normal_iteratorINS9_10device_ptrIyEEEEPS5_jNS1_19radix_merge_compareILb0ELb1EyNS0_19identity_decomposerEEEEE10hipError_tT0_T1_T2_jT3_P12ihipStream_tbPNSt15iterator_traitsISK_E10value_typeEPNSQ_ISL_E10value_typeEPSM_NS1_7vsmem_tEENKUlT_SK_SL_SM_E_clISE_PySF_SF_EESJ_SZ_SK_SL_SM_EUlSZ_E1_NS1_11comp_targetILNS1_3genE5ELNS1_11target_archE942ELNS1_3gpuE9ELNS1_3repE0EEENS1_36merge_oddeven_config_static_selectorELNS0_4arch9wavefront6targetE1EEEvSL_
    .private_segment_fixed_size: 0
    .sgpr_count:     27
    .sgpr_spill_count: 0
    .symbol:         _ZN7rocprim17ROCPRIM_400000_NS6detail17trampoline_kernelINS0_14default_configENS1_38merge_sort_block_merge_config_selectorIyNS0_10empty_typeEEEZZNS1_27merge_sort_block_merge_implIS3_N6thrust23THRUST_200600_302600_NS6detail15normal_iteratorINS9_10device_ptrIyEEEEPS5_jNS1_19radix_merge_compareILb0ELb1EyNS0_19identity_decomposerEEEEE10hipError_tT0_T1_T2_jT3_P12ihipStream_tbPNSt15iterator_traitsISK_E10value_typeEPNSQ_ISL_E10value_typeEPSM_NS1_7vsmem_tEENKUlT_SK_SL_SM_E_clISE_PySF_SF_EESJ_SZ_SK_SL_SM_EUlSZ_E1_NS1_11comp_targetILNS1_3genE5ELNS1_11target_archE942ELNS1_3gpuE9ELNS1_3repE0EEENS1_36merge_oddeven_config_static_selectorELNS0_4arch9wavefront6targetE1EEEvSL_.kd
    .uniform_work_group_size: 1
    .uses_dynamic_stack: false
    .vgpr_count:     13
    .vgpr_spill_count: 0
    .wavefront_size: 64
  - .agpr_count:     0
    .args:
      - .offset:         0
        .size:           48
        .value_kind:     by_value
    .group_segment_fixed_size: 0
    .kernarg_segment_align: 8
    .kernarg_segment_size: 48
    .language:       OpenCL C
    .language_version:
      - 2
      - 0
    .max_flat_workgroup_size: 256
    .name:           _ZN7rocprim17ROCPRIM_400000_NS6detail17trampoline_kernelINS0_14default_configENS1_38merge_sort_block_merge_config_selectorIyNS0_10empty_typeEEEZZNS1_27merge_sort_block_merge_implIS3_N6thrust23THRUST_200600_302600_NS6detail15normal_iteratorINS9_10device_ptrIyEEEEPS5_jNS1_19radix_merge_compareILb0ELb1EyNS0_19identity_decomposerEEEEE10hipError_tT0_T1_T2_jT3_P12ihipStream_tbPNSt15iterator_traitsISK_E10value_typeEPNSQ_ISL_E10value_typeEPSM_NS1_7vsmem_tEENKUlT_SK_SL_SM_E_clISE_PySF_SF_EESJ_SZ_SK_SL_SM_EUlSZ_E1_NS1_11comp_targetILNS1_3genE4ELNS1_11target_archE910ELNS1_3gpuE8ELNS1_3repE0EEENS1_36merge_oddeven_config_static_selectorELNS0_4arch9wavefront6targetE1EEEvSL_
    .private_segment_fixed_size: 0
    .sgpr_count:     6
    .sgpr_spill_count: 0
    .symbol:         _ZN7rocprim17ROCPRIM_400000_NS6detail17trampoline_kernelINS0_14default_configENS1_38merge_sort_block_merge_config_selectorIyNS0_10empty_typeEEEZZNS1_27merge_sort_block_merge_implIS3_N6thrust23THRUST_200600_302600_NS6detail15normal_iteratorINS9_10device_ptrIyEEEEPS5_jNS1_19radix_merge_compareILb0ELb1EyNS0_19identity_decomposerEEEEE10hipError_tT0_T1_T2_jT3_P12ihipStream_tbPNSt15iterator_traitsISK_E10value_typeEPNSQ_ISL_E10value_typeEPSM_NS1_7vsmem_tEENKUlT_SK_SL_SM_E_clISE_PySF_SF_EESJ_SZ_SK_SL_SM_EUlSZ_E1_NS1_11comp_targetILNS1_3genE4ELNS1_11target_archE910ELNS1_3gpuE8ELNS1_3repE0EEENS1_36merge_oddeven_config_static_selectorELNS0_4arch9wavefront6targetE1EEEvSL_.kd
    .uniform_work_group_size: 1
    .uses_dynamic_stack: false
    .vgpr_count:     0
    .vgpr_spill_count: 0
    .wavefront_size: 64
  - .agpr_count:     0
    .args:
      - .offset:         0
        .size:           48
        .value_kind:     by_value
    .group_segment_fixed_size: 0
    .kernarg_segment_align: 8
    .kernarg_segment_size: 48
    .language:       OpenCL C
    .language_version:
      - 2
      - 0
    .max_flat_workgroup_size: 256
    .name:           _ZN7rocprim17ROCPRIM_400000_NS6detail17trampoline_kernelINS0_14default_configENS1_38merge_sort_block_merge_config_selectorIyNS0_10empty_typeEEEZZNS1_27merge_sort_block_merge_implIS3_N6thrust23THRUST_200600_302600_NS6detail15normal_iteratorINS9_10device_ptrIyEEEEPS5_jNS1_19radix_merge_compareILb0ELb1EyNS0_19identity_decomposerEEEEE10hipError_tT0_T1_T2_jT3_P12ihipStream_tbPNSt15iterator_traitsISK_E10value_typeEPNSQ_ISL_E10value_typeEPSM_NS1_7vsmem_tEENKUlT_SK_SL_SM_E_clISE_PySF_SF_EESJ_SZ_SK_SL_SM_EUlSZ_E1_NS1_11comp_targetILNS1_3genE3ELNS1_11target_archE908ELNS1_3gpuE7ELNS1_3repE0EEENS1_36merge_oddeven_config_static_selectorELNS0_4arch9wavefront6targetE1EEEvSL_
    .private_segment_fixed_size: 0
    .sgpr_count:     6
    .sgpr_spill_count: 0
    .symbol:         _ZN7rocprim17ROCPRIM_400000_NS6detail17trampoline_kernelINS0_14default_configENS1_38merge_sort_block_merge_config_selectorIyNS0_10empty_typeEEEZZNS1_27merge_sort_block_merge_implIS3_N6thrust23THRUST_200600_302600_NS6detail15normal_iteratorINS9_10device_ptrIyEEEEPS5_jNS1_19radix_merge_compareILb0ELb1EyNS0_19identity_decomposerEEEEE10hipError_tT0_T1_T2_jT3_P12ihipStream_tbPNSt15iterator_traitsISK_E10value_typeEPNSQ_ISL_E10value_typeEPSM_NS1_7vsmem_tEENKUlT_SK_SL_SM_E_clISE_PySF_SF_EESJ_SZ_SK_SL_SM_EUlSZ_E1_NS1_11comp_targetILNS1_3genE3ELNS1_11target_archE908ELNS1_3gpuE7ELNS1_3repE0EEENS1_36merge_oddeven_config_static_selectorELNS0_4arch9wavefront6targetE1EEEvSL_.kd
    .uniform_work_group_size: 1
    .uses_dynamic_stack: false
    .vgpr_count:     0
    .vgpr_spill_count: 0
    .wavefront_size: 64
  - .agpr_count:     0
    .args:
      - .offset:         0
        .size:           48
        .value_kind:     by_value
    .group_segment_fixed_size: 0
    .kernarg_segment_align: 8
    .kernarg_segment_size: 48
    .language:       OpenCL C
    .language_version:
      - 2
      - 0
    .max_flat_workgroup_size: 256
    .name:           _ZN7rocprim17ROCPRIM_400000_NS6detail17trampoline_kernelINS0_14default_configENS1_38merge_sort_block_merge_config_selectorIyNS0_10empty_typeEEEZZNS1_27merge_sort_block_merge_implIS3_N6thrust23THRUST_200600_302600_NS6detail15normal_iteratorINS9_10device_ptrIyEEEEPS5_jNS1_19radix_merge_compareILb0ELb1EyNS0_19identity_decomposerEEEEE10hipError_tT0_T1_T2_jT3_P12ihipStream_tbPNSt15iterator_traitsISK_E10value_typeEPNSQ_ISL_E10value_typeEPSM_NS1_7vsmem_tEENKUlT_SK_SL_SM_E_clISE_PySF_SF_EESJ_SZ_SK_SL_SM_EUlSZ_E1_NS1_11comp_targetILNS1_3genE2ELNS1_11target_archE906ELNS1_3gpuE6ELNS1_3repE0EEENS1_36merge_oddeven_config_static_selectorELNS0_4arch9wavefront6targetE1EEEvSL_
    .private_segment_fixed_size: 0
    .sgpr_count:     6
    .sgpr_spill_count: 0
    .symbol:         _ZN7rocprim17ROCPRIM_400000_NS6detail17trampoline_kernelINS0_14default_configENS1_38merge_sort_block_merge_config_selectorIyNS0_10empty_typeEEEZZNS1_27merge_sort_block_merge_implIS3_N6thrust23THRUST_200600_302600_NS6detail15normal_iteratorINS9_10device_ptrIyEEEEPS5_jNS1_19radix_merge_compareILb0ELb1EyNS0_19identity_decomposerEEEEE10hipError_tT0_T1_T2_jT3_P12ihipStream_tbPNSt15iterator_traitsISK_E10value_typeEPNSQ_ISL_E10value_typeEPSM_NS1_7vsmem_tEENKUlT_SK_SL_SM_E_clISE_PySF_SF_EESJ_SZ_SK_SL_SM_EUlSZ_E1_NS1_11comp_targetILNS1_3genE2ELNS1_11target_archE906ELNS1_3gpuE6ELNS1_3repE0EEENS1_36merge_oddeven_config_static_selectorELNS0_4arch9wavefront6targetE1EEEvSL_.kd
    .uniform_work_group_size: 1
    .uses_dynamic_stack: false
    .vgpr_count:     0
    .vgpr_spill_count: 0
    .wavefront_size: 64
  - .agpr_count:     0
    .args:
      - .offset:         0
        .size:           48
        .value_kind:     by_value
    .group_segment_fixed_size: 0
    .kernarg_segment_align: 8
    .kernarg_segment_size: 48
    .language:       OpenCL C
    .language_version:
      - 2
      - 0
    .max_flat_workgroup_size: 256
    .name:           _ZN7rocprim17ROCPRIM_400000_NS6detail17trampoline_kernelINS0_14default_configENS1_38merge_sort_block_merge_config_selectorIyNS0_10empty_typeEEEZZNS1_27merge_sort_block_merge_implIS3_N6thrust23THRUST_200600_302600_NS6detail15normal_iteratorINS9_10device_ptrIyEEEEPS5_jNS1_19radix_merge_compareILb0ELb1EyNS0_19identity_decomposerEEEEE10hipError_tT0_T1_T2_jT3_P12ihipStream_tbPNSt15iterator_traitsISK_E10value_typeEPNSQ_ISL_E10value_typeEPSM_NS1_7vsmem_tEENKUlT_SK_SL_SM_E_clISE_PySF_SF_EESJ_SZ_SK_SL_SM_EUlSZ_E1_NS1_11comp_targetILNS1_3genE9ELNS1_11target_archE1100ELNS1_3gpuE3ELNS1_3repE0EEENS1_36merge_oddeven_config_static_selectorELNS0_4arch9wavefront6targetE1EEEvSL_
    .private_segment_fixed_size: 0
    .sgpr_count:     6
    .sgpr_spill_count: 0
    .symbol:         _ZN7rocprim17ROCPRIM_400000_NS6detail17trampoline_kernelINS0_14default_configENS1_38merge_sort_block_merge_config_selectorIyNS0_10empty_typeEEEZZNS1_27merge_sort_block_merge_implIS3_N6thrust23THRUST_200600_302600_NS6detail15normal_iteratorINS9_10device_ptrIyEEEEPS5_jNS1_19radix_merge_compareILb0ELb1EyNS0_19identity_decomposerEEEEE10hipError_tT0_T1_T2_jT3_P12ihipStream_tbPNSt15iterator_traitsISK_E10value_typeEPNSQ_ISL_E10value_typeEPSM_NS1_7vsmem_tEENKUlT_SK_SL_SM_E_clISE_PySF_SF_EESJ_SZ_SK_SL_SM_EUlSZ_E1_NS1_11comp_targetILNS1_3genE9ELNS1_11target_archE1100ELNS1_3gpuE3ELNS1_3repE0EEENS1_36merge_oddeven_config_static_selectorELNS0_4arch9wavefront6targetE1EEEvSL_.kd
    .uniform_work_group_size: 1
    .uses_dynamic_stack: false
    .vgpr_count:     0
    .vgpr_spill_count: 0
    .wavefront_size: 64
  - .agpr_count:     0
    .args:
      - .offset:         0
        .size:           48
        .value_kind:     by_value
    .group_segment_fixed_size: 0
    .kernarg_segment_align: 8
    .kernarg_segment_size: 48
    .language:       OpenCL C
    .language_version:
      - 2
      - 0
    .max_flat_workgroup_size: 256
    .name:           _ZN7rocprim17ROCPRIM_400000_NS6detail17trampoline_kernelINS0_14default_configENS1_38merge_sort_block_merge_config_selectorIyNS0_10empty_typeEEEZZNS1_27merge_sort_block_merge_implIS3_N6thrust23THRUST_200600_302600_NS6detail15normal_iteratorINS9_10device_ptrIyEEEEPS5_jNS1_19radix_merge_compareILb0ELb1EyNS0_19identity_decomposerEEEEE10hipError_tT0_T1_T2_jT3_P12ihipStream_tbPNSt15iterator_traitsISK_E10value_typeEPNSQ_ISL_E10value_typeEPSM_NS1_7vsmem_tEENKUlT_SK_SL_SM_E_clISE_PySF_SF_EESJ_SZ_SK_SL_SM_EUlSZ_E1_NS1_11comp_targetILNS1_3genE8ELNS1_11target_archE1030ELNS1_3gpuE2ELNS1_3repE0EEENS1_36merge_oddeven_config_static_selectorELNS0_4arch9wavefront6targetE1EEEvSL_
    .private_segment_fixed_size: 0
    .sgpr_count:     6
    .sgpr_spill_count: 0
    .symbol:         _ZN7rocprim17ROCPRIM_400000_NS6detail17trampoline_kernelINS0_14default_configENS1_38merge_sort_block_merge_config_selectorIyNS0_10empty_typeEEEZZNS1_27merge_sort_block_merge_implIS3_N6thrust23THRUST_200600_302600_NS6detail15normal_iteratorINS9_10device_ptrIyEEEEPS5_jNS1_19radix_merge_compareILb0ELb1EyNS0_19identity_decomposerEEEEE10hipError_tT0_T1_T2_jT3_P12ihipStream_tbPNSt15iterator_traitsISK_E10value_typeEPNSQ_ISL_E10value_typeEPSM_NS1_7vsmem_tEENKUlT_SK_SL_SM_E_clISE_PySF_SF_EESJ_SZ_SK_SL_SM_EUlSZ_E1_NS1_11comp_targetILNS1_3genE8ELNS1_11target_archE1030ELNS1_3gpuE2ELNS1_3repE0EEENS1_36merge_oddeven_config_static_selectorELNS0_4arch9wavefront6targetE1EEEvSL_.kd
    .uniform_work_group_size: 1
    .uses_dynamic_stack: false
    .vgpr_count:     0
    .vgpr_spill_count: 0
    .wavefront_size: 64
  - .agpr_count:     0
    .args:
      - .offset:         0
        .size:           40
        .value_kind:     by_value
    .group_segment_fixed_size: 0
    .kernarg_segment_align: 8
    .kernarg_segment_size: 40
    .language:       OpenCL C
    .language_version:
      - 2
      - 0
    .max_flat_workgroup_size: 512
    .name:           _ZN7rocprim17ROCPRIM_400000_NS6detail17trampoline_kernelINS0_14default_configENS1_35radix_sort_onesweep_config_selectorIyNS0_10empty_typeEEEZNS1_34radix_sort_onesweep_global_offsetsIS3_Lb0EN6thrust23THRUST_200600_302600_NS6detail15normal_iteratorINS9_10device_ptrIyEEEEPS5_jNS0_19identity_decomposerEEE10hipError_tT1_T2_PT3_SK_jT4_jjP12ihipStream_tbEUlT_E_NS1_11comp_targetILNS1_3genE0ELNS1_11target_archE4294967295ELNS1_3gpuE0ELNS1_3repE0EEENS1_52radix_sort_onesweep_histogram_config_static_selectorELNS0_4arch9wavefront6targetE1EEEvSI_
    .private_segment_fixed_size: 0
    .sgpr_count:     6
    .sgpr_spill_count: 0
    .symbol:         _ZN7rocprim17ROCPRIM_400000_NS6detail17trampoline_kernelINS0_14default_configENS1_35radix_sort_onesweep_config_selectorIyNS0_10empty_typeEEEZNS1_34radix_sort_onesweep_global_offsetsIS3_Lb0EN6thrust23THRUST_200600_302600_NS6detail15normal_iteratorINS9_10device_ptrIyEEEEPS5_jNS0_19identity_decomposerEEE10hipError_tT1_T2_PT3_SK_jT4_jjP12ihipStream_tbEUlT_E_NS1_11comp_targetILNS1_3genE0ELNS1_11target_archE4294967295ELNS1_3gpuE0ELNS1_3repE0EEENS1_52radix_sort_onesweep_histogram_config_static_selectorELNS0_4arch9wavefront6targetE1EEEvSI_.kd
    .uniform_work_group_size: 1
    .uses_dynamic_stack: false
    .vgpr_count:     0
    .vgpr_spill_count: 0
    .wavefront_size: 64
  - .agpr_count:     0
    .args:
      - .offset:         0
        .size:           40
        .value_kind:     by_value
    .group_segment_fixed_size: 0
    .kernarg_segment_align: 8
    .kernarg_segment_size: 40
    .language:       OpenCL C
    .language_version:
      - 2
      - 0
    .max_flat_workgroup_size: 512
    .name:           _ZN7rocprim17ROCPRIM_400000_NS6detail17trampoline_kernelINS0_14default_configENS1_35radix_sort_onesweep_config_selectorIyNS0_10empty_typeEEEZNS1_34radix_sort_onesweep_global_offsetsIS3_Lb0EN6thrust23THRUST_200600_302600_NS6detail15normal_iteratorINS9_10device_ptrIyEEEEPS5_jNS0_19identity_decomposerEEE10hipError_tT1_T2_PT3_SK_jT4_jjP12ihipStream_tbEUlT_E_NS1_11comp_targetILNS1_3genE6ELNS1_11target_archE950ELNS1_3gpuE13ELNS1_3repE0EEENS1_52radix_sort_onesweep_histogram_config_static_selectorELNS0_4arch9wavefront6targetE1EEEvSI_
    .private_segment_fixed_size: 0
    .sgpr_count:     6
    .sgpr_spill_count: 0
    .symbol:         _ZN7rocprim17ROCPRIM_400000_NS6detail17trampoline_kernelINS0_14default_configENS1_35radix_sort_onesweep_config_selectorIyNS0_10empty_typeEEEZNS1_34radix_sort_onesweep_global_offsetsIS3_Lb0EN6thrust23THRUST_200600_302600_NS6detail15normal_iteratorINS9_10device_ptrIyEEEEPS5_jNS0_19identity_decomposerEEE10hipError_tT1_T2_PT3_SK_jT4_jjP12ihipStream_tbEUlT_E_NS1_11comp_targetILNS1_3genE6ELNS1_11target_archE950ELNS1_3gpuE13ELNS1_3repE0EEENS1_52radix_sort_onesweep_histogram_config_static_selectorELNS0_4arch9wavefront6targetE1EEEvSI_.kd
    .uniform_work_group_size: 1
    .uses_dynamic_stack: false
    .vgpr_count:     0
    .vgpr_spill_count: 0
    .wavefront_size: 64
  - .agpr_count:     0
    .args:
      - .offset:         0
        .size:           40
        .value_kind:     by_value
    .group_segment_fixed_size: 32768
    .kernarg_segment_align: 8
    .kernarg_segment_size: 40
    .language:       OpenCL C
    .language_version:
      - 2
      - 0
    .max_flat_workgroup_size: 512
    .name:           _ZN7rocprim17ROCPRIM_400000_NS6detail17trampoline_kernelINS0_14default_configENS1_35radix_sort_onesweep_config_selectorIyNS0_10empty_typeEEEZNS1_34radix_sort_onesweep_global_offsetsIS3_Lb0EN6thrust23THRUST_200600_302600_NS6detail15normal_iteratorINS9_10device_ptrIyEEEEPS5_jNS0_19identity_decomposerEEE10hipError_tT1_T2_PT3_SK_jT4_jjP12ihipStream_tbEUlT_E_NS1_11comp_targetILNS1_3genE5ELNS1_11target_archE942ELNS1_3gpuE9ELNS1_3repE0EEENS1_52radix_sort_onesweep_histogram_config_static_selectorELNS0_4arch9wavefront6targetE1EEEvSI_
    .private_segment_fixed_size: 0
    .sgpr_count:     25
    .sgpr_spill_count: 0
    .symbol:         _ZN7rocprim17ROCPRIM_400000_NS6detail17trampoline_kernelINS0_14default_configENS1_35radix_sort_onesweep_config_selectorIyNS0_10empty_typeEEEZNS1_34radix_sort_onesweep_global_offsetsIS3_Lb0EN6thrust23THRUST_200600_302600_NS6detail15normal_iteratorINS9_10device_ptrIyEEEEPS5_jNS0_19identity_decomposerEEE10hipError_tT1_T2_PT3_SK_jT4_jjP12ihipStream_tbEUlT_E_NS1_11comp_targetILNS1_3genE5ELNS1_11target_archE942ELNS1_3gpuE9ELNS1_3repE0EEENS1_52radix_sort_onesweep_histogram_config_static_selectorELNS0_4arch9wavefront6targetE1EEEvSI_.kd
    .uniform_work_group_size: 1
    .uses_dynamic_stack: false
    .vgpr_count:     40
    .vgpr_spill_count: 0
    .wavefront_size: 64
  - .agpr_count:     0
    .args:
      - .offset:         0
        .size:           40
        .value_kind:     by_value
    .group_segment_fixed_size: 0
    .kernarg_segment_align: 8
    .kernarg_segment_size: 40
    .language:       OpenCL C
    .language_version:
      - 2
      - 0
    .max_flat_workgroup_size: 512
    .name:           _ZN7rocprim17ROCPRIM_400000_NS6detail17trampoline_kernelINS0_14default_configENS1_35radix_sort_onesweep_config_selectorIyNS0_10empty_typeEEEZNS1_34radix_sort_onesweep_global_offsetsIS3_Lb0EN6thrust23THRUST_200600_302600_NS6detail15normal_iteratorINS9_10device_ptrIyEEEEPS5_jNS0_19identity_decomposerEEE10hipError_tT1_T2_PT3_SK_jT4_jjP12ihipStream_tbEUlT_E_NS1_11comp_targetILNS1_3genE2ELNS1_11target_archE906ELNS1_3gpuE6ELNS1_3repE0EEENS1_52radix_sort_onesweep_histogram_config_static_selectorELNS0_4arch9wavefront6targetE1EEEvSI_
    .private_segment_fixed_size: 0
    .sgpr_count:     6
    .sgpr_spill_count: 0
    .symbol:         _ZN7rocprim17ROCPRIM_400000_NS6detail17trampoline_kernelINS0_14default_configENS1_35radix_sort_onesweep_config_selectorIyNS0_10empty_typeEEEZNS1_34radix_sort_onesweep_global_offsetsIS3_Lb0EN6thrust23THRUST_200600_302600_NS6detail15normal_iteratorINS9_10device_ptrIyEEEEPS5_jNS0_19identity_decomposerEEE10hipError_tT1_T2_PT3_SK_jT4_jjP12ihipStream_tbEUlT_E_NS1_11comp_targetILNS1_3genE2ELNS1_11target_archE906ELNS1_3gpuE6ELNS1_3repE0EEENS1_52radix_sort_onesweep_histogram_config_static_selectorELNS0_4arch9wavefront6targetE1EEEvSI_.kd
    .uniform_work_group_size: 1
    .uses_dynamic_stack: false
    .vgpr_count:     0
    .vgpr_spill_count: 0
    .wavefront_size: 64
  - .agpr_count:     0
    .args:
      - .offset:         0
        .size:           40
        .value_kind:     by_value
    .group_segment_fixed_size: 0
    .kernarg_segment_align: 8
    .kernarg_segment_size: 40
    .language:       OpenCL C
    .language_version:
      - 2
      - 0
    .max_flat_workgroup_size: 1024
    .name:           _ZN7rocprim17ROCPRIM_400000_NS6detail17trampoline_kernelINS0_14default_configENS1_35radix_sort_onesweep_config_selectorIyNS0_10empty_typeEEEZNS1_34radix_sort_onesweep_global_offsetsIS3_Lb0EN6thrust23THRUST_200600_302600_NS6detail15normal_iteratorINS9_10device_ptrIyEEEEPS5_jNS0_19identity_decomposerEEE10hipError_tT1_T2_PT3_SK_jT4_jjP12ihipStream_tbEUlT_E_NS1_11comp_targetILNS1_3genE4ELNS1_11target_archE910ELNS1_3gpuE8ELNS1_3repE0EEENS1_52radix_sort_onesweep_histogram_config_static_selectorELNS0_4arch9wavefront6targetE1EEEvSI_
    .private_segment_fixed_size: 0
    .sgpr_count:     6
    .sgpr_spill_count: 0
    .symbol:         _ZN7rocprim17ROCPRIM_400000_NS6detail17trampoline_kernelINS0_14default_configENS1_35radix_sort_onesweep_config_selectorIyNS0_10empty_typeEEEZNS1_34radix_sort_onesweep_global_offsetsIS3_Lb0EN6thrust23THRUST_200600_302600_NS6detail15normal_iteratorINS9_10device_ptrIyEEEEPS5_jNS0_19identity_decomposerEEE10hipError_tT1_T2_PT3_SK_jT4_jjP12ihipStream_tbEUlT_E_NS1_11comp_targetILNS1_3genE4ELNS1_11target_archE910ELNS1_3gpuE8ELNS1_3repE0EEENS1_52radix_sort_onesweep_histogram_config_static_selectorELNS0_4arch9wavefront6targetE1EEEvSI_.kd
    .uniform_work_group_size: 1
    .uses_dynamic_stack: false
    .vgpr_count:     0
    .vgpr_spill_count: 0
    .wavefront_size: 64
  - .agpr_count:     0
    .args:
      - .offset:         0
        .size:           40
        .value_kind:     by_value
    .group_segment_fixed_size: 0
    .kernarg_segment_align: 8
    .kernarg_segment_size: 40
    .language:       OpenCL C
    .language_version:
      - 2
      - 0
    .max_flat_workgroup_size: 512
    .name:           _ZN7rocprim17ROCPRIM_400000_NS6detail17trampoline_kernelINS0_14default_configENS1_35radix_sort_onesweep_config_selectorIyNS0_10empty_typeEEEZNS1_34radix_sort_onesweep_global_offsetsIS3_Lb0EN6thrust23THRUST_200600_302600_NS6detail15normal_iteratorINS9_10device_ptrIyEEEEPS5_jNS0_19identity_decomposerEEE10hipError_tT1_T2_PT3_SK_jT4_jjP12ihipStream_tbEUlT_E_NS1_11comp_targetILNS1_3genE3ELNS1_11target_archE908ELNS1_3gpuE7ELNS1_3repE0EEENS1_52radix_sort_onesweep_histogram_config_static_selectorELNS0_4arch9wavefront6targetE1EEEvSI_
    .private_segment_fixed_size: 0
    .sgpr_count:     6
    .sgpr_spill_count: 0
    .symbol:         _ZN7rocprim17ROCPRIM_400000_NS6detail17trampoline_kernelINS0_14default_configENS1_35radix_sort_onesweep_config_selectorIyNS0_10empty_typeEEEZNS1_34radix_sort_onesweep_global_offsetsIS3_Lb0EN6thrust23THRUST_200600_302600_NS6detail15normal_iteratorINS9_10device_ptrIyEEEEPS5_jNS0_19identity_decomposerEEE10hipError_tT1_T2_PT3_SK_jT4_jjP12ihipStream_tbEUlT_E_NS1_11comp_targetILNS1_3genE3ELNS1_11target_archE908ELNS1_3gpuE7ELNS1_3repE0EEENS1_52radix_sort_onesweep_histogram_config_static_selectorELNS0_4arch9wavefront6targetE1EEEvSI_.kd
    .uniform_work_group_size: 1
    .uses_dynamic_stack: false
    .vgpr_count:     0
    .vgpr_spill_count: 0
    .wavefront_size: 64
  - .agpr_count:     0
    .args:
      - .offset:         0
        .size:           40
        .value_kind:     by_value
    .group_segment_fixed_size: 0
    .kernarg_segment_align: 8
    .kernarg_segment_size: 40
    .language:       OpenCL C
    .language_version:
      - 2
      - 0
    .max_flat_workgroup_size: 512
    .name:           _ZN7rocprim17ROCPRIM_400000_NS6detail17trampoline_kernelINS0_14default_configENS1_35radix_sort_onesweep_config_selectorIyNS0_10empty_typeEEEZNS1_34radix_sort_onesweep_global_offsetsIS3_Lb0EN6thrust23THRUST_200600_302600_NS6detail15normal_iteratorINS9_10device_ptrIyEEEEPS5_jNS0_19identity_decomposerEEE10hipError_tT1_T2_PT3_SK_jT4_jjP12ihipStream_tbEUlT_E_NS1_11comp_targetILNS1_3genE10ELNS1_11target_archE1201ELNS1_3gpuE5ELNS1_3repE0EEENS1_52radix_sort_onesweep_histogram_config_static_selectorELNS0_4arch9wavefront6targetE1EEEvSI_
    .private_segment_fixed_size: 0
    .sgpr_count:     6
    .sgpr_spill_count: 0
    .symbol:         _ZN7rocprim17ROCPRIM_400000_NS6detail17trampoline_kernelINS0_14default_configENS1_35radix_sort_onesweep_config_selectorIyNS0_10empty_typeEEEZNS1_34radix_sort_onesweep_global_offsetsIS3_Lb0EN6thrust23THRUST_200600_302600_NS6detail15normal_iteratorINS9_10device_ptrIyEEEEPS5_jNS0_19identity_decomposerEEE10hipError_tT1_T2_PT3_SK_jT4_jjP12ihipStream_tbEUlT_E_NS1_11comp_targetILNS1_3genE10ELNS1_11target_archE1201ELNS1_3gpuE5ELNS1_3repE0EEENS1_52radix_sort_onesweep_histogram_config_static_selectorELNS0_4arch9wavefront6targetE1EEEvSI_.kd
    .uniform_work_group_size: 1
    .uses_dynamic_stack: false
    .vgpr_count:     0
    .vgpr_spill_count: 0
    .wavefront_size: 64
  - .agpr_count:     0
    .args:
      - .offset:         0
        .size:           40
        .value_kind:     by_value
    .group_segment_fixed_size: 0
    .kernarg_segment_align: 8
    .kernarg_segment_size: 40
    .language:       OpenCL C
    .language_version:
      - 2
      - 0
    .max_flat_workgroup_size: 1024
    .name:           _ZN7rocprim17ROCPRIM_400000_NS6detail17trampoline_kernelINS0_14default_configENS1_35radix_sort_onesweep_config_selectorIyNS0_10empty_typeEEEZNS1_34radix_sort_onesweep_global_offsetsIS3_Lb0EN6thrust23THRUST_200600_302600_NS6detail15normal_iteratorINS9_10device_ptrIyEEEEPS5_jNS0_19identity_decomposerEEE10hipError_tT1_T2_PT3_SK_jT4_jjP12ihipStream_tbEUlT_E_NS1_11comp_targetILNS1_3genE9ELNS1_11target_archE1100ELNS1_3gpuE3ELNS1_3repE0EEENS1_52radix_sort_onesweep_histogram_config_static_selectorELNS0_4arch9wavefront6targetE1EEEvSI_
    .private_segment_fixed_size: 0
    .sgpr_count:     6
    .sgpr_spill_count: 0
    .symbol:         _ZN7rocprim17ROCPRIM_400000_NS6detail17trampoline_kernelINS0_14default_configENS1_35radix_sort_onesweep_config_selectorIyNS0_10empty_typeEEEZNS1_34radix_sort_onesweep_global_offsetsIS3_Lb0EN6thrust23THRUST_200600_302600_NS6detail15normal_iteratorINS9_10device_ptrIyEEEEPS5_jNS0_19identity_decomposerEEE10hipError_tT1_T2_PT3_SK_jT4_jjP12ihipStream_tbEUlT_E_NS1_11comp_targetILNS1_3genE9ELNS1_11target_archE1100ELNS1_3gpuE3ELNS1_3repE0EEENS1_52radix_sort_onesweep_histogram_config_static_selectorELNS0_4arch9wavefront6targetE1EEEvSI_.kd
    .uniform_work_group_size: 1
    .uses_dynamic_stack: false
    .vgpr_count:     0
    .vgpr_spill_count: 0
    .wavefront_size: 64
  - .agpr_count:     0
    .args:
      - .offset:         0
        .size:           40
        .value_kind:     by_value
    .group_segment_fixed_size: 0
    .kernarg_segment_align: 8
    .kernarg_segment_size: 40
    .language:       OpenCL C
    .language_version:
      - 2
      - 0
    .max_flat_workgroup_size: 1024
    .name:           _ZN7rocprim17ROCPRIM_400000_NS6detail17trampoline_kernelINS0_14default_configENS1_35radix_sort_onesweep_config_selectorIyNS0_10empty_typeEEEZNS1_34radix_sort_onesweep_global_offsetsIS3_Lb0EN6thrust23THRUST_200600_302600_NS6detail15normal_iteratorINS9_10device_ptrIyEEEEPS5_jNS0_19identity_decomposerEEE10hipError_tT1_T2_PT3_SK_jT4_jjP12ihipStream_tbEUlT_E_NS1_11comp_targetILNS1_3genE8ELNS1_11target_archE1030ELNS1_3gpuE2ELNS1_3repE0EEENS1_52radix_sort_onesweep_histogram_config_static_selectorELNS0_4arch9wavefront6targetE1EEEvSI_
    .private_segment_fixed_size: 0
    .sgpr_count:     6
    .sgpr_spill_count: 0
    .symbol:         _ZN7rocprim17ROCPRIM_400000_NS6detail17trampoline_kernelINS0_14default_configENS1_35radix_sort_onesweep_config_selectorIyNS0_10empty_typeEEEZNS1_34radix_sort_onesweep_global_offsetsIS3_Lb0EN6thrust23THRUST_200600_302600_NS6detail15normal_iteratorINS9_10device_ptrIyEEEEPS5_jNS0_19identity_decomposerEEE10hipError_tT1_T2_PT3_SK_jT4_jjP12ihipStream_tbEUlT_E_NS1_11comp_targetILNS1_3genE8ELNS1_11target_archE1030ELNS1_3gpuE2ELNS1_3repE0EEENS1_52radix_sort_onesweep_histogram_config_static_selectorELNS0_4arch9wavefront6targetE1EEEvSI_.kd
    .uniform_work_group_size: 1
    .uses_dynamic_stack: false
    .vgpr_count:     0
    .vgpr_spill_count: 0
    .wavefront_size: 64
  - .agpr_count:     0
    .args:
      - .address_space:  global
        .offset:         0
        .size:           8
        .value_kind:     global_buffer
    .group_segment_fixed_size: 0
    .kernarg_segment_align: 8
    .kernarg_segment_size: 8
    .language:       OpenCL C
    .language_version:
      - 2
      - 0
    .max_flat_workgroup_size: 512
    .name:           _ZN7rocprim17ROCPRIM_400000_NS6detail17trampoline_kernelINS0_14default_configENS1_35radix_sort_onesweep_config_selectorIyNS0_10empty_typeEEEZNS1_34radix_sort_onesweep_global_offsetsIS3_Lb0EN6thrust23THRUST_200600_302600_NS6detail15normal_iteratorINS9_10device_ptrIyEEEEPS5_jNS0_19identity_decomposerEEE10hipError_tT1_T2_PT3_SK_jT4_jjP12ihipStream_tbEUlT_E0_NS1_11comp_targetILNS1_3genE0ELNS1_11target_archE4294967295ELNS1_3gpuE0ELNS1_3repE0EEENS1_52radix_sort_onesweep_histogram_config_static_selectorELNS0_4arch9wavefront6targetE1EEEvSI_
    .private_segment_fixed_size: 0
    .sgpr_count:     6
    .sgpr_spill_count: 0
    .symbol:         _ZN7rocprim17ROCPRIM_400000_NS6detail17trampoline_kernelINS0_14default_configENS1_35radix_sort_onesweep_config_selectorIyNS0_10empty_typeEEEZNS1_34radix_sort_onesweep_global_offsetsIS3_Lb0EN6thrust23THRUST_200600_302600_NS6detail15normal_iteratorINS9_10device_ptrIyEEEEPS5_jNS0_19identity_decomposerEEE10hipError_tT1_T2_PT3_SK_jT4_jjP12ihipStream_tbEUlT_E0_NS1_11comp_targetILNS1_3genE0ELNS1_11target_archE4294967295ELNS1_3gpuE0ELNS1_3repE0EEENS1_52radix_sort_onesweep_histogram_config_static_selectorELNS0_4arch9wavefront6targetE1EEEvSI_.kd
    .uniform_work_group_size: 1
    .uses_dynamic_stack: false
    .vgpr_count:     0
    .vgpr_spill_count: 0
    .wavefront_size: 64
  - .agpr_count:     0
    .args:
      - .address_space:  global
        .offset:         0
        .size:           8
        .value_kind:     global_buffer
    .group_segment_fixed_size: 0
    .kernarg_segment_align: 8
    .kernarg_segment_size: 8
    .language:       OpenCL C
    .language_version:
      - 2
      - 0
    .max_flat_workgroup_size: 512
    .name:           _ZN7rocprim17ROCPRIM_400000_NS6detail17trampoline_kernelINS0_14default_configENS1_35radix_sort_onesweep_config_selectorIyNS0_10empty_typeEEEZNS1_34radix_sort_onesweep_global_offsetsIS3_Lb0EN6thrust23THRUST_200600_302600_NS6detail15normal_iteratorINS9_10device_ptrIyEEEEPS5_jNS0_19identity_decomposerEEE10hipError_tT1_T2_PT3_SK_jT4_jjP12ihipStream_tbEUlT_E0_NS1_11comp_targetILNS1_3genE6ELNS1_11target_archE950ELNS1_3gpuE13ELNS1_3repE0EEENS1_52radix_sort_onesweep_histogram_config_static_selectorELNS0_4arch9wavefront6targetE1EEEvSI_
    .private_segment_fixed_size: 0
    .sgpr_count:     6
    .sgpr_spill_count: 0
    .symbol:         _ZN7rocprim17ROCPRIM_400000_NS6detail17trampoline_kernelINS0_14default_configENS1_35radix_sort_onesweep_config_selectorIyNS0_10empty_typeEEEZNS1_34radix_sort_onesweep_global_offsetsIS3_Lb0EN6thrust23THRUST_200600_302600_NS6detail15normal_iteratorINS9_10device_ptrIyEEEEPS5_jNS0_19identity_decomposerEEE10hipError_tT1_T2_PT3_SK_jT4_jjP12ihipStream_tbEUlT_E0_NS1_11comp_targetILNS1_3genE6ELNS1_11target_archE950ELNS1_3gpuE13ELNS1_3repE0EEENS1_52radix_sort_onesweep_histogram_config_static_selectorELNS0_4arch9wavefront6targetE1EEEvSI_.kd
    .uniform_work_group_size: 1
    .uses_dynamic_stack: false
    .vgpr_count:     0
    .vgpr_spill_count: 0
    .wavefront_size: 64
  - .agpr_count:     0
    .args:
      - .address_space:  global
        .offset:         0
        .size:           8
        .value_kind:     global_buffer
    .group_segment_fixed_size: 32
    .kernarg_segment_align: 8
    .kernarg_segment_size: 8
    .language:       OpenCL C
    .language_version:
      - 2
      - 0
    .max_flat_workgroup_size: 512
    .name:           _ZN7rocprim17ROCPRIM_400000_NS6detail17trampoline_kernelINS0_14default_configENS1_35radix_sort_onesweep_config_selectorIyNS0_10empty_typeEEEZNS1_34radix_sort_onesweep_global_offsetsIS3_Lb0EN6thrust23THRUST_200600_302600_NS6detail15normal_iteratorINS9_10device_ptrIyEEEEPS5_jNS0_19identity_decomposerEEE10hipError_tT1_T2_PT3_SK_jT4_jjP12ihipStream_tbEUlT_E0_NS1_11comp_targetILNS1_3genE5ELNS1_11target_archE942ELNS1_3gpuE9ELNS1_3repE0EEENS1_52radix_sort_onesweep_histogram_config_static_selectorELNS0_4arch9wavefront6targetE1EEEvSI_
    .private_segment_fixed_size: 0
    .sgpr_count:     12
    .sgpr_spill_count: 0
    .symbol:         _ZN7rocprim17ROCPRIM_400000_NS6detail17trampoline_kernelINS0_14default_configENS1_35radix_sort_onesweep_config_selectorIyNS0_10empty_typeEEEZNS1_34radix_sort_onesweep_global_offsetsIS3_Lb0EN6thrust23THRUST_200600_302600_NS6detail15normal_iteratorINS9_10device_ptrIyEEEEPS5_jNS0_19identity_decomposerEEE10hipError_tT1_T2_PT3_SK_jT4_jjP12ihipStream_tbEUlT_E0_NS1_11comp_targetILNS1_3genE5ELNS1_11target_archE942ELNS1_3gpuE9ELNS1_3repE0EEENS1_52radix_sort_onesweep_histogram_config_static_selectorELNS0_4arch9wavefront6targetE1EEEvSI_.kd
    .uniform_work_group_size: 1
    .uses_dynamic_stack: false
    .vgpr_count:     8
    .vgpr_spill_count: 0
    .wavefront_size: 64
  - .agpr_count:     0
    .args:
      - .address_space:  global
        .offset:         0
        .size:           8
        .value_kind:     global_buffer
    .group_segment_fixed_size: 0
    .kernarg_segment_align: 8
    .kernarg_segment_size: 8
    .language:       OpenCL C
    .language_version:
      - 2
      - 0
    .max_flat_workgroup_size: 512
    .name:           _ZN7rocprim17ROCPRIM_400000_NS6detail17trampoline_kernelINS0_14default_configENS1_35radix_sort_onesweep_config_selectorIyNS0_10empty_typeEEEZNS1_34radix_sort_onesweep_global_offsetsIS3_Lb0EN6thrust23THRUST_200600_302600_NS6detail15normal_iteratorINS9_10device_ptrIyEEEEPS5_jNS0_19identity_decomposerEEE10hipError_tT1_T2_PT3_SK_jT4_jjP12ihipStream_tbEUlT_E0_NS1_11comp_targetILNS1_3genE2ELNS1_11target_archE906ELNS1_3gpuE6ELNS1_3repE0EEENS1_52radix_sort_onesweep_histogram_config_static_selectorELNS0_4arch9wavefront6targetE1EEEvSI_
    .private_segment_fixed_size: 0
    .sgpr_count:     6
    .sgpr_spill_count: 0
    .symbol:         _ZN7rocprim17ROCPRIM_400000_NS6detail17trampoline_kernelINS0_14default_configENS1_35radix_sort_onesweep_config_selectorIyNS0_10empty_typeEEEZNS1_34radix_sort_onesweep_global_offsetsIS3_Lb0EN6thrust23THRUST_200600_302600_NS6detail15normal_iteratorINS9_10device_ptrIyEEEEPS5_jNS0_19identity_decomposerEEE10hipError_tT1_T2_PT3_SK_jT4_jjP12ihipStream_tbEUlT_E0_NS1_11comp_targetILNS1_3genE2ELNS1_11target_archE906ELNS1_3gpuE6ELNS1_3repE0EEENS1_52radix_sort_onesweep_histogram_config_static_selectorELNS0_4arch9wavefront6targetE1EEEvSI_.kd
    .uniform_work_group_size: 1
    .uses_dynamic_stack: false
    .vgpr_count:     0
    .vgpr_spill_count: 0
    .wavefront_size: 64
  - .agpr_count:     0
    .args:
      - .address_space:  global
        .offset:         0
        .size:           8
        .value_kind:     global_buffer
    .group_segment_fixed_size: 0
    .kernarg_segment_align: 8
    .kernarg_segment_size: 8
    .language:       OpenCL C
    .language_version:
      - 2
      - 0
    .max_flat_workgroup_size: 1024
    .name:           _ZN7rocprim17ROCPRIM_400000_NS6detail17trampoline_kernelINS0_14default_configENS1_35radix_sort_onesweep_config_selectorIyNS0_10empty_typeEEEZNS1_34radix_sort_onesweep_global_offsetsIS3_Lb0EN6thrust23THRUST_200600_302600_NS6detail15normal_iteratorINS9_10device_ptrIyEEEEPS5_jNS0_19identity_decomposerEEE10hipError_tT1_T2_PT3_SK_jT4_jjP12ihipStream_tbEUlT_E0_NS1_11comp_targetILNS1_3genE4ELNS1_11target_archE910ELNS1_3gpuE8ELNS1_3repE0EEENS1_52radix_sort_onesweep_histogram_config_static_selectorELNS0_4arch9wavefront6targetE1EEEvSI_
    .private_segment_fixed_size: 0
    .sgpr_count:     6
    .sgpr_spill_count: 0
    .symbol:         _ZN7rocprim17ROCPRIM_400000_NS6detail17trampoline_kernelINS0_14default_configENS1_35radix_sort_onesweep_config_selectorIyNS0_10empty_typeEEEZNS1_34radix_sort_onesweep_global_offsetsIS3_Lb0EN6thrust23THRUST_200600_302600_NS6detail15normal_iteratorINS9_10device_ptrIyEEEEPS5_jNS0_19identity_decomposerEEE10hipError_tT1_T2_PT3_SK_jT4_jjP12ihipStream_tbEUlT_E0_NS1_11comp_targetILNS1_3genE4ELNS1_11target_archE910ELNS1_3gpuE8ELNS1_3repE0EEENS1_52radix_sort_onesweep_histogram_config_static_selectorELNS0_4arch9wavefront6targetE1EEEvSI_.kd
    .uniform_work_group_size: 1
    .uses_dynamic_stack: false
    .vgpr_count:     0
    .vgpr_spill_count: 0
    .wavefront_size: 64
  - .agpr_count:     0
    .args:
      - .address_space:  global
        .offset:         0
        .size:           8
        .value_kind:     global_buffer
    .group_segment_fixed_size: 0
    .kernarg_segment_align: 8
    .kernarg_segment_size: 8
    .language:       OpenCL C
    .language_version:
      - 2
      - 0
    .max_flat_workgroup_size: 512
    .name:           _ZN7rocprim17ROCPRIM_400000_NS6detail17trampoline_kernelINS0_14default_configENS1_35radix_sort_onesweep_config_selectorIyNS0_10empty_typeEEEZNS1_34radix_sort_onesweep_global_offsetsIS3_Lb0EN6thrust23THRUST_200600_302600_NS6detail15normal_iteratorINS9_10device_ptrIyEEEEPS5_jNS0_19identity_decomposerEEE10hipError_tT1_T2_PT3_SK_jT4_jjP12ihipStream_tbEUlT_E0_NS1_11comp_targetILNS1_3genE3ELNS1_11target_archE908ELNS1_3gpuE7ELNS1_3repE0EEENS1_52radix_sort_onesweep_histogram_config_static_selectorELNS0_4arch9wavefront6targetE1EEEvSI_
    .private_segment_fixed_size: 0
    .sgpr_count:     6
    .sgpr_spill_count: 0
    .symbol:         _ZN7rocprim17ROCPRIM_400000_NS6detail17trampoline_kernelINS0_14default_configENS1_35radix_sort_onesweep_config_selectorIyNS0_10empty_typeEEEZNS1_34radix_sort_onesweep_global_offsetsIS3_Lb0EN6thrust23THRUST_200600_302600_NS6detail15normal_iteratorINS9_10device_ptrIyEEEEPS5_jNS0_19identity_decomposerEEE10hipError_tT1_T2_PT3_SK_jT4_jjP12ihipStream_tbEUlT_E0_NS1_11comp_targetILNS1_3genE3ELNS1_11target_archE908ELNS1_3gpuE7ELNS1_3repE0EEENS1_52radix_sort_onesweep_histogram_config_static_selectorELNS0_4arch9wavefront6targetE1EEEvSI_.kd
    .uniform_work_group_size: 1
    .uses_dynamic_stack: false
    .vgpr_count:     0
    .vgpr_spill_count: 0
    .wavefront_size: 64
  - .agpr_count:     0
    .args:
      - .address_space:  global
        .offset:         0
        .size:           8
        .value_kind:     global_buffer
    .group_segment_fixed_size: 0
    .kernarg_segment_align: 8
    .kernarg_segment_size: 8
    .language:       OpenCL C
    .language_version:
      - 2
      - 0
    .max_flat_workgroup_size: 512
    .name:           _ZN7rocprim17ROCPRIM_400000_NS6detail17trampoline_kernelINS0_14default_configENS1_35radix_sort_onesweep_config_selectorIyNS0_10empty_typeEEEZNS1_34radix_sort_onesweep_global_offsetsIS3_Lb0EN6thrust23THRUST_200600_302600_NS6detail15normal_iteratorINS9_10device_ptrIyEEEEPS5_jNS0_19identity_decomposerEEE10hipError_tT1_T2_PT3_SK_jT4_jjP12ihipStream_tbEUlT_E0_NS1_11comp_targetILNS1_3genE10ELNS1_11target_archE1201ELNS1_3gpuE5ELNS1_3repE0EEENS1_52radix_sort_onesweep_histogram_config_static_selectorELNS0_4arch9wavefront6targetE1EEEvSI_
    .private_segment_fixed_size: 0
    .sgpr_count:     6
    .sgpr_spill_count: 0
    .symbol:         _ZN7rocprim17ROCPRIM_400000_NS6detail17trampoline_kernelINS0_14default_configENS1_35radix_sort_onesweep_config_selectorIyNS0_10empty_typeEEEZNS1_34radix_sort_onesweep_global_offsetsIS3_Lb0EN6thrust23THRUST_200600_302600_NS6detail15normal_iteratorINS9_10device_ptrIyEEEEPS5_jNS0_19identity_decomposerEEE10hipError_tT1_T2_PT3_SK_jT4_jjP12ihipStream_tbEUlT_E0_NS1_11comp_targetILNS1_3genE10ELNS1_11target_archE1201ELNS1_3gpuE5ELNS1_3repE0EEENS1_52radix_sort_onesweep_histogram_config_static_selectorELNS0_4arch9wavefront6targetE1EEEvSI_.kd
    .uniform_work_group_size: 1
    .uses_dynamic_stack: false
    .vgpr_count:     0
    .vgpr_spill_count: 0
    .wavefront_size: 64
  - .agpr_count:     0
    .args:
      - .address_space:  global
        .offset:         0
        .size:           8
        .value_kind:     global_buffer
    .group_segment_fixed_size: 0
    .kernarg_segment_align: 8
    .kernarg_segment_size: 8
    .language:       OpenCL C
    .language_version:
      - 2
      - 0
    .max_flat_workgroup_size: 1024
    .name:           _ZN7rocprim17ROCPRIM_400000_NS6detail17trampoline_kernelINS0_14default_configENS1_35radix_sort_onesweep_config_selectorIyNS0_10empty_typeEEEZNS1_34radix_sort_onesweep_global_offsetsIS3_Lb0EN6thrust23THRUST_200600_302600_NS6detail15normal_iteratorINS9_10device_ptrIyEEEEPS5_jNS0_19identity_decomposerEEE10hipError_tT1_T2_PT3_SK_jT4_jjP12ihipStream_tbEUlT_E0_NS1_11comp_targetILNS1_3genE9ELNS1_11target_archE1100ELNS1_3gpuE3ELNS1_3repE0EEENS1_52radix_sort_onesweep_histogram_config_static_selectorELNS0_4arch9wavefront6targetE1EEEvSI_
    .private_segment_fixed_size: 0
    .sgpr_count:     6
    .sgpr_spill_count: 0
    .symbol:         _ZN7rocprim17ROCPRIM_400000_NS6detail17trampoline_kernelINS0_14default_configENS1_35radix_sort_onesweep_config_selectorIyNS0_10empty_typeEEEZNS1_34radix_sort_onesweep_global_offsetsIS3_Lb0EN6thrust23THRUST_200600_302600_NS6detail15normal_iteratorINS9_10device_ptrIyEEEEPS5_jNS0_19identity_decomposerEEE10hipError_tT1_T2_PT3_SK_jT4_jjP12ihipStream_tbEUlT_E0_NS1_11comp_targetILNS1_3genE9ELNS1_11target_archE1100ELNS1_3gpuE3ELNS1_3repE0EEENS1_52radix_sort_onesweep_histogram_config_static_selectorELNS0_4arch9wavefront6targetE1EEEvSI_.kd
    .uniform_work_group_size: 1
    .uses_dynamic_stack: false
    .vgpr_count:     0
    .vgpr_spill_count: 0
    .wavefront_size: 64
  - .agpr_count:     0
    .args:
      - .address_space:  global
        .offset:         0
        .size:           8
        .value_kind:     global_buffer
    .group_segment_fixed_size: 0
    .kernarg_segment_align: 8
    .kernarg_segment_size: 8
    .language:       OpenCL C
    .language_version:
      - 2
      - 0
    .max_flat_workgroup_size: 1024
    .name:           _ZN7rocprim17ROCPRIM_400000_NS6detail17trampoline_kernelINS0_14default_configENS1_35radix_sort_onesweep_config_selectorIyNS0_10empty_typeEEEZNS1_34radix_sort_onesweep_global_offsetsIS3_Lb0EN6thrust23THRUST_200600_302600_NS6detail15normal_iteratorINS9_10device_ptrIyEEEEPS5_jNS0_19identity_decomposerEEE10hipError_tT1_T2_PT3_SK_jT4_jjP12ihipStream_tbEUlT_E0_NS1_11comp_targetILNS1_3genE8ELNS1_11target_archE1030ELNS1_3gpuE2ELNS1_3repE0EEENS1_52radix_sort_onesweep_histogram_config_static_selectorELNS0_4arch9wavefront6targetE1EEEvSI_
    .private_segment_fixed_size: 0
    .sgpr_count:     6
    .sgpr_spill_count: 0
    .symbol:         _ZN7rocprim17ROCPRIM_400000_NS6detail17trampoline_kernelINS0_14default_configENS1_35radix_sort_onesweep_config_selectorIyNS0_10empty_typeEEEZNS1_34radix_sort_onesweep_global_offsetsIS3_Lb0EN6thrust23THRUST_200600_302600_NS6detail15normal_iteratorINS9_10device_ptrIyEEEEPS5_jNS0_19identity_decomposerEEE10hipError_tT1_T2_PT3_SK_jT4_jjP12ihipStream_tbEUlT_E0_NS1_11comp_targetILNS1_3genE8ELNS1_11target_archE1030ELNS1_3gpuE2ELNS1_3repE0EEENS1_52radix_sort_onesweep_histogram_config_static_selectorELNS0_4arch9wavefront6targetE1EEEvSI_.kd
    .uniform_work_group_size: 1
    .uses_dynamic_stack: false
    .vgpr_count:     0
    .vgpr_spill_count: 0
    .wavefront_size: 64
  - .agpr_count:     0
    .args:
      - .offset:         0
        .size:           40
        .value_kind:     by_value
    .group_segment_fixed_size: 0
    .kernarg_segment_align: 8
    .kernarg_segment_size: 40
    .language:       OpenCL C
    .language_version:
      - 2
      - 0
    .max_flat_workgroup_size: 128
    .name:           _ZN7rocprim17ROCPRIM_400000_NS6detail17trampoline_kernelINS0_14default_configENS1_25transform_config_selectorIyLb0EEEZNS1_14transform_implILb0ES3_S5_N6thrust23THRUST_200600_302600_NS6detail15normal_iteratorINS8_10device_ptrIyEEEEPyNS0_8identityIyEEEE10hipError_tT2_T3_mT4_P12ihipStream_tbEUlT_E_NS1_11comp_targetILNS1_3genE0ELNS1_11target_archE4294967295ELNS1_3gpuE0ELNS1_3repE0EEENS1_30default_config_static_selectorELNS0_4arch9wavefront6targetE1EEEvT1_
    .private_segment_fixed_size: 0
    .sgpr_count:     6
    .sgpr_spill_count: 0
    .symbol:         _ZN7rocprim17ROCPRIM_400000_NS6detail17trampoline_kernelINS0_14default_configENS1_25transform_config_selectorIyLb0EEEZNS1_14transform_implILb0ES3_S5_N6thrust23THRUST_200600_302600_NS6detail15normal_iteratorINS8_10device_ptrIyEEEEPyNS0_8identityIyEEEE10hipError_tT2_T3_mT4_P12ihipStream_tbEUlT_E_NS1_11comp_targetILNS1_3genE0ELNS1_11target_archE4294967295ELNS1_3gpuE0ELNS1_3repE0EEENS1_30default_config_static_selectorELNS0_4arch9wavefront6targetE1EEEvT1_.kd
    .uniform_work_group_size: 1
    .uses_dynamic_stack: false
    .vgpr_count:     0
    .vgpr_spill_count: 0
    .wavefront_size: 64
  - .agpr_count:     0
    .args:
      - .offset:         0
        .size:           40
        .value_kind:     by_value
      - .offset:         40
        .size:           4
        .value_kind:     hidden_block_count_x
      - .offset:         44
        .size:           4
        .value_kind:     hidden_block_count_y
      - .offset:         48
        .size:           4
        .value_kind:     hidden_block_count_z
      - .offset:         52
        .size:           2
        .value_kind:     hidden_group_size_x
      - .offset:         54
        .size:           2
        .value_kind:     hidden_group_size_y
      - .offset:         56
        .size:           2
        .value_kind:     hidden_group_size_z
      - .offset:         58
        .size:           2
        .value_kind:     hidden_remainder_x
      - .offset:         60
        .size:           2
        .value_kind:     hidden_remainder_y
      - .offset:         62
        .size:           2
        .value_kind:     hidden_remainder_z
      - .offset:         80
        .size:           8
        .value_kind:     hidden_global_offset_x
      - .offset:         88
        .size:           8
        .value_kind:     hidden_global_offset_y
      - .offset:         96
        .size:           8
        .value_kind:     hidden_global_offset_z
      - .offset:         104
        .size:           2
        .value_kind:     hidden_grid_dims
    .group_segment_fixed_size: 0
    .kernarg_segment_align: 8
    .kernarg_segment_size: 296
    .language:       OpenCL C
    .language_version:
      - 2
      - 0
    .max_flat_workgroup_size: 512
    .name:           _ZN7rocprim17ROCPRIM_400000_NS6detail17trampoline_kernelINS0_14default_configENS1_25transform_config_selectorIyLb0EEEZNS1_14transform_implILb0ES3_S5_N6thrust23THRUST_200600_302600_NS6detail15normal_iteratorINS8_10device_ptrIyEEEEPyNS0_8identityIyEEEE10hipError_tT2_T3_mT4_P12ihipStream_tbEUlT_E_NS1_11comp_targetILNS1_3genE5ELNS1_11target_archE942ELNS1_3gpuE9ELNS1_3repE0EEENS1_30default_config_static_selectorELNS0_4arch9wavefront6targetE1EEEvT1_
    .private_segment_fixed_size: 0
    .sgpr_count:     20
    .sgpr_spill_count: 0
    .symbol:         _ZN7rocprim17ROCPRIM_400000_NS6detail17trampoline_kernelINS0_14default_configENS1_25transform_config_selectorIyLb0EEEZNS1_14transform_implILb0ES3_S5_N6thrust23THRUST_200600_302600_NS6detail15normal_iteratorINS8_10device_ptrIyEEEEPyNS0_8identityIyEEEE10hipError_tT2_T3_mT4_P12ihipStream_tbEUlT_E_NS1_11comp_targetILNS1_3genE5ELNS1_11target_archE942ELNS1_3gpuE9ELNS1_3repE0EEENS1_30default_config_static_selectorELNS0_4arch9wavefront6targetE1EEEvT1_.kd
    .uniform_work_group_size: 1
    .uses_dynamic_stack: false
    .vgpr_count:     12
    .vgpr_spill_count: 0
    .wavefront_size: 64
  - .agpr_count:     0
    .args:
      - .offset:         0
        .size:           40
        .value_kind:     by_value
    .group_segment_fixed_size: 0
    .kernarg_segment_align: 8
    .kernarg_segment_size: 40
    .language:       OpenCL C
    .language_version:
      - 2
      - 0
    .max_flat_workgroup_size: 256
    .name:           _ZN7rocprim17ROCPRIM_400000_NS6detail17trampoline_kernelINS0_14default_configENS1_25transform_config_selectorIyLb0EEEZNS1_14transform_implILb0ES3_S5_N6thrust23THRUST_200600_302600_NS6detail15normal_iteratorINS8_10device_ptrIyEEEEPyNS0_8identityIyEEEE10hipError_tT2_T3_mT4_P12ihipStream_tbEUlT_E_NS1_11comp_targetILNS1_3genE4ELNS1_11target_archE910ELNS1_3gpuE8ELNS1_3repE0EEENS1_30default_config_static_selectorELNS0_4arch9wavefront6targetE1EEEvT1_
    .private_segment_fixed_size: 0
    .sgpr_count:     6
    .sgpr_spill_count: 0
    .symbol:         _ZN7rocprim17ROCPRIM_400000_NS6detail17trampoline_kernelINS0_14default_configENS1_25transform_config_selectorIyLb0EEEZNS1_14transform_implILb0ES3_S5_N6thrust23THRUST_200600_302600_NS6detail15normal_iteratorINS8_10device_ptrIyEEEEPyNS0_8identityIyEEEE10hipError_tT2_T3_mT4_P12ihipStream_tbEUlT_E_NS1_11comp_targetILNS1_3genE4ELNS1_11target_archE910ELNS1_3gpuE8ELNS1_3repE0EEENS1_30default_config_static_selectorELNS0_4arch9wavefront6targetE1EEEvT1_.kd
    .uniform_work_group_size: 1
    .uses_dynamic_stack: false
    .vgpr_count:     0
    .vgpr_spill_count: 0
    .wavefront_size: 64
  - .agpr_count:     0
    .args:
      - .offset:         0
        .size:           40
        .value_kind:     by_value
    .group_segment_fixed_size: 0
    .kernarg_segment_align: 8
    .kernarg_segment_size: 40
    .language:       OpenCL C
    .language_version:
      - 2
      - 0
    .max_flat_workgroup_size: 128
    .name:           _ZN7rocprim17ROCPRIM_400000_NS6detail17trampoline_kernelINS0_14default_configENS1_25transform_config_selectorIyLb0EEEZNS1_14transform_implILb0ES3_S5_N6thrust23THRUST_200600_302600_NS6detail15normal_iteratorINS8_10device_ptrIyEEEEPyNS0_8identityIyEEEE10hipError_tT2_T3_mT4_P12ihipStream_tbEUlT_E_NS1_11comp_targetILNS1_3genE3ELNS1_11target_archE908ELNS1_3gpuE7ELNS1_3repE0EEENS1_30default_config_static_selectorELNS0_4arch9wavefront6targetE1EEEvT1_
    .private_segment_fixed_size: 0
    .sgpr_count:     6
    .sgpr_spill_count: 0
    .symbol:         _ZN7rocprim17ROCPRIM_400000_NS6detail17trampoline_kernelINS0_14default_configENS1_25transform_config_selectorIyLb0EEEZNS1_14transform_implILb0ES3_S5_N6thrust23THRUST_200600_302600_NS6detail15normal_iteratorINS8_10device_ptrIyEEEEPyNS0_8identityIyEEEE10hipError_tT2_T3_mT4_P12ihipStream_tbEUlT_E_NS1_11comp_targetILNS1_3genE3ELNS1_11target_archE908ELNS1_3gpuE7ELNS1_3repE0EEENS1_30default_config_static_selectorELNS0_4arch9wavefront6targetE1EEEvT1_.kd
    .uniform_work_group_size: 1
    .uses_dynamic_stack: false
    .vgpr_count:     0
    .vgpr_spill_count: 0
    .wavefront_size: 64
  - .agpr_count:     0
    .args:
      - .offset:         0
        .size:           40
        .value_kind:     by_value
    .group_segment_fixed_size: 0
    .kernarg_segment_align: 8
    .kernarg_segment_size: 40
    .language:       OpenCL C
    .language_version:
      - 2
      - 0
    .max_flat_workgroup_size: 512
    .name:           _ZN7rocprim17ROCPRIM_400000_NS6detail17trampoline_kernelINS0_14default_configENS1_25transform_config_selectorIyLb0EEEZNS1_14transform_implILb0ES3_S5_N6thrust23THRUST_200600_302600_NS6detail15normal_iteratorINS8_10device_ptrIyEEEEPyNS0_8identityIyEEEE10hipError_tT2_T3_mT4_P12ihipStream_tbEUlT_E_NS1_11comp_targetILNS1_3genE2ELNS1_11target_archE906ELNS1_3gpuE6ELNS1_3repE0EEENS1_30default_config_static_selectorELNS0_4arch9wavefront6targetE1EEEvT1_
    .private_segment_fixed_size: 0
    .sgpr_count:     6
    .sgpr_spill_count: 0
    .symbol:         _ZN7rocprim17ROCPRIM_400000_NS6detail17trampoline_kernelINS0_14default_configENS1_25transform_config_selectorIyLb0EEEZNS1_14transform_implILb0ES3_S5_N6thrust23THRUST_200600_302600_NS6detail15normal_iteratorINS8_10device_ptrIyEEEEPyNS0_8identityIyEEEE10hipError_tT2_T3_mT4_P12ihipStream_tbEUlT_E_NS1_11comp_targetILNS1_3genE2ELNS1_11target_archE906ELNS1_3gpuE6ELNS1_3repE0EEENS1_30default_config_static_selectorELNS0_4arch9wavefront6targetE1EEEvT1_.kd
    .uniform_work_group_size: 1
    .uses_dynamic_stack: false
    .vgpr_count:     0
    .vgpr_spill_count: 0
    .wavefront_size: 64
  - .agpr_count:     0
    .args:
      - .offset:         0
        .size:           40
        .value_kind:     by_value
    .group_segment_fixed_size: 0
    .kernarg_segment_align: 8
    .kernarg_segment_size: 40
    .language:       OpenCL C
    .language_version:
      - 2
      - 0
    .max_flat_workgroup_size: 1024
    .name:           _ZN7rocprim17ROCPRIM_400000_NS6detail17trampoline_kernelINS0_14default_configENS1_25transform_config_selectorIyLb0EEEZNS1_14transform_implILb0ES3_S5_N6thrust23THRUST_200600_302600_NS6detail15normal_iteratorINS8_10device_ptrIyEEEEPyNS0_8identityIyEEEE10hipError_tT2_T3_mT4_P12ihipStream_tbEUlT_E_NS1_11comp_targetILNS1_3genE10ELNS1_11target_archE1201ELNS1_3gpuE5ELNS1_3repE0EEENS1_30default_config_static_selectorELNS0_4arch9wavefront6targetE1EEEvT1_
    .private_segment_fixed_size: 0
    .sgpr_count:     6
    .sgpr_spill_count: 0
    .symbol:         _ZN7rocprim17ROCPRIM_400000_NS6detail17trampoline_kernelINS0_14default_configENS1_25transform_config_selectorIyLb0EEEZNS1_14transform_implILb0ES3_S5_N6thrust23THRUST_200600_302600_NS6detail15normal_iteratorINS8_10device_ptrIyEEEEPyNS0_8identityIyEEEE10hipError_tT2_T3_mT4_P12ihipStream_tbEUlT_E_NS1_11comp_targetILNS1_3genE10ELNS1_11target_archE1201ELNS1_3gpuE5ELNS1_3repE0EEENS1_30default_config_static_selectorELNS0_4arch9wavefront6targetE1EEEvT1_.kd
    .uniform_work_group_size: 1
    .uses_dynamic_stack: false
    .vgpr_count:     0
    .vgpr_spill_count: 0
    .wavefront_size: 64
  - .agpr_count:     0
    .args:
      - .offset:         0
        .size:           40
        .value_kind:     by_value
    .group_segment_fixed_size: 0
    .kernarg_segment_align: 8
    .kernarg_segment_size: 40
    .language:       OpenCL C
    .language_version:
      - 2
      - 0
    .max_flat_workgroup_size: 512
    .name:           _ZN7rocprim17ROCPRIM_400000_NS6detail17trampoline_kernelINS0_14default_configENS1_25transform_config_selectorIyLb0EEEZNS1_14transform_implILb0ES3_S5_N6thrust23THRUST_200600_302600_NS6detail15normal_iteratorINS8_10device_ptrIyEEEEPyNS0_8identityIyEEEE10hipError_tT2_T3_mT4_P12ihipStream_tbEUlT_E_NS1_11comp_targetILNS1_3genE10ELNS1_11target_archE1200ELNS1_3gpuE4ELNS1_3repE0EEENS1_30default_config_static_selectorELNS0_4arch9wavefront6targetE1EEEvT1_
    .private_segment_fixed_size: 0
    .sgpr_count:     6
    .sgpr_spill_count: 0
    .symbol:         _ZN7rocprim17ROCPRIM_400000_NS6detail17trampoline_kernelINS0_14default_configENS1_25transform_config_selectorIyLb0EEEZNS1_14transform_implILb0ES3_S5_N6thrust23THRUST_200600_302600_NS6detail15normal_iteratorINS8_10device_ptrIyEEEEPyNS0_8identityIyEEEE10hipError_tT2_T3_mT4_P12ihipStream_tbEUlT_E_NS1_11comp_targetILNS1_3genE10ELNS1_11target_archE1200ELNS1_3gpuE4ELNS1_3repE0EEENS1_30default_config_static_selectorELNS0_4arch9wavefront6targetE1EEEvT1_.kd
    .uniform_work_group_size: 1
    .uses_dynamic_stack: false
    .vgpr_count:     0
    .vgpr_spill_count: 0
    .wavefront_size: 64
  - .agpr_count:     0
    .args:
      - .offset:         0
        .size:           40
        .value_kind:     by_value
    .group_segment_fixed_size: 0
    .kernarg_segment_align: 8
    .kernarg_segment_size: 40
    .language:       OpenCL C
    .language_version:
      - 2
      - 0
    .max_flat_workgroup_size: 512
    .name:           _ZN7rocprim17ROCPRIM_400000_NS6detail17trampoline_kernelINS0_14default_configENS1_25transform_config_selectorIyLb0EEEZNS1_14transform_implILb0ES3_S5_N6thrust23THRUST_200600_302600_NS6detail15normal_iteratorINS8_10device_ptrIyEEEEPyNS0_8identityIyEEEE10hipError_tT2_T3_mT4_P12ihipStream_tbEUlT_E_NS1_11comp_targetILNS1_3genE9ELNS1_11target_archE1100ELNS1_3gpuE3ELNS1_3repE0EEENS1_30default_config_static_selectorELNS0_4arch9wavefront6targetE1EEEvT1_
    .private_segment_fixed_size: 0
    .sgpr_count:     6
    .sgpr_spill_count: 0
    .symbol:         _ZN7rocprim17ROCPRIM_400000_NS6detail17trampoline_kernelINS0_14default_configENS1_25transform_config_selectorIyLb0EEEZNS1_14transform_implILb0ES3_S5_N6thrust23THRUST_200600_302600_NS6detail15normal_iteratorINS8_10device_ptrIyEEEEPyNS0_8identityIyEEEE10hipError_tT2_T3_mT4_P12ihipStream_tbEUlT_E_NS1_11comp_targetILNS1_3genE9ELNS1_11target_archE1100ELNS1_3gpuE3ELNS1_3repE0EEENS1_30default_config_static_selectorELNS0_4arch9wavefront6targetE1EEEvT1_.kd
    .uniform_work_group_size: 1
    .uses_dynamic_stack: false
    .vgpr_count:     0
    .vgpr_spill_count: 0
    .wavefront_size: 64
  - .agpr_count:     0
    .args:
      - .offset:         0
        .size:           40
        .value_kind:     by_value
    .group_segment_fixed_size: 0
    .kernarg_segment_align: 8
    .kernarg_segment_size: 40
    .language:       OpenCL C
    .language_version:
      - 2
      - 0
    .max_flat_workgroup_size: 512
    .name:           _ZN7rocprim17ROCPRIM_400000_NS6detail17trampoline_kernelINS0_14default_configENS1_25transform_config_selectorIyLb0EEEZNS1_14transform_implILb0ES3_S5_N6thrust23THRUST_200600_302600_NS6detail15normal_iteratorINS8_10device_ptrIyEEEEPyNS0_8identityIyEEEE10hipError_tT2_T3_mT4_P12ihipStream_tbEUlT_E_NS1_11comp_targetILNS1_3genE8ELNS1_11target_archE1030ELNS1_3gpuE2ELNS1_3repE0EEENS1_30default_config_static_selectorELNS0_4arch9wavefront6targetE1EEEvT1_
    .private_segment_fixed_size: 0
    .sgpr_count:     6
    .sgpr_spill_count: 0
    .symbol:         _ZN7rocprim17ROCPRIM_400000_NS6detail17trampoline_kernelINS0_14default_configENS1_25transform_config_selectorIyLb0EEEZNS1_14transform_implILb0ES3_S5_N6thrust23THRUST_200600_302600_NS6detail15normal_iteratorINS8_10device_ptrIyEEEEPyNS0_8identityIyEEEE10hipError_tT2_T3_mT4_P12ihipStream_tbEUlT_E_NS1_11comp_targetILNS1_3genE8ELNS1_11target_archE1030ELNS1_3gpuE2ELNS1_3repE0EEENS1_30default_config_static_selectorELNS0_4arch9wavefront6targetE1EEEvT1_.kd
    .uniform_work_group_size: 1
    .uses_dynamic_stack: false
    .vgpr_count:     0
    .vgpr_spill_count: 0
    .wavefront_size: 64
  - .agpr_count:     0
    .args:
      - .offset:         0
        .size:           88
        .value_kind:     by_value
    .group_segment_fixed_size: 0
    .kernarg_segment_align: 8
    .kernarg_segment_size: 88
    .language:       OpenCL C
    .language_version:
      - 2
      - 0
    .max_flat_workgroup_size: 512
    .name:           _ZN7rocprim17ROCPRIM_400000_NS6detail17trampoline_kernelINS0_14default_configENS1_35radix_sort_onesweep_config_selectorIyNS0_10empty_typeEEEZZNS1_29radix_sort_onesweep_iterationIS3_Lb0EN6thrust23THRUST_200600_302600_NS6detail15normal_iteratorINS9_10device_ptrIyEEEESE_PS5_SF_jNS0_19identity_decomposerENS1_16block_id_wrapperIjLb1EEEEE10hipError_tT1_PNSt15iterator_traitsISK_E10value_typeET2_T3_PNSL_ISQ_E10value_typeET4_T5_PSV_SW_PNS1_23onesweep_lookback_stateEbbT6_jjT7_P12ihipStream_tbENKUlT_T0_SK_SP_E_clISE_SE_SF_SF_EEDaS13_S14_SK_SP_EUlS13_E_NS1_11comp_targetILNS1_3genE0ELNS1_11target_archE4294967295ELNS1_3gpuE0ELNS1_3repE0EEENS1_47radix_sort_onesweep_sort_config_static_selectorELNS0_4arch9wavefront6targetE1EEEvSK_
    .private_segment_fixed_size: 0
    .sgpr_count:     6
    .sgpr_spill_count: 0
    .symbol:         _ZN7rocprim17ROCPRIM_400000_NS6detail17trampoline_kernelINS0_14default_configENS1_35radix_sort_onesweep_config_selectorIyNS0_10empty_typeEEEZZNS1_29radix_sort_onesweep_iterationIS3_Lb0EN6thrust23THRUST_200600_302600_NS6detail15normal_iteratorINS9_10device_ptrIyEEEESE_PS5_SF_jNS0_19identity_decomposerENS1_16block_id_wrapperIjLb1EEEEE10hipError_tT1_PNSt15iterator_traitsISK_E10value_typeET2_T3_PNSL_ISQ_E10value_typeET4_T5_PSV_SW_PNS1_23onesweep_lookback_stateEbbT6_jjT7_P12ihipStream_tbENKUlT_T0_SK_SP_E_clISE_SE_SF_SF_EEDaS13_S14_SK_SP_EUlS13_E_NS1_11comp_targetILNS1_3genE0ELNS1_11target_archE4294967295ELNS1_3gpuE0ELNS1_3repE0EEENS1_47radix_sort_onesweep_sort_config_static_selectorELNS0_4arch9wavefront6targetE1EEEvSK_.kd
    .uniform_work_group_size: 1
    .uses_dynamic_stack: false
    .vgpr_count:     0
    .vgpr_spill_count: 0
    .wavefront_size: 64
  - .agpr_count:     0
    .args:
      - .offset:         0
        .size:           88
        .value_kind:     by_value
    .group_segment_fixed_size: 0
    .kernarg_segment_align: 8
    .kernarg_segment_size: 88
    .language:       OpenCL C
    .language_version:
      - 2
      - 0
    .max_flat_workgroup_size: 512
    .name:           _ZN7rocprim17ROCPRIM_400000_NS6detail17trampoline_kernelINS0_14default_configENS1_35radix_sort_onesweep_config_selectorIyNS0_10empty_typeEEEZZNS1_29radix_sort_onesweep_iterationIS3_Lb0EN6thrust23THRUST_200600_302600_NS6detail15normal_iteratorINS9_10device_ptrIyEEEESE_PS5_SF_jNS0_19identity_decomposerENS1_16block_id_wrapperIjLb1EEEEE10hipError_tT1_PNSt15iterator_traitsISK_E10value_typeET2_T3_PNSL_ISQ_E10value_typeET4_T5_PSV_SW_PNS1_23onesweep_lookback_stateEbbT6_jjT7_P12ihipStream_tbENKUlT_T0_SK_SP_E_clISE_SE_SF_SF_EEDaS13_S14_SK_SP_EUlS13_E_NS1_11comp_targetILNS1_3genE6ELNS1_11target_archE950ELNS1_3gpuE13ELNS1_3repE0EEENS1_47radix_sort_onesweep_sort_config_static_selectorELNS0_4arch9wavefront6targetE1EEEvSK_
    .private_segment_fixed_size: 0
    .sgpr_count:     6
    .sgpr_spill_count: 0
    .symbol:         _ZN7rocprim17ROCPRIM_400000_NS6detail17trampoline_kernelINS0_14default_configENS1_35radix_sort_onesweep_config_selectorIyNS0_10empty_typeEEEZZNS1_29radix_sort_onesweep_iterationIS3_Lb0EN6thrust23THRUST_200600_302600_NS6detail15normal_iteratorINS9_10device_ptrIyEEEESE_PS5_SF_jNS0_19identity_decomposerENS1_16block_id_wrapperIjLb1EEEEE10hipError_tT1_PNSt15iterator_traitsISK_E10value_typeET2_T3_PNSL_ISQ_E10value_typeET4_T5_PSV_SW_PNS1_23onesweep_lookback_stateEbbT6_jjT7_P12ihipStream_tbENKUlT_T0_SK_SP_E_clISE_SE_SF_SF_EEDaS13_S14_SK_SP_EUlS13_E_NS1_11comp_targetILNS1_3genE6ELNS1_11target_archE950ELNS1_3gpuE13ELNS1_3repE0EEENS1_47radix_sort_onesweep_sort_config_static_selectorELNS0_4arch9wavefront6targetE1EEEvSK_.kd
    .uniform_work_group_size: 1
    .uses_dynamic_stack: false
    .vgpr_count:     0
    .vgpr_spill_count: 0
    .wavefront_size: 64
  - .agpr_count:     0
    .args:
      - .offset:         0
        .size:           88
        .value_kind:     by_value
      - .offset:         88
        .size:           4
        .value_kind:     hidden_block_count_x
      - .offset:         92
        .size:           4
        .value_kind:     hidden_block_count_y
      - .offset:         96
        .size:           4
        .value_kind:     hidden_block_count_z
      - .offset:         100
        .size:           2
        .value_kind:     hidden_group_size_x
      - .offset:         102
        .size:           2
        .value_kind:     hidden_group_size_y
      - .offset:         104
        .size:           2
        .value_kind:     hidden_group_size_z
      - .offset:         106
        .size:           2
        .value_kind:     hidden_remainder_x
      - .offset:         108
        .size:           2
        .value_kind:     hidden_remainder_y
      - .offset:         110
        .size:           2
        .value_kind:     hidden_remainder_z
      - .offset:         128
        .size:           8
        .value_kind:     hidden_global_offset_x
      - .offset:         136
        .size:           8
        .value_kind:     hidden_global_offset_y
      - .offset:         144
        .size:           8
        .value_kind:     hidden_global_offset_z
      - .offset:         152
        .size:           2
        .value_kind:     hidden_grid_dims
    .group_segment_fixed_size: 10280
    .kernarg_segment_align: 8
    .kernarg_segment_size: 344
    .language:       OpenCL C
    .language_version:
      - 2
      - 0
    .max_flat_workgroup_size: 512
    .name:           _ZN7rocprim17ROCPRIM_400000_NS6detail17trampoline_kernelINS0_14default_configENS1_35radix_sort_onesweep_config_selectorIyNS0_10empty_typeEEEZZNS1_29radix_sort_onesweep_iterationIS3_Lb0EN6thrust23THRUST_200600_302600_NS6detail15normal_iteratorINS9_10device_ptrIyEEEESE_PS5_SF_jNS0_19identity_decomposerENS1_16block_id_wrapperIjLb1EEEEE10hipError_tT1_PNSt15iterator_traitsISK_E10value_typeET2_T3_PNSL_ISQ_E10value_typeET4_T5_PSV_SW_PNS1_23onesweep_lookback_stateEbbT6_jjT7_P12ihipStream_tbENKUlT_T0_SK_SP_E_clISE_SE_SF_SF_EEDaS13_S14_SK_SP_EUlS13_E_NS1_11comp_targetILNS1_3genE5ELNS1_11target_archE942ELNS1_3gpuE9ELNS1_3repE0EEENS1_47radix_sort_onesweep_sort_config_static_selectorELNS0_4arch9wavefront6targetE1EEEvSK_
    .private_segment_fixed_size: 0
    .sgpr_count:     42
    .sgpr_spill_count: 0
    .symbol:         _ZN7rocprim17ROCPRIM_400000_NS6detail17trampoline_kernelINS0_14default_configENS1_35radix_sort_onesweep_config_selectorIyNS0_10empty_typeEEEZZNS1_29radix_sort_onesweep_iterationIS3_Lb0EN6thrust23THRUST_200600_302600_NS6detail15normal_iteratorINS9_10device_ptrIyEEEESE_PS5_SF_jNS0_19identity_decomposerENS1_16block_id_wrapperIjLb1EEEEE10hipError_tT1_PNSt15iterator_traitsISK_E10value_typeET2_T3_PNSL_ISQ_E10value_typeET4_T5_PSV_SW_PNS1_23onesweep_lookback_stateEbbT6_jjT7_P12ihipStream_tbENKUlT_T0_SK_SP_E_clISE_SE_SF_SF_EEDaS13_S14_SK_SP_EUlS13_E_NS1_11comp_targetILNS1_3genE5ELNS1_11target_archE942ELNS1_3gpuE9ELNS1_3repE0EEENS1_47radix_sort_onesweep_sort_config_static_selectorELNS0_4arch9wavefront6targetE1EEEvSK_.kd
    .uniform_work_group_size: 1
    .uses_dynamic_stack: false
    .vgpr_count:     78
    .vgpr_spill_count: 0
    .wavefront_size: 64
  - .agpr_count:     0
    .args:
      - .offset:         0
        .size:           88
        .value_kind:     by_value
    .group_segment_fixed_size: 0
    .kernarg_segment_align: 8
    .kernarg_segment_size: 88
    .language:       OpenCL C
    .language_version:
      - 2
      - 0
    .max_flat_workgroup_size: 512
    .name:           _ZN7rocprim17ROCPRIM_400000_NS6detail17trampoline_kernelINS0_14default_configENS1_35radix_sort_onesweep_config_selectorIyNS0_10empty_typeEEEZZNS1_29radix_sort_onesweep_iterationIS3_Lb0EN6thrust23THRUST_200600_302600_NS6detail15normal_iteratorINS9_10device_ptrIyEEEESE_PS5_SF_jNS0_19identity_decomposerENS1_16block_id_wrapperIjLb1EEEEE10hipError_tT1_PNSt15iterator_traitsISK_E10value_typeET2_T3_PNSL_ISQ_E10value_typeET4_T5_PSV_SW_PNS1_23onesweep_lookback_stateEbbT6_jjT7_P12ihipStream_tbENKUlT_T0_SK_SP_E_clISE_SE_SF_SF_EEDaS13_S14_SK_SP_EUlS13_E_NS1_11comp_targetILNS1_3genE2ELNS1_11target_archE906ELNS1_3gpuE6ELNS1_3repE0EEENS1_47radix_sort_onesweep_sort_config_static_selectorELNS0_4arch9wavefront6targetE1EEEvSK_
    .private_segment_fixed_size: 0
    .sgpr_count:     6
    .sgpr_spill_count: 0
    .symbol:         _ZN7rocprim17ROCPRIM_400000_NS6detail17trampoline_kernelINS0_14default_configENS1_35radix_sort_onesweep_config_selectorIyNS0_10empty_typeEEEZZNS1_29radix_sort_onesweep_iterationIS3_Lb0EN6thrust23THRUST_200600_302600_NS6detail15normal_iteratorINS9_10device_ptrIyEEEESE_PS5_SF_jNS0_19identity_decomposerENS1_16block_id_wrapperIjLb1EEEEE10hipError_tT1_PNSt15iterator_traitsISK_E10value_typeET2_T3_PNSL_ISQ_E10value_typeET4_T5_PSV_SW_PNS1_23onesweep_lookback_stateEbbT6_jjT7_P12ihipStream_tbENKUlT_T0_SK_SP_E_clISE_SE_SF_SF_EEDaS13_S14_SK_SP_EUlS13_E_NS1_11comp_targetILNS1_3genE2ELNS1_11target_archE906ELNS1_3gpuE6ELNS1_3repE0EEENS1_47radix_sort_onesweep_sort_config_static_selectorELNS0_4arch9wavefront6targetE1EEEvSK_.kd
    .uniform_work_group_size: 1
    .uses_dynamic_stack: false
    .vgpr_count:     0
    .vgpr_spill_count: 0
    .wavefront_size: 64
  - .agpr_count:     0
    .args:
      - .offset:         0
        .size:           88
        .value_kind:     by_value
    .group_segment_fixed_size: 0
    .kernarg_segment_align: 8
    .kernarg_segment_size: 88
    .language:       OpenCL C
    .language_version:
      - 2
      - 0
    .max_flat_workgroup_size: 1024
    .name:           _ZN7rocprim17ROCPRIM_400000_NS6detail17trampoline_kernelINS0_14default_configENS1_35radix_sort_onesweep_config_selectorIyNS0_10empty_typeEEEZZNS1_29radix_sort_onesweep_iterationIS3_Lb0EN6thrust23THRUST_200600_302600_NS6detail15normal_iteratorINS9_10device_ptrIyEEEESE_PS5_SF_jNS0_19identity_decomposerENS1_16block_id_wrapperIjLb1EEEEE10hipError_tT1_PNSt15iterator_traitsISK_E10value_typeET2_T3_PNSL_ISQ_E10value_typeET4_T5_PSV_SW_PNS1_23onesweep_lookback_stateEbbT6_jjT7_P12ihipStream_tbENKUlT_T0_SK_SP_E_clISE_SE_SF_SF_EEDaS13_S14_SK_SP_EUlS13_E_NS1_11comp_targetILNS1_3genE4ELNS1_11target_archE910ELNS1_3gpuE8ELNS1_3repE0EEENS1_47radix_sort_onesweep_sort_config_static_selectorELNS0_4arch9wavefront6targetE1EEEvSK_
    .private_segment_fixed_size: 0
    .sgpr_count:     6
    .sgpr_spill_count: 0
    .symbol:         _ZN7rocprim17ROCPRIM_400000_NS6detail17trampoline_kernelINS0_14default_configENS1_35radix_sort_onesweep_config_selectorIyNS0_10empty_typeEEEZZNS1_29radix_sort_onesweep_iterationIS3_Lb0EN6thrust23THRUST_200600_302600_NS6detail15normal_iteratorINS9_10device_ptrIyEEEESE_PS5_SF_jNS0_19identity_decomposerENS1_16block_id_wrapperIjLb1EEEEE10hipError_tT1_PNSt15iterator_traitsISK_E10value_typeET2_T3_PNSL_ISQ_E10value_typeET4_T5_PSV_SW_PNS1_23onesweep_lookback_stateEbbT6_jjT7_P12ihipStream_tbENKUlT_T0_SK_SP_E_clISE_SE_SF_SF_EEDaS13_S14_SK_SP_EUlS13_E_NS1_11comp_targetILNS1_3genE4ELNS1_11target_archE910ELNS1_3gpuE8ELNS1_3repE0EEENS1_47radix_sort_onesweep_sort_config_static_selectorELNS0_4arch9wavefront6targetE1EEEvSK_.kd
    .uniform_work_group_size: 1
    .uses_dynamic_stack: false
    .vgpr_count:     0
    .vgpr_spill_count: 0
    .wavefront_size: 64
  - .agpr_count:     0
    .args:
      - .offset:         0
        .size:           88
        .value_kind:     by_value
    .group_segment_fixed_size: 0
    .kernarg_segment_align: 8
    .kernarg_segment_size: 88
    .language:       OpenCL C
    .language_version:
      - 2
      - 0
    .max_flat_workgroup_size: 512
    .name:           _ZN7rocprim17ROCPRIM_400000_NS6detail17trampoline_kernelINS0_14default_configENS1_35radix_sort_onesweep_config_selectorIyNS0_10empty_typeEEEZZNS1_29radix_sort_onesweep_iterationIS3_Lb0EN6thrust23THRUST_200600_302600_NS6detail15normal_iteratorINS9_10device_ptrIyEEEESE_PS5_SF_jNS0_19identity_decomposerENS1_16block_id_wrapperIjLb1EEEEE10hipError_tT1_PNSt15iterator_traitsISK_E10value_typeET2_T3_PNSL_ISQ_E10value_typeET4_T5_PSV_SW_PNS1_23onesweep_lookback_stateEbbT6_jjT7_P12ihipStream_tbENKUlT_T0_SK_SP_E_clISE_SE_SF_SF_EEDaS13_S14_SK_SP_EUlS13_E_NS1_11comp_targetILNS1_3genE3ELNS1_11target_archE908ELNS1_3gpuE7ELNS1_3repE0EEENS1_47radix_sort_onesweep_sort_config_static_selectorELNS0_4arch9wavefront6targetE1EEEvSK_
    .private_segment_fixed_size: 0
    .sgpr_count:     6
    .sgpr_spill_count: 0
    .symbol:         _ZN7rocprim17ROCPRIM_400000_NS6detail17trampoline_kernelINS0_14default_configENS1_35radix_sort_onesweep_config_selectorIyNS0_10empty_typeEEEZZNS1_29radix_sort_onesweep_iterationIS3_Lb0EN6thrust23THRUST_200600_302600_NS6detail15normal_iteratorINS9_10device_ptrIyEEEESE_PS5_SF_jNS0_19identity_decomposerENS1_16block_id_wrapperIjLb1EEEEE10hipError_tT1_PNSt15iterator_traitsISK_E10value_typeET2_T3_PNSL_ISQ_E10value_typeET4_T5_PSV_SW_PNS1_23onesweep_lookback_stateEbbT6_jjT7_P12ihipStream_tbENKUlT_T0_SK_SP_E_clISE_SE_SF_SF_EEDaS13_S14_SK_SP_EUlS13_E_NS1_11comp_targetILNS1_3genE3ELNS1_11target_archE908ELNS1_3gpuE7ELNS1_3repE0EEENS1_47radix_sort_onesweep_sort_config_static_selectorELNS0_4arch9wavefront6targetE1EEEvSK_.kd
    .uniform_work_group_size: 1
    .uses_dynamic_stack: false
    .vgpr_count:     0
    .vgpr_spill_count: 0
    .wavefront_size: 64
  - .agpr_count:     0
    .args:
      - .offset:         0
        .size:           88
        .value_kind:     by_value
    .group_segment_fixed_size: 0
    .kernarg_segment_align: 8
    .kernarg_segment_size: 88
    .language:       OpenCL C
    .language_version:
      - 2
      - 0
    .max_flat_workgroup_size: 512
    .name:           _ZN7rocprim17ROCPRIM_400000_NS6detail17trampoline_kernelINS0_14default_configENS1_35radix_sort_onesweep_config_selectorIyNS0_10empty_typeEEEZZNS1_29radix_sort_onesweep_iterationIS3_Lb0EN6thrust23THRUST_200600_302600_NS6detail15normal_iteratorINS9_10device_ptrIyEEEESE_PS5_SF_jNS0_19identity_decomposerENS1_16block_id_wrapperIjLb1EEEEE10hipError_tT1_PNSt15iterator_traitsISK_E10value_typeET2_T3_PNSL_ISQ_E10value_typeET4_T5_PSV_SW_PNS1_23onesweep_lookback_stateEbbT6_jjT7_P12ihipStream_tbENKUlT_T0_SK_SP_E_clISE_SE_SF_SF_EEDaS13_S14_SK_SP_EUlS13_E_NS1_11comp_targetILNS1_3genE10ELNS1_11target_archE1201ELNS1_3gpuE5ELNS1_3repE0EEENS1_47radix_sort_onesweep_sort_config_static_selectorELNS0_4arch9wavefront6targetE1EEEvSK_
    .private_segment_fixed_size: 0
    .sgpr_count:     6
    .sgpr_spill_count: 0
    .symbol:         _ZN7rocprim17ROCPRIM_400000_NS6detail17trampoline_kernelINS0_14default_configENS1_35radix_sort_onesweep_config_selectorIyNS0_10empty_typeEEEZZNS1_29radix_sort_onesweep_iterationIS3_Lb0EN6thrust23THRUST_200600_302600_NS6detail15normal_iteratorINS9_10device_ptrIyEEEESE_PS5_SF_jNS0_19identity_decomposerENS1_16block_id_wrapperIjLb1EEEEE10hipError_tT1_PNSt15iterator_traitsISK_E10value_typeET2_T3_PNSL_ISQ_E10value_typeET4_T5_PSV_SW_PNS1_23onesweep_lookback_stateEbbT6_jjT7_P12ihipStream_tbENKUlT_T0_SK_SP_E_clISE_SE_SF_SF_EEDaS13_S14_SK_SP_EUlS13_E_NS1_11comp_targetILNS1_3genE10ELNS1_11target_archE1201ELNS1_3gpuE5ELNS1_3repE0EEENS1_47radix_sort_onesweep_sort_config_static_selectorELNS0_4arch9wavefront6targetE1EEEvSK_.kd
    .uniform_work_group_size: 1
    .uses_dynamic_stack: false
    .vgpr_count:     0
    .vgpr_spill_count: 0
    .wavefront_size: 64
  - .agpr_count:     0
    .args:
      - .offset:         0
        .size:           88
        .value_kind:     by_value
    .group_segment_fixed_size: 0
    .kernarg_segment_align: 8
    .kernarg_segment_size: 88
    .language:       OpenCL C
    .language_version:
      - 2
      - 0
    .max_flat_workgroup_size: 1024
    .name:           _ZN7rocprim17ROCPRIM_400000_NS6detail17trampoline_kernelINS0_14default_configENS1_35radix_sort_onesweep_config_selectorIyNS0_10empty_typeEEEZZNS1_29radix_sort_onesweep_iterationIS3_Lb0EN6thrust23THRUST_200600_302600_NS6detail15normal_iteratorINS9_10device_ptrIyEEEESE_PS5_SF_jNS0_19identity_decomposerENS1_16block_id_wrapperIjLb1EEEEE10hipError_tT1_PNSt15iterator_traitsISK_E10value_typeET2_T3_PNSL_ISQ_E10value_typeET4_T5_PSV_SW_PNS1_23onesweep_lookback_stateEbbT6_jjT7_P12ihipStream_tbENKUlT_T0_SK_SP_E_clISE_SE_SF_SF_EEDaS13_S14_SK_SP_EUlS13_E_NS1_11comp_targetILNS1_3genE9ELNS1_11target_archE1100ELNS1_3gpuE3ELNS1_3repE0EEENS1_47radix_sort_onesweep_sort_config_static_selectorELNS0_4arch9wavefront6targetE1EEEvSK_
    .private_segment_fixed_size: 0
    .sgpr_count:     6
    .sgpr_spill_count: 0
    .symbol:         _ZN7rocprim17ROCPRIM_400000_NS6detail17trampoline_kernelINS0_14default_configENS1_35radix_sort_onesweep_config_selectorIyNS0_10empty_typeEEEZZNS1_29radix_sort_onesweep_iterationIS3_Lb0EN6thrust23THRUST_200600_302600_NS6detail15normal_iteratorINS9_10device_ptrIyEEEESE_PS5_SF_jNS0_19identity_decomposerENS1_16block_id_wrapperIjLb1EEEEE10hipError_tT1_PNSt15iterator_traitsISK_E10value_typeET2_T3_PNSL_ISQ_E10value_typeET4_T5_PSV_SW_PNS1_23onesweep_lookback_stateEbbT6_jjT7_P12ihipStream_tbENKUlT_T0_SK_SP_E_clISE_SE_SF_SF_EEDaS13_S14_SK_SP_EUlS13_E_NS1_11comp_targetILNS1_3genE9ELNS1_11target_archE1100ELNS1_3gpuE3ELNS1_3repE0EEENS1_47radix_sort_onesweep_sort_config_static_selectorELNS0_4arch9wavefront6targetE1EEEvSK_.kd
    .uniform_work_group_size: 1
    .uses_dynamic_stack: false
    .vgpr_count:     0
    .vgpr_spill_count: 0
    .wavefront_size: 64
  - .agpr_count:     0
    .args:
      - .offset:         0
        .size:           88
        .value_kind:     by_value
    .group_segment_fixed_size: 0
    .kernarg_segment_align: 8
    .kernarg_segment_size: 88
    .language:       OpenCL C
    .language_version:
      - 2
      - 0
    .max_flat_workgroup_size: 1024
    .name:           _ZN7rocprim17ROCPRIM_400000_NS6detail17trampoline_kernelINS0_14default_configENS1_35radix_sort_onesweep_config_selectorIyNS0_10empty_typeEEEZZNS1_29radix_sort_onesweep_iterationIS3_Lb0EN6thrust23THRUST_200600_302600_NS6detail15normal_iteratorINS9_10device_ptrIyEEEESE_PS5_SF_jNS0_19identity_decomposerENS1_16block_id_wrapperIjLb1EEEEE10hipError_tT1_PNSt15iterator_traitsISK_E10value_typeET2_T3_PNSL_ISQ_E10value_typeET4_T5_PSV_SW_PNS1_23onesweep_lookback_stateEbbT6_jjT7_P12ihipStream_tbENKUlT_T0_SK_SP_E_clISE_SE_SF_SF_EEDaS13_S14_SK_SP_EUlS13_E_NS1_11comp_targetILNS1_3genE8ELNS1_11target_archE1030ELNS1_3gpuE2ELNS1_3repE0EEENS1_47radix_sort_onesweep_sort_config_static_selectorELNS0_4arch9wavefront6targetE1EEEvSK_
    .private_segment_fixed_size: 0
    .sgpr_count:     6
    .sgpr_spill_count: 0
    .symbol:         _ZN7rocprim17ROCPRIM_400000_NS6detail17trampoline_kernelINS0_14default_configENS1_35radix_sort_onesweep_config_selectorIyNS0_10empty_typeEEEZZNS1_29radix_sort_onesweep_iterationIS3_Lb0EN6thrust23THRUST_200600_302600_NS6detail15normal_iteratorINS9_10device_ptrIyEEEESE_PS5_SF_jNS0_19identity_decomposerENS1_16block_id_wrapperIjLb1EEEEE10hipError_tT1_PNSt15iterator_traitsISK_E10value_typeET2_T3_PNSL_ISQ_E10value_typeET4_T5_PSV_SW_PNS1_23onesweep_lookback_stateEbbT6_jjT7_P12ihipStream_tbENKUlT_T0_SK_SP_E_clISE_SE_SF_SF_EEDaS13_S14_SK_SP_EUlS13_E_NS1_11comp_targetILNS1_3genE8ELNS1_11target_archE1030ELNS1_3gpuE2ELNS1_3repE0EEENS1_47radix_sort_onesweep_sort_config_static_selectorELNS0_4arch9wavefront6targetE1EEEvSK_.kd
    .uniform_work_group_size: 1
    .uses_dynamic_stack: false
    .vgpr_count:     0
    .vgpr_spill_count: 0
    .wavefront_size: 64
  - .agpr_count:     0
    .args:
      - .offset:         0
        .size:           88
        .value_kind:     by_value
    .group_segment_fixed_size: 0
    .kernarg_segment_align: 8
    .kernarg_segment_size: 88
    .language:       OpenCL C
    .language_version:
      - 2
      - 0
    .max_flat_workgroup_size: 512
    .name:           _ZN7rocprim17ROCPRIM_400000_NS6detail17trampoline_kernelINS0_14default_configENS1_35radix_sort_onesweep_config_selectorIyNS0_10empty_typeEEEZZNS1_29radix_sort_onesweep_iterationIS3_Lb0EN6thrust23THRUST_200600_302600_NS6detail15normal_iteratorINS9_10device_ptrIyEEEESE_PS5_SF_jNS0_19identity_decomposerENS1_16block_id_wrapperIjLb1EEEEE10hipError_tT1_PNSt15iterator_traitsISK_E10value_typeET2_T3_PNSL_ISQ_E10value_typeET4_T5_PSV_SW_PNS1_23onesweep_lookback_stateEbbT6_jjT7_P12ihipStream_tbENKUlT_T0_SK_SP_E_clISE_PySF_SF_EEDaS13_S14_SK_SP_EUlS13_E_NS1_11comp_targetILNS1_3genE0ELNS1_11target_archE4294967295ELNS1_3gpuE0ELNS1_3repE0EEENS1_47radix_sort_onesweep_sort_config_static_selectorELNS0_4arch9wavefront6targetE1EEEvSK_
    .private_segment_fixed_size: 0
    .sgpr_count:     6
    .sgpr_spill_count: 0
    .symbol:         _ZN7rocprim17ROCPRIM_400000_NS6detail17trampoline_kernelINS0_14default_configENS1_35radix_sort_onesweep_config_selectorIyNS0_10empty_typeEEEZZNS1_29radix_sort_onesweep_iterationIS3_Lb0EN6thrust23THRUST_200600_302600_NS6detail15normal_iteratorINS9_10device_ptrIyEEEESE_PS5_SF_jNS0_19identity_decomposerENS1_16block_id_wrapperIjLb1EEEEE10hipError_tT1_PNSt15iterator_traitsISK_E10value_typeET2_T3_PNSL_ISQ_E10value_typeET4_T5_PSV_SW_PNS1_23onesweep_lookback_stateEbbT6_jjT7_P12ihipStream_tbENKUlT_T0_SK_SP_E_clISE_PySF_SF_EEDaS13_S14_SK_SP_EUlS13_E_NS1_11comp_targetILNS1_3genE0ELNS1_11target_archE4294967295ELNS1_3gpuE0ELNS1_3repE0EEENS1_47radix_sort_onesweep_sort_config_static_selectorELNS0_4arch9wavefront6targetE1EEEvSK_.kd
    .uniform_work_group_size: 1
    .uses_dynamic_stack: false
    .vgpr_count:     0
    .vgpr_spill_count: 0
    .wavefront_size: 64
  - .agpr_count:     0
    .args:
      - .offset:         0
        .size:           88
        .value_kind:     by_value
    .group_segment_fixed_size: 0
    .kernarg_segment_align: 8
    .kernarg_segment_size: 88
    .language:       OpenCL C
    .language_version:
      - 2
      - 0
    .max_flat_workgroup_size: 512
    .name:           _ZN7rocprim17ROCPRIM_400000_NS6detail17trampoline_kernelINS0_14default_configENS1_35radix_sort_onesweep_config_selectorIyNS0_10empty_typeEEEZZNS1_29radix_sort_onesweep_iterationIS3_Lb0EN6thrust23THRUST_200600_302600_NS6detail15normal_iteratorINS9_10device_ptrIyEEEESE_PS5_SF_jNS0_19identity_decomposerENS1_16block_id_wrapperIjLb1EEEEE10hipError_tT1_PNSt15iterator_traitsISK_E10value_typeET2_T3_PNSL_ISQ_E10value_typeET4_T5_PSV_SW_PNS1_23onesweep_lookback_stateEbbT6_jjT7_P12ihipStream_tbENKUlT_T0_SK_SP_E_clISE_PySF_SF_EEDaS13_S14_SK_SP_EUlS13_E_NS1_11comp_targetILNS1_3genE6ELNS1_11target_archE950ELNS1_3gpuE13ELNS1_3repE0EEENS1_47radix_sort_onesweep_sort_config_static_selectorELNS0_4arch9wavefront6targetE1EEEvSK_
    .private_segment_fixed_size: 0
    .sgpr_count:     6
    .sgpr_spill_count: 0
    .symbol:         _ZN7rocprim17ROCPRIM_400000_NS6detail17trampoline_kernelINS0_14default_configENS1_35radix_sort_onesweep_config_selectorIyNS0_10empty_typeEEEZZNS1_29radix_sort_onesweep_iterationIS3_Lb0EN6thrust23THRUST_200600_302600_NS6detail15normal_iteratorINS9_10device_ptrIyEEEESE_PS5_SF_jNS0_19identity_decomposerENS1_16block_id_wrapperIjLb1EEEEE10hipError_tT1_PNSt15iterator_traitsISK_E10value_typeET2_T3_PNSL_ISQ_E10value_typeET4_T5_PSV_SW_PNS1_23onesweep_lookback_stateEbbT6_jjT7_P12ihipStream_tbENKUlT_T0_SK_SP_E_clISE_PySF_SF_EEDaS13_S14_SK_SP_EUlS13_E_NS1_11comp_targetILNS1_3genE6ELNS1_11target_archE950ELNS1_3gpuE13ELNS1_3repE0EEENS1_47radix_sort_onesweep_sort_config_static_selectorELNS0_4arch9wavefront6targetE1EEEvSK_.kd
    .uniform_work_group_size: 1
    .uses_dynamic_stack: false
    .vgpr_count:     0
    .vgpr_spill_count: 0
    .wavefront_size: 64
  - .agpr_count:     0
    .args:
      - .offset:         0
        .size:           88
        .value_kind:     by_value
      - .offset:         88
        .size:           4
        .value_kind:     hidden_block_count_x
      - .offset:         92
        .size:           4
        .value_kind:     hidden_block_count_y
      - .offset:         96
        .size:           4
        .value_kind:     hidden_block_count_z
      - .offset:         100
        .size:           2
        .value_kind:     hidden_group_size_x
      - .offset:         102
        .size:           2
        .value_kind:     hidden_group_size_y
      - .offset:         104
        .size:           2
        .value_kind:     hidden_group_size_z
      - .offset:         106
        .size:           2
        .value_kind:     hidden_remainder_x
      - .offset:         108
        .size:           2
        .value_kind:     hidden_remainder_y
      - .offset:         110
        .size:           2
        .value_kind:     hidden_remainder_z
      - .offset:         128
        .size:           8
        .value_kind:     hidden_global_offset_x
      - .offset:         136
        .size:           8
        .value_kind:     hidden_global_offset_y
      - .offset:         144
        .size:           8
        .value_kind:     hidden_global_offset_z
      - .offset:         152
        .size:           2
        .value_kind:     hidden_grid_dims
    .group_segment_fixed_size: 10280
    .kernarg_segment_align: 8
    .kernarg_segment_size: 344
    .language:       OpenCL C
    .language_version:
      - 2
      - 0
    .max_flat_workgroup_size: 512
    .name:           _ZN7rocprim17ROCPRIM_400000_NS6detail17trampoline_kernelINS0_14default_configENS1_35radix_sort_onesweep_config_selectorIyNS0_10empty_typeEEEZZNS1_29radix_sort_onesweep_iterationIS3_Lb0EN6thrust23THRUST_200600_302600_NS6detail15normal_iteratorINS9_10device_ptrIyEEEESE_PS5_SF_jNS0_19identity_decomposerENS1_16block_id_wrapperIjLb1EEEEE10hipError_tT1_PNSt15iterator_traitsISK_E10value_typeET2_T3_PNSL_ISQ_E10value_typeET4_T5_PSV_SW_PNS1_23onesweep_lookback_stateEbbT6_jjT7_P12ihipStream_tbENKUlT_T0_SK_SP_E_clISE_PySF_SF_EEDaS13_S14_SK_SP_EUlS13_E_NS1_11comp_targetILNS1_3genE5ELNS1_11target_archE942ELNS1_3gpuE9ELNS1_3repE0EEENS1_47radix_sort_onesweep_sort_config_static_selectorELNS0_4arch9wavefront6targetE1EEEvSK_
    .private_segment_fixed_size: 0
    .sgpr_count:     42
    .sgpr_spill_count: 0
    .symbol:         _ZN7rocprim17ROCPRIM_400000_NS6detail17trampoline_kernelINS0_14default_configENS1_35radix_sort_onesweep_config_selectorIyNS0_10empty_typeEEEZZNS1_29radix_sort_onesweep_iterationIS3_Lb0EN6thrust23THRUST_200600_302600_NS6detail15normal_iteratorINS9_10device_ptrIyEEEESE_PS5_SF_jNS0_19identity_decomposerENS1_16block_id_wrapperIjLb1EEEEE10hipError_tT1_PNSt15iterator_traitsISK_E10value_typeET2_T3_PNSL_ISQ_E10value_typeET4_T5_PSV_SW_PNS1_23onesweep_lookback_stateEbbT6_jjT7_P12ihipStream_tbENKUlT_T0_SK_SP_E_clISE_PySF_SF_EEDaS13_S14_SK_SP_EUlS13_E_NS1_11comp_targetILNS1_3genE5ELNS1_11target_archE942ELNS1_3gpuE9ELNS1_3repE0EEENS1_47radix_sort_onesweep_sort_config_static_selectorELNS0_4arch9wavefront6targetE1EEEvSK_.kd
    .uniform_work_group_size: 1
    .uses_dynamic_stack: false
    .vgpr_count:     78
    .vgpr_spill_count: 0
    .wavefront_size: 64
  - .agpr_count:     0
    .args:
      - .offset:         0
        .size:           88
        .value_kind:     by_value
    .group_segment_fixed_size: 0
    .kernarg_segment_align: 8
    .kernarg_segment_size: 88
    .language:       OpenCL C
    .language_version:
      - 2
      - 0
    .max_flat_workgroup_size: 512
    .name:           _ZN7rocprim17ROCPRIM_400000_NS6detail17trampoline_kernelINS0_14default_configENS1_35radix_sort_onesweep_config_selectorIyNS0_10empty_typeEEEZZNS1_29radix_sort_onesweep_iterationIS3_Lb0EN6thrust23THRUST_200600_302600_NS6detail15normal_iteratorINS9_10device_ptrIyEEEESE_PS5_SF_jNS0_19identity_decomposerENS1_16block_id_wrapperIjLb1EEEEE10hipError_tT1_PNSt15iterator_traitsISK_E10value_typeET2_T3_PNSL_ISQ_E10value_typeET4_T5_PSV_SW_PNS1_23onesweep_lookback_stateEbbT6_jjT7_P12ihipStream_tbENKUlT_T0_SK_SP_E_clISE_PySF_SF_EEDaS13_S14_SK_SP_EUlS13_E_NS1_11comp_targetILNS1_3genE2ELNS1_11target_archE906ELNS1_3gpuE6ELNS1_3repE0EEENS1_47radix_sort_onesweep_sort_config_static_selectorELNS0_4arch9wavefront6targetE1EEEvSK_
    .private_segment_fixed_size: 0
    .sgpr_count:     6
    .sgpr_spill_count: 0
    .symbol:         _ZN7rocprim17ROCPRIM_400000_NS6detail17trampoline_kernelINS0_14default_configENS1_35radix_sort_onesweep_config_selectorIyNS0_10empty_typeEEEZZNS1_29radix_sort_onesweep_iterationIS3_Lb0EN6thrust23THRUST_200600_302600_NS6detail15normal_iteratorINS9_10device_ptrIyEEEESE_PS5_SF_jNS0_19identity_decomposerENS1_16block_id_wrapperIjLb1EEEEE10hipError_tT1_PNSt15iterator_traitsISK_E10value_typeET2_T3_PNSL_ISQ_E10value_typeET4_T5_PSV_SW_PNS1_23onesweep_lookback_stateEbbT6_jjT7_P12ihipStream_tbENKUlT_T0_SK_SP_E_clISE_PySF_SF_EEDaS13_S14_SK_SP_EUlS13_E_NS1_11comp_targetILNS1_3genE2ELNS1_11target_archE906ELNS1_3gpuE6ELNS1_3repE0EEENS1_47radix_sort_onesweep_sort_config_static_selectorELNS0_4arch9wavefront6targetE1EEEvSK_.kd
    .uniform_work_group_size: 1
    .uses_dynamic_stack: false
    .vgpr_count:     0
    .vgpr_spill_count: 0
    .wavefront_size: 64
  - .agpr_count:     0
    .args:
      - .offset:         0
        .size:           88
        .value_kind:     by_value
    .group_segment_fixed_size: 0
    .kernarg_segment_align: 8
    .kernarg_segment_size: 88
    .language:       OpenCL C
    .language_version:
      - 2
      - 0
    .max_flat_workgroup_size: 1024
    .name:           _ZN7rocprim17ROCPRIM_400000_NS6detail17trampoline_kernelINS0_14default_configENS1_35radix_sort_onesweep_config_selectorIyNS0_10empty_typeEEEZZNS1_29radix_sort_onesweep_iterationIS3_Lb0EN6thrust23THRUST_200600_302600_NS6detail15normal_iteratorINS9_10device_ptrIyEEEESE_PS5_SF_jNS0_19identity_decomposerENS1_16block_id_wrapperIjLb1EEEEE10hipError_tT1_PNSt15iterator_traitsISK_E10value_typeET2_T3_PNSL_ISQ_E10value_typeET4_T5_PSV_SW_PNS1_23onesweep_lookback_stateEbbT6_jjT7_P12ihipStream_tbENKUlT_T0_SK_SP_E_clISE_PySF_SF_EEDaS13_S14_SK_SP_EUlS13_E_NS1_11comp_targetILNS1_3genE4ELNS1_11target_archE910ELNS1_3gpuE8ELNS1_3repE0EEENS1_47radix_sort_onesweep_sort_config_static_selectorELNS0_4arch9wavefront6targetE1EEEvSK_
    .private_segment_fixed_size: 0
    .sgpr_count:     6
    .sgpr_spill_count: 0
    .symbol:         _ZN7rocprim17ROCPRIM_400000_NS6detail17trampoline_kernelINS0_14default_configENS1_35radix_sort_onesweep_config_selectorIyNS0_10empty_typeEEEZZNS1_29radix_sort_onesweep_iterationIS3_Lb0EN6thrust23THRUST_200600_302600_NS6detail15normal_iteratorINS9_10device_ptrIyEEEESE_PS5_SF_jNS0_19identity_decomposerENS1_16block_id_wrapperIjLb1EEEEE10hipError_tT1_PNSt15iterator_traitsISK_E10value_typeET2_T3_PNSL_ISQ_E10value_typeET4_T5_PSV_SW_PNS1_23onesweep_lookback_stateEbbT6_jjT7_P12ihipStream_tbENKUlT_T0_SK_SP_E_clISE_PySF_SF_EEDaS13_S14_SK_SP_EUlS13_E_NS1_11comp_targetILNS1_3genE4ELNS1_11target_archE910ELNS1_3gpuE8ELNS1_3repE0EEENS1_47radix_sort_onesweep_sort_config_static_selectorELNS0_4arch9wavefront6targetE1EEEvSK_.kd
    .uniform_work_group_size: 1
    .uses_dynamic_stack: false
    .vgpr_count:     0
    .vgpr_spill_count: 0
    .wavefront_size: 64
  - .agpr_count:     0
    .args:
      - .offset:         0
        .size:           88
        .value_kind:     by_value
    .group_segment_fixed_size: 0
    .kernarg_segment_align: 8
    .kernarg_segment_size: 88
    .language:       OpenCL C
    .language_version:
      - 2
      - 0
    .max_flat_workgroup_size: 512
    .name:           _ZN7rocprim17ROCPRIM_400000_NS6detail17trampoline_kernelINS0_14default_configENS1_35radix_sort_onesweep_config_selectorIyNS0_10empty_typeEEEZZNS1_29radix_sort_onesweep_iterationIS3_Lb0EN6thrust23THRUST_200600_302600_NS6detail15normal_iteratorINS9_10device_ptrIyEEEESE_PS5_SF_jNS0_19identity_decomposerENS1_16block_id_wrapperIjLb1EEEEE10hipError_tT1_PNSt15iterator_traitsISK_E10value_typeET2_T3_PNSL_ISQ_E10value_typeET4_T5_PSV_SW_PNS1_23onesweep_lookback_stateEbbT6_jjT7_P12ihipStream_tbENKUlT_T0_SK_SP_E_clISE_PySF_SF_EEDaS13_S14_SK_SP_EUlS13_E_NS1_11comp_targetILNS1_3genE3ELNS1_11target_archE908ELNS1_3gpuE7ELNS1_3repE0EEENS1_47radix_sort_onesweep_sort_config_static_selectorELNS0_4arch9wavefront6targetE1EEEvSK_
    .private_segment_fixed_size: 0
    .sgpr_count:     6
    .sgpr_spill_count: 0
    .symbol:         _ZN7rocprim17ROCPRIM_400000_NS6detail17trampoline_kernelINS0_14default_configENS1_35radix_sort_onesweep_config_selectorIyNS0_10empty_typeEEEZZNS1_29radix_sort_onesweep_iterationIS3_Lb0EN6thrust23THRUST_200600_302600_NS6detail15normal_iteratorINS9_10device_ptrIyEEEESE_PS5_SF_jNS0_19identity_decomposerENS1_16block_id_wrapperIjLb1EEEEE10hipError_tT1_PNSt15iterator_traitsISK_E10value_typeET2_T3_PNSL_ISQ_E10value_typeET4_T5_PSV_SW_PNS1_23onesweep_lookback_stateEbbT6_jjT7_P12ihipStream_tbENKUlT_T0_SK_SP_E_clISE_PySF_SF_EEDaS13_S14_SK_SP_EUlS13_E_NS1_11comp_targetILNS1_3genE3ELNS1_11target_archE908ELNS1_3gpuE7ELNS1_3repE0EEENS1_47radix_sort_onesweep_sort_config_static_selectorELNS0_4arch9wavefront6targetE1EEEvSK_.kd
    .uniform_work_group_size: 1
    .uses_dynamic_stack: false
    .vgpr_count:     0
    .vgpr_spill_count: 0
    .wavefront_size: 64
  - .agpr_count:     0
    .args:
      - .offset:         0
        .size:           88
        .value_kind:     by_value
    .group_segment_fixed_size: 0
    .kernarg_segment_align: 8
    .kernarg_segment_size: 88
    .language:       OpenCL C
    .language_version:
      - 2
      - 0
    .max_flat_workgroup_size: 512
    .name:           _ZN7rocprim17ROCPRIM_400000_NS6detail17trampoline_kernelINS0_14default_configENS1_35radix_sort_onesweep_config_selectorIyNS0_10empty_typeEEEZZNS1_29radix_sort_onesweep_iterationIS3_Lb0EN6thrust23THRUST_200600_302600_NS6detail15normal_iteratorINS9_10device_ptrIyEEEESE_PS5_SF_jNS0_19identity_decomposerENS1_16block_id_wrapperIjLb1EEEEE10hipError_tT1_PNSt15iterator_traitsISK_E10value_typeET2_T3_PNSL_ISQ_E10value_typeET4_T5_PSV_SW_PNS1_23onesweep_lookback_stateEbbT6_jjT7_P12ihipStream_tbENKUlT_T0_SK_SP_E_clISE_PySF_SF_EEDaS13_S14_SK_SP_EUlS13_E_NS1_11comp_targetILNS1_3genE10ELNS1_11target_archE1201ELNS1_3gpuE5ELNS1_3repE0EEENS1_47radix_sort_onesweep_sort_config_static_selectorELNS0_4arch9wavefront6targetE1EEEvSK_
    .private_segment_fixed_size: 0
    .sgpr_count:     6
    .sgpr_spill_count: 0
    .symbol:         _ZN7rocprim17ROCPRIM_400000_NS6detail17trampoline_kernelINS0_14default_configENS1_35radix_sort_onesweep_config_selectorIyNS0_10empty_typeEEEZZNS1_29radix_sort_onesweep_iterationIS3_Lb0EN6thrust23THRUST_200600_302600_NS6detail15normal_iteratorINS9_10device_ptrIyEEEESE_PS5_SF_jNS0_19identity_decomposerENS1_16block_id_wrapperIjLb1EEEEE10hipError_tT1_PNSt15iterator_traitsISK_E10value_typeET2_T3_PNSL_ISQ_E10value_typeET4_T5_PSV_SW_PNS1_23onesweep_lookback_stateEbbT6_jjT7_P12ihipStream_tbENKUlT_T0_SK_SP_E_clISE_PySF_SF_EEDaS13_S14_SK_SP_EUlS13_E_NS1_11comp_targetILNS1_3genE10ELNS1_11target_archE1201ELNS1_3gpuE5ELNS1_3repE0EEENS1_47radix_sort_onesweep_sort_config_static_selectorELNS0_4arch9wavefront6targetE1EEEvSK_.kd
    .uniform_work_group_size: 1
    .uses_dynamic_stack: false
    .vgpr_count:     0
    .vgpr_spill_count: 0
    .wavefront_size: 64
  - .agpr_count:     0
    .args:
      - .offset:         0
        .size:           88
        .value_kind:     by_value
    .group_segment_fixed_size: 0
    .kernarg_segment_align: 8
    .kernarg_segment_size: 88
    .language:       OpenCL C
    .language_version:
      - 2
      - 0
    .max_flat_workgroup_size: 1024
    .name:           _ZN7rocprim17ROCPRIM_400000_NS6detail17trampoline_kernelINS0_14default_configENS1_35radix_sort_onesweep_config_selectorIyNS0_10empty_typeEEEZZNS1_29radix_sort_onesweep_iterationIS3_Lb0EN6thrust23THRUST_200600_302600_NS6detail15normal_iteratorINS9_10device_ptrIyEEEESE_PS5_SF_jNS0_19identity_decomposerENS1_16block_id_wrapperIjLb1EEEEE10hipError_tT1_PNSt15iterator_traitsISK_E10value_typeET2_T3_PNSL_ISQ_E10value_typeET4_T5_PSV_SW_PNS1_23onesweep_lookback_stateEbbT6_jjT7_P12ihipStream_tbENKUlT_T0_SK_SP_E_clISE_PySF_SF_EEDaS13_S14_SK_SP_EUlS13_E_NS1_11comp_targetILNS1_3genE9ELNS1_11target_archE1100ELNS1_3gpuE3ELNS1_3repE0EEENS1_47radix_sort_onesweep_sort_config_static_selectorELNS0_4arch9wavefront6targetE1EEEvSK_
    .private_segment_fixed_size: 0
    .sgpr_count:     6
    .sgpr_spill_count: 0
    .symbol:         _ZN7rocprim17ROCPRIM_400000_NS6detail17trampoline_kernelINS0_14default_configENS1_35radix_sort_onesweep_config_selectorIyNS0_10empty_typeEEEZZNS1_29radix_sort_onesweep_iterationIS3_Lb0EN6thrust23THRUST_200600_302600_NS6detail15normal_iteratorINS9_10device_ptrIyEEEESE_PS5_SF_jNS0_19identity_decomposerENS1_16block_id_wrapperIjLb1EEEEE10hipError_tT1_PNSt15iterator_traitsISK_E10value_typeET2_T3_PNSL_ISQ_E10value_typeET4_T5_PSV_SW_PNS1_23onesweep_lookback_stateEbbT6_jjT7_P12ihipStream_tbENKUlT_T0_SK_SP_E_clISE_PySF_SF_EEDaS13_S14_SK_SP_EUlS13_E_NS1_11comp_targetILNS1_3genE9ELNS1_11target_archE1100ELNS1_3gpuE3ELNS1_3repE0EEENS1_47radix_sort_onesweep_sort_config_static_selectorELNS0_4arch9wavefront6targetE1EEEvSK_.kd
    .uniform_work_group_size: 1
    .uses_dynamic_stack: false
    .vgpr_count:     0
    .vgpr_spill_count: 0
    .wavefront_size: 64
  - .agpr_count:     0
    .args:
      - .offset:         0
        .size:           88
        .value_kind:     by_value
    .group_segment_fixed_size: 0
    .kernarg_segment_align: 8
    .kernarg_segment_size: 88
    .language:       OpenCL C
    .language_version:
      - 2
      - 0
    .max_flat_workgroup_size: 1024
    .name:           _ZN7rocprim17ROCPRIM_400000_NS6detail17trampoline_kernelINS0_14default_configENS1_35radix_sort_onesweep_config_selectorIyNS0_10empty_typeEEEZZNS1_29radix_sort_onesweep_iterationIS3_Lb0EN6thrust23THRUST_200600_302600_NS6detail15normal_iteratorINS9_10device_ptrIyEEEESE_PS5_SF_jNS0_19identity_decomposerENS1_16block_id_wrapperIjLb1EEEEE10hipError_tT1_PNSt15iterator_traitsISK_E10value_typeET2_T3_PNSL_ISQ_E10value_typeET4_T5_PSV_SW_PNS1_23onesweep_lookback_stateEbbT6_jjT7_P12ihipStream_tbENKUlT_T0_SK_SP_E_clISE_PySF_SF_EEDaS13_S14_SK_SP_EUlS13_E_NS1_11comp_targetILNS1_3genE8ELNS1_11target_archE1030ELNS1_3gpuE2ELNS1_3repE0EEENS1_47radix_sort_onesweep_sort_config_static_selectorELNS0_4arch9wavefront6targetE1EEEvSK_
    .private_segment_fixed_size: 0
    .sgpr_count:     6
    .sgpr_spill_count: 0
    .symbol:         _ZN7rocprim17ROCPRIM_400000_NS6detail17trampoline_kernelINS0_14default_configENS1_35radix_sort_onesweep_config_selectorIyNS0_10empty_typeEEEZZNS1_29radix_sort_onesweep_iterationIS3_Lb0EN6thrust23THRUST_200600_302600_NS6detail15normal_iteratorINS9_10device_ptrIyEEEESE_PS5_SF_jNS0_19identity_decomposerENS1_16block_id_wrapperIjLb1EEEEE10hipError_tT1_PNSt15iterator_traitsISK_E10value_typeET2_T3_PNSL_ISQ_E10value_typeET4_T5_PSV_SW_PNS1_23onesweep_lookback_stateEbbT6_jjT7_P12ihipStream_tbENKUlT_T0_SK_SP_E_clISE_PySF_SF_EEDaS13_S14_SK_SP_EUlS13_E_NS1_11comp_targetILNS1_3genE8ELNS1_11target_archE1030ELNS1_3gpuE2ELNS1_3repE0EEENS1_47radix_sort_onesweep_sort_config_static_selectorELNS0_4arch9wavefront6targetE1EEEvSK_.kd
    .uniform_work_group_size: 1
    .uses_dynamic_stack: false
    .vgpr_count:     0
    .vgpr_spill_count: 0
    .wavefront_size: 64
  - .agpr_count:     0
    .args:
      - .offset:         0
        .size:           88
        .value_kind:     by_value
    .group_segment_fixed_size: 0
    .kernarg_segment_align: 8
    .kernarg_segment_size: 88
    .language:       OpenCL C
    .language_version:
      - 2
      - 0
    .max_flat_workgroup_size: 512
    .name:           _ZN7rocprim17ROCPRIM_400000_NS6detail17trampoline_kernelINS0_14default_configENS1_35radix_sort_onesweep_config_selectorIyNS0_10empty_typeEEEZZNS1_29radix_sort_onesweep_iterationIS3_Lb0EN6thrust23THRUST_200600_302600_NS6detail15normal_iteratorINS9_10device_ptrIyEEEESE_PS5_SF_jNS0_19identity_decomposerENS1_16block_id_wrapperIjLb1EEEEE10hipError_tT1_PNSt15iterator_traitsISK_E10value_typeET2_T3_PNSL_ISQ_E10value_typeET4_T5_PSV_SW_PNS1_23onesweep_lookback_stateEbbT6_jjT7_P12ihipStream_tbENKUlT_T0_SK_SP_E_clIPySE_SF_SF_EEDaS13_S14_SK_SP_EUlS13_E_NS1_11comp_targetILNS1_3genE0ELNS1_11target_archE4294967295ELNS1_3gpuE0ELNS1_3repE0EEENS1_47radix_sort_onesweep_sort_config_static_selectorELNS0_4arch9wavefront6targetE1EEEvSK_
    .private_segment_fixed_size: 0
    .sgpr_count:     6
    .sgpr_spill_count: 0
    .symbol:         _ZN7rocprim17ROCPRIM_400000_NS6detail17trampoline_kernelINS0_14default_configENS1_35radix_sort_onesweep_config_selectorIyNS0_10empty_typeEEEZZNS1_29radix_sort_onesweep_iterationIS3_Lb0EN6thrust23THRUST_200600_302600_NS6detail15normal_iteratorINS9_10device_ptrIyEEEESE_PS5_SF_jNS0_19identity_decomposerENS1_16block_id_wrapperIjLb1EEEEE10hipError_tT1_PNSt15iterator_traitsISK_E10value_typeET2_T3_PNSL_ISQ_E10value_typeET4_T5_PSV_SW_PNS1_23onesweep_lookback_stateEbbT6_jjT7_P12ihipStream_tbENKUlT_T0_SK_SP_E_clIPySE_SF_SF_EEDaS13_S14_SK_SP_EUlS13_E_NS1_11comp_targetILNS1_3genE0ELNS1_11target_archE4294967295ELNS1_3gpuE0ELNS1_3repE0EEENS1_47radix_sort_onesweep_sort_config_static_selectorELNS0_4arch9wavefront6targetE1EEEvSK_.kd
    .uniform_work_group_size: 1
    .uses_dynamic_stack: false
    .vgpr_count:     0
    .vgpr_spill_count: 0
    .wavefront_size: 64
  - .agpr_count:     0
    .args:
      - .offset:         0
        .size:           88
        .value_kind:     by_value
    .group_segment_fixed_size: 0
    .kernarg_segment_align: 8
    .kernarg_segment_size: 88
    .language:       OpenCL C
    .language_version:
      - 2
      - 0
    .max_flat_workgroup_size: 512
    .name:           _ZN7rocprim17ROCPRIM_400000_NS6detail17trampoline_kernelINS0_14default_configENS1_35radix_sort_onesweep_config_selectorIyNS0_10empty_typeEEEZZNS1_29radix_sort_onesweep_iterationIS3_Lb0EN6thrust23THRUST_200600_302600_NS6detail15normal_iteratorINS9_10device_ptrIyEEEESE_PS5_SF_jNS0_19identity_decomposerENS1_16block_id_wrapperIjLb1EEEEE10hipError_tT1_PNSt15iterator_traitsISK_E10value_typeET2_T3_PNSL_ISQ_E10value_typeET4_T5_PSV_SW_PNS1_23onesweep_lookback_stateEbbT6_jjT7_P12ihipStream_tbENKUlT_T0_SK_SP_E_clIPySE_SF_SF_EEDaS13_S14_SK_SP_EUlS13_E_NS1_11comp_targetILNS1_3genE6ELNS1_11target_archE950ELNS1_3gpuE13ELNS1_3repE0EEENS1_47radix_sort_onesweep_sort_config_static_selectorELNS0_4arch9wavefront6targetE1EEEvSK_
    .private_segment_fixed_size: 0
    .sgpr_count:     6
    .sgpr_spill_count: 0
    .symbol:         _ZN7rocprim17ROCPRIM_400000_NS6detail17trampoline_kernelINS0_14default_configENS1_35radix_sort_onesweep_config_selectorIyNS0_10empty_typeEEEZZNS1_29radix_sort_onesweep_iterationIS3_Lb0EN6thrust23THRUST_200600_302600_NS6detail15normal_iteratorINS9_10device_ptrIyEEEESE_PS5_SF_jNS0_19identity_decomposerENS1_16block_id_wrapperIjLb1EEEEE10hipError_tT1_PNSt15iterator_traitsISK_E10value_typeET2_T3_PNSL_ISQ_E10value_typeET4_T5_PSV_SW_PNS1_23onesweep_lookback_stateEbbT6_jjT7_P12ihipStream_tbENKUlT_T0_SK_SP_E_clIPySE_SF_SF_EEDaS13_S14_SK_SP_EUlS13_E_NS1_11comp_targetILNS1_3genE6ELNS1_11target_archE950ELNS1_3gpuE13ELNS1_3repE0EEENS1_47radix_sort_onesweep_sort_config_static_selectorELNS0_4arch9wavefront6targetE1EEEvSK_.kd
    .uniform_work_group_size: 1
    .uses_dynamic_stack: false
    .vgpr_count:     0
    .vgpr_spill_count: 0
    .wavefront_size: 64
  - .agpr_count:     0
    .args:
      - .offset:         0
        .size:           88
        .value_kind:     by_value
      - .offset:         88
        .size:           4
        .value_kind:     hidden_block_count_x
      - .offset:         92
        .size:           4
        .value_kind:     hidden_block_count_y
      - .offset:         96
        .size:           4
        .value_kind:     hidden_block_count_z
      - .offset:         100
        .size:           2
        .value_kind:     hidden_group_size_x
      - .offset:         102
        .size:           2
        .value_kind:     hidden_group_size_y
      - .offset:         104
        .size:           2
        .value_kind:     hidden_group_size_z
      - .offset:         106
        .size:           2
        .value_kind:     hidden_remainder_x
      - .offset:         108
        .size:           2
        .value_kind:     hidden_remainder_y
      - .offset:         110
        .size:           2
        .value_kind:     hidden_remainder_z
      - .offset:         128
        .size:           8
        .value_kind:     hidden_global_offset_x
      - .offset:         136
        .size:           8
        .value_kind:     hidden_global_offset_y
      - .offset:         144
        .size:           8
        .value_kind:     hidden_global_offset_z
      - .offset:         152
        .size:           2
        .value_kind:     hidden_grid_dims
    .group_segment_fixed_size: 10280
    .kernarg_segment_align: 8
    .kernarg_segment_size: 344
    .language:       OpenCL C
    .language_version:
      - 2
      - 0
    .max_flat_workgroup_size: 512
    .name:           _ZN7rocprim17ROCPRIM_400000_NS6detail17trampoline_kernelINS0_14default_configENS1_35radix_sort_onesweep_config_selectorIyNS0_10empty_typeEEEZZNS1_29radix_sort_onesweep_iterationIS3_Lb0EN6thrust23THRUST_200600_302600_NS6detail15normal_iteratorINS9_10device_ptrIyEEEESE_PS5_SF_jNS0_19identity_decomposerENS1_16block_id_wrapperIjLb1EEEEE10hipError_tT1_PNSt15iterator_traitsISK_E10value_typeET2_T3_PNSL_ISQ_E10value_typeET4_T5_PSV_SW_PNS1_23onesweep_lookback_stateEbbT6_jjT7_P12ihipStream_tbENKUlT_T0_SK_SP_E_clIPySE_SF_SF_EEDaS13_S14_SK_SP_EUlS13_E_NS1_11comp_targetILNS1_3genE5ELNS1_11target_archE942ELNS1_3gpuE9ELNS1_3repE0EEENS1_47radix_sort_onesweep_sort_config_static_selectorELNS0_4arch9wavefront6targetE1EEEvSK_
    .private_segment_fixed_size: 0
    .sgpr_count:     42
    .sgpr_spill_count: 0
    .symbol:         _ZN7rocprim17ROCPRIM_400000_NS6detail17trampoline_kernelINS0_14default_configENS1_35radix_sort_onesweep_config_selectorIyNS0_10empty_typeEEEZZNS1_29radix_sort_onesweep_iterationIS3_Lb0EN6thrust23THRUST_200600_302600_NS6detail15normal_iteratorINS9_10device_ptrIyEEEESE_PS5_SF_jNS0_19identity_decomposerENS1_16block_id_wrapperIjLb1EEEEE10hipError_tT1_PNSt15iterator_traitsISK_E10value_typeET2_T3_PNSL_ISQ_E10value_typeET4_T5_PSV_SW_PNS1_23onesweep_lookback_stateEbbT6_jjT7_P12ihipStream_tbENKUlT_T0_SK_SP_E_clIPySE_SF_SF_EEDaS13_S14_SK_SP_EUlS13_E_NS1_11comp_targetILNS1_3genE5ELNS1_11target_archE942ELNS1_3gpuE9ELNS1_3repE0EEENS1_47radix_sort_onesweep_sort_config_static_selectorELNS0_4arch9wavefront6targetE1EEEvSK_.kd
    .uniform_work_group_size: 1
    .uses_dynamic_stack: false
    .vgpr_count:     78
    .vgpr_spill_count: 0
    .wavefront_size: 64
  - .agpr_count:     0
    .args:
      - .offset:         0
        .size:           88
        .value_kind:     by_value
    .group_segment_fixed_size: 0
    .kernarg_segment_align: 8
    .kernarg_segment_size: 88
    .language:       OpenCL C
    .language_version:
      - 2
      - 0
    .max_flat_workgroup_size: 512
    .name:           _ZN7rocprim17ROCPRIM_400000_NS6detail17trampoline_kernelINS0_14default_configENS1_35radix_sort_onesweep_config_selectorIyNS0_10empty_typeEEEZZNS1_29radix_sort_onesweep_iterationIS3_Lb0EN6thrust23THRUST_200600_302600_NS6detail15normal_iteratorINS9_10device_ptrIyEEEESE_PS5_SF_jNS0_19identity_decomposerENS1_16block_id_wrapperIjLb1EEEEE10hipError_tT1_PNSt15iterator_traitsISK_E10value_typeET2_T3_PNSL_ISQ_E10value_typeET4_T5_PSV_SW_PNS1_23onesweep_lookback_stateEbbT6_jjT7_P12ihipStream_tbENKUlT_T0_SK_SP_E_clIPySE_SF_SF_EEDaS13_S14_SK_SP_EUlS13_E_NS1_11comp_targetILNS1_3genE2ELNS1_11target_archE906ELNS1_3gpuE6ELNS1_3repE0EEENS1_47radix_sort_onesweep_sort_config_static_selectorELNS0_4arch9wavefront6targetE1EEEvSK_
    .private_segment_fixed_size: 0
    .sgpr_count:     6
    .sgpr_spill_count: 0
    .symbol:         _ZN7rocprim17ROCPRIM_400000_NS6detail17trampoline_kernelINS0_14default_configENS1_35radix_sort_onesweep_config_selectorIyNS0_10empty_typeEEEZZNS1_29radix_sort_onesweep_iterationIS3_Lb0EN6thrust23THRUST_200600_302600_NS6detail15normal_iteratorINS9_10device_ptrIyEEEESE_PS5_SF_jNS0_19identity_decomposerENS1_16block_id_wrapperIjLb1EEEEE10hipError_tT1_PNSt15iterator_traitsISK_E10value_typeET2_T3_PNSL_ISQ_E10value_typeET4_T5_PSV_SW_PNS1_23onesweep_lookback_stateEbbT6_jjT7_P12ihipStream_tbENKUlT_T0_SK_SP_E_clIPySE_SF_SF_EEDaS13_S14_SK_SP_EUlS13_E_NS1_11comp_targetILNS1_3genE2ELNS1_11target_archE906ELNS1_3gpuE6ELNS1_3repE0EEENS1_47radix_sort_onesweep_sort_config_static_selectorELNS0_4arch9wavefront6targetE1EEEvSK_.kd
    .uniform_work_group_size: 1
    .uses_dynamic_stack: false
    .vgpr_count:     0
    .vgpr_spill_count: 0
    .wavefront_size: 64
  - .agpr_count:     0
    .args:
      - .offset:         0
        .size:           88
        .value_kind:     by_value
    .group_segment_fixed_size: 0
    .kernarg_segment_align: 8
    .kernarg_segment_size: 88
    .language:       OpenCL C
    .language_version:
      - 2
      - 0
    .max_flat_workgroup_size: 1024
    .name:           _ZN7rocprim17ROCPRIM_400000_NS6detail17trampoline_kernelINS0_14default_configENS1_35radix_sort_onesweep_config_selectorIyNS0_10empty_typeEEEZZNS1_29radix_sort_onesweep_iterationIS3_Lb0EN6thrust23THRUST_200600_302600_NS6detail15normal_iteratorINS9_10device_ptrIyEEEESE_PS5_SF_jNS0_19identity_decomposerENS1_16block_id_wrapperIjLb1EEEEE10hipError_tT1_PNSt15iterator_traitsISK_E10value_typeET2_T3_PNSL_ISQ_E10value_typeET4_T5_PSV_SW_PNS1_23onesweep_lookback_stateEbbT6_jjT7_P12ihipStream_tbENKUlT_T0_SK_SP_E_clIPySE_SF_SF_EEDaS13_S14_SK_SP_EUlS13_E_NS1_11comp_targetILNS1_3genE4ELNS1_11target_archE910ELNS1_3gpuE8ELNS1_3repE0EEENS1_47radix_sort_onesweep_sort_config_static_selectorELNS0_4arch9wavefront6targetE1EEEvSK_
    .private_segment_fixed_size: 0
    .sgpr_count:     6
    .sgpr_spill_count: 0
    .symbol:         _ZN7rocprim17ROCPRIM_400000_NS6detail17trampoline_kernelINS0_14default_configENS1_35radix_sort_onesweep_config_selectorIyNS0_10empty_typeEEEZZNS1_29radix_sort_onesweep_iterationIS3_Lb0EN6thrust23THRUST_200600_302600_NS6detail15normal_iteratorINS9_10device_ptrIyEEEESE_PS5_SF_jNS0_19identity_decomposerENS1_16block_id_wrapperIjLb1EEEEE10hipError_tT1_PNSt15iterator_traitsISK_E10value_typeET2_T3_PNSL_ISQ_E10value_typeET4_T5_PSV_SW_PNS1_23onesweep_lookback_stateEbbT6_jjT7_P12ihipStream_tbENKUlT_T0_SK_SP_E_clIPySE_SF_SF_EEDaS13_S14_SK_SP_EUlS13_E_NS1_11comp_targetILNS1_3genE4ELNS1_11target_archE910ELNS1_3gpuE8ELNS1_3repE0EEENS1_47radix_sort_onesweep_sort_config_static_selectorELNS0_4arch9wavefront6targetE1EEEvSK_.kd
    .uniform_work_group_size: 1
    .uses_dynamic_stack: false
    .vgpr_count:     0
    .vgpr_spill_count: 0
    .wavefront_size: 64
  - .agpr_count:     0
    .args:
      - .offset:         0
        .size:           88
        .value_kind:     by_value
    .group_segment_fixed_size: 0
    .kernarg_segment_align: 8
    .kernarg_segment_size: 88
    .language:       OpenCL C
    .language_version:
      - 2
      - 0
    .max_flat_workgroup_size: 512
    .name:           _ZN7rocprim17ROCPRIM_400000_NS6detail17trampoline_kernelINS0_14default_configENS1_35radix_sort_onesweep_config_selectorIyNS0_10empty_typeEEEZZNS1_29radix_sort_onesweep_iterationIS3_Lb0EN6thrust23THRUST_200600_302600_NS6detail15normal_iteratorINS9_10device_ptrIyEEEESE_PS5_SF_jNS0_19identity_decomposerENS1_16block_id_wrapperIjLb1EEEEE10hipError_tT1_PNSt15iterator_traitsISK_E10value_typeET2_T3_PNSL_ISQ_E10value_typeET4_T5_PSV_SW_PNS1_23onesweep_lookback_stateEbbT6_jjT7_P12ihipStream_tbENKUlT_T0_SK_SP_E_clIPySE_SF_SF_EEDaS13_S14_SK_SP_EUlS13_E_NS1_11comp_targetILNS1_3genE3ELNS1_11target_archE908ELNS1_3gpuE7ELNS1_3repE0EEENS1_47radix_sort_onesweep_sort_config_static_selectorELNS0_4arch9wavefront6targetE1EEEvSK_
    .private_segment_fixed_size: 0
    .sgpr_count:     6
    .sgpr_spill_count: 0
    .symbol:         _ZN7rocprim17ROCPRIM_400000_NS6detail17trampoline_kernelINS0_14default_configENS1_35radix_sort_onesweep_config_selectorIyNS0_10empty_typeEEEZZNS1_29radix_sort_onesweep_iterationIS3_Lb0EN6thrust23THRUST_200600_302600_NS6detail15normal_iteratorINS9_10device_ptrIyEEEESE_PS5_SF_jNS0_19identity_decomposerENS1_16block_id_wrapperIjLb1EEEEE10hipError_tT1_PNSt15iterator_traitsISK_E10value_typeET2_T3_PNSL_ISQ_E10value_typeET4_T5_PSV_SW_PNS1_23onesweep_lookback_stateEbbT6_jjT7_P12ihipStream_tbENKUlT_T0_SK_SP_E_clIPySE_SF_SF_EEDaS13_S14_SK_SP_EUlS13_E_NS1_11comp_targetILNS1_3genE3ELNS1_11target_archE908ELNS1_3gpuE7ELNS1_3repE0EEENS1_47radix_sort_onesweep_sort_config_static_selectorELNS0_4arch9wavefront6targetE1EEEvSK_.kd
    .uniform_work_group_size: 1
    .uses_dynamic_stack: false
    .vgpr_count:     0
    .vgpr_spill_count: 0
    .wavefront_size: 64
  - .agpr_count:     0
    .args:
      - .offset:         0
        .size:           88
        .value_kind:     by_value
    .group_segment_fixed_size: 0
    .kernarg_segment_align: 8
    .kernarg_segment_size: 88
    .language:       OpenCL C
    .language_version:
      - 2
      - 0
    .max_flat_workgroup_size: 512
    .name:           _ZN7rocprim17ROCPRIM_400000_NS6detail17trampoline_kernelINS0_14default_configENS1_35radix_sort_onesweep_config_selectorIyNS0_10empty_typeEEEZZNS1_29radix_sort_onesweep_iterationIS3_Lb0EN6thrust23THRUST_200600_302600_NS6detail15normal_iteratorINS9_10device_ptrIyEEEESE_PS5_SF_jNS0_19identity_decomposerENS1_16block_id_wrapperIjLb1EEEEE10hipError_tT1_PNSt15iterator_traitsISK_E10value_typeET2_T3_PNSL_ISQ_E10value_typeET4_T5_PSV_SW_PNS1_23onesweep_lookback_stateEbbT6_jjT7_P12ihipStream_tbENKUlT_T0_SK_SP_E_clIPySE_SF_SF_EEDaS13_S14_SK_SP_EUlS13_E_NS1_11comp_targetILNS1_3genE10ELNS1_11target_archE1201ELNS1_3gpuE5ELNS1_3repE0EEENS1_47radix_sort_onesweep_sort_config_static_selectorELNS0_4arch9wavefront6targetE1EEEvSK_
    .private_segment_fixed_size: 0
    .sgpr_count:     6
    .sgpr_spill_count: 0
    .symbol:         _ZN7rocprim17ROCPRIM_400000_NS6detail17trampoline_kernelINS0_14default_configENS1_35radix_sort_onesweep_config_selectorIyNS0_10empty_typeEEEZZNS1_29radix_sort_onesweep_iterationIS3_Lb0EN6thrust23THRUST_200600_302600_NS6detail15normal_iteratorINS9_10device_ptrIyEEEESE_PS5_SF_jNS0_19identity_decomposerENS1_16block_id_wrapperIjLb1EEEEE10hipError_tT1_PNSt15iterator_traitsISK_E10value_typeET2_T3_PNSL_ISQ_E10value_typeET4_T5_PSV_SW_PNS1_23onesweep_lookback_stateEbbT6_jjT7_P12ihipStream_tbENKUlT_T0_SK_SP_E_clIPySE_SF_SF_EEDaS13_S14_SK_SP_EUlS13_E_NS1_11comp_targetILNS1_3genE10ELNS1_11target_archE1201ELNS1_3gpuE5ELNS1_3repE0EEENS1_47radix_sort_onesweep_sort_config_static_selectorELNS0_4arch9wavefront6targetE1EEEvSK_.kd
    .uniform_work_group_size: 1
    .uses_dynamic_stack: false
    .vgpr_count:     0
    .vgpr_spill_count: 0
    .wavefront_size: 64
  - .agpr_count:     0
    .args:
      - .offset:         0
        .size:           88
        .value_kind:     by_value
    .group_segment_fixed_size: 0
    .kernarg_segment_align: 8
    .kernarg_segment_size: 88
    .language:       OpenCL C
    .language_version:
      - 2
      - 0
    .max_flat_workgroup_size: 1024
    .name:           _ZN7rocprim17ROCPRIM_400000_NS6detail17trampoline_kernelINS0_14default_configENS1_35radix_sort_onesweep_config_selectorIyNS0_10empty_typeEEEZZNS1_29radix_sort_onesweep_iterationIS3_Lb0EN6thrust23THRUST_200600_302600_NS6detail15normal_iteratorINS9_10device_ptrIyEEEESE_PS5_SF_jNS0_19identity_decomposerENS1_16block_id_wrapperIjLb1EEEEE10hipError_tT1_PNSt15iterator_traitsISK_E10value_typeET2_T3_PNSL_ISQ_E10value_typeET4_T5_PSV_SW_PNS1_23onesweep_lookback_stateEbbT6_jjT7_P12ihipStream_tbENKUlT_T0_SK_SP_E_clIPySE_SF_SF_EEDaS13_S14_SK_SP_EUlS13_E_NS1_11comp_targetILNS1_3genE9ELNS1_11target_archE1100ELNS1_3gpuE3ELNS1_3repE0EEENS1_47radix_sort_onesweep_sort_config_static_selectorELNS0_4arch9wavefront6targetE1EEEvSK_
    .private_segment_fixed_size: 0
    .sgpr_count:     6
    .sgpr_spill_count: 0
    .symbol:         _ZN7rocprim17ROCPRIM_400000_NS6detail17trampoline_kernelINS0_14default_configENS1_35radix_sort_onesweep_config_selectorIyNS0_10empty_typeEEEZZNS1_29radix_sort_onesweep_iterationIS3_Lb0EN6thrust23THRUST_200600_302600_NS6detail15normal_iteratorINS9_10device_ptrIyEEEESE_PS5_SF_jNS0_19identity_decomposerENS1_16block_id_wrapperIjLb1EEEEE10hipError_tT1_PNSt15iterator_traitsISK_E10value_typeET2_T3_PNSL_ISQ_E10value_typeET4_T5_PSV_SW_PNS1_23onesweep_lookback_stateEbbT6_jjT7_P12ihipStream_tbENKUlT_T0_SK_SP_E_clIPySE_SF_SF_EEDaS13_S14_SK_SP_EUlS13_E_NS1_11comp_targetILNS1_3genE9ELNS1_11target_archE1100ELNS1_3gpuE3ELNS1_3repE0EEENS1_47radix_sort_onesweep_sort_config_static_selectorELNS0_4arch9wavefront6targetE1EEEvSK_.kd
    .uniform_work_group_size: 1
    .uses_dynamic_stack: false
    .vgpr_count:     0
    .vgpr_spill_count: 0
    .wavefront_size: 64
  - .agpr_count:     0
    .args:
      - .offset:         0
        .size:           88
        .value_kind:     by_value
    .group_segment_fixed_size: 0
    .kernarg_segment_align: 8
    .kernarg_segment_size: 88
    .language:       OpenCL C
    .language_version:
      - 2
      - 0
    .max_flat_workgroup_size: 1024
    .name:           _ZN7rocprim17ROCPRIM_400000_NS6detail17trampoline_kernelINS0_14default_configENS1_35radix_sort_onesweep_config_selectorIyNS0_10empty_typeEEEZZNS1_29radix_sort_onesweep_iterationIS3_Lb0EN6thrust23THRUST_200600_302600_NS6detail15normal_iteratorINS9_10device_ptrIyEEEESE_PS5_SF_jNS0_19identity_decomposerENS1_16block_id_wrapperIjLb1EEEEE10hipError_tT1_PNSt15iterator_traitsISK_E10value_typeET2_T3_PNSL_ISQ_E10value_typeET4_T5_PSV_SW_PNS1_23onesweep_lookback_stateEbbT6_jjT7_P12ihipStream_tbENKUlT_T0_SK_SP_E_clIPySE_SF_SF_EEDaS13_S14_SK_SP_EUlS13_E_NS1_11comp_targetILNS1_3genE8ELNS1_11target_archE1030ELNS1_3gpuE2ELNS1_3repE0EEENS1_47radix_sort_onesweep_sort_config_static_selectorELNS0_4arch9wavefront6targetE1EEEvSK_
    .private_segment_fixed_size: 0
    .sgpr_count:     6
    .sgpr_spill_count: 0
    .symbol:         _ZN7rocprim17ROCPRIM_400000_NS6detail17trampoline_kernelINS0_14default_configENS1_35radix_sort_onesweep_config_selectorIyNS0_10empty_typeEEEZZNS1_29radix_sort_onesweep_iterationIS3_Lb0EN6thrust23THRUST_200600_302600_NS6detail15normal_iteratorINS9_10device_ptrIyEEEESE_PS5_SF_jNS0_19identity_decomposerENS1_16block_id_wrapperIjLb1EEEEE10hipError_tT1_PNSt15iterator_traitsISK_E10value_typeET2_T3_PNSL_ISQ_E10value_typeET4_T5_PSV_SW_PNS1_23onesweep_lookback_stateEbbT6_jjT7_P12ihipStream_tbENKUlT_T0_SK_SP_E_clIPySE_SF_SF_EEDaS13_S14_SK_SP_EUlS13_E_NS1_11comp_targetILNS1_3genE8ELNS1_11target_archE1030ELNS1_3gpuE2ELNS1_3repE0EEENS1_47radix_sort_onesweep_sort_config_static_selectorELNS0_4arch9wavefront6targetE1EEEvSK_.kd
    .uniform_work_group_size: 1
    .uses_dynamic_stack: false
    .vgpr_count:     0
    .vgpr_spill_count: 0
    .wavefront_size: 64
  - .agpr_count:     0
    .args:
      - .offset:         0
        .size:           88
        .value_kind:     by_value
    .group_segment_fixed_size: 0
    .kernarg_segment_align: 8
    .kernarg_segment_size: 88
    .language:       OpenCL C
    .language_version:
      - 2
      - 0
    .max_flat_workgroup_size: 512
    .name:           _ZN7rocprim17ROCPRIM_400000_NS6detail17trampoline_kernelINS0_14default_configENS1_35radix_sort_onesweep_config_selectorIyNS0_10empty_typeEEEZZNS1_29radix_sort_onesweep_iterationIS3_Lb0EN6thrust23THRUST_200600_302600_NS6detail15normal_iteratorINS9_10device_ptrIyEEEESE_PS5_SF_jNS0_19identity_decomposerENS1_16block_id_wrapperIjLb0EEEEE10hipError_tT1_PNSt15iterator_traitsISK_E10value_typeET2_T3_PNSL_ISQ_E10value_typeET4_T5_PSV_SW_PNS1_23onesweep_lookback_stateEbbT6_jjT7_P12ihipStream_tbENKUlT_T0_SK_SP_E_clISE_SE_SF_SF_EEDaS13_S14_SK_SP_EUlS13_E_NS1_11comp_targetILNS1_3genE0ELNS1_11target_archE4294967295ELNS1_3gpuE0ELNS1_3repE0EEENS1_47radix_sort_onesweep_sort_config_static_selectorELNS0_4arch9wavefront6targetE1EEEvSK_
    .private_segment_fixed_size: 0
    .sgpr_count:     6
    .sgpr_spill_count: 0
    .symbol:         _ZN7rocprim17ROCPRIM_400000_NS6detail17trampoline_kernelINS0_14default_configENS1_35radix_sort_onesweep_config_selectorIyNS0_10empty_typeEEEZZNS1_29radix_sort_onesweep_iterationIS3_Lb0EN6thrust23THRUST_200600_302600_NS6detail15normal_iteratorINS9_10device_ptrIyEEEESE_PS5_SF_jNS0_19identity_decomposerENS1_16block_id_wrapperIjLb0EEEEE10hipError_tT1_PNSt15iterator_traitsISK_E10value_typeET2_T3_PNSL_ISQ_E10value_typeET4_T5_PSV_SW_PNS1_23onesweep_lookback_stateEbbT6_jjT7_P12ihipStream_tbENKUlT_T0_SK_SP_E_clISE_SE_SF_SF_EEDaS13_S14_SK_SP_EUlS13_E_NS1_11comp_targetILNS1_3genE0ELNS1_11target_archE4294967295ELNS1_3gpuE0ELNS1_3repE0EEENS1_47radix_sort_onesweep_sort_config_static_selectorELNS0_4arch9wavefront6targetE1EEEvSK_.kd
    .uniform_work_group_size: 1
    .uses_dynamic_stack: false
    .vgpr_count:     0
    .vgpr_spill_count: 0
    .wavefront_size: 64
  - .agpr_count:     0
    .args:
      - .offset:         0
        .size:           88
        .value_kind:     by_value
    .group_segment_fixed_size: 0
    .kernarg_segment_align: 8
    .kernarg_segment_size: 88
    .language:       OpenCL C
    .language_version:
      - 2
      - 0
    .max_flat_workgroup_size: 512
    .name:           _ZN7rocprim17ROCPRIM_400000_NS6detail17trampoline_kernelINS0_14default_configENS1_35radix_sort_onesweep_config_selectorIyNS0_10empty_typeEEEZZNS1_29radix_sort_onesweep_iterationIS3_Lb0EN6thrust23THRUST_200600_302600_NS6detail15normal_iteratorINS9_10device_ptrIyEEEESE_PS5_SF_jNS0_19identity_decomposerENS1_16block_id_wrapperIjLb0EEEEE10hipError_tT1_PNSt15iterator_traitsISK_E10value_typeET2_T3_PNSL_ISQ_E10value_typeET4_T5_PSV_SW_PNS1_23onesweep_lookback_stateEbbT6_jjT7_P12ihipStream_tbENKUlT_T0_SK_SP_E_clISE_SE_SF_SF_EEDaS13_S14_SK_SP_EUlS13_E_NS1_11comp_targetILNS1_3genE6ELNS1_11target_archE950ELNS1_3gpuE13ELNS1_3repE0EEENS1_47radix_sort_onesweep_sort_config_static_selectorELNS0_4arch9wavefront6targetE1EEEvSK_
    .private_segment_fixed_size: 0
    .sgpr_count:     6
    .sgpr_spill_count: 0
    .symbol:         _ZN7rocprim17ROCPRIM_400000_NS6detail17trampoline_kernelINS0_14default_configENS1_35radix_sort_onesweep_config_selectorIyNS0_10empty_typeEEEZZNS1_29radix_sort_onesweep_iterationIS3_Lb0EN6thrust23THRUST_200600_302600_NS6detail15normal_iteratorINS9_10device_ptrIyEEEESE_PS5_SF_jNS0_19identity_decomposerENS1_16block_id_wrapperIjLb0EEEEE10hipError_tT1_PNSt15iterator_traitsISK_E10value_typeET2_T3_PNSL_ISQ_E10value_typeET4_T5_PSV_SW_PNS1_23onesweep_lookback_stateEbbT6_jjT7_P12ihipStream_tbENKUlT_T0_SK_SP_E_clISE_SE_SF_SF_EEDaS13_S14_SK_SP_EUlS13_E_NS1_11comp_targetILNS1_3genE6ELNS1_11target_archE950ELNS1_3gpuE13ELNS1_3repE0EEENS1_47radix_sort_onesweep_sort_config_static_selectorELNS0_4arch9wavefront6targetE1EEEvSK_.kd
    .uniform_work_group_size: 1
    .uses_dynamic_stack: false
    .vgpr_count:     0
    .vgpr_spill_count: 0
    .wavefront_size: 64
  - .agpr_count:     0
    .args:
      - .offset:         0
        .size:           88
        .value_kind:     by_value
      - .offset:         88
        .size:           4
        .value_kind:     hidden_block_count_x
      - .offset:         92
        .size:           4
        .value_kind:     hidden_block_count_y
      - .offset:         96
        .size:           4
        .value_kind:     hidden_block_count_z
      - .offset:         100
        .size:           2
        .value_kind:     hidden_group_size_x
      - .offset:         102
        .size:           2
        .value_kind:     hidden_group_size_y
      - .offset:         104
        .size:           2
        .value_kind:     hidden_group_size_z
      - .offset:         106
        .size:           2
        .value_kind:     hidden_remainder_x
      - .offset:         108
        .size:           2
        .value_kind:     hidden_remainder_y
      - .offset:         110
        .size:           2
        .value_kind:     hidden_remainder_z
      - .offset:         128
        .size:           8
        .value_kind:     hidden_global_offset_x
      - .offset:         136
        .size:           8
        .value_kind:     hidden_global_offset_y
      - .offset:         144
        .size:           8
        .value_kind:     hidden_global_offset_z
      - .offset:         152
        .size:           2
        .value_kind:     hidden_grid_dims
    .group_segment_fixed_size: 10280
    .kernarg_segment_align: 8
    .kernarg_segment_size: 344
    .language:       OpenCL C
    .language_version:
      - 2
      - 0
    .max_flat_workgroup_size: 512
    .name:           _ZN7rocprim17ROCPRIM_400000_NS6detail17trampoline_kernelINS0_14default_configENS1_35radix_sort_onesweep_config_selectorIyNS0_10empty_typeEEEZZNS1_29radix_sort_onesweep_iterationIS3_Lb0EN6thrust23THRUST_200600_302600_NS6detail15normal_iteratorINS9_10device_ptrIyEEEESE_PS5_SF_jNS0_19identity_decomposerENS1_16block_id_wrapperIjLb0EEEEE10hipError_tT1_PNSt15iterator_traitsISK_E10value_typeET2_T3_PNSL_ISQ_E10value_typeET4_T5_PSV_SW_PNS1_23onesweep_lookback_stateEbbT6_jjT7_P12ihipStream_tbENKUlT_T0_SK_SP_E_clISE_SE_SF_SF_EEDaS13_S14_SK_SP_EUlS13_E_NS1_11comp_targetILNS1_3genE5ELNS1_11target_archE942ELNS1_3gpuE9ELNS1_3repE0EEENS1_47radix_sort_onesweep_sort_config_static_selectorELNS0_4arch9wavefront6targetE1EEEvSK_
    .private_segment_fixed_size: 0
    .sgpr_count:     38
    .sgpr_spill_count: 0
    .symbol:         _ZN7rocprim17ROCPRIM_400000_NS6detail17trampoline_kernelINS0_14default_configENS1_35radix_sort_onesweep_config_selectorIyNS0_10empty_typeEEEZZNS1_29radix_sort_onesweep_iterationIS3_Lb0EN6thrust23THRUST_200600_302600_NS6detail15normal_iteratorINS9_10device_ptrIyEEEESE_PS5_SF_jNS0_19identity_decomposerENS1_16block_id_wrapperIjLb0EEEEE10hipError_tT1_PNSt15iterator_traitsISK_E10value_typeET2_T3_PNSL_ISQ_E10value_typeET4_T5_PSV_SW_PNS1_23onesweep_lookback_stateEbbT6_jjT7_P12ihipStream_tbENKUlT_T0_SK_SP_E_clISE_SE_SF_SF_EEDaS13_S14_SK_SP_EUlS13_E_NS1_11comp_targetILNS1_3genE5ELNS1_11target_archE942ELNS1_3gpuE9ELNS1_3repE0EEENS1_47radix_sort_onesweep_sort_config_static_selectorELNS0_4arch9wavefront6targetE1EEEvSK_.kd
    .uniform_work_group_size: 1
    .uses_dynamic_stack: false
    .vgpr_count:     78
    .vgpr_spill_count: 0
    .wavefront_size: 64
  - .agpr_count:     0
    .args:
      - .offset:         0
        .size:           88
        .value_kind:     by_value
    .group_segment_fixed_size: 0
    .kernarg_segment_align: 8
    .kernarg_segment_size: 88
    .language:       OpenCL C
    .language_version:
      - 2
      - 0
    .max_flat_workgroup_size: 512
    .name:           _ZN7rocprim17ROCPRIM_400000_NS6detail17trampoline_kernelINS0_14default_configENS1_35radix_sort_onesweep_config_selectorIyNS0_10empty_typeEEEZZNS1_29radix_sort_onesweep_iterationIS3_Lb0EN6thrust23THRUST_200600_302600_NS6detail15normal_iteratorINS9_10device_ptrIyEEEESE_PS5_SF_jNS0_19identity_decomposerENS1_16block_id_wrapperIjLb0EEEEE10hipError_tT1_PNSt15iterator_traitsISK_E10value_typeET2_T3_PNSL_ISQ_E10value_typeET4_T5_PSV_SW_PNS1_23onesweep_lookback_stateEbbT6_jjT7_P12ihipStream_tbENKUlT_T0_SK_SP_E_clISE_SE_SF_SF_EEDaS13_S14_SK_SP_EUlS13_E_NS1_11comp_targetILNS1_3genE2ELNS1_11target_archE906ELNS1_3gpuE6ELNS1_3repE0EEENS1_47radix_sort_onesweep_sort_config_static_selectorELNS0_4arch9wavefront6targetE1EEEvSK_
    .private_segment_fixed_size: 0
    .sgpr_count:     6
    .sgpr_spill_count: 0
    .symbol:         _ZN7rocprim17ROCPRIM_400000_NS6detail17trampoline_kernelINS0_14default_configENS1_35radix_sort_onesweep_config_selectorIyNS0_10empty_typeEEEZZNS1_29radix_sort_onesweep_iterationIS3_Lb0EN6thrust23THRUST_200600_302600_NS6detail15normal_iteratorINS9_10device_ptrIyEEEESE_PS5_SF_jNS0_19identity_decomposerENS1_16block_id_wrapperIjLb0EEEEE10hipError_tT1_PNSt15iterator_traitsISK_E10value_typeET2_T3_PNSL_ISQ_E10value_typeET4_T5_PSV_SW_PNS1_23onesweep_lookback_stateEbbT6_jjT7_P12ihipStream_tbENKUlT_T0_SK_SP_E_clISE_SE_SF_SF_EEDaS13_S14_SK_SP_EUlS13_E_NS1_11comp_targetILNS1_3genE2ELNS1_11target_archE906ELNS1_3gpuE6ELNS1_3repE0EEENS1_47radix_sort_onesweep_sort_config_static_selectorELNS0_4arch9wavefront6targetE1EEEvSK_.kd
    .uniform_work_group_size: 1
    .uses_dynamic_stack: false
    .vgpr_count:     0
    .vgpr_spill_count: 0
    .wavefront_size: 64
  - .agpr_count:     0
    .args:
      - .offset:         0
        .size:           88
        .value_kind:     by_value
    .group_segment_fixed_size: 0
    .kernarg_segment_align: 8
    .kernarg_segment_size: 88
    .language:       OpenCL C
    .language_version:
      - 2
      - 0
    .max_flat_workgroup_size: 1024
    .name:           _ZN7rocprim17ROCPRIM_400000_NS6detail17trampoline_kernelINS0_14default_configENS1_35radix_sort_onesweep_config_selectorIyNS0_10empty_typeEEEZZNS1_29radix_sort_onesweep_iterationIS3_Lb0EN6thrust23THRUST_200600_302600_NS6detail15normal_iteratorINS9_10device_ptrIyEEEESE_PS5_SF_jNS0_19identity_decomposerENS1_16block_id_wrapperIjLb0EEEEE10hipError_tT1_PNSt15iterator_traitsISK_E10value_typeET2_T3_PNSL_ISQ_E10value_typeET4_T5_PSV_SW_PNS1_23onesweep_lookback_stateEbbT6_jjT7_P12ihipStream_tbENKUlT_T0_SK_SP_E_clISE_SE_SF_SF_EEDaS13_S14_SK_SP_EUlS13_E_NS1_11comp_targetILNS1_3genE4ELNS1_11target_archE910ELNS1_3gpuE8ELNS1_3repE0EEENS1_47radix_sort_onesweep_sort_config_static_selectorELNS0_4arch9wavefront6targetE1EEEvSK_
    .private_segment_fixed_size: 0
    .sgpr_count:     6
    .sgpr_spill_count: 0
    .symbol:         _ZN7rocprim17ROCPRIM_400000_NS6detail17trampoline_kernelINS0_14default_configENS1_35radix_sort_onesweep_config_selectorIyNS0_10empty_typeEEEZZNS1_29radix_sort_onesweep_iterationIS3_Lb0EN6thrust23THRUST_200600_302600_NS6detail15normal_iteratorINS9_10device_ptrIyEEEESE_PS5_SF_jNS0_19identity_decomposerENS1_16block_id_wrapperIjLb0EEEEE10hipError_tT1_PNSt15iterator_traitsISK_E10value_typeET2_T3_PNSL_ISQ_E10value_typeET4_T5_PSV_SW_PNS1_23onesweep_lookback_stateEbbT6_jjT7_P12ihipStream_tbENKUlT_T0_SK_SP_E_clISE_SE_SF_SF_EEDaS13_S14_SK_SP_EUlS13_E_NS1_11comp_targetILNS1_3genE4ELNS1_11target_archE910ELNS1_3gpuE8ELNS1_3repE0EEENS1_47radix_sort_onesweep_sort_config_static_selectorELNS0_4arch9wavefront6targetE1EEEvSK_.kd
    .uniform_work_group_size: 1
    .uses_dynamic_stack: false
    .vgpr_count:     0
    .vgpr_spill_count: 0
    .wavefront_size: 64
  - .agpr_count:     0
    .args:
      - .offset:         0
        .size:           88
        .value_kind:     by_value
    .group_segment_fixed_size: 0
    .kernarg_segment_align: 8
    .kernarg_segment_size: 88
    .language:       OpenCL C
    .language_version:
      - 2
      - 0
    .max_flat_workgroup_size: 512
    .name:           _ZN7rocprim17ROCPRIM_400000_NS6detail17trampoline_kernelINS0_14default_configENS1_35radix_sort_onesweep_config_selectorIyNS0_10empty_typeEEEZZNS1_29radix_sort_onesweep_iterationIS3_Lb0EN6thrust23THRUST_200600_302600_NS6detail15normal_iteratorINS9_10device_ptrIyEEEESE_PS5_SF_jNS0_19identity_decomposerENS1_16block_id_wrapperIjLb0EEEEE10hipError_tT1_PNSt15iterator_traitsISK_E10value_typeET2_T3_PNSL_ISQ_E10value_typeET4_T5_PSV_SW_PNS1_23onesweep_lookback_stateEbbT6_jjT7_P12ihipStream_tbENKUlT_T0_SK_SP_E_clISE_SE_SF_SF_EEDaS13_S14_SK_SP_EUlS13_E_NS1_11comp_targetILNS1_3genE3ELNS1_11target_archE908ELNS1_3gpuE7ELNS1_3repE0EEENS1_47radix_sort_onesweep_sort_config_static_selectorELNS0_4arch9wavefront6targetE1EEEvSK_
    .private_segment_fixed_size: 0
    .sgpr_count:     6
    .sgpr_spill_count: 0
    .symbol:         _ZN7rocprim17ROCPRIM_400000_NS6detail17trampoline_kernelINS0_14default_configENS1_35radix_sort_onesweep_config_selectorIyNS0_10empty_typeEEEZZNS1_29radix_sort_onesweep_iterationIS3_Lb0EN6thrust23THRUST_200600_302600_NS6detail15normal_iteratorINS9_10device_ptrIyEEEESE_PS5_SF_jNS0_19identity_decomposerENS1_16block_id_wrapperIjLb0EEEEE10hipError_tT1_PNSt15iterator_traitsISK_E10value_typeET2_T3_PNSL_ISQ_E10value_typeET4_T5_PSV_SW_PNS1_23onesweep_lookback_stateEbbT6_jjT7_P12ihipStream_tbENKUlT_T0_SK_SP_E_clISE_SE_SF_SF_EEDaS13_S14_SK_SP_EUlS13_E_NS1_11comp_targetILNS1_3genE3ELNS1_11target_archE908ELNS1_3gpuE7ELNS1_3repE0EEENS1_47radix_sort_onesweep_sort_config_static_selectorELNS0_4arch9wavefront6targetE1EEEvSK_.kd
    .uniform_work_group_size: 1
    .uses_dynamic_stack: false
    .vgpr_count:     0
    .vgpr_spill_count: 0
    .wavefront_size: 64
  - .agpr_count:     0
    .args:
      - .offset:         0
        .size:           88
        .value_kind:     by_value
    .group_segment_fixed_size: 0
    .kernarg_segment_align: 8
    .kernarg_segment_size: 88
    .language:       OpenCL C
    .language_version:
      - 2
      - 0
    .max_flat_workgroup_size: 512
    .name:           _ZN7rocprim17ROCPRIM_400000_NS6detail17trampoline_kernelINS0_14default_configENS1_35radix_sort_onesweep_config_selectorIyNS0_10empty_typeEEEZZNS1_29radix_sort_onesweep_iterationIS3_Lb0EN6thrust23THRUST_200600_302600_NS6detail15normal_iteratorINS9_10device_ptrIyEEEESE_PS5_SF_jNS0_19identity_decomposerENS1_16block_id_wrapperIjLb0EEEEE10hipError_tT1_PNSt15iterator_traitsISK_E10value_typeET2_T3_PNSL_ISQ_E10value_typeET4_T5_PSV_SW_PNS1_23onesweep_lookback_stateEbbT6_jjT7_P12ihipStream_tbENKUlT_T0_SK_SP_E_clISE_SE_SF_SF_EEDaS13_S14_SK_SP_EUlS13_E_NS1_11comp_targetILNS1_3genE10ELNS1_11target_archE1201ELNS1_3gpuE5ELNS1_3repE0EEENS1_47radix_sort_onesweep_sort_config_static_selectorELNS0_4arch9wavefront6targetE1EEEvSK_
    .private_segment_fixed_size: 0
    .sgpr_count:     6
    .sgpr_spill_count: 0
    .symbol:         _ZN7rocprim17ROCPRIM_400000_NS6detail17trampoline_kernelINS0_14default_configENS1_35radix_sort_onesweep_config_selectorIyNS0_10empty_typeEEEZZNS1_29radix_sort_onesweep_iterationIS3_Lb0EN6thrust23THRUST_200600_302600_NS6detail15normal_iteratorINS9_10device_ptrIyEEEESE_PS5_SF_jNS0_19identity_decomposerENS1_16block_id_wrapperIjLb0EEEEE10hipError_tT1_PNSt15iterator_traitsISK_E10value_typeET2_T3_PNSL_ISQ_E10value_typeET4_T5_PSV_SW_PNS1_23onesweep_lookback_stateEbbT6_jjT7_P12ihipStream_tbENKUlT_T0_SK_SP_E_clISE_SE_SF_SF_EEDaS13_S14_SK_SP_EUlS13_E_NS1_11comp_targetILNS1_3genE10ELNS1_11target_archE1201ELNS1_3gpuE5ELNS1_3repE0EEENS1_47radix_sort_onesweep_sort_config_static_selectorELNS0_4arch9wavefront6targetE1EEEvSK_.kd
    .uniform_work_group_size: 1
    .uses_dynamic_stack: false
    .vgpr_count:     0
    .vgpr_spill_count: 0
    .wavefront_size: 64
  - .agpr_count:     0
    .args:
      - .offset:         0
        .size:           88
        .value_kind:     by_value
    .group_segment_fixed_size: 0
    .kernarg_segment_align: 8
    .kernarg_segment_size: 88
    .language:       OpenCL C
    .language_version:
      - 2
      - 0
    .max_flat_workgroup_size: 1024
    .name:           _ZN7rocprim17ROCPRIM_400000_NS6detail17trampoline_kernelINS0_14default_configENS1_35radix_sort_onesweep_config_selectorIyNS0_10empty_typeEEEZZNS1_29radix_sort_onesweep_iterationIS3_Lb0EN6thrust23THRUST_200600_302600_NS6detail15normal_iteratorINS9_10device_ptrIyEEEESE_PS5_SF_jNS0_19identity_decomposerENS1_16block_id_wrapperIjLb0EEEEE10hipError_tT1_PNSt15iterator_traitsISK_E10value_typeET2_T3_PNSL_ISQ_E10value_typeET4_T5_PSV_SW_PNS1_23onesweep_lookback_stateEbbT6_jjT7_P12ihipStream_tbENKUlT_T0_SK_SP_E_clISE_SE_SF_SF_EEDaS13_S14_SK_SP_EUlS13_E_NS1_11comp_targetILNS1_3genE9ELNS1_11target_archE1100ELNS1_3gpuE3ELNS1_3repE0EEENS1_47radix_sort_onesweep_sort_config_static_selectorELNS0_4arch9wavefront6targetE1EEEvSK_
    .private_segment_fixed_size: 0
    .sgpr_count:     6
    .sgpr_spill_count: 0
    .symbol:         _ZN7rocprim17ROCPRIM_400000_NS6detail17trampoline_kernelINS0_14default_configENS1_35radix_sort_onesweep_config_selectorIyNS0_10empty_typeEEEZZNS1_29radix_sort_onesweep_iterationIS3_Lb0EN6thrust23THRUST_200600_302600_NS6detail15normal_iteratorINS9_10device_ptrIyEEEESE_PS5_SF_jNS0_19identity_decomposerENS1_16block_id_wrapperIjLb0EEEEE10hipError_tT1_PNSt15iterator_traitsISK_E10value_typeET2_T3_PNSL_ISQ_E10value_typeET4_T5_PSV_SW_PNS1_23onesweep_lookback_stateEbbT6_jjT7_P12ihipStream_tbENKUlT_T0_SK_SP_E_clISE_SE_SF_SF_EEDaS13_S14_SK_SP_EUlS13_E_NS1_11comp_targetILNS1_3genE9ELNS1_11target_archE1100ELNS1_3gpuE3ELNS1_3repE0EEENS1_47radix_sort_onesweep_sort_config_static_selectorELNS0_4arch9wavefront6targetE1EEEvSK_.kd
    .uniform_work_group_size: 1
    .uses_dynamic_stack: false
    .vgpr_count:     0
    .vgpr_spill_count: 0
    .wavefront_size: 64
  - .agpr_count:     0
    .args:
      - .offset:         0
        .size:           88
        .value_kind:     by_value
    .group_segment_fixed_size: 0
    .kernarg_segment_align: 8
    .kernarg_segment_size: 88
    .language:       OpenCL C
    .language_version:
      - 2
      - 0
    .max_flat_workgroup_size: 1024
    .name:           _ZN7rocprim17ROCPRIM_400000_NS6detail17trampoline_kernelINS0_14default_configENS1_35radix_sort_onesweep_config_selectorIyNS0_10empty_typeEEEZZNS1_29radix_sort_onesweep_iterationIS3_Lb0EN6thrust23THRUST_200600_302600_NS6detail15normal_iteratorINS9_10device_ptrIyEEEESE_PS5_SF_jNS0_19identity_decomposerENS1_16block_id_wrapperIjLb0EEEEE10hipError_tT1_PNSt15iterator_traitsISK_E10value_typeET2_T3_PNSL_ISQ_E10value_typeET4_T5_PSV_SW_PNS1_23onesweep_lookback_stateEbbT6_jjT7_P12ihipStream_tbENKUlT_T0_SK_SP_E_clISE_SE_SF_SF_EEDaS13_S14_SK_SP_EUlS13_E_NS1_11comp_targetILNS1_3genE8ELNS1_11target_archE1030ELNS1_3gpuE2ELNS1_3repE0EEENS1_47radix_sort_onesweep_sort_config_static_selectorELNS0_4arch9wavefront6targetE1EEEvSK_
    .private_segment_fixed_size: 0
    .sgpr_count:     6
    .sgpr_spill_count: 0
    .symbol:         _ZN7rocprim17ROCPRIM_400000_NS6detail17trampoline_kernelINS0_14default_configENS1_35radix_sort_onesweep_config_selectorIyNS0_10empty_typeEEEZZNS1_29radix_sort_onesweep_iterationIS3_Lb0EN6thrust23THRUST_200600_302600_NS6detail15normal_iteratorINS9_10device_ptrIyEEEESE_PS5_SF_jNS0_19identity_decomposerENS1_16block_id_wrapperIjLb0EEEEE10hipError_tT1_PNSt15iterator_traitsISK_E10value_typeET2_T3_PNSL_ISQ_E10value_typeET4_T5_PSV_SW_PNS1_23onesweep_lookback_stateEbbT6_jjT7_P12ihipStream_tbENKUlT_T0_SK_SP_E_clISE_SE_SF_SF_EEDaS13_S14_SK_SP_EUlS13_E_NS1_11comp_targetILNS1_3genE8ELNS1_11target_archE1030ELNS1_3gpuE2ELNS1_3repE0EEENS1_47radix_sort_onesweep_sort_config_static_selectorELNS0_4arch9wavefront6targetE1EEEvSK_.kd
    .uniform_work_group_size: 1
    .uses_dynamic_stack: false
    .vgpr_count:     0
    .vgpr_spill_count: 0
    .wavefront_size: 64
  - .agpr_count:     0
    .args:
      - .offset:         0
        .size:           88
        .value_kind:     by_value
    .group_segment_fixed_size: 0
    .kernarg_segment_align: 8
    .kernarg_segment_size: 88
    .language:       OpenCL C
    .language_version:
      - 2
      - 0
    .max_flat_workgroup_size: 512
    .name:           _ZN7rocprim17ROCPRIM_400000_NS6detail17trampoline_kernelINS0_14default_configENS1_35radix_sort_onesweep_config_selectorIyNS0_10empty_typeEEEZZNS1_29radix_sort_onesweep_iterationIS3_Lb0EN6thrust23THRUST_200600_302600_NS6detail15normal_iteratorINS9_10device_ptrIyEEEESE_PS5_SF_jNS0_19identity_decomposerENS1_16block_id_wrapperIjLb0EEEEE10hipError_tT1_PNSt15iterator_traitsISK_E10value_typeET2_T3_PNSL_ISQ_E10value_typeET4_T5_PSV_SW_PNS1_23onesweep_lookback_stateEbbT6_jjT7_P12ihipStream_tbENKUlT_T0_SK_SP_E_clISE_PySF_SF_EEDaS13_S14_SK_SP_EUlS13_E_NS1_11comp_targetILNS1_3genE0ELNS1_11target_archE4294967295ELNS1_3gpuE0ELNS1_3repE0EEENS1_47radix_sort_onesweep_sort_config_static_selectorELNS0_4arch9wavefront6targetE1EEEvSK_
    .private_segment_fixed_size: 0
    .sgpr_count:     6
    .sgpr_spill_count: 0
    .symbol:         _ZN7rocprim17ROCPRIM_400000_NS6detail17trampoline_kernelINS0_14default_configENS1_35radix_sort_onesweep_config_selectorIyNS0_10empty_typeEEEZZNS1_29radix_sort_onesweep_iterationIS3_Lb0EN6thrust23THRUST_200600_302600_NS6detail15normal_iteratorINS9_10device_ptrIyEEEESE_PS5_SF_jNS0_19identity_decomposerENS1_16block_id_wrapperIjLb0EEEEE10hipError_tT1_PNSt15iterator_traitsISK_E10value_typeET2_T3_PNSL_ISQ_E10value_typeET4_T5_PSV_SW_PNS1_23onesweep_lookback_stateEbbT6_jjT7_P12ihipStream_tbENKUlT_T0_SK_SP_E_clISE_PySF_SF_EEDaS13_S14_SK_SP_EUlS13_E_NS1_11comp_targetILNS1_3genE0ELNS1_11target_archE4294967295ELNS1_3gpuE0ELNS1_3repE0EEENS1_47radix_sort_onesweep_sort_config_static_selectorELNS0_4arch9wavefront6targetE1EEEvSK_.kd
    .uniform_work_group_size: 1
    .uses_dynamic_stack: false
    .vgpr_count:     0
    .vgpr_spill_count: 0
    .wavefront_size: 64
  - .agpr_count:     0
    .args:
      - .offset:         0
        .size:           88
        .value_kind:     by_value
    .group_segment_fixed_size: 0
    .kernarg_segment_align: 8
    .kernarg_segment_size: 88
    .language:       OpenCL C
    .language_version:
      - 2
      - 0
    .max_flat_workgroup_size: 512
    .name:           _ZN7rocprim17ROCPRIM_400000_NS6detail17trampoline_kernelINS0_14default_configENS1_35radix_sort_onesweep_config_selectorIyNS0_10empty_typeEEEZZNS1_29radix_sort_onesweep_iterationIS3_Lb0EN6thrust23THRUST_200600_302600_NS6detail15normal_iteratorINS9_10device_ptrIyEEEESE_PS5_SF_jNS0_19identity_decomposerENS1_16block_id_wrapperIjLb0EEEEE10hipError_tT1_PNSt15iterator_traitsISK_E10value_typeET2_T3_PNSL_ISQ_E10value_typeET4_T5_PSV_SW_PNS1_23onesweep_lookback_stateEbbT6_jjT7_P12ihipStream_tbENKUlT_T0_SK_SP_E_clISE_PySF_SF_EEDaS13_S14_SK_SP_EUlS13_E_NS1_11comp_targetILNS1_3genE6ELNS1_11target_archE950ELNS1_3gpuE13ELNS1_3repE0EEENS1_47radix_sort_onesweep_sort_config_static_selectorELNS0_4arch9wavefront6targetE1EEEvSK_
    .private_segment_fixed_size: 0
    .sgpr_count:     6
    .sgpr_spill_count: 0
    .symbol:         _ZN7rocprim17ROCPRIM_400000_NS6detail17trampoline_kernelINS0_14default_configENS1_35radix_sort_onesweep_config_selectorIyNS0_10empty_typeEEEZZNS1_29radix_sort_onesweep_iterationIS3_Lb0EN6thrust23THRUST_200600_302600_NS6detail15normal_iteratorINS9_10device_ptrIyEEEESE_PS5_SF_jNS0_19identity_decomposerENS1_16block_id_wrapperIjLb0EEEEE10hipError_tT1_PNSt15iterator_traitsISK_E10value_typeET2_T3_PNSL_ISQ_E10value_typeET4_T5_PSV_SW_PNS1_23onesweep_lookback_stateEbbT6_jjT7_P12ihipStream_tbENKUlT_T0_SK_SP_E_clISE_PySF_SF_EEDaS13_S14_SK_SP_EUlS13_E_NS1_11comp_targetILNS1_3genE6ELNS1_11target_archE950ELNS1_3gpuE13ELNS1_3repE0EEENS1_47radix_sort_onesweep_sort_config_static_selectorELNS0_4arch9wavefront6targetE1EEEvSK_.kd
    .uniform_work_group_size: 1
    .uses_dynamic_stack: false
    .vgpr_count:     0
    .vgpr_spill_count: 0
    .wavefront_size: 64
  - .agpr_count:     0
    .args:
      - .offset:         0
        .size:           88
        .value_kind:     by_value
      - .offset:         88
        .size:           4
        .value_kind:     hidden_block_count_x
      - .offset:         92
        .size:           4
        .value_kind:     hidden_block_count_y
      - .offset:         96
        .size:           4
        .value_kind:     hidden_block_count_z
      - .offset:         100
        .size:           2
        .value_kind:     hidden_group_size_x
      - .offset:         102
        .size:           2
        .value_kind:     hidden_group_size_y
      - .offset:         104
        .size:           2
        .value_kind:     hidden_group_size_z
      - .offset:         106
        .size:           2
        .value_kind:     hidden_remainder_x
      - .offset:         108
        .size:           2
        .value_kind:     hidden_remainder_y
      - .offset:         110
        .size:           2
        .value_kind:     hidden_remainder_z
      - .offset:         128
        .size:           8
        .value_kind:     hidden_global_offset_x
      - .offset:         136
        .size:           8
        .value_kind:     hidden_global_offset_y
      - .offset:         144
        .size:           8
        .value_kind:     hidden_global_offset_z
      - .offset:         152
        .size:           2
        .value_kind:     hidden_grid_dims
    .group_segment_fixed_size: 10280
    .kernarg_segment_align: 8
    .kernarg_segment_size: 344
    .language:       OpenCL C
    .language_version:
      - 2
      - 0
    .max_flat_workgroup_size: 512
    .name:           _ZN7rocprim17ROCPRIM_400000_NS6detail17trampoline_kernelINS0_14default_configENS1_35radix_sort_onesweep_config_selectorIyNS0_10empty_typeEEEZZNS1_29radix_sort_onesweep_iterationIS3_Lb0EN6thrust23THRUST_200600_302600_NS6detail15normal_iteratorINS9_10device_ptrIyEEEESE_PS5_SF_jNS0_19identity_decomposerENS1_16block_id_wrapperIjLb0EEEEE10hipError_tT1_PNSt15iterator_traitsISK_E10value_typeET2_T3_PNSL_ISQ_E10value_typeET4_T5_PSV_SW_PNS1_23onesweep_lookback_stateEbbT6_jjT7_P12ihipStream_tbENKUlT_T0_SK_SP_E_clISE_PySF_SF_EEDaS13_S14_SK_SP_EUlS13_E_NS1_11comp_targetILNS1_3genE5ELNS1_11target_archE942ELNS1_3gpuE9ELNS1_3repE0EEENS1_47radix_sort_onesweep_sort_config_static_selectorELNS0_4arch9wavefront6targetE1EEEvSK_
    .private_segment_fixed_size: 0
    .sgpr_count:     38
    .sgpr_spill_count: 0
    .symbol:         _ZN7rocprim17ROCPRIM_400000_NS6detail17trampoline_kernelINS0_14default_configENS1_35radix_sort_onesweep_config_selectorIyNS0_10empty_typeEEEZZNS1_29radix_sort_onesweep_iterationIS3_Lb0EN6thrust23THRUST_200600_302600_NS6detail15normal_iteratorINS9_10device_ptrIyEEEESE_PS5_SF_jNS0_19identity_decomposerENS1_16block_id_wrapperIjLb0EEEEE10hipError_tT1_PNSt15iterator_traitsISK_E10value_typeET2_T3_PNSL_ISQ_E10value_typeET4_T5_PSV_SW_PNS1_23onesweep_lookback_stateEbbT6_jjT7_P12ihipStream_tbENKUlT_T0_SK_SP_E_clISE_PySF_SF_EEDaS13_S14_SK_SP_EUlS13_E_NS1_11comp_targetILNS1_3genE5ELNS1_11target_archE942ELNS1_3gpuE9ELNS1_3repE0EEENS1_47radix_sort_onesweep_sort_config_static_selectorELNS0_4arch9wavefront6targetE1EEEvSK_.kd
    .uniform_work_group_size: 1
    .uses_dynamic_stack: false
    .vgpr_count:     78
    .vgpr_spill_count: 0
    .wavefront_size: 64
  - .agpr_count:     0
    .args:
      - .offset:         0
        .size:           88
        .value_kind:     by_value
    .group_segment_fixed_size: 0
    .kernarg_segment_align: 8
    .kernarg_segment_size: 88
    .language:       OpenCL C
    .language_version:
      - 2
      - 0
    .max_flat_workgroup_size: 512
    .name:           _ZN7rocprim17ROCPRIM_400000_NS6detail17trampoline_kernelINS0_14default_configENS1_35radix_sort_onesweep_config_selectorIyNS0_10empty_typeEEEZZNS1_29radix_sort_onesweep_iterationIS3_Lb0EN6thrust23THRUST_200600_302600_NS6detail15normal_iteratorINS9_10device_ptrIyEEEESE_PS5_SF_jNS0_19identity_decomposerENS1_16block_id_wrapperIjLb0EEEEE10hipError_tT1_PNSt15iterator_traitsISK_E10value_typeET2_T3_PNSL_ISQ_E10value_typeET4_T5_PSV_SW_PNS1_23onesweep_lookback_stateEbbT6_jjT7_P12ihipStream_tbENKUlT_T0_SK_SP_E_clISE_PySF_SF_EEDaS13_S14_SK_SP_EUlS13_E_NS1_11comp_targetILNS1_3genE2ELNS1_11target_archE906ELNS1_3gpuE6ELNS1_3repE0EEENS1_47radix_sort_onesweep_sort_config_static_selectorELNS0_4arch9wavefront6targetE1EEEvSK_
    .private_segment_fixed_size: 0
    .sgpr_count:     6
    .sgpr_spill_count: 0
    .symbol:         _ZN7rocprim17ROCPRIM_400000_NS6detail17trampoline_kernelINS0_14default_configENS1_35radix_sort_onesweep_config_selectorIyNS0_10empty_typeEEEZZNS1_29radix_sort_onesweep_iterationIS3_Lb0EN6thrust23THRUST_200600_302600_NS6detail15normal_iteratorINS9_10device_ptrIyEEEESE_PS5_SF_jNS0_19identity_decomposerENS1_16block_id_wrapperIjLb0EEEEE10hipError_tT1_PNSt15iterator_traitsISK_E10value_typeET2_T3_PNSL_ISQ_E10value_typeET4_T5_PSV_SW_PNS1_23onesweep_lookback_stateEbbT6_jjT7_P12ihipStream_tbENKUlT_T0_SK_SP_E_clISE_PySF_SF_EEDaS13_S14_SK_SP_EUlS13_E_NS1_11comp_targetILNS1_3genE2ELNS1_11target_archE906ELNS1_3gpuE6ELNS1_3repE0EEENS1_47radix_sort_onesweep_sort_config_static_selectorELNS0_4arch9wavefront6targetE1EEEvSK_.kd
    .uniform_work_group_size: 1
    .uses_dynamic_stack: false
    .vgpr_count:     0
    .vgpr_spill_count: 0
    .wavefront_size: 64
  - .agpr_count:     0
    .args:
      - .offset:         0
        .size:           88
        .value_kind:     by_value
    .group_segment_fixed_size: 0
    .kernarg_segment_align: 8
    .kernarg_segment_size: 88
    .language:       OpenCL C
    .language_version:
      - 2
      - 0
    .max_flat_workgroup_size: 1024
    .name:           _ZN7rocprim17ROCPRIM_400000_NS6detail17trampoline_kernelINS0_14default_configENS1_35radix_sort_onesweep_config_selectorIyNS0_10empty_typeEEEZZNS1_29radix_sort_onesweep_iterationIS3_Lb0EN6thrust23THRUST_200600_302600_NS6detail15normal_iteratorINS9_10device_ptrIyEEEESE_PS5_SF_jNS0_19identity_decomposerENS1_16block_id_wrapperIjLb0EEEEE10hipError_tT1_PNSt15iterator_traitsISK_E10value_typeET2_T3_PNSL_ISQ_E10value_typeET4_T5_PSV_SW_PNS1_23onesweep_lookback_stateEbbT6_jjT7_P12ihipStream_tbENKUlT_T0_SK_SP_E_clISE_PySF_SF_EEDaS13_S14_SK_SP_EUlS13_E_NS1_11comp_targetILNS1_3genE4ELNS1_11target_archE910ELNS1_3gpuE8ELNS1_3repE0EEENS1_47radix_sort_onesweep_sort_config_static_selectorELNS0_4arch9wavefront6targetE1EEEvSK_
    .private_segment_fixed_size: 0
    .sgpr_count:     6
    .sgpr_spill_count: 0
    .symbol:         _ZN7rocprim17ROCPRIM_400000_NS6detail17trampoline_kernelINS0_14default_configENS1_35radix_sort_onesweep_config_selectorIyNS0_10empty_typeEEEZZNS1_29radix_sort_onesweep_iterationIS3_Lb0EN6thrust23THRUST_200600_302600_NS6detail15normal_iteratorINS9_10device_ptrIyEEEESE_PS5_SF_jNS0_19identity_decomposerENS1_16block_id_wrapperIjLb0EEEEE10hipError_tT1_PNSt15iterator_traitsISK_E10value_typeET2_T3_PNSL_ISQ_E10value_typeET4_T5_PSV_SW_PNS1_23onesweep_lookback_stateEbbT6_jjT7_P12ihipStream_tbENKUlT_T0_SK_SP_E_clISE_PySF_SF_EEDaS13_S14_SK_SP_EUlS13_E_NS1_11comp_targetILNS1_3genE4ELNS1_11target_archE910ELNS1_3gpuE8ELNS1_3repE0EEENS1_47radix_sort_onesweep_sort_config_static_selectorELNS0_4arch9wavefront6targetE1EEEvSK_.kd
    .uniform_work_group_size: 1
    .uses_dynamic_stack: false
    .vgpr_count:     0
    .vgpr_spill_count: 0
    .wavefront_size: 64
  - .agpr_count:     0
    .args:
      - .offset:         0
        .size:           88
        .value_kind:     by_value
    .group_segment_fixed_size: 0
    .kernarg_segment_align: 8
    .kernarg_segment_size: 88
    .language:       OpenCL C
    .language_version:
      - 2
      - 0
    .max_flat_workgroup_size: 512
    .name:           _ZN7rocprim17ROCPRIM_400000_NS6detail17trampoline_kernelINS0_14default_configENS1_35radix_sort_onesweep_config_selectorIyNS0_10empty_typeEEEZZNS1_29radix_sort_onesweep_iterationIS3_Lb0EN6thrust23THRUST_200600_302600_NS6detail15normal_iteratorINS9_10device_ptrIyEEEESE_PS5_SF_jNS0_19identity_decomposerENS1_16block_id_wrapperIjLb0EEEEE10hipError_tT1_PNSt15iterator_traitsISK_E10value_typeET2_T3_PNSL_ISQ_E10value_typeET4_T5_PSV_SW_PNS1_23onesweep_lookback_stateEbbT6_jjT7_P12ihipStream_tbENKUlT_T0_SK_SP_E_clISE_PySF_SF_EEDaS13_S14_SK_SP_EUlS13_E_NS1_11comp_targetILNS1_3genE3ELNS1_11target_archE908ELNS1_3gpuE7ELNS1_3repE0EEENS1_47radix_sort_onesweep_sort_config_static_selectorELNS0_4arch9wavefront6targetE1EEEvSK_
    .private_segment_fixed_size: 0
    .sgpr_count:     6
    .sgpr_spill_count: 0
    .symbol:         _ZN7rocprim17ROCPRIM_400000_NS6detail17trampoline_kernelINS0_14default_configENS1_35radix_sort_onesweep_config_selectorIyNS0_10empty_typeEEEZZNS1_29radix_sort_onesweep_iterationIS3_Lb0EN6thrust23THRUST_200600_302600_NS6detail15normal_iteratorINS9_10device_ptrIyEEEESE_PS5_SF_jNS0_19identity_decomposerENS1_16block_id_wrapperIjLb0EEEEE10hipError_tT1_PNSt15iterator_traitsISK_E10value_typeET2_T3_PNSL_ISQ_E10value_typeET4_T5_PSV_SW_PNS1_23onesweep_lookback_stateEbbT6_jjT7_P12ihipStream_tbENKUlT_T0_SK_SP_E_clISE_PySF_SF_EEDaS13_S14_SK_SP_EUlS13_E_NS1_11comp_targetILNS1_3genE3ELNS1_11target_archE908ELNS1_3gpuE7ELNS1_3repE0EEENS1_47radix_sort_onesweep_sort_config_static_selectorELNS0_4arch9wavefront6targetE1EEEvSK_.kd
    .uniform_work_group_size: 1
    .uses_dynamic_stack: false
    .vgpr_count:     0
    .vgpr_spill_count: 0
    .wavefront_size: 64
  - .agpr_count:     0
    .args:
      - .offset:         0
        .size:           88
        .value_kind:     by_value
    .group_segment_fixed_size: 0
    .kernarg_segment_align: 8
    .kernarg_segment_size: 88
    .language:       OpenCL C
    .language_version:
      - 2
      - 0
    .max_flat_workgroup_size: 512
    .name:           _ZN7rocprim17ROCPRIM_400000_NS6detail17trampoline_kernelINS0_14default_configENS1_35radix_sort_onesweep_config_selectorIyNS0_10empty_typeEEEZZNS1_29radix_sort_onesweep_iterationIS3_Lb0EN6thrust23THRUST_200600_302600_NS6detail15normal_iteratorINS9_10device_ptrIyEEEESE_PS5_SF_jNS0_19identity_decomposerENS1_16block_id_wrapperIjLb0EEEEE10hipError_tT1_PNSt15iterator_traitsISK_E10value_typeET2_T3_PNSL_ISQ_E10value_typeET4_T5_PSV_SW_PNS1_23onesweep_lookback_stateEbbT6_jjT7_P12ihipStream_tbENKUlT_T0_SK_SP_E_clISE_PySF_SF_EEDaS13_S14_SK_SP_EUlS13_E_NS1_11comp_targetILNS1_3genE10ELNS1_11target_archE1201ELNS1_3gpuE5ELNS1_3repE0EEENS1_47radix_sort_onesweep_sort_config_static_selectorELNS0_4arch9wavefront6targetE1EEEvSK_
    .private_segment_fixed_size: 0
    .sgpr_count:     6
    .sgpr_spill_count: 0
    .symbol:         _ZN7rocprim17ROCPRIM_400000_NS6detail17trampoline_kernelINS0_14default_configENS1_35radix_sort_onesweep_config_selectorIyNS0_10empty_typeEEEZZNS1_29radix_sort_onesweep_iterationIS3_Lb0EN6thrust23THRUST_200600_302600_NS6detail15normal_iteratorINS9_10device_ptrIyEEEESE_PS5_SF_jNS0_19identity_decomposerENS1_16block_id_wrapperIjLb0EEEEE10hipError_tT1_PNSt15iterator_traitsISK_E10value_typeET2_T3_PNSL_ISQ_E10value_typeET4_T5_PSV_SW_PNS1_23onesweep_lookback_stateEbbT6_jjT7_P12ihipStream_tbENKUlT_T0_SK_SP_E_clISE_PySF_SF_EEDaS13_S14_SK_SP_EUlS13_E_NS1_11comp_targetILNS1_3genE10ELNS1_11target_archE1201ELNS1_3gpuE5ELNS1_3repE0EEENS1_47radix_sort_onesweep_sort_config_static_selectorELNS0_4arch9wavefront6targetE1EEEvSK_.kd
    .uniform_work_group_size: 1
    .uses_dynamic_stack: false
    .vgpr_count:     0
    .vgpr_spill_count: 0
    .wavefront_size: 64
  - .agpr_count:     0
    .args:
      - .offset:         0
        .size:           88
        .value_kind:     by_value
    .group_segment_fixed_size: 0
    .kernarg_segment_align: 8
    .kernarg_segment_size: 88
    .language:       OpenCL C
    .language_version:
      - 2
      - 0
    .max_flat_workgroup_size: 1024
    .name:           _ZN7rocprim17ROCPRIM_400000_NS6detail17trampoline_kernelINS0_14default_configENS1_35radix_sort_onesweep_config_selectorIyNS0_10empty_typeEEEZZNS1_29radix_sort_onesweep_iterationIS3_Lb0EN6thrust23THRUST_200600_302600_NS6detail15normal_iteratorINS9_10device_ptrIyEEEESE_PS5_SF_jNS0_19identity_decomposerENS1_16block_id_wrapperIjLb0EEEEE10hipError_tT1_PNSt15iterator_traitsISK_E10value_typeET2_T3_PNSL_ISQ_E10value_typeET4_T5_PSV_SW_PNS1_23onesweep_lookback_stateEbbT6_jjT7_P12ihipStream_tbENKUlT_T0_SK_SP_E_clISE_PySF_SF_EEDaS13_S14_SK_SP_EUlS13_E_NS1_11comp_targetILNS1_3genE9ELNS1_11target_archE1100ELNS1_3gpuE3ELNS1_3repE0EEENS1_47radix_sort_onesweep_sort_config_static_selectorELNS0_4arch9wavefront6targetE1EEEvSK_
    .private_segment_fixed_size: 0
    .sgpr_count:     6
    .sgpr_spill_count: 0
    .symbol:         _ZN7rocprim17ROCPRIM_400000_NS6detail17trampoline_kernelINS0_14default_configENS1_35radix_sort_onesweep_config_selectorIyNS0_10empty_typeEEEZZNS1_29radix_sort_onesweep_iterationIS3_Lb0EN6thrust23THRUST_200600_302600_NS6detail15normal_iteratorINS9_10device_ptrIyEEEESE_PS5_SF_jNS0_19identity_decomposerENS1_16block_id_wrapperIjLb0EEEEE10hipError_tT1_PNSt15iterator_traitsISK_E10value_typeET2_T3_PNSL_ISQ_E10value_typeET4_T5_PSV_SW_PNS1_23onesweep_lookback_stateEbbT6_jjT7_P12ihipStream_tbENKUlT_T0_SK_SP_E_clISE_PySF_SF_EEDaS13_S14_SK_SP_EUlS13_E_NS1_11comp_targetILNS1_3genE9ELNS1_11target_archE1100ELNS1_3gpuE3ELNS1_3repE0EEENS1_47radix_sort_onesweep_sort_config_static_selectorELNS0_4arch9wavefront6targetE1EEEvSK_.kd
    .uniform_work_group_size: 1
    .uses_dynamic_stack: false
    .vgpr_count:     0
    .vgpr_spill_count: 0
    .wavefront_size: 64
  - .agpr_count:     0
    .args:
      - .offset:         0
        .size:           88
        .value_kind:     by_value
    .group_segment_fixed_size: 0
    .kernarg_segment_align: 8
    .kernarg_segment_size: 88
    .language:       OpenCL C
    .language_version:
      - 2
      - 0
    .max_flat_workgroup_size: 1024
    .name:           _ZN7rocprim17ROCPRIM_400000_NS6detail17trampoline_kernelINS0_14default_configENS1_35radix_sort_onesweep_config_selectorIyNS0_10empty_typeEEEZZNS1_29radix_sort_onesweep_iterationIS3_Lb0EN6thrust23THRUST_200600_302600_NS6detail15normal_iteratorINS9_10device_ptrIyEEEESE_PS5_SF_jNS0_19identity_decomposerENS1_16block_id_wrapperIjLb0EEEEE10hipError_tT1_PNSt15iterator_traitsISK_E10value_typeET2_T3_PNSL_ISQ_E10value_typeET4_T5_PSV_SW_PNS1_23onesweep_lookback_stateEbbT6_jjT7_P12ihipStream_tbENKUlT_T0_SK_SP_E_clISE_PySF_SF_EEDaS13_S14_SK_SP_EUlS13_E_NS1_11comp_targetILNS1_3genE8ELNS1_11target_archE1030ELNS1_3gpuE2ELNS1_3repE0EEENS1_47radix_sort_onesweep_sort_config_static_selectorELNS0_4arch9wavefront6targetE1EEEvSK_
    .private_segment_fixed_size: 0
    .sgpr_count:     6
    .sgpr_spill_count: 0
    .symbol:         _ZN7rocprim17ROCPRIM_400000_NS6detail17trampoline_kernelINS0_14default_configENS1_35radix_sort_onesweep_config_selectorIyNS0_10empty_typeEEEZZNS1_29radix_sort_onesweep_iterationIS3_Lb0EN6thrust23THRUST_200600_302600_NS6detail15normal_iteratorINS9_10device_ptrIyEEEESE_PS5_SF_jNS0_19identity_decomposerENS1_16block_id_wrapperIjLb0EEEEE10hipError_tT1_PNSt15iterator_traitsISK_E10value_typeET2_T3_PNSL_ISQ_E10value_typeET4_T5_PSV_SW_PNS1_23onesweep_lookback_stateEbbT6_jjT7_P12ihipStream_tbENKUlT_T0_SK_SP_E_clISE_PySF_SF_EEDaS13_S14_SK_SP_EUlS13_E_NS1_11comp_targetILNS1_3genE8ELNS1_11target_archE1030ELNS1_3gpuE2ELNS1_3repE0EEENS1_47radix_sort_onesweep_sort_config_static_selectorELNS0_4arch9wavefront6targetE1EEEvSK_.kd
    .uniform_work_group_size: 1
    .uses_dynamic_stack: false
    .vgpr_count:     0
    .vgpr_spill_count: 0
    .wavefront_size: 64
  - .agpr_count:     0
    .args:
      - .offset:         0
        .size:           88
        .value_kind:     by_value
    .group_segment_fixed_size: 0
    .kernarg_segment_align: 8
    .kernarg_segment_size: 88
    .language:       OpenCL C
    .language_version:
      - 2
      - 0
    .max_flat_workgroup_size: 512
    .name:           _ZN7rocprim17ROCPRIM_400000_NS6detail17trampoline_kernelINS0_14default_configENS1_35radix_sort_onesweep_config_selectorIyNS0_10empty_typeEEEZZNS1_29radix_sort_onesweep_iterationIS3_Lb0EN6thrust23THRUST_200600_302600_NS6detail15normal_iteratorINS9_10device_ptrIyEEEESE_PS5_SF_jNS0_19identity_decomposerENS1_16block_id_wrapperIjLb0EEEEE10hipError_tT1_PNSt15iterator_traitsISK_E10value_typeET2_T3_PNSL_ISQ_E10value_typeET4_T5_PSV_SW_PNS1_23onesweep_lookback_stateEbbT6_jjT7_P12ihipStream_tbENKUlT_T0_SK_SP_E_clIPySE_SF_SF_EEDaS13_S14_SK_SP_EUlS13_E_NS1_11comp_targetILNS1_3genE0ELNS1_11target_archE4294967295ELNS1_3gpuE0ELNS1_3repE0EEENS1_47radix_sort_onesweep_sort_config_static_selectorELNS0_4arch9wavefront6targetE1EEEvSK_
    .private_segment_fixed_size: 0
    .sgpr_count:     6
    .sgpr_spill_count: 0
    .symbol:         _ZN7rocprim17ROCPRIM_400000_NS6detail17trampoline_kernelINS0_14default_configENS1_35radix_sort_onesweep_config_selectorIyNS0_10empty_typeEEEZZNS1_29radix_sort_onesweep_iterationIS3_Lb0EN6thrust23THRUST_200600_302600_NS6detail15normal_iteratorINS9_10device_ptrIyEEEESE_PS5_SF_jNS0_19identity_decomposerENS1_16block_id_wrapperIjLb0EEEEE10hipError_tT1_PNSt15iterator_traitsISK_E10value_typeET2_T3_PNSL_ISQ_E10value_typeET4_T5_PSV_SW_PNS1_23onesweep_lookback_stateEbbT6_jjT7_P12ihipStream_tbENKUlT_T0_SK_SP_E_clIPySE_SF_SF_EEDaS13_S14_SK_SP_EUlS13_E_NS1_11comp_targetILNS1_3genE0ELNS1_11target_archE4294967295ELNS1_3gpuE0ELNS1_3repE0EEENS1_47radix_sort_onesweep_sort_config_static_selectorELNS0_4arch9wavefront6targetE1EEEvSK_.kd
    .uniform_work_group_size: 1
    .uses_dynamic_stack: false
    .vgpr_count:     0
    .vgpr_spill_count: 0
    .wavefront_size: 64
  - .agpr_count:     0
    .args:
      - .offset:         0
        .size:           88
        .value_kind:     by_value
    .group_segment_fixed_size: 0
    .kernarg_segment_align: 8
    .kernarg_segment_size: 88
    .language:       OpenCL C
    .language_version:
      - 2
      - 0
    .max_flat_workgroup_size: 512
    .name:           _ZN7rocprim17ROCPRIM_400000_NS6detail17trampoline_kernelINS0_14default_configENS1_35radix_sort_onesweep_config_selectorIyNS0_10empty_typeEEEZZNS1_29radix_sort_onesweep_iterationIS3_Lb0EN6thrust23THRUST_200600_302600_NS6detail15normal_iteratorINS9_10device_ptrIyEEEESE_PS5_SF_jNS0_19identity_decomposerENS1_16block_id_wrapperIjLb0EEEEE10hipError_tT1_PNSt15iterator_traitsISK_E10value_typeET2_T3_PNSL_ISQ_E10value_typeET4_T5_PSV_SW_PNS1_23onesweep_lookback_stateEbbT6_jjT7_P12ihipStream_tbENKUlT_T0_SK_SP_E_clIPySE_SF_SF_EEDaS13_S14_SK_SP_EUlS13_E_NS1_11comp_targetILNS1_3genE6ELNS1_11target_archE950ELNS1_3gpuE13ELNS1_3repE0EEENS1_47radix_sort_onesweep_sort_config_static_selectorELNS0_4arch9wavefront6targetE1EEEvSK_
    .private_segment_fixed_size: 0
    .sgpr_count:     6
    .sgpr_spill_count: 0
    .symbol:         _ZN7rocprim17ROCPRIM_400000_NS6detail17trampoline_kernelINS0_14default_configENS1_35radix_sort_onesweep_config_selectorIyNS0_10empty_typeEEEZZNS1_29radix_sort_onesweep_iterationIS3_Lb0EN6thrust23THRUST_200600_302600_NS6detail15normal_iteratorINS9_10device_ptrIyEEEESE_PS5_SF_jNS0_19identity_decomposerENS1_16block_id_wrapperIjLb0EEEEE10hipError_tT1_PNSt15iterator_traitsISK_E10value_typeET2_T3_PNSL_ISQ_E10value_typeET4_T5_PSV_SW_PNS1_23onesweep_lookback_stateEbbT6_jjT7_P12ihipStream_tbENKUlT_T0_SK_SP_E_clIPySE_SF_SF_EEDaS13_S14_SK_SP_EUlS13_E_NS1_11comp_targetILNS1_3genE6ELNS1_11target_archE950ELNS1_3gpuE13ELNS1_3repE0EEENS1_47radix_sort_onesweep_sort_config_static_selectorELNS0_4arch9wavefront6targetE1EEEvSK_.kd
    .uniform_work_group_size: 1
    .uses_dynamic_stack: false
    .vgpr_count:     0
    .vgpr_spill_count: 0
    .wavefront_size: 64
  - .agpr_count:     0
    .args:
      - .offset:         0
        .size:           88
        .value_kind:     by_value
      - .offset:         88
        .size:           4
        .value_kind:     hidden_block_count_x
      - .offset:         92
        .size:           4
        .value_kind:     hidden_block_count_y
      - .offset:         96
        .size:           4
        .value_kind:     hidden_block_count_z
      - .offset:         100
        .size:           2
        .value_kind:     hidden_group_size_x
      - .offset:         102
        .size:           2
        .value_kind:     hidden_group_size_y
      - .offset:         104
        .size:           2
        .value_kind:     hidden_group_size_z
      - .offset:         106
        .size:           2
        .value_kind:     hidden_remainder_x
      - .offset:         108
        .size:           2
        .value_kind:     hidden_remainder_y
      - .offset:         110
        .size:           2
        .value_kind:     hidden_remainder_z
      - .offset:         128
        .size:           8
        .value_kind:     hidden_global_offset_x
      - .offset:         136
        .size:           8
        .value_kind:     hidden_global_offset_y
      - .offset:         144
        .size:           8
        .value_kind:     hidden_global_offset_z
      - .offset:         152
        .size:           2
        .value_kind:     hidden_grid_dims
    .group_segment_fixed_size: 10280
    .kernarg_segment_align: 8
    .kernarg_segment_size: 344
    .language:       OpenCL C
    .language_version:
      - 2
      - 0
    .max_flat_workgroup_size: 512
    .name:           _ZN7rocprim17ROCPRIM_400000_NS6detail17trampoline_kernelINS0_14default_configENS1_35radix_sort_onesweep_config_selectorIyNS0_10empty_typeEEEZZNS1_29radix_sort_onesweep_iterationIS3_Lb0EN6thrust23THRUST_200600_302600_NS6detail15normal_iteratorINS9_10device_ptrIyEEEESE_PS5_SF_jNS0_19identity_decomposerENS1_16block_id_wrapperIjLb0EEEEE10hipError_tT1_PNSt15iterator_traitsISK_E10value_typeET2_T3_PNSL_ISQ_E10value_typeET4_T5_PSV_SW_PNS1_23onesweep_lookback_stateEbbT6_jjT7_P12ihipStream_tbENKUlT_T0_SK_SP_E_clIPySE_SF_SF_EEDaS13_S14_SK_SP_EUlS13_E_NS1_11comp_targetILNS1_3genE5ELNS1_11target_archE942ELNS1_3gpuE9ELNS1_3repE0EEENS1_47radix_sort_onesweep_sort_config_static_selectorELNS0_4arch9wavefront6targetE1EEEvSK_
    .private_segment_fixed_size: 0
    .sgpr_count:     38
    .sgpr_spill_count: 0
    .symbol:         _ZN7rocprim17ROCPRIM_400000_NS6detail17trampoline_kernelINS0_14default_configENS1_35radix_sort_onesweep_config_selectorIyNS0_10empty_typeEEEZZNS1_29radix_sort_onesweep_iterationIS3_Lb0EN6thrust23THRUST_200600_302600_NS6detail15normal_iteratorINS9_10device_ptrIyEEEESE_PS5_SF_jNS0_19identity_decomposerENS1_16block_id_wrapperIjLb0EEEEE10hipError_tT1_PNSt15iterator_traitsISK_E10value_typeET2_T3_PNSL_ISQ_E10value_typeET4_T5_PSV_SW_PNS1_23onesweep_lookback_stateEbbT6_jjT7_P12ihipStream_tbENKUlT_T0_SK_SP_E_clIPySE_SF_SF_EEDaS13_S14_SK_SP_EUlS13_E_NS1_11comp_targetILNS1_3genE5ELNS1_11target_archE942ELNS1_3gpuE9ELNS1_3repE0EEENS1_47radix_sort_onesweep_sort_config_static_selectorELNS0_4arch9wavefront6targetE1EEEvSK_.kd
    .uniform_work_group_size: 1
    .uses_dynamic_stack: false
    .vgpr_count:     78
    .vgpr_spill_count: 0
    .wavefront_size: 64
  - .agpr_count:     0
    .args:
      - .offset:         0
        .size:           88
        .value_kind:     by_value
    .group_segment_fixed_size: 0
    .kernarg_segment_align: 8
    .kernarg_segment_size: 88
    .language:       OpenCL C
    .language_version:
      - 2
      - 0
    .max_flat_workgroup_size: 512
    .name:           _ZN7rocprim17ROCPRIM_400000_NS6detail17trampoline_kernelINS0_14default_configENS1_35radix_sort_onesweep_config_selectorIyNS0_10empty_typeEEEZZNS1_29radix_sort_onesweep_iterationIS3_Lb0EN6thrust23THRUST_200600_302600_NS6detail15normal_iteratorINS9_10device_ptrIyEEEESE_PS5_SF_jNS0_19identity_decomposerENS1_16block_id_wrapperIjLb0EEEEE10hipError_tT1_PNSt15iterator_traitsISK_E10value_typeET2_T3_PNSL_ISQ_E10value_typeET4_T5_PSV_SW_PNS1_23onesweep_lookback_stateEbbT6_jjT7_P12ihipStream_tbENKUlT_T0_SK_SP_E_clIPySE_SF_SF_EEDaS13_S14_SK_SP_EUlS13_E_NS1_11comp_targetILNS1_3genE2ELNS1_11target_archE906ELNS1_3gpuE6ELNS1_3repE0EEENS1_47radix_sort_onesweep_sort_config_static_selectorELNS0_4arch9wavefront6targetE1EEEvSK_
    .private_segment_fixed_size: 0
    .sgpr_count:     6
    .sgpr_spill_count: 0
    .symbol:         _ZN7rocprim17ROCPRIM_400000_NS6detail17trampoline_kernelINS0_14default_configENS1_35radix_sort_onesweep_config_selectorIyNS0_10empty_typeEEEZZNS1_29radix_sort_onesweep_iterationIS3_Lb0EN6thrust23THRUST_200600_302600_NS6detail15normal_iteratorINS9_10device_ptrIyEEEESE_PS5_SF_jNS0_19identity_decomposerENS1_16block_id_wrapperIjLb0EEEEE10hipError_tT1_PNSt15iterator_traitsISK_E10value_typeET2_T3_PNSL_ISQ_E10value_typeET4_T5_PSV_SW_PNS1_23onesweep_lookback_stateEbbT6_jjT7_P12ihipStream_tbENKUlT_T0_SK_SP_E_clIPySE_SF_SF_EEDaS13_S14_SK_SP_EUlS13_E_NS1_11comp_targetILNS1_3genE2ELNS1_11target_archE906ELNS1_3gpuE6ELNS1_3repE0EEENS1_47radix_sort_onesweep_sort_config_static_selectorELNS0_4arch9wavefront6targetE1EEEvSK_.kd
    .uniform_work_group_size: 1
    .uses_dynamic_stack: false
    .vgpr_count:     0
    .vgpr_spill_count: 0
    .wavefront_size: 64
  - .agpr_count:     0
    .args:
      - .offset:         0
        .size:           88
        .value_kind:     by_value
    .group_segment_fixed_size: 0
    .kernarg_segment_align: 8
    .kernarg_segment_size: 88
    .language:       OpenCL C
    .language_version:
      - 2
      - 0
    .max_flat_workgroup_size: 1024
    .name:           _ZN7rocprim17ROCPRIM_400000_NS6detail17trampoline_kernelINS0_14default_configENS1_35radix_sort_onesweep_config_selectorIyNS0_10empty_typeEEEZZNS1_29radix_sort_onesweep_iterationIS3_Lb0EN6thrust23THRUST_200600_302600_NS6detail15normal_iteratorINS9_10device_ptrIyEEEESE_PS5_SF_jNS0_19identity_decomposerENS1_16block_id_wrapperIjLb0EEEEE10hipError_tT1_PNSt15iterator_traitsISK_E10value_typeET2_T3_PNSL_ISQ_E10value_typeET4_T5_PSV_SW_PNS1_23onesweep_lookback_stateEbbT6_jjT7_P12ihipStream_tbENKUlT_T0_SK_SP_E_clIPySE_SF_SF_EEDaS13_S14_SK_SP_EUlS13_E_NS1_11comp_targetILNS1_3genE4ELNS1_11target_archE910ELNS1_3gpuE8ELNS1_3repE0EEENS1_47radix_sort_onesweep_sort_config_static_selectorELNS0_4arch9wavefront6targetE1EEEvSK_
    .private_segment_fixed_size: 0
    .sgpr_count:     6
    .sgpr_spill_count: 0
    .symbol:         _ZN7rocprim17ROCPRIM_400000_NS6detail17trampoline_kernelINS0_14default_configENS1_35radix_sort_onesweep_config_selectorIyNS0_10empty_typeEEEZZNS1_29radix_sort_onesweep_iterationIS3_Lb0EN6thrust23THRUST_200600_302600_NS6detail15normal_iteratorINS9_10device_ptrIyEEEESE_PS5_SF_jNS0_19identity_decomposerENS1_16block_id_wrapperIjLb0EEEEE10hipError_tT1_PNSt15iterator_traitsISK_E10value_typeET2_T3_PNSL_ISQ_E10value_typeET4_T5_PSV_SW_PNS1_23onesweep_lookback_stateEbbT6_jjT7_P12ihipStream_tbENKUlT_T0_SK_SP_E_clIPySE_SF_SF_EEDaS13_S14_SK_SP_EUlS13_E_NS1_11comp_targetILNS1_3genE4ELNS1_11target_archE910ELNS1_3gpuE8ELNS1_3repE0EEENS1_47radix_sort_onesweep_sort_config_static_selectorELNS0_4arch9wavefront6targetE1EEEvSK_.kd
    .uniform_work_group_size: 1
    .uses_dynamic_stack: false
    .vgpr_count:     0
    .vgpr_spill_count: 0
    .wavefront_size: 64
  - .agpr_count:     0
    .args:
      - .offset:         0
        .size:           88
        .value_kind:     by_value
    .group_segment_fixed_size: 0
    .kernarg_segment_align: 8
    .kernarg_segment_size: 88
    .language:       OpenCL C
    .language_version:
      - 2
      - 0
    .max_flat_workgroup_size: 512
    .name:           _ZN7rocprim17ROCPRIM_400000_NS6detail17trampoline_kernelINS0_14default_configENS1_35radix_sort_onesweep_config_selectorIyNS0_10empty_typeEEEZZNS1_29radix_sort_onesweep_iterationIS3_Lb0EN6thrust23THRUST_200600_302600_NS6detail15normal_iteratorINS9_10device_ptrIyEEEESE_PS5_SF_jNS0_19identity_decomposerENS1_16block_id_wrapperIjLb0EEEEE10hipError_tT1_PNSt15iterator_traitsISK_E10value_typeET2_T3_PNSL_ISQ_E10value_typeET4_T5_PSV_SW_PNS1_23onesweep_lookback_stateEbbT6_jjT7_P12ihipStream_tbENKUlT_T0_SK_SP_E_clIPySE_SF_SF_EEDaS13_S14_SK_SP_EUlS13_E_NS1_11comp_targetILNS1_3genE3ELNS1_11target_archE908ELNS1_3gpuE7ELNS1_3repE0EEENS1_47radix_sort_onesweep_sort_config_static_selectorELNS0_4arch9wavefront6targetE1EEEvSK_
    .private_segment_fixed_size: 0
    .sgpr_count:     6
    .sgpr_spill_count: 0
    .symbol:         _ZN7rocprim17ROCPRIM_400000_NS6detail17trampoline_kernelINS0_14default_configENS1_35radix_sort_onesweep_config_selectorIyNS0_10empty_typeEEEZZNS1_29radix_sort_onesweep_iterationIS3_Lb0EN6thrust23THRUST_200600_302600_NS6detail15normal_iteratorINS9_10device_ptrIyEEEESE_PS5_SF_jNS0_19identity_decomposerENS1_16block_id_wrapperIjLb0EEEEE10hipError_tT1_PNSt15iterator_traitsISK_E10value_typeET2_T3_PNSL_ISQ_E10value_typeET4_T5_PSV_SW_PNS1_23onesweep_lookback_stateEbbT6_jjT7_P12ihipStream_tbENKUlT_T0_SK_SP_E_clIPySE_SF_SF_EEDaS13_S14_SK_SP_EUlS13_E_NS1_11comp_targetILNS1_3genE3ELNS1_11target_archE908ELNS1_3gpuE7ELNS1_3repE0EEENS1_47radix_sort_onesweep_sort_config_static_selectorELNS0_4arch9wavefront6targetE1EEEvSK_.kd
    .uniform_work_group_size: 1
    .uses_dynamic_stack: false
    .vgpr_count:     0
    .vgpr_spill_count: 0
    .wavefront_size: 64
  - .agpr_count:     0
    .args:
      - .offset:         0
        .size:           88
        .value_kind:     by_value
    .group_segment_fixed_size: 0
    .kernarg_segment_align: 8
    .kernarg_segment_size: 88
    .language:       OpenCL C
    .language_version:
      - 2
      - 0
    .max_flat_workgroup_size: 512
    .name:           _ZN7rocprim17ROCPRIM_400000_NS6detail17trampoline_kernelINS0_14default_configENS1_35radix_sort_onesweep_config_selectorIyNS0_10empty_typeEEEZZNS1_29radix_sort_onesweep_iterationIS3_Lb0EN6thrust23THRUST_200600_302600_NS6detail15normal_iteratorINS9_10device_ptrIyEEEESE_PS5_SF_jNS0_19identity_decomposerENS1_16block_id_wrapperIjLb0EEEEE10hipError_tT1_PNSt15iterator_traitsISK_E10value_typeET2_T3_PNSL_ISQ_E10value_typeET4_T5_PSV_SW_PNS1_23onesweep_lookback_stateEbbT6_jjT7_P12ihipStream_tbENKUlT_T0_SK_SP_E_clIPySE_SF_SF_EEDaS13_S14_SK_SP_EUlS13_E_NS1_11comp_targetILNS1_3genE10ELNS1_11target_archE1201ELNS1_3gpuE5ELNS1_3repE0EEENS1_47radix_sort_onesweep_sort_config_static_selectorELNS0_4arch9wavefront6targetE1EEEvSK_
    .private_segment_fixed_size: 0
    .sgpr_count:     6
    .sgpr_spill_count: 0
    .symbol:         _ZN7rocprim17ROCPRIM_400000_NS6detail17trampoline_kernelINS0_14default_configENS1_35radix_sort_onesweep_config_selectorIyNS0_10empty_typeEEEZZNS1_29radix_sort_onesweep_iterationIS3_Lb0EN6thrust23THRUST_200600_302600_NS6detail15normal_iteratorINS9_10device_ptrIyEEEESE_PS5_SF_jNS0_19identity_decomposerENS1_16block_id_wrapperIjLb0EEEEE10hipError_tT1_PNSt15iterator_traitsISK_E10value_typeET2_T3_PNSL_ISQ_E10value_typeET4_T5_PSV_SW_PNS1_23onesweep_lookback_stateEbbT6_jjT7_P12ihipStream_tbENKUlT_T0_SK_SP_E_clIPySE_SF_SF_EEDaS13_S14_SK_SP_EUlS13_E_NS1_11comp_targetILNS1_3genE10ELNS1_11target_archE1201ELNS1_3gpuE5ELNS1_3repE0EEENS1_47radix_sort_onesweep_sort_config_static_selectorELNS0_4arch9wavefront6targetE1EEEvSK_.kd
    .uniform_work_group_size: 1
    .uses_dynamic_stack: false
    .vgpr_count:     0
    .vgpr_spill_count: 0
    .wavefront_size: 64
  - .agpr_count:     0
    .args:
      - .offset:         0
        .size:           88
        .value_kind:     by_value
    .group_segment_fixed_size: 0
    .kernarg_segment_align: 8
    .kernarg_segment_size: 88
    .language:       OpenCL C
    .language_version:
      - 2
      - 0
    .max_flat_workgroup_size: 1024
    .name:           _ZN7rocprim17ROCPRIM_400000_NS6detail17trampoline_kernelINS0_14default_configENS1_35radix_sort_onesweep_config_selectorIyNS0_10empty_typeEEEZZNS1_29radix_sort_onesweep_iterationIS3_Lb0EN6thrust23THRUST_200600_302600_NS6detail15normal_iteratorINS9_10device_ptrIyEEEESE_PS5_SF_jNS0_19identity_decomposerENS1_16block_id_wrapperIjLb0EEEEE10hipError_tT1_PNSt15iterator_traitsISK_E10value_typeET2_T3_PNSL_ISQ_E10value_typeET4_T5_PSV_SW_PNS1_23onesweep_lookback_stateEbbT6_jjT7_P12ihipStream_tbENKUlT_T0_SK_SP_E_clIPySE_SF_SF_EEDaS13_S14_SK_SP_EUlS13_E_NS1_11comp_targetILNS1_3genE9ELNS1_11target_archE1100ELNS1_3gpuE3ELNS1_3repE0EEENS1_47radix_sort_onesweep_sort_config_static_selectorELNS0_4arch9wavefront6targetE1EEEvSK_
    .private_segment_fixed_size: 0
    .sgpr_count:     6
    .sgpr_spill_count: 0
    .symbol:         _ZN7rocprim17ROCPRIM_400000_NS6detail17trampoline_kernelINS0_14default_configENS1_35radix_sort_onesweep_config_selectorIyNS0_10empty_typeEEEZZNS1_29radix_sort_onesweep_iterationIS3_Lb0EN6thrust23THRUST_200600_302600_NS6detail15normal_iteratorINS9_10device_ptrIyEEEESE_PS5_SF_jNS0_19identity_decomposerENS1_16block_id_wrapperIjLb0EEEEE10hipError_tT1_PNSt15iterator_traitsISK_E10value_typeET2_T3_PNSL_ISQ_E10value_typeET4_T5_PSV_SW_PNS1_23onesweep_lookback_stateEbbT6_jjT7_P12ihipStream_tbENKUlT_T0_SK_SP_E_clIPySE_SF_SF_EEDaS13_S14_SK_SP_EUlS13_E_NS1_11comp_targetILNS1_3genE9ELNS1_11target_archE1100ELNS1_3gpuE3ELNS1_3repE0EEENS1_47radix_sort_onesweep_sort_config_static_selectorELNS0_4arch9wavefront6targetE1EEEvSK_.kd
    .uniform_work_group_size: 1
    .uses_dynamic_stack: false
    .vgpr_count:     0
    .vgpr_spill_count: 0
    .wavefront_size: 64
  - .agpr_count:     0
    .args:
      - .offset:         0
        .size:           88
        .value_kind:     by_value
    .group_segment_fixed_size: 0
    .kernarg_segment_align: 8
    .kernarg_segment_size: 88
    .language:       OpenCL C
    .language_version:
      - 2
      - 0
    .max_flat_workgroup_size: 1024
    .name:           _ZN7rocprim17ROCPRIM_400000_NS6detail17trampoline_kernelINS0_14default_configENS1_35radix_sort_onesweep_config_selectorIyNS0_10empty_typeEEEZZNS1_29radix_sort_onesweep_iterationIS3_Lb0EN6thrust23THRUST_200600_302600_NS6detail15normal_iteratorINS9_10device_ptrIyEEEESE_PS5_SF_jNS0_19identity_decomposerENS1_16block_id_wrapperIjLb0EEEEE10hipError_tT1_PNSt15iterator_traitsISK_E10value_typeET2_T3_PNSL_ISQ_E10value_typeET4_T5_PSV_SW_PNS1_23onesweep_lookback_stateEbbT6_jjT7_P12ihipStream_tbENKUlT_T0_SK_SP_E_clIPySE_SF_SF_EEDaS13_S14_SK_SP_EUlS13_E_NS1_11comp_targetILNS1_3genE8ELNS1_11target_archE1030ELNS1_3gpuE2ELNS1_3repE0EEENS1_47radix_sort_onesweep_sort_config_static_selectorELNS0_4arch9wavefront6targetE1EEEvSK_
    .private_segment_fixed_size: 0
    .sgpr_count:     6
    .sgpr_spill_count: 0
    .symbol:         _ZN7rocprim17ROCPRIM_400000_NS6detail17trampoline_kernelINS0_14default_configENS1_35radix_sort_onesweep_config_selectorIyNS0_10empty_typeEEEZZNS1_29radix_sort_onesweep_iterationIS3_Lb0EN6thrust23THRUST_200600_302600_NS6detail15normal_iteratorINS9_10device_ptrIyEEEESE_PS5_SF_jNS0_19identity_decomposerENS1_16block_id_wrapperIjLb0EEEEE10hipError_tT1_PNSt15iterator_traitsISK_E10value_typeET2_T3_PNSL_ISQ_E10value_typeET4_T5_PSV_SW_PNS1_23onesweep_lookback_stateEbbT6_jjT7_P12ihipStream_tbENKUlT_T0_SK_SP_E_clIPySE_SF_SF_EEDaS13_S14_SK_SP_EUlS13_E_NS1_11comp_targetILNS1_3genE8ELNS1_11target_archE1030ELNS1_3gpuE2ELNS1_3repE0EEENS1_47radix_sort_onesweep_sort_config_static_selectorELNS0_4arch9wavefront6targetE1EEEvSK_.kd
    .uniform_work_group_size: 1
    .uses_dynamic_stack: false
    .vgpr_count:     0
    .vgpr_spill_count: 0
    .wavefront_size: 64
  - .agpr_count:     0
    .args:
      - .offset:         0
        .size:           16
        .value_kind:     by_value
      - .offset:         16
        .size:           8
        .value_kind:     by_value
      - .offset:         24
        .size:           8
        .value_kind:     by_value
    .group_segment_fixed_size: 0
    .kernarg_segment_align: 8
    .kernarg_segment_size: 32
    .language:       OpenCL C
    .language_version:
      - 2
      - 0
    .max_flat_workgroup_size: 256
    .name:           _ZN6thrust23THRUST_200600_302600_NS11hip_rocprim14__parallel_for6kernelILj256ENS1_20__uninitialized_copy7functorINS0_6detail15normal_iteratorINS0_10device_ptrIjEEEENS7_INS0_7pointerIjNS1_3tagENS0_11use_defaultESD_EEEEEElLj1EEEvT0_T1_SI_
    .private_segment_fixed_size: 0
    .sgpr_count:     18
    .sgpr_spill_count: 0
    .symbol:         _ZN6thrust23THRUST_200600_302600_NS11hip_rocprim14__parallel_for6kernelILj256ENS1_20__uninitialized_copy7functorINS0_6detail15normal_iteratorINS0_10device_ptrIjEEEENS7_INS0_7pointerIjNS1_3tagENS0_11use_defaultESD_EEEEEElLj1EEEvT0_T1_SI_.kd
    .uniform_work_group_size: 1
    .uses_dynamic_stack: false
    .vgpr_count:     6
    .vgpr_spill_count: 0
    .wavefront_size: 64
  - .agpr_count:     0
    .args:
      - .offset:         0
        .size:           120
        .value_kind:     by_value
    .group_segment_fixed_size: 0
    .kernarg_segment_align: 8
    .kernarg_segment_size: 120
    .language:       OpenCL C
    .language_version:
      - 2
      - 0
    .max_flat_workgroup_size: 256
    .name:           _ZN7rocprim17ROCPRIM_400000_NS6detail17trampoline_kernelINS0_14default_configENS1_25partition_config_selectorILNS1_17partition_subalgoE3EjNS0_10empty_typeEbEEZZNS1_14partition_implILS5_3ELb0ES3_jN6thrust23THRUST_200600_302600_NS6detail15normal_iteratorINSA_7pointerIjNSA_11hip_rocprim3tagENSA_11use_defaultESG_EEEEPS6_SJ_NS0_5tupleIJPjSJ_EEENSK_IJSJ_SJ_EEES6_PlJ7is_evenIjEEEE10hipError_tPvRmT3_T4_T5_T6_T7_T9_mT8_P12ihipStream_tbDpT10_ENKUlT_T0_E_clISt17integral_constantIbLb0EES1A_EEDaS15_S16_EUlS15_E_NS1_11comp_targetILNS1_3genE0ELNS1_11target_archE4294967295ELNS1_3gpuE0ELNS1_3repE0EEENS1_30default_config_static_selectorELNS0_4arch9wavefront6targetE1EEEvT1_
    .private_segment_fixed_size: 0
    .sgpr_count:     6
    .sgpr_spill_count: 0
    .symbol:         _ZN7rocprim17ROCPRIM_400000_NS6detail17trampoline_kernelINS0_14default_configENS1_25partition_config_selectorILNS1_17partition_subalgoE3EjNS0_10empty_typeEbEEZZNS1_14partition_implILS5_3ELb0ES3_jN6thrust23THRUST_200600_302600_NS6detail15normal_iteratorINSA_7pointerIjNSA_11hip_rocprim3tagENSA_11use_defaultESG_EEEEPS6_SJ_NS0_5tupleIJPjSJ_EEENSK_IJSJ_SJ_EEES6_PlJ7is_evenIjEEEE10hipError_tPvRmT3_T4_T5_T6_T7_T9_mT8_P12ihipStream_tbDpT10_ENKUlT_T0_E_clISt17integral_constantIbLb0EES1A_EEDaS15_S16_EUlS15_E_NS1_11comp_targetILNS1_3genE0ELNS1_11target_archE4294967295ELNS1_3gpuE0ELNS1_3repE0EEENS1_30default_config_static_selectorELNS0_4arch9wavefront6targetE1EEEvT1_.kd
    .uniform_work_group_size: 1
    .uses_dynamic_stack: false
    .vgpr_count:     0
    .vgpr_spill_count: 0
    .wavefront_size: 64
  - .agpr_count:     0
    .args:
      - .offset:         0
        .size:           120
        .value_kind:     by_value
    .group_segment_fixed_size: 30728
    .kernarg_segment_align: 8
    .kernarg_segment_size: 120
    .language:       OpenCL C
    .language_version:
      - 2
      - 0
    .max_flat_workgroup_size: 512
    .name:           _ZN7rocprim17ROCPRIM_400000_NS6detail17trampoline_kernelINS0_14default_configENS1_25partition_config_selectorILNS1_17partition_subalgoE3EjNS0_10empty_typeEbEEZZNS1_14partition_implILS5_3ELb0ES3_jN6thrust23THRUST_200600_302600_NS6detail15normal_iteratorINSA_7pointerIjNSA_11hip_rocprim3tagENSA_11use_defaultESG_EEEEPS6_SJ_NS0_5tupleIJPjSJ_EEENSK_IJSJ_SJ_EEES6_PlJ7is_evenIjEEEE10hipError_tPvRmT3_T4_T5_T6_T7_T9_mT8_P12ihipStream_tbDpT10_ENKUlT_T0_E_clISt17integral_constantIbLb0EES1A_EEDaS15_S16_EUlS15_E_NS1_11comp_targetILNS1_3genE5ELNS1_11target_archE942ELNS1_3gpuE9ELNS1_3repE0EEENS1_30default_config_static_selectorELNS0_4arch9wavefront6targetE1EEEvT1_
    .private_segment_fixed_size: 0
    .sgpr_count:     52
    .sgpr_spill_count: 0
    .symbol:         _ZN7rocprim17ROCPRIM_400000_NS6detail17trampoline_kernelINS0_14default_configENS1_25partition_config_selectorILNS1_17partition_subalgoE3EjNS0_10empty_typeEbEEZZNS1_14partition_implILS5_3ELb0ES3_jN6thrust23THRUST_200600_302600_NS6detail15normal_iteratorINSA_7pointerIjNSA_11hip_rocprim3tagENSA_11use_defaultESG_EEEEPS6_SJ_NS0_5tupleIJPjSJ_EEENSK_IJSJ_SJ_EEES6_PlJ7is_evenIjEEEE10hipError_tPvRmT3_T4_T5_T6_T7_T9_mT8_P12ihipStream_tbDpT10_ENKUlT_T0_E_clISt17integral_constantIbLb0EES1A_EEDaS15_S16_EUlS15_E_NS1_11comp_targetILNS1_3genE5ELNS1_11target_archE942ELNS1_3gpuE9ELNS1_3repE0EEENS1_30default_config_static_selectorELNS0_4arch9wavefront6targetE1EEEvT1_.kd
    .uniform_work_group_size: 1
    .uses_dynamic_stack: false
    .vgpr_count:     76
    .vgpr_spill_count: 0
    .wavefront_size: 64
  - .agpr_count:     0
    .args:
      - .offset:         0
        .size:           120
        .value_kind:     by_value
    .group_segment_fixed_size: 0
    .kernarg_segment_align: 8
    .kernarg_segment_size: 120
    .language:       OpenCL C
    .language_version:
      - 2
      - 0
    .max_flat_workgroup_size: 256
    .name:           _ZN7rocprim17ROCPRIM_400000_NS6detail17trampoline_kernelINS0_14default_configENS1_25partition_config_selectorILNS1_17partition_subalgoE3EjNS0_10empty_typeEbEEZZNS1_14partition_implILS5_3ELb0ES3_jN6thrust23THRUST_200600_302600_NS6detail15normal_iteratorINSA_7pointerIjNSA_11hip_rocprim3tagENSA_11use_defaultESG_EEEEPS6_SJ_NS0_5tupleIJPjSJ_EEENSK_IJSJ_SJ_EEES6_PlJ7is_evenIjEEEE10hipError_tPvRmT3_T4_T5_T6_T7_T9_mT8_P12ihipStream_tbDpT10_ENKUlT_T0_E_clISt17integral_constantIbLb0EES1A_EEDaS15_S16_EUlS15_E_NS1_11comp_targetILNS1_3genE4ELNS1_11target_archE910ELNS1_3gpuE8ELNS1_3repE0EEENS1_30default_config_static_selectorELNS0_4arch9wavefront6targetE1EEEvT1_
    .private_segment_fixed_size: 0
    .sgpr_count:     6
    .sgpr_spill_count: 0
    .symbol:         _ZN7rocprim17ROCPRIM_400000_NS6detail17trampoline_kernelINS0_14default_configENS1_25partition_config_selectorILNS1_17partition_subalgoE3EjNS0_10empty_typeEbEEZZNS1_14partition_implILS5_3ELb0ES3_jN6thrust23THRUST_200600_302600_NS6detail15normal_iteratorINSA_7pointerIjNSA_11hip_rocprim3tagENSA_11use_defaultESG_EEEEPS6_SJ_NS0_5tupleIJPjSJ_EEENSK_IJSJ_SJ_EEES6_PlJ7is_evenIjEEEE10hipError_tPvRmT3_T4_T5_T6_T7_T9_mT8_P12ihipStream_tbDpT10_ENKUlT_T0_E_clISt17integral_constantIbLb0EES1A_EEDaS15_S16_EUlS15_E_NS1_11comp_targetILNS1_3genE4ELNS1_11target_archE910ELNS1_3gpuE8ELNS1_3repE0EEENS1_30default_config_static_selectorELNS0_4arch9wavefront6targetE1EEEvT1_.kd
    .uniform_work_group_size: 1
    .uses_dynamic_stack: false
    .vgpr_count:     0
    .vgpr_spill_count: 0
    .wavefront_size: 64
  - .agpr_count:     0
    .args:
      - .offset:         0
        .size:           120
        .value_kind:     by_value
    .group_segment_fixed_size: 0
    .kernarg_segment_align: 8
    .kernarg_segment_size: 120
    .language:       OpenCL C
    .language_version:
      - 2
      - 0
    .max_flat_workgroup_size: 256
    .name:           _ZN7rocprim17ROCPRIM_400000_NS6detail17trampoline_kernelINS0_14default_configENS1_25partition_config_selectorILNS1_17partition_subalgoE3EjNS0_10empty_typeEbEEZZNS1_14partition_implILS5_3ELb0ES3_jN6thrust23THRUST_200600_302600_NS6detail15normal_iteratorINSA_7pointerIjNSA_11hip_rocprim3tagENSA_11use_defaultESG_EEEEPS6_SJ_NS0_5tupleIJPjSJ_EEENSK_IJSJ_SJ_EEES6_PlJ7is_evenIjEEEE10hipError_tPvRmT3_T4_T5_T6_T7_T9_mT8_P12ihipStream_tbDpT10_ENKUlT_T0_E_clISt17integral_constantIbLb0EES1A_EEDaS15_S16_EUlS15_E_NS1_11comp_targetILNS1_3genE3ELNS1_11target_archE908ELNS1_3gpuE7ELNS1_3repE0EEENS1_30default_config_static_selectorELNS0_4arch9wavefront6targetE1EEEvT1_
    .private_segment_fixed_size: 0
    .sgpr_count:     6
    .sgpr_spill_count: 0
    .symbol:         _ZN7rocprim17ROCPRIM_400000_NS6detail17trampoline_kernelINS0_14default_configENS1_25partition_config_selectorILNS1_17partition_subalgoE3EjNS0_10empty_typeEbEEZZNS1_14partition_implILS5_3ELb0ES3_jN6thrust23THRUST_200600_302600_NS6detail15normal_iteratorINSA_7pointerIjNSA_11hip_rocprim3tagENSA_11use_defaultESG_EEEEPS6_SJ_NS0_5tupleIJPjSJ_EEENSK_IJSJ_SJ_EEES6_PlJ7is_evenIjEEEE10hipError_tPvRmT3_T4_T5_T6_T7_T9_mT8_P12ihipStream_tbDpT10_ENKUlT_T0_E_clISt17integral_constantIbLb0EES1A_EEDaS15_S16_EUlS15_E_NS1_11comp_targetILNS1_3genE3ELNS1_11target_archE908ELNS1_3gpuE7ELNS1_3repE0EEENS1_30default_config_static_selectorELNS0_4arch9wavefront6targetE1EEEvT1_.kd
    .uniform_work_group_size: 1
    .uses_dynamic_stack: false
    .vgpr_count:     0
    .vgpr_spill_count: 0
    .wavefront_size: 64
  - .agpr_count:     0
    .args:
      - .offset:         0
        .size:           120
        .value_kind:     by_value
    .group_segment_fixed_size: 0
    .kernarg_segment_align: 8
    .kernarg_segment_size: 120
    .language:       OpenCL C
    .language_version:
      - 2
      - 0
    .max_flat_workgroup_size: 192
    .name:           _ZN7rocprim17ROCPRIM_400000_NS6detail17trampoline_kernelINS0_14default_configENS1_25partition_config_selectorILNS1_17partition_subalgoE3EjNS0_10empty_typeEbEEZZNS1_14partition_implILS5_3ELb0ES3_jN6thrust23THRUST_200600_302600_NS6detail15normal_iteratorINSA_7pointerIjNSA_11hip_rocprim3tagENSA_11use_defaultESG_EEEEPS6_SJ_NS0_5tupleIJPjSJ_EEENSK_IJSJ_SJ_EEES6_PlJ7is_evenIjEEEE10hipError_tPvRmT3_T4_T5_T6_T7_T9_mT8_P12ihipStream_tbDpT10_ENKUlT_T0_E_clISt17integral_constantIbLb0EES1A_EEDaS15_S16_EUlS15_E_NS1_11comp_targetILNS1_3genE2ELNS1_11target_archE906ELNS1_3gpuE6ELNS1_3repE0EEENS1_30default_config_static_selectorELNS0_4arch9wavefront6targetE1EEEvT1_
    .private_segment_fixed_size: 0
    .sgpr_count:     6
    .sgpr_spill_count: 0
    .symbol:         _ZN7rocprim17ROCPRIM_400000_NS6detail17trampoline_kernelINS0_14default_configENS1_25partition_config_selectorILNS1_17partition_subalgoE3EjNS0_10empty_typeEbEEZZNS1_14partition_implILS5_3ELb0ES3_jN6thrust23THRUST_200600_302600_NS6detail15normal_iteratorINSA_7pointerIjNSA_11hip_rocprim3tagENSA_11use_defaultESG_EEEEPS6_SJ_NS0_5tupleIJPjSJ_EEENSK_IJSJ_SJ_EEES6_PlJ7is_evenIjEEEE10hipError_tPvRmT3_T4_T5_T6_T7_T9_mT8_P12ihipStream_tbDpT10_ENKUlT_T0_E_clISt17integral_constantIbLb0EES1A_EEDaS15_S16_EUlS15_E_NS1_11comp_targetILNS1_3genE2ELNS1_11target_archE906ELNS1_3gpuE6ELNS1_3repE0EEENS1_30default_config_static_selectorELNS0_4arch9wavefront6targetE1EEEvT1_.kd
    .uniform_work_group_size: 1
    .uses_dynamic_stack: false
    .vgpr_count:     0
    .vgpr_spill_count: 0
    .wavefront_size: 64
  - .agpr_count:     0
    .args:
      - .offset:         0
        .size:           120
        .value_kind:     by_value
    .group_segment_fixed_size: 0
    .kernarg_segment_align: 8
    .kernarg_segment_size: 120
    .language:       OpenCL C
    .language_version:
      - 2
      - 0
    .max_flat_workgroup_size: 384
    .name:           _ZN7rocprim17ROCPRIM_400000_NS6detail17trampoline_kernelINS0_14default_configENS1_25partition_config_selectorILNS1_17partition_subalgoE3EjNS0_10empty_typeEbEEZZNS1_14partition_implILS5_3ELb0ES3_jN6thrust23THRUST_200600_302600_NS6detail15normal_iteratorINSA_7pointerIjNSA_11hip_rocprim3tagENSA_11use_defaultESG_EEEEPS6_SJ_NS0_5tupleIJPjSJ_EEENSK_IJSJ_SJ_EEES6_PlJ7is_evenIjEEEE10hipError_tPvRmT3_T4_T5_T6_T7_T9_mT8_P12ihipStream_tbDpT10_ENKUlT_T0_E_clISt17integral_constantIbLb0EES1A_EEDaS15_S16_EUlS15_E_NS1_11comp_targetILNS1_3genE10ELNS1_11target_archE1200ELNS1_3gpuE4ELNS1_3repE0EEENS1_30default_config_static_selectorELNS0_4arch9wavefront6targetE1EEEvT1_
    .private_segment_fixed_size: 0
    .sgpr_count:     6
    .sgpr_spill_count: 0
    .symbol:         _ZN7rocprim17ROCPRIM_400000_NS6detail17trampoline_kernelINS0_14default_configENS1_25partition_config_selectorILNS1_17partition_subalgoE3EjNS0_10empty_typeEbEEZZNS1_14partition_implILS5_3ELb0ES3_jN6thrust23THRUST_200600_302600_NS6detail15normal_iteratorINSA_7pointerIjNSA_11hip_rocprim3tagENSA_11use_defaultESG_EEEEPS6_SJ_NS0_5tupleIJPjSJ_EEENSK_IJSJ_SJ_EEES6_PlJ7is_evenIjEEEE10hipError_tPvRmT3_T4_T5_T6_T7_T9_mT8_P12ihipStream_tbDpT10_ENKUlT_T0_E_clISt17integral_constantIbLb0EES1A_EEDaS15_S16_EUlS15_E_NS1_11comp_targetILNS1_3genE10ELNS1_11target_archE1200ELNS1_3gpuE4ELNS1_3repE0EEENS1_30default_config_static_selectorELNS0_4arch9wavefront6targetE1EEEvT1_.kd
    .uniform_work_group_size: 1
    .uses_dynamic_stack: false
    .vgpr_count:     0
    .vgpr_spill_count: 0
    .wavefront_size: 64
  - .agpr_count:     0
    .args:
      - .offset:         0
        .size:           120
        .value_kind:     by_value
    .group_segment_fixed_size: 0
    .kernarg_segment_align: 8
    .kernarg_segment_size: 120
    .language:       OpenCL C
    .language_version:
      - 2
      - 0
    .max_flat_workgroup_size: 384
    .name:           _ZN7rocprim17ROCPRIM_400000_NS6detail17trampoline_kernelINS0_14default_configENS1_25partition_config_selectorILNS1_17partition_subalgoE3EjNS0_10empty_typeEbEEZZNS1_14partition_implILS5_3ELb0ES3_jN6thrust23THRUST_200600_302600_NS6detail15normal_iteratorINSA_7pointerIjNSA_11hip_rocprim3tagENSA_11use_defaultESG_EEEEPS6_SJ_NS0_5tupleIJPjSJ_EEENSK_IJSJ_SJ_EEES6_PlJ7is_evenIjEEEE10hipError_tPvRmT3_T4_T5_T6_T7_T9_mT8_P12ihipStream_tbDpT10_ENKUlT_T0_E_clISt17integral_constantIbLb0EES1A_EEDaS15_S16_EUlS15_E_NS1_11comp_targetILNS1_3genE9ELNS1_11target_archE1100ELNS1_3gpuE3ELNS1_3repE0EEENS1_30default_config_static_selectorELNS0_4arch9wavefront6targetE1EEEvT1_
    .private_segment_fixed_size: 0
    .sgpr_count:     6
    .sgpr_spill_count: 0
    .symbol:         _ZN7rocprim17ROCPRIM_400000_NS6detail17trampoline_kernelINS0_14default_configENS1_25partition_config_selectorILNS1_17partition_subalgoE3EjNS0_10empty_typeEbEEZZNS1_14partition_implILS5_3ELb0ES3_jN6thrust23THRUST_200600_302600_NS6detail15normal_iteratorINSA_7pointerIjNSA_11hip_rocprim3tagENSA_11use_defaultESG_EEEEPS6_SJ_NS0_5tupleIJPjSJ_EEENSK_IJSJ_SJ_EEES6_PlJ7is_evenIjEEEE10hipError_tPvRmT3_T4_T5_T6_T7_T9_mT8_P12ihipStream_tbDpT10_ENKUlT_T0_E_clISt17integral_constantIbLb0EES1A_EEDaS15_S16_EUlS15_E_NS1_11comp_targetILNS1_3genE9ELNS1_11target_archE1100ELNS1_3gpuE3ELNS1_3repE0EEENS1_30default_config_static_selectorELNS0_4arch9wavefront6targetE1EEEvT1_.kd
    .uniform_work_group_size: 1
    .uses_dynamic_stack: false
    .vgpr_count:     0
    .vgpr_spill_count: 0
    .wavefront_size: 64
  - .agpr_count:     0
    .args:
      - .offset:         0
        .size:           120
        .value_kind:     by_value
    .group_segment_fixed_size: 0
    .kernarg_segment_align: 8
    .kernarg_segment_size: 120
    .language:       OpenCL C
    .language_version:
      - 2
      - 0
    .max_flat_workgroup_size: 512
    .name:           _ZN7rocprim17ROCPRIM_400000_NS6detail17trampoline_kernelINS0_14default_configENS1_25partition_config_selectorILNS1_17partition_subalgoE3EjNS0_10empty_typeEbEEZZNS1_14partition_implILS5_3ELb0ES3_jN6thrust23THRUST_200600_302600_NS6detail15normal_iteratorINSA_7pointerIjNSA_11hip_rocprim3tagENSA_11use_defaultESG_EEEEPS6_SJ_NS0_5tupleIJPjSJ_EEENSK_IJSJ_SJ_EEES6_PlJ7is_evenIjEEEE10hipError_tPvRmT3_T4_T5_T6_T7_T9_mT8_P12ihipStream_tbDpT10_ENKUlT_T0_E_clISt17integral_constantIbLb0EES1A_EEDaS15_S16_EUlS15_E_NS1_11comp_targetILNS1_3genE8ELNS1_11target_archE1030ELNS1_3gpuE2ELNS1_3repE0EEENS1_30default_config_static_selectorELNS0_4arch9wavefront6targetE1EEEvT1_
    .private_segment_fixed_size: 0
    .sgpr_count:     6
    .sgpr_spill_count: 0
    .symbol:         _ZN7rocprim17ROCPRIM_400000_NS6detail17trampoline_kernelINS0_14default_configENS1_25partition_config_selectorILNS1_17partition_subalgoE3EjNS0_10empty_typeEbEEZZNS1_14partition_implILS5_3ELb0ES3_jN6thrust23THRUST_200600_302600_NS6detail15normal_iteratorINSA_7pointerIjNSA_11hip_rocprim3tagENSA_11use_defaultESG_EEEEPS6_SJ_NS0_5tupleIJPjSJ_EEENSK_IJSJ_SJ_EEES6_PlJ7is_evenIjEEEE10hipError_tPvRmT3_T4_T5_T6_T7_T9_mT8_P12ihipStream_tbDpT10_ENKUlT_T0_E_clISt17integral_constantIbLb0EES1A_EEDaS15_S16_EUlS15_E_NS1_11comp_targetILNS1_3genE8ELNS1_11target_archE1030ELNS1_3gpuE2ELNS1_3repE0EEENS1_30default_config_static_selectorELNS0_4arch9wavefront6targetE1EEEvT1_.kd
    .uniform_work_group_size: 1
    .uses_dynamic_stack: false
    .vgpr_count:     0
    .vgpr_spill_count: 0
    .wavefront_size: 64
  - .agpr_count:     0
    .args:
      - .offset:         0
        .size:           136
        .value_kind:     by_value
    .group_segment_fixed_size: 0
    .kernarg_segment_align: 8
    .kernarg_segment_size: 136
    .language:       OpenCL C
    .language_version:
      - 2
      - 0
    .max_flat_workgroup_size: 256
    .name:           _ZN7rocprim17ROCPRIM_400000_NS6detail17trampoline_kernelINS0_14default_configENS1_25partition_config_selectorILNS1_17partition_subalgoE3EjNS0_10empty_typeEbEEZZNS1_14partition_implILS5_3ELb0ES3_jN6thrust23THRUST_200600_302600_NS6detail15normal_iteratorINSA_7pointerIjNSA_11hip_rocprim3tagENSA_11use_defaultESG_EEEEPS6_SJ_NS0_5tupleIJPjSJ_EEENSK_IJSJ_SJ_EEES6_PlJ7is_evenIjEEEE10hipError_tPvRmT3_T4_T5_T6_T7_T9_mT8_P12ihipStream_tbDpT10_ENKUlT_T0_E_clISt17integral_constantIbLb1EES1A_EEDaS15_S16_EUlS15_E_NS1_11comp_targetILNS1_3genE0ELNS1_11target_archE4294967295ELNS1_3gpuE0ELNS1_3repE0EEENS1_30default_config_static_selectorELNS0_4arch9wavefront6targetE1EEEvT1_
    .private_segment_fixed_size: 0
    .sgpr_count:     6
    .sgpr_spill_count: 0
    .symbol:         _ZN7rocprim17ROCPRIM_400000_NS6detail17trampoline_kernelINS0_14default_configENS1_25partition_config_selectorILNS1_17partition_subalgoE3EjNS0_10empty_typeEbEEZZNS1_14partition_implILS5_3ELb0ES3_jN6thrust23THRUST_200600_302600_NS6detail15normal_iteratorINSA_7pointerIjNSA_11hip_rocprim3tagENSA_11use_defaultESG_EEEEPS6_SJ_NS0_5tupleIJPjSJ_EEENSK_IJSJ_SJ_EEES6_PlJ7is_evenIjEEEE10hipError_tPvRmT3_T4_T5_T6_T7_T9_mT8_P12ihipStream_tbDpT10_ENKUlT_T0_E_clISt17integral_constantIbLb1EES1A_EEDaS15_S16_EUlS15_E_NS1_11comp_targetILNS1_3genE0ELNS1_11target_archE4294967295ELNS1_3gpuE0ELNS1_3repE0EEENS1_30default_config_static_selectorELNS0_4arch9wavefront6targetE1EEEvT1_.kd
    .uniform_work_group_size: 1
    .uses_dynamic_stack: false
    .vgpr_count:     0
    .vgpr_spill_count: 0
    .wavefront_size: 64
  - .agpr_count:     0
    .args:
      - .offset:         0
        .size:           136
        .value_kind:     by_value
    .group_segment_fixed_size: 30728
    .kernarg_segment_align: 8
    .kernarg_segment_size: 136
    .language:       OpenCL C
    .language_version:
      - 2
      - 0
    .max_flat_workgroup_size: 512
    .name:           _ZN7rocprim17ROCPRIM_400000_NS6detail17trampoline_kernelINS0_14default_configENS1_25partition_config_selectorILNS1_17partition_subalgoE3EjNS0_10empty_typeEbEEZZNS1_14partition_implILS5_3ELb0ES3_jN6thrust23THRUST_200600_302600_NS6detail15normal_iteratorINSA_7pointerIjNSA_11hip_rocprim3tagENSA_11use_defaultESG_EEEEPS6_SJ_NS0_5tupleIJPjSJ_EEENSK_IJSJ_SJ_EEES6_PlJ7is_evenIjEEEE10hipError_tPvRmT3_T4_T5_T6_T7_T9_mT8_P12ihipStream_tbDpT10_ENKUlT_T0_E_clISt17integral_constantIbLb1EES1A_EEDaS15_S16_EUlS15_E_NS1_11comp_targetILNS1_3genE5ELNS1_11target_archE942ELNS1_3gpuE9ELNS1_3repE0EEENS1_30default_config_static_selectorELNS0_4arch9wavefront6targetE1EEEvT1_
    .private_segment_fixed_size: 0
    .sgpr_count:     50
    .sgpr_spill_count: 0
    .symbol:         _ZN7rocprim17ROCPRIM_400000_NS6detail17trampoline_kernelINS0_14default_configENS1_25partition_config_selectorILNS1_17partition_subalgoE3EjNS0_10empty_typeEbEEZZNS1_14partition_implILS5_3ELb0ES3_jN6thrust23THRUST_200600_302600_NS6detail15normal_iteratorINSA_7pointerIjNSA_11hip_rocprim3tagENSA_11use_defaultESG_EEEEPS6_SJ_NS0_5tupleIJPjSJ_EEENSK_IJSJ_SJ_EEES6_PlJ7is_evenIjEEEE10hipError_tPvRmT3_T4_T5_T6_T7_T9_mT8_P12ihipStream_tbDpT10_ENKUlT_T0_E_clISt17integral_constantIbLb1EES1A_EEDaS15_S16_EUlS15_E_NS1_11comp_targetILNS1_3genE5ELNS1_11target_archE942ELNS1_3gpuE9ELNS1_3repE0EEENS1_30default_config_static_selectorELNS0_4arch9wavefront6targetE1EEEvT1_.kd
    .uniform_work_group_size: 1
    .uses_dynamic_stack: false
    .vgpr_count:     80
    .vgpr_spill_count: 0
    .wavefront_size: 64
  - .agpr_count:     0
    .args:
      - .offset:         0
        .size:           136
        .value_kind:     by_value
    .group_segment_fixed_size: 0
    .kernarg_segment_align: 8
    .kernarg_segment_size: 136
    .language:       OpenCL C
    .language_version:
      - 2
      - 0
    .max_flat_workgroup_size: 256
    .name:           _ZN7rocprim17ROCPRIM_400000_NS6detail17trampoline_kernelINS0_14default_configENS1_25partition_config_selectorILNS1_17partition_subalgoE3EjNS0_10empty_typeEbEEZZNS1_14partition_implILS5_3ELb0ES3_jN6thrust23THRUST_200600_302600_NS6detail15normal_iteratorINSA_7pointerIjNSA_11hip_rocprim3tagENSA_11use_defaultESG_EEEEPS6_SJ_NS0_5tupleIJPjSJ_EEENSK_IJSJ_SJ_EEES6_PlJ7is_evenIjEEEE10hipError_tPvRmT3_T4_T5_T6_T7_T9_mT8_P12ihipStream_tbDpT10_ENKUlT_T0_E_clISt17integral_constantIbLb1EES1A_EEDaS15_S16_EUlS15_E_NS1_11comp_targetILNS1_3genE4ELNS1_11target_archE910ELNS1_3gpuE8ELNS1_3repE0EEENS1_30default_config_static_selectorELNS0_4arch9wavefront6targetE1EEEvT1_
    .private_segment_fixed_size: 0
    .sgpr_count:     6
    .sgpr_spill_count: 0
    .symbol:         _ZN7rocprim17ROCPRIM_400000_NS6detail17trampoline_kernelINS0_14default_configENS1_25partition_config_selectorILNS1_17partition_subalgoE3EjNS0_10empty_typeEbEEZZNS1_14partition_implILS5_3ELb0ES3_jN6thrust23THRUST_200600_302600_NS6detail15normal_iteratorINSA_7pointerIjNSA_11hip_rocprim3tagENSA_11use_defaultESG_EEEEPS6_SJ_NS0_5tupleIJPjSJ_EEENSK_IJSJ_SJ_EEES6_PlJ7is_evenIjEEEE10hipError_tPvRmT3_T4_T5_T6_T7_T9_mT8_P12ihipStream_tbDpT10_ENKUlT_T0_E_clISt17integral_constantIbLb1EES1A_EEDaS15_S16_EUlS15_E_NS1_11comp_targetILNS1_3genE4ELNS1_11target_archE910ELNS1_3gpuE8ELNS1_3repE0EEENS1_30default_config_static_selectorELNS0_4arch9wavefront6targetE1EEEvT1_.kd
    .uniform_work_group_size: 1
    .uses_dynamic_stack: false
    .vgpr_count:     0
    .vgpr_spill_count: 0
    .wavefront_size: 64
  - .agpr_count:     0
    .args:
      - .offset:         0
        .size:           136
        .value_kind:     by_value
    .group_segment_fixed_size: 0
    .kernarg_segment_align: 8
    .kernarg_segment_size: 136
    .language:       OpenCL C
    .language_version:
      - 2
      - 0
    .max_flat_workgroup_size: 256
    .name:           _ZN7rocprim17ROCPRIM_400000_NS6detail17trampoline_kernelINS0_14default_configENS1_25partition_config_selectorILNS1_17partition_subalgoE3EjNS0_10empty_typeEbEEZZNS1_14partition_implILS5_3ELb0ES3_jN6thrust23THRUST_200600_302600_NS6detail15normal_iteratorINSA_7pointerIjNSA_11hip_rocprim3tagENSA_11use_defaultESG_EEEEPS6_SJ_NS0_5tupleIJPjSJ_EEENSK_IJSJ_SJ_EEES6_PlJ7is_evenIjEEEE10hipError_tPvRmT3_T4_T5_T6_T7_T9_mT8_P12ihipStream_tbDpT10_ENKUlT_T0_E_clISt17integral_constantIbLb1EES1A_EEDaS15_S16_EUlS15_E_NS1_11comp_targetILNS1_3genE3ELNS1_11target_archE908ELNS1_3gpuE7ELNS1_3repE0EEENS1_30default_config_static_selectorELNS0_4arch9wavefront6targetE1EEEvT1_
    .private_segment_fixed_size: 0
    .sgpr_count:     6
    .sgpr_spill_count: 0
    .symbol:         _ZN7rocprim17ROCPRIM_400000_NS6detail17trampoline_kernelINS0_14default_configENS1_25partition_config_selectorILNS1_17partition_subalgoE3EjNS0_10empty_typeEbEEZZNS1_14partition_implILS5_3ELb0ES3_jN6thrust23THRUST_200600_302600_NS6detail15normal_iteratorINSA_7pointerIjNSA_11hip_rocprim3tagENSA_11use_defaultESG_EEEEPS6_SJ_NS0_5tupleIJPjSJ_EEENSK_IJSJ_SJ_EEES6_PlJ7is_evenIjEEEE10hipError_tPvRmT3_T4_T5_T6_T7_T9_mT8_P12ihipStream_tbDpT10_ENKUlT_T0_E_clISt17integral_constantIbLb1EES1A_EEDaS15_S16_EUlS15_E_NS1_11comp_targetILNS1_3genE3ELNS1_11target_archE908ELNS1_3gpuE7ELNS1_3repE0EEENS1_30default_config_static_selectorELNS0_4arch9wavefront6targetE1EEEvT1_.kd
    .uniform_work_group_size: 1
    .uses_dynamic_stack: false
    .vgpr_count:     0
    .vgpr_spill_count: 0
    .wavefront_size: 64
  - .agpr_count:     0
    .args:
      - .offset:         0
        .size:           136
        .value_kind:     by_value
    .group_segment_fixed_size: 0
    .kernarg_segment_align: 8
    .kernarg_segment_size: 136
    .language:       OpenCL C
    .language_version:
      - 2
      - 0
    .max_flat_workgroup_size: 192
    .name:           _ZN7rocprim17ROCPRIM_400000_NS6detail17trampoline_kernelINS0_14default_configENS1_25partition_config_selectorILNS1_17partition_subalgoE3EjNS0_10empty_typeEbEEZZNS1_14partition_implILS5_3ELb0ES3_jN6thrust23THRUST_200600_302600_NS6detail15normal_iteratorINSA_7pointerIjNSA_11hip_rocprim3tagENSA_11use_defaultESG_EEEEPS6_SJ_NS0_5tupleIJPjSJ_EEENSK_IJSJ_SJ_EEES6_PlJ7is_evenIjEEEE10hipError_tPvRmT3_T4_T5_T6_T7_T9_mT8_P12ihipStream_tbDpT10_ENKUlT_T0_E_clISt17integral_constantIbLb1EES1A_EEDaS15_S16_EUlS15_E_NS1_11comp_targetILNS1_3genE2ELNS1_11target_archE906ELNS1_3gpuE6ELNS1_3repE0EEENS1_30default_config_static_selectorELNS0_4arch9wavefront6targetE1EEEvT1_
    .private_segment_fixed_size: 0
    .sgpr_count:     6
    .sgpr_spill_count: 0
    .symbol:         _ZN7rocprim17ROCPRIM_400000_NS6detail17trampoline_kernelINS0_14default_configENS1_25partition_config_selectorILNS1_17partition_subalgoE3EjNS0_10empty_typeEbEEZZNS1_14partition_implILS5_3ELb0ES3_jN6thrust23THRUST_200600_302600_NS6detail15normal_iteratorINSA_7pointerIjNSA_11hip_rocprim3tagENSA_11use_defaultESG_EEEEPS6_SJ_NS0_5tupleIJPjSJ_EEENSK_IJSJ_SJ_EEES6_PlJ7is_evenIjEEEE10hipError_tPvRmT3_T4_T5_T6_T7_T9_mT8_P12ihipStream_tbDpT10_ENKUlT_T0_E_clISt17integral_constantIbLb1EES1A_EEDaS15_S16_EUlS15_E_NS1_11comp_targetILNS1_3genE2ELNS1_11target_archE906ELNS1_3gpuE6ELNS1_3repE0EEENS1_30default_config_static_selectorELNS0_4arch9wavefront6targetE1EEEvT1_.kd
    .uniform_work_group_size: 1
    .uses_dynamic_stack: false
    .vgpr_count:     0
    .vgpr_spill_count: 0
    .wavefront_size: 64
  - .agpr_count:     0
    .args:
      - .offset:         0
        .size:           136
        .value_kind:     by_value
    .group_segment_fixed_size: 0
    .kernarg_segment_align: 8
    .kernarg_segment_size: 136
    .language:       OpenCL C
    .language_version:
      - 2
      - 0
    .max_flat_workgroup_size: 384
    .name:           _ZN7rocprim17ROCPRIM_400000_NS6detail17trampoline_kernelINS0_14default_configENS1_25partition_config_selectorILNS1_17partition_subalgoE3EjNS0_10empty_typeEbEEZZNS1_14partition_implILS5_3ELb0ES3_jN6thrust23THRUST_200600_302600_NS6detail15normal_iteratorINSA_7pointerIjNSA_11hip_rocprim3tagENSA_11use_defaultESG_EEEEPS6_SJ_NS0_5tupleIJPjSJ_EEENSK_IJSJ_SJ_EEES6_PlJ7is_evenIjEEEE10hipError_tPvRmT3_T4_T5_T6_T7_T9_mT8_P12ihipStream_tbDpT10_ENKUlT_T0_E_clISt17integral_constantIbLb1EES1A_EEDaS15_S16_EUlS15_E_NS1_11comp_targetILNS1_3genE10ELNS1_11target_archE1200ELNS1_3gpuE4ELNS1_3repE0EEENS1_30default_config_static_selectorELNS0_4arch9wavefront6targetE1EEEvT1_
    .private_segment_fixed_size: 0
    .sgpr_count:     6
    .sgpr_spill_count: 0
    .symbol:         _ZN7rocprim17ROCPRIM_400000_NS6detail17trampoline_kernelINS0_14default_configENS1_25partition_config_selectorILNS1_17partition_subalgoE3EjNS0_10empty_typeEbEEZZNS1_14partition_implILS5_3ELb0ES3_jN6thrust23THRUST_200600_302600_NS6detail15normal_iteratorINSA_7pointerIjNSA_11hip_rocprim3tagENSA_11use_defaultESG_EEEEPS6_SJ_NS0_5tupleIJPjSJ_EEENSK_IJSJ_SJ_EEES6_PlJ7is_evenIjEEEE10hipError_tPvRmT3_T4_T5_T6_T7_T9_mT8_P12ihipStream_tbDpT10_ENKUlT_T0_E_clISt17integral_constantIbLb1EES1A_EEDaS15_S16_EUlS15_E_NS1_11comp_targetILNS1_3genE10ELNS1_11target_archE1200ELNS1_3gpuE4ELNS1_3repE0EEENS1_30default_config_static_selectorELNS0_4arch9wavefront6targetE1EEEvT1_.kd
    .uniform_work_group_size: 1
    .uses_dynamic_stack: false
    .vgpr_count:     0
    .vgpr_spill_count: 0
    .wavefront_size: 64
  - .agpr_count:     0
    .args:
      - .offset:         0
        .size:           136
        .value_kind:     by_value
    .group_segment_fixed_size: 0
    .kernarg_segment_align: 8
    .kernarg_segment_size: 136
    .language:       OpenCL C
    .language_version:
      - 2
      - 0
    .max_flat_workgroup_size: 384
    .name:           _ZN7rocprim17ROCPRIM_400000_NS6detail17trampoline_kernelINS0_14default_configENS1_25partition_config_selectorILNS1_17partition_subalgoE3EjNS0_10empty_typeEbEEZZNS1_14partition_implILS5_3ELb0ES3_jN6thrust23THRUST_200600_302600_NS6detail15normal_iteratorINSA_7pointerIjNSA_11hip_rocprim3tagENSA_11use_defaultESG_EEEEPS6_SJ_NS0_5tupleIJPjSJ_EEENSK_IJSJ_SJ_EEES6_PlJ7is_evenIjEEEE10hipError_tPvRmT3_T4_T5_T6_T7_T9_mT8_P12ihipStream_tbDpT10_ENKUlT_T0_E_clISt17integral_constantIbLb1EES1A_EEDaS15_S16_EUlS15_E_NS1_11comp_targetILNS1_3genE9ELNS1_11target_archE1100ELNS1_3gpuE3ELNS1_3repE0EEENS1_30default_config_static_selectorELNS0_4arch9wavefront6targetE1EEEvT1_
    .private_segment_fixed_size: 0
    .sgpr_count:     6
    .sgpr_spill_count: 0
    .symbol:         _ZN7rocprim17ROCPRIM_400000_NS6detail17trampoline_kernelINS0_14default_configENS1_25partition_config_selectorILNS1_17partition_subalgoE3EjNS0_10empty_typeEbEEZZNS1_14partition_implILS5_3ELb0ES3_jN6thrust23THRUST_200600_302600_NS6detail15normal_iteratorINSA_7pointerIjNSA_11hip_rocprim3tagENSA_11use_defaultESG_EEEEPS6_SJ_NS0_5tupleIJPjSJ_EEENSK_IJSJ_SJ_EEES6_PlJ7is_evenIjEEEE10hipError_tPvRmT3_T4_T5_T6_T7_T9_mT8_P12ihipStream_tbDpT10_ENKUlT_T0_E_clISt17integral_constantIbLb1EES1A_EEDaS15_S16_EUlS15_E_NS1_11comp_targetILNS1_3genE9ELNS1_11target_archE1100ELNS1_3gpuE3ELNS1_3repE0EEENS1_30default_config_static_selectorELNS0_4arch9wavefront6targetE1EEEvT1_.kd
    .uniform_work_group_size: 1
    .uses_dynamic_stack: false
    .vgpr_count:     0
    .vgpr_spill_count: 0
    .wavefront_size: 64
  - .agpr_count:     0
    .args:
      - .offset:         0
        .size:           136
        .value_kind:     by_value
    .group_segment_fixed_size: 0
    .kernarg_segment_align: 8
    .kernarg_segment_size: 136
    .language:       OpenCL C
    .language_version:
      - 2
      - 0
    .max_flat_workgroup_size: 512
    .name:           _ZN7rocprim17ROCPRIM_400000_NS6detail17trampoline_kernelINS0_14default_configENS1_25partition_config_selectorILNS1_17partition_subalgoE3EjNS0_10empty_typeEbEEZZNS1_14partition_implILS5_3ELb0ES3_jN6thrust23THRUST_200600_302600_NS6detail15normal_iteratorINSA_7pointerIjNSA_11hip_rocprim3tagENSA_11use_defaultESG_EEEEPS6_SJ_NS0_5tupleIJPjSJ_EEENSK_IJSJ_SJ_EEES6_PlJ7is_evenIjEEEE10hipError_tPvRmT3_T4_T5_T6_T7_T9_mT8_P12ihipStream_tbDpT10_ENKUlT_T0_E_clISt17integral_constantIbLb1EES1A_EEDaS15_S16_EUlS15_E_NS1_11comp_targetILNS1_3genE8ELNS1_11target_archE1030ELNS1_3gpuE2ELNS1_3repE0EEENS1_30default_config_static_selectorELNS0_4arch9wavefront6targetE1EEEvT1_
    .private_segment_fixed_size: 0
    .sgpr_count:     6
    .sgpr_spill_count: 0
    .symbol:         _ZN7rocprim17ROCPRIM_400000_NS6detail17trampoline_kernelINS0_14default_configENS1_25partition_config_selectorILNS1_17partition_subalgoE3EjNS0_10empty_typeEbEEZZNS1_14partition_implILS5_3ELb0ES3_jN6thrust23THRUST_200600_302600_NS6detail15normal_iteratorINSA_7pointerIjNSA_11hip_rocprim3tagENSA_11use_defaultESG_EEEEPS6_SJ_NS0_5tupleIJPjSJ_EEENSK_IJSJ_SJ_EEES6_PlJ7is_evenIjEEEE10hipError_tPvRmT3_T4_T5_T6_T7_T9_mT8_P12ihipStream_tbDpT10_ENKUlT_T0_E_clISt17integral_constantIbLb1EES1A_EEDaS15_S16_EUlS15_E_NS1_11comp_targetILNS1_3genE8ELNS1_11target_archE1030ELNS1_3gpuE2ELNS1_3repE0EEENS1_30default_config_static_selectorELNS0_4arch9wavefront6targetE1EEEvT1_.kd
    .uniform_work_group_size: 1
    .uses_dynamic_stack: false
    .vgpr_count:     0
    .vgpr_spill_count: 0
    .wavefront_size: 64
  - .agpr_count:     0
    .args:
      - .offset:         0
        .size:           120
        .value_kind:     by_value
    .group_segment_fixed_size: 0
    .kernarg_segment_align: 8
    .kernarg_segment_size: 120
    .language:       OpenCL C
    .language_version:
      - 2
      - 0
    .max_flat_workgroup_size: 256
    .name:           _ZN7rocprim17ROCPRIM_400000_NS6detail17trampoline_kernelINS0_14default_configENS1_25partition_config_selectorILNS1_17partition_subalgoE3EjNS0_10empty_typeEbEEZZNS1_14partition_implILS5_3ELb0ES3_jN6thrust23THRUST_200600_302600_NS6detail15normal_iteratorINSA_7pointerIjNSA_11hip_rocprim3tagENSA_11use_defaultESG_EEEEPS6_SJ_NS0_5tupleIJPjSJ_EEENSK_IJSJ_SJ_EEES6_PlJ7is_evenIjEEEE10hipError_tPvRmT3_T4_T5_T6_T7_T9_mT8_P12ihipStream_tbDpT10_ENKUlT_T0_E_clISt17integral_constantIbLb1EES19_IbLb0EEEEDaS15_S16_EUlS15_E_NS1_11comp_targetILNS1_3genE0ELNS1_11target_archE4294967295ELNS1_3gpuE0ELNS1_3repE0EEENS1_30default_config_static_selectorELNS0_4arch9wavefront6targetE1EEEvT1_
    .private_segment_fixed_size: 0
    .sgpr_count:     6
    .sgpr_spill_count: 0
    .symbol:         _ZN7rocprim17ROCPRIM_400000_NS6detail17trampoline_kernelINS0_14default_configENS1_25partition_config_selectorILNS1_17partition_subalgoE3EjNS0_10empty_typeEbEEZZNS1_14partition_implILS5_3ELb0ES3_jN6thrust23THRUST_200600_302600_NS6detail15normal_iteratorINSA_7pointerIjNSA_11hip_rocprim3tagENSA_11use_defaultESG_EEEEPS6_SJ_NS0_5tupleIJPjSJ_EEENSK_IJSJ_SJ_EEES6_PlJ7is_evenIjEEEE10hipError_tPvRmT3_T4_T5_T6_T7_T9_mT8_P12ihipStream_tbDpT10_ENKUlT_T0_E_clISt17integral_constantIbLb1EES19_IbLb0EEEEDaS15_S16_EUlS15_E_NS1_11comp_targetILNS1_3genE0ELNS1_11target_archE4294967295ELNS1_3gpuE0ELNS1_3repE0EEENS1_30default_config_static_selectorELNS0_4arch9wavefront6targetE1EEEvT1_.kd
    .uniform_work_group_size: 1
    .uses_dynamic_stack: false
    .vgpr_count:     0
    .vgpr_spill_count: 0
    .wavefront_size: 64
  - .agpr_count:     0
    .args:
      - .offset:         0
        .size:           120
        .value_kind:     by_value
    .group_segment_fixed_size: 30728
    .kernarg_segment_align: 8
    .kernarg_segment_size: 120
    .language:       OpenCL C
    .language_version:
      - 2
      - 0
    .max_flat_workgroup_size: 512
    .name:           _ZN7rocprim17ROCPRIM_400000_NS6detail17trampoline_kernelINS0_14default_configENS1_25partition_config_selectorILNS1_17partition_subalgoE3EjNS0_10empty_typeEbEEZZNS1_14partition_implILS5_3ELb0ES3_jN6thrust23THRUST_200600_302600_NS6detail15normal_iteratorINSA_7pointerIjNSA_11hip_rocprim3tagENSA_11use_defaultESG_EEEEPS6_SJ_NS0_5tupleIJPjSJ_EEENSK_IJSJ_SJ_EEES6_PlJ7is_evenIjEEEE10hipError_tPvRmT3_T4_T5_T6_T7_T9_mT8_P12ihipStream_tbDpT10_ENKUlT_T0_E_clISt17integral_constantIbLb1EES19_IbLb0EEEEDaS15_S16_EUlS15_E_NS1_11comp_targetILNS1_3genE5ELNS1_11target_archE942ELNS1_3gpuE9ELNS1_3repE0EEENS1_30default_config_static_selectorELNS0_4arch9wavefront6targetE1EEEvT1_
    .private_segment_fixed_size: 0
    .sgpr_count:     52
    .sgpr_spill_count: 0
    .symbol:         _ZN7rocprim17ROCPRIM_400000_NS6detail17trampoline_kernelINS0_14default_configENS1_25partition_config_selectorILNS1_17partition_subalgoE3EjNS0_10empty_typeEbEEZZNS1_14partition_implILS5_3ELb0ES3_jN6thrust23THRUST_200600_302600_NS6detail15normal_iteratorINSA_7pointerIjNSA_11hip_rocprim3tagENSA_11use_defaultESG_EEEEPS6_SJ_NS0_5tupleIJPjSJ_EEENSK_IJSJ_SJ_EEES6_PlJ7is_evenIjEEEE10hipError_tPvRmT3_T4_T5_T6_T7_T9_mT8_P12ihipStream_tbDpT10_ENKUlT_T0_E_clISt17integral_constantIbLb1EES19_IbLb0EEEEDaS15_S16_EUlS15_E_NS1_11comp_targetILNS1_3genE5ELNS1_11target_archE942ELNS1_3gpuE9ELNS1_3repE0EEENS1_30default_config_static_selectorELNS0_4arch9wavefront6targetE1EEEvT1_.kd
    .uniform_work_group_size: 1
    .uses_dynamic_stack: false
    .vgpr_count:     76
    .vgpr_spill_count: 0
    .wavefront_size: 64
  - .agpr_count:     0
    .args:
      - .offset:         0
        .size:           120
        .value_kind:     by_value
    .group_segment_fixed_size: 0
    .kernarg_segment_align: 8
    .kernarg_segment_size: 120
    .language:       OpenCL C
    .language_version:
      - 2
      - 0
    .max_flat_workgroup_size: 256
    .name:           _ZN7rocprim17ROCPRIM_400000_NS6detail17trampoline_kernelINS0_14default_configENS1_25partition_config_selectorILNS1_17partition_subalgoE3EjNS0_10empty_typeEbEEZZNS1_14partition_implILS5_3ELb0ES3_jN6thrust23THRUST_200600_302600_NS6detail15normal_iteratorINSA_7pointerIjNSA_11hip_rocprim3tagENSA_11use_defaultESG_EEEEPS6_SJ_NS0_5tupleIJPjSJ_EEENSK_IJSJ_SJ_EEES6_PlJ7is_evenIjEEEE10hipError_tPvRmT3_T4_T5_T6_T7_T9_mT8_P12ihipStream_tbDpT10_ENKUlT_T0_E_clISt17integral_constantIbLb1EES19_IbLb0EEEEDaS15_S16_EUlS15_E_NS1_11comp_targetILNS1_3genE4ELNS1_11target_archE910ELNS1_3gpuE8ELNS1_3repE0EEENS1_30default_config_static_selectorELNS0_4arch9wavefront6targetE1EEEvT1_
    .private_segment_fixed_size: 0
    .sgpr_count:     6
    .sgpr_spill_count: 0
    .symbol:         _ZN7rocprim17ROCPRIM_400000_NS6detail17trampoline_kernelINS0_14default_configENS1_25partition_config_selectorILNS1_17partition_subalgoE3EjNS0_10empty_typeEbEEZZNS1_14partition_implILS5_3ELb0ES3_jN6thrust23THRUST_200600_302600_NS6detail15normal_iteratorINSA_7pointerIjNSA_11hip_rocprim3tagENSA_11use_defaultESG_EEEEPS6_SJ_NS0_5tupleIJPjSJ_EEENSK_IJSJ_SJ_EEES6_PlJ7is_evenIjEEEE10hipError_tPvRmT3_T4_T5_T6_T7_T9_mT8_P12ihipStream_tbDpT10_ENKUlT_T0_E_clISt17integral_constantIbLb1EES19_IbLb0EEEEDaS15_S16_EUlS15_E_NS1_11comp_targetILNS1_3genE4ELNS1_11target_archE910ELNS1_3gpuE8ELNS1_3repE0EEENS1_30default_config_static_selectorELNS0_4arch9wavefront6targetE1EEEvT1_.kd
    .uniform_work_group_size: 1
    .uses_dynamic_stack: false
    .vgpr_count:     0
    .vgpr_spill_count: 0
    .wavefront_size: 64
  - .agpr_count:     0
    .args:
      - .offset:         0
        .size:           120
        .value_kind:     by_value
    .group_segment_fixed_size: 0
    .kernarg_segment_align: 8
    .kernarg_segment_size: 120
    .language:       OpenCL C
    .language_version:
      - 2
      - 0
    .max_flat_workgroup_size: 256
    .name:           _ZN7rocprim17ROCPRIM_400000_NS6detail17trampoline_kernelINS0_14default_configENS1_25partition_config_selectorILNS1_17partition_subalgoE3EjNS0_10empty_typeEbEEZZNS1_14partition_implILS5_3ELb0ES3_jN6thrust23THRUST_200600_302600_NS6detail15normal_iteratorINSA_7pointerIjNSA_11hip_rocprim3tagENSA_11use_defaultESG_EEEEPS6_SJ_NS0_5tupleIJPjSJ_EEENSK_IJSJ_SJ_EEES6_PlJ7is_evenIjEEEE10hipError_tPvRmT3_T4_T5_T6_T7_T9_mT8_P12ihipStream_tbDpT10_ENKUlT_T0_E_clISt17integral_constantIbLb1EES19_IbLb0EEEEDaS15_S16_EUlS15_E_NS1_11comp_targetILNS1_3genE3ELNS1_11target_archE908ELNS1_3gpuE7ELNS1_3repE0EEENS1_30default_config_static_selectorELNS0_4arch9wavefront6targetE1EEEvT1_
    .private_segment_fixed_size: 0
    .sgpr_count:     6
    .sgpr_spill_count: 0
    .symbol:         _ZN7rocprim17ROCPRIM_400000_NS6detail17trampoline_kernelINS0_14default_configENS1_25partition_config_selectorILNS1_17partition_subalgoE3EjNS0_10empty_typeEbEEZZNS1_14partition_implILS5_3ELb0ES3_jN6thrust23THRUST_200600_302600_NS6detail15normal_iteratorINSA_7pointerIjNSA_11hip_rocprim3tagENSA_11use_defaultESG_EEEEPS6_SJ_NS0_5tupleIJPjSJ_EEENSK_IJSJ_SJ_EEES6_PlJ7is_evenIjEEEE10hipError_tPvRmT3_T4_T5_T6_T7_T9_mT8_P12ihipStream_tbDpT10_ENKUlT_T0_E_clISt17integral_constantIbLb1EES19_IbLb0EEEEDaS15_S16_EUlS15_E_NS1_11comp_targetILNS1_3genE3ELNS1_11target_archE908ELNS1_3gpuE7ELNS1_3repE0EEENS1_30default_config_static_selectorELNS0_4arch9wavefront6targetE1EEEvT1_.kd
    .uniform_work_group_size: 1
    .uses_dynamic_stack: false
    .vgpr_count:     0
    .vgpr_spill_count: 0
    .wavefront_size: 64
  - .agpr_count:     0
    .args:
      - .offset:         0
        .size:           120
        .value_kind:     by_value
    .group_segment_fixed_size: 0
    .kernarg_segment_align: 8
    .kernarg_segment_size: 120
    .language:       OpenCL C
    .language_version:
      - 2
      - 0
    .max_flat_workgroup_size: 192
    .name:           _ZN7rocprim17ROCPRIM_400000_NS6detail17trampoline_kernelINS0_14default_configENS1_25partition_config_selectorILNS1_17partition_subalgoE3EjNS0_10empty_typeEbEEZZNS1_14partition_implILS5_3ELb0ES3_jN6thrust23THRUST_200600_302600_NS6detail15normal_iteratorINSA_7pointerIjNSA_11hip_rocprim3tagENSA_11use_defaultESG_EEEEPS6_SJ_NS0_5tupleIJPjSJ_EEENSK_IJSJ_SJ_EEES6_PlJ7is_evenIjEEEE10hipError_tPvRmT3_T4_T5_T6_T7_T9_mT8_P12ihipStream_tbDpT10_ENKUlT_T0_E_clISt17integral_constantIbLb1EES19_IbLb0EEEEDaS15_S16_EUlS15_E_NS1_11comp_targetILNS1_3genE2ELNS1_11target_archE906ELNS1_3gpuE6ELNS1_3repE0EEENS1_30default_config_static_selectorELNS0_4arch9wavefront6targetE1EEEvT1_
    .private_segment_fixed_size: 0
    .sgpr_count:     6
    .sgpr_spill_count: 0
    .symbol:         _ZN7rocprim17ROCPRIM_400000_NS6detail17trampoline_kernelINS0_14default_configENS1_25partition_config_selectorILNS1_17partition_subalgoE3EjNS0_10empty_typeEbEEZZNS1_14partition_implILS5_3ELb0ES3_jN6thrust23THRUST_200600_302600_NS6detail15normal_iteratorINSA_7pointerIjNSA_11hip_rocprim3tagENSA_11use_defaultESG_EEEEPS6_SJ_NS0_5tupleIJPjSJ_EEENSK_IJSJ_SJ_EEES6_PlJ7is_evenIjEEEE10hipError_tPvRmT3_T4_T5_T6_T7_T9_mT8_P12ihipStream_tbDpT10_ENKUlT_T0_E_clISt17integral_constantIbLb1EES19_IbLb0EEEEDaS15_S16_EUlS15_E_NS1_11comp_targetILNS1_3genE2ELNS1_11target_archE906ELNS1_3gpuE6ELNS1_3repE0EEENS1_30default_config_static_selectorELNS0_4arch9wavefront6targetE1EEEvT1_.kd
    .uniform_work_group_size: 1
    .uses_dynamic_stack: false
    .vgpr_count:     0
    .vgpr_spill_count: 0
    .wavefront_size: 64
  - .agpr_count:     0
    .args:
      - .offset:         0
        .size:           120
        .value_kind:     by_value
    .group_segment_fixed_size: 0
    .kernarg_segment_align: 8
    .kernarg_segment_size: 120
    .language:       OpenCL C
    .language_version:
      - 2
      - 0
    .max_flat_workgroup_size: 384
    .name:           _ZN7rocprim17ROCPRIM_400000_NS6detail17trampoline_kernelINS0_14default_configENS1_25partition_config_selectorILNS1_17partition_subalgoE3EjNS0_10empty_typeEbEEZZNS1_14partition_implILS5_3ELb0ES3_jN6thrust23THRUST_200600_302600_NS6detail15normal_iteratorINSA_7pointerIjNSA_11hip_rocprim3tagENSA_11use_defaultESG_EEEEPS6_SJ_NS0_5tupleIJPjSJ_EEENSK_IJSJ_SJ_EEES6_PlJ7is_evenIjEEEE10hipError_tPvRmT3_T4_T5_T6_T7_T9_mT8_P12ihipStream_tbDpT10_ENKUlT_T0_E_clISt17integral_constantIbLb1EES19_IbLb0EEEEDaS15_S16_EUlS15_E_NS1_11comp_targetILNS1_3genE10ELNS1_11target_archE1200ELNS1_3gpuE4ELNS1_3repE0EEENS1_30default_config_static_selectorELNS0_4arch9wavefront6targetE1EEEvT1_
    .private_segment_fixed_size: 0
    .sgpr_count:     6
    .sgpr_spill_count: 0
    .symbol:         _ZN7rocprim17ROCPRIM_400000_NS6detail17trampoline_kernelINS0_14default_configENS1_25partition_config_selectorILNS1_17partition_subalgoE3EjNS0_10empty_typeEbEEZZNS1_14partition_implILS5_3ELb0ES3_jN6thrust23THRUST_200600_302600_NS6detail15normal_iteratorINSA_7pointerIjNSA_11hip_rocprim3tagENSA_11use_defaultESG_EEEEPS6_SJ_NS0_5tupleIJPjSJ_EEENSK_IJSJ_SJ_EEES6_PlJ7is_evenIjEEEE10hipError_tPvRmT3_T4_T5_T6_T7_T9_mT8_P12ihipStream_tbDpT10_ENKUlT_T0_E_clISt17integral_constantIbLb1EES19_IbLb0EEEEDaS15_S16_EUlS15_E_NS1_11comp_targetILNS1_3genE10ELNS1_11target_archE1200ELNS1_3gpuE4ELNS1_3repE0EEENS1_30default_config_static_selectorELNS0_4arch9wavefront6targetE1EEEvT1_.kd
    .uniform_work_group_size: 1
    .uses_dynamic_stack: false
    .vgpr_count:     0
    .vgpr_spill_count: 0
    .wavefront_size: 64
  - .agpr_count:     0
    .args:
      - .offset:         0
        .size:           120
        .value_kind:     by_value
    .group_segment_fixed_size: 0
    .kernarg_segment_align: 8
    .kernarg_segment_size: 120
    .language:       OpenCL C
    .language_version:
      - 2
      - 0
    .max_flat_workgroup_size: 384
    .name:           _ZN7rocprim17ROCPRIM_400000_NS6detail17trampoline_kernelINS0_14default_configENS1_25partition_config_selectorILNS1_17partition_subalgoE3EjNS0_10empty_typeEbEEZZNS1_14partition_implILS5_3ELb0ES3_jN6thrust23THRUST_200600_302600_NS6detail15normal_iteratorINSA_7pointerIjNSA_11hip_rocprim3tagENSA_11use_defaultESG_EEEEPS6_SJ_NS0_5tupleIJPjSJ_EEENSK_IJSJ_SJ_EEES6_PlJ7is_evenIjEEEE10hipError_tPvRmT3_T4_T5_T6_T7_T9_mT8_P12ihipStream_tbDpT10_ENKUlT_T0_E_clISt17integral_constantIbLb1EES19_IbLb0EEEEDaS15_S16_EUlS15_E_NS1_11comp_targetILNS1_3genE9ELNS1_11target_archE1100ELNS1_3gpuE3ELNS1_3repE0EEENS1_30default_config_static_selectorELNS0_4arch9wavefront6targetE1EEEvT1_
    .private_segment_fixed_size: 0
    .sgpr_count:     6
    .sgpr_spill_count: 0
    .symbol:         _ZN7rocprim17ROCPRIM_400000_NS6detail17trampoline_kernelINS0_14default_configENS1_25partition_config_selectorILNS1_17partition_subalgoE3EjNS0_10empty_typeEbEEZZNS1_14partition_implILS5_3ELb0ES3_jN6thrust23THRUST_200600_302600_NS6detail15normal_iteratorINSA_7pointerIjNSA_11hip_rocprim3tagENSA_11use_defaultESG_EEEEPS6_SJ_NS0_5tupleIJPjSJ_EEENSK_IJSJ_SJ_EEES6_PlJ7is_evenIjEEEE10hipError_tPvRmT3_T4_T5_T6_T7_T9_mT8_P12ihipStream_tbDpT10_ENKUlT_T0_E_clISt17integral_constantIbLb1EES19_IbLb0EEEEDaS15_S16_EUlS15_E_NS1_11comp_targetILNS1_3genE9ELNS1_11target_archE1100ELNS1_3gpuE3ELNS1_3repE0EEENS1_30default_config_static_selectorELNS0_4arch9wavefront6targetE1EEEvT1_.kd
    .uniform_work_group_size: 1
    .uses_dynamic_stack: false
    .vgpr_count:     0
    .vgpr_spill_count: 0
    .wavefront_size: 64
  - .agpr_count:     0
    .args:
      - .offset:         0
        .size:           120
        .value_kind:     by_value
    .group_segment_fixed_size: 0
    .kernarg_segment_align: 8
    .kernarg_segment_size: 120
    .language:       OpenCL C
    .language_version:
      - 2
      - 0
    .max_flat_workgroup_size: 512
    .name:           _ZN7rocprim17ROCPRIM_400000_NS6detail17trampoline_kernelINS0_14default_configENS1_25partition_config_selectorILNS1_17partition_subalgoE3EjNS0_10empty_typeEbEEZZNS1_14partition_implILS5_3ELb0ES3_jN6thrust23THRUST_200600_302600_NS6detail15normal_iteratorINSA_7pointerIjNSA_11hip_rocprim3tagENSA_11use_defaultESG_EEEEPS6_SJ_NS0_5tupleIJPjSJ_EEENSK_IJSJ_SJ_EEES6_PlJ7is_evenIjEEEE10hipError_tPvRmT3_T4_T5_T6_T7_T9_mT8_P12ihipStream_tbDpT10_ENKUlT_T0_E_clISt17integral_constantIbLb1EES19_IbLb0EEEEDaS15_S16_EUlS15_E_NS1_11comp_targetILNS1_3genE8ELNS1_11target_archE1030ELNS1_3gpuE2ELNS1_3repE0EEENS1_30default_config_static_selectorELNS0_4arch9wavefront6targetE1EEEvT1_
    .private_segment_fixed_size: 0
    .sgpr_count:     6
    .sgpr_spill_count: 0
    .symbol:         _ZN7rocprim17ROCPRIM_400000_NS6detail17trampoline_kernelINS0_14default_configENS1_25partition_config_selectorILNS1_17partition_subalgoE3EjNS0_10empty_typeEbEEZZNS1_14partition_implILS5_3ELb0ES3_jN6thrust23THRUST_200600_302600_NS6detail15normal_iteratorINSA_7pointerIjNSA_11hip_rocprim3tagENSA_11use_defaultESG_EEEEPS6_SJ_NS0_5tupleIJPjSJ_EEENSK_IJSJ_SJ_EEES6_PlJ7is_evenIjEEEE10hipError_tPvRmT3_T4_T5_T6_T7_T9_mT8_P12ihipStream_tbDpT10_ENKUlT_T0_E_clISt17integral_constantIbLb1EES19_IbLb0EEEEDaS15_S16_EUlS15_E_NS1_11comp_targetILNS1_3genE8ELNS1_11target_archE1030ELNS1_3gpuE2ELNS1_3repE0EEENS1_30default_config_static_selectorELNS0_4arch9wavefront6targetE1EEEvT1_.kd
    .uniform_work_group_size: 1
    .uses_dynamic_stack: false
    .vgpr_count:     0
    .vgpr_spill_count: 0
    .wavefront_size: 64
  - .agpr_count:     0
    .args:
      - .offset:         0
        .size:           136
        .value_kind:     by_value
    .group_segment_fixed_size: 0
    .kernarg_segment_align: 8
    .kernarg_segment_size: 136
    .language:       OpenCL C
    .language_version:
      - 2
      - 0
    .max_flat_workgroup_size: 256
    .name:           _ZN7rocprim17ROCPRIM_400000_NS6detail17trampoline_kernelINS0_14default_configENS1_25partition_config_selectorILNS1_17partition_subalgoE3EjNS0_10empty_typeEbEEZZNS1_14partition_implILS5_3ELb0ES3_jN6thrust23THRUST_200600_302600_NS6detail15normal_iteratorINSA_7pointerIjNSA_11hip_rocprim3tagENSA_11use_defaultESG_EEEEPS6_SJ_NS0_5tupleIJPjSJ_EEENSK_IJSJ_SJ_EEES6_PlJ7is_evenIjEEEE10hipError_tPvRmT3_T4_T5_T6_T7_T9_mT8_P12ihipStream_tbDpT10_ENKUlT_T0_E_clISt17integral_constantIbLb0EES19_IbLb1EEEEDaS15_S16_EUlS15_E_NS1_11comp_targetILNS1_3genE0ELNS1_11target_archE4294967295ELNS1_3gpuE0ELNS1_3repE0EEENS1_30default_config_static_selectorELNS0_4arch9wavefront6targetE1EEEvT1_
    .private_segment_fixed_size: 0
    .sgpr_count:     6
    .sgpr_spill_count: 0
    .symbol:         _ZN7rocprim17ROCPRIM_400000_NS6detail17trampoline_kernelINS0_14default_configENS1_25partition_config_selectorILNS1_17partition_subalgoE3EjNS0_10empty_typeEbEEZZNS1_14partition_implILS5_3ELb0ES3_jN6thrust23THRUST_200600_302600_NS6detail15normal_iteratorINSA_7pointerIjNSA_11hip_rocprim3tagENSA_11use_defaultESG_EEEEPS6_SJ_NS0_5tupleIJPjSJ_EEENSK_IJSJ_SJ_EEES6_PlJ7is_evenIjEEEE10hipError_tPvRmT3_T4_T5_T6_T7_T9_mT8_P12ihipStream_tbDpT10_ENKUlT_T0_E_clISt17integral_constantIbLb0EES19_IbLb1EEEEDaS15_S16_EUlS15_E_NS1_11comp_targetILNS1_3genE0ELNS1_11target_archE4294967295ELNS1_3gpuE0ELNS1_3repE0EEENS1_30default_config_static_selectorELNS0_4arch9wavefront6targetE1EEEvT1_.kd
    .uniform_work_group_size: 1
    .uses_dynamic_stack: false
    .vgpr_count:     0
    .vgpr_spill_count: 0
    .wavefront_size: 64
  - .agpr_count:     0
    .args:
      - .offset:         0
        .size:           136
        .value_kind:     by_value
    .group_segment_fixed_size: 30728
    .kernarg_segment_align: 8
    .kernarg_segment_size: 136
    .language:       OpenCL C
    .language_version:
      - 2
      - 0
    .max_flat_workgroup_size: 512
    .name:           _ZN7rocprim17ROCPRIM_400000_NS6detail17trampoline_kernelINS0_14default_configENS1_25partition_config_selectorILNS1_17partition_subalgoE3EjNS0_10empty_typeEbEEZZNS1_14partition_implILS5_3ELb0ES3_jN6thrust23THRUST_200600_302600_NS6detail15normal_iteratorINSA_7pointerIjNSA_11hip_rocprim3tagENSA_11use_defaultESG_EEEEPS6_SJ_NS0_5tupleIJPjSJ_EEENSK_IJSJ_SJ_EEES6_PlJ7is_evenIjEEEE10hipError_tPvRmT3_T4_T5_T6_T7_T9_mT8_P12ihipStream_tbDpT10_ENKUlT_T0_E_clISt17integral_constantIbLb0EES19_IbLb1EEEEDaS15_S16_EUlS15_E_NS1_11comp_targetILNS1_3genE5ELNS1_11target_archE942ELNS1_3gpuE9ELNS1_3repE0EEENS1_30default_config_static_selectorELNS0_4arch9wavefront6targetE1EEEvT1_
    .private_segment_fixed_size: 0
    .sgpr_count:     50
    .sgpr_spill_count: 0
    .symbol:         _ZN7rocprim17ROCPRIM_400000_NS6detail17trampoline_kernelINS0_14default_configENS1_25partition_config_selectorILNS1_17partition_subalgoE3EjNS0_10empty_typeEbEEZZNS1_14partition_implILS5_3ELb0ES3_jN6thrust23THRUST_200600_302600_NS6detail15normal_iteratorINSA_7pointerIjNSA_11hip_rocprim3tagENSA_11use_defaultESG_EEEEPS6_SJ_NS0_5tupleIJPjSJ_EEENSK_IJSJ_SJ_EEES6_PlJ7is_evenIjEEEE10hipError_tPvRmT3_T4_T5_T6_T7_T9_mT8_P12ihipStream_tbDpT10_ENKUlT_T0_E_clISt17integral_constantIbLb0EES19_IbLb1EEEEDaS15_S16_EUlS15_E_NS1_11comp_targetILNS1_3genE5ELNS1_11target_archE942ELNS1_3gpuE9ELNS1_3repE0EEENS1_30default_config_static_selectorELNS0_4arch9wavefront6targetE1EEEvT1_.kd
    .uniform_work_group_size: 1
    .uses_dynamic_stack: false
    .vgpr_count:     80
    .vgpr_spill_count: 0
    .wavefront_size: 64
  - .agpr_count:     0
    .args:
      - .offset:         0
        .size:           136
        .value_kind:     by_value
    .group_segment_fixed_size: 0
    .kernarg_segment_align: 8
    .kernarg_segment_size: 136
    .language:       OpenCL C
    .language_version:
      - 2
      - 0
    .max_flat_workgroup_size: 256
    .name:           _ZN7rocprim17ROCPRIM_400000_NS6detail17trampoline_kernelINS0_14default_configENS1_25partition_config_selectorILNS1_17partition_subalgoE3EjNS0_10empty_typeEbEEZZNS1_14partition_implILS5_3ELb0ES3_jN6thrust23THRUST_200600_302600_NS6detail15normal_iteratorINSA_7pointerIjNSA_11hip_rocprim3tagENSA_11use_defaultESG_EEEEPS6_SJ_NS0_5tupleIJPjSJ_EEENSK_IJSJ_SJ_EEES6_PlJ7is_evenIjEEEE10hipError_tPvRmT3_T4_T5_T6_T7_T9_mT8_P12ihipStream_tbDpT10_ENKUlT_T0_E_clISt17integral_constantIbLb0EES19_IbLb1EEEEDaS15_S16_EUlS15_E_NS1_11comp_targetILNS1_3genE4ELNS1_11target_archE910ELNS1_3gpuE8ELNS1_3repE0EEENS1_30default_config_static_selectorELNS0_4arch9wavefront6targetE1EEEvT1_
    .private_segment_fixed_size: 0
    .sgpr_count:     6
    .sgpr_spill_count: 0
    .symbol:         _ZN7rocprim17ROCPRIM_400000_NS6detail17trampoline_kernelINS0_14default_configENS1_25partition_config_selectorILNS1_17partition_subalgoE3EjNS0_10empty_typeEbEEZZNS1_14partition_implILS5_3ELb0ES3_jN6thrust23THRUST_200600_302600_NS6detail15normal_iteratorINSA_7pointerIjNSA_11hip_rocprim3tagENSA_11use_defaultESG_EEEEPS6_SJ_NS0_5tupleIJPjSJ_EEENSK_IJSJ_SJ_EEES6_PlJ7is_evenIjEEEE10hipError_tPvRmT3_T4_T5_T6_T7_T9_mT8_P12ihipStream_tbDpT10_ENKUlT_T0_E_clISt17integral_constantIbLb0EES19_IbLb1EEEEDaS15_S16_EUlS15_E_NS1_11comp_targetILNS1_3genE4ELNS1_11target_archE910ELNS1_3gpuE8ELNS1_3repE0EEENS1_30default_config_static_selectorELNS0_4arch9wavefront6targetE1EEEvT1_.kd
    .uniform_work_group_size: 1
    .uses_dynamic_stack: false
    .vgpr_count:     0
    .vgpr_spill_count: 0
    .wavefront_size: 64
  - .agpr_count:     0
    .args:
      - .offset:         0
        .size:           136
        .value_kind:     by_value
    .group_segment_fixed_size: 0
    .kernarg_segment_align: 8
    .kernarg_segment_size: 136
    .language:       OpenCL C
    .language_version:
      - 2
      - 0
    .max_flat_workgroup_size: 256
    .name:           _ZN7rocprim17ROCPRIM_400000_NS6detail17trampoline_kernelINS0_14default_configENS1_25partition_config_selectorILNS1_17partition_subalgoE3EjNS0_10empty_typeEbEEZZNS1_14partition_implILS5_3ELb0ES3_jN6thrust23THRUST_200600_302600_NS6detail15normal_iteratorINSA_7pointerIjNSA_11hip_rocprim3tagENSA_11use_defaultESG_EEEEPS6_SJ_NS0_5tupleIJPjSJ_EEENSK_IJSJ_SJ_EEES6_PlJ7is_evenIjEEEE10hipError_tPvRmT3_T4_T5_T6_T7_T9_mT8_P12ihipStream_tbDpT10_ENKUlT_T0_E_clISt17integral_constantIbLb0EES19_IbLb1EEEEDaS15_S16_EUlS15_E_NS1_11comp_targetILNS1_3genE3ELNS1_11target_archE908ELNS1_3gpuE7ELNS1_3repE0EEENS1_30default_config_static_selectorELNS0_4arch9wavefront6targetE1EEEvT1_
    .private_segment_fixed_size: 0
    .sgpr_count:     6
    .sgpr_spill_count: 0
    .symbol:         _ZN7rocprim17ROCPRIM_400000_NS6detail17trampoline_kernelINS0_14default_configENS1_25partition_config_selectorILNS1_17partition_subalgoE3EjNS0_10empty_typeEbEEZZNS1_14partition_implILS5_3ELb0ES3_jN6thrust23THRUST_200600_302600_NS6detail15normal_iteratorINSA_7pointerIjNSA_11hip_rocprim3tagENSA_11use_defaultESG_EEEEPS6_SJ_NS0_5tupleIJPjSJ_EEENSK_IJSJ_SJ_EEES6_PlJ7is_evenIjEEEE10hipError_tPvRmT3_T4_T5_T6_T7_T9_mT8_P12ihipStream_tbDpT10_ENKUlT_T0_E_clISt17integral_constantIbLb0EES19_IbLb1EEEEDaS15_S16_EUlS15_E_NS1_11comp_targetILNS1_3genE3ELNS1_11target_archE908ELNS1_3gpuE7ELNS1_3repE0EEENS1_30default_config_static_selectorELNS0_4arch9wavefront6targetE1EEEvT1_.kd
    .uniform_work_group_size: 1
    .uses_dynamic_stack: false
    .vgpr_count:     0
    .vgpr_spill_count: 0
    .wavefront_size: 64
  - .agpr_count:     0
    .args:
      - .offset:         0
        .size:           136
        .value_kind:     by_value
    .group_segment_fixed_size: 0
    .kernarg_segment_align: 8
    .kernarg_segment_size: 136
    .language:       OpenCL C
    .language_version:
      - 2
      - 0
    .max_flat_workgroup_size: 192
    .name:           _ZN7rocprim17ROCPRIM_400000_NS6detail17trampoline_kernelINS0_14default_configENS1_25partition_config_selectorILNS1_17partition_subalgoE3EjNS0_10empty_typeEbEEZZNS1_14partition_implILS5_3ELb0ES3_jN6thrust23THRUST_200600_302600_NS6detail15normal_iteratorINSA_7pointerIjNSA_11hip_rocprim3tagENSA_11use_defaultESG_EEEEPS6_SJ_NS0_5tupleIJPjSJ_EEENSK_IJSJ_SJ_EEES6_PlJ7is_evenIjEEEE10hipError_tPvRmT3_T4_T5_T6_T7_T9_mT8_P12ihipStream_tbDpT10_ENKUlT_T0_E_clISt17integral_constantIbLb0EES19_IbLb1EEEEDaS15_S16_EUlS15_E_NS1_11comp_targetILNS1_3genE2ELNS1_11target_archE906ELNS1_3gpuE6ELNS1_3repE0EEENS1_30default_config_static_selectorELNS0_4arch9wavefront6targetE1EEEvT1_
    .private_segment_fixed_size: 0
    .sgpr_count:     6
    .sgpr_spill_count: 0
    .symbol:         _ZN7rocprim17ROCPRIM_400000_NS6detail17trampoline_kernelINS0_14default_configENS1_25partition_config_selectorILNS1_17partition_subalgoE3EjNS0_10empty_typeEbEEZZNS1_14partition_implILS5_3ELb0ES3_jN6thrust23THRUST_200600_302600_NS6detail15normal_iteratorINSA_7pointerIjNSA_11hip_rocprim3tagENSA_11use_defaultESG_EEEEPS6_SJ_NS0_5tupleIJPjSJ_EEENSK_IJSJ_SJ_EEES6_PlJ7is_evenIjEEEE10hipError_tPvRmT3_T4_T5_T6_T7_T9_mT8_P12ihipStream_tbDpT10_ENKUlT_T0_E_clISt17integral_constantIbLb0EES19_IbLb1EEEEDaS15_S16_EUlS15_E_NS1_11comp_targetILNS1_3genE2ELNS1_11target_archE906ELNS1_3gpuE6ELNS1_3repE0EEENS1_30default_config_static_selectorELNS0_4arch9wavefront6targetE1EEEvT1_.kd
    .uniform_work_group_size: 1
    .uses_dynamic_stack: false
    .vgpr_count:     0
    .vgpr_spill_count: 0
    .wavefront_size: 64
  - .agpr_count:     0
    .args:
      - .offset:         0
        .size:           136
        .value_kind:     by_value
    .group_segment_fixed_size: 0
    .kernarg_segment_align: 8
    .kernarg_segment_size: 136
    .language:       OpenCL C
    .language_version:
      - 2
      - 0
    .max_flat_workgroup_size: 384
    .name:           _ZN7rocprim17ROCPRIM_400000_NS6detail17trampoline_kernelINS0_14default_configENS1_25partition_config_selectorILNS1_17partition_subalgoE3EjNS0_10empty_typeEbEEZZNS1_14partition_implILS5_3ELb0ES3_jN6thrust23THRUST_200600_302600_NS6detail15normal_iteratorINSA_7pointerIjNSA_11hip_rocprim3tagENSA_11use_defaultESG_EEEEPS6_SJ_NS0_5tupleIJPjSJ_EEENSK_IJSJ_SJ_EEES6_PlJ7is_evenIjEEEE10hipError_tPvRmT3_T4_T5_T6_T7_T9_mT8_P12ihipStream_tbDpT10_ENKUlT_T0_E_clISt17integral_constantIbLb0EES19_IbLb1EEEEDaS15_S16_EUlS15_E_NS1_11comp_targetILNS1_3genE10ELNS1_11target_archE1200ELNS1_3gpuE4ELNS1_3repE0EEENS1_30default_config_static_selectorELNS0_4arch9wavefront6targetE1EEEvT1_
    .private_segment_fixed_size: 0
    .sgpr_count:     6
    .sgpr_spill_count: 0
    .symbol:         _ZN7rocprim17ROCPRIM_400000_NS6detail17trampoline_kernelINS0_14default_configENS1_25partition_config_selectorILNS1_17partition_subalgoE3EjNS0_10empty_typeEbEEZZNS1_14partition_implILS5_3ELb0ES3_jN6thrust23THRUST_200600_302600_NS6detail15normal_iteratorINSA_7pointerIjNSA_11hip_rocprim3tagENSA_11use_defaultESG_EEEEPS6_SJ_NS0_5tupleIJPjSJ_EEENSK_IJSJ_SJ_EEES6_PlJ7is_evenIjEEEE10hipError_tPvRmT3_T4_T5_T6_T7_T9_mT8_P12ihipStream_tbDpT10_ENKUlT_T0_E_clISt17integral_constantIbLb0EES19_IbLb1EEEEDaS15_S16_EUlS15_E_NS1_11comp_targetILNS1_3genE10ELNS1_11target_archE1200ELNS1_3gpuE4ELNS1_3repE0EEENS1_30default_config_static_selectorELNS0_4arch9wavefront6targetE1EEEvT1_.kd
    .uniform_work_group_size: 1
    .uses_dynamic_stack: false
    .vgpr_count:     0
    .vgpr_spill_count: 0
    .wavefront_size: 64
  - .agpr_count:     0
    .args:
      - .offset:         0
        .size:           136
        .value_kind:     by_value
    .group_segment_fixed_size: 0
    .kernarg_segment_align: 8
    .kernarg_segment_size: 136
    .language:       OpenCL C
    .language_version:
      - 2
      - 0
    .max_flat_workgroup_size: 384
    .name:           _ZN7rocprim17ROCPRIM_400000_NS6detail17trampoline_kernelINS0_14default_configENS1_25partition_config_selectorILNS1_17partition_subalgoE3EjNS0_10empty_typeEbEEZZNS1_14partition_implILS5_3ELb0ES3_jN6thrust23THRUST_200600_302600_NS6detail15normal_iteratorINSA_7pointerIjNSA_11hip_rocprim3tagENSA_11use_defaultESG_EEEEPS6_SJ_NS0_5tupleIJPjSJ_EEENSK_IJSJ_SJ_EEES6_PlJ7is_evenIjEEEE10hipError_tPvRmT3_T4_T5_T6_T7_T9_mT8_P12ihipStream_tbDpT10_ENKUlT_T0_E_clISt17integral_constantIbLb0EES19_IbLb1EEEEDaS15_S16_EUlS15_E_NS1_11comp_targetILNS1_3genE9ELNS1_11target_archE1100ELNS1_3gpuE3ELNS1_3repE0EEENS1_30default_config_static_selectorELNS0_4arch9wavefront6targetE1EEEvT1_
    .private_segment_fixed_size: 0
    .sgpr_count:     6
    .sgpr_spill_count: 0
    .symbol:         _ZN7rocprim17ROCPRIM_400000_NS6detail17trampoline_kernelINS0_14default_configENS1_25partition_config_selectorILNS1_17partition_subalgoE3EjNS0_10empty_typeEbEEZZNS1_14partition_implILS5_3ELb0ES3_jN6thrust23THRUST_200600_302600_NS6detail15normal_iteratorINSA_7pointerIjNSA_11hip_rocprim3tagENSA_11use_defaultESG_EEEEPS6_SJ_NS0_5tupleIJPjSJ_EEENSK_IJSJ_SJ_EEES6_PlJ7is_evenIjEEEE10hipError_tPvRmT3_T4_T5_T6_T7_T9_mT8_P12ihipStream_tbDpT10_ENKUlT_T0_E_clISt17integral_constantIbLb0EES19_IbLb1EEEEDaS15_S16_EUlS15_E_NS1_11comp_targetILNS1_3genE9ELNS1_11target_archE1100ELNS1_3gpuE3ELNS1_3repE0EEENS1_30default_config_static_selectorELNS0_4arch9wavefront6targetE1EEEvT1_.kd
    .uniform_work_group_size: 1
    .uses_dynamic_stack: false
    .vgpr_count:     0
    .vgpr_spill_count: 0
    .wavefront_size: 64
  - .agpr_count:     0
    .args:
      - .offset:         0
        .size:           136
        .value_kind:     by_value
    .group_segment_fixed_size: 0
    .kernarg_segment_align: 8
    .kernarg_segment_size: 136
    .language:       OpenCL C
    .language_version:
      - 2
      - 0
    .max_flat_workgroup_size: 512
    .name:           _ZN7rocprim17ROCPRIM_400000_NS6detail17trampoline_kernelINS0_14default_configENS1_25partition_config_selectorILNS1_17partition_subalgoE3EjNS0_10empty_typeEbEEZZNS1_14partition_implILS5_3ELb0ES3_jN6thrust23THRUST_200600_302600_NS6detail15normal_iteratorINSA_7pointerIjNSA_11hip_rocprim3tagENSA_11use_defaultESG_EEEEPS6_SJ_NS0_5tupleIJPjSJ_EEENSK_IJSJ_SJ_EEES6_PlJ7is_evenIjEEEE10hipError_tPvRmT3_T4_T5_T6_T7_T9_mT8_P12ihipStream_tbDpT10_ENKUlT_T0_E_clISt17integral_constantIbLb0EES19_IbLb1EEEEDaS15_S16_EUlS15_E_NS1_11comp_targetILNS1_3genE8ELNS1_11target_archE1030ELNS1_3gpuE2ELNS1_3repE0EEENS1_30default_config_static_selectorELNS0_4arch9wavefront6targetE1EEEvT1_
    .private_segment_fixed_size: 0
    .sgpr_count:     6
    .sgpr_spill_count: 0
    .symbol:         _ZN7rocprim17ROCPRIM_400000_NS6detail17trampoline_kernelINS0_14default_configENS1_25partition_config_selectorILNS1_17partition_subalgoE3EjNS0_10empty_typeEbEEZZNS1_14partition_implILS5_3ELb0ES3_jN6thrust23THRUST_200600_302600_NS6detail15normal_iteratorINSA_7pointerIjNSA_11hip_rocprim3tagENSA_11use_defaultESG_EEEEPS6_SJ_NS0_5tupleIJPjSJ_EEENSK_IJSJ_SJ_EEES6_PlJ7is_evenIjEEEE10hipError_tPvRmT3_T4_T5_T6_T7_T9_mT8_P12ihipStream_tbDpT10_ENKUlT_T0_E_clISt17integral_constantIbLb0EES19_IbLb1EEEEDaS15_S16_EUlS15_E_NS1_11comp_targetILNS1_3genE8ELNS1_11target_archE1030ELNS1_3gpuE2ELNS1_3repE0EEENS1_30default_config_static_selectorELNS0_4arch9wavefront6targetE1EEEvT1_.kd
    .uniform_work_group_size: 1
    .uses_dynamic_stack: false
    .vgpr_count:     0
    .vgpr_spill_count: 0
    .wavefront_size: 64
  - .agpr_count:     0
    .args:
      - .offset:         0
        .size:           48
        .value_kind:     by_value
    .group_segment_fixed_size: 0
    .kernarg_segment_align: 8
    .kernarg_segment_size: 48
    .language:       OpenCL C
    .language_version:
      - 2
      - 0
    .max_flat_workgroup_size: 256
    .name:           _ZN7rocprim17ROCPRIM_400000_NS6detail17trampoline_kernelINS0_13kernel_configILj256ELj4ELj4294967295EEENS1_37radix_sort_block_sort_config_selectorIjNS0_10empty_typeEEEZNS1_21radix_sort_block_sortIS4_Lb0EN6thrust23THRUST_200600_302600_NS6detail15normal_iteratorINSA_10device_ptrIjEEEESF_PS6_SG_NS0_19identity_decomposerEEE10hipError_tT1_T2_T3_T4_jRjT5_jjP12ihipStream_tbEUlT_E_NS1_11comp_targetILNS1_3genE0ELNS1_11target_archE4294967295ELNS1_3gpuE0ELNS1_3repE0EEENS1_44radix_sort_block_sort_config_static_selectorELNS0_4arch9wavefront6targetE1EEEvSJ_
    .private_segment_fixed_size: 0
    .sgpr_count:     6
    .sgpr_spill_count: 0
    .symbol:         _ZN7rocprim17ROCPRIM_400000_NS6detail17trampoline_kernelINS0_13kernel_configILj256ELj4ELj4294967295EEENS1_37radix_sort_block_sort_config_selectorIjNS0_10empty_typeEEEZNS1_21radix_sort_block_sortIS4_Lb0EN6thrust23THRUST_200600_302600_NS6detail15normal_iteratorINSA_10device_ptrIjEEEESF_PS6_SG_NS0_19identity_decomposerEEE10hipError_tT1_T2_T3_T4_jRjT5_jjP12ihipStream_tbEUlT_E_NS1_11comp_targetILNS1_3genE0ELNS1_11target_archE4294967295ELNS1_3gpuE0ELNS1_3repE0EEENS1_44radix_sort_block_sort_config_static_selectorELNS0_4arch9wavefront6targetE1EEEvSJ_.kd
    .uniform_work_group_size: 1
    .uses_dynamic_stack: false
    .vgpr_count:     0
    .vgpr_spill_count: 0
    .wavefront_size: 64
  - .agpr_count:     0
    .args:
      - .offset:         0
        .size:           48
        .value_kind:     by_value
      - .offset:         48
        .size:           4
        .value_kind:     hidden_block_count_x
      - .offset:         52
        .size:           4
        .value_kind:     hidden_block_count_y
      - .offset:         56
        .size:           4
        .value_kind:     hidden_block_count_z
      - .offset:         60
        .size:           2
        .value_kind:     hidden_group_size_x
      - .offset:         62
        .size:           2
        .value_kind:     hidden_group_size_y
      - .offset:         64
        .size:           2
        .value_kind:     hidden_group_size_z
      - .offset:         66
        .size:           2
        .value_kind:     hidden_remainder_x
      - .offset:         68
        .size:           2
        .value_kind:     hidden_remainder_y
      - .offset:         70
        .size:           2
        .value_kind:     hidden_remainder_z
      - .offset:         88
        .size:           8
        .value_kind:     hidden_global_offset_x
      - .offset:         96
        .size:           8
        .value_kind:     hidden_global_offset_y
      - .offset:         104
        .size:           8
        .value_kind:     hidden_global_offset_z
      - .offset:         112
        .size:           2
        .value_kind:     hidden_grid_dims
    .group_segment_fixed_size: 4112
    .kernarg_segment_align: 8
    .kernarg_segment_size: 304
    .language:       OpenCL C
    .language_version:
      - 2
      - 0
    .max_flat_workgroup_size: 256
    .name:           _ZN7rocprim17ROCPRIM_400000_NS6detail17trampoline_kernelINS0_13kernel_configILj256ELj4ELj4294967295EEENS1_37radix_sort_block_sort_config_selectorIjNS0_10empty_typeEEEZNS1_21radix_sort_block_sortIS4_Lb0EN6thrust23THRUST_200600_302600_NS6detail15normal_iteratorINSA_10device_ptrIjEEEESF_PS6_SG_NS0_19identity_decomposerEEE10hipError_tT1_T2_T3_T4_jRjT5_jjP12ihipStream_tbEUlT_E_NS1_11comp_targetILNS1_3genE5ELNS1_11target_archE942ELNS1_3gpuE9ELNS1_3repE0EEENS1_44radix_sort_block_sort_config_static_selectorELNS0_4arch9wavefront6targetE1EEEvSJ_
    .private_segment_fixed_size: 0
    .sgpr_count:     50
    .sgpr_spill_count: 0
    .symbol:         _ZN7rocprim17ROCPRIM_400000_NS6detail17trampoline_kernelINS0_13kernel_configILj256ELj4ELj4294967295EEENS1_37radix_sort_block_sort_config_selectorIjNS0_10empty_typeEEEZNS1_21radix_sort_block_sortIS4_Lb0EN6thrust23THRUST_200600_302600_NS6detail15normal_iteratorINSA_10device_ptrIjEEEESF_PS6_SG_NS0_19identity_decomposerEEE10hipError_tT1_T2_T3_T4_jRjT5_jjP12ihipStream_tbEUlT_E_NS1_11comp_targetILNS1_3genE5ELNS1_11target_archE942ELNS1_3gpuE9ELNS1_3repE0EEENS1_44radix_sort_block_sort_config_static_selectorELNS0_4arch9wavefront6targetE1EEEvSJ_.kd
    .uniform_work_group_size: 1
    .uses_dynamic_stack: false
    .vgpr_count:     39
    .vgpr_spill_count: 0
    .wavefront_size: 64
  - .agpr_count:     0
    .args:
      - .offset:         0
        .size:           48
        .value_kind:     by_value
    .group_segment_fixed_size: 0
    .kernarg_segment_align: 8
    .kernarg_segment_size: 48
    .language:       OpenCL C
    .language_version:
      - 2
      - 0
    .max_flat_workgroup_size: 256
    .name:           _ZN7rocprim17ROCPRIM_400000_NS6detail17trampoline_kernelINS0_13kernel_configILj256ELj4ELj4294967295EEENS1_37radix_sort_block_sort_config_selectorIjNS0_10empty_typeEEEZNS1_21radix_sort_block_sortIS4_Lb0EN6thrust23THRUST_200600_302600_NS6detail15normal_iteratorINSA_10device_ptrIjEEEESF_PS6_SG_NS0_19identity_decomposerEEE10hipError_tT1_T2_T3_T4_jRjT5_jjP12ihipStream_tbEUlT_E_NS1_11comp_targetILNS1_3genE4ELNS1_11target_archE910ELNS1_3gpuE8ELNS1_3repE0EEENS1_44radix_sort_block_sort_config_static_selectorELNS0_4arch9wavefront6targetE1EEEvSJ_
    .private_segment_fixed_size: 0
    .sgpr_count:     6
    .sgpr_spill_count: 0
    .symbol:         _ZN7rocprim17ROCPRIM_400000_NS6detail17trampoline_kernelINS0_13kernel_configILj256ELj4ELj4294967295EEENS1_37radix_sort_block_sort_config_selectorIjNS0_10empty_typeEEEZNS1_21radix_sort_block_sortIS4_Lb0EN6thrust23THRUST_200600_302600_NS6detail15normal_iteratorINSA_10device_ptrIjEEEESF_PS6_SG_NS0_19identity_decomposerEEE10hipError_tT1_T2_T3_T4_jRjT5_jjP12ihipStream_tbEUlT_E_NS1_11comp_targetILNS1_3genE4ELNS1_11target_archE910ELNS1_3gpuE8ELNS1_3repE0EEENS1_44radix_sort_block_sort_config_static_selectorELNS0_4arch9wavefront6targetE1EEEvSJ_.kd
    .uniform_work_group_size: 1
    .uses_dynamic_stack: false
    .vgpr_count:     0
    .vgpr_spill_count: 0
    .wavefront_size: 64
  - .agpr_count:     0
    .args:
      - .offset:         0
        .size:           48
        .value_kind:     by_value
    .group_segment_fixed_size: 0
    .kernarg_segment_align: 8
    .kernarg_segment_size: 48
    .language:       OpenCL C
    .language_version:
      - 2
      - 0
    .max_flat_workgroup_size: 256
    .name:           _ZN7rocprim17ROCPRIM_400000_NS6detail17trampoline_kernelINS0_13kernel_configILj256ELj4ELj4294967295EEENS1_37radix_sort_block_sort_config_selectorIjNS0_10empty_typeEEEZNS1_21radix_sort_block_sortIS4_Lb0EN6thrust23THRUST_200600_302600_NS6detail15normal_iteratorINSA_10device_ptrIjEEEESF_PS6_SG_NS0_19identity_decomposerEEE10hipError_tT1_T2_T3_T4_jRjT5_jjP12ihipStream_tbEUlT_E_NS1_11comp_targetILNS1_3genE3ELNS1_11target_archE908ELNS1_3gpuE7ELNS1_3repE0EEENS1_44radix_sort_block_sort_config_static_selectorELNS0_4arch9wavefront6targetE1EEEvSJ_
    .private_segment_fixed_size: 0
    .sgpr_count:     6
    .sgpr_spill_count: 0
    .symbol:         _ZN7rocprim17ROCPRIM_400000_NS6detail17trampoline_kernelINS0_13kernel_configILj256ELj4ELj4294967295EEENS1_37radix_sort_block_sort_config_selectorIjNS0_10empty_typeEEEZNS1_21radix_sort_block_sortIS4_Lb0EN6thrust23THRUST_200600_302600_NS6detail15normal_iteratorINSA_10device_ptrIjEEEESF_PS6_SG_NS0_19identity_decomposerEEE10hipError_tT1_T2_T3_T4_jRjT5_jjP12ihipStream_tbEUlT_E_NS1_11comp_targetILNS1_3genE3ELNS1_11target_archE908ELNS1_3gpuE7ELNS1_3repE0EEENS1_44radix_sort_block_sort_config_static_selectorELNS0_4arch9wavefront6targetE1EEEvSJ_.kd
    .uniform_work_group_size: 1
    .uses_dynamic_stack: false
    .vgpr_count:     0
    .vgpr_spill_count: 0
    .wavefront_size: 64
  - .agpr_count:     0
    .args:
      - .offset:         0
        .size:           48
        .value_kind:     by_value
    .group_segment_fixed_size: 0
    .kernarg_segment_align: 8
    .kernarg_segment_size: 48
    .language:       OpenCL C
    .language_version:
      - 2
      - 0
    .max_flat_workgroup_size: 256
    .name:           _ZN7rocprim17ROCPRIM_400000_NS6detail17trampoline_kernelINS0_13kernel_configILj256ELj4ELj4294967295EEENS1_37radix_sort_block_sort_config_selectorIjNS0_10empty_typeEEEZNS1_21radix_sort_block_sortIS4_Lb0EN6thrust23THRUST_200600_302600_NS6detail15normal_iteratorINSA_10device_ptrIjEEEESF_PS6_SG_NS0_19identity_decomposerEEE10hipError_tT1_T2_T3_T4_jRjT5_jjP12ihipStream_tbEUlT_E_NS1_11comp_targetILNS1_3genE2ELNS1_11target_archE906ELNS1_3gpuE6ELNS1_3repE0EEENS1_44radix_sort_block_sort_config_static_selectorELNS0_4arch9wavefront6targetE1EEEvSJ_
    .private_segment_fixed_size: 0
    .sgpr_count:     6
    .sgpr_spill_count: 0
    .symbol:         _ZN7rocprim17ROCPRIM_400000_NS6detail17trampoline_kernelINS0_13kernel_configILj256ELj4ELj4294967295EEENS1_37radix_sort_block_sort_config_selectorIjNS0_10empty_typeEEEZNS1_21radix_sort_block_sortIS4_Lb0EN6thrust23THRUST_200600_302600_NS6detail15normal_iteratorINSA_10device_ptrIjEEEESF_PS6_SG_NS0_19identity_decomposerEEE10hipError_tT1_T2_T3_T4_jRjT5_jjP12ihipStream_tbEUlT_E_NS1_11comp_targetILNS1_3genE2ELNS1_11target_archE906ELNS1_3gpuE6ELNS1_3repE0EEENS1_44radix_sort_block_sort_config_static_selectorELNS0_4arch9wavefront6targetE1EEEvSJ_.kd
    .uniform_work_group_size: 1
    .uses_dynamic_stack: false
    .vgpr_count:     0
    .vgpr_spill_count: 0
    .wavefront_size: 64
  - .agpr_count:     0
    .args:
      - .offset:         0
        .size:           48
        .value_kind:     by_value
    .group_segment_fixed_size: 0
    .kernarg_segment_align: 8
    .kernarg_segment_size: 48
    .language:       OpenCL C
    .language_version:
      - 2
      - 0
    .max_flat_workgroup_size: 256
    .name:           _ZN7rocprim17ROCPRIM_400000_NS6detail17trampoline_kernelINS0_13kernel_configILj256ELj4ELj4294967295EEENS1_37radix_sort_block_sort_config_selectorIjNS0_10empty_typeEEEZNS1_21radix_sort_block_sortIS4_Lb0EN6thrust23THRUST_200600_302600_NS6detail15normal_iteratorINSA_10device_ptrIjEEEESF_PS6_SG_NS0_19identity_decomposerEEE10hipError_tT1_T2_T3_T4_jRjT5_jjP12ihipStream_tbEUlT_E_NS1_11comp_targetILNS1_3genE10ELNS1_11target_archE1201ELNS1_3gpuE5ELNS1_3repE0EEENS1_44radix_sort_block_sort_config_static_selectorELNS0_4arch9wavefront6targetE1EEEvSJ_
    .private_segment_fixed_size: 0
    .sgpr_count:     6
    .sgpr_spill_count: 0
    .symbol:         _ZN7rocprim17ROCPRIM_400000_NS6detail17trampoline_kernelINS0_13kernel_configILj256ELj4ELj4294967295EEENS1_37radix_sort_block_sort_config_selectorIjNS0_10empty_typeEEEZNS1_21radix_sort_block_sortIS4_Lb0EN6thrust23THRUST_200600_302600_NS6detail15normal_iteratorINSA_10device_ptrIjEEEESF_PS6_SG_NS0_19identity_decomposerEEE10hipError_tT1_T2_T3_T4_jRjT5_jjP12ihipStream_tbEUlT_E_NS1_11comp_targetILNS1_3genE10ELNS1_11target_archE1201ELNS1_3gpuE5ELNS1_3repE0EEENS1_44radix_sort_block_sort_config_static_selectorELNS0_4arch9wavefront6targetE1EEEvSJ_.kd
    .uniform_work_group_size: 1
    .uses_dynamic_stack: false
    .vgpr_count:     0
    .vgpr_spill_count: 0
    .wavefront_size: 64
  - .agpr_count:     0
    .args:
      - .offset:         0
        .size:           48
        .value_kind:     by_value
    .group_segment_fixed_size: 0
    .kernarg_segment_align: 8
    .kernarg_segment_size: 48
    .language:       OpenCL C
    .language_version:
      - 2
      - 0
    .max_flat_workgroup_size: 256
    .name:           _ZN7rocprim17ROCPRIM_400000_NS6detail17trampoline_kernelINS0_13kernel_configILj256ELj4ELj4294967295EEENS1_37radix_sort_block_sort_config_selectorIjNS0_10empty_typeEEEZNS1_21radix_sort_block_sortIS4_Lb0EN6thrust23THRUST_200600_302600_NS6detail15normal_iteratorINSA_10device_ptrIjEEEESF_PS6_SG_NS0_19identity_decomposerEEE10hipError_tT1_T2_T3_T4_jRjT5_jjP12ihipStream_tbEUlT_E_NS1_11comp_targetILNS1_3genE10ELNS1_11target_archE1200ELNS1_3gpuE4ELNS1_3repE0EEENS1_44radix_sort_block_sort_config_static_selectorELNS0_4arch9wavefront6targetE1EEEvSJ_
    .private_segment_fixed_size: 0
    .sgpr_count:     6
    .sgpr_spill_count: 0
    .symbol:         _ZN7rocprim17ROCPRIM_400000_NS6detail17trampoline_kernelINS0_13kernel_configILj256ELj4ELj4294967295EEENS1_37radix_sort_block_sort_config_selectorIjNS0_10empty_typeEEEZNS1_21radix_sort_block_sortIS4_Lb0EN6thrust23THRUST_200600_302600_NS6detail15normal_iteratorINSA_10device_ptrIjEEEESF_PS6_SG_NS0_19identity_decomposerEEE10hipError_tT1_T2_T3_T4_jRjT5_jjP12ihipStream_tbEUlT_E_NS1_11comp_targetILNS1_3genE10ELNS1_11target_archE1200ELNS1_3gpuE4ELNS1_3repE0EEENS1_44radix_sort_block_sort_config_static_selectorELNS0_4arch9wavefront6targetE1EEEvSJ_.kd
    .uniform_work_group_size: 1
    .uses_dynamic_stack: false
    .vgpr_count:     0
    .vgpr_spill_count: 0
    .wavefront_size: 64
  - .agpr_count:     0
    .args:
      - .offset:         0
        .size:           48
        .value_kind:     by_value
    .group_segment_fixed_size: 0
    .kernarg_segment_align: 8
    .kernarg_segment_size: 48
    .language:       OpenCL C
    .language_version:
      - 2
      - 0
    .max_flat_workgroup_size: 256
    .name:           _ZN7rocprim17ROCPRIM_400000_NS6detail17trampoline_kernelINS0_13kernel_configILj256ELj4ELj4294967295EEENS1_37radix_sort_block_sort_config_selectorIjNS0_10empty_typeEEEZNS1_21radix_sort_block_sortIS4_Lb0EN6thrust23THRUST_200600_302600_NS6detail15normal_iteratorINSA_10device_ptrIjEEEESF_PS6_SG_NS0_19identity_decomposerEEE10hipError_tT1_T2_T3_T4_jRjT5_jjP12ihipStream_tbEUlT_E_NS1_11comp_targetILNS1_3genE9ELNS1_11target_archE1100ELNS1_3gpuE3ELNS1_3repE0EEENS1_44radix_sort_block_sort_config_static_selectorELNS0_4arch9wavefront6targetE1EEEvSJ_
    .private_segment_fixed_size: 0
    .sgpr_count:     6
    .sgpr_spill_count: 0
    .symbol:         _ZN7rocprim17ROCPRIM_400000_NS6detail17trampoline_kernelINS0_13kernel_configILj256ELj4ELj4294967295EEENS1_37radix_sort_block_sort_config_selectorIjNS0_10empty_typeEEEZNS1_21radix_sort_block_sortIS4_Lb0EN6thrust23THRUST_200600_302600_NS6detail15normal_iteratorINSA_10device_ptrIjEEEESF_PS6_SG_NS0_19identity_decomposerEEE10hipError_tT1_T2_T3_T4_jRjT5_jjP12ihipStream_tbEUlT_E_NS1_11comp_targetILNS1_3genE9ELNS1_11target_archE1100ELNS1_3gpuE3ELNS1_3repE0EEENS1_44radix_sort_block_sort_config_static_selectorELNS0_4arch9wavefront6targetE1EEEvSJ_.kd
    .uniform_work_group_size: 1
    .uses_dynamic_stack: false
    .vgpr_count:     0
    .vgpr_spill_count: 0
    .wavefront_size: 64
  - .agpr_count:     0
    .args:
      - .offset:         0
        .size:           48
        .value_kind:     by_value
    .group_segment_fixed_size: 0
    .kernarg_segment_align: 8
    .kernarg_segment_size: 48
    .language:       OpenCL C
    .language_version:
      - 2
      - 0
    .max_flat_workgroup_size: 256
    .name:           _ZN7rocprim17ROCPRIM_400000_NS6detail17trampoline_kernelINS0_13kernel_configILj256ELj4ELj4294967295EEENS1_37radix_sort_block_sort_config_selectorIjNS0_10empty_typeEEEZNS1_21radix_sort_block_sortIS4_Lb0EN6thrust23THRUST_200600_302600_NS6detail15normal_iteratorINSA_10device_ptrIjEEEESF_PS6_SG_NS0_19identity_decomposerEEE10hipError_tT1_T2_T3_T4_jRjT5_jjP12ihipStream_tbEUlT_E_NS1_11comp_targetILNS1_3genE8ELNS1_11target_archE1030ELNS1_3gpuE2ELNS1_3repE0EEENS1_44radix_sort_block_sort_config_static_selectorELNS0_4arch9wavefront6targetE1EEEvSJ_
    .private_segment_fixed_size: 0
    .sgpr_count:     6
    .sgpr_spill_count: 0
    .symbol:         _ZN7rocprim17ROCPRIM_400000_NS6detail17trampoline_kernelINS0_13kernel_configILj256ELj4ELj4294967295EEENS1_37radix_sort_block_sort_config_selectorIjNS0_10empty_typeEEEZNS1_21radix_sort_block_sortIS4_Lb0EN6thrust23THRUST_200600_302600_NS6detail15normal_iteratorINSA_10device_ptrIjEEEESF_PS6_SG_NS0_19identity_decomposerEEE10hipError_tT1_T2_T3_T4_jRjT5_jjP12ihipStream_tbEUlT_E_NS1_11comp_targetILNS1_3genE8ELNS1_11target_archE1030ELNS1_3gpuE2ELNS1_3repE0EEENS1_44radix_sort_block_sort_config_static_selectorELNS0_4arch9wavefront6targetE1EEEvSJ_.kd
    .uniform_work_group_size: 1
    .uses_dynamic_stack: false
    .vgpr_count:     0
    .vgpr_spill_count: 0
    .wavefront_size: 64
  - .agpr_count:     0
    .args:           []
    .group_segment_fixed_size: 0
    .kernarg_segment_align: 4
    .kernarg_segment_size: 0
    .language:       OpenCL C
    .language_version:
      - 2
      - 0
    .max_flat_workgroup_size: 1024
    .name:           _ZN7rocprim17ROCPRIM_400000_NS6detail44device_merge_sort_compile_time_verifier_archINS1_11comp_targetILNS1_3genE0ELNS1_11target_archE4294967295ELNS1_3gpuE0ELNS1_3repE0EEES8_NS1_28merge_sort_block_sort_configILj256ELj4ELNS0_20block_sort_algorithmE0EEENS0_14default_configENS1_37merge_sort_block_sort_config_selectorIjNS0_10empty_typeEEENS1_38merge_sort_block_merge_config_selectorIjSE_EEEEvv
    .private_segment_fixed_size: 0
    .sgpr_count:     6
    .sgpr_spill_count: 0
    .symbol:         _ZN7rocprim17ROCPRIM_400000_NS6detail44device_merge_sort_compile_time_verifier_archINS1_11comp_targetILNS1_3genE0ELNS1_11target_archE4294967295ELNS1_3gpuE0ELNS1_3repE0EEES8_NS1_28merge_sort_block_sort_configILj256ELj4ELNS0_20block_sort_algorithmE0EEENS0_14default_configENS1_37merge_sort_block_sort_config_selectorIjNS0_10empty_typeEEENS1_38merge_sort_block_merge_config_selectorIjSE_EEEEvv.kd
    .uniform_work_group_size: 1
    .uses_dynamic_stack: false
    .vgpr_count:     0
    .vgpr_spill_count: 0
    .wavefront_size: 64
  - .agpr_count:     0
    .args:           []
    .group_segment_fixed_size: 0
    .kernarg_segment_align: 4
    .kernarg_segment_size: 0
    .language:       OpenCL C
    .language_version:
      - 2
      - 0
    .max_flat_workgroup_size: 1024
    .name:           _ZN7rocprim17ROCPRIM_400000_NS6detail44device_merge_sort_compile_time_verifier_archINS1_11comp_targetILNS1_3genE5ELNS1_11target_archE942ELNS1_3gpuE9ELNS1_3repE0EEES8_NS1_28merge_sort_block_sort_configILj256ELj4ELNS0_20block_sort_algorithmE0EEENS0_14default_configENS1_37merge_sort_block_sort_config_selectorIjNS0_10empty_typeEEENS1_38merge_sort_block_merge_config_selectorIjSE_EEEEvv
    .private_segment_fixed_size: 0
    .sgpr_count:     6
    .sgpr_spill_count: 0
    .symbol:         _ZN7rocprim17ROCPRIM_400000_NS6detail44device_merge_sort_compile_time_verifier_archINS1_11comp_targetILNS1_3genE5ELNS1_11target_archE942ELNS1_3gpuE9ELNS1_3repE0EEES8_NS1_28merge_sort_block_sort_configILj256ELj4ELNS0_20block_sort_algorithmE0EEENS0_14default_configENS1_37merge_sort_block_sort_config_selectorIjNS0_10empty_typeEEENS1_38merge_sort_block_merge_config_selectorIjSE_EEEEvv.kd
    .uniform_work_group_size: 1
    .uses_dynamic_stack: false
    .vgpr_count:     0
    .vgpr_spill_count: 0
    .wavefront_size: 64
  - .agpr_count:     0
    .args:           []
    .group_segment_fixed_size: 0
    .kernarg_segment_align: 4
    .kernarg_segment_size: 0
    .language:       OpenCL C
    .language_version:
      - 2
      - 0
    .max_flat_workgroup_size: 1024
    .name:           _ZN7rocprim17ROCPRIM_400000_NS6detail44device_merge_sort_compile_time_verifier_archINS1_11comp_targetILNS1_3genE4ELNS1_11target_archE910ELNS1_3gpuE8ELNS1_3repE0EEES8_NS1_28merge_sort_block_sort_configILj256ELj4ELNS0_20block_sort_algorithmE0EEENS0_14default_configENS1_37merge_sort_block_sort_config_selectorIjNS0_10empty_typeEEENS1_38merge_sort_block_merge_config_selectorIjSE_EEEEvv
    .private_segment_fixed_size: 0
    .sgpr_count:     6
    .sgpr_spill_count: 0
    .symbol:         _ZN7rocprim17ROCPRIM_400000_NS6detail44device_merge_sort_compile_time_verifier_archINS1_11comp_targetILNS1_3genE4ELNS1_11target_archE910ELNS1_3gpuE8ELNS1_3repE0EEES8_NS1_28merge_sort_block_sort_configILj256ELj4ELNS0_20block_sort_algorithmE0EEENS0_14default_configENS1_37merge_sort_block_sort_config_selectorIjNS0_10empty_typeEEENS1_38merge_sort_block_merge_config_selectorIjSE_EEEEvv.kd
    .uniform_work_group_size: 1
    .uses_dynamic_stack: false
    .vgpr_count:     0
    .vgpr_spill_count: 0
    .wavefront_size: 64
  - .agpr_count:     0
    .args:           []
    .group_segment_fixed_size: 0
    .kernarg_segment_align: 4
    .kernarg_segment_size: 0
    .language:       OpenCL C
    .language_version:
      - 2
      - 0
    .max_flat_workgroup_size: 1024
    .name:           _ZN7rocprim17ROCPRIM_400000_NS6detail44device_merge_sort_compile_time_verifier_archINS1_11comp_targetILNS1_3genE3ELNS1_11target_archE908ELNS1_3gpuE7ELNS1_3repE0EEES8_NS1_28merge_sort_block_sort_configILj256ELj4ELNS0_20block_sort_algorithmE0EEENS0_14default_configENS1_37merge_sort_block_sort_config_selectorIjNS0_10empty_typeEEENS1_38merge_sort_block_merge_config_selectorIjSE_EEEEvv
    .private_segment_fixed_size: 0
    .sgpr_count:     6
    .sgpr_spill_count: 0
    .symbol:         _ZN7rocprim17ROCPRIM_400000_NS6detail44device_merge_sort_compile_time_verifier_archINS1_11comp_targetILNS1_3genE3ELNS1_11target_archE908ELNS1_3gpuE7ELNS1_3repE0EEES8_NS1_28merge_sort_block_sort_configILj256ELj4ELNS0_20block_sort_algorithmE0EEENS0_14default_configENS1_37merge_sort_block_sort_config_selectorIjNS0_10empty_typeEEENS1_38merge_sort_block_merge_config_selectorIjSE_EEEEvv.kd
    .uniform_work_group_size: 1
    .uses_dynamic_stack: false
    .vgpr_count:     0
    .vgpr_spill_count: 0
    .wavefront_size: 64
  - .agpr_count:     0
    .args:           []
    .group_segment_fixed_size: 0
    .kernarg_segment_align: 4
    .kernarg_segment_size: 0
    .language:       OpenCL C
    .language_version:
      - 2
      - 0
    .max_flat_workgroup_size: 1024
    .name:           _ZN7rocprim17ROCPRIM_400000_NS6detail44device_merge_sort_compile_time_verifier_archINS1_11comp_targetILNS1_3genE2ELNS1_11target_archE906ELNS1_3gpuE6ELNS1_3repE0EEES8_NS1_28merge_sort_block_sort_configILj256ELj4ELNS0_20block_sort_algorithmE0EEENS0_14default_configENS1_37merge_sort_block_sort_config_selectorIjNS0_10empty_typeEEENS1_38merge_sort_block_merge_config_selectorIjSE_EEEEvv
    .private_segment_fixed_size: 0
    .sgpr_count:     6
    .sgpr_spill_count: 0
    .symbol:         _ZN7rocprim17ROCPRIM_400000_NS6detail44device_merge_sort_compile_time_verifier_archINS1_11comp_targetILNS1_3genE2ELNS1_11target_archE906ELNS1_3gpuE6ELNS1_3repE0EEES8_NS1_28merge_sort_block_sort_configILj256ELj4ELNS0_20block_sort_algorithmE0EEENS0_14default_configENS1_37merge_sort_block_sort_config_selectorIjNS0_10empty_typeEEENS1_38merge_sort_block_merge_config_selectorIjSE_EEEEvv.kd
    .uniform_work_group_size: 1
    .uses_dynamic_stack: false
    .vgpr_count:     0
    .vgpr_spill_count: 0
    .wavefront_size: 64
  - .agpr_count:     0
    .args:           []
    .group_segment_fixed_size: 0
    .kernarg_segment_align: 4
    .kernarg_segment_size: 0
    .language:       OpenCL C
    .language_version:
      - 2
      - 0
    .max_flat_workgroup_size: 1024
    .name:           _ZN7rocprim17ROCPRIM_400000_NS6detail44device_merge_sort_compile_time_verifier_archINS1_11comp_targetILNS1_3genE10ELNS1_11target_archE1201ELNS1_3gpuE5ELNS1_3repE0EEES8_NS1_28merge_sort_block_sort_configILj256ELj4ELNS0_20block_sort_algorithmE0EEENS0_14default_configENS1_37merge_sort_block_sort_config_selectorIjNS0_10empty_typeEEENS1_38merge_sort_block_merge_config_selectorIjSE_EEEEvv
    .private_segment_fixed_size: 0
    .sgpr_count:     6
    .sgpr_spill_count: 0
    .symbol:         _ZN7rocprim17ROCPRIM_400000_NS6detail44device_merge_sort_compile_time_verifier_archINS1_11comp_targetILNS1_3genE10ELNS1_11target_archE1201ELNS1_3gpuE5ELNS1_3repE0EEES8_NS1_28merge_sort_block_sort_configILj256ELj4ELNS0_20block_sort_algorithmE0EEENS0_14default_configENS1_37merge_sort_block_sort_config_selectorIjNS0_10empty_typeEEENS1_38merge_sort_block_merge_config_selectorIjSE_EEEEvv.kd
    .uniform_work_group_size: 1
    .uses_dynamic_stack: false
    .vgpr_count:     0
    .vgpr_spill_count: 0
    .wavefront_size: 64
  - .agpr_count:     0
    .args:           []
    .group_segment_fixed_size: 0
    .kernarg_segment_align: 4
    .kernarg_segment_size: 0
    .language:       OpenCL C
    .language_version:
      - 2
      - 0
    .max_flat_workgroup_size: 1024
    .name:           _ZN7rocprim17ROCPRIM_400000_NS6detail44device_merge_sort_compile_time_verifier_archINS1_11comp_targetILNS1_3genE10ELNS1_11target_archE1200ELNS1_3gpuE4ELNS1_3repE0EEENS3_ILS4_10ELS5_1201ELS6_5ELS7_0EEENS1_28merge_sort_block_sort_configILj256ELj4ELNS0_20block_sort_algorithmE0EEENS0_14default_configENS1_37merge_sort_block_sort_config_selectorIjNS0_10empty_typeEEENS1_38merge_sort_block_merge_config_selectorIjSF_EEEEvv
    .private_segment_fixed_size: 0
    .sgpr_count:     6
    .sgpr_spill_count: 0
    .symbol:         _ZN7rocprim17ROCPRIM_400000_NS6detail44device_merge_sort_compile_time_verifier_archINS1_11comp_targetILNS1_3genE10ELNS1_11target_archE1200ELNS1_3gpuE4ELNS1_3repE0EEENS3_ILS4_10ELS5_1201ELS6_5ELS7_0EEENS1_28merge_sort_block_sort_configILj256ELj4ELNS0_20block_sort_algorithmE0EEENS0_14default_configENS1_37merge_sort_block_sort_config_selectorIjNS0_10empty_typeEEENS1_38merge_sort_block_merge_config_selectorIjSF_EEEEvv.kd
    .uniform_work_group_size: 1
    .uses_dynamic_stack: false
    .vgpr_count:     0
    .vgpr_spill_count: 0
    .wavefront_size: 64
  - .agpr_count:     0
    .args:           []
    .group_segment_fixed_size: 0
    .kernarg_segment_align: 4
    .kernarg_segment_size: 0
    .language:       OpenCL C
    .language_version:
      - 2
      - 0
    .max_flat_workgroup_size: 1024
    .name:           _ZN7rocprim17ROCPRIM_400000_NS6detail44device_merge_sort_compile_time_verifier_archINS1_11comp_targetILNS1_3genE9ELNS1_11target_archE1100ELNS1_3gpuE3ELNS1_3repE0EEES8_NS1_28merge_sort_block_sort_configILj256ELj4ELNS0_20block_sort_algorithmE0EEENS0_14default_configENS1_37merge_sort_block_sort_config_selectorIjNS0_10empty_typeEEENS1_38merge_sort_block_merge_config_selectorIjSE_EEEEvv
    .private_segment_fixed_size: 0
    .sgpr_count:     6
    .sgpr_spill_count: 0
    .symbol:         _ZN7rocprim17ROCPRIM_400000_NS6detail44device_merge_sort_compile_time_verifier_archINS1_11comp_targetILNS1_3genE9ELNS1_11target_archE1100ELNS1_3gpuE3ELNS1_3repE0EEES8_NS1_28merge_sort_block_sort_configILj256ELj4ELNS0_20block_sort_algorithmE0EEENS0_14default_configENS1_37merge_sort_block_sort_config_selectorIjNS0_10empty_typeEEENS1_38merge_sort_block_merge_config_selectorIjSE_EEEEvv.kd
    .uniform_work_group_size: 1
    .uses_dynamic_stack: false
    .vgpr_count:     0
    .vgpr_spill_count: 0
    .wavefront_size: 64
  - .agpr_count:     0
    .args:           []
    .group_segment_fixed_size: 0
    .kernarg_segment_align: 4
    .kernarg_segment_size: 0
    .language:       OpenCL C
    .language_version:
      - 2
      - 0
    .max_flat_workgroup_size: 1024
    .name:           _ZN7rocprim17ROCPRIM_400000_NS6detail44device_merge_sort_compile_time_verifier_archINS1_11comp_targetILNS1_3genE8ELNS1_11target_archE1030ELNS1_3gpuE2ELNS1_3repE0EEES8_NS1_28merge_sort_block_sort_configILj256ELj4ELNS0_20block_sort_algorithmE0EEENS0_14default_configENS1_37merge_sort_block_sort_config_selectorIjNS0_10empty_typeEEENS1_38merge_sort_block_merge_config_selectorIjSE_EEEEvv
    .private_segment_fixed_size: 0
    .sgpr_count:     6
    .sgpr_spill_count: 0
    .symbol:         _ZN7rocprim17ROCPRIM_400000_NS6detail44device_merge_sort_compile_time_verifier_archINS1_11comp_targetILNS1_3genE8ELNS1_11target_archE1030ELNS1_3gpuE2ELNS1_3repE0EEES8_NS1_28merge_sort_block_sort_configILj256ELj4ELNS0_20block_sort_algorithmE0EEENS0_14default_configENS1_37merge_sort_block_sort_config_selectorIjNS0_10empty_typeEEENS1_38merge_sort_block_merge_config_selectorIjSE_EEEEvv.kd
    .uniform_work_group_size: 1
    .uses_dynamic_stack: false
    .vgpr_count:     0
    .vgpr_spill_count: 0
    .wavefront_size: 64
  - .agpr_count:     0
    .args:
      - .offset:         0
        .size:           40
        .value_kind:     by_value
    .group_segment_fixed_size: 0
    .kernarg_segment_align: 8
    .kernarg_segment_size: 40
    .language:       OpenCL C
    .language_version:
      - 2
      - 0
    .max_flat_workgroup_size: 128
    .name:           _ZN7rocprim17ROCPRIM_400000_NS6detail17trampoline_kernelINS0_14default_configENS1_38merge_sort_block_merge_config_selectorIjNS0_10empty_typeEEEZZNS1_27merge_sort_block_merge_implIS3_N6thrust23THRUST_200600_302600_NS6detail15normal_iteratorINS9_10device_ptrIjEEEEPS5_jNS1_19radix_merge_compareILb0ELb0EjNS0_19identity_decomposerEEEEE10hipError_tT0_T1_T2_jT3_P12ihipStream_tbPNSt15iterator_traitsISK_E10value_typeEPNSQ_ISL_E10value_typeEPSM_NS1_7vsmem_tEENKUlT_SK_SL_SM_E_clIPjSE_SF_SF_EESJ_SZ_SK_SL_SM_EUlSZ_E_NS1_11comp_targetILNS1_3genE0ELNS1_11target_archE4294967295ELNS1_3gpuE0ELNS1_3repE0EEENS1_48merge_mergepath_partition_config_static_selectorELNS0_4arch9wavefront6targetE1EEEvSL_
    .private_segment_fixed_size: 0
    .sgpr_count:     6
    .sgpr_spill_count: 0
    .symbol:         _ZN7rocprim17ROCPRIM_400000_NS6detail17trampoline_kernelINS0_14default_configENS1_38merge_sort_block_merge_config_selectorIjNS0_10empty_typeEEEZZNS1_27merge_sort_block_merge_implIS3_N6thrust23THRUST_200600_302600_NS6detail15normal_iteratorINS9_10device_ptrIjEEEEPS5_jNS1_19radix_merge_compareILb0ELb0EjNS0_19identity_decomposerEEEEE10hipError_tT0_T1_T2_jT3_P12ihipStream_tbPNSt15iterator_traitsISK_E10value_typeEPNSQ_ISL_E10value_typeEPSM_NS1_7vsmem_tEENKUlT_SK_SL_SM_E_clIPjSE_SF_SF_EESJ_SZ_SK_SL_SM_EUlSZ_E_NS1_11comp_targetILNS1_3genE0ELNS1_11target_archE4294967295ELNS1_3gpuE0ELNS1_3repE0EEENS1_48merge_mergepath_partition_config_static_selectorELNS0_4arch9wavefront6targetE1EEEvSL_.kd
    .uniform_work_group_size: 1
    .uses_dynamic_stack: false
    .vgpr_count:     0
    .vgpr_spill_count: 0
    .wavefront_size: 64
  - .agpr_count:     0
    .args:
      - .offset:         0
        .size:           40
        .value_kind:     by_value
    .group_segment_fixed_size: 0
    .kernarg_segment_align: 8
    .kernarg_segment_size: 40
    .language:       OpenCL C
    .language_version:
      - 2
      - 0
    .max_flat_workgroup_size: 128
    .name:           _ZN7rocprim17ROCPRIM_400000_NS6detail17trampoline_kernelINS0_14default_configENS1_38merge_sort_block_merge_config_selectorIjNS0_10empty_typeEEEZZNS1_27merge_sort_block_merge_implIS3_N6thrust23THRUST_200600_302600_NS6detail15normal_iteratorINS9_10device_ptrIjEEEEPS5_jNS1_19radix_merge_compareILb0ELb0EjNS0_19identity_decomposerEEEEE10hipError_tT0_T1_T2_jT3_P12ihipStream_tbPNSt15iterator_traitsISK_E10value_typeEPNSQ_ISL_E10value_typeEPSM_NS1_7vsmem_tEENKUlT_SK_SL_SM_E_clIPjSE_SF_SF_EESJ_SZ_SK_SL_SM_EUlSZ_E_NS1_11comp_targetILNS1_3genE10ELNS1_11target_archE1201ELNS1_3gpuE5ELNS1_3repE0EEENS1_48merge_mergepath_partition_config_static_selectorELNS0_4arch9wavefront6targetE1EEEvSL_
    .private_segment_fixed_size: 0
    .sgpr_count:     6
    .sgpr_spill_count: 0
    .symbol:         _ZN7rocprim17ROCPRIM_400000_NS6detail17trampoline_kernelINS0_14default_configENS1_38merge_sort_block_merge_config_selectorIjNS0_10empty_typeEEEZZNS1_27merge_sort_block_merge_implIS3_N6thrust23THRUST_200600_302600_NS6detail15normal_iteratorINS9_10device_ptrIjEEEEPS5_jNS1_19radix_merge_compareILb0ELb0EjNS0_19identity_decomposerEEEEE10hipError_tT0_T1_T2_jT3_P12ihipStream_tbPNSt15iterator_traitsISK_E10value_typeEPNSQ_ISL_E10value_typeEPSM_NS1_7vsmem_tEENKUlT_SK_SL_SM_E_clIPjSE_SF_SF_EESJ_SZ_SK_SL_SM_EUlSZ_E_NS1_11comp_targetILNS1_3genE10ELNS1_11target_archE1201ELNS1_3gpuE5ELNS1_3repE0EEENS1_48merge_mergepath_partition_config_static_selectorELNS0_4arch9wavefront6targetE1EEEvSL_.kd
    .uniform_work_group_size: 1
    .uses_dynamic_stack: false
    .vgpr_count:     0
    .vgpr_spill_count: 0
    .wavefront_size: 64
  - .agpr_count:     0
    .args:
      - .offset:         0
        .size:           40
        .value_kind:     by_value
    .group_segment_fixed_size: 0
    .kernarg_segment_align: 8
    .kernarg_segment_size: 40
    .language:       OpenCL C
    .language_version:
      - 2
      - 0
    .max_flat_workgroup_size: 128
    .name:           _ZN7rocprim17ROCPRIM_400000_NS6detail17trampoline_kernelINS0_14default_configENS1_38merge_sort_block_merge_config_selectorIjNS0_10empty_typeEEEZZNS1_27merge_sort_block_merge_implIS3_N6thrust23THRUST_200600_302600_NS6detail15normal_iteratorINS9_10device_ptrIjEEEEPS5_jNS1_19radix_merge_compareILb0ELb0EjNS0_19identity_decomposerEEEEE10hipError_tT0_T1_T2_jT3_P12ihipStream_tbPNSt15iterator_traitsISK_E10value_typeEPNSQ_ISL_E10value_typeEPSM_NS1_7vsmem_tEENKUlT_SK_SL_SM_E_clIPjSE_SF_SF_EESJ_SZ_SK_SL_SM_EUlSZ_E_NS1_11comp_targetILNS1_3genE5ELNS1_11target_archE942ELNS1_3gpuE9ELNS1_3repE0EEENS1_48merge_mergepath_partition_config_static_selectorELNS0_4arch9wavefront6targetE1EEEvSL_
    .private_segment_fixed_size: 0
    .sgpr_count:     14
    .sgpr_spill_count: 0
    .symbol:         _ZN7rocprim17ROCPRIM_400000_NS6detail17trampoline_kernelINS0_14default_configENS1_38merge_sort_block_merge_config_selectorIjNS0_10empty_typeEEEZZNS1_27merge_sort_block_merge_implIS3_N6thrust23THRUST_200600_302600_NS6detail15normal_iteratorINS9_10device_ptrIjEEEEPS5_jNS1_19radix_merge_compareILb0ELb0EjNS0_19identity_decomposerEEEEE10hipError_tT0_T1_T2_jT3_P12ihipStream_tbPNSt15iterator_traitsISK_E10value_typeEPNSQ_ISL_E10value_typeEPSM_NS1_7vsmem_tEENKUlT_SK_SL_SM_E_clIPjSE_SF_SF_EESJ_SZ_SK_SL_SM_EUlSZ_E_NS1_11comp_targetILNS1_3genE5ELNS1_11target_archE942ELNS1_3gpuE9ELNS1_3repE0EEENS1_48merge_mergepath_partition_config_static_selectorELNS0_4arch9wavefront6targetE1EEEvSL_.kd
    .uniform_work_group_size: 1
    .uses_dynamic_stack: false
    .vgpr_count:     17
    .vgpr_spill_count: 0
    .wavefront_size: 64
  - .agpr_count:     0
    .args:
      - .offset:         0
        .size:           40
        .value_kind:     by_value
    .group_segment_fixed_size: 0
    .kernarg_segment_align: 8
    .kernarg_segment_size: 40
    .language:       OpenCL C
    .language_version:
      - 2
      - 0
    .max_flat_workgroup_size: 128
    .name:           _ZN7rocprim17ROCPRIM_400000_NS6detail17trampoline_kernelINS0_14default_configENS1_38merge_sort_block_merge_config_selectorIjNS0_10empty_typeEEEZZNS1_27merge_sort_block_merge_implIS3_N6thrust23THRUST_200600_302600_NS6detail15normal_iteratorINS9_10device_ptrIjEEEEPS5_jNS1_19radix_merge_compareILb0ELb0EjNS0_19identity_decomposerEEEEE10hipError_tT0_T1_T2_jT3_P12ihipStream_tbPNSt15iterator_traitsISK_E10value_typeEPNSQ_ISL_E10value_typeEPSM_NS1_7vsmem_tEENKUlT_SK_SL_SM_E_clIPjSE_SF_SF_EESJ_SZ_SK_SL_SM_EUlSZ_E_NS1_11comp_targetILNS1_3genE4ELNS1_11target_archE910ELNS1_3gpuE8ELNS1_3repE0EEENS1_48merge_mergepath_partition_config_static_selectorELNS0_4arch9wavefront6targetE1EEEvSL_
    .private_segment_fixed_size: 0
    .sgpr_count:     6
    .sgpr_spill_count: 0
    .symbol:         _ZN7rocprim17ROCPRIM_400000_NS6detail17trampoline_kernelINS0_14default_configENS1_38merge_sort_block_merge_config_selectorIjNS0_10empty_typeEEEZZNS1_27merge_sort_block_merge_implIS3_N6thrust23THRUST_200600_302600_NS6detail15normal_iteratorINS9_10device_ptrIjEEEEPS5_jNS1_19radix_merge_compareILb0ELb0EjNS0_19identity_decomposerEEEEE10hipError_tT0_T1_T2_jT3_P12ihipStream_tbPNSt15iterator_traitsISK_E10value_typeEPNSQ_ISL_E10value_typeEPSM_NS1_7vsmem_tEENKUlT_SK_SL_SM_E_clIPjSE_SF_SF_EESJ_SZ_SK_SL_SM_EUlSZ_E_NS1_11comp_targetILNS1_3genE4ELNS1_11target_archE910ELNS1_3gpuE8ELNS1_3repE0EEENS1_48merge_mergepath_partition_config_static_selectorELNS0_4arch9wavefront6targetE1EEEvSL_.kd
    .uniform_work_group_size: 1
    .uses_dynamic_stack: false
    .vgpr_count:     0
    .vgpr_spill_count: 0
    .wavefront_size: 64
  - .agpr_count:     0
    .args:
      - .offset:         0
        .size:           40
        .value_kind:     by_value
    .group_segment_fixed_size: 0
    .kernarg_segment_align: 8
    .kernarg_segment_size: 40
    .language:       OpenCL C
    .language_version:
      - 2
      - 0
    .max_flat_workgroup_size: 128
    .name:           _ZN7rocprim17ROCPRIM_400000_NS6detail17trampoline_kernelINS0_14default_configENS1_38merge_sort_block_merge_config_selectorIjNS0_10empty_typeEEEZZNS1_27merge_sort_block_merge_implIS3_N6thrust23THRUST_200600_302600_NS6detail15normal_iteratorINS9_10device_ptrIjEEEEPS5_jNS1_19radix_merge_compareILb0ELb0EjNS0_19identity_decomposerEEEEE10hipError_tT0_T1_T2_jT3_P12ihipStream_tbPNSt15iterator_traitsISK_E10value_typeEPNSQ_ISL_E10value_typeEPSM_NS1_7vsmem_tEENKUlT_SK_SL_SM_E_clIPjSE_SF_SF_EESJ_SZ_SK_SL_SM_EUlSZ_E_NS1_11comp_targetILNS1_3genE3ELNS1_11target_archE908ELNS1_3gpuE7ELNS1_3repE0EEENS1_48merge_mergepath_partition_config_static_selectorELNS0_4arch9wavefront6targetE1EEEvSL_
    .private_segment_fixed_size: 0
    .sgpr_count:     6
    .sgpr_spill_count: 0
    .symbol:         _ZN7rocprim17ROCPRIM_400000_NS6detail17trampoline_kernelINS0_14default_configENS1_38merge_sort_block_merge_config_selectorIjNS0_10empty_typeEEEZZNS1_27merge_sort_block_merge_implIS3_N6thrust23THRUST_200600_302600_NS6detail15normal_iteratorINS9_10device_ptrIjEEEEPS5_jNS1_19radix_merge_compareILb0ELb0EjNS0_19identity_decomposerEEEEE10hipError_tT0_T1_T2_jT3_P12ihipStream_tbPNSt15iterator_traitsISK_E10value_typeEPNSQ_ISL_E10value_typeEPSM_NS1_7vsmem_tEENKUlT_SK_SL_SM_E_clIPjSE_SF_SF_EESJ_SZ_SK_SL_SM_EUlSZ_E_NS1_11comp_targetILNS1_3genE3ELNS1_11target_archE908ELNS1_3gpuE7ELNS1_3repE0EEENS1_48merge_mergepath_partition_config_static_selectorELNS0_4arch9wavefront6targetE1EEEvSL_.kd
    .uniform_work_group_size: 1
    .uses_dynamic_stack: false
    .vgpr_count:     0
    .vgpr_spill_count: 0
    .wavefront_size: 64
  - .agpr_count:     0
    .args:
      - .offset:         0
        .size:           40
        .value_kind:     by_value
    .group_segment_fixed_size: 0
    .kernarg_segment_align: 8
    .kernarg_segment_size: 40
    .language:       OpenCL C
    .language_version:
      - 2
      - 0
    .max_flat_workgroup_size: 128
    .name:           _ZN7rocprim17ROCPRIM_400000_NS6detail17trampoline_kernelINS0_14default_configENS1_38merge_sort_block_merge_config_selectorIjNS0_10empty_typeEEEZZNS1_27merge_sort_block_merge_implIS3_N6thrust23THRUST_200600_302600_NS6detail15normal_iteratorINS9_10device_ptrIjEEEEPS5_jNS1_19radix_merge_compareILb0ELb0EjNS0_19identity_decomposerEEEEE10hipError_tT0_T1_T2_jT3_P12ihipStream_tbPNSt15iterator_traitsISK_E10value_typeEPNSQ_ISL_E10value_typeEPSM_NS1_7vsmem_tEENKUlT_SK_SL_SM_E_clIPjSE_SF_SF_EESJ_SZ_SK_SL_SM_EUlSZ_E_NS1_11comp_targetILNS1_3genE2ELNS1_11target_archE906ELNS1_3gpuE6ELNS1_3repE0EEENS1_48merge_mergepath_partition_config_static_selectorELNS0_4arch9wavefront6targetE1EEEvSL_
    .private_segment_fixed_size: 0
    .sgpr_count:     6
    .sgpr_spill_count: 0
    .symbol:         _ZN7rocprim17ROCPRIM_400000_NS6detail17trampoline_kernelINS0_14default_configENS1_38merge_sort_block_merge_config_selectorIjNS0_10empty_typeEEEZZNS1_27merge_sort_block_merge_implIS3_N6thrust23THRUST_200600_302600_NS6detail15normal_iteratorINS9_10device_ptrIjEEEEPS5_jNS1_19radix_merge_compareILb0ELb0EjNS0_19identity_decomposerEEEEE10hipError_tT0_T1_T2_jT3_P12ihipStream_tbPNSt15iterator_traitsISK_E10value_typeEPNSQ_ISL_E10value_typeEPSM_NS1_7vsmem_tEENKUlT_SK_SL_SM_E_clIPjSE_SF_SF_EESJ_SZ_SK_SL_SM_EUlSZ_E_NS1_11comp_targetILNS1_3genE2ELNS1_11target_archE906ELNS1_3gpuE6ELNS1_3repE0EEENS1_48merge_mergepath_partition_config_static_selectorELNS0_4arch9wavefront6targetE1EEEvSL_.kd
    .uniform_work_group_size: 1
    .uses_dynamic_stack: false
    .vgpr_count:     0
    .vgpr_spill_count: 0
    .wavefront_size: 64
  - .agpr_count:     0
    .args:
      - .offset:         0
        .size:           40
        .value_kind:     by_value
    .group_segment_fixed_size: 0
    .kernarg_segment_align: 8
    .kernarg_segment_size: 40
    .language:       OpenCL C
    .language_version:
      - 2
      - 0
    .max_flat_workgroup_size: 128
    .name:           _ZN7rocprim17ROCPRIM_400000_NS6detail17trampoline_kernelINS0_14default_configENS1_38merge_sort_block_merge_config_selectorIjNS0_10empty_typeEEEZZNS1_27merge_sort_block_merge_implIS3_N6thrust23THRUST_200600_302600_NS6detail15normal_iteratorINS9_10device_ptrIjEEEEPS5_jNS1_19radix_merge_compareILb0ELb0EjNS0_19identity_decomposerEEEEE10hipError_tT0_T1_T2_jT3_P12ihipStream_tbPNSt15iterator_traitsISK_E10value_typeEPNSQ_ISL_E10value_typeEPSM_NS1_7vsmem_tEENKUlT_SK_SL_SM_E_clIPjSE_SF_SF_EESJ_SZ_SK_SL_SM_EUlSZ_E_NS1_11comp_targetILNS1_3genE9ELNS1_11target_archE1100ELNS1_3gpuE3ELNS1_3repE0EEENS1_48merge_mergepath_partition_config_static_selectorELNS0_4arch9wavefront6targetE1EEEvSL_
    .private_segment_fixed_size: 0
    .sgpr_count:     6
    .sgpr_spill_count: 0
    .symbol:         _ZN7rocprim17ROCPRIM_400000_NS6detail17trampoline_kernelINS0_14default_configENS1_38merge_sort_block_merge_config_selectorIjNS0_10empty_typeEEEZZNS1_27merge_sort_block_merge_implIS3_N6thrust23THRUST_200600_302600_NS6detail15normal_iteratorINS9_10device_ptrIjEEEEPS5_jNS1_19radix_merge_compareILb0ELb0EjNS0_19identity_decomposerEEEEE10hipError_tT0_T1_T2_jT3_P12ihipStream_tbPNSt15iterator_traitsISK_E10value_typeEPNSQ_ISL_E10value_typeEPSM_NS1_7vsmem_tEENKUlT_SK_SL_SM_E_clIPjSE_SF_SF_EESJ_SZ_SK_SL_SM_EUlSZ_E_NS1_11comp_targetILNS1_3genE9ELNS1_11target_archE1100ELNS1_3gpuE3ELNS1_3repE0EEENS1_48merge_mergepath_partition_config_static_selectorELNS0_4arch9wavefront6targetE1EEEvSL_.kd
    .uniform_work_group_size: 1
    .uses_dynamic_stack: false
    .vgpr_count:     0
    .vgpr_spill_count: 0
    .wavefront_size: 64
  - .agpr_count:     0
    .args:
      - .offset:         0
        .size:           40
        .value_kind:     by_value
    .group_segment_fixed_size: 0
    .kernarg_segment_align: 8
    .kernarg_segment_size: 40
    .language:       OpenCL C
    .language_version:
      - 2
      - 0
    .max_flat_workgroup_size: 128
    .name:           _ZN7rocprim17ROCPRIM_400000_NS6detail17trampoline_kernelINS0_14default_configENS1_38merge_sort_block_merge_config_selectorIjNS0_10empty_typeEEEZZNS1_27merge_sort_block_merge_implIS3_N6thrust23THRUST_200600_302600_NS6detail15normal_iteratorINS9_10device_ptrIjEEEEPS5_jNS1_19radix_merge_compareILb0ELb0EjNS0_19identity_decomposerEEEEE10hipError_tT0_T1_T2_jT3_P12ihipStream_tbPNSt15iterator_traitsISK_E10value_typeEPNSQ_ISL_E10value_typeEPSM_NS1_7vsmem_tEENKUlT_SK_SL_SM_E_clIPjSE_SF_SF_EESJ_SZ_SK_SL_SM_EUlSZ_E_NS1_11comp_targetILNS1_3genE8ELNS1_11target_archE1030ELNS1_3gpuE2ELNS1_3repE0EEENS1_48merge_mergepath_partition_config_static_selectorELNS0_4arch9wavefront6targetE1EEEvSL_
    .private_segment_fixed_size: 0
    .sgpr_count:     6
    .sgpr_spill_count: 0
    .symbol:         _ZN7rocprim17ROCPRIM_400000_NS6detail17trampoline_kernelINS0_14default_configENS1_38merge_sort_block_merge_config_selectorIjNS0_10empty_typeEEEZZNS1_27merge_sort_block_merge_implIS3_N6thrust23THRUST_200600_302600_NS6detail15normal_iteratorINS9_10device_ptrIjEEEEPS5_jNS1_19radix_merge_compareILb0ELb0EjNS0_19identity_decomposerEEEEE10hipError_tT0_T1_T2_jT3_P12ihipStream_tbPNSt15iterator_traitsISK_E10value_typeEPNSQ_ISL_E10value_typeEPSM_NS1_7vsmem_tEENKUlT_SK_SL_SM_E_clIPjSE_SF_SF_EESJ_SZ_SK_SL_SM_EUlSZ_E_NS1_11comp_targetILNS1_3genE8ELNS1_11target_archE1030ELNS1_3gpuE2ELNS1_3repE0EEENS1_48merge_mergepath_partition_config_static_selectorELNS0_4arch9wavefront6targetE1EEEvSL_.kd
    .uniform_work_group_size: 1
    .uses_dynamic_stack: false
    .vgpr_count:     0
    .vgpr_spill_count: 0
    .wavefront_size: 64
  - .agpr_count:     0
    .args:
      - .offset:         0
        .size:           64
        .value_kind:     by_value
    .group_segment_fixed_size: 0
    .kernarg_segment_align: 8
    .kernarg_segment_size: 64
    .language:       OpenCL C
    .language_version:
      - 2
      - 0
    .max_flat_workgroup_size: 128
    .name:           _ZN7rocprim17ROCPRIM_400000_NS6detail17trampoline_kernelINS0_14default_configENS1_38merge_sort_block_merge_config_selectorIjNS0_10empty_typeEEEZZNS1_27merge_sort_block_merge_implIS3_N6thrust23THRUST_200600_302600_NS6detail15normal_iteratorINS9_10device_ptrIjEEEEPS5_jNS1_19radix_merge_compareILb0ELb0EjNS0_19identity_decomposerEEEEE10hipError_tT0_T1_T2_jT3_P12ihipStream_tbPNSt15iterator_traitsISK_E10value_typeEPNSQ_ISL_E10value_typeEPSM_NS1_7vsmem_tEENKUlT_SK_SL_SM_E_clIPjSE_SF_SF_EESJ_SZ_SK_SL_SM_EUlSZ_E0_NS1_11comp_targetILNS1_3genE0ELNS1_11target_archE4294967295ELNS1_3gpuE0ELNS1_3repE0EEENS1_38merge_mergepath_config_static_selectorELNS0_4arch9wavefront6targetE1EEEvSL_
    .private_segment_fixed_size: 0
    .sgpr_count:     6
    .sgpr_spill_count: 0
    .symbol:         _ZN7rocprim17ROCPRIM_400000_NS6detail17trampoline_kernelINS0_14default_configENS1_38merge_sort_block_merge_config_selectorIjNS0_10empty_typeEEEZZNS1_27merge_sort_block_merge_implIS3_N6thrust23THRUST_200600_302600_NS6detail15normal_iteratorINS9_10device_ptrIjEEEEPS5_jNS1_19radix_merge_compareILb0ELb0EjNS0_19identity_decomposerEEEEE10hipError_tT0_T1_T2_jT3_P12ihipStream_tbPNSt15iterator_traitsISK_E10value_typeEPNSQ_ISL_E10value_typeEPSM_NS1_7vsmem_tEENKUlT_SK_SL_SM_E_clIPjSE_SF_SF_EESJ_SZ_SK_SL_SM_EUlSZ_E0_NS1_11comp_targetILNS1_3genE0ELNS1_11target_archE4294967295ELNS1_3gpuE0ELNS1_3repE0EEENS1_38merge_mergepath_config_static_selectorELNS0_4arch9wavefront6targetE1EEEvSL_.kd
    .uniform_work_group_size: 1
    .uses_dynamic_stack: false
    .vgpr_count:     0
    .vgpr_spill_count: 0
    .wavefront_size: 64
  - .agpr_count:     0
    .args:
      - .offset:         0
        .size:           64
        .value_kind:     by_value
    .group_segment_fixed_size: 0
    .kernarg_segment_align: 8
    .kernarg_segment_size: 64
    .language:       OpenCL C
    .language_version:
      - 2
      - 0
    .max_flat_workgroup_size: 256
    .name:           _ZN7rocprim17ROCPRIM_400000_NS6detail17trampoline_kernelINS0_14default_configENS1_38merge_sort_block_merge_config_selectorIjNS0_10empty_typeEEEZZNS1_27merge_sort_block_merge_implIS3_N6thrust23THRUST_200600_302600_NS6detail15normal_iteratorINS9_10device_ptrIjEEEEPS5_jNS1_19radix_merge_compareILb0ELb0EjNS0_19identity_decomposerEEEEE10hipError_tT0_T1_T2_jT3_P12ihipStream_tbPNSt15iterator_traitsISK_E10value_typeEPNSQ_ISL_E10value_typeEPSM_NS1_7vsmem_tEENKUlT_SK_SL_SM_E_clIPjSE_SF_SF_EESJ_SZ_SK_SL_SM_EUlSZ_E0_NS1_11comp_targetILNS1_3genE10ELNS1_11target_archE1201ELNS1_3gpuE5ELNS1_3repE0EEENS1_38merge_mergepath_config_static_selectorELNS0_4arch9wavefront6targetE1EEEvSL_
    .private_segment_fixed_size: 0
    .sgpr_count:     6
    .sgpr_spill_count: 0
    .symbol:         _ZN7rocprim17ROCPRIM_400000_NS6detail17trampoline_kernelINS0_14default_configENS1_38merge_sort_block_merge_config_selectorIjNS0_10empty_typeEEEZZNS1_27merge_sort_block_merge_implIS3_N6thrust23THRUST_200600_302600_NS6detail15normal_iteratorINS9_10device_ptrIjEEEEPS5_jNS1_19radix_merge_compareILb0ELb0EjNS0_19identity_decomposerEEEEE10hipError_tT0_T1_T2_jT3_P12ihipStream_tbPNSt15iterator_traitsISK_E10value_typeEPNSQ_ISL_E10value_typeEPSM_NS1_7vsmem_tEENKUlT_SK_SL_SM_E_clIPjSE_SF_SF_EESJ_SZ_SK_SL_SM_EUlSZ_E0_NS1_11comp_targetILNS1_3genE10ELNS1_11target_archE1201ELNS1_3gpuE5ELNS1_3repE0EEENS1_38merge_mergepath_config_static_selectorELNS0_4arch9wavefront6targetE1EEEvSL_.kd
    .uniform_work_group_size: 1
    .uses_dynamic_stack: false
    .vgpr_count:     0
    .vgpr_spill_count: 0
    .wavefront_size: 64
  - .agpr_count:     0
    .args:
      - .offset:         0
        .size:           64
        .value_kind:     by_value
      - .offset:         64
        .size:           4
        .value_kind:     hidden_block_count_x
      - .offset:         68
        .size:           4
        .value_kind:     hidden_block_count_y
      - .offset:         72
        .size:           4
        .value_kind:     hidden_block_count_z
      - .offset:         76
        .size:           2
        .value_kind:     hidden_group_size_x
      - .offset:         78
        .size:           2
        .value_kind:     hidden_group_size_y
      - .offset:         80
        .size:           2
        .value_kind:     hidden_group_size_z
      - .offset:         82
        .size:           2
        .value_kind:     hidden_remainder_x
      - .offset:         84
        .size:           2
        .value_kind:     hidden_remainder_y
      - .offset:         86
        .size:           2
        .value_kind:     hidden_remainder_z
      - .offset:         104
        .size:           8
        .value_kind:     hidden_global_offset_x
      - .offset:         112
        .size:           8
        .value_kind:     hidden_global_offset_y
      - .offset:         120
        .size:           8
        .value_kind:     hidden_global_offset_z
      - .offset:         128
        .size:           2
        .value_kind:     hidden_grid_dims
    .group_segment_fixed_size: 4224
    .kernarg_segment_align: 8
    .kernarg_segment_size: 320
    .language:       OpenCL C
    .language_version:
      - 2
      - 0
    .max_flat_workgroup_size: 128
    .name:           _ZN7rocprim17ROCPRIM_400000_NS6detail17trampoline_kernelINS0_14default_configENS1_38merge_sort_block_merge_config_selectorIjNS0_10empty_typeEEEZZNS1_27merge_sort_block_merge_implIS3_N6thrust23THRUST_200600_302600_NS6detail15normal_iteratorINS9_10device_ptrIjEEEEPS5_jNS1_19radix_merge_compareILb0ELb0EjNS0_19identity_decomposerEEEEE10hipError_tT0_T1_T2_jT3_P12ihipStream_tbPNSt15iterator_traitsISK_E10value_typeEPNSQ_ISL_E10value_typeEPSM_NS1_7vsmem_tEENKUlT_SK_SL_SM_E_clIPjSE_SF_SF_EESJ_SZ_SK_SL_SM_EUlSZ_E0_NS1_11comp_targetILNS1_3genE5ELNS1_11target_archE942ELNS1_3gpuE9ELNS1_3repE0EEENS1_38merge_mergepath_config_static_selectorELNS0_4arch9wavefront6targetE1EEEvSL_
    .private_segment_fixed_size: 0
    .sgpr_count:     30
    .sgpr_spill_count: 0
    .symbol:         _ZN7rocprim17ROCPRIM_400000_NS6detail17trampoline_kernelINS0_14default_configENS1_38merge_sort_block_merge_config_selectorIjNS0_10empty_typeEEEZZNS1_27merge_sort_block_merge_implIS3_N6thrust23THRUST_200600_302600_NS6detail15normal_iteratorINS9_10device_ptrIjEEEEPS5_jNS1_19radix_merge_compareILb0ELb0EjNS0_19identity_decomposerEEEEE10hipError_tT0_T1_T2_jT3_P12ihipStream_tbPNSt15iterator_traitsISK_E10value_typeEPNSQ_ISL_E10value_typeEPSM_NS1_7vsmem_tEENKUlT_SK_SL_SM_E_clIPjSE_SF_SF_EESJ_SZ_SK_SL_SM_EUlSZ_E0_NS1_11comp_targetILNS1_3genE5ELNS1_11target_archE942ELNS1_3gpuE9ELNS1_3repE0EEENS1_38merge_mergepath_config_static_selectorELNS0_4arch9wavefront6targetE1EEEvSL_.kd
    .uniform_work_group_size: 1
    .uses_dynamic_stack: false
    .vgpr_count:     26
    .vgpr_spill_count: 0
    .wavefront_size: 64
  - .agpr_count:     0
    .args:
      - .offset:         0
        .size:           64
        .value_kind:     by_value
    .group_segment_fixed_size: 0
    .kernarg_segment_align: 8
    .kernarg_segment_size: 64
    .language:       OpenCL C
    .language_version:
      - 2
      - 0
    .max_flat_workgroup_size: 128
    .name:           _ZN7rocprim17ROCPRIM_400000_NS6detail17trampoline_kernelINS0_14default_configENS1_38merge_sort_block_merge_config_selectorIjNS0_10empty_typeEEEZZNS1_27merge_sort_block_merge_implIS3_N6thrust23THRUST_200600_302600_NS6detail15normal_iteratorINS9_10device_ptrIjEEEEPS5_jNS1_19radix_merge_compareILb0ELb0EjNS0_19identity_decomposerEEEEE10hipError_tT0_T1_T2_jT3_P12ihipStream_tbPNSt15iterator_traitsISK_E10value_typeEPNSQ_ISL_E10value_typeEPSM_NS1_7vsmem_tEENKUlT_SK_SL_SM_E_clIPjSE_SF_SF_EESJ_SZ_SK_SL_SM_EUlSZ_E0_NS1_11comp_targetILNS1_3genE4ELNS1_11target_archE910ELNS1_3gpuE8ELNS1_3repE0EEENS1_38merge_mergepath_config_static_selectorELNS0_4arch9wavefront6targetE1EEEvSL_
    .private_segment_fixed_size: 0
    .sgpr_count:     6
    .sgpr_spill_count: 0
    .symbol:         _ZN7rocprim17ROCPRIM_400000_NS6detail17trampoline_kernelINS0_14default_configENS1_38merge_sort_block_merge_config_selectorIjNS0_10empty_typeEEEZZNS1_27merge_sort_block_merge_implIS3_N6thrust23THRUST_200600_302600_NS6detail15normal_iteratorINS9_10device_ptrIjEEEEPS5_jNS1_19radix_merge_compareILb0ELb0EjNS0_19identity_decomposerEEEEE10hipError_tT0_T1_T2_jT3_P12ihipStream_tbPNSt15iterator_traitsISK_E10value_typeEPNSQ_ISL_E10value_typeEPSM_NS1_7vsmem_tEENKUlT_SK_SL_SM_E_clIPjSE_SF_SF_EESJ_SZ_SK_SL_SM_EUlSZ_E0_NS1_11comp_targetILNS1_3genE4ELNS1_11target_archE910ELNS1_3gpuE8ELNS1_3repE0EEENS1_38merge_mergepath_config_static_selectorELNS0_4arch9wavefront6targetE1EEEvSL_.kd
    .uniform_work_group_size: 1
    .uses_dynamic_stack: false
    .vgpr_count:     0
    .vgpr_spill_count: 0
    .wavefront_size: 64
  - .agpr_count:     0
    .args:
      - .offset:         0
        .size:           64
        .value_kind:     by_value
    .group_segment_fixed_size: 0
    .kernarg_segment_align: 8
    .kernarg_segment_size: 64
    .language:       OpenCL C
    .language_version:
      - 2
      - 0
    .max_flat_workgroup_size: 128
    .name:           _ZN7rocprim17ROCPRIM_400000_NS6detail17trampoline_kernelINS0_14default_configENS1_38merge_sort_block_merge_config_selectorIjNS0_10empty_typeEEEZZNS1_27merge_sort_block_merge_implIS3_N6thrust23THRUST_200600_302600_NS6detail15normal_iteratorINS9_10device_ptrIjEEEEPS5_jNS1_19radix_merge_compareILb0ELb0EjNS0_19identity_decomposerEEEEE10hipError_tT0_T1_T2_jT3_P12ihipStream_tbPNSt15iterator_traitsISK_E10value_typeEPNSQ_ISL_E10value_typeEPSM_NS1_7vsmem_tEENKUlT_SK_SL_SM_E_clIPjSE_SF_SF_EESJ_SZ_SK_SL_SM_EUlSZ_E0_NS1_11comp_targetILNS1_3genE3ELNS1_11target_archE908ELNS1_3gpuE7ELNS1_3repE0EEENS1_38merge_mergepath_config_static_selectorELNS0_4arch9wavefront6targetE1EEEvSL_
    .private_segment_fixed_size: 0
    .sgpr_count:     6
    .sgpr_spill_count: 0
    .symbol:         _ZN7rocprim17ROCPRIM_400000_NS6detail17trampoline_kernelINS0_14default_configENS1_38merge_sort_block_merge_config_selectorIjNS0_10empty_typeEEEZZNS1_27merge_sort_block_merge_implIS3_N6thrust23THRUST_200600_302600_NS6detail15normal_iteratorINS9_10device_ptrIjEEEEPS5_jNS1_19radix_merge_compareILb0ELb0EjNS0_19identity_decomposerEEEEE10hipError_tT0_T1_T2_jT3_P12ihipStream_tbPNSt15iterator_traitsISK_E10value_typeEPNSQ_ISL_E10value_typeEPSM_NS1_7vsmem_tEENKUlT_SK_SL_SM_E_clIPjSE_SF_SF_EESJ_SZ_SK_SL_SM_EUlSZ_E0_NS1_11comp_targetILNS1_3genE3ELNS1_11target_archE908ELNS1_3gpuE7ELNS1_3repE0EEENS1_38merge_mergepath_config_static_selectorELNS0_4arch9wavefront6targetE1EEEvSL_.kd
    .uniform_work_group_size: 1
    .uses_dynamic_stack: false
    .vgpr_count:     0
    .vgpr_spill_count: 0
    .wavefront_size: 64
  - .agpr_count:     0
    .args:
      - .offset:         0
        .size:           64
        .value_kind:     by_value
    .group_segment_fixed_size: 0
    .kernarg_segment_align: 8
    .kernarg_segment_size: 64
    .language:       OpenCL C
    .language_version:
      - 2
      - 0
    .max_flat_workgroup_size: 128
    .name:           _ZN7rocprim17ROCPRIM_400000_NS6detail17trampoline_kernelINS0_14default_configENS1_38merge_sort_block_merge_config_selectorIjNS0_10empty_typeEEEZZNS1_27merge_sort_block_merge_implIS3_N6thrust23THRUST_200600_302600_NS6detail15normal_iteratorINS9_10device_ptrIjEEEEPS5_jNS1_19radix_merge_compareILb0ELb0EjNS0_19identity_decomposerEEEEE10hipError_tT0_T1_T2_jT3_P12ihipStream_tbPNSt15iterator_traitsISK_E10value_typeEPNSQ_ISL_E10value_typeEPSM_NS1_7vsmem_tEENKUlT_SK_SL_SM_E_clIPjSE_SF_SF_EESJ_SZ_SK_SL_SM_EUlSZ_E0_NS1_11comp_targetILNS1_3genE2ELNS1_11target_archE906ELNS1_3gpuE6ELNS1_3repE0EEENS1_38merge_mergepath_config_static_selectorELNS0_4arch9wavefront6targetE1EEEvSL_
    .private_segment_fixed_size: 0
    .sgpr_count:     6
    .sgpr_spill_count: 0
    .symbol:         _ZN7rocprim17ROCPRIM_400000_NS6detail17trampoline_kernelINS0_14default_configENS1_38merge_sort_block_merge_config_selectorIjNS0_10empty_typeEEEZZNS1_27merge_sort_block_merge_implIS3_N6thrust23THRUST_200600_302600_NS6detail15normal_iteratorINS9_10device_ptrIjEEEEPS5_jNS1_19radix_merge_compareILb0ELb0EjNS0_19identity_decomposerEEEEE10hipError_tT0_T1_T2_jT3_P12ihipStream_tbPNSt15iterator_traitsISK_E10value_typeEPNSQ_ISL_E10value_typeEPSM_NS1_7vsmem_tEENKUlT_SK_SL_SM_E_clIPjSE_SF_SF_EESJ_SZ_SK_SL_SM_EUlSZ_E0_NS1_11comp_targetILNS1_3genE2ELNS1_11target_archE906ELNS1_3gpuE6ELNS1_3repE0EEENS1_38merge_mergepath_config_static_selectorELNS0_4arch9wavefront6targetE1EEEvSL_.kd
    .uniform_work_group_size: 1
    .uses_dynamic_stack: false
    .vgpr_count:     0
    .vgpr_spill_count: 0
    .wavefront_size: 64
  - .agpr_count:     0
    .args:
      - .offset:         0
        .size:           64
        .value_kind:     by_value
    .group_segment_fixed_size: 0
    .kernarg_segment_align: 8
    .kernarg_segment_size: 64
    .language:       OpenCL C
    .language_version:
      - 2
      - 0
    .max_flat_workgroup_size: 256
    .name:           _ZN7rocprim17ROCPRIM_400000_NS6detail17trampoline_kernelINS0_14default_configENS1_38merge_sort_block_merge_config_selectorIjNS0_10empty_typeEEEZZNS1_27merge_sort_block_merge_implIS3_N6thrust23THRUST_200600_302600_NS6detail15normal_iteratorINS9_10device_ptrIjEEEEPS5_jNS1_19radix_merge_compareILb0ELb0EjNS0_19identity_decomposerEEEEE10hipError_tT0_T1_T2_jT3_P12ihipStream_tbPNSt15iterator_traitsISK_E10value_typeEPNSQ_ISL_E10value_typeEPSM_NS1_7vsmem_tEENKUlT_SK_SL_SM_E_clIPjSE_SF_SF_EESJ_SZ_SK_SL_SM_EUlSZ_E0_NS1_11comp_targetILNS1_3genE9ELNS1_11target_archE1100ELNS1_3gpuE3ELNS1_3repE0EEENS1_38merge_mergepath_config_static_selectorELNS0_4arch9wavefront6targetE1EEEvSL_
    .private_segment_fixed_size: 0
    .sgpr_count:     6
    .sgpr_spill_count: 0
    .symbol:         _ZN7rocprim17ROCPRIM_400000_NS6detail17trampoline_kernelINS0_14default_configENS1_38merge_sort_block_merge_config_selectorIjNS0_10empty_typeEEEZZNS1_27merge_sort_block_merge_implIS3_N6thrust23THRUST_200600_302600_NS6detail15normal_iteratorINS9_10device_ptrIjEEEEPS5_jNS1_19radix_merge_compareILb0ELb0EjNS0_19identity_decomposerEEEEE10hipError_tT0_T1_T2_jT3_P12ihipStream_tbPNSt15iterator_traitsISK_E10value_typeEPNSQ_ISL_E10value_typeEPSM_NS1_7vsmem_tEENKUlT_SK_SL_SM_E_clIPjSE_SF_SF_EESJ_SZ_SK_SL_SM_EUlSZ_E0_NS1_11comp_targetILNS1_3genE9ELNS1_11target_archE1100ELNS1_3gpuE3ELNS1_3repE0EEENS1_38merge_mergepath_config_static_selectorELNS0_4arch9wavefront6targetE1EEEvSL_.kd
    .uniform_work_group_size: 1
    .uses_dynamic_stack: false
    .vgpr_count:     0
    .vgpr_spill_count: 0
    .wavefront_size: 64
  - .agpr_count:     0
    .args:
      - .offset:         0
        .size:           64
        .value_kind:     by_value
    .group_segment_fixed_size: 0
    .kernarg_segment_align: 8
    .kernarg_segment_size: 64
    .language:       OpenCL C
    .language_version:
      - 2
      - 0
    .max_flat_workgroup_size: 512
    .name:           _ZN7rocprim17ROCPRIM_400000_NS6detail17trampoline_kernelINS0_14default_configENS1_38merge_sort_block_merge_config_selectorIjNS0_10empty_typeEEEZZNS1_27merge_sort_block_merge_implIS3_N6thrust23THRUST_200600_302600_NS6detail15normal_iteratorINS9_10device_ptrIjEEEEPS5_jNS1_19radix_merge_compareILb0ELb0EjNS0_19identity_decomposerEEEEE10hipError_tT0_T1_T2_jT3_P12ihipStream_tbPNSt15iterator_traitsISK_E10value_typeEPNSQ_ISL_E10value_typeEPSM_NS1_7vsmem_tEENKUlT_SK_SL_SM_E_clIPjSE_SF_SF_EESJ_SZ_SK_SL_SM_EUlSZ_E0_NS1_11comp_targetILNS1_3genE8ELNS1_11target_archE1030ELNS1_3gpuE2ELNS1_3repE0EEENS1_38merge_mergepath_config_static_selectorELNS0_4arch9wavefront6targetE1EEEvSL_
    .private_segment_fixed_size: 0
    .sgpr_count:     6
    .sgpr_spill_count: 0
    .symbol:         _ZN7rocprim17ROCPRIM_400000_NS6detail17trampoline_kernelINS0_14default_configENS1_38merge_sort_block_merge_config_selectorIjNS0_10empty_typeEEEZZNS1_27merge_sort_block_merge_implIS3_N6thrust23THRUST_200600_302600_NS6detail15normal_iteratorINS9_10device_ptrIjEEEEPS5_jNS1_19radix_merge_compareILb0ELb0EjNS0_19identity_decomposerEEEEE10hipError_tT0_T1_T2_jT3_P12ihipStream_tbPNSt15iterator_traitsISK_E10value_typeEPNSQ_ISL_E10value_typeEPSM_NS1_7vsmem_tEENKUlT_SK_SL_SM_E_clIPjSE_SF_SF_EESJ_SZ_SK_SL_SM_EUlSZ_E0_NS1_11comp_targetILNS1_3genE8ELNS1_11target_archE1030ELNS1_3gpuE2ELNS1_3repE0EEENS1_38merge_mergepath_config_static_selectorELNS0_4arch9wavefront6targetE1EEEvSL_.kd
    .uniform_work_group_size: 1
    .uses_dynamic_stack: false
    .vgpr_count:     0
    .vgpr_spill_count: 0
    .wavefront_size: 64
  - .agpr_count:     0
    .args:
      - .offset:         0
        .size:           48
        .value_kind:     by_value
    .group_segment_fixed_size: 0
    .kernarg_segment_align: 8
    .kernarg_segment_size: 48
    .language:       OpenCL C
    .language_version:
      - 2
      - 0
    .max_flat_workgroup_size: 256
    .name:           _ZN7rocprim17ROCPRIM_400000_NS6detail17trampoline_kernelINS0_14default_configENS1_38merge_sort_block_merge_config_selectorIjNS0_10empty_typeEEEZZNS1_27merge_sort_block_merge_implIS3_N6thrust23THRUST_200600_302600_NS6detail15normal_iteratorINS9_10device_ptrIjEEEEPS5_jNS1_19radix_merge_compareILb0ELb0EjNS0_19identity_decomposerEEEEE10hipError_tT0_T1_T2_jT3_P12ihipStream_tbPNSt15iterator_traitsISK_E10value_typeEPNSQ_ISL_E10value_typeEPSM_NS1_7vsmem_tEENKUlT_SK_SL_SM_E_clIPjSE_SF_SF_EESJ_SZ_SK_SL_SM_EUlSZ_E1_NS1_11comp_targetILNS1_3genE0ELNS1_11target_archE4294967295ELNS1_3gpuE0ELNS1_3repE0EEENS1_36merge_oddeven_config_static_selectorELNS0_4arch9wavefront6targetE1EEEvSL_
    .private_segment_fixed_size: 0
    .sgpr_count:     6
    .sgpr_spill_count: 0
    .symbol:         _ZN7rocprim17ROCPRIM_400000_NS6detail17trampoline_kernelINS0_14default_configENS1_38merge_sort_block_merge_config_selectorIjNS0_10empty_typeEEEZZNS1_27merge_sort_block_merge_implIS3_N6thrust23THRUST_200600_302600_NS6detail15normal_iteratorINS9_10device_ptrIjEEEEPS5_jNS1_19radix_merge_compareILb0ELb0EjNS0_19identity_decomposerEEEEE10hipError_tT0_T1_T2_jT3_P12ihipStream_tbPNSt15iterator_traitsISK_E10value_typeEPNSQ_ISL_E10value_typeEPSM_NS1_7vsmem_tEENKUlT_SK_SL_SM_E_clIPjSE_SF_SF_EESJ_SZ_SK_SL_SM_EUlSZ_E1_NS1_11comp_targetILNS1_3genE0ELNS1_11target_archE4294967295ELNS1_3gpuE0ELNS1_3repE0EEENS1_36merge_oddeven_config_static_selectorELNS0_4arch9wavefront6targetE1EEEvSL_.kd
    .uniform_work_group_size: 1
    .uses_dynamic_stack: false
    .vgpr_count:     0
    .vgpr_spill_count: 0
    .wavefront_size: 64
  - .agpr_count:     0
    .args:
      - .offset:         0
        .size:           48
        .value_kind:     by_value
    .group_segment_fixed_size: 0
    .kernarg_segment_align: 8
    .kernarg_segment_size: 48
    .language:       OpenCL C
    .language_version:
      - 2
      - 0
    .max_flat_workgroup_size: 256
    .name:           _ZN7rocprim17ROCPRIM_400000_NS6detail17trampoline_kernelINS0_14default_configENS1_38merge_sort_block_merge_config_selectorIjNS0_10empty_typeEEEZZNS1_27merge_sort_block_merge_implIS3_N6thrust23THRUST_200600_302600_NS6detail15normal_iteratorINS9_10device_ptrIjEEEEPS5_jNS1_19radix_merge_compareILb0ELb0EjNS0_19identity_decomposerEEEEE10hipError_tT0_T1_T2_jT3_P12ihipStream_tbPNSt15iterator_traitsISK_E10value_typeEPNSQ_ISL_E10value_typeEPSM_NS1_7vsmem_tEENKUlT_SK_SL_SM_E_clIPjSE_SF_SF_EESJ_SZ_SK_SL_SM_EUlSZ_E1_NS1_11comp_targetILNS1_3genE10ELNS1_11target_archE1201ELNS1_3gpuE5ELNS1_3repE0EEENS1_36merge_oddeven_config_static_selectorELNS0_4arch9wavefront6targetE1EEEvSL_
    .private_segment_fixed_size: 0
    .sgpr_count:     6
    .sgpr_spill_count: 0
    .symbol:         _ZN7rocprim17ROCPRIM_400000_NS6detail17trampoline_kernelINS0_14default_configENS1_38merge_sort_block_merge_config_selectorIjNS0_10empty_typeEEEZZNS1_27merge_sort_block_merge_implIS3_N6thrust23THRUST_200600_302600_NS6detail15normal_iteratorINS9_10device_ptrIjEEEEPS5_jNS1_19radix_merge_compareILb0ELb0EjNS0_19identity_decomposerEEEEE10hipError_tT0_T1_T2_jT3_P12ihipStream_tbPNSt15iterator_traitsISK_E10value_typeEPNSQ_ISL_E10value_typeEPSM_NS1_7vsmem_tEENKUlT_SK_SL_SM_E_clIPjSE_SF_SF_EESJ_SZ_SK_SL_SM_EUlSZ_E1_NS1_11comp_targetILNS1_3genE10ELNS1_11target_archE1201ELNS1_3gpuE5ELNS1_3repE0EEENS1_36merge_oddeven_config_static_selectorELNS0_4arch9wavefront6targetE1EEEvSL_.kd
    .uniform_work_group_size: 1
    .uses_dynamic_stack: false
    .vgpr_count:     0
    .vgpr_spill_count: 0
    .wavefront_size: 64
  - .agpr_count:     0
    .args:
      - .offset:         0
        .size:           48
        .value_kind:     by_value
    .group_segment_fixed_size: 0
    .kernarg_segment_align: 8
    .kernarg_segment_size: 48
    .language:       OpenCL C
    .language_version:
      - 2
      - 0
    .max_flat_workgroup_size: 256
    .name:           _ZN7rocprim17ROCPRIM_400000_NS6detail17trampoline_kernelINS0_14default_configENS1_38merge_sort_block_merge_config_selectorIjNS0_10empty_typeEEEZZNS1_27merge_sort_block_merge_implIS3_N6thrust23THRUST_200600_302600_NS6detail15normal_iteratorINS9_10device_ptrIjEEEEPS5_jNS1_19radix_merge_compareILb0ELb0EjNS0_19identity_decomposerEEEEE10hipError_tT0_T1_T2_jT3_P12ihipStream_tbPNSt15iterator_traitsISK_E10value_typeEPNSQ_ISL_E10value_typeEPSM_NS1_7vsmem_tEENKUlT_SK_SL_SM_E_clIPjSE_SF_SF_EESJ_SZ_SK_SL_SM_EUlSZ_E1_NS1_11comp_targetILNS1_3genE5ELNS1_11target_archE942ELNS1_3gpuE9ELNS1_3repE0EEENS1_36merge_oddeven_config_static_selectorELNS0_4arch9wavefront6targetE1EEEvSL_
    .private_segment_fixed_size: 0
    .sgpr_count:     25
    .sgpr_spill_count: 0
    .symbol:         _ZN7rocprim17ROCPRIM_400000_NS6detail17trampoline_kernelINS0_14default_configENS1_38merge_sort_block_merge_config_selectorIjNS0_10empty_typeEEEZZNS1_27merge_sort_block_merge_implIS3_N6thrust23THRUST_200600_302600_NS6detail15normal_iteratorINS9_10device_ptrIjEEEEPS5_jNS1_19radix_merge_compareILb0ELb0EjNS0_19identity_decomposerEEEEE10hipError_tT0_T1_T2_jT3_P12ihipStream_tbPNSt15iterator_traitsISK_E10value_typeEPNSQ_ISL_E10value_typeEPSM_NS1_7vsmem_tEENKUlT_SK_SL_SM_E_clIPjSE_SF_SF_EESJ_SZ_SK_SL_SM_EUlSZ_E1_NS1_11comp_targetILNS1_3genE5ELNS1_11target_archE942ELNS1_3gpuE9ELNS1_3repE0EEENS1_36merge_oddeven_config_static_selectorELNS0_4arch9wavefront6targetE1EEEvSL_.kd
    .uniform_work_group_size: 1
    .uses_dynamic_stack: false
    .vgpr_count:     9
    .vgpr_spill_count: 0
    .wavefront_size: 64
  - .agpr_count:     0
    .args:
      - .offset:         0
        .size:           48
        .value_kind:     by_value
    .group_segment_fixed_size: 0
    .kernarg_segment_align: 8
    .kernarg_segment_size: 48
    .language:       OpenCL C
    .language_version:
      - 2
      - 0
    .max_flat_workgroup_size: 256
    .name:           _ZN7rocprim17ROCPRIM_400000_NS6detail17trampoline_kernelINS0_14default_configENS1_38merge_sort_block_merge_config_selectorIjNS0_10empty_typeEEEZZNS1_27merge_sort_block_merge_implIS3_N6thrust23THRUST_200600_302600_NS6detail15normal_iteratorINS9_10device_ptrIjEEEEPS5_jNS1_19radix_merge_compareILb0ELb0EjNS0_19identity_decomposerEEEEE10hipError_tT0_T1_T2_jT3_P12ihipStream_tbPNSt15iterator_traitsISK_E10value_typeEPNSQ_ISL_E10value_typeEPSM_NS1_7vsmem_tEENKUlT_SK_SL_SM_E_clIPjSE_SF_SF_EESJ_SZ_SK_SL_SM_EUlSZ_E1_NS1_11comp_targetILNS1_3genE4ELNS1_11target_archE910ELNS1_3gpuE8ELNS1_3repE0EEENS1_36merge_oddeven_config_static_selectorELNS0_4arch9wavefront6targetE1EEEvSL_
    .private_segment_fixed_size: 0
    .sgpr_count:     6
    .sgpr_spill_count: 0
    .symbol:         _ZN7rocprim17ROCPRIM_400000_NS6detail17trampoline_kernelINS0_14default_configENS1_38merge_sort_block_merge_config_selectorIjNS0_10empty_typeEEEZZNS1_27merge_sort_block_merge_implIS3_N6thrust23THRUST_200600_302600_NS6detail15normal_iteratorINS9_10device_ptrIjEEEEPS5_jNS1_19radix_merge_compareILb0ELb0EjNS0_19identity_decomposerEEEEE10hipError_tT0_T1_T2_jT3_P12ihipStream_tbPNSt15iterator_traitsISK_E10value_typeEPNSQ_ISL_E10value_typeEPSM_NS1_7vsmem_tEENKUlT_SK_SL_SM_E_clIPjSE_SF_SF_EESJ_SZ_SK_SL_SM_EUlSZ_E1_NS1_11comp_targetILNS1_3genE4ELNS1_11target_archE910ELNS1_3gpuE8ELNS1_3repE0EEENS1_36merge_oddeven_config_static_selectorELNS0_4arch9wavefront6targetE1EEEvSL_.kd
    .uniform_work_group_size: 1
    .uses_dynamic_stack: false
    .vgpr_count:     0
    .vgpr_spill_count: 0
    .wavefront_size: 64
  - .agpr_count:     0
    .args:
      - .offset:         0
        .size:           48
        .value_kind:     by_value
    .group_segment_fixed_size: 0
    .kernarg_segment_align: 8
    .kernarg_segment_size: 48
    .language:       OpenCL C
    .language_version:
      - 2
      - 0
    .max_flat_workgroup_size: 256
    .name:           _ZN7rocprim17ROCPRIM_400000_NS6detail17trampoline_kernelINS0_14default_configENS1_38merge_sort_block_merge_config_selectorIjNS0_10empty_typeEEEZZNS1_27merge_sort_block_merge_implIS3_N6thrust23THRUST_200600_302600_NS6detail15normal_iteratorINS9_10device_ptrIjEEEEPS5_jNS1_19radix_merge_compareILb0ELb0EjNS0_19identity_decomposerEEEEE10hipError_tT0_T1_T2_jT3_P12ihipStream_tbPNSt15iterator_traitsISK_E10value_typeEPNSQ_ISL_E10value_typeEPSM_NS1_7vsmem_tEENKUlT_SK_SL_SM_E_clIPjSE_SF_SF_EESJ_SZ_SK_SL_SM_EUlSZ_E1_NS1_11comp_targetILNS1_3genE3ELNS1_11target_archE908ELNS1_3gpuE7ELNS1_3repE0EEENS1_36merge_oddeven_config_static_selectorELNS0_4arch9wavefront6targetE1EEEvSL_
    .private_segment_fixed_size: 0
    .sgpr_count:     6
    .sgpr_spill_count: 0
    .symbol:         _ZN7rocprim17ROCPRIM_400000_NS6detail17trampoline_kernelINS0_14default_configENS1_38merge_sort_block_merge_config_selectorIjNS0_10empty_typeEEEZZNS1_27merge_sort_block_merge_implIS3_N6thrust23THRUST_200600_302600_NS6detail15normal_iteratorINS9_10device_ptrIjEEEEPS5_jNS1_19radix_merge_compareILb0ELb0EjNS0_19identity_decomposerEEEEE10hipError_tT0_T1_T2_jT3_P12ihipStream_tbPNSt15iterator_traitsISK_E10value_typeEPNSQ_ISL_E10value_typeEPSM_NS1_7vsmem_tEENKUlT_SK_SL_SM_E_clIPjSE_SF_SF_EESJ_SZ_SK_SL_SM_EUlSZ_E1_NS1_11comp_targetILNS1_3genE3ELNS1_11target_archE908ELNS1_3gpuE7ELNS1_3repE0EEENS1_36merge_oddeven_config_static_selectorELNS0_4arch9wavefront6targetE1EEEvSL_.kd
    .uniform_work_group_size: 1
    .uses_dynamic_stack: false
    .vgpr_count:     0
    .vgpr_spill_count: 0
    .wavefront_size: 64
  - .agpr_count:     0
    .args:
      - .offset:         0
        .size:           48
        .value_kind:     by_value
    .group_segment_fixed_size: 0
    .kernarg_segment_align: 8
    .kernarg_segment_size: 48
    .language:       OpenCL C
    .language_version:
      - 2
      - 0
    .max_flat_workgroup_size: 256
    .name:           _ZN7rocprim17ROCPRIM_400000_NS6detail17trampoline_kernelINS0_14default_configENS1_38merge_sort_block_merge_config_selectorIjNS0_10empty_typeEEEZZNS1_27merge_sort_block_merge_implIS3_N6thrust23THRUST_200600_302600_NS6detail15normal_iteratorINS9_10device_ptrIjEEEEPS5_jNS1_19radix_merge_compareILb0ELb0EjNS0_19identity_decomposerEEEEE10hipError_tT0_T1_T2_jT3_P12ihipStream_tbPNSt15iterator_traitsISK_E10value_typeEPNSQ_ISL_E10value_typeEPSM_NS1_7vsmem_tEENKUlT_SK_SL_SM_E_clIPjSE_SF_SF_EESJ_SZ_SK_SL_SM_EUlSZ_E1_NS1_11comp_targetILNS1_3genE2ELNS1_11target_archE906ELNS1_3gpuE6ELNS1_3repE0EEENS1_36merge_oddeven_config_static_selectorELNS0_4arch9wavefront6targetE1EEEvSL_
    .private_segment_fixed_size: 0
    .sgpr_count:     6
    .sgpr_spill_count: 0
    .symbol:         _ZN7rocprim17ROCPRIM_400000_NS6detail17trampoline_kernelINS0_14default_configENS1_38merge_sort_block_merge_config_selectorIjNS0_10empty_typeEEEZZNS1_27merge_sort_block_merge_implIS3_N6thrust23THRUST_200600_302600_NS6detail15normal_iteratorINS9_10device_ptrIjEEEEPS5_jNS1_19radix_merge_compareILb0ELb0EjNS0_19identity_decomposerEEEEE10hipError_tT0_T1_T2_jT3_P12ihipStream_tbPNSt15iterator_traitsISK_E10value_typeEPNSQ_ISL_E10value_typeEPSM_NS1_7vsmem_tEENKUlT_SK_SL_SM_E_clIPjSE_SF_SF_EESJ_SZ_SK_SL_SM_EUlSZ_E1_NS1_11comp_targetILNS1_3genE2ELNS1_11target_archE906ELNS1_3gpuE6ELNS1_3repE0EEENS1_36merge_oddeven_config_static_selectorELNS0_4arch9wavefront6targetE1EEEvSL_.kd
    .uniform_work_group_size: 1
    .uses_dynamic_stack: false
    .vgpr_count:     0
    .vgpr_spill_count: 0
    .wavefront_size: 64
  - .agpr_count:     0
    .args:
      - .offset:         0
        .size:           48
        .value_kind:     by_value
    .group_segment_fixed_size: 0
    .kernarg_segment_align: 8
    .kernarg_segment_size: 48
    .language:       OpenCL C
    .language_version:
      - 2
      - 0
    .max_flat_workgroup_size: 256
    .name:           _ZN7rocprim17ROCPRIM_400000_NS6detail17trampoline_kernelINS0_14default_configENS1_38merge_sort_block_merge_config_selectorIjNS0_10empty_typeEEEZZNS1_27merge_sort_block_merge_implIS3_N6thrust23THRUST_200600_302600_NS6detail15normal_iteratorINS9_10device_ptrIjEEEEPS5_jNS1_19radix_merge_compareILb0ELb0EjNS0_19identity_decomposerEEEEE10hipError_tT0_T1_T2_jT3_P12ihipStream_tbPNSt15iterator_traitsISK_E10value_typeEPNSQ_ISL_E10value_typeEPSM_NS1_7vsmem_tEENKUlT_SK_SL_SM_E_clIPjSE_SF_SF_EESJ_SZ_SK_SL_SM_EUlSZ_E1_NS1_11comp_targetILNS1_3genE9ELNS1_11target_archE1100ELNS1_3gpuE3ELNS1_3repE0EEENS1_36merge_oddeven_config_static_selectorELNS0_4arch9wavefront6targetE1EEEvSL_
    .private_segment_fixed_size: 0
    .sgpr_count:     6
    .sgpr_spill_count: 0
    .symbol:         _ZN7rocprim17ROCPRIM_400000_NS6detail17trampoline_kernelINS0_14default_configENS1_38merge_sort_block_merge_config_selectorIjNS0_10empty_typeEEEZZNS1_27merge_sort_block_merge_implIS3_N6thrust23THRUST_200600_302600_NS6detail15normal_iteratorINS9_10device_ptrIjEEEEPS5_jNS1_19radix_merge_compareILb0ELb0EjNS0_19identity_decomposerEEEEE10hipError_tT0_T1_T2_jT3_P12ihipStream_tbPNSt15iterator_traitsISK_E10value_typeEPNSQ_ISL_E10value_typeEPSM_NS1_7vsmem_tEENKUlT_SK_SL_SM_E_clIPjSE_SF_SF_EESJ_SZ_SK_SL_SM_EUlSZ_E1_NS1_11comp_targetILNS1_3genE9ELNS1_11target_archE1100ELNS1_3gpuE3ELNS1_3repE0EEENS1_36merge_oddeven_config_static_selectorELNS0_4arch9wavefront6targetE1EEEvSL_.kd
    .uniform_work_group_size: 1
    .uses_dynamic_stack: false
    .vgpr_count:     0
    .vgpr_spill_count: 0
    .wavefront_size: 64
  - .agpr_count:     0
    .args:
      - .offset:         0
        .size:           48
        .value_kind:     by_value
    .group_segment_fixed_size: 0
    .kernarg_segment_align: 8
    .kernarg_segment_size: 48
    .language:       OpenCL C
    .language_version:
      - 2
      - 0
    .max_flat_workgroup_size: 256
    .name:           _ZN7rocprim17ROCPRIM_400000_NS6detail17trampoline_kernelINS0_14default_configENS1_38merge_sort_block_merge_config_selectorIjNS0_10empty_typeEEEZZNS1_27merge_sort_block_merge_implIS3_N6thrust23THRUST_200600_302600_NS6detail15normal_iteratorINS9_10device_ptrIjEEEEPS5_jNS1_19radix_merge_compareILb0ELb0EjNS0_19identity_decomposerEEEEE10hipError_tT0_T1_T2_jT3_P12ihipStream_tbPNSt15iterator_traitsISK_E10value_typeEPNSQ_ISL_E10value_typeEPSM_NS1_7vsmem_tEENKUlT_SK_SL_SM_E_clIPjSE_SF_SF_EESJ_SZ_SK_SL_SM_EUlSZ_E1_NS1_11comp_targetILNS1_3genE8ELNS1_11target_archE1030ELNS1_3gpuE2ELNS1_3repE0EEENS1_36merge_oddeven_config_static_selectorELNS0_4arch9wavefront6targetE1EEEvSL_
    .private_segment_fixed_size: 0
    .sgpr_count:     6
    .sgpr_spill_count: 0
    .symbol:         _ZN7rocprim17ROCPRIM_400000_NS6detail17trampoline_kernelINS0_14default_configENS1_38merge_sort_block_merge_config_selectorIjNS0_10empty_typeEEEZZNS1_27merge_sort_block_merge_implIS3_N6thrust23THRUST_200600_302600_NS6detail15normal_iteratorINS9_10device_ptrIjEEEEPS5_jNS1_19radix_merge_compareILb0ELb0EjNS0_19identity_decomposerEEEEE10hipError_tT0_T1_T2_jT3_P12ihipStream_tbPNSt15iterator_traitsISK_E10value_typeEPNSQ_ISL_E10value_typeEPSM_NS1_7vsmem_tEENKUlT_SK_SL_SM_E_clIPjSE_SF_SF_EESJ_SZ_SK_SL_SM_EUlSZ_E1_NS1_11comp_targetILNS1_3genE8ELNS1_11target_archE1030ELNS1_3gpuE2ELNS1_3repE0EEENS1_36merge_oddeven_config_static_selectorELNS0_4arch9wavefront6targetE1EEEvSL_.kd
    .uniform_work_group_size: 1
    .uses_dynamic_stack: false
    .vgpr_count:     0
    .vgpr_spill_count: 0
    .wavefront_size: 64
  - .agpr_count:     0
    .args:
      - .offset:         0
        .size:           40
        .value_kind:     by_value
    .group_segment_fixed_size: 0
    .kernarg_segment_align: 8
    .kernarg_segment_size: 40
    .language:       OpenCL C
    .language_version:
      - 2
      - 0
    .max_flat_workgroup_size: 128
    .name:           _ZN7rocprim17ROCPRIM_400000_NS6detail17trampoline_kernelINS0_14default_configENS1_38merge_sort_block_merge_config_selectorIjNS0_10empty_typeEEEZZNS1_27merge_sort_block_merge_implIS3_N6thrust23THRUST_200600_302600_NS6detail15normal_iteratorINS9_10device_ptrIjEEEEPS5_jNS1_19radix_merge_compareILb0ELb0EjNS0_19identity_decomposerEEEEE10hipError_tT0_T1_T2_jT3_P12ihipStream_tbPNSt15iterator_traitsISK_E10value_typeEPNSQ_ISL_E10value_typeEPSM_NS1_7vsmem_tEENKUlT_SK_SL_SM_E_clISE_PjSF_SF_EESJ_SZ_SK_SL_SM_EUlSZ_E_NS1_11comp_targetILNS1_3genE0ELNS1_11target_archE4294967295ELNS1_3gpuE0ELNS1_3repE0EEENS1_48merge_mergepath_partition_config_static_selectorELNS0_4arch9wavefront6targetE1EEEvSL_
    .private_segment_fixed_size: 0
    .sgpr_count:     6
    .sgpr_spill_count: 0
    .symbol:         _ZN7rocprim17ROCPRIM_400000_NS6detail17trampoline_kernelINS0_14default_configENS1_38merge_sort_block_merge_config_selectorIjNS0_10empty_typeEEEZZNS1_27merge_sort_block_merge_implIS3_N6thrust23THRUST_200600_302600_NS6detail15normal_iteratorINS9_10device_ptrIjEEEEPS5_jNS1_19radix_merge_compareILb0ELb0EjNS0_19identity_decomposerEEEEE10hipError_tT0_T1_T2_jT3_P12ihipStream_tbPNSt15iterator_traitsISK_E10value_typeEPNSQ_ISL_E10value_typeEPSM_NS1_7vsmem_tEENKUlT_SK_SL_SM_E_clISE_PjSF_SF_EESJ_SZ_SK_SL_SM_EUlSZ_E_NS1_11comp_targetILNS1_3genE0ELNS1_11target_archE4294967295ELNS1_3gpuE0ELNS1_3repE0EEENS1_48merge_mergepath_partition_config_static_selectorELNS0_4arch9wavefront6targetE1EEEvSL_.kd
    .uniform_work_group_size: 1
    .uses_dynamic_stack: false
    .vgpr_count:     0
    .vgpr_spill_count: 0
    .wavefront_size: 64
  - .agpr_count:     0
    .args:
      - .offset:         0
        .size:           40
        .value_kind:     by_value
    .group_segment_fixed_size: 0
    .kernarg_segment_align: 8
    .kernarg_segment_size: 40
    .language:       OpenCL C
    .language_version:
      - 2
      - 0
    .max_flat_workgroup_size: 128
    .name:           _ZN7rocprim17ROCPRIM_400000_NS6detail17trampoline_kernelINS0_14default_configENS1_38merge_sort_block_merge_config_selectorIjNS0_10empty_typeEEEZZNS1_27merge_sort_block_merge_implIS3_N6thrust23THRUST_200600_302600_NS6detail15normal_iteratorINS9_10device_ptrIjEEEEPS5_jNS1_19radix_merge_compareILb0ELb0EjNS0_19identity_decomposerEEEEE10hipError_tT0_T1_T2_jT3_P12ihipStream_tbPNSt15iterator_traitsISK_E10value_typeEPNSQ_ISL_E10value_typeEPSM_NS1_7vsmem_tEENKUlT_SK_SL_SM_E_clISE_PjSF_SF_EESJ_SZ_SK_SL_SM_EUlSZ_E_NS1_11comp_targetILNS1_3genE10ELNS1_11target_archE1201ELNS1_3gpuE5ELNS1_3repE0EEENS1_48merge_mergepath_partition_config_static_selectorELNS0_4arch9wavefront6targetE1EEEvSL_
    .private_segment_fixed_size: 0
    .sgpr_count:     6
    .sgpr_spill_count: 0
    .symbol:         _ZN7rocprim17ROCPRIM_400000_NS6detail17trampoline_kernelINS0_14default_configENS1_38merge_sort_block_merge_config_selectorIjNS0_10empty_typeEEEZZNS1_27merge_sort_block_merge_implIS3_N6thrust23THRUST_200600_302600_NS6detail15normal_iteratorINS9_10device_ptrIjEEEEPS5_jNS1_19radix_merge_compareILb0ELb0EjNS0_19identity_decomposerEEEEE10hipError_tT0_T1_T2_jT3_P12ihipStream_tbPNSt15iterator_traitsISK_E10value_typeEPNSQ_ISL_E10value_typeEPSM_NS1_7vsmem_tEENKUlT_SK_SL_SM_E_clISE_PjSF_SF_EESJ_SZ_SK_SL_SM_EUlSZ_E_NS1_11comp_targetILNS1_3genE10ELNS1_11target_archE1201ELNS1_3gpuE5ELNS1_3repE0EEENS1_48merge_mergepath_partition_config_static_selectorELNS0_4arch9wavefront6targetE1EEEvSL_.kd
    .uniform_work_group_size: 1
    .uses_dynamic_stack: false
    .vgpr_count:     0
    .vgpr_spill_count: 0
    .wavefront_size: 64
  - .agpr_count:     0
    .args:
      - .offset:         0
        .size:           40
        .value_kind:     by_value
    .group_segment_fixed_size: 0
    .kernarg_segment_align: 8
    .kernarg_segment_size: 40
    .language:       OpenCL C
    .language_version:
      - 2
      - 0
    .max_flat_workgroup_size: 128
    .name:           _ZN7rocprim17ROCPRIM_400000_NS6detail17trampoline_kernelINS0_14default_configENS1_38merge_sort_block_merge_config_selectorIjNS0_10empty_typeEEEZZNS1_27merge_sort_block_merge_implIS3_N6thrust23THRUST_200600_302600_NS6detail15normal_iteratorINS9_10device_ptrIjEEEEPS5_jNS1_19radix_merge_compareILb0ELb0EjNS0_19identity_decomposerEEEEE10hipError_tT0_T1_T2_jT3_P12ihipStream_tbPNSt15iterator_traitsISK_E10value_typeEPNSQ_ISL_E10value_typeEPSM_NS1_7vsmem_tEENKUlT_SK_SL_SM_E_clISE_PjSF_SF_EESJ_SZ_SK_SL_SM_EUlSZ_E_NS1_11comp_targetILNS1_3genE5ELNS1_11target_archE942ELNS1_3gpuE9ELNS1_3repE0EEENS1_48merge_mergepath_partition_config_static_selectorELNS0_4arch9wavefront6targetE1EEEvSL_
    .private_segment_fixed_size: 0
    .sgpr_count:     14
    .sgpr_spill_count: 0
    .symbol:         _ZN7rocprim17ROCPRIM_400000_NS6detail17trampoline_kernelINS0_14default_configENS1_38merge_sort_block_merge_config_selectorIjNS0_10empty_typeEEEZZNS1_27merge_sort_block_merge_implIS3_N6thrust23THRUST_200600_302600_NS6detail15normal_iteratorINS9_10device_ptrIjEEEEPS5_jNS1_19radix_merge_compareILb0ELb0EjNS0_19identity_decomposerEEEEE10hipError_tT0_T1_T2_jT3_P12ihipStream_tbPNSt15iterator_traitsISK_E10value_typeEPNSQ_ISL_E10value_typeEPSM_NS1_7vsmem_tEENKUlT_SK_SL_SM_E_clISE_PjSF_SF_EESJ_SZ_SK_SL_SM_EUlSZ_E_NS1_11comp_targetILNS1_3genE5ELNS1_11target_archE942ELNS1_3gpuE9ELNS1_3repE0EEENS1_48merge_mergepath_partition_config_static_selectorELNS0_4arch9wavefront6targetE1EEEvSL_.kd
    .uniform_work_group_size: 1
    .uses_dynamic_stack: false
    .vgpr_count:     17
    .vgpr_spill_count: 0
    .wavefront_size: 64
  - .agpr_count:     0
    .args:
      - .offset:         0
        .size:           40
        .value_kind:     by_value
    .group_segment_fixed_size: 0
    .kernarg_segment_align: 8
    .kernarg_segment_size: 40
    .language:       OpenCL C
    .language_version:
      - 2
      - 0
    .max_flat_workgroup_size: 128
    .name:           _ZN7rocprim17ROCPRIM_400000_NS6detail17trampoline_kernelINS0_14default_configENS1_38merge_sort_block_merge_config_selectorIjNS0_10empty_typeEEEZZNS1_27merge_sort_block_merge_implIS3_N6thrust23THRUST_200600_302600_NS6detail15normal_iteratorINS9_10device_ptrIjEEEEPS5_jNS1_19radix_merge_compareILb0ELb0EjNS0_19identity_decomposerEEEEE10hipError_tT0_T1_T2_jT3_P12ihipStream_tbPNSt15iterator_traitsISK_E10value_typeEPNSQ_ISL_E10value_typeEPSM_NS1_7vsmem_tEENKUlT_SK_SL_SM_E_clISE_PjSF_SF_EESJ_SZ_SK_SL_SM_EUlSZ_E_NS1_11comp_targetILNS1_3genE4ELNS1_11target_archE910ELNS1_3gpuE8ELNS1_3repE0EEENS1_48merge_mergepath_partition_config_static_selectorELNS0_4arch9wavefront6targetE1EEEvSL_
    .private_segment_fixed_size: 0
    .sgpr_count:     6
    .sgpr_spill_count: 0
    .symbol:         _ZN7rocprim17ROCPRIM_400000_NS6detail17trampoline_kernelINS0_14default_configENS1_38merge_sort_block_merge_config_selectorIjNS0_10empty_typeEEEZZNS1_27merge_sort_block_merge_implIS3_N6thrust23THRUST_200600_302600_NS6detail15normal_iteratorINS9_10device_ptrIjEEEEPS5_jNS1_19radix_merge_compareILb0ELb0EjNS0_19identity_decomposerEEEEE10hipError_tT0_T1_T2_jT3_P12ihipStream_tbPNSt15iterator_traitsISK_E10value_typeEPNSQ_ISL_E10value_typeEPSM_NS1_7vsmem_tEENKUlT_SK_SL_SM_E_clISE_PjSF_SF_EESJ_SZ_SK_SL_SM_EUlSZ_E_NS1_11comp_targetILNS1_3genE4ELNS1_11target_archE910ELNS1_3gpuE8ELNS1_3repE0EEENS1_48merge_mergepath_partition_config_static_selectorELNS0_4arch9wavefront6targetE1EEEvSL_.kd
    .uniform_work_group_size: 1
    .uses_dynamic_stack: false
    .vgpr_count:     0
    .vgpr_spill_count: 0
    .wavefront_size: 64
  - .agpr_count:     0
    .args:
      - .offset:         0
        .size:           40
        .value_kind:     by_value
    .group_segment_fixed_size: 0
    .kernarg_segment_align: 8
    .kernarg_segment_size: 40
    .language:       OpenCL C
    .language_version:
      - 2
      - 0
    .max_flat_workgroup_size: 128
    .name:           _ZN7rocprim17ROCPRIM_400000_NS6detail17trampoline_kernelINS0_14default_configENS1_38merge_sort_block_merge_config_selectorIjNS0_10empty_typeEEEZZNS1_27merge_sort_block_merge_implIS3_N6thrust23THRUST_200600_302600_NS6detail15normal_iteratorINS9_10device_ptrIjEEEEPS5_jNS1_19radix_merge_compareILb0ELb0EjNS0_19identity_decomposerEEEEE10hipError_tT0_T1_T2_jT3_P12ihipStream_tbPNSt15iterator_traitsISK_E10value_typeEPNSQ_ISL_E10value_typeEPSM_NS1_7vsmem_tEENKUlT_SK_SL_SM_E_clISE_PjSF_SF_EESJ_SZ_SK_SL_SM_EUlSZ_E_NS1_11comp_targetILNS1_3genE3ELNS1_11target_archE908ELNS1_3gpuE7ELNS1_3repE0EEENS1_48merge_mergepath_partition_config_static_selectorELNS0_4arch9wavefront6targetE1EEEvSL_
    .private_segment_fixed_size: 0
    .sgpr_count:     6
    .sgpr_spill_count: 0
    .symbol:         _ZN7rocprim17ROCPRIM_400000_NS6detail17trampoline_kernelINS0_14default_configENS1_38merge_sort_block_merge_config_selectorIjNS0_10empty_typeEEEZZNS1_27merge_sort_block_merge_implIS3_N6thrust23THRUST_200600_302600_NS6detail15normal_iteratorINS9_10device_ptrIjEEEEPS5_jNS1_19radix_merge_compareILb0ELb0EjNS0_19identity_decomposerEEEEE10hipError_tT0_T1_T2_jT3_P12ihipStream_tbPNSt15iterator_traitsISK_E10value_typeEPNSQ_ISL_E10value_typeEPSM_NS1_7vsmem_tEENKUlT_SK_SL_SM_E_clISE_PjSF_SF_EESJ_SZ_SK_SL_SM_EUlSZ_E_NS1_11comp_targetILNS1_3genE3ELNS1_11target_archE908ELNS1_3gpuE7ELNS1_3repE0EEENS1_48merge_mergepath_partition_config_static_selectorELNS0_4arch9wavefront6targetE1EEEvSL_.kd
    .uniform_work_group_size: 1
    .uses_dynamic_stack: false
    .vgpr_count:     0
    .vgpr_spill_count: 0
    .wavefront_size: 64
  - .agpr_count:     0
    .args:
      - .offset:         0
        .size:           40
        .value_kind:     by_value
    .group_segment_fixed_size: 0
    .kernarg_segment_align: 8
    .kernarg_segment_size: 40
    .language:       OpenCL C
    .language_version:
      - 2
      - 0
    .max_flat_workgroup_size: 128
    .name:           _ZN7rocprim17ROCPRIM_400000_NS6detail17trampoline_kernelINS0_14default_configENS1_38merge_sort_block_merge_config_selectorIjNS0_10empty_typeEEEZZNS1_27merge_sort_block_merge_implIS3_N6thrust23THRUST_200600_302600_NS6detail15normal_iteratorINS9_10device_ptrIjEEEEPS5_jNS1_19radix_merge_compareILb0ELb0EjNS0_19identity_decomposerEEEEE10hipError_tT0_T1_T2_jT3_P12ihipStream_tbPNSt15iterator_traitsISK_E10value_typeEPNSQ_ISL_E10value_typeEPSM_NS1_7vsmem_tEENKUlT_SK_SL_SM_E_clISE_PjSF_SF_EESJ_SZ_SK_SL_SM_EUlSZ_E_NS1_11comp_targetILNS1_3genE2ELNS1_11target_archE906ELNS1_3gpuE6ELNS1_3repE0EEENS1_48merge_mergepath_partition_config_static_selectorELNS0_4arch9wavefront6targetE1EEEvSL_
    .private_segment_fixed_size: 0
    .sgpr_count:     6
    .sgpr_spill_count: 0
    .symbol:         _ZN7rocprim17ROCPRIM_400000_NS6detail17trampoline_kernelINS0_14default_configENS1_38merge_sort_block_merge_config_selectorIjNS0_10empty_typeEEEZZNS1_27merge_sort_block_merge_implIS3_N6thrust23THRUST_200600_302600_NS6detail15normal_iteratorINS9_10device_ptrIjEEEEPS5_jNS1_19radix_merge_compareILb0ELb0EjNS0_19identity_decomposerEEEEE10hipError_tT0_T1_T2_jT3_P12ihipStream_tbPNSt15iterator_traitsISK_E10value_typeEPNSQ_ISL_E10value_typeEPSM_NS1_7vsmem_tEENKUlT_SK_SL_SM_E_clISE_PjSF_SF_EESJ_SZ_SK_SL_SM_EUlSZ_E_NS1_11comp_targetILNS1_3genE2ELNS1_11target_archE906ELNS1_3gpuE6ELNS1_3repE0EEENS1_48merge_mergepath_partition_config_static_selectorELNS0_4arch9wavefront6targetE1EEEvSL_.kd
    .uniform_work_group_size: 1
    .uses_dynamic_stack: false
    .vgpr_count:     0
    .vgpr_spill_count: 0
    .wavefront_size: 64
  - .agpr_count:     0
    .args:
      - .offset:         0
        .size:           40
        .value_kind:     by_value
    .group_segment_fixed_size: 0
    .kernarg_segment_align: 8
    .kernarg_segment_size: 40
    .language:       OpenCL C
    .language_version:
      - 2
      - 0
    .max_flat_workgroup_size: 128
    .name:           _ZN7rocprim17ROCPRIM_400000_NS6detail17trampoline_kernelINS0_14default_configENS1_38merge_sort_block_merge_config_selectorIjNS0_10empty_typeEEEZZNS1_27merge_sort_block_merge_implIS3_N6thrust23THRUST_200600_302600_NS6detail15normal_iteratorINS9_10device_ptrIjEEEEPS5_jNS1_19radix_merge_compareILb0ELb0EjNS0_19identity_decomposerEEEEE10hipError_tT0_T1_T2_jT3_P12ihipStream_tbPNSt15iterator_traitsISK_E10value_typeEPNSQ_ISL_E10value_typeEPSM_NS1_7vsmem_tEENKUlT_SK_SL_SM_E_clISE_PjSF_SF_EESJ_SZ_SK_SL_SM_EUlSZ_E_NS1_11comp_targetILNS1_3genE9ELNS1_11target_archE1100ELNS1_3gpuE3ELNS1_3repE0EEENS1_48merge_mergepath_partition_config_static_selectorELNS0_4arch9wavefront6targetE1EEEvSL_
    .private_segment_fixed_size: 0
    .sgpr_count:     6
    .sgpr_spill_count: 0
    .symbol:         _ZN7rocprim17ROCPRIM_400000_NS6detail17trampoline_kernelINS0_14default_configENS1_38merge_sort_block_merge_config_selectorIjNS0_10empty_typeEEEZZNS1_27merge_sort_block_merge_implIS3_N6thrust23THRUST_200600_302600_NS6detail15normal_iteratorINS9_10device_ptrIjEEEEPS5_jNS1_19radix_merge_compareILb0ELb0EjNS0_19identity_decomposerEEEEE10hipError_tT0_T1_T2_jT3_P12ihipStream_tbPNSt15iterator_traitsISK_E10value_typeEPNSQ_ISL_E10value_typeEPSM_NS1_7vsmem_tEENKUlT_SK_SL_SM_E_clISE_PjSF_SF_EESJ_SZ_SK_SL_SM_EUlSZ_E_NS1_11comp_targetILNS1_3genE9ELNS1_11target_archE1100ELNS1_3gpuE3ELNS1_3repE0EEENS1_48merge_mergepath_partition_config_static_selectorELNS0_4arch9wavefront6targetE1EEEvSL_.kd
    .uniform_work_group_size: 1
    .uses_dynamic_stack: false
    .vgpr_count:     0
    .vgpr_spill_count: 0
    .wavefront_size: 64
  - .agpr_count:     0
    .args:
      - .offset:         0
        .size:           40
        .value_kind:     by_value
    .group_segment_fixed_size: 0
    .kernarg_segment_align: 8
    .kernarg_segment_size: 40
    .language:       OpenCL C
    .language_version:
      - 2
      - 0
    .max_flat_workgroup_size: 128
    .name:           _ZN7rocprim17ROCPRIM_400000_NS6detail17trampoline_kernelINS0_14default_configENS1_38merge_sort_block_merge_config_selectorIjNS0_10empty_typeEEEZZNS1_27merge_sort_block_merge_implIS3_N6thrust23THRUST_200600_302600_NS6detail15normal_iteratorINS9_10device_ptrIjEEEEPS5_jNS1_19radix_merge_compareILb0ELb0EjNS0_19identity_decomposerEEEEE10hipError_tT0_T1_T2_jT3_P12ihipStream_tbPNSt15iterator_traitsISK_E10value_typeEPNSQ_ISL_E10value_typeEPSM_NS1_7vsmem_tEENKUlT_SK_SL_SM_E_clISE_PjSF_SF_EESJ_SZ_SK_SL_SM_EUlSZ_E_NS1_11comp_targetILNS1_3genE8ELNS1_11target_archE1030ELNS1_3gpuE2ELNS1_3repE0EEENS1_48merge_mergepath_partition_config_static_selectorELNS0_4arch9wavefront6targetE1EEEvSL_
    .private_segment_fixed_size: 0
    .sgpr_count:     6
    .sgpr_spill_count: 0
    .symbol:         _ZN7rocprim17ROCPRIM_400000_NS6detail17trampoline_kernelINS0_14default_configENS1_38merge_sort_block_merge_config_selectorIjNS0_10empty_typeEEEZZNS1_27merge_sort_block_merge_implIS3_N6thrust23THRUST_200600_302600_NS6detail15normal_iteratorINS9_10device_ptrIjEEEEPS5_jNS1_19radix_merge_compareILb0ELb0EjNS0_19identity_decomposerEEEEE10hipError_tT0_T1_T2_jT3_P12ihipStream_tbPNSt15iterator_traitsISK_E10value_typeEPNSQ_ISL_E10value_typeEPSM_NS1_7vsmem_tEENKUlT_SK_SL_SM_E_clISE_PjSF_SF_EESJ_SZ_SK_SL_SM_EUlSZ_E_NS1_11comp_targetILNS1_3genE8ELNS1_11target_archE1030ELNS1_3gpuE2ELNS1_3repE0EEENS1_48merge_mergepath_partition_config_static_selectorELNS0_4arch9wavefront6targetE1EEEvSL_.kd
    .uniform_work_group_size: 1
    .uses_dynamic_stack: false
    .vgpr_count:     0
    .vgpr_spill_count: 0
    .wavefront_size: 64
  - .agpr_count:     0
    .args:
      - .offset:         0
        .size:           64
        .value_kind:     by_value
    .group_segment_fixed_size: 0
    .kernarg_segment_align: 8
    .kernarg_segment_size: 64
    .language:       OpenCL C
    .language_version:
      - 2
      - 0
    .max_flat_workgroup_size: 128
    .name:           _ZN7rocprim17ROCPRIM_400000_NS6detail17trampoline_kernelINS0_14default_configENS1_38merge_sort_block_merge_config_selectorIjNS0_10empty_typeEEEZZNS1_27merge_sort_block_merge_implIS3_N6thrust23THRUST_200600_302600_NS6detail15normal_iteratorINS9_10device_ptrIjEEEEPS5_jNS1_19radix_merge_compareILb0ELb0EjNS0_19identity_decomposerEEEEE10hipError_tT0_T1_T2_jT3_P12ihipStream_tbPNSt15iterator_traitsISK_E10value_typeEPNSQ_ISL_E10value_typeEPSM_NS1_7vsmem_tEENKUlT_SK_SL_SM_E_clISE_PjSF_SF_EESJ_SZ_SK_SL_SM_EUlSZ_E0_NS1_11comp_targetILNS1_3genE0ELNS1_11target_archE4294967295ELNS1_3gpuE0ELNS1_3repE0EEENS1_38merge_mergepath_config_static_selectorELNS0_4arch9wavefront6targetE1EEEvSL_
    .private_segment_fixed_size: 0
    .sgpr_count:     6
    .sgpr_spill_count: 0
    .symbol:         _ZN7rocprim17ROCPRIM_400000_NS6detail17trampoline_kernelINS0_14default_configENS1_38merge_sort_block_merge_config_selectorIjNS0_10empty_typeEEEZZNS1_27merge_sort_block_merge_implIS3_N6thrust23THRUST_200600_302600_NS6detail15normal_iteratorINS9_10device_ptrIjEEEEPS5_jNS1_19radix_merge_compareILb0ELb0EjNS0_19identity_decomposerEEEEE10hipError_tT0_T1_T2_jT3_P12ihipStream_tbPNSt15iterator_traitsISK_E10value_typeEPNSQ_ISL_E10value_typeEPSM_NS1_7vsmem_tEENKUlT_SK_SL_SM_E_clISE_PjSF_SF_EESJ_SZ_SK_SL_SM_EUlSZ_E0_NS1_11comp_targetILNS1_3genE0ELNS1_11target_archE4294967295ELNS1_3gpuE0ELNS1_3repE0EEENS1_38merge_mergepath_config_static_selectorELNS0_4arch9wavefront6targetE1EEEvSL_.kd
    .uniform_work_group_size: 1
    .uses_dynamic_stack: false
    .vgpr_count:     0
    .vgpr_spill_count: 0
    .wavefront_size: 64
  - .agpr_count:     0
    .args:
      - .offset:         0
        .size:           64
        .value_kind:     by_value
    .group_segment_fixed_size: 0
    .kernarg_segment_align: 8
    .kernarg_segment_size: 64
    .language:       OpenCL C
    .language_version:
      - 2
      - 0
    .max_flat_workgroup_size: 256
    .name:           _ZN7rocprim17ROCPRIM_400000_NS6detail17trampoline_kernelINS0_14default_configENS1_38merge_sort_block_merge_config_selectorIjNS0_10empty_typeEEEZZNS1_27merge_sort_block_merge_implIS3_N6thrust23THRUST_200600_302600_NS6detail15normal_iteratorINS9_10device_ptrIjEEEEPS5_jNS1_19radix_merge_compareILb0ELb0EjNS0_19identity_decomposerEEEEE10hipError_tT0_T1_T2_jT3_P12ihipStream_tbPNSt15iterator_traitsISK_E10value_typeEPNSQ_ISL_E10value_typeEPSM_NS1_7vsmem_tEENKUlT_SK_SL_SM_E_clISE_PjSF_SF_EESJ_SZ_SK_SL_SM_EUlSZ_E0_NS1_11comp_targetILNS1_3genE10ELNS1_11target_archE1201ELNS1_3gpuE5ELNS1_3repE0EEENS1_38merge_mergepath_config_static_selectorELNS0_4arch9wavefront6targetE1EEEvSL_
    .private_segment_fixed_size: 0
    .sgpr_count:     6
    .sgpr_spill_count: 0
    .symbol:         _ZN7rocprim17ROCPRIM_400000_NS6detail17trampoline_kernelINS0_14default_configENS1_38merge_sort_block_merge_config_selectorIjNS0_10empty_typeEEEZZNS1_27merge_sort_block_merge_implIS3_N6thrust23THRUST_200600_302600_NS6detail15normal_iteratorINS9_10device_ptrIjEEEEPS5_jNS1_19radix_merge_compareILb0ELb0EjNS0_19identity_decomposerEEEEE10hipError_tT0_T1_T2_jT3_P12ihipStream_tbPNSt15iterator_traitsISK_E10value_typeEPNSQ_ISL_E10value_typeEPSM_NS1_7vsmem_tEENKUlT_SK_SL_SM_E_clISE_PjSF_SF_EESJ_SZ_SK_SL_SM_EUlSZ_E0_NS1_11comp_targetILNS1_3genE10ELNS1_11target_archE1201ELNS1_3gpuE5ELNS1_3repE0EEENS1_38merge_mergepath_config_static_selectorELNS0_4arch9wavefront6targetE1EEEvSL_.kd
    .uniform_work_group_size: 1
    .uses_dynamic_stack: false
    .vgpr_count:     0
    .vgpr_spill_count: 0
    .wavefront_size: 64
  - .agpr_count:     0
    .args:
      - .offset:         0
        .size:           64
        .value_kind:     by_value
      - .offset:         64
        .size:           4
        .value_kind:     hidden_block_count_x
      - .offset:         68
        .size:           4
        .value_kind:     hidden_block_count_y
      - .offset:         72
        .size:           4
        .value_kind:     hidden_block_count_z
      - .offset:         76
        .size:           2
        .value_kind:     hidden_group_size_x
      - .offset:         78
        .size:           2
        .value_kind:     hidden_group_size_y
      - .offset:         80
        .size:           2
        .value_kind:     hidden_group_size_z
      - .offset:         82
        .size:           2
        .value_kind:     hidden_remainder_x
      - .offset:         84
        .size:           2
        .value_kind:     hidden_remainder_y
      - .offset:         86
        .size:           2
        .value_kind:     hidden_remainder_z
      - .offset:         104
        .size:           8
        .value_kind:     hidden_global_offset_x
      - .offset:         112
        .size:           8
        .value_kind:     hidden_global_offset_y
      - .offset:         120
        .size:           8
        .value_kind:     hidden_global_offset_z
      - .offset:         128
        .size:           2
        .value_kind:     hidden_grid_dims
    .group_segment_fixed_size: 4224
    .kernarg_segment_align: 8
    .kernarg_segment_size: 320
    .language:       OpenCL C
    .language_version:
      - 2
      - 0
    .max_flat_workgroup_size: 128
    .name:           _ZN7rocprim17ROCPRIM_400000_NS6detail17trampoline_kernelINS0_14default_configENS1_38merge_sort_block_merge_config_selectorIjNS0_10empty_typeEEEZZNS1_27merge_sort_block_merge_implIS3_N6thrust23THRUST_200600_302600_NS6detail15normal_iteratorINS9_10device_ptrIjEEEEPS5_jNS1_19radix_merge_compareILb0ELb0EjNS0_19identity_decomposerEEEEE10hipError_tT0_T1_T2_jT3_P12ihipStream_tbPNSt15iterator_traitsISK_E10value_typeEPNSQ_ISL_E10value_typeEPSM_NS1_7vsmem_tEENKUlT_SK_SL_SM_E_clISE_PjSF_SF_EESJ_SZ_SK_SL_SM_EUlSZ_E0_NS1_11comp_targetILNS1_3genE5ELNS1_11target_archE942ELNS1_3gpuE9ELNS1_3repE0EEENS1_38merge_mergepath_config_static_selectorELNS0_4arch9wavefront6targetE1EEEvSL_
    .private_segment_fixed_size: 0
    .sgpr_count:     30
    .sgpr_spill_count: 0
    .symbol:         _ZN7rocprim17ROCPRIM_400000_NS6detail17trampoline_kernelINS0_14default_configENS1_38merge_sort_block_merge_config_selectorIjNS0_10empty_typeEEEZZNS1_27merge_sort_block_merge_implIS3_N6thrust23THRUST_200600_302600_NS6detail15normal_iteratorINS9_10device_ptrIjEEEEPS5_jNS1_19radix_merge_compareILb0ELb0EjNS0_19identity_decomposerEEEEE10hipError_tT0_T1_T2_jT3_P12ihipStream_tbPNSt15iterator_traitsISK_E10value_typeEPNSQ_ISL_E10value_typeEPSM_NS1_7vsmem_tEENKUlT_SK_SL_SM_E_clISE_PjSF_SF_EESJ_SZ_SK_SL_SM_EUlSZ_E0_NS1_11comp_targetILNS1_3genE5ELNS1_11target_archE942ELNS1_3gpuE9ELNS1_3repE0EEENS1_38merge_mergepath_config_static_selectorELNS0_4arch9wavefront6targetE1EEEvSL_.kd
    .uniform_work_group_size: 1
    .uses_dynamic_stack: false
    .vgpr_count:     26
    .vgpr_spill_count: 0
    .wavefront_size: 64
  - .agpr_count:     0
    .args:
      - .offset:         0
        .size:           64
        .value_kind:     by_value
    .group_segment_fixed_size: 0
    .kernarg_segment_align: 8
    .kernarg_segment_size: 64
    .language:       OpenCL C
    .language_version:
      - 2
      - 0
    .max_flat_workgroup_size: 128
    .name:           _ZN7rocprim17ROCPRIM_400000_NS6detail17trampoline_kernelINS0_14default_configENS1_38merge_sort_block_merge_config_selectorIjNS0_10empty_typeEEEZZNS1_27merge_sort_block_merge_implIS3_N6thrust23THRUST_200600_302600_NS6detail15normal_iteratorINS9_10device_ptrIjEEEEPS5_jNS1_19radix_merge_compareILb0ELb0EjNS0_19identity_decomposerEEEEE10hipError_tT0_T1_T2_jT3_P12ihipStream_tbPNSt15iterator_traitsISK_E10value_typeEPNSQ_ISL_E10value_typeEPSM_NS1_7vsmem_tEENKUlT_SK_SL_SM_E_clISE_PjSF_SF_EESJ_SZ_SK_SL_SM_EUlSZ_E0_NS1_11comp_targetILNS1_3genE4ELNS1_11target_archE910ELNS1_3gpuE8ELNS1_3repE0EEENS1_38merge_mergepath_config_static_selectorELNS0_4arch9wavefront6targetE1EEEvSL_
    .private_segment_fixed_size: 0
    .sgpr_count:     6
    .sgpr_spill_count: 0
    .symbol:         _ZN7rocprim17ROCPRIM_400000_NS6detail17trampoline_kernelINS0_14default_configENS1_38merge_sort_block_merge_config_selectorIjNS0_10empty_typeEEEZZNS1_27merge_sort_block_merge_implIS3_N6thrust23THRUST_200600_302600_NS6detail15normal_iteratorINS9_10device_ptrIjEEEEPS5_jNS1_19radix_merge_compareILb0ELb0EjNS0_19identity_decomposerEEEEE10hipError_tT0_T1_T2_jT3_P12ihipStream_tbPNSt15iterator_traitsISK_E10value_typeEPNSQ_ISL_E10value_typeEPSM_NS1_7vsmem_tEENKUlT_SK_SL_SM_E_clISE_PjSF_SF_EESJ_SZ_SK_SL_SM_EUlSZ_E0_NS1_11comp_targetILNS1_3genE4ELNS1_11target_archE910ELNS1_3gpuE8ELNS1_3repE0EEENS1_38merge_mergepath_config_static_selectorELNS0_4arch9wavefront6targetE1EEEvSL_.kd
    .uniform_work_group_size: 1
    .uses_dynamic_stack: false
    .vgpr_count:     0
    .vgpr_spill_count: 0
    .wavefront_size: 64
  - .agpr_count:     0
    .args:
      - .offset:         0
        .size:           64
        .value_kind:     by_value
    .group_segment_fixed_size: 0
    .kernarg_segment_align: 8
    .kernarg_segment_size: 64
    .language:       OpenCL C
    .language_version:
      - 2
      - 0
    .max_flat_workgroup_size: 128
    .name:           _ZN7rocprim17ROCPRIM_400000_NS6detail17trampoline_kernelINS0_14default_configENS1_38merge_sort_block_merge_config_selectorIjNS0_10empty_typeEEEZZNS1_27merge_sort_block_merge_implIS3_N6thrust23THRUST_200600_302600_NS6detail15normal_iteratorINS9_10device_ptrIjEEEEPS5_jNS1_19radix_merge_compareILb0ELb0EjNS0_19identity_decomposerEEEEE10hipError_tT0_T1_T2_jT3_P12ihipStream_tbPNSt15iterator_traitsISK_E10value_typeEPNSQ_ISL_E10value_typeEPSM_NS1_7vsmem_tEENKUlT_SK_SL_SM_E_clISE_PjSF_SF_EESJ_SZ_SK_SL_SM_EUlSZ_E0_NS1_11comp_targetILNS1_3genE3ELNS1_11target_archE908ELNS1_3gpuE7ELNS1_3repE0EEENS1_38merge_mergepath_config_static_selectorELNS0_4arch9wavefront6targetE1EEEvSL_
    .private_segment_fixed_size: 0
    .sgpr_count:     6
    .sgpr_spill_count: 0
    .symbol:         _ZN7rocprim17ROCPRIM_400000_NS6detail17trampoline_kernelINS0_14default_configENS1_38merge_sort_block_merge_config_selectorIjNS0_10empty_typeEEEZZNS1_27merge_sort_block_merge_implIS3_N6thrust23THRUST_200600_302600_NS6detail15normal_iteratorINS9_10device_ptrIjEEEEPS5_jNS1_19radix_merge_compareILb0ELb0EjNS0_19identity_decomposerEEEEE10hipError_tT0_T1_T2_jT3_P12ihipStream_tbPNSt15iterator_traitsISK_E10value_typeEPNSQ_ISL_E10value_typeEPSM_NS1_7vsmem_tEENKUlT_SK_SL_SM_E_clISE_PjSF_SF_EESJ_SZ_SK_SL_SM_EUlSZ_E0_NS1_11comp_targetILNS1_3genE3ELNS1_11target_archE908ELNS1_3gpuE7ELNS1_3repE0EEENS1_38merge_mergepath_config_static_selectorELNS0_4arch9wavefront6targetE1EEEvSL_.kd
    .uniform_work_group_size: 1
    .uses_dynamic_stack: false
    .vgpr_count:     0
    .vgpr_spill_count: 0
    .wavefront_size: 64
  - .agpr_count:     0
    .args:
      - .offset:         0
        .size:           64
        .value_kind:     by_value
    .group_segment_fixed_size: 0
    .kernarg_segment_align: 8
    .kernarg_segment_size: 64
    .language:       OpenCL C
    .language_version:
      - 2
      - 0
    .max_flat_workgroup_size: 128
    .name:           _ZN7rocprim17ROCPRIM_400000_NS6detail17trampoline_kernelINS0_14default_configENS1_38merge_sort_block_merge_config_selectorIjNS0_10empty_typeEEEZZNS1_27merge_sort_block_merge_implIS3_N6thrust23THRUST_200600_302600_NS6detail15normal_iteratorINS9_10device_ptrIjEEEEPS5_jNS1_19radix_merge_compareILb0ELb0EjNS0_19identity_decomposerEEEEE10hipError_tT0_T1_T2_jT3_P12ihipStream_tbPNSt15iterator_traitsISK_E10value_typeEPNSQ_ISL_E10value_typeEPSM_NS1_7vsmem_tEENKUlT_SK_SL_SM_E_clISE_PjSF_SF_EESJ_SZ_SK_SL_SM_EUlSZ_E0_NS1_11comp_targetILNS1_3genE2ELNS1_11target_archE906ELNS1_3gpuE6ELNS1_3repE0EEENS1_38merge_mergepath_config_static_selectorELNS0_4arch9wavefront6targetE1EEEvSL_
    .private_segment_fixed_size: 0
    .sgpr_count:     6
    .sgpr_spill_count: 0
    .symbol:         _ZN7rocprim17ROCPRIM_400000_NS6detail17trampoline_kernelINS0_14default_configENS1_38merge_sort_block_merge_config_selectorIjNS0_10empty_typeEEEZZNS1_27merge_sort_block_merge_implIS3_N6thrust23THRUST_200600_302600_NS6detail15normal_iteratorINS9_10device_ptrIjEEEEPS5_jNS1_19radix_merge_compareILb0ELb0EjNS0_19identity_decomposerEEEEE10hipError_tT0_T1_T2_jT3_P12ihipStream_tbPNSt15iterator_traitsISK_E10value_typeEPNSQ_ISL_E10value_typeEPSM_NS1_7vsmem_tEENKUlT_SK_SL_SM_E_clISE_PjSF_SF_EESJ_SZ_SK_SL_SM_EUlSZ_E0_NS1_11comp_targetILNS1_3genE2ELNS1_11target_archE906ELNS1_3gpuE6ELNS1_3repE0EEENS1_38merge_mergepath_config_static_selectorELNS0_4arch9wavefront6targetE1EEEvSL_.kd
    .uniform_work_group_size: 1
    .uses_dynamic_stack: false
    .vgpr_count:     0
    .vgpr_spill_count: 0
    .wavefront_size: 64
  - .agpr_count:     0
    .args:
      - .offset:         0
        .size:           64
        .value_kind:     by_value
    .group_segment_fixed_size: 0
    .kernarg_segment_align: 8
    .kernarg_segment_size: 64
    .language:       OpenCL C
    .language_version:
      - 2
      - 0
    .max_flat_workgroup_size: 256
    .name:           _ZN7rocprim17ROCPRIM_400000_NS6detail17trampoline_kernelINS0_14default_configENS1_38merge_sort_block_merge_config_selectorIjNS0_10empty_typeEEEZZNS1_27merge_sort_block_merge_implIS3_N6thrust23THRUST_200600_302600_NS6detail15normal_iteratorINS9_10device_ptrIjEEEEPS5_jNS1_19radix_merge_compareILb0ELb0EjNS0_19identity_decomposerEEEEE10hipError_tT0_T1_T2_jT3_P12ihipStream_tbPNSt15iterator_traitsISK_E10value_typeEPNSQ_ISL_E10value_typeEPSM_NS1_7vsmem_tEENKUlT_SK_SL_SM_E_clISE_PjSF_SF_EESJ_SZ_SK_SL_SM_EUlSZ_E0_NS1_11comp_targetILNS1_3genE9ELNS1_11target_archE1100ELNS1_3gpuE3ELNS1_3repE0EEENS1_38merge_mergepath_config_static_selectorELNS0_4arch9wavefront6targetE1EEEvSL_
    .private_segment_fixed_size: 0
    .sgpr_count:     6
    .sgpr_spill_count: 0
    .symbol:         _ZN7rocprim17ROCPRIM_400000_NS6detail17trampoline_kernelINS0_14default_configENS1_38merge_sort_block_merge_config_selectorIjNS0_10empty_typeEEEZZNS1_27merge_sort_block_merge_implIS3_N6thrust23THRUST_200600_302600_NS6detail15normal_iteratorINS9_10device_ptrIjEEEEPS5_jNS1_19radix_merge_compareILb0ELb0EjNS0_19identity_decomposerEEEEE10hipError_tT0_T1_T2_jT3_P12ihipStream_tbPNSt15iterator_traitsISK_E10value_typeEPNSQ_ISL_E10value_typeEPSM_NS1_7vsmem_tEENKUlT_SK_SL_SM_E_clISE_PjSF_SF_EESJ_SZ_SK_SL_SM_EUlSZ_E0_NS1_11comp_targetILNS1_3genE9ELNS1_11target_archE1100ELNS1_3gpuE3ELNS1_3repE0EEENS1_38merge_mergepath_config_static_selectorELNS0_4arch9wavefront6targetE1EEEvSL_.kd
    .uniform_work_group_size: 1
    .uses_dynamic_stack: false
    .vgpr_count:     0
    .vgpr_spill_count: 0
    .wavefront_size: 64
  - .agpr_count:     0
    .args:
      - .offset:         0
        .size:           64
        .value_kind:     by_value
    .group_segment_fixed_size: 0
    .kernarg_segment_align: 8
    .kernarg_segment_size: 64
    .language:       OpenCL C
    .language_version:
      - 2
      - 0
    .max_flat_workgroup_size: 512
    .name:           _ZN7rocprim17ROCPRIM_400000_NS6detail17trampoline_kernelINS0_14default_configENS1_38merge_sort_block_merge_config_selectorIjNS0_10empty_typeEEEZZNS1_27merge_sort_block_merge_implIS3_N6thrust23THRUST_200600_302600_NS6detail15normal_iteratorINS9_10device_ptrIjEEEEPS5_jNS1_19radix_merge_compareILb0ELb0EjNS0_19identity_decomposerEEEEE10hipError_tT0_T1_T2_jT3_P12ihipStream_tbPNSt15iterator_traitsISK_E10value_typeEPNSQ_ISL_E10value_typeEPSM_NS1_7vsmem_tEENKUlT_SK_SL_SM_E_clISE_PjSF_SF_EESJ_SZ_SK_SL_SM_EUlSZ_E0_NS1_11comp_targetILNS1_3genE8ELNS1_11target_archE1030ELNS1_3gpuE2ELNS1_3repE0EEENS1_38merge_mergepath_config_static_selectorELNS0_4arch9wavefront6targetE1EEEvSL_
    .private_segment_fixed_size: 0
    .sgpr_count:     6
    .sgpr_spill_count: 0
    .symbol:         _ZN7rocprim17ROCPRIM_400000_NS6detail17trampoline_kernelINS0_14default_configENS1_38merge_sort_block_merge_config_selectorIjNS0_10empty_typeEEEZZNS1_27merge_sort_block_merge_implIS3_N6thrust23THRUST_200600_302600_NS6detail15normal_iteratorINS9_10device_ptrIjEEEEPS5_jNS1_19radix_merge_compareILb0ELb0EjNS0_19identity_decomposerEEEEE10hipError_tT0_T1_T2_jT3_P12ihipStream_tbPNSt15iterator_traitsISK_E10value_typeEPNSQ_ISL_E10value_typeEPSM_NS1_7vsmem_tEENKUlT_SK_SL_SM_E_clISE_PjSF_SF_EESJ_SZ_SK_SL_SM_EUlSZ_E0_NS1_11comp_targetILNS1_3genE8ELNS1_11target_archE1030ELNS1_3gpuE2ELNS1_3repE0EEENS1_38merge_mergepath_config_static_selectorELNS0_4arch9wavefront6targetE1EEEvSL_.kd
    .uniform_work_group_size: 1
    .uses_dynamic_stack: false
    .vgpr_count:     0
    .vgpr_spill_count: 0
    .wavefront_size: 64
  - .agpr_count:     0
    .args:
      - .offset:         0
        .size:           48
        .value_kind:     by_value
    .group_segment_fixed_size: 0
    .kernarg_segment_align: 8
    .kernarg_segment_size: 48
    .language:       OpenCL C
    .language_version:
      - 2
      - 0
    .max_flat_workgroup_size: 256
    .name:           _ZN7rocprim17ROCPRIM_400000_NS6detail17trampoline_kernelINS0_14default_configENS1_38merge_sort_block_merge_config_selectorIjNS0_10empty_typeEEEZZNS1_27merge_sort_block_merge_implIS3_N6thrust23THRUST_200600_302600_NS6detail15normal_iteratorINS9_10device_ptrIjEEEEPS5_jNS1_19radix_merge_compareILb0ELb0EjNS0_19identity_decomposerEEEEE10hipError_tT0_T1_T2_jT3_P12ihipStream_tbPNSt15iterator_traitsISK_E10value_typeEPNSQ_ISL_E10value_typeEPSM_NS1_7vsmem_tEENKUlT_SK_SL_SM_E_clISE_PjSF_SF_EESJ_SZ_SK_SL_SM_EUlSZ_E1_NS1_11comp_targetILNS1_3genE0ELNS1_11target_archE4294967295ELNS1_3gpuE0ELNS1_3repE0EEENS1_36merge_oddeven_config_static_selectorELNS0_4arch9wavefront6targetE1EEEvSL_
    .private_segment_fixed_size: 0
    .sgpr_count:     6
    .sgpr_spill_count: 0
    .symbol:         _ZN7rocprim17ROCPRIM_400000_NS6detail17trampoline_kernelINS0_14default_configENS1_38merge_sort_block_merge_config_selectorIjNS0_10empty_typeEEEZZNS1_27merge_sort_block_merge_implIS3_N6thrust23THRUST_200600_302600_NS6detail15normal_iteratorINS9_10device_ptrIjEEEEPS5_jNS1_19radix_merge_compareILb0ELb0EjNS0_19identity_decomposerEEEEE10hipError_tT0_T1_T2_jT3_P12ihipStream_tbPNSt15iterator_traitsISK_E10value_typeEPNSQ_ISL_E10value_typeEPSM_NS1_7vsmem_tEENKUlT_SK_SL_SM_E_clISE_PjSF_SF_EESJ_SZ_SK_SL_SM_EUlSZ_E1_NS1_11comp_targetILNS1_3genE0ELNS1_11target_archE4294967295ELNS1_3gpuE0ELNS1_3repE0EEENS1_36merge_oddeven_config_static_selectorELNS0_4arch9wavefront6targetE1EEEvSL_.kd
    .uniform_work_group_size: 1
    .uses_dynamic_stack: false
    .vgpr_count:     0
    .vgpr_spill_count: 0
    .wavefront_size: 64
  - .agpr_count:     0
    .args:
      - .offset:         0
        .size:           48
        .value_kind:     by_value
    .group_segment_fixed_size: 0
    .kernarg_segment_align: 8
    .kernarg_segment_size: 48
    .language:       OpenCL C
    .language_version:
      - 2
      - 0
    .max_flat_workgroup_size: 256
    .name:           _ZN7rocprim17ROCPRIM_400000_NS6detail17trampoline_kernelINS0_14default_configENS1_38merge_sort_block_merge_config_selectorIjNS0_10empty_typeEEEZZNS1_27merge_sort_block_merge_implIS3_N6thrust23THRUST_200600_302600_NS6detail15normal_iteratorINS9_10device_ptrIjEEEEPS5_jNS1_19radix_merge_compareILb0ELb0EjNS0_19identity_decomposerEEEEE10hipError_tT0_T1_T2_jT3_P12ihipStream_tbPNSt15iterator_traitsISK_E10value_typeEPNSQ_ISL_E10value_typeEPSM_NS1_7vsmem_tEENKUlT_SK_SL_SM_E_clISE_PjSF_SF_EESJ_SZ_SK_SL_SM_EUlSZ_E1_NS1_11comp_targetILNS1_3genE10ELNS1_11target_archE1201ELNS1_3gpuE5ELNS1_3repE0EEENS1_36merge_oddeven_config_static_selectorELNS0_4arch9wavefront6targetE1EEEvSL_
    .private_segment_fixed_size: 0
    .sgpr_count:     6
    .sgpr_spill_count: 0
    .symbol:         _ZN7rocprim17ROCPRIM_400000_NS6detail17trampoline_kernelINS0_14default_configENS1_38merge_sort_block_merge_config_selectorIjNS0_10empty_typeEEEZZNS1_27merge_sort_block_merge_implIS3_N6thrust23THRUST_200600_302600_NS6detail15normal_iteratorINS9_10device_ptrIjEEEEPS5_jNS1_19radix_merge_compareILb0ELb0EjNS0_19identity_decomposerEEEEE10hipError_tT0_T1_T2_jT3_P12ihipStream_tbPNSt15iterator_traitsISK_E10value_typeEPNSQ_ISL_E10value_typeEPSM_NS1_7vsmem_tEENKUlT_SK_SL_SM_E_clISE_PjSF_SF_EESJ_SZ_SK_SL_SM_EUlSZ_E1_NS1_11comp_targetILNS1_3genE10ELNS1_11target_archE1201ELNS1_3gpuE5ELNS1_3repE0EEENS1_36merge_oddeven_config_static_selectorELNS0_4arch9wavefront6targetE1EEEvSL_.kd
    .uniform_work_group_size: 1
    .uses_dynamic_stack: false
    .vgpr_count:     0
    .vgpr_spill_count: 0
    .wavefront_size: 64
  - .agpr_count:     0
    .args:
      - .offset:         0
        .size:           48
        .value_kind:     by_value
    .group_segment_fixed_size: 0
    .kernarg_segment_align: 8
    .kernarg_segment_size: 48
    .language:       OpenCL C
    .language_version:
      - 2
      - 0
    .max_flat_workgroup_size: 256
    .name:           _ZN7rocprim17ROCPRIM_400000_NS6detail17trampoline_kernelINS0_14default_configENS1_38merge_sort_block_merge_config_selectorIjNS0_10empty_typeEEEZZNS1_27merge_sort_block_merge_implIS3_N6thrust23THRUST_200600_302600_NS6detail15normal_iteratorINS9_10device_ptrIjEEEEPS5_jNS1_19radix_merge_compareILb0ELb0EjNS0_19identity_decomposerEEEEE10hipError_tT0_T1_T2_jT3_P12ihipStream_tbPNSt15iterator_traitsISK_E10value_typeEPNSQ_ISL_E10value_typeEPSM_NS1_7vsmem_tEENKUlT_SK_SL_SM_E_clISE_PjSF_SF_EESJ_SZ_SK_SL_SM_EUlSZ_E1_NS1_11comp_targetILNS1_3genE5ELNS1_11target_archE942ELNS1_3gpuE9ELNS1_3repE0EEENS1_36merge_oddeven_config_static_selectorELNS0_4arch9wavefront6targetE1EEEvSL_
    .private_segment_fixed_size: 0
    .sgpr_count:     25
    .sgpr_spill_count: 0
    .symbol:         _ZN7rocprim17ROCPRIM_400000_NS6detail17trampoline_kernelINS0_14default_configENS1_38merge_sort_block_merge_config_selectorIjNS0_10empty_typeEEEZZNS1_27merge_sort_block_merge_implIS3_N6thrust23THRUST_200600_302600_NS6detail15normal_iteratorINS9_10device_ptrIjEEEEPS5_jNS1_19radix_merge_compareILb0ELb0EjNS0_19identity_decomposerEEEEE10hipError_tT0_T1_T2_jT3_P12ihipStream_tbPNSt15iterator_traitsISK_E10value_typeEPNSQ_ISL_E10value_typeEPSM_NS1_7vsmem_tEENKUlT_SK_SL_SM_E_clISE_PjSF_SF_EESJ_SZ_SK_SL_SM_EUlSZ_E1_NS1_11comp_targetILNS1_3genE5ELNS1_11target_archE942ELNS1_3gpuE9ELNS1_3repE0EEENS1_36merge_oddeven_config_static_selectorELNS0_4arch9wavefront6targetE1EEEvSL_.kd
    .uniform_work_group_size: 1
    .uses_dynamic_stack: false
    .vgpr_count:     9
    .vgpr_spill_count: 0
    .wavefront_size: 64
  - .agpr_count:     0
    .args:
      - .offset:         0
        .size:           48
        .value_kind:     by_value
    .group_segment_fixed_size: 0
    .kernarg_segment_align: 8
    .kernarg_segment_size: 48
    .language:       OpenCL C
    .language_version:
      - 2
      - 0
    .max_flat_workgroup_size: 256
    .name:           _ZN7rocprim17ROCPRIM_400000_NS6detail17trampoline_kernelINS0_14default_configENS1_38merge_sort_block_merge_config_selectorIjNS0_10empty_typeEEEZZNS1_27merge_sort_block_merge_implIS3_N6thrust23THRUST_200600_302600_NS6detail15normal_iteratorINS9_10device_ptrIjEEEEPS5_jNS1_19radix_merge_compareILb0ELb0EjNS0_19identity_decomposerEEEEE10hipError_tT0_T1_T2_jT3_P12ihipStream_tbPNSt15iterator_traitsISK_E10value_typeEPNSQ_ISL_E10value_typeEPSM_NS1_7vsmem_tEENKUlT_SK_SL_SM_E_clISE_PjSF_SF_EESJ_SZ_SK_SL_SM_EUlSZ_E1_NS1_11comp_targetILNS1_3genE4ELNS1_11target_archE910ELNS1_3gpuE8ELNS1_3repE0EEENS1_36merge_oddeven_config_static_selectorELNS0_4arch9wavefront6targetE1EEEvSL_
    .private_segment_fixed_size: 0
    .sgpr_count:     6
    .sgpr_spill_count: 0
    .symbol:         _ZN7rocprim17ROCPRIM_400000_NS6detail17trampoline_kernelINS0_14default_configENS1_38merge_sort_block_merge_config_selectorIjNS0_10empty_typeEEEZZNS1_27merge_sort_block_merge_implIS3_N6thrust23THRUST_200600_302600_NS6detail15normal_iteratorINS9_10device_ptrIjEEEEPS5_jNS1_19radix_merge_compareILb0ELb0EjNS0_19identity_decomposerEEEEE10hipError_tT0_T1_T2_jT3_P12ihipStream_tbPNSt15iterator_traitsISK_E10value_typeEPNSQ_ISL_E10value_typeEPSM_NS1_7vsmem_tEENKUlT_SK_SL_SM_E_clISE_PjSF_SF_EESJ_SZ_SK_SL_SM_EUlSZ_E1_NS1_11comp_targetILNS1_3genE4ELNS1_11target_archE910ELNS1_3gpuE8ELNS1_3repE0EEENS1_36merge_oddeven_config_static_selectorELNS0_4arch9wavefront6targetE1EEEvSL_.kd
    .uniform_work_group_size: 1
    .uses_dynamic_stack: false
    .vgpr_count:     0
    .vgpr_spill_count: 0
    .wavefront_size: 64
  - .agpr_count:     0
    .args:
      - .offset:         0
        .size:           48
        .value_kind:     by_value
    .group_segment_fixed_size: 0
    .kernarg_segment_align: 8
    .kernarg_segment_size: 48
    .language:       OpenCL C
    .language_version:
      - 2
      - 0
    .max_flat_workgroup_size: 256
    .name:           _ZN7rocprim17ROCPRIM_400000_NS6detail17trampoline_kernelINS0_14default_configENS1_38merge_sort_block_merge_config_selectorIjNS0_10empty_typeEEEZZNS1_27merge_sort_block_merge_implIS3_N6thrust23THRUST_200600_302600_NS6detail15normal_iteratorINS9_10device_ptrIjEEEEPS5_jNS1_19radix_merge_compareILb0ELb0EjNS0_19identity_decomposerEEEEE10hipError_tT0_T1_T2_jT3_P12ihipStream_tbPNSt15iterator_traitsISK_E10value_typeEPNSQ_ISL_E10value_typeEPSM_NS1_7vsmem_tEENKUlT_SK_SL_SM_E_clISE_PjSF_SF_EESJ_SZ_SK_SL_SM_EUlSZ_E1_NS1_11comp_targetILNS1_3genE3ELNS1_11target_archE908ELNS1_3gpuE7ELNS1_3repE0EEENS1_36merge_oddeven_config_static_selectorELNS0_4arch9wavefront6targetE1EEEvSL_
    .private_segment_fixed_size: 0
    .sgpr_count:     6
    .sgpr_spill_count: 0
    .symbol:         _ZN7rocprim17ROCPRIM_400000_NS6detail17trampoline_kernelINS0_14default_configENS1_38merge_sort_block_merge_config_selectorIjNS0_10empty_typeEEEZZNS1_27merge_sort_block_merge_implIS3_N6thrust23THRUST_200600_302600_NS6detail15normal_iteratorINS9_10device_ptrIjEEEEPS5_jNS1_19radix_merge_compareILb0ELb0EjNS0_19identity_decomposerEEEEE10hipError_tT0_T1_T2_jT3_P12ihipStream_tbPNSt15iterator_traitsISK_E10value_typeEPNSQ_ISL_E10value_typeEPSM_NS1_7vsmem_tEENKUlT_SK_SL_SM_E_clISE_PjSF_SF_EESJ_SZ_SK_SL_SM_EUlSZ_E1_NS1_11comp_targetILNS1_3genE3ELNS1_11target_archE908ELNS1_3gpuE7ELNS1_3repE0EEENS1_36merge_oddeven_config_static_selectorELNS0_4arch9wavefront6targetE1EEEvSL_.kd
    .uniform_work_group_size: 1
    .uses_dynamic_stack: false
    .vgpr_count:     0
    .vgpr_spill_count: 0
    .wavefront_size: 64
  - .agpr_count:     0
    .args:
      - .offset:         0
        .size:           48
        .value_kind:     by_value
    .group_segment_fixed_size: 0
    .kernarg_segment_align: 8
    .kernarg_segment_size: 48
    .language:       OpenCL C
    .language_version:
      - 2
      - 0
    .max_flat_workgroup_size: 256
    .name:           _ZN7rocprim17ROCPRIM_400000_NS6detail17trampoline_kernelINS0_14default_configENS1_38merge_sort_block_merge_config_selectorIjNS0_10empty_typeEEEZZNS1_27merge_sort_block_merge_implIS3_N6thrust23THRUST_200600_302600_NS6detail15normal_iteratorINS9_10device_ptrIjEEEEPS5_jNS1_19radix_merge_compareILb0ELb0EjNS0_19identity_decomposerEEEEE10hipError_tT0_T1_T2_jT3_P12ihipStream_tbPNSt15iterator_traitsISK_E10value_typeEPNSQ_ISL_E10value_typeEPSM_NS1_7vsmem_tEENKUlT_SK_SL_SM_E_clISE_PjSF_SF_EESJ_SZ_SK_SL_SM_EUlSZ_E1_NS1_11comp_targetILNS1_3genE2ELNS1_11target_archE906ELNS1_3gpuE6ELNS1_3repE0EEENS1_36merge_oddeven_config_static_selectorELNS0_4arch9wavefront6targetE1EEEvSL_
    .private_segment_fixed_size: 0
    .sgpr_count:     6
    .sgpr_spill_count: 0
    .symbol:         _ZN7rocprim17ROCPRIM_400000_NS6detail17trampoline_kernelINS0_14default_configENS1_38merge_sort_block_merge_config_selectorIjNS0_10empty_typeEEEZZNS1_27merge_sort_block_merge_implIS3_N6thrust23THRUST_200600_302600_NS6detail15normal_iteratorINS9_10device_ptrIjEEEEPS5_jNS1_19radix_merge_compareILb0ELb0EjNS0_19identity_decomposerEEEEE10hipError_tT0_T1_T2_jT3_P12ihipStream_tbPNSt15iterator_traitsISK_E10value_typeEPNSQ_ISL_E10value_typeEPSM_NS1_7vsmem_tEENKUlT_SK_SL_SM_E_clISE_PjSF_SF_EESJ_SZ_SK_SL_SM_EUlSZ_E1_NS1_11comp_targetILNS1_3genE2ELNS1_11target_archE906ELNS1_3gpuE6ELNS1_3repE0EEENS1_36merge_oddeven_config_static_selectorELNS0_4arch9wavefront6targetE1EEEvSL_.kd
    .uniform_work_group_size: 1
    .uses_dynamic_stack: false
    .vgpr_count:     0
    .vgpr_spill_count: 0
    .wavefront_size: 64
  - .agpr_count:     0
    .args:
      - .offset:         0
        .size:           48
        .value_kind:     by_value
    .group_segment_fixed_size: 0
    .kernarg_segment_align: 8
    .kernarg_segment_size: 48
    .language:       OpenCL C
    .language_version:
      - 2
      - 0
    .max_flat_workgroup_size: 256
    .name:           _ZN7rocprim17ROCPRIM_400000_NS6detail17trampoline_kernelINS0_14default_configENS1_38merge_sort_block_merge_config_selectorIjNS0_10empty_typeEEEZZNS1_27merge_sort_block_merge_implIS3_N6thrust23THRUST_200600_302600_NS6detail15normal_iteratorINS9_10device_ptrIjEEEEPS5_jNS1_19radix_merge_compareILb0ELb0EjNS0_19identity_decomposerEEEEE10hipError_tT0_T1_T2_jT3_P12ihipStream_tbPNSt15iterator_traitsISK_E10value_typeEPNSQ_ISL_E10value_typeEPSM_NS1_7vsmem_tEENKUlT_SK_SL_SM_E_clISE_PjSF_SF_EESJ_SZ_SK_SL_SM_EUlSZ_E1_NS1_11comp_targetILNS1_3genE9ELNS1_11target_archE1100ELNS1_3gpuE3ELNS1_3repE0EEENS1_36merge_oddeven_config_static_selectorELNS0_4arch9wavefront6targetE1EEEvSL_
    .private_segment_fixed_size: 0
    .sgpr_count:     6
    .sgpr_spill_count: 0
    .symbol:         _ZN7rocprim17ROCPRIM_400000_NS6detail17trampoline_kernelINS0_14default_configENS1_38merge_sort_block_merge_config_selectorIjNS0_10empty_typeEEEZZNS1_27merge_sort_block_merge_implIS3_N6thrust23THRUST_200600_302600_NS6detail15normal_iteratorINS9_10device_ptrIjEEEEPS5_jNS1_19radix_merge_compareILb0ELb0EjNS0_19identity_decomposerEEEEE10hipError_tT0_T1_T2_jT3_P12ihipStream_tbPNSt15iterator_traitsISK_E10value_typeEPNSQ_ISL_E10value_typeEPSM_NS1_7vsmem_tEENKUlT_SK_SL_SM_E_clISE_PjSF_SF_EESJ_SZ_SK_SL_SM_EUlSZ_E1_NS1_11comp_targetILNS1_3genE9ELNS1_11target_archE1100ELNS1_3gpuE3ELNS1_3repE0EEENS1_36merge_oddeven_config_static_selectorELNS0_4arch9wavefront6targetE1EEEvSL_.kd
    .uniform_work_group_size: 1
    .uses_dynamic_stack: false
    .vgpr_count:     0
    .vgpr_spill_count: 0
    .wavefront_size: 64
  - .agpr_count:     0
    .args:
      - .offset:         0
        .size:           48
        .value_kind:     by_value
    .group_segment_fixed_size: 0
    .kernarg_segment_align: 8
    .kernarg_segment_size: 48
    .language:       OpenCL C
    .language_version:
      - 2
      - 0
    .max_flat_workgroup_size: 256
    .name:           _ZN7rocprim17ROCPRIM_400000_NS6detail17trampoline_kernelINS0_14default_configENS1_38merge_sort_block_merge_config_selectorIjNS0_10empty_typeEEEZZNS1_27merge_sort_block_merge_implIS3_N6thrust23THRUST_200600_302600_NS6detail15normal_iteratorINS9_10device_ptrIjEEEEPS5_jNS1_19radix_merge_compareILb0ELb0EjNS0_19identity_decomposerEEEEE10hipError_tT0_T1_T2_jT3_P12ihipStream_tbPNSt15iterator_traitsISK_E10value_typeEPNSQ_ISL_E10value_typeEPSM_NS1_7vsmem_tEENKUlT_SK_SL_SM_E_clISE_PjSF_SF_EESJ_SZ_SK_SL_SM_EUlSZ_E1_NS1_11comp_targetILNS1_3genE8ELNS1_11target_archE1030ELNS1_3gpuE2ELNS1_3repE0EEENS1_36merge_oddeven_config_static_selectorELNS0_4arch9wavefront6targetE1EEEvSL_
    .private_segment_fixed_size: 0
    .sgpr_count:     6
    .sgpr_spill_count: 0
    .symbol:         _ZN7rocprim17ROCPRIM_400000_NS6detail17trampoline_kernelINS0_14default_configENS1_38merge_sort_block_merge_config_selectorIjNS0_10empty_typeEEEZZNS1_27merge_sort_block_merge_implIS3_N6thrust23THRUST_200600_302600_NS6detail15normal_iteratorINS9_10device_ptrIjEEEEPS5_jNS1_19radix_merge_compareILb0ELb0EjNS0_19identity_decomposerEEEEE10hipError_tT0_T1_T2_jT3_P12ihipStream_tbPNSt15iterator_traitsISK_E10value_typeEPNSQ_ISL_E10value_typeEPSM_NS1_7vsmem_tEENKUlT_SK_SL_SM_E_clISE_PjSF_SF_EESJ_SZ_SK_SL_SM_EUlSZ_E1_NS1_11comp_targetILNS1_3genE8ELNS1_11target_archE1030ELNS1_3gpuE2ELNS1_3repE0EEENS1_36merge_oddeven_config_static_selectorELNS0_4arch9wavefront6targetE1EEEvSL_.kd
    .uniform_work_group_size: 1
    .uses_dynamic_stack: false
    .vgpr_count:     0
    .vgpr_spill_count: 0
    .wavefront_size: 64
  - .agpr_count:     0
    .args:
      - .offset:         0
        .size:           40
        .value_kind:     by_value
    .group_segment_fixed_size: 0
    .kernarg_segment_align: 8
    .kernarg_segment_size: 40
    .language:       OpenCL C
    .language_version:
      - 2
      - 0
    .max_flat_workgroup_size: 128
    .name:           _ZN7rocprim17ROCPRIM_400000_NS6detail17trampoline_kernelINS0_14default_configENS1_25transform_config_selectorIjLb0EEEZNS1_14transform_implILb0ES3_S5_PjN6thrust23THRUST_200600_302600_NS6detail15normal_iteratorINS9_10device_ptrIjEEEENS0_8identityIjEEEE10hipError_tT2_T3_mT4_P12ihipStream_tbEUlT_E_NS1_11comp_targetILNS1_3genE0ELNS1_11target_archE4294967295ELNS1_3gpuE0ELNS1_3repE0EEENS1_30default_config_static_selectorELNS0_4arch9wavefront6targetE1EEEvT1_
    .private_segment_fixed_size: 0
    .sgpr_count:     6
    .sgpr_spill_count: 0
    .symbol:         _ZN7rocprim17ROCPRIM_400000_NS6detail17trampoline_kernelINS0_14default_configENS1_25transform_config_selectorIjLb0EEEZNS1_14transform_implILb0ES3_S5_PjN6thrust23THRUST_200600_302600_NS6detail15normal_iteratorINS9_10device_ptrIjEEEENS0_8identityIjEEEE10hipError_tT2_T3_mT4_P12ihipStream_tbEUlT_E_NS1_11comp_targetILNS1_3genE0ELNS1_11target_archE4294967295ELNS1_3gpuE0ELNS1_3repE0EEENS1_30default_config_static_selectorELNS0_4arch9wavefront6targetE1EEEvT1_.kd
    .uniform_work_group_size: 1
    .uses_dynamic_stack: false
    .vgpr_count:     0
    .vgpr_spill_count: 0
    .wavefront_size: 64
  - .agpr_count:     0
    .args:
      - .offset:         0
        .size:           40
        .value_kind:     by_value
      - .offset:         40
        .size:           4
        .value_kind:     hidden_block_count_x
      - .offset:         44
        .size:           4
        .value_kind:     hidden_block_count_y
      - .offset:         48
        .size:           4
        .value_kind:     hidden_block_count_z
      - .offset:         52
        .size:           2
        .value_kind:     hidden_group_size_x
      - .offset:         54
        .size:           2
        .value_kind:     hidden_group_size_y
      - .offset:         56
        .size:           2
        .value_kind:     hidden_group_size_z
      - .offset:         58
        .size:           2
        .value_kind:     hidden_remainder_x
      - .offset:         60
        .size:           2
        .value_kind:     hidden_remainder_y
      - .offset:         62
        .size:           2
        .value_kind:     hidden_remainder_z
      - .offset:         80
        .size:           8
        .value_kind:     hidden_global_offset_x
      - .offset:         88
        .size:           8
        .value_kind:     hidden_global_offset_y
      - .offset:         96
        .size:           8
        .value_kind:     hidden_global_offset_z
      - .offset:         104
        .size:           2
        .value_kind:     hidden_grid_dims
    .group_segment_fixed_size: 0
    .kernarg_segment_align: 8
    .kernarg_segment_size: 296
    .language:       OpenCL C
    .language_version:
      - 2
      - 0
    .max_flat_workgroup_size: 512
    .name:           _ZN7rocprim17ROCPRIM_400000_NS6detail17trampoline_kernelINS0_14default_configENS1_25transform_config_selectorIjLb0EEEZNS1_14transform_implILb0ES3_S5_PjN6thrust23THRUST_200600_302600_NS6detail15normal_iteratorINS9_10device_ptrIjEEEENS0_8identityIjEEEE10hipError_tT2_T3_mT4_P12ihipStream_tbEUlT_E_NS1_11comp_targetILNS1_3genE5ELNS1_11target_archE942ELNS1_3gpuE9ELNS1_3repE0EEENS1_30default_config_static_selectorELNS0_4arch9wavefront6targetE1EEEvT1_
    .private_segment_fixed_size: 0
    .sgpr_count:     22
    .sgpr_spill_count: 0
    .symbol:         _ZN7rocprim17ROCPRIM_400000_NS6detail17trampoline_kernelINS0_14default_configENS1_25transform_config_selectorIjLb0EEEZNS1_14transform_implILb0ES3_S5_PjN6thrust23THRUST_200600_302600_NS6detail15normal_iteratorINS9_10device_ptrIjEEEENS0_8identityIjEEEE10hipError_tT2_T3_mT4_P12ihipStream_tbEUlT_E_NS1_11comp_targetILNS1_3genE5ELNS1_11target_archE942ELNS1_3gpuE9ELNS1_3repE0EEENS1_30default_config_static_selectorELNS0_4arch9wavefront6targetE1EEEvT1_.kd
    .uniform_work_group_size: 1
    .uses_dynamic_stack: false
    .vgpr_count:     11
    .vgpr_spill_count: 0
    .wavefront_size: 64
  - .agpr_count:     0
    .args:
      - .offset:         0
        .size:           40
        .value_kind:     by_value
    .group_segment_fixed_size: 0
    .kernarg_segment_align: 8
    .kernarg_segment_size: 40
    .language:       OpenCL C
    .language_version:
      - 2
      - 0
    .max_flat_workgroup_size: 1024
    .name:           _ZN7rocprim17ROCPRIM_400000_NS6detail17trampoline_kernelINS0_14default_configENS1_25transform_config_selectorIjLb0EEEZNS1_14transform_implILb0ES3_S5_PjN6thrust23THRUST_200600_302600_NS6detail15normal_iteratorINS9_10device_ptrIjEEEENS0_8identityIjEEEE10hipError_tT2_T3_mT4_P12ihipStream_tbEUlT_E_NS1_11comp_targetILNS1_3genE4ELNS1_11target_archE910ELNS1_3gpuE8ELNS1_3repE0EEENS1_30default_config_static_selectorELNS0_4arch9wavefront6targetE1EEEvT1_
    .private_segment_fixed_size: 0
    .sgpr_count:     6
    .sgpr_spill_count: 0
    .symbol:         _ZN7rocprim17ROCPRIM_400000_NS6detail17trampoline_kernelINS0_14default_configENS1_25transform_config_selectorIjLb0EEEZNS1_14transform_implILb0ES3_S5_PjN6thrust23THRUST_200600_302600_NS6detail15normal_iteratorINS9_10device_ptrIjEEEENS0_8identityIjEEEE10hipError_tT2_T3_mT4_P12ihipStream_tbEUlT_E_NS1_11comp_targetILNS1_3genE4ELNS1_11target_archE910ELNS1_3gpuE8ELNS1_3repE0EEENS1_30default_config_static_selectorELNS0_4arch9wavefront6targetE1EEEvT1_.kd
    .uniform_work_group_size: 1
    .uses_dynamic_stack: false
    .vgpr_count:     0
    .vgpr_spill_count: 0
    .wavefront_size: 64
  - .agpr_count:     0
    .args:
      - .offset:         0
        .size:           40
        .value_kind:     by_value
    .group_segment_fixed_size: 0
    .kernarg_segment_align: 8
    .kernarg_segment_size: 40
    .language:       OpenCL C
    .language_version:
      - 2
      - 0
    .max_flat_workgroup_size: 128
    .name:           _ZN7rocprim17ROCPRIM_400000_NS6detail17trampoline_kernelINS0_14default_configENS1_25transform_config_selectorIjLb0EEEZNS1_14transform_implILb0ES3_S5_PjN6thrust23THRUST_200600_302600_NS6detail15normal_iteratorINS9_10device_ptrIjEEEENS0_8identityIjEEEE10hipError_tT2_T3_mT4_P12ihipStream_tbEUlT_E_NS1_11comp_targetILNS1_3genE3ELNS1_11target_archE908ELNS1_3gpuE7ELNS1_3repE0EEENS1_30default_config_static_selectorELNS0_4arch9wavefront6targetE1EEEvT1_
    .private_segment_fixed_size: 0
    .sgpr_count:     6
    .sgpr_spill_count: 0
    .symbol:         _ZN7rocprim17ROCPRIM_400000_NS6detail17trampoline_kernelINS0_14default_configENS1_25transform_config_selectorIjLb0EEEZNS1_14transform_implILb0ES3_S5_PjN6thrust23THRUST_200600_302600_NS6detail15normal_iteratorINS9_10device_ptrIjEEEENS0_8identityIjEEEE10hipError_tT2_T3_mT4_P12ihipStream_tbEUlT_E_NS1_11comp_targetILNS1_3genE3ELNS1_11target_archE908ELNS1_3gpuE7ELNS1_3repE0EEENS1_30default_config_static_selectorELNS0_4arch9wavefront6targetE1EEEvT1_.kd
    .uniform_work_group_size: 1
    .uses_dynamic_stack: false
    .vgpr_count:     0
    .vgpr_spill_count: 0
    .wavefront_size: 64
  - .agpr_count:     0
    .args:
      - .offset:         0
        .size:           40
        .value_kind:     by_value
    .group_segment_fixed_size: 0
    .kernarg_segment_align: 8
    .kernarg_segment_size: 40
    .language:       OpenCL C
    .language_version:
      - 2
      - 0
    .max_flat_workgroup_size: 1024
    .name:           _ZN7rocprim17ROCPRIM_400000_NS6detail17trampoline_kernelINS0_14default_configENS1_25transform_config_selectorIjLb0EEEZNS1_14transform_implILb0ES3_S5_PjN6thrust23THRUST_200600_302600_NS6detail15normal_iteratorINS9_10device_ptrIjEEEENS0_8identityIjEEEE10hipError_tT2_T3_mT4_P12ihipStream_tbEUlT_E_NS1_11comp_targetILNS1_3genE2ELNS1_11target_archE906ELNS1_3gpuE6ELNS1_3repE0EEENS1_30default_config_static_selectorELNS0_4arch9wavefront6targetE1EEEvT1_
    .private_segment_fixed_size: 0
    .sgpr_count:     6
    .sgpr_spill_count: 0
    .symbol:         _ZN7rocprim17ROCPRIM_400000_NS6detail17trampoline_kernelINS0_14default_configENS1_25transform_config_selectorIjLb0EEEZNS1_14transform_implILb0ES3_S5_PjN6thrust23THRUST_200600_302600_NS6detail15normal_iteratorINS9_10device_ptrIjEEEENS0_8identityIjEEEE10hipError_tT2_T3_mT4_P12ihipStream_tbEUlT_E_NS1_11comp_targetILNS1_3genE2ELNS1_11target_archE906ELNS1_3gpuE6ELNS1_3repE0EEENS1_30default_config_static_selectorELNS0_4arch9wavefront6targetE1EEEvT1_.kd
    .uniform_work_group_size: 1
    .uses_dynamic_stack: false
    .vgpr_count:     0
    .vgpr_spill_count: 0
    .wavefront_size: 64
  - .agpr_count:     0
    .args:
      - .offset:         0
        .size:           40
        .value_kind:     by_value
    .group_segment_fixed_size: 0
    .kernarg_segment_align: 8
    .kernarg_segment_size: 40
    .language:       OpenCL C
    .language_version:
      - 2
      - 0
    .max_flat_workgroup_size: 1024
    .name:           _ZN7rocprim17ROCPRIM_400000_NS6detail17trampoline_kernelINS0_14default_configENS1_25transform_config_selectorIjLb0EEEZNS1_14transform_implILb0ES3_S5_PjN6thrust23THRUST_200600_302600_NS6detail15normal_iteratorINS9_10device_ptrIjEEEENS0_8identityIjEEEE10hipError_tT2_T3_mT4_P12ihipStream_tbEUlT_E_NS1_11comp_targetILNS1_3genE10ELNS1_11target_archE1201ELNS1_3gpuE5ELNS1_3repE0EEENS1_30default_config_static_selectorELNS0_4arch9wavefront6targetE1EEEvT1_
    .private_segment_fixed_size: 0
    .sgpr_count:     6
    .sgpr_spill_count: 0
    .symbol:         _ZN7rocprim17ROCPRIM_400000_NS6detail17trampoline_kernelINS0_14default_configENS1_25transform_config_selectorIjLb0EEEZNS1_14transform_implILb0ES3_S5_PjN6thrust23THRUST_200600_302600_NS6detail15normal_iteratorINS9_10device_ptrIjEEEENS0_8identityIjEEEE10hipError_tT2_T3_mT4_P12ihipStream_tbEUlT_E_NS1_11comp_targetILNS1_3genE10ELNS1_11target_archE1201ELNS1_3gpuE5ELNS1_3repE0EEENS1_30default_config_static_selectorELNS0_4arch9wavefront6targetE1EEEvT1_.kd
    .uniform_work_group_size: 1
    .uses_dynamic_stack: false
    .vgpr_count:     0
    .vgpr_spill_count: 0
    .wavefront_size: 64
  - .agpr_count:     0
    .args:
      - .offset:         0
        .size:           40
        .value_kind:     by_value
    .group_segment_fixed_size: 0
    .kernarg_segment_align: 8
    .kernarg_segment_size: 40
    .language:       OpenCL C
    .language_version:
      - 2
      - 0
    .max_flat_workgroup_size: 512
    .name:           _ZN7rocprim17ROCPRIM_400000_NS6detail17trampoline_kernelINS0_14default_configENS1_25transform_config_selectorIjLb0EEEZNS1_14transform_implILb0ES3_S5_PjN6thrust23THRUST_200600_302600_NS6detail15normal_iteratorINS9_10device_ptrIjEEEENS0_8identityIjEEEE10hipError_tT2_T3_mT4_P12ihipStream_tbEUlT_E_NS1_11comp_targetILNS1_3genE10ELNS1_11target_archE1200ELNS1_3gpuE4ELNS1_3repE0EEENS1_30default_config_static_selectorELNS0_4arch9wavefront6targetE1EEEvT1_
    .private_segment_fixed_size: 0
    .sgpr_count:     6
    .sgpr_spill_count: 0
    .symbol:         _ZN7rocprim17ROCPRIM_400000_NS6detail17trampoline_kernelINS0_14default_configENS1_25transform_config_selectorIjLb0EEEZNS1_14transform_implILb0ES3_S5_PjN6thrust23THRUST_200600_302600_NS6detail15normal_iteratorINS9_10device_ptrIjEEEENS0_8identityIjEEEE10hipError_tT2_T3_mT4_P12ihipStream_tbEUlT_E_NS1_11comp_targetILNS1_3genE10ELNS1_11target_archE1200ELNS1_3gpuE4ELNS1_3repE0EEENS1_30default_config_static_selectorELNS0_4arch9wavefront6targetE1EEEvT1_.kd
    .uniform_work_group_size: 1
    .uses_dynamic_stack: false
    .vgpr_count:     0
    .vgpr_spill_count: 0
    .wavefront_size: 64
  - .agpr_count:     0
    .args:
      - .offset:         0
        .size:           40
        .value_kind:     by_value
    .group_segment_fixed_size: 0
    .kernarg_segment_align: 8
    .kernarg_segment_size: 40
    .language:       OpenCL C
    .language_version:
      - 2
      - 0
    .max_flat_workgroup_size: 64
    .name:           _ZN7rocprim17ROCPRIM_400000_NS6detail17trampoline_kernelINS0_14default_configENS1_25transform_config_selectorIjLb0EEEZNS1_14transform_implILb0ES3_S5_PjN6thrust23THRUST_200600_302600_NS6detail15normal_iteratorINS9_10device_ptrIjEEEENS0_8identityIjEEEE10hipError_tT2_T3_mT4_P12ihipStream_tbEUlT_E_NS1_11comp_targetILNS1_3genE9ELNS1_11target_archE1100ELNS1_3gpuE3ELNS1_3repE0EEENS1_30default_config_static_selectorELNS0_4arch9wavefront6targetE1EEEvT1_
    .private_segment_fixed_size: 0
    .sgpr_count:     6
    .sgpr_spill_count: 0
    .symbol:         _ZN7rocprim17ROCPRIM_400000_NS6detail17trampoline_kernelINS0_14default_configENS1_25transform_config_selectorIjLb0EEEZNS1_14transform_implILb0ES3_S5_PjN6thrust23THRUST_200600_302600_NS6detail15normal_iteratorINS9_10device_ptrIjEEEENS0_8identityIjEEEE10hipError_tT2_T3_mT4_P12ihipStream_tbEUlT_E_NS1_11comp_targetILNS1_3genE9ELNS1_11target_archE1100ELNS1_3gpuE3ELNS1_3repE0EEENS1_30default_config_static_selectorELNS0_4arch9wavefront6targetE1EEEvT1_.kd
    .uniform_work_group_size: 1
    .uses_dynamic_stack: false
    .vgpr_count:     0
    .vgpr_spill_count: 0
    .wavefront_size: 64
  - .agpr_count:     0
    .args:
      - .offset:         0
        .size:           40
        .value_kind:     by_value
    .group_segment_fixed_size: 0
    .kernarg_segment_align: 8
    .kernarg_segment_size: 40
    .language:       OpenCL C
    .language_version:
      - 2
      - 0
    .max_flat_workgroup_size: 256
    .name:           _ZN7rocprim17ROCPRIM_400000_NS6detail17trampoline_kernelINS0_14default_configENS1_25transform_config_selectorIjLb0EEEZNS1_14transform_implILb0ES3_S5_PjN6thrust23THRUST_200600_302600_NS6detail15normal_iteratorINS9_10device_ptrIjEEEENS0_8identityIjEEEE10hipError_tT2_T3_mT4_P12ihipStream_tbEUlT_E_NS1_11comp_targetILNS1_3genE8ELNS1_11target_archE1030ELNS1_3gpuE2ELNS1_3repE0EEENS1_30default_config_static_selectorELNS0_4arch9wavefront6targetE1EEEvT1_
    .private_segment_fixed_size: 0
    .sgpr_count:     6
    .sgpr_spill_count: 0
    .symbol:         _ZN7rocprim17ROCPRIM_400000_NS6detail17trampoline_kernelINS0_14default_configENS1_25transform_config_selectorIjLb0EEEZNS1_14transform_implILb0ES3_S5_PjN6thrust23THRUST_200600_302600_NS6detail15normal_iteratorINS9_10device_ptrIjEEEENS0_8identityIjEEEE10hipError_tT2_T3_mT4_P12ihipStream_tbEUlT_E_NS1_11comp_targetILNS1_3genE8ELNS1_11target_archE1030ELNS1_3gpuE2ELNS1_3repE0EEENS1_30default_config_static_selectorELNS0_4arch9wavefront6targetE1EEEvT1_.kd
    .uniform_work_group_size: 1
    .uses_dynamic_stack: false
    .vgpr_count:     0
    .vgpr_spill_count: 0
    .wavefront_size: 64
  - .agpr_count:     0
    .args:
      - .offset:         0
        .size:           40
        .value_kind:     by_value
    .group_segment_fixed_size: 0
    .kernarg_segment_align: 8
    .kernarg_segment_size: 40
    .language:       OpenCL C
    .language_version:
      - 2
      - 0
    .max_flat_workgroup_size: 128
    .name:           _ZN7rocprim17ROCPRIM_400000_NS6detail17trampoline_kernelINS0_14default_configENS1_38merge_sort_block_merge_config_selectorIjNS0_10empty_typeEEEZZNS1_27merge_sort_block_merge_implIS3_N6thrust23THRUST_200600_302600_NS6detail15normal_iteratorINS9_10device_ptrIjEEEEPS5_jNS1_19radix_merge_compareILb0ELb1EjNS0_19identity_decomposerEEEEE10hipError_tT0_T1_T2_jT3_P12ihipStream_tbPNSt15iterator_traitsISK_E10value_typeEPNSQ_ISL_E10value_typeEPSM_NS1_7vsmem_tEENKUlT_SK_SL_SM_E_clIPjSE_SF_SF_EESJ_SZ_SK_SL_SM_EUlSZ_E_NS1_11comp_targetILNS1_3genE0ELNS1_11target_archE4294967295ELNS1_3gpuE0ELNS1_3repE0EEENS1_48merge_mergepath_partition_config_static_selectorELNS0_4arch9wavefront6targetE1EEEvSL_
    .private_segment_fixed_size: 0
    .sgpr_count:     6
    .sgpr_spill_count: 0
    .symbol:         _ZN7rocprim17ROCPRIM_400000_NS6detail17trampoline_kernelINS0_14default_configENS1_38merge_sort_block_merge_config_selectorIjNS0_10empty_typeEEEZZNS1_27merge_sort_block_merge_implIS3_N6thrust23THRUST_200600_302600_NS6detail15normal_iteratorINS9_10device_ptrIjEEEEPS5_jNS1_19radix_merge_compareILb0ELb1EjNS0_19identity_decomposerEEEEE10hipError_tT0_T1_T2_jT3_P12ihipStream_tbPNSt15iterator_traitsISK_E10value_typeEPNSQ_ISL_E10value_typeEPSM_NS1_7vsmem_tEENKUlT_SK_SL_SM_E_clIPjSE_SF_SF_EESJ_SZ_SK_SL_SM_EUlSZ_E_NS1_11comp_targetILNS1_3genE0ELNS1_11target_archE4294967295ELNS1_3gpuE0ELNS1_3repE0EEENS1_48merge_mergepath_partition_config_static_selectorELNS0_4arch9wavefront6targetE1EEEvSL_.kd
    .uniform_work_group_size: 1
    .uses_dynamic_stack: false
    .vgpr_count:     0
    .vgpr_spill_count: 0
    .wavefront_size: 64
  - .agpr_count:     0
    .args:
      - .offset:         0
        .size:           40
        .value_kind:     by_value
    .group_segment_fixed_size: 0
    .kernarg_segment_align: 8
    .kernarg_segment_size: 40
    .language:       OpenCL C
    .language_version:
      - 2
      - 0
    .max_flat_workgroup_size: 128
    .name:           _ZN7rocprim17ROCPRIM_400000_NS6detail17trampoline_kernelINS0_14default_configENS1_38merge_sort_block_merge_config_selectorIjNS0_10empty_typeEEEZZNS1_27merge_sort_block_merge_implIS3_N6thrust23THRUST_200600_302600_NS6detail15normal_iteratorINS9_10device_ptrIjEEEEPS5_jNS1_19radix_merge_compareILb0ELb1EjNS0_19identity_decomposerEEEEE10hipError_tT0_T1_T2_jT3_P12ihipStream_tbPNSt15iterator_traitsISK_E10value_typeEPNSQ_ISL_E10value_typeEPSM_NS1_7vsmem_tEENKUlT_SK_SL_SM_E_clIPjSE_SF_SF_EESJ_SZ_SK_SL_SM_EUlSZ_E_NS1_11comp_targetILNS1_3genE10ELNS1_11target_archE1201ELNS1_3gpuE5ELNS1_3repE0EEENS1_48merge_mergepath_partition_config_static_selectorELNS0_4arch9wavefront6targetE1EEEvSL_
    .private_segment_fixed_size: 0
    .sgpr_count:     6
    .sgpr_spill_count: 0
    .symbol:         _ZN7rocprim17ROCPRIM_400000_NS6detail17trampoline_kernelINS0_14default_configENS1_38merge_sort_block_merge_config_selectorIjNS0_10empty_typeEEEZZNS1_27merge_sort_block_merge_implIS3_N6thrust23THRUST_200600_302600_NS6detail15normal_iteratorINS9_10device_ptrIjEEEEPS5_jNS1_19radix_merge_compareILb0ELb1EjNS0_19identity_decomposerEEEEE10hipError_tT0_T1_T2_jT3_P12ihipStream_tbPNSt15iterator_traitsISK_E10value_typeEPNSQ_ISL_E10value_typeEPSM_NS1_7vsmem_tEENKUlT_SK_SL_SM_E_clIPjSE_SF_SF_EESJ_SZ_SK_SL_SM_EUlSZ_E_NS1_11comp_targetILNS1_3genE10ELNS1_11target_archE1201ELNS1_3gpuE5ELNS1_3repE0EEENS1_48merge_mergepath_partition_config_static_selectorELNS0_4arch9wavefront6targetE1EEEvSL_.kd
    .uniform_work_group_size: 1
    .uses_dynamic_stack: false
    .vgpr_count:     0
    .vgpr_spill_count: 0
    .wavefront_size: 64
  - .agpr_count:     0
    .args:
      - .offset:         0
        .size:           40
        .value_kind:     by_value
    .group_segment_fixed_size: 0
    .kernarg_segment_align: 8
    .kernarg_segment_size: 40
    .language:       OpenCL C
    .language_version:
      - 2
      - 0
    .max_flat_workgroup_size: 128
    .name:           _ZN7rocprim17ROCPRIM_400000_NS6detail17trampoline_kernelINS0_14default_configENS1_38merge_sort_block_merge_config_selectorIjNS0_10empty_typeEEEZZNS1_27merge_sort_block_merge_implIS3_N6thrust23THRUST_200600_302600_NS6detail15normal_iteratorINS9_10device_ptrIjEEEEPS5_jNS1_19radix_merge_compareILb0ELb1EjNS0_19identity_decomposerEEEEE10hipError_tT0_T1_T2_jT3_P12ihipStream_tbPNSt15iterator_traitsISK_E10value_typeEPNSQ_ISL_E10value_typeEPSM_NS1_7vsmem_tEENKUlT_SK_SL_SM_E_clIPjSE_SF_SF_EESJ_SZ_SK_SL_SM_EUlSZ_E_NS1_11comp_targetILNS1_3genE5ELNS1_11target_archE942ELNS1_3gpuE9ELNS1_3repE0EEENS1_48merge_mergepath_partition_config_static_selectorELNS0_4arch9wavefront6targetE1EEEvSL_
    .private_segment_fixed_size: 0
    .sgpr_count:     16
    .sgpr_spill_count: 0
    .symbol:         _ZN7rocprim17ROCPRIM_400000_NS6detail17trampoline_kernelINS0_14default_configENS1_38merge_sort_block_merge_config_selectorIjNS0_10empty_typeEEEZZNS1_27merge_sort_block_merge_implIS3_N6thrust23THRUST_200600_302600_NS6detail15normal_iteratorINS9_10device_ptrIjEEEEPS5_jNS1_19radix_merge_compareILb0ELb1EjNS0_19identity_decomposerEEEEE10hipError_tT0_T1_T2_jT3_P12ihipStream_tbPNSt15iterator_traitsISK_E10value_typeEPNSQ_ISL_E10value_typeEPSM_NS1_7vsmem_tEENKUlT_SK_SL_SM_E_clIPjSE_SF_SF_EESJ_SZ_SK_SL_SM_EUlSZ_E_NS1_11comp_targetILNS1_3genE5ELNS1_11target_archE942ELNS1_3gpuE9ELNS1_3repE0EEENS1_48merge_mergepath_partition_config_static_selectorELNS0_4arch9wavefront6targetE1EEEvSL_.kd
    .uniform_work_group_size: 1
    .uses_dynamic_stack: false
    .vgpr_count:     17
    .vgpr_spill_count: 0
    .wavefront_size: 64
  - .agpr_count:     0
    .args:
      - .offset:         0
        .size:           40
        .value_kind:     by_value
    .group_segment_fixed_size: 0
    .kernarg_segment_align: 8
    .kernarg_segment_size: 40
    .language:       OpenCL C
    .language_version:
      - 2
      - 0
    .max_flat_workgroup_size: 128
    .name:           _ZN7rocprim17ROCPRIM_400000_NS6detail17trampoline_kernelINS0_14default_configENS1_38merge_sort_block_merge_config_selectorIjNS0_10empty_typeEEEZZNS1_27merge_sort_block_merge_implIS3_N6thrust23THRUST_200600_302600_NS6detail15normal_iteratorINS9_10device_ptrIjEEEEPS5_jNS1_19radix_merge_compareILb0ELb1EjNS0_19identity_decomposerEEEEE10hipError_tT0_T1_T2_jT3_P12ihipStream_tbPNSt15iterator_traitsISK_E10value_typeEPNSQ_ISL_E10value_typeEPSM_NS1_7vsmem_tEENKUlT_SK_SL_SM_E_clIPjSE_SF_SF_EESJ_SZ_SK_SL_SM_EUlSZ_E_NS1_11comp_targetILNS1_3genE4ELNS1_11target_archE910ELNS1_3gpuE8ELNS1_3repE0EEENS1_48merge_mergepath_partition_config_static_selectorELNS0_4arch9wavefront6targetE1EEEvSL_
    .private_segment_fixed_size: 0
    .sgpr_count:     6
    .sgpr_spill_count: 0
    .symbol:         _ZN7rocprim17ROCPRIM_400000_NS6detail17trampoline_kernelINS0_14default_configENS1_38merge_sort_block_merge_config_selectorIjNS0_10empty_typeEEEZZNS1_27merge_sort_block_merge_implIS3_N6thrust23THRUST_200600_302600_NS6detail15normal_iteratorINS9_10device_ptrIjEEEEPS5_jNS1_19radix_merge_compareILb0ELb1EjNS0_19identity_decomposerEEEEE10hipError_tT0_T1_T2_jT3_P12ihipStream_tbPNSt15iterator_traitsISK_E10value_typeEPNSQ_ISL_E10value_typeEPSM_NS1_7vsmem_tEENKUlT_SK_SL_SM_E_clIPjSE_SF_SF_EESJ_SZ_SK_SL_SM_EUlSZ_E_NS1_11comp_targetILNS1_3genE4ELNS1_11target_archE910ELNS1_3gpuE8ELNS1_3repE0EEENS1_48merge_mergepath_partition_config_static_selectorELNS0_4arch9wavefront6targetE1EEEvSL_.kd
    .uniform_work_group_size: 1
    .uses_dynamic_stack: false
    .vgpr_count:     0
    .vgpr_spill_count: 0
    .wavefront_size: 64
  - .agpr_count:     0
    .args:
      - .offset:         0
        .size:           40
        .value_kind:     by_value
    .group_segment_fixed_size: 0
    .kernarg_segment_align: 8
    .kernarg_segment_size: 40
    .language:       OpenCL C
    .language_version:
      - 2
      - 0
    .max_flat_workgroup_size: 128
    .name:           _ZN7rocprim17ROCPRIM_400000_NS6detail17trampoline_kernelINS0_14default_configENS1_38merge_sort_block_merge_config_selectorIjNS0_10empty_typeEEEZZNS1_27merge_sort_block_merge_implIS3_N6thrust23THRUST_200600_302600_NS6detail15normal_iteratorINS9_10device_ptrIjEEEEPS5_jNS1_19radix_merge_compareILb0ELb1EjNS0_19identity_decomposerEEEEE10hipError_tT0_T1_T2_jT3_P12ihipStream_tbPNSt15iterator_traitsISK_E10value_typeEPNSQ_ISL_E10value_typeEPSM_NS1_7vsmem_tEENKUlT_SK_SL_SM_E_clIPjSE_SF_SF_EESJ_SZ_SK_SL_SM_EUlSZ_E_NS1_11comp_targetILNS1_3genE3ELNS1_11target_archE908ELNS1_3gpuE7ELNS1_3repE0EEENS1_48merge_mergepath_partition_config_static_selectorELNS0_4arch9wavefront6targetE1EEEvSL_
    .private_segment_fixed_size: 0
    .sgpr_count:     6
    .sgpr_spill_count: 0
    .symbol:         _ZN7rocprim17ROCPRIM_400000_NS6detail17trampoline_kernelINS0_14default_configENS1_38merge_sort_block_merge_config_selectorIjNS0_10empty_typeEEEZZNS1_27merge_sort_block_merge_implIS3_N6thrust23THRUST_200600_302600_NS6detail15normal_iteratorINS9_10device_ptrIjEEEEPS5_jNS1_19radix_merge_compareILb0ELb1EjNS0_19identity_decomposerEEEEE10hipError_tT0_T1_T2_jT3_P12ihipStream_tbPNSt15iterator_traitsISK_E10value_typeEPNSQ_ISL_E10value_typeEPSM_NS1_7vsmem_tEENKUlT_SK_SL_SM_E_clIPjSE_SF_SF_EESJ_SZ_SK_SL_SM_EUlSZ_E_NS1_11comp_targetILNS1_3genE3ELNS1_11target_archE908ELNS1_3gpuE7ELNS1_3repE0EEENS1_48merge_mergepath_partition_config_static_selectorELNS0_4arch9wavefront6targetE1EEEvSL_.kd
    .uniform_work_group_size: 1
    .uses_dynamic_stack: false
    .vgpr_count:     0
    .vgpr_spill_count: 0
    .wavefront_size: 64
  - .agpr_count:     0
    .args:
      - .offset:         0
        .size:           40
        .value_kind:     by_value
    .group_segment_fixed_size: 0
    .kernarg_segment_align: 8
    .kernarg_segment_size: 40
    .language:       OpenCL C
    .language_version:
      - 2
      - 0
    .max_flat_workgroup_size: 128
    .name:           _ZN7rocprim17ROCPRIM_400000_NS6detail17trampoline_kernelINS0_14default_configENS1_38merge_sort_block_merge_config_selectorIjNS0_10empty_typeEEEZZNS1_27merge_sort_block_merge_implIS3_N6thrust23THRUST_200600_302600_NS6detail15normal_iteratorINS9_10device_ptrIjEEEEPS5_jNS1_19radix_merge_compareILb0ELb1EjNS0_19identity_decomposerEEEEE10hipError_tT0_T1_T2_jT3_P12ihipStream_tbPNSt15iterator_traitsISK_E10value_typeEPNSQ_ISL_E10value_typeEPSM_NS1_7vsmem_tEENKUlT_SK_SL_SM_E_clIPjSE_SF_SF_EESJ_SZ_SK_SL_SM_EUlSZ_E_NS1_11comp_targetILNS1_3genE2ELNS1_11target_archE906ELNS1_3gpuE6ELNS1_3repE0EEENS1_48merge_mergepath_partition_config_static_selectorELNS0_4arch9wavefront6targetE1EEEvSL_
    .private_segment_fixed_size: 0
    .sgpr_count:     6
    .sgpr_spill_count: 0
    .symbol:         _ZN7rocprim17ROCPRIM_400000_NS6detail17trampoline_kernelINS0_14default_configENS1_38merge_sort_block_merge_config_selectorIjNS0_10empty_typeEEEZZNS1_27merge_sort_block_merge_implIS3_N6thrust23THRUST_200600_302600_NS6detail15normal_iteratorINS9_10device_ptrIjEEEEPS5_jNS1_19radix_merge_compareILb0ELb1EjNS0_19identity_decomposerEEEEE10hipError_tT0_T1_T2_jT3_P12ihipStream_tbPNSt15iterator_traitsISK_E10value_typeEPNSQ_ISL_E10value_typeEPSM_NS1_7vsmem_tEENKUlT_SK_SL_SM_E_clIPjSE_SF_SF_EESJ_SZ_SK_SL_SM_EUlSZ_E_NS1_11comp_targetILNS1_3genE2ELNS1_11target_archE906ELNS1_3gpuE6ELNS1_3repE0EEENS1_48merge_mergepath_partition_config_static_selectorELNS0_4arch9wavefront6targetE1EEEvSL_.kd
    .uniform_work_group_size: 1
    .uses_dynamic_stack: false
    .vgpr_count:     0
    .vgpr_spill_count: 0
    .wavefront_size: 64
  - .agpr_count:     0
    .args:
      - .offset:         0
        .size:           40
        .value_kind:     by_value
    .group_segment_fixed_size: 0
    .kernarg_segment_align: 8
    .kernarg_segment_size: 40
    .language:       OpenCL C
    .language_version:
      - 2
      - 0
    .max_flat_workgroup_size: 128
    .name:           _ZN7rocprim17ROCPRIM_400000_NS6detail17trampoline_kernelINS0_14default_configENS1_38merge_sort_block_merge_config_selectorIjNS0_10empty_typeEEEZZNS1_27merge_sort_block_merge_implIS3_N6thrust23THRUST_200600_302600_NS6detail15normal_iteratorINS9_10device_ptrIjEEEEPS5_jNS1_19radix_merge_compareILb0ELb1EjNS0_19identity_decomposerEEEEE10hipError_tT0_T1_T2_jT3_P12ihipStream_tbPNSt15iterator_traitsISK_E10value_typeEPNSQ_ISL_E10value_typeEPSM_NS1_7vsmem_tEENKUlT_SK_SL_SM_E_clIPjSE_SF_SF_EESJ_SZ_SK_SL_SM_EUlSZ_E_NS1_11comp_targetILNS1_3genE9ELNS1_11target_archE1100ELNS1_3gpuE3ELNS1_3repE0EEENS1_48merge_mergepath_partition_config_static_selectorELNS0_4arch9wavefront6targetE1EEEvSL_
    .private_segment_fixed_size: 0
    .sgpr_count:     6
    .sgpr_spill_count: 0
    .symbol:         _ZN7rocprim17ROCPRIM_400000_NS6detail17trampoline_kernelINS0_14default_configENS1_38merge_sort_block_merge_config_selectorIjNS0_10empty_typeEEEZZNS1_27merge_sort_block_merge_implIS3_N6thrust23THRUST_200600_302600_NS6detail15normal_iteratorINS9_10device_ptrIjEEEEPS5_jNS1_19radix_merge_compareILb0ELb1EjNS0_19identity_decomposerEEEEE10hipError_tT0_T1_T2_jT3_P12ihipStream_tbPNSt15iterator_traitsISK_E10value_typeEPNSQ_ISL_E10value_typeEPSM_NS1_7vsmem_tEENKUlT_SK_SL_SM_E_clIPjSE_SF_SF_EESJ_SZ_SK_SL_SM_EUlSZ_E_NS1_11comp_targetILNS1_3genE9ELNS1_11target_archE1100ELNS1_3gpuE3ELNS1_3repE0EEENS1_48merge_mergepath_partition_config_static_selectorELNS0_4arch9wavefront6targetE1EEEvSL_.kd
    .uniform_work_group_size: 1
    .uses_dynamic_stack: false
    .vgpr_count:     0
    .vgpr_spill_count: 0
    .wavefront_size: 64
  - .agpr_count:     0
    .args:
      - .offset:         0
        .size:           40
        .value_kind:     by_value
    .group_segment_fixed_size: 0
    .kernarg_segment_align: 8
    .kernarg_segment_size: 40
    .language:       OpenCL C
    .language_version:
      - 2
      - 0
    .max_flat_workgroup_size: 128
    .name:           _ZN7rocprim17ROCPRIM_400000_NS6detail17trampoline_kernelINS0_14default_configENS1_38merge_sort_block_merge_config_selectorIjNS0_10empty_typeEEEZZNS1_27merge_sort_block_merge_implIS3_N6thrust23THRUST_200600_302600_NS6detail15normal_iteratorINS9_10device_ptrIjEEEEPS5_jNS1_19radix_merge_compareILb0ELb1EjNS0_19identity_decomposerEEEEE10hipError_tT0_T1_T2_jT3_P12ihipStream_tbPNSt15iterator_traitsISK_E10value_typeEPNSQ_ISL_E10value_typeEPSM_NS1_7vsmem_tEENKUlT_SK_SL_SM_E_clIPjSE_SF_SF_EESJ_SZ_SK_SL_SM_EUlSZ_E_NS1_11comp_targetILNS1_3genE8ELNS1_11target_archE1030ELNS1_3gpuE2ELNS1_3repE0EEENS1_48merge_mergepath_partition_config_static_selectorELNS0_4arch9wavefront6targetE1EEEvSL_
    .private_segment_fixed_size: 0
    .sgpr_count:     6
    .sgpr_spill_count: 0
    .symbol:         _ZN7rocprim17ROCPRIM_400000_NS6detail17trampoline_kernelINS0_14default_configENS1_38merge_sort_block_merge_config_selectorIjNS0_10empty_typeEEEZZNS1_27merge_sort_block_merge_implIS3_N6thrust23THRUST_200600_302600_NS6detail15normal_iteratorINS9_10device_ptrIjEEEEPS5_jNS1_19radix_merge_compareILb0ELb1EjNS0_19identity_decomposerEEEEE10hipError_tT0_T1_T2_jT3_P12ihipStream_tbPNSt15iterator_traitsISK_E10value_typeEPNSQ_ISL_E10value_typeEPSM_NS1_7vsmem_tEENKUlT_SK_SL_SM_E_clIPjSE_SF_SF_EESJ_SZ_SK_SL_SM_EUlSZ_E_NS1_11comp_targetILNS1_3genE8ELNS1_11target_archE1030ELNS1_3gpuE2ELNS1_3repE0EEENS1_48merge_mergepath_partition_config_static_selectorELNS0_4arch9wavefront6targetE1EEEvSL_.kd
    .uniform_work_group_size: 1
    .uses_dynamic_stack: false
    .vgpr_count:     0
    .vgpr_spill_count: 0
    .wavefront_size: 64
  - .agpr_count:     0
    .args:
      - .offset:         0
        .size:           64
        .value_kind:     by_value
    .group_segment_fixed_size: 0
    .kernarg_segment_align: 8
    .kernarg_segment_size: 64
    .language:       OpenCL C
    .language_version:
      - 2
      - 0
    .max_flat_workgroup_size: 128
    .name:           _ZN7rocprim17ROCPRIM_400000_NS6detail17trampoline_kernelINS0_14default_configENS1_38merge_sort_block_merge_config_selectorIjNS0_10empty_typeEEEZZNS1_27merge_sort_block_merge_implIS3_N6thrust23THRUST_200600_302600_NS6detail15normal_iteratorINS9_10device_ptrIjEEEEPS5_jNS1_19radix_merge_compareILb0ELb1EjNS0_19identity_decomposerEEEEE10hipError_tT0_T1_T2_jT3_P12ihipStream_tbPNSt15iterator_traitsISK_E10value_typeEPNSQ_ISL_E10value_typeEPSM_NS1_7vsmem_tEENKUlT_SK_SL_SM_E_clIPjSE_SF_SF_EESJ_SZ_SK_SL_SM_EUlSZ_E0_NS1_11comp_targetILNS1_3genE0ELNS1_11target_archE4294967295ELNS1_3gpuE0ELNS1_3repE0EEENS1_38merge_mergepath_config_static_selectorELNS0_4arch9wavefront6targetE1EEEvSL_
    .private_segment_fixed_size: 0
    .sgpr_count:     6
    .sgpr_spill_count: 0
    .symbol:         _ZN7rocprim17ROCPRIM_400000_NS6detail17trampoline_kernelINS0_14default_configENS1_38merge_sort_block_merge_config_selectorIjNS0_10empty_typeEEEZZNS1_27merge_sort_block_merge_implIS3_N6thrust23THRUST_200600_302600_NS6detail15normal_iteratorINS9_10device_ptrIjEEEEPS5_jNS1_19radix_merge_compareILb0ELb1EjNS0_19identity_decomposerEEEEE10hipError_tT0_T1_T2_jT3_P12ihipStream_tbPNSt15iterator_traitsISK_E10value_typeEPNSQ_ISL_E10value_typeEPSM_NS1_7vsmem_tEENKUlT_SK_SL_SM_E_clIPjSE_SF_SF_EESJ_SZ_SK_SL_SM_EUlSZ_E0_NS1_11comp_targetILNS1_3genE0ELNS1_11target_archE4294967295ELNS1_3gpuE0ELNS1_3repE0EEENS1_38merge_mergepath_config_static_selectorELNS0_4arch9wavefront6targetE1EEEvSL_.kd
    .uniform_work_group_size: 1
    .uses_dynamic_stack: false
    .vgpr_count:     0
    .vgpr_spill_count: 0
    .wavefront_size: 64
  - .agpr_count:     0
    .args:
      - .offset:         0
        .size:           64
        .value_kind:     by_value
    .group_segment_fixed_size: 0
    .kernarg_segment_align: 8
    .kernarg_segment_size: 64
    .language:       OpenCL C
    .language_version:
      - 2
      - 0
    .max_flat_workgroup_size: 256
    .name:           _ZN7rocprim17ROCPRIM_400000_NS6detail17trampoline_kernelINS0_14default_configENS1_38merge_sort_block_merge_config_selectorIjNS0_10empty_typeEEEZZNS1_27merge_sort_block_merge_implIS3_N6thrust23THRUST_200600_302600_NS6detail15normal_iteratorINS9_10device_ptrIjEEEEPS5_jNS1_19radix_merge_compareILb0ELb1EjNS0_19identity_decomposerEEEEE10hipError_tT0_T1_T2_jT3_P12ihipStream_tbPNSt15iterator_traitsISK_E10value_typeEPNSQ_ISL_E10value_typeEPSM_NS1_7vsmem_tEENKUlT_SK_SL_SM_E_clIPjSE_SF_SF_EESJ_SZ_SK_SL_SM_EUlSZ_E0_NS1_11comp_targetILNS1_3genE10ELNS1_11target_archE1201ELNS1_3gpuE5ELNS1_3repE0EEENS1_38merge_mergepath_config_static_selectorELNS0_4arch9wavefront6targetE1EEEvSL_
    .private_segment_fixed_size: 0
    .sgpr_count:     6
    .sgpr_spill_count: 0
    .symbol:         _ZN7rocprim17ROCPRIM_400000_NS6detail17trampoline_kernelINS0_14default_configENS1_38merge_sort_block_merge_config_selectorIjNS0_10empty_typeEEEZZNS1_27merge_sort_block_merge_implIS3_N6thrust23THRUST_200600_302600_NS6detail15normal_iteratorINS9_10device_ptrIjEEEEPS5_jNS1_19radix_merge_compareILb0ELb1EjNS0_19identity_decomposerEEEEE10hipError_tT0_T1_T2_jT3_P12ihipStream_tbPNSt15iterator_traitsISK_E10value_typeEPNSQ_ISL_E10value_typeEPSM_NS1_7vsmem_tEENKUlT_SK_SL_SM_E_clIPjSE_SF_SF_EESJ_SZ_SK_SL_SM_EUlSZ_E0_NS1_11comp_targetILNS1_3genE10ELNS1_11target_archE1201ELNS1_3gpuE5ELNS1_3repE0EEENS1_38merge_mergepath_config_static_selectorELNS0_4arch9wavefront6targetE1EEEvSL_.kd
    .uniform_work_group_size: 1
    .uses_dynamic_stack: false
    .vgpr_count:     0
    .vgpr_spill_count: 0
    .wavefront_size: 64
  - .agpr_count:     0
    .args:
      - .offset:         0
        .size:           64
        .value_kind:     by_value
      - .offset:         64
        .size:           4
        .value_kind:     hidden_block_count_x
      - .offset:         68
        .size:           4
        .value_kind:     hidden_block_count_y
      - .offset:         72
        .size:           4
        .value_kind:     hidden_block_count_z
      - .offset:         76
        .size:           2
        .value_kind:     hidden_group_size_x
      - .offset:         78
        .size:           2
        .value_kind:     hidden_group_size_y
      - .offset:         80
        .size:           2
        .value_kind:     hidden_group_size_z
      - .offset:         82
        .size:           2
        .value_kind:     hidden_remainder_x
      - .offset:         84
        .size:           2
        .value_kind:     hidden_remainder_y
      - .offset:         86
        .size:           2
        .value_kind:     hidden_remainder_z
      - .offset:         104
        .size:           8
        .value_kind:     hidden_global_offset_x
      - .offset:         112
        .size:           8
        .value_kind:     hidden_global_offset_y
      - .offset:         120
        .size:           8
        .value_kind:     hidden_global_offset_z
      - .offset:         128
        .size:           2
        .value_kind:     hidden_grid_dims
    .group_segment_fixed_size: 4224
    .kernarg_segment_align: 8
    .kernarg_segment_size: 320
    .language:       OpenCL C
    .language_version:
      - 2
      - 0
    .max_flat_workgroup_size: 128
    .name:           _ZN7rocprim17ROCPRIM_400000_NS6detail17trampoline_kernelINS0_14default_configENS1_38merge_sort_block_merge_config_selectorIjNS0_10empty_typeEEEZZNS1_27merge_sort_block_merge_implIS3_N6thrust23THRUST_200600_302600_NS6detail15normal_iteratorINS9_10device_ptrIjEEEEPS5_jNS1_19radix_merge_compareILb0ELb1EjNS0_19identity_decomposerEEEEE10hipError_tT0_T1_T2_jT3_P12ihipStream_tbPNSt15iterator_traitsISK_E10value_typeEPNSQ_ISL_E10value_typeEPSM_NS1_7vsmem_tEENKUlT_SK_SL_SM_E_clIPjSE_SF_SF_EESJ_SZ_SK_SL_SM_EUlSZ_E0_NS1_11comp_targetILNS1_3genE5ELNS1_11target_archE942ELNS1_3gpuE9ELNS1_3repE0EEENS1_38merge_mergepath_config_static_selectorELNS0_4arch9wavefront6targetE1EEEvSL_
    .private_segment_fixed_size: 0
    .sgpr_count:     31
    .sgpr_spill_count: 0
    .symbol:         _ZN7rocprim17ROCPRIM_400000_NS6detail17trampoline_kernelINS0_14default_configENS1_38merge_sort_block_merge_config_selectorIjNS0_10empty_typeEEEZZNS1_27merge_sort_block_merge_implIS3_N6thrust23THRUST_200600_302600_NS6detail15normal_iteratorINS9_10device_ptrIjEEEEPS5_jNS1_19radix_merge_compareILb0ELb1EjNS0_19identity_decomposerEEEEE10hipError_tT0_T1_T2_jT3_P12ihipStream_tbPNSt15iterator_traitsISK_E10value_typeEPNSQ_ISL_E10value_typeEPSM_NS1_7vsmem_tEENKUlT_SK_SL_SM_E_clIPjSE_SF_SF_EESJ_SZ_SK_SL_SM_EUlSZ_E0_NS1_11comp_targetILNS1_3genE5ELNS1_11target_archE942ELNS1_3gpuE9ELNS1_3repE0EEENS1_38merge_mergepath_config_static_selectorELNS0_4arch9wavefront6targetE1EEEvSL_.kd
    .uniform_work_group_size: 1
    .uses_dynamic_stack: false
    .vgpr_count:     26
    .vgpr_spill_count: 0
    .wavefront_size: 64
  - .agpr_count:     0
    .args:
      - .offset:         0
        .size:           64
        .value_kind:     by_value
    .group_segment_fixed_size: 0
    .kernarg_segment_align: 8
    .kernarg_segment_size: 64
    .language:       OpenCL C
    .language_version:
      - 2
      - 0
    .max_flat_workgroup_size: 128
    .name:           _ZN7rocprim17ROCPRIM_400000_NS6detail17trampoline_kernelINS0_14default_configENS1_38merge_sort_block_merge_config_selectorIjNS0_10empty_typeEEEZZNS1_27merge_sort_block_merge_implIS3_N6thrust23THRUST_200600_302600_NS6detail15normal_iteratorINS9_10device_ptrIjEEEEPS5_jNS1_19radix_merge_compareILb0ELb1EjNS0_19identity_decomposerEEEEE10hipError_tT0_T1_T2_jT3_P12ihipStream_tbPNSt15iterator_traitsISK_E10value_typeEPNSQ_ISL_E10value_typeEPSM_NS1_7vsmem_tEENKUlT_SK_SL_SM_E_clIPjSE_SF_SF_EESJ_SZ_SK_SL_SM_EUlSZ_E0_NS1_11comp_targetILNS1_3genE4ELNS1_11target_archE910ELNS1_3gpuE8ELNS1_3repE0EEENS1_38merge_mergepath_config_static_selectorELNS0_4arch9wavefront6targetE1EEEvSL_
    .private_segment_fixed_size: 0
    .sgpr_count:     6
    .sgpr_spill_count: 0
    .symbol:         _ZN7rocprim17ROCPRIM_400000_NS6detail17trampoline_kernelINS0_14default_configENS1_38merge_sort_block_merge_config_selectorIjNS0_10empty_typeEEEZZNS1_27merge_sort_block_merge_implIS3_N6thrust23THRUST_200600_302600_NS6detail15normal_iteratorINS9_10device_ptrIjEEEEPS5_jNS1_19radix_merge_compareILb0ELb1EjNS0_19identity_decomposerEEEEE10hipError_tT0_T1_T2_jT3_P12ihipStream_tbPNSt15iterator_traitsISK_E10value_typeEPNSQ_ISL_E10value_typeEPSM_NS1_7vsmem_tEENKUlT_SK_SL_SM_E_clIPjSE_SF_SF_EESJ_SZ_SK_SL_SM_EUlSZ_E0_NS1_11comp_targetILNS1_3genE4ELNS1_11target_archE910ELNS1_3gpuE8ELNS1_3repE0EEENS1_38merge_mergepath_config_static_selectorELNS0_4arch9wavefront6targetE1EEEvSL_.kd
    .uniform_work_group_size: 1
    .uses_dynamic_stack: false
    .vgpr_count:     0
    .vgpr_spill_count: 0
    .wavefront_size: 64
  - .agpr_count:     0
    .args:
      - .offset:         0
        .size:           64
        .value_kind:     by_value
    .group_segment_fixed_size: 0
    .kernarg_segment_align: 8
    .kernarg_segment_size: 64
    .language:       OpenCL C
    .language_version:
      - 2
      - 0
    .max_flat_workgroup_size: 128
    .name:           _ZN7rocprim17ROCPRIM_400000_NS6detail17trampoline_kernelINS0_14default_configENS1_38merge_sort_block_merge_config_selectorIjNS0_10empty_typeEEEZZNS1_27merge_sort_block_merge_implIS3_N6thrust23THRUST_200600_302600_NS6detail15normal_iteratorINS9_10device_ptrIjEEEEPS5_jNS1_19radix_merge_compareILb0ELb1EjNS0_19identity_decomposerEEEEE10hipError_tT0_T1_T2_jT3_P12ihipStream_tbPNSt15iterator_traitsISK_E10value_typeEPNSQ_ISL_E10value_typeEPSM_NS1_7vsmem_tEENKUlT_SK_SL_SM_E_clIPjSE_SF_SF_EESJ_SZ_SK_SL_SM_EUlSZ_E0_NS1_11comp_targetILNS1_3genE3ELNS1_11target_archE908ELNS1_3gpuE7ELNS1_3repE0EEENS1_38merge_mergepath_config_static_selectorELNS0_4arch9wavefront6targetE1EEEvSL_
    .private_segment_fixed_size: 0
    .sgpr_count:     6
    .sgpr_spill_count: 0
    .symbol:         _ZN7rocprim17ROCPRIM_400000_NS6detail17trampoline_kernelINS0_14default_configENS1_38merge_sort_block_merge_config_selectorIjNS0_10empty_typeEEEZZNS1_27merge_sort_block_merge_implIS3_N6thrust23THRUST_200600_302600_NS6detail15normal_iteratorINS9_10device_ptrIjEEEEPS5_jNS1_19radix_merge_compareILb0ELb1EjNS0_19identity_decomposerEEEEE10hipError_tT0_T1_T2_jT3_P12ihipStream_tbPNSt15iterator_traitsISK_E10value_typeEPNSQ_ISL_E10value_typeEPSM_NS1_7vsmem_tEENKUlT_SK_SL_SM_E_clIPjSE_SF_SF_EESJ_SZ_SK_SL_SM_EUlSZ_E0_NS1_11comp_targetILNS1_3genE3ELNS1_11target_archE908ELNS1_3gpuE7ELNS1_3repE0EEENS1_38merge_mergepath_config_static_selectorELNS0_4arch9wavefront6targetE1EEEvSL_.kd
    .uniform_work_group_size: 1
    .uses_dynamic_stack: false
    .vgpr_count:     0
    .vgpr_spill_count: 0
    .wavefront_size: 64
  - .agpr_count:     0
    .args:
      - .offset:         0
        .size:           64
        .value_kind:     by_value
    .group_segment_fixed_size: 0
    .kernarg_segment_align: 8
    .kernarg_segment_size: 64
    .language:       OpenCL C
    .language_version:
      - 2
      - 0
    .max_flat_workgroup_size: 128
    .name:           _ZN7rocprim17ROCPRIM_400000_NS6detail17trampoline_kernelINS0_14default_configENS1_38merge_sort_block_merge_config_selectorIjNS0_10empty_typeEEEZZNS1_27merge_sort_block_merge_implIS3_N6thrust23THRUST_200600_302600_NS6detail15normal_iteratorINS9_10device_ptrIjEEEEPS5_jNS1_19radix_merge_compareILb0ELb1EjNS0_19identity_decomposerEEEEE10hipError_tT0_T1_T2_jT3_P12ihipStream_tbPNSt15iterator_traitsISK_E10value_typeEPNSQ_ISL_E10value_typeEPSM_NS1_7vsmem_tEENKUlT_SK_SL_SM_E_clIPjSE_SF_SF_EESJ_SZ_SK_SL_SM_EUlSZ_E0_NS1_11comp_targetILNS1_3genE2ELNS1_11target_archE906ELNS1_3gpuE6ELNS1_3repE0EEENS1_38merge_mergepath_config_static_selectorELNS0_4arch9wavefront6targetE1EEEvSL_
    .private_segment_fixed_size: 0
    .sgpr_count:     6
    .sgpr_spill_count: 0
    .symbol:         _ZN7rocprim17ROCPRIM_400000_NS6detail17trampoline_kernelINS0_14default_configENS1_38merge_sort_block_merge_config_selectorIjNS0_10empty_typeEEEZZNS1_27merge_sort_block_merge_implIS3_N6thrust23THRUST_200600_302600_NS6detail15normal_iteratorINS9_10device_ptrIjEEEEPS5_jNS1_19radix_merge_compareILb0ELb1EjNS0_19identity_decomposerEEEEE10hipError_tT0_T1_T2_jT3_P12ihipStream_tbPNSt15iterator_traitsISK_E10value_typeEPNSQ_ISL_E10value_typeEPSM_NS1_7vsmem_tEENKUlT_SK_SL_SM_E_clIPjSE_SF_SF_EESJ_SZ_SK_SL_SM_EUlSZ_E0_NS1_11comp_targetILNS1_3genE2ELNS1_11target_archE906ELNS1_3gpuE6ELNS1_3repE0EEENS1_38merge_mergepath_config_static_selectorELNS0_4arch9wavefront6targetE1EEEvSL_.kd
    .uniform_work_group_size: 1
    .uses_dynamic_stack: false
    .vgpr_count:     0
    .vgpr_spill_count: 0
    .wavefront_size: 64
  - .agpr_count:     0
    .args:
      - .offset:         0
        .size:           64
        .value_kind:     by_value
    .group_segment_fixed_size: 0
    .kernarg_segment_align: 8
    .kernarg_segment_size: 64
    .language:       OpenCL C
    .language_version:
      - 2
      - 0
    .max_flat_workgroup_size: 256
    .name:           _ZN7rocprim17ROCPRIM_400000_NS6detail17trampoline_kernelINS0_14default_configENS1_38merge_sort_block_merge_config_selectorIjNS0_10empty_typeEEEZZNS1_27merge_sort_block_merge_implIS3_N6thrust23THRUST_200600_302600_NS6detail15normal_iteratorINS9_10device_ptrIjEEEEPS5_jNS1_19radix_merge_compareILb0ELb1EjNS0_19identity_decomposerEEEEE10hipError_tT0_T1_T2_jT3_P12ihipStream_tbPNSt15iterator_traitsISK_E10value_typeEPNSQ_ISL_E10value_typeEPSM_NS1_7vsmem_tEENKUlT_SK_SL_SM_E_clIPjSE_SF_SF_EESJ_SZ_SK_SL_SM_EUlSZ_E0_NS1_11comp_targetILNS1_3genE9ELNS1_11target_archE1100ELNS1_3gpuE3ELNS1_3repE0EEENS1_38merge_mergepath_config_static_selectorELNS0_4arch9wavefront6targetE1EEEvSL_
    .private_segment_fixed_size: 0
    .sgpr_count:     6
    .sgpr_spill_count: 0
    .symbol:         _ZN7rocprim17ROCPRIM_400000_NS6detail17trampoline_kernelINS0_14default_configENS1_38merge_sort_block_merge_config_selectorIjNS0_10empty_typeEEEZZNS1_27merge_sort_block_merge_implIS3_N6thrust23THRUST_200600_302600_NS6detail15normal_iteratorINS9_10device_ptrIjEEEEPS5_jNS1_19radix_merge_compareILb0ELb1EjNS0_19identity_decomposerEEEEE10hipError_tT0_T1_T2_jT3_P12ihipStream_tbPNSt15iterator_traitsISK_E10value_typeEPNSQ_ISL_E10value_typeEPSM_NS1_7vsmem_tEENKUlT_SK_SL_SM_E_clIPjSE_SF_SF_EESJ_SZ_SK_SL_SM_EUlSZ_E0_NS1_11comp_targetILNS1_3genE9ELNS1_11target_archE1100ELNS1_3gpuE3ELNS1_3repE0EEENS1_38merge_mergepath_config_static_selectorELNS0_4arch9wavefront6targetE1EEEvSL_.kd
    .uniform_work_group_size: 1
    .uses_dynamic_stack: false
    .vgpr_count:     0
    .vgpr_spill_count: 0
    .wavefront_size: 64
  - .agpr_count:     0
    .args:
      - .offset:         0
        .size:           64
        .value_kind:     by_value
    .group_segment_fixed_size: 0
    .kernarg_segment_align: 8
    .kernarg_segment_size: 64
    .language:       OpenCL C
    .language_version:
      - 2
      - 0
    .max_flat_workgroup_size: 512
    .name:           _ZN7rocprim17ROCPRIM_400000_NS6detail17trampoline_kernelINS0_14default_configENS1_38merge_sort_block_merge_config_selectorIjNS0_10empty_typeEEEZZNS1_27merge_sort_block_merge_implIS3_N6thrust23THRUST_200600_302600_NS6detail15normal_iteratorINS9_10device_ptrIjEEEEPS5_jNS1_19radix_merge_compareILb0ELb1EjNS0_19identity_decomposerEEEEE10hipError_tT0_T1_T2_jT3_P12ihipStream_tbPNSt15iterator_traitsISK_E10value_typeEPNSQ_ISL_E10value_typeEPSM_NS1_7vsmem_tEENKUlT_SK_SL_SM_E_clIPjSE_SF_SF_EESJ_SZ_SK_SL_SM_EUlSZ_E0_NS1_11comp_targetILNS1_3genE8ELNS1_11target_archE1030ELNS1_3gpuE2ELNS1_3repE0EEENS1_38merge_mergepath_config_static_selectorELNS0_4arch9wavefront6targetE1EEEvSL_
    .private_segment_fixed_size: 0
    .sgpr_count:     6
    .sgpr_spill_count: 0
    .symbol:         _ZN7rocprim17ROCPRIM_400000_NS6detail17trampoline_kernelINS0_14default_configENS1_38merge_sort_block_merge_config_selectorIjNS0_10empty_typeEEEZZNS1_27merge_sort_block_merge_implIS3_N6thrust23THRUST_200600_302600_NS6detail15normal_iteratorINS9_10device_ptrIjEEEEPS5_jNS1_19radix_merge_compareILb0ELb1EjNS0_19identity_decomposerEEEEE10hipError_tT0_T1_T2_jT3_P12ihipStream_tbPNSt15iterator_traitsISK_E10value_typeEPNSQ_ISL_E10value_typeEPSM_NS1_7vsmem_tEENKUlT_SK_SL_SM_E_clIPjSE_SF_SF_EESJ_SZ_SK_SL_SM_EUlSZ_E0_NS1_11comp_targetILNS1_3genE8ELNS1_11target_archE1030ELNS1_3gpuE2ELNS1_3repE0EEENS1_38merge_mergepath_config_static_selectorELNS0_4arch9wavefront6targetE1EEEvSL_.kd
    .uniform_work_group_size: 1
    .uses_dynamic_stack: false
    .vgpr_count:     0
    .vgpr_spill_count: 0
    .wavefront_size: 64
  - .agpr_count:     0
    .args:
      - .offset:         0
        .size:           48
        .value_kind:     by_value
    .group_segment_fixed_size: 0
    .kernarg_segment_align: 8
    .kernarg_segment_size: 48
    .language:       OpenCL C
    .language_version:
      - 2
      - 0
    .max_flat_workgroup_size: 256
    .name:           _ZN7rocprim17ROCPRIM_400000_NS6detail17trampoline_kernelINS0_14default_configENS1_38merge_sort_block_merge_config_selectorIjNS0_10empty_typeEEEZZNS1_27merge_sort_block_merge_implIS3_N6thrust23THRUST_200600_302600_NS6detail15normal_iteratorINS9_10device_ptrIjEEEEPS5_jNS1_19radix_merge_compareILb0ELb1EjNS0_19identity_decomposerEEEEE10hipError_tT0_T1_T2_jT3_P12ihipStream_tbPNSt15iterator_traitsISK_E10value_typeEPNSQ_ISL_E10value_typeEPSM_NS1_7vsmem_tEENKUlT_SK_SL_SM_E_clIPjSE_SF_SF_EESJ_SZ_SK_SL_SM_EUlSZ_E1_NS1_11comp_targetILNS1_3genE0ELNS1_11target_archE4294967295ELNS1_3gpuE0ELNS1_3repE0EEENS1_36merge_oddeven_config_static_selectorELNS0_4arch9wavefront6targetE1EEEvSL_
    .private_segment_fixed_size: 0
    .sgpr_count:     6
    .sgpr_spill_count: 0
    .symbol:         _ZN7rocprim17ROCPRIM_400000_NS6detail17trampoline_kernelINS0_14default_configENS1_38merge_sort_block_merge_config_selectorIjNS0_10empty_typeEEEZZNS1_27merge_sort_block_merge_implIS3_N6thrust23THRUST_200600_302600_NS6detail15normal_iteratorINS9_10device_ptrIjEEEEPS5_jNS1_19radix_merge_compareILb0ELb1EjNS0_19identity_decomposerEEEEE10hipError_tT0_T1_T2_jT3_P12ihipStream_tbPNSt15iterator_traitsISK_E10value_typeEPNSQ_ISL_E10value_typeEPSM_NS1_7vsmem_tEENKUlT_SK_SL_SM_E_clIPjSE_SF_SF_EESJ_SZ_SK_SL_SM_EUlSZ_E1_NS1_11comp_targetILNS1_3genE0ELNS1_11target_archE4294967295ELNS1_3gpuE0ELNS1_3repE0EEENS1_36merge_oddeven_config_static_selectorELNS0_4arch9wavefront6targetE1EEEvSL_.kd
    .uniform_work_group_size: 1
    .uses_dynamic_stack: false
    .vgpr_count:     0
    .vgpr_spill_count: 0
    .wavefront_size: 64
  - .agpr_count:     0
    .args:
      - .offset:         0
        .size:           48
        .value_kind:     by_value
    .group_segment_fixed_size: 0
    .kernarg_segment_align: 8
    .kernarg_segment_size: 48
    .language:       OpenCL C
    .language_version:
      - 2
      - 0
    .max_flat_workgroup_size: 256
    .name:           _ZN7rocprim17ROCPRIM_400000_NS6detail17trampoline_kernelINS0_14default_configENS1_38merge_sort_block_merge_config_selectorIjNS0_10empty_typeEEEZZNS1_27merge_sort_block_merge_implIS3_N6thrust23THRUST_200600_302600_NS6detail15normal_iteratorINS9_10device_ptrIjEEEEPS5_jNS1_19radix_merge_compareILb0ELb1EjNS0_19identity_decomposerEEEEE10hipError_tT0_T1_T2_jT3_P12ihipStream_tbPNSt15iterator_traitsISK_E10value_typeEPNSQ_ISL_E10value_typeEPSM_NS1_7vsmem_tEENKUlT_SK_SL_SM_E_clIPjSE_SF_SF_EESJ_SZ_SK_SL_SM_EUlSZ_E1_NS1_11comp_targetILNS1_3genE10ELNS1_11target_archE1201ELNS1_3gpuE5ELNS1_3repE0EEENS1_36merge_oddeven_config_static_selectorELNS0_4arch9wavefront6targetE1EEEvSL_
    .private_segment_fixed_size: 0
    .sgpr_count:     6
    .sgpr_spill_count: 0
    .symbol:         _ZN7rocprim17ROCPRIM_400000_NS6detail17trampoline_kernelINS0_14default_configENS1_38merge_sort_block_merge_config_selectorIjNS0_10empty_typeEEEZZNS1_27merge_sort_block_merge_implIS3_N6thrust23THRUST_200600_302600_NS6detail15normal_iteratorINS9_10device_ptrIjEEEEPS5_jNS1_19radix_merge_compareILb0ELb1EjNS0_19identity_decomposerEEEEE10hipError_tT0_T1_T2_jT3_P12ihipStream_tbPNSt15iterator_traitsISK_E10value_typeEPNSQ_ISL_E10value_typeEPSM_NS1_7vsmem_tEENKUlT_SK_SL_SM_E_clIPjSE_SF_SF_EESJ_SZ_SK_SL_SM_EUlSZ_E1_NS1_11comp_targetILNS1_3genE10ELNS1_11target_archE1201ELNS1_3gpuE5ELNS1_3repE0EEENS1_36merge_oddeven_config_static_selectorELNS0_4arch9wavefront6targetE1EEEvSL_.kd
    .uniform_work_group_size: 1
    .uses_dynamic_stack: false
    .vgpr_count:     0
    .vgpr_spill_count: 0
    .wavefront_size: 64
  - .agpr_count:     0
    .args:
      - .offset:         0
        .size:           48
        .value_kind:     by_value
    .group_segment_fixed_size: 0
    .kernarg_segment_align: 8
    .kernarg_segment_size: 48
    .language:       OpenCL C
    .language_version:
      - 2
      - 0
    .max_flat_workgroup_size: 256
    .name:           _ZN7rocprim17ROCPRIM_400000_NS6detail17trampoline_kernelINS0_14default_configENS1_38merge_sort_block_merge_config_selectorIjNS0_10empty_typeEEEZZNS1_27merge_sort_block_merge_implIS3_N6thrust23THRUST_200600_302600_NS6detail15normal_iteratorINS9_10device_ptrIjEEEEPS5_jNS1_19radix_merge_compareILb0ELb1EjNS0_19identity_decomposerEEEEE10hipError_tT0_T1_T2_jT3_P12ihipStream_tbPNSt15iterator_traitsISK_E10value_typeEPNSQ_ISL_E10value_typeEPSM_NS1_7vsmem_tEENKUlT_SK_SL_SM_E_clIPjSE_SF_SF_EESJ_SZ_SK_SL_SM_EUlSZ_E1_NS1_11comp_targetILNS1_3genE5ELNS1_11target_archE942ELNS1_3gpuE9ELNS1_3repE0EEENS1_36merge_oddeven_config_static_selectorELNS0_4arch9wavefront6targetE1EEEvSL_
    .private_segment_fixed_size: 0
    .sgpr_count:     27
    .sgpr_spill_count: 0
    .symbol:         _ZN7rocprim17ROCPRIM_400000_NS6detail17trampoline_kernelINS0_14default_configENS1_38merge_sort_block_merge_config_selectorIjNS0_10empty_typeEEEZZNS1_27merge_sort_block_merge_implIS3_N6thrust23THRUST_200600_302600_NS6detail15normal_iteratorINS9_10device_ptrIjEEEEPS5_jNS1_19radix_merge_compareILb0ELb1EjNS0_19identity_decomposerEEEEE10hipError_tT0_T1_T2_jT3_P12ihipStream_tbPNSt15iterator_traitsISK_E10value_typeEPNSQ_ISL_E10value_typeEPSM_NS1_7vsmem_tEENKUlT_SK_SL_SM_E_clIPjSE_SF_SF_EESJ_SZ_SK_SL_SM_EUlSZ_E1_NS1_11comp_targetILNS1_3genE5ELNS1_11target_archE942ELNS1_3gpuE9ELNS1_3repE0EEENS1_36merge_oddeven_config_static_selectorELNS0_4arch9wavefront6targetE1EEEvSL_.kd
    .uniform_work_group_size: 1
    .uses_dynamic_stack: false
    .vgpr_count:     10
    .vgpr_spill_count: 0
    .wavefront_size: 64
  - .agpr_count:     0
    .args:
      - .offset:         0
        .size:           48
        .value_kind:     by_value
    .group_segment_fixed_size: 0
    .kernarg_segment_align: 8
    .kernarg_segment_size: 48
    .language:       OpenCL C
    .language_version:
      - 2
      - 0
    .max_flat_workgroup_size: 256
    .name:           _ZN7rocprim17ROCPRIM_400000_NS6detail17trampoline_kernelINS0_14default_configENS1_38merge_sort_block_merge_config_selectorIjNS0_10empty_typeEEEZZNS1_27merge_sort_block_merge_implIS3_N6thrust23THRUST_200600_302600_NS6detail15normal_iteratorINS9_10device_ptrIjEEEEPS5_jNS1_19radix_merge_compareILb0ELb1EjNS0_19identity_decomposerEEEEE10hipError_tT0_T1_T2_jT3_P12ihipStream_tbPNSt15iterator_traitsISK_E10value_typeEPNSQ_ISL_E10value_typeEPSM_NS1_7vsmem_tEENKUlT_SK_SL_SM_E_clIPjSE_SF_SF_EESJ_SZ_SK_SL_SM_EUlSZ_E1_NS1_11comp_targetILNS1_3genE4ELNS1_11target_archE910ELNS1_3gpuE8ELNS1_3repE0EEENS1_36merge_oddeven_config_static_selectorELNS0_4arch9wavefront6targetE1EEEvSL_
    .private_segment_fixed_size: 0
    .sgpr_count:     6
    .sgpr_spill_count: 0
    .symbol:         _ZN7rocprim17ROCPRIM_400000_NS6detail17trampoline_kernelINS0_14default_configENS1_38merge_sort_block_merge_config_selectorIjNS0_10empty_typeEEEZZNS1_27merge_sort_block_merge_implIS3_N6thrust23THRUST_200600_302600_NS6detail15normal_iteratorINS9_10device_ptrIjEEEEPS5_jNS1_19radix_merge_compareILb0ELb1EjNS0_19identity_decomposerEEEEE10hipError_tT0_T1_T2_jT3_P12ihipStream_tbPNSt15iterator_traitsISK_E10value_typeEPNSQ_ISL_E10value_typeEPSM_NS1_7vsmem_tEENKUlT_SK_SL_SM_E_clIPjSE_SF_SF_EESJ_SZ_SK_SL_SM_EUlSZ_E1_NS1_11comp_targetILNS1_3genE4ELNS1_11target_archE910ELNS1_3gpuE8ELNS1_3repE0EEENS1_36merge_oddeven_config_static_selectorELNS0_4arch9wavefront6targetE1EEEvSL_.kd
    .uniform_work_group_size: 1
    .uses_dynamic_stack: false
    .vgpr_count:     0
    .vgpr_spill_count: 0
    .wavefront_size: 64
  - .agpr_count:     0
    .args:
      - .offset:         0
        .size:           48
        .value_kind:     by_value
    .group_segment_fixed_size: 0
    .kernarg_segment_align: 8
    .kernarg_segment_size: 48
    .language:       OpenCL C
    .language_version:
      - 2
      - 0
    .max_flat_workgroup_size: 256
    .name:           _ZN7rocprim17ROCPRIM_400000_NS6detail17trampoline_kernelINS0_14default_configENS1_38merge_sort_block_merge_config_selectorIjNS0_10empty_typeEEEZZNS1_27merge_sort_block_merge_implIS3_N6thrust23THRUST_200600_302600_NS6detail15normal_iteratorINS9_10device_ptrIjEEEEPS5_jNS1_19radix_merge_compareILb0ELb1EjNS0_19identity_decomposerEEEEE10hipError_tT0_T1_T2_jT3_P12ihipStream_tbPNSt15iterator_traitsISK_E10value_typeEPNSQ_ISL_E10value_typeEPSM_NS1_7vsmem_tEENKUlT_SK_SL_SM_E_clIPjSE_SF_SF_EESJ_SZ_SK_SL_SM_EUlSZ_E1_NS1_11comp_targetILNS1_3genE3ELNS1_11target_archE908ELNS1_3gpuE7ELNS1_3repE0EEENS1_36merge_oddeven_config_static_selectorELNS0_4arch9wavefront6targetE1EEEvSL_
    .private_segment_fixed_size: 0
    .sgpr_count:     6
    .sgpr_spill_count: 0
    .symbol:         _ZN7rocprim17ROCPRIM_400000_NS6detail17trampoline_kernelINS0_14default_configENS1_38merge_sort_block_merge_config_selectorIjNS0_10empty_typeEEEZZNS1_27merge_sort_block_merge_implIS3_N6thrust23THRUST_200600_302600_NS6detail15normal_iteratorINS9_10device_ptrIjEEEEPS5_jNS1_19radix_merge_compareILb0ELb1EjNS0_19identity_decomposerEEEEE10hipError_tT0_T1_T2_jT3_P12ihipStream_tbPNSt15iterator_traitsISK_E10value_typeEPNSQ_ISL_E10value_typeEPSM_NS1_7vsmem_tEENKUlT_SK_SL_SM_E_clIPjSE_SF_SF_EESJ_SZ_SK_SL_SM_EUlSZ_E1_NS1_11comp_targetILNS1_3genE3ELNS1_11target_archE908ELNS1_3gpuE7ELNS1_3repE0EEENS1_36merge_oddeven_config_static_selectorELNS0_4arch9wavefront6targetE1EEEvSL_.kd
    .uniform_work_group_size: 1
    .uses_dynamic_stack: false
    .vgpr_count:     0
    .vgpr_spill_count: 0
    .wavefront_size: 64
  - .agpr_count:     0
    .args:
      - .offset:         0
        .size:           48
        .value_kind:     by_value
    .group_segment_fixed_size: 0
    .kernarg_segment_align: 8
    .kernarg_segment_size: 48
    .language:       OpenCL C
    .language_version:
      - 2
      - 0
    .max_flat_workgroup_size: 256
    .name:           _ZN7rocprim17ROCPRIM_400000_NS6detail17trampoline_kernelINS0_14default_configENS1_38merge_sort_block_merge_config_selectorIjNS0_10empty_typeEEEZZNS1_27merge_sort_block_merge_implIS3_N6thrust23THRUST_200600_302600_NS6detail15normal_iteratorINS9_10device_ptrIjEEEEPS5_jNS1_19radix_merge_compareILb0ELb1EjNS0_19identity_decomposerEEEEE10hipError_tT0_T1_T2_jT3_P12ihipStream_tbPNSt15iterator_traitsISK_E10value_typeEPNSQ_ISL_E10value_typeEPSM_NS1_7vsmem_tEENKUlT_SK_SL_SM_E_clIPjSE_SF_SF_EESJ_SZ_SK_SL_SM_EUlSZ_E1_NS1_11comp_targetILNS1_3genE2ELNS1_11target_archE906ELNS1_3gpuE6ELNS1_3repE0EEENS1_36merge_oddeven_config_static_selectorELNS0_4arch9wavefront6targetE1EEEvSL_
    .private_segment_fixed_size: 0
    .sgpr_count:     6
    .sgpr_spill_count: 0
    .symbol:         _ZN7rocprim17ROCPRIM_400000_NS6detail17trampoline_kernelINS0_14default_configENS1_38merge_sort_block_merge_config_selectorIjNS0_10empty_typeEEEZZNS1_27merge_sort_block_merge_implIS3_N6thrust23THRUST_200600_302600_NS6detail15normal_iteratorINS9_10device_ptrIjEEEEPS5_jNS1_19radix_merge_compareILb0ELb1EjNS0_19identity_decomposerEEEEE10hipError_tT0_T1_T2_jT3_P12ihipStream_tbPNSt15iterator_traitsISK_E10value_typeEPNSQ_ISL_E10value_typeEPSM_NS1_7vsmem_tEENKUlT_SK_SL_SM_E_clIPjSE_SF_SF_EESJ_SZ_SK_SL_SM_EUlSZ_E1_NS1_11comp_targetILNS1_3genE2ELNS1_11target_archE906ELNS1_3gpuE6ELNS1_3repE0EEENS1_36merge_oddeven_config_static_selectorELNS0_4arch9wavefront6targetE1EEEvSL_.kd
    .uniform_work_group_size: 1
    .uses_dynamic_stack: false
    .vgpr_count:     0
    .vgpr_spill_count: 0
    .wavefront_size: 64
  - .agpr_count:     0
    .args:
      - .offset:         0
        .size:           48
        .value_kind:     by_value
    .group_segment_fixed_size: 0
    .kernarg_segment_align: 8
    .kernarg_segment_size: 48
    .language:       OpenCL C
    .language_version:
      - 2
      - 0
    .max_flat_workgroup_size: 256
    .name:           _ZN7rocprim17ROCPRIM_400000_NS6detail17trampoline_kernelINS0_14default_configENS1_38merge_sort_block_merge_config_selectorIjNS0_10empty_typeEEEZZNS1_27merge_sort_block_merge_implIS3_N6thrust23THRUST_200600_302600_NS6detail15normal_iteratorINS9_10device_ptrIjEEEEPS5_jNS1_19radix_merge_compareILb0ELb1EjNS0_19identity_decomposerEEEEE10hipError_tT0_T1_T2_jT3_P12ihipStream_tbPNSt15iterator_traitsISK_E10value_typeEPNSQ_ISL_E10value_typeEPSM_NS1_7vsmem_tEENKUlT_SK_SL_SM_E_clIPjSE_SF_SF_EESJ_SZ_SK_SL_SM_EUlSZ_E1_NS1_11comp_targetILNS1_3genE9ELNS1_11target_archE1100ELNS1_3gpuE3ELNS1_3repE0EEENS1_36merge_oddeven_config_static_selectorELNS0_4arch9wavefront6targetE1EEEvSL_
    .private_segment_fixed_size: 0
    .sgpr_count:     6
    .sgpr_spill_count: 0
    .symbol:         _ZN7rocprim17ROCPRIM_400000_NS6detail17trampoline_kernelINS0_14default_configENS1_38merge_sort_block_merge_config_selectorIjNS0_10empty_typeEEEZZNS1_27merge_sort_block_merge_implIS3_N6thrust23THRUST_200600_302600_NS6detail15normal_iteratorINS9_10device_ptrIjEEEEPS5_jNS1_19radix_merge_compareILb0ELb1EjNS0_19identity_decomposerEEEEE10hipError_tT0_T1_T2_jT3_P12ihipStream_tbPNSt15iterator_traitsISK_E10value_typeEPNSQ_ISL_E10value_typeEPSM_NS1_7vsmem_tEENKUlT_SK_SL_SM_E_clIPjSE_SF_SF_EESJ_SZ_SK_SL_SM_EUlSZ_E1_NS1_11comp_targetILNS1_3genE9ELNS1_11target_archE1100ELNS1_3gpuE3ELNS1_3repE0EEENS1_36merge_oddeven_config_static_selectorELNS0_4arch9wavefront6targetE1EEEvSL_.kd
    .uniform_work_group_size: 1
    .uses_dynamic_stack: false
    .vgpr_count:     0
    .vgpr_spill_count: 0
    .wavefront_size: 64
  - .agpr_count:     0
    .args:
      - .offset:         0
        .size:           48
        .value_kind:     by_value
    .group_segment_fixed_size: 0
    .kernarg_segment_align: 8
    .kernarg_segment_size: 48
    .language:       OpenCL C
    .language_version:
      - 2
      - 0
    .max_flat_workgroup_size: 256
    .name:           _ZN7rocprim17ROCPRIM_400000_NS6detail17trampoline_kernelINS0_14default_configENS1_38merge_sort_block_merge_config_selectorIjNS0_10empty_typeEEEZZNS1_27merge_sort_block_merge_implIS3_N6thrust23THRUST_200600_302600_NS6detail15normal_iteratorINS9_10device_ptrIjEEEEPS5_jNS1_19radix_merge_compareILb0ELb1EjNS0_19identity_decomposerEEEEE10hipError_tT0_T1_T2_jT3_P12ihipStream_tbPNSt15iterator_traitsISK_E10value_typeEPNSQ_ISL_E10value_typeEPSM_NS1_7vsmem_tEENKUlT_SK_SL_SM_E_clIPjSE_SF_SF_EESJ_SZ_SK_SL_SM_EUlSZ_E1_NS1_11comp_targetILNS1_3genE8ELNS1_11target_archE1030ELNS1_3gpuE2ELNS1_3repE0EEENS1_36merge_oddeven_config_static_selectorELNS0_4arch9wavefront6targetE1EEEvSL_
    .private_segment_fixed_size: 0
    .sgpr_count:     6
    .sgpr_spill_count: 0
    .symbol:         _ZN7rocprim17ROCPRIM_400000_NS6detail17trampoline_kernelINS0_14default_configENS1_38merge_sort_block_merge_config_selectorIjNS0_10empty_typeEEEZZNS1_27merge_sort_block_merge_implIS3_N6thrust23THRUST_200600_302600_NS6detail15normal_iteratorINS9_10device_ptrIjEEEEPS5_jNS1_19radix_merge_compareILb0ELb1EjNS0_19identity_decomposerEEEEE10hipError_tT0_T1_T2_jT3_P12ihipStream_tbPNSt15iterator_traitsISK_E10value_typeEPNSQ_ISL_E10value_typeEPSM_NS1_7vsmem_tEENKUlT_SK_SL_SM_E_clIPjSE_SF_SF_EESJ_SZ_SK_SL_SM_EUlSZ_E1_NS1_11comp_targetILNS1_3genE8ELNS1_11target_archE1030ELNS1_3gpuE2ELNS1_3repE0EEENS1_36merge_oddeven_config_static_selectorELNS0_4arch9wavefront6targetE1EEEvSL_.kd
    .uniform_work_group_size: 1
    .uses_dynamic_stack: false
    .vgpr_count:     0
    .vgpr_spill_count: 0
    .wavefront_size: 64
  - .agpr_count:     0
    .args:
      - .offset:         0
        .size:           40
        .value_kind:     by_value
    .group_segment_fixed_size: 0
    .kernarg_segment_align: 8
    .kernarg_segment_size: 40
    .language:       OpenCL C
    .language_version:
      - 2
      - 0
    .max_flat_workgroup_size: 128
    .name:           _ZN7rocprim17ROCPRIM_400000_NS6detail17trampoline_kernelINS0_14default_configENS1_38merge_sort_block_merge_config_selectorIjNS0_10empty_typeEEEZZNS1_27merge_sort_block_merge_implIS3_N6thrust23THRUST_200600_302600_NS6detail15normal_iteratorINS9_10device_ptrIjEEEEPS5_jNS1_19radix_merge_compareILb0ELb1EjNS0_19identity_decomposerEEEEE10hipError_tT0_T1_T2_jT3_P12ihipStream_tbPNSt15iterator_traitsISK_E10value_typeEPNSQ_ISL_E10value_typeEPSM_NS1_7vsmem_tEENKUlT_SK_SL_SM_E_clISE_PjSF_SF_EESJ_SZ_SK_SL_SM_EUlSZ_E_NS1_11comp_targetILNS1_3genE0ELNS1_11target_archE4294967295ELNS1_3gpuE0ELNS1_3repE0EEENS1_48merge_mergepath_partition_config_static_selectorELNS0_4arch9wavefront6targetE1EEEvSL_
    .private_segment_fixed_size: 0
    .sgpr_count:     6
    .sgpr_spill_count: 0
    .symbol:         _ZN7rocprim17ROCPRIM_400000_NS6detail17trampoline_kernelINS0_14default_configENS1_38merge_sort_block_merge_config_selectorIjNS0_10empty_typeEEEZZNS1_27merge_sort_block_merge_implIS3_N6thrust23THRUST_200600_302600_NS6detail15normal_iteratorINS9_10device_ptrIjEEEEPS5_jNS1_19radix_merge_compareILb0ELb1EjNS0_19identity_decomposerEEEEE10hipError_tT0_T1_T2_jT3_P12ihipStream_tbPNSt15iterator_traitsISK_E10value_typeEPNSQ_ISL_E10value_typeEPSM_NS1_7vsmem_tEENKUlT_SK_SL_SM_E_clISE_PjSF_SF_EESJ_SZ_SK_SL_SM_EUlSZ_E_NS1_11comp_targetILNS1_3genE0ELNS1_11target_archE4294967295ELNS1_3gpuE0ELNS1_3repE0EEENS1_48merge_mergepath_partition_config_static_selectorELNS0_4arch9wavefront6targetE1EEEvSL_.kd
    .uniform_work_group_size: 1
    .uses_dynamic_stack: false
    .vgpr_count:     0
    .vgpr_spill_count: 0
    .wavefront_size: 64
  - .agpr_count:     0
    .args:
      - .offset:         0
        .size:           40
        .value_kind:     by_value
    .group_segment_fixed_size: 0
    .kernarg_segment_align: 8
    .kernarg_segment_size: 40
    .language:       OpenCL C
    .language_version:
      - 2
      - 0
    .max_flat_workgroup_size: 128
    .name:           _ZN7rocprim17ROCPRIM_400000_NS6detail17trampoline_kernelINS0_14default_configENS1_38merge_sort_block_merge_config_selectorIjNS0_10empty_typeEEEZZNS1_27merge_sort_block_merge_implIS3_N6thrust23THRUST_200600_302600_NS6detail15normal_iteratorINS9_10device_ptrIjEEEEPS5_jNS1_19radix_merge_compareILb0ELb1EjNS0_19identity_decomposerEEEEE10hipError_tT0_T1_T2_jT3_P12ihipStream_tbPNSt15iterator_traitsISK_E10value_typeEPNSQ_ISL_E10value_typeEPSM_NS1_7vsmem_tEENKUlT_SK_SL_SM_E_clISE_PjSF_SF_EESJ_SZ_SK_SL_SM_EUlSZ_E_NS1_11comp_targetILNS1_3genE10ELNS1_11target_archE1201ELNS1_3gpuE5ELNS1_3repE0EEENS1_48merge_mergepath_partition_config_static_selectorELNS0_4arch9wavefront6targetE1EEEvSL_
    .private_segment_fixed_size: 0
    .sgpr_count:     6
    .sgpr_spill_count: 0
    .symbol:         _ZN7rocprim17ROCPRIM_400000_NS6detail17trampoline_kernelINS0_14default_configENS1_38merge_sort_block_merge_config_selectorIjNS0_10empty_typeEEEZZNS1_27merge_sort_block_merge_implIS3_N6thrust23THRUST_200600_302600_NS6detail15normal_iteratorINS9_10device_ptrIjEEEEPS5_jNS1_19radix_merge_compareILb0ELb1EjNS0_19identity_decomposerEEEEE10hipError_tT0_T1_T2_jT3_P12ihipStream_tbPNSt15iterator_traitsISK_E10value_typeEPNSQ_ISL_E10value_typeEPSM_NS1_7vsmem_tEENKUlT_SK_SL_SM_E_clISE_PjSF_SF_EESJ_SZ_SK_SL_SM_EUlSZ_E_NS1_11comp_targetILNS1_3genE10ELNS1_11target_archE1201ELNS1_3gpuE5ELNS1_3repE0EEENS1_48merge_mergepath_partition_config_static_selectorELNS0_4arch9wavefront6targetE1EEEvSL_.kd
    .uniform_work_group_size: 1
    .uses_dynamic_stack: false
    .vgpr_count:     0
    .vgpr_spill_count: 0
    .wavefront_size: 64
  - .agpr_count:     0
    .args:
      - .offset:         0
        .size:           40
        .value_kind:     by_value
    .group_segment_fixed_size: 0
    .kernarg_segment_align: 8
    .kernarg_segment_size: 40
    .language:       OpenCL C
    .language_version:
      - 2
      - 0
    .max_flat_workgroup_size: 128
    .name:           _ZN7rocprim17ROCPRIM_400000_NS6detail17trampoline_kernelINS0_14default_configENS1_38merge_sort_block_merge_config_selectorIjNS0_10empty_typeEEEZZNS1_27merge_sort_block_merge_implIS3_N6thrust23THRUST_200600_302600_NS6detail15normal_iteratorINS9_10device_ptrIjEEEEPS5_jNS1_19radix_merge_compareILb0ELb1EjNS0_19identity_decomposerEEEEE10hipError_tT0_T1_T2_jT3_P12ihipStream_tbPNSt15iterator_traitsISK_E10value_typeEPNSQ_ISL_E10value_typeEPSM_NS1_7vsmem_tEENKUlT_SK_SL_SM_E_clISE_PjSF_SF_EESJ_SZ_SK_SL_SM_EUlSZ_E_NS1_11comp_targetILNS1_3genE5ELNS1_11target_archE942ELNS1_3gpuE9ELNS1_3repE0EEENS1_48merge_mergepath_partition_config_static_selectorELNS0_4arch9wavefront6targetE1EEEvSL_
    .private_segment_fixed_size: 0
    .sgpr_count:     16
    .sgpr_spill_count: 0
    .symbol:         _ZN7rocprim17ROCPRIM_400000_NS6detail17trampoline_kernelINS0_14default_configENS1_38merge_sort_block_merge_config_selectorIjNS0_10empty_typeEEEZZNS1_27merge_sort_block_merge_implIS3_N6thrust23THRUST_200600_302600_NS6detail15normal_iteratorINS9_10device_ptrIjEEEEPS5_jNS1_19radix_merge_compareILb0ELb1EjNS0_19identity_decomposerEEEEE10hipError_tT0_T1_T2_jT3_P12ihipStream_tbPNSt15iterator_traitsISK_E10value_typeEPNSQ_ISL_E10value_typeEPSM_NS1_7vsmem_tEENKUlT_SK_SL_SM_E_clISE_PjSF_SF_EESJ_SZ_SK_SL_SM_EUlSZ_E_NS1_11comp_targetILNS1_3genE5ELNS1_11target_archE942ELNS1_3gpuE9ELNS1_3repE0EEENS1_48merge_mergepath_partition_config_static_selectorELNS0_4arch9wavefront6targetE1EEEvSL_.kd
    .uniform_work_group_size: 1
    .uses_dynamic_stack: false
    .vgpr_count:     17
    .vgpr_spill_count: 0
    .wavefront_size: 64
  - .agpr_count:     0
    .args:
      - .offset:         0
        .size:           40
        .value_kind:     by_value
    .group_segment_fixed_size: 0
    .kernarg_segment_align: 8
    .kernarg_segment_size: 40
    .language:       OpenCL C
    .language_version:
      - 2
      - 0
    .max_flat_workgroup_size: 128
    .name:           _ZN7rocprim17ROCPRIM_400000_NS6detail17trampoline_kernelINS0_14default_configENS1_38merge_sort_block_merge_config_selectorIjNS0_10empty_typeEEEZZNS1_27merge_sort_block_merge_implIS3_N6thrust23THRUST_200600_302600_NS6detail15normal_iteratorINS9_10device_ptrIjEEEEPS5_jNS1_19radix_merge_compareILb0ELb1EjNS0_19identity_decomposerEEEEE10hipError_tT0_T1_T2_jT3_P12ihipStream_tbPNSt15iterator_traitsISK_E10value_typeEPNSQ_ISL_E10value_typeEPSM_NS1_7vsmem_tEENKUlT_SK_SL_SM_E_clISE_PjSF_SF_EESJ_SZ_SK_SL_SM_EUlSZ_E_NS1_11comp_targetILNS1_3genE4ELNS1_11target_archE910ELNS1_3gpuE8ELNS1_3repE0EEENS1_48merge_mergepath_partition_config_static_selectorELNS0_4arch9wavefront6targetE1EEEvSL_
    .private_segment_fixed_size: 0
    .sgpr_count:     6
    .sgpr_spill_count: 0
    .symbol:         _ZN7rocprim17ROCPRIM_400000_NS6detail17trampoline_kernelINS0_14default_configENS1_38merge_sort_block_merge_config_selectorIjNS0_10empty_typeEEEZZNS1_27merge_sort_block_merge_implIS3_N6thrust23THRUST_200600_302600_NS6detail15normal_iteratorINS9_10device_ptrIjEEEEPS5_jNS1_19radix_merge_compareILb0ELb1EjNS0_19identity_decomposerEEEEE10hipError_tT0_T1_T2_jT3_P12ihipStream_tbPNSt15iterator_traitsISK_E10value_typeEPNSQ_ISL_E10value_typeEPSM_NS1_7vsmem_tEENKUlT_SK_SL_SM_E_clISE_PjSF_SF_EESJ_SZ_SK_SL_SM_EUlSZ_E_NS1_11comp_targetILNS1_3genE4ELNS1_11target_archE910ELNS1_3gpuE8ELNS1_3repE0EEENS1_48merge_mergepath_partition_config_static_selectorELNS0_4arch9wavefront6targetE1EEEvSL_.kd
    .uniform_work_group_size: 1
    .uses_dynamic_stack: false
    .vgpr_count:     0
    .vgpr_spill_count: 0
    .wavefront_size: 64
  - .agpr_count:     0
    .args:
      - .offset:         0
        .size:           40
        .value_kind:     by_value
    .group_segment_fixed_size: 0
    .kernarg_segment_align: 8
    .kernarg_segment_size: 40
    .language:       OpenCL C
    .language_version:
      - 2
      - 0
    .max_flat_workgroup_size: 128
    .name:           _ZN7rocprim17ROCPRIM_400000_NS6detail17trampoline_kernelINS0_14default_configENS1_38merge_sort_block_merge_config_selectorIjNS0_10empty_typeEEEZZNS1_27merge_sort_block_merge_implIS3_N6thrust23THRUST_200600_302600_NS6detail15normal_iteratorINS9_10device_ptrIjEEEEPS5_jNS1_19radix_merge_compareILb0ELb1EjNS0_19identity_decomposerEEEEE10hipError_tT0_T1_T2_jT3_P12ihipStream_tbPNSt15iterator_traitsISK_E10value_typeEPNSQ_ISL_E10value_typeEPSM_NS1_7vsmem_tEENKUlT_SK_SL_SM_E_clISE_PjSF_SF_EESJ_SZ_SK_SL_SM_EUlSZ_E_NS1_11comp_targetILNS1_3genE3ELNS1_11target_archE908ELNS1_3gpuE7ELNS1_3repE0EEENS1_48merge_mergepath_partition_config_static_selectorELNS0_4arch9wavefront6targetE1EEEvSL_
    .private_segment_fixed_size: 0
    .sgpr_count:     6
    .sgpr_spill_count: 0
    .symbol:         _ZN7rocprim17ROCPRIM_400000_NS6detail17trampoline_kernelINS0_14default_configENS1_38merge_sort_block_merge_config_selectorIjNS0_10empty_typeEEEZZNS1_27merge_sort_block_merge_implIS3_N6thrust23THRUST_200600_302600_NS6detail15normal_iteratorINS9_10device_ptrIjEEEEPS5_jNS1_19radix_merge_compareILb0ELb1EjNS0_19identity_decomposerEEEEE10hipError_tT0_T1_T2_jT3_P12ihipStream_tbPNSt15iterator_traitsISK_E10value_typeEPNSQ_ISL_E10value_typeEPSM_NS1_7vsmem_tEENKUlT_SK_SL_SM_E_clISE_PjSF_SF_EESJ_SZ_SK_SL_SM_EUlSZ_E_NS1_11comp_targetILNS1_3genE3ELNS1_11target_archE908ELNS1_3gpuE7ELNS1_3repE0EEENS1_48merge_mergepath_partition_config_static_selectorELNS0_4arch9wavefront6targetE1EEEvSL_.kd
    .uniform_work_group_size: 1
    .uses_dynamic_stack: false
    .vgpr_count:     0
    .vgpr_spill_count: 0
    .wavefront_size: 64
  - .agpr_count:     0
    .args:
      - .offset:         0
        .size:           40
        .value_kind:     by_value
    .group_segment_fixed_size: 0
    .kernarg_segment_align: 8
    .kernarg_segment_size: 40
    .language:       OpenCL C
    .language_version:
      - 2
      - 0
    .max_flat_workgroup_size: 128
    .name:           _ZN7rocprim17ROCPRIM_400000_NS6detail17trampoline_kernelINS0_14default_configENS1_38merge_sort_block_merge_config_selectorIjNS0_10empty_typeEEEZZNS1_27merge_sort_block_merge_implIS3_N6thrust23THRUST_200600_302600_NS6detail15normal_iteratorINS9_10device_ptrIjEEEEPS5_jNS1_19radix_merge_compareILb0ELb1EjNS0_19identity_decomposerEEEEE10hipError_tT0_T1_T2_jT3_P12ihipStream_tbPNSt15iterator_traitsISK_E10value_typeEPNSQ_ISL_E10value_typeEPSM_NS1_7vsmem_tEENKUlT_SK_SL_SM_E_clISE_PjSF_SF_EESJ_SZ_SK_SL_SM_EUlSZ_E_NS1_11comp_targetILNS1_3genE2ELNS1_11target_archE906ELNS1_3gpuE6ELNS1_3repE0EEENS1_48merge_mergepath_partition_config_static_selectorELNS0_4arch9wavefront6targetE1EEEvSL_
    .private_segment_fixed_size: 0
    .sgpr_count:     6
    .sgpr_spill_count: 0
    .symbol:         _ZN7rocprim17ROCPRIM_400000_NS6detail17trampoline_kernelINS0_14default_configENS1_38merge_sort_block_merge_config_selectorIjNS0_10empty_typeEEEZZNS1_27merge_sort_block_merge_implIS3_N6thrust23THRUST_200600_302600_NS6detail15normal_iteratorINS9_10device_ptrIjEEEEPS5_jNS1_19radix_merge_compareILb0ELb1EjNS0_19identity_decomposerEEEEE10hipError_tT0_T1_T2_jT3_P12ihipStream_tbPNSt15iterator_traitsISK_E10value_typeEPNSQ_ISL_E10value_typeEPSM_NS1_7vsmem_tEENKUlT_SK_SL_SM_E_clISE_PjSF_SF_EESJ_SZ_SK_SL_SM_EUlSZ_E_NS1_11comp_targetILNS1_3genE2ELNS1_11target_archE906ELNS1_3gpuE6ELNS1_3repE0EEENS1_48merge_mergepath_partition_config_static_selectorELNS0_4arch9wavefront6targetE1EEEvSL_.kd
    .uniform_work_group_size: 1
    .uses_dynamic_stack: false
    .vgpr_count:     0
    .vgpr_spill_count: 0
    .wavefront_size: 64
  - .agpr_count:     0
    .args:
      - .offset:         0
        .size:           40
        .value_kind:     by_value
    .group_segment_fixed_size: 0
    .kernarg_segment_align: 8
    .kernarg_segment_size: 40
    .language:       OpenCL C
    .language_version:
      - 2
      - 0
    .max_flat_workgroup_size: 128
    .name:           _ZN7rocprim17ROCPRIM_400000_NS6detail17trampoline_kernelINS0_14default_configENS1_38merge_sort_block_merge_config_selectorIjNS0_10empty_typeEEEZZNS1_27merge_sort_block_merge_implIS3_N6thrust23THRUST_200600_302600_NS6detail15normal_iteratorINS9_10device_ptrIjEEEEPS5_jNS1_19radix_merge_compareILb0ELb1EjNS0_19identity_decomposerEEEEE10hipError_tT0_T1_T2_jT3_P12ihipStream_tbPNSt15iterator_traitsISK_E10value_typeEPNSQ_ISL_E10value_typeEPSM_NS1_7vsmem_tEENKUlT_SK_SL_SM_E_clISE_PjSF_SF_EESJ_SZ_SK_SL_SM_EUlSZ_E_NS1_11comp_targetILNS1_3genE9ELNS1_11target_archE1100ELNS1_3gpuE3ELNS1_3repE0EEENS1_48merge_mergepath_partition_config_static_selectorELNS0_4arch9wavefront6targetE1EEEvSL_
    .private_segment_fixed_size: 0
    .sgpr_count:     6
    .sgpr_spill_count: 0
    .symbol:         _ZN7rocprim17ROCPRIM_400000_NS6detail17trampoline_kernelINS0_14default_configENS1_38merge_sort_block_merge_config_selectorIjNS0_10empty_typeEEEZZNS1_27merge_sort_block_merge_implIS3_N6thrust23THRUST_200600_302600_NS6detail15normal_iteratorINS9_10device_ptrIjEEEEPS5_jNS1_19radix_merge_compareILb0ELb1EjNS0_19identity_decomposerEEEEE10hipError_tT0_T1_T2_jT3_P12ihipStream_tbPNSt15iterator_traitsISK_E10value_typeEPNSQ_ISL_E10value_typeEPSM_NS1_7vsmem_tEENKUlT_SK_SL_SM_E_clISE_PjSF_SF_EESJ_SZ_SK_SL_SM_EUlSZ_E_NS1_11comp_targetILNS1_3genE9ELNS1_11target_archE1100ELNS1_3gpuE3ELNS1_3repE0EEENS1_48merge_mergepath_partition_config_static_selectorELNS0_4arch9wavefront6targetE1EEEvSL_.kd
    .uniform_work_group_size: 1
    .uses_dynamic_stack: false
    .vgpr_count:     0
    .vgpr_spill_count: 0
    .wavefront_size: 64
  - .agpr_count:     0
    .args:
      - .offset:         0
        .size:           40
        .value_kind:     by_value
    .group_segment_fixed_size: 0
    .kernarg_segment_align: 8
    .kernarg_segment_size: 40
    .language:       OpenCL C
    .language_version:
      - 2
      - 0
    .max_flat_workgroup_size: 128
    .name:           _ZN7rocprim17ROCPRIM_400000_NS6detail17trampoline_kernelINS0_14default_configENS1_38merge_sort_block_merge_config_selectorIjNS0_10empty_typeEEEZZNS1_27merge_sort_block_merge_implIS3_N6thrust23THRUST_200600_302600_NS6detail15normal_iteratorINS9_10device_ptrIjEEEEPS5_jNS1_19radix_merge_compareILb0ELb1EjNS0_19identity_decomposerEEEEE10hipError_tT0_T1_T2_jT3_P12ihipStream_tbPNSt15iterator_traitsISK_E10value_typeEPNSQ_ISL_E10value_typeEPSM_NS1_7vsmem_tEENKUlT_SK_SL_SM_E_clISE_PjSF_SF_EESJ_SZ_SK_SL_SM_EUlSZ_E_NS1_11comp_targetILNS1_3genE8ELNS1_11target_archE1030ELNS1_3gpuE2ELNS1_3repE0EEENS1_48merge_mergepath_partition_config_static_selectorELNS0_4arch9wavefront6targetE1EEEvSL_
    .private_segment_fixed_size: 0
    .sgpr_count:     6
    .sgpr_spill_count: 0
    .symbol:         _ZN7rocprim17ROCPRIM_400000_NS6detail17trampoline_kernelINS0_14default_configENS1_38merge_sort_block_merge_config_selectorIjNS0_10empty_typeEEEZZNS1_27merge_sort_block_merge_implIS3_N6thrust23THRUST_200600_302600_NS6detail15normal_iteratorINS9_10device_ptrIjEEEEPS5_jNS1_19radix_merge_compareILb0ELb1EjNS0_19identity_decomposerEEEEE10hipError_tT0_T1_T2_jT3_P12ihipStream_tbPNSt15iterator_traitsISK_E10value_typeEPNSQ_ISL_E10value_typeEPSM_NS1_7vsmem_tEENKUlT_SK_SL_SM_E_clISE_PjSF_SF_EESJ_SZ_SK_SL_SM_EUlSZ_E_NS1_11comp_targetILNS1_3genE8ELNS1_11target_archE1030ELNS1_3gpuE2ELNS1_3repE0EEENS1_48merge_mergepath_partition_config_static_selectorELNS0_4arch9wavefront6targetE1EEEvSL_.kd
    .uniform_work_group_size: 1
    .uses_dynamic_stack: false
    .vgpr_count:     0
    .vgpr_spill_count: 0
    .wavefront_size: 64
  - .agpr_count:     0
    .args:
      - .offset:         0
        .size:           64
        .value_kind:     by_value
    .group_segment_fixed_size: 0
    .kernarg_segment_align: 8
    .kernarg_segment_size: 64
    .language:       OpenCL C
    .language_version:
      - 2
      - 0
    .max_flat_workgroup_size: 128
    .name:           _ZN7rocprim17ROCPRIM_400000_NS6detail17trampoline_kernelINS0_14default_configENS1_38merge_sort_block_merge_config_selectorIjNS0_10empty_typeEEEZZNS1_27merge_sort_block_merge_implIS3_N6thrust23THRUST_200600_302600_NS6detail15normal_iteratorINS9_10device_ptrIjEEEEPS5_jNS1_19radix_merge_compareILb0ELb1EjNS0_19identity_decomposerEEEEE10hipError_tT0_T1_T2_jT3_P12ihipStream_tbPNSt15iterator_traitsISK_E10value_typeEPNSQ_ISL_E10value_typeEPSM_NS1_7vsmem_tEENKUlT_SK_SL_SM_E_clISE_PjSF_SF_EESJ_SZ_SK_SL_SM_EUlSZ_E0_NS1_11comp_targetILNS1_3genE0ELNS1_11target_archE4294967295ELNS1_3gpuE0ELNS1_3repE0EEENS1_38merge_mergepath_config_static_selectorELNS0_4arch9wavefront6targetE1EEEvSL_
    .private_segment_fixed_size: 0
    .sgpr_count:     6
    .sgpr_spill_count: 0
    .symbol:         _ZN7rocprim17ROCPRIM_400000_NS6detail17trampoline_kernelINS0_14default_configENS1_38merge_sort_block_merge_config_selectorIjNS0_10empty_typeEEEZZNS1_27merge_sort_block_merge_implIS3_N6thrust23THRUST_200600_302600_NS6detail15normal_iteratorINS9_10device_ptrIjEEEEPS5_jNS1_19radix_merge_compareILb0ELb1EjNS0_19identity_decomposerEEEEE10hipError_tT0_T1_T2_jT3_P12ihipStream_tbPNSt15iterator_traitsISK_E10value_typeEPNSQ_ISL_E10value_typeEPSM_NS1_7vsmem_tEENKUlT_SK_SL_SM_E_clISE_PjSF_SF_EESJ_SZ_SK_SL_SM_EUlSZ_E0_NS1_11comp_targetILNS1_3genE0ELNS1_11target_archE4294967295ELNS1_3gpuE0ELNS1_3repE0EEENS1_38merge_mergepath_config_static_selectorELNS0_4arch9wavefront6targetE1EEEvSL_.kd
    .uniform_work_group_size: 1
    .uses_dynamic_stack: false
    .vgpr_count:     0
    .vgpr_spill_count: 0
    .wavefront_size: 64
  - .agpr_count:     0
    .args:
      - .offset:         0
        .size:           64
        .value_kind:     by_value
    .group_segment_fixed_size: 0
    .kernarg_segment_align: 8
    .kernarg_segment_size: 64
    .language:       OpenCL C
    .language_version:
      - 2
      - 0
    .max_flat_workgroup_size: 256
    .name:           _ZN7rocprim17ROCPRIM_400000_NS6detail17trampoline_kernelINS0_14default_configENS1_38merge_sort_block_merge_config_selectorIjNS0_10empty_typeEEEZZNS1_27merge_sort_block_merge_implIS3_N6thrust23THRUST_200600_302600_NS6detail15normal_iteratorINS9_10device_ptrIjEEEEPS5_jNS1_19radix_merge_compareILb0ELb1EjNS0_19identity_decomposerEEEEE10hipError_tT0_T1_T2_jT3_P12ihipStream_tbPNSt15iterator_traitsISK_E10value_typeEPNSQ_ISL_E10value_typeEPSM_NS1_7vsmem_tEENKUlT_SK_SL_SM_E_clISE_PjSF_SF_EESJ_SZ_SK_SL_SM_EUlSZ_E0_NS1_11comp_targetILNS1_3genE10ELNS1_11target_archE1201ELNS1_3gpuE5ELNS1_3repE0EEENS1_38merge_mergepath_config_static_selectorELNS0_4arch9wavefront6targetE1EEEvSL_
    .private_segment_fixed_size: 0
    .sgpr_count:     6
    .sgpr_spill_count: 0
    .symbol:         _ZN7rocprim17ROCPRIM_400000_NS6detail17trampoline_kernelINS0_14default_configENS1_38merge_sort_block_merge_config_selectorIjNS0_10empty_typeEEEZZNS1_27merge_sort_block_merge_implIS3_N6thrust23THRUST_200600_302600_NS6detail15normal_iteratorINS9_10device_ptrIjEEEEPS5_jNS1_19radix_merge_compareILb0ELb1EjNS0_19identity_decomposerEEEEE10hipError_tT0_T1_T2_jT3_P12ihipStream_tbPNSt15iterator_traitsISK_E10value_typeEPNSQ_ISL_E10value_typeEPSM_NS1_7vsmem_tEENKUlT_SK_SL_SM_E_clISE_PjSF_SF_EESJ_SZ_SK_SL_SM_EUlSZ_E0_NS1_11comp_targetILNS1_3genE10ELNS1_11target_archE1201ELNS1_3gpuE5ELNS1_3repE0EEENS1_38merge_mergepath_config_static_selectorELNS0_4arch9wavefront6targetE1EEEvSL_.kd
    .uniform_work_group_size: 1
    .uses_dynamic_stack: false
    .vgpr_count:     0
    .vgpr_spill_count: 0
    .wavefront_size: 64
  - .agpr_count:     0
    .args:
      - .offset:         0
        .size:           64
        .value_kind:     by_value
      - .offset:         64
        .size:           4
        .value_kind:     hidden_block_count_x
      - .offset:         68
        .size:           4
        .value_kind:     hidden_block_count_y
      - .offset:         72
        .size:           4
        .value_kind:     hidden_block_count_z
      - .offset:         76
        .size:           2
        .value_kind:     hidden_group_size_x
      - .offset:         78
        .size:           2
        .value_kind:     hidden_group_size_y
      - .offset:         80
        .size:           2
        .value_kind:     hidden_group_size_z
      - .offset:         82
        .size:           2
        .value_kind:     hidden_remainder_x
      - .offset:         84
        .size:           2
        .value_kind:     hidden_remainder_y
      - .offset:         86
        .size:           2
        .value_kind:     hidden_remainder_z
      - .offset:         104
        .size:           8
        .value_kind:     hidden_global_offset_x
      - .offset:         112
        .size:           8
        .value_kind:     hidden_global_offset_y
      - .offset:         120
        .size:           8
        .value_kind:     hidden_global_offset_z
      - .offset:         128
        .size:           2
        .value_kind:     hidden_grid_dims
    .group_segment_fixed_size: 4224
    .kernarg_segment_align: 8
    .kernarg_segment_size: 320
    .language:       OpenCL C
    .language_version:
      - 2
      - 0
    .max_flat_workgroup_size: 128
    .name:           _ZN7rocprim17ROCPRIM_400000_NS6detail17trampoline_kernelINS0_14default_configENS1_38merge_sort_block_merge_config_selectorIjNS0_10empty_typeEEEZZNS1_27merge_sort_block_merge_implIS3_N6thrust23THRUST_200600_302600_NS6detail15normal_iteratorINS9_10device_ptrIjEEEEPS5_jNS1_19radix_merge_compareILb0ELb1EjNS0_19identity_decomposerEEEEE10hipError_tT0_T1_T2_jT3_P12ihipStream_tbPNSt15iterator_traitsISK_E10value_typeEPNSQ_ISL_E10value_typeEPSM_NS1_7vsmem_tEENKUlT_SK_SL_SM_E_clISE_PjSF_SF_EESJ_SZ_SK_SL_SM_EUlSZ_E0_NS1_11comp_targetILNS1_3genE5ELNS1_11target_archE942ELNS1_3gpuE9ELNS1_3repE0EEENS1_38merge_mergepath_config_static_selectorELNS0_4arch9wavefront6targetE1EEEvSL_
    .private_segment_fixed_size: 0
    .sgpr_count:     30
    .sgpr_spill_count: 0
    .symbol:         _ZN7rocprim17ROCPRIM_400000_NS6detail17trampoline_kernelINS0_14default_configENS1_38merge_sort_block_merge_config_selectorIjNS0_10empty_typeEEEZZNS1_27merge_sort_block_merge_implIS3_N6thrust23THRUST_200600_302600_NS6detail15normal_iteratorINS9_10device_ptrIjEEEEPS5_jNS1_19radix_merge_compareILb0ELb1EjNS0_19identity_decomposerEEEEE10hipError_tT0_T1_T2_jT3_P12ihipStream_tbPNSt15iterator_traitsISK_E10value_typeEPNSQ_ISL_E10value_typeEPSM_NS1_7vsmem_tEENKUlT_SK_SL_SM_E_clISE_PjSF_SF_EESJ_SZ_SK_SL_SM_EUlSZ_E0_NS1_11comp_targetILNS1_3genE5ELNS1_11target_archE942ELNS1_3gpuE9ELNS1_3repE0EEENS1_38merge_mergepath_config_static_selectorELNS0_4arch9wavefront6targetE1EEEvSL_.kd
    .uniform_work_group_size: 1
    .uses_dynamic_stack: false
    .vgpr_count:     26
    .vgpr_spill_count: 0
    .wavefront_size: 64
  - .agpr_count:     0
    .args:
      - .offset:         0
        .size:           64
        .value_kind:     by_value
    .group_segment_fixed_size: 0
    .kernarg_segment_align: 8
    .kernarg_segment_size: 64
    .language:       OpenCL C
    .language_version:
      - 2
      - 0
    .max_flat_workgroup_size: 128
    .name:           _ZN7rocprim17ROCPRIM_400000_NS6detail17trampoline_kernelINS0_14default_configENS1_38merge_sort_block_merge_config_selectorIjNS0_10empty_typeEEEZZNS1_27merge_sort_block_merge_implIS3_N6thrust23THRUST_200600_302600_NS6detail15normal_iteratorINS9_10device_ptrIjEEEEPS5_jNS1_19radix_merge_compareILb0ELb1EjNS0_19identity_decomposerEEEEE10hipError_tT0_T1_T2_jT3_P12ihipStream_tbPNSt15iterator_traitsISK_E10value_typeEPNSQ_ISL_E10value_typeEPSM_NS1_7vsmem_tEENKUlT_SK_SL_SM_E_clISE_PjSF_SF_EESJ_SZ_SK_SL_SM_EUlSZ_E0_NS1_11comp_targetILNS1_3genE4ELNS1_11target_archE910ELNS1_3gpuE8ELNS1_3repE0EEENS1_38merge_mergepath_config_static_selectorELNS0_4arch9wavefront6targetE1EEEvSL_
    .private_segment_fixed_size: 0
    .sgpr_count:     6
    .sgpr_spill_count: 0
    .symbol:         _ZN7rocprim17ROCPRIM_400000_NS6detail17trampoline_kernelINS0_14default_configENS1_38merge_sort_block_merge_config_selectorIjNS0_10empty_typeEEEZZNS1_27merge_sort_block_merge_implIS3_N6thrust23THRUST_200600_302600_NS6detail15normal_iteratorINS9_10device_ptrIjEEEEPS5_jNS1_19radix_merge_compareILb0ELb1EjNS0_19identity_decomposerEEEEE10hipError_tT0_T1_T2_jT3_P12ihipStream_tbPNSt15iterator_traitsISK_E10value_typeEPNSQ_ISL_E10value_typeEPSM_NS1_7vsmem_tEENKUlT_SK_SL_SM_E_clISE_PjSF_SF_EESJ_SZ_SK_SL_SM_EUlSZ_E0_NS1_11comp_targetILNS1_3genE4ELNS1_11target_archE910ELNS1_3gpuE8ELNS1_3repE0EEENS1_38merge_mergepath_config_static_selectorELNS0_4arch9wavefront6targetE1EEEvSL_.kd
    .uniform_work_group_size: 1
    .uses_dynamic_stack: false
    .vgpr_count:     0
    .vgpr_spill_count: 0
    .wavefront_size: 64
  - .agpr_count:     0
    .args:
      - .offset:         0
        .size:           64
        .value_kind:     by_value
    .group_segment_fixed_size: 0
    .kernarg_segment_align: 8
    .kernarg_segment_size: 64
    .language:       OpenCL C
    .language_version:
      - 2
      - 0
    .max_flat_workgroup_size: 128
    .name:           _ZN7rocprim17ROCPRIM_400000_NS6detail17trampoline_kernelINS0_14default_configENS1_38merge_sort_block_merge_config_selectorIjNS0_10empty_typeEEEZZNS1_27merge_sort_block_merge_implIS3_N6thrust23THRUST_200600_302600_NS6detail15normal_iteratorINS9_10device_ptrIjEEEEPS5_jNS1_19radix_merge_compareILb0ELb1EjNS0_19identity_decomposerEEEEE10hipError_tT0_T1_T2_jT3_P12ihipStream_tbPNSt15iterator_traitsISK_E10value_typeEPNSQ_ISL_E10value_typeEPSM_NS1_7vsmem_tEENKUlT_SK_SL_SM_E_clISE_PjSF_SF_EESJ_SZ_SK_SL_SM_EUlSZ_E0_NS1_11comp_targetILNS1_3genE3ELNS1_11target_archE908ELNS1_3gpuE7ELNS1_3repE0EEENS1_38merge_mergepath_config_static_selectorELNS0_4arch9wavefront6targetE1EEEvSL_
    .private_segment_fixed_size: 0
    .sgpr_count:     6
    .sgpr_spill_count: 0
    .symbol:         _ZN7rocprim17ROCPRIM_400000_NS6detail17trampoline_kernelINS0_14default_configENS1_38merge_sort_block_merge_config_selectorIjNS0_10empty_typeEEEZZNS1_27merge_sort_block_merge_implIS3_N6thrust23THRUST_200600_302600_NS6detail15normal_iteratorINS9_10device_ptrIjEEEEPS5_jNS1_19radix_merge_compareILb0ELb1EjNS0_19identity_decomposerEEEEE10hipError_tT0_T1_T2_jT3_P12ihipStream_tbPNSt15iterator_traitsISK_E10value_typeEPNSQ_ISL_E10value_typeEPSM_NS1_7vsmem_tEENKUlT_SK_SL_SM_E_clISE_PjSF_SF_EESJ_SZ_SK_SL_SM_EUlSZ_E0_NS1_11comp_targetILNS1_3genE3ELNS1_11target_archE908ELNS1_3gpuE7ELNS1_3repE0EEENS1_38merge_mergepath_config_static_selectorELNS0_4arch9wavefront6targetE1EEEvSL_.kd
    .uniform_work_group_size: 1
    .uses_dynamic_stack: false
    .vgpr_count:     0
    .vgpr_spill_count: 0
    .wavefront_size: 64
  - .agpr_count:     0
    .args:
      - .offset:         0
        .size:           64
        .value_kind:     by_value
    .group_segment_fixed_size: 0
    .kernarg_segment_align: 8
    .kernarg_segment_size: 64
    .language:       OpenCL C
    .language_version:
      - 2
      - 0
    .max_flat_workgroup_size: 128
    .name:           _ZN7rocprim17ROCPRIM_400000_NS6detail17trampoline_kernelINS0_14default_configENS1_38merge_sort_block_merge_config_selectorIjNS0_10empty_typeEEEZZNS1_27merge_sort_block_merge_implIS3_N6thrust23THRUST_200600_302600_NS6detail15normal_iteratorINS9_10device_ptrIjEEEEPS5_jNS1_19radix_merge_compareILb0ELb1EjNS0_19identity_decomposerEEEEE10hipError_tT0_T1_T2_jT3_P12ihipStream_tbPNSt15iterator_traitsISK_E10value_typeEPNSQ_ISL_E10value_typeEPSM_NS1_7vsmem_tEENKUlT_SK_SL_SM_E_clISE_PjSF_SF_EESJ_SZ_SK_SL_SM_EUlSZ_E0_NS1_11comp_targetILNS1_3genE2ELNS1_11target_archE906ELNS1_3gpuE6ELNS1_3repE0EEENS1_38merge_mergepath_config_static_selectorELNS0_4arch9wavefront6targetE1EEEvSL_
    .private_segment_fixed_size: 0
    .sgpr_count:     6
    .sgpr_spill_count: 0
    .symbol:         _ZN7rocprim17ROCPRIM_400000_NS6detail17trampoline_kernelINS0_14default_configENS1_38merge_sort_block_merge_config_selectorIjNS0_10empty_typeEEEZZNS1_27merge_sort_block_merge_implIS3_N6thrust23THRUST_200600_302600_NS6detail15normal_iteratorINS9_10device_ptrIjEEEEPS5_jNS1_19radix_merge_compareILb0ELb1EjNS0_19identity_decomposerEEEEE10hipError_tT0_T1_T2_jT3_P12ihipStream_tbPNSt15iterator_traitsISK_E10value_typeEPNSQ_ISL_E10value_typeEPSM_NS1_7vsmem_tEENKUlT_SK_SL_SM_E_clISE_PjSF_SF_EESJ_SZ_SK_SL_SM_EUlSZ_E0_NS1_11comp_targetILNS1_3genE2ELNS1_11target_archE906ELNS1_3gpuE6ELNS1_3repE0EEENS1_38merge_mergepath_config_static_selectorELNS0_4arch9wavefront6targetE1EEEvSL_.kd
    .uniform_work_group_size: 1
    .uses_dynamic_stack: false
    .vgpr_count:     0
    .vgpr_spill_count: 0
    .wavefront_size: 64
  - .agpr_count:     0
    .args:
      - .offset:         0
        .size:           64
        .value_kind:     by_value
    .group_segment_fixed_size: 0
    .kernarg_segment_align: 8
    .kernarg_segment_size: 64
    .language:       OpenCL C
    .language_version:
      - 2
      - 0
    .max_flat_workgroup_size: 256
    .name:           _ZN7rocprim17ROCPRIM_400000_NS6detail17trampoline_kernelINS0_14default_configENS1_38merge_sort_block_merge_config_selectorIjNS0_10empty_typeEEEZZNS1_27merge_sort_block_merge_implIS3_N6thrust23THRUST_200600_302600_NS6detail15normal_iteratorINS9_10device_ptrIjEEEEPS5_jNS1_19radix_merge_compareILb0ELb1EjNS0_19identity_decomposerEEEEE10hipError_tT0_T1_T2_jT3_P12ihipStream_tbPNSt15iterator_traitsISK_E10value_typeEPNSQ_ISL_E10value_typeEPSM_NS1_7vsmem_tEENKUlT_SK_SL_SM_E_clISE_PjSF_SF_EESJ_SZ_SK_SL_SM_EUlSZ_E0_NS1_11comp_targetILNS1_3genE9ELNS1_11target_archE1100ELNS1_3gpuE3ELNS1_3repE0EEENS1_38merge_mergepath_config_static_selectorELNS0_4arch9wavefront6targetE1EEEvSL_
    .private_segment_fixed_size: 0
    .sgpr_count:     6
    .sgpr_spill_count: 0
    .symbol:         _ZN7rocprim17ROCPRIM_400000_NS6detail17trampoline_kernelINS0_14default_configENS1_38merge_sort_block_merge_config_selectorIjNS0_10empty_typeEEEZZNS1_27merge_sort_block_merge_implIS3_N6thrust23THRUST_200600_302600_NS6detail15normal_iteratorINS9_10device_ptrIjEEEEPS5_jNS1_19radix_merge_compareILb0ELb1EjNS0_19identity_decomposerEEEEE10hipError_tT0_T1_T2_jT3_P12ihipStream_tbPNSt15iterator_traitsISK_E10value_typeEPNSQ_ISL_E10value_typeEPSM_NS1_7vsmem_tEENKUlT_SK_SL_SM_E_clISE_PjSF_SF_EESJ_SZ_SK_SL_SM_EUlSZ_E0_NS1_11comp_targetILNS1_3genE9ELNS1_11target_archE1100ELNS1_3gpuE3ELNS1_3repE0EEENS1_38merge_mergepath_config_static_selectorELNS0_4arch9wavefront6targetE1EEEvSL_.kd
    .uniform_work_group_size: 1
    .uses_dynamic_stack: false
    .vgpr_count:     0
    .vgpr_spill_count: 0
    .wavefront_size: 64
  - .agpr_count:     0
    .args:
      - .offset:         0
        .size:           64
        .value_kind:     by_value
    .group_segment_fixed_size: 0
    .kernarg_segment_align: 8
    .kernarg_segment_size: 64
    .language:       OpenCL C
    .language_version:
      - 2
      - 0
    .max_flat_workgroup_size: 512
    .name:           _ZN7rocprim17ROCPRIM_400000_NS6detail17trampoline_kernelINS0_14default_configENS1_38merge_sort_block_merge_config_selectorIjNS0_10empty_typeEEEZZNS1_27merge_sort_block_merge_implIS3_N6thrust23THRUST_200600_302600_NS6detail15normal_iteratorINS9_10device_ptrIjEEEEPS5_jNS1_19radix_merge_compareILb0ELb1EjNS0_19identity_decomposerEEEEE10hipError_tT0_T1_T2_jT3_P12ihipStream_tbPNSt15iterator_traitsISK_E10value_typeEPNSQ_ISL_E10value_typeEPSM_NS1_7vsmem_tEENKUlT_SK_SL_SM_E_clISE_PjSF_SF_EESJ_SZ_SK_SL_SM_EUlSZ_E0_NS1_11comp_targetILNS1_3genE8ELNS1_11target_archE1030ELNS1_3gpuE2ELNS1_3repE0EEENS1_38merge_mergepath_config_static_selectorELNS0_4arch9wavefront6targetE1EEEvSL_
    .private_segment_fixed_size: 0
    .sgpr_count:     6
    .sgpr_spill_count: 0
    .symbol:         _ZN7rocprim17ROCPRIM_400000_NS6detail17trampoline_kernelINS0_14default_configENS1_38merge_sort_block_merge_config_selectorIjNS0_10empty_typeEEEZZNS1_27merge_sort_block_merge_implIS3_N6thrust23THRUST_200600_302600_NS6detail15normal_iteratorINS9_10device_ptrIjEEEEPS5_jNS1_19radix_merge_compareILb0ELb1EjNS0_19identity_decomposerEEEEE10hipError_tT0_T1_T2_jT3_P12ihipStream_tbPNSt15iterator_traitsISK_E10value_typeEPNSQ_ISL_E10value_typeEPSM_NS1_7vsmem_tEENKUlT_SK_SL_SM_E_clISE_PjSF_SF_EESJ_SZ_SK_SL_SM_EUlSZ_E0_NS1_11comp_targetILNS1_3genE8ELNS1_11target_archE1030ELNS1_3gpuE2ELNS1_3repE0EEENS1_38merge_mergepath_config_static_selectorELNS0_4arch9wavefront6targetE1EEEvSL_.kd
    .uniform_work_group_size: 1
    .uses_dynamic_stack: false
    .vgpr_count:     0
    .vgpr_spill_count: 0
    .wavefront_size: 64
  - .agpr_count:     0
    .args:
      - .offset:         0
        .size:           48
        .value_kind:     by_value
    .group_segment_fixed_size: 0
    .kernarg_segment_align: 8
    .kernarg_segment_size: 48
    .language:       OpenCL C
    .language_version:
      - 2
      - 0
    .max_flat_workgroup_size: 256
    .name:           _ZN7rocprim17ROCPRIM_400000_NS6detail17trampoline_kernelINS0_14default_configENS1_38merge_sort_block_merge_config_selectorIjNS0_10empty_typeEEEZZNS1_27merge_sort_block_merge_implIS3_N6thrust23THRUST_200600_302600_NS6detail15normal_iteratorINS9_10device_ptrIjEEEEPS5_jNS1_19radix_merge_compareILb0ELb1EjNS0_19identity_decomposerEEEEE10hipError_tT0_T1_T2_jT3_P12ihipStream_tbPNSt15iterator_traitsISK_E10value_typeEPNSQ_ISL_E10value_typeEPSM_NS1_7vsmem_tEENKUlT_SK_SL_SM_E_clISE_PjSF_SF_EESJ_SZ_SK_SL_SM_EUlSZ_E1_NS1_11comp_targetILNS1_3genE0ELNS1_11target_archE4294967295ELNS1_3gpuE0ELNS1_3repE0EEENS1_36merge_oddeven_config_static_selectorELNS0_4arch9wavefront6targetE1EEEvSL_
    .private_segment_fixed_size: 0
    .sgpr_count:     6
    .sgpr_spill_count: 0
    .symbol:         _ZN7rocprim17ROCPRIM_400000_NS6detail17trampoline_kernelINS0_14default_configENS1_38merge_sort_block_merge_config_selectorIjNS0_10empty_typeEEEZZNS1_27merge_sort_block_merge_implIS3_N6thrust23THRUST_200600_302600_NS6detail15normal_iteratorINS9_10device_ptrIjEEEEPS5_jNS1_19radix_merge_compareILb0ELb1EjNS0_19identity_decomposerEEEEE10hipError_tT0_T1_T2_jT3_P12ihipStream_tbPNSt15iterator_traitsISK_E10value_typeEPNSQ_ISL_E10value_typeEPSM_NS1_7vsmem_tEENKUlT_SK_SL_SM_E_clISE_PjSF_SF_EESJ_SZ_SK_SL_SM_EUlSZ_E1_NS1_11comp_targetILNS1_3genE0ELNS1_11target_archE4294967295ELNS1_3gpuE0ELNS1_3repE0EEENS1_36merge_oddeven_config_static_selectorELNS0_4arch9wavefront6targetE1EEEvSL_.kd
    .uniform_work_group_size: 1
    .uses_dynamic_stack: false
    .vgpr_count:     0
    .vgpr_spill_count: 0
    .wavefront_size: 64
  - .agpr_count:     0
    .args:
      - .offset:         0
        .size:           48
        .value_kind:     by_value
    .group_segment_fixed_size: 0
    .kernarg_segment_align: 8
    .kernarg_segment_size: 48
    .language:       OpenCL C
    .language_version:
      - 2
      - 0
    .max_flat_workgroup_size: 256
    .name:           _ZN7rocprim17ROCPRIM_400000_NS6detail17trampoline_kernelINS0_14default_configENS1_38merge_sort_block_merge_config_selectorIjNS0_10empty_typeEEEZZNS1_27merge_sort_block_merge_implIS3_N6thrust23THRUST_200600_302600_NS6detail15normal_iteratorINS9_10device_ptrIjEEEEPS5_jNS1_19radix_merge_compareILb0ELb1EjNS0_19identity_decomposerEEEEE10hipError_tT0_T1_T2_jT3_P12ihipStream_tbPNSt15iterator_traitsISK_E10value_typeEPNSQ_ISL_E10value_typeEPSM_NS1_7vsmem_tEENKUlT_SK_SL_SM_E_clISE_PjSF_SF_EESJ_SZ_SK_SL_SM_EUlSZ_E1_NS1_11comp_targetILNS1_3genE10ELNS1_11target_archE1201ELNS1_3gpuE5ELNS1_3repE0EEENS1_36merge_oddeven_config_static_selectorELNS0_4arch9wavefront6targetE1EEEvSL_
    .private_segment_fixed_size: 0
    .sgpr_count:     6
    .sgpr_spill_count: 0
    .symbol:         _ZN7rocprim17ROCPRIM_400000_NS6detail17trampoline_kernelINS0_14default_configENS1_38merge_sort_block_merge_config_selectorIjNS0_10empty_typeEEEZZNS1_27merge_sort_block_merge_implIS3_N6thrust23THRUST_200600_302600_NS6detail15normal_iteratorINS9_10device_ptrIjEEEEPS5_jNS1_19radix_merge_compareILb0ELb1EjNS0_19identity_decomposerEEEEE10hipError_tT0_T1_T2_jT3_P12ihipStream_tbPNSt15iterator_traitsISK_E10value_typeEPNSQ_ISL_E10value_typeEPSM_NS1_7vsmem_tEENKUlT_SK_SL_SM_E_clISE_PjSF_SF_EESJ_SZ_SK_SL_SM_EUlSZ_E1_NS1_11comp_targetILNS1_3genE10ELNS1_11target_archE1201ELNS1_3gpuE5ELNS1_3repE0EEENS1_36merge_oddeven_config_static_selectorELNS0_4arch9wavefront6targetE1EEEvSL_.kd
    .uniform_work_group_size: 1
    .uses_dynamic_stack: false
    .vgpr_count:     0
    .vgpr_spill_count: 0
    .wavefront_size: 64
  - .agpr_count:     0
    .args:
      - .offset:         0
        .size:           48
        .value_kind:     by_value
    .group_segment_fixed_size: 0
    .kernarg_segment_align: 8
    .kernarg_segment_size: 48
    .language:       OpenCL C
    .language_version:
      - 2
      - 0
    .max_flat_workgroup_size: 256
    .name:           _ZN7rocprim17ROCPRIM_400000_NS6detail17trampoline_kernelINS0_14default_configENS1_38merge_sort_block_merge_config_selectorIjNS0_10empty_typeEEEZZNS1_27merge_sort_block_merge_implIS3_N6thrust23THRUST_200600_302600_NS6detail15normal_iteratorINS9_10device_ptrIjEEEEPS5_jNS1_19radix_merge_compareILb0ELb1EjNS0_19identity_decomposerEEEEE10hipError_tT0_T1_T2_jT3_P12ihipStream_tbPNSt15iterator_traitsISK_E10value_typeEPNSQ_ISL_E10value_typeEPSM_NS1_7vsmem_tEENKUlT_SK_SL_SM_E_clISE_PjSF_SF_EESJ_SZ_SK_SL_SM_EUlSZ_E1_NS1_11comp_targetILNS1_3genE5ELNS1_11target_archE942ELNS1_3gpuE9ELNS1_3repE0EEENS1_36merge_oddeven_config_static_selectorELNS0_4arch9wavefront6targetE1EEEvSL_
    .private_segment_fixed_size: 0
    .sgpr_count:     27
    .sgpr_spill_count: 0
    .symbol:         _ZN7rocprim17ROCPRIM_400000_NS6detail17trampoline_kernelINS0_14default_configENS1_38merge_sort_block_merge_config_selectorIjNS0_10empty_typeEEEZZNS1_27merge_sort_block_merge_implIS3_N6thrust23THRUST_200600_302600_NS6detail15normal_iteratorINS9_10device_ptrIjEEEEPS5_jNS1_19radix_merge_compareILb0ELb1EjNS0_19identity_decomposerEEEEE10hipError_tT0_T1_T2_jT3_P12ihipStream_tbPNSt15iterator_traitsISK_E10value_typeEPNSQ_ISL_E10value_typeEPSM_NS1_7vsmem_tEENKUlT_SK_SL_SM_E_clISE_PjSF_SF_EESJ_SZ_SK_SL_SM_EUlSZ_E1_NS1_11comp_targetILNS1_3genE5ELNS1_11target_archE942ELNS1_3gpuE9ELNS1_3repE0EEENS1_36merge_oddeven_config_static_selectorELNS0_4arch9wavefront6targetE1EEEvSL_.kd
    .uniform_work_group_size: 1
    .uses_dynamic_stack: false
    .vgpr_count:     10
    .vgpr_spill_count: 0
    .wavefront_size: 64
  - .agpr_count:     0
    .args:
      - .offset:         0
        .size:           48
        .value_kind:     by_value
    .group_segment_fixed_size: 0
    .kernarg_segment_align: 8
    .kernarg_segment_size: 48
    .language:       OpenCL C
    .language_version:
      - 2
      - 0
    .max_flat_workgroup_size: 256
    .name:           _ZN7rocprim17ROCPRIM_400000_NS6detail17trampoline_kernelINS0_14default_configENS1_38merge_sort_block_merge_config_selectorIjNS0_10empty_typeEEEZZNS1_27merge_sort_block_merge_implIS3_N6thrust23THRUST_200600_302600_NS6detail15normal_iteratorINS9_10device_ptrIjEEEEPS5_jNS1_19radix_merge_compareILb0ELb1EjNS0_19identity_decomposerEEEEE10hipError_tT0_T1_T2_jT3_P12ihipStream_tbPNSt15iterator_traitsISK_E10value_typeEPNSQ_ISL_E10value_typeEPSM_NS1_7vsmem_tEENKUlT_SK_SL_SM_E_clISE_PjSF_SF_EESJ_SZ_SK_SL_SM_EUlSZ_E1_NS1_11comp_targetILNS1_3genE4ELNS1_11target_archE910ELNS1_3gpuE8ELNS1_3repE0EEENS1_36merge_oddeven_config_static_selectorELNS0_4arch9wavefront6targetE1EEEvSL_
    .private_segment_fixed_size: 0
    .sgpr_count:     6
    .sgpr_spill_count: 0
    .symbol:         _ZN7rocprim17ROCPRIM_400000_NS6detail17trampoline_kernelINS0_14default_configENS1_38merge_sort_block_merge_config_selectorIjNS0_10empty_typeEEEZZNS1_27merge_sort_block_merge_implIS3_N6thrust23THRUST_200600_302600_NS6detail15normal_iteratorINS9_10device_ptrIjEEEEPS5_jNS1_19radix_merge_compareILb0ELb1EjNS0_19identity_decomposerEEEEE10hipError_tT0_T1_T2_jT3_P12ihipStream_tbPNSt15iterator_traitsISK_E10value_typeEPNSQ_ISL_E10value_typeEPSM_NS1_7vsmem_tEENKUlT_SK_SL_SM_E_clISE_PjSF_SF_EESJ_SZ_SK_SL_SM_EUlSZ_E1_NS1_11comp_targetILNS1_3genE4ELNS1_11target_archE910ELNS1_3gpuE8ELNS1_3repE0EEENS1_36merge_oddeven_config_static_selectorELNS0_4arch9wavefront6targetE1EEEvSL_.kd
    .uniform_work_group_size: 1
    .uses_dynamic_stack: false
    .vgpr_count:     0
    .vgpr_spill_count: 0
    .wavefront_size: 64
  - .agpr_count:     0
    .args:
      - .offset:         0
        .size:           48
        .value_kind:     by_value
    .group_segment_fixed_size: 0
    .kernarg_segment_align: 8
    .kernarg_segment_size: 48
    .language:       OpenCL C
    .language_version:
      - 2
      - 0
    .max_flat_workgroup_size: 256
    .name:           _ZN7rocprim17ROCPRIM_400000_NS6detail17trampoline_kernelINS0_14default_configENS1_38merge_sort_block_merge_config_selectorIjNS0_10empty_typeEEEZZNS1_27merge_sort_block_merge_implIS3_N6thrust23THRUST_200600_302600_NS6detail15normal_iteratorINS9_10device_ptrIjEEEEPS5_jNS1_19radix_merge_compareILb0ELb1EjNS0_19identity_decomposerEEEEE10hipError_tT0_T1_T2_jT3_P12ihipStream_tbPNSt15iterator_traitsISK_E10value_typeEPNSQ_ISL_E10value_typeEPSM_NS1_7vsmem_tEENKUlT_SK_SL_SM_E_clISE_PjSF_SF_EESJ_SZ_SK_SL_SM_EUlSZ_E1_NS1_11comp_targetILNS1_3genE3ELNS1_11target_archE908ELNS1_3gpuE7ELNS1_3repE0EEENS1_36merge_oddeven_config_static_selectorELNS0_4arch9wavefront6targetE1EEEvSL_
    .private_segment_fixed_size: 0
    .sgpr_count:     6
    .sgpr_spill_count: 0
    .symbol:         _ZN7rocprim17ROCPRIM_400000_NS6detail17trampoline_kernelINS0_14default_configENS1_38merge_sort_block_merge_config_selectorIjNS0_10empty_typeEEEZZNS1_27merge_sort_block_merge_implIS3_N6thrust23THRUST_200600_302600_NS6detail15normal_iteratorINS9_10device_ptrIjEEEEPS5_jNS1_19radix_merge_compareILb0ELb1EjNS0_19identity_decomposerEEEEE10hipError_tT0_T1_T2_jT3_P12ihipStream_tbPNSt15iterator_traitsISK_E10value_typeEPNSQ_ISL_E10value_typeEPSM_NS1_7vsmem_tEENKUlT_SK_SL_SM_E_clISE_PjSF_SF_EESJ_SZ_SK_SL_SM_EUlSZ_E1_NS1_11comp_targetILNS1_3genE3ELNS1_11target_archE908ELNS1_3gpuE7ELNS1_3repE0EEENS1_36merge_oddeven_config_static_selectorELNS0_4arch9wavefront6targetE1EEEvSL_.kd
    .uniform_work_group_size: 1
    .uses_dynamic_stack: false
    .vgpr_count:     0
    .vgpr_spill_count: 0
    .wavefront_size: 64
  - .agpr_count:     0
    .args:
      - .offset:         0
        .size:           48
        .value_kind:     by_value
    .group_segment_fixed_size: 0
    .kernarg_segment_align: 8
    .kernarg_segment_size: 48
    .language:       OpenCL C
    .language_version:
      - 2
      - 0
    .max_flat_workgroup_size: 256
    .name:           _ZN7rocprim17ROCPRIM_400000_NS6detail17trampoline_kernelINS0_14default_configENS1_38merge_sort_block_merge_config_selectorIjNS0_10empty_typeEEEZZNS1_27merge_sort_block_merge_implIS3_N6thrust23THRUST_200600_302600_NS6detail15normal_iteratorINS9_10device_ptrIjEEEEPS5_jNS1_19radix_merge_compareILb0ELb1EjNS0_19identity_decomposerEEEEE10hipError_tT0_T1_T2_jT3_P12ihipStream_tbPNSt15iterator_traitsISK_E10value_typeEPNSQ_ISL_E10value_typeEPSM_NS1_7vsmem_tEENKUlT_SK_SL_SM_E_clISE_PjSF_SF_EESJ_SZ_SK_SL_SM_EUlSZ_E1_NS1_11comp_targetILNS1_3genE2ELNS1_11target_archE906ELNS1_3gpuE6ELNS1_3repE0EEENS1_36merge_oddeven_config_static_selectorELNS0_4arch9wavefront6targetE1EEEvSL_
    .private_segment_fixed_size: 0
    .sgpr_count:     6
    .sgpr_spill_count: 0
    .symbol:         _ZN7rocprim17ROCPRIM_400000_NS6detail17trampoline_kernelINS0_14default_configENS1_38merge_sort_block_merge_config_selectorIjNS0_10empty_typeEEEZZNS1_27merge_sort_block_merge_implIS3_N6thrust23THRUST_200600_302600_NS6detail15normal_iteratorINS9_10device_ptrIjEEEEPS5_jNS1_19radix_merge_compareILb0ELb1EjNS0_19identity_decomposerEEEEE10hipError_tT0_T1_T2_jT3_P12ihipStream_tbPNSt15iterator_traitsISK_E10value_typeEPNSQ_ISL_E10value_typeEPSM_NS1_7vsmem_tEENKUlT_SK_SL_SM_E_clISE_PjSF_SF_EESJ_SZ_SK_SL_SM_EUlSZ_E1_NS1_11comp_targetILNS1_3genE2ELNS1_11target_archE906ELNS1_3gpuE6ELNS1_3repE0EEENS1_36merge_oddeven_config_static_selectorELNS0_4arch9wavefront6targetE1EEEvSL_.kd
    .uniform_work_group_size: 1
    .uses_dynamic_stack: false
    .vgpr_count:     0
    .vgpr_spill_count: 0
    .wavefront_size: 64
  - .agpr_count:     0
    .args:
      - .offset:         0
        .size:           48
        .value_kind:     by_value
    .group_segment_fixed_size: 0
    .kernarg_segment_align: 8
    .kernarg_segment_size: 48
    .language:       OpenCL C
    .language_version:
      - 2
      - 0
    .max_flat_workgroup_size: 256
    .name:           _ZN7rocprim17ROCPRIM_400000_NS6detail17trampoline_kernelINS0_14default_configENS1_38merge_sort_block_merge_config_selectorIjNS0_10empty_typeEEEZZNS1_27merge_sort_block_merge_implIS3_N6thrust23THRUST_200600_302600_NS6detail15normal_iteratorINS9_10device_ptrIjEEEEPS5_jNS1_19radix_merge_compareILb0ELb1EjNS0_19identity_decomposerEEEEE10hipError_tT0_T1_T2_jT3_P12ihipStream_tbPNSt15iterator_traitsISK_E10value_typeEPNSQ_ISL_E10value_typeEPSM_NS1_7vsmem_tEENKUlT_SK_SL_SM_E_clISE_PjSF_SF_EESJ_SZ_SK_SL_SM_EUlSZ_E1_NS1_11comp_targetILNS1_3genE9ELNS1_11target_archE1100ELNS1_3gpuE3ELNS1_3repE0EEENS1_36merge_oddeven_config_static_selectorELNS0_4arch9wavefront6targetE1EEEvSL_
    .private_segment_fixed_size: 0
    .sgpr_count:     6
    .sgpr_spill_count: 0
    .symbol:         _ZN7rocprim17ROCPRIM_400000_NS6detail17trampoline_kernelINS0_14default_configENS1_38merge_sort_block_merge_config_selectorIjNS0_10empty_typeEEEZZNS1_27merge_sort_block_merge_implIS3_N6thrust23THRUST_200600_302600_NS6detail15normal_iteratorINS9_10device_ptrIjEEEEPS5_jNS1_19radix_merge_compareILb0ELb1EjNS0_19identity_decomposerEEEEE10hipError_tT0_T1_T2_jT3_P12ihipStream_tbPNSt15iterator_traitsISK_E10value_typeEPNSQ_ISL_E10value_typeEPSM_NS1_7vsmem_tEENKUlT_SK_SL_SM_E_clISE_PjSF_SF_EESJ_SZ_SK_SL_SM_EUlSZ_E1_NS1_11comp_targetILNS1_3genE9ELNS1_11target_archE1100ELNS1_3gpuE3ELNS1_3repE0EEENS1_36merge_oddeven_config_static_selectorELNS0_4arch9wavefront6targetE1EEEvSL_.kd
    .uniform_work_group_size: 1
    .uses_dynamic_stack: false
    .vgpr_count:     0
    .vgpr_spill_count: 0
    .wavefront_size: 64
  - .agpr_count:     0
    .args:
      - .offset:         0
        .size:           48
        .value_kind:     by_value
    .group_segment_fixed_size: 0
    .kernarg_segment_align: 8
    .kernarg_segment_size: 48
    .language:       OpenCL C
    .language_version:
      - 2
      - 0
    .max_flat_workgroup_size: 256
    .name:           _ZN7rocprim17ROCPRIM_400000_NS6detail17trampoline_kernelINS0_14default_configENS1_38merge_sort_block_merge_config_selectorIjNS0_10empty_typeEEEZZNS1_27merge_sort_block_merge_implIS3_N6thrust23THRUST_200600_302600_NS6detail15normal_iteratorINS9_10device_ptrIjEEEEPS5_jNS1_19radix_merge_compareILb0ELb1EjNS0_19identity_decomposerEEEEE10hipError_tT0_T1_T2_jT3_P12ihipStream_tbPNSt15iterator_traitsISK_E10value_typeEPNSQ_ISL_E10value_typeEPSM_NS1_7vsmem_tEENKUlT_SK_SL_SM_E_clISE_PjSF_SF_EESJ_SZ_SK_SL_SM_EUlSZ_E1_NS1_11comp_targetILNS1_3genE8ELNS1_11target_archE1030ELNS1_3gpuE2ELNS1_3repE0EEENS1_36merge_oddeven_config_static_selectorELNS0_4arch9wavefront6targetE1EEEvSL_
    .private_segment_fixed_size: 0
    .sgpr_count:     6
    .sgpr_spill_count: 0
    .symbol:         _ZN7rocprim17ROCPRIM_400000_NS6detail17trampoline_kernelINS0_14default_configENS1_38merge_sort_block_merge_config_selectorIjNS0_10empty_typeEEEZZNS1_27merge_sort_block_merge_implIS3_N6thrust23THRUST_200600_302600_NS6detail15normal_iteratorINS9_10device_ptrIjEEEEPS5_jNS1_19radix_merge_compareILb0ELb1EjNS0_19identity_decomposerEEEEE10hipError_tT0_T1_T2_jT3_P12ihipStream_tbPNSt15iterator_traitsISK_E10value_typeEPNSQ_ISL_E10value_typeEPSM_NS1_7vsmem_tEENKUlT_SK_SL_SM_E_clISE_PjSF_SF_EESJ_SZ_SK_SL_SM_EUlSZ_E1_NS1_11comp_targetILNS1_3genE8ELNS1_11target_archE1030ELNS1_3gpuE2ELNS1_3repE0EEENS1_36merge_oddeven_config_static_selectorELNS0_4arch9wavefront6targetE1EEEvSL_.kd
    .uniform_work_group_size: 1
    .uses_dynamic_stack: false
    .vgpr_count:     0
    .vgpr_spill_count: 0
    .wavefront_size: 64
  - .agpr_count:     0
    .args:
      - .offset:         0
        .size:           40
        .value_kind:     by_value
    .group_segment_fixed_size: 0
    .kernarg_segment_align: 8
    .kernarg_segment_size: 40
    .language:       OpenCL C
    .language_version:
      - 2
      - 0
    .max_flat_workgroup_size: 512
    .name:           _ZN7rocprim17ROCPRIM_400000_NS6detail17trampoline_kernelINS0_14default_configENS1_35radix_sort_onesweep_config_selectorIjNS0_10empty_typeEEEZNS1_34radix_sort_onesweep_global_offsetsIS3_Lb0EN6thrust23THRUST_200600_302600_NS6detail15normal_iteratorINS9_10device_ptrIjEEEEPS5_jNS0_19identity_decomposerEEE10hipError_tT1_T2_PT3_SK_jT4_jjP12ihipStream_tbEUlT_E_NS1_11comp_targetILNS1_3genE0ELNS1_11target_archE4294967295ELNS1_3gpuE0ELNS1_3repE0EEENS1_52radix_sort_onesweep_histogram_config_static_selectorELNS0_4arch9wavefront6targetE1EEEvSI_
    .private_segment_fixed_size: 0
    .sgpr_count:     6
    .sgpr_spill_count: 0
    .symbol:         _ZN7rocprim17ROCPRIM_400000_NS6detail17trampoline_kernelINS0_14default_configENS1_35radix_sort_onesweep_config_selectorIjNS0_10empty_typeEEEZNS1_34radix_sort_onesweep_global_offsetsIS3_Lb0EN6thrust23THRUST_200600_302600_NS6detail15normal_iteratorINS9_10device_ptrIjEEEEPS5_jNS0_19identity_decomposerEEE10hipError_tT1_T2_PT3_SK_jT4_jjP12ihipStream_tbEUlT_E_NS1_11comp_targetILNS1_3genE0ELNS1_11target_archE4294967295ELNS1_3gpuE0ELNS1_3repE0EEENS1_52radix_sort_onesweep_histogram_config_static_selectorELNS0_4arch9wavefront6targetE1EEEvSI_.kd
    .uniform_work_group_size: 1
    .uses_dynamic_stack: false
    .vgpr_count:     0
    .vgpr_spill_count: 0
    .wavefront_size: 64
  - .agpr_count:     0
    .args:
      - .offset:         0
        .size:           40
        .value_kind:     by_value
    .group_segment_fixed_size: 0
    .kernarg_segment_align: 8
    .kernarg_segment_size: 40
    .language:       OpenCL C
    .language_version:
      - 2
      - 0
    .max_flat_workgroup_size: 1024
    .name:           _ZN7rocprim17ROCPRIM_400000_NS6detail17trampoline_kernelINS0_14default_configENS1_35radix_sort_onesweep_config_selectorIjNS0_10empty_typeEEEZNS1_34radix_sort_onesweep_global_offsetsIS3_Lb0EN6thrust23THRUST_200600_302600_NS6detail15normal_iteratorINS9_10device_ptrIjEEEEPS5_jNS0_19identity_decomposerEEE10hipError_tT1_T2_PT3_SK_jT4_jjP12ihipStream_tbEUlT_E_NS1_11comp_targetILNS1_3genE6ELNS1_11target_archE950ELNS1_3gpuE13ELNS1_3repE0EEENS1_52radix_sort_onesweep_histogram_config_static_selectorELNS0_4arch9wavefront6targetE1EEEvSI_
    .private_segment_fixed_size: 0
    .sgpr_count:     6
    .sgpr_spill_count: 0
    .symbol:         _ZN7rocprim17ROCPRIM_400000_NS6detail17trampoline_kernelINS0_14default_configENS1_35radix_sort_onesweep_config_selectorIjNS0_10empty_typeEEEZNS1_34radix_sort_onesweep_global_offsetsIS3_Lb0EN6thrust23THRUST_200600_302600_NS6detail15normal_iteratorINS9_10device_ptrIjEEEEPS5_jNS0_19identity_decomposerEEE10hipError_tT1_T2_PT3_SK_jT4_jjP12ihipStream_tbEUlT_E_NS1_11comp_targetILNS1_3genE6ELNS1_11target_archE950ELNS1_3gpuE13ELNS1_3repE0EEENS1_52radix_sort_onesweep_histogram_config_static_selectorELNS0_4arch9wavefront6targetE1EEEvSI_.kd
    .uniform_work_group_size: 1
    .uses_dynamic_stack: false
    .vgpr_count:     0
    .vgpr_spill_count: 0
    .wavefront_size: 64
  - .agpr_count:     0
    .args:
      - .offset:         0
        .size:           40
        .value_kind:     by_value
    .group_segment_fixed_size: 16384
    .kernarg_segment_align: 8
    .kernarg_segment_size: 40
    .language:       OpenCL C
    .language_version:
      - 2
      - 0
    .max_flat_workgroup_size: 1024
    .name:           _ZN7rocprim17ROCPRIM_400000_NS6detail17trampoline_kernelINS0_14default_configENS1_35radix_sort_onesweep_config_selectorIjNS0_10empty_typeEEEZNS1_34radix_sort_onesweep_global_offsetsIS3_Lb0EN6thrust23THRUST_200600_302600_NS6detail15normal_iteratorINS9_10device_ptrIjEEEEPS5_jNS0_19identity_decomposerEEE10hipError_tT1_T2_PT3_SK_jT4_jjP12ihipStream_tbEUlT_E_NS1_11comp_targetILNS1_3genE5ELNS1_11target_archE942ELNS1_3gpuE9ELNS1_3repE0EEENS1_52radix_sort_onesweep_histogram_config_static_selectorELNS0_4arch9wavefront6targetE1EEEvSI_
    .private_segment_fixed_size: 0
    .sgpr_count:     25
    .sgpr_spill_count: 0
    .symbol:         _ZN7rocprim17ROCPRIM_400000_NS6detail17trampoline_kernelINS0_14default_configENS1_35radix_sort_onesweep_config_selectorIjNS0_10empty_typeEEEZNS1_34radix_sort_onesweep_global_offsetsIS3_Lb0EN6thrust23THRUST_200600_302600_NS6detail15normal_iteratorINS9_10device_ptrIjEEEEPS5_jNS0_19identity_decomposerEEE10hipError_tT1_T2_PT3_SK_jT4_jjP12ihipStream_tbEUlT_E_NS1_11comp_targetILNS1_3genE5ELNS1_11target_archE942ELNS1_3gpuE9ELNS1_3repE0EEENS1_52radix_sort_onesweep_histogram_config_static_selectorELNS0_4arch9wavefront6targetE1EEEvSI_.kd
    .uniform_work_group_size: 1
    .uses_dynamic_stack: false
    .vgpr_count:     19
    .vgpr_spill_count: 0
    .wavefront_size: 64
  - .agpr_count:     0
    .args:
      - .offset:         0
        .size:           40
        .value_kind:     by_value
    .group_segment_fixed_size: 0
    .kernarg_segment_align: 8
    .kernarg_segment_size: 40
    .language:       OpenCL C
    .language_version:
      - 2
      - 0
    .max_flat_workgroup_size: 1024
    .name:           _ZN7rocprim17ROCPRIM_400000_NS6detail17trampoline_kernelINS0_14default_configENS1_35radix_sort_onesweep_config_selectorIjNS0_10empty_typeEEEZNS1_34radix_sort_onesweep_global_offsetsIS3_Lb0EN6thrust23THRUST_200600_302600_NS6detail15normal_iteratorINS9_10device_ptrIjEEEEPS5_jNS0_19identity_decomposerEEE10hipError_tT1_T2_PT3_SK_jT4_jjP12ihipStream_tbEUlT_E_NS1_11comp_targetILNS1_3genE2ELNS1_11target_archE906ELNS1_3gpuE6ELNS1_3repE0EEENS1_52radix_sort_onesweep_histogram_config_static_selectorELNS0_4arch9wavefront6targetE1EEEvSI_
    .private_segment_fixed_size: 0
    .sgpr_count:     6
    .sgpr_spill_count: 0
    .symbol:         _ZN7rocprim17ROCPRIM_400000_NS6detail17trampoline_kernelINS0_14default_configENS1_35radix_sort_onesweep_config_selectorIjNS0_10empty_typeEEEZNS1_34radix_sort_onesweep_global_offsetsIS3_Lb0EN6thrust23THRUST_200600_302600_NS6detail15normal_iteratorINS9_10device_ptrIjEEEEPS5_jNS0_19identity_decomposerEEE10hipError_tT1_T2_PT3_SK_jT4_jjP12ihipStream_tbEUlT_E_NS1_11comp_targetILNS1_3genE2ELNS1_11target_archE906ELNS1_3gpuE6ELNS1_3repE0EEENS1_52radix_sort_onesweep_histogram_config_static_selectorELNS0_4arch9wavefront6targetE1EEEvSI_.kd
    .uniform_work_group_size: 1
    .uses_dynamic_stack: false
    .vgpr_count:     0
    .vgpr_spill_count: 0
    .wavefront_size: 64
  - .agpr_count:     0
    .args:
      - .offset:         0
        .size:           40
        .value_kind:     by_value
    .group_segment_fixed_size: 0
    .kernarg_segment_align: 8
    .kernarg_segment_size: 40
    .language:       OpenCL C
    .language_version:
      - 2
      - 0
    .max_flat_workgroup_size: 1024
    .name:           _ZN7rocprim17ROCPRIM_400000_NS6detail17trampoline_kernelINS0_14default_configENS1_35radix_sort_onesweep_config_selectorIjNS0_10empty_typeEEEZNS1_34radix_sort_onesweep_global_offsetsIS3_Lb0EN6thrust23THRUST_200600_302600_NS6detail15normal_iteratorINS9_10device_ptrIjEEEEPS5_jNS0_19identity_decomposerEEE10hipError_tT1_T2_PT3_SK_jT4_jjP12ihipStream_tbEUlT_E_NS1_11comp_targetILNS1_3genE4ELNS1_11target_archE910ELNS1_3gpuE8ELNS1_3repE0EEENS1_52radix_sort_onesweep_histogram_config_static_selectorELNS0_4arch9wavefront6targetE1EEEvSI_
    .private_segment_fixed_size: 0
    .sgpr_count:     6
    .sgpr_spill_count: 0
    .symbol:         _ZN7rocprim17ROCPRIM_400000_NS6detail17trampoline_kernelINS0_14default_configENS1_35radix_sort_onesweep_config_selectorIjNS0_10empty_typeEEEZNS1_34radix_sort_onesweep_global_offsetsIS3_Lb0EN6thrust23THRUST_200600_302600_NS6detail15normal_iteratorINS9_10device_ptrIjEEEEPS5_jNS0_19identity_decomposerEEE10hipError_tT1_T2_PT3_SK_jT4_jjP12ihipStream_tbEUlT_E_NS1_11comp_targetILNS1_3genE4ELNS1_11target_archE910ELNS1_3gpuE8ELNS1_3repE0EEENS1_52radix_sort_onesweep_histogram_config_static_selectorELNS0_4arch9wavefront6targetE1EEEvSI_.kd
    .uniform_work_group_size: 1
    .uses_dynamic_stack: false
    .vgpr_count:     0
    .vgpr_spill_count: 0
    .wavefront_size: 64
  - .agpr_count:     0
    .args:
      - .offset:         0
        .size:           40
        .value_kind:     by_value
    .group_segment_fixed_size: 0
    .kernarg_segment_align: 8
    .kernarg_segment_size: 40
    .language:       OpenCL C
    .language_version:
      - 2
      - 0
    .max_flat_workgroup_size: 512
    .name:           _ZN7rocprim17ROCPRIM_400000_NS6detail17trampoline_kernelINS0_14default_configENS1_35radix_sort_onesweep_config_selectorIjNS0_10empty_typeEEEZNS1_34radix_sort_onesweep_global_offsetsIS3_Lb0EN6thrust23THRUST_200600_302600_NS6detail15normal_iteratorINS9_10device_ptrIjEEEEPS5_jNS0_19identity_decomposerEEE10hipError_tT1_T2_PT3_SK_jT4_jjP12ihipStream_tbEUlT_E_NS1_11comp_targetILNS1_3genE3ELNS1_11target_archE908ELNS1_3gpuE7ELNS1_3repE0EEENS1_52radix_sort_onesweep_histogram_config_static_selectorELNS0_4arch9wavefront6targetE1EEEvSI_
    .private_segment_fixed_size: 0
    .sgpr_count:     6
    .sgpr_spill_count: 0
    .symbol:         _ZN7rocprim17ROCPRIM_400000_NS6detail17trampoline_kernelINS0_14default_configENS1_35radix_sort_onesweep_config_selectorIjNS0_10empty_typeEEEZNS1_34radix_sort_onesweep_global_offsetsIS3_Lb0EN6thrust23THRUST_200600_302600_NS6detail15normal_iteratorINS9_10device_ptrIjEEEEPS5_jNS0_19identity_decomposerEEE10hipError_tT1_T2_PT3_SK_jT4_jjP12ihipStream_tbEUlT_E_NS1_11comp_targetILNS1_3genE3ELNS1_11target_archE908ELNS1_3gpuE7ELNS1_3repE0EEENS1_52radix_sort_onesweep_histogram_config_static_selectorELNS0_4arch9wavefront6targetE1EEEvSI_.kd
    .uniform_work_group_size: 1
    .uses_dynamic_stack: false
    .vgpr_count:     0
    .vgpr_spill_count: 0
    .wavefront_size: 64
  - .agpr_count:     0
    .args:
      - .offset:         0
        .size:           40
        .value_kind:     by_value
    .group_segment_fixed_size: 0
    .kernarg_segment_align: 8
    .kernarg_segment_size: 40
    .language:       OpenCL C
    .language_version:
      - 2
      - 0
    .max_flat_workgroup_size: 1024
    .name:           _ZN7rocprim17ROCPRIM_400000_NS6detail17trampoline_kernelINS0_14default_configENS1_35radix_sort_onesweep_config_selectorIjNS0_10empty_typeEEEZNS1_34radix_sort_onesweep_global_offsetsIS3_Lb0EN6thrust23THRUST_200600_302600_NS6detail15normal_iteratorINS9_10device_ptrIjEEEEPS5_jNS0_19identity_decomposerEEE10hipError_tT1_T2_PT3_SK_jT4_jjP12ihipStream_tbEUlT_E_NS1_11comp_targetILNS1_3genE10ELNS1_11target_archE1201ELNS1_3gpuE5ELNS1_3repE0EEENS1_52radix_sort_onesweep_histogram_config_static_selectorELNS0_4arch9wavefront6targetE1EEEvSI_
    .private_segment_fixed_size: 0
    .sgpr_count:     6
    .sgpr_spill_count: 0
    .symbol:         _ZN7rocprim17ROCPRIM_400000_NS6detail17trampoline_kernelINS0_14default_configENS1_35radix_sort_onesweep_config_selectorIjNS0_10empty_typeEEEZNS1_34radix_sort_onesweep_global_offsetsIS3_Lb0EN6thrust23THRUST_200600_302600_NS6detail15normal_iteratorINS9_10device_ptrIjEEEEPS5_jNS0_19identity_decomposerEEE10hipError_tT1_T2_PT3_SK_jT4_jjP12ihipStream_tbEUlT_E_NS1_11comp_targetILNS1_3genE10ELNS1_11target_archE1201ELNS1_3gpuE5ELNS1_3repE0EEENS1_52radix_sort_onesweep_histogram_config_static_selectorELNS0_4arch9wavefront6targetE1EEEvSI_.kd
    .uniform_work_group_size: 1
    .uses_dynamic_stack: false
    .vgpr_count:     0
    .vgpr_spill_count: 0
    .wavefront_size: 64
  - .agpr_count:     0
    .args:
      - .offset:         0
        .size:           40
        .value_kind:     by_value
    .group_segment_fixed_size: 0
    .kernarg_segment_align: 8
    .kernarg_segment_size: 40
    .language:       OpenCL C
    .language_version:
      - 2
      - 0
    .max_flat_workgroup_size: 1024
    .name:           _ZN7rocprim17ROCPRIM_400000_NS6detail17trampoline_kernelINS0_14default_configENS1_35radix_sort_onesweep_config_selectorIjNS0_10empty_typeEEEZNS1_34radix_sort_onesweep_global_offsetsIS3_Lb0EN6thrust23THRUST_200600_302600_NS6detail15normal_iteratorINS9_10device_ptrIjEEEEPS5_jNS0_19identity_decomposerEEE10hipError_tT1_T2_PT3_SK_jT4_jjP12ihipStream_tbEUlT_E_NS1_11comp_targetILNS1_3genE9ELNS1_11target_archE1100ELNS1_3gpuE3ELNS1_3repE0EEENS1_52radix_sort_onesweep_histogram_config_static_selectorELNS0_4arch9wavefront6targetE1EEEvSI_
    .private_segment_fixed_size: 0
    .sgpr_count:     6
    .sgpr_spill_count: 0
    .symbol:         _ZN7rocprim17ROCPRIM_400000_NS6detail17trampoline_kernelINS0_14default_configENS1_35radix_sort_onesweep_config_selectorIjNS0_10empty_typeEEEZNS1_34radix_sort_onesweep_global_offsetsIS3_Lb0EN6thrust23THRUST_200600_302600_NS6detail15normal_iteratorINS9_10device_ptrIjEEEEPS5_jNS0_19identity_decomposerEEE10hipError_tT1_T2_PT3_SK_jT4_jjP12ihipStream_tbEUlT_E_NS1_11comp_targetILNS1_3genE9ELNS1_11target_archE1100ELNS1_3gpuE3ELNS1_3repE0EEENS1_52radix_sort_onesweep_histogram_config_static_selectorELNS0_4arch9wavefront6targetE1EEEvSI_.kd
    .uniform_work_group_size: 1
    .uses_dynamic_stack: false
    .vgpr_count:     0
    .vgpr_spill_count: 0
    .wavefront_size: 64
  - .agpr_count:     0
    .args:
      - .offset:         0
        .size:           40
        .value_kind:     by_value
    .group_segment_fixed_size: 0
    .kernarg_segment_align: 8
    .kernarg_segment_size: 40
    .language:       OpenCL C
    .language_version:
      - 2
      - 0
    .max_flat_workgroup_size: 1024
    .name:           _ZN7rocprim17ROCPRIM_400000_NS6detail17trampoline_kernelINS0_14default_configENS1_35radix_sort_onesweep_config_selectorIjNS0_10empty_typeEEEZNS1_34radix_sort_onesweep_global_offsetsIS3_Lb0EN6thrust23THRUST_200600_302600_NS6detail15normal_iteratorINS9_10device_ptrIjEEEEPS5_jNS0_19identity_decomposerEEE10hipError_tT1_T2_PT3_SK_jT4_jjP12ihipStream_tbEUlT_E_NS1_11comp_targetILNS1_3genE8ELNS1_11target_archE1030ELNS1_3gpuE2ELNS1_3repE0EEENS1_52radix_sort_onesweep_histogram_config_static_selectorELNS0_4arch9wavefront6targetE1EEEvSI_
    .private_segment_fixed_size: 0
    .sgpr_count:     6
    .sgpr_spill_count: 0
    .symbol:         _ZN7rocprim17ROCPRIM_400000_NS6detail17trampoline_kernelINS0_14default_configENS1_35radix_sort_onesweep_config_selectorIjNS0_10empty_typeEEEZNS1_34radix_sort_onesweep_global_offsetsIS3_Lb0EN6thrust23THRUST_200600_302600_NS6detail15normal_iteratorINS9_10device_ptrIjEEEEPS5_jNS0_19identity_decomposerEEE10hipError_tT1_T2_PT3_SK_jT4_jjP12ihipStream_tbEUlT_E_NS1_11comp_targetILNS1_3genE8ELNS1_11target_archE1030ELNS1_3gpuE2ELNS1_3repE0EEENS1_52radix_sort_onesweep_histogram_config_static_selectorELNS0_4arch9wavefront6targetE1EEEvSI_.kd
    .uniform_work_group_size: 1
    .uses_dynamic_stack: false
    .vgpr_count:     0
    .vgpr_spill_count: 0
    .wavefront_size: 64
  - .agpr_count:     0
    .args:
      - .address_space:  global
        .offset:         0
        .size:           8
        .value_kind:     global_buffer
    .group_segment_fixed_size: 0
    .kernarg_segment_align: 8
    .kernarg_segment_size: 8
    .language:       OpenCL C
    .language_version:
      - 2
      - 0
    .max_flat_workgroup_size: 512
    .name:           _ZN7rocprim17ROCPRIM_400000_NS6detail17trampoline_kernelINS0_14default_configENS1_35radix_sort_onesweep_config_selectorIjNS0_10empty_typeEEEZNS1_34radix_sort_onesweep_global_offsetsIS3_Lb0EN6thrust23THRUST_200600_302600_NS6detail15normal_iteratorINS9_10device_ptrIjEEEEPS5_jNS0_19identity_decomposerEEE10hipError_tT1_T2_PT3_SK_jT4_jjP12ihipStream_tbEUlT_E0_NS1_11comp_targetILNS1_3genE0ELNS1_11target_archE4294967295ELNS1_3gpuE0ELNS1_3repE0EEENS1_52radix_sort_onesweep_histogram_config_static_selectorELNS0_4arch9wavefront6targetE1EEEvSI_
    .private_segment_fixed_size: 0
    .sgpr_count:     6
    .sgpr_spill_count: 0
    .symbol:         _ZN7rocprim17ROCPRIM_400000_NS6detail17trampoline_kernelINS0_14default_configENS1_35radix_sort_onesweep_config_selectorIjNS0_10empty_typeEEEZNS1_34radix_sort_onesweep_global_offsetsIS3_Lb0EN6thrust23THRUST_200600_302600_NS6detail15normal_iteratorINS9_10device_ptrIjEEEEPS5_jNS0_19identity_decomposerEEE10hipError_tT1_T2_PT3_SK_jT4_jjP12ihipStream_tbEUlT_E0_NS1_11comp_targetILNS1_3genE0ELNS1_11target_archE4294967295ELNS1_3gpuE0ELNS1_3repE0EEENS1_52radix_sort_onesweep_histogram_config_static_selectorELNS0_4arch9wavefront6targetE1EEEvSI_.kd
    .uniform_work_group_size: 1
    .uses_dynamic_stack: false
    .vgpr_count:     0
    .vgpr_spill_count: 0
    .wavefront_size: 64
  - .agpr_count:     0
    .args:
      - .address_space:  global
        .offset:         0
        .size:           8
        .value_kind:     global_buffer
    .group_segment_fixed_size: 0
    .kernarg_segment_align: 8
    .kernarg_segment_size: 8
    .language:       OpenCL C
    .language_version:
      - 2
      - 0
    .max_flat_workgroup_size: 1024
    .name:           _ZN7rocprim17ROCPRIM_400000_NS6detail17trampoline_kernelINS0_14default_configENS1_35radix_sort_onesweep_config_selectorIjNS0_10empty_typeEEEZNS1_34radix_sort_onesweep_global_offsetsIS3_Lb0EN6thrust23THRUST_200600_302600_NS6detail15normal_iteratorINS9_10device_ptrIjEEEEPS5_jNS0_19identity_decomposerEEE10hipError_tT1_T2_PT3_SK_jT4_jjP12ihipStream_tbEUlT_E0_NS1_11comp_targetILNS1_3genE6ELNS1_11target_archE950ELNS1_3gpuE13ELNS1_3repE0EEENS1_52radix_sort_onesweep_histogram_config_static_selectorELNS0_4arch9wavefront6targetE1EEEvSI_
    .private_segment_fixed_size: 0
    .sgpr_count:     6
    .sgpr_spill_count: 0
    .symbol:         _ZN7rocprim17ROCPRIM_400000_NS6detail17trampoline_kernelINS0_14default_configENS1_35radix_sort_onesweep_config_selectorIjNS0_10empty_typeEEEZNS1_34radix_sort_onesweep_global_offsetsIS3_Lb0EN6thrust23THRUST_200600_302600_NS6detail15normal_iteratorINS9_10device_ptrIjEEEEPS5_jNS0_19identity_decomposerEEE10hipError_tT1_T2_PT3_SK_jT4_jjP12ihipStream_tbEUlT_E0_NS1_11comp_targetILNS1_3genE6ELNS1_11target_archE950ELNS1_3gpuE13ELNS1_3repE0EEENS1_52radix_sort_onesweep_histogram_config_static_selectorELNS0_4arch9wavefront6targetE1EEEvSI_.kd
    .uniform_work_group_size: 1
    .uses_dynamic_stack: false
    .vgpr_count:     0
    .vgpr_spill_count: 0
    .wavefront_size: 64
  - .agpr_count:     0
    .args:
      - .address_space:  global
        .offset:         0
        .size:           8
        .value_kind:     global_buffer
    .group_segment_fixed_size: 64
    .kernarg_segment_align: 8
    .kernarg_segment_size: 8
    .language:       OpenCL C
    .language_version:
      - 2
      - 0
    .max_flat_workgroup_size: 1024
    .name:           _ZN7rocprim17ROCPRIM_400000_NS6detail17trampoline_kernelINS0_14default_configENS1_35radix_sort_onesweep_config_selectorIjNS0_10empty_typeEEEZNS1_34radix_sort_onesweep_global_offsetsIS3_Lb0EN6thrust23THRUST_200600_302600_NS6detail15normal_iteratorINS9_10device_ptrIjEEEEPS5_jNS0_19identity_decomposerEEE10hipError_tT1_T2_PT3_SK_jT4_jjP12ihipStream_tbEUlT_E0_NS1_11comp_targetILNS1_3genE5ELNS1_11target_archE942ELNS1_3gpuE9ELNS1_3repE0EEENS1_52radix_sort_onesweep_histogram_config_static_selectorELNS0_4arch9wavefront6targetE1EEEvSI_
    .private_segment_fixed_size: 0
    .sgpr_count:     20
    .sgpr_spill_count: 0
    .symbol:         _ZN7rocprim17ROCPRIM_400000_NS6detail17trampoline_kernelINS0_14default_configENS1_35radix_sort_onesweep_config_selectorIjNS0_10empty_typeEEEZNS1_34radix_sort_onesweep_global_offsetsIS3_Lb0EN6thrust23THRUST_200600_302600_NS6detail15normal_iteratorINS9_10device_ptrIjEEEEPS5_jNS0_19identity_decomposerEEE10hipError_tT1_T2_PT3_SK_jT4_jjP12ihipStream_tbEUlT_E0_NS1_11comp_targetILNS1_3genE5ELNS1_11target_archE942ELNS1_3gpuE9ELNS1_3repE0EEENS1_52radix_sort_onesweep_histogram_config_static_selectorELNS0_4arch9wavefront6targetE1EEEvSI_.kd
    .uniform_work_group_size: 1
    .uses_dynamic_stack: false
    .vgpr_count:     7
    .vgpr_spill_count: 0
    .wavefront_size: 64
  - .agpr_count:     0
    .args:
      - .address_space:  global
        .offset:         0
        .size:           8
        .value_kind:     global_buffer
    .group_segment_fixed_size: 0
    .kernarg_segment_align: 8
    .kernarg_segment_size: 8
    .language:       OpenCL C
    .language_version:
      - 2
      - 0
    .max_flat_workgroup_size: 1024
    .name:           _ZN7rocprim17ROCPRIM_400000_NS6detail17trampoline_kernelINS0_14default_configENS1_35radix_sort_onesweep_config_selectorIjNS0_10empty_typeEEEZNS1_34radix_sort_onesweep_global_offsetsIS3_Lb0EN6thrust23THRUST_200600_302600_NS6detail15normal_iteratorINS9_10device_ptrIjEEEEPS5_jNS0_19identity_decomposerEEE10hipError_tT1_T2_PT3_SK_jT4_jjP12ihipStream_tbEUlT_E0_NS1_11comp_targetILNS1_3genE2ELNS1_11target_archE906ELNS1_3gpuE6ELNS1_3repE0EEENS1_52radix_sort_onesweep_histogram_config_static_selectorELNS0_4arch9wavefront6targetE1EEEvSI_
    .private_segment_fixed_size: 0
    .sgpr_count:     6
    .sgpr_spill_count: 0
    .symbol:         _ZN7rocprim17ROCPRIM_400000_NS6detail17trampoline_kernelINS0_14default_configENS1_35radix_sort_onesweep_config_selectorIjNS0_10empty_typeEEEZNS1_34radix_sort_onesweep_global_offsetsIS3_Lb0EN6thrust23THRUST_200600_302600_NS6detail15normal_iteratorINS9_10device_ptrIjEEEEPS5_jNS0_19identity_decomposerEEE10hipError_tT1_T2_PT3_SK_jT4_jjP12ihipStream_tbEUlT_E0_NS1_11comp_targetILNS1_3genE2ELNS1_11target_archE906ELNS1_3gpuE6ELNS1_3repE0EEENS1_52radix_sort_onesweep_histogram_config_static_selectorELNS0_4arch9wavefront6targetE1EEEvSI_.kd
    .uniform_work_group_size: 1
    .uses_dynamic_stack: false
    .vgpr_count:     0
    .vgpr_spill_count: 0
    .wavefront_size: 64
  - .agpr_count:     0
    .args:
      - .address_space:  global
        .offset:         0
        .size:           8
        .value_kind:     global_buffer
    .group_segment_fixed_size: 0
    .kernarg_segment_align: 8
    .kernarg_segment_size: 8
    .language:       OpenCL C
    .language_version:
      - 2
      - 0
    .max_flat_workgroup_size: 1024
    .name:           _ZN7rocprim17ROCPRIM_400000_NS6detail17trampoline_kernelINS0_14default_configENS1_35radix_sort_onesweep_config_selectorIjNS0_10empty_typeEEEZNS1_34radix_sort_onesweep_global_offsetsIS3_Lb0EN6thrust23THRUST_200600_302600_NS6detail15normal_iteratorINS9_10device_ptrIjEEEEPS5_jNS0_19identity_decomposerEEE10hipError_tT1_T2_PT3_SK_jT4_jjP12ihipStream_tbEUlT_E0_NS1_11comp_targetILNS1_3genE4ELNS1_11target_archE910ELNS1_3gpuE8ELNS1_3repE0EEENS1_52radix_sort_onesweep_histogram_config_static_selectorELNS0_4arch9wavefront6targetE1EEEvSI_
    .private_segment_fixed_size: 0
    .sgpr_count:     6
    .sgpr_spill_count: 0
    .symbol:         _ZN7rocprim17ROCPRIM_400000_NS6detail17trampoline_kernelINS0_14default_configENS1_35radix_sort_onesweep_config_selectorIjNS0_10empty_typeEEEZNS1_34radix_sort_onesweep_global_offsetsIS3_Lb0EN6thrust23THRUST_200600_302600_NS6detail15normal_iteratorINS9_10device_ptrIjEEEEPS5_jNS0_19identity_decomposerEEE10hipError_tT1_T2_PT3_SK_jT4_jjP12ihipStream_tbEUlT_E0_NS1_11comp_targetILNS1_3genE4ELNS1_11target_archE910ELNS1_3gpuE8ELNS1_3repE0EEENS1_52radix_sort_onesweep_histogram_config_static_selectorELNS0_4arch9wavefront6targetE1EEEvSI_.kd
    .uniform_work_group_size: 1
    .uses_dynamic_stack: false
    .vgpr_count:     0
    .vgpr_spill_count: 0
    .wavefront_size: 64
  - .agpr_count:     0
    .args:
      - .address_space:  global
        .offset:         0
        .size:           8
        .value_kind:     global_buffer
    .group_segment_fixed_size: 0
    .kernarg_segment_align: 8
    .kernarg_segment_size: 8
    .language:       OpenCL C
    .language_version:
      - 2
      - 0
    .max_flat_workgroup_size: 512
    .name:           _ZN7rocprim17ROCPRIM_400000_NS6detail17trampoline_kernelINS0_14default_configENS1_35radix_sort_onesweep_config_selectorIjNS0_10empty_typeEEEZNS1_34radix_sort_onesweep_global_offsetsIS3_Lb0EN6thrust23THRUST_200600_302600_NS6detail15normal_iteratorINS9_10device_ptrIjEEEEPS5_jNS0_19identity_decomposerEEE10hipError_tT1_T2_PT3_SK_jT4_jjP12ihipStream_tbEUlT_E0_NS1_11comp_targetILNS1_3genE3ELNS1_11target_archE908ELNS1_3gpuE7ELNS1_3repE0EEENS1_52radix_sort_onesweep_histogram_config_static_selectorELNS0_4arch9wavefront6targetE1EEEvSI_
    .private_segment_fixed_size: 0
    .sgpr_count:     6
    .sgpr_spill_count: 0
    .symbol:         _ZN7rocprim17ROCPRIM_400000_NS6detail17trampoline_kernelINS0_14default_configENS1_35radix_sort_onesweep_config_selectorIjNS0_10empty_typeEEEZNS1_34radix_sort_onesweep_global_offsetsIS3_Lb0EN6thrust23THRUST_200600_302600_NS6detail15normal_iteratorINS9_10device_ptrIjEEEEPS5_jNS0_19identity_decomposerEEE10hipError_tT1_T2_PT3_SK_jT4_jjP12ihipStream_tbEUlT_E0_NS1_11comp_targetILNS1_3genE3ELNS1_11target_archE908ELNS1_3gpuE7ELNS1_3repE0EEENS1_52radix_sort_onesweep_histogram_config_static_selectorELNS0_4arch9wavefront6targetE1EEEvSI_.kd
    .uniform_work_group_size: 1
    .uses_dynamic_stack: false
    .vgpr_count:     0
    .vgpr_spill_count: 0
    .wavefront_size: 64
  - .agpr_count:     0
    .args:
      - .address_space:  global
        .offset:         0
        .size:           8
        .value_kind:     global_buffer
    .group_segment_fixed_size: 0
    .kernarg_segment_align: 8
    .kernarg_segment_size: 8
    .language:       OpenCL C
    .language_version:
      - 2
      - 0
    .max_flat_workgroup_size: 1024
    .name:           _ZN7rocprim17ROCPRIM_400000_NS6detail17trampoline_kernelINS0_14default_configENS1_35radix_sort_onesweep_config_selectorIjNS0_10empty_typeEEEZNS1_34radix_sort_onesweep_global_offsetsIS3_Lb0EN6thrust23THRUST_200600_302600_NS6detail15normal_iteratorINS9_10device_ptrIjEEEEPS5_jNS0_19identity_decomposerEEE10hipError_tT1_T2_PT3_SK_jT4_jjP12ihipStream_tbEUlT_E0_NS1_11comp_targetILNS1_3genE10ELNS1_11target_archE1201ELNS1_3gpuE5ELNS1_3repE0EEENS1_52radix_sort_onesweep_histogram_config_static_selectorELNS0_4arch9wavefront6targetE1EEEvSI_
    .private_segment_fixed_size: 0
    .sgpr_count:     6
    .sgpr_spill_count: 0
    .symbol:         _ZN7rocprim17ROCPRIM_400000_NS6detail17trampoline_kernelINS0_14default_configENS1_35radix_sort_onesweep_config_selectorIjNS0_10empty_typeEEEZNS1_34radix_sort_onesweep_global_offsetsIS3_Lb0EN6thrust23THRUST_200600_302600_NS6detail15normal_iteratorINS9_10device_ptrIjEEEEPS5_jNS0_19identity_decomposerEEE10hipError_tT1_T2_PT3_SK_jT4_jjP12ihipStream_tbEUlT_E0_NS1_11comp_targetILNS1_3genE10ELNS1_11target_archE1201ELNS1_3gpuE5ELNS1_3repE0EEENS1_52radix_sort_onesweep_histogram_config_static_selectorELNS0_4arch9wavefront6targetE1EEEvSI_.kd
    .uniform_work_group_size: 1
    .uses_dynamic_stack: false
    .vgpr_count:     0
    .vgpr_spill_count: 0
    .wavefront_size: 64
  - .agpr_count:     0
    .args:
      - .address_space:  global
        .offset:         0
        .size:           8
        .value_kind:     global_buffer
    .group_segment_fixed_size: 0
    .kernarg_segment_align: 8
    .kernarg_segment_size: 8
    .language:       OpenCL C
    .language_version:
      - 2
      - 0
    .max_flat_workgroup_size: 1024
    .name:           _ZN7rocprim17ROCPRIM_400000_NS6detail17trampoline_kernelINS0_14default_configENS1_35radix_sort_onesweep_config_selectorIjNS0_10empty_typeEEEZNS1_34radix_sort_onesweep_global_offsetsIS3_Lb0EN6thrust23THRUST_200600_302600_NS6detail15normal_iteratorINS9_10device_ptrIjEEEEPS5_jNS0_19identity_decomposerEEE10hipError_tT1_T2_PT3_SK_jT4_jjP12ihipStream_tbEUlT_E0_NS1_11comp_targetILNS1_3genE9ELNS1_11target_archE1100ELNS1_3gpuE3ELNS1_3repE0EEENS1_52radix_sort_onesweep_histogram_config_static_selectorELNS0_4arch9wavefront6targetE1EEEvSI_
    .private_segment_fixed_size: 0
    .sgpr_count:     6
    .sgpr_spill_count: 0
    .symbol:         _ZN7rocprim17ROCPRIM_400000_NS6detail17trampoline_kernelINS0_14default_configENS1_35radix_sort_onesweep_config_selectorIjNS0_10empty_typeEEEZNS1_34radix_sort_onesweep_global_offsetsIS3_Lb0EN6thrust23THRUST_200600_302600_NS6detail15normal_iteratorINS9_10device_ptrIjEEEEPS5_jNS0_19identity_decomposerEEE10hipError_tT1_T2_PT3_SK_jT4_jjP12ihipStream_tbEUlT_E0_NS1_11comp_targetILNS1_3genE9ELNS1_11target_archE1100ELNS1_3gpuE3ELNS1_3repE0EEENS1_52radix_sort_onesweep_histogram_config_static_selectorELNS0_4arch9wavefront6targetE1EEEvSI_.kd
    .uniform_work_group_size: 1
    .uses_dynamic_stack: false
    .vgpr_count:     0
    .vgpr_spill_count: 0
    .wavefront_size: 64
  - .agpr_count:     0
    .args:
      - .address_space:  global
        .offset:         0
        .size:           8
        .value_kind:     global_buffer
    .group_segment_fixed_size: 0
    .kernarg_segment_align: 8
    .kernarg_segment_size: 8
    .language:       OpenCL C
    .language_version:
      - 2
      - 0
    .max_flat_workgroup_size: 1024
    .name:           _ZN7rocprim17ROCPRIM_400000_NS6detail17trampoline_kernelINS0_14default_configENS1_35radix_sort_onesweep_config_selectorIjNS0_10empty_typeEEEZNS1_34radix_sort_onesweep_global_offsetsIS3_Lb0EN6thrust23THRUST_200600_302600_NS6detail15normal_iteratorINS9_10device_ptrIjEEEEPS5_jNS0_19identity_decomposerEEE10hipError_tT1_T2_PT3_SK_jT4_jjP12ihipStream_tbEUlT_E0_NS1_11comp_targetILNS1_3genE8ELNS1_11target_archE1030ELNS1_3gpuE2ELNS1_3repE0EEENS1_52radix_sort_onesweep_histogram_config_static_selectorELNS0_4arch9wavefront6targetE1EEEvSI_
    .private_segment_fixed_size: 0
    .sgpr_count:     6
    .sgpr_spill_count: 0
    .symbol:         _ZN7rocprim17ROCPRIM_400000_NS6detail17trampoline_kernelINS0_14default_configENS1_35radix_sort_onesweep_config_selectorIjNS0_10empty_typeEEEZNS1_34radix_sort_onesweep_global_offsetsIS3_Lb0EN6thrust23THRUST_200600_302600_NS6detail15normal_iteratorINS9_10device_ptrIjEEEEPS5_jNS0_19identity_decomposerEEE10hipError_tT1_T2_PT3_SK_jT4_jjP12ihipStream_tbEUlT_E0_NS1_11comp_targetILNS1_3genE8ELNS1_11target_archE1030ELNS1_3gpuE2ELNS1_3repE0EEENS1_52radix_sort_onesweep_histogram_config_static_selectorELNS0_4arch9wavefront6targetE1EEEvSI_.kd
    .uniform_work_group_size: 1
    .uses_dynamic_stack: false
    .vgpr_count:     0
    .vgpr_spill_count: 0
    .wavefront_size: 64
  - .agpr_count:     0
    .args:
      - .offset:         0
        .size:           40
        .value_kind:     by_value
    .group_segment_fixed_size: 0
    .kernarg_segment_align: 8
    .kernarg_segment_size: 40
    .language:       OpenCL C
    .language_version:
      - 2
      - 0
    .max_flat_workgroup_size: 128
    .name:           _ZN7rocprim17ROCPRIM_400000_NS6detail17trampoline_kernelINS0_14default_configENS1_25transform_config_selectorIjLb0EEEZNS1_14transform_implILb0ES3_S5_N6thrust23THRUST_200600_302600_NS6detail15normal_iteratorINS8_10device_ptrIjEEEEPjNS0_8identityIjEEEE10hipError_tT2_T3_mT4_P12ihipStream_tbEUlT_E_NS1_11comp_targetILNS1_3genE0ELNS1_11target_archE4294967295ELNS1_3gpuE0ELNS1_3repE0EEENS1_30default_config_static_selectorELNS0_4arch9wavefront6targetE1EEEvT1_
    .private_segment_fixed_size: 0
    .sgpr_count:     6
    .sgpr_spill_count: 0
    .symbol:         _ZN7rocprim17ROCPRIM_400000_NS6detail17trampoline_kernelINS0_14default_configENS1_25transform_config_selectorIjLb0EEEZNS1_14transform_implILb0ES3_S5_N6thrust23THRUST_200600_302600_NS6detail15normal_iteratorINS8_10device_ptrIjEEEEPjNS0_8identityIjEEEE10hipError_tT2_T3_mT4_P12ihipStream_tbEUlT_E_NS1_11comp_targetILNS1_3genE0ELNS1_11target_archE4294967295ELNS1_3gpuE0ELNS1_3repE0EEENS1_30default_config_static_selectorELNS0_4arch9wavefront6targetE1EEEvT1_.kd
    .uniform_work_group_size: 1
    .uses_dynamic_stack: false
    .vgpr_count:     0
    .vgpr_spill_count: 0
    .wavefront_size: 64
  - .agpr_count:     0
    .args:
      - .offset:         0
        .size:           40
        .value_kind:     by_value
      - .offset:         40
        .size:           4
        .value_kind:     hidden_block_count_x
      - .offset:         44
        .size:           4
        .value_kind:     hidden_block_count_y
      - .offset:         48
        .size:           4
        .value_kind:     hidden_block_count_z
      - .offset:         52
        .size:           2
        .value_kind:     hidden_group_size_x
      - .offset:         54
        .size:           2
        .value_kind:     hidden_group_size_y
      - .offset:         56
        .size:           2
        .value_kind:     hidden_group_size_z
      - .offset:         58
        .size:           2
        .value_kind:     hidden_remainder_x
      - .offset:         60
        .size:           2
        .value_kind:     hidden_remainder_y
      - .offset:         62
        .size:           2
        .value_kind:     hidden_remainder_z
      - .offset:         80
        .size:           8
        .value_kind:     hidden_global_offset_x
      - .offset:         88
        .size:           8
        .value_kind:     hidden_global_offset_y
      - .offset:         96
        .size:           8
        .value_kind:     hidden_global_offset_z
      - .offset:         104
        .size:           2
        .value_kind:     hidden_grid_dims
    .group_segment_fixed_size: 0
    .kernarg_segment_align: 8
    .kernarg_segment_size: 296
    .language:       OpenCL C
    .language_version:
      - 2
      - 0
    .max_flat_workgroup_size: 512
    .name:           _ZN7rocprim17ROCPRIM_400000_NS6detail17trampoline_kernelINS0_14default_configENS1_25transform_config_selectorIjLb0EEEZNS1_14transform_implILb0ES3_S5_N6thrust23THRUST_200600_302600_NS6detail15normal_iteratorINS8_10device_ptrIjEEEEPjNS0_8identityIjEEEE10hipError_tT2_T3_mT4_P12ihipStream_tbEUlT_E_NS1_11comp_targetILNS1_3genE5ELNS1_11target_archE942ELNS1_3gpuE9ELNS1_3repE0EEENS1_30default_config_static_selectorELNS0_4arch9wavefront6targetE1EEEvT1_
    .private_segment_fixed_size: 0
    .sgpr_count:     22
    .sgpr_spill_count: 0
    .symbol:         _ZN7rocprim17ROCPRIM_400000_NS6detail17trampoline_kernelINS0_14default_configENS1_25transform_config_selectorIjLb0EEEZNS1_14transform_implILb0ES3_S5_N6thrust23THRUST_200600_302600_NS6detail15normal_iteratorINS8_10device_ptrIjEEEEPjNS0_8identityIjEEEE10hipError_tT2_T3_mT4_P12ihipStream_tbEUlT_E_NS1_11comp_targetILNS1_3genE5ELNS1_11target_archE942ELNS1_3gpuE9ELNS1_3repE0EEENS1_30default_config_static_selectorELNS0_4arch9wavefront6targetE1EEEvT1_.kd
    .uniform_work_group_size: 1
    .uses_dynamic_stack: false
    .vgpr_count:     13
    .vgpr_spill_count: 0
    .wavefront_size: 64
  - .agpr_count:     0
    .args:
      - .offset:         0
        .size:           40
        .value_kind:     by_value
    .group_segment_fixed_size: 0
    .kernarg_segment_align: 8
    .kernarg_segment_size: 40
    .language:       OpenCL C
    .language_version:
      - 2
      - 0
    .max_flat_workgroup_size: 1024
    .name:           _ZN7rocprim17ROCPRIM_400000_NS6detail17trampoline_kernelINS0_14default_configENS1_25transform_config_selectorIjLb0EEEZNS1_14transform_implILb0ES3_S5_N6thrust23THRUST_200600_302600_NS6detail15normal_iteratorINS8_10device_ptrIjEEEEPjNS0_8identityIjEEEE10hipError_tT2_T3_mT4_P12ihipStream_tbEUlT_E_NS1_11comp_targetILNS1_3genE4ELNS1_11target_archE910ELNS1_3gpuE8ELNS1_3repE0EEENS1_30default_config_static_selectorELNS0_4arch9wavefront6targetE1EEEvT1_
    .private_segment_fixed_size: 0
    .sgpr_count:     6
    .sgpr_spill_count: 0
    .symbol:         _ZN7rocprim17ROCPRIM_400000_NS6detail17trampoline_kernelINS0_14default_configENS1_25transform_config_selectorIjLb0EEEZNS1_14transform_implILb0ES3_S5_N6thrust23THRUST_200600_302600_NS6detail15normal_iteratorINS8_10device_ptrIjEEEEPjNS0_8identityIjEEEE10hipError_tT2_T3_mT4_P12ihipStream_tbEUlT_E_NS1_11comp_targetILNS1_3genE4ELNS1_11target_archE910ELNS1_3gpuE8ELNS1_3repE0EEENS1_30default_config_static_selectorELNS0_4arch9wavefront6targetE1EEEvT1_.kd
    .uniform_work_group_size: 1
    .uses_dynamic_stack: false
    .vgpr_count:     0
    .vgpr_spill_count: 0
    .wavefront_size: 64
  - .agpr_count:     0
    .args:
      - .offset:         0
        .size:           40
        .value_kind:     by_value
    .group_segment_fixed_size: 0
    .kernarg_segment_align: 8
    .kernarg_segment_size: 40
    .language:       OpenCL C
    .language_version:
      - 2
      - 0
    .max_flat_workgroup_size: 128
    .name:           _ZN7rocprim17ROCPRIM_400000_NS6detail17trampoline_kernelINS0_14default_configENS1_25transform_config_selectorIjLb0EEEZNS1_14transform_implILb0ES3_S5_N6thrust23THRUST_200600_302600_NS6detail15normal_iteratorINS8_10device_ptrIjEEEEPjNS0_8identityIjEEEE10hipError_tT2_T3_mT4_P12ihipStream_tbEUlT_E_NS1_11comp_targetILNS1_3genE3ELNS1_11target_archE908ELNS1_3gpuE7ELNS1_3repE0EEENS1_30default_config_static_selectorELNS0_4arch9wavefront6targetE1EEEvT1_
    .private_segment_fixed_size: 0
    .sgpr_count:     6
    .sgpr_spill_count: 0
    .symbol:         _ZN7rocprim17ROCPRIM_400000_NS6detail17trampoline_kernelINS0_14default_configENS1_25transform_config_selectorIjLb0EEEZNS1_14transform_implILb0ES3_S5_N6thrust23THRUST_200600_302600_NS6detail15normal_iteratorINS8_10device_ptrIjEEEEPjNS0_8identityIjEEEE10hipError_tT2_T3_mT4_P12ihipStream_tbEUlT_E_NS1_11comp_targetILNS1_3genE3ELNS1_11target_archE908ELNS1_3gpuE7ELNS1_3repE0EEENS1_30default_config_static_selectorELNS0_4arch9wavefront6targetE1EEEvT1_.kd
    .uniform_work_group_size: 1
    .uses_dynamic_stack: false
    .vgpr_count:     0
    .vgpr_spill_count: 0
    .wavefront_size: 64
  - .agpr_count:     0
    .args:
      - .offset:         0
        .size:           40
        .value_kind:     by_value
    .group_segment_fixed_size: 0
    .kernarg_segment_align: 8
    .kernarg_segment_size: 40
    .language:       OpenCL C
    .language_version:
      - 2
      - 0
    .max_flat_workgroup_size: 1024
    .name:           _ZN7rocprim17ROCPRIM_400000_NS6detail17trampoline_kernelINS0_14default_configENS1_25transform_config_selectorIjLb0EEEZNS1_14transform_implILb0ES3_S5_N6thrust23THRUST_200600_302600_NS6detail15normal_iteratorINS8_10device_ptrIjEEEEPjNS0_8identityIjEEEE10hipError_tT2_T3_mT4_P12ihipStream_tbEUlT_E_NS1_11comp_targetILNS1_3genE2ELNS1_11target_archE906ELNS1_3gpuE6ELNS1_3repE0EEENS1_30default_config_static_selectorELNS0_4arch9wavefront6targetE1EEEvT1_
    .private_segment_fixed_size: 0
    .sgpr_count:     6
    .sgpr_spill_count: 0
    .symbol:         _ZN7rocprim17ROCPRIM_400000_NS6detail17trampoline_kernelINS0_14default_configENS1_25transform_config_selectorIjLb0EEEZNS1_14transform_implILb0ES3_S5_N6thrust23THRUST_200600_302600_NS6detail15normal_iteratorINS8_10device_ptrIjEEEEPjNS0_8identityIjEEEE10hipError_tT2_T3_mT4_P12ihipStream_tbEUlT_E_NS1_11comp_targetILNS1_3genE2ELNS1_11target_archE906ELNS1_3gpuE6ELNS1_3repE0EEENS1_30default_config_static_selectorELNS0_4arch9wavefront6targetE1EEEvT1_.kd
    .uniform_work_group_size: 1
    .uses_dynamic_stack: false
    .vgpr_count:     0
    .vgpr_spill_count: 0
    .wavefront_size: 64
  - .agpr_count:     0
    .args:
      - .offset:         0
        .size:           40
        .value_kind:     by_value
    .group_segment_fixed_size: 0
    .kernarg_segment_align: 8
    .kernarg_segment_size: 40
    .language:       OpenCL C
    .language_version:
      - 2
      - 0
    .max_flat_workgroup_size: 1024
    .name:           _ZN7rocprim17ROCPRIM_400000_NS6detail17trampoline_kernelINS0_14default_configENS1_25transform_config_selectorIjLb0EEEZNS1_14transform_implILb0ES3_S5_N6thrust23THRUST_200600_302600_NS6detail15normal_iteratorINS8_10device_ptrIjEEEEPjNS0_8identityIjEEEE10hipError_tT2_T3_mT4_P12ihipStream_tbEUlT_E_NS1_11comp_targetILNS1_3genE10ELNS1_11target_archE1201ELNS1_3gpuE5ELNS1_3repE0EEENS1_30default_config_static_selectorELNS0_4arch9wavefront6targetE1EEEvT1_
    .private_segment_fixed_size: 0
    .sgpr_count:     6
    .sgpr_spill_count: 0
    .symbol:         _ZN7rocprim17ROCPRIM_400000_NS6detail17trampoline_kernelINS0_14default_configENS1_25transform_config_selectorIjLb0EEEZNS1_14transform_implILb0ES3_S5_N6thrust23THRUST_200600_302600_NS6detail15normal_iteratorINS8_10device_ptrIjEEEEPjNS0_8identityIjEEEE10hipError_tT2_T3_mT4_P12ihipStream_tbEUlT_E_NS1_11comp_targetILNS1_3genE10ELNS1_11target_archE1201ELNS1_3gpuE5ELNS1_3repE0EEENS1_30default_config_static_selectorELNS0_4arch9wavefront6targetE1EEEvT1_.kd
    .uniform_work_group_size: 1
    .uses_dynamic_stack: false
    .vgpr_count:     0
    .vgpr_spill_count: 0
    .wavefront_size: 64
  - .agpr_count:     0
    .args:
      - .offset:         0
        .size:           40
        .value_kind:     by_value
    .group_segment_fixed_size: 0
    .kernarg_segment_align: 8
    .kernarg_segment_size: 40
    .language:       OpenCL C
    .language_version:
      - 2
      - 0
    .max_flat_workgroup_size: 512
    .name:           _ZN7rocprim17ROCPRIM_400000_NS6detail17trampoline_kernelINS0_14default_configENS1_25transform_config_selectorIjLb0EEEZNS1_14transform_implILb0ES3_S5_N6thrust23THRUST_200600_302600_NS6detail15normal_iteratorINS8_10device_ptrIjEEEEPjNS0_8identityIjEEEE10hipError_tT2_T3_mT4_P12ihipStream_tbEUlT_E_NS1_11comp_targetILNS1_3genE10ELNS1_11target_archE1200ELNS1_3gpuE4ELNS1_3repE0EEENS1_30default_config_static_selectorELNS0_4arch9wavefront6targetE1EEEvT1_
    .private_segment_fixed_size: 0
    .sgpr_count:     6
    .sgpr_spill_count: 0
    .symbol:         _ZN7rocprim17ROCPRIM_400000_NS6detail17trampoline_kernelINS0_14default_configENS1_25transform_config_selectorIjLb0EEEZNS1_14transform_implILb0ES3_S5_N6thrust23THRUST_200600_302600_NS6detail15normal_iteratorINS8_10device_ptrIjEEEEPjNS0_8identityIjEEEE10hipError_tT2_T3_mT4_P12ihipStream_tbEUlT_E_NS1_11comp_targetILNS1_3genE10ELNS1_11target_archE1200ELNS1_3gpuE4ELNS1_3repE0EEENS1_30default_config_static_selectorELNS0_4arch9wavefront6targetE1EEEvT1_.kd
    .uniform_work_group_size: 1
    .uses_dynamic_stack: false
    .vgpr_count:     0
    .vgpr_spill_count: 0
    .wavefront_size: 64
  - .agpr_count:     0
    .args:
      - .offset:         0
        .size:           40
        .value_kind:     by_value
    .group_segment_fixed_size: 0
    .kernarg_segment_align: 8
    .kernarg_segment_size: 40
    .language:       OpenCL C
    .language_version:
      - 2
      - 0
    .max_flat_workgroup_size: 64
    .name:           _ZN7rocprim17ROCPRIM_400000_NS6detail17trampoline_kernelINS0_14default_configENS1_25transform_config_selectorIjLb0EEEZNS1_14transform_implILb0ES3_S5_N6thrust23THRUST_200600_302600_NS6detail15normal_iteratorINS8_10device_ptrIjEEEEPjNS0_8identityIjEEEE10hipError_tT2_T3_mT4_P12ihipStream_tbEUlT_E_NS1_11comp_targetILNS1_3genE9ELNS1_11target_archE1100ELNS1_3gpuE3ELNS1_3repE0EEENS1_30default_config_static_selectorELNS0_4arch9wavefront6targetE1EEEvT1_
    .private_segment_fixed_size: 0
    .sgpr_count:     6
    .sgpr_spill_count: 0
    .symbol:         _ZN7rocprim17ROCPRIM_400000_NS6detail17trampoline_kernelINS0_14default_configENS1_25transform_config_selectorIjLb0EEEZNS1_14transform_implILb0ES3_S5_N6thrust23THRUST_200600_302600_NS6detail15normal_iteratorINS8_10device_ptrIjEEEEPjNS0_8identityIjEEEE10hipError_tT2_T3_mT4_P12ihipStream_tbEUlT_E_NS1_11comp_targetILNS1_3genE9ELNS1_11target_archE1100ELNS1_3gpuE3ELNS1_3repE0EEENS1_30default_config_static_selectorELNS0_4arch9wavefront6targetE1EEEvT1_.kd
    .uniform_work_group_size: 1
    .uses_dynamic_stack: false
    .vgpr_count:     0
    .vgpr_spill_count: 0
    .wavefront_size: 64
  - .agpr_count:     0
    .args:
      - .offset:         0
        .size:           40
        .value_kind:     by_value
    .group_segment_fixed_size: 0
    .kernarg_segment_align: 8
    .kernarg_segment_size: 40
    .language:       OpenCL C
    .language_version:
      - 2
      - 0
    .max_flat_workgroup_size: 256
    .name:           _ZN7rocprim17ROCPRIM_400000_NS6detail17trampoline_kernelINS0_14default_configENS1_25transform_config_selectorIjLb0EEEZNS1_14transform_implILb0ES3_S5_N6thrust23THRUST_200600_302600_NS6detail15normal_iteratorINS8_10device_ptrIjEEEEPjNS0_8identityIjEEEE10hipError_tT2_T3_mT4_P12ihipStream_tbEUlT_E_NS1_11comp_targetILNS1_3genE8ELNS1_11target_archE1030ELNS1_3gpuE2ELNS1_3repE0EEENS1_30default_config_static_selectorELNS0_4arch9wavefront6targetE1EEEvT1_
    .private_segment_fixed_size: 0
    .sgpr_count:     6
    .sgpr_spill_count: 0
    .symbol:         _ZN7rocprim17ROCPRIM_400000_NS6detail17trampoline_kernelINS0_14default_configENS1_25transform_config_selectorIjLb0EEEZNS1_14transform_implILb0ES3_S5_N6thrust23THRUST_200600_302600_NS6detail15normal_iteratorINS8_10device_ptrIjEEEEPjNS0_8identityIjEEEE10hipError_tT2_T3_mT4_P12ihipStream_tbEUlT_E_NS1_11comp_targetILNS1_3genE8ELNS1_11target_archE1030ELNS1_3gpuE2ELNS1_3repE0EEENS1_30default_config_static_selectorELNS0_4arch9wavefront6targetE1EEEvT1_.kd
    .uniform_work_group_size: 1
    .uses_dynamic_stack: false
    .vgpr_count:     0
    .vgpr_spill_count: 0
    .wavefront_size: 64
  - .agpr_count:     0
    .args:
      - .offset:         0
        .size:           88
        .value_kind:     by_value
    .group_segment_fixed_size: 0
    .kernarg_segment_align: 8
    .kernarg_segment_size: 88
    .language:       OpenCL C
    .language_version:
      - 2
      - 0
    .max_flat_workgroup_size: 512
    .name:           _ZN7rocprim17ROCPRIM_400000_NS6detail17trampoline_kernelINS0_14default_configENS1_35radix_sort_onesweep_config_selectorIjNS0_10empty_typeEEEZZNS1_29radix_sort_onesweep_iterationIS3_Lb0EN6thrust23THRUST_200600_302600_NS6detail15normal_iteratorINS9_10device_ptrIjEEEESE_PS5_SF_jNS0_19identity_decomposerENS1_16block_id_wrapperIjLb1EEEEE10hipError_tT1_PNSt15iterator_traitsISK_E10value_typeET2_T3_PNSL_ISQ_E10value_typeET4_T5_PSV_SW_PNS1_23onesweep_lookback_stateEbbT6_jjT7_P12ihipStream_tbENKUlT_T0_SK_SP_E_clISE_SE_SF_SF_EEDaS13_S14_SK_SP_EUlS13_E_NS1_11comp_targetILNS1_3genE0ELNS1_11target_archE4294967295ELNS1_3gpuE0ELNS1_3repE0EEENS1_47radix_sort_onesweep_sort_config_static_selectorELNS0_4arch9wavefront6targetE1EEEvSK_
    .private_segment_fixed_size: 0
    .sgpr_count:     6
    .sgpr_spill_count: 0
    .symbol:         _ZN7rocprim17ROCPRIM_400000_NS6detail17trampoline_kernelINS0_14default_configENS1_35radix_sort_onesweep_config_selectorIjNS0_10empty_typeEEEZZNS1_29radix_sort_onesweep_iterationIS3_Lb0EN6thrust23THRUST_200600_302600_NS6detail15normal_iteratorINS9_10device_ptrIjEEEESE_PS5_SF_jNS0_19identity_decomposerENS1_16block_id_wrapperIjLb1EEEEE10hipError_tT1_PNSt15iterator_traitsISK_E10value_typeET2_T3_PNSL_ISQ_E10value_typeET4_T5_PSV_SW_PNS1_23onesweep_lookback_stateEbbT6_jjT7_P12ihipStream_tbENKUlT_T0_SK_SP_E_clISE_SE_SF_SF_EEDaS13_S14_SK_SP_EUlS13_E_NS1_11comp_targetILNS1_3genE0ELNS1_11target_archE4294967295ELNS1_3gpuE0ELNS1_3repE0EEENS1_47radix_sort_onesweep_sort_config_static_selectorELNS0_4arch9wavefront6targetE1EEEvSK_.kd
    .uniform_work_group_size: 1
    .uses_dynamic_stack: false
    .vgpr_count:     0
    .vgpr_spill_count: 0
    .wavefront_size: 64
  - .agpr_count:     0
    .args:
      - .offset:         0
        .size:           88
        .value_kind:     by_value
    .group_segment_fixed_size: 0
    .kernarg_segment_align: 8
    .kernarg_segment_size: 88
    .language:       OpenCL C
    .language_version:
      - 2
      - 0
    .max_flat_workgroup_size: 1024
    .name:           _ZN7rocprim17ROCPRIM_400000_NS6detail17trampoline_kernelINS0_14default_configENS1_35radix_sort_onesweep_config_selectorIjNS0_10empty_typeEEEZZNS1_29radix_sort_onesweep_iterationIS3_Lb0EN6thrust23THRUST_200600_302600_NS6detail15normal_iteratorINS9_10device_ptrIjEEEESE_PS5_SF_jNS0_19identity_decomposerENS1_16block_id_wrapperIjLb1EEEEE10hipError_tT1_PNSt15iterator_traitsISK_E10value_typeET2_T3_PNSL_ISQ_E10value_typeET4_T5_PSV_SW_PNS1_23onesweep_lookback_stateEbbT6_jjT7_P12ihipStream_tbENKUlT_T0_SK_SP_E_clISE_SE_SF_SF_EEDaS13_S14_SK_SP_EUlS13_E_NS1_11comp_targetILNS1_3genE6ELNS1_11target_archE950ELNS1_3gpuE13ELNS1_3repE0EEENS1_47radix_sort_onesweep_sort_config_static_selectorELNS0_4arch9wavefront6targetE1EEEvSK_
    .private_segment_fixed_size: 0
    .sgpr_count:     6
    .sgpr_spill_count: 0
    .symbol:         _ZN7rocprim17ROCPRIM_400000_NS6detail17trampoline_kernelINS0_14default_configENS1_35radix_sort_onesweep_config_selectorIjNS0_10empty_typeEEEZZNS1_29radix_sort_onesweep_iterationIS3_Lb0EN6thrust23THRUST_200600_302600_NS6detail15normal_iteratorINS9_10device_ptrIjEEEESE_PS5_SF_jNS0_19identity_decomposerENS1_16block_id_wrapperIjLb1EEEEE10hipError_tT1_PNSt15iterator_traitsISK_E10value_typeET2_T3_PNSL_ISQ_E10value_typeET4_T5_PSV_SW_PNS1_23onesweep_lookback_stateEbbT6_jjT7_P12ihipStream_tbENKUlT_T0_SK_SP_E_clISE_SE_SF_SF_EEDaS13_S14_SK_SP_EUlS13_E_NS1_11comp_targetILNS1_3genE6ELNS1_11target_archE950ELNS1_3gpuE13ELNS1_3repE0EEENS1_47radix_sort_onesweep_sort_config_static_selectorELNS0_4arch9wavefront6targetE1EEEvSK_.kd
    .uniform_work_group_size: 1
    .uses_dynamic_stack: false
    .vgpr_count:     0
    .vgpr_spill_count: 0
    .wavefront_size: 64
  - .agpr_count:     0
    .args:
      - .offset:         0
        .size:           88
        .value_kind:     by_value
      - .offset:         88
        .size:           4
        .value_kind:     hidden_block_count_x
      - .offset:         92
        .size:           4
        .value_kind:     hidden_block_count_y
      - .offset:         96
        .size:           4
        .value_kind:     hidden_block_count_z
      - .offset:         100
        .size:           2
        .value_kind:     hidden_group_size_x
      - .offset:         102
        .size:           2
        .value_kind:     hidden_group_size_y
      - .offset:         104
        .size:           2
        .value_kind:     hidden_group_size_z
      - .offset:         106
        .size:           2
        .value_kind:     hidden_remainder_x
      - .offset:         108
        .size:           2
        .value_kind:     hidden_remainder_y
      - .offset:         110
        .size:           2
        .value_kind:     hidden_remainder_z
      - .offset:         128
        .size:           8
        .value_kind:     hidden_global_offset_x
      - .offset:         136
        .size:           8
        .value_kind:     hidden_global_offset_y
      - .offset:         144
        .size:           8
        .value_kind:     hidden_global_offset_z
      - .offset:         152
        .size:           2
        .value_kind:     hidden_grid_dims
    .group_segment_fixed_size: 20552
    .kernarg_segment_align: 8
    .kernarg_segment_size: 344
    .language:       OpenCL C
    .language_version:
      - 2
      - 0
    .max_flat_workgroup_size: 1024
    .name:           _ZN7rocprim17ROCPRIM_400000_NS6detail17trampoline_kernelINS0_14default_configENS1_35radix_sort_onesweep_config_selectorIjNS0_10empty_typeEEEZZNS1_29radix_sort_onesweep_iterationIS3_Lb0EN6thrust23THRUST_200600_302600_NS6detail15normal_iteratorINS9_10device_ptrIjEEEESE_PS5_SF_jNS0_19identity_decomposerENS1_16block_id_wrapperIjLb1EEEEE10hipError_tT1_PNSt15iterator_traitsISK_E10value_typeET2_T3_PNSL_ISQ_E10value_typeET4_T5_PSV_SW_PNS1_23onesweep_lookback_stateEbbT6_jjT7_P12ihipStream_tbENKUlT_T0_SK_SP_E_clISE_SE_SF_SF_EEDaS13_S14_SK_SP_EUlS13_E_NS1_11comp_targetILNS1_3genE5ELNS1_11target_archE942ELNS1_3gpuE9ELNS1_3repE0EEENS1_47radix_sort_onesweep_sort_config_static_selectorELNS0_4arch9wavefront6targetE1EEEvSK_
    .private_segment_fixed_size: 0
    .sgpr_count:     40
    .sgpr_spill_count: 0
    .symbol:         _ZN7rocprim17ROCPRIM_400000_NS6detail17trampoline_kernelINS0_14default_configENS1_35radix_sort_onesweep_config_selectorIjNS0_10empty_typeEEEZZNS1_29radix_sort_onesweep_iterationIS3_Lb0EN6thrust23THRUST_200600_302600_NS6detail15normal_iteratorINS9_10device_ptrIjEEEESE_PS5_SF_jNS0_19identity_decomposerENS1_16block_id_wrapperIjLb1EEEEE10hipError_tT1_PNSt15iterator_traitsISK_E10value_typeET2_T3_PNSL_ISQ_E10value_typeET4_T5_PSV_SW_PNS1_23onesweep_lookback_stateEbbT6_jjT7_P12ihipStream_tbENKUlT_T0_SK_SP_E_clISE_SE_SF_SF_EEDaS13_S14_SK_SP_EUlS13_E_NS1_11comp_targetILNS1_3genE5ELNS1_11target_archE942ELNS1_3gpuE9ELNS1_3repE0EEENS1_47radix_sort_onesweep_sort_config_static_selectorELNS0_4arch9wavefront6targetE1EEEvSK_.kd
    .uniform_work_group_size: 1
    .uses_dynamic_stack: false
    .vgpr_count:     46
    .vgpr_spill_count: 0
    .wavefront_size: 64
  - .agpr_count:     0
    .args:
      - .offset:         0
        .size:           88
        .value_kind:     by_value
    .group_segment_fixed_size: 0
    .kernarg_segment_align: 8
    .kernarg_segment_size: 88
    .language:       OpenCL C
    .language_version:
      - 2
      - 0
    .max_flat_workgroup_size: 1024
    .name:           _ZN7rocprim17ROCPRIM_400000_NS6detail17trampoline_kernelINS0_14default_configENS1_35radix_sort_onesweep_config_selectorIjNS0_10empty_typeEEEZZNS1_29radix_sort_onesweep_iterationIS3_Lb0EN6thrust23THRUST_200600_302600_NS6detail15normal_iteratorINS9_10device_ptrIjEEEESE_PS5_SF_jNS0_19identity_decomposerENS1_16block_id_wrapperIjLb1EEEEE10hipError_tT1_PNSt15iterator_traitsISK_E10value_typeET2_T3_PNSL_ISQ_E10value_typeET4_T5_PSV_SW_PNS1_23onesweep_lookback_stateEbbT6_jjT7_P12ihipStream_tbENKUlT_T0_SK_SP_E_clISE_SE_SF_SF_EEDaS13_S14_SK_SP_EUlS13_E_NS1_11comp_targetILNS1_3genE2ELNS1_11target_archE906ELNS1_3gpuE6ELNS1_3repE0EEENS1_47radix_sort_onesweep_sort_config_static_selectorELNS0_4arch9wavefront6targetE1EEEvSK_
    .private_segment_fixed_size: 0
    .sgpr_count:     6
    .sgpr_spill_count: 0
    .symbol:         _ZN7rocprim17ROCPRIM_400000_NS6detail17trampoline_kernelINS0_14default_configENS1_35radix_sort_onesweep_config_selectorIjNS0_10empty_typeEEEZZNS1_29radix_sort_onesweep_iterationIS3_Lb0EN6thrust23THRUST_200600_302600_NS6detail15normal_iteratorINS9_10device_ptrIjEEEESE_PS5_SF_jNS0_19identity_decomposerENS1_16block_id_wrapperIjLb1EEEEE10hipError_tT1_PNSt15iterator_traitsISK_E10value_typeET2_T3_PNSL_ISQ_E10value_typeET4_T5_PSV_SW_PNS1_23onesweep_lookback_stateEbbT6_jjT7_P12ihipStream_tbENKUlT_T0_SK_SP_E_clISE_SE_SF_SF_EEDaS13_S14_SK_SP_EUlS13_E_NS1_11comp_targetILNS1_3genE2ELNS1_11target_archE906ELNS1_3gpuE6ELNS1_3repE0EEENS1_47radix_sort_onesweep_sort_config_static_selectorELNS0_4arch9wavefront6targetE1EEEvSK_.kd
    .uniform_work_group_size: 1
    .uses_dynamic_stack: false
    .vgpr_count:     0
    .vgpr_spill_count: 0
    .wavefront_size: 64
  - .agpr_count:     0
    .args:
      - .offset:         0
        .size:           88
        .value_kind:     by_value
    .group_segment_fixed_size: 0
    .kernarg_segment_align: 8
    .kernarg_segment_size: 88
    .language:       OpenCL C
    .language_version:
      - 2
      - 0
    .max_flat_workgroup_size: 1024
    .name:           _ZN7rocprim17ROCPRIM_400000_NS6detail17trampoline_kernelINS0_14default_configENS1_35radix_sort_onesweep_config_selectorIjNS0_10empty_typeEEEZZNS1_29radix_sort_onesweep_iterationIS3_Lb0EN6thrust23THRUST_200600_302600_NS6detail15normal_iteratorINS9_10device_ptrIjEEEESE_PS5_SF_jNS0_19identity_decomposerENS1_16block_id_wrapperIjLb1EEEEE10hipError_tT1_PNSt15iterator_traitsISK_E10value_typeET2_T3_PNSL_ISQ_E10value_typeET4_T5_PSV_SW_PNS1_23onesweep_lookback_stateEbbT6_jjT7_P12ihipStream_tbENKUlT_T0_SK_SP_E_clISE_SE_SF_SF_EEDaS13_S14_SK_SP_EUlS13_E_NS1_11comp_targetILNS1_3genE4ELNS1_11target_archE910ELNS1_3gpuE8ELNS1_3repE0EEENS1_47radix_sort_onesweep_sort_config_static_selectorELNS0_4arch9wavefront6targetE1EEEvSK_
    .private_segment_fixed_size: 0
    .sgpr_count:     6
    .sgpr_spill_count: 0
    .symbol:         _ZN7rocprim17ROCPRIM_400000_NS6detail17trampoline_kernelINS0_14default_configENS1_35radix_sort_onesweep_config_selectorIjNS0_10empty_typeEEEZZNS1_29radix_sort_onesweep_iterationIS3_Lb0EN6thrust23THRUST_200600_302600_NS6detail15normal_iteratorINS9_10device_ptrIjEEEESE_PS5_SF_jNS0_19identity_decomposerENS1_16block_id_wrapperIjLb1EEEEE10hipError_tT1_PNSt15iterator_traitsISK_E10value_typeET2_T3_PNSL_ISQ_E10value_typeET4_T5_PSV_SW_PNS1_23onesweep_lookback_stateEbbT6_jjT7_P12ihipStream_tbENKUlT_T0_SK_SP_E_clISE_SE_SF_SF_EEDaS13_S14_SK_SP_EUlS13_E_NS1_11comp_targetILNS1_3genE4ELNS1_11target_archE910ELNS1_3gpuE8ELNS1_3repE0EEENS1_47radix_sort_onesweep_sort_config_static_selectorELNS0_4arch9wavefront6targetE1EEEvSK_.kd
    .uniform_work_group_size: 1
    .uses_dynamic_stack: false
    .vgpr_count:     0
    .vgpr_spill_count: 0
    .wavefront_size: 64
  - .agpr_count:     0
    .args:
      - .offset:         0
        .size:           88
        .value_kind:     by_value
    .group_segment_fixed_size: 0
    .kernarg_segment_align: 8
    .kernarg_segment_size: 88
    .language:       OpenCL C
    .language_version:
      - 2
      - 0
    .max_flat_workgroup_size: 512
    .name:           _ZN7rocprim17ROCPRIM_400000_NS6detail17trampoline_kernelINS0_14default_configENS1_35radix_sort_onesweep_config_selectorIjNS0_10empty_typeEEEZZNS1_29radix_sort_onesweep_iterationIS3_Lb0EN6thrust23THRUST_200600_302600_NS6detail15normal_iteratorINS9_10device_ptrIjEEEESE_PS5_SF_jNS0_19identity_decomposerENS1_16block_id_wrapperIjLb1EEEEE10hipError_tT1_PNSt15iterator_traitsISK_E10value_typeET2_T3_PNSL_ISQ_E10value_typeET4_T5_PSV_SW_PNS1_23onesweep_lookback_stateEbbT6_jjT7_P12ihipStream_tbENKUlT_T0_SK_SP_E_clISE_SE_SF_SF_EEDaS13_S14_SK_SP_EUlS13_E_NS1_11comp_targetILNS1_3genE3ELNS1_11target_archE908ELNS1_3gpuE7ELNS1_3repE0EEENS1_47radix_sort_onesweep_sort_config_static_selectorELNS0_4arch9wavefront6targetE1EEEvSK_
    .private_segment_fixed_size: 0
    .sgpr_count:     6
    .sgpr_spill_count: 0
    .symbol:         _ZN7rocprim17ROCPRIM_400000_NS6detail17trampoline_kernelINS0_14default_configENS1_35radix_sort_onesweep_config_selectorIjNS0_10empty_typeEEEZZNS1_29radix_sort_onesweep_iterationIS3_Lb0EN6thrust23THRUST_200600_302600_NS6detail15normal_iteratorINS9_10device_ptrIjEEEESE_PS5_SF_jNS0_19identity_decomposerENS1_16block_id_wrapperIjLb1EEEEE10hipError_tT1_PNSt15iterator_traitsISK_E10value_typeET2_T3_PNSL_ISQ_E10value_typeET4_T5_PSV_SW_PNS1_23onesweep_lookback_stateEbbT6_jjT7_P12ihipStream_tbENKUlT_T0_SK_SP_E_clISE_SE_SF_SF_EEDaS13_S14_SK_SP_EUlS13_E_NS1_11comp_targetILNS1_3genE3ELNS1_11target_archE908ELNS1_3gpuE7ELNS1_3repE0EEENS1_47radix_sort_onesweep_sort_config_static_selectorELNS0_4arch9wavefront6targetE1EEEvSK_.kd
    .uniform_work_group_size: 1
    .uses_dynamic_stack: false
    .vgpr_count:     0
    .vgpr_spill_count: 0
    .wavefront_size: 64
  - .agpr_count:     0
    .args:
      - .offset:         0
        .size:           88
        .value_kind:     by_value
    .group_segment_fixed_size: 0
    .kernarg_segment_align: 8
    .kernarg_segment_size: 88
    .language:       OpenCL C
    .language_version:
      - 2
      - 0
    .max_flat_workgroup_size: 1024
    .name:           _ZN7rocprim17ROCPRIM_400000_NS6detail17trampoline_kernelINS0_14default_configENS1_35radix_sort_onesweep_config_selectorIjNS0_10empty_typeEEEZZNS1_29radix_sort_onesweep_iterationIS3_Lb0EN6thrust23THRUST_200600_302600_NS6detail15normal_iteratorINS9_10device_ptrIjEEEESE_PS5_SF_jNS0_19identity_decomposerENS1_16block_id_wrapperIjLb1EEEEE10hipError_tT1_PNSt15iterator_traitsISK_E10value_typeET2_T3_PNSL_ISQ_E10value_typeET4_T5_PSV_SW_PNS1_23onesweep_lookback_stateEbbT6_jjT7_P12ihipStream_tbENKUlT_T0_SK_SP_E_clISE_SE_SF_SF_EEDaS13_S14_SK_SP_EUlS13_E_NS1_11comp_targetILNS1_3genE10ELNS1_11target_archE1201ELNS1_3gpuE5ELNS1_3repE0EEENS1_47radix_sort_onesweep_sort_config_static_selectorELNS0_4arch9wavefront6targetE1EEEvSK_
    .private_segment_fixed_size: 0
    .sgpr_count:     6
    .sgpr_spill_count: 0
    .symbol:         _ZN7rocprim17ROCPRIM_400000_NS6detail17trampoline_kernelINS0_14default_configENS1_35radix_sort_onesweep_config_selectorIjNS0_10empty_typeEEEZZNS1_29radix_sort_onesweep_iterationIS3_Lb0EN6thrust23THRUST_200600_302600_NS6detail15normal_iteratorINS9_10device_ptrIjEEEESE_PS5_SF_jNS0_19identity_decomposerENS1_16block_id_wrapperIjLb1EEEEE10hipError_tT1_PNSt15iterator_traitsISK_E10value_typeET2_T3_PNSL_ISQ_E10value_typeET4_T5_PSV_SW_PNS1_23onesweep_lookback_stateEbbT6_jjT7_P12ihipStream_tbENKUlT_T0_SK_SP_E_clISE_SE_SF_SF_EEDaS13_S14_SK_SP_EUlS13_E_NS1_11comp_targetILNS1_3genE10ELNS1_11target_archE1201ELNS1_3gpuE5ELNS1_3repE0EEENS1_47radix_sort_onesweep_sort_config_static_selectorELNS0_4arch9wavefront6targetE1EEEvSK_.kd
    .uniform_work_group_size: 1
    .uses_dynamic_stack: false
    .vgpr_count:     0
    .vgpr_spill_count: 0
    .wavefront_size: 64
  - .agpr_count:     0
    .args:
      - .offset:         0
        .size:           88
        .value_kind:     by_value
    .group_segment_fixed_size: 0
    .kernarg_segment_align: 8
    .kernarg_segment_size: 88
    .language:       OpenCL C
    .language_version:
      - 2
      - 0
    .max_flat_workgroup_size: 1024
    .name:           _ZN7rocprim17ROCPRIM_400000_NS6detail17trampoline_kernelINS0_14default_configENS1_35radix_sort_onesweep_config_selectorIjNS0_10empty_typeEEEZZNS1_29radix_sort_onesweep_iterationIS3_Lb0EN6thrust23THRUST_200600_302600_NS6detail15normal_iteratorINS9_10device_ptrIjEEEESE_PS5_SF_jNS0_19identity_decomposerENS1_16block_id_wrapperIjLb1EEEEE10hipError_tT1_PNSt15iterator_traitsISK_E10value_typeET2_T3_PNSL_ISQ_E10value_typeET4_T5_PSV_SW_PNS1_23onesweep_lookback_stateEbbT6_jjT7_P12ihipStream_tbENKUlT_T0_SK_SP_E_clISE_SE_SF_SF_EEDaS13_S14_SK_SP_EUlS13_E_NS1_11comp_targetILNS1_3genE9ELNS1_11target_archE1100ELNS1_3gpuE3ELNS1_3repE0EEENS1_47radix_sort_onesweep_sort_config_static_selectorELNS0_4arch9wavefront6targetE1EEEvSK_
    .private_segment_fixed_size: 0
    .sgpr_count:     6
    .sgpr_spill_count: 0
    .symbol:         _ZN7rocprim17ROCPRIM_400000_NS6detail17trampoline_kernelINS0_14default_configENS1_35radix_sort_onesweep_config_selectorIjNS0_10empty_typeEEEZZNS1_29radix_sort_onesweep_iterationIS3_Lb0EN6thrust23THRUST_200600_302600_NS6detail15normal_iteratorINS9_10device_ptrIjEEEESE_PS5_SF_jNS0_19identity_decomposerENS1_16block_id_wrapperIjLb1EEEEE10hipError_tT1_PNSt15iterator_traitsISK_E10value_typeET2_T3_PNSL_ISQ_E10value_typeET4_T5_PSV_SW_PNS1_23onesweep_lookback_stateEbbT6_jjT7_P12ihipStream_tbENKUlT_T0_SK_SP_E_clISE_SE_SF_SF_EEDaS13_S14_SK_SP_EUlS13_E_NS1_11comp_targetILNS1_3genE9ELNS1_11target_archE1100ELNS1_3gpuE3ELNS1_3repE0EEENS1_47radix_sort_onesweep_sort_config_static_selectorELNS0_4arch9wavefront6targetE1EEEvSK_.kd
    .uniform_work_group_size: 1
    .uses_dynamic_stack: false
    .vgpr_count:     0
    .vgpr_spill_count: 0
    .wavefront_size: 64
  - .agpr_count:     0
    .args:
      - .offset:         0
        .size:           88
        .value_kind:     by_value
    .group_segment_fixed_size: 0
    .kernarg_segment_align: 8
    .kernarg_segment_size: 88
    .language:       OpenCL C
    .language_version:
      - 2
      - 0
    .max_flat_workgroup_size: 1024
    .name:           _ZN7rocprim17ROCPRIM_400000_NS6detail17trampoline_kernelINS0_14default_configENS1_35radix_sort_onesweep_config_selectorIjNS0_10empty_typeEEEZZNS1_29radix_sort_onesweep_iterationIS3_Lb0EN6thrust23THRUST_200600_302600_NS6detail15normal_iteratorINS9_10device_ptrIjEEEESE_PS5_SF_jNS0_19identity_decomposerENS1_16block_id_wrapperIjLb1EEEEE10hipError_tT1_PNSt15iterator_traitsISK_E10value_typeET2_T3_PNSL_ISQ_E10value_typeET4_T5_PSV_SW_PNS1_23onesweep_lookback_stateEbbT6_jjT7_P12ihipStream_tbENKUlT_T0_SK_SP_E_clISE_SE_SF_SF_EEDaS13_S14_SK_SP_EUlS13_E_NS1_11comp_targetILNS1_3genE8ELNS1_11target_archE1030ELNS1_3gpuE2ELNS1_3repE0EEENS1_47radix_sort_onesweep_sort_config_static_selectorELNS0_4arch9wavefront6targetE1EEEvSK_
    .private_segment_fixed_size: 0
    .sgpr_count:     6
    .sgpr_spill_count: 0
    .symbol:         _ZN7rocprim17ROCPRIM_400000_NS6detail17trampoline_kernelINS0_14default_configENS1_35radix_sort_onesweep_config_selectorIjNS0_10empty_typeEEEZZNS1_29radix_sort_onesweep_iterationIS3_Lb0EN6thrust23THRUST_200600_302600_NS6detail15normal_iteratorINS9_10device_ptrIjEEEESE_PS5_SF_jNS0_19identity_decomposerENS1_16block_id_wrapperIjLb1EEEEE10hipError_tT1_PNSt15iterator_traitsISK_E10value_typeET2_T3_PNSL_ISQ_E10value_typeET4_T5_PSV_SW_PNS1_23onesweep_lookback_stateEbbT6_jjT7_P12ihipStream_tbENKUlT_T0_SK_SP_E_clISE_SE_SF_SF_EEDaS13_S14_SK_SP_EUlS13_E_NS1_11comp_targetILNS1_3genE8ELNS1_11target_archE1030ELNS1_3gpuE2ELNS1_3repE0EEENS1_47radix_sort_onesweep_sort_config_static_selectorELNS0_4arch9wavefront6targetE1EEEvSK_.kd
    .uniform_work_group_size: 1
    .uses_dynamic_stack: false
    .vgpr_count:     0
    .vgpr_spill_count: 0
    .wavefront_size: 64
  - .agpr_count:     0
    .args:
      - .offset:         0
        .size:           88
        .value_kind:     by_value
    .group_segment_fixed_size: 0
    .kernarg_segment_align: 8
    .kernarg_segment_size: 88
    .language:       OpenCL C
    .language_version:
      - 2
      - 0
    .max_flat_workgroup_size: 512
    .name:           _ZN7rocprim17ROCPRIM_400000_NS6detail17trampoline_kernelINS0_14default_configENS1_35radix_sort_onesweep_config_selectorIjNS0_10empty_typeEEEZZNS1_29radix_sort_onesweep_iterationIS3_Lb0EN6thrust23THRUST_200600_302600_NS6detail15normal_iteratorINS9_10device_ptrIjEEEESE_PS5_SF_jNS0_19identity_decomposerENS1_16block_id_wrapperIjLb1EEEEE10hipError_tT1_PNSt15iterator_traitsISK_E10value_typeET2_T3_PNSL_ISQ_E10value_typeET4_T5_PSV_SW_PNS1_23onesweep_lookback_stateEbbT6_jjT7_P12ihipStream_tbENKUlT_T0_SK_SP_E_clISE_PjSF_SF_EEDaS13_S14_SK_SP_EUlS13_E_NS1_11comp_targetILNS1_3genE0ELNS1_11target_archE4294967295ELNS1_3gpuE0ELNS1_3repE0EEENS1_47radix_sort_onesweep_sort_config_static_selectorELNS0_4arch9wavefront6targetE1EEEvSK_
    .private_segment_fixed_size: 0
    .sgpr_count:     6
    .sgpr_spill_count: 0
    .symbol:         _ZN7rocprim17ROCPRIM_400000_NS6detail17trampoline_kernelINS0_14default_configENS1_35radix_sort_onesweep_config_selectorIjNS0_10empty_typeEEEZZNS1_29radix_sort_onesweep_iterationIS3_Lb0EN6thrust23THRUST_200600_302600_NS6detail15normal_iteratorINS9_10device_ptrIjEEEESE_PS5_SF_jNS0_19identity_decomposerENS1_16block_id_wrapperIjLb1EEEEE10hipError_tT1_PNSt15iterator_traitsISK_E10value_typeET2_T3_PNSL_ISQ_E10value_typeET4_T5_PSV_SW_PNS1_23onesweep_lookback_stateEbbT6_jjT7_P12ihipStream_tbENKUlT_T0_SK_SP_E_clISE_PjSF_SF_EEDaS13_S14_SK_SP_EUlS13_E_NS1_11comp_targetILNS1_3genE0ELNS1_11target_archE4294967295ELNS1_3gpuE0ELNS1_3repE0EEENS1_47radix_sort_onesweep_sort_config_static_selectorELNS0_4arch9wavefront6targetE1EEEvSK_.kd
    .uniform_work_group_size: 1
    .uses_dynamic_stack: false
    .vgpr_count:     0
    .vgpr_spill_count: 0
    .wavefront_size: 64
  - .agpr_count:     0
    .args:
      - .offset:         0
        .size:           88
        .value_kind:     by_value
    .group_segment_fixed_size: 0
    .kernarg_segment_align: 8
    .kernarg_segment_size: 88
    .language:       OpenCL C
    .language_version:
      - 2
      - 0
    .max_flat_workgroup_size: 1024
    .name:           _ZN7rocprim17ROCPRIM_400000_NS6detail17trampoline_kernelINS0_14default_configENS1_35radix_sort_onesweep_config_selectorIjNS0_10empty_typeEEEZZNS1_29radix_sort_onesweep_iterationIS3_Lb0EN6thrust23THRUST_200600_302600_NS6detail15normal_iteratorINS9_10device_ptrIjEEEESE_PS5_SF_jNS0_19identity_decomposerENS1_16block_id_wrapperIjLb1EEEEE10hipError_tT1_PNSt15iterator_traitsISK_E10value_typeET2_T3_PNSL_ISQ_E10value_typeET4_T5_PSV_SW_PNS1_23onesweep_lookback_stateEbbT6_jjT7_P12ihipStream_tbENKUlT_T0_SK_SP_E_clISE_PjSF_SF_EEDaS13_S14_SK_SP_EUlS13_E_NS1_11comp_targetILNS1_3genE6ELNS1_11target_archE950ELNS1_3gpuE13ELNS1_3repE0EEENS1_47radix_sort_onesweep_sort_config_static_selectorELNS0_4arch9wavefront6targetE1EEEvSK_
    .private_segment_fixed_size: 0
    .sgpr_count:     6
    .sgpr_spill_count: 0
    .symbol:         _ZN7rocprim17ROCPRIM_400000_NS6detail17trampoline_kernelINS0_14default_configENS1_35radix_sort_onesweep_config_selectorIjNS0_10empty_typeEEEZZNS1_29radix_sort_onesweep_iterationIS3_Lb0EN6thrust23THRUST_200600_302600_NS6detail15normal_iteratorINS9_10device_ptrIjEEEESE_PS5_SF_jNS0_19identity_decomposerENS1_16block_id_wrapperIjLb1EEEEE10hipError_tT1_PNSt15iterator_traitsISK_E10value_typeET2_T3_PNSL_ISQ_E10value_typeET4_T5_PSV_SW_PNS1_23onesweep_lookback_stateEbbT6_jjT7_P12ihipStream_tbENKUlT_T0_SK_SP_E_clISE_PjSF_SF_EEDaS13_S14_SK_SP_EUlS13_E_NS1_11comp_targetILNS1_3genE6ELNS1_11target_archE950ELNS1_3gpuE13ELNS1_3repE0EEENS1_47radix_sort_onesweep_sort_config_static_selectorELNS0_4arch9wavefront6targetE1EEEvSK_.kd
    .uniform_work_group_size: 1
    .uses_dynamic_stack: false
    .vgpr_count:     0
    .vgpr_spill_count: 0
    .wavefront_size: 64
  - .agpr_count:     0
    .args:
      - .offset:         0
        .size:           88
        .value_kind:     by_value
      - .offset:         88
        .size:           4
        .value_kind:     hidden_block_count_x
      - .offset:         92
        .size:           4
        .value_kind:     hidden_block_count_y
      - .offset:         96
        .size:           4
        .value_kind:     hidden_block_count_z
      - .offset:         100
        .size:           2
        .value_kind:     hidden_group_size_x
      - .offset:         102
        .size:           2
        .value_kind:     hidden_group_size_y
      - .offset:         104
        .size:           2
        .value_kind:     hidden_group_size_z
      - .offset:         106
        .size:           2
        .value_kind:     hidden_remainder_x
      - .offset:         108
        .size:           2
        .value_kind:     hidden_remainder_y
      - .offset:         110
        .size:           2
        .value_kind:     hidden_remainder_z
      - .offset:         128
        .size:           8
        .value_kind:     hidden_global_offset_x
      - .offset:         136
        .size:           8
        .value_kind:     hidden_global_offset_y
      - .offset:         144
        .size:           8
        .value_kind:     hidden_global_offset_z
      - .offset:         152
        .size:           2
        .value_kind:     hidden_grid_dims
    .group_segment_fixed_size: 20552
    .kernarg_segment_align: 8
    .kernarg_segment_size: 344
    .language:       OpenCL C
    .language_version:
      - 2
      - 0
    .max_flat_workgroup_size: 1024
    .name:           _ZN7rocprim17ROCPRIM_400000_NS6detail17trampoline_kernelINS0_14default_configENS1_35radix_sort_onesweep_config_selectorIjNS0_10empty_typeEEEZZNS1_29radix_sort_onesweep_iterationIS3_Lb0EN6thrust23THRUST_200600_302600_NS6detail15normal_iteratorINS9_10device_ptrIjEEEESE_PS5_SF_jNS0_19identity_decomposerENS1_16block_id_wrapperIjLb1EEEEE10hipError_tT1_PNSt15iterator_traitsISK_E10value_typeET2_T3_PNSL_ISQ_E10value_typeET4_T5_PSV_SW_PNS1_23onesweep_lookback_stateEbbT6_jjT7_P12ihipStream_tbENKUlT_T0_SK_SP_E_clISE_PjSF_SF_EEDaS13_S14_SK_SP_EUlS13_E_NS1_11comp_targetILNS1_3genE5ELNS1_11target_archE942ELNS1_3gpuE9ELNS1_3repE0EEENS1_47radix_sort_onesweep_sort_config_static_selectorELNS0_4arch9wavefront6targetE1EEEvSK_
    .private_segment_fixed_size: 0
    .sgpr_count:     40
    .sgpr_spill_count: 0
    .symbol:         _ZN7rocprim17ROCPRIM_400000_NS6detail17trampoline_kernelINS0_14default_configENS1_35radix_sort_onesweep_config_selectorIjNS0_10empty_typeEEEZZNS1_29radix_sort_onesweep_iterationIS3_Lb0EN6thrust23THRUST_200600_302600_NS6detail15normal_iteratorINS9_10device_ptrIjEEEESE_PS5_SF_jNS0_19identity_decomposerENS1_16block_id_wrapperIjLb1EEEEE10hipError_tT1_PNSt15iterator_traitsISK_E10value_typeET2_T3_PNSL_ISQ_E10value_typeET4_T5_PSV_SW_PNS1_23onesweep_lookback_stateEbbT6_jjT7_P12ihipStream_tbENKUlT_T0_SK_SP_E_clISE_PjSF_SF_EEDaS13_S14_SK_SP_EUlS13_E_NS1_11comp_targetILNS1_3genE5ELNS1_11target_archE942ELNS1_3gpuE9ELNS1_3repE0EEENS1_47radix_sort_onesweep_sort_config_static_selectorELNS0_4arch9wavefront6targetE1EEEvSK_.kd
    .uniform_work_group_size: 1
    .uses_dynamic_stack: false
    .vgpr_count:     46
    .vgpr_spill_count: 0
    .wavefront_size: 64
  - .agpr_count:     0
    .args:
      - .offset:         0
        .size:           88
        .value_kind:     by_value
    .group_segment_fixed_size: 0
    .kernarg_segment_align: 8
    .kernarg_segment_size: 88
    .language:       OpenCL C
    .language_version:
      - 2
      - 0
    .max_flat_workgroup_size: 1024
    .name:           _ZN7rocprim17ROCPRIM_400000_NS6detail17trampoline_kernelINS0_14default_configENS1_35radix_sort_onesweep_config_selectorIjNS0_10empty_typeEEEZZNS1_29radix_sort_onesweep_iterationIS3_Lb0EN6thrust23THRUST_200600_302600_NS6detail15normal_iteratorINS9_10device_ptrIjEEEESE_PS5_SF_jNS0_19identity_decomposerENS1_16block_id_wrapperIjLb1EEEEE10hipError_tT1_PNSt15iterator_traitsISK_E10value_typeET2_T3_PNSL_ISQ_E10value_typeET4_T5_PSV_SW_PNS1_23onesweep_lookback_stateEbbT6_jjT7_P12ihipStream_tbENKUlT_T0_SK_SP_E_clISE_PjSF_SF_EEDaS13_S14_SK_SP_EUlS13_E_NS1_11comp_targetILNS1_3genE2ELNS1_11target_archE906ELNS1_3gpuE6ELNS1_3repE0EEENS1_47radix_sort_onesweep_sort_config_static_selectorELNS0_4arch9wavefront6targetE1EEEvSK_
    .private_segment_fixed_size: 0
    .sgpr_count:     6
    .sgpr_spill_count: 0
    .symbol:         _ZN7rocprim17ROCPRIM_400000_NS6detail17trampoline_kernelINS0_14default_configENS1_35radix_sort_onesweep_config_selectorIjNS0_10empty_typeEEEZZNS1_29radix_sort_onesweep_iterationIS3_Lb0EN6thrust23THRUST_200600_302600_NS6detail15normal_iteratorINS9_10device_ptrIjEEEESE_PS5_SF_jNS0_19identity_decomposerENS1_16block_id_wrapperIjLb1EEEEE10hipError_tT1_PNSt15iterator_traitsISK_E10value_typeET2_T3_PNSL_ISQ_E10value_typeET4_T5_PSV_SW_PNS1_23onesweep_lookback_stateEbbT6_jjT7_P12ihipStream_tbENKUlT_T0_SK_SP_E_clISE_PjSF_SF_EEDaS13_S14_SK_SP_EUlS13_E_NS1_11comp_targetILNS1_3genE2ELNS1_11target_archE906ELNS1_3gpuE6ELNS1_3repE0EEENS1_47radix_sort_onesweep_sort_config_static_selectorELNS0_4arch9wavefront6targetE1EEEvSK_.kd
    .uniform_work_group_size: 1
    .uses_dynamic_stack: false
    .vgpr_count:     0
    .vgpr_spill_count: 0
    .wavefront_size: 64
  - .agpr_count:     0
    .args:
      - .offset:         0
        .size:           88
        .value_kind:     by_value
    .group_segment_fixed_size: 0
    .kernarg_segment_align: 8
    .kernarg_segment_size: 88
    .language:       OpenCL C
    .language_version:
      - 2
      - 0
    .max_flat_workgroup_size: 1024
    .name:           _ZN7rocprim17ROCPRIM_400000_NS6detail17trampoline_kernelINS0_14default_configENS1_35radix_sort_onesweep_config_selectorIjNS0_10empty_typeEEEZZNS1_29radix_sort_onesweep_iterationIS3_Lb0EN6thrust23THRUST_200600_302600_NS6detail15normal_iteratorINS9_10device_ptrIjEEEESE_PS5_SF_jNS0_19identity_decomposerENS1_16block_id_wrapperIjLb1EEEEE10hipError_tT1_PNSt15iterator_traitsISK_E10value_typeET2_T3_PNSL_ISQ_E10value_typeET4_T5_PSV_SW_PNS1_23onesweep_lookback_stateEbbT6_jjT7_P12ihipStream_tbENKUlT_T0_SK_SP_E_clISE_PjSF_SF_EEDaS13_S14_SK_SP_EUlS13_E_NS1_11comp_targetILNS1_3genE4ELNS1_11target_archE910ELNS1_3gpuE8ELNS1_3repE0EEENS1_47radix_sort_onesweep_sort_config_static_selectorELNS0_4arch9wavefront6targetE1EEEvSK_
    .private_segment_fixed_size: 0
    .sgpr_count:     6
    .sgpr_spill_count: 0
    .symbol:         _ZN7rocprim17ROCPRIM_400000_NS6detail17trampoline_kernelINS0_14default_configENS1_35radix_sort_onesweep_config_selectorIjNS0_10empty_typeEEEZZNS1_29radix_sort_onesweep_iterationIS3_Lb0EN6thrust23THRUST_200600_302600_NS6detail15normal_iteratorINS9_10device_ptrIjEEEESE_PS5_SF_jNS0_19identity_decomposerENS1_16block_id_wrapperIjLb1EEEEE10hipError_tT1_PNSt15iterator_traitsISK_E10value_typeET2_T3_PNSL_ISQ_E10value_typeET4_T5_PSV_SW_PNS1_23onesweep_lookback_stateEbbT6_jjT7_P12ihipStream_tbENKUlT_T0_SK_SP_E_clISE_PjSF_SF_EEDaS13_S14_SK_SP_EUlS13_E_NS1_11comp_targetILNS1_3genE4ELNS1_11target_archE910ELNS1_3gpuE8ELNS1_3repE0EEENS1_47radix_sort_onesweep_sort_config_static_selectorELNS0_4arch9wavefront6targetE1EEEvSK_.kd
    .uniform_work_group_size: 1
    .uses_dynamic_stack: false
    .vgpr_count:     0
    .vgpr_spill_count: 0
    .wavefront_size: 64
  - .agpr_count:     0
    .args:
      - .offset:         0
        .size:           88
        .value_kind:     by_value
    .group_segment_fixed_size: 0
    .kernarg_segment_align: 8
    .kernarg_segment_size: 88
    .language:       OpenCL C
    .language_version:
      - 2
      - 0
    .max_flat_workgroup_size: 512
    .name:           _ZN7rocprim17ROCPRIM_400000_NS6detail17trampoline_kernelINS0_14default_configENS1_35radix_sort_onesweep_config_selectorIjNS0_10empty_typeEEEZZNS1_29radix_sort_onesweep_iterationIS3_Lb0EN6thrust23THRUST_200600_302600_NS6detail15normal_iteratorINS9_10device_ptrIjEEEESE_PS5_SF_jNS0_19identity_decomposerENS1_16block_id_wrapperIjLb1EEEEE10hipError_tT1_PNSt15iterator_traitsISK_E10value_typeET2_T3_PNSL_ISQ_E10value_typeET4_T5_PSV_SW_PNS1_23onesweep_lookback_stateEbbT6_jjT7_P12ihipStream_tbENKUlT_T0_SK_SP_E_clISE_PjSF_SF_EEDaS13_S14_SK_SP_EUlS13_E_NS1_11comp_targetILNS1_3genE3ELNS1_11target_archE908ELNS1_3gpuE7ELNS1_3repE0EEENS1_47radix_sort_onesweep_sort_config_static_selectorELNS0_4arch9wavefront6targetE1EEEvSK_
    .private_segment_fixed_size: 0
    .sgpr_count:     6
    .sgpr_spill_count: 0
    .symbol:         _ZN7rocprim17ROCPRIM_400000_NS6detail17trampoline_kernelINS0_14default_configENS1_35radix_sort_onesweep_config_selectorIjNS0_10empty_typeEEEZZNS1_29radix_sort_onesweep_iterationIS3_Lb0EN6thrust23THRUST_200600_302600_NS6detail15normal_iteratorINS9_10device_ptrIjEEEESE_PS5_SF_jNS0_19identity_decomposerENS1_16block_id_wrapperIjLb1EEEEE10hipError_tT1_PNSt15iterator_traitsISK_E10value_typeET2_T3_PNSL_ISQ_E10value_typeET4_T5_PSV_SW_PNS1_23onesweep_lookback_stateEbbT6_jjT7_P12ihipStream_tbENKUlT_T0_SK_SP_E_clISE_PjSF_SF_EEDaS13_S14_SK_SP_EUlS13_E_NS1_11comp_targetILNS1_3genE3ELNS1_11target_archE908ELNS1_3gpuE7ELNS1_3repE0EEENS1_47radix_sort_onesweep_sort_config_static_selectorELNS0_4arch9wavefront6targetE1EEEvSK_.kd
    .uniform_work_group_size: 1
    .uses_dynamic_stack: false
    .vgpr_count:     0
    .vgpr_spill_count: 0
    .wavefront_size: 64
  - .agpr_count:     0
    .args:
      - .offset:         0
        .size:           88
        .value_kind:     by_value
    .group_segment_fixed_size: 0
    .kernarg_segment_align: 8
    .kernarg_segment_size: 88
    .language:       OpenCL C
    .language_version:
      - 2
      - 0
    .max_flat_workgroup_size: 1024
    .name:           _ZN7rocprim17ROCPRIM_400000_NS6detail17trampoline_kernelINS0_14default_configENS1_35radix_sort_onesweep_config_selectorIjNS0_10empty_typeEEEZZNS1_29radix_sort_onesweep_iterationIS3_Lb0EN6thrust23THRUST_200600_302600_NS6detail15normal_iteratorINS9_10device_ptrIjEEEESE_PS5_SF_jNS0_19identity_decomposerENS1_16block_id_wrapperIjLb1EEEEE10hipError_tT1_PNSt15iterator_traitsISK_E10value_typeET2_T3_PNSL_ISQ_E10value_typeET4_T5_PSV_SW_PNS1_23onesweep_lookback_stateEbbT6_jjT7_P12ihipStream_tbENKUlT_T0_SK_SP_E_clISE_PjSF_SF_EEDaS13_S14_SK_SP_EUlS13_E_NS1_11comp_targetILNS1_3genE10ELNS1_11target_archE1201ELNS1_3gpuE5ELNS1_3repE0EEENS1_47radix_sort_onesweep_sort_config_static_selectorELNS0_4arch9wavefront6targetE1EEEvSK_
    .private_segment_fixed_size: 0
    .sgpr_count:     6
    .sgpr_spill_count: 0
    .symbol:         _ZN7rocprim17ROCPRIM_400000_NS6detail17trampoline_kernelINS0_14default_configENS1_35radix_sort_onesweep_config_selectorIjNS0_10empty_typeEEEZZNS1_29radix_sort_onesweep_iterationIS3_Lb0EN6thrust23THRUST_200600_302600_NS6detail15normal_iteratorINS9_10device_ptrIjEEEESE_PS5_SF_jNS0_19identity_decomposerENS1_16block_id_wrapperIjLb1EEEEE10hipError_tT1_PNSt15iterator_traitsISK_E10value_typeET2_T3_PNSL_ISQ_E10value_typeET4_T5_PSV_SW_PNS1_23onesweep_lookback_stateEbbT6_jjT7_P12ihipStream_tbENKUlT_T0_SK_SP_E_clISE_PjSF_SF_EEDaS13_S14_SK_SP_EUlS13_E_NS1_11comp_targetILNS1_3genE10ELNS1_11target_archE1201ELNS1_3gpuE5ELNS1_3repE0EEENS1_47radix_sort_onesweep_sort_config_static_selectorELNS0_4arch9wavefront6targetE1EEEvSK_.kd
    .uniform_work_group_size: 1
    .uses_dynamic_stack: false
    .vgpr_count:     0
    .vgpr_spill_count: 0
    .wavefront_size: 64
  - .agpr_count:     0
    .args:
      - .offset:         0
        .size:           88
        .value_kind:     by_value
    .group_segment_fixed_size: 0
    .kernarg_segment_align: 8
    .kernarg_segment_size: 88
    .language:       OpenCL C
    .language_version:
      - 2
      - 0
    .max_flat_workgroup_size: 1024
    .name:           _ZN7rocprim17ROCPRIM_400000_NS6detail17trampoline_kernelINS0_14default_configENS1_35radix_sort_onesweep_config_selectorIjNS0_10empty_typeEEEZZNS1_29radix_sort_onesweep_iterationIS3_Lb0EN6thrust23THRUST_200600_302600_NS6detail15normal_iteratorINS9_10device_ptrIjEEEESE_PS5_SF_jNS0_19identity_decomposerENS1_16block_id_wrapperIjLb1EEEEE10hipError_tT1_PNSt15iterator_traitsISK_E10value_typeET2_T3_PNSL_ISQ_E10value_typeET4_T5_PSV_SW_PNS1_23onesweep_lookback_stateEbbT6_jjT7_P12ihipStream_tbENKUlT_T0_SK_SP_E_clISE_PjSF_SF_EEDaS13_S14_SK_SP_EUlS13_E_NS1_11comp_targetILNS1_3genE9ELNS1_11target_archE1100ELNS1_3gpuE3ELNS1_3repE0EEENS1_47radix_sort_onesweep_sort_config_static_selectorELNS0_4arch9wavefront6targetE1EEEvSK_
    .private_segment_fixed_size: 0
    .sgpr_count:     6
    .sgpr_spill_count: 0
    .symbol:         _ZN7rocprim17ROCPRIM_400000_NS6detail17trampoline_kernelINS0_14default_configENS1_35radix_sort_onesweep_config_selectorIjNS0_10empty_typeEEEZZNS1_29radix_sort_onesweep_iterationIS3_Lb0EN6thrust23THRUST_200600_302600_NS6detail15normal_iteratorINS9_10device_ptrIjEEEESE_PS5_SF_jNS0_19identity_decomposerENS1_16block_id_wrapperIjLb1EEEEE10hipError_tT1_PNSt15iterator_traitsISK_E10value_typeET2_T3_PNSL_ISQ_E10value_typeET4_T5_PSV_SW_PNS1_23onesweep_lookback_stateEbbT6_jjT7_P12ihipStream_tbENKUlT_T0_SK_SP_E_clISE_PjSF_SF_EEDaS13_S14_SK_SP_EUlS13_E_NS1_11comp_targetILNS1_3genE9ELNS1_11target_archE1100ELNS1_3gpuE3ELNS1_3repE0EEENS1_47radix_sort_onesweep_sort_config_static_selectorELNS0_4arch9wavefront6targetE1EEEvSK_.kd
    .uniform_work_group_size: 1
    .uses_dynamic_stack: false
    .vgpr_count:     0
    .vgpr_spill_count: 0
    .wavefront_size: 64
  - .agpr_count:     0
    .args:
      - .offset:         0
        .size:           88
        .value_kind:     by_value
    .group_segment_fixed_size: 0
    .kernarg_segment_align: 8
    .kernarg_segment_size: 88
    .language:       OpenCL C
    .language_version:
      - 2
      - 0
    .max_flat_workgroup_size: 1024
    .name:           _ZN7rocprim17ROCPRIM_400000_NS6detail17trampoline_kernelINS0_14default_configENS1_35radix_sort_onesweep_config_selectorIjNS0_10empty_typeEEEZZNS1_29radix_sort_onesweep_iterationIS3_Lb0EN6thrust23THRUST_200600_302600_NS6detail15normal_iteratorINS9_10device_ptrIjEEEESE_PS5_SF_jNS0_19identity_decomposerENS1_16block_id_wrapperIjLb1EEEEE10hipError_tT1_PNSt15iterator_traitsISK_E10value_typeET2_T3_PNSL_ISQ_E10value_typeET4_T5_PSV_SW_PNS1_23onesweep_lookback_stateEbbT6_jjT7_P12ihipStream_tbENKUlT_T0_SK_SP_E_clISE_PjSF_SF_EEDaS13_S14_SK_SP_EUlS13_E_NS1_11comp_targetILNS1_3genE8ELNS1_11target_archE1030ELNS1_3gpuE2ELNS1_3repE0EEENS1_47radix_sort_onesweep_sort_config_static_selectorELNS0_4arch9wavefront6targetE1EEEvSK_
    .private_segment_fixed_size: 0
    .sgpr_count:     6
    .sgpr_spill_count: 0
    .symbol:         _ZN7rocprim17ROCPRIM_400000_NS6detail17trampoline_kernelINS0_14default_configENS1_35radix_sort_onesweep_config_selectorIjNS0_10empty_typeEEEZZNS1_29radix_sort_onesweep_iterationIS3_Lb0EN6thrust23THRUST_200600_302600_NS6detail15normal_iteratorINS9_10device_ptrIjEEEESE_PS5_SF_jNS0_19identity_decomposerENS1_16block_id_wrapperIjLb1EEEEE10hipError_tT1_PNSt15iterator_traitsISK_E10value_typeET2_T3_PNSL_ISQ_E10value_typeET4_T5_PSV_SW_PNS1_23onesweep_lookback_stateEbbT6_jjT7_P12ihipStream_tbENKUlT_T0_SK_SP_E_clISE_PjSF_SF_EEDaS13_S14_SK_SP_EUlS13_E_NS1_11comp_targetILNS1_3genE8ELNS1_11target_archE1030ELNS1_3gpuE2ELNS1_3repE0EEENS1_47radix_sort_onesweep_sort_config_static_selectorELNS0_4arch9wavefront6targetE1EEEvSK_.kd
    .uniform_work_group_size: 1
    .uses_dynamic_stack: false
    .vgpr_count:     0
    .vgpr_spill_count: 0
    .wavefront_size: 64
  - .agpr_count:     0
    .args:
      - .offset:         0
        .size:           88
        .value_kind:     by_value
    .group_segment_fixed_size: 0
    .kernarg_segment_align: 8
    .kernarg_segment_size: 88
    .language:       OpenCL C
    .language_version:
      - 2
      - 0
    .max_flat_workgroup_size: 512
    .name:           _ZN7rocprim17ROCPRIM_400000_NS6detail17trampoline_kernelINS0_14default_configENS1_35radix_sort_onesweep_config_selectorIjNS0_10empty_typeEEEZZNS1_29radix_sort_onesweep_iterationIS3_Lb0EN6thrust23THRUST_200600_302600_NS6detail15normal_iteratorINS9_10device_ptrIjEEEESE_PS5_SF_jNS0_19identity_decomposerENS1_16block_id_wrapperIjLb1EEEEE10hipError_tT1_PNSt15iterator_traitsISK_E10value_typeET2_T3_PNSL_ISQ_E10value_typeET4_T5_PSV_SW_PNS1_23onesweep_lookback_stateEbbT6_jjT7_P12ihipStream_tbENKUlT_T0_SK_SP_E_clIPjSE_SF_SF_EEDaS13_S14_SK_SP_EUlS13_E_NS1_11comp_targetILNS1_3genE0ELNS1_11target_archE4294967295ELNS1_3gpuE0ELNS1_3repE0EEENS1_47radix_sort_onesweep_sort_config_static_selectorELNS0_4arch9wavefront6targetE1EEEvSK_
    .private_segment_fixed_size: 0
    .sgpr_count:     6
    .sgpr_spill_count: 0
    .symbol:         _ZN7rocprim17ROCPRIM_400000_NS6detail17trampoline_kernelINS0_14default_configENS1_35radix_sort_onesweep_config_selectorIjNS0_10empty_typeEEEZZNS1_29radix_sort_onesweep_iterationIS3_Lb0EN6thrust23THRUST_200600_302600_NS6detail15normal_iteratorINS9_10device_ptrIjEEEESE_PS5_SF_jNS0_19identity_decomposerENS1_16block_id_wrapperIjLb1EEEEE10hipError_tT1_PNSt15iterator_traitsISK_E10value_typeET2_T3_PNSL_ISQ_E10value_typeET4_T5_PSV_SW_PNS1_23onesweep_lookback_stateEbbT6_jjT7_P12ihipStream_tbENKUlT_T0_SK_SP_E_clIPjSE_SF_SF_EEDaS13_S14_SK_SP_EUlS13_E_NS1_11comp_targetILNS1_3genE0ELNS1_11target_archE4294967295ELNS1_3gpuE0ELNS1_3repE0EEENS1_47radix_sort_onesweep_sort_config_static_selectorELNS0_4arch9wavefront6targetE1EEEvSK_.kd
    .uniform_work_group_size: 1
    .uses_dynamic_stack: false
    .vgpr_count:     0
    .vgpr_spill_count: 0
    .wavefront_size: 64
  - .agpr_count:     0
    .args:
      - .offset:         0
        .size:           88
        .value_kind:     by_value
    .group_segment_fixed_size: 0
    .kernarg_segment_align: 8
    .kernarg_segment_size: 88
    .language:       OpenCL C
    .language_version:
      - 2
      - 0
    .max_flat_workgroup_size: 1024
    .name:           _ZN7rocprim17ROCPRIM_400000_NS6detail17trampoline_kernelINS0_14default_configENS1_35radix_sort_onesweep_config_selectorIjNS0_10empty_typeEEEZZNS1_29radix_sort_onesweep_iterationIS3_Lb0EN6thrust23THRUST_200600_302600_NS6detail15normal_iteratorINS9_10device_ptrIjEEEESE_PS5_SF_jNS0_19identity_decomposerENS1_16block_id_wrapperIjLb1EEEEE10hipError_tT1_PNSt15iterator_traitsISK_E10value_typeET2_T3_PNSL_ISQ_E10value_typeET4_T5_PSV_SW_PNS1_23onesweep_lookback_stateEbbT6_jjT7_P12ihipStream_tbENKUlT_T0_SK_SP_E_clIPjSE_SF_SF_EEDaS13_S14_SK_SP_EUlS13_E_NS1_11comp_targetILNS1_3genE6ELNS1_11target_archE950ELNS1_3gpuE13ELNS1_3repE0EEENS1_47radix_sort_onesweep_sort_config_static_selectorELNS0_4arch9wavefront6targetE1EEEvSK_
    .private_segment_fixed_size: 0
    .sgpr_count:     6
    .sgpr_spill_count: 0
    .symbol:         _ZN7rocprim17ROCPRIM_400000_NS6detail17trampoline_kernelINS0_14default_configENS1_35radix_sort_onesweep_config_selectorIjNS0_10empty_typeEEEZZNS1_29radix_sort_onesweep_iterationIS3_Lb0EN6thrust23THRUST_200600_302600_NS6detail15normal_iteratorINS9_10device_ptrIjEEEESE_PS5_SF_jNS0_19identity_decomposerENS1_16block_id_wrapperIjLb1EEEEE10hipError_tT1_PNSt15iterator_traitsISK_E10value_typeET2_T3_PNSL_ISQ_E10value_typeET4_T5_PSV_SW_PNS1_23onesweep_lookback_stateEbbT6_jjT7_P12ihipStream_tbENKUlT_T0_SK_SP_E_clIPjSE_SF_SF_EEDaS13_S14_SK_SP_EUlS13_E_NS1_11comp_targetILNS1_3genE6ELNS1_11target_archE950ELNS1_3gpuE13ELNS1_3repE0EEENS1_47radix_sort_onesweep_sort_config_static_selectorELNS0_4arch9wavefront6targetE1EEEvSK_.kd
    .uniform_work_group_size: 1
    .uses_dynamic_stack: false
    .vgpr_count:     0
    .vgpr_spill_count: 0
    .wavefront_size: 64
  - .agpr_count:     0
    .args:
      - .offset:         0
        .size:           88
        .value_kind:     by_value
      - .offset:         88
        .size:           4
        .value_kind:     hidden_block_count_x
      - .offset:         92
        .size:           4
        .value_kind:     hidden_block_count_y
      - .offset:         96
        .size:           4
        .value_kind:     hidden_block_count_z
      - .offset:         100
        .size:           2
        .value_kind:     hidden_group_size_x
      - .offset:         102
        .size:           2
        .value_kind:     hidden_group_size_y
      - .offset:         104
        .size:           2
        .value_kind:     hidden_group_size_z
      - .offset:         106
        .size:           2
        .value_kind:     hidden_remainder_x
      - .offset:         108
        .size:           2
        .value_kind:     hidden_remainder_y
      - .offset:         110
        .size:           2
        .value_kind:     hidden_remainder_z
      - .offset:         128
        .size:           8
        .value_kind:     hidden_global_offset_x
      - .offset:         136
        .size:           8
        .value_kind:     hidden_global_offset_y
      - .offset:         144
        .size:           8
        .value_kind:     hidden_global_offset_z
      - .offset:         152
        .size:           2
        .value_kind:     hidden_grid_dims
    .group_segment_fixed_size: 20552
    .kernarg_segment_align: 8
    .kernarg_segment_size: 344
    .language:       OpenCL C
    .language_version:
      - 2
      - 0
    .max_flat_workgroup_size: 1024
    .name:           _ZN7rocprim17ROCPRIM_400000_NS6detail17trampoline_kernelINS0_14default_configENS1_35radix_sort_onesweep_config_selectorIjNS0_10empty_typeEEEZZNS1_29radix_sort_onesweep_iterationIS3_Lb0EN6thrust23THRUST_200600_302600_NS6detail15normal_iteratorINS9_10device_ptrIjEEEESE_PS5_SF_jNS0_19identity_decomposerENS1_16block_id_wrapperIjLb1EEEEE10hipError_tT1_PNSt15iterator_traitsISK_E10value_typeET2_T3_PNSL_ISQ_E10value_typeET4_T5_PSV_SW_PNS1_23onesweep_lookback_stateEbbT6_jjT7_P12ihipStream_tbENKUlT_T0_SK_SP_E_clIPjSE_SF_SF_EEDaS13_S14_SK_SP_EUlS13_E_NS1_11comp_targetILNS1_3genE5ELNS1_11target_archE942ELNS1_3gpuE9ELNS1_3repE0EEENS1_47radix_sort_onesweep_sort_config_static_selectorELNS0_4arch9wavefront6targetE1EEEvSK_
    .private_segment_fixed_size: 0
    .sgpr_count:     40
    .sgpr_spill_count: 0
    .symbol:         _ZN7rocprim17ROCPRIM_400000_NS6detail17trampoline_kernelINS0_14default_configENS1_35radix_sort_onesweep_config_selectorIjNS0_10empty_typeEEEZZNS1_29radix_sort_onesweep_iterationIS3_Lb0EN6thrust23THRUST_200600_302600_NS6detail15normal_iteratorINS9_10device_ptrIjEEEESE_PS5_SF_jNS0_19identity_decomposerENS1_16block_id_wrapperIjLb1EEEEE10hipError_tT1_PNSt15iterator_traitsISK_E10value_typeET2_T3_PNSL_ISQ_E10value_typeET4_T5_PSV_SW_PNS1_23onesweep_lookback_stateEbbT6_jjT7_P12ihipStream_tbENKUlT_T0_SK_SP_E_clIPjSE_SF_SF_EEDaS13_S14_SK_SP_EUlS13_E_NS1_11comp_targetILNS1_3genE5ELNS1_11target_archE942ELNS1_3gpuE9ELNS1_3repE0EEENS1_47radix_sort_onesweep_sort_config_static_selectorELNS0_4arch9wavefront6targetE1EEEvSK_.kd
    .uniform_work_group_size: 1
    .uses_dynamic_stack: false
    .vgpr_count:     46
    .vgpr_spill_count: 0
    .wavefront_size: 64
  - .agpr_count:     0
    .args:
      - .offset:         0
        .size:           88
        .value_kind:     by_value
    .group_segment_fixed_size: 0
    .kernarg_segment_align: 8
    .kernarg_segment_size: 88
    .language:       OpenCL C
    .language_version:
      - 2
      - 0
    .max_flat_workgroup_size: 1024
    .name:           _ZN7rocprim17ROCPRIM_400000_NS6detail17trampoline_kernelINS0_14default_configENS1_35radix_sort_onesweep_config_selectorIjNS0_10empty_typeEEEZZNS1_29radix_sort_onesweep_iterationIS3_Lb0EN6thrust23THRUST_200600_302600_NS6detail15normal_iteratorINS9_10device_ptrIjEEEESE_PS5_SF_jNS0_19identity_decomposerENS1_16block_id_wrapperIjLb1EEEEE10hipError_tT1_PNSt15iterator_traitsISK_E10value_typeET2_T3_PNSL_ISQ_E10value_typeET4_T5_PSV_SW_PNS1_23onesweep_lookback_stateEbbT6_jjT7_P12ihipStream_tbENKUlT_T0_SK_SP_E_clIPjSE_SF_SF_EEDaS13_S14_SK_SP_EUlS13_E_NS1_11comp_targetILNS1_3genE2ELNS1_11target_archE906ELNS1_3gpuE6ELNS1_3repE0EEENS1_47radix_sort_onesweep_sort_config_static_selectorELNS0_4arch9wavefront6targetE1EEEvSK_
    .private_segment_fixed_size: 0
    .sgpr_count:     6
    .sgpr_spill_count: 0
    .symbol:         _ZN7rocprim17ROCPRIM_400000_NS6detail17trampoline_kernelINS0_14default_configENS1_35radix_sort_onesweep_config_selectorIjNS0_10empty_typeEEEZZNS1_29radix_sort_onesweep_iterationIS3_Lb0EN6thrust23THRUST_200600_302600_NS6detail15normal_iteratorINS9_10device_ptrIjEEEESE_PS5_SF_jNS0_19identity_decomposerENS1_16block_id_wrapperIjLb1EEEEE10hipError_tT1_PNSt15iterator_traitsISK_E10value_typeET2_T3_PNSL_ISQ_E10value_typeET4_T5_PSV_SW_PNS1_23onesweep_lookback_stateEbbT6_jjT7_P12ihipStream_tbENKUlT_T0_SK_SP_E_clIPjSE_SF_SF_EEDaS13_S14_SK_SP_EUlS13_E_NS1_11comp_targetILNS1_3genE2ELNS1_11target_archE906ELNS1_3gpuE6ELNS1_3repE0EEENS1_47radix_sort_onesweep_sort_config_static_selectorELNS0_4arch9wavefront6targetE1EEEvSK_.kd
    .uniform_work_group_size: 1
    .uses_dynamic_stack: false
    .vgpr_count:     0
    .vgpr_spill_count: 0
    .wavefront_size: 64
  - .agpr_count:     0
    .args:
      - .offset:         0
        .size:           88
        .value_kind:     by_value
    .group_segment_fixed_size: 0
    .kernarg_segment_align: 8
    .kernarg_segment_size: 88
    .language:       OpenCL C
    .language_version:
      - 2
      - 0
    .max_flat_workgroup_size: 1024
    .name:           _ZN7rocprim17ROCPRIM_400000_NS6detail17trampoline_kernelINS0_14default_configENS1_35radix_sort_onesweep_config_selectorIjNS0_10empty_typeEEEZZNS1_29radix_sort_onesweep_iterationIS3_Lb0EN6thrust23THRUST_200600_302600_NS6detail15normal_iteratorINS9_10device_ptrIjEEEESE_PS5_SF_jNS0_19identity_decomposerENS1_16block_id_wrapperIjLb1EEEEE10hipError_tT1_PNSt15iterator_traitsISK_E10value_typeET2_T3_PNSL_ISQ_E10value_typeET4_T5_PSV_SW_PNS1_23onesweep_lookback_stateEbbT6_jjT7_P12ihipStream_tbENKUlT_T0_SK_SP_E_clIPjSE_SF_SF_EEDaS13_S14_SK_SP_EUlS13_E_NS1_11comp_targetILNS1_3genE4ELNS1_11target_archE910ELNS1_3gpuE8ELNS1_3repE0EEENS1_47radix_sort_onesweep_sort_config_static_selectorELNS0_4arch9wavefront6targetE1EEEvSK_
    .private_segment_fixed_size: 0
    .sgpr_count:     6
    .sgpr_spill_count: 0
    .symbol:         _ZN7rocprim17ROCPRIM_400000_NS6detail17trampoline_kernelINS0_14default_configENS1_35radix_sort_onesweep_config_selectorIjNS0_10empty_typeEEEZZNS1_29radix_sort_onesweep_iterationIS3_Lb0EN6thrust23THRUST_200600_302600_NS6detail15normal_iteratorINS9_10device_ptrIjEEEESE_PS5_SF_jNS0_19identity_decomposerENS1_16block_id_wrapperIjLb1EEEEE10hipError_tT1_PNSt15iterator_traitsISK_E10value_typeET2_T3_PNSL_ISQ_E10value_typeET4_T5_PSV_SW_PNS1_23onesweep_lookback_stateEbbT6_jjT7_P12ihipStream_tbENKUlT_T0_SK_SP_E_clIPjSE_SF_SF_EEDaS13_S14_SK_SP_EUlS13_E_NS1_11comp_targetILNS1_3genE4ELNS1_11target_archE910ELNS1_3gpuE8ELNS1_3repE0EEENS1_47radix_sort_onesweep_sort_config_static_selectorELNS0_4arch9wavefront6targetE1EEEvSK_.kd
    .uniform_work_group_size: 1
    .uses_dynamic_stack: false
    .vgpr_count:     0
    .vgpr_spill_count: 0
    .wavefront_size: 64
  - .agpr_count:     0
    .args:
      - .offset:         0
        .size:           88
        .value_kind:     by_value
    .group_segment_fixed_size: 0
    .kernarg_segment_align: 8
    .kernarg_segment_size: 88
    .language:       OpenCL C
    .language_version:
      - 2
      - 0
    .max_flat_workgroup_size: 512
    .name:           _ZN7rocprim17ROCPRIM_400000_NS6detail17trampoline_kernelINS0_14default_configENS1_35radix_sort_onesweep_config_selectorIjNS0_10empty_typeEEEZZNS1_29radix_sort_onesweep_iterationIS3_Lb0EN6thrust23THRUST_200600_302600_NS6detail15normal_iteratorINS9_10device_ptrIjEEEESE_PS5_SF_jNS0_19identity_decomposerENS1_16block_id_wrapperIjLb1EEEEE10hipError_tT1_PNSt15iterator_traitsISK_E10value_typeET2_T3_PNSL_ISQ_E10value_typeET4_T5_PSV_SW_PNS1_23onesweep_lookback_stateEbbT6_jjT7_P12ihipStream_tbENKUlT_T0_SK_SP_E_clIPjSE_SF_SF_EEDaS13_S14_SK_SP_EUlS13_E_NS1_11comp_targetILNS1_3genE3ELNS1_11target_archE908ELNS1_3gpuE7ELNS1_3repE0EEENS1_47radix_sort_onesweep_sort_config_static_selectorELNS0_4arch9wavefront6targetE1EEEvSK_
    .private_segment_fixed_size: 0
    .sgpr_count:     6
    .sgpr_spill_count: 0
    .symbol:         _ZN7rocprim17ROCPRIM_400000_NS6detail17trampoline_kernelINS0_14default_configENS1_35radix_sort_onesweep_config_selectorIjNS0_10empty_typeEEEZZNS1_29radix_sort_onesweep_iterationIS3_Lb0EN6thrust23THRUST_200600_302600_NS6detail15normal_iteratorINS9_10device_ptrIjEEEESE_PS5_SF_jNS0_19identity_decomposerENS1_16block_id_wrapperIjLb1EEEEE10hipError_tT1_PNSt15iterator_traitsISK_E10value_typeET2_T3_PNSL_ISQ_E10value_typeET4_T5_PSV_SW_PNS1_23onesweep_lookback_stateEbbT6_jjT7_P12ihipStream_tbENKUlT_T0_SK_SP_E_clIPjSE_SF_SF_EEDaS13_S14_SK_SP_EUlS13_E_NS1_11comp_targetILNS1_3genE3ELNS1_11target_archE908ELNS1_3gpuE7ELNS1_3repE0EEENS1_47radix_sort_onesweep_sort_config_static_selectorELNS0_4arch9wavefront6targetE1EEEvSK_.kd
    .uniform_work_group_size: 1
    .uses_dynamic_stack: false
    .vgpr_count:     0
    .vgpr_spill_count: 0
    .wavefront_size: 64
  - .agpr_count:     0
    .args:
      - .offset:         0
        .size:           88
        .value_kind:     by_value
    .group_segment_fixed_size: 0
    .kernarg_segment_align: 8
    .kernarg_segment_size: 88
    .language:       OpenCL C
    .language_version:
      - 2
      - 0
    .max_flat_workgroup_size: 1024
    .name:           _ZN7rocprim17ROCPRIM_400000_NS6detail17trampoline_kernelINS0_14default_configENS1_35radix_sort_onesweep_config_selectorIjNS0_10empty_typeEEEZZNS1_29radix_sort_onesweep_iterationIS3_Lb0EN6thrust23THRUST_200600_302600_NS6detail15normal_iteratorINS9_10device_ptrIjEEEESE_PS5_SF_jNS0_19identity_decomposerENS1_16block_id_wrapperIjLb1EEEEE10hipError_tT1_PNSt15iterator_traitsISK_E10value_typeET2_T3_PNSL_ISQ_E10value_typeET4_T5_PSV_SW_PNS1_23onesweep_lookback_stateEbbT6_jjT7_P12ihipStream_tbENKUlT_T0_SK_SP_E_clIPjSE_SF_SF_EEDaS13_S14_SK_SP_EUlS13_E_NS1_11comp_targetILNS1_3genE10ELNS1_11target_archE1201ELNS1_3gpuE5ELNS1_3repE0EEENS1_47radix_sort_onesweep_sort_config_static_selectorELNS0_4arch9wavefront6targetE1EEEvSK_
    .private_segment_fixed_size: 0
    .sgpr_count:     6
    .sgpr_spill_count: 0
    .symbol:         _ZN7rocprim17ROCPRIM_400000_NS6detail17trampoline_kernelINS0_14default_configENS1_35radix_sort_onesweep_config_selectorIjNS0_10empty_typeEEEZZNS1_29radix_sort_onesweep_iterationIS3_Lb0EN6thrust23THRUST_200600_302600_NS6detail15normal_iteratorINS9_10device_ptrIjEEEESE_PS5_SF_jNS0_19identity_decomposerENS1_16block_id_wrapperIjLb1EEEEE10hipError_tT1_PNSt15iterator_traitsISK_E10value_typeET2_T3_PNSL_ISQ_E10value_typeET4_T5_PSV_SW_PNS1_23onesweep_lookback_stateEbbT6_jjT7_P12ihipStream_tbENKUlT_T0_SK_SP_E_clIPjSE_SF_SF_EEDaS13_S14_SK_SP_EUlS13_E_NS1_11comp_targetILNS1_3genE10ELNS1_11target_archE1201ELNS1_3gpuE5ELNS1_3repE0EEENS1_47radix_sort_onesweep_sort_config_static_selectorELNS0_4arch9wavefront6targetE1EEEvSK_.kd
    .uniform_work_group_size: 1
    .uses_dynamic_stack: false
    .vgpr_count:     0
    .vgpr_spill_count: 0
    .wavefront_size: 64
  - .agpr_count:     0
    .args:
      - .offset:         0
        .size:           88
        .value_kind:     by_value
    .group_segment_fixed_size: 0
    .kernarg_segment_align: 8
    .kernarg_segment_size: 88
    .language:       OpenCL C
    .language_version:
      - 2
      - 0
    .max_flat_workgroup_size: 1024
    .name:           _ZN7rocprim17ROCPRIM_400000_NS6detail17trampoline_kernelINS0_14default_configENS1_35radix_sort_onesweep_config_selectorIjNS0_10empty_typeEEEZZNS1_29radix_sort_onesweep_iterationIS3_Lb0EN6thrust23THRUST_200600_302600_NS6detail15normal_iteratorINS9_10device_ptrIjEEEESE_PS5_SF_jNS0_19identity_decomposerENS1_16block_id_wrapperIjLb1EEEEE10hipError_tT1_PNSt15iterator_traitsISK_E10value_typeET2_T3_PNSL_ISQ_E10value_typeET4_T5_PSV_SW_PNS1_23onesweep_lookback_stateEbbT6_jjT7_P12ihipStream_tbENKUlT_T0_SK_SP_E_clIPjSE_SF_SF_EEDaS13_S14_SK_SP_EUlS13_E_NS1_11comp_targetILNS1_3genE9ELNS1_11target_archE1100ELNS1_3gpuE3ELNS1_3repE0EEENS1_47radix_sort_onesweep_sort_config_static_selectorELNS0_4arch9wavefront6targetE1EEEvSK_
    .private_segment_fixed_size: 0
    .sgpr_count:     6
    .sgpr_spill_count: 0
    .symbol:         _ZN7rocprim17ROCPRIM_400000_NS6detail17trampoline_kernelINS0_14default_configENS1_35radix_sort_onesweep_config_selectorIjNS0_10empty_typeEEEZZNS1_29radix_sort_onesweep_iterationIS3_Lb0EN6thrust23THRUST_200600_302600_NS6detail15normal_iteratorINS9_10device_ptrIjEEEESE_PS5_SF_jNS0_19identity_decomposerENS1_16block_id_wrapperIjLb1EEEEE10hipError_tT1_PNSt15iterator_traitsISK_E10value_typeET2_T3_PNSL_ISQ_E10value_typeET4_T5_PSV_SW_PNS1_23onesweep_lookback_stateEbbT6_jjT7_P12ihipStream_tbENKUlT_T0_SK_SP_E_clIPjSE_SF_SF_EEDaS13_S14_SK_SP_EUlS13_E_NS1_11comp_targetILNS1_3genE9ELNS1_11target_archE1100ELNS1_3gpuE3ELNS1_3repE0EEENS1_47radix_sort_onesweep_sort_config_static_selectorELNS0_4arch9wavefront6targetE1EEEvSK_.kd
    .uniform_work_group_size: 1
    .uses_dynamic_stack: false
    .vgpr_count:     0
    .vgpr_spill_count: 0
    .wavefront_size: 64
  - .agpr_count:     0
    .args:
      - .offset:         0
        .size:           88
        .value_kind:     by_value
    .group_segment_fixed_size: 0
    .kernarg_segment_align: 8
    .kernarg_segment_size: 88
    .language:       OpenCL C
    .language_version:
      - 2
      - 0
    .max_flat_workgroup_size: 1024
    .name:           _ZN7rocprim17ROCPRIM_400000_NS6detail17trampoline_kernelINS0_14default_configENS1_35radix_sort_onesweep_config_selectorIjNS0_10empty_typeEEEZZNS1_29radix_sort_onesweep_iterationIS3_Lb0EN6thrust23THRUST_200600_302600_NS6detail15normal_iteratorINS9_10device_ptrIjEEEESE_PS5_SF_jNS0_19identity_decomposerENS1_16block_id_wrapperIjLb1EEEEE10hipError_tT1_PNSt15iterator_traitsISK_E10value_typeET2_T3_PNSL_ISQ_E10value_typeET4_T5_PSV_SW_PNS1_23onesweep_lookback_stateEbbT6_jjT7_P12ihipStream_tbENKUlT_T0_SK_SP_E_clIPjSE_SF_SF_EEDaS13_S14_SK_SP_EUlS13_E_NS1_11comp_targetILNS1_3genE8ELNS1_11target_archE1030ELNS1_3gpuE2ELNS1_3repE0EEENS1_47radix_sort_onesweep_sort_config_static_selectorELNS0_4arch9wavefront6targetE1EEEvSK_
    .private_segment_fixed_size: 0
    .sgpr_count:     6
    .sgpr_spill_count: 0
    .symbol:         _ZN7rocprim17ROCPRIM_400000_NS6detail17trampoline_kernelINS0_14default_configENS1_35radix_sort_onesweep_config_selectorIjNS0_10empty_typeEEEZZNS1_29radix_sort_onesweep_iterationIS3_Lb0EN6thrust23THRUST_200600_302600_NS6detail15normal_iteratorINS9_10device_ptrIjEEEESE_PS5_SF_jNS0_19identity_decomposerENS1_16block_id_wrapperIjLb1EEEEE10hipError_tT1_PNSt15iterator_traitsISK_E10value_typeET2_T3_PNSL_ISQ_E10value_typeET4_T5_PSV_SW_PNS1_23onesweep_lookback_stateEbbT6_jjT7_P12ihipStream_tbENKUlT_T0_SK_SP_E_clIPjSE_SF_SF_EEDaS13_S14_SK_SP_EUlS13_E_NS1_11comp_targetILNS1_3genE8ELNS1_11target_archE1030ELNS1_3gpuE2ELNS1_3repE0EEENS1_47radix_sort_onesweep_sort_config_static_selectorELNS0_4arch9wavefront6targetE1EEEvSK_.kd
    .uniform_work_group_size: 1
    .uses_dynamic_stack: false
    .vgpr_count:     0
    .vgpr_spill_count: 0
    .wavefront_size: 64
  - .agpr_count:     0
    .args:
      - .offset:         0
        .size:           88
        .value_kind:     by_value
    .group_segment_fixed_size: 0
    .kernarg_segment_align: 8
    .kernarg_segment_size: 88
    .language:       OpenCL C
    .language_version:
      - 2
      - 0
    .max_flat_workgroup_size: 512
    .name:           _ZN7rocprim17ROCPRIM_400000_NS6detail17trampoline_kernelINS0_14default_configENS1_35radix_sort_onesweep_config_selectorIjNS0_10empty_typeEEEZZNS1_29radix_sort_onesweep_iterationIS3_Lb0EN6thrust23THRUST_200600_302600_NS6detail15normal_iteratorINS9_10device_ptrIjEEEESE_PS5_SF_jNS0_19identity_decomposerENS1_16block_id_wrapperIjLb0EEEEE10hipError_tT1_PNSt15iterator_traitsISK_E10value_typeET2_T3_PNSL_ISQ_E10value_typeET4_T5_PSV_SW_PNS1_23onesweep_lookback_stateEbbT6_jjT7_P12ihipStream_tbENKUlT_T0_SK_SP_E_clISE_SE_SF_SF_EEDaS13_S14_SK_SP_EUlS13_E_NS1_11comp_targetILNS1_3genE0ELNS1_11target_archE4294967295ELNS1_3gpuE0ELNS1_3repE0EEENS1_47radix_sort_onesweep_sort_config_static_selectorELNS0_4arch9wavefront6targetE1EEEvSK_
    .private_segment_fixed_size: 0
    .sgpr_count:     6
    .sgpr_spill_count: 0
    .symbol:         _ZN7rocprim17ROCPRIM_400000_NS6detail17trampoline_kernelINS0_14default_configENS1_35radix_sort_onesweep_config_selectorIjNS0_10empty_typeEEEZZNS1_29radix_sort_onesweep_iterationIS3_Lb0EN6thrust23THRUST_200600_302600_NS6detail15normal_iteratorINS9_10device_ptrIjEEEESE_PS5_SF_jNS0_19identity_decomposerENS1_16block_id_wrapperIjLb0EEEEE10hipError_tT1_PNSt15iterator_traitsISK_E10value_typeET2_T3_PNSL_ISQ_E10value_typeET4_T5_PSV_SW_PNS1_23onesweep_lookback_stateEbbT6_jjT7_P12ihipStream_tbENKUlT_T0_SK_SP_E_clISE_SE_SF_SF_EEDaS13_S14_SK_SP_EUlS13_E_NS1_11comp_targetILNS1_3genE0ELNS1_11target_archE4294967295ELNS1_3gpuE0ELNS1_3repE0EEENS1_47radix_sort_onesweep_sort_config_static_selectorELNS0_4arch9wavefront6targetE1EEEvSK_.kd
    .uniform_work_group_size: 1
    .uses_dynamic_stack: false
    .vgpr_count:     0
    .vgpr_spill_count: 0
    .wavefront_size: 64
  - .agpr_count:     0
    .args:
      - .offset:         0
        .size:           88
        .value_kind:     by_value
    .group_segment_fixed_size: 0
    .kernarg_segment_align: 8
    .kernarg_segment_size: 88
    .language:       OpenCL C
    .language_version:
      - 2
      - 0
    .max_flat_workgroup_size: 1024
    .name:           _ZN7rocprim17ROCPRIM_400000_NS6detail17trampoline_kernelINS0_14default_configENS1_35radix_sort_onesweep_config_selectorIjNS0_10empty_typeEEEZZNS1_29radix_sort_onesweep_iterationIS3_Lb0EN6thrust23THRUST_200600_302600_NS6detail15normal_iteratorINS9_10device_ptrIjEEEESE_PS5_SF_jNS0_19identity_decomposerENS1_16block_id_wrapperIjLb0EEEEE10hipError_tT1_PNSt15iterator_traitsISK_E10value_typeET2_T3_PNSL_ISQ_E10value_typeET4_T5_PSV_SW_PNS1_23onesweep_lookback_stateEbbT6_jjT7_P12ihipStream_tbENKUlT_T0_SK_SP_E_clISE_SE_SF_SF_EEDaS13_S14_SK_SP_EUlS13_E_NS1_11comp_targetILNS1_3genE6ELNS1_11target_archE950ELNS1_3gpuE13ELNS1_3repE0EEENS1_47radix_sort_onesweep_sort_config_static_selectorELNS0_4arch9wavefront6targetE1EEEvSK_
    .private_segment_fixed_size: 0
    .sgpr_count:     6
    .sgpr_spill_count: 0
    .symbol:         _ZN7rocprim17ROCPRIM_400000_NS6detail17trampoline_kernelINS0_14default_configENS1_35radix_sort_onesweep_config_selectorIjNS0_10empty_typeEEEZZNS1_29radix_sort_onesweep_iterationIS3_Lb0EN6thrust23THRUST_200600_302600_NS6detail15normal_iteratorINS9_10device_ptrIjEEEESE_PS5_SF_jNS0_19identity_decomposerENS1_16block_id_wrapperIjLb0EEEEE10hipError_tT1_PNSt15iterator_traitsISK_E10value_typeET2_T3_PNSL_ISQ_E10value_typeET4_T5_PSV_SW_PNS1_23onesweep_lookback_stateEbbT6_jjT7_P12ihipStream_tbENKUlT_T0_SK_SP_E_clISE_SE_SF_SF_EEDaS13_S14_SK_SP_EUlS13_E_NS1_11comp_targetILNS1_3genE6ELNS1_11target_archE950ELNS1_3gpuE13ELNS1_3repE0EEENS1_47radix_sort_onesweep_sort_config_static_selectorELNS0_4arch9wavefront6targetE1EEEvSK_.kd
    .uniform_work_group_size: 1
    .uses_dynamic_stack: false
    .vgpr_count:     0
    .vgpr_spill_count: 0
    .wavefront_size: 64
  - .agpr_count:     0
    .args:
      - .offset:         0
        .size:           88
        .value_kind:     by_value
      - .offset:         88
        .size:           4
        .value_kind:     hidden_block_count_x
      - .offset:         92
        .size:           4
        .value_kind:     hidden_block_count_y
      - .offset:         96
        .size:           4
        .value_kind:     hidden_block_count_z
      - .offset:         100
        .size:           2
        .value_kind:     hidden_group_size_x
      - .offset:         102
        .size:           2
        .value_kind:     hidden_group_size_y
      - .offset:         104
        .size:           2
        .value_kind:     hidden_group_size_z
      - .offset:         106
        .size:           2
        .value_kind:     hidden_remainder_x
      - .offset:         108
        .size:           2
        .value_kind:     hidden_remainder_y
      - .offset:         110
        .size:           2
        .value_kind:     hidden_remainder_z
      - .offset:         128
        .size:           8
        .value_kind:     hidden_global_offset_x
      - .offset:         136
        .size:           8
        .value_kind:     hidden_global_offset_y
      - .offset:         144
        .size:           8
        .value_kind:     hidden_global_offset_z
      - .offset:         152
        .size:           2
        .value_kind:     hidden_grid_dims
    .group_segment_fixed_size: 20552
    .kernarg_segment_align: 8
    .kernarg_segment_size: 344
    .language:       OpenCL C
    .language_version:
      - 2
      - 0
    .max_flat_workgroup_size: 1024
    .name:           _ZN7rocprim17ROCPRIM_400000_NS6detail17trampoline_kernelINS0_14default_configENS1_35radix_sort_onesweep_config_selectorIjNS0_10empty_typeEEEZZNS1_29radix_sort_onesweep_iterationIS3_Lb0EN6thrust23THRUST_200600_302600_NS6detail15normal_iteratorINS9_10device_ptrIjEEEESE_PS5_SF_jNS0_19identity_decomposerENS1_16block_id_wrapperIjLb0EEEEE10hipError_tT1_PNSt15iterator_traitsISK_E10value_typeET2_T3_PNSL_ISQ_E10value_typeET4_T5_PSV_SW_PNS1_23onesweep_lookback_stateEbbT6_jjT7_P12ihipStream_tbENKUlT_T0_SK_SP_E_clISE_SE_SF_SF_EEDaS13_S14_SK_SP_EUlS13_E_NS1_11comp_targetILNS1_3genE5ELNS1_11target_archE942ELNS1_3gpuE9ELNS1_3repE0EEENS1_47radix_sort_onesweep_sort_config_static_selectorELNS0_4arch9wavefront6targetE1EEEvSK_
    .private_segment_fixed_size: 0
    .sgpr_count:     36
    .sgpr_spill_count: 0
    .symbol:         _ZN7rocprim17ROCPRIM_400000_NS6detail17trampoline_kernelINS0_14default_configENS1_35radix_sort_onesweep_config_selectorIjNS0_10empty_typeEEEZZNS1_29radix_sort_onesweep_iterationIS3_Lb0EN6thrust23THRUST_200600_302600_NS6detail15normal_iteratorINS9_10device_ptrIjEEEESE_PS5_SF_jNS0_19identity_decomposerENS1_16block_id_wrapperIjLb0EEEEE10hipError_tT1_PNSt15iterator_traitsISK_E10value_typeET2_T3_PNSL_ISQ_E10value_typeET4_T5_PSV_SW_PNS1_23onesweep_lookback_stateEbbT6_jjT7_P12ihipStream_tbENKUlT_T0_SK_SP_E_clISE_SE_SF_SF_EEDaS13_S14_SK_SP_EUlS13_E_NS1_11comp_targetILNS1_3genE5ELNS1_11target_archE942ELNS1_3gpuE9ELNS1_3repE0EEENS1_47radix_sort_onesweep_sort_config_static_selectorELNS0_4arch9wavefront6targetE1EEEvSK_.kd
    .uniform_work_group_size: 1
    .uses_dynamic_stack: false
    .vgpr_count:     46
    .vgpr_spill_count: 0
    .wavefront_size: 64
  - .agpr_count:     0
    .args:
      - .offset:         0
        .size:           88
        .value_kind:     by_value
    .group_segment_fixed_size: 0
    .kernarg_segment_align: 8
    .kernarg_segment_size: 88
    .language:       OpenCL C
    .language_version:
      - 2
      - 0
    .max_flat_workgroup_size: 1024
    .name:           _ZN7rocprim17ROCPRIM_400000_NS6detail17trampoline_kernelINS0_14default_configENS1_35radix_sort_onesweep_config_selectorIjNS0_10empty_typeEEEZZNS1_29radix_sort_onesweep_iterationIS3_Lb0EN6thrust23THRUST_200600_302600_NS6detail15normal_iteratorINS9_10device_ptrIjEEEESE_PS5_SF_jNS0_19identity_decomposerENS1_16block_id_wrapperIjLb0EEEEE10hipError_tT1_PNSt15iterator_traitsISK_E10value_typeET2_T3_PNSL_ISQ_E10value_typeET4_T5_PSV_SW_PNS1_23onesweep_lookback_stateEbbT6_jjT7_P12ihipStream_tbENKUlT_T0_SK_SP_E_clISE_SE_SF_SF_EEDaS13_S14_SK_SP_EUlS13_E_NS1_11comp_targetILNS1_3genE2ELNS1_11target_archE906ELNS1_3gpuE6ELNS1_3repE0EEENS1_47radix_sort_onesweep_sort_config_static_selectorELNS0_4arch9wavefront6targetE1EEEvSK_
    .private_segment_fixed_size: 0
    .sgpr_count:     6
    .sgpr_spill_count: 0
    .symbol:         _ZN7rocprim17ROCPRIM_400000_NS6detail17trampoline_kernelINS0_14default_configENS1_35radix_sort_onesweep_config_selectorIjNS0_10empty_typeEEEZZNS1_29radix_sort_onesweep_iterationIS3_Lb0EN6thrust23THRUST_200600_302600_NS6detail15normal_iteratorINS9_10device_ptrIjEEEESE_PS5_SF_jNS0_19identity_decomposerENS1_16block_id_wrapperIjLb0EEEEE10hipError_tT1_PNSt15iterator_traitsISK_E10value_typeET2_T3_PNSL_ISQ_E10value_typeET4_T5_PSV_SW_PNS1_23onesweep_lookback_stateEbbT6_jjT7_P12ihipStream_tbENKUlT_T0_SK_SP_E_clISE_SE_SF_SF_EEDaS13_S14_SK_SP_EUlS13_E_NS1_11comp_targetILNS1_3genE2ELNS1_11target_archE906ELNS1_3gpuE6ELNS1_3repE0EEENS1_47radix_sort_onesweep_sort_config_static_selectorELNS0_4arch9wavefront6targetE1EEEvSK_.kd
    .uniform_work_group_size: 1
    .uses_dynamic_stack: false
    .vgpr_count:     0
    .vgpr_spill_count: 0
    .wavefront_size: 64
  - .agpr_count:     0
    .args:
      - .offset:         0
        .size:           88
        .value_kind:     by_value
    .group_segment_fixed_size: 0
    .kernarg_segment_align: 8
    .kernarg_segment_size: 88
    .language:       OpenCL C
    .language_version:
      - 2
      - 0
    .max_flat_workgroup_size: 1024
    .name:           _ZN7rocprim17ROCPRIM_400000_NS6detail17trampoline_kernelINS0_14default_configENS1_35radix_sort_onesweep_config_selectorIjNS0_10empty_typeEEEZZNS1_29radix_sort_onesweep_iterationIS3_Lb0EN6thrust23THRUST_200600_302600_NS6detail15normal_iteratorINS9_10device_ptrIjEEEESE_PS5_SF_jNS0_19identity_decomposerENS1_16block_id_wrapperIjLb0EEEEE10hipError_tT1_PNSt15iterator_traitsISK_E10value_typeET2_T3_PNSL_ISQ_E10value_typeET4_T5_PSV_SW_PNS1_23onesweep_lookback_stateEbbT6_jjT7_P12ihipStream_tbENKUlT_T0_SK_SP_E_clISE_SE_SF_SF_EEDaS13_S14_SK_SP_EUlS13_E_NS1_11comp_targetILNS1_3genE4ELNS1_11target_archE910ELNS1_3gpuE8ELNS1_3repE0EEENS1_47radix_sort_onesweep_sort_config_static_selectorELNS0_4arch9wavefront6targetE1EEEvSK_
    .private_segment_fixed_size: 0
    .sgpr_count:     6
    .sgpr_spill_count: 0
    .symbol:         _ZN7rocprim17ROCPRIM_400000_NS6detail17trampoline_kernelINS0_14default_configENS1_35radix_sort_onesweep_config_selectorIjNS0_10empty_typeEEEZZNS1_29radix_sort_onesweep_iterationIS3_Lb0EN6thrust23THRUST_200600_302600_NS6detail15normal_iteratorINS9_10device_ptrIjEEEESE_PS5_SF_jNS0_19identity_decomposerENS1_16block_id_wrapperIjLb0EEEEE10hipError_tT1_PNSt15iterator_traitsISK_E10value_typeET2_T3_PNSL_ISQ_E10value_typeET4_T5_PSV_SW_PNS1_23onesweep_lookback_stateEbbT6_jjT7_P12ihipStream_tbENKUlT_T0_SK_SP_E_clISE_SE_SF_SF_EEDaS13_S14_SK_SP_EUlS13_E_NS1_11comp_targetILNS1_3genE4ELNS1_11target_archE910ELNS1_3gpuE8ELNS1_3repE0EEENS1_47radix_sort_onesweep_sort_config_static_selectorELNS0_4arch9wavefront6targetE1EEEvSK_.kd
    .uniform_work_group_size: 1
    .uses_dynamic_stack: false
    .vgpr_count:     0
    .vgpr_spill_count: 0
    .wavefront_size: 64
  - .agpr_count:     0
    .args:
      - .offset:         0
        .size:           88
        .value_kind:     by_value
    .group_segment_fixed_size: 0
    .kernarg_segment_align: 8
    .kernarg_segment_size: 88
    .language:       OpenCL C
    .language_version:
      - 2
      - 0
    .max_flat_workgroup_size: 512
    .name:           _ZN7rocprim17ROCPRIM_400000_NS6detail17trampoline_kernelINS0_14default_configENS1_35radix_sort_onesweep_config_selectorIjNS0_10empty_typeEEEZZNS1_29radix_sort_onesweep_iterationIS3_Lb0EN6thrust23THRUST_200600_302600_NS6detail15normal_iteratorINS9_10device_ptrIjEEEESE_PS5_SF_jNS0_19identity_decomposerENS1_16block_id_wrapperIjLb0EEEEE10hipError_tT1_PNSt15iterator_traitsISK_E10value_typeET2_T3_PNSL_ISQ_E10value_typeET4_T5_PSV_SW_PNS1_23onesweep_lookback_stateEbbT6_jjT7_P12ihipStream_tbENKUlT_T0_SK_SP_E_clISE_SE_SF_SF_EEDaS13_S14_SK_SP_EUlS13_E_NS1_11comp_targetILNS1_3genE3ELNS1_11target_archE908ELNS1_3gpuE7ELNS1_3repE0EEENS1_47radix_sort_onesweep_sort_config_static_selectorELNS0_4arch9wavefront6targetE1EEEvSK_
    .private_segment_fixed_size: 0
    .sgpr_count:     6
    .sgpr_spill_count: 0
    .symbol:         _ZN7rocprim17ROCPRIM_400000_NS6detail17trampoline_kernelINS0_14default_configENS1_35radix_sort_onesweep_config_selectorIjNS0_10empty_typeEEEZZNS1_29radix_sort_onesweep_iterationIS3_Lb0EN6thrust23THRUST_200600_302600_NS6detail15normal_iteratorINS9_10device_ptrIjEEEESE_PS5_SF_jNS0_19identity_decomposerENS1_16block_id_wrapperIjLb0EEEEE10hipError_tT1_PNSt15iterator_traitsISK_E10value_typeET2_T3_PNSL_ISQ_E10value_typeET4_T5_PSV_SW_PNS1_23onesweep_lookback_stateEbbT6_jjT7_P12ihipStream_tbENKUlT_T0_SK_SP_E_clISE_SE_SF_SF_EEDaS13_S14_SK_SP_EUlS13_E_NS1_11comp_targetILNS1_3genE3ELNS1_11target_archE908ELNS1_3gpuE7ELNS1_3repE0EEENS1_47radix_sort_onesweep_sort_config_static_selectorELNS0_4arch9wavefront6targetE1EEEvSK_.kd
    .uniform_work_group_size: 1
    .uses_dynamic_stack: false
    .vgpr_count:     0
    .vgpr_spill_count: 0
    .wavefront_size: 64
  - .agpr_count:     0
    .args:
      - .offset:         0
        .size:           88
        .value_kind:     by_value
    .group_segment_fixed_size: 0
    .kernarg_segment_align: 8
    .kernarg_segment_size: 88
    .language:       OpenCL C
    .language_version:
      - 2
      - 0
    .max_flat_workgroup_size: 1024
    .name:           _ZN7rocprim17ROCPRIM_400000_NS6detail17trampoline_kernelINS0_14default_configENS1_35radix_sort_onesweep_config_selectorIjNS0_10empty_typeEEEZZNS1_29radix_sort_onesweep_iterationIS3_Lb0EN6thrust23THRUST_200600_302600_NS6detail15normal_iteratorINS9_10device_ptrIjEEEESE_PS5_SF_jNS0_19identity_decomposerENS1_16block_id_wrapperIjLb0EEEEE10hipError_tT1_PNSt15iterator_traitsISK_E10value_typeET2_T3_PNSL_ISQ_E10value_typeET4_T5_PSV_SW_PNS1_23onesweep_lookback_stateEbbT6_jjT7_P12ihipStream_tbENKUlT_T0_SK_SP_E_clISE_SE_SF_SF_EEDaS13_S14_SK_SP_EUlS13_E_NS1_11comp_targetILNS1_3genE10ELNS1_11target_archE1201ELNS1_3gpuE5ELNS1_3repE0EEENS1_47radix_sort_onesweep_sort_config_static_selectorELNS0_4arch9wavefront6targetE1EEEvSK_
    .private_segment_fixed_size: 0
    .sgpr_count:     6
    .sgpr_spill_count: 0
    .symbol:         _ZN7rocprim17ROCPRIM_400000_NS6detail17trampoline_kernelINS0_14default_configENS1_35radix_sort_onesweep_config_selectorIjNS0_10empty_typeEEEZZNS1_29radix_sort_onesweep_iterationIS3_Lb0EN6thrust23THRUST_200600_302600_NS6detail15normal_iteratorINS9_10device_ptrIjEEEESE_PS5_SF_jNS0_19identity_decomposerENS1_16block_id_wrapperIjLb0EEEEE10hipError_tT1_PNSt15iterator_traitsISK_E10value_typeET2_T3_PNSL_ISQ_E10value_typeET4_T5_PSV_SW_PNS1_23onesweep_lookback_stateEbbT6_jjT7_P12ihipStream_tbENKUlT_T0_SK_SP_E_clISE_SE_SF_SF_EEDaS13_S14_SK_SP_EUlS13_E_NS1_11comp_targetILNS1_3genE10ELNS1_11target_archE1201ELNS1_3gpuE5ELNS1_3repE0EEENS1_47radix_sort_onesweep_sort_config_static_selectorELNS0_4arch9wavefront6targetE1EEEvSK_.kd
    .uniform_work_group_size: 1
    .uses_dynamic_stack: false
    .vgpr_count:     0
    .vgpr_spill_count: 0
    .wavefront_size: 64
  - .agpr_count:     0
    .args:
      - .offset:         0
        .size:           88
        .value_kind:     by_value
    .group_segment_fixed_size: 0
    .kernarg_segment_align: 8
    .kernarg_segment_size: 88
    .language:       OpenCL C
    .language_version:
      - 2
      - 0
    .max_flat_workgroup_size: 1024
    .name:           _ZN7rocprim17ROCPRIM_400000_NS6detail17trampoline_kernelINS0_14default_configENS1_35radix_sort_onesweep_config_selectorIjNS0_10empty_typeEEEZZNS1_29radix_sort_onesweep_iterationIS3_Lb0EN6thrust23THRUST_200600_302600_NS6detail15normal_iteratorINS9_10device_ptrIjEEEESE_PS5_SF_jNS0_19identity_decomposerENS1_16block_id_wrapperIjLb0EEEEE10hipError_tT1_PNSt15iterator_traitsISK_E10value_typeET2_T3_PNSL_ISQ_E10value_typeET4_T5_PSV_SW_PNS1_23onesweep_lookback_stateEbbT6_jjT7_P12ihipStream_tbENKUlT_T0_SK_SP_E_clISE_SE_SF_SF_EEDaS13_S14_SK_SP_EUlS13_E_NS1_11comp_targetILNS1_3genE9ELNS1_11target_archE1100ELNS1_3gpuE3ELNS1_3repE0EEENS1_47radix_sort_onesweep_sort_config_static_selectorELNS0_4arch9wavefront6targetE1EEEvSK_
    .private_segment_fixed_size: 0
    .sgpr_count:     6
    .sgpr_spill_count: 0
    .symbol:         _ZN7rocprim17ROCPRIM_400000_NS6detail17trampoline_kernelINS0_14default_configENS1_35radix_sort_onesweep_config_selectorIjNS0_10empty_typeEEEZZNS1_29radix_sort_onesweep_iterationIS3_Lb0EN6thrust23THRUST_200600_302600_NS6detail15normal_iteratorINS9_10device_ptrIjEEEESE_PS5_SF_jNS0_19identity_decomposerENS1_16block_id_wrapperIjLb0EEEEE10hipError_tT1_PNSt15iterator_traitsISK_E10value_typeET2_T3_PNSL_ISQ_E10value_typeET4_T5_PSV_SW_PNS1_23onesweep_lookback_stateEbbT6_jjT7_P12ihipStream_tbENKUlT_T0_SK_SP_E_clISE_SE_SF_SF_EEDaS13_S14_SK_SP_EUlS13_E_NS1_11comp_targetILNS1_3genE9ELNS1_11target_archE1100ELNS1_3gpuE3ELNS1_3repE0EEENS1_47radix_sort_onesweep_sort_config_static_selectorELNS0_4arch9wavefront6targetE1EEEvSK_.kd
    .uniform_work_group_size: 1
    .uses_dynamic_stack: false
    .vgpr_count:     0
    .vgpr_spill_count: 0
    .wavefront_size: 64
  - .agpr_count:     0
    .args:
      - .offset:         0
        .size:           88
        .value_kind:     by_value
    .group_segment_fixed_size: 0
    .kernarg_segment_align: 8
    .kernarg_segment_size: 88
    .language:       OpenCL C
    .language_version:
      - 2
      - 0
    .max_flat_workgroup_size: 1024
    .name:           _ZN7rocprim17ROCPRIM_400000_NS6detail17trampoline_kernelINS0_14default_configENS1_35radix_sort_onesweep_config_selectorIjNS0_10empty_typeEEEZZNS1_29radix_sort_onesweep_iterationIS3_Lb0EN6thrust23THRUST_200600_302600_NS6detail15normal_iteratorINS9_10device_ptrIjEEEESE_PS5_SF_jNS0_19identity_decomposerENS1_16block_id_wrapperIjLb0EEEEE10hipError_tT1_PNSt15iterator_traitsISK_E10value_typeET2_T3_PNSL_ISQ_E10value_typeET4_T5_PSV_SW_PNS1_23onesweep_lookback_stateEbbT6_jjT7_P12ihipStream_tbENKUlT_T0_SK_SP_E_clISE_SE_SF_SF_EEDaS13_S14_SK_SP_EUlS13_E_NS1_11comp_targetILNS1_3genE8ELNS1_11target_archE1030ELNS1_3gpuE2ELNS1_3repE0EEENS1_47radix_sort_onesweep_sort_config_static_selectorELNS0_4arch9wavefront6targetE1EEEvSK_
    .private_segment_fixed_size: 0
    .sgpr_count:     6
    .sgpr_spill_count: 0
    .symbol:         _ZN7rocprim17ROCPRIM_400000_NS6detail17trampoline_kernelINS0_14default_configENS1_35radix_sort_onesweep_config_selectorIjNS0_10empty_typeEEEZZNS1_29radix_sort_onesweep_iterationIS3_Lb0EN6thrust23THRUST_200600_302600_NS6detail15normal_iteratorINS9_10device_ptrIjEEEESE_PS5_SF_jNS0_19identity_decomposerENS1_16block_id_wrapperIjLb0EEEEE10hipError_tT1_PNSt15iterator_traitsISK_E10value_typeET2_T3_PNSL_ISQ_E10value_typeET4_T5_PSV_SW_PNS1_23onesweep_lookback_stateEbbT6_jjT7_P12ihipStream_tbENKUlT_T0_SK_SP_E_clISE_SE_SF_SF_EEDaS13_S14_SK_SP_EUlS13_E_NS1_11comp_targetILNS1_3genE8ELNS1_11target_archE1030ELNS1_3gpuE2ELNS1_3repE0EEENS1_47radix_sort_onesweep_sort_config_static_selectorELNS0_4arch9wavefront6targetE1EEEvSK_.kd
    .uniform_work_group_size: 1
    .uses_dynamic_stack: false
    .vgpr_count:     0
    .vgpr_spill_count: 0
    .wavefront_size: 64
  - .agpr_count:     0
    .args:
      - .offset:         0
        .size:           88
        .value_kind:     by_value
    .group_segment_fixed_size: 0
    .kernarg_segment_align: 8
    .kernarg_segment_size: 88
    .language:       OpenCL C
    .language_version:
      - 2
      - 0
    .max_flat_workgroup_size: 512
    .name:           _ZN7rocprim17ROCPRIM_400000_NS6detail17trampoline_kernelINS0_14default_configENS1_35radix_sort_onesweep_config_selectorIjNS0_10empty_typeEEEZZNS1_29radix_sort_onesweep_iterationIS3_Lb0EN6thrust23THRUST_200600_302600_NS6detail15normal_iteratorINS9_10device_ptrIjEEEESE_PS5_SF_jNS0_19identity_decomposerENS1_16block_id_wrapperIjLb0EEEEE10hipError_tT1_PNSt15iterator_traitsISK_E10value_typeET2_T3_PNSL_ISQ_E10value_typeET4_T5_PSV_SW_PNS1_23onesweep_lookback_stateEbbT6_jjT7_P12ihipStream_tbENKUlT_T0_SK_SP_E_clISE_PjSF_SF_EEDaS13_S14_SK_SP_EUlS13_E_NS1_11comp_targetILNS1_3genE0ELNS1_11target_archE4294967295ELNS1_3gpuE0ELNS1_3repE0EEENS1_47radix_sort_onesweep_sort_config_static_selectorELNS0_4arch9wavefront6targetE1EEEvSK_
    .private_segment_fixed_size: 0
    .sgpr_count:     6
    .sgpr_spill_count: 0
    .symbol:         _ZN7rocprim17ROCPRIM_400000_NS6detail17trampoline_kernelINS0_14default_configENS1_35radix_sort_onesweep_config_selectorIjNS0_10empty_typeEEEZZNS1_29radix_sort_onesweep_iterationIS3_Lb0EN6thrust23THRUST_200600_302600_NS6detail15normal_iteratorINS9_10device_ptrIjEEEESE_PS5_SF_jNS0_19identity_decomposerENS1_16block_id_wrapperIjLb0EEEEE10hipError_tT1_PNSt15iterator_traitsISK_E10value_typeET2_T3_PNSL_ISQ_E10value_typeET4_T5_PSV_SW_PNS1_23onesweep_lookback_stateEbbT6_jjT7_P12ihipStream_tbENKUlT_T0_SK_SP_E_clISE_PjSF_SF_EEDaS13_S14_SK_SP_EUlS13_E_NS1_11comp_targetILNS1_3genE0ELNS1_11target_archE4294967295ELNS1_3gpuE0ELNS1_3repE0EEENS1_47radix_sort_onesweep_sort_config_static_selectorELNS0_4arch9wavefront6targetE1EEEvSK_.kd
    .uniform_work_group_size: 1
    .uses_dynamic_stack: false
    .vgpr_count:     0
    .vgpr_spill_count: 0
    .wavefront_size: 64
  - .agpr_count:     0
    .args:
      - .offset:         0
        .size:           88
        .value_kind:     by_value
    .group_segment_fixed_size: 0
    .kernarg_segment_align: 8
    .kernarg_segment_size: 88
    .language:       OpenCL C
    .language_version:
      - 2
      - 0
    .max_flat_workgroup_size: 1024
    .name:           _ZN7rocprim17ROCPRIM_400000_NS6detail17trampoline_kernelINS0_14default_configENS1_35radix_sort_onesweep_config_selectorIjNS0_10empty_typeEEEZZNS1_29radix_sort_onesweep_iterationIS3_Lb0EN6thrust23THRUST_200600_302600_NS6detail15normal_iteratorINS9_10device_ptrIjEEEESE_PS5_SF_jNS0_19identity_decomposerENS1_16block_id_wrapperIjLb0EEEEE10hipError_tT1_PNSt15iterator_traitsISK_E10value_typeET2_T3_PNSL_ISQ_E10value_typeET4_T5_PSV_SW_PNS1_23onesweep_lookback_stateEbbT6_jjT7_P12ihipStream_tbENKUlT_T0_SK_SP_E_clISE_PjSF_SF_EEDaS13_S14_SK_SP_EUlS13_E_NS1_11comp_targetILNS1_3genE6ELNS1_11target_archE950ELNS1_3gpuE13ELNS1_3repE0EEENS1_47radix_sort_onesweep_sort_config_static_selectorELNS0_4arch9wavefront6targetE1EEEvSK_
    .private_segment_fixed_size: 0
    .sgpr_count:     6
    .sgpr_spill_count: 0
    .symbol:         _ZN7rocprim17ROCPRIM_400000_NS6detail17trampoline_kernelINS0_14default_configENS1_35radix_sort_onesweep_config_selectorIjNS0_10empty_typeEEEZZNS1_29radix_sort_onesweep_iterationIS3_Lb0EN6thrust23THRUST_200600_302600_NS6detail15normal_iteratorINS9_10device_ptrIjEEEESE_PS5_SF_jNS0_19identity_decomposerENS1_16block_id_wrapperIjLb0EEEEE10hipError_tT1_PNSt15iterator_traitsISK_E10value_typeET2_T3_PNSL_ISQ_E10value_typeET4_T5_PSV_SW_PNS1_23onesweep_lookback_stateEbbT6_jjT7_P12ihipStream_tbENKUlT_T0_SK_SP_E_clISE_PjSF_SF_EEDaS13_S14_SK_SP_EUlS13_E_NS1_11comp_targetILNS1_3genE6ELNS1_11target_archE950ELNS1_3gpuE13ELNS1_3repE0EEENS1_47radix_sort_onesweep_sort_config_static_selectorELNS0_4arch9wavefront6targetE1EEEvSK_.kd
    .uniform_work_group_size: 1
    .uses_dynamic_stack: false
    .vgpr_count:     0
    .vgpr_spill_count: 0
    .wavefront_size: 64
  - .agpr_count:     0
    .args:
      - .offset:         0
        .size:           88
        .value_kind:     by_value
      - .offset:         88
        .size:           4
        .value_kind:     hidden_block_count_x
      - .offset:         92
        .size:           4
        .value_kind:     hidden_block_count_y
      - .offset:         96
        .size:           4
        .value_kind:     hidden_block_count_z
      - .offset:         100
        .size:           2
        .value_kind:     hidden_group_size_x
      - .offset:         102
        .size:           2
        .value_kind:     hidden_group_size_y
      - .offset:         104
        .size:           2
        .value_kind:     hidden_group_size_z
      - .offset:         106
        .size:           2
        .value_kind:     hidden_remainder_x
      - .offset:         108
        .size:           2
        .value_kind:     hidden_remainder_y
      - .offset:         110
        .size:           2
        .value_kind:     hidden_remainder_z
      - .offset:         128
        .size:           8
        .value_kind:     hidden_global_offset_x
      - .offset:         136
        .size:           8
        .value_kind:     hidden_global_offset_y
      - .offset:         144
        .size:           8
        .value_kind:     hidden_global_offset_z
      - .offset:         152
        .size:           2
        .value_kind:     hidden_grid_dims
    .group_segment_fixed_size: 20552
    .kernarg_segment_align: 8
    .kernarg_segment_size: 344
    .language:       OpenCL C
    .language_version:
      - 2
      - 0
    .max_flat_workgroup_size: 1024
    .name:           _ZN7rocprim17ROCPRIM_400000_NS6detail17trampoline_kernelINS0_14default_configENS1_35radix_sort_onesweep_config_selectorIjNS0_10empty_typeEEEZZNS1_29radix_sort_onesweep_iterationIS3_Lb0EN6thrust23THRUST_200600_302600_NS6detail15normal_iteratorINS9_10device_ptrIjEEEESE_PS5_SF_jNS0_19identity_decomposerENS1_16block_id_wrapperIjLb0EEEEE10hipError_tT1_PNSt15iterator_traitsISK_E10value_typeET2_T3_PNSL_ISQ_E10value_typeET4_T5_PSV_SW_PNS1_23onesweep_lookback_stateEbbT6_jjT7_P12ihipStream_tbENKUlT_T0_SK_SP_E_clISE_PjSF_SF_EEDaS13_S14_SK_SP_EUlS13_E_NS1_11comp_targetILNS1_3genE5ELNS1_11target_archE942ELNS1_3gpuE9ELNS1_3repE0EEENS1_47radix_sort_onesweep_sort_config_static_selectorELNS0_4arch9wavefront6targetE1EEEvSK_
    .private_segment_fixed_size: 0
    .sgpr_count:     36
    .sgpr_spill_count: 0
    .symbol:         _ZN7rocprim17ROCPRIM_400000_NS6detail17trampoline_kernelINS0_14default_configENS1_35radix_sort_onesweep_config_selectorIjNS0_10empty_typeEEEZZNS1_29radix_sort_onesweep_iterationIS3_Lb0EN6thrust23THRUST_200600_302600_NS6detail15normal_iteratorINS9_10device_ptrIjEEEESE_PS5_SF_jNS0_19identity_decomposerENS1_16block_id_wrapperIjLb0EEEEE10hipError_tT1_PNSt15iterator_traitsISK_E10value_typeET2_T3_PNSL_ISQ_E10value_typeET4_T5_PSV_SW_PNS1_23onesweep_lookback_stateEbbT6_jjT7_P12ihipStream_tbENKUlT_T0_SK_SP_E_clISE_PjSF_SF_EEDaS13_S14_SK_SP_EUlS13_E_NS1_11comp_targetILNS1_3genE5ELNS1_11target_archE942ELNS1_3gpuE9ELNS1_3repE0EEENS1_47radix_sort_onesweep_sort_config_static_selectorELNS0_4arch9wavefront6targetE1EEEvSK_.kd
    .uniform_work_group_size: 1
    .uses_dynamic_stack: false
    .vgpr_count:     46
    .vgpr_spill_count: 0
    .wavefront_size: 64
  - .agpr_count:     0
    .args:
      - .offset:         0
        .size:           88
        .value_kind:     by_value
    .group_segment_fixed_size: 0
    .kernarg_segment_align: 8
    .kernarg_segment_size: 88
    .language:       OpenCL C
    .language_version:
      - 2
      - 0
    .max_flat_workgroup_size: 1024
    .name:           _ZN7rocprim17ROCPRIM_400000_NS6detail17trampoline_kernelINS0_14default_configENS1_35radix_sort_onesweep_config_selectorIjNS0_10empty_typeEEEZZNS1_29radix_sort_onesweep_iterationIS3_Lb0EN6thrust23THRUST_200600_302600_NS6detail15normal_iteratorINS9_10device_ptrIjEEEESE_PS5_SF_jNS0_19identity_decomposerENS1_16block_id_wrapperIjLb0EEEEE10hipError_tT1_PNSt15iterator_traitsISK_E10value_typeET2_T3_PNSL_ISQ_E10value_typeET4_T5_PSV_SW_PNS1_23onesweep_lookback_stateEbbT6_jjT7_P12ihipStream_tbENKUlT_T0_SK_SP_E_clISE_PjSF_SF_EEDaS13_S14_SK_SP_EUlS13_E_NS1_11comp_targetILNS1_3genE2ELNS1_11target_archE906ELNS1_3gpuE6ELNS1_3repE0EEENS1_47radix_sort_onesweep_sort_config_static_selectorELNS0_4arch9wavefront6targetE1EEEvSK_
    .private_segment_fixed_size: 0
    .sgpr_count:     6
    .sgpr_spill_count: 0
    .symbol:         _ZN7rocprim17ROCPRIM_400000_NS6detail17trampoline_kernelINS0_14default_configENS1_35radix_sort_onesweep_config_selectorIjNS0_10empty_typeEEEZZNS1_29radix_sort_onesweep_iterationIS3_Lb0EN6thrust23THRUST_200600_302600_NS6detail15normal_iteratorINS9_10device_ptrIjEEEESE_PS5_SF_jNS0_19identity_decomposerENS1_16block_id_wrapperIjLb0EEEEE10hipError_tT1_PNSt15iterator_traitsISK_E10value_typeET2_T3_PNSL_ISQ_E10value_typeET4_T5_PSV_SW_PNS1_23onesweep_lookback_stateEbbT6_jjT7_P12ihipStream_tbENKUlT_T0_SK_SP_E_clISE_PjSF_SF_EEDaS13_S14_SK_SP_EUlS13_E_NS1_11comp_targetILNS1_3genE2ELNS1_11target_archE906ELNS1_3gpuE6ELNS1_3repE0EEENS1_47radix_sort_onesweep_sort_config_static_selectorELNS0_4arch9wavefront6targetE1EEEvSK_.kd
    .uniform_work_group_size: 1
    .uses_dynamic_stack: false
    .vgpr_count:     0
    .vgpr_spill_count: 0
    .wavefront_size: 64
  - .agpr_count:     0
    .args:
      - .offset:         0
        .size:           88
        .value_kind:     by_value
    .group_segment_fixed_size: 0
    .kernarg_segment_align: 8
    .kernarg_segment_size: 88
    .language:       OpenCL C
    .language_version:
      - 2
      - 0
    .max_flat_workgroup_size: 1024
    .name:           _ZN7rocprim17ROCPRIM_400000_NS6detail17trampoline_kernelINS0_14default_configENS1_35radix_sort_onesweep_config_selectorIjNS0_10empty_typeEEEZZNS1_29radix_sort_onesweep_iterationIS3_Lb0EN6thrust23THRUST_200600_302600_NS6detail15normal_iteratorINS9_10device_ptrIjEEEESE_PS5_SF_jNS0_19identity_decomposerENS1_16block_id_wrapperIjLb0EEEEE10hipError_tT1_PNSt15iterator_traitsISK_E10value_typeET2_T3_PNSL_ISQ_E10value_typeET4_T5_PSV_SW_PNS1_23onesweep_lookback_stateEbbT6_jjT7_P12ihipStream_tbENKUlT_T0_SK_SP_E_clISE_PjSF_SF_EEDaS13_S14_SK_SP_EUlS13_E_NS1_11comp_targetILNS1_3genE4ELNS1_11target_archE910ELNS1_3gpuE8ELNS1_3repE0EEENS1_47radix_sort_onesweep_sort_config_static_selectorELNS0_4arch9wavefront6targetE1EEEvSK_
    .private_segment_fixed_size: 0
    .sgpr_count:     6
    .sgpr_spill_count: 0
    .symbol:         _ZN7rocprim17ROCPRIM_400000_NS6detail17trampoline_kernelINS0_14default_configENS1_35radix_sort_onesweep_config_selectorIjNS0_10empty_typeEEEZZNS1_29radix_sort_onesweep_iterationIS3_Lb0EN6thrust23THRUST_200600_302600_NS6detail15normal_iteratorINS9_10device_ptrIjEEEESE_PS5_SF_jNS0_19identity_decomposerENS1_16block_id_wrapperIjLb0EEEEE10hipError_tT1_PNSt15iterator_traitsISK_E10value_typeET2_T3_PNSL_ISQ_E10value_typeET4_T5_PSV_SW_PNS1_23onesweep_lookback_stateEbbT6_jjT7_P12ihipStream_tbENKUlT_T0_SK_SP_E_clISE_PjSF_SF_EEDaS13_S14_SK_SP_EUlS13_E_NS1_11comp_targetILNS1_3genE4ELNS1_11target_archE910ELNS1_3gpuE8ELNS1_3repE0EEENS1_47radix_sort_onesweep_sort_config_static_selectorELNS0_4arch9wavefront6targetE1EEEvSK_.kd
    .uniform_work_group_size: 1
    .uses_dynamic_stack: false
    .vgpr_count:     0
    .vgpr_spill_count: 0
    .wavefront_size: 64
  - .agpr_count:     0
    .args:
      - .offset:         0
        .size:           88
        .value_kind:     by_value
    .group_segment_fixed_size: 0
    .kernarg_segment_align: 8
    .kernarg_segment_size: 88
    .language:       OpenCL C
    .language_version:
      - 2
      - 0
    .max_flat_workgroup_size: 512
    .name:           _ZN7rocprim17ROCPRIM_400000_NS6detail17trampoline_kernelINS0_14default_configENS1_35radix_sort_onesweep_config_selectorIjNS0_10empty_typeEEEZZNS1_29radix_sort_onesweep_iterationIS3_Lb0EN6thrust23THRUST_200600_302600_NS6detail15normal_iteratorINS9_10device_ptrIjEEEESE_PS5_SF_jNS0_19identity_decomposerENS1_16block_id_wrapperIjLb0EEEEE10hipError_tT1_PNSt15iterator_traitsISK_E10value_typeET2_T3_PNSL_ISQ_E10value_typeET4_T5_PSV_SW_PNS1_23onesweep_lookback_stateEbbT6_jjT7_P12ihipStream_tbENKUlT_T0_SK_SP_E_clISE_PjSF_SF_EEDaS13_S14_SK_SP_EUlS13_E_NS1_11comp_targetILNS1_3genE3ELNS1_11target_archE908ELNS1_3gpuE7ELNS1_3repE0EEENS1_47radix_sort_onesweep_sort_config_static_selectorELNS0_4arch9wavefront6targetE1EEEvSK_
    .private_segment_fixed_size: 0
    .sgpr_count:     6
    .sgpr_spill_count: 0
    .symbol:         _ZN7rocprim17ROCPRIM_400000_NS6detail17trampoline_kernelINS0_14default_configENS1_35radix_sort_onesweep_config_selectorIjNS0_10empty_typeEEEZZNS1_29radix_sort_onesweep_iterationIS3_Lb0EN6thrust23THRUST_200600_302600_NS6detail15normal_iteratorINS9_10device_ptrIjEEEESE_PS5_SF_jNS0_19identity_decomposerENS1_16block_id_wrapperIjLb0EEEEE10hipError_tT1_PNSt15iterator_traitsISK_E10value_typeET2_T3_PNSL_ISQ_E10value_typeET4_T5_PSV_SW_PNS1_23onesweep_lookback_stateEbbT6_jjT7_P12ihipStream_tbENKUlT_T0_SK_SP_E_clISE_PjSF_SF_EEDaS13_S14_SK_SP_EUlS13_E_NS1_11comp_targetILNS1_3genE3ELNS1_11target_archE908ELNS1_3gpuE7ELNS1_3repE0EEENS1_47radix_sort_onesweep_sort_config_static_selectorELNS0_4arch9wavefront6targetE1EEEvSK_.kd
    .uniform_work_group_size: 1
    .uses_dynamic_stack: false
    .vgpr_count:     0
    .vgpr_spill_count: 0
    .wavefront_size: 64
  - .agpr_count:     0
    .args:
      - .offset:         0
        .size:           88
        .value_kind:     by_value
    .group_segment_fixed_size: 0
    .kernarg_segment_align: 8
    .kernarg_segment_size: 88
    .language:       OpenCL C
    .language_version:
      - 2
      - 0
    .max_flat_workgroup_size: 1024
    .name:           _ZN7rocprim17ROCPRIM_400000_NS6detail17trampoline_kernelINS0_14default_configENS1_35radix_sort_onesweep_config_selectorIjNS0_10empty_typeEEEZZNS1_29radix_sort_onesweep_iterationIS3_Lb0EN6thrust23THRUST_200600_302600_NS6detail15normal_iteratorINS9_10device_ptrIjEEEESE_PS5_SF_jNS0_19identity_decomposerENS1_16block_id_wrapperIjLb0EEEEE10hipError_tT1_PNSt15iterator_traitsISK_E10value_typeET2_T3_PNSL_ISQ_E10value_typeET4_T5_PSV_SW_PNS1_23onesweep_lookback_stateEbbT6_jjT7_P12ihipStream_tbENKUlT_T0_SK_SP_E_clISE_PjSF_SF_EEDaS13_S14_SK_SP_EUlS13_E_NS1_11comp_targetILNS1_3genE10ELNS1_11target_archE1201ELNS1_3gpuE5ELNS1_3repE0EEENS1_47radix_sort_onesweep_sort_config_static_selectorELNS0_4arch9wavefront6targetE1EEEvSK_
    .private_segment_fixed_size: 0
    .sgpr_count:     6
    .sgpr_spill_count: 0
    .symbol:         _ZN7rocprim17ROCPRIM_400000_NS6detail17trampoline_kernelINS0_14default_configENS1_35radix_sort_onesweep_config_selectorIjNS0_10empty_typeEEEZZNS1_29radix_sort_onesweep_iterationIS3_Lb0EN6thrust23THRUST_200600_302600_NS6detail15normal_iteratorINS9_10device_ptrIjEEEESE_PS5_SF_jNS0_19identity_decomposerENS1_16block_id_wrapperIjLb0EEEEE10hipError_tT1_PNSt15iterator_traitsISK_E10value_typeET2_T3_PNSL_ISQ_E10value_typeET4_T5_PSV_SW_PNS1_23onesweep_lookback_stateEbbT6_jjT7_P12ihipStream_tbENKUlT_T0_SK_SP_E_clISE_PjSF_SF_EEDaS13_S14_SK_SP_EUlS13_E_NS1_11comp_targetILNS1_3genE10ELNS1_11target_archE1201ELNS1_3gpuE5ELNS1_3repE0EEENS1_47radix_sort_onesweep_sort_config_static_selectorELNS0_4arch9wavefront6targetE1EEEvSK_.kd
    .uniform_work_group_size: 1
    .uses_dynamic_stack: false
    .vgpr_count:     0
    .vgpr_spill_count: 0
    .wavefront_size: 64
  - .agpr_count:     0
    .args:
      - .offset:         0
        .size:           88
        .value_kind:     by_value
    .group_segment_fixed_size: 0
    .kernarg_segment_align: 8
    .kernarg_segment_size: 88
    .language:       OpenCL C
    .language_version:
      - 2
      - 0
    .max_flat_workgroup_size: 1024
    .name:           _ZN7rocprim17ROCPRIM_400000_NS6detail17trampoline_kernelINS0_14default_configENS1_35radix_sort_onesweep_config_selectorIjNS0_10empty_typeEEEZZNS1_29radix_sort_onesweep_iterationIS3_Lb0EN6thrust23THRUST_200600_302600_NS6detail15normal_iteratorINS9_10device_ptrIjEEEESE_PS5_SF_jNS0_19identity_decomposerENS1_16block_id_wrapperIjLb0EEEEE10hipError_tT1_PNSt15iterator_traitsISK_E10value_typeET2_T3_PNSL_ISQ_E10value_typeET4_T5_PSV_SW_PNS1_23onesweep_lookback_stateEbbT6_jjT7_P12ihipStream_tbENKUlT_T0_SK_SP_E_clISE_PjSF_SF_EEDaS13_S14_SK_SP_EUlS13_E_NS1_11comp_targetILNS1_3genE9ELNS1_11target_archE1100ELNS1_3gpuE3ELNS1_3repE0EEENS1_47radix_sort_onesweep_sort_config_static_selectorELNS0_4arch9wavefront6targetE1EEEvSK_
    .private_segment_fixed_size: 0
    .sgpr_count:     6
    .sgpr_spill_count: 0
    .symbol:         _ZN7rocprim17ROCPRIM_400000_NS6detail17trampoline_kernelINS0_14default_configENS1_35radix_sort_onesweep_config_selectorIjNS0_10empty_typeEEEZZNS1_29radix_sort_onesweep_iterationIS3_Lb0EN6thrust23THRUST_200600_302600_NS6detail15normal_iteratorINS9_10device_ptrIjEEEESE_PS5_SF_jNS0_19identity_decomposerENS1_16block_id_wrapperIjLb0EEEEE10hipError_tT1_PNSt15iterator_traitsISK_E10value_typeET2_T3_PNSL_ISQ_E10value_typeET4_T5_PSV_SW_PNS1_23onesweep_lookback_stateEbbT6_jjT7_P12ihipStream_tbENKUlT_T0_SK_SP_E_clISE_PjSF_SF_EEDaS13_S14_SK_SP_EUlS13_E_NS1_11comp_targetILNS1_3genE9ELNS1_11target_archE1100ELNS1_3gpuE3ELNS1_3repE0EEENS1_47radix_sort_onesweep_sort_config_static_selectorELNS0_4arch9wavefront6targetE1EEEvSK_.kd
    .uniform_work_group_size: 1
    .uses_dynamic_stack: false
    .vgpr_count:     0
    .vgpr_spill_count: 0
    .wavefront_size: 64
  - .agpr_count:     0
    .args:
      - .offset:         0
        .size:           88
        .value_kind:     by_value
    .group_segment_fixed_size: 0
    .kernarg_segment_align: 8
    .kernarg_segment_size: 88
    .language:       OpenCL C
    .language_version:
      - 2
      - 0
    .max_flat_workgroup_size: 1024
    .name:           _ZN7rocprim17ROCPRIM_400000_NS6detail17trampoline_kernelINS0_14default_configENS1_35radix_sort_onesweep_config_selectorIjNS0_10empty_typeEEEZZNS1_29radix_sort_onesweep_iterationIS3_Lb0EN6thrust23THRUST_200600_302600_NS6detail15normal_iteratorINS9_10device_ptrIjEEEESE_PS5_SF_jNS0_19identity_decomposerENS1_16block_id_wrapperIjLb0EEEEE10hipError_tT1_PNSt15iterator_traitsISK_E10value_typeET2_T3_PNSL_ISQ_E10value_typeET4_T5_PSV_SW_PNS1_23onesweep_lookback_stateEbbT6_jjT7_P12ihipStream_tbENKUlT_T0_SK_SP_E_clISE_PjSF_SF_EEDaS13_S14_SK_SP_EUlS13_E_NS1_11comp_targetILNS1_3genE8ELNS1_11target_archE1030ELNS1_3gpuE2ELNS1_3repE0EEENS1_47radix_sort_onesweep_sort_config_static_selectorELNS0_4arch9wavefront6targetE1EEEvSK_
    .private_segment_fixed_size: 0
    .sgpr_count:     6
    .sgpr_spill_count: 0
    .symbol:         _ZN7rocprim17ROCPRIM_400000_NS6detail17trampoline_kernelINS0_14default_configENS1_35radix_sort_onesweep_config_selectorIjNS0_10empty_typeEEEZZNS1_29radix_sort_onesweep_iterationIS3_Lb0EN6thrust23THRUST_200600_302600_NS6detail15normal_iteratorINS9_10device_ptrIjEEEESE_PS5_SF_jNS0_19identity_decomposerENS1_16block_id_wrapperIjLb0EEEEE10hipError_tT1_PNSt15iterator_traitsISK_E10value_typeET2_T3_PNSL_ISQ_E10value_typeET4_T5_PSV_SW_PNS1_23onesweep_lookback_stateEbbT6_jjT7_P12ihipStream_tbENKUlT_T0_SK_SP_E_clISE_PjSF_SF_EEDaS13_S14_SK_SP_EUlS13_E_NS1_11comp_targetILNS1_3genE8ELNS1_11target_archE1030ELNS1_3gpuE2ELNS1_3repE0EEENS1_47radix_sort_onesweep_sort_config_static_selectorELNS0_4arch9wavefront6targetE1EEEvSK_.kd
    .uniform_work_group_size: 1
    .uses_dynamic_stack: false
    .vgpr_count:     0
    .vgpr_spill_count: 0
    .wavefront_size: 64
  - .agpr_count:     0
    .args:
      - .offset:         0
        .size:           88
        .value_kind:     by_value
    .group_segment_fixed_size: 0
    .kernarg_segment_align: 8
    .kernarg_segment_size: 88
    .language:       OpenCL C
    .language_version:
      - 2
      - 0
    .max_flat_workgroup_size: 512
    .name:           _ZN7rocprim17ROCPRIM_400000_NS6detail17trampoline_kernelINS0_14default_configENS1_35radix_sort_onesweep_config_selectorIjNS0_10empty_typeEEEZZNS1_29radix_sort_onesweep_iterationIS3_Lb0EN6thrust23THRUST_200600_302600_NS6detail15normal_iteratorINS9_10device_ptrIjEEEESE_PS5_SF_jNS0_19identity_decomposerENS1_16block_id_wrapperIjLb0EEEEE10hipError_tT1_PNSt15iterator_traitsISK_E10value_typeET2_T3_PNSL_ISQ_E10value_typeET4_T5_PSV_SW_PNS1_23onesweep_lookback_stateEbbT6_jjT7_P12ihipStream_tbENKUlT_T0_SK_SP_E_clIPjSE_SF_SF_EEDaS13_S14_SK_SP_EUlS13_E_NS1_11comp_targetILNS1_3genE0ELNS1_11target_archE4294967295ELNS1_3gpuE0ELNS1_3repE0EEENS1_47radix_sort_onesweep_sort_config_static_selectorELNS0_4arch9wavefront6targetE1EEEvSK_
    .private_segment_fixed_size: 0
    .sgpr_count:     6
    .sgpr_spill_count: 0
    .symbol:         _ZN7rocprim17ROCPRIM_400000_NS6detail17trampoline_kernelINS0_14default_configENS1_35radix_sort_onesweep_config_selectorIjNS0_10empty_typeEEEZZNS1_29radix_sort_onesweep_iterationIS3_Lb0EN6thrust23THRUST_200600_302600_NS6detail15normal_iteratorINS9_10device_ptrIjEEEESE_PS5_SF_jNS0_19identity_decomposerENS1_16block_id_wrapperIjLb0EEEEE10hipError_tT1_PNSt15iterator_traitsISK_E10value_typeET2_T3_PNSL_ISQ_E10value_typeET4_T5_PSV_SW_PNS1_23onesweep_lookback_stateEbbT6_jjT7_P12ihipStream_tbENKUlT_T0_SK_SP_E_clIPjSE_SF_SF_EEDaS13_S14_SK_SP_EUlS13_E_NS1_11comp_targetILNS1_3genE0ELNS1_11target_archE4294967295ELNS1_3gpuE0ELNS1_3repE0EEENS1_47radix_sort_onesweep_sort_config_static_selectorELNS0_4arch9wavefront6targetE1EEEvSK_.kd
    .uniform_work_group_size: 1
    .uses_dynamic_stack: false
    .vgpr_count:     0
    .vgpr_spill_count: 0
    .wavefront_size: 64
  - .agpr_count:     0
    .args:
      - .offset:         0
        .size:           88
        .value_kind:     by_value
    .group_segment_fixed_size: 0
    .kernarg_segment_align: 8
    .kernarg_segment_size: 88
    .language:       OpenCL C
    .language_version:
      - 2
      - 0
    .max_flat_workgroup_size: 1024
    .name:           _ZN7rocprim17ROCPRIM_400000_NS6detail17trampoline_kernelINS0_14default_configENS1_35radix_sort_onesweep_config_selectorIjNS0_10empty_typeEEEZZNS1_29radix_sort_onesweep_iterationIS3_Lb0EN6thrust23THRUST_200600_302600_NS6detail15normal_iteratorINS9_10device_ptrIjEEEESE_PS5_SF_jNS0_19identity_decomposerENS1_16block_id_wrapperIjLb0EEEEE10hipError_tT1_PNSt15iterator_traitsISK_E10value_typeET2_T3_PNSL_ISQ_E10value_typeET4_T5_PSV_SW_PNS1_23onesweep_lookback_stateEbbT6_jjT7_P12ihipStream_tbENKUlT_T0_SK_SP_E_clIPjSE_SF_SF_EEDaS13_S14_SK_SP_EUlS13_E_NS1_11comp_targetILNS1_3genE6ELNS1_11target_archE950ELNS1_3gpuE13ELNS1_3repE0EEENS1_47radix_sort_onesweep_sort_config_static_selectorELNS0_4arch9wavefront6targetE1EEEvSK_
    .private_segment_fixed_size: 0
    .sgpr_count:     6
    .sgpr_spill_count: 0
    .symbol:         _ZN7rocprim17ROCPRIM_400000_NS6detail17trampoline_kernelINS0_14default_configENS1_35radix_sort_onesweep_config_selectorIjNS0_10empty_typeEEEZZNS1_29radix_sort_onesweep_iterationIS3_Lb0EN6thrust23THRUST_200600_302600_NS6detail15normal_iteratorINS9_10device_ptrIjEEEESE_PS5_SF_jNS0_19identity_decomposerENS1_16block_id_wrapperIjLb0EEEEE10hipError_tT1_PNSt15iterator_traitsISK_E10value_typeET2_T3_PNSL_ISQ_E10value_typeET4_T5_PSV_SW_PNS1_23onesweep_lookback_stateEbbT6_jjT7_P12ihipStream_tbENKUlT_T0_SK_SP_E_clIPjSE_SF_SF_EEDaS13_S14_SK_SP_EUlS13_E_NS1_11comp_targetILNS1_3genE6ELNS1_11target_archE950ELNS1_3gpuE13ELNS1_3repE0EEENS1_47radix_sort_onesweep_sort_config_static_selectorELNS0_4arch9wavefront6targetE1EEEvSK_.kd
    .uniform_work_group_size: 1
    .uses_dynamic_stack: false
    .vgpr_count:     0
    .vgpr_spill_count: 0
    .wavefront_size: 64
  - .agpr_count:     0
    .args:
      - .offset:         0
        .size:           88
        .value_kind:     by_value
      - .offset:         88
        .size:           4
        .value_kind:     hidden_block_count_x
      - .offset:         92
        .size:           4
        .value_kind:     hidden_block_count_y
      - .offset:         96
        .size:           4
        .value_kind:     hidden_block_count_z
      - .offset:         100
        .size:           2
        .value_kind:     hidden_group_size_x
      - .offset:         102
        .size:           2
        .value_kind:     hidden_group_size_y
      - .offset:         104
        .size:           2
        .value_kind:     hidden_group_size_z
      - .offset:         106
        .size:           2
        .value_kind:     hidden_remainder_x
      - .offset:         108
        .size:           2
        .value_kind:     hidden_remainder_y
      - .offset:         110
        .size:           2
        .value_kind:     hidden_remainder_z
      - .offset:         128
        .size:           8
        .value_kind:     hidden_global_offset_x
      - .offset:         136
        .size:           8
        .value_kind:     hidden_global_offset_y
      - .offset:         144
        .size:           8
        .value_kind:     hidden_global_offset_z
      - .offset:         152
        .size:           2
        .value_kind:     hidden_grid_dims
    .group_segment_fixed_size: 20552
    .kernarg_segment_align: 8
    .kernarg_segment_size: 344
    .language:       OpenCL C
    .language_version:
      - 2
      - 0
    .max_flat_workgroup_size: 1024
    .name:           _ZN7rocprim17ROCPRIM_400000_NS6detail17trampoline_kernelINS0_14default_configENS1_35radix_sort_onesweep_config_selectorIjNS0_10empty_typeEEEZZNS1_29radix_sort_onesweep_iterationIS3_Lb0EN6thrust23THRUST_200600_302600_NS6detail15normal_iteratorINS9_10device_ptrIjEEEESE_PS5_SF_jNS0_19identity_decomposerENS1_16block_id_wrapperIjLb0EEEEE10hipError_tT1_PNSt15iterator_traitsISK_E10value_typeET2_T3_PNSL_ISQ_E10value_typeET4_T5_PSV_SW_PNS1_23onesweep_lookback_stateEbbT6_jjT7_P12ihipStream_tbENKUlT_T0_SK_SP_E_clIPjSE_SF_SF_EEDaS13_S14_SK_SP_EUlS13_E_NS1_11comp_targetILNS1_3genE5ELNS1_11target_archE942ELNS1_3gpuE9ELNS1_3repE0EEENS1_47radix_sort_onesweep_sort_config_static_selectorELNS0_4arch9wavefront6targetE1EEEvSK_
    .private_segment_fixed_size: 0
    .sgpr_count:     36
    .sgpr_spill_count: 0
    .symbol:         _ZN7rocprim17ROCPRIM_400000_NS6detail17trampoline_kernelINS0_14default_configENS1_35radix_sort_onesweep_config_selectorIjNS0_10empty_typeEEEZZNS1_29radix_sort_onesweep_iterationIS3_Lb0EN6thrust23THRUST_200600_302600_NS6detail15normal_iteratorINS9_10device_ptrIjEEEESE_PS5_SF_jNS0_19identity_decomposerENS1_16block_id_wrapperIjLb0EEEEE10hipError_tT1_PNSt15iterator_traitsISK_E10value_typeET2_T3_PNSL_ISQ_E10value_typeET4_T5_PSV_SW_PNS1_23onesweep_lookback_stateEbbT6_jjT7_P12ihipStream_tbENKUlT_T0_SK_SP_E_clIPjSE_SF_SF_EEDaS13_S14_SK_SP_EUlS13_E_NS1_11comp_targetILNS1_3genE5ELNS1_11target_archE942ELNS1_3gpuE9ELNS1_3repE0EEENS1_47radix_sort_onesweep_sort_config_static_selectorELNS0_4arch9wavefront6targetE1EEEvSK_.kd
    .uniform_work_group_size: 1
    .uses_dynamic_stack: false
    .vgpr_count:     46
    .vgpr_spill_count: 0
    .wavefront_size: 64
  - .agpr_count:     0
    .args:
      - .offset:         0
        .size:           88
        .value_kind:     by_value
    .group_segment_fixed_size: 0
    .kernarg_segment_align: 8
    .kernarg_segment_size: 88
    .language:       OpenCL C
    .language_version:
      - 2
      - 0
    .max_flat_workgroup_size: 1024
    .name:           _ZN7rocprim17ROCPRIM_400000_NS6detail17trampoline_kernelINS0_14default_configENS1_35radix_sort_onesweep_config_selectorIjNS0_10empty_typeEEEZZNS1_29radix_sort_onesweep_iterationIS3_Lb0EN6thrust23THRUST_200600_302600_NS6detail15normal_iteratorINS9_10device_ptrIjEEEESE_PS5_SF_jNS0_19identity_decomposerENS1_16block_id_wrapperIjLb0EEEEE10hipError_tT1_PNSt15iterator_traitsISK_E10value_typeET2_T3_PNSL_ISQ_E10value_typeET4_T5_PSV_SW_PNS1_23onesweep_lookback_stateEbbT6_jjT7_P12ihipStream_tbENKUlT_T0_SK_SP_E_clIPjSE_SF_SF_EEDaS13_S14_SK_SP_EUlS13_E_NS1_11comp_targetILNS1_3genE2ELNS1_11target_archE906ELNS1_3gpuE6ELNS1_3repE0EEENS1_47radix_sort_onesweep_sort_config_static_selectorELNS0_4arch9wavefront6targetE1EEEvSK_
    .private_segment_fixed_size: 0
    .sgpr_count:     6
    .sgpr_spill_count: 0
    .symbol:         _ZN7rocprim17ROCPRIM_400000_NS6detail17trampoline_kernelINS0_14default_configENS1_35radix_sort_onesweep_config_selectorIjNS0_10empty_typeEEEZZNS1_29radix_sort_onesweep_iterationIS3_Lb0EN6thrust23THRUST_200600_302600_NS6detail15normal_iteratorINS9_10device_ptrIjEEEESE_PS5_SF_jNS0_19identity_decomposerENS1_16block_id_wrapperIjLb0EEEEE10hipError_tT1_PNSt15iterator_traitsISK_E10value_typeET2_T3_PNSL_ISQ_E10value_typeET4_T5_PSV_SW_PNS1_23onesweep_lookback_stateEbbT6_jjT7_P12ihipStream_tbENKUlT_T0_SK_SP_E_clIPjSE_SF_SF_EEDaS13_S14_SK_SP_EUlS13_E_NS1_11comp_targetILNS1_3genE2ELNS1_11target_archE906ELNS1_3gpuE6ELNS1_3repE0EEENS1_47radix_sort_onesweep_sort_config_static_selectorELNS0_4arch9wavefront6targetE1EEEvSK_.kd
    .uniform_work_group_size: 1
    .uses_dynamic_stack: false
    .vgpr_count:     0
    .vgpr_spill_count: 0
    .wavefront_size: 64
  - .agpr_count:     0
    .args:
      - .offset:         0
        .size:           88
        .value_kind:     by_value
    .group_segment_fixed_size: 0
    .kernarg_segment_align: 8
    .kernarg_segment_size: 88
    .language:       OpenCL C
    .language_version:
      - 2
      - 0
    .max_flat_workgroup_size: 1024
    .name:           _ZN7rocprim17ROCPRIM_400000_NS6detail17trampoline_kernelINS0_14default_configENS1_35radix_sort_onesweep_config_selectorIjNS0_10empty_typeEEEZZNS1_29radix_sort_onesweep_iterationIS3_Lb0EN6thrust23THRUST_200600_302600_NS6detail15normal_iteratorINS9_10device_ptrIjEEEESE_PS5_SF_jNS0_19identity_decomposerENS1_16block_id_wrapperIjLb0EEEEE10hipError_tT1_PNSt15iterator_traitsISK_E10value_typeET2_T3_PNSL_ISQ_E10value_typeET4_T5_PSV_SW_PNS1_23onesweep_lookback_stateEbbT6_jjT7_P12ihipStream_tbENKUlT_T0_SK_SP_E_clIPjSE_SF_SF_EEDaS13_S14_SK_SP_EUlS13_E_NS1_11comp_targetILNS1_3genE4ELNS1_11target_archE910ELNS1_3gpuE8ELNS1_3repE0EEENS1_47radix_sort_onesweep_sort_config_static_selectorELNS0_4arch9wavefront6targetE1EEEvSK_
    .private_segment_fixed_size: 0
    .sgpr_count:     6
    .sgpr_spill_count: 0
    .symbol:         _ZN7rocprim17ROCPRIM_400000_NS6detail17trampoline_kernelINS0_14default_configENS1_35radix_sort_onesweep_config_selectorIjNS0_10empty_typeEEEZZNS1_29radix_sort_onesweep_iterationIS3_Lb0EN6thrust23THRUST_200600_302600_NS6detail15normal_iteratorINS9_10device_ptrIjEEEESE_PS5_SF_jNS0_19identity_decomposerENS1_16block_id_wrapperIjLb0EEEEE10hipError_tT1_PNSt15iterator_traitsISK_E10value_typeET2_T3_PNSL_ISQ_E10value_typeET4_T5_PSV_SW_PNS1_23onesweep_lookback_stateEbbT6_jjT7_P12ihipStream_tbENKUlT_T0_SK_SP_E_clIPjSE_SF_SF_EEDaS13_S14_SK_SP_EUlS13_E_NS1_11comp_targetILNS1_3genE4ELNS1_11target_archE910ELNS1_3gpuE8ELNS1_3repE0EEENS1_47radix_sort_onesweep_sort_config_static_selectorELNS0_4arch9wavefront6targetE1EEEvSK_.kd
    .uniform_work_group_size: 1
    .uses_dynamic_stack: false
    .vgpr_count:     0
    .vgpr_spill_count: 0
    .wavefront_size: 64
  - .agpr_count:     0
    .args:
      - .offset:         0
        .size:           88
        .value_kind:     by_value
    .group_segment_fixed_size: 0
    .kernarg_segment_align: 8
    .kernarg_segment_size: 88
    .language:       OpenCL C
    .language_version:
      - 2
      - 0
    .max_flat_workgroup_size: 512
    .name:           _ZN7rocprim17ROCPRIM_400000_NS6detail17trampoline_kernelINS0_14default_configENS1_35radix_sort_onesweep_config_selectorIjNS0_10empty_typeEEEZZNS1_29radix_sort_onesweep_iterationIS3_Lb0EN6thrust23THRUST_200600_302600_NS6detail15normal_iteratorINS9_10device_ptrIjEEEESE_PS5_SF_jNS0_19identity_decomposerENS1_16block_id_wrapperIjLb0EEEEE10hipError_tT1_PNSt15iterator_traitsISK_E10value_typeET2_T3_PNSL_ISQ_E10value_typeET4_T5_PSV_SW_PNS1_23onesweep_lookback_stateEbbT6_jjT7_P12ihipStream_tbENKUlT_T0_SK_SP_E_clIPjSE_SF_SF_EEDaS13_S14_SK_SP_EUlS13_E_NS1_11comp_targetILNS1_3genE3ELNS1_11target_archE908ELNS1_3gpuE7ELNS1_3repE0EEENS1_47radix_sort_onesweep_sort_config_static_selectorELNS0_4arch9wavefront6targetE1EEEvSK_
    .private_segment_fixed_size: 0
    .sgpr_count:     6
    .sgpr_spill_count: 0
    .symbol:         _ZN7rocprim17ROCPRIM_400000_NS6detail17trampoline_kernelINS0_14default_configENS1_35radix_sort_onesweep_config_selectorIjNS0_10empty_typeEEEZZNS1_29radix_sort_onesweep_iterationIS3_Lb0EN6thrust23THRUST_200600_302600_NS6detail15normal_iteratorINS9_10device_ptrIjEEEESE_PS5_SF_jNS0_19identity_decomposerENS1_16block_id_wrapperIjLb0EEEEE10hipError_tT1_PNSt15iterator_traitsISK_E10value_typeET2_T3_PNSL_ISQ_E10value_typeET4_T5_PSV_SW_PNS1_23onesweep_lookback_stateEbbT6_jjT7_P12ihipStream_tbENKUlT_T0_SK_SP_E_clIPjSE_SF_SF_EEDaS13_S14_SK_SP_EUlS13_E_NS1_11comp_targetILNS1_3genE3ELNS1_11target_archE908ELNS1_3gpuE7ELNS1_3repE0EEENS1_47radix_sort_onesweep_sort_config_static_selectorELNS0_4arch9wavefront6targetE1EEEvSK_.kd
    .uniform_work_group_size: 1
    .uses_dynamic_stack: false
    .vgpr_count:     0
    .vgpr_spill_count: 0
    .wavefront_size: 64
  - .agpr_count:     0
    .args:
      - .offset:         0
        .size:           88
        .value_kind:     by_value
    .group_segment_fixed_size: 0
    .kernarg_segment_align: 8
    .kernarg_segment_size: 88
    .language:       OpenCL C
    .language_version:
      - 2
      - 0
    .max_flat_workgroup_size: 1024
    .name:           _ZN7rocprim17ROCPRIM_400000_NS6detail17trampoline_kernelINS0_14default_configENS1_35radix_sort_onesweep_config_selectorIjNS0_10empty_typeEEEZZNS1_29radix_sort_onesweep_iterationIS3_Lb0EN6thrust23THRUST_200600_302600_NS6detail15normal_iteratorINS9_10device_ptrIjEEEESE_PS5_SF_jNS0_19identity_decomposerENS1_16block_id_wrapperIjLb0EEEEE10hipError_tT1_PNSt15iterator_traitsISK_E10value_typeET2_T3_PNSL_ISQ_E10value_typeET4_T5_PSV_SW_PNS1_23onesweep_lookback_stateEbbT6_jjT7_P12ihipStream_tbENKUlT_T0_SK_SP_E_clIPjSE_SF_SF_EEDaS13_S14_SK_SP_EUlS13_E_NS1_11comp_targetILNS1_3genE10ELNS1_11target_archE1201ELNS1_3gpuE5ELNS1_3repE0EEENS1_47radix_sort_onesweep_sort_config_static_selectorELNS0_4arch9wavefront6targetE1EEEvSK_
    .private_segment_fixed_size: 0
    .sgpr_count:     6
    .sgpr_spill_count: 0
    .symbol:         _ZN7rocprim17ROCPRIM_400000_NS6detail17trampoline_kernelINS0_14default_configENS1_35radix_sort_onesweep_config_selectorIjNS0_10empty_typeEEEZZNS1_29radix_sort_onesweep_iterationIS3_Lb0EN6thrust23THRUST_200600_302600_NS6detail15normal_iteratorINS9_10device_ptrIjEEEESE_PS5_SF_jNS0_19identity_decomposerENS1_16block_id_wrapperIjLb0EEEEE10hipError_tT1_PNSt15iterator_traitsISK_E10value_typeET2_T3_PNSL_ISQ_E10value_typeET4_T5_PSV_SW_PNS1_23onesweep_lookback_stateEbbT6_jjT7_P12ihipStream_tbENKUlT_T0_SK_SP_E_clIPjSE_SF_SF_EEDaS13_S14_SK_SP_EUlS13_E_NS1_11comp_targetILNS1_3genE10ELNS1_11target_archE1201ELNS1_3gpuE5ELNS1_3repE0EEENS1_47radix_sort_onesweep_sort_config_static_selectorELNS0_4arch9wavefront6targetE1EEEvSK_.kd
    .uniform_work_group_size: 1
    .uses_dynamic_stack: false
    .vgpr_count:     0
    .vgpr_spill_count: 0
    .wavefront_size: 64
  - .agpr_count:     0
    .args:
      - .offset:         0
        .size:           88
        .value_kind:     by_value
    .group_segment_fixed_size: 0
    .kernarg_segment_align: 8
    .kernarg_segment_size: 88
    .language:       OpenCL C
    .language_version:
      - 2
      - 0
    .max_flat_workgroup_size: 1024
    .name:           _ZN7rocprim17ROCPRIM_400000_NS6detail17trampoline_kernelINS0_14default_configENS1_35radix_sort_onesweep_config_selectorIjNS0_10empty_typeEEEZZNS1_29radix_sort_onesweep_iterationIS3_Lb0EN6thrust23THRUST_200600_302600_NS6detail15normal_iteratorINS9_10device_ptrIjEEEESE_PS5_SF_jNS0_19identity_decomposerENS1_16block_id_wrapperIjLb0EEEEE10hipError_tT1_PNSt15iterator_traitsISK_E10value_typeET2_T3_PNSL_ISQ_E10value_typeET4_T5_PSV_SW_PNS1_23onesweep_lookback_stateEbbT6_jjT7_P12ihipStream_tbENKUlT_T0_SK_SP_E_clIPjSE_SF_SF_EEDaS13_S14_SK_SP_EUlS13_E_NS1_11comp_targetILNS1_3genE9ELNS1_11target_archE1100ELNS1_3gpuE3ELNS1_3repE0EEENS1_47radix_sort_onesweep_sort_config_static_selectorELNS0_4arch9wavefront6targetE1EEEvSK_
    .private_segment_fixed_size: 0
    .sgpr_count:     6
    .sgpr_spill_count: 0
    .symbol:         _ZN7rocprim17ROCPRIM_400000_NS6detail17trampoline_kernelINS0_14default_configENS1_35radix_sort_onesweep_config_selectorIjNS0_10empty_typeEEEZZNS1_29radix_sort_onesweep_iterationIS3_Lb0EN6thrust23THRUST_200600_302600_NS6detail15normal_iteratorINS9_10device_ptrIjEEEESE_PS5_SF_jNS0_19identity_decomposerENS1_16block_id_wrapperIjLb0EEEEE10hipError_tT1_PNSt15iterator_traitsISK_E10value_typeET2_T3_PNSL_ISQ_E10value_typeET4_T5_PSV_SW_PNS1_23onesweep_lookback_stateEbbT6_jjT7_P12ihipStream_tbENKUlT_T0_SK_SP_E_clIPjSE_SF_SF_EEDaS13_S14_SK_SP_EUlS13_E_NS1_11comp_targetILNS1_3genE9ELNS1_11target_archE1100ELNS1_3gpuE3ELNS1_3repE0EEENS1_47radix_sort_onesweep_sort_config_static_selectorELNS0_4arch9wavefront6targetE1EEEvSK_.kd
    .uniform_work_group_size: 1
    .uses_dynamic_stack: false
    .vgpr_count:     0
    .vgpr_spill_count: 0
    .wavefront_size: 64
  - .agpr_count:     0
    .args:
      - .offset:         0
        .size:           88
        .value_kind:     by_value
    .group_segment_fixed_size: 0
    .kernarg_segment_align: 8
    .kernarg_segment_size: 88
    .language:       OpenCL C
    .language_version:
      - 2
      - 0
    .max_flat_workgroup_size: 1024
    .name:           _ZN7rocprim17ROCPRIM_400000_NS6detail17trampoline_kernelINS0_14default_configENS1_35radix_sort_onesweep_config_selectorIjNS0_10empty_typeEEEZZNS1_29radix_sort_onesweep_iterationIS3_Lb0EN6thrust23THRUST_200600_302600_NS6detail15normal_iteratorINS9_10device_ptrIjEEEESE_PS5_SF_jNS0_19identity_decomposerENS1_16block_id_wrapperIjLb0EEEEE10hipError_tT1_PNSt15iterator_traitsISK_E10value_typeET2_T3_PNSL_ISQ_E10value_typeET4_T5_PSV_SW_PNS1_23onesweep_lookback_stateEbbT6_jjT7_P12ihipStream_tbENKUlT_T0_SK_SP_E_clIPjSE_SF_SF_EEDaS13_S14_SK_SP_EUlS13_E_NS1_11comp_targetILNS1_3genE8ELNS1_11target_archE1030ELNS1_3gpuE2ELNS1_3repE0EEENS1_47radix_sort_onesweep_sort_config_static_selectorELNS0_4arch9wavefront6targetE1EEEvSK_
    .private_segment_fixed_size: 0
    .sgpr_count:     6
    .sgpr_spill_count: 0
    .symbol:         _ZN7rocprim17ROCPRIM_400000_NS6detail17trampoline_kernelINS0_14default_configENS1_35radix_sort_onesweep_config_selectorIjNS0_10empty_typeEEEZZNS1_29radix_sort_onesweep_iterationIS3_Lb0EN6thrust23THRUST_200600_302600_NS6detail15normal_iteratorINS9_10device_ptrIjEEEESE_PS5_SF_jNS0_19identity_decomposerENS1_16block_id_wrapperIjLb0EEEEE10hipError_tT1_PNSt15iterator_traitsISK_E10value_typeET2_T3_PNSL_ISQ_E10value_typeET4_T5_PSV_SW_PNS1_23onesweep_lookback_stateEbbT6_jjT7_P12ihipStream_tbENKUlT_T0_SK_SP_E_clIPjSE_SF_SF_EEDaS13_S14_SK_SP_EUlS13_E_NS1_11comp_targetILNS1_3genE8ELNS1_11target_archE1030ELNS1_3gpuE2ELNS1_3repE0EEENS1_47radix_sort_onesweep_sort_config_static_selectorELNS0_4arch9wavefront6targetE1EEEvSK_.kd
    .uniform_work_group_size: 1
    .uses_dynamic_stack: false
    .vgpr_count:     0
    .vgpr_spill_count: 0
    .wavefront_size: 64
  - .agpr_count:     0
    .args:
      - .offset:         0
        .size:           16
        .value_kind:     by_value
      - .offset:         16
        .size:           8
        .value_kind:     by_value
      - .offset:         24
        .size:           8
        .value_kind:     by_value
    .group_segment_fixed_size: 0
    .kernarg_segment_align: 8
    .kernarg_segment_size: 32
    .language:       OpenCL C
    .language_version:
      - 2
      - 0
    .max_flat_workgroup_size: 256
    .name:           _ZN6thrust23THRUST_200600_302600_NS11hip_rocprim14__parallel_for6kernelILj256ENS1_20__uninitialized_copy7functorINS0_6detail15normal_iteratorINS0_10device_ptrItEEEENS7_INS0_7pointerItNS1_3tagENS0_11use_defaultESD_EEEEEElLj1EEEvT0_T1_SI_
    .private_segment_fixed_size: 0
    .sgpr_count:     18
    .sgpr_spill_count: 0
    .symbol:         _ZN6thrust23THRUST_200600_302600_NS11hip_rocprim14__parallel_for6kernelILj256ENS1_20__uninitialized_copy7functorINS0_6detail15normal_iteratorINS0_10device_ptrItEEEENS7_INS0_7pointerItNS1_3tagENS0_11use_defaultESD_EEEEEElLj1EEEvT0_T1_SI_.kd
    .uniform_work_group_size: 1
    .uses_dynamic_stack: false
    .vgpr_count:     6
    .vgpr_spill_count: 0
    .wavefront_size: 64
  - .agpr_count:     0
    .args:
      - .offset:         0
        .size:           120
        .value_kind:     by_value
    .group_segment_fixed_size: 0
    .kernarg_segment_align: 8
    .kernarg_segment_size: 120
    .language:       OpenCL C
    .language_version:
      - 2
      - 0
    .max_flat_workgroup_size: 256
    .name:           _ZN7rocprim17ROCPRIM_400000_NS6detail17trampoline_kernelINS0_14default_configENS1_25partition_config_selectorILNS1_17partition_subalgoE3EtNS0_10empty_typeEbEEZZNS1_14partition_implILS5_3ELb0ES3_jN6thrust23THRUST_200600_302600_NS6detail15normal_iteratorINSA_7pointerItNSA_11hip_rocprim3tagENSA_11use_defaultESG_EEEEPS6_SJ_NS0_5tupleIJPtSJ_EEENSK_IJSJ_SJ_EEES6_PlJ7is_evenItEEEE10hipError_tPvRmT3_T4_T5_T6_T7_T9_mT8_P12ihipStream_tbDpT10_ENKUlT_T0_E_clISt17integral_constantIbLb0EES1A_EEDaS15_S16_EUlS15_E_NS1_11comp_targetILNS1_3genE0ELNS1_11target_archE4294967295ELNS1_3gpuE0ELNS1_3repE0EEENS1_30default_config_static_selectorELNS0_4arch9wavefront6targetE1EEEvT1_
    .private_segment_fixed_size: 0
    .sgpr_count:     6
    .sgpr_spill_count: 0
    .symbol:         _ZN7rocprim17ROCPRIM_400000_NS6detail17trampoline_kernelINS0_14default_configENS1_25partition_config_selectorILNS1_17partition_subalgoE3EtNS0_10empty_typeEbEEZZNS1_14partition_implILS5_3ELb0ES3_jN6thrust23THRUST_200600_302600_NS6detail15normal_iteratorINSA_7pointerItNSA_11hip_rocprim3tagENSA_11use_defaultESG_EEEEPS6_SJ_NS0_5tupleIJPtSJ_EEENSK_IJSJ_SJ_EEES6_PlJ7is_evenItEEEE10hipError_tPvRmT3_T4_T5_T6_T7_T9_mT8_P12ihipStream_tbDpT10_ENKUlT_T0_E_clISt17integral_constantIbLb0EES1A_EEDaS15_S16_EUlS15_E_NS1_11comp_targetILNS1_3genE0ELNS1_11target_archE4294967295ELNS1_3gpuE0ELNS1_3repE0EEENS1_30default_config_static_selectorELNS0_4arch9wavefront6targetE1EEEvT1_.kd
    .uniform_work_group_size: 1
    .uses_dynamic_stack: false
    .vgpr_count:     0
    .vgpr_spill_count: 0
    .wavefront_size: 64
  - .agpr_count:     0
    .args:
      - .offset:         0
        .size:           120
        .value_kind:     by_value
    .group_segment_fixed_size: 30728
    .kernarg_segment_align: 8
    .kernarg_segment_size: 120
    .language:       OpenCL C
    .language_version:
      - 2
      - 0
    .max_flat_workgroup_size: 512
    .name:           _ZN7rocprim17ROCPRIM_400000_NS6detail17trampoline_kernelINS0_14default_configENS1_25partition_config_selectorILNS1_17partition_subalgoE3EtNS0_10empty_typeEbEEZZNS1_14partition_implILS5_3ELb0ES3_jN6thrust23THRUST_200600_302600_NS6detail15normal_iteratorINSA_7pointerItNSA_11hip_rocprim3tagENSA_11use_defaultESG_EEEEPS6_SJ_NS0_5tupleIJPtSJ_EEENSK_IJSJ_SJ_EEES6_PlJ7is_evenItEEEE10hipError_tPvRmT3_T4_T5_T6_T7_T9_mT8_P12ihipStream_tbDpT10_ENKUlT_T0_E_clISt17integral_constantIbLb0EES1A_EEDaS15_S16_EUlS15_E_NS1_11comp_targetILNS1_3genE5ELNS1_11target_archE942ELNS1_3gpuE9ELNS1_3repE0EEENS1_30default_config_static_selectorELNS0_4arch9wavefront6targetE1EEEvT1_
    .private_segment_fixed_size: 0
    .sgpr_count:     52
    .sgpr_spill_count: 0
    .symbol:         _ZN7rocprim17ROCPRIM_400000_NS6detail17trampoline_kernelINS0_14default_configENS1_25partition_config_selectorILNS1_17partition_subalgoE3EtNS0_10empty_typeEbEEZZNS1_14partition_implILS5_3ELb0ES3_jN6thrust23THRUST_200600_302600_NS6detail15normal_iteratorINSA_7pointerItNSA_11hip_rocprim3tagENSA_11use_defaultESG_EEEEPS6_SJ_NS0_5tupleIJPtSJ_EEENSK_IJSJ_SJ_EEES6_PlJ7is_evenItEEEE10hipError_tPvRmT3_T4_T5_T6_T7_T9_mT8_P12ihipStream_tbDpT10_ENKUlT_T0_E_clISt17integral_constantIbLb0EES1A_EEDaS15_S16_EUlS15_E_NS1_11comp_targetILNS1_3genE5ELNS1_11target_archE942ELNS1_3gpuE9ELNS1_3repE0EEENS1_30default_config_static_selectorELNS0_4arch9wavefront6targetE1EEEvT1_.kd
    .uniform_work_group_size: 1
    .uses_dynamic_stack: false
    .vgpr_count:     120
    .vgpr_spill_count: 0
    .wavefront_size: 64
  - .agpr_count:     0
    .args:
      - .offset:         0
        .size:           120
        .value_kind:     by_value
    .group_segment_fixed_size: 0
    .kernarg_segment_align: 8
    .kernarg_segment_size: 120
    .language:       OpenCL C
    .language_version:
      - 2
      - 0
    .max_flat_workgroup_size: 256
    .name:           _ZN7rocprim17ROCPRIM_400000_NS6detail17trampoline_kernelINS0_14default_configENS1_25partition_config_selectorILNS1_17partition_subalgoE3EtNS0_10empty_typeEbEEZZNS1_14partition_implILS5_3ELb0ES3_jN6thrust23THRUST_200600_302600_NS6detail15normal_iteratorINSA_7pointerItNSA_11hip_rocprim3tagENSA_11use_defaultESG_EEEEPS6_SJ_NS0_5tupleIJPtSJ_EEENSK_IJSJ_SJ_EEES6_PlJ7is_evenItEEEE10hipError_tPvRmT3_T4_T5_T6_T7_T9_mT8_P12ihipStream_tbDpT10_ENKUlT_T0_E_clISt17integral_constantIbLb0EES1A_EEDaS15_S16_EUlS15_E_NS1_11comp_targetILNS1_3genE4ELNS1_11target_archE910ELNS1_3gpuE8ELNS1_3repE0EEENS1_30default_config_static_selectorELNS0_4arch9wavefront6targetE1EEEvT1_
    .private_segment_fixed_size: 0
    .sgpr_count:     6
    .sgpr_spill_count: 0
    .symbol:         _ZN7rocprim17ROCPRIM_400000_NS6detail17trampoline_kernelINS0_14default_configENS1_25partition_config_selectorILNS1_17partition_subalgoE3EtNS0_10empty_typeEbEEZZNS1_14partition_implILS5_3ELb0ES3_jN6thrust23THRUST_200600_302600_NS6detail15normal_iteratorINSA_7pointerItNSA_11hip_rocprim3tagENSA_11use_defaultESG_EEEEPS6_SJ_NS0_5tupleIJPtSJ_EEENSK_IJSJ_SJ_EEES6_PlJ7is_evenItEEEE10hipError_tPvRmT3_T4_T5_T6_T7_T9_mT8_P12ihipStream_tbDpT10_ENKUlT_T0_E_clISt17integral_constantIbLb0EES1A_EEDaS15_S16_EUlS15_E_NS1_11comp_targetILNS1_3genE4ELNS1_11target_archE910ELNS1_3gpuE8ELNS1_3repE0EEENS1_30default_config_static_selectorELNS0_4arch9wavefront6targetE1EEEvT1_.kd
    .uniform_work_group_size: 1
    .uses_dynamic_stack: false
    .vgpr_count:     0
    .vgpr_spill_count: 0
    .wavefront_size: 64
  - .agpr_count:     0
    .args:
      - .offset:         0
        .size:           120
        .value_kind:     by_value
    .group_segment_fixed_size: 0
    .kernarg_segment_align: 8
    .kernarg_segment_size: 120
    .language:       OpenCL C
    .language_version:
      - 2
      - 0
    .max_flat_workgroup_size: 256
    .name:           _ZN7rocprim17ROCPRIM_400000_NS6detail17trampoline_kernelINS0_14default_configENS1_25partition_config_selectorILNS1_17partition_subalgoE3EtNS0_10empty_typeEbEEZZNS1_14partition_implILS5_3ELb0ES3_jN6thrust23THRUST_200600_302600_NS6detail15normal_iteratorINSA_7pointerItNSA_11hip_rocprim3tagENSA_11use_defaultESG_EEEEPS6_SJ_NS0_5tupleIJPtSJ_EEENSK_IJSJ_SJ_EEES6_PlJ7is_evenItEEEE10hipError_tPvRmT3_T4_T5_T6_T7_T9_mT8_P12ihipStream_tbDpT10_ENKUlT_T0_E_clISt17integral_constantIbLb0EES1A_EEDaS15_S16_EUlS15_E_NS1_11comp_targetILNS1_3genE3ELNS1_11target_archE908ELNS1_3gpuE7ELNS1_3repE0EEENS1_30default_config_static_selectorELNS0_4arch9wavefront6targetE1EEEvT1_
    .private_segment_fixed_size: 0
    .sgpr_count:     6
    .sgpr_spill_count: 0
    .symbol:         _ZN7rocprim17ROCPRIM_400000_NS6detail17trampoline_kernelINS0_14default_configENS1_25partition_config_selectorILNS1_17partition_subalgoE3EtNS0_10empty_typeEbEEZZNS1_14partition_implILS5_3ELb0ES3_jN6thrust23THRUST_200600_302600_NS6detail15normal_iteratorINSA_7pointerItNSA_11hip_rocprim3tagENSA_11use_defaultESG_EEEEPS6_SJ_NS0_5tupleIJPtSJ_EEENSK_IJSJ_SJ_EEES6_PlJ7is_evenItEEEE10hipError_tPvRmT3_T4_T5_T6_T7_T9_mT8_P12ihipStream_tbDpT10_ENKUlT_T0_E_clISt17integral_constantIbLb0EES1A_EEDaS15_S16_EUlS15_E_NS1_11comp_targetILNS1_3genE3ELNS1_11target_archE908ELNS1_3gpuE7ELNS1_3repE0EEENS1_30default_config_static_selectorELNS0_4arch9wavefront6targetE1EEEvT1_.kd
    .uniform_work_group_size: 1
    .uses_dynamic_stack: false
    .vgpr_count:     0
    .vgpr_spill_count: 0
    .wavefront_size: 64
  - .agpr_count:     0
    .args:
      - .offset:         0
        .size:           120
        .value_kind:     by_value
    .group_segment_fixed_size: 0
    .kernarg_segment_align: 8
    .kernarg_segment_size: 120
    .language:       OpenCL C
    .language_version:
      - 2
      - 0
    .max_flat_workgroup_size: 256
    .name:           _ZN7rocprim17ROCPRIM_400000_NS6detail17trampoline_kernelINS0_14default_configENS1_25partition_config_selectorILNS1_17partition_subalgoE3EtNS0_10empty_typeEbEEZZNS1_14partition_implILS5_3ELb0ES3_jN6thrust23THRUST_200600_302600_NS6detail15normal_iteratorINSA_7pointerItNSA_11hip_rocprim3tagENSA_11use_defaultESG_EEEEPS6_SJ_NS0_5tupleIJPtSJ_EEENSK_IJSJ_SJ_EEES6_PlJ7is_evenItEEEE10hipError_tPvRmT3_T4_T5_T6_T7_T9_mT8_P12ihipStream_tbDpT10_ENKUlT_T0_E_clISt17integral_constantIbLb0EES1A_EEDaS15_S16_EUlS15_E_NS1_11comp_targetILNS1_3genE2ELNS1_11target_archE906ELNS1_3gpuE6ELNS1_3repE0EEENS1_30default_config_static_selectorELNS0_4arch9wavefront6targetE1EEEvT1_
    .private_segment_fixed_size: 0
    .sgpr_count:     6
    .sgpr_spill_count: 0
    .symbol:         _ZN7rocprim17ROCPRIM_400000_NS6detail17trampoline_kernelINS0_14default_configENS1_25partition_config_selectorILNS1_17partition_subalgoE3EtNS0_10empty_typeEbEEZZNS1_14partition_implILS5_3ELb0ES3_jN6thrust23THRUST_200600_302600_NS6detail15normal_iteratorINSA_7pointerItNSA_11hip_rocprim3tagENSA_11use_defaultESG_EEEEPS6_SJ_NS0_5tupleIJPtSJ_EEENSK_IJSJ_SJ_EEES6_PlJ7is_evenItEEEE10hipError_tPvRmT3_T4_T5_T6_T7_T9_mT8_P12ihipStream_tbDpT10_ENKUlT_T0_E_clISt17integral_constantIbLb0EES1A_EEDaS15_S16_EUlS15_E_NS1_11comp_targetILNS1_3genE2ELNS1_11target_archE906ELNS1_3gpuE6ELNS1_3repE0EEENS1_30default_config_static_selectorELNS0_4arch9wavefront6targetE1EEEvT1_.kd
    .uniform_work_group_size: 1
    .uses_dynamic_stack: false
    .vgpr_count:     0
    .vgpr_spill_count: 0
    .wavefront_size: 64
  - .agpr_count:     0
    .args:
      - .offset:         0
        .size:           120
        .value_kind:     by_value
    .group_segment_fixed_size: 0
    .kernarg_segment_align: 8
    .kernarg_segment_size: 120
    .language:       OpenCL C
    .language_version:
      - 2
      - 0
    .max_flat_workgroup_size: 512
    .name:           _ZN7rocprim17ROCPRIM_400000_NS6detail17trampoline_kernelINS0_14default_configENS1_25partition_config_selectorILNS1_17partition_subalgoE3EtNS0_10empty_typeEbEEZZNS1_14partition_implILS5_3ELb0ES3_jN6thrust23THRUST_200600_302600_NS6detail15normal_iteratorINSA_7pointerItNSA_11hip_rocprim3tagENSA_11use_defaultESG_EEEEPS6_SJ_NS0_5tupleIJPtSJ_EEENSK_IJSJ_SJ_EEES6_PlJ7is_evenItEEEE10hipError_tPvRmT3_T4_T5_T6_T7_T9_mT8_P12ihipStream_tbDpT10_ENKUlT_T0_E_clISt17integral_constantIbLb0EES1A_EEDaS15_S16_EUlS15_E_NS1_11comp_targetILNS1_3genE10ELNS1_11target_archE1200ELNS1_3gpuE4ELNS1_3repE0EEENS1_30default_config_static_selectorELNS0_4arch9wavefront6targetE1EEEvT1_
    .private_segment_fixed_size: 0
    .sgpr_count:     6
    .sgpr_spill_count: 0
    .symbol:         _ZN7rocprim17ROCPRIM_400000_NS6detail17trampoline_kernelINS0_14default_configENS1_25partition_config_selectorILNS1_17partition_subalgoE3EtNS0_10empty_typeEbEEZZNS1_14partition_implILS5_3ELb0ES3_jN6thrust23THRUST_200600_302600_NS6detail15normal_iteratorINSA_7pointerItNSA_11hip_rocprim3tagENSA_11use_defaultESG_EEEEPS6_SJ_NS0_5tupleIJPtSJ_EEENSK_IJSJ_SJ_EEES6_PlJ7is_evenItEEEE10hipError_tPvRmT3_T4_T5_T6_T7_T9_mT8_P12ihipStream_tbDpT10_ENKUlT_T0_E_clISt17integral_constantIbLb0EES1A_EEDaS15_S16_EUlS15_E_NS1_11comp_targetILNS1_3genE10ELNS1_11target_archE1200ELNS1_3gpuE4ELNS1_3repE0EEENS1_30default_config_static_selectorELNS0_4arch9wavefront6targetE1EEEvT1_.kd
    .uniform_work_group_size: 1
    .uses_dynamic_stack: false
    .vgpr_count:     0
    .vgpr_spill_count: 0
    .wavefront_size: 64
  - .agpr_count:     0
    .args:
      - .offset:         0
        .size:           120
        .value_kind:     by_value
    .group_segment_fixed_size: 0
    .kernarg_segment_align: 8
    .kernarg_segment_size: 120
    .language:       OpenCL C
    .language_version:
      - 2
      - 0
    .max_flat_workgroup_size: 128
    .name:           _ZN7rocprim17ROCPRIM_400000_NS6detail17trampoline_kernelINS0_14default_configENS1_25partition_config_selectorILNS1_17partition_subalgoE3EtNS0_10empty_typeEbEEZZNS1_14partition_implILS5_3ELb0ES3_jN6thrust23THRUST_200600_302600_NS6detail15normal_iteratorINSA_7pointerItNSA_11hip_rocprim3tagENSA_11use_defaultESG_EEEEPS6_SJ_NS0_5tupleIJPtSJ_EEENSK_IJSJ_SJ_EEES6_PlJ7is_evenItEEEE10hipError_tPvRmT3_T4_T5_T6_T7_T9_mT8_P12ihipStream_tbDpT10_ENKUlT_T0_E_clISt17integral_constantIbLb0EES1A_EEDaS15_S16_EUlS15_E_NS1_11comp_targetILNS1_3genE9ELNS1_11target_archE1100ELNS1_3gpuE3ELNS1_3repE0EEENS1_30default_config_static_selectorELNS0_4arch9wavefront6targetE1EEEvT1_
    .private_segment_fixed_size: 0
    .sgpr_count:     6
    .sgpr_spill_count: 0
    .symbol:         _ZN7rocprim17ROCPRIM_400000_NS6detail17trampoline_kernelINS0_14default_configENS1_25partition_config_selectorILNS1_17partition_subalgoE3EtNS0_10empty_typeEbEEZZNS1_14partition_implILS5_3ELb0ES3_jN6thrust23THRUST_200600_302600_NS6detail15normal_iteratorINSA_7pointerItNSA_11hip_rocprim3tagENSA_11use_defaultESG_EEEEPS6_SJ_NS0_5tupleIJPtSJ_EEENSK_IJSJ_SJ_EEES6_PlJ7is_evenItEEEE10hipError_tPvRmT3_T4_T5_T6_T7_T9_mT8_P12ihipStream_tbDpT10_ENKUlT_T0_E_clISt17integral_constantIbLb0EES1A_EEDaS15_S16_EUlS15_E_NS1_11comp_targetILNS1_3genE9ELNS1_11target_archE1100ELNS1_3gpuE3ELNS1_3repE0EEENS1_30default_config_static_selectorELNS0_4arch9wavefront6targetE1EEEvT1_.kd
    .uniform_work_group_size: 1
    .uses_dynamic_stack: false
    .vgpr_count:     0
    .vgpr_spill_count: 0
    .wavefront_size: 64
  - .agpr_count:     0
    .args:
      - .offset:         0
        .size:           120
        .value_kind:     by_value
    .group_segment_fixed_size: 0
    .kernarg_segment_align: 8
    .kernarg_segment_size: 120
    .language:       OpenCL C
    .language_version:
      - 2
      - 0
    .max_flat_workgroup_size: 256
    .name:           _ZN7rocprim17ROCPRIM_400000_NS6detail17trampoline_kernelINS0_14default_configENS1_25partition_config_selectorILNS1_17partition_subalgoE3EtNS0_10empty_typeEbEEZZNS1_14partition_implILS5_3ELb0ES3_jN6thrust23THRUST_200600_302600_NS6detail15normal_iteratorINSA_7pointerItNSA_11hip_rocprim3tagENSA_11use_defaultESG_EEEEPS6_SJ_NS0_5tupleIJPtSJ_EEENSK_IJSJ_SJ_EEES6_PlJ7is_evenItEEEE10hipError_tPvRmT3_T4_T5_T6_T7_T9_mT8_P12ihipStream_tbDpT10_ENKUlT_T0_E_clISt17integral_constantIbLb0EES1A_EEDaS15_S16_EUlS15_E_NS1_11comp_targetILNS1_3genE8ELNS1_11target_archE1030ELNS1_3gpuE2ELNS1_3repE0EEENS1_30default_config_static_selectorELNS0_4arch9wavefront6targetE1EEEvT1_
    .private_segment_fixed_size: 0
    .sgpr_count:     6
    .sgpr_spill_count: 0
    .symbol:         _ZN7rocprim17ROCPRIM_400000_NS6detail17trampoline_kernelINS0_14default_configENS1_25partition_config_selectorILNS1_17partition_subalgoE3EtNS0_10empty_typeEbEEZZNS1_14partition_implILS5_3ELb0ES3_jN6thrust23THRUST_200600_302600_NS6detail15normal_iteratorINSA_7pointerItNSA_11hip_rocprim3tagENSA_11use_defaultESG_EEEEPS6_SJ_NS0_5tupleIJPtSJ_EEENSK_IJSJ_SJ_EEES6_PlJ7is_evenItEEEE10hipError_tPvRmT3_T4_T5_T6_T7_T9_mT8_P12ihipStream_tbDpT10_ENKUlT_T0_E_clISt17integral_constantIbLb0EES1A_EEDaS15_S16_EUlS15_E_NS1_11comp_targetILNS1_3genE8ELNS1_11target_archE1030ELNS1_3gpuE2ELNS1_3repE0EEENS1_30default_config_static_selectorELNS0_4arch9wavefront6targetE1EEEvT1_.kd
    .uniform_work_group_size: 1
    .uses_dynamic_stack: false
    .vgpr_count:     0
    .vgpr_spill_count: 0
    .wavefront_size: 64
  - .agpr_count:     0
    .args:
      - .offset:         0
        .size:           136
        .value_kind:     by_value
    .group_segment_fixed_size: 0
    .kernarg_segment_align: 8
    .kernarg_segment_size: 136
    .language:       OpenCL C
    .language_version:
      - 2
      - 0
    .max_flat_workgroup_size: 256
    .name:           _ZN7rocprim17ROCPRIM_400000_NS6detail17trampoline_kernelINS0_14default_configENS1_25partition_config_selectorILNS1_17partition_subalgoE3EtNS0_10empty_typeEbEEZZNS1_14partition_implILS5_3ELb0ES3_jN6thrust23THRUST_200600_302600_NS6detail15normal_iteratorINSA_7pointerItNSA_11hip_rocprim3tagENSA_11use_defaultESG_EEEEPS6_SJ_NS0_5tupleIJPtSJ_EEENSK_IJSJ_SJ_EEES6_PlJ7is_evenItEEEE10hipError_tPvRmT3_T4_T5_T6_T7_T9_mT8_P12ihipStream_tbDpT10_ENKUlT_T0_E_clISt17integral_constantIbLb1EES1A_EEDaS15_S16_EUlS15_E_NS1_11comp_targetILNS1_3genE0ELNS1_11target_archE4294967295ELNS1_3gpuE0ELNS1_3repE0EEENS1_30default_config_static_selectorELNS0_4arch9wavefront6targetE1EEEvT1_
    .private_segment_fixed_size: 0
    .sgpr_count:     6
    .sgpr_spill_count: 0
    .symbol:         _ZN7rocprim17ROCPRIM_400000_NS6detail17trampoline_kernelINS0_14default_configENS1_25partition_config_selectorILNS1_17partition_subalgoE3EtNS0_10empty_typeEbEEZZNS1_14partition_implILS5_3ELb0ES3_jN6thrust23THRUST_200600_302600_NS6detail15normal_iteratorINSA_7pointerItNSA_11hip_rocprim3tagENSA_11use_defaultESG_EEEEPS6_SJ_NS0_5tupleIJPtSJ_EEENSK_IJSJ_SJ_EEES6_PlJ7is_evenItEEEE10hipError_tPvRmT3_T4_T5_T6_T7_T9_mT8_P12ihipStream_tbDpT10_ENKUlT_T0_E_clISt17integral_constantIbLb1EES1A_EEDaS15_S16_EUlS15_E_NS1_11comp_targetILNS1_3genE0ELNS1_11target_archE4294967295ELNS1_3gpuE0ELNS1_3repE0EEENS1_30default_config_static_selectorELNS0_4arch9wavefront6targetE1EEEvT1_.kd
    .uniform_work_group_size: 1
    .uses_dynamic_stack: false
    .vgpr_count:     0
    .vgpr_spill_count: 0
    .wavefront_size: 64
  - .agpr_count:     0
    .args:
      - .offset:         0
        .size:           136
        .value_kind:     by_value
    .group_segment_fixed_size: 30728
    .kernarg_segment_align: 8
    .kernarg_segment_size: 136
    .language:       OpenCL C
    .language_version:
      - 2
      - 0
    .max_flat_workgroup_size: 512
    .name:           _ZN7rocprim17ROCPRIM_400000_NS6detail17trampoline_kernelINS0_14default_configENS1_25partition_config_selectorILNS1_17partition_subalgoE3EtNS0_10empty_typeEbEEZZNS1_14partition_implILS5_3ELb0ES3_jN6thrust23THRUST_200600_302600_NS6detail15normal_iteratorINSA_7pointerItNSA_11hip_rocprim3tagENSA_11use_defaultESG_EEEEPS6_SJ_NS0_5tupleIJPtSJ_EEENSK_IJSJ_SJ_EEES6_PlJ7is_evenItEEEE10hipError_tPvRmT3_T4_T5_T6_T7_T9_mT8_P12ihipStream_tbDpT10_ENKUlT_T0_E_clISt17integral_constantIbLb1EES1A_EEDaS15_S16_EUlS15_E_NS1_11comp_targetILNS1_3genE5ELNS1_11target_archE942ELNS1_3gpuE9ELNS1_3repE0EEENS1_30default_config_static_selectorELNS0_4arch9wavefront6targetE1EEEvT1_
    .private_segment_fixed_size: 0
    .sgpr_count:     50
    .sgpr_spill_count: 0
    .symbol:         _ZN7rocprim17ROCPRIM_400000_NS6detail17trampoline_kernelINS0_14default_configENS1_25partition_config_selectorILNS1_17partition_subalgoE3EtNS0_10empty_typeEbEEZZNS1_14partition_implILS5_3ELb0ES3_jN6thrust23THRUST_200600_302600_NS6detail15normal_iteratorINSA_7pointerItNSA_11hip_rocprim3tagENSA_11use_defaultESG_EEEEPS6_SJ_NS0_5tupleIJPtSJ_EEENSK_IJSJ_SJ_EEES6_PlJ7is_evenItEEEE10hipError_tPvRmT3_T4_T5_T6_T7_T9_mT8_P12ihipStream_tbDpT10_ENKUlT_T0_E_clISt17integral_constantIbLb1EES1A_EEDaS15_S16_EUlS15_E_NS1_11comp_targetILNS1_3genE5ELNS1_11target_archE942ELNS1_3gpuE9ELNS1_3repE0EEENS1_30default_config_static_selectorELNS0_4arch9wavefront6targetE1EEEvT1_.kd
    .uniform_work_group_size: 1
    .uses_dynamic_stack: false
    .vgpr_count:     124
    .vgpr_spill_count: 0
    .wavefront_size: 64
  - .agpr_count:     0
    .args:
      - .offset:         0
        .size:           136
        .value_kind:     by_value
    .group_segment_fixed_size: 0
    .kernarg_segment_align: 8
    .kernarg_segment_size: 136
    .language:       OpenCL C
    .language_version:
      - 2
      - 0
    .max_flat_workgroup_size: 256
    .name:           _ZN7rocprim17ROCPRIM_400000_NS6detail17trampoline_kernelINS0_14default_configENS1_25partition_config_selectorILNS1_17partition_subalgoE3EtNS0_10empty_typeEbEEZZNS1_14partition_implILS5_3ELb0ES3_jN6thrust23THRUST_200600_302600_NS6detail15normal_iteratorINSA_7pointerItNSA_11hip_rocprim3tagENSA_11use_defaultESG_EEEEPS6_SJ_NS0_5tupleIJPtSJ_EEENSK_IJSJ_SJ_EEES6_PlJ7is_evenItEEEE10hipError_tPvRmT3_T4_T5_T6_T7_T9_mT8_P12ihipStream_tbDpT10_ENKUlT_T0_E_clISt17integral_constantIbLb1EES1A_EEDaS15_S16_EUlS15_E_NS1_11comp_targetILNS1_3genE4ELNS1_11target_archE910ELNS1_3gpuE8ELNS1_3repE0EEENS1_30default_config_static_selectorELNS0_4arch9wavefront6targetE1EEEvT1_
    .private_segment_fixed_size: 0
    .sgpr_count:     6
    .sgpr_spill_count: 0
    .symbol:         _ZN7rocprim17ROCPRIM_400000_NS6detail17trampoline_kernelINS0_14default_configENS1_25partition_config_selectorILNS1_17partition_subalgoE3EtNS0_10empty_typeEbEEZZNS1_14partition_implILS5_3ELb0ES3_jN6thrust23THRUST_200600_302600_NS6detail15normal_iteratorINSA_7pointerItNSA_11hip_rocprim3tagENSA_11use_defaultESG_EEEEPS6_SJ_NS0_5tupleIJPtSJ_EEENSK_IJSJ_SJ_EEES6_PlJ7is_evenItEEEE10hipError_tPvRmT3_T4_T5_T6_T7_T9_mT8_P12ihipStream_tbDpT10_ENKUlT_T0_E_clISt17integral_constantIbLb1EES1A_EEDaS15_S16_EUlS15_E_NS1_11comp_targetILNS1_3genE4ELNS1_11target_archE910ELNS1_3gpuE8ELNS1_3repE0EEENS1_30default_config_static_selectorELNS0_4arch9wavefront6targetE1EEEvT1_.kd
    .uniform_work_group_size: 1
    .uses_dynamic_stack: false
    .vgpr_count:     0
    .vgpr_spill_count: 0
    .wavefront_size: 64
  - .agpr_count:     0
    .args:
      - .offset:         0
        .size:           136
        .value_kind:     by_value
    .group_segment_fixed_size: 0
    .kernarg_segment_align: 8
    .kernarg_segment_size: 136
    .language:       OpenCL C
    .language_version:
      - 2
      - 0
    .max_flat_workgroup_size: 256
    .name:           _ZN7rocprim17ROCPRIM_400000_NS6detail17trampoline_kernelINS0_14default_configENS1_25partition_config_selectorILNS1_17partition_subalgoE3EtNS0_10empty_typeEbEEZZNS1_14partition_implILS5_3ELb0ES3_jN6thrust23THRUST_200600_302600_NS6detail15normal_iteratorINSA_7pointerItNSA_11hip_rocprim3tagENSA_11use_defaultESG_EEEEPS6_SJ_NS0_5tupleIJPtSJ_EEENSK_IJSJ_SJ_EEES6_PlJ7is_evenItEEEE10hipError_tPvRmT3_T4_T5_T6_T7_T9_mT8_P12ihipStream_tbDpT10_ENKUlT_T0_E_clISt17integral_constantIbLb1EES1A_EEDaS15_S16_EUlS15_E_NS1_11comp_targetILNS1_3genE3ELNS1_11target_archE908ELNS1_3gpuE7ELNS1_3repE0EEENS1_30default_config_static_selectorELNS0_4arch9wavefront6targetE1EEEvT1_
    .private_segment_fixed_size: 0
    .sgpr_count:     6
    .sgpr_spill_count: 0
    .symbol:         _ZN7rocprim17ROCPRIM_400000_NS6detail17trampoline_kernelINS0_14default_configENS1_25partition_config_selectorILNS1_17partition_subalgoE3EtNS0_10empty_typeEbEEZZNS1_14partition_implILS5_3ELb0ES3_jN6thrust23THRUST_200600_302600_NS6detail15normal_iteratorINSA_7pointerItNSA_11hip_rocprim3tagENSA_11use_defaultESG_EEEEPS6_SJ_NS0_5tupleIJPtSJ_EEENSK_IJSJ_SJ_EEES6_PlJ7is_evenItEEEE10hipError_tPvRmT3_T4_T5_T6_T7_T9_mT8_P12ihipStream_tbDpT10_ENKUlT_T0_E_clISt17integral_constantIbLb1EES1A_EEDaS15_S16_EUlS15_E_NS1_11comp_targetILNS1_3genE3ELNS1_11target_archE908ELNS1_3gpuE7ELNS1_3repE0EEENS1_30default_config_static_selectorELNS0_4arch9wavefront6targetE1EEEvT1_.kd
    .uniform_work_group_size: 1
    .uses_dynamic_stack: false
    .vgpr_count:     0
    .vgpr_spill_count: 0
    .wavefront_size: 64
  - .agpr_count:     0
    .args:
      - .offset:         0
        .size:           136
        .value_kind:     by_value
    .group_segment_fixed_size: 0
    .kernarg_segment_align: 8
    .kernarg_segment_size: 136
    .language:       OpenCL C
    .language_version:
      - 2
      - 0
    .max_flat_workgroup_size: 256
    .name:           _ZN7rocprim17ROCPRIM_400000_NS6detail17trampoline_kernelINS0_14default_configENS1_25partition_config_selectorILNS1_17partition_subalgoE3EtNS0_10empty_typeEbEEZZNS1_14partition_implILS5_3ELb0ES3_jN6thrust23THRUST_200600_302600_NS6detail15normal_iteratorINSA_7pointerItNSA_11hip_rocprim3tagENSA_11use_defaultESG_EEEEPS6_SJ_NS0_5tupleIJPtSJ_EEENSK_IJSJ_SJ_EEES6_PlJ7is_evenItEEEE10hipError_tPvRmT3_T4_T5_T6_T7_T9_mT8_P12ihipStream_tbDpT10_ENKUlT_T0_E_clISt17integral_constantIbLb1EES1A_EEDaS15_S16_EUlS15_E_NS1_11comp_targetILNS1_3genE2ELNS1_11target_archE906ELNS1_3gpuE6ELNS1_3repE0EEENS1_30default_config_static_selectorELNS0_4arch9wavefront6targetE1EEEvT1_
    .private_segment_fixed_size: 0
    .sgpr_count:     6
    .sgpr_spill_count: 0
    .symbol:         _ZN7rocprim17ROCPRIM_400000_NS6detail17trampoline_kernelINS0_14default_configENS1_25partition_config_selectorILNS1_17partition_subalgoE3EtNS0_10empty_typeEbEEZZNS1_14partition_implILS5_3ELb0ES3_jN6thrust23THRUST_200600_302600_NS6detail15normal_iteratorINSA_7pointerItNSA_11hip_rocprim3tagENSA_11use_defaultESG_EEEEPS6_SJ_NS0_5tupleIJPtSJ_EEENSK_IJSJ_SJ_EEES6_PlJ7is_evenItEEEE10hipError_tPvRmT3_T4_T5_T6_T7_T9_mT8_P12ihipStream_tbDpT10_ENKUlT_T0_E_clISt17integral_constantIbLb1EES1A_EEDaS15_S16_EUlS15_E_NS1_11comp_targetILNS1_3genE2ELNS1_11target_archE906ELNS1_3gpuE6ELNS1_3repE0EEENS1_30default_config_static_selectorELNS0_4arch9wavefront6targetE1EEEvT1_.kd
    .uniform_work_group_size: 1
    .uses_dynamic_stack: false
    .vgpr_count:     0
    .vgpr_spill_count: 0
    .wavefront_size: 64
  - .agpr_count:     0
    .args:
      - .offset:         0
        .size:           136
        .value_kind:     by_value
    .group_segment_fixed_size: 0
    .kernarg_segment_align: 8
    .kernarg_segment_size: 136
    .language:       OpenCL C
    .language_version:
      - 2
      - 0
    .max_flat_workgroup_size: 512
    .name:           _ZN7rocprim17ROCPRIM_400000_NS6detail17trampoline_kernelINS0_14default_configENS1_25partition_config_selectorILNS1_17partition_subalgoE3EtNS0_10empty_typeEbEEZZNS1_14partition_implILS5_3ELb0ES3_jN6thrust23THRUST_200600_302600_NS6detail15normal_iteratorINSA_7pointerItNSA_11hip_rocprim3tagENSA_11use_defaultESG_EEEEPS6_SJ_NS0_5tupleIJPtSJ_EEENSK_IJSJ_SJ_EEES6_PlJ7is_evenItEEEE10hipError_tPvRmT3_T4_T5_T6_T7_T9_mT8_P12ihipStream_tbDpT10_ENKUlT_T0_E_clISt17integral_constantIbLb1EES1A_EEDaS15_S16_EUlS15_E_NS1_11comp_targetILNS1_3genE10ELNS1_11target_archE1200ELNS1_3gpuE4ELNS1_3repE0EEENS1_30default_config_static_selectorELNS0_4arch9wavefront6targetE1EEEvT1_
    .private_segment_fixed_size: 0
    .sgpr_count:     6
    .sgpr_spill_count: 0
    .symbol:         _ZN7rocprim17ROCPRIM_400000_NS6detail17trampoline_kernelINS0_14default_configENS1_25partition_config_selectorILNS1_17partition_subalgoE3EtNS0_10empty_typeEbEEZZNS1_14partition_implILS5_3ELb0ES3_jN6thrust23THRUST_200600_302600_NS6detail15normal_iteratorINSA_7pointerItNSA_11hip_rocprim3tagENSA_11use_defaultESG_EEEEPS6_SJ_NS0_5tupleIJPtSJ_EEENSK_IJSJ_SJ_EEES6_PlJ7is_evenItEEEE10hipError_tPvRmT3_T4_T5_T6_T7_T9_mT8_P12ihipStream_tbDpT10_ENKUlT_T0_E_clISt17integral_constantIbLb1EES1A_EEDaS15_S16_EUlS15_E_NS1_11comp_targetILNS1_3genE10ELNS1_11target_archE1200ELNS1_3gpuE4ELNS1_3repE0EEENS1_30default_config_static_selectorELNS0_4arch9wavefront6targetE1EEEvT1_.kd
    .uniform_work_group_size: 1
    .uses_dynamic_stack: false
    .vgpr_count:     0
    .vgpr_spill_count: 0
    .wavefront_size: 64
  - .agpr_count:     0
    .args:
      - .offset:         0
        .size:           136
        .value_kind:     by_value
    .group_segment_fixed_size: 0
    .kernarg_segment_align: 8
    .kernarg_segment_size: 136
    .language:       OpenCL C
    .language_version:
      - 2
      - 0
    .max_flat_workgroup_size: 128
    .name:           _ZN7rocprim17ROCPRIM_400000_NS6detail17trampoline_kernelINS0_14default_configENS1_25partition_config_selectorILNS1_17partition_subalgoE3EtNS0_10empty_typeEbEEZZNS1_14partition_implILS5_3ELb0ES3_jN6thrust23THRUST_200600_302600_NS6detail15normal_iteratorINSA_7pointerItNSA_11hip_rocprim3tagENSA_11use_defaultESG_EEEEPS6_SJ_NS0_5tupleIJPtSJ_EEENSK_IJSJ_SJ_EEES6_PlJ7is_evenItEEEE10hipError_tPvRmT3_T4_T5_T6_T7_T9_mT8_P12ihipStream_tbDpT10_ENKUlT_T0_E_clISt17integral_constantIbLb1EES1A_EEDaS15_S16_EUlS15_E_NS1_11comp_targetILNS1_3genE9ELNS1_11target_archE1100ELNS1_3gpuE3ELNS1_3repE0EEENS1_30default_config_static_selectorELNS0_4arch9wavefront6targetE1EEEvT1_
    .private_segment_fixed_size: 0
    .sgpr_count:     6
    .sgpr_spill_count: 0
    .symbol:         _ZN7rocprim17ROCPRIM_400000_NS6detail17trampoline_kernelINS0_14default_configENS1_25partition_config_selectorILNS1_17partition_subalgoE3EtNS0_10empty_typeEbEEZZNS1_14partition_implILS5_3ELb0ES3_jN6thrust23THRUST_200600_302600_NS6detail15normal_iteratorINSA_7pointerItNSA_11hip_rocprim3tagENSA_11use_defaultESG_EEEEPS6_SJ_NS0_5tupleIJPtSJ_EEENSK_IJSJ_SJ_EEES6_PlJ7is_evenItEEEE10hipError_tPvRmT3_T4_T5_T6_T7_T9_mT8_P12ihipStream_tbDpT10_ENKUlT_T0_E_clISt17integral_constantIbLb1EES1A_EEDaS15_S16_EUlS15_E_NS1_11comp_targetILNS1_3genE9ELNS1_11target_archE1100ELNS1_3gpuE3ELNS1_3repE0EEENS1_30default_config_static_selectorELNS0_4arch9wavefront6targetE1EEEvT1_.kd
    .uniform_work_group_size: 1
    .uses_dynamic_stack: false
    .vgpr_count:     0
    .vgpr_spill_count: 0
    .wavefront_size: 64
  - .agpr_count:     0
    .args:
      - .offset:         0
        .size:           136
        .value_kind:     by_value
    .group_segment_fixed_size: 0
    .kernarg_segment_align: 8
    .kernarg_segment_size: 136
    .language:       OpenCL C
    .language_version:
      - 2
      - 0
    .max_flat_workgroup_size: 256
    .name:           _ZN7rocprim17ROCPRIM_400000_NS6detail17trampoline_kernelINS0_14default_configENS1_25partition_config_selectorILNS1_17partition_subalgoE3EtNS0_10empty_typeEbEEZZNS1_14partition_implILS5_3ELb0ES3_jN6thrust23THRUST_200600_302600_NS6detail15normal_iteratorINSA_7pointerItNSA_11hip_rocprim3tagENSA_11use_defaultESG_EEEEPS6_SJ_NS0_5tupleIJPtSJ_EEENSK_IJSJ_SJ_EEES6_PlJ7is_evenItEEEE10hipError_tPvRmT3_T4_T5_T6_T7_T9_mT8_P12ihipStream_tbDpT10_ENKUlT_T0_E_clISt17integral_constantIbLb1EES1A_EEDaS15_S16_EUlS15_E_NS1_11comp_targetILNS1_3genE8ELNS1_11target_archE1030ELNS1_3gpuE2ELNS1_3repE0EEENS1_30default_config_static_selectorELNS0_4arch9wavefront6targetE1EEEvT1_
    .private_segment_fixed_size: 0
    .sgpr_count:     6
    .sgpr_spill_count: 0
    .symbol:         _ZN7rocprim17ROCPRIM_400000_NS6detail17trampoline_kernelINS0_14default_configENS1_25partition_config_selectorILNS1_17partition_subalgoE3EtNS0_10empty_typeEbEEZZNS1_14partition_implILS5_3ELb0ES3_jN6thrust23THRUST_200600_302600_NS6detail15normal_iteratorINSA_7pointerItNSA_11hip_rocprim3tagENSA_11use_defaultESG_EEEEPS6_SJ_NS0_5tupleIJPtSJ_EEENSK_IJSJ_SJ_EEES6_PlJ7is_evenItEEEE10hipError_tPvRmT3_T4_T5_T6_T7_T9_mT8_P12ihipStream_tbDpT10_ENKUlT_T0_E_clISt17integral_constantIbLb1EES1A_EEDaS15_S16_EUlS15_E_NS1_11comp_targetILNS1_3genE8ELNS1_11target_archE1030ELNS1_3gpuE2ELNS1_3repE0EEENS1_30default_config_static_selectorELNS0_4arch9wavefront6targetE1EEEvT1_.kd
    .uniform_work_group_size: 1
    .uses_dynamic_stack: false
    .vgpr_count:     0
    .vgpr_spill_count: 0
    .wavefront_size: 64
  - .agpr_count:     0
    .args:
      - .offset:         0
        .size:           120
        .value_kind:     by_value
    .group_segment_fixed_size: 0
    .kernarg_segment_align: 8
    .kernarg_segment_size: 120
    .language:       OpenCL C
    .language_version:
      - 2
      - 0
    .max_flat_workgroup_size: 256
    .name:           _ZN7rocprim17ROCPRIM_400000_NS6detail17trampoline_kernelINS0_14default_configENS1_25partition_config_selectorILNS1_17partition_subalgoE3EtNS0_10empty_typeEbEEZZNS1_14partition_implILS5_3ELb0ES3_jN6thrust23THRUST_200600_302600_NS6detail15normal_iteratorINSA_7pointerItNSA_11hip_rocprim3tagENSA_11use_defaultESG_EEEEPS6_SJ_NS0_5tupleIJPtSJ_EEENSK_IJSJ_SJ_EEES6_PlJ7is_evenItEEEE10hipError_tPvRmT3_T4_T5_T6_T7_T9_mT8_P12ihipStream_tbDpT10_ENKUlT_T0_E_clISt17integral_constantIbLb1EES19_IbLb0EEEEDaS15_S16_EUlS15_E_NS1_11comp_targetILNS1_3genE0ELNS1_11target_archE4294967295ELNS1_3gpuE0ELNS1_3repE0EEENS1_30default_config_static_selectorELNS0_4arch9wavefront6targetE1EEEvT1_
    .private_segment_fixed_size: 0
    .sgpr_count:     6
    .sgpr_spill_count: 0
    .symbol:         _ZN7rocprim17ROCPRIM_400000_NS6detail17trampoline_kernelINS0_14default_configENS1_25partition_config_selectorILNS1_17partition_subalgoE3EtNS0_10empty_typeEbEEZZNS1_14partition_implILS5_3ELb0ES3_jN6thrust23THRUST_200600_302600_NS6detail15normal_iteratorINSA_7pointerItNSA_11hip_rocprim3tagENSA_11use_defaultESG_EEEEPS6_SJ_NS0_5tupleIJPtSJ_EEENSK_IJSJ_SJ_EEES6_PlJ7is_evenItEEEE10hipError_tPvRmT3_T4_T5_T6_T7_T9_mT8_P12ihipStream_tbDpT10_ENKUlT_T0_E_clISt17integral_constantIbLb1EES19_IbLb0EEEEDaS15_S16_EUlS15_E_NS1_11comp_targetILNS1_3genE0ELNS1_11target_archE4294967295ELNS1_3gpuE0ELNS1_3repE0EEENS1_30default_config_static_selectorELNS0_4arch9wavefront6targetE1EEEvT1_.kd
    .uniform_work_group_size: 1
    .uses_dynamic_stack: false
    .vgpr_count:     0
    .vgpr_spill_count: 0
    .wavefront_size: 64
  - .agpr_count:     0
    .args:
      - .offset:         0
        .size:           120
        .value_kind:     by_value
    .group_segment_fixed_size: 30728
    .kernarg_segment_align: 8
    .kernarg_segment_size: 120
    .language:       OpenCL C
    .language_version:
      - 2
      - 0
    .max_flat_workgroup_size: 512
    .name:           _ZN7rocprim17ROCPRIM_400000_NS6detail17trampoline_kernelINS0_14default_configENS1_25partition_config_selectorILNS1_17partition_subalgoE3EtNS0_10empty_typeEbEEZZNS1_14partition_implILS5_3ELb0ES3_jN6thrust23THRUST_200600_302600_NS6detail15normal_iteratorINSA_7pointerItNSA_11hip_rocprim3tagENSA_11use_defaultESG_EEEEPS6_SJ_NS0_5tupleIJPtSJ_EEENSK_IJSJ_SJ_EEES6_PlJ7is_evenItEEEE10hipError_tPvRmT3_T4_T5_T6_T7_T9_mT8_P12ihipStream_tbDpT10_ENKUlT_T0_E_clISt17integral_constantIbLb1EES19_IbLb0EEEEDaS15_S16_EUlS15_E_NS1_11comp_targetILNS1_3genE5ELNS1_11target_archE942ELNS1_3gpuE9ELNS1_3repE0EEENS1_30default_config_static_selectorELNS0_4arch9wavefront6targetE1EEEvT1_
    .private_segment_fixed_size: 0
    .sgpr_count:     52
    .sgpr_spill_count: 0
    .symbol:         _ZN7rocprim17ROCPRIM_400000_NS6detail17trampoline_kernelINS0_14default_configENS1_25partition_config_selectorILNS1_17partition_subalgoE3EtNS0_10empty_typeEbEEZZNS1_14partition_implILS5_3ELb0ES3_jN6thrust23THRUST_200600_302600_NS6detail15normal_iteratorINSA_7pointerItNSA_11hip_rocprim3tagENSA_11use_defaultESG_EEEEPS6_SJ_NS0_5tupleIJPtSJ_EEENSK_IJSJ_SJ_EEES6_PlJ7is_evenItEEEE10hipError_tPvRmT3_T4_T5_T6_T7_T9_mT8_P12ihipStream_tbDpT10_ENKUlT_T0_E_clISt17integral_constantIbLb1EES19_IbLb0EEEEDaS15_S16_EUlS15_E_NS1_11comp_targetILNS1_3genE5ELNS1_11target_archE942ELNS1_3gpuE9ELNS1_3repE0EEENS1_30default_config_static_selectorELNS0_4arch9wavefront6targetE1EEEvT1_.kd
    .uniform_work_group_size: 1
    .uses_dynamic_stack: false
    .vgpr_count:     120
    .vgpr_spill_count: 0
    .wavefront_size: 64
  - .agpr_count:     0
    .args:
      - .offset:         0
        .size:           120
        .value_kind:     by_value
    .group_segment_fixed_size: 0
    .kernarg_segment_align: 8
    .kernarg_segment_size: 120
    .language:       OpenCL C
    .language_version:
      - 2
      - 0
    .max_flat_workgroup_size: 256
    .name:           _ZN7rocprim17ROCPRIM_400000_NS6detail17trampoline_kernelINS0_14default_configENS1_25partition_config_selectorILNS1_17partition_subalgoE3EtNS0_10empty_typeEbEEZZNS1_14partition_implILS5_3ELb0ES3_jN6thrust23THRUST_200600_302600_NS6detail15normal_iteratorINSA_7pointerItNSA_11hip_rocprim3tagENSA_11use_defaultESG_EEEEPS6_SJ_NS0_5tupleIJPtSJ_EEENSK_IJSJ_SJ_EEES6_PlJ7is_evenItEEEE10hipError_tPvRmT3_T4_T5_T6_T7_T9_mT8_P12ihipStream_tbDpT10_ENKUlT_T0_E_clISt17integral_constantIbLb1EES19_IbLb0EEEEDaS15_S16_EUlS15_E_NS1_11comp_targetILNS1_3genE4ELNS1_11target_archE910ELNS1_3gpuE8ELNS1_3repE0EEENS1_30default_config_static_selectorELNS0_4arch9wavefront6targetE1EEEvT1_
    .private_segment_fixed_size: 0
    .sgpr_count:     6
    .sgpr_spill_count: 0
    .symbol:         _ZN7rocprim17ROCPRIM_400000_NS6detail17trampoline_kernelINS0_14default_configENS1_25partition_config_selectorILNS1_17partition_subalgoE3EtNS0_10empty_typeEbEEZZNS1_14partition_implILS5_3ELb0ES3_jN6thrust23THRUST_200600_302600_NS6detail15normal_iteratorINSA_7pointerItNSA_11hip_rocprim3tagENSA_11use_defaultESG_EEEEPS6_SJ_NS0_5tupleIJPtSJ_EEENSK_IJSJ_SJ_EEES6_PlJ7is_evenItEEEE10hipError_tPvRmT3_T4_T5_T6_T7_T9_mT8_P12ihipStream_tbDpT10_ENKUlT_T0_E_clISt17integral_constantIbLb1EES19_IbLb0EEEEDaS15_S16_EUlS15_E_NS1_11comp_targetILNS1_3genE4ELNS1_11target_archE910ELNS1_3gpuE8ELNS1_3repE0EEENS1_30default_config_static_selectorELNS0_4arch9wavefront6targetE1EEEvT1_.kd
    .uniform_work_group_size: 1
    .uses_dynamic_stack: false
    .vgpr_count:     0
    .vgpr_spill_count: 0
    .wavefront_size: 64
  - .agpr_count:     0
    .args:
      - .offset:         0
        .size:           120
        .value_kind:     by_value
    .group_segment_fixed_size: 0
    .kernarg_segment_align: 8
    .kernarg_segment_size: 120
    .language:       OpenCL C
    .language_version:
      - 2
      - 0
    .max_flat_workgroup_size: 256
    .name:           _ZN7rocprim17ROCPRIM_400000_NS6detail17trampoline_kernelINS0_14default_configENS1_25partition_config_selectorILNS1_17partition_subalgoE3EtNS0_10empty_typeEbEEZZNS1_14partition_implILS5_3ELb0ES3_jN6thrust23THRUST_200600_302600_NS6detail15normal_iteratorINSA_7pointerItNSA_11hip_rocprim3tagENSA_11use_defaultESG_EEEEPS6_SJ_NS0_5tupleIJPtSJ_EEENSK_IJSJ_SJ_EEES6_PlJ7is_evenItEEEE10hipError_tPvRmT3_T4_T5_T6_T7_T9_mT8_P12ihipStream_tbDpT10_ENKUlT_T0_E_clISt17integral_constantIbLb1EES19_IbLb0EEEEDaS15_S16_EUlS15_E_NS1_11comp_targetILNS1_3genE3ELNS1_11target_archE908ELNS1_3gpuE7ELNS1_3repE0EEENS1_30default_config_static_selectorELNS0_4arch9wavefront6targetE1EEEvT1_
    .private_segment_fixed_size: 0
    .sgpr_count:     6
    .sgpr_spill_count: 0
    .symbol:         _ZN7rocprim17ROCPRIM_400000_NS6detail17trampoline_kernelINS0_14default_configENS1_25partition_config_selectorILNS1_17partition_subalgoE3EtNS0_10empty_typeEbEEZZNS1_14partition_implILS5_3ELb0ES3_jN6thrust23THRUST_200600_302600_NS6detail15normal_iteratorINSA_7pointerItNSA_11hip_rocprim3tagENSA_11use_defaultESG_EEEEPS6_SJ_NS0_5tupleIJPtSJ_EEENSK_IJSJ_SJ_EEES6_PlJ7is_evenItEEEE10hipError_tPvRmT3_T4_T5_T6_T7_T9_mT8_P12ihipStream_tbDpT10_ENKUlT_T0_E_clISt17integral_constantIbLb1EES19_IbLb0EEEEDaS15_S16_EUlS15_E_NS1_11comp_targetILNS1_3genE3ELNS1_11target_archE908ELNS1_3gpuE7ELNS1_3repE0EEENS1_30default_config_static_selectorELNS0_4arch9wavefront6targetE1EEEvT1_.kd
    .uniform_work_group_size: 1
    .uses_dynamic_stack: false
    .vgpr_count:     0
    .vgpr_spill_count: 0
    .wavefront_size: 64
  - .agpr_count:     0
    .args:
      - .offset:         0
        .size:           120
        .value_kind:     by_value
    .group_segment_fixed_size: 0
    .kernarg_segment_align: 8
    .kernarg_segment_size: 120
    .language:       OpenCL C
    .language_version:
      - 2
      - 0
    .max_flat_workgroup_size: 256
    .name:           _ZN7rocprim17ROCPRIM_400000_NS6detail17trampoline_kernelINS0_14default_configENS1_25partition_config_selectorILNS1_17partition_subalgoE3EtNS0_10empty_typeEbEEZZNS1_14partition_implILS5_3ELb0ES3_jN6thrust23THRUST_200600_302600_NS6detail15normal_iteratorINSA_7pointerItNSA_11hip_rocprim3tagENSA_11use_defaultESG_EEEEPS6_SJ_NS0_5tupleIJPtSJ_EEENSK_IJSJ_SJ_EEES6_PlJ7is_evenItEEEE10hipError_tPvRmT3_T4_T5_T6_T7_T9_mT8_P12ihipStream_tbDpT10_ENKUlT_T0_E_clISt17integral_constantIbLb1EES19_IbLb0EEEEDaS15_S16_EUlS15_E_NS1_11comp_targetILNS1_3genE2ELNS1_11target_archE906ELNS1_3gpuE6ELNS1_3repE0EEENS1_30default_config_static_selectorELNS0_4arch9wavefront6targetE1EEEvT1_
    .private_segment_fixed_size: 0
    .sgpr_count:     6
    .sgpr_spill_count: 0
    .symbol:         _ZN7rocprim17ROCPRIM_400000_NS6detail17trampoline_kernelINS0_14default_configENS1_25partition_config_selectorILNS1_17partition_subalgoE3EtNS0_10empty_typeEbEEZZNS1_14partition_implILS5_3ELb0ES3_jN6thrust23THRUST_200600_302600_NS6detail15normal_iteratorINSA_7pointerItNSA_11hip_rocprim3tagENSA_11use_defaultESG_EEEEPS6_SJ_NS0_5tupleIJPtSJ_EEENSK_IJSJ_SJ_EEES6_PlJ7is_evenItEEEE10hipError_tPvRmT3_T4_T5_T6_T7_T9_mT8_P12ihipStream_tbDpT10_ENKUlT_T0_E_clISt17integral_constantIbLb1EES19_IbLb0EEEEDaS15_S16_EUlS15_E_NS1_11comp_targetILNS1_3genE2ELNS1_11target_archE906ELNS1_3gpuE6ELNS1_3repE0EEENS1_30default_config_static_selectorELNS0_4arch9wavefront6targetE1EEEvT1_.kd
    .uniform_work_group_size: 1
    .uses_dynamic_stack: false
    .vgpr_count:     0
    .vgpr_spill_count: 0
    .wavefront_size: 64
  - .agpr_count:     0
    .args:
      - .offset:         0
        .size:           120
        .value_kind:     by_value
    .group_segment_fixed_size: 0
    .kernarg_segment_align: 8
    .kernarg_segment_size: 120
    .language:       OpenCL C
    .language_version:
      - 2
      - 0
    .max_flat_workgroup_size: 512
    .name:           _ZN7rocprim17ROCPRIM_400000_NS6detail17trampoline_kernelINS0_14default_configENS1_25partition_config_selectorILNS1_17partition_subalgoE3EtNS0_10empty_typeEbEEZZNS1_14partition_implILS5_3ELb0ES3_jN6thrust23THRUST_200600_302600_NS6detail15normal_iteratorINSA_7pointerItNSA_11hip_rocprim3tagENSA_11use_defaultESG_EEEEPS6_SJ_NS0_5tupleIJPtSJ_EEENSK_IJSJ_SJ_EEES6_PlJ7is_evenItEEEE10hipError_tPvRmT3_T4_T5_T6_T7_T9_mT8_P12ihipStream_tbDpT10_ENKUlT_T0_E_clISt17integral_constantIbLb1EES19_IbLb0EEEEDaS15_S16_EUlS15_E_NS1_11comp_targetILNS1_3genE10ELNS1_11target_archE1200ELNS1_3gpuE4ELNS1_3repE0EEENS1_30default_config_static_selectorELNS0_4arch9wavefront6targetE1EEEvT1_
    .private_segment_fixed_size: 0
    .sgpr_count:     6
    .sgpr_spill_count: 0
    .symbol:         _ZN7rocprim17ROCPRIM_400000_NS6detail17trampoline_kernelINS0_14default_configENS1_25partition_config_selectorILNS1_17partition_subalgoE3EtNS0_10empty_typeEbEEZZNS1_14partition_implILS5_3ELb0ES3_jN6thrust23THRUST_200600_302600_NS6detail15normal_iteratorINSA_7pointerItNSA_11hip_rocprim3tagENSA_11use_defaultESG_EEEEPS6_SJ_NS0_5tupleIJPtSJ_EEENSK_IJSJ_SJ_EEES6_PlJ7is_evenItEEEE10hipError_tPvRmT3_T4_T5_T6_T7_T9_mT8_P12ihipStream_tbDpT10_ENKUlT_T0_E_clISt17integral_constantIbLb1EES19_IbLb0EEEEDaS15_S16_EUlS15_E_NS1_11comp_targetILNS1_3genE10ELNS1_11target_archE1200ELNS1_3gpuE4ELNS1_3repE0EEENS1_30default_config_static_selectorELNS0_4arch9wavefront6targetE1EEEvT1_.kd
    .uniform_work_group_size: 1
    .uses_dynamic_stack: false
    .vgpr_count:     0
    .vgpr_spill_count: 0
    .wavefront_size: 64
  - .agpr_count:     0
    .args:
      - .offset:         0
        .size:           120
        .value_kind:     by_value
    .group_segment_fixed_size: 0
    .kernarg_segment_align: 8
    .kernarg_segment_size: 120
    .language:       OpenCL C
    .language_version:
      - 2
      - 0
    .max_flat_workgroup_size: 128
    .name:           _ZN7rocprim17ROCPRIM_400000_NS6detail17trampoline_kernelINS0_14default_configENS1_25partition_config_selectorILNS1_17partition_subalgoE3EtNS0_10empty_typeEbEEZZNS1_14partition_implILS5_3ELb0ES3_jN6thrust23THRUST_200600_302600_NS6detail15normal_iteratorINSA_7pointerItNSA_11hip_rocprim3tagENSA_11use_defaultESG_EEEEPS6_SJ_NS0_5tupleIJPtSJ_EEENSK_IJSJ_SJ_EEES6_PlJ7is_evenItEEEE10hipError_tPvRmT3_T4_T5_T6_T7_T9_mT8_P12ihipStream_tbDpT10_ENKUlT_T0_E_clISt17integral_constantIbLb1EES19_IbLb0EEEEDaS15_S16_EUlS15_E_NS1_11comp_targetILNS1_3genE9ELNS1_11target_archE1100ELNS1_3gpuE3ELNS1_3repE0EEENS1_30default_config_static_selectorELNS0_4arch9wavefront6targetE1EEEvT1_
    .private_segment_fixed_size: 0
    .sgpr_count:     6
    .sgpr_spill_count: 0
    .symbol:         _ZN7rocprim17ROCPRIM_400000_NS6detail17trampoline_kernelINS0_14default_configENS1_25partition_config_selectorILNS1_17partition_subalgoE3EtNS0_10empty_typeEbEEZZNS1_14partition_implILS5_3ELb0ES3_jN6thrust23THRUST_200600_302600_NS6detail15normal_iteratorINSA_7pointerItNSA_11hip_rocprim3tagENSA_11use_defaultESG_EEEEPS6_SJ_NS0_5tupleIJPtSJ_EEENSK_IJSJ_SJ_EEES6_PlJ7is_evenItEEEE10hipError_tPvRmT3_T4_T5_T6_T7_T9_mT8_P12ihipStream_tbDpT10_ENKUlT_T0_E_clISt17integral_constantIbLb1EES19_IbLb0EEEEDaS15_S16_EUlS15_E_NS1_11comp_targetILNS1_3genE9ELNS1_11target_archE1100ELNS1_3gpuE3ELNS1_3repE0EEENS1_30default_config_static_selectorELNS0_4arch9wavefront6targetE1EEEvT1_.kd
    .uniform_work_group_size: 1
    .uses_dynamic_stack: false
    .vgpr_count:     0
    .vgpr_spill_count: 0
    .wavefront_size: 64
  - .agpr_count:     0
    .args:
      - .offset:         0
        .size:           120
        .value_kind:     by_value
    .group_segment_fixed_size: 0
    .kernarg_segment_align: 8
    .kernarg_segment_size: 120
    .language:       OpenCL C
    .language_version:
      - 2
      - 0
    .max_flat_workgroup_size: 256
    .name:           _ZN7rocprim17ROCPRIM_400000_NS6detail17trampoline_kernelINS0_14default_configENS1_25partition_config_selectorILNS1_17partition_subalgoE3EtNS0_10empty_typeEbEEZZNS1_14partition_implILS5_3ELb0ES3_jN6thrust23THRUST_200600_302600_NS6detail15normal_iteratorINSA_7pointerItNSA_11hip_rocprim3tagENSA_11use_defaultESG_EEEEPS6_SJ_NS0_5tupleIJPtSJ_EEENSK_IJSJ_SJ_EEES6_PlJ7is_evenItEEEE10hipError_tPvRmT3_T4_T5_T6_T7_T9_mT8_P12ihipStream_tbDpT10_ENKUlT_T0_E_clISt17integral_constantIbLb1EES19_IbLb0EEEEDaS15_S16_EUlS15_E_NS1_11comp_targetILNS1_3genE8ELNS1_11target_archE1030ELNS1_3gpuE2ELNS1_3repE0EEENS1_30default_config_static_selectorELNS0_4arch9wavefront6targetE1EEEvT1_
    .private_segment_fixed_size: 0
    .sgpr_count:     6
    .sgpr_spill_count: 0
    .symbol:         _ZN7rocprim17ROCPRIM_400000_NS6detail17trampoline_kernelINS0_14default_configENS1_25partition_config_selectorILNS1_17partition_subalgoE3EtNS0_10empty_typeEbEEZZNS1_14partition_implILS5_3ELb0ES3_jN6thrust23THRUST_200600_302600_NS6detail15normal_iteratorINSA_7pointerItNSA_11hip_rocprim3tagENSA_11use_defaultESG_EEEEPS6_SJ_NS0_5tupleIJPtSJ_EEENSK_IJSJ_SJ_EEES6_PlJ7is_evenItEEEE10hipError_tPvRmT3_T4_T5_T6_T7_T9_mT8_P12ihipStream_tbDpT10_ENKUlT_T0_E_clISt17integral_constantIbLb1EES19_IbLb0EEEEDaS15_S16_EUlS15_E_NS1_11comp_targetILNS1_3genE8ELNS1_11target_archE1030ELNS1_3gpuE2ELNS1_3repE0EEENS1_30default_config_static_selectorELNS0_4arch9wavefront6targetE1EEEvT1_.kd
    .uniform_work_group_size: 1
    .uses_dynamic_stack: false
    .vgpr_count:     0
    .vgpr_spill_count: 0
    .wavefront_size: 64
  - .agpr_count:     0
    .args:
      - .offset:         0
        .size:           136
        .value_kind:     by_value
    .group_segment_fixed_size: 0
    .kernarg_segment_align: 8
    .kernarg_segment_size: 136
    .language:       OpenCL C
    .language_version:
      - 2
      - 0
    .max_flat_workgroup_size: 256
    .name:           _ZN7rocprim17ROCPRIM_400000_NS6detail17trampoline_kernelINS0_14default_configENS1_25partition_config_selectorILNS1_17partition_subalgoE3EtNS0_10empty_typeEbEEZZNS1_14partition_implILS5_3ELb0ES3_jN6thrust23THRUST_200600_302600_NS6detail15normal_iteratorINSA_7pointerItNSA_11hip_rocprim3tagENSA_11use_defaultESG_EEEEPS6_SJ_NS0_5tupleIJPtSJ_EEENSK_IJSJ_SJ_EEES6_PlJ7is_evenItEEEE10hipError_tPvRmT3_T4_T5_T6_T7_T9_mT8_P12ihipStream_tbDpT10_ENKUlT_T0_E_clISt17integral_constantIbLb0EES19_IbLb1EEEEDaS15_S16_EUlS15_E_NS1_11comp_targetILNS1_3genE0ELNS1_11target_archE4294967295ELNS1_3gpuE0ELNS1_3repE0EEENS1_30default_config_static_selectorELNS0_4arch9wavefront6targetE1EEEvT1_
    .private_segment_fixed_size: 0
    .sgpr_count:     6
    .sgpr_spill_count: 0
    .symbol:         _ZN7rocprim17ROCPRIM_400000_NS6detail17trampoline_kernelINS0_14default_configENS1_25partition_config_selectorILNS1_17partition_subalgoE3EtNS0_10empty_typeEbEEZZNS1_14partition_implILS5_3ELb0ES3_jN6thrust23THRUST_200600_302600_NS6detail15normal_iteratorINSA_7pointerItNSA_11hip_rocprim3tagENSA_11use_defaultESG_EEEEPS6_SJ_NS0_5tupleIJPtSJ_EEENSK_IJSJ_SJ_EEES6_PlJ7is_evenItEEEE10hipError_tPvRmT3_T4_T5_T6_T7_T9_mT8_P12ihipStream_tbDpT10_ENKUlT_T0_E_clISt17integral_constantIbLb0EES19_IbLb1EEEEDaS15_S16_EUlS15_E_NS1_11comp_targetILNS1_3genE0ELNS1_11target_archE4294967295ELNS1_3gpuE0ELNS1_3repE0EEENS1_30default_config_static_selectorELNS0_4arch9wavefront6targetE1EEEvT1_.kd
    .uniform_work_group_size: 1
    .uses_dynamic_stack: false
    .vgpr_count:     0
    .vgpr_spill_count: 0
    .wavefront_size: 64
  - .agpr_count:     0
    .args:
      - .offset:         0
        .size:           136
        .value_kind:     by_value
    .group_segment_fixed_size: 30728
    .kernarg_segment_align: 8
    .kernarg_segment_size: 136
    .language:       OpenCL C
    .language_version:
      - 2
      - 0
    .max_flat_workgroup_size: 512
    .name:           _ZN7rocprim17ROCPRIM_400000_NS6detail17trampoline_kernelINS0_14default_configENS1_25partition_config_selectorILNS1_17partition_subalgoE3EtNS0_10empty_typeEbEEZZNS1_14partition_implILS5_3ELb0ES3_jN6thrust23THRUST_200600_302600_NS6detail15normal_iteratorINSA_7pointerItNSA_11hip_rocprim3tagENSA_11use_defaultESG_EEEEPS6_SJ_NS0_5tupleIJPtSJ_EEENSK_IJSJ_SJ_EEES6_PlJ7is_evenItEEEE10hipError_tPvRmT3_T4_T5_T6_T7_T9_mT8_P12ihipStream_tbDpT10_ENKUlT_T0_E_clISt17integral_constantIbLb0EES19_IbLb1EEEEDaS15_S16_EUlS15_E_NS1_11comp_targetILNS1_3genE5ELNS1_11target_archE942ELNS1_3gpuE9ELNS1_3repE0EEENS1_30default_config_static_selectorELNS0_4arch9wavefront6targetE1EEEvT1_
    .private_segment_fixed_size: 0
    .sgpr_count:     50
    .sgpr_spill_count: 0
    .symbol:         _ZN7rocprim17ROCPRIM_400000_NS6detail17trampoline_kernelINS0_14default_configENS1_25partition_config_selectorILNS1_17partition_subalgoE3EtNS0_10empty_typeEbEEZZNS1_14partition_implILS5_3ELb0ES3_jN6thrust23THRUST_200600_302600_NS6detail15normal_iteratorINSA_7pointerItNSA_11hip_rocprim3tagENSA_11use_defaultESG_EEEEPS6_SJ_NS0_5tupleIJPtSJ_EEENSK_IJSJ_SJ_EEES6_PlJ7is_evenItEEEE10hipError_tPvRmT3_T4_T5_T6_T7_T9_mT8_P12ihipStream_tbDpT10_ENKUlT_T0_E_clISt17integral_constantIbLb0EES19_IbLb1EEEEDaS15_S16_EUlS15_E_NS1_11comp_targetILNS1_3genE5ELNS1_11target_archE942ELNS1_3gpuE9ELNS1_3repE0EEENS1_30default_config_static_selectorELNS0_4arch9wavefront6targetE1EEEvT1_.kd
    .uniform_work_group_size: 1
    .uses_dynamic_stack: false
    .vgpr_count:     124
    .vgpr_spill_count: 0
    .wavefront_size: 64
  - .agpr_count:     0
    .args:
      - .offset:         0
        .size:           136
        .value_kind:     by_value
    .group_segment_fixed_size: 0
    .kernarg_segment_align: 8
    .kernarg_segment_size: 136
    .language:       OpenCL C
    .language_version:
      - 2
      - 0
    .max_flat_workgroup_size: 256
    .name:           _ZN7rocprim17ROCPRIM_400000_NS6detail17trampoline_kernelINS0_14default_configENS1_25partition_config_selectorILNS1_17partition_subalgoE3EtNS0_10empty_typeEbEEZZNS1_14partition_implILS5_3ELb0ES3_jN6thrust23THRUST_200600_302600_NS6detail15normal_iteratorINSA_7pointerItNSA_11hip_rocprim3tagENSA_11use_defaultESG_EEEEPS6_SJ_NS0_5tupleIJPtSJ_EEENSK_IJSJ_SJ_EEES6_PlJ7is_evenItEEEE10hipError_tPvRmT3_T4_T5_T6_T7_T9_mT8_P12ihipStream_tbDpT10_ENKUlT_T0_E_clISt17integral_constantIbLb0EES19_IbLb1EEEEDaS15_S16_EUlS15_E_NS1_11comp_targetILNS1_3genE4ELNS1_11target_archE910ELNS1_3gpuE8ELNS1_3repE0EEENS1_30default_config_static_selectorELNS0_4arch9wavefront6targetE1EEEvT1_
    .private_segment_fixed_size: 0
    .sgpr_count:     6
    .sgpr_spill_count: 0
    .symbol:         _ZN7rocprim17ROCPRIM_400000_NS6detail17trampoline_kernelINS0_14default_configENS1_25partition_config_selectorILNS1_17partition_subalgoE3EtNS0_10empty_typeEbEEZZNS1_14partition_implILS5_3ELb0ES3_jN6thrust23THRUST_200600_302600_NS6detail15normal_iteratorINSA_7pointerItNSA_11hip_rocprim3tagENSA_11use_defaultESG_EEEEPS6_SJ_NS0_5tupleIJPtSJ_EEENSK_IJSJ_SJ_EEES6_PlJ7is_evenItEEEE10hipError_tPvRmT3_T4_T5_T6_T7_T9_mT8_P12ihipStream_tbDpT10_ENKUlT_T0_E_clISt17integral_constantIbLb0EES19_IbLb1EEEEDaS15_S16_EUlS15_E_NS1_11comp_targetILNS1_3genE4ELNS1_11target_archE910ELNS1_3gpuE8ELNS1_3repE0EEENS1_30default_config_static_selectorELNS0_4arch9wavefront6targetE1EEEvT1_.kd
    .uniform_work_group_size: 1
    .uses_dynamic_stack: false
    .vgpr_count:     0
    .vgpr_spill_count: 0
    .wavefront_size: 64
  - .agpr_count:     0
    .args:
      - .offset:         0
        .size:           136
        .value_kind:     by_value
    .group_segment_fixed_size: 0
    .kernarg_segment_align: 8
    .kernarg_segment_size: 136
    .language:       OpenCL C
    .language_version:
      - 2
      - 0
    .max_flat_workgroup_size: 256
    .name:           _ZN7rocprim17ROCPRIM_400000_NS6detail17trampoline_kernelINS0_14default_configENS1_25partition_config_selectorILNS1_17partition_subalgoE3EtNS0_10empty_typeEbEEZZNS1_14partition_implILS5_3ELb0ES3_jN6thrust23THRUST_200600_302600_NS6detail15normal_iteratorINSA_7pointerItNSA_11hip_rocprim3tagENSA_11use_defaultESG_EEEEPS6_SJ_NS0_5tupleIJPtSJ_EEENSK_IJSJ_SJ_EEES6_PlJ7is_evenItEEEE10hipError_tPvRmT3_T4_T5_T6_T7_T9_mT8_P12ihipStream_tbDpT10_ENKUlT_T0_E_clISt17integral_constantIbLb0EES19_IbLb1EEEEDaS15_S16_EUlS15_E_NS1_11comp_targetILNS1_3genE3ELNS1_11target_archE908ELNS1_3gpuE7ELNS1_3repE0EEENS1_30default_config_static_selectorELNS0_4arch9wavefront6targetE1EEEvT1_
    .private_segment_fixed_size: 0
    .sgpr_count:     6
    .sgpr_spill_count: 0
    .symbol:         _ZN7rocprim17ROCPRIM_400000_NS6detail17trampoline_kernelINS0_14default_configENS1_25partition_config_selectorILNS1_17partition_subalgoE3EtNS0_10empty_typeEbEEZZNS1_14partition_implILS5_3ELb0ES3_jN6thrust23THRUST_200600_302600_NS6detail15normal_iteratorINSA_7pointerItNSA_11hip_rocprim3tagENSA_11use_defaultESG_EEEEPS6_SJ_NS0_5tupleIJPtSJ_EEENSK_IJSJ_SJ_EEES6_PlJ7is_evenItEEEE10hipError_tPvRmT3_T4_T5_T6_T7_T9_mT8_P12ihipStream_tbDpT10_ENKUlT_T0_E_clISt17integral_constantIbLb0EES19_IbLb1EEEEDaS15_S16_EUlS15_E_NS1_11comp_targetILNS1_3genE3ELNS1_11target_archE908ELNS1_3gpuE7ELNS1_3repE0EEENS1_30default_config_static_selectorELNS0_4arch9wavefront6targetE1EEEvT1_.kd
    .uniform_work_group_size: 1
    .uses_dynamic_stack: false
    .vgpr_count:     0
    .vgpr_spill_count: 0
    .wavefront_size: 64
  - .agpr_count:     0
    .args:
      - .offset:         0
        .size:           136
        .value_kind:     by_value
    .group_segment_fixed_size: 0
    .kernarg_segment_align: 8
    .kernarg_segment_size: 136
    .language:       OpenCL C
    .language_version:
      - 2
      - 0
    .max_flat_workgroup_size: 256
    .name:           _ZN7rocprim17ROCPRIM_400000_NS6detail17trampoline_kernelINS0_14default_configENS1_25partition_config_selectorILNS1_17partition_subalgoE3EtNS0_10empty_typeEbEEZZNS1_14partition_implILS5_3ELb0ES3_jN6thrust23THRUST_200600_302600_NS6detail15normal_iteratorINSA_7pointerItNSA_11hip_rocprim3tagENSA_11use_defaultESG_EEEEPS6_SJ_NS0_5tupleIJPtSJ_EEENSK_IJSJ_SJ_EEES6_PlJ7is_evenItEEEE10hipError_tPvRmT3_T4_T5_T6_T7_T9_mT8_P12ihipStream_tbDpT10_ENKUlT_T0_E_clISt17integral_constantIbLb0EES19_IbLb1EEEEDaS15_S16_EUlS15_E_NS1_11comp_targetILNS1_3genE2ELNS1_11target_archE906ELNS1_3gpuE6ELNS1_3repE0EEENS1_30default_config_static_selectorELNS0_4arch9wavefront6targetE1EEEvT1_
    .private_segment_fixed_size: 0
    .sgpr_count:     6
    .sgpr_spill_count: 0
    .symbol:         _ZN7rocprim17ROCPRIM_400000_NS6detail17trampoline_kernelINS0_14default_configENS1_25partition_config_selectorILNS1_17partition_subalgoE3EtNS0_10empty_typeEbEEZZNS1_14partition_implILS5_3ELb0ES3_jN6thrust23THRUST_200600_302600_NS6detail15normal_iteratorINSA_7pointerItNSA_11hip_rocprim3tagENSA_11use_defaultESG_EEEEPS6_SJ_NS0_5tupleIJPtSJ_EEENSK_IJSJ_SJ_EEES6_PlJ7is_evenItEEEE10hipError_tPvRmT3_T4_T5_T6_T7_T9_mT8_P12ihipStream_tbDpT10_ENKUlT_T0_E_clISt17integral_constantIbLb0EES19_IbLb1EEEEDaS15_S16_EUlS15_E_NS1_11comp_targetILNS1_3genE2ELNS1_11target_archE906ELNS1_3gpuE6ELNS1_3repE0EEENS1_30default_config_static_selectorELNS0_4arch9wavefront6targetE1EEEvT1_.kd
    .uniform_work_group_size: 1
    .uses_dynamic_stack: false
    .vgpr_count:     0
    .vgpr_spill_count: 0
    .wavefront_size: 64
  - .agpr_count:     0
    .args:
      - .offset:         0
        .size:           136
        .value_kind:     by_value
    .group_segment_fixed_size: 0
    .kernarg_segment_align: 8
    .kernarg_segment_size: 136
    .language:       OpenCL C
    .language_version:
      - 2
      - 0
    .max_flat_workgroup_size: 512
    .name:           _ZN7rocprim17ROCPRIM_400000_NS6detail17trampoline_kernelINS0_14default_configENS1_25partition_config_selectorILNS1_17partition_subalgoE3EtNS0_10empty_typeEbEEZZNS1_14partition_implILS5_3ELb0ES3_jN6thrust23THRUST_200600_302600_NS6detail15normal_iteratorINSA_7pointerItNSA_11hip_rocprim3tagENSA_11use_defaultESG_EEEEPS6_SJ_NS0_5tupleIJPtSJ_EEENSK_IJSJ_SJ_EEES6_PlJ7is_evenItEEEE10hipError_tPvRmT3_T4_T5_T6_T7_T9_mT8_P12ihipStream_tbDpT10_ENKUlT_T0_E_clISt17integral_constantIbLb0EES19_IbLb1EEEEDaS15_S16_EUlS15_E_NS1_11comp_targetILNS1_3genE10ELNS1_11target_archE1200ELNS1_3gpuE4ELNS1_3repE0EEENS1_30default_config_static_selectorELNS0_4arch9wavefront6targetE1EEEvT1_
    .private_segment_fixed_size: 0
    .sgpr_count:     6
    .sgpr_spill_count: 0
    .symbol:         _ZN7rocprim17ROCPRIM_400000_NS6detail17trampoline_kernelINS0_14default_configENS1_25partition_config_selectorILNS1_17partition_subalgoE3EtNS0_10empty_typeEbEEZZNS1_14partition_implILS5_3ELb0ES3_jN6thrust23THRUST_200600_302600_NS6detail15normal_iteratorINSA_7pointerItNSA_11hip_rocprim3tagENSA_11use_defaultESG_EEEEPS6_SJ_NS0_5tupleIJPtSJ_EEENSK_IJSJ_SJ_EEES6_PlJ7is_evenItEEEE10hipError_tPvRmT3_T4_T5_T6_T7_T9_mT8_P12ihipStream_tbDpT10_ENKUlT_T0_E_clISt17integral_constantIbLb0EES19_IbLb1EEEEDaS15_S16_EUlS15_E_NS1_11comp_targetILNS1_3genE10ELNS1_11target_archE1200ELNS1_3gpuE4ELNS1_3repE0EEENS1_30default_config_static_selectorELNS0_4arch9wavefront6targetE1EEEvT1_.kd
    .uniform_work_group_size: 1
    .uses_dynamic_stack: false
    .vgpr_count:     0
    .vgpr_spill_count: 0
    .wavefront_size: 64
  - .agpr_count:     0
    .args:
      - .offset:         0
        .size:           136
        .value_kind:     by_value
    .group_segment_fixed_size: 0
    .kernarg_segment_align: 8
    .kernarg_segment_size: 136
    .language:       OpenCL C
    .language_version:
      - 2
      - 0
    .max_flat_workgroup_size: 128
    .name:           _ZN7rocprim17ROCPRIM_400000_NS6detail17trampoline_kernelINS0_14default_configENS1_25partition_config_selectorILNS1_17partition_subalgoE3EtNS0_10empty_typeEbEEZZNS1_14partition_implILS5_3ELb0ES3_jN6thrust23THRUST_200600_302600_NS6detail15normal_iteratorINSA_7pointerItNSA_11hip_rocprim3tagENSA_11use_defaultESG_EEEEPS6_SJ_NS0_5tupleIJPtSJ_EEENSK_IJSJ_SJ_EEES6_PlJ7is_evenItEEEE10hipError_tPvRmT3_T4_T5_T6_T7_T9_mT8_P12ihipStream_tbDpT10_ENKUlT_T0_E_clISt17integral_constantIbLb0EES19_IbLb1EEEEDaS15_S16_EUlS15_E_NS1_11comp_targetILNS1_3genE9ELNS1_11target_archE1100ELNS1_3gpuE3ELNS1_3repE0EEENS1_30default_config_static_selectorELNS0_4arch9wavefront6targetE1EEEvT1_
    .private_segment_fixed_size: 0
    .sgpr_count:     6
    .sgpr_spill_count: 0
    .symbol:         _ZN7rocprim17ROCPRIM_400000_NS6detail17trampoline_kernelINS0_14default_configENS1_25partition_config_selectorILNS1_17partition_subalgoE3EtNS0_10empty_typeEbEEZZNS1_14partition_implILS5_3ELb0ES3_jN6thrust23THRUST_200600_302600_NS6detail15normal_iteratorINSA_7pointerItNSA_11hip_rocprim3tagENSA_11use_defaultESG_EEEEPS6_SJ_NS0_5tupleIJPtSJ_EEENSK_IJSJ_SJ_EEES6_PlJ7is_evenItEEEE10hipError_tPvRmT3_T4_T5_T6_T7_T9_mT8_P12ihipStream_tbDpT10_ENKUlT_T0_E_clISt17integral_constantIbLb0EES19_IbLb1EEEEDaS15_S16_EUlS15_E_NS1_11comp_targetILNS1_3genE9ELNS1_11target_archE1100ELNS1_3gpuE3ELNS1_3repE0EEENS1_30default_config_static_selectorELNS0_4arch9wavefront6targetE1EEEvT1_.kd
    .uniform_work_group_size: 1
    .uses_dynamic_stack: false
    .vgpr_count:     0
    .vgpr_spill_count: 0
    .wavefront_size: 64
  - .agpr_count:     0
    .args:
      - .offset:         0
        .size:           136
        .value_kind:     by_value
    .group_segment_fixed_size: 0
    .kernarg_segment_align: 8
    .kernarg_segment_size: 136
    .language:       OpenCL C
    .language_version:
      - 2
      - 0
    .max_flat_workgroup_size: 256
    .name:           _ZN7rocprim17ROCPRIM_400000_NS6detail17trampoline_kernelINS0_14default_configENS1_25partition_config_selectorILNS1_17partition_subalgoE3EtNS0_10empty_typeEbEEZZNS1_14partition_implILS5_3ELb0ES3_jN6thrust23THRUST_200600_302600_NS6detail15normal_iteratorINSA_7pointerItNSA_11hip_rocprim3tagENSA_11use_defaultESG_EEEEPS6_SJ_NS0_5tupleIJPtSJ_EEENSK_IJSJ_SJ_EEES6_PlJ7is_evenItEEEE10hipError_tPvRmT3_T4_T5_T6_T7_T9_mT8_P12ihipStream_tbDpT10_ENKUlT_T0_E_clISt17integral_constantIbLb0EES19_IbLb1EEEEDaS15_S16_EUlS15_E_NS1_11comp_targetILNS1_3genE8ELNS1_11target_archE1030ELNS1_3gpuE2ELNS1_3repE0EEENS1_30default_config_static_selectorELNS0_4arch9wavefront6targetE1EEEvT1_
    .private_segment_fixed_size: 0
    .sgpr_count:     6
    .sgpr_spill_count: 0
    .symbol:         _ZN7rocprim17ROCPRIM_400000_NS6detail17trampoline_kernelINS0_14default_configENS1_25partition_config_selectorILNS1_17partition_subalgoE3EtNS0_10empty_typeEbEEZZNS1_14partition_implILS5_3ELb0ES3_jN6thrust23THRUST_200600_302600_NS6detail15normal_iteratorINSA_7pointerItNSA_11hip_rocprim3tagENSA_11use_defaultESG_EEEEPS6_SJ_NS0_5tupleIJPtSJ_EEENSK_IJSJ_SJ_EEES6_PlJ7is_evenItEEEE10hipError_tPvRmT3_T4_T5_T6_T7_T9_mT8_P12ihipStream_tbDpT10_ENKUlT_T0_E_clISt17integral_constantIbLb0EES19_IbLb1EEEEDaS15_S16_EUlS15_E_NS1_11comp_targetILNS1_3genE8ELNS1_11target_archE1030ELNS1_3gpuE2ELNS1_3repE0EEENS1_30default_config_static_selectorELNS0_4arch9wavefront6targetE1EEEvT1_.kd
    .uniform_work_group_size: 1
    .uses_dynamic_stack: false
    .vgpr_count:     0
    .vgpr_spill_count: 0
    .wavefront_size: 64
  - .agpr_count:     0
    .args:
      - .offset:         0
        .size:           48
        .value_kind:     by_value
    .group_segment_fixed_size: 0
    .kernarg_segment_align: 8
    .kernarg_segment_size: 48
    .language:       OpenCL C
    .language_version:
      - 2
      - 0
    .max_flat_workgroup_size: 256
    .name:           _ZN7rocprim17ROCPRIM_400000_NS6detail17trampoline_kernelINS0_13kernel_configILj256ELj4ELj4294967295EEENS1_37radix_sort_block_sort_config_selectorItNS0_10empty_typeEEEZNS1_21radix_sort_block_sortIS4_Lb0EN6thrust23THRUST_200600_302600_NS6detail15normal_iteratorINSA_10device_ptrItEEEESF_PS6_SG_NS0_19identity_decomposerEEE10hipError_tT1_T2_T3_T4_jRjT5_jjP12ihipStream_tbEUlT_E_NS1_11comp_targetILNS1_3genE0ELNS1_11target_archE4294967295ELNS1_3gpuE0ELNS1_3repE0EEENS1_44radix_sort_block_sort_config_static_selectorELNS0_4arch9wavefront6targetE1EEEvSJ_
    .private_segment_fixed_size: 0
    .sgpr_count:     6
    .sgpr_spill_count: 0
    .symbol:         _ZN7rocprim17ROCPRIM_400000_NS6detail17trampoline_kernelINS0_13kernel_configILj256ELj4ELj4294967295EEENS1_37radix_sort_block_sort_config_selectorItNS0_10empty_typeEEEZNS1_21radix_sort_block_sortIS4_Lb0EN6thrust23THRUST_200600_302600_NS6detail15normal_iteratorINSA_10device_ptrItEEEESF_PS6_SG_NS0_19identity_decomposerEEE10hipError_tT1_T2_T3_T4_jRjT5_jjP12ihipStream_tbEUlT_E_NS1_11comp_targetILNS1_3genE0ELNS1_11target_archE4294967295ELNS1_3gpuE0ELNS1_3repE0EEENS1_44radix_sort_block_sort_config_static_selectorELNS0_4arch9wavefront6targetE1EEEvSJ_.kd
    .uniform_work_group_size: 1
    .uses_dynamic_stack: false
    .vgpr_count:     0
    .vgpr_spill_count: 0
    .wavefront_size: 64
  - .agpr_count:     0
    .args:
      - .offset:         0
        .size:           48
        .value_kind:     by_value
      - .offset:         48
        .size:           4
        .value_kind:     hidden_block_count_x
      - .offset:         52
        .size:           4
        .value_kind:     hidden_block_count_y
      - .offset:         56
        .size:           4
        .value_kind:     hidden_block_count_z
      - .offset:         60
        .size:           2
        .value_kind:     hidden_group_size_x
      - .offset:         62
        .size:           2
        .value_kind:     hidden_group_size_y
      - .offset:         64
        .size:           2
        .value_kind:     hidden_group_size_z
      - .offset:         66
        .size:           2
        .value_kind:     hidden_remainder_x
      - .offset:         68
        .size:           2
        .value_kind:     hidden_remainder_y
      - .offset:         70
        .size:           2
        .value_kind:     hidden_remainder_z
      - .offset:         88
        .size:           8
        .value_kind:     hidden_global_offset_x
      - .offset:         96
        .size:           8
        .value_kind:     hidden_global_offset_y
      - .offset:         104
        .size:           8
        .value_kind:     hidden_global_offset_z
      - .offset:         112
        .size:           2
        .value_kind:     hidden_grid_dims
    .group_segment_fixed_size: 4112
    .kernarg_segment_align: 8
    .kernarg_segment_size: 304
    .language:       OpenCL C
    .language_version:
      - 2
      - 0
    .max_flat_workgroup_size: 256
    .name:           _ZN7rocprim17ROCPRIM_400000_NS6detail17trampoline_kernelINS0_13kernel_configILj256ELj4ELj4294967295EEENS1_37radix_sort_block_sort_config_selectorItNS0_10empty_typeEEEZNS1_21radix_sort_block_sortIS4_Lb0EN6thrust23THRUST_200600_302600_NS6detail15normal_iteratorINSA_10device_ptrItEEEESF_PS6_SG_NS0_19identity_decomposerEEE10hipError_tT1_T2_T3_T4_jRjT5_jjP12ihipStream_tbEUlT_E_NS1_11comp_targetILNS1_3genE5ELNS1_11target_archE942ELNS1_3gpuE9ELNS1_3repE0EEENS1_44radix_sort_block_sort_config_static_selectorELNS0_4arch9wavefront6targetE1EEEvSJ_
    .private_segment_fixed_size: 0
    .sgpr_count:     50
    .sgpr_spill_count: 0
    .symbol:         _ZN7rocprim17ROCPRIM_400000_NS6detail17trampoline_kernelINS0_13kernel_configILj256ELj4ELj4294967295EEENS1_37radix_sort_block_sort_config_selectorItNS0_10empty_typeEEEZNS1_21radix_sort_block_sortIS4_Lb0EN6thrust23THRUST_200600_302600_NS6detail15normal_iteratorINSA_10device_ptrItEEEESF_PS6_SG_NS0_19identity_decomposerEEE10hipError_tT1_T2_T3_T4_jRjT5_jjP12ihipStream_tbEUlT_E_NS1_11comp_targetILNS1_3genE5ELNS1_11target_archE942ELNS1_3gpuE9ELNS1_3repE0EEENS1_44radix_sort_block_sort_config_static_selectorELNS0_4arch9wavefront6targetE1EEEvSJ_.kd
    .uniform_work_group_size: 1
    .uses_dynamic_stack: false
    .vgpr_count:     38
    .vgpr_spill_count: 0
    .wavefront_size: 64
  - .agpr_count:     0
    .args:
      - .offset:         0
        .size:           48
        .value_kind:     by_value
    .group_segment_fixed_size: 0
    .kernarg_segment_align: 8
    .kernarg_segment_size: 48
    .language:       OpenCL C
    .language_version:
      - 2
      - 0
    .max_flat_workgroup_size: 256
    .name:           _ZN7rocprim17ROCPRIM_400000_NS6detail17trampoline_kernelINS0_13kernel_configILj256ELj4ELj4294967295EEENS1_37radix_sort_block_sort_config_selectorItNS0_10empty_typeEEEZNS1_21radix_sort_block_sortIS4_Lb0EN6thrust23THRUST_200600_302600_NS6detail15normal_iteratorINSA_10device_ptrItEEEESF_PS6_SG_NS0_19identity_decomposerEEE10hipError_tT1_T2_T3_T4_jRjT5_jjP12ihipStream_tbEUlT_E_NS1_11comp_targetILNS1_3genE4ELNS1_11target_archE910ELNS1_3gpuE8ELNS1_3repE0EEENS1_44radix_sort_block_sort_config_static_selectorELNS0_4arch9wavefront6targetE1EEEvSJ_
    .private_segment_fixed_size: 0
    .sgpr_count:     6
    .sgpr_spill_count: 0
    .symbol:         _ZN7rocprim17ROCPRIM_400000_NS6detail17trampoline_kernelINS0_13kernel_configILj256ELj4ELj4294967295EEENS1_37radix_sort_block_sort_config_selectorItNS0_10empty_typeEEEZNS1_21radix_sort_block_sortIS4_Lb0EN6thrust23THRUST_200600_302600_NS6detail15normal_iteratorINSA_10device_ptrItEEEESF_PS6_SG_NS0_19identity_decomposerEEE10hipError_tT1_T2_T3_T4_jRjT5_jjP12ihipStream_tbEUlT_E_NS1_11comp_targetILNS1_3genE4ELNS1_11target_archE910ELNS1_3gpuE8ELNS1_3repE0EEENS1_44radix_sort_block_sort_config_static_selectorELNS0_4arch9wavefront6targetE1EEEvSJ_.kd
    .uniform_work_group_size: 1
    .uses_dynamic_stack: false
    .vgpr_count:     0
    .vgpr_spill_count: 0
    .wavefront_size: 64
  - .agpr_count:     0
    .args:
      - .offset:         0
        .size:           48
        .value_kind:     by_value
    .group_segment_fixed_size: 0
    .kernarg_segment_align: 8
    .kernarg_segment_size: 48
    .language:       OpenCL C
    .language_version:
      - 2
      - 0
    .max_flat_workgroup_size: 256
    .name:           _ZN7rocprim17ROCPRIM_400000_NS6detail17trampoline_kernelINS0_13kernel_configILj256ELj4ELj4294967295EEENS1_37radix_sort_block_sort_config_selectorItNS0_10empty_typeEEEZNS1_21radix_sort_block_sortIS4_Lb0EN6thrust23THRUST_200600_302600_NS6detail15normal_iteratorINSA_10device_ptrItEEEESF_PS6_SG_NS0_19identity_decomposerEEE10hipError_tT1_T2_T3_T4_jRjT5_jjP12ihipStream_tbEUlT_E_NS1_11comp_targetILNS1_3genE3ELNS1_11target_archE908ELNS1_3gpuE7ELNS1_3repE0EEENS1_44radix_sort_block_sort_config_static_selectorELNS0_4arch9wavefront6targetE1EEEvSJ_
    .private_segment_fixed_size: 0
    .sgpr_count:     6
    .sgpr_spill_count: 0
    .symbol:         _ZN7rocprim17ROCPRIM_400000_NS6detail17trampoline_kernelINS0_13kernel_configILj256ELj4ELj4294967295EEENS1_37radix_sort_block_sort_config_selectorItNS0_10empty_typeEEEZNS1_21radix_sort_block_sortIS4_Lb0EN6thrust23THRUST_200600_302600_NS6detail15normal_iteratorINSA_10device_ptrItEEEESF_PS6_SG_NS0_19identity_decomposerEEE10hipError_tT1_T2_T3_T4_jRjT5_jjP12ihipStream_tbEUlT_E_NS1_11comp_targetILNS1_3genE3ELNS1_11target_archE908ELNS1_3gpuE7ELNS1_3repE0EEENS1_44radix_sort_block_sort_config_static_selectorELNS0_4arch9wavefront6targetE1EEEvSJ_.kd
    .uniform_work_group_size: 1
    .uses_dynamic_stack: false
    .vgpr_count:     0
    .vgpr_spill_count: 0
    .wavefront_size: 64
  - .agpr_count:     0
    .args:
      - .offset:         0
        .size:           48
        .value_kind:     by_value
    .group_segment_fixed_size: 0
    .kernarg_segment_align: 8
    .kernarg_segment_size: 48
    .language:       OpenCL C
    .language_version:
      - 2
      - 0
    .max_flat_workgroup_size: 256
    .name:           _ZN7rocprim17ROCPRIM_400000_NS6detail17trampoline_kernelINS0_13kernel_configILj256ELj4ELj4294967295EEENS1_37radix_sort_block_sort_config_selectorItNS0_10empty_typeEEEZNS1_21radix_sort_block_sortIS4_Lb0EN6thrust23THRUST_200600_302600_NS6detail15normal_iteratorINSA_10device_ptrItEEEESF_PS6_SG_NS0_19identity_decomposerEEE10hipError_tT1_T2_T3_T4_jRjT5_jjP12ihipStream_tbEUlT_E_NS1_11comp_targetILNS1_3genE2ELNS1_11target_archE906ELNS1_3gpuE6ELNS1_3repE0EEENS1_44radix_sort_block_sort_config_static_selectorELNS0_4arch9wavefront6targetE1EEEvSJ_
    .private_segment_fixed_size: 0
    .sgpr_count:     6
    .sgpr_spill_count: 0
    .symbol:         _ZN7rocprim17ROCPRIM_400000_NS6detail17trampoline_kernelINS0_13kernel_configILj256ELj4ELj4294967295EEENS1_37radix_sort_block_sort_config_selectorItNS0_10empty_typeEEEZNS1_21radix_sort_block_sortIS4_Lb0EN6thrust23THRUST_200600_302600_NS6detail15normal_iteratorINSA_10device_ptrItEEEESF_PS6_SG_NS0_19identity_decomposerEEE10hipError_tT1_T2_T3_T4_jRjT5_jjP12ihipStream_tbEUlT_E_NS1_11comp_targetILNS1_3genE2ELNS1_11target_archE906ELNS1_3gpuE6ELNS1_3repE0EEENS1_44radix_sort_block_sort_config_static_selectorELNS0_4arch9wavefront6targetE1EEEvSJ_.kd
    .uniform_work_group_size: 1
    .uses_dynamic_stack: false
    .vgpr_count:     0
    .vgpr_spill_count: 0
    .wavefront_size: 64
  - .agpr_count:     0
    .args:
      - .offset:         0
        .size:           48
        .value_kind:     by_value
    .group_segment_fixed_size: 0
    .kernarg_segment_align: 8
    .kernarg_segment_size: 48
    .language:       OpenCL C
    .language_version:
      - 2
      - 0
    .max_flat_workgroup_size: 256
    .name:           _ZN7rocprim17ROCPRIM_400000_NS6detail17trampoline_kernelINS0_13kernel_configILj256ELj4ELj4294967295EEENS1_37radix_sort_block_sort_config_selectorItNS0_10empty_typeEEEZNS1_21radix_sort_block_sortIS4_Lb0EN6thrust23THRUST_200600_302600_NS6detail15normal_iteratorINSA_10device_ptrItEEEESF_PS6_SG_NS0_19identity_decomposerEEE10hipError_tT1_T2_T3_T4_jRjT5_jjP12ihipStream_tbEUlT_E_NS1_11comp_targetILNS1_3genE10ELNS1_11target_archE1201ELNS1_3gpuE5ELNS1_3repE0EEENS1_44radix_sort_block_sort_config_static_selectorELNS0_4arch9wavefront6targetE1EEEvSJ_
    .private_segment_fixed_size: 0
    .sgpr_count:     6
    .sgpr_spill_count: 0
    .symbol:         _ZN7rocprim17ROCPRIM_400000_NS6detail17trampoline_kernelINS0_13kernel_configILj256ELj4ELj4294967295EEENS1_37radix_sort_block_sort_config_selectorItNS0_10empty_typeEEEZNS1_21radix_sort_block_sortIS4_Lb0EN6thrust23THRUST_200600_302600_NS6detail15normal_iteratorINSA_10device_ptrItEEEESF_PS6_SG_NS0_19identity_decomposerEEE10hipError_tT1_T2_T3_T4_jRjT5_jjP12ihipStream_tbEUlT_E_NS1_11comp_targetILNS1_3genE10ELNS1_11target_archE1201ELNS1_3gpuE5ELNS1_3repE0EEENS1_44radix_sort_block_sort_config_static_selectorELNS0_4arch9wavefront6targetE1EEEvSJ_.kd
    .uniform_work_group_size: 1
    .uses_dynamic_stack: false
    .vgpr_count:     0
    .vgpr_spill_count: 0
    .wavefront_size: 64
  - .agpr_count:     0
    .args:
      - .offset:         0
        .size:           48
        .value_kind:     by_value
    .group_segment_fixed_size: 0
    .kernarg_segment_align: 8
    .kernarg_segment_size: 48
    .language:       OpenCL C
    .language_version:
      - 2
      - 0
    .max_flat_workgroup_size: 256
    .name:           _ZN7rocprim17ROCPRIM_400000_NS6detail17trampoline_kernelINS0_13kernel_configILj256ELj4ELj4294967295EEENS1_37radix_sort_block_sort_config_selectorItNS0_10empty_typeEEEZNS1_21radix_sort_block_sortIS4_Lb0EN6thrust23THRUST_200600_302600_NS6detail15normal_iteratorINSA_10device_ptrItEEEESF_PS6_SG_NS0_19identity_decomposerEEE10hipError_tT1_T2_T3_T4_jRjT5_jjP12ihipStream_tbEUlT_E_NS1_11comp_targetILNS1_3genE10ELNS1_11target_archE1200ELNS1_3gpuE4ELNS1_3repE0EEENS1_44radix_sort_block_sort_config_static_selectorELNS0_4arch9wavefront6targetE1EEEvSJ_
    .private_segment_fixed_size: 0
    .sgpr_count:     6
    .sgpr_spill_count: 0
    .symbol:         _ZN7rocprim17ROCPRIM_400000_NS6detail17trampoline_kernelINS0_13kernel_configILj256ELj4ELj4294967295EEENS1_37radix_sort_block_sort_config_selectorItNS0_10empty_typeEEEZNS1_21radix_sort_block_sortIS4_Lb0EN6thrust23THRUST_200600_302600_NS6detail15normal_iteratorINSA_10device_ptrItEEEESF_PS6_SG_NS0_19identity_decomposerEEE10hipError_tT1_T2_T3_T4_jRjT5_jjP12ihipStream_tbEUlT_E_NS1_11comp_targetILNS1_3genE10ELNS1_11target_archE1200ELNS1_3gpuE4ELNS1_3repE0EEENS1_44radix_sort_block_sort_config_static_selectorELNS0_4arch9wavefront6targetE1EEEvSJ_.kd
    .uniform_work_group_size: 1
    .uses_dynamic_stack: false
    .vgpr_count:     0
    .vgpr_spill_count: 0
    .wavefront_size: 64
  - .agpr_count:     0
    .args:
      - .offset:         0
        .size:           48
        .value_kind:     by_value
    .group_segment_fixed_size: 0
    .kernarg_segment_align: 8
    .kernarg_segment_size: 48
    .language:       OpenCL C
    .language_version:
      - 2
      - 0
    .max_flat_workgroup_size: 256
    .name:           _ZN7rocprim17ROCPRIM_400000_NS6detail17trampoline_kernelINS0_13kernel_configILj256ELj4ELj4294967295EEENS1_37radix_sort_block_sort_config_selectorItNS0_10empty_typeEEEZNS1_21radix_sort_block_sortIS4_Lb0EN6thrust23THRUST_200600_302600_NS6detail15normal_iteratorINSA_10device_ptrItEEEESF_PS6_SG_NS0_19identity_decomposerEEE10hipError_tT1_T2_T3_T4_jRjT5_jjP12ihipStream_tbEUlT_E_NS1_11comp_targetILNS1_3genE9ELNS1_11target_archE1100ELNS1_3gpuE3ELNS1_3repE0EEENS1_44radix_sort_block_sort_config_static_selectorELNS0_4arch9wavefront6targetE1EEEvSJ_
    .private_segment_fixed_size: 0
    .sgpr_count:     6
    .sgpr_spill_count: 0
    .symbol:         _ZN7rocprim17ROCPRIM_400000_NS6detail17trampoline_kernelINS0_13kernel_configILj256ELj4ELj4294967295EEENS1_37radix_sort_block_sort_config_selectorItNS0_10empty_typeEEEZNS1_21radix_sort_block_sortIS4_Lb0EN6thrust23THRUST_200600_302600_NS6detail15normal_iteratorINSA_10device_ptrItEEEESF_PS6_SG_NS0_19identity_decomposerEEE10hipError_tT1_T2_T3_T4_jRjT5_jjP12ihipStream_tbEUlT_E_NS1_11comp_targetILNS1_3genE9ELNS1_11target_archE1100ELNS1_3gpuE3ELNS1_3repE0EEENS1_44radix_sort_block_sort_config_static_selectorELNS0_4arch9wavefront6targetE1EEEvSJ_.kd
    .uniform_work_group_size: 1
    .uses_dynamic_stack: false
    .vgpr_count:     0
    .vgpr_spill_count: 0
    .wavefront_size: 64
  - .agpr_count:     0
    .args:
      - .offset:         0
        .size:           48
        .value_kind:     by_value
    .group_segment_fixed_size: 0
    .kernarg_segment_align: 8
    .kernarg_segment_size: 48
    .language:       OpenCL C
    .language_version:
      - 2
      - 0
    .max_flat_workgroup_size: 256
    .name:           _ZN7rocprim17ROCPRIM_400000_NS6detail17trampoline_kernelINS0_13kernel_configILj256ELj4ELj4294967295EEENS1_37radix_sort_block_sort_config_selectorItNS0_10empty_typeEEEZNS1_21radix_sort_block_sortIS4_Lb0EN6thrust23THRUST_200600_302600_NS6detail15normal_iteratorINSA_10device_ptrItEEEESF_PS6_SG_NS0_19identity_decomposerEEE10hipError_tT1_T2_T3_T4_jRjT5_jjP12ihipStream_tbEUlT_E_NS1_11comp_targetILNS1_3genE8ELNS1_11target_archE1030ELNS1_3gpuE2ELNS1_3repE0EEENS1_44radix_sort_block_sort_config_static_selectorELNS0_4arch9wavefront6targetE1EEEvSJ_
    .private_segment_fixed_size: 0
    .sgpr_count:     6
    .sgpr_spill_count: 0
    .symbol:         _ZN7rocprim17ROCPRIM_400000_NS6detail17trampoline_kernelINS0_13kernel_configILj256ELj4ELj4294967295EEENS1_37radix_sort_block_sort_config_selectorItNS0_10empty_typeEEEZNS1_21radix_sort_block_sortIS4_Lb0EN6thrust23THRUST_200600_302600_NS6detail15normal_iteratorINSA_10device_ptrItEEEESF_PS6_SG_NS0_19identity_decomposerEEE10hipError_tT1_T2_T3_T4_jRjT5_jjP12ihipStream_tbEUlT_E_NS1_11comp_targetILNS1_3genE8ELNS1_11target_archE1030ELNS1_3gpuE2ELNS1_3repE0EEENS1_44radix_sort_block_sort_config_static_selectorELNS0_4arch9wavefront6targetE1EEEvSJ_.kd
    .uniform_work_group_size: 1
    .uses_dynamic_stack: false
    .vgpr_count:     0
    .vgpr_spill_count: 0
    .wavefront_size: 64
  - .agpr_count:     0
    .args:           []
    .group_segment_fixed_size: 0
    .kernarg_segment_align: 4
    .kernarg_segment_size: 0
    .language:       OpenCL C
    .language_version:
      - 2
      - 0
    .max_flat_workgroup_size: 1024
    .name:           _ZN7rocprim17ROCPRIM_400000_NS6detail44device_merge_sort_compile_time_verifier_archINS1_11comp_targetILNS1_3genE0ELNS1_11target_archE4294967295ELNS1_3gpuE0ELNS1_3repE0EEES8_NS1_28merge_sort_block_sort_configILj256ELj4ELNS0_20block_sort_algorithmE0EEENS0_14default_configENS1_37merge_sort_block_sort_config_selectorItNS0_10empty_typeEEENS1_38merge_sort_block_merge_config_selectorItSE_EEEEvv
    .private_segment_fixed_size: 0
    .sgpr_count:     6
    .sgpr_spill_count: 0
    .symbol:         _ZN7rocprim17ROCPRIM_400000_NS6detail44device_merge_sort_compile_time_verifier_archINS1_11comp_targetILNS1_3genE0ELNS1_11target_archE4294967295ELNS1_3gpuE0ELNS1_3repE0EEES8_NS1_28merge_sort_block_sort_configILj256ELj4ELNS0_20block_sort_algorithmE0EEENS0_14default_configENS1_37merge_sort_block_sort_config_selectorItNS0_10empty_typeEEENS1_38merge_sort_block_merge_config_selectorItSE_EEEEvv.kd
    .uniform_work_group_size: 1
    .uses_dynamic_stack: false
    .vgpr_count:     0
    .vgpr_spill_count: 0
    .wavefront_size: 64
  - .agpr_count:     0
    .args:           []
    .group_segment_fixed_size: 0
    .kernarg_segment_align: 4
    .kernarg_segment_size: 0
    .language:       OpenCL C
    .language_version:
      - 2
      - 0
    .max_flat_workgroup_size: 1024
    .name:           _ZN7rocprim17ROCPRIM_400000_NS6detail44device_merge_sort_compile_time_verifier_archINS1_11comp_targetILNS1_3genE5ELNS1_11target_archE942ELNS1_3gpuE9ELNS1_3repE0EEES8_NS1_28merge_sort_block_sort_configILj256ELj4ELNS0_20block_sort_algorithmE0EEENS0_14default_configENS1_37merge_sort_block_sort_config_selectorItNS0_10empty_typeEEENS1_38merge_sort_block_merge_config_selectorItSE_EEEEvv
    .private_segment_fixed_size: 0
    .sgpr_count:     6
    .sgpr_spill_count: 0
    .symbol:         _ZN7rocprim17ROCPRIM_400000_NS6detail44device_merge_sort_compile_time_verifier_archINS1_11comp_targetILNS1_3genE5ELNS1_11target_archE942ELNS1_3gpuE9ELNS1_3repE0EEES8_NS1_28merge_sort_block_sort_configILj256ELj4ELNS0_20block_sort_algorithmE0EEENS0_14default_configENS1_37merge_sort_block_sort_config_selectorItNS0_10empty_typeEEENS1_38merge_sort_block_merge_config_selectorItSE_EEEEvv.kd
    .uniform_work_group_size: 1
    .uses_dynamic_stack: false
    .vgpr_count:     0
    .vgpr_spill_count: 0
    .wavefront_size: 64
  - .agpr_count:     0
    .args:           []
    .group_segment_fixed_size: 0
    .kernarg_segment_align: 4
    .kernarg_segment_size: 0
    .language:       OpenCL C
    .language_version:
      - 2
      - 0
    .max_flat_workgroup_size: 1024
    .name:           _ZN7rocprim17ROCPRIM_400000_NS6detail44device_merge_sort_compile_time_verifier_archINS1_11comp_targetILNS1_3genE4ELNS1_11target_archE910ELNS1_3gpuE8ELNS1_3repE0EEES8_NS1_28merge_sort_block_sort_configILj256ELj4ELNS0_20block_sort_algorithmE0EEENS0_14default_configENS1_37merge_sort_block_sort_config_selectorItNS0_10empty_typeEEENS1_38merge_sort_block_merge_config_selectorItSE_EEEEvv
    .private_segment_fixed_size: 0
    .sgpr_count:     6
    .sgpr_spill_count: 0
    .symbol:         _ZN7rocprim17ROCPRIM_400000_NS6detail44device_merge_sort_compile_time_verifier_archINS1_11comp_targetILNS1_3genE4ELNS1_11target_archE910ELNS1_3gpuE8ELNS1_3repE0EEES8_NS1_28merge_sort_block_sort_configILj256ELj4ELNS0_20block_sort_algorithmE0EEENS0_14default_configENS1_37merge_sort_block_sort_config_selectorItNS0_10empty_typeEEENS1_38merge_sort_block_merge_config_selectorItSE_EEEEvv.kd
    .uniform_work_group_size: 1
    .uses_dynamic_stack: false
    .vgpr_count:     0
    .vgpr_spill_count: 0
    .wavefront_size: 64
  - .agpr_count:     0
    .args:           []
    .group_segment_fixed_size: 0
    .kernarg_segment_align: 4
    .kernarg_segment_size: 0
    .language:       OpenCL C
    .language_version:
      - 2
      - 0
    .max_flat_workgroup_size: 1024
    .name:           _ZN7rocprim17ROCPRIM_400000_NS6detail44device_merge_sort_compile_time_verifier_archINS1_11comp_targetILNS1_3genE3ELNS1_11target_archE908ELNS1_3gpuE7ELNS1_3repE0EEES8_NS1_28merge_sort_block_sort_configILj256ELj4ELNS0_20block_sort_algorithmE0EEENS0_14default_configENS1_37merge_sort_block_sort_config_selectorItNS0_10empty_typeEEENS1_38merge_sort_block_merge_config_selectorItSE_EEEEvv
    .private_segment_fixed_size: 0
    .sgpr_count:     6
    .sgpr_spill_count: 0
    .symbol:         _ZN7rocprim17ROCPRIM_400000_NS6detail44device_merge_sort_compile_time_verifier_archINS1_11comp_targetILNS1_3genE3ELNS1_11target_archE908ELNS1_3gpuE7ELNS1_3repE0EEES8_NS1_28merge_sort_block_sort_configILj256ELj4ELNS0_20block_sort_algorithmE0EEENS0_14default_configENS1_37merge_sort_block_sort_config_selectorItNS0_10empty_typeEEENS1_38merge_sort_block_merge_config_selectorItSE_EEEEvv.kd
    .uniform_work_group_size: 1
    .uses_dynamic_stack: false
    .vgpr_count:     0
    .vgpr_spill_count: 0
    .wavefront_size: 64
  - .agpr_count:     0
    .args:           []
    .group_segment_fixed_size: 0
    .kernarg_segment_align: 4
    .kernarg_segment_size: 0
    .language:       OpenCL C
    .language_version:
      - 2
      - 0
    .max_flat_workgroup_size: 1024
    .name:           _ZN7rocprim17ROCPRIM_400000_NS6detail44device_merge_sort_compile_time_verifier_archINS1_11comp_targetILNS1_3genE2ELNS1_11target_archE906ELNS1_3gpuE6ELNS1_3repE0EEES8_NS1_28merge_sort_block_sort_configILj256ELj4ELNS0_20block_sort_algorithmE0EEENS0_14default_configENS1_37merge_sort_block_sort_config_selectorItNS0_10empty_typeEEENS1_38merge_sort_block_merge_config_selectorItSE_EEEEvv
    .private_segment_fixed_size: 0
    .sgpr_count:     6
    .sgpr_spill_count: 0
    .symbol:         _ZN7rocprim17ROCPRIM_400000_NS6detail44device_merge_sort_compile_time_verifier_archINS1_11comp_targetILNS1_3genE2ELNS1_11target_archE906ELNS1_3gpuE6ELNS1_3repE0EEES8_NS1_28merge_sort_block_sort_configILj256ELj4ELNS0_20block_sort_algorithmE0EEENS0_14default_configENS1_37merge_sort_block_sort_config_selectorItNS0_10empty_typeEEENS1_38merge_sort_block_merge_config_selectorItSE_EEEEvv.kd
    .uniform_work_group_size: 1
    .uses_dynamic_stack: false
    .vgpr_count:     0
    .vgpr_spill_count: 0
    .wavefront_size: 64
  - .agpr_count:     0
    .args:           []
    .group_segment_fixed_size: 0
    .kernarg_segment_align: 4
    .kernarg_segment_size: 0
    .language:       OpenCL C
    .language_version:
      - 2
      - 0
    .max_flat_workgroup_size: 1024
    .name:           _ZN7rocprim17ROCPRIM_400000_NS6detail44device_merge_sort_compile_time_verifier_archINS1_11comp_targetILNS1_3genE10ELNS1_11target_archE1201ELNS1_3gpuE5ELNS1_3repE0EEES8_NS1_28merge_sort_block_sort_configILj256ELj4ELNS0_20block_sort_algorithmE0EEENS0_14default_configENS1_37merge_sort_block_sort_config_selectorItNS0_10empty_typeEEENS1_38merge_sort_block_merge_config_selectorItSE_EEEEvv
    .private_segment_fixed_size: 0
    .sgpr_count:     6
    .sgpr_spill_count: 0
    .symbol:         _ZN7rocprim17ROCPRIM_400000_NS6detail44device_merge_sort_compile_time_verifier_archINS1_11comp_targetILNS1_3genE10ELNS1_11target_archE1201ELNS1_3gpuE5ELNS1_3repE0EEES8_NS1_28merge_sort_block_sort_configILj256ELj4ELNS0_20block_sort_algorithmE0EEENS0_14default_configENS1_37merge_sort_block_sort_config_selectorItNS0_10empty_typeEEENS1_38merge_sort_block_merge_config_selectorItSE_EEEEvv.kd
    .uniform_work_group_size: 1
    .uses_dynamic_stack: false
    .vgpr_count:     0
    .vgpr_spill_count: 0
    .wavefront_size: 64
  - .agpr_count:     0
    .args:           []
    .group_segment_fixed_size: 0
    .kernarg_segment_align: 4
    .kernarg_segment_size: 0
    .language:       OpenCL C
    .language_version:
      - 2
      - 0
    .max_flat_workgroup_size: 1024
    .name:           _ZN7rocprim17ROCPRIM_400000_NS6detail44device_merge_sort_compile_time_verifier_archINS1_11comp_targetILNS1_3genE10ELNS1_11target_archE1200ELNS1_3gpuE4ELNS1_3repE0EEENS3_ILS4_10ELS5_1201ELS6_5ELS7_0EEENS1_28merge_sort_block_sort_configILj256ELj4ELNS0_20block_sort_algorithmE0EEENS0_14default_configENS1_37merge_sort_block_sort_config_selectorItNS0_10empty_typeEEENS1_38merge_sort_block_merge_config_selectorItSF_EEEEvv
    .private_segment_fixed_size: 0
    .sgpr_count:     6
    .sgpr_spill_count: 0
    .symbol:         _ZN7rocprim17ROCPRIM_400000_NS6detail44device_merge_sort_compile_time_verifier_archINS1_11comp_targetILNS1_3genE10ELNS1_11target_archE1200ELNS1_3gpuE4ELNS1_3repE0EEENS3_ILS4_10ELS5_1201ELS6_5ELS7_0EEENS1_28merge_sort_block_sort_configILj256ELj4ELNS0_20block_sort_algorithmE0EEENS0_14default_configENS1_37merge_sort_block_sort_config_selectorItNS0_10empty_typeEEENS1_38merge_sort_block_merge_config_selectorItSF_EEEEvv.kd
    .uniform_work_group_size: 1
    .uses_dynamic_stack: false
    .vgpr_count:     0
    .vgpr_spill_count: 0
    .wavefront_size: 64
  - .agpr_count:     0
    .args:           []
    .group_segment_fixed_size: 0
    .kernarg_segment_align: 4
    .kernarg_segment_size: 0
    .language:       OpenCL C
    .language_version:
      - 2
      - 0
    .max_flat_workgroup_size: 1024
    .name:           _ZN7rocprim17ROCPRIM_400000_NS6detail44device_merge_sort_compile_time_verifier_archINS1_11comp_targetILNS1_3genE9ELNS1_11target_archE1100ELNS1_3gpuE3ELNS1_3repE0EEES8_NS1_28merge_sort_block_sort_configILj256ELj4ELNS0_20block_sort_algorithmE0EEENS0_14default_configENS1_37merge_sort_block_sort_config_selectorItNS0_10empty_typeEEENS1_38merge_sort_block_merge_config_selectorItSE_EEEEvv
    .private_segment_fixed_size: 0
    .sgpr_count:     6
    .sgpr_spill_count: 0
    .symbol:         _ZN7rocprim17ROCPRIM_400000_NS6detail44device_merge_sort_compile_time_verifier_archINS1_11comp_targetILNS1_3genE9ELNS1_11target_archE1100ELNS1_3gpuE3ELNS1_3repE0EEES8_NS1_28merge_sort_block_sort_configILj256ELj4ELNS0_20block_sort_algorithmE0EEENS0_14default_configENS1_37merge_sort_block_sort_config_selectorItNS0_10empty_typeEEENS1_38merge_sort_block_merge_config_selectorItSE_EEEEvv.kd
    .uniform_work_group_size: 1
    .uses_dynamic_stack: false
    .vgpr_count:     0
    .vgpr_spill_count: 0
    .wavefront_size: 64
  - .agpr_count:     0
    .args:           []
    .group_segment_fixed_size: 0
    .kernarg_segment_align: 4
    .kernarg_segment_size: 0
    .language:       OpenCL C
    .language_version:
      - 2
      - 0
    .max_flat_workgroup_size: 1024
    .name:           _ZN7rocprim17ROCPRIM_400000_NS6detail44device_merge_sort_compile_time_verifier_archINS1_11comp_targetILNS1_3genE8ELNS1_11target_archE1030ELNS1_3gpuE2ELNS1_3repE0EEES8_NS1_28merge_sort_block_sort_configILj256ELj4ELNS0_20block_sort_algorithmE0EEENS0_14default_configENS1_37merge_sort_block_sort_config_selectorItNS0_10empty_typeEEENS1_38merge_sort_block_merge_config_selectorItSE_EEEEvv
    .private_segment_fixed_size: 0
    .sgpr_count:     6
    .sgpr_spill_count: 0
    .symbol:         _ZN7rocprim17ROCPRIM_400000_NS6detail44device_merge_sort_compile_time_verifier_archINS1_11comp_targetILNS1_3genE8ELNS1_11target_archE1030ELNS1_3gpuE2ELNS1_3repE0EEES8_NS1_28merge_sort_block_sort_configILj256ELj4ELNS0_20block_sort_algorithmE0EEENS0_14default_configENS1_37merge_sort_block_sort_config_selectorItNS0_10empty_typeEEENS1_38merge_sort_block_merge_config_selectorItSE_EEEEvv.kd
    .uniform_work_group_size: 1
    .uses_dynamic_stack: false
    .vgpr_count:     0
    .vgpr_spill_count: 0
    .wavefront_size: 64
  - .agpr_count:     0
    .args:
      - .offset:         0
        .size:           40
        .value_kind:     by_value
    .group_segment_fixed_size: 0
    .kernarg_segment_align: 8
    .kernarg_segment_size: 40
    .language:       OpenCL C
    .language_version:
      - 2
      - 0
    .max_flat_workgroup_size: 128
    .name:           _ZN7rocprim17ROCPRIM_400000_NS6detail17trampoline_kernelINS0_14default_configENS1_38merge_sort_block_merge_config_selectorItNS0_10empty_typeEEEZZNS1_27merge_sort_block_merge_implIS3_N6thrust23THRUST_200600_302600_NS6detail15normal_iteratorINS9_10device_ptrItEEEEPS5_jNS1_19radix_merge_compareILb0ELb0EtNS0_19identity_decomposerEEEEE10hipError_tT0_T1_T2_jT3_P12ihipStream_tbPNSt15iterator_traitsISK_E10value_typeEPNSQ_ISL_E10value_typeEPSM_NS1_7vsmem_tEENKUlT_SK_SL_SM_E_clIPtSE_SF_SF_EESJ_SZ_SK_SL_SM_EUlSZ_E_NS1_11comp_targetILNS1_3genE0ELNS1_11target_archE4294967295ELNS1_3gpuE0ELNS1_3repE0EEENS1_48merge_mergepath_partition_config_static_selectorELNS0_4arch9wavefront6targetE1EEEvSL_
    .private_segment_fixed_size: 0
    .sgpr_count:     6
    .sgpr_spill_count: 0
    .symbol:         _ZN7rocprim17ROCPRIM_400000_NS6detail17trampoline_kernelINS0_14default_configENS1_38merge_sort_block_merge_config_selectorItNS0_10empty_typeEEEZZNS1_27merge_sort_block_merge_implIS3_N6thrust23THRUST_200600_302600_NS6detail15normal_iteratorINS9_10device_ptrItEEEEPS5_jNS1_19radix_merge_compareILb0ELb0EtNS0_19identity_decomposerEEEEE10hipError_tT0_T1_T2_jT3_P12ihipStream_tbPNSt15iterator_traitsISK_E10value_typeEPNSQ_ISL_E10value_typeEPSM_NS1_7vsmem_tEENKUlT_SK_SL_SM_E_clIPtSE_SF_SF_EESJ_SZ_SK_SL_SM_EUlSZ_E_NS1_11comp_targetILNS1_3genE0ELNS1_11target_archE4294967295ELNS1_3gpuE0ELNS1_3repE0EEENS1_48merge_mergepath_partition_config_static_selectorELNS0_4arch9wavefront6targetE1EEEvSL_.kd
    .uniform_work_group_size: 1
    .uses_dynamic_stack: false
    .vgpr_count:     0
    .vgpr_spill_count: 0
    .wavefront_size: 64
  - .agpr_count:     0
    .args:
      - .offset:         0
        .size:           40
        .value_kind:     by_value
    .group_segment_fixed_size: 0
    .kernarg_segment_align: 8
    .kernarg_segment_size: 40
    .language:       OpenCL C
    .language_version:
      - 2
      - 0
    .max_flat_workgroup_size: 128
    .name:           _ZN7rocprim17ROCPRIM_400000_NS6detail17trampoline_kernelINS0_14default_configENS1_38merge_sort_block_merge_config_selectorItNS0_10empty_typeEEEZZNS1_27merge_sort_block_merge_implIS3_N6thrust23THRUST_200600_302600_NS6detail15normal_iteratorINS9_10device_ptrItEEEEPS5_jNS1_19radix_merge_compareILb0ELb0EtNS0_19identity_decomposerEEEEE10hipError_tT0_T1_T2_jT3_P12ihipStream_tbPNSt15iterator_traitsISK_E10value_typeEPNSQ_ISL_E10value_typeEPSM_NS1_7vsmem_tEENKUlT_SK_SL_SM_E_clIPtSE_SF_SF_EESJ_SZ_SK_SL_SM_EUlSZ_E_NS1_11comp_targetILNS1_3genE10ELNS1_11target_archE1201ELNS1_3gpuE5ELNS1_3repE0EEENS1_48merge_mergepath_partition_config_static_selectorELNS0_4arch9wavefront6targetE1EEEvSL_
    .private_segment_fixed_size: 0
    .sgpr_count:     6
    .sgpr_spill_count: 0
    .symbol:         _ZN7rocprim17ROCPRIM_400000_NS6detail17trampoline_kernelINS0_14default_configENS1_38merge_sort_block_merge_config_selectorItNS0_10empty_typeEEEZZNS1_27merge_sort_block_merge_implIS3_N6thrust23THRUST_200600_302600_NS6detail15normal_iteratorINS9_10device_ptrItEEEEPS5_jNS1_19radix_merge_compareILb0ELb0EtNS0_19identity_decomposerEEEEE10hipError_tT0_T1_T2_jT3_P12ihipStream_tbPNSt15iterator_traitsISK_E10value_typeEPNSQ_ISL_E10value_typeEPSM_NS1_7vsmem_tEENKUlT_SK_SL_SM_E_clIPtSE_SF_SF_EESJ_SZ_SK_SL_SM_EUlSZ_E_NS1_11comp_targetILNS1_3genE10ELNS1_11target_archE1201ELNS1_3gpuE5ELNS1_3repE0EEENS1_48merge_mergepath_partition_config_static_selectorELNS0_4arch9wavefront6targetE1EEEvSL_.kd
    .uniform_work_group_size: 1
    .uses_dynamic_stack: false
    .vgpr_count:     0
    .vgpr_spill_count: 0
    .wavefront_size: 64
  - .agpr_count:     0
    .args:
      - .offset:         0
        .size:           40
        .value_kind:     by_value
    .group_segment_fixed_size: 0
    .kernarg_segment_align: 8
    .kernarg_segment_size: 40
    .language:       OpenCL C
    .language_version:
      - 2
      - 0
    .max_flat_workgroup_size: 128
    .name:           _ZN7rocprim17ROCPRIM_400000_NS6detail17trampoline_kernelINS0_14default_configENS1_38merge_sort_block_merge_config_selectorItNS0_10empty_typeEEEZZNS1_27merge_sort_block_merge_implIS3_N6thrust23THRUST_200600_302600_NS6detail15normal_iteratorINS9_10device_ptrItEEEEPS5_jNS1_19radix_merge_compareILb0ELb0EtNS0_19identity_decomposerEEEEE10hipError_tT0_T1_T2_jT3_P12ihipStream_tbPNSt15iterator_traitsISK_E10value_typeEPNSQ_ISL_E10value_typeEPSM_NS1_7vsmem_tEENKUlT_SK_SL_SM_E_clIPtSE_SF_SF_EESJ_SZ_SK_SL_SM_EUlSZ_E_NS1_11comp_targetILNS1_3genE5ELNS1_11target_archE942ELNS1_3gpuE9ELNS1_3repE0EEENS1_48merge_mergepath_partition_config_static_selectorELNS0_4arch9wavefront6targetE1EEEvSL_
    .private_segment_fixed_size: 0
    .sgpr_count:     14
    .sgpr_spill_count: 0
    .symbol:         _ZN7rocprim17ROCPRIM_400000_NS6detail17trampoline_kernelINS0_14default_configENS1_38merge_sort_block_merge_config_selectorItNS0_10empty_typeEEEZZNS1_27merge_sort_block_merge_implIS3_N6thrust23THRUST_200600_302600_NS6detail15normal_iteratorINS9_10device_ptrItEEEEPS5_jNS1_19radix_merge_compareILb0ELb0EtNS0_19identity_decomposerEEEEE10hipError_tT0_T1_T2_jT3_P12ihipStream_tbPNSt15iterator_traitsISK_E10value_typeEPNSQ_ISL_E10value_typeEPSM_NS1_7vsmem_tEENKUlT_SK_SL_SM_E_clIPtSE_SF_SF_EESJ_SZ_SK_SL_SM_EUlSZ_E_NS1_11comp_targetILNS1_3genE5ELNS1_11target_archE942ELNS1_3gpuE9ELNS1_3repE0EEENS1_48merge_mergepath_partition_config_static_selectorELNS0_4arch9wavefront6targetE1EEEvSL_.kd
    .uniform_work_group_size: 1
    .uses_dynamic_stack: false
    .vgpr_count:     17
    .vgpr_spill_count: 0
    .wavefront_size: 64
  - .agpr_count:     0
    .args:
      - .offset:         0
        .size:           40
        .value_kind:     by_value
    .group_segment_fixed_size: 0
    .kernarg_segment_align: 8
    .kernarg_segment_size: 40
    .language:       OpenCL C
    .language_version:
      - 2
      - 0
    .max_flat_workgroup_size: 128
    .name:           _ZN7rocprim17ROCPRIM_400000_NS6detail17trampoline_kernelINS0_14default_configENS1_38merge_sort_block_merge_config_selectorItNS0_10empty_typeEEEZZNS1_27merge_sort_block_merge_implIS3_N6thrust23THRUST_200600_302600_NS6detail15normal_iteratorINS9_10device_ptrItEEEEPS5_jNS1_19radix_merge_compareILb0ELb0EtNS0_19identity_decomposerEEEEE10hipError_tT0_T1_T2_jT3_P12ihipStream_tbPNSt15iterator_traitsISK_E10value_typeEPNSQ_ISL_E10value_typeEPSM_NS1_7vsmem_tEENKUlT_SK_SL_SM_E_clIPtSE_SF_SF_EESJ_SZ_SK_SL_SM_EUlSZ_E_NS1_11comp_targetILNS1_3genE4ELNS1_11target_archE910ELNS1_3gpuE8ELNS1_3repE0EEENS1_48merge_mergepath_partition_config_static_selectorELNS0_4arch9wavefront6targetE1EEEvSL_
    .private_segment_fixed_size: 0
    .sgpr_count:     6
    .sgpr_spill_count: 0
    .symbol:         _ZN7rocprim17ROCPRIM_400000_NS6detail17trampoline_kernelINS0_14default_configENS1_38merge_sort_block_merge_config_selectorItNS0_10empty_typeEEEZZNS1_27merge_sort_block_merge_implIS3_N6thrust23THRUST_200600_302600_NS6detail15normal_iteratorINS9_10device_ptrItEEEEPS5_jNS1_19radix_merge_compareILb0ELb0EtNS0_19identity_decomposerEEEEE10hipError_tT0_T1_T2_jT3_P12ihipStream_tbPNSt15iterator_traitsISK_E10value_typeEPNSQ_ISL_E10value_typeEPSM_NS1_7vsmem_tEENKUlT_SK_SL_SM_E_clIPtSE_SF_SF_EESJ_SZ_SK_SL_SM_EUlSZ_E_NS1_11comp_targetILNS1_3genE4ELNS1_11target_archE910ELNS1_3gpuE8ELNS1_3repE0EEENS1_48merge_mergepath_partition_config_static_selectorELNS0_4arch9wavefront6targetE1EEEvSL_.kd
    .uniform_work_group_size: 1
    .uses_dynamic_stack: false
    .vgpr_count:     0
    .vgpr_spill_count: 0
    .wavefront_size: 64
  - .agpr_count:     0
    .args:
      - .offset:         0
        .size:           40
        .value_kind:     by_value
    .group_segment_fixed_size: 0
    .kernarg_segment_align: 8
    .kernarg_segment_size: 40
    .language:       OpenCL C
    .language_version:
      - 2
      - 0
    .max_flat_workgroup_size: 128
    .name:           _ZN7rocprim17ROCPRIM_400000_NS6detail17trampoline_kernelINS0_14default_configENS1_38merge_sort_block_merge_config_selectorItNS0_10empty_typeEEEZZNS1_27merge_sort_block_merge_implIS3_N6thrust23THRUST_200600_302600_NS6detail15normal_iteratorINS9_10device_ptrItEEEEPS5_jNS1_19radix_merge_compareILb0ELb0EtNS0_19identity_decomposerEEEEE10hipError_tT0_T1_T2_jT3_P12ihipStream_tbPNSt15iterator_traitsISK_E10value_typeEPNSQ_ISL_E10value_typeEPSM_NS1_7vsmem_tEENKUlT_SK_SL_SM_E_clIPtSE_SF_SF_EESJ_SZ_SK_SL_SM_EUlSZ_E_NS1_11comp_targetILNS1_3genE3ELNS1_11target_archE908ELNS1_3gpuE7ELNS1_3repE0EEENS1_48merge_mergepath_partition_config_static_selectorELNS0_4arch9wavefront6targetE1EEEvSL_
    .private_segment_fixed_size: 0
    .sgpr_count:     6
    .sgpr_spill_count: 0
    .symbol:         _ZN7rocprim17ROCPRIM_400000_NS6detail17trampoline_kernelINS0_14default_configENS1_38merge_sort_block_merge_config_selectorItNS0_10empty_typeEEEZZNS1_27merge_sort_block_merge_implIS3_N6thrust23THRUST_200600_302600_NS6detail15normal_iteratorINS9_10device_ptrItEEEEPS5_jNS1_19radix_merge_compareILb0ELb0EtNS0_19identity_decomposerEEEEE10hipError_tT0_T1_T2_jT3_P12ihipStream_tbPNSt15iterator_traitsISK_E10value_typeEPNSQ_ISL_E10value_typeEPSM_NS1_7vsmem_tEENKUlT_SK_SL_SM_E_clIPtSE_SF_SF_EESJ_SZ_SK_SL_SM_EUlSZ_E_NS1_11comp_targetILNS1_3genE3ELNS1_11target_archE908ELNS1_3gpuE7ELNS1_3repE0EEENS1_48merge_mergepath_partition_config_static_selectorELNS0_4arch9wavefront6targetE1EEEvSL_.kd
    .uniform_work_group_size: 1
    .uses_dynamic_stack: false
    .vgpr_count:     0
    .vgpr_spill_count: 0
    .wavefront_size: 64
  - .agpr_count:     0
    .args:
      - .offset:         0
        .size:           40
        .value_kind:     by_value
    .group_segment_fixed_size: 0
    .kernarg_segment_align: 8
    .kernarg_segment_size: 40
    .language:       OpenCL C
    .language_version:
      - 2
      - 0
    .max_flat_workgroup_size: 128
    .name:           _ZN7rocprim17ROCPRIM_400000_NS6detail17trampoline_kernelINS0_14default_configENS1_38merge_sort_block_merge_config_selectorItNS0_10empty_typeEEEZZNS1_27merge_sort_block_merge_implIS3_N6thrust23THRUST_200600_302600_NS6detail15normal_iteratorINS9_10device_ptrItEEEEPS5_jNS1_19radix_merge_compareILb0ELb0EtNS0_19identity_decomposerEEEEE10hipError_tT0_T1_T2_jT3_P12ihipStream_tbPNSt15iterator_traitsISK_E10value_typeEPNSQ_ISL_E10value_typeEPSM_NS1_7vsmem_tEENKUlT_SK_SL_SM_E_clIPtSE_SF_SF_EESJ_SZ_SK_SL_SM_EUlSZ_E_NS1_11comp_targetILNS1_3genE2ELNS1_11target_archE906ELNS1_3gpuE6ELNS1_3repE0EEENS1_48merge_mergepath_partition_config_static_selectorELNS0_4arch9wavefront6targetE1EEEvSL_
    .private_segment_fixed_size: 0
    .sgpr_count:     6
    .sgpr_spill_count: 0
    .symbol:         _ZN7rocprim17ROCPRIM_400000_NS6detail17trampoline_kernelINS0_14default_configENS1_38merge_sort_block_merge_config_selectorItNS0_10empty_typeEEEZZNS1_27merge_sort_block_merge_implIS3_N6thrust23THRUST_200600_302600_NS6detail15normal_iteratorINS9_10device_ptrItEEEEPS5_jNS1_19radix_merge_compareILb0ELb0EtNS0_19identity_decomposerEEEEE10hipError_tT0_T1_T2_jT3_P12ihipStream_tbPNSt15iterator_traitsISK_E10value_typeEPNSQ_ISL_E10value_typeEPSM_NS1_7vsmem_tEENKUlT_SK_SL_SM_E_clIPtSE_SF_SF_EESJ_SZ_SK_SL_SM_EUlSZ_E_NS1_11comp_targetILNS1_3genE2ELNS1_11target_archE906ELNS1_3gpuE6ELNS1_3repE0EEENS1_48merge_mergepath_partition_config_static_selectorELNS0_4arch9wavefront6targetE1EEEvSL_.kd
    .uniform_work_group_size: 1
    .uses_dynamic_stack: false
    .vgpr_count:     0
    .vgpr_spill_count: 0
    .wavefront_size: 64
  - .agpr_count:     0
    .args:
      - .offset:         0
        .size:           40
        .value_kind:     by_value
    .group_segment_fixed_size: 0
    .kernarg_segment_align: 8
    .kernarg_segment_size: 40
    .language:       OpenCL C
    .language_version:
      - 2
      - 0
    .max_flat_workgroup_size: 128
    .name:           _ZN7rocprim17ROCPRIM_400000_NS6detail17trampoline_kernelINS0_14default_configENS1_38merge_sort_block_merge_config_selectorItNS0_10empty_typeEEEZZNS1_27merge_sort_block_merge_implIS3_N6thrust23THRUST_200600_302600_NS6detail15normal_iteratorINS9_10device_ptrItEEEEPS5_jNS1_19radix_merge_compareILb0ELb0EtNS0_19identity_decomposerEEEEE10hipError_tT0_T1_T2_jT3_P12ihipStream_tbPNSt15iterator_traitsISK_E10value_typeEPNSQ_ISL_E10value_typeEPSM_NS1_7vsmem_tEENKUlT_SK_SL_SM_E_clIPtSE_SF_SF_EESJ_SZ_SK_SL_SM_EUlSZ_E_NS1_11comp_targetILNS1_3genE9ELNS1_11target_archE1100ELNS1_3gpuE3ELNS1_3repE0EEENS1_48merge_mergepath_partition_config_static_selectorELNS0_4arch9wavefront6targetE1EEEvSL_
    .private_segment_fixed_size: 0
    .sgpr_count:     6
    .sgpr_spill_count: 0
    .symbol:         _ZN7rocprim17ROCPRIM_400000_NS6detail17trampoline_kernelINS0_14default_configENS1_38merge_sort_block_merge_config_selectorItNS0_10empty_typeEEEZZNS1_27merge_sort_block_merge_implIS3_N6thrust23THRUST_200600_302600_NS6detail15normal_iteratorINS9_10device_ptrItEEEEPS5_jNS1_19radix_merge_compareILb0ELb0EtNS0_19identity_decomposerEEEEE10hipError_tT0_T1_T2_jT3_P12ihipStream_tbPNSt15iterator_traitsISK_E10value_typeEPNSQ_ISL_E10value_typeEPSM_NS1_7vsmem_tEENKUlT_SK_SL_SM_E_clIPtSE_SF_SF_EESJ_SZ_SK_SL_SM_EUlSZ_E_NS1_11comp_targetILNS1_3genE9ELNS1_11target_archE1100ELNS1_3gpuE3ELNS1_3repE0EEENS1_48merge_mergepath_partition_config_static_selectorELNS0_4arch9wavefront6targetE1EEEvSL_.kd
    .uniform_work_group_size: 1
    .uses_dynamic_stack: false
    .vgpr_count:     0
    .vgpr_spill_count: 0
    .wavefront_size: 64
  - .agpr_count:     0
    .args:
      - .offset:         0
        .size:           40
        .value_kind:     by_value
    .group_segment_fixed_size: 0
    .kernarg_segment_align: 8
    .kernarg_segment_size: 40
    .language:       OpenCL C
    .language_version:
      - 2
      - 0
    .max_flat_workgroup_size: 128
    .name:           _ZN7rocprim17ROCPRIM_400000_NS6detail17trampoline_kernelINS0_14default_configENS1_38merge_sort_block_merge_config_selectorItNS0_10empty_typeEEEZZNS1_27merge_sort_block_merge_implIS3_N6thrust23THRUST_200600_302600_NS6detail15normal_iteratorINS9_10device_ptrItEEEEPS5_jNS1_19radix_merge_compareILb0ELb0EtNS0_19identity_decomposerEEEEE10hipError_tT0_T1_T2_jT3_P12ihipStream_tbPNSt15iterator_traitsISK_E10value_typeEPNSQ_ISL_E10value_typeEPSM_NS1_7vsmem_tEENKUlT_SK_SL_SM_E_clIPtSE_SF_SF_EESJ_SZ_SK_SL_SM_EUlSZ_E_NS1_11comp_targetILNS1_3genE8ELNS1_11target_archE1030ELNS1_3gpuE2ELNS1_3repE0EEENS1_48merge_mergepath_partition_config_static_selectorELNS0_4arch9wavefront6targetE1EEEvSL_
    .private_segment_fixed_size: 0
    .sgpr_count:     6
    .sgpr_spill_count: 0
    .symbol:         _ZN7rocprim17ROCPRIM_400000_NS6detail17trampoline_kernelINS0_14default_configENS1_38merge_sort_block_merge_config_selectorItNS0_10empty_typeEEEZZNS1_27merge_sort_block_merge_implIS3_N6thrust23THRUST_200600_302600_NS6detail15normal_iteratorINS9_10device_ptrItEEEEPS5_jNS1_19radix_merge_compareILb0ELb0EtNS0_19identity_decomposerEEEEE10hipError_tT0_T1_T2_jT3_P12ihipStream_tbPNSt15iterator_traitsISK_E10value_typeEPNSQ_ISL_E10value_typeEPSM_NS1_7vsmem_tEENKUlT_SK_SL_SM_E_clIPtSE_SF_SF_EESJ_SZ_SK_SL_SM_EUlSZ_E_NS1_11comp_targetILNS1_3genE8ELNS1_11target_archE1030ELNS1_3gpuE2ELNS1_3repE0EEENS1_48merge_mergepath_partition_config_static_selectorELNS0_4arch9wavefront6targetE1EEEvSL_.kd
    .uniform_work_group_size: 1
    .uses_dynamic_stack: false
    .vgpr_count:     0
    .vgpr_spill_count: 0
    .wavefront_size: 64
  - .agpr_count:     0
    .args:
      - .offset:         0
        .size:           64
        .value_kind:     by_value
    .group_segment_fixed_size: 0
    .kernarg_segment_align: 8
    .kernarg_segment_size: 64
    .language:       OpenCL C
    .language_version:
      - 2
      - 0
    .max_flat_workgroup_size: 128
    .name:           _ZN7rocprim17ROCPRIM_400000_NS6detail17trampoline_kernelINS0_14default_configENS1_38merge_sort_block_merge_config_selectorItNS0_10empty_typeEEEZZNS1_27merge_sort_block_merge_implIS3_N6thrust23THRUST_200600_302600_NS6detail15normal_iteratorINS9_10device_ptrItEEEEPS5_jNS1_19radix_merge_compareILb0ELb0EtNS0_19identity_decomposerEEEEE10hipError_tT0_T1_T2_jT3_P12ihipStream_tbPNSt15iterator_traitsISK_E10value_typeEPNSQ_ISL_E10value_typeEPSM_NS1_7vsmem_tEENKUlT_SK_SL_SM_E_clIPtSE_SF_SF_EESJ_SZ_SK_SL_SM_EUlSZ_E0_NS1_11comp_targetILNS1_3genE0ELNS1_11target_archE4294967295ELNS1_3gpuE0ELNS1_3repE0EEENS1_38merge_mergepath_config_static_selectorELNS0_4arch9wavefront6targetE1EEEvSL_
    .private_segment_fixed_size: 0
    .sgpr_count:     6
    .sgpr_spill_count: 0
    .symbol:         _ZN7rocprim17ROCPRIM_400000_NS6detail17trampoline_kernelINS0_14default_configENS1_38merge_sort_block_merge_config_selectorItNS0_10empty_typeEEEZZNS1_27merge_sort_block_merge_implIS3_N6thrust23THRUST_200600_302600_NS6detail15normal_iteratorINS9_10device_ptrItEEEEPS5_jNS1_19radix_merge_compareILb0ELb0EtNS0_19identity_decomposerEEEEE10hipError_tT0_T1_T2_jT3_P12ihipStream_tbPNSt15iterator_traitsISK_E10value_typeEPNSQ_ISL_E10value_typeEPSM_NS1_7vsmem_tEENKUlT_SK_SL_SM_E_clIPtSE_SF_SF_EESJ_SZ_SK_SL_SM_EUlSZ_E0_NS1_11comp_targetILNS1_3genE0ELNS1_11target_archE4294967295ELNS1_3gpuE0ELNS1_3repE0EEENS1_38merge_mergepath_config_static_selectorELNS0_4arch9wavefront6targetE1EEEvSL_.kd
    .uniform_work_group_size: 1
    .uses_dynamic_stack: false
    .vgpr_count:     0
    .vgpr_spill_count: 0
    .wavefront_size: 64
  - .agpr_count:     0
    .args:
      - .offset:         0
        .size:           64
        .value_kind:     by_value
    .group_segment_fixed_size: 0
    .kernarg_segment_align: 8
    .kernarg_segment_size: 64
    .language:       OpenCL C
    .language_version:
      - 2
      - 0
    .max_flat_workgroup_size: 128
    .name:           _ZN7rocprim17ROCPRIM_400000_NS6detail17trampoline_kernelINS0_14default_configENS1_38merge_sort_block_merge_config_selectorItNS0_10empty_typeEEEZZNS1_27merge_sort_block_merge_implIS3_N6thrust23THRUST_200600_302600_NS6detail15normal_iteratorINS9_10device_ptrItEEEEPS5_jNS1_19radix_merge_compareILb0ELb0EtNS0_19identity_decomposerEEEEE10hipError_tT0_T1_T2_jT3_P12ihipStream_tbPNSt15iterator_traitsISK_E10value_typeEPNSQ_ISL_E10value_typeEPSM_NS1_7vsmem_tEENKUlT_SK_SL_SM_E_clIPtSE_SF_SF_EESJ_SZ_SK_SL_SM_EUlSZ_E0_NS1_11comp_targetILNS1_3genE10ELNS1_11target_archE1201ELNS1_3gpuE5ELNS1_3repE0EEENS1_38merge_mergepath_config_static_selectorELNS0_4arch9wavefront6targetE1EEEvSL_
    .private_segment_fixed_size: 0
    .sgpr_count:     6
    .sgpr_spill_count: 0
    .symbol:         _ZN7rocprim17ROCPRIM_400000_NS6detail17trampoline_kernelINS0_14default_configENS1_38merge_sort_block_merge_config_selectorItNS0_10empty_typeEEEZZNS1_27merge_sort_block_merge_implIS3_N6thrust23THRUST_200600_302600_NS6detail15normal_iteratorINS9_10device_ptrItEEEEPS5_jNS1_19radix_merge_compareILb0ELb0EtNS0_19identity_decomposerEEEEE10hipError_tT0_T1_T2_jT3_P12ihipStream_tbPNSt15iterator_traitsISK_E10value_typeEPNSQ_ISL_E10value_typeEPSM_NS1_7vsmem_tEENKUlT_SK_SL_SM_E_clIPtSE_SF_SF_EESJ_SZ_SK_SL_SM_EUlSZ_E0_NS1_11comp_targetILNS1_3genE10ELNS1_11target_archE1201ELNS1_3gpuE5ELNS1_3repE0EEENS1_38merge_mergepath_config_static_selectorELNS0_4arch9wavefront6targetE1EEEvSL_.kd
    .uniform_work_group_size: 1
    .uses_dynamic_stack: false
    .vgpr_count:     0
    .vgpr_spill_count: 0
    .wavefront_size: 64
  - .agpr_count:     0
    .args:
      - .offset:         0
        .size:           64
        .value_kind:     by_value
      - .offset:         64
        .size:           4
        .value_kind:     hidden_block_count_x
      - .offset:         68
        .size:           4
        .value_kind:     hidden_block_count_y
      - .offset:         72
        .size:           4
        .value_kind:     hidden_block_count_z
      - .offset:         76
        .size:           2
        .value_kind:     hidden_group_size_x
      - .offset:         78
        .size:           2
        .value_kind:     hidden_group_size_y
      - .offset:         80
        .size:           2
        .value_kind:     hidden_group_size_z
      - .offset:         82
        .size:           2
        .value_kind:     hidden_remainder_x
      - .offset:         84
        .size:           2
        .value_kind:     hidden_remainder_y
      - .offset:         86
        .size:           2
        .value_kind:     hidden_remainder_z
      - .offset:         104
        .size:           8
        .value_kind:     hidden_global_offset_x
      - .offset:         112
        .size:           8
        .value_kind:     hidden_global_offset_y
      - .offset:         120
        .size:           8
        .value_kind:     hidden_global_offset_z
      - .offset:         128
        .size:           2
        .value_kind:     hidden_grid_dims
    .group_segment_fixed_size: 2112
    .kernarg_segment_align: 8
    .kernarg_segment_size: 320
    .language:       OpenCL C
    .language_version:
      - 2
      - 0
    .max_flat_workgroup_size: 128
    .name:           _ZN7rocprim17ROCPRIM_400000_NS6detail17trampoline_kernelINS0_14default_configENS1_38merge_sort_block_merge_config_selectorItNS0_10empty_typeEEEZZNS1_27merge_sort_block_merge_implIS3_N6thrust23THRUST_200600_302600_NS6detail15normal_iteratorINS9_10device_ptrItEEEEPS5_jNS1_19radix_merge_compareILb0ELb0EtNS0_19identity_decomposerEEEEE10hipError_tT0_T1_T2_jT3_P12ihipStream_tbPNSt15iterator_traitsISK_E10value_typeEPNSQ_ISL_E10value_typeEPSM_NS1_7vsmem_tEENKUlT_SK_SL_SM_E_clIPtSE_SF_SF_EESJ_SZ_SK_SL_SM_EUlSZ_E0_NS1_11comp_targetILNS1_3genE5ELNS1_11target_archE942ELNS1_3gpuE9ELNS1_3repE0EEENS1_38merge_mergepath_config_static_selectorELNS0_4arch9wavefront6targetE1EEEvSL_
    .private_segment_fixed_size: 0
    .sgpr_count:     30
    .sgpr_spill_count: 0
    .symbol:         _ZN7rocprim17ROCPRIM_400000_NS6detail17trampoline_kernelINS0_14default_configENS1_38merge_sort_block_merge_config_selectorItNS0_10empty_typeEEEZZNS1_27merge_sort_block_merge_implIS3_N6thrust23THRUST_200600_302600_NS6detail15normal_iteratorINS9_10device_ptrItEEEEPS5_jNS1_19radix_merge_compareILb0ELb0EtNS0_19identity_decomposerEEEEE10hipError_tT0_T1_T2_jT3_P12ihipStream_tbPNSt15iterator_traitsISK_E10value_typeEPNSQ_ISL_E10value_typeEPSM_NS1_7vsmem_tEENKUlT_SK_SL_SM_E_clIPtSE_SF_SF_EESJ_SZ_SK_SL_SM_EUlSZ_E0_NS1_11comp_targetILNS1_3genE5ELNS1_11target_archE942ELNS1_3gpuE9ELNS1_3repE0EEENS1_38merge_mergepath_config_static_selectorELNS0_4arch9wavefront6targetE1EEEvSL_.kd
    .uniform_work_group_size: 1
    .uses_dynamic_stack: false
    .vgpr_count:     26
    .vgpr_spill_count: 0
    .wavefront_size: 64
  - .agpr_count:     0
    .args:
      - .offset:         0
        .size:           64
        .value_kind:     by_value
    .group_segment_fixed_size: 0
    .kernarg_segment_align: 8
    .kernarg_segment_size: 64
    .language:       OpenCL C
    .language_version:
      - 2
      - 0
    .max_flat_workgroup_size: 128
    .name:           _ZN7rocprim17ROCPRIM_400000_NS6detail17trampoline_kernelINS0_14default_configENS1_38merge_sort_block_merge_config_selectorItNS0_10empty_typeEEEZZNS1_27merge_sort_block_merge_implIS3_N6thrust23THRUST_200600_302600_NS6detail15normal_iteratorINS9_10device_ptrItEEEEPS5_jNS1_19radix_merge_compareILb0ELb0EtNS0_19identity_decomposerEEEEE10hipError_tT0_T1_T2_jT3_P12ihipStream_tbPNSt15iterator_traitsISK_E10value_typeEPNSQ_ISL_E10value_typeEPSM_NS1_7vsmem_tEENKUlT_SK_SL_SM_E_clIPtSE_SF_SF_EESJ_SZ_SK_SL_SM_EUlSZ_E0_NS1_11comp_targetILNS1_3genE4ELNS1_11target_archE910ELNS1_3gpuE8ELNS1_3repE0EEENS1_38merge_mergepath_config_static_selectorELNS0_4arch9wavefront6targetE1EEEvSL_
    .private_segment_fixed_size: 0
    .sgpr_count:     6
    .sgpr_spill_count: 0
    .symbol:         _ZN7rocprim17ROCPRIM_400000_NS6detail17trampoline_kernelINS0_14default_configENS1_38merge_sort_block_merge_config_selectorItNS0_10empty_typeEEEZZNS1_27merge_sort_block_merge_implIS3_N6thrust23THRUST_200600_302600_NS6detail15normal_iteratorINS9_10device_ptrItEEEEPS5_jNS1_19radix_merge_compareILb0ELb0EtNS0_19identity_decomposerEEEEE10hipError_tT0_T1_T2_jT3_P12ihipStream_tbPNSt15iterator_traitsISK_E10value_typeEPNSQ_ISL_E10value_typeEPSM_NS1_7vsmem_tEENKUlT_SK_SL_SM_E_clIPtSE_SF_SF_EESJ_SZ_SK_SL_SM_EUlSZ_E0_NS1_11comp_targetILNS1_3genE4ELNS1_11target_archE910ELNS1_3gpuE8ELNS1_3repE0EEENS1_38merge_mergepath_config_static_selectorELNS0_4arch9wavefront6targetE1EEEvSL_.kd
    .uniform_work_group_size: 1
    .uses_dynamic_stack: false
    .vgpr_count:     0
    .vgpr_spill_count: 0
    .wavefront_size: 64
  - .agpr_count:     0
    .args:
      - .offset:         0
        .size:           64
        .value_kind:     by_value
    .group_segment_fixed_size: 0
    .kernarg_segment_align: 8
    .kernarg_segment_size: 64
    .language:       OpenCL C
    .language_version:
      - 2
      - 0
    .max_flat_workgroup_size: 128
    .name:           _ZN7rocprim17ROCPRIM_400000_NS6detail17trampoline_kernelINS0_14default_configENS1_38merge_sort_block_merge_config_selectorItNS0_10empty_typeEEEZZNS1_27merge_sort_block_merge_implIS3_N6thrust23THRUST_200600_302600_NS6detail15normal_iteratorINS9_10device_ptrItEEEEPS5_jNS1_19radix_merge_compareILb0ELb0EtNS0_19identity_decomposerEEEEE10hipError_tT0_T1_T2_jT3_P12ihipStream_tbPNSt15iterator_traitsISK_E10value_typeEPNSQ_ISL_E10value_typeEPSM_NS1_7vsmem_tEENKUlT_SK_SL_SM_E_clIPtSE_SF_SF_EESJ_SZ_SK_SL_SM_EUlSZ_E0_NS1_11comp_targetILNS1_3genE3ELNS1_11target_archE908ELNS1_3gpuE7ELNS1_3repE0EEENS1_38merge_mergepath_config_static_selectorELNS0_4arch9wavefront6targetE1EEEvSL_
    .private_segment_fixed_size: 0
    .sgpr_count:     6
    .sgpr_spill_count: 0
    .symbol:         _ZN7rocprim17ROCPRIM_400000_NS6detail17trampoline_kernelINS0_14default_configENS1_38merge_sort_block_merge_config_selectorItNS0_10empty_typeEEEZZNS1_27merge_sort_block_merge_implIS3_N6thrust23THRUST_200600_302600_NS6detail15normal_iteratorINS9_10device_ptrItEEEEPS5_jNS1_19radix_merge_compareILb0ELb0EtNS0_19identity_decomposerEEEEE10hipError_tT0_T1_T2_jT3_P12ihipStream_tbPNSt15iterator_traitsISK_E10value_typeEPNSQ_ISL_E10value_typeEPSM_NS1_7vsmem_tEENKUlT_SK_SL_SM_E_clIPtSE_SF_SF_EESJ_SZ_SK_SL_SM_EUlSZ_E0_NS1_11comp_targetILNS1_3genE3ELNS1_11target_archE908ELNS1_3gpuE7ELNS1_3repE0EEENS1_38merge_mergepath_config_static_selectorELNS0_4arch9wavefront6targetE1EEEvSL_.kd
    .uniform_work_group_size: 1
    .uses_dynamic_stack: false
    .vgpr_count:     0
    .vgpr_spill_count: 0
    .wavefront_size: 64
  - .agpr_count:     0
    .args:
      - .offset:         0
        .size:           64
        .value_kind:     by_value
    .group_segment_fixed_size: 0
    .kernarg_segment_align: 8
    .kernarg_segment_size: 64
    .language:       OpenCL C
    .language_version:
      - 2
      - 0
    .max_flat_workgroup_size: 128
    .name:           _ZN7rocprim17ROCPRIM_400000_NS6detail17trampoline_kernelINS0_14default_configENS1_38merge_sort_block_merge_config_selectorItNS0_10empty_typeEEEZZNS1_27merge_sort_block_merge_implIS3_N6thrust23THRUST_200600_302600_NS6detail15normal_iteratorINS9_10device_ptrItEEEEPS5_jNS1_19radix_merge_compareILb0ELb0EtNS0_19identity_decomposerEEEEE10hipError_tT0_T1_T2_jT3_P12ihipStream_tbPNSt15iterator_traitsISK_E10value_typeEPNSQ_ISL_E10value_typeEPSM_NS1_7vsmem_tEENKUlT_SK_SL_SM_E_clIPtSE_SF_SF_EESJ_SZ_SK_SL_SM_EUlSZ_E0_NS1_11comp_targetILNS1_3genE2ELNS1_11target_archE906ELNS1_3gpuE6ELNS1_3repE0EEENS1_38merge_mergepath_config_static_selectorELNS0_4arch9wavefront6targetE1EEEvSL_
    .private_segment_fixed_size: 0
    .sgpr_count:     6
    .sgpr_spill_count: 0
    .symbol:         _ZN7rocprim17ROCPRIM_400000_NS6detail17trampoline_kernelINS0_14default_configENS1_38merge_sort_block_merge_config_selectorItNS0_10empty_typeEEEZZNS1_27merge_sort_block_merge_implIS3_N6thrust23THRUST_200600_302600_NS6detail15normal_iteratorINS9_10device_ptrItEEEEPS5_jNS1_19radix_merge_compareILb0ELb0EtNS0_19identity_decomposerEEEEE10hipError_tT0_T1_T2_jT3_P12ihipStream_tbPNSt15iterator_traitsISK_E10value_typeEPNSQ_ISL_E10value_typeEPSM_NS1_7vsmem_tEENKUlT_SK_SL_SM_E_clIPtSE_SF_SF_EESJ_SZ_SK_SL_SM_EUlSZ_E0_NS1_11comp_targetILNS1_3genE2ELNS1_11target_archE906ELNS1_3gpuE6ELNS1_3repE0EEENS1_38merge_mergepath_config_static_selectorELNS0_4arch9wavefront6targetE1EEEvSL_.kd
    .uniform_work_group_size: 1
    .uses_dynamic_stack: false
    .vgpr_count:     0
    .vgpr_spill_count: 0
    .wavefront_size: 64
  - .agpr_count:     0
    .args:
      - .offset:         0
        .size:           64
        .value_kind:     by_value
    .group_segment_fixed_size: 0
    .kernarg_segment_align: 8
    .kernarg_segment_size: 64
    .language:       OpenCL C
    .language_version:
      - 2
      - 0
    .max_flat_workgroup_size: 128
    .name:           _ZN7rocprim17ROCPRIM_400000_NS6detail17trampoline_kernelINS0_14default_configENS1_38merge_sort_block_merge_config_selectorItNS0_10empty_typeEEEZZNS1_27merge_sort_block_merge_implIS3_N6thrust23THRUST_200600_302600_NS6detail15normal_iteratorINS9_10device_ptrItEEEEPS5_jNS1_19radix_merge_compareILb0ELb0EtNS0_19identity_decomposerEEEEE10hipError_tT0_T1_T2_jT3_P12ihipStream_tbPNSt15iterator_traitsISK_E10value_typeEPNSQ_ISL_E10value_typeEPSM_NS1_7vsmem_tEENKUlT_SK_SL_SM_E_clIPtSE_SF_SF_EESJ_SZ_SK_SL_SM_EUlSZ_E0_NS1_11comp_targetILNS1_3genE9ELNS1_11target_archE1100ELNS1_3gpuE3ELNS1_3repE0EEENS1_38merge_mergepath_config_static_selectorELNS0_4arch9wavefront6targetE1EEEvSL_
    .private_segment_fixed_size: 0
    .sgpr_count:     6
    .sgpr_spill_count: 0
    .symbol:         _ZN7rocprim17ROCPRIM_400000_NS6detail17trampoline_kernelINS0_14default_configENS1_38merge_sort_block_merge_config_selectorItNS0_10empty_typeEEEZZNS1_27merge_sort_block_merge_implIS3_N6thrust23THRUST_200600_302600_NS6detail15normal_iteratorINS9_10device_ptrItEEEEPS5_jNS1_19radix_merge_compareILb0ELb0EtNS0_19identity_decomposerEEEEE10hipError_tT0_T1_T2_jT3_P12ihipStream_tbPNSt15iterator_traitsISK_E10value_typeEPNSQ_ISL_E10value_typeEPSM_NS1_7vsmem_tEENKUlT_SK_SL_SM_E_clIPtSE_SF_SF_EESJ_SZ_SK_SL_SM_EUlSZ_E0_NS1_11comp_targetILNS1_3genE9ELNS1_11target_archE1100ELNS1_3gpuE3ELNS1_3repE0EEENS1_38merge_mergepath_config_static_selectorELNS0_4arch9wavefront6targetE1EEEvSL_.kd
    .uniform_work_group_size: 1
    .uses_dynamic_stack: false
    .vgpr_count:     0
    .vgpr_spill_count: 0
    .wavefront_size: 64
  - .agpr_count:     0
    .args:
      - .offset:         0
        .size:           64
        .value_kind:     by_value
    .group_segment_fixed_size: 0
    .kernarg_segment_align: 8
    .kernarg_segment_size: 64
    .language:       OpenCL C
    .language_version:
      - 2
      - 0
    .max_flat_workgroup_size: 128
    .name:           _ZN7rocprim17ROCPRIM_400000_NS6detail17trampoline_kernelINS0_14default_configENS1_38merge_sort_block_merge_config_selectorItNS0_10empty_typeEEEZZNS1_27merge_sort_block_merge_implIS3_N6thrust23THRUST_200600_302600_NS6detail15normal_iteratorINS9_10device_ptrItEEEEPS5_jNS1_19radix_merge_compareILb0ELb0EtNS0_19identity_decomposerEEEEE10hipError_tT0_T1_T2_jT3_P12ihipStream_tbPNSt15iterator_traitsISK_E10value_typeEPNSQ_ISL_E10value_typeEPSM_NS1_7vsmem_tEENKUlT_SK_SL_SM_E_clIPtSE_SF_SF_EESJ_SZ_SK_SL_SM_EUlSZ_E0_NS1_11comp_targetILNS1_3genE8ELNS1_11target_archE1030ELNS1_3gpuE2ELNS1_3repE0EEENS1_38merge_mergepath_config_static_selectorELNS0_4arch9wavefront6targetE1EEEvSL_
    .private_segment_fixed_size: 0
    .sgpr_count:     6
    .sgpr_spill_count: 0
    .symbol:         _ZN7rocprim17ROCPRIM_400000_NS6detail17trampoline_kernelINS0_14default_configENS1_38merge_sort_block_merge_config_selectorItNS0_10empty_typeEEEZZNS1_27merge_sort_block_merge_implIS3_N6thrust23THRUST_200600_302600_NS6detail15normal_iteratorINS9_10device_ptrItEEEEPS5_jNS1_19radix_merge_compareILb0ELb0EtNS0_19identity_decomposerEEEEE10hipError_tT0_T1_T2_jT3_P12ihipStream_tbPNSt15iterator_traitsISK_E10value_typeEPNSQ_ISL_E10value_typeEPSM_NS1_7vsmem_tEENKUlT_SK_SL_SM_E_clIPtSE_SF_SF_EESJ_SZ_SK_SL_SM_EUlSZ_E0_NS1_11comp_targetILNS1_3genE8ELNS1_11target_archE1030ELNS1_3gpuE2ELNS1_3repE0EEENS1_38merge_mergepath_config_static_selectorELNS0_4arch9wavefront6targetE1EEEvSL_.kd
    .uniform_work_group_size: 1
    .uses_dynamic_stack: false
    .vgpr_count:     0
    .vgpr_spill_count: 0
    .wavefront_size: 64
  - .agpr_count:     0
    .args:
      - .offset:         0
        .size:           48
        .value_kind:     by_value
    .group_segment_fixed_size: 0
    .kernarg_segment_align: 8
    .kernarg_segment_size: 48
    .language:       OpenCL C
    .language_version:
      - 2
      - 0
    .max_flat_workgroup_size: 256
    .name:           _ZN7rocprim17ROCPRIM_400000_NS6detail17trampoline_kernelINS0_14default_configENS1_38merge_sort_block_merge_config_selectorItNS0_10empty_typeEEEZZNS1_27merge_sort_block_merge_implIS3_N6thrust23THRUST_200600_302600_NS6detail15normal_iteratorINS9_10device_ptrItEEEEPS5_jNS1_19radix_merge_compareILb0ELb0EtNS0_19identity_decomposerEEEEE10hipError_tT0_T1_T2_jT3_P12ihipStream_tbPNSt15iterator_traitsISK_E10value_typeEPNSQ_ISL_E10value_typeEPSM_NS1_7vsmem_tEENKUlT_SK_SL_SM_E_clIPtSE_SF_SF_EESJ_SZ_SK_SL_SM_EUlSZ_E1_NS1_11comp_targetILNS1_3genE0ELNS1_11target_archE4294967295ELNS1_3gpuE0ELNS1_3repE0EEENS1_36merge_oddeven_config_static_selectorELNS0_4arch9wavefront6targetE1EEEvSL_
    .private_segment_fixed_size: 0
    .sgpr_count:     6
    .sgpr_spill_count: 0
    .symbol:         _ZN7rocprim17ROCPRIM_400000_NS6detail17trampoline_kernelINS0_14default_configENS1_38merge_sort_block_merge_config_selectorItNS0_10empty_typeEEEZZNS1_27merge_sort_block_merge_implIS3_N6thrust23THRUST_200600_302600_NS6detail15normal_iteratorINS9_10device_ptrItEEEEPS5_jNS1_19radix_merge_compareILb0ELb0EtNS0_19identity_decomposerEEEEE10hipError_tT0_T1_T2_jT3_P12ihipStream_tbPNSt15iterator_traitsISK_E10value_typeEPNSQ_ISL_E10value_typeEPSM_NS1_7vsmem_tEENKUlT_SK_SL_SM_E_clIPtSE_SF_SF_EESJ_SZ_SK_SL_SM_EUlSZ_E1_NS1_11comp_targetILNS1_3genE0ELNS1_11target_archE4294967295ELNS1_3gpuE0ELNS1_3repE0EEENS1_36merge_oddeven_config_static_selectorELNS0_4arch9wavefront6targetE1EEEvSL_.kd
    .uniform_work_group_size: 1
    .uses_dynamic_stack: false
    .vgpr_count:     0
    .vgpr_spill_count: 0
    .wavefront_size: 64
  - .agpr_count:     0
    .args:
      - .offset:         0
        .size:           48
        .value_kind:     by_value
    .group_segment_fixed_size: 0
    .kernarg_segment_align: 8
    .kernarg_segment_size: 48
    .language:       OpenCL C
    .language_version:
      - 2
      - 0
    .max_flat_workgroup_size: 256
    .name:           _ZN7rocprim17ROCPRIM_400000_NS6detail17trampoline_kernelINS0_14default_configENS1_38merge_sort_block_merge_config_selectorItNS0_10empty_typeEEEZZNS1_27merge_sort_block_merge_implIS3_N6thrust23THRUST_200600_302600_NS6detail15normal_iteratorINS9_10device_ptrItEEEEPS5_jNS1_19radix_merge_compareILb0ELb0EtNS0_19identity_decomposerEEEEE10hipError_tT0_T1_T2_jT3_P12ihipStream_tbPNSt15iterator_traitsISK_E10value_typeEPNSQ_ISL_E10value_typeEPSM_NS1_7vsmem_tEENKUlT_SK_SL_SM_E_clIPtSE_SF_SF_EESJ_SZ_SK_SL_SM_EUlSZ_E1_NS1_11comp_targetILNS1_3genE10ELNS1_11target_archE1201ELNS1_3gpuE5ELNS1_3repE0EEENS1_36merge_oddeven_config_static_selectorELNS0_4arch9wavefront6targetE1EEEvSL_
    .private_segment_fixed_size: 0
    .sgpr_count:     6
    .sgpr_spill_count: 0
    .symbol:         _ZN7rocprim17ROCPRIM_400000_NS6detail17trampoline_kernelINS0_14default_configENS1_38merge_sort_block_merge_config_selectorItNS0_10empty_typeEEEZZNS1_27merge_sort_block_merge_implIS3_N6thrust23THRUST_200600_302600_NS6detail15normal_iteratorINS9_10device_ptrItEEEEPS5_jNS1_19radix_merge_compareILb0ELb0EtNS0_19identity_decomposerEEEEE10hipError_tT0_T1_T2_jT3_P12ihipStream_tbPNSt15iterator_traitsISK_E10value_typeEPNSQ_ISL_E10value_typeEPSM_NS1_7vsmem_tEENKUlT_SK_SL_SM_E_clIPtSE_SF_SF_EESJ_SZ_SK_SL_SM_EUlSZ_E1_NS1_11comp_targetILNS1_3genE10ELNS1_11target_archE1201ELNS1_3gpuE5ELNS1_3repE0EEENS1_36merge_oddeven_config_static_selectorELNS0_4arch9wavefront6targetE1EEEvSL_.kd
    .uniform_work_group_size: 1
    .uses_dynamic_stack: false
    .vgpr_count:     0
    .vgpr_spill_count: 0
    .wavefront_size: 64
  - .agpr_count:     0
    .args:
      - .offset:         0
        .size:           48
        .value_kind:     by_value
    .group_segment_fixed_size: 0
    .kernarg_segment_align: 8
    .kernarg_segment_size: 48
    .language:       OpenCL C
    .language_version:
      - 2
      - 0
    .max_flat_workgroup_size: 256
    .name:           _ZN7rocprim17ROCPRIM_400000_NS6detail17trampoline_kernelINS0_14default_configENS1_38merge_sort_block_merge_config_selectorItNS0_10empty_typeEEEZZNS1_27merge_sort_block_merge_implIS3_N6thrust23THRUST_200600_302600_NS6detail15normal_iteratorINS9_10device_ptrItEEEEPS5_jNS1_19radix_merge_compareILb0ELb0EtNS0_19identity_decomposerEEEEE10hipError_tT0_T1_T2_jT3_P12ihipStream_tbPNSt15iterator_traitsISK_E10value_typeEPNSQ_ISL_E10value_typeEPSM_NS1_7vsmem_tEENKUlT_SK_SL_SM_E_clIPtSE_SF_SF_EESJ_SZ_SK_SL_SM_EUlSZ_E1_NS1_11comp_targetILNS1_3genE5ELNS1_11target_archE942ELNS1_3gpuE9ELNS1_3repE0EEENS1_36merge_oddeven_config_static_selectorELNS0_4arch9wavefront6targetE1EEEvSL_
    .private_segment_fixed_size: 0
    .sgpr_count:     25
    .sgpr_spill_count: 0
    .symbol:         _ZN7rocprim17ROCPRIM_400000_NS6detail17trampoline_kernelINS0_14default_configENS1_38merge_sort_block_merge_config_selectorItNS0_10empty_typeEEEZZNS1_27merge_sort_block_merge_implIS3_N6thrust23THRUST_200600_302600_NS6detail15normal_iteratorINS9_10device_ptrItEEEEPS5_jNS1_19radix_merge_compareILb0ELb0EtNS0_19identity_decomposerEEEEE10hipError_tT0_T1_T2_jT3_P12ihipStream_tbPNSt15iterator_traitsISK_E10value_typeEPNSQ_ISL_E10value_typeEPSM_NS1_7vsmem_tEENKUlT_SK_SL_SM_E_clIPtSE_SF_SF_EESJ_SZ_SK_SL_SM_EUlSZ_E1_NS1_11comp_targetILNS1_3genE5ELNS1_11target_archE942ELNS1_3gpuE9ELNS1_3repE0EEENS1_36merge_oddeven_config_static_selectorELNS0_4arch9wavefront6targetE1EEEvSL_.kd
    .uniform_work_group_size: 1
    .uses_dynamic_stack: false
    .vgpr_count:     8
    .vgpr_spill_count: 0
    .wavefront_size: 64
  - .agpr_count:     0
    .args:
      - .offset:         0
        .size:           48
        .value_kind:     by_value
    .group_segment_fixed_size: 0
    .kernarg_segment_align: 8
    .kernarg_segment_size: 48
    .language:       OpenCL C
    .language_version:
      - 2
      - 0
    .max_flat_workgroup_size: 256
    .name:           _ZN7rocprim17ROCPRIM_400000_NS6detail17trampoline_kernelINS0_14default_configENS1_38merge_sort_block_merge_config_selectorItNS0_10empty_typeEEEZZNS1_27merge_sort_block_merge_implIS3_N6thrust23THRUST_200600_302600_NS6detail15normal_iteratorINS9_10device_ptrItEEEEPS5_jNS1_19radix_merge_compareILb0ELb0EtNS0_19identity_decomposerEEEEE10hipError_tT0_T1_T2_jT3_P12ihipStream_tbPNSt15iterator_traitsISK_E10value_typeEPNSQ_ISL_E10value_typeEPSM_NS1_7vsmem_tEENKUlT_SK_SL_SM_E_clIPtSE_SF_SF_EESJ_SZ_SK_SL_SM_EUlSZ_E1_NS1_11comp_targetILNS1_3genE4ELNS1_11target_archE910ELNS1_3gpuE8ELNS1_3repE0EEENS1_36merge_oddeven_config_static_selectorELNS0_4arch9wavefront6targetE1EEEvSL_
    .private_segment_fixed_size: 0
    .sgpr_count:     6
    .sgpr_spill_count: 0
    .symbol:         _ZN7rocprim17ROCPRIM_400000_NS6detail17trampoline_kernelINS0_14default_configENS1_38merge_sort_block_merge_config_selectorItNS0_10empty_typeEEEZZNS1_27merge_sort_block_merge_implIS3_N6thrust23THRUST_200600_302600_NS6detail15normal_iteratorINS9_10device_ptrItEEEEPS5_jNS1_19radix_merge_compareILb0ELb0EtNS0_19identity_decomposerEEEEE10hipError_tT0_T1_T2_jT3_P12ihipStream_tbPNSt15iterator_traitsISK_E10value_typeEPNSQ_ISL_E10value_typeEPSM_NS1_7vsmem_tEENKUlT_SK_SL_SM_E_clIPtSE_SF_SF_EESJ_SZ_SK_SL_SM_EUlSZ_E1_NS1_11comp_targetILNS1_3genE4ELNS1_11target_archE910ELNS1_3gpuE8ELNS1_3repE0EEENS1_36merge_oddeven_config_static_selectorELNS0_4arch9wavefront6targetE1EEEvSL_.kd
    .uniform_work_group_size: 1
    .uses_dynamic_stack: false
    .vgpr_count:     0
    .vgpr_spill_count: 0
    .wavefront_size: 64
  - .agpr_count:     0
    .args:
      - .offset:         0
        .size:           48
        .value_kind:     by_value
    .group_segment_fixed_size: 0
    .kernarg_segment_align: 8
    .kernarg_segment_size: 48
    .language:       OpenCL C
    .language_version:
      - 2
      - 0
    .max_flat_workgroup_size: 256
    .name:           _ZN7rocprim17ROCPRIM_400000_NS6detail17trampoline_kernelINS0_14default_configENS1_38merge_sort_block_merge_config_selectorItNS0_10empty_typeEEEZZNS1_27merge_sort_block_merge_implIS3_N6thrust23THRUST_200600_302600_NS6detail15normal_iteratorINS9_10device_ptrItEEEEPS5_jNS1_19radix_merge_compareILb0ELb0EtNS0_19identity_decomposerEEEEE10hipError_tT0_T1_T2_jT3_P12ihipStream_tbPNSt15iterator_traitsISK_E10value_typeEPNSQ_ISL_E10value_typeEPSM_NS1_7vsmem_tEENKUlT_SK_SL_SM_E_clIPtSE_SF_SF_EESJ_SZ_SK_SL_SM_EUlSZ_E1_NS1_11comp_targetILNS1_3genE3ELNS1_11target_archE908ELNS1_3gpuE7ELNS1_3repE0EEENS1_36merge_oddeven_config_static_selectorELNS0_4arch9wavefront6targetE1EEEvSL_
    .private_segment_fixed_size: 0
    .sgpr_count:     6
    .sgpr_spill_count: 0
    .symbol:         _ZN7rocprim17ROCPRIM_400000_NS6detail17trampoline_kernelINS0_14default_configENS1_38merge_sort_block_merge_config_selectorItNS0_10empty_typeEEEZZNS1_27merge_sort_block_merge_implIS3_N6thrust23THRUST_200600_302600_NS6detail15normal_iteratorINS9_10device_ptrItEEEEPS5_jNS1_19radix_merge_compareILb0ELb0EtNS0_19identity_decomposerEEEEE10hipError_tT0_T1_T2_jT3_P12ihipStream_tbPNSt15iterator_traitsISK_E10value_typeEPNSQ_ISL_E10value_typeEPSM_NS1_7vsmem_tEENKUlT_SK_SL_SM_E_clIPtSE_SF_SF_EESJ_SZ_SK_SL_SM_EUlSZ_E1_NS1_11comp_targetILNS1_3genE3ELNS1_11target_archE908ELNS1_3gpuE7ELNS1_3repE0EEENS1_36merge_oddeven_config_static_selectorELNS0_4arch9wavefront6targetE1EEEvSL_.kd
    .uniform_work_group_size: 1
    .uses_dynamic_stack: false
    .vgpr_count:     0
    .vgpr_spill_count: 0
    .wavefront_size: 64
  - .agpr_count:     0
    .args:
      - .offset:         0
        .size:           48
        .value_kind:     by_value
    .group_segment_fixed_size: 0
    .kernarg_segment_align: 8
    .kernarg_segment_size: 48
    .language:       OpenCL C
    .language_version:
      - 2
      - 0
    .max_flat_workgroup_size: 256
    .name:           _ZN7rocprim17ROCPRIM_400000_NS6detail17trampoline_kernelINS0_14default_configENS1_38merge_sort_block_merge_config_selectorItNS0_10empty_typeEEEZZNS1_27merge_sort_block_merge_implIS3_N6thrust23THRUST_200600_302600_NS6detail15normal_iteratorINS9_10device_ptrItEEEEPS5_jNS1_19radix_merge_compareILb0ELb0EtNS0_19identity_decomposerEEEEE10hipError_tT0_T1_T2_jT3_P12ihipStream_tbPNSt15iterator_traitsISK_E10value_typeEPNSQ_ISL_E10value_typeEPSM_NS1_7vsmem_tEENKUlT_SK_SL_SM_E_clIPtSE_SF_SF_EESJ_SZ_SK_SL_SM_EUlSZ_E1_NS1_11comp_targetILNS1_3genE2ELNS1_11target_archE906ELNS1_3gpuE6ELNS1_3repE0EEENS1_36merge_oddeven_config_static_selectorELNS0_4arch9wavefront6targetE1EEEvSL_
    .private_segment_fixed_size: 0
    .sgpr_count:     6
    .sgpr_spill_count: 0
    .symbol:         _ZN7rocprim17ROCPRIM_400000_NS6detail17trampoline_kernelINS0_14default_configENS1_38merge_sort_block_merge_config_selectorItNS0_10empty_typeEEEZZNS1_27merge_sort_block_merge_implIS3_N6thrust23THRUST_200600_302600_NS6detail15normal_iteratorINS9_10device_ptrItEEEEPS5_jNS1_19radix_merge_compareILb0ELb0EtNS0_19identity_decomposerEEEEE10hipError_tT0_T1_T2_jT3_P12ihipStream_tbPNSt15iterator_traitsISK_E10value_typeEPNSQ_ISL_E10value_typeEPSM_NS1_7vsmem_tEENKUlT_SK_SL_SM_E_clIPtSE_SF_SF_EESJ_SZ_SK_SL_SM_EUlSZ_E1_NS1_11comp_targetILNS1_3genE2ELNS1_11target_archE906ELNS1_3gpuE6ELNS1_3repE0EEENS1_36merge_oddeven_config_static_selectorELNS0_4arch9wavefront6targetE1EEEvSL_.kd
    .uniform_work_group_size: 1
    .uses_dynamic_stack: false
    .vgpr_count:     0
    .vgpr_spill_count: 0
    .wavefront_size: 64
  - .agpr_count:     0
    .args:
      - .offset:         0
        .size:           48
        .value_kind:     by_value
    .group_segment_fixed_size: 0
    .kernarg_segment_align: 8
    .kernarg_segment_size: 48
    .language:       OpenCL C
    .language_version:
      - 2
      - 0
    .max_flat_workgroup_size: 256
    .name:           _ZN7rocprim17ROCPRIM_400000_NS6detail17trampoline_kernelINS0_14default_configENS1_38merge_sort_block_merge_config_selectorItNS0_10empty_typeEEEZZNS1_27merge_sort_block_merge_implIS3_N6thrust23THRUST_200600_302600_NS6detail15normal_iteratorINS9_10device_ptrItEEEEPS5_jNS1_19radix_merge_compareILb0ELb0EtNS0_19identity_decomposerEEEEE10hipError_tT0_T1_T2_jT3_P12ihipStream_tbPNSt15iterator_traitsISK_E10value_typeEPNSQ_ISL_E10value_typeEPSM_NS1_7vsmem_tEENKUlT_SK_SL_SM_E_clIPtSE_SF_SF_EESJ_SZ_SK_SL_SM_EUlSZ_E1_NS1_11comp_targetILNS1_3genE9ELNS1_11target_archE1100ELNS1_3gpuE3ELNS1_3repE0EEENS1_36merge_oddeven_config_static_selectorELNS0_4arch9wavefront6targetE1EEEvSL_
    .private_segment_fixed_size: 0
    .sgpr_count:     6
    .sgpr_spill_count: 0
    .symbol:         _ZN7rocprim17ROCPRIM_400000_NS6detail17trampoline_kernelINS0_14default_configENS1_38merge_sort_block_merge_config_selectorItNS0_10empty_typeEEEZZNS1_27merge_sort_block_merge_implIS3_N6thrust23THRUST_200600_302600_NS6detail15normal_iteratorINS9_10device_ptrItEEEEPS5_jNS1_19radix_merge_compareILb0ELb0EtNS0_19identity_decomposerEEEEE10hipError_tT0_T1_T2_jT3_P12ihipStream_tbPNSt15iterator_traitsISK_E10value_typeEPNSQ_ISL_E10value_typeEPSM_NS1_7vsmem_tEENKUlT_SK_SL_SM_E_clIPtSE_SF_SF_EESJ_SZ_SK_SL_SM_EUlSZ_E1_NS1_11comp_targetILNS1_3genE9ELNS1_11target_archE1100ELNS1_3gpuE3ELNS1_3repE0EEENS1_36merge_oddeven_config_static_selectorELNS0_4arch9wavefront6targetE1EEEvSL_.kd
    .uniform_work_group_size: 1
    .uses_dynamic_stack: false
    .vgpr_count:     0
    .vgpr_spill_count: 0
    .wavefront_size: 64
  - .agpr_count:     0
    .args:
      - .offset:         0
        .size:           48
        .value_kind:     by_value
    .group_segment_fixed_size: 0
    .kernarg_segment_align: 8
    .kernarg_segment_size: 48
    .language:       OpenCL C
    .language_version:
      - 2
      - 0
    .max_flat_workgroup_size: 256
    .name:           _ZN7rocprim17ROCPRIM_400000_NS6detail17trampoline_kernelINS0_14default_configENS1_38merge_sort_block_merge_config_selectorItNS0_10empty_typeEEEZZNS1_27merge_sort_block_merge_implIS3_N6thrust23THRUST_200600_302600_NS6detail15normal_iteratorINS9_10device_ptrItEEEEPS5_jNS1_19radix_merge_compareILb0ELb0EtNS0_19identity_decomposerEEEEE10hipError_tT0_T1_T2_jT3_P12ihipStream_tbPNSt15iterator_traitsISK_E10value_typeEPNSQ_ISL_E10value_typeEPSM_NS1_7vsmem_tEENKUlT_SK_SL_SM_E_clIPtSE_SF_SF_EESJ_SZ_SK_SL_SM_EUlSZ_E1_NS1_11comp_targetILNS1_3genE8ELNS1_11target_archE1030ELNS1_3gpuE2ELNS1_3repE0EEENS1_36merge_oddeven_config_static_selectorELNS0_4arch9wavefront6targetE1EEEvSL_
    .private_segment_fixed_size: 0
    .sgpr_count:     6
    .sgpr_spill_count: 0
    .symbol:         _ZN7rocprim17ROCPRIM_400000_NS6detail17trampoline_kernelINS0_14default_configENS1_38merge_sort_block_merge_config_selectorItNS0_10empty_typeEEEZZNS1_27merge_sort_block_merge_implIS3_N6thrust23THRUST_200600_302600_NS6detail15normal_iteratorINS9_10device_ptrItEEEEPS5_jNS1_19radix_merge_compareILb0ELb0EtNS0_19identity_decomposerEEEEE10hipError_tT0_T1_T2_jT3_P12ihipStream_tbPNSt15iterator_traitsISK_E10value_typeEPNSQ_ISL_E10value_typeEPSM_NS1_7vsmem_tEENKUlT_SK_SL_SM_E_clIPtSE_SF_SF_EESJ_SZ_SK_SL_SM_EUlSZ_E1_NS1_11comp_targetILNS1_3genE8ELNS1_11target_archE1030ELNS1_3gpuE2ELNS1_3repE0EEENS1_36merge_oddeven_config_static_selectorELNS0_4arch9wavefront6targetE1EEEvSL_.kd
    .uniform_work_group_size: 1
    .uses_dynamic_stack: false
    .vgpr_count:     0
    .vgpr_spill_count: 0
    .wavefront_size: 64
  - .agpr_count:     0
    .args:
      - .offset:         0
        .size:           40
        .value_kind:     by_value
    .group_segment_fixed_size: 0
    .kernarg_segment_align: 8
    .kernarg_segment_size: 40
    .language:       OpenCL C
    .language_version:
      - 2
      - 0
    .max_flat_workgroup_size: 128
    .name:           _ZN7rocprim17ROCPRIM_400000_NS6detail17trampoline_kernelINS0_14default_configENS1_38merge_sort_block_merge_config_selectorItNS0_10empty_typeEEEZZNS1_27merge_sort_block_merge_implIS3_N6thrust23THRUST_200600_302600_NS6detail15normal_iteratorINS9_10device_ptrItEEEEPS5_jNS1_19radix_merge_compareILb0ELb0EtNS0_19identity_decomposerEEEEE10hipError_tT0_T1_T2_jT3_P12ihipStream_tbPNSt15iterator_traitsISK_E10value_typeEPNSQ_ISL_E10value_typeEPSM_NS1_7vsmem_tEENKUlT_SK_SL_SM_E_clISE_PtSF_SF_EESJ_SZ_SK_SL_SM_EUlSZ_E_NS1_11comp_targetILNS1_3genE0ELNS1_11target_archE4294967295ELNS1_3gpuE0ELNS1_3repE0EEENS1_48merge_mergepath_partition_config_static_selectorELNS0_4arch9wavefront6targetE1EEEvSL_
    .private_segment_fixed_size: 0
    .sgpr_count:     6
    .sgpr_spill_count: 0
    .symbol:         _ZN7rocprim17ROCPRIM_400000_NS6detail17trampoline_kernelINS0_14default_configENS1_38merge_sort_block_merge_config_selectorItNS0_10empty_typeEEEZZNS1_27merge_sort_block_merge_implIS3_N6thrust23THRUST_200600_302600_NS6detail15normal_iteratorINS9_10device_ptrItEEEEPS5_jNS1_19radix_merge_compareILb0ELb0EtNS0_19identity_decomposerEEEEE10hipError_tT0_T1_T2_jT3_P12ihipStream_tbPNSt15iterator_traitsISK_E10value_typeEPNSQ_ISL_E10value_typeEPSM_NS1_7vsmem_tEENKUlT_SK_SL_SM_E_clISE_PtSF_SF_EESJ_SZ_SK_SL_SM_EUlSZ_E_NS1_11comp_targetILNS1_3genE0ELNS1_11target_archE4294967295ELNS1_3gpuE0ELNS1_3repE0EEENS1_48merge_mergepath_partition_config_static_selectorELNS0_4arch9wavefront6targetE1EEEvSL_.kd
    .uniform_work_group_size: 1
    .uses_dynamic_stack: false
    .vgpr_count:     0
    .vgpr_spill_count: 0
    .wavefront_size: 64
  - .agpr_count:     0
    .args:
      - .offset:         0
        .size:           40
        .value_kind:     by_value
    .group_segment_fixed_size: 0
    .kernarg_segment_align: 8
    .kernarg_segment_size: 40
    .language:       OpenCL C
    .language_version:
      - 2
      - 0
    .max_flat_workgroup_size: 128
    .name:           _ZN7rocprim17ROCPRIM_400000_NS6detail17trampoline_kernelINS0_14default_configENS1_38merge_sort_block_merge_config_selectorItNS0_10empty_typeEEEZZNS1_27merge_sort_block_merge_implIS3_N6thrust23THRUST_200600_302600_NS6detail15normal_iteratorINS9_10device_ptrItEEEEPS5_jNS1_19radix_merge_compareILb0ELb0EtNS0_19identity_decomposerEEEEE10hipError_tT0_T1_T2_jT3_P12ihipStream_tbPNSt15iterator_traitsISK_E10value_typeEPNSQ_ISL_E10value_typeEPSM_NS1_7vsmem_tEENKUlT_SK_SL_SM_E_clISE_PtSF_SF_EESJ_SZ_SK_SL_SM_EUlSZ_E_NS1_11comp_targetILNS1_3genE10ELNS1_11target_archE1201ELNS1_3gpuE5ELNS1_3repE0EEENS1_48merge_mergepath_partition_config_static_selectorELNS0_4arch9wavefront6targetE1EEEvSL_
    .private_segment_fixed_size: 0
    .sgpr_count:     6
    .sgpr_spill_count: 0
    .symbol:         _ZN7rocprim17ROCPRIM_400000_NS6detail17trampoline_kernelINS0_14default_configENS1_38merge_sort_block_merge_config_selectorItNS0_10empty_typeEEEZZNS1_27merge_sort_block_merge_implIS3_N6thrust23THRUST_200600_302600_NS6detail15normal_iteratorINS9_10device_ptrItEEEEPS5_jNS1_19radix_merge_compareILb0ELb0EtNS0_19identity_decomposerEEEEE10hipError_tT0_T1_T2_jT3_P12ihipStream_tbPNSt15iterator_traitsISK_E10value_typeEPNSQ_ISL_E10value_typeEPSM_NS1_7vsmem_tEENKUlT_SK_SL_SM_E_clISE_PtSF_SF_EESJ_SZ_SK_SL_SM_EUlSZ_E_NS1_11comp_targetILNS1_3genE10ELNS1_11target_archE1201ELNS1_3gpuE5ELNS1_3repE0EEENS1_48merge_mergepath_partition_config_static_selectorELNS0_4arch9wavefront6targetE1EEEvSL_.kd
    .uniform_work_group_size: 1
    .uses_dynamic_stack: false
    .vgpr_count:     0
    .vgpr_spill_count: 0
    .wavefront_size: 64
  - .agpr_count:     0
    .args:
      - .offset:         0
        .size:           40
        .value_kind:     by_value
    .group_segment_fixed_size: 0
    .kernarg_segment_align: 8
    .kernarg_segment_size: 40
    .language:       OpenCL C
    .language_version:
      - 2
      - 0
    .max_flat_workgroup_size: 128
    .name:           _ZN7rocprim17ROCPRIM_400000_NS6detail17trampoline_kernelINS0_14default_configENS1_38merge_sort_block_merge_config_selectorItNS0_10empty_typeEEEZZNS1_27merge_sort_block_merge_implIS3_N6thrust23THRUST_200600_302600_NS6detail15normal_iteratorINS9_10device_ptrItEEEEPS5_jNS1_19radix_merge_compareILb0ELb0EtNS0_19identity_decomposerEEEEE10hipError_tT0_T1_T2_jT3_P12ihipStream_tbPNSt15iterator_traitsISK_E10value_typeEPNSQ_ISL_E10value_typeEPSM_NS1_7vsmem_tEENKUlT_SK_SL_SM_E_clISE_PtSF_SF_EESJ_SZ_SK_SL_SM_EUlSZ_E_NS1_11comp_targetILNS1_3genE5ELNS1_11target_archE942ELNS1_3gpuE9ELNS1_3repE0EEENS1_48merge_mergepath_partition_config_static_selectorELNS0_4arch9wavefront6targetE1EEEvSL_
    .private_segment_fixed_size: 0
    .sgpr_count:     14
    .sgpr_spill_count: 0
    .symbol:         _ZN7rocprim17ROCPRIM_400000_NS6detail17trampoline_kernelINS0_14default_configENS1_38merge_sort_block_merge_config_selectorItNS0_10empty_typeEEEZZNS1_27merge_sort_block_merge_implIS3_N6thrust23THRUST_200600_302600_NS6detail15normal_iteratorINS9_10device_ptrItEEEEPS5_jNS1_19radix_merge_compareILb0ELb0EtNS0_19identity_decomposerEEEEE10hipError_tT0_T1_T2_jT3_P12ihipStream_tbPNSt15iterator_traitsISK_E10value_typeEPNSQ_ISL_E10value_typeEPSM_NS1_7vsmem_tEENKUlT_SK_SL_SM_E_clISE_PtSF_SF_EESJ_SZ_SK_SL_SM_EUlSZ_E_NS1_11comp_targetILNS1_3genE5ELNS1_11target_archE942ELNS1_3gpuE9ELNS1_3repE0EEENS1_48merge_mergepath_partition_config_static_selectorELNS0_4arch9wavefront6targetE1EEEvSL_.kd
    .uniform_work_group_size: 1
    .uses_dynamic_stack: false
    .vgpr_count:     17
    .vgpr_spill_count: 0
    .wavefront_size: 64
  - .agpr_count:     0
    .args:
      - .offset:         0
        .size:           40
        .value_kind:     by_value
    .group_segment_fixed_size: 0
    .kernarg_segment_align: 8
    .kernarg_segment_size: 40
    .language:       OpenCL C
    .language_version:
      - 2
      - 0
    .max_flat_workgroup_size: 128
    .name:           _ZN7rocprim17ROCPRIM_400000_NS6detail17trampoline_kernelINS0_14default_configENS1_38merge_sort_block_merge_config_selectorItNS0_10empty_typeEEEZZNS1_27merge_sort_block_merge_implIS3_N6thrust23THRUST_200600_302600_NS6detail15normal_iteratorINS9_10device_ptrItEEEEPS5_jNS1_19radix_merge_compareILb0ELb0EtNS0_19identity_decomposerEEEEE10hipError_tT0_T1_T2_jT3_P12ihipStream_tbPNSt15iterator_traitsISK_E10value_typeEPNSQ_ISL_E10value_typeEPSM_NS1_7vsmem_tEENKUlT_SK_SL_SM_E_clISE_PtSF_SF_EESJ_SZ_SK_SL_SM_EUlSZ_E_NS1_11comp_targetILNS1_3genE4ELNS1_11target_archE910ELNS1_3gpuE8ELNS1_3repE0EEENS1_48merge_mergepath_partition_config_static_selectorELNS0_4arch9wavefront6targetE1EEEvSL_
    .private_segment_fixed_size: 0
    .sgpr_count:     6
    .sgpr_spill_count: 0
    .symbol:         _ZN7rocprim17ROCPRIM_400000_NS6detail17trampoline_kernelINS0_14default_configENS1_38merge_sort_block_merge_config_selectorItNS0_10empty_typeEEEZZNS1_27merge_sort_block_merge_implIS3_N6thrust23THRUST_200600_302600_NS6detail15normal_iteratorINS9_10device_ptrItEEEEPS5_jNS1_19radix_merge_compareILb0ELb0EtNS0_19identity_decomposerEEEEE10hipError_tT0_T1_T2_jT3_P12ihipStream_tbPNSt15iterator_traitsISK_E10value_typeEPNSQ_ISL_E10value_typeEPSM_NS1_7vsmem_tEENKUlT_SK_SL_SM_E_clISE_PtSF_SF_EESJ_SZ_SK_SL_SM_EUlSZ_E_NS1_11comp_targetILNS1_3genE4ELNS1_11target_archE910ELNS1_3gpuE8ELNS1_3repE0EEENS1_48merge_mergepath_partition_config_static_selectorELNS0_4arch9wavefront6targetE1EEEvSL_.kd
    .uniform_work_group_size: 1
    .uses_dynamic_stack: false
    .vgpr_count:     0
    .vgpr_spill_count: 0
    .wavefront_size: 64
  - .agpr_count:     0
    .args:
      - .offset:         0
        .size:           40
        .value_kind:     by_value
    .group_segment_fixed_size: 0
    .kernarg_segment_align: 8
    .kernarg_segment_size: 40
    .language:       OpenCL C
    .language_version:
      - 2
      - 0
    .max_flat_workgroup_size: 128
    .name:           _ZN7rocprim17ROCPRIM_400000_NS6detail17trampoline_kernelINS0_14default_configENS1_38merge_sort_block_merge_config_selectorItNS0_10empty_typeEEEZZNS1_27merge_sort_block_merge_implIS3_N6thrust23THRUST_200600_302600_NS6detail15normal_iteratorINS9_10device_ptrItEEEEPS5_jNS1_19radix_merge_compareILb0ELb0EtNS0_19identity_decomposerEEEEE10hipError_tT0_T1_T2_jT3_P12ihipStream_tbPNSt15iterator_traitsISK_E10value_typeEPNSQ_ISL_E10value_typeEPSM_NS1_7vsmem_tEENKUlT_SK_SL_SM_E_clISE_PtSF_SF_EESJ_SZ_SK_SL_SM_EUlSZ_E_NS1_11comp_targetILNS1_3genE3ELNS1_11target_archE908ELNS1_3gpuE7ELNS1_3repE0EEENS1_48merge_mergepath_partition_config_static_selectorELNS0_4arch9wavefront6targetE1EEEvSL_
    .private_segment_fixed_size: 0
    .sgpr_count:     6
    .sgpr_spill_count: 0
    .symbol:         _ZN7rocprim17ROCPRIM_400000_NS6detail17trampoline_kernelINS0_14default_configENS1_38merge_sort_block_merge_config_selectorItNS0_10empty_typeEEEZZNS1_27merge_sort_block_merge_implIS3_N6thrust23THRUST_200600_302600_NS6detail15normal_iteratorINS9_10device_ptrItEEEEPS5_jNS1_19radix_merge_compareILb0ELb0EtNS0_19identity_decomposerEEEEE10hipError_tT0_T1_T2_jT3_P12ihipStream_tbPNSt15iterator_traitsISK_E10value_typeEPNSQ_ISL_E10value_typeEPSM_NS1_7vsmem_tEENKUlT_SK_SL_SM_E_clISE_PtSF_SF_EESJ_SZ_SK_SL_SM_EUlSZ_E_NS1_11comp_targetILNS1_3genE3ELNS1_11target_archE908ELNS1_3gpuE7ELNS1_3repE0EEENS1_48merge_mergepath_partition_config_static_selectorELNS0_4arch9wavefront6targetE1EEEvSL_.kd
    .uniform_work_group_size: 1
    .uses_dynamic_stack: false
    .vgpr_count:     0
    .vgpr_spill_count: 0
    .wavefront_size: 64
  - .agpr_count:     0
    .args:
      - .offset:         0
        .size:           40
        .value_kind:     by_value
    .group_segment_fixed_size: 0
    .kernarg_segment_align: 8
    .kernarg_segment_size: 40
    .language:       OpenCL C
    .language_version:
      - 2
      - 0
    .max_flat_workgroup_size: 128
    .name:           _ZN7rocprim17ROCPRIM_400000_NS6detail17trampoline_kernelINS0_14default_configENS1_38merge_sort_block_merge_config_selectorItNS0_10empty_typeEEEZZNS1_27merge_sort_block_merge_implIS3_N6thrust23THRUST_200600_302600_NS6detail15normal_iteratorINS9_10device_ptrItEEEEPS5_jNS1_19radix_merge_compareILb0ELb0EtNS0_19identity_decomposerEEEEE10hipError_tT0_T1_T2_jT3_P12ihipStream_tbPNSt15iterator_traitsISK_E10value_typeEPNSQ_ISL_E10value_typeEPSM_NS1_7vsmem_tEENKUlT_SK_SL_SM_E_clISE_PtSF_SF_EESJ_SZ_SK_SL_SM_EUlSZ_E_NS1_11comp_targetILNS1_3genE2ELNS1_11target_archE906ELNS1_3gpuE6ELNS1_3repE0EEENS1_48merge_mergepath_partition_config_static_selectorELNS0_4arch9wavefront6targetE1EEEvSL_
    .private_segment_fixed_size: 0
    .sgpr_count:     6
    .sgpr_spill_count: 0
    .symbol:         _ZN7rocprim17ROCPRIM_400000_NS6detail17trampoline_kernelINS0_14default_configENS1_38merge_sort_block_merge_config_selectorItNS0_10empty_typeEEEZZNS1_27merge_sort_block_merge_implIS3_N6thrust23THRUST_200600_302600_NS6detail15normal_iteratorINS9_10device_ptrItEEEEPS5_jNS1_19radix_merge_compareILb0ELb0EtNS0_19identity_decomposerEEEEE10hipError_tT0_T1_T2_jT3_P12ihipStream_tbPNSt15iterator_traitsISK_E10value_typeEPNSQ_ISL_E10value_typeEPSM_NS1_7vsmem_tEENKUlT_SK_SL_SM_E_clISE_PtSF_SF_EESJ_SZ_SK_SL_SM_EUlSZ_E_NS1_11comp_targetILNS1_3genE2ELNS1_11target_archE906ELNS1_3gpuE6ELNS1_3repE0EEENS1_48merge_mergepath_partition_config_static_selectorELNS0_4arch9wavefront6targetE1EEEvSL_.kd
    .uniform_work_group_size: 1
    .uses_dynamic_stack: false
    .vgpr_count:     0
    .vgpr_spill_count: 0
    .wavefront_size: 64
  - .agpr_count:     0
    .args:
      - .offset:         0
        .size:           40
        .value_kind:     by_value
    .group_segment_fixed_size: 0
    .kernarg_segment_align: 8
    .kernarg_segment_size: 40
    .language:       OpenCL C
    .language_version:
      - 2
      - 0
    .max_flat_workgroup_size: 128
    .name:           _ZN7rocprim17ROCPRIM_400000_NS6detail17trampoline_kernelINS0_14default_configENS1_38merge_sort_block_merge_config_selectorItNS0_10empty_typeEEEZZNS1_27merge_sort_block_merge_implIS3_N6thrust23THRUST_200600_302600_NS6detail15normal_iteratorINS9_10device_ptrItEEEEPS5_jNS1_19radix_merge_compareILb0ELb0EtNS0_19identity_decomposerEEEEE10hipError_tT0_T1_T2_jT3_P12ihipStream_tbPNSt15iterator_traitsISK_E10value_typeEPNSQ_ISL_E10value_typeEPSM_NS1_7vsmem_tEENKUlT_SK_SL_SM_E_clISE_PtSF_SF_EESJ_SZ_SK_SL_SM_EUlSZ_E_NS1_11comp_targetILNS1_3genE9ELNS1_11target_archE1100ELNS1_3gpuE3ELNS1_3repE0EEENS1_48merge_mergepath_partition_config_static_selectorELNS0_4arch9wavefront6targetE1EEEvSL_
    .private_segment_fixed_size: 0
    .sgpr_count:     6
    .sgpr_spill_count: 0
    .symbol:         _ZN7rocprim17ROCPRIM_400000_NS6detail17trampoline_kernelINS0_14default_configENS1_38merge_sort_block_merge_config_selectorItNS0_10empty_typeEEEZZNS1_27merge_sort_block_merge_implIS3_N6thrust23THRUST_200600_302600_NS6detail15normal_iteratorINS9_10device_ptrItEEEEPS5_jNS1_19radix_merge_compareILb0ELb0EtNS0_19identity_decomposerEEEEE10hipError_tT0_T1_T2_jT3_P12ihipStream_tbPNSt15iterator_traitsISK_E10value_typeEPNSQ_ISL_E10value_typeEPSM_NS1_7vsmem_tEENKUlT_SK_SL_SM_E_clISE_PtSF_SF_EESJ_SZ_SK_SL_SM_EUlSZ_E_NS1_11comp_targetILNS1_3genE9ELNS1_11target_archE1100ELNS1_3gpuE3ELNS1_3repE0EEENS1_48merge_mergepath_partition_config_static_selectorELNS0_4arch9wavefront6targetE1EEEvSL_.kd
    .uniform_work_group_size: 1
    .uses_dynamic_stack: false
    .vgpr_count:     0
    .vgpr_spill_count: 0
    .wavefront_size: 64
  - .agpr_count:     0
    .args:
      - .offset:         0
        .size:           40
        .value_kind:     by_value
    .group_segment_fixed_size: 0
    .kernarg_segment_align: 8
    .kernarg_segment_size: 40
    .language:       OpenCL C
    .language_version:
      - 2
      - 0
    .max_flat_workgroup_size: 128
    .name:           _ZN7rocprim17ROCPRIM_400000_NS6detail17trampoline_kernelINS0_14default_configENS1_38merge_sort_block_merge_config_selectorItNS0_10empty_typeEEEZZNS1_27merge_sort_block_merge_implIS3_N6thrust23THRUST_200600_302600_NS6detail15normal_iteratorINS9_10device_ptrItEEEEPS5_jNS1_19radix_merge_compareILb0ELb0EtNS0_19identity_decomposerEEEEE10hipError_tT0_T1_T2_jT3_P12ihipStream_tbPNSt15iterator_traitsISK_E10value_typeEPNSQ_ISL_E10value_typeEPSM_NS1_7vsmem_tEENKUlT_SK_SL_SM_E_clISE_PtSF_SF_EESJ_SZ_SK_SL_SM_EUlSZ_E_NS1_11comp_targetILNS1_3genE8ELNS1_11target_archE1030ELNS1_3gpuE2ELNS1_3repE0EEENS1_48merge_mergepath_partition_config_static_selectorELNS0_4arch9wavefront6targetE1EEEvSL_
    .private_segment_fixed_size: 0
    .sgpr_count:     6
    .sgpr_spill_count: 0
    .symbol:         _ZN7rocprim17ROCPRIM_400000_NS6detail17trampoline_kernelINS0_14default_configENS1_38merge_sort_block_merge_config_selectorItNS0_10empty_typeEEEZZNS1_27merge_sort_block_merge_implIS3_N6thrust23THRUST_200600_302600_NS6detail15normal_iteratorINS9_10device_ptrItEEEEPS5_jNS1_19radix_merge_compareILb0ELb0EtNS0_19identity_decomposerEEEEE10hipError_tT0_T1_T2_jT3_P12ihipStream_tbPNSt15iterator_traitsISK_E10value_typeEPNSQ_ISL_E10value_typeEPSM_NS1_7vsmem_tEENKUlT_SK_SL_SM_E_clISE_PtSF_SF_EESJ_SZ_SK_SL_SM_EUlSZ_E_NS1_11comp_targetILNS1_3genE8ELNS1_11target_archE1030ELNS1_3gpuE2ELNS1_3repE0EEENS1_48merge_mergepath_partition_config_static_selectorELNS0_4arch9wavefront6targetE1EEEvSL_.kd
    .uniform_work_group_size: 1
    .uses_dynamic_stack: false
    .vgpr_count:     0
    .vgpr_spill_count: 0
    .wavefront_size: 64
  - .agpr_count:     0
    .args:
      - .offset:         0
        .size:           64
        .value_kind:     by_value
    .group_segment_fixed_size: 0
    .kernarg_segment_align: 8
    .kernarg_segment_size: 64
    .language:       OpenCL C
    .language_version:
      - 2
      - 0
    .max_flat_workgroup_size: 128
    .name:           _ZN7rocprim17ROCPRIM_400000_NS6detail17trampoline_kernelINS0_14default_configENS1_38merge_sort_block_merge_config_selectorItNS0_10empty_typeEEEZZNS1_27merge_sort_block_merge_implIS3_N6thrust23THRUST_200600_302600_NS6detail15normal_iteratorINS9_10device_ptrItEEEEPS5_jNS1_19radix_merge_compareILb0ELb0EtNS0_19identity_decomposerEEEEE10hipError_tT0_T1_T2_jT3_P12ihipStream_tbPNSt15iterator_traitsISK_E10value_typeEPNSQ_ISL_E10value_typeEPSM_NS1_7vsmem_tEENKUlT_SK_SL_SM_E_clISE_PtSF_SF_EESJ_SZ_SK_SL_SM_EUlSZ_E0_NS1_11comp_targetILNS1_3genE0ELNS1_11target_archE4294967295ELNS1_3gpuE0ELNS1_3repE0EEENS1_38merge_mergepath_config_static_selectorELNS0_4arch9wavefront6targetE1EEEvSL_
    .private_segment_fixed_size: 0
    .sgpr_count:     6
    .sgpr_spill_count: 0
    .symbol:         _ZN7rocprim17ROCPRIM_400000_NS6detail17trampoline_kernelINS0_14default_configENS1_38merge_sort_block_merge_config_selectorItNS0_10empty_typeEEEZZNS1_27merge_sort_block_merge_implIS3_N6thrust23THRUST_200600_302600_NS6detail15normal_iteratorINS9_10device_ptrItEEEEPS5_jNS1_19radix_merge_compareILb0ELb0EtNS0_19identity_decomposerEEEEE10hipError_tT0_T1_T2_jT3_P12ihipStream_tbPNSt15iterator_traitsISK_E10value_typeEPNSQ_ISL_E10value_typeEPSM_NS1_7vsmem_tEENKUlT_SK_SL_SM_E_clISE_PtSF_SF_EESJ_SZ_SK_SL_SM_EUlSZ_E0_NS1_11comp_targetILNS1_3genE0ELNS1_11target_archE4294967295ELNS1_3gpuE0ELNS1_3repE0EEENS1_38merge_mergepath_config_static_selectorELNS0_4arch9wavefront6targetE1EEEvSL_.kd
    .uniform_work_group_size: 1
    .uses_dynamic_stack: false
    .vgpr_count:     0
    .vgpr_spill_count: 0
    .wavefront_size: 64
  - .agpr_count:     0
    .args:
      - .offset:         0
        .size:           64
        .value_kind:     by_value
    .group_segment_fixed_size: 0
    .kernarg_segment_align: 8
    .kernarg_segment_size: 64
    .language:       OpenCL C
    .language_version:
      - 2
      - 0
    .max_flat_workgroup_size: 128
    .name:           _ZN7rocprim17ROCPRIM_400000_NS6detail17trampoline_kernelINS0_14default_configENS1_38merge_sort_block_merge_config_selectorItNS0_10empty_typeEEEZZNS1_27merge_sort_block_merge_implIS3_N6thrust23THRUST_200600_302600_NS6detail15normal_iteratorINS9_10device_ptrItEEEEPS5_jNS1_19radix_merge_compareILb0ELb0EtNS0_19identity_decomposerEEEEE10hipError_tT0_T1_T2_jT3_P12ihipStream_tbPNSt15iterator_traitsISK_E10value_typeEPNSQ_ISL_E10value_typeEPSM_NS1_7vsmem_tEENKUlT_SK_SL_SM_E_clISE_PtSF_SF_EESJ_SZ_SK_SL_SM_EUlSZ_E0_NS1_11comp_targetILNS1_3genE10ELNS1_11target_archE1201ELNS1_3gpuE5ELNS1_3repE0EEENS1_38merge_mergepath_config_static_selectorELNS0_4arch9wavefront6targetE1EEEvSL_
    .private_segment_fixed_size: 0
    .sgpr_count:     6
    .sgpr_spill_count: 0
    .symbol:         _ZN7rocprim17ROCPRIM_400000_NS6detail17trampoline_kernelINS0_14default_configENS1_38merge_sort_block_merge_config_selectorItNS0_10empty_typeEEEZZNS1_27merge_sort_block_merge_implIS3_N6thrust23THRUST_200600_302600_NS6detail15normal_iteratorINS9_10device_ptrItEEEEPS5_jNS1_19radix_merge_compareILb0ELb0EtNS0_19identity_decomposerEEEEE10hipError_tT0_T1_T2_jT3_P12ihipStream_tbPNSt15iterator_traitsISK_E10value_typeEPNSQ_ISL_E10value_typeEPSM_NS1_7vsmem_tEENKUlT_SK_SL_SM_E_clISE_PtSF_SF_EESJ_SZ_SK_SL_SM_EUlSZ_E0_NS1_11comp_targetILNS1_3genE10ELNS1_11target_archE1201ELNS1_3gpuE5ELNS1_3repE0EEENS1_38merge_mergepath_config_static_selectorELNS0_4arch9wavefront6targetE1EEEvSL_.kd
    .uniform_work_group_size: 1
    .uses_dynamic_stack: false
    .vgpr_count:     0
    .vgpr_spill_count: 0
    .wavefront_size: 64
  - .agpr_count:     0
    .args:
      - .offset:         0
        .size:           64
        .value_kind:     by_value
      - .offset:         64
        .size:           4
        .value_kind:     hidden_block_count_x
      - .offset:         68
        .size:           4
        .value_kind:     hidden_block_count_y
      - .offset:         72
        .size:           4
        .value_kind:     hidden_block_count_z
      - .offset:         76
        .size:           2
        .value_kind:     hidden_group_size_x
      - .offset:         78
        .size:           2
        .value_kind:     hidden_group_size_y
      - .offset:         80
        .size:           2
        .value_kind:     hidden_group_size_z
      - .offset:         82
        .size:           2
        .value_kind:     hidden_remainder_x
      - .offset:         84
        .size:           2
        .value_kind:     hidden_remainder_y
      - .offset:         86
        .size:           2
        .value_kind:     hidden_remainder_z
      - .offset:         104
        .size:           8
        .value_kind:     hidden_global_offset_x
      - .offset:         112
        .size:           8
        .value_kind:     hidden_global_offset_y
      - .offset:         120
        .size:           8
        .value_kind:     hidden_global_offset_z
      - .offset:         128
        .size:           2
        .value_kind:     hidden_grid_dims
    .group_segment_fixed_size: 2112
    .kernarg_segment_align: 8
    .kernarg_segment_size: 320
    .language:       OpenCL C
    .language_version:
      - 2
      - 0
    .max_flat_workgroup_size: 128
    .name:           _ZN7rocprim17ROCPRIM_400000_NS6detail17trampoline_kernelINS0_14default_configENS1_38merge_sort_block_merge_config_selectorItNS0_10empty_typeEEEZZNS1_27merge_sort_block_merge_implIS3_N6thrust23THRUST_200600_302600_NS6detail15normal_iteratorINS9_10device_ptrItEEEEPS5_jNS1_19radix_merge_compareILb0ELb0EtNS0_19identity_decomposerEEEEE10hipError_tT0_T1_T2_jT3_P12ihipStream_tbPNSt15iterator_traitsISK_E10value_typeEPNSQ_ISL_E10value_typeEPSM_NS1_7vsmem_tEENKUlT_SK_SL_SM_E_clISE_PtSF_SF_EESJ_SZ_SK_SL_SM_EUlSZ_E0_NS1_11comp_targetILNS1_3genE5ELNS1_11target_archE942ELNS1_3gpuE9ELNS1_3repE0EEENS1_38merge_mergepath_config_static_selectorELNS0_4arch9wavefront6targetE1EEEvSL_
    .private_segment_fixed_size: 0
    .sgpr_count:     30
    .sgpr_spill_count: 0
    .symbol:         _ZN7rocprim17ROCPRIM_400000_NS6detail17trampoline_kernelINS0_14default_configENS1_38merge_sort_block_merge_config_selectorItNS0_10empty_typeEEEZZNS1_27merge_sort_block_merge_implIS3_N6thrust23THRUST_200600_302600_NS6detail15normal_iteratorINS9_10device_ptrItEEEEPS5_jNS1_19radix_merge_compareILb0ELb0EtNS0_19identity_decomposerEEEEE10hipError_tT0_T1_T2_jT3_P12ihipStream_tbPNSt15iterator_traitsISK_E10value_typeEPNSQ_ISL_E10value_typeEPSM_NS1_7vsmem_tEENKUlT_SK_SL_SM_E_clISE_PtSF_SF_EESJ_SZ_SK_SL_SM_EUlSZ_E0_NS1_11comp_targetILNS1_3genE5ELNS1_11target_archE942ELNS1_3gpuE9ELNS1_3repE0EEENS1_38merge_mergepath_config_static_selectorELNS0_4arch9wavefront6targetE1EEEvSL_.kd
    .uniform_work_group_size: 1
    .uses_dynamic_stack: false
    .vgpr_count:     26
    .vgpr_spill_count: 0
    .wavefront_size: 64
  - .agpr_count:     0
    .args:
      - .offset:         0
        .size:           64
        .value_kind:     by_value
    .group_segment_fixed_size: 0
    .kernarg_segment_align: 8
    .kernarg_segment_size: 64
    .language:       OpenCL C
    .language_version:
      - 2
      - 0
    .max_flat_workgroup_size: 128
    .name:           _ZN7rocprim17ROCPRIM_400000_NS6detail17trampoline_kernelINS0_14default_configENS1_38merge_sort_block_merge_config_selectorItNS0_10empty_typeEEEZZNS1_27merge_sort_block_merge_implIS3_N6thrust23THRUST_200600_302600_NS6detail15normal_iteratorINS9_10device_ptrItEEEEPS5_jNS1_19radix_merge_compareILb0ELb0EtNS0_19identity_decomposerEEEEE10hipError_tT0_T1_T2_jT3_P12ihipStream_tbPNSt15iterator_traitsISK_E10value_typeEPNSQ_ISL_E10value_typeEPSM_NS1_7vsmem_tEENKUlT_SK_SL_SM_E_clISE_PtSF_SF_EESJ_SZ_SK_SL_SM_EUlSZ_E0_NS1_11comp_targetILNS1_3genE4ELNS1_11target_archE910ELNS1_3gpuE8ELNS1_3repE0EEENS1_38merge_mergepath_config_static_selectorELNS0_4arch9wavefront6targetE1EEEvSL_
    .private_segment_fixed_size: 0
    .sgpr_count:     6
    .sgpr_spill_count: 0
    .symbol:         _ZN7rocprim17ROCPRIM_400000_NS6detail17trampoline_kernelINS0_14default_configENS1_38merge_sort_block_merge_config_selectorItNS0_10empty_typeEEEZZNS1_27merge_sort_block_merge_implIS3_N6thrust23THRUST_200600_302600_NS6detail15normal_iteratorINS9_10device_ptrItEEEEPS5_jNS1_19radix_merge_compareILb0ELb0EtNS0_19identity_decomposerEEEEE10hipError_tT0_T1_T2_jT3_P12ihipStream_tbPNSt15iterator_traitsISK_E10value_typeEPNSQ_ISL_E10value_typeEPSM_NS1_7vsmem_tEENKUlT_SK_SL_SM_E_clISE_PtSF_SF_EESJ_SZ_SK_SL_SM_EUlSZ_E0_NS1_11comp_targetILNS1_3genE4ELNS1_11target_archE910ELNS1_3gpuE8ELNS1_3repE0EEENS1_38merge_mergepath_config_static_selectorELNS0_4arch9wavefront6targetE1EEEvSL_.kd
    .uniform_work_group_size: 1
    .uses_dynamic_stack: false
    .vgpr_count:     0
    .vgpr_spill_count: 0
    .wavefront_size: 64
  - .agpr_count:     0
    .args:
      - .offset:         0
        .size:           64
        .value_kind:     by_value
    .group_segment_fixed_size: 0
    .kernarg_segment_align: 8
    .kernarg_segment_size: 64
    .language:       OpenCL C
    .language_version:
      - 2
      - 0
    .max_flat_workgroup_size: 128
    .name:           _ZN7rocprim17ROCPRIM_400000_NS6detail17trampoline_kernelINS0_14default_configENS1_38merge_sort_block_merge_config_selectorItNS0_10empty_typeEEEZZNS1_27merge_sort_block_merge_implIS3_N6thrust23THRUST_200600_302600_NS6detail15normal_iteratorINS9_10device_ptrItEEEEPS5_jNS1_19radix_merge_compareILb0ELb0EtNS0_19identity_decomposerEEEEE10hipError_tT0_T1_T2_jT3_P12ihipStream_tbPNSt15iterator_traitsISK_E10value_typeEPNSQ_ISL_E10value_typeEPSM_NS1_7vsmem_tEENKUlT_SK_SL_SM_E_clISE_PtSF_SF_EESJ_SZ_SK_SL_SM_EUlSZ_E0_NS1_11comp_targetILNS1_3genE3ELNS1_11target_archE908ELNS1_3gpuE7ELNS1_3repE0EEENS1_38merge_mergepath_config_static_selectorELNS0_4arch9wavefront6targetE1EEEvSL_
    .private_segment_fixed_size: 0
    .sgpr_count:     6
    .sgpr_spill_count: 0
    .symbol:         _ZN7rocprim17ROCPRIM_400000_NS6detail17trampoline_kernelINS0_14default_configENS1_38merge_sort_block_merge_config_selectorItNS0_10empty_typeEEEZZNS1_27merge_sort_block_merge_implIS3_N6thrust23THRUST_200600_302600_NS6detail15normal_iteratorINS9_10device_ptrItEEEEPS5_jNS1_19radix_merge_compareILb0ELb0EtNS0_19identity_decomposerEEEEE10hipError_tT0_T1_T2_jT3_P12ihipStream_tbPNSt15iterator_traitsISK_E10value_typeEPNSQ_ISL_E10value_typeEPSM_NS1_7vsmem_tEENKUlT_SK_SL_SM_E_clISE_PtSF_SF_EESJ_SZ_SK_SL_SM_EUlSZ_E0_NS1_11comp_targetILNS1_3genE3ELNS1_11target_archE908ELNS1_3gpuE7ELNS1_3repE0EEENS1_38merge_mergepath_config_static_selectorELNS0_4arch9wavefront6targetE1EEEvSL_.kd
    .uniform_work_group_size: 1
    .uses_dynamic_stack: false
    .vgpr_count:     0
    .vgpr_spill_count: 0
    .wavefront_size: 64
  - .agpr_count:     0
    .args:
      - .offset:         0
        .size:           64
        .value_kind:     by_value
    .group_segment_fixed_size: 0
    .kernarg_segment_align: 8
    .kernarg_segment_size: 64
    .language:       OpenCL C
    .language_version:
      - 2
      - 0
    .max_flat_workgroup_size: 128
    .name:           _ZN7rocprim17ROCPRIM_400000_NS6detail17trampoline_kernelINS0_14default_configENS1_38merge_sort_block_merge_config_selectorItNS0_10empty_typeEEEZZNS1_27merge_sort_block_merge_implIS3_N6thrust23THRUST_200600_302600_NS6detail15normal_iteratorINS9_10device_ptrItEEEEPS5_jNS1_19radix_merge_compareILb0ELb0EtNS0_19identity_decomposerEEEEE10hipError_tT0_T1_T2_jT3_P12ihipStream_tbPNSt15iterator_traitsISK_E10value_typeEPNSQ_ISL_E10value_typeEPSM_NS1_7vsmem_tEENKUlT_SK_SL_SM_E_clISE_PtSF_SF_EESJ_SZ_SK_SL_SM_EUlSZ_E0_NS1_11comp_targetILNS1_3genE2ELNS1_11target_archE906ELNS1_3gpuE6ELNS1_3repE0EEENS1_38merge_mergepath_config_static_selectorELNS0_4arch9wavefront6targetE1EEEvSL_
    .private_segment_fixed_size: 0
    .sgpr_count:     6
    .sgpr_spill_count: 0
    .symbol:         _ZN7rocprim17ROCPRIM_400000_NS6detail17trampoline_kernelINS0_14default_configENS1_38merge_sort_block_merge_config_selectorItNS0_10empty_typeEEEZZNS1_27merge_sort_block_merge_implIS3_N6thrust23THRUST_200600_302600_NS6detail15normal_iteratorINS9_10device_ptrItEEEEPS5_jNS1_19radix_merge_compareILb0ELb0EtNS0_19identity_decomposerEEEEE10hipError_tT0_T1_T2_jT3_P12ihipStream_tbPNSt15iterator_traitsISK_E10value_typeEPNSQ_ISL_E10value_typeEPSM_NS1_7vsmem_tEENKUlT_SK_SL_SM_E_clISE_PtSF_SF_EESJ_SZ_SK_SL_SM_EUlSZ_E0_NS1_11comp_targetILNS1_3genE2ELNS1_11target_archE906ELNS1_3gpuE6ELNS1_3repE0EEENS1_38merge_mergepath_config_static_selectorELNS0_4arch9wavefront6targetE1EEEvSL_.kd
    .uniform_work_group_size: 1
    .uses_dynamic_stack: false
    .vgpr_count:     0
    .vgpr_spill_count: 0
    .wavefront_size: 64
  - .agpr_count:     0
    .args:
      - .offset:         0
        .size:           64
        .value_kind:     by_value
    .group_segment_fixed_size: 0
    .kernarg_segment_align: 8
    .kernarg_segment_size: 64
    .language:       OpenCL C
    .language_version:
      - 2
      - 0
    .max_flat_workgroup_size: 128
    .name:           _ZN7rocprim17ROCPRIM_400000_NS6detail17trampoline_kernelINS0_14default_configENS1_38merge_sort_block_merge_config_selectorItNS0_10empty_typeEEEZZNS1_27merge_sort_block_merge_implIS3_N6thrust23THRUST_200600_302600_NS6detail15normal_iteratorINS9_10device_ptrItEEEEPS5_jNS1_19radix_merge_compareILb0ELb0EtNS0_19identity_decomposerEEEEE10hipError_tT0_T1_T2_jT3_P12ihipStream_tbPNSt15iterator_traitsISK_E10value_typeEPNSQ_ISL_E10value_typeEPSM_NS1_7vsmem_tEENKUlT_SK_SL_SM_E_clISE_PtSF_SF_EESJ_SZ_SK_SL_SM_EUlSZ_E0_NS1_11comp_targetILNS1_3genE9ELNS1_11target_archE1100ELNS1_3gpuE3ELNS1_3repE0EEENS1_38merge_mergepath_config_static_selectorELNS0_4arch9wavefront6targetE1EEEvSL_
    .private_segment_fixed_size: 0
    .sgpr_count:     6
    .sgpr_spill_count: 0
    .symbol:         _ZN7rocprim17ROCPRIM_400000_NS6detail17trampoline_kernelINS0_14default_configENS1_38merge_sort_block_merge_config_selectorItNS0_10empty_typeEEEZZNS1_27merge_sort_block_merge_implIS3_N6thrust23THRUST_200600_302600_NS6detail15normal_iteratorINS9_10device_ptrItEEEEPS5_jNS1_19radix_merge_compareILb0ELb0EtNS0_19identity_decomposerEEEEE10hipError_tT0_T1_T2_jT3_P12ihipStream_tbPNSt15iterator_traitsISK_E10value_typeEPNSQ_ISL_E10value_typeEPSM_NS1_7vsmem_tEENKUlT_SK_SL_SM_E_clISE_PtSF_SF_EESJ_SZ_SK_SL_SM_EUlSZ_E0_NS1_11comp_targetILNS1_3genE9ELNS1_11target_archE1100ELNS1_3gpuE3ELNS1_3repE0EEENS1_38merge_mergepath_config_static_selectorELNS0_4arch9wavefront6targetE1EEEvSL_.kd
    .uniform_work_group_size: 1
    .uses_dynamic_stack: false
    .vgpr_count:     0
    .vgpr_spill_count: 0
    .wavefront_size: 64
  - .agpr_count:     0
    .args:
      - .offset:         0
        .size:           64
        .value_kind:     by_value
    .group_segment_fixed_size: 0
    .kernarg_segment_align: 8
    .kernarg_segment_size: 64
    .language:       OpenCL C
    .language_version:
      - 2
      - 0
    .max_flat_workgroup_size: 128
    .name:           _ZN7rocprim17ROCPRIM_400000_NS6detail17trampoline_kernelINS0_14default_configENS1_38merge_sort_block_merge_config_selectorItNS0_10empty_typeEEEZZNS1_27merge_sort_block_merge_implIS3_N6thrust23THRUST_200600_302600_NS6detail15normal_iteratorINS9_10device_ptrItEEEEPS5_jNS1_19radix_merge_compareILb0ELb0EtNS0_19identity_decomposerEEEEE10hipError_tT0_T1_T2_jT3_P12ihipStream_tbPNSt15iterator_traitsISK_E10value_typeEPNSQ_ISL_E10value_typeEPSM_NS1_7vsmem_tEENKUlT_SK_SL_SM_E_clISE_PtSF_SF_EESJ_SZ_SK_SL_SM_EUlSZ_E0_NS1_11comp_targetILNS1_3genE8ELNS1_11target_archE1030ELNS1_3gpuE2ELNS1_3repE0EEENS1_38merge_mergepath_config_static_selectorELNS0_4arch9wavefront6targetE1EEEvSL_
    .private_segment_fixed_size: 0
    .sgpr_count:     6
    .sgpr_spill_count: 0
    .symbol:         _ZN7rocprim17ROCPRIM_400000_NS6detail17trampoline_kernelINS0_14default_configENS1_38merge_sort_block_merge_config_selectorItNS0_10empty_typeEEEZZNS1_27merge_sort_block_merge_implIS3_N6thrust23THRUST_200600_302600_NS6detail15normal_iteratorINS9_10device_ptrItEEEEPS5_jNS1_19radix_merge_compareILb0ELb0EtNS0_19identity_decomposerEEEEE10hipError_tT0_T1_T2_jT3_P12ihipStream_tbPNSt15iterator_traitsISK_E10value_typeEPNSQ_ISL_E10value_typeEPSM_NS1_7vsmem_tEENKUlT_SK_SL_SM_E_clISE_PtSF_SF_EESJ_SZ_SK_SL_SM_EUlSZ_E0_NS1_11comp_targetILNS1_3genE8ELNS1_11target_archE1030ELNS1_3gpuE2ELNS1_3repE0EEENS1_38merge_mergepath_config_static_selectorELNS0_4arch9wavefront6targetE1EEEvSL_.kd
    .uniform_work_group_size: 1
    .uses_dynamic_stack: false
    .vgpr_count:     0
    .vgpr_spill_count: 0
    .wavefront_size: 64
  - .agpr_count:     0
    .args:
      - .offset:         0
        .size:           48
        .value_kind:     by_value
    .group_segment_fixed_size: 0
    .kernarg_segment_align: 8
    .kernarg_segment_size: 48
    .language:       OpenCL C
    .language_version:
      - 2
      - 0
    .max_flat_workgroup_size: 256
    .name:           _ZN7rocprim17ROCPRIM_400000_NS6detail17trampoline_kernelINS0_14default_configENS1_38merge_sort_block_merge_config_selectorItNS0_10empty_typeEEEZZNS1_27merge_sort_block_merge_implIS3_N6thrust23THRUST_200600_302600_NS6detail15normal_iteratorINS9_10device_ptrItEEEEPS5_jNS1_19radix_merge_compareILb0ELb0EtNS0_19identity_decomposerEEEEE10hipError_tT0_T1_T2_jT3_P12ihipStream_tbPNSt15iterator_traitsISK_E10value_typeEPNSQ_ISL_E10value_typeEPSM_NS1_7vsmem_tEENKUlT_SK_SL_SM_E_clISE_PtSF_SF_EESJ_SZ_SK_SL_SM_EUlSZ_E1_NS1_11comp_targetILNS1_3genE0ELNS1_11target_archE4294967295ELNS1_3gpuE0ELNS1_3repE0EEENS1_36merge_oddeven_config_static_selectorELNS0_4arch9wavefront6targetE1EEEvSL_
    .private_segment_fixed_size: 0
    .sgpr_count:     6
    .sgpr_spill_count: 0
    .symbol:         _ZN7rocprim17ROCPRIM_400000_NS6detail17trampoline_kernelINS0_14default_configENS1_38merge_sort_block_merge_config_selectorItNS0_10empty_typeEEEZZNS1_27merge_sort_block_merge_implIS3_N6thrust23THRUST_200600_302600_NS6detail15normal_iteratorINS9_10device_ptrItEEEEPS5_jNS1_19radix_merge_compareILb0ELb0EtNS0_19identity_decomposerEEEEE10hipError_tT0_T1_T2_jT3_P12ihipStream_tbPNSt15iterator_traitsISK_E10value_typeEPNSQ_ISL_E10value_typeEPSM_NS1_7vsmem_tEENKUlT_SK_SL_SM_E_clISE_PtSF_SF_EESJ_SZ_SK_SL_SM_EUlSZ_E1_NS1_11comp_targetILNS1_3genE0ELNS1_11target_archE4294967295ELNS1_3gpuE0ELNS1_3repE0EEENS1_36merge_oddeven_config_static_selectorELNS0_4arch9wavefront6targetE1EEEvSL_.kd
    .uniform_work_group_size: 1
    .uses_dynamic_stack: false
    .vgpr_count:     0
    .vgpr_spill_count: 0
    .wavefront_size: 64
  - .agpr_count:     0
    .args:
      - .offset:         0
        .size:           48
        .value_kind:     by_value
    .group_segment_fixed_size: 0
    .kernarg_segment_align: 8
    .kernarg_segment_size: 48
    .language:       OpenCL C
    .language_version:
      - 2
      - 0
    .max_flat_workgroup_size: 256
    .name:           _ZN7rocprim17ROCPRIM_400000_NS6detail17trampoline_kernelINS0_14default_configENS1_38merge_sort_block_merge_config_selectorItNS0_10empty_typeEEEZZNS1_27merge_sort_block_merge_implIS3_N6thrust23THRUST_200600_302600_NS6detail15normal_iteratorINS9_10device_ptrItEEEEPS5_jNS1_19radix_merge_compareILb0ELb0EtNS0_19identity_decomposerEEEEE10hipError_tT0_T1_T2_jT3_P12ihipStream_tbPNSt15iterator_traitsISK_E10value_typeEPNSQ_ISL_E10value_typeEPSM_NS1_7vsmem_tEENKUlT_SK_SL_SM_E_clISE_PtSF_SF_EESJ_SZ_SK_SL_SM_EUlSZ_E1_NS1_11comp_targetILNS1_3genE10ELNS1_11target_archE1201ELNS1_3gpuE5ELNS1_3repE0EEENS1_36merge_oddeven_config_static_selectorELNS0_4arch9wavefront6targetE1EEEvSL_
    .private_segment_fixed_size: 0
    .sgpr_count:     6
    .sgpr_spill_count: 0
    .symbol:         _ZN7rocprim17ROCPRIM_400000_NS6detail17trampoline_kernelINS0_14default_configENS1_38merge_sort_block_merge_config_selectorItNS0_10empty_typeEEEZZNS1_27merge_sort_block_merge_implIS3_N6thrust23THRUST_200600_302600_NS6detail15normal_iteratorINS9_10device_ptrItEEEEPS5_jNS1_19radix_merge_compareILb0ELb0EtNS0_19identity_decomposerEEEEE10hipError_tT0_T1_T2_jT3_P12ihipStream_tbPNSt15iterator_traitsISK_E10value_typeEPNSQ_ISL_E10value_typeEPSM_NS1_7vsmem_tEENKUlT_SK_SL_SM_E_clISE_PtSF_SF_EESJ_SZ_SK_SL_SM_EUlSZ_E1_NS1_11comp_targetILNS1_3genE10ELNS1_11target_archE1201ELNS1_3gpuE5ELNS1_3repE0EEENS1_36merge_oddeven_config_static_selectorELNS0_4arch9wavefront6targetE1EEEvSL_.kd
    .uniform_work_group_size: 1
    .uses_dynamic_stack: false
    .vgpr_count:     0
    .vgpr_spill_count: 0
    .wavefront_size: 64
  - .agpr_count:     0
    .args:
      - .offset:         0
        .size:           48
        .value_kind:     by_value
    .group_segment_fixed_size: 0
    .kernarg_segment_align: 8
    .kernarg_segment_size: 48
    .language:       OpenCL C
    .language_version:
      - 2
      - 0
    .max_flat_workgroup_size: 256
    .name:           _ZN7rocprim17ROCPRIM_400000_NS6detail17trampoline_kernelINS0_14default_configENS1_38merge_sort_block_merge_config_selectorItNS0_10empty_typeEEEZZNS1_27merge_sort_block_merge_implIS3_N6thrust23THRUST_200600_302600_NS6detail15normal_iteratorINS9_10device_ptrItEEEEPS5_jNS1_19radix_merge_compareILb0ELb0EtNS0_19identity_decomposerEEEEE10hipError_tT0_T1_T2_jT3_P12ihipStream_tbPNSt15iterator_traitsISK_E10value_typeEPNSQ_ISL_E10value_typeEPSM_NS1_7vsmem_tEENKUlT_SK_SL_SM_E_clISE_PtSF_SF_EESJ_SZ_SK_SL_SM_EUlSZ_E1_NS1_11comp_targetILNS1_3genE5ELNS1_11target_archE942ELNS1_3gpuE9ELNS1_3repE0EEENS1_36merge_oddeven_config_static_selectorELNS0_4arch9wavefront6targetE1EEEvSL_
    .private_segment_fixed_size: 0
    .sgpr_count:     25
    .sgpr_spill_count: 0
    .symbol:         _ZN7rocprim17ROCPRIM_400000_NS6detail17trampoline_kernelINS0_14default_configENS1_38merge_sort_block_merge_config_selectorItNS0_10empty_typeEEEZZNS1_27merge_sort_block_merge_implIS3_N6thrust23THRUST_200600_302600_NS6detail15normal_iteratorINS9_10device_ptrItEEEEPS5_jNS1_19radix_merge_compareILb0ELb0EtNS0_19identity_decomposerEEEEE10hipError_tT0_T1_T2_jT3_P12ihipStream_tbPNSt15iterator_traitsISK_E10value_typeEPNSQ_ISL_E10value_typeEPSM_NS1_7vsmem_tEENKUlT_SK_SL_SM_E_clISE_PtSF_SF_EESJ_SZ_SK_SL_SM_EUlSZ_E1_NS1_11comp_targetILNS1_3genE5ELNS1_11target_archE942ELNS1_3gpuE9ELNS1_3repE0EEENS1_36merge_oddeven_config_static_selectorELNS0_4arch9wavefront6targetE1EEEvSL_.kd
    .uniform_work_group_size: 1
    .uses_dynamic_stack: false
    .vgpr_count:     8
    .vgpr_spill_count: 0
    .wavefront_size: 64
  - .agpr_count:     0
    .args:
      - .offset:         0
        .size:           48
        .value_kind:     by_value
    .group_segment_fixed_size: 0
    .kernarg_segment_align: 8
    .kernarg_segment_size: 48
    .language:       OpenCL C
    .language_version:
      - 2
      - 0
    .max_flat_workgroup_size: 256
    .name:           _ZN7rocprim17ROCPRIM_400000_NS6detail17trampoline_kernelINS0_14default_configENS1_38merge_sort_block_merge_config_selectorItNS0_10empty_typeEEEZZNS1_27merge_sort_block_merge_implIS3_N6thrust23THRUST_200600_302600_NS6detail15normal_iteratorINS9_10device_ptrItEEEEPS5_jNS1_19radix_merge_compareILb0ELb0EtNS0_19identity_decomposerEEEEE10hipError_tT0_T1_T2_jT3_P12ihipStream_tbPNSt15iterator_traitsISK_E10value_typeEPNSQ_ISL_E10value_typeEPSM_NS1_7vsmem_tEENKUlT_SK_SL_SM_E_clISE_PtSF_SF_EESJ_SZ_SK_SL_SM_EUlSZ_E1_NS1_11comp_targetILNS1_3genE4ELNS1_11target_archE910ELNS1_3gpuE8ELNS1_3repE0EEENS1_36merge_oddeven_config_static_selectorELNS0_4arch9wavefront6targetE1EEEvSL_
    .private_segment_fixed_size: 0
    .sgpr_count:     6
    .sgpr_spill_count: 0
    .symbol:         _ZN7rocprim17ROCPRIM_400000_NS6detail17trampoline_kernelINS0_14default_configENS1_38merge_sort_block_merge_config_selectorItNS0_10empty_typeEEEZZNS1_27merge_sort_block_merge_implIS3_N6thrust23THRUST_200600_302600_NS6detail15normal_iteratorINS9_10device_ptrItEEEEPS5_jNS1_19radix_merge_compareILb0ELb0EtNS0_19identity_decomposerEEEEE10hipError_tT0_T1_T2_jT3_P12ihipStream_tbPNSt15iterator_traitsISK_E10value_typeEPNSQ_ISL_E10value_typeEPSM_NS1_7vsmem_tEENKUlT_SK_SL_SM_E_clISE_PtSF_SF_EESJ_SZ_SK_SL_SM_EUlSZ_E1_NS1_11comp_targetILNS1_3genE4ELNS1_11target_archE910ELNS1_3gpuE8ELNS1_3repE0EEENS1_36merge_oddeven_config_static_selectorELNS0_4arch9wavefront6targetE1EEEvSL_.kd
    .uniform_work_group_size: 1
    .uses_dynamic_stack: false
    .vgpr_count:     0
    .vgpr_spill_count: 0
    .wavefront_size: 64
  - .agpr_count:     0
    .args:
      - .offset:         0
        .size:           48
        .value_kind:     by_value
    .group_segment_fixed_size: 0
    .kernarg_segment_align: 8
    .kernarg_segment_size: 48
    .language:       OpenCL C
    .language_version:
      - 2
      - 0
    .max_flat_workgroup_size: 256
    .name:           _ZN7rocprim17ROCPRIM_400000_NS6detail17trampoline_kernelINS0_14default_configENS1_38merge_sort_block_merge_config_selectorItNS0_10empty_typeEEEZZNS1_27merge_sort_block_merge_implIS3_N6thrust23THRUST_200600_302600_NS6detail15normal_iteratorINS9_10device_ptrItEEEEPS5_jNS1_19radix_merge_compareILb0ELb0EtNS0_19identity_decomposerEEEEE10hipError_tT0_T1_T2_jT3_P12ihipStream_tbPNSt15iterator_traitsISK_E10value_typeEPNSQ_ISL_E10value_typeEPSM_NS1_7vsmem_tEENKUlT_SK_SL_SM_E_clISE_PtSF_SF_EESJ_SZ_SK_SL_SM_EUlSZ_E1_NS1_11comp_targetILNS1_3genE3ELNS1_11target_archE908ELNS1_3gpuE7ELNS1_3repE0EEENS1_36merge_oddeven_config_static_selectorELNS0_4arch9wavefront6targetE1EEEvSL_
    .private_segment_fixed_size: 0
    .sgpr_count:     6
    .sgpr_spill_count: 0
    .symbol:         _ZN7rocprim17ROCPRIM_400000_NS6detail17trampoline_kernelINS0_14default_configENS1_38merge_sort_block_merge_config_selectorItNS0_10empty_typeEEEZZNS1_27merge_sort_block_merge_implIS3_N6thrust23THRUST_200600_302600_NS6detail15normal_iteratorINS9_10device_ptrItEEEEPS5_jNS1_19radix_merge_compareILb0ELb0EtNS0_19identity_decomposerEEEEE10hipError_tT0_T1_T2_jT3_P12ihipStream_tbPNSt15iterator_traitsISK_E10value_typeEPNSQ_ISL_E10value_typeEPSM_NS1_7vsmem_tEENKUlT_SK_SL_SM_E_clISE_PtSF_SF_EESJ_SZ_SK_SL_SM_EUlSZ_E1_NS1_11comp_targetILNS1_3genE3ELNS1_11target_archE908ELNS1_3gpuE7ELNS1_3repE0EEENS1_36merge_oddeven_config_static_selectorELNS0_4arch9wavefront6targetE1EEEvSL_.kd
    .uniform_work_group_size: 1
    .uses_dynamic_stack: false
    .vgpr_count:     0
    .vgpr_spill_count: 0
    .wavefront_size: 64
  - .agpr_count:     0
    .args:
      - .offset:         0
        .size:           48
        .value_kind:     by_value
    .group_segment_fixed_size: 0
    .kernarg_segment_align: 8
    .kernarg_segment_size: 48
    .language:       OpenCL C
    .language_version:
      - 2
      - 0
    .max_flat_workgroup_size: 256
    .name:           _ZN7rocprim17ROCPRIM_400000_NS6detail17trampoline_kernelINS0_14default_configENS1_38merge_sort_block_merge_config_selectorItNS0_10empty_typeEEEZZNS1_27merge_sort_block_merge_implIS3_N6thrust23THRUST_200600_302600_NS6detail15normal_iteratorINS9_10device_ptrItEEEEPS5_jNS1_19radix_merge_compareILb0ELb0EtNS0_19identity_decomposerEEEEE10hipError_tT0_T1_T2_jT3_P12ihipStream_tbPNSt15iterator_traitsISK_E10value_typeEPNSQ_ISL_E10value_typeEPSM_NS1_7vsmem_tEENKUlT_SK_SL_SM_E_clISE_PtSF_SF_EESJ_SZ_SK_SL_SM_EUlSZ_E1_NS1_11comp_targetILNS1_3genE2ELNS1_11target_archE906ELNS1_3gpuE6ELNS1_3repE0EEENS1_36merge_oddeven_config_static_selectorELNS0_4arch9wavefront6targetE1EEEvSL_
    .private_segment_fixed_size: 0
    .sgpr_count:     6
    .sgpr_spill_count: 0
    .symbol:         _ZN7rocprim17ROCPRIM_400000_NS6detail17trampoline_kernelINS0_14default_configENS1_38merge_sort_block_merge_config_selectorItNS0_10empty_typeEEEZZNS1_27merge_sort_block_merge_implIS3_N6thrust23THRUST_200600_302600_NS6detail15normal_iteratorINS9_10device_ptrItEEEEPS5_jNS1_19radix_merge_compareILb0ELb0EtNS0_19identity_decomposerEEEEE10hipError_tT0_T1_T2_jT3_P12ihipStream_tbPNSt15iterator_traitsISK_E10value_typeEPNSQ_ISL_E10value_typeEPSM_NS1_7vsmem_tEENKUlT_SK_SL_SM_E_clISE_PtSF_SF_EESJ_SZ_SK_SL_SM_EUlSZ_E1_NS1_11comp_targetILNS1_3genE2ELNS1_11target_archE906ELNS1_3gpuE6ELNS1_3repE0EEENS1_36merge_oddeven_config_static_selectorELNS0_4arch9wavefront6targetE1EEEvSL_.kd
    .uniform_work_group_size: 1
    .uses_dynamic_stack: false
    .vgpr_count:     0
    .vgpr_spill_count: 0
    .wavefront_size: 64
  - .agpr_count:     0
    .args:
      - .offset:         0
        .size:           48
        .value_kind:     by_value
    .group_segment_fixed_size: 0
    .kernarg_segment_align: 8
    .kernarg_segment_size: 48
    .language:       OpenCL C
    .language_version:
      - 2
      - 0
    .max_flat_workgroup_size: 256
    .name:           _ZN7rocprim17ROCPRIM_400000_NS6detail17trampoline_kernelINS0_14default_configENS1_38merge_sort_block_merge_config_selectorItNS0_10empty_typeEEEZZNS1_27merge_sort_block_merge_implIS3_N6thrust23THRUST_200600_302600_NS6detail15normal_iteratorINS9_10device_ptrItEEEEPS5_jNS1_19radix_merge_compareILb0ELb0EtNS0_19identity_decomposerEEEEE10hipError_tT0_T1_T2_jT3_P12ihipStream_tbPNSt15iterator_traitsISK_E10value_typeEPNSQ_ISL_E10value_typeEPSM_NS1_7vsmem_tEENKUlT_SK_SL_SM_E_clISE_PtSF_SF_EESJ_SZ_SK_SL_SM_EUlSZ_E1_NS1_11comp_targetILNS1_3genE9ELNS1_11target_archE1100ELNS1_3gpuE3ELNS1_3repE0EEENS1_36merge_oddeven_config_static_selectorELNS0_4arch9wavefront6targetE1EEEvSL_
    .private_segment_fixed_size: 0
    .sgpr_count:     6
    .sgpr_spill_count: 0
    .symbol:         _ZN7rocprim17ROCPRIM_400000_NS6detail17trampoline_kernelINS0_14default_configENS1_38merge_sort_block_merge_config_selectorItNS0_10empty_typeEEEZZNS1_27merge_sort_block_merge_implIS3_N6thrust23THRUST_200600_302600_NS6detail15normal_iteratorINS9_10device_ptrItEEEEPS5_jNS1_19radix_merge_compareILb0ELb0EtNS0_19identity_decomposerEEEEE10hipError_tT0_T1_T2_jT3_P12ihipStream_tbPNSt15iterator_traitsISK_E10value_typeEPNSQ_ISL_E10value_typeEPSM_NS1_7vsmem_tEENKUlT_SK_SL_SM_E_clISE_PtSF_SF_EESJ_SZ_SK_SL_SM_EUlSZ_E1_NS1_11comp_targetILNS1_3genE9ELNS1_11target_archE1100ELNS1_3gpuE3ELNS1_3repE0EEENS1_36merge_oddeven_config_static_selectorELNS0_4arch9wavefront6targetE1EEEvSL_.kd
    .uniform_work_group_size: 1
    .uses_dynamic_stack: false
    .vgpr_count:     0
    .vgpr_spill_count: 0
    .wavefront_size: 64
  - .agpr_count:     0
    .args:
      - .offset:         0
        .size:           48
        .value_kind:     by_value
    .group_segment_fixed_size: 0
    .kernarg_segment_align: 8
    .kernarg_segment_size: 48
    .language:       OpenCL C
    .language_version:
      - 2
      - 0
    .max_flat_workgroup_size: 256
    .name:           _ZN7rocprim17ROCPRIM_400000_NS6detail17trampoline_kernelINS0_14default_configENS1_38merge_sort_block_merge_config_selectorItNS0_10empty_typeEEEZZNS1_27merge_sort_block_merge_implIS3_N6thrust23THRUST_200600_302600_NS6detail15normal_iteratorINS9_10device_ptrItEEEEPS5_jNS1_19radix_merge_compareILb0ELb0EtNS0_19identity_decomposerEEEEE10hipError_tT0_T1_T2_jT3_P12ihipStream_tbPNSt15iterator_traitsISK_E10value_typeEPNSQ_ISL_E10value_typeEPSM_NS1_7vsmem_tEENKUlT_SK_SL_SM_E_clISE_PtSF_SF_EESJ_SZ_SK_SL_SM_EUlSZ_E1_NS1_11comp_targetILNS1_3genE8ELNS1_11target_archE1030ELNS1_3gpuE2ELNS1_3repE0EEENS1_36merge_oddeven_config_static_selectorELNS0_4arch9wavefront6targetE1EEEvSL_
    .private_segment_fixed_size: 0
    .sgpr_count:     6
    .sgpr_spill_count: 0
    .symbol:         _ZN7rocprim17ROCPRIM_400000_NS6detail17trampoline_kernelINS0_14default_configENS1_38merge_sort_block_merge_config_selectorItNS0_10empty_typeEEEZZNS1_27merge_sort_block_merge_implIS3_N6thrust23THRUST_200600_302600_NS6detail15normal_iteratorINS9_10device_ptrItEEEEPS5_jNS1_19radix_merge_compareILb0ELb0EtNS0_19identity_decomposerEEEEE10hipError_tT0_T1_T2_jT3_P12ihipStream_tbPNSt15iterator_traitsISK_E10value_typeEPNSQ_ISL_E10value_typeEPSM_NS1_7vsmem_tEENKUlT_SK_SL_SM_E_clISE_PtSF_SF_EESJ_SZ_SK_SL_SM_EUlSZ_E1_NS1_11comp_targetILNS1_3genE8ELNS1_11target_archE1030ELNS1_3gpuE2ELNS1_3repE0EEENS1_36merge_oddeven_config_static_selectorELNS0_4arch9wavefront6targetE1EEEvSL_.kd
    .uniform_work_group_size: 1
    .uses_dynamic_stack: false
    .vgpr_count:     0
    .vgpr_spill_count: 0
    .wavefront_size: 64
  - .agpr_count:     0
    .args:
      - .offset:         0
        .size:           40
        .value_kind:     by_value
    .group_segment_fixed_size: 0
    .kernarg_segment_align: 8
    .kernarg_segment_size: 40
    .language:       OpenCL C
    .language_version:
      - 2
      - 0
    .max_flat_workgroup_size: 128
    .name:           _ZN7rocprim17ROCPRIM_400000_NS6detail17trampoline_kernelINS0_14default_configENS1_25transform_config_selectorItLb0EEEZNS1_14transform_implILb0ES3_S5_PtN6thrust23THRUST_200600_302600_NS6detail15normal_iteratorINS9_10device_ptrItEEEENS0_8identityItEEEE10hipError_tT2_T3_mT4_P12ihipStream_tbEUlT_E_NS1_11comp_targetILNS1_3genE0ELNS1_11target_archE4294967295ELNS1_3gpuE0ELNS1_3repE0EEENS1_30default_config_static_selectorELNS0_4arch9wavefront6targetE1EEEvT1_
    .private_segment_fixed_size: 0
    .sgpr_count:     6
    .sgpr_spill_count: 0
    .symbol:         _ZN7rocprim17ROCPRIM_400000_NS6detail17trampoline_kernelINS0_14default_configENS1_25transform_config_selectorItLb0EEEZNS1_14transform_implILb0ES3_S5_PtN6thrust23THRUST_200600_302600_NS6detail15normal_iteratorINS9_10device_ptrItEEEENS0_8identityItEEEE10hipError_tT2_T3_mT4_P12ihipStream_tbEUlT_E_NS1_11comp_targetILNS1_3genE0ELNS1_11target_archE4294967295ELNS1_3gpuE0ELNS1_3repE0EEENS1_30default_config_static_selectorELNS0_4arch9wavefront6targetE1EEEvT1_.kd
    .uniform_work_group_size: 1
    .uses_dynamic_stack: false
    .vgpr_count:     0
    .vgpr_spill_count: 0
    .wavefront_size: 64
  - .agpr_count:     0
    .args:
      - .offset:         0
        .size:           40
        .value_kind:     by_value
      - .offset:         40
        .size:           4
        .value_kind:     hidden_block_count_x
      - .offset:         44
        .size:           4
        .value_kind:     hidden_block_count_y
      - .offset:         48
        .size:           4
        .value_kind:     hidden_block_count_z
      - .offset:         52
        .size:           2
        .value_kind:     hidden_group_size_x
      - .offset:         54
        .size:           2
        .value_kind:     hidden_group_size_y
      - .offset:         56
        .size:           2
        .value_kind:     hidden_group_size_z
      - .offset:         58
        .size:           2
        .value_kind:     hidden_remainder_x
      - .offset:         60
        .size:           2
        .value_kind:     hidden_remainder_y
      - .offset:         62
        .size:           2
        .value_kind:     hidden_remainder_z
      - .offset:         80
        .size:           8
        .value_kind:     hidden_global_offset_x
      - .offset:         88
        .size:           8
        .value_kind:     hidden_global_offset_y
      - .offset:         96
        .size:           8
        .value_kind:     hidden_global_offset_z
      - .offset:         104
        .size:           2
        .value_kind:     hidden_grid_dims
    .group_segment_fixed_size: 0
    .kernarg_segment_align: 8
    .kernarg_segment_size: 296
    .language:       OpenCL C
    .language_version:
      - 2
      - 0
    .max_flat_workgroup_size: 256
    .name:           _ZN7rocprim17ROCPRIM_400000_NS6detail17trampoline_kernelINS0_14default_configENS1_25transform_config_selectorItLb0EEEZNS1_14transform_implILb0ES3_S5_PtN6thrust23THRUST_200600_302600_NS6detail15normal_iteratorINS9_10device_ptrItEEEENS0_8identityItEEEE10hipError_tT2_T3_mT4_P12ihipStream_tbEUlT_E_NS1_11comp_targetILNS1_3genE5ELNS1_11target_archE942ELNS1_3gpuE9ELNS1_3repE0EEENS1_30default_config_static_selectorELNS0_4arch9wavefront6targetE1EEEvT1_
    .private_segment_fixed_size: 0
    .sgpr_count:     32
    .sgpr_spill_count: 0
    .symbol:         _ZN7rocprim17ROCPRIM_400000_NS6detail17trampoline_kernelINS0_14default_configENS1_25transform_config_selectorItLb0EEEZNS1_14transform_implILb0ES3_S5_PtN6thrust23THRUST_200600_302600_NS6detail15normal_iteratorINS9_10device_ptrItEEEENS0_8identityItEEEE10hipError_tT2_T3_mT4_P12ihipStream_tbEUlT_E_NS1_11comp_targetILNS1_3genE5ELNS1_11target_archE942ELNS1_3gpuE9ELNS1_3repE0EEENS1_30default_config_static_selectorELNS0_4arch9wavefront6targetE1EEEvT1_.kd
    .uniform_work_group_size: 1
    .uses_dynamic_stack: false
    .vgpr_count:     13
    .vgpr_spill_count: 0
    .wavefront_size: 64
  - .agpr_count:     0
    .args:
      - .offset:         0
        .size:           40
        .value_kind:     by_value
    .group_segment_fixed_size: 0
    .kernarg_segment_align: 8
    .kernarg_segment_size: 40
    .language:       OpenCL C
    .language_version:
      - 2
      - 0
    .max_flat_workgroup_size: 64
    .name:           _ZN7rocprim17ROCPRIM_400000_NS6detail17trampoline_kernelINS0_14default_configENS1_25transform_config_selectorItLb0EEEZNS1_14transform_implILb0ES3_S5_PtN6thrust23THRUST_200600_302600_NS6detail15normal_iteratorINS9_10device_ptrItEEEENS0_8identityItEEEE10hipError_tT2_T3_mT4_P12ihipStream_tbEUlT_E_NS1_11comp_targetILNS1_3genE4ELNS1_11target_archE910ELNS1_3gpuE8ELNS1_3repE0EEENS1_30default_config_static_selectorELNS0_4arch9wavefront6targetE1EEEvT1_
    .private_segment_fixed_size: 0
    .sgpr_count:     6
    .sgpr_spill_count: 0
    .symbol:         _ZN7rocprim17ROCPRIM_400000_NS6detail17trampoline_kernelINS0_14default_configENS1_25transform_config_selectorItLb0EEEZNS1_14transform_implILb0ES3_S5_PtN6thrust23THRUST_200600_302600_NS6detail15normal_iteratorINS9_10device_ptrItEEEENS0_8identityItEEEE10hipError_tT2_T3_mT4_P12ihipStream_tbEUlT_E_NS1_11comp_targetILNS1_3genE4ELNS1_11target_archE910ELNS1_3gpuE8ELNS1_3repE0EEENS1_30default_config_static_selectorELNS0_4arch9wavefront6targetE1EEEvT1_.kd
    .uniform_work_group_size: 1
    .uses_dynamic_stack: false
    .vgpr_count:     0
    .vgpr_spill_count: 0
    .wavefront_size: 64
  - .agpr_count:     0
    .args:
      - .offset:         0
        .size:           40
        .value_kind:     by_value
    .group_segment_fixed_size: 0
    .kernarg_segment_align: 8
    .kernarg_segment_size: 40
    .language:       OpenCL C
    .language_version:
      - 2
      - 0
    .max_flat_workgroup_size: 128
    .name:           _ZN7rocprim17ROCPRIM_400000_NS6detail17trampoline_kernelINS0_14default_configENS1_25transform_config_selectorItLb0EEEZNS1_14transform_implILb0ES3_S5_PtN6thrust23THRUST_200600_302600_NS6detail15normal_iteratorINS9_10device_ptrItEEEENS0_8identityItEEEE10hipError_tT2_T3_mT4_P12ihipStream_tbEUlT_E_NS1_11comp_targetILNS1_3genE3ELNS1_11target_archE908ELNS1_3gpuE7ELNS1_3repE0EEENS1_30default_config_static_selectorELNS0_4arch9wavefront6targetE1EEEvT1_
    .private_segment_fixed_size: 0
    .sgpr_count:     6
    .sgpr_spill_count: 0
    .symbol:         _ZN7rocprim17ROCPRIM_400000_NS6detail17trampoline_kernelINS0_14default_configENS1_25transform_config_selectorItLb0EEEZNS1_14transform_implILb0ES3_S5_PtN6thrust23THRUST_200600_302600_NS6detail15normal_iteratorINS9_10device_ptrItEEEENS0_8identityItEEEE10hipError_tT2_T3_mT4_P12ihipStream_tbEUlT_E_NS1_11comp_targetILNS1_3genE3ELNS1_11target_archE908ELNS1_3gpuE7ELNS1_3repE0EEENS1_30default_config_static_selectorELNS0_4arch9wavefront6targetE1EEEvT1_.kd
    .uniform_work_group_size: 1
    .uses_dynamic_stack: false
    .vgpr_count:     0
    .vgpr_spill_count: 0
    .wavefront_size: 64
  - .agpr_count:     0
    .args:
      - .offset:         0
        .size:           40
        .value_kind:     by_value
    .group_segment_fixed_size: 0
    .kernarg_segment_align: 8
    .kernarg_segment_size: 40
    .language:       OpenCL C
    .language_version:
      - 2
      - 0
    .max_flat_workgroup_size: 512
    .name:           _ZN7rocprim17ROCPRIM_400000_NS6detail17trampoline_kernelINS0_14default_configENS1_25transform_config_selectorItLb0EEEZNS1_14transform_implILb0ES3_S5_PtN6thrust23THRUST_200600_302600_NS6detail15normal_iteratorINS9_10device_ptrItEEEENS0_8identityItEEEE10hipError_tT2_T3_mT4_P12ihipStream_tbEUlT_E_NS1_11comp_targetILNS1_3genE2ELNS1_11target_archE906ELNS1_3gpuE6ELNS1_3repE0EEENS1_30default_config_static_selectorELNS0_4arch9wavefront6targetE1EEEvT1_
    .private_segment_fixed_size: 0
    .sgpr_count:     6
    .sgpr_spill_count: 0
    .symbol:         _ZN7rocprim17ROCPRIM_400000_NS6detail17trampoline_kernelINS0_14default_configENS1_25transform_config_selectorItLb0EEEZNS1_14transform_implILb0ES3_S5_PtN6thrust23THRUST_200600_302600_NS6detail15normal_iteratorINS9_10device_ptrItEEEENS0_8identityItEEEE10hipError_tT2_T3_mT4_P12ihipStream_tbEUlT_E_NS1_11comp_targetILNS1_3genE2ELNS1_11target_archE906ELNS1_3gpuE6ELNS1_3repE0EEENS1_30default_config_static_selectorELNS0_4arch9wavefront6targetE1EEEvT1_.kd
    .uniform_work_group_size: 1
    .uses_dynamic_stack: false
    .vgpr_count:     0
    .vgpr_spill_count: 0
    .wavefront_size: 64
  - .agpr_count:     0
    .args:
      - .offset:         0
        .size:           40
        .value_kind:     by_value
    .group_segment_fixed_size: 0
    .kernarg_segment_align: 8
    .kernarg_segment_size: 40
    .language:       OpenCL C
    .language_version:
      - 2
      - 0
    .max_flat_workgroup_size: 1024
    .name:           _ZN7rocprim17ROCPRIM_400000_NS6detail17trampoline_kernelINS0_14default_configENS1_25transform_config_selectorItLb0EEEZNS1_14transform_implILb0ES3_S5_PtN6thrust23THRUST_200600_302600_NS6detail15normal_iteratorINS9_10device_ptrItEEEENS0_8identityItEEEE10hipError_tT2_T3_mT4_P12ihipStream_tbEUlT_E_NS1_11comp_targetILNS1_3genE10ELNS1_11target_archE1201ELNS1_3gpuE5ELNS1_3repE0EEENS1_30default_config_static_selectorELNS0_4arch9wavefront6targetE1EEEvT1_
    .private_segment_fixed_size: 0
    .sgpr_count:     6
    .sgpr_spill_count: 0
    .symbol:         _ZN7rocprim17ROCPRIM_400000_NS6detail17trampoline_kernelINS0_14default_configENS1_25transform_config_selectorItLb0EEEZNS1_14transform_implILb0ES3_S5_PtN6thrust23THRUST_200600_302600_NS6detail15normal_iteratorINS9_10device_ptrItEEEENS0_8identityItEEEE10hipError_tT2_T3_mT4_P12ihipStream_tbEUlT_E_NS1_11comp_targetILNS1_3genE10ELNS1_11target_archE1201ELNS1_3gpuE5ELNS1_3repE0EEENS1_30default_config_static_selectorELNS0_4arch9wavefront6targetE1EEEvT1_.kd
    .uniform_work_group_size: 1
    .uses_dynamic_stack: false
    .vgpr_count:     0
    .vgpr_spill_count: 0
    .wavefront_size: 64
  - .agpr_count:     0
    .args:
      - .offset:         0
        .size:           40
        .value_kind:     by_value
    .group_segment_fixed_size: 0
    .kernarg_segment_align: 8
    .kernarg_segment_size: 40
    .language:       OpenCL C
    .language_version:
      - 2
      - 0
    .max_flat_workgroup_size: 512
    .name:           _ZN7rocprim17ROCPRIM_400000_NS6detail17trampoline_kernelINS0_14default_configENS1_25transform_config_selectorItLb0EEEZNS1_14transform_implILb0ES3_S5_PtN6thrust23THRUST_200600_302600_NS6detail15normal_iteratorINS9_10device_ptrItEEEENS0_8identityItEEEE10hipError_tT2_T3_mT4_P12ihipStream_tbEUlT_E_NS1_11comp_targetILNS1_3genE10ELNS1_11target_archE1200ELNS1_3gpuE4ELNS1_3repE0EEENS1_30default_config_static_selectorELNS0_4arch9wavefront6targetE1EEEvT1_
    .private_segment_fixed_size: 0
    .sgpr_count:     6
    .sgpr_spill_count: 0
    .symbol:         _ZN7rocprim17ROCPRIM_400000_NS6detail17trampoline_kernelINS0_14default_configENS1_25transform_config_selectorItLb0EEEZNS1_14transform_implILb0ES3_S5_PtN6thrust23THRUST_200600_302600_NS6detail15normal_iteratorINS9_10device_ptrItEEEENS0_8identityItEEEE10hipError_tT2_T3_mT4_P12ihipStream_tbEUlT_E_NS1_11comp_targetILNS1_3genE10ELNS1_11target_archE1200ELNS1_3gpuE4ELNS1_3repE0EEENS1_30default_config_static_selectorELNS0_4arch9wavefront6targetE1EEEvT1_.kd
    .uniform_work_group_size: 1
    .uses_dynamic_stack: false
    .vgpr_count:     0
    .vgpr_spill_count: 0
    .wavefront_size: 64
  - .agpr_count:     0
    .args:
      - .offset:         0
        .size:           40
        .value_kind:     by_value
    .group_segment_fixed_size: 0
    .kernarg_segment_align: 8
    .kernarg_segment_size: 40
    .language:       OpenCL C
    .language_version:
      - 2
      - 0
    .max_flat_workgroup_size: 1024
    .name:           _ZN7rocprim17ROCPRIM_400000_NS6detail17trampoline_kernelINS0_14default_configENS1_25transform_config_selectorItLb0EEEZNS1_14transform_implILb0ES3_S5_PtN6thrust23THRUST_200600_302600_NS6detail15normal_iteratorINS9_10device_ptrItEEEENS0_8identityItEEEE10hipError_tT2_T3_mT4_P12ihipStream_tbEUlT_E_NS1_11comp_targetILNS1_3genE9ELNS1_11target_archE1100ELNS1_3gpuE3ELNS1_3repE0EEENS1_30default_config_static_selectorELNS0_4arch9wavefront6targetE1EEEvT1_
    .private_segment_fixed_size: 0
    .sgpr_count:     6
    .sgpr_spill_count: 0
    .symbol:         _ZN7rocprim17ROCPRIM_400000_NS6detail17trampoline_kernelINS0_14default_configENS1_25transform_config_selectorItLb0EEEZNS1_14transform_implILb0ES3_S5_PtN6thrust23THRUST_200600_302600_NS6detail15normal_iteratorINS9_10device_ptrItEEEENS0_8identityItEEEE10hipError_tT2_T3_mT4_P12ihipStream_tbEUlT_E_NS1_11comp_targetILNS1_3genE9ELNS1_11target_archE1100ELNS1_3gpuE3ELNS1_3repE0EEENS1_30default_config_static_selectorELNS0_4arch9wavefront6targetE1EEEvT1_.kd
    .uniform_work_group_size: 1
    .uses_dynamic_stack: false
    .vgpr_count:     0
    .vgpr_spill_count: 0
    .wavefront_size: 64
  - .agpr_count:     0
    .args:
      - .offset:         0
        .size:           40
        .value_kind:     by_value
    .group_segment_fixed_size: 0
    .kernarg_segment_align: 8
    .kernarg_segment_size: 40
    .language:       OpenCL C
    .language_version:
      - 2
      - 0
    .max_flat_workgroup_size: 1024
    .name:           _ZN7rocprim17ROCPRIM_400000_NS6detail17trampoline_kernelINS0_14default_configENS1_25transform_config_selectorItLb0EEEZNS1_14transform_implILb0ES3_S5_PtN6thrust23THRUST_200600_302600_NS6detail15normal_iteratorINS9_10device_ptrItEEEENS0_8identityItEEEE10hipError_tT2_T3_mT4_P12ihipStream_tbEUlT_E_NS1_11comp_targetILNS1_3genE8ELNS1_11target_archE1030ELNS1_3gpuE2ELNS1_3repE0EEENS1_30default_config_static_selectorELNS0_4arch9wavefront6targetE1EEEvT1_
    .private_segment_fixed_size: 0
    .sgpr_count:     6
    .sgpr_spill_count: 0
    .symbol:         _ZN7rocprim17ROCPRIM_400000_NS6detail17trampoline_kernelINS0_14default_configENS1_25transform_config_selectorItLb0EEEZNS1_14transform_implILb0ES3_S5_PtN6thrust23THRUST_200600_302600_NS6detail15normal_iteratorINS9_10device_ptrItEEEENS0_8identityItEEEE10hipError_tT2_T3_mT4_P12ihipStream_tbEUlT_E_NS1_11comp_targetILNS1_3genE8ELNS1_11target_archE1030ELNS1_3gpuE2ELNS1_3repE0EEENS1_30default_config_static_selectorELNS0_4arch9wavefront6targetE1EEEvT1_.kd
    .uniform_work_group_size: 1
    .uses_dynamic_stack: false
    .vgpr_count:     0
    .vgpr_spill_count: 0
    .wavefront_size: 64
  - .agpr_count:     0
    .args:
      - .offset:         0
        .size:           40
        .value_kind:     by_value
    .group_segment_fixed_size: 0
    .kernarg_segment_align: 8
    .kernarg_segment_size: 40
    .language:       OpenCL C
    .language_version:
      - 2
      - 0
    .max_flat_workgroup_size: 128
    .name:           _ZN7rocprim17ROCPRIM_400000_NS6detail17trampoline_kernelINS0_14default_configENS1_38merge_sort_block_merge_config_selectorItNS0_10empty_typeEEEZZNS1_27merge_sort_block_merge_implIS3_N6thrust23THRUST_200600_302600_NS6detail15normal_iteratorINS9_10device_ptrItEEEEPS5_jNS1_19radix_merge_compareILb0ELb1EtNS0_19identity_decomposerEEEEE10hipError_tT0_T1_T2_jT3_P12ihipStream_tbPNSt15iterator_traitsISK_E10value_typeEPNSQ_ISL_E10value_typeEPSM_NS1_7vsmem_tEENKUlT_SK_SL_SM_E_clIPtSE_SF_SF_EESJ_SZ_SK_SL_SM_EUlSZ_E_NS1_11comp_targetILNS1_3genE0ELNS1_11target_archE4294967295ELNS1_3gpuE0ELNS1_3repE0EEENS1_48merge_mergepath_partition_config_static_selectorELNS0_4arch9wavefront6targetE1EEEvSL_
    .private_segment_fixed_size: 0
    .sgpr_count:     6
    .sgpr_spill_count: 0
    .symbol:         _ZN7rocprim17ROCPRIM_400000_NS6detail17trampoline_kernelINS0_14default_configENS1_38merge_sort_block_merge_config_selectorItNS0_10empty_typeEEEZZNS1_27merge_sort_block_merge_implIS3_N6thrust23THRUST_200600_302600_NS6detail15normal_iteratorINS9_10device_ptrItEEEEPS5_jNS1_19radix_merge_compareILb0ELb1EtNS0_19identity_decomposerEEEEE10hipError_tT0_T1_T2_jT3_P12ihipStream_tbPNSt15iterator_traitsISK_E10value_typeEPNSQ_ISL_E10value_typeEPSM_NS1_7vsmem_tEENKUlT_SK_SL_SM_E_clIPtSE_SF_SF_EESJ_SZ_SK_SL_SM_EUlSZ_E_NS1_11comp_targetILNS1_3genE0ELNS1_11target_archE4294967295ELNS1_3gpuE0ELNS1_3repE0EEENS1_48merge_mergepath_partition_config_static_selectorELNS0_4arch9wavefront6targetE1EEEvSL_.kd
    .uniform_work_group_size: 1
    .uses_dynamic_stack: false
    .vgpr_count:     0
    .vgpr_spill_count: 0
    .wavefront_size: 64
  - .agpr_count:     0
    .args:
      - .offset:         0
        .size:           40
        .value_kind:     by_value
    .group_segment_fixed_size: 0
    .kernarg_segment_align: 8
    .kernarg_segment_size: 40
    .language:       OpenCL C
    .language_version:
      - 2
      - 0
    .max_flat_workgroup_size: 128
    .name:           _ZN7rocprim17ROCPRIM_400000_NS6detail17trampoline_kernelINS0_14default_configENS1_38merge_sort_block_merge_config_selectorItNS0_10empty_typeEEEZZNS1_27merge_sort_block_merge_implIS3_N6thrust23THRUST_200600_302600_NS6detail15normal_iteratorINS9_10device_ptrItEEEEPS5_jNS1_19radix_merge_compareILb0ELb1EtNS0_19identity_decomposerEEEEE10hipError_tT0_T1_T2_jT3_P12ihipStream_tbPNSt15iterator_traitsISK_E10value_typeEPNSQ_ISL_E10value_typeEPSM_NS1_7vsmem_tEENKUlT_SK_SL_SM_E_clIPtSE_SF_SF_EESJ_SZ_SK_SL_SM_EUlSZ_E_NS1_11comp_targetILNS1_3genE10ELNS1_11target_archE1201ELNS1_3gpuE5ELNS1_3repE0EEENS1_48merge_mergepath_partition_config_static_selectorELNS0_4arch9wavefront6targetE1EEEvSL_
    .private_segment_fixed_size: 0
    .sgpr_count:     6
    .sgpr_spill_count: 0
    .symbol:         _ZN7rocprim17ROCPRIM_400000_NS6detail17trampoline_kernelINS0_14default_configENS1_38merge_sort_block_merge_config_selectorItNS0_10empty_typeEEEZZNS1_27merge_sort_block_merge_implIS3_N6thrust23THRUST_200600_302600_NS6detail15normal_iteratorINS9_10device_ptrItEEEEPS5_jNS1_19radix_merge_compareILb0ELb1EtNS0_19identity_decomposerEEEEE10hipError_tT0_T1_T2_jT3_P12ihipStream_tbPNSt15iterator_traitsISK_E10value_typeEPNSQ_ISL_E10value_typeEPSM_NS1_7vsmem_tEENKUlT_SK_SL_SM_E_clIPtSE_SF_SF_EESJ_SZ_SK_SL_SM_EUlSZ_E_NS1_11comp_targetILNS1_3genE10ELNS1_11target_archE1201ELNS1_3gpuE5ELNS1_3repE0EEENS1_48merge_mergepath_partition_config_static_selectorELNS0_4arch9wavefront6targetE1EEEvSL_.kd
    .uniform_work_group_size: 1
    .uses_dynamic_stack: false
    .vgpr_count:     0
    .vgpr_spill_count: 0
    .wavefront_size: 64
  - .agpr_count:     0
    .args:
      - .offset:         0
        .size:           40
        .value_kind:     by_value
    .group_segment_fixed_size: 0
    .kernarg_segment_align: 8
    .kernarg_segment_size: 40
    .language:       OpenCL C
    .language_version:
      - 2
      - 0
    .max_flat_workgroup_size: 128
    .name:           _ZN7rocprim17ROCPRIM_400000_NS6detail17trampoline_kernelINS0_14default_configENS1_38merge_sort_block_merge_config_selectorItNS0_10empty_typeEEEZZNS1_27merge_sort_block_merge_implIS3_N6thrust23THRUST_200600_302600_NS6detail15normal_iteratorINS9_10device_ptrItEEEEPS5_jNS1_19radix_merge_compareILb0ELb1EtNS0_19identity_decomposerEEEEE10hipError_tT0_T1_T2_jT3_P12ihipStream_tbPNSt15iterator_traitsISK_E10value_typeEPNSQ_ISL_E10value_typeEPSM_NS1_7vsmem_tEENKUlT_SK_SL_SM_E_clIPtSE_SF_SF_EESJ_SZ_SK_SL_SM_EUlSZ_E_NS1_11comp_targetILNS1_3genE5ELNS1_11target_archE942ELNS1_3gpuE9ELNS1_3repE0EEENS1_48merge_mergepath_partition_config_static_selectorELNS0_4arch9wavefront6targetE1EEEvSL_
    .private_segment_fixed_size: 0
    .sgpr_count:     16
    .sgpr_spill_count: 0
    .symbol:         _ZN7rocprim17ROCPRIM_400000_NS6detail17trampoline_kernelINS0_14default_configENS1_38merge_sort_block_merge_config_selectorItNS0_10empty_typeEEEZZNS1_27merge_sort_block_merge_implIS3_N6thrust23THRUST_200600_302600_NS6detail15normal_iteratorINS9_10device_ptrItEEEEPS5_jNS1_19radix_merge_compareILb0ELb1EtNS0_19identity_decomposerEEEEE10hipError_tT0_T1_T2_jT3_P12ihipStream_tbPNSt15iterator_traitsISK_E10value_typeEPNSQ_ISL_E10value_typeEPSM_NS1_7vsmem_tEENKUlT_SK_SL_SM_E_clIPtSE_SF_SF_EESJ_SZ_SK_SL_SM_EUlSZ_E_NS1_11comp_targetILNS1_3genE5ELNS1_11target_archE942ELNS1_3gpuE9ELNS1_3repE0EEENS1_48merge_mergepath_partition_config_static_selectorELNS0_4arch9wavefront6targetE1EEEvSL_.kd
    .uniform_work_group_size: 1
    .uses_dynamic_stack: false
    .vgpr_count:     17
    .vgpr_spill_count: 0
    .wavefront_size: 64
  - .agpr_count:     0
    .args:
      - .offset:         0
        .size:           40
        .value_kind:     by_value
    .group_segment_fixed_size: 0
    .kernarg_segment_align: 8
    .kernarg_segment_size: 40
    .language:       OpenCL C
    .language_version:
      - 2
      - 0
    .max_flat_workgroup_size: 128
    .name:           _ZN7rocprim17ROCPRIM_400000_NS6detail17trampoline_kernelINS0_14default_configENS1_38merge_sort_block_merge_config_selectorItNS0_10empty_typeEEEZZNS1_27merge_sort_block_merge_implIS3_N6thrust23THRUST_200600_302600_NS6detail15normal_iteratorINS9_10device_ptrItEEEEPS5_jNS1_19radix_merge_compareILb0ELb1EtNS0_19identity_decomposerEEEEE10hipError_tT0_T1_T2_jT3_P12ihipStream_tbPNSt15iterator_traitsISK_E10value_typeEPNSQ_ISL_E10value_typeEPSM_NS1_7vsmem_tEENKUlT_SK_SL_SM_E_clIPtSE_SF_SF_EESJ_SZ_SK_SL_SM_EUlSZ_E_NS1_11comp_targetILNS1_3genE4ELNS1_11target_archE910ELNS1_3gpuE8ELNS1_3repE0EEENS1_48merge_mergepath_partition_config_static_selectorELNS0_4arch9wavefront6targetE1EEEvSL_
    .private_segment_fixed_size: 0
    .sgpr_count:     6
    .sgpr_spill_count: 0
    .symbol:         _ZN7rocprim17ROCPRIM_400000_NS6detail17trampoline_kernelINS0_14default_configENS1_38merge_sort_block_merge_config_selectorItNS0_10empty_typeEEEZZNS1_27merge_sort_block_merge_implIS3_N6thrust23THRUST_200600_302600_NS6detail15normal_iteratorINS9_10device_ptrItEEEEPS5_jNS1_19radix_merge_compareILb0ELb1EtNS0_19identity_decomposerEEEEE10hipError_tT0_T1_T2_jT3_P12ihipStream_tbPNSt15iterator_traitsISK_E10value_typeEPNSQ_ISL_E10value_typeEPSM_NS1_7vsmem_tEENKUlT_SK_SL_SM_E_clIPtSE_SF_SF_EESJ_SZ_SK_SL_SM_EUlSZ_E_NS1_11comp_targetILNS1_3genE4ELNS1_11target_archE910ELNS1_3gpuE8ELNS1_3repE0EEENS1_48merge_mergepath_partition_config_static_selectorELNS0_4arch9wavefront6targetE1EEEvSL_.kd
    .uniform_work_group_size: 1
    .uses_dynamic_stack: false
    .vgpr_count:     0
    .vgpr_spill_count: 0
    .wavefront_size: 64
  - .agpr_count:     0
    .args:
      - .offset:         0
        .size:           40
        .value_kind:     by_value
    .group_segment_fixed_size: 0
    .kernarg_segment_align: 8
    .kernarg_segment_size: 40
    .language:       OpenCL C
    .language_version:
      - 2
      - 0
    .max_flat_workgroup_size: 128
    .name:           _ZN7rocprim17ROCPRIM_400000_NS6detail17trampoline_kernelINS0_14default_configENS1_38merge_sort_block_merge_config_selectorItNS0_10empty_typeEEEZZNS1_27merge_sort_block_merge_implIS3_N6thrust23THRUST_200600_302600_NS6detail15normal_iteratorINS9_10device_ptrItEEEEPS5_jNS1_19radix_merge_compareILb0ELb1EtNS0_19identity_decomposerEEEEE10hipError_tT0_T1_T2_jT3_P12ihipStream_tbPNSt15iterator_traitsISK_E10value_typeEPNSQ_ISL_E10value_typeEPSM_NS1_7vsmem_tEENKUlT_SK_SL_SM_E_clIPtSE_SF_SF_EESJ_SZ_SK_SL_SM_EUlSZ_E_NS1_11comp_targetILNS1_3genE3ELNS1_11target_archE908ELNS1_3gpuE7ELNS1_3repE0EEENS1_48merge_mergepath_partition_config_static_selectorELNS0_4arch9wavefront6targetE1EEEvSL_
    .private_segment_fixed_size: 0
    .sgpr_count:     6
    .sgpr_spill_count: 0
    .symbol:         _ZN7rocprim17ROCPRIM_400000_NS6detail17trampoline_kernelINS0_14default_configENS1_38merge_sort_block_merge_config_selectorItNS0_10empty_typeEEEZZNS1_27merge_sort_block_merge_implIS3_N6thrust23THRUST_200600_302600_NS6detail15normal_iteratorINS9_10device_ptrItEEEEPS5_jNS1_19radix_merge_compareILb0ELb1EtNS0_19identity_decomposerEEEEE10hipError_tT0_T1_T2_jT3_P12ihipStream_tbPNSt15iterator_traitsISK_E10value_typeEPNSQ_ISL_E10value_typeEPSM_NS1_7vsmem_tEENKUlT_SK_SL_SM_E_clIPtSE_SF_SF_EESJ_SZ_SK_SL_SM_EUlSZ_E_NS1_11comp_targetILNS1_3genE3ELNS1_11target_archE908ELNS1_3gpuE7ELNS1_3repE0EEENS1_48merge_mergepath_partition_config_static_selectorELNS0_4arch9wavefront6targetE1EEEvSL_.kd
    .uniform_work_group_size: 1
    .uses_dynamic_stack: false
    .vgpr_count:     0
    .vgpr_spill_count: 0
    .wavefront_size: 64
  - .agpr_count:     0
    .args:
      - .offset:         0
        .size:           40
        .value_kind:     by_value
    .group_segment_fixed_size: 0
    .kernarg_segment_align: 8
    .kernarg_segment_size: 40
    .language:       OpenCL C
    .language_version:
      - 2
      - 0
    .max_flat_workgroup_size: 128
    .name:           _ZN7rocprim17ROCPRIM_400000_NS6detail17trampoline_kernelINS0_14default_configENS1_38merge_sort_block_merge_config_selectorItNS0_10empty_typeEEEZZNS1_27merge_sort_block_merge_implIS3_N6thrust23THRUST_200600_302600_NS6detail15normal_iteratorINS9_10device_ptrItEEEEPS5_jNS1_19radix_merge_compareILb0ELb1EtNS0_19identity_decomposerEEEEE10hipError_tT0_T1_T2_jT3_P12ihipStream_tbPNSt15iterator_traitsISK_E10value_typeEPNSQ_ISL_E10value_typeEPSM_NS1_7vsmem_tEENKUlT_SK_SL_SM_E_clIPtSE_SF_SF_EESJ_SZ_SK_SL_SM_EUlSZ_E_NS1_11comp_targetILNS1_3genE2ELNS1_11target_archE906ELNS1_3gpuE6ELNS1_3repE0EEENS1_48merge_mergepath_partition_config_static_selectorELNS0_4arch9wavefront6targetE1EEEvSL_
    .private_segment_fixed_size: 0
    .sgpr_count:     6
    .sgpr_spill_count: 0
    .symbol:         _ZN7rocprim17ROCPRIM_400000_NS6detail17trampoline_kernelINS0_14default_configENS1_38merge_sort_block_merge_config_selectorItNS0_10empty_typeEEEZZNS1_27merge_sort_block_merge_implIS3_N6thrust23THRUST_200600_302600_NS6detail15normal_iteratorINS9_10device_ptrItEEEEPS5_jNS1_19radix_merge_compareILb0ELb1EtNS0_19identity_decomposerEEEEE10hipError_tT0_T1_T2_jT3_P12ihipStream_tbPNSt15iterator_traitsISK_E10value_typeEPNSQ_ISL_E10value_typeEPSM_NS1_7vsmem_tEENKUlT_SK_SL_SM_E_clIPtSE_SF_SF_EESJ_SZ_SK_SL_SM_EUlSZ_E_NS1_11comp_targetILNS1_3genE2ELNS1_11target_archE906ELNS1_3gpuE6ELNS1_3repE0EEENS1_48merge_mergepath_partition_config_static_selectorELNS0_4arch9wavefront6targetE1EEEvSL_.kd
    .uniform_work_group_size: 1
    .uses_dynamic_stack: false
    .vgpr_count:     0
    .vgpr_spill_count: 0
    .wavefront_size: 64
  - .agpr_count:     0
    .args:
      - .offset:         0
        .size:           40
        .value_kind:     by_value
    .group_segment_fixed_size: 0
    .kernarg_segment_align: 8
    .kernarg_segment_size: 40
    .language:       OpenCL C
    .language_version:
      - 2
      - 0
    .max_flat_workgroup_size: 128
    .name:           _ZN7rocprim17ROCPRIM_400000_NS6detail17trampoline_kernelINS0_14default_configENS1_38merge_sort_block_merge_config_selectorItNS0_10empty_typeEEEZZNS1_27merge_sort_block_merge_implIS3_N6thrust23THRUST_200600_302600_NS6detail15normal_iteratorINS9_10device_ptrItEEEEPS5_jNS1_19radix_merge_compareILb0ELb1EtNS0_19identity_decomposerEEEEE10hipError_tT0_T1_T2_jT3_P12ihipStream_tbPNSt15iterator_traitsISK_E10value_typeEPNSQ_ISL_E10value_typeEPSM_NS1_7vsmem_tEENKUlT_SK_SL_SM_E_clIPtSE_SF_SF_EESJ_SZ_SK_SL_SM_EUlSZ_E_NS1_11comp_targetILNS1_3genE9ELNS1_11target_archE1100ELNS1_3gpuE3ELNS1_3repE0EEENS1_48merge_mergepath_partition_config_static_selectorELNS0_4arch9wavefront6targetE1EEEvSL_
    .private_segment_fixed_size: 0
    .sgpr_count:     6
    .sgpr_spill_count: 0
    .symbol:         _ZN7rocprim17ROCPRIM_400000_NS6detail17trampoline_kernelINS0_14default_configENS1_38merge_sort_block_merge_config_selectorItNS0_10empty_typeEEEZZNS1_27merge_sort_block_merge_implIS3_N6thrust23THRUST_200600_302600_NS6detail15normal_iteratorINS9_10device_ptrItEEEEPS5_jNS1_19radix_merge_compareILb0ELb1EtNS0_19identity_decomposerEEEEE10hipError_tT0_T1_T2_jT3_P12ihipStream_tbPNSt15iterator_traitsISK_E10value_typeEPNSQ_ISL_E10value_typeEPSM_NS1_7vsmem_tEENKUlT_SK_SL_SM_E_clIPtSE_SF_SF_EESJ_SZ_SK_SL_SM_EUlSZ_E_NS1_11comp_targetILNS1_3genE9ELNS1_11target_archE1100ELNS1_3gpuE3ELNS1_3repE0EEENS1_48merge_mergepath_partition_config_static_selectorELNS0_4arch9wavefront6targetE1EEEvSL_.kd
    .uniform_work_group_size: 1
    .uses_dynamic_stack: false
    .vgpr_count:     0
    .vgpr_spill_count: 0
    .wavefront_size: 64
  - .agpr_count:     0
    .args:
      - .offset:         0
        .size:           40
        .value_kind:     by_value
    .group_segment_fixed_size: 0
    .kernarg_segment_align: 8
    .kernarg_segment_size: 40
    .language:       OpenCL C
    .language_version:
      - 2
      - 0
    .max_flat_workgroup_size: 128
    .name:           _ZN7rocprim17ROCPRIM_400000_NS6detail17trampoline_kernelINS0_14default_configENS1_38merge_sort_block_merge_config_selectorItNS0_10empty_typeEEEZZNS1_27merge_sort_block_merge_implIS3_N6thrust23THRUST_200600_302600_NS6detail15normal_iteratorINS9_10device_ptrItEEEEPS5_jNS1_19radix_merge_compareILb0ELb1EtNS0_19identity_decomposerEEEEE10hipError_tT0_T1_T2_jT3_P12ihipStream_tbPNSt15iterator_traitsISK_E10value_typeEPNSQ_ISL_E10value_typeEPSM_NS1_7vsmem_tEENKUlT_SK_SL_SM_E_clIPtSE_SF_SF_EESJ_SZ_SK_SL_SM_EUlSZ_E_NS1_11comp_targetILNS1_3genE8ELNS1_11target_archE1030ELNS1_3gpuE2ELNS1_3repE0EEENS1_48merge_mergepath_partition_config_static_selectorELNS0_4arch9wavefront6targetE1EEEvSL_
    .private_segment_fixed_size: 0
    .sgpr_count:     6
    .sgpr_spill_count: 0
    .symbol:         _ZN7rocprim17ROCPRIM_400000_NS6detail17trampoline_kernelINS0_14default_configENS1_38merge_sort_block_merge_config_selectorItNS0_10empty_typeEEEZZNS1_27merge_sort_block_merge_implIS3_N6thrust23THRUST_200600_302600_NS6detail15normal_iteratorINS9_10device_ptrItEEEEPS5_jNS1_19radix_merge_compareILb0ELb1EtNS0_19identity_decomposerEEEEE10hipError_tT0_T1_T2_jT3_P12ihipStream_tbPNSt15iterator_traitsISK_E10value_typeEPNSQ_ISL_E10value_typeEPSM_NS1_7vsmem_tEENKUlT_SK_SL_SM_E_clIPtSE_SF_SF_EESJ_SZ_SK_SL_SM_EUlSZ_E_NS1_11comp_targetILNS1_3genE8ELNS1_11target_archE1030ELNS1_3gpuE2ELNS1_3repE0EEENS1_48merge_mergepath_partition_config_static_selectorELNS0_4arch9wavefront6targetE1EEEvSL_.kd
    .uniform_work_group_size: 1
    .uses_dynamic_stack: false
    .vgpr_count:     0
    .vgpr_spill_count: 0
    .wavefront_size: 64
  - .agpr_count:     0
    .args:
      - .offset:         0
        .size:           64
        .value_kind:     by_value
    .group_segment_fixed_size: 0
    .kernarg_segment_align: 8
    .kernarg_segment_size: 64
    .language:       OpenCL C
    .language_version:
      - 2
      - 0
    .max_flat_workgroup_size: 128
    .name:           _ZN7rocprim17ROCPRIM_400000_NS6detail17trampoline_kernelINS0_14default_configENS1_38merge_sort_block_merge_config_selectorItNS0_10empty_typeEEEZZNS1_27merge_sort_block_merge_implIS3_N6thrust23THRUST_200600_302600_NS6detail15normal_iteratorINS9_10device_ptrItEEEEPS5_jNS1_19radix_merge_compareILb0ELb1EtNS0_19identity_decomposerEEEEE10hipError_tT0_T1_T2_jT3_P12ihipStream_tbPNSt15iterator_traitsISK_E10value_typeEPNSQ_ISL_E10value_typeEPSM_NS1_7vsmem_tEENKUlT_SK_SL_SM_E_clIPtSE_SF_SF_EESJ_SZ_SK_SL_SM_EUlSZ_E0_NS1_11comp_targetILNS1_3genE0ELNS1_11target_archE4294967295ELNS1_3gpuE0ELNS1_3repE0EEENS1_38merge_mergepath_config_static_selectorELNS0_4arch9wavefront6targetE1EEEvSL_
    .private_segment_fixed_size: 0
    .sgpr_count:     6
    .sgpr_spill_count: 0
    .symbol:         _ZN7rocprim17ROCPRIM_400000_NS6detail17trampoline_kernelINS0_14default_configENS1_38merge_sort_block_merge_config_selectorItNS0_10empty_typeEEEZZNS1_27merge_sort_block_merge_implIS3_N6thrust23THRUST_200600_302600_NS6detail15normal_iteratorINS9_10device_ptrItEEEEPS5_jNS1_19radix_merge_compareILb0ELb1EtNS0_19identity_decomposerEEEEE10hipError_tT0_T1_T2_jT3_P12ihipStream_tbPNSt15iterator_traitsISK_E10value_typeEPNSQ_ISL_E10value_typeEPSM_NS1_7vsmem_tEENKUlT_SK_SL_SM_E_clIPtSE_SF_SF_EESJ_SZ_SK_SL_SM_EUlSZ_E0_NS1_11comp_targetILNS1_3genE0ELNS1_11target_archE4294967295ELNS1_3gpuE0ELNS1_3repE0EEENS1_38merge_mergepath_config_static_selectorELNS0_4arch9wavefront6targetE1EEEvSL_.kd
    .uniform_work_group_size: 1
    .uses_dynamic_stack: false
    .vgpr_count:     0
    .vgpr_spill_count: 0
    .wavefront_size: 64
  - .agpr_count:     0
    .args:
      - .offset:         0
        .size:           64
        .value_kind:     by_value
    .group_segment_fixed_size: 0
    .kernarg_segment_align: 8
    .kernarg_segment_size: 64
    .language:       OpenCL C
    .language_version:
      - 2
      - 0
    .max_flat_workgroup_size: 128
    .name:           _ZN7rocprim17ROCPRIM_400000_NS6detail17trampoline_kernelINS0_14default_configENS1_38merge_sort_block_merge_config_selectorItNS0_10empty_typeEEEZZNS1_27merge_sort_block_merge_implIS3_N6thrust23THRUST_200600_302600_NS6detail15normal_iteratorINS9_10device_ptrItEEEEPS5_jNS1_19radix_merge_compareILb0ELb1EtNS0_19identity_decomposerEEEEE10hipError_tT0_T1_T2_jT3_P12ihipStream_tbPNSt15iterator_traitsISK_E10value_typeEPNSQ_ISL_E10value_typeEPSM_NS1_7vsmem_tEENKUlT_SK_SL_SM_E_clIPtSE_SF_SF_EESJ_SZ_SK_SL_SM_EUlSZ_E0_NS1_11comp_targetILNS1_3genE10ELNS1_11target_archE1201ELNS1_3gpuE5ELNS1_3repE0EEENS1_38merge_mergepath_config_static_selectorELNS0_4arch9wavefront6targetE1EEEvSL_
    .private_segment_fixed_size: 0
    .sgpr_count:     6
    .sgpr_spill_count: 0
    .symbol:         _ZN7rocprim17ROCPRIM_400000_NS6detail17trampoline_kernelINS0_14default_configENS1_38merge_sort_block_merge_config_selectorItNS0_10empty_typeEEEZZNS1_27merge_sort_block_merge_implIS3_N6thrust23THRUST_200600_302600_NS6detail15normal_iteratorINS9_10device_ptrItEEEEPS5_jNS1_19radix_merge_compareILb0ELb1EtNS0_19identity_decomposerEEEEE10hipError_tT0_T1_T2_jT3_P12ihipStream_tbPNSt15iterator_traitsISK_E10value_typeEPNSQ_ISL_E10value_typeEPSM_NS1_7vsmem_tEENKUlT_SK_SL_SM_E_clIPtSE_SF_SF_EESJ_SZ_SK_SL_SM_EUlSZ_E0_NS1_11comp_targetILNS1_3genE10ELNS1_11target_archE1201ELNS1_3gpuE5ELNS1_3repE0EEENS1_38merge_mergepath_config_static_selectorELNS0_4arch9wavefront6targetE1EEEvSL_.kd
    .uniform_work_group_size: 1
    .uses_dynamic_stack: false
    .vgpr_count:     0
    .vgpr_spill_count: 0
    .wavefront_size: 64
  - .agpr_count:     0
    .args:
      - .offset:         0
        .size:           64
        .value_kind:     by_value
      - .offset:         64
        .size:           4
        .value_kind:     hidden_block_count_x
      - .offset:         68
        .size:           4
        .value_kind:     hidden_block_count_y
      - .offset:         72
        .size:           4
        .value_kind:     hidden_block_count_z
      - .offset:         76
        .size:           2
        .value_kind:     hidden_group_size_x
      - .offset:         78
        .size:           2
        .value_kind:     hidden_group_size_y
      - .offset:         80
        .size:           2
        .value_kind:     hidden_group_size_z
      - .offset:         82
        .size:           2
        .value_kind:     hidden_remainder_x
      - .offset:         84
        .size:           2
        .value_kind:     hidden_remainder_y
      - .offset:         86
        .size:           2
        .value_kind:     hidden_remainder_z
      - .offset:         104
        .size:           8
        .value_kind:     hidden_global_offset_x
      - .offset:         112
        .size:           8
        .value_kind:     hidden_global_offset_y
      - .offset:         120
        .size:           8
        .value_kind:     hidden_global_offset_z
      - .offset:         128
        .size:           2
        .value_kind:     hidden_grid_dims
    .group_segment_fixed_size: 2112
    .kernarg_segment_align: 8
    .kernarg_segment_size: 320
    .language:       OpenCL C
    .language_version:
      - 2
      - 0
    .max_flat_workgroup_size: 128
    .name:           _ZN7rocprim17ROCPRIM_400000_NS6detail17trampoline_kernelINS0_14default_configENS1_38merge_sort_block_merge_config_selectorItNS0_10empty_typeEEEZZNS1_27merge_sort_block_merge_implIS3_N6thrust23THRUST_200600_302600_NS6detail15normal_iteratorINS9_10device_ptrItEEEEPS5_jNS1_19radix_merge_compareILb0ELb1EtNS0_19identity_decomposerEEEEE10hipError_tT0_T1_T2_jT3_P12ihipStream_tbPNSt15iterator_traitsISK_E10value_typeEPNSQ_ISL_E10value_typeEPSM_NS1_7vsmem_tEENKUlT_SK_SL_SM_E_clIPtSE_SF_SF_EESJ_SZ_SK_SL_SM_EUlSZ_E0_NS1_11comp_targetILNS1_3genE5ELNS1_11target_archE942ELNS1_3gpuE9ELNS1_3repE0EEENS1_38merge_mergepath_config_static_selectorELNS0_4arch9wavefront6targetE1EEEvSL_
    .private_segment_fixed_size: 0
    .sgpr_count:     31
    .sgpr_spill_count: 0
    .symbol:         _ZN7rocprim17ROCPRIM_400000_NS6detail17trampoline_kernelINS0_14default_configENS1_38merge_sort_block_merge_config_selectorItNS0_10empty_typeEEEZZNS1_27merge_sort_block_merge_implIS3_N6thrust23THRUST_200600_302600_NS6detail15normal_iteratorINS9_10device_ptrItEEEEPS5_jNS1_19radix_merge_compareILb0ELb1EtNS0_19identity_decomposerEEEEE10hipError_tT0_T1_T2_jT3_P12ihipStream_tbPNSt15iterator_traitsISK_E10value_typeEPNSQ_ISL_E10value_typeEPSM_NS1_7vsmem_tEENKUlT_SK_SL_SM_E_clIPtSE_SF_SF_EESJ_SZ_SK_SL_SM_EUlSZ_E0_NS1_11comp_targetILNS1_3genE5ELNS1_11target_archE942ELNS1_3gpuE9ELNS1_3repE0EEENS1_38merge_mergepath_config_static_selectorELNS0_4arch9wavefront6targetE1EEEvSL_.kd
    .uniform_work_group_size: 1
    .uses_dynamic_stack: false
    .vgpr_count:     26
    .vgpr_spill_count: 0
    .wavefront_size: 64
  - .agpr_count:     0
    .args:
      - .offset:         0
        .size:           64
        .value_kind:     by_value
    .group_segment_fixed_size: 0
    .kernarg_segment_align: 8
    .kernarg_segment_size: 64
    .language:       OpenCL C
    .language_version:
      - 2
      - 0
    .max_flat_workgroup_size: 128
    .name:           _ZN7rocprim17ROCPRIM_400000_NS6detail17trampoline_kernelINS0_14default_configENS1_38merge_sort_block_merge_config_selectorItNS0_10empty_typeEEEZZNS1_27merge_sort_block_merge_implIS3_N6thrust23THRUST_200600_302600_NS6detail15normal_iteratorINS9_10device_ptrItEEEEPS5_jNS1_19radix_merge_compareILb0ELb1EtNS0_19identity_decomposerEEEEE10hipError_tT0_T1_T2_jT3_P12ihipStream_tbPNSt15iterator_traitsISK_E10value_typeEPNSQ_ISL_E10value_typeEPSM_NS1_7vsmem_tEENKUlT_SK_SL_SM_E_clIPtSE_SF_SF_EESJ_SZ_SK_SL_SM_EUlSZ_E0_NS1_11comp_targetILNS1_3genE4ELNS1_11target_archE910ELNS1_3gpuE8ELNS1_3repE0EEENS1_38merge_mergepath_config_static_selectorELNS0_4arch9wavefront6targetE1EEEvSL_
    .private_segment_fixed_size: 0
    .sgpr_count:     6
    .sgpr_spill_count: 0
    .symbol:         _ZN7rocprim17ROCPRIM_400000_NS6detail17trampoline_kernelINS0_14default_configENS1_38merge_sort_block_merge_config_selectorItNS0_10empty_typeEEEZZNS1_27merge_sort_block_merge_implIS3_N6thrust23THRUST_200600_302600_NS6detail15normal_iteratorINS9_10device_ptrItEEEEPS5_jNS1_19radix_merge_compareILb0ELb1EtNS0_19identity_decomposerEEEEE10hipError_tT0_T1_T2_jT3_P12ihipStream_tbPNSt15iterator_traitsISK_E10value_typeEPNSQ_ISL_E10value_typeEPSM_NS1_7vsmem_tEENKUlT_SK_SL_SM_E_clIPtSE_SF_SF_EESJ_SZ_SK_SL_SM_EUlSZ_E0_NS1_11comp_targetILNS1_3genE4ELNS1_11target_archE910ELNS1_3gpuE8ELNS1_3repE0EEENS1_38merge_mergepath_config_static_selectorELNS0_4arch9wavefront6targetE1EEEvSL_.kd
    .uniform_work_group_size: 1
    .uses_dynamic_stack: false
    .vgpr_count:     0
    .vgpr_spill_count: 0
    .wavefront_size: 64
  - .agpr_count:     0
    .args:
      - .offset:         0
        .size:           64
        .value_kind:     by_value
    .group_segment_fixed_size: 0
    .kernarg_segment_align: 8
    .kernarg_segment_size: 64
    .language:       OpenCL C
    .language_version:
      - 2
      - 0
    .max_flat_workgroup_size: 128
    .name:           _ZN7rocprim17ROCPRIM_400000_NS6detail17trampoline_kernelINS0_14default_configENS1_38merge_sort_block_merge_config_selectorItNS0_10empty_typeEEEZZNS1_27merge_sort_block_merge_implIS3_N6thrust23THRUST_200600_302600_NS6detail15normal_iteratorINS9_10device_ptrItEEEEPS5_jNS1_19radix_merge_compareILb0ELb1EtNS0_19identity_decomposerEEEEE10hipError_tT0_T1_T2_jT3_P12ihipStream_tbPNSt15iterator_traitsISK_E10value_typeEPNSQ_ISL_E10value_typeEPSM_NS1_7vsmem_tEENKUlT_SK_SL_SM_E_clIPtSE_SF_SF_EESJ_SZ_SK_SL_SM_EUlSZ_E0_NS1_11comp_targetILNS1_3genE3ELNS1_11target_archE908ELNS1_3gpuE7ELNS1_3repE0EEENS1_38merge_mergepath_config_static_selectorELNS0_4arch9wavefront6targetE1EEEvSL_
    .private_segment_fixed_size: 0
    .sgpr_count:     6
    .sgpr_spill_count: 0
    .symbol:         _ZN7rocprim17ROCPRIM_400000_NS6detail17trampoline_kernelINS0_14default_configENS1_38merge_sort_block_merge_config_selectorItNS0_10empty_typeEEEZZNS1_27merge_sort_block_merge_implIS3_N6thrust23THRUST_200600_302600_NS6detail15normal_iteratorINS9_10device_ptrItEEEEPS5_jNS1_19radix_merge_compareILb0ELb1EtNS0_19identity_decomposerEEEEE10hipError_tT0_T1_T2_jT3_P12ihipStream_tbPNSt15iterator_traitsISK_E10value_typeEPNSQ_ISL_E10value_typeEPSM_NS1_7vsmem_tEENKUlT_SK_SL_SM_E_clIPtSE_SF_SF_EESJ_SZ_SK_SL_SM_EUlSZ_E0_NS1_11comp_targetILNS1_3genE3ELNS1_11target_archE908ELNS1_3gpuE7ELNS1_3repE0EEENS1_38merge_mergepath_config_static_selectorELNS0_4arch9wavefront6targetE1EEEvSL_.kd
    .uniform_work_group_size: 1
    .uses_dynamic_stack: false
    .vgpr_count:     0
    .vgpr_spill_count: 0
    .wavefront_size: 64
  - .agpr_count:     0
    .args:
      - .offset:         0
        .size:           64
        .value_kind:     by_value
    .group_segment_fixed_size: 0
    .kernarg_segment_align: 8
    .kernarg_segment_size: 64
    .language:       OpenCL C
    .language_version:
      - 2
      - 0
    .max_flat_workgroup_size: 128
    .name:           _ZN7rocprim17ROCPRIM_400000_NS6detail17trampoline_kernelINS0_14default_configENS1_38merge_sort_block_merge_config_selectorItNS0_10empty_typeEEEZZNS1_27merge_sort_block_merge_implIS3_N6thrust23THRUST_200600_302600_NS6detail15normal_iteratorINS9_10device_ptrItEEEEPS5_jNS1_19radix_merge_compareILb0ELb1EtNS0_19identity_decomposerEEEEE10hipError_tT0_T1_T2_jT3_P12ihipStream_tbPNSt15iterator_traitsISK_E10value_typeEPNSQ_ISL_E10value_typeEPSM_NS1_7vsmem_tEENKUlT_SK_SL_SM_E_clIPtSE_SF_SF_EESJ_SZ_SK_SL_SM_EUlSZ_E0_NS1_11comp_targetILNS1_3genE2ELNS1_11target_archE906ELNS1_3gpuE6ELNS1_3repE0EEENS1_38merge_mergepath_config_static_selectorELNS0_4arch9wavefront6targetE1EEEvSL_
    .private_segment_fixed_size: 0
    .sgpr_count:     6
    .sgpr_spill_count: 0
    .symbol:         _ZN7rocprim17ROCPRIM_400000_NS6detail17trampoline_kernelINS0_14default_configENS1_38merge_sort_block_merge_config_selectorItNS0_10empty_typeEEEZZNS1_27merge_sort_block_merge_implIS3_N6thrust23THRUST_200600_302600_NS6detail15normal_iteratorINS9_10device_ptrItEEEEPS5_jNS1_19radix_merge_compareILb0ELb1EtNS0_19identity_decomposerEEEEE10hipError_tT0_T1_T2_jT3_P12ihipStream_tbPNSt15iterator_traitsISK_E10value_typeEPNSQ_ISL_E10value_typeEPSM_NS1_7vsmem_tEENKUlT_SK_SL_SM_E_clIPtSE_SF_SF_EESJ_SZ_SK_SL_SM_EUlSZ_E0_NS1_11comp_targetILNS1_3genE2ELNS1_11target_archE906ELNS1_3gpuE6ELNS1_3repE0EEENS1_38merge_mergepath_config_static_selectorELNS0_4arch9wavefront6targetE1EEEvSL_.kd
    .uniform_work_group_size: 1
    .uses_dynamic_stack: false
    .vgpr_count:     0
    .vgpr_spill_count: 0
    .wavefront_size: 64
  - .agpr_count:     0
    .args:
      - .offset:         0
        .size:           64
        .value_kind:     by_value
    .group_segment_fixed_size: 0
    .kernarg_segment_align: 8
    .kernarg_segment_size: 64
    .language:       OpenCL C
    .language_version:
      - 2
      - 0
    .max_flat_workgroup_size: 128
    .name:           _ZN7rocprim17ROCPRIM_400000_NS6detail17trampoline_kernelINS0_14default_configENS1_38merge_sort_block_merge_config_selectorItNS0_10empty_typeEEEZZNS1_27merge_sort_block_merge_implIS3_N6thrust23THRUST_200600_302600_NS6detail15normal_iteratorINS9_10device_ptrItEEEEPS5_jNS1_19radix_merge_compareILb0ELb1EtNS0_19identity_decomposerEEEEE10hipError_tT0_T1_T2_jT3_P12ihipStream_tbPNSt15iterator_traitsISK_E10value_typeEPNSQ_ISL_E10value_typeEPSM_NS1_7vsmem_tEENKUlT_SK_SL_SM_E_clIPtSE_SF_SF_EESJ_SZ_SK_SL_SM_EUlSZ_E0_NS1_11comp_targetILNS1_3genE9ELNS1_11target_archE1100ELNS1_3gpuE3ELNS1_3repE0EEENS1_38merge_mergepath_config_static_selectorELNS0_4arch9wavefront6targetE1EEEvSL_
    .private_segment_fixed_size: 0
    .sgpr_count:     6
    .sgpr_spill_count: 0
    .symbol:         _ZN7rocprim17ROCPRIM_400000_NS6detail17trampoline_kernelINS0_14default_configENS1_38merge_sort_block_merge_config_selectorItNS0_10empty_typeEEEZZNS1_27merge_sort_block_merge_implIS3_N6thrust23THRUST_200600_302600_NS6detail15normal_iteratorINS9_10device_ptrItEEEEPS5_jNS1_19radix_merge_compareILb0ELb1EtNS0_19identity_decomposerEEEEE10hipError_tT0_T1_T2_jT3_P12ihipStream_tbPNSt15iterator_traitsISK_E10value_typeEPNSQ_ISL_E10value_typeEPSM_NS1_7vsmem_tEENKUlT_SK_SL_SM_E_clIPtSE_SF_SF_EESJ_SZ_SK_SL_SM_EUlSZ_E0_NS1_11comp_targetILNS1_3genE9ELNS1_11target_archE1100ELNS1_3gpuE3ELNS1_3repE0EEENS1_38merge_mergepath_config_static_selectorELNS0_4arch9wavefront6targetE1EEEvSL_.kd
    .uniform_work_group_size: 1
    .uses_dynamic_stack: false
    .vgpr_count:     0
    .vgpr_spill_count: 0
    .wavefront_size: 64
  - .agpr_count:     0
    .args:
      - .offset:         0
        .size:           64
        .value_kind:     by_value
    .group_segment_fixed_size: 0
    .kernarg_segment_align: 8
    .kernarg_segment_size: 64
    .language:       OpenCL C
    .language_version:
      - 2
      - 0
    .max_flat_workgroup_size: 128
    .name:           _ZN7rocprim17ROCPRIM_400000_NS6detail17trampoline_kernelINS0_14default_configENS1_38merge_sort_block_merge_config_selectorItNS0_10empty_typeEEEZZNS1_27merge_sort_block_merge_implIS3_N6thrust23THRUST_200600_302600_NS6detail15normal_iteratorINS9_10device_ptrItEEEEPS5_jNS1_19radix_merge_compareILb0ELb1EtNS0_19identity_decomposerEEEEE10hipError_tT0_T1_T2_jT3_P12ihipStream_tbPNSt15iterator_traitsISK_E10value_typeEPNSQ_ISL_E10value_typeEPSM_NS1_7vsmem_tEENKUlT_SK_SL_SM_E_clIPtSE_SF_SF_EESJ_SZ_SK_SL_SM_EUlSZ_E0_NS1_11comp_targetILNS1_3genE8ELNS1_11target_archE1030ELNS1_3gpuE2ELNS1_3repE0EEENS1_38merge_mergepath_config_static_selectorELNS0_4arch9wavefront6targetE1EEEvSL_
    .private_segment_fixed_size: 0
    .sgpr_count:     6
    .sgpr_spill_count: 0
    .symbol:         _ZN7rocprim17ROCPRIM_400000_NS6detail17trampoline_kernelINS0_14default_configENS1_38merge_sort_block_merge_config_selectorItNS0_10empty_typeEEEZZNS1_27merge_sort_block_merge_implIS3_N6thrust23THRUST_200600_302600_NS6detail15normal_iteratorINS9_10device_ptrItEEEEPS5_jNS1_19radix_merge_compareILb0ELb1EtNS0_19identity_decomposerEEEEE10hipError_tT0_T1_T2_jT3_P12ihipStream_tbPNSt15iterator_traitsISK_E10value_typeEPNSQ_ISL_E10value_typeEPSM_NS1_7vsmem_tEENKUlT_SK_SL_SM_E_clIPtSE_SF_SF_EESJ_SZ_SK_SL_SM_EUlSZ_E0_NS1_11comp_targetILNS1_3genE8ELNS1_11target_archE1030ELNS1_3gpuE2ELNS1_3repE0EEENS1_38merge_mergepath_config_static_selectorELNS0_4arch9wavefront6targetE1EEEvSL_.kd
    .uniform_work_group_size: 1
    .uses_dynamic_stack: false
    .vgpr_count:     0
    .vgpr_spill_count: 0
    .wavefront_size: 64
  - .agpr_count:     0
    .args:
      - .offset:         0
        .size:           48
        .value_kind:     by_value
    .group_segment_fixed_size: 0
    .kernarg_segment_align: 8
    .kernarg_segment_size: 48
    .language:       OpenCL C
    .language_version:
      - 2
      - 0
    .max_flat_workgroup_size: 256
    .name:           _ZN7rocprim17ROCPRIM_400000_NS6detail17trampoline_kernelINS0_14default_configENS1_38merge_sort_block_merge_config_selectorItNS0_10empty_typeEEEZZNS1_27merge_sort_block_merge_implIS3_N6thrust23THRUST_200600_302600_NS6detail15normal_iteratorINS9_10device_ptrItEEEEPS5_jNS1_19radix_merge_compareILb0ELb1EtNS0_19identity_decomposerEEEEE10hipError_tT0_T1_T2_jT3_P12ihipStream_tbPNSt15iterator_traitsISK_E10value_typeEPNSQ_ISL_E10value_typeEPSM_NS1_7vsmem_tEENKUlT_SK_SL_SM_E_clIPtSE_SF_SF_EESJ_SZ_SK_SL_SM_EUlSZ_E1_NS1_11comp_targetILNS1_3genE0ELNS1_11target_archE4294967295ELNS1_3gpuE0ELNS1_3repE0EEENS1_36merge_oddeven_config_static_selectorELNS0_4arch9wavefront6targetE1EEEvSL_
    .private_segment_fixed_size: 0
    .sgpr_count:     6
    .sgpr_spill_count: 0
    .symbol:         _ZN7rocprim17ROCPRIM_400000_NS6detail17trampoline_kernelINS0_14default_configENS1_38merge_sort_block_merge_config_selectorItNS0_10empty_typeEEEZZNS1_27merge_sort_block_merge_implIS3_N6thrust23THRUST_200600_302600_NS6detail15normal_iteratorINS9_10device_ptrItEEEEPS5_jNS1_19radix_merge_compareILb0ELb1EtNS0_19identity_decomposerEEEEE10hipError_tT0_T1_T2_jT3_P12ihipStream_tbPNSt15iterator_traitsISK_E10value_typeEPNSQ_ISL_E10value_typeEPSM_NS1_7vsmem_tEENKUlT_SK_SL_SM_E_clIPtSE_SF_SF_EESJ_SZ_SK_SL_SM_EUlSZ_E1_NS1_11comp_targetILNS1_3genE0ELNS1_11target_archE4294967295ELNS1_3gpuE0ELNS1_3repE0EEENS1_36merge_oddeven_config_static_selectorELNS0_4arch9wavefront6targetE1EEEvSL_.kd
    .uniform_work_group_size: 1
    .uses_dynamic_stack: false
    .vgpr_count:     0
    .vgpr_spill_count: 0
    .wavefront_size: 64
  - .agpr_count:     0
    .args:
      - .offset:         0
        .size:           48
        .value_kind:     by_value
    .group_segment_fixed_size: 0
    .kernarg_segment_align: 8
    .kernarg_segment_size: 48
    .language:       OpenCL C
    .language_version:
      - 2
      - 0
    .max_flat_workgroup_size: 256
    .name:           _ZN7rocprim17ROCPRIM_400000_NS6detail17trampoline_kernelINS0_14default_configENS1_38merge_sort_block_merge_config_selectorItNS0_10empty_typeEEEZZNS1_27merge_sort_block_merge_implIS3_N6thrust23THRUST_200600_302600_NS6detail15normal_iteratorINS9_10device_ptrItEEEEPS5_jNS1_19radix_merge_compareILb0ELb1EtNS0_19identity_decomposerEEEEE10hipError_tT0_T1_T2_jT3_P12ihipStream_tbPNSt15iterator_traitsISK_E10value_typeEPNSQ_ISL_E10value_typeEPSM_NS1_7vsmem_tEENKUlT_SK_SL_SM_E_clIPtSE_SF_SF_EESJ_SZ_SK_SL_SM_EUlSZ_E1_NS1_11comp_targetILNS1_3genE10ELNS1_11target_archE1201ELNS1_3gpuE5ELNS1_3repE0EEENS1_36merge_oddeven_config_static_selectorELNS0_4arch9wavefront6targetE1EEEvSL_
    .private_segment_fixed_size: 0
    .sgpr_count:     6
    .sgpr_spill_count: 0
    .symbol:         _ZN7rocprim17ROCPRIM_400000_NS6detail17trampoline_kernelINS0_14default_configENS1_38merge_sort_block_merge_config_selectorItNS0_10empty_typeEEEZZNS1_27merge_sort_block_merge_implIS3_N6thrust23THRUST_200600_302600_NS6detail15normal_iteratorINS9_10device_ptrItEEEEPS5_jNS1_19radix_merge_compareILb0ELb1EtNS0_19identity_decomposerEEEEE10hipError_tT0_T1_T2_jT3_P12ihipStream_tbPNSt15iterator_traitsISK_E10value_typeEPNSQ_ISL_E10value_typeEPSM_NS1_7vsmem_tEENKUlT_SK_SL_SM_E_clIPtSE_SF_SF_EESJ_SZ_SK_SL_SM_EUlSZ_E1_NS1_11comp_targetILNS1_3genE10ELNS1_11target_archE1201ELNS1_3gpuE5ELNS1_3repE0EEENS1_36merge_oddeven_config_static_selectorELNS0_4arch9wavefront6targetE1EEEvSL_.kd
    .uniform_work_group_size: 1
    .uses_dynamic_stack: false
    .vgpr_count:     0
    .vgpr_spill_count: 0
    .wavefront_size: 64
  - .agpr_count:     0
    .args:
      - .offset:         0
        .size:           48
        .value_kind:     by_value
    .group_segment_fixed_size: 0
    .kernarg_segment_align: 8
    .kernarg_segment_size: 48
    .language:       OpenCL C
    .language_version:
      - 2
      - 0
    .max_flat_workgroup_size: 256
    .name:           _ZN7rocprim17ROCPRIM_400000_NS6detail17trampoline_kernelINS0_14default_configENS1_38merge_sort_block_merge_config_selectorItNS0_10empty_typeEEEZZNS1_27merge_sort_block_merge_implIS3_N6thrust23THRUST_200600_302600_NS6detail15normal_iteratorINS9_10device_ptrItEEEEPS5_jNS1_19radix_merge_compareILb0ELb1EtNS0_19identity_decomposerEEEEE10hipError_tT0_T1_T2_jT3_P12ihipStream_tbPNSt15iterator_traitsISK_E10value_typeEPNSQ_ISL_E10value_typeEPSM_NS1_7vsmem_tEENKUlT_SK_SL_SM_E_clIPtSE_SF_SF_EESJ_SZ_SK_SL_SM_EUlSZ_E1_NS1_11comp_targetILNS1_3genE5ELNS1_11target_archE942ELNS1_3gpuE9ELNS1_3repE0EEENS1_36merge_oddeven_config_static_selectorELNS0_4arch9wavefront6targetE1EEEvSL_
    .private_segment_fixed_size: 0
    .sgpr_count:     27
    .sgpr_spill_count: 0
    .symbol:         _ZN7rocprim17ROCPRIM_400000_NS6detail17trampoline_kernelINS0_14default_configENS1_38merge_sort_block_merge_config_selectorItNS0_10empty_typeEEEZZNS1_27merge_sort_block_merge_implIS3_N6thrust23THRUST_200600_302600_NS6detail15normal_iteratorINS9_10device_ptrItEEEEPS5_jNS1_19radix_merge_compareILb0ELb1EtNS0_19identity_decomposerEEEEE10hipError_tT0_T1_T2_jT3_P12ihipStream_tbPNSt15iterator_traitsISK_E10value_typeEPNSQ_ISL_E10value_typeEPSM_NS1_7vsmem_tEENKUlT_SK_SL_SM_E_clIPtSE_SF_SF_EESJ_SZ_SK_SL_SM_EUlSZ_E1_NS1_11comp_targetILNS1_3genE5ELNS1_11target_archE942ELNS1_3gpuE9ELNS1_3repE0EEENS1_36merge_oddeven_config_static_selectorELNS0_4arch9wavefront6targetE1EEEvSL_.kd
    .uniform_work_group_size: 1
    .uses_dynamic_stack: false
    .vgpr_count:     9
    .vgpr_spill_count: 0
    .wavefront_size: 64
  - .agpr_count:     0
    .args:
      - .offset:         0
        .size:           48
        .value_kind:     by_value
    .group_segment_fixed_size: 0
    .kernarg_segment_align: 8
    .kernarg_segment_size: 48
    .language:       OpenCL C
    .language_version:
      - 2
      - 0
    .max_flat_workgroup_size: 256
    .name:           _ZN7rocprim17ROCPRIM_400000_NS6detail17trampoline_kernelINS0_14default_configENS1_38merge_sort_block_merge_config_selectorItNS0_10empty_typeEEEZZNS1_27merge_sort_block_merge_implIS3_N6thrust23THRUST_200600_302600_NS6detail15normal_iteratorINS9_10device_ptrItEEEEPS5_jNS1_19radix_merge_compareILb0ELb1EtNS0_19identity_decomposerEEEEE10hipError_tT0_T1_T2_jT3_P12ihipStream_tbPNSt15iterator_traitsISK_E10value_typeEPNSQ_ISL_E10value_typeEPSM_NS1_7vsmem_tEENKUlT_SK_SL_SM_E_clIPtSE_SF_SF_EESJ_SZ_SK_SL_SM_EUlSZ_E1_NS1_11comp_targetILNS1_3genE4ELNS1_11target_archE910ELNS1_3gpuE8ELNS1_3repE0EEENS1_36merge_oddeven_config_static_selectorELNS0_4arch9wavefront6targetE1EEEvSL_
    .private_segment_fixed_size: 0
    .sgpr_count:     6
    .sgpr_spill_count: 0
    .symbol:         _ZN7rocprim17ROCPRIM_400000_NS6detail17trampoline_kernelINS0_14default_configENS1_38merge_sort_block_merge_config_selectorItNS0_10empty_typeEEEZZNS1_27merge_sort_block_merge_implIS3_N6thrust23THRUST_200600_302600_NS6detail15normal_iteratorINS9_10device_ptrItEEEEPS5_jNS1_19radix_merge_compareILb0ELb1EtNS0_19identity_decomposerEEEEE10hipError_tT0_T1_T2_jT3_P12ihipStream_tbPNSt15iterator_traitsISK_E10value_typeEPNSQ_ISL_E10value_typeEPSM_NS1_7vsmem_tEENKUlT_SK_SL_SM_E_clIPtSE_SF_SF_EESJ_SZ_SK_SL_SM_EUlSZ_E1_NS1_11comp_targetILNS1_3genE4ELNS1_11target_archE910ELNS1_3gpuE8ELNS1_3repE0EEENS1_36merge_oddeven_config_static_selectorELNS0_4arch9wavefront6targetE1EEEvSL_.kd
    .uniform_work_group_size: 1
    .uses_dynamic_stack: false
    .vgpr_count:     0
    .vgpr_spill_count: 0
    .wavefront_size: 64
  - .agpr_count:     0
    .args:
      - .offset:         0
        .size:           48
        .value_kind:     by_value
    .group_segment_fixed_size: 0
    .kernarg_segment_align: 8
    .kernarg_segment_size: 48
    .language:       OpenCL C
    .language_version:
      - 2
      - 0
    .max_flat_workgroup_size: 256
    .name:           _ZN7rocprim17ROCPRIM_400000_NS6detail17trampoline_kernelINS0_14default_configENS1_38merge_sort_block_merge_config_selectorItNS0_10empty_typeEEEZZNS1_27merge_sort_block_merge_implIS3_N6thrust23THRUST_200600_302600_NS6detail15normal_iteratorINS9_10device_ptrItEEEEPS5_jNS1_19radix_merge_compareILb0ELb1EtNS0_19identity_decomposerEEEEE10hipError_tT0_T1_T2_jT3_P12ihipStream_tbPNSt15iterator_traitsISK_E10value_typeEPNSQ_ISL_E10value_typeEPSM_NS1_7vsmem_tEENKUlT_SK_SL_SM_E_clIPtSE_SF_SF_EESJ_SZ_SK_SL_SM_EUlSZ_E1_NS1_11comp_targetILNS1_3genE3ELNS1_11target_archE908ELNS1_3gpuE7ELNS1_3repE0EEENS1_36merge_oddeven_config_static_selectorELNS0_4arch9wavefront6targetE1EEEvSL_
    .private_segment_fixed_size: 0
    .sgpr_count:     6
    .sgpr_spill_count: 0
    .symbol:         _ZN7rocprim17ROCPRIM_400000_NS6detail17trampoline_kernelINS0_14default_configENS1_38merge_sort_block_merge_config_selectorItNS0_10empty_typeEEEZZNS1_27merge_sort_block_merge_implIS3_N6thrust23THRUST_200600_302600_NS6detail15normal_iteratorINS9_10device_ptrItEEEEPS5_jNS1_19radix_merge_compareILb0ELb1EtNS0_19identity_decomposerEEEEE10hipError_tT0_T1_T2_jT3_P12ihipStream_tbPNSt15iterator_traitsISK_E10value_typeEPNSQ_ISL_E10value_typeEPSM_NS1_7vsmem_tEENKUlT_SK_SL_SM_E_clIPtSE_SF_SF_EESJ_SZ_SK_SL_SM_EUlSZ_E1_NS1_11comp_targetILNS1_3genE3ELNS1_11target_archE908ELNS1_3gpuE7ELNS1_3repE0EEENS1_36merge_oddeven_config_static_selectorELNS0_4arch9wavefront6targetE1EEEvSL_.kd
    .uniform_work_group_size: 1
    .uses_dynamic_stack: false
    .vgpr_count:     0
    .vgpr_spill_count: 0
    .wavefront_size: 64
  - .agpr_count:     0
    .args:
      - .offset:         0
        .size:           48
        .value_kind:     by_value
    .group_segment_fixed_size: 0
    .kernarg_segment_align: 8
    .kernarg_segment_size: 48
    .language:       OpenCL C
    .language_version:
      - 2
      - 0
    .max_flat_workgroup_size: 256
    .name:           _ZN7rocprim17ROCPRIM_400000_NS6detail17trampoline_kernelINS0_14default_configENS1_38merge_sort_block_merge_config_selectorItNS0_10empty_typeEEEZZNS1_27merge_sort_block_merge_implIS3_N6thrust23THRUST_200600_302600_NS6detail15normal_iteratorINS9_10device_ptrItEEEEPS5_jNS1_19radix_merge_compareILb0ELb1EtNS0_19identity_decomposerEEEEE10hipError_tT0_T1_T2_jT3_P12ihipStream_tbPNSt15iterator_traitsISK_E10value_typeEPNSQ_ISL_E10value_typeEPSM_NS1_7vsmem_tEENKUlT_SK_SL_SM_E_clIPtSE_SF_SF_EESJ_SZ_SK_SL_SM_EUlSZ_E1_NS1_11comp_targetILNS1_3genE2ELNS1_11target_archE906ELNS1_3gpuE6ELNS1_3repE0EEENS1_36merge_oddeven_config_static_selectorELNS0_4arch9wavefront6targetE1EEEvSL_
    .private_segment_fixed_size: 0
    .sgpr_count:     6
    .sgpr_spill_count: 0
    .symbol:         _ZN7rocprim17ROCPRIM_400000_NS6detail17trampoline_kernelINS0_14default_configENS1_38merge_sort_block_merge_config_selectorItNS0_10empty_typeEEEZZNS1_27merge_sort_block_merge_implIS3_N6thrust23THRUST_200600_302600_NS6detail15normal_iteratorINS9_10device_ptrItEEEEPS5_jNS1_19radix_merge_compareILb0ELb1EtNS0_19identity_decomposerEEEEE10hipError_tT0_T1_T2_jT3_P12ihipStream_tbPNSt15iterator_traitsISK_E10value_typeEPNSQ_ISL_E10value_typeEPSM_NS1_7vsmem_tEENKUlT_SK_SL_SM_E_clIPtSE_SF_SF_EESJ_SZ_SK_SL_SM_EUlSZ_E1_NS1_11comp_targetILNS1_3genE2ELNS1_11target_archE906ELNS1_3gpuE6ELNS1_3repE0EEENS1_36merge_oddeven_config_static_selectorELNS0_4arch9wavefront6targetE1EEEvSL_.kd
    .uniform_work_group_size: 1
    .uses_dynamic_stack: false
    .vgpr_count:     0
    .vgpr_spill_count: 0
    .wavefront_size: 64
  - .agpr_count:     0
    .args:
      - .offset:         0
        .size:           48
        .value_kind:     by_value
    .group_segment_fixed_size: 0
    .kernarg_segment_align: 8
    .kernarg_segment_size: 48
    .language:       OpenCL C
    .language_version:
      - 2
      - 0
    .max_flat_workgroup_size: 256
    .name:           _ZN7rocprim17ROCPRIM_400000_NS6detail17trampoline_kernelINS0_14default_configENS1_38merge_sort_block_merge_config_selectorItNS0_10empty_typeEEEZZNS1_27merge_sort_block_merge_implIS3_N6thrust23THRUST_200600_302600_NS6detail15normal_iteratorINS9_10device_ptrItEEEEPS5_jNS1_19radix_merge_compareILb0ELb1EtNS0_19identity_decomposerEEEEE10hipError_tT0_T1_T2_jT3_P12ihipStream_tbPNSt15iterator_traitsISK_E10value_typeEPNSQ_ISL_E10value_typeEPSM_NS1_7vsmem_tEENKUlT_SK_SL_SM_E_clIPtSE_SF_SF_EESJ_SZ_SK_SL_SM_EUlSZ_E1_NS1_11comp_targetILNS1_3genE9ELNS1_11target_archE1100ELNS1_3gpuE3ELNS1_3repE0EEENS1_36merge_oddeven_config_static_selectorELNS0_4arch9wavefront6targetE1EEEvSL_
    .private_segment_fixed_size: 0
    .sgpr_count:     6
    .sgpr_spill_count: 0
    .symbol:         _ZN7rocprim17ROCPRIM_400000_NS6detail17trampoline_kernelINS0_14default_configENS1_38merge_sort_block_merge_config_selectorItNS0_10empty_typeEEEZZNS1_27merge_sort_block_merge_implIS3_N6thrust23THRUST_200600_302600_NS6detail15normal_iteratorINS9_10device_ptrItEEEEPS5_jNS1_19radix_merge_compareILb0ELb1EtNS0_19identity_decomposerEEEEE10hipError_tT0_T1_T2_jT3_P12ihipStream_tbPNSt15iterator_traitsISK_E10value_typeEPNSQ_ISL_E10value_typeEPSM_NS1_7vsmem_tEENKUlT_SK_SL_SM_E_clIPtSE_SF_SF_EESJ_SZ_SK_SL_SM_EUlSZ_E1_NS1_11comp_targetILNS1_3genE9ELNS1_11target_archE1100ELNS1_3gpuE3ELNS1_3repE0EEENS1_36merge_oddeven_config_static_selectorELNS0_4arch9wavefront6targetE1EEEvSL_.kd
    .uniform_work_group_size: 1
    .uses_dynamic_stack: false
    .vgpr_count:     0
    .vgpr_spill_count: 0
    .wavefront_size: 64
  - .agpr_count:     0
    .args:
      - .offset:         0
        .size:           48
        .value_kind:     by_value
    .group_segment_fixed_size: 0
    .kernarg_segment_align: 8
    .kernarg_segment_size: 48
    .language:       OpenCL C
    .language_version:
      - 2
      - 0
    .max_flat_workgroup_size: 256
    .name:           _ZN7rocprim17ROCPRIM_400000_NS6detail17trampoline_kernelINS0_14default_configENS1_38merge_sort_block_merge_config_selectorItNS0_10empty_typeEEEZZNS1_27merge_sort_block_merge_implIS3_N6thrust23THRUST_200600_302600_NS6detail15normal_iteratorINS9_10device_ptrItEEEEPS5_jNS1_19radix_merge_compareILb0ELb1EtNS0_19identity_decomposerEEEEE10hipError_tT0_T1_T2_jT3_P12ihipStream_tbPNSt15iterator_traitsISK_E10value_typeEPNSQ_ISL_E10value_typeEPSM_NS1_7vsmem_tEENKUlT_SK_SL_SM_E_clIPtSE_SF_SF_EESJ_SZ_SK_SL_SM_EUlSZ_E1_NS1_11comp_targetILNS1_3genE8ELNS1_11target_archE1030ELNS1_3gpuE2ELNS1_3repE0EEENS1_36merge_oddeven_config_static_selectorELNS0_4arch9wavefront6targetE1EEEvSL_
    .private_segment_fixed_size: 0
    .sgpr_count:     6
    .sgpr_spill_count: 0
    .symbol:         _ZN7rocprim17ROCPRIM_400000_NS6detail17trampoline_kernelINS0_14default_configENS1_38merge_sort_block_merge_config_selectorItNS0_10empty_typeEEEZZNS1_27merge_sort_block_merge_implIS3_N6thrust23THRUST_200600_302600_NS6detail15normal_iteratorINS9_10device_ptrItEEEEPS5_jNS1_19radix_merge_compareILb0ELb1EtNS0_19identity_decomposerEEEEE10hipError_tT0_T1_T2_jT3_P12ihipStream_tbPNSt15iterator_traitsISK_E10value_typeEPNSQ_ISL_E10value_typeEPSM_NS1_7vsmem_tEENKUlT_SK_SL_SM_E_clIPtSE_SF_SF_EESJ_SZ_SK_SL_SM_EUlSZ_E1_NS1_11comp_targetILNS1_3genE8ELNS1_11target_archE1030ELNS1_3gpuE2ELNS1_3repE0EEENS1_36merge_oddeven_config_static_selectorELNS0_4arch9wavefront6targetE1EEEvSL_.kd
    .uniform_work_group_size: 1
    .uses_dynamic_stack: false
    .vgpr_count:     0
    .vgpr_spill_count: 0
    .wavefront_size: 64
  - .agpr_count:     0
    .args:
      - .offset:         0
        .size:           40
        .value_kind:     by_value
    .group_segment_fixed_size: 0
    .kernarg_segment_align: 8
    .kernarg_segment_size: 40
    .language:       OpenCL C
    .language_version:
      - 2
      - 0
    .max_flat_workgroup_size: 128
    .name:           _ZN7rocprim17ROCPRIM_400000_NS6detail17trampoline_kernelINS0_14default_configENS1_38merge_sort_block_merge_config_selectorItNS0_10empty_typeEEEZZNS1_27merge_sort_block_merge_implIS3_N6thrust23THRUST_200600_302600_NS6detail15normal_iteratorINS9_10device_ptrItEEEEPS5_jNS1_19radix_merge_compareILb0ELb1EtNS0_19identity_decomposerEEEEE10hipError_tT0_T1_T2_jT3_P12ihipStream_tbPNSt15iterator_traitsISK_E10value_typeEPNSQ_ISL_E10value_typeEPSM_NS1_7vsmem_tEENKUlT_SK_SL_SM_E_clISE_PtSF_SF_EESJ_SZ_SK_SL_SM_EUlSZ_E_NS1_11comp_targetILNS1_3genE0ELNS1_11target_archE4294967295ELNS1_3gpuE0ELNS1_3repE0EEENS1_48merge_mergepath_partition_config_static_selectorELNS0_4arch9wavefront6targetE1EEEvSL_
    .private_segment_fixed_size: 0
    .sgpr_count:     6
    .sgpr_spill_count: 0
    .symbol:         _ZN7rocprim17ROCPRIM_400000_NS6detail17trampoline_kernelINS0_14default_configENS1_38merge_sort_block_merge_config_selectorItNS0_10empty_typeEEEZZNS1_27merge_sort_block_merge_implIS3_N6thrust23THRUST_200600_302600_NS6detail15normal_iteratorINS9_10device_ptrItEEEEPS5_jNS1_19radix_merge_compareILb0ELb1EtNS0_19identity_decomposerEEEEE10hipError_tT0_T1_T2_jT3_P12ihipStream_tbPNSt15iterator_traitsISK_E10value_typeEPNSQ_ISL_E10value_typeEPSM_NS1_7vsmem_tEENKUlT_SK_SL_SM_E_clISE_PtSF_SF_EESJ_SZ_SK_SL_SM_EUlSZ_E_NS1_11comp_targetILNS1_3genE0ELNS1_11target_archE4294967295ELNS1_3gpuE0ELNS1_3repE0EEENS1_48merge_mergepath_partition_config_static_selectorELNS0_4arch9wavefront6targetE1EEEvSL_.kd
    .uniform_work_group_size: 1
    .uses_dynamic_stack: false
    .vgpr_count:     0
    .vgpr_spill_count: 0
    .wavefront_size: 64
  - .agpr_count:     0
    .args:
      - .offset:         0
        .size:           40
        .value_kind:     by_value
    .group_segment_fixed_size: 0
    .kernarg_segment_align: 8
    .kernarg_segment_size: 40
    .language:       OpenCL C
    .language_version:
      - 2
      - 0
    .max_flat_workgroup_size: 128
    .name:           _ZN7rocprim17ROCPRIM_400000_NS6detail17trampoline_kernelINS0_14default_configENS1_38merge_sort_block_merge_config_selectorItNS0_10empty_typeEEEZZNS1_27merge_sort_block_merge_implIS3_N6thrust23THRUST_200600_302600_NS6detail15normal_iteratorINS9_10device_ptrItEEEEPS5_jNS1_19radix_merge_compareILb0ELb1EtNS0_19identity_decomposerEEEEE10hipError_tT0_T1_T2_jT3_P12ihipStream_tbPNSt15iterator_traitsISK_E10value_typeEPNSQ_ISL_E10value_typeEPSM_NS1_7vsmem_tEENKUlT_SK_SL_SM_E_clISE_PtSF_SF_EESJ_SZ_SK_SL_SM_EUlSZ_E_NS1_11comp_targetILNS1_3genE10ELNS1_11target_archE1201ELNS1_3gpuE5ELNS1_3repE0EEENS1_48merge_mergepath_partition_config_static_selectorELNS0_4arch9wavefront6targetE1EEEvSL_
    .private_segment_fixed_size: 0
    .sgpr_count:     6
    .sgpr_spill_count: 0
    .symbol:         _ZN7rocprim17ROCPRIM_400000_NS6detail17trampoline_kernelINS0_14default_configENS1_38merge_sort_block_merge_config_selectorItNS0_10empty_typeEEEZZNS1_27merge_sort_block_merge_implIS3_N6thrust23THRUST_200600_302600_NS6detail15normal_iteratorINS9_10device_ptrItEEEEPS5_jNS1_19radix_merge_compareILb0ELb1EtNS0_19identity_decomposerEEEEE10hipError_tT0_T1_T2_jT3_P12ihipStream_tbPNSt15iterator_traitsISK_E10value_typeEPNSQ_ISL_E10value_typeEPSM_NS1_7vsmem_tEENKUlT_SK_SL_SM_E_clISE_PtSF_SF_EESJ_SZ_SK_SL_SM_EUlSZ_E_NS1_11comp_targetILNS1_3genE10ELNS1_11target_archE1201ELNS1_3gpuE5ELNS1_3repE0EEENS1_48merge_mergepath_partition_config_static_selectorELNS0_4arch9wavefront6targetE1EEEvSL_.kd
    .uniform_work_group_size: 1
    .uses_dynamic_stack: false
    .vgpr_count:     0
    .vgpr_spill_count: 0
    .wavefront_size: 64
  - .agpr_count:     0
    .args:
      - .offset:         0
        .size:           40
        .value_kind:     by_value
    .group_segment_fixed_size: 0
    .kernarg_segment_align: 8
    .kernarg_segment_size: 40
    .language:       OpenCL C
    .language_version:
      - 2
      - 0
    .max_flat_workgroup_size: 128
    .name:           _ZN7rocprim17ROCPRIM_400000_NS6detail17trampoline_kernelINS0_14default_configENS1_38merge_sort_block_merge_config_selectorItNS0_10empty_typeEEEZZNS1_27merge_sort_block_merge_implIS3_N6thrust23THRUST_200600_302600_NS6detail15normal_iteratorINS9_10device_ptrItEEEEPS5_jNS1_19radix_merge_compareILb0ELb1EtNS0_19identity_decomposerEEEEE10hipError_tT0_T1_T2_jT3_P12ihipStream_tbPNSt15iterator_traitsISK_E10value_typeEPNSQ_ISL_E10value_typeEPSM_NS1_7vsmem_tEENKUlT_SK_SL_SM_E_clISE_PtSF_SF_EESJ_SZ_SK_SL_SM_EUlSZ_E_NS1_11comp_targetILNS1_3genE5ELNS1_11target_archE942ELNS1_3gpuE9ELNS1_3repE0EEENS1_48merge_mergepath_partition_config_static_selectorELNS0_4arch9wavefront6targetE1EEEvSL_
    .private_segment_fixed_size: 0
    .sgpr_count:     16
    .sgpr_spill_count: 0
    .symbol:         _ZN7rocprim17ROCPRIM_400000_NS6detail17trampoline_kernelINS0_14default_configENS1_38merge_sort_block_merge_config_selectorItNS0_10empty_typeEEEZZNS1_27merge_sort_block_merge_implIS3_N6thrust23THRUST_200600_302600_NS6detail15normal_iteratorINS9_10device_ptrItEEEEPS5_jNS1_19radix_merge_compareILb0ELb1EtNS0_19identity_decomposerEEEEE10hipError_tT0_T1_T2_jT3_P12ihipStream_tbPNSt15iterator_traitsISK_E10value_typeEPNSQ_ISL_E10value_typeEPSM_NS1_7vsmem_tEENKUlT_SK_SL_SM_E_clISE_PtSF_SF_EESJ_SZ_SK_SL_SM_EUlSZ_E_NS1_11comp_targetILNS1_3genE5ELNS1_11target_archE942ELNS1_3gpuE9ELNS1_3repE0EEENS1_48merge_mergepath_partition_config_static_selectorELNS0_4arch9wavefront6targetE1EEEvSL_.kd
    .uniform_work_group_size: 1
    .uses_dynamic_stack: false
    .vgpr_count:     17
    .vgpr_spill_count: 0
    .wavefront_size: 64
  - .agpr_count:     0
    .args:
      - .offset:         0
        .size:           40
        .value_kind:     by_value
    .group_segment_fixed_size: 0
    .kernarg_segment_align: 8
    .kernarg_segment_size: 40
    .language:       OpenCL C
    .language_version:
      - 2
      - 0
    .max_flat_workgroup_size: 128
    .name:           _ZN7rocprim17ROCPRIM_400000_NS6detail17trampoline_kernelINS0_14default_configENS1_38merge_sort_block_merge_config_selectorItNS0_10empty_typeEEEZZNS1_27merge_sort_block_merge_implIS3_N6thrust23THRUST_200600_302600_NS6detail15normal_iteratorINS9_10device_ptrItEEEEPS5_jNS1_19radix_merge_compareILb0ELb1EtNS0_19identity_decomposerEEEEE10hipError_tT0_T1_T2_jT3_P12ihipStream_tbPNSt15iterator_traitsISK_E10value_typeEPNSQ_ISL_E10value_typeEPSM_NS1_7vsmem_tEENKUlT_SK_SL_SM_E_clISE_PtSF_SF_EESJ_SZ_SK_SL_SM_EUlSZ_E_NS1_11comp_targetILNS1_3genE4ELNS1_11target_archE910ELNS1_3gpuE8ELNS1_3repE0EEENS1_48merge_mergepath_partition_config_static_selectorELNS0_4arch9wavefront6targetE1EEEvSL_
    .private_segment_fixed_size: 0
    .sgpr_count:     6
    .sgpr_spill_count: 0
    .symbol:         _ZN7rocprim17ROCPRIM_400000_NS6detail17trampoline_kernelINS0_14default_configENS1_38merge_sort_block_merge_config_selectorItNS0_10empty_typeEEEZZNS1_27merge_sort_block_merge_implIS3_N6thrust23THRUST_200600_302600_NS6detail15normal_iteratorINS9_10device_ptrItEEEEPS5_jNS1_19radix_merge_compareILb0ELb1EtNS0_19identity_decomposerEEEEE10hipError_tT0_T1_T2_jT3_P12ihipStream_tbPNSt15iterator_traitsISK_E10value_typeEPNSQ_ISL_E10value_typeEPSM_NS1_7vsmem_tEENKUlT_SK_SL_SM_E_clISE_PtSF_SF_EESJ_SZ_SK_SL_SM_EUlSZ_E_NS1_11comp_targetILNS1_3genE4ELNS1_11target_archE910ELNS1_3gpuE8ELNS1_3repE0EEENS1_48merge_mergepath_partition_config_static_selectorELNS0_4arch9wavefront6targetE1EEEvSL_.kd
    .uniform_work_group_size: 1
    .uses_dynamic_stack: false
    .vgpr_count:     0
    .vgpr_spill_count: 0
    .wavefront_size: 64
  - .agpr_count:     0
    .args:
      - .offset:         0
        .size:           40
        .value_kind:     by_value
    .group_segment_fixed_size: 0
    .kernarg_segment_align: 8
    .kernarg_segment_size: 40
    .language:       OpenCL C
    .language_version:
      - 2
      - 0
    .max_flat_workgroup_size: 128
    .name:           _ZN7rocprim17ROCPRIM_400000_NS6detail17trampoline_kernelINS0_14default_configENS1_38merge_sort_block_merge_config_selectorItNS0_10empty_typeEEEZZNS1_27merge_sort_block_merge_implIS3_N6thrust23THRUST_200600_302600_NS6detail15normal_iteratorINS9_10device_ptrItEEEEPS5_jNS1_19radix_merge_compareILb0ELb1EtNS0_19identity_decomposerEEEEE10hipError_tT0_T1_T2_jT3_P12ihipStream_tbPNSt15iterator_traitsISK_E10value_typeEPNSQ_ISL_E10value_typeEPSM_NS1_7vsmem_tEENKUlT_SK_SL_SM_E_clISE_PtSF_SF_EESJ_SZ_SK_SL_SM_EUlSZ_E_NS1_11comp_targetILNS1_3genE3ELNS1_11target_archE908ELNS1_3gpuE7ELNS1_3repE0EEENS1_48merge_mergepath_partition_config_static_selectorELNS0_4arch9wavefront6targetE1EEEvSL_
    .private_segment_fixed_size: 0
    .sgpr_count:     6
    .sgpr_spill_count: 0
    .symbol:         _ZN7rocprim17ROCPRIM_400000_NS6detail17trampoline_kernelINS0_14default_configENS1_38merge_sort_block_merge_config_selectorItNS0_10empty_typeEEEZZNS1_27merge_sort_block_merge_implIS3_N6thrust23THRUST_200600_302600_NS6detail15normal_iteratorINS9_10device_ptrItEEEEPS5_jNS1_19radix_merge_compareILb0ELb1EtNS0_19identity_decomposerEEEEE10hipError_tT0_T1_T2_jT3_P12ihipStream_tbPNSt15iterator_traitsISK_E10value_typeEPNSQ_ISL_E10value_typeEPSM_NS1_7vsmem_tEENKUlT_SK_SL_SM_E_clISE_PtSF_SF_EESJ_SZ_SK_SL_SM_EUlSZ_E_NS1_11comp_targetILNS1_3genE3ELNS1_11target_archE908ELNS1_3gpuE7ELNS1_3repE0EEENS1_48merge_mergepath_partition_config_static_selectorELNS0_4arch9wavefront6targetE1EEEvSL_.kd
    .uniform_work_group_size: 1
    .uses_dynamic_stack: false
    .vgpr_count:     0
    .vgpr_spill_count: 0
    .wavefront_size: 64
  - .agpr_count:     0
    .args:
      - .offset:         0
        .size:           40
        .value_kind:     by_value
    .group_segment_fixed_size: 0
    .kernarg_segment_align: 8
    .kernarg_segment_size: 40
    .language:       OpenCL C
    .language_version:
      - 2
      - 0
    .max_flat_workgroup_size: 128
    .name:           _ZN7rocprim17ROCPRIM_400000_NS6detail17trampoline_kernelINS0_14default_configENS1_38merge_sort_block_merge_config_selectorItNS0_10empty_typeEEEZZNS1_27merge_sort_block_merge_implIS3_N6thrust23THRUST_200600_302600_NS6detail15normal_iteratorINS9_10device_ptrItEEEEPS5_jNS1_19radix_merge_compareILb0ELb1EtNS0_19identity_decomposerEEEEE10hipError_tT0_T1_T2_jT3_P12ihipStream_tbPNSt15iterator_traitsISK_E10value_typeEPNSQ_ISL_E10value_typeEPSM_NS1_7vsmem_tEENKUlT_SK_SL_SM_E_clISE_PtSF_SF_EESJ_SZ_SK_SL_SM_EUlSZ_E_NS1_11comp_targetILNS1_3genE2ELNS1_11target_archE906ELNS1_3gpuE6ELNS1_3repE0EEENS1_48merge_mergepath_partition_config_static_selectorELNS0_4arch9wavefront6targetE1EEEvSL_
    .private_segment_fixed_size: 0
    .sgpr_count:     6
    .sgpr_spill_count: 0
    .symbol:         _ZN7rocprim17ROCPRIM_400000_NS6detail17trampoline_kernelINS0_14default_configENS1_38merge_sort_block_merge_config_selectorItNS0_10empty_typeEEEZZNS1_27merge_sort_block_merge_implIS3_N6thrust23THRUST_200600_302600_NS6detail15normal_iteratorINS9_10device_ptrItEEEEPS5_jNS1_19radix_merge_compareILb0ELb1EtNS0_19identity_decomposerEEEEE10hipError_tT0_T1_T2_jT3_P12ihipStream_tbPNSt15iterator_traitsISK_E10value_typeEPNSQ_ISL_E10value_typeEPSM_NS1_7vsmem_tEENKUlT_SK_SL_SM_E_clISE_PtSF_SF_EESJ_SZ_SK_SL_SM_EUlSZ_E_NS1_11comp_targetILNS1_3genE2ELNS1_11target_archE906ELNS1_3gpuE6ELNS1_3repE0EEENS1_48merge_mergepath_partition_config_static_selectorELNS0_4arch9wavefront6targetE1EEEvSL_.kd
    .uniform_work_group_size: 1
    .uses_dynamic_stack: false
    .vgpr_count:     0
    .vgpr_spill_count: 0
    .wavefront_size: 64
  - .agpr_count:     0
    .args:
      - .offset:         0
        .size:           40
        .value_kind:     by_value
    .group_segment_fixed_size: 0
    .kernarg_segment_align: 8
    .kernarg_segment_size: 40
    .language:       OpenCL C
    .language_version:
      - 2
      - 0
    .max_flat_workgroup_size: 128
    .name:           _ZN7rocprim17ROCPRIM_400000_NS6detail17trampoline_kernelINS0_14default_configENS1_38merge_sort_block_merge_config_selectorItNS0_10empty_typeEEEZZNS1_27merge_sort_block_merge_implIS3_N6thrust23THRUST_200600_302600_NS6detail15normal_iteratorINS9_10device_ptrItEEEEPS5_jNS1_19radix_merge_compareILb0ELb1EtNS0_19identity_decomposerEEEEE10hipError_tT0_T1_T2_jT3_P12ihipStream_tbPNSt15iterator_traitsISK_E10value_typeEPNSQ_ISL_E10value_typeEPSM_NS1_7vsmem_tEENKUlT_SK_SL_SM_E_clISE_PtSF_SF_EESJ_SZ_SK_SL_SM_EUlSZ_E_NS1_11comp_targetILNS1_3genE9ELNS1_11target_archE1100ELNS1_3gpuE3ELNS1_3repE0EEENS1_48merge_mergepath_partition_config_static_selectorELNS0_4arch9wavefront6targetE1EEEvSL_
    .private_segment_fixed_size: 0
    .sgpr_count:     6
    .sgpr_spill_count: 0
    .symbol:         _ZN7rocprim17ROCPRIM_400000_NS6detail17trampoline_kernelINS0_14default_configENS1_38merge_sort_block_merge_config_selectorItNS0_10empty_typeEEEZZNS1_27merge_sort_block_merge_implIS3_N6thrust23THRUST_200600_302600_NS6detail15normal_iteratorINS9_10device_ptrItEEEEPS5_jNS1_19radix_merge_compareILb0ELb1EtNS0_19identity_decomposerEEEEE10hipError_tT0_T1_T2_jT3_P12ihipStream_tbPNSt15iterator_traitsISK_E10value_typeEPNSQ_ISL_E10value_typeEPSM_NS1_7vsmem_tEENKUlT_SK_SL_SM_E_clISE_PtSF_SF_EESJ_SZ_SK_SL_SM_EUlSZ_E_NS1_11comp_targetILNS1_3genE9ELNS1_11target_archE1100ELNS1_3gpuE3ELNS1_3repE0EEENS1_48merge_mergepath_partition_config_static_selectorELNS0_4arch9wavefront6targetE1EEEvSL_.kd
    .uniform_work_group_size: 1
    .uses_dynamic_stack: false
    .vgpr_count:     0
    .vgpr_spill_count: 0
    .wavefront_size: 64
  - .agpr_count:     0
    .args:
      - .offset:         0
        .size:           40
        .value_kind:     by_value
    .group_segment_fixed_size: 0
    .kernarg_segment_align: 8
    .kernarg_segment_size: 40
    .language:       OpenCL C
    .language_version:
      - 2
      - 0
    .max_flat_workgroup_size: 128
    .name:           _ZN7rocprim17ROCPRIM_400000_NS6detail17trampoline_kernelINS0_14default_configENS1_38merge_sort_block_merge_config_selectorItNS0_10empty_typeEEEZZNS1_27merge_sort_block_merge_implIS3_N6thrust23THRUST_200600_302600_NS6detail15normal_iteratorINS9_10device_ptrItEEEEPS5_jNS1_19radix_merge_compareILb0ELb1EtNS0_19identity_decomposerEEEEE10hipError_tT0_T1_T2_jT3_P12ihipStream_tbPNSt15iterator_traitsISK_E10value_typeEPNSQ_ISL_E10value_typeEPSM_NS1_7vsmem_tEENKUlT_SK_SL_SM_E_clISE_PtSF_SF_EESJ_SZ_SK_SL_SM_EUlSZ_E_NS1_11comp_targetILNS1_3genE8ELNS1_11target_archE1030ELNS1_3gpuE2ELNS1_3repE0EEENS1_48merge_mergepath_partition_config_static_selectorELNS0_4arch9wavefront6targetE1EEEvSL_
    .private_segment_fixed_size: 0
    .sgpr_count:     6
    .sgpr_spill_count: 0
    .symbol:         _ZN7rocprim17ROCPRIM_400000_NS6detail17trampoline_kernelINS0_14default_configENS1_38merge_sort_block_merge_config_selectorItNS0_10empty_typeEEEZZNS1_27merge_sort_block_merge_implIS3_N6thrust23THRUST_200600_302600_NS6detail15normal_iteratorINS9_10device_ptrItEEEEPS5_jNS1_19radix_merge_compareILb0ELb1EtNS0_19identity_decomposerEEEEE10hipError_tT0_T1_T2_jT3_P12ihipStream_tbPNSt15iterator_traitsISK_E10value_typeEPNSQ_ISL_E10value_typeEPSM_NS1_7vsmem_tEENKUlT_SK_SL_SM_E_clISE_PtSF_SF_EESJ_SZ_SK_SL_SM_EUlSZ_E_NS1_11comp_targetILNS1_3genE8ELNS1_11target_archE1030ELNS1_3gpuE2ELNS1_3repE0EEENS1_48merge_mergepath_partition_config_static_selectorELNS0_4arch9wavefront6targetE1EEEvSL_.kd
    .uniform_work_group_size: 1
    .uses_dynamic_stack: false
    .vgpr_count:     0
    .vgpr_spill_count: 0
    .wavefront_size: 64
  - .agpr_count:     0
    .args:
      - .offset:         0
        .size:           64
        .value_kind:     by_value
    .group_segment_fixed_size: 0
    .kernarg_segment_align: 8
    .kernarg_segment_size: 64
    .language:       OpenCL C
    .language_version:
      - 2
      - 0
    .max_flat_workgroup_size: 128
    .name:           _ZN7rocprim17ROCPRIM_400000_NS6detail17trampoline_kernelINS0_14default_configENS1_38merge_sort_block_merge_config_selectorItNS0_10empty_typeEEEZZNS1_27merge_sort_block_merge_implIS3_N6thrust23THRUST_200600_302600_NS6detail15normal_iteratorINS9_10device_ptrItEEEEPS5_jNS1_19radix_merge_compareILb0ELb1EtNS0_19identity_decomposerEEEEE10hipError_tT0_T1_T2_jT3_P12ihipStream_tbPNSt15iterator_traitsISK_E10value_typeEPNSQ_ISL_E10value_typeEPSM_NS1_7vsmem_tEENKUlT_SK_SL_SM_E_clISE_PtSF_SF_EESJ_SZ_SK_SL_SM_EUlSZ_E0_NS1_11comp_targetILNS1_3genE0ELNS1_11target_archE4294967295ELNS1_3gpuE0ELNS1_3repE0EEENS1_38merge_mergepath_config_static_selectorELNS0_4arch9wavefront6targetE1EEEvSL_
    .private_segment_fixed_size: 0
    .sgpr_count:     6
    .sgpr_spill_count: 0
    .symbol:         _ZN7rocprim17ROCPRIM_400000_NS6detail17trampoline_kernelINS0_14default_configENS1_38merge_sort_block_merge_config_selectorItNS0_10empty_typeEEEZZNS1_27merge_sort_block_merge_implIS3_N6thrust23THRUST_200600_302600_NS6detail15normal_iteratorINS9_10device_ptrItEEEEPS5_jNS1_19radix_merge_compareILb0ELb1EtNS0_19identity_decomposerEEEEE10hipError_tT0_T1_T2_jT3_P12ihipStream_tbPNSt15iterator_traitsISK_E10value_typeEPNSQ_ISL_E10value_typeEPSM_NS1_7vsmem_tEENKUlT_SK_SL_SM_E_clISE_PtSF_SF_EESJ_SZ_SK_SL_SM_EUlSZ_E0_NS1_11comp_targetILNS1_3genE0ELNS1_11target_archE4294967295ELNS1_3gpuE0ELNS1_3repE0EEENS1_38merge_mergepath_config_static_selectorELNS0_4arch9wavefront6targetE1EEEvSL_.kd
    .uniform_work_group_size: 1
    .uses_dynamic_stack: false
    .vgpr_count:     0
    .vgpr_spill_count: 0
    .wavefront_size: 64
  - .agpr_count:     0
    .args:
      - .offset:         0
        .size:           64
        .value_kind:     by_value
    .group_segment_fixed_size: 0
    .kernarg_segment_align: 8
    .kernarg_segment_size: 64
    .language:       OpenCL C
    .language_version:
      - 2
      - 0
    .max_flat_workgroup_size: 128
    .name:           _ZN7rocprim17ROCPRIM_400000_NS6detail17trampoline_kernelINS0_14default_configENS1_38merge_sort_block_merge_config_selectorItNS0_10empty_typeEEEZZNS1_27merge_sort_block_merge_implIS3_N6thrust23THRUST_200600_302600_NS6detail15normal_iteratorINS9_10device_ptrItEEEEPS5_jNS1_19radix_merge_compareILb0ELb1EtNS0_19identity_decomposerEEEEE10hipError_tT0_T1_T2_jT3_P12ihipStream_tbPNSt15iterator_traitsISK_E10value_typeEPNSQ_ISL_E10value_typeEPSM_NS1_7vsmem_tEENKUlT_SK_SL_SM_E_clISE_PtSF_SF_EESJ_SZ_SK_SL_SM_EUlSZ_E0_NS1_11comp_targetILNS1_3genE10ELNS1_11target_archE1201ELNS1_3gpuE5ELNS1_3repE0EEENS1_38merge_mergepath_config_static_selectorELNS0_4arch9wavefront6targetE1EEEvSL_
    .private_segment_fixed_size: 0
    .sgpr_count:     6
    .sgpr_spill_count: 0
    .symbol:         _ZN7rocprim17ROCPRIM_400000_NS6detail17trampoline_kernelINS0_14default_configENS1_38merge_sort_block_merge_config_selectorItNS0_10empty_typeEEEZZNS1_27merge_sort_block_merge_implIS3_N6thrust23THRUST_200600_302600_NS6detail15normal_iteratorINS9_10device_ptrItEEEEPS5_jNS1_19radix_merge_compareILb0ELb1EtNS0_19identity_decomposerEEEEE10hipError_tT0_T1_T2_jT3_P12ihipStream_tbPNSt15iterator_traitsISK_E10value_typeEPNSQ_ISL_E10value_typeEPSM_NS1_7vsmem_tEENKUlT_SK_SL_SM_E_clISE_PtSF_SF_EESJ_SZ_SK_SL_SM_EUlSZ_E0_NS1_11comp_targetILNS1_3genE10ELNS1_11target_archE1201ELNS1_3gpuE5ELNS1_3repE0EEENS1_38merge_mergepath_config_static_selectorELNS0_4arch9wavefront6targetE1EEEvSL_.kd
    .uniform_work_group_size: 1
    .uses_dynamic_stack: false
    .vgpr_count:     0
    .vgpr_spill_count: 0
    .wavefront_size: 64
  - .agpr_count:     0
    .args:
      - .offset:         0
        .size:           64
        .value_kind:     by_value
      - .offset:         64
        .size:           4
        .value_kind:     hidden_block_count_x
      - .offset:         68
        .size:           4
        .value_kind:     hidden_block_count_y
      - .offset:         72
        .size:           4
        .value_kind:     hidden_block_count_z
      - .offset:         76
        .size:           2
        .value_kind:     hidden_group_size_x
      - .offset:         78
        .size:           2
        .value_kind:     hidden_group_size_y
      - .offset:         80
        .size:           2
        .value_kind:     hidden_group_size_z
      - .offset:         82
        .size:           2
        .value_kind:     hidden_remainder_x
      - .offset:         84
        .size:           2
        .value_kind:     hidden_remainder_y
      - .offset:         86
        .size:           2
        .value_kind:     hidden_remainder_z
      - .offset:         104
        .size:           8
        .value_kind:     hidden_global_offset_x
      - .offset:         112
        .size:           8
        .value_kind:     hidden_global_offset_y
      - .offset:         120
        .size:           8
        .value_kind:     hidden_global_offset_z
      - .offset:         128
        .size:           2
        .value_kind:     hidden_grid_dims
    .group_segment_fixed_size: 2112
    .kernarg_segment_align: 8
    .kernarg_segment_size: 320
    .language:       OpenCL C
    .language_version:
      - 2
      - 0
    .max_flat_workgroup_size: 128
    .name:           _ZN7rocprim17ROCPRIM_400000_NS6detail17trampoline_kernelINS0_14default_configENS1_38merge_sort_block_merge_config_selectorItNS0_10empty_typeEEEZZNS1_27merge_sort_block_merge_implIS3_N6thrust23THRUST_200600_302600_NS6detail15normal_iteratorINS9_10device_ptrItEEEEPS5_jNS1_19radix_merge_compareILb0ELb1EtNS0_19identity_decomposerEEEEE10hipError_tT0_T1_T2_jT3_P12ihipStream_tbPNSt15iterator_traitsISK_E10value_typeEPNSQ_ISL_E10value_typeEPSM_NS1_7vsmem_tEENKUlT_SK_SL_SM_E_clISE_PtSF_SF_EESJ_SZ_SK_SL_SM_EUlSZ_E0_NS1_11comp_targetILNS1_3genE5ELNS1_11target_archE942ELNS1_3gpuE9ELNS1_3repE0EEENS1_38merge_mergepath_config_static_selectorELNS0_4arch9wavefront6targetE1EEEvSL_
    .private_segment_fixed_size: 0
    .sgpr_count:     30
    .sgpr_spill_count: 0
    .symbol:         _ZN7rocprim17ROCPRIM_400000_NS6detail17trampoline_kernelINS0_14default_configENS1_38merge_sort_block_merge_config_selectorItNS0_10empty_typeEEEZZNS1_27merge_sort_block_merge_implIS3_N6thrust23THRUST_200600_302600_NS6detail15normal_iteratorINS9_10device_ptrItEEEEPS5_jNS1_19radix_merge_compareILb0ELb1EtNS0_19identity_decomposerEEEEE10hipError_tT0_T1_T2_jT3_P12ihipStream_tbPNSt15iterator_traitsISK_E10value_typeEPNSQ_ISL_E10value_typeEPSM_NS1_7vsmem_tEENKUlT_SK_SL_SM_E_clISE_PtSF_SF_EESJ_SZ_SK_SL_SM_EUlSZ_E0_NS1_11comp_targetILNS1_3genE5ELNS1_11target_archE942ELNS1_3gpuE9ELNS1_3repE0EEENS1_38merge_mergepath_config_static_selectorELNS0_4arch9wavefront6targetE1EEEvSL_.kd
    .uniform_work_group_size: 1
    .uses_dynamic_stack: false
    .vgpr_count:     26
    .vgpr_spill_count: 0
    .wavefront_size: 64
  - .agpr_count:     0
    .args:
      - .offset:         0
        .size:           64
        .value_kind:     by_value
    .group_segment_fixed_size: 0
    .kernarg_segment_align: 8
    .kernarg_segment_size: 64
    .language:       OpenCL C
    .language_version:
      - 2
      - 0
    .max_flat_workgroup_size: 128
    .name:           _ZN7rocprim17ROCPRIM_400000_NS6detail17trampoline_kernelINS0_14default_configENS1_38merge_sort_block_merge_config_selectorItNS0_10empty_typeEEEZZNS1_27merge_sort_block_merge_implIS3_N6thrust23THRUST_200600_302600_NS6detail15normal_iteratorINS9_10device_ptrItEEEEPS5_jNS1_19radix_merge_compareILb0ELb1EtNS0_19identity_decomposerEEEEE10hipError_tT0_T1_T2_jT3_P12ihipStream_tbPNSt15iterator_traitsISK_E10value_typeEPNSQ_ISL_E10value_typeEPSM_NS1_7vsmem_tEENKUlT_SK_SL_SM_E_clISE_PtSF_SF_EESJ_SZ_SK_SL_SM_EUlSZ_E0_NS1_11comp_targetILNS1_3genE4ELNS1_11target_archE910ELNS1_3gpuE8ELNS1_3repE0EEENS1_38merge_mergepath_config_static_selectorELNS0_4arch9wavefront6targetE1EEEvSL_
    .private_segment_fixed_size: 0
    .sgpr_count:     6
    .sgpr_spill_count: 0
    .symbol:         _ZN7rocprim17ROCPRIM_400000_NS6detail17trampoline_kernelINS0_14default_configENS1_38merge_sort_block_merge_config_selectorItNS0_10empty_typeEEEZZNS1_27merge_sort_block_merge_implIS3_N6thrust23THRUST_200600_302600_NS6detail15normal_iteratorINS9_10device_ptrItEEEEPS5_jNS1_19radix_merge_compareILb0ELb1EtNS0_19identity_decomposerEEEEE10hipError_tT0_T1_T2_jT3_P12ihipStream_tbPNSt15iterator_traitsISK_E10value_typeEPNSQ_ISL_E10value_typeEPSM_NS1_7vsmem_tEENKUlT_SK_SL_SM_E_clISE_PtSF_SF_EESJ_SZ_SK_SL_SM_EUlSZ_E0_NS1_11comp_targetILNS1_3genE4ELNS1_11target_archE910ELNS1_3gpuE8ELNS1_3repE0EEENS1_38merge_mergepath_config_static_selectorELNS0_4arch9wavefront6targetE1EEEvSL_.kd
    .uniform_work_group_size: 1
    .uses_dynamic_stack: false
    .vgpr_count:     0
    .vgpr_spill_count: 0
    .wavefront_size: 64
  - .agpr_count:     0
    .args:
      - .offset:         0
        .size:           64
        .value_kind:     by_value
    .group_segment_fixed_size: 0
    .kernarg_segment_align: 8
    .kernarg_segment_size: 64
    .language:       OpenCL C
    .language_version:
      - 2
      - 0
    .max_flat_workgroup_size: 128
    .name:           _ZN7rocprim17ROCPRIM_400000_NS6detail17trampoline_kernelINS0_14default_configENS1_38merge_sort_block_merge_config_selectorItNS0_10empty_typeEEEZZNS1_27merge_sort_block_merge_implIS3_N6thrust23THRUST_200600_302600_NS6detail15normal_iteratorINS9_10device_ptrItEEEEPS5_jNS1_19radix_merge_compareILb0ELb1EtNS0_19identity_decomposerEEEEE10hipError_tT0_T1_T2_jT3_P12ihipStream_tbPNSt15iterator_traitsISK_E10value_typeEPNSQ_ISL_E10value_typeEPSM_NS1_7vsmem_tEENKUlT_SK_SL_SM_E_clISE_PtSF_SF_EESJ_SZ_SK_SL_SM_EUlSZ_E0_NS1_11comp_targetILNS1_3genE3ELNS1_11target_archE908ELNS1_3gpuE7ELNS1_3repE0EEENS1_38merge_mergepath_config_static_selectorELNS0_4arch9wavefront6targetE1EEEvSL_
    .private_segment_fixed_size: 0
    .sgpr_count:     6
    .sgpr_spill_count: 0
    .symbol:         _ZN7rocprim17ROCPRIM_400000_NS6detail17trampoline_kernelINS0_14default_configENS1_38merge_sort_block_merge_config_selectorItNS0_10empty_typeEEEZZNS1_27merge_sort_block_merge_implIS3_N6thrust23THRUST_200600_302600_NS6detail15normal_iteratorINS9_10device_ptrItEEEEPS5_jNS1_19radix_merge_compareILb0ELb1EtNS0_19identity_decomposerEEEEE10hipError_tT0_T1_T2_jT3_P12ihipStream_tbPNSt15iterator_traitsISK_E10value_typeEPNSQ_ISL_E10value_typeEPSM_NS1_7vsmem_tEENKUlT_SK_SL_SM_E_clISE_PtSF_SF_EESJ_SZ_SK_SL_SM_EUlSZ_E0_NS1_11comp_targetILNS1_3genE3ELNS1_11target_archE908ELNS1_3gpuE7ELNS1_3repE0EEENS1_38merge_mergepath_config_static_selectorELNS0_4arch9wavefront6targetE1EEEvSL_.kd
    .uniform_work_group_size: 1
    .uses_dynamic_stack: false
    .vgpr_count:     0
    .vgpr_spill_count: 0
    .wavefront_size: 64
  - .agpr_count:     0
    .args:
      - .offset:         0
        .size:           64
        .value_kind:     by_value
    .group_segment_fixed_size: 0
    .kernarg_segment_align: 8
    .kernarg_segment_size: 64
    .language:       OpenCL C
    .language_version:
      - 2
      - 0
    .max_flat_workgroup_size: 128
    .name:           _ZN7rocprim17ROCPRIM_400000_NS6detail17trampoline_kernelINS0_14default_configENS1_38merge_sort_block_merge_config_selectorItNS0_10empty_typeEEEZZNS1_27merge_sort_block_merge_implIS3_N6thrust23THRUST_200600_302600_NS6detail15normal_iteratorINS9_10device_ptrItEEEEPS5_jNS1_19radix_merge_compareILb0ELb1EtNS0_19identity_decomposerEEEEE10hipError_tT0_T1_T2_jT3_P12ihipStream_tbPNSt15iterator_traitsISK_E10value_typeEPNSQ_ISL_E10value_typeEPSM_NS1_7vsmem_tEENKUlT_SK_SL_SM_E_clISE_PtSF_SF_EESJ_SZ_SK_SL_SM_EUlSZ_E0_NS1_11comp_targetILNS1_3genE2ELNS1_11target_archE906ELNS1_3gpuE6ELNS1_3repE0EEENS1_38merge_mergepath_config_static_selectorELNS0_4arch9wavefront6targetE1EEEvSL_
    .private_segment_fixed_size: 0
    .sgpr_count:     6
    .sgpr_spill_count: 0
    .symbol:         _ZN7rocprim17ROCPRIM_400000_NS6detail17trampoline_kernelINS0_14default_configENS1_38merge_sort_block_merge_config_selectorItNS0_10empty_typeEEEZZNS1_27merge_sort_block_merge_implIS3_N6thrust23THRUST_200600_302600_NS6detail15normal_iteratorINS9_10device_ptrItEEEEPS5_jNS1_19radix_merge_compareILb0ELb1EtNS0_19identity_decomposerEEEEE10hipError_tT0_T1_T2_jT3_P12ihipStream_tbPNSt15iterator_traitsISK_E10value_typeEPNSQ_ISL_E10value_typeEPSM_NS1_7vsmem_tEENKUlT_SK_SL_SM_E_clISE_PtSF_SF_EESJ_SZ_SK_SL_SM_EUlSZ_E0_NS1_11comp_targetILNS1_3genE2ELNS1_11target_archE906ELNS1_3gpuE6ELNS1_3repE0EEENS1_38merge_mergepath_config_static_selectorELNS0_4arch9wavefront6targetE1EEEvSL_.kd
    .uniform_work_group_size: 1
    .uses_dynamic_stack: false
    .vgpr_count:     0
    .vgpr_spill_count: 0
    .wavefront_size: 64
  - .agpr_count:     0
    .args:
      - .offset:         0
        .size:           64
        .value_kind:     by_value
    .group_segment_fixed_size: 0
    .kernarg_segment_align: 8
    .kernarg_segment_size: 64
    .language:       OpenCL C
    .language_version:
      - 2
      - 0
    .max_flat_workgroup_size: 128
    .name:           _ZN7rocprim17ROCPRIM_400000_NS6detail17trampoline_kernelINS0_14default_configENS1_38merge_sort_block_merge_config_selectorItNS0_10empty_typeEEEZZNS1_27merge_sort_block_merge_implIS3_N6thrust23THRUST_200600_302600_NS6detail15normal_iteratorINS9_10device_ptrItEEEEPS5_jNS1_19radix_merge_compareILb0ELb1EtNS0_19identity_decomposerEEEEE10hipError_tT0_T1_T2_jT3_P12ihipStream_tbPNSt15iterator_traitsISK_E10value_typeEPNSQ_ISL_E10value_typeEPSM_NS1_7vsmem_tEENKUlT_SK_SL_SM_E_clISE_PtSF_SF_EESJ_SZ_SK_SL_SM_EUlSZ_E0_NS1_11comp_targetILNS1_3genE9ELNS1_11target_archE1100ELNS1_3gpuE3ELNS1_3repE0EEENS1_38merge_mergepath_config_static_selectorELNS0_4arch9wavefront6targetE1EEEvSL_
    .private_segment_fixed_size: 0
    .sgpr_count:     6
    .sgpr_spill_count: 0
    .symbol:         _ZN7rocprim17ROCPRIM_400000_NS6detail17trampoline_kernelINS0_14default_configENS1_38merge_sort_block_merge_config_selectorItNS0_10empty_typeEEEZZNS1_27merge_sort_block_merge_implIS3_N6thrust23THRUST_200600_302600_NS6detail15normal_iteratorINS9_10device_ptrItEEEEPS5_jNS1_19radix_merge_compareILb0ELb1EtNS0_19identity_decomposerEEEEE10hipError_tT0_T1_T2_jT3_P12ihipStream_tbPNSt15iterator_traitsISK_E10value_typeEPNSQ_ISL_E10value_typeEPSM_NS1_7vsmem_tEENKUlT_SK_SL_SM_E_clISE_PtSF_SF_EESJ_SZ_SK_SL_SM_EUlSZ_E0_NS1_11comp_targetILNS1_3genE9ELNS1_11target_archE1100ELNS1_3gpuE3ELNS1_3repE0EEENS1_38merge_mergepath_config_static_selectorELNS0_4arch9wavefront6targetE1EEEvSL_.kd
    .uniform_work_group_size: 1
    .uses_dynamic_stack: false
    .vgpr_count:     0
    .vgpr_spill_count: 0
    .wavefront_size: 64
  - .agpr_count:     0
    .args:
      - .offset:         0
        .size:           64
        .value_kind:     by_value
    .group_segment_fixed_size: 0
    .kernarg_segment_align: 8
    .kernarg_segment_size: 64
    .language:       OpenCL C
    .language_version:
      - 2
      - 0
    .max_flat_workgroup_size: 128
    .name:           _ZN7rocprim17ROCPRIM_400000_NS6detail17trampoline_kernelINS0_14default_configENS1_38merge_sort_block_merge_config_selectorItNS0_10empty_typeEEEZZNS1_27merge_sort_block_merge_implIS3_N6thrust23THRUST_200600_302600_NS6detail15normal_iteratorINS9_10device_ptrItEEEEPS5_jNS1_19radix_merge_compareILb0ELb1EtNS0_19identity_decomposerEEEEE10hipError_tT0_T1_T2_jT3_P12ihipStream_tbPNSt15iterator_traitsISK_E10value_typeEPNSQ_ISL_E10value_typeEPSM_NS1_7vsmem_tEENKUlT_SK_SL_SM_E_clISE_PtSF_SF_EESJ_SZ_SK_SL_SM_EUlSZ_E0_NS1_11comp_targetILNS1_3genE8ELNS1_11target_archE1030ELNS1_3gpuE2ELNS1_3repE0EEENS1_38merge_mergepath_config_static_selectorELNS0_4arch9wavefront6targetE1EEEvSL_
    .private_segment_fixed_size: 0
    .sgpr_count:     6
    .sgpr_spill_count: 0
    .symbol:         _ZN7rocprim17ROCPRIM_400000_NS6detail17trampoline_kernelINS0_14default_configENS1_38merge_sort_block_merge_config_selectorItNS0_10empty_typeEEEZZNS1_27merge_sort_block_merge_implIS3_N6thrust23THRUST_200600_302600_NS6detail15normal_iteratorINS9_10device_ptrItEEEEPS5_jNS1_19radix_merge_compareILb0ELb1EtNS0_19identity_decomposerEEEEE10hipError_tT0_T1_T2_jT3_P12ihipStream_tbPNSt15iterator_traitsISK_E10value_typeEPNSQ_ISL_E10value_typeEPSM_NS1_7vsmem_tEENKUlT_SK_SL_SM_E_clISE_PtSF_SF_EESJ_SZ_SK_SL_SM_EUlSZ_E0_NS1_11comp_targetILNS1_3genE8ELNS1_11target_archE1030ELNS1_3gpuE2ELNS1_3repE0EEENS1_38merge_mergepath_config_static_selectorELNS0_4arch9wavefront6targetE1EEEvSL_.kd
    .uniform_work_group_size: 1
    .uses_dynamic_stack: false
    .vgpr_count:     0
    .vgpr_spill_count: 0
    .wavefront_size: 64
  - .agpr_count:     0
    .args:
      - .offset:         0
        .size:           48
        .value_kind:     by_value
    .group_segment_fixed_size: 0
    .kernarg_segment_align: 8
    .kernarg_segment_size: 48
    .language:       OpenCL C
    .language_version:
      - 2
      - 0
    .max_flat_workgroup_size: 256
    .name:           _ZN7rocprim17ROCPRIM_400000_NS6detail17trampoline_kernelINS0_14default_configENS1_38merge_sort_block_merge_config_selectorItNS0_10empty_typeEEEZZNS1_27merge_sort_block_merge_implIS3_N6thrust23THRUST_200600_302600_NS6detail15normal_iteratorINS9_10device_ptrItEEEEPS5_jNS1_19radix_merge_compareILb0ELb1EtNS0_19identity_decomposerEEEEE10hipError_tT0_T1_T2_jT3_P12ihipStream_tbPNSt15iterator_traitsISK_E10value_typeEPNSQ_ISL_E10value_typeEPSM_NS1_7vsmem_tEENKUlT_SK_SL_SM_E_clISE_PtSF_SF_EESJ_SZ_SK_SL_SM_EUlSZ_E1_NS1_11comp_targetILNS1_3genE0ELNS1_11target_archE4294967295ELNS1_3gpuE0ELNS1_3repE0EEENS1_36merge_oddeven_config_static_selectorELNS0_4arch9wavefront6targetE1EEEvSL_
    .private_segment_fixed_size: 0
    .sgpr_count:     6
    .sgpr_spill_count: 0
    .symbol:         _ZN7rocprim17ROCPRIM_400000_NS6detail17trampoline_kernelINS0_14default_configENS1_38merge_sort_block_merge_config_selectorItNS0_10empty_typeEEEZZNS1_27merge_sort_block_merge_implIS3_N6thrust23THRUST_200600_302600_NS6detail15normal_iteratorINS9_10device_ptrItEEEEPS5_jNS1_19radix_merge_compareILb0ELb1EtNS0_19identity_decomposerEEEEE10hipError_tT0_T1_T2_jT3_P12ihipStream_tbPNSt15iterator_traitsISK_E10value_typeEPNSQ_ISL_E10value_typeEPSM_NS1_7vsmem_tEENKUlT_SK_SL_SM_E_clISE_PtSF_SF_EESJ_SZ_SK_SL_SM_EUlSZ_E1_NS1_11comp_targetILNS1_3genE0ELNS1_11target_archE4294967295ELNS1_3gpuE0ELNS1_3repE0EEENS1_36merge_oddeven_config_static_selectorELNS0_4arch9wavefront6targetE1EEEvSL_.kd
    .uniform_work_group_size: 1
    .uses_dynamic_stack: false
    .vgpr_count:     0
    .vgpr_spill_count: 0
    .wavefront_size: 64
  - .agpr_count:     0
    .args:
      - .offset:         0
        .size:           48
        .value_kind:     by_value
    .group_segment_fixed_size: 0
    .kernarg_segment_align: 8
    .kernarg_segment_size: 48
    .language:       OpenCL C
    .language_version:
      - 2
      - 0
    .max_flat_workgroup_size: 256
    .name:           _ZN7rocprim17ROCPRIM_400000_NS6detail17trampoline_kernelINS0_14default_configENS1_38merge_sort_block_merge_config_selectorItNS0_10empty_typeEEEZZNS1_27merge_sort_block_merge_implIS3_N6thrust23THRUST_200600_302600_NS6detail15normal_iteratorINS9_10device_ptrItEEEEPS5_jNS1_19radix_merge_compareILb0ELb1EtNS0_19identity_decomposerEEEEE10hipError_tT0_T1_T2_jT3_P12ihipStream_tbPNSt15iterator_traitsISK_E10value_typeEPNSQ_ISL_E10value_typeEPSM_NS1_7vsmem_tEENKUlT_SK_SL_SM_E_clISE_PtSF_SF_EESJ_SZ_SK_SL_SM_EUlSZ_E1_NS1_11comp_targetILNS1_3genE10ELNS1_11target_archE1201ELNS1_3gpuE5ELNS1_3repE0EEENS1_36merge_oddeven_config_static_selectorELNS0_4arch9wavefront6targetE1EEEvSL_
    .private_segment_fixed_size: 0
    .sgpr_count:     6
    .sgpr_spill_count: 0
    .symbol:         _ZN7rocprim17ROCPRIM_400000_NS6detail17trampoline_kernelINS0_14default_configENS1_38merge_sort_block_merge_config_selectorItNS0_10empty_typeEEEZZNS1_27merge_sort_block_merge_implIS3_N6thrust23THRUST_200600_302600_NS6detail15normal_iteratorINS9_10device_ptrItEEEEPS5_jNS1_19radix_merge_compareILb0ELb1EtNS0_19identity_decomposerEEEEE10hipError_tT0_T1_T2_jT3_P12ihipStream_tbPNSt15iterator_traitsISK_E10value_typeEPNSQ_ISL_E10value_typeEPSM_NS1_7vsmem_tEENKUlT_SK_SL_SM_E_clISE_PtSF_SF_EESJ_SZ_SK_SL_SM_EUlSZ_E1_NS1_11comp_targetILNS1_3genE10ELNS1_11target_archE1201ELNS1_3gpuE5ELNS1_3repE0EEENS1_36merge_oddeven_config_static_selectorELNS0_4arch9wavefront6targetE1EEEvSL_.kd
    .uniform_work_group_size: 1
    .uses_dynamic_stack: false
    .vgpr_count:     0
    .vgpr_spill_count: 0
    .wavefront_size: 64
  - .agpr_count:     0
    .args:
      - .offset:         0
        .size:           48
        .value_kind:     by_value
    .group_segment_fixed_size: 0
    .kernarg_segment_align: 8
    .kernarg_segment_size: 48
    .language:       OpenCL C
    .language_version:
      - 2
      - 0
    .max_flat_workgroup_size: 256
    .name:           _ZN7rocprim17ROCPRIM_400000_NS6detail17trampoline_kernelINS0_14default_configENS1_38merge_sort_block_merge_config_selectorItNS0_10empty_typeEEEZZNS1_27merge_sort_block_merge_implIS3_N6thrust23THRUST_200600_302600_NS6detail15normal_iteratorINS9_10device_ptrItEEEEPS5_jNS1_19radix_merge_compareILb0ELb1EtNS0_19identity_decomposerEEEEE10hipError_tT0_T1_T2_jT3_P12ihipStream_tbPNSt15iterator_traitsISK_E10value_typeEPNSQ_ISL_E10value_typeEPSM_NS1_7vsmem_tEENKUlT_SK_SL_SM_E_clISE_PtSF_SF_EESJ_SZ_SK_SL_SM_EUlSZ_E1_NS1_11comp_targetILNS1_3genE5ELNS1_11target_archE942ELNS1_3gpuE9ELNS1_3repE0EEENS1_36merge_oddeven_config_static_selectorELNS0_4arch9wavefront6targetE1EEEvSL_
    .private_segment_fixed_size: 0
    .sgpr_count:     27
    .sgpr_spill_count: 0
    .symbol:         _ZN7rocprim17ROCPRIM_400000_NS6detail17trampoline_kernelINS0_14default_configENS1_38merge_sort_block_merge_config_selectorItNS0_10empty_typeEEEZZNS1_27merge_sort_block_merge_implIS3_N6thrust23THRUST_200600_302600_NS6detail15normal_iteratorINS9_10device_ptrItEEEEPS5_jNS1_19radix_merge_compareILb0ELb1EtNS0_19identity_decomposerEEEEE10hipError_tT0_T1_T2_jT3_P12ihipStream_tbPNSt15iterator_traitsISK_E10value_typeEPNSQ_ISL_E10value_typeEPSM_NS1_7vsmem_tEENKUlT_SK_SL_SM_E_clISE_PtSF_SF_EESJ_SZ_SK_SL_SM_EUlSZ_E1_NS1_11comp_targetILNS1_3genE5ELNS1_11target_archE942ELNS1_3gpuE9ELNS1_3repE0EEENS1_36merge_oddeven_config_static_selectorELNS0_4arch9wavefront6targetE1EEEvSL_.kd
    .uniform_work_group_size: 1
    .uses_dynamic_stack: false
    .vgpr_count:     9
    .vgpr_spill_count: 0
    .wavefront_size: 64
  - .agpr_count:     0
    .args:
      - .offset:         0
        .size:           48
        .value_kind:     by_value
    .group_segment_fixed_size: 0
    .kernarg_segment_align: 8
    .kernarg_segment_size: 48
    .language:       OpenCL C
    .language_version:
      - 2
      - 0
    .max_flat_workgroup_size: 256
    .name:           _ZN7rocprim17ROCPRIM_400000_NS6detail17trampoline_kernelINS0_14default_configENS1_38merge_sort_block_merge_config_selectorItNS0_10empty_typeEEEZZNS1_27merge_sort_block_merge_implIS3_N6thrust23THRUST_200600_302600_NS6detail15normal_iteratorINS9_10device_ptrItEEEEPS5_jNS1_19radix_merge_compareILb0ELb1EtNS0_19identity_decomposerEEEEE10hipError_tT0_T1_T2_jT3_P12ihipStream_tbPNSt15iterator_traitsISK_E10value_typeEPNSQ_ISL_E10value_typeEPSM_NS1_7vsmem_tEENKUlT_SK_SL_SM_E_clISE_PtSF_SF_EESJ_SZ_SK_SL_SM_EUlSZ_E1_NS1_11comp_targetILNS1_3genE4ELNS1_11target_archE910ELNS1_3gpuE8ELNS1_3repE0EEENS1_36merge_oddeven_config_static_selectorELNS0_4arch9wavefront6targetE1EEEvSL_
    .private_segment_fixed_size: 0
    .sgpr_count:     6
    .sgpr_spill_count: 0
    .symbol:         _ZN7rocprim17ROCPRIM_400000_NS6detail17trampoline_kernelINS0_14default_configENS1_38merge_sort_block_merge_config_selectorItNS0_10empty_typeEEEZZNS1_27merge_sort_block_merge_implIS3_N6thrust23THRUST_200600_302600_NS6detail15normal_iteratorINS9_10device_ptrItEEEEPS5_jNS1_19radix_merge_compareILb0ELb1EtNS0_19identity_decomposerEEEEE10hipError_tT0_T1_T2_jT3_P12ihipStream_tbPNSt15iterator_traitsISK_E10value_typeEPNSQ_ISL_E10value_typeEPSM_NS1_7vsmem_tEENKUlT_SK_SL_SM_E_clISE_PtSF_SF_EESJ_SZ_SK_SL_SM_EUlSZ_E1_NS1_11comp_targetILNS1_3genE4ELNS1_11target_archE910ELNS1_3gpuE8ELNS1_3repE0EEENS1_36merge_oddeven_config_static_selectorELNS0_4arch9wavefront6targetE1EEEvSL_.kd
    .uniform_work_group_size: 1
    .uses_dynamic_stack: false
    .vgpr_count:     0
    .vgpr_spill_count: 0
    .wavefront_size: 64
  - .agpr_count:     0
    .args:
      - .offset:         0
        .size:           48
        .value_kind:     by_value
    .group_segment_fixed_size: 0
    .kernarg_segment_align: 8
    .kernarg_segment_size: 48
    .language:       OpenCL C
    .language_version:
      - 2
      - 0
    .max_flat_workgroup_size: 256
    .name:           _ZN7rocprim17ROCPRIM_400000_NS6detail17trampoline_kernelINS0_14default_configENS1_38merge_sort_block_merge_config_selectorItNS0_10empty_typeEEEZZNS1_27merge_sort_block_merge_implIS3_N6thrust23THRUST_200600_302600_NS6detail15normal_iteratorINS9_10device_ptrItEEEEPS5_jNS1_19radix_merge_compareILb0ELb1EtNS0_19identity_decomposerEEEEE10hipError_tT0_T1_T2_jT3_P12ihipStream_tbPNSt15iterator_traitsISK_E10value_typeEPNSQ_ISL_E10value_typeEPSM_NS1_7vsmem_tEENKUlT_SK_SL_SM_E_clISE_PtSF_SF_EESJ_SZ_SK_SL_SM_EUlSZ_E1_NS1_11comp_targetILNS1_3genE3ELNS1_11target_archE908ELNS1_3gpuE7ELNS1_3repE0EEENS1_36merge_oddeven_config_static_selectorELNS0_4arch9wavefront6targetE1EEEvSL_
    .private_segment_fixed_size: 0
    .sgpr_count:     6
    .sgpr_spill_count: 0
    .symbol:         _ZN7rocprim17ROCPRIM_400000_NS6detail17trampoline_kernelINS0_14default_configENS1_38merge_sort_block_merge_config_selectorItNS0_10empty_typeEEEZZNS1_27merge_sort_block_merge_implIS3_N6thrust23THRUST_200600_302600_NS6detail15normal_iteratorINS9_10device_ptrItEEEEPS5_jNS1_19radix_merge_compareILb0ELb1EtNS0_19identity_decomposerEEEEE10hipError_tT0_T1_T2_jT3_P12ihipStream_tbPNSt15iterator_traitsISK_E10value_typeEPNSQ_ISL_E10value_typeEPSM_NS1_7vsmem_tEENKUlT_SK_SL_SM_E_clISE_PtSF_SF_EESJ_SZ_SK_SL_SM_EUlSZ_E1_NS1_11comp_targetILNS1_3genE3ELNS1_11target_archE908ELNS1_3gpuE7ELNS1_3repE0EEENS1_36merge_oddeven_config_static_selectorELNS0_4arch9wavefront6targetE1EEEvSL_.kd
    .uniform_work_group_size: 1
    .uses_dynamic_stack: false
    .vgpr_count:     0
    .vgpr_spill_count: 0
    .wavefront_size: 64
  - .agpr_count:     0
    .args:
      - .offset:         0
        .size:           48
        .value_kind:     by_value
    .group_segment_fixed_size: 0
    .kernarg_segment_align: 8
    .kernarg_segment_size: 48
    .language:       OpenCL C
    .language_version:
      - 2
      - 0
    .max_flat_workgroup_size: 256
    .name:           _ZN7rocprim17ROCPRIM_400000_NS6detail17trampoline_kernelINS0_14default_configENS1_38merge_sort_block_merge_config_selectorItNS0_10empty_typeEEEZZNS1_27merge_sort_block_merge_implIS3_N6thrust23THRUST_200600_302600_NS6detail15normal_iteratorINS9_10device_ptrItEEEEPS5_jNS1_19radix_merge_compareILb0ELb1EtNS0_19identity_decomposerEEEEE10hipError_tT0_T1_T2_jT3_P12ihipStream_tbPNSt15iterator_traitsISK_E10value_typeEPNSQ_ISL_E10value_typeEPSM_NS1_7vsmem_tEENKUlT_SK_SL_SM_E_clISE_PtSF_SF_EESJ_SZ_SK_SL_SM_EUlSZ_E1_NS1_11comp_targetILNS1_3genE2ELNS1_11target_archE906ELNS1_3gpuE6ELNS1_3repE0EEENS1_36merge_oddeven_config_static_selectorELNS0_4arch9wavefront6targetE1EEEvSL_
    .private_segment_fixed_size: 0
    .sgpr_count:     6
    .sgpr_spill_count: 0
    .symbol:         _ZN7rocprim17ROCPRIM_400000_NS6detail17trampoline_kernelINS0_14default_configENS1_38merge_sort_block_merge_config_selectorItNS0_10empty_typeEEEZZNS1_27merge_sort_block_merge_implIS3_N6thrust23THRUST_200600_302600_NS6detail15normal_iteratorINS9_10device_ptrItEEEEPS5_jNS1_19radix_merge_compareILb0ELb1EtNS0_19identity_decomposerEEEEE10hipError_tT0_T1_T2_jT3_P12ihipStream_tbPNSt15iterator_traitsISK_E10value_typeEPNSQ_ISL_E10value_typeEPSM_NS1_7vsmem_tEENKUlT_SK_SL_SM_E_clISE_PtSF_SF_EESJ_SZ_SK_SL_SM_EUlSZ_E1_NS1_11comp_targetILNS1_3genE2ELNS1_11target_archE906ELNS1_3gpuE6ELNS1_3repE0EEENS1_36merge_oddeven_config_static_selectorELNS0_4arch9wavefront6targetE1EEEvSL_.kd
    .uniform_work_group_size: 1
    .uses_dynamic_stack: false
    .vgpr_count:     0
    .vgpr_spill_count: 0
    .wavefront_size: 64
  - .agpr_count:     0
    .args:
      - .offset:         0
        .size:           48
        .value_kind:     by_value
    .group_segment_fixed_size: 0
    .kernarg_segment_align: 8
    .kernarg_segment_size: 48
    .language:       OpenCL C
    .language_version:
      - 2
      - 0
    .max_flat_workgroup_size: 256
    .name:           _ZN7rocprim17ROCPRIM_400000_NS6detail17trampoline_kernelINS0_14default_configENS1_38merge_sort_block_merge_config_selectorItNS0_10empty_typeEEEZZNS1_27merge_sort_block_merge_implIS3_N6thrust23THRUST_200600_302600_NS6detail15normal_iteratorINS9_10device_ptrItEEEEPS5_jNS1_19radix_merge_compareILb0ELb1EtNS0_19identity_decomposerEEEEE10hipError_tT0_T1_T2_jT3_P12ihipStream_tbPNSt15iterator_traitsISK_E10value_typeEPNSQ_ISL_E10value_typeEPSM_NS1_7vsmem_tEENKUlT_SK_SL_SM_E_clISE_PtSF_SF_EESJ_SZ_SK_SL_SM_EUlSZ_E1_NS1_11comp_targetILNS1_3genE9ELNS1_11target_archE1100ELNS1_3gpuE3ELNS1_3repE0EEENS1_36merge_oddeven_config_static_selectorELNS0_4arch9wavefront6targetE1EEEvSL_
    .private_segment_fixed_size: 0
    .sgpr_count:     6
    .sgpr_spill_count: 0
    .symbol:         _ZN7rocprim17ROCPRIM_400000_NS6detail17trampoline_kernelINS0_14default_configENS1_38merge_sort_block_merge_config_selectorItNS0_10empty_typeEEEZZNS1_27merge_sort_block_merge_implIS3_N6thrust23THRUST_200600_302600_NS6detail15normal_iteratorINS9_10device_ptrItEEEEPS5_jNS1_19radix_merge_compareILb0ELb1EtNS0_19identity_decomposerEEEEE10hipError_tT0_T1_T2_jT3_P12ihipStream_tbPNSt15iterator_traitsISK_E10value_typeEPNSQ_ISL_E10value_typeEPSM_NS1_7vsmem_tEENKUlT_SK_SL_SM_E_clISE_PtSF_SF_EESJ_SZ_SK_SL_SM_EUlSZ_E1_NS1_11comp_targetILNS1_3genE9ELNS1_11target_archE1100ELNS1_3gpuE3ELNS1_3repE0EEENS1_36merge_oddeven_config_static_selectorELNS0_4arch9wavefront6targetE1EEEvSL_.kd
    .uniform_work_group_size: 1
    .uses_dynamic_stack: false
    .vgpr_count:     0
    .vgpr_spill_count: 0
    .wavefront_size: 64
  - .agpr_count:     0
    .args:
      - .offset:         0
        .size:           48
        .value_kind:     by_value
    .group_segment_fixed_size: 0
    .kernarg_segment_align: 8
    .kernarg_segment_size: 48
    .language:       OpenCL C
    .language_version:
      - 2
      - 0
    .max_flat_workgroup_size: 256
    .name:           _ZN7rocprim17ROCPRIM_400000_NS6detail17trampoline_kernelINS0_14default_configENS1_38merge_sort_block_merge_config_selectorItNS0_10empty_typeEEEZZNS1_27merge_sort_block_merge_implIS3_N6thrust23THRUST_200600_302600_NS6detail15normal_iteratorINS9_10device_ptrItEEEEPS5_jNS1_19radix_merge_compareILb0ELb1EtNS0_19identity_decomposerEEEEE10hipError_tT0_T1_T2_jT3_P12ihipStream_tbPNSt15iterator_traitsISK_E10value_typeEPNSQ_ISL_E10value_typeEPSM_NS1_7vsmem_tEENKUlT_SK_SL_SM_E_clISE_PtSF_SF_EESJ_SZ_SK_SL_SM_EUlSZ_E1_NS1_11comp_targetILNS1_3genE8ELNS1_11target_archE1030ELNS1_3gpuE2ELNS1_3repE0EEENS1_36merge_oddeven_config_static_selectorELNS0_4arch9wavefront6targetE1EEEvSL_
    .private_segment_fixed_size: 0
    .sgpr_count:     6
    .sgpr_spill_count: 0
    .symbol:         _ZN7rocprim17ROCPRIM_400000_NS6detail17trampoline_kernelINS0_14default_configENS1_38merge_sort_block_merge_config_selectorItNS0_10empty_typeEEEZZNS1_27merge_sort_block_merge_implIS3_N6thrust23THRUST_200600_302600_NS6detail15normal_iteratorINS9_10device_ptrItEEEEPS5_jNS1_19radix_merge_compareILb0ELb1EtNS0_19identity_decomposerEEEEE10hipError_tT0_T1_T2_jT3_P12ihipStream_tbPNSt15iterator_traitsISK_E10value_typeEPNSQ_ISL_E10value_typeEPSM_NS1_7vsmem_tEENKUlT_SK_SL_SM_E_clISE_PtSF_SF_EESJ_SZ_SK_SL_SM_EUlSZ_E1_NS1_11comp_targetILNS1_3genE8ELNS1_11target_archE1030ELNS1_3gpuE2ELNS1_3repE0EEENS1_36merge_oddeven_config_static_selectorELNS0_4arch9wavefront6targetE1EEEvSL_.kd
    .uniform_work_group_size: 1
    .uses_dynamic_stack: false
    .vgpr_count:     0
    .vgpr_spill_count: 0
    .wavefront_size: 64
  - .agpr_count:     0
    .args:
      - .offset:         0
        .size:           40
        .value_kind:     by_value
    .group_segment_fixed_size: 0
    .kernarg_segment_align: 8
    .kernarg_segment_size: 40
    .language:       OpenCL C
    .language_version:
      - 2
      - 0
    .max_flat_workgroup_size: 512
    .name:           _ZN7rocprim17ROCPRIM_400000_NS6detail17trampoline_kernelINS0_14default_configENS1_35radix_sort_onesweep_config_selectorItNS0_10empty_typeEEEZNS1_34radix_sort_onesweep_global_offsetsIS3_Lb0EN6thrust23THRUST_200600_302600_NS6detail15normal_iteratorINS9_10device_ptrItEEEEPS5_jNS0_19identity_decomposerEEE10hipError_tT1_T2_PT3_SK_jT4_jjP12ihipStream_tbEUlT_E_NS1_11comp_targetILNS1_3genE0ELNS1_11target_archE4294967295ELNS1_3gpuE0ELNS1_3repE0EEENS1_52radix_sort_onesweep_histogram_config_static_selectorELNS0_4arch9wavefront6targetE1EEEvSI_
    .private_segment_fixed_size: 0
    .sgpr_count:     6
    .sgpr_spill_count: 0
    .symbol:         _ZN7rocprim17ROCPRIM_400000_NS6detail17trampoline_kernelINS0_14default_configENS1_35radix_sort_onesweep_config_selectorItNS0_10empty_typeEEEZNS1_34radix_sort_onesweep_global_offsetsIS3_Lb0EN6thrust23THRUST_200600_302600_NS6detail15normal_iteratorINS9_10device_ptrItEEEEPS5_jNS0_19identity_decomposerEEE10hipError_tT1_T2_PT3_SK_jT4_jjP12ihipStream_tbEUlT_E_NS1_11comp_targetILNS1_3genE0ELNS1_11target_archE4294967295ELNS1_3gpuE0ELNS1_3repE0EEENS1_52radix_sort_onesweep_histogram_config_static_selectorELNS0_4arch9wavefront6targetE1EEEvSI_.kd
    .uniform_work_group_size: 1
    .uses_dynamic_stack: false
    .vgpr_count:     0
    .vgpr_spill_count: 0
    .wavefront_size: 64
  - .agpr_count:     0
    .args:
      - .offset:         0
        .size:           40
        .value_kind:     by_value
    .group_segment_fixed_size: 0
    .kernarg_segment_align: 8
    .kernarg_segment_size: 40
    .language:       OpenCL C
    .language_version:
      - 2
      - 0
    .max_flat_workgroup_size: 1024
    .name:           _ZN7rocprim17ROCPRIM_400000_NS6detail17trampoline_kernelINS0_14default_configENS1_35radix_sort_onesweep_config_selectorItNS0_10empty_typeEEEZNS1_34radix_sort_onesweep_global_offsetsIS3_Lb0EN6thrust23THRUST_200600_302600_NS6detail15normal_iteratorINS9_10device_ptrItEEEEPS5_jNS0_19identity_decomposerEEE10hipError_tT1_T2_PT3_SK_jT4_jjP12ihipStream_tbEUlT_E_NS1_11comp_targetILNS1_3genE6ELNS1_11target_archE950ELNS1_3gpuE13ELNS1_3repE0EEENS1_52radix_sort_onesweep_histogram_config_static_selectorELNS0_4arch9wavefront6targetE1EEEvSI_
    .private_segment_fixed_size: 0
    .sgpr_count:     6
    .sgpr_spill_count: 0
    .symbol:         _ZN7rocprim17ROCPRIM_400000_NS6detail17trampoline_kernelINS0_14default_configENS1_35radix_sort_onesweep_config_selectorItNS0_10empty_typeEEEZNS1_34radix_sort_onesweep_global_offsetsIS3_Lb0EN6thrust23THRUST_200600_302600_NS6detail15normal_iteratorINS9_10device_ptrItEEEEPS5_jNS0_19identity_decomposerEEE10hipError_tT1_T2_PT3_SK_jT4_jjP12ihipStream_tbEUlT_E_NS1_11comp_targetILNS1_3genE6ELNS1_11target_archE950ELNS1_3gpuE13ELNS1_3repE0EEENS1_52radix_sort_onesweep_histogram_config_static_selectorELNS0_4arch9wavefront6targetE1EEEvSI_.kd
    .uniform_work_group_size: 1
    .uses_dynamic_stack: false
    .vgpr_count:     0
    .vgpr_spill_count: 0
    .wavefront_size: 64
  - .agpr_count:     0
    .args:
      - .offset:         0
        .size:           40
        .value_kind:     by_value
    .group_segment_fixed_size: 8192
    .kernarg_segment_align: 8
    .kernarg_segment_size: 40
    .language:       OpenCL C
    .language_version:
      - 2
      - 0
    .max_flat_workgroup_size: 1024
    .name:           _ZN7rocprim17ROCPRIM_400000_NS6detail17trampoline_kernelINS0_14default_configENS1_35radix_sort_onesweep_config_selectorItNS0_10empty_typeEEEZNS1_34radix_sort_onesweep_global_offsetsIS3_Lb0EN6thrust23THRUST_200600_302600_NS6detail15normal_iteratorINS9_10device_ptrItEEEEPS5_jNS0_19identity_decomposerEEE10hipError_tT1_T2_PT3_SK_jT4_jjP12ihipStream_tbEUlT_E_NS1_11comp_targetILNS1_3genE5ELNS1_11target_archE942ELNS1_3gpuE9ELNS1_3repE0EEENS1_52radix_sort_onesweep_histogram_config_static_selectorELNS0_4arch9wavefront6targetE1EEEvSI_
    .private_segment_fixed_size: 0
    .sgpr_count:     26
    .sgpr_spill_count: 0
    .symbol:         _ZN7rocprim17ROCPRIM_400000_NS6detail17trampoline_kernelINS0_14default_configENS1_35radix_sort_onesweep_config_selectorItNS0_10empty_typeEEEZNS1_34radix_sort_onesweep_global_offsetsIS3_Lb0EN6thrust23THRUST_200600_302600_NS6detail15normal_iteratorINS9_10device_ptrItEEEEPS5_jNS0_19identity_decomposerEEE10hipError_tT1_T2_PT3_SK_jT4_jjP12ihipStream_tbEUlT_E_NS1_11comp_targetILNS1_3genE5ELNS1_11target_archE942ELNS1_3gpuE9ELNS1_3repE0EEENS1_52radix_sort_onesweep_histogram_config_static_selectorELNS0_4arch9wavefront6targetE1EEEvSI_.kd
    .uniform_work_group_size: 1
    .uses_dynamic_stack: false
    .vgpr_count:     67
    .vgpr_spill_count: 0
    .wavefront_size: 64
  - .agpr_count:     0
    .args:
      - .offset:         0
        .size:           40
        .value_kind:     by_value
    .group_segment_fixed_size: 0
    .kernarg_segment_align: 8
    .kernarg_segment_size: 40
    .language:       OpenCL C
    .language_version:
      - 2
      - 0
    .max_flat_workgroup_size: 512
    .name:           _ZN7rocprim17ROCPRIM_400000_NS6detail17trampoline_kernelINS0_14default_configENS1_35radix_sort_onesweep_config_selectorItNS0_10empty_typeEEEZNS1_34radix_sort_onesweep_global_offsetsIS3_Lb0EN6thrust23THRUST_200600_302600_NS6detail15normal_iteratorINS9_10device_ptrItEEEEPS5_jNS0_19identity_decomposerEEE10hipError_tT1_T2_PT3_SK_jT4_jjP12ihipStream_tbEUlT_E_NS1_11comp_targetILNS1_3genE2ELNS1_11target_archE906ELNS1_3gpuE6ELNS1_3repE0EEENS1_52radix_sort_onesweep_histogram_config_static_selectorELNS0_4arch9wavefront6targetE1EEEvSI_
    .private_segment_fixed_size: 0
    .sgpr_count:     6
    .sgpr_spill_count: 0
    .symbol:         _ZN7rocprim17ROCPRIM_400000_NS6detail17trampoline_kernelINS0_14default_configENS1_35radix_sort_onesweep_config_selectorItNS0_10empty_typeEEEZNS1_34radix_sort_onesweep_global_offsetsIS3_Lb0EN6thrust23THRUST_200600_302600_NS6detail15normal_iteratorINS9_10device_ptrItEEEEPS5_jNS0_19identity_decomposerEEE10hipError_tT1_T2_PT3_SK_jT4_jjP12ihipStream_tbEUlT_E_NS1_11comp_targetILNS1_3genE2ELNS1_11target_archE906ELNS1_3gpuE6ELNS1_3repE0EEENS1_52radix_sort_onesweep_histogram_config_static_selectorELNS0_4arch9wavefront6targetE1EEEvSI_.kd
    .uniform_work_group_size: 1
    .uses_dynamic_stack: false
    .vgpr_count:     0
    .vgpr_spill_count: 0
    .wavefront_size: 64
  - .agpr_count:     0
    .args:
      - .offset:         0
        .size:           40
        .value_kind:     by_value
    .group_segment_fixed_size: 0
    .kernarg_segment_align: 8
    .kernarg_segment_size: 40
    .language:       OpenCL C
    .language_version:
      - 2
      - 0
    .max_flat_workgroup_size: 1024
    .name:           _ZN7rocprim17ROCPRIM_400000_NS6detail17trampoline_kernelINS0_14default_configENS1_35radix_sort_onesweep_config_selectorItNS0_10empty_typeEEEZNS1_34radix_sort_onesweep_global_offsetsIS3_Lb0EN6thrust23THRUST_200600_302600_NS6detail15normal_iteratorINS9_10device_ptrItEEEEPS5_jNS0_19identity_decomposerEEE10hipError_tT1_T2_PT3_SK_jT4_jjP12ihipStream_tbEUlT_E_NS1_11comp_targetILNS1_3genE4ELNS1_11target_archE910ELNS1_3gpuE8ELNS1_3repE0EEENS1_52radix_sort_onesweep_histogram_config_static_selectorELNS0_4arch9wavefront6targetE1EEEvSI_
    .private_segment_fixed_size: 0
    .sgpr_count:     6
    .sgpr_spill_count: 0
    .symbol:         _ZN7rocprim17ROCPRIM_400000_NS6detail17trampoline_kernelINS0_14default_configENS1_35radix_sort_onesweep_config_selectorItNS0_10empty_typeEEEZNS1_34radix_sort_onesweep_global_offsetsIS3_Lb0EN6thrust23THRUST_200600_302600_NS6detail15normal_iteratorINS9_10device_ptrItEEEEPS5_jNS0_19identity_decomposerEEE10hipError_tT1_T2_PT3_SK_jT4_jjP12ihipStream_tbEUlT_E_NS1_11comp_targetILNS1_3genE4ELNS1_11target_archE910ELNS1_3gpuE8ELNS1_3repE0EEENS1_52radix_sort_onesweep_histogram_config_static_selectorELNS0_4arch9wavefront6targetE1EEEvSI_.kd
    .uniform_work_group_size: 1
    .uses_dynamic_stack: false
    .vgpr_count:     0
    .vgpr_spill_count: 0
    .wavefront_size: 64
  - .agpr_count:     0
    .args:
      - .offset:         0
        .size:           40
        .value_kind:     by_value
    .group_segment_fixed_size: 0
    .kernarg_segment_align: 8
    .kernarg_segment_size: 40
    .language:       OpenCL C
    .language_version:
      - 2
      - 0
    .max_flat_workgroup_size: 512
    .name:           _ZN7rocprim17ROCPRIM_400000_NS6detail17trampoline_kernelINS0_14default_configENS1_35radix_sort_onesweep_config_selectorItNS0_10empty_typeEEEZNS1_34radix_sort_onesweep_global_offsetsIS3_Lb0EN6thrust23THRUST_200600_302600_NS6detail15normal_iteratorINS9_10device_ptrItEEEEPS5_jNS0_19identity_decomposerEEE10hipError_tT1_T2_PT3_SK_jT4_jjP12ihipStream_tbEUlT_E_NS1_11comp_targetILNS1_3genE3ELNS1_11target_archE908ELNS1_3gpuE7ELNS1_3repE0EEENS1_52radix_sort_onesweep_histogram_config_static_selectorELNS0_4arch9wavefront6targetE1EEEvSI_
    .private_segment_fixed_size: 0
    .sgpr_count:     6
    .sgpr_spill_count: 0
    .symbol:         _ZN7rocprim17ROCPRIM_400000_NS6detail17trampoline_kernelINS0_14default_configENS1_35radix_sort_onesweep_config_selectorItNS0_10empty_typeEEEZNS1_34radix_sort_onesweep_global_offsetsIS3_Lb0EN6thrust23THRUST_200600_302600_NS6detail15normal_iteratorINS9_10device_ptrItEEEEPS5_jNS0_19identity_decomposerEEE10hipError_tT1_T2_PT3_SK_jT4_jjP12ihipStream_tbEUlT_E_NS1_11comp_targetILNS1_3genE3ELNS1_11target_archE908ELNS1_3gpuE7ELNS1_3repE0EEENS1_52radix_sort_onesweep_histogram_config_static_selectorELNS0_4arch9wavefront6targetE1EEEvSI_.kd
    .uniform_work_group_size: 1
    .uses_dynamic_stack: false
    .vgpr_count:     0
    .vgpr_spill_count: 0
    .wavefront_size: 64
  - .agpr_count:     0
    .args:
      - .offset:         0
        .size:           40
        .value_kind:     by_value
    .group_segment_fixed_size: 0
    .kernarg_segment_align: 8
    .kernarg_segment_size: 40
    .language:       OpenCL C
    .language_version:
      - 2
      - 0
    .max_flat_workgroup_size: 256
    .name:           _ZN7rocprim17ROCPRIM_400000_NS6detail17trampoline_kernelINS0_14default_configENS1_35radix_sort_onesweep_config_selectorItNS0_10empty_typeEEEZNS1_34radix_sort_onesweep_global_offsetsIS3_Lb0EN6thrust23THRUST_200600_302600_NS6detail15normal_iteratorINS9_10device_ptrItEEEEPS5_jNS0_19identity_decomposerEEE10hipError_tT1_T2_PT3_SK_jT4_jjP12ihipStream_tbEUlT_E_NS1_11comp_targetILNS1_3genE10ELNS1_11target_archE1201ELNS1_3gpuE5ELNS1_3repE0EEENS1_52radix_sort_onesweep_histogram_config_static_selectorELNS0_4arch9wavefront6targetE1EEEvSI_
    .private_segment_fixed_size: 0
    .sgpr_count:     6
    .sgpr_spill_count: 0
    .symbol:         _ZN7rocprim17ROCPRIM_400000_NS6detail17trampoline_kernelINS0_14default_configENS1_35radix_sort_onesweep_config_selectorItNS0_10empty_typeEEEZNS1_34radix_sort_onesweep_global_offsetsIS3_Lb0EN6thrust23THRUST_200600_302600_NS6detail15normal_iteratorINS9_10device_ptrItEEEEPS5_jNS0_19identity_decomposerEEE10hipError_tT1_T2_PT3_SK_jT4_jjP12ihipStream_tbEUlT_E_NS1_11comp_targetILNS1_3genE10ELNS1_11target_archE1201ELNS1_3gpuE5ELNS1_3repE0EEENS1_52radix_sort_onesweep_histogram_config_static_selectorELNS0_4arch9wavefront6targetE1EEEvSI_.kd
    .uniform_work_group_size: 1
    .uses_dynamic_stack: false
    .vgpr_count:     0
    .vgpr_spill_count: 0
    .wavefront_size: 64
  - .agpr_count:     0
    .args:
      - .offset:         0
        .size:           40
        .value_kind:     by_value
    .group_segment_fixed_size: 0
    .kernarg_segment_align: 8
    .kernarg_segment_size: 40
    .language:       OpenCL C
    .language_version:
      - 2
      - 0
    .max_flat_workgroup_size: 256
    .name:           _ZN7rocprim17ROCPRIM_400000_NS6detail17trampoline_kernelINS0_14default_configENS1_35radix_sort_onesweep_config_selectorItNS0_10empty_typeEEEZNS1_34radix_sort_onesweep_global_offsetsIS3_Lb0EN6thrust23THRUST_200600_302600_NS6detail15normal_iteratorINS9_10device_ptrItEEEEPS5_jNS0_19identity_decomposerEEE10hipError_tT1_T2_PT3_SK_jT4_jjP12ihipStream_tbEUlT_E_NS1_11comp_targetILNS1_3genE9ELNS1_11target_archE1100ELNS1_3gpuE3ELNS1_3repE0EEENS1_52radix_sort_onesweep_histogram_config_static_selectorELNS0_4arch9wavefront6targetE1EEEvSI_
    .private_segment_fixed_size: 0
    .sgpr_count:     6
    .sgpr_spill_count: 0
    .symbol:         _ZN7rocprim17ROCPRIM_400000_NS6detail17trampoline_kernelINS0_14default_configENS1_35radix_sort_onesweep_config_selectorItNS0_10empty_typeEEEZNS1_34radix_sort_onesweep_global_offsetsIS3_Lb0EN6thrust23THRUST_200600_302600_NS6detail15normal_iteratorINS9_10device_ptrItEEEEPS5_jNS0_19identity_decomposerEEE10hipError_tT1_T2_PT3_SK_jT4_jjP12ihipStream_tbEUlT_E_NS1_11comp_targetILNS1_3genE9ELNS1_11target_archE1100ELNS1_3gpuE3ELNS1_3repE0EEENS1_52radix_sort_onesweep_histogram_config_static_selectorELNS0_4arch9wavefront6targetE1EEEvSI_.kd
    .uniform_work_group_size: 1
    .uses_dynamic_stack: false
    .vgpr_count:     0
    .vgpr_spill_count: 0
    .wavefront_size: 64
  - .agpr_count:     0
    .args:
      - .offset:         0
        .size:           40
        .value_kind:     by_value
    .group_segment_fixed_size: 0
    .kernarg_segment_align: 8
    .kernarg_segment_size: 40
    .language:       OpenCL C
    .language_version:
      - 2
      - 0
    .max_flat_workgroup_size: 256
    .name:           _ZN7rocprim17ROCPRIM_400000_NS6detail17trampoline_kernelINS0_14default_configENS1_35radix_sort_onesweep_config_selectorItNS0_10empty_typeEEEZNS1_34radix_sort_onesweep_global_offsetsIS3_Lb0EN6thrust23THRUST_200600_302600_NS6detail15normal_iteratorINS9_10device_ptrItEEEEPS5_jNS0_19identity_decomposerEEE10hipError_tT1_T2_PT3_SK_jT4_jjP12ihipStream_tbEUlT_E_NS1_11comp_targetILNS1_3genE8ELNS1_11target_archE1030ELNS1_3gpuE2ELNS1_3repE0EEENS1_52radix_sort_onesweep_histogram_config_static_selectorELNS0_4arch9wavefront6targetE1EEEvSI_
    .private_segment_fixed_size: 0
    .sgpr_count:     6
    .sgpr_spill_count: 0
    .symbol:         _ZN7rocprim17ROCPRIM_400000_NS6detail17trampoline_kernelINS0_14default_configENS1_35radix_sort_onesweep_config_selectorItNS0_10empty_typeEEEZNS1_34radix_sort_onesweep_global_offsetsIS3_Lb0EN6thrust23THRUST_200600_302600_NS6detail15normal_iteratorINS9_10device_ptrItEEEEPS5_jNS0_19identity_decomposerEEE10hipError_tT1_T2_PT3_SK_jT4_jjP12ihipStream_tbEUlT_E_NS1_11comp_targetILNS1_3genE8ELNS1_11target_archE1030ELNS1_3gpuE2ELNS1_3repE0EEENS1_52radix_sort_onesweep_histogram_config_static_selectorELNS0_4arch9wavefront6targetE1EEEvSI_.kd
    .uniform_work_group_size: 1
    .uses_dynamic_stack: false
    .vgpr_count:     0
    .vgpr_spill_count: 0
    .wavefront_size: 64
  - .agpr_count:     0
    .args:
      - .address_space:  global
        .offset:         0
        .size:           8
        .value_kind:     global_buffer
    .group_segment_fixed_size: 0
    .kernarg_segment_align: 8
    .kernarg_segment_size: 8
    .language:       OpenCL C
    .language_version:
      - 2
      - 0
    .max_flat_workgroup_size: 512
    .name:           _ZN7rocprim17ROCPRIM_400000_NS6detail17trampoline_kernelINS0_14default_configENS1_35radix_sort_onesweep_config_selectorItNS0_10empty_typeEEEZNS1_34radix_sort_onesweep_global_offsetsIS3_Lb0EN6thrust23THRUST_200600_302600_NS6detail15normal_iteratorINS9_10device_ptrItEEEEPS5_jNS0_19identity_decomposerEEE10hipError_tT1_T2_PT3_SK_jT4_jjP12ihipStream_tbEUlT_E0_NS1_11comp_targetILNS1_3genE0ELNS1_11target_archE4294967295ELNS1_3gpuE0ELNS1_3repE0EEENS1_52radix_sort_onesweep_histogram_config_static_selectorELNS0_4arch9wavefront6targetE1EEEvSI_
    .private_segment_fixed_size: 0
    .sgpr_count:     6
    .sgpr_spill_count: 0
    .symbol:         _ZN7rocprim17ROCPRIM_400000_NS6detail17trampoline_kernelINS0_14default_configENS1_35radix_sort_onesweep_config_selectorItNS0_10empty_typeEEEZNS1_34radix_sort_onesweep_global_offsetsIS3_Lb0EN6thrust23THRUST_200600_302600_NS6detail15normal_iteratorINS9_10device_ptrItEEEEPS5_jNS0_19identity_decomposerEEE10hipError_tT1_T2_PT3_SK_jT4_jjP12ihipStream_tbEUlT_E0_NS1_11comp_targetILNS1_3genE0ELNS1_11target_archE4294967295ELNS1_3gpuE0ELNS1_3repE0EEENS1_52radix_sort_onesweep_histogram_config_static_selectorELNS0_4arch9wavefront6targetE1EEEvSI_.kd
    .uniform_work_group_size: 1
    .uses_dynamic_stack: false
    .vgpr_count:     0
    .vgpr_spill_count: 0
    .wavefront_size: 64
  - .agpr_count:     0
    .args:
      - .address_space:  global
        .offset:         0
        .size:           8
        .value_kind:     global_buffer
    .group_segment_fixed_size: 0
    .kernarg_segment_align: 8
    .kernarg_segment_size: 8
    .language:       OpenCL C
    .language_version:
      - 2
      - 0
    .max_flat_workgroup_size: 1024
    .name:           _ZN7rocprim17ROCPRIM_400000_NS6detail17trampoline_kernelINS0_14default_configENS1_35radix_sort_onesweep_config_selectorItNS0_10empty_typeEEEZNS1_34radix_sort_onesweep_global_offsetsIS3_Lb0EN6thrust23THRUST_200600_302600_NS6detail15normal_iteratorINS9_10device_ptrItEEEEPS5_jNS0_19identity_decomposerEEE10hipError_tT1_T2_PT3_SK_jT4_jjP12ihipStream_tbEUlT_E0_NS1_11comp_targetILNS1_3genE6ELNS1_11target_archE950ELNS1_3gpuE13ELNS1_3repE0EEENS1_52radix_sort_onesweep_histogram_config_static_selectorELNS0_4arch9wavefront6targetE1EEEvSI_
    .private_segment_fixed_size: 0
    .sgpr_count:     6
    .sgpr_spill_count: 0
    .symbol:         _ZN7rocprim17ROCPRIM_400000_NS6detail17trampoline_kernelINS0_14default_configENS1_35radix_sort_onesweep_config_selectorItNS0_10empty_typeEEEZNS1_34radix_sort_onesweep_global_offsetsIS3_Lb0EN6thrust23THRUST_200600_302600_NS6detail15normal_iteratorINS9_10device_ptrItEEEEPS5_jNS0_19identity_decomposerEEE10hipError_tT1_T2_PT3_SK_jT4_jjP12ihipStream_tbEUlT_E0_NS1_11comp_targetILNS1_3genE6ELNS1_11target_archE950ELNS1_3gpuE13ELNS1_3repE0EEENS1_52radix_sort_onesweep_histogram_config_static_selectorELNS0_4arch9wavefront6targetE1EEEvSI_.kd
    .uniform_work_group_size: 1
    .uses_dynamic_stack: false
    .vgpr_count:     0
    .vgpr_spill_count: 0
    .wavefront_size: 64
  - .agpr_count:     0
    .args:
      - .address_space:  global
        .offset:         0
        .size:           8
        .value_kind:     global_buffer
    .group_segment_fixed_size: 64
    .kernarg_segment_align: 8
    .kernarg_segment_size: 8
    .language:       OpenCL C
    .language_version:
      - 2
      - 0
    .max_flat_workgroup_size: 1024
    .name:           _ZN7rocprim17ROCPRIM_400000_NS6detail17trampoline_kernelINS0_14default_configENS1_35radix_sort_onesweep_config_selectorItNS0_10empty_typeEEEZNS1_34radix_sort_onesweep_global_offsetsIS3_Lb0EN6thrust23THRUST_200600_302600_NS6detail15normal_iteratorINS9_10device_ptrItEEEEPS5_jNS0_19identity_decomposerEEE10hipError_tT1_T2_PT3_SK_jT4_jjP12ihipStream_tbEUlT_E0_NS1_11comp_targetILNS1_3genE5ELNS1_11target_archE942ELNS1_3gpuE9ELNS1_3repE0EEENS1_52radix_sort_onesweep_histogram_config_static_selectorELNS0_4arch9wavefront6targetE1EEEvSI_
    .private_segment_fixed_size: 0
    .sgpr_count:     20
    .sgpr_spill_count: 0
    .symbol:         _ZN7rocprim17ROCPRIM_400000_NS6detail17trampoline_kernelINS0_14default_configENS1_35radix_sort_onesweep_config_selectorItNS0_10empty_typeEEEZNS1_34radix_sort_onesweep_global_offsetsIS3_Lb0EN6thrust23THRUST_200600_302600_NS6detail15normal_iteratorINS9_10device_ptrItEEEEPS5_jNS0_19identity_decomposerEEE10hipError_tT1_T2_PT3_SK_jT4_jjP12ihipStream_tbEUlT_E0_NS1_11comp_targetILNS1_3genE5ELNS1_11target_archE942ELNS1_3gpuE9ELNS1_3repE0EEENS1_52radix_sort_onesweep_histogram_config_static_selectorELNS0_4arch9wavefront6targetE1EEEvSI_.kd
    .uniform_work_group_size: 1
    .uses_dynamic_stack: false
    .vgpr_count:     7
    .vgpr_spill_count: 0
    .wavefront_size: 64
  - .agpr_count:     0
    .args:
      - .address_space:  global
        .offset:         0
        .size:           8
        .value_kind:     global_buffer
    .group_segment_fixed_size: 0
    .kernarg_segment_align: 8
    .kernarg_segment_size: 8
    .language:       OpenCL C
    .language_version:
      - 2
      - 0
    .max_flat_workgroup_size: 512
    .name:           _ZN7rocprim17ROCPRIM_400000_NS6detail17trampoline_kernelINS0_14default_configENS1_35radix_sort_onesweep_config_selectorItNS0_10empty_typeEEEZNS1_34radix_sort_onesweep_global_offsetsIS3_Lb0EN6thrust23THRUST_200600_302600_NS6detail15normal_iteratorINS9_10device_ptrItEEEEPS5_jNS0_19identity_decomposerEEE10hipError_tT1_T2_PT3_SK_jT4_jjP12ihipStream_tbEUlT_E0_NS1_11comp_targetILNS1_3genE2ELNS1_11target_archE906ELNS1_3gpuE6ELNS1_3repE0EEENS1_52radix_sort_onesweep_histogram_config_static_selectorELNS0_4arch9wavefront6targetE1EEEvSI_
    .private_segment_fixed_size: 0
    .sgpr_count:     6
    .sgpr_spill_count: 0
    .symbol:         _ZN7rocprim17ROCPRIM_400000_NS6detail17trampoline_kernelINS0_14default_configENS1_35radix_sort_onesweep_config_selectorItNS0_10empty_typeEEEZNS1_34radix_sort_onesweep_global_offsetsIS3_Lb0EN6thrust23THRUST_200600_302600_NS6detail15normal_iteratorINS9_10device_ptrItEEEEPS5_jNS0_19identity_decomposerEEE10hipError_tT1_T2_PT3_SK_jT4_jjP12ihipStream_tbEUlT_E0_NS1_11comp_targetILNS1_3genE2ELNS1_11target_archE906ELNS1_3gpuE6ELNS1_3repE0EEENS1_52radix_sort_onesweep_histogram_config_static_selectorELNS0_4arch9wavefront6targetE1EEEvSI_.kd
    .uniform_work_group_size: 1
    .uses_dynamic_stack: false
    .vgpr_count:     0
    .vgpr_spill_count: 0
    .wavefront_size: 64
  - .agpr_count:     0
    .args:
      - .address_space:  global
        .offset:         0
        .size:           8
        .value_kind:     global_buffer
    .group_segment_fixed_size: 0
    .kernarg_segment_align: 8
    .kernarg_segment_size: 8
    .language:       OpenCL C
    .language_version:
      - 2
      - 0
    .max_flat_workgroup_size: 1024
    .name:           _ZN7rocprim17ROCPRIM_400000_NS6detail17trampoline_kernelINS0_14default_configENS1_35radix_sort_onesweep_config_selectorItNS0_10empty_typeEEEZNS1_34radix_sort_onesweep_global_offsetsIS3_Lb0EN6thrust23THRUST_200600_302600_NS6detail15normal_iteratorINS9_10device_ptrItEEEEPS5_jNS0_19identity_decomposerEEE10hipError_tT1_T2_PT3_SK_jT4_jjP12ihipStream_tbEUlT_E0_NS1_11comp_targetILNS1_3genE4ELNS1_11target_archE910ELNS1_3gpuE8ELNS1_3repE0EEENS1_52radix_sort_onesweep_histogram_config_static_selectorELNS0_4arch9wavefront6targetE1EEEvSI_
    .private_segment_fixed_size: 0
    .sgpr_count:     6
    .sgpr_spill_count: 0
    .symbol:         _ZN7rocprim17ROCPRIM_400000_NS6detail17trampoline_kernelINS0_14default_configENS1_35radix_sort_onesweep_config_selectorItNS0_10empty_typeEEEZNS1_34radix_sort_onesweep_global_offsetsIS3_Lb0EN6thrust23THRUST_200600_302600_NS6detail15normal_iteratorINS9_10device_ptrItEEEEPS5_jNS0_19identity_decomposerEEE10hipError_tT1_T2_PT3_SK_jT4_jjP12ihipStream_tbEUlT_E0_NS1_11comp_targetILNS1_3genE4ELNS1_11target_archE910ELNS1_3gpuE8ELNS1_3repE0EEENS1_52radix_sort_onesweep_histogram_config_static_selectorELNS0_4arch9wavefront6targetE1EEEvSI_.kd
    .uniform_work_group_size: 1
    .uses_dynamic_stack: false
    .vgpr_count:     0
    .vgpr_spill_count: 0
    .wavefront_size: 64
  - .agpr_count:     0
    .args:
      - .address_space:  global
        .offset:         0
        .size:           8
        .value_kind:     global_buffer
    .group_segment_fixed_size: 0
    .kernarg_segment_align: 8
    .kernarg_segment_size: 8
    .language:       OpenCL C
    .language_version:
      - 2
      - 0
    .max_flat_workgroup_size: 512
    .name:           _ZN7rocprim17ROCPRIM_400000_NS6detail17trampoline_kernelINS0_14default_configENS1_35radix_sort_onesweep_config_selectorItNS0_10empty_typeEEEZNS1_34radix_sort_onesweep_global_offsetsIS3_Lb0EN6thrust23THRUST_200600_302600_NS6detail15normal_iteratorINS9_10device_ptrItEEEEPS5_jNS0_19identity_decomposerEEE10hipError_tT1_T2_PT3_SK_jT4_jjP12ihipStream_tbEUlT_E0_NS1_11comp_targetILNS1_3genE3ELNS1_11target_archE908ELNS1_3gpuE7ELNS1_3repE0EEENS1_52radix_sort_onesweep_histogram_config_static_selectorELNS0_4arch9wavefront6targetE1EEEvSI_
    .private_segment_fixed_size: 0
    .sgpr_count:     6
    .sgpr_spill_count: 0
    .symbol:         _ZN7rocprim17ROCPRIM_400000_NS6detail17trampoline_kernelINS0_14default_configENS1_35radix_sort_onesweep_config_selectorItNS0_10empty_typeEEEZNS1_34radix_sort_onesweep_global_offsetsIS3_Lb0EN6thrust23THRUST_200600_302600_NS6detail15normal_iteratorINS9_10device_ptrItEEEEPS5_jNS0_19identity_decomposerEEE10hipError_tT1_T2_PT3_SK_jT4_jjP12ihipStream_tbEUlT_E0_NS1_11comp_targetILNS1_3genE3ELNS1_11target_archE908ELNS1_3gpuE7ELNS1_3repE0EEENS1_52radix_sort_onesweep_histogram_config_static_selectorELNS0_4arch9wavefront6targetE1EEEvSI_.kd
    .uniform_work_group_size: 1
    .uses_dynamic_stack: false
    .vgpr_count:     0
    .vgpr_spill_count: 0
    .wavefront_size: 64
  - .agpr_count:     0
    .args:
      - .address_space:  global
        .offset:         0
        .size:           8
        .value_kind:     global_buffer
    .group_segment_fixed_size: 0
    .kernarg_segment_align: 8
    .kernarg_segment_size: 8
    .language:       OpenCL C
    .language_version:
      - 2
      - 0
    .max_flat_workgroup_size: 256
    .name:           _ZN7rocprim17ROCPRIM_400000_NS6detail17trampoline_kernelINS0_14default_configENS1_35radix_sort_onesweep_config_selectorItNS0_10empty_typeEEEZNS1_34radix_sort_onesweep_global_offsetsIS3_Lb0EN6thrust23THRUST_200600_302600_NS6detail15normal_iteratorINS9_10device_ptrItEEEEPS5_jNS0_19identity_decomposerEEE10hipError_tT1_T2_PT3_SK_jT4_jjP12ihipStream_tbEUlT_E0_NS1_11comp_targetILNS1_3genE10ELNS1_11target_archE1201ELNS1_3gpuE5ELNS1_3repE0EEENS1_52radix_sort_onesweep_histogram_config_static_selectorELNS0_4arch9wavefront6targetE1EEEvSI_
    .private_segment_fixed_size: 0
    .sgpr_count:     6
    .sgpr_spill_count: 0
    .symbol:         _ZN7rocprim17ROCPRIM_400000_NS6detail17trampoline_kernelINS0_14default_configENS1_35radix_sort_onesweep_config_selectorItNS0_10empty_typeEEEZNS1_34radix_sort_onesweep_global_offsetsIS3_Lb0EN6thrust23THRUST_200600_302600_NS6detail15normal_iteratorINS9_10device_ptrItEEEEPS5_jNS0_19identity_decomposerEEE10hipError_tT1_T2_PT3_SK_jT4_jjP12ihipStream_tbEUlT_E0_NS1_11comp_targetILNS1_3genE10ELNS1_11target_archE1201ELNS1_3gpuE5ELNS1_3repE0EEENS1_52radix_sort_onesweep_histogram_config_static_selectorELNS0_4arch9wavefront6targetE1EEEvSI_.kd
    .uniform_work_group_size: 1
    .uses_dynamic_stack: false
    .vgpr_count:     0
    .vgpr_spill_count: 0
    .wavefront_size: 64
  - .agpr_count:     0
    .args:
      - .address_space:  global
        .offset:         0
        .size:           8
        .value_kind:     global_buffer
    .group_segment_fixed_size: 0
    .kernarg_segment_align: 8
    .kernarg_segment_size: 8
    .language:       OpenCL C
    .language_version:
      - 2
      - 0
    .max_flat_workgroup_size: 256
    .name:           _ZN7rocprim17ROCPRIM_400000_NS6detail17trampoline_kernelINS0_14default_configENS1_35radix_sort_onesweep_config_selectorItNS0_10empty_typeEEEZNS1_34radix_sort_onesweep_global_offsetsIS3_Lb0EN6thrust23THRUST_200600_302600_NS6detail15normal_iteratorINS9_10device_ptrItEEEEPS5_jNS0_19identity_decomposerEEE10hipError_tT1_T2_PT3_SK_jT4_jjP12ihipStream_tbEUlT_E0_NS1_11comp_targetILNS1_3genE9ELNS1_11target_archE1100ELNS1_3gpuE3ELNS1_3repE0EEENS1_52radix_sort_onesweep_histogram_config_static_selectorELNS0_4arch9wavefront6targetE1EEEvSI_
    .private_segment_fixed_size: 0
    .sgpr_count:     6
    .sgpr_spill_count: 0
    .symbol:         _ZN7rocprim17ROCPRIM_400000_NS6detail17trampoline_kernelINS0_14default_configENS1_35radix_sort_onesweep_config_selectorItNS0_10empty_typeEEEZNS1_34radix_sort_onesweep_global_offsetsIS3_Lb0EN6thrust23THRUST_200600_302600_NS6detail15normal_iteratorINS9_10device_ptrItEEEEPS5_jNS0_19identity_decomposerEEE10hipError_tT1_T2_PT3_SK_jT4_jjP12ihipStream_tbEUlT_E0_NS1_11comp_targetILNS1_3genE9ELNS1_11target_archE1100ELNS1_3gpuE3ELNS1_3repE0EEENS1_52radix_sort_onesweep_histogram_config_static_selectorELNS0_4arch9wavefront6targetE1EEEvSI_.kd
    .uniform_work_group_size: 1
    .uses_dynamic_stack: false
    .vgpr_count:     0
    .vgpr_spill_count: 0
    .wavefront_size: 64
  - .agpr_count:     0
    .args:
      - .address_space:  global
        .offset:         0
        .size:           8
        .value_kind:     global_buffer
    .group_segment_fixed_size: 0
    .kernarg_segment_align: 8
    .kernarg_segment_size: 8
    .language:       OpenCL C
    .language_version:
      - 2
      - 0
    .max_flat_workgroup_size: 256
    .name:           _ZN7rocprim17ROCPRIM_400000_NS6detail17trampoline_kernelINS0_14default_configENS1_35radix_sort_onesweep_config_selectorItNS0_10empty_typeEEEZNS1_34radix_sort_onesweep_global_offsetsIS3_Lb0EN6thrust23THRUST_200600_302600_NS6detail15normal_iteratorINS9_10device_ptrItEEEEPS5_jNS0_19identity_decomposerEEE10hipError_tT1_T2_PT3_SK_jT4_jjP12ihipStream_tbEUlT_E0_NS1_11comp_targetILNS1_3genE8ELNS1_11target_archE1030ELNS1_3gpuE2ELNS1_3repE0EEENS1_52radix_sort_onesweep_histogram_config_static_selectorELNS0_4arch9wavefront6targetE1EEEvSI_
    .private_segment_fixed_size: 0
    .sgpr_count:     6
    .sgpr_spill_count: 0
    .symbol:         _ZN7rocprim17ROCPRIM_400000_NS6detail17trampoline_kernelINS0_14default_configENS1_35radix_sort_onesweep_config_selectorItNS0_10empty_typeEEEZNS1_34radix_sort_onesweep_global_offsetsIS3_Lb0EN6thrust23THRUST_200600_302600_NS6detail15normal_iteratorINS9_10device_ptrItEEEEPS5_jNS0_19identity_decomposerEEE10hipError_tT1_T2_PT3_SK_jT4_jjP12ihipStream_tbEUlT_E0_NS1_11comp_targetILNS1_3genE8ELNS1_11target_archE1030ELNS1_3gpuE2ELNS1_3repE0EEENS1_52radix_sort_onesweep_histogram_config_static_selectorELNS0_4arch9wavefront6targetE1EEEvSI_.kd
    .uniform_work_group_size: 1
    .uses_dynamic_stack: false
    .vgpr_count:     0
    .vgpr_spill_count: 0
    .wavefront_size: 64
  - .agpr_count:     0
    .args:
      - .offset:         0
        .size:           40
        .value_kind:     by_value
    .group_segment_fixed_size: 0
    .kernarg_segment_align: 8
    .kernarg_segment_size: 40
    .language:       OpenCL C
    .language_version:
      - 2
      - 0
    .max_flat_workgroup_size: 128
    .name:           _ZN7rocprim17ROCPRIM_400000_NS6detail17trampoline_kernelINS0_14default_configENS1_25transform_config_selectorItLb0EEEZNS1_14transform_implILb0ES3_S5_N6thrust23THRUST_200600_302600_NS6detail15normal_iteratorINS8_10device_ptrItEEEEPtNS0_8identityItEEEE10hipError_tT2_T3_mT4_P12ihipStream_tbEUlT_E_NS1_11comp_targetILNS1_3genE0ELNS1_11target_archE4294967295ELNS1_3gpuE0ELNS1_3repE0EEENS1_30default_config_static_selectorELNS0_4arch9wavefront6targetE1EEEvT1_
    .private_segment_fixed_size: 0
    .sgpr_count:     6
    .sgpr_spill_count: 0
    .symbol:         _ZN7rocprim17ROCPRIM_400000_NS6detail17trampoline_kernelINS0_14default_configENS1_25transform_config_selectorItLb0EEEZNS1_14transform_implILb0ES3_S5_N6thrust23THRUST_200600_302600_NS6detail15normal_iteratorINS8_10device_ptrItEEEEPtNS0_8identityItEEEE10hipError_tT2_T3_mT4_P12ihipStream_tbEUlT_E_NS1_11comp_targetILNS1_3genE0ELNS1_11target_archE4294967295ELNS1_3gpuE0ELNS1_3repE0EEENS1_30default_config_static_selectorELNS0_4arch9wavefront6targetE1EEEvT1_.kd
    .uniform_work_group_size: 1
    .uses_dynamic_stack: false
    .vgpr_count:     0
    .vgpr_spill_count: 0
    .wavefront_size: 64
  - .agpr_count:     0
    .args:
      - .offset:         0
        .size:           40
        .value_kind:     by_value
      - .offset:         40
        .size:           4
        .value_kind:     hidden_block_count_x
      - .offset:         44
        .size:           4
        .value_kind:     hidden_block_count_y
      - .offset:         48
        .size:           4
        .value_kind:     hidden_block_count_z
      - .offset:         52
        .size:           2
        .value_kind:     hidden_group_size_x
      - .offset:         54
        .size:           2
        .value_kind:     hidden_group_size_y
      - .offset:         56
        .size:           2
        .value_kind:     hidden_group_size_z
      - .offset:         58
        .size:           2
        .value_kind:     hidden_remainder_x
      - .offset:         60
        .size:           2
        .value_kind:     hidden_remainder_y
      - .offset:         62
        .size:           2
        .value_kind:     hidden_remainder_z
      - .offset:         80
        .size:           8
        .value_kind:     hidden_global_offset_x
      - .offset:         88
        .size:           8
        .value_kind:     hidden_global_offset_y
      - .offset:         96
        .size:           8
        .value_kind:     hidden_global_offset_z
      - .offset:         104
        .size:           2
        .value_kind:     hidden_grid_dims
    .group_segment_fixed_size: 0
    .kernarg_segment_align: 8
    .kernarg_segment_size: 296
    .language:       OpenCL C
    .language_version:
      - 2
      - 0
    .max_flat_workgroup_size: 256
    .name:           _ZN7rocprim17ROCPRIM_400000_NS6detail17trampoline_kernelINS0_14default_configENS1_25transform_config_selectorItLb0EEEZNS1_14transform_implILb0ES3_S5_N6thrust23THRUST_200600_302600_NS6detail15normal_iteratorINS8_10device_ptrItEEEEPtNS0_8identityItEEEE10hipError_tT2_T3_mT4_P12ihipStream_tbEUlT_E_NS1_11comp_targetILNS1_3genE5ELNS1_11target_archE942ELNS1_3gpuE9ELNS1_3repE0EEENS1_30default_config_static_selectorELNS0_4arch9wavefront6targetE1EEEvT1_
    .private_segment_fixed_size: 0
    .sgpr_count:     32
    .sgpr_spill_count: 0
    .symbol:         _ZN7rocprim17ROCPRIM_400000_NS6detail17trampoline_kernelINS0_14default_configENS1_25transform_config_selectorItLb0EEEZNS1_14transform_implILb0ES3_S5_N6thrust23THRUST_200600_302600_NS6detail15normal_iteratorINS8_10device_ptrItEEEEPtNS0_8identityItEEEE10hipError_tT2_T3_mT4_P12ihipStream_tbEUlT_E_NS1_11comp_targetILNS1_3genE5ELNS1_11target_archE942ELNS1_3gpuE9ELNS1_3repE0EEENS1_30default_config_static_selectorELNS0_4arch9wavefront6targetE1EEEvT1_.kd
    .uniform_work_group_size: 1
    .uses_dynamic_stack: false
    .vgpr_count:     15
    .vgpr_spill_count: 0
    .wavefront_size: 64
  - .agpr_count:     0
    .args:
      - .offset:         0
        .size:           40
        .value_kind:     by_value
    .group_segment_fixed_size: 0
    .kernarg_segment_align: 8
    .kernarg_segment_size: 40
    .language:       OpenCL C
    .language_version:
      - 2
      - 0
    .max_flat_workgroup_size: 64
    .name:           _ZN7rocprim17ROCPRIM_400000_NS6detail17trampoline_kernelINS0_14default_configENS1_25transform_config_selectorItLb0EEEZNS1_14transform_implILb0ES3_S5_N6thrust23THRUST_200600_302600_NS6detail15normal_iteratorINS8_10device_ptrItEEEEPtNS0_8identityItEEEE10hipError_tT2_T3_mT4_P12ihipStream_tbEUlT_E_NS1_11comp_targetILNS1_3genE4ELNS1_11target_archE910ELNS1_3gpuE8ELNS1_3repE0EEENS1_30default_config_static_selectorELNS0_4arch9wavefront6targetE1EEEvT1_
    .private_segment_fixed_size: 0
    .sgpr_count:     6
    .sgpr_spill_count: 0
    .symbol:         _ZN7rocprim17ROCPRIM_400000_NS6detail17trampoline_kernelINS0_14default_configENS1_25transform_config_selectorItLb0EEEZNS1_14transform_implILb0ES3_S5_N6thrust23THRUST_200600_302600_NS6detail15normal_iteratorINS8_10device_ptrItEEEEPtNS0_8identityItEEEE10hipError_tT2_T3_mT4_P12ihipStream_tbEUlT_E_NS1_11comp_targetILNS1_3genE4ELNS1_11target_archE910ELNS1_3gpuE8ELNS1_3repE0EEENS1_30default_config_static_selectorELNS0_4arch9wavefront6targetE1EEEvT1_.kd
    .uniform_work_group_size: 1
    .uses_dynamic_stack: false
    .vgpr_count:     0
    .vgpr_spill_count: 0
    .wavefront_size: 64
  - .agpr_count:     0
    .args:
      - .offset:         0
        .size:           40
        .value_kind:     by_value
    .group_segment_fixed_size: 0
    .kernarg_segment_align: 8
    .kernarg_segment_size: 40
    .language:       OpenCL C
    .language_version:
      - 2
      - 0
    .max_flat_workgroup_size: 128
    .name:           _ZN7rocprim17ROCPRIM_400000_NS6detail17trampoline_kernelINS0_14default_configENS1_25transform_config_selectorItLb0EEEZNS1_14transform_implILb0ES3_S5_N6thrust23THRUST_200600_302600_NS6detail15normal_iteratorINS8_10device_ptrItEEEEPtNS0_8identityItEEEE10hipError_tT2_T3_mT4_P12ihipStream_tbEUlT_E_NS1_11comp_targetILNS1_3genE3ELNS1_11target_archE908ELNS1_3gpuE7ELNS1_3repE0EEENS1_30default_config_static_selectorELNS0_4arch9wavefront6targetE1EEEvT1_
    .private_segment_fixed_size: 0
    .sgpr_count:     6
    .sgpr_spill_count: 0
    .symbol:         _ZN7rocprim17ROCPRIM_400000_NS6detail17trampoline_kernelINS0_14default_configENS1_25transform_config_selectorItLb0EEEZNS1_14transform_implILb0ES3_S5_N6thrust23THRUST_200600_302600_NS6detail15normal_iteratorINS8_10device_ptrItEEEEPtNS0_8identityItEEEE10hipError_tT2_T3_mT4_P12ihipStream_tbEUlT_E_NS1_11comp_targetILNS1_3genE3ELNS1_11target_archE908ELNS1_3gpuE7ELNS1_3repE0EEENS1_30default_config_static_selectorELNS0_4arch9wavefront6targetE1EEEvT1_.kd
    .uniform_work_group_size: 1
    .uses_dynamic_stack: false
    .vgpr_count:     0
    .vgpr_spill_count: 0
    .wavefront_size: 64
  - .agpr_count:     0
    .args:
      - .offset:         0
        .size:           40
        .value_kind:     by_value
    .group_segment_fixed_size: 0
    .kernarg_segment_align: 8
    .kernarg_segment_size: 40
    .language:       OpenCL C
    .language_version:
      - 2
      - 0
    .max_flat_workgroup_size: 512
    .name:           _ZN7rocprim17ROCPRIM_400000_NS6detail17trampoline_kernelINS0_14default_configENS1_25transform_config_selectorItLb0EEEZNS1_14transform_implILb0ES3_S5_N6thrust23THRUST_200600_302600_NS6detail15normal_iteratorINS8_10device_ptrItEEEEPtNS0_8identityItEEEE10hipError_tT2_T3_mT4_P12ihipStream_tbEUlT_E_NS1_11comp_targetILNS1_3genE2ELNS1_11target_archE906ELNS1_3gpuE6ELNS1_3repE0EEENS1_30default_config_static_selectorELNS0_4arch9wavefront6targetE1EEEvT1_
    .private_segment_fixed_size: 0
    .sgpr_count:     6
    .sgpr_spill_count: 0
    .symbol:         _ZN7rocprim17ROCPRIM_400000_NS6detail17trampoline_kernelINS0_14default_configENS1_25transform_config_selectorItLb0EEEZNS1_14transform_implILb0ES3_S5_N6thrust23THRUST_200600_302600_NS6detail15normal_iteratorINS8_10device_ptrItEEEEPtNS0_8identityItEEEE10hipError_tT2_T3_mT4_P12ihipStream_tbEUlT_E_NS1_11comp_targetILNS1_3genE2ELNS1_11target_archE906ELNS1_3gpuE6ELNS1_3repE0EEENS1_30default_config_static_selectorELNS0_4arch9wavefront6targetE1EEEvT1_.kd
    .uniform_work_group_size: 1
    .uses_dynamic_stack: false
    .vgpr_count:     0
    .vgpr_spill_count: 0
    .wavefront_size: 64
  - .agpr_count:     0
    .args:
      - .offset:         0
        .size:           40
        .value_kind:     by_value
    .group_segment_fixed_size: 0
    .kernarg_segment_align: 8
    .kernarg_segment_size: 40
    .language:       OpenCL C
    .language_version:
      - 2
      - 0
    .max_flat_workgroup_size: 1024
    .name:           _ZN7rocprim17ROCPRIM_400000_NS6detail17trampoline_kernelINS0_14default_configENS1_25transform_config_selectorItLb0EEEZNS1_14transform_implILb0ES3_S5_N6thrust23THRUST_200600_302600_NS6detail15normal_iteratorINS8_10device_ptrItEEEEPtNS0_8identityItEEEE10hipError_tT2_T3_mT4_P12ihipStream_tbEUlT_E_NS1_11comp_targetILNS1_3genE10ELNS1_11target_archE1201ELNS1_3gpuE5ELNS1_3repE0EEENS1_30default_config_static_selectorELNS0_4arch9wavefront6targetE1EEEvT1_
    .private_segment_fixed_size: 0
    .sgpr_count:     6
    .sgpr_spill_count: 0
    .symbol:         _ZN7rocprim17ROCPRIM_400000_NS6detail17trampoline_kernelINS0_14default_configENS1_25transform_config_selectorItLb0EEEZNS1_14transform_implILb0ES3_S5_N6thrust23THRUST_200600_302600_NS6detail15normal_iteratorINS8_10device_ptrItEEEEPtNS0_8identityItEEEE10hipError_tT2_T3_mT4_P12ihipStream_tbEUlT_E_NS1_11comp_targetILNS1_3genE10ELNS1_11target_archE1201ELNS1_3gpuE5ELNS1_3repE0EEENS1_30default_config_static_selectorELNS0_4arch9wavefront6targetE1EEEvT1_.kd
    .uniform_work_group_size: 1
    .uses_dynamic_stack: false
    .vgpr_count:     0
    .vgpr_spill_count: 0
    .wavefront_size: 64
  - .agpr_count:     0
    .args:
      - .offset:         0
        .size:           40
        .value_kind:     by_value
    .group_segment_fixed_size: 0
    .kernarg_segment_align: 8
    .kernarg_segment_size: 40
    .language:       OpenCL C
    .language_version:
      - 2
      - 0
    .max_flat_workgroup_size: 512
    .name:           _ZN7rocprim17ROCPRIM_400000_NS6detail17trampoline_kernelINS0_14default_configENS1_25transform_config_selectorItLb0EEEZNS1_14transform_implILb0ES3_S5_N6thrust23THRUST_200600_302600_NS6detail15normal_iteratorINS8_10device_ptrItEEEEPtNS0_8identityItEEEE10hipError_tT2_T3_mT4_P12ihipStream_tbEUlT_E_NS1_11comp_targetILNS1_3genE10ELNS1_11target_archE1200ELNS1_3gpuE4ELNS1_3repE0EEENS1_30default_config_static_selectorELNS0_4arch9wavefront6targetE1EEEvT1_
    .private_segment_fixed_size: 0
    .sgpr_count:     6
    .sgpr_spill_count: 0
    .symbol:         _ZN7rocprim17ROCPRIM_400000_NS6detail17trampoline_kernelINS0_14default_configENS1_25transform_config_selectorItLb0EEEZNS1_14transform_implILb0ES3_S5_N6thrust23THRUST_200600_302600_NS6detail15normal_iteratorINS8_10device_ptrItEEEEPtNS0_8identityItEEEE10hipError_tT2_T3_mT4_P12ihipStream_tbEUlT_E_NS1_11comp_targetILNS1_3genE10ELNS1_11target_archE1200ELNS1_3gpuE4ELNS1_3repE0EEENS1_30default_config_static_selectorELNS0_4arch9wavefront6targetE1EEEvT1_.kd
    .uniform_work_group_size: 1
    .uses_dynamic_stack: false
    .vgpr_count:     0
    .vgpr_spill_count: 0
    .wavefront_size: 64
  - .agpr_count:     0
    .args:
      - .offset:         0
        .size:           40
        .value_kind:     by_value
    .group_segment_fixed_size: 0
    .kernarg_segment_align: 8
    .kernarg_segment_size: 40
    .language:       OpenCL C
    .language_version:
      - 2
      - 0
    .max_flat_workgroup_size: 1024
    .name:           _ZN7rocprim17ROCPRIM_400000_NS6detail17trampoline_kernelINS0_14default_configENS1_25transform_config_selectorItLb0EEEZNS1_14transform_implILb0ES3_S5_N6thrust23THRUST_200600_302600_NS6detail15normal_iteratorINS8_10device_ptrItEEEEPtNS0_8identityItEEEE10hipError_tT2_T3_mT4_P12ihipStream_tbEUlT_E_NS1_11comp_targetILNS1_3genE9ELNS1_11target_archE1100ELNS1_3gpuE3ELNS1_3repE0EEENS1_30default_config_static_selectorELNS0_4arch9wavefront6targetE1EEEvT1_
    .private_segment_fixed_size: 0
    .sgpr_count:     6
    .sgpr_spill_count: 0
    .symbol:         _ZN7rocprim17ROCPRIM_400000_NS6detail17trampoline_kernelINS0_14default_configENS1_25transform_config_selectorItLb0EEEZNS1_14transform_implILb0ES3_S5_N6thrust23THRUST_200600_302600_NS6detail15normal_iteratorINS8_10device_ptrItEEEEPtNS0_8identityItEEEE10hipError_tT2_T3_mT4_P12ihipStream_tbEUlT_E_NS1_11comp_targetILNS1_3genE9ELNS1_11target_archE1100ELNS1_3gpuE3ELNS1_3repE0EEENS1_30default_config_static_selectorELNS0_4arch9wavefront6targetE1EEEvT1_.kd
    .uniform_work_group_size: 1
    .uses_dynamic_stack: false
    .vgpr_count:     0
    .vgpr_spill_count: 0
    .wavefront_size: 64
  - .agpr_count:     0
    .args:
      - .offset:         0
        .size:           40
        .value_kind:     by_value
    .group_segment_fixed_size: 0
    .kernarg_segment_align: 8
    .kernarg_segment_size: 40
    .language:       OpenCL C
    .language_version:
      - 2
      - 0
    .max_flat_workgroup_size: 1024
    .name:           _ZN7rocprim17ROCPRIM_400000_NS6detail17trampoline_kernelINS0_14default_configENS1_25transform_config_selectorItLb0EEEZNS1_14transform_implILb0ES3_S5_N6thrust23THRUST_200600_302600_NS6detail15normal_iteratorINS8_10device_ptrItEEEEPtNS0_8identityItEEEE10hipError_tT2_T3_mT4_P12ihipStream_tbEUlT_E_NS1_11comp_targetILNS1_3genE8ELNS1_11target_archE1030ELNS1_3gpuE2ELNS1_3repE0EEENS1_30default_config_static_selectorELNS0_4arch9wavefront6targetE1EEEvT1_
    .private_segment_fixed_size: 0
    .sgpr_count:     6
    .sgpr_spill_count: 0
    .symbol:         _ZN7rocprim17ROCPRIM_400000_NS6detail17trampoline_kernelINS0_14default_configENS1_25transform_config_selectorItLb0EEEZNS1_14transform_implILb0ES3_S5_N6thrust23THRUST_200600_302600_NS6detail15normal_iteratorINS8_10device_ptrItEEEEPtNS0_8identityItEEEE10hipError_tT2_T3_mT4_P12ihipStream_tbEUlT_E_NS1_11comp_targetILNS1_3genE8ELNS1_11target_archE1030ELNS1_3gpuE2ELNS1_3repE0EEENS1_30default_config_static_selectorELNS0_4arch9wavefront6targetE1EEEvT1_.kd
    .uniform_work_group_size: 1
    .uses_dynamic_stack: false
    .vgpr_count:     0
    .vgpr_spill_count: 0
    .wavefront_size: 64
  - .agpr_count:     0
    .args:
      - .offset:         0
        .size:           88
        .value_kind:     by_value
    .group_segment_fixed_size: 0
    .kernarg_segment_align: 8
    .kernarg_segment_size: 88
    .language:       OpenCL C
    .language_version:
      - 2
      - 0
    .max_flat_workgroup_size: 512
    .name:           _ZN7rocprim17ROCPRIM_400000_NS6detail17trampoline_kernelINS0_14default_configENS1_35radix_sort_onesweep_config_selectorItNS0_10empty_typeEEEZZNS1_29radix_sort_onesweep_iterationIS3_Lb0EN6thrust23THRUST_200600_302600_NS6detail15normal_iteratorINS9_10device_ptrItEEEESE_PS5_SF_jNS0_19identity_decomposerENS1_16block_id_wrapperIjLb1EEEEE10hipError_tT1_PNSt15iterator_traitsISK_E10value_typeET2_T3_PNSL_ISQ_E10value_typeET4_T5_PSV_SW_PNS1_23onesweep_lookback_stateEbbT6_jjT7_P12ihipStream_tbENKUlT_T0_SK_SP_E_clISE_SE_SF_SF_EEDaS13_S14_SK_SP_EUlS13_E_NS1_11comp_targetILNS1_3genE0ELNS1_11target_archE4294967295ELNS1_3gpuE0ELNS1_3repE0EEENS1_47radix_sort_onesweep_sort_config_static_selectorELNS0_4arch9wavefront6targetE1EEEvSK_
    .private_segment_fixed_size: 0
    .sgpr_count:     6
    .sgpr_spill_count: 0
    .symbol:         _ZN7rocprim17ROCPRIM_400000_NS6detail17trampoline_kernelINS0_14default_configENS1_35radix_sort_onesweep_config_selectorItNS0_10empty_typeEEEZZNS1_29radix_sort_onesweep_iterationIS3_Lb0EN6thrust23THRUST_200600_302600_NS6detail15normal_iteratorINS9_10device_ptrItEEEESE_PS5_SF_jNS0_19identity_decomposerENS1_16block_id_wrapperIjLb1EEEEE10hipError_tT1_PNSt15iterator_traitsISK_E10value_typeET2_T3_PNSL_ISQ_E10value_typeET4_T5_PSV_SW_PNS1_23onesweep_lookback_stateEbbT6_jjT7_P12ihipStream_tbENKUlT_T0_SK_SP_E_clISE_SE_SF_SF_EEDaS13_S14_SK_SP_EUlS13_E_NS1_11comp_targetILNS1_3genE0ELNS1_11target_archE4294967295ELNS1_3gpuE0ELNS1_3repE0EEENS1_47radix_sort_onesweep_sort_config_static_selectorELNS0_4arch9wavefront6targetE1EEEvSK_.kd
    .uniform_work_group_size: 1
    .uses_dynamic_stack: false
    .vgpr_count:     0
    .vgpr_spill_count: 0
    .wavefront_size: 64
  - .agpr_count:     0
    .args:
      - .offset:         0
        .size:           88
        .value_kind:     by_value
    .group_segment_fixed_size: 0
    .kernarg_segment_align: 8
    .kernarg_segment_size: 88
    .language:       OpenCL C
    .language_version:
      - 2
      - 0
    .max_flat_workgroup_size: 1024
    .name:           _ZN7rocprim17ROCPRIM_400000_NS6detail17trampoline_kernelINS0_14default_configENS1_35radix_sort_onesweep_config_selectorItNS0_10empty_typeEEEZZNS1_29radix_sort_onesweep_iterationIS3_Lb0EN6thrust23THRUST_200600_302600_NS6detail15normal_iteratorINS9_10device_ptrItEEEESE_PS5_SF_jNS0_19identity_decomposerENS1_16block_id_wrapperIjLb1EEEEE10hipError_tT1_PNSt15iterator_traitsISK_E10value_typeET2_T3_PNSL_ISQ_E10value_typeET4_T5_PSV_SW_PNS1_23onesweep_lookback_stateEbbT6_jjT7_P12ihipStream_tbENKUlT_T0_SK_SP_E_clISE_SE_SF_SF_EEDaS13_S14_SK_SP_EUlS13_E_NS1_11comp_targetILNS1_3genE6ELNS1_11target_archE950ELNS1_3gpuE13ELNS1_3repE0EEENS1_47radix_sort_onesweep_sort_config_static_selectorELNS0_4arch9wavefront6targetE1EEEvSK_
    .private_segment_fixed_size: 0
    .sgpr_count:     6
    .sgpr_spill_count: 0
    .symbol:         _ZN7rocprim17ROCPRIM_400000_NS6detail17trampoline_kernelINS0_14default_configENS1_35radix_sort_onesweep_config_selectorItNS0_10empty_typeEEEZZNS1_29radix_sort_onesweep_iterationIS3_Lb0EN6thrust23THRUST_200600_302600_NS6detail15normal_iteratorINS9_10device_ptrItEEEESE_PS5_SF_jNS0_19identity_decomposerENS1_16block_id_wrapperIjLb1EEEEE10hipError_tT1_PNSt15iterator_traitsISK_E10value_typeET2_T3_PNSL_ISQ_E10value_typeET4_T5_PSV_SW_PNS1_23onesweep_lookback_stateEbbT6_jjT7_P12ihipStream_tbENKUlT_T0_SK_SP_E_clISE_SE_SF_SF_EEDaS13_S14_SK_SP_EUlS13_E_NS1_11comp_targetILNS1_3genE6ELNS1_11target_archE950ELNS1_3gpuE13ELNS1_3repE0EEENS1_47radix_sort_onesweep_sort_config_static_selectorELNS0_4arch9wavefront6targetE1EEEvSK_.kd
    .uniform_work_group_size: 1
    .uses_dynamic_stack: false
    .vgpr_count:     0
    .vgpr_spill_count: 0
    .wavefront_size: 64
  - .agpr_count:     0
    .args:
      - .offset:         0
        .size:           88
        .value_kind:     by_value
      - .offset:         88
        .size:           4
        .value_kind:     hidden_block_count_x
      - .offset:         92
        .size:           4
        .value_kind:     hidden_block_count_y
      - .offset:         96
        .size:           4
        .value_kind:     hidden_block_count_z
      - .offset:         100
        .size:           2
        .value_kind:     hidden_group_size_x
      - .offset:         102
        .size:           2
        .value_kind:     hidden_group_size_y
      - .offset:         104
        .size:           2
        .value_kind:     hidden_group_size_z
      - .offset:         106
        .size:           2
        .value_kind:     hidden_remainder_x
      - .offset:         108
        .size:           2
        .value_kind:     hidden_remainder_y
      - .offset:         110
        .size:           2
        .value_kind:     hidden_remainder_z
      - .offset:         128
        .size:           8
        .value_kind:     hidden_global_offset_x
      - .offset:         136
        .size:           8
        .value_kind:     hidden_global_offset_y
      - .offset:         144
        .size:           8
        .value_kind:     hidden_global_offset_z
      - .offset:         152
        .size:           2
        .value_kind:     hidden_grid_dims
    .group_segment_fixed_size: 25608
    .kernarg_segment_align: 8
    .kernarg_segment_size: 344
    .language:       OpenCL C
    .language_version:
      - 2
      - 0
    .max_flat_workgroup_size: 1024
    .name:           _ZN7rocprim17ROCPRIM_400000_NS6detail17trampoline_kernelINS0_14default_configENS1_35radix_sort_onesweep_config_selectorItNS0_10empty_typeEEEZZNS1_29radix_sort_onesweep_iterationIS3_Lb0EN6thrust23THRUST_200600_302600_NS6detail15normal_iteratorINS9_10device_ptrItEEEESE_PS5_SF_jNS0_19identity_decomposerENS1_16block_id_wrapperIjLb1EEEEE10hipError_tT1_PNSt15iterator_traitsISK_E10value_typeET2_T3_PNSL_ISQ_E10value_typeET4_T5_PSV_SW_PNS1_23onesweep_lookback_stateEbbT6_jjT7_P12ihipStream_tbENKUlT_T0_SK_SP_E_clISE_SE_SF_SF_EEDaS13_S14_SK_SP_EUlS13_E_NS1_11comp_targetILNS1_3genE5ELNS1_11target_archE942ELNS1_3gpuE9ELNS1_3repE0EEENS1_47radix_sort_onesweep_sort_config_static_selectorELNS0_4arch9wavefront6targetE1EEEvSK_
    .private_segment_fixed_size: 0
    .sgpr_count:     42
    .sgpr_spill_count: 0
    .symbol:         _ZN7rocprim17ROCPRIM_400000_NS6detail17trampoline_kernelINS0_14default_configENS1_35radix_sort_onesweep_config_selectorItNS0_10empty_typeEEEZZNS1_29radix_sort_onesweep_iterationIS3_Lb0EN6thrust23THRUST_200600_302600_NS6detail15normal_iteratorINS9_10device_ptrItEEEESE_PS5_SF_jNS0_19identity_decomposerENS1_16block_id_wrapperIjLb1EEEEE10hipError_tT1_PNSt15iterator_traitsISK_E10value_typeET2_T3_PNSL_ISQ_E10value_typeET4_T5_PSV_SW_PNS1_23onesweep_lookback_stateEbbT6_jjT7_P12ihipStream_tbENKUlT_T0_SK_SP_E_clISE_SE_SF_SF_EEDaS13_S14_SK_SP_EUlS13_E_NS1_11comp_targetILNS1_3genE5ELNS1_11target_archE942ELNS1_3gpuE9ELNS1_3repE0EEENS1_47radix_sort_onesweep_sort_config_static_selectorELNS0_4arch9wavefront6targetE1EEEvSK_.kd
    .uniform_work_group_size: 1
    .uses_dynamic_stack: false
    .vgpr_count:     62
    .vgpr_spill_count: 0
    .wavefront_size: 64
  - .agpr_count:     0
    .args:
      - .offset:         0
        .size:           88
        .value_kind:     by_value
    .group_segment_fixed_size: 0
    .kernarg_segment_align: 8
    .kernarg_segment_size: 88
    .language:       OpenCL C
    .language_version:
      - 2
      - 0
    .max_flat_workgroup_size: 512
    .name:           _ZN7rocprim17ROCPRIM_400000_NS6detail17trampoline_kernelINS0_14default_configENS1_35radix_sort_onesweep_config_selectorItNS0_10empty_typeEEEZZNS1_29radix_sort_onesweep_iterationIS3_Lb0EN6thrust23THRUST_200600_302600_NS6detail15normal_iteratorINS9_10device_ptrItEEEESE_PS5_SF_jNS0_19identity_decomposerENS1_16block_id_wrapperIjLb1EEEEE10hipError_tT1_PNSt15iterator_traitsISK_E10value_typeET2_T3_PNSL_ISQ_E10value_typeET4_T5_PSV_SW_PNS1_23onesweep_lookback_stateEbbT6_jjT7_P12ihipStream_tbENKUlT_T0_SK_SP_E_clISE_SE_SF_SF_EEDaS13_S14_SK_SP_EUlS13_E_NS1_11comp_targetILNS1_3genE2ELNS1_11target_archE906ELNS1_3gpuE6ELNS1_3repE0EEENS1_47radix_sort_onesweep_sort_config_static_selectorELNS0_4arch9wavefront6targetE1EEEvSK_
    .private_segment_fixed_size: 0
    .sgpr_count:     6
    .sgpr_spill_count: 0
    .symbol:         _ZN7rocprim17ROCPRIM_400000_NS6detail17trampoline_kernelINS0_14default_configENS1_35radix_sort_onesweep_config_selectorItNS0_10empty_typeEEEZZNS1_29radix_sort_onesweep_iterationIS3_Lb0EN6thrust23THRUST_200600_302600_NS6detail15normal_iteratorINS9_10device_ptrItEEEESE_PS5_SF_jNS0_19identity_decomposerENS1_16block_id_wrapperIjLb1EEEEE10hipError_tT1_PNSt15iterator_traitsISK_E10value_typeET2_T3_PNSL_ISQ_E10value_typeET4_T5_PSV_SW_PNS1_23onesweep_lookback_stateEbbT6_jjT7_P12ihipStream_tbENKUlT_T0_SK_SP_E_clISE_SE_SF_SF_EEDaS13_S14_SK_SP_EUlS13_E_NS1_11comp_targetILNS1_3genE2ELNS1_11target_archE906ELNS1_3gpuE6ELNS1_3repE0EEENS1_47radix_sort_onesweep_sort_config_static_selectorELNS0_4arch9wavefront6targetE1EEEvSK_.kd
    .uniform_work_group_size: 1
    .uses_dynamic_stack: false
    .vgpr_count:     0
    .vgpr_spill_count: 0
    .wavefront_size: 64
  - .agpr_count:     0
    .args:
      - .offset:         0
        .size:           88
        .value_kind:     by_value
    .group_segment_fixed_size: 0
    .kernarg_segment_align: 8
    .kernarg_segment_size: 88
    .language:       OpenCL C
    .language_version:
      - 2
      - 0
    .max_flat_workgroup_size: 1024
    .name:           _ZN7rocprim17ROCPRIM_400000_NS6detail17trampoline_kernelINS0_14default_configENS1_35radix_sort_onesweep_config_selectorItNS0_10empty_typeEEEZZNS1_29radix_sort_onesweep_iterationIS3_Lb0EN6thrust23THRUST_200600_302600_NS6detail15normal_iteratorINS9_10device_ptrItEEEESE_PS5_SF_jNS0_19identity_decomposerENS1_16block_id_wrapperIjLb1EEEEE10hipError_tT1_PNSt15iterator_traitsISK_E10value_typeET2_T3_PNSL_ISQ_E10value_typeET4_T5_PSV_SW_PNS1_23onesweep_lookback_stateEbbT6_jjT7_P12ihipStream_tbENKUlT_T0_SK_SP_E_clISE_SE_SF_SF_EEDaS13_S14_SK_SP_EUlS13_E_NS1_11comp_targetILNS1_3genE4ELNS1_11target_archE910ELNS1_3gpuE8ELNS1_3repE0EEENS1_47radix_sort_onesweep_sort_config_static_selectorELNS0_4arch9wavefront6targetE1EEEvSK_
    .private_segment_fixed_size: 0
    .sgpr_count:     6
    .sgpr_spill_count: 0
    .symbol:         _ZN7rocprim17ROCPRIM_400000_NS6detail17trampoline_kernelINS0_14default_configENS1_35radix_sort_onesweep_config_selectorItNS0_10empty_typeEEEZZNS1_29radix_sort_onesweep_iterationIS3_Lb0EN6thrust23THRUST_200600_302600_NS6detail15normal_iteratorINS9_10device_ptrItEEEESE_PS5_SF_jNS0_19identity_decomposerENS1_16block_id_wrapperIjLb1EEEEE10hipError_tT1_PNSt15iterator_traitsISK_E10value_typeET2_T3_PNSL_ISQ_E10value_typeET4_T5_PSV_SW_PNS1_23onesweep_lookback_stateEbbT6_jjT7_P12ihipStream_tbENKUlT_T0_SK_SP_E_clISE_SE_SF_SF_EEDaS13_S14_SK_SP_EUlS13_E_NS1_11comp_targetILNS1_3genE4ELNS1_11target_archE910ELNS1_3gpuE8ELNS1_3repE0EEENS1_47radix_sort_onesweep_sort_config_static_selectorELNS0_4arch9wavefront6targetE1EEEvSK_.kd
    .uniform_work_group_size: 1
    .uses_dynamic_stack: false
    .vgpr_count:     0
    .vgpr_spill_count: 0
    .wavefront_size: 64
  - .agpr_count:     0
    .args:
      - .offset:         0
        .size:           88
        .value_kind:     by_value
    .group_segment_fixed_size: 0
    .kernarg_segment_align: 8
    .kernarg_segment_size: 88
    .language:       OpenCL C
    .language_version:
      - 2
      - 0
    .max_flat_workgroup_size: 512
    .name:           _ZN7rocprim17ROCPRIM_400000_NS6detail17trampoline_kernelINS0_14default_configENS1_35radix_sort_onesweep_config_selectorItNS0_10empty_typeEEEZZNS1_29radix_sort_onesweep_iterationIS3_Lb0EN6thrust23THRUST_200600_302600_NS6detail15normal_iteratorINS9_10device_ptrItEEEESE_PS5_SF_jNS0_19identity_decomposerENS1_16block_id_wrapperIjLb1EEEEE10hipError_tT1_PNSt15iterator_traitsISK_E10value_typeET2_T3_PNSL_ISQ_E10value_typeET4_T5_PSV_SW_PNS1_23onesweep_lookback_stateEbbT6_jjT7_P12ihipStream_tbENKUlT_T0_SK_SP_E_clISE_SE_SF_SF_EEDaS13_S14_SK_SP_EUlS13_E_NS1_11comp_targetILNS1_3genE3ELNS1_11target_archE908ELNS1_3gpuE7ELNS1_3repE0EEENS1_47radix_sort_onesweep_sort_config_static_selectorELNS0_4arch9wavefront6targetE1EEEvSK_
    .private_segment_fixed_size: 0
    .sgpr_count:     6
    .sgpr_spill_count: 0
    .symbol:         _ZN7rocprim17ROCPRIM_400000_NS6detail17trampoline_kernelINS0_14default_configENS1_35radix_sort_onesweep_config_selectorItNS0_10empty_typeEEEZZNS1_29radix_sort_onesweep_iterationIS3_Lb0EN6thrust23THRUST_200600_302600_NS6detail15normal_iteratorINS9_10device_ptrItEEEESE_PS5_SF_jNS0_19identity_decomposerENS1_16block_id_wrapperIjLb1EEEEE10hipError_tT1_PNSt15iterator_traitsISK_E10value_typeET2_T3_PNSL_ISQ_E10value_typeET4_T5_PSV_SW_PNS1_23onesweep_lookback_stateEbbT6_jjT7_P12ihipStream_tbENKUlT_T0_SK_SP_E_clISE_SE_SF_SF_EEDaS13_S14_SK_SP_EUlS13_E_NS1_11comp_targetILNS1_3genE3ELNS1_11target_archE908ELNS1_3gpuE7ELNS1_3repE0EEENS1_47radix_sort_onesweep_sort_config_static_selectorELNS0_4arch9wavefront6targetE1EEEvSK_.kd
    .uniform_work_group_size: 1
    .uses_dynamic_stack: false
    .vgpr_count:     0
    .vgpr_spill_count: 0
    .wavefront_size: 64
  - .agpr_count:     0
    .args:
      - .offset:         0
        .size:           88
        .value_kind:     by_value
    .group_segment_fixed_size: 0
    .kernarg_segment_align: 8
    .kernarg_segment_size: 88
    .language:       OpenCL C
    .language_version:
      - 2
      - 0
    .max_flat_workgroup_size: 256
    .name:           _ZN7rocprim17ROCPRIM_400000_NS6detail17trampoline_kernelINS0_14default_configENS1_35radix_sort_onesweep_config_selectorItNS0_10empty_typeEEEZZNS1_29radix_sort_onesweep_iterationIS3_Lb0EN6thrust23THRUST_200600_302600_NS6detail15normal_iteratorINS9_10device_ptrItEEEESE_PS5_SF_jNS0_19identity_decomposerENS1_16block_id_wrapperIjLb1EEEEE10hipError_tT1_PNSt15iterator_traitsISK_E10value_typeET2_T3_PNSL_ISQ_E10value_typeET4_T5_PSV_SW_PNS1_23onesweep_lookback_stateEbbT6_jjT7_P12ihipStream_tbENKUlT_T0_SK_SP_E_clISE_SE_SF_SF_EEDaS13_S14_SK_SP_EUlS13_E_NS1_11comp_targetILNS1_3genE10ELNS1_11target_archE1201ELNS1_3gpuE5ELNS1_3repE0EEENS1_47radix_sort_onesweep_sort_config_static_selectorELNS0_4arch9wavefront6targetE1EEEvSK_
    .private_segment_fixed_size: 0
    .sgpr_count:     6
    .sgpr_spill_count: 0
    .symbol:         _ZN7rocprim17ROCPRIM_400000_NS6detail17trampoline_kernelINS0_14default_configENS1_35radix_sort_onesweep_config_selectorItNS0_10empty_typeEEEZZNS1_29radix_sort_onesweep_iterationIS3_Lb0EN6thrust23THRUST_200600_302600_NS6detail15normal_iteratorINS9_10device_ptrItEEEESE_PS5_SF_jNS0_19identity_decomposerENS1_16block_id_wrapperIjLb1EEEEE10hipError_tT1_PNSt15iterator_traitsISK_E10value_typeET2_T3_PNSL_ISQ_E10value_typeET4_T5_PSV_SW_PNS1_23onesweep_lookback_stateEbbT6_jjT7_P12ihipStream_tbENKUlT_T0_SK_SP_E_clISE_SE_SF_SF_EEDaS13_S14_SK_SP_EUlS13_E_NS1_11comp_targetILNS1_3genE10ELNS1_11target_archE1201ELNS1_3gpuE5ELNS1_3repE0EEENS1_47radix_sort_onesweep_sort_config_static_selectorELNS0_4arch9wavefront6targetE1EEEvSK_.kd
    .uniform_work_group_size: 1
    .uses_dynamic_stack: false
    .vgpr_count:     0
    .vgpr_spill_count: 0
    .wavefront_size: 64
  - .agpr_count:     0
    .args:
      - .offset:         0
        .size:           88
        .value_kind:     by_value
    .group_segment_fixed_size: 0
    .kernarg_segment_align: 8
    .kernarg_segment_size: 88
    .language:       OpenCL C
    .language_version:
      - 2
      - 0
    .max_flat_workgroup_size: 256
    .name:           _ZN7rocprim17ROCPRIM_400000_NS6detail17trampoline_kernelINS0_14default_configENS1_35radix_sort_onesweep_config_selectorItNS0_10empty_typeEEEZZNS1_29radix_sort_onesweep_iterationIS3_Lb0EN6thrust23THRUST_200600_302600_NS6detail15normal_iteratorINS9_10device_ptrItEEEESE_PS5_SF_jNS0_19identity_decomposerENS1_16block_id_wrapperIjLb1EEEEE10hipError_tT1_PNSt15iterator_traitsISK_E10value_typeET2_T3_PNSL_ISQ_E10value_typeET4_T5_PSV_SW_PNS1_23onesweep_lookback_stateEbbT6_jjT7_P12ihipStream_tbENKUlT_T0_SK_SP_E_clISE_SE_SF_SF_EEDaS13_S14_SK_SP_EUlS13_E_NS1_11comp_targetILNS1_3genE9ELNS1_11target_archE1100ELNS1_3gpuE3ELNS1_3repE0EEENS1_47radix_sort_onesweep_sort_config_static_selectorELNS0_4arch9wavefront6targetE1EEEvSK_
    .private_segment_fixed_size: 0
    .sgpr_count:     6
    .sgpr_spill_count: 0
    .symbol:         _ZN7rocprim17ROCPRIM_400000_NS6detail17trampoline_kernelINS0_14default_configENS1_35radix_sort_onesweep_config_selectorItNS0_10empty_typeEEEZZNS1_29radix_sort_onesweep_iterationIS3_Lb0EN6thrust23THRUST_200600_302600_NS6detail15normal_iteratorINS9_10device_ptrItEEEESE_PS5_SF_jNS0_19identity_decomposerENS1_16block_id_wrapperIjLb1EEEEE10hipError_tT1_PNSt15iterator_traitsISK_E10value_typeET2_T3_PNSL_ISQ_E10value_typeET4_T5_PSV_SW_PNS1_23onesweep_lookback_stateEbbT6_jjT7_P12ihipStream_tbENKUlT_T0_SK_SP_E_clISE_SE_SF_SF_EEDaS13_S14_SK_SP_EUlS13_E_NS1_11comp_targetILNS1_3genE9ELNS1_11target_archE1100ELNS1_3gpuE3ELNS1_3repE0EEENS1_47radix_sort_onesweep_sort_config_static_selectorELNS0_4arch9wavefront6targetE1EEEvSK_.kd
    .uniform_work_group_size: 1
    .uses_dynamic_stack: false
    .vgpr_count:     0
    .vgpr_spill_count: 0
    .wavefront_size: 64
  - .agpr_count:     0
    .args:
      - .offset:         0
        .size:           88
        .value_kind:     by_value
    .group_segment_fixed_size: 0
    .kernarg_segment_align: 8
    .kernarg_segment_size: 88
    .language:       OpenCL C
    .language_version:
      - 2
      - 0
    .max_flat_workgroup_size: 256
    .name:           _ZN7rocprim17ROCPRIM_400000_NS6detail17trampoline_kernelINS0_14default_configENS1_35radix_sort_onesweep_config_selectorItNS0_10empty_typeEEEZZNS1_29radix_sort_onesweep_iterationIS3_Lb0EN6thrust23THRUST_200600_302600_NS6detail15normal_iteratorINS9_10device_ptrItEEEESE_PS5_SF_jNS0_19identity_decomposerENS1_16block_id_wrapperIjLb1EEEEE10hipError_tT1_PNSt15iterator_traitsISK_E10value_typeET2_T3_PNSL_ISQ_E10value_typeET4_T5_PSV_SW_PNS1_23onesweep_lookback_stateEbbT6_jjT7_P12ihipStream_tbENKUlT_T0_SK_SP_E_clISE_SE_SF_SF_EEDaS13_S14_SK_SP_EUlS13_E_NS1_11comp_targetILNS1_3genE8ELNS1_11target_archE1030ELNS1_3gpuE2ELNS1_3repE0EEENS1_47radix_sort_onesweep_sort_config_static_selectorELNS0_4arch9wavefront6targetE1EEEvSK_
    .private_segment_fixed_size: 0
    .sgpr_count:     6
    .sgpr_spill_count: 0
    .symbol:         _ZN7rocprim17ROCPRIM_400000_NS6detail17trampoline_kernelINS0_14default_configENS1_35radix_sort_onesweep_config_selectorItNS0_10empty_typeEEEZZNS1_29radix_sort_onesweep_iterationIS3_Lb0EN6thrust23THRUST_200600_302600_NS6detail15normal_iteratorINS9_10device_ptrItEEEESE_PS5_SF_jNS0_19identity_decomposerENS1_16block_id_wrapperIjLb1EEEEE10hipError_tT1_PNSt15iterator_traitsISK_E10value_typeET2_T3_PNSL_ISQ_E10value_typeET4_T5_PSV_SW_PNS1_23onesweep_lookback_stateEbbT6_jjT7_P12ihipStream_tbENKUlT_T0_SK_SP_E_clISE_SE_SF_SF_EEDaS13_S14_SK_SP_EUlS13_E_NS1_11comp_targetILNS1_3genE8ELNS1_11target_archE1030ELNS1_3gpuE2ELNS1_3repE0EEENS1_47radix_sort_onesweep_sort_config_static_selectorELNS0_4arch9wavefront6targetE1EEEvSK_.kd
    .uniform_work_group_size: 1
    .uses_dynamic_stack: false
    .vgpr_count:     0
    .vgpr_spill_count: 0
    .wavefront_size: 64
  - .agpr_count:     0
    .args:
      - .offset:         0
        .size:           88
        .value_kind:     by_value
    .group_segment_fixed_size: 0
    .kernarg_segment_align: 8
    .kernarg_segment_size: 88
    .language:       OpenCL C
    .language_version:
      - 2
      - 0
    .max_flat_workgroup_size: 512
    .name:           _ZN7rocprim17ROCPRIM_400000_NS6detail17trampoline_kernelINS0_14default_configENS1_35radix_sort_onesweep_config_selectorItNS0_10empty_typeEEEZZNS1_29radix_sort_onesweep_iterationIS3_Lb0EN6thrust23THRUST_200600_302600_NS6detail15normal_iteratorINS9_10device_ptrItEEEESE_PS5_SF_jNS0_19identity_decomposerENS1_16block_id_wrapperIjLb1EEEEE10hipError_tT1_PNSt15iterator_traitsISK_E10value_typeET2_T3_PNSL_ISQ_E10value_typeET4_T5_PSV_SW_PNS1_23onesweep_lookback_stateEbbT6_jjT7_P12ihipStream_tbENKUlT_T0_SK_SP_E_clISE_PtSF_SF_EEDaS13_S14_SK_SP_EUlS13_E_NS1_11comp_targetILNS1_3genE0ELNS1_11target_archE4294967295ELNS1_3gpuE0ELNS1_3repE0EEENS1_47radix_sort_onesweep_sort_config_static_selectorELNS0_4arch9wavefront6targetE1EEEvSK_
    .private_segment_fixed_size: 0
    .sgpr_count:     6
    .sgpr_spill_count: 0
    .symbol:         _ZN7rocprim17ROCPRIM_400000_NS6detail17trampoline_kernelINS0_14default_configENS1_35radix_sort_onesweep_config_selectorItNS0_10empty_typeEEEZZNS1_29radix_sort_onesweep_iterationIS3_Lb0EN6thrust23THRUST_200600_302600_NS6detail15normal_iteratorINS9_10device_ptrItEEEESE_PS5_SF_jNS0_19identity_decomposerENS1_16block_id_wrapperIjLb1EEEEE10hipError_tT1_PNSt15iterator_traitsISK_E10value_typeET2_T3_PNSL_ISQ_E10value_typeET4_T5_PSV_SW_PNS1_23onesweep_lookback_stateEbbT6_jjT7_P12ihipStream_tbENKUlT_T0_SK_SP_E_clISE_PtSF_SF_EEDaS13_S14_SK_SP_EUlS13_E_NS1_11comp_targetILNS1_3genE0ELNS1_11target_archE4294967295ELNS1_3gpuE0ELNS1_3repE0EEENS1_47radix_sort_onesweep_sort_config_static_selectorELNS0_4arch9wavefront6targetE1EEEvSK_.kd
    .uniform_work_group_size: 1
    .uses_dynamic_stack: false
    .vgpr_count:     0
    .vgpr_spill_count: 0
    .wavefront_size: 64
  - .agpr_count:     0
    .args:
      - .offset:         0
        .size:           88
        .value_kind:     by_value
    .group_segment_fixed_size: 0
    .kernarg_segment_align: 8
    .kernarg_segment_size: 88
    .language:       OpenCL C
    .language_version:
      - 2
      - 0
    .max_flat_workgroup_size: 1024
    .name:           _ZN7rocprim17ROCPRIM_400000_NS6detail17trampoline_kernelINS0_14default_configENS1_35radix_sort_onesweep_config_selectorItNS0_10empty_typeEEEZZNS1_29radix_sort_onesweep_iterationIS3_Lb0EN6thrust23THRUST_200600_302600_NS6detail15normal_iteratorINS9_10device_ptrItEEEESE_PS5_SF_jNS0_19identity_decomposerENS1_16block_id_wrapperIjLb1EEEEE10hipError_tT1_PNSt15iterator_traitsISK_E10value_typeET2_T3_PNSL_ISQ_E10value_typeET4_T5_PSV_SW_PNS1_23onesweep_lookback_stateEbbT6_jjT7_P12ihipStream_tbENKUlT_T0_SK_SP_E_clISE_PtSF_SF_EEDaS13_S14_SK_SP_EUlS13_E_NS1_11comp_targetILNS1_3genE6ELNS1_11target_archE950ELNS1_3gpuE13ELNS1_3repE0EEENS1_47radix_sort_onesweep_sort_config_static_selectorELNS0_4arch9wavefront6targetE1EEEvSK_
    .private_segment_fixed_size: 0
    .sgpr_count:     6
    .sgpr_spill_count: 0
    .symbol:         _ZN7rocprim17ROCPRIM_400000_NS6detail17trampoline_kernelINS0_14default_configENS1_35radix_sort_onesweep_config_selectorItNS0_10empty_typeEEEZZNS1_29radix_sort_onesweep_iterationIS3_Lb0EN6thrust23THRUST_200600_302600_NS6detail15normal_iteratorINS9_10device_ptrItEEEESE_PS5_SF_jNS0_19identity_decomposerENS1_16block_id_wrapperIjLb1EEEEE10hipError_tT1_PNSt15iterator_traitsISK_E10value_typeET2_T3_PNSL_ISQ_E10value_typeET4_T5_PSV_SW_PNS1_23onesweep_lookback_stateEbbT6_jjT7_P12ihipStream_tbENKUlT_T0_SK_SP_E_clISE_PtSF_SF_EEDaS13_S14_SK_SP_EUlS13_E_NS1_11comp_targetILNS1_3genE6ELNS1_11target_archE950ELNS1_3gpuE13ELNS1_3repE0EEENS1_47radix_sort_onesweep_sort_config_static_selectorELNS0_4arch9wavefront6targetE1EEEvSK_.kd
    .uniform_work_group_size: 1
    .uses_dynamic_stack: false
    .vgpr_count:     0
    .vgpr_spill_count: 0
    .wavefront_size: 64
  - .agpr_count:     0
    .args:
      - .offset:         0
        .size:           88
        .value_kind:     by_value
      - .offset:         88
        .size:           4
        .value_kind:     hidden_block_count_x
      - .offset:         92
        .size:           4
        .value_kind:     hidden_block_count_y
      - .offset:         96
        .size:           4
        .value_kind:     hidden_block_count_z
      - .offset:         100
        .size:           2
        .value_kind:     hidden_group_size_x
      - .offset:         102
        .size:           2
        .value_kind:     hidden_group_size_y
      - .offset:         104
        .size:           2
        .value_kind:     hidden_group_size_z
      - .offset:         106
        .size:           2
        .value_kind:     hidden_remainder_x
      - .offset:         108
        .size:           2
        .value_kind:     hidden_remainder_y
      - .offset:         110
        .size:           2
        .value_kind:     hidden_remainder_z
      - .offset:         128
        .size:           8
        .value_kind:     hidden_global_offset_x
      - .offset:         136
        .size:           8
        .value_kind:     hidden_global_offset_y
      - .offset:         144
        .size:           8
        .value_kind:     hidden_global_offset_z
      - .offset:         152
        .size:           2
        .value_kind:     hidden_grid_dims
    .group_segment_fixed_size: 25608
    .kernarg_segment_align: 8
    .kernarg_segment_size: 344
    .language:       OpenCL C
    .language_version:
      - 2
      - 0
    .max_flat_workgroup_size: 1024
    .name:           _ZN7rocprim17ROCPRIM_400000_NS6detail17trampoline_kernelINS0_14default_configENS1_35radix_sort_onesweep_config_selectorItNS0_10empty_typeEEEZZNS1_29radix_sort_onesweep_iterationIS3_Lb0EN6thrust23THRUST_200600_302600_NS6detail15normal_iteratorINS9_10device_ptrItEEEESE_PS5_SF_jNS0_19identity_decomposerENS1_16block_id_wrapperIjLb1EEEEE10hipError_tT1_PNSt15iterator_traitsISK_E10value_typeET2_T3_PNSL_ISQ_E10value_typeET4_T5_PSV_SW_PNS1_23onesweep_lookback_stateEbbT6_jjT7_P12ihipStream_tbENKUlT_T0_SK_SP_E_clISE_PtSF_SF_EEDaS13_S14_SK_SP_EUlS13_E_NS1_11comp_targetILNS1_3genE5ELNS1_11target_archE942ELNS1_3gpuE9ELNS1_3repE0EEENS1_47radix_sort_onesweep_sort_config_static_selectorELNS0_4arch9wavefront6targetE1EEEvSK_
    .private_segment_fixed_size: 0
    .sgpr_count:     42
    .sgpr_spill_count: 0
    .symbol:         _ZN7rocprim17ROCPRIM_400000_NS6detail17trampoline_kernelINS0_14default_configENS1_35radix_sort_onesweep_config_selectorItNS0_10empty_typeEEEZZNS1_29radix_sort_onesweep_iterationIS3_Lb0EN6thrust23THRUST_200600_302600_NS6detail15normal_iteratorINS9_10device_ptrItEEEESE_PS5_SF_jNS0_19identity_decomposerENS1_16block_id_wrapperIjLb1EEEEE10hipError_tT1_PNSt15iterator_traitsISK_E10value_typeET2_T3_PNSL_ISQ_E10value_typeET4_T5_PSV_SW_PNS1_23onesweep_lookback_stateEbbT6_jjT7_P12ihipStream_tbENKUlT_T0_SK_SP_E_clISE_PtSF_SF_EEDaS13_S14_SK_SP_EUlS13_E_NS1_11comp_targetILNS1_3genE5ELNS1_11target_archE942ELNS1_3gpuE9ELNS1_3repE0EEENS1_47radix_sort_onesweep_sort_config_static_selectorELNS0_4arch9wavefront6targetE1EEEvSK_.kd
    .uniform_work_group_size: 1
    .uses_dynamic_stack: false
    .vgpr_count:     62
    .vgpr_spill_count: 0
    .wavefront_size: 64
  - .agpr_count:     0
    .args:
      - .offset:         0
        .size:           88
        .value_kind:     by_value
    .group_segment_fixed_size: 0
    .kernarg_segment_align: 8
    .kernarg_segment_size: 88
    .language:       OpenCL C
    .language_version:
      - 2
      - 0
    .max_flat_workgroup_size: 512
    .name:           _ZN7rocprim17ROCPRIM_400000_NS6detail17trampoline_kernelINS0_14default_configENS1_35radix_sort_onesweep_config_selectorItNS0_10empty_typeEEEZZNS1_29radix_sort_onesweep_iterationIS3_Lb0EN6thrust23THRUST_200600_302600_NS6detail15normal_iteratorINS9_10device_ptrItEEEESE_PS5_SF_jNS0_19identity_decomposerENS1_16block_id_wrapperIjLb1EEEEE10hipError_tT1_PNSt15iterator_traitsISK_E10value_typeET2_T3_PNSL_ISQ_E10value_typeET4_T5_PSV_SW_PNS1_23onesweep_lookback_stateEbbT6_jjT7_P12ihipStream_tbENKUlT_T0_SK_SP_E_clISE_PtSF_SF_EEDaS13_S14_SK_SP_EUlS13_E_NS1_11comp_targetILNS1_3genE2ELNS1_11target_archE906ELNS1_3gpuE6ELNS1_3repE0EEENS1_47radix_sort_onesweep_sort_config_static_selectorELNS0_4arch9wavefront6targetE1EEEvSK_
    .private_segment_fixed_size: 0
    .sgpr_count:     6
    .sgpr_spill_count: 0
    .symbol:         _ZN7rocprim17ROCPRIM_400000_NS6detail17trampoline_kernelINS0_14default_configENS1_35radix_sort_onesweep_config_selectorItNS0_10empty_typeEEEZZNS1_29radix_sort_onesweep_iterationIS3_Lb0EN6thrust23THRUST_200600_302600_NS6detail15normal_iteratorINS9_10device_ptrItEEEESE_PS5_SF_jNS0_19identity_decomposerENS1_16block_id_wrapperIjLb1EEEEE10hipError_tT1_PNSt15iterator_traitsISK_E10value_typeET2_T3_PNSL_ISQ_E10value_typeET4_T5_PSV_SW_PNS1_23onesweep_lookback_stateEbbT6_jjT7_P12ihipStream_tbENKUlT_T0_SK_SP_E_clISE_PtSF_SF_EEDaS13_S14_SK_SP_EUlS13_E_NS1_11comp_targetILNS1_3genE2ELNS1_11target_archE906ELNS1_3gpuE6ELNS1_3repE0EEENS1_47radix_sort_onesweep_sort_config_static_selectorELNS0_4arch9wavefront6targetE1EEEvSK_.kd
    .uniform_work_group_size: 1
    .uses_dynamic_stack: false
    .vgpr_count:     0
    .vgpr_spill_count: 0
    .wavefront_size: 64
  - .agpr_count:     0
    .args:
      - .offset:         0
        .size:           88
        .value_kind:     by_value
    .group_segment_fixed_size: 0
    .kernarg_segment_align: 8
    .kernarg_segment_size: 88
    .language:       OpenCL C
    .language_version:
      - 2
      - 0
    .max_flat_workgroup_size: 1024
    .name:           _ZN7rocprim17ROCPRIM_400000_NS6detail17trampoline_kernelINS0_14default_configENS1_35radix_sort_onesweep_config_selectorItNS0_10empty_typeEEEZZNS1_29radix_sort_onesweep_iterationIS3_Lb0EN6thrust23THRUST_200600_302600_NS6detail15normal_iteratorINS9_10device_ptrItEEEESE_PS5_SF_jNS0_19identity_decomposerENS1_16block_id_wrapperIjLb1EEEEE10hipError_tT1_PNSt15iterator_traitsISK_E10value_typeET2_T3_PNSL_ISQ_E10value_typeET4_T5_PSV_SW_PNS1_23onesweep_lookback_stateEbbT6_jjT7_P12ihipStream_tbENKUlT_T0_SK_SP_E_clISE_PtSF_SF_EEDaS13_S14_SK_SP_EUlS13_E_NS1_11comp_targetILNS1_3genE4ELNS1_11target_archE910ELNS1_3gpuE8ELNS1_3repE0EEENS1_47radix_sort_onesweep_sort_config_static_selectorELNS0_4arch9wavefront6targetE1EEEvSK_
    .private_segment_fixed_size: 0
    .sgpr_count:     6
    .sgpr_spill_count: 0
    .symbol:         _ZN7rocprim17ROCPRIM_400000_NS6detail17trampoline_kernelINS0_14default_configENS1_35radix_sort_onesweep_config_selectorItNS0_10empty_typeEEEZZNS1_29radix_sort_onesweep_iterationIS3_Lb0EN6thrust23THRUST_200600_302600_NS6detail15normal_iteratorINS9_10device_ptrItEEEESE_PS5_SF_jNS0_19identity_decomposerENS1_16block_id_wrapperIjLb1EEEEE10hipError_tT1_PNSt15iterator_traitsISK_E10value_typeET2_T3_PNSL_ISQ_E10value_typeET4_T5_PSV_SW_PNS1_23onesweep_lookback_stateEbbT6_jjT7_P12ihipStream_tbENKUlT_T0_SK_SP_E_clISE_PtSF_SF_EEDaS13_S14_SK_SP_EUlS13_E_NS1_11comp_targetILNS1_3genE4ELNS1_11target_archE910ELNS1_3gpuE8ELNS1_3repE0EEENS1_47radix_sort_onesweep_sort_config_static_selectorELNS0_4arch9wavefront6targetE1EEEvSK_.kd
    .uniform_work_group_size: 1
    .uses_dynamic_stack: false
    .vgpr_count:     0
    .vgpr_spill_count: 0
    .wavefront_size: 64
  - .agpr_count:     0
    .args:
      - .offset:         0
        .size:           88
        .value_kind:     by_value
    .group_segment_fixed_size: 0
    .kernarg_segment_align: 8
    .kernarg_segment_size: 88
    .language:       OpenCL C
    .language_version:
      - 2
      - 0
    .max_flat_workgroup_size: 512
    .name:           _ZN7rocprim17ROCPRIM_400000_NS6detail17trampoline_kernelINS0_14default_configENS1_35radix_sort_onesweep_config_selectorItNS0_10empty_typeEEEZZNS1_29radix_sort_onesweep_iterationIS3_Lb0EN6thrust23THRUST_200600_302600_NS6detail15normal_iteratorINS9_10device_ptrItEEEESE_PS5_SF_jNS0_19identity_decomposerENS1_16block_id_wrapperIjLb1EEEEE10hipError_tT1_PNSt15iterator_traitsISK_E10value_typeET2_T3_PNSL_ISQ_E10value_typeET4_T5_PSV_SW_PNS1_23onesweep_lookback_stateEbbT6_jjT7_P12ihipStream_tbENKUlT_T0_SK_SP_E_clISE_PtSF_SF_EEDaS13_S14_SK_SP_EUlS13_E_NS1_11comp_targetILNS1_3genE3ELNS1_11target_archE908ELNS1_3gpuE7ELNS1_3repE0EEENS1_47radix_sort_onesweep_sort_config_static_selectorELNS0_4arch9wavefront6targetE1EEEvSK_
    .private_segment_fixed_size: 0
    .sgpr_count:     6
    .sgpr_spill_count: 0
    .symbol:         _ZN7rocprim17ROCPRIM_400000_NS6detail17trampoline_kernelINS0_14default_configENS1_35radix_sort_onesweep_config_selectorItNS0_10empty_typeEEEZZNS1_29radix_sort_onesweep_iterationIS3_Lb0EN6thrust23THRUST_200600_302600_NS6detail15normal_iteratorINS9_10device_ptrItEEEESE_PS5_SF_jNS0_19identity_decomposerENS1_16block_id_wrapperIjLb1EEEEE10hipError_tT1_PNSt15iterator_traitsISK_E10value_typeET2_T3_PNSL_ISQ_E10value_typeET4_T5_PSV_SW_PNS1_23onesweep_lookback_stateEbbT6_jjT7_P12ihipStream_tbENKUlT_T0_SK_SP_E_clISE_PtSF_SF_EEDaS13_S14_SK_SP_EUlS13_E_NS1_11comp_targetILNS1_3genE3ELNS1_11target_archE908ELNS1_3gpuE7ELNS1_3repE0EEENS1_47radix_sort_onesweep_sort_config_static_selectorELNS0_4arch9wavefront6targetE1EEEvSK_.kd
    .uniform_work_group_size: 1
    .uses_dynamic_stack: false
    .vgpr_count:     0
    .vgpr_spill_count: 0
    .wavefront_size: 64
  - .agpr_count:     0
    .args:
      - .offset:         0
        .size:           88
        .value_kind:     by_value
    .group_segment_fixed_size: 0
    .kernarg_segment_align: 8
    .kernarg_segment_size: 88
    .language:       OpenCL C
    .language_version:
      - 2
      - 0
    .max_flat_workgroup_size: 256
    .name:           _ZN7rocprim17ROCPRIM_400000_NS6detail17trampoline_kernelINS0_14default_configENS1_35radix_sort_onesweep_config_selectorItNS0_10empty_typeEEEZZNS1_29radix_sort_onesweep_iterationIS3_Lb0EN6thrust23THRUST_200600_302600_NS6detail15normal_iteratorINS9_10device_ptrItEEEESE_PS5_SF_jNS0_19identity_decomposerENS1_16block_id_wrapperIjLb1EEEEE10hipError_tT1_PNSt15iterator_traitsISK_E10value_typeET2_T3_PNSL_ISQ_E10value_typeET4_T5_PSV_SW_PNS1_23onesweep_lookback_stateEbbT6_jjT7_P12ihipStream_tbENKUlT_T0_SK_SP_E_clISE_PtSF_SF_EEDaS13_S14_SK_SP_EUlS13_E_NS1_11comp_targetILNS1_3genE10ELNS1_11target_archE1201ELNS1_3gpuE5ELNS1_3repE0EEENS1_47radix_sort_onesweep_sort_config_static_selectorELNS0_4arch9wavefront6targetE1EEEvSK_
    .private_segment_fixed_size: 0
    .sgpr_count:     6
    .sgpr_spill_count: 0
    .symbol:         _ZN7rocprim17ROCPRIM_400000_NS6detail17trampoline_kernelINS0_14default_configENS1_35radix_sort_onesweep_config_selectorItNS0_10empty_typeEEEZZNS1_29radix_sort_onesweep_iterationIS3_Lb0EN6thrust23THRUST_200600_302600_NS6detail15normal_iteratorINS9_10device_ptrItEEEESE_PS5_SF_jNS0_19identity_decomposerENS1_16block_id_wrapperIjLb1EEEEE10hipError_tT1_PNSt15iterator_traitsISK_E10value_typeET2_T3_PNSL_ISQ_E10value_typeET4_T5_PSV_SW_PNS1_23onesweep_lookback_stateEbbT6_jjT7_P12ihipStream_tbENKUlT_T0_SK_SP_E_clISE_PtSF_SF_EEDaS13_S14_SK_SP_EUlS13_E_NS1_11comp_targetILNS1_3genE10ELNS1_11target_archE1201ELNS1_3gpuE5ELNS1_3repE0EEENS1_47radix_sort_onesweep_sort_config_static_selectorELNS0_4arch9wavefront6targetE1EEEvSK_.kd
    .uniform_work_group_size: 1
    .uses_dynamic_stack: false
    .vgpr_count:     0
    .vgpr_spill_count: 0
    .wavefront_size: 64
  - .agpr_count:     0
    .args:
      - .offset:         0
        .size:           88
        .value_kind:     by_value
    .group_segment_fixed_size: 0
    .kernarg_segment_align: 8
    .kernarg_segment_size: 88
    .language:       OpenCL C
    .language_version:
      - 2
      - 0
    .max_flat_workgroup_size: 256
    .name:           _ZN7rocprim17ROCPRIM_400000_NS6detail17trampoline_kernelINS0_14default_configENS1_35radix_sort_onesweep_config_selectorItNS0_10empty_typeEEEZZNS1_29radix_sort_onesweep_iterationIS3_Lb0EN6thrust23THRUST_200600_302600_NS6detail15normal_iteratorINS9_10device_ptrItEEEESE_PS5_SF_jNS0_19identity_decomposerENS1_16block_id_wrapperIjLb1EEEEE10hipError_tT1_PNSt15iterator_traitsISK_E10value_typeET2_T3_PNSL_ISQ_E10value_typeET4_T5_PSV_SW_PNS1_23onesweep_lookback_stateEbbT6_jjT7_P12ihipStream_tbENKUlT_T0_SK_SP_E_clISE_PtSF_SF_EEDaS13_S14_SK_SP_EUlS13_E_NS1_11comp_targetILNS1_3genE9ELNS1_11target_archE1100ELNS1_3gpuE3ELNS1_3repE0EEENS1_47radix_sort_onesweep_sort_config_static_selectorELNS0_4arch9wavefront6targetE1EEEvSK_
    .private_segment_fixed_size: 0
    .sgpr_count:     6
    .sgpr_spill_count: 0
    .symbol:         _ZN7rocprim17ROCPRIM_400000_NS6detail17trampoline_kernelINS0_14default_configENS1_35radix_sort_onesweep_config_selectorItNS0_10empty_typeEEEZZNS1_29radix_sort_onesweep_iterationIS3_Lb0EN6thrust23THRUST_200600_302600_NS6detail15normal_iteratorINS9_10device_ptrItEEEESE_PS5_SF_jNS0_19identity_decomposerENS1_16block_id_wrapperIjLb1EEEEE10hipError_tT1_PNSt15iterator_traitsISK_E10value_typeET2_T3_PNSL_ISQ_E10value_typeET4_T5_PSV_SW_PNS1_23onesweep_lookback_stateEbbT6_jjT7_P12ihipStream_tbENKUlT_T0_SK_SP_E_clISE_PtSF_SF_EEDaS13_S14_SK_SP_EUlS13_E_NS1_11comp_targetILNS1_3genE9ELNS1_11target_archE1100ELNS1_3gpuE3ELNS1_3repE0EEENS1_47radix_sort_onesweep_sort_config_static_selectorELNS0_4arch9wavefront6targetE1EEEvSK_.kd
    .uniform_work_group_size: 1
    .uses_dynamic_stack: false
    .vgpr_count:     0
    .vgpr_spill_count: 0
    .wavefront_size: 64
  - .agpr_count:     0
    .args:
      - .offset:         0
        .size:           88
        .value_kind:     by_value
    .group_segment_fixed_size: 0
    .kernarg_segment_align: 8
    .kernarg_segment_size: 88
    .language:       OpenCL C
    .language_version:
      - 2
      - 0
    .max_flat_workgroup_size: 256
    .name:           _ZN7rocprim17ROCPRIM_400000_NS6detail17trampoline_kernelINS0_14default_configENS1_35radix_sort_onesweep_config_selectorItNS0_10empty_typeEEEZZNS1_29radix_sort_onesweep_iterationIS3_Lb0EN6thrust23THRUST_200600_302600_NS6detail15normal_iteratorINS9_10device_ptrItEEEESE_PS5_SF_jNS0_19identity_decomposerENS1_16block_id_wrapperIjLb1EEEEE10hipError_tT1_PNSt15iterator_traitsISK_E10value_typeET2_T3_PNSL_ISQ_E10value_typeET4_T5_PSV_SW_PNS1_23onesweep_lookback_stateEbbT6_jjT7_P12ihipStream_tbENKUlT_T0_SK_SP_E_clISE_PtSF_SF_EEDaS13_S14_SK_SP_EUlS13_E_NS1_11comp_targetILNS1_3genE8ELNS1_11target_archE1030ELNS1_3gpuE2ELNS1_3repE0EEENS1_47radix_sort_onesweep_sort_config_static_selectorELNS0_4arch9wavefront6targetE1EEEvSK_
    .private_segment_fixed_size: 0
    .sgpr_count:     6
    .sgpr_spill_count: 0
    .symbol:         _ZN7rocprim17ROCPRIM_400000_NS6detail17trampoline_kernelINS0_14default_configENS1_35radix_sort_onesweep_config_selectorItNS0_10empty_typeEEEZZNS1_29radix_sort_onesweep_iterationIS3_Lb0EN6thrust23THRUST_200600_302600_NS6detail15normal_iteratorINS9_10device_ptrItEEEESE_PS5_SF_jNS0_19identity_decomposerENS1_16block_id_wrapperIjLb1EEEEE10hipError_tT1_PNSt15iterator_traitsISK_E10value_typeET2_T3_PNSL_ISQ_E10value_typeET4_T5_PSV_SW_PNS1_23onesweep_lookback_stateEbbT6_jjT7_P12ihipStream_tbENKUlT_T0_SK_SP_E_clISE_PtSF_SF_EEDaS13_S14_SK_SP_EUlS13_E_NS1_11comp_targetILNS1_3genE8ELNS1_11target_archE1030ELNS1_3gpuE2ELNS1_3repE0EEENS1_47radix_sort_onesweep_sort_config_static_selectorELNS0_4arch9wavefront6targetE1EEEvSK_.kd
    .uniform_work_group_size: 1
    .uses_dynamic_stack: false
    .vgpr_count:     0
    .vgpr_spill_count: 0
    .wavefront_size: 64
  - .agpr_count:     0
    .args:
      - .offset:         0
        .size:           88
        .value_kind:     by_value
    .group_segment_fixed_size: 0
    .kernarg_segment_align: 8
    .kernarg_segment_size: 88
    .language:       OpenCL C
    .language_version:
      - 2
      - 0
    .max_flat_workgroup_size: 512
    .name:           _ZN7rocprim17ROCPRIM_400000_NS6detail17trampoline_kernelINS0_14default_configENS1_35radix_sort_onesweep_config_selectorItNS0_10empty_typeEEEZZNS1_29radix_sort_onesweep_iterationIS3_Lb0EN6thrust23THRUST_200600_302600_NS6detail15normal_iteratorINS9_10device_ptrItEEEESE_PS5_SF_jNS0_19identity_decomposerENS1_16block_id_wrapperIjLb1EEEEE10hipError_tT1_PNSt15iterator_traitsISK_E10value_typeET2_T3_PNSL_ISQ_E10value_typeET4_T5_PSV_SW_PNS1_23onesweep_lookback_stateEbbT6_jjT7_P12ihipStream_tbENKUlT_T0_SK_SP_E_clIPtSE_SF_SF_EEDaS13_S14_SK_SP_EUlS13_E_NS1_11comp_targetILNS1_3genE0ELNS1_11target_archE4294967295ELNS1_3gpuE0ELNS1_3repE0EEENS1_47radix_sort_onesweep_sort_config_static_selectorELNS0_4arch9wavefront6targetE1EEEvSK_
    .private_segment_fixed_size: 0
    .sgpr_count:     6
    .sgpr_spill_count: 0
    .symbol:         _ZN7rocprim17ROCPRIM_400000_NS6detail17trampoline_kernelINS0_14default_configENS1_35radix_sort_onesweep_config_selectorItNS0_10empty_typeEEEZZNS1_29radix_sort_onesweep_iterationIS3_Lb0EN6thrust23THRUST_200600_302600_NS6detail15normal_iteratorINS9_10device_ptrItEEEESE_PS5_SF_jNS0_19identity_decomposerENS1_16block_id_wrapperIjLb1EEEEE10hipError_tT1_PNSt15iterator_traitsISK_E10value_typeET2_T3_PNSL_ISQ_E10value_typeET4_T5_PSV_SW_PNS1_23onesweep_lookback_stateEbbT6_jjT7_P12ihipStream_tbENKUlT_T0_SK_SP_E_clIPtSE_SF_SF_EEDaS13_S14_SK_SP_EUlS13_E_NS1_11comp_targetILNS1_3genE0ELNS1_11target_archE4294967295ELNS1_3gpuE0ELNS1_3repE0EEENS1_47radix_sort_onesweep_sort_config_static_selectorELNS0_4arch9wavefront6targetE1EEEvSK_.kd
    .uniform_work_group_size: 1
    .uses_dynamic_stack: false
    .vgpr_count:     0
    .vgpr_spill_count: 0
    .wavefront_size: 64
  - .agpr_count:     0
    .args:
      - .offset:         0
        .size:           88
        .value_kind:     by_value
    .group_segment_fixed_size: 0
    .kernarg_segment_align: 8
    .kernarg_segment_size: 88
    .language:       OpenCL C
    .language_version:
      - 2
      - 0
    .max_flat_workgroup_size: 1024
    .name:           _ZN7rocprim17ROCPRIM_400000_NS6detail17trampoline_kernelINS0_14default_configENS1_35radix_sort_onesweep_config_selectorItNS0_10empty_typeEEEZZNS1_29radix_sort_onesweep_iterationIS3_Lb0EN6thrust23THRUST_200600_302600_NS6detail15normal_iteratorINS9_10device_ptrItEEEESE_PS5_SF_jNS0_19identity_decomposerENS1_16block_id_wrapperIjLb1EEEEE10hipError_tT1_PNSt15iterator_traitsISK_E10value_typeET2_T3_PNSL_ISQ_E10value_typeET4_T5_PSV_SW_PNS1_23onesweep_lookback_stateEbbT6_jjT7_P12ihipStream_tbENKUlT_T0_SK_SP_E_clIPtSE_SF_SF_EEDaS13_S14_SK_SP_EUlS13_E_NS1_11comp_targetILNS1_3genE6ELNS1_11target_archE950ELNS1_3gpuE13ELNS1_3repE0EEENS1_47radix_sort_onesweep_sort_config_static_selectorELNS0_4arch9wavefront6targetE1EEEvSK_
    .private_segment_fixed_size: 0
    .sgpr_count:     6
    .sgpr_spill_count: 0
    .symbol:         _ZN7rocprim17ROCPRIM_400000_NS6detail17trampoline_kernelINS0_14default_configENS1_35radix_sort_onesweep_config_selectorItNS0_10empty_typeEEEZZNS1_29radix_sort_onesweep_iterationIS3_Lb0EN6thrust23THRUST_200600_302600_NS6detail15normal_iteratorINS9_10device_ptrItEEEESE_PS5_SF_jNS0_19identity_decomposerENS1_16block_id_wrapperIjLb1EEEEE10hipError_tT1_PNSt15iterator_traitsISK_E10value_typeET2_T3_PNSL_ISQ_E10value_typeET4_T5_PSV_SW_PNS1_23onesweep_lookback_stateEbbT6_jjT7_P12ihipStream_tbENKUlT_T0_SK_SP_E_clIPtSE_SF_SF_EEDaS13_S14_SK_SP_EUlS13_E_NS1_11comp_targetILNS1_3genE6ELNS1_11target_archE950ELNS1_3gpuE13ELNS1_3repE0EEENS1_47radix_sort_onesweep_sort_config_static_selectorELNS0_4arch9wavefront6targetE1EEEvSK_.kd
    .uniform_work_group_size: 1
    .uses_dynamic_stack: false
    .vgpr_count:     0
    .vgpr_spill_count: 0
    .wavefront_size: 64
  - .agpr_count:     0
    .args:
      - .offset:         0
        .size:           88
        .value_kind:     by_value
      - .offset:         88
        .size:           4
        .value_kind:     hidden_block_count_x
      - .offset:         92
        .size:           4
        .value_kind:     hidden_block_count_y
      - .offset:         96
        .size:           4
        .value_kind:     hidden_block_count_z
      - .offset:         100
        .size:           2
        .value_kind:     hidden_group_size_x
      - .offset:         102
        .size:           2
        .value_kind:     hidden_group_size_y
      - .offset:         104
        .size:           2
        .value_kind:     hidden_group_size_z
      - .offset:         106
        .size:           2
        .value_kind:     hidden_remainder_x
      - .offset:         108
        .size:           2
        .value_kind:     hidden_remainder_y
      - .offset:         110
        .size:           2
        .value_kind:     hidden_remainder_z
      - .offset:         128
        .size:           8
        .value_kind:     hidden_global_offset_x
      - .offset:         136
        .size:           8
        .value_kind:     hidden_global_offset_y
      - .offset:         144
        .size:           8
        .value_kind:     hidden_global_offset_z
      - .offset:         152
        .size:           2
        .value_kind:     hidden_grid_dims
    .group_segment_fixed_size: 25608
    .kernarg_segment_align: 8
    .kernarg_segment_size: 344
    .language:       OpenCL C
    .language_version:
      - 2
      - 0
    .max_flat_workgroup_size: 1024
    .name:           _ZN7rocprim17ROCPRIM_400000_NS6detail17trampoline_kernelINS0_14default_configENS1_35radix_sort_onesweep_config_selectorItNS0_10empty_typeEEEZZNS1_29radix_sort_onesweep_iterationIS3_Lb0EN6thrust23THRUST_200600_302600_NS6detail15normal_iteratorINS9_10device_ptrItEEEESE_PS5_SF_jNS0_19identity_decomposerENS1_16block_id_wrapperIjLb1EEEEE10hipError_tT1_PNSt15iterator_traitsISK_E10value_typeET2_T3_PNSL_ISQ_E10value_typeET4_T5_PSV_SW_PNS1_23onesweep_lookback_stateEbbT6_jjT7_P12ihipStream_tbENKUlT_T0_SK_SP_E_clIPtSE_SF_SF_EEDaS13_S14_SK_SP_EUlS13_E_NS1_11comp_targetILNS1_3genE5ELNS1_11target_archE942ELNS1_3gpuE9ELNS1_3repE0EEENS1_47radix_sort_onesweep_sort_config_static_selectorELNS0_4arch9wavefront6targetE1EEEvSK_
    .private_segment_fixed_size: 0
    .sgpr_count:     42
    .sgpr_spill_count: 0
    .symbol:         _ZN7rocprim17ROCPRIM_400000_NS6detail17trampoline_kernelINS0_14default_configENS1_35radix_sort_onesweep_config_selectorItNS0_10empty_typeEEEZZNS1_29radix_sort_onesweep_iterationIS3_Lb0EN6thrust23THRUST_200600_302600_NS6detail15normal_iteratorINS9_10device_ptrItEEEESE_PS5_SF_jNS0_19identity_decomposerENS1_16block_id_wrapperIjLb1EEEEE10hipError_tT1_PNSt15iterator_traitsISK_E10value_typeET2_T3_PNSL_ISQ_E10value_typeET4_T5_PSV_SW_PNS1_23onesweep_lookback_stateEbbT6_jjT7_P12ihipStream_tbENKUlT_T0_SK_SP_E_clIPtSE_SF_SF_EEDaS13_S14_SK_SP_EUlS13_E_NS1_11comp_targetILNS1_3genE5ELNS1_11target_archE942ELNS1_3gpuE9ELNS1_3repE0EEENS1_47radix_sort_onesweep_sort_config_static_selectorELNS0_4arch9wavefront6targetE1EEEvSK_.kd
    .uniform_work_group_size: 1
    .uses_dynamic_stack: false
    .vgpr_count:     62
    .vgpr_spill_count: 0
    .wavefront_size: 64
  - .agpr_count:     0
    .args:
      - .offset:         0
        .size:           88
        .value_kind:     by_value
    .group_segment_fixed_size: 0
    .kernarg_segment_align: 8
    .kernarg_segment_size: 88
    .language:       OpenCL C
    .language_version:
      - 2
      - 0
    .max_flat_workgroup_size: 512
    .name:           _ZN7rocprim17ROCPRIM_400000_NS6detail17trampoline_kernelINS0_14default_configENS1_35radix_sort_onesweep_config_selectorItNS0_10empty_typeEEEZZNS1_29radix_sort_onesweep_iterationIS3_Lb0EN6thrust23THRUST_200600_302600_NS6detail15normal_iteratorINS9_10device_ptrItEEEESE_PS5_SF_jNS0_19identity_decomposerENS1_16block_id_wrapperIjLb1EEEEE10hipError_tT1_PNSt15iterator_traitsISK_E10value_typeET2_T3_PNSL_ISQ_E10value_typeET4_T5_PSV_SW_PNS1_23onesweep_lookback_stateEbbT6_jjT7_P12ihipStream_tbENKUlT_T0_SK_SP_E_clIPtSE_SF_SF_EEDaS13_S14_SK_SP_EUlS13_E_NS1_11comp_targetILNS1_3genE2ELNS1_11target_archE906ELNS1_3gpuE6ELNS1_3repE0EEENS1_47radix_sort_onesweep_sort_config_static_selectorELNS0_4arch9wavefront6targetE1EEEvSK_
    .private_segment_fixed_size: 0
    .sgpr_count:     6
    .sgpr_spill_count: 0
    .symbol:         _ZN7rocprim17ROCPRIM_400000_NS6detail17trampoline_kernelINS0_14default_configENS1_35radix_sort_onesweep_config_selectorItNS0_10empty_typeEEEZZNS1_29radix_sort_onesweep_iterationIS3_Lb0EN6thrust23THRUST_200600_302600_NS6detail15normal_iteratorINS9_10device_ptrItEEEESE_PS5_SF_jNS0_19identity_decomposerENS1_16block_id_wrapperIjLb1EEEEE10hipError_tT1_PNSt15iterator_traitsISK_E10value_typeET2_T3_PNSL_ISQ_E10value_typeET4_T5_PSV_SW_PNS1_23onesweep_lookback_stateEbbT6_jjT7_P12ihipStream_tbENKUlT_T0_SK_SP_E_clIPtSE_SF_SF_EEDaS13_S14_SK_SP_EUlS13_E_NS1_11comp_targetILNS1_3genE2ELNS1_11target_archE906ELNS1_3gpuE6ELNS1_3repE0EEENS1_47radix_sort_onesweep_sort_config_static_selectorELNS0_4arch9wavefront6targetE1EEEvSK_.kd
    .uniform_work_group_size: 1
    .uses_dynamic_stack: false
    .vgpr_count:     0
    .vgpr_spill_count: 0
    .wavefront_size: 64
  - .agpr_count:     0
    .args:
      - .offset:         0
        .size:           88
        .value_kind:     by_value
    .group_segment_fixed_size: 0
    .kernarg_segment_align: 8
    .kernarg_segment_size: 88
    .language:       OpenCL C
    .language_version:
      - 2
      - 0
    .max_flat_workgroup_size: 1024
    .name:           _ZN7rocprim17ROCPRIM_400000_NS6detail17trampoline_kernelINS0_14default_configENS1_35radix_sort_onesweep_config_selectorItNS0_10empty_typeEEEZZNS1_29radix_sort_onesweep_iterationIS3_Lb0EN6thrust23THRUST_200600_302600_NS6detail15normal_iteratorINS9_10device_ptrItEEEESE_PS5_SF_jNS0_19identity_decomposerENS1_16block_id_wrapperIjLb1EEEEE10hipError_tT1_PNSt15iterator_traitsISK_E10value_typeET2_T3_PNSL_ISQ_E10value_typeET4_T5_PSV_SW_PNS1_23onesweep_lookback_stateEbbT6_jjT7_P12ihipStream_tbENKUlT_T0_SK_SP_E_clIPtSE_SF_SF_EEDaS13_S14_SK_SP_EUlS13_E_NS1_11comp_targetILNS1_3genE4ELNS1_11target_archE910ELNS1_3gpuE8ELNS1_3repE0EEENS1_47radix_sort_onesweep_sort_config_static_selectorELNS0_4arch9wavefront6targetE1EEEvSK_
    .private_segment_fixed_size: 0
    .sgpr_count:     6
    .sgpr_spill_count: 0
    .symbol:         _ZN7rocprim17ROCPRIM_400000_NS6detail17trampoline_kernelINS0_14default_configENS1_35radix_sort_onesweep_config_selectorItNS0_10empty_typeEEEZZNS1_29radix_sort_onesweep_iterationIS3_Lb0EN6thrust23THRUST_200600_302600_NS6detail15normal_iteratorINS9_10device_ptrItEEEESE_PS5_SF_jNS0_19identity_decomposerENS1_16block_id_wrapperIjLb1EEEEE10hipError_tT1_PNSt15iterator_traitsISK_E10value_typeET2_T3_PNSL_ISQ_E10value_typeET4_T5_PSV_SW_PNS1_23onesweep_lookback_stateEbbT6_jjT7_P12ihipStream_tbENKUlT_T0_SK_SP_E_clIPtSE_SF_SF_EEDaS13_S14_SK_SP_EUlS13_E_NS1_11comp_targetILNS1_3genE4ELNS1_11target_archE910ELNS1_3gpuE8ELNS1_3repE0EEENS1_47radix_sort_onesweep_sort_config_static_selectorELNS0_4arch9wavefront6targetE1EEEvSK_.kd
    .uniform_work_group_size: 1
    .uses_dynamic_stack: false
    .vgpr_count:     0
    .vgpr_spill_count: 0
    .wavefront_size: 64
  - .agpr_count:     0
    .args:
      - .offset:         0
        .size:           88
        .value_kind:     by_value
    .group_segment_fixed_size: 0
    .kernarg_segment_align: 8
    .kernarg_segment_size: 88
    .language:       OpenCL C
    .language_version:
      - 2
      - 0
    .max_flat_workgroup_size: 512
    .name:           _ZN7rocprim17ROCPRIM_400000_NS6detail17trampoline_kernelINS0_14default_configENS1_35radix_sort_onesweep_config_selectorItNS0_10empty_typeEEEZZNS1_29radix_sort_onesweep_iterationIS3_Lb0EN6thrust23THRUST_200600_302600_NS6detail15normal_iteratorINS9_10device_ptrItEEEESE_PS5_SF_jNS0_19identity_decomposerENS1_16block_id_wrapperIjLb1EEEEE10hipError_tT1_PNSt15iterator_traitsISK_E10value_typeET2_T3_PNSL_ISQ_E10value_typeET4_T5_PSV_SW_PNS1_23onesweep_lookback_stateEbbT6_jjT7_P12ihipStream_tbENKUlT_T0_SK_SP_E_clIPtSE_SF_SF_EEDaS13_S14_SK_SP_EUlS13_E_NS1_11comp_targetILNS1_3genE3ELNS1_11target_archE908ELNS1_3gpuE7ELNS1_3repE0EEENS1_47radix_sort_onesweep_sort_config_static_selectorELNS0_4arch9wavefront6targetE1EEEvSK_
    .private_segment_fixed_size: 0
    .sgpr_count:     6
    .sgpr_spill_count: 0
    .symbol:         _ZN7rocprim17ROCPRIM_400000_NS6detail17trampoline_kernelINS0_14default_configENS1_35radix_sort_onesweep_config_selectorItNS0_10empty_typeEEEZZNS1_29radix_sort_onesweep_iterationIS3_Lb0EN6thrust23THRUST_200600_302600_NS6detail15normal_iteratorINS9_10device_ptrItEEEESE_PS5_SF_jNS0_19identity_decomposerENS1_16block_id_wrapperIjLb1EEEEE10hipError_tT1_PNSt15iterator_traitsISK_E10value_typeET2_T3_PNSL_ISQ_E10value_typeET4_T5_PSV_SW_PNS1_23onesweep_lookback_stateEbbT6_jjT7_P12ihipStream_tbENKUlT_T0_SK_SP_E_clIPtSE_SF_SF_EEDaS13_S14_SK_SP_EUlS13_E_NS1_11comp_targetILNS1_3genE3ELNS1_11target_archE908ELNS1_3gpuE7ELNS1_3repE0EEENS1_47radix_sort_onesweep_sort_config_static_selectorELNS0_4arch9wavefront6targetE1EEEvSK_.kd
    .uniform_work_group_size: 1
    .uses_dynamic_stack: false
    .vgpr_count:     0
    .vgpr_spill_count: 0
    .wavefront_size: 64
  - .agpr_count:     0
    .args:
      - .offset:         0
        .size:           88
        .value_kind:     by_value
    .group_segment_fixed_size: 0
    .kernarg_segment_align: 8
    .kernarg_segment_size: 88
    .language:       OpenCL C
    .language_version:
      - 2
      - 0
    .max_flat_workgroup_size: 256
    .name:           _ZN7rocprim17ROCPRIM_400000_NS6detail17trampoline_kernelINS0_14default_configENS1_35radix_sort_onesweep_config_selectorItNS0_10empty_typeEEEZZNS1_29radix_sort_onesweep_iterationIS3_Lb0EN6thrust23THRUST_200600_302600_NS6detail15normal_iteratorINS9_10device_ptrItEEEESE_PS5_SF_jNS0_19identity_decomposerENS1_16block_id_wrapperIjLb1EEEEE10hipError_tT1_PNSt15iterator_traitsISK_E10value_typeET2_T3_PNSL_ISQ_E10value_typeET4_T5_PSV_SW_PNS1_23onesweep_lookback_stateEbbT6_jjT7_P12ihipStream_tbENKUlT_T0_SK_SP_E_clIPtSE_SF_SF_EEDaS13_S14_SK_SP_EUlS13_E_NS1_11comp_targetILNS1_3genE10ELNS1_11target_archE1201ELNS1_3gpuE5ELNS1_3repE0EEENS1_47radix_sort_onesweep_sort_config_static_selectorELNS0_4arch9wavefront6targetE1EEEvSK_
    .private_segment_fixed_size: 0
    .sgpr_count:     6
    .sgpr_spill_count: 0
    .symbol:         _ZN7rocprim17ROCPRIM_400000_NS6detail17trampoline_kernelINS0_14default_configENS1_35radix_sort_onesweep_config_selectorItNS0_10empty_typeEEEZZNS1_29radix_sort_onesweep_iterationIS3_Lb0EN6thrust23THRUST_200600_302600_NS6detail15normal_iteratorINS9_10device_ptrItEEEESE_PS5_SF_jNS0_19identity_decomposerENS1_16block_id_wrapperIjLb1EEEEE10hipError_tT1_PNSt15iterator_traitsISK_E10value_typeET2_T3_PNSL_ISQ_E10value_typeET4_T5_PSV_SW_PNS1_23onesweep_lookback_stateEbbT6_jjT7_P12ihipStream_tbENKUlT_T0_SK_SP_E_clIPtSE_SF_SF_EEDaS13_S14_SK_SP_EUlS13_E_NS1_11comp_targetILNS1_3genE10ELNS1_11target_archE1201ELNS1_3gpuE5ELNS1_3repE0EEENS1_47radix_sort_onesweep_sort_config_static_selectorELNS0_4arch9wavefront6targetE1EEEvSK_.kd
    .uniform_work_group_size: 1
    .uses_dynamic_stack: false
    .vgpr_count:     0
    .vgpr_spill_count: 0
    .wavefront_size: 64
  - .agpr_count:     0
    .args:
      - .offset:         0
        .size:           88
        .value_kind:     by_value
    .group_segment_fixed_size: 0
    .kernarg_segment_align: 8
    .kernarg_segment_size: 88
    .language:       OpenCL C
    .language_version:
      - 2
      - 0
    .max_flat_workgroup_size: 256
    .name:           _ZN7rocprim17ROCPRIM_400000_NS6detail17trampoline_kernelINS0_14default_configENS1_35radix_sort_onesweep_config_selectorItNS0_10empty_typeEEEZZNS1_29radix_sort_onesweep_iterationIS3_Lb0EN6thrust23THRUST_200600_302600_NS6detail15normal_iteratorINS9_10device_ptrItEEEESE_PS5_SF_jNS0_19identity_decomposerENS1_16block_id_wrapperIjLb1EEEEE10hipError_tT1_PNSt15iterator_traitsISK_E10value_typeET2_T3_PNSL_ISQ_E10value_typeET4_T5_PSV_SW_PNS1_23onesweep_lookback_stateEbbT6_jjT7_P12ihipStream_tbENKUlT_T0_SK_SP_E_clIPtSE_SF_SF_EEDaS13_S14_SK_SP_EUlS13_E_NS1_11comp_targetILNS1_3genE9ELNS1_11target_archE1100ELNS1_3gpuE3ELNS1_3repE0EEENS1_47radix_sort_onesweep_sort_config_static_selectorELNS0_4arch9wavefront6targetE1EEEvSK_
    .private_segment_fixed_size: 0
    .sgpr_count:     6
    .sgpr_spill_count: 0
    .symbol:         _ZN7rocprim17ROCPRIM_400000_NS6detail17trampoline_kernelINS0_14default_configENS1_35radix_sort_onesweep_config_selectorItNS0_10empty_typeEEEZZNS1_29radix_sort_onesweep_iterationIS3_Lb0EN6thrust23THRUST_200600_302600_NS6detail15normal_iteratorINS9_10device_ptrItEEEESE_PS5_SF_jNS0_19identity_decomposerENS1_16block_id_wrapperIjLb1EEEEE10hipError_tT1_PNSt15iterator_traitsISK_E10value_typeET2_T3_PNSL_ISQ_E10value_typeET4_T5_PSV_SW_PNS1_23onesweep_lookback_stateEbbT6_jjT7_P12ihipStream_tbENKUlT_T0_SK_SP_E_clIPtSE_SF_SF_EEDaS13_S14_SK_SP_EUlS13_E_NS1_11comp_targetILNS1_3genE9ELNS1_11target_archE1100ELNS1_3gpuE3ELNS1_3repE0EEENS1_47radix_sort_onesweep_sort_config_static_selectorELNS0_4arch9wavefront6targetE1EEEvSK_.kd
    .uniform_work_group_size: 1
    .uses_dynamic_stack: false
    .vgpr_count:     0
    .vgpr_spill_count: 0
    .wavefront_size: 64
  - .agpr_count:     0
    .args:
      - .offset:         0
        .size:           88
        .value_kind:     by_value
    .group_segment_fixed_size: 0
    .kernarg_segment_align: 8
    .kernarg_segment_size: 88
    .language:       OpenCL C
    .language_version:
      - 2
      - 0
    .max_flat_workgroup_size: 256
    .name:           _ZN7rocprim17ROCPRIM_400000_NS6detail17trampoline_kernelINS0_14default_configENS1_35radix_sort_onesweep_config_selectorItNS0_10empty_typeEEEZZNS1_29radix_sort_onesweep_iterationIS3_Lb0EN6thrust23THRUST_200600_302600_NS6detail15normal_iteratorINS9_10device_ptrItEEEESE_PS5_SF_jNS0_19identity_decomposerENS1_16block_id_wrapperIjLb1EEEEE10hipError_tT1_PNSt15iterator_traitsISK_E10value_typeET2_T3_PNSL_ISQ_E10value_typeET4_T5_PSV_SW_PNS1_23onesweep_lookback_stateEbbT6_jjT7_P12ihipStream_tbENKUlT_T0_SK_SP_E_clIPtSE_SF_SF_EEDaS13_S14_SK_SP_EUlS13_E_NS1_11comp_targetILNS1_3genE8ELNS1_11target_archE1030ELNS1_3gpuE2ELNS1_3repE0EEENS1_47radix_sort_onesweep_sort_config_static_selectorELNS0_4arch9wavefront6targetE1EEEvSK_
    .private_segment_fixed_size: 0
    .sgpr_count:     6
    .sgpr_spill_count: 0
    .symbol:         _ZN7rocprim17ROCPRIM_400000_NS6detail17trampoline_kernelINS0_14default_configENS1_35radix_sort_onesweep_config_selectorItNS0_10empty_typeEEEZZNS1_29radix_sort_onesweep_iterationIS3_Lb0EN6thrust23THRUST_200600_302600_NS6detail15normal_iteratorINS9_10device_ptrItEEEESE_PS5_SF_jNS0_19identity_decomposerENS1_16block_id_wrapperIjLb1EEEEE10hipError_tT1_PNSt15iterator_traitsISK_E10value_typeET2_T3_PNSL_ISQ_E10value_typeET4_T5_PSV_SW_PNS1_23onesweep_lookback_stateEbbT6_jjT7_P12ihipStream_tbENKUlT_T0_SK_SP_E_clIPtSE_SF_SF_EEDaS13_S14_SK_SP_EUlS13_E_NS1_11comp_targetILNS1_3genE8ELNS1_11target_archE1030ELNS1_3gpuE2ELNS1_3repE0EEENS1_47radix_sort_onesweep_sort_config_static_selectorELNS0_4arch9wavefront6targetE1EEEvSK_.kd
    .uniform_work_group_size: 1
    .uses_dynamic_stack: false
    .vgpr_count:     0
    .vgpr_spill_count: 0
    .wavefront_size: 64
  - .agpr_count:     0
    .args:
      - .offset:         0
        .size:           88
        .value_kind:     by_value
    .group_segment_fixed_size: 0
    .kernarg_segment_align: 8
    .kernarg_segment_size: 88
    .language:       OpenCL C
    .language_version:
      - 2
      - 0
    .max_flat_workgroup_size: 512
    .name:           _ZN7rocprim17ROCPRIM_400000_NS6detail17trampoline_kernelINS0_14default_configENS1_35radix_sort_onesweep_config_selectorItNS0_10empty_typeEEEZZNS1_29radix_sort_onesweep_iterationIS3_Lb0EN6thrust23THRUST_200600_302600_NS6detail15normal_iteratorINS9_10device_ptrItEEEESE_PS5_SF_jNS0_19identity_decomposerENS1_16block_id_wrapperIjLb0EEEEE10hipError_tT1_PNSt15iterator_traitsISK_E10value_typeET2_T3_PNSL_ISQ_E10value_typeET4_T5_PSV_SW_PNS1_23onesweep_lookback_stateEbbT6_jjT7_P12ihipStream_tbENKUlT_T0_SK_SP_E_clISE_SE_SF_SF_EEDaS13_S14_SK_SP_EUlS13_E_NS1_11comp_targetILNS1_3genE0ELNS1_11target_archE4294967295ELNS1_3gpuE0ELNS1_3repE0EEENS1_47radix_sort_onesweep_sort_config_static_selectorELNS0_4arch9wavefront6targetE1EEEvSK_
    .private_segment_fixed_size: 0
    .sgpr_count:     6
    .sgpr_spill_count: 0
    .symbol:         _ZN7rocprim17ROCPRIM_400000_NS6detail17trampoline_kernelINS0_14default_configENS1_35radix_sort_onesweep_config_selectorItNS0_10empty_typeEEEZZNS1_29radix_sort_onesweep_iterationIS3_Lb0EN6thrust23THRUST_200600_302600_NS6detail15normal_iteratorINS9_10device_ptrItEEEESE_PS5_SF_jNS0_19identity_decomposerENS1_16block_id_wrapperIjLb0EEEEE10hipError_tT1_PNSt15iterator_traitsISK_E10value_typeET2_T3_PNSL_ISQ_E10value_typeET4_T5_PSV_SW_PNS1_23onesweep_lookback_stateEbbT6_jjT7_P12ihipStream_tbENKUlT_T0_SK_SP_E_clISE_SE_SF_SF_EEDaS13_S14_SK_SP_EUlS13_E_NS1_11comp_targetILNS1_3genE0ELNS1_11target_archE4294967295ELNS1_3gpuE0ELNS1_3repE0EEENS1_47radix_sort_onesweep_sort_config_static_selectorELNS0_4arch9wavefront6targetE1EEEvSK_.kd
    .uniform_work_group_size: 1
    .uses_dynamic_stack: false
    .vgpr_count:     0
    .vgpr_spill_count: 0
    .wavefront_size: 64
  - .agpr_count:     0
    .args:
      - .offset:         0
        .size:           88
        .value_kind:     by_value
    .group_segment_fixed_size: 0
    .kernarg_segment_align: 8
    .kernarg_segment_size: 88
    .language:       OpenCL C
    .language_version:
      - 2
      - 0
    .max_flat_workgroup_size: 1024
    .name:           _ZN7rocprim17ROCPRIM_400000_NS6detail17trampoline_kernelINS0_14default_configENS1_35radix_sort_onesweep_config_selectorItNS0_10empty_typeEEEZZNS1_29radix_sort_onesweep_iterationIS3_Lb0EN6thrust23THRUST_200600_302600_NS6detail15normal_iteratorINS9_10device_ptrItEEEESE_PS5_SF_jNS0_19identity_decomposerENS1_16block_id_wrapperIjLb0EEEEE10hipError_tT1_PNSt15iterator_traitsISK_E10value_typeET2_T3_PNSL_ISQ_E10value_typeET4_T5_PSV_SW_PNS1_23onesweep_lookback_stateEbbT6_jjT7_P12ihipStream_tbENKUlT_T0_SK_SP_E_clISE_SE_SF_SF_EEDaS13_S14_SK_SP_EUlS13_E_NS1_11comp_targetILNS1_3genE6ELNS1_11target_archE950ELNS1_3gpuE13ELNS1_3repE0EEENS1_47radix_sort_onesweep_sort_config_static_selectorELNS0_4arch9wavefront6targetE1EEEvSK_
    .private_segment_fixed_size: 0
    .sgpr_count:     6
    .sgpr_spill_count: 0
    .symbol:         _ZN7rocprim17ROCPRIM_400000_NS6detail17trampoline_kernelINS0_14default_configENS1_35radix_sort_onesweep_config_selectorItNS0_10empty_typeEEEZZNS1_29radix_sort_onesweep_iterationIS3_Lb0EN6thrust23THRUST_200600_302600_NS6detail15normal_iteratorINS9_10device_ptrItEEEESE_PS5_SF_jNS0_19identity_decomposerENS1_16block_id_wrapperIjLb0EEEEE10hipError_tT1_PNSt15iterator_traitsISK_E10value_typeET2_T3_PNSL_ISQ_E10value_typeET4_T5_PSV_SW_PNS1_23onesweep_lookback_stateEbbT6_jjT7_P12ihipStream_tbENKUlT_T0_SK_SP_E_clISE_SE_SF_SF_EEDaS13_S14_SK_SP_EUlS13_E_NS1_11comp_targetILNS1_3genE6ELNS1_11target_archE950ELNS1_3gpuE13ELNS1_3repE0EEENS1_47radix_sort_onesweep_sort_config_static_selectorELNS0_4arch9wavefront6targetE1EEEvSK_.kd
    .uniform_work_group_size: 1
    .uses_dynamic_stack: false
    .vgpr_count:     0
    .vgpr_spill_count: 0
    .wavefront_size: 64
  - .agpr_count:     0
    .args:
      - .offset:         0
        .size:           88
        .value_kind:     by_value
      - .offset:         88
        .size:           4
        .value_kind:     hidden_block_count_x
      - .offset:         92
        .size:           4
        .value_kind:     hidden_block_count_y
      - .offset:         96
        .size:           4
        .value_kind:     hidden_block_count_z
      - .offset:         100
        .size:           2
        .value_kind:     hidden_group_size_x
      - .offset:         102
        .size:           2
        .value_kind:     hidden_group_size_y
      - .offset:         104
        .size:           2
        .value_kind:     hidden_group_size_z
      - .offset:         106
        .size:           2
        .value_kind:     hidden_remainder_x
      - .offset:         108
        .size:           2
        .value_kind:     hidden_remainder_y
      - .offset:         110
        .size:           2
        .value_kind:     hidden_remainder_z
      - .offset:         128
        .size:           8
        .value_kind:     hidden_global_offset_x
      - .offset:         136
        .size:           8
        .value_kind:     hidden_global_offset_y
      - .offset:         144
        .size:           8
        .value_kind:     hidden_global_offset_z
      - .offset:         152
        .size:           2
        .value_kind:     hidden_grid_dims
    .group_segment_fixed_size: 25608
    .kernarg_segment_align: 8
    .kernarg_segment_size: 344
    .language:       OpenCL C
    .language_version:
      - 2
      - 0
    .max_flat_workgroup_size: 1024
    .name:           _ZN7rocprim17ROCPRIM_400000_NS6detail17trampoline_kernelINS0_14default_configENS1_35radix_sort_onesweep_config_selectorItNS0_10empty_typeEEEZZNS1_29radix_sort_onesweep_iterationIS3_Lb0EN6thrust23THRUST_200600_302600_NS6detail15normal_iteratorINS9_10device_ptrItEEEESE_PS5_SF_jNS0_19identity_decomposerENS1_16block_id_wrapperIjLb0EEEEE10hipError_tT1_PNSt15iterator_traitsISK_E10value_typeET2_T3_PNSL_ISQ_E10value_typeET4_T5_PSV_SW_PNS1_23onesweep_lookback_stateEbbT6_jjT7_P12ihipStream_tbENKUlT_T0_SK_SP_E_clISE_SE_SF_SF_EEDaS13_S14_SK_SP_EUlS13_E_NS1_11comp_targetILNS1_3genE5ELNS1_11target_archE942ELNS1_3gpuE9ELNS1_3repE0EEENS1_47radix_sort_onesweep_sort_config_static_selectorELNS0_4arch9wavefront6targetE1EEEvSK_
    .private_segment_fixed_size: 0
    .sgpr_count:     38
    .sgpr_spill_count: 0
    .symbol:         _ZN7rocprim17ROCPRIM_400000_NS6detail17trampoline_kernelINS0_14default_configENS1_35radix_sort_onesweep_config_selectorItNS0_10empty_typeEEEZZNS1_29radix_sort_onesweep_iterationIS3_Lb0EN6thrust23THRUST_200600_302600_NS6detail15normal_iteratorINS9_10device_ptrItEEEESE_PS5_SF_jNS0_19identity_decomposerENS1_16block_id_wrapperIjLb0EEEEE10hipError_tT1_PNSt15iterator_traitsISK_E10value_typeET2_T3_PNSL_ISQ_E10value_typeET4_T5_PSV_SW_PNS1_23onesweep_lookback_stateEbbT6_jjT7_P12ihipStream_tbENKUlT_T0_SK_SP_E_clISE_SE_SF_SF_EEDaS13_S14_SK_SP_EUlS13_E_NS1_11comp_targetILNS1_3genE5ELNS1_11target_archE942ELNS1_3gpuE9ELNS1_3repE0EEENS1_47radix_sort_onesweep_sort_config_static_selectorELNS0_4arch9wavefront6targetE1EEEvSK_.kd
    .uniform_work_group_size: 1
    .uses_dynamic_stack: false
    .vgpr_count:     62
    .vgpr_spill_count: 0
    .wavefront_size: 64
  - .agpr_count:     0
    .args:
      - .offset:         0
        .size:           88
        .value_kind:     by_value
    .group_segment_fixed_size: 0
    .kernarg_segment_align: 8
    .kernarg_segment_size: 88
    .language:       OpenCL C
    .language_version:
      - 2
      - 0
    .max_flat_workgroup_size: 512
    .name:           _ZN7rocprim17ROCPRIM_400000_NS6detail17trampoline_kernelINS0_14default_configENS1_35radix_sort_onesweep_config_selectorItNS0_10empty_typeEEEZZNS1_29radix_sort_onesweep_iterationIS3_Lb0EN6thrust23THRUST_200600_302600_NS6detail15normal_iteratorINS9_10device_ptrItEEEESE_PS5_SF_jNS0_19identity_decomposerENS1_16block_id_wrapperIjLb0EEEEE10hipError_tT1_PNSt15iterator_traitsISK_E10value_typeET2_T3_PNSL_ISQ_E10value_typeET4_T5_PSV_SW_PNS1_23onesweep_lookback_stateEbbT6_jjT7_P12ihipStream_tbENKUlT_T0_SK_SP_E_clISE_SE_SF_SF_EEDaS13_S14_SK_SP_EUlS13_E_NS1_11comp_targetILNS1_3genE2ELNS1_11target_archE906ELNS1_3gpuE6ELNS1_3repE0EEENS1_47radix_sort_onesweep_sort_config_static_selectorELNS0_4arch9wavefront6targetE1EEEvSK_
    .private_segment_fixed_size: 0
    .sgpr_count:     6
    .sgpr_spill_count: 0
    .symbol:         _ZN7rocprim17ROCPRIM_400000_NS6detail17trampoline_kernelINS0_14default_configENS1_35radix_sort_onesweep_config_selectorItNS0_10empty_typeEEEZZNS1_29radix_sort_onesweep_iterationIS3_Lb0EN6thrust23THRUST_200600_302600_NS6detail15normal_iteratorINS9_10device_ptrItEEEESE_PS5_SF_jNS0_19identity_decomposerENS1_16block_id_wrapperIjLb0EEEEE10hipError_tT1_PNSt15iterator_traitsISK_E10value_typeET2_T3_PNSL_ISQ_E10value_typeET4_T5_PSV_SW_PNS1_23onesweep_lookback_stateEbbT6_jjT7_P12ihipStream_tbENKUlT_T0_SK_SP_E_clISE_SE_SF_SF_EEDaS13_S14_SK_SP_EUlS13_E_NS1_11comp_targetILNS1_3genE2ELNS1_11target_archE906ELNS1_3gpuE6ELNS1_3repE0EEENS1_47radix_sort_onesweep_sort_config_static_selectorELNS0_4arch9wavefront6targetE1EEEvSK_.kd
    .uniform_work_group_size: 1
    .uses_dynamic_stack: false
    .vgpr_count:     0
    .vgpr_spill_count: 0
    .wavefront_size: 64
  - .agpr_count:     0
    .args:
      - .offset:         0
        .size:           88
        .value_kind:     by_value
    .group_segment_fixed_size: 0
    .kernarg_segment_align: 8
    .kernarg_segment_size: 88
    .language:       OpenCL C
    .language_version:
      - 2
      - 0
    .max_flat_workgroup_size: 1024
    .name:           _ZN7rocprim17ROCPRIM_400000_NS6detail17trampoline_kernelINS0_14default_configENS1_35radix_sort_onesweep_config_selectorItNS0_10empty_typeEEEZZNS1_29radix_sort_onesweep_iterationIS3_Lb0EN6thrust23THRUST_200600_302600_NS6detail15normal_iteratorINS9_10device_ptrItEEEESE_PS5_SF_jNS0_19identity_decomposerENS1_16block_id_wrapperIjLb0EEEEE10hipError_tT1_PNSt15iterator_traitsISK_E10value_typeET2_T3_PNSL_ISQ_E10value_typeET4_T5_PSV_SW_PNS1_23onesweep_lookback_stateEbbT6_jjT7_P12ihipStream_tbENKUlT_T0_SK_SP_E_clISE_SE_SF_SF_EEDaS13_S14_SK_SP_EUlS13_E_NS1_11comp_targetILNS1_3genE4ELNS1_11target_archE910ELNS1_3gpuE8ELNS1_3repE0EEENS1_47radix_sort_onesweep_sort_config_static_selectorELNS0_4arch9wavefront6targetE1EEEvSK_
    .private_segment_fixed_size: 0
    .sgpr_count:     6
    .sgpr_spill_count: 0
    .symbol:         _ZN7rocprim17ROCPRIM_400000_NS6detail17trampoline_kernelINS0_14default_configENS1_35radix_sort_onesweep_config_selectorItNS0_10empty_typeEEEZZNS1_29radix_sort_onesweep_iterationIS3_Lb0EN6thrust23THRUST_200600_302600_NS6detail15normal_iteratorINS9_10device_ptrItEEEESE_PS5_SF_jNS0_19identity_decomposerENS1_16block_id_wrapperIjLb0EEEEE10hipError_tT1_PNSt15iterator_traitsISK_E10value_typeET2_T3_PNSL_ISQ_E10value_typeET4_T5_PSV_SW_PNS1_23onesweep_lookback_stateEbbT6_jjT7_P12ihipStream_tbENKUlT_T0_SK_SP_E_clISE_SE_SF_SF_EEDaS13_S14_SK_SP_EUlS13_E_NS1_11comp_targetILNS1_3genE4ELNS1_11target_archE910ELNS1_3gpuE8ELNS1_3repE0EEENS1_47radix_sort_onesweep_sort_config_static_selectorELNS0_4arch9wavefront6targetE1EEEvSK_.kd
    .uniform_work_group_size: 1
    .uses_dynamic_stack: false
    .vgpr_count:     0
    .vgpr_spill_count: 0
    .wavefront_size: 64
  - .agpr_count:     0
    .args:
      - .offset:         0
        .size:           88
        .value_kind:     by_value
    .group_segment_fixed_size: 0
    .kernarg_segment_align: 8
    .kernarg_segment_size: 88
    .language:       OpenCL C
    .language_version:
      - 2
      - 0
    .max_flat_workgroup_size: 512
    .name:           _ZN7rocprim17ROCPRIM_400000_NS6detail17trampoline_kernelINS0_14default_configENS1_35radix_sort_onesweep_config_selectorItNS0_10empty_typeEEEZZNS1_29radix_sort_onesweep_iterationIS3_Lb0EN6thrust23THRUST_200600_302600_NS6detail15normal_iteratorINS9_10device_ptrItEEEESE_PS5_SF_jNS0_19identity_decomposerENS1_16block_id_wrapperIjLb0EEEEE10hipError_tT1_PNSt15iterator_traitsISK_E10value_typeET2_T3_PNSL_ISQ_E10value_typeET4_T5_PSV_SW_PNS1_23onesweep_lookback_stateEbbT6_jjT7_P12ihipStream_tbENKUlT_T0_SK_SP_E_clISE_SE_SF_SF_EEDaS13_S14_SK_SP_EUlS13_E_NS1_11comp_targetILNS1_3genE3ELNS1_11target_archE908ELNS1_3gpuE7ELNS1_3repE0EEENS1_47radix_sort_onesweep_sort_config_static_selectorELNS0_4arch9wavefront6targetE1EEEvSK_
    .private_segment_fixed_size: 0
    .sgpr_count:     6
    .sgpr_spill_count: 0
    .symbol:         _ZN7rocprim17ROCPRIM_400000_NS6detail17trampoline_kernelINS0_14default_configENS1_35radix_sort_onesweep_config_selectorItNS0_10empty_typeEEEZZNS1_29radix_sort_onesweep_iterationIS3_Lb0EN6thrust23THRUST_200600_302600_NS6detail15normal_iteratorINS9_10device_ptrItEEEESE_PS5_SF_jNS0_19identity_decomposerENS1_16block_id_wrapperIjLb0EEEEE10hipError_tT1_PNSt15iterator_traitsISK_E10value_typeET2_T3_PNSL_ISQ_E10value_typeET4_T5_PSV_SW_PNS1_23onesweep_lookback_stateEbbT6_jjT7_P12ihipStream_tbENKUlT_T0_SK_SP_E_clISE_SE_SF_SF_EEDaS13_S14_SK_SP_EUlS13_E_NS1_11comp_targetILNS1_3genE3ELNS1_11target_archE908ELNS1_3gpuE7ELNS1_3repE0EEENS1_47radix_sort_onesweep_sort_config_static_selectorELNS0_4arch9wavefront6targetE1EEEvSK_.kd
    .uniform_work_group_size: 1
    .uses_dynamic_stack: false
    .vgpr_count:     0
    .vgpr_spill_count: 0
    .wavefront_size: 64
  - .agpr_count:     0
    .args:
      - .offset:         0
        .size:           88
        .value_kind:     by_value
    .group_segment_fixed_size: 0
    .kernarg_segment_align: 8
    .kernarg_segment_size: 88
    .language:       OpenCL C
    .language_version:
      - 2
      - 0
    .max_flat_workgroup_size: 256
    .name:           _ZN7rocprim17ROCPRIM_400000_NS6detail17trampoline_kernelINS0_14default_configENS1_35radix_sort_onesweep_config_selectorItNS0_10empty_typeEEEZZNS1_29radix_sort_onesweep_iterationIS3_Lb0EN6thrust23THRUST_200600_302600_NS6detail15normal_iteratorINS9_10device_ptrItEEEESE_PS5_SF_jNS0_19identity_decomposerENS1_16block_id_wrapperIjLb0EEEEE10hipError_tT1_PNSt15iterator_traitsISK_E10value_typeET2_T3_PNSL_ISQ_E10value_typeET4_T5_PSV_SW_PNS1_23onesweep_lookback_stateEbbT6_jjT7_P12ihipStream_tbENKUlT_T0_SK_SP_E_clISE_SE_SF_SF_EEDaS13_S14_SK_SP_EUlS13_E_NS1_11comp_targetILNS1_3genE10ELNS1_11target_archE1201ELNS1_3gpuE5ELNS1_3repE0EEENS1_47radix_sort_onesweep_sort_config_static_selectorELNS0_4arch9wavefront6targetE1EEEvSK_
    .private_segment_fixed_size: 0
    .sgpr_count:     6
    .sgpr_spill_count: 0
    .symbol:         _ZN7rocprim17ROCPRIM_400000_NS6detail17trampoline_kernelINS0_14default_configENS1_35radix_sort_onesweep_config_selectorItNS0_10empty_typeEEEZZNS1_29radix_sort_onesweep_iterationIS3_Lb0EN6thrust23THRUST_200600_302600_NS6detail15normal_iteratorINS9_10device_ptrItEEEESE_PS5_SF_jNS0_19identity_decomposerENS1_16block_id_wrapperIjLb0EEEEE10hipError_tT1_PNSt15iterator_traitsISK_E10value_typeET2_T3_PNSL_ISQ_E10value_typeET4_T5_PSV_SW_PNS1_23onesweep_lookback_stateEbbT6_jjT7_P12ihipStream_tbENKUlT_T0_SK_SP_E_clISE_SE_SF_SF_EEDaS13_S14_SK_SP_EUlS13_E_NS1_11comp_targetILNS1_3genE10ELNS1_11target_archE1201ELNS1_3gpuE5ELNS1_3repE0EEENS1_47radix_sort_onesweep_sort_config_static_selectorELNS0_4arch9wavefront6targetE1EEEvSK_.kd
    .uniform_work_group_size: 1
    .uses_dynamic_stack: false
    .vgpr_count:     0
    .vgpr_spill_count: 0
    .wavefront_size: 64
  - .agpr_count:     0
    .args:
      - .offset:         0
        .size:           88
        .value_kind:     by_value
    .group_segment_fixed_size: 0
    .kernarg_segment_align: 8
    .kernarg_segment_size: 88
    .language:       OpenCL C
    .language_version:
      - 2
      - 0
    .max_flat_workgroup_size: 256
    .name:           _ZN7rocprim17ROCPRIM_400000_NS6detail17trampoline_kernelINS0_14default_configENS1_35radix_sort_onesweep_config_selectorItNS0_10empty_typeEEEZZNS1_29radix_sort_onesweep_iterationIS3_Lb0EN6thrust23THRUST_200600_302600_NS6detail15normal_iteratorINS9_10device_ptrItEEEESE_PS5_SF_jNS0_19identity_decomposerENS1_16block_id_wrapperIjLb0EEEEE10hipError_tT1_PNSt15iterator_traitsISK_E10value_typeET2_T3_PNSL_ISQ_E10value_typeET4_T5_PSV_SW_PNS1_23onesweep_lookback_stateEbbT6_jjT7_P12ihipStream_tbENKUlT_T0_SK_SP_E_clISE_SE_SF_SF_EEDaS13_S14_SK_SP_EUlS13_E_NS1_11comp_targetILNS1_3genE9ELNS1_11target_archE1100ELNS1_3gpuE3ELNS1_3repE0EEENS1_47radix_sort_onesweep_sort_config_static_selectorELNS0_4arch9wavefront6targetE1EEEvSK_
    .private_segment_fixed_size: 0
    .sgpr_count:     6
    .sgpr_spill_count: 0
    .symbol:         _ZN7rocprim17ROCPRIM_400000_NS6detail17trampoline_kernelINS0_14default_configENS1_35radix_sort_onesweep_config_selectorItNS0_10empty_typeEEEZZNS1_29radix_sort_onesweep_iterationIS3_Lb0EN6thrust23THRUST_200600_302600_NS6detail15normal_iteratorINS9_10device_ptrItEEEESE_PS5_SF_jNS0_19identity_decomposerENS1_16block_id_wrapperIjLb0EEEEE10hipError_tT1_PNSt15iterator_traitsISK_E10value_typeET2_T3_PNSL_ISQ_E10value_typeET4_T5_PSV_SW_PNS1_23onesweep_lookback_stateEbbT6_jjT7_P12ihipStream_tbENKUlT_T0_SK_SP_E_clISE_SE_SF_SF_EEDaS13_S14_SK_SP_EUlS13_E_NS1_11comp_targetILNS1_3genE9ELNS1_11target_archE1100ELNS1_3gpuE3ELNS1_3repE0EEENS1_47radix_sort_onesweep_sort_config_static_selectorELNS0_4arch9wavefront6targetE1EEEvSK_.kd
    .uniform_work_group_size: 1
    .uses_dynamic_stack: false
    .vgpr_count:     0
    .vgpr_spill_count: 0
    .wavefront_size: 64
  - .agpr_count:     0
    .args:
      - .offset:         0
        .size:           88
        .value_kind:     by_value
    .group_segment_fixed_size: 0
    .kernarg_segment_align: 8
    .kernarg_segment_size: 88
    .language:       OpenCL C
    .language_version:
      - 2
      - 0
    .max_flat_workgroup_size: 256
    .name:           _ZN7rocprim17ROCPRIM_400000_NS6detail17trampoline_kernelINS0_14default_configENS1_35radix_sort_onesweep_config_selectorItNS0_10empty_typeEEEZZNS1_29radix_sort_onesweep_iterationIS3_Lb0EN6thrust23THRUST_200600_302600_NS6detail15normal_iteratorINS9_10device_ptrItEEEESE_PS5_SF_jNS0_19identity_decomposerENS1_16block_id_wrapperIjLb0EEEEE10hipError_tT1_PNSt15iterator_traitsISK_E10value_typeET2_T3_PNSL_ISQ_E10value_typeET4_T5_PSV_SW_PNS1_23onesweep_lookback_stateEbbT6_jjT7_P12ihipStream_tbENKUlT_T0_SK_SP_E_clISE_SE_SF_SF_EEDaS13_S14_SK_SP_EUlS13_E_NS1_11comp_targetILNS1_3genE8ELNS1_11target_archE1030ELNS1_3gpuE2ELNS1_3repE0EEENS1_47radix_sort_onesweep_sort_config_static_selectorELNS0_4arch9wavefront6targetE1EEEvSK_
    .private_segment_fixed_size: 0
    .sgpr_count:     6
    .sgpr_spill_count: 0
    .symbol:         _ZN7rocprim17ROCPRIM_400000_NS6detail17trampoline_kernelINS0_14default_configENS1_35radix_sort_onesweep_config_selectorItNS0_10empty_typeEEEZZNS1_29radix_sort_onesweep_iterationIS3_Lb0EN6thrust23THRUST_200600_302600_NS6detail15normal_iteratorINS9_10device_ptrItEEEESE_PS5_SF_jNS0_19identity_decomposerENS1_16block_id_wrapperIjLb0EEEEE10hipError_tT1_PNSt15iterator_traitsISK_E10value_typeET2_T3_PNSL_ISQ_E10value_typeET4_T5_PSV_SW_PNS1_23onesweep_lookback_stateEbbT6_jjT7_P12ihipStream_tbENKUlT_T0_SK_SP_E_clISE_SE_SF_SF_EEDaS13_S14_SK_SP_EUlS13_E_NS1_11comp_targetILNS1_3genE8ELNS1_11target_archE1030ELNS1_3gpuE2ELNS1_3repE0EEENS1_47radix_sort_onesweep_sort_config_static_selectorELNS0_4arch9wavefront6targetE1EEEvSK_.kd
    .uniform_work_group_size: 1
    .uses_dynamic_stack: false
    .vgpr_count:     0
    .vgpr_spill_count: 0
    .wavefront_size: 64
  - .agpr_count:     0
    .args:
      - .offset:         0
        .size:           88
        .value_kind:     by_value
    .group_segment_fixed_size: 0
    .kernarg_segment_align: 8
    .kernarg_segment_size: 88
    .language:       OpenCL C
    .language_version:
      - 2
      - 0
    .max_flat_workgroup_size: 512
    .name:           _ZN7rocprim17ROCPRIM_400000_NS6detail17trampoline_kernelINS0_14default_configENS1_35radix_sort_onesweep_config_selectorItNS0_10empty_typeEEEZZNS1_29radix_sort_onesweep_iterationIS3_Lb0EN6thrust23THRUST_200600_302600_NS6detail15normal_iteratorINS9_10device_ptrItEEEESE_PS5_SF_jNS0_19identity_decomposerENS1_16block_id_wrapperIjLb0EEEEE10hipError_tT1_PNSt15iterator_traitsISK_E10value_typeET2_T3_PNSL_ISQ_E10value_typeET4_T5_PSV_SW_PNS1_23onesweep_lookback_stateEbbT6_jjT7_P12ihipStream_tbENKUlT_T0_SK_SP_E_clISE_PtSF_SF_EEDaS13_S14_SK_SP_EUlS13_E_NS1_11comp_targetILNS1_3genE0ELNS1_11target_archE4294967295ELNS1_3gpuE0ELNS1_3repE0EEENS1_47radix_sort_onesweep_sort_config_static_selectorELNS0_4arch9wavefront6targetE1EEEvSK_
    .private_segment_fixed_size: 0
    .sgpr_count:     6
    .sgpr_spill_count: 0
    .symbol:         _ZN7rocprim17ROCPRIM_400000_NS6detail17trampoline_kernelINS0_14default_configENS1_35radix_sort_onesweep_config_selectorItNS0_10empty_typeEEEZZNS1_29radix_sort_onesweep_iterationIS3_Lb0EN6thrust23THRUST_200600_302600_NS6detail15normal_iteratorINS9_10device_ptrItEEEESE_PS5_SF_jNS0_19identity_decomposerENS1_16block_id_wrapperIjLb0EEEEE10hipError_tT1_PNSt15iterator_traitsISK_E10value_typeET2_T3_PNSL_ISQ_E10value_typeET4_T5_PSV_SW_PNS1_23onesweep_lookback_stateEbbT6_jjT7_P12ihipStream_tbENKUlT_T0_SK_SP_E_clISE_PtSF_SF_EEDaS13_S14_SK_SP_EUlS13_E_NS1_11comp_targetILNS1_3genE0ELNS1_11target_archE4294967295ELNS1_3gpuE0ELNS1_3repE0EEENS1_47radix_sort_onesweep_sort_config_static_selectorELNS0_4arch9wavefront6targetE1EEEvSK_.kd
    .uniform_work_group_size: 1
    .uses_dynamic_stack: false
    .vgpr_count:     0
    .vgpr_spill_count: 0
    .wavefront_size: 64
  - .agpr_count:     0
    .args:
      - .offset:         0
        .size:           88
        .value_kind:     by_value
    .group_segment_fixed_size: 0
    .kernarg_segment_align: 8
    .kernarg_segment_size: 88
    .language:       OpenCL C
    .language_version:
      - 2
      - 0
    .max_flat_workgroup_size: 1024
    .name:           _ZN7rocprim17ROCPRIM_400000_NS6detail17trampoline_kernelINS0_14default_configENS1_35radix_sort_onesweep_config_selectorItNS0_10empty_typeEEEZZNS1_29radix_sort_onesweep_iterationIS3_Lb0EN6thrust23THRUST_200600_302600_NS6detail15normal_iteratorINS9_10device_ptrItEEEESE_PS5_SF_jNS0_19identity_decomposerENS1_16block_id_wrapperIjLb0EEEEE10hipError_tT1_PNSt15iterator_traitsISK_E10value_typeET2_T3_PNSL_ISQ_E10value_typeET4_T5_PSV_SW_PNS1_23onesweep_lookback_stateEbbT6_jjT7_P12ihipStream_tbENKUlT_T0_SK_SP_E_clISE_PtSF_SF_EEDaS13_S14_SK_SP_EUlS13_E_NS1_11comp_targetILNS1_3genE6ELNS1_11target_archE950ELNS1_3gpuE13ELNS1_3repE0EEENS1_47radix_sort_onesweep_sort_config_static_selectorELNS0_4arch9wavefront6targetE1EEEvSK_
    .private_segment_fixed_size: 0
    .sgpr_count:     6
    .sgpr_spill_count: 0
    .symbol:         _ZN7rocprim17ROCPRIM_400000_NS6detail17trampoline_kernelINS0_14default_configENS1_35radix_sort_onesweep_config_selectorItNS0_10empty_typeEEEZZNS1_29radix_sort_onesweep_iterationIS3_Lb0EN6thrust23THRUST_200600_302600_NS6detail15normal_iteratorINS9_10device_ptrItEEEESE_PS5_SF_jNS0_19identity_decomposerENS1_16block_id_wrapperIjLb0EEEEE10hipError_tT1_PNSt15iterator_traitsISK_E10value_typeET2_T3_PNSL_ISQ_E10value_typeET4_T5_PSV_SW_PNS1_23onesweep_lookback_stateEbbT6_jjT7_P12ihipStream_tbENKUlT_T0_SK_SP_E_clISE_PtSF_SF_EEDaS13_S14_SK_SP_EUlS13_E_NS1_11comp_targetILNS1_3genE6ELNS1_11target_archE950ELNS1_3gpuE13ELNS1_3repE0EEENS1_47radix_sort_onesweep_sort_config_static_selectorELNS0_4arch9wavefront6targetE1EEEvSK_.kd
    .uniform_work_group_size: 1
    .uses_dynamic_stack: false
    .vgpr_count:     0
    .vgpr_spill_count: 0
    .wavefront_size: 64
  - .agpr_count:     0
    .args:
      - .offset:         0
        .size:           88
        .value_kind:     by_value
      - .offset:         88
        .size:           4
        .value_kind:     hidden_block_count_x
      - .offset:         92
        .size:           4
        .value_kind:     hidden_block_count_y
      - .offset:         96
        .size:           4
        .value_kind:     hidden_block_count_z
      - .offset:         100
        .size:           2
        .value_kind:     hidden_group_size_x
      - .offset:         102
        .size:           2
        .value_kind:     hidden_group_size_y
      - .offset:         104
        .size:           2
        .value_kind:     hidden_group_size_z
      - .offset:         106
        .size:           2
        .value_kind:     hidden_remainder_x
      - .offset:         108
        .size:           2
        .value_kind:     hidden_remainder_y
      - .offset:         110
        .size:           2
        .value_kind:     hidden_remainder_z
      - .offset:         128
        .size:           8
        .value_kind:     hidden_global_offset_x
      - .offset:         136
        .size:           8
        .value_kind:     hidden_global_offset_y
      - .offset:         144
        .size:           8
        .value_kind:     hidden_global_offset_z
      - .offset:         152
        .size:           2
        .value_kind:     hidden_grid_dims
    .group_segment_fixed_size: 25608
    .kernarg_segment_align: 8
    .kernarg_segment_size: 344
    .language:       OpenCL C
    .language_version:
      - 2
      - 0
    .max_flat_workgroup_size: 1024
    .name:           _ZN7rocprim17ROCPRIM_400000_NS6detail17trampoline_kernelINS0_14default_configENS1_35radix_sort_onesweep_config_selectorItNS0_10empty_typeEEEZZNS1_29radix_sort_onesweep_iterationIS3_Lb0EN6thrust23THRUST_200600_302600_NS6detail15normal_iteratorINS9_10device_ptrItEEEESE_PS5_SF_jNS0_19identity_decomposerENS1_16block_id_wrapperIjLb0EEEEE10hipError_tT1_PNSt15iterator_traitsISK_E10value_typeET2_T3_PNSL_ISQ_E10value_typeET4_T5_PSV_SW_PNS1_23onesweep_lookback_stateEbbT6_jjT7_P12ihipStream_tbENKUlT_T0_SK_SP_E_clISE_PtSF_SF_EEDaS13_S14_SK_SP_EUlS13_E_NS1_11comp_targetILNS1_3genE5ELNS1_11target_archE942ELNS1_3gpuE9ELNS1_3repE0EEENS1_47radix_sort_onesweep_sort_config_static_selectorELNS0_4arch9wavefront6targetE1EEEvSK_
    .private_segment_fixed_size: 0
    .sgpr_count:     38
    .sgpr_spill_count: 0
    .symbol:         _ZN7rocprim17ROCPRIM_400000_NS6detail17trampoline_kernelINS0_14default_configENS1_35radix_sort_onesweep_config_selectorItNS0_10empty_typeEEEZZNS1_29radix_sort_onesweep_iterationIS3_Lb0EN6thrust23THRUST_200600_302600_NS6detail15normal_iteratorINS9_10device_ptrItEEEESE_PS5_SF_jNS0_19identity_decomposerENS1_16block_id_wrapperIjLb0EEEEE10hipError_tT1_PNSt15iterator_traitsISK_E10value_typeET2_T3_PNSL_ISQ_E10value_typeET4_T5_PSV_SW_PNS1_23onesweep_lookback_stateEbbT6_jjT7_P12ihipStream_tbENKUlT_T0_SK_SP_E_clISE_PtSF_SF_EEDaS13_S14_SK_SP_EUlS13_E_NS1_11comp_targetILNS1_3genE5ELNS1_11target_archE942ELNS1_3gpuE9ELNS1_3repE0EEENS1_47radix_sort_onesweep_sort_config_static_selectorELNS0_4arch9wavefront6targetE1EEEvSK_.kd
    .uniform_work_group_size: 1
    .uses_dynamic_stack: false
    .vgpr_count:     62
    .vgpr_spill_count: 0
    .wavefront_size: 64
  - .agpr_count:     0
    .args:
      - .offset:         0
        .size:           88
        .value_kind:     by_value
    .group_segment_fixed_size: 0
    .kernarg_segment_align: 8
    .kernarg_segment_size: 88
    .language:       OpenCL C
    .language_version:
      - 2
      - 0
    .max_flat_workgroup_size: 512
    .name:           _ZN7rocprim17ROCPRIM_400000_NS6detail17trampoline_kernelINS0_14default_configENS1_35radix_sort_onesweep_config_selectorItNS0_10empty_typeEEEZZNS1_29radix_sort_onesweep_iterationIS3_Lb0EN6thrust23THRUST_200600_302600_NS6detail15normal_iteratorINS9_10device_ptrItEEEESE_PS5_SF_jNS0_19identity_decomposerENS1_16block_id_wrapperIjLb0EEEEE10hipError_tT1_PNSt15iterator_traitsISK_E10value_typeET2_T3_PNSL_ISQ_E10value_typeET4_T5_PSV_SW_PNS1_23onesweep_lookback_stateEbbT6_jjT7_P12ihipStream_tbENKUlT_T0_SK_SP_E_clISE_PtSF_SF_EEDaS13_S14_SK_SP_EUlS13_E_NS1_11comp_targetILNS1_3genE2ELNS1_11target_archE906ELNS1_3gpuE6ELNS1_3repE0EEENS1_47radix_sort_onesweep_sort_config_static_selectorELNS0_4arch9wavefront6targetE1EEEvSK_
    .private_segment_fixed_size: 0
    .sgpr_count:     6
    .sgpr_spill_count: 0
    .symbol:         _ZN7rocprim17ROCPRIM_400000_NS6detail17trampoline_kernelINS0_14default_configENS1_35radix_sort_onesweep_config_selectorItNS0_10empty_typeEEEZZNS1_29radix_sort_onesweep_iterationIS3_Lb0EN6thrust23THRUST_200600_302600_NS6detail15normal_iteratorINS9_10device_ptrItEEEESE_PS5_SF_jNS0_19identity_decomposerENS1_16block_id_wrapperIjLb0EEEEE10hipError_tT1_PNSt15iterator_traitsISK_E10value_typeET2_T3_PNSL_ISQ_E10value_typeET4_T5_PSV_SW_PNS1_23onesweep_lookback_stateEbbT6_jjT7_P12ihipStream_tbENKUlT_T0_SK_SP_E_clISE_PtSF_SF_EEDaS13_S14_SK_SP_EUlS13_E_NS1_11comp_targetILNS1_3genE2ELNS1_11target_archE906ELNS1_3gpuE6ELNS1_3repE0EEENS1_47radix_sort_onesweep_sort_config_static_selectorELNS0_4arch9wavefront6targetE1EEEvSK_.kd
    .uniform_work_group_size: 1
    .uses_dynamic_stack: false
    .vgpr_count:     0
    .vgpr_spill_count: 0
    .wavefront_size: 64
  - .agpr_count:     0
    .args:
      - .offset:         0
        .size:           88
        .value_kind:     by_value
    .group_segment_fixed_size: 0
    .kernarg_segment_align: 8
    .kernarg_segment_size: 88
    .language:       OpenCL C
    .language_version:
      - 2
      - 0
    .max_flat_workgroup_size: 1024
    .name:           _ZN7rocprim17ROCPRIM_400000_NS6detail17trampoline_kernelINS0_14default_configENS1_35radix_sort_onesweep_config_selectorItNS0_10empty_typeEEEZZNS1_29radix_sort_onesweep_iterationIS3_Lb0EN6thrust23THRUST_200600_302600_NS6detail15normal_iteratorINS9_10device_ptrItEEEESE_PS5_SF_jNS0_19identity_decomposerENS1_16block_id_wrapperIjLb0EEEEE10hipError_tT1_PNSt15iterator_traitsISK_E10value_typeET2_T3_PNSL_ISQ_E10value_typeET4_T5_PSV_SW_PNS1_23onesweep_lookback_stateEbbT6_jjT7_P12ihipStream_tbENKUlT_T0_SK_SP_E_clISE_PtSF_SF_EEDaS13_S14_SK_SP_EUlS13_E_NS1_11comp_targetILNS1_3genE4ELNS1_11target_archE910ELNS1_3gpuE8ELNS1_3repE0EEENS1_47radix_sort_onesweep_sort_config_static_selectorELNS0_4arch9wavefront6targetE1EEEvSK_
    .private_segment_fixed_size: 0
    .sgpr_count:     6
    .sgpr_spill_count: 0
    .symbol:         _ZN7rocprim17ROCPRIM_400000_NS6detail17trampoline_kernelINS0_14default_configENS1_35radix_sort_onesweep_config_selectorItNS0_10empty_typeEEEZZNS1_29radix_sort_onesweep_iterationIS3_Lb0EN6thrust23THRUST_200600_302600_NS6detail15normal_iteratorINS9_10device_ptrItEEEESE_PS5_SF_jNS0_19identity_decomposerENS1_16block_id_wrapperIjLb0EEEEE10hipError_tT1_PNSt15iterator_traitsISK_E10value_typeET2_T3_PNSL_ISQ_E10value_typeET4_T5_PSV_SW_PNS1_23onesweep_lookback_stateEbbT6_jjT7_P12ihipStream_tbENKUlT_T0_SK_SP_E_clISE_PtSF_SF_EEDaS13_S14_SK_SP_EUlS13_E_NS1_11comp_targetILNS1_3genE4ELNS1_11target_archE910ELNS1_3gpuE8ELNS1_3repE0EEENS1_47radix_sort_onesweep_sort_config_static_selectorELNS0_4arch9wavefront6targetE1EEEvSK_.kd
    .uniform_work_group_size: 1
    .uses_dynamic_stack: false
    .vgpr_count:     0
    .vgpr_spill_count: 0
    .wavefront_size: 64
  - .agpr_count:     0
    .args:
      - .offset:         0
        .size:           88
        .value_kind:     by_value
    .group_segment_fixed_size: 0
    .kernarg_segment_align: 8
    .kernarg_segment_size: 88
    .language:       OpenCL C
    .language_version:
      - 2
      - 0
    .max_flat_workgroup_size: 512
    .name:           _ZN7rocprim17ROCPRIM_400000_NS6detail17trampoline_kernelINS0_14default_configENS1_35radix_sort_onesweep_config_selectorItNS0_10empty_typeEEEZZNS1_29radix_sort_onesweep_iterationIS3_Lb0EN6thrust23THRUST_200600_302600_NS6detail15normal_iteratorINS9_10device_ptrItEEEESE_PS5_SF_jNS0_19identity_decomposerENS1_16block_id_wrapperIjLb0EEEEE10hipError_tT1_PNSt15iterator_traitsISK_E10value_typeET2_T3_PNSL_ISQ_E10value_typeET4_T5_PSV_SW_PNS1_23onesweep_lookback_stateEbbT6_jjT7_P12ihipStream_tbENKUlT_T0_SK_SP_E_clISE_PtSF_SF_EEDaS13_S14_SK_SP_EUlS13_E_NS1_11comp_targetILNS1_3genE3ELNS1_11target_archE908ELNS1_3gpuE7ELNS1_3repE0EEENS1_47radix_sort_onesweep_sort_config_static_selectorELNS0_4arch9wavefront6targetE1EEEvSK_
    .private_segment_fixed_size: 0
    .sgpr_count:     6
    .sgpr_spill_count: 0
    .symbol:         _ZN7rocprim17ROCPRIM_400000_NS6detail17trampoline_kernelINS0_14default_configENS1_35radix_sort_onesweep_config_selectorItNS0_10empty_typeEEEZZNS1_29radix_sort_onesweep_iterationIS3_Lb0EN6thrust23THRUST_200600_302600_NS6detail15normal_iteratorINS9_10device_ptrItEEEESE_PS5_SF_jNS0_19identity_decomposerENS1_16block_id_wrapperIjLb0EEEEE10hipError_tT1_PNSt15iterator_traitsISK_E10value_typeET2_T3_PNSL_ISQ_E10value_typeET4_T5_PSV_SW_PNS1_23onesweep_lookback_stateEbbT6_jjT7_P12ihipStream_tbENKUlT_T0_SK_SP_E_clISE_PtSF_SF_EEDaS13_S14_SK_SP_EUlS13_E_NS1_11comp_targetILNS1_3genE3ELNS1_11target_archE908ELNS1_3gpuE7ELNS1_3repE0EEENS1_47radix_sort_onesweep_sort_config_static_selectorELNS0_4arch9wavefront6targetE1EEEvSK_.kd
    .uniform_work_group_size: 1
    .uses_dynamic_stack: false
    .vgpr_count:     0
    .vgpr_spill_count: 0
    .wavefront_size: 64
  - .agpr_count:     0
    .args:
      - .offset:         0
        .size:           88
        .value_kind:     by_value
    .group_segment_fixed_size: 0
    .kernarg_segment_align: 8
    .kernarg_segment_size: 88
    .language:       OpenCL C
    .language_version:
      - 2
      - 0
    .max_flat_workgroup_size: 256
    .name:           _ZN7rocprim17ROCPRIM_400000_NS6detail17trampoline_kernelINS0_14default_configENS1_35radix_sort_onesweep_config_selectorItNS0_10empty_typeEEEZZNS1_29radix_sort_onesweep_iterationIS3_Lb0EN6thrust23THRUST_200600_302600_NS6detail15normal_iteratorINS9_10device_ptrItEEEESE_PS5_SF_jNS0_19identity_decomposerENS1_16block_id_wrapperIjLb0EEEEE10hipError_tT1_PNSt15iterator_traitsISK_E10value_typeET2_T3_PNSL_ISQ_E10value_typeET4_T5_PSV_SW_PNS1_23onesweep_lookback_stateEbbT6_jjT7_P12ihipStream_tbENKUlT_T0_SK_SP_E_clISE_PtSF_SF_EEDaS13_S14_SK_SP_EUlS13_E_NS1_11comp_targetILNS1_3genE10ELNS1_11target_archE1201ELNS1_3gpuE5ELNS1_3repE0EEENS1_47radix_sort_onesweep_sort_config_static_selectorELNS0_4arch9wavefront6targetE1EEEvSK_
    .private_segment_fixed_size: 0
    .sgpr_count:     6
    .sgpr_spill_count: 0
    .symbol:         _ZN7rocprim17ROCPRIM_400000_NS6detail17trampoline_kernelINS0_14default_configENS1_35radix_sort_onesweep_config_selectorItNS0_10empty_typeEEEZZNS1_29radix_sort_onesweep_iterationIS3_Lb0EN6thrust23THRUST_200600_302600_NS6detail15normal_iteratorINS9_10device_ptrItEEEESE_PS5_SF_jNS0_19identity_decomposerENS1_16block_id_wrapperIjLb0EEEEE10hipError_tT1_PNSt15iterator_traitsISK_E10value_typeET2_T3_PNSL_ISQ_E10value_typeET4_T5_PSV_SW_PNS1_23onesweep_lookback_stateEbbT6_jjT7_P12ihipStream_tbENKUlT_T0_SK_SP_E_clISE_PtSF_SF_EEDaS13_S14_SK_SP_EUlS13_E_NS1_11comp_targetILNS1_3genE10ELNS1_11target_archE1201ELNS1_3gpuE5ELNS1_3repE0EEENS1_47radix_sort_onesweep_sort_config_static_selectorELNS0_4arch9wavefront6targetE1EEEvSK_.kd
    .uniform_work_group_size: 1
    .uses_dynamic_stack: false
    .vgpr_count:     0
    .vgpr_spill_count: 0
    .wavefront_size: 64
  - .agpr_count:     0
    .args:
      - .offset:         0
        .size:           88
        .value_kind:     by_value
    .group_segment_fixed_size: 0
    .kernarg_segment_align: 8
    .kernarg_segment_size: 88
    .language:       OpenCL C
    .language_version:
      - 2
      - 0
    .max_flat_workgroup_size: 256
    .name:           _ZN7rocprim17ROCPRIM_400000_NS6detail17trampoline_kernelINS0_14default_configENS1_35radix_sort_onesweep_config_selectorItNS0_10empty_typeEEEZZNS1_29radix_sort_onesweep_iterationIS3_Lb0EN6thrust23THRUST_200600_302600_NS6detail15normal_iteratorINS9_10device_ptrItEEEESE_PS5_SF_jNS0_19identity_decomposerENS1_16block_id_wrapperIjLb0EEEEE10hipError_tT1_PNSt15iterator_traitsISK_E10value_typeET2_T3_PNSL_ISQ_E10value_typeET4_T5_PSV_SW_PNS1_23onesweep_lookback_stateEbbT6_jjT7_P12ihipStream_tbENKUlT_T0_SK_SP_E_clISE_PtSF_SF_EEDaS13_S14_SK_SP_EUlS13_E_NS1_11comp_targetILNS1_3genE9ELNS1_11target_archE1100ELNS1_3gpuE3ELNS1_3repE0EEENS1_47radix_sort_onesweep_sort_config_static_selectorELNS0_4arch9wavefront6targetE1EEEvSK_
    .private_segment_fixed_size: 0
    .sgpr_count:     6
    .sgpr_spill_count: 0
    .symbol:         _ZN7rocprim17ROCPRIM_400000_NS6detail17trampoline_kernelINS0_14default_configENS1_35radix_sort_onesweep_config_selectorItNS0_10empty_typeEEEZZNS1_29radix_sort_onesweep_iterationIS3_Lb0EN6thrust23THRUST_200600_302600_NS6detail15normal_iteratorINS9_10device_ptrItEEEESE_PS5_SF_jNS0_19identity_decomposerENS1_16block_id_wrapperIjLb0EEEEE10hipError_tT1_PNSt15iterator_traitsISK_E10value_typeET2_T3_PNSL_ISQ_E10value_typeET4_T5_PSV_SW_PNS1_23onesweep_lookback_stateEbbT6_jjT7_P12ihipStream_tbENKUlT_T0_SK_SP_E_clISE_PtSF_SF_EEDaS13_S14_SK_SP_EUlS13_E_NS1_11comp_targetILNS1_3genE9ELNS1_11target_archE1100ELNS1_3gpuE3ELNS1_3repE0EEENS1_47radix_sort_onesweep_sort_config_static_selectorELNS0_4arch9wavefront6targetE1EEEvSK_.kd
    .uniform_work_group_size: 1
    .uses_dynamic_stack: false
    .vgpr_count:     0
    .vgpr_spill_count: 0
    .wavefront_size: 64
  - .agpr_count:     0
    .args:
      - .offset:         0
        .size:           88
        .value_kind:     by_value
    .group_segment_fixed_size: 0
    .kernarg_segment_align: 8
    .kernarg_segment_size: 88
    .language:       OpenCL C
    .language_version:
      - 2
      - 0
    .max_flat_workgroup_size: 256
    .name:           _ZN7rocprim17ROCPRIM_400000_NS6detail17trampoline_kernelINS0_14default_configENS1_35radix_sort_onesweep_config_selectorItNS0_10empty_typeEEEZZNS1_29radix_sort_onesweep_iterationIS3_Lb0EN6thrust23THRUST_200600_302600_NS6detail15normal_iteratorINS9_10device_ptrItEEEESE_PS5_SF_jNS0_19identity_decomposerENS1_16block_id_wrapperIjLb0EEEEE10hipError_tT1_PNSt15iterator_traitsISK_E10value_typeET2_T3_PNSL_ISQ_E10value_typeET4_T5_PSV_SW_PNS1_23onesweep_lookback_stateEbbT6_jjT7_P12ihipStream_tbENKUlT_T0_SK_SP_E_clISE_PtSF_SF_EEDaS13_S14_SK_SP_EUlS13_E_NS1_11comp_targetILNS1_3genE8ELNS1_11target_archE1030ELNS1_3gpuE2ELNS1_3repE0EEENS1_47radix_sort_onesweep_sort_config_static_selectorELNS0_4arch9wavefront6targetE1EEEvSK_
    .private_segment_fixed_size: 0
    .sgpr_count:     6
    .sgpr_spill_count: 0
    .symbol:         _ZN7rocprim17ROCPRIM_400000_NS6detail17trampoline_kernelINS0_14default_configENS1_35radix_sort_onesweep_config_selectorItNS0_10empty_typeEEEZZNS1_29radix_sort_onesweep_iterationIS3_Lb0EN6thrust23THRUST_200600_302600_NS6detail15normal_iteratorINS9_10device_ptrItEEEESE_PS5_SF_jNS0_19identity_decomposerENS1_16block_id_wrapperIjLb0EEEEE10hipError_tT1_PNSt15iterator_traitsISK_E10value_typeET2_T3_PNSL_ISQ_E10value_typeET4_T5_PSV_SW_PNS1_23onesweep_lookback_stateEbbT6_jjT7_P12ihipStream_tbENKUlT_T0_SK_SP_E_clISE_PtSF_SF_EEDaS13_S14_SK_SP_EUlS13_E_NS1_11comp_targetILNS1_3genE8ELNS1_11target_archE1030ELNS1_3gpuE2ELNS1_3repE0EEENS1_47radix_sort_onesweep_sort_config_static_selectorELNS0_4arch9wavefront6targetE1EEEvSK_.kd
    .uniform_work_group_size: 1
    .uses_dynamic_stack: false
    .vgpr_count:     0
    .vgpr_spill_count: 0
    .wavefront_size: 64
  - .agpr_count:     0
    .args:
      - .offset:         0
        .size:           88
        .value_kind:     by_value
    .group_segment_fixed_size: 0
    .kernarg_segment_align: 8
    .kernarg_segment_size: 88
    .language:       OpenCL C
    .language_version:
      - 2
      - 0
    .max_flat_workgroup_size: 512
    .name:           _ZN7rocprim17ROCPRIM_400000_NS6detail17trampoline_kernelINS0_14default_configENS1_35radix_sort_onesweep_config_selectorItNS0_10empty_typeEEEZZNS1_29radix_sort_onesweep_iterationIS3_Lb0EN6thrust23THRUST_200600_302600_NS6detail15normal_iteratorINS9_10device_ptrItEEEESE_PS5_SF_jNS0_19identity_decomposerENS1_16block_id_wrapperIjLb0EEEEE10hipError_tT1_PNSt15iterator_traitsISK_E10value_typeET2_T3_PNSL_ISQ_E10value_typeET4_T5_PSV_SW_PNS1_23onesweep_lookback_stateEbbT6_jjT7_P12ihipStream_tbENKUlT_T0_SK_SP_E_clIPtSE_SF_SF_EEDaS13_S14_SK_SP_EUlS13_E_NS1_11comp_targetILNS1_3genE0ELNS1_11target_archE4294967295ELNS1_3gpuE0ELNS1_3repE0EEENS1_47radix_sort_onesweep_sort_config_static_selectorELNS0_4arch9wavefront6targetE1EEEvSK_
    .private_segment_fixed_size: 0
    .sgpr_count:     6
    .sgpr_spill_count: 0
    .symbol:         _ZN7rocprim17ROCPRIM_400000_NS6detail17trampoline_kernelINS0_14default_configENS1_35radix_sort_onesweep_config_selectorItNS0_10empty_typeEEEZZNS1_29radix_sort_onesweep_iterationIS3_Lb0EN6thrust23THRUST_200600_302600_NS6detail15normal_iteratorINS9_10device_ptrItEEEESE_PS5_SF_jNS0_19identity_decomposerENS1_16block_id_wrapperIjLb0EEEEE10hipError_tT1_PNSt15iterator_traitsISK_E10value_typeET2_T3_PNSL_ISQ_E10value_typeET4_T5_PSV_SW_PNS1_23onesweep_lookback_stateEbbT6_jjT7_P12ihipStream_tbENKUlT_T0_SK_SP_E_clIPtSE_SF_SF_EEDaS13_S14_SK_SP_EUlS13_E_NS1_11comp_targetILNS1_3genE0ELNS1_11target_archE4294967295ELNS1_3gpuE0ELNS1_3repE0EEENS1_47radix_sort_onesweep_sort_config_static_selectorELNS0_4arch9wavefront6targetE1EEEvSK_.kd
    .uniform_work_group_size: 1
    .uses_dynamic_stack: false
    .vgpr_count:     0
    .vgpr_spill_count: 0
    .wavefront_size: 64
  - .agpr_count:     0
    .args:
      - .offset:         0
        .size:           88
        .value_kind:     by_value
    .group_segment_fixed_size: 0
    .kernarg_segment_align: 8
    .kernarg_segment_size: 88
    .language:       OpenCL C
    .language_version:
      - 2
      - 0
    .max_flat_workgroup_size: 1024
    .name:           _ZN7rocprim17ROCPRIM_400000_NS6detail17trampoline_kernelINS0_14default_configENS1_35radix_sort_onesweep_config_selectorItNS0_10empty_typeEEEZZNS1_29radix_sort_onesweep_iterationIS3_Lb0EN6thrust23THRUST_200600_302600_NS6detail15normal_iteratorINS9_10device_ptrItEEEESE_PS5_SF_jNS0_19identity_decomposerENS1_16block_id_wrapperIjLb0EEEEE10hipError_tT1_PNSt15iterator_traitsISK_E10value_typeET2_T3_PNSL_ISQ_E10value_typeET4_T5_PSV_SW_PNS1_23onesweep_lookback_stateEbbT6_jjT7_P12ihipStream_tbENKUlT_T0_SK_SP_E_clIPtSE_SF_SF_EEDaS13_S14_SK_SP_EUlS13_E_NS1_11comp_targetILNS1_3genE6ELNS1_11target_archE950ELNS1_3gpuE13ELNS1_3repE0EEENS1_47radix_sort_onesweep_sort_config_static_selectorELNS0_4arch9wavefront6targetE1EEEvSK_
    .private_segment_fixed_size: 0
    .sgpr_count:     6
    .sgpr_spill_count: 0
    .symbol:         _ZN7rocprim17ROCPRIM_400000_NS6detail17trampoline_kernelINS0_14default_configENS1_35radix_sort_onesweep_config_selectorItNS0_10empty_typeEEEZZNS1_29radix_sort_onesweep_iterationIS3_Lb0EN6thrust23THRUST_200600_302600_NS6detail15normal_iteratorINS9_10device_ptrItEEEESE_PS5_SF_jNS0_19identity_decomposerENS1_16block_id_wrapperIjLb0EEEEE10hipError_tT1_PNSt15iterator_traitsISK_E10value_typeET2_T3_PNSL_ISQ_E10value_typeET4_T5_PSV_SW_PNS1_23onesweep_lookback_stateEbbT6_jjT7_P12ihipStream_tbENKUlT_T0_SK_SP_E_clIPtSE_SF_SF_EEDaS13_S14_SK_SP_EUlS13_E_NS1_11comp_targetILNS1_3genE6ELNS1_11target_archE950ELNS1_3gpuE13ELNS1_3repE0EEENS1_47radix_sort_onesweep_sort_config_static_selectorELNS0_4arch9wavefront6targetE1EEEvSK_.kd
    .uniform_work_group_size: 1
    .uses_dynamic_stack: false
    .vgpr_count:     0
    .vgpr_spill_count: 0
    .wavefront_size: 64
  - .agpr_count:     0
    .args:
      - .offset:         0
        .size:           88
        .value_kind:     by_value
      - .offset:         88
        .size:           4
        .value_kind:     hidden_block_count_x
      - .offset:         92
        .size:           4
        .value_kind:     hidden_block_count_y
      - .offset:         96
        .size:           4
        .value_kind:     hidden_block_count_z
      - .offset:         100
        .size:           2
        .value_kind:     hidden_group_size_x
      - .offset:         102
        .size:           2
        .value_kind:     hidden_group_size_y
      - .offset:         104
        .size:           2
        .value_kind:     hidden_group_size_z
      - .offset:         106
        .size:           2
        .value_kind:     hidden_remainder_x
      - .offset:         108
        .size:           2
        .value_kind:     hidden_remainder_y
      - .offset:         110
        .size:           2
        .value_kind:     hidden_remainder_z
      - .offset:         128
        .size:           8
        .value_kind:     hidden_global_offset_x
      - .offset:         136
        .size:           8
        .value_kind:     hidden_global_offset_y
      - .offset:         144
        .size:           8
        .value_kind:     hidden_global_offset_z
      - .offset:         152
        .size:           2
        .value_kind:     hidden_grid_dims
    .group_segment_fixed_size: 25608
    .kernarg_segment_align: 8
    .kernarg_segment_size: 344
    .language:       OpenCL C
    .language_version:
      - 2
      - 0
    .max_flat_workgroup_size: 1024
    .name:           _ZN7rocprim17ROCPRIM_400000_NS6detail17trampoline_kernelINS0_14default_configENS1_35radix_sort_onesweep_config_selectorItNS0_10empty_typeEEEZZNS1_29radix_sort_onesweep_iterationIS3_Lb0EN6thrust23THRUST_200600_302600_NS6detail15normal_iteratorINS9_10device_ptrItEEEESE_PS5_SF_jNS0_19identity_decomposerENS1_16block_id_wrapperIjLb0EEEEE10hipError_tT1_PNSt15iterator_traitsISK_E10value_typeET2_T3_PNSL_ISQ_E10value_typeET4_T5_PSV_SW_PNS1_23onesweep_lookback_stateEbbT6_jjT7_P12ihipStream_tbENKUlT_T0_SK_SP_E_clIPtSE_SF_SF_EEDaS13_S14_SK_SP_EUlS13_E_NS1_11comp_targetILNS1_3genE5ELNS1_11target_archE942ELNS1_3gpuE9ELNS1_3repE0EEENS1_47radix_sort_onesweep_sort_config_static_selectorELNS0_4arch9wavefront6targetE1EEEvSK_
    .private_segment_fixed_size: 0
    .sgpr_count:     38
    .sgpr_spill_count: 0
    .symbol:         _ZN7rocprim17ROCPRIM_400000_NS6detail17trampoline_kernelINS0_14default_configENS1_35radix_sort_onesweep_config_selectorItNS0_10empty_typeEEEZZNS1_29radix_sort_onesweep_iterationIS3_Lb0EN6thrust23THRUST_200600_302600_NS6detail15normal_iteratorINS9_10device_ptrItEEEESE_PS5_SF_jNS0_19identity_decomposerENS1_16block_id_wrapperIjLb0EEEEE10hipError_tT1_PNSt15iterator_traitsISK_E10value_typeET2_T3_PNSL_ISQ_E10value_typeET4_T5_PSV_SW_PNS1_23onesweep_lookback_stateEbbT6_jjT7_P12ihipStream_tbENKUlT_T0_SK_SP_E_clIPtSE_SF_SF_EEDaS13_S14_SK_SP_EUlS13_E_NS1_11comp_targetILNS1_3genE5ELNS1_11target_archE942ELNS1_3gpuE9ELNS1_3repE0EEENS1_47radix_sort_onesweep_sort_config_static_selectorELNS0_4arch9wavefront6targetE1EEEvSK_.kd
    .uniform_work_group_size: 1
    .uses_dynamic_stack: false
    .vgpr_count:     62
    .vgpr_spill_count: 0
    .wavefront_size: 64
  - .agpr_count:     0
    .args:
      - .offset:         0
        .size:           88
        .value_kind:     by_value
    .group_segment_fixed_size: 0
    .kernarg_segment_align: 8
    .kernarg_segment_size: 88
    .language:       OpenCL C
    .language_version:
      - 2
      - 0
    .max_flat_workgroup_size: 512
    .name:           _ZN7rocprim17ROCPRIM_400000_NS6detail17trampoline_kernelINS0_14default_configENS1_35radix_sort_onesweep_config_selectorItNS0_10empty_typeEEEZZNS1_29radix_sort_onesweep_iterationIS3_Lb0EN6thrust23THRUST_200600_302600_NS6detail15normal_iteratorINS9_10device_ptrItEEEESE_PS5_SF_jNS0_19identity_decomposerENS1_16block_id_wrapperIjLb0EEEEE10hipError_tT1_PNSt15iterator_traitsISK_E10value_typeET2_T3_PNSL_ISQ_E10value_typeET4_T5_PSV_SW_PNS1_23onesweep_lookback_stateEbbT6_jjT7_P12ihipStream_tbENKUlT_T0_SK_SP_E_clIPtSE_SF_SF_EEDaS13_S14_SK_SP_EUlS13_E_NS1_11comp_targetILNS1_3genE2ELNS1_11target_archE906ELNS1_3gpuE6ELNS1_3repE0EEENS1_47radix_sort_onesweep_sort_config_static_selectorELNS0_4arch9wavefront6targetE1EEEvSK_
    .private_segment_fixed_size: 0
    .sgpr_count:     6
    .sgpr_spill_count: 0
    .symbol:         _ZN7rocprim17ROCPRIM_400000_NS6detail17trampoline_kernelINS0_14default_configENS1_35radix_sort_onesweep_config_selectorItNS0_10empty_typeEEEZZNS1_29radix_sort_onesweep_iterationIS3_Lb0EN6thrust23THRUST_200600_302600_NS6detail15normal_iteratorINS9_10device_ptrItEEEESE_PS5_SF_jNS0_19identity_decomposerENS1_16block_id_wrapperIjLb0EEEEE10hipError_tT1_PNSt15iterator_traitsISK_E10value_typeET2_T3_PNSL_ISQ_E10value_typeET4_T5_PSV_SW_PNS1_23onesweep_lookback_stateEbbT6_jjT7_P12ihipStream_tbENKUlT_T0_SK_SP_E_clIPtSE_SF_SF_EEDaS13_S14_SK_SP_EUlS13_E_NS1_11comp_targetILNS1_3genE2ELNS1_11target_archE906ELNS1_3gpuE6ELNS1_3repE0EEENS1_47radix_sort_onesweep_sort_config_static_selectorELNS0_4arch9wavefront6targetE1EEEvSK_.kd
    .uniform_work_group_size: 1
    .uses_dynamic_stack: false
    .vgpr_count:     0
    .vgpr_spill_count: 0
    .wavefront_size: 64
  - .agpr_count:     0
    .args:
      - .offset:         0
        .size:           88
        .value_kind:     by_value
    .group_segment_fixed_size: 0
    .kernarg_segment_align: 8
    .kernarg_segment_size: 88
    .language:       OpenCL C
    .language_version:
      - 2
      - 0
    .max_flat_workgroup_size: 1024
    .name:           _ZN7rocprim17ROCPRIM_400000_NS6detail17trampoline_kernelINS0_14default_configENS1_35radix_sort_onesweep_config_selectorItNS0_10empty_typeEEEZZNS1_29radix_sort_onesweep_iterationIS3_Lb0EN6thrust23THRUST_200600_302600_NS6detail15normal_iteratorINS9_10device_ptrItEEEESE_PS5_SF_jNS0_19identity_decomposerENS1_16block_id_wrapperIjLb0EEEEE10hipError_tT1_PNSt15iterator_traitsISK_E10value_typeET2_T3_PNSL_ISQ_E10value_typeET4_T5_PSV_SW_PNS1_23onesweep_lookback_stateEbbT6_jjT7_P12ihipStream_tbENKUlT_T0_SK_SP_E_clIPtSE_SF_SF_EEDaS13_S14_SK_SP_EUlS13_E_NS1_11comp_targetILNS1_3genE4ELNS1_11target_archE910ELNS1_3gpuE8ELNS1_3repE0EEENS1_47radix_sort_onesweep_sort_config_static_selectorELNS0_4arch9wavefront6targetE1EEEvSK_
    .private_segment_fixed_size: 0
    .sgpr_count:     6
    .sgpr_spill_count: 0
    .symbol:         _ZN7rocprim17ROCPRIM_400000_NS6detail17trampoline_kernelINS0_14default_configENS1_35radix_sort_onesweep_config_selectorItNS0_10empty_typeEEEZZNS1_29radix_sort_onesweep_iterationIS3_Lb0EN6thrust23THRUST_200600_302600_NS6detail15normal_iteratorINS9_10device_ptrItEEEESE_PS5_SF_jNS0_19identity_decomposerENS1_16block_id_wrapperIjLb0EEEEE10hipError_tT1_PNSt15iterator_traitsISK_E10value_typeET2_T3_PNSL_ISQ_E10value_typeET4_T5_PSV_SW_PNS1_23onesweep_lookback_stateEbbT6_jjT7_P12ihipStream_tbENKUlT_T0_SK_SP_E_clIPtSE_SF_SF_EEDaS13_S14_SK_SP_EUlS13_E_NS1_11comp_targetILNS1_3genE4ELNS1_11target_archE910ELNS1_3gpuE8ELNS1_3repE0EEENS1_47radix_sort_onesweep_sort_config_static_selectorELNS0_4arch9wavefront6targetE1EEEvSK_.kd
    .uniform_work_group_size: 1
    .uses_dynamic_stack: false
    .vgpr_count:     0
    .vgpr_spill_count: 0
    .wavefront_size: 64
  - .agpr_count:     0
    .args:
      - .offset:         0
        .size:           88
        .value_kind:     by_value
    .group_segment_fixed_size: 0
    .kernarg_segment_align: 8
    .kernarg_segment_size: 88
    .language:       OpenCL C
    .language_version:
      - 2
      - 0
    .max_flat_workgroup_size: 512
    .name:           _ZN7rocprim17ROCPRIM_400000_NS6detail17trampoline_kernelINS0_14default_configENS1_35radix_sort_onesweep_config_selectorItNS0_10empty_typeEEEZZNS1_29radix_sort_onesweep_iterationIS3_Lb0EN6thrust23THRUST_200600_302600_NS6detail15normal_iteratorINS9_10device_ptrItEEEESE_PS5_SF_jNS0_19identity_decomposerENS1_16block_id_wrapperIjLb0EEEEE10hipError_tT1_PNSt15iterator_traitsISK_E10value_typeET2_T3_PNSL_ISQ_E10value_typeET4_T5_PSV_SW_PNS1_23onesweep_lookback_stateEbbT6_jjT7_P12ihipStream_tbENKUlT_T0_SK_SP_E_clIPtSE_SF_SF_EEDaS13_S14_SK_SP_EUlS13_E_NS1_11comp_targetILNS1_3genE3ELNS1_11target_archE908ELNS1_3gpuE7ELNS1_3repE0EEENS1_47radix_sort_onesweep_sort_config_static_selectorELNS0_4arch9wavefront6targetE1EEEvSK_
    .private_segment_fixed_size: 0
    .sgpr_count:     6
    .sgpr_spill_count: 0
    .symbol:         _ZN7rocprim17ROCPRIM_400000_NS6detail17trampoline_kernelINS0_14default_configENS1_35radix_sort_onesweep_config_selectorItNS0_10empty_typeEEEZZNS1_29radix_sort_onesweep_iterationIS3_Lb0EN6thrust23THRUST_200600_302600_NS6detail15normal_iteratorINS9_10device_ptrItEEEESE_PS5_SF_jNS0_19identity_decomposerENS1_16block_id_wrapperIjLb0EEEEE10hipError_tT1_PNSt15iterator_traitsISK_E10value_typeET2_T3_PNSL_ISQ_E10value_typeET4_T5_PSV_SW_PNS1_23onesweep_lookback_stateEbbT6_jjT7_P12ihipStream_tbENKUlT_T0_SK_SP_E_clIPtSE_SF_SF_EEDaS13_S14_SK_SP_EUlS13_E_NS1_11comp_targetILNS1_3genE3ELNS1_11target_archE908ELNS1_3gpuE7ELNS1_3repE0EEENS1_47radix_sort_onesweep_sort_config_static_selectorELNS0_4arch9wavefront6targetE1EEEvSK_.kd
    .uniform_work_group_size: 1
    .uses_dynamic_stack: false
    .vgpr_count:     0
    .vgpr_spill_count: 0
    .wavefront_size: 64
  - .agpr_count:     0
    .args:
      - .offset:         0
        .size:           88
        .value_kind:     by_value
    .group_segment_fixed_size: 0
    .kernarg_segment_align: 8
    .kernarg_segment_size: 88
    .language:       OpenCL C
    .language_version:
      - 2
      - 0
    .max_flat_workgroup_size: 256
    .name:           _ZN7rocprim17ROCPRIM_400000_NS6detail17trampoline_kernelINS0_14default_configENS1_35radix_sort_onesweep_config_selectorItNS0_10empty_typeEEEZZNS1_29radix_sort_onesweep_iterationIS3_Lb0EN6thrust23THRUST_200600_302600_NS6detail15normal_iteratorINS9_10device_ptrItEEEESE_PS5_SF_jNS0_19identity_decomposerENS1_16block_id_wrapperIjLb0EEEEE10hipError_tT1_PNSt15iterator_traitsISK_E10value_typeET2_T3_PNSL_ISQ_E10value_typeET4_T5_PSV_SW_PNS1_23onesweep_lookback_stateEbbT6_jjT7_P12ihipStream_tbENKUlT_T0_SK_SP_E_clIPtSE_SF_SF_EEDaS13_S14_SK_SP_EUlS13_E_NS1_11comp_targetILNS1_3genE10ELNS1_11target_archE1201ELNS1_3gpuE5ELNS1_3repE0EEENS1_47radix_sort_onesweep_sort_config_static_selectorELNS0_4arch9wavefront6targetE1EEEvSK_
    .private_segment_fixed_size: 0
    .sgpr_count:     6
    .sgpr_spill_count: 0
    .symbol:         _ZN7rocprim17ROCPRIM_400000_NS6detail17trampoline_kernelINS0_14default_configENS1_35radix_sort_onesweep_config_selectorItNS0_10empty_typeEEEZZNS1_29radix_sort_onesweep_iterationIS3_Lb0EN6thrust23THRUST_200600_302600_NS6detail15normal_iteratorINS9_10device_ptrItEEEESE_PS5_SF_jNS0_19identity_decomposerENS1_16block_id_wrapperIjLb0EEEEE10hipError_tT1_PNSt15iterator_traitsISK_E10value_typeET2_T3_PNSL_ISQ_E10value_typeET4_T5_PSV_SW_PNS1_23onesweep_lookback_stateEbbT6_jjT7_P12ihipStream_tbENKUlT_T0_SK_SP_E_clIPtSE_SF_SF_EEDaS13_S14_SK_SP_EUlS13_E_NS1_11comp_targetILNS1_3genE10ELNS1_11target_archE1201ELNS1_3gpuE5ELNS1_3repE0EEENS1_47radix_sort_onesweep_sort_config_static_selectorELNS0_4arch9wavefront6targetE1EEEvSK_.kd
    .uniform_work_group_size: 1
    .uses_dynamic_stack: false
    .vgpr_count:     0
    .vgpr_spill_count: 0
    .wavefront_size: 64
  - .agpr_count:     0
    .args:
      - .offset:         0
        .size:           88
        .value_kind:     by_value
    .group_segment_fixed_size: 0
    .kernarg_segment_align: 8
    .kernarg_segment_size: 88
    .language:       OpenCL C
    .language_version:
      - 2
      - 0
    .max_flat_workgroup_size: 256
    .name:           _ZN7rocprim17ROCPRIM_400000_NS6detail17trampoline_kernelINS0_14default_configENS1_35radix_sort_onesweep_config_selectorItNS0_10empty_typeEEEZZNS1_29radix_sort_onesweep_iterationIS3_Lb0EN6thrust23THRUST_200600_302600_NS6detail15normal_iteratorINS9_10device_ptrItEEEESE_PS5_SF_jNS0_19identity_decomposerENS1_16block_id_wrapperIjLb0EEEEE10hipError_tT1_PNSt15iterator_traitsISK_E10value_typeET2_T3_PNSL_ISQ_E10value_typeET4_T5_PSV_SW_PNS1_23onesweep_lookback_stateEbbT6_jjT7_P12ihipStream_tbENKUlT_T0_SK_SP_E_clIPtSE_SF_SF_EEDaS13_S14_SK_SP_EUlS13_E_NS1_11comp_targetILNS1_3genE9ELNS1_11target_archE1100ELNS1_3gpuE3ELNS1_3repE0EEENS1_47radix_sort_onesweep_sort_config_static_selectorELNS0_4arch9wavefront6targetE1EEEvSK_
    .private_segment_fixed_size: 0
    .sgpr_count:     6
    .sgpr_spill_count: 0
    .symbol:         _ZN7rocprim17ROCPRIM_400000_NS6detail17trampoline_kernelINS0_14default_configENS1_35radix_sort_onesweep_config_selectorItNS0_10empty_typeEEEZZNS1_29radix_sort_onesweep_iterationIS3_Lb0EN6thrust23THRUST_200600_302600_NS6detail15normal_iteratorINS9_10device_ptrItEEEESE_PS5_SF_jNS0_19identity_decomposerENS1_16block_id_wrapperIjLb0EEEEE10hipError_tT1_PNSt15iterator_traitsISK_E10value_typeET2_T3_PNSL_ISQ_E10value_typeET4_T5_PSV_SW_PNS1_23onesweep_lookback_stateEbbT6_jjT7_P12ihipStream_tbENKUlT_T0_SK_SP_E_clIPtSE_SF_SF_EEDaS13_S14_SK_SP_EUlS13_E_NS1_11comp_targetILNS1_3genE9ELNS1_11target_archE1100ELNS1_3gpuE3ELNS1_3repE0EEENS1_47radix_sort_onesweep_sort_config_static_selectorELNS0_4arch9wavefront6targetE1EEEvSK_.kd
    .uniform_work_group_size: 1
    .uses_dynamic_stack: false
    .vgpr_count:     0
    .vgpr_spill_count: 0
    .wavefront_size: 64
  - .agpr_count:     0
    .args:
      - .offset:         0
        .size:           88
        .value_kind:     by_value
    .group_segment_fixed_size: 0
    .kernarg_segment_align: 8
    .kernarg_segment_size: 88
    .language:       OpenCL C
    .language_version:
      - 2
      - 0
    .max_flat_workgroup_size: 256
    .name:           _ZN7rocprim17ROCPRIM_400000_NS6detail17trampoline_kernelINS0_14default_configENS1_35radix_sort_onesweep_config_selectorItNS0_10empty_typeEEEZZNS1_29radix_sort_onesweep_iterationIS3_Lb0EN6thrust23THRUST_200600_302600_NS6detail15normal_iteratorINS9_10device_ptrItEEEESE_PS5_SF_jNS0_19identity_decomposerENS1_16block_id_wrapperIjLb0EEEEE10hipError_tT1_PNSt15iterator_traitsISK_E10value_typeET2_T3_PNSL_ISQ_E10value_typeET4_T5_PSV_SW_PNS1_23onesweep_lookback_stateEbbT6_jjT7_P12ihipStream_tbENKUlT_T0_SK_SP_E_clIPtSE_SF_SF_EEDaS13_S14_SK_SP_EUlS13_E_NS1_11comp_targetILNS1_3genE8ELNS1_11target_archE1030ELNS1_3gpuE2ELNS1_3repE0EEENS1_47radix_sort_onesweep_sort_config_static_selectorELNS0_4arch9wavefront6targetE1EEEvSK_
    .private_segment_fixed_size: 0
    .sgpr_count:     6
    .sgpr_spill_count: 0
    .symbol:         _ZN7rocprim17ROCPRIM_400000_NS6detail17trampoline_kernelINS0_14default_configENS1_35radix_sort_onesweep_config_selectorItNS0_10empty_typeEEEZZNS1_29radix_sort_onesweep_iterationIS3_Lb0EN6thrust23THRUST_200600_302600_NS6detail15normal_iteratorINS9_10device_ptrItEEEESE_PS5_SF_jNS0_19identity_decomposerENS1_16block_id_wrapperIjLb0EEEEE10hipError_tT1_PNSt15iterator_traitsISK_E10value_typeET2_T3_PNSL_ISQ_E10value_typeET4_T5_PSV_SW_PNS1_23onesweep_lookback_stateEbbT6_jjT7_P12ihipStream_tbENKUlT_T0_SK_SP_E_clIPtSE_SF_SF_EEDaS13_S14_SK_SP_EUlS13_E_NS1_11comp_targetILNS1_3genE8ELNS1_11target_archE1030ELNS1_3gpuE2ELNS1_3repE0EEENS1_47radix_sort_onesweep_sort_config_static_selectorELNS0_4arch9wavefront6targetE1EEEvSK_.kd
    .uniform_work_group_size: 1
    .uses_dynamic_stack: false
    .vgpr_count:     0
    .vgpr_spill_count: 0
    .wavefront_size: 64
  - .agpr_count:     0
    .args:
      - .offset:         0
        .size:           48
        .value_kind:     by_value
    .group_segment_fixed_size: 0
    .kernarg_segment_align: 8
    .kernarg_segment_size: 48
    .language:       OpenCL C
    .language_version:
      - 2
      - 0
    .max_flat_workgroup_size: 256
    .name:           _ZN7rocprim17ROCPRIM_400000_NS6detail17trampoline_kernelINS0_13kernel_configILj256ELj4ELj4294967295EEENS1_37radix_sort_block_sort_config_selectorIxNS0_10empty_typeEEEZNS1_21radix_sort_block_sortIS4_Lb0EN6thrust23THRUST_200600_302600_NS6detail15normal_iteratorINSA_10device_ptrIxEEEESF_PS6_SG_NS0_19identity_decomposerEEE10hipError_tT1_T2_T3_T4_jRjT5_jjP12ihipStream_tbEUlT_E_NS1_11comp_targetILNS1_3genE0ELNS1_11target_archE4294967295ELNS1_3gpuE0ELNS1_3repE0EEENS1_44radix_sort_block_sort_config_static_selectorELNS0_4arch9wavefront6targetE1EEEvSJ_
    .private_segment_fixed_size: 0
    .sgpr_count:     6
    .sgpr_spill_count: 0
    .symbol:         _ZN7rocprim17ROCPRIM_400000_NS6detail17trampoline_kernelINS0_13kernel_configILj256ELj4ELj4294967295EEENS1_37radix_sort_block_sort_config_selectorIxNS0_10empty_typeEEEZNS1_21radix_sort_block_sortIS4_Lb0EN6thrust23THRUST_200600_302600_NS6detail15normal_iteratorINSA_10device_ptrIxEEEESF_PS6_SG_NS0_19identity_decomposerEEE10hipError_tT1_T2_T3_T4_jRjT5_jjP12ihipStream_tbEUlT_E_NS1_11comp_targetILNS1_3genE0ELNS1_11target_archE4294967295ELNS1_3gpuE0ELNS1_3repE0EEENS1_44radix_sort_block_sort_config_static_selectorELNS0_4arch9wavefront6targetE1EEEvSJ_.kd
    .uniform_work_group_size: 1
    .uses_dynamic_stack: false
    .vgpr_count:     0
    .vgpr_spill_count: 0
    .wavefront_size: 64
  - .agpr_count:     0
    .args:
      - .offset:         0
        .size:           48
        .value_kind:     by_value
      - .offset:         48
        .size:           4
        .value_kind:     hidden_block_count_x
      - .offset:         52
        .size:           4
        .value_kind:     hidden_block_count_y
      - .offset:         56
        .size:           4
        .value_kind:     hidden_block_count_z
      - .offset:         60
        .size:           2
        .value_kind:     hidden_group_size_x
      - .offset:         62
        .size:           2
        .value_kind:     hidden_group_size_y
      - .offset:         64
        .size:           2
        .value_kind:     hidden_group_size_z
      - .offset:         66
        .size:           2
        .value_kind:     hidden_remainder_x
      - .offset:         68
        .size:           2
        .value_kind:     hidden_remainder_y
      - .offset:         70
        .size:           2
        .value_kind:     hidden_remainder_z
      - .offset:         88
        .size:           8
        .value_kind:     hidden_global_offset_x
      - .offset:         96
        .size:           8
        .value_kind:     hidden_global_offset_y
      - .offset:         104
        .size:           8
        .value_kind:     hidden_global_offset_z
      - .offset:         112
        .size:           2
        .value_kind:     hidden_grid_dims
    .group_segment_fixed_size: 8192
    .kernarg_segment_align: 8
    .kernarg_segment_size: 304
    .language:       OpenCL C
    .language_version:
      - 2
      - 0
    .max_flat_workgroup_size: 256
    .name:           _ZN7rocprim17ROCPRIM_400000_NS6detail17trampoline_kernelINS0_13kernel_configILj256ELj4ELj4294967295EEENS1_37radix_sort_block_sort_config_selectorIxNS0_10empty_typeEEEZNS1_21radix_sort_block_sortIS4_Lb0EN6thrust23THRUST_200600_302600_NS6detail15normal_iteratorINSA_10device_ptrIxEEEESF_PS6_SG_NS0_19identity_decomposerEEE10hipError_tT1_T2_T3_T4_jRjT5_jjP12ihipStream_tbEUlT_E_NS1_11comp_targetILNS1_3genE5ELNS1_11target_archE942ELNS1_3gpuE9ELNS1_3repE0EEENS1_44radix_sort_block_sort_config_static_selectorELNS0_4arch9wavefront6targetE1EEEvSJ_
    .private_segment_fixed_size: 0
    .sgpr_count:     50
    .sgpr_spill_count: 0
    .symbol:         _ZN7rocprim17ROCPRIM_400000_NS6detail17trampoline_kernelINS0_13kernel_configILj256ELj4ELj4294967295EEENS1_37radix_sort_block_sort_config_selectorIxNS0_10empty_typeEEEZNS1_21radix_sort_block_sortIS4_Lb0EN6thrust23THRUST_200600_302600_NS6detail15normal_iteratorINSA_10device_ptrIxEEEESF_PS6_SG_NS0_19identity_decomposerEEE10hipError_tT1_T2_T3_T4_jRjT5_jjP12ihipStream_tbEUlT_E_NS1_11comp_targetILNS1_3genE5ELNS1_11target_archE942ELNS1_3gpuE9ELNS1_3repE0EEENS1_44radix_sort_block_sort_config_static_selectorELNS0_4arch9wavefront6targetE1EEEvSJ_.kd
    .uniform_work_group_size: 1
    .uses_dynamic_stack: false
    .vgpr_count:     42
    .vgpr_spill_count: 0
    .wavefront_size: 64
  - .agpr_count:     0
    .args:
      - .offset:         0
        .size:           48
        .value_kind:     by_value
    .group_segment_fixed_size: 0
    .kernarg_segment_align: 8
    .kernarg_segment_size: 48
    .language:       OpenCL C
    .language_version:
      - 2
      - 0
    .max_flat_workgroup_size: 256
    .name:           _ZN7rocprim17ROCPRIM_400000_NS6detail17trampoline_kernelINS0_13kernel_configILj256ELj4ELj4294967295EEENS1_37radix_sort_block_sort_config_selectorIxNS0_10empty_typeEEEZNS1_21radix_sort_block_sortIS4_Lb0EN6thrust23THRUST_200600_302600_NS6detail15normal_iteratorINSA_10device_ptrIxEEEESF_PS6_SG_NS0_19identity_decomposerEEE10hipError_tT1_T2_T3_T4_jRjT5_jjP12ihipStream_tbEUlT_E_NS1_11comp_targetILNS1_3genE4ELNS1_11target_archE910ELNS1_3gpuE8ELNS1_3repE0EEENS1_44radix_sort_block_sort_config_static_selectorELNS0_4arch9wavefront6targetE1EEEvSJ_
    .private_segment_fixed_size: 0
    .sgpr_count:     6
    .sgpr_spill_count: 0
    .symbol:         _ZN7rocprim17ROCPRIM_400000_NS6detail17trampoline_kernelINS0_13kernel_configILj256ELj4ELj4294967295EEENS1_37radix_sort_block_sort_config_selectorIxNS0_10empty_typeEEEZNS1_21radix_sort_block_sortIS4_Lb0EN6thrust23THRUST_200600_302600_NS6detail15normal_iteratorINSA_10device_ptrIxEEEESF_PS6_SG_NS0_19identity_decomposerEEE10hipError_tT1_T2_T3_T4_jRjT5_jjP12ihipStream_tbEUlT_E_NS1_11comp_targetILNS1_3genE4ELNS1_11target_archE910ELNS1_3gpuE8ELNS1_3repE0EEENS1_44radix_sort_block_sort_config_static_selectorELNS0_4arch9wavefront6targetE1EEEvSJ_.kd
    .uniform_work_group_size: 1
    .uses_dynamic_stack: false
    .vgpr_count:     0
    .vgpr_spill_count: 0
    .wavefront_size: 64
  - .agpr_count:     0
    .args:
      - .offset:         0
        .size:           48
        .value_kind:     by_value
    .group_segment_fixed_size: 0
    .kernarg_segment_align: 8
    .kernarg_segment_size: 48
    .language:       OpenCL C
    .language_version:
      - 2
      - 0
    .max_flat_workgroup_size: 256
    .name:           _ZN7rocprim17ROCPRIM_400000_NS6detail17trampoline_kernelINS0_13kernel_configILj256ELj4ELj4294967295EEENS1_37radix_sort_block_sort_config_selectorIxNS0_10empty_typeEEEZNS1_21radix_sort_block_sortIS4_Lb0EN6thrust23THRUST_200600_302600_NS6detail15normal_iteratorINSA_10device_ptrIxEEEESF_PS6_SG_NS0_19identity_decomposerEEE10hipError_tT1_T2_T3_T4_jRjT5_jjP12ihipStream_tbEUlT_E_NS1_11comp_targetILNS1_3genE3ELNS1_11target_archE908ELNS1_3gpuE7ELNS1_3repE0EEENS1_44radix_sort_block_sort_config_static_selectorELNS0_4arch9wavefront6targetE1EEEvSJ_
    .private_segment_fixed_size: 0
    .sgpr_count:     6
    .sgpr_spill_count: 0
    .symbol:         _ZN7rocprim17ROCPRIM_400000_NS6detail17trampoline_kernelINS0_13kernel_configILj256ELj4ELj4294967295EEENS1_37radix_sort_block_sort_config_selectorIxNS0_10empty_typeEEEZNS1_21radix_sort_block_sortIS4_Lb0EN6thrust23THRUST_200600_302600_NS6detail15normal_iteratorINSA_10device_ptrIxEEEESF_PS6_SG_NS0_19identity_decomposerEEE10hipError_tT1_T2_T3_T4_jRjT5_jjP12ihipStream_tbEUlT_E_NS1_11comp_targetILNS1_3genE3ELNS1_11target_archE908ELNS1_3gpuE7ELNS1_3repE0EEENS1_44radix_sort_block_sort_config_static_selectorELNS0_4arch9wavefront6targetE1EEEvSJ_.kd
    .uniform_work_group_size: 1
    .uses_dynamic_stack: false
    .vgpr_count:     0
    .vgpr_spill_count: 0
    .wavefront_size: 64
  - .agpr_count:     0
    .args:
      - .offset:         0
        .size:           48
        .value_kind:     by_value
    .group_segment_fixed_size: 0
    .kernarg_segment_align: 8
    .kernarg_segment_size: 48
    .language:       OpenCL C
    .language_version:
      - 2
      - 0
    .max_flat_workgroup_size: 256
    .name:           _ZN7rocprim17ROCPRIM_400000_NS6detail17trampoline_kernelINS0_13kernel_configILj256ELj4ELj4294967295EEENS1_37radix_sort_block_sort_config_selectorIxNS0_10empty_typeEEEZNS1_21radix_sort_block_sortIS4_Lb0EN6thrust23THRUST_200600_302600_NS6detail15normal_iteratorINSA_10device_ptrIxEEEESF_PS6_SG_NS0_19identity_decomposerEEE10hipError_tT1_T2_T3_T4_jRjT5_jjP12ihipStream_tbEUlT_E_NS1_11comp_targetILNS1_3genE2ELNS1_11target_archE906ELNS1_3gpuE6ELNS1_3repE0EEENS1_44radix_sort_block_sort_config_static_selectorELNS0_4arch9wavefront6targetE1EEEvSJ_
    .private_segment_fixed_size: 0
    .sgpr_count:     6
    .sgpr_spill_count: 0
    .symbol:         _ZN7rocprim17ROCPRIM_400000_NS6detail17trampoline_kernelINS0_13kernel_configILj256ELj4ELj4294967295EEENS1_37radix_sort_block_sort_config_selectorIxNS0_10empty_typeEEEZNS1_21radix_sort_block_sortIS4_Lb0EN6thrust23THRUST_200600_302600_NS6detail15normal_iteratorINSA_10device_ptrIxEEEESF_PS6_SG_NS0_19identity_decomposerEEE10hipError_tT1_T2_T3_T4_jRjT5_jjP12ihipStream_tbEUlT_E_NS1_11comp_targetILNS1_3genE2ELNS1_11target_archE906ELNS1_3gpuE6ELNS1_3repE0EEENS1_44radix_sort_block_sort_config_static_selectorELNS0_4arch9wavefront6targetE1EEEvSJ_.kd
    .uniform_work_group_size: 1
    .uses_dynamic_stack: false
    .vgpr_count:     0
    .vgpr_spill_count: 0
    .wavefront_size: 64
  - .agpr_count:     0
    .args:
      - .offset:         0
        .size:           48
        .value_kind:     by_value
    .group_segment_fixed_size: 0
    .kernarg_segment_align: 8
    .kernarg_segment_size: 48
    .language:       OpenCL C
    .language_version:
      - 2
      - 0
    .max_flat_workgroup_size: 256
    .name:           _ZN7rocprim17ROCPRIM_400000_NS6detail17trampoline_kernelINS0_13kernel_configILj256ELj4ELj4294967295EEENS1_37radix_sort_block_sort_config_selectorIxNS0_10empty_typeEEEZNS1_21radix_sort_block_sortIS4_Lb0EN6thrust23THRUST_200600_302600_NS6detail15normal_iteratorINSA_10device_ptrIxEEEESF_PS6_SG_NS0_19identity_decomposerEEE10hipError_tT1_T2_T3_T4_jRjT5_jjP12ihipStream_tbEUlT_E_NS1_11comp_targetILNS1_3genE10ELNS1_11target_archE1201ELNS1_3gpuE5ELNS1_3repE0EEENS1_44radix_sort_block_sort_config_static_selectorELNS0_4arch9wavefront6targetE1EEEvSJ_
    .private_segment_fixed_size: 0
    .sgpr_count:     6
    .sgpr_spill_count: 0
    .symbol:         _ZN7rocprim17ROCPRIM_400000_NS6detail17trampoline_kernelINS0_13kernel_configILj256ELj4ELj4294967295EEENS1_37radix_sort_block_sort_config_selectorIxNS0_10empty_typeEEEZNS1_21radix_sort_block_sortIS4_Lb0EN6thrust23THRUST_200600_302600_NS6detail15normal_iteratorINSA_10device_ptrIxEEEESF_PS6_SG_NS0_19identity_decomposerEEE10hipError_tT1_T2_T3_T4_jRjT5_jjP12ihipStream_tbEUlT_E_NS1_11comp_targetILNS1_3genE10ELNS1_11target_archE1201ELNS1_3gpuE5ELNS1_3repE0EEENS1_44radix_sort_block_sort_config_static_selectorELNS0_4arch9wavefront6targetE1EEEvSJ_.kd
    .uniform_work_group_size: 1
    .uses_dynamic_stack: false
    .vgpr_count:     0
    .vgpr_spill_count: 0
    .wavefront_size: 64
  - .agpr_count:     0
    .args:
      - .offset:         0
        .size:           48
        .value_kind:     by_value
    .group_segment_fixed_size: 0
    .kernarg_segment_align: 8
    .kernarg_segment_size: 48
    .language:       OpenCL C
    .language_version:
      - 2
      - 0
    .max_flat_workgroup_size: 256
    .name:           _ZN7rocprim17ROCPRIM_400000_NS6detail17trampoline_kernelINS0_13kernel_configILj256ELj4ELj4294967295EEENS1_37radix_sort_block_sort_config_selectorIxNS0_10empty_typeEEEZNS1_21radix_sort_block_sortIS4_Lb0EN6thrust23THRUST_200600_302600_NS6detail15normal_iteratorINSA_10device_ptrIxEEEESF_PS6_SG_NS0_19identity_decomposerEEE10hipError_tT1_T2_T3_T4_jRjT5_jjP12ihipStream_tbEUlT_E_NS1_11comp_targetILNS1_3genE10ELNS1_11target_archE1200ELNS1_3gpuE4ELNS1_3repE0EEENS1_44radix_sort_block_sort_config_static_selectorELNS0_4arch9wavefront6targetE1EEEvSJ_
    .private_segment_fixed_size: 0
    .sgpr_count:     6
    .sgpr_spill_count: 0
    .symbol:         _ZN7rocprim17ROCPRIM_400000_NS6detail17trampoline_kernelINS0_13kernel_configILj256ELj4ELj4294967295EEENS1_37radix_sort_block_sort_config_selectorIxNS0_10empty_typeEEEZNS1_21radix_sort_block_sortIS4_Lb0EN6thrust23THRUST_200600_302600_NS6detail15normal_iteratorINSA_10device_ptrIxEEEESF_PS6_SG_NS0_19identity_decomposerEEE10hipError_tT1_T2_T3_T4_jRjT5_jjP12ihipStream_tbEUlT_E_NS1_11comp_targetILNS1_3genE10ELNS1_11target_archE1200ELNS1_3gpuE4ELNS1_3repE0EEENS1_44radix_sort_block_sort_config_static_selectorELNS0_4arch9wavefront6targetE1EEEvSJ_.kd
    .uniform_work_group_size: 1
    .uses_dynamic_stack: false
    .vgpr_count:     0
    .vgpr_spill_count: 0
    .wavefront_size: 64
  - .agpr_count:     0
    .args:
      - .offset:         0
        .size:           48
        .value_kind:     by_value
    .group_segment_fixed_size: 0
    .kernarg_segment_align: 8
    .kernarg_segment_size: 48
    .language:       OpenCL C
    .language_version:
      - 2
      - 0
    .max_flat_workgroup_size: 256
    .name:           _ZN7rocprim17ROCPRIM_400000_NS6detail17trampoline_kernelINS0_13kernel_configILj256ELj4ELj4294967295EEENS1_37radix_sort_block_sort_config_selectorIxNS0_10empty_typeEEEZNS1_21radix_sort_block_sortIS4_Lb0EN6thrust23THRUST_200600_302600_NS6detail15normal_iteratorINSA_10device_ptrIxEEEESF_PS6_SG_NS0_19identity_decomposerEEE10hipError_tT1_T2_T3_T4_jRjT5_jjP12ihipStream_tbEUlT_E_NS1_11comp_targetILNS1_3genE9ELNS1_11target_archE1100ELNS1_3gpuE3ELNS1_3repE0EEENS1_44radix_sort_block_sort_config_static_selectorELNS0_4arch9wavefront6targetE1EEEvSJ_
    .private_segment_fixed_size: 0
    .sgpr_count:     6
    .sgpr_spill_count: 0
    .symbol:         _ZN7rocprim17ROCPRIM_400000_NS6detail17trampoline_kernelINS0_13kernel_configILj256ELj4ELj4294967295EEENS1_37radix_sort_block_sort_config_selectorIxNS0_10empty_typeEEEZNS1_21radix_sort_block_sortIS4_Lb0EN6thrust23THRUST_200600_302600_NS6detail15normal_iteratorINSA_10device_ptrIxEEEESF_PS6_SG_NS0_19identity_decomposerEEE10hipError_tT1_T2_T3_T4_jRjT5_jjP12ihipStream_tbEUlT_E_NS1_11comp_targetILNS1_3genE9ELNS1_11target_archE1100ELNS1_3gpuE3ELNS1_3repE0EEENS1_44radix_sort_block_sort_config_static_selectorELNS0_4arch9wavefront6targetE1EEEvSJ_.kd
    .uniform_work_group_size: 1
    .uses_dynamic_stack: false
    .vgpr_count:     0
    .vgpr_spill_count: 0
    .wavefront_size: 64
  - .agpr_count:     0
    .args:
      - .offset:         0
        .size:           48
        .value_kind:     by_value
    .group_segment_fixed_size: 0
    .kernarg_segment_align: 8
    .kernarg_segment_size: 48
    .language:       OpenCL C
    .language_version:
      - 2
      - 0
    .max_flat_workgroup_size: 256
    .name:           _ZN7rocprim17ROCPRIM_400000_NS6detail17trampoline_kernelINS0_13kernel_configILj256ELj4ELj4294967295EEENS1_37radix_sort_block_sort_config_selectorIxNS0_10empty_typeEEEZNS1_21radix_sort_block_sortIS4_Lb0EN6thrust23THRUST_200600_302600_NS6detail15normal_iteratorINSA_10device_ptrIxEEEESF_PS6_SG_NS0_19identity_decomposerEEE10hipError_tT1_T2_T3_T4_jRjT5_jjP12ihipStream_tbEUlT_E_NS1_11comp_targetILNS1_3genE8ELNS1_11target_archE1030ELNS1_3gpuE2ELNS1_3repE0EEENS1_44radix_sort_block_sort_config_static_selectorELNS0_4arch9wavefront6targetE1EEEvSJ_
    .private_segment_fixed_size: 0
    .sgpr_count:     6
    .sgpr_spill_count: 0
    .symbol:         _ZN7rocprim17ROCPRIM_400000_NS6detail17trampoline_kernelINS0_13kernel_configILj256ELj4ELj4294967295EEENS1_37radix_sort_block_sort_config_selectorIxNS0_10empty_typeEEEZNS1_21radix_sort_block_sortIS4_Lb0EN6thrust23THRUST_200600_302600_NS6detail15normal_iteratorINSA_10device_ptrIxEEEESF_PS6_SG_NS0_19identity_decomposerEEE10hipError_tT1_T2_T3_T4_jRjT5_jjP12ihipStream_tbEUlT_E_NS1_11comp_targetILNS1_3genE8ELNS1_11target_archE1030ELNS1_3gpuE2ELNS1_3repE0EEENS1_44radix_sort_block_sort_config_static_selectorELNS0_4arch9wavefront6targetE1EEEvSJ_.kd
    .uniform_work_group_size: 1
    .uses_dynamic_stack: false
    .vgpr_count:     0
    .vgpr_spill_count: 0
    .wavefront_size: 64
  - .agpr_count:     0
    .args:           []
    .group_segment_fixed_size: 0
    .kernarg_segment_align: 4
    .kernarg_segment_size: 0
    .language:       OpenCL C
    .language_version:
      - 2
      - 0
    .max_flat_workgroup_size: 1024
    .name:           _ZN7rocprim17ROCPRIM_400000_NS6detail44device_merge_sort_compile_time_verifier_archINS1_11comp_targetILNS1_3genE0ELNS1_11target_archE4294967295ELNS1_3gpuE0ELNS1_3repE0EEES8_NS1_28merge_sort_block_sort_configILj256ELj4ELNS0_20block_sort_algorithmE0EEENS0_14default_configENS1_37merge_sort_block_sort_config_selectorIxNS0_10empty_typeEEENS1_38merge_sort_block_merge_config_selectorIxSE_EEEEvv
    .private_segment_fixed_size: 0
    .sgpr_count:     6
    .sgpr_spill_count: 0
    .symbol:         _ZN7rocprim17ROCPRIM_400000_NS6detail44device_merge_sort_compile_time_verifier_archINS1_11comp_targetILNS1_3genE0ELNS1_11target_archE4294967295ELNS1_3gpuE0ELNS1_3repE0EEES8_NS1_28merge_sort_block_sort_configILj256ELj4ELNS0_20block_sort_algorithmE0EEENS0_14default_configENS1_37merge_sort_block_sort_config_selectorIxNS0_10empty_typeEEENS1_38merge_sort_block_merge_config_selectorIxSE_EEEEvv.kd
    .uniform_work_group_size: 1
    .uses_dynamic_stack: false
    .vgpr_count:     0
    .vgpr_spill_count: 0
    .wavefront_size: 64
  - .agpr_count:     0
    .args:           []
    .group_segment_fixed_size: 0
    .kernarg_segment_align: 4
    .kernarg_segment_size: 0
    .language:       OpenCL C
    .language_version:
      - 2
      - 0
    .max_flat_workgroup_size: 1024
    .name:           _ZN7rocprim17ROCPRIM_400000_NS6detail44device_merge_sort_compile_time_verifier_archINS1_11comp_targetILNS1_3genE5ELNS1_11target_archE942ELNS1_3gpuE9ELNS1_3repE0EEES8_NS1_28merge_sort_block_sort_configILj256ELj4ELNS0_20block_sort_algorithmE0EEENS0_14default_configENS1_37merge_sort_block_sort_config_selectorIxNS0_10empty_typeEEENS1_38merge_sort_block_merge_config_selectorIxSE_EEEEvv
    .private_segment_fixed_size: 0
    .sgpr_count:     6
    .sgpr_spill_count: 0
    .symbol:         _ZN7rocprim17ROCPRIM_400000_NS6detail44device_merge_sort_compile_time_verifier_archINS1_11comp_targetILNS1_3genE5ELNS1_11target_archE942ELNS1_3gpuE9ELNS1_3repE0EEES8_NS1_28merge_sort_block_sort_configILj256ELj4ELNS0_20block_sort_algorithmE0EEENS0_14default_configENS1_37merge_sort_block_sort_config_selectorIxNS0_10empty_typeEEENS1_38merge_sort_block_merge_config_selectorIxSE_EEEEvv.kd
    .uniform_work_group_size: 1
    .uses_dynamic_stack: false
    .vgpr_count:     0
    .vgpr_spill_count: 0
    .wavefront_size: 64
  - .agpr_count:     0
    .args:           []
    .group_segment_fixed_size: 0
    .kernarg_segment_align: 4
    .kernarg_segment_size: 0
    .language:       OpenCL C
    .language_version:
      - 2
      - 0
    .max_flat_workgroup_size: 1024
    .name:           _ZN7rocprim17ROCPRIM_400000_NS6detail44device_merge_sort_compile_time_verifier_archINS1_11comp_targetILNS1_3genE4ELNS1_11target_archE910ELNS1_3gpuE8ELNS1_3repE0EEES8_NS1_28merge_sort_block_sort_configILj256ELj4ELNS0_20block_sort_algorithmE0EEENS0_14default_configENS1_37merge_sort_block_sort_config_selectorIxNS0_10empty_typeEEENS1_38merge_sort_block_merge_config_selectorIxSE_EEEEvv
    .private_segment_fixed_size: 0
    .sgpr_count:     6
    .sgpr_spill_count: 0
    .symbol:         _ZN7rocprim17ROCPRIM_400000_NS6detail44device_merge_sort_compile_time_verifier_archINS1_11comp_targetILNS1_3genE4ELNS1_11target_archE910ELNS1_3gpuE8ELNS1_3repE0EEES8_NS1_28merge_sort_block_sort_configILj256ELj4ELNS0_20block_sort_algorithmE0EEENS0_14default_configENS1_37merge_sort_block_sort_config_selectorIxNS0_10empty_typeEEENS1_38merge_sort_block_merge_config_selectorIxSE_EEEEvv.kd
    .uniform_work_group_size: 1
    .uses_dynamic_stack: false
    .vgpr_count:     0
    .vgpr_spill_count: 0
    .wavefront_size: 64
  - .agpr_count:     0
    .args:           []
    .group_segment_fixed_size: 0
    .kernarg_segment_align: 4
    .kernarg_segment_size: 0
    .language:       OpenCL C
    .language_version:
      - 2
      - 0
    .max_flat_workgroup_size: 1024
    .name:           _ZN7rocprim17ROCPRIM_400000_NS6detail44device_merge_sort_compile_time_verifier_archINS1_11comp_targetILNS1_3genE3ELNS1_11target_archE908ELNS1_3gpuE7ELNS1_3repE0EEES8_NS1_28merge_sort_block_sort_configILj256ELj4ELNS0_20block_sort_algorithmE0EEENS0_14default_configENS1_37merge_sort_block_sort_config_selectorIxNS0_10empty_typeEEENS1_38merge_sort_block_merge_config_selectorIxSE_EEEEvv
    .private_segment_fixed_size: 0
    .sgpr_count:     6
    .sgpr_spill_count: 0
    .symbol:         _ZN7rocprim17ROCPRIM_400000_NS6detail44device_merge_sort_compile_time_verifier_archINS1_11comp_targetILNS1_3genE3ELNS1_11target_archE908ELNS1_3gpuE7ELNS1_3repE0EEES8_NS1_28merge_sort_block_sort_configILj256ELj4ELNS0_20block_sort_algorithmE0EEENS0_14default_configENS1_37merge_sort_block_sort_config_selectorIxNS0_10empty_typeEEENS1_38merge_sort_block_merge_config_selectorIxSE_EEEEvv.kd
    .uniform_work_group_size: 1
    .uses_dynamic_stack: false
    .vgpr_count:     0
    .vgpr_spill_count: 0
    .wavefront_size: 64
  - .agpr_count:     0
    .args:           []
    .group_segment_fixed_size: 0
    .kernarg_segment_align: 4
    .kernarg_segment_size: 0
    .language:       OpenCL C
    .language_version:
      - 2
      - 0
    .max_flat_workgroup_size: 1024
    .name:           _ZN7rocprim17ROCPRIM_400000_NS6detail44device_merge_sort_compile_time_verifier_archINS1_11comp_targetILNS1_3genE2ELNS1_11target_archE906ELNS1_3gpuE6ELNS1_3repE0EEES8_NS1_28merge_sort_block_sort_configILj256ELj4ELNS0_20block_sort_algorithmE0EEENS0_14default_configENS1_37merge_sort_block_sort_config_selectorIxNS0_10empty_typeEEENS1_38merge_sort_block_merge_config_selectorIxSE_EEEEvv
    .private_segment_fixed_size: 0
    .sgpr_count:     6
    .sgpr_spill_count: 0
    .symbol:         _ZN7rocprim17ROCPRIM_400000_NS6detail44device_merge_sort_compile_time_verifier_archINS1_11comp_targetILNS1_3genE2ELNS1_11target_archE906ELNS1_3gpuE6ELNS1_3repE0EEES8_NS1_28merge_sort_block_sort_configILj256ELj4ELNS0_20block_sort_algorithmE0EEENS0_14default_configENS1_37merge_sort_block_sort_config_selectorIxNS0_10empty_typeEEENS1_38merge_sort_block_merge_config_selectorIxSE_EEEEvv.kd
    .uniform_work_group_size: 1
    .uses_dynamic_stack: false
    .vgpr_count:     0
    .vgpr_spill_count: 0
    .wavefront_size: 64
  - .agpr_count:     0
    .args:           []
    .group_segment_fixed_size: 0
    .kernarg_segment_align: 4
    .kernarg_segment_size: 0
    .language:       OpenCL C
    .language_version:
      - 2
      - 0
    .max_flat_workgroup_size: 1024
    .name:           _ZN7rocprim17ROCPRIM_400000_NS6detail44device_merge_sort_compile_time_verifier_archINS1_11comp_targetILNS1_3genE10ELNS1_11target_archE1201ELNS1_3gpuE5ELNS1_3repE0EEES8_NS1_28merge_sort_block_sort_configILj256ELj4ELNS0_20block_sort_algorithmE0EEENS0_14default_configENS1_37merge_sort_block_sort_config_selectorIxNS0_10empty_typeEEENS1_38merge_sort_block_merge_config_selectorIxSE_EEEEvv
    .private_segment_fixed_size: 0
    .sgpr_count:     6
    .sgpr_spill_count: 0
    .symbol:         _ZN7rocprim17ROCPRIM_400000_NS6detail44device_merge_sort_compile_time_verifier_archINS1_11comp_targetILNS1_3genE10ELNS1_11target_archE1201ELNS1_3gpuE5ELNS1_3repE0EEES8_NS1_28merge_sort_block_sort_configILj256ELj4ELNS0_20block_sort_algorithmE0EEENS0_14default_configENS1_37merge_sort_block_sort_config_selectorIxNS0_10empty_typeEEENS1_38merge_sort_block_merge_config_selectorIxSE_EEEEvv.kd
    .uniform_work_group_size: 1
    .uses_dynamic_stack: false
    .vgpr_count:     0
    .vgpr_spill_count: 0
    .wavefront_size: 64
  - .agpr_count:     0
    .args:           []
    .group_segment_fixed_size: 0
    .kernarg_segment_align: 4
    .kernarg_segment_size: 0
    .language:       OpenCL C
    .language_version:
      - 2
      - 0
    .max_flat_workgroup_size: 1024
    .name:           _ZN7rocprim17ROCPRIM_400000_NS6detail44device_merge_sort_compile_time_verifier_archINS1_11comp_targetILNS1_3genE10ELNS1_11target_archE1200ELNS1_3gpuE4ELNS1_3repE0EEENS3_ILS4_10ELS5_1201ELS6_5ELS7_0EEENS1_28merge_sort_block_sort_configILj256ELj4ELNS0_20block_sort_algorithmE0EEENS0_14default_configENS1_37merge_sort_block_sort_config_selectorIxNS0_10empty_typeEEENS1_38merge_sort_block_merge_config_selectorIxSF_EEEEvv
    .private_segment_fixed_size: 0
    .sgpr_count:     6
    .sgpr_spill_count: 0
    .symbol:         _ZN7rocprim17ROCPRIM_400000_NS6detail44device_merge_sort_compile_time_verifier_archINS1_11comp_targetILNS1_3genE10ELNS1_11target_archE1200ELNS1_3gpuE4ELNS1_3repE0EEENS3_ILS4_10ELS5_1201ELS6_5ELS7_0EEENS1_28merge_sort_block_sort_configILj256ELj4ELNS0_20block_sort_algorithmE0EEENS0_14default_configENS1_37merge_sort_block_sort_config_selectorIxNS0_10empty_typeEEENS1_38merge_sort_block_merge_config_selectorIxSF_EEEEvv.kd
    .uniform_work_group_size: 1
    .uses_dynamic_stack: false
    .vgpr_count:     0
    .vgpr_spill_count: 0
    .wavefront_size: 64
  - .agpr_count:     0
    .args:           []
    .group_segment_fixed_size: 0
    .kernarg_segment_align: 4
    .kernarg_segment_size: 0
    .language:       OpenCL C
    .language_version:
      - 2
      - 0
    .max_flat_workgroup_size: 1024
    .name:           _ZN7rocprim17ROCPRIM_400000_NS6detail44device_merge_sort_compile_time_verifier_archINS1_11comp_targetILNS1_3genE9ELNS1_11target_archE1100ELNS1_3gpuE3ELNS1_3repE0EEES8_NS1_28merge_sort_block_sort_configILj256ELj4ELNS0_20block_sort_algorithmE0EEENS0_14default_configENS1_37merge_sort_block_sort_config_selectorIxNS0_10empty_typeEEENS1_38merge_sort_block_merge_config_selectorIxSE_EEEEvv
    .private_segment_fixed_size: 0
    .sgpr_count:     6
    .sgpr_spill_count: 0
    .symbol:         _ZN7rocprim17ROCPRIM_400000_NS6detail44device_merge_sort_compile_time_verifier_archINS1_11comp_targetILNS1_3genE9ELNS1_11target_archE1100ELNS1_3gpuE3ELNS1_3repE0EEES8_NS1_28merge_sort_block_sort_configILj256ELj4ELNS0_20block_sort_algorithmE0EEENS0_14default_configENS1_37merge_sort_block_sort_config_selectorIxNS0_10empty_typeEEENS1_38merge_sort_block_merge_config_selectorIxSE_EEEEvv.kd
    .uniform_work_group_size: 1
    .uses_dynamic_stack: false
    .vgpr_count:     0
    .vgpr_spill_count: 0
    .wavefront_size: 64
  - .agpr_count:     0
    .args:           []
    .group_segment_fixed_size: 0
    .kernarg_segment_align: 4
    .kernarg_segment_size: 0
    .language:       OpenCL C
    .language_version:
      - 2
      - 0
    .max_flat_workgroup_size: 1024
    .name:           _ZN7rocprim17ROCPRIM_400000_NS6detail44device_merge_sort_compile_time_verifier_archINS1_11comp_targetILNS1_3genE8ELNS1_11target_archE1030ELNS1_3gpuE2ELNS1_3repE0EEES8_NS1_28merge_sort_block_sort_configILj256ELj4ELNS0_20block_sort_algorithmE0EEENS0_14default_configENS1_37merge_sort_block_sort_config_selectorIxNS0_10empty_typeEEENS1_38merge_sort_block_merge_config_selectorIxSE_EEEEvv
    .private_segment_fixed_size: 0
    .sgpr_count:     6
    .sgpr_spill_count: 0
    .symbol:         _ZN7rocprim17ROCPRIM_400000_NS6detail44device_merge_sort_compile_time_verifier_archINS1_11comp_targetILNS1_3genE8ELNS1_11target_archE1030ELNS1_3gpuE2ELNS1_3repE0EEES8_NS1_28merge_sort_block_sort_configILj256ELj4ELNS0_20block_sort_algorithmE0EEENS0_14default_configENS1_37merge_sort_block_sort_config_selectorIxNS0_10empty_typeEEENS1_38merge_sort_block_merge_config_selectorIxSE_EEEEvv.kd
    .uniform_work_group_size: 1
    .uses_dynamic_stack: false
    .vgpr_count:     0
    .vgpr_spill_count: 0
    .wavefront_size: 64
  - .agpr_count:     0
    .args:
      - .offset:         0
        .size:           40
        .value_kind:     by_value
    .group_segment_fixed_size: 0
    .kernarg_segment_align: 8
    .kernarg_segment_size: 40
    .language:       OpenCL C
    .language_version:
      - 2
      - 0
    .max_flat_workgroup_size: 128
    .name:           _ZN7rocprim17ROCPRIM_400000_NS6detail17trampoline_kernelINS0_14default_configENS1_38merge_sort_block_merge_config_selectorIxNS0_10empty_typeEEEZZNS1_27merge_sort_block_merge_implIS3_N6thrust23THRUST_200600_302600_NS6detail15normal_iteratorINS9_10device_ptrIxEEEEPS5_jNS1_19radix_merge_compareILb0ELb0ExNS0_19identity_decomposerEEEEE10hipError_tT0_T1_T2_jT3_P12ihipStream_tbPNSt15iterator_traitsISK_E10value_typeEPNSQ_ISL_E10value_typeEPSM_NS1_7vsmem_tEENKUlT_SK_SL_SM_E_clIPxSE_SF_SF_EESJ_SZ_SK_SL_SM_EUlSZ_E_NS1_11comp_targetILNS1_3genE0ELNS1_11target_archE4294967295ELNS1_3gpuE0ELNS1_3repE0EEENS1_48merge_mergepath_partition_config_static_selectorELNS0_4arch9wavefront6targetE1EEEvSL_
    .private_segment_fixed_size: 0
    .sgpr_count:     6
    .sgpr_spill_count: 0
    .symbol:         _ZN7rocprim17ROCPRIM_400000_NS6detail17trampoline_kernelINS0_14default_configENS1_38merge_sort_block_merge_config_selectorIxNS0_10empty_typeEEEZZNS1_27merge_sort_block_merge_implIS3_N6thrust23THRUST_200600_302600_NS6detail15normal_iteratorINS9_10device_ptrIxEEEEPS5_jNS1_19radix_merge_compareILb0ELb0ExNS0_19identity_decomposerEEEEE10hipError_tT0_T1_T2_jT3_P12ihipStream_tbPNSt15iterator_traitsISK_E10value_typeEPNSQ_ISL_E10value_typeEPSM_NS1_7vsmem_tEENKUlT_SK_SL_SM_E_clIPxSE_SF_SF_EESJ_SZ_SK_SL_SM_EUlSZ_E_NS1_11comp_targetILNS1_3genE0ELNS1_11target_archE4294967295ELNS1_3gpuE0ELNS1_3repE0EEENS1_48merge_mergepath_partition_config_static_selectorELNS0_4arch9wavefront6targetE1EEEvSL_.kd
    .uniform_work_group_size: 1
    .uses_dynamic_stack: false
    .vgpr_count:     0
    .vgpr_spill_count: 0
    .wavefront_size: 64
  - .agpr_count:     0
    .args:
      - .offset:         0
        .size:           40
        .value_kind:     by_value
    .group_segment_fixed_size: 0
    .kernarg_segment_align: 8
    .kernarg_segment_size: 40
    .language:       OpenCL C
    .language_version:
      - 2
      - 0
    .max_flat_workgroup_size: 128
    .name:           _ZN7rocprim17ROCPRIM_400000_NS6detail17trampoline_kernelINS0_14default_configENS1_38merge_sort_block_merge_config_selectorIxNS0_10empty_typeEEEZZNS1_27merge_sort_block_merge_implIS3_N6thrust23THRUST_200600_302600_NS6detail15normal_iteratorINS9_10device_ptrIxEEEEPS5_jNS1_19radix_merge_compareILb0ELb0ExNS0_19identity_decomposerEEEEE10hipError_tT0_T1_T2_jT3_P12ihipStream_tbPNSt15iterator_traitsISK_E10value_typeEPNSQ_ISL_E10value_typeEPSM_NS1_7vsmem_tEENKUlT_SK_SL_SM_E_clIPxSE_SF_SF_EESJ_SZ_SK_SL_SM_EUlSZ_E_NS1_11comp_targetILNS1_3genE10ELNS1_11target_archE1201ELNS1_3gpuE5ELNS1_3repE0EEENS1_48merge_mergepath_partition_config_static_selectorELNS0_4arch9wavefront6targetE1EEEvSL_
    .private_segment_fixed_size: 0
    .sgpr_count:     6
    .sgpr_spill_count: 0
    .symbol:         _ZN7rocprim17ROCPRIM_400000_NS6detail17trampoline_kernelINS0_14default_configENS1_38merge_sort_block_merge_config_selectorIxNS0_10empty_typeEEEZZNS1_27merge_sort_block_merge_implIS3_N6thrust23THRUST_200600_302600_NS6detail15normal_iteratorINS9_10device_ptrIxEEEEPS5_jNS1_19radix_merge_compareILb0ELb0ExNS0_19identity_decomposerEEEEE10hipError_tT0_T1_T2_jT3_P12ihipStream_tbPNSt15iterator_traitsISK_E10value_typeEPNSQ_ISL_E10value_typeEPSM_NS1_7vsmem_tEENKUlT_SK_SL_SM_E_clIPxSE_SF_SF_EESJ_SZ_SK_SL_SM_EUlSZ_E_NS1_11comp_targetILNS1_3genE10ELNS1_11target_archE1201ELNS1_3gpuE5ELNS1_3repE0EEENS1_48merge_mergepath_partition_config_static_selectorELNS0_4arch9wavefront6targetE1EEEvSL_.kd
    .uniform_work_group_size: 1
    .uses_dynamic_stack: false
    .vgpr_count:     0
    .vgpr_spill_count: 0
    .wavefront_size: 64
  - .agpr_count:     0
    .args:
      - .offset:         0
        .size:           40
        .value_kind:     by_value
    .group_segment_fixed_size: 0
    .kernarg_segment_align: 8
    .kernarg_segment_size: 40
    .language:       OpenCL C
    .language_version:
      - 2
      - 0
    .max_flat_workgroup_size: 128
    .name:           _ZN7rocprim17ROCPRIM_400000_NS6detail17trampoline_kernelINS0_14default_configENS1_38merge_sort_block_merge_config_selectorIxNS0_10empty_typeEEEZZNS1_27merge_sort_block_merge_implIS3_N6thrust23THRUST_200600_302600_NS6detail15normal_iteratorINS9_10device_ptrIxEEEEPS5_jNS1_19radix_merge_compareILb0ELb0ExNS0_19identity_decomposerEEEEE10hipError_tT0_T1_T2_jT3_P12ihipStream_tbPNSt15iterator_traitsISK_E10value_typeEPNSQ_ISL_E10value_typeEPSM_NS1_7vsmem_tEENKUlT_SK_SL_SM_E_clIPxSE_SF_SF_EESJ_SZ_SK_SL_SM_EUlSZ_E_NS1_11comp_targetILNS1_3genE5ELNS1_11target_archE942ELNS1_3gpuE9ELNS1_3repE0EEENS1_48merge_mergepath_partition_config_static_selectorELNS0_4arch9wavefront6targetE1EEEvSL_
    .private_segment_fixed_size: 0
    .sgpr_count:     14
    .sgpr_spill_count: 0
    .symbol:         _ZN7rocprim17ROCPRIM_400000_NS6detail17trampoline_kernelINS0_14default_configENS1_38merge_sort_block_merge_config_selectorIxNS0_10empty_typeEEEZZNS1_27merge_sort_block_merge_implIS3_N6thrust23THRUST_200600_302600_NS6detail15normal_iteratorINS9_10device_ptrIxEEEEPS5_jNS1_19radix_merge_compareILb0ELb0ExNS0_19identity_decomposerEEEEE10hipError_tT0_T1_T2_jT3_P12ihipStream_tbPNSt15iterator_traitsISK_E10value_typeEPNSQ_ISL_E10value_typeEPSM_NS1_7vsmem_tEENKUlT_SK_SL_SM_E_clIPxSE_SF_SF_EESJ_SZ_SK_SL_SM_EUlSZ_E_NS1_11comp_targetILNS1_3genE5ELNS1_11target_archE942ELNS1_3gpuE9ELNS1_3repE0EEENS1_48merge_mergepath_partition_config_static_selectorELNS0_4arch9wavefront6targetE1EEEvSL_.kd
    .uniform_work_group_size: 1
    .uses_dynamic_stack: false
    .vgpr_count:     20
    .vgpr_spill_count: 0
    .wavefront_size: 64
  - .agpr_count:     0
    .args:
      - .offset:         0
        .size:           40
        .value_kind:     by_value
    .group_segment_fixed_size: 0
    .kernarg_segment_align: 8
    .kernarg_segment_size: 40
    .language:       OpenCL C
    .language_version:
      - 2
      - 0
    .max_flat_workgroup_size: 128
    .name:           _ZN7rocprim17ROCPRIM_400000_NS6detail17trampoline_kernelINS0_14default_configENS1_38merge_sort_block_merge_config_selectorIxNS0_10empty_typeEEEZZNS1_27merge_sort_block_merge_implIS3_N6thrust23THRUST_200600_302600_NS6detail15normal_iteratorINS9_10device_ptrIxEEEEPS5_jNS1_19radix_merge_compareILb0ELb0ExNS0_19identity_decomposerEEEEE10hipError_tT0_T1_T2_jT3_P12ihipStream_tbPNSt15iterator_traitsISK_E10value_typeEPNSQ_ISL_E10value_typeEPSM_NS1_7vsmem_tEENKUlT_SK_SL_SM_E_clIPxSE_SF_SF_EESJ_SZ_SK_SL_SM_EUlSZ_E_NS1_11comp_targetILNS1_3genE4ELNS1_11target_archE910ELNS1_3gpuE8ELNS1_3repE0EEENS1_48merge_mergepath_partition_config_static_selectorELNS0_4arch9wavefront6targetE1EEEvSL_
    .private_segment_fixed_size: 0
    .sgpr_count:     6
    .sgpr_spill_count: 0
    .symbol:         _ZN7rocprim17ROCPRIM_400000_NS6detail17trampoline_kernelINS0_14default_configENS1_38merge_sort_block_merge_config_selectorIxNS0_10empty_typeEEEZZNS1_27merge_sort_block_merge_implIS3_N6thrust23THRUST_200600_302600_NS6detail15normal_iteratorINS9_10device_ptrIxEEEEPS5_jNS1_19radix_merge_compareILb0ELb0ExNS0_19identity_decomposerEEEEE10hipError_tT0_T1_T2_jT3_P12ihipStream_tbPNSt15iterator_traitsISK_E10value_typeEPNSQ_ISL_E10value_typeEPSM_NS1_7vsmem_tEENKUlT_SK_SL_SM_E_clIPxSE_SF_SF_EESJ_SZ_SK_SL_SM_EUlSZ_E_NS1_11comp_targetILNS1_3genE4ELNS1_11target_archE910ELNS1_3gpuE8ELNS1_3repE0EEENS1_48merge_mergepath_partition_config_static_selectorELNS0_4arch9wavefront6targetE1EEEvSL_.kd
    .uniform_work_group_size: 1
    .uses_dynamic_stack: false
    .vgpr_count:     0
    .vgpr_spill_count: 0
    .wavefront_size: 64
  - .agpr_count:     0
    .args:
      - .offset:         0
        .size:           40
        .value_kind:     by_value
    .group_segment_fixed_size: 0
    .kernarg_segment_align: 8
    .kernarg_segment_size: 40
    .language:       OpenCL C
    .language_version:
      - 2
      - 0
    .max_flat_workgroup_size: 128
    .name:           _ZN7rocprim17ROCPRIM_400000_NS6detail17trampoline_kernelINS0_14default_configENS1_38merge_sort_block_merge_config_selectorIxNS0_10empty_typeEEEZZNS1_27merge_sort_block_merge_implIS3_N6thrust23THRUST_200600_302600_NS6detail15normal_iteratorINS9_10device_ptrIxEEEEPS5_jNS1_19radix_merge_compareILb0ELb0ExNS0_19identity_decomposerEEEEE10hipError_tT0_T1_T2_jT3_P12ihipStream_tbPNSt15iterator_traitsISK_E10value_typeEPNSQ_ISL_E10value_typeEPSM_NS1_7vsmem_tEENKUlT_SK_SL_SM_E_clIPxSE_SF_SF_EESJ_SZ_SK_SL_SM_EUlSZ_E_NS1_11comp_targetILNS1_3genE3ELNS1_11target_archE908ELNS1_3gpuE7ELNS1_3repE0EEENS1_48merge_mergepath_partition_config_static_selectorELNS0_4arch9wavefront6targetE1EEEvSL_
    .private_segment_fixed_size: 0
    .sgpr_count:     6
    .sgpr_spill_count: 0
    .symbol:         _ZN7rocprim17ROCPRIM_400000_NS6detail17trampoline_kernelINS0_14default_configENS1_38merge_sort_block_merge_config_selectorIxNS0_10empty_typeEEEZZNS1_27merge_sort_block_merge_implIS3_N6thrust23THRUST_200600_302600_NS6detail15normal_iteratorINS9_10device_ptrIxEEEEPS5_jNS1_19radix_merge_compareILb0ELb0ExNS0_19identity_decomposerEEEEE10hipError_tT0_T1_T2_jT3_P12ihipStream_tbPNSt15iterator_traitsISK_E10value_typeEPNSQ_ISL_E10value_typeEPSM_NS1_7vsmem_tEENKUlT_SK_SL_SM_E_clIPxSE_SF_SF_EESJ_SZ_SK_SL_SM_EUlSZ_E_NS1_11comp_targetILNS1_3genE3ELNS1_11target_archE908ELNS1_3gpuE7ELNS1_3repE0EEENS1_48merge_mergepath_partition_config_static_selectorELNS0_4arch9wavefront6targetE1EEEvSL_.kd
    .uniform_work_group_size: 1
    .uses_dynamic_stack: false
    .vgpr_count:     0
    .vgpr_spill_count: 0
    .wavefront_size: 64
  - .agpr_count:     0
    .args:
      - .offset:         0
        .size:           40
        .value_kind:     by_value
    .group_segment_fixed_size: 0
    .kernarg_segment_align: 8
    .kernarg_segment_size: 40
    .language:       OpenCL C
    .language_version:
      - 2
      - 0
    .max_flat_workgroup_size: 128
    .name:           _ZN7rocprim17ROCPRIM_400000_NS6detail17trampoline_kernelINS0_14default_configENS1_38merge_sort_block_merge_config_selectorIxNS0_10empty_typeEEEZZNS1_27merge_sort_block_merge_implIS3_N6thrust23THRUST_200600_302600_NS6detail15normal_iteratorINS9_10device_ptrIxEEEEPS5_jNS1_19radix_merge_compareILb0ELb0ExNS0_19identity_decomposerEEEEE10hipError_tT0_T1_T2_jT3_P12ihipStream_tbPNSt15iterator_traitsISK_E10value_typeEPNSQ_ISL_E10value_typeEPSM_NS1_7vsmem_tEENKUlT_SK_SL_SM_E_clIPxSE_SF_SF_EESJ_SZ_SK_SL_SM_EUlSZ_E_NS1_11comp_targetILNS1_3genE2ELNS1_11target_archE906ELNS1_3gpuE6ELNS1_3repE0EEENS1_48merge_mergepath_partition_config_static_selectorELNS0_4arch9wavefront6targetE1EEEvSL_
    .private_segment_fixed_size: 0
    .sgpr_count:     6
    .sgpr_spill_count: 0
    .symbol:         _ZN7rocprim17ROCPRIM_400000_NS6detail17trampoline_kernelINS0_14default_configENS1_38merge_sort_block_merge_config_selectorIxNS0_10empty_typeEEEZZNS1_27merge_sort_block_merge_implIS3_N6thrust23THRUST_200600_302600_NS6detail15normal_iteratorINS9_10device_ptrIxEEEEPS5_jNS1_19radix_merge_compareILb0ELb0ExNS0_19identity_decomposerEEEEE10hipError_tT0_T1_T2_jT3_P12ihipStream_tbPNSt15iterator_traitsISK_E10value_typeEPNSQ_ISL_E10value_typeEPSM_NS1_7vsmem_tEENKUlT_SK_SL_SM_E_clIPxSE_SF_SF_EESJ_SZ_SK_SL_SM_EUlSZ_E_NS1_11comp_targetILNS1_3genE2ELNS1_11target_archE906ELNS1_3gpuE6ELNS1_3repE0EEENS1_48merge_mergepath_partition_config_static_selectorELNS0_4arch9wavefront6targetE1EEEvSL_.kd
    .uniform_work_group_size: 1
    .uses_dynamic_stack: false
    .vgpr_count:     0
    .vgpr_spill_count: 0
    .wavefront_size: 64
  - .agpr_count:     0
    .args:
      - .offset:         0
        .size:           40
        .value_kind:     by_value
    .group_segment_fixed_size: 0
    .kernarg_segment_align: 8
    .kernarg_segment_size: 40
    .language:       OpenCL C
    .language_version:
      - 2
      - 0
    .max_flat_workgroup_size: 128
    .name:           _ZN7rocprim17ROCPRIM_400000_NS6detail17trampoline_kernelINS0_14default_configENS1_38merge_sort_block_merge_config_selectorIxNS0_10empty_typeEEEZZNS1_27merge_sort_block_merge_implIS3_N6thrust23THRUST_200600_302600_NS6detail15normal_iteratorINS9_10device_ptrIxEEEEPS5_jNS1_19radix_merge_compareILb0ELb0ExNS0_19identity_decomposerEEEEE10hipError_tT0_T1_T2_jT3_P12ihipStream_tbPNSt15iterator_traitsISK_E10value_typeEPNSQ_ISL_E10value_typeEPSM_NS1_7vsmem_tEENKUlT_SK_SL_SM_E_clIPxSE_SF_SF_EESJ_SZ_SK_SL_SM_EUlSZ_E_NS1_11comp_targetILNS1_3genE9ELNS1_11target_archE1100ELNS1_3gpuE3ELNS1_3repE0EEENS1_48merge_mergepath_partition_config_static_selectorELNS0_4arch9wavefront6targetE1EEEvSL_
    .private_segment_fixed_size: 0
    .sgpr_count:     6
    .sgpr_spill_count: 0
    .symbol:         _ZN7rocprim17ROCPRIM_400000_NS6detail17trampoline_kernelINS0_14default_configENS1_38merge_sort_block_merge_config_selectorIxNS0_10empty_typeEEEZZNS1_27merge_sort_block_merge_implIS3_N6thrust23THRUST_200600_302600_NS6detail15normal_iteratorINS9_10device_ptrIxEEEEPS5_jNS1_19radix_merge_compareILb0ELb0ExNS0_19identity_decomposerEEEEE10hipError_tT0_T1_T2_jT3_P12ihipStream_tbPNSt15iterator_traitsISK_E10value_typeEPNSQ_ISL_E10value_typeEPSM_NS1_7vsmem_tEENKUlT_SK_SL_SM_E_clIPxSE_SF_SF_EESJ_SZ_SK_SL_SM_EUlSZ_E_NS1_11comp_targetILNS1_3genE9ELNS1_11target_archE1100ELNS1_3gpuE3ELNS1_3repE0EEENS1_48merge_mergepath_partition_config_static_selectorELNS0_4arch9wavefront6targetE1EEEvSL_.kd
    .uniform_work_group_size: 1
    .uses_dynamic_stack: false
    .vgpr_count:     0
    .vgpr_spill_count: 0
    .wavefront_size: 64
  - .agpr_count:     0
    .args:
      - .offset:         0
        .size:           40
        .value_kind:     by_value
    .group_segment_fixed_size: 0
    .kernarg_segment_align: 8
    .kernarg_segment_size: 40
    .language:       OpenCL C
    .language_version:
      - 2
      - 0
    .max_flat_workgroup_size: 128
    .name:           _ZN7rocprim17ROCPRIM_400000_NS6detail17trampoline_kernelINS0_14default_configENS1_38merge_sort_block_merge_config_selectorIxNS0_10empty_typeEEEZZNS1_27merge_sort_block_merge_implIS3_N6thrust23THRUST_200600_302600_NS6detail15normal_iteratorINS9_10device_ptrIxEEEEPS5_jNS1_19radix_merge_compareILb0ELb0ExNS0_19identity_decomposerEEEEE10hipError_tT0_T1_T2_jT3_P12ihipStream_tbPNSt15iterator_traitsISK_E10value_typeEPNSQ_ISL_E10value_typeEPSM_NS1_7vsmem_tEENKUlT_SK_SL_SM_E_clIPxSE_SF_SF_EESJ_SZ_SK_SL_SM_EUlSZ_E_NS1_11comp_targetILNS1_3genE8ELNS1_11target_archE1030ELNS1_3gpuE2ELNS1_3repE0EEENS1_48merge_mergepath_partition_config_static_selectorELNS0_4arch9wavefront6targetE1EEEvSL_
    .private_segment_fixed_size: 0
    .sgpr_count:     6
    .sgpr_spill_count: 0
    .symbol:         _ZN7rocprim17ROCPRIM_400000_NS6detail17trampoline_kernelINS0_14default_configENS1_38merge_sort_block_merge_config_selectorIxNS0_10empty_typeEEEZZNS1_27merge_sort_block_merge_implIS3_N6thrust23THRUST_200600_302600_NS6detail15normal_iteratorINS9_10device_ptrIxEEEEPS5_jNS1_19radix_merge_compareILb0ELb0ExNS0_19identity_decomposerEEEEE10hipError_tT0_T1_T2_jT3_P12ihipStream_tbPNSt15iterator_traitsISK_E10value_typeEPNSQ_ISL_E10value_typeEPSM_NS1_7vsmem_tEENKUlT_SK_SL_SM_E_clIPxSE_SF_SF_EESJ_SZ_SK_SL_SM_EUlSZ_E_NS1_11comp_targetILNS1_3genE8ELNS1_11target_archE1030ELNS1_3gpuE2ELNS1_3repE0EEENS1_48merge_mergepath_partition_config_static_selectorELNS0_4arch9wavefront6targetE1EEEvSL_.kd
    .uniform_work_group_size: 1
    .uses_dynamic_stack: false
    .vgpr_count:     0
    .vgpr_spill_count: 0
    .wavefront_size: 64
  - .agpr_count:     0
    .args:
      - .offset:         0
        .size:           64
        .value_kind:     by_value
    .group_segment_fixed_size: 0
    .kernarg_segment_align: 8
    .kernarg_segment_size: 64
    .language:       OpenCL C
    .language_version:
      - 2
      - 0
    .max_flat_workgroup_size: 128
    .name:           _ZN7rocprim17ROCPRIM_400000_NS6detail17trampoline_kernelINS0_14default_configENS1_38merge_sort_block_merge_config_selectorIxNS0_10empty_typeEEEZZNS1_27merge_sort_block_merge_implIS3_N6thrust23THRUST_200600_302600_NS6detail15normal_iteratorINS9_10device_ptrIxEEEEPS5_jNS1_19radix_merge_compareILb0ELb0ExNS0_19identity_decomposerEEEEE10hipError_tT0_T1_T2_jT3_P12ihipStream_tbPNSt15iterator_traitsISK_E10value_typeEPNSQ_ISL_E10value_typeEPSM_NS1_7vsmem_tEENKUlT_SK_SL_SM_E_clIPxSE_SF_SF_EESJ_SZ_SK_SL_SM_EUlSZ_E0_NS1_11comp_targetILNS1_3genE0ELNS1_11target_archE4294967295ELNS1_3gpuE0ELNS1_3repE0EEENS1_38merge_mergepath_config_static_selectorELNS0_4arch9wavefront6targetE1EEEvSL_
    .private_segment_fixed_size: 0
    .sgpr_count:     6
    .sgpr_spill_count: 0
    .symbol:         _ZN7rocprim17ROCPRIM_400000_NS6detail17trampoline_kernelINS0_14default_configENS1_38merge_sort_block_merge_config_selectorIxNS0_10empty_typeEEEZZNS1_27merge_sort_block_merge_implIS3_N6thrust23THRUST_200600_302600_NS6detail15normal_iteratorINS9_10device_ptrIxEEEEPS5_jNS1_19radix_merge_compareILb0ELb0ExNS0_19identity_decomposerEEEEE10hipError_tT0_T1_T2_jT3_P12ihipStream_tbPNSt15iterator_traitsISK_E10value_typeEPNSQ_ISL_E10value_typeEPSM_NS1_7vsmem_tEENKUlT_SK_SL_SM_E_clIPxSE_SF_SF_EESJ_SZ_SK_SL_SM_EUlSZ_E0_NS1_11comp_targetILNS1_3genE0ELNS1_11target_archE4294967295ELNS1_3gpuE0ELNS1_3repE0EEENS1_38merge_mergepath_config_static_selectorELNS0_4arch9wavefront6targetE1EEEvSL_.kd
    .uniform_work_group_size: 1
    .uses_dynamic_stack: false
    .vgpr_count:     0
    .vgpr_spill_count: 0
    .wavefront_size: 64
  - .agpr_count:     0
    .args:
      - .offset:         0
        .size:           64
        .value_kind:     by_value
    .group_segment_fixed_size: 0
    .kernarg_segment_align: 8
    .kernarg_segment_size: 64
    .language:       OpenCL C
    .language_version:
      - 2
      - 0
    .max_flat_workgroup_size: 512
    .name:           _ZN7rocprim17ROCPRIM_400000_NS6detail17trampoline_kernelINS0_14default_configENS1_38merge_sort_block_merge_config_selectorIxNS0_10empty_typeEEEZZNS1_27merge_sort_block_merge_implIS3_N6thrust23THRUST_200600_302600_NS6detail15normal_iteratorINS9_10device_ptrIxEEEEPS5_jNS1_19radix_merge_compareILb0ELb0ExNS0_19identity_decomposerEEEEE10hipError_tT0_T1_T2_jT3_P12ihipStream_tbPNSt15iterator_traitsISK_E10value_typeEPNSQ_ISL_E10value_typeEPSM_NS1_7vsmem_tEENKUlT_SK_SL_SM_E_clIPxSE_SF_SF_EESJ_SZ_SK_SL_SM_EUlSZ_E0_NS1_11comp_targetILNS1_3genE10ELNS1_11target_archE1201ELNS1_3gpuE5ELNS1_3repE0EEENS1_38merge_mergepath_config_static_selectorELNS0_4arch9wavefront6targetE1EEEvSL_
    .private_segment_fixed_size: 0
    .sgpr_count:     6
    .sgpr_spill_count: 0
    .symbol:         _ZN7rocprim17ROCPRIM_400000_NS6detail17trampoline_kernelINS0_14default_configENS1_38merge_sort_block_merge_config_selectorIxNS0_10empty_typeEEEZZNS1_27merge_sort_block_merge_implIS3_N6thrust23THRUST_200600_302600_NS6detail15normal_iteratorINS9_10device_ptrIxEEEEPS5_jNS1_19radix_merge_compareILb0ELb0ExNS0_19identity_decomposerEEEEE10hipError_tT0_T1_T2_jT3_P12ihipStream_tbPNSt15iterator_traitsISK_E10value_typeEPNSQ_ISL_E10value_typeEPSM_NS1_7vsmem_tEENKUlT_SK_SL_SM_E_clIPxSE_SF_SF_EESJ_SZ_SK_SL_SM_EUlSZ_E0_NS1_11comp_targetILNS1_3genE10ELNS1_11target_archE1201ELNS1_3gpuE5ELNS1_3repE0EEENS1_38merge_mergepath_config_static_selectorELNS0_4arch9wavefront6targetE1EEEvSL_.kd
    .uniform_work_group_size: 1
    .uses_dynamic_stack: false
    .vgpr_count:     0
    .vgpr_spill_count: 0
    .wavefront_size: 64
  - .agpr_count:     0
    .args:
      - .offset:         0
        .size:           64
        .value_kind:     by_value
      - .offset:         64
        .size:           4
        .value_kind:     hidden_block_count_x
      - .offset:         68
        .size:           4
        .value_kind:     hidden_block_count_y
      - .offset:         72
        .size:           4
        .value_kind:     hidden_block_count_z
      - .offset:         76
        .size:           2
        .value_kind:     hidden_group_size_x
      - .offset:         78
        .size:           2
        .value_kind:     hidden_group_size_y
      - .offset:         80
        .size:           2
        .value_kind:     hidden_group_size_z
      - .offset:         82
        .size:           2
        .value_kind:     hidden_remainder_x
      - .offset:         84
        .size:           2
        .value_kind:     hidden_remainder_y
      - .offset:         86
        .size:           2
        .value_kind:     hidden_remainder_z
      - .offset:         104
        .size:           8
        .value_kind:     hidden_global_offset_x
      - .offset:         112
        .size:           8
        .value_kind:     hidden_global_offset_y
      - .offset:         120
        .size:           8
        .value_kind:     hidden_global_offset_z
      - .offset:         128
        .size:           2
        .value_kind:     hidden_grid_dims
    .group_segment_fixed_size: 8448
    .kernarg_segment_align: 8
    .kernarg_segment_size: 320
    .language:       OpenCL C
    .language_version:
      - 2
      - 0
    .max_flat_workgroup_size: 128
    .name:           _ZN7rocprim17ROCPRIM_400000_NS6detail17trampoline_kernelINS0_14default_configENS1_38merge_sort_block_merge_config_selectorIxNS0_10empty_typeEEEZZNS1_27merge_sort_block_merge_implIS3_N6thrust23THRUST_200600_302600_NS6detail15normal_iteratorINS9_10device_ptrIxEEEEPS5_jNS1_19radix_merge_compareILb0ELb0ExNS0_19identity_decomposerEEEEE10hipError_tT0_T1_T2_jT3_P12ihipStream_tbPNSt15iterator_traitsISK_E10value_typeEPNSQ_ISL_E10value_typeEPSM_NS1_7vsmem_tEENKUlT_SK_SL_SM_E_clIPxSE_SF_SF_EESJ_SZ_SK_SL_SM_EUlSZ_E0_NS1_11comp_targetILNS1_3genE5ELNS1_11target_archE942ELNS1_3gpuE9ELNS1_3repE0EEENS1_38merge_mergepath_config_static_selectorELNS0_4arch9wavefront6targetE1EEEvSL_
    .private_segment_fixed_size: 0
    .sgpr_count:     29
    .sgpr_spill_count: 0
    .symbol:         _ZN7rocprim17ROCPRIM_400000_NS6detail17trampoline_kernelINS0_14default_configENS1_38merge_sort_block_merge_config_selectorIxNS0_10empty_typeEEEZZNS1_27merge_sort_block_merge_implIS3_N6thrust23THRUST_200600_302600_NS6detail15normal_iteratorINS9_10device_ptrIxEEEEPS5_jNS1_19radix_merge_compareILb0ELb0ExNS0_19identity_decomposerEEEEE10hipError_tT0_T1_T2_jT3_P12ihipStream_tbPNSt15iterator_traitsISK_E10value_typeEPNSQ_ISL_E10value_typeEPSM_NS1_7vsmem_tEENKUlT_SK_SL_SM_E_clIPxSE_SF_SF_EESJ_SZ_SK_SL_SM_EUlSZ_E0_NS1_11comp_targetILNS1_3genE5ELNS1_11target_archE942ELNS1_3gpuE9ELNS1_3repE0EEENS1_38merge_mergepath_config_static_selectorELNS0_4arch9wavefront6targetE1EEEvSL_.kd
    .uniform_work_group_size: 1
    .uses_dynamic_stack: false
    .vgpr_count:     34
    .vgpr_spill_count: 0
    .wavefront_size: 64
  - .agpr_count:     0
    .args:
      - .offset:         0
        .size:           64
        .value_kind:     by_value
    .group_segment_fixed_size: 0
    .kernarg_segment_align: 8
    .kernarg_segment_size: 64
    .language:       OpenCL C
    .language_version:
      - 2
      - 0
    .max_flat_workgroup_size: 256
    .name:           _ZN7rocprim17ROCPRIM_400000_NS6detail17trampoline_kernelINS0_14default_configENS1_38merge_sort_block_merge_config_selectorIxNS0_10empty_typeEEEZZNS1_27merge_sort_block_merge_implIS3_N6thrust23THRUST_200600_302600_NS6detail15normal_iteratorINS9_10device_ptrIxEEEEPS5_jNS1_19radix_merge_compareILb0ELb0ExNS0_19identity_decomposerEEEEE10hipError_tT0_T1_T2_jT3_P12ihipStream_tbPNSt15iterator_traitsISK_E10value_typeEPNSQ_ISL_E10value_typeEPSM_NS1_7vsmem_tEENKUlT_SK_SL_SM_E_clIPxSE_SF_SF_EESJ_SZ_SK_SL_SM_EUlSZ_E0_NS1_11comp_targetILNS1_3genE4ELNS1_11target_archE910ELNS1_3gpuE8ELNS1_3repE0EEENS1_38merge_mergepath_config_static_selectorELNS0_4arch9wavefront6targetE1EEEvSL_
    .private_segment_fixed_size: 0
    .sgpr_count:     6
    .sgpr_spill_count: 0
    .symbol:         _ZN7rocprim17ROCPRIM_400000_NS6detail17trampoline_kernelINS0_14default_configENS1_38merge_sort_block_merge_config_selectorIxNS0_10empty_typeEEEZZNS1_27merge_sort_block_merge_implIS3_N6thrust23THRUST_200600_302600_NS6detail15normal_iteratorINS9_10device_ptrIxEEEEPS5_jNS1_19radix_merge_compareILb0ELb0ExNS0_19identity_decomposerEEEEE10hipError_tT0_T1_T2_jT3_P12ihipStream_tbPNSt15iterator_traitsISK_E10value_typeEPNSQ_ISL_E10value_typeEPSM_NS1_7vsmem_tEENKUlT_SK_SL_SM_E_clIPxSE_SF_SF_EESJ_SZ_SK_SL_SM_EUlSZ_E0_NS1_11comp_targetILNS1_3genE4ELNS1_11target_archE910ELNS1_3gpuE8ELNS1_3repE0EEENS1_38merge_mergepath_config_static_selectorELNS0_4arch9wavefront6targetE1EEEvSL_.kd
    .uniform_work_group_size: 1
    .uses_dynamic_stack: false
    .vgpr_count:     0
    .vgpr_spill_count: 0
    .wavefront_size: 64
  - .agpr_count:     0
    .args:
      - .offset:         0
        .size:           64
        .value_kind:     by_value
    .group_segment_fixed_size: 0
    .kernarg_segment_align: 8
    .kernarg_segment_size: 64
    .language:       OpenCL C
    .language_version:
      - 2
      - 0
    .max_flat_workgroup_size: 128
    .name:           _ZN7rocprim17ROCPRIM_400000_NS6detail17trampoline_kernelINS0_14default_configENS1_38merge_sort_block_merge_config_selectorIxNS0_10empty_typeEEEZZNS1_27merge_sort_block_merge_implIS3_N6thrust23THRUST_200600_302600_NS6detail15normal_iteratorINS9_10device_ptrIxEEEEPS5_jNS1_19radix_merge_compareILb0ELb0ExNS0_19identity_decomposerEEEEE10hipError_tT0_T1_T2_jT3_P12ihipStream_tbPNSt15iterator_traitsISK_E10value_typeEPNSQ_ISL_E10value_typeEPSM_NS1_7vsmem_tEENKUlT_SK_SL_SM_E_clIPxSE_SF_SF_EESJ_SZ_SK_SL_SM_EUlSZ_E0_NS1_11comp_targetILNS1_3genE3ELNS1_11target_archE908ELNS1_3gpuE7ELNS1_3repE0EEENS1_38merge_mergepath_config_static_selectorELNS0_4arch9wavefront6targetE1EEEvSL_
    .private_segment_fixed_size: 0
    .sgpr_count:     6
    .sgpr_spill_count: 0
    .symbol:         _ZN7rocprim17ROCPRIM_400000_NS6detail17trampoline_kernelINS0_14default_configENS1_38merge_sort_block_merge_config_selectorIxNS0_10empty_typeEEEZZNS1_27merge_sort_block_merge_implIS3_N6thrust23THRUST_200600_302600_NS6detail15normal_iteratorINS9_10device_ptrIxEEEEPS5_jNS1_19radix_merge_compareILb0ELb0ExNS0_19identity_decomposerEEEEE10hipError_tT0_T1_T2_jT3_P12ihipStream_tbPNSt15iterator_traitsISK_E10value_typeEPNSQ_ISL_E10value_typeEPSM_NS1_7vsmem_tEENKUlT_SK_SL_SM_E_clIPxSE_SF_SF_EESJ_SZ_SK_SL_SM_EUlSZ_E0_NS1_11comp_targetILNS1_3genE3ELNS1_11target_archE908ELNS1_3gpuE7ELNS1_3repE0EEENS1_38merge_mergepath_config_static_selectorELNS0_4arch9wavefront6targetE1EEEvSL_.kd
    .uniform_work_group_size: 1
    .uses_dynamic_stack: false
    .vgpr_count:     0
    .vgpr_spill_count: 0
    .wavefront_size: 64
  - .agpr_count:     0
    .args:
      - .offset:         0
        .size:           64
        .value_kind:     by_value
    .group_segment_fixed_size: 0
    .kernarg_segment_align: 8
    .kernarg_segment_size: 64
    .language:       OpenCL C
    .language_version:
      - 2
      - 0
    .max_flat_workgroup_size: 256
    .name:           _ZN7rocprim17ROCPRIM_400000_NS6detail17trampoline_kernelINS0_14default_configENS1_38merge_sort_block_merge_config_selectorIxNS0_10empty_typeEEEZZNS1_27merge_sort_block_merge_implIS3_N6thrust23THRUST_200600_302600_NS6detail15normal_iteratorINS9_10device_ptrIxEEEEPS5_jNS1_19radix_merge_compareILb0ELb0ExNS0_19identity_decomposerEEEEE10hipError_tT0_T1_T2_jT3_P12ihipStream_tbPNSt15iterator_traitsISK_E10value_typeEPNSQ_ISL_E10value_typeEPSM_NS1_7vsmem_tEENKUlT_SK_SL_SM_E_clIPxSE_SF_SF_EESJ_SZ_SK_SL_SM_EUlSZ_E0_NS1_11comp_targetILNS1_3genE2ELNS1_11target_archE906ELNS1_3gpuE6ELNS1_3repE0EEENS1_38merge_mergepath_config_static_selectorELNS0_4arch9wavefront6targetE1EEEvSL_
    .private_segment_fixed_size: 0
    .sgpr_count:     6
    .sgpr_spill_count: 0
    .symbol:         _ZN7rocprim17ROCPRIM_400000_NS6detail17trampoline_kernelINS0_14default_configENS1_38merge_sort_block_merge_config_selectorIxNS0_10empty_typeEEEZZNS1_27merge_sort_block_merge_implIS3_N6thrust23THRUST_200600_302600_NS6detail15normal_iteratorINS9_10device_ptrIxEEEEPS5_jNS1_19radix_merge_compareILb0ELb0ExNS0_19identity_decomposerEEEEE10hipError_tT0_T1_T2_jT3_P12ihipStream_tbPNSt15iterator_traitsISK_E10value_typeEPNSQ_ISL_E10value_typeEPSM_NS1_7vsmem_tEENKUlT_SK_SL_SM_E_clIPxSE_SF_SF_EESJ_SZ_SK_SL_SM_EUlSZ_E0_NS1_11comp_targetILNS1_3genE2ELNS1_11target_archE906ELNS1_3gpuE6ELNS1_3repE0EEENS1_38merge_mergepath_config_static_selectorELNS0_4arch9wavefront6targetE1EEEvSL_.kd
    .uniform_work_group_size: 1
    .uses_dynamic_stack: false
    .vgpr_count:     0
    .vgpr_spill_count: 0
    .wavefront_size: 64
  - .agpr_count:     0
    .args:
      - .offset:         0
        .size:           64
        .value_kind:     by_value
    .group_segment_fixed_size: 0
    .kernarg_segment_align: 8
    .kernarg_segment_size: 64
    .language:       OpenCL C
    .language_version:
      - 2
      - 0
    .max_flat_workgroup_size: 512
    .name:           _ZN7rocprim17ROCPRIM_400000_NS6detail17trampoline_kernelINS0_14default_configENS1_38merge_sort_block_merge_config_selectorIxNS0_10empty_typeEEEZZNS1_27merge_sort_block_merge_implIS3_N6thrust23THRUST_200600_302600_NS6detail15normal_iteratorINS9_10device_ptrIxEEEEPS5_jNS1_19radix_merge_compareILb0ELb0ExNS0_19identity_decomposerEEEEE10hipError_tT0_T1_T2_jT3_P12ihipStream_tbPNSt15iterator_traitsISK_E10value_typeEPNSQ_ISL_E10value_typeEPSM_NS1_7vsmem_tEENKUlT_SK_SL_SM_E_clIPxSE_SF_SF_EESJ_SZ_SK_SL_SM_EUlSZ_E0_NS1_11comp_targetILNS1_3genE9ELNS1_11target_archE1100ELNS1_3gpuE3ELNS1_3repE0EEENS1_38merge_mergepath_config_static_selectorELNS0_4arch9wavefront6targetE1EEEvSL_
    .private_segment_fixed_size: 0
    .sgpr_count:     6
    .sgpr_spill_count: 0
    .symbol:         _ZN7rocprim17ROCPRIM_400000_NS6detail17trampoline_kernelINS0_14default_configENS1_38merge_sort_block_merge_config_selectorIxNS0_10empty_typeEEEZZNS1_27merge_sort_block_merge_implIS3_N6thrust23THRUST_200600_302600_NS6detail15normal_iteratorINS9_10device_ptrIxEEEEPS5_jNS1_19radix_merge_compareILb0ELb0ExNS0_19identity_decomposerEEEEE10hipError_tT0_T1_T2_jT3_P12ihipStream_tbPNSt15iterator_traitsISK_E10value_typeEPNSQ_ISL_E10value_typeEPSM_NS1_7vsmem_tEENKUlT_SK_SL_SM_E_clIPxSE_SF_SF_EESJ_SZ_SK_SL_SM_EUlSZ_E0_NS1_11comp_targetILNS1_3genE9ELNS1_11target_archE1100ELNS1_3gpuE3ELNS1_3repE0EEENS1_38merge_mergepath_config_static_selectorELNS0_4arch9wavefront6targetE1EEEvSL_.kd
    .uniform_work_group_size: 1
    .uses_dynamic_stack: false
    .vgpr_count:     0
    .vgpr_spill_count: 0
    .wavefront_size: 64
  - .agpr_count:     0
    .args:
      - .offset:         0
        .size:           64
        .value_kind:     by_value
    .group_segment_fixed_size: 0
    .kernarg_segment_align: 8
    .kernarg_segment_size: 64
    .language:       OpenCL C
    .language_version:
      - 2
      - 0
    .max_flat_workgroup_size: 1024
    .name:           _ZN7rocprim17ROCPRIM_400000_NS6detail17trampoline_kernelINS0_14default_configENS1_38merge_sort_block_merge_config_selectorIxNS0_10empty_typeEEEZZNS1_27merge_sort_block_merge_implIS3_N6thrust23THRUST_200600_302600_NS6detail15normal_iteratorINS9_10device_ptrIxEEEEPS5_jNS1_19radix_merge_compareILb0ELb0ExNS0_19identity_decomposerEEEEE10hipError_tT0_T1_T2_jT3_P12ihipStream_tbPNSt15iterator_traitsISK_E10value_typeEPNSQ_ISL_E10value_typeEPSM_NS1_7vsmem_tEENKUlT_SK_SL_SM_E_clIPxSE_SF_SF_EESJ_SZ_SK_SL_SM_EUlSZ_E0_NS1_11comp_targetILNS1_3genE8ELNS1_11target_archE1030ELNS1_3gpuE2ELNS1_3repE0EEENS1_38merge_mergepath_config_static_selectorELNS0_4arch9wavefront6targetE1EEEvSL_
    .private_segment_fixed_size: 0
    .sgpr_count:     6
    .sgpr_spill_count: 0
    .symbol:         _ZN7rocprim17ROCPRIM_400000_NS6detail17trampoline_kernelINS0_14default_configENS1_38merge_sort_block_merge_config_selectorIxNS0_10empty_typeEEEZZNS1_27merge_sort_block_merge_implIS3_N6thrust23THRUST_200600_302600_NS6detail15normal_iteratorINS9_10device_ptrIxEEEEPS5_jNS1_19radix_merge_compareILb0ELb0ExNS0_19identity_decomposerEEEEE10hipError_tT0_T1_T2_jT3_P12ihipStream_tbPNSt15iterator_traitsISK_E10value_typeEPNSQ_ISL_E10value_typeEPSM_NS1_7vsmem_tEENKUlT_SK_SL_SM_E_clIPxSE_SF_SF_EESJ_SZ_SK_SL_SM_EUlSZ_E0_NS1_11comp_targetILNS1_3genE8ELNS1_11target_archE1030ELNS1_3gpuE2ELNS1_3repE0EEENS1_38merge_mergepath_config_static_selectorELNS0_4arch9wavefront6targetE1EEEvSL_.kd
    .uniform_work_group_size: 1
    .uses_dynamic_stack: false
    .vgpr_count:     0
    .vgpr_spill_count: 0
    .wavefront_size: 64
  - .agpr_count:     0
    .args:
      - .offset:         0
        .size:           48
        .value_kind:     by_value
    .group_segment_fixed_size: 0
    .kernarg_segment_align: 8
    .kernarg_segment_size: 48
    .language:       OpenCL C
    .language_version:
      - 2
      - 0
    .max_flat_workgroup_size: 256
    .name:           _ZN7rocprim17ROCPRIM_400000_NS6detail17trampoline_kernelINS0_14default_configENS1_38merge_sort_block_merge_config_selectorIxNS0_10empty_typeEEEZZNS1_27merge_sort_block_merge_implIS3_N6thrust23THRUST_200600_302600_NS6detail15normal_iteratorINS9_10device_ptrIxEEEEPS5_jNS1_19radix_merge_compareILb0ELb0ExNS0_19identity_decomposerEEEEE10hipError_tT0_T1_T2_jT3_P12ihipStream_tbPNSt15iterator_traitsISK_E10value_typeEPNSQ_ISL_E10value_typeEPSM_NS1_7vsmem_tEENKUlT_SK_SL_SM_E_clIPxSE_SF_SF_EESJ_SZ_SK_SL_SM_EUlSZ_E1_NS1_11comp_targetILNS1_3genE0ELNS1_11target_archE4294967295ELNS1_3gpuE0ELNS1_3repE0EEENS1_36merge_oddeven_config_static_selectorELNS0_4arch9wavefront6targetE1EEEvSL_
    .private_segment_fixed_size: 0
    .sgpr_count:     6
    .sgpr_spill_count: 0
    .symbol:         _ZN7rocprim17ROCPRIM_400000_NS6detail17trampoline_kernelINS0_14default_configENS1_38merge_sort_block_merge_config_selectorIxNS0_10empty_typeEEEZZNS1_27merge_sort_block_merge_implIS3_N6thrust23THRUST_200600_302600_NS6detail15normal_iteratorINS9_10device_ptrIxEEEEPS5_jNS1_19radix_merge_compareILb0ELb0ExNS0_19identity_decomposerEEEEE10hipError_tT0_T1_T2_jT3_P12ihipStream_tbPNSt15iterator_traitsISK_E10value_typeEPNSQ_ISL_E10value_typeEPSM_NS1_7vsmem_tEENKUlT_SK_SL_SM_E_clIPxSE_SF_SF_EESJ_SZ_SK_SL_SM_EUlSZ_E1_NS1_11comp_targetILNS1_3genE0ELNS1_11target_archE4294967295ELNS1_3gpuE0ELNS1_3repE0EEENS1_36merge_oddeven_config_static_selectorELNS0_4arch9wavefront6targetE1EEEvSL_.kd
    .uniform_work_group_size: 1
    .uses_dynamic_stack: false
    .vgpr_count:     0
    .vgpr_spill_count: 0
    .wavefront_size: 64
  - .agpr_count:     0
    .args:
      - .offset:         0
        .size:           48
        .value_kind:     by_value
    .group_segment_fixed_size: 0
    .kernarg_segment_align: 8
    .kernarg_segment_size: 48
    .language:       OpenCL C
    .language_version:
      - 2
      - 0
    .max_flat_workgroup_size: 256
    .name:           _ZN7rocprim17ROCPRIM_400000_NS6detail17trampoline_kernelINS0_14default_configENS1_38merge_sort_block_merge_config_selectorIxNS0_10empty_typeEEEZZNS1_27merge_sort_block_merge_implIS3_N6thrust23THRUST_200600_302600_NS6detail15normal_iteratorINS9_10device_ptrIxEEEEPS5_jNS1_19radix_merge_compareILb0ELb0ExNS0_19identity_decomposerEEEEE10hipError_tT0_T1_T2_jT3_P12ihipStream_tbPNSt15iterator_traitsISK_E10value_typeEPNSQ_ISL_E10value_typeEPSM_NS1_7vsmem_tEENKUlT_SK_SL_SM_E_clIPxSE_SF_SF_EESJ_SZ_SK_SL_SM_EUlSZ_E1_NS1_11comp_targetILNS1_3genE10ELNS1_11target_archE1201ELNS1_3gpuE5ELNS1_3repE0EEENS1_36merge_oddeven_config_static_selectorELNS0_4arch9wavefront6targetE1EEEvSL_
    .private_segment_fixed_size: 0
    .sgpr_count:     6
    .sgpr_spill_count: 0
    .symbol:         _ZN7rocprim17ROCPRIM_400000_NS6detail17trampoline_kernelINS0_14default_configENS1_38merge_sort_block_merge_config_selectorIxNS0_10empty_typeEEEZZNS1_27merge_sort_block_merge_implIS3_N6thrust23THRUST_200600_302600_NS6detail15normal_iteratorINS9_10device_ptrIxEEEEPS5_jNS1_19radix_merge_compareILb0ELb0ExNS0_19identity_decomposerEEEEE10hipError_tT0_T1_T2_jT3_P12ihipStream_tbPNSt15iterator_traitsISK_E10value_typeEPNSQ_ISL_E10value_typeEPSM_NS1_7vsmem_tEENKUlT_SK_SL_SM_E_clIPxSE_SF_SF_EESJ_SZ_SK_SL_SM_EUlSZ_E1_NS1_11comp_targetILNS1_3genE10ELNS1_11target_archE1201ELNS1_3gpuE5ELNS1_3repE0EEENS1_36merge_oddeven_config_static_selectorELNS0_4arch9wavefront6targetE1EEEvSL_.kd
    .uniform_work_group_size: 1
    .uses_dynamic_stack: false
    .vgpr_count:     0
    .vgpr_spill_count: 0
    .wavefront_size: 64
  - .agpr_count:     0
    .args:
      - .offset:         0
        .size:           48
        .value_kind:     by_value
    .group_segment_fixed_size: 0
    .kernarg_segment_align: 8
    .kernarg_segment_size: 48
    .language:       OpenCL C
    .language_version:
      - 2
      - 0
    .max_flat_workgroup_size: 256
    .name:           _ZN7rocprim17ROCPRIM_400000_NS6detail17trampoline_kernelINS0_14default_configENS1_38merge_sort_block_merge_config_selectorIxNS0_10empty_typeEEEZZNS1_27merge_sort_block_merge_implIS3_N6thrust23THRUST_200600_302600_NS6detail15normal_iteratorINS9_10device_ptrIxEEEEPS5_jNS1_19radix_merge_compareILb0ELb0ExNS0_19identity_decomposerEEEEE10hipError_tT0_T1_T2_jT3_P12ihipStream_tbPNSt15iterator_traitsISK_E10value_typeEPNSQ_ISL_E10value_typeEPSM_NS1_7vsmem_tEENKUlT_SK_SL_SM_E_clIPxSE_SF_SF_EESJ_SZ_SK_SL_SM_EUlSZ_E1_NS1_11comp_targetILNS1_3genE5ELNS1_11target_archE942ELNS1_3gpuE9ELNS1_3repE0EEENS1_36merge_oddeven_config_static_selectorELNS0_4arch9wavefront6targetE1EEEvSL_
    .private_segment_fixed_size: 0
    .sgpr_count:     25
    .sgpr_spill_count: 0
    .symbol:         _ZN7rocprim17ROCPRIM_400000_NS6detail17trampoline_kernelINS0_14default_configENS1_38merge_sort_block_merge_config_selectorIxNS0_10empty_typeEEEZZNS1_27merge_sort_block_merge_implIS3_N6thrust23THRUST_200600_302600_NS6detail15normal_iteratorINS9_10device_ptrIxEEEEPS5_jNS1_19radix_merge_compareILb0ELb0ExNS0_19identity_decomposerEEEEE10hipError_tT0_T1_T2_jT3_P12ihipStream_tbPNSt15iterator_traitsISK_E10value_typeEPNSQ_ISL_E10value_typeEPSM_NS1_7vsmem_tEENKUlT_SK_SL_SM_E_clIPxSE_SF_SF_EESJ_SZ_SK_SL_SM_EUlSZ_E1_NS1_11comp_targetILNS1_3genE5ELNS1_11target_archE942ELNS1_3gpuE9ELNS1_3repE0EEENS1_36merge_oddeven_config_static_selectorELNS0_4arch9wavefront6targetE1EEEvSL_.kd
    .uniform_work_group_size: 1
    .uses_dynamic_stack: false
    .vgpr_count:     11
    .vgpr_spill_count: 0
    .wavefront_size: 64
  - .agpr_count:     0
    .args:
      - .offset:         0
        .size:           48
        .value_kind:     by_value
    .group_segment_fixed_size: 0
    .kernarg_segment_align: 8
    .kernarg_segment_size: 48
    .language:       OpenCL C
    .language_version:
      - 2
      - 0
    .max_flat_workgroup_size: 256
    .name:           _ZN7rocprim17ROCPRIM_400000_NS6detail17trampoline_kernelINS0_14default_configENS1_38merge_sort_block_merge_config_selectorIxNS0_10empty_typeEEEZZNS1_27merge_sort_block_merge_implIS3_N6thrust23THRUST_200600_302600_NS6detail15normal_iteratorINS9_10device_ptrIxEEEEPS5_jNS1_19radix_merge_compareILb0ELb0ExNS0_19identity_decomposerEEEEE10hipError_tT0_T1_T2_jT3_P12ihipStream_tbPNSt15iterator_traitsISK_E10value_typeEPNSQ_ISL_E10value_typeEPSM_NS1_7vsmem_tEENKUlT_SK_SL_SM_E_clIPxSE_SF_SF_EESJ_SZ_SK_SL_SM_EUlSZ_E1_NS1_11comp_targetILNS1_3genE4ELNS1_11target_archE910ELNS1_3gpuE8ELNS1_3repE0EEENS1_36merge_oddeven_config_static_selectorELNS0_4arch9wavefront6targetE1EEEvSL_
    .private_segment_fixed_size: 0
    .sgpr_count:     6
    .sgpr_spill_count: 0
    .symbol:         _ZN7rocprim17ROCPRIM_400000_NS6detail17trampoline_kernelINS0_14default_configENS1_38merge_sort_block_merge_config_selectorIxNS0_10empty_typeEEEZZNS1_27merge_sort_block_merge_implIS3_N6thrust23THRUST_200600_302600_NS6detail15normal_iteratorINS9_10device_ptrIxEEEEPS5_jNS1_19radix_merge_compareILb0ELb0ExNS0_19identity_decomposerEEEEE10hipError_tT0_T1_T2_jT3_P12ihipStream_tbPNSt15iterator_traitsISK_E10value_typeEPNSQ_ISL_E10value_typeEPSM_NS1_7vsmem_tEENKUlT_SK_SL_SM_E_clIPxSE_SF_SF_EESJ_SZ_SK_SL_SM_EUlSZ_E1_NS1_11comp_targetILNS1_3genE4ELNS1_11target_archE910ELNS1_3gpuE8ELNS1_3repE0EEENS1_36merge_oddeven_config_static_selectorELNS0_4arch9wavefront6targetE1EEEvSL_.kd
    .uniform_work_group_size: 1
    .uses_dynamic_stack: false
    .vgpr_count:     0
    .vgpr_spill_count: 0
    .wavefront_size: 64
  - .agpr_count:     0
    .args:
      - .offset:         0
        .size:           48
        .value_kind:     by_value
    .group_segment_fixed_size: 0
    .kernarg_segment_align: 8
    .kernarg_segment_size: 48
    .language:       OpenCL C
    .language_version:
      - 2
      - 0
    .max_flat_workgroup_size: 256
    .name:           _ZN7rocprim17ROCPRIM_400000_NS6detail17trampoline_kernelINS0_14default_configENS1_38merge_sort_block_merge_config_selectorIxNS0_10empty_typeEEEZZNS1_27merge_sort_block_merge_implIS3_N6thrust23THRUST_200600_302600_NS6detail15normal_iteratorINS9_10device_ptrIxEEEEPS5_jNS1_19radix_merge_compareILb0ELb0ExNS0_19identity_decomposerEEEEE10hipError_tT0_T1_T2_jT3_P12ihipStream_tbPNSt15iterator_traitsISK_E10value_typeEPNSQ_ISL_E10value_typeEPSM_NS1_7vsmem_tEENKUlT_SK_SL_SM_E_clIPxSE_SF_SF_EESJ_SZ_SK_SL_SM_EUlSZ_E1_NS1_11comp_targetILNS1_3genE3ELNS1_11target_archE908ELNS1_3gpuE7ELNS1_3repE0EEENS1_36merge_oddeven_config_static_selectorELNS0_4arch9wavefront6targetE1EEEvSL_
    .private_segment_fixed_size: 0
    .sgpr_count:     6
    .sgpr_spill_count: 0
    .symbol:         _ZN7rocprim17ROCPRIM_400000_NS6detail17trampoline_kernelINS0_14default_configENS1_38merge_sort_block_merge_config_selectorIxNS0_10empty_typeEEEZZNS1_27merge_sort_block_merge_implIS3_N6thrust23THRUST_200600_302600_NS6detail15normal_iteratorINS9_10device_ptrIxEEEEPS5_jNS1_19radix_merge_compareILb0ELb0ExNS0_19identity_decomposerEEEEE10hipError_tT0_T1_T2_jT3_P12ihipStream_tbPNSt15iterator_traitsISK_E10value_typeEPNSQ_ISL_E10value_typeEPSM_NS1_7vsmem_tEENKUlT_SK_SL_SM_E_clIPxSE_SF_SF_EESJ_SZ_SK_SL_SM_EUlSZ_E1_NS1_11comp_targetILNS1_3genE3ELNS1_11target_archE908ELNS1_3gpuE7ELNS1_3repE0EEENS1_36merge_oddeven_config_static_selectorELNS0_4arch9wavefront6targetE1EEEvSL_.kd
    .uniform_work_group_size: 1
    .uses_dynamic_stack: false
    .vgpr_count:     0
    .vgpr_spill_count: 0
    .wavefront_size: 64
  - .agpr_count:     0
    .args:
      - .offset:         0
        .size:           48
        .value_kind:     by_value
    .group_segment_fixed_size: 0
    .kernarg_segment_align: 8
    .kernarg_segment_size: 48
    .language:       OpenCL C
    .language_version:
      - 2
      - 0
    .max_flat_workgroup_size: 256
    .name:           _ZN7rocprim17ROCPRIM_400000_NS6detail17trampoline_kernelINS0_14default_configENS1_38merge_sort_block_merge_config_selectorIxNS0_10empty_typeEEEZZNS1_27merge_sort_block_merge_implIS3_N6thrust23THRUST_200600_302600_NS6detail15normal_iteratorINS9_10device_ptrIxEEEEPS5_jNS1_19radix_merge_compareILb0ELb0ExNS0_19identity_decomposerEEEEE10hipError_tT0_T1_T2_jT3_P12ihipStream_tbPNSt15iterator_traitsISK_E10value_typeEPNSQ_ISL_E10value_typeEPSM_NS1_7vsmem_tEENKUlT_SK_SL_SM_E_clIPxSE_SF_SF_EESJ_SZ_SK_SL_SM_EUlSZ_E1_NS1_11comp_targetILNS1_3genE2ELNS1_11target_archE906ELNS1_3gpuE6ELNS1_3repE0EEENS1_36merge_oddeven_config_static_selectorELNS0_4arch9wavefront6targetE1EEEvSL_
    .private_segment_fixed_size: 0
    .sgpr_count:     6
    .sgpr_spill_count: 0
    .symbol:         _ZN7rocprim17ROCPRIM_400000_NS6detail17trampoline_kernelINS0_14default_configENS1_38merge_sort_block_merge_config_selectorIxNS0_10empty_typeEEEZZNS1_27merge_sort_block_merge_implIS3_N6thrust23THRUST_200600_302600_NS6detail15normal_iteratorINS9_10device_ptrIxEEEEPS5_jNS1_19radix_merge_compareILb0ELb0ExNS0_19identity_decomposerEEEEE10hipError_tT0_T1_T2_jT3_P12ihipStream_tbPNSt15iterator_traitsISK_E10value_typeEPNSQ_ISL_E10value_typeEPSM_NS1_7vsmem_tEENKUlT_SK_SL_SM_E_clIPxSE_SF_SF_EESJ_SZ_SK_SL_SM_EUlSZ_E1_NS1_11comp_targetILNS1_3genE2ELNS1_11target_archE906ELNS1_3gpuE6ELNS1_3repE0EEENS1_36merge_oddeven_config_static_selectorELNS0_4arch9wavefront6targetE1EEEvSL_.kd
    .uniform_work_group_size: 1
    .uses_dynamic_stack: false
    .vgpr_count:     0
    .vgpr_spill_count: 0
    .wavefront_size: 64
  - .agpr_count:     0
    .args:
      - .offset:         0
        .size:           48
        .value_kind:     by_value
    .group_segment_fixed_size: 0
    .kernarg_segment_align: 8
    .kernarg_segment_size: 48
    .language:       OpenCL C
    .language_version:
      - 2
      - 0
    .max_flat_workgroup_size: 256
    .name:           _ZN7rocprim17ROCPRIM_400000_NS6detail17trampoline_kernelINS0_14default_configENS1_38merge_sort_block_merge_config_selectorIxNS0_10empty_typeEEEZZNS1_27merge_sort_block_merge_implIS3_N6thrust23THRUST_200600_302600_NS6detail15normal_iteratorINS9_10device_ptrIxEEEEPS5_jNS1_19radix_merge_compareILb0ELb0ExNS0_19identity_decomposerEEEEE10hipError_tT0_T1_T2_jT3_P12ihipStream_tbPNSt15iterator_traitsISK_E10value_typeEPNSQ_ISL_E10value_typeEPSM_NS1_7vsmem_tEENKUlT_SK_SL_SM_E_clIPxSE_SF_SF_EESJ_SZ_SK_SL_SM_EUlSZ_E1_NS1_11comp_targetILNS1_3genE9ELNS1_11target_archE1100ELNS1_3gpuE3ELNS1_3repE0EEENS1_36merge_oddeven_config_static_selectorELNS0_4arch9wavefront6targetE1EEEvSL_
    .private_segment_fixed_size: 0
    .sgpr_count:     6
    .sgpr_spill_count: 0
    .symbol:         _ZN7rocprim17ROCPRIM_400000_NS6detail17trampoline_kernelINS0_14default_configENS1_38merge_sort_block_merge_config_selectorIxNS0_10empty_typeEEEZZNS1_27merge_sort_block_merge_implIS3_N6thrust23THRUST_200600_302600_NS6detail15normal_iteratorINS9_10device_ptrIxEEEEPS5_jNS1_19radix_merge_compareILb0ELb0ExNS0_19identity_decomposerEEEEE10hipError_tT0_T1_T2_jT3_P12ihipStream_tbPNSt15iterator_traitsISK_E10value_typeEPNSQ_ISL_E10value_typeEPSM_NS1_7vsmem_tEENKUlT_SK_SL_SM_E_clIPxSE_SF_SF_EESJ_SZ_SK_SL_SM_EUlSZ_E1_NS1_11comp_targetILNS1_3genE9ELNS1_11target_archE1100ELNS1_3gpuE3ELNS1_3repE0EEENS1_36merge_oddeven_config_static_selectorELNS0_4arch9wavefront6targetE1EEEvSL_.kd
    .uniform_work_group_size: 1
    .uses_dynamic_stack: false
    .vgpr_count:     0
    .vgpr_spill_count: 0
    .wavefront_size: 64
  - .agpr_count:     0
    .args:
      - .offset:         0
        .size:           48
        .value_kind:     by_value
    .group_segment_fixed_size: 0
    .kernarg_segment_align: 8
    .kernarg_segment_size: 48
    .language:       OpenCL C
    .language_version:
      - 2
      - 0
    .max_flat_workgroup_size: 256
    .name:           _ZN7rocprim17ROCPRIM_400000_NS6detail17trampoline_kernelINS0_14default_configENS1_38merge_sort_block_merge_config_selectorIxNS0_10empty_typeEEEZZNS1_27merge_sort_block_merge_implIS3_N6thrust23THRUST_200600_302600_NS6detail15normal_iteratorINS9_10device_ptrIxEEEEPS5_jNS1_19radix_merge_compareILb0ELb0ExNS0_19identity_decomposerEEEEE10hipError_tT0_T1_T2_jT3_P12ihipStream_tbPNSt15iterator_traitsISK_E10value_typeEPNSQ_ISL_E10value_typeEPSM_NS1_7vsmem_tEENKUlT_SK_SL_SM_E_clIPxSE_SF_SF_EESJ_SZ_SK_SL_SM_EUlSZ_E1_NS1_11comp_targetILNS1_3genE8ELNS1_11target_archE1030ELNS1_3gpuE2ELNS1_3repE0EEENS1_36merge_oddeven_config_static_selectorELNS0_4arch9wavefront6targetE1EEEvSL_
    .private_segment_fixed_size: 0
    .sgpr_count:     6
    .sgpr_spill_count: 0
    .symbol:         _ZN7rocprim17ROCPRIM_400000_NS6detail17trampoline_kernelINS0_14default_configENS1_38merge_sort_block_merge_config_selectorIxNS0_10empty_typeEEEZZNS1_27merge_sort_block_merge_implIS3_N6thrust23THRUST_200600_302600_NS6detail15normal_iteratorINS9_10device_ptrIxEEEEPS5_jNS1_19radix_merge_compareILb0ELb0ExNS0_19identity_decomposerEEEEE10hipError_tT0_T1_T2_jT3_P12ihipStream_tbPNSt15iterator_traitsISK_E10value_typeEPNSQ_ISL_E10value_typeEPSM_NS1_7vsmem_tEENKUlT_SK_SL_SM_E_clIPxSE_SF_SF_EESJ_SZ_SK_SL_SM_EUlSZ_E1_NS1_11comp_targetILNS1_3genE8ELNS1_11target_archE1030ELNS1_3gpuE2ELNS1_3repE0EEENS1_36merge_oddeven_config_static_selectorELNS0_4arch9wavefront6targetE1EEEvSL_.kd
    .uniform_work_group_size: 1
    .uses_dynamic_stack: false
    .vgpr_count:     0
    .vgpr_spill_count: 0
    .wavefront_size: 64
  - .agpr_count:     0
    .args:
      - .offset:         0
        .size:           40
        .value_kind:     by_value
    .group_segment_fixed_size: 0
    .kernarg_segment_align: 8
    .kernarg_segment_size: 40
    .language:       OpenCL C
    .language_version:
      - 2
      - 0
    .max_flat_workgroup_size: 128
    .name:           _ZN7rocprim17ROCPRIM_400000_NS6detail17trampoline_kernelINS0_14default_configENS1_38merge_sort_block_merge_config_selectorIxNS0_10empty_typeEEEZZNS1_27merge_sort_block_merge_implIS3_N6thrust23THRUST_200600_302600_NS6detail15normal_iteratorINS9_10device_ptrIxEEEEPS5_jNS1_19radix_merge_compareILb0ELb0ExNS0_19identity_decomposerEEEEE10hipError_tT0_T1_T2_jT3_P12ihipStream_tbPNSt15iterator_traitsISK_E10value_typeEPNSQ_ISL_E10value_typeEPSM_NS1_7vsmem_tEENKUlT_SK_SL_SM_E_clISE_PxSF_SF_EESJ_SZ_SK_SL_SM_EUlSZ_E_NS1_11comp_targetILNS1_3genE0ELNS1_11target_archE4294967295ELNS1_3gpuE0ELNS1_3repE0EEENS1_48merge_mergepath_partition_config_static_selectorELNS0_4arch9wavefront6targetE1EEEvSL_
    .private_segment_fixed_size: 0
    .sgpr_count:     6
    .sgpr_spill_count: 0
    .symbol:         _ZN7rocprim17ROCPRIM_400000_NS6detail17trampoline_kernelINS0_14default_configENS1_38merge_sort_block_merge_config_selectorIxNS0_10empty_typeEEEZZNS1_27merge_sort_block_merge_implIS3_N6thrust23THRUST_200600_302600_NS6detail15normal_iteratorINS9_10device_ptrIxEEEEPS5_jNS1_19radix_merge_compareILb0ELb0ExNS0_19identity_decomposerEEEEE10hipError_tT0_T1_T2_jT3_P12ihipStream_tbPNSt15iterator_traitsISK_E10value_typeEPNSQ_ISL_E10value_typeEPSM_NS1_7vsmem_tEENKUlT_SK_SL_SM_E_clISE_PxSF_SF_EESJ_SZ_SK_SL_SM_EUlSZ_E_NS1_11comp_targetILNS1_3genE0ELNS1_11target_archE4294967295ELNS1_3gpuE0ELNS1_3repE0EEENS1_48merge_mergepath_partition_config_static_selectorELNS0_4arch9wavefront6targetE1EEEvSL_.kd
    .uniform_work_group_size: 1
    .uses_dynamic_stack: false
    .vgpr_count:     0
    .vgpr_spill_count: 0
    .wavefront_size: 64
  - .agpr_count:     0
    .args:
      - .offset:         0
        .size:           40
        .value_kind:     by_value
    .group_segment_fixed_size: 0
    .kernarg_segment_align: 8
    .kernarg_segment_size: 40
    .language:       OpenCL C
    .language_version:
      - 2
      - 0
    .max_flat_workgroup_size: 128
    .name:           _ZN7rocprim17ROCPRIM_400000_NS6detail17trampoline_kernelINS0_14default_configENS1_38merge_sort_block_merge_config_selectorIxNS0_10empty_typeEEEZZNS1_27merge_sort_block_merge_implIS3_N6thrust23THRUST_200600_302600_NS6detail15normal_iteratorINS9_10device_ptrIxEEEEPS5_jNS1_19radix_merge_compareILb0ELb0ExNS0_19identity_decomposerEEEEE10hipError_tT0_T1_T2_jT3_P12ihipStream_tbPNSt15iterator_traitsISK_E10value_typeEPNSQ_ISL_E10value_typeEPSM_NS1_7vsmem_tEENKUlT_SK_SL_SM_E_clISE_PxSF_SF_EESJ_SZ_SK_SL_SM_EUlSZ_E_NS1_11comp_targetILNS1_3genE10ELNS1_11target_archE1201ELNS1_3gpuE5ELNS1_3repE0EEENS1_48merge_mergepath_partition_config_static_selectorELNS0_4arch9wavefront6targetE1EEEvSL_
    .private_segment_fixed_size: 0
    .sgpr_count:     6
    .sgpr_spill_count: 0
    .symbol:         _ZN7rocprim17ROCPRIM_400000_NS6detail17trampoline_kernelINS0_14default_configENS1_38merge_sort_block_merge_config_selectorIxNS0_10empty_typeEEEZZNS1_27merge_sort_block_merge_implIS3_N6thrust23THRUST_200600_302600_NS6detail15normal_iteratorINS9_10device_ptrIxEEEEPS5_jNS1_19radix_merge_compareILb0ELb0ExNS0_19identity_decomposerEEEEE10hipError_tT0_T1_T2_jT3_P12ihipStream_tbPNSt15iterator_traitsISK_E10value_typeEPNSQ_ISL_E10value_typeEPSM_NS1_7vsmem_tEENKUlT_SK_SL_SM_E_clISE_PxSF_SF_EESJ_SZ_SK_SL_SM_EUlSZ_E_NS1_11comp_targetILNS1_3genE10ELNS1_11target_archE1201ELNS1_3gpuE5ELNS1_3repE0EEENS1_48merge_mergepath_partition_config_static_selectorELNS0_4arch9wavefront6targetE1EEEvSL_.kd
    .uniform_work_group_size: 1
    .uses_dynamic_stack: false
    .vgpr_count:     0
    .vgpr_spill_count: 0
    .wavefront_size: 64
  - .agpr_count:     0
    .args:
      - .offset:         0
        .size:           40
        .value_kind:     by_value
    .group_segment_fixed_size: 0
    .kernarg_segment_align: 8
    .kernarg_segment_size: 40
    .language:       OpenCL C
    .language_version:
      - 2
      - 0
    .max_flat_workgroup_size: 128
    .name:           _ZN7rocprim17ROCPRIM_400000_NS6detail17trampoline_kernelINS0_14default_configENS1_38merge_sort_block_merge_config_selectorIxNS0_10empty_typeEEEZZNS1_27merge_sort_block_merge_implIS3_N6thrust23THRUST_200600_302600_NS6detail15normal_iteratorINS9_10device_ptrIxEEEEPS5_jNS1_19radix_merge_compareILb0ELb0ExNS0_19identity_decomposerEEEEE10hipError_tT0_T1_T2_jT3_P12ihipStream_tbPNSt15iterator_traitsISK_E10value_typeEPNSQ_ISL_E10value_typeEPSM_NS1_7vsmem_tEENKUlT_SK_SL_SM_E_clISE_PxSF_SF_EESJ_SZ_SK_SL_SM_EUlSZ_E_NS1_11comp_targetILNS1_3genE5ELNS1_11target_archE942ELNS1_3gpuE9ELNS1_3repE0EEENS1_48merge_mergepath_partition_config_static_selectorELNS0_4arch9wavefront6targetE1EEEvSL_
    .private_segment_fixed_size: 0
    .sgpr_count:     14
    .sgpr_spill_count: 0
    .symbol:         _ZN7rocprim17ROCPRIM_400000_NS6detail17trampoline_kernelINS0_14default_configENS1_38merge_sort_block_merge_config_selectorIxNS0_10empty_typeEEEZZNS1_27merge_sort_block_merge_implIS3_N6thrust23THRUST_200600_302600_NS6detail15normal_iteratorINS9_10device_ptrIxEEEEPS5_jNS1_19radix_merge_compareILb0ELb0ExNS0_19identity_decomposerEEEEE10hipError_tT0_T1_T2_jT3_P12ihipStream_tbPNSt15iterator_traitsISK_E10value_typeEPNSQ_ISL_E10value_typeEPSM_NS1_7vsmem_tEENKUlT_SK_SL_SM_E_clISE_PxSF_SF_EESJ_SZ_SK_SL_SM_EUlSZ_E_NS1_11comp_targetILNS1_3genE5ELNS1_11target_archE942ELNS1_3gpuE9ELNS1_3repE0EEENS1_48merge_mergepath_partition_config_static_selectorELNS0_4arch9wavefront6targetE1EEEvSL_.kd
    .uniform_work_group_size: 1
    .uses_dynamic_stack: false
    .vgpr_count:     20
    .vgpr_spill_count: 0
    .wavefront_size: 64
  - .agpr_count:     0
    .args:
      - .offset:         0
        .size:           40
        .value_kind:     by_value
    .group_segment_fixed_size: 0
    .kernarg_segment_align: 8
    .kernarg_segment_size: 40
    .language:       OpenCL C
    .language_version:
      - 2
      - 0
    .max_flat_workgroup_size: 128
    .name:           _ZN7rocprim17ROCPRIM_400000_NS6detail17trampoline_kernelINS0_14default_configENS1_38merge_sort_block_merge_config_selectorIxNS0_10empty_typeEEEZZNS1_27merge_sort_block_merge_implIS3_N6thrust23THRUST_200600_302600_NS6detail15normal_iteratorINS9_10device_ptrIxEEEEPS5_jNS1_19radix_merge_compareILb0ELb0ExNS0_19identity_decomposerEEEEE10hipError_tT0_T1_T2_jT3_P12ihipStream_tbPNSt15iterator_traitsISK_E10value_typeEPNSQ_ISL_E10value_typeEPSM_NS1_7vsmem_tEENKUlT_SK_SL_SM_E_clISE_PxSF_SF_EESJ_SZ_SK_SL_SM_EUlSZ_E_NS1_11comp_targetILNS1_3genE4ELNS1_11target_archE910ELNS1_3gpuE8ELNS1_3repE0EEENS1_48merge_mergepath_partition_config_static_selectorELNS0_4arch9wavefront6targetE1EEEvSL_
    .private_segment_fixed_size: 0
    .sgpr_count:     6
    .sgpr_spill_count: 0
    .symbol:         _ZN7rocprim17ROCPRIM_400000_NS6detail17trampoline_kernelINS0_14default_configENS1_38merge_sort_block_merge_config_selectorIxNS0_10empty_typeEEEZZNS1_27merge_sort_block_merge_implIS3_N6thrust23THRUST_200600_302600_NS6detail15normal_iteratorINS9_10device_ptrIxEEEEPS5_jNS1_19radix_merge_compareILb0ELb0ExNS0_19identity_decomposerEEEEE10hipError_tT0_T1_T2_jT3_P12ihipStream_tbPNSt15iterator_traitsISK_E10value_typeEPNSQ_ISL_E10value_typeEPSM_NS1_7vsmem_tEENKUlT_SK_SL_SM_E_clISE_PxSF_SF_EESJ_SZ_SK_SL_SM_EUlSZ_E_NS1_11comp_targetILNS1_3genE4ELNS1_11target_archE910ELNS1_3gpuE8ELNS1_3repE0EEENS1_48merge_mergepath_partition_config_static_selectorELNS0_4arch9wavefront6targetE1EEEvSL_.kd
    .uniform_work_group_size: 1
    .uses_dynamic_stack: false
    .vgpr_count:     0
    .vgpr_spill_count: 0
    .wavefront_size: 64
  - .agpr_count:     0
    .args:
      - .offset:         0
        .size:           40
        .value_kind:     by_value
    .group_segment_fixed_size: 0
    .kernarg_segment_align: 8
    .kernarg_segment_size: 40
    .language:       OpenCL C
    .language_version:
      - 2
      - 0
    .max_flat_workgroup_size: 128
    .name:           _ZN7rocprim17ROCPRIM_400000_NS6detail17trampoline_kernelINS0_14default_configENS1_38merge_sort_block_merge_config_selectorIxNS0_10empty_typeEEEZZNS1_27merge_sort_block_merge_implIS3_N6thrust23THRUST_200600_302600_NS6detail15normal_iteratorINS9_10device_ptrIxEEEEPS5_jNS1_19radix_merge_compareILb0ELb0ExNS0_19identity_decomposerEEEEE10hipError_tT0_T1_T2_jT3_P12ihipStream_tbPNSt15iterator_traitsISK_E10value_typeEPNSQ_ISL_E10value_typeEPSM_NS1_7vsmem_tEENKUlT_SK_SL_SM_E_clISE_PxSF_SF_EESJ_SZ_SK_SL_SM_EUlSZ_E_NS1_11comp_targetILNS1_3genE3ELNS1_11target_archE908ELNS1_3gpuE7ELNS1_3repE0EEENS1_48merge_mergepath_partition_config_static_selectorELNS0_4arch9wavefront6targetE1EEEvSL_
    .private_segment_fixed_size: 0
    .sgpr_count:     6
    .sgpr_spill_count: 0
    .symbol:         _ZN7rocprim17ROCPRIM_400000_NS6detail17trampoline_kernelINS0_14default_configENS1_38merge_sort_block_merge_config_selectorIxNS0_10empty_typeEEEZZNS1_27merge_sort_block_merge_implIS3_N6thrust23THRUST_200600_302600_NS6detail15normal_iteratorINS9_10device_ptrIxEEEEPS5_jNS1_19radix_merge_compareILb0ELb0ExNS0_19identity_decomposerEEEEE10hipError_tT0_T1_T2_jT3_P12ihipStream_tbPNSt15iterator_traitsISK_E10value_typeEPNSQ_ISL_E10value_typeEPSM_NS1_7vsmem_tEENKUlT_SK_SL_SM_E_clISE_PxSF_SF_EESJ_SZ_SK_SL_SM_EUlSZ_E_NS1_11comp_targetILNS1_3genE3ELNS1_11target_archE908ELNS1_3gpuE7ELNS1_3repE0EEENS1_48merge_mergepath_partition_config_static_selectorELNS0_4arch9wavefront6targetE1EEEvSL_.kd
    .uniform_work_group_size: 1
    .uses_dynamic_stack: false
    .vgpr_count:     0
    .vgpr_spill_count: 0
    .wavefront_size: 64
  - .agpr_count:     0
    .args:
      - .offset:         0
        .size:           40
        .value_kind:     by_value
    .group_segment_fixed_size: 0
    .kernarg_segment_align: 8
    .kernarg_segment_size: 40
    .language:       OpenCL C
    .language_version:
      - 2
      - 0
    .max_flat_workgroup_size: 128
    .name:           _ZN7rocprim17ROCPRIM_400000_NS6detail17trampoline_kernelINS0_14default_configENS1_38merge_sort_block_merge_config_selectorIxNS0_10empty_typeEEEZZNS1_27merge_sort_block_merge_implIS3_N6thrust23THRUST_200600_302600_NS6detail15normal_iteratorINS9_10device_ptrIxEEEEPS5_jNS1_19radix_merge_compareILb0ELb0ExNS0_19identity_decomposerEEEEE10hipError_tT0_T1_T2_jT3_P12ihipStream_tbPNSt15iterator_traitsISK_E10value_typeEPNSQ_ISL_E10value_typeEPSM_NS1_7vsmem_tEENKUlT_SK_SL_SM_E_clISE_PxSF_SF_EESJ_SZ_SK_SL_SM_EUlSZ_E_NS1_11comp_targetILNS1_3genE2ELNS1_11target_archE906ELNS1_3gpuE6ELNS1_3repE0EEENS1_48merge_mergepath_partition_config_static_selectorELNS0_4arch9wavefront6targetE1EEEvSL_
    .private_segment_fixed_size: 0
    .sgpr_count:     6
    .sgpr_spill_count: 0
    .symbol:         _ZN7rocprim17ROCPRIM_400000_NS6detail17trampoline_kernelINS0_14default_configENS1_38merge_sort_block_merge_config_selectorIxNS0_10empty_typeEEEZZNS1_27merge_sort_block_merge_implIS3_N6thrust23THRUST_200600_302600_NS6detail15normal_iteratorINS9_10device_ptrIxEEEEPS5_jNS1_19radix_merge_compareILb0ELb0ExNS0_19identity_decomposerEEEEE10hipError_tT0_T1_T2_jT3_P12ihipStream_tbPNSt15iterator_traitsISK_E10value_typeEPNSQ_ISL_E10value_typeEPSM_NS1_7vsmem_tEENKUlT_SK_SL_SM_E_clISE_PxSF_SF_EESJ_SZ_SK_SL_SM_EUlSZ_E_NS1_11comp_targetILNS1_3genE2ELNS1_11target_archE906ELNS1_3gpuE6ELNS1_3repE0EEENS1_48merge_mergepath_partition_config_static_selectorELNS0_4arch9wavefront6targetE1EEEvSL_.kd
    .uniform_work_group_size: 1
    .uses_dynamic_stack: false
    .vgpr_count:     0
    .vgpr_spill_count: 0
    .wavefront_size: 64
  - .agpr_count:     0
    .args:
      - .offset:         0
        .size:           40
        .value_kind:     by_value
    .group_segment_fixed_size: 0
    .kernarg_segment_align: 8
    .kernarg_segment_size: 40
    .language:       OpenCL C
    .language_version:
      - 2
      - 0
    .max_flat_workgroup_size: 128
    .name:           _ZN7rocprim17ROCPRIM_400000_NS6detail17trampoline_kernelINS0_14default_configENS1_38merge_sort_block_merge_config_selectorIxNS0_10empty_typeEEEZZNS1_27merge_sort_block_merge_implIS3_N6thrust23THRUST_200600_302600_NS6detail15normal_iteratorINS9_10device_ptrIxEEEEPS5_jNS1_19radix_merge_compareILb0ELb0ExNS0_19identity_decomposerEEEEE10hipError_tT0_T1_T2_jT3_P12ihipStream_tbPNSt15iterator_traitsISK_E10value_typeEPNSQ_ISL_E10value_typeEPSM_NS1_7vsmem_tEENKUlT_SK_SL_SM_E_clISE_PxSF_SF_EESJ_SZ_SK_SL_SM_EUlSZ_E_NS1_11comp_targetILNS1_3genE9ELNS1_11target_archE1100ELNS1_3gpuE3ELNS1_3repE0EEENS1_48merge_mergepath_partition_config_static_selectorELNS0_4arch9wavefront6targetE1EEEvSL_
    .private_segment_fixed_size: 0
    .sgpr_count:     6
    .sgpr_spill_count: 0
    .symbol:         _ZN7rocprim17ROCPRIM_400000_NS6detail17trampoline_kernelINS0_14default_configENS1_38merge_sort_block_merge_config_selectorIxNS0_10empty_typeEEEZZNS1_27merge_sort_block_merge_implIS3_N6thrust23THRUST_200600_302600_NS6detail15normal_iteratorINS9_10device_ptrIxEEEEPS5_jNS1_19radix_merge_compareILb0ELb0ExNS0_19identity_decomposerEEEEE10hipError_tT0_T1_T2_jT3_P12ihipStream_tbPNSt15iterator_traitsISK_E10value_typeEPNSQ_ISL_E10value_typeEPSM_NS1_7vsmem_tEENKUlT_SK_SL_SM_E_clISE_PxSF_SF_EESJ_SZ_SK_SL_SM_EUlSZ_E_NS1_11comp_targetILNS1_3genE9ELNS1_11target_archE1100ELNS1_3gpuE3ELNS1_3repE0EEENS1_48merge_mergepath_partition_config_static_selectorELNS0_4arch9wavefront6targetE1EEEvSL_.kd
    .uniform_work_group_size: 1
    .uses_dynamic_stack: false
    .vgpr_count:     0
    .vgpr_spill_count: 0
    .wavefront_size: 64
  - .agpr_count:     0
    .args:
      - .offset:         0
        .size:           40
        .value_kind:     by_value
    .group_segment_fixed_size: 0
    .kernarg_segment_align: 8
    .kernarg_segment_size: 40
    .language:       OpenCL C
    .language_version:
      - 2
      - 0
    .max_flat_workgroup_size: 128
    .name:           _ZN7rocprim17ROCPRIM_400000_NS6detail17trampoline_kernelINS0_14default_configENS1_38merge_sort_block_merge_config_selectorIxNS0_10empty_typeEEEZZNS1_27merge_sort_block_merge_implIS3_N6thrust23THRUST_200600_302600_NS6detail15normal_iteratorINS9_10device_ptrIxEEEEPS5_jNS1_19radix_merge_compareILb0ELb0ExNS0_19identity_decomposerEEEEE10hipError_tT0_T1_T2_jT3_P12ihipStream_tbPNSt15iterator_traitsISK_E10value_typeEPNSQ_ISL_E10value_typeEPSM_NS1_7vsmem_tEENKUlT_SK_SL_SM_E_clISE_PxSF_SF_EESJ_SZ_SK_SL_SM_EUlSZ_E_NS1_11comp_targetILNS1_3genE8ELNS1_11target_archE1030ELNS1_3gpuE2ELNS1_3repE0EEENS1_48merge_mergepath_partition_config_static_selectorELNS0_4arch9wavefront6targetE1EEEvSL_
    .private_segment_fixed_size: 0
    .sgpr_count:     6
    .sgpr_spill_count: 0
    .symbol:         _ZN7rocprim17ROCPRIM_400000_NS6detail17trampoline_kernelINS0_14default_configENS1_38merge_sort_block_merge_config_selectorIxNS0_10empty_typeEEEZZNS1_27merge_sort_block_merge_implIS3_N6thrust23THRUST_200600_302600_NS6detail15normal_iteratorINS9_10device_ptrIxEEEEPS5_jNS1_19radix_merge_compareILb0ELb0ExNS0_19identity_decomposerEEEEE10hipError_tT0_T1_T2_jT3_P12ihipStream_tbPNSt15iterator_traitsISK_E10value_typeEPNSQ_ISL_E10value_typeEPSM_NS1_7vsmem_tEENKUlT_SK_SL_SM_E_clISE_PxSF_SF_EESJ_SZ_SK_SL_SM_EUlSZ_E_NS1_11comp_targetILNS1_3genE8ELNS1_11target_archE1030ELNS1_3gpuE2ELNS1_3repE0EEENS1_48merge_mergepath_partition_config_static_selectorELNS0_4arch9wavefront6targetE1EEEvSL_.kd
    .uniform_work_group_size: 1
    .uses_dynamic_stack: false
    .vgpr_count:     0
    .vgpr_spill_count: 0
    .wavefront_size: 64
  - .agpr_count:     0
    .args:
      - .offset:         0
        .size:           64
        .value_kind:     by_value
    .group_segment_fixed_size: 0
    .kernarg_segment_align: 8
    .kernarg_segment_size: 64
    .language:       OpenCL C
    .language_version:
      - 2
      - 0
    .max_flat_workgroup_size: 128
    .name:           _ZN7rocprim17ROCPRIM_400000_NS6detail17trampoline_kernelINS0_14default_configENS1_38merge_sort_block_merge_config_selectorIxNS0_10empty_typeEEEZZNS1_27merge_sort_block_merge_implIS3_N6thrust23THRUST_200600_302600_NS6detail15normal_iteratorINS9_10device_ptrIxEEEEPS5_jNS1_19radix_merge_compareILb0ELb0ExNS0_19identity_decomposerEEEEE10hipError_tT0_T1_T2_jT3_P12ihipStream_tbPNSt15iterator_traitsISK_E10value_typeEPNSQ_ISL_E10value_typeEPSM_NS1_7vsmem_tEENKUlT_SK_SL_SM_E_clISE_PxSF_SF_EESJ_SZ_SK_SL_SM_EUlSZ_E0_NS1_11comp_targetILNS1_3genE0ELNS1_11target_archE4294967295ELNS1_3gpuE0ELNS1_3repE0EEENS1_38merge_mergepath_config_static_selectorELNS0_4arch9wavefront6targetE1EEEvSL_
    .private_segment_fixed_size: 0
    .sgpr_count:     6
    .sgpr_spill_count: 0
    .symbol:         _ZN7rocprim17ROCPRIM_400000_NS6detail17trampoline_kernelINS0_14default_configENS1_38merge_sort_block_merge_config_selectorIxNS0_10empty_typeEEEZZNS1_27merge_sort_block_merge_implIS3_N6thrust23THRUST_200600_302600_NS6detail15normal_iteratorINS9_10device_ptrIxEEEEPS5_jNS1_19radix_merge_compareILb0ELb0ExNS0_19identity_decomposerEEEEE10hipError_tT0_T1_T2_jT3_P12ihipStream_tbPNSt15iterator_traitsISK_E10value_typeEPNSQ_ISL_E10value_typeEPSM_NS1_7vsmem_tEENKUlT_SK_SL_SM_E_clISE_PxSF_SF_EESJ_SZ_SK_SL_SM_EUlSZ_E0_NS1_11comp_targetILNS1_3genE0ELNS1_11target_archE4294967295ELNS1_3gpuE0ELNS1_3repE0EEENS1_38merge_mergepath_config_static_selectorELNS0_4arch9wavefront6targetE1EEEvSL_.kd
    .uniform_work_group_size: 1
    .uses_dynamic_stack: false
    .vgpr_count:     0
    .vgpr_spill_count: 0
    .wavefront_size: 64
  - .agpr_count:     0
    .args:
      - .offset:         0
        .size:           64
        .value_kind:     by_value
    .group_segment_fixed_size: 0
    .kernarg_segment_align: 8
    .kernarg_segment_size: 64
    .language:       OpenCL C
    .language_version:
      - 2
      - 0
    .max_flat_workgroup_size: 512
    .name:           _ZN7rocprim17ROCPRIM_400000_NS6detail17trampoline_kernelINS0_14default_configENS1_38merge_sort_block_merge_config_selectorIxNS0_10empty_typeEEEZZNS1_27merge_sort_block_merge_implIS3_N6thrust23THRUST_200600_302600_NS6detail15normal_iteratorINS9_10device_ptrIxEEEEPS5_jNS1_19radix_merge_compareILb0ELb0ExNS0_19identity_decomposerEEEEE10hipError_tT0_T1_T2_jT3_P12ihipStream_tbPNSt15iterator_traitsISK_E10value_typeEPNSQ_ISL_E10value_typeEPSM_NS1_7vsmem_tEENKUlT_SK_SL_SM_E_clISE_PxSF_SF_EESJ_SZ_SK_SL_SM_EUlSZ_E0_NS1_11comp_targetILNS1_3genE10ELNS1_11target_archE1201ELNS1_3gpuE5ELNS1_3repE0EEENS1_38merge_mergepath_config_static_selectorELNS0_4arch9wavefront6targetE1EEEvSL_
    .private_segment_fixed_size: 0
    .sgpr_count:     6
    .sgpr_spill_count: 0
    .symbol:         _ZN7rocprim17ROCPRIM_400000_NS6detail17trampoline_kernelINS0_14default_configENS1_38merge_sort_block_merge_config_selectorIxNS0_10empty_typeEEEZZNS1_27merge_sort_block_merge_implIS3_N6thrust23THRUST_200600_302600_NS6detail15normal_iteratorINS9_10device_ptrIxEEEEPS5_jNS1_19radix_merge_compareILb0ELb0ExNS0_19identity_decomposerEEEEE10hipError_tT0_T1_T2_jT3_P12ihipStream_tbPNSt15iterator_traitsISK_E10value_typeEPNSQ_ISL_E10value_typeEPSM_NS1_7vsmem_tEENKUlT_SK_SL_SM_E_clISE_PxSF_SF_EESJ_SZ_SK_SL_SM_EUlSZ_E0_NS1_11comp_targetILNS1_3genE10ELNS1_11target_archE1201ELNS1_3gpuE5ELNS1_3repE0EEENS1_38merge_mergepath_config_static_selectorELNS0_4arch9wavefront6targetE1EEEvSL_.kd
    .uniform_work_group_size: 1
    .uses_dynamic_stack: false
    .vgpr_count:     0
    .vgpr_spill_count: 0
    .wavefront_size: 64
  - .agpr_count:     0
    .args:
      - .offset:         0
        .size:           64
        .value_kind:     by_value
      - .offset:         64
        .size:           4
        .value_kind:     hidden_block_count_x
      - .offset:         68
        .size:           4
        .value_kind:     hidden_block_count_y
      - .offset:         72
        .size:           4
        .value_kind:     hidden_block_count_z
      - .offset:         76
        .size:           2
        .value_kind:     hidden_group_size_x
      - .offset:         78
        .size:           2
        .value_kind:     hidden_group_size_y
      - .offset:         80
        .size:           2
        .value_kind:     hidden_group_size_z
      - .offset:         82
        .size:           2
        .value_kind:     hidden_remainder_x
      - .offset:         84
        .size:           2
        .value_kind:     hidden_remainder_y
      - .offset:         86
        .size:           2
        .value_kind:     hidden_remainder_z
      - .offset:         104
        .size:           8
        .value_kind:     hidden_global_offset_x
      - .offset:         112
        .size:           8
        .value_kind:     hidden_global_offset_y
      - .offset:         120
        .size:           8
        .value_kind:     hidden_global_offset_z
      - .offset:         128
        .size:           2
        .value_kind:     hidden_grid_dims
    .group_segment_fixed_size: 8448
    .kernarg_segment_align: 8
    .kernarg_segment_size: 320
    .language:       OpenCL C
    .language_version:
      - 2
      - 0
    .max_flat_workgroup_size: 128
    .name:           _ZN7rocprim17ROCPRIM_400000_NS6detail17trampoline_kernelINS0_14default_configENS1_38merge_sort_block_merge_config_selectorIxNS0_10empty_typeEEEZZNS1_27merge_sort_block_merge_implIS3_N6thrust23THRUST_200600_302600_NS6detail15normal_iteratorINS9_10device_ptrIxEEEEPS5_jNS1_19radix_merge_compareILb0ELb0ExNS0_19identity_decomposerEEEEE10hipError_tT0_T1_T2_jT3_P12ihipStream_tbPNSt15iterator_traitsISK_E10value_typeEPNSQ_ISL_E10value_typeEPSM_NS1_7vsmem_tEENKUlT_SK_SL_SM_E_clISE_PxSF_SF_EESJ_SZ_SK_SL_SM_EUlSZ_E0_NS1_11comp_targetILNS1_3genE5ELNS1_11target_archE942ELNS1_3gpuE9ELNS1_3repE0EEENS1_38merge_mergepath_config_static_selectorELNS0_4arch9wavefront6targetE1EEEvSL_
    .private_segment_fixed_size: 0
    .sgpr_count:     29
    .sgpr_spill_count: 0
    .symbol:         _ZN7rocprim17ROCPRIM_400000_NS6detail17trampoline_kernelINS0_14default_configENS1_38merge_sort_block_merge_config_selectorIxNS0_10empty_typeEEEZZNS1_27merge_sort_block_merge_implIS3_N6thrust23THRUST_200600_302600_NS6detail15normal_iteratorINS9_10device_ptrIxEEEEPS5_jNS1_19radix_merge_compareILb0ELb0ExNS0_19identity_decomposerEEEEE10hipError_tT0_T1_T2_jT3_P12ihipStream_tbPNSt15iterator_traitsISK_E10value_typeEPNSQ_ISL_E10value_typeEPSM_NS1_7vsmem_tEENKUlT_SK_SL_SM_E_clISE_PxSF_SF_EESJ_SZ_SK_SL_SM_EUlSZ_E0_NS1_11comp_targetILNS1_3genE5ELNS1_11target_archE942ELNS1_3gpuE9ELNS1_3repE0EEENS1_38merge_mergepath_config_static_selectorELNS0_4arch9wavefront6targetE1EEEvSL_.kd
    .uniform_work_group_size: 1
    .uses_dynamic_stack: false
    .vgpr_count:     34
    .vgpr_spill_count: 0
    .wavefront_size: 64
  - .agpr_count:     0
    .args:
      - .offset:         0
        .size:           64
        .value_kind:     by_value
    .group_segment_fixed_size: 0
    .kernarg_segment_align: 8
    .kernarg_segment_size: 64
    .language:       OpenCL C
    .language_version:
      - 2
      - 0
    .max_flat_workgroup_size: 256
    .name:           _ZN7rocprim17ROCPRIM_400000_NS6detail17trampoline_kernelINS0_14default_configENS1_38merge_sort_block_merge_config_selectorIxNS0_10empty_typeEEEZZNS1_27merge_sort_block_merge_implIS3_N6thrust23THRUST_200600_302600_NS6detail15normal_iteratorINS9_10device_ptrIxEEEEPS5_jNS1_19radix_merge_compareILb0ELb0ExNS0_19identity_decomposerEEEEE10hipError_tT0_T1_T2_jT3_P12ihipStream_tbPNSt15iterator_traitsISK_E10value_typeEPNSQ_ISL_E10value_typeEPSM_NS1_7vsmem_tEENKUlT_SK_SL_SM_E_clISE_PxSF_SF_EESJ_SZ_SK_SL_SM_EUlSZ_E0_NS1_11comp_targetILNS1_3genE4ELNS1_11target_archE910ELNS1_3gpuE8ELNS1_3repE0EEENS1_38merge_mergepath_config_static_selectorELNS0_4arch9wavefront6targetE1EEEvSL_
    .private_segment_fixed_size: 0
    .sgpr_count:     6
    .sgpr_spill_count: 0
    .symbol:         _ZN7rocprim17ROCPRIM_400000_NS6detail17trampoline_kernelINS0_14default_configENS1_38merge_sort_block_merge_config_selectorIxNS0_10empty_typeEEEZZNS1_27merge_sort_block_merge_implIS3_N6thrust23THRUST_200600_302600_NS6detail15normal_iteratorINS9_10device_ptrIxEEEEPS5_jNS1_19radix_merge_compareILb0ELb0ExNS0_19identity_decomposerEEEEE10hipError_tT0_T1_T2_jT3_P12ihipStream_tbPNSt15iterator_traitsISK_E10value_typeEPNSQ_ISL_E10value_typeEPSM_NS1_7vsmem_tEENKUlT_SK_SL_SM_E_clISE_PxSF_SF_EESJ_SZ_SK_SL_SM_EUlSZ_E0_NS1_11comp_targetILNS1_3genE4ELNS1_11target_archE910ELNS1_3gpuE8ELNS1_3repE0EEENS1_38merge_mergepath_config_static_selectorELNS0_4arch9wavefront6targetE1EEEvSL_.kd
    .uniform_work_group_size: 1
    .uses_dynamic_stack: false
    .vgpr_count:     0
    .vgpr_spill_count: 0
    .wavefront_size: 64
  - .agpr_count:     0
    .args:
      - .offset:         0
        .size:           64
        .value_kind:     by_value
    .group_segment_fixed_size: 0
    .kernarg_segment_align: 8
    .kernarg_segment_size: 64
    .language:       OpenCL C
    .language_version:
      - 2
      - 0
    .max_flat_workgroup_size: 128
    .name:           _ZN7rocprim17ROCPRIM_400000_NS6detail17trampoline_kernelINS0_14default_configENS1_38merge_sort_block_merge_config_selectorIxNS0_10empty_typeEEEZZNS1_27merge_sort_block_merge_implIS3_N6thrust23THRUST_200600_302600_NS6detail15normal_iteratorINS9_10device_ptrIxEEEEPS5_jNS1_19radix_merge_compareILb0ELb0ExNS0_19identity_decomposerEEEEE10hipError_tT0_T1_T2_jT3_P12ihipStream_tbPNSt15iterator_traitsISK_E10value_typeEPNSQ_ISL_E10value_typeEPSM_NS1_7vsmem_tEENKUlT_SK_SL_SM_E_clISE_PxSF_SF_EESJ_SZ_SK_SL_SM_EUlSZ_E0_NS1_11comp_targetILNS1_3genE3ELNS1_11target_archE908ELNS1_3gpuE7ELNS1_3repE0EEENS1_38merge_mergepath_config_static_selectorELNS0_4arch9wavefront6targetE1EEEvSL_
    .private_segment_fixed_size: 0
    .sgpr_count:     6
    .sgpr_spill_count: 0
    .symbol:         _ZN7rocprim17ROCPRIM_400000_NS6detail17trampoline_kernelINS0_14default_configENS1_38merge_sort_block_merge_config_selectorIxNS0_10empty_typeEEEZZNS1_27merge_sort_block_merge_implIS3_N6thrust23THRUST_200600_302600_NS6detail15normal_iteratorINS9_10device_ptrIxEEEEPS5_jNS1_19radix_merge_compareILb0ELb0ExNS0_19identity_decomposerEEEEE10hipError_tT0_T1_T2_jT3_P12ihipStream_tbPNSt15iterator_traitsISK_E10value_typeEPNSQ_ISL_E10value_typeEPSM_NS1_7vsmem_tEENKUlT_SK_SL_SM_E_clISE_PxSF_SF_EESJ_SZ_SK_SL_SM_EUlSZ_E0_NS1_11comp_targetILNS1_3genE3ELNS1_11target_archE908ELNS1_3gpuE7ELNS1_3repE0EEENS1_38merge_mergepath_config_static_selectorELNS0_4arch9wavefront6targetE1EEEvSL_.kd
    .uniform_work_group_size: 1
    .uses_dynamic_stack: false
    .vgpr_count:     0
    .vgpr_spill_count: 0
    .wavefront_size: 64
  - .agpr_count:     0
    .args:
      - .offset:         0
        .size:           64
        .value_kind:     by_value
    .group_segment_fixed_size: 0
    .kernarg_segment_align: 8
    .kernarg_segment_size: 64
    .language:       OpenCL C
    .language_version:
      - 2
      - 0
    .max_flat_workgroup_size: 256
    .name:           _ZN7rocprim17ROCPRIM_400000_NS6detail17trampoline_kernelINS0_14default_configENS1_38merge_sort_block_merge_config_selectorIxNS0_10empty_typeEEEZZNS1_27merge_sort_block_merge_implIS3_N6thrust23THRUST_200600_302600_NS6detail15normal_iteratorINS9_10device_ptrIxEEEEPS5_jNS1_19radix_merge_compareILb0ELb0ExNS0_19identity_decomposerEEEEE10hipError_tT0_T1_T2_jT3_P12ihipStream_tbPNSt15iterator_traitsISK_E10value_typeEPNSQ_ISL_E10value_typeEPSM_NS1_7vsmem_tEENKUlT_SK_SL_SM_E_clISE_PxSF_SF_EESJ_SZ_SK_SL_SM_EUlSZ_E0_NS1_11comp_targetILNS1_3genE2ELNS1_11target_archE906ELNS1_3gpuE6ELNS1_3repE0EEENS1_38merge_mergepath_config_static_selectorELNS0_4arch9wavefront6targetE1EEEvSL_
    .private_segment_fixed_size: 0
    .sgpr_count:     6
    .sgpr_spill_count: 0
    .symbol:         _ZN7rocprim17ROCPRIM_400000_NS6detail17trampoline_kernelINS0_14default_configENS1_38merge_sort_block_merge_config_selectorIxNS0_10empty_typeEEEZZNS1_27merge_sort_block_merge_implIS3_N6thrust23THRUST_200600_302600_NS6detail15normal_iteratorINS9_10device_ptrIxEEEEPS5_jNS1_19radix_merge_compareILb0ELb0ExNS0_19identity_decomposerEEEEE10hipError_tT0_T1_T2_jT3_P12ihipStream_tbPNSt15iterator_traitsISK_E10value_typeEPNSQ_ISL_E10value_typeEPSM_NS1_7vsmem_tEENKUlT_SK_SL_SM_E_clISE_PxSF_SF_EESJ_SZ_SK_SL_SM_EUlSZ_E0_NS1_11comp_targetILNS1_3genE2ELNS1_11target_archE906ELNS1_3gpuE6ELNS1_3repE0EEENS1_38merge_mergepath_config_static_selectorELNS0_4arch9wavefront6targetE1EEEvSL_.kd
    .uniform_work_group_size: 1
    .uses_dynamic_stack: false
    .vgpr_count:     0
    .vgpr_spill_count: 0
    .wavefront_size: 64
  - .agpr_count:     0
    .args:
      - .offset:         0
        .size:           64
        .value_kind:     by_value
    .group_segment_fixed_size: 0
    .kernarg_segment_align: 8
    .kernarg_segment_size: 64
    .language:       OpenCL C
    .language_version:
      - 2
      - 0
    .max_flat_workgroup_size: 512
    .name:           _ZN7rocprim17ROCPRIM_400000_NS6detail17trampoline_kernelINS0_14default_configENS1_38merge_sort_block_merge_config_selectorIxNS0_10empty_typeEEEZZNS1_27merge_sort_block_merge_implIS3_N6thrust23THRUST_200600_302600_NS6detail15normal_iteratorINS9_10device_ptrIxEEEEPS5_jNS1_19radix_merge_compareILb0ELb0ExNS0_19identity_decomposerEEEEE10hipError_tT0_T1_T2_jT3_P12ihipStream_tbPNSt15iterator_traitsISK_E10value_typeEPNSQ_ISL_E10value_typeEPSM_NS1_7vsmem_tEENKUlT_SK_SL_SM_E_clISE_PxSF_SF_EESJ_SZ_SK_SL_SM_EUlSZ_E0_NS1_11comp_targetILNS1_3genE9ELNS1_11target_archE1100ELNS1_3gpuE3ELNS1_3repE0EEENS1_38merge_mergepath_config_static_selectorELNS0_4arch9wavefront6targetE1EEEvSL_
    .private_segment_fixed_size: 0
    .sgpr_count:     6
    .sgpr_spill_count: 0
    .symbol:         _ZN7rocprim17ROCPRIM_400000_NS6detail17trampoline_kernelINS0_14default_configENS1_38merge_sort_block_merge_config_selectorIxNS0_10empty_typeEEEZZNS1_27merge_sort_block_merge_implIS3_N6thrust23THRUST_200600_302600_NS6detail15normal_iteratorINS9_10device_ptrIxEEEEPS5_jNS1_19radix_merge_compareILb0ELb0ExNS0_19identity_decomposerEEEEE10hipError_tT0_T1_T2_jT3_P12ihipStream_tbPNSt15iterator_traitsISK_E10value_typeEPNSQ_ISL_E10value_typeEPSM_NS1_7vsmem_tEENKUlT_SK_SL_SM_E_clISE_PxSF_SF_EESJ_SZ_SK_SL_SM_EUlSZ_E0_NS1_11comp_targetILNS1_3genE9ELNS1_11target_archE1100ELNS1_3gpuE3ELNS1_3repE0EEENS1_38merge_mergepath_config_static_selectorELNS0_4arch9wavefront6targetE1EEEvSL_.kd
    .uniform_work_group_size: 1
    .uses_dynamic_stack: false
    .vgpr_count:     0
    .vgpr_spill_count: 0
    .wavefront_size: 64
  - .agpr_count:     0
    .args:
      - .offset:         0
        .size:           64
        .value_kind:     by_value
    .group_segment_fixed_size: 0
    .kernarg_segment_align: 8
    .kernarg_segment_size: 64
    .language:       OpenCL C
    .language_version:
      - 2
      - 0
    .max_flat_workgroup_size: 1024
    .name:           _ZN7rocprim17ROCPRIM_400000_NS6detail17trampoline_kernelINS0_14default_configENS1_38merge_sort_block_merge_config_selectorIxNS0_10empty_typeEEEZZNS1_27merge_sort_block_merge_implIS3_N6thrust23THRUST_200600_302600_NS6detail15normal_iteratorINS9_10device_ptrIxEEEEPS5_jNS1_19radix_merge_compareILb0ELb0ExNS0_19identity_decomposerEEEEE10hipError_tT0_T1_T2_jT3_P12ihipStream_tbPNSt15iterator_traitsISK_E10value_typeEPNSQ_ISL_E10value_typeEPSM_NS1_7vsmem_tEENKUlT_SK_SL_SM_E_clISE_PxSF_SF_EESJ_SZ_SK_SL_SM_EUlSZ_E0_NS1_11comp_targetILNS1_3genE8ELNS1_11target_archE1030ELNS1_3gpuE2ELNS1_3repE0EEENS1_38merge_mergepath_config_static_selectorELNS0_4arch9wavefront6targetE1EEEvSL_
    .private_segment_fixed_size: 0
    .sgpr_count:     6
    .sgpr_spill_count: 0
    .symbol:         _ZN7rocprim17ROCPRIM_400000_NS6detail17trampoline_kernelINS0_14default_configENS1_38merge_sort_block_merge_config_selectorIxNS0_10empty_typeEEEZZNS1_27merge_sort_block_merge_implIS3_N6thrust23THRUST_200600_302600_NS6detail15normal_iteratorINS9_10device_ptrIxEEEEPS5_jNS1_19radix_merge_compareILb0ELb0ExNS0_19identity_decomposerEEEEE10hipError_tT0_T1_T2_jT3_P12ihipStream_tbPNSt15iterator_traitsISK_E10value_typeEPNSQ_ISL_E10value_typeEPSM_NS1_7vsmem_tEENKUlT_SK_SL_SM_E_clISE_PxSF_SF_EESJ_SZ_SK_SL_SM_EUlSZ_E0_NS1_11comp_targetILNS1_3genE8ELNS1_11target_archE1030ELNS1_3gpuE2ELNS1_3repE0EEENS1_38merge_mergepath_config_static_selectorELNS0_4arch9wavefront6targetE1EEEvSL_.kd
    .uniform_work_group_size: 1
    .uses_dynamic_stack: false
    .vgpr_count:     0
    .vgpr_spill_count: 0
    .wavefront_size: 64
  - .agpr_count:     0
    .args:
      - .offset:         0
        .size:           48
        .value_kind:     by_value
    .group_segment_fixed_size: 0
    .kernarg_segment_align: 8
    .kernarg_segment_size: 48
    .language:       OpenCL C
    .language_version:
      - 2
      - 0
    .max_flat_workgroup_size: 256
    .name:           _ZN7rocprim17ROCPRIM_400000_NS6detail17trampoline_kernelINS0_14default_configENS1_38merge_sort_block_merge_config_selectorIxNS0_10empty_typeEEEZZNS1_27merge_sort_block_merge_implIS3_N6thrust23THRUST_200600_302600_NS6detail15normal_iteratorINS9_10device_ptrIxEEEEPS5_jNS1_19radix_merge_compareILb0ELb0ExNS0_19identity_decomposerEEEEE10hipError_tT0_T1_T2_jT3_P12ihipStream_tbPNSt15iterator_traitsISK_E10value_typeEPNSQ_ISL_E10value_typeEPSM_NS1_7vsmem_tEENKUlT_SK_SL_SM_E_clISE_PxSF_SF_EESJ_SZ_SK_SL_SM_EUlSZ_E1_NS1_11comp_targetILNS1_3genE0ELNS1_11target_archE4294967295ELNS1_3gpuE0ELNS1_3repE0EEENS1_36merge_oddeven_config_static_selectorELNS0_4arch9wavefront6targetE1EEEvSL_
    .private_segment_fixed_size: 0
    .sgpr_count:     6
    .sgpr_spill_count: 0
    .symbol:         _ZN7rocprim17ROCPRIM_400000_NS6detail17trampoline_kernelINS0_14default_configENS1_38merge_sort_block_merge_config_selectorIxNS0_10empty_typeEEEZZNS1_27merge_sort_block_merge_implIS3_N6thrust23THRUST_200600_302600_NS6detail15normal_iteratorINS9_10device_ptrIxEEEEPS5_jNS1_19radix_merge_compareILb0ELb0ExNS0_19identity_decomposerEEEEE10hipError_tT0_T1_T2_jT3_P12ihipStream_tbPNSt15iterator_traitsISK_E10value_typeEPNSQ_ISL_E10value_typeEPSM_NS1_7vsmem_tEENKUlT_SK_SL_SM_E_clISE_PxSF_SF_EESJ_SZ_SK_SL_SM_EUlSZ_E1_NS1_11comp_targetILNS1_3genE0ELNS1_11target_archE4294967295ELNS1_3gpuE0ELNS1_3repE0EEENS1_36merge_oddeven_config_static_selectorELNS0_4arch9wavefront6targetE1EEEvSL_.kd
    .uniform_work_group_size: 1
    .uses_dynamic_stack: false
    .vgpr_count:     0
    .vgpr_spill_count: 0
    .wavefront_size: 64
  - .agpr_count:     0
    .args:
      - .offset:         0
        .size:           48
        .value_kind:     by_value
    .group_segment_fixed_size: 0
    .kernarg_segment_align: 8
    .kernarg_segment_size: 48
    .language:       OpenCL C
    .language_version:
      - 2
      - 0
    .max_flat_workgroup_size: 256
    .name:           _ZN7rocprim17ROCPRIM_400000_NS6detail17trampoline_kernelINS0_14default_configENS1_38merge_sort_block_merge_config_selectorIxNS0_10empty_typeEEEZZNS1_27merge_sort_block_merge_implIS3_N6thrust23THRUST_200600_302600_NS6detail15normal_iteratorINS9_10device_ptrIxEEEEPS5_jNS1_19radix_merge_compareILb0ELb0ExNS0_19identity_decomposerEEEEE10hipError_tT0_T1_T2_jT3_P12ihipStream_tbPNSt15iterator_traitsISK_E10value_typeEPNSQ_ISL_E10value_typeEPSM_NS1_7vsmem_tEENKUlT_SK_SL_SM_E_clISE_PxSF_SF_EESJ_SZ_SK_SL_SM_EUlSZ_E1_NS1_11comp_targetILNS1_3genE10ELNS1_11target_archE1201ELNS1_3gpuE5ELNS1_3repE0EEENS1_36merge_oddeven_config_static_selectorELNS0_4arch9wavefront6targetE1EEEvSL_
    .private_segment_fixed_size: 0
    .sgpr_count:     6
    .sgpr_spill_count: 0
    .symbol:         _ZN7rocprim17ROCPRIM_400000_NS6detail17trampoline_kernelINS0_14default_configENS1_38merge_sort_block_merge_config_selectorIxNS0_10empty_typeEEEZZNS1_27merge_sort_block_merge_implIS3_N6thrust23THRUST_200600_302600_NS6detail15normal_iteratorINS9_10device_ptrIxEEEEPS5_jNS1_19radix_merge_compareILb0ELb0ExNS0_19identity_decomposerEEEEE10hipError_tT0_T1_T2_jT3_P12ihipStream_tbPNSt15iterator_traitsISK_E10value_typeEPNSQ_ISL_E10value_typeEPSM_NS1_7vsmem_tEENKUlT_SK_SL_SM_E_clISE_PxSF_SF_EESJ_SZ_SK_SL_SM_EUlSZ_E1_NS1_11comp_targetILNS1_3genE10ELNS1_11target_archE1201ELNS1_3gpuE5ELNS1_3repE0EEENS1_36merge_oddeven_config_static_selectorELNS0_4arch9wavefront6targetE1EEEvSL_.kd
    .uniform_work_group_size: 1
    .uses_dynamic_stack: false
    .vgpr_count:     0
    .vgpr_spill_count: 0
    .wavefront_size: 64
  - .agpr_count:     0
    .args:
      - .offset:         0
        .size:           48
        .value_kind:     by_value
    .group_segment_fixed_size: 0
    .kernarg_segment_align: 8
    .kernarg_segment_size: 48
    .language:       OpenCL C
    .language_version:
      - 2
      - 0
    .max_flat_workgroup_size: 256
    .name:           _ZN7rocprim17ROCPRIM_400000_NS6detail17trampoline_kernelINS0_14default_configENS1_38merge_sort_block_merge_config_selectorIxNS0_10empty_typeEEEZZNS1_27merge_sort_block_merge_implIS3_N6thrust23THRUST_200600_302600_NS6detail15normal_iteratorINS9_10device_ptrIxEEEEPS5_jNS1_19radix_merge_compareILb0ELb0ExNS0_19identity_decomposerEEEEE10hipError_tT0_T1_T2_jT3_P12ihipStream_tbPNSt15iterator_traitsISK_E10value_typeEPNSQ_ISL_E10value_typeEPSM_NS1_7vsmem_tEENKUlT_SK_SL_SM_E_clISE_PxSF_SF_EESJ_SZ_SK_SL_SM_EUlSZ_E1_NS1_11comp_targetILNS1_3genE5ELNS1_11target_archE942ELNS1_3gpuE9ELNS1_3repE0EEENS1_36merge_oddeven_config_static_selectorELNS0_4arch9wavefront6targetE1EEEvSL_
    .private_segment_fixed_size: 0
    .sgpr_count:     25
    .sgpr_spill_count: 0
    .symbol:         _ZN7rocprim17ROCPRIM_400000_NS6detail17trampoline_kernelINS0_14default_configENS1_38merge_sort_block_merge_config_selectorIxNS0_10empty_typeEEEZZNS1_27merge_sort_block_merge_implIS3_N6thrust23THRUST_200600_302600_NS6detail15normal_iteratorINS9_10device_ptrIxEEEEPS5_jNS1_19radix_merge_compareILb0ELb0ExNS0_19identity_decomposerEEEEE10hipError_tT0_T1_T2_jT3_P12ihipStream_tbPNSt15iterator_traitsISK_E10value_typeEPNSQ_ISL_E10value_typeEPSM_NS1_7vsmem_tEENKUlT_SK_SL_SM_E_clISE_PxSF_SF_EESJ_SZ_SK_SL_SM_EUlSZ_E1_NS1_11comp_targetILNS1_3genE5ELNS1_11target_archE942ELNS1_3gpuE9ELNS1_3repE0EEENS1_36merge_oddeven_config_static_selectorELNS0_4arch9wavefront6targetE1EEEvSL_.kd
    .uniform_work_group_size: 1
    .uses_dynamic_stack: false
    .vgpr_count:     11
    .vgpr_spill_count: 0
    .wavefront_size: 64
  - .agpr_count:     0
    .args:
      - .offset:         0
        .size:           48
        .value_kind:     by_value
    .group_segment_fixed_size: 0
    .kernarg_segment_align: 8
    .kernarg_segment_size: 48
    .language:       OpenCL C
    .language_version:
      - 2
      - 0
    .max_flat_workgroup_size: 256
    .name:           _ZN7rocprim17ROCPRIM_400000_NS6detail17trampoline_kernelINS0_14default_configENS1_38merge_sort_block_merge_config_selectorIxNS0_10empty_typeEEEZZNS1_27merge_sort_block_merge_implIS3_N6thrust23THRUST_200600_302600_NS6detail15normal_iteratorINS9_10device_ptrIxEEEEPS5_jNS1_19radix_merge_compareILb0ELb0ExNS0_19identity_decomposerEEEEE10hipError_tT0_T1_T2_jT3_P12ihipStream_tbPNSt15iterator_traitsISK_E10value_typeEPNSQ_ISL_E10value_typeEPSM_NS1_7vsmem_tEENKUlT_SK_SL_SM_E_clISE_PxSF_SF_EESJ_SZ_SK_SL_SM_EUlSZ_E1_NS1_11comp_targetILNS1_3genE4ELNS1_11target_archE910ELNS1_3gpuE8ELNS1_3repE0EEENS1_36merge_oddeven_config_static_selectorELNS0_4arch9wavefront6targetE1EEEvSL_
    .private_segment_fixed_size: 0
    .sgpr_count:     6
    .sgpr_spill_count: 0
    .symbol:         _ZN7rocprim17ROCPRIM_400000_NS6detail17trampoline_kernelINS0_14default_configENS1_38merge_sort_block_merge_config_selectorIxNS0_10empty_typeEEEZZNS1_27merge_sort_block_merge_implIS3_N6thrust23THRUST_200600_302600_NS6detail15normal_iteratorINS9_10device_ptrIxEEEEPS5_jNS1_19radix_merge_compareILb0ELb0ExNS0_19identity_decomposerEEEEE10hipError_tT0_T1_T2_jT3_P12ihipStream_tbPNSt15iterator_traitsISK_E10value_typeEPNSQ_ISL_E10value_typeEPSM_NS1_7vsmem_tEENKUlT_SK_SL_SM_E_clISE_PxSF_SF_EESJ_SZ_SK_SL_SM_EUlSZ_E1_NS1_11comp_targetILNS1_3genE4ELNS1_11target_archE910ELNS1_3gpuE8ELNS1_3repE0EEENS1_36merge_oddeven_config_static_selectorELNS0_4arch9wavefront6targetE1EEEvSL_.kd
    .uniform_work_group_size: 1
    .uses_dynamic_stack: false
    .vgpr_count:     0
    .vgpr_spill_count: 0
    .wavefront_size: 64
  - .agpr_count:     0
    .args:
      - .offset:         0
        .size:           48
        .value_kind:     by_value
    .group_segment_fixed_size: 0
    .kernarg_segment_align: 8
    .kernarg_segment_size: 48
    .language:       OpenCL C
    .language_version:
      - 2
      - 0
    .max_flat_workgroup_size: 256
    .name:           _ZN7rocprim17ROCPRIM_400000_NS6detail17trampoline_kernelINS0_14default_configENS1_38merge_sort_block_merge_config_selectorIxNS0_10empty_typeEEEZZNS1_27merge_sort_block_merge_implIS3_N6thrust23THRUST_200600_302600_NS6detail15normal_iteratorINS9_10device_ptrIxEEEEPS5_jNS1_19radix_merge_compareILb0ELb0ExNS0_19identity_decomposerEEEEE10hipError_tT0_T1_T2_jT3_P12ihipStream_tbPNSt15iterator_traitsISK_E10value_typeEPNSQ_ISL_E10value_typeEPSM_NS1_7vsmem_tEENKUlT_SK_SL_SM_E_clISE_PxSF_SF_EESJ_SZ_SK_SL_SM_EUlSZ_E1_NS1_11comp_targetILNS1_3genE3ELNS1_11target_archE908ELNS1_3gpuE7ELNS1_3repE0EEENS1_36merge_oddeven_config_static_selectorELNS0_4arch9wavefront6targetE1EEEvSL_
    .private_segment_fixed_size: 0
    .sgpr_count:     6
    .sgpr_spill_count: 0
    .symbol:         _ZN7rocprim17ROCPRIM_400000_NS6detail17trampoline_kernelINS0_14default_configENS1_38merge_sort_block_merge_config_selectorIxNS0_10empty_typeEEEZZNS1_27merge_sort_block_merge_implIS3_N6thrust23THRUST_200600_302600_NS6detail15normal_iteratorINS9_10device_ptrIxEEEEPS5_jNS1_19radix_merge_compareILb0ELb0ExNS0_19identity_decomposerEEEEE10hipError_tT0_T1_T2_jT3_P12ihipStream_tbPNSt15iterator_traitsISK_E10value_typeEPNSQ_ISL_E10value_typeEPSM_NS1_7vsmem_tEENKUlT_SK_SL_SM_E_clISE_PxSF_SF_EESJ_SZ_SK_SL_SM_EUlSZ_E1_NS1_11comp_targetILNS1_3genE3ELNS1_11target_archE908ELNS1_3gpuE7ELNS1_3repE0EEENS1_36merge_oddeven_config_static_selectorELNS0_4arch9wavefront6targetE1EEEvSL_.kd
    .uniform_work_group_size: 1
    .uses_dynamic_stack: false
    .vgpr_count:     0
    .vgpr_spill_count: 0
    .wavefront_size: 64
  - .agpr_count:     0
    .args:
      - .offset:         0
        .size:           48
        .value_kind:     by_value
    .group_segment_fixed_size: 0
    .kernarg_segment_align: 8
    .kernarg_segment_size: 48
    .language:       OpenCL C
    .language_version:
      - 2
      - 0
    .max_flat_workgroup_size: 256
    .name:           _ZN7rocprim17ROCPRIM_400000_NS6detail17trampoline_kernelINS0_14default_configENS1_38merge_sort_block_merge_config_selectorIxNS0_10empty_typeEEEZZNS1_27merge_sort_block_merge_implIS3_N6thrust23THRUST_200600_302600_NS6detail15normal_iteratorINS9_10device_ptrIxEEEEPS5_jNS1_19radix_merge_compareILb0ELb0ExNS0_19identity_decomposerEEEEE10hipError_tT0_T1_T2_jT3_P12ihipStream_tbPNSt15iterator_traitsISK_E10value_typeEPNSQ_ISL_E10value_typeEPSM_NS1_7vsmem_tEENKUlT_SK_SL_SM_E_clISE_PxSF_SF_EESJ_SZ_SK_SL_SM_EUlSZ_E1_NS1_11comp_targetILNS1_3genE2ELNS1_11target_archE906ELNS1_3gpuE6ELNS1_3repE0EEENS1_36merge_oddeven_config_static_selectorELNS0_4arch9wavefront6targetE1EEEvSL_
    .private_segment_fixed_size: 0
    .sgpr_count:     6
    .sgpr_spill_count: 0
    .symbol:         _ZN7rocprim17ROCPRIM_400000_NS6detail17trampoline_kernelINS0_14default_configENS1_38merge_sort_block_merge_config_selectorIxNS0_10empty_typeEEEZZNS1_27merge_sort_block_merge_implIS3_N6thrust23THRUST_200600_302600_NS6detail15normal_iteratorINS9_10device_ptrIxEEEEPS5_jNS1_19radix_merge_compareILb0ELb0ExNS0_19identity_decomposerEEEEE10hipError_tT0_T1_T2_jT3_P12ihipStream_tbPNSt15iterator_traitsISK_E10value_typeEPNSQ_ISL_E10value_typeEPSM_NS1_7vsmem_tEENKUlT_SK_SL_SM_E_clISE_PxSF_SF_EESJ_SZ_SK_SL_SM_EUlSZ_E1_NS1_11comp_targetILNS1_3genE2ELNS1_11target_archE906ELNS1_3gpuE6ELNS1_3repE0EEENS1_36merge_oddeven_config_static_selectorELNS0_4arch9wavefront6targetE1EEEvSL_.kd
    .uniform_work_group_size: 1
    .uses_dynamic_stack: false
    .vgpr_count:     0
    .vgpr_spill_count: 0
    .wavefront_size: 64
  - .agpr_count:     0
    .args:
      - .offset:         0
        .size:           48
        .value_kind:     by_value
    .group_segment_fixed_size: 0
    .kernarg_segment_align: 8
    .kernarg_segment_size: 48
    .language:       OpenCL C
    .language_version:
      - 2
      - 0
    .max_flat_workgroup_size: 256
    .name:           _ZN7rocprim17ROCPRIM_400000_NS6detail17trampoline_kernelINS0_14default_configENS1_38merge_sort_block_merge_config_selectorIxNS0_10empty_typeEEEZZNS1_27merge_sort_block_merge_implIS3_N6thrust23THRUST_200600_302600_NS6detail15normal_iteratorINS9_10device_ptrIxEEEEPS5_jNS1_19radix_merge_compareILb0ELb0ExNS0_19identity_decomposerEEEEE10hipError_tT0_T1_T2_jT3_P12ihipStream_tbPNSt15iterator_traitsISK_E10value_typeEPNSQ_ISL_E10value_typeEPSM_NS1_7vsmem_tEENKUlT_SK_SL_SM_E_clISE_PxSF_SF_EESJ_SZ_SK_SL_SM_EUlSZ_E1_NS1_11comp_targetILNS1_3genE9ELNS1_11target_archE1100ELNS1_3gpuE3ELNS1_3repE0EEENS1_36merge_oddeven_config_static_selectorELNS0_4arch9wavefront6targetE1EEEvSL_
    .private_segment_fixed_size: 0
    .sgpr_count:     6
    .sgpr_spill_count: 0
    .symbol:         _ZN7rocprim17ROCPRIM_400000_NS6detail17trampoline_kernelINS0_14default_configENS1_38merge_sort_block_merge_config_selectorIxNS0_10empty_typeEEEZZNS1_27merge_sort_block_merge_implIS3_N6thrust23THRUST_200600_302600_NS6detail15normal_iteratorINS9_10device_ptrIxEEEEPS5_jNS1_19radix_merge_compareILb0ELb0ExNS0_19identity_decomposerEEEEE10hipError_tT0_T1_T2_jT3_P12ihipStream_tbPNSt15iterator_traitsISK_E10value_typeEPNSQ_ISL_E10value_typeEPSM_NS1_7vsmem_tEENKUlT_SK_SL_SM_E_clISE_PxSF_SF_EESJ_SZ_SK_SL_SM_EUlSZ_E1_NS1_11comp_targetILNS1_3genE9ELNS1_11target_archE1100ELNS1_3gpuE3ELNS1_3repE0EEENS1_36merge_oddeven_config_static_selectorELNS0_4arch9wavefront6targetE1EEEvSL_.kd
    .uniform_work_group_size: 1
    .uses_dynamic_stack: false
    .vgpr_count:     0
    .vgpr_spill_count: 0
    .wavefront_size: 64
  - .agpr_count:     0
    .args:
      - .offset:         0
        .size:           48
        .value_kind:     by_value
    .group_segment_fixed_size: 0
    .kernarg_segment_align: 8
    .kernarg_segment_size: 48
    .language:       OpenCL C
    .language_version:
      - 2
      - 0
    .max_flat_workgroup_size: 256
    .name:           _ZN7rocprim17ROCPRIM_400000_NS6detail17trampoline_kernelINS0_14default_configENS1_38merge_sort_block_merge_config_selectorIxNS0_10empty_typeEEEZZNS1_27merge_sort_block_merge_implIS3_N6thrust23THRUST_200600_302600_NS6detail15normal_iteratorINS9_10device_ptrIxEEEEPS5_jNS1_19radix_merge_compareILb0ELb0ExNS0_19identity_decomposerEEEEE10hipError_tT0_T1_T2_jT3_P12ihipStream_tbPNSt15iterator_traitsISK_E10value_typeEPNSQ_ISL_E10value_typeEPSM_NS1_7vsmem_tEENKUlT_SK_SL_SM_E_clISE_PxSF_SF_EESJ_SZ_SK_SL_SM_EUlSZ_E1_NS1_11comp_targetILNS1_3genE8ELNS1_11target_archE1030ELNS1_3gpuE2ELNS1_3repE0EEENS1_36merge_oddeven_config_static_selectorELNS0_4arch9wavefront6targetE1EEEvSL_
    .private_segment_fixed_size: 0
    .sgpr_count:     6
    .sgpr_spill_count: 0
    .symbol:         _ZN7rocprim17ROCPRIM_400000_NS6detail17trampoline_kernelINS0_14default_configENS1_38merge_sort_block_merge_config_selectorIxNS0_10empty_typeEEEZZNS1_27merge_sort_block_merge_implIS3_N6thrust23THRUST_200600_302600_NS6detail15normal_iteratorINS9_10device_ptrIxEEEEPS5_jNS1_19radix_merge_compareILb0ELb0ExNS0_19identity_decomposerEEEEE10hipError_tT0_T1_T2_jT3_P12ihipStream_tbPNSt15iterator_traitsISK_E10value_typeEPNSQ_ISL_E10value_typeEPSM_NS1_7vsmem_tEENKUlT_SK_SL_SM_E_clISE_PxSF_SF_EESJ_SZ_SK_SL_SM_EUlSZ_E1_NS1_11comp_targetILNS1_3genE8ELNS1_11target_archE1030ELNS1_3gpuE2ELNS1_3repE0EEENS1_36merge_oddeven_config_static_selectorELNS0_4arch9wavefront6targetE1EEEvSL_.kd
    .uniform_work_group_size: 1
    .uses_dynamic_stack: false
    .vgpr_count:     0
    .vgpr_spill_count: 0
    .wavefront_size: 64
  - .agpr_count:     0
    .args:
      - .offset:         0
        .size:           40
        .value_kind:     by_value
    .group_segment_fixed_size: 0
    .kernarg_segment_align: 8
    .kernarg_segment_size: 40
    .language:       OpenCL C
    .language_version:
      - 2
      - 0
    .max_flat_workgroup_size: 128
    .name:           _ZN7rocprim17ROCPRIM_400000_NS6detail17trampoline_kernelINS0_14default_configENS1_25transform_config_selectorIxLb0EEEZNS1_14transform_implILb0ES3_S5_PxN6thrust23THRUST_200600_302600_NS6detail15normal_iteratorINS9_10device_ptrIxEEEENS0_8identityIxEEEE10hipError_tT2_T3_mT4_P12ihipStream_tbEUlT_E_NS1_11comp_targetILNS1_3genE0ELNS1_11target_archE4294967295ELNS1_3gpuE0ELNS1_3repE0EEENS1_30default_config_static_selectorELNS0_4arch9wavefront6targetE1EEEvT1_
    .private_segment_fixed_size: 0
    .sgpr_count:     6
    .sgpr_spill_count: 0
    .symbol:         _ZN7rocprim17ROCPRIM_400000_NS6detail17trampoline_kernelINS0_14default_configENS1_25transform_config_selectorIxLb0EEEZNS1_14transform_implILb0ES3_S5_PxN6thrust23THRUST_200600_302600_NS6detail15normal_iteratorINS9_10device_ptrIxEEEENS0_8identityIxEEEE10hipError_tT2_T3_mT4_P12ihipStream_tbEUlT_E_NS1_11comp_targetILNS1_3genE0ELNS1_11target_archE4294967295ELNS1_3gpuE0ELNS1_3repE0EEENS1_30default_config_static_selectorELNS0_4arch9wavefront6targetE1EEEvT1_.kd
    .uniform_work_group_size: 1
    .uses_dynamic_stack: false
    .vgpr_count:     0
    .vgpr_spill_count: 0
    .wavefront_size: 64
  - .agpr_count:     0
    .args:
      - .offset:         0
        .size:           40
        .value_kind:     by_value
      - .offset:         40
        .size:           4
        .value_kind:     hidden_block_count_x
      - .offset:         44
        .size:           4
        .value_kind:     hidden_block_count_y
      - .offset:         48
        .size:           4
        .value_kind:     hidden_block_count_z
      - .offset:         52
        .size:           2
        .value_kind:     hidden_group_size_x
      - .offset:         54
        .size:           2
        .value_kind:     hidden_group_size_y
      - .offset:         56
        .size:           2
        .value_kind:     hidden_group_size_z
      - .offset:         58
        .size:           2
        .value_kind:     hidden_remainder_x
      - .offset:         60
        .size:           2
        .value_kind:     hidden_remainder_y
      - .offset:         62
        .size:           2
        .value_kind:     hidden_remainder_z
      - .offset:         80
        .size:           8
        .value_kind:     hidden_global_offset_x
      - .offset:         88
        .size:           8
        .value_kind:     hidden_global_offset_y
      - .offset:         96
        .size:           8
        .value_kind:     hidden_global_offset_z
      - .offset:         104
        .size:           2
        .value_kind:     hidden_grid_dims
    .group_segment_fixed_size: 0
    .kernarg_segment_align: 8
    .kernarg_segment_size: 296
    .language:       OpenCL C
    .language_version:
      - 2
      - 0
    .max_flat_workgroup_size: 512
    .name:           _ZN7rocprim17ROCPRIM_400000_NS6detail17trampoline_kernelINS0_14default_configENS1_25transform_config_selectorIxLb0EEEZNS1_14transform_implILb0ES3_S5_PxN6thrust23THRUST_200600_302600_NS6detail15normal_iteratorINS9_10device_ptrIxEEEENS0_8identityIxEEEE10hipError_tT2_T3_mT4_P12ihipStream_tbEUlT_E_NS1_11comp_targetILNS1_3genE5ELNS1_11target_archE942ELNS1_3gpuE9ELNS1_3repE0EEENS1_30default_config_static_selectorELNS0_4arch9wavefront6targetE1EEEvT1_
    .private_segment_fixed_size: 0
    .sgpr_count:     20
    .sgpr_spill_count: 0
    .symbol:         _ZN7rocprim17ROCPRIM_400000_NS6detail17trampoline_kernelINS0_14default_configENS1_25transform_config_selectorIxLb0EEEZNS1_14transform_implILb0ES3_S5_PxN6thrust23THRUST_200600_302600_NS6detail15normal_iteratorINS9_10device_ptrIxEEEENS0_8identityIxEEEE10hipError_tT2_T3_mT4_P12ihipStream_tbEUlT_E_NS1_11comp_targetILNS1_3genE5ELNS1_11target_archE942ELNS1_3gpuE9ELNS1_3repE0EEENS1_30default_config_static_selectorELNS0_4arch9wavefront6targetE1EEEvT1_.kd
    .uniform_work_group_size: 1
    .uses_dynamic_stack: false
    .vgpr_count:     12
    .vgpr_spill_count: 0
    .wavefront_size: 64
  - .agpr_count:     0
    .args:
      - .offset:         0
        .size:           40
        .value_kind:     by_value
    .group_segment_fixed_size: 0
    .kernarg_segment_align: 8
    .kernarg_segment_size: 40
    .language:       OpenCL C
    .language_version:
      - 2
      - 0
    .max_flat_workgroup_size: 256
    .name:           _ZN7rocprim17ROCPRIM_400000_NS6detail17trampoline_kernelINS0_14default_configENS1_25transform_config_selectorIxLb0EEEZNS1_14transform_implILb0ES3_S5_PxN6thrust23THRUST_200600_302600_NS6detail15normal_iteratorINS9_10device_ptrIxEEEENS0_8identityIxEEEE10hipError_tT2_T3_mT4_P12ihipStream_tbEUlT_E_NS1_11comp_targetILNS1_3genE4ELNS1_11target_archE910ELNS1_3gpuE8ELNS1_3repE0EEENS1_30default_config_static_selectorELNS0_4arch9wavefront6targetE1EEEvT1_
    .private_segment_fixed_size: 0
    .sgpr_count:     6
    .sgpr_spill_count: 0
    .symbol:         _ZN7rocprim17ROCPRIM_400000_NS6detail17trampoline_kernelINS0_14default_configENS1_25transform_config_selectorIxLb0EEEZNS1_14transform_implILb0ES3_S5_PxN6thrust23THRUST_200600_302600_NS6detail15normal_iteratorINS9_10device_ptrIxEEEENS0_8identityIxEEEE10hipError_tT2_T3_mT4_P12ihipStream_tbEUlT_E_NS1_11comp_targetILNS1_3genE4ELNS1_11target_archE910ELNS1_3gpuE8ELNS1_3repE0EEENS1_30default_config_static_selectorELNS0_4arch9wavefront6targetE1EEEvT1_.kd
    .uniform_work_group_size: 1
    .uses_dynamic_stack: false
    .vgpr_count:     0
    .vgpr_spill_count: 0
    .wavefront_size: 64
  - .agpr_count:     0
    .args:
      - .offset:         0
        .size:           40
        .value_kind:     by_value
    .group_segment_fixed_size: 0
    .kernarg_segment_align: 8
    .kernarg_segment_size: 40
    .language:       OpenCL C
    .language_version:
      - 2
      - 0
    .max_flat_workgroup_size: 128
    .name:           _ZN7rocprim17ROCPRIM_400000_NS6detail17trampoline_kernelINS0_14default_configENS1_25transform_config_selectorIxLb0EEEZNS1_14transform_implILb0ES3_S5_PxN6thrust23THRUST_200600_302600_NS6detail15normal_iteratorINS9_10device_ptrIxEEEENS0_8identityIxEEEE10hipError_tT2_T3_mT4_P12ihipStream_tbEUlT_E_NS1_11comp_targetILNS1_3genE3ELNS1_11target_archE908ELNS1_3gpuE7ELNS1_3repE0EEENS1_30default_config_static_selectorELNS0_4arch9wavefront6targetE1EEEvT1_
    .private_segment_fixed_size: 0
    .sgpr_count:     6
    .sgpr_spill_count: 0
    .symbol:         _ZN7rocprim17ROCPRIM_400000_NS6detail17trampoline_kernelINS0_14default_configENS1_25transform_config_selectorIxLb0EEEZNS1_14transform_implILb0ES3_S5_PxN6thrust23THRUST_200600_302600_NS6detail15normal_iteratorINS9_10device_ptrIxEEEENS0_8identityIxEEEE10hipError_tT2_T3_mT4_P12ihipStream_tbEUlT_E_NS1_11comp_targetILNS1_3genE3ELNS1_11target_archE908ELNS1_3gpuE7ELNS1_3repE0EEENS1_30default_config_static_selectorELNS0_4arch9wavefront6targetE1EEEvT1_.kd
    .uniform_work_group_size: 1
    .uses_dynamic_stack: false
    .vgpr_count:     0
    .vgpr_spill_count: 0
    .wavefront_size: 64
  - .agpr_count:     0
    .args:
      - .offset:         0
        .size:           40
        .value_kind:     by_value
    .group_segment_fixed_size: 0
    .kernarg_segment_align: 8
    .kernarg_segment_size: 40
    .language:       OpenCL C
    .language_version:
      - 2
      - 0
    .max_flat_workgroup_size: 512
    .name:           _ZN7rocprim17ROCPRIM_400000_NS6detail17trampoline_kernelINS0_14default_configENS1_25transform_config_selectorIxLb0EEEZNS1_14transform_implILb0ES3_S5_PxN6thrust23THRUST_200600_302600_NS6detail15normal_iteratorINS9_10device_ptrIxEEEENS0_8identityIxEEEE10hipError_tT2_T3_mT4_P12ihipStream_tbEUlT_E_NS1_11comp_targetILNS1_3genE2ELNS1_11target_archE906ELNS1_3gpuE6ELNS1_3repE0EEENS1_30default_config_static_selectorELNS0_4arch9wavefront6targetE1EEEvT1_
    .private_segment_fixed_size: 0
    .sgpr_count:     6
    .sgpr_spill_count: 0
    .symbol:         _ZN7rocprim17ROCPRIM_400000_NS6detail17trampoline_kernelINS0_14default_configENS1_25transform_config_selectorIxLb0EEEZNS1_14transform_implILb0ES3_S5_PxN6thrust23THRUST_200600_302600_NS6detail15normal_iteratorINS9_10device_ptrIxEEEENS0_8identityIxEEEE10hipError_tT2_T3_mT4_P12ihipStream_tbEUlT_E_NS1_11comp_targetILNS1_3genE2ELNS1_11target_archE906ELNS1_3gpuE6ELNS1_3repE0EEENS1_30default_config_static_selectorELNS0_4arch9wavefront6targetE1EEEvT1_.kd
    .uniform_work_group_size: 1
    .uses_dynamic_stack: false
    .vgpr_count:     0
    .vgpr_spill_count: 0
    .wavefront_size: 64
  - .agpr_count:     0
    .args:
      - .offset:         0
        .size:           40
        .value_kind:     by_value
    .group_segment_fixed_size: 0
    .kernarg_segment_align: 8
    .kernarg_segment_size: 40
    .language:       OpenCL C
    .language_version:
      - 2
      - 0
    .max_flat_workgroup_size: 1024
    .name:           _ZN7rocprim17ROCPRIM_400000_NS6detail17trampoline_kernelINS0_14default_configENS1_25transform_config_selectorIxLb0EEEZNS1_14transform_implILb0ES3_S5_PxN6thrust23THRUST_200600_302600_NS6detail15normal_iteratorINS9_10device_ptrIxEEEENS0_8identityIxEEEE10hipError_tT2_T3_mT4_P12ihipStream_tbEUlT_E_NS1_11comp_targetILNS1_3genE10ELNS1_11target_archE1201ELNS1_3gpuE5ELNS1_3repE0EEENS1_30default_config_static_selectorELNS0_4arch9wavefront6targetE1EEEvT1_
    .private_segment_fixed_size: 0
    .sgpr_count:     6
    .sgpr_spill_count: 0
    .symbol:         _ZN7rocprim17ROCPRIM_400000_NS6detail17trampoline_kernelINS0_14default_configENS1_25transform_config_selectorIxLb0EEEZNS1_14transform_implILb0ES3_S5_PxN6thrust23THRUST_200600_302600_NS6detail15normal_iteratorINS9_10device_ptrIxEEEENS0_8identityIxEEEE10hipError_tT2_T3_mT4_P12ihipStream_tbEUlT_E_NS1_11comp_targetILNS1_3genE10ELNS1_11target_archE1201ELNS1_3gpuE5ELNS1_3repE0EEENS1_30default_config_static_selectorELNS0_4arch9wavefront6targetE1EEEvT1_.kd
    .uniform_work_group_size: 1
    .uses_dynamic_stack: false
    .vgpr_count:     0
    .vgpr_spill_count: 0
    .wavefront_size: 64
  - .agpr_count:     0
    .args:
      - .offset:         0
        .size:           40
        .value_kind:     by_value
    .group_segment_fixed_size: 0
    .kernarg_segment_align: 8
    .kernarg_segment_size: 40
    .language:       OpenCL C
    .language_version:
      - 2
      - 0
    .max_flat_workgroup_size: 512
    .name:           _ZN7rocprim17ROCPRIM_400000_NS6detail17trampoline_kernelINS0_14default_configENS1_25transform_config_selectorIxLb0EEEZNS1_14transform_implILb0ES3_S5_PxN6thrust23THRUST_200600_302600_NS6detail15normal_iteratorINS9_10device_ptrIxEEEENS0_8identityIxEEEE10hipError_tT2_T3_mT4_P12ihipStream_tbEUlT_E_NS1_11comp_targetILNS1_3genE10ELNS1_11target_archE1200ELNS1_3gpuE4ELNS1_3repE0EEENS1_30default_config_static_selectorELNS0_4arch9wavefront6targetE1EEEvT1_
    .private_segment_fixed_size: 0
    .sgpr_count:     6
    .sgpr_spill_count: 0
    .symbol:         _ZN7rocprim17ROCPRIM_400000_NS6detail17trampoline_kernelINS0_14default_configENS1_25transform_config_selectorIxLb0EEEZNS1_14transform_implILb0ES3_S5_PxN6thrust23THRUST_200600_302600_NS6detail15normal_iteratorINS9_10device_ptrIxEEEENS0_8identityIxEEEE10hipError_tT2_T3_mT4_P12ihipStream_tbEUlT_E_NS1_11comp_targetILNS1_3genE10ELNS1_11target_archE1200ELNS1_3gpuE4ELNS1_3repE0EEENS1_30default_config_static_selectorELNS0_4arch9wavefront6targetE1EEEvT1_.kd
    .uniform_work_group_size: 1
    .uses_dynamic_stack: false
    .vgpr_count:     0
    .vgpr_spill_count: 0
    .wavefront_size: 64
  - .agpr_count:     0
    .args:
      - .offset:         0
        .size:           40
        .value_kind:     by_value
    .group_segment_fixed_size: 0
    .kernarg_segment_align: 8
    .kernarg_segment_size: 40
    .language:       OpenCL C
    .language_version:
      - 2
      - 0
    .max_flat_workgroup_size: 512
    .name:           _ZN7rocprim17ROCPRIM_400000_NS6detail17trampoline_kernelINS0_14default_configENS1_25transform_config_selectorIxLb0EEEZNS1_14transform_implILb0ES3_S5_PxN6thrust23THRUST_200600_302600_NS6detail15normal_iteratorINS9_10device_ptrIxEEEENS0_8identityIxEEEE10hipError_tT2_T3_mT4_P12ihipStream_tbEUlT_E_NS1_11comp_targetILNS1_3genE9ELNS1_11target_archE1100ELNS1_3gpuE3ELNS1_3repE0EEENS1_30default_config_static_selectorELNS0_4arch9wavefront6targetE1EEEvT1_
    .private_segment_fixed_size: 0
    .sgpr_count:     6
    .sgpr_spill_count: 0
    .symbol:         _ZN7rocprim17ROCPRIM_400000_NS6detail17trampoline_kernelINS0_14default_configENS1_25transform_config_selectorIxLb0EEEZNS1_14transform_implILb0ES3_S5_PxN6thrust23THRUST_200600_302600_NS6detail15normal_iteratorINS9_10device_ptrIxEEEENS0_8identityIxEEEE10hipError_tT2_T3_mT4_P12ihipStream_tbEUlT_E_NS1_11comp_targetILNS1_3genE9ELNS1_11target_archE1100ELNS1_3gpuE3ELNS1_3repE0EEENS1_30default_config_static_selectorELNS0_4arch9wavefront6targetE1EEEvT1_.kd
    .uniform_work_group_size: 1
    .uses_dynamic_stack: false
    .vgpr_count:     0
    .vgpr_spill_count: 0
    .wavefront_size: 64
  - .agpr_count:     0
    .args:
      - .offset:         0
        .size:           40
        .value_kind:     by_value
    .group_segment_fixed_size: 0
    .kernarg_segment_align: 8
    .kernarg_segment_size: 40
    .language:       OpenCL C
    .language_version:
      - 2
      - 0
    .max_flat_workgroup_size: 512
    .name:           _ZN7rocprim17ROCPRIM_400000_NS6detail17trampoline_kernelINS0_14default_configENS1_25transform_config_selectorIxLb0EEEZNS1_14transform_implILb0ES3_S5_PxN6thrust23THRUST_200600_302600_NS6detail15normal_iteratorINS9_10device_ptrIxEEEENS0_8identityIxEEEE10hipError_tT2_T3_mT4_P12ihipStream_tbEUlT_E_NS1_11comp_targetILNS1_3genE8ELNS1_11target_archE1030ELNS1_3gpuE2ELNS1_3repE0EEENS1_30default_config_static_selectorELNS0_4arch9wavefront6targetE1EEEvT1_
    .private_segment_fixed_size: 0
    .sgpr_count:     6
    .sgpr_spill_count: 0
    .symbol:         _ZN7rocprim17ROCPRIM_400000_NS6detail17trampoline_kernelINS0_14default_configENS1_25transform_config_selectorIxLb0EEEZNS1_14transform_implILb0ES3_S5_PxN6thrust23THRUST_200600_302600_NS6detail15normal_iteratorINS9_10device_ptrIxEEEENS0_8identityIxEEEE10hipError_tT2_T3_mT4_P12ihipStream_tbEUlT_E_NS1_11comp_targetILNS1_3genE8ELNS1_11target_archE1030ELNS1_3gpuE2ELNS1_3repE0EEENS1_30default_config_static_selectorELNS0_4arch9wavefront6targetE1EEEvT1_.kd
    .uniform_work_group_size: 1
    .uses_dynamic_stack: false
    .vgpr_count:     0
    .vgpr_spill_count: 0
    .wavefront_size: 64
  - .agpr_count:     0
    .args:
      - .offset:         0
        .size:           40
        .value_kind:     by_value
    .group_segment_fixed_size: 0
    .kernarg_segment_align: 8
    .kernarg_segment_size: 40
    .language:       OpenCL C
    .language_version:
      - 2
      - 0
    .max_flat_workgroup_size: 128
    .name:           _ZN7rocprim17ROCPRIM_400000_NS6detail17trampoline_kernelINS0_14default_configENS1_38merge_sort_block_merge_config_selectorIxNS0_10empty_typeEEEZZNS1_27merge_sort_block_merge_implIS3_N6thrust23THRUST_200600_302600_NS6detail15normal_iteratorINS9_10device_ptrIxEEEEPS5_jNS1_19radix_merge_compareILb0ELb1ExNS0_19identity_decomposerEEEEE10hipError_tT0_T1_T2_jT3_P12ihipStream_tbPNSt15iterator_traitsISK_E10value_typeEPNSQ_ISL_E10value_typeEPSM_NS1_7vsmem_tEENKUlT_SK_SL_SM_E_clIPxSE_SF_SF_EESJ_SZ_SK_SL_SM_EUlSZ_E_NS1_11comp_targetILNS1_3genE0ELNS1_11target_archE4294967295ELNS1_3gpuE0ELNS1_3repE0EEENS1_48merge_mergepath_partition_config_static_selectorELNS0_4arch9wavefront6targetE1EEEvSL_
    .private_segment_fixed_size: 0
    .sgpr_count:     6
    .sgpr_spill_count: 0
    .symbol:         _ZN7rocprim17ROCPRIM_400000_NS6detail17trampoline_kernelINS0_14default_configENS1_38merge_sort_block_merge_config_selectorIxNS0_10empty_typeEEEZZNS1_27merge_sort_block_merge_implIS3_N6thrust23THRUST_200600_302600_NS6detail15normal_iteratorINS9_10device_ptrIxEEEEPS5_jNS1_19radix_merge_compareILb0ELb1ExNS0_19identity_decomposerEEEEE10hipError_tT0_T1_T2_jT3_P12ihipStream_tbPNSt15iterator_traitsISK_E10value_typeEPNSQ_ISL_E10value_typeEPSM_NS1_7vsmem_tEENKUlT_SK_SL_SM_E_clIPxSE_SF_SF_EESJ_SZ_SK_SL_SM_EUlSZ_E_NS1_11comp_targetILNS1_3genE0ELNS1_11target_archE4294967295ELNS1_3gpuE0ELNS1_3repE0EEENS1_48merge_mergepath_partition_config_static_selectorELNS0_4arch9wavefront6targetE1EEEvSL_.kd
    .uniform_work_group_size: 1
    .uses_dynamic_stack: false
    .vgpr_count:     0
    .vgpr_spill_count: 0
    .wavefront_size: 64
  - .agpr_count:     0
    .args:
      - .offset:         0
        .size:           40
        .value_kind:     by_value
    .group_segment_fixed_size: 0
    .kernarg_segment_align: 8
    .kernarg_segment_size: 40
    .language:       OpenCL C
    .language_version:
      - 2
      - 0
    .max_flat_workgroup_size: 128
    .name:           _ZN7rocprim17ROCPRIM_400000_NS6detail17trampoline_kernelINS0_14default_configENS1_38merge_sort_block_merge_config_selectorIxNS0_10empty_typeEEEZZNS1_27merge_sort_block_merge_implIS3_N6thrust23THRUST_200600_302600_NS6detail15normal_iteratorINS9_10device_ptrIxEEEEPS5_jNS1_19radix_merge_compareILb0ELb1ExNS0_19identity_decomposerEEEEE10hipError_tT0_T1_T2_jT3_P12ihipStream_tbPNSt15iterator_traitsISK_E10value_typeEPNSQ_ISL_E10value_typeEPSM_NS1_7vsmem_tEENKUlT_SK_SL_SM_E_clIPxSE_SF_SF_EESJ_SZ_SK_SL_SM_EUlSZ_E_NS1_11comp_targetILNS1_3genE10ELNS1_11target_archE1201ELNS1_3gpuE5ELNS1_3repE0EEENS1_48merge_mergepath_partition_config_static_selectorELNS0_4arch9wavefront6targetE1EEEvSL_
    .private_segment_fixed_size: 0
    .sgpr_count:     6
    .sgpr_spill_count: 0
    .symbol:         _ZN7rocprim17ROCPRIM_400000_NS6detail17trampoline_kernelINS0_14default_configENS1_38merge_sort_block_merge_config_selectorIxNS0_10empty_typeEEEZZNS1_27merge_sort_block_merge_implIS3_N6thrust23THRUST_200600_302600_NS6detail15normal_iteratorINS9_10device_ptrIxEEEEPS5_jNS1_19radix_merge_compareILb0ELb1ExNS0_19identity_decomposerEEEEE10hipError_tT0_T1_T2_jT3_P12ihipStream_tbPNSt15iterator_traitsISK_E10value_typeEPNSQ_ISL_E10value_typeEPSM_NS1_7vsmem_tEENKUlT_SK_SL_SM_E_clIPxSE_SF_SF_EESJ_SZ_SK_SL_SM_EUlSZ_E_NS1_11comp_targetILNS1_3genE10ELNS1_11target_archE1201ELNS1_3gpuE5ELNS1_3repE0EEENS1_48merge_mergepath_partition_config_static_selectorELNS0_4arch9wavefront6targetE1EEEvSL_.kd
    .uniform_work_group_size: 1
    .uses_dynamic_stack: false
    .vgpr_count:     0
    .vgpr_spill_count: 0
    .wavefront_size: 64
  - .agpr_count:     0
    .args:
      - .offset:         0
        .size:           40
        .value_kind:     by_value
    .group_segment_fixed_size: 0
    .kernarg_segment_align: 8
    .kernarg_segment_size: 40
    .language:       OpenCL C
    .language_version:
      - 2
      - 0
    .max_flat_workgroup_size: 128
    .name:           _ZN7rocprim17ROCPRIM_400000_NS6detail17trampoline_kernelINS0_14default_configENS1_38merge_sort_block_merge_config_selectorIxNS0_10empty_typeEEEZZNS1_27merge_sort_block_merge_implIS3_N6thrust23THRUST_200600_302600_NS6detail15normal_iteratorINS9_10device_ptrIxEEEEPS5_jNS1_19radix_merge_compareILb0ELb1ExNS0_19identity_decomposerEEEEE10hipError_tT0_T1_T2_jT3_P12ihipStream_tbPNSt15iterator_traitsISK_E10value_typeEPNSQ_ISL_E10value_typeEPSM_NS1_7vsmem_tEENKUlT_SK_SL_SM_E_clIPxSE_SF_SF_EESJ_SZ_SK_SL_SM_EUlSZ_E_NS1_11comp_targetILNS1_3genE5ELNS1_11target_archE942ELNS1_3gpuE9ELNS1_3repE0EEENS1_48merge_mergepath_partition_config_static_selectorELNS0_4arch9wavefront6targetE1EEEvSL_
    .private_segment_fixed_size: 0
    .sgpr_count:     16
    .sgpr_spill_count: 0
    .symbol:         _ZN7rocprim17ROCPRIM_400000_NS6detail17trampoline_kernelINS0_14default_configENS1_38merge_sort_block_merge_config_selectorIxNS0_10empty_typeEEEZZNS1_27merge_sort_block_merge_implIS3_N6thrust23THRUST_200600_302600_NS6detail15normal_iteratorINS9_10device_ptrIxEEEEPS5_jNS1_19radix_merge_compareILb0ELb1ExNS0_19identity_decomposerEEEEE10hipError_tT0_T1_T2_jT3_P12ihipStream_tbPNSt15iterator_traitsISK_E10value_typeEPNSQ_ISL_E10value_typeEPSM_NS1_7vsmem_tEENKUlT_SK_SL_SM_E_clIPxSE_SF_SF_EESJ_SZ_SK_SL_SM_EUlSZ_E_NS1_11comp_targetILNS1_3genE5ELNS1_11target_archE942ELNS1_3gpuE9ELNS1_3repE0EEENS1_48merge_mergepath_partition_config_static_selectorELNS0_4arch9wavefront6targetE1EEEvSL_.kd
    .uniform_work_group_size: 1
    .uses_dynamic_stack: false
    .vgpr_count:     16
    .vgpr_spill_count: 0
    .wavefront_size: 64
  - .agpr_count:     0
    .args:
      - .offset:         0
        .size:           40
        .value_kind:     by_value
    .group_segment_fixed_size: 0
    .kernarg_segment_align: 8
    .kernarg_segment_size: 40
    .language:       OpenCL C
    .language_version:
      - 2
      - 0
    .max_flat_workgroup_size: 128
    .name:           _ZN7rocprim17ROCPRIM_400000_NS6detail17trampoline_kernelINS0_14default_configENS1_38merge_sort_block_merge_config_selectorIxNS0_10empty_typeEEEZZNS1_27merge_sort_block_merge_implIS3_N6thrust23THRUST_200600_302600_NS6detail15normal_iteratorINS9_10device_ptrIxEEEEPS5_jNS1_19radix_merge_compareILb0ELb1ExNS0_19identity_decomposerEEEEE10hipError_tT0_T1_T2_jT3_P12ihipStream_tbPNSt15iterator_traitsISK_E10value_typeEPNSQ_ISL_E10value_typeEPSM_NS1_7vsmem_tEENKUlT_SK_SL_SM_E_clIPxSE_SF_SF_EESJ_SZ_SK_SL_SM_EUlSZ_E_NS1_11comp_targetILNS1_3genE4ELNS1_11target_archE910ELNS1_3gpuE8ELNS1_3repE0EEENS1_48merge_mergepath_partition_config_static_selectorELNS0_4arch9wavefront6targetE1EEEvSL_
    .private_segment_fixed_size: 0
    .sgpr_count:     6
    .sgpr_spill_count: 0
    .symbol:         _ZN7rocprim17ROCPRIM_400000_NS6detail17trampoline_kernelINS0_14default_configENS1_38merge_sort_block_merge_config_selectorIxNS0_10empty_typeEEEZZNS1_27merge_sort_block_merge_implIS3_N6thrust23THRUST_200600_302600_NS6detail15normal_iteratorINS9_10device_ptrIxEEEEPS5_jNS1_19radix_merge_compareILb0ELb1ExNS0_19identity_decomposerEEEEE10hipError_tT0_T1_T2_jT3_P12ihipStream_tbPNSt15iterator_traitsISK_E10value_typeEPNSQ_ISL_E10value_typeEPSM_NS1_7vsmem_tEENKUlT_SK_SL_SM_E_clIPxSE_SF_SF_EESJ_SZ_SK_SL_SM_EUlSZ_E_NS1_11comp_targetILNS1_3genE4ELNS1_11target_archE910ELNS1_3gpuE8ELNS1_3repE0EEENS1_48merge_mergepath_partition_config_static_selectorELNS0_4arch9wavefront6targetE1EEEvSL_.kd
    .uniform_work_group_size: 1
    .uses_dynamic_stack: false
    .vgpr_count:     0
    .vgpr_spill_count: 0
    .wavefront_size: 64
  - .agpr_count:     0
    .args:
      - .offset:         0
        .size:           40
        .value_kind:     by_value
    .group_segment_fixed_size: 0
    .kernarg_segment_align: 8
    .kernarg_segment_size: 40
    .language:       OpenCL C
    .language_version:
      - 2
      - 0
    .max_flat_workgroup_size: 128
    .name:           _ZN7rocprim17ROCPRIM_400000_NS6detail17trampoline_kernelINS0_14default_configENS1_38merge_sort_block_merge_config_selectorIxNS0_10empty_typeEEEZZNS1_27merge_sort_block_merge_implIS3_N6thrust23THRUST_200600_302600_NS6detail15normal_iteratorINS9_10device_ptrIxEEEEPS5_jNS1_19radix_merge_compareILb0ELb1ExNS0_19identity_decomposerEEEEE10hipError_tT0_T1_T2_jT3_P12ihipStream_tbPNSt15iterator_traitsISK_E10value_typeEPNSQ_ISL_E10value_typeEPSM_NS1_7vsmem_tEENKUlT_SK_SL_SM_E_clIPxSE_SF_SF_EESJ_SZ_SK_SL_SM_EUlSZ_E_NS1_11comp_targetILNS1_3genE3ELNS1_11target_archE908ELNS1_3gpuE7ELNS1_3repE0EEENS1_48merge_mergepath_partition_config_static_selectorELNS0_4arch9wavefront6targetE1EEEvSL_
    .private_segment_fixed_size: 0
    .sgpr_count:     6
    .sgpr_spill_count: 0
    .symbol:         _ZN7rocprim17ROCPRIM_400000_NS6detail17trampoline_kernelINS0_14default_configENS1_38merge_sort_block_merge_config_selectorIxNS0_10empty_typeEEEZZNS1_27merge_sort_block_merge_implIS3_N6thrust23THRUST_200600_302600_NS6detail15normal_iteratorINS9_10device_ptrIxEEEEPS5_jNS1_19radix_merge_compareILb0ELb1ExNS0_19identity_decomposerEEEEE10hipError_tT0_T1_T2_jT3_P12ihipStream_tbPNSt15iterator_traitsISK_E10value_typeEPNSQ_ISL_E10value_typeEPSM_NS1_7vsmem_tEENKUlT_SK_SL_SM_E_clIPxSE_SF_SF_EESJ_SZ_SK_SL_SM_EUlSZ_E_NS1_11comp_targetILNS1_3genE3ELNS1_11target_archE908ELNS1_3gpuE7ELNS1_3repE0EEENS1_48merge_mergepath_partition_config_static_selectorELNS0_4arch9wavefront6targetE1EEEvSL_.kd
    .uniform_work_group_size: 1
    .uses_dynamic_stack: false
    .vgpr_count:     0
    .vgpr_spill_count: 0
    .wavefront_size: 64
  - .agpr_count:     0
    .args:
      - .offset:         0
        .size:           40
        .value_kind:     by_value
    .group_segment_fixed_size: 0
    .kernarg_segment_align: 8
    .kernarg_segment_size: 40
    .language:       OpenCL C
    .language_version:
      - 2
      - 0
    .max_flat_workgroup_size: 128
    .name:           _ZN7rocprim17ROCPRIM_400000_NS6detail17trampoline_kernelINS0_14default_configENS1_38merge_sort_block_merge_config_selectorIxNS0_10empty_typeEEEZZNS1_27merge_sort_block_merge_implIS3_N6thrust23THRUST_200600_302600_NS6detail15normal_iteratorINS9_10device_ptrIxEEEEPS5_jNS1_19radix_merge_compareILb0ELb1ExNS0_19identity_decomposerEEEEE10hipError_tT0_T1_T2_jT3_P12ihipStream_tbPNSt15iterator_traitsISK_E10value_typeEPNSQ_ISL_E10value_typeEPSM_NS1_7vsmem_tEENKUlT_SK_SL_SM_E_clIPxSE_SF_SF_EESJ_SZ_SK_SL_SM_EUlSZ_E_NS1_11comp_targetILNS1_3genE2ELNS1_11target_archE906ELNS1_3gpuE6ELNS1_3repE0EEENS1_48merge_mergepath_partition_config_static_selectorELNS0_4arch9wavefront6targetE1EEEvSL_
    .private_segment_fixed_size: 0
    .sgpr_count:     6
    .sgpr_spill_count: 0
    .symbol:         _ZN7rocprim17ROCPRIM_400000_NS6detail17trampoline_kernelINS0_14default_configENS1_38merge_sort_block_merge_config_selectorIxNS0_10empty_typeEEEZZNS1_27merge_sort_block_merge_implIS3_N6thrust23THRUST_200600_302600_NS6detail15normal_iteratorINS9_10device_ptrIxEEEEPS5_jNS1_19radix_merge_compareILb0ELb1ExNS0_19identity_decomposerEEEEE10hipError_tT0_T1_T2_jT3_P12ihipStream_tbPNSt15iterator_traitsISK_E10value_typeEPNSQ_ISL_E10value_typeEPSM_NS1_7vsmem_tEENKUlT_SK_SL_SM_E_clIPxSE_SF_SF_EESJ_SZ_SK_SL_SM_EUlSZ_E_NS1_11comp_targetILNS1_3genE2ELNS1_11target_archE906ELNS1_3gpuE6ELNS1_3repE0EEENS1_48merge_mergepath_partition_config_static_selectorELNS0_4arch9wavefront6targetE1EEEvSL_.kd
    .uniform_work_group_size: 1
    .uses_dynamic_stack: false
    .vgpr_count:     0
    .vgpr_spill_count: 0
    .wavefront_size: 64
  - .agpr_count:     0
    .args:
      - .offset:         0
        .size:           40
        .value_kind:     by_value
    .group_segment_fixed_size: 0
    .kernarg_segment_align: 8
    .kernarg_segment_size: 40
    .language:       OpenCL C
    .language_version:
      - 2
      - 0
    .max_flat_workgroup_size: 128
    .name:           _ZN7rocprim17ROCPRIM_400000_NS6detail17trampoline_kernelINS0_14default_configENS1_38merge_sort_block_merge_config_selectorIxNS0_10empty_typeEEEZZNS1_27merge_sort_block_merge_implIS3_N6thrust23THRUST_200600_302600_NS6detail15normal_iteratorINS9_10device_ptrIxEEEEPS5_jNS1_19radix_merge_compareILb0ELb1ExNS0_19identity_decomposerEEEEE10hipError_tT0_T1_T2_jT3_P12ihipStream_tbPNSt15iterator_traitsISK_E10value_typeEPNSQ_ISL_E10value_typeEPSM_NS1_7vsmem_tEENKUlT_SK_SL_SM_E_clIPxSE_SF_SF_EESJ_SZ_SK_SL_SM_EUlSZ_E_NS1_11comp_targetILNS1_3genE9ELNS1_11target_archE1100ELNS1_3gpuE3ELNS1_3repE0EEENS1_48merge_mergepath_partition_config_static_selectorELNS0_4arch9wavefront6targetE1EEEvSL_
    .private_segment_fixed_size: 0
    .sgpr_count:     6
    .sgpr_spill_count: 0
    .symbol:         _ZN7rocprim17ROCPRIM_400000_NS6detail17trampoline_kernelINS0_14default_configENS1_38merge_sort_block_merge_config_selectorIxNS0_10empty_typeEEEZZNS1_27merge_sort_block_merge_implIS3_N6thrust23THRUST_200600_302600_NS6detail15normal_iteratorINS9_10device_ptrIxEEEEPS5_jNS1_19radix_merge_compareILb0ELb1ExNS0_19identity_decomposerEEEEE10hipError_tT0_T1_T2_jT3_P12ihipStream_tbPNSt15iterator_traitsISK_E10value_typeEPNSQ_ISL_E10value_typeEPSM_NS1_7vsmem_tEENKUlT_SK_SL_SM_E_clIPxSE_SF_SF_EESJ_SZ_SK_SL_SM_EUlSZ_E_NS1_11comp_targetILNS1_3genE9ELNS1_11target_archE1100ELNS1_3gpuE3ELNS1_3repE0EEENS1_48merge_mergepath_partition_config_static_selectorELNS0_4arch9wavefront6targetE1EEEvSL_.kd
    .uniform_work_group_size: 1
    .uses_dynamic_stack: false
    .vgpr_count:     0
    .vgpr_spill_count: 0
    .wavefront_size: 64
  - .agpr_count:     0
    .args:
      - .offset:         0
        .size:           40
        .value_kind:     by_value
    .group_segment_fixed_size: 0
    .kernarg_segment_align: 8
    .kernarg_segment_size: 40
    .language:       OpenCL C
    .language_version:
      - 2
      - 0
    .max_flat_workgroup_size: 128
    .name:           _ZN7rocprim17ROCPRIM_400000_NS6detail17trampoline_kernelINS0_14default_configENS1_38merge_sort_block_merge_config_selectorIxNS0_10empty_typeEEEZZNS1_27merge_sort_block_merge_implIS3_N6thrust23THRUST_200600_302600_NS6detail15normal_iteratorINS9_10device_ptrIxEEEEPS5_jNS1_19radix_merge_compareILb0ELb1ExNS0_19identity_decomposerEEEEE10hipError_tT0_T1_T2_jT3_P12ihipStream_tbPNSt15iterator_traitsISK_E10value_typeEPNSQ_ISL_E10value_typeEPSM_NS1_7vsmem_tEENKUlT_SK_SL_SM_E_clIPxSE_SF_SF_EESJ_SZ_SK_SL_SM_EUlSZ_E_NS1_11comp_targetILNS1_3genE8ELNS1_11target_archE1030ELNS1_3gpuE2ELNS1_3repE0EEENS1_48merge_mergepath_partition_config_static_selectorELNS0_4arch9wavefront6targetE1EEEvSL_
    .private_segment_fixed_size: 0
    .sgpr_count:     6
    .sgpr_spill_count: 0
    .symbol:         _ZN7rocprim17ROCPRIM_400000_NS6detail17trampoline_kernelINS0_14default_configENS1_38merge_sort_block_merge_config_selectorIxNS0_10empty_typeEEEZZNS1_27merge_sort_block_merge_implIS3_N6thrust23THRUST_200600_302600_NS6detail15normal_iteratorINS9_10device_ptrIxEEEEPS5_jNS1_19radix_merge_compareILb0ELb1ExNS0_19identity_decomposerEEEEE10hipError_tT0_T1_T2_jT3_P12ihipStream_tbPNSt15iterator_traitsISK_E10value_typeEPNSQ_ISL_E10value_typeEPSM_NS1_7vsmem_tEENKUlT_SK_SL_SM_E_clIPxSE_SF_SF_EESJ_SZ_SK_SL_SM_EUlSZ_E_NS1_11comp_targetILNS1_3genE8ELNS1_11target_archE1030ELNS1_3gpuE2ELNS1_3repE0EEENS1_48merge_mergepath_partition_config_static_selectorELNS0_4arch9wavefront6targetE1EEEvSL_.kd
    .uniform_work_group_size: 1
    .uses_dynamic_stack: false
    .vgpr_count:     0
    .vgpr_spill_count: 0
    .wavefront_size: 64
  - .agpr_count:     0
    .args:
      - .offset:         0
        .size:           72
        .value_kind:     by_value
    .group_segment_fixed_size: 0
    .kernarg_segment_align: 8
    .kernarg_segment_size: 72
    .language:       OpenCL C
    .language_version:
      - 2
      - 0
    .max_flat_workgroup_size: 128
    .name:           _ZN7rocprim17ROCPRIM_400000_NS6detail17trampoline_kernelINS0_14default_configENS1_38merge_sort_block_merge_config_selectorIxNS0_10empty_typeEEEZZNS1_27merge_sort_block_merge_implIS3_N6thrust23THRUST_200600_302600_NS6detail15normal_iteratorINS9_10device_ptrIxEEEEPS5_jNS1_19radix_merge_compareILb0ELb1ExNS0_19identity_decomposerEEEEE10hipError_tT0_T1_T2_jT3_P12ihipStream_tbPNSt15iterator_traitsISK_E10value_typeEPNSQ_ISL_E10value_typeEPSM_NS1_7vsmem_tEENKUlT_SK_SL_SM_E_clIPxSE_SF_SF_EESJ_SZ_SK_SL_SM_EUlSZ_E0_NS1_11comp_targetILNS1_3genE0ELNS1_11target_archE4294967295ELNS1_3gpuE0ELNS1_3repE0EEENS1_38merge_mergepath_config_static_selectorELNS0_4arch9wavefront6targetE1EEEvSL_
    .private_segment_fixed_size: 0
    .sgpr_count:     6
    .sgpr_spill_count: 0
    .symbol:         _ZN7rocprim17ROCPRIM_400000_NS6detail17trampoline_kernelINS0_14default_configENS1_38merge_sort_block_merge_config_selectorIxNS0_10empty_typeEEEZZNS1_27merge_sort_block_merge_implIS3_N6thrust23THRUST_200600_302600_NS6detail15normal_iteratorINS9_10device_ptrIxEEEEPS5_jNS1_19radix_merge_compareILb0ELb1ExNS0_19identity_decomposerEEEEE10hipError_tT0_T1_T2_jT3_P12ihipStream_tbPNSt15iterator_traitsISK_E10value_typeEPNSQ_ISL_E10value_typeEPSM_NS1_7vsmem_tEENKUlT_SK_SL_SM_E_clIPxSE_SF_SF_EESJ_SZ_SK_SL_SM_EUlSZ_E0_NS1_11comp_targetILNS1_3genE0ELNS1_11target_archE4294967295ELNS1_3gpuE0ELNS1_3repE0EEENS1_38merge_mergepath_config_static_selectorELNS0_4arch9wavefront6targetE1EEEvSL_.kd
    .uniform_work_group_size: 1
    .uses_dynamic_stack: false
    .vgpr_count:     0
    .vgpr_spill_count: 0
    .wavefront_size: 64
  - .agpr_count:     0
    .args:
      - .offset:         0
        .size:           72
        .value_kind:     by_value
    .group_segment_fixed_size: 0
    .kernarg_segment_align: 8
    .kernarg_segment_size: 72
    .language:       OpenCL C
    .language_version:
      - 2
      - 0
    .max_flat_workgroup_size: 512
    .name:           _ZN7rocprim17ROCPRIM_400000_NS6detail17trampoline_kernelINS0_14default_configENS1_38merge_sort_block_merge_config_selectorIxNS0_10empty_typeEEEZZNS1_27merge_sort_block_merge_implIS3_N6thrust23THRUST_200600_302600_NS6detail15normal_iteratorINS9_10device_ptrIxEEEEPS5_jNS1_19radix_merge_compareILb0ELb1ExNS0_19identity_decomposerEEEEE10hipError_tT0_T1_T2_jT3_P12ihipStream_tbPNSt15iterator_traitsISK_E10value_typeEPNSQ_ISL_E10value_typeEPSM_NS1_7vsmem_tEENKUlT_SK_SL_SM_E_clIPxSE_SF_SF_EESJ_SZ_SK_SL_SM_EUlSZ_E0_NS1_11comp_targetILNS1_3genE10ELNS1_11target_archE1201ELNS1_3gpuE5ELNS1_3repE0EEENS1_38merge_mergepath_config_static_selectorELNS0_4arch9wavefront6targetE1EEEvSL_
    .private_segment_fixed_size: 0
    .sgpr_count:     6
    .sgpr_spill_count: 0
    .symbol:         _ZN7rocprim17ROCPRIM_400000_NS6detail17trampoline_kernelINS0_14default_configENS1_38merge_sort_block_merge_config_selectorIxNS0_10empty_typeEEEZZNS1_27merge_sort_block_merge_implIS3_N6thrust23THRUST_200600_302600_NS6detail15normal_iteratorINS9_10device_ptrIxEEEEPS5_jNS1_19radix_merge_compareILb0ELb1ExNS0_19identity_decomposerEEEEE10hipError_tT0_T1_T2_jT3_P12ihipStream_tbPNSt15iterator_traitsISK_E10value_typeEPNSQ_ISL_E10value_typeEPSM_NS1_7vsmem_tEENKUlT_SK_SL_SM_E_clIPxSE_SF_SF_EESJ_SZ_SK_SL_SM_EUlSZ_E0_NS1_11comp_targetILNS1_3genE10ELNS1_11target_archE1201ELNS1_3gpuE5ELNS1_3repE0EEENS1_38merge_mergepath_config_static_selectorELNS0_4arch9wavefront6targetE1EEEvSL_.kd
    .uniform_work_group_size: 1
    .uses_dynamic_stack: false
    .vgpr_count:     0
    .vgpr_spill_count: 0
    .wavefront_size: 64
  - .agpr_count:     0
    .args:
      - .offset:         0
        .size:           72
        .value_kind:     by_value
      - .offset:         72
        .size:           4
        .value_kind:     hidden_block_count_x
      - .offset:         76
        .size:           4
        .value_kind:     hidden_block_count_y
      - .offset:         80
        .size:           4
        .value_kind:     hidden_block_count_z
      - .offset:         84
        .size:           2
        .value_kind:     hidden_group_size_x
      - .offset:         86
        .size:           2
        .value_kind:     hidden_group_size_y
      - .offset:         88
        .size:           2
        .value_kind:     hidden_group_size_z
      - .offset:         90
        .size:           2
        .value_kind:     hidden_remainder_x
      - .offset:         92
        .size:           2
        .value_kind:     hidden_remainder_y
      - .offset:         94
        .size:           2
        .value_kind:     hidden_remainder_z
      - .offset:         112
        .size:           8
        .value_kind:     hidden_global_offset_x
      - .offset:         120
        .size:           8
        .value_kind:     hidden_global_offset_y
      - .offset:         128
        .size:           8
        .value_kind:     hidden_global_offset_z
      - .offset:         136
        .size:           2
        .value_kind:     hidden_grid_dims
    .group_segment_fixed_size: 8448
    .kernarg_segment_align: 8
    .kernarg_segment_size: 328
    .language:       OpenCL C
    .language_version:
      - 2
      - 0
    .max_flat_workgroup_size: 128
    .name:           _ZN7rocprim17ROCPRIM_400000_NS6detail17trampoline_kernelINS0_14default_configENS1_38merge_sort_block_merge_config_selectorIxNS0_10empty_typeEEEZZNS1_27merge_sort_block_merge_implIS3_N6thrust23THRUST_200600_302600_NS6detail15normal_iteratorINS9_10device_ptrIxEEEEPS5_jNS1_19radix_merge_compareILb0ELb1ExNS0_19identity_decomposerEEEEE10hipError_tT0_T1_T2_jT3_P12ihipStream_tbPNSt15iterator_traitsISK_E10value_typeEPNSQ_ISL_E10value_typeEPSM_NS1_7vsmem_tEENKUlT_SK_SL_SM_E_clIPxSE_SF_SF_EESJ_SZ_SK_SL_SM_EUlSZ_E0_NS1_11comp_targetILNS1_3genE5ELNS1_11target_archE942ELNS1_3gpuE9ELNS1_3repE0EEENS1_38merge_mergepath_config_static_selectorELNS0_4arch9wavefront6targetE1EEEvSL_
    .private_segment_fixed_size: 0
    .sgpr_count:     30
    .sgpr_spill_count: 0
    .symbol:         _ZN7rocprim17ROCPRIM_400000_NS6detail17trampoline_kernelINS0_14default_configENS1_38merge_sort_block_merge_config_selectorIxNS0_10empty_typeEEEZZNS1_27merge_sort_block_merge_implIS3_N6thrust23THRUST_200600_302600_NS6detail15normal_iteratorINS9_10device_ptrIxEEEEPS5_jNS1_19radix_merge_compareILb0ELb1ExNS0_19identity_decomposerEEEEE10hipError_tT0_T1_T2_jT3_P12ihipStream_tbPNSt15iterator_traitsISK_E10value_typeEPNSQ_ISL_E10value_typeEPSM_NS1_7vsmem_tEENKUlT_SK_SL_SM_E_clIPxSE_SF_SF_EESJ_SZ_SK_SL_SM_EUlSZ_E0_NS1_11comp_targetILNS1_3genE5ELNS1_11target_archE942ELNS1_3gpuE9ELNS1_3repE0EEENS1_38merge_mergepath_config_static_selectorELNS0_4arch9wavefront6targetE1EEEvSL_.kd
    .uniform_work_group_size: 1
    .uses_dynamic_stack: false
    .vgpr_count:     34
    .vgpr_spill_count: 0
    .wavefront_size: 64
  - .agpr_count:     0
    .args:
      - .offset:         0
        .size:           72
        .value_kind:     by_value
    .group_segment_fixed_size: 0
    .kernarg_segment_align: 8
    .kernarg_segment_size: 72
    .language:       OpenCL C
    .language_version:
      - 2
      - 0
    .max_flat_workgroup_size: 256
    .name:           _ZN7rocprim17ROCPRIM_400000_NS6detail17trampoline_kernelINS0_14default_configENS1_38merge_sort_block_merge_config_selectorIxNS0_10empty_typeEEEZZNS1_27merge_sort_block_merge_implIS3_N6thrust23THRUST_200600_302600_NS6detail15normal_iteratorINS9_10device_ptrIxEEEEPS5_jNS1_19radix_merge_compareILb0ELb1ExNS0_19identity_decomposerEEEEE10hipError_tT0_T1_T2_jT3_P12ihipStream_tbPNSt15iterator_traitsISK_E10value_typeEPNSQ_ISL_E10value_typeEPSM_NS1_7vsmem_tEENKUlT_SK_SL_SM_E_clIPxSE_SF_SF_EESJ_SZ_SK_SL_SM_EUlSZ_E0_NS1_11comp_targetILNS1_3genE4ELNS1_11target_archE910ELNS1_3gpuE8ELNS1_3repE0EEENS1_38merge_mergepath_config_static_selectorELNS0_4arch9wavefront6targetE1EEEvSL_
    .private_segment_fixed_size: 0
    .sgpr_count:     6
    .sgpr_spill_count: 0
    .symbol:         _ZN7rocprim17ROCPRIM_400000_NS6detail17trampoline_kernelINS0_14default_configENS1_38merge_sort_block_merge_config_selectorIxNS0_10empty_typeEEEZZNS1_27merge_sort_block_merge_implIS3_N6thrust23THRUST_200600_302600_NS6detail15normal_iteratorINS9_10device_ptrIxEEEEPS5_jNS1_19radix_merge_compareILb0ELb1ExNS0_19identity_decomposerEEEEE10hipError_tT0_T1_T2_jT3_P12ihipStream_tbPNSt15iterator_traitsISK_E10value_typeEPNSQ_ISL_E10value_typeEPSM_NS1_7vsmem_tEENKUlT_SK_SL_SM_E_clIPxSE_SF_SF_EESJ_SZ_SK_SL_SM_EUlSZ_E0_NS1_11comp_targetILNS1_3genE4ELNS1_11target_archE910ELNS1_3gpuE8ELNS1_3repE0EEENS1_38merge_mergepath_config_static_selectorELNS0_4arch9wavefront6targetE1EEEvSL_.kd
    .uniform_work_group_size: 1
    .uses_dynamic_stack: false
    .vgpr_count:     0
    .vgpr_spill_count: 0
    .wavefront_size: 64
  - .agpr_count:     0
    .args:
      - .offset:         0
        .size:           72
        .value_kind:     by_value
    .group_segment_fixed_size: 0
    .kernarg_segment_align: 8
    .kernarg_segment_size: 72
    .language:       OpenCL C
    .language_version:
      - 2
      - 0
    .max_flat_workgroup_size: 128
    .name:           _ZN7rocprim17ROCPRIM_400000_NS6detail17trampoline_kernelINS0_14default_configENS1_38merge_sort_block_merge_config_selectorIxNS0_10empty_typeEEEZZNS1_27merge_sort_block_merge_implIS3_N6thrust23THRUST_200600_302600_NS6detail15normal_iteratorINS9_10device_ptrIxEEEEPS5_jNS1_19radix_merge_compareILb0ELb1ExNS0_19identity_decomposerEEEEE10hipError_tT0_T1_T2_jT3_P12ihipStream_tbPNSt15iterator_traitsISK_E10value_typeEPNSQ_ISL_E10value_typeEPSM_NS1_7vsmem_tEENKUlT_SK_SL_SM_E_clIPxSE_SF_SF_EESJ_SZ_SK_SL_SM_EUlSZ_E0_NS1_11comp_targetILNS1_3genE3ELNS1_11target_archE908ELNS1_3gpuE7ELNS1_3repE0EEENS1_38merge_mergepath_config_static_selectorELNS0_4arch9wavefront6targetE1EEEvSL_
    .private_segment_fixed_size: 0
    .sgpr_count:     6
    .sgpr_spill_count: 0
    .symbol:         _ZN7rocprim17ROCPRIM_400000_NS6detail17trampoline_kernelINS0_14default_configENS1_38merge_sort_block_merge_config_selectorIxNS0_10empty_typeEEEZZNS1_27merge_sort_block_merge_implIS3_N6thrust23THRUST_200600_302600_NS6detail15normal_iteratorINS9_10device_ptrIxEEEEPS5_jNS1_19radix_merge_compareILb0ELb1ExNS0_19identity_decomposerEEEEE10hipError_tT0_T1_T2_jT3_P12ihipStream_tbPNSt15iterator_traitsISK_E10value_typeEPNSQ_ISL_E10value_typeEPSM_NS1_7vsmem_tEENKUlT_SK_SL_SM_E_clIPxSE_SF_SF_EESJ_SZ_SK_SL_SM_EUlSZ_E0_NS1_11comp_targetILNS1_3genE3ELNS1_11target_archE908ELNS1_3gpuE7ELNS1_3repE0EEENS1_38merge_mergepath_config_static_selectorELNS0_4arch9wavefront6targetE1EEEvSL_.kd
    .uniform_work_group_size: 1
    .uses_dynamic_stack: false
    .vgpr_count:     0
    .vgpr_spill_count: 0
    .wavefront_size: 64
  - .agpr_count:     0
    .args:
      - .offset:         0
        .size:           72
        .value_kind:     by_value
    .group_segment_fixed_size: 0
    .kernarg_segment_align: 8
    .kernarg_segment_size: 72
    .language:       OpenCL C
    .language_version:
      - 2
      - 0
    .max_flat_workgroup_size: 256
    .name:           _ZN7rocprim17ROCPRIM_400000_NS6detail17trampoline_kernelINS0_14default_configENS1_38merge_sort_block_merge_config_selectorIxNS0_10empty_typeEEEZZNS1_27merge_sort_block_merge_implIS3_N6thrust23THRUST_200600_302600_NS6detail15normal_iteratorINS9_10device_ptrIxEEEEPS5_jNS1_19radix_merge_compareILb0ELb1ExNS0_19identity_decomposerEEEEE10hipError_tT0_T1_T2_jT3_P12ihipStream_tbPNSt15iterator_traitsISK_E10value_typeEPNSQ_ISL_E10value_typeEPSM_NS1_7vsmem_tEENKUlT_SK_SL_SM_E_clIPxSE_SF_SF_EESJ_SZ_SK_SL_SM_EUlSZ_E0_NS1_11comp_targetILNS1_3genE2ELNS1_11target_archE906ELNS1_3gpuE6ELNS1_3repE0EEENS1_38merge_mergepath_config_static_selectorELNS0_4arch9wavefront6targetE1EEEvSL_
    .private_segment_fixed_size: 0
    .sgpr_count:     6
    .sgpr_spill_count: 0
    .symbol:         _ZN7rocprim17ROCPRIM_400000_NS6detail17trampoline_kernelINS0_14default_configENS1_38merge_sort_block_merge_config_selectorIxNS0_10empty_typeEEEZZNS1_27merge_sort_block_merge_implIS3_N6thrust23THRUST_200600_302600_NS6detail15normal_iteratorINS9_10device_ptrIxEEEEPS5_jNS1_19radix_merge_compareILb0ELb1ExNS0_19identity_decomposerEEEEE10hipError_tT0_T1_T2_jT3_P12ihipStream_tbPNSt15iterator_traitsISK_E10value_typeEPNSQ_ISL_E10value_typeEPSM_NS1_7vsmem_tEENKUlT_SK_SL_SM_E_clIPxSE_SF_SF_EESJ_SZ_SK_SL_SM_EUlSZ_E0_NS1_11comp_targetILNS1_3genE2ELNS1_11target_archE906ELNS1_3gpuE6ELNS1_3repE0EEENS1_38merge_mergepath_config_static_selectorELNS0_4arch9wavefront6targetE1EEEvSL_.kd
    .uniform_work_group_size: 1
    .uses_dynamic_stack: false
    .vgpr_count:     0
    .vgpr_spill_count: 0
    .wavefront_size: 64
  - .agpr_count:     0
    .args:
      - .offset:         0
        .size:           72
        .value_kind:     by_value
    .group_segment_fixed_size: 0
    .kernarg_segment_align: 8
    .kernarg_segment_size: 72
    .language:       OpenCL C
    .language_version:
      - 2
      - 0
    .max_flat_workgroup_size: 512
    .name:           _ZN7rocprim17ROCPRIM_400000_NS6detail17trampoline_kernelINS0_14default_configENS1_38merge_sort_block_merge_config_selectorIxNS0_10empty_typeEEEZZNS1_27merge_sort_block_merge_implIS3_N6thrust23THRUST_200600_302600_NS6detail15normal_iteratorINS9_10device_ptrIxEEEEPS5_jNS1_19radix_merge_compareILb0ELb1ExNS0_19identity_decomposerEEEEE10hipError_tT0_T1_T2_jT3_P12ihipStream_tbPNSt15iterator_traitsISK_E10value_typeEPNSQ_ISL_E10value_typeEPSM_NS1_7vsmem_tEENKUlT_SK_SL_SM_E_clIPxSE_SF_SF_EESJ_SZ_SK_SL_SM_EUlSZ_E0_NS1_11comp_targetILNS1_3genE9ELNS1_11target_archE1100ELNS1_3gpuE3ELNS1_3repE0EEENS1_38merge_mergepath_config_static_selectorELNS0_4arch9wavefront6targetE1EEEvSL_
    .private_segment_fixed_size: 0
    .sgpr_count:     6
    .sgpr_spill_count: 0
    .symbol:         _ZN7rocprim17ROCPRIM_400000_NS6detail17trampoline_kernelINS0_14default_configENS1_38merge_sort_block_merge_config_selectorIxNS0_10empty_typeEEEZZNS1_27merge_sort_block_merge_implIS3_N6thrust23THRUST_200600_302600_NS6detail15normal_iteratorINS9_10device_ptrIxEEEEPS5_jNS1_19radix_merge_compareILb0ELb1ExNS0_19identity_decomposerEEEEE10hipError_tT0_T1_T2_jT3_P12ihipStream_tbPNSt15iterator_traitsISK_E10value_typeEPNSQ_ISL_E10value_typeEPSM_NS1_7vsmem_tEENKUlT_SK_SL_SM_E_clIPxSE_SF_SF_EESJ_SZ_SK_SL_SM_EUlSZ_E0_NS1_11comp_targetILNS1_3genE9ELNS1_11target_archE1100ELNS1_3gpuE3ELNS1_3repE0EEENS1_38merge_mergepath_config_static_selectorELNS0_4arch9wavefront6targetE1EEEvSL_.kd
    .uniform_work_group_size: 1
    .uses_dynamic_stack: false
    .vgpr_count:     0
    .vgpr_spill_count: 0
    .wavefront_size: 64
  - .agpr_count:     0
    .args:
      - .offset:         0
        .size:           72
        .value_kind:     by_value
    .group_segment_fixed_size: 0
    .kernarg_segment_align: 8
    .kernarg_segment_size: 72
    .language:       OpenCL C
    .language_version:
      - 2
      - 0
    .max_flat_workgroup_size: 1024
    .name:           _ZN7rocprim17ROCPRIM_400000_NS6detail17trampoline_kernelINS0_14default_configENS1_38merge_sort_block_merge_config_selectorIxNS0_10empty_typeEEEZZNS1_27merge_sort_block_merge_implIS3_N6thrust23THRUST_200600_302600_NS6detail15normal_iteratorINS9_10device_ptrIxEEEEPS5_jNS1_19radix_merge_compareILb0ELb1ExNS0_19identity_decomposerEEEEE10hipError_tT0_T1_T2_jT3_P12ihipStream_tbPNSt15iterator_traitsISK_E10value_typeEPNSQ_ISL_E10value_typeEPSM_NS1_7vsmem_tEENKUlT_SK_SL_SM_E_clIPxSE_SF_SF_EESJ_SZ_SK_SL_SM_EUlSZ_E0_NS1_11comp_targetILNS1_3genE8ELNS1_11target_archE1030ELNS1_3gpuE2ELNS1_3repE0EEENS1_38merge_mergepath_config_static_selectorELNS0_4arch9wavefront6targetE1EEEvSL_
    .private_segment_fixed_size: 0
    .sgpr_count:     6
    .sgpr_spill_count: 0
    .symbol:         _ZN7rocprim17ROCPRIM_400000_NS6detail17trampoline_kernelINS0_14default_configENS1_38merge_sort_block_merge_config_selectorIxNS0_10empty_typeEEEZZNS1_27merge_sort_block_merge_implIS3_N6thrust23THRUST_200600_302600_NS6detail15normal_iteratorINS9_10device_ptrIxEEEEPS5_jNS1_19radix_merge_compareILb0ELb1ExNS0_19identity_decomposerEEEEE10hipError_tT0_T1_T2_jT3_P12ihipStream_tbPNSt15iterator_traitsISK_E10value_typeEPNSQ_ISL_E10value_typeEPSM_NS1_7vsmem_tEENKUlT_SK_SL_SM_E_clIPxSE_SF_SF_EESJ_SZ_SK_SL_SM_EUlSZ_E0_NS1_11comp_targetILNS1_3genE8ELNS1_11target_archE1030ELNS1_3gpuE2ELNS1_3repE0EEENS1_38merge_mergepath_config_static_selectorELNS0_4arch9wavefront6targetE1EEEvSL_.kd
    .uniform_work_group_size: 1
    .uses_dynamic_stack: false
    .vgpr_count:     0
    .vgpr_spill_count: 0
    .wavefront_size: 64
  - .agpr_count:     0
    .args:
      - .offset:         0
        .size:           48
        .value_kind:     by_value
    .group_segment_fixed_size: 0
    .kernarg_segment_align: 8
    .kernarg_segment_size: 48
    .language:       OpenCL C
    .language_version:
      - 2
      - 0
    .max_flat_workgroup_size: 256
    .name:           _ZN7rocprim17ROCPRIM_400000_NS6detail17trampoline_kernelINS0_14default_configENS1_38merge_sort_block_merge_config_selectorIxNS0_10empty_typeEEEZZNS1_27merge_sort_block_merge_implIS3_N6thrust23THRUST_200600_302600_NS6detail15normal_iteratorINS9_10device_ptrIxEEEEPS5_jNS1_19radix_merge_compareILb0ELb1ExNS0_19identity_decomposerEEEEE10hipError_tT0_T1_T2_jT3_P12ihipStream_tbPNSt15iterator_traitsISK_E10value_typeEPNSQ_ISL_E10value_typeEPSM_NS1_7vsmem_tEENKUlT_SK_SL_SM_E_clIPxSE_SF_SF_EESJ_SZ_SK_SL_SM_EUlSZ_E1_NS1_11comp_targetILNS1_3genE0ELNS1_11target_archE4294967295ELNS1_3gpuE0ELNS1_3repE0EEENS1_36merge_oddeven_config_static_selectorELNS0_4arch9wavefront6targetE1EEEvSL_
    .private_segment_fixed_size: 0
    .sgpr_count:     6
    .sgpr_spill_count: 0
    .symbol:         _ZN7rocprim17ROCPRIM_400000_NS6detail17trampoline_kernelINS0_14default_configENS1_38merge_sort_block_merge_config_selectorIxNS0_10empty_typeEEEZZNS1_27merge_sort_block_merge_implIS3_N6thrust23THRUST_200600_302600_NS6detail15normal_iteratorINS9_10device_ptrIxEEEEPS5_jNS1_19radix_merge_compareILb0ELb1ExNS0_19identity_decomposerEEEEE10hipError_tT0_T1_T2_jT3_P12ihipStream_tbPNSt15iterator_traitsISK_E10value_typeEPNSQ_ISL_E10value_typeEPSM_NS1_7vsmem_tEENKUlT_SK_SL_SM_E_clIPxSE_SF_SF_EESJ_SZ_SK_SL_SM_EUlSZ_E1_NS1_11comp_targetILNS1_3genE0ELNS1_11target_archE4294967295ELNS1_3gpuE0ELNS1_3repE0EEENS1_36merge_oddeven_config_static_selectorELNS0_4arch9wavefront6targetE1EEEvSL_.kd
    .uniform_work_group_size: 1
    .uses_dynamic_stack: false
    .vgpr_count:     0
    .vgpr_spill_count: 0
    .wavefront_size: 64
  - .agpr_count:     0
    .args:
      - .offset:         0
        .size:           48
        .value_kind:     by_value
    .group_segment_fixed_size: 0
    .kernarg_segment_align: 8
    .kernarg_segment_size: 48
    .language:       OpenCL C
    .language_version:
      - 2
      - 0
    .max_flat_workgroup_size: 256
    .name:           _ZN7rocprim17ROCPRIM_400000_NS6detail17trampoline_kernelINS0_14default_configENS1_38merge_sort_block_merge_config_selectorIxNS0_10empty_typeEEEZZNS1_27merge_sort_block_merge_implIS3_N6thrust23THRUST_200600_302600_NS6detail15normal_iteratorINS9_10device_ptrIxEEEEPS5_jNS1_19radix_merge_compareILb0ELb1ExNS0_19identity_decomposerEEEEE10hipError_tT0_T1_T2_jT3_P12ihipStream_tbPNSt15iterator_traitsISK_E10value_typeEPNSQ_ISL_E10value_typeEPSM_NS1_7vsmem_tEENKUlT_SK_SL_SM_E_clIPxSE_SF_SF_EESJ_SZ_SK_SL_SM_EUlSZ_E1_NS1_11comp_targetILNS1_3genE10ELNS1_11target_archE1201ELNS1_3gpuE5ELNS1_3repE0EEENS1_36merge_oddeven_config_static_selectorELNS0_4arch9wavefront6targetE1EEEvSL_
    .private_segment_fixed_size: 0
    .sgpr_count:     6
    .sgpr_spill_count: 0
    .symbol:         _ZN7rocprim17ROCPRIM_400000_NS6detail17trampoline_kernelINS0_14default_configENS1_38merge_sort_block_merge_config_selectorIxNS0_10empty_typeEEEZZNS1_27merge_sort_block_merge_implIS3_N6thrust23THRUST_200600_302600_NS6detail15normal_iteratorINS9_10device_ptrIxEEEEPS5_jNS1_19radix_merge_compareILb0ELb1ExNS0_19identity_decomposerEEEEE10hipError_tT0_T1_T2_jT3_P12ihipStream_tbPNSt15iterator_traitsISK_E10value_typeEPNSQ_ISL_E10value_typeEPSM_NS1_7vsmem_tEENKUlT_SK_SL_SM_E_clIPxSE_SF_SF_EESJ_SZ_SK_SL_SM_EUlSZ_E1_NS1_11comp_targetILNS1_3genE10ELNS1_11target_archE1201ELNS1_3gpuE5ELNS1_3repE0EEENS1_36merge_oddeven_config_static_selectorELNS0_4arch9wavefront6targetE1EEEvSL_.kd
    .uniform_work_group_size: 1
    .uses_dynamic_stack: false
    .vgpr_count:     0
    .vgpr_spill_count: 0
    .wavefront_size: 64
  - .agpr_count:     0
    .args:
      - .offset:         0
        .size:           48
        .value_kind:     by_value
    .group_segment_fixed_size: 0
    .kernarg_segment_align: 8
    .kernarg_segment_size: 48
    .language:       OpenCL C
    .language_version:
      - 2
      - 0
    .max_flat_workgroup_size: 256
    .name:           _ZN7rocprim17ROCPRIM_400000_NS6detail17trampoline_kernelINS0_14default_configENS1_38merge_sort_block_merge_config_selectorIxNS0_10empty_typeEEEZZNS1_27merge_sort_block_merge_implIS3_N6thrust23THRUST_200600_302600_NS6detail15normal_iteratorINS9_10device_ptrIxEEEEPS5_jNS1_19radix_merge_compareILb0ELb1ExNS0_19identity_decomposerEEEEE10hipError_tT0_T1_T2_jT3_P12ihipStream_tbPNSt15iterator_traitsISK_E10value_typeEPNSQ_ISL_E10value_typeEPSM_NS1_7vsmem_tEENKUlT_SK_SL_SM_E_clIPxSE_SF_SF_EESJ_SZ_SK_SL_SM_EUlSZ_E1_NS1_11comp_targetILNS1_3genE5ELNS1_11target_archE942ELNS1_3gpuE9ELNS1_3repE0EEENS1_36merge_oddeven_config_static_selectorELNS0_4arch9wavefront6targetE1EEEvSL_
    .private_segment_fixed_size: 0
    .sgpr_count:     27
    .sgpr_spill_count: 0
    .symbol:         _ZN7rocprim17ROCPRIM_400000_NS6detail17trampoline_kernelINS0_14default_configENS1_38merge_sort_block_merge_config_selectorIxNS0_10empty_typeEEEZZNS1_27merge_sort_block_merge_implIS3_N6thrust23THRUST_200600_302600_NS6detail15normal_iteratorINS9_10device_ptrIxEEEEPS5_jNS1_19radix_merge_compareILb0ELb1ExNS0_19identity_decomposerEEEEE10hipError_tT0_T1_T2_jT3_P12ihipStream_tbPNSt15iterator_traitsISK_E10value_typeEPNSQ_ISL_E10value_typeEPSM_NS1_7vsmem_tEENKUlT_SK_SL_SM_E_clIPxSE_SF_SF_EESJ_SZ_SK_SL_SM_EUlSZ_E1_NS1_11comp_targetILNS1_3genE5ELNS1_11target_archE942ELNS1_3gpuE9ELNS1_3repE0EEENS1_36merge_oddeven_config_static_selectorELNS0_4arch9wavefront6targetE1EEEvSL_.kd
    .uniform_work_group_size: 1
    .uses_dynamic_stack: false
    .vgpr_count:     13
    .vgpr_spill_count: 0
    .wavefront_size: 64
  - .agpr_count:     0
    .args:
      - .offset:         0
        .size:           48
        .value_kind:     by_value
    .group_segment_fixed_size: 0
    .kernarg_segment_align: 8
    .kernarg_segment_size: 48
    .language:       OpenCL C
    .language_version:
      - 2
      - 0
    .max_flat_workgroup_size: 256
    .name:           _ZN7rocprim17ROCPRIM_400000_NS6detail17trampoline_kernelINS0_14default_configENS1_38merge_sort_block_merge_config_selectorIxNS0_10empty_typeEEEZZNS1_27merge_sort_block_merge_implIS3_N6thrust23THRUST_200600_302600_NS6detail15normal_iteratorINS9_10device_ptrIxEEEEPS5_jNS1_19radix_merge_compareILb0ELb1ExNS0_19identity_decomposerEEEEE10hipError_tT0_T1_T2_jT3_P12ihipStream_tbPNSt15iterator_traitsISK_E10value_typeEPNSQ_ISL_E10value_typeEPSM_NS1_7vsmem_tEENKUlT_SK_SL_SM_E_clIPxSE_SF_SF_EESJ_SZ_SK_SL_SM_EUlSZ_E1_NS1_11comp_targetILNS1_3genE4ELNS1_11target_archE910ELNS1_3gpuE8ELNS1_3repE0EEENS1_36merge_oddeven_config_static_selectorELNS0_4arch9wavefront6targetE1EEEvSL_
    .private_segment_fixed_size: 0
    .sgpr_count:     6
    .sgpr_spill_count: 0
    .symbol:         _ZN7rocprim17ROCPRIM_400000_NS6detail17trampoline_kernelINS0_14default_configENS1_38merge_sort_block_merge_config_selectorIxNS0_10empty_typeEEEZZNS1_27merge_sort_block_merge_implIS3_N6thrust23THRUST_200600_302600_NS6detail15normal_iteratorINS9_10device_ptrIxEEEEPS5_jNS1_19radix_merge_compareILb0ELb1ExNS0_19identity_decomposerEEEEE10hipError_tT0_T1_T2_jT3_P12ihipStream_tbPNSt15iterator_traitsISK_E10value_typeEPNSQ_ISL_E10value_typeEPSM_NS1_7vsmem_tEENKUlT_SK_SL_SM_E_clIPxSE_SF_SF_EESJ_SZ_SK_SL_SM_EUlSZ_E1_NS1_11comp_targetILNS1_3genE4ELNS1_11target_archE910ELNS1_3gpuE8ELNS1_3repE0EEENS1_36merge_oddeven_config_static_selectorELNS0_4arch9wavefront6targetE1EEEvSL_.kd
    .uniform_work_group_size: 1
    .uses_dynamic_stack: false
    .vgpr_count:     0
    .vgpr_spill_count: 0
    .wavefront_size: 64
  - .agpr_count:     0
    .args:
      - .offset:         0
        .size:           48
        .value_kind:     by_value
    .group_segment_fixed_size: 0
    .kernarg_segment_align: 8
    .kernarg_segment_size: 48
    .language:       OpenCL C
    .language_version:
      - 2
      - 0
    .max_flat_workgroup_size: 256
    .name:           _ZN7rocprim17ROCPRIM_400000_NS6detail17trampoline_kernelINS0_14default_configENS1_38merge_sort_block_merge_config_selectorIxNS0_10empty_typeEEEZZNS1_27merge_sort_block_merge_implIS3_N6thrust23THRUST_200600_302600_NS6detail15normal_iteratorINS9_10device_ptrIxEEEEPS5_jNS1_19radix_merge_compareILb0ELb1ExNS0_19identity_decomposerEEEEE10hipError_tT0_T1_T2_jT3_P12ihipStream_tbPNSt15iterator_traitsISK_E10value_typeEPNSQ_ISL_E10value_typeEPSM_NS1_7vsmem_tEENKUlT_SK_SL_SM_E_clIPxSE_SF_SF_EESJ_SZ_SK_SL_SM_EUlSZ_E1_NS1_11comp_targetILNS1_3genE3ELNS1_11target_archE908ELNS1_3gpuE7ELNS1_3repE0EEENS1_36merge_oddeven_config_static_selectorELNS0_4arch9wavefront6targetE1EEEvSL_
    .private_segment_fixed_size: 0
    .sgpr_count:     6
    .sgpr_spill_count: 0
    .symbol:         _ZN7rocprim17ROCPRIM_400000_NS6detail17trampoline_kernelINS0_14default_configENS1_38merge_sort_block_merge_config_selectorIxNS0_10empty_typeEEEZZNS1_27merge_sort_block_merge_implIS3_N6thrust23THRUST_200600_302600_NS6detail15normal_iteratorINS9_10device_ptrIxEEEEPS5_jNS1_19radix_merge_compareILb0ELb1ExNS0_19identity_decomposerEEEEE10hipError_tT0_T1_T2_jT3_P12ihipStream_tbPNSt15iterator_traitsISK_E10value_typeEPNSQ_ISL_E10value_typeEPSM_NS1_7vsmem_tEENKUlT_SK_SL_SM_E_clIPxSE_SF_SF_EESJ_SZ_SK_SL_SM_EUlSZ_E1_NS1_11comp_targetILNS1_3genE3ELNS1_11target_archE908ELNS1_3gpuE7ELNS1_3repE0EEENS1_36merge_oddeven_config_static_selectorELNS0_4arch9wavefront6targetE1EEEvSL_.kd
    .uniform_work_group_size: 1
    .uses_dynamic_stack: false
    .vgpr_count:     0
    .vgpr_spill_count: 0
    .wavefront_size: 64
  - .agpr_count:     0
    .args:
      - .offset:         0
        .size:           48
        .value_kind:     by_value
    .group_segment_fixed_size: 0
    .kernarg_segment_align: 8
    .kernarg_segment_size: 48
    .language:       OpenCL C
    .language_version:
      - 2
      - 0
    .max_flat_workgroup_size: 256
    .name:           _ZN7rocprim17ROCPRIM_400000_NS6detail17trampoline_kernelINS0_14default_configENS1_38merge_sort_block_merge_config_selectorIxNS0_10empty_typeEEEZZNS1_27merge_sort_block_merge_implIS3_N6thrust23THRUST_200600_302600_NS6detail15normal_iteratorINS9_10device_ptrIxEEEEPS5_jNS1_19radix_merge_compareILb0ELb1ExNS0_19identity_decomposerEEEEE10hipError_tT0_T1_T2_jT3_P12ihipStream_tbPNSt15iterator_traitsISK_E10value_typeEPNSQ_ISL_E10value_typeEPSM_NS1_7vsmem_tEENKUlT_SK_SL_SM_E_clIPxSE_SF_SF_EESJ_SZ_SK_SL_SM_EUlSZ_E1_NS1_11comp_targetILNS1_3genE2ELNS1_11target_archE906ELNS1_3gpuE6ELNS1_3repE0EEENS1_36merge_oddeven_config_static_selectorELNS0_4arch9wavefront6targetE1EEEvSL_
    .private_segment_fixed_size: 0
    .sgpr_count:     6
    .sgpr_spill_count: 0
    .symbol:         _ZN7rocprim17ROCPRIM_400000_NS6detail17trampoline_kernelINS0_14default_configENS1_38merge_sort_block_merge_config_selectorIxNS0_10empty_typeEEEZZNS1_27merge_sort_block_merge_implIS3_N6thrust23THRUST_200600_302600_NS6detail15normal_iteratorINS9_10device_ptrIxEEEEPS5_jNS1_19radix_merge_compareILb0ELb1ExNS0_19identity_decomposerEEEEE10hipError_tT0_T1_T2_jT3_P12ihipStream_tbPNSt15iterator_traitsISK_E10value_typeEPNSQ_ISL_E10value_typeEPSM_NS1_7vsmem_tEENKUlT_SK_SL_SM_E_clIPxSE_SF_SF_EESJ_SZ_SK_SL_SM_EUlSZ_E1_NS1_11comp_targetILNS1_3genE2ELNS1_11target_archE906ELNS1_3gpuE6ELNS1_3repE0EEENS1_36merge_oddeven_config_static_selectorELNS0_4arch9wavefront6targetE1EEEvSL_.kd
    .uniform_work_group_size: 1
    .uses_dynamic_stack: false
    .vgpr_count:     0
    .vgpr_spill_count: 0
    .wavefront_size: 64
  - .agpr_count:     0
    .args:
      - .offset:         0
        .size:           48
        .value_kind:     by_value
    .group_segment_fixed_size: 0
    .kernarg_segment_align: 8
    .kernarg_segment_size: 48
    .language:       OpenCL C
    .language_version:
      - 2
      - 0
    .max_flat_workgroup_size: 256
    .name:           _ZN7rocprim17ROCPRIM_400000_NS6detail17trampoline_kernelINS0_14default_configENS1_38merge_sort_block_merge_config_selectorIxNS0_10empty_typeEEEZZNS1_27merge_sort_block_merge_implIS3_N6thrust23THRUST_200600_302600_NS6detail15normal_iteratorINS9_10device_ptrIxEEEEPS5_jNS1_19radix_merge_compareILb0ELb1ExNS0_19identity_decomposerEEEEE10hipError_tT0_T1_T2_jT3_P12ihipStream_tbPNSt15iterator_traitsISK_E10value_typeEPNSQ_ISL_E10value_typeEPSM_NS1_7vsmem_tEENKUlT_SK_SL_SM_E_clIPxSE_SF_SF_EESJ_SZ_SK_SL_SM_EUlSZ_E1_NS1_11comp_targetILNS1_3genE9ELNS1_11target_archE1100ELNS1_3gpuE3ELNS1_3repE0EEENS1_36merge_oddeven_config_static_selectorELNS0_4arch9wavefront6targetE1EEEvSL_
    .private_segment_fixed_size: 0
    .sgpr_count:     6
    .sgpr_spill_count: 0
    .symbol:         _ZN7rocprim17ROCPRIM_400000_NS6detail17trampoline_kernelINS0_14default_configENS1_38merge_sort_block_merge_config_selectorIxNS0_10empty_typeEEEZZNS1_27merge_sort_block_merge_implIS3_N6thrust23THRUST_200600_302600_NS6detail15normal_iteratorINS9_10device_ptrIxEEEEPS5_jNS1_19radix_merge_compareILb0ELb1ExNS0_19identity_decomposerEEEEE10hipError_tT0_T1_T2_jT3_P12ihipStream_tbPNSt15iterator_traitsISK_E10value_typeEPNSQ_ISL_E10value_typeEPSM_NS1_7vsmem_tEENKUlT_SK_SL_SM_E_clIPxSE_SF_SF_EESJ_SZ_SK_SL_SM_EUlSZ_E1_NS1_11comp_targetILNS1_3genE9ELNS1_11target_archE1100ELNS1_3gpuE3ELNS1_3repE0EEENS1_36merge_oddeven_config_static_selectorELNS0_4arch9wavefront6targetE1EEEvSL_.kd
    .uniform_work_group_size: 1
    .uses_dynamic_stack: false
    .vgpr_count:     0
    .vgpr_spill_count: 0
    .wavefront_size: 64
  - .agpr_count:     0
    .args:
      - .offset:         0
        .size:           48
        .value_kind:     by_value
    .group_segment_fixed_size: 0
    .kernarg_segment_align: 8
    .kernarg_segment_size: 48
    .language:       OpenCL C
    .language_version:
      - 2
      - 0
    .max_flat_workgroup_size: 256
    .name:           _ZN7rocprim17ROCPRIM_400000_NS6detail17trampoline_kernelINS0_14default_configENS1_38merge_sort_block_merge_config_selectorIxNS0_10empty_typeEEEZZNS1_27merge_sort_block_merge_implIS3_N6thrust23THRUST_200600_302600_NS6detail15normal_iteratorINS9_10device_ptrIxEEEEPS5_jNS1_19radix_merge_compareILb0ELb1ExNS0_19identity_decomposerEEEEE10hipError_tT0_T1_T2_jT3_P12ihipStream_tbPNSt15iterator_traitsISK_E10value_typeEPNSQ_ISL_E10value_typeEPSM_NS1_7vsmem_tEENKUlT_SK_SL_SM_E_clIPxSE_SF_SF_EESJ_SZ_SK_SL_SM_EUlSZ_E1_NS1_11comp_targetILNS1_3genE8ELNS1_11target_archE1030ELNS1_3gpuE2ELNS1_3repE0EEENS1_36merge_oddeven_config_static_selectorELNS0_4arch9wavefront6targetE1EEEvSL_
    .private_segment_fixed_size: 0
    .sgpr_count:     6
    .sgpr_spill_count: 0
    .symbol:         _ZN7rocprim17ROCPRIM_400000_NS6detail17trampoline_kernelINS0_14default_configENS1_38merge_sort_block_merge_config_selectorIxNS0_10empty_typeEEEZZNS1_27merge_sort_block_merge_implIS3_N6thrust23THRUST_200600_302600_NS6detail15normal_iteratorINS9_10device_ptrIxEEEEPS5_jNS1_19radix_merge_compareILb0ELb1ExNS0_19identity_decomposerEEEEE10hipError_tT0_T1_T2_jT3_P12ihipStream_tbPNSt15iterator_traitsISK_E10value_typeEPNSQ_ISL_E10value_typeEPSM_NS1_7vsmem_tEENKUlT_SK_SL_SM_E_clIPxSE_SF_SF_EESJ_SZ_SK_SL_SM_EUlSZ_E1_NS1_11comp_targetILNS1_3genE8ELNS1_11target_archE1030ELNS1_3gpuE2ELNS1_3repE0EEENS1_36merge_oddeven_config_static_selectorELNS0_4arch9wavefront6targetE1EEEvSL_.kd
    .uniform_work_group_size: 1
    .uses_dynamic_stack: false
    .vgpr_count:     0
    .vgpr_spill_count: 0
    .wavefront_size: 64
  - .agpr_count:     0
    .args:
      - .offset:         0
        .size:           40
        .value_kind:     by_value
    .group_segment_fixed_size: 0
    .kernarg_segment_align: 8
    .kernarg_segment_size: 40
    .language:       OpenCL C
    .language_version:
      - 2
      - 0
    .max_flat_workgroup_size: 128
    .name:           _ZN7rocprim17ROCPRIM_400000_NS6detail17trampoline_kernelINS0_14default_configENS1_38merge_sort_block_merge_config_selectorIxNS0_10empty_typeEEEZZNS1_27merge_sort_block_merge_implIS3_N6thrust23THRUST_200600_302600_NS6detail15normal_iteratorINS9_10device_ptrIxEEEEPS5_jNS1_19radix_merge_compareILb0ELb1ExNS0_19identity_decomposerEEEEE10hipError_tT0_T1_T2_jT3_P12ihipStream_tbPNSt15iterator_traitsISK_E10value_typeEPNSQ_ISL_E10value_typeEPSM_NS1_7vsmem_tEENKUlT_SK_SL_SM_E_clISE_PxSF_SF_EESJ_SZ_SK_SL_SM_EUlSZ_E_NS1_11comp_targetILNS1_3genE0ELNS1_11target_archE4294967295ELNS1_3gpuE0ELNS1_3repE0EEENS1_48merge_mergepath_partition_config_static_selectorELNS0_4arch9wavefront6targetE1EEEvSL_
    .private_segment_fixed_size: 0
    .sgpr_count:     6
    .sgpr_spill_count: 0
    .symbol:         _ZN7rocprim17ROCPRIM_400000_NS6detail17trampoline_kernelINS0_14default_configENS1_38merge_sort_block_merge_config_selectorIxNS0_10empty_typeEEEZZNS1_27merge_sort_block_merge_implIS3_N6thrust23THRUST_200600_302600_NS6detail15normal_iteratorINS9_10device_ptrIxEEEEPS5_jNS1_19radix_merge_compareILb0ELb1ExNS0_19identity_decomposerEEEEE10hipError_tT0_T1_T2_jT3_P12ihipStream_tbPNSt15iterator_traitsISK_E10value_typeEPNSQ_ISL_E10value_typeEPSM_NS1_7vsmem_tEENKUlT_SK_SL_SM_E_clISE_PxSF_SF_EESJ_SZ_SK_SL_SM_EUlSZ_E_NS1_11comp_targetILNS1_3genE0ELNS1_11target_archE4294967295ELNS1_3gpuE0ELNS1_3repE0EEENS1_48merge_mergepath_partition_config_static_selectorELNS0_4arch9wavefront6targetE1EEEvSL_.kd
    .uniform_work_group_size: 1
    .uses_dynamic_stack: false
    .vgpr_count:     0
    .vgpr_spill_count: 0
    .wavefront_size: 64
  - .agpr_count:     0
    .args:
      - .offset:         0
        .size:           40
        .value_kind:     by_value
    .group_segment_fixed_size: 0
    .kernarg_segment_align: 8
    .kernarg_segment_size: 40
    .language:       OpenCL C
    .language_version:
      - 2
      - 0
    .max_flat_workgroup_size: 128
    .name:           _ZN7rocprim17ROCPRIM_400000_NS6detail17trampoline_kernelINS0_14default_configENS1_38merge_sort_block_merge_config_selectorIxNS0_10empty_typeEEEZZNS1_27merge_sort_block_merge_implIS3_N6thrust23THRUST_200600_302600_NS6detail15normal_iteratorINS9_10device_ptrIxEEEEPS5_jNS1_19radix_merge_compareILb0ELb1ExNS0_19identity_decomposerEEEEE10hipError_tT0_T1_T2_jT3_P12ihipStream_tbPNSt15iterator_traitsISK_E10value_typeEPNSQ_ISL_E10value_typeEPSM_NS1_7vsmem_tEENKUlT_SK_SL_SM_E_clISE_PxSF_SF_EESJ_SZ_SK_SL_SM_EUlSZ_E_NS1_11comp_targetILNS1_3genE10ELNS1_11target_archE1201ELNS1_3gpuE5ELNS1_3repE0EEENS1_48merge_mergepath_partition_config_static_selectorELNS0_4arch9wavefront6targetE1EEEvSL_
    .private_segment_fixed_size: 0
    .sgpr_count:     6
    .sgpr_spill_count: 0
    .symbol:         _ZN7rocprim17ROCPRIM_400000_NS6detail17trampoline_kernelINS0_14default_configENS1_38merge_sort_block_merge_config_selectorIxNS0_10empty_typeEEEZZNS1_27merge_sort_block_merge_implIS3_N6thrust23THRUST_200600_302600_NS6detail15normal_iteratorINS9_10device_ptrIxEEEEPS5_jNS1_19radix_merge_compareILb0ELb1ExNS0_19identity_decomposerEEEEE10hipError_tT0_T1_T2_jT3_P12ihipStream_tbPNSt15iterator_traitsISK_E10value_typeEPNSQ_ISL_E10value_typeEPSM_NS1_7vsmem_tEENKUlT_SK_SL_SM_E_clISE_PxSF_SF_EESJ_SZ_SK_SL_SM_EUlSZ_E_NS1_11comp_targetILNS1_3genE10ELNS1_11target_archE1201ELNS1_3gpuE5ELNS1_3repE0EEENS1_48merge_mergepath_partition_config_static_selectorELNS0_4arch9wavefront6targetE1EEEvSL_.kd
    .uniform_work_group_size: 1
    .uses_dynamic_stack: false
    .vgpr_count:     0
    .vgpr_spill_count: 0
    .wavefront_size: 64
  - .agpr_count:     0
    .args:
      - .offset:         0
        .size:           40
        .value_kind:     by_value
    .group_segment_fixed_size: 0
    .kernarg_segment_align: 8
    .kernarg_segment_size: 40
    .language:       OpenCL C
    .language_version:
      - 2
      - 0
    .max_flat_workgroup_size: 128
    .name:           _ZN7rocprim17ROCPRIM_400000_NS6detail17trampoline_kernelINS0_14default_configENS1_38merge_sort_block_merge_config_selectorIxNS0_10empty_typeEEEZZNS1_27merge_sort_block_merge_implIS3_N6thrust23THRUST_200600_302600_NS6detail15normal_iteratorINS9_10device_ptrIxEEEEPS5_jNS1_19radix_merge_compareILb0ELb1ExNS0_19identity_decomposerEEEEE10hipError_tT0_T1_T2_jT3_P12ihipStream_tbPNSt15iterator_traitsISK_E10value_typeEPNSQ_ISL_E10value_typeEPSM_NS1_7vsmem_tEENKUlT_SK_SL_SM_E_clISE_PxSF_SF_EESJ_SZ_SK_SL_SM_EUlSZ_E_NS1_11comp_targetILNS1_3genE5ELNS1_11target_archE942ELNS1_3gpuE9ELNS1_3repE0EEENS1_48merge_mergepath_partition_config_static_selectorELNS0_4arch9wavefront6targetE1EEEvSL_
    .private_segment_fixed_size: 0
    .sgpr_count:     16
    .sgpr_spill_count: 0
    .symbol:         _ZN7rocprim17ROCPRIM_400000_NS6detail17trampoline_kernelINS0_14default_configENS1_38merge_sort_block_merge_config_selectorIxNS0_10empty_typeEEEZZNS1_27merge_sort_block_merge_implIS3_N6thrust23THRUST_200600_302600_NS6detail15normal_iteratorINS9_10device_ptrIxEEEEPS5_jNS1_19radix_merge_compareILb0ELb1ExNS0_19identity_decomposerEEEEE10hipError_tT0_T1_T2_jT3_P12ihipStream_tbPNSt15iterator_traitsISK_E10value_typeEPNSQ_ISL_E10value_typeEPSM_NS1_7vsmem_tEENKUlT_SK_SL_SM_E_clISE_PxSF_SF_EESJ_SZ_SK_SL_SM_EUlSZ_E_NS1_11comp_targetILNS1_3genE5ELNS1_11target_archE942ELNS1_3gpuE9ELNS1_3repE0EEENS1_48merge_mergepath_partition_config_static_selectorELNS0_4arch9wavefront6targetE1EEEvSL_.kd
    .uniform_work_group_size: 1
    .uses_dynamic_stack: false
    .vgpr_count:     16
    .vgpr_spill_count: 0
    .wavefront_size: 64
  - .agpr_count:     0
    .args:
      - .offset:         0
        .size:           40
        .value_kind:     by_value
    .group_segment_fixed_size: 0
    .kernarg_segment_align: 8
    .kernarg_segment_size: 40
    .language:       OpenCL C
    .language_version:
      - 2
      - 0
    .max_flat_workgroup_size: 128
    .name:           _ZN7rocprim17ROCPRIM_400000_NS6detail17trampoline_kernelINS0_14default_configENS1_38merge_sort_block_merge_config_selectorIxNS0_10empty_typeEEEZZNS1_27merge_sort_block_merge_implIS3_N6thrust23THRUST_200600_302600_NS6detail15normal_iteratorINS9_10device_ptrIxEEEEPS5_jNS1_19radix_merge_compareILb0ELb1ExNS0_19identity_decomposerEEEEE10hipError_tT0_T1_T2_jT3_P12ihipStream_tbPNSt15iterator_traitsISK_E10value_typeEPNSQ_ISL_E10value_typeEPSM_NS1_7vsmem_tEENKUlT_SK_SL_SM_E_clISE_PxSF_SF_EESJ_SZ_SK_SL_SM_EUlSZ_E_NS1_11comp_targetILNS1_3genE4ELNS1_11target_archE910ELNS1_3gpuE8ELNS1_3repE0EEENS1_48merge_mergepath_partition_config_static_selectorELNS0_4arch9wavefront6targetE1EEEvSL_
    .private_segment_fixed_size: 0
    .sgpr_count:     6
    .sgpr_spill_count: 0
    .symbol:         _ZN7rocprim17ROCPRIM_400000_NS6detail17trampoline_kernelINS0_14default_configENS1_38merge_sort_block_merge_config_selectorIxNS0_10empty_typeEEEZZNS1_27merge_sort_block_merge_implIS3_N6thrust23THRUST_200600_302600_NS6detail15normal_iteratorINS9_10device_ptrIxEEEEPS5_jNS1_19radix_merge_compareILb0ELb1ExNS0_19identity_decomposerEEEEE10hipError_tT0_T1_T2_jT3_P12ihipStream_tbPNSt15iterator_traitsISK_E10value_typeEPNSQ_ISL_E10value_typeEPSM_NS1_7vsmem_tEENKUlT_SK_SL_SM_E_clISE_PxSF_SF_EESJ_SZ_SK_SL_SM_EUlSZ_E_NS1_11comp_targetILNS1_3genE4ELNS1_11target_archE910ELNS1_3gpuE8ELNS1_3repE0EEENS1_48merge_mergepath_partition_config_static_selectorELNS0_4arch9wavefront6targetE1EEEvSL_.kd
    .uniform_work_group_size: 1
    .uses_dynamic_stack: false
    .vgpr_count:     0
    .vgpr_spill_count: 0
    .wavefront_size: 64
  - .agpr_count:     0
    .args:
      - .offset:         0
        .size:           40
        .value_kind:     by_value
    .group_segment_fixed_size: 0
    .kernarg_segment_align: 8
    .kernarg_segment_size: 40
    .language:       OpenCL C
    .language_version:
      - 2
      - 0
    .max_flat_workgroup_size: 128
    .name:           _ZN7rocprim17ROCPRIM_400000_NS6detail17trampoline_kernelINS0_14default_configENS1_38merge_sort_block_merge_config_selectorIxNS0_10empty_typeEEEZZNS1_27merge_sort_block_merge_implIS3_N6thrust23THRUST_200600_302600_NS6detail15normal_iteratorINS9_10device_ptrIxEEEEPS5_jNS1_19radix_merge_compareILb0ELb1ExNS0_19identity_decomposerEEEEE10hipError_tT0_T1_T2_jT3_P12ihipStream_tbPNSt15iterator_traitsISK_E10value_typeEPNSQ_ISL_E10value_typeEPSM_NS1_7vsmem_tEENKUlT_SK_SL_SM_E_clISE_PxSF_SF_EESJ_SZ_SK_SL_SM_EUlSZ_E_NS1_11comp_targetILNS1_3genE3ELNS1_11target_archE908ELNS1_3gpuE7ELNS1_3repE0EEENS1_48merge_mergepath_partition_config_static_selectorELNS0_4arch9wavefront6targetE1EEEvSL_
    .private_segment_fixed_size: 0
    .sgpr_count:     6
    .sgpr_spill_count: 0
    .symbol:         _ZN7rocprim17ROCPRIM_400000_NS6detail17trampoline_kernelINS0_14default_configENS1_38merge_sort_block_merge_config_selectorIxNS0_10empty_typeEEEZZNS1_27merge_sort_block_merge_implIS3_N6thrust23THRUST_200600_302600_NS6detail15normal_iteratorINS9_10device_ptrIxEEEEPS5_jNS1_19radix_merge_compareILb0ELb1ExNS0_19identity_decomposerEEEEE10hipError_tT0_T1_T2_jT3_P12ihipStream_tbPNSt15iterator_traitsISK_E10value_typeEPNSQ_ISL_E10value_typeEPSM_NS1_7vsmem_tEENKUlT_SK_SL_SM_E_clISE_PxSF_SF_EESJ_SZ_SK_SL_SM_EUlSZ_E_NS1_11comp_targetILNS1_3genE3ELNS1_11target_archE908ELNS1_3gpuE7ELNS1_3repE0EEENS1_48merge_mergepath_partition_config_static_selectorELNS0_4arch9wavefront6targetE1EEEvSL_.kd
    .uniform_work_group_size: 1
    .uses_dynamic_stack: false
    .vgpr_count:     0
    .vgpr_spill_count: 0
    .wavefront_size: 64
  - .agpr_count:     0
    .args:
      - .offset:         0
        .size:           40
        .value_kind:     by_value
    .group_segment_fixed_size: 0
    .kernarg_segment_align: 8
    .kernarg_segment_size: 40
    .language:       OpenCL C
    .language_version:
      - 2
      - 0
    .max_flat_workgroup_size: 128
    .name:           _ZN7rocprim17ROCPRIM_400000_NS6detail17trampoline_kernelINS0_14default_configENS1_38merge_sort_block_merge_config_selectorIxNS0_10empty_typeEEEZZNS1_27merge_sort_block_merge_implIS3_N6thrust23THRUST_200600_302600_NS6detail15normal_iteratorINS9_10device_ptrIxEEEEPS5_jNS1_19radix_merge_compareILb0ELb1ExNS0_19identity_decomposerEEEEE10hipError_tT0_T1_T2_jT3_P12ihipStream_tbPNSt15iterator_traitsISK_E10value_typeEPNSQ_ISL_E10value_typeEPSM_NS1_7vsmem_tEENKUlT_SK_SL_SM_E_clISE_PxSF_SF_EESJ_SZ_SK_SL_SM_EUlSZ_E_NS1_11comp_targetILNS1_3genE2ELNS1_11target_archE906ELNS1_3gpuE6ELNS1_3repE0EEENS1_48merge_mergepath_partition_config_static_selectorELNS0_4arch9wavefront6targetE1EEEvSL_
    .private_segment_fixed_size: 0
    .sgpr_count:     6
    .sgpr_spill_count: 0
    .symbol:         _ZN7rocprim17ROCPRIM_400000_NS6detail17trampoline_kernelINS0_14default_configENS1_38merge_sort_block_merge_config_selectorIxNS0_10empty_typeEEEZZNS1_27merge_sort_block_merge_implIS3_N6thrust23THRUST_200600_302600_NS6detail15normal_iteratorINS9_10device_ptrIxEEEEPS5_jNS1_19radix_merge_compareILb0ELb1ExNS0_19identity_decomposerEEEEE10hipError_tT0_T1_T2_jT3_P12ihipStream_tbPNSt15iterator_traitsISK_E10value_typeEPNSQ_ISL_E10value_typeEPSM_NS1_7vsmem_tEENKUlT_SK_SL_SM_E_clISE_PxSF_SF_EESJ_SZ_SK_SL_SM_EUlSZ_E_NS1_11comp_targetILNS1_3genE2ELNS1_11target_archE906ELNS1_3gpuE6ELNS1_3repE0EEENS1_48merge_mergepath_partition_config_static_selectorELNS0_4arch9wavefront6targetE1EEEvSL_.kd
    .uniform_work_group_size: 1
    .uses_dynamic_stack: false
    .vgpr_count:     0
    .vgpr_spill_count: 0
    .wavefront_size: 64
  - .agpr_count:     0
    .args:
      - .offset:         0
        .size:           40
        .value_kind:     by_value
    .group_segment_fixed_size: 0
    .kernarg_segment_align: 8
    .kernarg_segment_size: 40
    .language:       OpenCL C
    .language_version:
      - 2
      - 0
    .max_flat_workgroup_size: 128
    .name:           _ZN7rocprim17ROCPRIM_400000_NS6detail17trampoline_kernelINS0_14default_configENS1_38merge_sort_block_merge_config_selectorIxNS0_10empty_typeEEEZZNS1_27merge_sort_block_merge_implIS3_N6thrust23THRUST_200600_302600_NS6detail15normal_iteratorINS9_10device_ptrIxEEEEPS5_jNS1_19radix_merge_compareILb0ELb1ExNS0_19identity_decomposerEEEEE10hipError_tT0_T1_T2_jT3_P12ihipStream_tbPNSt15iterator_traitsISK_E10value_typeEPNSQ_ISL_E10value_typeEPSM_NS1_7vsmem_tEENKUlT_SK_SL_SM_E_clISE_PxSF_SF_EESJ_SZ_SK_SL_SM_EUlSZ_E_NS1_11comp_targetILNS1_3genE9ELNS1_11target_archE1100ELNS1_3gpuE3ELNS1_3repE0EEENS1_48merge_mergepath_partition_config_static_selectorELNS0_4arch9wavefront6targetE1EEEvSL_
    .private_segment_fixed_size: 0
    .sgpr_count:     6
    .sgpr_spill_count: 0
    .symbol:         _ZN7rocprim17ROCPRIM_400000_NS6detail17trampoline_kernelINS0_14default_configENS1_38merge_sort_block_merge_config_selectorIxNS0_10empty_typeEEEZZNS1_27merge_sort_block_merge_implIS3_N6thrust23THRUST_200600_302600_NS6detail15normal_iteratorINS9_10device_ptrIxEEEEPS5_jNS1_19radix_merge_compareILb0ELb1ExNS0_19identity_decomposerEEEEE10hipError_tT0_T1_T2_jT3_P12ihipStream_tbPNSt15iterator_traitsISK_E10value_typeEPNSQ_ISL_E10value_typeEPSM_NS1_7vsmem_tEENKUlT_SK_SL_SM_E_clISE_PxSF_SF_EESJ_SZ_SK_SL_SM_EUlSZ_E_NS1_11comp_targetILNS1_3genE9ELNS1_11target_archE1100ELNS1_3gpuE3ELNS1_3repE0EEENS1_48merge_mergepath_partition_config_static_selectorELNS0_4arch9wavefront6targetE1EEEvSL_.kd
    .uniform_work_group_size: 1
    .uses_dynamic_stack: false
    .vgpr_count:     0
    .vgpr_spill_count: 0
    .wavefront_size: 64
  - .agpr_count:     0
    .args:
      - .offset:         0
        .size:           40
        .value_kind:     by_value
    .group_segment_fixed_size: 0
    .kernarg_segment_align: 8
    .kernarg_segment_size: 40
    .language:       OpenCL C
    .language_version:
      - 2
      - 0
    .max_flat_workgroup_size: 128
    .name:           _ZN7rocprim17ROCPRIM_400000_NS6detail17trampoline_kernelINS0_14default_configENS1_38merge_sort_block_merge_config_selectorIxNS0_10empty_typeEEEZZNS1_27merge_sort_block_merge_implIS3_N6thrust23THRUST_200600_302600_NS6detail15normal_iteratorINS9_10device_ptrIxEEEEPS5_jNS1_19radix_merge_compareILb0ELb1ExNS0_19identity_decomposerEEEEE10hipError_tT0_T1_T2_jT3_P12ihipStream_tbPNSt15iterator_traitsISK_E10value_typeEPNSQ_ISL_E10value_typeEPSM_NS1_7vsmem_tEENKUlT_SK_SL_SM_E_clISE_PxSF_SF_EESJ_SZ_SK_SL_SM_EUlSZ_E_NS1_11comp_targetILNS1_3genE8ELNS1_11target_archE1030ELNS1_3gpuE2ELNS1_3repE0EEENS1_48merge_mergepath_partition_config_static_selectorELNS0_4arch9wavefront6targetE1EEEvSL_
    .private_segment_fixed_size: 0
    .sgpr_count:     6
    .sgpr_spill_count: 0
    .symbol:         _ZN7rocprim17ROCPRIM_400000_NS6detail17trampoline_kernelINS0_14default_configENS1_38merge_sort_block_merge_config_selectorIxNS0_10empty_typeEEEZZNS1_27merge_sort_block_merge_implIS3_N6thrust23THRUST_200600_302600_NS6detail15normal_iteratorINS9_10device_ptrIxEEEEPS5_jNS1_19radix_merge_compareILb0ELb1ExNS0_19identity_decomposerEEEEE10hipError_tT0_T1_T2_jT3_P12ihipStream_tbPNSt15iterator_traitsISK_E10value_typeEPNSQ_ISL_E10value_typeEPSM_NS1_7vsmem_tEENKUlT_SK_SL_SM_E_clISE_PxSF_SF_EESJ_SZ_SK_SL_SM_EUlSZ_E_NS1_11comp_targetILNS1_3genE8ELNS1_11target_archE1030ELNS1_3gpuE2ELNS1_3repE0EEENS1_48merge_mergepath_partition_config_static_selectorELNS0_4arch9wavefront6targetE1EEEvSL_.kd
    .uniform_work_group_size: 1
    .uses_dynamic_stack: false
    .vgpr_count:     0
    .vgpr_spill_count: 0
    .wavefront_size: 64
  - .agpr_count:     0
    .args:
      - .offset:         0
        .size:           72
        .value_kind:     by_value
    .group_segment_fixed_size: 0
    .kernarg_segment_align: 8
    .kernarg_segment_size: 72
    .language:       OpenCL C
    .language_version:
      - 2
      - 0
    .max_flat_workgroup_size: 128
    .name:           _ZN7rocprim17ROCPRIM_400000_NS6detail17trampoline_kernelINS0_14default_configENS1_38merge_sort_block_merge_config_selectorIxNS0_10empty_typeEEEZZNS1_27merge_sort_block_merge_implIS3_N6thrust23THRUST_200600_302600_NS6detail15normal_iteratorINS9_10device_ptrIxEEEEPS5_jNS1_19radix_merge_compareILb0ELb1ExNS0_19identity_decomposerEEEEE10hipError_tT0_T1_T2_jT3_P12ihipStream_tbPNSt15iterator_traitsISK_E10value_typeEPNSQ_ISL_E10value_typeEPSM_NS1_7vsmem_tEENKUlT_SK_SL_SM_E_clISE_PxSF_SF_EESJ_SZ_SK_SL_SM_EUlSZ_E0_NS1_11comp_targetILNS1_3genE0ELNS1_11target_archE4294967295ELNS1_3gpuE0ELNS1_3repE0EEENS1_38merge_mergepath_config_static_selectorELNS0_4arch9wavefront6targetE1EEEvSL_
    .private_segment_fixed_size: 0
    .sgpr_count:     6
    .sgpr_spill_count: 0
    .symbol:         _ZN7rocprim17ROCPRIM_400000_NS6detail17trampoline_kernelINS0_14default_configENS1_38merge_sort_block_merge_config_selectorIxNS0_10empty_typeEEEZZNS1_27merge_sort_block_merge_implIS3_N6thrust23THRUST_200600_302600_NS6detail15normal_iteratorINS9_10device_ptrIxEEEEPS5_jNS1_19radix_merge_compareILb0ELb1ExNS0_19identity_decomposerEEEEE10hipError_tT0_T1_T2_jT3_P12ihipStream_tbPNSt15iterator_traitsISK_E10value_typeEPNSQ_ISL_E10value_typeEPSM_NS1_7vsmem_tEENKUlT_SK_SL_SM_E_clISE_PxSF_SF_EESJ_SZ_SK_SL_SM_EUlSZ_E0_NS1_11comp_targetILNS1_3genE0ELNS1_11target_archE4294967295ELNS1_3gpuE0ELNS1_3repE0EEENS1_38merge_mergepath_config_static_selectorELNS0_4arch9wavefront6targetE1EEEvSL_.kd
    .uniform_work_group_size: 1
    .uses_dynamic_stack: false
    .vgpr_count:     0
    .vgpr_spill_count: 0
    .wavefront_size: 64
  - .agpr_count:     0
    .args:
      - .offset:         0
        .size:           72
        .value_kind:     by_value
    .group_segment_fixed_size: 0
    .kernarg_segment_align: 8
    .kernarg_segment_size: 72
    .language:       OpenCL C
    .language_version:
      - 2
      - 0
    .max_flat_workgroup_size: 512
    .name:           _ZN7rocprim17ROCPRIM_400000_NS6detail17trampoline_kernelINS0_14default_configENS1_38merge_sort_block_merge_config_selectorIxNS0_10empty_typeEEEZZNS1_27merge_sort_block_merge_implIS3_N6thrust23THRUST_200600_302600_NS6detail15normal_iteratorINS9_10device_ptrIxEEEEPS5_jNS1_19radix_merge_compareILb0ELb1ExNS0_19identity_decomposerEEEEE10hipError_tT0_T1_T2_jT3_P12ihipStream_tbPNSt15iterator_traitsISK_E10value_typeEPNSQ_ISL_E10value_typeEPSM_NS1_7vsmem_tEENKUlT_SK_SL_SM_E_clISE_PxSF_SF_EESJ_SZ_SK_SL_SM_EUlSZ_E0_NS1_11comp_targetILNS1_3genE10ELNS1_11target_archE1201ELNS1_3gpuE5ELNS1_3repE0EEENS1_38merge_mergepath_config_static_selectorELNS0_4arch9wavefront6targetE1EEEvSL_
    .private_segment_fixed_size: 0
    .sgpr_count:     6
    .sgpr_spill_count: 0
    .symbol:         _ZN7rocprim17ROCPRIM_400000_NS6detail17trampoline_kernelINS0_14default_configENS1_38merge_sort_block_merge_config_selectorIxNS0_10empty_typeEEEZZNS1_27merge_sort_block_merge_implIS3_N6thrust23THRUST_200600_302600_NS6detail15normal_iteratorINS9_10device_ptrIxEEEEPS5_jNS1_19radix_merge_compareILb0ELb1ExNS0_19identity_decomposerEEEEE10hipError_tT0_T1_T2_jT3_P12ihipStream_tbPNSt15iterator_traitsISK_E10value_typeEPNSQ_ISL_E10value_typeEPSM_NS1_7vsmem_tEENKUlT_SK_SL_SM_E_clISE_PxSF_SF_EESJ_SZ_SK_SL_SM_EUlSZ_E0_NS1_11comp_targetILNS1_3genE10ELNS1_11target_archE1201ELNS1_3gpuE5ELNS1_3repE0EEENS1_38merge_mergepath_config_static_selectorELNS0_4arch9wavefront6targetE1EEEvSL_.kd
    .uniform_work_group_size: 1
    .uses_dynamic_stack: false
    .vgpr_count:     0
    .vgpr_spill_count: 0
    .wavefront_size: 64
  - .agpr_count:     0
    .args:
      - .offset:         0
        .size:           72
        .value_kind:     by_value
      - .offset:         72
        .size:           4
        .value_kind:     hidden_block_count_x
      - .offset:         76
        .size:           4
        .value_kind:     hidden_block_count_y
      - .offset:         80
        .size:           4
        .value_kind:     hidden_block_count_z
      - .offset:         84
        .size:           2
        .value_kind:     hidden_group_size_x
      - .offset:         86
        .size:           2
        .value_kind:     hidden_group_size_y
      - .offset:         88
        .size:           2
        .value_kind:     hidden_group_size_z
      - .offset:         90
        .size:           2
        .value_kind:     hidden_remainder_x
      - .offset:         92
        .size:           2
        .value_kind:     hidden_remainder_y
      - .offset:         94
        .size:           2
        .value_kind:     hidden_remainder_z
      - .offset:         112
        .size:           8
        .value_kind:     hidden_global_offset_x
      - .offset:         120
        .size:           8
        .value_kind:     hidden_global_offset_y
      - .offset:         128
        .size:           8
        .value_kind:     hidden_global_offset_z
      - .offset:         136
        .size:           2
        .value_kind:     hidden_grid_dims
    .group_segment_fixed_size: 8448
    .kernarg_segment_align: 8
    .kernarg_segment_size: 328
    .language:       OpenCL C
    .language_version:
      - 2
      - 0
    .max_flat_workgroup_size: 128
    .name:           _ZN7rocprim17ROCPRIM_400000_NS6detail17trampoline_kernelINS0_14default_configENS1_38merge_sort_block_merge_config_selectorIxNS0_10empty_typeEEEZZNS1_27merge_sort_block_merge_implIS3_N6thrust23THRUST_200600_302600_NS6detail15normal_iteratorINS9_10device_ptrIxEEEEPS5_jNS1_19radix_merge_compareILb0ELb1ExNS0_19identity_decomposerEEEEE10hipError_tT0_T1_T2_jT3_P12ihipStream_tbPNSt15iterator_traitsISK_E10value_typeEPNSQ_ISL_E10value_typeEPSM_NS1_7vsmem_tEENKUlT_SK_SL_SM_E_clISE_PxSF_SF_EESJ_SZ_SK_SL_SM_EUlSZ_E0_NS1_11comp_targetILNS1_3genE5ELNS1_11target_archE942ELNS1_3gpuE9ELNS1_3repE0EEENS1_38merge_mergepath_config_static_selectorELNS0_4arch9wavefront6targetE1EEEvSL_
    .private_segment_fixed_size: 0
    .sgpr_count:     29
    .sgpr_spill_count: 0
    .symbol:         _ZN7rocprim17ROCPRIM_400000_NS6detail17trampoline_kernelINS0_14default_configENS1_38merge_sort_block_merge_config_selectorIxNS0_10empty_typeEEEZZNS1_27merge_sort_block_merge_implIS3_N6thrust23THRUST_200600_302600_NS6detail15normal_iteratorINS9_10device_ptrIxEEEEPS5_jNS1_19radix_merge_compareILb0ELb1ExNS0_19identity_decomposerEEEEE10hipError_tT0_T1_T2_jT3_P12ihipStream_tbPNSt15iterator_traitsISK_E10value_typeEPNSQ_ISL_E10value_typeEPSM_NS1_7vsmem_tEENKUlT_SK_SL_SM_E_clISE_PxSF_SF_EESJ_SZ_SK_SL_SM_EUlSZ_E0_NS1_11comp_targetILNS1_3genE5ELNS1_11target_archE942ELNS1_3gpuE9ELNS1_3repE0EEENS1_38merge_mergepath_config_static_selectorELNS0_4arch9wavefront6targetE1EEEvSL_.kd
    .uniform_work_group_size: 1
    .uses_dynamic_stack: false
    .vgpr_count:     34
    .vgpr_spill_count: 0
    .wavefront_size: 64
  - .agpr_count:     0
    .args:
      - .offset:         0
        .size:           72
        .value_kind:     by_value
    .group_segment_fixed_size: 0
    .kernarg_segment_align: 8
    .kernarg_segment_size: 72
    .language:       OpenCL C
    .language_version:
      - 2
      - 0
    .max_flat_workgroup_size: 256
    .name:           _ZN7rocprim17ROCPRIM_400000_NS6detail17trampoline_kernelINS0_14default_configENS1_38merge_sort_block_merge_config_selectorIxNS0_10empty_typeEEEZZNS1_27merge_sort_block_merge_implIS3_N6thrust23THRUST_200600_302600_NS6detail15normal_iteratorINS9_10device_ptrIxEEEEPS5_jNS1_19radix_merge_compareILb0ELb1ExNS0_19identity_decomposerEEEEE10hipError_tT0_T1_T2_jT3_P12ihipStream_tbPNSt15iterator_traitsISK_E10value_typeEPNSQ_ISL_E10value_typeEPSM_NS1_7vsmem_tEENKUlT_SK_SL_SM_E_clISE_PxSF_SF_EESJ_SZ_SK_SL_SM_EUlSZ_E0_NS1_11comp_targetILNS1_3genE4ELNS1_11target_archE910ELNS1_3gpuE8ELNS1_3repE0EEENS1_38merge_mergepath_config_static_selectorELNS0_4arch9wavefront6targetE1EEEvSL_
    .private_segment_fixed_size: 0
    .sgpr_count:     6
    .sgpr_spill_count: 0
    .symbol:         _ZN7rocprim17ROCPRIM_400000_NS6detail17trampoline_kernelINS0_14default_configENS1_38merge_sort_block_merge_config_selectorIxNS0_10empty_typeEEEZZNS1_27merge_sort_block_merge_implIS3_N6thrust23THRUST_200600_302600_NS6detail15normal_iteratorINS9_10device_ptrIxEEEEPS5_jNS1_19radix_merge_compareILb0ELb1ExNS0_19identity_decomposerEEEEE10hipError_tT0_T1_T2_jT3_P12ihipStream_tbPNSt15iterator_traitsISK_E10value_typeEPNSQ_ISL_E10value_typeEPSM_NS1_7vsmem_tEENKUlT_SK_SL_SM_E_clISE_PxSF_SF_EESJ_SZ_SK_SL_SM_EUlSZ_E0_NS1_11comp_targetILNS1_3genE4ELNS1_11target_archE910ELNS1_3gpuE8ELNS1_3repE0EEENS1_38merge_mergepath_config_static_selectorELNS0_4arch9wavefront6targetE1EEEvSL_.kd
    .uniform_work_group_size: 1
    .uses_dynamic_stack: false
    .vgpr_count:     0
    .vgpr_spill_count: 0
    .wavefront_size: 64
  - .agpr_count:     0
    .args:
      - .offset:         0
        .size:           72
        .value_kind:     by_value
    .group_segment_fixed_size: 0
    .kernarg_segment_align: 8
    .kernarg_segment_size: 72
    .language:       OpenCL C
    .language_version:
      - 2
      - 0
    .max_flat_workgroup_size: 128
    .name:           _ZN7rocprim17ROCPRIM_400000_NS6detail17trampoline_kernelINS0_14default_configENS1_38merge_sort_block_merge_config_selectorIxNS0_10empty_typeEEEZZNS1_27merge_sort_block_merge_implIS3_N6thrust23THRUST_200600_302600_NS6detail15normal_iteratorINS9_10device_ptrIxEEEEPS5_jNS1_19radix_merge_compareILb0ELb1ExNS0_19identity_decomposerEEEEE10hipError_tT0_T1_T2_jT3_P12ihipStream_tbPNSt15iterator_traitsISK_E10value_typeEPNSQ_ISL_E10value_typeEPSM_NS1_7vsmem_tEENKUlT_SK_SL_SM_E_clISE_PxSF_SF_EESJ_SZ_SK_SL_SM_EUlSZ_E0_NS1_11comp_targetILNS1_3genE3ELNS1_11target_archE908ELNS1_3gpuE7ELNS1_3repE0EEENS1_38merge_mergepath_config_static_selectorELNS0_4arch9wavefront6targetE1EEEvSL_
    .private_segment_fixed_size: 0
    .sgpr_count:     6
    .sgpr_spill_count: 0
    .symbol:         _ZN7rocprim17ROCPRIM_400000_NS6detail17trampoline_kernelINS0_14default_configENS1_38merge_sort_block_merge_config_selectorIxNS0_10empty_typeEEEZZNS1_27merge_sort_block_merge_implIS3_N6thrust23THRUST_200600_302600_NS6detail15normal_iteratorINS9_10device_ptrIxEEEEPS5_jNS1_19radix_merge_compareILb0ELb1ExNS0_19identity_decomposerEEEEE10hipError_tT0_T1_T2_jT3_P12ihipStream_tbPNSt15iterator_traitsISK_E10value_typeEPNSQ_ISL_E10value_typeEPSM_NS1_7vsmem_tEENKUlT_SK_SL_SM_E_clISE_PxSF_SF_EESJ_SZ_SK_SL_SM_EUlSZ_E0_NS1_11comp_targetILNS1_3genE3ELNS1_11target_archE908ELNS1_3gpuE7ELNS1_3repE0EEENS1_38merge_mergepath_config_static_selectorELNS0_4arch9wavefront6targetE1EEEvSL_.kd
    .uniform_work_group_size: 1
    .uses_dynamic_stack: false
    .vgpr_count:     0
    .vgpr_spill_count: 0
    .wavefront_size: 64
  - .agpr_count:     0
    .args:
      - .offset:         0
        .size:           72
        .value_kind:     by_value
    .group_segment_fixed_size: 0
    .kernarg_segment_align: 8
    .kernarg_segment_size: 72
    .language:       OpenCL C
    .language_version:
      - 2
      - 0
    .max_flat_workgroup_size: 256
    .name:           _ZN7rocprim17ROCPRIM_400000_NS6detail17trampoline_kernelINS0_14default_configENS1_38merge_sort_block_merge_config_selectorIxNS0_10empty_typeEEEZZNS1_27merge_sort_block_merge_implIS3_N6thrust23THRUST_200600_302600_NS6detail15normal_iteratorINS9_10device_ptrIxEEEEPS5_jNS1_19radix_merge_compareILb0ELb1ExNS0_19identity_decomposerEEEEE10hipError_tT0_T1_T2_jT3_P12ihipStream_tbPNSt15iterator_traitsISK_E10value_typeEPNSQ_ISL_E10value_typeEPSM_NS1_7vsmem_tEENKUlT_SK_SL_SM_E_clISE_PxSF_SF_EESJ_SZ_SK_SL_SM_EUlSZ_E0_NS1_11comp_targetILNS1_3genE2ELNS1_11target_archE906ELNS1_3gpuE6ELNS1_3repE0EEENS1_38merge_mergepath_config_static_selectorELNS0_4arch9wavefront6targetE1EEEvSL_
    .private_segment_fixed_size: 0
    .sgpr_count:     6
    .sgpr_spill_count: 0
    .symbol:         _ZN7rocprim17ROCPRIM_400000_NS6detail17trampoline_kernelINS0_14default_configENS1_38merge_sort_block_merge_config_selectorIxNS0_10empty_typeEEEZZNS1_27merge_sort_block_merge_implIS3_N6thrust23THRUST_200600_302600_NS6detail15normal_iteratorINS9_10device_ptrIxEEEEPS5_jNS1_19radix_merge_compareILb0ELb1ExNS0_19identity_decomposerEEEEE10hipError_tT0_T1_T2_jT3_P12ihipStream_tbPNSt15iterator_traitsISK_E10value_typeEPNSQ_ISL_E10value_typeEPSM_NS1_7vsmem_tEENKUlT_SK_SL_SM_E_clISE_PxSF_SF_EESJ_SZ_SK_SL_SM_EUlSZ_E0_NS1_11comp_targetILNS1_3genE2ELNS1_11target_archE906ELNS1_3gpuE6ELNS1_3repE0EEENS1_38merge_mergepath_config_static_selectorELNS0_4arch9wavefront6targetE1EEEvSL_.kd
    .uniform_work_group_size: 1
    .uses_dynamic_stack: false
    .vgpr_count:     0
    .vgpr_spill_count: 0
    .wavefront_size: 64
  - .agpr_count:     0
    .args:
      - .offset:         0
        .size:           72
        .value_kind:     by_value
    .group_segment_fixed_size: 0
    .kernarg_segment_align: 8
    .kernarg_segment_size: 72
    .language:       OpenCL C
    .language_version:
      - 2
      - 0
    .max_flat_workgroup_size: 512
    .name:           _ZN7rocprim17ROCPRIM_400000_NS6detail17trampoline_kernelINS0_14default_configENS1_38merge_sort_block_merge_config_selectorIxNS0_10empty_typeEEEZZNS1_27merge_sort_block_merge_implIS3_N6thrust23THRUST_200600_302600_NS6detail15normal_iteratorINS9_10device_ptrIxEEEEPS5_jNS1_19radix_merge_compareILb0ELb1ExNS0_19identity_decomposerEEEEE10hipError_tT0_T1_T2_jT3_P12ihipStream_tbPNSt15iterator_traitsISK_E10value_typeEPNSQ_ISL_E10value_typeEPSM_NS1_7vsmem_tEENKUlT_SK_SL_SM_E_clISE_PxSF_SF_EESJ_SZ_SK_SL_SM_EUlSZ_E0_NS1_11comp_targetILNS1_3genE9ELNS1_11target_archE1100ELNS1_3gpuE3ELNS1_3repE0EEENS1_38merge_mergepath_config_static_selectorELNS0_4arch9wavefront6targetE1EEEvSL_
    .private_segment_fixed_size: 0
    .sgpr_count:     6
    .sgpr_spill_count: 0
    .symbol:         _ZN7rocprim17ROCPRIM_400000_NS6detail17trampoline_kernelINS0_14default_configENS1_38merge_sort_block_merge_config_selectorIxNS0_10empty_typeEEEZZNS1_27merge_sort_block_merge_implIS3_N6thrust23THRUST_200600_302600_NS6detail15normal_iteratorINS9_10device_ptrIxEEEEPS5_jNS1_19radix_merge_compareILb0ELb1ExNS0_19identity_decomposerEEEEE10hipError_tT0_T1_T2_jT3_P12ihipStream_tbPNSt15iterator_traitsISK_E10value_typeEPNSQ_ISL_E10value_typeEPSM_NS1_7vsmem_tEENKUlT_SK_SL_SM_E_clISE_PxSF_SF_EESJ_SZ_SK_SL_SM_EUlSZ_E0_NS1_11comp_targetILNS1_3genE9ELNS1_11target_archE1100ELNS1_3gpuE3ELNS1_3repE0EEENS1_38merge_mergepath_config_static_selectorELNS0_4arch9wavefront6targetE1EEEvSL_.kd
    .uniform_work_group_size: 1
    .uses_dynamic_stack: false
    .vgpr_count:     0
    .vgpr_spill_count: 0
    .wavefront_size: 64
  - .agpr_count:     0
    .args:
      - .offset:         0
        .size:           72
        .value_kind:     by_value
    .group_segment_fixed_size: 0
    .kernarg_segment_align: 8
    .kernarg_segment_size: 72
    .language:       OpenCL C
    .language_version:
      - 2
      - 0
    .max_flat_workgroup_size: 1024
    .name:           _ZN7rocprim17ROCPRIM_400000_NS6detail17trampoline_kernelINS0_14default_configENS1_38merge_sort_block_merge_config_selectorIxNS0_10empty_typeEEEZZNS1_27merge_sort_block_merge_implIS3_N6thrust23THRUST_200600_302600_NS6detail15normal_iteratorINS9_10device_ptrIxEEEEPS5_jNS1_19radix_merge_compareILb0ELb1ExNS0_19identity_decomposerEEEEE10hipError_tT0_T1_T2_jT3_P12ihipStream_tbPNSt15iterator_traitsISK_E10value_typeEPNSQ_ISL_E10value_typeEPSM_NS1_7vsmem_tEENKUlT_SK_SL_SM_E_clISE_PxSF_SF_EESJ_SZ_SK_SL_SM_EUlSZ_E0_NS1_11comp_targetILNS1_3genE8ELNS1_11target_archE1030ELNS1_3gpuE2ELNS1_3repE0EEENS1_38merge_mergepath_config_static_selectorELNS0_4arch9wavefront6targetE1EEEvSL_
    .private_segment_fixed_size: 0
    .sgpr_count:     6
    .sgpr_spill_count: 0
    .symbol:         _ZN7rocprim17ROCPRIM_400000_NS6detail17trampoline_kernelINS0_14default_configENS1_38merge_sort_block_merge_config_selectorIxNS0_10empty_typeEEEZZNS1_27merge_sort_block_merge_implIS3_N6thrust23THRUST_200600_302600_NS6detail15normal_iteratorINS9_10device_ptrIxEEEEPS5_jNS1_19radix_merge_compareILb0ELb1ExNS0_19identity_decomposerEEEEE10hipError_tT0_T1_T2_jT3_P12ihipStream_tbPNSt15iterator_traitsISK_E10value_typeEPNSQ_ISL_E10value_typeEPSM_NS1_7vsmem_tEENKUlT_SK_SL_SM_E_clISE_PxSF_SF_EESJ_SZ_SK_SL_SM_EUlSZ_E0_NS1_11comp_targetILNS1_3genE8ELNS1_11target_archE1030ELNS1_3gpuE2ELNS1_3repE0EEENS1_38merge_mergepath_config_static_selectorELNS0_4arch9wavefront6targetE1EEEvSL_.kd
    .uniform_work_group_size: 1
    .uses_dynamic_stack: false
    .vgpr_count:     0
    .vgpr_spill_count: 0
    .wavefront_size: 64
  - .agpr_count:     0
    .args:
      - .offset:         0
        .size:           48
        .value_kind:     by_value
    .group_segment_fixed_size: 0
    .kernarg_segment_align: 8
    .kernarg_segment_size: 48
    .language:       OpenCL C
    .language_version:
      - 2
      - 0
    .max_flat_workgroup_size: 256
    .name:           _ZN7rocprim17ROCPRIM_400000_NS6detail17trampoline_kernelINS0_14default_configENS1_38merge_sort_block_merge_config_selectorIxNS0_10empty_typeEEEZZNS1_27merge_sort_block_merge_implIS3_N6thrust23THRUST_200600_302600_NS6detail15normal_iteratorINS9_10device_ptrIxEEEEPS5_jNS1_19radix_merge_compareILb0ELb1ExNS0_19identity_decomposerEEEEE10hipError_tT0_T1_T2_jT3_P12ihipStream_tbPNSt15iterator_traitsISK_E10value_typeEPNSQ_ISL_E10value_typeEPSM_NS1_7vsmem_tEENKUlT_SK_SL_SM_E_clISE_PxSF_SF_EESJ_SZ_SK_SL_SM_EUlSZ_E1_NS1_11comp_targetILNS1_3genE0ELNS1_11target_archE4294967295ELNS1_3gpuE0ELNS1_3repE0EEENS1_36merge_oddeven_config_static_selectorELNS0_4arch9wavefront6targetE1EEEvSL_
    .private_segment_fixed_size: 0
    .sgpr_count:     6
    .sgpr_spill_count: 0
    .symbol:         _ZN7rocprim17ROCPRIM_400000_NS6detail17trampoline_kernelINS0_14default_configENS1_38merge_sort_block_merge_config_selectorIxNS0_10empty_typeEEEZZNS1_27merge_sort_block_merge_implIS3_N6thrust23THRUST_200600_302600_NS6detail15normal_iteratorINS9_10device_ptrIxEEEEPS5_jNS1_19radix_merge_compareILb0ELb1ExNS0_19identity_decomposerEEEEE10hipError_tT0_T1_T2_jT3_P12ihipStream_tbPNSt15iterator_traitsISK_E10value_typeEPNSQ_ISL_E10value_typeEPSM_NS1_7vsmem_tEENKUlT_SK_SL_SM_E_clISE_PxSF_SF_EESJ_SZ_SK_SL_SM_EUlSZ_E1_NS1_11comp_targetILNS1_3genE0ELNS1_11target_archE4294967295ELNS1_3gpuE0ELNS1_3repE0EEENS1_36merge_oddeven_config_static_selectorELNS0_4arch9wavefront6targetE1EEEvSL_.kd
    .uniform_work_group_size: 1
    .uses_dynamic_stack: false
    .vgpr_count:     0
    .vgpr_spill_count: 0
    .wavefront_size: 64
  - .agpr_count:     0
    .args:
      - .offset:         0
        .size:           48
        .value_kind:     by_value
    .group_segment_fixed_size: 0
    .kernarg_segment_align: 8
    .kernarg_segment_size: 48
    .language:       OpenCL C
    .language_version:
      - 2
      - 0
    .max_flat_workgroup_size: 256
    .name:           _ZN7rocprim17ROCPRIM_400000_NS6detail17trampoline_kernelINS0_14default_configENS1_38merge_sort_block_merge_config_selectorIxNS0_10empty_typeEEEZZNS1_27merge_sort_block_merge_implIS3_N6thrust23THRUST_200600_302600_NS6detail15normal_iteratorINS9_10device_ptrIxEEEEPS5_jNS1_19radix_merge_compareILb0ELb1ExNS0_19identity_decomposerEEEEE10hipError_tT0_T1_T2_jT3_P12ihipStream_tbPNSt15iterator_traitsISK_E10value_typeEPNSQ_ISL_E10value_typeEPSM_NS1_7vsmem_tEENKUlT_SK_SL_SM_E_clISE_PxSF_SF_EESJ_SZ_SK_SL_SM_EUlSZ_E1_NS1_11comp_targetILNS1_3genE10ELNS1_11target_archE1201ELNS1_3gpuE5ELNS1_3repE0EEENS1_36merge_oddeven_config_static_selectorELNS0_4arch9wavefront6targetE1EEEvSL_
    .private_segment_fixed_size: 0
    .sgpr_count:     6
    .sgpr_spill_count: 0
    .symbol:         _ZN7rocprim17ROCPRIM_400000_NS6detail17trampoline_kernelINS0_14default_configENS1_38merge_sort_block_merge_config_selectorIxNS0_10empty_typeEEEZZNS1_27merge_sort_block_merge_implIS3_N6thrust23THRUST_200600_302600_NS6detail15normal_iteratorINS9_10device_ptrIxEEEEPS5_jNS1_19radix_merge_compareILb0ELb1ExNS0_19identity_decomposerEEEEE10hipError_tT0_T1_T2_jT3_P12ihipStream_tbPNSt15iterator_traitsISK_E10value_typeEPNSQ_ISL_E10value_typeEPSM_NS1_7vsmem_tEENKUlT_SK_SL_SM_E_clISE_PxSF_SF_EESJ_SZ_SK_SL_SM_EUlSZ_E1_NS1_11comp_targetILNS1_3genE10ELNS1_11target_archE1201ELNS1_3gpuE5ELNS1_3repE0EEENS1_36merge_oddeven_config_static_selectorELNS0_4arch9wavefront6targetE1EEEvSL_.kd
    .uniform_work_group_size: 1
    .uses_dynamic_stack: false
    .vgpr_count:     0
    .vgpr_spill_count: 0
    .wavefront_size: 64
  - .agpr_count:     0
    .args:
      - .offset:         0
        .size:           48
        .value_kind:     by_value
    .group_segment_fixed_size: 0
    .kernarg_segment_align: 8
    .kernarg_segment_size: 48
    .language:       OpenCL C
    .language_version:
      - 2
      - 0
    .max_flat_workgroup_size: 256
    .name:           _ZN7rocprim17ROCPRIM_400000_NS6detail17trampoline_kernelINS0_14default_configENS1_38merge_sort_block_merge_config_selectorIxNS0_10empty_typeEEEZZNS1_27merge_sort_block_merge_implIS3_N6thrust23THRUST_200600_302600_NS6detail15normal_iteratorINS9_10device_ptrIxEEEEPS5_jNS1_19radix_merge_compareILb0ELb1ExNS0_19identity_decomposerEEEEE10hipError_tT0_T1_T2_jT3_P12ihipStream_tbPNSt15iterator_traitsISK_E10value_typeEPNSQ_ISL_E10value_typeEPSM_NS1_7vsmem_tEENKUlT_SK_SL_SM_E_clISE_PxSF_SF_EESJ_SZ_SK_SL_SM_EUlSZ_E1_NS1_11comp_targetILNS1_3genE5ELNS1_11target_archE942ELNS1_3gpuE9ELNS1_3repE0EEENS1_36merge_oddeven_config_static_selectorELNS0_4arch9wavefront6targetE1EEEvSL_
    .private_segment_fixed_size: 0
    .sgpr_count:     27
    .sgpr_spill_count: 0
    .symbol:         _ZN7rocprim17ROCPRIM_400000_NS6detail17trampoline_kernelINS0_14default_configENS1_38merge_sort_block_merge_config_selectorIxNS0_10empty_typeEEEZZNS1_27merge_sort_block_merge_implIS3_N6thrust23THRUST_200600_302600_NS6detail15normal_iteratorINS9_10device_ptrIxEEEEPS5_jNS1_19radix_merge_compareILb0ELb1ExNS0_19identity_decomposerEEEEE10hipError_tT0_T1_T2_jT3_P12ihipStream_tbPNSt15iterator_traitsISK_E10value_typeEPNSQ_ISL_E10value_typeEPSM_NS1_7vsmem_tEENKUlT_SK_SL_SM_E_clISE_PxSF_SF_EESJ_SZ_SK_SL_SM_EUlSZ_E1_NS1_11comp_targetILNS1_3genE5ELNS1_11target_archE942ELNS1_3gpuE9ELNS1_3repE0EEENS1_36merge_oddeven_config_static_selectorELNS0_4arch9wavefront6targetE1EEEvSL_.kd
    .uniform_work_group_size: 1
    .uses_dynamic_stack: false
    .vgpr_count:     13
    .vgpr_spill_count: 0
    .wavefront_size: 64
  - .agpr_count:     0
    .args:
      - .offset:         0
        .size:           48
        .value_kind:     by_value
    .group_segment_fixed_size: 0
    .kernarg_segment_align: 8
    .kernarg_segment_size: 48
    .language:       OpenCL C
    .language_version:
      - 2
      - 0
    .max_flat_workgroup_size: 256
    .name:           _ZN7rocprim17ROCPRIM_400000_NS6detail17trampoline_kernelINS0_14default_configENS1_38merge_sort_block_merge_config_selectorIxNS0_10empty_typeEEEZZNS1_27merge_sort_block_merge_implIS3_N6thrust23THRUST_200600_302600_NS6detail15normal_iteratorINS9_10device_ptrIxEEEEPS5_jNS1_19radix_merge_compareILb0ELb1ExNS0_19identity_decomposerEEEEE10hipError_tT0_T1_T2_jT3_P12ihipStream_tbPNSt15iterator_traitsISK_E10value_typeEPNSQ_ISL_E10value_typeEPSM_NS1_7vsmem_tEENKUlT_SK_SL_SM_E_clISE_PxSF_SF_EESJ_SZ_SK_SL_SM_EUlSZ_E1_NS1_11comp_targetILNS1_3genE4ELNS1_11target_archE910ELNS1_3gpuE8ELNS1_3repE0EEENS1_36merge_oddeven_config_static_selectorELNS0_4arch9wavefront6targetE1EEEvSL_
    .private_segment_fixed_size: 0
    .sgpr_count:     6
    .sgpr_spill_count: 0
    .symbol:         _ZN7rocprim17ROCPRIM_400000_NS6detail17trampoline_kernelINS0_14default_configENS1_38merge_sort_block_merge_config_selectorIxNS0_10empty_typeEEEZZNS1_27merge_sort_block_merge_implIS3_N6thrust23THRUST_200600_302600_NS6detail15normal_iteratorINS9_10device_ptrIxEEEEPS5_jNS1_19radix_merge_compareILb0ELb1ExNS0_19identity_decomposerEEEEE10hipError_tT0_T1_T2_jT3_P12ihipStream_tbPNSt15iterator_traitsISK_E10value_typeEPNSQ_ISL_E10value_typeEPSM_NS1_7vsmem_tEENKUlT_SK_SL_SM_E_clISE_PxSF_SF_EESJ_SZ_SK_SL_SM_EUlSZ_E1_NS1_11comp_targetILNS1_3genE4ELNS1_11target_archE910ELNS1_3gpuE8ELNS1_3repE0EEENS1_36merge_oddeven_config_static_selectorELNS0_4arch9wavefront6targetE1EEEvSL_.kd
    .uniform_work_group_size: 1
    .uses_dynamic_stack: false
    .vgpr_count:     0
    .vgpr_spill_count: 0
    .wavefront_size: 64
  - .agpr_count:     0
    .args:
      - .offset:         0
        .size:           48
        .value_kind:     by_value
    .group_segment_fixed_size: 0
    .kernarg_segment_align: 8
    .kernarg_segment_size: 48
    .language:       OpenCL C
    .language_version:
      - 2
      - 0
    .max_flat_workgroup_size: 256
    .name:           _ZN7rocprim17ROCPRIM_400000_NS6detail17trampoline_kernelINS0_14default_configENS1_38merge_sort_block_merge_config_selectorIxNS0_10empty_typeEEEZZNS1_27merge_sort_block_merge_implIS3_N6thrust23THRUST_200600_302600_NS6detail15normal_iteratorINS9_10device_ptrIxEEEEPS5_jNS1_19radix_merge_compareILb0ELb1ExNS0_19identity_decomposerEEEEE10hipError_tT0_T1_T2_jT3_P12ihipStream_tbPNSt15iterator_traitsISK_E10value_typeEPNSQ_ISL_E10value_typeEPSM_NS1_7vsmem_tEENKUlT_SK_SL_SM_E_clISE_PxSF_SF_EESJ_SZ_SK_SL_SM_EUlSZ_E1_NS1_11comp_targetILNS1_3genE3ELNS1_11target_archE908ELNS1_3gpuE7ELNS1_3repE0EEENS1_36merge_oddeven_config_static_selectorELNS0_4arch9wavefront6targetE1EEEvSL_
    .private_segment_fixed_size: 0
    .sgpr_count:     6
    .sgpr_spill_count: 0
    .symbol:         _ZN7rocprim17ROCPRIM_400000_NS6detail17trampoline_kernelINS0_14default_configENS1_38merge_sort_block_merge_config_selectorIxNS0_10empty_typeEEEZZNS1_27merge_sort_block_merge_implIS3_N6thrust23THRUST_200600_302600_NS6detail15normal_iteratorINS9_10device_ptrIxEEEEPS5_jNS1_19radix_merge_compareILb0ELb1ExNS0_19identity_decomposerEEEEE10hipError_tT0_T1_T2_jT3_P12ihipStream_tbPNSt15iterator_traitsISK_E10value_typeEPNSQ_ISL_E10value_typeEPSM_NS1_7vsmem_tEENKUlT_SK_SL_SM_E_clISE_PxSF_SF_EESJ_SZ_SK_SL_SM_EUlSZ_E1_NS1_11comp_targetILNS1_3genE3ELNS1_11target_archE908ELNS1_3gpuE7ELNS1_3repE0EEENS1_36merge_oddeven_config_static_selectorELNS0_4arch9wavefront6targetE1EEEvSL_.kd
    .uniform_work_group_size: 1
    .uses_dynamic_stack: false
    .vgpr_count:     0
    .vgpr_spill_count: 0
    .wavefront_size: 64
  - .agpr_count:     0
    .args:
      - .offset:         0
        .size:           48
        .value_kind:     by_value
    .group_segment_fixed_size: 0
    .kernarg_segment_align: 8
    .kernarg_segment_size: 48
    .language:       OpenCL C
    .language_version:
      - 2
      - 0
    .max_flat_workgroup_size: 256
    .name:           _ZN7rocprim17ROCPRIM_400000_NS6detail17trampoline_kernelINS0_14default_configENS1_38merge_sort_block_merge_config_selectorIxNS0_10empty_typeEEEZZNS1_27merge_sort_block_merge_implIS3_N6thrust23THRUST_200600_302600_NS6detail15normal_iteratorINS9_10device_ptrIxEEEEPS5_jNS1_19radix_merge_compareILb0ELb1ExNS0_19identity_decomposerEEEEE10hipError_tT0_T1_T2_jT3_P12ihipStream_tbPNSt15iterator_traitsISK_E10value_typeEPNSQ_ISL_E10value_typeEPSM_NS1_7vsmem_tEENKUlT_SK_SL_SM_E_clISE_PxSF_SF_EESJ_SZ_SK_SL_SM_EUlSZ_E1_NS1_11comp_targetILNS1_3genE2ELNS1_11target_archE906ELNS1_3gpuE6ELNS1_3repE0EEENS1_36merge_oddeven_config_static_selectorELNS0_4arch9wavefront6targetE1EEEvSL_
    .private_segment_fixed_size: 0
    .sgpr_count:     6
    .sgpr_spill_count: 0
    .symbol:         _ZN7rocprim17ROCPRIM_400000_NS6detail17trampoline_kernelINS0_14default_configENS1_38merge_sort_block_merge_config_selectorIxNS0_10empty_typeEEEZZNS1_27merge_sort_block_merge_implIS3_N6thrust23THRUST_200600_302600_NS6detail15normal_iteratorINS9_10device_ptrIxEEEEPS5_jNS1_19radix_merge_compareILb0ELb1ExNS0_19identity_decomposerEEEEE10hipError_tT0_T1_T2_jT3_P12ihipStream_tbPNSt15iterator_traitsISK_E10value_typeEPNSQ_ISL_E10value_typeEPSM_NS1_7vsmem_tEENKUlT_SK_SL_SM_E_clISE_PxSF_SF_EESJ_SZ_SK_SL_SM_EUlSZ_E1_NS1_11comp_targetILNS1_3genE2ELNS1_11target_archE906ELNS1_3gpuE6ELNS1_3repE0EEENS1_36merge_oddeven_config_static_selectorELNS0_4arch9wavefront6targetE1EEEvSL_.kd
    .uniform_work_group_size: 1
    .uses_dynamic_stack: false
    .vgpr_count:     0
    .vgpr_spill_count: 0
    .wavefront_size: 64
  - .agpr_count:     0
    .args:
      - .offset:         0
        .size:           48
        .value_kind:     by_value
    .group_segment_fixed_size: 0
    .kernarg_segment_align: 8
    .kernarg_segment_size: 48
    .language:       OpenCL C
    .language_version:
      - 2
      - 0
    .max_flat_workgroup_size: 256
    .name:           _ZN7rocprim17ROCPRIM_400000_NS6detail17trampoline_kernelINS0_14default_configENS1_38merge_sort_block_merge_config_selectorIxNS0_10empty_typeEEEZZNS1_27merge_sort_block_merge_implIS3_N6thrust23THRUST_200600_302600_NS6detail15normal_iteratorINS9_10device_ptrIxEEEEPS5_jNS1_19radix_merge_compareILb0ELb1ExNS0_19identity_decomposerEEEEE10hipError_tT0_T1_T2_jT3_P12ihipStream_tbPNSt15iterator_traitsISK_E10value_typeEPNSQ_ISL_E10value_typeEPSM_NS1_7vsmem_tEENKUlT_SK_SL_SM_E_clISE_PxSF_SF_EESJ_SZ_SK_SL_SM_EUlSZ_E1_NS1_11comp_targetILNS1_3genE9ELNS1_11target_archE1100ELNS1_3gpuE3ELNS1_3repE0EEENS1_36merge_oddeven_config_static_selectorELNS0_4arch9wavefront6targetE1EEEvSL_
    .private_segment_fixed_size: 0
    .sgpr_count:     6
    .sgpr_spill_count: 0
    .symbol:         _ZN7rocprim17ROCPRIM_400000_NS6detail17trampoline_kernelINS0_14default_configENS1_38merge_sort_block_merge_config_selectorIxNS0_10empty_typeEEEZZNS1_27merge_sort_block_merge_implIS3_N6thrust23THRUST_200600_302600_NS6detail15normal_iteratorINS9_10device_ptrIxEEEEPS5_jNS1_19radix_merge_compareILb0ELb1ExNS0_19identity_decomposerEEEEE10hipError_tT0_T1_T2_jT3_P12ihipStream_tbPNSt15iterator_traitsISK_E10value_typeEPNSQ_ISL_E10value_typeEPSM_NS1_7vsmem_tEENKUlT_SK_SL_SM_E_clISE_PxSF_SF_EESJ_SZ_SK_SL_SM_EUlSZ_E1_NS1_11comp_targetILNS1_3genE9ELNS1_11target_archE1100ELNS1_3gpuE3ELNS1_3repE0EEENS1_36merge_oddeven_config_static_selectorELNS0_4arch9wavefront6targetE1EEEvSL_.kd
    .uniform_work_group_size: 1
    .uses_dynamic_stack: false
    .vgpr_count:     0
    .vgpr_spill_count: 0
    .wavefront_size: 64
  - .agpr_count:     0
    .args:
      - .offset:         0
        .size:           48
        .value_kind:     by_value
    .group_segment_fixed_size: 0
    .kernarg_segment_align: 8
    .kernarg_segment_size: 48
    .language:       OpenCL C
    .language_version:
      - 2
      - 0
    .max_flat_workgroup_size: 256
    .name:           _ZN7rocprim17ROCPRIM_400000_NS6detail17trampoline_kernelINS0_14default_configENS1_38merge_sort_block_merge_config_selectorIxNS0_10empty_typeEEEZZNS1_27merge_sort_block_merge_implIS3_N6thrust23THRUST_200600_302600_NS6detail15normal_iteratorINS9_10device_ptrIxEEEEPS5_jNS1_19radix_merge_compareILb0ELb1ExNS0_19identity_decomposerEEEEE10hipError_tT0_T1_T2_jT3_P12ihipStream_tbPNSt15iterator_traitsISK_E10value_typeEPNSQ_ISL_E10value_typeEPSM_NS1_7vsmem_tEENKUlT_SK_SL_SM_E_clISE_PxSF_SF_EESJ_SZ_SK_SL_SM_EUlSZ_E1_NS1_11comp_targetILNS1_3genE8ELNS1_11target_archE1030ELNS1_3gpuE2ELNS1_3repE0EEENS1_36merge_oddeven_config_static_selectorELNS0_4arch9wavefront6targetE1EEEvSL_
    .private_segment_fixed_size: 0
    .sgpr_count:     6
    .sgpr_spill_count: 0
    .symbol:         _ZN7rocprim17ROCPRIM_400000_NS6detail17trampoline_kernelINS0_14default_configENS1_38merge_sort_block_merge_config_selectorIxNS0_10empty_typeEEEZZNS1_27merge_sort_block_merge_implIS3_N6thrust23THRUST_200600_302600_NS6detail15normal_iteratorINS9_10device_ptrIxEEEEPS5_jNS1_19radix_merge_compareILb0ELb1ExNS0_19identity_decomposerEEEEE10hipError_tT0_T1_T2_jT3_P12ihipStream_tbPNSt15iterator_traitsISK_E10value_typeEPNSQ_ISL_E10value_typeEPSM_NS1_7vsmem_tEENKUlT_SK_SL_SM_E_clISE_PxSF_SF_EESJ_SZ_SK_SL_SM_EUlSZ_E1_NS1_11comp_targetILNS1_3genE8ELNS1_11target_archE1030ELNS1_3gpuE2ELNS1_3repE0EEENS1_36merge_oddeven_config_static_selectorELNS0_4arch9wavefront6targetE1EEEvSL_.kd
    .uniform_work_group_size: 1
    .uses_dynamic_stack: false
    .vgpr_count:     0
    .vgpr_spill_count: 0
    .wavefront_size: 64
  - .agpr_count:     0
    .args:
      - .offset:         0
        .size:           40
        .value_kind:     by_value
    .group_segment_fixed_size: 0
    .kernarg_segment_align: 8
    .kernarg_segment_size: 40
    .language:       OpenCL C
    .language_version:
      - 2
      - 0
    .max_flat_workgroup_size: 512
    .name:           _ZN7rocprim17ROCPRIM_400000_NS6detail17trampoline_kernelINS0_14default_configENS1_35radix_sort_onesweep_config_selectorIxNS0_10empty_typeEEEZNS1_34radix_sort_onesweep_global_offsetsIS3_Lb0EN6thrust23THRUST_200600_302600_NS6detail15normal_iteratorINS9_10device_ptrIxEEEEPS5_jNS0_19identity_decomposerEEE10hipError_tT1_T2_PT3_SK_jT4_jjP12ihipStream_tbEUlT_E_NS1_11comp_targetILNS1_3genE0ELNS1_11target_archE4294967295ELNS1_3gpuE0ELNS1_3repE0EEENS1_52radix_sort_onesweep_histogram_config_static_selectorELNS0_4arch9wavefront6targetE1EEEvSI_
    .private_segment_fixed_size: 0
    .sgpr_count:     6
    .sgpr_spill_count: 0
    .symbol:         _ZN7rocprim17ROCPRIM_400000_NS6detail17trampoline_kernelINS0_14default_configENS1_35radix_sort_onesweep_config_selectorIxNS0_10empty_typeEEEZNS1_34radix_sort_onesweep_global_offsetsIS3_Lb0EN6thrust23THRUST_200600_302600_NS6detail15normal_iteratorINS9_10device_ptrIxEEEEPS5_jNS0_19identity_decomposerEEE10hipError_tT1_T2_PT3_SK_jT4_jjP12ihipStream_tbEUlT_E_NS1_11comp_targetILNS1_3genE0ELNS1_11target_archE4294967295ELNS1_3gpuE0ELNS1_3repE0EEENS1_52radix_sort_onesweep_histogram_config_static_selectorELNS0_4arch9wavefront6targetE1EEEvSI_.kd
    .uniform_work_group_size: 1
    .uses_dynamic_stack: false
    .vgpr_count:     0
    .vgpr_spill_count: 0
    .wavefront_size: 64
  - .agpr_count:     0
    .args:
      - .offset:         0
        .size:           40
        .value_kind:     by_value
    .group_segment_fixed_size: 0
    .kernarg_segment_align: 8
    .kernarg_segment_size: 40
    .language:       OpenCL C
    .language_version:
      - 2
      - 0
    .max_flat_workgroup_size: 512
    .name:           _ZN7rocprim17ROCPRIM_400000_NS6detail17trampoline_kernelINS0_14default_configENS1_35radix_sort_onesweep_config_selectorIxNS0_10empty_typeEEEZNS1_34radix_sort_onesweep_global_offsetsIS3_Lb0EN6thrust23THRUST_200600_302600_NS6detail15normal_iteratorINS9_10device_ptrIxEEEEPS5_jNS0_19identity_decomposerEEE10hipError_tT1_T2_PT3_SK_jT4_jjP12ihipStream_tbEUlT_E_NS1_11comp_targetILNS1_3genE6ELNS1_11target_archE950ELNS1_3gpuE13ELNS1_3repE0EEENS1_52radix_sort_onesweep_histogram_config_static_selectorELNS0_4arch9wavefront6targetE1EEEvSI_
    .private_segment_fixed_size: 0
    .sgpr_count:     6
    .sgpr_spill_count: 0
    .symbol:         _ZN7rocprim17ROCPRIM_400000_NS6detail17trampoline_kernelINS0_14default_configENS1_35radix_sort_onesweep_config_selectorIxNS0_10empty_typeEEEZNS1_34radix_sort_onesweep_global_offsetsIS3_Lb0EN6thrust23THRUST_200600_302600_NS6detail15normal_iteratorINS9_10device_ptrIxEEEEPS5_jNS0_19identity_decomposerEEE10hipError_tT1_T2_PT3_SK_jT4_jjP12ihipStream_tbEUlT_E_NS1_11comp_targetILNS1_3genE6ELNS1_11target_archE950ELNS1_3gpuE13ELNS1_3repE0EEENS1_52radix_sort_onesweep_histogram_config_static_selectorELNS0_4arch9wavefront6targetE1EEEvSI_.kd
    .uniform_work_group_size: 1
    .uses_dynamic_stack: false
    .vgpr_count:     0
    .vgpr_spill_count: 0
    .wavefront_size: 64
  - .agpr_count:     0
    .args:
      - .offset:         0
        .size:           40
        .value_kind:     by_value
    .group_segment_fixed_size: 32768
    .kernarg_segment_align: 8
    .kernarg_segment_size: 40
    .language:       OpenCL C
    .language_version:
      - 2
      - 0
    .max_flat_workgroup_size: 512
    .name:           _ZN7rocprim17ROCPRIM_400000_NS6detail17trampoline_kernelINS0_14default_configENS1_35radix_sort_onesweep_config_selectorIxNS0_10empty_typeEEEZNS1_34radix_sort_onesweep_global_offsetsIS3_Lb0EN6thrust23THRUST_200600_302600_NS6detail15normal_iteratorINS9_10device_ptrIxEEEEPS5_jNS0_19identity_decomposerEEE10hipError_tT1_T2_PT3_SK_jT4_jjP12ihipStream_tbEUlT_E_NS1_11comp_targetILNS1_3genE5ELNS1_11target_archE942ELNS1_3gpuE9ELNS1_3repE0EEENS1_52radix_sort_onesweep_histogram_config_static_selectorELNS0_4arch9wavefront6targetE1EEEvSI_
    .private_segment_fixed_size: 0
    .sgpr_count:     25
    .sgpr_spill_count: 0
    .symbol:         _ZN7rocprim17ROCPRIM_400000_NS6detail17trampoline_kernelINS0_14default_configENS1_35radix_sort_onesweep_config_selectorIxNS0_10empty_typeEEEZNS1_34radix_sort_onesweep_global_offsetsIS3_Lb0EN6thrust23THRUST_200600_302600_NS6detail15normal_iteratorINS9_10device_ptrIxEEEEPS5_jNS0_19identity_decomposerEEE10hipError_tT1_T2_PT3_SK_jT4_jjP12ihipStream_tbEUlT_E_NS1_11comp_targetILNS1_3genE5ELNS1_11target_archE942ELNS1_3gpuE9ELNS1_3repE0EEENS1_52radix_sort_onesweep_histogram_config_static_selectorELNS0_4arch9wavefront6targetE1EEEvSI_.kd
    .uniform_work_group_size: 1
    .uses_dynamic_stack: false
    .vgpr_count:     40
    .vgpr_spill_count: 0
    .wavefront_size: 64
  - .agpr_count:     0
    .args:
      - .offset:         0
        .size:           40
        .value_kind:     by_value
    .group_segment_fixed_size: 0
    .kernarg_segment_align: 8
    .kernarg_segment_size: 40
    .language:       OpenCL C
    .language_version:
      - 2
      - 0
    .max_flat_workgroup_size: 512
    .name:           _ZN7rocprim17ROCPRIM_400000_NS6detail17trampoline_kernelINS0_14default_configENS1_35radix_sort_onesweep_config_selectorIxNS0_10empty_typeEEEZNS1_34radix_sort_onesweep_global_offsetsIS3_Lb0EN6thrust23THRUST_200600_302600_NS6detail15normal_iteratorINS9_10device_ptrIxEEEEPS5_jNS0_19identity_decomposerEEE10hipError_tT1_T2_PT3_SK_jT4_jjP12ihipStream_tbEUlT_E_NS1_11comp_targetILNS1_3genE2ELNS1_11target_archE906ELNS1_3gpuE6ELNS1_3repE0EEENS1_52radix_sort_onesweep_histogram_config_static_selectorELNS0_4arch9wavefront6targetE1EEEvSI_
    .private_segment_fixed_size: 0
    .sgpr_count:     6
    .sgpr_spill_count: 0
    .symbol:         _ZN7rocprim17ROCPRIM_400000_NS6detail17trampoline_kernelINS0_14default_configENS1_35radix_sort_onesweep_config_selectorIxNS0_10empty_typeEEEZNS1_34radix_sort_onesweep_global_offsetsIS3_Lb0EN6thrust23THRUST_200600_302600_NS6detail15normal_iteratorINS9_10device_ptrIxEEEEPS5_jNS0_19identity_decomposerEEE10hipError_tT1_T2_PT3_SK_jT4_jjP12ihipStream_tbEUlT_E_NS1_11comp_targetILNS1_3genE2ELNS1_11target_archE906ELNS1_3gpuE6ELNS1_3repE0EEENS1_52radix_sort_onesweep_histogram_config_static_selectorELNS0_4arch9wavefront6targetE1EEEvSI_.kd
    .uniform_work_group_size: 1
    .uses_dynamic_stack: false
    .vgpr_count:     0
    .vgpr_spill_count: 0
    .wavefront_size: 64
  - .agpr_count:     0
    .args:
      - .offset:         0
        .size:           40
        .value_kind:     by_value
    .group_segment_fixed_size: 0
    .kernarg_segment_align: 8
    .kernarg_segment_size: 40
    .language:       OpenCL C
    .language_version:
      - 2
      - 0
    .max_flat_workgroup_size: 1024
    .name:           _ZN7rocprim17ROCPRIM_400000_NS6detail17trampoline_kernelINS0_14default_configENS1_35radix_sort_onesweep_config_selectorIxNS0_10empty_typeEEEZNS1_34radix_sort_onesweep_global_offsetsIS3_Lb0EN6thrust23THRUST_200600_302600_NS6detail15normal_iteratorINS9_10device_ptrIxEEEEPS5_jNS0_19identity_decomposerEEE10hipError_tT1_T2_PT3_SK_jT4_jjP12ihipStream_tbEUlT_E_NS1_11comp_targetILNS1_3genE4ELNS1_11target_archE910ELNS1_3gpuE8ELNS1_3repE0EEENS1_52radix_sort_onesweep_histogram_config_static_selectorELNS0_4arch9wavefront6targetE1EEEvSI_
    .private_segment_fixed_size: 0
    .sgpr_count:     6
    .sgpr_spill_count: 0
    .symbol:         _ZN7rocprim17ROCPRIM_400000_NS6detail17trampoline_kernelINS0_14default_configENS1_35radix_sort_onesweep_config_selectorIxNS0_10empty_typeEEEZNS1_34radix_sort_onesweep_global_offsetsIS3_Lb0EN6thrust23THRUST_200600_302600_NS6detail15normal_iteratorINS9_10device_ptrIxEEEEPS5_jNS0_19identity_decomposerEEE10hipError_tT1_T2_PT3_SK_jT4_jjP12ihipStream_tbEUlT_E_NS1_11comp_targetILNS1_3genE4ELNS1_11target_archE910ELNS1_3gpuE8ELNS1_3repE0EEENS1_52radix_sort_onesweep_histogram_config_static_selectorELNS0_4arch9wavefront6targetE1EEEvSI_.kd
    .uniform_work_group_size: 1
    .uses_dynamic_stack: false
    .vgpr_count:     0
    .vgpr_spill_count: 0
    .wavefront_size: 64
  - .agpr_count:     0
    .args:
      - .offset:         0
        .size:           40
        .value_kind:     by_value
    .group_segment_fixed_size: 0
    .kernarg_segment_align: 8
    .kernarg_segment_size: 40
    .language:       OpenCL C
    .language_version:
      - 2
      - 0
    .max_flat_workgroup_size: 512
    .name:           _ZN7rocprim17ROCPRIM_400000_NS6detail17trampoline_kernelINS0_14default_configENS1_35radix_sort_onesweep_config_selectorIxNS0_10empty_typeEEEZNS1_34radix_sort_onesweep_global_offsetsIS3_Lb0EN6thrust23THRUST_200600_302600_NS6detail15normal_iteratorINS9_10device_ptrIxEEEEPS5_jNS0_19identity_decomposerEEE10hipError_tT1_T2_PT3_SK_jT4_jjP12ihipStream_tbEUlT_E_NS1_11comp_targetILNS1_3genE3ELNS1_11target_archE908ELNS1_3gpuE7ELNS1_3repE0EEENS1_52radix_sort_onesweep_histogram_config_static_selectorELNS0_4arch9wavefront6targetE1EEEvSI_
    .private_segment_fixed_size: 0
    .sgpr_count:     6
    .sgpr_spill_count: 0
    .symbol:         _ZN7rocprim17ROCPRIM_400000_NS6detail17trampoline_kernelINS0_14default_configENS1_35radix_sort_onesweep_config_selectorIxNS0_10empty_typeEEEZNS1_34radix_sort_onesweep_global_offsetsIS3_Lb0EN6thrust23THRUST_200600_302600_NS6detail15normal_iteratorINS9_10device_ptrIxEEEEPS5_jNS0_19identity_decomposerEEE10hipError_tT1_T2_PT3_SK_jT4_jjP12ihipStream_tbEUlT_E_NS1_11comp_targetILNS1_3genE3ELNS1_11target_archE908ELNS1_3gpuE7ELNS1_3repE0EEENS1_52radix_sort_onesweep_histogram_config_static_selectorELNS0_4arch9wavefront6targetE1EEEvSI_.kd
    .uniform_work_group_size: 1
    .uses_dynamic_stack: false
    .vgpr_count:     0
    .vgpr_spill_count: 0
    .wavefront_size: 64
  - .agpr_count:     0
    .args:
      - .offset:         0
        .size:           40
        .value_kind:     by_value
    .group_segment_fixed_size: 0
    .kernarg_segment_align: 8
    .kernarg_segment_size: 40
    .language:       OpenCL C
    .language_version:
      - 2
      - 0
    .max_flat_workgroup_size: 512
    .name:           _ZN7rocprim17ROCPRIM_400000_NS6detail17trampoline_kernelINS0_14default_configENS1_35radix_sort_onesweep_config_selectorIxNS0_10empty_typeEEEZNS1_34radix_sort_onesweep_global_offsetsIS3_Lb0EN6thrust23THRUST_200600_302600_NS6detail15normal_iteratorINS9_10device_ptrIxEEEEPS5_jNS0_19identity_decomposerEEE10hipError_tT1_T2_PT3_SK_jT4_jjP12ihipStream_tbEUlT_E_NS1_11comp_targetILNS1_3genE10ELNS1_11target_archE1201ELNS1_3gpuE5ELNS1_3repE0EEENS1_52radix_sort_onesweep_histogram_config_static_selectorELNS0_4arch9wavefront6targetE1EEEvSI_
    .private_segment_fixed_size: 0
    .sgpr_count:     6
    .sgpr_spill_count: 0
    .symbol:         _ZN7rocprim17ROCPRIM_400000_NS6detail17trampoline_kernelINS0_14default_configENS1_35radix_sort_onesweep_config_selectorIxNS0_10empty_typeEEEZNS1_34radix_sort_onesweep_global_offsetsIS3_Lb0EN6thrust23THRUST_200600_302600_NS6detail15normal_iteratorINS9_10device_ptrIxEEEEPS5_jNS0_19identity_decomposerEEE10hipError_tT1_T2_PT3_SK_jT4_jjP12ihipStream_tbEUlT_E_NS1_11comp_targetILNS1_3genE10ELNS1_11target_archE1201ELNS1_3gpuE5ELNS1_3repE0EEENS1_52radix_sort_onesweep_histogram_config_static_selectorELNS0_4arch9wavefront6targetE1EEEvSI_.kd
    .uniform_work_group_size: 1
    .uses_dynamic_stack: false
    .vgpr_count:     0
    .vgpr_spill_count: 0
    .wavefront_size: 64
  - .agpr_count:     0
    .args:
      - .offset:         0
        .size:           40
        .value_kind:     by_value
    .group_segment_fixed_size: 0
    .kernarg_segment_align: 8
    .kernarg_segment_size: 40
    .language:       OpenCL C
    .language_version:
      - 2
      - 0
    .max_flat_workgroup_size: 1024
    .name:           _ZN7rocprim17ROCPRIM_400000_NS6detail17trampoline_kernelINS0_14default_configENS1_35radix_sort_onesweep_config_selectorIxNS0_10empty_typeEEEZNS1_34radix_sort_onesweep_global_offsetsIS3_Lb0EN6thrust23THRUST_200600_302600_NS6detail15normal_iteratorINS9_10device_ptrIxEEEEPS5_jNS0_19identity_decomposerEEE10hipError_tT1_T2_PT3_SK_jT4_jjP12ihipStream_tbEUlT_E_NS1_11comp_targetILNS1_3genE9ELNS1_11target_archE1100ELNS1_3gpuE3ELNS1_3repE0EEENS1_52radix_sort_onesweep_histogram_config_static_selectorELNS0_4arch9wavefront6targetE1EEEvSI_
    .private_segment_fixed_size: 0
    .sgpr_count:     6
    .sgpr_spill_count: 0
    .symbol:         _ZN7rocprim17ROCPRIM_400000_NS6detail17trampoline_kernelINS0_14default_configENS1_35radix_sort_onesweep_config_selectorIxNS0_10empty_typeEEEZNS1_34radix_sort_onesweep_global_offsetsIS3_Lb0EN6thrust23THRUST_200600_302600_NS6detail15normal_iteratorINS9_10device_ptrIxEEEEPS5_jNS0_19identity_decomposerEEE10hipError_tT1_T2_PT3_SK_jT4_jjP12ihipStream_tbEUlT_E_NS1_11comp_targetILNS1_3genE9ELNS1_11target_archE1100ELNS1_3gpuE3ELNS1_3repE0EEENS1_52radix_sort_onesweep_histogram_config_static_selectorELNS0_4arch9wavefront6targetE1EEEvSI_.kd
    .uniform_work_group_size: 1
    .uses_dynamic_stack: false
    .vgpr_count:     0
    .vgpr_spill_count: 0
    .wavefront_size: 64
  - .agpr_count:     0
    .args:
      - .offset:         0
        .size:           40
        .value_kind:     by_value
    .group_segment_fixed_size: 0
    .kernarg_segment_align: 8
    .kernarg_segment_size: 40
    .language:       OpenCL C
    .language_version:
      - 2
      - 0
    .max_flat_workgroup_size: 1024
    .name:           _ZN7rocprim17ROCPRIM_400000_NS6detail17trampoline_kernelINS0_14default_configENS1_35radix_sort_onesweep_config_selectorIxNS0_10empty_typeEEEZNS1_34radix_sort_onesweep_global_offsetsIS3_Lb0EN6thrust23THRUST_200600_302600_NS6detail15normal_iteratorINS9_10device_ptrIxEEEEPS5_jNS0_19identity_decomposerEEE10hipError_tT1_T2_PT3_SK_jT4_jjP12ihipStream_tbEUlT_E_NS1_11comp_targetILNS1_3genE8ELNS1_11target_archE1030ELNS1_3gpuE2ELNS1_3repE0EEENS1_52radix_sort_onesweep_histogram_config_static_selectorELNS0_4arch9wavefront6targetE1EEEvSI_
    .private_segment_fixed_size: 0
    .sgpr_count:     6
    .sgpr_spill_count: 0
    .symbol:         _ZN7rocprim17ROCPRIM_400000_NS6detail17trampoline_kernelINS0_14default_configENS1_35radix_sort_onesweep_config_selectorIxNS0_10empty_typeEEEZNS1_34radix_sort_onesweep_global_offsetsIS3_Lb0EN6thrust23THRUST_200600_302600_NS6detail15normal_iteratorINS9_10device_ptrIxEEEEPS5_jNS0_19identity_decomposerEEE10hipError_tT1_T2_PT3_SK_jT4_jjP12ihipStream_tbEUlT_E_NS1_11comp_targetILNS1_3genE8ELNS1_11target_archE1030ELNS1_3gpuE2ELNS1_3repE0EEENS1_52radix_sort_onesweep_histogram_config_static_selectorELNS0_4arch9wavefront6targetE1EEEvSI_.kd
    .uniform_work_group_size: 1
    .uses_dynamic_stack: false
    .vgpr_count:     0
    .vgpr_spill_count: 0
    .wavefront_size: 64
  - .agpr_count:     0
    .args:
      - .address_space:  global
        .offset:         0
        .size:           8
        .value_kind:     global_buffer
    .group_segment_fixed_size: 0
    .kernarg_segment_align: 8
    .kernarg_segment_size: 8
    .language:       OpenCL C
    .language_version:
      - 2
      - 0
    .max_flat_workgroup_size: 512
    .name:           _ZN7rocprim17ROCPRIM_400000_NS6detail17trampoline_kernelINS0_14default_configENS1_35radix_sort_onesweep_config_selectorIxNS0_10empty_typeEEEZNS1_34radix_sort_onesweep_global_offsetsIS3_Lb0EN6thrust23THRUST_200600_302600_NS6detail15normal_iteratorINS9_10device_ptrIxEEEEPS5_jNS0_19identity_decomposerEEE10hipError_tT1_T2_PT3_SK_jT4_jjP12ihipStream_tbEUlT_E0_NS1_11comp_targetILNS1_3genE0ELNS1_11target_archE4294967295ELNS1_3gpuE0ELNS1_3repE0EEENS1_52radix_sort_onesweep_histogram_config_static_selectorELNS0_4arch9wavefront6targetE1EEEvSI_
    .private_segment_fixed_size: 0
    .sgpr_count:     6
    .sgpr_spill_count: 0
    .symbol:         _ZN7rocprim17ROCPRIM_400000_NS6detail17trampoline_kernelINS0_14default_configENS1_35radix_sort_onesweep_config_selectorIxNS0_10empty_typeEEEZNS1_34radix_sort_onesweep_global_offsetsIS3_Lb0EN6thrust23THRUST_200600_302600_NS6detail15normal_iteratorINS9_10device_ptrIxEEEEPS5_jNS0_19identity_decomposerEEE10hipError_tT1_T2_PT3_SK_jT4_jjP12ihipStream_tbEUlT_E0_NS1_11comp_targetILNS1_3genE0ELNS1_11target_archE4294967295ELNS1_3gpuE0ELNS1_3repE0EEENS1_52radix_sort_onesweep_histogram_config_static_selectorELNS0_4arch9wavefront6targetE1EEEvSI_.kd
    .uniform_work_group_size: 1
    .uses_dynamic_stack: false
    .vgpr_count:     0
    .vgpr_spill_count: 0
    .wavefront_size: 64
  - .agpr_count:     0
    .args:
      - .address_space:  global
        .offset:         0
        .size:           8
        .value_kind:     global_buffer
    .group_segment_fixed_size: 0
    .kernarg_segment_align: 8
    .kernarg_segment_size: 8
    .language:       OpenCL C
    .language_version:
      - 2
      - 0
    .max_flat_workgroup_size: 512
    .name:           _ZN7rocprim17ROCPRIM_400000_NS6detail17trampoline_kernelINS0_14default_configENS1_35radix_sort_onesweep_config_selectorIxNS0_10empty_typeEEEZNS1_34radix_sort_onesweep_global_offsetsIS3_Lb0EN6thrust23THRUST_200600_302600_NS6detail15normal_iteratorINS9_10device_ptrIxEEEEPS5_jNS0_19identity_decomposerEEE10hipError_tT1_T2_PT3_SK_jT4_jjP12ihipStream_tbEUlT_E0_NS1_11comp_targetILNS1_3genE6ELNS1_11target_archE950ELNS1_3gpuE13ELNS1_3repE0EEENS1_52radix_sort_onesweep_histogram_config_static_selectorELNS0_4arch9wavefront6targetE1EEEvSI_
    .private_segment_fixed_size: 0
    .sgpr_count:     6
    .sgpr_spill_count: 0
    .symbol:         _ZN7rocprim17ROCPRIM_400000_NS6detail17trampoline_kernelINS0_14default_configENS1_35radix_sort_onesweep_config_selectorIxNS0_10empty_typeEEEZNS1_34radix_sort_onesweep_global_offsetsIS3_Lb0EN6thrust23THRUST_200600_302600_NS6detail15normal_iteratorINS9_10device_ptrIxEEEEPS5_jNS0_19identity_decomposerEEE10hipError_tT1_T2_PT3_SK_jT4_jjP12ihipStream_tbEUlT_E0_NS1_11comp_targetILNS1_3genE6ELNS1_11target_archE950ELNS1_3gpuE13ELNS1_3repE0EEENS1_52radix_sort_onesweep_histogram_config_static_selectorELNS0_4arch9wavefront6targetE1EEEvSI_.kd
    .uniform_work_group_size: 1
    .uses_dynamic_stack: false
    .vgpr_count:     0
    .vgpr_spill_count: 0
    .wavefront_size: 64
  - .agpr_count:     0
    .args:
      - .address_space:  global
        .offset:         0
        .size:           8
        .value_kind:     global_buffer
    .group_segment_fixed_size: 32
    .kernarg_segment_align: 8
    .kernarg_segment_size: 8
    .language:       OpenCL C
    .language_version:
      - 2
      - 0
    .max_flat_workgroup_size: 512
    .name:           _ZN7rocprim17ROCPRIM_400000_NS6detail17trampoline_kernelINS0_14default_configENS1_35radix_sort_onesweep_config_selectorIxNS0_10empty_typeEEEZNS1_34radix_sort_onesweep_global_offsetsIS3_Lb0EN6thrust23THRUST_200600_302600_NS6detail15normal_iteratorINS9_10device_ptrIxEEEEPS5_jNS0_19identity_decomposerEEE10hipError_tT1_T2_PT3_SK_jT4_jjP12ihipStream_tbEUlT_E0_NS1_11comp_targetILNS1_3genE5ELNS1_11target_archE942ELNS1_3gpuE9ELNS1_3repE0EEENS1_52radix_sort_onesweep_histogram_config_static_selectorELNS0_4arch9wavefront6targetE1EEEvSI_
    .private_segment_fixed_size: 0
    .sgpr_count:     12
    .sgpr_spill_count: 0
    .symbol:         _ZN7rocprim17ROCPRIM_400000_NS6detail17trampoline_kernelINS0_14default_configENS1_35radix_sort_onesweep_config_selectorIxNS0_10empty_typeEEEZNS1_34radix_sort_onesweep_global_offsetsIS3_Lb0EN6thrust23THRUST_200600_302600_NS6detail15normal_iteratorINS9_10device_ptrIxEEEEPS5_jNS0_19identity_decomposerEEE10hipError_tT1_T2_PT3_SK_jT4_jjP12ihipStream_tbEUlT_E0_NS1_11comp_targetILNS1_3genE5ELNS1_11target_archE942ELNS1_3gpuE9ELNS1_3repE0EEENS1_52radix_sort_onesweep_histogram_config_static_selectorELNS0_4arch9wavefront6targetE1EEEvSI_.kd
    .uniform_work_group_size: 1
    .uses_dynamic_stack: false
    .vgpr_count:     8
    .vgpr_spill_count: 0
    .wavefront_size: 64
  - .agpr_count:     0
    .args:
      - .address_space:  global
        .offset:         0
        .size:           8
        .value_kind:     global_buffer
    .group_segment_fixed_size: 0
    .kernarg_segment_align: 8
    .kernarg_segment_size: 8
    .language:       OpenCL C
    .language_version:
      - 2
      - 0
    .max_flat_workgroup_size: 512
    .name:           _ZN7rocprim17ROCPRIM_400000_NS6detail17trampoline_kernelINS0_14default_configENS1_35radix_sort_onesweep_config_selectorIxNS0_10empty_typeEEEZNS1_34radix_sort_onesweep_global_offsetsIS3_Lb0EN6thrust23THRUST_200600_302600_NS6detail15normal_iteratorINS9_10device_ptrIxEEEEPS5_jNS0_19identity_decomposerEEE10hipError_tT1_T2_PT3_SK_jT4_jjP12ihipStream_tbEUlT_E0_NS1_11comp_targetILNS1_3genE2ELNS1_11target_archE906ELNS1_3gpuE6ELNS1_3repE0EEENS1_52radix_sort_onesweep_histogram_config_static_selectorELNS0_4arch9wavefront6targetE1EEEvSI_
    .private_segment_fixed_size: 0
    .sgpr_count:     6
    .sgpr_spill_count: 0
    .symbol:         _ZN7rocprim17ROCPRIM_400000_NS6detail17trampoline_kernelINS0_14default_configENS1_35radix_sort_onesweep_config_selectorIxNS0_10empty_typeEEEZNS1_34radix_sort_onesweep_global_offsetsIS3_Lb0EN6thrust23THRUST_200600_302600_NS6detail15normal_iteratorINS9_10device_ptrIxEEEEPS5_jNS0_19identity_decomposerEEE10hipError_tT1_T2_PT3_SK_jT4_jjP12ihipStream_tbEUlT_E0_NS1_11comp_targetILNS1_3genE2ELNS1_11target_archE906ELNS1_3gpuE6ELNS1_3repE0EEENS1_52radix_sort_onesweep_histogram_config_static_selectorELNS0_4arch9wavefront6targetE1EEEvSI_.kd
    .uniform_work_group_size: 1
    .uses_dynamic_stack: false
    .vgpr_count:     0
    .vgpr_spill_count: 0
    .wavefront_size: 64
  - .agpr_count:     0
    .args:
      - .address_space:  global
        .offset:         0
        .size:           8
        .value_kind:     global_buffer
    .group_segment_fixed_size: 0
    .kernarg_segment_align: 8
    .kernarg_segment_size: 8
    .language:       OpenCL C
    .language_version:
      - 2
      - 0
    .max_flat_workgroup_size: 1024
    .name:           _ZN7rocprim17ROCPRIM_400000_NS6detail17trampoline_kernelINS0_14default_configENS1_35radix_sort_onesweep_config_selectorIxNS0_10empty_typeEEEZNS1_34radix_sort_onesweep_global_offsetsIS3_Lb0EN6thrust23THRUST_200600_302600_NS6detail15normal_iteratorINS9_10device_ptrIxEEEEPS5_jNS0_19identity_decomposerEEE10hipError_tT1_T2_PT3_SK_jT4_jjP12ihipStream_tbEUlT_E0_NS1_11comp_targetILNS1_3genE4ELNS1_11target_archE910ELNS1_3gpuE8ELNS1_3repE0EEENS1_52radix_sort_onesweep_histogram_config_static_selectorELNS0_4arch9wavefront6targetE1EEEvSI_
    .private_segment_fixed_size: 0
    .sgpr_count:     6
    .sgpr_spill_count: 0
    .symbol:         _ZN7rocprim17ROCPRIM_400000_NS6detail17trampoline_kernelINS0_14default_configENS1_35radix_sort_onesweep_config_selectorIxNS0_10empty_typeEEEZNS1_34radix_sort_onesweep_global_offsetsIS3_Lb0EN6thrust23THRUST_200600_302600_NS6detail15normal_iteratorINS9_10device_ptrIxEEEEPS5_jNS0_19identity_decomposerEEE10hipError_tT1_T2_PT3_SK_jT4_jjP12ihipStream_tbEUlT_E0_NS1_11comp_targetILNS1_3genE4ELNS1_11target_archE910ELNS1_3gpuE8ELNS1_3repE0EEENS1_52radix_sort_onesweep_histogram_config_static_selectorELNS0_4arch9wavefront6targetE1EEEvSI_.kd
    .uniform_work_group_size: 1
    .uses_dynamic_stack: false
    .vgpr_count:     0
    .vgpr_spill_count: 0
    .wavefront_size: 64
  - .agpr_count:     0
    .args:
      - .address_space:  global
        .offset:         0
        .size:           8
        .value_kind:     global_buffer
    .group_segment_fixed_size: 0
    .kernarg_segment_align: 8
    .kernarg_segment_size: 8
    .language:       OpenCL C
    .language_version:
      - 2
      - 0
    .max_flat_workgroup_size: 512
    .name:           _ZN7rocprim17ROCPRIM_400000_NS6detail17trampoline_kernelINS0_14default_configENS1_35radix_sort_onesweep_config_selectorIxNS0_10empty_typeEEEZNS1_34radix_sort_onesweep_global_offsetsIS3_Lb0EN6thrust23THRUST_200600_302600_NS6detail15normal_iteratorINS9_10device_ptrIxEEEEPS5_jNS0_19identity_decomposerEEE10hipError_tT1_T2_PT3_SK_jT4_jjP12ihipStream_tbEUlT_E0_NS1_11comp_targetILNS1_3genE3ELNS1_11target_archE908ELNS1_3gpuE7ELNS1_3repE0EEENS1_52radix_sort_onesweep_histogram_config_static_selectorELNS0_4arch9wavefront6targetE1EEEvSI_
    .private_segment_fixed_size: 0
    .sgpr_count:     6
    .sgpr_spill_count: 0
    .symbol:         _ZN7rocprim17ROCPRIM_400000_NS6detail17trampoline_kernelINS0_14default_configENS1_35radix_sort_onesweep_config_selectorIxNS0_10empty_typeEEEZNS1_34radix_sort_onesweep_global_offsetsIS3_Lb0EN6thrust23THRUST_200600_302600_NS6detail15normal_iteratorINS9_10device_ptrIxEEEEPS5_jNS0_19identity_decomposerEEE10hipError_tT1_T2_PT3_SK_jT4_jjP12ihipStream_tbEUlT_E0_NS1_11comp_targetILNS1_3genE3ELNS1_11target_archE908ELNS1_3gpuE7ELNS1_3repE0EEENS1_52radix_sort_onesweep_histogram_config_static_selectorELNS0_4arch9wavefront6targetE1EEEvSI_.kd
    .uniform_work_group_size: 1
    .uses_dynamic_stack: false
    .vgpr_count:     0
    .vgpr_spill_count: 0
    .wavefront_size: 64
  - .agpr_count:     0
    .args:
      - .address_space:  global
        .offset:         0
        .size:           8
        .value_kind:     global_buffer
    .group_segment_fixed_size: 0
    .kernarg_segment_align: 8
    .kernarg_segment_size: 8
    .language:       OpenCL C
    .language_version:
      - 2
      - 0
    .max_flat_workgroup_size: 512
    .name:           _ZN7rocprim17ROCPRIM_400000_NS6detail17trampoline_kernelINS0_14default_configENS1_35radix_sort_onesweep_config_selectorIxNS0_10empty_typeEEEZNS1_34radix_sort_onesweep_global_offsetsIS3_Lb0EN6thrust23THRUST_200600_302600_NS6detail15normal_iteratorINS9_10device_ptrIxEEEEPS5_jNS0_19identity_decomposerEEE10hipError_tT1_T2_PT3_SK_jT4_jjP12ihipStream_tbEUlT_E0_NS1_11comp_targetILNS1_3genE10ELNS1_11target_archE1201ELNS1_3gpuE5ELNS1_3repE0EEENS1_52radix_sort_onesweep_histogram_config_static_selectorELNS0_4arch9wavefront6targetE1EEEvSI_
    .private_segment_fixed_size: 0
    .sgpr_count:     6
    .sgpr_spill_count: 0
    .symbol:         _ZN7rocprim17ROCPRIM_400000_NS6detail17trampoline_kernelINS0_14default_configENS1_35radix_sort_onesweep_config_selectorIxNS0_10empty_typeEEEZNS1_34radix_sort_onesweep_global_offsetsIS3_Lb0EN6thrust23THRUST_200600_302600_NS6detail15normal_iteratorINS9_10device_ptrIxEEEEPS5_jNS0_19identity_decomposerEEE10hipError_tT1_T2_PT3_SK_jT4_jjP12ihipStream_tbEUlT_E0_NS1_11comp_targetILNS1_3genE10ELNS1_11target_archE1201ELNS1_3gpuE5ELNS1_3repE0EEENS1_52radix_sort_onesweep_histogram_config_static_selectorELNS0_4arch9wavefront6targetE1EEEvSI_.kd
    .uniform_work_group_size: 1
    .uses_dynamic_stack: false
    .vgpr_count:     0
    .vgpr_spill_count: 0
    .wavefront_size: 64
  - .agpr_count:     0
    .args:
      - .address_space:  global
        .offset:         0
        .size:           8
        .value_kind:     global_buffer
    .group_segment_fixed_size: 0
    .kernarg_segment_align: 8
    .kernarg_segment_size: 8
    .language:       OpenCL C
    .language_version:
      - 2
      - 0
    .max_flat_workgroup_size: 1024
    .name:           _ZN7rocprim17ROCPRIM_400000_NS6detail17trampoline_kernelINS0_14default_configENS1_35radix_sort_onesweep_config_selectorIxNS0_10empty_typeEEEZNS1_34radix_sort_onesweep_global_offsetsIS3_Lb0EN6thrust23THRUST_200600_302600_NS6detail15normal_iteratorINS9_10device_ptrIxEEEEPS5_jNS0_19identity_decomposerEEE10hipError_tT1_T2_PT3_SK_jT4_jjP12ihipStream_tbEUlT_E0_NS1_11comp_targetILNS1_3genE9ELNS1_11target_archE1100ELNS1_3gpuE3ELNS1_3repE0EEENS1_52radix_sort_onesweep_histogram_config_static_selectorELNS0_4arch9wavefront6targetE1EEEvSI_
    .private_segment_fixed_size: 0
    .sgpr_count:     6
    .sgpr_spill_count: 0
    .symbol:         _ZN7rocprim17ROCPRIM_400000_NS6detail17trampoline_kernelINS0_14default_configENS1_35radix_sort_onesweep_config_selectorIxNS0_10empty_typeEEEZNS1_34radix_sort_onesweep_global_offsetsIS3_Lb0EN6thrust23THRUST_200600_302600_NS6detail15normal_iteratorINS9_10device_ptrIxEEEEPS5_jNS0_19identity_decomposerEEE10hipError_tT1_T2_PT3_SK_jT4_jjP12ihipStream_tbEUlT_E0_NS1_11comp_targetILNS1_3genE9ELNS1_11target_archE1100ELNS1_3gpuE3ELNS1_3repE0EEENS1_52radix_sort_onesweep_histogram_config_static_selectorELNS0_4arch9wavefront6targetE1EEEvSI_.kd
    .uniform_work_group_size: 1
    .uses_dynamic_stack: false
    .vgpr_count:     0
    .vgpr_spill_count: 0
    .wavefront_size: 64
  - .agpr_count:     0
    .args:
      - .address_space:  global
        .offset:         0
        .size:           8
        .value_kind:     global_buffer
    .group_segment_fixed_size: 0
    .kernarg_segment_align: 8
    .kernarg_segment_size: 8
    .language:       OpenCL C
    .language_version:
      - 2
      - 0
    .max_flat_workgroup_size: 1024
    .name:           _ZN7rocprim17ROCPRIM_400000_NS6detail17trampoline_kernelINS0_14default_configENS1_35radix_sort_onesweep_config_selectorIxNS0_10empty_typeEEEZNS1_34radix_sort_onesweep_global_offsetsIS3_Lb0EN6thrust23THRUST_200600_302600_NS6detail15normal_iteratorINS9_10device_ptrIxEEEEPS5_jNS0_19identity_decomposerEEE10hipError_tT1_T2_PT3_SK_jT4_jjP12ihipStream_tbEUlT_E0_NS1_11comp_targetILNS1_3genE8ELNS1_11target_archE1030ELNS1_3gpuE2ELNS1_3repE0EEENS1_52radix_sort_onesweep_histogram_config_static_selectorELNS0_4arch9wavefront6targetE1EEEvSI_
    .private_segment_fixed_size: 0
    .sgpr_count:     6
    .sgpr_spill_count: 0
    .symbol:         _ZN7rocprim17ROCPRIM_400000_NS6detail17trampoline_kernelINS0_14default_configENS1_35radix_sort_onesweep_config_selectorIxNS0_10empty_typeEEEZNS1_34radix_sort_onesweep_global_offsetsIS3_Lb0EN6thrust23THRUST_200600_302600_NS6detail15normal_iteratorINS9_10device_ptrIxEEEEPS5_jNS0_19identity_decomposerEEE10hipError_tT1_T2_PT3_SK_jT4_jjP12ihipStream_tbEUlT_E0_NS1_11comp_targetILNS1_3genE8ELNS1_11target_archE1030ELNS1_3gpuE2ELNS1_3repE0EEENS1_52radix_sort_onesweep_histogram_config_static_selectorELNS0_4arch9wavefront6targetE1EEEvSI_.kd
    .uniform_work_group_size: 1
    .uses_dynamic_stack: false
    .vgpr_count:     0
    .vgpr_spill_count: 0
    .wavefront_size: 64
  - .agpr_count:     0
    .args:
      - .offset:         0
        .size:           40
        .value_kind:     by_value
    .group_segment_fixed_size: 0
    .kernarg_segment_align: 8
    .kernarg_segment_size: 40
    .language:       OpenCL C
    .language_version:
      - 2
      - 0
    .max_flat_workgroup_size: 128
    .name:           _ZN7rocprim17ROCPRIM_400000_NS6detail17trampoline_kernelINS0_14default_configENS1_25transform_config_selectorIxLb0EEEZNS1_14transform_implILb0ES3_S5_N6thrust23THRUST_200600_302600_NS6detail15normal_iteratorINS8_10device_ptrIxEEEEPxNS0_8identityIxEEEE10hipError_tT2_T3_mT4_P12ihipStream_tbEUlT_E_NS1_11comp_targetILNS1_3genE0ELNS1_11target_archE4294967295ELNS1_3gpuE0ELNS1_3repE0EEENS1_30default_config_static_selectorELNS0_4arch9wavefront6targetE1EEEvT1_
    .private_segment_fixed_size: 0
    .sgpr_count:     6
    .sgpr_spill_count: 0
    .symbol:         _ZN7rocprim17ROCPRIM_400000_NS6detail17trampoline_kernelINS0_14default_configENS1_25transform_config_selectorIxLb0EEEZNS1_14transform_implILb0ES3_S5_N6thrust23THRUST_200600_302600_NS6detail15normal_iteratorINS8_10device_ptrIxEEEEPxNS0_8identityIxEEEE10hipError_tT2_T3_mT4_P12ihipStream_tbEUlT_E_NS1_11comp_targetILNS1_3genE0ELNS1_11target_archE4294967295ELNS1_3gpuE0ELNS1_3repE0EEENS1_30default_config_static_selectorELNS0_4arch9wavefront6targetE1EEEvT1_.kd
    .uniform_work_group_size: 1
    .uses_dynamic_stack: false
    .vgpr_count:     0
    .vgpr_spill_count: 0
    .wavefront_size: 64
  - .agpr_count:     0
    .args:
      - .offset:         0
        .size:           40
        .value_kind:     by_value
      - .offset:         40
        .size:           4
        .value_kind:     hidden_block_count_x
      - .offset:         44
        .size:           4
        .value_kind:     hidden_block_count_y
      - .offset:         48
        .size:           4
        .value_kind:     hidden_block_count_z
      - .offset:         52
        .size:           2
        .value_kind:     hidden_group_size_x
      - .offset:         54
        .size:           2
        .value_kind:     hidden_group_size_y
      - .offset:         56
        .size:           2
        .value_kind:     hidden_group_size_z
      - .offset:         58
        .size:           2
        .value_kind:     hidden_remainder_x
      - .offset:         60
        .size:           2
        .value_kind:     hidden_remainder_y
      - .offset:         62
        .size:           2
        .value_kind:     hidden_remainder_z
      - .offset:         80
        .size:           8
        .value_kind:     hidden_global_offset_x
      - .offset:         88
        .size:           8
        .value_kind:     hidden_global_offset_y
      - .offset:         96
        .size:           8
        .value_kind:     hidden_global_offset_z
      - .offset:         104
        .size:           2
        .value_kind:     hidden_grid_dims
    .group_segment_fixed_size: 0
    .kernarg_segment_align: 8
    .kernarg_segment_size: 296
    .language:       OpenCL C
    .language_version:
      - 2
      - 0
    .max_flat_workgroup_size: 512
    .name:           _ZN7rocprim17ROCPRIM_400000_NS6detail17trampoline_kernelINS0_14default_configENS1_25transform_config_selectorIxLb0EEEZNS1_14transform_implILb0ES3_S5_N6thrust23THRUST_200600_302600_NS6detail15normal_iteratorINS8_10device_ptrIxEEEEPxNS0_8identityIxEEEE10hipError_tT2_T3_mT4_P12ihipStream_tbEUlT_E_NS1_11comp_targetILNS1_3genE5ELNS1_11target_archE942ELNS1_3gpuE9ELNS1_3repE0EEENS1_30default_config_static_selectorELNS0_4arch9wavefront6targetE1EEEvT1_
    .private_segment_fixed_size: 0
    .sgpr_count:     20
    .sgpr_spill_count: 0
    .symbol:         _ZN7rocprim17ROCPRIM_400000_NS6detail17trampoline_kernelINS0_14default_configENS1_25transform_config_selectorIxLb0EEEZNS1_14transform_implILb0ES3_S5_N6thrust23THRUST_200600_302600_NS6detail15normal_iteratorINS8_10device_ptrIxEEEEPxNS0_8identityIxEEEE10hipError_tT2_T3_mT4_P12ihipStream_tbEUlT_E_NS1_11comp_targetILNS1_3genE5ELNS1_11target_archE942ELNS1_3gpuE9ELNS1_3repE0EEENS1_30default_config_static_selectorELNS0_4arch9wavefront6targetE1EEEvT1_.kd
    .uniform_work_group_size: 1
    .uses_dynamic_stack: false
    .vgpr_count:     12
    .vgpr_spill_count: 0
    .wavefront_size: 64
  - .agpr_count:     0
    .args:
      - .offset:         0
        .size:           40
        .value_kind:     by_value
    .group_segment_fixed_size: 0
    .kernarg_segment_align: 8
    .kernarg_segment_size: 40
    .language:       OpenCL C
    .language_version:
      - 2
      - 0
    .max_flat_workgroup_size: 256
    .name:           _ZN7rocprim17ROCPRIM_400000_NS6detail17trampoline_kernelINS0_14default_configENS1_25transform_config_selectorIxLb0EEEZNS1_14transform_implILb0ES3_S5_N6thrust23THRUST_200600_302600_NS6detail15normal_iteratorINS8_10device_ptrIxEEEEPxNS0_8identityIxEEEE10hipError_tT2_T3_mT4_P12ihipStream_tbEUlT_E_NS1_11comp_targetILNS1_3genE4ELNS1_11target_archE910ELNS1_3gpuE8ELNS1_3repE0EEENS1_30default_config_static_selectorELNS0_4arch9wavefront6targetE1EEEvT1_
    .private_segment_fixed_size: 0
    .sgpr_count:     6
    .sgpr_spill_count: 0
    .symbol:         _ZN7rocprim17ROCPRIM_400000_NS6detail17trampoline_kernelINS0_14default_configENS1_25transform_config_selectorIxLb0EEEZNS1_14transform_implILb0ES3_S5_N6thrust23THRUST_200600_302600_NS6detail15normal_iteratorINS8_10device_ptrIxEEEEPxNS0_8identityIxEEEE10hipError_tT2_T3_mT4_P12ihipStream_tbEUlT_E_NS1_11comp_targetILNS1_3genE4ELNS1_11target_archE910ELNS1_3gpuE8ELNS1_3repE0EEENS1_30default_config_static_selectorELNS0_4arch9wavefront6targetE1EEEvT1_.kd
    .uniform_work_group_size: 1
    .uses_dynamic_stack: false
    .vgpr_count:     0
    .vgpr_spill_count: 0
    .wavefront_size: 64
  - .agpr_count:     0
    .args:
      - .offset:         0
        .size:           40
        .value_kind:     by_value
    .group_segment_fixed_size: 0
    .kernarg_segment_align: 8
    .kernarg_segment_size: 40
    .language:       OpenCL C
    .language_version:
      - 2
      - 0
    .max_flat_workgroup_size: 128
    .name:           _ZN7rocprim17ROCPRIM_400000_NS6detail17trampoline_kernelINS0_14default_configENS1_25transform_config_selectorIxLb0EEEZNS1_14transform_implILb0ES3_S5_N6thrust23THRUST_200600_302600_NS6detail15normal_iteratorINS8_10device_ptrIxEEEEPxNS0_8identityIxEEEE10hipError_tT2_T3_mT4_P12ihipStream_tbEUlT_E_NS1_11comp_targetILNS1_3genE3ELNS1_11target_archE908ELNS1_3gpuE7ELNS1_3repE0EEENS1_30default_config_static_selectorELNS0_4arch9wavefront6targetE1EEEvT1_
    .private_segment_fixed_size: 0
    .sgpr_count:     6
    .sgpr_spill_count: 0
    .symbol:         _ZN7rocprim17ROCPRIM_400000_NS6detail17trampoline_kernelINS0_14default_configENS1_25transform_config_selectorIxLb0EEEZNS1_14transform_implILb0ES3_S5_N6thrust23THRUST_200600_302600_NS6detail15normal_iteratorINS8_10device_ptrIxEEEEPxNS0_8identityIxEEEE10hipError_tT2_T3_mT4_P12ihipStream_tbEUlT_E_NS1_11comp_targetILNS1_3genE3ELNS1_11target_archE908ELNS1_3gpuE7ELNS1_3repE0EEENS1_30default_config_static_selectorELNS0_4arch9wavefront6targetE1EEEvT1_.kd
    .uniform_work_group_size: 1
    .uses_dynamic_stack: false
    .vgpr_count:     0
    .vgpr_spill_count: 0
    .wavefront_size: 64
  - .agpr_count:     0
    .args:
      - .offset:         0
        .size:           40
        .value_kind:     by_value
    .group_segment_fixed_size: 0
    .kernarg_segment_align: 8
    .kernarg_segment_size: 40
    .language:       OpenCL C
    .language_version:
      - 2
      - 0
    .max_flat_workgroup_size: 512
    .name:           _ZN7rocprim17ROCPRIM_400000_NS6detail17trampoline_kernelINS0_14default_configENS1_25transform_config_selectorIxLb0EEEZNS1_14transform_implILb0ES3_S5_N6thrust23THRUST_200600_302600_NS6detail15normal_iteratorINS8_10device_ptrIxEEEEPxNS0_8identityIxEEEE10hipError_tT2_T3_mT4_P12ihipStream_tbEUlT_E_NS1_11comp_targetILNS1_3genE2ELNS1_11target_archE906ELNS1_3gpuE6ELNS1_3repE0EEENS1_30default_config_static_selectorELNS0_4arch9wavefront6targetE1EEEvT1_
    .private_segment_fixed_size: 0
    .sgpr_count:     6
    .sgpr_spill_count: 0
    .symbol:         _ZN7rocprim17ROCPRIM_400000_NS6detail17trampoline_kernelINS0_14default_configENS1_25transform_config_selectorIxLb0EEEZNS1_14transform_implILb0ES3_S5_N6thrust23THRUST_200600_302600_NS6detail15normal_iteratorINS8_10device_ptrIxEEEEPxNS0_8identityIxEEEE10hipError_tT2_T3_mT4_P12ihipStream_tbEUlT_E_NS1_11comp_targetILNS1_3genE2ELNS1_11target_archE906ELNS1_3gpuE6ELNS1_3repE0EEENS1_30default_config_static_selectorELNS0_4arch9wavefront6targetE1EEEvT1_.kd
    .uniform_work_group_size: 1
    .uses_dynamic_stack: false
    .vgpr_count:     0
    .vgpr_spill_count: 0
    .wavefront_size: 64
  - .agpr_count:     0
    .args:
      - .offset:         0
        .size:           40
        .value_kind:     by_value
    .group_segment_fixed_size: 0
    .kernarg_segment_align: 8
    .kernarg_segment_size: 40
    .language:       OpenCL C
    .language_version:
      - 2
      - 0
    .max_flat_workgroup_size: 1024
    .name:           _ZN7rocprim17ROCPRIM_400000_NS6detail17trampoline_kernelINS0_14default_configENS1_25transform_config_selectorIxLb0EEEZNS1_14transform_implILb0ES3_S5_N6thrust23THRUST_200600_302600_NS6detail15normal_iteratorINS8_10device_ptrIxEEEEPxNS0_8identityIxEEEE10hipError_tT2_T3_mT4_P12ihipStream_tbEUlT_E_NS1_11comp_targetILNS1_3genE10ELNS1_11target_archE1201ELNS1_3gpuE5ELNS1_3repE0EEENS1_30default_config_static_selectorELNS0_4arch9wavefront6targetE1EEEvT1_
    .private_segment_fixed_size: 0
    .sgpr_count:     6
    .sgpr_spill_count: 0
    .symbol:         _ZN7rocprim17ROCPRIM_400000_NS6detail17trampoline_kernelINS0_14default_configENS1_25transform_config_selectorIxLb0EEEZNS1_14transform_implILb0ES3_S5_N6thrust23THRUST_200600_302600_NS6detail15normal_iteratorINS8_10device_ptrIxEEEEPxNS0_8identityIxEEEE10hipError_tT2_T3_mT4_P12ihipStream_tbEUlT_E_NS1_11comp_targetILNS1_3genE10ELNS1_11target_archE1201ELNS1_3gpuE5ELNS1_3repE0EEENS1_30default_config_static_selectorELNS0_4arch9wavefront6targetE1EEEvT1_.kd
    .uniform_work_group_size: 1
    .uses_dynamic_stack: false
    .vgpr_count:     0
    .vgpr_spill_count: 0
    .wavefront_size: 64
  - .agpr_count:     0
    .args:
      - .offset:         0
        .size:           40
        .value_kind:     by_value
    .group_segment_fixed_size: 0
    .kernarg_segment_align: 8
    .kernarg_segment_size: 40
    .language:       OpenCL C
    .language_version:
      - 2
      - 0
    .max_flat_workgroup_size: 512
    .name:           _ZN7rocprim17ROCPRIM_400000_NS6detail17trampoline_kernelINS0_14default_configENS1_25transform_config_selectorIxLb0EEEZNS1_14transform_implILb0ES3_S5_N6thrust23THRUST_200600_302600_NS6detail15normal_iteratorINS8_10device_ptrIxEEEEPxNS0_8identityIxEEEE10hipError_tT2_T3_mT4_P12ihipStream_tbEUlT_E_NS1_11comp_targetILNS1_3genE10ELNS1_11target_archE1200ELNS1_3gpuE4ELNS1_3repE0EEENS1_30default_config_static_selectorELNS0_4arch9wavefront6targetE1EEEvT1_
    .private_segment_fixed_size: 0
    .sgpr_count:     6
    .sgpr_spill_count: 0
    .symbol:         _ZN7rocprim17ROCPRIM_400000_NS6detail17trampoline_kernelINS0_14default_configENS1_25transform_config_selectorIxLb0EEEZNS1_14transform_implILb0ES3_S5_N6thrust23THRUST_200600_302600_NS6detail15normal_iteratorINS8_10device_ptrIxEEEEPxNS0_8identityIxEEEE10hipError_tT2_T3_mT4_P12ihipStream_tbEUlT_E_NS1_11comp_targetILNS1_3genE10ELNS1_11target_archE1200ELNS1_3gpuE4ELNS1_3repE0EEENS1_30default_config_static_selectorELNS0_4arch9wavefront6targetE1EEEvT1_.kd
    .uniform_work_group_size: 1
    .uses_dynamic_stack: false
    .vgpr_count:     0
    .vgpr_spill_count: 0
    .wavefront_size: 64
  - .agpr_count:     0
    .args:
      - .offset:         0
        .size:           40
        .value_kind:     by_value
    .group_segment_fixed_size: 0
    .kernarg_segment_align: 8
    .kernarg_segment_size: 40
    .language:       OpenCL C
    .language_version:
      - 2
      - 0
    .max_flat_workgroup_size: 512
    .name:           _ZN7rocprim17ROCPRIM_400000_NS6detail17trampoline_kernelINS0_14default_configENS1_25transform_config_selectorIxLb0EEEZNS1_14transform_implILb0ES3_S5_N6thrust23THRUST_200600_302600_NS6detail15normal_iteratorINS8_10device_ptrIxEEEEPxNS0_8identityIxEEEE10hipError_tT2_T3_mT4_P12ihipStream_tbEUlT_E_NS1_11comp_targetILNS1_3genE9ELNS1_11target_archE1100ELNS1_3gpuE3ELNS1_3repE0EEENS1_30default_config_static_selectorELNS0_4arch9wavefront6targetE1EEEvT1_
    .private_segment_fixed_size: 0
    .sgpr_count:     6
    .sgpr_spill_count: 0
    .symbol:         _ZN7rocprim17ROCPRIM_400000_NS6detail17trampoline_kernelINS0_14default_configENS1_25transform_config_selectorIxLb0EEEZNS1_14transform_implILb0ES3_S5_N6thrust23THRUST_200600_302600_NS6detail15normal_iteratorINS8_10device_ptrIxEEEEPxNS0_8identityIxEEEE10hipError_tT2_T3_mT4_P12ihipStream_tbEUlT_E_NS1_11comp_targetILNS1_3genE9ELNS1_11target_archE1100ELNS1_3gpuE3ELNS1_3repE0EEENS1_30default_config_static_selectorELNS0_4arch9wavefront6targetE1EEEvT1_.kd
    .uniform_work_group_size: 1
    .uses_dynamic_stack: false
    .vgpr_count:     0
    .vgpr_spill_count: 0
    .wavefront_size: 64
  - .agpr_count:     0
    .args:
      - .offset:         0
        .size:           40
        .value_kind:     by_value
    .group_segment_fixed_size: 0
    .kernarg_segment_align: 8
    .kernarg_segment_size: 40
    .language:       OpenCL C
    .language_version:
      - 2
      - 0
    .max_flat_workgroup_size: 512
    .name:           _ZN7rocprim17ROCPRIM_400000_NS6detail17trampoline_kernelINS0_14default_configENS1_25transform_config_selectorIxLb0EEEZNS1_14transform_implILb0ES3_S5_N6thrust23THRUST_200600_302600_NS6detail15normal_iteratorINS8_10device_ptrIxEEEEPxNS0_8identityIxEEEE10hipError_tT2_T3_mT4_P12ihipStream_tbEUlT_E_NS1_11comp_targetILNS1_3genE8ELNS1_11target_archE1030ELNS1_3gpuE2ELNS1_3repE0EEENS1_30default_config_static_selectorELNS0_4arch9wavefront6targetE1EEEvT1_
    .private_segment_fixed_size: 0
    .sgpr_count:     6
    .sgpr_spill_count: 0
    .symbol:         _ZN7rocprim17ROCPRIM_400000_NS6detail17trampoline_kernelINS0_14default_configENS1_25transform_config_selectorIxLb0EEEZNS1_14transform_implILb0ES3_S5_N6thrust23THRUST_200600_302600_NS6detail15normal_iteratorINS8_10device_ptrIxEEEEPxNS0_8identityIxEEEE10hipError_tT2_T3_mT4_P12ihipStream_tbEUlT_E_NS1_11comp_targetILNS1_3genE8ELNS1_11target_archE1030ELNS1_3gpuE2ELNS1_3repE0EEENS1_30default_config_static_selectorELNS0_4arch9wavefront6targetE1EEEvT1_.kd
    .uniform_work_group_size: 1
    .uses_dynamic_stack: false
    .vgpr_count:     0
    .vgpr_spill_count: 0
    .wavefront_size: 64
  - .agpr_count:     0
    .args:
      - .offset:         0
        .size:           88
        .value_kind:     by_value
    .group_segment_fixed_size: 0
    .kernarg_segment_align: 8
    .kernarg_segment_size: 88
    .language:       OpenCL C
    .language_version:
      - 2
      - 0
    .max_flat_workgroup_size: 512
    .name:           _ZN7rocprim17ROCPRIM_400000_NS6detail17trampoline_kernelINS0_14default_configENS1_35radix_sort_onesweep_config_selectorIxNS0_10empty_typeEEEZZNS1_29radix_sort_onesweep_iterationIS3_Lb0EN6thrust23THRUST_200600_302600_NS6detail15normal_iteratorINS9_10device_ptrIxEEEESE_PS5_SF_jNS0_19identity_decomposerENS1_16block_id_wrapperIjLb1EEEEE10hipError_tT1_PNSt15iterator_traitsISK_E10value_typeET2_T3_PNSL_ISQ_E10value_typeET4_T5_PSV_SW_PNS1_23onesweep_lookback_stateEbbT6_jjT7_P12ihipStream_tbENKUlT_T0_SK_SP_E_clISE_SE_SF_SF_EEDaS13_S14_SK_SP_EUlS13_E_NS1_11comp_targetILNS1_3genE0ELNS1_11target_archE4294967295ELNS1_3gpuE0ELNS1_3repE0EEENS1_47radix_sort_onesweep_sort_config_static_selectorELNS0_4arch9wavefront6targetE1EEEvSK_
    .private_segment_fixed_size: 0
    .sgpr_count:     6
    .sgpr_spill_count: 0
    .symbol:         _ZN7rocprim17ROCPRIM_400000_NS6detail17trampoline_kernelINS0_14default_configENS1_35radix_sort_onesweep_config_selectorIxNS0_10empty_typeEEEZZNS1_29radix_sort_onesweep_iterationIS3_Lb0EN6thrust23THRUST_200600_302600_NS6detail15normal_iteratorINS9_10device_ptrIxEEEESE_PS5_SF_jNS0_19identity_decomposerENS1_16block_id_wrapperIjLb1EEEEE10hipError_tT1_PNSt15iterator_traitsISK_E10value_typeET2_T3_PNSL_ISQ_E10value_typeET4_T5_PSV_SW_PNS1_23onesweep_lookback_stateEbbT6_jjT7_P12ihipStream_tbENKUlT_T0_SK_SP_E_clISE_SE_SF_SF_EEDaS13_S14_SK_SP_EUlS13_E_NS1_11comp_targetILNS1_3genE0ELNS1_11target_archE4294967295ELNS1_3gpuE0ELNS1_3repE0EEENS1_47radix_sort_onesweep_sort_config_static_selectorELNS0_4arch9wavefront6targetE1EEEvSK_.kd
    .uniform_work_group_size: 1
    .uses_dynamic_stack: false
    .vgpr_count:     0
    .vgpr_spill_count: 0
    .wavefront_size: 64
  - .agpr_count:     0
    .args:
      - .offset:         0
        .size:           88
        .value_kind:     by_value
    .group_segment_fixed_size: 0
    .kernarg_segment_align: 8
    .kernarg_segment_size: 88
    .language:       OpenCL C
    .language_version:
      - 2
      - 0
    .max_flat_workgroup_size: 512
    .name:           _ZN7rocprim17ROCPRIM_400000_NS6detail17trampoline_kernelINS0_14default_configENS1_35radix_sort_onesweep_config_selectorIxNS0_10empty_typeEEEZZNS1_29radix_sort_onesweep_iterationIS3_Lb0EN6thrust23THRUST_200600_302600_NS6detail15normal_iteratorINS9_10device_ptrIxEEEESE_PS5_SF_jNS0_19identity_decomposerENS1_16block_id_wrapperIjLb1EEEEE10hipError_tT1_PNSt15iterator_traitsISK_E10value_typeET2_T3_PNSL_ISQ_E10value_typeET4_T5_PSV_SW_PNS1_23onesweep_lookback_stateEbbT6_jjT7_P12ihipStream_tbENKUlT_T0_SK_SP_E_clISE_SE_SF_SF_EEDaS13_S14_SK_SP_EUlS13_E_NS1_11comp_targetILNS1_3genE6ELNS1_11target_archE950ELNS1_3gpuE13ELNS1_3repE0EEENS1_47radix_sort_onesweep_sort_config_static_selectorELNS0_4arch9wavefront6targetE1EEEvSK_
    .private_segment_fixed_size: 0
    .sgpr_count:     6
    .sgpr_spill_count: 0
    .symbol:         _ZN7rocprim17ROCPRIM_400000_NS6detail17trampoline_kernelINS0_14default_configENS1_35radix_sort_onesweep_config_selectorIxNS0_10empty_typeEEEZZNS1_29radix_sort_onesweep_iterationIS3_Lb0EN6thrust23THRUST_200600_302600_NS6detail15normal_iteratorINS9_10device_ptrIxEEEESE_PS5_SF_jNS0_19identity_decomposerENS1_16block_id_wrapperIjLb1EEEEE10hipError_tT1_PNSt15iterator_traitsISK_E10value_typeET2_T3_PNSL_ISQ_E10value_typeET4_T5_PSV_SW_PNS1_23onesweep_lookback_stateEbbT6_jjT7_P12ihipStream_tbENKUlT_T0_SK_SP_E_clISE_SE_SF_SF_EEDaS13_S14_SK_SP_EUlS13_E_NS1_11comp_targetILNS1_3genE6ELNS1_11target_archE950ELNS1_3gpuE13ELNS1_3repE0EEENS1_47radix_sort_onesweep_sort_config_static_selectorELNS0_4arch9wavefront6targetE1EEEvSK_.kd
    .uniform_work_group_size: 1
    .uses_dynamic_stack: false
    .vgpr_count:     0
    .vgpr_spill_count: 0
    .wavefront_size: 64
  - .agpr_count:     0
    .args:
      - .offset:         0
        .size:           88
        .value_kind:     by_value
      - .offset:         88
        .size:           4
        .value_kind:     hidden_block_count_x
      - .offset:         92
        .size:           4
        .value_kind:     hidden_block_count_y
      - .offset:         96
        .size:           4
        .value_kind:     hidden_block_count_z
      - .offset:         100
        .size:           2
        .value_kind:     hidden_group_size_x
      - .offset:         102
        .size:           2
        .value_kind:     hidden_group_size_y
      - .offset:         104
        .size:           2
        .value_kind:     hidden_group_size_z
      - .offset:         106
        .size:           2
        .value_kind:     hidden_remainder_x
      - .offset:         108
        .size:           2
        .value_kind:     hidden_remainder_y
      - .offset:         110
        .size:           2
        .value_kind:     hidden_remainder_z
      - .offset:         128
        .size:           8
        .value_kind:     hidden_global_offset_x
      - .offset:         136
        .size:           8
        .value_kind:     hidden_global_offset_y
      - .offset:         144
        .size:           8
        .value_kind:     hidden_global_offset_z
      - .offset:         152
        .size:           2
        .value_kind:     hidden_grid_dims
    .group_segment_fixed_size: 10280
    .kernarg_segment_align: 8
    .kernarg_segment_size: 344
    .language:       OpenCL C
    .language_version:
      - 2
      - 0
    .max_flat_workgroup_size: 512
    .name:           _ZN7rocprim17ROCPRIM_400000_NS6detail17trampoline_kernelINS0_14default_configENS1_35radix_sort_onesweep_config_selectorIxNS0_10empty_typeEEEZZNS1_29radix_sort_onesweep_iterationIS3_Lb0EN6thrust23THRUST_200600_302600_NS6detail15normal_iteratorINS9_10device_ptrIxEEEESE_PS5_SF_jNS0_19identity_decomposerENS1_16block_id_wrapperIjLb1EEEEE10hipError_tT1_PNSt15iterator_traitsISK_E10value_typeET2_T3_PNSL_ISQ_E10value_typeET4_T5_PSV_SW_PNS1_23onesweep_lookback_stateEbbT6_jjT7_P12ihipStream_tbENKUlT_T0_SK_SP_E_clISE_SE_SF_SF_EEDaS13_S14_SK_SP_EUlS13_E_NS1_11comp_targetILNS1_3genE5ELNS1_11target_archE942ELNS1_3gpuE9ELNS1_3repE0EEENS1_47radix_sort_onesweep_sort_config_static_selectorELNS0_4arch9wavefront6targetE1EEEvSK_
    .private_segment_fixed_size: 0
    .sgpr_count:     42
    .sgpr_spill_count: 0
    .symbol:         _ZN7rocprim17ROCPRIM_400000_NS6detail17trampoline_kernelINS0_14default_configENS1_35radix_sort_onesweep_config_selectorIxNS0_10empty_typeEEEZZNS1_29radix_sort_onesweep_iterationIS3_Lb0EN6thrust23THRUST_200600_302600_NS6detail15normal_iteratorINS9_10device_ptrIxEEEESE_PS5_SF_jNS0_19identity_decomposerENS1_16block_id_wrapperIjLb1EEEEE10hipError_tT1_PNSt15iterator_traitsISK_E10value_typeET2_T3_PNSL_ISQ_E10value_typeET4_T5_PSV_SW_PNS1_23onesweep_lookback_stateEbbT6_jjT7_P12ihipStream_tbENKUlT_T0_SK_SP_E_clISE_SE_SF_SF_EEDaS13_S14_SK_SP_EUlS13_E_NS1_11comp_targetILNS1_3genE5ELNS1_11target_archE942ELNS1_3gpuE9ELNS1_3repE0EEENS1_47radix_sort_onesweep_sort_config_static_selectorELNS0_4arch9wavefront6targetE1EEEvSK_.kd
    .uniform_work_group_size: 1
    .uses_dynamic_stack: false
    .vgpr_count:     78
    .vgpr_spill_count: 0
    .wavefront_size: 64
  - .agpr_count:     0
    .args:
      - .offset:         0
        .size:           88
        .value_kind:     by_value
    .group_segment_fixed_size: 0
    .kernarg_segment_align: 8
    .kernarg_segment_size: 88
    .language:       OpenCL C
    .language_version:
      - 2
      - 0
    .max_flat_workgroup_size: 512
    .name:           _ZN7rocprim17ROCPRIM_400000_NS6detail17trampoline_kernelINS0_14default_configENS1_35radix_sort_onesweep_config_selectorIxNS0_10empty_typeEEEZZNS1_29radix_sort_onesweep_iterationIS3_Lb0EN6thrust23THRUST_200600_302600_NS6detail15normal_iteratorINS9_10device_ptrIxEEEESE_PS5_SF_jNS0_19identity_decomposerENS1_16block_id_wrapperIjLb1EEEEE10hipError_tT1_PNSt15iterator_traitsISK_E10value_typeET2_T3_PNSL_ISQ_E10value_typeET4_T5_PSV_SW_PNS1_23onesweep_lookback_stateEbbT6_jjT7_P12ihipStream_tbENKUlT_T0_SK_SP_E_clISE_SE_SF_SF_EEDaS13_S14_SK_SP_EUlS13_E_NS1_11comp_targetILNS1_3genE2ELNS1_11target_archE906ELNS1_3gpuE6ELNS1_3repE0EEENS1_47radix_sort_onesweep_sort_config_static_selectorELNS0_4arch9wavefront6targetE1EEEvSK_
    .private_segment_fixed_size: 0
    .sgpr_count:     6
    .sgpr_spill_count: 0
    .symbol:         _ZN7rocprim17ROCPRIM_400000_NS6detail17trampoline_kernelINS0_14default_configENS1_35radix_sort_onesweep_config_selectorIxNS0_10empty_typeEEEZZNS1_29radix_sort_onesweep_iterationIS3_Lb0EN6thrust23THRUST_200600_302600_NS6detail15normal_iteratorINS9_10device_ptrIxEEEESE_PS5_SF_jNS0_19identity_decomposerENS1_16block_id_wrapperIjLb1EEEEE10hipError_tT1_PNSt15iterator_traitsISK_E10value_typeET2_T3_PNSL_ISQ_E10value_typeET4_T5_PSV_SW_PNS1_23onesweep_lookback_stateEbbT6_jjT7_P12ihipStream_tbENKUlT_T0_SK_SP_E_clISE_SE_SF_SF_EEDaS13_S14_SK_SP_EUlS13_E_NS1_11comp_targetILNS1_3genE2ELNS1_11target_archE906ELNS1_3gpuE6ELNS1_3repE0EEENS1_47radix_sort_onesweep_sort_config_static_selectorELNS0_4arch9wavefront6targetE1EEEvSK_.kd
    .uniform_work_group_size: 1
    .uses_dynamic_stack: false
    .vgpr_count:     0
    .vgpr_spill_count: 0
    .wavefront_size: 64
  - .agpr_count:     0
    .args:
      - .offset:         0
        .size:           88
        .value_kind:     by_value
    .group_segment_fixed_size: 0
    .kernarg_segment_align: 8
    .kernarg_segment_size: 88
    .language:       OpenCL C
    .language_version:
      - 2
      - 0
    .max_flat_workgroup_size: 1024
    .name:           _ZN7rocprim17ROCPRIM_400000_NS6detail17trampoline_kernelINS0_14default_configENS1_35radix_sort_onesweep_config_selectorIxNS0_10empty_typeEEEZZNS1_29radix_sort_onesweep_iterationIS3_Lb0EN6thrust23THRUST_200600_302600_NS6detail15normal_iteratorINS9_10device_ptrIxEEEESE_PS5_SF_jNS0_19identity_decomposerENS1_16block_id_wrapperIjLb1EEEEE10hipError_tT1_PNSt15iterator_traitsISK_E10value_typeET2_T3_PNSL_ISQ_E10value_typeET4_T5_PSV_SW_PNS1_23onesweep_lookback_stateEbbT6_jjT7_P12ihipStream_tbENKUlT_T0_SK_SP_E_clISE_SE_SF_SF_EEDaS13_S14_SK_SP_EUlS13_E_NS1_11comp_targetILNS1_3genE4ELNS1_11target_archE910ELNS1_3gpuE8ELNS1_3repE0EEENS1_47radix_sort_onesweep_sort_config_static_selectorELNS0_4arch9wavefront6targetE1EEEvSK_
    .private_segment_fixed_size: 0
    .sgpr_count:     6
    .sgpr_spill_count: 0
    .symbol:         _ZN7rocprim17ROCPRIM_400000_NS6detail17trampoline_kernelINS0_14default_configENS1_35radix_sort_onesweep_config_selectorIxNS0_10empty_typeEEEZZNS1_29radix_sort_onesweep_iterationIS3_Lb0EN6thrust23THRUST_200600_302600_NS6detail15normal_iteratorINS9_10device_ptrIxEEEESE_PS5_SF_jNS0_19identity_decomposerENS1_16block_id_wrapperIjLb1EEEEE10hipError_tT1_PNSt15iterator_traitsISK_E10value_typeET2_T3_PNSL_ISQ_E10value_typeET4_T5_PSV_SW_PNS1_23onesweep_lookback_stateEbbT6_jjT7_P12ihipStream_tbENKUlT_T0_SK_SP_E_clISE_SE_SF_SF_EEDaS13_S14_SK_SP_EUlS13_E_NS1_11comp_targetILNS1_3genE4ELNS1_11target_archE910ELNS1_3gpuE8ELNS1_3repE0EEENS1_47radix_sort_onesweep_sort_config_static_selectorELNS0_4arch9wavefront6targetE1EEEvSK_.kd
    .uniform_work_group_size: 1
    .uses_dynamic_stack: false
    .vgpr_count:     0
    .vgpr_spill_count: 0
    .wavefront_size: 64
  - .agpr_count:     0
    .args:
      - .offset:         0
        .size:           88
        .value_kind:     by_value
    .group_segment_fixed_size: 0
    .kernarg_segment_align: 8
    .kernarg_segment_size: 88
    .language:       OpenCL C
    .language_version:
      - 2
      - 0
    .max_flat_workgroup_size: 512
    .name:           _ZN7rocprim17ROCPRIM_400000_NS6detail17trampoline_kernelINS0_14default_configENS1_35radix_sort_onesweep_config_selectorIxNS0_10empty_typeEEEZZNS1_29radix_sort_onesweep_iterationIS3_Lb0EN6thrust23THRUST_200600_302600_NS6detail15normal_iteratorINS9_10device_ptrIxEEEESE_PS5_SF_jNS0_19identity_decomposerENS1_16block_id_wrapperIjLb1EEEEE10hipError_tT1_PNSt15iterator_traitsISK_E10value_typeET2_T3_PNSL_ISQ_E10value_typeET4_T5_PSV_SW_PNS1_23onesweep_lookback_stateEbbT6_jjT7_P12ihipStream_tbENKUlT_T0_SK_SP_E_clISE_SE_SF_SF_EEDaS13_S14_SK_SP_EUlS13_E_NS1_11comp_targetILNS1_3genE3ELNS1_11target_archE908ELNS1_3gpuE7ELNS1_3repE0EEENS1_47radix_sort_onesweep_sort_config_static_selectorELNS0_4arch9wavefront6targetE1EEEvSK_
    .private_segment_fixed_size: 0
    .sgpr_count:     6
    .sgpr_spill_count: 0
    .symbol:         _ZN7rocprim17ROCPRIM_400000_NS6detail17trampoline_kernelINS0_14default_configENS1_35radix_sort_onesweep_config_selectorIxNS0_10empty_typeEEEZZNS1_29radix_sort_onesweep_iterationIS3_Lb0EN6thrust23THRUST_200600_302600_NS6detail15normal_iteratorINS9_10device_ptrIxEEEESE_PS5_SF_jNS0_19identity_decomposerENS1_16block_id_wrapperIjLb1EEEEE10hipError_tT1_PNSt15iterator_traitsISK_E10value_typeET2_T3_PNSL_ISQ_E10value_typeET4_T5_PSV_SW_PNS1_23onesweep_lookback_stateEbbT6_jjT7_P12ihipStream_tbENKUlT_T0_SK_SP_E_clISE_SE_SF_SF_EEDaS13_S14_SK_SP_EUlS13_E_NS1_11comp_targetILNS1_3genE3ELNS1_11target_archE908ELNS1_3gpuE7ELNS1_3repE0EEENS1_47radix_sort_onesweep_sort_config_static_selectorELNS0_4arch9wavefront6targetE1EEEvSK_.kd
    .uniform_work_group_size: 1
    .uses_dynamic_stack: false
    .vgpr_count:     0
    .vgpr_spill_count: 0
    .wavefront_size: 64
  - .agpr_count:     0
    .args:
      - .offset:         0
        .size:           88
        .value_kind:     by_value
    .group_segment_fixed_size: 0
    .kernarg_segment_align: 8
    .kernarg_segment_size: 88
    .language:       OpenCL C
    .language_version:
      - 2
      - 0
    .max_flat_workgroup_size: 512
    .name:           _ZN7rocprim17ROCPRIM_400000_NS6detail17trampoline_kernelINS0_14default_configENS1_35radix_sort_onesweep_config_selectorIxNS0_10empty_typeEEEZZNS1_29radix_sort_onesweep_iterationIS3_Lb0EN6thrust23THRUST_200600_302600_NS6detail15normal_iteratorINS9_10device_ptrIxEEEESE_PS5_SF_jNS0_19identity_decomposerENS1_16block_id_wrapperIjLb1EEEEE10hipError_tT1_PNSt15iterator_traitsISK_E10value_typeET2_T3_PNSL_ISQ_E10value_typeET4_T5_PSV_SW_PNS1_23onesweep_lookback_stateEbbT6_jjT7_P12ihipStream_tbENKUlT_T0_SK_SP_E_clISE_SE_SF_SF_EEDaS13_S14_SK_SP_EUlS13_E_NS1_11comp_targetILNS1_3genE10ELNS1_11target_archE1201ELNS1_3gpuE5ELNS1_3repE0EEENS1_47radix_sort_onesweep_sort_config_static_selectorELNS0_4arch9wavefront6targetE1EEEvSK_
    .private_segment_fixed_size: 0
    .sgpr_count:     6
    .sgpr_spill_count: 0
    .symbol:         _ZN7rocprim17ROCPRIM_400000_NS6detail17trampoline_kernelINS0_14default_configENS1_35radix_sort_onesweep_config_selectorIxNS0_10empty_typeEEEZZNS1_29radix_sort_onesweep_iterationIS3_Lb0EN6thrust23THRUST_200600_302600_NS6detail15normal_iteratorINS9_10device_ptrIxEEEESE_PS5_SF_jNS0_19identity_decomposerENS1_16block_id_wrapperIjLb1EEEEE10hipError_tT1_PNSt15iterator_traitsISK_E10value_typeET2_T3_PNSL_ISQ_E10value_typeET4_T5_PSV_SW_PNS1_23onesweep_lookback_stateEbbT6_jjT7_P12ihipStream_tbENKUlT_T0_SK_SP_E_clISE_SE_SF_SF_EEDaS13_S14_SK_SP_EUlS13_E_NS1_11comp_targetILNS1_3genE10ELNS1_11target_archE1201ELNS1_3gpuE5ELNS1_3repE0EEENS1_47radix_sort_onesweep_sort_config_static_selectorELNS0_4arch9wavefront6targetE1EEEvSK_.kd
    .uniform_work_group_size: 1
    .uses_dynamic_stack: false
    .vgpr_count:     0
    .vgpr_spill_count: 0
    .wavefront_size: 64
  - .agpr_count:     0
    .args:
      - .offset:         0
        .size:           88
        .value_kind:     by_value
    .group_segment_fixed_size: 0
    .kernarg_segment_align: 8
    .kernarg_segment_size: 88
    .language:       OpenCL C
    .language_version:
      - 2
      - 0
    .max_flat_workgroup_size: 1024
    .name:           _ZN7rocprim17ROCPRIM_400000_NS6detail17trampoline_kernelINS0_14default_configENS1_35radix_sort_onesweep_config_selectorIxNS0_10empty_typeEEEZZNS1_29radix_sort_onesweep_iterationIS3_Lb0EN6thrust23THRUST_200600_302600_NS6detail15normal_iteratorINS9_10device_ptrIxEEEESE_PS5_SF_jNS0_19identity_decomposerENS1_16block_id_wrapperIjLb1EEEEE10hipError_tT1_PNSt15iterator_traitsISK_E10value_typeET2_T3_PNSL_ISQ_E10value_typeET4_T5_PSV_SW_PNS1_23onesweep_lookback_stateEbbT6_jjT7_P12ihipStream_tbENKUlT_T0_SK_SP_E_clISE_SE_SF_SF_EEDaS13_S14_SK_SP_EUlS13_E_NS1_11comp_targetILNS1_3genE9ELNS1_11target_archE1100ELNS1_3gpuE3ELNS1_3repE0EEENS1_47radix_sort_onesweep_sort_config_static_selectorELNS0_4arch9wavefront6targetE1EEEvSK_
    .private_segment_fixed_size: 0
    .sgpr_count:     6
    .sgpr_spill_count: 0
    .symbol:         _ZN7rocprim17ROCPRIM_400000_NS6detail17trampoline_kernelINS0_14default_configENS1_35radix_sort_onesweep_config_selectorIxNS0_10empty_typeEEEZZNS1_29radix_sort_onesweep_iterationIS3_Lb0EN6thrust23THRUST_200600_302600_NS6detail15normal_iteratorINS9_10device_ptrIxEEEESE_PS5_SF_jNS0_19identity_decomposerENS1_16block_id_wrapperIjLb1EEEEE10hipError_tT1_PNSt15iterator_traitsISK_E10value_typeET2_T3_PNSL_ISQ_E10value_typeET4_T5_PSV_SW_PNS1_23onesweep_lookback_stateEbbT6_jjT7_P12ihipStream_tbENKUlT_T0_SK_SP_E_clISE_SE_SF_SF_EEDaS13_S14_SK_SP_EUlS13_E_NS1_11comp_targetILNS1_3genE9ELNS1_11target_archE1100ELNS1_3gpuE3ELNS1_3repE0EEENS1_47radix_sort_onesweep_sort_config_static_selectorELNS0_4arch9wavefront6targetE1EEEvSK_.kd
    .uniform_work_group_size: 1
    .uses_dynamic_stack: false
    .vgpr_count:     0
    .vgpr_spill_count: 0
    .wavefront_size: 64
  - .agpr_count:     0
    .args:
      - .offset:         0
        .size:           88
        .value_kind:     by_value
    .group_segment_fixed_size: 0
    .kernarg_segment_align: 8
    .kernarg_segment_size: 88
    .language:       OpenCL C
    .language_version:
      - 2
      - 0
    .max_flat_workgroup_size: 1024
    .name:           _ZN7rocprim17ROCPRIM_400000_NS6detail17trampoline_kernelINS0_14default_configENS1_35radix_sort_onesweep_config_selectorIxNS0_10empty_typeEEEZZNS1_29radix_sort_onesweep_iterationIS3_Lb0EN6thrust23THRUST_200600_302600_NS6detail15normal_iteratorINS9_10device_ptrIxEEEESE_PS5_SF_jNS0_19identity_decomposerENS1_16block_id_wrapperIjLb1EEEEE10hipError_tT1_PNSt15iterator_traitsISK_E10value_typeET2_T3_PNSL_ISQ_E10value_typeET4_T5_PSV_SW_PNS1_23onesweep_lookback_stateEbbT6_jjT7_P12ihipStream_tbENKUlT_T0_SK_SP_E_clISE_SE_SF_SF_EEDaS13_S14_SK_SP_EUlS13_E_NS1_11comp_targetILNS1_3genE8ELNS1_11target_archE1030ELNS1_3gpuE2ELNS1_3repE0EEENS1_47radix_sort_onesweep_sort_config_static_selectorELNS0_4arch9wavefront6targetE1EEEvSK_
    .private_segment_fixed_size: 0
    .sgpr_count:     6
    .sgpr_spill_count: 0
    .symbol:         _ZN7rocprim17ROCPRIM_400000_NS6detail17trampoline_kernelINS0_14default_configENS1_35radix_sort_onesweep_config_selectorIxNS0_10empty_typeEEEZZNS1_29radix_sort_onesweep_iterationIS3_Lb0EN6thrust23THRUST_200600_302600_NS6detail15normal_iteratorINS9_10device_ptrIxEEEESE_PS5_SF_jNS0_19identity_decomposerENS1_16block_id_wrapperIjLb1EEEEE10hipError_tT1_PNSt15iterator_traitsISK_E10value_typeET2_T3_PNSL_ISQ_E10value_typeET4_T5_PSV_SW_PNS1_23onesweep_lookback_stateEbbT6_jjT7_P12ihipStream_tbENKUlT_T0_SK_SP_E_clISE_SE_SF_SF_EEDaS13_S14_SK_SP_EUlS13_E_NS1_11comp_targetILNS1_3genE8ELNS1_11target_archE1030ELNS1_3gpuE2ELNS1_3repE0EEENS1_47radix_sort_onesweep_sort_config_static_selectorELNS0_4arch9wavefront6targetE1EEEvSK_.kd
    .uniform_work_group_size: 1
    .uses_dynamic_stack: false
    .vgpr_count:     0
    .vgpr_spill_count: 0
    .wavefront_size: 64
  - .agpr_count:     0
    .args:
      - .offset:         0
        .size:           88
        .value_kind:     by_value
    .group_segment_fixed_size: 0
    .kernarg_segment_align: 8
    .kernarg_segment_size: 88
    .language:       OpenCL C
    .language_version:
      - 2
      - 0
    .max_flat_workgroup_size: 512
    .name:           _ZN7rocprim17ROCPRIM_400000_NS6detail17trampoline_kernelINS0_14default_configENS1_35radix_sort_onesweep_config_selectorIxNS0_10empty_typeEEEZZNS1_29radix_sort_onesweep_iterationIS3_Lb0EN6thrust23THRUST_200600_302600_NS6detail15normal_iteratorINS9_10device_ptrIxEEEESE_PS5_SF_jNS0_19identity_decomposerENS1_16block_id_wrapperIjLb1EEEEE10hipError_tT1_PNSt15iterator_traitsISK_E10value_typeET2_T3_PNSL_ISQ_E10value_typeET4_T5_PSV_SW_PNS1_23onesweep_lookback_stateEbbT6_jjT7_P12ihipStream_tbENKUlT_T0_SK_SP_E_clISE_PxSF_SF_EEDaS13_S14_SK_SP_EUlS13_E_NS1_11comp_targetILNS1_3genE0ELNS1_11target_archE4294967295ELNS1_3gpuE0ELNS1_3repE0EEENS1_47radix_sort_onesweep_sort_config_static_selectorELNS0_4arch9wavefront6targetE1EEEvSK_
    .private_segment_fixed_size: 0
    .sgpr_count:     6
    .sgpr_spill_count: 0
    .symbol:         _ZN7rocprim17ROCPRIM_400000_NS6detail17trampoline_kernelINS0_14default_configENS1_35radix_sort_onesweep_config_selectorIxNS0_10empty_typeEEEZZNS1_29radix_sort_onesweep_iterationIS3_Lb0EN6thrust23THRUST_200600_302600_NS6detail15normal_iteratorINS9_10device_ptrIxEEEESE_PS5_SF_jNS0_19identity_decomposerENS1_16block_id_wrapperIjLb1EEEEE10hipError_tT1_PNSt15iterator_traitsISK_E10value_typeET2_T3_PNSL_ISQ_E10value_typeET4_T5_PSV_SW_PNS1_23onesweep_lookback_stateEbbT6_jjT7_P12ihipStream_tbENKUlT_T0_SK_SP_E_clISE_PxSF_SF_EEDaS13_S14_SK_SP_EUlS13_E_NS1_11comp_targetILNS1_3genE0ELNS1_11target_archE4294967295ELNS1_3gpuE0ELNS1_3repE0EEENS1_47radix_sort_onesweep_sort_config_static_selectorELNS0_4arch9wavefront6targetE1EEEvSK_.kd
    .uniform_work_group_size: 1
    .uses_dynamic_stack: false
    .vgpr_count:     0
    .vgpr_spill_count: 0
    .wavefront_size: 64
  - .agpr_count:     0
    .args:
      - .offset:         0
        .size:           88
        .value_kind:     by_value
    .group_segment_fixed_size: 0
    .kernarg_segment_align: 8
    .kernarg_segment_size: 88
    .language:       OpenCL C
    .language_version:
      - 2
      - 0
    .max_flat_workgroup_size: 512
    .name:           _ZN7rocprim17ROCPRIM_400000_NS6detail17trampoline_kernelINS0_14default_configENS1_35radix_sort_onesweep_config_selectorIxNS0_10empty_typeEEEZZNS1_29radix_sort_onesweep_iterationIS3_Lb0EN6thrust23THRUST_200600_302600_NS6detail15normal_iteratorINS9_10device_ptrIxEEEESE_PS5_SF_jNS0_19identity_decomposerENS1_16block_id_wrapperIjLb1EEEEE10hipError_tT1_PNSt15iterator_traitsISK_E10value_typeET2_T3_PNSL_ISQ_E10value_typeET4_T5_PSV_SW_PNS1_23onesweep_lookback_stateEbbT6_jjT7_P12ihipStream_tbENKUlT_T0_SK_SP_E_clISE_PxSF_SF_EEDaS13_S14_SK_SP_EUlS13_E_NS1_11comp_targetILNS1_3genE6ELNS1_11target_archE950ELNS1_3gpuE13ELNS1_3repE0EEENS1_47radix_sort_onesweep_sort_config_static_selectorELNS0_4arch9wavefront6targetE1EEEvSK_
    .private_segment_fixed_size: 0
    .sgpr_count:     6
    .sgpr_spill_count: 0
    .symbol:         _ZN7rocprim17ROCPRIM_400000_NS6detail17trampoline_kernelINS0_14default_configENS1_35radix_sort_onesweep_config_selectorIxNS0_10empty_typeEEEZZNS1_29radix_sort_onesweep_iterationIS3_Lb0EN6thrust23THRUST_200600_302600_NS6detail15normal_iteratorINS9_10device_ptrIxEEEESE_PS5_SF_jNS0_19identity_decomposerENS1_16block_id_wrapperIjLb1EEEEE10hipError_tT1_PNSt15iterator_traitsISK_E10value_typeET2_T3_PNSL_ISQ_E10value_typeET4_T5_PSV_SW_PNS1_23onesweep_lookback_stateEbbT6_jjT7_P12ihipStream_tbENKUlT_T0_SK_SP_E_clISE_PxSF_SF_EEDaS13_S14_SK_SP_EUlS13_E_NS1_11comp_targetILNS1_3genE6ELNS1_11target_archE950ELNS1_3gpuE13ELNS1_3repE0EEENS1_47radix_sort_onesweep_sort_config_static_selectorELNS0_4arch9wavefront6targetE1EEEvSK_.kd
    .uniform_work_group_size: 1
    .uses_dynamic_stack: false
    .vgpr_count:     0
    .vgpr_spill_count: 0
    .wavefront_size: 64
  - .agpr_count:     0
    .args:
      - .offset:         0
        .size:           88
        .value_kind:     by_value
      - .offset:         88
        .size:           4
        .value_kind:     hidden_block_count_x
      - .offset:         92
        .size:           4
        .value_kind:     hidden_block_count_y
      - .offset:         96
        .size:           4
        .value_kind:     hidden_block_count_z
      - .offset:         100
        .size:           2
        .value_kind:     hidden_group_size_x
      - .offset:         102
        .size:           2
        .value_kind:     hidden_group_size_y
      - .offset:         104
        .size:           2
        .value_kind:     hidden_group_size_z
      - .offset:         106
        .size:           2
        .value_kind:     hidden_remainder_x
      - .offset:         108
        .size:           2
        .value_kind:     hidden_remainder_y
      - .offset:         110
        .size:           2
        .value_kind:     hidden_remainder_z
      - .offset:         128
        .size:           8
        .value_kind:     hidden_global_offset_x
      - .offset:         136
        .size:           8
        .value_kind:     hidden_global_offset_y
      - .offset:         144
        .size:           8
        .value_kind:     hidden_global_offset_z
      - .offset:         152
        .size:           2
        .value_kind:     hidden_grid_dims
    .group_segment_fixed_size: 10280
    .kernarg_segment_align: 8
    .kernarg_segment_size: 344
    .language:       OpenCL C
    .language_version:
      - 2
      - 0
    .max_flat_workgroup_size: 512
    .name:           _ZN7rocprim17ROCPRIM_400000_NS6detail17trampoline_kernelINS0_14default_configENS1_35radix_sort_onesweep_config_selectorIxNS0_10empty_typeEEEZZNS1_29radix_sort_onesweep_iterationIS3_Lb0EN6thrust23THRUST_200600_302600_NS6detail15normal_iteratorINS9_10device_ptrIxEEEESE_PS5_SF_jNS0_19identity_decomposerENS1_16block_id_wrapperIjLb1EEEEE10hipError_tT1_PNSt15iterator_traitsISK_E10value_typeET2_T3_PNSL_ISQ_E10value_typeET4_T5_PSV_SW_PNS1_23onesweep_lookback_stateEbbT6_jjT7_P12ihipStream_tbENKUlT_T0_SK_SP_E_clISE_PxSF_SF_EEDaS13_S14_SK_SP_EUlS13_E_NS1_11comp_targetILNS1_3genE5ELNS1_11target_archE942ELNS1_3gpuE9ELNS1_3repE0EEENS1_47radix_sort_onesweep_sort_config_static_selectorELNS0_4arch9wavefront6targetE1EEEvSK_
    .private_segment_fixed_size: 0
    .sgpr_count:     42
    .sgpr_spill_count: 0
    .symbol:         _ZN7rocprim17ROCPRIM_400000_NS6detail17trampoline_kernelINS0_14default_configENS1_35radix_sort_onesweep_config_selectorIxNS0_10empty_typeEEEZZNS1_29radix_sort_onesweep_iterationIS3_Lb0EN6thrust23THRUST_200600_302600_NS6detail15normal_iteratorINS9_10device_ptrIxEEEESE_PS5_SF_jNS0_19identity_decomposerENS1_16block_id_wrapperIjLb1EEEEE10hipError_tT1_PNSt15iterator_traitsISK_E10value_typeET2_T3_PNSL_ISQ_E10value_typeET4_T5_PSV_SW_PNS1_23onesweep_lookback_stateEbbT6_jjT7_P12ihipStream_tbENKUlT_T0_SK_SP_E_clISE_PxSF_SF_EEDaS13_S14_SK_SP_EUlS13_E_NS1_11comp_targetILNS1_3genE5ELNS1_11target_archE942ELNS1_3gpuE9ELNS1_3repE0EEENS1_47radix_sort_onesweep_sort_config_static_selectorELNS0_4arch9wavefront6targetE1EEEvSK_.kd
    .uniform_work_group_size: 1
    .uses_dynamic_stack: false
    .vgpr_count:     78
    .vgpr_spill_count: 0
    .wavefront_size: 64
  - .agpr_count:     0
    .args:
      - .offset:         0
        .size:           88
        .value_kind:     by_value
    .group_segment_fixed_size: 0
    .kernarg_segment_align: 8
    .kernarg_segment_size: 88
    .language:       OpenCL C
    .language_version:
      - 2
      - 0
    .max_flat_workgroup_size: 512
    .name:           _ZN7rocprim17ROCPRIM_400000_NS6detail17trampoline_kernelINS0_14default_configENS1_35radix_sort_onesweep_config_selectorIxNS0_10empty_typeEEEZZNS1_29radix_sort_onesweep_iterationIS3_Lb0EN6thrust23THRUST_200600_302600_NS6detail15normal_iteratorINS9_10device_ptrIxEEEESE_PS5_SF_jNS0_19identity_decomposerENS1_16block_id_wrapperIjLb1EEEEE10hipError_tT1_PNSt15iterator_traitsISK_E10value_typeET2_T3_PNSL_ISQ_E10value_typeET4_T5_PSV_SW_PNS1_23onesweep_lookback_stateEbbT6_jjT7_P12ihipStream_tbENKUlT_T0_SK_SP_E_clISE_PxSF_SF_EEDaS13_S14_SK_SP_EUlS13_E_NS1_11comp_targetILNS1_3genE2ELNS1_11target_archE906ELNS1_3gpuE6ELNS1_3repE0EEENS1_47radix_sort_onesweep_sort_config_static_selectorELNS0_4arch9wavefront6targetE1EEEvSK_
    .private_segment_fixed_size: 0
    .sgpr_count:     6
    .sgpr_spill_count: 0
    .symbol:         _ZN7rocprim17ROCPRIM_400000_NS6detail17trampoline_kernelINS0_14default_configENS1_35radix_sort_onesweep_config_selectorIxNS0_10empty_typeEEEZZNS1_29radix_sort_onesweep_iterationIS3_Lb0EN6thrust23THRUST_200600_302600_NS6detail15normal_iteratorINS9_10device_ptrIxEEEESE_PS5_SF_jNS0_19identity_decomposerENS1_16block_id_wrapperIjLb1EEEEE10hipError_tT1_PNSt15iterator_traitsISK_E10value_typeET2_T3_PNSL_ISQ_E10value_typeET4_T5_PSV_SW_PNS1_23onesweep_lookback_stateEbbT6_jjT7_P12ihipStream_tbENKUlT_T0_SK_SP_E_clISE_PxSF_SF_EEDaS13_S14_SK_SP_EUlS13_E_NS1_11comp_targetILNS1_3genE2ELNS1_11target_archE906ELNS1_3gpuE6ELNS1_3repE0EEENS1_47radix_sort_onesweep_sort_config_static_selectorELNS0_4arch9wavefront6targetE1EEEvSK_.kd
    .uniform_work_group_size: 1
    .uses_dynamic_stack: false
    .vgpr_count:     0
    .vgpr_spill_count: 0
    .wavefront_size: 64
  - .agpr_count:     0
    .args:
      - .offset:         0
        .size:           88
        .value_kind:     by_value
    .group_segment_fixed_size: 0
    .kernarg_segment_align: 8
    .kernarg_segment_size: 88
    .language:       OpenCL C
    .language_version:
      - 2
      - 0
    .max_flat_workgroup_size: 1024
    .name:           _ZN7rocprim17ROCPRIM_400000_NS6detail17trampoline_kernelINS0_14default_configENS1_35radix_sort_onesweep_config_selectorIxNS0_10empty_typeEEEZZNS1_29radix_sort_onesweep_iterationIS3_Lb0EN6thrust23THRUST_200600_302600_NS6detail15normal_iteratorINS9_10device_ptrIxEEEESE_PS5_SF_jNS0_19identity_decomposerENS1_16block_id_wrapperIjLb1EEEEE10hipError_tT1_PNSt15iterator_traitsISK_E10value_typeET2_T3_PNSL_ISQ_E10value_typeET4_T5_PSV_SW_PNS1_23onesweep_lookback_stateEbbT6_jjT7_P12ihipStream_tbENKUlT_T0_SK_SP_E_clISE_PxSF_SF_EEDaS13_S14_SK_SP_EUlS13_E_NS1_11comp_targetILNS1_3genE4ELNS1_11target_archE910ELNS1_3gpuE8ELNS1_3repE0EEENS1_47radix_sort_onesweep_sort_config_static_selectorELNS0_4arch9wavefront6targetE1EEEvSK_
    .private_segment_fixed_size: 0
    .sgpr_count:     6
    .sgpr_spill_count: 0
    .symbol:         _ZN7rocprim17ROCPRIM_400000_NS6detail17trampoline_kernelINS0_14default_configENS1_35radix_sort_onesweep_config_selectorIxNS0_10empty_typeEEEZZNS1_29radix_sort_onesweep_iterationIS3_Lb0EN6thrust23THRUST_200600_302600_NS6detail15normal_iteratorINS9_10device_ptrIxEEEESE_PS5_SF_jNS0_19identity_decomposerENS1_16block_id_wrapperIjLb1EEEEE10hipError_tT1_PNSt15iterator_traitsISK_E10value_typeET2_T3_PNSL_ISQ_E10value_typeET4_T5_PSV_SW_PNS1_23onesweep_lookback_stateEbbT6_jjT7_P12ihipStream_tbENKUlT_T0_SK_SP_E_clISE_PxSF_SF_EEDaS13_S14_SK_SP_EUlS13_E_NS1_11comp_targetILNS1_3genE4ELNS1_11target_archE910ELNS1_3gpuE8ELNS1_3repE0EEENS1_47radix_sort_onesweep_sort_config_static_selectorELNS0_4arch9wavefront6targetE1EEEvSK_.kd
    .uniform_work_group_size: 1
    .uses_dynamic_stack: false
    .vgpr_count:     0
    .vgpr_spill_count: 0
    .wavefront_size: 64
  - .agpr_count:     0
    .args:
      - .offset:         0
        .size:           88
        .value_kind:     by_value
    .group_segment_fixed_size: 0
    .kernarg_segment_align: 8
    .kernarg_segment_size: 88
    .language:       OpenCL C
    .language_version:
      - 2
      - 0
    .max_flat_workgroup_size: 512
    .name:           _ZN7rocprim17ROCPRIM_400000_NS6detail17trampoline_kernelINS0_14default_configENS1_35radix_sort_onesweep_config_selectorIxNS0_10empty_typeEEEZZNS1_29radix_sort_onesweep_iterationIS3_Lb0EN6thrust23THRUST_200600_302600_NS6detail15normal_iteratorINS9_10device_ptrIxEEEESE_PS5_SF_jNS0_19identity_decomposerENS1_16block_id_wrapperIjLb1EEEEE10hipError_tT1_PNSt15iterator_traitsISK_E10value_typeET2_T3_PNSL_ISQ_E10value_typeET4_T5_PSV_SW_PNS1_23onesweep_lookback_stateEbbT6_jjT7_P12ihipStream_tbENKUlT_T0_SK_SP_E_clISE_PxSF_SF_EEDaS13_S14_SK_SP_EUlS13_E_NS1_11comp_targetILNS1_3genE3ELNS1_11target_archE908ELNS1_3gpuE7ELNS1_3repE0EEENS1_47radix_sort_onesweep_sort_config_static_selectorELNS0_4arch9wavefront6targetE1EEEvSK_
    .private_segment_fixed_size: 0
    .sgpr_count:     6
    .sgpr_spill_count: 0
    .symbol:         _ZN7rocprim17ROCPRIM_400000_NS6detail17trampoline_kernelINS0_14default_configENS1_35radix_sort_onesweep_config_selectorIxNS0_10empty_typeEEEZZNS1_29radix_sort_onesweep_iterationIS3_Lb0EN6thrust23THRUST_200600_302600_NS6detail15normal_iteratorINS9_10device_ptrIxEEEESE_PS5_SF_jNS0_19identity_decomposerENS1_16block_id_wrapperIjLb1EEEEE10hipError_tT1_PNSt15iterator_traitsISK_E10value_typeET2_T3_PNSL_ISQ_E10value_typeET4_T5_PSV_SW_PNS1_23onesweep_lookback_stateEbbT6_jjT7_P12ihipStream_tbENKUlT_T0_SK_SP_E_clISE_PxSF_SF_EEDaS13_S14_SK_SP_EUlS13_E_NS1_11comp_targetILNS1_3genE3ELNS1_11target_archE908ELNS1_3gpuE7ELNS1_3repE0EEENS1_47radix_sort_onesweep_sort_config_static_selectorELNS0_4arch9wavefront6targetE1EEEvSK_.kd
    .uniform_work_group_size: 1
    .uses_dynamic_stack: false
    .vgpr_count:     0
    .vgpr_spill_count: 0
    .wavefront_size: 64
  - .agpr_count:     0
    .args:
      - .offset:         0
        .size:           88
        .value_kind:     by_value
    .group_segment_fixed_size: 0
    .kernarg_segment_align: 8
    .kernarg_segment_size: 88
    .language:       OpenCL C
    .language_version:
      - 2
      - 0
    .max_flat_workgroup_size: 512
    .name:           _ZN7rocprim17ROCPRIM_400000_NS6detail17trampoline_kernelINS0_14default_configENS1_35radix_sort_onesweep_config_selectorIxNS0_10empty_typeEEEZZNS1_29radix_sort_onesweep_iterationIS3_Lb0EN6thrust23THRUST_200600_302600_NS6detail15normal_iteratorINS9_10device_ptrIxEEEESE_PS5_SF_jNS0_19identity_decomposerENS1_16block_id_wrapperIjLb1EEEEE10hipError_tT1_PNSt15iterator_traitsISK_E10value_typeET2_T3_PNSL_ISQ_E10value_typeET4_T5_PSV_SW_PNS1_23onesweep_lookback_stateEbbT6_jjT7_P12ihipStream_tbENKUlT_T0_SK_SP_E_clISE_PxSF_SF_EEDaS13_S14_SK_SP_EUlS13_E_NS1_11comp_targetILNS1_3genE10ELNS1_11target_archE1201ELNS1_3gpuE5ELNS1_3repE0EEENS1_47radix_sort_onesweep_sort_config_static_selectorELNS0_4arch9wavefront6targetE1EEEvSK_
    .private_segment_fixed_size: 0
    .sgpr_count:     6
    .sgpr_spill_count: 0
    .symbol:         _ZN7rocprim17ROCPRIM_400000_NS6detail17trampoline_kernelINS0_14default_configENS1_35radix_sort_onesweep_config_selectorIxNS0_10empty_typeEEEZZNS1_29radix_sort_onesweep_iterationIS3_Lb0EN6thrust23THRUST_200600_302600_NS6detail15normal_iteratorINS9_10device_ptrIxEEEESE_PS5_SF_jNS0_19identity_decomposerENS1_16block_id_wrapperIjLb1EEEEE10hipError_tT1_PNSt15iterator_traitsISK_E10value_typeET2_T3_PNSL_ISQ_E10value_typeET4_T5_PSV_SW_PNS1_23onesweep_lookback_stateEbbT6_jjT7_P12ihipStream_tbENKUlT_T0_SK_SP_E_clISE_PxSF_SF_EEDaS13_S14_SK_SP_EUlS13_E_NS1_11comp_targetILNS1_3genE10ELNS1_11target_archE1201ELNS1_3gpuE5ELNS1_3repE0EEENS1_47radix_sort_onesweep_sort_config_static_selectorELNS0_4arch9wavefront6targetE1EEEvSK_.kd
    .uniform_work_group_size: 1
    .uses_dynamic_stack: false
    .vgpr_count:     0
    .vgpr_spill_count: 0
    .wavefront_size: 64
  - .agpr_count:     0
    .args:
      - .offset:         0
        .size:           88
        .value_kind:     by_value
    .group_segment_fixed_size: 0
    .kernarg_segment_align: 8
    .kernarg_segment_size: 88
    .language:       OpenCL C
    .language_version:
      - 2
      - 0
    .max_flat_workgroup_size: 1024
    .name:           _ZN7rocprim17ROCPRIM_400000_NS6detail17trampoline_kernelINS0_14default_configENS1_35radix_sort_onesweep_config_selectorIxNS0_10empty_typeEEEZZNS1_29radix_sort_onesweep_iterationIS3_Lb0EN6thrust23THRUST_200600_302600_NS6detail15normal_iteratorINS9_10device_ptrIxEEEESE_PS5_SF_jNS0_19identity_decomposerENS1_16block_id_wrapperIjLb1EEEEE10hipError_tT1_PNSt15iterator_traitsISK_E10value_typeET2_T3_PNSL_ISQ_E10value_typeET4_T5_PSV_SW_PNS1_23onesweep_lookback_stateEbbT6_jjT7_P12ihipStream_tbENKUlT_T0_SK_SP_E_clISE_PxSF_SF_EEDaS13_S14_SK_SP_EUlS13_E_NS1_11comp_targetILNS1_3genE9ELNS1_11target_archE1100ELNS1_3gpuE3ELNS1_3repE0EEENS1_47radix_sort_onesweep_sort_config_static_selectorELNS0_4arch9wavefront6targetE1EEEvSK_
    .private_segment_fixed_size: 0
    .sgpr_count:     6
    .sgpr_spill_count: 0
    .symbol:         _ZN7rocprim17ROCPRIM_400000_NS6detail17trampoline_kernelINS0_14default_configENS1_35radix_sort_onesweep_config_selectorIxNS0_10empty_typeEEEZZNS1_29radix_sort_onesweep_iterationIS3_Lb0EN6thrust23THRUST_200600_302600_NS6detail15normal_iteratorINS9_10device_ptrIxEEEESE_PS5_SF_jNS0_19identity_decomposerENS1_16block_id_wrapperIjLb1EEEEE10hipError_tT1_PNSt15iterator_traitsISK_E10value_typeET2_T3_PNSL_ISQ_E10value_typeET4_T5_PSV_SW_PNS1_23onesweep_lookback_stateEbbT6_jjT7_P12ihipStream_tbENKUlT_T0_SK_SP_E_clISE_PxSF_SF_EEDaS13_S14_SK_SP_EUlS13_E_NS1_11comp_targetILNS1_3genE9ELNS1_11target_archE1100ELNS1_3gpuE3ELNS1_3repE0EEENS1_47radix_sort_onesweep_sort_config_static_selectorELNS0_4arch9wavefront6targetE1EEEvSK_.kd
    .uniform_work_group_size: 1
    .uses_dynamic_stack: false
    .vgpr_count:     0
    .vgpr_spill_count: 0
    .wavefront_size: 64
  - .agpr_count:     0
    .args:
      - .offset:         0
        .size:           88
        .value_kind:     by_value
    .group_segment_fixed_size: 0
    .kernarg_segment_align: 8
    .kernarg_segment_size: 88
    .language:       OpenCL C
    .language_version:
      - 2
      - 0
    .max_flat_workgroup_size: 1024
    .name:           _ZN7rocprim17ROCPRIM_400000_NS6detail17trampoline_kernelINS0_14default_configENS1_35radix_sort_onesweep_config_selectorIxNS0_10empty_typeEEEZZNS1_29radix_sort_onesweep_iterationIS3_Lb0EN6thrust23THRUST_200600_302600_NS6detail15normal_iteratorINS9_10device_ptrIxEEEESE_PS5_SF_jNS0_19identity_decomposerENS1_16block_id_wrapperIjLb1EEEEE10hipError_tT1_PNSt15iterator_traitsISK_E10value_typeET2_T3_PNSL_ISQ_E10value_typeET4_T5_PSV_SW_PNS1_23onesweep_lookback_stateEbbT6_jjT7_P12ihipStream_tbENKUlT_T0_SK_SP_E_clISE_PxSF_SF_EEDaS13_S14_SK_SP_EUlS13_E_NS1_11comp_targetILNS1_3genE8ELNS1_11target_archE1030ELNS1_3gpuE2ELNS1_3repE0EEENS1_47radix_sort_onesweep_sort_config_static_selectorELNS0_4arch9wavefront6targetE1EEEvSK_
    .private_segment_fixed_size: 0
    .sgpr_count:     6
    .sgpr_spill_count: 0
    .symbol:         _ZN7rocprim17ROCPRIM_400000_NS6detail17trampoline_kernelINS0_14default_configENS1_35radix_sort_onesweep_config_selectorIxNS0_10empty_typeEEEZZNS1_29radix_sort_onesweep_iterationIS3_Lb0EN6thrust23THRUST_200600_302600_NS6detail15normal_iteratorINS9_10device_ptrIxEEEESE_PS5_SF_jNS0_19identity_decomposerENS1_16block_id_wrapperIjLb1EEEEE10hipError_tT1_PNSt15iterator_traitsISK_E10value_typeET2_T3_PNSL_ISQ_E10value_typeET4_T5_PSV_SW_PNS1_23onesweep_lookback_stateEbbT6_jjT7_P12ihipStream_tbENKUlT_T0_SK_SP_E_clISE_PxSF_SF_EEDaS13_S14_SK_SP_EUlS13_E_NS1_11comp_targetILNS1_3genE8ELNS1_11target_archE1030ELNS1_3gpuE2ELNS1_3repE0EEENS1_47radix_sort_onesweep_sort_config_static_selectorELNS0_4arch9wavefront6targetE1EEEvSK_.kd
    .uniform_work_group_size: 1
    .uses_dynamic_stack: false
    .vgpr_count:     0
    .vgpr_spill_count: 0
    .wavefront_size: 64
  - .agpr_count:     0
    .args:
      - .offset:         0
        .size:           88
        .value_kind:     by_value
    .group_segment_fixed_size: 0
    .kernarg_segment_align: 8
    .kernarg_segment_size: 88
    .language:       OpenCL C
    .language_version:
      - 2
      - 0
    .max_flat_workgroup_size: 512
    .name:           _ZN7rocprim17ROCPRIM_400000_NS6detail17trampoline_kernelINS0_14default_configENS1_35radix_sort_onesweep_config_selectorIxNS0_10empty_typeEEEZZNS1_29radix_sort_onesweep_iterationIS3_Lb0EN6thrust23THRUST_200600_302600_NS6detail15normal_iteratorINS9_10device_ptrIxEEEESE_PS5_SF_jNS0_19identity_decomposerENS1_16block_id_wrapperIjLb1EEEEE10hipError_tT1_PNSt15iterator_traitsISK_E10value_typeET2_T3_PNSL_ISQ_E10value_typeET4_T5_PSV_SW_PNS1_23onesweep_lookback_stateEbbT6_jjT7_P12ihipStream_tbENKUlT_T0_SK_SP_E_clIPxSE_SF_SF_EEDaS13_S14_SK_SP_EUlS13_E_NS1_11comp_targetILNS1_3genE0ELNS1_11target_archE4294967295ELNS1_3gpuE0ELNS1_3repE0EEENS1_47radix_sort_onesweep_sort_config_static_selectorELNS0_4arch9wavefront6targetE1EEEvSK_
    .private_segment_fixed_size: 0
    .sgpr_count:     6
    .sgpr_spill_count: 0
    .symbol:         _ZN7rocprim17ROCPRIM_400000_NS6detail17trampoline_kernelINS0_14default_configENS1_35radix_sort_onesweep_config_selectorIxNS0_10empty_typeEEEZZNS1_29radix_sort_onesweep_iterationIS3_Lb0EN6thrust23THRUST_200600_302600_NS6detail15normal_iteratorINS9_10device_ptrIxEEEESE_PS5_SF_jNS0_19identity_decomposerENS1_16block_id_wrapperIjLb1EEEEE10hipError_tT1_PNSt15iterator_traitsISK_E10value_typeET2_T3_PNSL_ISQ_E10value_typeET4_T5_PSV_SW_PNS1_23onesweep_lookback_stateEbbT6_jjT7_P12ihipStream_tbENKUlT_T0_SK_SP_E_clIPxSE_SF_SF_EEDaS13_S14_SK_SP_EUlS13_E_NS1_11comp_targetILNS1_3genE0ELNS1_11target_archE4294967295ELNS1_3gpuE0ELNS1_3repE0EEENS1_47radix_sort_onesweep_sort_config_static_selectorELNS0_4arch9wavefront6targetE1EEEvSK_.kd
    .uniform_work_group_size: 1
    .uses_dynamic_stack: false
    .vgpr_count:     0
    .vgpr_spill_count: 0
    .wavefront_size: 64
  - .agpr_count:     0
    .args:
      - .offset:         0
        .size:           88
        .value_kind:     by_value
    .group_segment_fixed_size: 0
    .kernarg_segment_align: 8
    .kernarg_segment_size: 88
    .language:       OpenCL C
    .language_version:
      - 2
      - 0
    .max_flat_workgroup_size: 512
    .name:           _ZN7rocprim17ROCPRIM_400000_NS6detail17trampoline_kernelINS0_14default_configENS1_35radix_sort_onesweep_config_selectorIxNS0_10empty_typeEEEZZNS1_29radix_sort_onesweep_iterationIS3_Lb0EN6thrust23THRUST_200600_302600_NS6detail15normal_iteratorINS9_10device_ptrIxEEEESE_PS5_SF_jNS0_19identity_decomposerENS1_16block_id_wrapperIjLb1EEEEE10hipError_tT1_PNSt15iterator_traitsISK_E10value_typeET2_T3_PNSL_ISQ_E10value_typeET4_T5_PSV_SW_PNS1_23onesweep_lookback_stateEbbT6_jjT7_P12ihipStream_tbENKUlT_T0_SK_SP_E_clIPxSE_SF_SF_EEDaS13_S14_SK_SP_EUlS13_E_NS1_11comp_targetILNS1_3genE6ELNS1_11target_archE950ELNS1_3gpuE13ELNS1_3repE0EEENS1_47radix_sort_onesweep_sort_config_static_selectorELNS0_4arch9wavefront6targetE1EEEvSK_
    .private_segment_fixed_size: 0
    .sgpr_count:     6
    .sgpr_spill_count: 0
    .symbol:         _ZN7rocprim17ROCPRIM_400000_NS6detail17trampoline_kernelINS0_14default_configENS1_35radix_sort_onesweep_config_selectorIxNS0_10empty_typeEEEZZNS1_29radix_sort_onesweep_iterationIS3_Lb0EN6thrust23THRUST_200600_302600_NS6detail15normal_iteratorINS9_10device_ptrIxEEEESE_PS5_SF_jNS0_19identity_decomposerENS1_16block_id_wrapperIjLb1EEEEE10hipError_tT1_PNSt15iterator_traitsISK_E10value_typeET2_T3_PNSL_ISQ_E10value_typeET4_T5_PSV_SW_PNS1_23onesweep_lookback_stateEbbT6_jjT7_P12ihipStream_tbENKUlT_T0_SK_SP_E_clIPxSE_SF_SF_EEDaS13_S14_SK_SP_EUlS13_E_NS1_11comp_targetILNS1_3genE6ELNS1_11target_archE950ELNS1_3gpuE13ELNS1_3repE0EEENS1_47radix_sort_onesweep_sort_config_static_selectorELNS0_4arch9wavefront6targetE1EEEvSK_.kd
    .uniform_work_group_size: 1
    .uses_dynamic_stack: false
    .vgpr_count:     0
    .vgpr_spill_count: 0
    .wavefront_size: 64
  - .agpr_count:     0
    .args:
      - .offset:         0
        .size:           88
        .value_kind:     by_value
      - .offset:         88
        .size:           4
        .value_kind:     hidden_block_count_x
      - .offset:         92
        .size:           4
        .value_kind:     hidden_block_count_y
      - .offset:         96
        .size:           4
        .value_kind:     hidden_block_count_z
      - .offset:         100
        .size:           2
        .value_kind:     hidden_group_size_x
      - .offset:         102
        .size:           2
        .value_kind:     hidden_group_size_y
      - .offset:         104
        .size:           2
        .value_kind:     hidden_group_size_z
      - .offset:         106
        .size:           2
        .value_kind:     hidden_remainder_x
      - .offset:         108
        .size:           2
        .value_kind:     hidden_remainder_y
      - .offset:         110
        .size:           2
        .value_kind:     hidden_remainder_z
      - .offset:         128
        .size:           8
        .value_kind:     hidden_global_offset_x
      - .offset:         136
        .size:           8
        .value_kind:     hidden_global_offset_y
      - .offset:         144
        .size:           8
        .value_kind:     hidden_global_offset_z
      - .offset:         152
        .size:           2
        .value_kind:     hidden_grid_dims
    .group_segment_fixed_size: 10280
    .kernarg_segment_align: 8
    .kernarg_segment_size: 344
    .language:       OpenCL C
    .language_version:
      - 2
      - 0
    .max_flat_workgroup_size: 512
    .name:           _ZN7rocprim17ROCPRIM_400000_NS6detail17trampoline_kernelINS0_14default_configENS1_35radix_sort_onesweep_config_selectorIxNS0_10empty_typeEEEZZNS1_29radix_sort_onesweep_iterationIS3_Lb0EN6thrust23THRUST_200600_302600_NS6detail15normal_iteratorINS9_10device_ptrIxEEEESE_PS5_SF_jNS0_19identity_decomposerENS1_16block_id_wrapperIjLb1EEEEE10hipError_tT1_PNSt15iterator_traitsISK_E10value_typeET2_T3_PNSL_ISQ_E10value_typeET4_T5_PSV_SW_PNS1_23onesweep_lookback_stateEbbT6_jjT7_P12ihipStream_tbENKUlT_T0_SK_SP_E_clIPxSE_SF_SF_EEDaS13_S14_SK_SP_EUlS13_E_NS1_11comp_targetILNS1_3genE5ELNS1_11target_archE942ELNS1_3gpuE9ELNS1_3repE0EEENS1_47radix_sort_onesweep_sort_config_static_selectorELNS0_4arch9wavefront6targetE1EEEvSK_
    .private_segment_fixed_size: 0
    .sgpr_count:     42
    .sgpr_spill_count: 0
    .symbol:         _ZN7rocprim17ROCPRIM_400000_NS6detail17trampoline_kernelINS0_14default_configENS1_35radix_sort_onesweep_config_selectorIxNS0_10empty_typeEEEZZNS1_29radix_sort_onesweep_iterationIS3_Lb0EN6thrust23THRUST_200600_302600_NS6detail15normal_iteratorINS9_10device_ptrIxEEEESE_PS5_SF_jNS0_19identity_decomposerENS1_16block_id_wrapperIjLb1EEEEE10hipError_tT1_PNSt15iterator_traitsISK_E10value_typeET2_T3_PNSL_ISQ_E10value_typeET4_T5_PSV_SW_PNS1_23onesweep_lookback_stateEbbT6_jjT7_P12ihipStream_tbENKUlT_T0_SK_SP_E_clIPxSE_SF_SF_EEDaS13_S14_SK_SP_EUlS13_E_NS1_11comp_targetILNS1_3genE5ELNS1_11target_archE942ELNS1_3gpuE9ELNS1_3repE0EEENS1_47radix_sort_onesweep_sort_config_static_selectorELNS0_4arch9wavefront6targetE1EEEvSK_.kd
    .uniform_work_group_size: 1
    .uses_dynamic_stack: false
    .vgpr_count:     78
    .vgpr_spill_count: 0
    .wavefront_size: 64
  - .agpr_count:     0
    .args:
      - .offset:         0
        .size:           88
        .value_kind:     by_value
    .group_segment_fixed_size: 0
    .kernarg_segment_align: 8
    .kernarg_segment_size: 88
    .language:       OpenCL C
    .language_version:
      - 2
      - 0
    .max_flat_workgroup_size: 512
    .name:           _ZN7rocprim17ROCPRIM_400000_NS6detail17trampoline_kernelINS0_14default_configENS1_35radix_sort_onesweep_config_selectorIxNS0_10empty_typeEEEZZNS1_29radix_sort_onesweep_iterationIS3_Lb0EN6thrust23THRUST_200600_302600_NS6detail15normal_iteratorINS9_10device_ptrIxEEEESE_PS5_SF_jNS0_19identity_decomposerENS1_16block_id_wrapperIjLb1EEEEE10hipError_tT1_PNSt15iterator_traitsISK_E10value_typeET2_T3_PNSL_ISQ_E10value_typeET4_T5_PSV_SW_PNS1_23onesweep_lookback_stateEbbT6_jjT7_P12ihipStream_tbENKUlT_T0_SK_SP_E_clIPxSE_SF_SF_EEDaS13_S14_SK_SP_EUlS13_E_NS1_11comp_targetILNS1_3genE2ELNS1_11target_archE906ELNS1_3gpuE6ELNS1_3repE0EEENS1_47radix_sort_onesweep_sort_config_static_selectorELNS0_4arch9wavefront6targetE1EEEvSK_
    .private_segment_fixed_size: 0
    .sgpr_count:     6
    .sgpr_spill_count: 0
    .symbol:         _ZN7rocprim17ROCPRIM_400000_NS6detail17trampoline_kernelINS0_14default_configENS1_35radix_sort_onesweep_config_selectorIxNS0_10empty_typeEEEZZNS1_29radix_sort_onesweep_iterationIS3_Lb0EN6thrust23THRUST_200600_302600_NS6detail15normal_iteratorINS9_10device_ptrIxEEEESE_PS5_SF_jNS0_19identity_decomposerENS1_16block_id_wrapperIjLb1EEEEE10hipError_tT1_PNSt15iterator_traitsISK_E10value_typeET2_T3_PNSL_ISQ_E10value_typeET4_T5_PSV_SW_PNS1_23onesweep_lookback_stateEbbT6_jjT7_P12ihipStream_tbENKUlT_T0_SK_SP_E_clIPxSE_SF_SF_EEDaS13_S14_SK_SP_EUlS13_E_NS1_11comp_targetILNS1_3genE2ELNS1_11target_archE906ELNS1_3gpuE6ELNS1_3repE0EEENS1_47radix_sort_onesweep_sort_config_static_selectorELNS0_4arch9wavefront6targetE1EEEvSK_.kd
    .uniform_work_group_size: 1
    .uses_dynamic_stack: false
    .vgpr_count:     0
    .vgpr_spill_count: 0
    .wavefront_size: 64
  - .agpr_count:     0
    .args:
      - .offset:         0
        .size:           88
        .value_kind:     by_value
    .group_segment_fixed_size: 0
    .kernarg_segment_align: 8
    .kernarg_segment_size: 88
    .language:       OpenCL C
    .language_version:
      - 2
      - 0
    .max_flat_workgroup_size: 1024
    .name:           _ZN7rocprim17ROCPRIM_400000_NS6detail17trampoline_kernelINS0_14default_configENS1_35radix_sort_onesweep_config_selectorIxNS0_10empty_typeEEEZZNS1_29radix_sort_onesweep_iterationIS3_Lb0EN6thrust23THRUST_200600_302600_NS6detail15normal_iteratorINS9_10device_ptrIxEEEESE_PS5_SF_jNS0_19identity_decomposerENS1_16block_id_wrapperIjLb1EEEEE10hipError_tT1_PNSt15iterator_traitsISK_E10value_typeET2_T3_PNSL_ISQ_E10value_typeET4_T5_PSV_SW_PNS1_23onesweep_lookback_stateEbbT6_jjT7_P12ihipStream_tbENKUlT_T0_SK_SP_E_clIPxSE_SF_SF_EEDaS13_S14_SK_SP_EUlS13_E_NS1_11comp_targetILNS1_3genE4ELNS1_11target_archE910ELNS1_3gpuE8ELNS1_3repE0EEENS1_47radix_sort_onesweep_sort_config_static_selectorELNS0_4arch9wavefront6targetE1EEEvSK_
    .private_segment_fixed_size: 0
    .sgpr_count:     6
    .sgpr_spill_count: 0
    .symbol:         _ZN7rocprim17ROCPRIM_400000_NS6detail17trampoline_kernelINS0_14default_configENS1_35radix_sort_onesweep_config_selectorIxNS0_10empty_typeEEEZZNS1_29radix_sort_onesweep_iterationIS3_Lb0EN6thrust23THRUST_200600_302600_NS6detail15normal_iteratorINS9_10device_ptrIxEEEESE_PS5_SF_jNS0_19identity_decomposerENS1_16block_id_wrapperIjLb1EEEEE10hipError_tT1_PNSt15iterator_traitsISK_E10value_typeET2_T3_PNSL_ISQ_E10value_typeET4_T5_PSV_SW_PNS1_23onesweep_lookback_stateEbbT6_jjT7_P12ihipStream_tbENKUlT_T0_SK_SP_E_clIPxSE_SF_SF_EEDaS13_S14_SK_SP_EUlS13_E_NS1_11comp_targetILNS1_3genE4ELNS1_11target_archE910ELNS1_3gpuE8ELNS1_3repE0EEENS1_47radix_sort_onesweep_sort_config_static_selectorELNS0_4arch9wavefront6targetE1EEEvSK_.kd
    .uniform_work_group_size: 1
    .uses_dynamic_stack: false
    .vgpr_count:     0
    .vgpr_spill_count: 0
    .wavefront_size: 64
  - .agpr_count:     0
    .args:
      - .offset:         0
        .size:           88
        .value_kind:     by_value
    .group_segment_fixed_size: 0
    .kernarg_segment_align: 8
    .kernarg_segment_size: 88
    .language:       OpenCL C
    .language_version:
      - 2
      - 0
    .max_flat_workgroup_size: 512
    .name:           _ZN7rocprim17ROCPRIM_400000_NS6detail17trampoline_kernelINS0_14default_configENS1_35radix_sort_onesweep_config_selectorIxNS0_10empty_typeEEEZZNS1_29radix_sort_onesweep_iterationIS3_Lb0EN6thrust23THRUST_200600_302600_NS6detail15normal_iteratorINS9_10device_ptrIxEEEESE_PS5_SF_jNS0_19identity_decomposerENS1_16block_id_wrapperIjLb1EEEEE10hipError_tT1_PNSt15iterator_traitsISK_E10value_typeET2_T3_PNSL_ISQ_E10value_typeET4_T5_PSV_SW_PNS1_23onesweep_lookback_stateEbbT6_jjT7_P12ihipStream_tbENKUlT_T0_SK_SP_E_clIPxSE_SF_SF_EEDaS13_S14_SK_SP_EUlS13_E_NS1_11comp_targetILNS1_3genE3ELNS1_11target_archE908ELNS1_3gpuE7ELNS1_3repE0EEENS1_47radix_sort_onesweep_sort_config_static_selectorELNS0_4arch9wavefront6targetE1EEEvSK_
    .private_segment_fixed_size: 0
    .sgpr_count:     6
    .sgpr_spill_count: 0
    .symbol:         _ZN7rocprim17ROCPRIM_400000_NS6detail17trampoline_kernelINS0_14default_configENS1_35radix_sort_onesweep_config_selectorIxNS0_10empty_typeEEEZZNS1_29radix_sort_onesweep_iterationIS3_Lb0EN6thrust23THRUST_200600_302600_NS6detail15normal_iteratorINS9_10device_ptrIxEEEESE_PS5_SF_jNS0_19identity_decomposerENS1_16block_id_wrapperIjLb1EEEEE10hipError_tT1_PNSt15iterator_traitsISK_E10value_typeET2_T3_PNSL_ISQ_E10value_typeET4_T5_PSV_SW_PNS1_23onesweep_lookback_stateEbbT6_jjT7_P12ihipStream_tbENKUlT_T0_SK_SP_E_clIPxSE_SF_SF_EEDaS13_S14_SK_SP_EUlS13_E_NS1_11comp_targetILNS1_3genE3ELNS1_11target_archE908ELNS1_3gpuE7ELNS1_3repE0EEENS1_47radix_sort_onesweep_sort_config_static_selectorELNS0_4arch9wavefront6targetE1EEEvSK_.kd
    .uniform_work_group_size: 1
    .uses_dynamic_stack: false
    .vgpr_count:     0
    .vgpr_spill_count: 0
    .wavefront_size: 64
  - .agpr_count:     0
    .args:
      - .offset:         0
        .size:           88
        .value_kind:     by_value
    .group_segment_fixed_size: 0
    .kernarg_segment_align: 8
    .kernarg_segment_size: 88
    .language:       OpenCL C
    .language_version:
      - 2
      - 0
    .max_flat_workgroup_size: 512
    .name:           _ZN7rocprim17ROCPRIM_400000_NS6detail17trampoline_kernelINS0_14default_configENS1_35radix_sort_onesweep_config_selectorIxNS0_10empty_typeEEEZZNS1_29radix_sort_onesweep_iterationIS3_Lb0EN6thrust23THRUST_200600_302600_NS6detail15normal_iteratorINS9_10device_ptrIxEEEESE_PS5_SF_jNS0_19identity_decomposerENS1_16block_id_wrapperIjLb1EEEEE10hipError_tT1_PNSt15iterator_traitsISK_E10value_typeET2_T3_PNSL_ISQ_E10value_typeET4_T5_PSV_SW_PNS1_23onesweep_lookback_stateEbbT6_jjT7_P12ihipStream_tbENKUlT_T0_SK_SP_E_clIPxSE_SF_SF_EEDaS13_S14_SK_SP_EUlS13_E_NS1_11comp_targetILNS1_3genE10ELNS1_11target_archE1201ELNS1_3gpuE5ELNS1_3repE0EEENS1_47radix_sort_onesweep_sort_config_static_selectorELNS0_4arch9wavefront6targetE1EEEvSK_
    .private_segment_fixed_size: 0
    .sgpr_count:     6
    .sgpr_spill_count: 0
    .symbol:         _ZN7rocprim17ROCPRIM_400000_NS6detail17trampoline_kernelINS0_14default_configENS1_35radix_sort_onesweep_config_selectorIxNS0_10empty_typeEEEZZNS1_29radix_sort_onesweep_iterationIS3_Lb0EN6thrust23THRUST_200600_302600_NS6detail15normal_iteratorINS9_10device_ptrIxEEEESE_PS5_SF_jNS0_19identity_decomposerENS1_16block_id_wrapperIjLb1EEEEE10hipError_tT1_PNSt15iterator_traitsISK_E10value_typeET2_T3_PNSL_ISQ_E10value_typeET4_T5_PSV_SW_PNS1_23onesweep_lookback_stateEbbT6_jjT7_P12ihipStream_tbENKUlT_T0_SK_SP_E_clIPxSE_SF_SF_EEDaS13_S14_SK_SP_EUlS13_E_NS1_11comp_targetILNS1_3genE10ELNS1_11target_archE1201ELNS1_3gpuE5ELNS1_3repE0EEENS1_47radix_sort_onesweep_sort_config_static_selectorELNS0_4arch9wavefront6targetE1EEEvSK_.kd
    .uniform_work_group_size: 1
    .uses_dynamic_stack: false
    .vgpr_count:     0
    .vgpr_spill_count: 0
    .wavefront_size: 64
  - .agpr_count:     0
    .args:
      - .offset:         0
        .size:           88
        .value_kind:     by_value
    .group_segment_fixed_size: 0
    .kernarg_segment_align: 8
    .kernarg_segment_size: 88
    .language:       OpenCL C
    .language_version:
      - 2
      - 0
    .max_flat_workgroup_size: 1024
    .name:           _ZN7rocprim17ROCPRIM_400000_NS6detail17trampoline_kernelINS0_14default_configENS1_35radix_sort_onesweep_config_selectorIxNS0_10empty_typeEEEZZNS1_29radix_sort_onesweep_iterationIS3_Lb0EN6thrust23THRUST_200600_302600_NS6detail15normal_iteratorINS9_10device_ptrIxEEEESE_PS5_SF_jNS0_19identity_decomposerENS1_16block_id_wrapperIjLb1EEEEE10hipError_tT1_PNSt15iterator_traitsISK_E10value_typeET2_T3_PNSL_ISQ_E10value_typeET4_T5_PSV_SW_PNS1_23onesweep_lookback_stateEbbT6_jjT7_P12ihipStream_tbENKUlT_T0_SK_SP_E_clIPxSE_SF_SF_EEDaS13_S14_SK_SP_EUlS13_E_NS1_11comp_targetILNS1_3genE9ELNS1_11target_archE1100ELNS1_3gpuE3ELNS1_3repE0EEENS1_47radix_sort_onesweep_sort_config_static_selectorELNS0_4arch9wavefront6targetE1EEEvSK_
    .private_segment_fixed_size: 0
    .sgpr_count:     6
    .sgpr_spill_count: 0
    .symbol:         _ZN7rocprim17ROCPRIM_400000_NS6detail17trampoline_kernelINS0_14default_configENS1_35radix_sort_onesweep_config_selectorIxNS0_10empty_typeEEEZZNS1_29radix_sort_onesweep_iterationIS3_Lb0EN6thrust23THRUST_200600_302600_NS6detail15normal_iteratorINS9_10device_ptrIxEEEESE_PS5_SF_jNS0_19identity_decomposerENS1_16block_id_wrapperIjLb1EEEEE10hipError_tT1_PNSt15iterator_traitsISK_E10value_typeET2_T3_PNSL_ISQ_E10value_typeET4_T5_PSV_SW_PNS1_23onesweep_lookback_stateEbbT6_jjT7_P12ihipStream_tbENKUlT_T0_SK_SP_E_clIPxSE_SF_SF_EEDaS13_S14_SK_SP_EUlS13_E_NS1_11comp_targetILNS1_3genE9ELNS1_11target_archE1100ELNS1_3gpuE3ELNS1_3repE0EEENS1_47radix_sort_onesweep_sort_config_static_selectorELNS0_4arch9wavefront6targetE1EEEvSK_.kd
    .uniform_work_group_size: 1
    .uses_dynamic_stack: false
    .vgpr_count:     0
    .vgpr_spill_count: 0
    .wavefront_size: 64
  - .agpr_count:     0
    .args:
      - .offset:         0
        .size:           88
        .value_kind:     by_value
    .group_segment_fixed_size: 0
    .kernarg_segment_align: 8
    .kernarg_segment_size: 88
    .language:       OpenCL C
    .language_version:
      - 2
      - 0
    .max_flat_workgroup_size: 1024
    .name:           _ZN7rocprim17ROCPRIM_400000_NS6detail17trampoline_kernelINS0_14default_configENS1_35radix_sort_onesweep_config_selectorIxNS0_10empty_typeEEEZZNS1_29radix_sort_onesweep_iterationIS3_Lb0EN6thrust23THRUST_200600_302600_NS6detail15normal_iteratorINS9_10device_ptrIxEEEESE_PS5_SF_jNS0_19identity_decomposerENS1_16block_id_wrapperIjLb1EEEEE10hipError_tT1_PNSt15iterator_traitsISK_E10value_typeET2_T3_PNSL_ISQ_E10value_typeET4_T5_PSV_SW_PNS1_23onesweep_lookback_stateEbbT6_jjT7_P12ihipStream_tbENKUlT_T0_SK_SP_E_clIPxSE_SF_SF_EEDaS13_S14_SK_SP_EUlS13_E_NS1_11comp_targetILNS1_3genE8ELNS1_11target_archE1030ELNS1_3gpuE2ELNS1_3repE0EEENS1_47radix_sort_onesweep_sort_config_static_selectorELNS0_4arch9wavefront6targetE1EEEvSK_
    .private_segment_fixed_size: 0
    .sgpr_count:     6
    .sgpr_spill_count: 0
    .symbol:         _ZN7rocprim17ROCPRIM_400000_NS6detail17trampoline_kernelINS0_14default_configENS1_35radix_sort_onesweep_config_selectorIxNS0_10empty_typeEEEZZNS1_29radix_sort_onesweep_iterationIS3_Lb0EN6thrust23THRUST_200600_302600_NS6detail15normal_iteratorINS9_10device_ptrIxEEEESE_PS5_SF_jNS0_19identity_decomposerENS1_16block_id_wrapperIjLb1EEEEE10hipError_tT1_PNSt15iterator_traitsISK_E10value_typeET2_T3_PNSL_ISQ_E10value_typeET4_T5_PSV_SW_PNS1_23onesweep_lookback_stateEbbT6_jjT7_P12ihipStream_tbENKUlT_T0_SK_SP_E_clIPxSE_SF_SF_EEDaS13_S14_SK_SP_EUlS13_E_NS1_11comp_targetILNS1_3genE8ELNS1_11target_archE1030ELNS1_3gpuE2ELNS1_3repE0EEENS1_47radix_sort_onesweep_sort_config_static_selectorELNS0_4arch9wavefront6targetE1EEEvSK_.kd
    .uniform_work_group_size: 1
    .uses_dynamic_stack: false
    .vgpr_count:     0
    .vgpr_spill_count: 0
    .wavefront_size: 64
  - .agpr_count:     0
    .args:
      - .offset:         0
        .size:           88
        .value_kind:     by_value
    .group_segment_fixed_size: 0
    .kernarg_segment_align: 8
    .kernarg_segment_size: 88
    .language:       OpenCL C
    .language_version:
      - 2
      - 0
    .max_flat_workgroup_size: 512
    .name:           _ZN7rocprim17ROCPRIM_400000_NS6detail17trampoline_kernelINS0_14default_configENS1_35radix_sort_onesweep_config_selectorIxNS0_10empty_typeEEEZZNS1_29radix_sort_onesweep_iterationIS3_Lb0EN6thrust23THRUST_200600_302600_NS6detail15normal_iteratorINS9_10device_ptrIxEEEESE_PS5_SF_jNS0_19identity_decomposerENS1_16block_id_wrapperIjLb0EEEEE10hipError_tT1_PNSt15iterator_traitsISK_E10value_typeET2_T3_PNSL_ISQ_E10value_typeET4_T5_PSV_SW_PNS1_23onesweep_lookback_stateEbbT6_jjT7_P12ihipStream_tbENKUlT_T0_SK_SP_E_clISE_SE_SF_SF_EEDaS13_S14_SK_SP_EUlS13_E_NS1_11comp_targetILNS1_3genE0ELNS1_11target_archE4294967295ELNS1_3gpuE0ELNS1_3repE0EEENS1_47radix_sort_onesweep_sort_config_static_selectorELNS0_4arch9wavefront6targetE1EEEvSK_
    .private_segment_fixed_size: 0
    .sgpr_count:     6
    .sgpr_spill_count: 0
    .symbol:         _ZN7rocprim17ROCPRIM_400000_NS6detail17trampoline_kernelINS0_14default_configENS1_35radix_sort_onesweep_config_selectorIxNS0_10empty_typeEEEZZNS1_29radix_sort_onesweep_iterationIS3_Lb0EN6thrust23THRUST_200600_302600_NS6detail15normal_iteratorINS9_10device_ptrIxEEEESE_PS5_SF_jNS0_19identity_decomposerENS1_16block_id_wrapperIjLb0EEEEE10hipError_tT1_PNSt15iterator_traitsISK_E10value_typeET2_T3_PNSL_ISQ_E10value_typeET4_T5_PSV_SW_PNS1_23onesweep_lookback_stateEbbT6_jjT7_P12ihipStream_tbENKUlT_T0_SK_SP_E_clISE_SE_SF_SF_EEDaS13_S14_SK_SP_EUlS13_E_NS1_11comp_targetILNS1_3genE0ELNS1_11target_archE4294967295ELNS1_3gpuE0ELNS1_3repE0EEENS1_47radix_sort_onesweep_sort_config_static_selectorELNS0_4arch9wavefront6targetE1EEEvSK_.kd
    .uniform_work_group_size: 1
    .uses_dynamic_stack: false
    .vgpr_count:     0
    .vgpr_spill_count: 0
    .wavefront_size: 64
  - .agpr_count:     0
    .args:
      - .offset:         0
        .size:           88
        .value_kind:     by_value
    .group_segment_fixed_size: 0
    .kernarg_segment_align: 8
    .kernarg_segment_size: 88
    .language:       OpenCL C
    .language_version:
      - 2
      - 0
    .max_flat_workgroup_size: 512
    .name:           _ZN7rocprim17ROCPRIM_400000_NS6detail17trampoline_kernelINS0_14default_configENS1_35radix_sort_onesweep_config_selectorIxNS0_10empty_typeEEEZZNS1_29radix_sort_onesweep_iterationIS3_Lb0EN6thrust23THRUST_200600_302600_NS6detail15normal_iteratorINS9_10device_ptrIxEEEESE_PS5_SF_jNS0_19identity_decomposerENS1_16block_id_wrapperIjLb0EEEEE10hipError_tT1_PNSt15iterator_traitsISK_E10value_typeET2_T3_PNSL_ISQ_E10value_typeET4_T5_PSV_SW_PNS1_23onesweep_lookback_stateEbbT6_jjT7_P12ihipStream_tbENKUlT_T0_SK_SP_E_clISE_SE_SF_SF_EEDaS13_S14_SK_SP_EUlS13_E_NS1_11comp_targetILNS1_3genE6ELNS1_11target_archE950ELNS1_3gpuE13ELNS1_3repE0EEENS1_47radix_sort_onesweep_sort_config_static_selectorELNS0_4arch9wavefront6targetE1EEEvSK_
    .private_segment_fixed_size: 0
    .sgpr_count:     6
    .sgpr_spill_count: 0
    .symbol:         _ZN7rocprim17ROCPRIM_400000_NS6detail17trampoline_kernelINS0_14default_configENS1_35radix_sort_onesweep_config_selectorIxNS0_10empty_typeEEEZZNS1_29radix_sort_onesweep_iterationIS3_Lb0EN6thrust23THRUST_200600_302600_NS6detail15normal_iteratorINS9_10device_ptrIxEEEESE_PS5_SF_jNS0_19identity_decomposerENS1_16block_id_wrapperIjLb0EEEEE10hipError_tT1_PNSt15iterator_traitsISK_E10value_typeET2_T3_PNSL_ISQ_E10value_typeET4_T5_PSV_SW_PNS1_23onesweep_lookback_stateEbbT6_jjT7_P12ihipStream_tbENKUlT_T0_SK_SP_E_clISE_SE_SF_SF_EEDaS13_S14_SK_SP_EUlS13_E_NS1_11comp_targetILNS1_3genE6ELNS1_11target_archE950ELNS1_3gpuE13ELNS1_3repE0EEENS1_47radix_sort_onesweep_sort_config_static_selectorELNS0_4arch9wavefront6targetE1EEEvSK_.kd
    .uniform_work_group_size: 1
    .uses_dynamic_stack: false
    .vgpr_count:     0
    .vgpr_spill_count: 0
    .wavefront_size: 64
  - .agpr_count:     0
    .args:
      - .offset:         0
        .size:           88
        .value_kind:     by_value
      - .offset:         88
        .size:           4
        .value_kind:     hidden_block_count_x
      - .offset:         92
        .size:           4
        .value_kind:     hidden_block_count_y
      - .offset:         96
        .size:           4
        .value_kind:     hidden_block_count_z
      - .offset:         100
        .size:           2
        .value_kind:     hidden_group_size_x
      - .offset:         102
        .size:           2
        .value_kind:     hidden_group_size_y
      - .offset:         104
        .size:           2
        .value_kind:     hidden_group_size_z
      - .offset:         106
        .size:           2
        .value_kind:     hidden_remainder_x
      - .offset:         108
        .size:           2
        .value_kind:     hidden_remainder_y
      - .offset:         110
        .size:           2
        .value_kind:     hidden_remainder_z
      - .offset:         128
        .size:           8
        .value_kind:     hidden_global_offset_x
      - .offset:         136
        .size:           8
        .value_kind:     hidden_global_offset_y
      - .offset:         144
        .size:           8
        .value_kind:     hidden_global_offset_z
      - .offset:         152
        .size:           2
        .value_kind:     hidden_grid_dims
    .group_segment_fixed_size: 10280
    .kernarg_segment_align: 8
    .kernarg_segment_size: 344
    .language:       OpenCL C
    .language_version:
      - 2
      - 0
    .max_flat_workgroup_size: 512
    .name:           _ZN7rocprim17ROCPRIM_400000_NS6detail17trampoline_kernelINS0_14default_configENS1_35radix_sort_onesweep_config_selectorIxNS0_10empty_typeEEEZZNS1_29radix_sort_onesweep_iterationIS3_Lb0EN6thrust23THRUST_200600_302600_NS6detail15normal_iteratorINS9_10device_ptrIxEEEESE_PS5_SF_jNS0_19identity_decomposerENS1_16block_id_wrapperIjLb0EEEEE10hipError_tT1_PNSt15iterator_traitsISK_E10value_typeET2_T3_PNSL_ISQ_E10value_typeET4_T5_PSV_SW_PNS1_23onesweep_lookback_stateEbbT6_jjT7_P12ihipStream_tbENKUlT_T0_SK_SP_E_clISE_SE_SF_SF_EEDaS13_S14_SK_SP_EUlS13_E_NS1_11comp_targetILNS1_3genE5ELNS1_11target_archE942ELNS1_3gpuE9ELNS1_3repE0EEENS1_47radix_sort_onesweep_sort_config_static_selectorELNS0_4arch9wavefront6targetE1EEEvSK_
    .private_segment_fixed_size: 0
    .sgpr_count:     38
    .sgpr_spill_count: 0
    .symbol:         _ZN7rocprim17ROCPRIM_400000_NS6detail17trampoline_kernelINS0_14default_configENS1_35radix_sort_onesweep_config_selectorIxNS0_10empty_typeEEEZZNS1_29radix_sort_onesweep_iterationIS3_Lb0EN6thrust23THRUST_200600_302600_NS6detail15normal_iteratorINS9_10device_ptrIxEEEESE_PS5_SF_jNS0_19identity_decomposerENS1_16block_id_wrapperIjLb0EEEEE10hipError_tT1_PNSt15iterator_traitsISK_E10value_typeET2_T3_PNSL_ISQ_E10value_typeET4_T5_PSV_SW_PNS1_23onesweep_lookback_stateEbbT6_jjT7_P12ihipStream_tbENKUlT_T0_SK_SP_E_clISE_SE_SF_SF_EEDaS13_S14_SK_SP_EUlS13_E_NS1_11comp_targetILNS1_3genE5ELNS1_11target_archE942ELNS1_3gpuE9ELNS1_3repE0EEENS1_47radix_sort_onesweep_sort_config_static_selectorELNS0_4arch9wavefront6targetE1EEEvSK_.kd
    .uniform_work_group_size: 1
    .uses_dynamic_stack: false
    .vgpr_count:     78
    .vgpr_spill_count: 0
    .wavefront_size: 64
  - .agpr_count:     0
    .args:
      - .offset:         0
        .size:           88
        .value_kind:     by_value
    .group_segment_fixed_size: 0
    .kernarg_segment_align: 8
    .kernarg_segment_size: 88
    .language:       OpenCL C
    .language_version:
      - 2
      - 0
    .max_flat_workgroup_size: 512
    .name:           _ZN7rocprim17ROCPRIM_400000_NS6detail17trampoline_kernelINS0_14default_configENS1_35radix_sort_onesweep_config_selectorIxNS0_10empty_typeEEEZZNS1_29radix_sort_onesweep_iterationIS3_Lb0EN6thrust23THRUST_200600_302600_NS6detail15normal_iteratorINS9_10device_ptrIxEEEESE_PS5_SF_jNS0_19identity_decomposerENS1_16block_id_wrapperIjLb0EEEEE10hipError_tT1_PNSt15iterator_traitsISK_E10value_typeET2_T3_PNSL_ISQ_E10value_typeET4_T5_PSV_SW_PNS1_23onesweep_lookback_stateEbbT6_jjT7_P12ihipStream_tbENKUlT_T0_SK_SP_E_clISE_SE_SF_SF_EEDaS13_S14_SK_SP_EUlS13_E_NS1_11comp_targetILNS1_3genE2ELNS1_11target_archE906ELNS1_3gpuE6ELNS1_3repE0EEENS1_47radix_sort_onesweep_sort_config_static_selectorELNS0_4arch9wavefront6targetE1EEEvSK_
    .private_segment_fixed_size: 0
    .sgpr_count:     6
    .sgpr_spill_count: 0
    .symbol:         _ZN7rocprim17ROCPRIM_400000_NS6detail17trampoline_kernelINS0_14default_configENS1_35radix_sort_onesweep_config_selectorIxNS0_10empty_typeEEEZZNS1_29radix_sort_onesweep_iterationIS3_Lb0EN6thrust23THRUST_200600_302600_NS6detail15normal_iteratorINS9_10device_ptrIxEEEESE_PS5_SF_jNS0_19identity_decomposerENS1_16block_id_wrapperIjLb0EEEEE10hipError_tT1_PNSt15iterator_traitsISK_E10value_typeET2_T3_PNSL_ISQ_E10value_typeET4_T5_PSV_SW_PNS1_23onesweep_lookback_stateEbbT6_jjT7_P12ihipStream_tbENKUlT_T0_SK_SP_E_clISE_SE_SF_SF_EEDaS13_S14_SK_SP_EUlS13_E_NS1_11comp_targetILNS1_3genE2ELNS1_11target_archE906ELNS1_3gpuE6ELNS1_3repE0EEENS1_47radix_sort_onesweep_sort_config_static_selectorELNS0_4arch9wavefront6targetE1EEEvSK_.kd
    .uniform_work_group_size: 1
    .uses_dynamic_stack: false
    .vgpr_count:     0
    .vgpr_spill_count: 0
    .wavefront_size: 64
  - .agpr_count:     0
    .args:
      - .offset:         0
        .size:           88
        .value_kind:     by_value
    .group_segment_fixed_size: 0
    .kernarg_segment_align: 8
    .kernarg_segment_size: 88
    .language:       OpenCL C
    .language_version:
      - 2
      - 0
    .max_flat_workgroup_size: 1024
    .name:           _ZN7rocprim17ROCPRIM_400000_NS6detail17trampoline_kernelINS0_14default_configENS1_35radix_sort_onesweep_config_selectorIxNS0_10empty_typeEEEZZNS1_29radix_sort_onesweep_iterationIS3_Lb0EN6thrust23THRUST_200600_302600_NS6detail15normal_iteratorINS9_10device_ptrIxEEEESE_PS5_SF_jNS0_19identity_decomposerENS1_16block_id_wrapperIjLb0EEEEE10hipError_tT1_PNSt15iterator_traitsISK_E10value_typeET2_T3_PNSL_ISQ_E10value_typeET4_T5_PSV_SW_PNS1_23onesweep_lookback_stateEbbT6_jjT7_P12ihipStream_tbENKUlT_T0_SK_SP_E_clISE_SE_SF_SF_EEDaS13_S14_SK_SP_EUlS13_E_NS1_11comp_targetILNS1_3genE4ELNS1_11target_archE910ELNS1_3gpuE8ELNS1_3repE0EEENS1_47radix_sort_onesweep_sort_config_static_selectorELNS0_4arch9wavefront6targetE1EEEvSK_
    .private_segment_fixed_size: 0
    .sgpr_count:     6
    .sgpr_spill_count: 0
    .symbol:         _ZN7rocprim17ROCPRIM_400000_NS6detail17trampoline_kernelINS0_14default_configENS1_35radix_sort_onesweep_config_selectorIxNS0_10empty_typeEEEZZNS1_29radix_sort_onesweep_iterationIS3_Lb0EN6thrust23THRUST_200600_302600_NS6detail15normal_iteratorINS9_10device_ptrIxEEEESE_PS5_SF_jNS0_19identity_decomposerENS1_16block_id_wrapperIjLb0EEEEE10hipError_tT1_PNSt15iterator_traitsISK_E10value_typeET2_T3_PNSL_ISQ_E10value_typeET4_T5_PSV_SW_PNS1_23onesweep_lookback_stateEbbT6_jjT7_P12ihipStream_tbENKUlT_T0_SK_SP_E_clISE_SE_SF_SF_EEDaS13_S14_SK_SP_EUlS13_E_NS1_11comp_targetILNS1_3genE4ELNS1_11target_archE910ELNS1_3gpuE8ELNS1_3repE0EEENS1_47radix_sort_onesweep_sort_config_static_selectorELNS0_4arch9wavefront6targetE1EEEvSK_.kd
    .uniform_work_group_size: 1
    .uses_dynamic_stack: false
    .vgpr_count:     0
    .vgpr_spill_count: 0
    .wavefront_size: 64
  - .agpr_count:     0
    .args:
      - .offset:         0
        .size:           88
        .value_kind:     by_value
    .group_segment_fixed_size: 0
    .kernarg_segment_align: 8
    .kernarg_segment_size: 88
    .language:       OpenCL C
    .language_version:
      - 2
      - 0
    .max_flat_workgroup_size: 512
    .name:           _ZN7rocprim17ROCPRIM_400000_NS6detail17trampoline_kernelINS0_14default_configENS1_35radix_sort_onesweep_config_selectorIxNS0_10empty_typeEEEZZNS1_29radix_sort_onesweep_iterationIS3_Lb0EN6thrust23THRUST_200600_302600_NS6detail15normal_iteratorINS9_10device_ptrIxEEEESE_PS5_SF_jNS0_19identity_decomposerENS1_16block_id_wrapperIjLb0EEEEE10hipError_tT1_PNSt15iterator_traitsISK_E10value_typeET2_T3_PNSL_ISQ_E10value_typeET4_T5_PSV_SW_PNS1_23onesweep_lookback_stateEbbT6_jjT7_P12ihipStream_tbENKUlT_T0_SK_SP_E_clISE_SE_SF_SF_EEDaS13_S14_SK_SP_EUlS13_E_NS1_11comp_targetILNS1_3genE3ELNS1_11target_archE908ELNS1_3gpuE7ELNS1_3repE0EEENS1_47radix_sort_onesweep_sort_config_static_selectorELNS0_4arch9wavefront6targetE1EEEvSK_
    .private_segment_fixed_size: 0
    .sgpr_count:     6
    .sgpr_spill_count: 0
    .symbol:         _ZN7rocprim17ROCPRIM_400000_NS6detail17trampoline_kernelINS0_14default_configENS1_35radix_sort_onesweep_config_selectorIxNS0_10empty_typeEEEZZNS1_29radix_sort_onesweep_iterationIS3_Lb0EN6thrust23THRUST_200600_302600_NS6detail15normal_iteratorINS9_10device_ptrIxEEEESE_PS5_SF_jNS0_19identity_decomposerENS1_16block_id_wrapperIjLb0EEEEE10hipError_tT1_PNSt15iterator_traitsISK_E10value_typeET2_T3_PNSL_ISQ_E10value_typeET4_T5_PSV_SW_PNS1_23onesweep_lookback_stateEbbT6_jjT7_P12ihipStream_tbENKUlT_T0_SK_SP_E_clISE_SE_SF_SF_EEDaS13_S14_SK_SP_EUlS13_E_NS1_11comp_targetILNS1_3genE3ELNS1_11target_archE908ELNS1_3gpuE7ELNS1_3repE0EEENS1_47radix_sort_onesweep_sort_config_static_selectorELNS0_4arch9wavefront6targetE1EEEvSK_.kd
    .uniform_work_group_size: 1
    .uses_dynamic_stack: false
    .vgpr_count:     0
    .vgpr_spill_count: 0
    .wavefront_size: 64
  - .agpr_count:     0
    .args:
      - .offset:         0
        .size:           88
        .value_kind:     by_value
    .group_segment_fixed_size: 0
    .kernarg_segment_align: 8
    .kernarg_segment_size: 88
    .language:       OpenCL C
    .language_version:
      - 2
      - 0
    .max_flat_workgroup_size: 512
    .name:           _ZN7rocprim17ROCPRIM_400000_NS6detail17trampoline_kernelINS0_14default_configENS1_35radix_sort_onesweep_config_selectorIxNS0_10empty_typeEEEZZNS1_29radix_sort_onesweep_iterationIS3_Lb0EN6thrust23THRUST_200600_302600_NS6detail15normal_iteratorINS9_10device_ptrIxEEEESE_PS5_SF_jNS0_19identity_decomposerENS1_16block_id_wrapperIjLb0EEEEE10hipError_tT1_PNSt15iterator_traitsISK_E10value_typeET2_T3_PNSL_ISQ_E10value_typeET4_T5_PSV_SW_PNS1_23onesweep_lookback_stateEbbT6_jjT7_P12ihipStream_tbENKUlT_T0_SK_SP_E_clISE_SE_SF_SF_EEDaS13_S14_SK_SP_EUlS13_E_NS1_11comp_targetILNS1_3genE10ELNS1_11target_archE1201ELNS1_3gpuE5ELNS1_3repE0EEENS1_47radix_sort_onesweep_sort_config_static_selectorELNS0_4arch9wavefront6targetE1EEEvSK_
    .private_segment_fixed_size: 0
    .sgpr_count:     6
    .sgpr_spill_count: 0
    .symbol:         _ZN7rocprim17ROCPRIM_400000_NS6detail17trampoline_kernelINS0_14default_configENS1_35radix_sort_onesweep_config_selectorIxNS0_10empty_typeEEEZZNS1_29radix_sort_onesweep_iterationIS3_Lb0EN6thrust23THRUST_200600_302600_NS6detail15normal_iteratorINS9_10device_ptrIxEEEESE_PS5_SF_jNS0_19identity_decomposerENS1_16block_id_wrapperIjLb0EEEEE10hipError_tT1_PNSt15iterator_traitsISK_E10value_typeET2_T3_PNSL_ISQ_E10value_typeET4_T5_PSV_SW_PNS1_23onesweep_lookback_stateEbbT6_jjT7_P12ihipStream_tbENKUlT_T0_SK_SP_E_clISE_SE_SF_SF_EEDaS13_S14_SK_SP_EUlS13_E_NS1_11comp_targetILNS1_3genE10ELNS1_11target_archE1201ELNS1_3gpuE5ELNS1_3repE0EEENS1_47radix_sort_onesweep_sort_config_static_selectorELNS0_4arch9wavefront6targetE1EEEvSK_.kd
    .uniform_work_group_size: 1
    .uses_dynamic_stack: false
    .vgpr_count:     0
    .vgpr_spill_count: 0
    .wavefront_size: 64
  - .agpr_count:     0
    .args:
      - .offset:         0
        .size:           88
        .value_kind:     by_value
    .group_segment_fixed_size: 0
    .kernarg_segment_align: 8
    .kernarg_segment_size: 88
    .language:       OpenCL C
    .language_version:
      - 2
      - 0
    .max_flat_workgroup_size: 1024
    .name:           _ZN7rocprim17ROCPRIM_400000_NS6detail17trampoline_kernelINS0_14default_configENS1_35radix_sort_onesweep_config_selectorIxNS0_10empty_typeEEEZZNS1_29radix_sort_onesweep_iterationIS3_Lb0EN6thrust23THRUST_200600_302600_NS6detail15normal_iteratorINS9_10device_ptrIxEEEESE_PS5_SF_jNS0_19identity_decomposerENS1_16block_id_wrapperIjLb0EEEEE10hipError_tT1_PNSt15iterator_traitsISK_E10value_typeET2_T3_PNSL_ISQ_E10value_typeET4_T5_PSV_SW_PNS1_23onesweep_lookback_stateEbbT6_jjT7_P12ihipStream_tbENKUlT_T0_SK_SP_E_clISE_SE_SF_SF_EEDaS13_S14_SK_SP_EUlS13_E_NS1_11comp_targetILNS1_3genE9ELNS1_11target_archE1100ELNS1_3gpuE3ELNS1_3repE0EEENS1_47radix_sort_onesweep_sort_config_static_selectorELNS0_4arch9wavefront6targetE1EEEvSK_
    .private_segment_fixed_size: 0
    .sgpr_count:     6
    .sgpr_spill_count: 0
    .symbol:         _ZN7rocprim17ROCPRIM_400000_NS6detail17trampoline_kernelINS0_14default_configENS1_35radix_sort_onesweep_config_selectorIxNS0_10empty_typeEEEZZNS1_29radix_sort_onesweep_iterationIS3_Lb0EN6thrust23THRUST_200600_302600_NS6detail15normal_iteratorINS9_10device_ptrIxEEEESE_PS5_SF_jNS0_19identity_decomposerENS1_16block_id_wrapperIjLb0EEEEE10hipError_tT1_PNSt15iterator_traitsISK_E10value_typeET2_T3_PNSL_ISQ_E10value_typeET4_T5_PSV_SW_PNS1_23onesweep_lookback_stateEbbT6_jjT7_P12ihipStream_tbENKUlT_T0_SK_SP_E_clISE_SE_SF_SF_EEDaS13_S14_SK_SP_EUlS13_E_NS1_11comp_targetILNS1_3genE9ELNS1_11target_archE1100ELNS1_3gpuE3ELNS1_3repE0EEENS1_47radix_sort_onesweep_sort_config_static_selectorELNS0_4arch9wavefront6targetE1EEEvSK_.kd
    .uniform_work_group_size: 1
    .uses_dynamic_stack: false
    .vgpr_count:     0
    .vgpr_spill_count: 0
    .wavefront_size: 64
  - .agpr_count:     0
    .args:
      - .offset:         0
        .size:           88
        .value_kind:     by_value
    .group_segment_fixed_size: 0
    .kernarg_segment_align: 8
    .kernarg_segment_size: 88
    .language:       OpenCL C
    .language_version:
      - 2
      - 0
    .max_flat_workgroup_size: 1024
    .name:           _ZN7rocprim17ROCPRIM_400000_NS6detail17trampoline_kernelINS0_14default_configENS1_35radix_sort_onesweep_config_selectorIxNS0_10empty_typeEEEZZNS1_29radix_sort_onesweep_iterationIS3_Lb0EN6thrust23THRUST_200600_302600_NS6detail15normal_iteratorINS9_10device_ptrIxEEEESE_PS5_SF_jNS0_19identity_decomposerENS1_16block_id_wrapperIjLb0EEEEE10hipError_tT1_PNSt15iterator_traitsISK_E10value_typeET2_T3_PNSL_ISQ_E10value_typeET4_T5_PSV_SW_PNS1_23onesweep_lookback_stateEbbT6_jjT7_P12ihipStream_tbENKUlT_T0_SK_SP_E_clISE_SE_SF_SF_EEDaS13_S14_SK_SP_EUlS13_E_NS1_11comp_targetILNS1_3genE8ELNS1_11target_archE1030ELNS1_3gpuE2ELNS1_3repE0EEENS1_47radix_sort_onesweep_sort_config_static_selectorELNS0_4arch9wavefront6targetE1EEEvSK_
    .private_segment_fixed_size: 0
    .sgpr_count:     6
    .sgpr_spill_count: 0
    .symbol:         _ZN7rocprim17ROCPRIM_400000_NS6detail17trampoline_kernelINS0_14default_configENS1_35radix_sort_onesweep_config_selectorIxNS0_10empty_typeEEEZZNS1_29radix_sort_onesweep_iterationIS3_Lb0EN6thrust23THRUST_200600_302600_NS6detail15normal_iteratorINS9_10device_ptrIxEEEESE_PS5_SF_jNS0_19identity_decomposerENS1_16block_id_wrapperIjLb0EEEEE10hipError_tT1_PNSt15iterator_traitsISK_E10value_typeET2_T3_PNSL_ISQ_E10value_typeET4_T5_PSV_SW_PNS1_23onesweep_lookback_stateEbbT6_jjT7_P12ihipStream_tbENKUlT_T0_SK_SP_E_clISE_SE_SF_SF_EEDaS13_S14_SK_SP_EUlS13_E_NS1_11comp_targetILNS1_3genE8ELNS1_11target_archE1030ELNS1_3gpuE2ELNS1_3repE0EEENS1_47radix_sort_onesweep_sort_config_static_selectorELNS0_4arch9wavefront6targetE1EEEvSK_.kd
    .uniform_work_group_size: 1
    .uses_dynamic_stack: false
    .vgpr_count:     0
    .vgpr_spill_count: 0
    .wavefront_size: 64
  - .agpr_count:     0
    .args:
      - .offset:         0
        .size:           88
        .value_kind:     by_value
    .group_segment_fixed_size: 0
    .kernarg_segment_align: 8
    .kernarg_segment_size: 88
    .language:       OpenCL C
    .language_version:
      - 2
      - 0
    .max_flat_workgroup_size: 512
    .name:           _ZN7rocprim17ROCPRIM_400000_NS6detail17trampoline_kernelINS0_14default_configENS1_35radix_sort_onesweep_config_selectorIxNS0_10empty_typeEEEZZNS1_29radix_sort_onesweep_iterationIS3_Lb0EN6thrust23THRUST_200600_302600_NS6detail15normal_iteratorINS9_10device_ptrIxEEEESE_PS5_SF_jNS0_19identity_decomposerENS1_16block_id_wrapperIjLb0EEEEE10hipError_tT1_PNSt15iterator_traitsISK_E10value_typeET2_T3_PNSL_ISQ_E10value_typeET4_T5_PSV_SW_PNS1_23onesweep_lookback_stateEbbT6_jjT7_P12ihipStream_tbENKUlT_T0_SK_SP_E_clISE_PxSF_SF_EEDaS13_S14_SK_SP_EUlS13_E_NS1_11comp_targetILNS1_3genE0ELNS1_11target_archE4294967295ELNS1_3gpuE0ELNS1_3repE0EEENS1_47radix_sort_onesweep_sort_config_static_selectorELNS0_4arch9wavefront6targetE1EEEvSK_
    .private_segment_fixed_size: 0
    .sgpr_count:     6
    .sgpr_spill_count: 0
    .symbol:         _ZN7rocprim17ROCPRIM_400000_NS6detail17trampoline_kernelINS0_14default_configENS1_35radix_sort_onesweep_config_selectorIxNS0_10empty_typeEEEZZNS1_29radix_sort_onesweep_iterationIS3_Lb0EN6thrust23THRUST_200600_302600_NS6detail15normal_iteratorINS9_10device_ptrIxEEEESE_PS5_SF_jNS0_19identity_decomposerENS1_16block_id_wrapperIjLb0EEEEE10hipError_tT1_PNSt15iterator_traitsISK_E10value_typeET2_T3_PNSL_ISQ_E10value_typeET4_T5_PSV_SW_PNS1_23onesweep_lookback_stateEbbT6_jjT7_P12ihipStream_tbENKUlT_T0_SK_SP_E_clISE_PxSF_SF_EEDaS13_S14_SK_SP_EUlS13_E_NS1_11comp_targetILNS1_3genE0ELNS1_11target_archE4294967295ELNS1_3gpuE0ELNS1_3repE0EEENS1_47radix_sort_onesweep_sort_config_static_selectorELNS0_4arch9wavefront6targetE1EEEvSK_.kd
    .uniform_work_group_size: 1
    .uses_dynamic_stack: false
    .vgpr_count:     0
    .vgpr_spill_count: 0
    .wavefront_size: 64
  - .agpr_count:     0
    .args:
      - .offset:         0
        .size:           88
        .value_kind:     by_value
    .group_segment_fixed_size: 0
    .kernarg_segment_align: 8
    .kernarg_segment_size: 88
    .language:       OpenCL C
    .language_version:
      - 2
      - 0
    .max_flat_workgroup_size: 512
    .name:           _ZN7rocprim17ROCPRIM_400000_NS6detail17trampoline_kernelINS0_14default_configENS1_35radix_sort_onesweep_config_selectorIxNS0_10empty_typeEEEZZNS1_29radix_sort_onesweep_iterationIS3_Lb0EN6thrust23THRUST_200600_302600_NS6detail15normal_iteratorINS9_10device_ptrIxEEEESE_PS5_SF_jNS0_19identity_decomposerENS1_16block_id_wrapperIjLb0EEEEE10hipError_tT1_PNSt15iterator_traitsISK_E10value_typeET2_T3_PNSL_ISQ_E10value_typeET4_T5_PSV_SW_PNS1_23onesweep_lookback_stateEbbT6_jjT7_P12ihipStream_tbENKUlT_T0_SK_SP_E_clISE_PxSF_SF_EEDaS13_S14_SK_SP_EUlS13_E_NS1_11comp_targetILNS1_3genE6ELNS1_11target_archE950ELNS1_3gpuE13ELNS1_3repE0EEENS1_47radix_sort_onesweep_sort_config_static_selectorELNS0_4arch9wavefront6targetE1EEEvSK_
    .private_segment_fixed_size: 0
    .sgpr_count:     6
    .sgpr_spill_count: 0
    .symbol:         _ZN7rocprim17ROCPRIM_400000_NS6detail17trampoline_kernelINS0_14default_configENS1_35radix_sort_onesweep_config_selectorIxNS0_10empty_typeEEEZZNS1_29radix_sort_onesweep_iterationIS3_Lb0EN6thrust23THRUST_200600_302600_NS6detail15normal_iteratorINS9_10device_ptrIxEEEESE_PS5_SF_jNS0_19identity_decomposerENS1_16block_id_wrapperIjLb0EEEEE10hipError_tT1_PNSt15iterator_traitsISK_E10value_typeET2_T3_PNSL_ISQ_E10value_typeET4_T5_PSV_SW_PNS1_23onesweep_lookback_stateEbbT6_jjT7_P12ihipStream_tbENKUlT_T0_SK_SP_E_clISE_PxSF_SF_EEDaS13_S14_SK_SP_EUlS13_E_NS1_11comp_targetILNS1_3genE6ELNS1_11target_archE950ELNS1_3gpuE13ELNS1_3repE0EEENS1_47radix_sort_onesweep_sort_config_static_selectorELNS0_4arch9wavefront6targetE1EEEvSK_.kd
    .uniform_work_group_size: 1
    .uses_dynamic_stack: false
    .vgpr_count:     0
    .vgpr_spill_count: 0
    .wavefront_size: 64
  - .agpr_count:     0
    .args:
      - .offset:         0
        .size:           88
        .value_kind:     by_value
      - .offset:         88
        .size:           4
        .value_kind:     hidden_block_count_x
      - .offset:         92
        .size:           4
        .value_kind:     hidden_block_count_y
      - .offset:         96
        .size:           4
        .value_kind:     hidden_block_count_z
      - .offset:         100
        .size:           2
        .value_kind:     hidden_group_size_x
      - .offset:         102
        .size:           2
        .value_kind:     hidden_group_size_y
      - .offset:         104
        .size:           2
        .value_kind:     hidden_group_size_z
      - .offset:         106
        .size:           2
        .value_kind:     hidden_remainder_x
      - .offset:         108
        .size:           2
        .value_kind:     hidden_remainder_y
      - .offset:         110
        .size:           2
        .value_kind:     hidden_remainder_z
      - .offset:         128
        .size:           8
        .value_kind:     hidden_global_offset_x
      - .offset:         136
        .size:           8
        .value_kind:     hidden_global_offset_y
      - .offset:         144
        .size:           8
        .value_kind:     hidden_global_offset_z
      - .offset:         152
        .size:           2
        .value_kind:     hidden_grid_dims
    .group_segment_fixed_size: 10280
    .kernarg_segment_align: 8
    .kernarg_segment_size: 344
    .language:       OpenCL C
    .language_version:
      - 2
      - 0
    .max_flat_workgroup_size: 512
    .name:           _ZN7rocprim17ROCPRIM_400000_NS6detail17trampoline_kernelINS0_14default_configENS1_35radix_sort_onesweep_config_selectorIxNS0_10empty_typeEEEZZNS1_29radix_sort_onesweep_iterationIS3_Lb0EN6thrust23THRUST_200600_302600_NS6detail15normal_iteratorINS9_10device_ptrIxEEEESE_PS5_SF_jNS0_19identity_decomposerENS1_16block_id_wrapperIjLb0EEEEE10hipError_tT1_PNSt15iterator_traitsISK_E10value_typeET2_T3_PNSL_ISQ_E10value_typeET4_T5_PSV_SW_PNS1_23onesweep_lookback_stateEbbT6_jjT7_P12ihipStream_tbENKUlT_T0_SK_SP_E_clISE_PxSF_SF_EEDaS13_S14_SK_SP_EUlS13_E_NS1_11comp_targetILNS1_3genE5ELNS1_11target_archE942ELNS1_3gpuE9ELNS1_3repE0EEENS1_47radix_sort_onesweep_sort_config_static_selectorELNS0_4arch9wavefront6targetE1EEEvSK_
    .private_segment_fixed_size: 0
    .sgpr_count:     38
    .sgpr_spill_count: 0
    .symbol:         _ZN7rocprim17ROCPRIM_400000_NS6detail17trampoline_kernelINS0_14default_configENS1_35radix_sort_onesweep_config_selectorIxNS0_10empty_typeEEEZZNS1_29radix_sort_onesweep_iterationIS3_Lb0EN6thrust23THRUST_200600_302600_NS6detail15normal_iteratorINS9_10device_ptrIxEEEESE_PS5_SF_jNS0_19identity_decomposerENS1_16block_id_wrapperIjLb0EEEEE10hipError_tT1_PNSt15iterator_traitsISK_E10value_typeET2_T3_PNSL_ISQ_E10value_typeET4_T5_PSV_SW_PNS1_23onesweep_lookback_stateEbbT6_jjT7_P12ihipStream_tbENKUlT_T0_SK_SP_E_clISE_PxSF_SF_EEDaS13_S14_SK_SP_EUlS13_E_NS1_11comp_targetILNS1_3genE5ELNS1_11target_archE942ELNS1_3gpuE9ELNS1_3repE0EEENS1_47radix_sort_onesweep_sort_config_static_selectorELNS0_4arch9wavefront6targetE1EEEvSK_.kd
    .uniform_work_group_size: 1
    .uses_dynamic_stack: false
    .vgpr_count:     78
    .vgpr_spill_count: 0
    .wavefront_size: 64
  - .agpr_count:     0
    .args:
      - .offset:         0
        .size:           88
        .value_kind:     by_value
    .group_segment_fixed_size: 0
    .kernarg_segment_align: 8
    .kernarg_segment_size: 88
    .language:       OpenCL C
    .language_version:
      - 2
      - 0
    .max_flat_workgroup_size: 512
    .name:           _ZN7rocprim17ROCPRIM_400000_NS6detail17trampoline_kernelINS0_14default_configENS1_35radix_sort_onesweep_config_selectorIxNS0_10empty_typeEEEZZNS1_29radix_sort_onesweep_iterationIS3_Lb0EN6thrust23THRUST_200600_302600_NS6detail15normal_iteratorINS9_10device_ptrIxEEEESE_PS5_SF_jNS0_19identity_decomposerENS1_16block_id_wrapperIjLb0EEEEE10hipError_tT1_PNSt15iterator_traitsISK_E10value_typeET2_T3_PNSL_ISQ_E10value_typeET4_T5_PSV_SW_PNS1_23onesweep_lookback_stateEbbT6_jjT7_P12ihipStream_tbENKUlT_T0_SK_SP_E_clISE_PxSF_SF_EEDaS13_S14_SK_SP_EUlS13_E_NS1_11comp_targetILNS1_3genE2ELNS1_11target_archE906ELNS1_3gpuE6ELNS1_3repE0EEENS1_47radix_sort_onesweep_sort_config_static_selectorELNS0_4arch9wavefront6targetE1EEEvSK_
    .private_segment_fixed_size: 0
    .sgpr_count:     6
    .sgpr_spill_count: 0
    .symbol:         _ZN7rocprim17ROCPRIM_400000_NS6detail17trampoline_kernelINS0_14default_configENS1_35radix_sort_onesweep_config_selectorIxNS0_10empty_typeEEEZZNS1_29radix_sort_onesweep_iterationIS3_Lb0EN6thrust23THRUST_200600_302600_NS6detail15normal_iteratorINS9_10device_ptrIxEEEESE_PS5_SF_jNS0_19identity_decomposerENS1_16block_id_wrapperIjLb0EEEEE10hipError_tT1_PNSt15iterator_traitsISK_E10value_typeET2_T3_PNSL_ISQ_E10value_typeET4_T5_PSV_SW_PNS1_23onesweep_lookback_stateEbbT6_jjT7_P12ihipStream_tbENKUlT_T0_SK_SP_E_clISE_PxSF_SF_EEDaS13_S14_SK_SP_EUlS13_E_NS1_11comp_targetILNS1_3genE2ELNS1_11target_archE906ELNS1_3gpuE6ELNS1_3repE0EEENS1_47radix_sort_onesweep_sort_config_static_selectorELNS0_4arch9wavefront6targetE1EEEvSK_.kd
    .uniform_work_group_size: 1
    .uses_dynamic_stack: false
    .vgpr_count:     0
    .vgpr_spill_count: 0
    .wavefront_size: 64
  - .agpr_count:     0
    .args:
      - .offset:         0
        .size:           88
        .value_kind:     by_value
    .group_segment_fixed_size: 0
    .kernarg_segment_align: 8
    .kernarg_segment_size: 88
    .language:       OpenCL C
    .language_version:
      - 2
      - 0
    .max_flat_workgroup_size: 1024
    .name:           _ZN7rocprim17ROCPRIM_400000_NS6detail17trampoline_kernelINS0_14default_configENS1_35radix_sort_onesweep_config_selectorIxNS0_10empty_typeEEEZZNS1_29radix_sort_onesweep_iterationIS3_Lb0EN6thrust23THRUST_200600_302600_NS6detail15normal_iteratorINS9_10device_ptrIxEEEESE_PS5_SF_jNS0_19identity_decomposerENS1_16block_id_wrapperIjLb0EEEEE10hipError_tT1_PNSt15iterator_traitsISK_E10value_typeET2_T3_PNSL_ISQ_E10value_typeET4_T5_PSV_SW_PNS1_23onesweep_lookback_stateEbbT6_jjT7_P12ihipStream_tbENKUlT_T0_SK_SP_E_clISE_PxSF_SF_EEDaS13_S14_SK_SP_EUlS13_E_NS1_11comp_targetILNS1_3genE4ELNS1_11target_archE910ELNS1_3gpuE8ELNS1_3repE0EEENS1_47radix_sort_onesweep_sort_config_static_selectorELNS0_4arch9wavefront6targetE1EEEvSK_
    .private_segment_fixed_size: 0
    .sgpr_count:     6
    .sgpr_spill_count: 0
    .symbol:         _ZN7rocprim17ROCPRIM_400000_NS6detail17trampoline_kernelINS0_14default_configENS1_35radix_sort_onesweep_config_selectorIxNS0_10empty_typeEEEZZNS1_29radix_sort_onesweep_iterationIS3_Lb0EN6thrust23THRUST_200600_302600_NS6detail15normal_iteratorINS9_10device_ptrIxEEEESE_PS5_SF_jNS0_19identity_decomposerENS1_16block_id_wrapperIjLb0EEEEE10hipError_tT1_PNSt15iterator_traitsISK_E10value_typeET2_T3_PNSL_ISQ_E10value_typeET4_T5_PSV_SW_PNS1_23onesweep_lookback_stateEbbT6_jjT7_P12ihipStream_tbENKUlT_T0_SK_SP_E_clISE_PxSF_SF_EEDaS13_S14_SK_SP_EUlS13_E_NS1_11comp_targetILNS1_3genE4ELNS1_11target_archE910ELNS1_3gpuE8ELNS1_3repE0EEENS1_47radix_sort_onesweep_sort_config_static_selectorELNS0_4arch9wavefront6targetE1EEEvSK_.kd
    .uniform_work_group_size: 1
    .uses_dynamic_stack: false
    .vgpr_count:     0
    .vgpr_spill_count: 0
    .wavefront_size: 64
  - .agpr_count:     0
    .args:
      - .offset:         0
        .size:           88
        .value_kind:     by_value
    .group_segment_fixed_size: 0
    .kernarg_segment_align: 8
    .kernarg_segment_size: 88
    .language:       OpenCL C
    .language_version:
      - 2
      - 0
    .max_flat_workgroup_size: 512
    .name:           _ZN7rocprim17ROCPRIM_400000_NS6detail17trampoline_kernelINS0_14default_configENS1_35radix_sort_onesweep_config_selectorIxNS0_10empty_typeEEEZZNS1_29radix_sort_onesweep_iterationIS3_Lb0EN6thrust23THRUST_200600_302600_NS6detail15normal_iteratorINS9_10device_ptrIxEEEESE_PS5_SF_jNS0_19identity_decomposerENS1_16block_id_wrapperIjLb0EEEEE10hipError_tT1_PNSt15iterator_traitsISK_E10value_typeET2_T3_PNSL_ISQ_E10value_typeET4_T5_PSV_SW_PNS1_23onesweep_lookback_stateEbbT6_jjT7_P12ihipStream_tbENKUlT_T0_SK_SP_E_clISE_PxSF_SF_EEDaS13_S14_SK_SP_EUlS13_E_NS1_11comp_targetILNS1_3genE3ELNS1_11target_archE908ELNS1_3gpuE7ELNS1_3repE0EEENS1_47radix_sort_onesweep_sort_config_static_selectorELNS0_4arch9wavefront6targetE1EEEvSK_
    .private_segment_fixed_size: 0
    .sgpr_count:     6
    .sgpr_spill_count: 0
    .symbol:         _ZN7rocprim17ROCPRIM_400000_NS6detail17trampoline_kernelINS0_14default_configENS1_35radix_sort_onesweep_config_selectorIxNS0_10empty_typeEEEZZNS1_29radix_sort_onesweep_iterationIS3_Lb0EN6thrust23THRUST_200600_302600_NS6detail15normal_iteratorINS9_10device_ptrIxEEEESE_PS5_SF_jNS0_19identity_decomposerENS1_16block_id_wrapperIjLb0EEEEE10hipError_tT1_PNSt15iterator_traitsISK_E10value_typeET2_T3_PNSL_ISQ_E10value_typeET4_T5_PSV_SW_PNS1_23onesweep_lookback_stateEbbT6_jjT7_P12ihipStream_tbENKUlT_T0_SK_SP_E_clISE_PxSF_SF_EEDaS13_S14_SK_SP_EUlS13_E_NS1_11comp_targetILNS1_3genE3ELNS1_11target_archE908ELNS1_3gpuE7ELNS1_3repE0EEENS1_47radix_sort_onesweep_sort_config_static_selectorELNS0_4arch9wavefront6targetE1EEEvSK_.kd
    .uniform_work_group_size: 1
    .uses_dynamic_stack: false
    .vgpr_count:     0
    .vgpr_spill_count: 0
    .wavefront_size: 64
  - .agpr_count:     0
    .args:
      - .offset:         0
        .size:           88
        .value_kind:     by_value
    .group_segment_fixed_size: 0
    .kernarg_segment_align: 8
    .kernarg_segment_size: 88
    .language:       OpenCL C
    .language_version:
      - 2
      - 0
    .max_flat_workgroup_size: 512
    .name:           _ZN7rocprim17ROCPRIM_400000_NS6detail17trampoline_kernelINS0_14default_configENS1_35radix_sort_onesweep_config_selectorIxNS0_10empty_typeEEEZZNS1_29radix_sort_onesweep_iterationIS3_Lb0EN6thrust23THRUST_200600_302600_NS6detail15normal_iteratorINS9_10device_ptrIxEEEESE_PS5_SF_jNS0_19identity_decomposerENS1_16block_id_wrapperIjLb0EEEEE10hipError_tT1_PNSt15iterator_traitsISK_E10value_typeET2_T3_PNSL_ISQ_E10value_typeET4_T5_PSV_SW_PNS1_23onesweep_lookback_stateEbbT6_jjT7_P12ihipStream_tbENKUlT_T0_SK_SP_E_clISE_PxSF_SF_EEDaS13_S14_SK_SP_EUlS13_E_NS1_11comp_targetILNS1_3genE10ELNS1_11target_archE1201ELNS1_3gpuE5ELNS1_3repE0EEENS1_47radix_sort_onesweep_sort_config_static_selectorELNS0_4arch9wavefront6targetE1EEEvSK_
    .private_segment_fixed_size: 0
    .sgpr_count:     6
    .sgpr_spill_count: 0
    .symbol:         _ZN7rocprim17ROCPRIM_400000_NS6detail17trampoline_kernelINS0_14default_configENS1_35radix_sort_onesweep_config_selectorIxNS0_10empty_typeEEEZZNS1_29radix_sort_onesweep_iterationIS3_Lb0EN6thrust23THRUST_200600_302600_NS6detail15normal_iteratorINS9_10device_ptrIxEEEESE_PS5_SF_jNS0_19identity_decomposerENS1_16block_id_wrapperIjLb0EEEEE10hipError_tT1_PNSt15iterator_traitsISK_E10value_typeET2_T3_PNSL_ISQ_E10value_typeET4_T5_PSV_SW_PNS1_23onesweep_lookback_stateEbbT6_jjT7_P12ihipStream_tbENKUlT_T0_SK_SP_E_clISE_PxSF_SF_EEDaS13_S14_SK_SP_EUlS13_E_NS1_11comp_targetILNS1_3genE10ELNS1_11target_archE1201ELNS1_3gpuE5ELNS1_3repE0EEENS1_47radix_sort_onesweep_sort_config_static_selectorELNS0_4arch9wavefront6targetE1EEEvSK_.kd
    .uniform_work_group_size: 1
    .uses_dynamic_stack: false
    .vgpr_count:     0
    .vgpr_spill_count: 0
    .wavefront_size: 64
  - .agpr_count:     0
    .args:
      - .offset:         0
        .size:           88
        .value_kind:     by_value
    .group_segment_fixed_size: 0
    .kernarg_segment_align: 8
    .kernarg_segment_size: 88
    .language:       OpenCL C
    .language_version:
      - 2
      - 0
    .max_flat_workgroup_size: 1024
    .name:           _ZN7rocprim17ROCPRIM_400000_NS6detail17trampoline_kernelINS0_14default_configENS1_35radix_sort_onesweep_config_selectorIxNS0_10empty_typeEEEZZNS1_29radix_sort_onesweep_iterationIS3_Lb0EN6thrust23THRUST_200600_302600_NS6detail15normal_iteratorINS9_10device_ptrIxEEEESE_PS5_SF_jNS0_19identity_decomposerENS1_16block_id_wrapperIjLb0EEEEE10hipError_tT1_PNSt15iterator_traitsISK_E10value_typeET2_T3_PNSL_ISQ_E10value_typeET4_T5_PSV_SW_PNS1_23onesweep_lookback_stateEbbT6_jjT7_P12ihipStream_tbENKUlT_T0_SK_SP_E_clISE_PxSF_SF_EEDaS13_S14_SK_SP_EUlS13_E_NS1_11comp_targetILNS1_3genE9ELNS1_11target_archE1100ELNS1_3gpuE3ELNS1_3repE0EEENS1_47radix_sort_onesweep_sort_config_static_selectorELNS0_4arch9wavefront6targetE1EEEvSK_
    .private_segment_fixed_size: 0
    .sgpr_count:     6
    .sgpr_spill_count: 0
    .symbol:         _ZN7rocprim17ROCPRIM_400000_NS6detail17trampoline_kernelINS0_14default_configENS1_35radix_sort_onesweep_config_selectorIxNS0_10empty_typeEEEZZNS1_29radix_sort_onesweep_iterationIS3_Lb0EN6thrust23THRUST_200600_302600_NS6detail15normal_iteratorINS9_10device_ptrIxEEEESE_PS5_SF_jNS0_19identity_decomposerENS1_16block_id_wrapperIjLb0EEEEE10hipError_tT1_PNSt15iterator_traitsISK_E10value_typeET2_T3_PNSL_ISQ_E10value_typeET4_T5_PSV_SW_PNS1_23onesweep_lookback_stateEbbT6_jjT7_P12ihipStream_tbENKUlT_T0_SK_SP_E_clISE_PxSF_SF_EEDaS13_S14_SK_SP_EUlS13_E_NS1_11comp_targetILNS1_3genE9ELNS1_11target_archE1100ELNS1_3gpuE3ELNS1_3repE0EEENS1_47radix_sort_onesweep_sort_config_static_selectorELNS0_4arch9wavefront6targetE1EEEvSK_.kd
    .uniform_work_group_size: 1
    .uses_dynamic_stack: false
    .vgpr_count:     0
    .vgpr_spill_count: 0
    .wavefront_size: 64
  - .agpr_count:     0
    .args:
      - .offset:         0
        .size:           88
        .value_kind:     by_value
    .group_segment_fixed_size: 0
    .kernarg_segment_align: 8
    .kernarg_segment_size: 88
    .language:       OpenCL C
    .language_version:
      - 2
      - 0
    .max_flat_workgroup_size: 1024
    .name:           _ZN7rocprim17ROCPRIM_400000_NS6detail17trampoline_kernelINS0_14default_configENS1_35radix_sort_onesweep_config_selectorIxNS0_10empty_typeEEEZZNS1_29radix_sort_onesweep_iterationIS3_Lb0EN6thrust23THRUST_200600_302600_NS6detail15normal_iteratorINS9_10device_ptrIxEEEESE_PS5_SF_jNS0_19identity_decomposerENS1_16block_id_wrapperIjLb0EEEEE10hipError_tT1_PNSt15iterator_traitsISK_E10value_typeET2_T3_PNSL_ISQ_E10value_typeET4_T5_PSV_SW_PNS1_23onesweep_lookback_stateEbbT6_jjT7_P12ihipStream_tbENKUlT_T0_SK_SP_E_clISE_PxSF_SF_EEDaS13_S14_SK_SP_EUlS13_E_NS1_11comp_targetILNS1_3genE8ELNS1_11target_archE1030ELNS1_3gpuE2ELNS1_3repE0EEENS1_47radix_sort_onesweep_sort_config_static_selectorELNS0_4arch9wavefront6targetE1EEEvSK_
    .private_segment_fixed_size: 0
    .sgpr_count:     6
    .sgpr_spill_count: 0
    .symbol:         _ZN7rocprim17ROCPRIM_400000_NS6detail17trampoline_kernelINS0_14default_configENS1_35radix_sort_onesweep_config_selectorIxNS0_10empty_typeEEEZZNS1_29radix_sort_onesweep_iterationIS3_Lb0EN6thrust23THRUST_200600_302600_NS6detail15normal_iteratorINS9_10device_ptrIxEEEESE_PS5_SF_jNS0_19identity_decomposerENS1_16block_id_wrapperIjLb0EEEEE10hipError_tT1_PNSt15iterator_traitsISK_E10value_typeET2_T3_PNSL_ISQ_E10value_typeET4_T5_PSV_SW_PNS1_23onesweep_lookback_stateEbbT6_jjT7_P12ihipStream_tbENKUlT_T0_SK_SP_E_clISE_PxSF_SF_EEDaS13_S14_SK_SP_EUlS13_E_NS1_11comp_targetILNS1_3genE8ELNS1_11target_archE1030ELNS1_3gpuE2ELNS1_3repE0EEENS1_47radix_sort_onesweep_sort_config_static_selectorELNS0_4arch9wavefront6targetE1EEEvSK_.kd
    .uniform_work_group_size: 1
    .uses_dynamic_stack: false
    .vgpr_count:     0
    .vgpr_spill_count: 0
    .wavefront_size: 64
  - .agpr_count:     0
    .args:
      - .offset:         0
        .size:           88
        .value_kind:     by_value
    .group_segment_fixed_size: 0
    .kernarg_segment_align: 8
    .kernarg_segment_size: 88
    .language:       OpenCL C
    .language_version:
      - 2
      - 0
    .max_flat_workgroup_size: 512
    .name:           _ZN7rocprim17ROCPRIM_400000_NS6detail17trampoline_kernelINS0_14default_configENS1_35radix_sort_onesweep_config_selectorIxNS0_10empty_typeEEEZZNS1_29radix_sort_onesweep_iterationIS3_Lb0EN6thrust23THRUST_200600_302600_NS6detail15normal_iteratorINS9_10device_ptrIxEEEESE_PS5_SF_jNS0_19identity_decomposerENS1_16block_id_wrapperIjLb0EEEEE10hipError_tT1_PNSt15iterator_traitsISK_E10value_typeET2_T3_PNSL_ISQ_E10value_typeET4_T5_PSV_SW_PNS1_23onesweep_lookback_stateEbbT6_jjT7_P12ihipStream_tbENKUlT_T0_SK_SP_E_clIPxSE_SF_SF_EEDaS13_S14_SK_SP_EUlS13_E_NS1_11comp_targetILNS1_3genE0ELNS1_11target_archE4294967295ELNS1_3gpuE0ELNS1_3repE0EEENS1_47radix_sort_onesweep_sort_config_static_selectorELNS0_4arch9wavefront6targetE1EEEvSK_
    .private_segment_fixed_size: 0
    .sgpr_count:     6
    .sgpr_spill_count: 0
    .symbol:         _ZN7rocprim17ROCPRIM_400000_NS6detail17trampoline_kernelINS0_14default_configENS1_35radix_sort_onesweep_config_selectorIxNS0_10empty_typeEEEZZNS1_29radix_sort_onesweep_iterationIS3_Lb0EN6thrust23THRUST_200600_302600_NS6detail15normal_iteratorINS9_10device_ptrIxEEEESE_PS5_SF_jNS0_19identity_decomposerENS1_16block_id_wrapperIjLb0EEEEE10hipError_tT1_PNSt15iterator_traitsISK_E10value_typeET2_T3_PNSL_ISQ_E10value_typeET4_T5_PSV_SW_PNS1_23onesweep_lookback_stateEbbT6_jjT7_P12ihipStream_tbENKUlT_T0_SK_SP_E_clIPxSE_SF_SF_EEDaS13_S14_SK_SP_EUlS13_E_NS1_11comp_targetILNS1_3genE0ELNS1_11target_archE4294967295ELNS1_3gpuE0ELNS1_3repE0EEENS1_47radix_sort_onesweep_sort_config_static_selectorELNS0_4arch9wavefront6targetE1EEEvSK_.kd
    .uniform_work_group_size: 1
    .uses_dynamic_stack: false
    .vgpr_count:     0
    .vgpr_spill_count: 0
    .wavefront_size: 64
  - .agpr_count:     0
    .args:
      - .offset:         0
        .size:           88
        .value_kind:     by_value
    .group_segment_fixed_size: 0
    .kernarg_segment_align: 8
    .kernarg_segment_size: 88
    .language:       OpenCL C
    .language_version:
      - 2
      - 0
    .max_flat_workgroup_size: 512
    .name:           _ZN7rocprim17ROCPRIM_400000_NS6detail17trampoline_kernelINS0_14default_configENS1_35radix_sort_onesweep_config_selectorIxNS0_10empty_typeEEEZZNS1_29radix_sort_onesweep_iterationIS3_Lb0EN6thrust23THRUST_200600_302600_NS6detail15normal_iteratorINS9_10device_ptrIxEEEESE_PS5_SF_jNS0_19identity_decomposerENS1_16block_id_wrapperIjLb0EEEEE10hipError_tT1_PNSt15iterator_traitsISK_E10value_typeET2_T3_PNSL_ISQ_E10value_typeET4_T5_PSV_SW_PNS1_23onesweep_lookback_stateEbbT6_jjT7_P12ihipStream_tbENKUlT_T0_SK_SP_E_clIPxSE_SF_SF_EEDaS13_S14_SK_SP_EUlS13_E_NS1_11comp_targetILNS1_3genE6ELNS1_11target_archE950ELNS1_3gpuE13ELNS1_3repE0EEENS1_47radix_sort_onesweep_sort_config_static_selectorELNS0_4arch9wavefront6targetE1EEEvSK_
    .private_segment_fixed_size: 0
    .sgpr_count:     6
    .sgpr_spill_count: 0
    .symbol:         _ZN7rocprim17ROCPRIM_400000_NS6detail17trampoline_kernelINS0_14default_configENS1_35radix_sort_onesweep_config_selectorIxNS0_10empty_typeEEEZZNS1_29radix_sort_onesweep_iterationIS3_Lb0EN6thrust23THRUST_200600_302600_NS6detail15normal_iteratorINS9_10device_ptrIxEEEESE_PS5_SF_jNS0_19identity_decomposerENS1_16block_id_wrapperIjLb0EEEEE10hipError_tT1_PNSt15iterator_traitsISK_E10value_typeET2_T3_PNSL_ISQ_E10value_typeET4_T5_PSV_SW_PNS1_23onesweep_lookback_stateEbbT6_jjT7_P12ihipStream_tbENKUlT_T0_SK_SP_E_clIPxSE_SF_SF_EEDaS13_S14_SK_SP_EUlS13_E_NS1_11comp_targetILNS1_3genE6ELNS1_11target_archE950ELNS1_3gpuE13ELNS1_3repE0EEENS1_47radix_sort_onesweep_sort_config_static_selectorELNS0_4arch9wavefront6targetE1EEEvSK_.kd
    .uniform_work_group_size: 1
    .uses_dynamic_stack: false
    .vgpr_count:     0
    .vgpr_spill_count: 0
    .wavefront_size: 64
  - .agpr_count:     0
    .args:
      - .offset:         0
        .size:           88
        .value_kind:     by_value
      - .offset:         88
        .size:           4
        .value_kind:     hidden_block_count_x
      - .offset:         92
        .size:           4
        .value_kind:     hidden_block_count_y
      - .offset:         96
        .size:           4
        .value_kind:     hidden_block_count_z
      - .offset:         100
        .size:           2
        .value_kind:     hidden_group_size_x
      - .offset:         102
        .size:           2
        .value_kind:     hidden_group_size_y
      - .offset:         104
        .size:           2
        .value_kind:     hidden_group_size_z
      - .offset:         106
        .size:           2
        .value_kind:     hidden_remainder_x
      - .offset:         108
        .size:           2
        .value_kind:     hidden_remainder_y
      - .offset:         110
        .size:           2
        .value_kind:     hidden_remainder_z
      - .offset:         128
        .size:           8
        .value_kind:     hidden_global_offset_x
      - .offset:         136
        .size:           8
        .value_kind:     hidden_global_offset_y
      - .offset:         144
        .size:           8
        .value_kind:     hidden_global_offset_z
      - .offset:         152
        .size:           2
        .value_kind:     hidden_grid_dims
    .group_segment_fixed_size: 10280
    .kernarg_segment_align: 8
    .kernarg_segment_size: 344
    .language:       OpenCL C
    .language_version:
      - 2
      - 0
    .max_flat_workgroup_size: 512
    .name:           _ZN7rocprim17ROCPRIM_400000_NS6detail17trampoline_kernelINS0_14default_configENS1_35radix_sort_onesweep_config_selectorIxNS0_10empty_typeEEEZZNS1_29radix_sort_onesweep_iterationIS3_Lb0EN6thrust23THRUST_200600_302600_NS6detail15normal_iteratorINS9_10device_ptrIxEEEESE_PS5_SF_jNS0_19identity_decomposerENS1_16block_id_wrapperIjLb0EEEEE10hipError_tT1_PNSt15iterator_traitsISK_E10value_typeET2_T3_PNSL_ISQ_E10value_typeET4_T5_PSV_SW_PNS1_23onesweep_lookback_stateEbbT6_jjT7_P12ihipStream_tbENKUlT_T0_SK_SP_E_clIPxSE_SF_SF_EEDaS13_S14_SK_SP_EUlS13_E_NS1_11comp_targetILNS1_3genE5ELNS1_11target_archE942ELNS1_3gpuE9ELNS1_3repE0EEENS1_47radix_sort_onesweep_sort_config_static_selectorELNS0_4arch9wavefront6targetE1EEEvSK_
    .private_segment_fixed_size: 0
    .sgpr_count:     38
    .sgpr_spill_count: 0
    .symbol:         _ZN7rocprim17ROCPRIM_400000_NS6detail17trampoline_kernelINS0_14default_configENS1_35radix_sort_onesweep_config_selectorIxNS0_10empty_typeEEEZZNS1_29radix_sort_onesweep_iterationIS3_Lb0EN6thrust23THRUST_200600_302600_NS6detail15normal_iteratorINS9_10device_ptrIxEEEESE_PS5_SF_jNS0_19identity_decomposerENS1_16block_id_wrapperIjLb0EEEEE10hipError_tT1_PNSt15iterator_traitsISK_E10value_typeET2_T3_PNSL_ISQ_E10value_typeET4_T5_PSV_SW_PNS1_23onesweep_lookback_stateEbbT6_jjT7_P12ihipStream_tbENKUlT_T0_SK_SP_E_clIPxSE_SF_SF_EEDaS13_S14_SK_SP_EUlS13_E_NS1_11comp_targetILNS1_3genE5ELNS1_11target_archE942ELNS1_3gpuE9ELNS1_3repE0EEENS1_47radix_sort_onesweep_sort_config_static_selectorELNS0_4arch9wavefront6targetE1EEEvSK_.kd
    .uniform_work_group_size: 1
    .uses_dynamic_stack: false
    .vgpr_count:     78
    .vgpr_spill_count: 0
    .wavefront_size: 64
  - .agpr_count:     0
    .args:
      - .offset:         0
        .size:           88
        .value_kind:     by_value
    .group_segment_fixed_size: 0
    .kernarg_segment_align: 8
    .kernarg_segment_size: 88
    .language:       OpenCL C
    .language_version:
      - 2
      - 0
    .max_flat_workgroup_size: 512
    .name:           _ZN7rocprim17ROCPRIM_400000_NS6detail17trampoline_kernelINS0_14default_configENS1_35radix_sort_onesweep_config_selectorIxNS0_10empty_typeEEEZZNS1_29radix_sort_onesweep_iterationIS3_Lb0EN6thrust23THRUST_200600_302600_NS6detail15normal_iteratorINS9_10device_ptrIxEEEESE_PS5_SF_jNS0_19identity_decomposerENS1_16block_id_wrapperIjLb0EEEEE10hipError_tT1_PNSt15iterator_traitsISK_E10value_typeET2_T3_PNSL_ISQ_E10value_typeET4_T5_PSV_SW_PNS1_23onesweep_lookback_stateEbbT6_jjT7_P12ihipStream_tbENKUlT_T0_SK_SP_E_clIPxSE_SF_SF_EEDaS13_S14_SK_SP_EUlS13_E_NS1_11comp_targetILNS1_3genE2ELNS1_11target_archE906ELNS1_3gpuE6ELNS1_3repE0EEENS1_47radix_sort_onesweep_sort_config_static_selectorELNS0_4arch9wavefront6targetE1EEEvSK_
    .private_segment_fixed_size: 0
    .sgpr_count:     6
    .sgpr_spill_count: 0
    .symbol:         _ZN7rocprim17ROCPRIM_400000_NS6detail17trampoline_kernelINS0_14default_configENS1_35radix_sort_onesweep_config_selectorIxNS0_10empty_typeEEEZZNS1_29radix_sort_onesweep_iterationIS3_Lb0EN6thrust23THRUST_200600_302600_NS6detail15normal_iteratorINS9_10device_ptrIxEEEESE_PS5_SF_jNS0_19identity_decomposerENS1_16block_id_wrapperIjLb0EEEEE10hipError_tT1_PNSt15iterator_traitsISK_E10value_typeET2_T3_PNSL_ISQ_E10value_typeET4_T5_PSV_SW_PNS1_23onesweep_lookback_stateEbbT6_jjT7_P12ihipStream_tbENKUlT_T0_SK_SP_E_clIPxSE_SF_SF_EEDaS13_S14_SK_SP_EUlS13_E_NS1_11comp_targetILNS1_3genE2ELNS1_11target_archE906ELNS1_3gpuE6ELNS1_3repE0EEENS1_47radix_sort_onesweep_sort_config_static_selectorELNS0_4arch9wavefront6targetE1EEEvSK_.kd
    .uniform_work_group_size: 1
    .uses_dynamic_stack: false
    .vgpr_count:     0
    .vgpr_spill_count: 0
    .wavefront_size: 64
  - .agpr_count:     0
    .args:
      - .offset:         0
        .size:           88
        .value_kind:     by_value
    .group_segment_fixed_size: 0
    .kernarg_segment_align: 8
    .kernarg_segment_size: 88
    .language:       OpenCL C
    .language_version:
      - 2
      - 0
    .max_flat_workgroup_size: 1024
    .name:           _ZN7rocprim17ROCPRIM_400000_NS6detail17trampoline_kernelINS0_14default_configENS1_35radix_sort_onesweep_config_selectorIxNS0_10empty_typeEEEZZNS1_29radix_sort_onesweep_iterationIS3_Lb0EN6thrust23THRUST_200600_302600_NS6detail15normal_iteratorINS9_10device_ptrIxEEEESE_PS5_SF_jNS0_19identity_decomposerENS1_16block_id_wrapperIjLb0EEEEE10hipError_tT1_PNSt15iterator_traitsISK_E10value_typeET2_T3_PNSL_ISQ_E10value_typeET4_T5_PSV_SW_PNS1_23onesweep_lookback_stateEbbT6_jjT7_P12ihipStream_tbENKUlT_T0_SK_SP_E_clIPxSE_SF_SF_EEDaS13_S14_SK_SP_EUlS13_E_NS1_11comp_targetILNS1_3genE4ELNS1_11target_archE910ELNS1_3gpuE8ELNS1_3repE0EEENS1_47radix_sort_onesweep_sort_config_static_selectorELNS0_4arch9wavefront6targetE1EEEvSK_
    .private_segment_fixed_size: 0
    .sgpr_count:     6
    .sgpr_spill_count: 0
    .symbol:         _ZN7rocprim17ROCPRIM_400000_NS6detail17trampoline_kernelINS0_14default_configENS1_35radix_sort_onesweep_config_selectorIxNS0_10empty_typeEEEZZNS1_29radix_sort_onesweep_iterationIS3_Lb0EN6thrust23THRUST_200600_302600_NS6detail15normal_iteratorINS9_10device_ptrIxEEEESE_PS5_SF_jNS0_19identity_decomposerENS1_16block_id_wrapperIjLb0EEEEE10hipError_tT1_PNSt15iterator_traitsISK_E10value_typeET2_T3_PNSL_ISQ_E10value_typeET4_T5_PSV_SW_PNS1_23onesweep_lookback_stateEbbT6_jjT7_P12ihipStream_tbENKUlT_T0_SK_SP_E_clIPxSE_SF_SF_EEDaS13_S14_SK_SP_EUlS13_E_NS1_11comp_targetILNS1_3genE4ELNS1_11target_archE910ELNS1_3gpuE8ELNS1_3repE0EEENS1_47radix_sort_onesweep_sort_config_static_selectorELNS0_4arch9wavefront6targetE1EEEvSK_.kd
    .uniform_work_group_size: 1
    .uses_dynamic_stack: false
    .vgpr_count:     0
    .vgpr_spill_count: 0
    .wavefront_size: 64
  - .agpr_count:     0
    .args:
      - .offset:         0
        .size:           88
        .value_kind:     by_value
    .group_segment_fixed_size: 0
    .kernarg_segment_align: 8
    .kernarg_segment_size: 88
    .language:       OpenCL C
    .language_version:
      - 2
      - 0
    .max_flat_workgroup_size: 512
    .name:           _ZN7rocprim17ROCPRIM_400000_NS6detail17trampoline_kernelINS0_14default_configENS1_35radix_sort_onesweep_config_selectorIxNS0_10empty_typeEEEZZNS1_29radix_sort_onesweep_iterationIS3_Lb0EN6thrust23THRUST_200600_302600_NS6detail15normal_iteratorINS9_10device_ptrIxEEEESE_PS5_SF_jNS0_19identity_decomposerENS1_16block_id_wrapperIjLb0EEEEE10hipError_tT1_PNSt15iterator_traitsISK_E10value_typeET2_T3_PNSL_ISQ_E10value_typeET4_T5_PSV_SW_PNS1_23onesweep_lookback_stateEbbT6_jjT7_P12ihipStream_tbENKUlT_T0_SK_SP_E_clIPxSE_SF_SF_EEDaS13_S14_SK_SP_EUlS13_E_NS1_11comp_targetILNS1_3genE3ELNS1_11target_archE908ELNS1_3gpuE7ELNS1_3repE0EEENS1_47radix_sort_onesweep_sort_config_static_selectorELNS0_4arch9wavefront6targetE1EEEvSK_
    .private_segment_fixed_size: 0
    .sgpr_count:     6
    .sgpr_spill_count: 0
    .symbol:         _ZN7rocprim17ROCPRIM_400000_NS6detail17trampoline_kernelINS0_14default_configENS1_35radix_sort_onesweep_config_selectorIxNS0_10empty_typeEEEZZNS1_29radix_sort_onesweep_iterationIS3_Lb0EN6thrust23THRUST_200600_302600_NS6detail15normal_iteratorINS9_10device_ptrIxEEEESE_PS5_SF_jNS0_19identity_decomposerENS1_16block_id_wrapperIjLb0EEEEE10hipError_tT1_PNSt15iterator_traitsISK_E10value_typeET2_T3_PNSL_ISQ_E10value_typeET4_T5_PSV_SW_PNS1_23onesweep_lookback_stateEbbT6_jjT7_P12ihipStream_tbENKUlT_T0_SK_SP_E_clIPxSE_SF_SF_EEDaS13_S14_SK_SP_EUlS13_E_NS1_11comp_targetILNS1_3genE3ELNS1_11target_archE908ELNS1_3gpuE7ELNS1_3repE0EEENS1_47radix_sort_onesweep_sort_config_static_selectorELNS0_4arch9wavefront6targetE1EEEvSK_.kd
    .uniform_work_group_size: 1
    .uses_dynamic_stack: false
    .vgpr_count:     0
    .vgpr_spill_count: 0
    .wavefront_size: 64
  - .agpr_count:     0
    .args:
      - .offset:         0
        .size:           88
        .value_kind:     by_value
    .group_segment_fixed_size: 0
    .kernarg_segment_align: 8
    .kernarg_segment_size: 88
    .language:       OpenCL C
    .language_version:
      - 2
      - 0
    .max_flat_workgroup_size: 512
    .name:           _ZN7rocprim17ROCPRIM_400000_NS6detail17trampoline_kernelINS0_14default_configENS1_35radix_sort_onesweep_config_selectorIxNS0_10empty_typeEEEZZNS1_29radix_sort_onesweep_iterationIS3_Lb0EN6thrust23THRUST_200600_302600_NS6detail15normal_iteratorINS9_10device_ptrIxEEEESE_PS5_SF_jNS0_19identity_decomposerENS1_16block_id_wrapperIjLb0EEEEE10hipError_tT1_PNSt15iterator_traitsISK_E10value_typeET2_T3_PNSL_ISQ_E10value_typeET4_T5_PSV_SW_PNS1_23onesweep_lookback_stateEbbT6_jjT7_P12ihipStream_tbENKUlT_T0_SK_SP_E_clIPxSE_SF_SF_EEDaS13_S14_SK_SP_EUlS13_E_NS1_11comp_targetILNS1_3genE10ELNS1_11target_archE1201ELNS1_3gpuE5ELNS1_3repE0EEENS1_47radix_sort_onesweep_sort_config_static_selectorELNS0_4arch9wavefront6targetE1EEEvSK_
    .private_segment_fixed_size: 0
    .sgpr_count:     6
    .sgpr_spill_count: 0
    .symbol:         _ZN7rocprim17ROCPRIM_400000_NS6detail17trampoline_kernelINS0_14default_configENS1_35radix_sort_onesweep_config_selectorIxNS0_10empty_typeEEEZZNS1_29radix_sort_onesweep_iterationIS3_Lb0EN6thrust23THRUST_200600_302600_NS6detail15normal_iteratorINS9_10device_ptrIxEEEESE_PS5_SF_jNS0_19identity_decomposerENS1_16block_id_wrapperIjLb0EEEEE10hipError_tT1_PNSt15iterator_traitsISK_E10value_typeET2_T3_PNSL_ISQ_E10value_typeET4_T5_PSV_SW_PNS1_23onesweep_lookback_stateEbbT6_jjT7_P12ihipStream_tbENKUlT_T0_SK_SP_E_clIPxSE_SF_SF_EEDaS13_S14_SK_SP_EUlS13_E_NS1_11comp_targetILNS1_3genE10ELNS1_11target_archE1201ELNS1_3gpuE5ELNS1_3repE0EEENS1_47radix_sort_onesweep_sort_config_static_selectorELNS0_4arch9wavefront6targetE1EEEvSK_.kd
    .uniform_work_group_size: 1
    .uses_dynamic_stack: false
    .vgpr_count:     0
    .vgpr_spill_count: 0
    .wavefront_size: 64
  - .agpr_count:     0
    .args:
      - .offset:         0
        .size:           88
        .value_kind:     by_value
    .group_segment_fixed_size: 0
    .kernarg_segment_align: 8
    .kernarg_segment_size: 88
    .language:       OpenCL C
    .language_version:
      - 2
      - 0
    .max_flat_workgroup_size: 1024
    .name:           _ZN7rocprim17ROCPRIM_400000_NS6detail17trampoline_kernelINS0_14default_configENS1_35radix_sort_onesweep_config_selectorIxNS0_10empty_typeEEEZZNS1_29radix_sort_onesweep_iterationIS3_Lb0EN6thrust23THRUST_200600_302600_NS6detail15normal_iteratorINS9_10device_ptrIxEEEESE_PS5_SF_jNS0_19identity_decomposerENS1_16block_id_wrapperIjLb0EEEEE10hipError_tT1_PNSt15iterator_traitsISK_E10value_typeET2_T3_PNSL_ISQ_E10value_typeET4_T5_PSV_SW_PNS1_23onesweep_lookback_stateEbbT6_jjT7_P12ihipStream_tbENKUlT_T0_SK_SP_E_clIPxSE_SF_SF_EEDaS13_S14_SK_SP_EUlS13_E_NS1_11comp_targetILNS1_3genE9ELNS1_11target_archE1100ELNS1_3gpuE3ELNS1_3repE0EEENS1_47radix_sort_onesweep_sort_config_static_selectorELNS0_4arch9wavefront6targetE1EEEvSK_
    .private_segment_fixed_size: 0
    .sgpr_count:     6
    .sgpr_spill_count: 0
    .symbol:         _ZN7rocprim17ROCPRIM_400000_NS6detail17trampoline_kernelINS0_14default_configENS1_35radix_sort_onesweep_config_selectorIxNS0_10empty_typeEEEZZNS1_29radix_sort_onesweep_iterationIS3_Lb0EN6thrust23THRUST_200600_302600_NS6detail15normal_iteratorINS9_10device_ptrIxEEEESE_PS5_SF_jNS0_19identity_decomposerENS1_16block_id_wrapperIjLb0EEEEE10hipError_tT1_PNSt15iterator_traitsISK_E10value_typeET2_T3_PNSL_ISQ_E10value_typeET4_T5_PSV_SW_PNS1_23onesweep_lookback_stateEbbT6_jjT7_P12ihipStream_tbENKUlT_T0_SK_SP_E_clIPxSE_SF_SF_EEDaS13_S14_SK_SP_EUlS13_E_NS1_11comp_targetILNS1_3genE9ELNS1_11target_archE1100ELNS1_3gpuE3ELNS1_3repE0EEENS1_47radix_sort_onesweep_sort_config_static_selectorELNS0_4arch9wavefront6targetE1EEEvSK_.kd
    .uniform_work_group_size: 1
    .uses_dynamic_stack: false
    .vgpr_count:     0
    .vgpr_spill_count: 0
    .wavefront_size: 64
  - .agpr_count:     0
    .args:
      - .offset:         0
        .size:           88
        .value_kind:     by_value
    .group_segment_fixed_size: 0
    .kernarg_segment_align: 8
    .kernarg_segment_size: 88
    .language:       OpenCL C
    .language_version:
      - 2
      - 0
    .max_flat_workgroup_size: 1024
    .name:           _ZN7rocprim17ROCPRIM_400000_NS6detail17trampoline_kernelINS0_14default_configENS1_35radix_sort_onesweep_config_selectorIxNS0_10empty_typeEEEZZNS1_29radix_sort_onesweep_iterationIS3_Lb0EN6thrust23THRUST_200600_302600_NS6detail15normal_iteratorINS9_10device_ptrIxEEEESE_PS5_SF_jNS0_19identity_decomposerENS1_16block_id_wrapperIjLb0EEEEE10hipError_tT1_PNSt15iterator_traitsISK_E10value_typeET2_T3_PNSL_ISQ_E10value_typeET4_T5_PSV_SW_PNS1_23onesweep_lookback_stateEbbT6_jjT7_P12ihipStream_tbENKUlT_T0_SK_SP_E_clIPxSE_SF_SF_EEDaS13_S14_SK_SP_EUlS13_E_NS1_11comp_targetILNS1_3genE8ELNS1_11target_archE1030ELNS1_3gpuE2ELNS1_3repE0EEENS1_47radix_sort_onesweep_sort_config_static_selectorELNS0_4arch9wavefront6targetE1EEEvSK_
    .private_segment_fixed_size: 0
    .sgpr_count:     6
    .sgpr_spill_count: 0
    .symbol:         _ZN7rocprim17ROCPRIM_400000_NS6detail17trampoline_kernelINS0_14default_configENS1_35radix_sort_onesweep_config_selectorIxNS0_10empty_typeEEEZZNS1_29radix_sort_onesweep_iterationIS3_Lb0EN6thrust23THRUST_200600_302600_NS6detail15normal_iteratorINS9_10device_ptrIxEEEESE_PS5_SF_jNS0_19identity_decomposerENS1_16block_id_wrapperIjLb0EEEEE10hipError_tT1_PNSt15iterator_traitsISK_E10value_typeET2_T3_PNSL_ISQ_E10value_typeET4_T5_PSV_SW_PNS1_23onesweep_lookback_stateEbbT6_jjT7_P12ihipStream_tbENKUlT_T0_SK_SP_E_clIPxSE_SF_SF_EEDaS13_S14_SK_SP_EUlS13_E_NS1_11comp_targetILNS1_3genE8ELNS1_11target_archE1030ELNS1_3gpuE2ELNS1_3repE0EEENS1_47radix_sort_onesweep_sort_config_static_selectorELNS0_4arch9wavefront6targetE1EEEvSK_.kd
    .uniform_work_group_size: 1
    .uses_dynamic_stack: false
    .vgpr_count:     0
    .vgpr_spill_count: 0
    .wavefront_size: 64
  - .agpr_count:     0
    .args:
      - .offset:         0
        .size:           48
        .value_kind:     by_value
    .group_segment_fixed_size: 0
    .kernarg_segment_align: 8
    .kernarg_segment_size: 48
    .language:       OpenCL C
    .language_version:
      - 2
      - 0
    .max_flat_workgroup_size: 256
    .name:           _ZN7rocprim17ROCPRIM_400000_NS6detail17trampoline_kernelINS0_13kernel_configILj256ELj4ELj4294967295EEENS1_37radix_sort_block_sort_config_selectorIiNS0_10empty_typeEEEZNS1_21radix_sort_block_sortIS4_Lb0EN6thrust23THRUST_200600_302600_NS6detail15normal_iteratorINSA_10device_ptrIiEEEESF_PS6_SG_NS0_19identity_decomposerEEE10hipError_tT1_T2_T3_T4_jRjT5_jjP12ihipStream_tbEUlT_E_NS1_11comp_targetILNS1_3genE0ELNS1_11target_archE4294967295ELNS1_3gpuE0ELNS1_3repE0EEENS1_44radix_sort_block_sort_config_static_selectorELNS0_4arch9wavefront6targetE1EEEvSJ_
    .private_segment_fixed_size: 0
    .sgpr_count:     6
    .sgpr_spill_count: 0
    .symbol:         _ZN7rocprim17ROCPRIM_400000_NS6detail17trampoline_kernelINS0_13kernel_configILj256ELj4ELj4294967295EEENS1_37radix_sort_block_sort_config_selectorIiNS0_10empty_typeEEEZNS1_21radix_sort_block_sortIS4_Lb0EN6thrust23THRUST_200600_302600_NS6detail15normal_iteratorINSA_10device_ptrIiEEEESF_PS6_SG_NS0_19identity_decomposerEEE10hipError_tT1_T2_T3_T4_jRjT5_jjP12ihipStream_tbEUlT_E_NS1_11comp_targetILNS1_3genE0ELNS1_11target_archE4294967295ELNS1_3gpuE0ELNS1_3repE0EEENS1_44radix_sort_block_sort_config_static_selectorELNS0_4arch9wavefront6targetE1EEEvSJ_.kd
    .uniform_work_group_size: 1
    .uses_dynamic_stack: false
    .vgpr_count:     0
    .vgpr_spill_count: 0
    .wavefront_size: 64
  - .agpr_count:     0
    .args:
      - .offset:         0
        .size:           48
        .value_kind:     by_value
      - .offset:         48
        .size:           4
        .value_kind:     hidden_block_count_x
      - .offset:         52
        .size:           4
        .value_kind:     hidden_block_count_y
      - .offset:         56
        .size:           4
        .value_kind:     hidden_block_count_z
      - .offset:         60
        .size:           2
        .value_kind:     hidden_group_size_x
      - .offset:         62
        .size:           2
        .value_kind:     hidden_group_size_y
      - .offset:         64
        .size:           2
        .value_kind:     hidden_group_size_z
      - .offset:         66
        .size:           2
        .value_kind:     hidden_remainder_x
      - .offset:         68
        .size:           2
        .value_kind:     hidden_remainder_y
      - .offset:         70
        .size:           2
        .value_kind:     hidden_remainder_z
      - .offset:         88
        .size:           8
        .value_kind:     hidden_global_offset_x
      - .offset:         96
        .size:           8
        .value_kind:     hidden_global_offset_y
      - .offset:         104
        .size:           8
        .value_kind:     hidden_global_offset_z
      - .offset:         112
        .size:           2
        .value_kind:     hidden_grid_dims
    .group_segment_fixed_size: 4112
    .kernarg_segment_align: 8
    .kernarg_segment_size: 304
    .language:       OpenCL C
    .language_version:
      - 2
      - 0
    .max_flat_workgroup_size: 256
    .name:           _ZN7rocprim17ROCPRIM_400000_NS6detail17trampoline_kernelINS0_13kernel_configILj256ELj4ELj4294967295EEENS1_37radix_sort_block_sort_config_selectorIiNS0_10empty_typeEEEZNS1_21radix_sort_block_sortIS4_Lb0EN6thrust23THRUST_200600_302600_NS6detail15normal_iteratorINSA_10device_ptrIiEEEESF_PS6_SG_NS0_19identity_decomposerEEE10hipError_tT1_T2_T3_T4_jRjT5_jjP12ihipStream_tbEUlT_E_NS1_11comp_targetILNS1_3genE5ELNS1_11target_archE942ELNS1_3gpuE9ELNS1_3repE0EEENS1_44radix_sort_block_sort_config_static_selectorELNS0_4arch9wavefront6targetE1EEEvSJ_
    .private_segment_fixed_size: 0
    .sgpr_count:     50
    .sgpr_spill_count: 0
    .symbol:         _ZN7rocprim17ROCPRIM_400000_NS6detail17trampoline_kernelINS0_13kernel_configILj256ELj4ELj4294967295EEENS1_37radix_sort_block_sort_config_selectorIiNS0_10empty_typeEEEZNS1_21radix_sort_block_sortIS4_Lb0EN6thrust23THRUST_200600_302600_NS6detail15normal_iteratorINSA_10device_ptrIiEEEESF_PS6_SG_NS0_19identity_decomposerEEE10hipError_tT1_T2_T3_T4_jRjT5_jjP12ihipStream_tbEUlT_E_NS1_11comp_targetILNS1_3genE5ELNS1_11target_archE942ELNS1_3gpuE9ELNS1_3repE0EEENS1_44radix_sort_block_sort_config_static_selectorELNS0_4arch9wavefront6targetE1EEEvSJ_.kd
    .uniform_work_group_size: 1
    .uses_dynamic_stack: false
    .vgpr_count:     39
    .vgpr_spill_count: 0
    .wavefront_size: 64
  - .agpr_count:     0
    .args:
      - .offset:         0
        .size:           48
        .value_kind:     by_value
    .group_segment_fixed_size: 0
    .kernarg_segment_align: 8
    .kernarg_segment_size: 48
    .language:       OpenCL C
    .language_version:
      - 2
      - 0
    .max_flat_workgroup_size: 256
    .name:           _ZN7rocprim17ROCPRIM_400000_NS6detail17trampoline_kernelINS0_13kernel_configILj256ELj4ELj4294967295EEENS1_37radix_sort_block_sort_config_selectorIiNS0_10empty_typeEEEZNS1_21radix_sort_block_sortIS4_Lb0EN6thrust23THRUST_200600_302600_NS6detail15normal_iteratorINSA_10device_ptrIiEEEESF_PS6_SG_NS0_19identity_decomposerEEE10hipError_tT1_T2_T3_T4_jRjT5_jjP12ihipStream_tbEUlT_E_NS1_11comp_targetILNS1_3genE4ELNS1_11target_archE910ELNS1_3gpuE8ELNS1_3repE0EEENS1_44radix_sort_block_sort_config_static_selectorELNS0_4arch9wavefront6targetE1EEEvSJ_
    .private_segment_fixed_size: 0
    .sgpr_count:     6
    .sgpr_spill_count: 0
    .symbol:         _ZN7rocprim17ROCPRIM_400000_NS6detail17trampoline_kernelINS0_13kernel_configILj256ELj4ELj4294967295EEENS1_37radix_sort_block_sort_config_selectorIiNS0_10empty_typeEEEZNS1_21radix_sort_block_sortIS4_Lb0EN6thrust23THRUST_200600_302600_NS6detail15normal_iteratorINSA_10device_ptrIiEEEESF_PS6_SG_NS0_19identity_decomposerEEE10hipError_tT1_T2_T3_T4_jRjT5_jjP12ihipStream_tbEUlT_E_NS1_11comp_targetILNS1_3genE4ELNS1_11target_archE910ELNS1_3gpuE8ELNS1_3repE0EEENS1_44radix_sort_block_sort_config_static_selectorELNS0_4arch9wavefront6targetE1EEEvSJ_.kd
    .uniform_work_group_size: 1
    .uses_dynamic_stack: false
    .vgpr_count:     0
    .vgpr_spill_count: 0
    .wavefront_size: 64
  - .agpr_count:     0
    .args:
      - .offset:         0
        .size:           48
        .value_kind:     by_value
    .group_segment_fixed_size: 0
    .kernarg_segment_align: 8
    .kernarg_segment_size: 48
    .language:       OpenCL C
    .language_version:
      - 2
      - 0
    .max_flat_workgroup_size: 256
    .name:           _ZN7rocprim17ROCPRIM_400000_NS6detail17trampoline_kernelINS0_13kernel_configILj256ELj4ELj4294967295EEENS1_37radix_sort_block_sort_config_selectorIiNS0_10empty_typeEEEZNS1_21radix_sort_block_sortIS4_Lb0EN6thrust23THRUST_200600_302600_NS6detail15normal_iteratorINSA_10device_ptrIiEEEESF_PS6_SG_NS0_19identity_decomposerEEE10hipError_tT1_T2_T3_T4_jRjT5_jjP12ihipStream_tbEUlT_E_NS1_11comp_targetILNS1_3genE3ELNS1_11target_archE908ELNS1_3gpuE7ELNS1_3repE0EEENS1_44radix_sort_block_sort_config_static_selectorELNS0_4arch9wavefront6targetE1EEEvSJ_
    .private_segment_fixed_size: 0
    .sgpr_count:     6
    .sgpr_spill_count: 0
    .symbol:         _ZN7rocprim17ROCPRIM_400000_NS6detail17trampoline_kernelINS0_13kernel_configILj256ELj4ELj4294967295EEENS1_37radix_sort_block_sort_config_selectorIiNS0_10empty_typeEEEZNS1_21radix_sort_block_sortIS4_Lb0EN6thrust23THRUST_200600_302600_NS6detail15normal_iteratorINSA_10device_ptrIiEEEESF_PS6_SG_NS0_19identity_decomposerEEE10hipError_tT1_T2_T3_T4_jRjT5_jjP12ihipStream_tbEUlT_E_NS1_11comp_targetILNS1_3genE3ELNS1_11target_archE908ELNS1_3gpuE7ELNS1_3repE0EEENS1_44radix_sort_block_sort_config_static_selectorELNS0_4arch9wavefront6targetE1EEEvSJ_.kd
    .uniform_work_group_size: 1
    .uses_dynamic_stack: false
    .vgpr_count:     0
    .vgpr_spill_count: 0
    .wavefront_size: 64
  - .agpr_count:     0
    .args:
      - .offset:         0
        .size:           48
        .value_kind:     by_value
    .group_segment_fixed_size: 0
    .kernarg_segment_align: 8
    .kernarg_segment_size: 48
    .language:       OpenCL C
    .language_version:
      - 2
      - 0
    .max_flat_workgroup_size: 256
    .name:           _ZN7rocprim17ROCPRIM_400000_NS6detail17trampoline_kernelINS0_13kernel_configILj256ELj4ELj4294967295EEENS1_37radix_sort_block_sort_config_selectorIiNS0_10empty_typeEEEZNS1_21radix_sort_block_sortIS4_Lb0EN6thrust23THRUST_200600_302600_NS6detail15normal_iteratorINSA_10device_ptrIiEEEESF_PS6_SG_NS0_19identity_decomposerEEE10hipError_tT1_T2_T3_T4_jRjT5_jjP12ihipStream_tbEUlT_E_NS1_11comp_targetILNS1_3genE2ELNS1_11target_archE906ELNS1_3gpuE6ELNS1_3repE0EEENS1_44radix_sort_block_sort_config_static_selectorELNS0_4arch9wavefront6targetE1EEEvSJ_
    .private_segment_fixed_size: 0
    .sgpr_count:     6
    .sgpr_spill_count: 0
    .symbol:         _ZN7rocprim17ROCPRIM_400000_NS6detail17trampoline_kernelINS0_13kernel_configILj256ELj4ELj4294967295EEENS1_37radix_sort_block_sort_config_selectorIiNS0_10empty_typeEEEZNS1_21radix_sort_block_sortIS4_Lb0EN6thrust23THRUST_200600_302600_NS6detail15normal_iteratorINSA_10device_ptrIiEEEESF_PS6_SG_NS0_19identity_decomposerEEE10hipError_tT1_T2_T3_T4_jRjT5_jjP12ihipStream_tbEUlT_E_NS1_11comp_targetILNS1_3genE2ELNS1_11target_archE906ELNS1_3gpuE6ELNS1_3repE0EEENS1_44radix_sort_block_sort_config_static_selectorELNS0_4arch9wavefront6targetE1EEEvSJ_.kd
    .uniform_work_group_size: 1
    .uses_dynamic_stack: false
    .vgpr_count:     0
    .vgpr_spill_count: 0
    .wavefront_size: 64
  - .agpr_count:     0
    .args:
      - .offset:         0
        .size:           48
        .value_kind:     by_value
    .group_segment_fixed_size: 0
    .kernarg_segment_align: 8
    .kernarg_segment_size: 48
    .language:       OpenCL C
    .language_version:
      - 2
      - 0
    .max_flat_workgroup_size: 256
    .name:           _ZN7rocprim17ROCPRIM_400000_NS6detail17trampoline_kernelINS0_13kernel_configILj256ELj4ELj4294967295EEENS1_37radix_sort_block_sort_config_selectorIiNS0_10empty_typeEEEZNS1_21radix_sort_block_sortIS4_Lb0EN6thrust23THRUST_200600_302600_NS6detail15normal_iteratorINSA_10device_ptrIiEEEESF_PS6_SG_NS0_19identity_decomposerEEE10hipError_tT1_T2_T3_T4_jRjT5_jjP12ihipStream_tbEUlT_E_NS1_11comp_targetILNS1_3genE10ELNS1_11target_archE1201ELNS1_3gpuE5ELNS1_3repE0EEENS1_44radix_sort_block_sort_config_static_selectorELNS0_4arch9wavefront6targetE1EEEvSJ_
    .private_segment_fixed_size: 0
    .sgpr_count:     6
    .sgpr_spill_count: 0
    .symbol:         _ZN7rocprim17ROCPRIM_400000_NS6detail17trampoline_kernelINS0_13kernel_configILj256ELj4ELj4294967295EEENS1_37radix_sort_block_sort_config_selectorIiNS0_10empty_typeEEEZNS1_21radix_sort_block_sortIS4_Lb0EN6thrust23THRUST_200600_302600_NS6detail15normal_iteratorINSA_10device_ptrIiEEEESF_PS6_SG_NS0_19identity_decomposerEEE10hipError_tT1_T2_T3_T4_jRjT5_jjP12ihipStream_tbEUlT_E_NS1_11comp_targetILNS1_3genE10ELNS1_11target_archE1201ELNS1_3gpuE5ELNS1_3repE0EEENS1_44radix_sort_block_sort_config_static_selectorELNS0_4arch9wavefront6targetE1EEEvSJ_.kd
    .uniform_work_group_size: 1
    .uses_dynamic_stack: false
    .vgpr_count:     0
    .vgpr_spill_count: 0
    .wavefront_size: 64
  - .agpr_count:     0
    .args:
      - .offset:         0
        .size:           48
        .value_kind:     by_value
    .group_segment_fixed_size: 0
    .kernarg_segment_align: 8
    .kernarg_segment_size: 48
    .language:       OpenCL C
    .language_version:
      - 2
      - 0
    .max_flat_workgroup_size: 256
    .name:           _ZN7rocprim17ROCPRIM_400000_NS6detail17trampoline_kernelINS0_13kernel_configILj256ELj4ELj4294967295EEENS1_37radix_sort_block_sort_config_selectorIiNS0_10empty_typeEEEZNS1_21radix_sort_block_sortIS4_Lb0EN6thrust23THRUST_200600_302600_NS6detail15normal_iteratorINSA_10device_ptrIiEEEESF_PS6_SG_NS0_19identity_decomposerEEE10hipError_tT1_T2_T3_T4_jRjT5_jjP12ihipStream_tbEUlT_E_NS1_11comp_targetILNS1_3genE10ELNS1_11target_archE1200ELNS1_3gpuE4ELNS1_3repE0EEENS1_44radix_sort_block_sort_config_static_selectorELNS0_4arch9wavefront6targetE1EEEvSJ_
    .private_segment_fixed_size: 0
    .sgpr_count:     6
    .sgpr_spill_count: 0
    .symbol:         _ZN7rocprim17ROCPRIM_400000_NS6detail17trampoline_kernelINS0_13kernel_configILj256ELj4ELj4294967295EEENS1_37radix_sort_block_sort_config_selectorIiNS0_10empty_typeEEEZNS1_21radix_sort_block_sortIS4_Lb0EN6thrust23THRUST_200600_302600_NS6detail15normal_iteratorINSA_10device_ptrIiEEEESF_PS6_SG_NS0_19identity_decomposerEEE10hipError_tT1_T2_T3_T4_jRjT5_jjP12ihipStream_tbEUlT_E_NS1_11comp_targetILNS1_3genE10ELNS1_11target_archE1200ELNS1_3gpuE4ELNS1_3repE0EEENS1_44radix_sort_block_sort_config_static_selectorELNS0_4arch9wavefront6targetE1EEEvSJ_.kd
    .uniform_work_group_size: 1
    .uses_dynamic_stack: false
    .vgpr_count:     0
    .vgpr_spill_count: 0
    .wavefront_size: 64
  - .agpr_count:     0
    .args:
      - .offset:         0
        .size:           48
        .value_kind:     by_value
    .group_segment_fixed_size: 0
    .kernarg_segment_align: 8
    .kernarg_segment_size: 48
    .language:       OpenCL C
    .language_version:
      - 2
      - 0
    .max_flat_workgroup_size: 256
    .name:           _ZN7rocprim17ROCPRIM_400000_NS6detail17trampoline_kernelINS0_13kernel_configILj256ELj4ELj4294967295EEENS1_37radix_sort_block_sort_config_selectorIiNS0_10empty_typeEEEZNS1_21radix_sort_block_sortIS4_Lb0EN6thrust23THRUST_200600_302600_NS6detail15normal_iteratorINSA_10device_ptrIiEEEESF_PS6_SG_NS0_19identity_decomposerEEE10hipError_tT1_T2_T3_T4_jRjT5_jjP12ihipStream_tbEUlT_E_NS1_11comp_targetILNS1_3genE9ELNS1_11target_archE1100ELNS1_3gpuE3ELNS1_3repE0EEENS1_44radix_sort_block_sort_config_static_selectorELNS0_4arch9wavefront6targetE1EEEvSJ_
    .private_segment_fixed_size: 0
    .sgpr_count:     6
    .sgpr_spill_count: 0
    .symbol:         _ZN7rocprim17ROCPRIM_400000_NS6detail17trampoline_kernelINS0_13kernel_configILj256ELj4ELj4294967295EEENS1_37radix_sort_block_sort_config_selectorIiNS0_10empty_typeEEEZNS1_21radix_sort_block_sortIS4_Lb0EN6thrust23THRUST_200600_302600_NS6detail15normal_iteratorINSA_10device_ptrIiEEEESF_PS6_SG_NS0_19identity_decomposerEEE10hipError_tT1_T2_T3_T4_jRjT5_jjP12ihipStream_tbEUlT_E_NS1_11comp_targetILNS1_3genE9ELNS1_11target_archE1100ELNS1_3gpuE3ELNS1_3repE0EEENS1_44radix_sort_block_sort_config_static_selectorELNS0_4arch9wavefront6targetE1EEEvSJ_.kd
    .uniform_work_group_size: 1
    .uses_dynamic_stack: false
    .vgpr_count:     0
    .vgpr_spill_count: 0
    .wavefront_size: 64
  - .agpr_count:     0
    .args:
      - .offset:         0
        .size:           48
        .value_kind:     by_value
    .group_segment_fixed_size: 0
    .kernarg_segment_align: 8
    .kernarg_segment_size: 48
    .language:       OpenCL C
    .language_version:
      - 2
      - 0
    .max_flat_workgroup_size: 256
    .name:           _ZN7rocprim17ROCPRIM_400000_NS6detail17trampoline_kernelINS0_13kernel_configILj256ELj4ELj4294967295EEENS1_37radix_sort_block_sort_config_selectorIiNS0_10empty_typeEEEZNS1_21radix_sort_block_sortIS4_Lb0EN6thrust23THRUST_200600_302600_NS6detail15normal_iteratorINSA_10device_ptrIiEEEESF_PS6_SG_NS0_19identity_decomposerEEE10hipError_tT1_T2_T3_T4_jRjT5_jjP12ihipStream_tbEUlT_E_NS1_11comp_targetILNS1_3genE8ELNS1_11target_archE1030ELNS1_3gpuE2ELNS1_3repE0EEENS1_44radix_sort_block_sort_config_static_selectorELNS0_4arch9wavefront6targetE1EEEvSJ_
    .private_segment_fixed_size: 0
    .sgpr_count:     6
    .sgpr_spill_count: 0
    .symbol:         _ZN7rocprim17ROCPRIM_400000_NS6detail17trampoline_kernelINS0_13kernel_configILj256ELj4ELj4294967295EEENS1_37radix_sort_block_sort_config_selectorIiNS0_10empty_typeEEEZNS1_21radix_sort_block_sortIS4_Lb0EN6thrust23THRUST_200600_302600_NS6detail15normal_iteratorINSA_10device_ptrIiEEEESF_PS6_SG_NS0_19identity_decomposerEEE10hipError_tT1_T2_T3_T4_jRjT5_jjP12ihipStream_tbEUlT_E_NS1_11comp_targetILNS1_3genE8ELNS1_11target_archE1030ELNS1_3gpuE2ELNS1_3repE0EEENS1_44radix_sort_block_sort_config_static_selectorELNS0_4arch9wavefront6targetE1EEEvSJ_.kd
    .uniform_work_group_size: 1
    .uses_dynamic_stack: false
    .vgpr_count:     0
    .vgpr_spill_count: 0
    .wavefront_size: 64
  - .agpr_count:     0
    .args:           []
    .group_segment_fixed_size: 0
    .kernarg_segment_align: 4
    .kernarg_segment_size: 0
    .language:       OpenCL C
    .language_version:
      - 2
      - 0
    .max_flat_workgroup_size: 1024
    .name:           _ZN7rocprim17ROCPRIM_400000_NS6detail44device_merge_sort_compile_time_verifier_archINS1_11comp_targetILNS1_3genE0ELNS1_11target_archE4294967295ELNS1_3gpuE0ELNS1_3repE0EEES8_NS1_28merge_sort_block_sort_configILj256ELj4ELNS0_20block_sort_algorithmE0EEENS0_14default_configENS1_37merge_sort_block_sort_config_selectorIiNS0_10empty_typeEEENS1_38merge_sort_block_merge_config_selectorIiSE_EEEEvv
    .private_segment_fixed_size: 0
    .sgpr_count:     6
    .sgpr_spill_count: 0
    .symbol:         _ZN7rocprim17ROCPRIM_400000_NS6detail44device_merge_sort_compile_time_verifier_archINS1_11comp_targetILNS1_3genE0ELNS1_11target_archE4294967295ELNS1_3gpuE0ELNS1_3repE0EEES8_NS1_28merge_sort_block_sort_configILj256ELj4ELNS0_20block_sort_algorithmE0EEENS0_14default_configENS1_37merge_sort_block_sort_config_selectorIiNS0_10empty_typeEEENS1_38merge_sort_block_merge_config_selectorIiSE_EEEEvv.kd
    .uniform_work_group_size: 1
    .uses_dynamic_stack: false
    .vgpr_count:     0
    .vgpr_spill_count: 0
    .wavefront_size: 64
  - .agpr_count:     0
    .args:           []
    .group_segment_fixed_size: 0
    .kernarg_segment_align: 4
    .kernarg_segment_size: 0
    .language:       OpenCL C
    .language_version:
      - 2
      - 0
    .max_flat_workgroup_size: 1024
    .name:           _ZN7rocprim17ROCPRIM_400000_NS6detail44device_merge_sort_compile_time_verifier_archINS1_11comp_targetILNS1_3genE5ELNS1_11target_archE942ELNS1_3gpuE9ELNS1_3repE0EEES8_NS1_28merge_sort_block_sort_configILj256ELj4ELNS0_20block_sort_algorithmE0EEENS0_14default_configENS1_37merge_sort_block_sort_config_selectorIiNS0_10empty_typeEEENS1_38merge_sort_block_merge_config_selectorIiSE_EEEEvv
    .private_segment_fixed_size: 0
    .sgpr_count:     6
    .sgpr_spill_count: 0
    .symbol:         _ZN7rocprim17ROCPRIM_400000_NS6detail44device_merge_sort_compile_time_verifier_archINS1_11comp_targetILNS1_3genE5ELNS1_11target_archE942ELNS1_3gpuE9ELNS1_3repE0EEES8_NS1_28merge_sort_block_sort_configILj256ELj4ELNS0_20block_sort_algorithmE0EEENS0_14default_configENS1_37merge_sort_block_sort_config_selectorIiNS0_10empty_typeEEENS1_38merge_sort_block_merge_config_selectorIiSE_EEEEvv.kd
    .uniform_work_group_size: 1
    .uses_dynamic_stack: false
    .vgpr_count:     0
    .vgpr_spill_count: 0
    .wavefront_size: 64
  - .agpr_count:     0
    .args:           []
    .group_segment_fixed_size: 0
    .kernarg_segment_align: 4
    .kernarg_segment_size: 0
    .language:       OpenCL C
    .language_version:
      - 2
      - 0
    .max_flat_workgroup_size: 1024
    .name:           _ZN7rocprim17ROCPRIM_400000_NS6detail44device_merge_sort_compile_time_verifier_archINS1_11comp_targetILNS1_3genE4ELNS1_11target_archE910ELNS1_3gpuE8ELNS1_3repE0EEES8_NS1_28merge_sort_block_sort_configILj256ELj4ELNS0_20block_sort_algorithmE0EEENS0_14default_configENS1_37merge_sort_block_sort_config_selectorIiNS0_10empty_typeEEENS1_38merge_sort_block_merge_config_selectorIiSE_EEEEvv
    .private_segment_fixed_size: 0
    .sgpr_count:     6
    .sgpr_spill_count: 0
    .symbol:         _ZN7rocprim17ROCPRIM_400000_NS6detail44device_merge_sort_compile_time_verifier_archINS1_11comp_targetILNS1_3genE4ELNS1_11target_archE910ELNS1_3gpuE8ELNS1_3repE0EEES8_NS1_28merge_sort_block_sort_configILj256ELj4ELNS0_20block_sort_algorithmE0EEENS0_14default_configENS1_37merge_sort_block_sort_config_selectorIiNS0_10empty_typeEEENS1_38merge_sort_block_merge_config_selectorIiSE_EEEEvv.kd
    .uniform_work_group_size: 1
    .uses_dynamic_stack: false
    .vgpr_count:     0
    .vgpr_spill_count: 0
    .wavefront_size: 64
  - .agpr_count:     0
    .args:           []
    .group_segment_fixed_size: 0
    .kernarg_segment_align: 4
    .kernarg_segment_size: 0
    .language:       OpenCL C
    .language_version:
      - 2
      - 0
    .max_flat_workgroup_size: 1024
    .name:           _ZN7rocprim17ROCPRIM_400000_NS6detail44device_merge_sort_compile_time_verifier_archINS1_11comp_targetILNS1_3genE3ELNS1_11target_archE908ELNS1_3gpuE7ELNS1_3repE0EEES8_NS1_28merge_sort_block_sort_configILj256ELj4ELNS0_20block_sort_algorithmE0EEENS0_14default_configENS1_37merge_sort_block_sort_config_selectorIiNS0_10empty_typeEEENS1_38merge_sort_block_merge_config_selectorIiSE_EEEEvv
    .private_segment_fixed_size: 0
    .sgpr_count:     6
    .sgpr_spill_count: 0
    .symbol:         _ZN7rocprim17ROCPRIM_400000_NS6detail44device_merge_sort_compile_time_verifier_archINS1_11comp_targetILNS1_3genE3ELNS1_11target_archE908ELNS1_3gpuE7ELNS1_3repE0EEES8_NS1_28merge_sort_block_sort_configILj256ELj4ELNS0_20block_sort_algorithmE0EEENS0_14default_configENS1_37merge_sort_block_sort_config_selectorIiNS0_10empty_typeEEENS1_38merge_sort_block_merge_config_selectorIiSE_EEEEvv.kd
    .uniform_work_group_size: 1
    .uses_dynamic_stack: false
    .vgpr_count:     0
    .vgpr_spill_count: 0
    .wavefront_size: 64
  - .agpr_count:     0
    .args:           []
    .group_segment_fixed_size: 0
    .kernarg_segment_align: 4
    .kernarg_segment_size: 0
    .language:       OpenCL C
    .language_version:
      - 2
      - 0
    .max_flat_workgroup_size: 1024
    .name:           _ZN7rocprim17ROCPRIM_400000_NS6detail44device_merge_sort_compile_time_verifier_archINS1_11comp_targetILNS1_3genE2ELNS1_11target_archE906ELNS1_3gpuE6ELNS1_3repE0EEES8_NS1_28merge_sort_block_sort_configILj256ELj4ELNS0_20block_sort_algorithmE0EEENS0_14default_configENS1_37merge_sort_block_sort_config_selectorIiNS0_10empty_typeEEENS1_38merge_sort_block_merge_config_selectorIiSE_EEEEvv
    .private_segment_fixed_size: 0
    .sgpr_count:     6
    .sgpr_spill_count: 0
    .symbol:         _ZN7rocprim17ROCPRIM_400000_NS6detail44device_merge_sort_compile_time_verifier_archINS1_11comp_targetILNS1_3genE2ELNS1_11target_archE906ELNS1_3gpuE6ELNS1_3repE0EEES8_NS1_28merge_sort_block_sort_configILj256ELj4ELNS0_20block_sort_algorithmE0EEENS0_14default_configENS1_37merge_sort_block_sort_config_selectorIiNS0_10empty_typeEEENS1_38merge_sort_block_merge_config_selectorIiSE_EEEEvv.kd
    .uniform_work_group_size: 1
    .uses_dynamic_stack: false
    .vgpr_count:     0
    .vgpr_spill_count: 0
    .wavefront_size: 64
  - .agpr_count:     0
    .args:           []
    .group_segment_fixed_size: 0
    .kernarg_segment_align: 4
    .kernarg_segment_size: 0
    .language:       OpenCL C
    .language_version:
      - 2
      - 0
    .max_flat_workgroup_size: 1024
    .name:           _ZN7rocprim17ROCPRIM_400000_NS6detail44device_merge_sort_compile_time_verifier_archINS1_11comp_targetILNS1_3genE10ELNS1_11target_archE1201ELNS1_3gpuE5ELNS1_3repE0EEES8_NS1_28merge_sort_block_sort_configILj256ELj4ELNS0_20block_sort_algorithmE0EEENS0_14default_configENS1_37merge_sort_block_sort_config_selectorIiNS0_10empty_typeEEENS1_38merge_sort_block_merge_config_selectorIiSE_EEEEvv
    .private_segment_fixed_size: 0
    .sgpr_count:     6
    .sgpr_spill_count: 0
    .symbol:         _ZN7rocprim17ROCPRIM_400000_NS6detail44device_merge_sort_compile_time_verifier_archINS1_11comp_targetILNS1_3genE10ELNS1_11target_archE1201ELNS1_3gpuE5ELNS1_3repE0EEES8_NS1_28merge_sort_block_sort_configILj256ELj4ELNS0_20block_sort_algorithmE0EEENS0_14default_configENS1_37merge_sort_block_sort_config_selectorIiNS0_10empty_typeEEENS1_38merge_sort_block_merge_config_selectorIiSE_EEEEvv.kd
    .uniform_work_group_size: 1
    .uses_dynamic_stack: false
    .vgpr_count:     0
    .vgpr_spill_count: 0
    .wavefront_size: 64
  - .agpr_count:     0
    .args:           []
    .group_segment_fixed_size: 0
    .kernarg_segment_align: 4
    .kernarg_segment_size: 0
    .language:       OpenCL C
    .language_version:
      - 2
      - 0
    .max_flat_workgroup_size: 1024
    .name:           _ZN7rocprim17ROCPRIM_400000_NS6detail44device_merge_sort_compile_time_verifier_archINS1_11comp_targetILNS1_3genE10ELNS1_11target_archE1200ELNS1_3gpuE4ELNS1_3repE0EEENS3_ILS4_10ELS5_1201ELS6_5ELS7_0EEENS1_28merge_sort_block_sort_configILj256ELj4ELNS0_20block_sort_algorithmE0EEENS0_14default_configENS1_37merge_sort_block_sort_config_selectorIiNS0_10empty_typeEEENS1_38merge_sort_block_merge_config_selectorIiSF_EEEEvv
    .private_segment_fixed_size: 0
    .sgpr_count:     6
    .sgpr_spill_count: 0
    .symbol:         _ZN7rocprim17ROCPRIM_400000_NS6detail44device_merge_sort_compile_time_verifier_archINS1_11comp_targetILNS1_3genE10ELNS1_11target_archE1200ELNS1_3gpuE4ELNS1_3repE0EEENS3_ILS4_10ELS5_1201ELS6_5ELS7_0EEENS1_28merge_sort_block_sort_configILj256ELj4ELNS0_20block_sort_algorithmE0EEENS0_14default_configENS1_37merge_sort_block_sort_config_selectorIiNS0_10empty_typeEEENS1_38merge_sort_block_merge_config_selectorIiSF_EEEEvv.kd
    .uniform_work_group_size: 1
    .uses_dynamic_stack: false
    .vgpr_count:     0
    .vgpr_spill_count: 0
    .wavefront_size: 64
  - .agpr_count:     0
    .args:           []
    .group_segment_fixed_size: 0
    .kernarg_segment_align: 4
    .kernarg_segment_size: 0
    .language:       OpenCL C
    .language_version:
      - 2
      - 0
    .max_flat_workgroup_size: 1024
    .name:           _ZN7rocprim17ROCPRIM_400000_NS6detail44device_merge_sort_compile_time_verifier_archINS1_11comp_targetILNS1_3genE9ELNS1_11target_archE1100ELNS1_3gpuE3ELNS1_3repE0EEES8_NS1_28merge_sort_block_sort_configILj256ELj4ELNS0_20block_sort_algorithmE0EEENS0_14default_configENS1_37merge_sort_block_sort_config_selectorIiNS0_10empty_typeEEENS1_38merge_sort_block_merge_config_selectorIiSE_EEEEvv
    .private_segment_fixed_size: 0
    .sgpr_count:     6
    .sgpr_spill_count: 0
    .symbol:         _ZN7rocprim17ROCPRIM_400000_NS6detail44device_merge_sort_compile_time_verifier_archINS1_11comp_targetILNS1_3genE9ELNS1_11target_archE1100ELNS1_3gpuE3ELNS1_3repE0EEES8_NS1_28merge_sort_block_sort_configILj256ELj4ELNS0_20block_sort_algorithmE0EEENS0_14default_configENS1_37merge_sort_block_sort_config_selectorIiNS0_10empty_typeEEENS1_38merge_sort_block_merge_config_selectorIiSE_EEEEvv.kd
    .uniform_work_group_size: 1
    .uses_dynamic_stack: false
    .vgpr_count:     0
    .vgpr_spill_count: 0
    .wavefront_size: 64
  - .agpr_count:     0
    .args:           []
    .group_segment_fixed_size: 0
    .kernarg_segment_align: 4
    .kernarg_segment_size: 0
    .language:       OpenCL C
    .language_version:
      - 2
      - 0
    .max_flat_workgroup_size: 1024
    .name:           _ZN7rocprim17ROCPRIM_400000_NS6detail44device_merge_sort_compile_time_verifier_archINS1_11comp_targetILNS1_3genE8ELNS1_11target_archE1030ELNS1_3gpuE2ELNS1_3repE0EEES8_NS1_28merge_sort_block_sort_configILj256ELj4ELNS0_20block_sort_algorithmE0EEENS0_14default_configENS1_37merge_sort_block_sort_config_selectorIiNS0_10empty_typeEEENS1_38merge_sort_block_merge_config_selectorIiSE_EEEEvv
    .private_segment_fixed_size: 0
    .sgpr_count:     6
    .sgpr_spill_count: 0
    .symbol:         _ZN7rocprim17ROCPRIM_400000_NS6detail44device_merge_sort_compile_time_verifier_archINS1_11comp_targetILNS1_3genE8ELNS1_11target_archE1030ELNS1_3gpuE2ELNS1_3repE0EEES8_NS1_28merge_sort_block_sort_configILj256ELj4ELNS0_20block_sort_algorithmE0EEENS0_14default_configENS1_37merge_sort_block_sort_config_selectorIiNS0_10empty_typeEEENS1_38merge_sort_block_merge_config_selectorIiSE_EEEEvv.kd
    .uniform_work_group_size: 1
    .uses_dynamic_stack: false
    .vgpr_count:     0
    .vgpr_spill_count: 0
    .wavefront_size: 64
  - .agpr_count:     0
    .args:
      - .offset:         0
        .size:           40
        .value_kind:     by_value
    .group_segment_fixed_size: 0
    .kernarg_segment_align: 8
    .kernarg_segment_size: 40
    .language:       OpenCL C
    .language_version:
      - 2
      - 0
    .max_flat_workgroup_size: 128
    .name:           _ZN7rocprim17ROCPRIM_400000_NS6detail17trampoline_kernelINS0_14default_configENS1_38merge_sort_block_merge_config_selectorIiNS0_10empty_typeEEEZZNS1_27merge_sort_block_merge_implIS3_N6thrust23THRUST_200600_302600_NS6detail15normal_iteratorINS9_10device_ptrIiEEEEPS5_jNS1_19radix_merge_compareILb0ELb0EiNS0_19identity_decomposerEEEEE10hipError_tT0_T1_T2_jT3_P12ihipStream_tbPNSt15iterator_traitsISK_E10value_typeEPNSQ_ISL_E10value_typeEPSM_NS1_7vsmem_tEENKUlT_SK_SL_SM_E_clIPiSE_SF_SF_EESJ_SZ_SK_SL_SM_EUlSZ_E_NS1_11comp_targetILNS1_3genE0ELNS1_11target_archE4294967295ELNS1_3gpuE0ELNS1_3repE0EEENS1_48merge_mergepath_partition_config_static_selectorELNS0_4arch9wavefront6targetE1EEEvSL_
    .private_segment_fixed_size: 0
    .sgpr_count:     6
    .sgpr_spill_count: 0
    .symbol:         _ZN7rocprim17ROCPRIM_400000_NS6detail17trampoline_kernelINS0_14default_configENS1_38merge_sort_block_merge_config_selectorIiNS0_10empty_typeEEEZZNS1_27merge_sort_block_merge_implIS3_N6thrust23THRUST_200600_302600_NS6detail15normal_iteratorINS9_10device_ptrIiEEEEPS5_jNS1_19radix_merge_compareILb0ELb0EiNS0_19identity_decomposerEEEEE10hipError_tT0_T1_T2_jT3_P12ihipStream_tbPNSt15iterator_traitsISK_E10value_typeEPNSQ_ISL_E10value_typeEPSM_NS1_7vsmem_tEENKUlT_SK_SL_SM_E_clIPiSE_SF_SF_EESJ_SZ_SK_SL_SM_EUlSZ_E_NS1_11comp_targetILNS1_3genE0ELNS1_11target_archE4294967295ELNS1_3gpuE0ELNS1_3repE0EEENS1_48merge_mergepath_partition_config_static_selectorELNS0_4arch9wavefront6targetE1EEEvSL_.kd
    .uniform_work_group_size: 1
    .uses_dynamic_stack: false
    .vgpr_count:     0
    .vgpr_spill_count: 0
    .wavefront_size: 64
  - .agpr_count:     0
    .args:
      - .offset:         0
        .size:           40
        .value_kind:     by_value
    .group_segment_fixed_size: 0
    .kernarg_segment_align: 8
    .kernarg_segment_size: 40
    .language:       OpenCL C
    .language_version:
      - 2
      - 0
    .max_flat_workgroup_size: 128
    .name:           _ZN7rocprim17ROCPRIM_400000_NS6detail17trampoline_kernelINS0_14default_configENS1_38merge_sort_block_merge_config_selectorIiNS0_10empty_typeEEEZZNS1_27merge_sort_block_merge_implIS3_N6thrust23THRUST_200600_302600_NS6detail15normal_iteratorINS9_10device_ptrIiEEEEPS5_jNS1_19radix_merge_compareILb0ELb0EiNS0_19identity_decomposerEEEEE10hipError_tT0_T1_T2_jT3_P12ihipStream_tbPNSt15iterator_traitsISK_E10value_typeEPNSQ_ISL_E10value_typeEPSM_NS1_7vsmem_tEENKUlT_SK_SL_SM_E_clIPiSE_SF_SF_EESJ_SZ_SK_SL_SM_EUlSZ_E_NS1_11comp_targetILNS1_3genE10ELNS1_11target_archE1201ELNS1_3gpuE5ELNS1_3repE0EEENS1_48merge_mergepath_partition_config_static_selectorELNS0_4arch9wavefront6targetE1EEEvSL_
    .private_segment_fixed_size: 0
    .sgpr_count:     6
    .sgpr_spill_count: 0
    .symbol:         _ZN7rocprim17ROCPRIM_400000_NS6detail17trampoline_kernelINS0_14default_configENS1_38merge_sort_block_merge_config_selectorIiNS0_10empty_typeEEEZZNS1_27merge_sort_block_merge_implIS3_N6thrust23THRUST_200600_302600_NS6detail15normal_iteratorINS9_10device_ptrIiEEEEPS5_jNS1_19radix_merge_compareILb0ELb0EiNS0_19identity_decomposerEEEEE10hipError_tT0_T1_T2_jT3_P12ihipStream_tbPNSt15iterator_traitsISK_E10value_typeEPNSQ_ISL_E10value_typeEPSM_NS1_7vsmem_tEENKUlT_SK_SL_SM_E_clIPiSE_SF_SF_EESJ_SZ_SK_SL_SM_EUlSZ_E_NS1_11comp_targetILNS1_3genE10ELNS1_11target_archE1201ELNS1_3gpuE5ELNS1_3repE0EEENS1_48merge_mergepath_partition_config_static_selectorELNS0_4arch9wavefront6targetE1EEEvSL_.kd
    .uniform_work_group_size: 1
    .uses_dynamic_stack: false
    .vgpr_count:     0
    .vgpr_spill_count: 0
    .wavefront_size: 64
  - .agpr_count:     0
    .args:
      - .offset:         0
        .size:           40
        .value_kind:     by_value
    .group_segment_fixed_size: 0
    .kernarg_segment_align: 8
    .kernarg_segment_size: 40
    .language:       OpenCL C
    .language_version:
      - 2
      - 0
    .max_flat_workgroup_size: 128
    .name:           _ZN7rocprim17ROCPRIM_400000_NS6detail17trampoline_kernelINS0_14default_configENS1_38merge_sort_block_merge_config_selectorIiNS0_10empty_typeEEEZZNS1_27merge_sort_block_merge_implIS3_N6thrust23THRUST_200600_302600_NS6detail15normal_iteratorINS9_10device_ptrIiEEEEPS5_jNS1_19radix_merge_compareILb0ELb0EiNS0_19identity_decomposerEEEEE10hipError_tT0_T1_T2_jT3_P12ihipStream_tbPNSt15iterator_traitsISK_E10value_typeEPNSQ_ISL_E10value_typeEPSM_NS1_7vsmem_tEENKUlT_SK_SL_SM_E_clIPiSE_SF_SF_EESJ_SZ_SK_SL_SM_EUlSZ_E_NS1_11comp_targetILNS1_3genE5ELNS1_11target_archE942ELNS1_3gpuE9ELNS1_3repE0EEENS1_48merge_mergepath_partition_config_static_selectorELNS0_4arch9wavefront6targetE1EEEvSL_
    .private_segment_fixed_size: 0
    .sgpr_count:     14
    .sgpr_spill_count: 0
    .symbol:         _ZN7rocprim17ROCPRIM_400000_NS6detail17trampoline_kernelINS0_14default_configENS1_38merge_sort_block_merge_config_selectorIiNS0_10empty_typeEEEZZNS1_27merge_sort_block_merge_implIS3_N6thrust23THRUST_200600_302600_NS6detail15normal_iteratorINS9_10device_ptrIiEEEEPS5_jNS1_19radix_merge_compareILb0ELb0EiNS0_19identity_decomposerEEEEE10hipError_tT0_T1_T2_jT3_P12ihipStream_tbPNSt15iterator_traitsISK_E10value_typeEPNSQ_ISL_E10value_typeEPSM_NS1_7vsmem_tEENKUlT_SK_SL_SM_E_clIPiSE_SF_SF_EESJ_SZ_SK_SL_SM_EUlSZ_E_NS1_11comp_targetILNS1_3genE5ELNS1_11target_archE942ELNS1_3gpuE9ELNS1_3repE0EEENS1_48merge_mergepath_partition_config_static_selectorELNS0_4arch9wavefront6targetE1EEEvSL_.kd
    .uniform_work_group_size: 1
    .uses_dynamic_stack: false
    .vgpr_count:     17
    .vgpr_spill_count: 0
    .wavefront_size: 64
  - .agpr_count:     0
    .args:
      - .offset:         0
        .size:           40
        .value_kind:     by_value
    .group_segment_fixed_size: 0
    .kernarg_segment_align: 8
    .kernarg_segment_size: 40
    .language:       OpenCL C
    .language_version:
      - 2
      - 0
    .max_flat_workgroup_size: 128
    .name:           _ZN7rocprim17ROCPRIM_400000_NS6detail17trampoline_kernelINS0_14default_configENS1_38merge_sort_block_merge_config_selectorIiNS0_10empty_typeEEEZZNS1_27merge_sort_block_merge_implIS3_N6thrust23THRUST_200600_302600_NS6detail15normal_iteratorINS9_10device_ptrIiEEEEPS5_jNS1_19radix_merge_compareILb0ELb0EiNS0_19identity_decomposerEEEEE10hipError_tT0_T1_T2_jT3_P12ihipStream_tbPNSt15iterator_traitsISK_E10value_typeEPNSQ_ISL_E10value_typeEPSM_NS1_7vsmem_tEENKUlT_SK_SL_SM_E_clIPiSE_SF_SF_EESJ_SZ_SK_SL_SM_EUlSZ_E_NS1_11comp_targetILNS1_3genE4ELNS1_11target_archE910ELNS1_3gpuE8ELNS1_3repE0EEENS1_48merge_mergepath_partition_config_static_selectorELNS0_4arch9wavefront6targetE1EEEvSL_
    .private_segment_fixed_size: 0
    .sgpr_count:     6
    .sgpr_spill_count: 0
    .symbol:         _ZN7rocprim17ROCPRIM_400000_NS6detail17trampoline_kernelINS0_14default_configENS1_38merge_sort_block_merge_config_selectorIiNS0_10empty_typeEEEZZNS1_27merge_sort_block_merge_implIS3_N6thrust23THRUST_200600_302600_NS6detail15normal_iteratorINS9_10device_ptrIiEEEEPS5_jNS1_19radix_merge_compareILb0ELb0EiNS0_19identity_decomposerEEEEE10hipError_tT0_T1_T2_jT3_P12ihipStream_tbPNSt15iterator_traitsISK_E10value_typeEPNSQ_ISL_E10value_typeEPSM_NS1_7vsmem_tEENKUlT_SK_SL_SM_E_clIPiSE_SF_SF_EESJ_SZ_SK_SL_SM_EUlSZ_E_NS1_11comp_targetILNS1_3genE4ELNS1_11target_archE910ELNS1_3gpuE8ELNS1_3repE0EEENS1_48merge_mergepath_partition_config_static_selectorELNS0_4arch9wavefront6targetE1EEEvSL_.kd
    .uniform_work_group_size: 1
    .uses_dynamic_stack: false
    .vgpr_count:     0
    .vgpr_spill_count: 0
    .wavefront_size: 64
  - .agpr_count:     0
    .args:
      - .offset:         0
        .size:           40
        .value_kind:     by_value
    .group_segment_fixed_size: 0
    .kernarg_segment_align: 8
    .kernarg_segment_size: 40
    .language:       OpenCL C
    .language_version:
      - 2
      - 0
    .max_flat_workgroup_size: 128
    .name:           _ZN7rocprim17ROCPRIM_400000_NS6detail17trampoline_kernelINS0_14default_configENS1_38merge_sort_block_merge_config_selectorIiNS0_10empty_typeEEEZZNS1_27merge_sort_block_merge_implIS3_N6thrust23THRUST_200600_302600_NS6detail15normal_iteratorINS9_10device_ptrIiEEEEPS5_jNS1_19radix_merge_compareILb0ELb0EiNS0_19identity_decomposerEEEEE10hipError_tT0_T1_T2_jT3_P12ihipStream_tbPNSt15iterator_traitsISK_E10value_typeEPNSQ_ISL_E10value_typeEPSM_NS1_7vsmem_tEENKUlT_SK_SL_SM_E_clIPiSE_SF_SF_EESJ_SZ_SK_SL_SM_EUlSZ_E_NS1_11comp_targetILNS1_3genE3ELNS1_11target_archE908ELNS1_3gpuE7ELNS1_3repE0EEENS1_48merge_mergepath_partition_config_static_selectorELNS0_4arch9wavefront6targetE1EEEvSL_
    .private_segment_fixed_size: 0
    .sgpr_count:     6
    .sgpr_spill_count: 0
    .symbol:         _ZN7rocprim17ROCPRIM_400000_NS6detail17trampoline_kernelINS0_14default_configENS1_38merge_sort_block_merge_config_selectorIiNS0_10empty_typeEEEZZNS1_27merge_sort_block_merge_implIS3_N6thrust23THRUST_200600_302600_NS6detail15normal_iteratorINS9_10device_ptrIiEEEEPS5_jNS1_19radix_merge_compareILb0ELb0EiNS0_19identity_decomposerEEEEE10hipError_tT0_T1_T2_jT3_P12ihipStream_tbPNSt15iterator_traitsISK_E10value_typeEPNSQ_ISL_E10value_typeEPSM_NS1_7vsmem_tEENKUlT_SK_SL_SM_E_clIPiSE_SF_SF_EESJ_SZ_SK_SL_SM_EUlSZ_E_NS1_11comp_targetILNS1_3genE3ELNS1_11target_archE908ELNS1_3gpuE7ELNS1_3repE0EEENS1_48merge_mergepath_partition_config_static_selectorELNS0_4arch9wavefront6targetE1EEEvSL_.kd
    .uniform_work_group_size: 1
    .uses_dynamic_stack: false
    .vgpr_count:     0
    .vgpr_spill_count: 0
    .wavefront_size: 64
  - .agpr_count:     0
    .args:
      - .offset:         0
        .size:           40
        .value_kind:     by_value
    .group_segment_fixed_size: 0
    .kernarg_segment_align: 8
    .kernarg_segment_size: 40
    .language:       OpenCL C
    .language_version:
      - 2
      - 0
    .max_flat_workgroup_size: 128
    .name:           _ZN7rocprim17ROCPRIM_400000_NS6detail17trampoline_kernelINS0_14default_configENS1_38merge_sort_block_merge_config_selectorIiNS0_10empty_typeEEEZZNS1_27merge_sort_block_merge_implIS3_N6thrust23THRUST_200600_302600_NS6detail15normal_iteratorINS9_10device_ptrIiEEEEPS5_jNS1_19radix_merge_compareILb0ELb0EiNS0_19identity_decomposerEEEEE10hipError_tT0_T1_T2_jT3_P12ihipStream_tbPNSt15iterator_traitsISK_E10value_typeEPNSQ_ISL_E10value_typeEPSM_NS1_7vsmem_tEENKUlT_SK_SL_SM_E_clIPiSE_SF_SF_EESJ_SZ_SK_SL_SM_EUlSZ_E_NS1_11comp_targetILNS1_3genE2ELNS1_11target_archE906ELNS1_3gpuE6ELNS1_3repE0EEENS1_48merge_mergepath_partition_config_static_selectorELNS0_4arch9wavefront6targetE1EEEvSL_
    .private_segment_fixed_size: 0
    .sgpr_count:     6
    .sgpr_spill_count: 0
    .symbol:         _ZN7rocprim17ROCPRIM_400000_NS6detail17trampoline_kernelINS0_14default_configENS1_38merge_sort_block_merge_config_selectorIiNS0_10empty_typeEEEZZNS1_27merge_sort_block_merge_implIS3_N6thrust23THRUST_200600_302600_NS6detail15normal_iteratorINS9_10device_ptrIiEEEEPS5_jNS1_19radix_merge_compareILb0ELb0EiNS0_19identity_decomposerEEEEE10hipError_tT0_T1_T2_jT3_P12ihipStream_tbPNSt15iterator_traitsISK_E10value_typeEPNSQ_ISL_E10value_typeEPSM_NS1_7vsmem_tEENKUlT_SK_SL_SM_E_clIPiSE_SF_SF_EESJ_SZ_SK_SL_SM_EUlSZ_E_NS1_11comp_targetILNS1_3genE2ELNS1_11target_archE906ELNS1_3gpuE6ELNS1_3repE0EEENS1_48merge_mergepath_partition_config_static_selectorELNS0_4arch9wavefront6targetE1EEEvSL_.kd
    .uniform_work_group_size: 1
    .uses_dynamic_stack: false
    .vgpr_count:     0
    .vgpr_spill_count: 0
    .wavefront_size: 64
  - .agpr_count:     0
    .args:
      - .offset:         0
        .size:           40
        .value_kind:     by_value
    .group_segment_fixed_size: 0
    .kernarg_segment_align: 8
    .kernarg_segment_size: 40
    .language:       OpenCL C
    .language_version:
      - 2
      - 0
    .max_flat_workgroup_size: 128
    .name:           _ZN7rocprim17ROCPRIM_400000_NS6detail17trampoline_kernelINS0_14default_configENS1_38merge_sort_block_merge_config_selectorIiNS0_10empty_typeEEEZZNS1_27merge_sort_block_merge_implIS3_N6thrust23THRUST_200600_302600_NS6detail15normal_iteratorINS9_10device_ptrIiEEEEPS5_jNS1_19radix_merge_compareILb0ELb0EiNS0_19identity_decomposerEEEEE10hipError_tT0_T1_T2_jT3_P12ihipStream_tbPNSt15iterator_traitsISK_E10value_typeEPNSQ_ISL_E10value_typeEPSM_NS1_7vsmem_tEENKUlT_SK_SL_SM_E_clIPiSE_SF_SF_EESJ_SZ_SK_SL_SM_EUlSZ_E_NS1_11comp_targetILNS1_3genE9ELNS1_11target_archE1100ELNS1_3gpuE3ELNS1_3repE0EEENS1_48merge_mergepath_partition_config_static_selectorELNS0_4arch9wavefront6targetE1EEEvSL_
    .private_segment_fixed_size: 0
    .sgpr_count:     6
    .sgpr_spill_count: 0
    .symbol:         _ZN7rocprim17ROCPRIM_400000_NS6detail17trampoline_kernelINS0_14default_configENS1_38merge_sort_block_merge_config_selectorIiNS0_10empty_typeEEEZZNS1_27merge_sort_block_merge_implIS3_N6thrust23THRUST_200600_302600_NS6detail15normal_iteratorINS9_10device_ptrIiEEEEPS5_jNS1_19radix_merge_compareILb0ELb0EiNS0_19identity_decomposerEEEEE10hipError_tT0_T1_T2_jT3_P12ihipStream_tbPNSt15iterator_traitsISK_E10value_typeEPNSQ_ISL_E10value_typeEPSM_NS1_7vsmem_tEENKUlT_SK_SL_SM_E_clIPiSE_SF_SF_EESJ_SZ_SK_SL_SM_EUlSZ_E_NS1_11comp_targetILNS1_3genE9ELNS1_11target_archE1100ELNS1_3gpuE3ELNS1_3repE0EEENS1_48merge_mergepath_partition_config_static_selectorELNS0_4arch9wavefront6targetE1EEEvSL_.kd
    .uniform_work_group_size: 1
    .uses_dynamic_stack: false
    .vgpr_count:     0
    .vgpr_spill_count: 0
    .wavefront_size: 64
  - .agpr_count:     0
    .args:
      - .offset:         0
        .size:           40
        .value_kind:     by_value
    .group_segment_fixed_size: 0
    .kernarg_segment_align: 8
    .kernarg_segment_size: 40
    .language:       OpenCL C
    .language_version:
      - 2
      - 0
    .max_flat_workgroup_size: 128
    .name:           _ZN7rocprim17ROCPRIM_400000_NS6detail17trampoline_kernelINS0_14default_configENS1_38merge_sort_block_merge_config_selectorIiNS0_10empty_typeEEEZZNS1_27merge_sort_block_merge_implIS3_N6thrust23THRUST_200600_302600_NS6detail15normal_iteratorINS9_10device_ptrIiEEEEPS5_jNS1_19radix_merge_compareILb0ELb0EiNS0_19identity_decomposerEEEEE10hipError_tT0_T1_T2_jT3_P12ihipStream_tbPNSt15iterator_traitsISK_E10value_typeEPNSQ_ISL_E10value_typeEPSM_NS1_7vsmem_tEENKUlT_SK_SL_SM_E_clIPiSE_SF_SF_EESJ_SZ_SK_SL_SM_EUlSZ_E_NS1_11comp_targetILNS1_3genE8ELNS1_11target_archE1030ELNS1_3gpuE2ELNS1_3repE0EEENS1_48merge_mergepath_partition_config_static_selectorELNS0_4arch9wavefront6targetE1EEEvSL_
    .private_segment_fixed_size: 0
    .sgpr_count:     6
    .sgpr_spill_count: 0
    .symbol:         _ZN7rocprim17ROCPRIM_400000_NS6detail17trampoline_kernelINS0_14default_configENS1_38merge_sort_block_merge_config_selectorIiNS0_10empty_typeEEEZZNS1_27merge_sort_block_merge_implIS3_N6thrust23THRUST_200600_302600_NS6detail15normal_iteratorINS9_10device_ptrIiEEEEPS5_jNS1_19radix_merge_compareILb0ELb0EiNS0_19identity_decomposerEEEEE10hipError_tT0_T1_T2_jT3_P12ihipStream_tbPNSt15iterator_traitsISK_E10value_typeEPNSQ_ISL_E10value_typeEPSM_NS1_7vsmem_tEENKUlT_SK_SL_SM_E_clIPiSE_SF_SF_EESJ_SZ_SK_SL_SM_EUlSZ_E_NS1_11comp_targetILNS1_3genE8ELNS1_11target_archE1030ELNS1_3gpuE2ELNS1_3repE0EEENS1_48merge_mergepath_partition_config_static_selectorELNS0_4arch9wavefront6targetE1EEEvSL_.kd
    .uniform_work_group_size: 1
    .uses_dynamic_stack: false
    .vgpr_count:     0
    .vgpr_spill_count: 0
    .wavefront_size: 64
  - .agpr_count:     0
    .args:
      - .offset:         0
        .size:           64
        .value_kind:     by_value
    .group_segment_fixed_size: 0
    .kernarg_segment_align: 8
    .kernarg_segment_size: 64
    .language:       OpenCL C
    .language_version:
      - 2
      - 0
    .max_flat_workgroup_size: 128
    .name:           _ZN7rocprim17ROCPRIM_400000_NS6detail17trampoline_kernelINS0_14default_configENS1_38merge_sort_block_merge_config_selectorIiNS0_10empty_typeEEEZZNS1_27merge_sort_block_merge_implIS3_N6thrust23THRUST_200600_302600_NS6detail15normal_iteratorINS9_10device_ptrIiEEEEPS5_jNS1_19radix_merge_compareILb0ELb0EiNS0_19identity_decomposerEEEEE10hipError_tT0_T1_T2_jT3_P12ihipStream_tbPNSt15iterator_traitsISK_E10value_typeEPNSQ_ISL_E10value_typeEPSM_NS1_7vsmem_tEENKUlT_SK_SL_SM_E_clIPiSE_SF_SF_EESJ_SZ_SK_SL_SM_EUlSZ_E0_NS1_11comp_targetILNS1_3genE0ELNS1_11target_archE4294967295ELNS1_3gpuE0ELNS1_3repE0EEENS1_38merge_mergepath_config_static_selectorELNS0_4arch9wavefront6targetE1EEEvSL_
    .private_segment_fixed_size: 0
    .sgpr_count:     6
    .sgpr_spill_count: 0
    .symbol:         _ZN7rocprim17ROCPRIM_400000_NS6detail17trampoline_kernelINS0_14default_configENS1_38merge_sort_block_merge_config_selectorIiNS0_10empty_typeEEEZZNS1_27merge_sort_block_merge_implIS3_N6thrust23THRUST_200600_302600_NS6detail15normal_iteratorINS9_10device_ptrIiEEEEPS5_jNS1_19radix_merge_compareILb0ELb0EiNS0_19identity_decomposerEEEEE10hipError_tT0_T1_T2_jT3_P12ihipStream_tbPNSt15iterator_traitsISK_E10value_typeEPNSQ_ISL_E10value_typeEPSM_NS1_7vsmem_tEENKUlT_SK_SL_SM_E_clIPiSE_SF_SF_EESJ_SZ_SK_SL_SM_EUlSZ_E0_NS1_11comp_targetILNS1_3genE0ELNS1_11target_archE4294967295ELNS1_3gpuE0ELNS1_3repE0EEENS1_38merge_mergepath_config_static_selectorELNS0_4arch9wavefront6targetE1EEEvSL_.kd
    .uniform_work_group_size: 1
    .uses_dynamic_stack: false
    .vgpr_count:     0
    .vgpr_spill_count: 0
    .wavefront_size: 64
  - .agpr_count:     0
    .args:
      - .offset:         0
        .size:           64
        .value_kind:     by_value
    .group_segment_fixed_size: 0
    .kernarg_segment_align: 8
    .kernarg_segment_size: 64
    .language:       OpenCL C
    .language_version:
      - 2
      - 0
    .max_flat_workgroup_size: 256
    .name:           _ZN7rocprim17ROCPRIM_400000_NS6detail17trampoline_kernelINS0_14default_configENS1_38merge_sort_block_merge_config_selectorIiNS0_10empty_typeEEEZZNS1_27merge_sort_block_merge_implIS3_N6thrust23THRUST_200600_302600_NS6detail15normal_iteratorINS9_10device_ptrIiEEEEPS5_jNS1_19radix_merge_compareILb0ELb0EiNS0_19identity_decomposerEEEEE10hipError_tT0_T1_T2_jT3_P12ihipStream_tbPNSt15iterator_traitsISK_E10value_typeEPNSQ_ISL_E10value_typeEPSM_NS1_7vsmem_tEENKUlT_SK_SL_SM_E_clIPiSE_SF_SF_EESJ_SZ_SK_SL_SM_EUlSZ_E0_NS1_11comp_targetILNS1_3genE10ELNS1_11target_archE1201ELNS1_3gpuE5ELNS1_3repE0EEENS1_38merge_mergepath_config_static_selectorELNS0_4arch9wavefront6targetE1EEEvSL_
    .private_segment_fixed_size: 0
    .sgpr_count:     6
    .sgpr_spill_count: 0
    .symbol:         _ZN7rocprim17ROCPRIM_400000_NS6detail17trampoline_kernelINS0_14default_configENS1_38merge_sort_block_merge_config_selectorIiNS0_10empty_typeEEEZZNS1_27merge_sort_block_merge_implIS3_N6thrust23THRUST_200600_302600_NS6detail15normal_iteratorINS9_10device_ptrIiEEEEPS5_jNS1_19radix_merge_compareILb0ELb0EiNS0_19identity_decomposerEEEEE10hipError_tT0_T1_T2_jT3_P12ihipStream_tbPNSt15iterator_traitsISK_E10value_typeEPNSQ_ISL_E10value_typeEPSM_NS1_7vsmem_tEENKUlT_SK_SL_SM_E_clIPiSE_SF_SF_EESJ_SZ_SK_SL_SM_EUlSZ_E0_NS1_11comp_targetILNS1_3genE10ELNS1_11target_archE1201ELNS1_3gpuE5ELNS1_3repE0EEENS1_38merge_mergepath_config_static_selectorELNS0_4arch9wavefront6targetE1EEEvSL_.kd
    .uniform_work_group_size: 1
    .uses_dynamic_stack: false
    .vgpr_count:     0
    .vgpr_spill_count: 0
    .wavefront_size: 64
  - .agpr_count:     0
    .args:
      - .offset:         0
        .size:           64
        .value_kind:     by_value
      - .offset:         64
        .size:           4
        .value_kind:     hidden_block_count_x
      - .offset:         68
        .size:           4
        .value_kind:     hidden_block_count_y
      - .offset:         72
        .size:           4
        .value_kind:     hidden_block_count_z
      - .offset:         76
        .size:           2
        .value_kind:     hidden_group_size_x
      - .offset:         78
        .size:           2
        .value_kind:     hidden_group_size_y
      - .offset:         80
        .size:           2
        .value_kind:     hidden_group_size_z
      - .offset:         82
        .size:           2
        .value_kind:     hidden_remainder_x
      - .offset:         84
        .size:           2
        .value_kind:     hidden_remainder_y
      - .offset:         86
        .size:           2
        .value_kind:     hidden_remainder_z
      - .offset:         104
        .size:           8
        .value_kind:     hidden_global_offset_x
      - .offset:         112
        .size:           8
        .value_kind:     hidden_global_offset_y
      - .offset:         120
        .size:           8
        .value_kind:     hidden_global_offset_z
      - .offset:         128
        .size:           2
        .value_kind:     hidden_grid_dims
    .group_segment_fixed_size: 4224
    .kernarg_segment_align: 8
    .kernarg_segment_size: 320
    .language:       OpenCL C
    .language_version:
      - 2
      - 0
    .max_flat_workgroup_size: 128
    .name:           _ZN7rocprim17ROCPRIM_400000_NS6detail17trampoline_kernelINS0_14default_configENS1_38merge_sort_block_merge_config_selectorIiNS0_10empty_typeEEEZZNS1_27merge_sort_block_merge_implIS3_N6thrust23THRUST_200600_302600_NS6detail15normal_iteratorINS9_10device_ptrIiEEEEPS5_jNS1_19radix_merge_compareILb0ELb0EiNS0_19identity_decomposerEEEEE10hipError_tT0_T1_T2_jT3_P12ihipStream_tbPNSt15iterator_traitsISK_E10value_typeEPNSQ_ISL_E10value_typeEPSM_NS1_7vsmem_tEENKUlT_SK_SL_SM_E_clIPiSE_SF_SF_EESJ_SZ_SK_SL_SM_EUlSZ_E0_NS1_11comp_targetILNS1_3genE5ELNS1_11target_archE942ELNS1_3gpuE9ELNS1_3repE0EEENS1_38merge_mergepath_config_static_selectorELNS0_4arch9wavefront6targetE1EEEvSL_
    .private_segment_fixed_size: 0
    .sgpr_count:     30
    .sgpr_spill_count: 0
    .symbol:         _ZN7rocprim17ROCPRIM_400000_NS6detail17trampoline_kernelINS0_14default_configENS1_38merge_sort_block_merge_config_selectorIiNS0_10empty_typeEEEZZNS1_27merge_sort_block_merge_implIS3_N6thrust23THRUST_200600_302600_NS6detail15normal_iteratorINS9_10device_ptrIiEEEEPS5_jNS1_19radix_merge_compareILb0ELb0EiNS0_19identity_decomposerEEEEE10hipError_tT0_T1_T2_jT3_P12ihipStream_tbPNSt15iterator_traitsISK_E10value_typeEPNSQ_ISL_E10value_typeEPSM_NS1_7vsmem_tEENKUlT_SK_SL_SM_E_clIPiSE_SF_SF_EESJ_SZ_SK_SL_SM_EUlSZ_E0_NS1_11comp_targetILNS1_3genE5ELNS1_11target_archE942ELNS1_3gpuE9ELNS1_3repE0EEENS1_38merge_mergepath_config_static_selectorELNS0_4arch9wavefront6targetE1EEEvSL_.kd
    .uniform_work_group_size: 1
    .uses_dynamic_stack: false
    .vgpr_count:     26
    .vgpr_spill_count: 0
    .wavefront_size: 64
  - .agpr_count:     0
    .args:
      - .offset:         0
        .size:           64
        .value_kind:     by_value
    .group_segment_fixed_size: 0
    .kernarg_segment_align: 8
    .kernarg_segment_size: 64
    .language:       OpenCL C
    .language_version:
      - 2
      - 0
    .max_flat_workgroup_size: 128
    .name:           _ZN7rocprim17ROCPRIM_400000_NS6detail17trampoline_kernelINS0_14default_configENS1_38merge_sort_block_merge_config_selectorIiNS0_10empty_typeEEEZZNS1_27merge_sort_block_merge_implIS3_N6thrust23THRUST_200600_302600_NS6detail15normal_iteratorINS9_10device_ptrIiEEEEPS5_jNS1_19radix_merge_compareILb0ELb0EiNS0_19identity_decomposerEEEEE10hipError_tT0_T1_T2_jT3_P12ihipStream_tbPNSt15iterator_traitsISK_E10value_typeEPNSQ_ISL_E10value_typeEPSM_NS1_7vsmem_tEENKUlT_SK_SL_SM_E_clIPiSE_SF_SF_EESJ_SZ_SK_SL_SM_EUlSZ_E0_NS1_11comp_targetILNS1_3genE4ELNS1_11target_archE910ELNS1_3gpuE8ELNS1_3repE0EEENS1_38merge_mergepath_config_static_selectorELNS0_4arch9wavefront6targetE1EEEvSL_
    .private_segment_fixed_size: 0
    .sgpr_count:     6
    .sgpr_spill_count: 0
    .symbol:         _ZN7rocprim17ROCPRIM_400000_NS6detail17trampoline_kernelINS0_14default_configENS1_38merge_sort_block_merge_config_selectorIiNS0_10empty_typeEEEZZNS1_27merge_sort_block_merge_implIS3_N6thrust23THRUST_200600_302600_NS6detail15normal_iteratorINS9_10device_ptrIiEEEEPS5_jNS1_19radix_merge_compareILb0ELb0EiNS0_19identity_decomposerEEEEE10hipError_tT0_T1_T2_jT3_P12ihipStream_tbPNSt15iterator_traitsISK_E10value_typeEPNSQ_ISL_E10value_typeEPSM_NS1_7vsmem_tEENKUlT_SK_SL_SM_E_clIPiSE_SF_SF_EESJ_SZ_SK_SL_SM_EUlSZ_E0_NS1_11comp_targetILNS1_3genE4ELNS1_11target_archE910ELNS1_3gpuE8ELNS1_3repE0EEENS1_38merge_mergepath_config_static_selectorELNS0_4arch9wavefront6targetE1EEEvSL_.kd
    .uniform_work_group_size: 1
    .uses_dynamic_stack: false
    .vgpr_count:     0
    .vgpr_spill_count: 0
    .wavefront_size: 64
  - .agpr_count:     0
    .args:
      - .offset:         0
        .size:           64
        .value_kind:     by_value
    .group_segment_fixed_size: 0
    .kernarg_segment_align: 8
    .kernarg_segment_size: 64
    .language:       OpenCL C
    .language_version:
      - 2
      - 0
    .max_flat_workgroup_size: 128
    .name:           _ZN7rocprim17ROCPRIM_400000_NS6detail17trampoline_kernelINS0_14default_configENS1_38merge_sort_block_merge_config_selectorIiNS0_10empty_typeEEEZZNS1_27merge_sort_block_merge_implIS3_N6thrust23THRUST_200600_302600_NS6detail15normal_iteratorINS9_10device_ptrIiEEEEPS5_jNS1_19radix_merge_compareILb0ELb0EiNS0_19identity_decomposerEEEEE10hipError_tT0_T1_T2_jT3_P12ihipStream_tbPNSt15iterator_traitsISK_E10value_typeEPNSQ_ISL_E10value_typeEPSM_NS1_7vsmem_tEENKUlT_SK_SL_SM_E_clIPiSE_SF_SF_EESJ_SZ_SK_SL_SM_EUlSZ_E0_NS1_11comp_targetILNS1_3genE3ELNS1_11target_archE908ELNS1_3gpuE7ELNS1_3repE0EEENS1_38merge_mergepath_config_static_selectorELNS0_4arch9wavefront6targetE1EEEvSL_
    .private_segment_fixed_size: 0
    .sgpr_count:     6
    .sgpr_spill_count: 0
    .symbol:         _ZN7rocprim17ROCPRIM_400000_NS6detail17trampoline_kernelINS0_14default_configENS1_38merge_sort_block_merge_config_selectorIiNS0_10empty_typeEEEZZNS1_27merge_sort_block_merge_implIS3_N6thrust23THRUST_200600_302600_NS6detail15normal_iteratorINS9_10device_ptrIiEEEEPS5_jNS1_19radix_merge_compareILb0ELb0EiNS0_19identity_decomposerEEEEE10hipError_tT0_T1_T2_jT3_P12ihipStream_tbPNSt15iterator_traitsISK_E10value_typeEPNSQ_ISL_E10value_typeEPSM_NS1_7vsmem_tEENKUlT_SK_SL_SM_E_clIPiSE_SF_SF_EESJ_SZ_SK_SL_SM_EUlSZ_E0_NS1_11comp_targetILNS1_3genE3ELNS1_11target_archE908ELNS1_3gpuE7ELNS1_3repE0EEENS1_38merge_mergepath_config_static_selectorELNS0_4arch9wavefront6targetE1EEEvSL_.kd
    .uniform_work_group_size: 1
    .uses_dynamic_stack: false
    .vgpr_count:     0
    .vgpr_spill_count: 0
    .wavefront_size: 64
  - .agpr_count:     0
    .args:
      - .offset:         0
        .size:           64
        .value_kind:     by_value
    .group_segment_fixed_size: 0
    .kernarg_segment_align: 8
    .kernarg_segment_size: 64
    .language:       OpenCL C
    .language_version:
      - 2
      - 0
    .max_flat_workgroup_size: 128
    .name:           _ZN7rocprim17ROCPRIM_400000_NS6detail17trampoline_kernelINS0_14default_configENS1_38merge_sort_block_merge_config_selectorIiNS0_10empty_typeEEEZZNS1_27merge_sort_block_merge_implIS3_N6thrust23THRUST_200600_302600_NS6detail15normal_iteratorINS9_10device_ptrIiEEEEPS5_jNS1_19radix_merge_compareILb0ELb0EiNS0_19identity_decomposerEEEEE10hipError_tT0_T1_T2_jT3_P12ihipStream_tbPNSt15iterator_traitsISK_E10value_typeEPNSQ_ISL_E10value_typeEPSM_NS1_7vsmem_tEENKUlT_SK_SL_SM_E_clIPiSE_SF_SF_EESJ_SZ_SK_SL_SM_EUlSZ_E0_NS1_11comp_targetILNS1_3genE2ELNS1_11target_archE906ELNS1_3gpuE6ELNS1_3repE0EEENS1_38merge_mergepath_config_static_selectorELNS0_4arch9wavefront6targetE1EEEvSL_
    .private_segment_fixed_size: 0
    .sgpr_count:     6
    .sgpr_spill_count: 0
    .symbol:         _ZN7rocprim17ROCPRIM_400000_NS6detail17trampoline_kernelINS0_14default_configENS1_38merge_sort_block_merge_config_selectorIiNS0_10empty_typeEEEZZNS1_27merge_sort_block_merge_implIS3_N6thrust23THRUST_200600_302600_NS6detail15normal_iteratorINS9_10device_ptrIiEEEEPS5_jNS1_19radix_merge_compareILb0ELb0EiNS0_19identity_decomposerEEEEE10hipError_tT0_T1_T2_jT3_P12ihipStream_tbPNSt15iterator_traitsISK_E10value_typeEPNSQ_ISL_E10value_typeEPSM_NS1_7vsmem_tEENKUlT_SK_SL_SM_E_clIPiSE_SF_SF_EESJ_SZ_SK_SL_SM_EUlSZ_E0_NS1_11comp_targetILNS1_3genE2ELNS1_11target_archE906ELNS1_3gpuE6ELNS1_3repE0EEENS1_38merge_mergepath_config_static_selectorELNS0_4arch9wavefront6targetE1EEEvSL_.kd
    .uniform_work_group_size: 1
    .uses_dynamic_stack: false
    .vgpr_count:     0
    .vgpr_spill_count: 0
    .wavefront_size: 64
  - .agpr_count:     0
    .args:
      - .offset:         0
        .size:           64
        .value_kind:     by_value
    .group_segment_fixed_size: 0
    .kernarg_segment_align: 8
    .kernarg_segment_size: 64
    .language:       OpenCL C
    .language_version:
      - 2
      - 0
    .max_flat_workgroup_size: 256
    .name:           _ZN7rocprim17ROCPRIM_400000_NS6detail17trampoline_kernelINS0_14default_configENS1_38merge_sort_block_merge_config_selectorIiNS0_10empty_typeEEEZZNS1_27merge_sort_block_merge_implIS3_N6thrust23THRUST_200600_302600_NS6detail15normal_iteratorINS9_10device_ptrIiEEEEPS5_jNS1_19radix_merge_compareILb0ELb0EiNS0_19identity_decomposerEEEEE10hipError_tT0_T1_T2_jT3_P12ihipStream_tbPNSt15iterator_traitsISK_E10value_typeEPNSQ_ISL_E10value_typeEPSM_NS1_7vsmem_tEENKUlT_SK_SL_SM_E_clIPiSE_SF_SF_EESJ_SZ_SK_SL_SM_EUlSZ_E0_NS1_11comp_targetILNS1_3genE9ELNS1_11target_archE1100ELNS1_3gpuE3ELNS1_3repE0EEENS1_38merge_mergepath_config_static_selectorELNS0_4arch9wavefront6targetE1EEEvSL_
    .private_segment_fixed_size: 0
    .sgpr_count:     6
    .sgpr_spill_count: 0
    .symbol:         _ZN7rocprim17ROCPRIM_400000_NS6detail17trampoline_kernelINS0_14default_configENS1_38merge_sort_block_merge_config_selectorIiNS0_10empty_typeEEEZZNS1_27merge_sort_block_merge_implIS3_N6thrust23THRUST_200600_302600_NS6detail15normal_iteratorINS9_10device_ptrIiEEEEPS5_jNS1_19radix_merge_compareILb0ELb0EiNS0_19identity_decomposerEEEEE10hipError_tT0_T1_T2_jT3_P12ihipStream_tbPNSt15iterator_traitsISK_E10value_typeEPNSQ_ISL_E10value_typeEPSM_NS1_7vsmem_tEENKUlT_SK_SL_SM_E_clIPiSE_SF_SF_EESJ_SZ_SK_SL_SM_EUlSZ_E0_NS1_11comp_targetILNS1_3genE9ELNS1_11target_archE1100ELNS1_3gpuE3ELNS1_3repE0EEENS1_38merge_mergepath_config_static_selectorELNS0_4arch9wavefront6targetE1EEEvSL_.kd
    .uniform_work_group_size: 1
    .uses_dynamic_stack: false
    .vgpr_count:     0
    .vgpr_spill_count: 0
    .wavefront_size: 64
  - .agpr_count:     0
    .args:
      - .offset:         0
        .size:           64
        .value_kind:     by_value
    .group_segment_fixed_size: 0
    .kernarg_segment_align: 8
    .kernarg_segment_size: 64
    .language:       OpenCL C
    .language_version:
      - 2
      - 0
    .max_flat_workgroup_size: 512
    .name:           _ZN7rocprim17ROCPRIM_400000_NS6detail17trampoline_kernelINS0_14default_configENS1_38merge_sort_block_merge_config_selectorIiNS0_10empty_typeEEEZZNS1_27merge_sort_block_merge_implIS3_N6thrust23THRUST_200600_302600_NS6detail15normal_iteratorINS9_10device_ptrIiEEEEPS5_jNS1_19radix_merge_compareILb0ELb0EiNS0_19identity_decomposerEEEEE10hipError_tT0_T1_T2_jT3_P12ihipStream_tbPNSt15iterator_traitsISK_E10value_typeEPNSQ_ISL_E10value_typeEPSM_NS1_7vsmem_tEENKUlT_SK_SL_SM_E_clIPiSE_SF_SF_EESJ_SZ_SK_SL_SM_EUlSZ_E0_NS1_11comp_targetILNS1_3genE8ELNS1_11target_archE1030ELNS1_3gpuE2ELNS1_3repE0EEENS1_38merge_mergepath_config_static_selectorELNS0_4arch9wavefront6targetE1EEEvSL_
    .private_segment_fixed_size: 0
    .sgpr_count:     6
    .sgpr_spill_count: 0
    .symbol:         _ZN7rocprim17ROCPRIM_400000_NS6detail17trampoline_kernelINS0_14default_configENS1_38merge_sort_block_merge_config_selectorIiNS0_10empty_typeEEEZZNS1_27merge_sort_block_merge_implIS3_N6thrust23THRUST_200600_302600_NS6detail15normal_iteratorINS9_10device_ptrIiEEEEPS5_jNS1_19radix_merge_compareILb0ELb0EiNS0_19identity_decomposerEEEEE10hipError_tT0_T1_T2_jT3_P12ihipStream_tbPNSt15iterator_traitsISK_E10value_typeEPNSQ_ISL_E10value_typeEPSM_NS1_7vsmem_tEENKUlT_SK_SL_SM_E_clIPiSE_SF_SF_EESJ_SZ_SK_SL_SM_EUlSZ_E0_NS1_11comp_targetILNS1_3genE8ELNS1_11target_archE1030ELNS1_3gpuE2ELNS1_3repE0EEENS1_38merge_mergepath_config_static_selectorELNS0_4arch9wavefront6targetE1EEEvSL_.kd
    .uniform_work_group_size: 1
    .uses_dynamic_stack: false
    .vgpr_count:     0
    .vgpr_spill_count: 0
    .wavefront_size: 64
  - .agpr_count:     0
    .args:
      - .offset:         0
        .size:           48
        .value_kind:     by_value
    .group_segment_fixed_size: 0
    .kernarg_segment_align: 8
    .kernarg_segment_size: 48
    .language:       OpenCL C
    .language_version:
      - 2
      - 0
    .max_flat_workgroup_size: 256
    .name:           _ZN7rocprim17ROCPRIM_400000_NS6detail17trampoline_kernelINS0_14default_configENS1_38merge_sort_block_merge_config_selectorIiNS0_10empty_typeEEEZZNS1_27merge_sort_block_merge_implIS3_N6thrust23THRUST_200600_302600_NS6detail15normal_iteratorINS9_10device_ptrIiEEEEPS5_jNS1_19radix_merge_compareILb0ELb0EiNS0_19identity_decomposerEEEEE10hipError_tT0_T1_T2_jT3_P12ihipStream_tbPNSt15iterator_traitsISK_E10value_typeEPNSQ_ISL_E10value_typeEPSM_NS1_7vsmem_tEENKUlT_SK_SL_SM_E_clIPiSE_SF_SF_EESJ_SZ_SK_SL_SM_EUlSZ_E1_NS1_11comp_targetILNS1_3genE0ELNS1_11target_archE4294967295ELNS1_3gpuE0ELNS1_3repE0EEENS1_36merge_oddeven_config_static_selectorELNS0_4arch9wavefront6targetE1EEEvSL_
    .private_segment_fixed_size: 0
    .sgpr_count:     6
    .sgpr_spill_count: 0
    .symbol:         _ZN7rocprim17ROCPRIM_400000_NS6detail17trampoline_kernelINS0_14default_configENS1_38merge_sort_block_merge_config_selectorIiNS0_10empty_typeEEEZZNS1_27merge_sort_block_merge_implIS3_N6thrust23THRUST_200600_302600_NS6detail15normal_iteratorINS9_10device_ptrIiEEEEPS5_jNS1_19radix_merge_compareILb0ELb0EiNS0_19identity_decomposerEEEEE10hipError_tT0_T1_T2_jT3_P12ihipStream_tbPNSt15iterator_traitsISK_E10value_typeEPNSQ_ISL_E10value_typeEPSM_NS1_7vsmem_tEENKUlT_SK_SL_SM_E_clIPiSE_SF_SF_EESJ_SZ_SK_SL_SM_EUlSZ_E1_NS1_11comp_targetILNS1_3genE0ELNS1_11target_archE4294967295ELNS1_3gpuE0ELNS1_3repE0EEENS1_36merge_oddeven_config_static_selectorELNS0_4arch9wavefront6targetE1EEEvSL_.kd
    .uniform_work_group_size: 1
    .uses_dynamic_stack: false
    .vgpr_count:     0
    .vgpr_spill_count: 0
    .wavefront_size: 64
  - .agpr_count:     0
    .args:
      - .offset:         0
        .size:           48
        .value_kind:     by_value
    .group_segment_fixed_size: 0
    .kernarg_segment_align: 8
    .kernarg_segment_size: 48
    .language:       OpenCL C
    .language_version:
      - 2
      - 0
    .max_flat_workgroup_size: 256
    .name:           _ZN7rocprim17ROCPRIM_400000_NS6detail17trampoline_kernelINS0_14default_configENS1_38merge_sort_block_merge_config_selectorIiNS0_10empty_typeEEEZZNS1_27merge_sort_block_merge_implIS3_N6thrust23THRUST_200600_302600_NS6detail15normal_iteratorINS9_10device_ptrIiEEEEPS5_jNS1_19radix_merge_compareILb0ELb0EiNS0_19identity_decomposerEEEEE10hipError_tT0_T1_T2_jT3_P12ihipStream_tbPNSt15iterator_traitsISK_E10value_typeEPNSQ_ISL_E10value_typeEPSM_NS1_7vsmem_tEENKUlT_SK_SL_SM_E_clIPiSE_SF_SF_EESJ_SZ_SK_SL_SM_EUlSZ_E1_NS1_11comp_targetILNS1_3genE10ELNS1_11target_archE1201ELNS1_3gpuE5ELNS1_3repE0EEENS1_36merge_oddeven_config_static_selectorELNS0_4arch9wavefront6targetE1EEEvSL_
    .private_segment_fixed_size: 0
    .sgpr_count:     6
    .sgpr_spill_count: 0
    .symbol:         _ZN7rocprim17ROCPRIM_400000_NS6detail17trampoline_kernelINS0_14default_configENS1_38merge_sort_block_merge_config_selectorIiNS0_10empty_typeEEEZZNS1_27merge_sort_block_merge_implIS3_N6thrust23THRUST_200600_302600_NS6detail15normal_iteratorINS9_10device_ptrIiEEEEPS5_jNS1_19radix_merge_compareILb0ELb0EiNS0_19identity_decomposerEEEEE10hipError_tT0_T1_T2_jT3_P12ihipStream_tbPNSt15iterator_traitsISK_E10value_typeEPNSQ_ISL_E10value_typeEPSM_NS1_7vsmem_tEENKUlT_SK_SL_SM_E_clIPiSE_SF_SF_EESJ_SZ_SK_SL_SM_EUlSZ_E1_NS1_11comp_targetILNS1_3genE10ELNS1_11target_archE1201ELNS1_3gpuE5ELNS1_3repE0EEENS1_36merge_oddeven_config_static_selectorELNS0_4arch9wavefront6targetE1EEEvSL_.kd
    .uniform_work_group_size: 1
    .uses_dynamic_stack: false
    .vgpr_count:     0
    .vgpr_spill_count: 0
    .wavefront_size: 64
  - .agpr_count:     0
    .args:
      - .offset:         0
        .size:           48
        .value_kind:     by_value
    .group_segment_fixed_size: 0
    .kernarg_segment_align: 8
    .kernarg_segment_size: 48
    .language:       OpenCL C
    .language_version:
      - 2
      - 0
    .max_flat_workgroup_size: 256
    .name:           _ZN7rocprim17ROCPRIM_400000_NS6detail17trampoline_kernelINS0_14default_configENS1_38merge_sort_block_merge_config_selectorIiNS0_10empty_typeEEEZZNS1_27merge_sort_block_merge_implIS3_N6thrust23THRUST_200600_302600_NS6detail15normal_iteratorINS9_10device_ptrIiEEEEPS5_jNS1_19radix_merge_compareILb0ELb0EiNS0_19identity_decomposerEEEEE10hipError_tT0_T1_T2_jT3_P12ihipStream_tbPNSt15iterator_traitsISK_E10value_typeEPNSQ_ISL_E10value_typeEPSM_NS1_7vsmem_tEENKUlT_SK_SL_SM_E_clIPiSE_SF_SF_EESJ_SZ_SK_SL_SM_EUlSZ_E1_NS1_11comp_targetILNS1_3genE5ELNS1_11target_archE942ELNS1_3gpuE9ELNS1_3repE0EEENS1_36merge_oddeven_config_static_selectorELNS0_4arch9wavefront6targetE1EEEvSL_
    .private_segment_fixed_size: 0
    .sgpr_count:     25
    .sgpr_spill_count: 0
    .symbol:         _ZN7rocprim17ROCPRIM_400000_NS6detail17trampoline_kernelINS0_14default_configENS1_38merge_sort_block_merge_config_selectorIiNS0_10empty_typeEEEZZNS1_27merge_sort_block_merge_implIS3_N6thrust23THRUST_200600_302600_NS6detail15normal_iteratorINS9_10device_ptrIiEEEEPS5_jNS1_19radix_merge_compareILb0ELb0EiNS0_19identity_decomposerEEEEE10hipError_tT0_T1_T2_jT3_P12ihipStream_tbPNSt15iterator_traitsISK_E10value_typeEPNSQ_ISL_E10value_typeEPSM_NS1_7vsmem_tEENKUlT_SK_SL_SM_E_clIPiSE_SF_SF_EESJ_SZ_SK_SL_SM_EUlSZ_E1_NS1_11comp_targetILNS1_3genE5ELNS1_11target_archE942ELNS1_3gpuE9ELNS1_3repE0EEENS1_36merge_oddeven_config_static_selectorELNS0_4arch9wavefront6targetE1EEEvSL_.kd
    .uniform_work_group_size: 1
    .uses_dynamic_stack: false
    .vgpr_count:     9
    .vgpr_spill_count: 0
    .wavefront_size: 64
  - .agpr_count:     0
    .args:
      - .offset:         0
        .size:           48
        .value_kind:     by_value
    .group_segment_fixed_size: 0
    .kernarg_segment_align: 8
    .kernarg_segment_size: 48
    .language:       OpenCL C
    .language_version:
      - 2
      - 0
    .max_flat_workgroup_size: 256
    .name:           _ZN7rocprim17ROCPRIM_400000_NS6detail17trampoline_kernelINS0_14default_configENS1_38merge_sort_block_merge_config_selectorIiNS0_10empty_typeEEEZZNS1_27merge_sort_block_merge_implIS3_N6thrust23THRUST_200600_302600_NS6detail15normal_iteratorINS9_10device_ptrIiEEEEPS5_jNS1_19radix_merge_compareILb0ELb0EiNS0_19identity_decomposerEEEEE10hipError_tT0_T1_T2_jT3_P12ihipStream_tbPNSt15iterator_traitsISK_E10value_typeEPNSQ_ISL_E10value_typeEPSM_NS1_7vsmem_tEENKUlT_SK_SL_SM_E_clIPiSE_SF_SF_EESJ_SZ_SK_SL_SM_EUlSZ_E1_NS1_11comp_targetILNS1_3genE4ELNS1_11target_archE910ELNS1_3gpuE8ELNS1_3repE0EEENS1_36merge_oddeven_config_static_selectorELNS0_4arch9wavefront6targetE1EEEvSL_
    .private_segment_fixed_size: 0
    .sgpr_count:     6
    .sgpr_spill_count: 0
    .symbol:         _ZN7rocprim17ROCPRIM_400000_NS6detail17trampoline_kernelINS0_14default_configENS1_38merge_sort_block_merge_config_selectorIiNS0_10empty_typeEEEZZNS1_27merge_sort_block_merge_implIS3_N6thrust23THRUST_200600_302600_NS6detail15normal_iteratorINS9_10device_ptrIiEEEEPS5_jNS1_19radix_merge_compareILb0ELb0EiNS0_19identity_decomposerEEEEE10hipError_tT0_T1_T2_jT3_P12ihipStream_tbPNSt15iterator_traitsISK_E10value_typeEPNSQ_ISL_E10value_typeEPSM_NS1_7vsmem_tEENKUlT_SK_SL_SM_E_clIPiSE_SF_SF_EESJ_SZ_SK_SL_SM_EUlSZ_E1_NS1_11comp_targetILNS1_3genE4ELNS1_11target_archE910ELNS1_3gpuE8ELNS1_3repE0EEENS1_36merge_oddeven_config_static_selectorELNS0_4arch9wavefront6targetE1EEEvSL_.kd
    .uniform_work_group_size: 1
    .uses_dynamic_stack: false
    .vgpr_count:     0
    .vgpr_spill_count: 0
    .wavefront_size: 64
  - .agpr_count:     0
    .args:
      - .offset:         0
        .size:           48
        .value_kind:     by_value
    .group_segment_fixed_size: 0
    .kernarg_segment_align: 8
    .kernarg_segment_size: 48
    .language:       OpenCL C
    .language_version:
      - 2
      - 0
    .max_flat_workgroup_size: 256
    .name:           _ZN7rocprim17ROCPRIM_400000_NS6detail17trampoline_kernelINS0_14default_configENS1_38merge_sort_block_merge_config_selectorIiNS0_10empty_typeEEEZZNS1_27merge_sort_block_merge_implIS3_N6thrust23THRUST_200600_302600_NS6detail15normal_iteratorINS9_10device_ptrIiEEEEPS5_jNS1_19radix_merge_compareILb0ELb0EiNS0_19identity_decomposerEEEEE10hipError_tT0_T1_T2_jT3_P12ihipStream_tbPNSt15iterator_traitsISK_E10value_typeEPNSQ_ISL_E10value_typeEPSM_NS1_7vsmem_tEENKUlT_SK_SL_SM_E_clIPiSE_SF_SF_EESJ_SZ_SK_SL_SM_EUlSZ_E1_NS1_11comp_targetILNS1_3genE3ELNS1_11target_archE908ELNS1_3gpuE7ELNS1_3repE0EEENS1_36merge_oddeven_config_static_selectorELNS0_4arch9wavefront6targetE1EEEvSL_
    .private_segment_fixed_size: 0
    .sgpr_count:     6
    .sgpr_spill_count: 0
    .symbol:         _ZN7rocprim17ROCPRIM_400000_NS6detail17trampoline_kernelINS0_14default_configENS1_38merge_sort_block_merge_config_selectorIiNS0_10empty_typeEEEZZNS1_27merge_sort_block_merge_implIS3_N6thrust23THRUST_200600_302600_NS6detail15normal_iteratorINS9_10device_ptrIiEEEEPS5_jNS1_19radix_merge_compareILb0ELb0EiNS0_19identity_decomposerEEEEE10hipError_tT0_T1_T2_jT3_P12ihipStream_tbPNSt15iterator_traitsISK_E10value_typeEPNSQ_ISL_E10value_typeEPSM_NS1_7vsmem_tEENKUlT_SK_SL_SM_E_clIPiSE_SF_SF_EESJ_SZ_SK_SL_SM_EUlSZ_E1_NS1_11comp_targetILNS1_3genE3ELNS1_11target_archE908ELNS1_3gpuE7ELNS1_3repE0EEENS1_36merge_oddeven_config_static_selectorELNS0_4arch9wavefront6targetE1EEEvSL_.kd
    .uniform_work_group_size: 1
    .uses_dynamic_stack: false
    .vgpr_count:     0
    .vgpr_spill_count: 0
    .wavefront_size: 64
  - .agpr_count:     0
    .args:
      - .offset:         0
        .size:           48
        .value_kind:     by_value
    .group_segment_fixed_size: 0
    .kernarg_segment_align: 8
    .kernarg_segment_size: 48
    .language:       OpenCL C
    .language_version:
      - 2
      - 0
    .max_flat_workgroup_size: 256
    .name:           _ZN7rocprim17ROCPRIM_400000_NS6detail17trampoline_kernelINS0_14default_configENS1_38merge_sort_block_merge_config_selectorIiNS0_10empty_typeEEEZZNS1_27merge_sort_block_merge_implIS3_N6thrust23THRUST_200600_302600_NS6detail15normal_iteratorINS9_10device_ptrIiEEEEPS5_jNS1_19radix_merge_compareILb0ELb0EiNS0_19identity_decomposerEEEEE10hipError_tT0_T1_T2_jT3_P12ihipStream_tbPNSt15iterator_traitsISK_E10value_typeEPNSQ_ISL_E10value_typeEPSM_NS1_7vsmem_tEENKUlT_SK_SL_SM_E_clIPiSE_SF_SF_EESJ_SZ_SK_SL_SM_EUlSZ_E1_NS1_11comp_targetILNS1_3genE2ELNS1_11target_archE906ELNS1_3gpuE6ELNS1_3repE0EEENS1_36merge_oddeven_config_static_selectorELNS0_4arch9wavefront6targetE1EEEvSL_
    .private_segment_fixed_size: 0
    .sgpr_count:     6
    .sgpr_spill_count: 0
    .symbol:         _ZN7rocprim17ROCPRIM_400000_NS6detail17trampoline_kernelINS0_14default_configENS1_38merge_sort_block_merge_config_selectorIiNS0_10empty_typeEEEZZNS1_27merge_sort_block_merge_implIS3_N6thrust23THRUST_200600_302600_NS6detail15normal_iteratorINS9_10device_ptrIiEEEEPS5_jNS1_19radix_merge_compareILb0ELb0EiNS0_19identity_decomposerEEEEE10hipError_tT0_T1_T2_jT3_P12ihipStream_tbPNSt15iterator_traitsISK_E10value_typeEPNSQ_ISL_E10value_typeEPSM_NS1_7vsmem_tEENKUlT_SK_SL_SM_E_clIPiSE_SF_SF_EESJ_SZ_SK_SL_SM_EUlSZ_E1_NS1_11comp_targetILNS1_3genE2ELNS1_11target_archE906ELNS1_3gpuE6ELNS1_3repE0EEENS1_36merge_oddeven_config_static_selectorELNS0_4arch9wavefront6targetE1EEEvSL_.kd
    .uniform_work_group_size: 1
    .uses_dynamic_stack: false
    .vgpr_count:     0
    .vgpr_spill_count: 0
    .wavefront_size: 64
  - .agpr_count:     0
    .args:
      - .offset:         0
        .size:           48
        .value_kind:     by_value
    .group_segment_fixed_size: 0
    .kernarg_segment_align: 8
    .kernarg_segment_size: 48
    .language:       OpenCL C
    .language_version:
      - 2
      - 0
    .max_flat_workgroup_size: 256
    .name:           _ZN7rocprim17ROCPRIM_400000_NS6detail17trampoline_kernelINS0_14default_configENS1_38merge_sort_block_merge_config_selectorIiNS0_10empty_typeEEEZZNS1_27merge_sort_block_merge_implIS3_N6thrust23THRUST_200600_302600_NS6detail15normal_iteratorINS9_10device_ptrIiEEEEPS5_jNS1_19radix_merge_compareILb0ELb0EiNS0_19identity_decomposerEEEEE10hipError_tT0_T1_T2_jT3_P12ihipStream_tbPNSt15iterator_traitsISK_E10value_typeEPNSQ_ISL_E10value_typeEPSM_NS1_7vsmem_tEENKUlT_SK_SL_SM_E_clIPiSE_SF_SF_EESJ_SZ_SK_SL_SM_EUlSZ_E1_NS1_11comp_targetILNS1_3genE9ELNS1_11target_archE1100ELNS1_3gpuE3ELNS1_3repE0EEENS1_36merge_oddeven_config_static_selectorELNS0_4arch9wavefront6targetE1EEEvSL_
    .private_segment_fixed_size: 0
    .sgpr_count:     6
    .sgpr_spill_count: 0
    .symbol:         _ZN7rocprim17ROCPRIM_400000_NS6detail17trampoline_kernelINS0_14default_configENS1_38merge_sort_block_merge_config_selectorIiNS0_10empty_typeEEEZZNS1_27merge_sort_block_merge_implIS3_N6thrust23THRUST_200600_302600_NS6detail15normal_iteratorINS9_10device_ptrIiEEEEPS5_jNS1_19radix_merge_compareILb0ELb0EiNS0_19identity_decomposerEEEEE10hipError_tT0_T1_T2_jT3_P12ihipStream_tbPNSt15iterator_traitsISK_E10value_typeEPNSQ_ISL_E10value_typeEPSM_NS1_7vsmem_tEENKUlT_SK_SL_SM_E_clIPiSE_SF_SF_EESJ_SZ_SK_SL_SM_EUlSZ_E1_NS1_11comp_targetILNS1_3genE9ELNS1_11target_archE1100ELNS1_3gpuE3ELNS1_3repE0EEENS1_36merge_oddeven_config_static_selectorELNS0_4arch9wavefront6targetE1EEEvSL_.kd
    .uniform_work_group_size: 1
    .uses_dynamic_stack: false
    .vgpr_count:     0
    .vgpr_spill_count: 0
    .wavefront_size: 64
  - .agpr_count:     0
    .args:
      - .offset:         0
        .size:           48
        .value_kind:     by_value
    .group_segment_fixed_size: 0
    .kernarg_segment_align: 8
    .kernarg_segment_size: 48
    .language:       OpenCL C
    .language_version:
      - 2
      - 0
    .max_flat_workgroup_size: 256
    .name:           _ZN7rocprim17ROCPRIM_400000_NS6detail17trampoline_kernelINS0_14default_configENS1_38merge_sort_block_merge_config_selectorIiNS0_10empty_typeEEEZZNS1_27merge_sort_block_merge_implIS3_N6thrust23THRUST_200600_302600_NS6detail15normal_iteratorINS9_10device_ptrIiEEEEPS5_jNS1_19radix_merge_compareILb0ELb0EiNS0_19identity_decomposerEEEEE10hipError_tT0_T1_T2_jT3_P12ihipStream_tbPNSt15iterator_traitsISK_E10value_typeEPNSQ_ISL_E10value_typeEPSM_NS1_7vsmem_tEENKUlT_SK_SL_SM_E_clIPiSE_SF_SF_EESJ_SZ_SK_SL_SM_EUlSZ_E1_NS1_11comp_targetILNS1_3genE8ELNS1_11target_archE1030ELNS1_3gpuE2ELNS1_3repE0EEENS1_36merge_oddeven_config_static_selectorELNS0_4arch9wavefront6targetE1EEEvSL_
    .private_segment_fixed_size: 0
    .sgpr_count:     6
    .sgpr_spill_count: 0
    .symbol:         _ZN7rocprim17ROCPRIM_400000_NS6detail17trampoline_kernelINS0_14default_configENS1_38merge_sort_block_merge_config_selectorIiNS0_10empty_typeEEEZZNS1_27merge_sort_block_merge_implIS3_N6thrust23THRUST_200600_302600_NS6detail15normal_iteratorINS9_10device_ptrIiEEEEPS5_jNS1_19radix_merge_compareILb0ELb0EiNS0_19identity_decomposerEEEEE10hipError_tT0_T1_T2_jT3_P12ihipStream_tbPNSt15iterator_traitsISK_E10value_typeEPNSQ_ISL_E10value_typeEPSM_NS1_7vsmem_tEENKUlT_SK_SL_SM_E_clIPiSE_SF_SF_EESJ_SZ_SK_SL_SM_EUlSZ_E1_NS1_11comp_targetILNS1_3genE8ELNS1_11target_archE1030ELNS1_3gpuE2ELNS1_3repE0EEENS1_36merge_oddeven_config_static_selectorELNS0_4arch9wavefront6targetE1EEEvSL_.kd
    .uniform_work_group_size: 1
    .uses_dynamic_stack: false
    .vgpr_count:     0
    .vgpr_spill_count: 0
    .wavefront_size: 64
  - .agpr_count:     0
    .args:
      - .offset:         0
        .size:           40
        .value_kind:     by_value
    .group_segment_fixed_size: 0
    .kernarg_segment_align: 8
    .kernarg_segment_size: 40
    .language:       OpenCL C
    .language_version:
      - 2
      - 0
    .max_flat_workgroup_size: 128
    .name:           _ZN7rocprim17ROCPRIM_400000_NS6detail17trampoline_kernelINS0_14default_configENS1_38merge_sort_block_merge_config_selectorIiNS0_10empty_typeEEEZZNS1_27merge_sort_block_merge_implIS3_N6thrust23THRUST_200600_302600_NS6detail15normal_iteratorINS9_10device_ptrIiEEEEPS5_jNS1_19radix_merge_compareILb0ELb0EiNS0_19identity_decomposerEEEEE10hipError_tT0_T1_T2_jT3_P12ihipStream_tbPNSt15iterator_traitsISK_E10value_typeEPNSQ_ISL_E10value_typeEPSM_NS1_7vsmem_tEENKUlT_SK_SL_SM_E_clISE_PiSF_SF_EESJ_SZ_SK_SL_SM_EUlSZ_E_NS1_11comp_targetILNS1_3genE0ELNS1_11target_archE4294967295ELNS1_3gpuE0ELNS1_3repE0EEENS1_48merge_mergepath_partition_config_static_selectorELNS0_4arch9wavefront6targetE1EEEvSL_
    .private_segment_fixed_size: 0
    .sgpr_count:     6
    .sgpr_spill_count: 0
    .symbol:         _ZN7rocprim17ROCPRIM_400000_NS6detail17trampoline_kernelINS0_14default_configENS1_38merge_sort_block_merge_config_selectorIiNS0_10empty_typeEEEZZNS1_27merge_sort_block_merge_implIS3_N6thrust23THRUST_200600_302600_NS6detail15normal_iteratorINS9_10device_ptrIiEEEEPS5_jNS1_19radix_merge_compareILb0ELb0EiNS0_19identity_decomposerEEEEE10hipError_tT0_T1_T2_jT3_P12ihipStream_tbPNSt15iterator_traitsISK_E10value_typeEPNSQ_ISL_E10value_typeEPSM_NS1_7vsmem_tEENKUlT_SK_SL_SM_E_clISE_PiSF_SF_EESJ_SZ_SK_SL_SM_EUlSZ_E_NS1_11comp_targetILNS1_3genE0ELNS1_11target_archE4294967295ELNS1_3gpuE0ELNS1_3repE0EEENS1_48merge_mergepath_partition_config_static_selectorELNS0_4arch9wavefront6targetE1EEEvSL_.kd
    .uniform_work_group_size: 1
    .uses_dynamic_stack: false
    .vgpr_count:     0
    .vgpr_spill_count: 0
    .wavefront_size: 64
  - .agpr_count:     0
    .args:
      - .offset:         0
        .size:           40
        .value_kind:     by_value
    .group_segment_fixed_size: 0
    .kernarg_segment_align: 8
    .kernarg_segment_size: 40
    .language:       OpenCL C
    .language_version:
      - 2
      - 0
    .max_flat_workgroup_size: 128
    .name:           _ZN7rocprim17ROCPRIM_400000_NS6detail17trampoline_kernelINS0_14default_configENS1_38merge_sort_block_merge_config_selectorIiNS0_10empty_typeEEEZZNS1_27merge_sort_block_merge_implIS3_N6thrust23THRUST_200600_302600_NS6detail15normal_iteratorINS9_10device_ptrIiEEEEPS5_jNS1_19radix_merge_compareILb0ELb0EiNS0_19identity_decomposerEEEEE10hipError_tT0_T1_T2_jT3_P12ihipStream_tbPNSt15iterator_traitsISK_E10value_typeEPNSQ_ISL_E10value_typeEPSM_NS1_7vsmem_tEENKUlT_SK_SL_SM_E_clISE_PiSF_SF_EESJ_SZ_SK_SL_SM_EUlSZ_E_NS1_11comp_targetILNS1_3genE10ELNS1_11target_archE1201ELNS1_3gpuE5ELNS1_3repE0EEENS1_48merge_mergepath_partition_config_static_selectorELNS0_4arch9wavefront6targetE1EEEvSL_
    .private_segment_fixed_size: 0
    .sgpr_count:     6
    .sgpr_spill_count: 0
    .symbol:         _ZN7rocprim17ROCPRIM_400000_NS6detail17trampoline_kernelINS0_14default_configENS1_38merge_sort_block_merge_config_selectorIiNS0_10empty_typeEEEZZNS1_27merge_sort_block_merge_implIS3_N6thrust23THRUST_200600_302600_NS6detail15normal_iteratorINS9_10device_ptrIiEEEEPS5_jNS1_19radix_merge_compareILb0ELb0EiNS0_19identity_decomposerEEEEE10hipError_tT0_T1_T2_jT3_P12ihipStream_tbPNSt15iterator_traitsISK_E10value_typeEPNSQ_ISL_E10value_typeEPSM_NS1_7vsmem_tEENKUlT_SK_SL_SM_E_clISE_PiSF_SF_EESJ_SZ_SK_SL_SM_EUlSZ_E_NS1_11comp_targetILNS1_3genE10ELNS1_11target_archE1201ELNS1_3gpuE5ELNS1_3repE0EEENS1_48merge_mergepath_partition_config_static_selectorELNS0_4arch9wavefront6targetE1EEEvSL_.kd
    .uniform_work_group_size: 1
    .uses_dynamic_stack: false
    .vgpr_count:     0
    .vgpr_spill_count: 0
    .wavefront_size: 64
  - .agpr_count:     0
    .args:
      - .offset:         0
        .size:           40
        .value_kind:     by_value
    .group_segment_fixed_size: 0
    .kernarg_segment_align: 8
    .kernarg_segment_size: 40
    .language:       OpenCL C
    .language_version:
      - 2
      - 0
    .max_flat_workgroup_size: 128
    .name:           _ZN7rocprim17ROCPRIM_400000_NS6detail17trampoline_kernelINS0_14default_configENS1_38merge_sort_block_merge_config_selectorIiNS0_10empty_typeEEEZZNS1_27merge_sort_block_merge_implIS3_N6thrust23THRUST_200600_302600_NS6detail15normal_iteratorINS9_10device_ptrIiEEEEPS5_jNS1_19radix_merge_compareILb0ELb0EiNS0_19identity_decomposerEEEEE10hipError_tT0_T1_T2_jT3_P12ihipStream_tbPNSt15iterator_traitsISK_E10value_typeEPNSQ_ISL_E10value_typeEPSM_NS1_7vsmem_tEENKUlT_SK_SL_SM_E_clISE_PiSF_SF_EESJ_SZ_SK_SL_SM_EUlSZ_E_NS1_11comp_targetILNS1_3genE5ELNS1_11target_archE942ELNS1_3gpuE9ELNS1_3repE0EEENS1_48merge_mergepath_partition_config_static_selectorELNS0_4arch9wavefront6targetE1EEEvSL_
    .private_segment_fixed_size: 0
    .sgpr_count:     14
    .sgpr_spill_count: 0
    .symbol:         _ZN7rocprim17ROCPRIM_400000_NS6detail17trampoline_kernelINS0_14default_configENS1_38merge_sort_block_merge_config_selectorIiNS0_10empty_typeEEEZZNS1_27merge_sort_block_merge_implIS3_N6thrust23THRUST_200600_302600_NS6detail15normal_iteratorINS9_10device_ptrIiEEEEPS5_jNS1_19radix_merge_compareILb0ELb0EiNS0_19identity_decomposerEEEEE10hipError_tT0_T1_T2_jT3_P12ihipStream_tbPNSt15iterator_traitsISK_E10value_typeEPNSQ_ISL_E10value_typeEPSM_NS1_7vsmem_tEENKUlT_SK_SL_SM_E_clISE_PiSF_SF_EESJ_SZ_SK_SL_SM_EUlSZ_E_NS1_11comp_targetILNS1_3genE5ELNS1_11target_archE942ELNS1_3gpuE9ELNS1_3repE0EEENS1_48merge_mergepath_partition_config_static_selectorELNS0_4arch9wavefront6targetE1EEEvSL_.kd
    .uniform_work_group_size: 1
    .uses_dynamic_stack: false
    .vgpr_count:     17
    .vgpr_spill_count: 0
    .wavefront_size: 64
  - .agpr_count:     0
    .args:
      - .offset:         0
        .size:           40
        .value_kind:     by_value
    .group_segment_fixed_size: 0
    .kernarg_segment_align: 8
    .kernarg_segment_size: 40
    .language:       OpenCL C
    .language_version:
      - 2
      - 0
    .max_flat_workgroup_size: 128
    .name:           _ZN7rocprim17ROCPRIM_400000_NS6detail17trampoline_kernelINS0_14default_configENS1_38merge_sort_block_merge_config_selectorIiNS0_10empty_typeEEEZZNS1_27merge_sort_block_merge_implIS3_N6thrust23THRUST_200600_302600_NS6detail15normal_iteratorINS9_10device_ptrIiEEEEPS5_jNS1_19radix_merge_compareILb0ELb0EiNS0_19identity_decomposerEEEEE10hipError_tT0_T1_T2_jT3_P12ihipStream_tbPNSt15iterator_traitsISK_E10value_typeEPNSQ_ISL_E10value_typeEPSM_NS1_7vsmem_tEENKUlT_SK_SL_SM_E_clISE_PiSF_SF_EESJ_SZ_SK_SL_SM_EUlSZ_E_NS1_11comp_targetILNS1_3genE4ELNS1_11target_archE910ELNS1_3gpuE8ELNS1_3repE0EEENS1_48merge_mergepath_partition_config_static_selectorELNS0_4arch9wavefront6targetE1EEEvSL_
    .private_segment_fixed_size: 0
    .sgpr_count:     6
    .sgpr_spill_count: 0
    .symbol:         _ZN7rocprim17ROCPRIM_400000_NS6detail17trampoline_kernelINS0_14default_configENS1_38merge_sort_block_merge_config_selectorIiNS0_10empty_typeEEEZZNS1_27merge_sort_block_merge_implIS3_N6thrust23THRUST_200600_302600_NS6detail15normal_iteratorINS9_10device_ptrIiEEEEPS5_jNS1_19radix_merge_compareILb0ELb0EiNS0_19identity_decomposerEEEEE10hipError_tT0_T1_T2_jT3_P12ihipStream_tbPNSt15iterator_traitsISK_E10value_typeEPNSQ_ISL_E10value_typeEPSM_NS1_7vsmem_tEENKUlT_SK_SL_SM_E_clISE_PiSF_SF_EESJ_SZ_SK_SL_SM_EUlSZ_E_NS1_11comp_targetILNS1_3genE4ELNS1_11target_archE910ELNS1_3gpuE8ELNS1_3repE0EEENS1_48merge_mergepath_partition_config_static_selectorELNS0_4arch9wavefront6targetE1EEEvSL_.kd
    .uniform_work_group_size: 1
    .uses_dynamic_stack: false
    .vgpr_count:     0
    .vgpr_spill_count: 0
    .wavefront_size: 64
  - .agpr_count:     0
    .args:
      - .offset:         0
        .size:           40
        .value_kind:     by_value
    .group_segment_fixed_size: 0
    .kernarg_segment_align: 8
    .kernarg_segment_size: 40
    .language:       OpenCL C
    .language_version:
      - 2
      - 0
    .max_flat_workgroup_size: 128
    .name:           _ZN7rocprim17ROCPRIM_400000_NS6detail17trampoline_kernelINS0_14default_configENS1_38merge_sort_block_merge_config_selectorIiNS0_10empty_typeEEEZZNS1_27merge_sort_block_merge_implIS3_N6thrust23THRUST_200600_302600_NS6detail15normal_iteratorINS9_10device_ptrIiEEEEPS5_jNS1_19radix_merge_compareILb0ELb0EiNS0_19identity_decomposerEEEEE10hipError_tT0_T1_T2_jT3_P12ihipStream_tbPNSt15iterator_traitsISK_E10value_typeEPNSQ_ISL_E10value_typeEPSM_NS1_7vsmem_tEENKUlT_SK_SL_SM_E_clISE_PiSF_SF_EESJ_SZ_SK_SL_SM_EUlSZ_E_NS1_11comp_targetILNS1_3genE3ELNS1_11target_archE908ELNS1_3gpuE7ELNS1_3repE0EEENS1_48merge_mergepath_partition_config_static_selectorELNS0_4arch9wavefront6targetE1EEEvSL_
    .private_segment_fixed_size: 0
    .sgpr_count:     6
    .sgpr_spill_count: 0
    .symbol:         _ZN7rocprim17ROCPRIM_400000_NS6detail17trampoline_kernelINS0_14default_configENS1_38merge_sort_block_merge_config_selectorIiNS0_10empty_typeEEEZZNS1_27merge_sort_block_merge_implIS3_N6thrust23THRUST_200600_302600_NS6detail15normal_iteratorINS9_10device_ptrIiEEEEPS5_jNS1_19radix_merge_compareILb0ELb0EiNS0_19identity_decomposerEEEEE10hipError_tT0_T1_T2_jT3_P12ihipStream_tbPNSt15iterator_traitsISK_E10value_typeEPNSQ_ISL_E10value_typeEPSM_NS1_7vsmem_tEENKUlT_SK_SL_SM_E_clISE_PiSF_SF_EESJ_SZ_SK_SL_SM_EUlSZ_E_NS1_11comp_targetILNS1_3genE3ELNS1_11target_archE908ELNS1_3gpuE7ELNS1_3repE0EEENS1_48merge_mergepath_partition_config_static_selectorELNS0_4arch9wavefront6targetE1EEEvSL_.kd
    .uniform_work_group_size: 1
    .uses_dynamic_stack: false
    .vgpr_count:     0
    .vgpr_spill_count: 0
    .wavefront_size: 64
  - .agpr_count:     0
    .args:
      - .offset:         0
        .size:           40
        .value_kind:     by_value
    .group_segment_fixed_size: 0
    .kernarg_segment_align: 8
    .kernarg_segment_size: 40
    .language:       OpenCL C
    .language_version:
      - 2
      - 0
    .max_flat_workgroup_size: 128
    .name:           _ZN7rocprim17ROCPRIM_400000_NS6detail17trampoline_kernelINS0_14default_configENS1_38merge_sort_block_merge_config_selectorIiNS0_10empty_typeEEEZZNS1_27merge_sort_block_merge_implIS3_N6thrust23THRUST_200600_302600_NS6detail15normal_iteratorINS9_10device_ptrIiEEEEPS5_jNS1_19radix_merge_compareILb0ELb0EiNS0_19identity_decomposerEEEEE10hipError_tT0_T1_T2_jT3_P12ihipStream_tbPNSt15iterator_traitsISK_E10value_typeEPNSQ_ISL_E10value_typeEPSM_NS1_7vsmem_tEENKUlT_SK_SL_SM_E_clISE_PiSF_SF_EESJ_SZ_SK_SL_SM_EUlSZ_E_NS1_11comp_targetILNS1_3genE2ELNS1_11target_archE906ELNS1_3gpuE6ELNS1_3repE0EEENS1_48merge_mergepath_partition_config_static_selectorELNS0_4arch9wavefront6targetE1EEEvSL_
    .private_segment_fixed_size: 0
    .sgpr_count:     6
    .sgpr_spill_count: 0
    .symbol:         _ZN7rocprim17ROCPRIM_400000_NS6detail17trampoline_kernelINS0_14default_configENS1_38merge_sort_block_merge_config_selectorIiNS0_10empty_typeEEEZZNS1_27merge_sort_block_merge_implIS3_N6thrust23THRUST_200600_302600_NS6detail15normal_iteratorINS9_10device_ptrIiEEEEPS5_jNS1_19radix_merge_compareILb0ELb0EiNS0_19identity_decomposerEEEEE10hipError_tT0_T1_T2_jT3_P12ihipStream_tbPNSt15iterator_traitsISK_E10value_typeEPNSQ_ISL_E10value_typeEPSM_NS1_7vsmem_tEENKUlT_SK_SL_SM_E_clISE_PiSF_SF_EESJ_SZ_SK_SL_SM_EUlSZ_E_NS1_11comp_targetILNS1_3genE2ELNS1_11target_archE906ELNS1_3gpuE6ELNS1_3repE0EEENS1_48merge_mergepath_partition_config_static_selectorELNS0_4arch9wavefront6targetE1EEEvSL_.kd
    .uniform_work_group_size: 1
    .uses_dynamic_stack: false
    .vgpr_count:     0
    .vgpr_spill_count: 0
    .wavefront_size: 64
  - .agpr_count:     0
    .args:
      - .offset:         0
        .size:           40
        .value_kind:     by_value
    .group_segment_fixed_size: 0
    .kernarg_segment_align: 8
    .kernarg_segment_size: 40
    .language:       OpenCL C
    .language_version:
      - 2
      - 0
    .max_flat_workgroup_size: 128
    .name:           _ZN7rocprim17ROCPRIM_400000_NS6detail17trampoline_kernelINS0_14default_configENS1_38merge_sort_block_merge_config_selectorIiNS0_10empty_typeEEEZZNS1_27merge_sort_block_merge_implIS3_N6thrust23THRUST_200600_302600_NS6detail15normal_iteratorINS9_10device_ptrIiEEEEPS5_jNS1_19radix_merge_compareILb0ELb0EiNS0_19identity_decomposerEEEEE10hipError_tT0_T1_T2_jT3_P12ihipStream_tbPNSt15iterator_traitsISK_E10value_typeEPNSQ_ISL_E10value_typeEPSM_NS1_7vsmem_tEENKUlT_SK_SL_SM_E_clISE_PiSF_SF_EESJ_SZ_SK_SL_SM_EUlSZ_E_NS1_11comp_targetILNS1_3genE9ELNS1_11target_archE1100ELNS1_3gpuE3ELNS1_3repE0EEENS1_48merge_mergepath_partition_config_static_selectorELNS0_4arch9wavefront6targetE1EEEvSL_
    .private_segment_fixed_size: 0
    .sgpr_count:     6
    .sgpr_spill_count: 0
    .symbol:         _ZN7rocprim17ROCPRIM_400000_NS6detail17trampoline_kernelINS0_14default_configENS1_38merge_sort_block_merge_config_selectorIiNS0_10empty_typeEEEZZNS1_27merge_sort_block_merge_implIS3_N6thrust23THRUST_200600_302600_NS6detail15normal_iteratorINS9_10device_ptrIiEEEEPS5_jNS1_19radix_merge_compareILb0ELb0EiNS0_19identity_decomposerEEEEE10hipError_tT0_T1_T2_jT3_P12ihipStream_tbPNSt15iterator_traitsISK_E10value_typeEPNSQ_ISL_E10value_typeEPSM_NS1_7vsmem_tEENKUlT_SK_SL_SM_E_clISE_PiSF_SF_EESJ_SZ_SK_SL_SM_EUlSZ_E_NS1_11comp_targetILNS1_3genE9ELNS1_11target_archE1100ELNS1_3gpuE3ELNS1_3repE0EEENS1_48merge_mergepath_partition_config_static_selectorELNS0_4arch9wavefront6targetE1EEEvSL_.kd
    .uniform_work_group_size: 1
    .uses_dynamic_stack: false
    .vgpr_count:     0
    .vgpr_spill_count: 0
    .wavefront_size: 64
  - .agpr_count:     0
    .args:
      - .offset:         0
        .size:           40
        .value_kind:     by_value
    .group_segment_fixed_size: 0
    .kernarg_segment_align: 8
    .kernarg_segment_size: 40
    .language:       OpenCL C
    .language_version:
      - 2
      - 0
    .max_flat_workgroup_size: 128
    .name:           _ZN7rocprim17ROCPRIM_400000_NS6detail17trampoline_kernelINS0_14default_configENS1_38merge_sort_block_merge_config_selectorIiNS0_10empty_typeEEEZZNS1_27merge_sort_block_merge_implIS3_N6thrust23THRUST_200600_302600_NS6detail15normal_iteratorINS9_10device_ptrIiEEEEPS5_jNS1_19radix_merge_compareILb0ELb0EiNS0_19identity_decomposerEEEEE10hipError_tT0_T1_T2_jT3_P12ihipStream_tbPNSt15iterator_traitsISK_E10value_typeEPNSQ_ISL_E10value_typeEPSM_NS1_7vsmem_tEENKUlT_SK_SL_SM_E_clISE_PiSF_SF_EESJ_SZ_SK_SL_SM_EUlSZ_E_NS1_11comp_targetILNS1_3genE8ELNS1_11target_archE1030ELNS1_3gpuE2ELNS1_3repE0EEENS1_48merge_mergepath_partition_config_static_selectorELNS0_4arch9wavefront6targetE1EEEvSL_
    .private_segment_fixed_size: 0
    .sgpr_count:     6
    .sgpr_spill_count: 0
    .symbol:         _ZN7rocprim17ROCPRIM_400000_NS6detail17trampoline_kernelINS0_14default_configENS1_38merge_sort_block_merge_config_selectorIiNS0_10empty_typeEEEZZNS1_27merge_sort_block_merge_implIS3_N6thrust23THRUST_200600_302600_NS6detail15normal_iteratorINS9_10device_ptrIiEEEEPS5_jNS1_19radix_merge_compareILb0ELb0EiNS0_19identity_decomposerEEEEE10hipError_tT0_T1_T2_jT3_P12ihipStream_tbPNSt15iterator_traitsISK_E10value_typeEPNSQ_ISL_E10value_typeEPSM_NS1_7vsmem_tEENKUlT_SK_SL_SM_E_clISE_PiSF_SF_EESJ_SZ_SK_SL_SM_EUlSZ_E_NS1_11comp_targetILNS1_3genE8ELNS1_11target_archE1030ELNS1_3gpuE2ELNS1_3repE0EEENS1_48merge_mergepath_partition_config_static_selectorELNS0_4arch9wavefront6targetE1EEEvSL_.kd
    .uniform_work_group_size: 1
    .uses_dynamic_stack: false
    .vgpr_count:     0
    .vgpr_spill_count: 0
    .wavefront_size: 64
  - .agpr_count:     0
    .args:
      - .offset:         0
        .size:           64
        .value_kind:     by_value
    .group_segment_fixed_size: 0
    .kernarg_segment_align: 8
    .kernarg_segment_size: 64
    .language:       OpenCL C
    .language_version:
      - 2
      - 0
    .max_flat_workgroup_size: 128
    .name:           _ZN7rocprim17ROCPRIM_400000_NS6detail17trampoline_kernelINS0_14default_configENS1_38merge_sort_block_merge_config_selectorIiNS0_10empty_typeEEEZZNS1_27merge_sort_block_merge_implIS3_N6thrust23THRUST_200600_302600_NS6detail15normal_iteratorINS9_10device_ptrIiEEEEPS5_jNS1_19radix_merge_compareILb0ELb0EiNS0_19identity_decomposerEEEEE10hipError_tT0_T1_T2_jT3_P12ihipStream_tbPNSt15iterator_traitsISK_E10value_typeEPNSQ_ISL_E10value_typeEPSM_NS1_7vsmem_tEENKUlT_SK_SL_SM_E_clISE_PiSF_SF_EESJ_SZ_SK_SL_SM_EUlSZ_E0_NS1_11comp_targetILNS1_3genE0ELNS1_11target_archE4294967295ELNS1_3gpuE0ELNS1_3repE0EEENS1_38merge_mergepath_config_static_selectorELNS0_4arch9wavefront6targetE1EEEvSL_
    .private_segment_fixed_size: 0
    .sgpr_count:     6
    .sgpr_spill_count: 0
    .symbol:         _ZN7rocprim17ROCPRIM_400000_NS6detail17trampoline_kernelINS0_14default_configENS1_38merge_sort_block_merge_config_selectorIiNS0_10empty_typeEEEZZNS1_27merge_sort_block_merge_implIS3_N6thrust23THRUST_200600_302600_NS6detail15normal_iteratorINS9_10device_ptrIiEEEEPS5_jNS1_19radix_merge_compareILb0ELb0EiNS0_19identity_decomposerEEEEE10hipError_tT0_T1_T2_jT3_P12ihipStream_tbPNSt15iterator_traitsISK_E10value_typeEPNSQ_ISL_E10value_typeEPSM_NS1_7vsmem_tEENKUlT_SK_SL_SM_E_clISE_PiSF_SF_EESJ_SZ_SK_SL_SM_EUlSZ_E0_NS1_11comp_targetILNS1_3genE0ELNS1_11target_archE4294967295ELNS1_3gpuE0ELNS1_3repE0EEENS1_38merge_mergepath_config_static_selectorELNS0_4arch9wavefront6targetE1EEEvSL_.kd
    .uniform_work_group_size: 1
    .uses_dynamic_stack: false
    .vgpr_count:     0
    .vgpr_spill_count: 0
    .wavefront_size: 64
  - .agpr_count:     0
    .args:
      - .offset:         0
        .size:           64
        .value_kind:     by_value
    .group_segment_fixed_size: 0
    .kernarg_segment_align: 8
    .kernarg_segment_size: 64
    .language:       OpenCL C
    .language_version:
      - 2
      - 0
    .max_flat_workgroup_size: 256
    .name:           _ZN7rocprim17ROCPRIM_400000_NS6detail17trampoline_kernelINS0_14default_configENS1_38merge_sort_block_merge_config_selectorIiNS0_10empty_typeEEEZZNS1_27merge_sort_block_merge_implIS3_N6thrust23THRUST_200600_302600_NS6detail15normal_iteratorINS9_10device_ptrIiEEEEPS5_jNS1_19radix_merge_compareILb0ELb0EiNS0_19identity_decomposerEEEEE10hipError_tT0_T1_T2_jT3_P12ihipStream_tbPNSt15iterator_traitsISK_E10value_typeEPNSQ_ISL_E10value_typeEPSM_NS1_7vsmem_tEENKUlT_SK_SL_SM_E_clISE_PiSF_SF_EESJ_SZ_SK_SL_SM_EUlSZ_E0_NS1_11comp_targetILNS1_3genE10ELNS1_11target_archE1201ELNS1_3gpuE5ELNS1_3repE0EEENS1_38merge_mergepath_config_static_selectorELNS0_4arch9wavefront6targetE1EEEvSL_
    .private_segment_fixed_size: 0
    .sgpr_count:     6
    .sgpr_spill_count: 0
    .symbol:         _ZN7rocprim17ROCPRIM_400000_NS6detail17trampoline_kernelINS0_14default_configENS1_38merge_sort_block_merge_config_selectorIiNS0_10empty_typeEEEZZNS1_27merge_sort_block_merge_implIS3_N6thrust23THRUST_200600_302600_NS6detail15normal_iteratorINS9_10device_ptrIiEEEEPS5_jNS1_19radix_merge_compareILb0ELb0EiNS0_19identity_decomposerEEEEE10hipError_tT0_T1_T2_jT3_P12ihipStream_tbPNSt15iterator_traitsISK_E10value_typeEPNSQ_ISL_E10value_typeEPSM_NS1_7vsmem_tEENKUlT_SK_SL_SM_E_clISE_PiSF_SF_EESJ_SZ_SK_SL_SM_EUlSZ_E0_NS1_11comp_targetILNS1_3genE10ELNS1_11target_archE1201ELNS1_3gpuE5ELNS1_3repE0EEENS1_38merge_mergepath_config_static_selectorELNS0_4arch9wavefront6targetE1EEEvSL_.kd
    .uniform_work_group_size: 1
    .uses_dynamic_stack: false
    .vgpr_count:     0
    .vgpr_spill_count: 0
    .wavefront_size: 64
  - .agpr_count:     0
    .args:
      - .offset:         0
        .size:           64
        .value_kind:     by_value
      - .offset:         64
        .size:           4
        .value_kind:     hidden_block_count_x
      - .offset:         68
        .size:           4
        .value_kind:     hidden_block_count_y
      - .offset:         72
        .size:           4
        .value_kind:     hidden_block_count_z
      - .offset:         76
        .size:           2
        .value_kind:     hidden_group_size_x
      - .offset:         78
        .size:           2
        .value_kind:     hidden_group_size_y
      - .offset:         80
        .size:           2
        .value_kind:     hidden_group_size_z
      - .offset:         82
        .size:           2
        .value_kind:     hidden_remainder_x
      - .offset:         84
        .size:           2
        .value_kind:     hidden_remainder_y
      - .offset:         86
        .size:           2
        .value_kind:     hidden_remainder_z
      - .offset:         104
        .size:           8
        .value_kind:     hidden_global_offset_x
      - .offset:         112
        .size:           8
        .value_kind:     hidden_global_offset_y
      - .offset:         120
        .size:           8
        .value_kind:     hidden_global_offset_z
      - .offset:         128
        .size:           2
        .value_kind:     hidden_grid_dims
    .group_segment_fixed_size: 4224
    .kernarg_segment_align: 8
    .kernarg_segment_size: 320
    .language:       OpenCL C
    .language_version:
      - 2
      - 0
    .max_flat_workgroup_size: 128
    .name:           _ZN7rocprim17ROCPRIM_400000_NS6detail17trampoline_kernelINS0_14default_configENS1_38merge_sort_block_merge_config_selectorIiNS0_10empty_typeEEEZZNS1_27merge_sort_block_merge_implIS3_N6thrust23THRUST_200600_302600_NS6detail15normal_iteratorINS9_10device_ptrIiEEEEPS5_jNS1_19radix_merge_compareILb0ELb0EiNS0_19identity_decomposerEEEEE10hipError_tT0_T1_T2_jT3_P12ihipStream_tbPNSt15iterator_traitsISK_E10value_typeEPNSQ_ISL_E10value_typeEPSM_NS1_7vsmem_tEENKUlT_SK_SL_SM_E_clISE_PiSF_SF_EESJ_SZ_SK_SL_SM_EUlSZ_E0_NS1_11comp_targetILNS1_3genE5ELNS1_11target_archE942ELNS1_3gpuE9ELNS1_3repE0EEENS1_38merge_mergepath_config_static_selectorELNS0_4arch9wavefront6targetE1EEEvSL_
    .private_segment_fixed_size: 0
    .sgpr_count:     30
    .sgpr_spill_count: 0
    .symbol:         _ZN7rocprim17ROCPRIM_400000_NS6detail17trampoline_kernelINS0_14default_configENS1_38merge_sort_block_merge_config_selectorIiNS0_10empty_typeEEEZZNS1_27merge_sort_block_merge_implIS3_N6thrust23THRUST_200600_302600_NS6detail15normal_iteratorINS9_10device_ptrIiEEEEPS5_jNS1_19radix_merge_compareILb0ELb0EiNS0_19identity_decomposerEEEEE10hipError_tT0_T1_T2_jT3_P12ihipStream_tbPNSt15iterator_traitsISK_E10value_typeEPNSQ_ISL_E10value_typeEPSM_NS1_7vsmem_tEENKUlT_SK_SL_SM_E_clISE_PiSF_SF_EESJ_SZ_SK_SL_SM_EUlSZ_E0_NS1_11comp_targetILNS1_3genE5ELNS1_11target_archE942ELNS1_3gpuE9ELNS1_3repE0EEENS1_38merge_mergepath_config_static_selectorELNS0_4arch9wavefront6targetE1EEEvSL_.kd
    .uniform_work_group_size: 1
    .uses_dynamic_stack: false
    .vgpr_count:     26
    .vgpr_spill_count: 0
    .wavefront_size: 64
  - .agpr_count:     0
    .args:
      - .offset:         0
        .size:           64
        .value_kind:     by_value
    .group_segment_fixed_size: 0
    .kernarg_segment_align: 8
    .kernarg_segment_size: 64
    .language:       OpenCL C
    .language_version:
      - 2
      - 0
    .max_flat_workgroup_size: 128
    .name:           _ZN7rocprim17ROCPRIM_400000_NS6detail17trampoline_kernelINS0_14default_configENS1_38merge_sort_block_merge_config_selectorIiNS0_10empty_typeEEEZZNS1_27merge_sort_block_merge_implIS3_N6thrust23THRUST_200600_302600_NS6detail15normal_iteratorINS9_10device_ptrIiEEEEPS5_jNS1_19radix_merge_compareILb0ELb0EiNS0_19identity_decomposerEEEEE10hipError_tT0_T1_T2_jT3_P12ihipStream_tbPNSt15iterator_traitsISK_E10value_typeEPNSQ_ISL_E10value_typeEPSM_NS1_7vsmem_tEENKUlT_SK_SL_SM_E_clISE_PiSF_SF_EESJ_SZ_SK_SL_SM_EUlSZ_E0_NS1_11comp_targetILNS1_3genE4ELNS1_11target_archE910ELNS1_3gpuE8ELNS1_3repE0EEENS1_38merge_mergepath_config_static_selectorELNS0_4arch9wavefront6targetE1EEEvSL_
    .private_segment_fixed_size: 0
    .sgpr_count:     6
    .sgpr_spill_count: 0
    .symbol:         _ZN7rocprim17ROCPRIM_400000_NS6detail17trampoline_kernelINS0_14default_configENS1_38merge_sort_block_merge_config_selectorIiNS0_10empty_typeEEEZZNS1_27merge_sort_block_merge_implIS3_N6thrust23THRUST_200600_302600_NS6detail15normal_iteratorINS9_10device_ptrIiEEEEPS5_jNS1_19radix_merge_compareILb0ELb0EiNS0_19identity_decomposerEEEEE10hipError_tT0_T1_T2_jT3_P12ihipStream_tbPNSt15iterator_traitsISK_E10value_typeEPNSQ_ISL_E10value_typeEPSM_NS1_7vsmem_tEENKUlT_SK_SL_SM_E_clISE_PiSF_SF_EESJ_SZ_SK_SL_SM_EUlSZ_E0_NS1_11comp_targetILNS1_3genE4ELNS1_11target_archE910ELNS1_3gpuE8ELNS1_3repE0EEENS1_38merge_mergepath_config_static_selectorELNS0_4arch9wavefront6targetE1EEEvSL_.kd
    .uniform_work_group_size: 1
    .uses_dynamic_stack: false
    .vgpr_count:     0
    .vgpr_spill_count: 0
    .wavefront_size: 64
  - .agpr_count:     0
    .args:
      - .offset:         0
        .size:           64
        .value_kind:     by_value
    .group_segment_fixed_size: 0
    .kernarg_segment_align: 8
    .kernarg_segment_size: 64
    .language:       OpenCL C
    .language_version:
      - 2
      - 0
    .max_flat_workgroup_size: 128
    .name:           _ZN7rocprim17ROCPRIM_400000_NS6detail17trampoline_kernelINS0_14default_configENS1_38merge_sort_block_merge_config_selectorIiNS0_10empty_typeEEEZZNS1_27merge_sort_block_merge_implIS3_N6thrust23THRUST_200600_302600_NS6detail15normal_iteratorINS9_10device_ptrIiEEEEPS5_jNS1_19radix_merge_compareILb0ELb0EiNS0_19identity_decomposerEEEEE10hipError_tT0_T1_T2_jT3_P12ihipStream_tbPNSt15iterator_traitsISK_E10value_typeEPNSQ_ISL_E10value_typeEPSM_NS1_7vsmem_tEENKUlT_SK_SL_SM_E_clISE_PiSF_SF_EESJ_SZ_SK_SL_SM_EUlSZ_E0_NS1_11comp_targetILNS1_3genE3ELNS1_11target_archE908ELNS1_3gpuE7ELNS1_3repE0EEENS1_38merge_mergepath_config_static_selectorELNS0_4arch9wavefront6targetE1EEEvSL_
    .private_segment_fixed_size: 0
    .sgpr_count:     6
    .sgpr_spill_count: 0
    .symbol:         _ZN7rocprim17ROCPRIM_400000_NS6detail17trampoline_kernelINS0_14default_configENS1_38merge_sort_block_merge_config_selectorIiNS0_10empty_typeEEEZZNS1_27merge_sort_block_merge_implIS3_N6thrust23THRUST_200600_302600_NS6detail15normal_iteratorINS9_10device_ptrIiEEEEPS5_jNS1_19radix_merge_compareILb0ELb0EiNS0_19identity_decomposerEEEEE10hipError_tT0_T1_T2_jT3_P12ihipStream_tbPNSt15iterator_traitsISK_E10value_typeEPNSQ_ISL_E10value_typeEPSM_NS1_7vsmem_tEENKUlT_SK_SL_SM_E_clISE_PiSF_SF_EESJ_SZ_SK_SL_SM_EUlSZ_E0_NS1_11comp_targetILNS1_3genE3ELNS1_11target_archE908ELNS1_3gpuE7ELNS1_3repE0EEENS1_38merge_mergepath_config_static_selectorELNS0_4arch9wavefront6targetE1EEEvSL_.kd
    .uniform_work_group_size: 1
    .uses_dynamic_stack: false
    .vgpr_count:     0
    .vgpr_spill_count: 0
    .wavefront_size: 64
  - .agpr_count:     0
    .args:
      - .offset:         0
        .size:           64
        .value_kind:     by_value
    .group_segment_fixed_size: 0
    .kernarg_segment_align: 8
    .kernarg_segment_size: 64
    .language:       OpenCL C
    .language_version:
      - 2
      - 0
    .max_flat_workgroup_size: 128
    .name:           _ZN7rocprim17ROCPRIM_400000_NS6detail17trampoline_kernelINS0_14default_configENS1_38merge_sort_block_merge_config_selectorIiNS0_10empty_typeEEEZZNS1_27merge_sort_block_merge_implIS3_N6thrust23THRUST_200600_302600_NS6detail15normal_iteratorINS9_10device_ptrIiEEEEPS5_jNS1_19radix_merge_compareILb0ELb0EiNS0_19identity_decomposerEEEEE10hipError_tT0_T1_T2_jT3_P12ihipStream_tbPNSt15iterator_traitsISK_E10value_typeEPNSQ_ISL_E10value_typeEPSM_NS1_7vsmem_tEENKUlT_SK_SL_SM_E_clISE_PiSF_SF_EESJ_SZ_SK_SL_SM_EUlSZ_E0_NS1_11comp_targetILNS1_3genE2ELNS1_11target_archE906ELNS1_3gpuE6ELNS1_3repE0EEENS1_38merge_mergepath_config_static_selectorELNS0_4arch9wavefront6targetE1EEEvSL_
    .private_segment_fixed_size: 0
    .sgpr_count:     6
    .sgpr_spill_count: 0
    .symbol:         _ZN7rocprim17ROCPRIM_400000_NS6detail17trampoline_kernelINS0_14default_configENS1_38merge_sort_block_merge_config_selectorIiNS0_10empty_typeEEEZZNS1_27merge_sort_block_merge_implIS3_N6thrust23THRUST_200600_302600_NS6detail15normal_iteratorINS9_10device_ptrIiEEEEPS5_jNS1_19radix_merge_compareILb0ELb0EiNS0_19identity_decomposerEEEEE10hipError_tT0_T1_T2_jT3_P12ihipStream_tbPNSt15iterator_traitsISK_E10value_typeEPNSQ_ISL_E10value_typeEPSM_NS1_7vsmem_tEENKUlT_SK_SL_SM_E_clISE_PiSF_SF_EESJ_SZ_SK_SL_SM_EUlSZ_E0_NS1_11comp_targetILNS1_3genE2ELNS1_11target_archE906ELNS1_3gpuE6ELNS1_3repE0EEENS1_38merge_mergepath_config_static_selectorELNS0_4arch9wavefront6targetE1EEEvSL_.kd
    .uniform_work_group_size: 1
    .uses_dynamic_stack: false
    .vgpr_count:     0
    .vgpr_spill_count: 0
    .wavefront_size: 64
  - .agpr_count:     0
    .args:
      - .offset:         0
        .size:           64
        .value_kind:     by_value
    .group_segment_fixed_size: 0
    .kernarg_segment_align: 8
    .kernarg_segment_size: 64
    .language:       OpenCL C
    .language_version:
      - 2
      - 0
    .max_flat_workgroup_size: 256
    .name:           _ZN7rocprim17ROCPRIM_400000_NS6detail17trampoline_kernelINS0_14default_configENS1_38merge_sort_block_merge_config_selectorIiNS0_10empty_typeEEEZZNS1_27merge_sort_block_merge_implIS3_N6thrust23THRUST_200600_302600_NS6detail15normal_iteratorINS9_10device_ptrIiEEEEPS5_jNS1_19radix_merge_compareILb0ELb0EiNS0_19identity_decomposerEEEEE10hipError_tT0_T1_T2_jT3_P12ihipStream_tbPNSt15iterator_traitsISK_E10value_typeEPNSQ_ISL_E10value_typeEPSM_NS1_7vsmem_tEENKUlT_SK_SL_SM_E_clISE_PiSF_SF_EESJ_SZ_SK_SL_SM_EUlSZ_E0_NS1_11comp_targetILNS1_3genE9ELNS1_11target_archE1100ELNS1_3gpuE3ELNS1_3repE0EEENS1_38merge_mergepath_config_static_selectorELNS0_4arch9wavefront6targetE1EEEvSL_
    .private_segment_fixed_size: 0
    .sgpr_count:     6
    .sgpr_spill_count: 0
    .symbol:         _ZN7rocprim17ROCPRIM_400000_NS6detail17trampoline_kernelINS0_14default_configENS1_38merge_sort_block_merge_config_selectorIiNS0_10empty_typeEEEZZNS1_27merge_sort_block_merge_implIS3_N6thrust23THRUST_200600_302600_NS6detail15normal_iteratorINS9_10device_ptrIiEEEEPS5_jNS1_19radix_merge_compareILb0ELb0EiNS0_19identity_decomposerEEEEE10hipError_tT0_T1_T2_jT3_P12ihipStream_tbPNSt15iterator_traitsISK_E10value_typeEPNSQ_ISL_E10value_typeEPSM_NS1_7vsmem_tEENKUlT_SK_SL_SM_E_clISE_PiSF_SF_EESJ_SZ_SK_SL_SM_EUlSZ_E0_NS1_11comp_targetILNS1_3genE9ELNS1_11target_archE1100ELNS1_3gpuE3ELNS1_3repE0EEENS1_38merge_mergepath_config_static_selectorELNS0_4arch9wavefront6targetE1EEEvSL_.kd
    .uniform_work_group_size: 1
    .uses_dynamic_stack: false
    .vgpr_count:     0
    .vgpr_spill_count: 0
    .wavefront_size: 64
  - .agpr_count:     0
    .args:
      - .offset:         0
        .size:           64
        .value_kind:     by_value
    .group_segment_fixed_size: 0
    .kernarg_segment_align: 8
    .kernarg_segment_size: 64
    .language:       OpenCL C
    .language_version:
      - 2
      - 0
    .max_flat_workgroup_size: 512
    .name:           _ZN7rocprim17ROCPRIM_400000_NS6detail17trampoline_kernelINS0_14default_configENS1_38merge_sort_block_merge_config_selectorIiNS0_10empty_typeEEEZZNS1_27merge_sort_block_merge_implIS3_N6thrust23THRUST_200600_302600_NS6detail15normal_iteratorINS9_10device_ptrIiEEEEPS5_jNS1_19radix_merge_compareILb0ELb0EiNS0_19identity_decomposerEEEEE10hipError_tT0_T1_T2_jT3_P12ihipStream_tbPNSt15iterator_traitsISK_E10value_typeEPNSQ_ISL_E10value_typeEPSM_NS1_7vsmem_tEENKUlT_SK_SL_SM_E_clISE_PiSF_SF_EESJ_SZ_SK_SL_SM_EUlSZ_E0_NS1_11comp_targetILNS1_3genE8ELNS1_11target_archE1030ELNS1_3gpuE2ELNS1_3repE0EEENS1_38merge_mergepath_config_static_selectorELNS0_4arch9wavefront6targetE1EEEvSL_
    .private_segment_fixed_size: 0
    .sgpr_count:     6
    .sgpr_spill_count: 0
    .symbol:         _ZN7rocprim17ROCPRIM_400000_NS6detail17trampoline_kernelINS0_14default_configENS1_38merge_sort_block_merge_config_selectorIiNS0_10empty_typeEEEZZNS1_27merge_sort_block_merge_implIS3_N6thrust23THRUST_200600_302600_NS6detail15normal_iteratorINS9_10device_ptrIiEEEEPS5_jNS1_19radix_merge_compareILb0ELb0EiNS0_19identity_decomposerEEEEE10hipError_tT0_T1_T2_jT3_P12ihipStream_tbPNSt15iterator_traitsISK_E10value_typeEPNSQ_ISL_E10value_typeEPSM_NS1_7vsmem_tEENKUlT_SK_SL_SM_E_clISE_PiSF_SF_EESJ_SZ_SK_SL_SM_EUlSZ_E0_NS1_11comp_targetILNS1_3genE8ELNS1_11target_archE1030ELNS1_3gpuE2ELNS1_3repE0EEENS1_38merge_mergepath_config_static_selectorELNS0_4arch9wavefront6targetE1EEEvSL_.kd
    .uniform_work_group_size: 1
    .uses_dynamic_stack: false
    .vgpr_count:     0
    .vgpr_spill_count: 0
    .wavefront_size: 64
  - .agpr_count:     0
    .args:
      - .offset:         0
        .size:           48
        .value_kind:     by_value
    .group_segment_fixed_size: 0
    .kernarg_segment_align: 8
    .kernarg_segment_size: 48
    .language:       OpenCL C
    .language_version:
      - 2
      - 0
    .max_flat_workgroup_size: 256
    .name:           _ZN7rocprim17ROCPRIM_400000_NS6detail17trampoline_kernelINS0_14default_configENS1_38merge_sort_block_merge_config_selectorIiNS0_10empty_typeEEEZZNS1_27merge_sort_block_merge_implIS3_N6thrust23THRUST_200600_302600_NS6detail15normal_iteratorINS9_10device_ptrIiEEEEPS5_jNS1_19radix_merge_compareILb0ELb0EiNS0_19identity_decomposerEEEEE10hipError_tT0_T1_T2_jT3_P12ihipStream_tbPNSt15iterator_traitsISK_E10value_typeEPNSQ_ISL_E10value_typeEPSM_NS1_7vsmem_tEENKUlT_SK_SL_SM_E_clISE_PiSF_SF_EESJ_SZ_SK_SL_SM_EUlSZ_E1_NS1_11comp_targetILNS1_3genE0ELNS1_11target_archE4294967295ELNS1_3gpuE0ELNS1_3repE0EEENS1_36merge_oddeven_config_static_selectorELNS0_4arch9wavefront6targetE1EEEvSL_
    .private_segment_fixed_size: 0
    .sgpr_count:     6
    .sgpr_spill_count: 0
    .symbol:         _ZN7rocprim17ROCPRIM_400000_NS6detail17trampoline_kernelINS0_14default_configENS1_38merge_sort_block_merge_config_selectorIiNS0_10empty_typeEEEZZNS1_27merge_sort_block_merge_implIS3_N6thrust23THRUST_200600_302600_NS6detail15normal_iteratorINS9_10device_ptrIiEEEEPS5_jNS1_19radix_merge_compareILb0ELb0EiNS0_19identity_decomposerEEEEE10hipError_tT0_T1_T2_jT3_P12ihipStream_tbPNSt15iterator_traitsISK_E10value_typeEPNSQ_ISL_E10value_typeEPSM_NS1_7vsmem_tEENKUlT_SK_SL_SM_E_clISE_PiSF_SF_EESJ_SZ_SK_SL_SM_EUlSZ_E1_NS1_11comp_targetILNS1_3genE0ELNS1_11target_archE4294967295ELNS1_3gpuE0ELNS1_3repE0EEENS1_36merge_oddeven_config_static_selectorELNS0_4arch9wavefront6targetE1EEEvSL_.kd
    .uniform_work_group_size: 1
    .uses_dynamic_stack: false
    .vgpr_count:     0
    .vgpr_spill_count: 0
    .wavefront_size: 64
  - .agpr_count:     0
    .args:
      - .offset:         0
        .size:           48
        .value_kind:     by_value
    .group_segment_fixed_size: 0
    .kernarg_segment_align: 8
    .kernarg_segment_size: 48
    .language:       OpenCL C
    .language_version:
      - 2
      - 0
    .max_flat_workgroup_size: 256
    .name:           _ZN7rocprim17ROCPRIM_400000_NS6detail17trampoline_kernelINS0_14default_configENS1_38merge_sort_block_merge_config_selectorIiNS0_10empty_typeEEEZZNS1_27merge_sort_block_merge_implIS3_N6thrust23THRUST_200600_302600_NS6detail15normal_iteratorINS9_10device_ptrIiEEEEPS5_jNS1_19radix_merge_compareILb0ELb0EiNS0_19identity_decomposerEEEEE10hipError_tT0_T1_T2_jT3_P12ihipStream_tbPNSt15iterator_traitsISK_E10value_typeEPNSQ_ISL_E10value_typeEPSM_NS1_7vsmem_tEENKUlT_SK_SL_SM_E_clISE_PiSF_SF_EESJ_SZ_SK_SL_SM_EUlSZ_E1_NS1_11comp_targetILNS1_3genE10ELNS1_11target_archE1201ELNS1_3gpuE5ELNS1_3repE0EEENS1_36merge_oddeven_config_static_selectorELNS0_4arch9wavefront6targetE1EEEvSL_
    .private_segment_fixed_size: 0
    .sgpr_count:     6
    .sgpr_spill_count: 0
    .symbol:         _ZN7rocprim17ROCPRIM_400000_NS6detail17trampoline_kernelINS0_14default_configENS1_38merge_sort_block_merge_config_selectorIiNS0_10empty_typeEEEZZNS1_27merge_sort_block_merge_implIS3_N6thrust23THRUST_200600_302600_NS6detail15normal_iteratorINS9_10device_ptrIiEEEEPS5_jNS1_19radix_merge_compareILb0ELb0EiNS0_19identity_decomposerEEEEE10hipError_tT0_T1_T2_jT3_P12ihipStream_tbPNSt15iterator_traitsISK_E10value_typeEPNSQ_ISL_E10value_typeEPSM_NS1_7vsmem_tEENKUlT_SK_SL_SM_E_clISE_PiSF_SF_EESJ_SZ_SK_SL_SM_EUlSZ_E1_NS1_11comp_targetILNS1_3genE10ELNS1_11target_archE1201ELNS1_3gpuE5ELNS1_3repE0EEENS1_36merge_oddeven_config_static_selectorELNS0_4arch9wavefront6targetE1EEEvSL_.kd
    .uniform_work_group_size: 1
    .uses_dynamic_stack: false
    .vgpr_count:     0
    .vgpr_spill_count: 0
    .wavefront_size: 64
  - .agpr_count:     0
    .args:
      - .offset:         0
        .size:           48
        .value_kind:     by_value
    .group_segment_fixed_size: 0
    .kernarg_segment_align: 8
    .kernarg_segment_size: 48
    .language:       OpenCL C
    .language_version:
      - 2
      - 0
    .max_flat_workgroup_size: 256
    .name:           _ZN7rocprim17ROCPRIM_400000_NS6detail17trampoline_kernelINS0_14default_configENS1_38merge_sort_block_merge_config_selectorIiNS0_10empty_typeEEEZZNS1_27merge_sort_block_merge_implIS3_N6thrust23THRUST_200600_302600_NS6detail15normal_iteratorINS9_10device_ptrIiEEEEPS5_jNS1_19radix_merge_compareILb0ELb0EiNS0_19identity_decomposerEEEEE10hipError_tT0_T1_T2_jT3_P12ihipStream_tbPNSt15iterator_traitsISK_E10value_typeEPNSQ_ISL_E10value_typeEPSM_NS1_7vsmem_tEENKUlT_SK_SL_SM_E_clISE_PiSF_SF_EESJ_SZ_SK_SL_SM_EUlSZ_E1_NS1_11comp_targetILNS1_3genE5ELNS1_11target_archE942ELNS1_3gpuE9ELNS1_3repE0EEENS1_36merge_oddeven_config_static_selectorELNS0_4arch9wavefront6targetE1EEEvSL_
    .private_segment_fixed_size: 0
    .sgpr_count:     25
    .sgpr_spill_count: 0
    .symbol:         _ZN7rocprim17ROCPRIM_400000_NS6detail17trampoline_kernelINS0_14default_configENS1_38merge_sort_block_merge_config_selectorIiNS0_10empty_typeEEEZZNS1_27merge_sort_block_merge_implIS3_N6thrust23THRUST_200600_302600_NS6detail15normal_iteratorINS9_10device_ptrIiEEEEPS5_jNS1_19radix_merge_compareILb0ELb0EiNS0_19identity_decomposerEEEEE10hipError_tT0_T1_T2_jT3_P12ihipStream_tbPNSt15iterator_traitsISK_E10value_typeEPNSQ_ISL_E10value_typeEPSM_NS1_7vsmem_tEENKUlT_SK_SL_SM_E_clISE_PiSF_SF_EESJ_SZ_SK_SL_SM_EUlSZ_E1_NS1_11comp_targetILNS1_3genE5ELNS1_11target_archE942ELNS1_3gpuE9ELNS1_3repE0EEENS1_36merge_oddeven_config_static_selectorELNS0_4arch9wavefront6targetE1EEEvSL_.kd
    .uniform_work_group_size: 1
    .uses_dynamic_stack: false
    .vgpr_count:     9
    .vgpr_spill_count: 0
    .wavefront_size: 64
  - .agpr_count:     0
    .args:
      - .offset:         0
        .size:           48
        .value_kind:     by_value
    .group_segment_fixed_size: 0
    .kernarg_segment_align: 8
    .kernarg_segment_size: 48
    .language:       OpenCL C
    .language_version:
      - 2
      - 0
    .max_flat_workgroup_size: 256
    .name:           _ZN7rocprim17ROCPRIM_400000_NS6detail17trampoline_kernelINS0_14default_configENS1_38merge_sort_block_merge_config_selectorIiNS0_10empty_typeEEEZZNS1_27merge_sort_block_merge_implIS3_N6thrust23THRUST_200600_302600_NS6detail15normal_iteratorINS9_10device_ptrIiEEEEPS5_jNS1_19radix_merge_compareILb0ELb0EiNS0_19identity_decomposerEEEEE10hipError_tT0_T1_T2_jT3_P12ihipStream_tbPNSt15iterator_traitsISK_E10value_typeEPNSQ_ISL_E10value_typeEPSM_NS1_7vsmem_tEENKUlT_SK_SL_SM_E_clISE_PiSF_SF_EESJ_SZ_SK_SL_SM_EUlSZ_E1_NS1_11comp_targetILNS1_3genE4ELNS1_11target_archE910ELNS1_3gpuE8ELNS1_3repE0EEENS1_36merge_oddeven_config_static_selectorELNS0_4arch9wavefront6targetE1EEEvSL_
    .private_segment_fixed_size: 0
    .sgpr_count:     6
    .sgpr_spill_count: 0
    .symbol:         _ZN7rocprim17ROCPRIM_400000_NS6detail17trampoline_kernelINS0_14default_configENS1_38merge_sort_block_merge_config_selectorIiNS0_10empty_typeEEEZZNS1_27merge_sort_block_merge_implIS3_N6thrust23THRUST_200600_302600_NS6detail15normal_iteratorINS9_10device_ptrIiEEEEPS5_jNS1_19radix_merge_compareILb0ELb0EiNS0_19identity_decomposerEEEEE10hipError_tT0_T1_T2_jT3_P12ihipStream_tbPNSt15iterator_traitsISK_E10value_typeEPNSQ_ISL_E10value_typeEPSM_NS1_7vsmem_tEENKUlT_SK_SL_SM_E_clISE_PiSF_SF_EESJ_SZ_SK_SL_SM_EUlSZ_E1_NS1_11comp_targetILNS1_3genE4ELNS1_11target_archE910ELNS1_3gpuE8ELNS1_3repE0EEENS1_36merge_oddeven_config_static_selectorELNS0_4arch9wavefront6targetE1EEEvSL_.kd
    .uniform_work_group_size: 1
    .uses_dynamic_stack: false
    .vgpr_count:     0
    .vgpr_spill_count: 0
    .wavefront_size: 64
  - .agpr_count:     0
    .args:
      - .offset:         0
        .size:           48
        .value_kind:     by_value
    .group_segment_fixed_size: 0
    .kernarg_segment_align: 8
    .kernarg_segment_size: 48
    .language:       OpenCL C
    .language_version:
      - 2
      - 0
    .max_flat_workgroup_size: 256
    .name:           _ZN7rocprim17ROCPRIM_400000_NS6detail17trampoline_kernelINS0_14default_configENS1_38merge_sort_block_merge_config_selectorIiNS0_10empty_typeEEEZZNS1_27merge_sort_block_merge_implIS3_N6thrust23THRUST_200600_302600_NS6detail15normal_iteratorINS9_10device_ptrIiEEEEPS5_jNS1_19radix_merge_compareILb0ELb0EiNS0_19identity_decomposerEEEEE10hipError_tT0_T1_T2_jT3_P12ihipStream_tbPNSt15iterator_traitsISK_E10value_typeEPNSQ_ISL_E10value_typeEPSM_NS1_7vsmem_tEENKUlT_SK_SL_SM_E_clISE_PiSF_SF_EESJ_SZ_SK_SL_SM_EUlSZ_E1_NS1_11comp_targetILNS1_3genE3ELNS1_11target_archE908ELNS1_3gpuE7ELNS1_3repE0EEENS1_36merge_oddeven_config_static_selectorELNS0_4arch9wavefront6targetE1EEEvSL_
    .private_segment_fixed_size: 0
    .sgpr_count:     6
    .sgpr_spill_count: 0
    .symbol:         _ZN7rocprim17ROCPRIM_400000_NS6detail17trampoline_kernelINS0_14default_configENS1_38merge_sort_block_merge_config_selectorIiNS0_10empty_typeEEEZZNS1_27merge_sort_block_merge_implIS3_N6thrust23THRUST_200600_302600_NS6detail15normal_iteratorINS9_10device_ptrIiEEEEPS5_jNS1_19radix_merge_compareILb0ELb0EiNS0_19identity_decomposerEEEEE10hipError_tT0_T1_T2_jT3_P12ihipStream_tbPNSt15iterator_traitsISK_E10value_typeEPNSQ_ISL_E10value_typeEPSM_NS1_7vsmem_tEENKUlT_SK_SL_SM_E_clISE_PiSF_SF_EESJ_SZ_SK_SL_SM_EUlSZ_E1_NS1_11comp_targetILNS1_3genE3ELNS1_11target_archE908ELNS1_3gpuE7ELNS1_3repE0EEENS1_36merge_oddeven_config_static_selectorELNS0_4arch9wavefront6targetE1EEEvSL_.kd
    .uniform_work_group_size: 1
    .uses_dynamic_stack: false
    .vgpr_count:     0
    .vgpr_spill_count: 0
    .wavefront_size: 64
  - .agpr_count:     0
    .args:
      - .offset:         0
        .size:           48
        .value_kind:     by_value
    .group_segment_fixed_size: 0
    .kernarg_segment_align: 8
    .kernarg_segment_size: 48
    .language:       OpenCL C
    .language_version:
      - 2
      - 0
    .max_flat_workgroup_size: 256
    .name:           _ZN7rocprim17ROCPRIM_400000_NS6detail17trampoline_kernelINS0_14default_configENS1_38merge_sort_block_merge_config_selectorIiNS0_10empty_typeEEEZZNS1_27merge_sort_block_merge_implIS3_N6thrust23THRUST_200600_302600_NS6detail15normal_iteratorINS9_10device_ptrIiEEEEPS5_jNS1_19radix_merge_compareILb0ELb0EiNS0_19identity_decomposerEEEEE10hipError_tT0_T1_T2_jT3_P12ihipStream_tbPNSt15iterator_traitsISK_E10value_typeEPNSQ_ISL_E10value_typeEPSM_NS1_7vsmem_tEENKUlT_SK_SL_SM_E_clISE_PiSF_SF_EESJ_SZ_SK_SL_SM_EUlSZ_E1_NS1_11comp_targetILNS1_3genE2ELNS1_11target_archE906ELNS1_3gpuE6ELNS1_3repE0EEENS1_36merge_oddeven_config_static_selectorELNS0_4arch9wavefront6targetE1EEEvSL_
    .private_segment_fixed_size: 0
    .sgpr_count:     6
    .sgpr_spill_count: 0
    .symbol:         _ZN7rocprim17ROCPRIM_400000_NS6detail17trampoline_kernelINS0_14default_configENS1_38merge_sort_block_merge_config_selectorIiNS0_10empty_typeEEEZZNS1_27merge_sort_block_merge_implIS3_N6thrust23THRUST_200600_302600_NS6detail15normal_iteratorINS9_10device_ptrIiEEEEPS5_jNS1_19radix_merge_compareILb0ELb0EiNS0_19identity_decomposerEEEEE10hipError_tT0_T1_T2_jT3_P12ihipStream_tbPNSt15iterator_traitsISK_E10value_typeEPNSQ_ISL_E10value_typeEPSM_NS1_7vsmem_tEENKUlT_SK_SL_SM_E_clISE_PiSF_SF_EESJ_SZ_SK_SL_SM_EUlSZ_E1_NS1_11comp_targetILNS1_3genE2ELNS1_11target_archE906ELNS1_3gpuE6ELNS1_3repE0EEENS1_36merge_oddeven_config_static_selectorELNS0_4arch9wavefront6targetE1EEEvSL_.kd
    .uniform_work_group_size: 1
    .uses_dynamic_stack: false
    .vgpr_count:     0
    .vgpr_spill_count: 0
    .wavefront_size: 64
  - .agpr_count:     0
    .args:
      - .offset:         0
        .size:           48
        .value_kind:     by_value
    .group_segment_fixed_size: 0
    .kernarg_segment_align: 8
    .kernarg_segment_size: 48
    .language:       OpenCL C
    .language_version:
      - 2
      - 0
    .max_flat_workgroup_size: 256
    .name:           _ZN7rocprim17ROCPRIM_400000_NS6detail17trampoline_kernelINS0_14default_configENS1_38merge_sort_block_merge_config_selectorIiNS0_10empty_typeEEEZZNS1_27merge_sort_block_merge_implIS3_N6thrust23THRUST_200600_302600_NS6detail15normal_iteratorINS9_10device_ptrIiEEEEPS5_jNS1_19radix_merge_compareILb0ELb0EiNS0_19identity_decomposerEEEEE10hipError_tT0_T1_T2_jT3_P12ihipStream_tbPNSt15iterator_traitsISK_E10value_typeEPNSQ_ISL_E10value_typeEPSM_NS1_7vsmem_tEENKUlT_SK_SL_SM_E_clISE_PiSF_SF_EESJ_SZ_SK_SL_SM_EUlSZ_E1_NS1_11comp_targetILNS1_3genE9ELNS1_11target_archE1100ELNS1_3gpuE3ELNS1_3repE0EEENS1_36merge_oddeven_config_static_selectorELNS0_4arch9wavefront6targetE1EEEvSL_
    .private_segment_fixed_size: 0
    .sgpr_count:     6
    .sgpr_spill_count: 0
    .symbol:         _ZN7rocprim17ROCPRIM_400000_NS6detail17trampoline_kernelINS0_14default_configENS1_38merge_sort_block_merge_config_selectorIiNS0_10empty_typeEEEZZNS1_27merge_sort_block_merge_implIS3_N6thrust23THRUST_200600_302600_NS6detail15normal_iteratorINS9_10device_ptrIiEEEEPS5_jNS1_19radix_merge_compareILb0ELb0EiNS0_19identity_decomposerEEEEE10hipError_tT0_T1_T2_jT3_P12ihipStream_tbPNSt15iterator_traitsISK_E10value_typeEPNSQ_ISL_E10value_typeEPSM_NS1_7vsmem_tEENKUlT_SK_SL_SM_E_clISE_PiSF_SF_EESJ_SZ_SK_SL_SM_EUlSZ_E1_NS1_11comp_targetILNS1_3genE9ELNS1_11target_archE1100ELNS1_3gpuE3ELNS1_3repE0EEENS1_36merge_oddeven_config_static_selectorELNS0_4arch9wavefront6targetE1EEEvSL_.kd
    .uniform_work_group_size: 1
    .uses_dynamic_stack: false
    .vgpr_count:     0
    .vgpr_spill_count: 0
    .wavefront_size: 64
  - .agpr_count:     0
    .args:
      - .offset:         0
        .size:           48
        .value_kind:     by_value
    .group_segment_fixed_size: 0
    .kernarg_segment_align: 8
    .kernarg_segment_size: 48
    .language:       OpenCL C
    .language_version:
      - 2
      - 0
    .max_flat_workgroup_size: 256
    .name:           _ZN7rocprim17ROCPRIM_400000_NS6detail17trampoline_kernelINS0_14default_configENS1_38merge_sort_block_merge_config_selectorIiNS0_10empty_typeEEEZZNS1_27merge_sort_block_merge_implIS3_N6thrust23THRUST_200600_302600_NS6detail15normal_iteratorINS9_10device_ptrIiEEEEPS5_jNS1_19radix_merge_compareILb0ELb0EiNS0_19identity_decomposerEEEEE10hipError_tT0_T1_T2_jT3_P12ihipStream_tbPNSt15iterator_traitsISK_E10value_typeEPNSQ_ISL_E10value_typeEPSM_NS1_7vsmem_tEENKUlT_SK_SL_SM_E_clISE_PiSF_SF_EESJ_SZ_SK_SL_SM_EUlSZ_E1_NS1_11comp_targetILNS1_3genE8ELNS1_11target_archE1030ELNS1_3gpuE2ELNS1_3repE0EEENS1_36merge_oddeven_config_static_selectorELNS0_4arch9wavefront6targetE1EEEvSL_
    .private_segment_fixed_size: 0
    .sgpr_count:     6
    .sgpr_spill_count: 0
    .symbol:         _ZN7rocprim17ROCPRIM_400000_NS6detail17trampoline_kernelINS0_14default_configENS1_38merge_sort_block_merge_config_selectorIiNS0_10empty_typeEEEZZNS1_27merge_sort_block_merge_implIS3_N6thrust23THRUST_200600_302600_NS6detail15normal_iteratorINS9_10device_ptrIiEEEEPS5_jNS1_19radix_merge_compareILb0ELb0EiNS0_19identity_decomposerEEEEE10hipError_tT0_T1_T2_jT3_P12ihipStream_tbPNSt15iterator_traitsISK_E10value_typeEPNSQ_ISL_E10value_typeEPSM_NS1_7vsmem_tEENKUlT_SK_SL_SM_E_clISE_PiSF_SF_EESJ_SZ_SK_SL_SM_EUlSZ_E1_NS1_11comp_targetILNS1_3genE8ELNS1_11target_archE1030ELNS1_3gpuE2ELNS1_3repE0EEENS1_36merge_oddeven_config_static_selectorELNS0_4arch9wavefront6targetE1EEEvSL_.kd
    .uniform_work_group_size: 1
    .uses_dynamic_stack: false
    .vgpr_count:     0
    .vgpr_spill_count: 0
    .wavefront_size: 64
  - .agpr_count:     0
    .args:
      - .offset:         0
        .size:           40
        .value_kind:     by_value
    .group_segment_fixed_size: 0
    .kernarg_segment_align: 8
    .kernarg_segment_size: 40
    .language:       OpenCL C
    .language_version:
      - 2
      - 0
    .max_flat_workgroup_size: 128
    .name:           _ZN7rocprim17ROCPRIM_400000_NS6detail17trampoline_kernelINS0_14default_configENS1_25transform_config_selectorIiLb0EEEZNS1_14transform_implILb0ES3_S5_PiN6thrust23THRUST_200600_302600_NS6detail15normal_iteratorINS9_10device_ptrIiEEEENS0_8identityIiEEEE10hipError_tT2_T3_mT4_P12ihipStream_tbEUlT_E_NS1_11comp_targetILNS1_3genE0ELNS1_11target_archE4294967295ELNS1_3gpuE0ELNS1_3repE0EEENS1_30default_config_static_selectorELNS0_4arch9wavefront6targetE1EEEvT1_
    .private_segment_fixed_size: 0
    .sgpr_count:     6
    .sgpr_spill_count: 0
    .symbol:         _ZN7rocprim17ROCPRIM_400000_NS6detail17trampoline_kernelINS0_14default_configENS1_25transform_config_selectorIiLb0EEEZNS1_14transform_implILb0ES3_S5_PiN6thrust23THRUST_200600_302600_NS6detail15normal_iteratorINS9_10device_ptrIiEEEENS0_8identityIiEEEE10hipError_tT2_T3_mT4_P12ihipStream_tbEUlT_E_NS1_11comp_targetILNS1_3genE0ELNS1_11target_archE4294967295ELNS1_3gpuE0ELNS1_3repE0EEENS1_30default_config_static_selectorELNS0_4arch9wavefront6targetE1EEEvT1_.kd
    .uniform_work_group_size: 1
    .uses_dynamic_stack: false
    .vgpr_count:     0
    .vgpr_spill_count: 0
    .wavefront_size: 64
  - .agpr_count:     0
    .args:
      - .offset:         0
        .size:           40
        .value_kind:     by_value
      - .offset:         40
        .size:           4
        .value_kind:     hidden_block_count_x
      - .offset:         44
        .size:           4
        .value_kind:     hidden_block_count_y
      - .offset:         48
        .size:           4
        .value_kind:     hidden_block_count_z
      - .offset:         52
        .size:           2
        .value_kind:     hidden_group_size_x
      - .offset:         54
        .size:           2
        .value_kind:     hidden_group_size_y
      - .offset:         56
        .size:           2
        .value_kind:     hidden_group_size_z
      - .offset:         58
        .size:           2
        .value_kind:     hidden_remainder_x
      - .offset:         60
        .size:           2
        .value_kind:     hidden_remainder_y
      - .offset:         62
        .size:           2
        .value_kind:     hidden_remainder_z
      - .offset:         80
        .size:           8
        .value_kind:     hidden_global_offset_x
      - .offset:         88
        .size:           8
        .value_kind:     hidden_global_offset_y
      - .offset:         96
        .size:           8
        .value_kind:     hidden_global_offset_z
      - .offset:         104
        .size:           2
        .value_kind:     hidden_grid_dims
    .group_segment_fixed_size: 0
    .kernarg_segment_align: 8
    .kernarg_segment_size: 296
    .language:       OpenCL C
    .language_version:
      - 2
      - 0
    .max_flat_workgroup_size: 512
    .name:           _ZN7rocprim17ROCPRIM_400000_NS6detail17trampoline_kernelINS0_14default_configENS1_25transform_config_selectorIiLb0EEEZNS1_14transform_implILb0ES3_S5_PiN6thrust23THRUST_200600_302600_NS6detail15normal_iteratorINS9_10device_ptrIiEEEENS0_8identityIiEEEE10hipError_tT2_T3_mT4_P12ihipStream_tbEUlT_E_NS1_11comp_targetILNS1_3genE5ELNS1_11target_archE942ELNS1_3gpuE9ELNS1_3repE0EEENS1_30default_config_static_selectorELNS0_4arch9wavefront6targetE1EEEvT1_
    .private_segment_fixed_size: 0
    .sgpr_count:     22
    .sgpr_spill_count: 0
    .symbol:         _ZN7rocprim17ROCPRIM_400000_NS6detail17trampoline_kernelINS0_14default_configENS1_25transform_config_selectorIiLb0EEEZNS1_14transform_implILb0ES3_S5_PiN6thrust23THRUST_200600_302600_NS6detail15normal_iteratorINS9_10device_ptrIiEEEENS0_8identityIiEEEE10hipError_tT2_T3_mT4_P12ihipStream_tbEUlT_E_NS1_11comp_targetILNS1_3genE5ELNS1_11target_archE942ELNS1_3gpuE9ELNS1_3repE0EEENS1_30default_config_static_selectorELNS0_4arch9wavefront6targetE1EEEvT1_.kd
    .uniform_work_group_size: 1
    .uses_dynamic_stack: false
    .vgpr_count:     11
    .vgpr_spill_count: 0
    .wavefront_size: 64
  - .agpr_count:     0
    .args:
      - .offset:         0
        .size:           40
        .value_kind:     by_value
    .group_segment_fixed_size: 0
    .kernarg_segment_align: 8
    .kernarg_segment_size: 40
    .language:       OpenCL C
    .language_version:
      - 2
      - 0
    .max_flat_workgroup_size: 1024
    .name:           _ZN7rocprim17ROCPRIM_400000_NS6detail17trampoline_kernelINS0_14default_configENS1_25transform_config_selectorIiLb0EEEZNS1_14transform_implILb0ES3_S5_PiN6thrust23THRUST_200600_302600_NS6detail15normal_iteratorINS9_10device_ptrIiEEEENS0_8identityIiEEEE10hipError_tT2_T3_mT4_P12ihipStream_tbEUlT_E_NS1_11comp_targetILNS1_3genE4ELNS1_11target_archE910ELNS1_3gpuE8ELNS1_3repE0EEENS1_30default_config_static_selectorELNS0_4arch9wavefront6targetE1EEEvT1_
    .private_segment_fixed_size: 0
    .sgpr_count:     6
    .sgpr_spill_count: 0
    .symbol:         _ZN7rocprim17ROCPRIM_400000_NS6detail17trampoline_kernelINS0_14default_configENS1_25transform_config_selectorIiLb0EEEZNS1_14transform_implILb0ES3_S5_PiN6thrust23THRUST_200600_302600_NS6detail15normal_iteratorINS9_10device_ptrIiEEEENS0_8identityIiEEEE10hipError_tT2_T3_mT4_P12ihipStream_tbEUlT_E_NS1_11comp_targetILNS1_3genE4ELNS1_11target_archE910ELNS1_3gpuE8ELNS1_3repE0EEENS1_30default_config_static_selectorELNS0_4arch9wavefront6targetE1EEEvT1_.kd
    .uniform_work_group_size: 1
    .uses_dynamic_stack: false
    .vgpr_count:     0
    .vgpr_spill_count: 0
    .wavefront_size: 64
  - .agpr_count:     0
    .args:
      - .offset:         0
        .size:           40
        .value_kind:     by_value
    .group_segment_fixed_size: 0
    .kernarg_segment_align: 8
    .kernarg_segment_size: 40
    .language:       OpenCL C
    .language_version:
      - 2
      - 0
    .max_flat_workgroup_size: 128
    .name:           _ZN7rocprim17ROCPRIM_400000_NS6detail17trampoline_kernelINS0_14default_configENS1_25transform_config_selectorIiLb0EEEZNS1_14transform_implILb0ES3_S5_PiN6thrust23THRUST_200600_302600_NS6detail15normal_iteratorINS9_10device_ptrIiEEEENS0_8identityIiEEEE10hipError_tT2_T3_mT4_P12ihipStream_tbEUlT_E_NS1_11comp_targetILNS1_3genE3ELNS1_11target_archE908ELNS1_3gpuE7ELNS1_3repE0EEENS1_30default_config_static_selectorELNS0_4arch9wavefront6targetE1EEEvT1_
    .private_segment_fixed_size: 0
    .sgpr_count:     6
    .sgpr_spill_count: 0
    .symbol:         _ZN7rocprim17ROCPRIM_400000_NS6detail17trampoline_kernelINS0_14default_configENS1_25transform_config_selectorIiLb0EEEZNS1_14transform_implILb0ES3_S5_PiN6thrust23THRUST_200600_302600_NS6detail15normal_iteratorINS9_10device_ptrIiEEEENS0_8identityIiEEEE10hipError_tT2_T3_mT4_P12ihipStream_tbEUlT_E_NS1_11comp_targetILNS1_3genE3ELNS1_11target_archE908ELNS1_3gpuE7ELNS1_3repE0EEENS1_30default_config_static_selectorELNS0_4arch9wavefront6targetE1EEEvT1_.kd
    .uniform_work_group_size: 1
    .uses_dynamic_stack: false
    .vgpr_count:     0
    .vgpr_spill_count: 0
    .wavefront_size: 64
  - .agpr_count:     0
    .args:
      - .offset:         0
        .size:           40
        .value_kind:     by_value
    .group_segment_fixed_size: 0
    .kernarg_segment_align: 8
    .kernarg_segment_size: 40
    .language:       OpenCL C
    .language_version:
      - 2
      - 0
    .max_flat_workgroup_size: 1024
    .name:           _ZN7rocprim17ROCPRIM_400000_NS6detail17trampoline_kernelINS0_14default_configENS1_25transform_config_selectorIiLb0EEEZNS1_14transform_implILb0ES3_S5_PiN6thrust23THRUST_200600_302600_NS6detail15normal_iteratorINS9_10device_ptrIiEEEENS0_8identityIiEEEE10hipError_tT2_T3_mT4_P12ihipStream_tbEUlT_E_NS1_11comp_targetILNS1_3genE2ELNS1_11target_archE906ELNS1_3gpuE6ELNS1_3repE0EEENS1_30default_config_static_selectorELNS0_4arch9wavefront6targetE1EEEvT1_
    .private_segment_fixed_size: 0
    .sgpr_count:     6
    .sgpr_spill_count: 0
    .symbol:         _ZN7rocprim17ROCPRIM_400000_NS6detail17trampoline_kernelINS0_14default_configENS1_25transform_config_selectorIiLb0EEEZNS1_14transform_implILb0ES3_S5_PiN6thrust23THRUST_200600_302600_NS6detail15normal_iteratorINS9_10device_ptrIiEEEENS0_8identityIiEEEE10hipError_tT2_T3_mT4_P12ihipStream_tbEUlT_E_NS1_11comp_targetILNS1_3genE2ELNS1_11target_archE906ELNS1_3gpuE6ELNS1_3repE0EEENS1_30default_config_static_selectorELNS0_4arch9wavefront6targetE1EEEvT1_.kd
    .uniform_work_group_size: 1
    .uses_dynamic_stack: false
    .vgpr_count:     0
    .vgpr_spill_count: 0
    .wavefront_size: 64
  - .agpr_count:     0
    .args:
      - .offset:         0
        .size:           40
        .value_kind:     by_value
    .group_segment_fixed_size: 0
    .kernarg_segment_align: 8
    .kernarg_segment_size: 40
    .language:       OpenCL C
    .language_version:
      - 2
      - 0
    .max_flat_workgroup_size: 1024
    .name:           _ZN7rocprim17ROCPRIM_400000_NS6detail17trampoline_kernelINS0_14default_configENS1_25transform_config_selectorIiLb0EEEZNS1_14transform_implILb0ES3_S5_PiN6thrust23THRUST_200600_302600_NS6detail15normal_iteratorINS9_10device_ptrIiEEEENS0_8identityIiEEEE10hipError_tT2_T3_mT4_P12ihipStream_tbEUlT_E_NS1_11comp_targetILNS1_3genE10ELNS1_11target_archE1201ELNS1_3gpuE5ELNS1_3repE0EEENS1_30default_config_static_selectorELNS0_4arch9wavefront6targetE1EEEvT1_
    .private_segment_fixed_size: 0
    .sgpr_count:     6
    .sgpr_spill_count: 0
    .symbol:         _ZN7rocprim17ROCPRIM_400000_NS6detail17trampoline_kernelINS0_14default_configENS1_25transform_config_selectorIiLb0EEEZNS1_14transform_implILb0ES3_S5_PiN6thrust23THRUST_200600_302600_NS6detail15normal_iteratorINS9_10device_ptrIiEEEENS0_8identityIiEEEE10hipError_tT2_T3_mT4_P12ihipStream_tbEUlT_E_NS1_11comp_targetILNS1_3genE10ELNS1_11target_archE1201ELNS1_3gpuE5ELNS1_3repE0EEENS1_30default_config_static_selectorELNS0_4arch9wavefront6targetE1EEEvT1_.kd
    .uniform_work_group_size: 1
    .uses_dynamic_stack: false
    .vgpr_count:     0
    .vgpr_spill_count: 0
    .wavefront_size: 64
  - .agpr_count:     0
    .args:
      - .offset:         0
        .size:           40
        .value_kind:     by_value
    .group_segment_fixed_size: 0
    .kernarg_segment_align: 8
    .kernarg_segment_size: 40
    .language:       OpenCL C
    .language_version:
      - 2
      - 0
    .max_flat_workgroup_size: 512
    .name:           _ZN7rocprim17ROCPRIM_400000_NS6detail17trampoline_kernelINS0_14default_configENS1_25transform_config_selectorIiLb0EEEZNS1_14transform_implILb0ES3_S5_PiN6thrust23THRUST_200600_302600_NS6detail15normal_iteratorINS9_10device_ptrIiEEEENS0_8identityIiEEEE10hipError_tT2_T3_mT4_P12ihipStream_tbEUlT_E_NS1_11comp_targetILNS1_3genE10ELNS1_11target_archE1200ELNS1_3gpuE4ELNS1_3repE0EEENS1_30default_config_static_selectorELNS0_4arch9wavefront6targetE1EEEvT1_
    .private_segment_fixed_size: 0
    .sgpr_count:     6
    .sgpr_spill_count: 0
    .symbol:         _ZN7rocprim17ROCPRIM_400000_NS6detail17trampoline_kernelINS0_14default_configENS1_25transform_config_selectorIiLb0EEEZNS1_14transform_implILb0ES3_S5_PiN6thrust23THRUST_200600_302600_NS6detail15normal_iteratorINS9_10device_ptrIiEEEENS0_8identityIiEEEE10hipError_tT2_T3_mT4_P12ihipStream_tbEUlT_E_NS1_11comp_targetILNS1_3genE10ELNS1_11target_archE1200ELNS1_3gpuE4ELNS1_3repE0EEENS1_30default_config_static_selectorELNS0_4arch9wavefront6targetE1EEEvT1_.kd
    .uniform_work_group_size: 1
    .uses_dynamic_stack: false
    .vgpr_count:     0
    .vgpr_spill_count: 0
    .wavefront_size: 64
  - .agpr_count:     0
    .args:
      - .offset:         0
        .size:           40
        .value_kind:     by_value
    .group_segment_fixed_size: 0
    .kernarg_segment_align: 8
    .kernarg_segment_size: 40
    .language:       OpenCL C
    .language_version:
      - 2
      - 0
    .max_flat_workgroup_size: 64
    .name:           _ZN7rocprim17ROCPRIM_400000_NS6detail17trampoline_kernelINS0_14default_configENS1_25transform_config_selectorIiLb0EEEZNS1_14transform_implILb0ES3_S5_PiN6thrust23THRUST_200600_302600_NS6detail15normal_iteratorINS9_10device_ptrIiEEEENS0_8identityIiEEEE10hipError_tT2_T3_mT4_P12ihipStream_tbEUlT_E_NS1_11comp_targetILNS1_3genE9ELNS1_11target_archE1100ELNS1_3gpuE3ELNS1_3repE0EEENS1_30default_config_static_selectorELNS0_4arch9wavefront6targetE1EEEvT1_
    .private_segment_fixed_size: 0
    .sgpr_count:     6
    .sgpr_spill_count: 0
    .symbol:         _ZN7rocprim17ROCPRIM_400000_NS6detail17trampoline_kernelINS0_14default_configENS1_25transform_config_selectorIiLb0EEEZNS1_14transform_implILb0ES3_S5_PiN6thrust23THRUST_200600_302600_NS6detail15normal_iteratorINS9_10device_ptrIiEEEENS0_8identityIiEEEE10hipError_tT2_T3_mT4_P12ihipStream_tbEUlT_E_NS1_11comp_targetILNS1_3genE9ELNS1_11target_archE1100ELNS1_3gpuE3ELNS1_3repE0EEENS1_30default_config_static_selectorELNS0_4arch9wavefront6targetE1EEEvT1_.kd
    .uniform_work_group_size: 1
    .uses_dynamic_stack: false
    .vgpr_count:     0
    .vgpr_spill_count: 0
    .wavefront_size: 64
  - .agpr_count:     0
    .args:
      - .offset:         0
        .size:           40
        .value_kind:     by_value
    .group_segment_fixed_size: 0
    .kernarg_segment_align: 8
    .kernarg_segment_size: 40
    .language:       OpenCL C
    .language_version:
      - 2
      - 0
    .max_flat_workgroup_size: 256
    .name:           _ZN7rocprim17ROCPRIM_400000_NS6detail17trampoline_kernelINS0_14default_configENS1_25transform_config_selectorIiLb0EEEZNS1_14transform_implILb0ES3_S5_PiN6thrust23THRUST_200600_302600_NS6detail15normal_iteratorINS9_10device_ptrIiEEEENS0_8identityIiEEEE10hipError_tT2_T3_mT4_P12ihipStream_tbEUlT_E_NS1_11comp_targetILNS1_3genE8ELNS1_11target_archE1030ELNS1_3gpuE2ELNS1_3repE0EEENS1_30default_config_static_selectorELNS0_4arch9wavefront6targetE1EEEvT1_
    .private_segment_fixed_size: 0
    .sgpr_count:     6
    .sgpr_spill_count: 0
    .symbol:         _ZN7rocprim17ROCPRIM_400000_NS6detail17trampoline_kernelINS0_14default_configENS1_25transform_config_selectorIiLb0EEEZNS1_14transform_implILb0ES3_S5_PiN6thrust23THRUST_200600_302600_NS6detail15normal_iteratorINS9_10device_ptrIiEEEENS0_8identityIiEEEE10hipError_tT2_T3_mT4_P12ihipStream_tbEUlT_E_NS1_11comp_targetILNS1_3genE8ELNS1_11target_archE1030ELNS1_3gpuE2ELNS1_3repE0EEENS1_30default_config_static_selectorELNS0_4arch9wavefront6targetE1EEEvT1_.kd
    .uniform_work_group_size: 1
    .uses_dynamic_stack: false
    .vgpr_count:     0
    .vgpr_spill_count: 0
    .wavefront_size: 64
  - .agpr_count:     0
    .args:
      - .offset:         0
        .size:           40
        .value_kind:     by_value
    .group_segment_fixed_size: 0
    .kernarg_segment_align: 8
    .kernarg_segment_size: 40
    .language:       OpenCL C
    .language_version:
      - 2
      - 0
    .max_flat_workgroup_size: 128
    .name:           _ZN7rocprim17ROCPRIM_400000_NS6detail17trampoline_kernelINS0_14default_configENS1_38merge_sort_block_merge_config_selectorIiNS0_10empty_typeEEEZZNS1_27merge_sort_block_merge_implIS3_N6thrust23THRUST_200600_302600_NS6detail15normal_iteratorINS9_10device_ptrIiEEEEPS5_jNS1_19radix_merge_compareILb0ELb1EiNS0_19identity_decomposerEEEEE10hipError_tT0_T1_T2_jT3_P12ihipStream_tbPNSt15iterator_traitsISK_E10value_typeEPNSQ_ISL_E10value_typeEPSM_NS1_7vsmem_tEENKUlT_SK_SL_SM_E_clIPiSE_SF_SF_EESJ_SZ_SK_SL_SM_EUlSZ_E_NS1_11comp_targetILNS1_3genE0ELNS1_11target_archE4294967295ELNS1_3gpuE0ELNS1_3repE0EEENS1_48merge_mergepath_partition_config_static_selectorELNS0_4arch9wavefront6targetE1EEEvSL_
    .private_segment_fixed_size: 0
    .sgpr_count:     6
    .sgpr_spill_count: 0
    .symbol:         _ZN7rocprim17ROCPRIM_400000_NS6detail17trampoline_kernelINS0_14default_configENS1_38merge_sort_block_merge_config_selectorIiNS0_10empty_typeEEEZZNS1_27merge_sort_block_merge_implIS3_N6thrust23THRUST_200600_302600_NS6detail15normal_iteratorINS9_10device_ptrIiEEEEPS5_jNS1_19radix_merge_compareILb0ELb1EiNS0_19identity_decomposerEEEEE10hipError_tT0_T1_T2_jT3_P12ihipStream_tbPNSt15iterator_traitsISK_E10value_typeEPNSQ_ISL_E10value_typeEPSM_NS1_7vsmem_tEENKUlT_SK_SL_SM_E_clIPiSE_SF_SF_EESJ_SZ_SK_SL_SM_EUlSZ_E_NS1_11comp_targetILNS1_3genE0ELNS1_11target_archE4294967295ELNS1_3gpuE0ELNS1_3repE0EEENS1_48merge_mergepath_partition_config_static_selectorELNS0_4arch9wavefront6targetE1EEEvSL_.kd
    .uniform_work_group_size: 1
    .uses_dynamic_stack: false
    .vgpr_count:     0
    .vgpr_spill_count: 0
    .wavefront_size: 64
  - .agpr_count:     0
    .args:
      - .offset:         0
        .size:           40
        .value_kind:     by_value
    .group_segment_fixed_size: 0
    .kernarg_segment_align: 8
    .kernarg_segment_size: 40
    .language:       OpenCL C
    .language_version:
      - 2
      - 0
    .max_flat_workgroup_size: 128
    .name:           _ZN7rocprim17ROCPRIM_400000_NS6detail17trampoline_kernelINS0_14default_configENS1_38merge_sort_block_merge_config_selectorIiNS0_10empty_typeEEEZZNS1_27merge_sort_block_merge_implIS3_N6thrust23THRUST_200600_302600_NS6detail15normal_iteratorINS9_10device_ptrIiEEEEPS5_jNS1_19radix_merge_compareILb0ELb1EiNS0_19identity_decomposerEEEEE10hipError_tT0_T1_T2_jT3_P12ihipStream_tbPNSt15iterator_traitsISK_E10value_typeEPNSQ_ISL_E10value_typeEPSM_NS1_7vsmem_tEENKUlT_SK_SL_SM_E_clIPiSE_SF_SF_EESJ_SZ_SK_SL_SM_EUlSZ_E_NS1_11comp_targetILNS1_3genE10ELNS1_11target_archE1201ELNS1_3gpuE5ELNS1_3repE0EEENS1_48merge_mergepath_partition_config_static_selectorELNS0_4arch9wavefront6targetE1EEEvSL_
    .private_segment_fixed_size: 0
    .sgpr_count:     6
    .sgpr_spill_count: 0
    .symbol:         _ZN7rocprim17ROCPRIM_400000_NS6detail17trampoline_kernelINS0_14default_configENS1_38merge_sort_block_merge_config_selectorIiNS0_10empty_typeEEEZZNS1_27merge_sort_block_merge_implIS3_N6thrust23THRUST_200600_302600_NS6detail15normal_iteratorINS9_10device_ptrIiEEEEPS5_jNS1_19radix_merge_compareILb0ELb1EiNS0_19identity_decomposerEEEEE10hipError_tT0_T1_T2_jT3_P12ihipStream_tbPNSt15iterator_traitsISK_E10value_typeEPNSQ_ISL_E10value_typeEPSM_NS1_7vsmem_tEENKUlT_SK_SL_SM_E_clIPiSE_SF_SF_EESJ_SZ_SK_SL_SM_EUlSZ_E_NS1_11comp_targetILNS1_3genE10ELNS1_11target_archE1201ELNS1_3gpuE5ELNS1_3repE0EEENS1_48merge_mergepath_partition_config_static_selectorELNS0_4arch9wavefront6targetE1EEEvSL_.kd
    .uniform_work_group_size: 1
    .uses_dynamic_stack: false
    .vgpr_count:     0
    .vgpr_spill_count: 0
    .wavefront_size: 64
  - .agpr_count:     0
    .args:
      - .offset:         0
        .size:           40
        .value_kind:     by_value
    .group_segment_fixed_size: 0
    .kernarg_segment_align: 8
    .kernarg_segment_size: 40
    .language:       OpenCL C
    .language_version:
      - 2
      - 0
    .max_flat_workgroup_size: 128
    .name:           _ZN7rocprim17ROCPRIM_400000_NS6detail17trampoline_kernelINS0_14default_configENS1_38merge_sort_block_merge_config_selectorIiNS0_10empty_typeEEEZZNS1_27merge_sort_block_merge_implIS3_N6thrust23THRUST_200600_302600_NS6detail15normal_iteratorINS9_10device_ptrIiEEEEPS5_jNS1_19radix_merge_compareILb0ELb1EiNS0_19identity_decomposerEEEEE10hipError_tT0_T1_T2_jT3_P12ihipStream_tbPNSt15iterator_traitsISK_E10value_typeEPNSQ_ISL_E10value_typeEPSM_NS1_7vsmem_tEENKUlT_SK_SL_SM_E_clIPiSE_SF_SF_EESJ_SZ_SK_SL_SM_EUlSZ_E_NS1_11comp_targetILNS1_3genE5ELNS1_11target_archE942ELNS1_3gpuE9ELNS1_3repE0EEENS1_48merge_mergepath_partition_config_static_selectorELNS0_4arch9wavefront6targetE1EEEvSL_
    .private_segment_fixed_size: 0
    .sgpr_count:     16
    .sgpr_spill_count: 0
    .symbol:         _ZN7rocprim17ROCPRIM_400000_NS6detail17trampoline_kernelINS0_14default_configENS1_38merge_sort_block_merge_config_selectorIiNS0_10empty_typeEEEZZNS1_27merge_sort_block_merge_implIS3_N6thrust23THRUST_200600_302600_NS6detail15normal_iteratorINS9_10device_ptrIiEEEEPS5_jNS1_19radix_merge_compareILb0ELb1EiNS0_19identity_decomposerEEEEE10hipError_tT0_T1_T2_jT3_P12ihipStream_tbPNSt15iterator_traitsISK_E10value_typeEPNSQ_ISL_E10value_typeEPSM_NS1_7vsmem_tEENKUlT_SK_SL_SM_E_clIPiSE_SF_SF_EESJ_SZ_SK_SL_SM_EUlSZ_E_NS1_11comp_targetILNS1_3genE5ELNS1_11target_archE942ELNS1_3gpuE9ELNS1_3repE0EEENS1_48merge_mergepath_partition_config_static_selectorELNS0_4arch9wavefront6targetE1EEEvSL_.kd
    .uniform_work_group_size: 1
    .uses_dynamic_stack: false
    .vgpr_count:     17
    .vgpr_spill_count: 0
    .wavefront_size: 64
  - .agpr_count:     0
    .args:
      - .offset:         0
        .size:           40
        .value_kind:     by_value
    .group_segment_fixed_size: 0
    .kernarg_segment_align: 8
    .kernarg_segment_size: 40
    .language:       OpenCL C
    .language_version:
      - 2
      - 0
    .max_flat_workgroup_size: 128
    .name:           _ZN7rocprim17ROCPRIM_400000_NS6detail17trampoline_kernelINS0_14default_configENS1_38merge_sort_block_merge_config_selectorIiNS0_10empty_typeEEEZZNS1_27merge_sort_block_merge_implIS3_N6thrust23THRUST_200600_302600_NS6detail15normal_iteratorINS9_10device_ptrIiEEEEPS5_jNS1_19radix_merge_compareILb0ELb1EiNS0_19identity_decomposerEEEEE10hipError_tT0_T1_T2_jT3_P12ihipStream_tbPNSt15iterator_traitsISK_E10value_typeEPNSQ_ISL_E10value_typeEPSM_NS1_7vsmem_tEENKUlT_SK_SL_SM_E_clIPiSE_SF_SF_EESJ_SZ_SK_SL_SM_EUlSZ_E_NS1_11comp_targetILNS1_3genE4ELNS1_11target_archE910ELNS1_3gpuE8ELNS1_3repE0EEENS1_48merge_mergepath_partition_config_static_selectorELNS0_4arch9wavefront6targetE1EEEvSL_
    .private_segment_fixed_size: 0
    .sgpr_count:     6
    .sgpr_spill_count: 0
    .symbol:         _ZN7rocprim17ROCPRIM_400000_NS6detail17trampoline_kernelINS0_14default_configENS1_38merge_sort_block_merge_config_selectorIiNS0_10empty_typeEEEZZNS1_27merge_sort_block_merge_implIS3_N6thrust23THRUST_200600_302600_NS6detail15normal_iteratorINS9_10device_ptrIiEEEEPS5_jNS1_19radix_merge_compareILb0ELb1EiNS0_19identity_decomposerEEEEE10hipError_tT0_T1_T2_jT3_P12ihipStream_tbPNSt15iterator_traitsISK_E10value_typeEPNSQ_ISL_E10value_typeEPSM_NS1_7vsmem_tEENKUlT_SK_SL_SM_E_clIPiSE_SF_SF_EESJ_SZ_SK_SL_SM_EUlSZ_E_NS1_11comp_targetILNS1_3genE4ELNS1_11target_archE910ELNS1_3gpuE8ELNS1_3repE0EEENS1_48merge_mergepath_partition_config_static_selectorELNS0_4arch9wavefront6targetE1EEEvSL_.kd
    .uniform_work_group_size: 1
    .uses_dynamic_stack: false
    .vgpr_count:     0
    .vgpr_spill_count: 0
    .wavefront_size: 64
  - .agpr_count:     0
    .args:
      - .offset:         0
        .size:           40
        .value_kind:     by_value
    .group_segment_fixed_size: 0
    .kernarg_segment_align: 8
    .kernarg_segment_size: 40
    .language:       OpenCL C
    .language_version:
      - 2
      - 0
    .max_flat_workgroup_size: 128
    .name:           _ZN7rocprim17ROCPRIM_400000_NS6detail17trampoline_kernelINS0_14default_configENS1_38merge_sort_block_merge_config_selectorIiNS0_10empty_typeEEEZZNS1_27merge_sort_block_merge_implIS3_N6thrust23THRUST_200600_302600_NS6detail15normal_iteratorINS9_10device_ptrIiEEEEPS5_jNS1_19radix_merge_compareILb0ELb1EiNS0_19identity_decomposerEEEEE10hipError_tT0_T1_T2_jT3_P12ihipStream_tbPNSt15iterator_traitsISK_E10value_typeEPNSQ_ISL_E10value_typeEPSM_NS1_7vsmem_tEENKUlT_SK_SL_SM_E_clIPiSE_SF_SF_EESJ_SZ_SK_SL_SM_EUlSZ_E_NS1_11comp_targetILNS1_3genE3ELNS1_11target_archE908ELNS1_3gpuE7ELNS1_3repE0EEENS1_48merge_mergepath_partition_config_static_selectorELNS0_4arch9wavefront6targetE1EEEvSL_
    .private_segment_fixed_size: 0
    .sgpr_count:     6
    .sgpr_spill_count: 0
    .symbol:         _ZN7rocprim17ROCPRIM_400000_NS6detail17trampoline_kernelINS0_14default_configENS1_38merge_sort_block_merge_config_selectorIiNS0_10empty_typeEEEZZNS1_27merge_sort_block_merge_implIS3_N6thrust23THRUST_200600_302600_NS6detail15normal_iteratorINS9_10device_ptrIiEEEEPS5_jNS1_19radix_merge_compareILb0ELb1EiNS0_19identity_decomposerEEEEE10hipError_tT0_T1_T2_jT3_P12ihipStream_tbPNSt15iterator_traitsISK_E10value_typeEPNSQ_ISL_E10value_typeEPSM_NS1_7vsmem_tEENKUlT_SK_SL_SM_E_clIPiSE_SF_SF_EESJ_SZ_SK_SL_SM_EUlSZ_E_NS1_11comp_targetILNS1_3genE3ELNS1_11target_archE908ELNS1_3gpuE7ELNS1_3repE0EEENS1_48merge_mergepath_partition_config_static_selectorELNS0_4arch9wavefront6targetE1EEEvSL_.kd
    .uniform_work_group_size: 1
    .uses_dynamic_stack: false
    .vgpr_count:     0
    .vgpr_spill_count: 0
    .wavefront_size: 64
  - .agpr_count:     0
    .args:
      - .offset:         0
        .size:           40
        .value_kind:     by_value
    .group_segment_fixed_size: 0
    .kernarg_segment_align: 8
    .kernarg_segment_size: 40
    .language:       OpenCL C
    .language_version:
      - 2
      - 0
    .max_flat_workgroup_size: 128
    .name:           _ZN7rocprim17ROCPRIM_400000_NS6detail17trampoline_kernelINS0_14default_configENS1_38merge_sort_block_merge_config_selectorIiNS0_10empty_typeEEEZZNS1_27merge_sort_block_merge_implIS3_N6thrust23THRUST_200600_302600_NS6detail15normal_iteratorINS9_10device_ptrIiEEEEPS5_jNS1_19radix_merge_compareILb0ELb1EiNS0_19identity_decomposerEEEEE10hipError_tT0_T1_T2_jT3_P12ihipStream_tbPNSt15iterator_traitsISK_E10value_typeEPNSQ_ISL_E10value_typeEPSM_NS1_7vsmem_tEENKUlT_SK_SL_SM_E_clIPiSE_SF_SF_EESJ_SZ_SK_SL_SM_EUlSZ_E_NS1_11comp_targetILNS1_3genE2ELNS1_11target_archE906ELNS1_3gpuE6ELNS1_3repE0EEENS1_48merge_mergepath_partition_config_static_selectorELNS0_4arch9wavefront6targetE1EEEvSL_
    .private_segment_fixed_size: 0
    .sgpr_count:     6
    .sgpr_spill_count: 0
    .symbol:         _ZN7rocprim17ROCPRIM_400000_NS6detail17trampoline_kernelINS0_14default_configENS1_38merge_sort_block_merge_config_selectorIiNS0_10empty_typeEEEZZNS1_27merge_sort_block_merge_implIS3_N6thrust23THRUST_200600_302600_NS6detail15normal_iteratorINS9_10device_ptrIiEEEEPS5_jNS1_19radix_merge_compareILb0ELb1EiNS0_19identity_decomposerEEEEE10hipError_tT0_T1_T2_jT3_P12ihipStream_tbPNSt15iterator_traitsISK_E10value_typeEPNSQ_ISL_E10value_typeEPSM_NS1_7vsmem_tEENKUlT_SK_SL_SM_E_clIPiSE_SF_SF_EESJ_SZ_SK_SL_SM_EUlSZ_E_NS1_11comp_targetILNS1_3genE2ELNS1_11target_archE906ELNS1_3gpuE6ELNS1_3repE0EEENS1_48merge_mergepath_partition_config_static_selectorELNS0_4arch9wavefront6targetE1EEEvSL_.kd
    .uniform_work_group_size: 1
    .uses_dynamic_stack: false
    .vgpr_count:     0
    .vgpr_spill_count: 0
    .wavefront_size: 64
  - .agpr_count:     0
    .args:
      - .offset:         0
        .size:           40
        .value_kind:     by_value
    .group_segment_fixed_size: 0
    .kernarg_segment_align: 8
    .kernarg_segment_size: 40
    .language:       OpenCL C
    .language_version:
      - 2
      - 0
    .max_flat_workgroup_size: 128
    .name:           _ZN7rocprim17ROCPRIM_400000_NS6detail17trampoline_kernelINS0_14default_configENS1_38merge_sort_block_merge_config_selectorIiNS0_10empty_typeEEEZZNS1_27merge_sort_block_merge_implIS3_N6thrust23THRUST_200600_302600_NS6detail15normal_iteratorINS9_10device_ptrIiEEEEPS5_jNS1_19radix_merge_compareILb0ELb1EiNS0_19identity_decomposerEEEEE10hipError_tT0_T1_T2_jT3_P12ihipStream_tbPNSt15iterator_traitsISK_E10value_typeEPNSQ_ISL_E10value_typeEPSM_NS1_7vsmem_tEENKUlT_SK_SL_SM_E_clIPiSE_SF_SF_EESJ_SZ_SK_SL_SM_EUlSZ_E_NS1_11comp_targetILNS1_3genE9ELNS1_11target_archE1100ELNS1_3gpuE3ELNS1_3repE0EEENS1_48merge_mergepath_partition_config_static_selectorELNS0_4arch9wavefront6targetE1EEEvSL_
    .private_segment_fixed_size: 0
    .sgpr_count:     6
    .sgpr_spill_count: 0
    .symbol:         _ZN7rocprim17ROCPRIM_400000_NS6detail17trampoline_kernelINS0_14default_configENS1_38merge_sort_block_merge_config_selectorIiNS0_10empty_typeEEEZZNS1_27merge_sort_block_merge_implIS3_N6thrust23THRUST_200600_302600_NS6detail15normal_iteratorINS9_10device_ptrIiEEEEPS5_jNS1_19radix_merge_compareILb0ELb1EiNS0_19identity_decomposerEEEEE10hipError_tT0_T1_T2_jT3_P12ihipStream_tbPNSt15iterator_traitsISK_E10value_typeEPNSQ_ISL_E10value_typeEPSM_NS1_7vsmem_tEENKUlT_SK_SL_SM_E_clIPiSE_SF_SF_EESJ_SZ_SK_SL_SM_EUlSZ_E_NS1_11comp_targetILNS1_3genE9ELNS1_11target_archE1100ELNS1_3gpuE3ELNS1_3repE0EEENS1_48merge_mergepath_partition_config_static_selectorELNS0_4arch9wavefront6targetE1EEEvSL_.kd
    .uniform_work_group_size: 1
    .uses_dynamic_stack: false
    .vgpr_count:     0
    .vgpr_spill_count: 0
    .wavefront_size: 64
  - .agpr_count:     0
    .args:
      - .offset:         0
        .size:           40
        .value_kind:     by_value
    .group_segment_fixed_size: 0
    .kernarg_segment_align: 8
    .kernarg_segment_size: 40
    .language:       OpenCL C
    .language_version:
      - 2
      - 0
    .max_flat_workgroup_size: 128
    .name:           _ZN7rocprim17ROCPRIM_400000_NS6detail17trampoline_kernelINS0_14default_configENS1_38merge_sort_block_merge_config_selectorIiNS0_10empty_typeEEEZZNS1_27merge_sort_block_merge_implIS3_N6thrust23THRUST_200600_302600_NS6detail15normal_iteratorINS9_10device_ptrIiEEEEPS5_jNS1_19radix_merge_compareILb0ELb1EiNS0_19identity_decomposerEEEEE10hipError_tT0_T1_T2_jT3_P12ihipStream_tbPNSt15iterator_traitsISK_E10value_typeEPNSQ_ISL_E10value_typeEPSM_NS1_7vsmem_tEENKUlT_SK_SL_SM_E_clIPiSE_SF_SF_EESJ_SZ_SK_SL_SM_EUlSZ_E_NS1_11comp_targetILNS1_3genE8ELNS1_11target_archE1030ELNS1_3gpuE2ELNS1_3repE0EEENS1_48merge_mergepath_partition_config_static_selectorELNS0_4arch9wavefront6targetE1EEEvSL_
    .private_segment_fixed_size: 0
    .sgpr_count:     6
    .sgpr_spill_count: 0
    .symbol:         _ZN7rocprim17ROCPRIM_400000_NS6detail17trampoline_kernelINS0_14default_configENS1_38merge_sort_block_merge_config_selectorIiNS0_10empty_typeEEEZZNS1_27merge_sort_block_merge_implIS3_N6thrust23THRUST_200600_302600_NS6detail15normal_iteratorINS9_10device_ptrIiEEEEPS5_jNS1_19radix_merge_compareILb0ELb1EiNS0_19identity_decomposerEEEEE10hipError_tT0_T1_T2_jT3_P12ihipStream_tbPNSt15iterator_traitsISK_E10value_typeEPNSQ_ISL_E10value_typeEPSM_NS1_7vsmem_tEENKUlT_SK_SL_SM_E_clIPiSE_SF_SF_EESJ_SZ_SK_SL_SM_EUlSZ_E_NS1_11comp_targetILNS1_3genE8ELNS1_11target_archE1030ELNS1_3gpuE2ELNS1_3repE0EEENS1_48merge_mergepath_partition_config_static_selectorELNS0_4arch9wavefront6targetE1EEEvSL_.kd
    .uniform_work_group_size: 1
    .uses_dynamic_stack: false
    .vgpr_count:     0
    .vgpr_spill_count: 0
    .wavefront_size: 64
  - .agpr_count:     0
    .args:
      - .offset:         0
        .size:           64
        .value_kind:     by_value
    .group_segment_fixed_size: 0
    .kernarg_segment_align: 8
    .kernarg_segment_size: 64
    .language:       OpenCL C
    .language_version:
      - 2
      - 0
    .max_flat_workgroup_size: 128
    .name:           _ZN7rocprim17ROCPRIM_400000_NS6detail17trampoline_kernelINS0_14default_configENS1_38merge_sort_block_merge_config_selectorIiNS0_10empty_typeEEEZZNS1_27merge_sort_block_merge_implIS3_N6thrust23THRUST_200600_302600_NS6detail15normal_iteratorINS9_10device_ptrIiEEEEPS5_jNS1_19radix_merge_compareILb0ELb1EiNS0_19identity_decomposerEEEEE10hipError_tT0_T1_T2_jT3_P12ihipStream_tbPNSt15iterator_traitsISK_E10value_typeEPNSQ_ISL_E10value_typeEPSM_NS1_7vsmem_tEENKUlT_SK_SL_SM_E_clIPiSE_SF_SF_EESJ_SZ_SK_SL_SM_EUlSZ_E0_NS1_11comp_targetILNS1_3genE0ELNS1_11target_archE4294967295ELNS1_3gpuE0ELNS1_3repE0EEENS1_38merge_mergepath_config_static_selectorELNS0_4arch9wavefront6targetE1EEEvSL_
    .private_segment_fixed_size: 0
    .sgpr_count:     6
    .sgpr_spill_count: 0
    .symbol:         _ZN7rocprim17ROCPRIM_400000_NS6detail17trampoline_kernelINS0_14default_configENS1_38merge_sort_block_merge_config_selectorIiNS0_10empty_typeEEEZZNS1_27merge_sort_block_merge_implIS3_N6thrust23THRUST_200600_302600_NS6detail15normal_iteratorINS9_10device_ptrIiEEEEPS5_jNS1_19radix_merge_compareILb0ELb1EiNS0_19identity_decomposerEEEEE10hipError_tT0_T1_T2_jT3_P12ihipStream_tbPNSt15iterator_traitsISK_E10value_typeEPNSQ_ISL_E10value_typeEPSM_NS1_7vsmem_tEENKUlT_SK_SL_SM_E_clIPiSE_SF_SF_EESJ_SZ_SK_SL_SM_EUlSZ_E0_NS1_11comp_targetILNS1_3genE0ELNS1_11target_archE4294967295ELNS1_3gpuE0ELNS1_3repE0EEENS1_38merge_mergepath_config_static_selectorELNS0_4arch9wavefront6targetE1EEEvSL_.kd
    .uniform_work_group_size: 1
    .uses_dynamic_stack: false
    .vgpr_count:     0
    .vgpr_spill_count: 0
    .wavefront_size: 64
  - .agpr_count:     0
    .args:
      - .offset:         0
        .size:           64
        .value_kind:     by_value
    .group_segment_fixed_size: 0
    .kernarg_segment_align: 8
    .kernarg_segment_size: 64
    .language:       OpenCL C
    .language_version:
      - 2
      - 0
    .max_flat_workgroup_size: 256
    .name:           _ZN7rocprim17ROCPRIM_400000_NS6detail17trampoline_kernelINS0_14default_configENS1_38merge_sort_block_merge_config_selectorIiNS0_10empty_typeEEEZZNS1_27merge_sort_block_merge_implIS3_N6thrust23THRUST_200600_302600_NS6detail15normal_iteratorINS9_10device_ptrIiEEEEPS5_jNS1_19radix_merge_compareILb0ELb1EiNS0_19identity_decomposerEEEEE10hipError_tT0_T1_T2_jT3_P12ihipStream_tbPNSt15iterator_traitsISK_E10value_typeEPNSQ_ISL_E10value_typeEPSM_NS1_7vsmem_tEENKUlT_SK_SL_SM_E_clIPiSE_SF_SF_EESJ_SZ_SK_SL_SM_EUlSZ_E0_NS1_11comp_targetILNS1_3genE10ELNS1_11target_archE1201ELNS1_3gpuE5ELNS1_3repE0EEENS1_38merge_mergepath_config_static_selectorELNS0_4arch9wavefront6targetE1EEEvSL_
    .private_segment_fixed_size: 0
    .sgpr_count:     6
    .sgpr_spill_count: 0
    .symbol:         _ZN7rocprim17ROCPRIM_400000_NS6detail17trampoline_kernelINS0_14default_configENS1_38merge_sort_block_merge_config_selectorIiNS0_10empty_typeEEEZZNS1_27merge_sort_block_merge_implIS3_N6thrust23THRUST_200600_302600_NS6detail15normal_iteratorINS9_10device_ptrIiEEEEPS5_jNS1_19radix_merge_compareILb0ELb1EiNS0_19identity_decomposerEEEEE10hipError_tT0_T1_T2_jT3_P12ihipStream_tbPNSt15iterator_traitsISK_E10value_typeEPNSQ_ISL_E10value_typeEPSM_NS1_7vsmem_tEENKUlT_SK_SL_SM_E_clIPiSE_SF_SF_EESJ_SZ_SK_SL_SM_EUlSZ_E0_NS1_11comp_targetILNS1_3genE10ELNS1_11target_archE1201ELNS1_3gpuE5ELNS1_3repE0EEENS1_38merge_mergepath_config_static_selectorELNS0_4arch9wavefront6targetE1EEEvSL_.kd
    .uniform_work_group_size: 1
    .uses_dynamic_stack: false
    .vgpr_count:     0
    .vgpr_spill_count: 0
    .wavefront_size: 64
  - .agpr_count:     0
    .args:
      - .offset:         0
        .size:           64
        .value_kind:     by_value
      - .offset:         64
        .size:           4
        .value_kind:     hidden_block_count_x
      - .offset:         68
        .size:           4
        .value_kind:     hidden_block_count_y
      - .offset:         72
        .size:           4
        .value_kind:     hidden_block_count_z
      - .offset:         76
        .size:           2
        .value_kind:     hidden_group_size_x
      - .offset:         78
        .size:           2
        .value_kind:     hidden_group_size_y
      - .offset:         80
        .size:           2
        .value_kind:     hidden_group_size_z
      - .offset:         82
        .size:           2
        .value_kind:     hidden_remainder_x
      - .offset:         84
        .size:           2
        .value_kind:     hidden_remainder_y
      - .offset:         86
        .size:           2
        .value_kind:     hidden_remainder_z
      - .offset:         104
        .size:           8
        .value_kind:     hidden_global_offset_x
      - .offset:         112
        .size:           8
        .value_kind:     hidden_global_offset_y
      - .offset:         120
        .size:           8
        .value_kind:     hidden_global_offset_z
      - .offset:         128
        .size:           2
        .value_kind:     hidden_grid_dims
    .group_segment_fixed_size: 4224
    .kernarg_segment_align: 8
    .kernarg_segment_size: 320
    .language:       OpenCL C
    .language_version:
      - 2
      - 0
    .max_flat_workgroup_size: 128
    .name:           _ZN7rocprim17ROCPRIM_400000_NS6detail17trampoline_kernelINS0_14default_configENS1_38merge_sort_block_merge_config_selectorIiNS0_10empty_typeEEEZZNS1_27merge_sort_block_merge_implIS3_N6thrust23THRUST_200600_302600_NS6detail15normal_iteratorINS9_10device_ptrIiEEEEPS5_jNS1_19radix_merge_compareILb0ELb1EiNS0_19identity_decomposerEEEEE10hipError_tT0_T1_T2_jT3_P12ihipStream_tbPNSt15iterator_traitsISK_E10value_typeEPNSQ_ISL_E10value_typeEPSM_NS1_7vsmem_tEENKUlT_SK_SL_SM_E_clIPiSE_SF_SF_EESJ_SZ_SK_SL_SM_EUlSZ_E0_NS1_11comp_targetILNS1_3genE5ELNS1_11target_archE942ELNS1_3gpuE9ELNS1_3repE0EEENS1_38merge_mergepath_config_static_selectorELNS0_4arch9wavefront6targetE1EEEvSL_
    .private_segment_fixed_size: 0
    .sgpr_count:     31
    .sgpr_spill_count: 0
    .symbol:         _ZN7rocprim17ROCPRIM_400000_NS6detail17trampoline_kernelINS0_14default_configENS1_38merge_sort_block_merge_config_selectorIiNS0_10empty_typeEEEZZNS1_27merge_sort_block_merge_implIS3_N6thrust23THRUST_200600_302600_NS6detail15normal_iteratorINS9_10device_ptrIiEEEEPS5_jNS1_19radix_merge_compareILb0ELb1EiNS0_19identity_decomposerEEEEE10hipError_tT0_T1_T2_jT3_P12ihipStream_tbPNSt15iterator_traitsISK_E10value_typeEPNSQ_ISL_E10value_typeEPSM_NS1_7vsmem_tEENKUlT_SK_SL_SM_E_clIPiSE_SF_SF_EESJ_SZ_SK_SL_SM_EUlSZ_E0_NS1_11comp_targetILNS1_3genE5ELNS1_11target_archE942ELNS1_3gpuE9ELNS1_3repE0EEENS1_38merge_mergepath_config_static_selectorELNS0_4arch9wavefront6targetE1EEEvSL_.kd
    .uniform_work_group_size: 1
    .uses_dynamic_stack: false
    .vgpr_count:     26
    .vgpr_spill_count: 0
    .wavefront_size: 64
  - .agpr_count:     0
    .args:
      - .offset:         0
        .size:           64
        .value_kind:     by_value
    .group_segment_fixed_size: 0
    .kernarg_segment_align: 8
    .kernarg_segment_size: 64
    .language:       OpenCL C
    .language_version:
      - 2
      - 0
    .max_flat_workgroup_size: 128
    .name:           _ZN7rocprim17ROCPRIM_400000_NS6detail17trampoline_kernelINS0_14default_configENS1_38merge_sort_block_merge_config_selectorIiNS0_10empty_typeEEEZZNS1_27merge_sort_block_merge_implIS3_N6thrust23THRUST_200600_302600_NS6detail15normal_iteratorINS9_10device_ptrIiEEEEPS5_jNS1_19radix_merge_compareILb0ELb1EiNS0_19identity_decomposerEEEEE10hipError_tT0_T1_T2_jT3_P12ihipStream_tbPNSt15iterator_traitsISK_E10value_typeEPNSQ_ISL_E10value_typeEPSM_NS1_7vsmem_tEENKUlT_SK_SL_SM_E_clIPiSE_SF_SF_EESJ_SZ_SK_SL_SM_EUlSZ_E0_NS1_11comp_targetILNS1_3genE4ELNS1_11target_archE910ELNS1_3gpuE8ELNS1_3repE0EEENS1_38merge_mergepath_config_static_selectorELNS0_4arch9wavefront6targetE1EEEvSL_
    .private_segment_fixed_size: 0
    .sgpr_count:     6
    .sgpr_spill_count: 0
    .symbol:         _ZN7rocprim17ROCPRIM_400000_NS6detail17trampoline_kernelINS0_14default_configENS1_38merge_sort_block_merge_config_selectorIiNS0_10empty_typeEEEZZNS1_27merge_sort_block_merge_implIS3_N6thrust23THRUST_200600_302600_NS6detail15normal_iteratorINS9_10device_ptrIiEEEEPS5_jNS1_19radix_merge_compareILb0ELb1EiNS0_19identity_decomposerEEEEE10hipError_tT0_T1_T2_jT3_P12ihipStream_tbPNSt15iterator_traitsISK_E10value_typeEPNSQ_ISL_E10value_typeEPSM_NS1_7vsmem_tEENKUlT_SK_SL_SM_E_clIPiSE_SF_SF_EESJ_SZ_SK_SL_SM_EUlSZ_E0_NS1_11comp_targetILNS1_3genE4ELNS1_11target_archE910ELNS1_3gpuE8ELNS1_3repE0EEENS1_38merge_mergepath_config_static_selectorELNS0_4arch9wavefront6targetE1EEEvSL_.kd
    .uniform_work_group_size: 1
    .uses_dynamic_stack: false
    .vgpr_count:     0
    .vgpr_spill_count: 0
    .wavefront_size: 64
  - .agpr_count:     0
    .args:
      - .offset:         0
        .size:           64
        .value_kind:     by_value
    .group_segment_fixed_size: 0
    .kernarg_segment_align: 8
    .kernarg_segment_size: 64
    .language:       OpenCL C
    .language_version:
      - 2
      - 0
    .max_flat_workgroup_size: 128
    .name:           _ZN7rocprim17ROCPRIM_400000_NS6detail17trampoline_kernelINS0_14default_configENS1_38merge_sort_block_merge_config_selectorIiNS0_10empty_typeEEEZZNS1_27merge_sort_block_merge_implIS3_N6thrust23THRUST_200600_302600_NS6detail15normal_iteratorINS9_10device_ptrIiEEEEPS5_jNS1_19radix_merge_compareILb0ELb1EiNS0_19identity_decomposerEEEEE10hipError_tT0_T1_T2_jT3_P12ihipStream_tbPNSt15iterator_traitsISK_E10value_typeEPNSQ_ISL_E10value_typeEPSM_NS1_7vsmem_tEENKUlT_SK_SL_SM_E_clIPiSE_SF_SF_EESJ_SZ_SK_SL_SM_EUlSZ_E0_NS1_11comp_targetILNS1_3genE3ELNS1_11target_archE908ELNS1_3gpuE7ELNS1_3repE0EEENS1_38merge_mergepath_config_static_selectorELNS0_4arch9wavefront6targetE1EEEvSL_
    .private_segment_fixed_size: 0
    .sgpr_count:     6
    .sgpr_spill_count: 0
    .symbol:         _ZN7rocprim17ROCPRIM_400000_NS6detail17trampoline_kernelINS0_14default_configENS1_38merge_sort_block_merge_config_selectorIiNS0_10empty_typeEEEZZNS1_27merge_sort_block_merge_implIS3_N6thrust23THRUST_200600_302600_NS6detail15normal_iteratorINS9_10device_ptrIiEEEEPS5_jNS1_19radix_merge_compareILb0ELb1EiNS0_19identity_decomposerEEEEE10hipError_tT0_T1_T2_jT3_P12ihipStream_tbPNSt15iterator_traitsISK_E10value_typeEPNSQ_ISL_E10value_typeEPSM_NS1_7vsmem_tEENKUlT_SK_SL_SM_E_clIPiSE_SF_SF_EESJ_SZ_SK_SL_SM_EUlSZ_E0_NS1_11comp_targetILNS1_3genE3ELNS1_11target_archE908ELNS1_3gpuE7ELNS1_3repE0EEENS1_38merge_mergepath_config_static_selectorELNS0_4arch9wavefront6targetE1EEEvSL_.kd
    .uniform_work_group_size: 1
    .uses_dynamic_stack: false
    .vgpr_count:     0
    .vgpr_spill_count: 0
    .wavefront_size: 64
  - .agpr_count:     0
    .args:
      - .offset:         0
        .size:           64
        .value_kind:     by_value
    .group_segment_fixed_size: 0
    .kernarg_segment_align: 8
    .kernarg_segment_size: 64
    .language:       OpenCL C
    .language_version:
      - 2
      - 0
    .max_flat_workgroup_size: 128
    .name:           _ZN7rocprim17ROCPRIM_400000_NS6detail17trampoline_kernelINS0_14default_configENS1_38merge_sort_block_merge_config_selectorIiNS0_10empty_typeEEEZZNS1_27merge_sort_block_merge_implIS3_N6thrust23THRUST_200600_302600_NS6detail15normal_iteratorINS9_10device_ptrIiEEEEPS5_jNS1_19radix_merge_compareILb0ELb1EiNS0_19identity_decomposerEEEEE10hipError_tT0_T1_T2_jT3_P12ihipStream_tbPNSt15iterator_traitsISK_E10value_typeEPNSQ_ISL_E10value_typeEPSM_NS1_7vsmem_tEENKUlT_SK_SL_SM_E_clIPiSE_SF_SF_EESJ_SZ_SK_SL_SM_EUlSZ_E0_NS1_11comp_targetILNS1_3genE2ELNS1_11target_archE906ELNS1_3gpuE6ELNS1_3repE0EEENS1_38merge_mergepath_config_static_selectorELNS0_4arch9wavefront6targetE1EEEvSL_
    .private_segment_fixed_size: 0
    .sgpr_count:     6
    .sgpr_spill_count: 0
    .symbol:         _ZN7rocprim17ROCPRIM_400000_NS6detail17trampoline_kernelINS0_14default_configENS1_38merge_sort_block_merge_config_selectorIiNS0_10empty_typeEEEZZNS1_27merge_sort_block_merge_implIS3_N6thrust23THRUST_200600_302600_NS6detail15normal_iteratorINS9_10device_ptrIiEEEEPS5_jNS1_19radix_merge_compareILb0ELb1EiNS0_19identity_decomposerEEEEE10hipError_tT0_T1_T2_jT3_P12ihipStream_tbPNSt15iterator_traitsISK_E10value_typeEPNSQ_ISL_E10value_typeEPSM_NS1_7vsmem_tEENKUlT_SK_SL_SM_E_clIPiSE_SF_SF_EESJ_SZ_SK_SL_SM_EUlSZ_E0_NS1_11comp_targetILNS1_3genE2ELNS1_11target_archE906ELNS1_3gpuE6ELNS1_3repE0EEENS1_38merge_mergepath_config_static_selectorELNS0_4arch9wavefront6targetE1EEEvSL_.kd
    .uniform_work_group_size: 1
    .uses_dynamic_stack: false
    .vgpr_count:     0
    .vgpr_spill_count: 0
    .wavefront_size: 64
  - .agpr_count:     0
    .args:
      - .offset:         0
        .size:           64
        .value_kind:     by_value
    .group_segment_fixed_size: 0
    .kernarg_segment_align: 8
    .kernarg_segment_size: 64
    .language:       OpenCL C
    .language_version:
      - 2
      - 0
    .max_flat_workgroup_size: 256
    .name:           _ZN7rocprim17ROCPRIM_400000_NS6detail17trampoline_kernelINS0_14default_configENS1_38merge_sort_block_merge_config_selectorIiNS0_10empty_typeEEEZZNS1_27merge_sort_block_merge_implIS3_N6thrust23THRUST_200600_302600_NS6detail15normal_iteratorINS9_10device_ptrIiEEEEPS5_jNS1_19radix_merge_compareILb0ELb1EiNS0_19identity_decomposerEEEEE10hipError_tT0_T1_T2_jT3_P12ihipStream_tbPNSt15iterator_traitsISK_E10value_typeEPNSQ_ISL_E10value_typeEPSM_NS1_7vsmem_tEENKUlT_SK_SL_SM_E_clIPiSE_SF_SF_EESJ_SZ_SK_SL_SM_EUlSZ_E0_NS1_11comp_targetILNS1_3genE9ELNS1_11target_archE1100ELNS1_3gpuE3ELNS1_3repE0EEENS1_38merge_mergepath_config_static_selectorELNS0_4arch9wavefront6targetE1EEEvSL_
    .private_segment_fixed_size: 0
    .sgpr_count:     6
    .sgpr_spill_count: 0
    .symbol:         _ZN7rocprim17ROCPRIM_400000_NS6detail17trampoline_kernelINS0_14default_configENS1_38merge_sort_block_merge_config_selectorIiNS0_10empty_typeEEEZZNS1_27merge_sort_block_merge_implIS3_N6thrust23THRUST_200600_302600_NS6detail15normal_iteratorINS9_10device_ptrIiEEEEPS5_jNS1_19radix_merge_compareILb0ELb1EiNS0_19identity_decomposerEEEEE10hipError_tT0_T1_T2_jT3_P12ihipStream_tbPNSt15iterator_traitsISK_E10value_typeEPNSQ_ISL_E10value_typeEPSM_NS1_7vsmem_tEENKUlT_SK_SL_SM_E_clIPiSE_SF_SF_EESJ_SZ_SK_SL_SM_EUlSZ_E0_NS1_11comp_targetILNS1_3genE9ELNS1_11target_archE1100ELNS1_3gpuE3ELNS1_3repE0EEENS1_38merge_mergepath_config_static_selectorELNS0_4arch9wavefront6targetE1EEEvSL_.kd
    .uniform_work_group_size: 1
    .uses_dynamic_stack: false
    .vgpr_count:     0
    .vgpr_spill_count: 0
    .wavefront_size: 64
  - .agpr_count:     0
    .args:
      - .offset:         0
        .size:           64
        .value_kind:     by_value
    .group_segment_fixed_size: 0
    .kernarg_segment_align: 8
    .kernarg_segment_size: 64
    .language:       OpenCL C
    .language_version:
      - 2
      - 0
    .max_flat_workgroup_size: 512
    .name:           _ZN7rocprim17ROCPRIM_400000_NS6detail17trampoline_kernelINS0_14default_configENS1_38merge_sort_block_merge_config_selectorIiNS0_10empty_typeEEEZZNS1_27merge_sort_block_merge_implIS3_N6thrust23THRUST_200600_302600_NS6detail15normal_iteratorINS9_10device_ptrIiEEEEPS5_jNS1_19radix_merge_compareILb0ELb1EiNS0_19identity_decomposerEEEEE10hipError_tT0_T1_T2_jT3_P12ihipStream_tbPNSt15iterator_traitsISK_E10value_typeEPNSQ_ISL_E10value_typeEPSM_NS1_7vsmem_tEENKUlT_SK_SL_SM_E_clIPiSE_SF_SF_EESJ_SZ_SK_SL_SM_EUlSZ_E0_NS1_11comp_targetILNS1_3genE8ELNS1_11target_archE1030ELNS1_3gpuE2ELNS1_3repE0EEENS1_38merge_mergepath_config_static_selectorELNS0_4arch9wavefront6targetE1EEEvSL_
    .private_segment_fixed_size: 0
    .sgpr_count:     6
    .sgpr_spill_count: 0
    .symbol:         _ZN7rocprim17ROCPRIM_400000_NS6detail17trampoline_kernelINS0_14default_configENS1_38merge_sort_block_merge_config_selectorIiNS0_10empty_typeEEEZZNS1_27merge_sort_block_merge_implIS3_N6thrust23THRUST_200600_302600_NS6detail15normal_iteratorINS9_10device_ptrIiEEEEPS5_jNS1_19radix_merge_compareILb0ELb1EiNS0_19identity_decomposerEEEEE10hipError_tT0_T1_T2_jT3_P12ihipStream_tbPNSt15iterator_traitsISK_E10value_typeEPNSQ_ISL_E10value_typeEPSM_NS1_7vsmem_tEENKUlT_SK_SL_SM_E_clIPiSE_SF_SF_EESJ_SZ_SK_SL_SM_EUlSZ_E0_NS1_11comp_targetILNS1_3genE8ELNS1_11target_archE1030ELNS1_3gpuE2ELNS1_3repE0EEENS1_38merge_mergepath_config_static_selectorELNS0_4arch9wavefront6targetE1EEEvSL_.kd
    .uniform_work_group_size: 1
    .uses_dynamic_stack: false
    .vgpr_count:     0
    .vgpr_spill_count: 0
    .wavefront_size: 64
  - .agpr_count:     0
    .args:
      - .offset:         0
        .size:           48
        .value_kind:     by_value
    .group_segment_fixed_size: 0
    .kernarg_segment_align: 8
    .kernarg_segment_size: 48
    .language:       OpenCL C
    .language_version:
      - 2
      - 0
    .max_flat_workgroup_size: 256
    .name:           _ZN7rocprim17ROCPRIM_400000_NS6detail17trampoline_kernelINS0_14default_configENS1_38merge_sort_block_merge_config_selectorIiNS0_10empty_typeEEEZZNS1_27merge_sort_block_merge_implIS3_N6thrust23THRUST_200600_302600_NS6detail15normal_iteratorINS9_10device_ptrIiEEEEPS5_jNS1_19radix_merge_compareILb0ELb1EiNS0_19identity_decomposerEEEEE10hipError_tT0_T1_T2_jT3_P12ihipStream_tbPNSt15iterator_traitsISK_E10value_typeEPNSQ_ISL_E10value_typeEPSM_NS1_7vsmem_tEENKUlT_SK_SL_SM_E_clIPiSE_SF_SF_EESJ_SZ_SK_SL_SM_EUlSZ_E1_NS1_11comp_targetILNS1_3genE0ELNS1_11target_archE4294967295ELNS1_3gpuE0ELNS1_3repE0EEENS1_36merge_oddeven_config_static_selectorELNS0_4arch9wavefront6targetE1EEEvSL_
    .private_segment_fixed_size: 0
    .sgpr_count:     6
    .sgpr_spill_count: 0
    .symbol:         _ZN7rocprim17ROCPRIM_400000_NS6detail17trampoline_kernelINS0_14default_configENS1_38merge_sort_block_merge_config_selectorIiNS0_10empty_typeEEEZZNS1_27merge_sort_block_merge_implIS3_N6thrust23THRUST_200600_302600_NS6detail15normal_iteratorINS9_10device_ptrIiEEEEPS5_jNS1_19radix_merge_compareILb0ELb1EiNS0_19identity_decomposerEEEEE10hipError_tT0_T1_T2_jT3_P12ihipStream_tbPNSt15iterator_traitsISK_E10value_typeEPNSQ_ISL_E10value_typeEPSM_NS1_7vsmem_tEENKUlT_SK_SL_SM_E_clIPiSE_SF_SF_EESJ_SZ_SK_SL_SM_EUlSZ_E1_NS1_11comp_targetILNS1_3genE0ELNS1_11target_archE4294967295ELNS1_3gpuE0ELNS1_3repE0EEENS1_36merge_oddeven_config_static_selectorELNS0_4arch9wavefront6targetE1EEEvSL_.kd
    .uniform_work_group_size: 1
    .uses_dynamic_stack: false
    .vgpr_count:     0
    .vgpr_spill_count: 0
    .wavefront_size: 64
  - .agpr_count:     0
    .args:
      - .offset:         0
        .size:           48
        .value_kind:     by_value
    .group_segment_fixed_size: 0
    .kernarg_segment_align: 8
    .kernarg_segment_size: 48
    .language:       OpenCL C
    .language_version:
      - 2
      - 0
    .max_flat_workgroup_size: 256
    .name:           _ZN7rocprim17ROCPRIM_400000_NS6detail17trampoline_kernelINS0_14default_configENS1_38merge_sort_block_merge_config_selectorIiNS0_10empty_typeEEEZZNS1_27merge_sort_block_merge_implIS3_N6thrust23THRUST_200600_302600_NS6detail15normal_iteratorINS9_10device_ptrIiEEEEPS5_jNS1_19radix_merge_compareILb0ELb1EiNS0_19identity_decomposerEEEEE10hipError_tT0_T1_T2_jT3_P12ihipStream_tbPNSt15iterator_traitsISK_E10value_typeEPNSQ_ISL_E10value_typeEPSM_NS1_7vsmem_tEENKUlT_SK_SL_SM_E_clIPiSE_SF_SF_EESJ_SZ_SK_SL_SM_EUlSZ_E1_NS1_11comp_targetILNS1_3genE10ELNS1_11target_archE1201ELNS1_3gpuE5ELNS1_3repE0EEENS1_36merge_oddeven_config_static_selectorELNS0_4arch9wavefront6targetE1EEEvSL_
    .private_segment_fixed_size: 0
    .sgpr_count:     6
    .sgpr_spill_count: 0
    .symbol:         _ZN7rocprim17ROCPRIM_400000_NS6detail17trampoline_kernelINS0_14default_configENS1_38merge_sort_block_merge_config_selectorIiNS0_10empty_typeEEEZZNS1_27merge_sort_block_merge_implIS3_N6thrust23THRUST_200600_302600_NS6detail15normal_iteratorINS9_10device_ptrIiEEEEPS5_jNS1_19radix_merge_compareILb0ELb1EiNS0_19identity_decomposerEEEEE10hipError_tT0_T1_T2_jT3_P12ihipStream_tbPNSt15iterator_traitsISK_E10value_typeEPNSQ_ISL_E10value_typeEPSM_NS1_7vsmem_tEENKUlT_SK_SL_SM_E_clIPiSE_SF_SF_EESJ_SZ_SK_SL_SM_EUlSZ_E1_NS1_11comp_targetILNS1_3genE10ELNS1_11target_archE1201ELNS1_3gpuE5ELNS1_3repE0EEENS1_36merge_oddeven_config_static_selectorELNS0_4arch9wavefront6targetE1EEEvSL_.kd
    .uniform_work_group_size: 1
    .uses_dynamic_stack: false
    .vgpr_count:     0
    .vgpr_spill_count: 0
    .wavefront_size: 64
  - .agpr_count:     0
    .args:
      - .offset:         0
        .size:           48
        .value_kind:     by_value
    .group_segment_fixed_size: 0
    .kernarg_segment_align: 8
    .kernarg_segment_size: 48
    .language:       OpenCL C
    .language_version:
      - 2
      - 0
    .max_flat_workgroup_size: 256
    .name:           _ZN7rocprim17ROCPRIM_400000_NS6detail17trampoline_kernelINS0_14default_configENS1_38merge_sort_block_merge_config_selectorIiNS0_10empty_typeEEEZZNS1_27merge_sort_block_merge_implIS3_N6thrust23THRUST_200600_302600_NS6detail15normal_iteratorINS9_10device_ptrIiEEEEPS5_jNS1_19radix_merge_compareILb0ELb1EiNS0_19identity_decomposerEEEEE10hipError_tT0_T1_T2_jT3_P12ihipStream_tbPNSt15iterator_traitsISK_E10value_typeEPNSQ_ISL_E10value_typeEPSM_NS1_7vsmem_tEENKUlT_SK_SL_SM_E_clIPiSE_SF_SF_EESJ_SZ_SK_SL_SM_EUlSZ_E1_NS1_11comp_targetILNS1_3genE5ELNS1_11target_archE942ELNS1_3gpuE9ELNS1_3repE0EEENS1_36merge_oddeven_config_static_selectorELNS0_4arch9wavefront6targetE1EEEvSL_
    .private_segment_fixed_size: 0
    .sgpr_count:     27
    .sgpr_spill_count: 0
    .symbol:         _ZN7rocprim17ROCPRIM_400000_NS6detail17trampoline_kernelINS0_14default_configENS1_38merge_sort_block_merge_config_selectorIiNS0_10empty_typeEEEZZNS1_27merge_sort_block_merge_implIS3_N6thrust23THRUST_200600_302600_NS6detail15normal_iteratorINS9_10device_ptrIiEEEEPS5_jNS1_19radix_merge_compareILb0ELb1EiNS0_19identity_decomposerEEEEE10hipError_tT0_T1_T2_jT3_P12ihipStream_tbPNSt15iterator_traitsISK_E10value_typeEPNSQ_ISL_E10value_typeEPSM_NS1_7vsmem_tEENKUlT_SK_SL_SM_E_clIPiSE_SF_SF_EESJ_SZ_SK_SL_SM_EUlSZ_E1_NS1_11comp_targetILNS1_3genE5ELNS1_11target_archE942ELNS1_3gpuE9ELNS1_3repE0EEENS1_36merge_oddeven_config_static_selectorELNS0_4arch9wavefront6targetE1EEEvSL_.kd
    .uniform_work_group_size: 1
    .uses_dynamic_stack: false
    .vgpr_count:     10
    .vgpr_spill_count: 0
    .wavefront_size: 64
  - .agpr_count:     0
    .args:
      - .offset:         0
        .size:           48
        .value_kind:     by_value
    .group_segment_fixed_size: 0
    .kernarg_segment_align: 8
    .kernarg_segment_size: 48
    .language:       OpenCL C
    .language_version:
      - 2
      - 0
    .max_flat_workgroup_size: 256
    .name:           _ZN7rocprim17ROCPRIM_400000_NS6detail17trampoline_kernelINS0_14default_configENS1_38merge_sort_block_merge_config_selectorIiNS0_10empty_typeEEEZZNS1_27merge_sort_block_merge_implIS3_N6thrust23THRUST_200600_302600_NS6detail15normal_iteratorINS9_10device_ptrIiEEEEPS5_jNS1_19radix_merge_compareILb0ELb1EiNS0_19identity_decomposerEEEEE10hipError_tT0_T1_T2_jT3_P12ihipStream_tbPNSt15iterator_traitsISK_E10value_typeEPNSQ_ISL_E10value_typeEPSM_NS1_7vsmem_tEENKUlT_SK_SL_SM_E_clIPiSE_SF_SF_EESJ_SZ_SK_SL_SM_EUlSZ_E1_NS1_11comp_targetILNS1_3genE4ELNS1_11target_archE910ELNS1_3gpuE8ELNS1_3repE0EEENS1_36merge_oddeven_config_static_selectorELNS0_4arch9wavefront6targetE1EEEvSL_
    .private_segment_fixed_size: 0
    .sgpr_count:     6
    .sgpr_spill_count: 0
    .symbol:         _ZN7rocprim17ROCPRIM_400000_NS6detail17trampoline_kernelINS0_14default_configENS1_38merge_sort_block_merge_config_selectorIiNS0_10empty_typeEEEZZNS1_27merge_sort_block_merge_implIS3_N6thrust23THRUST_200600_302600_NS6detail15normal_iteratorINS9_10device_ptrIiEEEEPS5_jNS1_19radix_merge_compareILb0ELb1EiNS0_19identity_decomposerEEEEE10hipError_tT0_T1_T2_jT3_P12ihipStream_tbPNSt15iterator_traitsISK_E10value_typeEPNSQ_ISL_E10value_typeEPSM_NS1_7vsmem_tEENKUlT_SK_SL_SM_E_clIPiSE_SF_SF_EESJ_SZ_SK_SL_SM_EUlSZ_E1_NS1_11comp_targetILNS1_3genE4ELNS1_11target_archE910ELNS1_3gpuE8ELNS1_3repE0EEENS1_36merge_oddeven_config_static_selectorELNS0_4arch9wavefront6targetE1EEEvSL_.kd
    .uniform_work_group_size: 1
    .uses_dynamic_stack: false
    .vgpr_count:     0
    .vgpr_spill_count: 0
    .wavefront_size: 64
  - .agpr_count:     0
    .args:
      - .offset:         0
        .size:           48
        .value_kind:     by_value
    .group_segment_fixed_size: 0
    .kernarg_segment_align: 8
    .kernarg_segment_size: 48
    .language:       OpenCL C
    .language_version:
      - 2
      - 0
    .max_flat_workgroup_size: 256
    .name:           _ZN7rocprim17ROCPRIM_400000_NS6detail17trampoline_kernelINS0_14default_configENS1_38merge_sort_block_merge_config_selectorIiNS0_10empty_typeEEEZZNS1_27merge_sort_block_merge_implIS3_N6thrust23THRUST_200600_302600_NS6detail15normal_iteratorINS9_10device_ptrIiEEEEPS5_jNS1_19radix_merge_compareILb0ELb1EiNS0_19identity_decomposerEEEEE10hipError_tT0_T1_T2_jT3_P12ihipStream_tbPNSt15iterator_traitsISK_E10value_typeEPNSQ_ISL_E10value_typeEPSM_NS1_7vsmem_tEENKUlT_SK_SL_SM_E_clIPiSE_SF_SF_EESJ_SZ_SK_SL_SM_EUlSZ_E1_NS1_11comp_targetILNS1_3genE3ELNS1_11target_archE908ELNS1_3gpuE7ELNS1_3repE0EEENS1_36merge_oddeven_config_static_selectorELNS0_4arch9wavefront6targetE1EEEvSL_
    .private_segment_fixed_size: 0
    .sgpr_count:     6
    .sgpr_spill_count: 0
    .symbol:         _ZN7rocprim17ROCPRIM_400000_NS6detail17trampoline_kernelINS0_14default_configENS1_38merge_sort_block_merge_config_selectorIiNS0_10empty_typeEEEZZNS1_27merge_sort_block_merge_implIS3_N6thrust23THRUST_200600_302600_NS6detail15normal_iteratorINS9_10device_ptrIiEEEEPS5_jNS1_19radix_merge_compareILb0ELb1EiNS0_19identity_decomposerEEEEE10hipError_tT0_T1_T2_jT3_P12ihipStream_tbPNSt15iterator_traitsISK_E10value_typeEPNSQ_ISL_E10value_typeEPSM_NS1_7vsmem_tEENKUlT_SK_SL_SM_E_clIPiSE_SF_SF_EESJ_SZ_SK_SL_SM_EUlSZ_E1_NS1_11comp_targetILNS1_3genE3ELNS1_11target_archE908ELNS1_3gpuE7ELNS1_3repE0EEENS1_36merge_oddeven_config_static_selectorELNS0_4arch9wavefront6targetE1EEEvSL_.kd
    .uniform_work_group_size: 1
    .uses_dynamic_stack: false
    .vgpr_count:     0
    .vgpr_spill_count: 0
    .wavefront_size: 64
  - .agpr_count:     0
    .args:
      - .offset:         0
        .size:           48
        .value_kind:     by_value
    .group_segment_fixed_size: 0
    .kernarg_segment_align: 8
    .kernarg_segment_size: 48
    .language:       OpenCL C
    .language_version:
      - 2
      - 0
    .max_flat_workgroup_size: 256
    .name:           _ZN7rocprim17ROCPRIM_400000_NS6detail17trampoline_kernelINS0_14default_configENS1_38merge_sort_block_merge_config_selectorIiNS0_10empty_typeEEEZZNS1_27merge_sort_block_merge_implIS3_N6thrust23THRUST_200600_302600_NS6detail15normal_iteratorINS9_10device_ptrIiEEEEPS5_jNS1_19radix_merge_compareILb0ELb1EiNS0_19identity_decomposerEEEEE10hipError_tT0_T1_T2_jT3_P12ihipStream_tbPNSt15iterator_traitsISK_E10value_typeEPNSQ_ISL_E10value_typeEPSM_NS1_7vsmem_tEENKUlT_SK_SL_SM_E_clIPiSE_SF_SF_EESJ_SZ_SK_SL_SM_EUlSZ_E1_NS1_11comp_targetILNS1_3genE2ELNS1_11target_archE906ELNS1_3gpuE6ELNS1_3repE0EEENS1_36merge_oddeven_config_static_selectorELNS0_4arch9wavefront6targetE1EEEvSL_
    .private_segment_fixed_size: 0
    .sgpr_count:     6
    .sgpr_spill_count: 0
    .symbol:         _ZN7rocprim17ROCPRIM_400000_NS6detail17trampoline_kernelINS0_14default_configENS1_38merge_sort_block_merge_config_selectorIiNS0_10empty_typeEEEZZNS1_27merge_sort_block_merge_implIS3_N6thrust23THRUST_200600_302600_NS6detail15normal_iteratorINS9_10device_ptrIiEEEEPS5_jNS1_19radix_merge_compareILb0ELb1EiNS0_19identity_decomposerEEEEE10hipError_tT0_T1_T2_jT3_P12ihipStream_tbPNSt15iterator_traitsISK_E10value_typeEPNSQ_ISL_E10value_typeEPSM_NS1_7vsmem_tEENKUlT_SK_SL_SM_E_clIPiSE_SF_SF_EESJ_SZ_SK_SL_SM_EUlSZ_E1_NS1_11comp_targetILNS1_3genE2ELNS1_11target_archE906ELNS1_3gpuE6ELNS1_3repE0EEENS1_36merge_oddeven_config_static_selectorELNS0_4arch9wavefront6targetE1EEEvSL_.kd
    .uniform_work_group_size: 1
    .uses_dynamic_stack: false
    .vgpr_count:     0
    .vgpr_spill_count: 0
    .wavefront_size: 64
  - .agpr_count:     0
    .args:
      - .offset:         0
        .size:           48
        .value_kind:     by_value
    .group_segment_fixed_size: 0
    .kernarg_segment_align: 8
    .kernarg_segment_size: 48
    .language:       OpenCL C
    .language_version:
      - 2
      - 0
    .max_flat_workgroup_size: 256
    .name:           _ZN7rocprim17ROCPRIM_400000_NS6detail17trampoline_kernelINS0_14default_configENS1_38merge_sort_block_merge_config_selectorIiNS0_10empty_typeEEEZZNS1_27merge_sort_block_merge_implIS3_N6thrust23THRUST_200600_302600_NS6detail15normal_iteratorINS9_10device_ptrIiEEEEPS5_jNS1_19radix_merge_compareILb0ELb1EiNS0_19identity_decomposerEEEEE10hipError_tT0_T1_T2_jT3_P12ihipStream_tbPNSt15iterator_traitsISK_E10value_typeEPNSQ_ISL_E10value_typeEPSM_NS1_7vsmem_tEENKUlT_SK_SL_SM_E_clIPiSE_SF_SF_EESJ_SZ_SK_SL_SM_EUlSZ_E1_NS1_11comp_targetILNS1_3genE9ELNS1_11target_archE1100ELNS1_3gpuE3ELNS1_3repE0EEENS1_36merge_oddeven_config_static_selectorELNS0_4arch9wavefront6targetE1EEEvSL_
    .private_segment_fixed_size: 0
    .sgpr_count:     6
    .sgpr_spill_count: 0
    .symbol:         _ZN7rocprim17ROCPRIM_400000_NS6detail17trampoline_kernelINS0_14default_configENS1_38merge_sort_block_merge_config_selectorIiNS0_10empty_typeEEEZZNS1_27merge_sort_block_merge_implIS3_N6thrust23THRUST_200600_302600_NS6detail15normal_iteratorINS9_10device_ptrIiEEEEPS5_jNS1_19radix_merge_compareILb0ELb1EiNS0_19identity_decomposerEEEEE10hipError_tT0_T1_T2_jT3_P12ihipStream_tbPNSt15iterator_traitsISK_E10value_typeEPNSQ_ISL_E10value_typeEPSM_NS1_7vsmem_tEENKUlT_SK_SL_SM_E_clIPiSE_SF_SF_EESJ_SZ_SK_SL_SM_EUlSZ_E1_NS1_11comp_targetILNS1_3genE9ELNS1_11target_archE1100ELNS1_3gpuE3ELNS1_3repE0EEENS1_36merge_oddeven_config_static_selectorELNS0_4arch9wavefront6targetE1EEEvSL_.kd
    .uniform_work_group_size: 1
    .uses_dynamic_stack: false
    .vgpr_count:     0
    .vgpr_spill_count: 0
    .wavefront_size: 64
  - .agpr_count:     0
    .args:
      - .offset:         0
        .size:           48
        .value_kind:     by_value
    .group_segment_fixed_size: 0
    .kernarg_segment_align: 8
    .kernarg_segment_size: 48
    .language:       OpenCL C
    .language_version:
      - 2
      - 0
    .max_flat_workgroup_size: 256
    .name:           _ZN7rocprim17ROCPRIM_400000_NS6detail17trampoline_kernelINS0_14default_configENS1_38merge_sort_block_merge_config_selectorIiNS0_10empty_typeEEEZZNS1_27merge_sort_block_merge_implIS3_N6thrust23THRUST_200600_302600_NS6detail15normal_iteratorINS9_10device_ptrIiEEEEPS5_jNS1_19radix_merge_compareILb0ELb1EiNS0_19identity_decomposerEEEEE10hipError_tT0_T1_T2_jT3_P12ihipStream_tbPNSt15iterator_traitsISK_E10value_typeEPNSQ_ISL_E10value_typeEPSM_NS1_7vsmem_tEENKUlT_SK_SL_SM_E_clIPiSE_SF_SF_EESJ_SZ_SK_SL_SM_EUlSZ_E1_NS1_11comp_targetILNS1_3genE8ELNS1_11target_archE1030ELNS1_3gpuE2ELNS1_3repE0EEENS1_36merge_oddeven_config_static_selectorELNS0_4arch9wavefront6targetE1EEEvSL_
    .private_segment_fixed_size: 0
    .sgpr_count:     6
    .sgpr_spill_count: 0
    .symbol:         _ZN7rocprim17ROCPRIM_400000_NS6detail17trampoline_kernelINS0_14default_configENS1_38merge_sort_block_merge_config_selectorIiNS0_10empty_typeEEEZZNS1_27merge_sort_block_merge_implIS3_N6thrust23THRUST_200600_302600_NS6detail15normal_iteratorINS9_10device_ptrIiEEEEPS5_jNS1_19radix_merge_compareILb0ELb1EiNS0_19identity_decomposerEEEEE10hipError_tT0_T1_T2_jT3_P12ihipStream_tbPNSt15iterator_traitsISK_E10value_typeEPNSQ_ISL_E10value_typeEPSM_NS1_7vsmem_tEENKUlT_SK_SL_SM_E_clIPiSE_SF_SF_EESJ_SZ_SK_SL_SM_EUlSZ_E1_NS1_11comp_targetILNS1_3genE8ELNS1_11target_archE1030ELNS1_3gpuE2ELNS1_3repE0EEENS1_36merge_oddeven_config_static_selectorELNS0_4arch9wavefront6targetE1EEEvSL_.kd
    .uniform_work_group_size: 1
    .uses_dynamic_stack: false
    .vgpr_count:     0
    .vgpr_spill_count: 0
    .wavefront_size: 64
  - .agpr_count:     0
    .args:
      - .offset:         0
        .size:           40
        .value_kind:     by_value
    .group_segment_fixed_size: 0
    .kernarg_segment_align: 8
    .kernarg_segment_size: 40
    .language:       OpenCL C
    .language_version:
      - 2
      - 0
    .max_flat_workgroup_size: 128
    .name:           _ZN7rocprim17ROCPRIM_400000_NS6detail17trampoline_kernelINS0_14default_configENS1_38merge_sort_block_merge_config_selectorIiNS0_10empty_typeEEEZZNS1_27merge_sort_block_merge_implIS3_N6thrust23THRUST_200600_302600_NS6detail15normal_iteratorINS9_10device_ptrIiEEEEPS5_jNS1_19radix_merge_compareILb0ELb1EiNS0_19identity_decomposerEEEEE10hipError_tT0_T1_T2_jT3_P12ihipStream_tbPNSt15iterator_traitsISK_E10value_typeEPNSQ_ISL_E10value_typeEPSM_NS1_7vsmem_tEENKUlT_SK_SL_SM_E_clISE_PiSF_SF_EESJ_SZ_SK_SL_SM_EUlSZ_E_NS1_11comp_targetILNS1_3genE0ELNS1_11target_archE4294967295ELNS1_3gpuE0ELNS1_3repE0EEENS1_48merge_mergepath_partition_config_static_selectorELNS0_4arch9wavefront6targetE1EEEvSL_
    .private_segment_fixed_size: 0
    .sgpr_count:     6
    .sgpr_spill_count: 0
    .symbol:         _ZN7rocprim17ROCPRIM_400000_NS6detail17trampoline_kernelINS0_14default_configENS1_38merge_sort_block_merge_config_selectorIiNS0_10empty_typeEEEZZNS1_27merge_sort_block_merge_implIS3_N6thrust23THRUST_200600_302600_NS6detail15normal_iteratorINS9_10device_ptrIiEEEEPS5_jNS1_19radix_merge_compareILb0ELb1EiNS0_19identity_decomposerEEEEE10hipError_tT0_T1_T2_jT3_P12ihipStream_tbPNSt15iterator_traitsISK_E10value_typeEPNSQ_ISL_E10value_typeEPSM_NS1_7vsmem_tEENKUlT_SK_SL_SM_E_clISE_PiSF_SF_EESJ_SZ_SK_SL_SM_EUlSZ_E_NS1_11comp_targetILNS1_3genE0ELNS1_11target_archE4294967295ELNS1_3gpuE0ELNS1_3repE0EEENS1_48merge_mergepath_partition_config_static_selectorELNS0_4arch9wavefront6targetE1EEEvSL_.kd
    .uniform_work_group_size: 1
    .uses_dynamic_stack: false
    .vgpr_count:     0
    .vgpr_spill_count: 0
    .wavefront_size: 64
  - .agpr_count:     0
    .args:
      - .offset:         0
        .size:           40
        .value_kind:     by_value
    .group_segment_fixed_size: 0
    .kernarg_segment_align: 8
    .kernarg_segment_size: 40
    .language:       OpenCL C
    .language_version:
      - 2
      - 0
    .max_flat_workgroup_size: 128
    .name:           _ZN7rocprim17ROCPRIM_400000_NS6detail17trampoline_kernelINS0_14default_configENS1_38merge_sort_block_merge_config_selectorIiNS0_10empty_typeEEEZZNS1_27merge_sort_block_merge_implIS3_N6thrust23THRUST_200600_302600_NS6detail15normal_iteratorINS9_10device_ptrIiEEEEPS5_jNS1_19radix_merge_compareILb0ELb1EiNS0_19identity_decomposerEEEEE10hipError_tT0_T1_T2_jT3_P12ihipStream_tbPNSt15iterator_traitsISK_E10value_typeEPNSQ_ISL_E10value_typeEPSM_NS1_7vsmem_tEENKUlT_SK_SL_SM_E_clISE_PiSF_SF_EESJ_SZ_SK_SL_SM_EUlSZ_E_NS1_11comp_targetILNS1_3genE10ELNS1_11target_archE1201ELNS1_3gpuE5ELNS1_3repE0EEENS1_48merge_mergepath_partition_config_static_selectorELNS0_4arch9wavefront6targetE1EEEvSL_
    .private_segment_fixed_size: 0
    .sgpr_count:     6
    .sgpr_spill_count: 0
    .symbol:         _ZN7rocprim17ROCPRIM_400000_NS6detail17trampoline_kernelINS0_14default_configENS1_38merge_sort_block_merge_config_selectorIiNS0_10empty_typeEEEZZNS1_27merge_sort_block_merge_implIS3_N6thrust23THRUST_200600_302600_NS6detail15normal_iteratorINS9_10device_ptrIiEEEEPS5_jNS1_19radix_merge_compareILb0ELb1EiNS0_19identity_decomposerEEEEE10hipError_tT0_T1_T2_jT3_P12ihipStream_tbPNSt15iterator_traitsISK_E10value_typeEPNSQ_ISL_E10value_typeEPSM_NS1_7vsmem_tEENKUlT_SK_SL_SM_E_clISE_PiSF_SF_EESJ_SZ_SK_SL_SM_EUlSZ_E_NS1_11comp_targetILNS1_3genE10ELNS1_11target_archE1201ELNS1_3gpuE5ELNS1_3repE0EEENS1_48merge_mergepath_partition_config_static_selectorELNS0_4arch9wavefront6targetE1EEEvSL_.kd
    .uniform_work_group_size: 1
    .uses_dynamic_stack: false
    .vgpr_count:     0
    .vgpr_spill_count: 0
    .wavefront_size: 64
  - .agpr_count:     0
    .args:
      - .offset:         0
        .size:           40
        .value_kind:     by_value
    .group_segment_fixed_size: 0
    .kernarg_segment_align: 8
    .kernarg_segment_size: 40
    .language:       OpenCL C
    .language_version:
      - 2
      - 0
    .max_flat_workgroup_size: 128
    .name:           _ZN7rocprim17ROCPRIM_400000_NS6detail17trampoline_kernelINS0_14default_configENS1_38merge_sort_block_merge_config_selectorIiNS0_10empty_typeEEEZZNS1_27merge_sort_block_merge_implIS3_N6thrust23THRUST_200600_302600_NS6detail15normal_iteratorINS9_10device_ptrIiEEEEPS5_jNS1_19radix_merge_compareILb0ELb1EiNS0_19identity_decomposerEEEEE10hipError_tT0_T1_T2_jT3_P12ihipStream_tbPNSt15iterator_traitsISK_E10value_typeEPNSQ_ISL_E10value_typeEPSM_NS1_7vsmem_tEENKUlT_SK_SL_SM_E_clISE_PiSF_SF_EESJ_SZ_SK_SL_SM_EUlSZ_E_NS1_11comp_targetILNS1_3genE5ELNS1_11target_archE942ELNS1_3gpuE9ELNS1_3repE0EEENS1_48merge_mergepath_partition_config_static_selectorELNS0_4arch9wavefront6targetE1EEEvSL_
    .private_segment_fixed_size: 0
    .sgpr_count:     16
    .sgpr_spill_count: 0
    .symbol:         _ZN7rocprim17ROCPRIM_400000_NS6detail17trampoline_kernelINS0_14default_configENS1_38merge_sort_block_merge_config_selectorIiNS0_10empty_typeEEEZZNS1_27merge_sort_block_merge_implIS3_N6thrust23THRUST_200600_302600_NS6detail15normal_iteratorINS9_10device_ptrIiEEEEPS5_jNS1_19radix_merge_compareILb0ELb1EiNS0_19identity_decomposerEEEEE10hipError_tT0_T1_T2_jT3_P12ihipStream_tbPNSt15iterator_traitsISK_E10value_typeEPNSQ_ISL_E10value_typeEPSM_NS1_7vsmem_tEENKUlT_SK_SL_SM_E_clISE_PiSF_SF_EESJ_SZ_SK_SL_SM_EUlSZ_E_NS1_11comp_targetILNS1_3genE5ELNS1_11target_archE942ELNS1_3gpuE9ELNS1_3repE0EEENS1_48merge_mergepath_partition_config_static_selectorELNS0_4arch9wavefront6targetE1EEEvSL_.kd
    .uniform_work_group_size: 1
    .uses_dynamic_stack: false
    .vgpr_count:     17
    .vgpr_spill_count: 0
    .wavefront_size: 64
  - .agpr_count:     0
    .args:
      - .offset:         0
        .size:           40
        .value_kind:     by_value
    .group_segment_fixed_size: 0
    .kernarg_segment_align: 8
    .kernarg_segment_size: 40
    .language:       OpenCL C
    .language_version:
      - 2
      - 0
    .max_flat_workgroup_size: 128
    .name:           _ZN7rocprim17ROCPRIM_400000_NS6detail17trampoline_kernelINS0_14default_configENS1_38merge_sort_block_merge_config_selectorIiNS0_10empty_typeEEEZZNS1_27merge_sort_block_merge_implIS3_N6thrust23THRUST_200600_302600_NS6detail15normal_iteratorINS9_10device_ptrIiEEEEPS5_jNS1_19radix_merge_compareILb0ELb1EiNS0_19identity_decomposerEEEEE10hipError_tT0_T1_T2_jT3_P12ihipStream_tbPNSt15iterator_traitsISK_E10value_typeEPNSQ_ISL_E10value_typeEPSM_NS1_7vsmem_tEENKUlT_SK_SL_SM_E_clISE_PiSF_SF_EESJ_SZ_SK_SL_SM_EUlSZ_E_NS1_11comp_targetILNS1_3genE4ELNS1_11target_archE910ELNS1_3gpuE8ELNS1_3repE0EEENS1_48merge_mergepath_partition_config_static_selectorELNS0_4arch9wavefront6targetE1EEEvSL_
    .private_segment_fixed_size: 0
    .sgpr_count:     6
    .sgpr_spill_count: 0
    .symbol:         _ZN7rocprim17ROCPRIM_400000_NS6detail17trampoline_kernelINS0_14default_configENS1_38merge_sort_block_merge_config_selectorIiNS0_10empty_typeEEEZZNS1_27merge_sort_block_merge_implIS3_N6thrust23THRUST_200600_302600_NS6detail15normal_iteratorINS9_10device_ptrIiEEEEPS5_jNS1_19radix_merge_compareILb0ELb1EiNS0_19identity_decomposerEEEEE10hipError_tT0_T1_T2_jT3_P12ihipStream_tbPNSt15iterator_traitsISK_E10value_typeEPNSQ_ISL_E10value_typeEPSM_NS1_7vsmem_tEENKUlT_SK_SL_SM_E_clISE_PiSF_SF_EESJ_SZ_SK_SL_SM_EUlSZ_E_NS1_11comp_targetILNS1_3genE4ELNS1_11target_archE910ELNS1_3gpuE8ELNS1_3repE0EEENS1_48merge_mergepath_partition_config_static_selectorELNS0_4arch9wavefront6targetE1EEEvSL_.kd
    .uniform_work_group_size: 1
    .uses_dynamic_stack: false
    .vgpr_count:     0
    .vgpr_spill_count: 0
    .wavefront_size: 64
  - .agpr_count:     0
    .args:
      - .offset:         0
        .size:           40
        .value_kind:     by_value
    .group_segment_fixed_size: 0
    .kernarg_segment_align: 8
    .kernarg_segment_size: 40
    .language:       OpenCL C
    .language_version:
      - 2
      - 0
    .max_flat_workgroup_size: 128
    .name:           _ZN7rocprim17ROCPRIM_400000_NS6detail17trampoline_kernelINS0_14default_configENS1_38merge_sort_block_merge_config_selectorIiNS0_10empty_typeEEEZZNS1_27merge_sort_block_merge_implIS3_N6thrust23THRUST_200600_302600_NS6detail15normal_iteratorINS9_10device_ptrIiEEEEPS5_jNS1_19radix_merge_compareILb0ELb1EiNS0_19identity_decomposerEEEEE10hipError_tT0_T1_T2_jT3_P12ihipStream_tbPNSt15iterator_traitsISK_E10value_typeEPNSQ_ISL_E10value_typeEPSM_NS1_7vsmem_tEENKUlT_SK_SL_SM_E_clISE_PiSF_SF_EESJ_SZ_SK_SL_SM_EUlSZ_E_NS1_11comp_targetILNS1_3genE3ELNS1_11target_archE908ELNS1_3gpuE7ELNS1_3repE0EEENS1_48merge_mergepath_partition_config_static_selectorELNS0_4arch9wavefront6targetE1EEEvSL_
    .private_segment_fixed_size: 0
    .sgpr_count:     6
    .sgpr_spill_count: 0
    .symbol:         _ZN7rocprim17ROCPRIM_400000_NS6detail17trampoline_kernelINS0_14default_configENS1_38merge_sort_block_merge_config_selectorIiNS0_10empty_typeEEEZZNS1_27merge_sort_block_merge_implIS3_N6thrust23THRUST_200600_302600_NS6detail15normal_iteratorINS9_10device_ptrIiEEEEPS5_jNS1_19radix_merge_compareILb0ELb1EiNS0_19identity_decomposerEEEEE10hipError_tT0_T1_T2_jT3_P12ihipStream_tbPNSt15iterator_traitsISK_E10value_typeEPNSQ_ISL_E10value_typeEPSM_NS1_7vsmem_tEENKUlT_SK_SL_SM_E_clISE_PiSF_SF_EESJ_SZ_SK_SL_SM_EUlSZ_E_NS1_11comp_targetILNS1_3genE3ELNS1_11target_archE908ELNS1_3gpuE7ELNS1_3repE0EEENS1_48merge_mergepath_partition_config_static_selectorELNS0_4arch9wavefront6targetE1EEEvSL_.kd
    .uniform_work_group_size: 1
    .uses_dynamic_stack: false
    .vgpr_count:     0
    .vgpr_spill_count: 0
    .wavefront_size: 64
  - .agpr_count:     0
    .args:
      - .offset:         0
        .size:           40
        .value_kind:     by_value
    .group_segment_fixed_size: 0
    .kernarg_segment_align: 8
    .kernarg_segment_size: 40
    .language:       OpenCL C
    .language_version:
      - 2
      - 0
    .max_flat_workgroup_size: 128
    .name:           _ZN7rocprim17ROCPRIM_400000_NS6detail17trampoline_kernelINS0_14default_configENS1_38merge_sort_block_merge_config_selectorIiNS0_10empty_typeEEEZZNS1_27merge_sort_block_merge_implIS3_N6thrust23THRUST_200600_302600_NS6detail15normal_iteratorINS9_10device_ptrIiEEEEPS5_jNS1_19radix_merge_compareILb0ELb1EiNS0_19identity_decomposerEEEEE10hipError_tT0_T1_T2_jT3_P12ihipStream_tbPNSt15iterator_traitsISK_E10value_typeEPNSQ_ISL_E10value_typeEPSM_NS1_7vsmem_tEENKUlT_SK_SL_SM_E_clISE_PiSF_SF_EESJ_SZ_SK_SL_SM_EUlSZ_E_NS1_11comp_targetILNS1_3genE2ELNS1_11target_archE906ELNS1_3gpuE6ELNS1_3repE0EEENS1_48merge_mergepath_partition_config_static_selectorELNS0_4arch9wavefront6targetE1EEEvSL_
    .private_segment_fixed_size: 0
    .sgpr_count:     6
    .sgpr_spill_count: 0
    .symbol:         _ZN7rocprim17ROCPRIM_400000_NS6detail17trampoline_kernelINS0_14default_configENS1_38merge_sort_block_merge_config_selectorIiNS0_10empty_typeEEEZZNS1_27merge_sort_block_merge_implIS3_N6thrust23THRUST_200600_302600_NS6detail15normal_iteratorINS9_10device_ptrIiEEEEPS5_jNS1_19radix_merge_compareILb0ELb1EiNS0_19identity_decomposerEEEEE10hipError_tT0_T1_T2_jT3_P12ihipStream_tbPNSt15iterator_traitsISK_E10value_typeEPNSQ_ISL_E10value_typeEPSM_NS1_7vsmem_tEENKUlT_SK_SL_SM_E_clISE_PiSF_SF_EESJ_SZ_SK_SL_SM_EUlSZ_E_NS1_11comp_targetILNS1_3genE2ELNS1_11target_archE906ELNS1_3gpuE6ELNS1_3repE0EEENS1_48merge_mergepath_partition_config_static_selectorELNS0_4arch9wavefront6targetE1EEEvSL_.kd
    .uniform_work_group_size: 1
    .uses_dynamic_stack: false
    .vgpr_count:     0
    .vgpr_spill_count: 0
    .wavefront_size: 64
  - .agpr_count:     0
    .args:
      - .offset:         0
        .size:           40
        .value_kind:     by_value
    .group_segment_fixed_size: 0
    .kernarg_segment_align: 8
    .kernarg_segment_size: 40
    .language:       OpenCL C
    .language_version:
      - 2
      - 0
    .max_flat_workgroup_size: 128
    .name:           _ZN7rocprim17ROCPRIM_400000_NS6detail17trampoline_kernelINS0_14default_configENS1_38merge_sort_block_merge_config_selectorIiNS0_10empty_typeEEEZZNS1_27merge_sort_block_merge_implIS3_N6thrust23THRUST_200600_302600_NS6detail15normal_iteratorINS9_10device_ptrIiEEEEPS5_jNS1_19radix_merge_compareILb0ELb1EiNS0_19identity_decomposerEEEEE10hipError_tT0_T1_T2_jT3_P12ihipStream_tbPNSt15iterator_traitsISK_E10value_typeEPNSQ_ISL_E10value_typeEPSM_NS1_7vsmem_tEENKUlT_SK_SL_SM_E_clISE_PiSF_SF_EESJ_SZ_SK_SL_SM_EUlSZ_E_NS1_11comp_targetILNS1_3genE9ELNS1_11target_archE1100ELNS1_3gpuE3ELNS1_3repE0EEENS1_48merge_mergepath_partition_config_static_selectorELNS0_4arch9wavefront6targetE1EEEvSL_
    .private_segment_fixed_size: 0
    .sgpr_count:     6
    .sgpr_spill_count: 0
    .symbol:         _ZN7rocprim17ROCPRIM_400000_NS6detail17trampoline_kernelINS0_14default_configENS1_38merge_sort_block_merge_config_selectorIiNS0_10empty_typeEEEZZNS1_27merge_sort_block_merge_implIS3_N6thrust23THRUST_200600_302600_NS6detail15normal_iteratorINS9_10device_ptrIiEEEEPS5_jNS1_19radix_merge_compareILb0ELb1EiNS0_19identity_decomposerEEEEE10hipError_tT0_T1_T2_jT3_P12ihipStream_tbPNSt15iterator_traitsISK_E10value_typeEPNSQ_ISL_E10value_typeEPSM_NS1_7vsmem_tEENKUlT_SK_SL_SM_E_clISE_PiSF_SF_EESJ_SZ_SK_SL_SM_EUlSZ_E_NS1_11comp_targetILNS1_3genE9ELNS1_11target_archE1100ELNS1_3gpuE3ELNS1_3repE0EEENS1_48merge_mergepath_partition_config_static_selectorELNS0_4arch9wavefront6targetE1EEEvSL_.kd
    .uniform_work_group_size: 1
    .uses_dynamic_stack: false
    .vgpr_count:     0
    .vgpr_spill_count: 0
    .wavefront_size: 64
  - .agpr_count:     0
    .args:
      - .offset:         0
        .size:           40
        .value_kind:     by_value
    .group_segment_fixed_size: 0
    .kernarg_segment_align: 8
    .kernarg_segment_size: 40
    .language:       OpenCL C
    .language_version:
      - 2
      - 0
    .max_flat_workgroup_size: 128
    .name:           _ZN7rocprim17ROCPRIM_400000_NS6detail17trampoline_kernelINS0_14default_configENS1_38merge_sort_block_merge_config_selectorIiNS0_10empty_typeEEEZZNS1_27merge_sort_block_merge_implIS3_N6thrust23THRUST_200600_302600_NS6detail15normal_iteratorINS9_10device_ptrIiEEEEPS5_jNS1_19radix_merge_compareILb0ELb1EiNS0_19identity_decomposerEEEEE10hipError_tT0_T1_T2_jT3_P12ihipStream_tbPNSt15iterator_traitsISK_E10value_typeEPNSQ_ISL_E10value_typeEPSM_NS1_7vsmem_tEENKUlT_SK_SL_SM_E_clISE_PiSF_SF_EESJ_SZ_SK_SL_SM_EUlSZ_E_NS1_11comp_targetILNS1_3genE8ELNS1_11target_archE1030ELNS1_3gpuE2ELNS1_3repE0EEENS1_48merge_mergepath_partition_config_static_selectorELNS0_4arch9wavefront6targetE1EEEvSL_
    .private_segment_fixed_size: 0
    .sgpr_count:     6
    .sgpr_spill_count: 0
    .symbol:         _ZN7rocprim17ROCPRIM_400000_NS6detail17trampoline_kernelINS0_14default_configENS1_38merge_sort_block_merge_config_selectorIiNS0_10empty_typeEEEZZNS1_27merge_sort_block_merge_implIS3_N6thrust23THRUST_200600_302600_NS6detail15normal_iteratorINS9_10device_ptrIiEEEEPS5_jNS1_19radix_merge_compareILb0ELb1EiNS0_19identity_decomposerEEEEE10hipError_tT0_T1_T2_jT3_P12ihipStream_tbPNSt15iterator_traitsISK_E10value_typeEPNSQ_ISL_E10value_typeEPSM_NS1_7vsmem_tEENKUlT_SK_SL_SM_E_clISE_PiSF_SF_EESJ_SZ_SK_SL_SM_EUlSZ_E_NS1_11comp_targetILNS1_3genE8ELNS1_11target_archE1030ELNS1_3gpuE2ELNS1_3repE0EEENS1_48merge_mergepath_partition_config_static_selectorELNS0_4arch9wavefront6targetE1EEEvSL_.kd
    .uniform_work_group_size: 1
    .uses_dynamic_stack: false
    .vgpr_count:     0
    .vgpr_spill_count: 0
    .wavefront_size: 64
  - .agpr_count:     0
    .args:
      - .offset:         0
        .size:           64
        .value_kind:     by_value
    .group_segment_fixed_size: 0
    .kernarg_segment_align: 8
    .kernarg_segment_size: 64
    .language:       OpenCL C
    .language_version:
      - 2
      - 0
    .max_flat_workgroup_size: 128
    .name:           _ZN7rocprim17ROCPRIM_400000_NS6detail17trampoline_kernelINS0_14default_configENS1_38merge_sort_block_merge_config_selectorIiNS0_10empty_typeEEEZZNS1_27merge_sort_block_merge_implIS3_N6thrust23THRUST_200600_302600_NS6detail15normal_iteratorINS9_10device_ptrIiEEEEPS5_jNS1_19radix_merge_compareILb0ELb1EiNS0_19identity_decomposerEEEEE10hipError_tT0_T1_T2_jT3_P12ihipStream_tbPNSt15iterator_traitsISK_E10value_typeEPNSQ_ISL_E10value_typeEPSM_NS1_7vsmem_tEENKUlT_SK_SL_SM_E_clISE_PiSF_SF_EESJ_SZ_SK_SL_SM_EUlSZ_E0_NS1_11comp_targetILNS1_3genE0ELNS1_11target_archE4294967295ELNS1_3gpuE0ELNS1_3repE0EEENS1_38merge_mergepath_config_static_selectorELNS0_4arch9wavefront6targetE1EEEvSL_
    .private_segment_fixed_size: 0
    .sgpr_count:     6
    .sgpr_spill_count: 0
    .symbol:         _ZN7rocprim17ROCPRIM_400000_NS6detail17trampoline_kernelINS0_14default_configENS1_38merge_sort_block_merge_config_selectorIiNS0_10empty_typeEEEZZNS1_27merge_sort_block_merge_implIS3_N6thrust23THRUST_200600_302600_NS6detail15normal_iteratorINS9_10device_ptrIiEEEEPS5_jNS1_19radix_merge_compareILb0ELb1EiNS0_19identity_decomposerEEEEE10hipError_tT0_T1_T2_jT3_P12ihipStream_tbPNSt15iterator_traitsISK_E10value_typeEPNSQ_ISL_E10value_typeEPSM_NS1_7vsmem_tEENKUlT_SK_SL_SM_E_clISE_PiSF_SF_EESJ_SZ_SK_SL_SM_EUlSZ_E0_NS1_11comp_targetILNS1_3genE0ELNS1_11target_archE4294967295ELNS1_3gpuE0ELNS1_3repE0EEENS1_38merge_mergepath_config_static_selectorELNS0_4arch9wavefront6targetE1EEEvSL_.kd
    .uniform_work_group_size: 1
    .uses_dynamic_stack: false
    .vgpr_count:     0
    .vgpr_spill_count: 0
    .wavefront_size: 64
  - .agpr_count:     0
    .args:
      - .offset:         0
        .size:           64
        .value_kind:     by_value
    .group_segment_fixed_size: 0
    .kernarg_segment_align: 8
    .kernarg_segment_size: 64
    .language:       OpenCL C
    .language_version:
      - 2
      - 0
    .max_flat_workgroup_size: 256
    .name:           _ZN7rocprim17ROCPRIM_400000_NS6detail17trampoline_kernelINS0_14default_configENS1_38merge_sort_block_merge_config_selectorIiNS0_10empty_typeEEEZZNS1_27merge_sort_block_merge_implIS3_N6thrust23THRUST_200600_302600_NS6detail15normal_iteratorINS9_10device_ptrIiEEEEPS5_jNS1_19radix_merge_compareILb0ELb1EiNS0_19identity_decomposerEEEEE10hipError_tT0_T1_T2_jT3_P12ihipStream_tbPNSt15iterator_traitsISK_E10value_typeEPNSQ_ISL_E10value_typeEPSM_NS1_7vsmem_tEENKUlT_SK_SL_SM_E_clISE_PiSF_SF_EESJ_SZ_SK_SL_SM_EUlSZ_E0_NS1_11comp_targetILNS1_3genE10ELNS1_11target_archE1201ELNS1_3gpuE5ELNS1_3repE0EEENS1_38merge_mergepath_config_static_selectorELNS0_4arch9wavefront6targetE1EEEvSL_
    .private_segment_fixed_size: 0
    .sgpr_count:     6
    .sgpr_spill_count: 0
    .symbol:         _ZN7rocprim17ROCPRIM_400000_NS6detail17trampoline_kernelINS0_14default_configENS1_38merge_sort_block_merge_config_selectorIiNS0_10empty_typeEEEZZNS1_27merge_sort_block_merge_implIS3_N6thrust23THRUST_200600_302600_NS6detail15normal_iteratorINS9_10device_ptrIiEEEEPS5_jNS1_19radix_merge_compareILb0ELb1EiNS0_19identity_decomposerEEEEE10hipError_tT0_T1_T2_jT3_P12ihipStream_tbPNSt15iterator_traitsISK_E10value_typeEPNSQ_ISL_E10value_typeEPSM_NS1_7vsmem_tEENKUlT_SK_SL_SM_E_clISE_PiSF_SF_EESJ_SZ_SK_SL_SM_EUlSZ_E0_NS1_11comp_targetILNS1_3genE10ELNS1_11target_archE1201ELNS1_3gpuE5ELNS1_3repE0EEENS1_38merge_mergepath_config_static_selectorELNS0_4arch9wavefront6targetE1EEEvSL_.kd
    .uniform_work_group_size: 1
    .uses_dynamic_stack: false
    .vgpr_count:     0
    .vgpr_spill_count: 0
    .wavefront_size: 64
  - .agpr_count:     0
    .args:
      - .offset:         0
        .size:           64
        .value_kind:     by_value
      - .offset:         64
        .size:           4
        .value_kind:     hidden_block_count_x
      - .offset:         68
        .size:           4
        .value_kind:     hidden_block_count_y
      - .offset:         72
        .size:           4
        .value_kind:     hidden_block_count_z
      - .offset:         76
        .size:           2
        .value_kind:     hidden_group_size_x
      - .offset:         78
        .size:           2
        .value_kind:     hidden_group_size_y
      - .offset:         80
        .size:           2
        .value_kind:     hidden_group_size_z
      - .offset:         82
        .size:           2
        .value_kind:     hidden_remainder_x
      - .offset:         84
        .size:           2
        .value_kind:     hidden_remainder_y
      - .offset:         86
        .size:           2
        .value_kind:     hidden_remainder_z
      - .offset:         104
        .size:           8
        .value_kind:     hidden_global_offset_x
      - .offset:         112
        .size:           8
        .value_kind:     hidden_global_offset_y
      - .offset:         120
        .size:           8
        .value_kind:     hidden_global_offset_z
      - .offset:         128
        .size:           2
        .value_kind:     hidden_grid_dims
    .group_segment_fixed_size: 4224
    .kernarg_segment_align: 8
    .kernarg_segment_size: 320
    .language:       OpenCL C
    .language_version:
      - 2
      - 0
    .max_flat_workgroup_size: 128
    .name:           _ZN7rocprim17ROCPRIM_400000_NS6detail17trampoline_kernelINS0_14default_configENS1_38merge_sort_block_merge_config_selectorIiNS0_10empty_typeEEEZZNS1_27merge_sort_block_merge_implIS3_N6thrust23THRUST_200600_302600_NS6detail15normal_iteratorINS9_10device_ptrIiEEEEPS5_jNS1_19radix_merge_compareILb0ELb1EiNS0_19identity_decomposerEEEEE10hipError_tT0_T1_T2_jT3_P12ihipStream_tbPNSt15iterator_traitsISK_E10value_typeEPNSQ_ISL_E10value_typeEPSM_NS1_7vsmem_tEENKUlT_SK_SL_SM_E_clISE_PiSF_SF_EESJ_SZ_SK_SL_SM_EUlSZ_E0_NS1_11comp_targetILNS1_3genE5ELNS1_11target_archE942ELNS1_3gpuE9ELNS1_3repE0EEENS1_38merge_mergepath_config_static_selectorELNS0_4arch9wavefront6targetE1EEEvSL_
    .private_segment_fixed_size: 0
    .sgpr_count:     30
    .sgpr_spill_count: 0
    .symbol:         _ZN7rocprim17ROCPRIM_400000_NS6detail17trampoline_kernelINS0_14default_configENS1_38merge_sort_block_merge_config_selectorIiNS0_10empty_typeEEEZZNS1_27merge_sort_block_merge_implIS3_N6thrust23THRUST_200600_302600_NS6detail15normal_iteratorINS9_10device_ptrIiEEEEPS5_jNS1_19radix_merge_compareILb0ELb1EiNS0_19identity_decomposerEEEEE10hipError_tT0_T1_T2_jT3_P12ihipStream_tbPNSt15iterator_traitsISK_E10value_typeEPNSQ_ISL_E10value_typeEPSM_NS1_7vsmem_tEENKUlT_SK_SL_SM_E_clISE_PiSF_SF_EESJ_SZ_SK_SL_SM_EUlSZ_E0_NS1_11comp_targetILNS1_3genE5ELNS1_11target_archE942ELNS1_3gpuE9ELNS1_3repE0EEENS1_38merge_mergepath_config_static_selectorELNS0_4arch9wavefront6targetE1EEEvSL_.kd
    .uniform_work_group_size: 1
    .uses_dynamic_stack: false
    .vgpr_count:     26
    .vgpr_spill_count: 0
    .wavefront_size: 64
  - .agpr_count:     0
    .args:
      - .offset:         0
        .size:           64
        .value_kind:     by_value
    .group_segment_fixed_size: 0
    .kernarg_segment_align: 8
    .kernarg_segment_size: 64
    .language:       OpenCL C
    .language_version:
      - 2
      - 0
    .max_flat_workgroup_size: 128
    .name:           _ZN7rocprim17ROCPRIM_400000_NS6detail17trampoline_kernelINS0_14default_configENS1_38merge_sort_block_merge_config_selectorIiNS0_10empty_typeEEEZZNS1_27merge_sort_block_merge_implIS3_N6thrust23THRUST_200600_302600_NS6detail15normal_iteratorINS9_10device_ptrIiEEEEPS5_jNS1_19radix_merge_compareILb0ELb1EiNS0_19identity_decomposerEEEEE10hipError_tT0_T1_T2_jT3_P12ihipStream_tbPNSt15iterator_traitsISK_E10value_typeEPNSQ_ISL_E10value_typeEPSM_NS1_7vsmem_tEENKUlT_SK_SL_SM_E_clISE_PiSF_SF_EESJ_SZ_SK_SL_SM_EUlSZ_E0_NS1_11comp_targetILNS1_3genE4ELNS1_11target_archE910ELNS1_3gpuE8ELNS1_3repE0EEENS1_38merge_mergepath_config_static_selectorELNS0_4arch9wavefront6targetE1EEEvSL_
    .private_segment_fixed_size: 0
    .sgpr_count:     6
    .sgpr_spill_count: 0
    .symbol:         _ZN7rocprim17ROCPRIM_400000_NS6detail17trampoline_kernelINS0_14default_configENS1_38merge_sort_block_merge_config_selectorIiNS0_10empty_typeEEEZZNS1_27merge_sort_block_merge_implIS3_N6thrust23THRUST_200600_302600_NS6detail15normal_iteratorINS9_10device_ptrIiEEEEPS5_jNS1_19radix_merge_compareILb0ELb1EiNS0_19identity_decomposerEEEEE10hipError_tT0_T1_T2_jT3_P12ihipStream_tbPNSt15iterator_traitsISK_E10value_typeEPNSQ_ISL_E10value_typeEPSM_NS1_7vsmem_tEENKUlT_SK_SL_SM_E_clISE_PiSF_SF_EESJ_SZ_SK_SL_SM_EUlSZ_E0_NS1_11comp_targetILNS1_3genE4ELNS1_11target_archE910ELNS1_3gpuE8ELNS1_3repE0EEENS1_38merge_mergepath_config_static_selectorELNS0_4arch9wavefront6targetE1EEEvSL_.kd
    .uniform_work_group_size: 1
    .uses_dynamic_stack: false
    .vgpr_count:     0
    .vgpr_spill_count: 0
    .wavefront_size: 64
  - .agpr_count:     0
    .args:
      - .offset:         0
        .size:           64
        .value_kind:     by_value
    .group_segment_fixed_size: 0
    .kernarg_segment_align: 8
    .kernarg_segment_size: 64
    .language:       OpenCL C
    .language_version:
      - 2
      - 0
    .max_flat_workgroup_size: 128
    .name:           _ZN7rocprim17ROCPRIM_400000_NS6detail17trampoline_kernelINS0_14default_configENS1_38merge_sort_block_merge_config_selectorIiNS0_10empty_typeEEEZZNS1_27merge_sort_block_merge_implIS3_N6thrust23THRUST_200600_302600_NS6detail15normal_iteratorINS9_10device_ptrIiEEEEPS5_jNS1_19radix_merge_compareILb0ELb1EiNS0_19identity_decomposerEEEEE10hipError_tT0_T1_T2_jT3_P12ihipStream_tbPNSt15iterator_traitsISK_E10value_typeEPNSQ_ISL_E10value_typeEPSM_NS1_7vsmem_tEENKUlT_SK_SL_SM_E_clISE_PiSF_SF_EESJ_SZ_SK_SL_SM_EUlSZ_E0_NS1_11comp_targetILNS1_3genE3ELNS1_11target_archE908ELNS1_3gpuE7ELNS1_3repE0EEENS1_38merge_mergepath_config_static_selectorELNS0_4arch9wavefront6targetE1EEEvSL_
    .private_segment_fixed_size: 0
    .sgpr_count:     6
    .sgpr_spill_count: 0
    .symbol:         _ZN7rocprim17ROCPRIM_400000_NS6detail17trampoline_kernelINS0_14default_configENS1_38merge_sort_block_merge_config_selectorIiNS0_10empty_typeEEEZZNS1_27merge_sort_block_merge_implIS3_N6thrust23THRUST_200600_302600_NS6detail15normal_iteratorINS9_10device_ptrIiEEEEPS5_jNS1_19radix_merge_compareILb0ELb1EiNS0_19identity_decomposerEEEEE10hipError_tT0_T1_T2_jT3_P12ihipStream_tbPNSt15iterator_traitsISK_E10value_typeEPNSQ_ISL_E10value_typeEPSM_NS1_7vsmem_tEENKUlT_SK_SL_SM_E_clISE_PiSF_SF_EESJ_SZ_SK_SL_SM_EUlSZ_E0_NS1_11comp_targetILNS1_3genE3ELNS1_11target_archE908ELNS1_3gpuE7ELNS1_3repE0EEENS1_38merge_mergepath_config_static_selectorELNS0_4arch9wavefront6targetE1EEEvSL_.kd
    .uniform_work_group_size: 1
    .uses_dynamic_stack: false
    .vgpr_count:     0
    .vgpr_spill_count: 0
    .wavefront_size: 64
  - .agpr_count:     0
    .args:
      - .offset:         0
        .size:           64
        .value_kind:     by_value
    .group_segment_fixed_size: 0
    .kernarg_segment_align: 8
    .kernarg_segment_size: 64
    .language:       OpenCL C
    .language_version:
      - 2
      - 0
    .max_flat_workgroup_size: 128
    .name:           _ZN7rocprim17ROCPRIM_400000_NS6detail17trampoline_kernelINS0_14default_configENS1_38merge_sort_block_merge_config_selectorIiNS0_10empty_typeEEEZZNS1_27merge_sort_block_merge_implIS3_N6thrust23THRUST_200600_302600_NS6detail15normal_iteratorINS9_10device_ptrIiEEEEPS5_jNS1_19radix_merge_compareILb0ELb1EiNS0_19identity_decomposerEEEEE10hipError_tT0_T1_T2_jT3_P12ihipStream_tbPNSt15iterator_traitsISK_E10value_typeEPNSQ_ISL_E10value_typeEPSM_NS1_7vsmem_tEENKUlT_SK_SL_SM_E_clISE_PiSF_SF_EESJ_SZ_SK_SL_SM_EUlSZ_E0_NS1_11comp_targetILNS1_3genE2ELNS1_11target_archE906ELNS1_3gpuE6ELNS1_3repE0EEENS1_38merge_mergepath_config_static_selectorELNS0_4arch9wavefront6targetE1EEEvSL_
    .private_segment_fixed_size: 0
    .sgpr_count:     6
    .sgpr_spill_count: 0
    .symbol:         _ZN7rocprim17ROCPRIM_400000_NS6detail17trampoline_kernelINS0_14default_configENS1_38merge_sort_block_merge_config_selectorIiNS0_10empty_typeEEEZZNS1_27merge_sort_block_merge_implIS3_N6thrust23THRUST_200600_302600_NS6detail15normal_iteratorINS9_10device_ptrIiEEEEPS5_jNS1_19radix_merge_compareILb0ELb1EiNS0_19identity_decomposerEEEEE10hipError_tT0_T1_T2_jT3_P12ihipStream_tbPNSt15iterator_traitsISK_E10value_typeEPNSQ_ISL_E10value_typeEPSM_NS1_7vsmem_tEENKUlT_SK_SL_SM_E_clISE_PiSF_SF_EESJ_SZ_SK_SL_SM_EUlSZ_E0_NS1_11comp_targetILNS1_3genE2ELNS1_11target_archE906ELNS1_3gpuE6ELNS1_3repE0EEENS1_38merge_mergepath_config_static_selectorELNS0_4arch9wavefront6targetE1EEEvSL_.kd
    .uniform_work_group_size: 1
    .uses_dynamic_stack: false
    .vgpr_count:     0
    .vgpr_spill_count: 0
    .wavefront_size: 64
  - .agpr_count:     0
    .args:
      - .offset:         0
        .size:           64
        .value_kind:     by_value
    .group_segment_fixed_size: 0
    .kernarg_segment_align: 8
    .kernarg_segment_size: 64
    .language:       OpenCL C
    .language_version:
      - 2
      - 0
    .max_flat_workgroup_size: 256
    .name:           _ZN7rocprim17ROCPRIM_400000_NS6detail17trampoline_kernelINS0_14default_configENS1_38merge_sort_block_merge_config_selectorIiNS0_10empty_typeEEEZZNS1_27merge_sort_block_merge_implIS3_N6thrust23THRUST_200600_302600_NS6detail15normal_iteratorINS9_10device_ptrIiEEEEPS5_jNS1_19radix_merge_compareILb0ELb1EiNS0_19identity_decomposerEEEEE10hipError_tT0_T1_T2_jT3_P12ihipStream_tbPNSt15iterator_traitsISK_E10value_typeEPNSQ_ISL_E10value_typeEPSM_NS1_7vsmem_tEENKUlT_SK_SL_SM_E_clISE_PiSF_SF_EESJ_SZ_SK_SL_SM_EUlSZ_E0_NS1_11comp_targetILNS1_3genE9ELNS1_11target_archE1100ELNS1_3gpuE3ELNS1_3repE0EEENS1_38merge_mergepath_config_static_selectorELNS0_4arch9wavefront6targetE1EEEvSL_
    .private_segment_fixed_size: 0
    .sgpr_count:     6
    .sgpr_spill_count: 0
    .symbol:         _ZN7rocprim17ROCPRIM_400000_NS6detail17trampoline_kernelINS0_14default_configENS1_38merge_sort_block_merge_config_selectorIiNS0_10empty_typeEEEZZNS1_27merge_sort_block_merge_implIS3_N6thrust23THRUST_200600_302600_NS6detail15normal_iteratorINS9_10device_ptrIiEEEEPS5_jNS1_19radix_merge_compareILb0ELb1EiNS0_19identity_decomposerEEEEE10hipError_tT0_T1_T2_jT3_P12ihipStream_tbPNSt15iterator_traitsISK_E10value_typeEPNSQ_ISL_E10value_typeEPSM_NS1_7vsmem_tEENKUlT_SK_SL_SM_E_clISE_PiSF_SF_EESJ_SZ_SK_SL_SM_EUlSZ_E0_NS1_11comp_targetILNS1_3genE9ELNS1_11target_archE1100ELNS1_3gpuE3ELNS1_3repE0EEENS1_38merge_mergepath_config_static_selectorELNS0_4arch9wavefront6targetE1EEEvSL_.kd
    .uniform_work_group_size: 1
    .uses_dynamic_stack: false
    .vgpr_count:     0
    .vgpr_spill_count: 0
    .wavefront_size: 64
  - .agpr_count:     0
    .args:
      - .offset:         0
        .size:           64
        .value_kind:     by_value
    .group_segment_fixed_size: 0
    .kernarg_segment_align: 8
    .kernarg_segment_size: 64
    .language:       OpenCL C
    .language_version:
      - 2
      - 0
    .max_flat_workgroup_size: 512
    .name:           _ZN7rocprim17ROCPRIM_400000_NS6detail17trampoline_kernelINS0_14default_configENS1_38merge_sort_block_merge_config_selectorIiNS0_10empty_typeEEEZZNS1_27merge_sort_block_merge_implIS3_N6thrust23THRUST_200600_302600_NS6detail15normal_iteratorINS9_10device_ptrIiEEEEPS5_jNS1_19radix_merge_compareILb0ELb1EiNS0_19identity_decomposerEEEEE10hipError_tT0_T1_T2_jT3_P12ihipStream_tbPNSt15iterator_traitsISK_E10value_typeEPNSQ_ISL_E10value_typeEPSM_NS1_7vsmem_tEENKUlT_SK_SL_SM_E_clISE_PiSF_SF_EESJ_SZ_SK_SL_SM_EUlSZ_E0_NS1_11comp_targetILNS1_3genE8ELNS1_11target_archE1030ELNS1_3gpuE2ELNS1_3repE0EEENS1_38merge_mergepath_config_static_selectorELNS0_4arch9wavefront6targetE1EEEvSL_
    .private_segment_fixed_size: 0
    .sgpr_count:     6
    .sgpr_spill_count: 0
    .symbol:         _ZN7rocprim17ROCPRIM_400000_NS6detail17trampoline_kernelINS0_14default_configENS1_38merge_sort_block_merge_config_selectorIiNS0_10empty_typeEEEZZNS1_27merge_sort_block_merge_implIS3_N6thrust23THRUST_200600_302600_NS6detail15normal_iteratorINS9_10device_ptrIiEEEEPS5_jNS1_19radix_merge_compareILb0ELb1EiNS0_19identity_decomposerEEEEE10hipError_tT0_T1_T2_jT3_P12ihipStream_tbPNSt15iterator_traitsISK_E10value_typeEPNSQ_ISL_E10value_typeEPSM_NS1_7vsmem_tEENKUlT_SK_SL_SM_E_clISE_PiSF_SF_EESJ_SZ_SK_SL_SM_EUlSZ_E0_NS1_11comp_targetILNS1_3genE8ELNS1_11target_archE1030ELNS1_3gpuE2ELNS1_3repE0EEENS1_38merge_mergepath_config_static_selectorELNS0_4arch9wavefront6targetE1EEEvSL_.kd
    .uniform_work_group_size: 1
    .uses_dynamic_stack: false
    .vgpr_count:     0
    .vgpr_spill_count: 0
    .wavefront_size: 64
  - .agpr_count:     0
    .args:
      - .offset:         0
        .size:           48
        .value_kind:     by_value
    .group_segment_fixed_size: 0
    .kernarg_segment_align: 8
    .kernarg_segment_size: 48
    .language:       OpenCL C
    .language_version:
      - 2
      - 0
    .max_flat_workgroup_size: 256
    .name:           _ZN7rocprim17ROCPRIM_400000_NS6detail17trampoline_kernelINS0_14default_configENS1_38merge_sort_block_merge_config_selectorIiNS0_10empty_typeEEEZZNS1_27merge_sort_block_merge_implIS3_N6thrust23THRUST_200600_302600_NS6detail15normal_iteratorINS9_10device_ptrIiEEEEPS5_jNS1_19radix_merge_compareILb0ELb1EiNS0_19identity_decomposerEEEEE10hipError_tT0_T1_T2_jT3_P12ihipStream_tbPNSt15iterator_traitsISK_E10value_typeEPNSQ_ISL_E10value_typeEPSM_NS1_7vsmem_tEENKUlT_SK_SL_SM_E_clISE_PiSF_SF_EESJ_SZ_SK_SL_SM_EUlSZ_E1_NS1_11comp_targetILNS1_3genE0ELNS1_11target_archE4294967295ELNS1_3gpuE0ELNS1_3repE0EEENS1_36merge_oddeven_config_static_selectorELNS0_4arch9wavefront6targetE1EEEvSL_
    .private_segment_fixed_size: 0
    .sgpr_count:     6
    .sgpr_spill_count: 0
    .symbol:         _ZN7rocprim17ROCPRIM_400000_NS6detail17trampoline_kernelINS0_14default_configENS1_38merge_sort_block_merge_config_selectorIiNS0_10empty_typeEEEZZNS1_27merge_sort_block_merge_implIS3_N6thrust23THRUST_200600_302600_NS6detail15normal_iteratorINS9_10device_ptrIiEEEEPS5_jNS1_19radix_merge_compareILb0ELb1EiNS0_19identity_decomposerEEEEE10hipError_tT0_T1_T2_jT3_P12ihipStream_tbPNSt15iterator_traitsISK_E10value_typeEPNSQ_ISL_E10value_typeEPSM_NS1_7vsmem_tEENKUlT_SK_SL_SM_E_clISE_PiSF_SF_EESJ_SZ_SK_SL_SM_EUlSZ_E1_NS1_11comp_targetILNS1_3genE0ELNS1_11target_archE4294967295ELNS1_3gpuE0ELNS1_3repE0EEENS1_36merge_oddeven_config_static_selectorELNS0_4arch9wavefront6targetE1EEEvSL_.kd
    .uniform_work_group_size: 1
    .uses_dynamic_stack: false
    .vgpr_count:     0
    .vgpr_spill_count: 0
    .wavefront_size: 64
  - .agpr_count:     0
    .args:
      - .offset:         0
        .size:           48
        .value_kind:     by_value
    .group_segment_fixed_size: 0
    .kernarg_segment_align: 8
    .kernarg_segment_size: 48
    .language:       OpenCL C
    .language_version:
      - 2
      - 0
    .max_flat_workgroup_size: 256
    .name:           _ZN7rocprim17ROCPRIM_400000_NS6detail17trampoline_kernelINS0_14default_configENS1_38merge_sort_block_merge_config_selectorIiNS0_10empty_typeEEEZZNS1_27merge_sort_block_merge_implIS3_N6thrust23THRUST_200600_302600_NS6detail15normal_iteratorINS9_10device_ptrIiEEEEPS5_jNS1_19radix_merge_compareILb0ELb1EiNS0_19identity_decomposerEEEEE10hipError_tT0_T1_T2_jT3_P12ihipStream_tbPNSt15iterator_traitsISK_E10value_typeEPNSQ_ISL_E10value_typeEPSM_NS1_7vsmem_tEENKUlT_SK_SL_SM_E_clISE_PiSF_SF_EESJ_SZ_SK_SL_SM_EUlSZ_E1_NS1_11comp_targetILNS1_3genE10ELNS1_11target_archE1201ELNS1_3gpuE5ELNS1_3repE0EEENS1_36merge_oddeven_config_static_selectorELNS0_4arch9wavefront6targetE1EEEvSL_
    .private_segment_fixed_size: 0
    .sgpr_count:     6
    .sgpr_spill_count: 0
    .symbol:         _ZN7rocprim17ROCPRIM_400000_NS6detail17trampoline_kernelINS0_14default_configENS1_38merge_sort_block_merge_config_selectorIiNS0_10empty_typeEEEZZNS1_27merge_sort_block_merge_implIS3_N6thrust23THRUST_200600_302600_NS6detail15normal_iteratorINS9_10device_ptrIiEEEEPS5_jNS1_19radix_merge_compareILb0ELb1EiNS0_19identity_decomposerEEEEE10hipError_tT0_T1_T2_jT3_P12ihipStream_tbPNSt15iterator_traitsISK_E10value_typeEPNSQ_ISL_E10value_typeEPSM_NS1_7vsmem_tEENKUlT_SK_SL_SM_E_clISE_PiSF_SF_EESJ_SZ_SK_SL_SM_EUlSZ_E1_NS1_11comp_targetILNS1_3genE10ELNS1_11target_archE1201ELNS1_3gpuE5ELNS1_3repE0EEENS1_36merge_oddeven_config_static_selectorELNS0_4arch9wavefront6targetE1EEEvSL_.kd
    .uniform_work_group_size: 1
    .uses_dynamic_stack: false
    .vgpr_count:     0
    .vgpr_spill_count: 0
    .wavefront_size: 64
  - .agpr_count:     0
    .args:
      - .offset:         0
        .size:           48
        .value_kind:     by_value
    .group_segment_fixed_size: 0
    .kernarg_segment_align: 8
    .kernarg_segment_size: 48
    .language:       OpenCL C
    .language_version:
      - 2
      - 0
    .max_flat_workgroup_size: 256
    .name:           _ZN7rocprim17ROCPRIM_400000_NS6detail17trampoline_kernelINS0_14default_configENS1_38merge_sort_block_merge_config_selectorIiNS0_10empty_typeEEEZZNS1_27merge_sort_block_merge_implIS3_N6thrust23THRUST_200600_302600_NS6detail15normal_iteratorINS9_10device_ptrIiEEEEPS5_jNS1_19radix_merge_compareILb0ELb1EiNS0_19identity_decomposerEEEEE10hipError_tT0_T1_T2_jT3_P12ihipStream_tbPNSt15iterator_traitsISK_E10value_typeEPNSQ_ISL_E10value_typeEPSM_NS1_7vsmem_tEENKUlT_SK_SL_SM_E_clISE_PiSF_SF_EESJ_SZ_SK_SL_SM_EUlSZ_E1_NS1_11comp_targetILNS1_3genE5ELNS1_11target_archE942ELNS1_3gpuE9ELNS1_3repE0EEENS1_36merge_oddeven_config_static_selectorELNS0_4arch9wavefront6targetE1EEEvSL_
    .private_segment_fixed_size: 0
    .sgpr_count:     27
    .sgpr_spill_count: 0
    .symbol:         _ZN7rocprim17ROCPRIM_400000_NS6detail17trampoline_kernelINS0_14default_configENS1_38merge_sort_block_merge_config_selectorIiNS0_10empty_typeEEEZZNS1_27merge_sort_block_merge_implIS3_N6thrust23THRUST_200600_302600_NS6detail15normal_iteratorINS9_10device_ptrIiEEEEPS5_jNS1_19radix_merge_compareILb0ELb1EiNS0_19identity_decomposerEEEEE10hipError_tT0_T1_T2_jT3_P12ihipStream_tbPNSt15iterator_traitsISK_E10value_typeEPNSQ_ISL_E10value_typeEPSM_NS1_7vsmem_tEENKUlT_SK_SL_SM_E_clISE_PiSF_SF_EESJ_SZ_SK_SL_SM_EUlSZ_E1_NS1_11comp_targetILNS1_3genE5ELNS1_11target_archE942ELNS1_3gpuE9ELNS1_3repE0EEENS1_36merge_oddeven_config_static_selectorELNS0_4arch9wavefront6targetE1EEEvSL_.kd
    .uniform_work_group_size: 1
    .uses_dynamic_stack: false
    .vgpr_count:     10
    .vgpr_spill_count: 0
    .wavefront_size: 64
  - .agpr_count:     0
    .args:
      - .offset:         0
        .size:           48
        .value_kind:     by_value
    .group_segment_fixed_size: 0
    .kernarg_segment_align: 8
    .kernarg_segment_size: 48
    .language:       OpenCL C
    .language_version:
      - 2
      - 0
    .max_flat_workgroup_size: 256
    .name:           _ZN7rocprim17ROCPRIM_400000_NS6detail17trampoline_kernelINS0_14default_configENS1_38merge_sort_block_merge_config_selectorIiNS0_10empty_typeEEEZZNS1_27merge_sort_block_merge_implIS3_N6thrust23THRUST_200600_302600_NS6detail15normal_iteratorINS9_10device_ptrIiEEEEPS5_jNS1_19radix_merge_compareILb0ELb1EiNS0_19identity_decomposerEEEEE10hipError_tT0_T1_T2_jT3_P12ihipStream_tbPNSt15iterator_traitsISK_E10value_typeEPNSQ_ISL_E10value_typeEPSM_NS1_7vsmem_tEENKUlT_SK_SL_SM_E_clISE_PiSF_SF_EESJ_SZ_SK_SL_SM_EUlSZ_E1_NS1_11comp_targetILNS1_3genE4ELNS1_11target_archE910ELNS1_3gpuE8ELNS1_3repE0EEENS1_36merge_oddeven_config_static_selectorELNS0_4arch9wavefront6targetE1EEEvSL_
    .private_segment_fixed_size: 0
    .sgpr_count:     6
    .sgpr_spill_count: 0
    .symbol:         _ZN7rocprim17ROCPRIM_400000_NS6detail17trampoline_kernelINS0_14default_configENS1_38merge_sort_block_merge_config_selectorIiNS0_10empty_typeEEEZZNS1_27merge_sort_block_merge_implIS3_N6thrust23THRUST_200600_302600_NS6detail15normal_iteratorINS9_10device_ptrIiEEEEPS5_jNS1_19radix_merge_compareILb0ELb1EiNS0_19identity_decomposerEEEEE10hipError_tT0_T1_T2_jT3_P12ihipStream_tbPNSt15iterator_traitsISK_E10value_typeEPNSQ_ISL_E10value_typeEPSM_NS1_7vsmem_tEENKUlT_SK_SL_SM_E_clISE_PiSF_SF_EESJ_SZ_SK_SL_SM_EUlSZ_E1_NS1_11comp_targetILNS1_3genE4ELNS1_11target_archE910ELNS1_3gpuE8ELNS1_3repE0EEENS1_36merge_oddeven_config_static_selectorELNS0_4arch9wavefront6targetE1EEEvSL_.kd
    .uniform_work_group_size: 1
    .uses_dynamic_stack: false
    .vgpr_count:     0
    .vgpr_spill_count: 0
    .wavefront_size: 64
  - .agpr_count:     0
    .args:
      - .offset:         0
        .size:           48
        .value_kind:     by_value
    .group_segment_fixed_size: 0
    .kernarg_segment_align: 8
    .kernarg_segment_size: 48
    .language:       OpenCL C
    .language_version:
      - 2
      - 0
    .max_flat_workgroup_size: 256
    .name:           _ZN7rocprim17ROCPRIM_400000_NS6detail17trampoline_kernelINS0_14default_configENS1_38merge_sort_block_merge_config_selectorIiNS0_10empty_typeEEEZZNS1_27merge_sort_block_merge_implIS3_N6thrust23THRUST_200600_302600_NS6detail15normal_iteratorINS9_10device_ptrIiEEEEPS5_jNS1_19radix_merge_compareILb0ELb1EiNS0_19identity_decomposerEEEEE10hipError_tT0_T1_T2_jT3_P12ihipStream_tbPNSt15iterator_traitsISK_E10value_typeEPNSQ_ISL_E10value_typeEPSM_NS1_7vsmem_tEENKUlT_SK_SL_SM_E_clISE_PiSF_SF_EESJ_SZ_SK_SL_SM_EUlSZ_E1_NS1_11comp_targetILNS1_3genE3ELNS1_11target_archE908ELNS1_3gpuE7ELNS1_3repE0EEENS1_36merge_oddeven_config_static_selectorELNS0_4arch9wavefront6targetE1EEEvSL_
    .private_segment_fixed_size: 0
    .sgpr_count:     6
    .sgpr_spill_count: 0
    .symbol:         _ZN7rocprim17ROCPRIM_400000_NS6detail17trampoline_kernelINS0_14default_configENS1_38merge_sort_block_merge_config_selectorIiNS0_10empty_typeEEEZZNS1_27merge_sort_block_merge_implIS3_N6thrust23THRUST_200600_302600_NS6detail15normal_iteratorINS9_10device_ptrIiEEEEPS5_jNS1_19radix_merge_compareILb0ELb1EiNS0_19identity_decomposerEEEEE10hipError_tT0_T1_T2_jT3_P12ihipStream_tbPNSt15iterator_traitsISK_E10value_typeEPNSQ_ISL_E10value_typeEPSM_NS1_7vsmem_tEENKUlT_SK_SL_SM_E_clISE_PiSF_SF_EESJ_SZ_SK_SL_SM_EUlSZ_E1_NS1_11comp_targetILNS1_3genE3ELNS1_11target_archE908ELNS1_3gpuE7ELNS1_3repE0EEENS1_36merge_oddeven_config_static_selectorELNS0_4arch9wavefront6targetE1EEEvSL_.kd
    .uniform_work_group_size: 1
    .uses_dynamic_stack: false
    .vgpr_count:     0
    .vgpr_spill_count: 0
    .wavefront_size: 64
  - .agpr_count:     0
    .args:
      - .offset:         0
        .size:           48
        .value_kind:     by_value
    .group_segment_fixed_size: 0
    .kernarg_segment_align: 8
    .kernarg_segment_size: 48
    .language:       OpenCL C
    .language_version:
      - 2
      - 0
    .max_flat_workgroup_size: 256
    .name:           _ZN7rocprim17ROCPRIM_400000_NS6detail17trampoline_kernelINS0_14default_configENS1_38merge_sort_block_merge_config_selectorIiNS0_10empty_typeEEEZZNS1_27merge_sort_block_merge_implIS3_N6thrust23THRUST_200600_302600_NS6detail15normal_iteratorINS9_10device_ptrIiEEEEPS5_jNS1_19radix_merge_compareILb0ELb1EiNS0_19identity_decomposerEEEEE10hipError_tT0_T1_T2_jT3_P12ihipStream_tbPNSt15iterator_traitsISK_E10value_typeEPNSQ_ISL_E10value_typeEPSM_NS1_7vsmem_tEENKUlT_SK_SL_SM_E_clISE_PiSF_SF_EESJ_SZ_SK_SL_SM_EUlSZ_E1_NS1_11comp_targetILNS1_3genE2ELNS1_11target_archE906ELNS1_3gpuE6ELNS1_3repE0EEENS1_36merge_oddeven_config_static_selectorELNS0_4arch9wavefront6targetE1EEEvSL_
    .private_segment_fixed_size: 0
    .sgpr_count:     6
    .sgpr_spill_count: 0
    .symbol:         _ZN7rocprim17ROCPRIM_400000_NS6detail17trampoline_kernelINS0_14default_configENS1_38merge_sort_block_merge_config_selectorIiNS0_10empty_typeEEEZZNS1_27merge_sort_block_merge_implIS3_N6thrust23THRUST_200600_302600_NS6detail15normal_iteratorINS9_10device_ptrIiEEEEPS5_jNS1_19radix_merge_compareILb0ELb1EiNS0_19identity_decomposerEEEEE10hipError_tT0_T1_T2_jT3_P12ihipStream_tbPNSt15iterator_traitsISK_E10value_typeEPNSQ_ISL_E10value_typeEPSM_NS1_7vsmem_tEENKUlT_SK_SL_SM_E_clISE_PiSF_SF_EESJ_SZ_SK_SL_SM_EUlSZ_E1_NS1_11comp_targetILNS1_3genE2ELNS1_11target_archE906ELNS1_3gpuE6ELNS1_3repE0EEENS1_36merge_oddeven_config_static_selectorELNS0_4arch9wavefront6targetE1EEEvSL_.kd
    .uniform_work_group_size: 1
    .uses_dynamic_stack: false
    .vgpr_count:     0
    .vgpr_spill_count: 0
    .wavefront_size: 64
  - .agpr_count:     0
    .args:
      - .offset:         0
        .size:           48
        .value_kind:     by_value
    .group_segment_fixed_size: 0
    .kernarg_segment_align: 8
    .kernarg_segment_size: 48
    .language:       OpenCL C
    .language_version:
      - 2
      - 0
    .max_flat_workgroup_size: 256
    .name:           _ZN7rocprim17ROCPRIM_400000_NS6detail17trampoline_kernelINS0_14default_configENS1_38merge_sort_block_merge_config_selectorIiNS0_10empty_typeEEEZZNS1_27merge_sort_block_merge_implIS3_N6thrust23THRUST_200600_302600_NS6detail15normal_iteratorINS9_10device_ptrIiEEEEPS5_jNS1_19radix_merge_compareILb0ELb1EiNS0_19identity_decomposerEEEEE10hipError_tT0_T1_T2_jT3_P12ihipStream_tbPNSt15iterator_traitsISK_E10value_typeEPNSQ_ISL_E10value_typeEPSM_NS1_7vsmem_tEENKUlT_SK_SL_SM_E_clISE_PiSF_SF_EESJ_SZ_SK_SL_SM_EUlSZ_E1_NS1_11comp_targetILNS1_3genE9ELNS1_11target_archE1100ELNS1_3gpuE3ELNS1_3repE0EEENS1_36merge_oddeven_config_static_selectorELNS0_4arch9wavefront6targetE1EEEvSL_
    .private_segment_fixed_size: 0
    .sgpr_count:     6
    .sgpr_spill_count: 0
    .symbol:         _ZN7rocprim17ROCPRIM_400000_NS6detail17trampoline_kernelINS0_14default_configENS1_38merge_sort_block_merge_config_selectorIiNS0_10empty_typeEEEZZNS1_27merge_sort_block_merge_implIS3_N6thrust23THRUST_200600_302600_NS6detail15normal_iteratorINS9_10device_ptrIiEEEEPS5_jNS1_19radix_merge_compareILb0ELb1EiNS0_19identity_decomposerEEEEE10hipError_tT0_T1_T2_jT3_P12ihipStream_tbPNSt15iterator_traitsISK_E10value_typeEPNSQ_ISL_E10value_typeEPSM_NS1_7vsmem_tEENKUlT_SK_SL_SM_E_clISE_PiSF_SF_EESJ_SZ_SK_SL_SM_EUlSZ_E1_NS1_11comp_targetILNS1_3genE9ELNS1_11target_archE1100ELNS1_3gpuE3ELNS1_3repE0EEENS1_36merge_oddeven_config_static_selectorELNS0_4arch9wavefront6targetE1EEEvSL_.kd
    .uniform_work_group_size: 1
    .uses_dynamic_stack: false
    .vgpr_count:     0
    .vgpr_spill_count: 0
    .wavefront_size: 64
  - .agpr_count:     0
    .args:
      - .offset:         0
        .size:           48
        .value_kind:     by_value
    .group_segment_fixed_size: 0
    .kernarg_segment_align: 8
    .kernarg_segment_size: 48
    .language:       OpenCL C
    .language_version:
      - 2
      - 0
    .max_flat_workgroup_size: 256
    .name:           _ZN7rocprim17ROCPRIM_400000_NS6detail17trampoline_kernelINS0_14default_configENS1_38merge_sort_block_merge_config_selectorIiNS0_10empty_typeEEEZZNS1_27merge_sort_block_merge_implIS3_N6thrust23THRUST_200600_302600_NS6detail15normal_iteratorINS9_10device_ptrIiEEEEPS5_jNS1_19radix_merge_compareILb0ELb1EiNS0_19identity_decomposerEEEEE10hipError_tT0_T1_T2_jT3_P12ihipStream_tbPNSt15iterator_traitsISK_E10value_typeEPNSQ_ISL_E10value_typeEPSM_NS1_7vsmem_tEENKUlT_SK_SL_SM_E_clISE_PiSF_SF_EESJ_SZ_SK_SL_SM_EUlSZ_E1_NS1_11comp_targetILNS1_3genE8ELNS1_11target_archE1030ELNS1_3gpuE2ELNS1_3repE0EEENS1_36merge_oddeven_config_static_selectorELNS0_4arch9wavefront6targetE1EEEvSL_
    .private_segment_fixed_size: 0
    .sgpr_count:     6
    .sgpr_spill_count: 0
    .symbol:         _ZN7rocprim17ROCPRIM_400000_NS6detail17trampoline_kernelINS0_14default_configENS1_38merge_sort_block_merge_config_selectorIiNS0_10empty_typeEEEZZNS1_27merge_sort_block_merge_implIS3_N6thrust23THRUST_200600_302600_NS6detail15normal_iteratorINS9_10device_ptrIiEEEEPS5_jNS1_19radix_merge_compareILb0ELb1EiNS0_19identity_decomposerEEEEE10hipError_tT0_T1_T2_jT3_P12ihipStream_tbPNSt15iterator_traitsISK_E10value_typeEPNSQ_ISL_E10value_typeEPSM_NS1_7vsmem_tEENKUlT_SK_SL_SM_E_clISE_PiSF_SF_EESJ_SZ_SK_SL_SM_EUlSZ_E1_NS1_11comp_targetILNS1_3genE8ELNS1_11target_archE1030ELNS1_3gpuE2ELNS1_3repE0EEENS1_36merge_oddeven_config_static_selectorELNS0_4arch9wavefront6targetE1EEEvSL_.kd
    .uniform_work_group_size: 1
    .uses_dynamic_stack: false
    .vgpr_count:     0
    .vgpr_spill_count: 0
    .wavefront_size: 64
  - .agpr_count:     0
    .args:
      - .offset:         0
        .size:           40
        .value_kind:     by_value
    .group_segment_fixed_size: 0
    .kernarg_segment_align: 8
    .kernarg_segment_size: 40
    .language:       OpenCL C
    .language_version:
      - 2
      - 0
    .max_flat_workgroup_size: 512
    .name:           _ZN7rocprim17ROCPRIM_400000_NS6detail17trampoline_kernelINS0_14default_configENS1_35radix_sort_onesweep_config_selectorIiNS0_10empty_typeEEEZNS1_34radix_sort_onesweep_global_offsetsIS3_Lb0EN6thrust23THRUST_200600_302600_NS6detail15normal_iteratorINS9_10device_ptrIiEEEEPS5_jNS0_19identity_decomposerEEE10hipError_tT1_T2_PT3_SK_jT4_jjP12ihipStream_tbEUlT_E_NS1_11comp_targetILNS1_3genE0ELNS1_11target_archE4294967295ELNS1_3gpuE0ELNS1_3repE0EEENS1_52radix_sort_onesweep_histogram_config_static_selectorELNS0_4arch9wavefront6targetE1EEEvSI_
    .private_segment_fixed_size: 0
    .sgpr_count:     6
    .sgpr_spill_count: 0
    .symbol:         _ZN7rocprim17ROCPRIM_400000_NS6detail17trampoline_kernelINS0_14default_configENS1_35radix_sort_onesweep_config_selectorIiNS0_10empty_typeEEEZNS1_34radix_sort_onesweep_global_offsetsIS3_Lb0EN6thrust23THRUST_200600_302600_NS6detail15normal_iteratorINS9_10device_ptrIiEEEEPS5_jNS0_19identity_decomposerEEE10hipError_tT1_T2_PT3_SK_jT4_jjP12ihipStream_tbEUlT_E_NS1_11comp_targetILNS1_3genE0ELNS1_11target_archE4294967295ELNS1_3gpuE0ELNS1_3repE0EEENS1_52radix_sort_onesweep_histogram_config_static_selectorELNS0_4arch9wavefront6targetE1EEEvSI_.kd
    .uniform_work_group_size: 1
    .uses_dynamic_stack: false
    .vgpr_count:     0
    .vgpr_spill_count: 0
    .wavefront_size: 64
  - .agpr_count:     0
    .args:
      - .offset:         0
        .size:           40
        .value_kind:     by_value
    .group_segment_fixed_size: 0
    .kernarg_segment_align: 8
    .kernarg_segment_size: 40
    .language:       OpenCL C
    .language_version:
      - 2
      - 0
    .max_flat_workgroup_size: 1024
    .name:           _ZN7rocprim17ROCPRIM_400000_NS6detail17trampoline_kernelINS0_14default_configENS1_35radix_sort_onesweep_config_selectorIiNS0_10empty_typeEEEZNS1_34radix_sort_onesweep_global_offsetsIS3_Lb0EN6thrust23THRUST_200600_302600_NS6detail15normal_iteratorINS9_10device_ptrIiEEEEPS5_jNS0_19identity_decomposerEEE10hipError_tT1_T2_PT3_SK_jT4_jjP12ihipStream_tbEUlT_E_NS1_11comp_targetILNS1_3genE6ELNS1_11target_archE950ELNS1_3gpuE13ELNS1_3repE0EEENS1_52radix_sort_onesweep_histogram_config_static_selectorELNS0_4arch9wavefront6targetE1EEEvSI_
    .private_segment_fixed_size: 0
    .sgpr_count:     6
    .sgpr_spill_count: 0
    .symbol:         _ZN7rocprim17ROCPRIM_400000_NS6detail17trampoline_kernelINS0_14default_configENS1_35radix_sort_onesweep_config_selectorIiNS0_10empty_typeEEEZNS1_34radix_sort_onesweep_global_offsetsIS3_Lb0EN6thrust23THRUST_200600_302600_NS6detail15normal_iteratorINS9_10device_ptrIiEEEEPS5_jNS0_19identity_decomposerEEE10hipError_tT1_T2_PT3_SK_jT4_jjP12ihipStream_tbEUlT_E_NS1_11comp_targetILNS1_3genE6ELNS1_11target_archE950ELNS1_3gpuE13ELNS1_3repE0EEENS1_52radix_sort_onesweep_histogram_config_static_selectorELNS0_4arch9wavefront6targetE1EEEvSI_.kd
    .uniform_work_group_size: 1
    .uses_dynamic_stack: false
    .vgpr_count:     0
    .vgpr_spill_count: 0
    .wavefront_size: 64
  - .agpr_count:     0
    .args:
      - .offset:         0
        .size:           40
        .value_kind:     by_value
    .group_segment_fixed_size: 16384
    .kernarg_segment_align: 8
    .kernarg_segment_size: 40
    .language:       OpenCL C
    .language_version:
      - 2
      - 0
    .max_flat_workgroup_size: 1024
    .name:           _ZN7rocprim17ROCPRIM_400000_NS6detail17trampoline_kernelINS0_14default_configENS1_35radix_sort_onesweep_config_selectorIiNS0_10empty_typeEEEZNS1_34radix_sort_onesweep_global_offsetsIS3_Lb0EN6thrust23THRUST_200600_302600_NS6detail15normal_iteratorINS9_10device_ptrIiEEEEPS5_jNS0_19identity_decomposerEEE10hipError_tT1_T2_PT3_SK_jT4_jjP12ihipStream_tbEUlT_E_NS1_11comp_targetILNS1_3genE5ELNS1_11target_archE942ELNS1_3gpuE9ELNS1_3repE0EEENS1_52radix_sort_onesweep_histogram_config_static_selectorELNS0_4arch9wavefront6targetE1EEEvSI_
    .private_segment_fixed_size: 0
    .sgpr_count:     25
    .sgpr_spill_count: 0
    .symbol:         _ZN7rocprim17ROCPRIM_400000_NS6detail17trampoline_kernelINS0_14default_configENS1_35radix_sort_onesweep_config_selectorIiNS0_10empty_typeEEEZNS1_34radix_sort_onesweep_global_offsetsIS3_Lb0EN6thrust23THRUST_200600_302600_NS6detail15normal_iteratorINS9_10device_ptrIiEEEEPS5_jNS0_19identity_decomposerEEE10hipError_tT1_T2_PT3_SK_jT4_jjP12ihipStream_tbEUlT_E_NS1_11comp_targetILNS1_3genE5ELNS1_11target_archE942ELNS1_3gpuE9ELNS1_3repE0EEENS1_52radix_sort_onesweep_histogram_config_static_selectorELNS0_4arch9wavefront6targetE1EEEvSI_.kd
    .uniform_work_group_size: 1
    .uses_dynamic_stack: false
    .vgpr_count:     19
    .vgpr_spill_count: 0
    .wavefront_size: 64
  - .agpr_count:     0
    .args:
      - .offset:         0
        .size:           40
        .value_kind:     by_value
    .group_segment_fixed_size: 0
    .kernarg_segment_align: 8
    .kernarg_segment_size: 40
    .language:       OpenCL C
    .language_version:
      - 2
      - 0
    .max_flat_workgroup_size: 1024
    .name:           _ZN7rocprim17ROCPRIM_400000_NS6detail17trampoline_kernelINS0_14default_configENS1_35radix_sort_onesweep_config_selectorIiNS0_10empty_typeEEEZNS1_34radix_sort_onesweep_global_offsetsIS3_Lb0EN6thrust23THRUST_200600_302600_NS6detail15normal_iteratorINS9_10device_ptrIiEEEEPS5_jNS0_19identity_decomposerEEE10hipError_tT1_T2_PT3_SK_jT4_jjP12ihipStream_tbEUlT_E_NS1_11comp_targetILNS1_3genE2ELNS1_11target_archE906ELNS1_3gpuE6ELNS1_3repE0EEENS1_52radix_sort_onesweep_histogram_config_static_selectorELNS0_4arch9wavefront6targetE1EEEvSI_
    .private_segment_fixed_size: 0
    .sgpr_count:     6
    .sgpr_spill_count: 0
    .symbol:         _ZN7rocprim17ROCPRIM_400000_NS6detail17trampoline_kernelINS0_14default_configENS1_35radix_sort_onesweep_config_selectorIiNS0_10empty_typeEEEZNS1_34radix_sort_onesweep_global_offsetsIS3_Lb0EN6thrust23THRUST_200600_302600_NS6detail15normal_iteratorINS9_10device_ptrIiEEEEPS5_jNS0_19identity_decomposerEEE10hipError_tT1_T2_PT3_SK_jT4_jjP12ihipStream_tbEUlT_E_NS1_11comp_targetILNS1_3genE2ELNS1_11target_archE906ELNS1_3gpuE6ELNS1_3repE0EEENS1_52radix_sort_onesweep_histogram_config_static_selectorELNS0_4arch9wavefront6targetE1EEEvSI_.kd
    .uniform_work_group_size: 1
    .uses_dynamic_stack: false
    .vgpr_count:     0
    .vgpr_spill_count: 0
    .wavefront_size: 64
  - .agpr_count:     0
    .args:
      - .offset:         0
        .size:           40
        .value_kind:     by_value
    .group_segment_fixed_size: 0
    .kernarg_segment_align: 8
    .kernarg_segment_size: 40
    .language:       OpenCL C
    .language_version:
      - 2
      - 0
    .max_flat_workgroup_size: 1024
    .name:           _ZN7rocprim17ROCPRIM_400000_NS6detail17trampoline_kernelINS0_14default_configENS1_35radix_sort_onesweep_config_selectorIiNS0_10empty_typeEEEZNS1_34radix_sort_onesweep_global_offsetsIS3_Lb0EN6thrust23THRUST_200600_302600_NS6detail15normal_iteratorINS9_10device_ptrIiEEEEPS5_jNS0_19identity_decomposerEEE10hipError_tT1_T2_PT3_SK_jT4_jjP12ihipStream_tbEUlT_E_NS1_11comp_targetILNS1_3genE4ELNS1_11target_archE910ELNS1_3gpuE8ELNS1_3repE0EEENS1_52radix_sort_onesweep_histogram_config_static_selectorELNS0_4arch9wavefront6targetE1EEEvSI_
    .private_segment_fixed_size: 0
    .sgpr_count:     6
    .sgpr_spill_count: 0
    .symbol:         _ZN7rocprim17ROCPRIM_400000_NS6detail17trampoline_kernelINS0_14default_configENS1_35radix_sort_onesweep_config_selectorIiNS0_10empty_typeEEEZNS1_34radix_sort_onesweep_global_offsetsIS3_Lb0EN6thrust23THRUST_200600_302600_NS6detail15normal_iteratorINS9_10device_ptrIiEEEEPS5_jNS0_19identity_decomposerEEE10hipError_tT1_T2_PT3_SK_jT4_jjP12ihipStream_tbEUlT_E_NS1_11comp_targetILNS1_3genE4ELNS1_11target_archE910ELNS1_3gpuE8ELNS1_3repE0EEENS1_52radix_sort_onesweep_histogram_config_static_selectorELNS0_4arch9wavefront6targetE1EEEvSI_.kd
    .uniform_work_group_size: 1
    .uses_dynamic_stack: false
    .vgpr_count:     0
    .vgpr_spill_count: 0
    .wavefront_size: 64
  - .agpr_count:     0
    .args:
      - .offset:         0
        .size:           40
        .value_kind:     by_value
    .group_segment_fixed_size: 0
    .kernarg_segment_align: 8
    .kernarg_segment_size: 40
    .language:       OpenCL C
    .language_version:
      - 2
      - 0
    .max_flat_workgroup_size: 512
    .name:           _ZN7rocprim17ROCPRIM_400000_NS6detail17trampoline_kernelINS0_14default_configENS1_35radix_sort_onesweep_config_selectorIiNS0_10empty_typeEEEZNS1_34radix_sort_onesweep_global_offsetsIS3_Lb0EN6thrust23THRUST_200600_302600_NS6detail15normal_iteratorINS9_10device_ptrIiEEEEPS5_jNS0_19identity_decomposerEEE10hipError_tT1_T2_PT3_SK_jT4_jjP12ihipStream_tbEUlT_E_NS1_11comp_targetILNS1_3genE3ELNS1_11target_archE908ELNS1_3gpuE7ELNS1_3repE0EEENS1_52radix_sort_onesweep_histogram_config_static_selectorELNS0_4arch9wavefront6targetE1EEEvSI_
    .private_segment_fixed_size: 0
    .sgpr_count:     6
    .sgpr_spill_count: 0
    .symbol:         _ZN7rocprim17ROCPRIM_400000_NS6detail17trampoline_kernelINS0_14default_configENS1_35radix_sort_onesweep_config_selectorIiNS0_10empty_typeEEEZNS1_34radix_sort_onesweep_global_offsetsIS3_Lb0EN6thrust23THRUST_200600_302600_NS6detail15normal_iteratorINS9_10device_ptrIiEEEEPS5_jNS0_19identity_decomposerEEE10hipError_tT1_T2_PT3_SK_jT4_jjP12ihipStream_tbEUlT_E_NS1_11comp_targetILNS1_3genE3ELNS1_11target_archE908ELNS1_3gpuE7ELNS1_3repE0EEENS1_52radix_sort_onesweep_histogram_config_static_selectorELNS0_4arch9wavefront6targetE1EEEvSI_.kd
    .uniform_work_group_size: 1
    .uses_dynamic_stack: false
    .vgpr_count:     0
    .vgpr_spill_count: 0
    .wavefront_size: 64
  - .agpr_count:     0
    .args:
      - .offset:         0
        .size:           40
        .value_kind:     by_value
    .group_segment_fixed_size: 0
    .kernarg_segment_align: 8
    .kernarg_segment_size: 40
    .language:       OpenCL C
    .language_version:
      - 2
      - 0
    .max_flat_workgroup_size: 1024
    .name:           _ZN7rocprim17ROCPRIM_400000_NS6detail17trampoline_kernelINS0_14default_configENS1_35radix_sort_onesweep_config_selectorIiNS0_10empty_typeEEEZNS1_34radix_sort_onesweep_global_offsetsIS3_Lb0EN6thrust23THRUST_200600_302600_NS6detail15normal_iteratorINS9_10device_ptrIiEEEEPS5_jNS0_19identity_decomposerEEE10hipError_tT1_T2_PT3_SK_jT4_jjP12ihipStream_tbEUlT_E_NS1_11comp_targetILNS1_3genE10ELNS1_11target_archE1201ELNS1_3gpuE5ELNS1_3repE0EEENS1_52radix_sort_onesweep_histogram_config_static_selectorELNS0_4arch9wavefront6targetE1EEEvSI_
    .private_segment_fixed_size: 0
    .sgpr_count:     6
    .sgpr_spill_count: 0
    .symbol:         _ZN7rocprim17ROCPRIM_400000_NS6detail17trampoline_kernelINS0_14default_configENS1_35radix_sort_onesweep_config_selectorIiNS0_10empty_typeEEEZNS1_34radix_sort_onesweep_global_offsetsIS3_Lb0EN6thrust23THRUST_200600_302600_NS6detail15normal_iteratorINS9_10device_ptrIiEEEEPS5_jNS0_19identity_decomposerEEE10hipError_tT1_T2_PT3_SK_jT4_jjP12ihipStream_tbEUlT_E_NS1_11comp_targetILNS1_3genE10ELNS1_11target_archE1201ELNS1_3gpuE5ELNS1_3repE0EEENS1_52radix_sort_onesweep_histogram_config_static_selectorELNS0_4arch9wavefront6targetE1EEEvSI_.kd
    .uniform_work_group_size: 1
    .uses_dynamic_stack: false
    .vgpr_count:     0
    .vgpr_spill_count: 0
    .wavefront_size: 64
  - .agpr_count:     0
    .args:
      - .offset:         0
        .size:           40
        .value_kind:     by_value
    .group_segment_fixed_size: 0
    .kernarg_segment_align: 8
    .kernarg_segment_size: 40
    .language:       OpenCL C
    .language_version:
      - 2
      - 0
    .max_flat_workgroup_size: 1024
    .name:           _ZN7rocprim17ROCPRIM_400000_NS6detail17trampoline_kernelINS0_14default_configENS1_35radix_sort_onesweep_config_selectorIiNS0_10empty_typeEEEZNS1_34radix_sort_onesweep_global_offsetsIS3_Lb0EN6thrust23THRUST_200600_302600_NS6detail15normal_iteratorINS9_10device_ptrIiEEEEPS5_jNS0_19identity_decomposerEEE10hipError_tT1_T2_PT3_SK_jT4_jjP12ihipStream_tbEUlT_E_NS1_11comp_targetILNS1_3genE9ELNS1_11target_archE1100ELNS1_3gpuE3ELNS1_3repE0EEENS1_52radix_sort_onesweep_histogram_config_static_selectorELNS0_4arch9wavefront6targetE1EEEvSI_
    .private_segment_fixed_size: 0
    .sgpr_count:     6
    .sgpr_spill_count: 0
    .symbol:         _ZN7rocprim17ROCPRIM_400000_NS6detail17trampoline_kernelINS0_14default_configENS1_35radix_sort_onesweep_config_selectorIiNS0_10empty_typeEEEZNS1_34radix_sort_onesweep_global_offsetsIS3_Lb0EN6thrust23THRUST_200600_302600_NS6detail15normal_iteratorINS9_10device_ptrIiEEEEPS5_jNS0_19identity_decomposerEEE10hipError_tT1_T2_PT3_SK_jT4_jjP12ihipStream_tbEUlT_E_NS1_11comp_targetILNS1_3genE9ELNS1_11target_archE1100ELNS1_3gpuE3ELNS1_3repE0EEENS1_52radix_sort_onesweep_histogram_config_static_selectorELNS0_4arch9wavefront6targetE1EEEvSI_.kd
    .uniform_work_group_size: 1
    .uses_dynamic_stack: false
    .vgpr_count:     0
    .vgpr_spill_count: 0
    .wavefront_size: 64
  - .agpr_count:     0
    .args:
      - .offset:         0
        .size:           40
        .value_kind:     by_value
    .group_segment_fixed_size: 0
    .kernarg_segment_align: 8
    .kernarg_segment_size: 40
    .language:       OpenCL C
    .language_version:
      - 2
      - 0
    .max_flat_workgroup_size: 1024
    .name:           _ZN7rocprim17ROCPRIM_400000_NS6detail17trampoline_kernelINS0_14default_configENS1_35radix_sort_onesweep_config_selectorIiNS0_10empty_typeEEEZNS1_34radix_sort_onesweep_global_offsetsIS3_Lb0EN6thrust23THRUST_200600_302600_NS6detail15normal_iteratorINS9_10device_ptrIiEEEEPS5_jNS0_19identity_decomposerEEE10hipError_tT1_T2_PT3_SK_jT4_jjP12ihipStream_tbEUlT_E_NS1_11comp_targetILNS1_3genE8ELNS1_11target_archE1030ELNS1_3gpuE2ELNS1_3repE0EEENS1_52radix_sort_onesweep_histogram_config_static_selectorELNS0_4arch9wavefront6targetE1EEEvSI_
    .private_segment_fixed_size: 0
    .sgpr_count:     6
    .sgpr_spill_count: 0
    .symbol:         _ZN7rocprim17ROCPRIM_400000_NS6detail17trampoline_kernelINS0_14default_configENS1_35radix_sort_onesweep_config_selectorIiNS0_10empty_typeEEEZNS1_34radix_sort_onesweep_global_offsetsIS3_Lb0EN6thrust23THRUST_200600_302600_NS6detail15normal_iteratorINS9_10device_ptrIiEEEEPS5_jNS0_19identity_decomposerEEE10hipError_tT1_T2_PT3_SK_jT4_jjP12ihipStream_tbEUlT_E_NS1_11comp_targetILNS1_3genE8ELNS1_11target_archE1030ELNS1_3gpuE2ELNS1_3repE0EEENS1_52radix_sort_onesweep_histogram_config_static_selectorELNS0_4arch9wavefront6targetE1EEEvSI_.kd
    .uniform_work_group_size: 1
    .uses_dynamic_stack: false
    .vgpr_count:     0
    .vgpr_spill_count: 0
    .wavefront_size: 64
  - .agpr_count:     0
    .args:
      - .address_space:  global
        .offset:         0
        .size:           8
        .value_kind:     global_buffer
    .group_segment_fixed_size: 0
    .kernarg_segment_align: 8
    .kernarg_segment_size: 8
    .language:       OpenCL C
    .language_version:
      - 2
      - 0
    .max_flat_workgroup_size: 512
    .name:           _ZN7rocprim17ROCPRIM_400000_NS6detail17trampoline_kernelINS0_14default_configENS1_35radix_sort_onesweep_config_selectorIiNS0_10empty_typeEEEZNS1_34radix_sort_onesweep_global_offsetsIS3_Lb0EN6thrust23THRUST_200600_302600_NS6detail15normal_iteratorINS9_10device_ptrIiEEEEPS5_jNS0_19identity_decomposerEEE10hipError_tT1_T2_PT3_SK_jT4_jjP12ihipStream_tbEUlT_E0_NS1_11comp_targetILNS1_3genE0ELNS1_11target_archE4294967295ELNS1_3gpuE0ELNS1_3repE0EEENS1_52radix_sort_onesweep_histogram_config_static_selectorELNS0_4arch9wavefront6targetE1EEEvSI_
    .private_segment_fixed_size: 0
    .sgpr_count:     6
    .sgpr_spill_count: 0
    .symbol:         _ZN7rocprim17ROCPRIM_400000_NS6detail17trampoline_kernelINS0_14default_configENS1_35radix_sort_onesweep_config_selectorIiNS0_10empty_typeEEEZNS1_34radix_sort_onesweep_global_offsetsIS3_Lb0EN6thrust23THRUST_200600_302600_NS6detail15normal_iteratorINS9_10device_ptrIiEEEEPS5_jNS0_19identity_decomposerEEE10hipError_tT1_T2_PT3_SK_jT4_jjP12ihipStream_tbEUlT_E0_NS1_11comp_targetILNS1_3genE0ELNS1_11target_archE4294967295ELNS1_3gpuE0ELNS1_3repE0EEENS1_52radix_sort_onesweep_histogram_config_static_selectorELNS0_4arch9wavefront6targetE1EEEvSI_.kd
    .uniform_work_group_size: 1
    .uses_dynamic_stack: false
    .vgpr_count:     0
    .vgpr_spill_count: 0
    .wavefront_size: 64
  - .agpr_count:     0
    .args:
      - .address_space:  global
        .offset:         0
        .size:           8
        .value_kind:     global_buffer
    .group_segment_fixed_size: 0
    .kernarg_segment_align: 8
    .kernarg_segment_size: 8
    .language:       OpenCL C
    .language_version:
      - 2
      - 0
    .max_flat_workgroup_size: 1024
    .name:           _ZN7rocprim17ROCPRIM_400000_NS6detail17trampoline_kernelINS0_14default_configENS1_35radix_sort_onesweep_config_selectorIiNS0_10empty_typeEEEZNS1_34radix_sort_onesweep_global_offsetsIS3_Lb0EN6thrust23THRUST_200600_302600_NS6detail15normal_iteratorINS9_10device_ptrIiEEEEPS5_jNS0_19identity_decomposerEEE10hipError_tT1_T2_PT3_SK_jT4_jjP12ihipStream_tbEUlT_E0_NS1_11comp_targetILNS1_3genE6ELNS1_11target_archE950ELNS1_3gpuE13ELNS1_3repE0EEENS1_52radix_sort_onesweep_histogram_config_static_selectorELNS0_4arch9wavefront6targetE1EEEvSI_
    .private_segment_fixed_size: 0
    .sgpr_count:     6
    .sgpr_spill_count: 0
    .symbol:         _ZN7rocprim17ROCPRIM_400000_NS6detail17trampoline_kernelINS0_14default_configENS1_35radix_sort_onesweep_config_selectorIiNS0_10empty_typeEEEZNS1_34radix_sort_onesweep_global_offsetsIS3_Lb0EN6thrust23THRUST_200600_302600_NS6detail15normal_iteratorINS9_10device_ptrIiEEEEPS5_jNS0_19identity_decomposerEEE10hipError_tT1_T2_PT3_SK_jT4_jjP12ihipStream_tbEUlT_E0_NS1_11comp_targetILNS1_3genE6ELNS1_11target_archE950ELNS1_3gpuE13ELNS1_3repE0EEENS1_52radix_sort_onesweep_histogram_config_static_selectorELNS0_4arch9wavefront6targetE1EEEvSI_.kd
    .uniform_work_group_size: 1
    .uses_dynamic_stack: false
    .vgpr_count:     0
    .vgpr_spill_count: 0
    .wavefront_size: 64
  - .agpr_count:     0
    .args:
      - .address_space:  global
        .offset:         0
        .size:           8
        .value_kind:     global_buffer
    .group_segment_fixed_size: 64
    .kernarg_segment_align: 8
    .kernarg_segment_size: 8
    .language:       OpenCL C
    .language_version:
      - 2
      - 0
    .max_flat_workgroup_size: 1024
    .name:           _ZN7rocprim17ROCPRIM_400000_NS6detail17trampoline_kernelINS0_14default_configENS1_35radix_sort_onesweep_config_selectorIiNS0_10empty_typeEEEZNS1_34radix_sort_onesweep_global_offsetsIS3_Lb0EN6thrust23THRUST_200600_302600_NS6detail15normal_iteratorINS9_10device_ptrIiEEEEPS5_jNS0_19identity_decomposerEEE10hipError_tT1_T2_PT3_SK_jT4_jjP12ihipStream_tbEUlT_E0_NS1_11comp_targetILNS1_3genE5ELNS1_11target_archE942ELNS1_3gpuE9ELNS1_3repE0EEENS1_52radix_sort_onesweep_histogram_config_static_selectorELNS0_4arch9wavefront6targetE1EEEvSI_
    .private_segment_fixed_size: 0
    .sgpr_count:     20
    .sgpr_spill_count: 0
    .symbol:         _ZN7rocprim17ROCPRIM_400000_NS6detail17trampoline_kernelINS0_14default_configENS1_35radix_sort_onesweep_config_selectorIiNS0_10empty_typeEEEZNS1_34radix_sort_onesweep_global_offsetsIS3_Lb0EN6thrust23THRUST_200600_302600_NS6detail15normal_iteratorINS9_10device_ptrIiEEEEPS5_jNS0_19identity_decomposerEEE10hipError_tT1_T2_PT3_SK_jT4_jjP12ihipStream_tbEUlT_E0_NS1_11comp_targetILNS1_3genE5ELNS1_11target_archE942ELNS1_3gpuE9ELNS1_3repE0EEENS1_52radix_sort_onesweep_histogram_config_static_selectorELNS0_4arch9wavefront6targetE1EEEvSI_.kd
    .uniform_work_group_size: 1
    .uses_dynamic_stack: false
    .vgpr_count:     7
    .vgpr_spill_count: 0
    .wavefront_size: 64
  - .agpr_count:     0
    .args:
      - .address_space:  global
        .offset:         0
        .size:           8
        .value_kind:     global_buffer
    .group_segment_fixed_size: 0
    .kernarg_segment_align: 8
    .kernarg_segment_size: 8
    .language:       OpenCL C
    .language_version:
      - 2
      - 0
    .max_flat_workgroup_size: 1024
    .name:           _ZN7rocprim17ROCPRIM_400000_NS6detail17trampoline_kernelINS0_14default_configENS1_35radix_sort_onesweep_config_selectorIiNS0_10empty_typeEEEZNS1_34radix_sort_onesweep_global_offsetsIS3_Lb0EN6thrust23THRUST_200600_302600_NS6detail15normal_iteratorINS9_10device_ptrIiEEEEPS5_jNS0_19identity_decomposerEEE10hipError_tT1_T2_PT3_SK_jT4_jjP12ihipStream_tbEUlT_E0_NS1_11comp_targetILNS1_3genE2ELNS1_11target_archE906ELNS1_3gpuE6ELNS1_3repE0EEENS1_52radix_sort_onesweep_histogram_config_static_selectorELNS0_4arch9wavefront6targetE1EEEvSI_
    .private_segment_fixed_size: 0
    .sgpr_count:     6
    .sgpr_spill_count: 0
    .symbol:         _ZN7rocprim17ROCPRIM_400000_NS6detail17trampoline_kernelINS0_14default_configENS1_35radix_sort_onesweep_config_selectorIiNS0_10empty_typeEEEZNS1_34radix_sort_onesweep_global_offsetsIS3_Lb0EN6thrust23THRUST_200600_302600_NS6detail15normal_iteratorINS9_10device_ptrIiEEEEPS5_jNS0_19identity_decomposerEEE10hipError_tT1_T2_PT3_SK_jT4_jjP12ihipStream_tbEUlT_E0_NS1_11comp_targetILNS1_3genE2ELNS1_11target_archE906ELNS1_3gpuE6ELNS1_3repE0EEENS1_52radix_sort_onesweep_histogram_config_static_selectorELNS0_4arch9wavefront6targetE1EEEvSI_.kd
    .uniform_work_group_size: 1
    .uses_dynamic_stack: false
    .vgpr_count:     0
    .vgpr_spill_count: 0
    .wavefront_size: 64
  - .agpr_count:     0
    .args:
      - .address_space:  global
        .offset:         0
        .size:           8
        .value_kind:     global_buffer
    .group_segment_fixed_size: 0
    .kernarg_segment_align: 8
    .kernarg_segment_size: 8
    .language:       OpenCL C
    .language_version:
      - 2
      - 0
    .max_flat_workgroup_size: 1024
    .name:           _ZN7rocprim17ROCPRIM_400000_NS6detail17trampoline_kernelINS0_14default_configENS1_35radix_sort_onesweep_config_selectorIiNS0_10empty_typeEEEZNS1_34radix_sort_onesweep_global_offsetsIS3_Lb0EN6thrust23THRUST_200600_302600_NS6detail15normal_iteratorINS9_10device_ptrIiEEEEPS5_jNS0_19identity_decomposerEEE10hipError_tT1_T2_PT3_SK_jT4_jjP12ihipStream_tbEUlT_E0_NS1_11comp_targetILNS1_3genE4ELNS1_11target_archE910ELNS1_3gpuE8ELNS1_3repE0EEENS1_52radix_sort_onesweep_histogram_config_static_selectorELNS0_4arch9wavefront6targetE1EEEvSI_
    .private_segment_fixed_size: 0
    .sgpr_count:     6
    .sgpr_spill_count: 0
    .symbol:         _ZN7rocprim17ROCPRIM_400000_NS6detail17trampoline_kernelINS0_14default_configENS1_35radix_sort_onesweep_config_selectorIiNS0_10empty_typeEEEZNS1_34radix_sort_onesweep_global_offsetsIS3_Lb0EN6thrust23THRUST_200600_302600_NS6detail15normal_iteratorINS9_10device_ptrIiEEEEPS5_jNS0_19identity_decomposerEEE10hipError_tT1_T2_PT3_SK_jT4_jjP12ihipStream_tbEUlT_E0_NS1_11comp_targetILNS1_3genE4ELNS1_11target_archE910ELNS1_3gpuE8ELNS1_3repE0EEENS1_52radix_sort_onesweep_histogram_config_static_selectorELNS0_4arch9wavefront6targetE1EEEvSI_.kd
    .uniform_work_group_size: 1
    .uses_dynamic_stack: false
    .vgpr_count:     0
    .vgpr_spill_count: 0
    .wavefront_size: 64
  - .agpr_count:     0
    .args:
      - .address_space:  global
        .offset:         0
        .size:           8
        .value_kind:     global_buffer
    .group_segment_fixed_size: 0
    .kernarg_segment_align: 8
    .kernarg_segment_size: 8
    .language:       OpenCL C
    .language_version:
      - 2
      - 0
    .max_flat_workgroup_size: 512
    .name:           _ZN7rocprim17ROCPRIM_400000_NS6detail17trampoline_kernelINS0_14default_configENS1_35radix_sort_onesweep_config_selectorIiNS0_10empty_typeEEEZNS1_34radix_sort_onesweep_global_offsetsIS3_Lb0EN6thrust23THRUST_200600_302600_NS6detail15normal_iteratorINS9_10device_ptrIiEEEEPS5_jNS0_19identity_decomposerEEE10hipError_tT1_T2_PT3_SK_jT4_jjP12ihipStream_tbEUlT_E0_NS1_11comp_targetILNS1_3genE3ELNS1_11target_archE908ELNS1_3gpuE7ELNS1_3repE0EEENS1_52radix_sort_onesweep_histogram_config_static_selectorELNS0_4arch9wavefront6targetE1EEEvSI_
    .private_segment_fixed_size: 0
    .sgpr_count:     6
    .sgpr_spill_count: 0
    .symbol:         _ZN7rocprim17ROCPRIM_400000_NS6detail17trampoline_kernelINS0_14default_configENS1_35radix_sort_onesweep_config_selectorIiNS0_10empty_typeEEEZNS1_34radix_sort_onesweep_global_offsetsIS3_Lb0EN6thrust23THRUST_200600_302600_NS6detail15normal_iteratorINS9_10device_ptrIiEEEEPS5_jNS0_19identity_decomposerEEE10hipError_tT1_T2_PT3_SK_jT4_jjP12ihipStream_tbEUlT_E0_NS1_11comp_targetILNS1_3genE3ELNS1_11target_archE908ELNS1_3gpuE7ELNS1_3repE0EEENS1_52radix_sort_onesweep_histogram_config_static_selectorELNS0_4arch9wavefront6targetE1EEEvSI_.kd
    .uniform_work_group_size: 1
    .uses_dynamic_stack: false
    .vgpr_count:     0
    .vgpr_spill_count: 0
    .wavefront_size: 64
  - .agpr_count:     0
    .args:
      - .address_space:  global
        .offset:         0
        .size:           8
        .value_kind:     global_buffer
    .group_segment_fixed_size: 0
    .kernarg_segment_align: 8
    .kernarg_segment_size: 8
    .language:       OpenCL C
    .language_version:
      - 2
      - 0
    .max_flat_workgroup_size: 1024
    .name:           _ZN7rocprim17ROCPRIM_400000_NS6detail17trampoline_kernelINS0_14default_configENS1_35radix_sort_onesweep_config_selectorIiNS0_10empty_typeEEEZNS1_34radix_sort_onesweep_global_offsetsIS3_Lb0EN6thrust23THRUST_200600_302600_NS6detail15normal_iteratorINS9_10device_ptrIiEEEEPS5_jNS0_19identity_decomposerEEE10hipError_tT1_T2_PT3_SK_jT4_jjP12ihipStream_tbEUlT_E0_NS1_11comp_targetILNS1_3genE10ELNS1_11target_archE1201ELNS1_3gpuE5ELNS1_3repE0EEENS1_52radix_sort_onesweep_histogram_config_static_selectorELNS0_4arch9wavefront6targetE1EEEvSI_
    .private_segment_fixed_size: 0
    .sgpr_count:     6
    .sgpr_spill_count: 0
    .symbol:         _ZN7rocprim17ROCPRIM_400000_NS6detail17trampoline_kernelINS0_14default_configENS1_35radix_sort_onesweep_config_selectorIiNS0_10empty_typeEEEZNS1_34radix_sort_onesweep_global_offsetsIS3_Lb0EN6thrust23THRUST_200600_302600_NS6detail15normal_iteratorINS9_10device_ptrIiEEEEPS5_jNS0_19identity_decomposerEEE10hipError_tT1_T2_PT3_SK_jT4_jjP12ihipStream_tbEUlT_E0_NS1_11comp_targetILNS1_3genE10ELNS1_11target_archE1201ELNS1_3gpuE5ELNS1_3repE0EEENS1_52radix_sort_onesweep_histogram_config_static_selectorELNS0_4arch9wavefront6targetE1EEEvSI_.kd
    .uniform_work_group_size: 1
    .uses_dynamic_stack: false
    .vgpr_count:     0
    .vgpr_spill_count: 0
    .wavefront_size: 64
  - .agpr_count:     0
    .args:
      - .address_space:  global
        .offset:         0
        .size:           8
        .value_kind:     global_buffer
    .group_segment_fixed_size: 0
    .kernarg_segment_align: 8
    .kernarg_segment_size: 8
    .language:       OpenCL C
    .language_version:
      - 2
      - 0
    .max_flat_workgroup_size: 1024
    .name:           _ZN7rocprim17ROCPRIM_400000_NS6detail17trampoline_kernelINS0_14default_configENS1_35radix_sort_onesweep_config_selectorIiNS0_10empty_typeEEEZNS1_34radix_sort_onesweep_global_offsetsIS3_Lb0EN6thrust23THRUST_200600_302600_NS6detail15normal_iteratorINS9_10device_ptrIiEEEEPS5_jNS0_19identity_decomposerEEE10hipError_tT1_T2_PT3_SK_jT4_jjP12ihipStream_tbEUlT_E0_NS1_11comp_targetILNS1_3genE9ELNS1_11target_archE1100ELNS1_3gpuE3ELNS1_3repE0EEENS1_52radix_sort_onesweep_histogram_config_static_selectorELNS0_4arch9wavefront6targetE1EEEvSI_
    .private_segment_fixed_size: 0
    .sgpr_count:     6
    .sgpr_spill_count: 0
    .symbol:         _ZN7rocprim17ROCPRIM_400000_NS6detail17trampoline_kernelINS0_14default_configENS1_35radix_sort_onesweep_config_selectorIiNS0_10empty_typeEEEZNS1_34radix_sort_onesweep_global_offsetsIS3_Lb0EN6thrust23THRUST_200600_302600_NS6detail15normal_iteratorINS9_10device_ptrIiEEEEPS5_jNS0_19identity_decomposerEEE10hipError_tT1_T2_PT3_SK_jT4_jjP12ihipStream_tbEUlT_E0_NS1_11comp_targetILNS1_3genE9ELNS1_11target_archE1100ELNS1_3gpuE3ELNS1_3repE0EEENS1_52radix_sort_onesweep_histogram_config_static_selectorELNS0_4arch9wavefront6targetE1EEEvSI_.kd
    .uniform_work_group_size: 1
    .uses_dynamic_stack: false
    .vgpr_count:     0
    .vgpr_spill_count: 0
    .wavefront_size: 64
  - .agpr_count:     0
    .args:
      - .address_space:  global
        .offset:         0
        .size:           8
        .value_kind:     global_buffer
    .group_segment_fixed_size: 0
    .kernarg_segment_align: 8
    .kernarg_segment_size: 8
    .language:       OpenCL C
    .language_version:
      - 2
      - 0
    .max_flat_workgroup_size: 1024
    .name:           _ZN7rocprim17ROCPRIM_400000_NS6detail17trampoline_kernelINS0_14default_configENS1_35radix_sort_onesweep_config_selectorIiNS0_10empty_typeEEEZNS1_34radix_sort_onesweep_global_offsetsIS3_Lb0EN6thrust23THRUST_200600_302600_NS6detail15normal_iteratorINS9_10device_ptrIiEEEEPS5_jNS0_19identity_decomposerEEE10hipError_tT1_T2_PT3_SK_jT4_jjP12ihipStream_tbEUlT_E0_NS1_11comp_targetILNS1_3genE8ELNS1_11target_archE1030ELNS1_3gpuE2ELNS1_3repE0EEENS1_52radix_sort_onesweep_histogram_config_static_selectorELNS0_4arch9wavefront6targetE1EEEvSI_
    .private_segment_fixed_size: 0
    .sgpr_count:     6
    .sgpr_spill_count: 0
    .symbol:         _ZN7rocprim17ROCPRIM_400000_NS6detail17trampoline_kernelINS0_14default_configENS1_35radix_sort_onesweep_config_selectorIiNS0_10empty_typeEEEZNS1_34radix_sort_onesweep_global_offsetsIS3_Lb0EN6thrust23THRUST_200600_302600_NS6detail15normal_iteratorINS9_10device_ptrIiEEEEPS5_jNS0_19identity_decomposerEEE10hipError_tT1_T2_PT3_SK_jT4_jjP12ihipStream_tbEUlT_E0_NS1_11comp_targetILNS1_3genE8ELNS1_11target_archE1030ELNS1_3gpuE2ELNS1_3repE0EEENS1_52radix_sort_onesweep_histogram_config_static_selectorELNS0_4arch9wavefront6targetE1EEEvSI_.kd
    .uniform_work_group_size: 1
    .uses_dynamic_stack: false
    .vgpr_count:     0
    .vgpr_spill_count: 0
    .wavefront_size: 64
  - .agpr_count:     0
    .args:
      - .offset:         0
        .size:           40
        .value_kind:     by_value
    .group_segment_fixed_size: 0
    .kernarg_segment_align: 8
    .kernarg_segment_size: 40
    .language:       OpenCL C
    .language_version:
      - 2
      - 0
    .max_flat_workgroup_size: 128
    .name:           _ZN7rocprim17ROCPRIM_400000_NS6detail17trampoline_kernelINS0_14default_configENS1_25transform_config_selectorIiLb0EEEZNS1_14transform_implILb0ES3_S5_N6thrust23THRUST_200600_302600_NS6detail15normal_iteratorINS8_10device_ptrIiEEEEPiNS0_8identityIiEEEE10hipError_tT2_T3_mT4_P12ihipStream_tbEUlT_E_NS1_11comp_targetILNS1_3genE0ELNS1_11target_archE4294967295ELNS1_3gpuE0ELNS1_3repE0EEENS1_30default_config_static_selectorELNS0_4arch9wavefront6targetE1EEEvT1_
    .private_segment_fixed_size: 0
    .sgpr_count:     6
    .sgpr_spill_count: 0
    .symbol:         _ZN7rocprim17ROCPRIM_400000_NS6detail17trampoline_kernelINS0_14default_configENS1_25transform_config_selectorIiLb0EEEZNS1_14transform_implILb0ES3_S5_N6thrust23THRUST_200600_302600_NS6detail15normal_iteratorINS8_10device_ptrIiEEEEPiNS0_8identityIiEEEE10hipError_tT2_T3_mT4_P12ihipStream_tbEUlT_E_NS1_11comp_targetILNS1_3genE0ELNS1_11target_archE4294967295ELNS1_3gpuE0ELNS1_3repE0EEENS1_30default_config_static_selectorELNS0_4arch9wavefront6targetE1EEEvT1_.kd
    .uniform_work_group_size: 1
    .uses_dynamic_stack: false
    .vgpr_count:     0
    .vgpr_spill_count: 0
    .wavefront_size: 64
  - .agpr_count:     0
    .args:
      - .offset:         0
        .size:           40
        .value_kind:     by_value
      - .offset:         40
        .size:           4
        .value_kind:     hidden_block_count_x
      - .offset:         44
        .size:           4
        .value_kind:     hidden_block_count_y
      - .offset:         48
        .size:           4
        .value_kind:     hidden_block_count_z
      - .offset:         52
        .size:           2
        .value_kind:     hidden_group_size_x
      - .offset:         54
        .size:           2
        .value_kind:     hidden_group_size_y
      - .offset:         56
        .size:           2
        .value_kind:     hidden_group_size_z
      - .offset:         58
        .size:           2
        .value_kind:     hidden_remainder_x
      - .offset:         60
        .size:           2
        .value_kind:     hidden_remainder_y
      - .offset:         62
        .size:           2
        .value_kind:     hidden_remainder_z
      - .offset:         80
        .size:           8
        .value_kind:     hidden_global_offset_x
      - .offset:         88
        .size:           8
        .value_kind:     hidden_global_offset_y
      - .offset:         96
        .size:           8
        .value_kind:     hidden_global_offset_z
      - .offset:         104
        .size:           2
        .value_kind:     hidden_grid_dims
    .group_segment_fixed_size: 0
    .kernarg_segment_align: 8
    .kernarg_segment_size: 296
    .language:       OpenCL C
    .language_version:
      - 2
      - 0
    .max_flat_workgroup_size: 512
    .name:           _ZN7rocprim17ROCPRIM_400000_NS6detail17trampoline_kernelINS0_14default_configENS1_25transform_config_selectorIiLb0EEEZNS1_14transform_implILb0ES3_S5_N6thrust23THRUST_200600_302600_NS6detail15normal_iteratorINS8_10device_ptrIiEEEEPiNS0_8identityIiEEEE10hipError_tT2_T3_mT4_P12ihipStream_tbEUlT_E_NS1_11comp_targetILNS1_3genE5ELNS1_11target_archE942ELNS1_3gpuE9ELNS1_3repE0EEENS1_30default_config_static_selectorELNS0_4arch9wavefront6targetE1EEEvT1_
    .private_segment_fixed_size: 0
    .sgpr_count:     22
    .sgpr_spill_count: 0
    .symbol:         _ZN7rocprim17ROCPRIM_400000_NS6detail17trampoline_kernelINS0_14default_configENS1_25transform_config_selectorIiLb0EEEZNS1_14transform_implILb0ES3_S5_N6thrust23THRUST_200600_302600_NS6detail15normal_iteratorINS8_10device_ptrIiEEEEPiNS0_8identityIiEEEE10hipError_tT2_T3_mT4_P12ihipStream_tbEUlT_E_NS1_11comp_targetILNS1_3genE5ELNS1_11target_archE942ELNS1_3gpuE9ELNS1_3repE0EEENS1_30default_config_static_selectorELNS0_4arch9wavefront6targetE1EEEvT1_.kd
    .uniform_work_group_size: 1
    .uses_dynamic_stack: false
    .vgpr_count:     13
    .vgpr_spill_count: 0
    .wavefront_size: 64
  - .agpr_count:     0
    .args:
      - .offset:         0
        .size:           40
        .value_kind:     by_value
    .group_segment_fixed_size: 0
    .kernarg_segment_align: 8
    .kernarg_segment_size: 40
    .language:       OpenCL C
    .language_version:
      - 2
      - 0
    .max_flat_workgroup_size: 1024
    .name:           _ZN7rocprim17ROCPRIM_400000_NS6detail17trampoline_kernelINS0_14default_configENS1_25transform_config_selectorIiLb0EEEZNS1_14transform_implILb0ES3_S5_N6thrust23THRUST_200600_302600_NS6detail15normal_iteratorINS8_10device_ptrIiEEEEPiNS0_8identityIiEEEE10hipError_tT2_T3_mT4_P12ihipStream_tbEUlT_E_NS1_11comp_targetILNS1_3genE4ELNS1_11target_archE910ELNS1_3gpuE8ELNS1_3repE0EEENS1_30default_config_static_selectorELNS0_4arch9wavefront6targetE1EEEvT1_
    .private_segment_fixed_size: 0
    .sgpr_count:     6
    .sgpr_spill_count: 0
    .symbol:         _ZN7rocprim17ROCPRIM_400000_NS6detail17trampoline_kernelINS0_14default_configENS1_25transform_config_selectorIiLb0EEEZNS1_14transform_implILb0ES3_S5_N6thrust23THRUST_200600_302600_NS6detail15normal_iteratorINS8_10device_ptrIiEEEEPiNS0_8identityIiEEEE10hipError_tT2_T3_mT4_P12ihipStream_tbEUlT_E_NS1_11comp_targetILNS1_3genE4ELNS1_11target_archE910ELNS1_3gpuE8ELNS1_3repE0EEENS1_30default_config_static_selectorELNS0_4arch9wavefront6targetE1EEEvT1_.kd
    .uniform_work_group_size: 1
    .uses_dynamic_stack: false
    .vgpr_count:     0
    .vgpr_spill_count: 0
    .wavefront_size: 64
  - .agpr_count:     0
    .args:
      - .offset:         0
        .size:           40
        .value_kind:     by_value
    .group_segment_fixed_size: 0
    .kernarg_segment_align: 8
    .kernarg_segment_size: 40
    .language:       OpenCL C
    .language_version:
      - 2
      - 0
    .max_flat_workgroup_size: 128
    .name:           _ZN7rocprim17ROCPRIM_400000_NS6detail17trampoline_kernelINS0_14default_configENS1_25transform_config_selectorIiLb0EEEZNS1_14transform_implILb0ES3_S5_N6thrust23THRUST_200600_302600_NS6detail15normal_iteratorINS8_10device_ptrIiEEEEPiNS0_8identityIiEEEE10hipError_tT2_T3_mT4_P12ihipStream_tbEUlT_E_NS1_11comp_targetILNS1_3genE3ELNS1_11target_archE908ELNS1_3gpuE7ELNS1_3repE0EEENS1_30default_config_static_selectorELNS0_4arch9wavefront6targetE1EEEvT1_
    .private_segment_fixed_size: 0
    .sgpr_count:     6
    .sgpr_spill_count: 0
    .symbol:         _ZN7rocprim17ROCPRIM_400000_NS6detail17trampoline_kernelINS0_14default_configENS1_25transform_config_selectorIiLb0EEEZNS1_14transform_implILb0ES3_S5_N6thrust23THRUST_200600_302600_NS6detail15normal_iteratorINS8_10device_ptrIiEEEEPiNS0_8identityIiEEEE10hipError_tT2_T3_mT4_P12ihipStream_tbEUlT_E_NS1_11comp_targetILNS1_3genE3ELNS1_11target_archE908ELNS1_3gpuE7ELNS1_3repE0EEENS1_30default_config_static_selectorELNS0_4arch9wavefront6targetE1EEEvT1_.kd
    .uniform_work_group_size: 1
    .uses_dynamic_stack: false
    .vgpr_count:     0
    .vgpr_spill_count: 0
    .wavefront_size: 64
  - .agpr_count:     0
    .args:
      - .offset:         0
        .size:           40
        .value_kind:     by_value
    .group_segment_fixed_size: 0
    .kernarg_segment_align: 8
    .kernarg_segment_size: 40
    .language:       OpenCL C
    .language_version:
      - 2
      - 0
    .max_flat_workgroup_size: 1024
    .name:           _ZN7rocprim17ROCPRIM_400000_NS6detail17trampoline_kernelINS0_14default_configENS1_25transform_config_selectorIiLb0EEEZNS1_14transform_implILb0ES3_S5_N6thrust23THRUST_200600_302600_NS6detail15normal_iteratorINS8_10device_ptrIiEEEEPiNS0_8identityIiEEEE10hipError_tT2_T3_mT4_P12ihipStream_tbEUlT_E_NS1_11comp_targetILNS1_3genE2ELNS1_11target_archE906ELNS1_3gpuE6ELNS1_3repE0EEENS1_30default_config_static_selectorELNS0_4arch9wavefront6targetE1EEEvT1_
    .private_segment_fixed_size: 0
    .sgpr_count:     6
    .sgpr_spill_count: 0
    .symbol:         _ZN7rocprim17ROCPRIM_400000_NS6detail17trampoline_kernelINS0_14default_configENS1_25transform_config_selectorIiLb0EEEZNS1_14transform_implILb0ES3_S5_N6thrust23THRUST_200600_302600_NS6detail15normal_iteratorINS8_10device_ptrIiEEEEPiNS0_8identityIiEEEE10hipError_tT2_T3_mT4_P12ihipStream_tbEUlT_E_NS1_11comp_targetILNS1_3genE2ELNS1_11target_archE906ELNS1_3gpuE6ELNS1_3repE0EEENS1_30default_config_static_selectorELNS0_4arch9wavefront6targetE1EEEvT1_.kd
    .uniform_work_group_size: 1
    .uses_dynamic_stack: false
    .vgpr_count:     0
    .vgpr_spill_count: 0
    .wavefront_size: 64
  - .agpr_count:     0
    .args:
      - .offset:         0
        .size:           40
        .value_kind:     by_value
    .group_segment_fixed_size: 0
    .kernarg_segment_align: 8
    .kernarg_segment_size: 40
    .language:       OpenCL C
    .language_version:
      - 2
      - 0
    .max_flat_workgroup_size: 1024
    .name:           _ZN7rocprim17ROCPRIM_400000_NS6detail17trampoline_kernelINS0_14default_configENS1_25transform_config_selectorIiLb0EEEZNS1_14transform_implILb0ES3_S5_N6thrust23THRUST_200600_302600_NS6detail15normal_iteratorINS8_10device_ptrIiEEEEPiNS0_8identityIiEEEE10hipError_tT2_T3_mT4_P12ihipStream_tbEUlT_E_NS1_11comp_targetILNS1_3genE10ELNS1_11target_archE1201ELNS1_3gpuE5ELNS1_3repE0EEENS1_30default_config_static_selectorELNS0_4arch9wavefront6targetE1EEEvT1_
    .private_segment_fixed_size: 0
    .sgpr_count:     6
    .sgpr_spill_count: 0
    .symbol:         _ZN7rocprim17ROCPRIM_400000_NS6detail17trampoline_kernelINS0_14default_configENS1_25transform_config_selectorIiLb0EEEZNS1_14transform_implILb0ES3_S5_N6thrust23THRUST_200600_302600_NS6detail15normal_iteratorINS8_10device_ptrIiEEEEPiNS0_8identityIiEEEE10hipError_tT2_T3_mT4_P12ihipStream_tbEUlT_E_NS1_11comp_targetILNS1_3genE10ELNS1_11target_archE1201ELNS1_3gpuE5ELNS1_3repE0EEENS1_30default_config_static_selectorELNS0_4arch9wavefront6targetE1EEEvT1_.kd
    .uniform_work_group_size: 1
    .uses_dynamic_stack: false
    .vgpr_count:     0
    .vgpr_spill_count: 0
    .wavefront_size: 64
  - .agpr_count:     0
    .args:
      - .offset:         0
        .size:           40
        .value_kind:     by_value
    .group_segment_fixed_size: 0
    .kernarg_segment_align: 8
    .kernarg_segment_size: 40
    .language:       OpenCL C
    .language_version:
      - 2
      - 0
    .max_flat_workgroup_size: 512
    .name:           _ZN7rocprim17ROCPRIM_400000_NS6detail17trampoline_kernelINS0_14default_configENS1_25transform_config_selectorIiLb0EEEZNS1_14transform_implILb0ES3_S5_N6thrust23THRUST_200600_302600_NS6detail15normal_iteratorINS8_10device_ptrIiEEEEPiNS0_8identityIiEEEE10hipError_tT2_T3_mT4_P12ihipStream_tbEUlT_E_NS1_11comp_targetILNS1_3genE10ELNS1_11target_archE1200ELNS1_3gpuE4ELNS1_3repE0EEENS1_30default_config_static_selectorELNS0_4arch9wavefront6targetE1EEEvT1_
    .private_segment_fixed_size: 0
    .sgpr_count:     6
    .sgpr_spill_count: 0
    .symbol:         _ZN7rocprim17ROCPRIM_400000_NS6detail17trampoline_kernelINS0_14default_configENS1_25transform_config_selectorIiLb0EEEZNS1_14transform_implILb0ES3_S5_N6thrust23THRUST_200600_302600_NS6detail15normal_iteratorINS8_10device_ptrIiEEEEPiNS0_8identityIiEEEE10hipError_tT2_T3_mT4_P12ihipStream_tbEUlT_E_NS1_11comp_targetILNS1_3genE10ELNS1_11target_archE1200ELNS1_3gpuE4ELNS1_3repE0EEENS1_30default_config_static_selectorELNS0_4arch9wavefront6targetE1EEEvT1_.kd
    .uniform_work_group_size: 1
    .uses_dynamic_stack: false
    .vgpr_count:     0
    .vgpr_spill_count: 0
    .wavefront_size: 64
  - .agpr_count:     0
    .args:
      - .offset:         0
        .size:           40
        .value_kind:     by_value
    .group_segment_fixed_size: 0
    .kernarg_segment_align: 8
    .kernarg_segment_size: 40
    .language:       OpenCL C
    .language_version:
      - 2
      - 0
    .max_flat_workgroup_size: 64
    .name:           _ZN7rocprim17ROCPRIM_400000_NS6detail17trampoline_kernelINS0_14default_configENS1_25transform_config_selectorIiLb0EEEZNS1_14transform_implILb0ES3_S5_N6thrust23THRUST_200600_302600_NS6detail15normal_iteratorINS8_10device_ptrIiEEEEPiNS0_8identityIiEEEE10hipError_tT2_T3_mT4_P12ihipStream_tbEUlT_E_NS1_11comp_targetILNS1_3genE9ELNS1_11target_archE1100ELNS1_3gpuE3ELNS1_3repE0EEENS1_30default_config_static_selectorELNS0_4arch9wavefront6targetE1EEEvT1_
    .private_segment_fixed_size: 0
    .sgpr_count:     6
    .sgpr_spill_count: 0
    .symbol:         _ZN7rocprim17ROCPRIM_400000_NS6detail17trampoline_kernelINS0_14default_configENS1_25transform_config_selectorIiLb0EEEZNS1_14transform_implILb0ES3_S5_N6thrust23THRUST_200600_302600_NS6detail15normal_iteratorINS8_10device_ptrIiEEEEPiNS0_8identityIiEEEE10hipError_tT2_T3_mT4_P12ihipStream_tbEUlT_E_NS1_11comp_targetILNS1_3genE9ELNS1_11target_archE1100ELNS1_3gpuE3ELNS1_3repE0EEENS1_30default_config_static_selectorELNS0_4arch9wavefront6targetE1EEEvT1_.kd
    .uniform_work_group_size: 1
    .uses_dynamic_stack: false
    .vgpr_count:     0
    .vgpr_spill_count: 0
    .wavefront_size: 64
  - .agpr_count:     0
    .args:
      - .offset:         0
        .size:           40
        .value_kind:     by_value
    .group_segment_fixed_size: 0
    .kernarg_segment_align: 8
    .kernarg_segment_size: 40
    .language:       OpenCL C
    .language_version:
      - 2
      - 0
    .max_flat_workgroup_size: 256
    .name:           _ZN7rocprim17ROCPRIM_400000_NS6detail17trampoline_kernelINS0_14default_configENS1_25transform_config_selectorIiLb0EEEZNS1_14transform_implILb0ES3_S5_N6thrust23THRUST_200600_302600_NS6detail15normal_iteratorINS8_10device_ptrIiEEEEPiNS0_8identityIiEEEE10hipError_tT2_T3_mT4_P12ihipStream_tbEUlT_E_NS1_11comp_targetILNS1_3genE8ELNS1_11target_archE1030ELNS1_3gpuE2ELNS1_3repE0EEENS1_30default_config_static_selectorELNS0_4arch9wavefront6targetE1EEEvT1_
    .private_segment_fixed_size: 0
    .sgpr_count:     6
    .sgpr_spill_count: 0
    .symbol:         _ZN7rocprim17ROCPRIM_400000_NS6detail17trampoline_kernelINS0_14default_configENS1_25transform_config_selectorIiLb0EEEZNS1_14transform_implILb0ES3_S5_N6thrust23THRUST_200600_302600_NS6detail15normal_iteratorINS8_10device_ptrIiEEEEPiNS0_8identityIiEEEE10hipError_tT2_T3_mT4_P12ihipStream_tbEUlT_E_NS1_11comp_targetILNS1_3genE8ELNS1_11target_archE1030ELNS1_3gpuE2ELNS1_3repE0EEENS1_30default_config_static_selectorELNS0_4arch9wavefront6targetE1EEEvT1_.kd
    .uniform_work_group_size: 1
    .uses_dynamic_stack: false
    .vgpr_count:     0
    .vgpr_spill_count: 0
    .wavefront_size: 64
  - .agpr_count:     0
    .args:
      - .offset:         0
        .size:           88
        .value_kind:     by_value
    .group_segment_fixed_size: 0
    .kernarg_segment_align: 8
    .kernarg_segment_size: 88
    .language:       OpenCL C
    .language_version:
      - 2
      - 0
    .max_flat_workgroup_size: 512
    .name:           _ZN7rocprim17ROCPRIM_400000_NS6detail17trampoline_kernelINS0_14default_configENS1_35radix_sort_onesweep_config_selectorIiNS0_10empty_typeEEEZZNS1_29radix_sort_onesweep_iterationIS3_Lb0EN6thrust23THRUST_200600_302600_NS6detail15normal_iteratorINS9_10device_ptrIiEEEESE_PS5_SF_jNS0_19identity_decomposerENS1_16block_id_wrapperIjLb1EEEEE10hipError_tT1_PNSt15iterator_traitsISK_E10value_typeET2_T3_PNSL_ISQ_E10value_typeET4_T5_PSV_SW_PNS1_23onesweep_lookback_stateEbbT6_jjT7_P12ihipStream_tbENKUlT_T0_SK_SP_E_clISE_SE_SF_SF_EEDaS13_S14_SK_SP_EUlS13_E_NS1_11comp_targetILNS1_3genE0ELNS1_11target_archE4294967295ELNS1_3gpuE0ELNS1_3repE0EEENS1_47radix_sort_onesweep_sort_config_static_selectorELNS0_4arch9wavefront6targetE1EEEvSK_
    .private_segment_fixed_size: 0
    .sgpr_count:     6
    .sgpr_spill_count: 0
    .symbol:         _ZN7rocprim17ROCPRIM_400000_NS6detail17trampoline_kernelINS0_14default_configENS1_35radix_sort_onesweep_config_selectorIiNS0_10empty_typeEEEZZNS1_29radix_sort_onesweep_iterationIS3_Lb0EN6thrust23THRUST_200600_302600_NS6detail15normal_iteratorINS9_10device_ptrIiEEEESE_PS5_SF_jNS0_19identity_decomposerENS1_16block_id_wrapperIjLb1EEEEE10hipError_tT1_PNSt15iterator_traitsISK_E10value_typeET2_T3_PNSL_ISQ_E10value_typeET4_T5_PSV_SW_PNS1_23onesweep_lookback_stateEbbT6_jjT7_P12ihipStream_tbENKUlT_T0_SK_SP_E_clISE_SE_SF_SF_EEDaS13_S14_SK_SP_EUlS13_E_NS1_11comp_targetILNS1_3genE0ELNS1_11target_archE4294967295ELNS1_3gpuE0ELNS1_3repE0EEENS1_47radix_sort_onesweep_sort_config_static_selectorELNS0_4arch9wavefront6targetE1EEEvSK_.kd
    .uniform_work_group_size: 1
    .uses_dynamic_stack: false
    .vgpr_count:     0
    .vgpr_spill_count: 0
    .wavefront_size: 64
  - .agpr_count:     0
    .args:
      - .offset:         0
        .size:           88
        .value_kind:     by_value
    .group_segment_fixed_size: 0
    .kernarg_segment_align: 8
    .kernarg_segment_size: 88
    .language:       OpenCL C
    .language_version:
      - 2
      - 0
    .max_flat_workgroup_size: 1024
    .name:           _ZN7rocprim17ROCPRIM_400000_NS6detail17trampoline_kernelINS0_14default_configENS1_35radix_sort_onesweep_config_selectorIiNS0_10empty_typeEEEZZNS1_29radix_sort_onesweep_iterationIS3_Lb0EN6thrust23THRUST_200600_302600_NS6detail15normal_iteratorINS9_10device_ptrIiEEEESE_PS5_SF_jNS0_19identity_decomposerENS1_16block_id_wrapperIjLb1EEEEE10hipError_tT1_PNSt15iterator_traitsISK_E10value_typeET2_T3_PNSL_ISQ_E10value_typeET4_T5_PSV_SW_PNS1_23onesweep_lookback_stateEbbT6_jjT7_P12ihipStream_tbENKUlT_T0_SK_SP_E_clISE_SE_SF_SF_EEDaS13_S14_SK_SP_EUlS13_E_NS1_11comp_targetILNS1_3genE6ELNS1_11target_archE950ELNS1_3gpuE13ELNS1_3repE0EEENS1_47radix_sort_onesweep_sort_config_static_selectorELNS0_4arch9wavefront6targetE1EEEvSK_
    .private_segment_fixed_size: 0
    .sgpr_count:     6
    .sgpr_spill_count: 0
    .symbol:         _ZN7rocprim17ROCPRIM_400000_NS6detail17trampoline_kernelINS0_14default_configENS1_35radix_sort_onesweep_config_selectorIiNS0_10empty_typeEEEZZNS1_29radix_sort_onesweep_iterationIS3_Lb0EN6thrust23THRUST_200600_302600_NS6detail15normal_iteratorINS9_10device_ptrIiEEEESE_PS5_SF_jNS0_19identity_decomposerENS1_16block_id_wrapperIjLb1EEEEE10hipError_tT1_PNSt15iterator_traitsISK_E10value_typeET2_T3_PNSL_ISQ_E10value_typeET4_T5_PSV_SW_PNS1_23onesweep_lookback_stateEbbT6_jjT7_P12ihipStream_tbENKUlT_T0_SK_SP_E_clISE_SE_SF_SF_EEDaS13_S14_SK_SP_EUlS13_E_NS1_11comp_targetILNS1_3genE6ELNS1_11target_archE950ELNS1_3gpuE13ELNS1_3repE0EEENS1_47radix_sort_onesweep_sort_config_static_selectorELNS0_4arch9wavefront6targetE1EEEvSK_.kd
    .uniform_work_group_size: 1
    .uses_dynamic_stack: false
    .vgpr_count:     0
    .vgpr_spill_count: 0
    .wavefront_size: 64
  - .agpr_count:     0
    .args:
      - .offset:         0
        .size:           88
        .value_kind:     by_value
      - .offset:         88
        .size:           4
        .value_kind:     hidden_block_count_x
      - .offset:         92
        .size:           4
        .value_kind:     hidden_block_count_y
      - .offset:         96
        .size:           4
        .value_kind:     hidden_block_count_z
      - .offset:         100
        .size:           2
        .value_kind:     hidden_group_size_x
      - .offset:         102
        .size:           2
        .value_kind:     hidden_group_size_y
      - .offset:         104
        .size:           2
        .value_kind:     hidden_group_size_z
      - .offset:         106
        .size:           2
        .value_kind:     hidden_remainder_x
      - .offset:         108
        .size:           2
        .value_kind:     hidden_remainder_y
      - .offset:         110
        .size:           2
        .value_kind:     hidden_remainder_z
      - .offset:         128
        .size:           8
        .value_kind:     hidden_global_offset_x
      - .offset:         136
        .size:           8
        .value_kind:     hidden_global_offset_y
      - .offset:         144
        .size:           8
        .value_kind:     hidden_global_offset_z
      - .offset:         152
        .size:           2
        .value_kind:     hidden_grid_dims
    .group_segment_fixed_size: 20552
    .kernarg_segment_align: 8
    .kernarg_segment_size: 344
    .language:       OpenCL C
    .language_version:
      - 2
      - 0
    .max_flat_workgroup_size: 1024
    .name:           _ZN7rocprim17ROCPRIM_400000_NS6detail17trampoline_kernelINS0_14default_configENS1_35radix_sort_onesweep_config_selectorIiNS0_10empty_typeEEEZZNS1_29radix_sort_onesweep_iterationIS3_Lb0EN6thrust23THRUST_200600_302600_NS6detail15normal_iteratorINS9_10device_ptrIiEEEESE_PS5_SF_jNS0_19identity_decomposerENS1_16block_id_wrapperIjLb1EEEEE10hipError_tT1_PNSt15iterator_traitsISK_E10value_typeET2_T3_PNSL_ISQ_E10value_typeET4_T5_PSV_SW_PNS1_23onesweep_lookback_stateEbbT6_jjT7_P12ihipStream_tbENKUlT_T0_SK_SP_E_clISE_SE_SF_SF_EEDaS13_S14_SK_SP_EUlS13_E_NS1_11comp_targetILNS1_3genE5ELNS1_11target_archE942ELNS1_3gpuE9ELNS1_3repE0EEENS1_47radix_sort_onesweep_sort_config_static_selectorELNS0_4arch9wavefront6targetE1EEEvSK_
    .private_segment_fixed_size: 0
    .sgpr_count:     50
    .sgpr_spill_count: 0
    .symbol:         _ZN7rocprim17ROCPRIM_400000_NS6detail17trampoline_kernelINS0_14default_configENS1_35radix_sort_onesweep_config_selectorIiNS0_10empty_typeEEEZZNS1_29radix_sort_onesweep_iterationIS3_Lb0EN6thrust23THRUST_200600_302600_NS6detail15normal_iteratorINS9_10device_ptrIiEEEESE_PS5_SF_jNS0_19identity_decomposerENS1_16block_id_wrapperIjLb1EEEEE10hipError_tT1_PNSt15iterator_traitsISK_E10value_typeET2_T3_PNSL_ISQ_E10value_typeET4_T5_PSV_SW_PNS1_23onesweep_lookback_stateEbbT6_jjT7_P12ihipStream_tbENKUlT_T0_SK_SP_E_clISE_SE_SF_SF_EEDaS13_S14_SK_SP_EUlS13_E_NS1_11comp_targetILNS1_3genE5ELNS1_11target_archE942ELNS1_3gpuE9ELNS1_3repE0EEENS1_47radix_sort_onesweep_sort_config_static_selectorELNS0_4arch9wavefront6targetE1EEEvSK_.kd
    .uniform_work_group_size: 1
    .uses_dynamic_stack: false
    .vgpr_count:     46
    .vgpr_spill_count: 0
    .wavefront_size: 64
  - .agpr_count:     0
    .args:
      - .offset:         0
        .size:           88
        .value_kind:     by_value
    .group_segment_fixed_size: 0
    .kernarg_segment_align: 8
    .kernarg_segment_size: 88
    .language:       OpenCL C
    .language_version:
      - 2
      - 0
    .max_flat_workgroup_size: 1024
    .name:           _ZN7rocprim17ROCPRIM_400000_NS6detail17trampoline_kernelINS0_14default_configENS1_35radix_sort_onesweep_config_selectorIiNS0_10empty_typeEEEZZNS1_29radix_sort_onesweep_iterationIS3_Lb0EN6thrust23THRUST_200600_302600_NS6detail15normal_iteratorINS9_10device_ptrIiEEEESE_PS5_SF_jNS0_19identity_decomposerENS1_16block_id_wrapperIjLb1EEEEE10hipError_tT1_PNSt15iterator_traitsISK_E10value_typeET2_T3_PNSL_ISQ_E10value_typeET4_T5_PSV_SW_PNS1_23onesweep_lookback_stateEbbT6_jjT7_P12ihipStream_tbENKUlT_T0_SK_SP_E_clISE_SE_SF_SF_EEDaS13_S14_SK_SP_EUlS13_E_NS1_11comp_targetILNS1_3genE2ELNS1_11target_archE906ELNS1_3gpuE6ELNS1_3repE0EEENS1_47radix_sort_onesweep_sort_config_static_selectorELNS0_4arch9wavefront6targetE1EEEvSK_
    .private_segment_fixed_size: 0
    .sgpr_count:     6
    .sgpr_spill_count: 0
    .symbol:         _ZN7rocprim17ROCPRIM_400000_NS6detail17trampoline_kernelINS0_14default_configENS1_35radix_sort_onesweep_config_selectorIiNS0_10empty_typeEEEZZNS1_29radix_sort_onesweep_iterationIS3_Lb0EN6thrust23THRUST_200600_302600_NS6detail15normal_iteratorINS9_10device_ptrIiEEEESE_PS5_SF_jNS0_19identity_decomposerENS1_16block_id_wrapperIjLb1EEEEE10hipError_tT1_PNSt15iterator_traitsISK_E10value_typeET2_T3_PNSL_ISQ_E10value_typeET4_T5_PSV_SW_PNS1_23onesweep_lookback_stateEbbT6_jjT7_P12ihipStream_tbENKUlT_T0_SK_SP_E_clISE_SE_SF_SF_EEDaS13_S14_SK_SP_EUlS13_E_NS1_11comp_targetILNS1_3genE2ELNS1_11target_archE906ELNS1_3gpuE6ELNS1_3repE0EEENS1_47radix_sort_onesweep_sort_config_static_selectorELNS0_4arch9wavefront6targetE1EEEvSK_.kd
    .uniform_work_group_size: 1
    .uses_dynamic_stack: false
    .vgpr_count:     0
    .vgpr_spill_count: 0
    .wavefront_size: 64
  - .agpr_count:     0
    .args:
      - .offset:         0
        .size:           88
        .value_kind:     by_value
    .group_segment_fixed_size: 0
    .kernarg_segment_align: 8
    .kernarg_segment_size: 88
    .language:       OpenCL C
    .language_version:
      - 2
      - 0
    .max_flat_workgroup_size: 1024
    .name:           _ZN7rocprim17ROCPRIM_400000_NS6detail17trampoline_kernelINS0_14default_configENS1_35radix_sort_onesweep_config_selectorIiNS0_10empty_typeEEEZZNS1_29radix_sort_onesweep_iterationIS3_Lb0EN6thrust23THRUST_200600_302600_NS6detail15normal_iteratorINS9_10device_ptrIiEEEESE_PS5_SF_jNS0_19identity_decomposerENS1_16block_id_wrapperIjLb1EEEEE10hipError_tT1_PNSt15iterator_traitsISK_E10value_typeET2_T3_PNSL_ISQ_E10value_typeET4_T5_PSV_SW_PNS1_23onesweep_lookback_stateEbbT6_jjT7_P12ihipStream_tbENKUlT_T0_SK_SP_E_clISE_SE_SF_SF_EEDaS13_S14_SK_SP_EUlS13_E_NS1_11comp_targetILNS1_3genE4ELNS1_11target_archE910ELNS1_3gpuE8ELNS1_3repE0EEENS1_47radix_sort_onesweep_sort_config_static_selectorELNS0_4arch9wavefront6targetE1EEEvSK_
    .private_segment_fixed_size: 0
    .sgpr_count:     6
    .sgpr_spill_count: 0
    .symbol:         _ZN7rocprim17ROCPRIM_400000_NS6detail17trampoline_kernelINS0_14default_configENS1_35radix_sort_onesweep_config_selectorIiNS0_10empty_typeEEEZZNS1_29radix_sort_onesweep_iterationIS3_Lb0EN6thrust23THRUST_200600_302600_NS6detail15normal_iteratorINS9_10device_ptrIiEEEESE_PS5_SF_jNS0_19identity_decomposerENS1_16block_id_wrapperIjLb1EEEEE10hipError_tT1_PNSt15iterator_traitsISK_E10value_typeET2_T3_PNSL_ISQ_E10value_typeET4_T5_PSV_SW_PNS1_23onesweep_lookback_stateEbbT6_jjT7_P12ihipStream_tbENKUlT_T0_SK_SP_E_clISE_SE_SF_SF_EEDaS13_S14_SK_SP_EUlS13_E_NS1_11comp_targetILNS1_3genE4ELNS1_11target_archE910ELNS1_3gpuE8ELNS1_3repE0EEENS1_47radix_sort_onesweep_sort_config_static_selectorELNS0_4arch9wavefront6targetE1EEEvSK_.kd
    .uniform_work_group_size: 1
    .uses_dynamic_stack: false
    .vgpr_count:     0
    .vgpr_spill_count: 0
    .wavefront_size: 64
  - .agpr_count:     0
    .args:
      - .offset:         0
        .size:           88
        .value_kind:     by_value
    .group_segment_fixed_size: 0
    .kernarg_segment_align: 8
    .kernarg_segment_size: 88
    .language:       OpenCL C
    .language_version:
      - 2
      - 0
    .max_flat_workgroup_size: 512
    .name:           _ZN7rocprim17ROCPRIM_400000_NS6detail17trampoline_kernelINS0_14default_configENS1_35radix_sort_onesweep_config_selectorIiNS0_10empty_typeEEEZZNS1_29radix_sort_onesweep_iterationIS3_Lb0EN6thrust23THRUST_200600_302600_NS6detail15normal_iteratorINS9_10device_ptrIiEEEESE_PS5_SF_jNS0_19identity_decomposerENS1_16block_id_wrapperIjLb1EEEEE10hipError_tT1_PNSt15iterator_traitsISK_E10value_typeET2_T3_PNSL_ISQ_E10value_typeET4_T5_PSV_SW_PNS1_23onesweep_lookback_stateEbbT6_jjT7_P12ihipStream_tbENKUlT_T0_SK_SP_E_clISE_SE_SF_SF_EEDaS13_S14_SK_SP_EUlS13_E_NS1_11comp_targetILNS1_3genE3ELNS1_11target_archE908ELNS1_3gpuE7ELNS1_3repE0EEENS1_47radix_sort_onesweep_sort_config_static_selectorELNS0_4arch9wavefront6targetE1EEEvSK_
    .private_segment_fixed_size: 0
    .sgpr_count:     6
    .sgpr_spill_count: 0
    .symbol:         _ZN7rocprim17ROCPRIM_400000_NS6detail17trampoline_kernelINS0_14default_configENS1_35radix_sort_onesweep_config_selectorIiNS0_10empty_typeEEEZZNS1_29radix_sort_onesweep_iterationIS3_Lb0EN6thrust23THRUST_200600_302600_NS6detail15normal_iteratorINS9_10device_ptrIiEEEESE_PS5_SF_jNS0_19identity_decomposerENS1_16block_id_wrapperIjLb1EEEEE10hipError_tT1_PNSt15iterator_traitsISK_E10value_typeET2_T3_PNSL_ISQ_E10value_typeET4_T5_PSV_SW_PNS1_23onesweep_lookback_stateEbbT6_jjT7_P12ihipStream_tbENKUlT_T0_SK_SP_E_clISE_SE_SF_SF_EEDaS13_S14_SK_SP_EUlS13_E_NS1_11comp_targetILNS1_3genE3ELNS1_11target_archE908ELNS1_3gpuE7ELNS1_3repE0EEENS1_47radix_sort_onesweep_sort_config_static_selectorELNS0_4arch9wavefront6targetE1EEEvSK_.kd
    .uniform_work_group_size: 1
    .uses_dynamic_stack: false
    .vgpr_count:     0
    .vgpr_spill_count: 0
    .wavefront_size: 64
  - .agpr_count:     0
    .args:
      - .offset:         0
        .size:           88
        .value_kind:     by_value
    .group_segment_fixed_size: 0
    .kernarg_segment_align: 8
    .kernarg_segment_size: 88
    .language:       OpenCL C
    .language_version:
      - 2
      - 0
    .max_flat_workgroup_size: 1024
    .name:           _ZN7rocprim17ROCPRIM_400000_NS6detail17trampoline_kernelINS0_14default_configENS1_35radix_sort_onesweep_config_selectorIiNS0_10empty_typeEEEZZNS1_29radix_sort_onesweep_iterationIS3_Lb0EN6thrust23THRUST_200600_302600_NS6detail15normal_iteratorINS9_10device_ptrIiEEEESE_PS5_SF_jNS0_19identity_decomposerENS1_16block_id_wrapperIjLb1EEEEE10hipError_tT1_PNSt15iterator_traitsISK_E10value_typeET2_T3_PNSL_ISQ_E10value_typeET4_T5_PSV_SW_PNS1_23onesweep_lookback_stateEbbT6_jjT7_P12ihipStream_tbENKUlT_T0_SK_SP_E_clISE_SE_SF_SF_EEDaS13_S14_SK_SP_EUlS13_E_NS1_11comp_targetILNS1_3genE10ELNS1_11target_archE1201ELNS1_3gpuE5ELNS1_3repE0EEENS1_47radix_sort_onesweep_sort_config_static_selectorELNS0_4arch9wavefront6targetE1EEEvSK_
    .private_segment_fixed_size: 0
    .sgpr_count:     6
    .sgpr_spill_count: 0
    .symbol:         _ZN7rocprim17ROCPRIM_400000_NS6detail17trampoline_kernelINS0_14default_configENS1_35radix_sort_onesweep_config_selectorIiNS0_10empty_typeEEEZZNS1_29radix_sort_onesweep_iterationIS3_Lb0EN6thrust23THRUST_200600_302600_NS6detail15normal_iteratorINS9_10device_ptrIiEEEESE_PS5_SF_jNS0_19identity_decomposerENS1_16block_id_wrapperIjLb1EEEEE10hipError_tT1_PNSt15iterator_traitsISK_E10value_typeET2_T3_PNSL_ISQ_E10value_typeET4_T5_PSV_SW_PNS1_23onesweep_lookback_stateEbbT6_jjT7_P12ihipStream_tbENKUlT_T0_SK_SP_E_clISE_SE_SF_SF_EEDaS13_S14_SK_SP_EUlS13_E_NS1_11comp_targetILNS1_3genE10ELNS1_11target_archE1201ELNS1_3gpuE5ELNS1_3repE0EEENS1_47radix_sort_onesweep_sort_config_static_selectorELNS0_4arch9wavefront6targetE1EEEvSK_.kd
    .uniform_work_group_size: 1
    .uses_dynamic_stack: false
    .vgpr_count:     0
    .vgpr_spill_count: 0
    .wavefront_size: 64
  - .agpr_count:     0
    .args:
      - .offset:         0
        .size:           88
        .value_kind:     by_value
    .group_segment_fixed_size: 0
    .kernarg_segment_align: 8
    .kernarg_segment_size: 88
    .language:       OpenCL C
    .language_version:
      - 2
      - 0
    .max_flat_workgroup_size: 1024
    .name:           _ZN7rocprim17ROCPRIM_400000_NS6detail17trampoline_kernelINS0_14default_configENS1_35radix_sort_onesweep_config_selectorIiNS0_10empty_typeEEEZZNS1_29radix_sort_onesweep_iterationIS3_Lb0EN6thrust23THRUST_200600_302600_NS6detail15normal_iteratorINS9_10device_ptrIiEEEESE_PS5_SF_jNS0_19identity_decomposerENS1_16block_id_wrapperIjLb1EEEEE10hipError_tT1_PNSt15iterator_traitsISK_E10value_typeET2_T3_PNSL_ISQ_E10value_typeET4_T5_PSV_SW_PNS1_23onesweep_lookback_stateEbbT6_jjT7_P12ihipStream_tbENKUlT_T0_SK_SP_E_clISE_SE_SF_SF_EEDaS13_S14_SK_SP_EUlS13_E_NS1_11comp_targetILNS1_3genE9ELNS1_11target_archE1100ELNS1_3gpuE3ELNS1_3repE0EEENS1_47radix_sort_onesweep_sort_config_static_selectorELNS0_4arch9wavefront6targetE1EEEvSK_
    .private_segment_fixed_size: 0
    .sgpr_count:     6
    .sgpr_spill_count: 0
    .symbol:         _ZN7rocprim17ROCPRIM_400000_NS6detail17trampoline_kernelINS0_14default_configENS1_35radix_sort_onesweep_config_selectorIiNS0_10empty_typeEEEZZNS1_29radix_sort_onesweep_iterationIS3_Lb0EN6thrust23THRUST_200600_302600_NS6detail15normal_iteratorINS9_10device_ptrIiEEEESE_PS5_SF_jNS0_19identity_decomposerENS1_16block_id_wrapperIjLb1EEEEE10hipError_tT1_PNSt15iterator_traitsISK_E10value_typeET2_T3_PNSL_ISQ_E10value_typeET4_T5_PSV_SW_PNS1_23onesweep_lookback_stateEbbT6_jjT7_P12ihipStream_tbENKUlT_T0_SK_SP_E_clISE_SE_SF_SF_EEDaS13_S14_SK_SP_EUlS13_E_NS1_11comp_targetILNS1_3genE9ELNS1_11target_archE1100ELNS1_3gpuE3ELNS1_3repE0EEENS1_47radix_sort_onesweep_sort_config_static_selectorELNS0_4arch9wavefront6targetE1EEEvSK_.kd
    .uniform_work_group_size: 1
    .uses_dynamic_stack: false
    .vgpr_count:     0
    .vgpr_spill_count: 0
    .wavefront_size: 64
  - .agpr_count:     0
    .args:
      - .offset:         0
        .size:           88
        .value_kind:     by_value
    .group_segment_fixed_size: 0
    .kernarg_segment_align: 8
    .kernarg_segment_size: 88
    .language:       OpenCL C
    .language_version:
      - 2
      - 0
    .max_flat_workgroup_size: 1024
    .name:           _ZN7rocprim17ROCPRIM_400000_NS6detail17trampoline_kernelINS0_14default_configENS1_35radix_sort_onesweep_config_selectorIiNS0_10empty_typeEEEZZNS1_29radix_sort_onesweep_iterationIS3_Lb0EN6thrust23THRUST_200600_302600_NS6detail15normal_iteratorINS9_10device_ptrIiEEEESE_PS5_SF_jNS0_19identity_decomposerENS1_16block_id_wrapperIjLb1EEEEE10hipError_tT1_PNSt15iterator_traitsISK_E10value_typeET2_T3_PNSL_ISQ_E10value_typeET4_T5_PSV_SW_PNS1_23onesweep_lookback_stateEbbT6_jjT7_P12ihipStream_tbENKUlT_T0_SK_SP_E_clISE_SE_SF_SF_EEDaS13_S14_SK_SP_EUlS13_E_NS1_11comp_targetILNS1_3genE8ELNS1_11target_archE1030ELNS1_3gpuE2ELNS1_3repE0EEENS1_47radix_sort_onesweep_sort_config_static_selectorELNS0_4arch9wavefront6targetE1EEEvSK_
    .private_segment_fixed_size: 0
    .sgpr_count:     6
    .sgpr_spill_count: 0
    .symbol:         _ZN7rocprim17ROCPRIM_400000_NS6detail17trampoline_kernelINS0_14default_configENS1_35radix_sort_onesweep_config_selectorIiNS0_10empty_typeEEEZZNS1_29radix_sort_onesweep_iterationIS3_Lb0EN6thrust23THRUST_200600_302600_NS6detail15normal_iteratorINS9_10device_ptrIiEEEESE_PS5_SF_jNS0_19identity_decomposerENS1_16block_id_wrapperIjLb1EEEEE10hipError_tT1_PNSt15iterator_traitsISK_E10value_typeET2_T3_PNSL_ISQ_E10value_typeET4_T5_PSV_SW_PNS1_23onesweep_lookback_stateEbbT6_jjT7_P12ihipStream_tbENKUlT_T0_SK_SP_E_clISE_SE_SF_SF_EEDaS13_S14_SK_SP_EUlS13_E_NS1_11comp_targetILNS1_3genE8ELNS1_11target_archE1030ELNS1_3gpuE2ELNS1_3repE0EEENS1_47radix_sort_onesweep_sort_config_static_selectorELNS0_4arch9wavefront6targetE1EEEvSK_.kd
    .uniform_work_group_size: 1
    .uses_dynamic_stack: false
    .vgpr_count:     0
    .vgpr_spill_count: 0
    .wavefront_size: 64
  - .agpr_count:     0
    .args:
      - .offset:         0
        .size:           88
        .value_kind:     by_value
    .group_segment_fixed_size: 0
    .kernarg_segment_align: 8
    .kernarg_segment_size: 88
    .language:       OpenCL C
    .language_version:
      - 2
      - 0
    .max_flat_workgroup_size: 512
    .name:           _ZN7rocprim17ROCPRIM_400000_NS6detail17trampoline_kernelINS0_14default_configENS1_35radix_sort_onesweep_config_selectorIiNS0_10empty_typeEEEZZNS1_29radix_sort_onesweep_iterationIS3_Lb0EN6thrust23THRUST_200600_302600_NS6detail15normal_iteratorINS9_10device_ptrIiEEEESE_PS5_SF_jNS0_19identity_decomposerENS1_16block_id_wrapperIjLb1EEEEE10hipError_tT1_PNSt15iterator_traitsISK_E10value_typeET2_T3_PNSL_ISQ_E10value_typeET4_T5_PSV_SW_PNS1_23onesweep_lookback_stateEbbT6_jjT7_P12ihipStream_tbENKUlT_T0_SK_SP_E_clISE_PiSF_SF_EEDaS13_S14_SK_SP_EUlS13_E_NS1_11comp_targetILNS1_3genE0ELNS1_11target_archE4294967295ELNS1_3gpuE0ELNS1_3repE0EEENS1_47radix_sort_onesweep_sort_config_static_selectorELNS0_4arch9wavefront6targetE1EEEvSK_
    .private_segment_fixed_size: 0
    .sgpr_count:     6
    .sgpr_spill_count: 0
    .symbol:         _ZN7rocprim17ROCPRIM_400000_NS6detail17trampoline_kernelINS0_14default_configENS1_35radix_sort_onesweep_config_selectorIiNS0_10empty_typeEEEZZNS1_29radix_sort_onesweep_iterationIS3_Lb0EN6thrust23THRUST_200600_302600_NS6detail15normal_iteratorINS9_10device_ptrIiEEEESE_PS5_SF_jNS0_19identity_decomposerENS1_16block_id_wrapperIjLb1EEEEE10hipError_tT1_PNSt15iterator_traitsISK_E10value_typeET2_T3_PNSL_ISQ_E10value_typeET4_T5_PSV_SW_PNS1_23onesweep_lookback_stateEbbT6_jjT7_P12ihipStream_tbENKUlT_T0_SK_SP_E_clISE_PiSF_SF_EEDaS13_S14_SK_SP_EUlS13_E_NS1_11comp_targetILNS1_3genE0ELNS1_11target_archE4294967295ELNS1_3gpuE0ELNS1_3repE0EEENS1_47radix_sort_onesweep_sort_config_static_selectorELNS0_4arch9wavefront6targetE1EEEvSK_.kd
    .uniform_work_group_size: 1
    .uses_dynamic_stack: false
    .vgpr_count:     0
    .vgpr_spill_count: 0
    .wavefront_size: 64
  - .agpr_count:     0
    .args:
      - .offset:         0
        .size:           88
        .value_kind:     by_value
    .group_segment_fixed_size: 0
    .kernarg_segment_align: 8
    .kernarg_segment_size: 88
    .language:       OpenCL C
    .language_version:
      - 2
      - 0
    .max_flat_workgroup_size: 1024
    .name:           _ZN7rocprim17ROCPRIM_400000_NS6detail17trampoline_kernelINS0_14default_configENS1_35radix_sort_onesweep_config_selectorIiNS0_10empty_typeEEEZZNS1_29radix_sort_onesweep_iterationIS3_Lb0EN6thrust23THRUST_200600_302600_NS6detail15normal_iteratorINS9_10device_ptrIiEEEESE_PS5_SF_jNS0_19identity_decomposerENS1_16block_id_wrapperIjLb1EEEEE10hipError_tT1_PNSt15iterator_traitsISK_E10value_typeET2_T3_PNSL_ISQ_E10value_typeET4_T5_PSV_SW_PNS1_23onesweep_lookback_stateEbbT6_jjT7_P12ihipStream_tbENKUlT_T0_SK_SP_E_clISE_PiSF_SF_EEDaS13_S14_SK_SP_EUlS13_E_NS1_11comp_targetILNS1_3genE6ELNS1_11target_archE950ELNS1_3gpuE13ELNS1_3repE0EEENS1_47radix_sort_onesweep_sort_config_static_selectorELNS0_4arch9wavefront6targetE1EEEvSK_
    .private_segment_fixed_size: 0
    .sgpr_count:     6
    .sgpr_spill_count: 0
    .symbol:         _ZN7rocprim17ROCPRIM_400000_NS6detail17trampoline_kernelINS0_14default_configENS1_35radix_sort_onesweep_config_selectorIiNS0_10empty_typeEEEZZNS1_29radix_sort_onesweep_iterationIS3_Lb0EN6thrust23THRUST_200600_302600_NS6detail15normal_iteratorINS9_10device_ptrIiEEEESE_PS5_SF_jNS0_19identity_decomposerENS1_16block_id_wrapperIjLb1EEEEE10hipError_tT1_PNSt15iterator_traitsISK_E10value_typeET2_T3_PNSL_ISQ_E10value_typeET4_T5_PSV_SW_PNS1_23onesweep_lookback_stateEbbT6_jjT7_P12ihipStream_tbENKUlT_T0_SK_SP_E_clISE_PiSF_SF_EEDaS13_S14_SK_SP_EUlS13_E_NS1_11comp_targetILNS1_3genE6ELNS1_11target_archE950ELNS1_3gpuE13ELNS1_3repE0EEENS1_47radix_sort_onesweep_sort_config_static_selectorELNS0_4arch9wavefront6targetE1EEEvSK_.kd
    .uniform_work_group_size: 1
    .uses_dynamic_stack: false
    .vgpr_count:     0
    .vgpr_spill_count: 0
    .wavefront_size: 64
  - .agpr_count:     0
    .args:
      - .offset:         0
        .size:           88
        .value_kind:     by_value
      - .offset:         88
        .size:           4
        .value_kind:     hidden_block_count_x
      - .offset:         92
        .size:           4
        .value_kind:     hidden_block_count_y
      - .offset:         96
        .size:           4
        .value_kind:     hidden_block_count_z
      - .offset:         100
        .size:           2
        .value_kind:     hidden_group_size_x
      - .offset:         102
        .size:           2
        .value_kind:     hidden_group_size_y
      - .offset:         104
        .size:           2
        .value_kind:     hidden_group_size_z
      - .offset:         106
        .size:           2
        .value_kind:     hidden_remainder_x
      - .offset:         108
        .size:           2
        .value_kind:     hidden_remainder_y
      - .offset:         110
        .size:           2
        .value_kind:     hidden_remainder_z
      - .offset:         128
        .size:           8
        .value_kind:     hidden_global_offset_x
      - .offset:         136
        .size:           8
        .value_kind:     hidden_global_offset_y
      - .offset:         144
        .size:           8
        .value_kind:     hidden_global_offset_z
      - .offset:         152
        .size:           2
        .value_kind:     hidden_grid_dims
    .group_segment_fixed_size: 20552
    .kernarg_segment_align: 8
    .kernarg_segment_size: 344
    .language:       OpenCL C
    .language_version:
      - 2
      - 0
    .max_flat_workgroup_size: 1024
    .name:           _ZN7rocprim17ROCPRIM_400000_NS6detail17trampoline_kernelINS0_14default_configENS1_35radix_sort_onesweep_config_selectorIiNS0_10empty_typeEEEZZNS1_29radix_sort_onesweep_iterationIS3_Lb0EN6thrust23THRUST_200600_302600_NS6detail15normal_iteratorINS9_10device_ptrIiEEEESE_PS5_SF_jNS0_19identity_decomposerENS1_16block_id_wrapperIjLb1EEEEE10hipError_tT1_PNSt15iterator_traitsISK_E10value_typeET2_T3_PNSL_ISQ_E10value_typeET4_T5_PSV_SW_PNS1_23onesweep_lookback_stateEbbT6_jjT7_P12ihipStream_tbENKUlT_T0_SK_SP_E_clISE_PiSF_SF_EEDaS13_S14_SK_SP_EUlS13_E_NS1_11comp_targetILNS1_3genE5ELNS1_11target_archE942ELNS1_3gpuE9ELNS1_3repE0EEENS1_47radix_sort_onesweep_sort_config_static_selectorELNS0_4arch9wavefront6targetE1EEEvSK_
    .private_segment_fixed_size: 0
    .sgpr_count:     50
    .sgpr_spill_count: 0
    .symbol:         _ZN7rocprim17ROCPRIM_400000_NS6detail17trampoline_kernelINS0_14default_configENS1_35radix_sort_onesweep_config_selectorIiNS0_10empty_typeEEEZZNS1_29radix_sort_onesweep_iterationIS3_Lb0EN6thrust23THRUST_200600_302600_NS6detail15normal_iteratorINS9_10device_ptrIiEEEESE_PS5_SF_jNS0_19identity_decomposerENS1_16block_id_wrapperIjLb1EEEEE10hipError_tT1_PNSt15iterator_traitsISK_E10value_typeET2_T3_PNSL_ISQ_E10value_typeET4_T5_PSV_SW_PNS1_23onesweep_lookback_stateEbbT6_jjT7_P12ihipStream_tbENKUlT_T0_SK_SP_E_clISE_PiSF_SF_EEDaS13_S14_SK_SP_EUlS13_E_NS1_11comp_targetILNS1_3genE5ELNS1_11target_archE942ELNS1_3gpuE9ELNS1_3repE0EEENS1_47radix_sort_onesweep_sort_config_static_selectorELNS0_4arch9wavefront6targetE1EEEvSK_.kd
    .uniform_work_group_size: 1
    .uses_dynamic_stack: false
    .vgpr_count:     46
    .vgpr_spill_count: 0
    .wavefront_size: 64
  - .agpr_count:     0
    .args:
      - .offset:         0
        .size:           88
        .value_kind:     by_value
    .group_segment_fixed_size: 0
    .kernarg_segment_align: 8
    .kernarg_segment_size: 88
    .language:       OpenCL C
    .language_version:
      - 2
      - 0
    .max_flat_workgroup_size: 1024
    .name:           _ZN7rocprim17ROCPRIM_400000_NS6detail17trampoline_kernelINS0_14default_configENS1_35radix_sort_onesweep_config_selectorIiNS0_10empty_typeEEEZZNS1_29radix_sort_onesweep_iterationIS3_Lb0EN6thrust23THRUST_200600_302600_NS6detail15normal_iteratorINS9_10device_ptrIiEEEESE_PS5_SF_jNS0_19identity_decomposerENS1_16block_id_wrapperIjLb1EEEEE10hipError_tT1_PNSt15iterator_traitsISK_E10value_typeET2_T3_PNSL_ISQ_E10value_typeET4_T5_PSV_SW_PNS1_23onesweep_lookback_stateEbbT6_jjT7_P12ihipStream_tbENKUlT_T0_SK_SP_E_clISE_PiSF_SF_EEDaS13_S14_SK_SP_EUlS13_E_NS1_11comp_targetILNS1_3genE2ELNS1_11target_archE906ELNS1_3gpuE6ELNS1_3repE0EEENS1_47radix_sort_onesweep_sort_config_static_selectorELNS0_4arch9wavefront6targetE1EEEvSK_
    .private_segment_fixed_size: 0
    .sgpr_count:     6
    .sgpr_spill_count: 0
    .symbol:         _ZN7rocprim17ROCPRIM_400000_NS6detail17trampoline_kernelINS0_14default_configENS1_35radix_sort_onesweep_config_selectorIiNS0_10empty_typeEEEZZNS1_29radix_sort_onesweep_iterationIS3_Lb0EN6thrust23THRUST_200600_302600_NS6detail15normal_iteratorINS9_10device_ptrIiEEEESE_PS5_SF_jNS0_19identity_decomposerENS1_16block_id_wrapperIjLb1EEEEE10hipError_tT1_PNSt15iterator_traitsISK_E10value_typeET2_T3_PNSL_ISQ_E10value_typeET4_T5_PSV_SW_PNS1_23onesweep_lookback_stateEbbT6_jjT7_P12ihipStream_tbENKUlT_T0_SK_SP_E_clISE_PiSF_SF_EEDaS13_S14_SK_SP_EUlS13_E_NS1_11comp_targetILNS1_3genE2ELNS1_11target_archE906ELNS1_3gpuE6ELNS1_3repE0EEENS1_47radix_sort_onesweep_sort_config_static_selectorELNS0_4arch9wavefront6targetE1EEEvSK_.kd
    .uniform_work_group_size: 1
    .uses_dynamic_stack: false
    .vgpr_count:     0
    .vgpr_spill_count: 0
    .wavefront_size: 64
  - .agpr_count:     0
    .args:
      - .offset:         0
        .size:           88
        .value_kind:     by_value
    .group_segment_fixed_size: 0
    .kernarg_segment_align: 8
    .kernarg_segment_size: 88
    .language:       OpenCL C
    .language_version:
      - 2
      - 0
    .max_flat_workgroup_size: 1024
    .name:           _ZN7rocprim17ROCPRIM_400000_NS6detail17trampoline_kernelINS0_14default_configENS1_35radix_sort_onesweep_config_selectorIiNS0_10empty_typeEEEZZNS1_29radix_sort_onesweep_iterationIS3_Lb0EN6thrust23THRUST_200600_302600_NS6detail15normal_iteratorINS9_10device_ptrIiEEEESE_PS5_SF_jNS0_19identity_decomposerENS1_16block_id_wrapperIjLb1EEEEE10hipError_tT1_PNSt15iterator_traitsISK_E10value_typeET2_T3_PNSL_ISQ_E10value_typeET4_T5_PSV_SW_PNS1_23onesweep_lookback_stateEbbT6_jjT7_P12ihipStream_tbENKUlT_T0_SK_SP_E_clISE_PiSF_SF_EEDaS13_S14_SK_SP_EUlS13_E_NS1_11comp_targetILNS1_3genE4ELNS1_11target_archE910ELNS1_3gpuE8ELNS1_3repE0EEENS1_47radix_sort_onesweep_sort_config_static_selectorELNS0_4arch9wavefront6targetE1EEEvSK_
    .private_segment_fixed_size: 0
    .sgpr_count:     6
    .sgpr_spill_count: 0
    .symbol:         _ZN7rocprim17ROCPRIM_400000_NS6detail17trampoline_kernelINS0_14default_configENS1_35radix_sort_onesweep_config_selectorIiNS0_10empty_typeEEEZZNS1_29radix_sort_onesweep_iterationIS3_Lb0EN6thrust23THRUST_200600_302600_NS6detail15normal_iteratorINS9_10device_ptrIiEEEESE_PS5_SF_jNS0_19identity_decomposerENS1_16block_id_wrapperIjLb1EEEEE10hipError_tT1_PNSt15iterator_traitsISK_E10value_typeET2_T3_PNSL_ISQ_E10value_typeET4_T5_PSV_SW_PNS1_23onesweep_lookback_stateEbbT6_jjT7_P12ihipStream_tbENKUlT_T0_SK_SP_E_clISE_PiSF_SF_EEDaS13_S14_SK_SP_EUlS13_E_NS1_11comp_targetILNS1_3genE4ELNS1_11target_archE910ELNS1_3gpuE8ELNS1_3repE0EEENS1_47radix_sort_onesweep_sort_config_static_selectorELNS0_4arch9wavefront6targetE1EEEvSK_.kd
    .uniform_work_group_size: 1
    .uses_dynamic_stack: false
    .vgpr_count:     0
    .vgpr_spill_count: 0
    .wavefront_size: 64
  - .agpr_count:     0
    .args:
      - .offset:         0
        .size:           88
        .value_kind:     by_value
    .group_segment_fixed_size: 0
    .kernarg_segment_align: 8
    .kernarg_segment_size: 88
    .language:       OpenCL C
    .language_version:
      - 2
      - 0
    .max_flat_workgroup_size: 512
    .name:           _ZN7rocprim17ROCPRIM_400000_NS6detail17trampoline_kernelINS0_14default_configENS1_35radix_sort_onesweep_config_selectorIiNS0_10empty_typeEEEZZNS1_29radix_sort_onesweep_iterationIS3_Lb0EN6thrust23THRUST_200600_302600_NS6detail15normal_iteratorINS9_10device_ptrIiEEEESE_PS5_SF_jNS0_19identity_decomposerENS1_16block_id_wrapperIjLb1EEEEE10hipError_tT1_PNSt15iterator_traitsISK_E10value_typeET2_T3_PNSL_ISQ_E10value_typeET4_T5_PSV_SW_PNS1_23onesweep_lookback_stateEbbT6_jjT7_P12ihipStream_tbENKUlT_T0_SK_SP_E_clISE_PiSF_SF_EEDaS13_S14_SK_SP_EUlS13_E_NS1_11comp_targetILNS1_3genE3ELNS1_11target_archE908ELNS1_3gpuE7ELNS1_3repE0EEENS1_47radix_sort_onesweep_sort_config_static_selectorELNS0_4arch9wavefront6targetE1EEEvSK_
    .private_segment_fixed_size: 0
    .sgpr_count:     6
    .sgpr_spill_count: 0
    .symbol:         _ZN7rocprim17ROCPRIM_400000_NS6detail17trampoline_kernelINS0_14default_configENS1_35radix_sort_onesweep_config_selectorIiNS0_10empty_typeEEEZZNS1_29radix_sort_onesweep_iterationIS3_Lb0EN6thrust23THRUST_200600_302600_NS6detail15normal_iteratorINS9_10device_ptrIiEEEESE_PS5_SF_jNS0_19identity_decomposerENS1_16block_id_wrapperIjLb1EEEEE10hipError_tT1_PNSt15iterator_traitsISK_E10value_typeET2_T3_PNSL_ISQ_E10value_typeET4_T5_PSV_SW_PNS1_23onesweep_lookback_stateEbbT6_jjT7_P12ihipStream_tbENKUlT_T0_SK_SP_E_clISE_PiSF_SF_EEDaS13_S14_SK_SP_EUlS13_E_NS1_11comp_targetILNS1_3genE3ELNS1_11target_archE908ELNS1_3gpuE7ELNS1_3repE0EEENS1_47radix_sort_onesweep_sort_config_static_selectorELNS0_4arch9wavefront6targetE1EEEvSK_.kd
    .uniform_work_group_size: 1
    .uses_dynamic_stack: false
    .vgpr_count:     0
    .vgpr_spill_count: 0
    .wavefront_size: 64
  - .agpr_count:     0
    .args:
      - .offset:         0
        .size:           88
        .value_kind:     by_value
    .group_segment_fixed_size: 0
    .kernarg_segment_align: 8
    .kernarg_segment_size: 88
    .language:       OpenCL C
    .language_version:
      - 2
      - 0
    .max_flat_workgroup_size: 1024
    .name:           _ZN7rocprim17ROCPRIM_400000_NS6detail17trampoline_kernelINS0_14default_configENS1_35radix_sort_onesweep_config_selectorIiNS0_10empty_typeEEEZZNS1_29radix_sort_onesweep_iterationIS3_Lb0EN6thrust23THRUST_200600_302600_NS6detail15normal_iteratorINS9_10device_ptrIiEEEESE_PS5_SF_jNS0_19identity_decomposerENS1_16block_id_wrapperIjLb1EEEEE10hipError_tT1_PNSt15iterator_traitsISK_E10value_typeET2_T3_PNSL_ISQ_E10value_typeET4_T5_PSV_SW_PNS1_23onesweep_lookback_stateEbbT6_jjT7_P12ihipStream_tbENKUlT_T0_SK_SP_E_clISE_PiSF_SF_EEDaS13_S14_SK_SP_EUlS13_E_NS1_11comp_targetILNS1_3genE10ELNS1_11target_archE1201ELNS1_3gpuE5ELNS1_3repE0EEENS1_47radix_sort_onesweep_sort_config_static_selectorELNS0_4arch9wavefront6targetE1EEEvSK_
    .private_segment_fixed_size: 0
    .sgpr_count:     6
    .sgpr_spill_count: 0
    .symbol:         _ZN7rocprim17ROCPRIM_400000_NS6detail17trampoline_kernelINS0_14default_configENS1_35radix_sort_onesweep_config_selectorIiNS0_10empty_typeEEEZZNS1_29radix_sort_onesweep_iterationIS3_Lb0EN6thrust23THRUST_200600_302600_NS6detail15normal_iteratorINS9_10device_ptrIiEEEESE_PS5_SF_jNS0_19identity_decomposerENS1_16block_id_wrapperIjLb1EEEEE10hipError_tT1_PNSt15iterator_traitsISK_E10value_typeET2_T3_PNSL_ISQ_E10value_typeET4_T5_PSV_SW_PNS1_23onesweep_lookback_stateEbbT6_jjT7_P12ihipStream_tbENKUlT_T0_SK_SP_E_clISE_PiSF_SF_EEDaS13_S14_SK_SP_EUlS13_E_NS1_11comp_targetILNS1_3genE10ELNS1_11target_archE1201ELNS1_3gpuE5ELNS1_3repE0EEENS1_47radix_sort_onesweep_sort_config_static_selectorELNS0_4arch9wavefront6targetE1EEEvSK_.kd
    .uniform_work_group_size: 1
    .uses_dynamic_stack: false
    .vgpr_count:     0
    .vgpr_spill_count: 0
    .wavefront_size: 64
  - .agpr_count:     0
    .args:
      - .offset:         0
        .size:           88
        .value_kind:     by_value
    .group_segment_fixed_size: 0
    .kernarg_segment_align: 8
    .kernarg_segment_size: 88
    .language:       OpenCL C
    .language_version:
      - 2
      - 0
    .max_flat_workgroup_size: 1024
    .name:           _ZN7rocprim17ROCPRIM_400000_NS6detail17trampoline_kernelINS0_14default_configENS1_35radix_sort_onesweep_config_selectorIiNS0_10empty_typeEEEZZNS1_29radix_sort_onesweep_iterationIS3_Lb0EN6thrust23THRUST_200600_302600_NS6detail15normal_iteratorINS9_10device_ptrIiEEEESE_PS5_SF_jNS0_19identity_decomposerENS1_16block_id_wrapperIjLb1EEEEE10hipError_tT1_PNSt15iterator_traitsISK_E10value_typeET2_T3_PNSL_ISQ_E10value_typeET4_T5_PSV_SW_PNS1_23onesweep_lookback_stateEbbT6_jjT7_P12ihipStream_tbENKUlT_T0_SK_SP_E_clISE_PiSF_SF_EEDaS13_S14_SK_SP_EUlS13_E_NS1_11comp_targetILNS1_3genE9ELNS1_11target_archE1100ELNS1_3gpuE3ELNS1_3repE0EEENS1_47radix_sort_onesweep_sort_config_static_selectorELNS0_4arch9wavefront6targetE1EEEvSK_
    .private_segment_fixed_size: 0
    .sgpr_count:     6
    .sgpr_spill_count: 0
    .symbol:         _ZN7rocprim17ROCPRIM_400000_NS6detail17trampoline_kernelINS0_14default_configENS1_35radix_sort_onesweep_config_selectorIiNS0_10empty_typeEEEZZNS1_29radix_sort_onesweep_iterationIS3_Lb0EN6thrust23THRUST_200600_302600_NS6detail15normal_iteratorINS9_10device_ptrIiEEEESE_PS5_SF_jNS0_19identity_decomposerENS1_16block_id_wrapperIjLb1EEEEE10hipError_tT1_PNSt15iterator_traitsISK_E10value_typeET2_T3_PNSL_ISQ_E10value_typeET4_T5_PSV_SW_PNS1_23onesweep_lookback_stateEbbT6_jjT7_P12ihipStream_tbENKUlT_T0_SK_SP_E_clISE_PiSF_SF_EEDaS13_S14_SK_SP_EUlS13_E_NS1_11comp_targetILNS1_3genE9ELNS1_11target_archE1100ELNS1_3gpuE3ELNS1_3repE0EEENS1_47radix_sort_onesweep_sort_config_static_selectorELNS0_4arch9wavefront6targetE1EEEvSK_.kd
    .uniform_work_group_size: 1
    .uses_dynamic_stack: false
    .vgpr_count:     0
    .vgpr_spill_count: 0
    .wavefront_size: 64
  - .agpr_count:     0
    .args:
      - .offset:         0
        .size:           88
        .value_kind:     by_value
    .group_segment_fixed_size: 0
    .kernarg_segment_align: 8
    .kernarg_segment_size: 88
    .language:       OpenCL C
    .language_version:
      - 2
      - 0
    .max_flat_workgroup_size: 1024
    .name:           _ZN7rocprim17ROCPRIM_400000_NS6detail17trampoline_kernelINS0_14default_configENS1_35radix_sort_onesweep_config_selectorIiNS0_10empty_typeEEEZZNS1_29radix_sort_onesweep_iterationIS3_Lb0EN6thrust23THRUST_200600_302600_NS6detail15normal_iteratorINS9_10device_ptrIiEEEESE_PS5_SF_jNS0_19identity_decomposerENS1_16block_id_wrapperIjLb1EEEEE10hipError_tT1_PNSt15iterator_traitsISK_E10value_typeET2_T3_PNSL_ISQ_E10value_typeET4_T5_PSV_SW_PNS1_23onesweep_lookback_stateEbbT6_jjT7_P12ihipStream_tbENKUlT_T0_SK_SP_E_clISE_PiSF_SF_EEDaS13_S14_SK_SP_EUlS13_E_NS1_11comp_targetILNS1_3genE8ELNS1_11target_archE1030ELNS1_3gpuE2ELNS1_3repE0EEENS1_47radix_sort_onesweep_sort_config_static_selectorELNS0_4arch9wavefront6targetE1EEEvSK_
    .private_segment_fixed_size: 0
    .sgpr_count:     6
    .sgpr_spill_count: 0
    .symbol:         _ZN7rocprim17ROCPRIM_400000_NS6detail17trampoline_kernelINS0_14default_configENS1_35radix_sort_onesweep_config_selectorIiNS0_10empty_typeEEEZZNS1_29radix_sort_onesweep_iterationIS3_Lb0EN6thrust23THRUST_200600_302600_NS6detail15normal_iteratorINS9_10device_ptrIiEEEESE_PS5_SF_jNS0_19identity_decomposerENS1_16block_id_wrapperIjLb1EEEEE10hipError_tT1_PNSt15iterator_traitsISK_E10value_typeET2_T3_PNSL_ISQ_E10value_typeET4_T5_PSV_SW_PNS1_23onesweep_lookback_stateEbbT6_jjT7_P12ihipStream_tbENKUlT_T0_SK_SP_E_clISE_PiSF_SF_EEDaS13_S14_SK_SP_EUlS13_E_NS1_11comp_targetILNS1_3genE8ELNS1_11target_archE1030ELNS1_3gpuE2ELNS1_3repE0EEENS1_47radix_sort_onesweep_sort_config_static_selectorELNS0_4arch9wavefront6targetE1EEEvSK_.kd
    .uniform_work_group_size: 1
    .uses_dynamic_stack: false
    .vgpr_count:     0
    .vgpr_spill_count: 0
    .wavefront_size: 64
  - .agpr_count:     0
    .args:
      - .offset:         0
        .size:           88
        .value_kind:     by_value
    .group_segment_fixed_size: 0
    .kernarg_segment_align: 8
    .kernarg_segment_size: 88
    .language:       OpenCL C
    .language_version:
      - 2
      - 0
    .max_flat_workgroup_size: 512
    .name:           _ZN7rocprim17ROCPRIM_400000_NS6detail17trampoline_kernelINS0_14default_configENS1_35radix_sort_onesweep_config_selectorIiNS0_10empty_typeEEEZZNS1_29radix_sort_onesweep_iterationIS3_Lb0EN6thrust23THRUST_200600_302600_NS6detail15normal_iteratorINS9_10device_ptrIiEEEESE_PS5_SF_jNS0_19identity_decomposerENS1_16block_id_wrapperIjLb1EEEEE10hipError_tT1_PNSt15iterator_traitsISK_E10value_typeET2_T3_PNSL_ISQ_E10value_typeET4_T5_PSV_SW_PNS1_23onesweep_lookback_stateEbbT6_jjT7_P12ihipStream_tbENKUlT_T0_SK_SP_E_clIPiSE_SF_SF_EEDaS13_S14_SK_SP_EUlS13_E_NS1_11comp_targetILNS1_3genE0ELNS1_11target_archE4294967295ELNS1_3gpuE0ELNS1_3repE0EEENS1_47radix_sort_onesweep_sort_config_static_selectorELNS0_4arch9wavefront6targetE1EEEvSK_
    .private_segment_fixed_size: 0
    .sgpr_count:     6
    .sgpr_spill_count: 0
    .symbol:         _ZN7rocprim17ROCPRIM_400000_NS6detail17trampoline_kernelINS0_14default_configENS1_35radix_sort_onesweep_config_selectorIiNS0_10empty_typeEEEZZNS1_29radix_sort_onesweep_iterationIS3_Lb0EN6thrust23THRUST_200600_302600_NS6detail15normal_iteratorINS9_10device_ptrIiEEEESE_PS5_SF_jNS0_19identity_decomposerENS1_16block_id_wrapperIjLb1EEEEE10hipError_tT1_PNSt15iterator_traitsISK_E10value_typeET2_T3_PNSL_ISQ_E10value_typeET4_T5_PSV_SW_PNS1_23onesweep_lookback_stateEbbT6_jjT7_P12ihipStream_tbENKUlT_T0_SK_SP_E_clIPiSE_SF_SF_EEDaS13_S14_SK_SP_EUlS13_E_NS1_11comp_targetILNS1_3genE0ELNS1_11target_archE4294967295ELNS1_3gpuE0ELNS1_3repE0EEENS1_47radix_sort_onesweep_sort_config_static_selectorELNS0_4arch9wavefront6targetE1EEEvSK_.kd
    .uniform_work_group_size: 1
    .uses_dynamic_stack: false
    .vgpr_count:     0
    .vgpr_spill_count: 0
    .wavefront_size: 64
  - .agpr_count:     0
    .args:
      - .offset:         0
        .size:           88
        .value_kind:     by_value
    .group_segment_fixed_size: 0
    .kernarg_segment_align: 8
    .kernarg_segment_size: 88
    .language:       OpenCL C
    .language_version:
      - 2
      - 0
    .max_flat_workgroup_size: 1024
    .name:           _ZN7rocprim17ROCPRIM_400000_NS6detail17trampoline_kernelINS0_14default_configENS1_35radix_sort_onesweep_config_selectorIiNS0_10empty_typeEEEZZNS1_29radix_sort_onesweep_iterationIS3_Lb0EN6thrust23THRUST_200600_302600_NS6detail15normal_iteratorINS9_10device_ptrIiEEEESE_PS5_SF_jNS0_19identity_decomposerENS1_16block_id_wrapperIjLb1EEEEE10hipError_tT1_PNSt15iterator_traitsISK_E10value_typeET2_T3_PNSL_ISQ_E10value_typeET4_T5_PSV_SW_PNS1_23onesweep_lookback_stateEbbT6_jjT7_P12ihipStream_tbENKUlT_T0_SK_SP_E_clIPiSE_SF_SF_EEDaS13_S14_SK_SP_EUlS13_E_NS1_11comp_targetILNS1_3genE6ELNS1_11target_archE950ELNS1_3gpuE13ELNS1_3repE0EEENS1_47radix_sort_onesweep_sort_config_static_selectorELNS0_4arch9wavefront6targetE1EEEvSK_
    .private_segment_fixed_size: 0
    .sgpr_count:     6
    .sgpr_spill_count: 0
    .symbol:         _ZN7rocprim17ROCPRIM_400000_NS6detail17trampoline_kernelINS0_14default_configENS1_35radix_sort_onesweep_config_selectorIiNS0_10empty_typeEEEZZNS1_29radix_sort_onesweep_iterationIS3_Lb0EN6thrust23THRUST_200600_302600_NS6detail15normal_iteratorINS9_10device_ptrIiEEEESE_PS5_SF_jNS0_19identity_decomposerENS1_16block_id_wrapperIjLb1EEEEE10hipError_tT1_PNSt15iterator_traitsISK_E10value_typeET2_T3_PNSL_ISQ_E10value_typeET4_T5_PSV_SW_PNS1_23onesweep_lookback_stateEbbT6_jjT7_P12ihipStream_tbENKUlT_T0_SK_SP_E_clIPiSE_SF_SF_EEDaS13_S14_SK_SP_EUlS13_E_NS1_11comp_targetILNS1_3genE6ELNS1_11target_archE950ELNS1_3gpuE13ELNS1_3repE0EEENS1_47radix_sort_onesweep_sort_config_static_selectorELNS0_4arch9wavefront6targetE1EEEvSK_.kd
    .uniform_work_group_size: 1
    .uses_dynamic_stack: false
    .vgpr_count:     0
    .vgpr_spill_count: 0
    .wavefront_size: 64
  - .agpr_count:     0
    .args:
      - .offset:         0
        .size:           88
        .value_kind:     by_value
      - .offset:         88
        .size:           4
        .value_kind:     hidden_block_count_x
      - .offset:         92
        .size:           4
        .value_kind:     hidden_block_count_y
      - .offset:         96
        .size:           4
        .value_kind:     hidden_block_count_z
      - .offset:         100
        .size:           2
        .value_kind:     hidden_group_size_x
      - .offset:         102
        .size:           2
        .value_kind:     hidden_group_size_y
      - .offset:         104
        .size:           2
        .value_kind:     hidden_group_size_z
      - .offset:         106
        .size:           2
        .value_kind:     hidden_remainder_x
      - .offset:         108
        .size:           2
        .value_kind:     hidden_remainder_y
      - .offset:         110
        .size:           2
        .value_kind:     hidden_remainder_z
      - .offset:         128
        .size:           8
        .value_kind:     hidden_global_offset_x
      - .offset:         136
        .size:           8
        .value_kind:     hidden_global_offset_y
      - .offset:         144
        .size:           8
        .value_kind:     hidden_global_offset_z
      - .offset:         152
        .size:           2
        .value_kind:     hidden_grid_dims
    .group_segment_fixed_size: 20552
    .kernarg_segment_align: 8
    .kernarg_segment_size: 344
    .language:       OpenCL C
    .language_version:
      - 2
      - 0
    .max_flat_workgroup_size: 1024
    .name:           _ZN7rocprim17ROCPRIM_400000_NS6detail17trampoline_kernelINS0_14default_configENS1_35radix_sort_onesweep_config_selectorIiNS0_10empty_typeEEEZZNS1_29radix_sort_onesweep_iterationIS3_Lb0EN6thrust23THRUST_200600_302600_NS6detail15normal_iteratorINS9_10device_ptrIiEEEESE_PS5_SF_jNS0_19identity_decomposerENS1_16block_id_wrapperIjLb1EEEEE10hipError_tT1_PNSt15iterator_traitsISK_E10value_typeET2_T3_PNSL_ISQ_E10value_typeET4_T5_PSV_SW_PNS1_23onesweep_lookback_stateEbbT6_jjT7_P12ihipStream_tbENKUlT_T0_SK_SP_E_clIPiSE_SF_SF_EEDaS13_S14_SK_SP_EUlS13_E_NS1_11comp_targetILNS1_3genE5ELNS1_11target_archE942ELNS1_3gpuE9ELNS1_3repE0EEENS1_47radix_sort_onesweep_sort_config_static_selectorELNS0_4arch9wavefront6targetE1EEEvSK_
    .private_segment_fixed_size: 0
    .sgpr_count:     50
    .sgpr_spill_count: 0
    .symbol:         _ZN7rocprim17ROCPRIM_400000_NS6detail17trampoline_kernelINS0_14default_configENS1_35radix_sort_onesweep_config_selectorIiNS0_10empty_typeEEEZZNS1_29radix_sort_onesweep_iterationIS3_Lb0EN6thrust23THRUST_200600_302600_NS6detail15normal_iteratorINS9_10device_ptrIiEEEESE_PS5_SF_jNS0_19identity_decomposerENS1_16block_id_wrapperIjLb1EEEEE10hipError_tT1_PNSt15iterator_traitsISK_E10value_typeET2_T3_PNSL_ISQ_E10value_typeET4_T5_PSV_SW_PNS1_23onesweep_lookback_stateEbbT6_jjT7_P12ihipStream_tbENKUlT_T0_SK_SP_E_clIPiSE_SF_SF_EEDaS13_S14_SK_SP_EUlS13_E_NS1_11comp_targetILNS1_3genE5ELNS1_11target_archE942ELNS1_3gpuE9ELNS1_3repE0EEENS1_47radix_sort_onesweep_sort_config_static_selectorELNS0_4arch9wavefront6targetE1EEEvSK_.kd
    .uniform_work_group_size: 1
    .uses_dynamic_stack: false
    .vgpr_count:     46
    .vgpr_spill_count: 0
    .wavefront_size: 64
  - .agpr_count:     0
    .args:
      - .offset:         0
        .size:           88
        .value_kind:     by_value
    .group_segment_fixed_size: 0
    .kernarg_segment_align: 8
    .kernarg_segment_size: 88
    .language:       OpenCL C
    .language_version:
      - 2
      - 0
    .max_flat_workgroup_size: 1024
    .name:           _ZN7rocprim17ROCPRIM_400000_NS6detail17trampoline_kernelINS0_14default_configENS1_35radix_sort_onesweep_config_selectorIiNS0_10empty_typeEEEZZNS1_29radix_sort_onesweep_iterationIS3_Lb0EN6thrust23THRUST_200600_302600_NS6detail15normal_iteratorINS9_10device_ptrIiEEEESE_PS5_SF_jNS0_19identity_decomposerENS1_16block_id_wrapperIjLb1EEEEE10hipError_tT1_PNSt15iterator_traitsISK_E10value_typeET2_T3_PNSL_ISQ_E10value_typeET4_T5_PSV_SW_PNS1_23onesweep_lookback_stateEbbT6_jjT7_P12ihipStream_tbENKUlT_T0_SK_SP_E_clIPiSE_SF_SF_EEDaS13_S14_SK_SP_EUlS13_E_NS1_11comp_targetILNS1_3genE2ELNS1_11target_archE906ELNS1_3gpuE6ELNS1_3repE0EEENS1_47radix_sort_onesweep_sort_config_static_selectorELNS0_4arch9wavefront6targetE1EEEvSK_
    .private_segment_fixed_size: 0
    .sgpr_count:     6
    .sgpr_spill_count: 0
    .symbol:         _ZN7rocprim17ROCPRIM_400000_NS6detail17trampoline_kernelINS0_14default_configENS1_35radix_sort_onesweep_config_selectorIiNS0_10empty_typeEEEZZNS1_29radix_sort_onesweep_iterationIS3_Lb0EN6thrust23THRUST_200600_302600_NS6detail15normal_iteratorINS9_10device_ptrIiEEEESE_PS5_SF_jNS0_19identity_decomposerENS1_16block_id_wrapperIjLb1EEEEE10hipError_tT1_PNSt15iterator_traitsISK_E10value_typeET2_T3_PNSL_ISQ_E10value_typeET4_T5_PSV_SW_PNS1_23onesweep_lookback_stateEbbT6_jjT7_P12ihipStream_tbENKUlT_T0_SK_SP_E_clIPiSE_SF_SF_EEDaS13_S14_SK_SP_EUlS13_E_NS1_11comp_targetILNS1_3genE2ELNS1_11target_archE906ELNS1_3gpuE6ELNS1_3repE0EEENS1_47radix_sort_onesweep_sort_config_static_selectorELNS0_4arch9wavefront6targetE1EEEvSK_.kd
    .uniform_work_group_size: 1
    .uses_dynamic_stack: false
    .vgpr_count:     0
    .vgpr_spill_count: 0
    .wavefront_size: 64
  - .agpr_count:     0
    .args:
      - .offset:         0
        .size:           88
        .value_kind:     by_value
    .group_segment_fixed_size: 0
    .kernarg_segment_align: 8
    .kernarg_segment_size: 88
    .language:       OpenCL C
    .language_version:
      - 2
      - 0
    .max_flat_workgroup_size: 1024
    .name:           _ZN7rocprim17ROCPRIM_400000_NS6detail17trampoline_kernelINS0_14default_configENS1_35radix_sort_onesweep_config_selectorIiNS0_10empty_typeEEEZZNS1_29radix_sort_onesweep_iterationIS3_Lb0EN6thrust23THRUST_200600_302600_NS6detail15normal_iteratorINS9_10device_ptrIiEEEESE_PS5_SF_jNS0_19identity_decomposerENS1_16block_id_wrapperIjLb1EEEEE10hipError_tT1_PNSt15iterator_traitsISK_E10value_typeET2_T3_PNSL_ISQ_E10value_typeET4_T5_PSV_SW_PNS1_23onesweep_lookback_stateEbbT6_jjT7_P12ihipStream_tbENKUlT_T0_SK_SP_E_clIPiSE_SF_SF_EEDaS13_S14_SK_SP_EUlS13_E_NS1_11comp_targetILNS1_3genE4ELNS1_11target_archE910ELNS1_3gpuE8ELNS1_3repE0EEENS1_47radix_sort_onesweep_sort_config_static_selectorELNS0_4arch9wavefront6targetE1EEEvSK_
    .private_segment_fixed_size: 0
    .sgpr_count:     6
    .sgpr_spill_count: 0
    .symbol:         _ZN7rocprim17ROCPRIM_400000_NS6detail17trampoline_kernelINS0_14default_configENS1_35radix_sort_onesweep_config_selectorIiNS0_10empty_typeEEEZZNS1_29radix_sort_onesweep_iterationIS3_Lb0EN6thrust23THRUST_200600_302600_NS6detail15normal_iteratorINS9_10device_ptrIiEEEESE_PS5_SF_jNS0_19identity_decomposerENS1_16block_id_wrapperIjLb1EEEEE10hipError_tT1_PNSt15iterator_traitsISK_E10value_typeET2_T3_PNSL_ISQ_E10value_typeET4_T5_PSV_SW_PNS1_23onesweep_lookback_stateEbbT6_jjT7_P12ihipStream_tbENKUlT_T0_SK_SP_E_clIPiSE_SF_SF_EEDaS13_S14_SK_SP_EUlS13_E_NS1_11comp_targetILNS1_3genE4ELNS1_11target_archE910ELNS1_3gpuE8ELNS1_3repE0EEENS1_47radix_sort_onesweep_sort_config_static_selectorELNS0_4arch9wavefront6targetE1EEEvSK_.kd
    .uniform_work_group_size: 1
    .uses_dynamic_stack: false
    .vgpr_count:     0
    .vgpr_spill_count: 0
    .wavefront_size: 64
  - .agpr_count:     0
    .args:
      - .offset:         0
        .size:           88
        .value_kind:     by_value
    .group_segment_fixed_size: 0
    .kernarg_segment_align: 8
    .kernarg_segment_size: 88
    .language:       OpenCL C
    .language_version:
      - 2
      - 0
    .max_flat_workgroup_size: 512
    .name:           _ZN7rocprim17ROCPRIM_400000_NS6detail17trampoline_kernelINS0_14default_configENS1_35radix_sort_onesweep_config_selectorIiNS0_10empty_typeEEEZZNS1_29radix_sort_onesweep_iterationIS3_Lb0EN6thrust23THRUST_200600_302600_NS6detail15normal_iteratorINS9_10device_ptrIiEEEESE_PS5_SF_jNS0_19identity_decomposerENS1_16block_id_wrapperIjLb1EEEEE10hipError_tT1_PNSt15iterator_traitsISK_E10value_typeET2_T3_PNSL_ISQ_E10value_typeET4_T5_PSV_SW_PNS1_23onesweep_lookback_stateEbbT6_jjT7_P12ihipStream_tbENKUlT_T0_SK_SP_E_clIPiSE_SF_SF_EEDaS13_S14_SK_SP_EUlS13_E_NS1_11comp_targetILNS1_3genE3ELNS1_11target_archE908ELNS1_3gpuE7ELNS1_3repE0EEENS1_47radix_sort_onesweep_sort_config_static_selectorELNS0_4arch9wavefront6targetE1EEEvSK_
    .private_segment_fixed_size: 0
    .sgpr_count:     6
    .sgpr_spill_count: 0
    .symbol:         _ZN7rocprim17ROCPRIM_400000_NS6detail17trampoline_kernelINS0_14default_configENS1_35radix_sort_onesweep_config_selectorIiNS0_10empty_typeEEEZZNS1_29radix_sort_onesweep_iterationIS3_Lb0EN6thrust23THRUST_200600_302600_NS6detail15normal_iteratorINS9_10device_ptrIiEEEESE_PS5_SF_jNS0_19identity_decomposerENS1_16block_id_wrapperIjLb1EEEEE10hipError_tT1_PNSt15iterator_traitsISK_E10value_typeET2_T3_PNSL_ISQ_E10value_typeET4_T5_PSV_SW_PNS1_23onesweep_lookback_stateEbbT6_jjT7_P12ihipStream_tbENKUlT_T0_SK_SP_E_clIPiSE_SF_SF_EEDaS13_S14_SK_SP_EUlS13_E_NS1_11comp_targetILNS1_3genE3ELNS1_11target_archE908ELNS1_3gpuE7ELNS1_3repE0EEENS1_47radix_sort_onesweep_sort_config_static_selectorELNS0_4arch9wavefront6targetE1EEEvSK_.kd
    .uniform_work_group_size: 1
    .uses_dynamic_stack: false
    .vgpr_count:     0
    .vgpr_spill_count: 0
    .wavefront_size: 64
  - .agpr_count:     0
    .args:
      - .offset:         0
        .size:           88
        .value_kind:     by_value
    .group_segment_fixed_size: 0
    .kernarg_segment_align: 8
    .kernarg_segment_size: 88
    .language:       OpenCL C
    .language_version:
      - 2
      - 0
    .max_flat_workgroup_size: 1024
    .name:           _ZN7rocprim17ROCPRIM_400000_NS6detail17trampoline_kernelINS0_14default_configENS1_35radix_sort_onesweep_config_selectorIiNS0_10empty_typeEEEZZNS1_29radix_sort_onesweep_iterationIS3_Lb0EN6thrust23THRUST_200600_302600_NS6detail15normal_iteratorINS9_10device_ptrIiEEEESE_PS5_SF_jNS0_19identity_decomposerENS1_16block_id_wrapperIjLb1EEEEE10hipError_tT1_PNSt15iterator_traitsISK_E10value_typeET2_T3_PNSL_ISQ_E10value_typeET4_T5_PSV_SW_PNS1_23onesweep_lookback_stateEbbT6_jjT7_P12ihipStream_tbENKUlT_T0_SK_SP_E_clIPiSE_SF_SF_EEDaS13_S14_SK_SP_EUlS13_E_NS1_11comp_targetILNS1_3genE10ELNS1_11target_archE1201ELNS1_3gpuE5ELNS1_3repE0EEENS1_47radix_sort_onesweep_sort_config_static_selectorELNS0_4arch9wavefront6targetE1EEEvSK_
    .private_segment_fixed_size: 0
    .sgpr_count:     6
    .sgpr_spill_count: 0
    .symbol:         _ZN7rocprim17ROCPRIM_400000_NS6detail17trampoline_kernelINS0_14default_configENS1_35radix_sort_onesweep_config_selectorIiNS0_10empty_typeEEEZZNS1_29radix_sort_onesweep_iterationIS3_Lb0EN6thrust23THRUST_200600_302600_NS6detail15normal_iteratorINS9_10device_ptrIiEEEESE_PS5_SF_jNS0_19identity_decomposerENS1_16block_id_wrapperIjLb1EEEEE10hipError_tT1_PNSt15iterator_traitsISK_E10value_typeET2_T3_PNSL_ISQ_E10value_typeET4_T5_PSV_SW_PNS1_23onesweep_lookback_stateEbbT6_jjT7_P12ihipStream_tbENKUlT_T0_SK_SP_E_clIPiSE_SF_SF_EEDaS13_S14_SK_SP_EUlS13_E_NS1_11comp_targetILNS1_3genE10ELNS1_11target_archE1201ELNS1_3gpuE5ELNS1_3repE0EEENS1_47radix_sort_onesweep_sort_config_static_selectorELNS0_4arch9wavefront6targetE1EEEvSK_.kd
    .uniform_work_group_size: 1
    .uses_dynamic_stack: false
    .vgpr_count:     0
    .vgpr_spill_count: 0
    .wavefront_size: 64
  - .agpr_count:     0
    .args:
      - .offset:         0
        .size:           88
        .value_kind:     by_value
    .group_segment_fixed_size: 0
    .kernarg_segment_align: 8
    .kernarg_segment_size: 88
    .language:       OpenCL C
    .language_version:
      - 2
      - 0
    .max_flat_workgroup_size: 1024
    .name:           _ZN7rocprim17ROCPRIM_400000_NS6detail17trampoline_kernelINS0_14default_configENS1_35radix_sort_onesweep_config_selectorIiNS0_10empty_typeEEEZZNS1_29radix_sort_onesweep_iterationIS3_Lb0EN6thrust23THRUST_200600_302600_NS6detail15normal_iteratorINS9_10device_ptrIiEEEESE_PS5_SF_jNS0_19identity_decomposerENS1_16block_id_wrapperIjLb1EEEEE10hipError_tT1_PNSt15iterator_traitsISK_E10value_typeET2_T3_PNSL_ISQ_E10value_typeET4_T5_PSV_SW_PNS1_23onesweep_lookback_stateEbbT6_jjT7_P12ihipStream_tbENKUlT_T0_SK_SP_E_clIPiSE_SF_SF_EEDaS13_S14_SK_SP_EUlS13_E_NS1_11comp_targetILNS1_3genE9ELNS1_11target_archE1100ELNS1_3gpuE3ELNS1_3repE0EEENS1_47radix_sort_onesweep_sort_config_static_selectorELNS0_4arch9wavefront6targetE1EEEvSK_
    .private_segment_fixed_size: 0
    .sgpr_count:     6
    .sgpr_spill_count: 0
    .symbol:         _ZN7rocprim17ROCPRIM_400000_NS6detail17trampoline_kernelINS0_14default_configENS1_35radix_sort_onesweep_config_selectorIiNS0_10empty_typeEEEZZNS1_29radix_sort_onesweep_iterationIS3_Lb0EN6thrust23THRUST_200600_302600_NS6detail15normal_iteratorINS9_10device_ptrIiEEEESE_PS5_SF_jNS0_19identity_decomposerENS1_16block_id_wrapperIjLb1EEEEE10hipError_tT1_PNSt15iterator_traitsISK_E10value_typeET2_T3_PNSL_ISQ_E10value_typeET4_T5_PSV_SW_PNS1_23onesweep_lookback_stateEbbT6_jjT7_P12ihipStream_tbENKUlT_T0_SK_SP_E_clIPiSE_SF_SF_EEDaS13_S14_SK_SP_EUlS13_E_NS1_11comp_targetILNS1_3genE9ELNS1_11target_archE1100ELNS1_3gpuE3ELNS1_3repE0EEENS1_47radix_sort_onesweep_sort_config_static_selectorELNS0_4arch9wavefront6targetE1EEEvSK_.kd
    .uniform_work_group_size: 1
    .uses_dynamic_stack: false
    .vgpr_count:     0
    .vgpr_spill_count: 0
    .wavefront_size: 64
  - .agpr_count:     0
    .args:
      - .offset:         0
        .size:           88
        .value_kind:     by_value
    .group_segment_fixed_size: 0
    .kernarg_segment_align: 8
    .kernarg_segment_size: 88
    .language:       OpenCL C
    .language_version:
      - 2
      - 0
    .max_flat_workgroup_size: 1024
    .name:           _ZN7rocprim17ROCPRIM_400000_NS6detail17trampoline_kernelINS0_14default_configENS1_35radix_sort_onesweep_config_selectorIiNS0_10empty_typeEEEZZNS1_29radix_sort_onesweep_iterationIS3_Lb0EN6thrust23THRUST_200600_302600_NS6detail15normal_iteratorINS9_10device_ptrIiEEEESE_PS5_SF_jNS0_19identity_decomposerENS1_16block_id_wrapperIjLb1EEEEE10hipError_tT1_PNSt15iterator_traitsISK_E10value_typeET2_T3_PNSL_ISQ_E10value_typeET4_T5_PSV_SW_PNS1_23onesweep_lookback_stateEbbT6_jjT7_P12ihipStream_tbENKUlT_T0_SK_SP_E_clIPiSE_SF_SF_EEDaS13_S14_SK_SP_EUlS13_E_NS1_11comp_targetILNS1_3genE8ELNS1_11target_archE1030ELNS1_3gpuE2ELNS1_3repE0EEENS1_47radix_sort_onesweep_sort_config_static_selectorELNS0_4arch9wavefront6targetE1EEEvSK_
    .private_segment_fixed_size: 0
    .sgpr_count:     6
    .sgpr_spill_count: 0
    .symbol:         _ZN7rocprim17ROCPRIM_400000_NS6detail17trampoline_kernelINS0_14default_configENS1_35radix_sort_onesweep_config_selectorIiNS0_10empty_typeEEEZZNS1_29radix_sort_onesweep_iterationIS3_Lb0EN6thrust23THRUST_200600_302600_NS6detail15normal_iteratorINS9_10device_ptrIiEEEESE_PS5_SF_jNS0_19identity_decomposerENS1_16block_id_wrapperIjLb1EEEEE10hipError_tT1_PNSt15iterator_traitsISK_E10value_typeET2_T3_PNSL_ISQ_E10value_typeET4_T5_PSV_SW_PNS1_23onesweep_lookback_stateEbbT6_jjT7_P12ihipStream_tbENKUlT_T0_SK_SP_E_clIPiSE_SF_SF_EEDaS13_S14_SK_SP_EUlS13_E_NS1_11comp_targetILNS1_3genE8ELNS1_11target_archE1030ELNS1_3gpuE2ELNS1_3repE0EEENS1_47radix_sort_onesweep_sort_config_static_selectorELNS0_4arch9wavefront6targetE1EEEvSK_.kd
    .uniform_work_group_size: 1
    .uses_dynamic_stack: false
    .vgpr_count:     0
    .vgpr_spill_count: 0
    .wavefront_size: 64
  - .agpr_count:     0
    .args:
      - .offset:         0
        .size:           88
        .value_kind:     by_value
    .group_segment_fixed_size: 0
    .kernarg_segment_align: 8
    .kernarg_segment_size: 88
    .language:       OpenCL C
    .language_version:
      - 2
      - 0
    .max_flat_workgroup_size: 512
    .name:           _ZN7rocprim17ROCPRIM_400000_NS6detail17trampoline_kernelINS0_14default_configENS1_35radix_sort_onesweep_config_selectorIiNS0_10empty_typeEEEZZNS1_29radix_sort_onesweep_iterationIS3_Lb0EN6thrust23THRUST_200600_302600_NS6detail15normal_iteratorINS9_10device_ptrIiEEEESE_PS5_SF_jNS0_19identity_decomposerENS1_16block_id_wrapperIjLb0EEEEE10hipError_tT1_PNSt15iterator_traitsISK_E10value_typeET2_T3_PNSL_ISQ_E10value_typeET4_T5_PSV_SW_PNS1_23onesweep_lookback_stateEbbT6_jjT7_P12ihipStream_tbENKUlT_T0_SK_SP_E_clISE_SE_SF_SF_EEDaS13_S14_SK_SP_EUlS13_E_NS1_11comp_targetILNS1_3genE0ELNS1_11target_archE4294967295ELNS1_3gpuE0ELNS1_3repE0EEENS1_47radix_sort_onesweep_sort_config_static_selectorELNS0_4arch9wavefront6targetE1EEEvSK_
    .private_segment_fixed_size: 0
    .sgpr_count:     6
    .sgpr_spill_count: 0
    .symbol:         _ZN7rocprim17ROCPRIM_400000_NS6detail17trampoline_kernelINS0_14default_configENS1_35radix_sort_onesweep_config_selectorIiNS0_10empty_typeEEEZZNS1_29radix_sort_onesweep_iterationIS3_Lb0EN6thrust23THRUST_200600_302600_NS6detail15normal_iteratorINS9_10device_ptrIiEEEESE_PS5_SF_jNS0_19identity_decomposerENS1_16block_id_wrapperIjLb0EEEEE10hipError_tT1_PNSt15iterator_traitsISK_E10value_typeET2_T3_PNSL_ISQ_E10value_typeET4_T5_PSV_SW_PNS1_23onesweep_lookback_stateEbbT6_jjT7_P12ihipStream_tbENKUlT_T0_SK_SP_E_clISE_SE_SF_SF_EEDaS13_S14_SK_SP_EUlS13_E_NS1_11comp_targetILNS1_3genE0ELNS1_11target_archE4294967295ELNS1_3gpuE0ELNS1_3repE0EEENS1_47radix_sort_onesweep_sort_config_static_selectorELNS0_4arch9wavefront6targetE1EEEvSK_.kd
    .uniform_work_group_size: 1
    .uses_dynamic_stack: false
    .vgpr_count:     0
    .vgpr_spill_count: 0
    .wavefront_size: 64
  - .agpr_count:     0
    .args:
      - .offset:         0
        .size:           88
        .value_kind:     by_value
    .group_segment_fixed_size: 0
    .kernarg_segment_align: 8
    .kernarg_segment_size: 88
    .language:       OpenCL C
    .language_version:
      - 2
      - 0
    .max_flat_workgroup_size: 1024
    .name:           _ZN7rocprim17ROCPRIM_400000_NS6detail17trampoline_kernelINS0_14default_configENS1_35radix_sort_onesweep_config_selectorIiNS0_10empty_typeEEEZZNS1_29radix_sort_onesweep_iterationIS3_Lb0EN6thrust23THRUST_200600_302600_NS6detail15normal_iteratorINS9_10device_ptrIiEEEESE_PS5_SF_jNS0_19identity_decomposerENS1_16block_id_wrapperIjLb0EEEEE10hipError_tT1_PNSt15iterator_traitsISK_E10value_typeET2_T3_PNSL_ISQ_E10value_typeET4_T5_PSV_SW_PNS1_23onesweep_lookback_stateEbbT6_jjT7_P12ihipStream_tbENKUlT_T0_SK_SP_E_clISE_SE_SF_SF_EEDaS13_S14_SK_SP_EUlS13_E_NS1_11comp_targetILNS1_3genE6ELNS1_11target_archE950ELNS1_3gpuE13ELNS1_3repE0EEENS1_47radix_sort_onesweep_sort_config_static_selectorELNS0_4arch9wavefront6targetE1EEEvSK_
    .private_segment_fixed_size: 0
    .sgpr_count:     6
    .sgpr_spill_count: 0
    .symbol:         _ZN7rocprim17ROCPRIM_400000_NS6detail17trampoline_kernelINS0_14default_configENS1_35radix_sort_onesweep_config_selectorIiNS0_10empty_typeEEEZZNS1_29radix_sort_onesweep_iterationIS3_Lb0EN6thrust23THRUST_200600_302600_NS6detail15normal_iteratorINS9_10device_ptrIiEEEESE_PS5_SF_jNS0_19identity_decomposerENS1_16block_id_wrapperIjLb0EEEEE10hipError_tT1_PNSt15iterator_traitsISK_E10value_typeET2_T3_PNSL_ISQ_E10value_typeET4_T5_PSV_SW_PNS1_23onesweep_lookback_stateEbbT6_jjT7_P12ihipStream_tbENKUlT_T0_SK_SP_E_clISE_SE_SF_SF_EEDaS13_S14_SK_SP_EUlS13_E_NS1_11comp_targetILNS1_3genE6ELNS1_11target_archE950ELNS1_3gpuE13ELNS1_3repE0EEENS1_47radix_sort_onesweep_sort_config_static_selectorELNS0_4arch9wavefront6targetE1EEEvSK_.kd
    .uniform_work_group_size: 1
    .uses_dynamic_stack: false
    .vgpr_count:     0
    .vgpr_spill_count: 0
    .wavefront_size: 64
  - .agpr_count:     0
    .args:
      - .offset:         0
        .size:           88
        .value_kind:     by_value
      - .offset:         88
        .size:           4
        .value_kind:     hidden_block_count_x
      - .offset:         92
        .size:           4
        .value_kind:     hidden_block_count_y
      - .offset:         96
        .size:           4
        .value_kind:     hidden_block_count_z
      - .offset:         100
        .size:           2
        .value_kind:     hidden_group_size_x
      - .offset:         102
        .size:           2
        .value_kind:     hidden_group_size_y
      - .offset:         104
        .size:           2
        .value_kind:     hidden_group_size_z
      - .offset:         106
        .size:           2
        .value_kind:     hidden_remainder_x
      - .offset:         108
        .size:           2
        .value_kind:     hidden_remainder_y
      - .offset:         110
        .size:           2
        .value_kind:     hidden_remainder_z
      - .offset:         128
        .size:           8
        .value_kind:     hidden_global_offset_x
      - .offset:         136
        .size:           8
        .value_kind:     hidden_global_offset_y
      - .offset:         144
        .size:           8
        .value_kind:     hidden_global_offset_z
      - .offset:         152
        .size:           2
        .value_kind:     hidden_grid_dims
    .group_segment_fixed_size: 20552
    .kernarg_segment_align: 8
    .kernarg_segment_size: 344
    .language:       OpenCL C
    .language_version:
      - 2
      - 0
    .max_flat_workgroup_size: 1024
    .name:           _ZN7rocprim17ROCPRIM_400000_NS6detail17trampoline_kernelINS0_14default_configENS1_35radix_sort_onesweep_config_selectorIiNS0_10empty_typeEEEZZNS1_29radix_sort_onesweep_iterationIS3_Lb0EN6thrust23THRUST_200600_302600_NS6detail15normal_iteratorINS9_10device_ptrIiEEEESE_PS5_SF_jNS0_19identity_decomposerENS1_16block_id_wrapperIjLb0EEEEE10hipError_tT1_PNSt15iterator_traitsISK_E10value_typeET2_T3_PNSL_ISQ_E10value_typeET4_T5_PSV_SW_PNS1_23onesweep_lookback_stateEbbT6_jjT7_P12ihipStream_tbENKUlT_T0_SK_SP_E_clISE_SE_SF_SF_EEDaS13_S14_SK_SP_EUlS13_E_NS1_11comp_targetILNS1_3genE5ELNS1_11target_archE942ELNS1_3gpuE9ELNS1_3repE0EEENS1_47radix_sort_onesweep_sort_config_static_selectorELNS0_4arch9wavefront6targetE1EEEvSK_
    .private_segment_fixed_size: 0
    .sgpr_count:     36
    .sgpr_spill_count: 0
    .symbol:         _ZN7rocprim17ROCPRIM_400000_NS6detail17trampoline_kernelINS0_14default_configENS1_35radix_sort_onesweep_config_selectorIiNS0_10empty_typeEEEZZNS1_29radix_sort_onesweep_iterationIS3_Lb0EN6thrust23THRUST_200600_302600_NS6detail15normal_iteratorINS9_10device_ptrIiEEEESE_PS5_SF_jNS0_19identity_decomposerENS1_16block_id_wrapperIjLb0EEEEE10hipError_tT1_PNSt15iterator_traitsISK_E10value_typeET2_T3_PNSL_ISQ_E10value_typeET4_T5_PSV_SW_PNS1_23onesweep_lookback_stateEbbT6_jjT7_P12ihipStream_tbENKUlT_T0_SK_SP_E_clISE_SE_SF_SF_EEDaS13_S14_SK_SP_EUlS13_E_NS1_11comp_targetILNS1_3genE5ELNS1_11target_archE942ELNS1_3gpuE9ELNS1_3repE0EEENS1_47radix_sort_onesweep_sort_config_static_selectorELNS0_4arch9wavefront6targetE1EEEvSK_.kd
    .uniform_work_group_size: 1
    .uses_dynamic_stack: false
    .vgpr_count:     46
    .vgpr_spill_count: 0
    .wavefront_size: 64
  - .agpr_count:     0
    .args:
      - .offset:         0
        .size:           88
        .value_kind:     by_value
    .group_segment_fixed_size: 0
    .kernarg_segment_align: 8
    .kernarg_segment_size: 88
    .language:       OpenCL C
    .language_version:
      - 2
      - 0
    .max_flat_workgroup_size: 1024
    .name:           _ZN7rocprim17ROCPRIM_400000_NS6detail17trampoline_kernelINS0_14default_configENS1_35radix_sort_onesweep_config_selectorIiNS0_10empty_typeEEEZZNS1_29radix_sort_onesweep_iterationIS3_Lb0EN6thrust23THRUST_200600_302600_NS6detail15normal_iteratorINS9_10device_ptrIiEEEESE_PS5_SF_jNS0_19identity_decomposerENS1_16block_id_wrapperIjLb0EEEEE10hipError_tT1_PNSt15iterator_traitsISK_E10value_typeET2_T3_PNSL_ISQ_E10value_typeET4_T5_PSV_SW_PNS1_23onesweep_lookback_stateEbbT6_jjT7_P12ihipStream_tbENKUlT_T0_SK_SP_E_clISE_SE_SF_SF_EEDaS13_S14_SK_SP_EUlS13_E_NS1_11comp_targetILNS1_3genE2ELNS1_11target_archE906ELNS1_3gpuE6ELNS1_3repE0EEENS1_47radix_sort_onesweep_sort_config_static_selectorELNS0_4arch9wavefront6targetE1EEEvSK_
    .private_segment_fixed_size: 0
    .sgpr_count:     6
    .sgpr_spill_count: 0
    .symbol:         _ZN7rocprim17ROCPRIM_400000_NS6detail17trampoline_kernelINS0_14default_configENS1_35radix_sort_onesweep_config_selectorIiNS0_10empty_typeEEEZZNS1_29radix_sort_onesweep_iterationIS3_Lb0EN6thrust23THRUST_200600_302600_NS6detail15normal_iteratorINS9_10device_ptrIiEEEESE_PS5_SF_jNS0_19identity_decomposerENS1_16block_id_wrapperIjLb0EEEEE10hipError_tT1_PNSt15iterator_traitsISK_E10value_typeET2_T3_PNSL_ISQ_E10value_typeET4_T5_PSV_SW_PNS1_23onesweep_lookback_stateEbbT6_jjT7_P12ihipStream_tbENKUlT_T0_SK_SP_E_clISE_SE_SF_SF_EEDaS13_S14_SK_SP_EUlS13_E_NS1_11comp_targetILNS1_3genE2ELNS1_11target_archE906ELNS1_3gpuE6ELNS1_3repE0EEENS1_47radix_sort_onesweep_sort_config_static_selectorELNS0_4arch9wavefront6targetE1EEEvSK_.kd
    .uniform_work_group_size: 1
    .uses_dynamic_stack: false
    .vgpr_count:     0
    .vgpr_spill_count: 0
    .wavefront_size: 64
  - .agpr_count:     0
    .args:
      - .offset:         0
        .size:           88
        .value_kind:     by_value
    .group_segment_fixed_size: 0
    .kernarg_segment_align: 8
    .kernarg_segment_size: 88
    .language:       OpenCL C
    .language_version:
      - 2
      - 0
    .max_flat_workgroup_size: 1024
    .name:           _ZN7rocprim17ROCPRIM_400000_NS6detail17trampoline_kernelINS0_14default_configENS1_35radix_sort_onesweep_config_selectorIiNS0_10empty_typeEEEZZNS1_29radix_sort_onesweep_iterationIS3_Lb0EN6thrust23THRUST_200600_302600_NS6detail15normal_iteratorINS9_10device_ptrIiEEEESE_PS5_SF_jNS0_19identity_decomposerENS1_16block_id_wrapperIjLb0EEEEE10hipError_tT1_PNSt15iterator_traitsISK_E10value_typeET2_T3_PNSL_ISQ_E10value_typeET4_T5_PSV_SW_PNS1_23onesweep_lookback_stateEbbT6_jjT7_P12ihipStream_tbENKUlT_T0_SK_SP_E_clISE_SE_SF_SF_EEDaS13_S14_SK_SP_EUlS13_E_NS1_11comp_targetILNS1_3genE4ELNS1_11target_archE910ELNS1_3gpuE8ELNS1_3repE0EEENS1_47radix_sort_onesweep_sort_config_static_selectorELNS0_4arch9wavefront6targetE1EEEvSK_
    .private_segment_fixed_size: 0
    .sgpr_count:     6
    .sgpr_spill_count: 0
    .symbol:         _ZN7rocprim17ROCPRIM_400000_NS6detail17trampoline_kernelINS0_14default_configENS1_35radix_sort_onesweep_config_selectorIiNS0_10empty_typeEEEZZNS1_29radix_sort_onesweep_iterationIS3_Lb0EN6thrust23THRUST_200600_302600_NS6detail15normal_iteratorINS9_10device_ptrIiEEEESE_PS5_SF_jNS0_19identity_decomposerENS1_16block_id_wrapperIjLb0EEEEE10hipError_tT1_PNSt15iterator_traitsISK_E10value_typeET2_T3_PNSL_ISQ_E10value_typeET4_T5_PSV_SW_PNS1_23onesweep_lookback_stateEbbT6_jjT7_P12ihipStream_tbENKUlT_T0_SK_SP_E_clISE_SE_SF_SF_EEDaS13_S14_SK_SP_EUlS13_E_NS1_11comp_targetILNS1_3genE4ELNS1_11target_archE910ELNS1_3gpuE8ELNS1_3repE0EEENS1_47radix_sort_onesweep_sort_config_static_selectorELNS0_4arch9wavefront6targetE1EEEvSK_.kd
    .uniform_work_group_size: 1
    .uses_dynamic_stack: false
    .vgpr_count:     0
    .vgpr_spill_count: 0
    .wavefront_size: 64
  - .agpr_count:     0
    .args:
      - .offset:         0
        .size:           88
        .value_kind:     by_value
    .group_segment_fixed_size: 0
    .kernarg_segment_align: 8
    .kernarg_segment_size: 88
    .language:       OpenCL C
    .language_version:
      - 2
      - 0
    .max_flat_workgroup_size: 512
    .name:           _ZN7rocprim17ROCPRIM_400000_NS6detail17trampoline_kernelINS0_14default_configENS1_35radix_sort_onesweep_config_selectorIiNS0_10empty_typeEEEZZNS1_29radix_sort_onesweep_iterationIS3_Lb0EN6thrust23THRUST_200600_302600_NS6detail15normal_iteratorINS9_10device_ptrIiEEEESE_PS5_SF_jNS0_19identity_decomposerENS1_16block_id_wrapperIjLb0EEEEE10hipError_tT1_PNSt15iterator_traitsISK_E10value_typeET2_T3_PNSL_ISQ_E10value_typeET4_T5_PSV_SW_PNS1_23onesweep_lookback_stateEbbT6_jjT7_P12ihipStream_tbENKUlT_T0_SK_SP_E_clISE_SE_SF_SF_EEDaS13_S14_SK_SP_EUlS13_E_NS1_11comp_targetILNS1_3genE3ELNS1_11target_archE908ELNS1_3gpuE7ELNS1_3repE0EEENS1_47radix_sort_onesweep_sort_config_static_selectorELNS0_4arch9wavefront6targetE1EEEvSK_
    .private_segment_fixed_size: 0
    .sgpr_count:     6
    .sgpr_spill_count: 0
    .symbol:         _ZN7rocprim17ROCPRIM_400000_NS6detail17trampoline_kernelINS0_14default_configENS1_35radix_sort_onesweep_config_selectorIiNS0_10empty_typeEEEZZNS1_29radix_sort_onesweep_iterationIS3_Lb0EN6thrust23THRUST_200600_302600_NS6detail15normal_iteratorINS9_10device_ptrIiEEEESE_PS5_SF_jNS0_19identity_decomposerENS1_16block_id_wrapperIjLb0EEEEE10hipError_tT1_PNSt15iterator_traitsISK_E10value_typeET2_T3_PNSL_ISQ_E10value_typeET4_T5_PSV_SW_PNS1_23onesweep_lookback_stateEbbT6_jjT7_P12ihipStream_tbENKUlT_T0_SK_SP_E_clISE_SE_SF_SF_EEDaS13_S14_SK_SP_EUlS13_E_NS1_11comp_targetILNS1_3genE3ELNS1_11target_archE908ELNS1_3gpuE7ELNS1_3repE0EEENS1_47radix_sort_onesweep_sort_config_static_selectorELNS0_4arch9wavefront6targetE1EEEvSK_.kd
    .uniform_work_group_size: 1
    .uses_dynamic_stack: false
    .vgpr_count:     0
    .vgpr_spill_count: 0
    .wavefront_size: 64
  - .agpr_count:     0
    .args:
      - .offset:         0
        .size:           88
        .value_kind:     by_value
    .group_segment_fixed_size: 0
    .kernarg_segment_align: 8
    .kernarg_segment_size: 88
    .language:       OpenCL C
    .language_version:
      - 2
      - 0
    .max_flat_workgroup_size: 1024
    .name:           _ZN7rocprim17ROCPRIM_400000_NS6detail17trampoline_kernelINS0_14default_configENS1_35radix_sort_onesweep_config_selectorIiNS0_10empty_typeEEEZZNS1_29radix_sort_onesweep_iterationIS3_Lb0EN6thrust23THRUST_200600_302600_NS6detail15normal_iteratorINS9_10device_ptrIiEEEESE_PS5_SF_jNS0_19identity_decomposerENS1_16block_id_wrapperIjLb0EEEEE10hipError_tT1_PNSt15iterator_traitsISK_E10value_typeET2_T3_PNSL_ISQ_E10value_typeET4_T5_PSV_SW_PNS1_23onesweep_lookback_stateEbbT6_jjT7_P12ihipStream_tbENKUlT_T0_SK_SP_E_clISE_SE_SF_SF_EEDaS13_S14_SK_SP_EUlS13_E_NS1_11comp_targetILNS1_3genE10ELNS1_11target_archE1201ELNS1_3gpuE5ELNS1_3repE0EEENS1_47radix_sort_onesweep_sort_config_static_selectorELNS0_4arch9wavefront6targetE1EEEvSK_
    .private_segment_fixed_size: 0
    .sgpr_count:     6
    .sgpr_spill_count: 0
    .symbol:         _ZN7rocprim17ROCPRIM_400000_NS6detail17trampoline_kernelINS0_14default_configENS1_35radix_sort_onesweep_config_selectorIiNS0_10empty_typeEEEZZNS1_29radix_sort_onesweep_iterationIS3_Lb0EN6thrust23THRUST_200600_302600_NS6detail15normal_iteratorINS9_10device_ptrIiEEEESE_PS5_SF_jNS0_19identity_decomposerENS1_16block_id_wrapperIjLb0EEEEE10hipError_tT1_PNSt15iterator_traitsISK_E10value_typeET2_T3_PNSL_ISQ_E10value_typeET4_T5_PSV_SW_PNS1_23onesweep_lookback_stateEbbT6_jjT7_P12ihipStream_tbENKUlT_T0_SK_SP_E_clISE_SE_SF_SF_EEDaS13_S14_SK_SP_EUlS13_E_NS1_11comp_targetILNS1_3genE10ELNS1_11target_archE1201ELNS1_3gpuE5ELNS1_3repE0EEENS1_47radix_sort_onesweep_sort_config_static_selectorELNS0_4arch9wavefront6targetE1EEEvSK_.kd
    .uniform_work_group_size: 1
    .uses_dynamic_stack: false
    .vgpr_count:     0
    .vgpr_spill_count: 0
    .wavefront_size: 64
  - .agpr_count:     0
    .args:
      - .offset:         0
        .size:           88
        .value_kind:     by_value
    .group_segment_fixed_size: 0
    .kernarg_segment_align: 8
    .kernarg_segment_size: 88
    .language:       OpenCL C
    .language_version:
      - 2
      - 0
    .max_flat_workgroup_size: 1024
    .name:           _ZN7rocprim17ROCPRIM_400000_NS6detail17trampoline_kernelINS0_14default_configENS1_35radix_sort_onesweep_config_selectorIiNS0_10empty_typeEEEZZNS1_29radix_sort_onesweep_iterationIS3_Lb0EN6thrust23THRUST_200600_302600_NS6detail15normal_iteratorINS9_10device_ptrIiEEEESE_PS5_SF_jNS0_19identity_decomposerENS1_16block_id_wrapperIjLb0EEEEE10hipError_tT1_PNSt15iterator_traitsISK_E10value_typeET2_T3_PNSL_ISQ_E10value_typeET4_T5_PSV_SW_PNS1_23onesweep_lookback_stateEbbT6_jjT7_P12ihipStream_tbENKUlT_T0_SK_SP_E_clISE_SE_SF_SF_EEDaS13_S14_SK_SP_EUlS13_E_NS1_11comp_targetILNS1_3genE9ELNS1_11target_archE1100ELNS1_3gpuE3ELNS1_3repE0EEENS1_47radix_sort_onesweep_sort_config_static_selectorELNS0_4arch9wavefront6targetE1EEEvSK_
    .private_segment_fixed_size: 0
    .sgpr_count:     6
    .sgpr_spill_count: 0
    .symbol:         _ZN7rocprim17ROCPRIM_400000_NS6detail17trampoline_kernelINS0_14default_configENS1_35radix_sort_onesweep_config_selectorIiNS0_10empty_typeEEEZZNS1_29radix_sort_onesweep_iterationIS3_Lb0EN6thrust23THRUST_200600_302600_NS6detail15normal_iteratorINS9_10device_ptrIiEEEESE_PS5_SF_jNS0_19identity_decomposerENS1_16block_id_wrapperIjLb0EEEEE10hipError_tT1_PNSt15iterator_traitsISK_E10value_typeET2_T3_PNSL_ISQ_E10value_typeET4_T5_PSV_SW_PNS1_23onesweep_lookback_stateEbbT6_jjT7_P12ihipStream_tbENKUlT_T0_SK_SP_E_clISE_SE_SF_SF_EEDaS13_S14_SK_SP_EUlS13_E_NS1_11comp_targetILNS1_3genE9ELNS1_11target_archE1100ELNS1_3gpuE3ELNS1_3repE0EEENS1_47radix_sort_onesweep_sort_config_static_selectorELNS0_4arch9wavefront6targetE1EEEvSK_.kd
    .uniform_work_group_size: 1
    .uses_dynamic_stack: false
    .vgpr_count:     0
    .vgpr_spill_count: 0
    .wavefront_size: 64
  - .agpr_count:     0
    .args:
      - .offset:         0
        .size:           88
        .value_kind:     by_value
    .group_segment_fixed_size: 0
    .kernarg_segment_align: 8
    .kernarg_segment_size: 88
    .language:       OpenCL C
    .language_version:
      - 2
      - 0
    .max_flat_workgroup_size: 1024
    .name:           _ZN7rocprim17ROCPRIM_400000_NS6detail17trampoline_kernelINS0_14default_configENS1_35radix_sort_onesweep_config_selectorIiNS0_10empty_typeEEEZZNS1_29radix_sort_onesweep_iterationIS3_Lb0EN6thrust23THRUST_200600_302600_NS6detail15normal_iteratorINS9_10device_ptrIiEEEESE_PS5_SF_jNS0_19identity_decomposerENS1_16block_id_wrapperIjLb0EEEEE10hipError_tT1_PNSt15iterator_traitsISK_E10value_typeET2_T3_PNSL_ISQ_E10value_typeET4_T5_PSV_SW_PNS1_23onesweep_lookback_stateEbbT6_jjT7_P12ihipStream_tbENKUlT_T0_SK_SP_E_clISE_SE_SF_SF_EEDaS13_S14_SK_SP_EUlS13_E_NS1_11comp_targetILNS1_3genE8ELNS1_11target_archE1030ELNS1_3gpuE2ELNS1_3repE0EEENS1_47radix_sort_onesweep_sort_config_static_selectorELNS0_4arch9wavefront6targetE1EEEvSK_
    .private_segment_fixed_size: 0
    .sgpr_count:     6
    .sgpr_spill_count: 0
    .symbol:         _ZN7rocprim17ROCPRIM_400000_NS6detail17trampoline_kernelINS0_14default_configENS1_35radix_sort_onesweep_config_selectorIiNS0_10empty_typeEEEZZNS1_29radix_sort_onesweep_iterationIS3_Lb0EN6thrust23THRUST_200600_302600_NS6detail15normal_iteratorINS9_10device_ptrIiEEEESE_PS5_SF_jNS0_19identity_decomposerENS1_16block_id_wrapperIjLb0EEEEE10hipError_tT1_PNSt15iterator_traitsISK_E10value_typeET2_T3_PNSL_ISQ_E10value_typeET4_T5_PSV_SW_PNS1_23onesweep_lookback_stateEbbT6_jjT7_P12ihipStream_tbENKUlT_T0_SK_SP_E_clISE_SE_SF_SF_EEDaS13_S14_SK_SP_EUlS13_E_NS1_11comp_targetILNS1_3genE8ELNS1_11target_archE1030ELNS1_3gpuE2ELNS1_3repE0EEENS1_47radix_sort_onesweep_sort_config_static_selectorELNS0_4arch9wavefront6targetE1EEEvSK_.kd
    .uniform_work_group_size: 1
    .uses_dynamic_stack: false
    .vgpr_count:     0
    .vgpr_spill_count: 0
    .wavefront_size: 64
  - .agpr_count:     0
    .args:
      - .offset:         0
        .size:           88
        .value_kind:     by_value
    .group_segment_fixed_size: 0
    .kernarg_segment_align: 8
    .kernarg_segment_size: 88
    .language:       OpenCL C
    .language_version:
      - 2
      - 0
    .max_flat_workgroup_size: 512
    .name:           _ZN7rocprim17ROCPRIM_400000_NS6detail17trampoline_kernelINS0_14default_configENS1_35radix_sort_onesweep_config_selectorIiNS0_10empty_typeEEEZZNS1_29radix_sort_onesweep_iterationIS3_Lb0EN6thrust23THRUST_200600_302600_NS6detail15normal_iteratorINS9_10device_ptrIiEEEESE_PS5_SF_jNS0_19identity_decomposerENS1_16block_id_wrapperIjLb0EEEEE10hipError_tT1_PNSt15iterator_traitsISK_E10value_typeET2_T3_PNSL_ISQ_E10value_typeET4_T5_PSV_SW_PNS1_23onesweep_lookback_stateEbbT6_jjT7_P12ihipStream_tbENKUlT_T0_SK_SP_E_clISE_PiSF_SF_EEDaS13_S14_SK_SP_EUlS13_E_NS1_11comp_targetILNS1_3genE0ELNS1_11target_archE4294967295ELNS1_3gpuE0ELNS1_3repE0EEENS1_47radix_sort_onesweep_sort_config_static_selectorELNS0_4arch9wavefront6targetE1EEEvSK_
    .private_segment_fixed_size: 0
    .sgpr_count:     6
    .sgpr_spill_count: 0
    .symbol:         _ZN7rocprim17ROCPRIM_400000_NS6detail17trampoline_kernelINS0_14default_configENS1_35radix_sort_onesweep_config_selectorIiNS0_10empty_typeEEEZZNS1_29radix_sort_onesweep_iterationIS3_Lb0EN6thrust23THRUST_200600_302600_NS6detail15normal_iteratorINS9_10device_ptrIiEEEESE_PS5_SF_jNS0_19identity_decomposerENS1_16block_id_wrapperIjLb0EEEEE10hipError_tT1_PNSt15iterator_traitsISK_E10value_typeET2_T3_PNSL_ISQ_E10value_typeET4_T5_PSV_SW_PNS1_23onesweep_lookback_stateEbbT6_jjT7_P12ihipStream_tbENKUlT_T0_SK_SP_E_clISE_PiSF_SF_EEDaS13_S14_SK_SP_EUlS13_E_NS1_11comp_targetILNS1_3genE0ELNS1_11target_archE4294967295ELNS1_3gpuE0ELNS1_3repE0EEENS1_47radix_sort_onesweep_sort_config_static_selectorELNS0_4arch9wavefront6targetE1EEEvSK_.kd
    .uniform_work_group_size: 1
    .uses_dynamic_stack: false
    .vgpr_count:     0
    .vgpr_spill_count: 0
    .wavefront_size: 64
  - .agpr_count:     0
    .args:
      - .offset:         0
        .size:           88
        .value_kind:     by_value
    .group_segment_fixed_size: 0
    .kernarg_segment_align: 8
    .kernarg_segment_size: 88
    .language:       OpenCL C
    .language_version:
      - 2
      - 0
    .max_flat_workgroup_size: 1024
    .name:           _ZN7rocprim17ROCPRIM_400000_NS6detail17trampoline_kernelINS0_14default_configENS1_35radix_sort_onesweep_config_selectorIiNS0_10empty_typeEEEZZNS1_29radix_sort_onesweep_iterationIS3_Lb0EN6thrust23THRUST_200600_302600_NS6detail15normal_iteratorINS9_10device_ptrIiEEEESE_PS5_SF_jNS0_19identity_decomposerENS1_16block_id_wrapperIjLb0EEEEE10hipError_tT1_PNSt15iterator_traitsISK_E10value_typeET2_T3_PNSL_ISQ_E10value_typeET4_T5_PSV_SW_PNS1_23onesweep_lookback_stateEbbT6_jjT7_P12ihipStream_tbENKUlT_T0_SK_SP_E_clISE_PiSF_SF_EEDaS13_S14_SK_SP_EUlS13_E_NS1_11comp_targetILNS1_3genE6ELNS1_11target_archE950ELNS1_3gpuE13ELNS1_3repE0EEENS1_47radix_sort_onesweep_sort_config_static_selectorELNS0_4arch9wavefront6targetE1EEEvSK_
    .private_segment_fixed_size: 0
    .sgpr_count:     6
    .sgpr_spill_count: 0
    .symbol:         _ZN7rocprim17ROCPRIM_400000_NS6detail17trampoline_kernelINS0_14default_configENS1_35radix_sort_onesweep_config_selectorIiNS0_10empty_typeEEEZZNS1_29radix_sort_onesweep_iterationIS3_Lb0EN6thrust23THRUST_200600_302600_NS6detail15normal_iteratorINS9_10device_ptrIiEEEESE_PS5_SF_jNS0_19identity_decomposerENS1_16block_id_wrapperIjLb0EEEEE10hipError_tT1_PNSt15iterator_traitsISK_E10value_typeET2_T3_PNSL_ISQ_E10value_typeET4_T5_PSV_SW_PNS1_23onesweep_lookback_stateEbbT6_jjT7_P12ihipStream_tbENKUlT_T0_SK_SP_E_clISE_PiSF_SF_EEDaS13_S14_SK_SP_EUlS13_E_NS1_11comp_targetILNS1_3genE6ELNS1_11target_archE950ELNS1_3gpuE13ELNS1_3repE0EEENS1_47radix_sort_onesweep_sort_config_static_selectorELNS0_4arch9wavefront6targetE1EEEvSK_.kd
    .uniform_work_group_size: 1
    .uses_dynamic_stack: false
    .vgpr_count:     0
    .vgpr_spill_count: 0
    .wavefront_size: 64
  - .agpr_count:     0
    .args:
      - .offset:         0
        .size:           88
        .value_kind:     by_value
      - .offset:         88
        .size:           4
        .value_kind:     hidden_block_count_x
      - .offset:         92
        .size:           4
        .value_kind:     hidden_block_count_y
      - .offset:         96
        .size:           4
        .value_kind:     hidden_block_count_z
      - .offset:         100
        .size:           2
        .value_kind:     hidden_group_size_x
      - .offset:         102
        .size:           2
        .value_kind:     hidden_group_size_y
      - .offset:         104
        .size:           2
        .value_kind:     hidden_group_size_z
      - .offset:         106
        .size:           2
        .value_kind:     hidden_remainder_x
      - .offset:         108
        .size:           2
        .value_kind:     hidden_remainder_y
      - .offset:         110
        .size:           2
        .value_kind:     hidden_remainder_z
      - .offset:         128
        .size:           8
        .value_kind:     hidden_global_offset_x
      - .offset:         136
        .size:           8
        .value_kind:     hidden_global_offset_y
      - .offset:         144
        .size:           8
        .value_kind:     hidden_global_offset_z
      - .offset:         152
        .size:           2
        .value_kind:     hidden_grid_dims
    .group_segment_fixed_size: 20552
    .kernarg_segment_align: 8
    .kernarg_segment_size: 344
    .language:       OpenCL C
    .language_version:
      - 2
      - 0
    .max_flat_workgroup_size: 1024
    .name:           _ZN7rocprim17ROCPRIM_400000_NS6detail17trampoline_kernelINS0_14default_configENS1_35radix_sort_onesweep_config_selectorIiNS0_10empty_typeEEEZZNS1_29radix_sort_onesweep_iterationIS3_Lb0EN6thrust23THRUST_200600_302600_NS6detail15normal_iteratorINS9_10device_ptrIiEEEESE_PS5_SF_jNS0_19identity_decomposerENS1_16block_id_wrapperIjLb0EEEEE10hipError_tT1_PNSt15iterator_traitsISK_E10value_typeET2_T3_PNSL_ISQ_E10value_typeET4_T5_PSV_SW_PNS1_23onesweep_lookback_stateEbbT6_jjT7_P12ihipStream_tbENKUlT_T0_SK_SP_E_clISE_PiSF_SF_EEDaS13_S14_SK_SP_EUlS13_E_NS1_11comp_targetILNS1_3genE5ELNS1_11target_archE942ELNS1_3gpuE9ELNS1_3repE0EEENS1_47radix_sort_onesweep_sort_config_static_selectorELNS0_4arch9wavefront6targetE1EEEvSK_
    .private_segment_fixed_size: 0
    .sgpr_count:     36
    .sgpr_spill_count: 0
    .symbol:         _ZN7rocprim17ROCPRIM_400000_NS6detail17trampoline_kernelINS0_14default_configENS1_35radix_sort_onesweep_config_selectorIiNS0_10empty_typeEEEZZNS1_29radix_sort_onesweep_iterationIS3_Lb0EN6thrust23THRUST_200600_302600_NS6detail15normal_iteratorINS9_10device_ptrIiEEEESE_PS5_SF_jNS0_19identity_decomposerENS1_16block_id_wrapperIjLb0EEEEE10hipError_tT1_PNSt15iterator_traitsISK_E10value_typeET2_T3_PNSL_ISQ_E10value_typeET4_T5_PSV_SW_PNS1_23onesweep_lookback_stateEbbT6_jjT7_P12ihipStream_tbENKUlT_T0_SK_SP_E_clISE_PiSF_SF_EEDaS13_S14_SK_SP_EUlS13_E_NS1_11comp_targetILNS1_3genE5ELNS1_11target_archE942ELNS1_3gpuE9ELNS1_3repE0EEENS1_47radix_sort_onesweep_sort_config_static_selectorELNS0_4arch9wavefront6targetE1EEEvSK_.kd
    .uniform_work_group_size: 1
    .uses_dynamic_stack: false
    .vgpr_count:     46
    .vgpr_spill_count: 0
    .wavefront_size: 64
  - .agpr_count:     0
    .args:
      - .offset:         0
        .size:           88
        .value_kind:     by_value
    .group_segment_fixed_size: 0
    .kernarg_segment_align: 8
    .kernarg_segment_size: 88
    .language:       OpenCL C
    .language_version:
      - 2
      - 0
    .max_flat_workgroup_size: 1024
    .name:           _ZN7rocprim17ROCPRIM_400000_NS6detail17trampoline_kernelINS0_14default_configENS1_35radix_sort_onesweep_config_selectorIiNS0_10empty_typeEEEZZNS1_29radix_sort_onesweep_iterationIS3_Lb0EN6thrust23THRUST_200600_302600_NS6detail15normal_iteratorINS9_10device_ptrIiEEEESE_PS5_SF_jNS0_19identity_decomposerENS1_16block_id_wrapperIjLb0EEEEE10hipError_tT1_PNSt15iterator_traitsISK_E10value_typeET2_T3_PNSL_ISQ_E10value_typeET4_T5_PSV_SW_PNS1_23onesweep_lookback_stateEbbT6_jjT7_P12ihipStream_tbENKUlT_T0_SK_SP_E_clISE_PiSF_SF_EEDaS13_S14_SK_SP_EUlS13_E_NS1_11comp_targetILNS1_3genE2ELNS1_11target_archE906ELNS1_3gpuE6ELNS1_3repE0EEENS1_47radix_sort_onesweep_sort_config_static_selectorELNS0_4arch9wavefront6targetE1EEEvSK_
    .private_segment_fixed_size: 0
    .sgpr_count:     6
    .sgpr_spill_count: 0
    .symbol:         _ZN7rocprim17ROCPRIM_400000_NS6detail17trampoline_kernelINS0_14default_configENS1_35radix_sort_onesweep_config_selectorIiNS0_10empty_typeEEEZZNS1_29radix_sort_onesweep_iterationIS3_Lb0EN6thrust23THRUST_200600_302600_NS6detail15normal_iteratorINS9_10device_ptrIiEEEESE_PS5_SF_jNS0_19identity_decomposerENS1_16block_id_wrapperIjLb0EEEEE10hipError_tT1_PNSt15iterator_traitsISK_E10value_typeET2_T3_PNSL_ISQ_E10value_typeET4_T5_PSV_SW_PNS1_23onesweep_lookback_stateEbbT6_jjT7_P12ihipStream_tbENKUlT_T0_SK_SP_E_clISE_PiSF_SF_EEDaS13_S14_SK_SP_EUlS13_E_NS1_11comp_targetILNS1_3genE2ELNS1_11target_archE906ELNS1_3gpuE6ELNS1_3repE0EEENS1_47radix_sort_onesweep_sort_config_static_selectorELNS0_4arch9wavefront6targetE1EEEvSK_.kd
    .uniform_work_group_size: 1
    .uses_dynamic_stack: false
    .vgpr_count:     0
    .vgpr_spill_count: 0
    .wavefront_size: 64
  - .agpr_count:     0
    .args:
      - .offset:         0
        .size:           88
        .value_kind:     by_value
    .group_segment_fixed_size: 0
    .kernarg_segment_align: 8
    .kernarg_segment_size: 88
    .language:       OpenCL C
    .language_version:
      - 2
      - 0
    .max_flat_workgroup_size: 1024
    .name:           _ZN7rocprim17ROCPRIM_400000_NS6detail17trampoline_kernelINS0_14default_configENS1_35radix_sort_onesweep_config_selectorIiNS0_10empty_typeEEEZZNS1_29radix_sort_onesweep_iterationIS3_Lb0EN6thrust23THRUST_200600_302600_NS6detail15normal_iteratorINS9_10device_ptrIiEEEESE_PS5_SF_jNS0_19identity_decomposerENS1_16block_id_wrapperIjLb0EEEEE10hipError_tT1_PNSt15iterator_traitsISK_E10value_typeET2_T3_PNSL_ISQ_E10value_typeET4_T5_PSV_SW_PNS1_23onesweep_lookback_stateEbbT6_jjT7_P12ihipStream_tbENKUlT_T0_SK_SP_E_clISE_PiSF_SF_EEDaS13_S14_SK_SP_EUlS13_E_NS1_11comp_targetILNS1_3genE4ELNS1_11target_archE910ELNS1_3gpuE8ELNS1_3repE0EEENS1_47radix_sort_onesweep_sort_config_static_selectorELNS0_4arch9wavefront6targetE1EEEvSK_
    .private_segment_fixed_size: 0
    .sgpr_count:     6
    .sgpr_spill_count: 0
    .symbol:         _ZN7rocprim17ROCPRIM_400000_NS6detail17trampoline_kernelINS0_14default_configENS1_35radix_sort_onesweep_config_selectorIiNS0_10empty_typeEEEZZNS1_29radix_sort_onesweep_iterationIS3_Lb0EN6thrust23THRUST_200600_302600_NS6detail15normal_iteratorINS9_10device_ptrIiEEEESE_PS5_SF_jNS0_19identity_decomposerENS1_16block_id_wrapperIjLb0EEEEE10hipError_tT1_PNSt15iterator_traitsISK_E10value_typeET2_T3_PNSL_ISQ_E10value_typeET4_T5_PSV_SW_PNS1_23onesweep_lookback_stateEbbT6_jjT7_P12ihipStream_tbENKUlT_T0_SK_SP_E_clISE_PiSF_SF_EEDaS13_S14_SK_SP_EUlS13_E_NS1_11comp_targetILNS1_3genE4ELNS1_11target_archE910ELNS1_3gpuE8ELNS1_3repE0EEENS1_47radix_sort_onesweep_sort_config_static_selectorELNS0_4arch9wavefront6targetE1EEEvSK_.kd
    .uniform_work_group_size: 1
    .uses_dynamic_stack: false
    .vgpr_count:     0
    .vgpr_spill_count: 0
    .wavefront_size: 64
  - .agpr_count:     0
    .args:
      - .offset:         0
        .size:           88
        .value_kind:     by_value
    .group_segment_fixed_size: 0
    .kernarg_segment_align: 8
    .kernarg_segment_size: 88
    .language:       OpenCL C
    .language_version:
      - 2
      - 0
    .max_flat_workgroup_size: 512
    .name:           _ZN7rocprim17ROCPRIM_400000_NS6detail17trampoline_kernelINS0_14default_configENS1_35radix_sort_onesweep_config_selectorIiNS0_10empty_typeEEEZZNS1_29radix_sort_onesweep_iterationIS3_Lb0EN6thrust23THRUST_200600_302600_NS6detail15normal_iteratorINS9_10device_ptrIiEEEESE_PS5_SF_jNS0_19identity_decomposerENS1_16block_id_wrapperIjLb0EEEEE10hipError_tT1_PNSt15iterator_traitsISK_E10value_typeET2_T3_PNSL_ISQ_E10value_typeET4_T5_PSV_SW_PNS1_23onesweep_lookback_stateEbbT6_jjT7_P12ihipStream_tbENKUlT_T0_SK_SP_E_clISE_PiSF_SF_EEDaS13_S14_SK_SP_EUlS13_E_NS1_11comp_targetILNS1_3genE3ELNS1_11target_archE908ELNS1_3gpuE7ELNS1_3repE0EEENS1_47radix_sort_onesweep_sort_config_static_selectorELNS0_4arch9wavefront6targetE1EEEvSK_
    .private_segment_fixed_size: 0
    .sgpr_count:     6
    .sgpr_spill_count: 0
    .symbol:         _ZN7rocprim17ROCPRIM_400000_NS6detail17trampoline_kernelINS0_14default_configENS1_35radix_sort_onesweep_config_selectorIiNS0_10empty_typeEEEZZNS1_29radix_sort_onesweep_iterationIS3_Lb0EN6thrust23THRUST_200600_302600_NS6detail15normal_iteratorINS9_10device_ptrIiEEEESE_PS5_SF_jNS0_19identity_decomposerENS1_16block_id_wrapperIjLb0EEEEE10hipError_tT1_PNSt15iterator_traitsISK_E10value_typeET2_T3_PNSL_ISQ_E10value_typeET4_T5_PSV_SW_PNS1_23onesweep_lookback_stateEbbT6_jjT7_P12ihipStream_tbENKUlT_T0_SK_SP_E_clISE_PiSF_SF_EEDaS13_S14_SK_SP_EUlS13_E_NS1_11comp_targetILNS1_3genE3ELNS1_11target_archE908ELNS1_3gpuE7ELNS1_3repE0EEENS1_47radix_sort_onesweep_sort_config_static_selectorELNS0_4arch9wavefront6targetE1EEEvSK_.kd
    .uniform_work_group_size: 1
    .uses_dynamic_stack: false
    .vgpr_count:     0
    .vgpr_spill_count: 0
    .wavefront_size: 64
  - .agpr_count:     0
    .args:
      - .offset:         0
        .size:           88
        .value_kind:     by_value
    .group_segment_fixed_size: 0
    .kernarg_segment_align: 8
    .kernarg_segment_size: 88
    .language:       OpenCL C
    .language_version:
      - 2
      - 0
    .max_flat_workgroup_size: 1024
    .name:           _ZN7rocprim17ROCPRIM_400000_NS6detail17trampoline_kernelINS0_14default_configENS1_35radix_sort_onesweep_config_selectorIiNS0_10empty_typeEEEZZNS1_29radix_sort_onesweep_iterationIS3_Lb0EN6thrust23THRUST_200600_302600_NS6detail15normal_iteratorINS9_10device_ptrIiEEEESE_PS5_SF_jNS0_19identity_decomposerENS1_16block_id_wrapperIjLb0EEEEE10hipError_tT1_PNSt15iterator_traitsISK_E10value_typeET2_T3_PNSL_ISQ_E10value_typeET4_T5_PSV_SW_PNS1_23onesweep_lookback_stateEbbT6_jjT7_P12ihipStream_tbENKUlT_T0_SK_SP_E_clISE_PiSF_SF_EEDaS13_S14_SK_SP_EUlS13_E_NS1_11comp_targetILNS1_3genE10ELNS1_11target_archE1201ELNS1_3gpuE5ELNS1_3repE0EEENS1_47radix_sort_onesweep_sort_config_static_selectorELNS0_4arch9wavefront6targetE1EEEvSK_
    .private_segment_fixed_size: 0
    .sgpr_count:     6
    .sgpr_spill_count: 0
    .symbol:         _ZN7rocprim17ROCPRIM_400000_NS6detail17trampoline_kernelINS0_14default_configENS1_35radix_sort_onesweep_config_selectorIiNS0_10empty_typeEEEZZNS1_29radix_sort_onesweep_iterationIS3_Lb0EN6thrust23THRUST_200600_302600_NS6detail15normal_iteratorINS9_10device_ptrIiEEEESE_PS5_SF_jNS0_19identity_decomposerENS1_16block_id_wrapperIjLb0EEEEE10hipError_tT1_PNSt15iterator_traitsISK_E10value_typeET2_T3_PNSL_ISQ_E10value_typeET4_T5_PSV_SW_PNS1_23onesweep_lookback_stateEbbT6_jjT7_P12ihipStream_tbENKUlT_T0_SK_SP_E_clISE_PiSF_SF_EEDaS13_S14_SK_SP_EUlS13_E_NS1_11comp_targetILNS1_3genE10ELNS1_11target_archE1201ELNS1_3gpuE5ELNS1_3repE0EEENS1_47radix_sort_onesweep_sort_config_static_selectorELNS0_4arch9wavefront6targetE1EEEvSK_.kd
    .uniform_work_group_size: 1
    .uses_dynamic_stack: false
    .vgpr_count:     0
    .vgpr_spill_count: 0
    .wavefront_size: 64
  - .agpr_count:     0
    .args:
      - .offset:         0
        .size:           88
        .value_kind:     by_value
    .group_segment_fixed_size: 0
    .kernarg_segment_align: 8
    .kernarg_segment_size: 88
    .language:       OpenCL C
    .language_version:
      - 2
      - 0
    .max_flat_workgroup_size: 1024
    .name:           _ZN7rocprim17ROCPRIM_400000_NS6detail17trampoline_kernelINS0_14default_configENS1_35radix_sort_onesweep_config_selectorIiNS0_10empty_typeEEEZZNS1_29radix_sort_onesweep_iterationIS3_Lb0EN6thrust23THRUST_200600_302600_NS6detail15normal_iteratorINS9_10device_ptrIiEEEESE_PS5_SF_jNS0_19identity_decomposerENS1_16block_id_wrapperIjLb0EEEEE10hipError_tT1_PNSt15iterator_traitsISK_E10value_typeET2_T3_PNSL_ISQ_E10value_typeET4_T5_PSV_SW_PNS1_23onesweep_lookback_stateEbbT6_jjT7_P12ihipStream_tbENKUlT_T0_SK_SP_E_clISE_PiSF_SF_EEDaS13_S14_SK_SP_EUlS13_E_NS1_11comp_targetILNS1_3genE9ELNS1_11target_archE1100ELNS1_3gpuE3ELNS1_3repE0EEENS1_47radix_sort_onesweep_sort_config_static_selectorELNS0_4arch9wavefront6targetE1EEEvSK_
    .private_segment_fixed_size: 0
    .sgpr_count:     6
    .sgpr_spill_count: 0
    .symbol:         _ZN7rocprim17ROCPRIM_400000_NS6detail17trampoline_kernelINS0_14default_configENS1_35radix_sort_onesweep_config_selectorIiNS0_10empty_typeEEEZZNS1_29radix_sort_onesweep_iterationIS3_Lb0EN6thrust23THRUST_200600_302600_NS6detail15normal_iteratorINS9_10device_ptrIiEEEESE_PS5_SF_jNS0_19identity_decomposerENS1_16block_id_wrapperIjLb0EEEEE10hipError_tT1_PNSt15iterator_traitsISK_E10value_typeET2_T3_PNSL_ISQ_E10value_typeET4_T5_PSV_SW_PNS1_23onesweep_lookback_stateEbbT6_jjT7_P12ihipStream_tbENKUlT_T0_SK_SP_E_clISE_PiSF_SF_EEDaS13_S14_SK_SP_EUlS13_E_NS1_11comp_targetILNS1_3genE9ELNS1_11target_archE1100ELNS1_3gpuE3ELNS1_3repE0EEENS1_47radix_sort_onesweep_sort_config_static_selectorELNS0_4arch9wavefront6targetE1EEEvSK_.kd
    .uniform_work_group_size: 1
    .uses_dynamic_stack: false
    .vgpr_count:     0
    .vgpr_spill_count: 0
    .wavefront_size: 64
  - .agpr_count:     0
    .args:
      - .offset:         0
        .size:           88
        .value_kind:     by_value
    .group_segment_fixed_size: 0
    .kernarg_segment_align: 8
    .kernarg_segment_size: 88
    .language:       OpenCL C
    .language_version:
      - 2
      - 0
    .max_flat_workgroup_size: 1024
    .name:           _ZN7rocprim17ROCPRIM_400000_NS6detail17trampoline_kernelINS0_14default_configENS1_35radix_sort_onesweep_config_selectorIiNS0_10empty_typeEEEZZNS1_29radix_sort_onesweep_iterationIS3_Lb0EN6thrust23THRUST_200600_302600_NS6detail15normal_iteratorINS9_10device_ptrIiEEEESE_PS5_SF_jNS0_19identity_decomposerENS1_16block_id_wrapperIjLb0EEEEE10hipError_tT1_PNSt15iterator_traitsISK_E10value_typeET2_T3_PNSL_ISQ_E10value_typeET4_T5_PSV_SW_PNS1_23onesweep_lookback_stateEbbT6_jjT7_P12ihipStream_tbENKUlT_T0_SK_SP_E_clISE_PiSF_SF_EEDaS13_S14_SK_SP_EUlS13_E_NS1_11comp_targetILNS1_3genE8ELNS1_11target_archE1030ELNS1_3gpuE2ELNS1_3repE0EEENS1_47radix_sort_onesweep_sort_config_static_selectorELNS0_4arch9wavefront6targetE1EEEvSK_
    .private_segment_fixed_size: 0
    .sgpr_count:     6
    .sgpr_spill_count: 0
    .symbol:         _ZN7rocprim17ROCPRIM_400000_NS6detail17trampoline_kernelINS0_14default_configENS1_35radix_sort_onesweep_config_selectorIiNS0_10empty_typeEEEZZNS1_29radix_sort_onesweep_iterationIS3_Lb0EN6thrust23THRUST_200600_302600_NS6detail15normal_iteratorINS9_10device_ptrIiEEEESE_PS5_SF_jNS0_19identity_decomposerENS1_16block_id_wrapperIjLb0EEEEE10hipError_tT1_PNSt15iterator_traitsISK_E10value_typeET2_T3_PNSL_ISQ_E10value_typeET4_T5_PSV_SW_PNS1_23onesweep_lookback_stateEbbT6_jjT7_P12ihipStream_tbENKUlT_T0_SK_SP_E_clISE_PiSF_SF_EEDaS13_S14_SK_SP_EUlS13_E_NS1_11comp_targetILNS1_3genE8ELNS1_11target_archE1030ELNS1_3gpuE2ELNS1_3repE0EEENS1_47radix_sort_onesweep_sort_config_static_selectorELNS0_4arch9wavefront6targetE1EEEvSK_.kd
    .uniform_work_group_size: 1
    .uses_dynamic_stack: false
    .vgpr_count:     0
    .vgpr_spill_count: 0
    .wavefront_size: 64
  - .agpr_count:     0
    .args:
      - .offset:         0
        .size:           88
        .value_kind:     by_value
    .group_segment_fixed_size: 0
    .kernarg_segment_align: 8
    .kernarg_segment_size: 88
    .language:       OpenCL C
    .language_version:
      - 2
      - 0
    .max_flat_workgroup_size: 512
    .name:           _ZN7rocprim17ROCPRIM_400000_NS6detail17trampoline_kernelINS0_14default_configENS1_35radix_sort_onesweep_config_selectorIiNS0_10empty_typeEEEZZNS1_29radix_sort_onesweep_iterationIS3_Lb0EN6thrust23THRUST_200600_302600_NS6detail15normal_iteratorINS9_10device_ptrIiEEEESE_PS5_SF_jNS0_19identity_decomposerENS1_16block_id_wrapperIjLb0EEEEE10hipError_tT1_PNSt15iterator_traitsISK_E10value_typeET2_T3_PNSL_ISQ_E10value_typeET4_T5_PSV_SW_PNS1_23onesweep_lookback_stateEbbT6_jjT7_P12ihipStream_tbENKUlT_T0_SK_SP_E_clIPiSE_SF_SF_EEDaS13_S14_SK_SP_EUlS13_E_NS1_11comp_targetILNS1_3genE0ELNS1_11target_archE4294967295ELNS1_3gpuE0ELNS1_3repE0EEENS1_47radix_sort_onesweep_sort_config_static_selectorELNS0_4arch9wavefront6targetE1EEEvSK_
    .private_segment_fixed_size: 0
    .sgpr_count:     6
    .sgpr_spill_count: 0
    .symbol:         _ZN7rocprim17ROCPRIM_400000_NS6detail17trampoline_kernelINS0_14default_configENS1_35radix_sort_onesweep_config_selectorIiNS0_10empty_typeEEEZZNS1_29radix_sort_onesweep_iterationIS3_Lb0EN6thrust23THRUST_200600_302600_NS6detail15normal_iteratorINS9_10device_ptrIiEEEESE_PS5_SF_jNS0_19identity_decomposerENS1_16block_id_wrapperIjLb0EEEEE10hipError_tT1_PNSt15iterator_traitsISK_E10value_typeET2_T3_PNSL_ISQ_E10value_typeET4_T5_PSV_SW_PNS1_23onesweep_lookback_stateEbbT6_jjT7_P12ihipStream_tbENKUlT_T0_SK_SP_E_clIPiSE_SF_SF_EEDaS13_S14_SK_SP_EUlS13_E_NS1_11comp_targetILNS1_3genE0ELNS1_11target_archE4294967295ELNS1_3gpuE0ELNS1_3repE0EEENS1_47radix_sort_onesweep_sort_config_static_selectorELNS0_4arch9wavefront6targetE1EEEvSK_.kd
    .uniform_work_group_size: 1
    .uses_dynamic_stack: false
    .vgpr_count:     0
    .vgpr_spill_count: 0
    .wavefront_size: 64
  - .agpr_count:     0
    .args:
      - .offset:         0
        .size:           88
        .value_kind:     by_value
    .group_segment_fixed_size: 0
    .kernarg_segment_align: 8
    .kernarg_segment_size: 88
    .language:       OpenCL C
    .language_version:
      - 2
      - 0
    .max_flat_workgroup_size: 1024
    .name:           _ZN7rocprim17ROCPRIM_400000_NS6detail17trampoline_kernelINS0_14default_configENS1_35radix_sort_onesweep_config_selectorIiNS0_10empty_typeEEEZZNS1_29radix_sort_onesweep_iterationIS3_Lb0EN6thrust23THRUST_200600_302600_NS6detail15normal_iteratorINS9_10device_ptrIiEEEESE_PS5_SF_jNS0_19identity_decomposerENS1_16block_id_wrapperIjLb0EEEEE10hipError_tT1_PNSt15iterator_traitsISK_E10value_typeET2_T3_PNSL_ISQ_E10value_typeET4_T5_PSV_SW_PNS1_23onesweep_lookback_stateEbbT6_jjT7_P12ihipStream_tbENKUlT_T0_SK_SP_E_clIPiSE_SF_SF_EEDaS13_S14_SK_SP_EUlS13_E_NS1_11comp_targetILNS1_3genE6ELNS1_11target_archE950ELNS1_3gpuE13ELNS1_3repE0EEENS1_47radix_sort_onesweep_sort_config_static_selectorELNS0_4arch9wavefront6targetE1EEEvSK_
    .private_segment_fixed_size: 0
    .sgpr_count:     6
    .sgpr_spill_count: 0
    .symbol:         _ZN7rocprim17ROCPRIM_400000_NS6detail17trampoline_kernelINS0_14default_configENS1_35radix_sort_onesweep_config_selectorIiNS0_10empty_typeEEEZZNS1_29radix_sort_onesweep_iterationIS3_Lb0EN6thrust23THRUST_200600_302600_NS6detail15normal_iteratorINS9_10device_ptrIiEEEESE_PS5_SF_jNS0_19identity_decomposerENS1_16block_id_wrapperIjLb0EEEEE10hipError_tT1_PNSt15iterator_traitsISK_E10value_typeET2_T3_PNSL_ISQ_E10value_typeET4_T5_PSV_SW_PNS1_23onesweep_lookback_stateEbbT6_jjT7_P12ihipStream_tbENKUlT_T0_SK_SP_E_clIPiSE_SF_SF_EEDaS13_S14_SK_SP_EUlS13_E_NS1_11comp_targetILNS1_3genE6ELNS1_11target_archE950ELNS1_3gpuE13ELNS1_3repE0EEENS1_47radix_sort_onesweep_sort_config_static_selectorELNS0_4arch9wavefront6targetE1EEEvSK_.kd
    .uniform_work_group_size: 1
    .uses_dynamic_stack: false
    .vgpr_count:     0
    .vgpr_spill_count: 0
    .wavefront_size: 64
  - .agpr_count:     0
    .args:
      - .offset:         0
        .size:           88
        .value_kind:     by_value
      - .offset:         88
        .size:           4
        .value_kind:     hidden_block_count_x
      - .offset:         92
        .size:           4
        .value_kind:     hidden_block_count_y
      - .offset:         96
        .size:           4
        .value_kind:     hidden_block_count_z
      - .offset:         100
        .size:           2
        .value_kind:     hidden_group_size_x
      - .offset:         102
        .size:           2
        .value_kind:     hidden_group_size_y
      - .offset:         104
        .size:           2
        .value_kind:     hidden_group_size_z
      - .offset:         106
        .size:           2
        .value_kind:     hidden_remainder_x
      - .offset:         108
        .size:           2
        .value_kind:     hidden_remainder_y
      - .offset:         110
        .size:           2
        .value_kind:     hidden_remainder_z
      - .offset:         128
        .size:           8
        .value_kind:     hidden_global_offset_x
      - .offset:         136
        .size:           8
        .value_kind:     hidden_global_offset_y
      - .offset:         144
        .size:           8
        .value_kind:     hidden_global_offset_z
      - .offset:         152
        .size:           2
        .value_kind:     hidden_grid_dims
    .group_segment_fixed_size: 20552
    .kernarg_segment_align: 8
    .kernarg_segment_size: 344
    .language:       OpenCL C
    .language_version:
      - 2
      - 0
    .max_flat_workgroup_size: 1024
    .name:           _ZN7rocprim17ROCPRIM_400000_NS6detail17trampoline_kernelINS0_14default_configENS1_35radix_sort_onesweep_config_selectorIiNS0_10empty_typeEEEZZNS1_29radix_sort_onesweep_iterationIS3_Lb0EN6thrust23THRUST_200600_302600_NS6detail15normal_iteratorINS9_10device_ptrIiEEEESE_PS5_SF_jNS0_19identity_decomposerENS1_16block_id_wrapperIjLb0EEEEE10hipError_tT1_PNSt15iterator_traitsISK_E10value_typeET2_T3_PNSL_ISQ_E10value_typeET4_T5_PSV_SW_PNS1_23onesweep_lookback_stateEbbT6_jjT7_P12ihipStream_tbENKUlT_T0_SK_SP_E_clIPiSE_SF_SF_EEDaS13_S14_SK_SP_EUlS13_E_NS1_11comp_targetILNS1_3genE5ELNS1_11target_archE942ELNS1_3gpuE9ELNS1_3repE0EEENS1_47radix_sort_onesweep_sort_config_static_selectorELNS0_4arch9wavefront6targetE1EEEvSK_
    .private_segment_fixed_size: 0
    .sgpr_count:     36
    .sgpr_spill_count: 0
    .symbol:         _ZN7rocprim17ROCPRIM_400000_NS6detail17trampoline_kernelINS0_14default_configENS1_35radix_sort_onesweep_config_selectorIiNS0_10empty_typeEEEZZNS1_29radix_sort_onesweep_iterationIS3_Lb0EN6thrust23THRUST_200600_302600_NS6detail15normal_iteratorINS9_10device_ptrIiEEEESE_PS5_SF_jNS0_19identity_decomposerENS1_16block_id_wrapperIjLb0EEEEE10hipError_tT1_PNSt15iterator_traitsISK_E10value_typeET2_T3_PNSL_ISQ_E10value_typeET4_T5_PSV_SW_PNS1_23onesweep_lookback_stateEbbT6_jjT7_P12ihipStream_tbENKUlT_T0_SK_SP_E_clIPiSE_SF_SF_EEDaS13_S14_SK_SP_EUlS13_E_NS1_11comp_targetILNS1_3genE5ELNS1_11target_archE942ELNS1_3gpuE9ELNS1_3repE0EEENS1_47radix_sort_onesweep_sort_config_static_selectorELNS0_4arch9wavefront6targetE1EEEvSK_.kd
    .uniform_work_group_size: 1
    .uses_dynamic_stack: false
    .vgpr_count:     46
    .vgpr_spill_count: 0
    .wavefront_size: 64
  - .agpr_count:     0
    .args:
      - .offset:         0
        .size:           88
        .value_kind:     by_value
    .group_segment_fixed_size: 0
    .kernarg_segment_align: 8
    .kernarg_segment_size: 88
    .language:       OpenCL C
    .language_version:
      - 2
      - 0
    .max_flat_workgroup_size: 1024
    .name:           _ZN7rocprim17ROCPRIM_400000_NS6detail17trampoline_kernelINS0_14default_configENS1_35radix_sort_onesweep_config_selectorIiNS0_10empty_typeEEEZZNS1_29radix_sort_onesweep_iterationIS3_Lb0EN6thrust23THRUST_200600_302600_NS6detail15normal_iteratorINS9_10device_ptrIiEEEESE_PS5_SF_jNS0_19identity_decomposerENS1_16block_id_wrapperIjLb0EEEEE10hipError_tT1_PNSt15iterator_traitsISK_E10value_typeET2_T3_PNSL_ISQ_E10value_typeET4_T5_PSV_SW_PNS1_23onesweep_lookback_stateEbbT6_jjT7_P12ihipStream_tbENKUlT_T0_SK_SP_E_clIPiSE_SF_SF_EEDaS13_S14_SK_SP_EUlS13_E_NS1_11comp_targetILNS1_3genE2ELNS1_11target_archE906ELNS1_3gpuE6ELNS1_3repE0EEENS1_47radix_sort_onesweep_sort_config_static_selectorELNS0_4arch9wavefront6targetE1EEEvSK_
    .private_segment_fixed_size: 0
    .sgpr_count:     6
    .sgpr_spill_count: 0
    .symbol:         _ZN7rocprim17ROCPRIM_400000_NS6detail17trampoline_kernelINS0_14default_configENS1_35radix_sort_onesweep_config_selectorIiNS0_10empty_typeEEEZZNS1_29radix_sort_onesweep_iterationIS3_Lb0EN6thrust23THRUST_200600_302600_NS6detail15normal_iteratorINS9_10device_ptrIiEEEESE_PS5_SF_jNS0_19identity_decomposerENS1_16block_id_wrapperIjLb0EEEEE10hipError_tT1_PNSt15iterator_traitsISK_E10value_typeET2_T3_PNSL_ISQ_E10value_typeET4_T5_PSV_SW_PNS1_23onesweep_lookback_stateEbbT6_jjT7_P12ihipStream_tbENKUlT_T0_SK_SP_E_clIPiSE_SF_SF_EEDaS13_S14_SK_SP_EUlS13_E_NS1_11comp_targetILNS1_3genE2ELNS1_11target_archE906ELNS1_3gpuE6ELNS1_3repE0EEENS1_47radix_sort_onesweep_sort_config_static_selectorELNS0_4arch9wavefront6targetE1EEEvSK_.kd
    .uniform_work_group_size: 1
    .uses_dynamic_stack: false
    .vgpr_count:     0
    .vgpr_spill_count: 0
    .wavefront_size: 64
  - .agpr_count:     0
    .args:
      - .offset:         0
        .size:           88
        .value_kind:     by_value
    .group_segment_fixed_size: 0
    .kernarg_segment_align: 8
    .kernarg_segment_size: 88
    .language:       OpenCL C
    .language_version:
      - 2
      - 0
    .max_flat_workgroup_size: 1024
    .name:           _ZN7rocprim17ROCPRIM_400000_NS6detail17trampoline_kernelINS0_14default_configENS1_35radix_sort_onesweep_config_selectorIiNS0_10empty_typeEEEZZNS1_29radix_sort_onesweep_iterationIS3_Lb0EN6thrust23THRUST_200600_302600_NS6detail15normal_iteratorINS9_10device_ptrIiEEEESE_PS5_SF_jNS0_19identity_decomposerENS1_16block_id_wrapperIjLb0EEEEE10hipError_tT1_PNSt15iterator_traitsISK_E10value_typeET2_T3_PNSL_ISQ_E10value_typeET4_T5_PSV_SW_PNS1_23onesweep_lookback_stateEbbT6_jjT7_P12ihipStream_tbENKUlT_T0_SK_SP_E_clIPiSE_SF_SF_EEDaS13_S14_SK_SP_EUlS13_E_NS1_11comp_targetILNS1_3genE4ELNS1_11target_archE910ELNS1_3gpuE8ELNS1_3repE0EEENS1_47radix_sort_onesweep_sort_config_static_selectorELNS0_4arch9wavefront6targetE1EEEvSK_
    .private_segment_fixed_size: 0
    .sgpr_count:     6
    .sgpr_spill_count: 0
    .symbol:         _ZN7rocprim17ROCPRIM_400000_NS6detail17trampoline_kernelINS0_14default_configENS1_35radix_sort_onesweep_config_selectorIiNS0_10empty_typeEEEZZNS1_29radix_sort_onesweep_iterationIS3_Lb0EN6thrust23THRUST_200600_302600_NS6detail15normal_iteratorINS9_10device_ptrIiEEEESE_PS5_SF_jNS0_19identity_decomposerENS1_16block_id_wrapperIjLb0EEEEE10hipError_tT1_PNSt15iterator_traitsISK_E10value_typeET2_T3_PNSL_ISQ_E10value_typeET4_T5_PSV_SW_PNS1_23onesweep_lookback_stateEbbT6_jjT7_P12ihipStream_tbENKUlT_T0_SK_SP_E_clIPiSE_SF_SF_EEDaS13_S14_SK_SP_EUlS13_E_NS1_11comp_targetILNS1_3genE4ELNS1_11target_archE910ELNS1_3gpuE8ELNS1_3repE0EEENS1_47radix_sort_onesweep_sort_config_static_selectorELNS0_4arch9wavefront6targetE1EEEvSK_.kd
    .uniform_work_group_size: 1
    .uses_dynamic_stack: false
    .vgpr_count:     0
    .vgpr_spill_count: 0
    .wavefront_size: 64
  - .agpr_count:     0
    .args:
      - .offset:         0
        .size:           88
        .value_kind:     by_value
    .group_segment_fixed_size: 0
    .kernarg_segment_align: 8
    .kernarg_segment_size: 88
    .language:       OpenCL C
    .language_version:
      - 2
      - 0
    .max_flat_workgroup_size: 512
    .name:           _ZN7rocprim17ROCPRIM_400000_NS6detail17trampoline_kernelINS0_14default_configENS1_35radix_sort_onesweep_config_selectorIiNS0_10empty_typeEEEZZNS1_29radix_sort_onesweep_iterationIS3_Lb0EN6thrust23THRUST_200600_302600_NS6detail15normal_iteratorINS9_10device_ptrIiEEEESE_PS5_SF_jNS0_19identity_decomposerENS1_16block_id_wrapperIjLb0EEEEE10hipError_tT1_PNSt15iterator_traitsISK_E10value_typeET2_T3_PNSL_ISQ_E10value_typeET4_T5_PSV_SW_PNS1_23onesweep_lookback_stateEbbT6_jjT7_P12ihipStream_tbENKUlT_T0_SK_SP_E_clIPiSE_SF_SF_EEDaS13_S14_SK_SP_EUlS13_E_NS1_11comp_targetILNS1_3genE3ELNS1_11target_archE908ELNS1_3gpuE7ELNS1_3repE0EEENS1_47radix_sort_onesweep_sort_config_static_selectorELNS0_4arch9wavefront6targetE1EEEvSK_
    .private_segment_fixed_size: 0
    .sgpr_count:     6
    .sgpr_spill_count: 0
    .symbol:         _ZN7rocprim17ROCPRIM_400000_NS6detail17trampoline_kernelINS0_14default_configENS1_35radix_sort_onesweep_config_selectorIiNS0_10empty_typeEEEZZNS1_29radix_sort_onesweep_iterationIS3_Lb0EN6thrust23THRUST_200600_302600_NS6detail15normal_iteratorINS9_10device_ptrIiEEEESE_PS5_SF_jNS0_19identity_decomposerENS1_16block_id_wrapperIjLb0EEEEE10hipError_tT1_PNSt15iterator_traitsISK_E10value_typeET2_T3_PNSL_ISQ_E10value_typeET4_T5_PSV_SW_PNS1_23onesweep_lookback_stateEbbT6_jjT7_P12ihipStream_tbENKUlT_T0_SK_SP_E_clIPiSE_SF_SF_EEDaS13_S14_SK_SP_EUlS13_E_NS1_11comp_targetILNS1_3genE3ELNS1_11target_archE908ELNS1_3gpuE7ELNS1_3repE0EEENS1_47radix_sort_onesweep_sort_config_static_selectorELNS0_4arch9wavefront6targetE1EEEvSK_.kd
    .uniform_work_group_size: 1
    .uses_dynamic_stack: false
    .vgpr_count:     0
    .vgpr_spill_count: 0
    .wavefront_size: 64
  - .agpr_count:     0
    .args:
      - .offset:         0
        .size:           88
        .value_kind:     by_value
    .group_segment_fixed_size: 0
    .kernarg_segment_align: 8
    .kernarg_segment_size: 88
    .language:       OpenCL C
    .language_version:
      - 2
      - 0
    .max_flat_workgroup_size: 1024
    .name:           _ZN7rocprim17ROCPRIM_400000_NS6detail17trampoline_kernelINS0_14default_configENS1_35radix_sort_onesweep_config_selectorIiNS0_10empty_typeEEEZZNS1_29radix_sort_onesweep_iterationIS3_Lb0EN6thrust23THRUST_200600_302600_NS6detail15normal_iteratorINS9_10device_ptrIiEEEESE_PS5_SF_jNS0_19identity_decomposerENS1_16block_id_wrapperIjLb0EEEEE10hipError_tT1_PNSt15iterator_traitsISK_E10value_typeET2_T3_PNSL_ISQ_E10value_typeET4_T5_PSV_SW_PNS1_23onesweep_lookback_stateEbbT6_jjT7_P12ihipStream_tbENKUlT_T0_SK_SP_E_clIPiSE_SF_SF_EEDaS13_S14_SK_SP_EUlS13_E_NS1_11comp_targetILNS1_3genE10ELNS1_11target_archE1201ELNS1_3gpuE5ELNS1_3repE0EEENS1_47radix_sort_onesweep_sort_config_static_selectorELNS0_4arch9wavefront6targetE1EEEvSK_
    .private_segment_fixed_size: 0
    .sgpr_count:     6
    .sgpr_spill_count: 0
    .symbol:         _ZN7rocprim17ROCPRIM_400000_NS6detail17trampoline_kernelINS0_14default_configENS1_35radix_sort_onesweep_config_selectorIiNS0_10empty_typeEEEZZNS1_29radix_sort_onesweep_iterationIS3_Lb0EN6thrust23THRUST_200600_302600_NS6detail15normal_iteratorINS9_10device_ptrIiEEEESE_PS5_SF_jNS0_19identity_decomposerENS1_16block_id_wrapperIjLb0EEEEE10hipError_tT1_PNSt15iterator_traitsISK_E10value_typeET2_T3_PNSL_ISQ_E10value_typeET4_T5_PSV_SW_PNS1_23onesweep_lookback_stateEbbT6_jjT7_P12ihipStream_tbENKUlT_T0_SK_SP_E_clIPiSE_SF_SF_EEDaS13_S14_SK_SP_EUlS13_E_NS1_11comp_targetILNS1_3genE10ELNS1_11target_archE1201ELNS1_3gpuE5ELNS1_3repE0EEENS1_47radix_sort_onesweep_sort_config_static_selectorELNS0_4arch9wavefront6targetE1EEEvSK_.kd
    .uniform_work_group_size: 1
    .uses_dynamic_stack: false
    .vgpr_count:     0
    .vgpr_spill_count: 0
    .wavefront_size: 64
  - .agpr_count:     0
    .args:
      - .offset:         0
        .size:           88
        .value_kind:     by_value
    .group_segment_fixed_size: 0
    .kernarg_segment_align: 8
    .kernarg_segment_size: 88
    .language:       OpenCL C
    .language_version:
      - 2
      - 0
    .max_flat_workgroup_size: 1024
    .name:           _ZN7rocprim17ROCPRIM_400000_NS6detail17trampoline_kernelINS0_14default_configENS1_35radix_sort_onesweep_config_selectorIiNS0_10empty_typeEEEZZNS1_29radix_sort_onesweep_iterationIS3_Lb0EN6thrust23THRUST_200600_302600_NS6detail15normal_iteratorINS9_10device_ptrIiEEEESE_PS5_SF_jNS0_19identity_decomposerENS1_16block_id_wrapperIjLb0EEEEE10hipError_tT1_PNSt15iterator_traitsISK_E10value_typeET2_T3_PNSL_ISQ_E10value_typeET4_T5_PSV_SW_PNS1_23onesweep_lookback_stateEbbT6_jjT7_P12ihipStream_tbENKUlT_T0_SK_SP_E_clIPiSE_SF_SF_EEDaS13_S14_SK_SP_EUlS13_E_NS1_11comp_targetILNS1_3genE9ELNS1_11target_archE1100ELNS1_3gpuE3ELNS1_3repE0EEENS1_47radix_sort_onesweep_sort_config_static_selectorELNS0_4arch9wavefront6targetE1EEEvSK_
    .private_segment_fixed_size: 0
    .sgpr_count:     6
    .sgpr_spill_count: 0
    .symbol:         _ZN7rocprim17ROCPRIM_400000_NS6detail17trampoline_kernelINS0_14default_configENS1_35radix_sort_onesweep_config_selectorIiNS0_10empty_typeEEEZZNS1_29radix_sort_onesweep_iterationIS3_Lb0EN6thrust23THRUST_200600_302600_NS6detail15normal_iteratorINS9_10device_ptrIiEEEESE_PS5_SF_jNS0_19identity_decomposerENS1_16block_id_wrapperIjLb0EEEEE10hipError_tT1_PNSt15iterator_traitsISK_E10value_typeET2_T3_PNSL_ISQ_E10value_typeET4_T5_PSV_SW_PNS1_23onesweep_lookback_stateEbbT6_jjT7_P12ihipStream_tbENKUlT_T0_SK_SP_E_clIPiSE_SF_SF_EEDaS13_S14_SK_SP_EUlS13_E_NS1_11comp_targetILNS1_3genE9ELNS1_11target_archE1100ELNS1_3gpuE3ELNS1_3repE0EEENS1_47radix_sort_onesweep_sort_config_static_selectorELNS0_4arch9wavefront6targetE1EEEvSK_.kd
    .uniform_work_group_size: 1
    .uses_dynamic_stack: false
    .vgpr_count:     0
    .vgpr_spill_count: 0
    .wavefront_size: 64
  - .agpr_count:     0
    .args:
      - .offset:         0
        .size:           88
        .value_kind:     by_value
    .group_segment_fixed_size: 0
    .kernarg_segment_align: 8
    .kernarg_segment_size: 88
    .language:       OpenCL C
    .language_version:
      - 2
      - 0
    .max_flat_workgroup_size: 1024
    .name:           _ZN7rocprim17ROCPRIM_400000_NS6detail17trampoline_kernelINS0_14default_configENS1_35radix_sort_onesweep_config_selectorIiNS0_10empty_typeEEEZZNS1_29radix_sort_onesweep_iterationIS3_Lb0EN6thrust23THRUST_200600_302600_NS6detail15normal_iteratorINS9_10device_ptrIiEEEESE_PS5_SF_jNS0_19identity_decomposerENS1_16block_id_wrapperIjLb0EEEEE10hipError_tT1_PNSt15iterator_traitsISK_E10value_typeET2_T3_PNSL_ISQ_E10value_typeET4_T5_PSV_SW_PNS1_23onesweep_lookback_stateEbbT6_jjT7_P12ihipStream_tbENKUlT_T0_SK_SP_E_clIPiSE_SF_SF_EEDaS13_S14_SK_SP_EUlS13_E_NS1_11comp_targetILNS1_3genE8ELNS1_11target_archE1030ELNS1_3gpuE2ELNS1_3repE0EEENS1_47radix_sort_onesweep_sort_config_static_selectorELNS0_4arch9wavefront6targetE1EEEvSK_
    .private_segment_fixed_size: 0
    .sgpr_count:     6
    .sgpr_spill_count: 0
    .symbol:         _ZN7rocprim17ROCPRIM_400000_NS6detail17trampoline_kernelINS0_14default_configENS1_35radix_sort_onesweep_config_selectorIiNS0_10empty_typeEEEZZNS1_29radix_sort_onesweep_iterationIS3_Lb0EN6thrust23THRUST_200600_302600_NS6detail15normal_iteratorINS9_10device_ptrIiEEEESE_PS5_SF_jNS0_19identity_decomposerENS1_16block_id_wrapperIjLb0EEEEE10hipError_tT1_PNSt15iterator_traitsISK_E10value_typeET2_T3_PNSL_ISQ_E10value_typeET4_T5_PSV_SW_PNS1_23onesweep_lookback_stateEbbT6_jjT7_P12ihipStream_tbENKUlT_T0_SK_SP_E_clIPiSE_SF_SF_EEDaS13_S14_SK_SP_EUlS13_E_NS1_11comp_targetILNS1_3genE8ELNS1_11target_archE1030ELNS1_3gpuE2ELNS1_3repE0EEENS1_47radix_sort_onesweep_sort_config_static_selectorELNS0_4arch9wavefront6targetE1EEEvSK_.kd
    .uniform_work_group_size: 1
    .uses_dynamic_stack: false
    .vgpr_count:     0
    .vgpr_spill_count: 0
    .wavefront_size: 64
  - .agpr_count:     0
    .args:
      - .offset:         0
        .size:           48
        .value_kind:     by_value
    .group_segment_fixed_size: 0
    .kernarg_segment_align: 8
    .kernarg_segment_size: 48
    .language:       OpenCL C
    .language_version:
      - 2
      - 0
    .max_flat_workgroup_size: 256
    .name:           _ZN7rocprim17ROCPRIM_400000_NS6detail17trampoline_kernelINS0_13kernel_configILj256ELj4ELj4294967295EEENS1_37radix_sort_block_sort_config_selectorIsNS0_10empty_typeEEEZNS1_21radix_sort_block_sortIS4_Lb0EN6thrust23THRUST_200600_302600_NS6detail15normal_iteratorINSA_10device_ptrIsEEEESF_PS6_SG_NS0_19identity_decomposerEEE10hipError_tT1_T2_T3_T4_jRjT5_jjP12ihipStream_tbEUlT_E_NS1_11comp_targetILNS1_3genE0ELNS1_11target_archE4294967295ELNS1_3gpuE0ELNS1_3repE0EEENS1_44radix_sort_block_sort_config_static_selectorELNS0_4arch9wavefront6targetE1EEEvSJ_
    .private_segment_fixed_size: 0
    .sgpr_count:     6
    .sgpr_spill_count: 0
    .symbol:         _ZN7rocprim17ROCPRIM_400000_NS6detail17trampoline_kernelINS0_13kernel_configILj256ELj4ELj4294967295EEENS1_37radix_sort_block_sort_config_selectorIsNS0_10empty_typeEEEZNS1_21radix_sort_block_sortIS4_Lb0EN6thrust23THRUST_200600_302600_NS6detail15normal_iteratorINSA_10device_ptrIsEEEESF_PS6_SG_NS0_19identity_decomposerEEE10hipError_tT1_T2_T3_T4_jRjT5_jjP12ihipStream_tbEUlT_E_NS1_11comp_targetILNS1_3genE0ELNS1_11target_archE4294967295ELNS1_3gpuE0ELNS1_3repE0EEENS1_44radix_sort_block_sort_config_static_selectorELNS0_4arch9wavefront6targetE1EEEvSJ_.kd
    .uniform_work_group_size: 1
    .uses_dynamic_stack: false
    .vgpr_count:     0
    .vgpr_spill_count: 0
    .wavefront_size: 64
  - .agpr_count:     0
    .args:
      - .offset:         0
        .size:           48
        .value_kind:     by_value
      - .offset:         48
        .size:           4
        .value_kind:     hidden_block_count_x
      - .offset:         52
        .size:           4
        .value_kind:     hidden_block_count_y
      - .offset:         56
        .size:           4
        .value_kind:     hidden_block_count_z
      - .offset:         60
        .size:           2
        .value_kind:     hidden_group_size_x
      - .offset:         62
        .size:           2
        .value_kind:     hidden_group_size_y
      - .offset:         64
        .size:           2
        .value_kind:     hidden_group_size_z
      - .offset:         66
        .size:           2
        .value_kind:     hidden_remainder_x
      - .offset:         68
        .size:           2
        .value_kind:     hidden_remainder_y
      - .offset:         70
        .size:           2
        .value_kind:     hidden_remainder_z
      - .offset:         88
        .size:           8
        .value_kind:     hidden_global_offset_x
      - .offset:         96
        .size:           8
        .value_kind:     hidden_global_offset_y
      - .offset:         104
        .size:           8
        .value_kind:     hidden_global_offset_z
      - .offset:         112
        .size:           2
        .value_kind:     hidden_grid_dims
    .group_segment_fixed_size: 4112
    .kernarg_segment_align: 8
    .kernarg_segment_size: 304
    .language:       OpenCL C
    .language_version:
      - 2
      - 0
    .max_flat_workgroup_size: 256
    .name:           _ZN7rocprim17ROCPRIM_400000_NS6detail17trampoline_kernelINS0_13kernel_configILj256ELj4ELj4294967295EEENS1_37radix_sort_block_sort_config_selectorIsNS0_10empty_typeEEEZNS1_21radix_sort_block_sortIS4_Lb0EN6thrust23THRUST_200600_302600_NS6detail15normal_iteratorINSA_10device_ptrIsEEEESF_PS6_SG_NS0_19identity_decomposerEEE10hipError_tT1_T2_T3_T4_jRjT5_jjP12ihipStream_tbEUlT_E_NS1_11comp_targetILNS1_3genE5ELNS1_11target_archE942ELNS1_3gpuE9ELNS1_3repE0EEENS1_44radix_sort_block_sort_config_static_selectorELNS0_4arch9wavefront6targetE1EEEvSJ_
    .private_segment_fixed_size: 0
    .sgpr_count:     50
    .sgpr_spill_count: 0
    .symbol:         _ZN7rocprim17ROCPRIM_400000_NS6detail17trampoline_kernelINS0_13kernel_configILj256ELj4ELj4294967295EEENS1_37radix_sort_block_sort_config_selectorIsNS0_10empty_typeEEEZNS1_21radix_sort_block_sortIS4_Lb0EN6thrust23THRUST_200600_302600_NS6detail15normal_iteratorINSA_10device_ptrIsEEEESF_PS6_SG_NS0_19identity_decomposerEEE10hipError_tT1_T2_T3_T4_jRjT5_jjP12ihipStream_tbEUlT_E_NS1_11comp_targetILNS1_3genE5ELNS1_11target_archE942ELNS1_3gpuE9ELNS1_3repE0EEENS1_44radix_sort_block_sort_config_static_selectorELNS0_4arch9wavefront6targetE1EEEvSJ_.kd
    .uniform_work_group_size: 1
    .uses_dynamic_stack: false
    .vgpr_count:     38
    .vgpr_spill_count: 0
    .wavefront_size: 64
  - .agpr_count:     0
    .args:
      - .offset:         0
        .size:           48
        .value_kind:     by_value
    .group_segment_fixed_size: 0
    .kernarg_segment_align: 8
    .kernarg_segment_size: 48
    .language:       OpenCL C
    .language_version:
      - 2
      - 0
    .max_flat_workgroup_size: 256
    .name:           _ZN7rocprim17ROCPRIM_400000_NS6detail17trampoline_kernelINS0_13kernel_configILj256ELj4ELj4294967295EEENS1_37radix_sort_block_sort_config_selectorIsNS0_10empty_typeEEEZNS1_21radix_sort_block_sortIS4_Lb0EN6thrust23THRUST_200600_302600_NS6detail15normal_iteratorINSA_10device_ptrIsEEEESF_PS6_SG_NS0_19identity_decomposerEEE10hipError_tT1_T2_T3_T4_jRjT5_jjP12ihipStream_tbEUlT_E_NS1_11comp_targetILNS1_3genE4ELNS1_11target_archE910ELNS1_3gpuE8ELNS1_3repE0EEENS1_44radix_sort_block_sort_config_static_selectorELNS0_4arch9wavefront6targetE1EEEvSJ_
    .private_segment_fixed_size: 0
    .sgpr_count:     6
    .sgpr_spill_count: 0
    .symbol:         _ZN7rocprim17ROCPRIM_400000_NS6detail17trampoline_kernelINS0_13kernel_configILj256ELj4ELj4294967295EEENS1_37radix_sort_block_sort_config_selectorIsNS0_10empty_typeEEEZNS1_21radix_sort_block_sortIS4_Lb0EN6thrust23THRUST_200600_302600_NS6detail15normal_iteratorINSA_10device_ptrIsEEEESF_PS6_SG_NS0_19identity_decomposerEEE10hipError_tT1_T2_T3_T4_jRjT5_jjP12ihipStream_tbEUlT_E_NS1_11comp_targetILNS1_3genE4ELNS1_11target_archE910ELNS1_3gpuE8ELNS1_3repE0EEENS1_44radix_sort_block_sort_config_static_selectorELNS0_4arch9wavefront6targetE1EEEvSJ_.kd
    .uniform_work_group_size: 1
    .uses_dynamic_stack: false
    .vgpr_count:     0
    .vgpr_spill_count: 0
    .wavefront_size: 64
  - .agpr_count:     0
    .args:
      - .offset:         0
        .size:           48
        .value_kind:     by_value
    .group_segment_fixed_size: 0
    .kernarg_segment_align: 8
    .kernarg_segment_size: 48
    .language:       OpenCL C
    .language_version:
      - 2
      - 0
    .max_flat_workgroup_size: 256
    .name:           _ZN7rocprim17ROCPRIM_400000_NS6detail17trampoline_kernelINS0_13kernel_configILj256ELj4ELj4294967295EEENS1_37radix_sort_block_sort_config_selectorIsNS0_10empty_typeEEEZNS1_21radix_sort_block_sortIS4_Lb0EN6thrust23THRUST_200600_302600_NS6detail15normal_iteratorINSA_10device_ptrIsEEEESF_PS6_SG_NS0_19identity_decomposerEEE10hipError_tT1_T2_T3_T4_jRjT5_jjP12ihipStream_tbEUlT_E_NS1_11comp_targetILNS1_3genE3ELNS1_11target_archE908ELNS1_3gpuE7ELNS1_3repE0EEENS1_44radix_sort_block_sort_config_static_selectorELNS0_4arch9wavefront6targetE1EEEvSJ_
    .private_segment_fixed_size: 0
    .sgpr_count:     6
    .sgpr_spill_count: 0
    .symbol:         _ZN7rocprim17ROCPRIM_400000_NS6detail17trampoline_kernelINS0_13kernel_configILj256ELj4ELj4294967295EEENS1_37radix_sort_block_sort_config_selectorIsNS0_10empty_typeEEEZNS1_21radix_sort_block_sortIS4_Lb0EN6thrust23THRUST_200600_302600_NS6detail15normal_iteratorINSA_10device_ptrIsEEEESF_PS6_SG_NS0_19identity_decomposerEEE10hipError_tT1_T2_T3_T4_jRjT5_jjP12ihipStream_tbEUlT_E_NS1_11comp_targetILNS1_3genE3ELNS1_11target_archE908ELNS1_3gpuE7ELNS1_3repE0EEENS1_44radix_sort_block_sort_config_static_selectorELNS0_4arch9wavefront6targetE1EEEvSJ_.kd
    .uniform_work_group_size: 1
    .uses_dynamic_stack: false
    .vgpr_count:     0
    .vgpr_spill_count: 0
    .wavefront_size: 64
  - .agpr_count:     0
    .args:
      - .offset:         0
        .size:           48
        .value_kind:     by_value
    .group_segment_fixed_size: 0
    .kernarg_segment_align: 8
    .kernarg_segment_size: 48
    .language:       OpenCL C
    .language_version:
      - 2
      - 0
    .max_flat_workgroup_size: 256
    .name:           _ZN7rocprim17ROCPRIM_400000_NS6detail17trampoline_kernelINS0_13kernel_configILj256ELj4ELj4294967295EEENS1_37radix_sort_block_sort_config_selectorIsNS0_10empty_typeEEEZNS1_21radix_sort_block_sortIS4_Lb0EN6thrust23THRUST_200600_302600_NS6detail15normal_iteratorINSA_10device_ptrIsEEEESF_PS6_SG_NS0_19identity_decomposerEEE10hipError_tT1_T2_T3_T4_jRjT5_jjP12ihipStream_tbEUlT_E_NS1_11comp_targetILNS1_3genE2ELNS1_11target_archE906ELNS1_3gpuE6ELNS1_3repE0EEENS1_44radix_sort_block_sort_config_static_selectorELNS0_4arch9wavefront6targetE1EEEvSJ_
    .private_segment_fixed_size: 0
    .sgpr_count:     6
    .sgpr_spill_count: 0
    .symbol:         _ZN7rocprim17ROCPRIM_400000_NS6detail17trampoline_kernelINS0_13kernel_configILj256ELj4ELj4294967295EEENS1_37radix_sort_block_sort_config_selectorIsNS0_10empty_typeEEEZNS1_21radix_sort_block_sortIS4_Lb0EN6thrust23THRUST_200600_302600_NS6detail15normal_iteratorINSA_10device_ptrIsEEEESF_PS6_SG_NS0_19identity_decomposerEEE10hipError_tT1_T2_T3_T4_jRjT5_jjP12ihipStream_tbEUlT_E_NS1_11comp_targetILNS1_3genE2ELNS1_11target_archE906ELNS1_3gpuE6ELNS1_3repE0EEENS1_44radix_sort_block_sort_config_static_selectorELNS0_4arch9wavefront6targetE1EEEvSJ_.kd
    .uniform_work_group_size: 1
    .uses_dynamic_stack: false
    .vgpr_count:     0
    .vgpr_spill_count: 0
    .wavefront_size: 64
  - .agpr_count:     0
    .args:
      - .offset:         0
        .size:           48
        .value_kind:     by_value
    .group_segment_fixed_size: 0
    .kernarg_segment_align: 8
    .kernarg_segment_size: 48
    .language:       OpenCL C
    .language_version:
      - 2
      - 0
    .max_flat_workgroup_size: 256
    .name:           _ZN7rocprim17ROCPRIM_400000_NS6detail17trampoline_kernelINS0_13kernel_configILj256ELj4ELj4294967295EEENS1_37radix_sort_block_sort_config_selectorIsNS0_10empty_typeEEEZNS1_21radix_sort_block_sortIS4_Lb0EN6thrust23THRUST_200600_302600_NS6detail15normal_iteratorINSA_10device_ptrIsEEEESF_PS6_SG_NS0_19identity_decomposerEEE10hipError_tT1_T2_T3_T4_jRjT5_jjP12ihipStream_tbEUlT_E_NS1_11comp_targetILNS1_3genE10ELNS1_11target_archE1201ELNS1_3gpuE5ELNS1_3repE0EEENS1_44radix_sort_block_sort_config_static_selectorELNS0_4arch9wavefront6targetE1EEEvSJ_
    .private_segment_fixed_size: 0
    .sgpr_count:     6
    .sgpr_spill_count: 0
    .symbol:         _ZN7rocprim17ROCPRIM_400000_NS6detail17trampoline_kernelINS0_13kernel_configILj256ELj4ELj4294967295EEENS1_37radix_sort_block_sort_config_selectorIsNS0_10empty_typeEEEZNS1_21radix_sort_block_sortIS4_Lb0EN6thrust23THRUST_200600_302600_NS6detail15normal_iteratorINSA_10device_ptrIsEEEESF_PS6_SG_NS0_19identity_decomposerEEE10hipError_tT1_T2_T3_T4_jRjT5_jjP12ihipStream_tbEUlT_E_NS1_11comp_targetILNS1_3genE10ELNS1_11target_archE1201ELNS1_3gpuE5ELNS1_3repE0EEENS1_44radix_sort_block_sort_config_static_selectorELNS0_4arch9wavefront6targetE1EEEvSJ_.kd
    .uniform_work_group_size: 1
    .uses_dynamic_stack: false
    .vgpr_count:     0
    .vgpr_spill_count: 0
    .wavefront_size: 64
  - .agpr_count:     0
    .args:
      - .offset:         0
        .size:           48
        .value_kind:     by_value
    .group_segment_fixed_size: 0
    .kernarg_segment_align: 8
    .kernarg_segment_size: 48
    .language:       OpenCL C
    .language_version:
      - 2
      - 0
    .max_flat_workgroup_size: 256
    .name:           _ZN7rocprim17ROCPRIM_400000_NS6detail17trampoline_kernelINS0_13kernel_configILj256ELj4ELj4294967295EEENS1_37radix_sort_block_sort_config_selectorIsNS0_10empty_typeEEEZNS1_21radix_sort_block_sortIS4_Lb0EN6thrust23THRUST_200600_302600_NS6detail15normal_iteratorINSA_10device_ptrIsEEEESF_PS6_SG_NS0_19identity_decomposerEEE10hipError_tT1_T2_T3_T4_jRjT5_jjP12ihipStream_tbEUlT_E_NS1_11comp_targetILNS1_3genE10ELNS1_11target_archE1200ELNS1_3gpuE4ELNS1_3repE0EEENS1_44radix_sort_block_sort_config_static_selectorELNS0_4arch9wavefront6targetE1EEEvSJ_
    .private_segment_fixed_size: 0
    .sgpr_count:     6
    .sgpr_spill_count: 0
    .symbol:         _ZN7rocprim17ROCPRIM_400000_NS6detail17trampoline_kernelINS0_13kernel_configILj256ELj4ELj4294967295EEENS1_37radix_sort_block_sort_config_selectorIsNS0_10empty_typeEEEZNS1_21radix_sort_block_sortIS4_Lb0EN6thrust23THRUST_200600_302600_NS6detail15normal_iteratorINSA_10device_ptrIsEEEESF_PS6_SG_NS0_19identity_decomposerEEE10hipError_tT1_T2_T3_T4_jRjT5_jjP12ihipStream_tbEUlT_E_NS1_11comp_targetILNS1_3genE10ELNS1_11target_archE1200ELNS1_3gpuE4ELNS1_3repE0EEENS1_44radix_sort_block_sort_config_static_selectorELNS0_4arch9wavefront6targetE1EEEvSJ_.kd
    .uniform_work_group_size: 1
    .uses_dynamic_stack: false
    .vgpr_count:     0
    .vgpr_spill_count: 0
    .wavefront_size: 64
  - .agpr_count:     0
    .args:
      - .offset:         0
        .size:           48
        .value_kind:     by_value
    .group_segment_fixed_size: 0
    .kernarg_segment_align: 8
    .kernarg_segment_size: 48
    .language:       OpenCL C
    .language_version:
      - 2
      - 0
    .max_flat_workgroup_size: 256
    .name:           _ZN7rocprim17ROCPRIM_400000_NS6detail17trampoline_kernelINS0_13kernel_configILj256ELj4ELj4294967295EEENS1_37radix_sort_block_sort_config_selectorIsNS0_10empty_typeEEEZNS1_21radix_sort_block_sortIS4_Lb0EN6thrust23THRUST_200600_302600_NS6detail15normal_iteratorINSA_10device_ptrIsEEEESF_PS6_SG_NS0_19identity_decomposerEEE10hipError_tT1_T2_T3_T4_jRjT5_jjP12ihipStream_tbEUlT_E_NS1_11comp_targetILNS1_3genE9ELNS1_11target_archE1100ELNS1_3gpuE3ELNS1_3repE0EEENS1_44radix_sort_block_sort_config_static_selectorELNS0_4arch9wavefront6targetE1EEEvSJ_
    .private_segment_fixed_size: 0
    .sgpr_count:     6
    .sgpr_spill_count: 0
    .symbol:         _ZN7rocprim17ROCPRIM_400000_NS6detail17trampoline_kernelINS0_13kernel_configILj256ELj4ELj4294967295EEENS1_37radix_sort_block_sort_config_selectorIsNS0_10empty_typeEEEZNS1_21radix_sort_block_sortIS4_Lb0EN6thrust23THRUST_200600_302600_NS6detail15normal_iteratorINSA_10device_ptrIsEEEESF_PS6_SG_NS0_19identity_decomposerEEE10hipError_tT1_T2_T3_T4_jRjT5_jjP12ihipStream_tbEUlT_E_NS1_11comp_targetILNS1_3genE9ELNS1_11target_archE1100ELNS1_3gpuE3ELNS1_3repE0EEENS1_44radix_sort_block_sort_config_static_selectorELNS0_4arch9wavefront6targetE1EEEvSJ_.kd
    .uniform_work_group_size: 1
    .uses_dynamic_stack: false
    .vgpr_count:     0
    .vgpr_spill_count: 0
    .wavefront_size: 64
  - .agpr_count:     0
    .args:
      - .offset:         0
        .size:           48
        .value_kind:     by_value
    .group_segment_fixed_size: 0
    .kernarg_segment_align: 8
    .kernarg_segment_size: 48
    .language:       OpenCL C
    .language_version:
      - 2
      - 0
    .max_flat_workgroup_size: 256
    .name:           _ZN7rocprim17ROCPRIM_400000_NS6detail17trampoline_kernelINS0_13kernel_configILj256ELj4ELj4294967295EEENS1_37radix_sort_block_sort_config_selectorIsNS0_10empty_typeEEEZNS1_21radix_sort_block_sortIS4_Lb0EN6thrust23THRUST_200600_302600_NS6detail15normal_iteratorINSA_10device_ptrIsEEEESF_PS6_SG_NS0_19identity_decomposerEEE10hipError_tT1_T2_T3_T4_jRjT5_jjP12ihipStream_tbEUlT_E_NS1_11comp_targetILNS1_3genE8ELNS1_11target_archE1030ELNS1_3gpuE2ELNS1_3repE0EEENS1_44radix_sort_block_sort_config_static_selectorELNS0_4arch9wavefront6targetE1EEEvSJ_
    .private_segment_fixed_size: 0
    .sgpr_count:     6
    .sgpr_spill_count: 0
    .symbol:         _ZN7rocprim17ROCPRIM_400000_NS6detail17trampoline_kernelINS0_13kernel_configILj256ELj4ELj4294967295EEENS1_37radix_sort_block_sort_config_selectorIsNS0_10empty_typeEEEZNS1_21radix_sort_block_sortIS4_Lb0EN6thrust23THRUST_200600_302600_NS6detail15normal_iteratorINSA_10device_ptrIsEEEESF_PS6_SG_NS0_19identity_decomposerEEE10hipError_tT1_T2_T3_T4_jRjT5_jjP12ihipStream_tbEUlT_E_NS1_11comp_targetILNS1_3genE8ELNS1_11target_archE1030ELNS1_3gpuE2ELNS1_3repE0EEENS1_44radix_sort_block_sort_config_static_selectorELNS0_4arch9wavefront6targetE1EEEvSJ_.kd
    .uniform_work_group_size: 1
    .uses_dynamic_stack: false
    .vgpr_count:     0
    .vgpr_spill_count: 0
    .wavefront_size: 64
  - .agpr_count:     0
    .args:           []
    .group_segment_fixed_size: 0
    .kernarg_segment_align: 4
    .kernarg_segment_size: 0
    .language:       OpenCL C
    .language_version:
      - 2
      - 0
    .max_flat_workgroup_size: 1024
    .name:           _ZN7rocprim17ROCPRIM_400000_NS6detail44device_merge_sort_compile_time_verifier_archINS1_11comp_targetILNS1_3genE0ELNS1_11target_archE4294967295ELNS1_3gpuE0ELNS1_3repE0EEES8_NS1_28merge_sort_block_sort_configILj256ELj4ELNS0_20block_sort_algorithmE0EEENS0_14default_configENS1_37merge_sort_block_sort_config_selectorIsNS0_10empty_typeEEENS1_38merge_sort_block_merge_config_selectorIsSE_EEEEvv
    .private_segment_fixed_size: 0
    .sgpr_count:     6
    .sgpr_spill_count: 0
    .symbol:         _ZN7rocprim17ROCPRIM_400000_NS6detail44device_merge_sort_compile_time_verifier_archINS1_11comp_targetILNS1_3genE0ELNS1_11target_archE4294967295ELNS1_3gpuE0ELNS1_3repE0EEES8_NS1_28merge_sort_block_sort_configILj256ELj4ELNS0_20block_sort_algorithmE0EEENS0_14default_configENS1_37merge_sort_block_sort_config_selectorIsNS0_10empty_typeEEENS1_38merge_sort_block_merge_config_selectorIsSE_EEEEvv.kd
    .uniform_work_group_size: 1
    .uses_dynamic_stack: false
    .vgpr_count:     0
    .vgpr_spill_count: 0
    .wavefront_size: 64
  - .agpr_count:     0
    .args:           []
    .group_segment_fixed_size: 0
    .kernarg_segment_align: 4
    .kernarg_segment_size: 0
    .language:       OpenCL C
    .language_version:
      - 2
      - 0
    .max_flat_workgroup_size: 1024
    .name:           _ZN7rocprim17ROCPRIM_400000_NS6detail44device_merge_sort_compile_time_verifier_archINS1_11comp_targetILNS1_3genE5ELNS1_11target_archE942ELNS1_3gpuE9ELNS1_3repE0EEES8_NS1_28merge_sort_block_sort_configILj256ELj4ELNS0_20block_sort_algorithmE0EEENS0_14default_configENS1_37merge_sort_block_sort_config_selectorIsNS0_10empty_typeEEENS1_38merge_sort_block_merge_config_selectorIsSE_EEEEvv
    .private_segment_fixed_size: 0
    .sgpr_count:     6
    .sgpr_spill_count: 0
    .symbol:         _ZN7rocprim17ROCPRIM_400000_NS6detail44device_merge_sort_compile_time_verifier_archINS1_11comp_targetILNS1_3genE5ELNS1_11target_archE942ELNS1_3gpuE9ELNS1_3repE0EEES8_NS1_28merge_sort_block_sort_configILj256ELj4ELNS0_20block_sort_algorithmE0EEENS0_14default_configENS1_37merge_sort_block_sort_config_selectorIsNS0_10empty_typeEEENS1_38merge_sort_block_merge_config_selectorIsSE_EEEEvv.kd
    .uniform_work_group_size: 1
    .uses_dynamic_stack: false
    .vgpr_count:     0
    .vgpr_spill_count: 0
    .wavefront_size: 64
  - .agpr_count:     0
    .args:           []
    .group_segment_fixed_size: 0
    .kernarg_segment_align: 4
    .kernarg_segment_size: 0
    .language:       OpenCL C
    .language_version:
      - 2
      - 0
    .max_flat_workgroup_size: 1024
    .name:           _ZN7rocprim17ROCPRIM_400000_NS6detail44device_merge_sort_compile_time_verifier_archINS1_11comp_targetILNS1_3genE4ELNS1_11target_archE910ELNS1_3gpuE8ELNS1_3repE0EEES8_NS1_28merge_sort_block_sort_configILj256ELj4ELNS0_20block_sort_algorithmE0EEENS0_14default_configENS1_37merge_sort_block_sort_config_selectorIsNS0_10empty_typeEEENS1_38merge_sort_block_merge_config_selectorIsSE_EEEEvv
    .private_segment_fixed_size: 0
    .sgpr_count:     6
    .sgpr_spill_count: 0
    .symbol:         _ZN7rocprim17ROCPRIM_400000_NS6detail44device_merge_sort_compile_time_verifier_archINS1_11comp_targetILNS1_3genE4ELNS1_11target_archE910ELNS1_3gpuE8ELNS1_3repE0EEES8_NS1_28merge_sort_block_sort_configILj256ELj4ELNS0_20block_sort_algorithmE0EEENS0_14default_configENS1_37merge_sort_block_sort_config_selectorIsNS0_10empty_typeEEENS1_38merge_sort_block_merge_config_selectorIsSE_EEEEvv.kd
    .uniform_work_group_size: 1
    .uses_dynamic_stack: false
    .vgpr_count:     0
    .vgpr_spill_count: 0
    .wavefront_size: 64
  - .agpr_count:     0
    .args:           []
    .group_segment_fixed_size: 0
    .kernarg_segment_align: 4
    .kernarg_segment_size: 0
    .language:       OpenCL C
    .language_version:
      - 2
      - 0
    .max_flat_workgroup_size: 1024
    .name:           _ZN7rocprim17ROCPRIM_400000_NS6detail44device_merge_sort_compile_time_verifier_archINS1_11comp_targetILNS1_3genE3ELNS1_11target_archE908ELNS1_3gpuE7ELNS1_3repE0EEES8_NS1_28merge_sort_block_sort_configILj256ELj4ELNS0_20block_sort_algorithmE0EEENS0_14default_configENS1_37merge_sort_block_sort_config_selectorIsNS0_10empty_typeEEENS1_38merge_sort_block_merge_config_selectorIsSE_EEEEvv
    .private_segment_fixed_size: 0
    .sgpr_count:     6
    .sgpr_spill_count: 0
    .symbol:         _ZN7rocprim17ROCPRIM_400000_NS6detail44device_merge_sort_compile_time_verifier_archINS1_11comp_targetILNS1_3genE3ELNS1_11target_archE908ELNS1_3gpuE7ELNS1_3repE0EEES8_NS1_28merge_sort_block_sort_configILj256ELj4ELNS0_20block_sort_algorithmE0EEENS0_14default_configENS1_37merge_sort_block_sort_config_selectorIsNS0_10empty_typeEEENS1_38merge_sort_block_merge_config_selectorIsSE_EEEEvv.kd
    .uniform_work_group_size: 1
    .uses_dynamic_stack: false
    .vgpr_count:     0
    .vgpr_spill_count: 0
    .wavefront_size: 64
  - .agpr_count:     0
    .args:           []
    .group_segment_fixed_size: 0
    .kernarg_segment_align: 4
    .kernarg_segment_size: 0
    .language:       OpenCL C
    .language_version:
      - 2
      - 0
    .max_flat_workgroup_size: 1024
    .name:           _ZN7rocprim17ROCPRIM_400000_NS6detail44device_merge_sort_compile_time_verifier_archINS1_11comp_targetILNS1_3genE2ELNS1_11target_archE906ELNS1_3gpuE6ELNS1_3repE0EEES8_NS1_28merge_sort_block_sort_configILj256ELj4ELNS0_20block_sort_algorithmE0EEENS0_14default_configENS1_37merge_sort_block_sort_config_selectorIsNS0_10empty_typeEEENS1_38merge_sort_block_merge_config_selectorIsSE_EEEEvv
    .private_segment_fixed_size: 0
    .sgpr_count:     6
    .sgpr_spill_count: 0
    .symbol:         _ZN7rocprim17ROCPRIM_400000_NS6detail44device_merge_sort_compile_time_verifier_archINS1_11comp_targetILNS1_3genE2ELNS1_11target_archE906ELNS1_3gpuE6ELNS1_3repE0EEES8_NS1_28merge_sort_block_sort_configILj256ELj4ELNS0_20block_sort_algorithmE0EEENS0_14default_configENS1_37merge_sort_block_sort_config_selectorIsNS0_10empty_typeEEENS1_38merge_sort_block_merge_config_selectorIsSE_EEEEvv.kd
    .uniform_work_group_size: 1
    .uses_dynamic_stack: false
    .vgpr_count:     0
    .vgpr_spill_count: 0
    .wavefront_size: 64
  - .agpr_count:     0
    .args:           []
    .group_segment_fixed_size: 0
    .kernarg_segment_align: 4
    .kernarg_segment_size: 0
    .language:       OpenCL C
    .language_version:
      - 2
      - 0
    .max_flat_workgroup_size: 1024
    .name:           _ZN7rocprim17ROCPRIM_400000_NS6detail44device_merge_sort_compile_time_verifier_archINS1_11comp_targetILNS1_3genE10ELNS1_11target_archE1201ELNS1_3gpuE5ELNS1_3repE0EEES8_NS1_28merge_sort_block_sort_configILj256ELj4ELNS0_20block_sort_algorithmE0EEENS0_14default_configENS1_37merge_sort_block_sort_config_selectorIsNS0_10empty_typeEEENS1_38merge_sort_block_merge_config_selectorIsSE_EEEEvv
    .private_segment_fixed_size: 0
    .sgpr_count:     6
    .sgpr_spill_count: 0
    .symbol:         _ZN7rocprim17ROCPRIM_400000_NS6detail44device_merge_sort_compile_time_verifier_archINS1_11comp_targetILNS1_3genE10ELNS1_11target_archE1201ELNS1_3gpuE5ELNS1_3repE0EEES8_NS1_28merge_sort_block_sort_configILj256ELj4ELNS0_20block_sort_algorithmE0EEENS0_14default_configENS1_37merge_sort_block_sort_config_selectorIsNS0_10empty_typeEEENS1_38merge_sort_block_merge_config_selectorIsSE_EEEEvv.kd
    .uniform_work_group_size: 1
    .uses_dynamic_stack: false
    .vgpr_count:     0
    .vgpr_spill_count: 0
    .wavefront_size: 64
  - .agpr_count:     0
    .args:           []
    .group_segment_fixed_size: 0
    .kernarg_segment_align: 4
    .kernarg_segment_size: 0
    .language:       OpenCL C
    .language_version:
      - 2
      - 0
    .max_flat_workgroup_size: 1024
    .name:           _ZN7rocprim17ROCPRIM_400000_NS6detail44device_merge_sort_compile_time_verifier_archINS1_11comp_targetILNS1_3genE10ELNS1_11target_archE1200ELNS1_3gpuE4ELNS1_3repE0EEENS3_ILS4_10ELS5_1201ELS6_5ELS7_0EEENS1_28merge_sort_block_sort_configILj256ELj4ELNS0_20block_sort_algorithmE0EEENS0_14default_configENS1_37merge_sort_block_sort_config_selectorIsNS0_10empty_typeEEENS1_38merge_sort_block_merge_config_selectorIsSF_EEEEvv
    .private_segment_fixed_size: 0
    .sgpr_count:     6
    .sgpr_spill_count: 0
    .symbol:         _ZN7rocprim17ROCPRIM_400000_NS6detail44device_merge_sort_compile_time_verifier_archINS1_11comp_targetILNS1_3genE10ELNS1_11target_archE1200ELNS1_3gpuE4ELNS1_3repE0EEENS3_ILS4_10ELS5_1201ELS6_5ELS7_0EEENS1_28merge_sort_block_sort_configILj256ELj4ELNS0_20block_sort_algorithmE0EEENS0_14default_configENS1_37merge_sort_block_sort_config_selectorIsNS0_10empty_typeEEENS1_38merge_sort_block_merge_config_selectorIsSF_EEEEvv.kd
    .uniform_work_group_size: 1
    .uses_dynamic_stack: false
    .vgpr_count:     0
    .vgpr_spill_count: 0
    .wavefront_size: 64
  - .agpr_count:     0
    .args:           []
    .group_segment_fixed_size: 0
    .kernarg_segment_align: 4
    .kernarg_segment_size: 0
    .language:       OpenCL C
    .language_version:
      - 2
      - 0
    .max_flat_workgroup_size: 1024
    .name:           _ZN7rocprim17ROCPRIM_400000_NS6detail44device_merge_sort_compile_time_verifier_archINS1_11comp_targetILNS1_3genE9ELNS1_11target_archE1100ELNS1_3gpuE3ELNS1_3repE0EEES8_NS1_28merge_sort_block_sort_configILj256ELj4ELNS0_20block_sort_algorithmE0EEENS0_14default_configENS1_37merge_sort_block_sort_config_selectorIsNS0_10empty_typeEEENS1_38merge_sort_block_merge_config_selectorIsSE_EEEEvv
    .private_segment_fixed_size: 0
    .sgpr_count:     6
    .sgpr_spill_count: 0
    .symbol:         _ZN7rocprim17ROCPRIM_400000_NS6detail44device_merge_sort_compile_time_verifier_archINS1_11comp_targetILNS1_3genE9ELNS1_11target_archE1100ELNS1_3gpuE3ELNS1_3repE0EEES8_NS1_28merge_sort_block_sort_configILj256ELj4ELNS0_20block_sort_algorithmE0EEENS0_14default_configENS1_37merge_sort_block_sort_config_selectorIsNS0_10empty_typeEEENS1_38merge_sort_block_merge_config_selectorIsSE_EEEEvv.kd
    .uniform_work_group_size: 1
    .uses_dynamic_stack: false
    .vgpr_count:     0
    .vgpr_spill_count: 0
    .wavefront_size: 64
  - .agpr_count:     0
    .args:           []
    .group_segment_fixed_size: 0
    .kernarg_segment_align: 4
    .kernarg_segment_size: 0
    .language:       OpenCL C
    .language_version:
      - 2
      - 0
    .max_flat_workgroup_size: 1024
    .name:           _ZN7rocprim17ROCPRIM_400000_NS6detail44device_merge_sort_compile_time_verifier_archINS1_11comp_targetILNS1_3genE8ELNS1_11target_archE1030ELNS1_3gpuE2ELNS1_3repE0EEES8_NS1_28merge_sort_block_sort_configILj256ELj4ELNS0_20block_sort_algorithmE0EEENS0_14default_configENS1_37merge_sort_block_sort_config_selectorIsNS0_10empty_typeEEENS1_38merge_sort_block_merge_config_selectorIsSE_EEEEvv
    .private_segment_fixed_size: 0
    .sgpr_count:     6
    .sgpr_spill_count: 0
    .symbol:         _ZN7rocprim17ROCPRIM_400000_NS6detail44device_merge_sort_compile_time_verifier_archINS1_11comp_targetILNS1_3genE8ELNS1_11target_archE1030ELNS1_3gpuE2ELNS1_3repE0EEES8_NS1_28merge_sort_block_sort_configILj256ELj4ELNS0_20block_sort_algorithmE0EEENS0_14default_configENS1_37merge_sort_block_sort_config_selectorIsNS0_10empty_typeEEENS1_38merge_sort_block_merge_config_selectorIsSE_EEEEvv.kd
    .uniform_work_group_size: 1
    .uses_dynamic_stack: false
    .vgpr_count:     0
    .vgpr_spill_count: 0
    .wavefront_size: 64
  - .agpr_count:     0
    .args:
      - .offset:         0
        .size:           40
        .value_kind:     by_value
    .group_segment_fixed_size: 0
    .kernarg_segment_align: 8
    .kernarg_segment_size: 40
    .language:       OpenCL C
    .language_version:
      - 2
      - 0
    .max_flat_workgroup_size: 128
    .name:           _ZN7rocprim17ROCPRIM_400000_NS6detail17trampoline_kernelINS0_14default_configENS1_38merge_sort_block_merge_config_selectorIsNS0_10empty_typeEEEZZNS1_27merge_sort_block_merge_implIS3_N6thrust23THRUST_200600_302600_NS6detail15normal_iteratorINS9_10device_ptrIsEEEEPS5_jNS1_19radix_merge_compareILb0ELb0EsNS0_19identity_decomposerEEEEE10hipError_tT0_T1_T2_jT3_P12ihipStream_tbPNSt15iterator_traitsISK_E10value_typeEPNSQ_ISL_E10value_typeEPSM_NS1_7vsmem_tEENKUlT_SK_SL_SM_E_clIPsSE_SF_SF_EESJ_SZ_SK_SL_SM_EUlSZ_E_NS1_11comp_targetILNS1_3genE0ELNS1_11target_archE4294967295ELNS1_3gpuE0ELNS1_3repE0EEENS1_48merge_mergepath_partition_config_static_selectorELNS0_4arch9wavefront6targetE1EEEvSL_
    .private_segment_fixed_size: 0
    .sgpr_count:     6
    .sgpr_spill_count: 0
    .symbol:         _ZN7rocprim17ROCPRIM_400000_NS6detail17trampoline_kernelINS0_14default_configENS1_38merge_sort_block_merge_config_selectorIsNS0_10empty_typeEEEZZNS1_27merge_sort_block_merge_implIS3_N6thrust23THRUST_200600_302600_NS6detail15normal_iteratorINS9_10device_ptrIsEEEEPS5_jNS1_19radix_merge_compareILb0ELb0EsNS0_19identity_decomposerEEEEE10hipError_tT0_T1_T2_jT3_P12ihipStream_tbPNSt15iterator_traitsISK_E10value_typeEPNSQ_ISL_E10value_typeEPSM_NS1_7vsmem_tEENKUlT_SK_SL_SM_E_clIPsSE_SF_SF_EESJ_SZ_SK_SL_SM_EUlSZ_E_NS1_11comp_targetILNS1_3genE0ELNS1_11target_archE4294967295ELNS1_3gpuE0ELNS1_3repE0EEENS1_48merge_mergepath_partition_config_static_selectorELNS0_4arch9wavefront6targetE1EEEvSL_.kd
    .uniform_work_group_size: 1
    .uses_dynamic_stack: false
    .vgpr_count:     0
    .vgpr_spill_count: 0
    .wavefront_size: 64
  - .agpr_count:     0
    .args:
      - .offset:         0
        .size:           40
        .value_kind:     by_value
    .group_segment_fixed_size: 0
    .kernarg_segment_align: 8
    .kernarg_segment_size: 40
    .language:       OpenCL C
    .language_version:
      - 2
      - 0
    .max_flat_workgroup_size: 128
    .name:           _ZN7rocprim17ROCPRIM_400000_NS6detail17trampoline_kernelINS0_14default_configENS1_38merge_sort_block_merge_config_selectorIsNS0_10empty_typeEEEZZNS1_27merge_sort_block_merge_implIS3_N6thrust23THRUST_200600_302600_NS6detail15normal_iteratorINS9_10device_ptrIsEEEEPS5_jNS1_19radix_merge_compareILb0ELb0EsNS0_19identity_decomposerEEEEE10hipError_tT0_T1_T2_jT3_P12ihipStream_tbPNSt15iterator_traitsISK_E10value_typeEPNSQ_ISL_E10value_typeEPSM_NS1_7vsmem_tEENKUlT_SK_SL_SM_E_clIPsSE_SF_SF_EESJ_SZ_SK_SL_SM_EUlSZ_E_NS1_11comp_targetILNS1_3genE10ELNS1_11target_archE1201ELNS1_3gpuE5ELNS1_3repE0EEENS1_48merge_mergepath_partition_config_static_selectorELNS0_4arch9wavefront6targetE1EEEvSL_
    .private_segment_fixed_size: 0
    .sgpr_count:     6
    .sgpr_spill_count: 0
    .symbol:         _ZN7rocprim17ROCPRIM_400000_NS6detail17trampoline_kernelINS0_14default_configENS1_38merge_sort_block_merge_config_selectorIsNS0_10empty_typeEEEZZNS1_27merge_sort_block_merge_implIS3_N6thrust23THRUST_200600_302600_NS6detail15normal_iteratorINS9_10device_ptrIsEEEEPS5_jNS1_19radix_merge_compareILb0ELb0EsNS0_19identity_decomposerEEEEE10hipError_tT0_T1_T2_jT3_P12ihipStream_tbPNSt15iterator_traitsISK_E10value_typeEPNSQ_ISL_E10value_typeEPSM_NS1_7vsmem_tEENKUlT_SK_SL_SM_E_clIPsSE_SF_SF_EESJ_SZ_SK_SL_SM_EUlSZ_E_NS1_11comp_targetILNS1_3genE10ELNS1_11target_archE1201ELNS1_3gpuE5ELNS1_3repE0EEENS1_48merge_mergepath_partition_config_static_selectorELNS0_4arch9wavefront6targetE1EEEvSL_.kd
    .uniform_work_group_size: 1
    .uses_dynamic_stack: false
    .vgpr_count:     0
    .vgpr_spill_count: 0
    .wavefront_size: 64
  - .agpr_count:     0
    .args:
      - .offset:         0
        .size:           40
        .value_kind:     by_value
    .group_segment_fixed_size: 0
    .kernarg_segment_align: 8
    .kernarg_segment_size: 40
    .language:       OpenCL C
    .language_version:
      - 2
      - 0
    .max_flat_workgroup_size: 128
    .name:           _ZN7rocprim17ROCPRIM_400000_NS6detail17trampoline_kernelINS0_14default_configENS1_38merge_sort_block_merge_config_selectorIsNS0_10empty_typeEEEZZNS1_27merge_sort_block_merge_implIS3_N6thrust23THRUST_200600_302600_NS6detail15normal_iteratorINS9_10device_ptrIsEEEEPS5_jNS1_19radix_merge_compareILb0ELb0EsNS0_19identity_decomposerEEEEE10hipError_tT0_T1_T2_jT3_P12ihipStream_tbPNSt15iterator_traitsISK_E10value_typeEPNSQ_ISL_E10value_typeEPSM_NS1_7vsmem_tEENKUlT_SK_SL_SM_E_clIPsSE_SF_SF_EESJ_SZ_SK_SL_SM_EUlSZ_E_NS1_11comp_targetILNS1_3genE5ELNS1_11target_archE942ELNS1_3gpuE9ELNS1_3repE0EEENS1_48merge_mergepath_partition_config_static_selectorELNS0_4arch9wavefront6targetE1EEEvSL_
    .private_segment_fixed_size: 0
    .sgpr_count:     14
    .sgpr_spill_count: 0
    .symbol:         _ZN7rocprim17ROCPRIM_400000_NS6detail17trampoline_kernelINS0_14default_configENS1_38merge_sort_block_merge_config_selectorIsNS0_10empty_typeEEEZZNS1_27merge_sort_block_merge_implIS3_N6thrust23THRUST_200600_302600_NS6detail15normal_iteratorINS9_10device_ptrIsEEEEPS5_jNS1_19radix_merge_compareILb0ELb0EsNS0_19identity_decomposerEEEEE10hipError_tT0_T1_T2_jT3_P12ihipStream_tbPNSt15iterator_traitsISK_E10value_typeEPNSQ_ISL_E10value_typeEPSM_NS1_7vsmem_tEENKUlT_SK_SL_SM_E_clIPsSE_SF_SF_EESJ_SZ_SK_SL_SM_EUlSZ_E_NS1_11comp_targetILNS1_3genE5ELNS1_11target_archE942ELNS1_3gpuE9ELNS1_3repE0EEENS1_48merge_mergepath_partition_config_static_selectorELNS0_4arch9wavefront6targetE1EEEvSL_.kd
    .uniform_work_group_size: 1
    .uses_dynamic_stack: false
    .vgpr_count:     17
    .vgpr_spill_count: 0
    .wavefront_size: 64
  - .agpr_count:     0
    .args:
      - .offset:         0
        .size:           40
        .value_kind:     by_value
    .group_segment_fixed_size: 0
    .kernarg_segment_align: 8
    .kernarg_segment_size: 40
    .language:       OpenCL C
    .language_version:
      - 2
      - 0
    .max_flat_workgroup_size: 128
    .name:           _ZN7rocprim17ROCPRIM_400000_NS6detail17trampoline_kernelINS0_14default_configENS1_38merge_sort_block_merge_config_selectorIsNS0_10empty_typeEEEZZNS1_27merge_sort_block_merge_implIS3_N6thrust23THRUST_200600_302600_NS6detail15normal_iteratorINS9_10device_ptrIsEEEEPS5_jNS1_19radix_merge_compareILb0ELb0EsNS0_19identity_decomposerEEEEE10hipError_tT0_T1_T2_jT3_P12ihipStream_tbPNSt15iterator_traitsISK_E10value_typeEPNSQ_ISL_E10value_typeEPSM_NS1_7vsmem_tEENKUlT_SK_SL_SM_E_clIPsSE_SF_SF_EESJ_SZ_SK_SL_SM_EUlSZ_E_NS1_11comp_targetILNS1_3genE4ELNS1_11target_archE910ELNS1_3gpuE8ELNS1_3repE0EEENS1_48merge_mergepath_partition_config_static_selectorELNS0_4arch9wavefront6targetE1EEEvSL_
    .private_segment_fixed_size: 0
    .sgpr_count:     6
    .sgpr_spill_count: 0
    .symbol:         _ZN7rocprim17ROCPRIM_400000_NS6detail17trampoline_kernelINS0_14default_configENS1_38merge_sort_block_merge_config_selectorIsNS0_10empty_typeEEEZZNS1_27merge_sort_block_merge_implIS3_N6thrust23THRUST_200600_302600_NS6detail15normal_iteratorINS9_10device_ptrIsEEEEPS5_jNS1_19radix_merge_compareILb0ELb0EsNS0_19identity_decomposerEEEEE10hipError_tT0_T1_T2_jT3_P12ihipStream_tbPNSt15iterator_traitsISK_E10value_typeEPNSQ_ISL_E10value_typeEPSM_NS1_7vsmem_tEENKUlT_SK_SL_SM_E_clIPsSE_SF_SF_EESJ_SZ_SK_SL_SM_EUlSZ_E_NS1_11comp_targetILNS1_3genE4ELNS1_11target_archE910ELNS1_3gpuE8ELNS1_3repE0EEENS1_48merge_mergepath_partition_config_static_selectorELNS0_4arch9wavefront6targetE1EEEvSL_.kd
    .uniform_work_group_size: 1
    .uses_dynamic_stack: false
    .vgpr_count:     0
    .vgpr_spill_count: 0
    .wavefront_size: 64
  - .agpr_count:     0
    .args:
      - .offset:         0
        .size:           40
        .value_kind:     by_value
    .group_segment_fixed_size: 0
    .kernarg_segment_align: 8
    .kernarg_segment_size: 40
    .language:       OpenCL C
    .language_version:
      - 2
      - 0
    .max_flat_workgroup_size: 128
    .name:           _ZN7rocprim17ROCPRIM_400000_NS6detail17trampoline_kernelINS0_14default_configENS1_38merge_sort_block_merge_config_selectorIsNS0_10empty_typeEEEZZNS1_27merge_sort_block_merge_implIS3_N6thrust23THRUST_200600_302600_NS6detail15normal_iteratorINS9_10device_ptrIsEEEEPS5_jNS1_19radix_merge_compareILb0ELb0EsNS0_19identity_decomposerEEEEE10hipError_tT0_T1_T2_jT3_P12ihipStream_tbPNSt15iterator_traitsISK_E10value_typeEPNSQ_ISL_E10value_typeEPSM_NS1_7vsmem_tEENKUlT_SK_SL_SM_E_clIPsSE_SF_SF_EESJ_SZ_SK_SL_SM_EUlSZ_E_NS1_11comp_targetILNS1_3genE3ELNS1_11target_archE908ELNS1_3gpuE7ELNS1_3repE0EEENS1_48merge_mergepath_partition_config_static_selectorELNS0_4arch9wavefront6targetE1EEEvSL_
    .private_segment_fixed_size: 0
    .sgpr_count:     6
    .sgpr_spill_count: 0
    .symbol:         _ZN7rocprim17ROCPRIM_400000_NS6detail17trampoline_kernelINS0_14default_configENS1_38merge_sort_block_merge_config_selectorIsNS0_10empty_typeEEEZZNS1_27merge_sort_block_merge_implIS3_N6thrust23THRUST_200600_302600_NS6detail15normal_iteratorINS9_10device_ptrIsEEEEPS5_jNS1_19radix_merge_compareILb0ELb0EsNS0_19identity_decomposerEEEEE10hipError_tT0_T1_T2_jT3_P12ihipStream_tbPNSt15iterator_traitsISK_E10value_typeEPNSQ_ISL_E10value_typeEPSM_NS1_7vsmem_tEENKUlT_SK_SL_SM_E_clIPsSE_SF_SF_EESJ_SZ_SK_SL_SM_EUlSZ_E_NS1_11comp_targetILNS1_3genE3ELNS1_11target_archE908ELNS1_3gpuE7ELNS1_3repE0EEENS1_48merge_mergepath_partition_config_static_selectorELNS0_4arch9wavefront6targetE1EEEvSL_.kd
    .uniform_work_group_size: 1
    .uses_dynamic_stack: false
    .vgpr_count:     0
    .vgpr_spill_count: 0
    .wavefront_size: 64
  - .agpr_count:     0
    .args:
      - .offset:         0
        .size:           40
        .value_kind:     by_value
    .group_segment_fixed_size: 0
    .kernarg_segment_align: 8
    .kernarg_segment_size: 40
    .language:       OpenCL C
    .language_version:
      - 2
      - 0
    .max_flat_workgroup_size: 128
    .name:           _ZN7rocprim17ROCPRIM_400000_NS6detail17trampoline_kernelINS0_14default_configENS1_38merge_sort_block_merge_config_selectorIsNS0_10empty_typeEEEZZNS1_27merge_sort_block_merge_implIS3_N6thrust23THRUST_200600_302600_NS6detail15normal_iteratorINS9_10device_ptrIsEEEEPS5_jNS1_19radix_merge_compareILb0ELb0EsNS0_19identity_decomposerEEEEE10hipError_tT0_T1_T2_jT3_P12ihipStream_tbPNSt15iterator_traitsISK_E10value_typeEPNSQ_ISL_E10value_typeEPSM_NS1_7vsmem_tEENKUlT_SK_SL_SM_E_clIPsSE_SF_SF_EESJ_SZ_SK_SL_SM_EUlSZ_E_NS1_11comp_targetILNS1_3genE2ELNS1_11target_archE906ELNS1_3gpuE6ELNS1_3repE0EEENS1_48merge_mergepath_partition_config_static_selectorELNS0_4arch9wavefront6targetE1EEEvSL_
    .private_segment_fixed_size: 0
    .sgpr_count:     6
    .sgpr_spill_count: 0
    .symbol:         _ZN7rocprim17ROCPRIM_400000_NS6detail17trampoline_kernelINS0_14default_configENS1_38merge_sort_block_merge_config_selectorIsNS0_10empty_typeEEEZZNS1_27merge_sort_block_merge_implIS3_N6thrust23THRUST_200600_302600_NS6detail15normal_iteratorINS9_10device_ptrIsEEEEPS5_jNS1_19radix_merge_compareILb0ELb0EsNS0_19identity_decomposerEEEEE10hipError_tT0_T1_T2_jT3_P12ihipStream_tbPNSt15iterator_traitsISK_E10value_typeEPNSQ_ISL_E10value_typeEPSM_NS1_7vsmem_tEENKUlT_SK_SL_SM_E_clIPsSE_SF_SF_EESJ_SZ_SK_SL_SM_EUlSZ_E_NS1_11comp_targetILNS1_3genE2ELNS1_11target_archE906ELNS1_3gpuE6ELNS1_3repE0EEENS1_48merge_mergepath_partition_config_static_selectorELNS0_4arch9wavefront6targetE1EEEvSL_.kd
    .uniform_work_group_size: 1
    .uses_dynamic_stack: false
    .vgpr_count:     0
    .vgpr_spill_count: 0
    .wavefront_size: 64
  - .agpr_count:     0
    .args:
      - .offset:         0
        .size:           40
        .value_kind:     by_value
    .group_segment_fixed_size: 0
    .kernarg_segment_align: 8
    .kernarg_segment_size: 40
    .language:       OpenCL C
    .language_version:
      - 2
      - 0
    .max_flat_workgroup_size: 128
    .name:           _ZN7rocprim17ROCPRIM_400000_NS6detail17trampoline_kernelINS0_14default_configENS1_38merge_sort_block_merge_config_selectorIsNS0_10empty_typeEEEZZNS1_27merge_sort_block_merge_implIS3_N6thrust23THRUST_200600_302600_NS6detail15normal_iteratorINS9_10device_ptrIsEEEEPS5_jNS1_19radix_merge_compareILb0ELb0EsNS0_19identity_decomposerEEEEE10hipError_tT0_T1_T2_jT3_P12ihipStream_tbPNSt15iterator_traitsISK_E10value_typeEPNSQ_ISL_E10value_typeEPSM_NS1_7vsmem_tEENKUlT_SK_SL_SM_E_clIPsSE_SF_SF_EESJ_SZ_SK_SL_SM_EUlSZ_E_NS1_11comp_targetILNS1_3genE9ELNS1_11target_archE1100ELNS1_3gpuE3ELNS1_3repE0EEENS1_48merge_mergepath_partition_config_static_selectorELNS0_4arch9wavefront6targetE1EEEvSL_
    .private_segment_fixed_size: 0
    .sgpr_count:     6
    .sgpr_spill_count: 0
    .symbol:         _ZN7rocprim17ROCPRIM_400000_NS6detail17trampoline_kernelINS0_14default_configENS1_38merge_sort_block_merge_config_selectorIsNS0_10empty_typeEEEZZNS1_27merge_sort_block_merge_implIS3_N6thrust23THRUST_200600_302600_NS6detail15normal_iteratorINS9_10device_ptrIsEEEEPS5_jNS1_19radix_merge_compareILb0ELb0EsNS0_19identity_decomposerEEEEE10hipError_tT0_T1_T2_jT3_P12ihipStream_tbPNSt15iterator_traitsISK_E10value_typeEPNSQ_ISL_E10value_typeEPSM_NS1_7vsmem_tEENKUlT_SK_SL_SM_E_clIPsSE_SF_SF_EESJ_SZ_SK_SL_SM_EUlSZ_E_NS1_11comp_targetILNS1_3genE9ELNS1_11target_archE1100ELNS1_3gpuE3ELNS1_3repE0EEENS1_48merge_mergepath_partition_config_static_selectorELNS0_4arch9wavefront6targetE1EEEvSL_.kd
    .uniform_work_group_size: 1
    .uses_dynamic_stack: false
    .vgpr_count:     0
    .vgpr_spill_count: 0
    .wavefront_size: 64
  - .agpr_count:     0
    .args:
      - .offset:         0
        .size:           40
        .value_kind:     by_value
    .group_segment_fixed_size: 0
    .kernarg_segment_align: 8
    .kernarg_segment_size: 40
    .language:       OpenCL C
    .language_version:
      - 2
      - 0
    .max_flat_workgroup_size: 128
    .name:           _ZN7rocprim17ROCPRIM_400000_NS6detail17trampoline_kernelINS0_14default_configENS1_38merge_sort_block_merge_config_selectorIsNS0_10empty_typeEEEZZNS1_27merge_sort_block_merge_implIS3_N6thrust23THRUST_200600_302600_NS6detail15normal_iteratorINS9_10device_ptrIsEEEEPS5_jNS1_19radix_merge_compareILb0ELb0EsNS0_19identity_decomposerEEEEE10hipError_tT0_T1_T2_jT3_P12ihipStream_tbPNSt15iterator_traitsISK_E10value_typeEPNSQ_ISL_E10value_typeEPSM_NS1_7vsmem_tEENKUlT_SK_SL_SM_E_clIPsSE_SF_SF_EESJ_SZ_SK_SL_SM_EUlSZ_E_NS1_11comp_targetILNS1_3genE8ELNS1_11target_archE1030ELNS1_3gpuE2ELNS1_3repE0EEENS1_48merge_mergepath_partition_config_static_selectorELNS0_4arch9wavefront6targetE1EEEvSL_
    .private_segment_fixed_size: 0
    .sgpr_count:     6
    .sgpr_spill_count: 0
    .symbol:         _ZN7rocprim17ROCPRIM_400000_NS6detail17trampoline_kernelINS0_14default_configENS1_38merge_sort_block_merge_config_selectorIsNS0_10empty_typeEEEZZNS1_27merge_sort_block_merge_implIS3_N6thrust23THRUST_200600_302600_NS6detail15normal_iteratorINS9_10device_ptrIsEEEEPS5_jNS1_19radix_merge_compareILb0ELb0EsNS0_19identity_decomposerEEEEE10hipError_tT0_T1_T2_jT3_P12ihipStream_tbPNSt15iterator_traitsISK_E10value_typeEPNSQ_ISL_E10value_typeEPSM_NS1_7vsmem_tEENKUlT_SK_SL_SM_E_clIPsSE_SF_SF_EESJ_SZ_SK_SL_SM_EUlSZ_E_NS1_11comp_targetILNS1_3genE8ELNS1_11target_archE1030ELNS1_3gpuE2ELNS1_3repE0EEENS1_48merge_mergepath_partition_config_static_selectorELNS0_4arch9wavefront6targetE1EEEvSL_.kd
    .uniform_work_group_size: 1
    .uses_dynamic_stack: false
    .vgpr_count:     0
    .vgpr_spill_count: 0
    .wavefront_size: 64
  - .agpr_count:     0
    .args:
      - .offset:         0
        .size:           64
        .value_kind:     by_value
    .group_segment_fixed_size: 0
    .kernarg_segment_align: 8
    .kernarg_segment_size: 64
    .language:       OpenCL C
    .language_version:
      - 2
      - 0
    .max_flat_workgroup_size: 128
    .name:           _ZN7rocprim17ROCPRIM_400000_NS6detail17trampoline_kernelINS0_14default_configENS1_38merge_sort_block_merge_config_selectorIsNS0_10empty_typeEEEZZNS1_27merge_sort_block_merge_implIS3_N6thrust23THRUST_200600_302600_NS6detail15normal_iteratorINS9_10device_ptrIsEEEEPS5_jNS1_19radix_merge_compareILb0ELb0EsNS0_19identity_decomposerEEEEE10hipError_tT0_T1_T2_jT3_P12ihipStream_tbPNSt15iterator_traitsISK_E10value_typeEPNSQ_ISL_E10value_typeEPSM_NS1_7vsmem_tEENKUlT_SK_SL_SM_E_clIPsSE_SF_SF_EESJ_SZ_SK_SL_SM_EUlSZ_E0_NS1_11comp_targetILNS1_3genE0ELNS1_11target_archE4294967295ELNS1_3gpuE0ELNS1_3repE0EEENS1_38merge_mergepath_config_static_selectorELNS0_4arch9wavefront6targetE1EEEvSL_
    .private_segment_fixed_size: 0
    .sgpr_count:     6
    .sgpr_spill_count: 0
    .symbol:         _ZN7rocprim17ROCPRIM_400000_NS6detail17trampoline_kernelINS0_14default_configENS1_38merge_sort_block_merge_config_selectorIsNS0_10empty_typeEEEZZNS1_27merge_sort_block_merge_implIS3_N6thrust23THRUST_200600_302600_NS6detail15normal_iteratorINS9_10device_ptrIsEEEEPS5_jNS1_19radix_merge_compareILb0ELb0EsNS0_19identity_decomposerEEEEE10hipError_tT0_T1_T2_jT3_P12ihipStream_tbPNSt15iterator_traitsISK_E10value_typeEPNSQ_ISL_E10value_typeEPSM_NS1_7vsmem_tEENKUlT_SK_SL_SM_E_clIPsSE_SF_SF_EESJ_SZ_SK_SL_SM_EUlSZ_E0_NS1_11comp_targetILNS1_3genE0ELNS1_11target_archE4294967295ELNS1_3gpuE0ELNS1_3repE0EEENS1_38merge_mergepath_config_static_selectorELNS0_4arch9wavefront6targetE1EEEvSL_.kd
    .uniform_work_group_size: 1
    .uses_dynamic_stack: false
    .vgpr_count:     0
    .vgpr_spill_count: 0
    .wavefront_size: 64
  - .agpr_count:     0
    .args:
      - .offset:         0
        .size:           64
        .value_kind:     by_value
    .group_segment_fixed_size: 0
    .kernarg_segment_align: 8
    .kernarg_segment_size: 64
    .language:       OpenCL C
    .language_version:
      - 2
      - 0
    .max_flat_workgroup_size: 128
    .name:           _ZN7rocprim17ROCPRIM_400000_NS6detail17trampoline_kernelINS0_14default_configENS1_38merge_sort_block_merge_config_selectorIsNS0_10empty_typeEEEZZNS1_27merge_sort_block_merge_implIS3_N6thrust23THRUST_200600_302600_NS6detail15normal_iteratorINS9_10device_ptrIsEEEEPS5_jNS1_19radix_merge_compareILb0ELb0EsNS0_19identity_decomposerEEEEE10hipError_tT0_T1_T2_jT3_P12ihipStream_tbPNSt15iterator_traitsISK_E10value_typeEPNSQ_ISL_E10value_typeEPSM_NS1_7vsmem_tEENKUlT_SK_SL_SM_E_clIPsSE_SF_SF_EESJ_SZ_SK_SL_SM_EUlSZ_E0_NS1_11comp_targetILNS1_3genE10ELNS1_11target_archE1201ELNS1_3gpuE5ELNS1_3repE0EEENS1_38merge_mergepath_config_static_selectorELNS0_4arch9wavefront6targetE1EEEvSL_
    .private_segment_fixed_size: 0
    .sgpr_count:     6
    .sgpr_spill_count: 0
    .symbol:         _ZN7rocprim17ROCPRIM_400000_NS6detail17trampoline_kernelINS0_14default_configENS1_38merge_sort_block_merge_config_selectorIsNS0_10empty_typeEEEZZNS1_27merge_sort_block_merge_implIS3_N6thrust23THRUST_200600_302600_NS6detail15normal_iteratorINS9_10device_ptrIsEEEEPS5_jNS1_19radix_merge_compareILb0ELb0EsNS0_19identity_decomposerEEEEE10hipError_tT0_T1_T2_jT3_P12ihipStream_tbPNSt15iterator_traitsISK_E10value_typeEPNSQ_ISL_E10value_typeEPSM_NS1_7vsmem_tEENKUlT_SK_SL_SM_E_clIPsSE_SF_SF_EESJ_SZ_SK_SL_SM_EUlSZ_E0_NS1_11comp_targetILNS1_3genE10ELNS1_11target_archE1201ELNS1_3gpuE5ELNS1_3repE0EEENS1_38merge_mergepath_config_static_selectorELNS0_4arch9wavefront6targetE1EEEvSL_.kd
    .uniform_work_group_size: 1
    .uses_dynamic_stack: false
    .vgpr_count:     0
    .vgpr_spill_count: 0
    .wavefront_size: 64
  - .agpr_count:     0
    .args:
      - .offset:         0
        .size:           64
        .value_kind:     by_value
      - .offset:         64
        .size:           4
        .value_kind:     hidden_block_count_x
      - .offset:         68
        .size:           4
        .value_kind:     hidden_block_count_y
      - .offset:         72
        .size:           4
        .value_kind:     hidden_block_count_z
      - .offset:         76
        .size:           2
        .value_kind:     hidden_group_size_x
      - .offset:         78
        .size:           2
        .value_kind:     hidden_group_size_y
      - .offset:         80
        .size:           2
        .value_kind:     hidden_group_size_z
      - .offset:         82
        .size:           2
        .value_kind:     hidden_remainder_x
      - .offset:         84
        .size:           2
        .value_kind:     hidden_remainder_y
      - .offset:         86
        .size:           2
        .value_kind:     hidden_remainder_z
      - .offset:         104
        .size:           8
        .value_kind:     hidden_global_offset_x
      - .offset:         112
        .size:           8
        .value_kind:     hidden_global_offset_y
      - .offset:         120
        .size:           8
        .value_kind:     hidden_global_offset_z
      - .offset:         128
        .size:           2
        .value_kind:     hidden_grid_dims
    .group_segment_fixed_size: 2112
    .kernarg_segment_align: 8
    .kernarg_segment_size: 320
    .language:       OpenCL C
    .language_version:
      - 2
      - 0
    .max_flat_workgroup_size: 128
    .name:           _ZN7rocprim17ROCPRIM_400000_NS6detail17trampoline_kernelINS0_14default_configENS1_38merge_sort_block_merge_config_selectorIsNS0_10empty_typeEEEZZNS1_27merge_sort_block_merge_implIS3_N6thrust23THRUST_200600_302600_NS6detail15normal_iteratorINS9_10device_ptrIsEEEEPS5_jNS1_19radix_merge_compareILb0ELb0EsNS0_19identity_decomposerEEEEE10hipError_tT0_T1_T2_jT3_P12ihipStream_tbPNSt15iterator_traitsISK_E10value_typeEPNSQ_ISL_E10value_typeEPSM_NS1_7vsmem_tEENKUlT_SK_SL_SM_E_clIPsSE_SF_SF_EESJ_SZ_SK_SL_SM_EUlSZ_E0_NS1_11comp_targetILNS1_3genE5ELNS1_11target_archE942ELNS1_3gpuE9ELNS1_3repE0EEENS1_38merge_mergepath_config_static_selectorELNS0_4arch9wavefront6targetE1EEEvSL_
    .private_segment_fixed_size: 0
    .sgpr_count:     30
    .sgpr_spill_count: 0
    .symbol:         _ZN7rocprim17ROCPRIM_400000_NS6detail17trampoline_kernelINS0_14default_configENS1_38merge_sort_block_merge_config_selectorIsNS0_10empty_typeEEEZZNS1_27merge_sort_block_merge_implIS3_N6thrust23THRUST_200600_302600_NS6detail15normal_iteratorINS9_10device_ptrIsEEEEPS5_jNS1_19radix_merge_compareILb0ELb0EsNS0_19identity_decomposerEEEEE10hipError_tT0_T1_T2_jT3_P12ihipStream_tbPNSt15iterator_traitsISK_E10value_typeEPNSQ_ISL_E10value_typeEPSM_NS1_7vsmem_tEENKUlT_SK_SL_SM_E_clIPsSE_SF_SF_EESJ_SZ_SK_SL_SM_EUlSZ_E0_NS1_11comp_targetILNS1_3genE5ELNS1_11target_archE942ELNS1_3gpuE9ELNS1_3repE0EEENS1_38merge_mergepath_config_static_selectorELNS0_4arch9wavefront6targetE1EEEvSL_.kd
    .uniform_work_group_size: 1
    .uses_dynamic_stack: false
    .vgpr_count:     26
    .vgpr_spill_count: 0
    .wavefront_size: 64
  - .agpr_count:     0
    .args:
      - .offset:         0
        .size:           64
        .value_kind:     by_value
    .group_segment_fixed_size: 0
    .kernarg_segment_align: 8
    .kernarg_segment_size: 64
    .language:       OpenCL C
    .language_version:
      - 2
      - 0
    .max_flat_workgroup_size: 128
    .name:           _ZN7rocprim17ROCPRIM_400000_NS6detail17trampoline_kernelINS0_14default_configENS1_38merge_sort_block_merge_config_selectorIsNS0_10empty_typeEEEZZNS1_27merge_sort_block_merge_implIS3_N6thrust23THRUST_200600_302600_NS6detail15normal_iteratorINS9_10device_ptrIsEEEEPS5_jNS1_19radix_merge_compareILb0ELb0EsNS0_19identity_decomposerEEEEE10hipError_tT0_T1_T2_jT3_P12ihipStream_tbPNSt15iterator_traitsISK_E10value_typeEPNSQ_ISL_E10value_typeEPSM_NS1_7vsmem_tEENKUlT_SK_SL_SM_E_clIPsSE_SF_SF_EESJ_SZ_SK_SL_SM_EUlSZ_E0_NS1_11comp_targetILNS1_3genE4ELNS1_11target_archE910ELNS1_3gpuE8ELNS1_3repE0EEENS1_38merge_mergepath_config_static_selectorELNS0_4arch9wavefront6targetE1EEEvSL_
    .private_segment_fixed_size: 0
    .sgpr_count:     6
    .sgpr_spill_count: 0
    .symbol:         _ZN7rocprim17ROCPRIM_400000_NS6detail17trampoline_kernelINS0_14default_configENS1_38merge_sort_block_merge_config_selectorIsNS0_10empty_typeEEEZZNS1_27merge_sort_block_merge_implIS3_N6thrust23THRUST_200600_302600_NS6detail15normal_iteratorINS9_10device_ptrIsEEEEPS5_jNS1_19radix_merge_compareILb0ELb0EsNS0_19identity_decomposerEEEEE10hipError_tT0_T1_T2_jT3_P12ihipStream_tbPNSt15iterator_traitsISK_E10value_typeEPNSQ_ISL_E10value_typeEPSM_NS1_7vsmem_tEENKUlT_SK_SL_SM_E_clIPsSE_SF_SF_EESJ_SZ_SK_SL_SM_EUlSZ_E0_NS1_11comp_targetILNS1_3genE4ELNS1_11target_archE910ELNS1_3gpuE8ELNS1_3repE0EEENS1_38merge_mergepath_config_static_selectorELNS0_4arch9wavefront6targetE1EEEvSL_.kd
    .uniform_work_group_size: 1
    .uses_dynamic_stack: false
    .vgpr_count:     0
    .vgpr_spill_count: 0
    .wavefront_size: 64
  - .agpr_count:     0
    .args:
      - .offset:         0
        .size:           64
        .value_kind:     by_value
    .group_segment_fixed_size: 0
    .kernarg_segment_align: 8
    .kernarg_segment_size: 64
    .language:       OpenCL C
    .language_version:
      - 2
      - 0
    .max_flat_workgroup_size: 128
    .name:           _ZN7rocprim17ROCPRIM_400000_NS6detail17trampoline_kernelINS0_14default_configENS1_38merge_sort_block_merge_config_selectorIsNS0_10empty_typeEEEZZNS1_27merge_sort_block_merge_implIS3_N6thrust23THRUST_200600_302600_NS6detail15normal_iteratorINS9_10device_ptrIsEEEEPS5_jNS1_19radix_merge_compareILb0ELb0EsNS0_19identity_decomposerEEEEE10hipError_tT0_T1_T2_jT3_P12ihipStream_tbPNSt15iterator_traitsISK_E10value_typeEPNSQ_ISL_E10value_typeEPSM_NS1_7vsmem_tEENKUlT_SK_SL_SM_E_clIPsSE_SF_SF_EESJ_SZ_SK_SL_SM_EUlSZ_E0_NS1_11comp_targetILNS1_3genE3ELNS1_11target_archE908ELNS1_3gpuE7ELNS1_3repE0EEENS1_38merge_mergepath_config_static_selectorELNS0_4arch9wavefront6targetE1EEEvSL_
    .private_segment_fixed_size: 0
    .sgpr_count:     6
    .sgpr_spill_count: 0
    .symbol:         _ZN7rocprim17ROCPRIM_400000_NS6detail17trampoline_kernelINS0_14default_configENS1_38merge_sort_block_merge_config_selectorIsNS0_10empty_typeEEEZZNS1_27merge_sort_block_merge_implIS3_N6thrust23THRUST_200600_302600_NS6detail15normal_iteratorINS9_10device_ptrIsEEEEPS5_jNS1_19radix_merge_compareILb0ELb0EsNS0_19identity_decomposerEEEEE10hipError_tT0_T1_T2_jT3_P12ihipStream_tbPNSt15iterator_traitsISK_E10value_typeEPNSQ_ISL_E10value_typeEPSM_NS1_7vsmem_tEENKUlT_SK_SL_SM_E_clIPsSE_SF_SF_EESJ_SZ_SK_SL_SM_EUlSZ_E0_NS1_11comp_targetILNS1_3genE3ELNS1_11target_archE908ELNS1_3gpuE7ELNS1_3repE0EEENS1_38merge_mergepath_config_static_selectorELNS0_4arch9wavefront6targetE1EEEvSL_.kd
    .uniform_work_group_size: 1
    .uses_dynamic_stack: false
    .vgpr_count:     0
    .vgpr_spill_count: 0
    .wavefront_size: 64
  - .agpr_count:     0
    .args:
      - .offset:         0
        .size:           64
        .value_kind:     by_value
    .group_segment_fixed_size: 0
    .kernarg_segment_align: 8
    .kernarg_segment_size: 64
    .language:       OpenCL C
    .language_version:
      - 2
      - 0
    .max_flat_workgroup_size: 128
    .name:           _ZN7rocprim17ROCPRIM_400000_NS6detail17trampoline_kernelINS0_14default_configENS1_38merge_sort_block_merge_config_selectorIsNS0_10empty_typeEEEZZNS1_27merge_sort_block_merge_implIS3_N6thrust23THRUST_200600_302600_NS6detail15normal_iteratorINS9_10device_ptrIsEEEEPS5_jNS1_19radix_merge_compareILb0ELb0EsNS0_19identity_decomposerEEEEE10hipError_tT0_T1_T2_jT3_P12ihipStream_tbPNSt15iterator_traitsISK_E10value_typeEPNSQ_ISL_E10value_typeEPSM_NS1_7vsmem_tEENKUlT_SK_SL_SM_E_clIPsSE_SF_SF_EESJ_SZ_SK_SL_SM_EUlSZ_E0_NS1_11comp_targetILNS1_3genE2ELNS1_11target_archE906ELNS1_3gpuE6ELNS1_3repE0EEENS1_38merge_mergepath_config_static_selectorELNS0_4arch9wavefront6targetE1EEEvSL_
    .private_segment_fixed_size: 0
    .sgpr_count:     6
    .sgpr_spill_count: 0
    .symbol:         _ZN7rocprim17ROCPRIM_400000_NS6detail17trampoline_kernelINS0_14default_configENS1_38merge_sort_block_merge_config_selectorIsNS0_10empty_typeEEEZZNS1_27merge_sort_block_merge_implIS3_N6thrust23THRUST_200600_302600_NS6detail15normal_iteratorINS9_10device_ptrIsEEEEPS5_jNS1_19radix_merge_compareILb0ELb0EsNS0_19identity_decomposerEEEEE10hipError_tT0_T1_T2_jT3_P12ihipStream_tbPNSt15iterator_traitsISK_E10value_typeEPNSQ_ISL_E10value_typeEPSM_NS1_7vsmem_tEENKUlT_SK_SL_SM_E_clIPsSE_SF_SF_EESJ_SZ_SK_SL_SM_EUlSZ_E0_NS1_11comp_targetILNS1_3genE2ELNS1_11target_archE906ELNS1_3gpuE6ELNS1_3repE0EEENS1_38merge_mergepath_config_static_selectorELNS0_4arch9wavefront6targetE1EEEvSL_.kd
    .uniform_work_group_size: 1
    .uses_dynamic_stack: false
    .vgpr_count:     0
    .vgpr_spill_count: 0
    .wavefront_size: 64
  - .agpr_count:     0
    .args:
      - .offset:         0
        .size:           64
        .value_kind:     by_value
    .group_segment_fixed_size: 0
    .kernarg_segment_align: 8
    .kernarg_segment_size: 64
    .language:       OpenCL C
    .language_version:
      - 2
      - 0
    .max_flat_workgroup_size: 128
    .name:           _ZN7rocprim17ROCPRIM_400000_NS6detail17trampoline_kernelINS0_14default_configENS1_38merge_sort_block_merge_config_selectorIsNS0_10empty_typeEEEZZNS1_27merge_sort_block_merge_implIS3_N6thrust23THRUST_200600_302600_NS6detail15normal_iteratorINS9_10device_ptrIsEEEEPS5_jNS1_19radix_merge_compareILb0ELb0EsNS0_19identity_decomposerEEEEE10hipError_tT0_T1_T2_jT3_P12ihipStream_tbPNSt15iterator_traitsISK_E10value_typeEPNSQ_ISL_E10value_typeEPSM_NS1_7vsmem_tEENKUlT_SK_SL_SM_E_clIPsSE_SF_SF_EESJ_SZ_SK_SL_SM_EUlSZ_E0_NS1_11comp_targetILNS1_3genE9ELNS1_11target_archE1100ELNS1_3gpuE3ELNS1_3repE0EEENS1_38merge_mergepath_config_static_selectorELNS0_4arch9wavefront6targetE1EEEvSL_
    .private_segment_fixed_size: 0
    .sgpr_count:     6
    .sgpr_spill_count: 0
    .symbol:         _ZN7rocprim17ROCPRIM_400000_NS6detail17trampoline_kernelINS0_14default_configENS1_38merge_sort_block_merge_config_selectorIsNS0_10empty_typeEEEZZNS1_27merge_sort_block_merge_implIS3_N6thrust23THRUST_200600_302600_NS6detail15normal_iteratorINS9_10device_ptrIsEEEEPS5_jNS1_19radix_merge_compareILb0ELb0EsNS0_19identity_decomposerEEEEE10hipError_tT0_T1_T2_jT3_P12ihipStream_tbPNSt15iterator_traitsISK_E10value_typeEPNSQ_ISL_E10value_typeEPSM_NS1_7vsmem_tEENKUlT_SK_SL_SM_E_clIPsSE_SF_SF_EESJ_SZ_SK_SL_SM_EUlSZ_E0_NS1_11comp_targetILNS1_3genE9ELNS1_11target_archE1100ELNS1_3gpuE3ELNS1_3repE0EEENS1_38merge_mergepath_config_static_selectorELNS0_4arch9wavefront6targetE1EEEvSL_.kd
    .uniform_work_group_size: 1
    .uses_dynamic_stack: false
    .vgpr_count:     0
    .vgpr_spill_count: 0
    .wavefront_size: 64
  - .agpr_count:     0
    .args:
      - .offset:         0
        .size:           64
        .value_kind:     by_value
    .group_segment_fixed_size: 0
    .kernarg_segment_align: 8
    .kernarg_segment_size: 64
    .language:       OpenCL C
    .language_version:
      - 2
      - 0
    .max_flat_workgroup_size: 128
    .name:           _ZN7rocprim17ROCPRIM_400000_NS6detail17trampoline_kernelINS0_14default_configENS1_38merge_sort_block_merge_config_selectorIsNS0_10empty_typeEEEZZNS1_27merge_sort_block_merge_implIS3_N6thrust23THRUST_200600_302600_NS6detail15normal_iteratorINS9_10device_ptrIsEEEEPS5_jNS1_19radix_merge_compareILb0ELb0EsNS0_19identity_decomposerEEEEE10hipError_tT0_T1_T2_jT3_P12ihipStream_tbPNSt15iterator_traitsISK_E10value_typeEPNSQ_ISL_E10value_typeEPSM_NS1_7vsmem_tEENKUlT_SK_SL_SM_E_clIPsSE_SF_SF_EESJ_SZ_SK_SL_SM_EUlSZ_E0_NS1_11comp_targetILNS1_3genE8ELNS1_11target_archE1030ELNS1_3gpuE2ELNS1_3repE0EEENS1_38merge_mergepath_config_static_selectorELNS0_4arch9wavefront6targetE1EEEvSL_
    .private_segment_fixed_size: 0
    .sgpr_count:     6
    .sgpr_spill_count: 0
    .symbol:         _ZN7rocprim17ROCPRIM_400000_NS6detail17trampoline_kernelINS0_14default_configENS1_38merge_sort_block_merge_config_selectorIsNS0_10empty_typeEEEZZNS1_27merge_sort_block_merge_implIS3_N6thrust23THRUST_200600_302600_NS6detail15normal_iteratorINS9_10device_ptrIsEEEEPS5_jNS1_19radix_merge_compareILb0ELb0EsNS0_19identity_decomposerEEEEE10hipError_tT0_T1_T2_jT3_P12ihipStream_tbPNSt15iterator_traitsISK_E10value_typeEPNSQ_ISL_E10value_typeEPSM_NS1_7vsmem_tEENKUlT_SK_SL_SM_E_clIPsSE_SF_SF_EESJ_SZ_SK_SL_SM_EUlSZ_E0_NS1_11comp_targetILNS1_3genE8ELNS1_11target_archE1030ELNS1_3gpuE2ELNS1_3repE0EEENS1_38merge_mergepath_config_static_selectorELNS0_4arch9wavefront6targetE1EEEvSL_.kd
    .uniform_work_group_size: 1
    .uses_dynamic_stack: false
    .vgpr_count:     0
    .vgpr_spill_count: 0
    .wavefront_size: 64
  - .agpr_count:     0
    .args:
      - .offset:         0
        .size:           48
        .value_kind:     by_value
    .group_segment_fixed_size: 0
    .kernarg_segment_align: 8
    .kernarg_segment_size: 48
    .language:       OpenCL C
    .language_version:
      - 2
      - 0
    .max_flat_workgroup_size: 256
    .name:           _ZN7rocprim17ROCPRIM_400000_NS6detail17trampoline_kernelINS0_14default_configENS1_38merge_sort_block_merge_config_selectorIsNS0_10empty_typeEEEZZNS1_27merge_sort_block_merge_implIS3_N6thrust23THRUST_200600_302600_NS6detail15normal_iteratorINS9_10device_ptrIsEEEEPS5_jNS1_19radix_merge_compareILb0ELb0EsNS0_19identity_decomposerEEEEE10hipError_tT0_T1_T2_jT3_P12ihipStream_tbPNSt15iterator_traitsISK_E10value_typeEPNSQ_ISL_E10value_typeEPSM_NS1_7vsmem_tEENKUlT_SK_SL_SM_E_clIPsSE_SF_SF_EESJ_SZ_SK_SL_SM_EUlSZ_E1_NS1_11comp_targetILNS1_3genE0ELNS1_11target_archE4294967295ELNS1_3gpuE0ELNS1_3repE0EEENS1_36merge_oddeven_config_static_selectorELNS0_4arch9wavefront6targetE1EEEvSL_
    .private_segment_fixed_size: 0
    .sgpr_count:     6
    .sgpr_spill_count: 0
    .symbol:         _ZN7rocprim17ROCPRIM_400000_NS6detail17trampoline_kernelINS0_14default_configENS1_38merge_sort_block_merge_config_selectorIsNS0_10empty_typeEEEZZNS1_27merge_sort_block_merge_implIS3_N6thrust23THRUST_200600_302600_NS6detail15normal_iteratorINS9_10device_ptrIsEEEEPS5_jNS1_19radix_merge_compareILb0ELb0EsNS0_19identity_decomposerEEEEE10hipError_tT0_T1_T2_jT3_P12ihipStream_tbPNSt15iterator_traitsISK_E10value_typeEPNSQ_ISL_E10value_typeEPSM_NS1_7vsmem_tEENKUlT_SK_SL_SM_E_clIPsSE_SF_SF_EESJ_SZ_SK_SL_SM_EUlSZ_E1_NS1_11comp_targetILNS1_3genE0ELNS1_11target_archE4294967295ELNS1_3gpuE0ELNS1_3repE0EEENS1_36merge_oddeven_config_static_selectorELNS0_4arch9wavefront6targetE1EEEvSL_.kd
    .uniform_work_group_size: 1
    .uses_dynamic_stack: false
    .vgpr_count:     0
    .vgpr_spill_count: 0
    .wavefront_size: 64
  - .agpr_count:     0
    .args:
      - .offset:         0
        .size:           48
        .value_kind:     by_value
    .group_segment_fixed_size: 0
    .kernarg_segment_align: 8
    .kernarg_segment_size: 48
    .language:       OpenCL C
    .language_version:
      - 2
      - 0
    .max_flat_workgroup_size: 256
    .name:           _ZN7rocprim17ROCPRIM_400000_NS6detail17trampoline_kernelINS0_14default_configENS1_38merge_sort_block_merge_config_selectorIsNS0_10empty_typeEEEZZNS1_27merge_sort_block_merge_implIS3_N6thrust23THRUST_200600_302600_NS6detail15normal_iteratorINS9_10device_ptrIsEEEEPS5_jNS1_19radix_merge_compareILb0ELb0EsNS0_19identity_decomposerEEEEE10hipError_tT0_T1_T2_jT3_P12ihipStream_tbPNSt15iterator_traitsISK_E10value_typeEPNSQ_ISL_E10value_typeEPSM_NS1_7vsmem_tEENKUlT_SK_SL_SM_E_clIPsSE_SF_SF_EESJ_SZ_SK_SL_SM_EUlSZ_E1_NS1_11comp_targetILNS1_3genE10ELNS1_11target_archE1201ELNS1_3gpuE5ELNS1_3repE0EEENS1_36merge_oddeven_config_static_selectorELNS0_4arch9wavefront6targetE1EEEvSL_
    .private_segment_fixed_size: 0
    .sgpr_count:     6
    .sgpr_spill_count: 0
    .symbol:         _ZN7rocprim17ROCPRIM_400000_NS6detail17trampoline_kernelINS0_14default_configENS1_38merge_sort_block_merge_config_selectorIsNS0_10empty_typeEEEZZNS1_27merge_sort_block_merge_implIS3_N6thrust23THRUST_200600_302600_NS6detail15normal_iteratorINS9_10device_ptrIsEEEEPS5_jNS1_19radix_merge_compareILb0ELb0EsNS0_19identity_decomposerEEEEE10hipError_tT0_T1_T2_jT3_P12ihipStream_tbPNSt15iterator_traitsISK_E10value_typeEPNSQ_ISL_E10value_typeEPSM_NS1_7vsmem_tEENKUlT_SK_SL_SM_E_clIPsSE_SF_SF_EESJ_SZ_SK_SL_SM_EUlSZ_E1_NS1_11comp_targetILNS1_3genE10ELNS1_11target_archE1201ELNS1_3gpuE5ELNS1_3repE0EEENS1_36merge_oddeven_config_static_selectorELNS0_4arch9wavefront6targetE1EEEvSL_.kd
    .uniform_work_group_size: 1
    .uses_dynamic_stack: false
    .vgpr_count:     0
    .vgpr_spill_count: 0
    .wavefront_size: 64
  - .agpr_count:     0
    .args:
      - .offset:         0
        .size:           48
        .value_kind:     by_value
    .group_segment_fixed_size: 0
    .kernarg_segment_align: 8
    .kernarg_segment_size: 48
    .language:       OpenCL C
    .language_version:
      - 2
      - 0
    .max_flat_workgroup_size: 256
    .name:           _ZN7rocprim17ROCPRIM_400000_NS6detail17trampoline_kernelINS0_14default_configENS1_38merge_sort_block_merge_config_selectorIsNS0_10empty_typeEEEZZNS1_27merge_sort_block_merge_implIS3_N6thrust23THRUST_200600_302600_NS6detail15normal_iteratorINS9_10device_ptrIsEEEEPS5_jNS1_19radix_merge_compareILb0ELb0EsNS0_19identity_decomposerEEEEE10hipError_tT0_T1_T2_jT3_P12ihipStream_tbPNSt15iterator_traitsISK_E10value_typeEPNSQ_ISL_E10value_typeEPSM_NS1_7vsmem_tEENKUlT_SK_SL_SM_E_clIPsSE_SF_SF_EESJ_SZ_SK_SL_SM_EUlSZ_E1_NS1_11comp_targetILNS1_3genE5ELNS1_11target_archE942ELNS1_3gpuE9ELNS1_3repE0EEENS1_36merge_oddeven_config_static_selectorELNS0_4arch9wavefront6targetE1EEEvSL_
    .private_segment_fixed_size: 0
    .sgpr_count:     25
    .sgpr_spill_count: 0
    .symbol:         _ZN7rocprim17ROCPRIM_400000_NS6detail17trampoline_kernelINS0_14default_configENS1_38merge_sort_block_merge_config_selectorIsNS0_10empty_typeEEEZZNS1_27merge_sort_block_merge_implIS3_N6thrust23THRUST_200600_302600_NS6detail15normal_iteratorINS9_10device_ptrIsEEEEPS5_jNS1_19radix_merge_compareILb0ELb0EsNS0_19identity_decomposerEEEEE10hipError_tT0_T1_T2_jT3_P12ihipStream_tbPNSt15iterator_traitsISK_E10value_typeEPNSQ_ISL_E10value_typeEPSM_NS1_7vsmem_tEENKUlT_SK_SL_SM_E_clIPsSE_SF_SF_EESJ_SZ_SK_SL_SM_EUlSZ_E1_NS1_11comp_targetILNS1_3genE5ELNS1_11target_archE942ELNS1_3gpuE9ELNS1_3repE0EEENS1_36merge_oddeven_config_static_selectorELNS0_4arch9wavefront6targetE1EEEvSL_.kd
    .uniform_work_group_size: 1
    .uses_dynamic_stack: false
    .vgpr_count:     8
    .vgpr_spill_count: 0
    .wavefront_size: 64
  - .agpr_count:     0
    .args:
      - .offset:         0
        .size:           48
        .value_kind:     by_value
    .group_segment_fixed_size: 0
    .kernarg_segment_align: 8
    .kernarg_segment_size: 48
    .language:       OpenCL C
    .language_version:
      - 2
      - 0
    .max_flat_workgroup_size: 256
    .name:           _ZN7rocprim17ROCPRIM_400000_NS6detail17trampoline_kernelINS0_14default_configENS1_38merge_sort_block_merge_config_selectorIsNS0_10empty_typeEEEZZNS1_27merge_sort_block_merge_implIS3_N6thrust23THRUST_200600_302600_NS6detail15normal_iteratorINS9_10device_ptrIsEEEEPS5_jNS1_19radix_merge_compareILb0ELb0EsNS0_19identity_decomposerEEEEE10hipError_tT0_T1_T2_jT3_P12ihipStream_tbPNSt15iterator_traitsISK_E10value_typeEPNSQ_ISL_E10value_typeEPSM_NS1_7vsmem_tEENKUlT_SK_SL_SM_E_clIPsSE_SF_SF_EESJ_SZ_SK_SL_SM_EUlSZ_E1_NS1_11comp_targetILNS1_3genE4ELNS1_11target_archE910ELNS1_3gpuE8ELNS1_3repE0EEENS1_36merge_oddeven_config_static_selectorELNS0_4arch9wavefront6targetE1EEEvSL_
    .private_segment_fixed_size: 0
    .sgpr_count:     6
    .sgpr_spill_count: 0
    .symbol:         _ZN7rocprim17ROCPRIM_400000_NS6detail17trampoline_kernelINS0_14default_configENS1_38merge_sort_block_merge_config_selectorIsNS0_10empty_typeEEEZZNS1_27merge_sort_block_merge_implIS3_N6thrust23THRUST_200600_302600_NS6detail15normal_iteratorINS9_10device_ptrIsEEEEPS5_jNS1_19radix_merge_compareILb0ELb0EsNS0_19identity_decomposerEEEEE10hipError_tT0_T1_T2_jT3_P12ihipStream_tbPNSt15iterator_traitsISK_E10value_typeEPNSQ_ISL_E10value_typeEPSM_NS1_7vsmem_tEENKUlT_SK_SL_SM_E_clIPsSE_SF_SF_EESJ_SZ_SK_SL_SM_EUlSZ_E1_NS1_11comp_targetILNS1_3genE4ELNS1_11target_archE910ELNS1_3gpuE8ELNS1_3repE0EEENS1_36merge_oddeven_config_static_selectorELNS0_4arch9wavefront6targetE1EEEvSL_.kd
    .uniform_work_group_size: 1
    .uses_dynamic_stack: false
    .vgpr_count:     0
    .vgpr_spill_count: 0
    .wavefront_size: 64
  - .agpr_count:     0
    .args:
      - .offset:         0
        .size:           48
        .value_kind:     by_value
    .group_segment_fixed_size: 0
    .kernarg_segment_align: 8
    .kernarg_segment_size: 48
    .language:       OpenCL C
    .language_version:
      - 2
      - 0
    .max_flat_workgroup_size: 256
    .name:           _ZN7rocprim17ROCPRIM_400000_NS6detail17trampoline_kernelINS0_14default_configENS1_38merge_sort_block_merge_config_selectorIsNS0_10empty_typeEEEZZNS1_27merge_sort_block_merge_implIS3_N6thrust23THRUST_200600_302600_NS6detail15normal_iteratorINS9_10device_ptrIsEEEEPS5_jNS1_19radix_merge_compareILb0ELb0EsNS0_19identity_decomposerEEEEE10hipError_tT0_T1_T2_jT3_P12ihipStream_tbPNSt15iterator_traitsISK_E10value_typeEPNSQ_ISL_E10value_typeEPSM_NS1_7vsmem_tEENKUlT_SK_SL_SM_E_clIPsSE_SF_SF_EESJ_SZ_SK_SL_SM_EUlSZ_E1_NS1_11comp_targetILNS1_3genE3ELNS1_11target_archE908ELNS1_3gpuE7ELNS1_3repE0EEENS1_36merge_oddeven_config_static_selectorELNS0_4arch9wavefront6targetE1EEEvSL_
    .private_segment_fixed_size: 0
    .sgpr_count:     6
    .sgpr_spill_count: 0
    .symbol:         _ZN7rocprim17ROCPRIM_400000_NS6detail17trampoline_kernelINS0_14default_configENS1_38merge_sort_block_merge_config_selectorIsNS0_10empty_typeEEEZZNS1_27merge_sort_block_merge_implIS3_N6thrust23THRUST_200600_302600_NS6detail15normal_iteratorINS9_10device_ptrIsEEEEPS5_jNS1_19radix_merge_compareILb0ELb0EsNS0_19identity_decomposerEEEEE10hipError_tT0_T1_T2_jT3_P12ihipStream_tbPNSt15iterator_traitsISK_E10value_typeEPNSQ_ISL_E10value_typeEPSM_NS1_7vsmem_tEENKUlT_SK_SL_SM_E_clIPsSE_SF_SF_EESJ_SZ_SK_SL_SM_EUlSZ_E1_NS1_11comp_targetILNS1_3genE3ELNS1_11target_archE908ELNS1_3gpuE7ELNS1_3repE0EEENS1_36merge_oddeven_config_static_selectorELNS0_4arch9wavefront6targetE1EEEvSL_.kd
    .uniform_work_group_size: 1
    .uses_dynamic_stack: false
    .vgpr_count:     0
    .vgpr_spill_count: 0
    .wavefront_size: 64
  - .agpr_count:     0
    .args:
      - .offset:         0
        .size:           48
        .value_kind:     by_value
    .group_segment_fixed_size: 0
    .kernarg_segment_align: 8
    .kernarg_segment_size: 48
    .language:       OpenCL C
    .language_version:
      - 2
      - 0
    .max_flat_workgroup_size: 256
    .name:           _ZN7rocprim17ROCPRIM_400000_NS6detail17trampoline_kernelINS0_14default_configENS1_38merge_sort_block_merge_config_selectorIsNS0_10empty_typeEEEZZNS1_27merge_sort_block_merge_implIS3_N6thrust23THRUST_200600_302600_NS6detail15normal_iteratorINS9_10device_ptrIsEEEEPS5_jNS1_19radix_merge_compareILb0ELb0EsNS0_19identity_decomposerEEEEE10hipError_tT0_T1_T2_jT3_P12ihipStream_tbPNSt15iterator_traitsISK_E10value_typeEPNSQ_ISL_E10value_typeEPSM_NS1_7vsmem_tEENKUlT_SK_SL_SM_E_clIPsSE_SF_SF_EESJ_SZ_SK_SL_SM_EUlSZ_E1_NS1_11comp_targetILNS1_3genE2ELNS1_11target_archE906ELNS1_3gpuE6ELNS1_3repE0EEENS1_36merge_oddeven_config_static_selectorELNS0_4arch9wavefront6targetE1EEEvSL_
    .private_segment_fixed_size: 0
    .sgpr_count:     6
    .sgpr_spill_count: 0
    .symbol:         _ZN7rocprim17ROCPRIM_400000_NS6detail17trampoline_kernelINS0_14default_configENS1_38merge_sort_block_merge_config_selectorIsNS0_10empty_typeEEEZZNS1_27merge_sort_block_merge_implIS3_N6thrust23THRUST_200600_302600_NS6detail15normal_iteratorINS9_10device_ptrIsEEEEPS5_jNS1_19radix_merge_compareILb0ELb0EsNS0_19identity_decomposerEEEEE10hipError_tT0_T1_T2_jT3_P12ihipStream_tbPNSt15iterator_traitsISK_E10value_typeEPNSQ_ISL_E10value_typeEPSM_NS1_7vsmem_tEENKUlT_SK_SL_SM_E_clIPsSE_SF_SF_EESJ_SZ_SK_SL_SM_EUlSZ_E1_NS1_11comp_targetILNS1_3genE2ELNS1_11target_archE906ELNS1_3gpuE6ELNS1_3repE0EEENS1_36merge_oddeven_config_static_selectorELNS0_4arch9wavefront6targetE1EEEvSL_.kd
    .uniform_work_group_size: 1
    .uses_dynamic_stack: false
    .vgpr_count:     0
    .vgpr_spill_count: 0
    .wavefront_size: 64
  - .agpr_count:     0
    .args:
      - .offset:         0
        .size:           48
        .value_kind:     by_value
    .group_segment_fixed_size: 0
    .kernarg_segment_align: 8
    .kernarg_segment_size: 48
    .language:       OpenCL C
    .language_version:
      - 2
      - 0
    .max_flat_workgroup_size: 256
    .name:           _ZN7rocprim17ROCPRIM_400000_NS6detail17trampoline_kernelINS0_14default_configENS1_38merge_sort_block_merge_config_selectorIsNS0_10empty_typeEEEZZNS1_27merge_sort_block_merge_implIS3_N6thrust23THRUST_200600_302600_NS6detail15normal_iteratorINS9_10device_ptrIsEEEEPS5_jNS1_19radix_merge_compareILb0ELb0EsNS0_19identity_decomposerEEEEE10hipError_tT0_T1_T2_jT3_P12ihipStream_tbPNSt15iterator_traitsISK_E10value_typeEPNSQ_ISL_E10value_typeEPSM_NS1_7vsmem_tEENKUlT_SK_SL_SM_E_clIPsSE_SF_SF_EESJ_SZ_SK_SL_SM_EUlSZ_E1_NS1_11comp_targetILNS1_3genE9ELNS1_11target_archE1100ELNS1_3gpuE3ELNS1_3repE0EEENS1_36merge_oddeven_config_static_selectorELNS0_4arch9wavefront6targetE1EEEvSL_
    .private_segment_fixed_size: 0
    .sgpr_count:     6
    .sgpr_spill_count: 0
    .symbol:         _ZN7rocprim17ROCPRIM_400000_NS6detail17trampoline_kernelINS0_14default_configENS1_38merge_sort_block_merge_config_selectorIsNS0_10empty_typeEEEZZNS1_27merge_sort_block_merge_implIS3_N6thrust23THRUST_200600_302600_NS6detail15normal_iteratorINS9_10device_ptrIsEEEEPS5_jNS1_19radix_merge_compareILb0ELb0EsNS0_19identity_decomposerEEEEE10hipError_tT0_T1_T2_jT3_P12ihipStream_tbPNSt15iterator_traitsISK_E10value_typeEPNSQ_ISL_E10value_typeEPSM_NS1_7vsmem_tEENKUlT_SK_SL_SM_E_clIPsSE_SF_SF_EESJ_SZ_SK_SL_SM_EUlSZ_E1_NS1_11comp_targetILNS1_3genE9ELNS1_11target_archE1100ELNS1_3gpuE3ELNS1_3repE0EEENS1_36merge_oddeven_config_static_selectorELNS0_4arch9wavefront6targetE1EEEvSL_.kd
    .uniform_work_group_size: 1
    .uses_dynamic_stack: false
    .vgpr_count:     0
    .vgpr_spill_count: 0
    .wavefront_size: 64
  - .agpr_count:     0
    .args:
      - .offset:         0
        .size:           48
        .value_kind:     by_value
    .group_segment_fixed_size: 0
    .kernarg_segment_align: 8
    .kernarg_segment_size: 48
    .language:       OpenCL C
    .language_version:
      - 2
      - 0
    .max_flat_workgroup_size: 256
    .name:           _ZN7rocprim17ROCPRIM_400000_NS6detail17trampoline_kernelINS0_14default_configENS1_38merge_sort_block_merge_config_selectorIsNS0_10empty_typeEEEZZNS1_27merge_sort_block_merge_implIS3_N6thrust23THRUST_200600_302600_NS6detail15normal_iteratorINS9_10device_ptrIsEEEEPS5_jNS1_19radix_merge_compareILb0ELb0EsNS0_19identity_decomposerEEEEE10hipError_tT0_T1_T2_jT3_P12ihipStream_tbPNSt15iterator_traitsISK_E10value_typeEPNSQ_ISL_E10value_typeEPSM_NS1_7vsmem_tEENKUlT_SK_SL_SM_E_clIPsSE_SF_SF_EESJ_SZ_SK_SL_SM_EUlSZ_E1_NS1_11comp_targetILNS1_3genE8ELNS1_11target_archE1030ELNS1_3gpuE2ELNS1_3repE0EEENS1_36merge_oddeven_config_static_selectorELNS0_4arch9wavefront6targetE1EEEvSL_
    .private_segment_fixed_size: 0
    .sgpr_count:     6
    .sgpr_spill_count: 0
    .symbol:         _ZN7rocprim17ROCPRIM_400000_NS6detail17trampoline_kernelINS0_14default_configENS1_38merge_sort_block_merge_config_selectorIsNS0_10empty_typeEEEZZNS1_27merge_sort_block_merge_implIS3_N6thrust23THRUST_200600_302600_NS6detail15normal_iteratorINS9_10device_ptrIsEEEEPS5_jNS1_19radix_merge_compareILb0ELb0EsNS0_19identity_decomposerEEEEE10hipError_tT0_T1_T2_jT3_P12ihipStream_tbPNSt15iterator_traitsISK_E10value_typeEPNSQ_ISL_E10value_typeEPSM_NS1_7vsmem_tEENKUlT_SK_SL_SM_E_clIPsSE_SF_SF_EESJ_SZ_SK_SL_SM_EUlSZ_E1_NS1_11comp_targetILNS1_3genE8ELNS1_11target_archE1030ELNS1_3gpuE2ELNS1_3repE0EEENS1_36merge_oddeven_config_static_selectorELNS0_4arch9wavefront6targetE1EEEvSL_.kd
    .uniform_work_group_size: 1
    .uses_dynamic_stack: false
    .vgpr_count:     0
    .vgpr_spill_count: 0
    .wavefront_size: 64
  - .agpr_count:     0
    .args:
      - .offset:         0
        .size:           40
        .value_kind:     by_value
    .group_segment_fixed_size: 0
    .kernarg_segment_align: 8
    .kernarg_segment_size: 40
    .language:       OpenCL C
    .language_version:
      - 2
      - 0
    .max_flat_workgroup_size: 128
    .name:           _ZN7rocprim17ROCPRIM_400000_NS6detail17trampoline_kernelINS0_14default_configENS1_38merge_sort_block_merge_config_selectorIsNS0_10empty_typeEEEZZNS1_27merge_sort_block_merge_implIS3_N6thrust23THRUST_200600_302600_NS6detail15normal_iteratorINS9_10device_ptrIsEEEEPS5_jNS1_19radix_merge_compareILb0ELb0EsNS0_19identity_decomposerEEEEE10hipError_tT0_T1_T2_jT3_P12ihipStream_tbPNSt15iterator_traitsISK_E10value_typeEPNSQ_ISL_E10value_typeEPSM_NS1_7vsmem_tEENKUlT_SK_SL_SM_E_clISE_PsSF_SF_EESJ_SZ_SK_SL_SM_EUlSZ_E_NS1_11comp_targetILNS1_3genE0ELNS1_11target_archE4294967295ELNS1_3gpuE0ELNS1_3repE0EEENS1_48merge_mergepath_partition_config_static_selectorELNS0_4arch9wavefront6targetE1EEEvSL_
    .private_segment_fixed_size: 0
    .sgpr_count:     6
    .sgpr_spill_count: 0
    .symbol:         _ZN7rocprim17ROCPRIM_400000_NS6detail17trampoline_kernelINS0_14default_configENS1_38merge_sort_block_merge_config_selectorIsNS0_10empty_typeEEEZZNS1_27merge_sort_block_merge_implIS3_N6thrust23THRUST_200600_302600_NS6detail15normal_iteratorINS9_10device_ptrIsEEEEPS5_jNS1_19radix_merge_compareILb0ELb0EsNS0_19identity_decomposerEEEEE10hipError_tT0_T1_T2_jT3_P12ihipStream_tbPNSt15iterator_traitsISK_E10value_typeEPNSQ_ISL_E10value_typeEPSM_NS1_7vsmem_tEENKUlT_SK_SL_SM_E_clISE_PsSF_SF_EESJ_SZ_SK_SL_SM_EUlSZ_E_NS1_11comp_targetILNS1_3genE0ELNS1_11target_archE4294967295ELNS1_3gpuE0ELNS1_3repE0EEENS1_48merge_mergepath_partition_config_static_selectorELNS0_4arch9wavefront6targetE1EEEvSL_.kd
    .uniform_work_group_size: 1
    .uses_dynamic_stack: false
    .vgpr_count:     0
    .vgpr_spill_count: 0
    .wavefront_size: 64
  - .agpr_count:     0
    .args:
      - .offset:         0
        .size:           40
        .value_kind:     by_value
    .group_segment_fixed_size: 0
    .kernarg_segment_align: 8
    .kernarg_segment_size: 40
    .language:       OpenCL C
    .language_version:
      - 2
      - 0
    .max_flat_workgroup_size: 128
    .name:           _ZN7rocprim17ROCPRIM_400000_NS6detail17trampoline_kernelINS0_14default_configENS1_38merge_sort_block_merge_config_selectorIsNS0_10empty_typeEEEZZNS1_27merge_sort_block_merge_implIS3_N6thrust23THRUST_200600_302600_NS6detail15normal_iteratorINS9_10device_ptrIsEEEEPS5_jNS1_19radix_merge_compareILb0ELb0EsNS0_19identity_decomposerEEEEE10hipError_tT0_T1_T2_jT3_P12ihipStream_tbPNSt15iterator_traitsISK_E10value_typeEPNSQ_ISL_E10value_typeEPSM_NS1_7vsmem_tEENKUlT_SK_SL_SM_E_clISE_PsSF_SF_EESJ_SZ_SK_SL_SM_EUlSZ_E_NS1_11comp_targetILNS1_3genE10ELNS1_11target_archE1201ELNS1_3gpuE5ELNS1_3repE0EEENS1_48merge_mergepath_partition_config_static_selectorELNS0_4arch9wavefront6targetE1EEEvSL_
    .private_segment_fixed_size: 0
    .sgpr_count:     6
    .sgpr_spill_count: 0
    .symbol:         _ZN7rocprim17ROCPRIM_400000_NS6detail17trampoline_kernelINS0_14default_configENS1_38merge_sort_block_merge_config_selectorIsNS0_10empty_typeEEEZZNS1_27merge_sort_block_merge_implIS3_N6thrust23THRUST_200600_302600_NS6detail15normal_iteratorINS9_10device_ptrIsEEEEPS5_jNS1_19radix_merge_compareILb0ELb0EsNS0_19identity_decomposerEEEEE10hipError_tT0_T1_T2_jT3_P12ihipStream_tbPNSt15iterator_traitsISK_E10value_typeEPNSQ_ISL_E10value_typeEPSM_NS1_7vsmem_tEENKUlT_SK_SL_SM_E_clISE_PsSF_SF_EESJ_SZ_SK_SL_SM_EUlSZ_E_NS1_11comp_targetILNS1_3genE10ELNS1_11target_archE1201ELNS1_3gpuE5ELNS1_3repE0EEENS1_48merge_mergepath_partition_config_static_selectorELNS0_4arch9wavefront6targetE1EEEvSL_.kd
    .uniform_work_group_size: 1
    .uses_dynamic_stack: false
    .vgpr_count:     0
    .vgpr_spill_count: 0
    .wavefront_size: 64
  - .agpr_count:     0
    .args:
      - .offset:         0
        .size:           40
        .value_kind:     by_value
    .group_segment_fixed_size: 0
    .kernarg_segment_align: 8
    .kernarg_segment_size: 40
    .language:       OpenCL C
    .language_version:
      - 2
      - 0
    .max_flat_workgroup_size: 128
    .name:           _ZN7rocprim17ROCPRIM_400000_NS6detail17trampoline_kernelINS0_14default_configENS1_38merge_sort_block_merge_config_selectorIsNS0_10empty_typeEEEZZNS1_27merge_sort_block_merge_implIS3_N6thrust23THRUST_200600_302600_NS6detail15normal_iteratorINS9_10device_ptrIsEEEEPS5_jNS1_19radix_merge_compareILb0ELb0EsNS0_19identity_decomposerEEEEE10hipError_tT0_T1_T2_jT3_P12ihipStream_tbPNSt15iterator_traitsISK_E10value_typeEPNSQ_ISL_E10value_typeEPSM_NS1_7vsmem_tEENKUlT_SK_SL_SM_E_clISE_PsSF_SF_EESJ_SZ_SK_SL_SM_EUlSZ_E_NS1_11comp_targetILNS1_3genE5ELNS1_11target_archE942ELNS1_3gpuE9ELNS1_3repE0EEENS1_48merge_mergepath_partition_config_static_selectorELNS0_4arch9wavefront6targetE1EEEvSL_
    .private_segment_fixed_size: 0
    .sgpr_count:     14
    .sgpr_spill_count: 0
    .symbol:         _ZN7rocprim17ROCPRIM_400000_NS6detail17trampoline_kernelINS0_14default_configENS1_38merge_sort_block_merge_config_selectorIsNS0_10empty_typeEEEZZNS1_27merge_sort_block_merge_implIS3_N6thrust23THRUST_200600_302600_NS6detail15normal_iteratorINS9_10device_ptrIsEEEEPS5_jNS1_19radix_merge_compareILb0ELb0EsNS0_19identity_decomposerEEEEE10hipError_tT0_T1_T2_jT3_P12ihipStream_tbPNSt15iterator_traitsISK_E10value_typeEPNSQ_ISL_E10value_typeEPSM_NS1_7vsmem_tEENKUlT_SK_SL_SM_E_clISE_PsSF_SF_EESJ_SZ_SK_SL_SM_EUlSZ_E_NS1_11comp_targetILNS1_3genE5ELNS1_11target_archE942ELNS1_3gpuE9ELNS1_3repE0EEENS1_48merge_mergepath_partition_config_static_selectorELNS0_4arch9wavefront6targetE1EEEvSL_.kd
    .uniform_work_group_size: 1
    .uses_dynamic_stack: false
    .vgpr_count:     17
    .vgpr_spill_count: 0
    .wavefront_size: 64
  - .agpr_count:     0
    .args:
      - .offset:         0
        .size:           40
        .value_kind:     by_value
    .group_segment_fixed_size: 0
    .kernarg_segment_align: 8
    .kernarg_segment_size: 40
    .language:       OpenCL C
    .language_version:
      - 2
      - 0
    .max_flat_workgroup_size: 128
    .name:           _ZN7rocprim17ROCPRIM_400000_NS6detail17trampoline_kernelINS0_14default_configENS1_38merge_sort_block_merge_config_selectorIsNS0_10empty_typeEEEZZNS1_27merge_sort_block_merge_implIS3_N6thrust23THRUST_200600_302600_NS6detail15normal_iteratorINS9_10device_ptrIsEEEEPS5_jNS1_19radix_merge_compareILb0ELb0EsNS0_19identity_decomposerEEEEE10hipError_tT0_T1_T2_jT3_P12ihipStream_tbPNSt15iterator_traitsISK_E10value_typeEPNSQ_ISL_E10value_typeEPSM_NS1_7vsmem_tEENKUlT_SK_SL_SM_E_clISE_PsSF_SF_EESJ_SZ_SK_SL_SM_EUlSZ_E_NS1_11comp_targetILNS1_3genE4ELNS1_11target_archE910ELNS1_3gpuE8ELNS1_3repE0EEENS1_48merge_mergepath_partition_config_static_selectorELNS0_4arch9wavefront6targetE1EEEvSL_
    .private_segment_fixed_size: 0
    .sgpr_count:     6
    .sgpr_spill_count: 0
    .symbol:         _ZN7rocprim17ROCPRIM_400000_NS6detail17trampoline_kernelINS0_14default_configENS1_38merge_sort_block_merge_config_selectorIsNS0_10empty_typeEEEZZNS1_27merge_sort_block_merge_implIS3_N6thrust23THRUST_200600_302600_NS6detail15normal_iteratorINS9_10device_ptrIsEEEEPS5_jNS1_19radix_merge_compareILb0ELb0EsNS0_19identity_decomposerEEEEE10hipError_tT0_T1_T2_jT3_P12ihipStream_tbPNSt15iterator_traitsISK_E10value_typeEPNSQ_ISL_E10value_typeEPSM_NS1_7vsmem_tEENKUlT_SK_SL_SM_E_clISE_PsSF_SF_EESJ_SZ_SK_SL_SM_EUlSZ_E_NS1_11comp_targetILNS1_3genE4ELNS1_11target_archE910ELNS1_3gpuE8ELNS1_3repE0EEENS1_48merge_mergepath_partition_config_static_selectorELNS0_4arch9wavefront6targetE1EEEvSL_.kd
    .uniform_work_group_size: 1
    .uses_dynamic_stack: false
    .vgpr_count:     0
    .vgpr_spill_count: 0
    .wavefront_size: 64
  - .agpr_count:     0
    .args:
      - .offset:         0
        .size:           40
        .value_kind:     by_value
    .group_segment_fixed_size: 0
    .kernarg_segment_align: 8
    .kernarg_segment_size: 40
    .language:       OpenCL C
    .language_version:
      - 2
      - 0
    .max_flat_workgroup_size: 128
    .name:           _ZN7rocprim17ROCPRIM_400000_NS6detail17trampoline_kernelINS0_14default_configENS1_38merge_sort_block_merge_config_selectorIsNS0_10empty_typeEEEZZNS1_27merge_sort_block_merge_implIS3_N6thrust23THRUST_200600_302600_NS6detail15normal_iteratorINS9_10device_ptrIsEEEEPS5_jNS1_19radix_merge_compareILb0ELb0EsNS0_19identity_decomposerEEEEE10hipError_tT0_T1_T2_jT3_P12ihipStream_tbPNSt15iterator_traitsISK_E10value_typeEPNSQ_ISL_E10value_typeEPSM_NS1_7vsmem_tEENKUlT_SK_SL_SM_E_clISE_PsSF_SF_EESJ_SZ_SK_SL_SM_EUlSZ_E_NS1_11comp_targetILNS1_3genE3ELNS1_11target_archE908ELNS1_3gpuE7ELNS1_3repE0EEENS1_48merge_mergepath_partition_config_static_selectorELNS0_4arch9wavefront6targetE1EEEvSL_
    .private_segment_fixed_size: 0
    .sgpr_count:     6
    .sgpr_spill_count: 0
    .symbol:         _ZN7rocprim17ROCPRIM_400000_NS6detail17trampoline_kernelINS0_14default_configENS1_38merge_sort_block_merge_config_selectorIsNS0_10empty_typeEEEZZNS1_27merge_sort_block_merge_implIS3_N6thrust23THRUST_200600_302600_NS6detail15normal_iteratorINS9_10device_ptrIsEEEEPS5_jNS1_19radix_merge_compareILb0ELb0EsNS0_19identity_decomposerEEEEE10hipError_tT0_T1_T2_jT3_P12ihipStream_tbPNSt15iterator_traitsISK_E10value_typeEPNSQ_ISL_E10value_typeEPSM_NS1_7vsmem_tEENKUlT_SK_SL_SM_E_clISE_PsSF_SF_EESJ_SZ_SK_SL_SM_EUlSZ_E_NS1_11comp_targetILNS1_3genE3ELNS1_11target_archE908ELNS1_3gpuE7ELNS1_3repE0EEENS1_48merge_mergepath_partition_config_static_selectorELNS0_4arch9wavefront6targetE1EEEvSL_.kd
    .uniform_work_group_size: 1
    .uses_dynamic_stack: false
    .vgpr_count:     0
    .vgpr_spill_count: 0
    .wavefront_size: 64
  - .agpr_count:     0
    .args:
      - .offset:         0
        .size:           40
        .value_kind:     by_value
    .group_segment_fixed_size: 0
    .kernarg_segment_align: 8
    .kernarg_segment_size: 40
    .language:       OpenCL C
    .language_version:
      - 2
      - 0
    .max_flat_workgroup_size: 128
    .name:           _ZN7rocprim17ROCPRIM_400000_NS6detail17trampoline_kernelINS0_14default_configENS1_38merge_sort_block_merge_config_selectorIsNS0_10empty_typeEEEZZNS1_27merge_sort_block_merge_implIS3_N6thrust23THRUST_200600_302600_NS6detail15normal_iteratorINS9_10device_ptrIsEEEEPS5_jNS1_19radix_merge_compareILb0ELb0EsNS0_19identity_decomposerEEEEE10hipError_tT0_T1_T2_jT3_P12ihipStream_tbPNSt15iterator_traitsISK_E10value_typeEPNSQ_ISL_E10value_typeEPSM_NS1_7vsmem_tEENKUlT_SK_SL_SM_E_clISE_PsSF_SF_EESJ_SZ_SK_SL_SM_EUlSZ_E_NS1_11comp_targetILNS1_3genE2ELNS1_11target_archE906ELNS1_3gpuE6ELNS1_3repE0EEENS1_48merge_mergepath_partition_config_static_selectorELNS0_4arch9wavefront6targetE1EEEvSL_
    .private_segment_fixed_size: 0
    .sgpr_count:     6
    .sgpr_spill_count: 0
    .symbol:         _ZN7rocprim17ROCPRIM_400000_NS6detail17trampoline_kernelINS0_14default_configENS1_38merge_sort_block_merge_config_selectorIsNS0_10empty_typeEEEZZNS1_27merge_sort_block_merge_implIS3_N6thrust23THRUST_200600_302600_NS6detail15normal_iteratorINS9_10device_ptrIsEEEEPS5_jNS1_19radix_merge_compareILb0ELb0EsNS0_19identity_decomposerEEEEE10hipError_tT0_T1_T2_jT3_P12ihipStream_tbPNSt15iterator_traitsISK_E10value_typeEPNSQ_ISL_E10value_typeEPSM_NS1_7vsmem_tEENKUlT_SK_SL_SM_E_clISE_PsSF_SF_EESJ_SZ_SK_SL_SM_EUlSZ_E_NS1_11comp_targetILNS1_3genE2ELNS1_11target_archE906ELNS1_3gpuE6ELNS1_3repE0EEENS1_48merge_mergepath_partition_config_static_selectorELNS0_4arch9wavefront6targetE1EEEvSL_.kd
    .uniform_work_group_size: 1
    .uses_dynamic_stack: false
    .vgpr_count:     0
    .vgpr_spill_count: 0
    .wavefront_size: 64
  - .agpr_count:     0
    .args:
      - .offset:         0
        .size:           40
        .value_kind:     by_value
    .group_segment_fixed_size: 0
    .kernarg_segment_align: 8
    .kernarg_segment_size: 40
    .language:       OpenCL C
    .language_version:
      - 2
      - 0
    .max_flat_workgroup_size: 128
    .name:           _ZN7rocprim17ROCPRIM_400000_NS6detail17trampoline_kernelINS0_14default_configENS1_38merge_sort_block_merge_config_selectorIsNS0_10empty_typeEEEZZNS1_27merge_sort_block_merge_implIS3_N6thrust23THRUST_200600_302600_NS6detail15normal_iteratorINS9_10device_ptrIsEEEEPS5_jNS1_19radix_merge_compareILb0ELb0EsNS0_19identity_decomposerEEEEE10hipError_tT0_T1_T2_jT3_P12ihipStream_tbPNSt15iterator_traitsISK_E10value_typeEPNSQ_ISL_E10value_typeEPSM_NS1_7vsmem_tEENKUlT_SK_SL_SM_E_clISE_PsSF_SF_EESJ_SZ_SK_SL_SM_EUlSZ_E_NS1_11comp_targetILNS1_3genE9ELNS1_11target_archE1100ELNS1_3gpuE3ELNS1_3repE0EEENS1_48merge_mergepath_partition_config_static_selectorELNS0_4arch9wavefront6targetE1EEEvSL_
    .private_segment_fixed_size: 0
    .sgpr_count:     6
    .sgpr_spill_count: 0
    .symbol:         _ZN7rocprim17ROCPRIM_400000_NS6detail17trampoline_kernelINS0_14default_configENS1_38merge_sort_block_merge_config_selectorIsNS0_10empty_typeEEEZZNS1_27merge_sort_block_merge_implIS3_N6thrust23THRUST_200600_302600_NS6detail15normal_iteratorINS9_10device_ptrIsEEEEPS5_jNS1_19radix_merge_compareILb0ELb0EsNS0_19identity_decomposerEEEEE10hipError_tT0_T1_T2_jT3_P12ihipStream_tbPNSt15iterator_traitsISK_E10value_typeEPNSQ_ISL_E10value_typeEPSM_NS1_7vsmem_tEENKUlT_SK_SL_SM_E_clISE_PsSF_SF_EESJ_SZ_SK_SL_SM_EUlSZ_E_NS1_11comp_targetILNS1_3genE9ELNS1_11target_archE1100ELNS1_3gpuE3ELNS1_3repE0EEENS1_48merge_mergepath_partition_config_static_selectorELNS0_4arch9wavefront6targetE1EEEvSL_.kd
    .uniform_work_group_size: 1
    .uses_dynamic_stack: false
    .vgpr_count:     0
    .vgpr_spill_count: 0
    .wavefront_size: 64
  - .agpr_count:     0
    .args:
      - .offset:         0
        .size:           40
        .value_kind:     by_value
    .group_segment_fixed_size: 0
    .kernarg_segment_align: 8
    .kernarg_segment_size: 40
    .language:       OpenCL C
    .language_version:
      - 2
      - 0
    .max_flat_workgroup_size: 128
    .name:           _ZN7rocprim17ROCPRIM_400000_NS6detail17trampoline_kernelINS0_14default_configENS1_38merge_sort_block_merge_config_selectorIsNS0_10empty_typeEEEZZNS1_27merge_sort_block_merge_implIS3_N6thrust23THRUST_200600_302600_NS6detail15normal_iteratorINS9_10device_ptrIsEEEEPS5_jNS1_19radix_merge_compareILb0ELb0EsNS0_19identity_decomposerEEEEE10hipError_tT0_T1_T2_jT3_P12ihipStream_tbPNSt15iterator_traitsISK_E10value_typeEPNSQ_ISL_E10value_typeEPSM_NS1_7vsmem_tEENKUlT_SK_SL_SM_E_clISE_PsSF_SF_EESJ_SZ_SK_SL_SM_EUlSZ_E_NS1_11comp_targetILNS1_3genE8ELNS1_11target_archE1030ELNS1_3gpuE2ELNS1_3repE0EEENS1_48merge_mergepath_partition_config_static_selectorELNS0_4arch9wavefront6targetE1EEEvSL_
    .private_segment_fixed_size: 0
    .sgpr_count:     6
    .sgpr_spill_count: 0
    .symbol:         _ZN7rocprim17ROCPRIM_400000_NS6detail17trampoline_kernelINS0_14default_configENS1_38merge_sort_block_merge_config_selectorIsNS0_10empty_typeEEEZZNS1_27merge_sort_block_merge_implIS3_N6thrust23THRUST_200600_302600_NS6detail15normal_iteratorINS9_10device_ptrIsEEEEPS5_jNS1_19radix_merge_compareILb0ELb0EsNS0_19identity_decomposerEEEEE10hipError_tT0_T1_T2_jT3_P12ihipStream_tbPNSt15iterator_traitsISK_E10value_typeEPNSQ_ISL_E10value_typeEPSM_NS1_7vsmem_tEENKUlT_SK_SL_SM_E_clISE_PsSF_SF_EESJ_SZ_SK_SL_SM_EUlSZ_E_NS1_11comp_targetILNS1_3genE8ELNS1_11target_archE1030ELNS1_3gpuE2ELNS1_3repE0EEENS1_48merge_mergepath_partition_config_static_selectorELNS0_4arch9wavefront6targetE1EEEvSL_.kd
    .uniform_work_group_size: 1
    .uses_dynamic_stack: false
    .vgpr_count:     0
    .vgpr_spill_count: 0
    .wavefront_size: 64
  - .agpr_count:     0
    .args:
      - .offset:         0
        .size:           64
        .value_kind:     by_value
    .group_segment_fixed_size: 0
    .kernarg_segment_align: 8
    .kernarg_segment_size: 64
    .language:       OpenCL C
    .language_version:
      - 2
      - 0
    .max_flat_workgroup_size: 128
    .name:           _ZN7rocprim17ROCPRIM_400000_NS6detail17trampoline_kernelINS0_14default_configENS1_38merge_sort_block_merge_config_selectorIsNS0_10empty_typeEEEZZNS1_27merge_sort_block_merge_implIS3_N6thrust23THRUST_200600_302600_NS6detail15normal_iteratorINS9_10device_ptrIsEEEEPS5_jNS1_19radix_merge_compareILb0ELb0EsNS0_19identity_decomposerEEEEE10hipError_tT0_T1_T2_jT3_P12ihipStream_tbPNSt15iterator_traitsISK_E10value_typeEPNSQ_ISL_E10value_typeEPSM_NS1_7vsmem_tEENKUlT_SK_SL_SM_E_clISE_PsSF_SF_EESJ_SZ_SK_SL_SM_EUlSZ_E0_NS1_11comp_targetILNS1_3genE0ELNS1_11target_archE4294967295ELNS1_3gpuE0ELNS1_3repE0EEENS1_38merge_mergepath_config_static_selectorELNS0_4arch9wavefront6targetE1EEEvSL_
    .private_segment_fixed_size: 0
    .sgpr_count:     6
    .sgpr_spill_count: 0
    .symbol:         _ZN7rocprim17ROCPRIM_400000_NS6detail17trampoline_kernelINS0_14default_configENS1_38merge_sort_block_merge_config_selectorIsNS0_10empty_typeEEEZZNS1_27merge_sort_block_merge_implIS3_N6thrust23THRUST_200600_302600_NS6detail15normal_iteratorINS9_10device_ptrIsEEEEPS5_jNS1_19radix_merge_compareILb0ELb0EsNS0_19identity_decomposerEEEEE10hipError_tT0_T1_T2_jT3_P12ihipStream_tbPNSt15iterator_traitsISK_E10value_typeEPNSQ_ISL_E10value_typeEPSM_NS1_7vsmem_tEENKUlT_SK_SL_SM_E_clISE_PsSF_SF_EESJ_SZ_SK_SL_SM_EUlSZ_E0_NS1_11comp_targetILNS1_3genE0ELNS1_11target_archE4294967295ELNS1_3gpuE0ELNS1_3repE0EEENS1_38merge_mergepath_config_static_selectorELNS0_4arch9wavefront6targetE1EEEvSL_.kd
    .uniform_work_group_size: 1
    .uses_dynamic_stack: false
    .vgpr_count:     0
    .vgpr_spill_count: 0
    .wavefront_size: 64
  - .agpr_count:     0
    .args:
      - .offset:         0
        .size:           64
        .value_kind:     by_value
    .group_segment_fixed_size: 0
    .kernarg_segment_align: 8
    .kernarg_segment_size: 64
    .language:       OpenCL C
    .language_version:
      - 2
      - 0
    .max_flat_workgroup_size: 128
    .name:           _ZN7rocprim17ROCPRIM_400000_NS6detail17trampoline_kernelINS0_14default_configENS1_38merge_sort_block_merge_config_selectorIsNS0_10empty_typeEEEZZNS1_27merge_sort_block_merge_implIS3_N6thrust23THRUST_200600_302600_NS6detail15normal_iteratorINS9_10device_ptrIsEEEEPS5_jNS1_19radix_merge_compareILb0ELb0EsNS0_19identity_decomposerEEEEE10hipError_tT0_T1_T2_jT3_P12ihipStream_tbPNSt15iterator_traitsISK_E10value_typeEPNSQ_ISL_E10value_typeEPSM_NS1_7vsmem_tEENKUlT_SK_SL_SM_E_clISE_PsSF_SF_EESJ_SZ_SK_SL_SM_EUlSZ_E0_NS1_11comp_targetILNS1_3genE10ELNS1_11target_archE1201ELNS1_3gpuE5ELNS1_3repE0EEENS1_38merge_mergepath_config_static_selectorELNS0_4arch9wavefront6targetE1EEEvSL_
    .private_segment_fixed_size: 0
    .sgpr_count:     6
    .sgpr_spill_count: 0
    .symbol:         _ZN7rocprim17ROCPRIM_400000_NS6detail17trampoline_kernelINS0_14default_configENS1_38merge_sort_block_merge_config_selectorIsNS0_10empty_typeEEEZZNS1_27merge_sort_block_merge_implIS3_N6thrust23THRUST_200600_302600_NS6detail15normal_iteratorINS9_10device_ptrIsEEEEPS5_jNS1_19radix_merge_compareILb0ELb0EsNS0_19identity_decomposerEEEEE10hipError_tT0_T1_T2_jT3_P12ihipStream_tbPNSt15iterator_traitsISK_E10value_typeEPNSQ_ISL_E10value_typeEPSM_NS1_7vsmem_tEENKUlT_SK_SL_SM_E_clISE_PsSF_SF_EESJ_SZ_SK_SL_SM_EUlSZ_E0_NS1_11comp_targetILNS1_3genE10ELNS1_11target_archE1201ELNS1_3gpuE5ELNS1_3repE0EEENS1_38merge_mergepath_config_static_selectorELNS0_4arch9wavefront6targetE1EEEvSL_.kd
    .uniform_work_group_size: 1
    .uses_dynamic_stack: false
    .vgpr_count:     0
    .vgpr_spill_count: 0
    .wavefront_size: 64
  - .agpr_count:     0
    .args:
      - .offset:         0
        .size:           64
        .value_kind:     by_value
      - .offset:         64
        .size:           4
        .value_kind:     hidden_block_count_x
      - .offset:         68
        .size:           4
        .value_kind:     hidden_block_count_y
      - .offset:         72
        .size:           4
        .value_kind:     hidden_block_count_z
      - .offset:         76
        .size:           2
        .value_kind:     hidden_group_size_x
      - .offset:         78
        .size:           2
        .value_kind:     hidden_group_size_y
      - .offset:         80
        .size:           2
        .value_kind:     hidden_group_size_z
      - .offset:         82
        .size:           2
        .value_kind:     hidden_remainder_x
      - .offset:         84
        .size:           2
        .value_kind:     hidden_remainder_y
      - .offset:         86
        .size:           2
        .value_kind:     hidden_remainder_z
      - .offset:         104
        .size:           8
        .value_kind:     hidden_global_offset_x
      - .offset:         112
        .size:           8
        .value_kind:     hidden_global_offset_y
      - .offset:         120
        .size:           8
        .value_kind:     hidden_global_offset_z
      - .offset:         128
        .size:           2
        .value_kind:     hidden_grid_dims
    .group_segment_fixed_size: 2112
    .kernarg_segment_align: 8
    .kernarg_segment_size: 320
    .language:       OpenCL C
    .language_version:
      - 2
      - 0
    .max_flat_workgroup_size: 128
    .name:           _ZN7rocprim17ROCPRIM_400000_NS6detail17trampoline_kernelINS0_14default_configENS1_38merge_sort_block_merge_config_selectorIsNS0_10empty_typeEEEZZNS1_27merge_sort_block_merge_implIS3_N6thrust23THRUST_200600_302600_NS6detail15normal_iteratorINS9_10device_ptrIsEEEEPS5_jNS1_19radix_merge_compareILb0ELb0EsNS0_19identity_decomposerEEEEE10hipError_tT0_T1_T2_jT3_P12ihipStream_tbPNSt15iterator_traitsISK_E10value_typeEPNSQ_ISL_E10value_typeEPSM_NS1_7vsmem_tEENKUlT_SK_SL_SM_E_clISE_PsSF_SF_EESJ_SZ_SK_SL_SM_EUlSZ_E0_NS1_11comp_targetILNS1_3genE5ELNS1_11target_archE942ELNS1_3gpuE9ELNS1_3repE0EEENS1_38merge_mergepath_config_static_selectorELNS0_4arch9wavefront6targetE1EEEvSL_
    .private_segment_fixed_size: 0
    .sgpr_count:     30
    .sgpr_spill_count: 0
    .symbol:         _ZN7rocprim17ROCPRIM_400000_NS6detail17trampoline_kernelINS0_14default_configENS1_38merge_sort_block_merge_config_selectorIsNS0_10empty_typeEEEZZNS1_27merge_sort_block_merge_implIS3_N6thrust23THRUST_200600_302600_NS6detail15normal_iteratorINS9_10device_ptrIsEEEEPS5_jNS1_19radix_merge_compareILb0ELb0EsNS0_19identity_decomposerEEEEE10hipError_tT0_T1_T2_jT3_P12ihipStream_tbPNSt15iterator_traitsISK_E10value_typeEPNSQ_ISL_E10value_typeEPSM_NS1_7vsmem_tEENKUlT_SK_SL_SM_E_clISE_PsSF_SF_EESJ_SZ_SK_SL_SM_EUlSZ_E0_NS1_11comp_targetILNS1_3genE5ELNS1_11target_archE942ELNS1_3gpuE9ELNS1_3repE0EEENS1_38merge_mergepath_config_static_selectorELNS0_4arch9wavefront6targetE1EEEvSL_.kd
    .uniform_work_group_size: 1
    .uses_dynamic_stack: false
    .vgpr_count:     26
    .vgpr_spill_count: 0
    .wavefront_size: 64
  - .agpr_count:     0
    .args:
      - .offset:         0
        .size:           64
        .value_kind:     by_value
    .group_segment_fixed_size: 0
    .kernarg_segment_align: 8
    .kernarg_segment_size: 64
    .language:       OpenCL C
    .language_version:
      - 2
      - 0
    .max_flat_workgroup_size: 128
    .name:           _ZN7rocprim17ROCPRIM_400000_NS6detail17trampoline_kernelINS0_14default_configENS1_38merge_sort_block_merge_config_selectorIsNS0_10empty_typeEEEZZNS1_27merge_sort_block_merge_implIS3_N6thrust23THRUST_200600_302600_NS6detail15normal_iteratorINS9_10device_ptrIsEEEEPS5_jNS1_19radix_merge_compareILb0ELb0EsNS0_19identity_decomposerEEEEE10hipError_tT0_T1_T2_jT3_P12ihipStream_tbPNSt15iterator_traitsISK_E10value_typeEPNSQ_ISL_E10value_typeEPSM_NS1_7vsmem_tEENKUlT_SK_SL_SM_E_clISE_PsSF_SF_EESJ_SZ_SK_SL_SM_EUlSZ_E0_NS1_11comp_targetILNS1_3genE4ELNS1_11target_archE910ELNS1_3gpuE8ELNS1_3repE0EEENS1_38merge_mergepath_config_static_selectorELNS0_4arch9wavefront6targetE1EEEvSL_
    .private_segment_fixed_size: 0
    .sgpr_count:     6
    .sgpr_spill_count: 0
    .symbol:         _ZN7rocprim17ROCPRIM_400000_NS6detail17trampoline_kernelINS0_14default_configENS1_38merge_sort_block_merge_config_selectorIsNS0_10empty_typeEEEZZNS1_27merge_sort_block_merge_implIS3_N6thrust23THRUST_200600_302600_NS6detail15normal_iteratorINS9_10device_ptrIsEEEEPS5_jNS1_19radix_merge_compareILb0ELb0EsNS0_19identity_decomposerEEEEE10hipError_tT0_T1_T2_jT3_P12ihipStream_tbPNSt15iterator_traitsISK_E10value_typeEPNSQ_ISL_E10value_typeEPSM_NS1_7vsmem_tEENKUlT_SK_SL_SM_E_clISE_PsSF_SF_EESJ_SZ_SK_SL_SM_EUlSZ_E0_NS1_11comp_targetILNS1_3genE4ELNS1_11target_archE910ELNS1_3gpuE8ELNS1_3repE0EEENS1_38merge_mergepath_config_static_selectorELNS0_4arch9wavefront6targetE1EEEvSL_.kd
    .uniform_work_group_size: 1
    .uses_dynamic_stack: false
    .vgpr_count:     0
    .vgpr_spill_count: 0
    .wavefront_size: 64
  - .agpr_count:     0
    .args:
      - .offset:         0
        .size:           64
        .value_kind:     by_value
    .group_segment_fixed_size: 0
    .kernarg_segment_align: 8
    .kernarg_segment_size: 64
    .language:       OpenCL C
    .language_version:
      - 2
      - 0
    .max_flat_workgroup_size: 128
    .name:           _ZN7rocprim17ROCPRIM_400000_NS6detail17trampoline_kernelINS0_14default_configENS1_38merge_sort_block_merge_config_selectorIsNS0_10empty_typeEEEZZNS1_27merge_sort_block_merge_implIS3_N6thrust23THRUST_200600_302600_NS6detail15normal_iteratorINS9_10device_ptrIsEEEEPS5_jNS1_19radix_merge_compareILb0ELb0EsNS0_19identity_decomposerEEEEE10hipError_tT0_T1_T2_jT3_P12ihipStream_tbPNSt15iterator_traitsISK_E10value_typeEPNSQ_ISL_E10value_typeEPSM_NS1_7vsmem_tEENKUlT_SK_SL_SM_E_clISE_PsSF_SF_EESJ_SZ_SK_SL_SM_EUlSZ_E0_NS1_11comp_targetILNS1_3genE3ELNS1_11target_archE908ELNS1_3gpuE7ELNS1_3repE0EEENS1_38merge_mergepath_config_static_selectorELNS0_4arch9wavefront6targetE1EEEvSL_
    .private_segment_fixed_size: 0
    .sgpr_count:     6
    .sgpr_spill_count: 0
    .symbol:         _ZN7rocprim17ROCPRIM_400000_NS6detail17trampoline_kernelINS0_14default_configENS1_38merge_sort_block_merge_config_selectorIsNS0_10empty_typeEEEZZNS1_27merge_sort_block_merge_implIS3_N6thrust23THRUST_200600_302600_NS6detail15normal_iteratorINS9_10device_ptrIsEEEEPS5_jNS1_19radix_merge_compareILb0ELb0EsNS0_19identity_decomposerEEEEE10hipError_tT0_T1_T2_jT3_P12ihipStream_tbPNSt15iterator_traitsISK_E10value_typeEPNSQ_ISL_E10value_typeEPSM_NS1_7vsmem_tEENKUlT_SK_SL_SM_E_clISE_PsSF_SF_EESJ_SZ_SK_SL_SM_EUlSZ_E0_NS1_11comp_targetILNS1_3genE3ELNS1_11target_archE908ELNS1_3gpuE7ELNS1_3repE0EEENS1_38merge_mergepath_config_static_selectorELNS0_4arch9wavefront6targetE1EEEvSL_.kd
    .uniform_work_group_size: 1
    .uses_dynamic_stack: false
    .vgpr_count:     0
    .vgpr_spill_count: 0
    .wavefront_size: 64
  - .agpr_count:     0
    .args:
      - .offset:         0
        .size:           64
        .value_kind:     by_value
    .group_segment_fixed_size: 0
    .kernarg_segment_align: 8
    .kernarg_segment_size: 64
    .language:       OpenCL C
    .language_version:
      - 2
      - 0
    .max_flat_workgroup_size: 128
    .name:           _ZN7rocprim17ROCPRIM_400000_NS6detail17trampoline_kernelINS0_14default_configENS1_38merge_sort_block_merge_config_selectorIsNS0_10empty_typeEEEZZNS1_27merge_sort_block_merge_implIS3_N6thrust23THRUST_200600_302600_NS6detail15normal_iteratorINS9_10device_ptrIsEEEEPS5_jNS1_19radix_merge_compareILb0ELb0EsNS0_19identity_decomposerEEEEE10hipError_tT0_T1_T2_jT3_P12ihipStream_tbPNSt15iterator_traitsISK_E10value_typeEPNSQ_ISL_E10value_typeEPSM_NS1_7vsmem_tEENKUlT_SK_SL_SM_E_clISE_PsSF_SF_EESJ_SZ_SK_SL_SM_EUlSZ_E0_NS1_11comp_targetILNS1_3genE2ELNS1_11target_archE906ELNS1_3gpuE6ELNS1_3repE0EEENS1_38merge_mergepath_config_static_selectorELNS0_4arch9wavefront6targetE1EEEvSL_
    .private_segment_fixed_size: 0
    .sgpr_count:     6
    .sgpr_spill_count: 0
    .symbol:         _ZN7rocprim17ROCPRIM_400000_NS6detail17trampoline_kernelINS0_14default_configENS1_38merge_sort_block_merge_config_selectorIsNS0_10empty_typeEEEZZNS1_27merge_sort_block_merge_implIS3_N6thrust23THRUST_200600_302600_NS6detail15normal_iteratorINS9_10device_ptrIsEEEEPS5_jNS1_19radix_merge_compareILb0ELb0EsNS0_19identity_decomposerEEEEE10hipError_tT0_T1_T2_jT3_P12ihipStream_tbPNSt15iterator_traitsISK_E10value_typeEPNSQ_ISL_E10value_typeEPSM_NS1_7vsmem_tEENKUlT_SK_SL_SM_E_clISE_PsSF_SF_EESJ_SZ_SK_SL_SM_EUlSZ_E0_NS1_11comp_targetILNS1_3genE2ELNS1_11target_archE906ELNS1_3gpuE6ELNS1_3repE0EEENS1_38merge_mergepath_config_static_selectorELNS0_4arch9wavefront6targetE1EEEvSL_.kd
    .uniform_work_group_size: 1
    .uses_dynamic_stack: false
    .vgpr_count:     0
    .vgpr_spill_count: 0
    .wavefront_size: 64
  - .agpr_count:     0
    .args:
      - .offset:         0
        .size:           64
        .value_kind:     by_value
    .group_segment_fixed_size: 0
    .kernarg_segment_align: 8
    .kernarg_segment_size: 64
    .language:       OpenCL C
    .language_version:
      - 2
      - 0
    .max_flat_workgroup_size: 128
    .name:           _ZN7rocprim17ROCPRIM_400000_NS6detail17trampoline_kernelINS0_14default_configENS1_38merge_sort_block_merge_config_selectorIsNS0_10empty_typeEEEZZNS1_27merge_sort_block_merge_implIS3_N6thrust23THRUST_200600_302600_NS6detail15normal_iteratorINS9_10device_ptrIsEEEEPS5_jNS1_19radix_merge_compareILb0ELb0EsNS0_19identity_decomposerEEEEE10hipError_tT0_T1_T2_jT3_P12ihipStream_tbPNSt15iterator_traitsISK_E10value_typeEPNSQ_ISL_E10value_typeEPSM_NS1_7vsmem_tEENKUlT_SK_SL_SM_E_clISE_PsSF_SF_EESJ_SZ_SK_SL_SM_EUlSZ_E0_NS1_11comp_targetILNS1_3genE9ELNS1_11target_archE1100ELNS1_3gpuE3ELNS1_3repE0EEENS1_38merge_mergepath_config_static_selectorELNS0_4arch9wavefront6targetE1EEEvSL_
    .private_segment_fixed_size: 0
    .sgpr_count:     6
    .sgpr_spill_count: 0
    .symbol:         _ZN7rocprim17ROCPRIM_400000_NS6detail17trampoline_kernelINS0_14default_configENS1_38merge_sort_block_merge_config_selectorIsNS0_10empty_typeEEEZZNS1_27merge_sort_block_merge_implIS3_N6thrust23THRUST_200600_302600_NS6detail15normal_iteratorINS9_10device_ptrIsEEEEPS5_jNS1_19radix_merge_compareILb0ELb0EsNS0_19identity_decomposerEEEEE10hipError_tT0_T1_T2_jT3_P12ihipStream_tbPNSt15iterator_traitsISK_E10value_typeEPNSQ_ISL_E10value_typeEPSM_NS1_7vsmem_tEENKUlT_SK_SL_SM_E_clISE_PsSF_SF_EESJ_SZ_SK_SL_SM_EUlSZ_E0_NS1_11comp_targetILNS1_3genE9ELNS1_11target_archE1100ELNS1_3gpuE3ELNS1_3repE0EEENS1_38merge_mergepath_config_static_selectorELNS0_4arch9wavefront6targetE1EEEvSL_.kd
    .uniform_work_group_size: 1
    .uses_dynamic_stack: false
    .vgpr_count:     0
    .vgpr_spill_count: 0
    .wavefront_size: 64
  - .agpr_count:     0
    .args:
      - .offset:         0
        .size:           64
        .value_kind:     by_value
    .group_segment_fixed_size: 0
    .kernarg_segment_align: 8
    .kernarg_segment_size: 64
    .language:       OpenCL C
    .language_version:
      - 2
      - 0
    .max_flat_workgroup_size: 128
    .name:           _ZN7rocprim17ROCPRIM_400000_NS6detail17trampoline_kernelINS0_14default_configENS1_38merge_sort_block_merge_config_selectorIsNS0_10empty_typeEEEZZNS1_27merge_sort_block_merge_implIS3_N6thrust23THRUST_200600_302600_NS6detail15normal_iteratorINS9_10device_ptrIsEEEEPS5_jNS1_19radix_merge_compareILb0ELb0EsNS0_19identity_decomposerEEEEE10hipError_tT0_T1_T2_jT3_P12ihipStream_tbPNSt15iterator_traitsISK_E10value_typeEPNSQ_ISL_E10value_typeEPSM_NS1_7vsmem_tEENKUlT_SK_SL_SM_E_clISE_PsSF_SF_EESJ_SZ_SK_SL_SM_EUlSZ_E0_NS1_11comp_targetILNS1_3genE8ELNS1_11target_archE1030ELNS1_3gpuE2ELNS1_3repE0EEENS1_38merge_mergepath_config_static_selectorELNS0_4arch9wavefront6targetE1EEEvSL_
    .private_segment_fixed_size: 0
    .sgpr_count:     6
    .sgpr_spill_count: 0
    .symbol:         _ZN7rocprim17ROCPRIM_400000_NS6detail17trampoline_kernelINS0_14default_configENS1_38merge_sort_block_merge_config_selectorIsNS0_10empty_typeEEEZZNS1_27merge_sort_block_merge_implIS3_N6thrust23THRUST_200600_302600_NS6detail15normal_iteratorINS9_10device_ptrIsEEEEPS5_jNS1_19radix_merge_compareILb0ELb0EsNS0_19identity_decomposerEEEEE10hipError_tT0_T1_T2_jT3_P12ihipStream_tbPNSt15iterator_traitsISK_E10value_typeEPNSQ_ISL_E10value_typeEPSM_NS1_7vsmem_tEENKUlT_SK_SL_SM_E_clISE_PsSF_SF_EESJ_SZ_SK_SL_SM_EUlSZ_E0_NS1_11comp_targetILNS1_3genE8ELNS1_11target_archE1030ELNS1_3gpuE2ELNS1_3repE0EEENS1_38merge_mergepath_config_static_selectorELNS0_4arch9wavefront6targetE1EEEvSL_.kd
    .uniform_work_group_size: 1
    .uses_dynamic_stack: false
    .vgpr_count:     0
    .vgpr_spill_count: 0
    .wavefront_size: 64
  - .agpr_count:     0
    .args:
      - .offset:         0
        .size:           48
        .value_kind:     by_value
    .group_segment_fixed_size: 0
    .kernarg_segment_align: 8
    .kernarg_segment_size: 48
    .language:       OpenCL C
    .language_version:
      - 2
      - 0
    .max_flat_workgroup_size: 256
    .name:           _ZN7rocprim17ROCPRIM_400000_NS6detail17trampoline_kernelINS0_14default_configENS1_38merge_sort_block_merge_config_selectorIsNS0_10empty_typeEEEZZNS1_27merge_sort_block_merge_implIS3_N6thrust23THRUST_200600_302600_NS6detail15normal_iteratorINS9_10device_ptrIsEEEEPS5_jNS1_19radix_merge_compareILb0ELb0EsNS0_19identity_decomposerEEEEE10hipError_tT0_T1_T2_jT3_P12ihipStream_tbPNSt15iterator_traitsISK_E10value_typeEPNSQ_ISL_E10value_typeEPSM_NS1_7vsmem_tEENKUlT_SK_SL_SM_E_clISE_PsSF_SF_EESJ_SZ_SK_SL_SM_EUlSZ_E1_NS1_11comp_targetILNS1_3genE0ELNS1_11target_archE4294967295ELNS1_3gpuE0ELNS1_3repE0EEENS1_36merge_oddeven_config_static_selectorELNS0_4arch9wavefront6targetE1EEEvSL_
    .private_segment_fixed_size: 0
    .sgpr_count:     6
    .sgpr_spill_count: 0
    .symbol:         _ZN7rocprim17ROCPRIM_400000_NS6detail17trampoline_kernelINS0_14default_configENS1_38merge_sort_block_merge_config_selectorIsNS0_10empty_typeEEEZZNS1_27merge_sort_block_merge_implIS3_N6thrust23THRUST_200600_302600_NS6detail15normal_iteratorINS9_10device_ptrIsEEEEPS5_jNS1_19radix_merge_compareILb0ELb0EsNS0_19identity_decomposerEEEEE10hipError_tT0_T1_T2_jT3_P12ihipStream_tbPNSt15iterator_traitsISK_E10value_typeEPNSQ_ISL_E10value_typeEPSM_NS1_7vsmem_tEENKUlT_SK_SL_SM_E_clISE_PsSF_SF_EESJ_SZ_SK_SL_SM_EUlSZ_E1_NS1_11comp_targetILNS1_3genE0ELNS1_11target_archE4294967295ELNS1_3gpuE0ELNS1_3repE0EEENS1_36merge_oddeven_config_static_selectorELNS0_4arch9wavefront6targetE1EEEvSL_.kd
    .uniform_work_group_size: 1
    .uses_dynamic_stack: false
    .vgpr_count:     0
    .vgpr_spill_count: 0
    .wavefront_size: 64
  - .agpr_count:     0
    .args:
      - .offset:         0
        .size:           48
        .value_kind:     by_value
    .group_segment_fixed_size: 0
    .kernarg_segment_align: 8
    .kernarg_segment_size: 48
    .language:       OpenCL C
    .language_version:
      - 2
      - 0
    .max_flat_workgroup_size: 256
    .name:           _ZN7rocprim17ROCPRIM_400000_NS6detail17trampoline_kernelINS0_14default_configENS1_38merge_sort_block_merge_config_selectorIsNS0_10empty_typeEEEZZNS1_27merge_sort_block_merge_implIS3_N6thrust23THRUST_200600_302600_NS6detail15normal_iteratorINS9_10device_ptrIsEEEEPS5_jNS1_19radix_merge_compareILb0ELb0EsNS0_19identity_decomposerEEEEE10hipError_tT0_T1_T2_jT3_P12ihipStream_tbPNSt15iterator_traitsISK_E10value_typeEPNSQ_ISL_E10value_typeEPSM_NS1_7vsmem_tEENKUlT_SK_SL_SM_E_clISE_PsSF_SF_EESJ_SZ_SK_SL_SM_EUlSZ_E1_NS1_11comp_targetILNS1_3genE10ELNS1_11target_archE1201ELNS1_3gpuE5ELNS1_3repE0EEENS1_36merge_oddeven_config_static_selectorELNS0_4arch9wavefront6targetE1EEEvSL_
    .private_segment_fixed_size: 0
    .sgpr_count:     6
    .sgpr_spill_count: 0
    .symbol:         _ZN7rocprim17ROCPRIM_400000_NS6detail17trampoline_kernelINS0_14default_configENS1_38merge_sort_block_merge_config_selectorIsNS0_10empty_typeEEEZZNS1_27merge_sort_block_merge_implIS3_N6thrust23THRUST_200600_302600_NS6detail15normal_iteratorINS9_10device_ptrIsEEEEPS5_jNS1_19radix_merge_compareILb0ELb0EsNS0_19identity_decomposerEEEEE10hipError_tT0_T1_T2_jT3_P12ihipStream_tbPNSt15iterator_traitsISK_E10value_typeEPNSQ_ISL_E10value_typeEPSM_NS1_7vsmem_tEENKUlT_SK_SL_SM_E_clISE_PsSF_SF_EESJ_SZ_SK_SL_SM_EUlSZ_E1_NS1_11comp_targetILNS1_3genE10ELNS1_11target_archE1201ELNS1_3gpuE5ELNS1_3repE0EEENS1_36merge_oddeven_config_static_selectorELNS0_4arch9wavefront6targetE1EEEvSL_.kd
    .uniform_work_group_size: 1
    .uses_dynamic_stack: false
    .vgpr_count:     0
    .vgpr_spill_count: 0
    .wavefront_size: 64
  - .agpr_count:     0
    .args:
      - .offset:         0
        .size:           48
        .value_kind:     by_value
    .group_segment_fixed_size: 0
    .kernarg_segment_align: 8
    .kernarg_segment_size: 48
    .language:       OpenCL C
    .language_version:
      - 2
      - 0
    .max_flat_workgroup_size: 256
    .name:           _ZN7rocprim17ROCPRIM_400000_NS6detail17trampoline_kernelINS0_14default_configENS1_38merge_sort_block_merge_config_selectorIsNS0_10empty_typeEEEZZNS1_27merge_sort_block_merge_implIS3_N6thrust23THRUST_200600_302600_NS6detail15normal_iteratorINS9_10device_ptrIsEEEEPS5_jNS1_19radix_merge_compareILb0ELb0EsNS0_19identity_decomposerEEEEE10hipError_tT0_T1_T2_jT3_P12ihipStream_tbPNSt15iterator_traitsISK_E10value_typeEPNSQ_ISL_E10value_typeEPSM_NS1_7vsmem_tEENKUlT_SK_SL_SM_E_clISE_PsSF_SF_EESJ_SZ_SK_SL_SM_EUlSZ_E1_NS1_11comp_targetILNS1_3genE5ELNS1_11target_archE942ELNS1_3gpuE9ELNS1_3repE0EEENS1_36merge_oddeven_config_static_selectorELNS0_4arch9wavefront6targetE1EEEvSL_
    .private_segment_fixed_size: 0
    .sgpr_count:     25
    .sgpr_spill_count: 0
    .symbol:         _ZN7rocprim17ROCPRIM_400000_NS6detail17trampoline_kernelINS0_14default_configENS1_38merge_sort_block_merge_config_selectorIsNS0_10empty_typeEEEZZNS1_27merge_sort_block_merge_implIS3_N6thrust23THRUST_200600_302600_NS6detail15normal_iteratorINS9_10device_ptrIsEEEEPS5_jNS1_19radix_merge_compareILb0ELb0EsNS0_19identity_decomposerEEEEE10hipError_tT0_T1_T2_jT3_P12ihipStream_tbPNSt15iterator_traitsISK_E10value_typeEPNSQ_ISL_E10value_typeEPSM_NS1_7vsmem_tEENKUlT_SK_SL_SM_E_clISE_PsSF_SF_EESJ_SZ_SK_SL_SM_EUlSZ_E1_NS1_11comp_targetILNS1_3genE5ELNS1_11target_archE942ELNS1_3gpuE9ELNS1_3repE0EEENS1_36merge_oddeven_config_static_selectorELNS0_4arch9wavefront6targetE1EEEvSL_.kd
    .uniform_work_group_size: 1
    .uses_dynamic_stack: false
    .vgpr_count:     8
    .vgpr_spill_count: 0
    .wavefront_size: 64
  - .agpr_count:     0
    .args:
      - .offset:         0
        .size:           48
        .value_kind:     by_value
    .group_segment_fixed_size: 0
    .kernarg_segment_align: 8
    .kernarg_segment_size: 48
    .language:       OpenCL C
    .language_version:
      - 2
      - 0
    .max_flat_workgroup_size: 256
    .name:           _ZN7rocprim17ROCPRIM_400000_NS6detail17trampoline_kernelINS0_14default_configENS1_38merge_sort_block_merge_config_selectorIsNS0_10empty_typeEEEZZNS1_27merge_sort_block_merge_implIS3_N6thrust23THRUST_200600_302600_NS6detail15normal_iteratorINS9_10device_ptrIsEEEEPS5_jNS1_19radix_merge_compareILb0ELb0EsNS0_19identity_decomposerEEEEE10hipError_tT0_T1_T2_jT3_P12ihipStream_tbPNSt15iterator_traitsISK_E10value_typeEPNSQ_ISL_E10value_typeEPSM_NS1_7vsmem_tEENKUlT_SK_SL_SM_E_clISE_PsSF_SF_EESJ_SZ_SK_SL_SM_EUlSZ_E1_NS1_11comp_targetILNS1_3genE4ELNS1_11target_archE910ELNS1_3gpuE8ELNS1_3repE0EEENS1_36merge_oddeven_config_static_selectorELNS0_4arch9wavefront6targetE1EEEvSL_
    .private_segment_fixed_size: 0
    .sgpr_count:     6
    .sgpr_spill_count: 0
    .symbol:         _ZN7rocprim17ROCPRIM_400000_NS6detail17trampoline_kernelINS0_14default_configENS1_38merge_sort_block_merge_config_selectorIsNS0_10empty_typeEEEZZNS1_27merge_sort_block_merge_implIS3_N6thrust23THRUST_200600_302600_NS6detail15normal_iteratorINS9_10device_ptrIsEEEEPS5_jNS1_19radix_merge_compareILb0ELb0EsNS0_19identity_decomposerEEEEE10hipError_tT0_T1_T2_jT3_P12ihipStream_tbPNSt15iterator_traitsISK_E10value_typeEPNSQ_ISL_E10value_typeEPSM_NS1_7vsmem_tEENKUlT_SK_SL_SM_E_clISE_PsSF_SF_EESJ_SZ_SK_SL_SM_EUlSZ_E1_NS1_11comp_targetILNS1_3genE4ELNS1_11target_archE910ELNS1_3gpuE8ELNS1_3repE0EEENS1_36merge_oddeven_config_static_selectorELNS0_4arch9wavefront6targetE1EEEvSL_.kd
    .uniform_work_group_size: 1
    .uses_dynamic_stack: false
    .vgpr_count:     0
    .vgpr_spill_count: 0
    .wavefront_size: 64
  - .agpr_count:     0
    .args:
      - .offset:         0
        .size:           48
        .value_kind:     by_value
    .group_segment_fixed_size: 0
    .kernarg_segment_align: 8
    .kernarg_segment_size: 48
    .language:       OpenCL C
    .language_version:
      - 2
      - 0
    .max_flat_workgroup_size: 256
    .name:           _ZN7rocprim17ROCPRIM_400000_NS6detail17trampoline_kernelINS0_14default_configENS1_38merge_sort_block_merge_config_selectorIsNS0_10empty_typeEEEZZNS1_27merge_sort_block_merge_implIS3_N6thrust23THRUST_200600_302600_NS6detail15normal_iteratorINS9_10device_ptrIsEEEEPS5_jNS1_19radix_merge_compareILb0ELb0EsNS0_19identity_decomposerEEEEE10hipError_tT0_T1_T2_jT3_P12ihipStream_tbPNSt15iterator_traitsISK_E10value_typeEPNSQ_ISL_E10value_typeEPSM_NS1_7vsmem_tEENKUlT_SK_SL_SM_E_clISE_PsSF_SF_EESJ_SZ_SK_SL_SM_EUlSZ_E1_NS1_11comp_targetILNS1_3genE3ELNS1_11target_archE908ELNS1_3gpuE7ELNS1_3repE0EEENS1_36merge_oddeven_config_static_selectorELNS0_4arch9wavefront6targetE1EEEvSL_
    .private_segment_fixed_size: 0
    .sgpr_count:     6
    .sgpr_spill_count: 0
    .symbol:         _ZN7rocprim17ROCPRIM_400000_NS6detail17trampoline_kernelINS0_14default_configENS1_38merge_sort_block_merge_config_selectorIsNS0_10empty_typeEEEZZNS1_27merge_sort_block_merge_implIS3_N6thrust23THRUST_200600_302600_NS6detail15normal_iteratorINS9_10device_ptrIsEEEEPS5_jNS1_19radix_merge_compareILb0ELb0EsNS0_19identity_decomposerEEEEE10hipError_tT0_T1_T2_jT3_P12ihipStream_tbPNSt15iterator_traitsISK_E10value_typeEPNSQ_ISL_E10value_typeEPSM_NS1_7vsmem_tEENKUlT_SK_SL_SM_E_clISE_PsSF_SF_EESJ_SZ_SK_SL_SM_EUlSZ_E1_NS1_11comp_targetILNS1_3genE3ELNS1_11target_archE908ELNS1_3gpuE7ELNS1_3repE0EEENS1_36merge_oddeven_config_static_selectorELNS0_4arch9wavefront6targetE1EEEvSL_.kd
    .uniform_work_group_size: 1
    .uses_dynamic_stack: false
    .vgpr_count:     0
    .vgpr_spill_count: 0
    .wavefront_size: 64
  - .agpr_count:     0
    .args:
      - .offset:         0
        .size:           48
        .value_kind:     by_value
    .group_segment_fixed_size: 0
    .kernarg_segment_align: 8
    .kernarg_segment_size: 48
    .language:       OpenCL C
    .language_version:
      - 2
      - 0
    .max_flat_workgroup_size: 256
    .name:           _ZN7rocprim17ROCPRIM_400000_NS6detail17trampoline_kernelINS0_14default_configENS1_38merge_sort_block_merge_config_selectorIsNS0_10empty_typeEEEZZNS1_27merge_sort_block_merge_implIS3_N6thrust23THRUST_200600_302600_NS6detail15normal_iteratorINS9_10device_ptrIsEEEEPS5_jNS1_19radix_merge_compareILb0ELb0EsNS0_19identity_decomposerEEEEE10hipError_tT0_T1_T2_jT3_P12ihipStream_tbPNSt15iterator_traitsISK_E10value_typeEPNSQ_ISL_E10value_typeEPSM_NS1_7vsmem_tEENKUlT_SK_SL_SM_E_clISE_PsSF_SF_EESJ_SZ_SK_SL_SM_EUlSZ_E1_NS1_11comp_targetILNS1_3genE2ELNS1_11target_archE906ELNS1_3gpuE6ELNS1_3repE0EEENS1_36merge_oddeven_config_static_selectorELNS0_4arch9wavefront6targetE1EEEvSL_
    .private_segment_fixed_size: 0
    .sgpr_count:     6
    .sgpr_spill_count: 0
    .symbol:         _ZN7rocprim17ROCPRIM_400000_NS6detail17trampoline_kernelINS0_14default_configENS1_38merge_sort_block_merge_config_selectorIsNS0_10empty_typeEEEZZNS1_27merge_sort_block_merge_implIS3_N6thrust23THRUST_200600_302600_NS6detail15normal_iteratorINS9_10device_ptrIsEEEEPS5_jNS1_19radix_merge_compareILb0ELb0EsNS0_19identity_decomposerEEEEE10hipError_tT0_T1_T2_jT3_P12ihipStream_tbPNSt15iterator_traitsISK_E10value_typeEPNSQ_ISL_E10value_typeEPSM_NS1_7vsmem_tEENKUlT_SK_SL_SM_E_clISE_PsSF_SF_EESJ_SZ_SK_SL_SM_EUlSZ_E1_NS1_11comp_targetILNS1_3genE2ELNS1_11target_archE906ELNS1_3gpuE6ELNS1_3repE0EEENS1_36merge_oddeven_config_static_selectorELNS0_4arch9wavefront6targetE1EEEvSL_.kd
    .uniform_work_group_size: 1
    .uses_dynamic_stack: false
    .vgpr_count:     0
    .vgpr_spill_count: 0
    .wavefront_size: 64
  - .agpr_count:     0
    .args:
      - .offset:         0
        .size:           48
        .value_kind:     by_value
    .group_segment_fixed_size: 0
    .kernarg_segment_align: 8
    .kernarg_segment_size: 48
    .language:       OpenCL C
    .language_version:
      - 2
      - 0
    .max_flat_workgroup_size: 256
    .name:           _ZN7rocprim17ROCPRIM_400000_NS6detail17trampoline_kernelINS0_14default_configENS1_38merge_sort_block_merge_config_selectorIsNS0_10empty_typeEEEZZNS1_27merge_sort_block_merge_implIS3_N6thrust23THRUST_200600_302600_NS6detail15normal_iteratorINS9_10device_ptrIsEEEEPS5_jNS1_19radix_merge_compareILb0ELb0EsNS0_19identity_decomposerEEEEE10hipError_tT0_T1_T2_jT3_P12ihipStream_tbPNSt15iterator_traitsISK_E10value_typeEPNSQ_ISL_E10value_typeEPSM_NS1_7vsmem_tEENKUlT_SK_SL_SM_E_clISE_PsSF_SF_EESJ_SZ_SK_SL_SM_EUlSZ_E1_NS1_11comp_targetILNS1_3genE9ELNS1_11target_archE1100ELNS1_3gpuE3ELNS1_3repE0EEENS1_36merge_oddeven_config_static_selectorELNS0_4arch9wavefront6targetE1EEEvSL_
    .private_segment_fixed_size: 0
    .sgpr_count:     6
    .sgpr_spill_count: 0
    .symbol:         _ZN7rocprim17ROCPRIM_400000_NS6detail17trampoline_kernelINS0_14default_configENS1_38merge_sort_block_merge_config_selectorIsNS0_10empty_typeEEEZZNS1_27merge_sort_block_merge_implIS3_N6thrust23THRUST_200600_302600_NS6detail15normal_iteratorINS9_10device_ptrIsEEEEPS5_jNS1_19radix_merge_compareILb0ELb0EsNS0_19identity_decomposerEEEEE10hipError_tT0_T1_T2_jT3_P12ihipStream_tbPNSt15iterator_traitsISK_E10value_typeEPNSQ_ISL_E10value_typeEPSM_NS1_7vsmem_tEENKUlT_SK_SL_SM_E_clISE_PsSF_SF_EESJ_SZ_SK_SL_SM_EUlSZ_E1_NS1_11comp_targetILNS1_3genE9ELNS1_11target_archE1100ELNS1_3gpuE3ELNS1_3repE0EEENS1_36merge_oddeven_config_static_selectorELNS0_4arch9wavefront6targetE1EEEvSL_.kd
    .uniform_work_group_size: 1
    .uses_dynamic_stack: false
    .vgpr_count:     0
    .vgpr_spill_count: 0
    .wavefront_size: 64
  - .agpr_count:     0
    .args:
      - .offset:         0
        .size:           48
        .value_kind:     by_value
    .group_segment_fixed_size: 0
    .kernarg_segment_align: 8
    .kernarg_segment_size: 48
    .language:       OpenCL C
    .language_version:
      - 2
      - 0
    .max_flat_workgroup_size: 256
    .name:           _ZN7rocprim17ROCPRIM_400000_NS6detail17trampoline_kernelINS0_14default_configENS1_38merge_sort_block_merge_config_selectorIsNS0_10empty_typeEEEZZNS1_27merge_sort_block_merge_implIS3_N6thrust23THRUST_200600_302600_NS6detail15normal_iteratorINS9_10device_ptrIsEEEEPS5_jNS1_19radix_merge_compareILb0ELb0EsNS0_19identity_decomposerEEEEE10hipError_tT0_T1_T2_jT3_P12ihipStream_tbPNSt15iterator_traitsISK_E10value_typeEPNSQ_ISL_E10value_typeEPSM_NS1_7vsmem_tEENKUlT_SK_SL_SM_E_clISE_PsSF_SF_EESJ_SZ_SK_SL_SM_EUlSZ_E1_NS1_11comp_targetILNS1_3genE8ELNS1_11target_archE1030ELNS1_3gpuE2ELNS1_3repE0EEENS1_36merge_oddeven_config_static_selectorELNS0_4arch9wavefront6targetE1EEEvSL_
    .private_segment_fixed_size: 0
    .sgpr_count:     6
    .sgpr_spill_count: 0
    .symbol:         _ZN7rocprim17ROCPRIM_400000_NS6detail17trampoline_kernelINS0_14default_configENS1_38merge_sort_block_merge_config_selectorIsNS0_10empty_typeEEEZZNS1_27merge_sort_block_merge_implIS3_N6thrust23THRUST_200600_302600_NS6detail15normal_iteratorINS9_10device_ptrIsEEEEPS5_jNS1_19radix_merge_compareILb0ELb0EsNS0_19identity_decomposerEEEEE10hipError_tT0_T1_T2_jT3_P12ihipStream_tbPNSt15iterator_traitsISK_E10value_typeEPNSQ_ISL_E10value_typeEPSM_NS1_7vsmem_tEENKUlT_SK_SL_SM_E_clISE_PsSF_SF_EESJ_SZ_SK_SL_SM_EUlSZ_E1_NS1_11comp_targetILNS1_3genE8ELNS1_11target_archE1030ELNS1_3gpuE2ELNS1_3repE0EEENS1_36merge_oddeven_config_static_selectorELNS0_4arch9wavefront6targetE1EEEvSL_.kd
    .uniform_work_group_size: 1
    .uses_dynamic_stack: false
    .vgpr_count:     0
    .vgpr_spill_count: 0
    .wavefront_size: 64
  - .agpr_count:     0
    .args:
      - .offset:         0
        .size:           40
        .value_kind:     by_value
    .group_segment_fixed_size: 0
    .kernarg_segment_align: 8
    .kernarg_segment_size: 40
    .language:       OpenCL C
    .language_version:
      - 2
      - 0
    .max_flat_workgroup_size: 128
    .name:           _ZN7rocprim17ROCPRIM_400000_NS6detail17trampoline_kernelINS0_14default_configENS1_25transform_config_selectorIsLb0EEEZNS1_14transform_implILb0ES3_S5_PsN6thrust23THRUST_200600_302600_NS6detail15normal_iteratorINS9_10device_ptrIsEEEENS0_8identityIsEEEE10hipError_tT2_T3_mT4_P12ihipStream_tbEUlT_E_NS1_11comp_targetILNS1_3genE0ELNS1_11target_archE4294967295ELNS1_3gpuE0ELNS1_3repE0EEENS1_30default_config_static_selectorELNS0_4arch9wavefront6targetE1EEEvT1_
    .private_segment_fixed_size: 0
    .sgpr_count:     6
    .sgpr_spill_count: 0
    .symbol:         _ZN7rocprim17ROCPRIM_400000_NS6detail17trampoline_kernelINS0_14default_configENS1_25transform_config_selectorIsLb0EEEZNS1_14transform_implILb0ES3_S5_PsN6thrust23THRUST_200600_302600_NS6detail15normal_iteratorINS9_10device_ptrIsEEEENS0_8identityIsEEEE10hipError_tT2_T3_mT4_P12ihipStream_tbEUlT_E_NS1_11comp_targetILNS1_3genE0ELNS1_11target_archE4294967295ELNS1_3gpuE0ELNS1_3repE0EEENS1_30default_config_static_selectorELNS0_4arch9wavefront6targetE1EEEvT1_.kd
    .uniform_work_group_size: 1
    .uses_dynamic_stack: false
    .vgpr_count:     0
    .vgpr_spill_count: 0
    .wavefront_size: 64
  - .agpr_count:     0
    .args:
      - .offset:         0
        .size:           40
        .value_kind:     by_value
      - .offset:         40
        .size:           4
        .value_kind:     hidden_block_count_x
      - .offset:         44
        .size:           4
        .value_kind:     hidden_block_count_y
      - .offset:         48
        .size:           4
        .value_kind:     hidden_block_count_z
      - .offset:         52
        .size:           2
        .value_kind:     hidden_group_size_x
      - .offset:         54
        .size:           2
        .value_kind:     hidden_group_size_y
      - .offset:         56
        .size:           2
        .value_kind:     hidden_group_size_z
      - .offset:         58
        .size:           2
        .value_kind:     hidden_remainder_x
      - .offset:         60
        .size:           2
        .value_kind:     hidden_remainder_y
      - .offset:         62
        .size:           2
        .value_kind:     hidden_remainder_z
      - .offset:         80
        .size:           8
        .value_kind:     hidden_global_offset_x
      - .offset:         88
        .size:           8
        .value_kind:     hidden_global_offset_y
      - .offset:         96
        .size:           8
        .value_kind:     hidden_global_offset_z
      - .offset:         104
        .size:           2
        .value_kind:     hidden_grid_dims
    .group_segment_fixed_size: 0
    .kernarg_segment_align: 8
    .kernarg_segment_size: 296
    .language:       OpenCL C
    .language_version:
      - 2
      - 0
    .max_flat_workgroup_size: 256
    .name:           _ZN7rocprim17ROCPRIM_400000_NS6detail17trampoline_kernelINS0_14default_configENS1_25transform_config_selectorIsLb0EEEZNS1_14transform_implILb0ES3_S5_PsN6thrust23THRUST_200600_302600_NS6detail15normal_iteratorINS9_10device_ptrIsEEEENS0_8identityIsEEEE10hipError_tT2_T3_mT4_P12ihipStream_tbEUlT_E_NS1_11comp_targetILNS1_3genE5ELNS1_11target_archE942ELNS1_3gpuE9ELNS1_3repE0EEENS1_30default_config_static_selectorELNS0_4arch9wavefront6targetE1EEEvT1_
    .private_segment_fixed_size: 0
    .sgpr_count:     32
    .sgpr_spill_count: 0
    .symbol:         _ZN7rocprim17ROCPRIM_400000_NS6detail17trampoline_kernelINS0_14default_configENS1_25transform_config_selectorIsLb0EEEZNS1_14transform_implILb0ES3_S5_PsN6thrust23THRUST_200600_302600_NS6detail15normal_iteratorINS9_10device_ptrIsEEEENS0_8identityIsEEEE10hipError_tT2_T3_mT4_P12ihipStream_tbEUlT_E_NS1_11comp_targetILNS1_3genE5ELNS1_11target_archE942ELNS1_3gpuE9ELNS1_3repE0EEENS1_30default_config_static_selectorELNS0_4arch9wavefront6targetE1EEEvT1_.kd
    .uniform_work_group_size: 1
    .uses_dynamic_stack: false
    .vgpr_count:     13
    .vgpr_spill_count: 0
    .wavefront_size: 64
  - .agpr_count:     0
    .args:
      - .offset:         0
        .size:           40
        .value_kind:     by_value
    .group_segment_fixed_size: 0
    .kernarg_segment_align: 8
    .kernarg_segment_size: 40
    .language:       OpenCL C
    .language_version:
      - 2
      - 0
    .max_flat_workgroup_size: 64
    .name:           _ZN7rocprim17ROCPRIM_400000_NS6detail17trampoline_kernelINS0_14default_configENS1_25transform_config_selectorIsLb0EEEZNS1_14transform_implILb0ES3_S5_PsN6thrust23THRUST_200600_302600_NS6detail15normal_iteratorINS9_10device_ptrIsEEEENS0_8identityIsEEEE10hipError_tT2_T3_mT4_P12ihipStream_tbEUlT_E_NS1_11comp_targetILNS1_3genE4ELNS1_11target_archE910ELNS1_3gpuE8ELNS1_3repE0EEENS1_30default_config_static_selectorELNS0_4arch9wavefront6targetE1EEEvT1_
    .private_segment_fixed_size: 0
    .sgpr_count:     6
    .sgpr_spill_count: 0
    .symbol:         _ZN7rocprim17ROCPRIM_400000_NS6detail17trampoline_kernelINS0_14default_configENS1_25transform_config_selectorIsLb0EEEZNS1_14transform_implILb0ES3_S5_PsN6thrust23THRUST_200600_302600_NS6detail15normal_iteratorINS9_10device_ptrIsEEEENS0_8identityIsEEEE10hipError_tT2_T3_mT4_P12ihipStream_tbEUlT_E_NS1_11comp_targetILNS1_3genE4ELNS1_11target_archE910ELNS1_3gpuE8ELNS1_3repE0EEENS1_30default_config_static_selectorELNS0_4arch9wavefront6targetE1EEEvT1_.kd
    .uniform_work_group_size: 1
    .uses_dynamic_stack: false
    .vgpr_count:     0
    .vgpr_spill_count: 0
    .wavefront_size: 64
  - .agpr_count:     0
    .args:
      - .offset:         0
        .size:           40
        .value_kind:     by_value
    .group_segment_fixed_size: 0
    .kernarg_segment_align: 8
    .kernarg_segment_size: 40
    .language:       OpenCL C
    .language_version:
      - 2
      - 0
    .max_flat_workgroup_size: 128
    .name:           _ZN7rocprim17ROCPRIM_400000_NS6detail17trampoline_kernelINS0_14default_configENS1_25transform_config_selectorIsLb0EEEZNS1_14transform_implILb0ES3_S5_PsN6thrust23THRUST_200600_302600_NS6detail15normal_iteratorINS9_10device_ptrIsEEEENS0_8identityIsEEEE10hipError_tT2_T3_mT4_P12ihipStream_tbEUlT_E_NS1_11comp_targetILNS1_3genE3ELNS1_11target_archE908ELNS1_3gpuE7ELNS1_3repE0EEENS1_30default_config_static_selectorELNS0_4arch9wavefront6targetE1EEEvT1_
    .private_segment_fixed_size: 0
    .sgpr_count:     6
    .sgpr_spill_count: 0
    .symbol:         _ZN7rocprim17ROCPRIM_400000_NS6detail17trampoline_kernelINS0_14default_configENS1_25transform_config_selectorIsLb0EEEZNS1_14transform_implILb0ES3_S5_PsN6thrust23THRUST_200600_302600_NS6detail15normal_iteratorINS9_10device_ptrIsEEEENS0_8identityIsEEEE10hipError_tT2_T3_mT4_P12ihipStream_tbEUlT_E_NS1_11comp_targetILNS1_3genE3ELNS1_11target_archE908ELNS1_3gpuE7ELNS1_3repE0EEENS1_30default_config_static_selectorELNS0_4arch9wavefront6targetE1EEEvT1_.kd
    .uniform_work_group_size: 1
    .uses_dynamic_stack: false
    .vgpr_count:     0
    .vgpr_spill_count: 0
    .wavefront_size: 64
  - .agpr_count:     0
    .args:
      - .offset:         0
        .size:           40
        .value_kind:     by_value
    .group_segment_fixed_size: 0
    .kernarg_segment_align: 8
    .kernarg_segment_size: 40
    .language:       OpenCL C
    .language_version:
      - 2
      - 0
    .max_flat_workgroup_size: 512
    .name:           _ZN7rocprim17ROCPRIM_400000_NS6detail17trampoline_kernelINS0_14default_configENS1_25transform_config_selectorIsLb0EEEZNS1_14transform_implILb0ES3_S5_PsN6thrust23THRUST_200600_302600_NS6detail15normal_iteratorINS9_10device_ptrIsEEEENS0_8identityIsEEEE10hipError_tT2_T3_mT4_P12ihipStream_tbEUlT_E_NS1_11comp_targetILNS1_3genE2ELNS1_11target_archE906ELNS1_3gpuE6ELNS1_3repE0EEENS1_30default_config_static_selectorELNS0_4arch9wavefront6targetE1EEEvT1_
    .private_segment_fixed_size: 0
    .sgpr_count:     6
    .sgpr_spill_count: 0
    .symbol:         _ZN7rocprim17ROCPRIM_400000_NS6detail17trampoline_kernelINS0_14default_configENS1_25transform_config_selectorIsLb0EEEZNS1_14transform_implILb0ES3_S5_PsN6thrust23THRUST_200600_302600_NS6detail15normal_iteratorINS9_10device_ptrIsEEEENS0_8identityIsEEEE10hipError_tT2_T3_mT4_P12ihipStream_tbEUlT_E_NS1_11comp_targetILNS1_3genE2ELNS1_11target_archE906ELNS1_3gpuE6ELNS1_3repE0EEENS1_30default_config_static_selectorELNS0_4arch9wavefront6targetE1EEEvT1_.kd
    .uniform_work_group_size: 1
    .uses_dynamic_stack: false
    .vgpr_count:     0
    .vgpr_spill_count: 0
    .wavefront_size: 64
  - .agpr_count:     0
    .args:
      - .offset:         0
        .size:           40
        .value_kind:     by_value
    .group_segment_fixed_size: 0
    .kernarg_segment_align: 8
    .kernarg_segment_size: 40
    .language:       OpenCL C
    .language_version:
      - 2
      - 0
    .max_flat_workgroup_size: 1024
    .name:           _ZN7rocprim17ROCPRIM_400000_NS6detail17trampoline_kernelINS0_14default_configENS1_25transform_config_selectorIsLb0EEEZNS1_14transform_implILb0ES3_S5_PsN6thrust23THRUST_200600_302600_NS6detail15normal_iteratorINS9_10device_ptrIsEEEENS0_8identityIsEEEE10hipError_tT2_T3_mT4_P12ihipStream_tbEUlT_E_NS1_11comp_targetILNS1_3genE10ELNS1_11target_archE1201ELNS1_3gpuE5ELNS1_3repE0EEENS1_30default_config_static_selectorELNS0_4arch9wavefront6targetE1EEEvT1_
    .private_segment_fixed_size: 0
    .sgpr_count:     6
    .sgpr_spill_count: 0
    .symbol:         _ZN7rocprim17ROCPRIM_400000_NS6detail17trampoline_kernelINS0_14default_configENS1_25transform_config_selectorIsLb0EEEZNS1_14transform_implILb0ES3_S5_PsN6thrust23THRUST_200600_302600_NS6detail15normal_iteratorINS9_10device_ptrIsEEEENS0_8identityIsEEEE10hipError_tT2_T3_mT4_P12ihipStream_tbEUlT_E_NS1_11comp_targetILNS1_3genE10ELNS1_11target_archE1201ELNS1_3gpuE5ELNS1_3repE0EEENS1_30default_config_static_selectorELNS0_4arch9wavefront6targetE1EEEvT1_.kd
    .uniform_work_group_size: 1
    .uses_dynamic_stack: false
    .vgpr_count:     0
    .vgpr_spill_count: 0
    .wavefront_size: 64
  - .agpr_count:     0
    .args:
      - .offset:         0
        .size:           40
        .value_kind:     by_value
    .group_segment_fixed_size: 0
    .kernarg_segment_align: 8
    .kernarg_segment_size: 40
    .language:       OpenCL C
    .language_version:
      - 2
      - 0
    .max_flat_workgroup_size: 512
    .name:           _ZN7rocprim17ROCPRIM_400000_NS6detail17trampoline_kernelINS0_14default_configENS1_25transform_config_selectorIsLb0EEEZNS1_14transform_implILb0ES3_S5_PsN6thrust23THRUST_200600_302600_NS6detail15normal_iteratorINS9_10device_ptrIsEEEENS0_8identityIsEEEE10hipError_tT2_T3_mT4_P12ihipStream_tbEUlT_E_NS1_11comp_targetILNS1_3genE10ELNS1_11target_archE1200ELNS1_3gpuE4ELNS1_3repE0EEENS1_30default_config_static_selectorELNS0_4arch9wavefront6targetE1EEEvT1_
    .private_segment_fixed_size: 0
    .sgpr_count:     6
    .sgpr_spill_count: 0
    .symbol:         _ZN7rocprim17ROCPRIM_400000_NS6detail17trampoline_kernelINS0_14default_configENS1_25transform_config_selectorIsLb0EEEZNS1_14transform_implILb0ES3_S5_PsN6thrust23THRUST_200600_302600_NS6detail15normal_iteratorINS9_10device_ptrIsEEEENS0_8identityIsEEEE10hipError_tT2_T3_mT4_P12ihipStream_tbEUlT_E_NS1_11comp_targetILNS1_3genE10ELNS1_11target_archE1200ELNS1_3gpuE4ELNS1_3repE0EEENS1_30default_config_static_selectorELNS0_4arch9wavefront6targetE1EEEvT1_.kd
    .uniform_work_group_size: 1
    .uses_dynamic_stack: false
    .vgpr_count:     0
    .vgpr_spill_count: 0
    .wavefront_size: 64
  - .agpr_count:     0
    .args:
      - .offset:         0
        .size:           40
        .value_kind:     by_value
    .group_segment_fixed_size: 0
    .kernarg_segment_align: 8
    .kernarg_segment_size: 40
    .language:       OpenCL C
    .language_version:
      - 2
      - 0
    .max_flat_workgroup_size: 1024
    .name:           _ZN7rocprim17ROCPRIM_400000_NS6detail17trampoline_kernelINS0_14default_configENS1_25transform_config_selectorIsLb0EEEZNS1_14transform_implILb0ES3_S5_PsN6thrust23THRUST_200600_302600_NS6detail15normal_iteratorINS9_10device_ptrIsEEEENS0_8identityIsEEEE10hipError_tT2_T3_mT4_P12ihipStream_tbEUlT_E_NS1_11comp_targetILNS1_3genE9ELNS1_11target_archE1100ELNS1_3gpuE3ELNS1_3repE0EEENS1_30default_config_static_selectorELNS0_4arch9wavefront6targetE1EEEvT1_
    .private_segment_fixed_size: 0
    .sgpr_count:     6
    .sgpr_spill_count: 0
    .symbol:         _ZN7rocprim17ROCPRIM_400000_NS6detail17trampoline_kernelINS0_14default_configENS1_25transform_config_selectorIsLb0EEEZNS1_14transform_implILb0ES3_S5_PsN6thrust23THRUST_200600_302600_NS6detail15normal_iteratorINS9_10device_ptrIsEEEENS0_8identityIsEEEE10hipError_tT2_T3_mT4_P12ihipStream_tbEUlT_E_NS1_11comp_targetILNS1_3genE9ELNS1_11target_archE1100ELNS1_3gpuE3ELNS1_3repE0EEENS1_30default_config_static_selectorELNS0_4arch9wavefront6targetE1EEEvT1_.kd
    .uniform_work_group_size: 1
    .uses_dynamic_stack: false
    .vgpr_count:     0
    .vgpr_spill_count: 0
    .wavefront_size: 64
  - .agpr_count:     0
    .args:
      - .offset:         0
        .size:           40
        .value_kind:     by_value
    .group_segment_fixed_size: 0
    .kernarg_segment_align: 8
    .kernarg_segment_size: 40
    .language:       OpenCL C
    .language_version:
      - 2
      - 0
    .max_flat_workgroup_size: 1024
    .name:           _ZN7rocprim17ROCPRIM_400000_NS6detail17trampoline_kernelINS0_14default_configENS1_25transform_config_selectorIsLb0EEEZNS1_14transform_implILb0ES3_S5_PsN6thrust23THRUST_200600_302600_NS6detail15normal_iteratorINS9_10device_ptrIsEEEENS0_8identityIsEEEE10hipError_tT2_T3_mT4_P12ihipStream_tbEUlT_E_NS1_11comp_targetILNS1_3genE8ELNS1_11target_archE1030ELNS1_3gpuE2ELNS1_3repE0EEENS1_30default_config_static_selectorELNS0_4arch9wavefront6targetE1EEEvT1_
    .private_segment_fixed_size: 0
    .sgpr_count:     6
    .sgpr_spill_count: 0
    .symbol:         _ZN7rocprim17ROCPRIM_400000_NS6detail17trampoline_kernelINS0_14default_configENS1_25transform_config_selectorIsLb0EEEZNS1_14transform_implILb0ES3_S5_PsN6thrust23THRUST_200600_302600_NS6detail15normal_iteratorINS9_10device_ptrIsEEEENS0_8identityIsEEEE10hipError_tT2_T3_mT4_P12ihipStream_tbEUlT_E_NS1_11comp_targetILNS1_3genE8ELNS1_11target_archE1030ELNS1_3gpuE2ELNS1_3repE0EEENS1_30default_config_static_selectorELNS0_4arch9wavefront6targetE1EEEvT1_.kd
    .uniform_work_group_size: 1
    .uses_dynamic_stack: false
    .vgpr_count:     0
    .vgpr_spill_count: 0
    .wavefront_size: 64
  - .agpr_count:     0
    .args:
      - .offset:         0
        .size:           40
        .value_kind:     by_value
    .group_segment_fixed_size: 0
    .kernarg_segment_align: 8
    .kernarg_segment_size: 40
    .language:       OpenCL C
    .language_version:
      - 2
      - 0
    .max_flat_workgroup_size: 128
    .name:           _ZN7rocprim17ROCPRIM_400000_NS6detail17trampoline_kernelINS0_14default_configENS1_38merge_sort_block_merge_config_selectorIsNS0_10empty_typeEEEZZNS1_27merge_sort_block_merge_implIS3_N6thrust23THRUST_200600_302600_NS6detail15normal_iteratorINS9_10device_ptrIsEEEEPS5_jNS1_19radix_merge_compareILb0ELb1EsNS0_19identity_decomposerEEEEE10hipError_tT0_T1_T2_jT3_P12ihipStream_tbPNSt15iterator_traitsISK_E10value_typeEPNSQ_ISL_E10value_typeEPSM_NS1_7vsmem_tEENKUlT_SK_SL_SM_E_clIPsSE_SF_SF_EESJ_SZ_SK_SL_SM_EUlSZ_E_NS1_11comp_targetILNS1_3genE0ELNS1_11target_archE4294967295ELNS1_3gpuE0ELNS1_3repE0EEENS1_48merge_mergepath_partition_config_static_selectorELNS0_4arch9wavefront6targetE1EEEvSL_
    .private_segment_fixed_size: 0
    .sgpr_count:     6
    .sgpr_spill_count: 0
    .symbol:         _ZN7rocprim17ROCPRIM_400000_NS6detail17trampoline_kernelINS0_14default_configENS1_38merge_sort_block_merge_config_selectorIsNS0_10empty_typeEEEZZNS1_27merge_sort_block_merge_implIS3_N6thrust23THRUST_200600_302600_NS6detail15normal_iteratorINS9_10device_ptrIsEEEEPS5_jNS1_19radix_merge_compareILb0ELb1EsNS0_19identity_decomposerEEEEE10hipError_tT0_T1_T2_jT3_P12ihipStream_tbPNSt15iterator_traitsISK_E10value_typeEPNSQ_ISL_E10value_typeEPSM_NS1_7vsmem_tEENKUlT_SK_SL_SM_E_clIPsSE_SF_SF_EESJ_SZ_SK_SL_SM_EUlSZ_E_NS1_11comp_targetILNS1_3genE0ELNS1_11target_archE4294967295ELNS1_3gpuE0ELNS1_3repE0EEENS1_48merge_mergepath_partition_config_static_selectorELNS0_4arch9wavefront6targetE1EEEvSL_.kd
    .uniform_work_group_size: 1
    .uses_dynamic_stack: false
    .vgpr_count:     0
    .vgpr_spill_count: 0
    .wavefront_size: 64
  - .agpr_count:     0
    .args:
      - .offset:         0
        .size:           40
        .value_kind:     by_value
    .group_segment_fixed_size: 0
    .kernarg_segment_align: 8
    .kernarg_segment_size: 40
    .language:       OpenCL C
    .language_version:
      - 2
      - 0
    .max_flat_workgroup_size: 128
    .name:           _ZN7rocprim17ROCPRIM_400000_NS6detail17trampoline_kernelINS0_14default_configENS1_38merge_sort_block_merge_config_selectorIsNS0_10empty_typeEEEZZNS1_27merge_sort_block_merge_implIS3_N6thrust23THRUST_200600_302600_NS6detail15normal_iteratorINS9_10device_ptrIsEEEEPS5_jNS1_19radix_merge_compareILb0ELb1EsNS0_19identity_decomposerEEEEE10hipError_tT0_T1_T2_jT3_P12ihipStream_tbPNSt15iterator_traitsISK_E10value_typeEPNSQ_ISL_E10value_typeEPSM_NS1_7vsmem_tEENKUlT_SK_SL_SM_E_clIPsSE_SF_SF_EESJ_SZ_SK_SL_SM_EUlSZ_E_NS1_11comp_targetILNS1_3genE10ELNS1_11target_archE1201ELNS1_3gpuE5ELNS1_3repE0EEENS1_48merge_mergepath_partition_config_static_selectorELNS0_4arch9wavefront6targetE1EEEvSL_
    .private_segment_fixed_size: 0
    .sgpr_count:     6
    .sgpr_spill_count: 0
    .symbol:         _ZN7rocprim17ROCPRIM_400000_NS6detail17trampoline_kernelINS0_14default_configENS1_38merge_sort_block_merge_config_selectorIsNS0_10empty_typeEEEZZNS1_27merge_sort_block_merge_implIS3_N6thrust23THRUST_200600_302600_NS6detail15normal_iteratorINS9_10device_ptrIsEEEEPS5_jNS1_19radix_merge_compareILb0ELb1EsNS0_19identity_decomposerEEEEE10hipError_tT0_T1_T2_jT3_P12ihipStream_tbPNSt15iterator_traitsISK_E10value_typeEPNSQ_ISL_E10value_typeEPSM_NS1_7vsmem_tEENKUlT_SK_SL_SM_E_clIPsSE_SF_SF_EESJ_SZ_SK_SL_SM_EUlSZ_E_NS1_11comp_targetILNS1_3genE10ELNS1_11target_archE1201ELNS1_3gpuE5ELNS1_3repE0EEENS1_48merge_mergepath_partition_config_static_selectorELNS0_4arch9wavefront6targetE1EEEvSL_.kd
    .uniform_work_group_size: 1
    .uses_dynamic_stack: false
    .vgpr_count:     0
    .vgpr_spill_count: 0
    .wavefront_size: 64
  - .agpr_count:     0
    .args:
      - .offset:         0
        .size:           40
        .value_kind:     by_value
    .group_segment_fixed_size: 0
    .kernarg_segment_align: 8
    .kernarg_segment_size: 40
    .language:       OpenCL C
    .language_version:
      - 2
      - 0
    .max_flat_workgroup_size: 128
    .name:           _ZN7rocprim17ROCPRIM_400000_NS6detail17trampoline_kernelINS0_14default_configENS1_38merge_sort_block_merge_config_selectorIsNS0_10empty_typeEEEZZNS1_27merge_sort_block_merge_implIS3_N6thrust23THRUST_200600_302600_NS6detail15normal_iteratorINS9_10device_ptrIsEEEEPS5_jNS1_19radix_merge_compareILb0ELb1EsNS0_19identity_decomposerEEEEE10hipError_tT0_T1_T2_jT3_P12ihipStream_tbPNSt15iterator_traitsISK_E10value_typeEPNSQ_ISL_E10value_typeEPSM_NS1_7vsmem_tEENKUlT_SK_SL_SM_E_clIPsSE_SF_SF_EESJ_SZ_SK_SL_SM_EUlSZ_E_NS1_11comp_targetILNS1_3genE5ELNS1_11target_archE942ELNS1_3gpuE9ELNS1_3repE0EEENS1_48merge_mergepath_partition_config_static_selectorELNS0_4arch9wavefront6targetE1EEEvSL_
    .private_segment_fixed_size: 0
    .sgpr_count:     16
    .sgpr_spill_count: 0
    .symbol:         _ZN7rocprim17ROCPRIM_400000_NS6detail17trampoline_kernelINS0_14default_configENS1_38merge_sort_block_merge_config_selectorIsNS0_10empty_typeEEEZZNS1_27merge_sort_block_merge_implIS3_N6thrust23THRUST_200600_302600_NS6detail15normal_iteratorINS9_10device_ptrIsEEEEPS5_jNS1_19radix_merge_compareILb0ELb1EsNS0_19identity_decomposerEEEEE10hipError_tT0_T1_T2_jT3_P12ihipStream_tbPNSt15iterator_traitsISK_E10value_typeEPNSQ_ISL_E10value_typeEPSM_NS1_7vsmem_tEENKUlT_SK_SL_SM_E_clIPsSE_SF_SF_EESJ_SZ_SK_SL_SM_EUlSZ_E_NS1_11comp_targetILNS1_3genE5ELNS1_11target_archE942ELNS1_3gpuE9ELNS1_3repE0EEENS1_48merge_mergepath_partition_config_static_selectorELNS0_4arch9wavefront6targetE1EEEvSL_.kd
    .uniform_work_group_size: 1
    .uses_dynamic_stack: false
    .vgpr_count:     17
    .vgpr_spill_count: 0
    .wavefront_size: 64
  - .agpr_count:     0
    .args:
      - .offset:         0
        .size:           40
        .value_kind:     by_value
    .group_segment_fixed_size: 0
    .kernarg_segment_align: 8
    .kernarg_segment_size: 40
    .language:       OpenCL C
    .language_version:
      - 2
      - 0
    .max_flat_workgroup_size: 128
    .name:           _ZN7rocprim17ROCPRIM_400000_NS6detail17trampoline_kernelINS0_14default_configENS1_38merge_sort_block_merge_config_selectorIsNS0_10empty_typeEEEZZNS1_27merge_sort_block_merge_implIS3_N6thrust23THRUST_200600_302600_NS6detail15normal_iteratorINS9_10device_ptrIsEEEEPS5_jNS1_19radix_merge_compareILb0ELb1EsNS0_19identity_decomposerEEEEE10hipError_tT0_T1_T2_jT3_P12ihipStream_tbPNSt15iterator_traitsISK_E10value_typeEPNSQ_ISL_E10value_typeEPSM_NS1_7vsmem_tEENKUlT_SK_SL_SM_E_clIPsSE_SF_SF_EESJ_SZ_SK_SL_SM_EUlSZ_E_NS1_11comp_targetILNS1_3genE4ELNS1_11target_archE910ELNS1_3gpuE8ELNS1_3repE0EEENS1_48merge_mergepath_partition_config_static_selectorELNS0_4arch9wavefront6targetE1EEEvSL_
    .private_segment_fixed_size: 0
    .sgpr_count:     6
    .sgpr_spill_count: 0
    .symbol:         _ZN7rocprim17ROCPRIM_400000_NS6detail17trampoline_kernelINS0_14default_configENS1_38merge_sort_block_merge_config_selectorIsNS0_10empty_typeEEEZZNS1_27merge_sort_block_merge_implIS3_N6thrust23THRUST_200600_302600_NS6detail15normal_iteratorINS9_10device_ptrIsEEEEPS5_jNS1_19radix_merge_compareILb0ELb1EsNS0_19identity_decomposerEEEEE10hipError_tT0_T1_T2_jT3_P12ihipStream_tbPNSt15iterator_traitsISK_E10value_typeEPNSQ_ISL_E10value_typeEPSM_NS1_7vsmem_tEENKUlT_SK_SL_SM_E_clIPsSE_SF_SF_EESJ_SZ_SK_SL_SM_EUlSZ_E_NS1_11comp_targetILNS1_3genE4ELNS1_11target_archE910ELNS1_3gpuE8ELNS1_3repE0EEENS1_48merge_mergepath_partition_config_static_selectorELNS0_4arch9wavefront6targetE1EEEvSL_.kd
    .uniform_work_group_size: 1
    .uses_dynamic_stack: false
    .vgpr_count:     0
    .vgpr_spill_count: 0
    .wavefront_size: 64
  - .agpr_count:     0
    .args:
      - .offset:         0
        .size:           40
        .value_kind:     by_value
    .group_segment_fixed_size: 0
    .kernarg_segment_align: 8
    .kernarg_segment_size: 40
    .language:       OpenCL C
    .language_version:
      - 2
      - 0
    .max_flat_workgroup_size: 128
    .name:           _ZN7rocprim17ROCPRIM_400000_NS6detail17trampoline_kernelINS0_14default_configENS1_38merge_sort_block_merge_config_selectorIsNS0_10empty_typeEEEZZNS1_27merge_sort_block_merge_implIS3_N6thrust23THRUST_200600_302600_NS6detail15normal_iteratorINS9_10device_ptrIsEEEEPS5_jNS1_19radix_merge_compareILb0ELb1EsNS0_19identity_decomposerEEEEE10hipError_tT0_T1_T2_jT3_P12ihipStream_tbPNSt15iterator_traitsISK_E10value_typeEPNSQ_ISL_E10value_typeEPSM_NS1_7vsmem_tEENKUlT_SK_SL_SM_E_clIPsSE_SF_SF_EESJ_SZ_SK_SL_SM_EUlSZ_E_NS1_11comp_targetILNS1_3genE3ELNS1_11target_archE908ELNS1_3gpuE7ELNS1_3repE0EEENS1_48merge_mergepath_partition_config_static_selectorELNS0_4arch9wavefront6targetE1EEEvSL_
    .private_segment_fixed_size: 0
    .sgpr_count:     6
    .sgpr_spill_count: 0
    .symbol:         _ZN7rocprim17ROCPRIM_400000_NS6detail17trampoline_kernelINS0_14default_configENS1_38merge_sort_block_merge_config_selectorIsNS0_10empty_typeEEEZZNS1_27merge_sort_block_merge_implIS3_N6thrust23THRUST_200600_302600_NS6detail15normal_iteratorINS9_10device_ptrIsEEEEPS5_jNS1_19radix_merge_compareILb0ELb1EsNS0_19identity_decomposerEEEEE10hipError_tT0_T1_T2_jT3_P12ihipStream_tbPNSt15iterator_traitsISK_E10value_typeEPNSQ_ISL_E10value_typeEPSM_NS1_7vsmem_tEENKUlT_SK_SL_SM_E_clIPsSE_SF_SF_EESJ_SZ_SK_SL_SM_EUlSZ_E_NS1_11comp_targetILNS1_3genE3ELNS1_11target_archE908ELNS1_3gpuE7ELNS1_3repE0EEENS1_48merge_mergepath_partition_config_static_selectorELNS0_4arch9wavefront6targetE1EEEvSL_.kd
    .uniform_work_group_size: 1
    .uses_dynamic_stack: false
    .vgpr_count:     0
    .vgpr_spill_count: 0
    .wavefront_size: 64
  - .agpr_count:     0
    .args:
      - .offset:         0
        .size:           40
        .value_kind:     by_value
    .group_segment_fixed_size: 0
    .kernarg_segment_align: 8
    .kernarg_segment_size: 40
    .language:       OpenCL C
    .language_version:
      - 2
      - 0
    .max_flat_workgroup_size: 128
    .name:           _ZN7rocprim17ROCPRIM_400000_NS6detail17trampoline_kernelINS0_14default_configENS1_38merge_sort_block_merge_config_selectorIsNS0_10empty_typeEEEZZNS1_27merge_sort_block_merge_implIS3_N6thrust23THRUST_200600_302600_NS6detail15normal_iteratorINS9_10device_ptrIsEEEEPS5_jNS1_19radix_merge_compareILb0ELb1EsNS0_19identity_decomposerEEEEE10hipError_tT0_T1_T2_jT3_P12ihipStream_tbPNSt15iterator_traitsISK_E10value_typeEPNSQ_ISL_E10value_typeEPSM_NS1_7vsmem_tEENKUlT_SK_SL_SM_E_clIPsSE_SF_SF_EESJ_SZ_SK_SL_SM_EUlSZ_E_NS1_11comp_targetILNS1_3genE2ELNS1_11target_archE906ELNS1_3gpuE6ELNS1_3repE0EEENS1_48merge_mergepath_partition_config_static_selectorELNS0_4arch9wavefront6targetE1EEEvSL_
    .private_segment_fixed_size: 0
    .sgpr_count:     6
    .sgpr_spill_count: 0
    .symbol:         _ZN7rocprim17ROCPRIM_400000_NS6detail17trampoline_kernelINS0_14default_configENS1_38merge_sort_block_merge_config_selectorIsNS0_10empty_typeEEEZZNS1_27merge_sort_block_merge_implIS3_N6thrust23THRUST_200600_302600_NS6detail15normal_iteratorINS9_10device_ptrIsEEEEPS5_jNS1_19radix_merge_compareILb0ELb1EsNS0_19identity_decomposerEEEEE10hipError_tT0_T1_T2_jT3_P12ihipStream_tbPNSt15iterator_traitsISK_E10value_typeEPNSQ_ISL_E10value_typeEPSM_NS1_7vsmem_tEENKUlT_SK_SL_SM_E_clIPsSE_SF_SF_EESJ_SZ_SK_SL_SM_EUlSZ_E_NS1_11comp_targetILNS1_3genE2ELNS1_11target_archE906ELNS1_3gpuE6ELNS1_3repE0EEENS1_48merge_mergepath_partition_config_static_selectorELNS0_4arch9wavefront6targetE1EEEvSL_.kd
    .uniform_work_group_size: 1
    .uses_dynamic_stack: false
    .vgpr_count:     0
    .vgpr_spill_count: 0
    .wavefront_size: 64
  - .agpr_count:     0
    .args:
      - .offset:         0
        .size:           40
        .value_kind:     by_value
    .group_segment_fixed_size: 0
    .kernarg_segment_align: 8
    .kernarg_segment_size: 40
    .language:       OpenCL C
    .language_version:
      - 2
      - 0
    .max_flat_workgroup_size: 128
    .name:           _ZN7rocprim17ROCPRIM_400000_NS6detail17trampoline_kernelINS0_14default_configENS1_38merge_sort_block_merge_config_selectorIsNS0_10empty_typeEEEZZNS1_27merge_sort_block_merge_implIS3_N6thrust23THRUST_200600_302600_NS6detail15normal_iteratorINS9_10device_ptrIsEEEEPS5_jNS1_19radix_merge_compareILb0ELb1EsNS0_19identity_decomposerEEEEE10hipError_tT0_T1_T2_jT3_P12ihipStream_tbPNSt15iterator_traitsISK_E10value_typeEPNSQ_ISL_E10value_typeEPSM_NS1_7vsmem_tEENKUlT_SK_SL_SM_E_clIPsSE_SF_SF_EESJ_SZ_SK_SL_SM_EUlSZ_E_NS1_11comp_targetILNS1_3genE9ELNS1_11target_archE1100ELNS1_3gpuE3ELNS1_3repE0EEENS1_48merge_mergepath_partition_config_static_selectorELNS0_4arch9wavefront6targetE1EEEvSL_
    .private_segment_fixed_size: 0
    .sgpr_count:     6
    .sgpr_spill_count: 0
    .symbol:         _ZN7rocprim17ROCPRIM_400000_NS6detail17trampoline_kernelINS0_14default_configENS1_38merge_sort_block_merge_config_selectorIsNS0_10empty_typeEEEZZNS1_27merge_sort_block_merge_implIS3_N6thrust23THRUST_200600_302600_NS6detail15normal_iteratorINS9_10device_ptrIsEEEEPS5_jNS1_19radix_merge_compareILb0ELb1EsNS0_19identity_decomposerEEEEE10hipError_tT0_T1_T2_jT3_P12ihipStream_tbPNSt15iterator_traitsISK_E10value_typeEPNSQ_ISL_E10value_typeEPSM_NS1_7vsmem_tEENKUlT_SK_SL_SM_E_clIPsSE_SF_SF_EESJ_SZ_SK_SL_SM_EUlSZ_E_NS1_11comp_targetILNS1_3genE9ELNS1_11target_archE1100ELNS1_3gpuE3ELNS1_3repE0EEENS1_48merge_mergepath_partition_config_static_selectorELNS0_4arch9wavefront6targetE1EEEvSL_.kd
    .uniform_work_group_size: 1
    .uses_dynamic_stack: false
    .vgpr_count:     0
    .vgpr_spill_count: 0
    .wavefront_size: 64
  - .agpr_count:     0
    .args:
      - .offset:         0
        .size:           40
        .value_kind:     by_value
    .group_segment_fixed_size: 0
    .kernarg_segment_align: 8
    .kernarg_segment_size: 40
    .language:       OpenCL C
    .language_version:
      - 2
      - 0
    .max_flat_workgroup_size: 128
    .name:           _ZN7rocprim17ROCPRIM_400000_NS6detail17trampoline_kernelINS0_14default_configENS1_38merge_sort_block_merge_config_selectorIsNS0_10empty_typeEEEZZNS1_27merge_sort_block_merge_implIS3_N6thrust23THRUST_200600_302600_NS6detail15normal_iteratorINS9_10device_ptrIsEEEEPS5_jNS1_19radix_merge_compareILb0ELb1EsNS0_19identity_decomposerEEEEE10hipError_tT0_T1_T2_jT3_P12ihipStream_tbPNSt15iterator_traitsISK_E10value_typeEPNSQ_ISL_E10value_typeEPSM_NS1_7vsmem_tEENKUlT_SK_SL_SM_E_clIPsSE_SF_SF_EESJ_SZ_SK_SL_SM_EUlSZ_E_NS1_11comp_targetILNS1_3genE8ELNS1_11target_archE1030ELNS1_3gpuE2ELNS1_3repE0EEENS1_48merge_mergepath_partition_config_static_selectorELNS0_4arch9wavefront6targetE1EEEvSL_
    .private_segment_fixed_size: 0
    .sgpr_count:     6
    .sgpr_spill_count: 0
    .symbol:         _ZN7rocprim17ROCPRIM_400000_NS6detail17trampoline_kernelINS0_14default_configENS1_38merge_sort_block_merge_config_selectorIsNS0_10empty_typeEEEZZNS1_27merge_sort_block_merge_implIS3_N6thrust23THRUST_200600_302600_NS6detail15normal_iteratorINS9_10device_ptrIsEEEEPS5_jNS1_19radix_merge_compareILb0ELb1EsNS0_19identity_decomposerEEEEE10hipError_tT0_T1_T2_jT3_P12ihipStream_tbPNSt15iterator_traitsISK_E10value_typeEPNSQ_ISL_E10value_typeEPSM_NS1_7vsmem_tEENKUlT_SK_SL_SM_E_clIPsSE_SF_SF_EESJ_SZ_SK_SL_SM_EUlSZ_E_NS1_11comp_targetILNS1_3genE8ELNS1_11target_archE1030ELNS1_3gpuE2ELNS1_3repE0EEENS1_48merge_mergepath_partition_config_static_selectorELNS0_4arch9wavefront6targetE1EEEvSL_.kd
    .uniform_work_group_size: 1
    .uses_dynamic_stack: false
    .vgpr_count:     0
    .vgpr_spill_count: 0
    .wavefront_size: 64
  - .agpr_count:     0
    .args:
      - .offset:         0
        .size:           64
        .value_kind:     by_value
    .group_segment_fixed_size: 0
    .kernarg_segment_align: 8
    .kernarg_segment_size: 64
    .language:       OpenCL C
    .language_version:
      - 2
      - 0
    .max_flat_workgroup_size: 128
    .name:           _ZN7rocprim17ROCPRIM_400000_NS6detail17trampoline_kernelINS0_14default_configENS1_38merge_sort_block_merge_config_selectorIsNS0_10empty_typeEEEZZNS1_27merge_sort_block_merge_implIS3_N6thrust23THRUST_200600_302600_NS6detail15normal_iteratorINS9_10device_ptrIsEEEEPS5_jNS1_19radix_merge_compareILb0ELb1EsNS0_19identity_decomposerEEEEE10hipError_tT0_T1_T2_jT3_P12ihipStream_tbPNSt15iterator_traitsISK_E10value_typeEPNSQ_ISL_E10value_typeEPSM_NS1_7vsmem_tEENKUlT_SK_SL_SM_E_clIPsSE_SF_SF_EESJ_SZ_SK_SL_SM_EUlSZ_E0_NS1_11comp_targetILNS1_3genE0ELNS1_11target_archE4294967295ELNS1_3gpuE0ELNS1_3repE0EEENS1_38merge_mergepath_config_static_selectorELNS0_4arch9wavefront6targetE1EEEvSL_
    .private_segment_fixed_size: 0
    .sgpr_count:     6
    .sgpr_spill_count: 0
    .symbol:         _ZN7rocprim17ROCPRIM_400000_NS6detail17trampoline_kernelINS0_14default_configENS1_38merge_sort_block_merge_config_selectorIsNS0_10empty_typeEEEZZNS1_27merge_sort_block_merge_implIS3_N6thrust23THRUST_200600_302600_NS6detail15normal_iteratorINS9_10device_ptrIsEEEEPS5_jNS1_19radix_merge_compareILb0ELb1EsNS0_19identity_decomposerEEEEE10hipError_tT0_T1_T2_jT3_P12ihipStream_tbPNSt15iterator_traitsISK_E10value_typeEPNSQ_ISL_E10value_typeEPSM_NS1_7vsmem_tEENKUlT_SK_SL_SM_E_clIPsSE_SF_SF_EESJ_SZ_SK_SL_SM_EUlSZ_E0_NS1_11comp_targetILNS1_3genE0ELNS1_11target_archE4294967295ELNS1_3gpuE0ELNS1_3repE0EEENS1_38merge_mergepath_config_static_selectorELNS0_4arch9wavefront6targetE1EEEvSL_.kd
    .uniform_work_group_size: 1
    .uses_dynamic_stack: false
    .vgpr_count:     0
    .vgpr_spill_count: 0
    .wavefront_size: 64
  - .agpr_count:     0
    .args:
      - .offset:         0
        .size:           64
        .value_kind:     by_value
    .group_segment_fixed_size: 0
    .kernarg_segment_align: 8
    .kernarg_segment_size: 64
    .language:       OpenCL C
    .language_version:
      - 2
      - 0
    .max_flat_workgroup_size: 128
    .name:           _ZN7rocprim17ROCPRIM_400000_NS6detail17trampoline_kernelINS0_14default_configENS1_38merge_sort_block_merge_config_selectorIsNS0_10empty_typeEEEZZNS1_27merge_sort_block_merge_implIS3_N6thrust23THRUST_200600_302600_NS6detail15normal_iteratorINS9_10device_ptrIsEEEEPS5_jNS1_19radix_merge_compareILb0ELb1EsNS0_19identity_decomposerEEEEE10hipError_tT0_T1_T2_jT3_P12ihipStream_tbPNSt15iterator_traitsISK_E10value_typeEPNSQ_ISL_E10value_typeEPSM_NS1_7vsmem_tEENKUlT_SK_SL_SM_E_clIPsSE_SF_SF_EESJ_SZ_SK_SL_SM_EUlSZ_E0_NS1_11comp_targetILNS1_3genE10ELNS1_11target_archE1201ELNS1_3gpuE5ELNS1_3repE0EEENS1_38merge_mergepath_config_static_selectorELNS0_4arch9wavefront6targetE1EEEvSL_
    .private_segment_fixed_size: 0
    .sgpr_count:     6
    .sgpr_spill_count: 0
    .symbol:         _ZN7rocprim17ROCPRIM_400000_NS6detail17trampoline_kernelINS0_14default_configENS1_38merge_sort_block_merge_config_selectorIsNS0_10empty_typeEEEZZNS1_27merge_sort_block_merge_implIS3_N6thrust23THRUST_200600_302600_NS6detail15normal_iteratorINS9_10device_ptrIsEEEEPS5_jNS1_19radix_merge_compareILb0ELb1EsNS0_19identity_decomposerEEEEE10hipError_tT0_T1_T2_jT3_P12ihipStream_tbPNSt15iterator_traitsISK_E10value_typeEPNSQ_ISL_E10value_typeEPSM_NS1_7vsmem_tEENKUlT_SK_SL_SM_E_clIPsSE_SF_SF_EESJ_SZ_SK_SL_SM_EUlSZ_E0_NS1_11comp_targetILNS1_3genE10ELNS1_11target_archE1201ELNS1_3gpuE5ELNS1_3repE0EEENS1_38merge_mergepath_config_static_selectorELNS0_4arch9wavefront6targetE1EEEvSL_.kd
    .uniform_work_group_size: 1
    .uses_dynamic_stack: false
    .vgpr_count:     0
    .vgpr_spill_count: 0
    .wavefront_size: 64
  - .agpr_count:     0
    .args:
      - .offset:         0
        .size:           64
        .value_kind:     by_value
      - .offset:         64
        .size:           4
        .value_kind:     hidden_block_count_x
      - .offset:         68
        .size:           4
        .value_kind:     hidden_block_count_y
      - .offset:         72
        .size:           4
        .value_kind:     hidden_block_count_z
      - .offset:         76
        .size:           2
        .value_kind:     hidden_group_size_x
      - .offset:         78
        .size:           2
        .value_kind:     hidden_group_size_y
      - .offset:         80
        .size:           2
        .value_kind:     hidden_group_size_z
      - .offset:         82
        .size:           2
        .value_kind:     hidden_remainder_x
      - .offset:         84
        .size:           2
        .value_kind:     hidden_remainder_y
      - .offset:         86
        .size:           2
        .value_kind:     hidden_remainder_z
      - .offset:         104
        .size:           8
        .value_kind:     hidden_global_offset_x
      - .offset:         112
        .size:           8
        .value_kind:     hidden_global_offset_y
      - .offset:         120
        .size:           8
        .value_kind:     hidden_global_offset_z
      - .offset:         128
        .size:           2
        .value_kind:     hidden_grid_dims
    .group_segment_fixed_size: 2112
    .kernarg_segment_align: 8
    .kernarg_segment_size: 320
    .language:       OpenCL C
    .language_version:
      - 2
      - 0
    .max_flat_workgroup_size: 128
    .name:           _ZN7rocprim17ROCPRIM_400000_NS6detail17trampoline_kernelINS0_14default_configENS1_38merge_sort_block_merge_config_selectorIsNS0_10empty_typeEEEZZNS1_27merge_sort_block_merge_implIS3_N6thrust23THRUST_200600_302600_NS6detail15normal_iteratorINS9_10device_ptrIsEEEEPS5_jNS1_19radix_merge_compareILb0ELb1EsNS0_19identity_decomposerEEEEE10hipError_tT0_T1_T2_jT3_P12ihipStream_tbPNSt15iterator_traitsISK_E10value_typeEPNSQ_ISL_E10value_typeEPSM_NS1_7vsmem_tEENKUlT_SK_SL_SM_E_clIPsSE_SF_SF_EESJ_SZ_SK_SL_SM_EUlSZ_E0_NS1_11comp_targetILNS1_3genE5ELNS1_11target_archE942ELNS1_3gpuE9ELNS1_3repE0EEENS1_38merge_mergepath_config_static_selectorELNS0_4arch9wavefront6targetE1EEEvSL_
    .private_segment_fixed_size: 0
    .sgpr_count:     31
    .sgpr_spill_count: 0
    .symbol:         _ZN7rocprim17ROCPRIM_400000_NS6detail17trampoline_kernelINS0_14default_configENS1_38merge_sort_block_merge_config_selectorIsNS0_10empty_typeEEEZZNS1_27merge_sort_block_merge_implIS3_N6thrust23THRUST_200600_302600_NS6detail15normal_iteratorINS9_10device_ptrIsEEEEPS5_jNS1_19radix_merge_compareILb0ELb1EsNS0_19identity_decomposerEEEEE10hipError_tT0_T1_T2_jT3_P12ihipStream_tbPNSt15iterator_traitsISK_E10value_typeEPNSQ_ISL_E10value_typeEPSM_NS1_7vsmem_tEENKUlT_SK_SL_SM_E_clIPsSE_SF_SF_EESJ_SZ_SK_SL_SM_EUlSZ_E0_NS1_11comp_targetILNS1_3genE5ELNS1_11target_archE942ELNS1_3gpuE9ELNS1_3repE0EEENS1_38merge_mergepath_config_static_selectorELNS0_4arch9wavefront6targetE1EEEvSL_.kd
    .uniform_work_group_size: 1
    .uses_dynamic_stack: false
    .vgpr_count:     26
    .vgpr_spill_count: 0
    .wavefront_size: 64
  - .agpr_count:     0
    .args:
      - .offset:         0
        .size:           64
        .value_kind:     by_value
    .group_segment_fixed_size: 0
    .kernarg_segment_align: 8
    .kernarg_segment_size: 64
    .language:       OpenCL C
    .language_version:
      - 2
      - 0
    .max_flat_workgroup_size: 128
    .name:           _ZN7rocprim17ROCPRIM_400000_NS6detail17trampoline_kernelINS0_14default_configENS1_38merge_sort_block_merge_config_selectorIsNS0_10empty_typeEEEZZNS1_27merge_sort_block_merge_implIS3_N6thrust23THRUST_200600_302600_NS6detail15normal_iteratorINS9_10device_ptrIsEEEEPS5_jNS1_19radix_merge_compareILb0ELb1EsNS0_19identity_decomposerEEEEE10hipError_tT0_T1_T2_jT3_P12ihipStream_tbPNSt15iterator_traitsISK_E10value_typeEPNSQ_ISL_E10value_typeEPSM_NS1_7vsmem_tEENKUlT_SK_SL_SM_E_clIPsSE_SF_SF_EESJ_SZ_SK_SL_SM_EUlSZ_E0_NS1_11comp_targetILNS1_3genE4ELNS1_11target_archE910ELNS1_3gpuE8ELNS1_3repE0EEENS1_38merge_mergepath_config_static_selectorELNS0_4arch9wavefront6targetE1EEEvSL_
    .private_segment_fixed_size: 0
    .sgpr_count:     6
    .sgpr_spill_count: 0
    .symbol:         _ZN7rocprim17ROCPRIM_400000_NS6detail17trampoline_kernelINS0_14default_configENS1_38merge_sort_block_merge_config_selectorIsNS0_10empty_typeEEEZZNS1_27merge_sort_block_merge_implIS3_N6thrust23THRUST_200600_302600_NS6detail15normal_iteratorINS9_10device_ptrIsEEEEPS5_jNS1_19radix_merge_compareILb0ELb1EsNS0_19identity_decomposerEEEEE10hipError_tT0_T1_T2_jT3_P12ihipStream_tbPNSt15iterator_traitsISK_E10value_typeEPNSQ_ISL_E10value_typeEPSM_NS1_7vsmem_tEENKUlT_SK_SL_SM_E_clIPsSE_SF_SF_EESJ_SZ_SK_SL_SM_EUlSZ_E0_NS1_11comp_targetILNS1_3genE4ELNS1_11target_archE910ELNS1_3gpuE8ELNS1_3repE0EEENS1_38merge_mergepath_config_static_selectorELNS0_4arch9wavefront6targetE1EEEvSL_.kd
    .uniform_work_group_size: 1
    .uses_dynamic_stack: false
    .vgpr_count:     0
    .vgpr_spill_count: 0
    .wavefront_size: 64
  - .agpr_count:     0
    .args:
      - .offset:         0
        .size:           64
        .value_kind:     by_value
    .group_segment_fixed_size: 0
    .kernarg_segment_align: 8
    .kernarg_segment_size: 64
    .language:       OpenCL C
    .language_version:
      - 2
      - 0
    .max_flat_workgroup_size: 128
    .name:           _ZN7rocprim17ROCPRIM_400000_NS6detail17trampoline_kernelINS0_14default_configENS1_38merge_sort_block_merge_config_selectorIsNS0_10empty_typeEEEZZNS1_27merge_sort_block_merge_implIS3_N6thrust23THRUST_200600_302600_NS6detail15normal_iteratorINS9_10device_ptrIsEEEEPS5_jNS1_19radix_merge_compareILb0ELb1EsNS0_19identity_decomposerEEEEE10hipError_tT0_T1_T2_jT3_P12ihipStream_tbPNSt15iterator_traitsISK_E10value_typeEPNSQ_ISL_E10value_typeEPSM_NS1_7vsmem_tEENKUlT_SK_SL_SM_E_clIPsSE_SF_SF_EESJ_SZ_SK_SL_SM_EUlSZ_E0_NS1_11comp_targetILNS1_3genE3ELNS1_11target_archE908ELNS1_3gpuE7ELNS1_3repE0EEENS1_38merge_mergepath_config_static_selectorELNS0_4arch9wavefront6targetE1EEEvSL_
    .private_segment_fixed_size: 0
    .sgpr_count:     6
    .sgpr_spill_count: 0
    .symbol:         _ZN7rocprim17ROCPRIM_400000_NS6detail17trampoline_kernelINS0_14default_configENS1_38merge_sort_block_merge_config_selectorIsNS0_10empty_typeEEEZZNS1_27merge_sort_block_merge_implIS3_N6thrust23THRUST_200600_302600_NS6detail15normal_iteratorINS9_10device_ptrIsEEEEPS5_jNS1_19radix_merge_compareILb0ELb1EsNS0_19identity_decomposerEEEEE10hipError_tT0_T1_T2_jT3_P12ihipStream_tbPNSt15iterator_traitsISK_E10value_typeEPNSQ_ISL_E10value_typeEPSM_NS1_7vsmem_tEENKUlT_SK_SL_SM_E_clIPsSE_SF_SF_EESJ_SZ_SK_SL_SM_EUlSZ_E0_NS1_11comp_targetILNS1_3genE3ELNS1_11target_archE908ELNS1_3gpuE7ELNS1_3repE0EEENS1_38merge_mergepath_config_static_selectorELNS0_4arch9wavefront6targetE1EEEvSL_.kd
    .uniform_work_group_size: 1
    .uses_dynamic_stack: false
    .vgpr_count:     0
    .vgpr_spill_count: 0
    .wavefront_size: 64
  - .agpr_count:     0
    .args:
      - .offset:         0
        .size:           64
        .value_kind:     by_value
    .group_segment_fixed_size: 0
    .kernarg_segment_align: 8
    .kernarg_segment_size: 64
    .language:       OpenCL C
    .language_version:
      - 2
      - 0
    .max_flat_workgroup_size: 128
    .name:           _ZN7rocprim17ROCPRIM_400000_NS6detail17trampoline_kernelINS0_14default_configENS1_38merge_sort_block_merge_config_selectorIsNS0_10empty_typeEEEZZNS1_27merge_sort_block_merge_implIS3_N6thrust23THRUST_200600_302600_NS6detail15normal_iteratorINS9_10device_ptrIsEEEEPS5_jNS1_19radix_merge_compareILb0ELb1EsNS0_19identity_decomposerEEEEE10hipError_tT0_T1_T2_jT3_P12ihipStream_tbPNSt15iterator_traitsISK_E10value_typeEPNSQ_ISL_E10value_typeEPSM_NS1_7vsmem_tEENKUlT_SK_SL_SM_E_clIPsSE_SF_SF_EESJ_SZ_SK_SL_SM_EUlSZ_E0_NS1_11comp_targetILNS1_3genE2ELNS1_11target_archE906ELNS1_3gpuE6ELNS1_3repE0EEENS1_38merge_mergepath_config_static_selectorELNS0_4arch9wavefront6targetE1EEEvSL_
    .private_segment_fixed_size: 0
    .sgpr_count:     6
    .sgpr_spill_count: 0
    .symbol:         _ZN7rocprim17ROCPRIM_400000_NS6detail17trampoline_kernelINS0_14default_configENS1_38merge_sort_block_merge_config_selectorIsNS0_10empty_typeEEEZZNS1_27merge_sort_block_merge_implIS3_N6thrust23THRUST_200600_302600_NS6detail15normal_iteratorINS9_10device_ptrIsEEEEPS5_jNS1_19radix_merge_compareILb0ELb1EsNS0_19identity_decomposerEEEEE10hipError_tT0_T1_T2_jT3_P12ihipStream_tbPNSt15iterator_traitsISK_E10value_typeEPNSQ_ISL_E10value_typeEPSM_NS1_7vsmem_tEENKUlT_SK_SL_SM_E_clIPsSE_SF_SF_EESJ_SZ_SK_SL_SM_EUlSZ_E0_NS1_11comp_targetILNS1_3genE2ELNS1_11target_archE906ELNS1_3gpuE6ELNS1_3repE0EEENS1_38merge_mergepath_config_static_selectorELNS0_4arch9wavefront6targetE1EEEvSL_.kd
    .uniform_work_group_size: 1
    .uses_dynamic_stack: false
    .vgpr_count:     0
    .vgpr_spill_count: 0
    .wavefront_size: 64
  - .agpr_count:     0
    .args:
      - .offset:         0
        .size:           64
        .value_kind:     by_value
    .group_segment_fixed_size: 0
    .kernarg_segment_align: 8
    .kernarg_segment_size: 64
    .language:       OpenCL C
    .language_version:
      - 2
      - 0
    .max_flat_workgroup_size: 128
    .name:           _ZN7rocprim17ROCPRIM_400000_NS6detail17trampoline_kernelINS0_14default_configENS1_38merge_sort_block_merge_config_selectorIsNS0_10empty_typeEEEZZNS1_27merge_sort_block_merge_implIS3_N6thrust23THRUST_200600_302600_NS6detail15normal_iteratorINS9_10device_ptrIsEEEEPS5_jNS1_19radix_merge_compareILb0ELb1EsNS0_19identity_decomposerEEEEE10hipError_tT0_T1_T2_jT3_P12ihipStream_tbPNSt15iterator_traitsISK_E10value_typeEPNSQ_ISL_E10value_typeEPSM_NS1_7vsmem_tEENKUlT_SK_SL_SM_E_clIPsSE_SF_SF_EESJ_SZ_SK_SL_SM_EUlSZ_E0_NS1_11comp_targetILNS1_3genE9ELNS1_11target_archE1100ELNS1_3gpuE3ELNS1_3repE0EEENS1_38merge_mergepath_config_static_selectorELNS0_4arch9wavefront6targetE1EEEvSL_
    .private_segment_fixed_size: 0
    .sgpr_count:     6
    .sgpr_spill_count: 0
    .symbol:         _ZN7rocprim17ROCPRIM_400000_NS6detail17trampoline_kernelINS0_14default_configENS1_38merge_sort_block_merge_config_selectorIsNS0_10empty_typeEEEZZNS1_27merge_sort_block_merge_implIS3_N6thrust23THRUST_200600_302600_NS6detail15normal_iteratorINS9_10device_ptrIsEEEEPS5_jNS1_19radix_merge_compareILb0ELb1EsNS0_19identity_decomposerEEEEE10hipError_tT0_T1_T2_jT3_P12ihipStream_tbPNSt15iterator_traitsISK_E10value_typeEPNSQ_ISL_E10value_typeEPSM_NS1_7vsmem_tEENKUlT_SK_SL_SM_E_clIPsSE_SF_SF_EESJ_SZ_SK_SL_SM_EUlSZ_E0_NS1_11comp_targetILNS1_3genE9ELNS1_11target_archE1100ELNS1_3gpuE3ELNS1_3repE0EEENS1_38merge_mergepath_config_static_selectorELNS0_4arch9wavefront6targetE1EEEvSL_.kd
    .uniform_work_group_size: 1
    .uses_dynamic_stack: false
    .vgpr_count:     0
    .vgpr_spill_count: 0
    .wavefront_size: 64
  - .agpr_count:     0
    .args:
      - .offset:         0
        .size:           64
        .value_kind:     by_value
    .group_segment_fixed_size: 0
    .kernarg_segment_align: 8
    .kernarg_segment_size: 64
    .language:       OpenCL C
    .language_version:
      - 2
      - 0
    .max_flat_workgroup_size: 128
    .name:           _ZN7rocprim17ROCPRIM_400000_NS6detail17trampoline_kernelINS0_14default_configENS1_38merge_sort_block_merge_config_selectorIsNS0_10empty_typeEEEZZNS1_27merge_sort_block_merge_implIS3_N6thrust23THRUST_200600_302600_NS6detail15normal_iteratorINS9_10device_ptrIsEEEEPS5_jNS1_19radix_merge_compareILb0ELb1EsNS0_19identity_decomposerEEEEE10hipError_tT0_T1_T2_jT3_P12ihipStream_tbPNSt15iterator_traitsISK_E10value_typeEPNSQ_ISL_E10value_typeEPSM_NS1_7vsmem_tEENKUlT_SK_SL_SM_E_clIPsSE_SF_SF_EESJ_SZ_SK_SL_SM_EUlSZ_E0_NS1_11comp_targetILNS1_3genE8ELNS1_11target_archE1030ELNS1_3gpuE2ELNS1_3repE0EEENS1_38merge_mergepath_config_static_selectorELNS0_4arch9wavefront6targetE1EEEvSL_
    .private_segment_fixed_size: 0
    .sgpr_count:     6
    .sgpr_spill_count: 0
    .symbol:         _ZN7rocprim17ROCPRIM_400000_NS6detail17trampoline_kernelINS0_14default_configENS1_38merge_sort_block_merge_config_selectorIsNS0_10empty_typeEEEZZNS1_27merge_sort_block_merge_implIS3_N6thrust23THRUST_200600_302600_NS6detail15normal_iteratorINS9_10device_ptrIsEEEEPS5_jNS1_19radix_merge_compareILb0ELb1EsNS0_19identity_decomposerEEEEE10hipError_tT0_T1_T2_jT3_P12ihipStream_tbPNSt15iterator_traitsISK_E10value_typeEPNSQ_ISL_E10value_typeEPSM_NS1_7vsmem_tEENKUlT_SK_SL_SM_E_clIPsSE_SF_SF_EESJ_SZ_SK_SL_SM_EUlSZ_E0_NS1_11comp_targetILNS1_3genE8ELNS1_11target_archE1030ELNS1_3gpuE2ELNS1_3repE0EEENS1_38merge_mergepath_config_static_selectorELNS0_4arch9wavefront6targetE1EEEvSL_.kd
    .uniform_work_group_size: 1
    .uses_dynamic_stack: false
    .vgpr_count:     0
    .vgpr_spill_count: 0
    .wavefront_size: 64
  - .agpr_count:     0
    .args:
      - .offset:         0
        .size:           48
        .value_kind:     by_value
    .group_segment_fixed_size: 0
    .kernarg_segment_align: 8
    .kernarg_segment_size: 48
    .language:       OpenCL C
    .language_version:
      - 2
      - 0
    .max_flat_workgroup_size: 256
    .name:           _ZN7rocprim17ROCPRIM_400000_NS6detail17trampoline_kernelINS0_14default_configENS1_38merge_sort_block_merge_config_selectorIsNS0_10empty_typeEEEZZNS1_27merge_sort_block_merge_implIS3_N6thrust23THRUST_200600_302600_NS6detail15normal_iteratorINS9_10device_ptrIsEEEEPS5_jNS1_19radix_merge_compareILb0ELb1EsNS0_19identity_decomposerEEEEE10hipError_tT0_T1_T2_jT3_P12ihipStream_tbPNSt15iterator_traitsISK_E10value_typeEPNSQ_ISL_E10value_typeEPSM_NS1_7vsmem_tEENKUlT_SK_SL_SM_E_clIPsSE_SF_SF_EESJ_SZ_SK_SL_SM_EUlSZ_E1_NS1_11comp_targetILNS1_3genE0ELNS1_11target_archE4294967295ELNS1_3gpuE0ELNS1_3repE0EEENS1_36merge_oddeven_config_static_selectorELNS0_4arch9wavefront6targetE1EEEvSL_
    .private_segment_fixed_size: 0
    .sgpr_count:     6
    .sgpr_spill_count: 0
    .symbol:         _ZN7rocprim17ROCPRIM_400000_NS6detail17trampoline_kernelINS0_14default_configENS1_38merge_sort_block_merge_config_selectorIsNS0_10empty_typeEEEZZNS1_27merge_sort_block_merge_implIS3_N6thrust23THRUST_200600_302600_NS6detail15normal_iteratorINS9_10device_ptrIsEEEEPS5_jNS1_19radix_merge_compareILb0ELb1EsNS0_19identity_decomposerEEEEE10hipError_tT0_T1_T2_jT3_P12ihipStream_tbPNSt15iterator_traitsISK_E10value_typeEPNSQ_ISL_E10value_typeEPSM_NS1_7vsmem_tEENKUlT_SK_SL_SM_E_clIPsSE_SF_SF_EESJ_SZ_SK_SL_SM_EUlSZ_E1_NS1_11comp_targetILNS1_3genE0ELNS1_11target_archE4294967295ELNS1_3gpuE0ELNS1_3repE0EEENS1_36merge_oddeven_config_static_selectorELNS0_4arch9wavefront6targetE1EEEvSL_.kd
    .uniform_work_group_size: 1
    .uses_dynamic_stack: false
    .vgpr_count:     0
    .vgpr_spill_count: 0
    .wavefront_size: 64
  - .agpr_count:     0
    .args:
      - .offset:         0
        .size:           48
        .value_kind:     by_value
    .group_segment_fixed_size: 0
    .kernarg_segment_align: 8
    .kernarg_segment_size: 48
    .language:       OpenCL C
    .language_version:
      - 2
      - 0
    .max_flat_workgroup_size: 256
    .name:           _ZN7rocprim17ROCPRIM_400000_NS6detail17trampoline_kernelINS0_14default_configENS1_38merge_sort_block_merge_config_selectorIsNS0_10empty_typeEEEZZNS1_27merge_sort_block_merge_implIS3_N6thrust23THRUST_200600_302600_NS6detail15normal_iteratorINS9_10device_ptrIsEEEEPS5_jNS1_19radix_merge_compareILb0ELb1EsNS0_19identity_decomposerEEEEE10hipError_tT0_T1_T2_jT3_P12ihipStream_tbPNSt15iterator_traitsISK_E10value_typeEPNSQ_ISL_E10value_typeEPSM_NS1_7vsmem_tEENKUlT_SK_SL_SM_E_clIPsSE_SF_SF_EESJ_SZ_SK_SL_SM_EUlSZ_E1_NS1_11comp_targetILNS1_3genE10ELNS1_11target_archE1201ELNS1_3gpuE5ELNS1_3repE0EEENS1_36merge_oddeven_config_static_selectorELNS0_4arch9wavefront6targetE1EEEvSL_
    .private_segment_fixed_size: 0
    .sgpr_count:     6
    .sgpr_spill_count: 0
    .symbol:         _ZN7rocprim17ROCPRIM_400000_NS6detail17trampoline_kernelINS0_14default_configENS1_38merge_sort_block_merge_config_selectorIsNS0_10empty_typeEEEZZNS1_27merge_sort_block_merge_implIS3_N6thrust23THRUST_200600_302600_NS6detail15normal_iteratorINS9_10device_ptrIsEEEEPS5_jNS1_19radix_merge_compareILb0ELb1EsNS0_19identity_decomposerEEEEE10hipError_tT0_T1_T2_jT3_P12ihipStream_tbPNSt15iterator_traitsISK_E10value_typeEPNSQ_ISL_E10value_typeEPSM_NS1_7vsmem_tEENKUlT_SK_SL_SM_E_clIPsSE_SF_SF_EESJ_SZ_SK_SL_SM_EUlSZ_E1_NS1_11comp_targetILNS1_3genE10ELNS1_11target_archE1201ELNS1_3gpuE5ELNS1_3repE0EEENS1_36merge_oddeven_config_static_selectorELNS0_4arch9wavefront6targetE1EEEvSL_.kd
    .uniform_work_group_size: 1
    .uses_dynamic_stack: false
    .vgpr_count:     0
    .vgpr_spill_count: 0
    .wavefront_size: 64
  - .agpr_count:     0
    .args:
      - .offset:         0
        .size:           48
        .value_kind:     by_value
    .group_segment_fixed_size: 0
    .kernarg_segment_align: 8
    .kernarg_segment_size: 48
    .language:       OpenCL C
    .language_version:
      - 2
      - 0
    .max_flat_workgroup_size: 256
    .name:           _ZN7rocprim17ROCPRIM_400000_NS6detail17trampoline_kernelINS0_14default_configENS1_38merge_sort_block_merge_config_selectorIsNS0_10empty_typeEEEZZNS1_27merge_sort_block_merge_implIS3_N6thrust23THRUST_200600_302600_NS6detail15normal_iteratorINS9_10device_ptrIsEEEEPS5_jNS1_19radix_merge_compareILb0ELb1EsNS0_19identity_decomposerEEEEE10hipError_tT0_T1_T2_jT3_P12ihipStream_tbPNSt15iterator_traitsISK_E10value_typeEPNSQ_ISL_E10value_typeEPSM_NS1_7vsmem_tEENKUlT_SK_SL_SM_E_clIPsSE_SF_SF_EESJ_SZ_SK_SL_SM_EUlSZ_E1_NS1_11comp_targetILNS1_3genE5ELNS1_11target_archE942ELNS1_3gpuE9ELNS1_3repE0EEENS1_36merge_oddeven_config_static_selectorELNS0_4arch9wavefront6targetE1EEEvSL_
    .private_segment_fixed_size: 0
    .sgpr_count:     27
    .sgpr_spill_count: 0
    .symbol:         _ZN7rocprim17ROCPRIM_400000_NS6detail17trampoline_kernelINS0_14default_configENS1_38merge_sort_block_merge_config_selectorIsNS0_10empty_typeEEEZZNS1_27merge_sort_block_merge_implIS3_N6thrust23THRUST_200600_302600_NS6detail15normal_iteratorINS9_10device_ptrIsEEEEPS5_jNS1_19radix_merge_compareILb0ELb1EsNS0_19identity_decomposerEEEEE10hipError_tT0_T1_T2_jT3_P12ihipStream_tbPNSt15iterator_traitsISK_E10value_typeEPNSQ_ISL_E10value_typeEPSM_NS1_7vsmem_tEENKUlT_SK_SL_SM_E_clIPsSE_SF_SF_EESJ_SZ_SK_SL_SM_EUlSZ_E1_NS1_11comp_targetILNS1_3genE5ELNS1_11target_archE942ELNS1_3gpuE9ELNS1_3repE0EEENS1_36merge_oddeven_config_static_selectorELNS0_4arch9wavefront6targetE1EEEvSL_.kd
    .uniform_work_group_size: 1
    .uses_dynamic_stack: false
    .vgpr_count:     9
    .vgpr_spill_count: 0
    .wavefront_size: 64
  - .agpr_count:     0
    .args:
      - .offset:         0
        .size:           48
        .value_kind:     by_value
    .group_segment_fixed_size: 0
    .kernarg_segment_align: 8
    .kernarg_segment_size: 48
    .language:       OpenCL C
    .language_version:
      - 2
      - 0
    .max_flat_workgroup_size: 256
    .name:           _ZN7rocprim17ROCPRIM_400000_NS6detail17trampoline_kernelINS0_14default_configENS1_38merge_sort_block_merge_config_selectorIsNS0_10empty_typeEEEZZNS1_27merge_sort_block_merge_implIS3_N6thrust23THRUST_200600_302600_NS6detail15normal_iteratorINS9_10device_ptrIsEEEEPS5_jNS1_19radix_merge_compareILb0ELb1EsNS0_19identity_decomposerEEEEE10hipError_tT0_T1_T2_jT3_P12ihipStream_tbPNSt15iterator_traitsISK_E10value_typeEPNSQ_ISL_E10value_typeEPSM_NS1_7vsmem_tEENKUlT_SK_SL_SM_E_clIPsSE_SF_SF_EESJ_SZ_SK_SL_SM_EUlSZ_E1_NS1_11comp_targetILNS1_3genE4ELNS1_11target_archE910ELNS1_3gpuE8ELNS1_3repE0EEENS1_36merge_oddeven_config_static_selectorELNS0_4arch9wavefront6targetE1EEEvSL_
    .private_segment_fixed_size: 0
    .sgpr_count:     6
    .sgpr_spill_count: 0
    .symbol:         _ZN7rocprim17ROCPRIM_400000_NS6detail17trampoline_kernelINS0_14default_configENS1_38merge_sort_block_merge_config_selectorIsNS0_10empty_typeEEEZZNS1_27merge_sort_block_merge_implIS3_N6thrust23THRUST_200600_302600_NS6detail15normal_iteratorINS9_10device_ptrIsEEEEPS5_jNS1_19radix_merge_compareILb0ELb1EsNS0_19identity_decomposerEEEEE10hipError_tT0_T1_T2_jT3_P12ihipStream_tbPNSt15iterator_traitsISK_E10value_typeEPNSQ_ISL_E10value_typeEPSM_NS1_7vsmem_tEENKUlT_SK_SL_SM_E_clIPsSE_SF_SF_EESJ_SZ_SK_SL_SM_EUlSZ_E1_NS1_11comp_targetILNS1_3genE4ELNS1_11target_archE910ELNS1_3gpuE8ELNS1_3repE0EEENS1_36merge_oddeven_config_static_selectorELNS0_4arch9wavefront6targetE1EEEvSL_.kd
    .uniform_work_group_size: 1
    .uses_dynamic_stack: false
    .vgpr_count:     0
    .vgpr_spill_count: 0
    .wavefront_size: 64
  - .agpr_count:     0
    .args:
      - .offset:         0
        .size:           48
        .value_kind:     by_value
    .group_segment_fixed_size: 0
    .kernarg_segment_align: 8
    .kernarg_segment_size: 48
    .language:       OpenCL C
    .language_version:
      - 2
      - 0
    .max_flat_workgroup_size: 256
    .name:           _ZN7rocprim17ROCPRIM_400000_NS6detail17trampoline_kernelINS0_14default_configENS1_38merge_sort_block_merge_config_selectorIsNS0_10empty_typeEEEZZNS1_27merge_sort_block_merge_implIS3_N6thrust23THRUST_200600_302600_NS6detail15normal_iteratorINS9_10device_ptrIsEEEEPS5_jNS1_19radix_merge_compareILb0ELb1EsNS0_19identity_decomposerEEEEE10hipError_tT0_T1_T2_jT3_P12ihipStream_tbPNSt15iterator_traitsISK_E10value_typeEPNSQ_ISL_E10value_typeEPSM_NS1_7vsmem_tEENKUlT_SK_SL_SM_E_clIPsSE_SF_SF_EESJ_SZ_SK_SL_SM_EUlSZ_E1_NS1_11comp_targetILNS1_3genE3ELNS1_11target_archE908ELNS1_3gpuE7ELNS1_3repE0EEENS1_36merge_oddeven_config_static_selectorELNS0_4arch9wavefront6targetE1EEEvSL_
    .private_segment_fixed_size: 0
    .sgpr_count:     6
    .sgpr_spill_count: 0
    .symbol:         _ZN7rocprim17ROCPRIM_400000_NS6detail17trampoline_kernelINS0_14default_configENS1_38merge_sort_block_merge_config_selectorIsNS0_10empty_typeEEEZZNS1_27merge_sort_block_merge_implIS3_N6thrust23THRUST_200600_302600_NS6detail15normal_iteratorINS9_10device_ptrIsEEEEPS5_jNS1_19radix_merge_compareILb0ELb1EsNS0_19identity_decomposerEEEEE10hipError_tT0_T1_T2_jT3_P12ihipStream_tbPNSt15iterator_traitsISK_E10value_typeEPNSQ_ISL_E10value_typeEPSM_NS1_7vsmem_tEENKUlT_SK_SL_SM_E_clIPsSE_SF_SF_EESJ_SZ_SK_SL_SM_EUlSZ_E1_NS1_11comp_targetILNS1_3genE3ELNS1_11target_archE908ELNS1_3gpuE7ELNS1_3repE0EEENS1_36merge_oddeven_config_static_selectorELNS0_4arch9wavefront6targetE1EEEvSL_.kd
    .uniform_work_group_size: 1
    .uses_dynamic_stack: false
    .vgpr_count:     0
    .vgpr_spill_count: 0
    .wavefront_size: 64
  - .agpr_count:     0
    .args:
      - .offset:         0
        .size:           48
        .value_kind:     by_value
    .group_segment_fixed_size: 0
    .kernarg_segment_align: 8
    .kernarg_segment_size: 48
    .language:       OpenCL C
    .language_version:
      - 2
      - 0
    .max_flat_workgroup_size: 256
    .name:           _ZN7rocprim17ROCPRIM_400000_NS6detail17trampoline_kernelINS0_14default_configENS1_38merge_sort_block_merge_config_selectorIsNS0_10empty_typeEEEZZNS1_27merge_sort_block_merge_implIS3_N6thrust23THRUST_200600_302600_NS6detail15normal_iteratorINS9_10device_ptrIsEEEEPS5_jNS1_19radix_merge_compareILb0ELb1EsNS0_19identity_decomposerEEEEE10hipError_tT0_T1_T2_jT3_P12ihipStream_tbPNSt15iterator_traitsISK_E10value_typeEPNSQ_ISL_E10value_typeEPSM_NS1_7vsmem_tEENKUlT_SK_SL_SM_E_clIPsSE_SF_SF_EESJ_SZ_SK_SL_SM_EUlSZ_E1_NS1_11comp_targetILNS1_3genE2ELNS1_11target_archE906ELNS1_3gpuE6ELNS1_3repE0EEENS1_36merge_oddeven_config_static_selectorELNS0_4arch9wavefront6targetE1EEEvSL_
    .private_segment_fixed_size: 0
    .sgpr_count:     6
    .sgpr_spill_count: 0
    .symbol:         _ZN7rocprim17ROCPRIM_400000_NS6detail17trampoline_kernelINS0_14default_configENS1_38merge_sort_block_merge_config_selectorIsNS0_10empty_typeEEEZZNS1_27merge_sort_block_merge_implIS3_N6thrust23THRUST_200600_302600_NS6detail15normal_iteratorINS9_10device_ptrIsEEEEPS5_jNS1_19radix_merge_compareILb0ELb1EsNS0_19identity_decomposerEEEEE10hipError_tT0_T1_T2_jT3_P12ihipStream_tbPNSt15iterator_traitsISK_E10value_typeEPNSQ_ISL_E10value_typeEPSM_NS1_7vsmem_tEENKUlT_SK_SL_SM_E_clIPsSE_SF_SF_EESJ_SZ_SK_SL_SM_EUlSZ_E1_NS1_11comp_targetILNS1_3genE2ELNS1_11target_archE906ELNS1_3gpuE6ELNS1_3repE0EEENS1_36merge_oddeven_config_static_selectorELNS0_4arch9wavefront6targetE1EEEvSL_.kd
    .uniform_work_group_size: 1
    .uses_dynamic_stack: false
    .vgpr_count:     0
    .vgpr_spill_count: 0
    .wavefront_size: 64
  - .agpr_count:     0
    .args:
      - .offset:         0
        .size:           48
        .value_kind:     by_value
    .group_segment_fixed_size: 0
    .kernarg_segment_align: 8
    .kernarg_segment_size: 48
    .language:       OpenCL C
    .language_version:
      - 2
      - 0
    .max_flat_workgroup_size: 256
    .name:           _ZN7rocprim17ROCPRIM_400000_NS6detail17trampoline_kernelINS0_14default_configENS1_38merge_sort_block_merge_config_selectorIsNS0_10empty_typeEEEZZNS1_27merge_sort_block_merge_implIS3_N6thrust23THRUST_200600_302600_NS6detail15normal_iteratorINS9_10device_ptrIsEEEEPS5_jNS1_19radix_merge_compareILb0ELb1EsNS0_19identity_decomposerEEEEE10hipError_tT0_T1_T2_jT3_P12ihipStream_tbPNSt15iterator_traitsISK_E10value_typeEPNSQ_ISL_E10value_typeEPSM_NS1_7vsmem_tEENKUlT_SK_SL_SM_E_clIPsSE_SF_SF_EESJ_SZ_SK_SL_SM_EUlSZ_E1_NS1_11comp_targetILNS1_3genE9ELNS1_11target_archE1100ELNS1_3gpuE3ELNS1_3repE0EEENS1_36merge_oddeven_config_static_selectorELNS0_4arch9wavefront6targetE1EEEvSL_
    .private_segment_fixed_size: 0
    .sgpr_count:     6
    .sgpr_spill_count: 0
    .symbol:         _ZN7rocprim17ROCPRIM_400000_NS6detail17trampoline_kernelINS0_14default_configENS1_38merge_sort_block_merge_config_selectorIsNS0_10empty_typeEEEZZNS1_27merge_sort_block_merge_implIS3_N6thrust23THRUST_200600_302600_NS6detail15normal_iteratorINS9_10device_ptrIsEEEEPS5_jNS1_19radix_merge_compareILb0ELb1EsNS0_19identity_decomposerEEEEE10hipError_tT0_T1_T2_jT3_P12ihipStream_tbPNSt15iterator_traitsISK_E10value_typeEPNSQ_ISL_E10value_typeEPSM_NS1_7vsmem_tEENKUlT_SK_SL_SM_E_clIPsSE_SF_SF_EESJ_SZ_SK_SL_SM_EUlSZ_E1_NS1_11comp_targetILNS1_3genE9ELNS1_11target_archE1100ELNS1_3gpuE3ELNS1_3repE0EEENS1_36merge_oddeven_config_static_selectorELNS0_4arch9wavefront6targetE1EEEvSL_.kd
    .uniform_work_group_size: 1
    .uses_dynamic_stack: false
    .vgpr_count:     0
    .vgpr_spill_count: 0
    .wavefront_size: 64
  - .agpr_count:     0
    .args:
      - .offset:         0
        .size:           48
        .value_kind:     by_value
    .group_segment_fixed_size: 0
    .kernarg_segment_align: 8
    .kernarg_segment_size: 48
    .language:       OpenCL C
    .language_version:
      - 2
      - 0
    .max_flat_workgroup_size: 256
    .name:           _ZN7rocprim17ROCPRIM_400000_NS6detail17trampoline_kernelINS0_14default_configENS1_38merge_sort_block_merge_config_selectorIsNS0_10empty_typeEEEZZNS1_27merge_sort_block_merge_implIS3_N6thrust23THRUST_200600_302600_NS6detail15normal_iteratorINS9_10device_ptrIsEEEEPS5_jNS1_19radix_merge_compareILb0ELb1EsNS0_19identity_decomposerEEEEE10hipError_tT0_T1_T2_jT3_P12ihipStream_tbPNSt15iterator_traitsISK_E10value_typeEPNSQ_ISL_E10value_typeEPSM_NS1_7vsmem_tEENKUlT_SK_SL_SM_E_clIPsSE_SF_SF_EESJ_SZ_SK_SL_SM_EUlSZ_E1_NS1_11comp_targetILNS1_3genE8ELNS1_11target_archE1030ELNS1_3gpuE2ELNS1_3repE0EEENS1_36merge_oddeven_config_static_selectorELNS0_4arch9wavefront6targetE1EEEvSL_
    .private_segment_fixed_size: 0
    .sgpr_count:     6
    .sgpr_spill_count: 0
    .symbol:         _ZN7rocprim17ROCPRIM_400000_NS6detail17trampoline_kernelINS0_14default_configENS1_38merge_sort_block_merge_config_selectorIsNS0_10empty_typeEEEZZNS1_27merge_sort_block_merge_implIS3_N6thrust23THRUST_200600_302600_NS6detail15normal_iteratorINS9_10device_ptrIsEEEEPS5_jNS1_19radix_merge_compareILb0ELb1EsNS0_19identity_decomposerEEEEE10hipError_tT0_T1_T2_jT3_P12ihipStream_tbPNSt15iterator_traitsISK_E10value_typeEPNSQ_ISL_E10value_typeEPSM_NS1_7vsmem_tEENKUlT_SK_SL_SM_E_clIPsSE_SF_SF_EESJ_SZ_SK_SL_SM_EUlSZ_E1_NS1_11comp_targetILNS1_3genE8ELNS1_11target_archE1030ELNS1_3gpuE2ELNS1_3repE0EEENS1_36merge_oddeven_config_static_selectorELNS0_4arch9wavefront6targetE1EEEvSL_.kd
    .uniform_work_group_size: 1
    .uses_dynamic_stack: false
    .vgpr_count:     0
    .vgpr_spill_count: 0
    .wavefront_size: 64
  - .agpr_count:     0
    .args:
      - .offset:         0
        .size:           40
        .value_kind:     by_value
    .group_segment_fixed_size: 0
    .kernarg_segment_align: 8
    .kernarg_segment_size: 40
    .language:       OpenCL C
    .language_version:
      - 2
      - 0
    .max_flat_workgroup_size: 128
    .name:           _ZN7rocprim17ROCPRIM_400000_NS6detail17trampoline_kernelINS0_14default_configENS1_38merge_sort_block_merge_config_selectorIsNS0_10empty_typeEEEZZNS1_27merge_sort_block_merge_implIS3_N6thrust23THRUST_200600_302600_NS6detail15normal_iteratorINS9_10device_ptrIsEEEEPS5_jNS1_19radix_merge_compareILb0ELb1EsNS0_19identity_decomposerEEEEE10hipError_tT0_T1_T2_jT3_P12ihipStream_tbPNSt15iterator_traitsISK_E10value_typeEPNSQ_ISL_E10value_typeEPSM_NS1_7vsmem_tEENKUlT_SK_SL_SM_E_clISE_PsSF_SF_EESJ_SZ_SK_SL_SM_EUlSZ_E_NS1_11comp_targetILNS1_3genE0ELNS1_11target_archE4294967295ELNS1_3gpuE0ELNS1_3repE0EEENS1_48merge_mergepath_partition_config_static_selectorELNS0_4arch9wavefront6targetE1EEEvSL_
    .private_segment_fixed_size: 0
    .sgpr_count:     6
    .sgpr_spill_count: 0
    .symbol:         _ZN7rocprim17ROCPRIM_400000_NS6detail17trampoline_kernelINS0_14default_configENS1_38merge_sort_block_merge_config_selectorIsNS0_10empty_typeEEEZZNS1_27merge_sort_block_merge_implIS3_N6thrust23THRUST_200600_302600_NS6detail15normal_iteratorINS9_10device_ptrIsEEEEPS5_jNS1_19radix_merge_compareILb0ELb1EsNS0_19identity_decomposerEEEEE10hipError_tT0_T1_T2_jT3_P12ihipStream_tbPNSt15iterator_traitsISK_E10value_typeEPNSQ_ISL_E10value_typeEPSM_NS1_7vsmem_tEENKUlT_SK_SL_SM_E_clISE_PsSF_SF_EESJ_SZ_SK_SL_SM_EUlSZ_E_NS1_11comp_targetILNS1_3genE0ELNS1_11target_archE4294967295ELNS1_3gpuE0ELNS1_3repE0EEENS1_48merge_mergepath_partition_config_static_selectorELNS0_4arch9wavefront6targetE1EEEvSL_.kd
    .uniform_work_group_size: 1
    .uses_dynamic_stack: false
    .vgpr_count:     0
    .vgpr_spill_count: 0
    .wavefront_size: 64
  - .agpr_count:     0
    .args:
      - .offset:         0
        .size:           40
        .value_kind:     by_value
    .group_segment_fixed_size: 0
    .kernarg_segment_align: 8
    .kernarg_segment_size: 40
    .language:       OpenCL C
    .language_version:
      - 2
      - 0
    .max_flat_workgroup_size: 128
    .name:           _ZN7rocprim17ROCPRIM_400000_NS6detail17trampoline_kernelINS0_14default_configENS1_38merge_sort_block_merge_config_selectorIsNS0_10empty_typeEEEZZNS1_27merge_sort_block_merge_implIS3_N6thrust23THRUST_200600_302600_NS6detail15normal_iteratorINS9_10device_ptrIsEEEEPS5_jNS1_19radix_merge_compareILb0ELb1EsNS0_19identity_decomposerEEEEE10hipError_tT0_T1_T2_jT3_P12ihipStream_tbPNSt15iterator_traitsISK_E10value_typeEPNSQ_ISL_E10value_typeEPSM_NS1_7vsmem_tEENKUlT_SK_SL_SM_E_clISE_PsSF_SF_EESJ_SZ_SK_SL_SM_EUlSZ_E_NS1_11comp_targetILNS1_3genE10ELNS1_11target_archE1201ELNS1_3gpuE5ELNS1_3repE0EEENS1_48merge_mergepath_partition_config_static_selectorELNS0_4arch9wavefront6targetE1EEEvSL_
    .private_segment_fixed_size: 0
    .sgpr_count:     6
    .sgpr_spill_count: 0
    .symbol:         _ZN7rocprim17ROCPRIM_400000_NS6detail17trampoline_kernelINS0_14default_configENS1_38merge_sort_block_merge_config_selectorIsNS0_10empty_typeEEEZZNS1_27merge_sort_block_merge_implIS3_N6thrust23THRUST_200600_302600_NS6detail15normal_iteratorINS9_10device_ptrIsEEEEPS5_jNS1_19radix_merge_compareILb0ELb1EsNS0_19identity_decomposerEEEEE10hipError_tT0_T1_T2_jT3_P12ihipStream_tbPNSt15iterator_traitsISK_E10value_typeEPNSQ_ISL_E10value_typeEPSM_NS1_7vsmem_tEENKUlT_SK_SL_SM_E_clISE_PsSF_SF_EESJ_SZ_SK_SL_SM_EUlSZ_E_NS1_11comp_targetILNS1_3genE10ELNS1_11target_archE1201ELNS1_3gpuE5ELNS1_3repE0EEENS1_48merge_mergepath_partition_config_static_selectorELNS0_4arch9wavefront6targetE1EEEvSL_.kd
    .uniform_work_group_size: 1
    .uses_dynamic_stack: false
    .vgpr_count:     0
    .vgpr_spill_count: 0
    .wavefront_size: 64
  - .agpr_count:     0
    .args:
      - .offset:         0
        .size:           40
        .value_kind:     by_value
    .group_segment_fixed_size: 0
    .kernarg_segment_align: 8
    .kernarg_segment_size: 40
    .language:       OpenCL C
    .language_version:
      - 2
      - 0
    .max_flat_workgroup_size: 128
    .name:           _ZN7rocprim17ROCPRIM_400000_NS6detail17trampoline_kernelINS0_14default_configENS1_38merge_sort_block_merge_config_selectorIsNS0_10empty_typeEEEZZNS1_27merge_sort_block_merge_implIS3_N6thrust23THRUST_200600_302600_NS6detail15normal_iteratorINS9_10device_ptrIsEEEEPS5_jNS1_19radix_merge_compareILb0ELb1EsNS0_19identity_decomposerEEEEE10hipError_tT0_T1_T2_jT3_P12ihipStream_tbPNSt15iterator_traitsISK_E10value_typeEPNSQ_ISL_E10value_typeEPSM_NS1_7vsmem_tEENKUlT_SK_SL_SM_E_clISE_PsSF_SF_EESJ_SZ_SK_SL_SM_EUlSZ_E_NS1_11comp_targetILNS1_3genE5ELNS1_11target_archE942ELNS1_3gpuE9ELNS1_3repE0EEENS1_48merge_mergepath_partition_config_static_selectorELNS0_4arch9wavefront6targetE1EEEvSL_
    .private_segment_fixed_size: 0
    .sgpr_count:     16
    .sgpr_spill_count: 0
    .symbol:         _ZN7rocprim17ROCPRIM_400000_NS6detail17trampoline_kernelINS0_14default_configENS1_38merge_sort_block_merge_config_selectorIsNS0_10empty_typeEEEZZNS1_27merge_sort_block_merge_implIS3_N6thrust23THRUST_200600_302600_NS6detail15normal_iteratorINS9_10device_ptrIsEEEEPS5_jNS1_19radix_merge_compareILb0ELb1EsNS0_19identity_decomposerEEEEE10hipError_tT0_T1_T2_jT3_P12ihipStream_tbPNSt15iterator_traitsISK_E10value_typeEPNSQ_ISL_E10value_typeEPSM_NS1_7vsmem_tEENKUlT_SK_SL_SM_E_clISE_PsSF_SF_EESJ_SZ_SK_SL_SM_EUlSZ_E_NS1_11comp_targetILNS1_3genE5ELNS1_11target_archE942ELNS1_3gpuE9ELNS1_3repE0EEENS1_48merge_mergepath_partition_config_static_selectorELNS0_4arch9wavefront6targetE1EEEvSL_.kd
    .uniform_work_group_size: 1
    .uses_dynamic_stack: false
    .vgpr_count:     17
    .vgpr_spill_count: 0
    .wavefront_size: 64
  - .agpr_count:     0
    .args:
      - .offset:         0
        .size:           40
        .value_kind:     by_value
    .group_segment_fixed_size: 0
    .kernarg_segment_align: 8
    .kernarg_segment_size: 40
    .language:       OpenCL C
    .language_version:
      - 2
      - 0
    .max_flat_workgroup_size: 128
    .name:           _ZN7rocprim17ROCPRIM_400000_NS6detail17trampoline_kernelINS0_14default_configENS1_38merge_sort_block_merge_config_selectorIsNS0_10empty_typeEEEZZNS1_27merge_sort_block_merge_implIS3_N6thrust23THRUST_200600_302600_NS6detail15normal_iteratorINS9_10device_ptrIsEEEEPS5_jNS1_19radix_merge_compareILb0ELb1EsNS0_19identity_decomposerEEEEE10hipError_tT0_T1_T2_jT3_P12ihipStream_tbPNSt15iterator_traitsISK_E10value_typeEPNSQ_ISL_E10value_typeEPSM_NS1_7vsmem_tEENKUlT_SK_SL_SM_E_clISE_PsSF_SF_EESJ_SZ_SK_SL_SM_EUlSZ_E_NS1_11comp_targetILNS1_3genE4ELNS1_11target_archE910ELNS1_3gpuE8ELNS1_3repE0EEENS1_48merge_mergepath_partition_config_static_selectorELNS0_4arch9wavefront6targetE1EEEvSL_
    .private_segment_fixed_size: 0
    .sgpr_count:     6
    .sgpr_spill_count: 0
    .symbol:         _ZN7rocprim17ROCPRIM_400000_NS6detail17trampoline_kernelINS0_14default_configENS1_38merge_sort_block_merge_config_selectorIsNS0_10empty_typeEEEZZNS1_27merge_sort_block_merge_implIS3_N6thrust23THRUST_200600_302600_NS6detail15normal_iteratorINS9_10device_ptrIsEEEEPS5_jNS1_19radix_merge_compareILb0ELb1EsNS0_19identity_decomposerEEEEE10hipError_tT0_T1_T2_jT3_P12ihipStream_tbPNSt15iterator_traitsISK_E10value_typeEPNSQ_ISL_E10value_typeEPSM_NS1_7vsmem_tEENKUlT_SK_SL_SM_E_clISE_PsSF_SF_EESJ_SZ_SK_SL_SM_EUlSZ_E_NS1_11comp_targetILNS1_3genE4ELNS1_11target_archE910ELNS1_3gpuE8ELNS1_3repE0EEENS1_48merge_mergepath_partition_config_static_selectorELNS0_4arch9wavefront6targetE1EEEvSL_.kd
    .uniform_work_group_size: 1
    .uses_dynamic_stack: false
    .vgpr_count:     0
    .vgpr_spill_count: 0
    .wavefront_size: 64
  - .agpr_count:     0
    .args:
      - .offset:         0
        .size:           40
        .value_kind:     by_value
    .group_segment_fixed_size: 0
    .kernarg_segment_align: 8
    .kernarg_segment_size: 40
    .language:       OpenCL C
    .language_version:
      - 2
      - 0
    .max_flat_workgroup_size: 128
    .name:           _ZN7rocprim17ROCPRIM_400000_NS6detail17trampoline_kernelINS0_14default_configENS1_38merge_sort_block_merge_config_selectorIsNS0_10empty_typeEEEZZNS1_27merge_sort_block_merge_implIS3_N6thrust23THRUST_200600_302600_NS6detail15normal_iteratorINS9_10device_ptrIsEEEEPS5_jNS1_19radix_merge_compareILb0ELb1EsNS0_19identity_decomposerEEEEE10hipError_tT0_T1_T2_jT3_P12ihipStream_tbPNSt15iterator_traitsISK_E10value_typeEPNSQ_ISL_E10value_typeEPSM_NS1_7vsmem_tEENKUlT_SK_SL_SM_E_clISE_PsSF_SF_EESJ_SZ_SK_SL_SM_EUlSZ_E_NS1_11comp_targetILNS1_3genE3ELNS1_11target_archE908ELNS1_3gpuE7ELNS1_3repE0EEENS1_48merge_mergepath_partition_config_static_selectorELNS0_4arch9wavefront6targetE1EEEvSL_
    .private_segment_fixed_size: 0
    .sgpr_count:     6
    .sgpr_spill_count: 0
    .symbol:         _ZN7rocprim17ROCPRIM_400000_NS6detail17trampoline_kernelINS0_14default_configENS1_38merge_sort_block_merge_config_selectorIsNS0_10empty_typeEEEZZNS1_27merge_sort_block_merge_implIS3_N6thrust23THRUST_200600_302600_NS6detail15normal_iteratorINS9_10device_ptrIsEEEEPS5_jNS1_19radix_merge_compareILb0ELb1EsNS0_19identity_decomposerEEEEE10hipError_tT0_T1_T2_jT3_P12ihipStream_tbPNSt15iterator_traitsISK_E10value_typeEPNSQ_ISL_E10value_typeEPSM_NS1_7vsmem_tEENKUlT_SK_SL_SM_E_clISE_PsSF_SF_EESJ_SZ_SK_SL_SM_EUlSZ_E_NS1_11comp_targetILNS1_3genE3ELNS1_11target_archE908ELNS1_3gpuE7ELNS1_3repE0EEENS1_48merge_mergepath_partition_config_static_selectorELNS0_4arch9wavefront6targetE1EEEvSL_.kd
    .uniform_work_group_size: 1
    .uses_dynamic_stack: false
    .vgpr_count:     0
    .vgpr_spill_count: 0
    .wavefront_size: 64
  - .agpr_count:     0
    .args:
      - .offset:         0
        .size:           40
        .value_kind:     by_value
    .group_segment_fixed_size: 0
    .kernarg_segment_align: 8
    .kernarg_segment_size: 40
    .language:       OpenCL C
    .language_version:
      - 2
      - 0
    .max_flat_workgroup_size: 128
    .name:           _ZN7rocprim17ROCPRIM_400000_NS6detail17trampoline_kernelINS0_14default_configENS1_38merge_sort_block_merge_config_selectorIsNS0_10empty_typeEEEZZNS1_27merge_sort_block_merge_implIS3_N6thrust23THRUST_200600_302600_NS6detail15normal_iteratorINS9_10device_ptrIsEEEEPS5_jNS1_19radix_merge_compareILb0ELb1EsNS0_19identity_decomposerEEEEE10hipError_tT0_T1_T2_jT3_P12ihipStream_tbPNSt15iterator_traitsISK_E10value_typeEPNSQ_ISL_E10value_typeEPSM_NS1_7vsmem_tEENKUlT_SK_SL_SM_E_clISE_PsSF_SF_EESJ_SZ_SK_SL_SM_EUlSZ_E_NS1_11comp_targetILNS1_3genE2ELNS1_11target_archE906ELNS1_3gpuE6ELNS1_3repE0EEENS1_48merge_mergepath_partition_config_static_selectorELNS0_4arch9wavefront6targetE1EEEvSL_
    .private_segment_fixed_size: 0
    .sgpr_count:     6
    .sgpr_spill_count: 0
    .symbol:         _ZN7rocprim17ROCPRIM_400000_NS6detail17trampoline_kernelINS0_14default_configENS1_38merge_sort_block_merge_config_selectorIsNS0_10empty_typeEEEZZNS1_27merge_sort_block_merge_implIS3_N6thrust23THRUST_200600_302600_NS6detail15normal_iteratorINS9_10device_ptrIsEEEEPS5_jNS1_19radix_merge_compareILb0ELb1EsNS0_19identity_decomposerEEEEE10hipError_tT0_T1_T2_jT3_P12ihipStream_tbPNSt15iterator_traitsISK_E10value_typeEPNSQ_ISL_E10value_typeEPSM_NS1_7vsmem_tEENKUlT_SK_SL_SM_E_clISE_PsSF_SF_EESJ_SZ_SK_SL_SM_EUlSZ_E_NS1_11comp_targetILNS1_3genE2ELNS1_11target_archE906ELNS1_3gpuE6ELNS1_3repE0EEENS1_48merge_mergepath_partition_config_static_selectorELNS0_4arch9wavefront6targetE1EEEvSL_.kd
    .uniform_work_group_size: 1
    .uses_dynamic_stack: false
    .vgpr_count:     0
    .vgpr_spill_count: 0
    .wavefront_size: 64
  - .agpr_count:     0
    .args:
      - .offset:         0
        .size:           40
        .value_kind:     by_value
    .group_segment_fixed_size: 0
    .kernarg_segment_align: 8
    .kernarg_segment_size: 40
    .language:       OpenCL C
    .language_version:
      - 2
      - 0
    .max_flat_workgroup_size: 128
    .name:           _ZN7rocprim17ROCPRIM_400000_NS6detail17trampoline_kernelINS0_14default_configENS1_38merge_sort_block_merge_config_selectorIsNS0_10empty_typeEEEZZNS1_27merge_sort_block_merge_implIS3_N6thrust23THRUST_200600_302600_NS6detail15normal_iteratorINS9_10device_ptrIsEEEEPS5_jNS1_19radix_merge_compareILb0ELb1EsNS0_19identity_decomposerEEEEE10hipError_tT0_T1_T2_jT3_P12ihipStream_tbPNSt15iterator_traitsISK_E10value_typeEPNSQ_ISL_E10value_typeEPSM_NS1_7vsmem_tEENKUlT_SK_SL_SM_E_clISE_PsSF_SF_EESJ_SZ_SK_SL_SM_EUlSZ_E_NS1_11comp_targetILNS1_3genE9ELNS1_11target_archE1100ELNS1_3gpuE3ELNS1_3repE0EEENS1_48merge_mergepath_partition_config_static_selectorELNS0_4arch9wavefront6targetE1EEEvSL_
    .private_segment_fixed_size: 0
    .sgpr_count:     6
    .sgpr_spill_count: 0
    .symbol:         _ZN7rocprim17ROCPRIM_400000_NS6detail17trampoline_kernelINS0_14default_configENS1_38merge_sort_block_merge_config_selectorIsNS0_10empty_typeEEEZZNS1_27merge_sort_block_merge_implIS3_N6thrust23THRUST_200600_302600_NS6detail15normal_iteratorINS9_10device_ptrIsEEEEPS5_jNS1_19radix_merge_compareILb0ELb1EsNS0_19identity_decomposerEEEEE10hipError_tT0_T1_T2_jT3_P12ihipStream_tbPNSt15iterator_traitsISK_E10value_typeEPNSQ_ISL_E10value_typeEPSM_NS1_7vsmem_tEENKUlT_SK_SL_SM_E_clISE_PsSF_SF_EESJ_SZ_SK_SL_SM_EUlSZ_E_NS1_11comp_targetILNS1_3genE9ELNS1_11target_archE1100ELNS1_3gpuE3ELNS1_3repE0EEENS1_48merge_mergepath_partition_config_static_selectorELNS0_4arch9wavefront6targetE1EEEvSL_.kd
    .uniform_work_group_size: 1
    .uses_dynamic_stack: false
    .vgpr_count:     0
    .vgpr_spill_count: 0
    .wavefront_size: 64
  - .agpr_count:     0
    .args:
      - .offset:         0
        .size:           40
        .value_kind:     by_value
    .group_segment_fixed_size: 0
    .kernarg_segment_align: 8
    .kernarg_segment_size: 40
    .language:       OpenCL C
    .language_version:
      - 2
      - 0
    .max_flat_workgroup_size: 128
    .name:           _ZN7rocprim17ROCPRIM_400000_NS6detail17trampoline_kernelINS0_14default_configENS1_38merge_sort_block_merge_config_selectorIsNS0_10empty_typeEEEZZNS1_27merge_sort_block_merge_implIS3_N6thrust23THRUST_200600_302600_NS6detail15normal_iteratorINS9_10device_ptrIsEEEEPS5_jNS1_19radix_merge_compareILb0ELb1EsNS0_19identity_decomposerEEEEE10hipError_tT0_T1_T2_jT3_P12ihipStream_tbPNSt15iterator_traitsISK_E10value_typeEPNSQ_ISL_E10value_typeEPSM_NS1_7vsmem_tEENKUlT_SK_SL_SM_E_clISE_PsSF_SF_EESJ_SZ_SK_SL_SM_EUlSZ_E_NS1_11comp_targetILNS1_3genE8ELNS1_11target_archE1030ELNS1_3gpuE2ELNS1_3repE0EEENS1_48merge_mergepath_partition_config_static_selectorELNS0_4arch9wavefront6targetE1EEEvSL_
    .private_segment_fixed_size: 0
    .sgpr_count:     6
    .sgpr_spill_count: 0
    .symbol:         _ZN7rocprim17ROCPRIM_400000_NS6detail17trampoline_kernelINS0_14default_configENS1_38merge_sort_block_merge_config_selectorIsNS0_10empty_typeEEEZZNS1_27merge_sort_block_merge_implIS3_N6thrust23THRUST_200600_302600_NS6detail15normal_iteratorINS9_10device_ptrIsEEEEPS5_jNS1_19radix_merge_compareILb0ELb1EsNS0_19identity_decomposerEEEEE10hipError_tT0_T1_T2_jT3_P12ihipStream_tbPNSt15iterator_traitsISK_E10value_typeEPNSQ_ISL_E10value_typeEPSM_NS1_7vsmem_tEENKUlT_SK_SL_SM_E_clISE_PsSF_SF_EESJ_SZ_SK_SL_SM_EUlSZ_E_NS1_11comp_targetILNS1_3genE8ELNS1_11target_archE1030ELNS1_3gpuE2ELNS1_3repE0EEENS1_48merge_mergepath_partition_config_static_selectorELNS0_4arch9wavefront6targetE1EEEvSL_.kd
    .uniform_work_group_size: 1
    .uses_dynamic_stack: false
    .vgpr_count:     0
    .vgpr_spill_count: 0
    .wavefront_size: 64
  - .agpr_count:     0
    .args:
      - .offset:         0
        .size:           64
        .value_kind:     by_value
    .group_segment_fixed_size: 0
    .kernarg_segment_align: 8
    .kernarg_segment_size: 64
    .language:       OpenCL C
    .language_version:
      - 2
      - 0
    .max_flat_workgroup_size: 128
    .name:           _ZN7rocprim17ROCPRIM_400000_NS6detail17trampoline_kernelINS0_14default_configENS1_38merge_sort_block_merge_config_selectorIsNS0_10empty_typeEEEZZNS1_27merge_sort_block_merge_implIS3_N6thrust23THRUST_200600_302600_NS6detail15normal_iteratorINS9_10device_ptrIsEEEEPS5_jNS1_19radix_merge_compareILb0ELb1EsNS0_19identity_decomposerEEEEE10hipError_tT0_T1_T2_jT3_P12ihipStream_tbPNSt15iterator_traitsISK_E10value_typeEPNSQ_ISL_E10value_typeEPSM_NS1_7vsmem_tEENKUlT_SK_SL_SM_E_clISE_PsSF_SF_EESJ_SZ_SK_SL_SM_EUlSZ_E0_NS1_11comp_targetILNS1_3genE0ELNS1_11target_archE4294967295ELNS1_3gpuE0ELNS1_3repE0EEENS1_38merge_mergepath_config_static_selectorELNS0_4arch9wavefront6targetE1EEEvSL_
    .private_segment_fixed_size: 0
    .sgpr_count:     6
    .sgpr_spill_count: 0
    .symbol:         _ZN7rocprim17ROCPRIM_400000_NS6detail17trampoline_kernelINS0_14default_configENS1_38merge_sort_block_merge_config_selectorIsNS0_10empty_typeEEEZZNS1_27merge_sort_block_merge_implIS3_N6thrust23THRUST_200600_302600_NS6detail15normal_iteratorINS9_10device_ptrIsEEEEPS5_jNS1_19radix_merge_compareILb0ELb1EsNS0_19identity_decomposerEEEEE10hipError_tT0_T1_T2_jT3_P12ihipStream_tbPNSt15iterator_traitsISK_E10value_typeEPNSQ_ISL_E10value_typeEPSM_NS1_7vsmem_tEENKUlT_SK_SL_SM_E_clISE_PsSF_SF_EESJ_SZ_SK_SL_SM_EUlSZ_E0_NS1_11comp_targetILNS1_3genE0ELNS1_11target_archE4294967295ELNS1_3gpuE0ELNS1_3repE0EEENS1_38merge_mergepath_config_static_selectorELNS0_4arch9wavefront6targetE1EEEvSL_.kd
    .uniform_work_group_size: 1
    .uses_dynamic_stack: false
    .vgpr_count:     0
    .vgpr_spill_count: 0
    .wavefront_size: 64
  - .agpr_count:     0
    .args:
      - .offset:         0
        .size:           64
        .value_kind:     by_value
    .group_segment_fixed_size: 0
    .kernarg_segment_align: 8
    .kernarg_segment_size: 64
    .language:       OpenCL C
    .language_version:
      - 2
      - 0
    .max_flat_workgroup_size: 128
    .name:           _ZN7rocprim17ROCPRIM_400000_NS6detail17trampoline_kernelINS0_14default_configENS1_38merge_sort_block_merge_config_selectorIsNS0_10empty_typeEEEZZNS1_27merge_sort_block_merge_implIS3_N6thrust23THRUST_200600_302600_NS6detail15normal_iteratorINS9_10device_ptrIsEEEEPS5_jNS1_19radix_merge_compareILb0ELb1EsNS0_19identity_decomposerEEEEE10hipError_tT0_T1_T2_jT3_P12ihipStream_tbPNSt15iterator_traitsISK_E10value_typeEPNSQ_ISL_E10value_typeEPSM_NS1_7vsmem_tEENKUlT_SK_SL_SM_E_clISE_PsSF_SF_EESJ_SZ_SK_SL_SM_EUlSZ_E0_NS1_11comp_targetILNS1_3genE10ELNS1_11target_archE1201ELNS1_3gpuE5ELNS1_3repE0EEENS1_38merge_mergepath_config_static_selectorELNS0_4arch9wavefront6targetE1EEEvSL_
    .private_segment_fixed_size: 0
    .sgpr_count:     6
    .sgpr_spill_count: 0
    .symbol:         _ZN7rocprim17ROCPRIM_400000_NS6detail17trampoline_kernelINS0_14default_configENS1_38merge_sort_block_merge_config_selectorIsNS0_10empty_typeEEEZZNS1_27merge_sort_block_merge_implIS3_N6thrust23THRUST_200600_302600_NS6detail15normal_iteratorINS9_10device_ptrIsEEEEPS5_jNS1_19radix_merge_compareILb0ELb1EsNS0_19identity_decomposerEEEEE10hipError_tT0_T1_T2_jT3_P12ihipStream_tbPNSt15iterator_traitsISK_E10value_typeEPNSQ_ISL_E10value_typeEPSM_NS1_7vsmem_tEENKUlT_SK_SL_SM_E_clISE_PsSF_SF_EESJ_SZ_SK_SL_SM_EUlSZ_E0_NS1_11comp_targetILNS1_3genE10ELNS1_11target_archE1201ELNS1_3gpuE5ELNS1_3repE0EEENS1_38merge_mergepath_config_static_selectorELNS0_4arch9wavefront6targetE1EEEvSL_.kd
    .uniform_work_group_size: 1
    .uses_dynamic_stack: false
    .vgpr_count:     0
    .vgpr_spill_count: 0
    .wavefront_size: 64
  - .agpr_count:     0
    .args:
      - .offset:         0
        .size:           64
        .value_kind:     by_value
      - .offset:         64
        .size:           4
        .value_kind:     hidden_block_count_x
      - .offset:         68
        .size:           4
        .value_kind:     hidden_block_count_y
      - .offset:         72
        .size:           4
        .value_kind:     hidden_block_count_z
      - .offset:         76
        .size:           2
        .value_kind:     hidden_group_size_x
      - .offset:         78
        .size:           2
        .value_kind:     hidden_group_size_y
      - .offset:         80
        .size:           2
        .value_kind:     hidden_group_size_z
      - .offset:         82
        .size:           2
        .value_kind:     hidden_remainder_x
      - .offset:         84
        .size:           2
        .value_kind:     hidden_remainder_y
      - .offset:         86
        .size:           2
        .value_kind:     hidden_remainder_z
      - .offset:         104
        .size:           8
        .value_kind:     hidden_global_offset_x
      - .offset:         112
        .size:           8
        .value_kind:     hidden_global_offset_y
      - .offset:         120
        .size:           8
        .value_kind:     hidden_global_offset_z
      - .offset:         128
        .size:           2
        .value_kind:     hidden_grid_dims
    .group_segment_fixed_size: 2112
    .kernarg_segment_align: 8
    .kernarg_segment_size: 320
    .language:       OpenCL C
    .language_version:
      - 2
      - 0
    .max_flat_workgroup_size: 128
    .name:           _ZN7rocprim17ROCPRIM_400000_NS6detail17trampoline_kernelINS0_14default_configENS1_38merge_sort_block_merge_config_selectorIsNS0_10empty_typeEEEZZNS1_27merge_sort_block_merge_implIS3_N6thrust23THRUST_200600_302600_NS6detail15normal_iteratorINS9_10device_ptrIsEEEEPS5_jNS1_19radix_merge_compareILb0ELb1EsNS0_19identity_decomposerEEEEE10hipError_tT0_T1_T2_jT3_P12ihipStream_tbPNSt15iterator_traitsISK_E10value_typeEPNSQ_ISL_E10value_typeEPSM_NS1_7vsmem_tEENKUlT_SK_SL_SM_E_clISE_PsSF_SF_EESJ_SZ_SK_SL_SM_EUlSZ_E0_NS1_11comp_targetILNS1_3genE5ELNS1_11target_archE942ELNS1_3gpuE9ELNS1_3repE0EEENS1_38merge_mergepath_config_static_selectorELNS0_4arch9wavefront6targetE1EEEvSL_
    .private_segment_fixed_size: 0
    .sgpr_count:     30
    .sgpr_spill_count: 0
    .symbol:         _ZN7rocprim17ROCPRIM_400000_NS6detail17trampoline_kernelINS0_14default_configENS1_38merge_sort_block_merge_config_selectorIsNS0_10empty_typeEEEZZNS1_27merge_sort_block_merge_implIS3_N6thrust23THRUST_200600_302600_NS6detail15normal_iteratorINS9_10device_ptrIsEEEEPS5_jNS1_19radix_merge_compareILb0ELb1EsNS0_19identity_decomposerEEEEE10hipError_tT0_T1_T2_jT3_P12ihipStream_tbPNSt15iterator_traitsISK_E10value_typeEPNSQ_ISL_E10value_typeEPSM_NS1_7vsmem_tEENKUlT_SK_SL_SM_E_clISE_PsSF_SF_EESJ_SZ_SK_SL_SM_EUlSZ_E0_NS1_11comp_targetILNS1_3genE5ELNS1_11target_archE942ELNS1_3gpuE9ELNS1_3repE0EEENS1_38merge_mergepath_config_static_selectorELNS0_4arch9wavefront6targetE1EEEvSL_.kd
    .uniform_work_group_size: 1
    .uses_dynamic_stack: false
    .vgpr_count:     26
    .vgpr_spill_count: 0
    .wavefront_size: 64
  - .agpr_count:     0
    .args:
      - .offset:         0
        .size:           64
        .value_kind:     by_value
    .group_segment_fixed_size: 0
    .kernarg_segment_align: 8
    .kernarg_segment_size: 64
    .language:       OpenCL C
    .language_version:
      - 2
      - 0
    .max_flat_workgroup_size: 128
    .name:           _ZN7rocprim17ROCPRIM_400000_NS6detail17trampoline_kernelINS0_14default_configENS1_38merge_sort_block_merge_config_selectorIsNS0_10empty_typeEEEZZNS1_27merge_sort_block_merge_implIS3_N6thrust23THRUST_200600_302600_NS6detail15normal_iteratorINS9_10device_ptrIsEEEEPS5_jNS1_19radix_merge_compareILb0ELb1EsNS0_19identity_decomposerEEEEE10hipError_tT0_T1_T2_jT3_P12ihipStream_tbPNSt15iterator_traitsISK_E10value_typeEPNSQ_ISL_E10value_typeEPSM_NS1_7vsmem_tEENKUlT_SK_SL_SM_E_clISE_PsSF_SF_EESJ_SZ_SK_SL_SM_EUlSZ_E0_NS1_11comp_targetILNS1_3genE4ELNS1_11target_archE910ELNS1_3gpuE8ELNS1_3repE0EEENS1_38merge_mergepath_config_static_selectorELNS0_4arch9wavefront6targetE1EEEvSL_
    .private_segment_fixed_size: 0
    .sgpr_count:     6
    .sgpr_spill_count: 0
    .symbol:         _ZN7rocprim17ROCPRIM_400000_NS6detail17trampoline_kernelINS0_14default_configENS1_38merge_sort_block_merge_config_selectorIsNS0_10empty_typeEEEZZNS1_27merge_sort_block_merge_implIS3_N6thrust23THRUST_200600_302600_NS6detail15normal_iteratorINS9_10device_ptrIsEEEEPS5_jNS1_19radix_merge_compareILb0ELb1EsNS0_19identity_decomposerEEEEE10hipError_tT0_T1_T2_jT3_P12ihipStream_tbPNSt15iterator_traitsISK_E10value_typeEPNSQ_ISL_E10value_typeEPSM_NS1_7vsmem_tEENKUlT_SK_SL_SM_E_clISE_PsSF_SF_EESJ_SZ_SK_SL_SM_EUlSZ_E0_NS1_11comp_targetILNS1_3genE4ELNS1_11target_archE910ELNS1_3gpuE8ELNS1_3repE0EEENS1_38merge_mergepath_config_static_selectorELNS0_4arch9wavefront6targetE1EEEvSL_.kd
    .uniform_work_group_size: 1
    .uses_dynamic_stack: false
    .vgpr_count:     0
    .vgpr_spill_count: 0
    .wavefront_size: 64
  - .agpr_count:     0
    .args:
      - .offset:         0
        .size:           64
        .value_kind:     by_value
    .group_segment_fixed_size: 0
    .kernarg_segment_align: 8
    .kernarg_segment_size: 64
    .language:       OpenCL C
    .language_version:
      - 2
      - 0
    .max_flat_workgroup_size: 128
    .name:           _ZN7rocprim17ROCPRIM_400000_NS6detail17trampoline_kernelINS0_14default_configENS1_38merge_sort_block_merge_config_selectorIsNS0_10empty_typeEEEZZNS1_27merge_sort_block_merge_implIS3_N6thrust23THRUST_200600_302600_NS6detail15normal_iteratorINS9_10device_ptrIsEEEEPS5_jNS1_19radix_merge_compareILb0ELb1EsNS0_19identity_decomposerEEEEE10hipError_tT0_T1_T2_jT3_P12ihipStream_tbPNSt15iterator_traitsISK_E10value_typeEPNSQ_ISL_E10value_typeEPSM_NS1_7vsmem_tEENKUlT_SK_SL_SM_E_clISE_PsSF_SF_EESJ_SZ_SK_SL_SM_EUlSZ_E0_NS1_11comp_targetILNS1_3genE3ELNS1_11target_archE908ELNS1_3gpuE7ELNS1_3repE0EEENS1_38merge_mergepath_config_static_selectorELNS0_4arch9wavefront6targetE1EEEvSL_
    .private_segment_fixed_size: 0
    .sgpr_count:     6
    .sgpr_spill_count: 0
    .symbol:         _ZN7rocprim17ROCPRIM_400000_NS6detail17trampoline_kernelINS0_14default_configENS1_38merge_sort_block_merge_config_selectorIsNS0_10empty_typeEEEZZNS1_27merge_sort_block_merge_implIS3_N6thrust23THRUST_200600_302600_NS6detail15normal_iteratorINS9_10device_ptrIsEEEEPS5_jNS1_19radix_merge_compareILb0ELb1EsNS0_19identity_decomposerEEEEE10hipError_tT0_T1_T2_jT3_P12ihipStream_tbPNSt15iterator_traitsISK_E10value_typeEPNSQ_ISL_E10value_typeEPSM_NS1_7vsmem_tEENKUlT_SK_SL_SM_E_clISE_PsSF_SF_EESJ_SZ_SK_SL_SM_EUlSZ_E0_NS1_11comp_targetILNS1_3genE3ELNS1_11target_archE908ELNS1_3gpuE7ELNS1_3repE0EEENS1_38merge_mergepath_config_static_selectorELNS0_4arch9wavefront6targetE1EEEvSL_.kd
    .uniform_work_group_size: 1
    .uses_dynamic_stack: false
    .vgpr_count:     0
    .vgpr_spill_count: 0
    .wavefront_size: 64
  - .agpr_count:     0
    .args:
      - .offset:         0
        .size:           64
        .value_kind:     by_value
    .group_segment_fixed_size: 0
    .kernarg_segment_align: 8
    .kernarg_segment_size: 64
    .language:       OpenCL C
    .language_version:
      - 2
      - 0
    .max_flat_workgroup_size: 128
    .name:           _ZN7rocprim17ROCPRIM_400000_NS6detail17trampoline_kernelINS0_14default_configENS1_38merge_sort_block_merge_config_selectorIsNS0_10empty_typeEEEZZNS1_27merge_sort_block_merge_implIS3_N6thrust23THRUST_200600_302600_NS6detail15normal_iteratorINS9_10device_ptrIsEEEEPS5_jNS1_19radix_merge_compareILb0ELb1EsNS0_19identity_decomposerEEEEE10hipError_tT0_T1_T2_jT3_P12ihipStream_tbPNSt15iterator_traitsISK_E10value_typeEPNSQ_ISL_E10value_typeEPSM_NS1_7vsmem_tEENKUlT_SK_SL_SM_E_clISE_PsSF_SF_EESJ_SZ_SK_SL_SM_EUlSZ_E0_NS1_11comp_targetILNS1_3genE2ELNS1_11target_archE906ELNS1_3gpuE6ELNS1_3repE0EEENS1_38merge_mergepath_config_static_selectorELNS0_4arch9wavefront6targetE1EEEvSL_
    .private_segment_fixed_size: 0
    .sgpr_count:     6
    .sgpr_spill_count: 0
    .symbol:         _ZN7rocprim17ROCPRIM_400000_NS6detail17trampoline_kernelINS0_14default_configENS1_38merge_sort_block_merge_config_selectorIsNS0_10empty_typeEEEZZNS1_27merge_sort_block_merge_implIS3_N6thrust23THRUST_200600_302600_NS6detail15normal_iteratorINS9_10device_ptrIsEEEEPS5_jNS1_19radix_merge_compareILb0ELb1EsNS0_19identity_decomposerEEEEE10hipError_tT0_T1_T2_jT3_P12ihipStream_tbPNSt15iterator_traitsISK_E10value_typeEPNSQ_ISL_E10value_typeEPSM_NS1_7vsmem_tEENKUlT_SK_SL_SM_E_clISE_PsSF_SF_EESJ_SZ_SK_SL_SM_EUlSZ_E0_NS1_11comp_targetILNS1_3genE2ELNS1_11target_archE906ELNS1_3gpuE6ELNS1_3repE0EEENS1_38merge_mergepath_config_static_selectorELNS0_4arch9wavefront6targetE1EEEvSL_.kd
    .uniform_work_group_size: 1
    .uses_dynamic_stack: false
    .vgpr_count:     0
    .vgpr_spill_count: 0
    .wavefront_size: 64
  - .agpr_count:     0
    .args:
      - .offset:         0
        .size:           64
        .value_kind:     by_value
    .group_segment_fixed_size: 0
    .kernarg_segment_align: 8
    .kernarg_segment_size: 64
    .language:       OpenCL C
    .language_version:
      - 2
      - 0
    .max_flat_workgroup_size: 128
    .name:           _ZN7rocprim17ROCPRIM_400000_NS6detail17trampoline_kernelINS0_14default_configENS1_38merge_sort_block_merge_config_selectorIsNS0_10empty_typeEEEZZNS1_27merge_sort_block_merge_implIS3_N6thrust23THRUST_200600_302600_NS6detail15normal_iteratorINS9_10device_ptrIsEEEEPS5_jNS1_19radix_merge_compareILb0ELb1EsNS0_19identity_decomposerEEEEE10hipError_tT0_T1_T2_jT3_P12ihipStream_tbPNSt15iterator_traitsISK_E10value_typeEPNSQ_ISL_E10value_typeEPSM_NS1_7vsmem_tEENKUlT_SK_SL_SM_E_clISE_PsSF_SF_EESJ_SZ_SK_SL_SM_EUlSZ_E0_NS1_11comp_targetILNS1_3genE9ELNS1_11target_archE1100ELNS1_3gpuE3ELNS1_3repE0EEENS1_38merge_mergepath_config_static_selectorELNS0_4arch9wavefront6targetE1EEEvSL_
    .private_segment_fixed_size: 0
    .sgpr_count:     6
    .sgpr_spill_count: 0
    .symbol:         _ZN7rocprim17ROCPRIM_400000_NS6detail17trampoline_kernelINS0_14default_configENS1_38merge_sort_block_merge_config_selectorIsNS0_10empty_typeEEEZZNS1_27merge_sort_block_merge_implIS3_N6thrust23THRUST_200600_302600_NS6detail15normal_iteratorINS9_10device_ptrIsEEEEPS5_jNS1_19radix_merge_compareILb0ELb1EsNS0_19identity_decomposerEEEEE10hipError_tT0_T1_T2_jT3_P12ihipStream_tbPNSt15iterator_traitsISK_E10value_typeEPNSQ_ISL_E10value_typeEPSM_NS1_7vsmem_tEENKUlT_SK_SL_SM_E_clISE_PsSF_SF_EESJ_SZ_SK_SL_SM_EUlSZ_E0_NS1_11comp_targetILNS1_3genE9ELNS1_11target_archE1100ELNS1_3gpuE3ELNS1_3repE0EEENS1_38merge_mergepath_config_static_selectorELNS0_4arch9wavefront6targetE1EEEvSL_.kd
    .uniform_work_group_size: 1
    .uses_dynamic_stack: false
    .vgpr_count:     0
    .vgpr_spill_count: 0
    .wavefront_size: 64
  - .agpr_count:     0
    .args:
      - .offset:         0
        .size:           64
        .value_kind:     by_value
    .group_segment_fixed_size: 0
    .kernarg_segment_align: 8
    .kernarg_segment_size: 64
    .language:       OpenCL C
    .language_version:
      - 2
      - 0
    .max_flat_workgroup_size: 128
    .name:           _ZN7rocprim17ROCPRIM_400000_NS6detail17trampoline_kernelINS0_14default_configENS1_38merge_sort_block_merge_config_selectorIsNS0_10empty_typeEEEZZNS1_27merge_sort_block_merge_implIS3_N6thrust23THRUST_200600_302600_NS6detail15normal_iteratorINS9_10device_ptrIsEEEEPS5_jNS1_19radix_merge_compareILb0ELb1EsNS0_19identity_decomposerEEEEE10hipError_tT0_T1_T2_jT3_P12ihipStream_tbPNSt15iterator_traitsISK_E10value_typeEPNSQ_ISL_E10value_typeEPSM_NS1_7vsmem_tEENKUlT_SK_SL_SM_E_clISE_PsSF_SF_EESJ_SZ_SK_SL_SM_EUlSZ_E0_NS1_11comp_targetILNS1_3genE8ELNS1_11target_archE1030ELNS1_3gpuE2ELNS1_3repE0EEENS1_38merge_mergepath_config_static_selectorELNS0_4arch9wavefront6targetE1EEEvSL_
    .private_segment_fixed_size: 0
    .sgpr_count:     6
    .sgpr_spill_count: 0
    .symbol:         _ZN7rocprim17ROCPRIM_400000_NS6detail17trampoline_kernelINS0_14default_configENS1_38merge_sort_block_merge_config_selectorIsNS0_10empty_typeEEEZZNS1_27merge_sort_block_merge_implIS3_N6thrust23THRUST_200600_302600_NS6detail15normal_iteratorINS9_10device_ptrIsEEEEPS5_jNS1_19radix_merge_compareILb0ELb1EsNS0_19identity_decomposerEEEEE10hipError_tT0_T1_T2_jT3_P12ihipStream_tbPNSt15iterator_traitsISK_E10value_typeEPNSQ_ISL_E10value_typeEPSM_NS1_7vsmem_tEENKUlT_SK_SL_SM_E_clISE_PsSF_SF_EESJ_SZ_SK_SL_SM_EUlSZ_E0_NS1_11comp_targetILNS1_3genE8ELNS1_11target_archE1030ELNS1_3gpuE2ELNS1_3repE0EEENS1_38merge_mergepath_config_static_selectorELNS0_4arch9wavefront6targetE1EEEvSL_.kd
    .uniform_work_group_size: 1
    .uses_dynamic_stack: false
    .vgpr_count:     0
    .vgpr_spill_count: 0
    .wavefront_size: 64
  - .agpr_count:     0
    .args:
      - .offset:         0
        .size:           48
        .value_kind:     by_value
    .group_segment_fixed_size: 0
    .kernarg_segment_align: 8
    .kernarg_segment_size: 48
    .language:       OpenCL C
    .language_version:
      - 2
      - 0
    .max_flat_workgroup_size: 256
    .name:           _ZN7rocprim17ROCPRIM_400000_NS6detail17trampoline_kernelINS0_14default_configENS1_38merge_sort_block_merge_config_selectorIsNS0_10empty_typeEEEZZNS1_27merge_sort_block_merge_implIS3_N6thrust23THRUST_200600_302600_NS6detail15normal_iteratorINS9_10device_ptrIsEEEEPS5_jNS1_19radix_merge_compareILb0ELb1EsNS0_19identity_decomposerEEEEE10hipError_tT0_T1_T2_jT3_P12ihipStream_tbPNSt15iterator_traitsISK_E10value_typeEPNSQ_ISL_E10value_typeEPSM_NS1_7vsmem_tEENKUlT_SK_SL_SM_E_clISE_PsSF_SF_EESJ_SZ_SK_SL_SM_EUlSZ_E1_NS1_11comp_targetILNS1_3genE0ELNS1_11target_archE4294967295ELNS1_3gpuE0ELNS1_3repE0EEENS1_36merge_oddeven_config_static_selectorELNS0_4arch9wavefront6targetE1EEEvSL_
    .private_segment_fixed_size: 0
    .sgpr_count:     6
    .sgpr_spill_count: 0
    .symbol:         _ZN7rocprim17ROCPRIM_400000_NS6detail17trampoline_kernelINS0_14default_configENS1_38merge_sort_block_merge_config_selectorIsNS0_10empty_typeEEEZZNS1_27merge_sort_block_merge_implIS3_N6thrust23THRUST_200600_302600_NS6detail15normal_iteratorINS9_10device_ptrIsEEEEPS5_jNS1_19radix_merge_compareILb0ELb1EsNS0_19identity_decomposerEEEEE10hipError_tT0_T1_T2_jT3_P12ihipStream_tbPNSt15iterator_traitsISK_E10value_typeEPNSQ_ISL_E10value_typeEPSM_NS1_7vsmem_tEENKUlT_SK_SL_SM_E_clISE_PsSF_SF_EESJ_SZ_SK_SL_SM_EUlSZ_E1_NS1_11comp_targetILNS1_3genE0ELNS1_11target_archE4294967295ELNS1_3gpuE0ELNS1_3repE0EEENS1_36merge_oddeven_config_static_selectorELNS0_4arch9wavefront6targetE1EEEvSL_.kd
    .uniform_work_group_size: 1
    .uses_dynamic_stack: false
    .vgpr_count:     0
    .vgpr_spill_count: 0
    .wavefront_size: 64
  - .agpr_count:     0
    .args:
      - .offset:         0
        .size:           48
        .value_kind:     by_value
    .group_segment_fixed_size: 0
    .kernarg_segment_align: 8
    .kernarg_segment_size: 48
    .language:       OpenCL C
    .language_version:
      - 2
      - 0
    .max_flat_workgroup_size: 256
    .name:           _ZN7rocprim17ROCPRIM_400000_NS6detail17trampoline_kernelINS0_14default_configENS1_38merge_sort_block_merge_config_selectorIsNS0_10empty_typeEEEZZNS1_27merge_sort_block_merge_implIS3_N6thrust23THRUST_200600_302600_NS6detail15normal_iteratorINS9_10device_ptrIsEEEEPS5_jNS1_19radix_merge_compareILb0ELb1EsNS0_19identity_decomposerEEEEE10hipError_tT0_T1_T2_jT3_P12ihipStream_tbPNSt15iterator_traitsISK_E10value_typeEPNSQ_ISL_E10value_typeEPSM_NS1_7vsmem_tEENKUlT_SK_SL_SM_E_clISE_PsSF_SF_EESJ_SZ_SK_SL_SM_EUlSZ_E1_NS1_11comp_targetILNS1_3genE10ELNS1_11target_archE1201ELNS1_3gpuE5ELNS1_3repE0EEENS1_36merge_oddeven_config_static_selectorELNS0_4arch9wavefront6targetE1EEEvSL_
    .private_segment_fixed_size: 0
    .sgpr_count:     6
    .sgpr_spill_count: 0
    .symbol:         _ZN7rocprim17ROCPRIM_400000_NS6detail17trampoline_kernelINS0_14default_configENS1_38merge_sort_block_merge_config_selectorIsNS0_10empty_typeEEEZZNS1_27merge_sort_block_merge_implIS3_N6thrust23THRUST_200600_302600_NS6detail15normal_iteratorINS9_10device_ptrIsEEEEPS5_jNS1_19radix_merge_compareILb0ELb1EsNS0_19identity_decomposerEEEEE10hipError_tT0_T1_T2_jT3_P12ihipStream_tbPNSt15iterator_traitsISK_E10value_typeEPNSQ_ISL_E10value_typeEPSM_NS1_7vsmem_tEENKUlT_SK_SL_SM_E_clISE_PsSF_SF_EESJ_SZ_SK_SL_SM_EUlSZ_E1_NS1_11comp_targetILNS1_3genE10ELNS1_11target_archE1201ELNS1_3gpuE5ELNS1_3repE0EEENS1_36merge_oddeven_config_static_selectorELNS0_4arch9wavefront6targetE1EEEvSL_.kd
    .uniform_work_group_size: 1
    .uses_dynamic_stack: false
    .vgpr_count:     0
    .vgpr_spill_count: 0
    .wavefront_size: 64
  - .agpr_count:     0
    .args:
      - .offset:         0
        .size:           48
        .value_kind:     by_value
    .group_segment_fixed_size: 0
    .kernarg_segment_align: 8
    .kernarg_segment_size: 48
    .language:       OpenCL C
    .language_version:
      - 2
      - 0
    .max_flat_workgroup_size: 256
    .name:           _ZN7rocprim17ROCPRIM_400000_NS6detail17trampoline_kernelINS0_14default_configENS1_38merge_sort_block_merge_config_selectorIsNS0_10empty_typeEEEZZNS1_27merge_sort_block_merge_implIS3_N6thrust23THRUST_200600_302600_NS6detail15normal_iteratorINS9_10device_ptrIsEEEEPS5_jNS1_19radix_merge_compareILb0ELb1EsNS0_19identity_decomposerEEEEE10hipError_tT0_T1_T2_jT3_P12ihipStream_tbPNSt15iterator_traitsISK_E10value_typeEPNSQ_ISL_E10value_typeEPSM_NS1_7vsmem_tEENKUlT_SK_SL_SM_E_clISE_PsSF_SF_EESJ_SZ_SK_SL_SM_EUlSZ_E1_NS1_11comp_targetILNS1_3genE5ELNS1_11target_archE942ELNS1_3gpuE9ELNS1_3repE0EEENS1_36merge_oddeven_config_static_selectorELNS0_4arch9wavefront6targetE1EEEvSL_
    .private_segment_fixed_size: 0
    .sgpr_count:     27
    .sgpr_spill_count: 0
    .symbol:         _ZN7rocprim17ROCPRIM_400000_NS6detail17trampoline_kernelINS0_14default_configENS1_38merge_sort_block_merge_config_selectorIsNS0_10empty_typeEEEZZNS1_27merge_sort_block_merge_implIS3_N6thrust23THRUST_200600_302600_NS6detail15normal_iteratorINS9_10device_ptrIsEEEEPS5_jNS1_19radix_merge_compareILb0ELb1EsNS0_19identity_decomposerEEEEE10hipError_tT0_T1_T2_jT3_P12ihipStream_tbPNSt15iterator_traitsISK_E10value_typeEPNSQ_ISL_E10value_typeEPSM_NS1_7vsmem_tEENKUlT_SK_SL_SM_E_clISE_PsSF_SF_EESJ_SZ_SK_SL_SM_EUlSZ_E1_NS1_11comp_targetILNS1_3genE5ELNS1_11target_archE942ELNS1_3gpuE9ELNS1_3repE0EEENS1_36merge_oddeven_config_static_selectorELNS0_4arch9wavefront6targetE1EEEvSL_.kd
    .uniform_work_group_size: 1
    .uses_dynamic_stack: false
    .vgpr_count:     9
    .vgpr_spill_count: 0
    .wavefront_size: 64
  - .agpr_count:     0
    .args:
      - .offset:         0
        .size:           48
        .value_kind:     by_value
    .group_segment_fixed_size: 0
    .kernarg_segment_align: 8
    .kernarg_segment_size: 48
    .language:       OpenCL C
    .language_version:
      - 2
      - 0
    .max_flat_workgroup_size: 256
    .name:           _ZN7rocprim17ROCPRIM_400000_NS6detail17trampoline_kernelINS0_14default_configENS1_38merge_sort_block_merge_config_selectorIsNS0_10empty_typeEEEZZNS1_27merge_sort_block_merge_implIS3_N6thrust23THRUST_200600_302600_NS6detail15normal_iteratorINS9_10device_ptrIsEEEEPS5_jNS1_19radix_merge_compareILb0ELb1EsNS0_19identity_decomposerEEEEE10hipError_tT0_T1_T2_jT3_P12ihipStream_tbPNSt15iterator_traitsISK_E10value_typeEPNSQ_ISL_E10value_typeEPSM_NS1_7vsmem_tEENKUlT_SK_SL_SM_E_clISE_PsSF_SF_EESJ_SZ_SK_SL_SM_EUlSZ_E1_NS1_11comp_targetILNS1_3genE4ELNS1_11target_archE910ELNS1_3gpuE8ELNS1_3repE0EEENS1_36merge_oddeven_config_static_selectorELNS0_4arch9wavefront6targetE1EEEvSL_
    .private_segment_fixed_size: 0
    .sgpr_count:     6
    .sgpr_spill_count: 0
    .symbol:         _ZN7rocprim17ROCPRIM_400000_NS6detail17trampoline_kernelINS0_14default_configENS1_38merge_sort_block_merge_config_selectorIsNS0_10empty_typeEEEZZNS1_27merge_sort_block_merge_implIS3_N6thrust23THRUST_200600_302600_NS6detail15normal_iteratorINS9_10device_ptrIsEEEEPS5_jNS1_19radix_merge_compareILb0ELb1EsNS0_19identity_decomposerEEEEE10hipError_tT0_T1_T2_jT3_P12ihipStream_tbPNSt15iterator_traitsISK_E10value_typeEPNSQ_ISL_E10value_typeEPSM_NS1_7vsmem_tEENKUlT_SK_SL_SM_E_clISE_PsSF_SF_EESJ_SZ_SK_SL_SM_EUlSZ_E1_NS1_11comp_targetILNS1_3genE4ELNS1_11target_archE910ELNS1_3gpuE8ELNS1_3repE0EEENS1_36merge_oddeven_config_static_selectorELNS0_4arch9wavefront6targetE1EEEvSL_.kd
    .uniform_work_group_size: 1
    .uses_dynamic_stack: false
    .vgpr_count:     0
    .vgpr_spill_count: 0
    .wavefront_size: 64
  - .agpr_count:     0
    .args:
      - .offset:         0
        .size:           48
        .value_kind:     by_value
    .group_segment_fixed_size: 0
    .kernarg_segment_align: 8
    .kernarg_segment_size: 48
    .language:       OpenCL C
    .language_version:
      - 2
      - 0
    .max_flat_workgroup_size: 256
    .name:           _ZN7rocprim17ROCPRIM_400000_NS6detail17trampoline_kernelINS0_14default_configENS1_38merge_sort_block_merge_config_selectorIsNS0_10empty_typeEEEZZNS1_27merge_sort_block_merge_implIS3_N6thrust23THRUST_200600_302600_NS6detail15normal_iteratorINS9_10device_ptrIsEEEEPS5_jNS1_19radix_merge_compareILb0ELb1EsNS0_19identity_decomposerEEEEE10hipError_tT0_T1_T2_jT3_P12ihipStream_tbPNSt15iterator_traitsISK_E10value_typeEPNSQ_ISL_E10value_typeEPSM_NS1_7vsmem_tEENKUlT_SK_SL_SM_E_clISE_PsSF_SF_EESJ_SZ_SK_SL_SM_EUlSZ_E1_NS1_11comp_targetILNS1_3genE3ELNS1_11target_archE908ELNS1_3gpuE7ELNS1_3repE0EEENS1_36merge_oddeven_config_static_selectorELNS0_4arch9wavefront6targetE1EEEvSL_
    .private_segment_fixed_size: 0
    .sgpr_count:     6
    .sgpr_spill_count: 0
    .symbol:         _ZN7rocprim17ROCPRIM_400000_NS6detail17trampoline_kernelINS0_14default_configENS1_38merge_sort_block_merge_config_selectorIsNS0_10empty_typeEEEZZNS1_27merge_sort_block_merge_implIS3_N6thrust23THRUST_200600_302600_NS6detail15normal_iteratorINS9_10device_ptrIsEEEEPS5_jNS1_19radix_merge_compareILb0ELb1EsNS0_19identity_decomposerEEEEE10hipError_tT0_T1_T2_jT3_P12ihipStream_tbPNSt15iterator_traitsISK_E10value_typeEPNSQ_ISL_E10value_typeEPSM_NS1_7vsmem_tEENKUlT_SK_SL_SM_E_clISE_PsSF_SF_EESJ_SZ_SK_SL_SM_EUlSZ_E1_NS1_11comp_targetILNS1_3genE3ELNS1_11target_archE908ELNS1_3gpuE7ELNS1_3repE0EEENS1_36merge_oddeven_config_static_selectorELNS0_4arch9wavefront6targetE1EEEvSL_.kd
    .uniform_work_group_size: 1
    .uses_dynamic_stack: false
    .vgpr_count:     0
    .vgpr_spill_count: 0
    .wavefront_size: 64
  - .agpr_count:     0
    .args:
      - .offset:         0
        .size:           48
        .value_kind:     by_value
    .group_segment_fixed_size: 0
    .kernarg_segment_align: 8
    .kernarg_segment_size: 48
    .language:       OpenCL C
    .language_version:
      - 2
      - 0
    .max_flat_workgroup_size: 256
    .name:           _ZN7rocprim17ROCPRIM_400000_NS6detail17trampoline_kernelINS0_14default_configENS1_38merge_sort_block_merge_config_selectorIsNS0_10empty_typeEEEZZNS1_27merge_sort_block_merge_implIS3_N6thrust23THRUST_200600_302600_NS6detail15normal_iteratorINS9_10device_ptrIsEEEEPS5_jNS1_19radix_merge_compareILb0ELb1EsNS0_19identity_decomposerEEEEE10hipError_tT0_T1_T2_jT3_P12ihipStream_tbPNSt15iterator_traitsISK_E10value_typeEPNSQ_ISL_E10value_typeEPSM_NS1_7vsmem_tEENKUlT_SK_SL_SM_E_clISE_PsSF_SF_EESJ_SZ_SK_SL_SM_EUlSZ_E1_NS1_11comp_targetILNS1_3genE2ELNS1_11target_archE906ELNS1_3gpuE6ELNS1_3repE0EEENS1_36merge_oddeven_config_static_selectorELNS0_4arch9wavefront6targetE1EEEvSL_
    .private_segment_fixed_size: 0
    .sgpr_count:     6
    .sgpr_spill_count: 0
    .symbol:         _ZN7rocprim17ROCPRIM_400000_NS6detail17trampoline_kernelINS0_14default_configENS1_38merge_sort_block_merge_config_selectorIsNS0_10empty_typeEEEZZNS1_27merge_sort_block_merge_implIS3_N6thrust23THRUST_200600_302600_NS6detail15normal_iteratorINS9_10device_ptrIsEEEEPS5_jNS1_19radix_merge_compareILb0ELb1EsNS0_19identity_decomposerEEEEE10hipError_tT0_T1_T2_jT3_P12ihipStream_tbPNSt15iterator_traitsISK_E10value_typeEPNSQ_ISL_E10value_typeEPSM_NS1_7vsmem_tEENKUlT_SK_SL_SM_E_clISE_PsSF_SF_EESJ_SZ_SK_SL_SM_EUlSZ_E1_NS1_11comp_targetILNS1_3genE2ELNS1_11target_archE906ELNS1_3gpuE6ELNS1_3repE0EEENS1_36merge_oddeven_config_static_selectorELNS0_4arch9wavefront6targetE1EEEvSL_.kd
    .uniform_work_group_size: 1
    .uses_dynamic_stack: false
    .vgpr_count:     0
    .vgpr_spill_count: 0
    .wavefront_size: 64
  - .agpr_count:     0
    .args:
      - .offset:         0
        .size:           48
        .value_kind:     by_value
    .group_segment_fixed_size: 0
    .kernarg_segment_align: 8
    .kernarg_segment_size: 48
    .language:       OpenCL C
    .language_version:
      - 2
      - 0
    .max_flat_workgroup_size: 256
    .name:           _ZN7rocprim17ROCPRIM_400000_NS6detail17trampoline_kernelINS0_14default_configENS1_38merge_sort_block_merge_config_selectorIsNS0_10empty_typeEEEZZNS1_27merge_sort_block_merge_implIS3_N6thrust23THRUST_200600_302600_NS6detail15normal_iteratorINS9_10device_ptrIsEEEEPS5_jNS1_19radix_merge_compareILb0ELb1EsNS0_19identity_decomposerEEEEE10hipError_tT0_T1_T2_jT3_P12ihipStream_tbPNSt15iterator_traitsISK_E10value_typeEPNSQ_ISL_E10value_typeEPSM_NS1_7vsmem_tEENKUlT_SK_SL_SM_E_clISE_PsSF_SF_EESJ_SZ_SK_SL_SM_EUlSZ_E1_NS1_11comp_targetILNS1_3genE9ELNS1_11target_archE1100ELNS1_3gpuE3ELNS1_3repE0EEENS1_36merge_oddeven_config_static_selectorELNS0_4arch9wavefront6targetE1EEEvSL_
    .private_segment_fixed_size: 0
    .sgpr_count:     6
    .sgpr_spill_count: 0
    .symbol:         _ZN7rocprim17ROCPRIM_400000_NS6detail17trampoline_kernelINS0_14default_configENS1_38merge_sort_block_merge_config_selectorIsNS0_10empty_typeEEEZZNS1_27merge_sort_block_merge_implIS3_N6thrust23THRUST_200600_302600_NS6detail15normal_iteratorINS9_10device_ptrIsEEEEPS5_jNS1_19radix_merge_compareILb0ELb1EsNS0_19identity_decomposerEEEEE10hipError_tT0_T1_T2_jT3_P12ihipStream_tbPNSt15iterator_traitsISK_E10value_typeEPNSQ_ISL_E10value_typeEPSM_NS1_7vsmem_tEENKUlT_SK_SL_SM_E_clISE_PsSF_SF_EESJ_SZ_SK_SL_SM_EUlSZ_E1_NS1_11comp_targetILNS1_3genE9ELNS1_11target_archE1100ELNS1_3gpuE3ELNS1_3repE0EEENS1_36merge_oddeven_config_static_selectorELNS0_4arch9wavefront6targetE1EEEvSL_.kd
    .uniform_work_group_size: 1
    .uses_dynamic_stack: false
    .vgpr_count:     0
    .vgpr_spill_count: 0
    .wavefront_size: 64
  - .agpr_count:     0
    .args:
      - .offset:         0
        .size:           48
        .value_kind:     by_value
    .group_segment_fixed_size: 0
    .kernarg_segment_align: 8
    .kernarg_segment_size: 48
    .language:       OpenCL C
    .language_version:
      - 2
      - 0
    .max_flat_workgroup_size: 256
    .name:           _ZN7rocprim17ROCPRIM_400000_NS6detail17trampoline_kernelINS0_14default_configENS1_38merge_sort_block_merge_config_selectorIsNS0_10empty_typeEEEZZNS1_27merge_sort_block_merge_implIS3_N6thrust23THRUST_200600_302600_NS6detail15normal_iteratorINS9_10device_ptrIsEEEEPS5_jNS1_19radix_merge_compareILb0ELb1EsNS0_19identity_decomposerEEEEE10hipError_tT0_T1_T2_jT3_P12ihipStream_tbPNSt15iterator_traitsISK_E10value_typeEPNSQ_ISL_E10value_typeEPSM_NS1_7vsmem_tEENKUlT_SK_SL_SM_E_clISE_PsSF_SF_EESJ_SZ_SK_SL_SM_EUlSZ_E1_NS1_11comp_targetILNS1_3genE8ELNS1_11target_archE1030ELNS1_3gpuE2ELNS1_3repE0EEENS1_36merge_oddeven_config_static_selectorELNS0_4arch9wavefront6targetE1EEEvSL_
    .private_segment_fixed_size: 0
    .sgpr_count:     6
    .sgpr_spill_count: 0
    .symbol:         _ZN7rocprim17ROCPRIM_400000_NS6detail17trampoline_kernelINS0_14default_configENS1_38merge_sort_block_merge_config_selectorIsNS0_10empty_typeEEEZZNS1_27merge_sort_block_merge_implIS3_N6thrust23THRUST_200600_302600_NS6detail15normal_iteratorINS9_10device_ptrIsEEEEPS5_jNS1_19radix_merge_compareILb0ELb1EsNS0_19identity_decomposerEEEEE10hipError_tT0_T1_T2_jT3_P12ihipStream_tbPNSt15iterator_traitsISK_E10value_typeEPNSQ_ISL_E10value_typeEPSM_NS1_7vsmem_tEENKUlT_SK_SL_SM_E_clISE_PsSF_SF_EESJ_SZ_SK_SL_SM_EUlSZ_E1_NS1_11comp_targetILNS1_3genE8ELNS1_11target_archE1030ELNS1_3gpuE2ELNS1_3repE0EEENS1_36merge_oddeven_config_static_selectorELNS0_4arch9wavefront6targetE1EEEvSL_.kd
    .uniform_work_group_size: 1
    .uses_dynamic_stack: false
    .vgpr_count:     0
    .vgpr_spill_count: 0
    .wavefront_size: 64
  - .agpr_count:     0
    .args:
      - .offset:         0
        .size:           40
        .value_kind:     by_value
    .group_segment_fixed_size: 0
    .kernarg_segment_align: 8
    .kernarg_segment_size: 40
    .language:       OpenCL C
    .language_version:
      - 2
      - 0
    .max_flat_workgroup_size: 512
    .name:           _ZN7rocprim17ROCPRIM_400000_NS6detail17trampoline_kernelINS0_14default_configENS1_35radix_sort_onesweep_config_selectorIsNS0_10empty_typeEEEZNS1_34radix_sort_onesweep_global_offsetsIS3_Lb0EN6thrust23THRUST_200600_302600_NS6detail15normal_iteratorINS9_10device_ptrIsEEEEPS5_jNS0_19identity_decomposerEEE10hipError_tT1_T2_PT3_SK_jT4_jjP12ihipStream_tbEUlT_E_NS1_11comp_targetILNS1_3genE0ELNS1_11target_archE4294967295ELNS1_3gpuE0ELNS1_3repE0EEENS1_52radix_sort_onesweep_histogram_config_static_selectorELNS0_4arch9wavefront6targetE1EEEvSI_
    .private_segment_fixed_size: 0
    .sgpr_count:     6
    .sgpr_spill_count: 0
    .symbol:         _ZN7rocprim17ROCPRIM_400000_NS6detail17trampoline_kernelINS0_14default_configENS1_35radix_sort_onesweep_config_selectorIsNS0_10empty_typeEEEZNS1_34radix_sort_onesweep_global_offsetsIS3_Lb0EN6thrust23THRUST_200600_302600_NS6detail15normal_iteratorINS9_10device_ptrIsEEEEPS5_jNS0_19identity_decomposerEEE10hipError_tT1_T2_PT3_SK_jT4_jjP12ihipStream_tbEUlT_E_NS1_11comp_targetILNS1_3genE0ELNS1_11target_archE4294967295ELNS1_3gpuE0ELNS1_3repE0EEENS1_52radix_sort_onesweep_histogram_config_static_selectorELNS0_4arch9wavefront6targetE1EEEvSI_.kd
    .uniform_work_group_size: 1
    .uses_dynamic_stack: false
    .vgpr_count:     0
    .vgpr_spill_count: 0
    .wavefront_size: 64
  - .agpr_count:     0
    .args:
      - .offset:         0
        .size:           40
        .value_kind:     by_value
    .group_segment_fixed_size: 0
    .kernarg_segment_align: 8
    .kernarg_segment_size: 40
    .language:       OpenCL C
    .language_version:
      - 2
      - 0
    .max_flat_workgroup_size: 1024
    .name:           _ZN7rocprim17ROCPRIM_400000_NS6detail17trampoline_kernelINS0_14default_configENS1_35radix_sort_onesweep_config_selectorIsNS0_10empty_typeEEEZNS1_34radix_sort_onesweep_global_offsetsIS3_Lb0EN6thrust23THRUST_200600_302600_NS6detail15normal_iteratorINS9_10device_ptrIsEEEEPS5_jNS0_19identity_decomposerEEE10hipError_tT1_T2_PT3_SK_jT4_jjP12ihipStream_tbEUlT_E_NS1_11comp_targetILNS1_3genE6ELNS1_11target_archE950ELNS1_3gpuE13ELNS1_3repE0EEENS1_52radix_sort_onesweep_histogram_config_static_selectorELNS0_4arch9wavefront6targetE1EEEvSI_
    .private_segment_fixed_size: 0
    .sgpr_count:     6
    .sgpr_spill_count: 0
    .symbol:         _ZN7rocprim17ROCPRIM_400000_NS6detail17trampoline_kernelINS0_14default_configENS1_35radix_sort_onesweep_config_selectorIsNS0_10empty_typeEEEZNS1_34radix_sort_onesweep_global_offsetsIS3_Lb0EN6thrust23THRUST_200600_302600_NS6detail15normal_iteratorINS9_10device_ptrIsEEEEPS5_jNS0_19identity_decomposerEEE10hipError_tT1_T2_PT3_SK_jT4_jjP12ihipStream_tbEUlT_E_NS1_11comp_targetILNS1_3genE6ELNS1_11target_archE950ELNS1_3gpuE13ELNS1_3repE0EEENS1_52radix_sort_onesweep_histogram_config_static_selectorELNS0_4arch9wavefront6targetE1EEEvSI_.kd
    .uniform_work_group_size: 1
    .uses_dynamic_stack: false
    .vgpr_count:     0
    .vgpr_spill_count: 0
    .wavefront_size: 64
  - .agpr_count:     0
    .args:
      - .offset:         0
        .size:           40
        .value_kind:     by_value
    .group_segment_fixed_size: 8192
    .kernarg_segment_align: 8
    .kernarg_segment_size: 40
    .language:       OpenCL C
    .language_version:
      - 2
      - 0
    .max_flat_workgroup_size: 1024
    .name:           _ZN7rocprim17ROCPRIM_400000_NS6detail17trampoline_kernelINS0_14default_configENS1_35radix_sort_onesweep_config_selectorIsNS0_10empty_typeEEEZNS1_34radix_sort_onesweep_global_offsetsIS3_Lb0EN6thrust23THRUST_200600_302600_NS6detail15normal_iteratorINS9_10device_ptrIsEEEEPS5_jNS0_19identity_decomposerEEE10hipError_tT1_T2_PT3_SK_jT4_jjP12ihipStream_tbEUlT_E_NS1_11comp_targetILNS1_3genE5ELNS1_11target_archE942ELNS1_3gpuE9ELNS1_3repE0EEENS1_52radix_sort_onesweep_histogram_config_static_selectorELNS0_4arch9wavefront6targetE1EEEvSI_
    .private_segment_fixed_size: 0
    .sgpr_count:     26
    .sgpr_spill_count: 0
    .symbol:         _ZN7rocprim17ROCPRIM_400000_NS6detail17trampoline_kernelINS0_14default_configENS1_35radix_sort_onesweep_config_selectorIsNS0_10empty_typeEEEZNS1_34radix_sort_onesweep_global_offsetsIS3_Lb0EN6thrust23THRUST_200600_302600_NS6detail15normal_iteratorINS9_10device_ptrIsEEEEPS5_jNS0_19identity_decomposerEEE10hipError_tT1_T2_PT3_SK_jT4_jjP12ihipStream_tbEUlT_E_NS1_11comp_targetILNS1_3genE5ELNS1_11target_archE942ELNS1_3gpuE9ELNS1_3repE0EEENS1_52radix_sort_onesweep_histogram_config_static_selectorELNS0_4arch9wavefront6targetE1EEEvSI_.kd
    .uniform_work_group_size: 1
    .uses_dynamic_stack: false
    .vgpr_count:     67
    .vgpr_spill_count: 0
    .wavefront_size: 64
  - .agpr_count:     0
    .args:
      - .offset:         0
        .size:           40
        .value_kind:     by_value
    .group_segment_fixed_size: 0
    .kernarg_segment_align: 8
    .kernarg_segment_size: 40
    .language:       OpenCL C
    .language_version:
      - 2
      - 0
    .max_flat_workgroup_size: 512
    .name:           _ZN7rocprim17ROCPRIM_400000_NS6detail17trampoline_kernelINS0_14default_configENS1_35radix_sort_onesweep_config_selectorIsNS0_10empty_typeEEEZNS1_34radix_sort_onesweep_global_offsetsIS3_Lb0EN6thrust23THRUST_200600_302600_NS6detail15normal_iteratorINS9_10device_ptrIsEEEEPS5_jNS0_19identity_decomposerEEE10hipError_tT1_T2_PT3_SK_jT4_jjP12ihipStream_tbEUlT_E_NS1_11comp_targetILNS1_3genE2ELNS1_11target_archE906ELNS1_3gpuE6ELNS1_3repE0EEENS1_52radix_sort_onesweep_histogram_config_static_selectorELNS0_4arch9wavefront6targetE1EEEvSI_
    .private_segment_fixed_size: 0
    .sgpr_count:     6
    .sgpr_spill_count: 0
    .symbol:         _ZN7rocprim17ROCPRIM_400000_NS6detail17trampoline_kernelINS0_14default_configENS1_35radix_sort_onesweep_config_selectorIsNS0_10empty_typeEEEZNS1_34radix_sort_onesweep_global_offsetsIS3_Lb0EN6thrust23THRUST_200600_302600_NS6detail15normal_iteratorINS9_10device_ptrIsEEEEPS5_jNS0_19identity_decomposerEEE10hipError_tT1_T2_PT3_SK_jT4_jjP12ihipStream_tbEUlT_E_NS1_11comp_targetILNS1_3genE2ELNS1_11target_archE906ELNS1_3gpuE6ELNS1_3repE0EEENS1_52radix_sort_onesweep_histogram_config_static_selectorELNS0_4arch9wavefront6targetE1EEEvSI_.kd
    .uniform_work_group_size: 1
    .uses_dynamic_stack: false
    .vgpr_count:     0
    .vgpr_spill_count: 0
    .wavefront_size: 64
  - .agpr_count:     0
    .args:
      - .offset:         0
        .size:           40
        .value_kind:     by_value
    .group_segment_fixed_size: 0
    .kernarg_segment_align: 8
    .kernarg_segment_size: 40
    .language:       OpenCL C
    .language_version:
      - 2
      - 0
    .max_flat_workgroup_size: 1024
    .name:           _ZN7rocprim17ROCPRIM_400000_NS6detail17trampoline_kernelINS0_14default_configENS1_35radix_sort_onesweep_config_selectorIsNS0_10empty_typeEEEZNS1_34radix_sort_onesweep_global_offsetsIS3_Lb0EN6thrust23THRUST_200600_302600_NS6detail15normal_iteratorINS9_10device_ptrIsEEEEPS5_jNS0_19identity_decomposerEEE10hipError_tT1_T2_PT3_SK_jT4_jjP12ihipStream_tbEUlT_E_NS1_11comp_targetILNS1_3genE4ELNS1_11target_archE910ELNS1_3gpuE8ELNS1_3repE0EEENS1_52radix_sort_onesweep_histogram_config_static_selectorELNS0_4arch9wavefront6targetE1EEEvSI_
    .private_segment_fixed_size: 0
    .sgpr_count:     6
    .sgpr_spill_count: 0
    .symbol:         _ZN7rocprim17ROCPRIM_400000_NS6detail17trampoline_kernelINS0_14default_configENS1_35radix_sort_onesweep_config_selectorIsNS0_10empty_typeEEEZNS1_34radix_sort_onesweep_global_offsetsIS3_Lb0EN6thrust23THRUST_200600_302600_NS6detail15normal_iteratorINS9_10device_ptrIsEEEEPS5_jNS0_19identity_decomposerEEE10hipError_tT1_T2_PT3_SK_jT4_jjP12ihipStream_tbEUlT_E_NS1_11comp_targetILNS1_3genE4ELNS1_11target_archE910ELNS1_3gpuE8ELNS1_3repE0EEENS1_52radix_sort_onesweep_histogram_config_static_selectorELNS0_4arch9wavefront6targetE1EEEvSI_.kd
    .uniform_work_group_size: 1
    .uses_dynamic_stack: false
    .vgpr_count:     0
    .vgpr_spill_count: 0
    .wavefront_size: 64
  - .agpr_count:     0
    .args:
      - .offset:         0
        .size:           40
        .value_kind:     by_value
    .group_segment_fixed_size: 0
    .kernarg_segment_align: 8
    .kernarg_segment_size: 40
    .language:       OpenCL C
    .language_version:
      - 2
      - 0
    .max_flat_workgroup_size: 512
    .name:           _ZN7rocprim17ROCPRIM_400000_NS6detail17trampoline_kernelINS0_14default_configENS1_35radix_sort_onesweep_config_selectorIsNS0_10empty_typeEEEZNS1_34radix_sort_onesweep_global_offsetsIS3_Lb0EN6thrust23THRUST_200600_302600_NS6detail15normal_iteratorINS9_10device_ptrIsEEEEPS5_jNS0_19identity_decomposerEEE10hipError_tT1_T2_PT3_SK_jT4_jjP12ihipStream_tbEUlT_E_NS1_11comp_targetILNS1_3genE3ELNS1_11target_archE908ELNS1_3gpuE7ELNS1_3repE0EEENS1_52radix_sort_onesweep_histogram_config_static_selectorELNS0_4arch9wavefront6targetE1EEEvSI_
    .private_segment_fixed_size: 0
    .sgpr_count:     6
    .sgpr_spill_count: 0
    .symbol:         _ZN7rocprim17ROCPRIM_400000_NS6detail17trampoline_kernelINS0_14default_configENS1_35radix_sort_onesweep_config_selectorIsNS0_10empty_typeEEEZNS1_34radix_sort_onesweep_global_offsetsIS3_Lb0EN6thrust23THRUST_200600_302600_NS6detail15normal_iteratorINS9_10device_ptrIsEEEEPS5_jNS0_19identity_decomposerEEE10hipError_tT1_T2_PT3_SK_jT4_jjP12ihipStream_tbEUlT_E_NS1_11comp_targetILNS1_3genE3ELNS1_11target_archE908ELNS1_3gpuE7ELNS1_3repE0EEENS1_52radix_sort_onesweep_histogram_config_static_selectorELNS0_4arch9wavefront6targetE1EEEvSI_.kd
    .uniform_work_group_size: 1
    .uses_dynamic_stack: false
    .vgpr_count:     0
    .vgpr_spill_count: 0
    .wavefront_size: 64
  - .agpr_count:     0
    .args:
      - .offset:         0
        .size:           40
        .value_kind:     by_value
    .group_segment_fixed_size: 0
    .kernarg_segment_align: 8
    .kernarg_segment_size: 40
    .language:       OpenCL C
    .language_version:
      - 2
      - 0
    .max_flat_workgroup_size: 256
    .name:           _ZN7rocprim17ROCPRIM_400000_NS6detail17trampoline_kernelINS0_14default_configENS1_35radix_sort_onesweep_config_selectorIsNS0_10empty_typeEEEZNS1_34radix_sort_onesweep_global_offsetsIS3_Lb0EN6thrust23THRUST_200600_302600_NS6detail15normal_iteratorINS9_10device_ptrIsEEEEPS5_jNS0_19identity_decomposerEEE10hipError_tT1_T2_PT3_SK_jT4_jjP12ihipStream_tbEUlT_E_NS1_11comp_targetILNS1_3genE10ELNS1_11target_archE1201ELNS1_3gpuE5ELNS1_3repE0EEENS1_52radix_sort_onesweep_histogram_config_static_selectorELNS0_4arch9wavefront6targetE1EEEvSI_
    .private_segment_fixed_size: 0
    .sgpr_count:     6
    .sgpr_spill_count: 0
    .symbol:         _ZN7rocprim17ROCPRIM_400000_NS6detail17trampoline_kernelINS0_14default_configENS1_35radix_sort_onesweep_config_selectorIsNS0_10empty_typeEEEZNS1_34radix_sort_onesweep_global_offsetsIS3_Lb0EN6thrust23THRUST_200600_302600_NS6detail15normal_iteratorINS9_10device_ptrIsEEEEPS5_jNS0_19identity_decomposerEEE10hipError_tT1_T2_PT3_SK_jT4_jjP12ihipStream_tbEUlT_E_NS1_11comp_targetILNS1_3genE10ELNS1_11target_archE1201ELNS1_3gpuE5ELNS1_3repE0EEENS1_52radix_sort_onesweep_histogram_config_static_selectorELNS0_4arch9wavefront6targetE1EEEvSI_.kd
    .uniform_work_group_size: 1
    .uses_dynamic_stack: false
    .vgpr_count:     0
    .vgpr_spill_count: 0
    .wavefront_size: 64
  - .agpr_count:     0
    .args:
      - .offset:         0
        .size:           40
        .value_kind:     by_value
    .group_segment_fixed_size: 0
    .kernarg_segment_align: 8
    .kernarg_segment_size: 40
    .language:       OpenCL C
    .language_version:
      - 2
      - 0
    .max_flat_workgroup_size: 256
    .name:           _ZN7rocprim17ROCPRIM_400000_NS6detail17trampoline_kernelINS0_14default_configENS1_35radix_sort_onesweep_config_selectorIsNS0_10empty_typeEEEZNS1_34radix_sort_onesweep_global_offsetsIS3_Lb0EN6thrust23THRUST_200600_302600_NS6detail15normal_iteratorINS9_10device_ptrIsEEEEPS5_jNS0_19identity_decomposerEEE10hipError_tT1_T2_PT3_SK_jT4_jjP12ihipStream_tbEUlT_E_NS1_11comp_targetILNS1_3genE9ELNS1_11target_archE1100ELNS1_3gpuE3ELNS1_3repE0EEENS1_52radix_sort_onesweep_histogram_config_static_selectorELNS0_4arch9wavefront6targetE1EEEvSI_
    .private_segment_fixed_size: 0
    .sgpr_count:     6
    .sgpr_spill_count: 0
    .symbol:         _ZN7rocprim17ROCPRIM_400000_NS6detail17trampoline_kernelINS0_14default_configENS1_35radix_sort_onesweep_config_selectorIsNS0_10empty_typeEEEZNS1_34radix_sort_onesweep_global_offsetsIS3_Lb0EN6thrust23THRUST_200600_302600_NS6detail15normal_iteratorINS9_10device_ptrIsEEEEPS5_jNS0_19identity_decomposerEEE10hipError_tT1_T2_PT3_SK_jT4_jjP12ihipStream_tbEUlT_E_NS1_11comp_targetILNS1_3genE9ELNS1_11target_archE1100ELNS1_3gpuE3ELNS1_3repE0EEENS1_52radix_sort_onesweep_histogram_config_static_selectorELNS0_4arch9wavefront6targetE1EEEvSI_.kd
    .uniform_work_group_size: 1
    .uses_dynamic_stack: false
    .vgpr_count:     0
    .vgpr_spill_count: 0
    .wavefront_size: 64
  - .agpr_count:     0
    .args:
      - .offset:         0
        .size:           40
        .value_kind:     by_value
    .group_segment_fixed_size: 0
    .kernarg_segment_align: 8
    .kernarg_segment_size: 40
    .language:       OpenCL C
    .language_version:
      - 2
      - 0
    .max_flat_workgroup_size: 256
    .name:           _ZN7rocprim17ROCPRIM_400000_NS6detail17trampoline_kernelINS0_14default_configENS1_35radix_sort_onesweep_config_selectorIsNS0_10empty_typeEEEZNS1_34radix_sort_onesweep_global_offsetsIS3_Lb0EN6thrust23THRUST_200600_302600_NS6detail15normal_iteratorINS9_10device_ptrIsEEEEPS5_jNS0_19identity_decomposerEEE10hipError_tT1_T2_PT3_SK_jT4_jjP12ihipStream_tbEUlT_E_NS1_11comp_targetILNS1_3genE8ELNS1_11target_archE1030ELNS1_3gpuE2ELNS1_3repE0EEENS1_52radix_sort_onesweep_histogram_config_static_selectorELNS0_4arch9wavefront6targetE1EEEvSI_
    .private_segment_fixed_size: 0
    .sgpr_count:     6
    .sgpr_spill_count: 0
    .symbol:         _ZN7rocprim17ROCPRIM_400000_NS6detail17trampoline_kernelINS0_14default_configENS1_35radix_sort_onesweep_config_selectorIsNS0_10empty_typeEEEZNS1_34radix_sort_onesweep_global_offsetsIS3_Lb0EN6thrust23THRUST_200600_302600_NS6detail15normal_iteratorINS9_10device_ptrIsEEEEPS5_jNS0_19identity_decomposerEEE10hipError_tT1_T2_PT3_SK_jT4_jjP12ihipStream_tbEUlT_E_NS1_11comp_targetILNS1_3genE8ELNS1_11target_archE1030ELNS1_3gpuE2ELNS1_3repE0EEENS1_52radix_sort_onesweep_histogram_config_static_selectorELNS0_4arch9wavefront6targetE1EEEvSI_.kd
    .uniform_work_group_size: 1
    .uses_dynamic_stack: false
    .vgpr_count:     0
    .vgpr_spill_count: 0
    .wavefront_size: 64
  - .agpr_count:     0
    .args:
      - .address_space:  global
        .offset:         0
        .size:           8
        .value_kind:     global_buffer
    .group_segment_fixed_size: 0
    .kernarg_segment_align: 8
    .kernarg_segment_size: 8
    .language:       OpenCL C
    .language_version:
      - 2
      - 0
    .max_flat_workgroup_size: 512
    .name:           _ZN7rocprim17ROCPRIM_400000_NS6detail17trampoline_kernelINS0_14default_configENS1_35radix_sort_onesweep_config_selectorIsNS0_10empty_typeEEEZNS1_34radix_sort_onesweep_global_offsetsIS3_Lb0EN6thrust23THRUST_200600_302600_NS6detail15normal_iteratorINS9_10device_ptrIsEEEEPS5_jNS0_19identity_decomposerEEE10hipError_tT1_T2_PT3_SK_jT4_jjP12ihipStream_tbEUlT_E0_NS1_11comp_targetILNS1_3genE0ELNS1_11target_archE4294967295ELNS1_3gpuE0ELNS1_3repE0EEENS1_52radix_sort_onesweep_histogram_config_static_selectorELNS0_4arch9wavefront6targetE1EEEvSI_
    .private_segment_fixed_size: 0
    .sgpr_count:     6
    .sgpr_spill_count: 0
    .symbol:         _ZN7rocprim17ROCPRIM_400000_NS6detail17trampoline_kernelINS0_14default_configENS1_35radix_sort_onesweep_config_selectorIsNS0_10empty_typeEEEZNS1_34radix_sort_onesweep_global_offsetsIS3_Lb0EN6thrust23THRUST_200600_302600_NS6detail15normal_iteratorINS9_10device_ptrIsEEEEPS5_jNS0_19identity_decomposerEEE10hipError_tT1_T2_PT3_SK_jT4_jjP12ihipStream_tbEUlT_E0_NS1_11comp_targetILNS1_3genE0ELNS1_11target_archE4294967295ELNS1_3gpuE0ELNS1_3repE0EEENS1_52radix_sort_onesweep_histogram_config_static_selectorELNS0_4arch9wavefront6targetE1EEEvSI_.kd
    .uniform_work_group_size: 1
    .uses_dynamic_stack: false
    .vgpr_count:     0
    .vgpr_spill_count: 0
    .wavefront_size: 64
  - .agpr_count:     0
    .args:
      - .address_space:  global
        .offset:         0
        .size:           8
        .value_kind:     global_buffer
    .group_segment_fixed_size: 0
    .kernarg_segment_align: 8
    .kernarg_segment_size: 8
    .language:       OpenCL C
    .language_version:
      - 2
      - 0
    .max_flat_workgroup_size: 1024
    .name:           _ZN7rocprim17ROCPRIM_400000_NS6detail17trampoline_kernelINS0_14default_configENS1_35radix_sort_onesweep_config_selectorIsNS0_10empty_typeEEEZNS1_34radix_sort_onesweep_global_offsetsIS3_Lb0EN6thrust23THRUST_200600_302600_NS6detail15normal_iteratorINS9_10device_ptrIsEEEEPS5_jNS0_19identity_decomposerEEE10hipError_tT1_T2_PT3_SK_jT4_jjP12ihipStream_tbEUlT_E0_NS1_11comp_targetILNS1_3genE6ELNS1_11target_archE950ELNS1_3gpuE13ELNS1_3repE0EEENS1_52radix_sort_onesweep_histogram_config_static_selectorELNS0_4arch9wavefront6targetE1EEEvSI_
    .private_segment_fixed_size: 0
    .sgpr_count:     6
    .sgpr_spill_count: 0
    .symbol:         _ZN7rocprim17ROCPRIM_400000_NS6detail17trampoline_kernelINS0_14default_configENS1_35radix_sort_onesweep_config_selectorIsNS0_10empty_typeEEEZNS1_34radix_sort_onesweep_global_offsetsIS3_Lb0EN6thrust23THRUST_200600_302600_NS6detail15normal_iteratorINS9_10device_ptrIsEEEEPS5_jNS0_19identity_decomposerEEE10hipError_tT1_T2_PT3_SK_jT4_jjP12ihipStream_tbEUlT_E0_NS1_11comp_targetILNS1_3genE6ELNS1_11target_archE950ELNS1_3gpuE13ELNS1_3repE0EEENS1_52radix_sort_onesweep_histogram_config_static_selectorELNS0_4arch9wavefront6targetE1EEEvSI_.kd
    .uniform_work_group_size: 1
    .uses_dynamic_stack: false
    .vgpr_count:     0
    .vgpr_spill_count: 0
    .wavefront_size: 64
  - .agpr_count:     0
    .args:
      - .address_space:  global
        .offset:         0
        .size:           8
        .value_kind:     global_buffer
    .group_segment_fixed_size: 64
    .kernarg_segment_align: 8
    .kernarg_segment_size: 8
    .language:       OpenCL C
    .language_version:
      - 2
      - 0
    .max_flat_workgroup_size: 1024
    .name:           _ZN7rocprim17ROCPRIM_400000_NS6detail17trampoline_kernelINS0_14default_configENS1_35radix_sort_onesweep_config_selectorIsNS0_10empty_typeEEEZNS1_34radix_sort_onesweep_global_offsetsIS3_Lb0EN6thrust23THRUST_200600_302600_NS6detail15normal_iteratorINS9_10device_ptrIsEEEEPS5_jNS0_19identity_decomposerEEE10hipError_tT1_T2_PT3_SK_jT4_jjP12ihipStream_tbEUlT_E0_NS1_11comp_targetILNS1_3genE5ELNS1_11target_archE942ELNS1_3gpuE9ELNS1_3repE0EEENS1_52radix_sort_onesweep_histogram_config_static_selectorELNS0_4arch9wavefront6targetE1EEEvSI_
    .private_segment_fixed_size: 0
    .sgpr_count:     20
    .sgpr_spill_count: 0
    .symbol:         _ZN7rocprim17ROCPRIM_400000_NS6detail17trampoline_kernelINS0_14default_configENS1_35radix_sort_onesweep_config_selectorIsNS0_10empty_typeEEEZNS1_34radix_sort_onesweep_global_offsetsIS3_Lb0EN6thrust23THRUST_200600_302600_NS6detail15normal_iteratorINS9_10device_ptrIsEEEEPS5_jNS0_19identity_decomposerEEE10hipError_tT1_T2_PT3_SK_jT4_jjP12ihipStream_tbEUlT_E0_NS1_11comp_targetILNS1_3genE5ELNS1_11target_archE942ELNS1_3gpuE9ELNS1_3repE0EEENS1_52radix_sort_onesweep_histogram_config_static_selectorELNS0_4arch9wavefront6targetE1EEEvSI_.kd
    .uniform_work_group_size: 1
    .uses_dynamic_stack: false
    .vgpr_count:     7
    .vgpr_spill_count: 0
    .wavefront_size: 64
  - .agpr_count:     0
    .args:
      - .address_space:  global
        .offset:         0
        .size:           8
        .value_kind:     global_buffer
    .group_segment_fixed_size: 0
    .kernarg_segment_align: 8
    .kernarg_segment_size: 8
    .language:       OpenCL C
    .language_version:
      - 2
      - 0
    .max_flat_workgroup_size: 512
    .name:           _ZN7rocprim17ROCPRIM_400000_NS6detail17trampoline_kernelINS0_14default_configENS1_35radix_sort_onesweep_config_selectorIsNS0_10empty_typeEEEZNS1_34radix_sort_onesweep_global_offsetsIS3_Lb0EN6thrust23THRUST_200600_302600_NS6detail15normal_iteratorINS9_10device_ptrIsEEEEPS5_jNS0_19identity_decomposerEEE10hipError_tT1_T2_PT3_SK_jT4_jjP12ihipStream_tbEUlT_E0_NS1_11comp_targetILNS1_3genE2ELNS1_11target_archE906ELNS1_3gpuE6ELNS1_3repE0EEENS1_52radix_sort_onesweep_histogram_config_static_selectorELNS0_4arch9wavefront6targetE1EEEvSI_
    .private_segment_fixed_size: 0
    .sgpr_count:     6
    .sgpr_spill_count: 0
    .symbol:         _ZN7rocprim17ROCPRIM_400000_NS6detail17trampoline_kernelINS0_14default_configENS1_35radix_sort_onesweep_config_selectorIsNS0_10empty_typeEEEZNS1_34radix_sort_onesweep_global_offsetsIS3_Lb0EN6thrust23THRUST_200600_302600_NS6detail15normal_iteratorINS9_10device_ptrIsEEEEPS5_jNS0_19identity_decomposerEEE10hipError_tT1_T2_PT3_SK_jT4_jjP12ihipStream_tbEUlT_E0_NS1_11comp_targetILNS1_3genE2ELNS1_11target_archE906ELNS1_3gpuE6ELNS1_3repE0EEENS1_52radix_sort_onesweep_histogram_config_static_selectorELNS0_4arch9wavefront6targetE1EEEvSI_.kd
    .uniform_work_group_size: 1
    .uses_dynamic_stack: false
    .vgpr_count:     0
    .vgpr_spill_count: 0
    .wavefront_size: 64
  - .agpr_count:     0
    .args:
      - .address_space:  global
        .offset:         0
        .size:           8
        .value_kind:     global_buffer
    .group_segment_fixed_size: 0
    .kernarg_segment_align: 8
    .kernarg_segment_size: 8
    .language:       OpenCL C
    .language_version:
      - 2
      - 0
    .max_flat_workgroup_size: 1024
    .name:           _ZN7rocprim17ROCPRIM_400000_NS6detail17trampoline_kernelINS0_14default_configENS1_35radix_sort_onesweep_config_selectorIsNS0_10empty_typeEEEZNS1_34radix_sort_onesweep_global_offsetsIS3_Lb0EN6thrust23THRUST_200600_302600_NS6detail15normal_iteratorINS9_10device_ptrIsEEEEPS5_jNS0_19identity_decomposerEEE10hipError_tT1_T2_PT3_SK_jT4_jjP12ihipStream_tbEUlT_E0_NS1_11comp_targetILNS1_3genE4ELNS1_11target_archE910ELNS1_3gpuE8ELNS1_3repE0EEENS1_52radix_sort_onesweep_histogram_config_static_selectorELNS0_4arch9wavefront6targetE1EEEvSI_
    .private_segment_fixed_size: 0
    .sgpr_count:     6
    .sgpr_spill_count: 0
    .symbol:         _ZN7rocprim17ROCPRIM_400000_NS6detail17trampoline_kernelINS0_14default_configENS1_35radix_sort_onesweep_config_selectorIsNS0_10empty_typeEEEZNS1_34radix_sort_onesweep_global_offsetsIS3_Lb0EN6thrust23THRUST_200600_302600_NS6detail15normal_iteratorINS9_10device_ptrIsEEEEPS5_jNS0_19identity_decomposerEEE10hipError_tT1_T2_PT3_SK_jT4_jjP12ihipStream_tbEUlT_E0_NS1_11comp_targetILNS1_3genE4ELNS1_11target_archE910ELNS1_3gpuE8ELNS1_3repE0EEENS1_52radix_sort_onesweep_histogram_config_static_selectorELNS0_4arch9wavefront6targetE1EEEvSI_.kd
    .uniform_work_group_size: 1
    .uses_dynamic_stack: false
    .vgpr_count:     0
    .vgpr_spill_count: 0
    .wavefront_size: 64
  - .agpr_count:     0
    .args:
      - .address_space:  global
        .offset:         0
        .size:           8
        .value_kind:     global_buffer
    .group_segment_fixed_size: 0
    .kernarg_segment_align: 8
    .kernarg_segment_size: 8
    .language:       OpenCL C
    .language_version:
      - 2
      - 0
    .max_flat_workgroup_size: 512
    .name:           _ZN7rocprim17ROCPRIM_400000_NS6detail17trampoline_kernelINS0_14default_configENS1_35radix_sort_onesweep_config_selectorIsNS0_10empty_typeEEEZNS1_34radix_sort_onesweep_global_offsetsIS3_Lb0EN6thrust23THRUST_200600_302600_NS6detail15normal_iteratorINS9_10device_ptrIsEEEEPS5_jNS0_19identity_decomposerEEE10hipError_tT1_T2_PT3_SK_jT4_jjP12ihipStream_tbEUlT_E0_NS1_11comp_targetILNS1_3genE3ELNS1_11target_archE908ELNS1_3gpuE7ELNS1_3repE0EEENS1_52radix_sort_onesweep_histogram_config_static_selectorELNS0_4arch9wavefront6targetE1EEEvSI_
    .private_segment_fixed_size: 0
    .sgpr_count:     6
    .sgpr_spill_count: 0
    .symbol:         _ZN7rocprim17ROCPRIM_400000_NS6detail17trampoline_kernelINS0_14default_configENS1_35radix_sort_onesweep_config_selectorIsNS0_10empty_typeEEEZNS1_34radix_sort_onesweep_global_offsetsIS3_Lb0EN6thrust23THRUST_200600_302600_NS6detail15normal_iteratorINS9_10device_ptrIsEEEEPS5_jNS0_19identity_decomposerEEE10hipError_tT1_T2_PT3_SK_jT4_jjP12ihipStream_tbEUlT_E0_NS1_11comp_targetILNS1_3genE3ELNS1_11target_archE908ELNS1_3gpuE7ELNS1_3repE0EEENS1_52radix_sort_onesweep_histogram_config_static_selectorELNS0_4arch9wavefront6targetE1EEEvSI_.kd
    .uniform_work_group_size: 1
    .uses_dynamic_stack: false
    .vgpr_count:     0
    .vgpr_spill_count: 0
    .wavefront_size: 64
  - .agpr_count:     0
    .args:
      - .address_space:  global
        .offset:         0
        .size:           8
        .value_kind:     global_buffer
    .group_segment_fixed_size: 0
    .kernarg_segment_align: 8
    .kernarg_segment_size: 8
    .language:       OpenCL C
    .language_version:
      - 2
      - 0
    .max_flat_workgroup_size: 256
    .name:           _ZN7rocprim17ROCPRIM_400000_NS6detail17trampoline_kernelINS0_14default_configENS1_35radix_sort_onesweep_config_selectorIsNS0_10empty_typeEEEZNS1_34radix_sort_onesweep_global_offsetsIS3_Lb0EN6thrust23THRUST_200600_302600_NS6detail15normal_iteratorINS9_10device_ptrIsEEEEPS5_jNS0_19identity_decomposerEEE10hipError_tT1_T2_PT3_SK_jT4_jjP12ihipStream_tbEUlT_E0_NS1_11comp_targetILNS1_3genE10ELNS1_11target_archE1201ELNS1_3gpuE5ELNS1_3repE0EEENS1_52radix_sort_onesweep_histogram_config_static_selectorELNS0_4arch9wavefront6targetE1EEEvSI_
    .private_segment_fixed_size: 0
    .sgpr_count:     6
    .sgpr_spill_count: 0
    .symbol:         _ZN7rocprim17ROCPRIM_400000_NS6detail17trampoline_kernelINS0_14default_configENS1_35radix_sort_onesweep_config_selectorIsNS0_10empty_typeEEEZNS1_34radix_sort_onesweep_global_offsetsIS3_Lb0EN6thrust23THRUST_200600_302600_NS6detail15normal_iteratorINS9_10device_ptrIsEEEEPS5_jNS0_19identity_decomposerEEE10hipError_tT1_T2_PT3_SK_jT4_jjP12ihipStream_tbEUlT_E0_NS1_11comp_targetILNS1_3genE10ELNS1_11target_archE1201ELNS1_3gpuE5ELNS1_3repE0EEENS1_52radix_sort_onesweep_histogram_config_static_selectorELNS0_4arch9wavefront6targetE1EEEvSI_.kd
    .uniform_work_group_size: 1
    .uses_dynamic_stack: false
    .vgpr_count:     0
    .vgpr_spill_count: 0
    .wavefront_size: 64
  - .agpr_count:     0
    .args:
      - .address_space:  global
        .offset:         0
        .size:           8
        .value_kind:     global_buffer
    .group_segment_fixed_size: 0
    .kernarg_segment_align: 8
    .kernarg_segment_size: 8
    .language:       OpenCL C
    .language_version:
      - 2
      - 0
    .max_flat_workgroup_size: 256
    .name:           _ZN7rocprim17ROCPRIM_400000_NS6detail17trampoline_kernelINS0_14default_configENS1_35radix_sort_onesweep_config_selectorIsNS0_10empty_typeEEEZNS1_34radix_sort_onesweep_global_offsetsIS3_Lb0EN6thrust23THRUST_200600_302600_NS6detail15normal_iteratorINS9_10device_ptrIsEEEEPS5_jNS0_19identity_decomposerEEE10hipError_tT1_T2_PT3_SK_jT4_jjP12ihipStream_tbEUlT_E0_NS1_11comp_targetILNS1_3genE9ELNS1_11target_archE1100ELNS1_3gpuE3ELNS1_3repE0EEENS1_52radix_sort_onesweep_histogram_config_static_selectorELNS0_4arch9wavefront6targetE1EEEvSI_
    .private_segment_fixed_size: 0
    .sgpr_count:     6
    .sgpr_spill_count: 0
    .symbol:         _ZN7rocprim17ROCPRIM_400000_NS6detail17trampoline_kernelINS0_14default_configENS1_35radix_sort_onesweep_config_selectorIsNS0_10empty_typeEEEZNS1_34radix_sort_onesweep_global_offsetsIS3_Lb0EN6thrust23THRUST_200600_302600_NS6detail15normal_iteratorINS9_10device_ptrIsEEEEPS5_jNS0_19identity_decomposerEEE10hipError_tT1_T2_PT3_SK_jT4_jjP12ihipStream_tbEUlT_E0_NS1_11comp_targetILNS1_3genE9ELNS1_11target_archE1100ELNS1_3gpuE3ELNS1_3repE0EEENS1_52radix_sort_onesweep_histogram_config_static_selectorELNS0_4arch9wavefront6targetE1EEEvSI_.kd
    .uniform_work_group_size: 1
    .uses_dynamic_stack: false
    .vgpr_count:     0
    .vgpr_spill_count: 0
    .wavefront_size: 64
  - .agpr_count:     0
    .args:
      - .address_space:  global
        .offset:         0
        .size:           8
        .value_kind:     global_buffer
    .group_segment_fixed_size: 0
    .kernarg_segment_align: 8
    .kernarg_segment_size: 8
    .language:       OpenCL C
    .language_version:
      - 2
      - 0
    .max_flat_workgroup_size: 256
    .name:           _ZN7rocprim17ROCPRIM_400000_NS6detail17trampoline_kernelINS0_14default_configENS1_35radix_sort_onesweep_config_selectorIsNS0_10empty_typeEEEZNS1_34radix_sort_onesweep_global_offsetsIS3_Lb0EN6thrust23THRUST_200600_302600_NS6detail15normal_iteratorINS9_10device_ptrIsEEEEPS5_jNS0_19identity_decomposerEEE10hipError_tT1_T2_PT3_SK_jT4_jjP12ihipStream_tbEUlT_E0_NS1_11comp_targetILNS1_3genE8ELNS1_11target_archE1030ELNS1_3gpuE2ELNS1_3repE0EEENS1_52radix_sort_onesweep_histogram_config_static_selectorELNS0_4arch9wavefront6targetE1EEEvSI_
    .private_segment_fixed_size: 0
    .sgpr_count:     6
    .sgpr_spill_count: 0
    .symbol:         _ZN7rocprim17ROCPRIM_400000_NS6detail17trampoline_kernelINS0_14default_configENS1_35radix_sort_onesweep_config_selectorIsNS0_10empty_typeEEEZNS1_34radix_sort_onesweep_global_offsetsIS3_Lb0EN6thrust23THRUST_200600_302600_NS6detail15normal_iteratorINS9_10device_ptrIsEEEEPS5_jNS0_19identity_decomposerEEE10hipError_tT1_T2_PT3_SK_jT4_jjP12ihipStream_tbEUlT_E0_NS1_11comp_targetILNS1_3genE8ELNS1_11target_archE1030ELNS1_3gpuE2ELNS1_3repE0EEENS1_52radix_sort_onesweep_histogram_config_static_selectorELNS0_4arch9wavefront6targetE1EEEvSI_.kd
    .uniform_work_group_size: 1
    .uses_dynamic_stack: false
    .vgpr_count:     0
    .vgpr_spill_count: 0
    .wavefront_size: 64
  - .agpr_count:     0
    .args:
      - .offset:         0
        .size:           40
        .value_kind:     by_value
    .group_segment_fixed_size: 0
    .kernarg_segment_align: 8
    .kernarg_segment_size: 40
    .language:       OpenCL C
    .language_version:
      - 2
      - 0
    .max_flat_workgroup_size: 128
    .name:           _ZN7rocprim17ROCPRIM_400000_NS6detail17trampoline_kernelINS0_14default_configENS1_25transform_config_selectorIsLb0EEEZNS1_14transform_implILb0ES3_S5_N6thrust23THRUST_200600_302600_NS6detail15normal_iteratorINS8_10device_ptrIsEEEEPsNS0_8identityIsEEEE10hipError_tT2_T3_mT4_P12ihipStream_tbEUlT_E_NS1_11comp_targetILNS1_3genE0ELNS1_11target_archE4294967295ELNS1_3gpuE0ELNS1_3repE0EEENS1_30default_config_static_selectorELNS0_4arch9wavefront6targetE1EEEvT1_
    .private_segment_fixed_size: 0
    .sgpr_count:     6
    .sgpr_spill_count: 0
    .symbol:         _ZN7rocprim17ROCPRIM_400000_NS6detail17trampoline_kernelINS0_14default_configENS1_25transform_config_selectorIsLb0EEEZNS1_14transform_implILb0ES3_S5_N6thrust23THRUST_200600_302600_NS6detail15normal_iteratorINS8_10device_ptrIsEEEEPsNS0_8identityIsEEEE10hipError_tT2_T3_mT4_P12ihipStream_tbEUlT_E_NS1_11comp_targetILNS1_3genE0ELNS1_11target_archE4294967295ELNS1_3gpuE0ELNS1_3repE0EEENS1_30default_config_static_selectorELNS0_4arch9wavefront6targetE1EEEvT1_.kd
    .uniform_work_group_size: 1
    .uses_dynamic_stack: false
    .vgpr_count:     0
    .vgpr_spill_count: 0
    .wavefront_size: 64
  - .agpr_count:     0
    .args:
      - .offset:         0
        .size:           40
        .value_kind:     by_value
      - .offset:         40
        .size:           4
        .value_kind:     hidden_block_count_x
      - .offset:         44
        .size:           4
        .value_kind:     hidden_block_count_y
      - .offset:         48
        .size:           4
        .value_kind:     hidden_block_count_z
      - .offset:         52
        .size:           2
        .value_kind:     hidden_group_size_x
      - .offset:         54
        .size:           2
        .value_kind:     hidden_group_size_y
      - .offset:         56
        .size:           2
        .value_kind:     hidden_group_size_z
      - .offset:         58
        .size:           2
        .value_kind:     hidden_remainder_x
      - .offset:         60
        .size:           2
        .value_kind:     hidden_remainder_y
      - .offset:         62
        .size:           2
        .value_kind:     hidden_remainder_z
      - .offset:         80
        .size:           8
        .value_kind:     hidden_global_offset_x
      - .offset:         88
        .size:           8
        .value_kind:     hidden_global_offset_y
      - .offset:         96
        .size:           8
        .value_kind:     hidden_global_offset_z
      - .offset:         104
        .size:           2
        .value_kind:     hidden_grid_dims
    .group_segment_fixed_size: 0
    .kernarg_segment_align: 8
    .kernarg_segment_size: 296
    .language:       OpenCL C
    .language_version:
      - 2
      - 0
    .max_flat_workgroup_size: 256
    .name:           _ZN7rocprim17ROCPRIM_400000_NS6detail17trampoline_kernelINS0_14default_configENS1_25transform_config_selectorIsLb0EEEZNS1_14transform_implILb0ES3_S5_N6thrust23THRUST_200600_302600_NS6detail15normal_iteratorINS8_10device_ptrIsEEEEPsNS0_8identityIsEEEE10hipError_tT2_T3_mT4_P12ihipStream_tbEUlT_E_NS1_11comp_targetILNS1_3genE5ELNS1_11target_archE942ELNS1_3gpuE9ELNS1_3repE0EEENS1_30default_config_static_selectorELNS0_4arch9wavefront6targetE1EEEvT1_
    .private_segment_fixed_size: 0
    .sgpr_count:     32
    .sgpr_spill_count: 0
    .symbol:         _ZN7rocprim17ROCPRIM_400000_NS6detail17trampoline_kernelINS0_14default_configENS1_25transform_config_selectorIsLb0EEEZNS1_14transform_implILb0ES3_S5_N6thrust23THRUST_200600_302600_NS6detail15normal_iteratorINS8_10device_ptrIsEEEEPsNS0_8identityIsEEEE10hipError_tT2_T3_mT4_P12ihipStream_tbEUlT_E_NS1_11comp_targetILNS1_3genE5ELNS1_11target_archE942ELNS1_3gpuE9ELNS1_3repE0EEENS1_30default_config_static_selectorELNS0_4arch9wavefront6targetE1EEEvT1_.kd
    .uniform_work_group_size: 1
    .uses_dynamic_stack: false
    .vgpr_count:     15
    .vgpr_spill_count: 0
    .wavefront_size: 64
  - .agpr_count:     0
    .args:
      - .offset:         0
        .size:           40
        .value_kind:     by_value
    .group_segment_fixed_size: 0
    .kernarg_segment_align: 8
    .kernarg_segment_size: 40
    .language:       OpenCL C
    .language_version:
      - 2
      - 0
    .max_flat_workgroup_size: 64
    .name:           _ZN7rocprim17ROCPRIM_400000_NS6detail17trampoline_kernelINS0_14default_configENS1_25transform_config_selectorIsLb0EEEZNS1_14transform_implILb0ES3_S5_N6thrust23THRUST_200600_302600_NS6detail15normal_iteratorINS8_10device_ptrIsEEEEPsNS0_8identityIsEEEE10hipError_tT2_T3_mT4_P12ihipStream_tbEUlT_E_NS1_11comp_targetILNS1_3genE4ELNS1_11target_archE910ELNS1_3gpuE8ELNS1_3repE0EEENS1_30default_config_static_selectorELNS0_4arch9wavefront6targetE1EEEvT1_
    .private_segment_fixed_size: 0
    .sgpr_count:     6
    .sgpr_spill_count: 0
    .symbol:         _ZN7rocprim17ROCPRIM_400000_NS6detail17trampoline_kernelINS0_14default_configENS1_25transform_config_selectorIsLb0EEEZNS1_14transform_implILb0ES3_S5_N6thrust23THRUST_200600_302600_NS6detail15normal_iteratorINS8_10device_ptrIsEEEEPsNS0_8identityIsEEEE10hipError_tT2_T3_mT4_P12ihipStream_tbEUlT_E_NS1_11comp_targetILNS1_3genE4ELNS1_11target_archE910ELNS1_3gpuE8ELNS1_3repE0EEENS1_30default_config_static_selectorELNS0_4arch9wavefront6targetE1EEEvT1_.kd
    .uniform_work_group_size: 1
    .uses_dynamic_stack: false
    .vgpr_count:     0
    .vgpr_spill_count: 0
    .wavefront_size: 64
  - .agpr_count:     0
    .args:
      - .offset:         0
        .size:           40
        .value_kind:     by_value
    .group_segment_fixed_size: 0
    .kernarg_segment_align: 8
    .kernarg_segment_size: 40
    .language:       OpenCL C
    .language_version:
      - 2
      - 0
    .max_flat_workgroup_size: 128
    .name:           _ZN7rocprim17ROCPRIM_400000_NS6detail17trampoline_kernelINS0_14default_configENS1_25transform_config_selectorIsLb0EEEZNS1_14transform_implILb0ES3_S5_N6thrust23THRUST_200600_302600_NS6detail15normal_iteratorINS8_10device_ptrIsEEEEPsNS0_8identityIsEEEE10hipError_tT2_T3_mT4_P12ihipStream_tbEUlT_E_NS1_11comp_targetILNS1_3genE3ELNS1_11target_archE908ELNS1_3gpuE7ELNS1_3repE0EEENS1_30default_config_static_selectorELNS0_4arch9wavefront6targetE1EEEvT1_
    .private_segment_fixed_size: 0
    .sgpr_count:     6
    .sgpr_spill_count: 0
    .symbol:         _ZN7rocprim17ROCPRIM_400000_NS6detail17trampoline_kernelINS0_14default_configENS1_25transform_config_selectorIsLb0EEEZNS1_14transform_implILb0ES3_S5_N6thrust23THRUST_200600_302600_NS6detail15normal_iteratorINS8_10device_ptrIsEEEEPsNS0_8identityIsEEEE10hipError_tT2_T3_mT4_P12ihipStream_tbEUlT_E_NS1_11comp_targetILNS1_3genE3ELNS1_11target_archE908ELNS1_3gpuE7ELNS1_3repE0EEENS1_30default_config_static_selectorELNS0_4arch9wavefront6targetE1EEEvT1_.kd
    .uniform_work_group_size: 1
    .uses_dynamic_stack: false
    .vgpr_count:     0
    .vgpr_spill_count: 0
    .wavefront_size: 64
  - .agpr_count:     0
    .args:
      - .offset:         0
        .size:           40
        .value_kind:     by_value
    .group_segment_fixed_size: 0
    .kernarg_segment_align: 8
    .kernarg_segment_size: 40
    .language:       OpenCL C
    .language_version:
      - 2
      - 0
    .max_flat_workgroup_size: 512
    .name:           _ZN7rocprim17ROCPRIM_400000_NS6detail17trampoline_kernelINS0_14default_configENS1_25transform_config_selectorIsLb0EEEZNS1_14transform_implILb0ES3_S5_N6thrust23THRUST_200600_302600_NS6detail15normal_iteratorINS8_10device_ptrIsEEEEPsNS0_8identityIsEEEE10hipError_tT2_T3_mT4_P12ihipStream_tbEUlT_E_NS1_11comp_targetILNS1_3genE2ELNS1_11target_archE906ELNS1_3gpuE6ELNS1_3repE0EEENS1_30default_config_static_selectorELNS0_4arch9wavefront6targetE1EEEvT1_
    .private_segment_fixed_size: 0
    .sgpr_count:     6
    .sgpr_spill_count: 0
    .symbol:         _ZN7rocprim17ROCPRIM_400000_NS6detail17trampoline_kernelINS0_14default_configENS1_25transform_config_selectorIsLb0EEEZNS1_14transform_implILb0ES3_S5_N6thrust23THRUST_200600_302600_NS6detail15normal_iteratorINS8_10device_ptrIsEEEEPsNS0_8identityIsEEEE10hipError_tT2_T3_mT4_P12ihipStream_tbEUlT_E_NS1_11comp_targetILNS1_3genE2ELNS1_11target_archE906ELNS1_3gpuE6ELNS1_3repE0EEENS1_30default_config_static_selectorELNS0_4arch9wavefront6targetE1EEEvT1_.kd
    .uniform_work_group_size: 1
    .uses_dynamic_stack: false
    .vgpr_count:     0
    .vgpr_spill_count: 0
    .wavefront_size: 64
  - .agpr_count:     0
    .args:
      - .offset:         0
        .size:           40
        .value_kind:     by_value
    .group_segment_fixed_size: 0
    .kernarg_segment_align: 8
    .kernarg_segment_size: 40
    .language:       OpenCL C
    .language_version:
      - 2
      - 0
    .max_flat_workgroup_size: 1024
    .name:           _ZN7rocprim17ROCPRIM_400000_NS6detail17trampoline_kernelINS0_14default_configENS1_25transform_config_selectorIsLb0EEEZNS1_14transform_implILb0ES3_S5_N6thrust23THRUST_200600_302600_NS6detail15normal_iteratorINS8_10device_ptrIsEEEEPsNS0_8identityIsEEEE10hipError_tT2_T3_mT4_P12ihipStream_tbEUlT_E_NS1_11comp_targetILNS1_3genE10ELNS1_11target_archE1201ELNS1_3gpuE5ELNS1_3repE0EEENS1_30default_config_static_selectorELNS0_4arch9wavefront6targetE1EEEvT1_
    .private_segment_fixed_size: 0
    .sgpr_count:     6
    .sgpr_spill_count: 0
    .symbol:         _ZN7rocprim17ROCPRIM_400000_NS6detail17trampoline_kernelINS0_14default_configENS1_25transform_config_selectorIsLb0EEEZNS1_14transform_implILb0ES3_S5_N6thrust23THRUST_200600_302600_NS6detail15normal_iteratorINS8_10device_ptrIsEEEEPsNS0_8identityIsEEEE10hipError_tT2_T3_mT4_P12ihipStream_tbEUlT_E_NS1_11comp_targetILNS1_3genE10ELNS1_11target_archE1201ELNS1_3gpuE5ELNS1_3repE0EEENS1_30default_config_static_selectorELNS0_4arch9wavefront6targetE1EEEvT1_.kd
    .uniform_work_group_size: 1
    .uses_dynamic_stack: false
    .vgpr_count:     0
    .vgpr_spill_count: 0
    .wavefront_size: 64
  - .agpr_count:     0
    .args:
      - .offset:         0
        .size:           40
        .value_kind:     by_value
    .group_segment_fixed_size: 0
    .kernarg_segment_align: 8
    .kernarg_segment_size: 40
    .language:       OpenCL C
    .language_version:
      - 2
      - 0
    .max_flat_workgroup_size: 512
    .name:           _ZN7rocprim17ROCPRIM_400000_NS6detail17trampoline_kernelINS0_14default_configENS1_25transform_config_selectorIsLb0EEEZNS1_14transform_implILb0ES3_S5_N6thrust23THRUST_200600_302600_NS6detail15normal_iteratorINS8_10device_ptrIsEEEEPsNS0_8identityIsEEEE10hipError_tT2_T3_mT4_P12ihipStream_tbEUlT_E_NS1_11comp_targetILNS1_3genE10ELNS1_11target_archE1200ELNS1_3gpuE4ELNS1_3repE0EEENS1_30default_config_static_selectorELNS0_4arch9wavefront6targetE1EEEvT1_
    .private_segment_fixed_size: 0
    .sgpr_count:     6
    .sgpr_spill_count: 0
    .symbol:         _ZN7rocprim17ROCPRIM_400000_NS6detail17trampoline_kernelINS0_14default_configENS1_25transform_config_selectorIsLb0EEEZNS1_14transform_implILb0ES3_S5_N6thrust23THRUST_200600_302600_NS6detail15normal_iteratorINS8_10device_ptrIsEEEEPsNS0_8identityIsEEEE10hipError_tT2_T3_mT4_P12ihipStream_tbEUlT_E_NS1_11comp_targetILNS1_3genE10ELNS1_11target_archE1200ELNS1_3gpuE4ELNS1_3repE0EEENS1_30default_config_static_selectorELNS0_4arch9wavefront6targetE1EEEvT1_.kd
    .uniform_work_group_size: 1
    .uses_dynamic_stack: false
    .vgpr_count:     0
    .vgpr_spill_count: 0
    .wavefront_size: 64
  - .agpr_count:     0
    .args:
      - .offset:         0
        .size:           40
        .value_kind:     by_value
    .group_segment_fixed_size: 0
    .kernarg_segment_align: 8
    .kernarg_segment_size: 40
    .language:       OpenCL C
    .language_version:
      - 2
      - 0
    .max_flat_workgroup_size: 1024
    .name:           _ZN7rocprim17ROCPRIM_400000_NS6detail17trampoline_kernelINS0_14default_configENS1_25transform_config_selectorIsLb0EEEZNS1_14transform_implILb0ES3_S5_N6thrust23THRUST_200600_302600_NS6detail15normal_iteratorINS8_10device_ptrIsEEEEPsNS0_8identityIsEEEE10hipError_tT2_T3_mT4_P12ihipStream_tbEUlT_E_NS1_11comp_targetILNS1_3genE9ELNS1_11target_archE1100ELNS1_3gpuE3ELNS1_3repE0EEENS1_30default_config_static_selectorELNS0_4arch9wavefront6targetE1EEEvT1_
    .private_segment_fixed_size: 0
    .sgpr_count:     6
    .sgpr_spill_count: 0
    .symbol:         _ZN7rocprim17ROCPRIM_400000_NS6detail17trampoline_kernelINS0_14default_configENS1_25transform_config_selectorIsLb0EEEZNS1_14transform_implILb0ES3_S5_N6thrust23THRUST_200600_302600_NS6detail15normal_iteratorINS8_10device_ptrIsEEEEPsNS0_8identityIsEEEE10hipError_tT2_T3_mT4_P12ihipStream_tbEUlT_E_NS1_11comp_targetILNS1_3genE9ELNS1_11target_archE1100ELNS1_3gpuE3ELNS1_3repE0EEENS1_30default_config_static_selectorELNS0_4arch9wavefront6targetE1EEEvT1_.kd
    .uniform_work_group_size: 1
    .uses_dynamic_stack: false
    .vgpr_count:     0
    .vgpr_spill_count: 0
    .wavefront_size: 64
  - .agpr_count:     0
    .args:
      - .offset:         0
        .size:           40
        .value_kind:     by_value
    .group_segment_fixed_size: 0
    .kernarg_segment_align: 8
    .kernarg_segment_size: 40
    .language:       OpenCL C
    .language_version:
      - 2
      - 0
    .max_flat_workgroup_size: 1024
    .name:           _ZN7rocprim17ROCPRIM_400000_NS6detail17trampoline_kernelINS0_14default_configENS1_25transform_config_selectorIsLb0EEEZNS1_14transform_implILb0ES3_S5_N6thrust23THRUST_200600_302600_NS6detail15normal_iteratorINS8_10device_ptrIsEEEEPsNS0_8identityIsEEEE10hipError_tT2_T3_mT4_P12ihipStream_tbEUlT_E_NS1_11comp_targetILNS1_3genE8ELNS1_11target_archE1030ELNS1_3gpuE2ELNS1_3repE0EEENS1_30default_config_static_selectorELNS0_4arch9wavefront6targetE1EEEvT1_
    .private_segment_fixed_size: 0
    .sgpr_count:     6
    .sgpr_spill_count: 0
    .symbol:         _ZN7rocprim17ROCPRIM_400000_NS6detail17trampoline_kernelINS0_14default_configENS1_25transform_config_selectorIsLb0EEEZNS1_14transform_implILb0ES3_S5_N6thrust23THRUST_200600_302600_NS6detail15normal_iteratorINS8_10device_ptrIsEEEEPsNS0_8identityIsEEEE10hipError_tT2_T3_mT4_P12ihipStream_tbEUlT_E_NS1_11comp_targetILNS1_3genE8ELNS1_11target_archE1030ELNS1_3gpuE2ELNS1_3repE0EEENS1_30default_config_static_selectorELNS0_4arch9wavefront6targetE1EEEvT1_.kd
    .uniform_work_group_size: 1
    .uses_dynamic_stack: false
    .vgpr_count:     0
    .vgpr_spill_count: 0
    .wavefront_size: 64
  - .agpr_count:     0
    .args:
      - .offset:         0
        .size:           88
        .value_kind:     by_value
    .group_segment_fixed_size: 0
    .kernarg_segment_align: 8
    .kernarg_segment_size: 88
    .language:       OpenCL C
    .language_version:
      - 2
      - 0
    .max_flat_workgroup_size: 512
    .name:           _ZN7rocprim17ROCPRIM_400000_NS6detail17trampoline_kernelINS0_14default_configENS1_35radix_sort_onesweep_config_selectorIsNS0_10empty_typeEEEZZNS1_29radix_sort_onesweep_iterationIS3_Lb0EN6thrust23THRUST_200600_302600_NS6detail15normal_iteratorINS9_10device_ptrIsEEEESE_PS5_SF_jNS0_19identity_decomposerENS1_16block_id_wrapperIjLb1EEEEE10hipError_tT1_PNSt15iterator_traitsISK_E10value_typeET2_T3_PNSL_ISQ_E10value_typeET4_T5_PSV_SW_PNS1_23onesweep_lookback_stateEbbT6_jjT7_P12ihipStream_tbENKUlT_T0_SK_SP_E_clISE_SE_SF_SF_EEDaS13_S14_SK_SP_EUlS13_E_NS1_11comp_targetILNS1_3genE0ELNS1_11target_archE4294967295ELNS1_3gpuE0ELNS1_3repE0EEENS1_47radix_sort_onesweep_sort_config_static_selectorELNS0_4arch9wavefront6targetE1EEEvSK_
    .private_segment_fixed_size: 0
    .sgpr_count:     6
    .sgpr_spill_count: 0
    .symbol:         _ZN7rocprim17ROCPRIM_400000_NS6detail17trampoline_kernelINS0_14default_configENS1_35radix_sort_onesweep_config_selectorIsNS0_10empty_typeEEEZZNS1_29radix_sort_onesweep_iterationIS3_Lb0EN6thrust23THRUST_200600_302600_NS6detail15normal_iteratorINS9_10device_ptrIsEEEESE_PS5_SF_jNS0_19identity_decomposerENS1_16block_id_wrapperIjLb1EEEEE10hipError_tT1_PNSt15iterator_traitsISK_E10value_typeET2_T3_PNSL_ISQ_E10value_typeET4_T5_PSV_SW_PNS1_23onesweep_lookback_stateEbbT6_jjT7_P12ihipStream_tbENKUlT_T0_SK_SP_E_clISE_SE_SF_SF_EEDaS13_S14_SK_SP_EUlS13_E_NS1_11comp_targetILNS1_3genE0ELNS1_11target_archE4294967295ELNS1_3gpuE0ELNS1_3repE0EEENS1_47radix_sort_onesweep_sort_config_static_selectorELNS0_4arch9wavefront6targetE1EEEvSK_.kd
    .uniform_work_group_size: 1
    .uses_dynamic_stack: false
    .vgpr_count:     0
    .vgpr_spill_count: 0
    .wavefront_size: 64
  - .agpr_count:     0
    .args:
      - .offset:         0
        .size:           88
        .value_kind:     by_value
    .group_segment_fixed_size: 0
    .kernarg_segment_align: 8
    .kernarg_segment_size: 88
    .language:       OpenCL C
    .language_version:
      - 2
      - 0
    .max_flat_workgroup_size: 1024
    .name:           _ZN7rocprim17ROCPRIM_400000_NS6detail17trampoline_kernelINS0_14default_configENS1_35radix_sort_onesweep_config_selectorIsNS0_10empty_typeEEEZZNS1_29radix_sort_onesweep_iterationIS3_Lb0EN6thrust23THRUST_200600_302600_NS6detail15normal_iteratorINS9_10device_ptrIsEEEESE_PS5_SF_jNS0_19identity_decomposerENS1_16block_id_wrapperIjLb1EEEEE10hipError_tT1_PNSt15iterator_traitsISK_E10value_typeET2_T3_PNSL_ISQ_E10value_typeET4_T5_PSV_SW_PNS1_23onesweep_lookback_stateEbbT6_jjT7_P12ihipStream_tbENKUlT_T0_SK_SP_E_clISE_SE_SF_SF_EEDaS13_S14_SK_SP_EUlS13_E_NS1_11comp_targetILNS1_3genE6ELNS1_11target_archE950ELNS1_3gpuE13ELNS1_3repE0EEENS1_47radix_sort_onesweep_sort_config_static_selectorELNS0_4arch9wavefront6targetE1EEEvSK_
    .private_segment_fixed_size: 0
    .sgpr_count:     6
    .sgpr_spill_count: 0
    .symbol:         _ZN7rocprim17ROCPRIM_400000_NS6detail17trampoline_kernelINS0_14default_configENS1_35radix_sort_onesweep_config_selectorIsNS0_10empty_typeEEEZZNS1_29radix_sort_onesweep_iterationIS3_Lb0EN6thrust23THRUST_200600_302600_NS6detail15normal_iteratorINS9_10device_ptrIsEEEESE_PS5_SF_jNS0_19identity_decomposerENS1_16block_id_wrapperIjLb1EEEEE10hipError_tT1_PNSt15iterator_traitsISK_E10value_typeET2_T3_PNSL_ISQ_E10value_typeET4_T5_PSV_SW_PNS1_23onesweep_lookback_stateEbbT6_jjT7_P12ihipStream_tbENKUlT_T0_SK_SP_E_clISE_SE_SF_SF_EEDaS13_S14_SK_SP_EUlS13_E_NS1_11comp_targetILNS1_3genE6ELNS1_11target_archE950ELNS1_3gpuE13ELNS1_3repE0EEENS1_47radix_sort_onesweep_sort_config_static_selectorELNS0_4arch9wavefront6targetE1EEEvSK_.kd
    .uniform_work_group_size: 1
    .uses_dynamic_stack: false
    .vgpr_count:     0
    .vgpr_spill_count: 0
    .wavefront_size: 64
  - .agpr_count:     0
    .args:
      - .offset:         0
        .size:           88
        .value_kind:     by_value
      - .offset:         88
        .size:           4
        .value_kind:     hidden_block_count_x
      - .offset:         92
        .size:           4
        .value_kind:     hidden_block_count_y
      - .offset:         96
        .size:           4
        .value_kind:     hidden_block_count_z
      - .offset:         100
        .size:           2
        .value_kind:     hidden_group_size_x
      - .offset:         102
        .size:           2
        .value_kind:     hidden_group_size_y
      - .offset:         104
        .size:           2
        .value_kind:     hidden_group_size_z
      - .offset:         106
        .size:           2
        .value_kind:     hidden_remainder_x
      - .offset:         108
        .size:           2
        .value_kind:     hidden_remainder_y
      - .offset:         110
        .size:           2
        .value_kind:     hidden_remainder_z
      - .offset:         128
        .size:           8
        .value_kind:     hidden_global_offset_x
      - .offset:         136
        .size:           8
        .value_kind:     hidden_global_offset_y
      - .offset:         144
        .size:           8
        .value_kind:     hidden_global_offset_z
      - .offset:         152
        .size:           2
        .value_kind:     hidden_grid_dims
    .group_segment_fixed_size: 25608
    .kernarg_segment_align: 8
    .kernarg_segment_size: 344
    .language:       OpenCL C
    .language_version:
      - 2
      - 0
    .max_flat_workgroup_size: 1024
    .name:           _ZN7rocprim17ROCPRIM_400000_NS6detail17trampoline_kernelINS0_14default_configENS1_35radix_sort_onesweep_config_selectorIsNS0_10empty_typeEEEZZNS1_29radix_sort_onesweep_iterationIS3_Lb0EN6thrust23THRUST_200600_302600_NS6detail15normal_iteratorINS9_10device_ptrIsEEEESE_PS5_SF_jNS0_19identity_decomposerENS1_16block_id_wrapperIjLb1EEEEE10hipError_tT1_PNSt15iterator_traitsISK_E10value_typeET2_T3_PNSL_ISQ_E10value_typeET4_T5_PSV_SW_PNS1_23onesweep_lookback_stateEbbT6_jjT7_P12ihipStream_tbENKUlT_T0_SK_SP_E_clISE_SE_SF_SF_EEDaS13_S14_SK_SP_EUlS13_E_NS1_11comp_targetILNS1_3genE5ELNS1_11target_archE942ELNS1_3gpuE9ELNS1_3repE0EEENS1_47radix_sort_onesweep_sort_config_static_selectorELNS0_4arch9wavefront6targetE1EEEvSK_
    .private_segment_fixed_size: 0
    .sgpr_count:     42
    .sgpr_spill_count: 0
    .symbol:         _ZN7rocprim17ROCPRIM_400000_NS6detail17trampoline_kernelINS0_14default_configENS1_35radix_sort_onesweep_config_selectorIsNS0_10empty_typeEEEZZNS1_29radix_sort_onesweep_iterationIS3_Lb0EN6thrust23THRUST_200600_302600_NS6detail15normal_iteratorINS9_10device_ptrIsEEEESE_PS5_SF_jNS0_19identity_decomposerENS1_16block_id_wrapperIjLb1EEEEE10hipError_tT1_PNSt15iterator_traitsISK_E10value_typeET2_T3_PNSL_ISQ_E10value_typeET4_T5_PSV_SW_PNS1_23onesweep_lookback_stateEbbT6_jjT7_P12ihipStream_tbENKUlT_T0_SK_SP_E_clISE_SE_SF_SF_EEDaS13_S14_SK_SP_EUlS13_E_NS1_11comp_targetILNS1_3genE5ELNS1_11target_archE942ELNS1_3gpuE9ELNS1_3repE0EEENS1_47radix_sort_onesweep_sort_config_static_selectorELNS0_4arch9wavefront6targetE1EEEvSK_.kd
    .uniform_work_group_size: 1
    .uses_dynamic_stack: false
    .vgpr_count:     62
    .vgpr_spill_count: 0
    .wavefront_size: 64
  - .agpr_count:     0
    .args:
      - .offset:         0
        .size:           88
        .value_kind:     by_value
    .group_segment_fixed_size: 0
    .kernarg_segment_align: 8
    .kernarg_segment_size: 88
    .language:       OpenCL C
    .language_version:
      - 2
      - 0
    .max_flat_workgroup_size: 512
    .name:           _ZN7rocprim17ROCPRIM_400000_NS6detail17trampoline_kernelINS0_14default_configENS1_35radix_sort_onesweep_config_selectorIsNS0_10empty_typeEEEZZNS1_29radix_sort_onesweep_iterationIS3_Lb0EN6thrust23THRUST_200600_302600_NS6detail15normal_iteratorINS9_10device_ptrIsEEEESE_PS5_SF_jNS0_19identity_decomposerENS1_16block_id_wrapperIjLb1EEEEE10hipError_tT1_PNSt15iterator_traitsISK_E10value_typeET2_T3_PNSL_ISQ_E10value_typeET4_T5_PSV_SW_PNS1_23onesweep_lookback_stateEbbT6_jjT7_P12ihipStream_tbENKUlT_T0_SK_SP_E_clISE_SE_SF_SF_EEDaS13_S14_SK_SP_EUlS13_E_NS1_11comp_targetILNS1_3genE2ELNS1_11target_archE906ELNS1_3gpuE6ELNS1_3repE0EEENS1_47radix_sort_onesweep_sort_config_static_selectorELNS0_4arch9wavefront6targetE1EEEvSK_
    .private_segment_fixed_size: 0
    .sgpr_count:     6
    .sgpr_spill_count: 0
    .symbol:         _ZN7rocprim17ROCPRIM_400000_NS6detail17trampoline_kernelINS0_14default_configENS1_35radix_sort_onesweep_config_selectorIsNS0_10empty_typeEEEZZNS1_29radix_sort_onesweep_iterationIS3_Lb0EN6thrust23THRUST_200600_302600_NS6detail15normal_iteratorINS9_10device_ptrIsEEEESE_PS5_SF_jNS0_19identity_decomposerENS1_16block_id_wrapperIjLb1EEEEE10hipError_tT1_PNSt15iterator_traitsISK_E10value_typeET2_T3_PNSL_ISQ_E10value_typeET4_T5_PSV_SW_PNS1_23onesweep_lookback_stateEbbT6_jjT7_P12ihipStream_tbENKUlT_T0_SK_SP_E_clISE_SE_SF_SF_EEDaS13_S14_SK_SP_EUlS13_E_NS1_11comp_targetILNS1_3genE2ELNS1_11target_archE906ELNS1_3gpuE6ELNS1_3repE0EEENS1_47radix_sort_onesweep_sort_config_static_selectorELNS0_4arch9wavefront6targetE1EEEvSK_.kd
    .uniform_work_group_size: 1
    .uses_dynamic_stack: false
    .vgpr_count:     0
    .vgpr_spill_count: 0
    .wavefront_size: 64
  - .agpr_count:     0
    .args:
      - .offset:         0
        .size:           88
        .value_kind:     by_value
    .group_segment_fixed_size: 0
    .kernarg_segment_align: 8
    .kernarg_segment_size: 88
    .language:       OpenCL C
    .language_version:
      - 2
      - 0
    .max_flat_workgroup_size: 1024
    .name:           _ZN7rocprim17ROCPRIM_400000_NS6detail17trampoline_kernelINS0_14default_configENS1_35radix_sort_onesweep_config_selectorIsNS0_10empty_typeEEEZZNS1_29radix_sort_onesweep_iterationIS3_Lb0EN6thrust23THRUST_200600_302600_NS6detail15normal_iteratorINS9_10device_ptrIsEEEESE_PS5_SF_jNS0_19identity_decomposerENS1_16block_id_wrapperIjLb1EEEEE10hipError_tT1_PNSt15iterator_traitsISK_E10value_typeET2_T3_PNSL_ISQ_E10value_typeET4_T5_PSV_SW_PNS1_23onesweep_lookback_stateEbbT6_jjT7_P12ihipStream_tbENKUlT_T0_SK_SP_E_clISE_SE_SF_SF_EEDaS13_S14_SK_SP_EUlS13_E_NS1_11comp_targetILNS1_3genE4ELNS1_11target_archE910ELNS1_3gpuE8ELNS1_3repE0EEENS1_47radix_sort_onesweep_sort_config_static_selectorELNS0_4arch9wavefront6targetE1EEEvSK_
    .private_segment_fixed_size: 0
    .sgpr_count:     6
    .sgpr_spill_count: 0
    .symbol:         _ZN7rocprim17ROCPRIM_400000_NS6detail17trampoline_kernelINS0_14default_configENS1_35radix_sort_onesweep_config_selectorIsNS0_10empty_typeEEEZZNS1_29radix_sort_onesweep_iterationIS3_Lb0EN6thrust23THRUST_200600_302600_NS6detail15normal_iteratorINS9_10device_ptrIsEEEESE_PS5_SF_jNS0_19identity_decomposerENS1_16block_id_wrapperIjLb1EEEEE10hipError_tT1_PNSt15iterator_traitsISK_E10value_typeET2_T3_PNSL_ISQ_E10value_typeET4_T5_PSV_SW_PNS1_23onesweep_lookback_stateEbbT6_jjT7_P12ihipStream_tbENKUlT_T0_SK_SP_E_clISE_SE_SF_SF_EEDaS13_S14_SK_SP_EUlS13_E_NS1_11comp_targetILNS1_3genE4ELNS1_11target_archE910ELNS1_3gpuE8ELNS1_3repE0EEENS1_47radix_sort_onesweep_sort_config_static_selectorELNS0_4arch9wavefront6targetE1EEEvSK_.kd
    .uniform_work_group_size: 1
    .uses_dynamic_stack: false
    .vgpr_count:     0
    .vgpr_spill_count: 0
    .wavefront_size: 64
  - .agpr_count:     0
    .args:
      - .offset:         0
        .size:           88
        .value_kind:     by_value
    .group_segment_fixed_size: 0
    .kernarg_segment_align: 8
    .kernarg_segment_size: 88
    .language:       OpenCL C
    .language_version:
      - 2
      - 0
    .max_flat_workgroup_size: 512
    .name:           _ZN7rocprim17ROCPRIM_400000_NS6detail17trampoline_kernelINS0_14default_configENS1_35radix_sort_onesweep_config_selectorIsNS0_10empty_typeEEEZZNS1_29radix_sort_onesweep_iterationIS3_Lb0EN6thrust23THRUST_200600_302600_NS6detail15normal_iteratorINS9_10device_ptrIsEEEESE_PS5_SF_jNS0_19identity_decomposerENS1_16block_id_wrapperIjLb1EEEEE10hipError_tT1_PNSt15iterator_traitsISK_E10value_typeET2_T3_PNSL_ISQ_E10value_typeET4_T5_PSV_SW_PNS1_23onesweep_lookback_stateEbbT6_jjT7_P12ihipStream_tbENKUlT_T0_SK_SP_E_clISE_SE_SF_SF_EEDaS13_S14_SK_SP_EUlS13_E_NS1_11comp_targetILNS1_3genE3ELNS1_11target_archE908ELNS1_3gpuE7ELNS1_3repE0EEENS1_47radix_sort_onesweep_sort_config_static_selectorELNS0_4arch9wavefront6targetE1EEEvSK_
    .private_segment_fixed_size: 0
    .sgpr_count:     6
    .sgpr_spill_count: 0
    .symbol:         _ZN7rocprim17ROCPRIM_400000_NS6detail17trampoline_kernelINS0_14default_configENS1_35radix_sort_onesweep_config_selectorIsNS0_10empty_typeEEEZZNS1_29radix_sort_onesweep_iterationIS3_Lb0EN6thrust23THRUST_200600_302600_NS6detail15normal_iteratorINS9_10device_ptrIsEEEESE_PS5_SF_jNS0_19identity_decomposerENS1_16block_id_wrapperIjLb1EEEEE10hipError_tT1_PNSt15iterator_traitsISK_E10value_typeET2_T3_PNSL_ISQ_E10value_typeET4_T5_PSV_SW_PNS1_23onesweep_lookback_stateEbbT6_jjT7_P12ihipStream_tbENKUlT_T0_SK_SP_E_clISE_SE_SF_SF_EEDaS13_S14_SK_SP_EUlS13_E_NS1_11comp_targetILNS1_3genE3ELNS1_11target_archE908ELNS1_3gpuE7ELNS1_3repE0EEENS1_47radix_sort_onesweep_sort_config_static_selectorELNS0_4arch9wavefront6targetE1EEEvSK_.kd
    .uniform_work_group_size: 1
    .uses_dynamic_stack: false
    .vgpr_count:     0
    .vgpr_spill_count: 0
    .wavefront_size: 64
  - .agpr_count:     0
    .args:
      - .offset:         0
        .size:           88
        .value_kind:     by_value
    .group_segment_fixed_size: 0
    .kernarg_segment_align: 8
    .kernarg_segment_size: 88
    .language:       OpenCL C
    .language_version:
      - 2
      - 0
    .max_flat_workgroup_size: 256
    .name:           _ZN7rocprim17ROCPRIM_400000_NS6detail17trampoline_kernelINS0_14default_configENS1_35radix_sort_onesweep_config_selectorIsNS0_10empty_typeEEEZZNS1_29radix_sort_onesweep_iterationIS3_Lb0EN6thrust23THRUST_200600_302600_NS6detail15normal_iteratorINS9_10device_ptrIsEEEESE_PS5_SF_jNS0_19identity_decomposerENS1_16block_id_wrapperIjLb1EEEEE10hipError_tT1_PNSt15iterator_traitsISK_E10value_typeET2_T3_PNSL_ISQ_E10value_typeET4_T5_PSV_SW_PNS1_23onesweep_lookback_stateEbbT6_jjT7_P12ihipStream_tbENKUlT_T0_SK_SP_E_clISE_SE_SF_SF_EEDaS13_S14_SK_SP_EUlS13_E_NS1_11comp_targetILNS1_3genE10ELNS1_11target_archE1201ELNS1_3gpuE5ELNS1_3repE0EEENS1_47radix_sort_onesweep_sort_config_static_selectorELNS0_4arch9wavefront6targetE1EEEvSK_
    .private_segment_fixed_size: 0
    .sgpr_count:     6
    .sgpr_spill_count: 0
    .symbol:         _ZN7rocprim17ROCPRIM_400000_NS6detail17trampoline_kernelINS0_14default_configENS1_35radix_sort_onesweep_config_selectorIsNS0_10empty_typeEEEZZNS1_29radix_sort_onesweep_iterationIS3_Lb0EN6thrust23THRUST_200600_302600_NS6detail15normal_iteratorINS9_10device_ptrIsEEEESE_PS5_SF_jNS0_19identity_decomposerENS1_16block_id_wrapperIjLb1EEEEE10hipError_tT1_PNSt15iterator_traitsISK_E10value_typeET2_T3_PNSL_ISQ_E10value_typeET4_T5_PSV_SW_PNS1_23onesweep_lookback_stateEbbT6_jjT7_P12ihipStream_tbENKUlT_T0_SK_SP_E_clISE_SE_SF_SF_EEDaS13_S14_SK_SP_EUlS13_E_NS1_11comp_targetILNS1_3genE10ELNS1_11target_archE1201ELNS1_3gpuE5ELNS1_3repE0EEENS1_47radix_sort_onesweep_sort_config_static_selectorELNS0_4arch9wavefront6targetE1EEEvSK_.kd
    .uniform_work_group_size: 1
    .uses_dynamic_stack: false
    .vgpr_count:     0
    .vgpr_spill_count: 0
    .wavefront_size: 64
  - .agpr_count:     0
    .args:
      - .offset:         0
        .size:           88
        .value_kind:     by_value
    .group_segment_fixed_size: 0
    .kernarg_segment_align: 8
    .kernarg_segment_size: 88
    .language:       OpenCL C
    .language_version:
      - 2
      - 0
    .max_flat_workgroup_size: 256
    .name:           _ZN7rocprim17ROCPRIM_400000_NS6detail17trampoline_kernelINS0_14default_configENS1_35radix_sort_onesweep_config_selectorIsNS0_10empty_typeEEEZZNS1_29radix_sort_onesweep_iterationIS3_Lb0EN6thrust23THRUST_200600_302600_NS6detail15normal_iteratorINS9_10device_ptrIsEEEESE_PS5_SF_jNS0_19identity_decomposerENS1_16block_id_wrapperIjLb1EEEEE10hipError_tT1_PNSt15iterator_traitsISK_E10value_typeET2_T3_PNSL_ISQ_E10value_typeET4_T5_PSV_SW_PNS1_23onesweep_lookback_stateEbbT6_jjT7_P12ihipStream_tbENKUlT_T0_SK_SP_E_clISE_SE_SF_SF_EEDaS13_S14_SK_SP_EUlS13_E_NS1_11comp_targetILNS1_3genE9ELNS1_11target_archE1100ELNS1_3gpuE3ELNS1_3repE0EEENS1_47radix_sort_onesweep_sort_config_static_selectorELNS0_4arch9wavefront6targetE1EEEvSK_
    .private_segment_fixed_size: 0
    .sgpr_count:     6
    .sgpr_spill_count: 0
    .symbol:         _ZN7rocprim17ROCPRIM_400000_NS6detail17trampoline_kernelINS0_14default_configENS1_35radix_sort_onesweep_config_selectorIsNS0_10empty_typeEEEZZNS1_29radix_sort_onesweep_iterationIS3_Lb0EN6thrust23THRUST_200600_302600_NS6detail15normal_iteratorINS9_10device_ptrIsEEEESE_PS5_SF_jNS0_19identity_decomposerENS1_16block_id_wrapperIjLb1EEEEE10hipError_tT1_PNSt15iterator_traitsISK_E10value_typeET2_T3_PNSL_ISQ_E10value_typeET4_T5_PSV_SW_PNS1_23onesweep_lookback_stateEbbT6_jjT7_P12ihipStream_tbENKUlT_T0_SK_SP_E_clISE_SE_SF_SF_EEDaS13_S14_SK_SP_EUlS13_E_NS1_11comp_targetILNS1_3genE9ELNS1_11target_archE1100ELNS1_3gpuE3ELNS1_3repE0EEENS1_47radix_sort_onesweep_sort_config_static_selectorELNS0_4arch9wavefront6targetE1EEEvSK_.kd
    .uniform_work_group_size: 1
    .uses_dynamic_stack: false
    .vgpr_count:     0
    .vgpr_spill_count: 0
    .wavefront_size: 64
  - .agpr_count:     0
    .args:
      - .offset:         0
        .size:           88
        .value_kind:     by_value
    .group_segment_fixed_size: 0
    .kernarg_segment_align: 8
    .kernarg_segment_size: 88
    .language:       OpenCL C
    .language_version:
      - 2
      - 0
    .max_flat_workgroup_size: 256
    .name:           _ZN7rocprim17ROCPRIM_400000_NS6detail17trampoline_kernelINS0_14default_configENS1_35radix_sort_onesweep_config_selectorIsNS0_10empty_typeEEEZZNS1_29radix_sort_onesweep_iterationIS3_Lb0EN6thrust23THRUST_200600_302600_NS6detail15normal_iteratorINS9_10device_ptrIsEEEESE_PS5_SF_jNS0_19identity_decomposerENS1_16block_id_wrapperIjLb1EEEEE10hipError_tT1_PNSt15iterator_traitsISK_E10value_typeET2_T3_PNSL_ISQ_E10value_typeET4_T5_PSV_SW_PNS1_23onesweep_lookback_stateEbbT6_jjT7_P12ihipStream_tbENKUlT_T0_SK_SP_E_clISE_SE_SF_SF_EEDaS13_S14_SK_SP_EUlS13_E_NS1_11comp_targetILNS1_3genE8ELNS1_11target_archE1030ELNS1_3gpuE2ELNS1_3repE0EEENS1_47radix_sort_onesweep_sort_config_static_selectorELNS0_4arch9wavefront6targetE1EEEvSK_
    .private_segment_fixed_size: 0
    .sgpr_count:     6
    .sgpr_spill_count: 0
    .symbol:         _ZN7rocprim17ROCPRIM_400000_NS6detail17trampoline_kernelINS0_14default_configENS1_35radix_sort_onesweep_config_selectorIsNS0_10empty_typeEEEZZNS1_29radix_sort_onesweep_iterationIS3_Lb0EN6thrust23THRUST_200600_302600_NS6detail15normal_iteratorINS9_10device_ptrIsEEEESE_PS5_SF_jNS0_19identity_decomposerENS1_16block_id_wrapperIjLb1EEEEE10hipError_tT1_PNSt15iterator_traitsISK_E10value_typeET2_T3_PNSL_ISQ_E10value_typeET4_T5_PSV_SW_PNS1_23onesweep_lookback_stateEbbT6_jjT7_P12ihipStream_tbENKUlT_T0_SK_SP_E_clISE_SE_SF_SF_EEDaS13_S14_SK_SP_EUlS13_E_NS1_11comp_targetILNS1_3genE8ELNS1_11target_archE1030ELNS1_3gpuE2ELNS1_3repE0EEENS1_47radix_sort_onesweep_sort_config_static_selectorELNS0_4arch9wavefront6targetE1EEEvSK_.kd
    .uniform_work_group_size: 1
    .uses_dynamic_stack: false
    .vgpr_count:     0
    .vgpr_spill_count: 0
    .wavefront_size: 64
  - .agpr_count:     0
    .args:
      - .offset:         0
        .size:           88
        .value_kind:     by_value
    .group_segment_fixed_size: 0
    .kernarg_segment_align: 8
    .kernarg_segment_size: 88
    .language:       OpenCL C
    .language_version:
      - 2
      - 0
    .max_flat_workgroup_size: 512
    .name:           _ZN7rocprim17ROCPRIM_400000_NS6detail17trampoline_kernelINS0_14default_configENS1_35radix_sort_onesweep_config_selectorIsNS0_10empty_typeEEEZZNS1_29radix_sort_onesweep_iterationIS3_Lb0EN6thrust23THRUST_200600_302600_NS6detail15normal_iteratorINS9_10device_ptrIsEEEESE_PS5_SF_jNS0_19identity_decomposerENS1_16block_id_wrapperIjLb1EEEEE10hipError_tT1_PNSt15iterator_traitsISK_E10value_typeET2_T3_PNSL_ISQ_E10value_typeET4_T5_PSV_SW_PNS1_23onesweep_lookback_stateEbbT6_jjT7_P12ihipStream_tbENKUlT_T0_SK_SP_E_clISE_PsSF_SF_EEDaS13_S14_SK_SP_EUlS13_E_NS1_11comp_targetILNS1_3genE0ELNS1_11target_archE4294967295ELNS1_3gpuE0ELNS1_3repE0EEENS1_47radix_sort_onesweep_sort_config_static_selectorELNS0_4arch9wavefront6targetE1EEEvSK_
    .private_segment_fixed_size: 0
    .sgpr_count:     6
    .sgpr_spill_count: 0
    .symbol:         _ZN7rocprim17ROCPRIM_400000_NS6detail17trampoline_kernelINS0_14default_configENS1_35radix_sort_onesweep_config_selectorIsNS0_10empty_typeEEEZZNS1_29radix_sort_onesweep_iterationIS3_Lb0EN6thrust23THRUST_200600_302600_NS6detail15normal_iteratorINS9_10device_ptrIsEEEESE_PS5_SF_jNS0_19identity_decomposerENS1_16block_id_wrapperIjLb1EEEEE10hipError_tT1_PNSt15iterator_traitsISK_E10value_typeET2_T3_PNSL_ISQ_E10value_typeET4_T5_PSV_SW_PNS1_23onesweep_lookback_stateEbbT6_jjT7_P12ihipStream_tbENKUlT_T0_SK_SP_E_clISE_PsSF_SF_EEDaS13_S14_SK_SP_EUlS13_E_NS1_11comp_targetILNS1_3genE0ELNS1_11target_archE4294967295ELNS1_3gpuE0ELNS1_3repE0EEENS1_47radix_sort_onesweep_sort_config_static_selectorELNS0_4arch9wavefront6targetE1EEEvSK_.kd
    .uniform_work_group_size: 1
    .uses_dynamic_stack: false
    .vgpr_count:     0
    .vgpr_spill_count: 0
    .wavefront_size: 64
  - .agpr_count:     0
    .args:
      - .offset:         0
        .size:           88
        .value_kind:     by_value
    .group_segment_fixed_size: 0
    .kernarg_segment_align: 8
    .kernarg_segment_size: 88
    .language:       OpenCL C
    .language_version:
      - 2
      - 0
    .max_flat_workgroup_size: 1024
    .name:           _ZN7rocprim17ROCPRIM_400000_NS6detail17trampoline_kernelINS0_14default_configENS1_35radix_sort_onesweep_config_selectorIsNS0_10empty_typeEEEZZNS1_29radix_sort_onesweep_iterationIS3_Lb0EN6thrust23THRUST_200600_302600_NS6detail15normal_iteratorINS9_10device_ptrIsEEEESE_PS5_SF_jNS0_19identity_decomposerENS1_16block_id_wrapperIjLb1EEEEE10hipError_tT1_PNSt15iterator_traitsISK_E10value_typeET2_T3_PNSL_ISQ_E10value_typeET4_T5_PSV_SW_PNS1_23onesweep_lookback_stateEbbT6_jjT7_P12ihipStream_tbENKUlT_T0_SK_SP_E_clISE_PsSF_SF_EEDaS13_S14_SK_SP_EUlS13_E_NS1_11comp_targetILNS1_3genE6ELNS1_11target_archE950ELNS1_3gpuE13ELNS1_3repE0EEENS1_47radix_sort_onesweep_sort_config_static_selectorELNS0_4arch9wavefront6targetE1EEEvSK_
    .private_segment_fixed_size: 0
    .sgpr_count:     6
    .sgpr_spill_count: 0
    .symbol:         _ZN7rocprim17ROCPRIM_400000_NS6detail17trampoline_kernelINS0_14default_configENS1_35radix_sort_onesweep_config_selectorIsNS0_10empty_typeEEEZZNS1_29radix_sort_onesweep_iterationIS3_Lb0EN6thrust23THRUST_200600_302600_NS6detail15normal_iteratorINS9_10device_ptrIsEEEESE_PS5_SF_jNS0_19identity_decomposerENS1_16block_id_wrapperIjLb1EEEEE10hipError_tT1_PNSt15iterator_traitsISK_E10value_typeET2_T3_PNSL_ISQ_E10value_typeET4_T5_PSV_SW_PNS1_23onesweep_lookback_stateEbbT6_jjT7_P12ihipStream_tbENKUlT_T0_SK_SP_E_clISE_PsSF_SF_EEDaS13_S14_SK_SP_EUlS13_E_NS1_11comp_targetILNS1_3genE6ELNS1_11target_archE950ELNS1_3gpuE13ELNS1_3repE0EEENS1_47radix_sort_onesweep_sort_config_static_selectorELNS0_4arch9wavefront6targetE1EEEvSK_.kd
    .uniform_work_group_size: 1
    .uses_dynamic_stack: false
    .vgpr_count:     0
    .vgpr_spill_count: 0
    .wavefront_size: 64
  - .agpr_count:     0
    .args:
      - .offset:         0
        .size:           88
        .value_kind:     by_value
      - .offset:         88
        .size:           4
        .value_kind:     hidden_block_count_x
      - .offset:         92
        .size:           4
        .value_kind:     hidden_block_count_y
      - .offset:         96
        .size:           4
        .value_kind:     hidden_block_count_z
      - .offset:         100
        .size:           2
        .value_kind:     hidden_group_size_x
      - .offset:         102
        .size:           2
        .value_kind:     hidden_group_size_y
      - .offset:         104
        .size:           2
        .value_kind:     hidden_group_size_z
      - .offset:         106
        .size:           2
        .value_kind:     hidden_remainder_x
      - .offset:         108
        .size:           2
        .value_kind:     hidden_remainder_y
      - .offset:         110
        .size:           2
        .value_kind:     hidden_remainder_z
      - .offset:         128
        .size:           8
        .value_kind:     hidden_global_offset_x
      - .offset:         136
        .size:           8
        .value_kind:     hidden_global_offset_y
      - .offset:         144
        .size:           8
        .value_kind:     hidden_global_offset_z
      - .offset:         152
        .size:           2
        .value_kind:     hidden_grid_dims
    .group_segment_fixed_size: 25608
    .kernarg_segment_align: 8
    .kernarg_segment_size: 344
    .language:       OpenCL C
    .language_version:
      - 2
      - 0
    .max_flat_workgroup_size: 1024
    .name:           _ZN7rocprim17ROCPRIM_400000_NS6detail17trampoline_kernelINS0_14default_configENS1_35radix_sort_onesweep_config_selectorIsNS0_10empty_typeEEEZZNS1_29radix_sort_onesweep_iterationIS3_Lb0EN6thrust23THRUST_200600_302600_NS6detail15normal_iteratorINS9_10device_ptrIsEEEESE_PS5_SF_jNS0_19identity_decomposerENS1_16block_id_wrapperIjLb1EEEEE10hipError_tT1_PNSt15iterator_traitsISK_E10value_typeET2_T3_PNSL_ISQ_E10value_typeET4_T5_PSV_SW_PNS1_23onesweep_lookback_stateEbbT6_jjT7_P12ihipStream_tbENKUlT_T0_SK_SP_E_clISE_PsSF_SF_EEDaS13_S14_SK_SP_EUlS13_E_NS1_11comp_targetILNS1_3genE5ELNS1_11target_archE942ELNS1_3gpuE9ELNS1_3repE0EEENS1_47radix_sort_onesweep_sort_config_static_selectorELNS0_4arch9wavefront6targetE1EEEvSK_
    .private_segment_fixed_size: 0
    .sgpr_count:     42
    .sgpr_spill_count: 0
    .symbol:         _ZN7rocprim17ROCPRIM_400000_NS6detail17trampoline_kernelINS0_14default_configENS1_35radix_sort_onesweep_config_selectorIsNS0_10empty_typeEEEZZNS1_29radix_sort_onesweep_iterationIS3_Lb0EN6thrust23THRUST_200600_302600_NS6detail15normal_iteratorINS9_10device_ptrIsEEEESE_PS5_SF_jNS0_19identity_decomposerENS1_16block_id_wrapperIjLb1EEEEE10hipError_tT1_PNSt15iterator_traitsISK_E10value_typeET2_T3_PNSL_ISQ_E10value_typeET4_T5_PSV_SW_PNS1_23onesweep_lookback_stateEbbT6_jjT7_P12ihipStream_tbENKUlT_T0_SK_SP_E_clISE_PsSF_SF_EEDaS13_S14_SK_SP_EUlS13_E_NS1_11comp_targetILNS1_3genE5ELNS1_11target_archE942ELNS1_3gpuE9ELNS1_3repE0EEENS1_47radix_sort_onesweep_sort_config_static_selectorELNS0_4arch9wavefront6targetE1EEEvSK_.kd
    .uniform_work_group_size: 1
    .uses_dynamic_stack: false
    .vgpr_count:     62
    .vgpr_spill_count: 0
    .wavefront_size: 64
  - .agpr_count:     0
    .args:
      - .offset:         0
        .size:           88
        .value_kind:     by_value
    .group_segment_fixed_size: 0
    .kernarg_segment_align: 8
    .kernarg_segment_size: 88
    .language:       OpenCL C
    .language_version:
      - 2
      - 0
    .max_flat_workgroup_size: 512
    .name:           _ZN7rocprim17ROCPRIM_400000_NS6detail17trampoline_kernelINS0_14default_configENS1_35radix_sort_onesweep_config_selectorIsNS0_10empty_typeEEEZZNS1_29radix_sort_onesweep_iterationIS3_Lb0EN6thrust23THRUST_200600_302600_NS6detail15normal_iteratorINS9_10device_ptrIsEEEESE_PS5_SF_jNS0_19identity_decomposerENS1_16block_id_wrapperIjLb1EEEEE10hipError_tT1_PNSt15iterator_traitsISK_E10value_typeET2_T3_PNSL_ISQ_E10value_typeET4_T5_PSV_SW_PNS1_23onesweep_lookback_stateEbbT6_jjT7_P12ihipStream_tbENKUlT_T0_SK_SP_E_clISE_PsSF_SF_EEDaS13_S14_SK_SP_EUlS13_E_NS1_11comp_targetILNS1_3genE2ELNS1_11target_archE906ELNS1_3gpuE6ELNS1_3repE0EEENS1_47radix_sort_onesweep_sort_config_static_selectorELNS0_4arch9wavefront6targetE1EEEvSK_
    .private_segment_fixed_size: 0
    .sgpr_count:     6
    .sgpr_spill_count: 0
    .symbol:         _ZN7rocprim17ROCPRIM_400000_NS6detail17trampoline_kernelINS0_14default_configENS1_35radix_sort_onesweep_config_selectorIsNS0_10empty_typeEEEZZNS1_29radix_sort_onesweep_iterationIS3_Lb0EN6thrust23THRUST_200600_302600_NS6detail15normal_iteratorINS9_10device_ptrIsEEEESE_PS5_SF_jNS0_19identity_decomposerENS1_16block_id_wrapperIjLb1EEEEE10hipError_tT1_PNSt15iterator_traitsISK_E10value_typeET2_T3_PNSL_ISQ_E10value_typeET4_T5_PSV_SW_PNS1_23onesweep_lookback_stateEbbT6_jjT7_P12ihipStream_tbENKUlT_T0_SK_SP_E_clISE_PsSF_SF_EEDaS13_S14_SK_SP_EUlS13_E_NS1_11comp_targetILNS1_3genE2ELNS1_11target_archE906ELNS1_3gpuE6ELNS1_3repE0EEENS1_47radix_sort_onesweep_sort_config_static_selectorELNS0_4arch9wavefront6targetE1EEEvSK_.kd
    .uniform_work_group_size: 1
    .uses_dynamic_stack: false
    .vgpr_count:     0
    .vgpr_spill_count: 0
    .wavefront_size: 64
  - .agpr_count:     0
    .args:
      - .offset:         0
        .size:           88
        .value_kind:     by_value
    .group_segment_fixed_size: 0
    .kernarg_segment_align: 8
    .kernarg_segment_size: 88
    .language:       OpenCL C
    .language_version:
      - 2
      - 0
    .max_flat_workgroup_size: 1024
    .name:           _ZN7rocprim17ROCPRIM_400000_NS6detail17trampoline_kernelINS0_14default_configENS1_35radix_sort_onesweep_config_selectorIsNS0_10empty_typeEEEZZNS1_29radix_sort_onesweep_iterationIS3_Lb0EN6thrust23THRUST_200600_302600_NS6detail15normal_iteratorINS9_10device_ptrIsEEEESE_PS5_SF_jNS0_19identity_decomposerENS1_16block_id_wrapperIjLb1EEEEE10hipError_tT1_PNSt15iterator_traitsISK_E10value_typeET2_T3_PNSL_ISQ_E10value_typeET4_T5_PSV_SW_PNS1_23onesweep_lookback_stateEbbT6_jjT7_P12ihipStream_tbENKUlT_T0_SK_SP_E_clISE_PsSF_SF_EEDaS13_S14_SK_SP_EUlS13_E_NS1_11comp_targetILNS1_3genE4ELNS1_11target_archE910ELNS1_3gpuE8ELNS1_3repE0EEENS1_47radix_sort_onesweep_sort_config_static_selectorELNS0_4arch9wavefront6targetE1EEEvSK_
    .private_segment_fixed_size: 0
    .sgpr_count:     6
    .sgpr_spill_count: 0
    .symbol:         _ZN7rocprim17ROCPRIM_400000_NS6detail17trampoline_kernelINS0_14default_configENS1_35radix_sort_onesweep_config_selectorIsNS0_10empty_typeEEEZZNS1_29radix_sort_onesweep_iterationIS3_Lb0EN6thrust23THRUST_200600_302600_NS6detail15normal_iteratorINS9_10device_ptrIsEEEESE_PS5_SF_jNS0_19identity_decomposerENS1_16block_id_wrapperIjLb1EEEEE10hipError_tT1_PNSt15iterator_traitsISK_E10value_typeET2_T3_PNSL_ISQ_E10value_typeET4_T5_PSV_SW_PNS1_23onesweep_lookback_stateEbbT6_jjT7_P12ihipStream_tbENKUlT_T0_SK_SP_E_clISE_PsSF_SF_EEDaS13_S14_SK_SP_EUlS13_E_NS1_11comp_targetILNS1_3genE4ELNS1_11target_archE910ELNS1_3gpuE8ELNS1_3repE0EEENS1_47radix_sort_onesweep_sort_config_static_selectorELNS0_4arch9wavefront6targetE1EEEvSK_.kd
    .uniform_work_group_size: 1
    .uses_dynamic_stack: false
    .vgpr_count:     0
    .vgpr_spill_count: 0
    .wavefront_size: 64
  - .agpr_count:     0
    .args:
      - .offset:         0
        .size:           88
        .value_kind:     by_value
    .group_segment_fixed_size: 0
    .kernarg_segment_align: 8
    .kernarg_segment_size: 88
    .language:       OpenCL C
    .language_version:
      - 2
      - 0
    .max_flat_workgroup_size: 512
    .name:           _ZN7rocprim17ROCPRIM_400000_NS6detail17trampoline_kernelINS0_14default_configENS1_35radix_sort_onesweep_config_selectorIsNS0_10empty_typeEEEZZNS1_29radix_sort_onesweep_iterationIS3_Lb0EN6thrust23THRUST_200600_302600_NS6detail15normal_iteratorINS9_10device_ptrIsEEEESE_PS5_SF_jNS0_19identity_decomposerENS1_16block_id_wrapperIjLb1EEEEE10hipError_tT1_PNSt15iterator_traitsISK_E10value_typeET2_T3_PNSL_ISQ_E10value_typeET4_T5_PSV_SW_PNS1_23onesweep_lookback_stateEbbT6_jjT7_P12ihipStream_tbENKUlT_T0_SK_SP_E_clISE_PsSF_SF_EEDaS13_S14_SK_SP_EUlS13_E_NS1_11comp_targetILNS1_3genE3ELNS1_11target_archE908ELNS1_3gpuE7ELNS1_3repE0EEENS1_47radix_sort_onesweep_sort_config_static_selectorELNS0_4arch9wavefront6targetE1EEEvSK_
    .private_segment_fixed_size: 0
    .sgpr_count:     6
    .sgpr_spill_count: 0
    .symbol:         _ZN7rocprim17ROCPRIM_400000_NS6detail17trampoline_kernelINS0_14default_configENS1_35radix_sort_onesweep_config_selectorIsNS0_10empty_typeEEEZZNS1_29radix_sort_onesweep_iterationIS3_Lb0EN6thrust23THRUST_200600_302600_NS6detail15normal_iteratorINS9_10device_ptrIsEEEESE_PS5_SF_jNS0_19identity_decomposerENS1_16block_id_wrapperIjLb1EEEEE10hipError_tT1_PNSt15iterator_traitsISK_E10value_typeET2_T3_PNSL_ISQ_E10value_typeET4_T5_PSV_SW_PNS1_23onesweep_lookback_stateEbbT6_jjT7_P12ihipStream_tbENKUlT_T0_SK_SP_E_clISE_PsSF_SF_EEDaS13_S14_SK_SP_EUlS13_E_NS1_11comp_targetILNS1_3genE3ELNS1_11target_archE908ELNS1_3gpuE7ELNS1_3repE0EEENS1_47radix_sort_onesweep_sort_config_static_selectorELNS0_4arch9wavefront6targetE1EEEvSK_.kd
    .uniform_work_group_size: 1
    .uses_dynamic_stack: false
    .vgpr_count:     0
    .vgpr_spill_count: 0
    .wavefront_size: 64
  - .agpr_count:     0
    .args:
      - .offset:         0
        .size:           88
        .value_kind:     by_value
    .group_segment_fixed_size: 0
    .kernarg_segment_align: 8
    .kernarg_segment_size: 88
    .language:       OpenCL C
    .language_version:
      - 2
      - 0
    .max_flat_workgroup_size: 256
    .name:           _ZN7rocprim17ROCPRIM_400000_NS6detail17trampoline_kernelINS0_14default_configENS1_35radix_sort_onesweep_config_selectorIsNS0_10empty_typeEEEZZNS1_29radix_sort_onesweep_iterationIS3_Lb0EN6thrust23THRUST_200600_302600_NS6detail15normal_iteratorINS9_10device_ptrIsEEEESE_PS5_SF_jNS0_19identity_decomposerENS1_16block_id_wrapperIjLb1EEEEE10hipError_tT1_PNSt15iterator_traitsISK_E10value_typeET2_T3_PNSL_ISQ_E10value_typeET4_T5_PSV_SW_PNS1_23onesweep_lookback_stateEbbT6_jjT7_P12ihipStream_tbENKUlT_T0_SK_SP_E_clISE_PsSF_SF_EEDaS13_S14_SK_SP_EUlS13_E_NS1_11comp_targetILNS1_3genE10ELNS1_11target_archE1201ELNS1_3gpuE5ELNS1_3repE0EEENS1_47radix_sort_onesweep_sort_config_static_selectorELNS0_4arch9wavefront6targetE1EEEvSK_
    .private_segment_fixed_size: 0
    .sgpr_count:     6
    .sgpr_spill_count: 0
    .symbol:         _ZN7rocprim17ROCPRIM_400000_NS6detail17trampoline_kernelINS0_14default_configENS1_35radix_sort_onesweep_config_selectorIsNS0_10empty_typeEEEZZNS1_29radix_sort_onesweep_iterationIS3_Lb0EN6thrust23THRUST_200600_302600_NS6detail15normal_iteratorINS9_10device_ptrIsEEEESE_PS5_SF_jNS0_19identity_decomposerENS1_16block_id_wrapperIjLb1EEEEE10hipError_tT1_PNSt15iterator_traitsISK_E10value_typeET2_T3_PNSL_ISQ_E10value_typeET4_T5_PSV_SW_PNS1_23onesweep_lookback_stateEbbT6_jjT7_P12ihipStream_tbENKUlT_T0_SK_SP_E_clISE_PsSF_SF_EEDaS13_S14_SK_SP_EUlS13_E_NS1_11comp_targetILNS1_3genE10ELNS1_11target_archE1201ELNS1_3gpuE5ELNS1_3repE0EEENS1_47radix_sort_onesweep_sort_config_static_selectorELNS0_4arch9wavefront6targetE1EEEvSK_.kd
    .uniform_work_group_size: 1
    .uses_dynamic_stack: false
    .vgpr_count:     0
    .vgpr_spill_count: 0
    .wavefront_size: 64
  - .agpr_count:     0
    .args:
      - .offset:         0
        .size:           88
        .value_kind:     by_value
    .group_segment_fixed_size: 0
    .kernarg_segment_align: 8
    .kernarg_segment_size: 88
    .language:       OpenCL C
    .language_version:
      - 2
      - 0
    .max_flat_workgroup_size: 256
    .name:           _ZN7rocprim17ROCPRIM_400000_NS6detail17trampoline_kernelINS0_14default_configENS1_35radix_sort_onesweep_config_selectorIsNS0_10empty_typeEEEZZNS1_29radix_sort_onesweep_iterationIS3_Lb0EN6thrust23THRUST_200600_302600_NS6detail15normal_iteratorINS9_10device_ptrIsEEEESE_PS5_SF_jNS0_19identity_decomposerENS1_16block_id_wrapperIjLb1EEEEE10hipError_tT1_PNSt15iterator_traitsISK_E10value_typeET2_T3_PNSL_ISQ_E10value_typeET4_T5_PSV_SW_PNS1_23onesweep_lookback_stateEbbT6_jjT7_P12ihipStream_tbENKUlT_T0_SK_SP_E_clISE_PsSF_SF_EEDaS13_S14_SK_SP_EUlS13_E_NS1_11comp_targetILNS1_3genE9ELNS1_11target_archE1100ELNS1_3gpuE3ELNS1_3repE0EEENS1_47radix_sort_onesweep_sort_config_static_selectorELNS0_4arch9wavefront6targetE1EEEvSK_
    .private_segment_fixed_size: 0
    .sgpr_count:     6
    .sgpr_spill_count: 0
    .symbol:         _ZN7rocprim17ROCPRIM_400000_NS6detail17trampoline_kernelINS0_14default_configENS1_35radix_sort_onesweep_config_selectorIsNS0_10empty_typeEEEZZNS1_29radix_sort_onesweep_iterationIS3_Lb0EN6thrust23THRUST_200600_302600_NS6detail15normal_iteratorINS9_10device_ptrIsEEEESE_PS5_SF_jNS0_19identity_decomposerENS1_16block_id_wrapperIjLb1EEEEE10hipError_tT1_PNSt15iterator_traitsISK_E10value_typeET2_T3_PNSL_ISQ_E10value_typeET4_T5_PSV_SW_PNS1_23onesweep_lookback_stateEbbT6_jjT7_P12ihipStream_tbENKUlT_T0_SK_SP_E_clISE_PsSF_SF_EEDaS13_S14_SK_SP_EUlS13_E_NS1_11comp_targetILNS1_3genE9ELNS1_11target_archE1100ELNS1_3gpuE3ELNS1_3repE0EEENS1_47radix_sort_onesweep_sort_config_static_selectorELNS0_4arch9wavefront6targetE1EEEvSK_.kd
    .uniform_work_group_size: 1
    .uses_dynamic_stack: false
    .vgpr_count:     0
    .vgpr_spill_count: 0
    .wavefront_size: 64
  - .agpr_count:     0
    .args:
      - .offset:         0
        .size:           88
        .value_kind:     by_value
    .group_segment_fixed_size: 0
    .kernarg_segment_align: 8
    .kernarg_segment_size: 88
    .language:       OpenCL C
    .language_version:
      - 2
      - 0
    .max_flat_workgroup_size: 256
    .name:           _ZN7rocprim17ROCPRIM_400000_NS6detail17trampoline_kernelINS0_14default_configENS1_35radix_sort_onesweep_config_selectorIsNS0_10empty_typeEEEZZNS1_29radix_sort_onesweep_iterationIS3_Lb0EN6thrust23THRUST_200600_302600_NS6detail15normal_iteratorINS9_10device_ptrIsEEEESE_PS5_SF_jNS0_19identity_decomposerENS1_16block_id_wrapperIjLb1EEEEE10hipError_tT1_PNSt15iterator_traitsISK_E10value_typeET2_T3_PNSL_ISQ_E10value_typeET4_T5_PSV_SW_PNS1_23onesweep_lookback_stateEbbT6_jjT7_P12ihipStream_tbENKUlT_T0_SK_SP_E_clISE_PsSF_SF_EEDaS13_S14_SK_SP_EUlS13_E_NS1_11comp_targetILNS1_3genE8ELNS1_11target_archE1030ELNS1_3gpuE2ELNS1_3repE0EEENS1_47radix_sort_onesweep_sort_config_static_selectorELNS0_4arch9wavefront6targetE1EEEvSK_
    .private_segment_fixed_size: 0
    .sgpr_count:     6
    .sgpr_spill_count: 0
    .symbol:         _ZN7rocprim17ROCPRIM_400000_NS6detail17trampoline_kernelINS0_14default_configENS1_35radix_sort_onesweep_config_selectorIsNS0_10empty_typeEEEZZNS1_29radix_sort_onesweep_iterationIS3_Lb0EN6thrust23THRUST_200600_302600_NS6detail15normal_iteratorINS9_10device_ptrIsEEEESE_PS5_SF_jNS0_19identity_decomposerENS1_16block_id_wrapperIjLb1EEEEE10hipError_tT1_PNSt15iterator_traitsISK_E10value_typeET2_T3_PNSL_ISQ_E10value_typeET4_T5_PSV_SW_PNS1_23onesweep_lookback_stateEbbT6_jjT7_P12ihipStream_tbENKUlT_T0_SK_SP_E_clISE_PsSF_SF_EEDaS13_S14_SK_SP_EUlS13_E_NS1_11comp_targetILNS1_3genE8ELNS1_11target_archE1030ELNS1_3gpuE2ELNS1_3repE0EEENS1_47radix_sort_onesweep_sort_config_static_selectorELNS0_4arch9wavefront6targetE1EEEvSK_.kd
    .uniform_work_group_size: 1
    .uses_dynamic_stack: false
    .vgpr_count:     0
    .vgpr_spill_count: 0
    .wavefront_size: 64
  - .agpr_count:     0
    .args:
      - .offset:         0
        .size:           88
        .value_kind:     by_value
    .group_segment_fixed_size: 0
    .kernarg_segment_align: 8
    .kernarg_segment_size: 88
    .language:       OpenCL C
    .language_version:
      - 2
      - 0
    .max_flat_workgroup_size: 512
    .name:           _ZN7rocprim17ROCPRIM_400000_NS6detail17trampoline_kernelINS0_14default_configENS1_35radix_sort_onesweep_config_selectorIsNS0_10empty_typeEEEZZNS1_29radix_sort_onesweep_iterationIS3_Lb0EN6thrust23THRUST_200600_302600_NS6detail15normal_iteratorINS9_10device_ptrIsEEEESE_PS5_SF_jNS0_19identity_decomposerENS1_16block_id_wrapperIjLb1EEEEE10hipError_tT1_PNSt15iterator_traitsISK_E10value_typeET2_T3_PNSL_ISQ_E10value_typeET4_T5_PSV_SW_PNS1_23onesweep_lookback_stateEbbT6_jjT7_P12ihipStream_tbENKUlT_T0_SK_SP_E_clIPsSE_SF_SF_EEDaS13_S14_SK_SP_EUlS13_E_NS1_11comp_targetILNS1_3genE0ELNS1_11target_archE4294967295ELNS1_3gpuE0ELNS1_3repE0EEENS1_47radix_sort_onesweep_sort_config_static_selectorELNS0_4arch9wavefront6targetE1EEEvSK_
    .private_segment_fixed_size: 0
    .sgpr_count:     6
    .sgpr_spill_count: 0
    .symbol:         _ZN7rocprim17ROCPRIM_400000_NS6detail17trampoline_kernelINS0_14default_configENS1_35radix_sort_onesweep_config_selectorIsNS0_10empty_typeEEEZZNS1_29radix_sort_onesweep_iterationIS3_Lb0EN6thrust23THRUST_200600_302600_NS6detail15normal_iteratorINS9_10device_ptrIsEEEESE_PS5_SF_jNS0_19identity_decomposerENS1_16block_id_wrapperIjLb1EEEEE10hipError_tT1_PNSt15iterator_traitsISK_E10value_typeET2_T3_PNSL_ISQ_E10value_typeET4_T5_PSV_SW_PNS1_23onesweep_lookback_stateEbbT6_jjT7_P12ihipStream_tbENKUlT_T0_SK_SP_E_clIPsSE_SF_SF_EEDaS13_S14_SK_SP_EUlS13_E_NS1_11comp_targetILNS1_3genE0ELNS1_11target_archE4294967295ELNS1_3gpuE0ELNS1_3repE0EEENS1_47radix_sort_onesweep_sort_config_static_selectorELNS0_4arch9wavefront6targetE1EEEvSK_.kd
    .uniform_work_group_size: 1
    .uses_dynamic_stack: false
    .vgpr_count:     0
    .vgpr_spill_count: 0
    .wavefront_size: 64
  - .agpr_count:     0
    .args:
      - .offset:         0
        .size:           88
        .value_kind:     by_value
    .group_segment_fixed_size: 0
    .kernarg_segment_align: 8
    .kernarg_segment_size: 88
    .language:       OpenCL C
    .language_version:
      - 2
      - 0
    .max_flat_workgroup_size: 1024
    .name:           _ZN7rocprim17ROCPRIM_400000_NS6detail17trampoline_kernelINS0_14default_configENS1_35radix_sort_onesweep_config_selectorIsNS0_10empty_typeEEEZZNS1_29radix_sort_onesweep_iterationIS3_Lb0EN6thrust23THRUST_200600_302600_NS6detail15normal_iteratorINS9_10device_ptrIsEEEESE_PS5_SF_jNS0_19identity_decomposerENS1_16block_id_wrapperIjLb1EEEEE10hipError_tT1_PNSt15iterator_traitsISK_E10value_typeET2_T3_PNSL_ISQ_E10value_typeET4_T5_PSV_SW_PNS1_23onesweep_lookback_stateEbbT6_jjT7_P12ihipStream_tbENKUlT_T0_SK_SP_E_clIPsSE_SF_SF_EEDaS13_S14_SK_SP_EUlS13_E_NS1_11comp_targetILNS1_3genE6ELNS1_11target_archE950ELNS1_3gpuE13ELNS1_3repE0EEENS1_47radix_sort_onesweep_sort_config_static_selectorELNS0_4arch9wavefront6targetE1EEEvSK_
    .private_segment_fixed_size: 0
    .sgpr_count:     6
    .sgpr_spill_count: 0
    .symbol:         _ZN7rocprim17ROCPRIM_400000_NS6detail17trampoline_kernelINS0_14default_configENS1_35radix_sort_onesweep_config_selectorIsNS0_10empty_typeEEEZZNS1_29radix_sort_onesweep_iterationIS3_Lb0EN6thrust23THRUST_200600_302600_NS6detail15normal_iteratorINS9_10device_ptrIsEEEESE_PS5_SF_jNS0_19identity_decomposerENS1_16block_id_wrapperIjLb1EEEEE10hipError_tT1_PNSt15iterator_traitsISK_E10value_typeET2_T3_PNSL_ISQ_E10value_typeET4_T5_PSV_SW_PNS1_23onesweep_lookback_stateEbbT6_jjT7_P12ihipStream_tbENKUlT_T0_SK_SP_E_clIPsSE_SF_SF_EEDaS13_S14_SK_SP_EUlS13_E_NS1_11comp_targetILNS1_3genE6ELNS1_11target_archE950ELNS1_3gpuE13ELNS1_3repE0EEENS1_47radix_sort_onesweep_sort_config_static_selectorELNS0_4arch9wavefront6targetE1EEEvSK_.kd
    .uniform_work_group_size: 1
    .uses_dynamic_stack: false
    .vgpr_count:     0
    .vgpr_spill_count: 0
    .wavefront_size: 64
  - .agpr_count:     0
    .args:
      - .offset:         0
        .size:           88
        .value_kind:     by_value
      - .offset:         88
        .size:           4
        .value_kind:     hidden_block_count_x
      - .offset:         92
        .size:           4
        .value_kind:     hidden_block_count_y
      - .offset:         96
        .size:           4
        .value_kind:     hidden_block_count_z
      - .offset:         100
        .size:           2
        .value_kind:     hidden_group_size_x
      - .offset:         102
        .size:           2
        .value_kind:     hidden_group_size_y
      - .offset:         104
        .size:           2
        .value_kind:     hidden_group_size_z
      - .offset:         106
        .size:           2
        .value_kind:     hidden_remainder_x
      - .offset:         108
        .size:           2
        .value_kind:     hidden_remainder_y
      - .offset:         110
        .size:           2
        .value_kind:     hidden_remainder_z
      - .offset:         128
        .size:           8
        .value_kind:     hidden_global_offset_x
      - .offset:         136
        .size:           8
        .value_kind:     hidden_global_offset_y
      - .offset:         144
        .size:           8
        .value_kind:     hidden_global_offset_z
      - .offset:         152
        .size:           2
        .value_kind:     hidden_grid_dims
    .group_segment_fixed_size: 25608
    .kernarg_segment_align: 8
    .kernarg_segment_size: 344
    .language:       OpenCL C
    .language_version:
      - 2
      - 0
    .max_flat_workgroup_size: 1024
    .name:           _ZN7rocprim17ROCPRIM_400000_NS6detail17trampoline_kernelINS0_14default_configENS1_35radix_sort_onesweep_config_selectorIsNS0_10empty_typeEEEZZNS1_29radix_sort_onesweep_iterationIS3_Lb0EN6thrust23THRUST_200600_302600_NS6detail15normal_iteratorINS9_10device_ptrIsEEEESE_PS5_SF_jNS0_19identity_decomposerENS1_16block_id_wrapperIjLb1EEEEE10hipError_tT1_PNSt15iterator_traitsISK_E10value_typeET2_T3_PNSL_ISQ_E10value_typeET4_T5_PSV_SW_PNS1_23onesweep_lookback_stateEbbT6_jjT7_P12ihipStream_tbENKUlT_T0_SK_SP_E_clIPsSE_SF_SF_EEDaS13_S14_SK_SP_EUlS13_E_NS1_11comp_targetILNS1_3genE5ELNS1_11target_archE942ELNS1_3gpuE9ELNS1_3repE0EEENS1_47radix_sort_onesweep_sort_config_static_selectorELNS0_4arch9wavefront6targetE1EEEvSK_
    .private_segment_fixed_size: 0
    .sgpr_count:     42
    .sgpr_spill_count: 0
    .symbol:         _ZN7rocprim17ROCPRIM_400000_NS6detail17trampoline_kernelINS0_14default_configENS1_35radix_sort_onesweep_config_selectorIsNS0_10empty_typeEEEZZNS1_29radix_sort_onesweep_iterationIS3_Lb0EN6thrust23THRUST_200600_302600_NS6detail15normal_iteratorINS9_10device_ptrIsEEEESE_PS5_SF_jNS0_19identity_decomposerENS1_16block_id_wrapperIjLb1EEEEE10hipError_tT1_PNSt15iterator_traitsISK_E10value_typeET2_T3_PNSL_ISQ_E10value_typeET4_T5_PSV_SW_PNS1_23onesweep_lookback_stateEbbT6_jjT7_P12ihipStream_tbENKUlT_T0_SK_SP_E_clIPsSE_SF_SF_EEDaS13_S14_SK_SP_EUlS13_E_NS1_11comp_targetILNS1_3genE5ELNS1_11target_archE942ELNS1_3gpuE9ELNS1_3repE0EEENS1_47radix_sort_onesweep_sort_config_static_selectorELNS0_4arch9wavefront6targetE1EEEvSK_.kd
    .uniform_work_group_size: 1
    .uses_dynamic_stack: false
    .vgpr_count:     62
    .vgpr_spill_count: 0
    .wavefront_size: 64
  - .agpr_count:     0
    .args:
      - .offset:         0
        .size:           88
        .value_kind:     by_value
    .group_segment_fixed_size: 0
    .kernarg_segment_align: 8
    .kernarg_segment_size: 88
    .language:       OpenCL C
    .language_version:
      - 2
      - 0
    .max_flat_workgroup_size: 512
    .name:           _ZN7rocprim17ROCPRIM_400000_NS6detail17trampoline_kernelINS0_14default_configENS1_35radix_sort_onesweep_config_selectorIsNS0_10empty_typeEEEZZNS1_29radix_sort_onesweep_iterationIS3_Lb0EN6thrust23THRUST_200600_302600_NS6detail15normal_iteratorINS9_10device_ptrIsEEEESE_PS5_SF_jNS0_19identity_decomposerENS1_16block_id_wrapperIjLb1EEEEE10hipError_tT1_PNSt15iterator_traitsISK_E10value_typeET2_T3_PNSL_ISQ_E10value_typeET4_T5_PSV_SW_PNS1_23onesweep_lookback_stateEbbT6_jjT7_P12ihipStream_tbENKUlT_T0_SK_SP_E_clIPsSE_SF_SF_EEDaS13_S14_SK_SP_EUlS13_E_NS1_11comp_targetILNS1_3genE2ELNS1_11target_archE906ELNS1_3gpuE6ELNS1_3repE0EEENS1_47radix_sort_onesweep_sort_config_static_selectorELNS0_4arch9wavefront6targetE1EEEvSK_
    .private_segment_fixed_size: 0
    .sgpr_count:     6
    .sgpr_spill_count: 0
    .symbol:         _ZN7rocprim17ROCPRIM_400000_NS6detail17trampoline_kernelINS0_14default_configENS1_35radix_sort_onesweep_config_selectorIsNS0_10empty_typeEEEZZNS1_29radix_sort_onesweep_iterationIS3_Lb0EN6thrust23THRUST_200600_302600_NS6detail15normal_iteratorINS9_10device_ptrIsEEEESE_PS5_SF_jNS0_19identity_decomposerENS1_16block_id_wrapperIjLb1EEEEE10hipError_tT1_PNSt15iterator_traitsISK_E10value_typeET2_T3_PNSL_ISQ_E10value_typeET4_T5_PSV_SW_PNS1_23onesweep_lookback_stateEbbT6_jjT7_P12ihipStream_tbENKUlT_T0_SK_SP_E_clIPsSE_SF_SF_EEDaS13_S14_SK_SP_EUlS13_E_NS1_11comp_targetILNS1_3genE2ELNS1_11target_archE906ELNS1_3gpuE6ELNS1_3repE0EEENS1_47radix_sort_onesweep_sort_config_static_selectorELNS0_4arch9wavefront6targetE1EEEvSK_.kd
    .uniform_work_group_size: 1
    .uses_dynamic_stack: false
    .vgpr_count:     0
    .vgpr_spill_count: 0
    .wavefront_size: 64
  - .agpr_count:     0
    .args:
      - .offset:         0
        .size:           88
        .value_kind:     by_value
    .group_segment_fixed_size: 0
    .kernarg_segment_align: 8
    .kernarg_segment_size: 88
    .language:       OpenCL C
    .language_version:
      - 2
      - 0
    .max_flat_workgroup_size: 1024
    .name:           _ZN7rocprim17ROCPRIM_400000_NS6detail17trampoline_kernelINS0_14default_configENS1_35radix_sort_onesweep_config_selectorIsNS0_10empty_typeEEEZZNS1_29radix_sort_onesweep_iterationIS3_Lb0EN6thrust23THRUST_200600_302600_NS6detail15normal_iteratorINS9_10device_ptrIsEEEESE_PS5_SF_jNS0_19identity_decomposerENS1_16block_id_wrapperIjLb1EEEEE10hipError_tT1_PNSt15iterator_traitsISK_E10value_typeET2_T3_PNSL_ISQ_E10value_typeET4_T5_PSV_SW_PNS1_23onesweep_lookback_stateEbbT6_jjT7_P12ihipStream_tbENKUlT_T0_SK_SP_E_clIPsSE_SF_SF_EEDaS13_S14_SK_SP_EUlS13_E_NS1_11comp_targetILNS1_3genE4ELNS1_11target_archE910ELNS1_3gpuE8ELNS1_3repE0EEENS1_47radix_sort_onesweep_sort_config_static_selectorELNS0_4arch9wavefront6targetE1EEEvSK_
    .private_segment_fixed_size: 0
    .sgpr_count:     6
    .sgpr_spill_count: 0
    .symbol:         _ZN7rocprim17ROCPRIM_400000_NS6detail17trampoline_kernelINS0_14default_configENS1_35radix_sort_onesweep_config_selectorIsNS0_10empty_typeEEEZZNS1_29radix_sort_onesweep_iterationIS3_Lb0EN6thrust23THRUST_200600_302600_NS6detail15normal_iteratorINS9_10device_ptrIsEEEESE_PS5_SF_jNS0_19identity_decomposerENS1_16block_id_wrapperIjLb1EEEEE10hipError_tT1_PNSt15iterator_traitsISK_E10value_typeET2_T3_PNSL_ISQ_E10value_typeET4_T5_PSV_SW_PNS1_23onesweep_lookback_stateEbbT6_jjT7_P12ihipStream_tbENKUlT_T0_SK_SP_E_clIPsSE_SF_SF_EEDaS13_S14_SK_SP_EUlS13_E_NS1_11comp_targetILNS1_3genE4ELNS1_11target_archE910ELNS1_3gpuE8ELNS1_3repE0EEENS1_47radix_sort_onesweep_sort_config_static_selectorELNS0_4arch9wavefront6targetE1EEEvSK_.kd
    .uniform_work_group_size: 1
    .uses_dynamic_stack: false
    .vgpr_count:     0
    .vgpr_spill_count: 0
    .wavefront_size: 64
  - .agpr_count:     0
    .args:
      - .offset:         0
        .size:           88
        .value_kind:     by_value
    .group_segment_fixed_size: 0
    .kernarg_segment_align: 8
    .kernarg_segment_size: 88
    .language:       OpenCL C
    .language_version:
      - 2
      - 0
    .max_flat_workgroup_size: 512
    .name:           _ZN7rocprim17ROCPRIM_400000_NS6detail17trampoline_kernelINS0_14default_configENS1_35radix_sort_onesweep_config_selectorIsNS0_10empty_typeEEEZZNS1_29radix_sort_onesweep_iterationIS3_Lb0EN6thrust23THRUST_200600_302600_NS6detail15normal_iteratorINS9_10device_ptrIsEEEESE_PS5_SF_jNS0_19identity_decomposerENS1_16block_id_wrapperIjLb1EEEEE10hipError_tT1_PNSt15iterator_traitsISK_E10value_typeET2_T3_PNSL_ISQ_E10value_typeET4_T5_PSV_SW_PNS1_23onesweep_lookback_stateEbbT6_jjT7_P12ihipStream_tbENKUlT_T0_SK_SP_E_clIPsSE_SF_SF_EEDaS13_S14_SK_SP_EUlS13_E_NS1_11comp_targetILNS1_3genE3ELNS1_11target_archE908ELNS1_3gpuE7ELNS1_3repE0EEENS1_47radix_sort_onesweep_sort_config_static_selectorELNS0_4arch9wavefront6targetE1EEEvSK_
    .private_segment_fixed_size: 0
    .sgpr_count:     6
    .sgpr_spill_count: 0
    .symbol:         _ZN7rocprim17ROCPRIM_400000_NS6detail17trampoline_kernelINS0_14default_configENS1_35radix_sort_onesweep_config_selectorIsNS0_10empty_typeEEEZZNS1_29radix_sort_onesweep_iterationIS3_Lb0EN6thrust23THRUST_200600_302600_NS6detail15normal_iteratorINS9_10device_ptrIsEEEESE_PS5_SF_jNS0_19identity_decomposerENS1_16block_id_wrapperIjLb1EEEEE10hipError_tT1_PNSt15iterator_traitsISK_E10value_typeET2_T3_PNSL_ISQ_E10value_typeET4_T5_PSV_SW_PNS1_23onesweep_lookback_stateEbbT6_jjT7_P12ihipStream_tbENKUlT_T0_SK_SP_E_clIPsSE_SF_SF_EEDaS13_S14_SK_SP_EUlS13_E_NS1_11comp_targetILNS1_3genE3ELNS1_11target_archE908ELNS1_3gpuE7ELNS1_3repE0EEENS1_47radix_sort_onesweep_sort_config_static_selectorELNS0_4arch9wavefront6targetE1EEEvSK_.kd
    .uniform_work_group_size: 1
    .uses_dynamic_stack: false
    .vgpr_count:     0
    .vgpr_spill_count: 0
    .wavefront_size: 64
  - .agpr_count:     0
    .args:
      - .offset:         0
        .size:           88
        .value_kind:     by_value
    .group_segment_fixed_size: 0
    .kernarg_segment_align: 8
    .kernarg_segment_size: 88
    .language:       OpenCL C
    .language_version:
      - 2
      - 0
    .max_flat_workgroup_size: 256
    .name:           _ZN7rocprim17ROCPRIM_400000_NS6detail17trampoline_kernelINS0_14default_configENS1_35radix_sort_onesweep_config_selectorIsNS0_10empty_typeEEEZZNS1_29radix_sort_onesweep_iterationIS3_Lb0EN6thrust23THRUST_200600_302600_NS6detail15normal_iteratorINS9_10device_ptrIsEEEESE_PS5_SF_jNS0_19identity_decomposerENS1_16block_id_wrapperIjLb1EEEEE10hipError_tT1_PNSt15iterator_traitsISK_E10value_typeET2_T3_PNSL_ISQ_E10value_typeET4_T5_PSV_SW_PNS1_23onesweep_lookback_stateEbbT6_jjT7_P12ihipStream_tbENKUlT_T0_SK_SP_E_clIPsSE_SF_SF_EEDaS13_S14_SK_SP_EUlS13_E_NS1_11comp_targetILNS1_3genE10ELNS1_11target_archE1201ELNS1_3gpuE5ELNS1_3repE0EEENS1_47radix_sort_onesweep_sort_config_static_selectorELNS0_4arch9wavefront6targetE1EEEvSK_
    .private_segment_fixed_size: 0
    .sgpr_count:     6
    .sgpr_spill_count: 0
    .symbol:         _ZN7rocprim17ROCPRIM_400000_NS6detail17trampoline_kernelINS0_14default_configENS1_35radix_sort_onesweep_config_selectorIsNS0_10empty_typeEEEZZNS1_29radix_sort_onesweep_iterationIS3_Lb0EN6thrust23THRUST_200600_302600_NS6detail15normal_iteratorINS9_10device_ptrIsEEEESE_PS5_SF_jNS0_19identity_decomposerENS1_16block_id_wrapperIjLb1EEEEE10hipError_tT1_PNSt15iterator_traitsISK_E10value_typeET2_T3_PNSL_ISQ_E10value_typeET4_T5_PSV_SW_PNS1_23onesweep_lookback_stateEbbT6_jjT7_P12ihipStream_tbENKUlT_T0_SK_SP_E_clIPsSE_SF_SF_EEDaS13_S14_SK_SP_EUlS13_E_NS1_11comp_targetILNS1_3genE10ELNS1_11target_archE1201ELNS1_3gpuE5ELNS1_3repE0EEENS1_47radix_sort_onesweep_sort_config_static_selectorELNS0_4arch9wavefront6targetE1EEEvSK_.kd
    .uniform_work_group_size: 1
    .uses_dynamic_stack: false
    .vgpr_count:     0
    .vgpr_spill_count: 0
    .wavefront_size: 64
  - .agpr_count:     0
    .args:
      - .offset:         0
        .size:           88
        .value_kind:     by_value
    .group_segment_fixed_size: 0
    .kernarg_segment_align: 8
    .kernarg_segment_size: 88
    .language:       OpenCL C
    .language_version:
      - 2
      - 0
    .max_flat_workgroup_size: 256
    .name:           _ZN7rocprim17ROCPRIM_400000_NS6detail17trampoline_kernelINS0_14default_configENS1_35radix_sort_onesweep_config_selectorIsNS0_10empty_typeEEEZZNS1_29radix_sort_onesweep_iterationIS3_Lb0EN6thrust23THRUST_200600_302600_NS6detail15normal_iteratorINS9_10device_ptrIsEEEESE_PS5_SF_jNS0_19identity_decomposerENS1_16block_id_wrapperIjLb1EEEEE10hipError_tT1_PNSt15iterator_traitsISK_E10value_typeET2_T3_PNSL_ISQ_E10value_typeET4_T5_PSV_SW_PNS1_23onesweep_lookback_stateEbbT6_jjT7_P12ihipStream_tbENKUlT_T0_SK_SP_E_clIPsSE_SF_SF_EEDaS13_S14_SK_SP_EUlS13_E_NS1_11comp_targetILNS1_3genE9ELNS1_11target_archE1100ELNS1_3gpuE3ELNS1_3repE0EEENS1_47radix_sort_onesweep_sort_config_static_selectorELNS0_4arch9wavefront6targetE1EEEvSK_
    .private_segment_fixed_size: 0
    .sgpr_count:     6
    .sgpr_spill_count: 0
    .symbol:         _ZN7rocprim17ROCPRIM_400000_NS6detail17trampoline_kernelINS0_14default_configENS1_35radix_sort_onesweep_config_selectorIsNS0_10empty_typeEEEZZNS1_29radix_sort_onesweep_iterationIS3_Lb0EN6thrust23THRUST_200600_302600_NS6detail15normal_iteratorINS9_10device_ptrIsEEEESE_PS5_SF_jNS0_19identity_decomposerENS1_16block_id_wrapperIjLb1EEEEE10hipError_tT1_PNSt15iterator_traitsISK_E10value_typeET2_T3_PNSL_ISQ_E10value_typeET4_T5_PSV_SW_PNS1_23onesweep_lookback_stateEbbT6_jjT7_P12ihipStream_tbENKUlT_T0_SK_SP_E_clIPsSE_SF_SF_EEDaS13_S14_SK_SP_EUlS13_E_NS1_11comp_targetILNS1_3genE9ELNS1_11target_archE1100ELNS1_3gpuE3ELNS1_3repE0EEENS1_47radix_sort_onesweep_sort_config_static_selectorELNS0_4arch9wavefront6targetE1EEEvSK_.kd
    .uniform_work_group_size: 1
    .uses_dynamic_stack: false
    .vgpr_count:     0
    .vgpr_spill_count: 0
    .wavefront_size: 64
  - .agpr_count:     0
    .args:
      - .offset:         0
        .size:           88
        .value_kind:     by_value
    .group_segment_fixed_size: 0
    .kernarg_segment_align: 8
    .kernarg_segment_size: 88
    .language:       OpenCL C
    .language_version:
      - 2
      - 0
    .max_flat_workgroup_size: 256
    .name:           _ZN7rocprim17ROCPRIM_400000_NS6detail17trampoline_kernelINS0_14default_configENS1_35radix_sort_onesweep_config_selectorIsNS0_10empty_typeEEEZZNS1_29radix_sort_onesweep_iterationIS3_Lb0EN6thrust23THRUST_200600_302600_NS6detail15normal_iteratorINS9_10device_ptrIsEEEESE_PS5_SF_jNS0_19identity_decomposerENS1_16block_id_wrapperIjLb1EEEEE10hipError_tT1_PNSt15iterator_traitsISK_E10value_typeET2_T3_PNSL_ISQ_E10value_typeET4_T5_PSV_SW_PNS1_23onesweep_lookback_stateEbbT6_jjT7_P12ihipStream_tbENKUlT_T0_SK_SP_E_clIPsSE_SF_SF_EEDaS13_S14_SK_SP_EUlS13_E_NS1_11comp_targetILNS1_3genE8ELNS1_11target_archE1030ELNS1_3gpuE2ELNS1_3repE0EEENS1_47radix_sort_onesweep_sort_config_static_selectorELNS0_4arch9wavefront6targetE1EEEvSK_
    .private_segment_fixed_size: 0
    .sgpr_count:     6
    .sgpr_spill_count: 0
    .symbol:         _ZN7rocprim17ROCPRIM_400000_NS6detail17trampoline_kernelINS0_14default_configENS1_35radix_sort_onesweep_config_selectorIsNS0_10empty_typeEEEZZNS1_29radix_sort_onesweep_iterationIS3_Lb0EN6thrust23THRUST_200600_302600_NS6detail15normal_iteratorINS9_10device_ptrIsEEEESE_PS5_SF_jNS0_19identity_decomposerENS1_16block_id_wrapperIjLb1EEEEE10hipError_tT1_PNSt15iterator_traitsISK_E10value_typeET2_T3_PNSL_ISQ_E10value_typeET4_T5_PSV_SW_PNS1_23onesweep_lookback_stateEbbT6_jjT7_P12ihipStream_tbENKUlT_T0_SK_SP_E_clIPsSE_SF_SF_EEDaS13_S14_SK_SP_EUlS13_E_NS1_11comp_targetILNS1_3genE8ELNS1_11target_archE1030ELNS1_3gpuE2ELNS1_3repE0EEENS1_47radix_sort_onesweep_sort_config_static_selectorELNS0_4arch9wavefront6targetE1EEEvSK_.kd
    .uniform_work_group_size: 1
    .uses_dynamic_stack: false
    .vgpr_count:     0
    .vgpr_spill_count: 0
    .wavefront_size: 64
  - .agpr_count:     0
    .args:
      - .offset:         0
        .size:           88
        .value_kind:     by_value
    .group_segment_fixed_size: 0
    .kernarg_segment_align: 8
    .kernarg_segment_size: 88
    .language:       OpenCL C
    .language_version:
      - 2
      - 0
    .max_flat_workgroup_size: 512
    .name:           _ZN7rocprim17ROCPRIM_400000_NS6detail17trampoline_kernelINS0_14default_configENS1_35radix_sort_onesweep_config_selectorIsNS0_10empty_typeEEEZZNS1_29radix_sort_onesweep_iterationIS3_Lb0EN6thrust23THRUST_200600_302600_NS6detail15normal_iteratorINS9_10device_ptrIsEEEESE_PS5_SF_jNS0_19identity_decomposerENS1_16block_id_wrapperIjLb0EEEEE10hipError_tT1_PNSt15iterator_traitsISK_E10value_typeET2_T3_PNSL_ISQ_E10value_typeET4_T5_PSV_SW_PNS1_23onesweep_lookback_stateEbbT6_jjT7_P12ihipStream_tbENKUlT_T0_SK_SP_E_clISE_SE_SF_SF_EEDaS13_S14_SK_SP_EUlS13_E_NS1_11comp_targetILNS1_3genE0ELNS1_11target_archE4294967295ELNS1_3gpuE0ELNS1_3repE0EEENS1_47radix_sort_onesweep_sort_config_static_selectorELNS0_4arch9wavefront6targetE1EEEvSK_
    .private_segment_fixed_size: 0
    .sgpr_count:     6
    .sgpr_spill_count: 0
    .symbol:         _ZN7rocprim17ROCPRIM_400000_NS6detail17trampoline_kernelINS0_14default_configENS1_35radix_sort_onesweep_config_selectorIsNS0_10empty_typeEEEZZNS1_29radix_sort_onesweep_iterationIS3_Lb0EN6thrust23THRUST_200600_302600_NS6detail15normal_iteratorINS9_10device_ptrIsEEEESE_PS5_SF_jNS0_19identity_decomposerENS1_16block_id_wrapperIjLb0EEEEE10hipError_tT1_PNSt15iterator_traitsISK_E10value_typeET2_T3_PNSL_ISQ_E10value_typeET4_T5_PSV_SW_PNS1_23onesweep_lookback_stateEbbT6_jjT7_P12ihipStream_tbENKUlT_T0_SK_SP_E_clISE_SE_SF_SF_EEDaS13_S14_SK_SP_EUlS13_E_NS1_11comp_targetILNS1_3genE0ELNS1_11target_archE4294967295ELNS1_3gpuE0ELNS1_3repE0EEENS1_47radix_sort_onesweep_sort_config_static_selectorELNS0_4arch9wavefront6targetE1EEEvSK_.kd
    .uniform_work_group_size: 1
    .uses_dynamic_stack: false
    .vgpr_count:     0
    .vgpr_spill_count: 0
    .wavefront_size: 64
  - .agpr_count:     0
    .args:
      - .offset:         0
        .size:           88
        .value_kind:     by_value
    .group_segment_fixed_size: 0
    .kernarg_segment_align: 8
    .kernarg_segment_size: 88
    .language:       OpenCL C
    .language_version:
      - 2
      - 0
    .max_flat_workgroup_size: 1024
    .name:           _ZN7rocprim17ROCPRIM_400000_NS6detail17trampoline_kernelINS0_14default_configENS1_35radix_sort_onesweep_config_selectorIsNS0_10empty_typeEEEZZNS1_29radix_sort_onesweep_iterationIS3_Lb0EN6thrust23THRUST_200600_302600_NS6detail15normal_iteratorINS9_10device_ptrIsEEEESE_PS5_SF_jNS0_19identity_decomposerENS1_16block_id_wrapperIjLb0EEEEE10hipError_tT1_PNSt15iterator_traitsISK_E10value_typeET2_T3_PNSL_ISQ_E10value_typeET4_T5_PSV_SW_PNS1_23onesweep_lookback_stateEbbT6_jjT7_P12ihipStream_tbENKUlT_T0_SK_SP_E_clISE_SE_SF_SF_EEDaS13_S14_SK_SP_EUlS13_E_NS1_11comp_targetILNS1_3genE6ELNS1_11target_archE950ELNS1_3gpuE13ELNS1_3repE0EEENS1_47radix_sort_onesweep_sort_config_static_selectorELNS0_4arch9wavefront6targetE1EEEvSK_
    .private_segment_fixed_size: 0
    .sgpr_count:     6
    .sgpr_spill_count: 0
    .symbol:         _ZN7rocprim17ROCPRIM_400000_NS6detail17trampoline_kernelINS0_14default_configENS1_35radix_sort_onesweep_config_selectorIsNS0_10empty_typeEEEZZNS1_29radix_sort_onesweep_iterationIS3_Lb0EN6thrust23THRUST_200600_302600_NS6detail15normal_iteratorINS9_10device_ptrIsEEEESE_PS5_SF_jNS0_19identity_decomposerENS1_16block_id_wrapperIjLb0EEEEE10hipError_tT1_PNSt15iterator_traitsISK_E10value_typeET2_T3_PNSL_ISQ_E10value_typeET4_T5_PSV_SW_PNS1_23onesweep_lookback_stateEbbT6_jjT7_P12ihipStream_tbENKUlT_T0_SK_SP_E_clISE_SE_SF_SF_EEDaS13_S14_SK_SP_EUlS13_E_NS1_11comp_targetILNS1_3genE6ELNS1_11target_archE950ELNS1_3gpuE13ELNS1_3repE0EEENS1_47radix_sort_onesweep_sort_config_static_selectorELNS0_4arch9wavefront6targetE1EEEvSK_.kd
    .uniform_work_group_size: 1
    .uses_dynamic_stack: false
    .vgpr_count:     0
    .vgpr_spill_count: 0
    .wavefront_size: 64
  - .agpr_count:     0
    .args:
      - .offset:         0
        .size:           88
        .value_kind:     by_value
      - .offset:         88
        .size:           4
        .value_kind:     hidden_block_count_x
      - .offset:         92
        .size:           4
        .value_kind:     hidden_block_count_y
      - .offset:         96
        .size:           4
        .value_kind:     hidden_block_count_z
      - .offset:         100
        .size:           2
        .value_kind:     hidden_group_size_x
      - .offset:         102
        .size:           2
        .value_kind:     hidden_group_size_y
      - .offset:         104
        .size:           2
        .value_kind:     hidden_group_size_z
      - .offset:         106
        .size:           2
        .value_kind:     hidden_remainder_x
      - .offset:         108
        .size:           2
        .value_kind:     hidden_remainder_y
      - .offset:         110
        .size:           2
        .value_kind:     hidden_remainder_z
      - .offset:         128
        .size:           8
        .value_kind:     hidden_global_offset_x
      - .offset:         136
        .size:           8
        .value_kind:     hidden_global_offset_y
      - .offset:         144
        .size:           8
        .value_kind:     hidden_global_offset_z
      - .offset:         152
        .size:           2
        .value_kind:     hidden_grid_dims
    .group_segment_fixed_size: 25608
    .kernarg_segment_align: 8
    .kernarg_segment_size: 344
    .language:       OpenCL C
    .language_version:
      - 2
      - 0
    .max_flat_workgroup_size: 1024
    .name:           _ZN7rocprim17ROCPRIM_400000_NS6detail17trampoline_kernelINS0_14default_configENS1_35radix_sort_onesweep_config_selectorIsNS0_10empty_typeEEEZZNS1_29radix_sort_onesweep_iterationIS3_Lb0EN6thrust23THRUST_200600_302600_NS6detail15normal_iteratorINS9_10device_ptrIsEEEESE_PS5_SF_jNS0_19identity_decomposerENS1_16block_id_wrapperIjLb0EEEEE10hipError_tT1_PNSt15iterator_traitsISK_E10value_typeET2_T3_PNSL_ISQ_E10value_typeET4_T5_PSV_SW_PNS1_23onesweep_lookback_stateEbbT6_jjT7_P12ihipStream_tbENKUlT_T0_SK_SP_E_clISE_SE_SF_SF_EEDaS13_S14_SK_SP_EUlS13_E_NS1_11comp_targetILNS1_3genE5ELNS1_11target_archE942ELNS1_3gpuE9ELNS1_3repE0EEENS1_47radix_sort_onesweep_sort_config_static_selectorELNS0_4arch9wavefront6targetE1EEEvSK_
    .private_segment_fixed_size: 0
    .sgpr_count:     38
    .sgpr_spill_count: 0
    .symbol:         _ZN7rocprim17ROCPRIM_400000_NS6detail17trampoline_kernelINS0_14default_configENS1_35radix_sort_onesweep_config_selectorIsNS0_10empty_typeEEEZZNS1_29radix_sort_onesweep_iterationIS3_Lb0EN6thrust23THRUST_200600_302600_NS6detail15normal_iteratorINS9_10device_ptrIsEEEESE_PS5_SF_jNS0_19identity_decomposerENS1_16block_id_wrapperIjLb0EEEEE10hipError_tT1_PNSt15iterator_traitsISK_E10value_typeET2_T3_PNSL_ISQ_E10value_typeET4_T5_PSV_SW_PNS1_23onesweep_lookback_stateEbbT6_jjT7_P12ihipStream_tbENKUlT_T0_SK_SP_E_clISE_SE_SF_SF_EEDaS13_S14_SK_SP_EUlS13_E_NS1_11comp_targetILNS1_3genE5ELNS1_11target_archE942ELNS1_3gpuE9ELNS1_3repE0EEENS1_47radix_sort_onesweep_sort_config_static_selectorELNS0_4arch9wavefront6targetE1EEEvSK_.kd
    .uniform_work_group_size: 1
    .uses_dynamic_stack: false
    .vgpr_count:     62
    .vgpr_spill_count: 0
    .wavefront_size: 64
  - .agpr_count:     0
    .args:
      - .offset:         0
        .size:           88
        .value_kind:     by_value
    .group_segment_fixed_size: 0
    .kernarg_segment_align: 8
    .kernarg_segment_size: 88
    .language:       OpenCL C
    .language_version:
      - 2
      - 0
    .max_flat_workgroup_size: 512
    .name:           _ZN7rocprim17ROCPRIM_400000_NS6detail17trampoline_kernelINS0_14default_configENS1_35radix_sort_onesweep_config_selectorIsNS0_10empty_typeEEEZZNS1_29radix_sort_onesweep_iterationIS3_Lb0EN6thrust23THRUST_200600_302600_NS6detail15normal_iteratorINS9_10device_ptrIsEEEESE_PS5_SF_jNS0_19identity_decomposerENS1_16block_id_wrapperIjLb0EEEEE10hipError_tT1_PNSt15iterator_traitsISK_E10value_typeET2_T3_PNSL_ISQ_E10value_typeET4_T5_PSV_SW_PNS1_23onesweep_lookback_stateEbbT6_jjT7_P12ihipStream_tbENKUlT_T0_SK_SP_E_clISE_SE_SF_SF_EEDaS13_S14_SK_SP_EUlS13_E_NS1_11comp_targetILNS1_3genE2ELNS1_11target_archE906ELNS1_3gpuE6ELNS1_3repE0EEENS1_47radix_sort_onesweep_sort_config_static_selectorELNS0_4arch9wavefront6targetE1EEEvSK_
    .private_segment_fixed_size: 0
    .sgpr_count:     6
    .sgpr_spill_count: 0
    .symbol:         _ZN7rocprim17ROCPRIM_400000_NS6detail17trampoline_kernelINS0_14default_configENS1_35radix_sort_onesweep_config_selectorIsNS0_10empty_typeEEEZZNS1_29radix_sort_onesweep_iterationIS3_Lb0EN6thrust23THRUST_200600_302600_NS6detail15normal_iteratorINS9_10device_ptrIsEEEESE_PS5_SF_jNS0_19identity_decomposerENS1_16block_id_wrapperIjLb0EEEEE10hipError_tT1_PNSt15iterator_traitsISK_E10value_typeET2_T3_PNSL_ISQ_E10value_typeET4_T5_PSV_SW_PNS1_23onesweep_lookback_stateEbbT6_jjT7_P12ihipStream_tbENKUlT_T0_SK_SP_E_clISE_SE_SF_SF_EEDaS13_S14_SK_SP_EUlS13_E_NS1_11comp_targetILNS1_3genE2ELNS1_11target_archE906ELNS1_3gpuE6ELNS1_3repE0EEENS1_47radix_sort_onesweep_sort_config_static_selectorELNS0_4arch9wavefront6targetE1EEEvSK_.kd
    .uniform_work_group_size: 1
    .uses_dynamic_stack: false
    .vgpr_count:     0
    .vgpr_spill_count: 0
    .wavefront_size: 64
  - .agpr_count:     0
    .args:
      - .offset:         0
        .size:           88
        .value_kind:     by_value
    .group_segment_fixed_size: 0
    .kernarg_segment_align: 8
    .kernarg_segment_size: 88
    .language:       OpenCL C
    .language_version:
      - 2
      - 0
    .max_flat_workgroup_size: 1024
    .name:           _ZN7rocprim17ROCPRIM_400000_NS6detail17trampoline_kernelINS0_14default_configENS1_35radix_sort_onesweep_config_selectorIsNS0_10empty_typeEEEZZNS1_29radix_sort_onesweep_iterationIS3_Lb0EN6thrust23THRUST_200600_302600_NS6detail15normal_iteratorINS9_10device_ptrIsEEEESE_PS5_SF_jNS0_19identity_decomposerENS1_16block_id_wrapperIjLb0EEEEE10hipError_tT1_PNSt15iterator_traitsISK_E10value_typeET2_T3_PNSL_ISQ_E10value_typeET4_T5_PSV_SW_PNS1_23onesweep_lookback_stateEbbT6_jjT7_P12ihipStream_tbENKUlT_T0_SK_SP_E_clISE_SE_SF_SF_EEDaS13_S14_SK_SP_EUlS13_E_NS1_11comp_targetILNS1_3genE4ELNS1_11target_archE910ELNS1_3gpuE8ELNS1_3repE0EEENS1_47radix_sort_onesweep_sort_config_static_selectorELNS0_4arch9wavefront6targetE1EEEvSK_
    .private_segment_fixed_size: 0
    .sgpr_count:     6
    .sgpr_spill_count: 0
    .symbol:         _ZN7rocprim17ROCPRIM_400000_NS6detail17trampoline_kernelINS0_14default_configENS1_35radix_sort_onesweep_config_selectorIsNS0_10empty_typeEEEZZNS1_29radix_sort_onesweep_iterationIS3_Lb0EN6thrust23THRUST_200600_302600_NS6detail15normal_iteratorINS9_10device_ptrIsEEEESE_PS5_SF_jNS0_19identity_decomposerENS1_16block_id_wrapperIjLb0EEEEE10hipError_tT1_PNSt15iterator_traitsISK_E10value_typeET2_T3_PNSL_ISQ_E10value_typeET4_T5_PSV_SW_PNS1_23onesweep_lookback_stateEbbT6_jjT7_P12ihipStream_tbENKUlT_T0_SK_SP_E_clISE_SE_SF_SF_EEDaS13_S14_SK_SP_EUlS13_E_NS1_11comp_targetILNS1_3genE4ELNS1_11target_archE910ELNS1_3gpuE8ELNS1_3repE0EEENS1_47radix_sort_onesweep_sort_config_static_selectorELNS0_4arch9wavefront6targetE1EEEvSK_.kd
    .uniform_work_group_size: 1
    .uses_dynamic_stack: false
    .vgpr_count:     0
    .vgpr_spill_count: 0
    .wavefront_size: 64
  - .agpr_count:     0
    .args:
      - .offset:         0
        .size:           88
        .value_kind:     by_value
    .group_segment_fixed_size: 0
    .kernarg_segment_align: 8
    .kernarg_segment_size: 88
    .language:       OpenCL C
    .language_version:
      - 2
      - 0
    .max_flat_workgroup_size: 512
    .name:           _ZN7rocprim17ROCPRIM_400000_NS6detail17trampoline_kernelINS0_14default_configENS1_35radix_sort_onesweep_config_selectorIsNS0_10empty_typeEEEZZNS1_29radix_sort_onesweep_iterationIS3_Lb0EN6thrust23THRUST_200600_302600_NS6detail15normal_iteratorINS9_10device_ptrIsEEEESE_PS5_SF_jNS0_19identity_decomposerENS1_16block_id_wrapperIjLb0EEEEE10hipError_tT1_PNSt15iterator_traitsISK_E10value_typeET2_T3_PNSL_ISQ_E10value_typeET4_T5_PSV_SW_PNS1_23onesweep_lookback_stateEbbT6_jjT7_P12ihipStream_tbENKUlT_T0_SK_SP_E_clISE_SE_SF_SF_EEDaS13_S14_SK_SP_EUlS13_E_NS1_11comp_targetILNS1_3genE3ELNS1_11target_archE908ELNS1_3gpuE7ELNS1_3repE0EEENS1_47radix_sort_onesweep_sort_config_static_selectorELNS0_4arch9wavefront6targetE1EEEvSK_
    .private_segment_fixed_size: 0
    .sgpr_count:     6
    .sgpr_spill_count: 0
    .symbol:         _ZN7rocprim17ROCPRIM_400000_NS6detail17trampoline_kernelINS0_14default_configENS1_35radix_sort_onesweep_config_selectorIsNS0_10empty_typeEEEZZNS1_29radix_sort_onesweep_iterationIS3_Lb0EN6thrust23THRUST_200600_302600_NS6detail15normal_iteratorINS9_10device_ptrIsEEEESE_PS5_SF_jNS0_19identity_decomposerENS1_16block_id_wrapperIjLb0EEEEE10hipError_tT1_PNSt15iterator_traitsISK_E10value_typeET2_T3_PNSL_ISQ_E10value_typeET4_T5_PSV_SW_PNS1_23onesweep_lookback_stateEbbT6_jjT7_P12ihipStream_tbENKUlT_T0_SK_SP_E_clISE_SE_SF_SF_EEDaS13_S14_SK_SP_EUlS13_E_NS1_11comp_targetILNS1_3genE3ELNS1_11target_archE908ELNS1_3gpuE7ELNS1_3repE0EEENS1_47radix_sort_onesweep_sort_config_static_selectorELNS0_4arch9wavefront6targetE1EEEvSK_.kd
    .uniform_work_group_size: 1
    .uses_dynamic_stack: false
    .vgpr_count:     0
    .vgpr_spill_count: 0
    .wavefront_size: 64
  - .agpr_count:     0
    .args:
      - .offset:         0
        .size:           88
        .value_kind:     by_value
    .group_segment_fixed_size: 0
    .kernarg_segment_align: 8
    .kernarg_segment_size: 88
    .language:       OpenCL C
    .language_version:
      - 2
      - 0
    .max_flat_workgroup_size: 256
    .name:           _ZN7rocprim17ROCPRIM_400000_NS6detail17trampoline_kernelINS0_14default_configENS1_35radix_sort_onesweep_config_selectorIsNS0_10empty_typeEEEZZNS1_29radix_sort_onesweep_iterationIS3_Lb0EN6thrust23THRUST_200600_302600_NS6detail15normal_iteratorINS9_10device_ptrIsEEEESE_PS5_SF_jNS0_19identity_decomposerENS1_16block_id_wrapperIjLb0EEEEE10hipError_tT1_PNSt15iterator_traitsISK_E10value_typeET2_T3_PNSL_ISQ_E10value_typeET4_T5_PSV_SW_PNS1_23onesweep_lookback_stateEbbT6_jjT7_P12ihipStream_tbENKUlT_T0_SK_SP_E_clISE_SE_SF_SF_EEDaS13_S14_SK_SP_EUlS13_E_NS1_11comp_targetILNS1_3genE10ELNS1_11target_archE1201ELNS1_3gpuE5ELNS1_3repE0EEENS1_47radix_sort_onesweep_sort_config_static_selectorELNS0_4arch9wavefront6targetE1EEEvSK_
    .private_segment_fixed_size: 0
    .sgpr_count:     6
    .sgpr_spill_count: 0
    .symbol:         _ZN7rocprim17ROCPRIM_400000_NS6detail17trampoline_kernelINS0_14default_configENS1_35radix_sort_onesweep_config_selectorIsNS0_10empty_typeEEEZZNS1_29radix_sort_onesweep_iterationIS3_Lb0EN6thrust23THRUST_200600_302600_NS6detail15normal_iteratorINS9_10device_ptrIsEEEESE_PS5_SF_jNS0_19identity_decomposerENS1_16block_id_wrapperIjLb0EEEEE10hipError_tT1_PNSt15iterator_traitsISK_E10value_typeET2_T3_PNSL_ISQ_E10value_typeET4_T5_PSV_SW_PNS1_23onesweep_lookback_stateEbbT6_jjT7_P12ihipStream_tbENKUlT_T0_SK_SP_E_clISE_SE_SF_SF_EEDaS13_S14_SK_SP_EUlS13_E_NS1_11comp_targetILNS1_3genE10ELNS1_11target_archE1201ELNS1_3gpuE5ELNS1_3repE0EEENS1_47radix_sort_onesweep_sort_config_static_selectorELNS0_4arch9wavefront6targetE1EEEvSK_.kd
    .uniform_work_group_size: 1
    .uses_dynamic_stack: false
    .vgpr_count:     0
    .vgpr_spill_count: 0
    .wavefront_size: 64
  - .agpr_count:     0
    .args:
      - .offset:         0
        .size:           88
        .value_kind:     by_value
    .group_segment_fixed_size: 0
    .kernarg_segment_align: 8
    .kernarg_segment_size: 88
    .language:       OpenCL C
    .language_version:
      - 2
      - 0
    .max_flat_workgroup_size: 256
    .name:           _ZN7rocprim17ROCPRIM_400000_NS6detail17trampoline_kernelINS0_14default_configENS1_35radix_sort_onesweep_config_selectorIsNS0_10empty_typeEEEZZNS1_29radix_sort_onesweep_iterationIS3_Lb0EN6thrust23THRUST_200600_302600_NS6detail15normal_iteratorINS9_10device_ptrIsEEEESE_PS5_SF_jNS0_19identity_decomposerENS1_16block_id_wrapperIjLb0EEEEE10hipError_tT1_PNSt15iterator_traitsISK_E10value_typeET2_T3_PNSL_ISQ_E10value_typeET4_T5_PSV_SW_PNS1_23onesweep_lookback_stateEbbT6_jjT7_P12ihipStream_tbENKUlT_T0_SK_SP_E_clISE_SE_SF_SF_EEDaS13_S14_SK_SP_EUlS13_E_NS1_11comp_targetILNS1_3genE9ELNS1_11target_archE1100ELNS1_3gpuE3ELNS1_3repE0EEENS1_47radix_sort_onesweep_sort_config_static_selectorELNS0_4arch9wavefront6targetE1EEEvSK_
    .private_segment_fixed_size: 0
    .sgpr_count:     6
    .sgpr_spill_count: 0
    .symbol:         _ZN7rocprim17ROCPRIM_400000_NS6detail17trampoline_kernelINS0_14default_configENS1_35radix_sort_onesweep_config_selectorIsNS0_10empty_typeEEEZZNS1_29radix_sort_onesweep_iterationIS3_Lb0EN6thrust23THRUST_200600_302600_NS6detail15normal_iteratorINS9_10device_ptrIsEEEESE_PS5_SF_jNS0_19identity_decomposerENS1_16block_id_wrapperIjLb0EEEEE10hipError_tT1_PNSt15iterator_traitsISK_E10value_typeET2_T3_PNSL_ISQ_E10value_typeET4_T5_PSV_SW_PNS1_23onesweep_lookback_stateEbbT6_jjT7_P12ihipStream_tbENKUlT_T0_SK_SP_E_clISE_SE_SF_SF_EEDaS13_S14_SK_SP_EUlS13_E_NS1_11comp_targetILNS1_3genE9ELNS1_11target_archE1100ELNS1_3gpuE3ELNS1_3repE0EEENS1_47radix_sort_onesweep_sort_config_static_selectorELNS0_4arch9wavefront6targetE1EEEvSK_.kd
    .uniform_work_group_size: 1
    .uses_dynamic_stack: false
    .vgpr_count:     0
    .vgpr_spill_count: 0
    .wavefront_size: 64
  - .agpr_count:     0
    .args:
      - .offset:         0
        .size:           88
        .value_kind:     by_value
    .group_segment_fixed_size: 0
    .kernarg_segment_align: 8
    .kernarg_segment_size: 88
    .language:       OpenCL C
    .language_version:
      - 2
      - 0
    .max_flat_workgroup_size: 256
    .name:           _ZN7rocprim17ROCPRIM_400000_NS6detail17trampoline_kernelINS0_14default_configENS1_35radix_sort_onesweep_config_selectorIsNS0_10empty_typeEEEZZNS1_29radix_sort_onesweep_iterationIS3_Lb0EN6thrust23THRUST_200600_302600_NS6detail15normal_iteratorINS9_10device_ptrIsEEEESE_PS5_SF_jNS0_19identity_decomposerENS1_16block_id_wrapperIjLb0EEEEE10hipError_tT1_PNSt15iterator_traitsISK_E10value_typeET2_T3_PNSL_ISQ_E10value_typeET4_T5_PSV_SW_PNS1_23onesweep_lookback_stateEbbT6_jjT7_P12ihipStream_tbENKUlT_T0_SK_SP_E_clISE_SE_SF_SF_EEDaS13_S14_SK_SP_EUlS13_E_NS1_11comp_targetILNS1_3genE8ELNS1_11target_archE1030ELNS1_3gpuE2ELNS1_3repE0EEENS1_47radix_sort_onesweep_sort_config_static_selectorELNS0_4arch9wavefront6targetE1EEEvSK_
    .private_segment_fixed_size: 0
    .sgpr_count:     6
    .sgpr_spill_count: 0
    .symbol:         _ZN7rocprim17ROCPRIM_400000_NS6detail17trampoline_kernelINS0_14default_configENS1_35radix_sort_onesweep_config_selectorIsNS0_10empty_typeEEEZZNS1_29radix_sort_onesweep_iterationIS3_Lb0EN6thrust23THRUST_200600_302600_NS6detail15normal_iteratorINS9_10device_ptrIsEEEESE_PS5_SF_jNS0_19identity_decomposerENS1_16block_id_wrapperIjLb0EEEEE10hipError_tT1_PNSt15iterator_traitsISK_E10value_typeET2_T3_PNSL_ISQ_E10value_typeET4_T5_PSV_SW_PNS1_23onesweep_lookback_stateEbbT6_jjT7_P12ihipStream_tbENKUlT_T0_SK_SP_E_clISE_SE_SF_SF_EEDaS13_S14_SK_SP_EUlS13_E_NS1_11comp_targetILNS1_3genE8ELNS1_11target_archE1030ELNS1_3gpuE2ELNS1_3repE0EEENS1_47radix_sort_onesweep_sort_config_static_selectorELNS0_4arch9wavefront6targetE1EEEvSK_.kd
    .uniform_work_group_size: 1
    .uses_dynamic_stack: false
    .vgpr_count:     0
    .vgpr_spill_count: 0
    .wavefront_size: 64
  - .agpr_count:     0
    .args:
      - .offset:         0
        .size:           88
        .value_kind:     by_value
    .group_segment_fixed_size: 0
    .kernarg_segment_align: 8
    .kernarg_segment_size: 88
    .language:       OpenCL C
    .language_version:
      - 2
      - 0
    .max_flat_workgroup_size: 512
    .name:           _ZN7rocprim17ROCPRIM_400000_NS6detail17trampoline_kernelINS0_14default_configENS1_35radix_sort_onesweep_config_selectorIsNS0_10empty_typeEEEZZNS1_29radix_sort_onesweep_iterationIS3_Lb0EN6thrust23THRUST_200600_302600_NS6detail15normal_iteratorINS9_10device_ptrIsEEEESE_PS5_SF_jNS0_19identity_decomposerENS1_16block_id_wrapperIjLb0EEEEE10hipError_tT1_PNSt15iterator_traitsISK_E10value_typeET2_T3_PNSL_ISQ_E10value_typeET4_T5_PSV_SW_PNS1_23onesweep_lookback_stateEbbT6_jjT7_P12ihipStream_tbENKUlT_T0_SK_SP_E_clISE_PsSF_SF_EEDaS13_S14_SK_SP_EUlS13_E_NS1_11comp_targetILNS1_3genE0ELNS1_11target_archE4294967295ELNS1_3gpuE0ELNS1_3repE0EEENS1_47radix_sort_onesweep_sort_config_static_selectorELNS0_4arch9wavefront6targetE1EEEvSK_
    .private_segment_fixed_size: 0
    .sgpr_count:     6
    .sgpr_spill_count: 0
    .symbol:         _ZN7rocprim17ROCPRIM_400000_NS6detail17trampoline_kernelINS0_14default_configENS1_35radix_sort_onesweep_config_selectorIsNS0_10empty_typeEEEZZNS1_29radix_sort_onesweep_iterationIS3_Lb0EN6thrust23THRUST_200600_302600_NS6detail15normal_iteratorINS9_10device_ptrIsEEEESE_PS5_SF_jNS0_19identity_decomposerENS1_16block_id_wrapperIjLb0EEEEE10hipError_tT1_PNSt15iterator_traitsISK_E10value_typeET2_T3_PNSL_ISQ_E10value_typeET4_T5_PSV_SW_PNS1_23onesweep_lookback_stateEbbT6_jjT7_P12ihipStream_tbENKUlT_T0_SK_SP_E_clISE_PsSF_SF_EEDaS13_S14_SK_SP_EUlS13_E_NS1_11comp_targetILNS1_3genE0ELNS1_11target_archE4294967295ELNS1_3gpuE0ELNS1_3repE0EEENS1_47radix_sort_onesweep_sort_config_static_selectorELNS0_4arch9wavefront6targetE1EEEvSK_.kd
    .uniform_work_group_size: 1
    .uses_dynamic_stack: false
    .vgpr_count:     0
    .vgpr_spill_count: 0
    .wavefront_size: 64
  - .agpr_count:     0
    .args:
      - .offset:         0
        .size:           88
        .value_kind:     by_value
    .group_segment_fixed_size: 0
    .kernarg_segment_align: 8
    .kernarg_segment_size: 88
    .language:       OpenCL C
    .language_version:
      - 2
      - 0
    .max_flat_workgroup_size: 1024
    .name:           _ZN7rocprim17ROCPRIM_400000_NS6detail17trampoline_kernelINS0_14default_configENS1_35radix_sort_onesweep_config_selectorIsNS0_10empty_typeEEEZZNS1_29radix_sort_onesweep_iterationIS3_Lb0EN6thrust23THRUST_200600_302600_NS6detail15normal_iteratorINS9_10device_ptrIsEEEESE_PS5_SF_jNS0_19identity_decomposerENS1_16block_id_wrapperIjLb0EEEEE10hipError_tT1_PNSt15iterator_traitsISK_E10value_typeET2_T3_PNSL_ISQ_E10value_typeET4_T5_PSV_SW_PNS1_23onesweep_lookback_stateEbbT6_jjT7_P12ihipStream_tbENKUlT_T0_SK_SP_E_clISE_PsSF_SF_EEDaS13_S14_SK_SP_EUlS13_E_NS1_11comp_targetILNS1_3genE6ELNS1_11target_archE950ELNS1_3gpuE13ELNS1_3repE0EEENS1_47radix_sort_onesweep_sort_config_static_selectorELNS0_4arch9wavefront6targetE1EEEvSK_
    .private_segment_fixed_size: 0
    .sgpr_count:     6
    .sgpr_spill_count: 0
    .symbol:         _ZN7rocprim17ROCPRIM_400000_NS6detail17trampoline_kernelINS0_14default_configENS1_35radix_sort_onesweep_config_selectorIsNS0_10empty_typeEEEZZNS1_29radix_sort_onesweep_iterationIS3_Lb0EN6thrust23THRUST_200600_302600_NS6detail15normal_iteratorINS9_10device_ptrIsEEEESE_PS5_SF_jNS0_19identity_decomposerENS1_16block_id_wrapperIjLb0EEEEE10hipError_tT1_PNSt15iterator_traitsISK_E10value_typeET2_T3_PNSL_ISQ_E10value_typeET4_T5_PSV_SW_PNS1_23onesweep_lookback_stateEbbT6_jjT7_P12ihipStream_tbENKUlT_T0_SK_SP_E_clISE_PsSF_SF_EEDaS13_S14_SK_SP_EUlS13_E_NS1_11comp_targetILNS1_3genE6ELNS1_11target_archE950ELNS1_3gpuE13ELNS1_3repE0EEENS1_47radix_sort_onesweep_sort_config_static_selectorELNS0_4arch9wavefront6targetE1EEEvSK_.kd
    .uniform_work_group_size: 1
    .uses_dynamic_stack: false
    .vgpr_count:     0
    .vgpr_spill_count: 0
    .wavefront_size: 64
  - .agpr_count:     0
    .args:
      - .offset:         0
        .size:           88
        .value_kind:     by_value
      - .offset:         88
        .size:           4
        .value_kind:     hidden_block_count_x
      - .offset:         92
        .size:           4
        .value_kind:     hidden_block_count_y
      - .offset:         96
        .size:           4
        .value_kind:     hidden_block_count_z
      - .offset:         100
        .size:           2
        .value_kind:     hidden_group_size_x
      - .offset:         102
        .size:           2
        .value_kind:     hidden_group_size_y
      - .offset:         104
        .size:           2
        .value_kind:     hidden_group_size_z
      - .offset:         106
        .size:           2
        .value_kind:     hidden_remainder_x
      - .offset:         108
        .size:           2
        .value_kind:     hidden_remainder_y
      - .offset:         110
        .size:           2
        .value_kind:     hidden_remainder_z
      - .offset:         128
        .size:           8
        .value_kind:     hidden_global_offset_x
      - .offset:         136
        .size:           8
        .value_kind:     hidden_global_offset_y
      - .offset:         144
        .size:           8
        .value_kind:     hidden_global_offset_z
      - .offset:         152
        .size:           2
        .value_kind:     hidden_grid_dims
    .group_segment_fixed_size: 25608
    .kernarg_segment_align: 8
    .kernarg_segment_size: 344
    .language:       OpenCL C
    .language_version:
      - 2
      - 0
    .max_flat_workgroup_size: 1024
    .name:           _ZN7rocprim17ROCPRIM_400000_NS6detail17trampoline_kernelINS0_14default_configENS1_35radix_sort_onesweep_config_selectorIsNS0_10empty_typeEEEZZNS1_29radix_sort_onesweep_iterationIS3_Lb0EN6thrust23THRUST_200600_302600_NS6detail15normal_iteratorINS9_10device_ptrIsEEEESE_PS5_SF_jNS0_19identity_decomposerENS1_16block_id_wrapperIjLb0EEEEE10hipError_tT1_PNSt15iterator_traitsISK_E10value_typeET2_T3_PNSL_ISQ_E10value_typeET4_T5_PSV_SW_PNS1_23onesweep_lookback_stateEbbT6_jjT7_P12ihipStream_tbENKUlT_T0_SK_SP_E_clISE_PsSF_SF_EEDaS13_S14_SK_SP_EUlS13_E_NS1_11comp_targetILNS1_3genE5ELNS1_11target_archE942ELNS1_3gpuE9ELNS1_3repE0EEENS1_47radix_sort_onesweep_sort_config_static_selectorELNS0_4arch9wavefront6targetE1EEEvSK_
    .private_segment_fixed_size: 0
    .sgpr_count:     38
    .sgpr_spill_count: 0
    .symbol:         _ZN7rocprim17ROCPRIM_400000_NS6detail17trampoline_kernelINS0_14default_configENS1_35radix_sort_onesweep_config_selectorIsNS0_10empty_typeEEEZZNS1_29radix_sort_onesweep_iterationIS3_Lb0EN6thrust23THRUST_200600_302600_NS6detail15normal_iteratorINS9_10device_ptrIsEEEESE_PS5_SF_jNS0_19identity_decomposerENS1_16block_id_wrapperIjLb0EEEEE10hipError_tT1_PNSt15iterator_traitsISK_E10value_typeET2_T3_PNSL_ISQ_E10value_typeET4_T5_PSV_SW_PNS1_23onesweep_lookback_stateEbbT6_jjT7_P12ihipStream_tbENKUlT_T0_SK_SP_E_clISE_PsSF_SF_EEDaS13_S14_SK_SP_EUlS13_E_NS1_11comp_targetILNS1_3genE5ELNS1_11target_archE942ELNS1_3gpuE9ELNS1_3repE0EEENS1_47radix_sort_onesweep_sort_config_static_selectorELNS0_4arch9wavefront6targetE1EEEvSK_.kd
    .uniform_work_group_size: 1
    .uses_dynamic_stack: false
    .vgpr_count:     62
    .vgpr_spill_count: 0
    .wavefront_size: 64
  - .agpr_count:     0
    .args:
      - .offset:         0
        .size:           88
        .value_kind:     by_value
    .group_segment_fixed_size: 0
    .kernarg_segment_align: 8
    .kernarg_segment_size: 88
    .language:       OpenCL C
    .language_version:
      - 2
      - 0
    .max_flat_workgroup_size: 512
    .name:           _ZN7rocprim17ROCPRIM_400000_NS6detail17trampoline_kernelINS0_14default_configENS1_35radix_sort_onesweep_config_selectorIsNS0_10empty_typeEEEZZNS1_29radix_sort_onesweep_iterationIS3_Lb0EN6thrust23THRUST_200600_302600_NS6detail15normal_iteratorINS9_10device_ptrIsEEEESE_PS5_SF_jNS0_19identity_decomposerENS1_16block_id_wrapperIjLb0EEEEE10hipError_tT1_PNSt15iterator_traitsISK_E10value_typeET2_T3_PNSL_ISQ_E10value_typeET4_T5_PSV_SW_PNS1_23onesweep_lookback_stateEbbT6_jjT7_P12ihipStream_tbENKUlT_T0_SK_SP_E_clISE_PsSF_SF_EEDaS13_S14_SK_SP_EUlS13_E_NS1_11comp_targetILNS1_3genE2ELNS1_11target_archE906ELNS1_3gpuE6ELNS1_3repE0EEENS1_47radix_sort_onesweep_sort_config_static_selectorELNS0_4arch9wavefront6targetE1EEEvSK_
    .private_segment_fixed_size: 0
    .sgpr_count:     6
    .sgpr_spill_count: 0
    .symbol:         _ZN7rocprim17ROCPRIM_400000_NS6detail17trampoline_kernelINS0_14default_configENS1_35radix_sort_onesweep_config_selectorIsNS0_10empty_typeEEEZZNS1_29radix_sort_onesweep_iterationIS3_Lb0EN6thrust23THRUST_200600_302600_NS6detail15normal_iteratorINS9_10device_ptrIsEEEESE_PS5_SF_jNS0_19identity_decomposerENS1_16block_id_wrapperIjLb0EEEEE10hipError_tT1_PNSt15iterator_traitsISK_E10value_typeET2_T3_PNSL_ISQ_E10value_typeET4_T5_PSV_SW_PNS1_23onesweep_lookback_stateEbbT6_jjT7_P12ihipStream_tbENKUlT_T0_SK_SP_E_clISE_PsSF_SF_EEDaS13_S14_SK_SP_EUlS13_E_NS1_11comp_targetILNS1_3genE2ELNS1_11target_archE906ELNS1_3gpuE6ELNS1_3repE0EEENS1_47radix_sort_onesweep_sort_config_static_selectorELNS0_4arch9wavefront6targetE1EEEvSK_.kd
    .uniform_work_group_size: 1
    .uses_dynamic_stack: false
    .vgpr_count:     0
    .vgpr_spill_count: 0
    .wavefront_size: 64
  - .agpr_count:     0
    .args:
      - .offset:         0
        .size:           88
        .value_kind:     by_value
    .group_segment_fixed_size: 0
    .kernarg_segment_align: 8
    .kernarg_segment_size: 88
    .language:       OpenCL C
    .language_version:
      - 2
      - 0
    .max_flat_workgroup_size: 1024
    .name:           _ZN7rocprim17ROCPRIM_400000_NS6detail17trampoline_kernelINS0_14default_configENS1_35radix_sort_onesweep_config_selectorIsNS0_10empty_typeEEEZZNS1_29radix_sort_onesweep_iterationIS3_Lb0EN6thrust23THRUST_200600_302600_NS6detail15normal_iteratorINS9_10device_ptrIsEEEESE_PS5_SF_jNS0_19identity_decomposerENS1_16block_id_wrapperIjLb0EEEEE10hipError_tT1_PNSt15iterator_traitsISK_E10value_typeET2_T3_PNSL_ISQ_E10value_typeET4_T5_PSV_SW_PNS1_23onesweep_lookback_stateEbbT6_jjT7_P12ihipStream_tbENKUlT_T0_SK_SP_E_clISE_PsSF_SF_EEDaS13_S14_SK_SP_EUlS13_E_NS1_11comp_targetILNS1_3genE4ELNS1_11target_archE910ELNS1_3gpuE8ELNS1_3repE0EEENS1_47radix_sort_onesweep_sort_config_static_selectorELNS0_4arch9wavefront6targetE1EEEvSK_
    .private_segment_fixed_size: 0
    .sgpr_count:     6
    .sgpr_spill_count: 0
    .symbol:         _ZN7rocprim17ROCPRIM_400000_NS6detail17trampoline_kernelINS0_14default_configENS1_35radix_sort_onesweep_config_selectorIsNS0_10empty_typeEEEZZNS1_29radix_sort_onesweep_iterationIS3_Lb0EN6thrust23THRUST_200600_302600_NS6detail15normal_iteratorINS9_10device_ptrIsEEEESE_PS5_SF_jNS0_19identity_decomposerENS1_16block_id_wrapperIjLb0EEEEE10hipError_tT1_PNSt15iterator_traitsISK_E10value_typeET2_T3_PNSL_ISQ_E10value_typeET4_T5_PSV_SW_PNS1_23onesweep_lookback_stateEbbT6_jjT7_P12ihipStream_tbENKUlT_T0_SK_SP_E_clISE_PsSF_SF_EEDaS13_S14_SK_SP_EUlS13_E_NS1_11comp_targetILNS1_3genE4ELNS1_11target_archE910ELNS1_3gpuE8ELNS1_3repE0EEENS1_47radix_sort_onesweep_sort_config_static_selectorELNS0_4arch9wavefront6targetE1EEEvSK_.kd
    .uniform_work_group_size: 1
    .uses_dynamic_stack: false
    .vgpr_count:     0
    .vgpr_spill_count: 0
    .wavefront_size: 64
  - .agpr_count:     0
    .args:
      - .offset:         0
        .size:           88
        .value_kind:     by_value
    .group_segment_fixed_size: 0
    .kernarg_segment_align: 8
    .kernarg_segment_size: 88
    .language:       OpenCL C
    .language_version:
      - 2
      - 0
    .max_flat_workgroup_size: 512
    .name:           _ZN7rocprim17ROCPRIM_400000_NS6detail17trampoline_kernelINS0_14default_configENS1_35radix_sort_onesweep_config_selectorIsNS0_10empty_typeEEEZZNS1_29radix_sort_onesweep_iterationIS3_Lb0EN6thrust23THRUST_200600_302600_NS6detail15normal_iteratorINS9_10device_ptrIsEEEESE_PS5_SF_jNS0_19identity_decomposerENS1_16block_id_wrapperIjLb0EEEEE10hipError_tT1_PNSt15iterator_traitsISK_E10value_typeET2_T3_PNSL_ISQ_E10value_typeET4_T5_PSV_SW_PNS1_23onesweep_lookback_stateEbbT6_jjT7_P12ihipStream_tbENKUlT_T0_SK_SP_E_clISE_PsSF_SF_EEDaS13_S14_SK_SP_EUlS13_E_NS1_11comp_targetILNS1_3genE3ELNS1_11target_archE908ELNS1_3gpuE7ELNS1_3repE0EEENS1_47radix_sort_onesweep_sort_config_static_selectorELNS0_4arch9wavefront6targetE1EEEvSK_
    .private_segment_fixed_size: 0
    .sgpr_count:     6
    .sgpr_spill_count: 0
    .symbol:         _ZN7rocprim17ROCPRIM_400000_NS6detail17trampoline_kernelINS0_14default_configENS1_35radix_sort_onesweep_config_selectorIsNS0_10empty_typeEEEZZNS1_29radix_sort_onesweep_iterationIS3_Lb0EN6thrust23THRUST_200600_302600_NS6detail15normal_iteratorINS9_10device_ptrIsEEEESE_PS5_SF_jNS0_19identity_decomposerENS1_16block_id_wrapperIjLb0EEEEE10hipError_tT1_PNSt15iterator_traitsISK_E10value_typeET2_T3_PNSL_ISQ_E10value_typeET4_T5_PSV_SW_PNS1_23onesweep_lookback_stateEbbT6_jjT7_P12ihipStream_tbENKUlT_T0_SK_SP_E_clISE_PsSF_SF_EEDaS13_S14_SK_SP_EUlS13_E_NS1_11comp_targetILNS1_3genE3ELNS1_11target_archE908ELNS1_3gpuE7ELNS1_3repE0EEENS1_47radix_sort_onesweep_sort_config_static_selectorELNS0_4arch9wavefront6targetE1EEEvSK_.kd
    .uniform_work_group_size: 1
    .uses_dynamic_stack: false
    .vgpr_count:     0
    .vgpr_spill_count: 0
    .wavefront_size: 64
  - .agpr_count:     0
    .args:
      - .offset:         0
        .size:           88
        .value_kind:     by_value
    .group_segment_fixed_size: 0
    .kernarg_segment_align: 8
    .kernarg_segment_size: 88
    .language:       OpenCL C
    .language_version:
      - 2
      - 0
    .max_flat_workgroup_size: 256
    .name:           _ZN7rocprim17ROCPRIM_400000_NS6detail17trampoline_kernelINS0_14default_configENS1_35radix_sort_onesweep_config_selectorIsNS0_10empty_typeEEEZZNS1_29radix_sort_onesweep_iterationIS3_Lb0EN6thrust23THRUST_200600_302600_NS6detail15normal_iteratorINS9_10device_ptrIsEEEESE_PS5_SF_jNS0_19identity_decomposerENS1_16block_id_wrapperIjLb0EEEEE10hipError_tT1_PNSt15iterator_traitsISK_E10value_typeET2_T3_PNSL_ISQ_E10value_typeET4_T5_PSV_SW_PNS1_23onesweep_lookback_stateEbbT6_jjT7_P12ihipStream_tbENKUlT_T0_SK_SP_E_clISE_PsSF_SF_EEDaS13_S14_SK_SP_EUlS13_E_NS1_11comp_targetILNS1_3genE10ELNS1_11target_archE1201ELNS1_3gpuE5ELNS1_3repE0EEENS1_47radix_sort_onesweep_sort_config_static_selectorELNS0_4arch9wavefront6targetE1EEEvSK_
    .private_segment_fixed_size: 0
    .sgpr_count:     6
    .sgpr_spill_count: 0
    .symbol:         _ZN7rocprim17ROCPRIM_400000_NS6detail17trampoline_kernelINS0_14default_configENS1_35radix_sort_onesweep_config_selectorIsNS0_10empty_typeEEEZZNS1_29radix_sort_onesweep_iterationIS3_Lb0EN6thrust23THRUST_200600_302600_NS6detail15normal_iteratorINS9_10device_ptrIsEEEESE_PS5_SF_jNS0_19identity_decomposerENS1_16block_id_wrapperIjLb0EEEEE10hipError_tT1_PNSt15iterator_traitsISK_E10value_typeET2_T3_PNSL_ISQ_E10value_typeET4_T5_PSV_SW_PNS1_23onesweep_lookback_stateEbbT6_jjT7_P12ihipStream_tbENKUlT_T0_SK_SP_E_clISE_PsSF_SF_EEDaS13_S14_SK_SP_EUlS13_E_NS1_11comp_targetILNS1_3genE10ELNS1_11target_archE1201ELNS1_3gpuE5ELNS1_3repE0EEENS1_47radix_sort_onesweep_sort_config_static_selectorELNS0_4arch9wavefront6targetE1EEEvSK_.kd
    .uniform_work_group_size: 1
    .uses_dynamic_stack: false
    .vgpr_count:     0
    .vgpr_spill_count: 0
    .wavefront_size: 64
  - .agpr_count:     0
    .args:
      - .offset:         0
        .size:           88
        .value_kind:     by_value
    .group_segment_fixed_size: 0
    .kernarg_segment_align: 8
    .kernarg_segment_size: 88
    .language:       OpenCL C
    .language_version:
      - 2
      - 0
    .max_flat_workgroup_size: 256
    .name:           _ZN7rocprim17ROCPRIM_400000_NS6detail17trampoline_kernelINS0_14default_configENS1_35radix_sort_onesweep_config_selectorIsNS0_10empty_typeEEEZZNS1_29radix_sort_onesweep_iterationIS3_Lb0EN6thrust23THRUST_200600_302600_NS6detail15normal_iteratorINS9_10device_ptrIsEEEESE_PS5_SF_jNS0_19identity_decomposerENS1_16block_id_wrapperIjLb0EEEEE10hipError_tT1_PNSt15iterator_traitsISK_E10value_typeET2_T3_PNSL_ISQ_E10value_typeET4_T5_PSV_SW_PNS1_23onesweep_lookback_stateEbbT6_jjT7_P12ihipStream_tbENKUlT_T0_SK_SP_E_clISE_PsSF_SF_EEDaS13_S14_SK_SP_EUlS13_E_NS1_11comp_targetILNS1_3genE9ELNS1_11target_archE1100ELNS1_3gpuE3ELNS1_3repE0EEENS1_47radix_sort_onesweep_sort_config_static_selectorELNS0_4arch9wavefront6targetE1EEEvSK_
    .private_segment_fixed_size: 0
    .sgpr_count:     6
    .sgpr_spill_count: 0
    .symbol:         _ZN7rocprim17ROCPRIM_400000_NS6detail17trampoline_kernelINS0_14default_configENS1_35radix_sort_onesweep_config_selectorIsNS0_10empty_typeEEEZZNS1_29radix_sort_onesweep_iterationIS3_Lb0EN6thrust23THRUST_200600_302600_NS6detail15normal_iteratorINS9_10device_ptrIsEEEESE_PS5_SF_jNS0_19identity_decomposerENS1_16block_id_wrapperIjLb0EEEEE10hipError_tT1_PNSt15iterator_traitsISK_E10value_typeET2_T3_PNSL_ISQ_E10value_typeET4_T5_PSV_SW_PNS1_23onesweep_lookback_stateEbbT6_jjT7_P12ihipStream_tbENKUlT_T0_SK_SP_E_clISE_PsSF_SF_EEDaS13_S14_SK_SP_EUlS13_E_NS1_11comp_targetILNS1_3genE9ELNS1_11target_archE1100ELNS1_3gpuE3ELNS1_3repE0EEENS1_47radix_sort_onesweep_sort_config_static_selectorELNS0_4arch9wavefront6targetE1EEEvSK_.kd
    .uniform_work_group_size: 1
    .uses_dynamic_stack: false
    .vgpr_count:     0
    .vgpr_spill_count: 0
    .wavefront_size: 64
  - .agpr_count:     0
    .args:
      - .offset:         0
        .size:           88
        .value_kind:     by_value
    .group_segment_fixed_size: 0
    .kernarg_segment_align: 8
    .kernarg_segment_size: 88
    .language:       OpenCL C
    .language_version:
      - 2
      - 0
    .max_flat_workgroup_size: 256
    .name:           _ZN7rocprim17ROCPRIM_400000_NS6detail17trampoline_kernelINS0_14default_configENS1_35radix_sort_onesweep_config_selectorIsNS0_10empty_typeEEEZZNS1_29radix_sort_onesweep_iterationIS3_Lb0EN6thrust23THRUST_200600_302600_NS6detail15normal_iteratorINS9_10device_ptrIsEEEESE_PS5_SF_jNS0_19identity_decomposerENS1_16block_id_wrapperIjLb0EEEEE10hipError_tT1_PNSt15iterator_traitsISK_E10value_typeET2_T3_PNSL_ISQ_E10value_typeET4_T5_PSV_SW_PNS1_23onesweep_lookback_stateEbbT6_jjT7_P12ihipStream_tbENKUlT_T0_SK_SP_E_clISE_PsSF_SF_EEDaS13_S14_SK_SP_EUlS13_E_NS1_11comp_targetILNS1_3genE8ELNS1_11target_archE1030ELNS1_3gpuE2ELNS1_3repE0EEENS1_47radix_sort_onesweep_sort_config_static_selectorELNS0_4arch9wavefront6targetE1EEEvSK_
    .private_segment_fixed_size: 0
    .sgpr_count:     6
    .sgpr_spill_count: 0
    .symbol:         _ZN7rocprim17ROCPRIM_400000_NS6detail17trampoline_kernelINS0_14default_configENS1_35radix_sort_onesweep_config_selectorIsNS0_10empty_typeEEEZZNS1_29radix_sort_onesweep_iterationIS3_Lb0EN6thrust23THRUST_200600_302600_NS6detail15normal_iteratorINS9_10device_ptrIsEEEESE_PS5_SF_jNS0_19identity_decomposerENS1_16block_id_wrapperIjLb0EEEEE10hipError_tT1_PNSt15iterator_traitsISK_E10value_typeET2_T3_PNSL_ISQ_E10value_typeET4_T5_PSV_SW_PNS1_23onesweep_lookback_stateEbbT6_jjT7_P12ihipStream_tbENKUlT_T0_SK_SP_E_clISE_PsSF_SF_EEDaS13_S14_SK_SP_EUlS13_E_NS1_11comp_targetILNS1_3genE8ELNS1_11target_archE1030ELNS1_3gpuE2ELNS1_3repE0EEENS1_47radix_sort_onesweep_sort_config_static_selectorELNS0_4arch9wavefront6targetE1EEEvSK_.kd
    .uniform_work_group_size: 1
    .uses_dynamic_stack: false
    .vgpr_count:     0
    .vgpr_spill_count: 0
    .wavefront_size: 64
  - .agpr_count:     0
    .args:
      - .offset:         0
        .size:           88
        .value_kind:     by_value
    .group_segment_fixed_size: 0
    .kernarg_segment_align: 8
    .kernarg_segment_size: 88
    .language:       OpenCL C
    .language_version:
      - 2
      - 0
    .max_flat_workgroup_size: 512
    .name:           _ZN7rocprim17ROCPRIM_400000_NS6detail17trampoline_kernelINS0_14default_configENS1_35radix_sort_onesweep_config_selectorIsNS0_10empty_typeEEEZZNS1_29radix_sort_onesweep_iterationIS3_Lb0EN6thrust23THRUST_200600_302600_NS6detail15normal_iteratorINS9_10device_ptrIsEEEESE_PS5_SF_jNS0_19identity_decomposerENS1_16block_id_wrapperIjLb0EEEEE10hipError_tT1_PNSt15iterator_traitsISK_E10value_typeET2_T3_PNSL_ISQ_E10value_typeET4_T5_PSV_SW_PNS1_23onesweep_lookback_stateEbbT6_jjT7_P12ihipStream_tbENKUlT_T0_SK_SP_E_clIPsSE_SF_SF_EEDaS13_S14_SK_SP_EUlS13_E_NS1_11comp_targetILNS1_3genE0ELNS1_11target_archE4294967295ELNS1_3gpuE0ELNS1_3repE0EEENS1_47radix_sort_onesweep_sort_config_static_selectorELNS0_4arch9wavefront6targetE1EEEvSK_
    .private_segment_fixed_size: 0
    .sgpr_count:     6
    .sgpr_spill_count: 0
    .symbol:         _ZN7rocprim17ROCPRIM_400000_NS6detail17trampoline_kernelINS0_14default_configENS1_35radix_sort_onesweep_config_selectorIsNS0_10empty_typeEEEZZNS1_29radix_sort_onesweep_iterationIS3_Lb0EN6thrust23THRUST_200600_302600_NS6detail15normal_iteratorINS9_10device_ptrIsEEEESE_PS5_SF_jNS0_19identity_decomposerENS1_16block_id_wrapperIjLb0EEEEE10hipError_tT1_PNSt15iterator_traitsISK_E10value_typeET2_T3_PNSL_ISQ_E10value_typeET4_T5_PSV_SW_PNS1_23onesweep_lookback_stateEbbT6_jjT7_P12ihipStream_tbENKUlT_T0_SK_SP_E_clIPsSE_SF_SF_EEDaS13_S14_SK_SP_EUlS13_E_NS1_11comp_targetILNS1_3genE0ELNS1_11target_archE4294967295ELNS1_3gpuE0ELNS1_3repE0EEENS1_47radix_sort_onesweep_sort_config_static_selectorELNS0_4arch9wavefront6targetE1EEEvSK_.kd
    .uniform_work_group_size: 1
    .uses_dynamic_stack: false
    .vgpr_count:     0
    .vgpr_spill_count: 0
    .wavefront_size: 64
  - .agpr_count:     0
    .args:
      - .offset:         0
        .size:           88
        .value_kind:     by_value
    .group_segment_fixed_size: 0
    .kernarg_segment_align: 8
    .kernarg_segment_size: 88
    .language:       OpenCL C
    .language_version:
      - 2
      - 0
    .max_flat_workgroup_size: 1024
    .name:           _ZN7rocprim17ROCPRIM_400000_NS6detail17trampoline_kernelINS0_14default_configENS1_35radix_sort_onesweep_config_selectorIsNS0_10empty_typeEEEZZNS1_29radix_sort_onesweep_iterationIS3_Lb0EN6thrust23THRUST_200600_302600_NS6detail15normal_iteratorINS9_10device_ptrIsEEEESE_PS5_SF_jNS0_19identity_decomposerENS1_16block_id_wrapperIjLb0EEEEE10hipError_tT1_PNSt15iterator_traitsISK_E10value_typeET2_T3_PNSL_ISQ_E10value_typeET4_T5_PSV_SW_PNS1_23onesweep_lookback_stateEbbT6_jjT7_P12ihipStream_tbENKUlT_T0_SK_SP_E_clIPsSE_SF_SF_EEDaS13_S14_SK_SP_EUlS13_E_NS1_11comp_targetILNS1_3genE6ELNS1_11target_archE950ELNS1_3gpuE13ELNS1_3repE0EEENS1_47radix_sort_onesweep_sort_config_static_selectorELNS0_4arch9wavefront6targetE1EEEvSK_
    .private_segment_fixed_size: 0
    .sgpr_count:     6
    .sgpr_spill_count: 0
    .symbol:         _ZN7rocprim17ROCPRIM_400000_NS6detail17trampoline_kernelINS0_14default_configENS1_35radix_sort_onesweep_config_selectorIsNS0_10empty_typeEEEZZNS1_29radix_sort_onesweep_iterationIS3_Lb0EN6thrust23THRUST_200600_302600_NS6detail15normal_iteratorINS9_10device_ptrIsEEEESE_PS5_SF_jNS0_19identity_decomposerENS1_16block_id_wrapperIjLb0EEEEE10hipError_tT1_PNSt15iterator_traitsISK_E10value_typeET2_T3_PNSL_ISQ_E10value_typeET4_T5_PSV_SW_PNS1_23onesweep_lookback_stateEbbT6_jjT7_P12ihipStream_tbENKUlT_T0_SK_SP_E_clIPsSE_SF_SF_EEDaS13_S14_SK_SP_EUlS13_E_NS1_11comp_targetILNS1_3genE6ELNS1_11target_archE950ELNS1_3gpuE13ELNS1_3repE0EEENS1_47radix_sort_onesweep_sort_config_static_selectorELNS0_4arch9wavefront6targetE1EEEvSK_.kd
    .uniform_work_group_size: 1
    .uses_dynamic_stack: false
    .vgpr_count:     0
    .vgpr_spill_count: 0
    .wavefront_size: 64
  - .agpr_count:     0
    .args:
      - .offset:         0
        .size:           88
        .value_kind:     by_value
      - .offset:         88
        .size:           4
        .value_kind:     hidden_block_count_x
      - .offset:         92
        .size:           4
        .value_kind:     hidden_block_count_y
      - .offset:         96
        .size:           4
        .value_kind:     hidden_block_count_z
      - .offset:         100
        .size:           2
        .value_kind:     hidden_group_size_x
      - .offset:         102
        .size:           2
        .value_kind:     hidden_group_size_y
      - .offset:         104
        .size:           2
        .value_kind:     hidden_group_size_z
      - .offset:         106
        .size:           2
        .value_kind:     hidden_remainder_x
      - .offset:         108
        .size:           2
        .value_kind:     hidden_remainder_y
      - .offset:         110
        .size:           2
        .value_kind:     hidden_remainder_z
      - .offset:         128
        .size:           8
        .value_kind:     hidden_global_offset_x
      - .offset:         136
        .size:           8
        .value_kind:     hidden_global_offset_y
      - .offset:         144
        .size:           8
        .value_kind:     hidden_global_offset_z
      - .offset:         152
        .size:           2
        .value_kind:     hidden_grid_dims
    .group_segment_fixed_size: 25608
    .kernarg_segment_align: 8
    .kernarg_segment_size: 344
    .language:       OpenCL C
    .language_version:
      - 2
      - 0
    .max_flat_workgroup_size: 1024
    .name:           _ZN7rocprim17ROCPRIM_400000_NS6detail17trampoline_kernelINS0_14default_configENS1_35radix_sort_onesweep_config_selectorIsNS0_10empty_typeEEEZZNS1_29radix_sort_onesweep_iterationIS3_Lb0EN6thrust23THRUST_200600_302600_NS6detail15normal_iteratorINS9_10device_ptrIsEEEESE_PS5_SF_jNS0_19identity_decomposerENS1_16block_id_wrapperIjLb0EEEEE10hipError_tT1_PNSt15iterator_traitsISK_E10value_typeET2_T3_PNSL_ISQ_E10value_typeET4_T5_PSV_SW_PNS1_23onesweep_lookback_stateEbbT6_jjT7_P12ihipStream_tbENKUlT_T0_SK_SP_E_clIPsSE_SF_SF_EEDaS13_S14_SK_SP_EUlS13_E_NS1_11comp_targetILNS1_3genE5ELNS1_11target_archE942ELNS1_3gpuE9ELNS1_3repE0EEENS1_47radix_sort_onesweep_sort_config_static_selectorELNS0_4arch9wavefront6targetE1EEEvSK_
    .private_segment_fixed_size: 0
    .sgpr_count:     38
    .sgpr_spill_count: 0
    .symbol:         _ZN7rocprim17ROCPRIM_400000_NS6detail17trampoline_kernelINS0_14default_configENS1_35radix_sort_onesweep_config_selectorIsNS0_10empty_typeEEEZZNS1_29radix_sort_onesweep_iterationIS3_Lb0EN6thrust23THRUST_200600_302600_NS6detail15normal_iteratorINS9_10device_ptrIsEEEESE_PS5_SF_jNS0_19identity_decomposerENS1_16block_id_wrapperIjLb0EEEEE10hipError_tT1_PNSt15iterator_traitsISK_E10value_typeET2_T3_PNSL_ISQ_E10value_typeET4_T5_PSV_SW_PNS1_23onesweep_lookback_stateEbbT6_jjT7_P12ihipStream_tbENKUlT_T0_SK_SP_E_clIPsSE_SF_SF_EEDaS13_S14_SK_SP_EUlS13_E_NS1_11comp_targetILNS1_3genE5ELNS1_11target_archE942ELNS1_3gpuE9ELNS1_3repE0EEENS1_47radix_sort_onesweep_sort_config_static_selectorELNS0_4arch9wavefront6targetE1EEEvSK_.kd
    .uniform_work_group_size: 1
    .uses_dynamic_stack: false
    .vgpr_count:     62
    .vgpr_spill_count: 0
    .wavefront_size: 64
  - .agpr_count:     0
    .args:
      - .offset:         0
        .size:           88
        .value_kind:     by_value
    .group_segment_fixed_size: 0
    .kernarg_segment_align: 8
    .kernarg_segment_size: 88
    .language:       OpenCL C
    .language_version:
      - 2
      - 0
    .max_flat_workgroup_size: 512
    .name:           _ZN7rocprim17ROCPRIM_400000_NS6detail17trampoline_kernelINS0_14default_configENS1_35radix_sort_onesweep_config_selectorIsNS0_10empty_typeEEEZZNS1_29radix_sort_onesweep_iterationIS3_Lb0EN6thrust23THRUST_200600_302600_NS6detail15normal_iteratorINS9_10device_ptrIsEEEESE_PS5_SF_jNS0_19identity_decomposerENS1_16block_id_wrapperIjLb0EEEEE10hipError_tT1_PNSt15iterator_traitsISK_E10value_typeET2_T3_PNSL_ISQ_E10value_typeET4_T5_PSV_SW_PNS1_23onesweep_lookback_stateEbbT6_jjT7_P12ihipStream_tbENKUlT_T0_SK_SP_E_clIPsSE_SF_SF_EEDaS13_S14_SK_SP_EUlS13_E_NS1_11comp_targetILNS1_3genE2ELNS1_11target_archE906ELNS1_3gpuE6ELNS1_3repE0EEENS1_47radix_sort_onesweep_sort_config_static_selectorELNS0_4arch9wavefront6targetE1EEEvSK_
    .private_segment_fixed_size: 0
    .sgpr_count:     6
    .sgpr_spill_count: 0
    .symbol:         _ZN7rocprim17ROCPRIM_400000_NS6detail17trampoline_kernelINS0_14default_configENS1_35radix_sort_onesweep_config_selectorIsNS0_10empty_typeEEEZZNS1_29radix_sort_onesweep_iterationIS3_Lb0EN6thrust23THRUST_200600_302600_NS6detail15normal_iteratorINS9_10device_ptrIsEEEESE_PS5_SF_jNS0_19identity_decomposerENS1_16block_id_wrapperIjLb0EEEEE10hipError_tT1_PNSt15iterator_traitsISK_E10value_typeET2_T3_PNSL_ISQ_E10value_typeET4_T5_PSV_SW_PNS1_23onesweep_lookback_stateEbbT6_jjT7_P12ihipStream_tbENKUlT_T0_SK_SP_E_clIPsSE_SF_SF_EEDaS13_S14_SK_SP_EUlS13_E_NS1_11comp_targetILNS1_3genE2ELNS1_11target_archE906ELNS1_3gpuE6ELNS1_3repE0EEENS1_47radix_sort_onesweep_sort_config_static_selectorELNS0_4arch9wavefront6targetE1EEEvSK_.kd
    .uniform_work_group_size: 1
    .uses_dynamic_stack: false
    .vgpr_count:     0
    .vgpr_spill_count: 0
    .wavefront_size: 64
  - .agpr_count:     0
    .args:
      - .offset:         0
        .size:           88
        .value_kind:     by_value
    .group_segment_fixed_size: 0
    .kernarg_segment_align: 8
    .kernarg_segment_size: 88
    .language:       OpenCL C
    .language_version:
      - 2
      - 0
    .max_flat_workgroup_size: 1024
    .name:           _ZN7rocprim17ROCPRIM_400000_NS6detail17trampoline_kernelINS0_14default_configENS1_35radix_sort_onesweep_config_selectorIsNS0_10empty_typeEEEZZNS1_29radix_sort_onesweep_iterationIS3_Lb0EN6thrust23THRUST_200600_302600_NS6detail15normal_iteratorINS9_10device_ptrIsEEEESE_PS5_SF_jNS0_19identity_decomposerENS1_16block_id_wrapperIjLb0EEEEE10hipError_tT1_PNSt15iterator_traitsISK_E10value_typeET2_T3_PNSL_ISQ_E10value_typeET4_T5_PSV_SW_PNS1_23onesweep_lookback_stateEbbT6_jjT7_P12ihipStream_tbENKUlT_T0_SK_SP_E_clIPsSE_SF_SF_EEDaS13_S14_SK_SP_EUlS13_E_NS1_11comp_targetILNS1_3genE4ELNS1_11target_archE910ELNS1_3gpuE8ELNS1_3repE0EEENS1_47radix_sort_onesweep_sort_config_static_selectorELNS0_4arch9wavefront6targetE1EEEvSK_
    .private_segment_fixed_size: 0
    .sgpr_count:     6
    .sgpr_spill_count: 0
    .symbol:         _ZN7rocprim17ROCPRIM_400000_NS6detail17trampoline_kernelINS0_14default_configENS1_35radix_sort_onesweep_config_selectorIsNS0_10empty_typeEEEZZNS1_29radix_sort_onesweep_iterationIS3_Lb0EN6thrust23THRUST_200600_302600_NS6detail15normal_iteratorINS9_10device_ptrIsEEEESE_PS5_SF_jNS0_19identity_decomposerENS1_16block_id_wrapperIjLb0EEEEE10hipError_tT1_PNSt15iterator_traitsISK_E10value_typeET2_T3_PNSL_ISQ_E10value_typeET4_T5_PSV_SW_PNS1_23onesweep_lookback_stateEbbT6_jjT7_P12ihipStream_tbENKUlT_T0_SK_SP_E_clIPsSE_SF_SF_EEDaS13_S14_SK_SP_EUlS13_E_NS1_11comp_targetILNS1_3genE4ELNS1_11target_archE910ELNS1_3gpuE8ELNS1_3repE0EEENS1_47radix_sort_onesweep_sort_config_static_selectorELNS0_4arch9wavefront6targetE1EEEvSK_.kd
    .uniform_work_group_size: 1
    .uses_dynamic_stack: false
    .vgpr_count:     0
    .vgpr_spill_count: 0
    .wavefront_size: 64
  - .agpr_count:     0
    .args:
      - .offset:         0
        .size:           88
        .value_kind:     by_value
    .group_segment_fixed_size: 0
    .kernarg_segment_align: 8
    .kernarg_segment_size: 88
    .language:       OpenCL C
    .language_version:
      - 2
      - 0
    .max_flat_workgroup_size: 512
    .name:           _ZN7rocprim17ROCPRIM_400000_NS6detail17trampoline_kernelINS0_14default_configENS1_35radix_sort_onesweep_config_selectorIsNS0_10empty_typeEEEZZNS1_29radix_sort_onesweep_iterationIS3_Lb0EN6thrust23THRUST_200600_302600_NS6detail15normal_iteratorINS9_10device_ptrIsEEEESE_PS5_SF_jNS0_19identity_decomposerENS1_16block_id_wrapperIjLb0EEEEE10hipError_tT1_PNSt15iterator_traitsISK_E10value_typeET2_T3_PNSL_ISQ_E10value_typeET4_T5_PSV_SW_PNS1_23onesweep_lookback_stateEbbT6_jjT7_P12ihipStream_tbENKUlT_T0_SK_SP_E_clIPsSE_SF_SF_EEDaS13_S14_SK_SP_EUlS13_E_NS1_11comp_targetILNS1_3genE3ELNS1_11target_archE908ELNS1_3gpuE7ELNS1_3repE0EEENS1_47radix_sort_onesweep_sort_config_static_selectorELNS0_4arch9wavefront6targetE1EEEvSK_
    .private_segment_fixed_size: 0
    .sgpr_count:     6
    .sgpr_spill_count: 0
    .symbol:         _ZN7rocprim17ROCPRIM_400000_NS6detail17trampoline_kernelINS0_14default_configENS1_35radix_sort_onesweep_config_selectorIsNS0_10empty_typeEEEZZNS1_29radix_sort_onesweep_iterationIS3_Lb0EN6thrust23THRUST_200600_302600_NS6detail15normal_iteratorINS9_10device_ptrIsEEEESE_PS5_SF_jNS0_19identity_decomposerENS1_16block_id_wrapperIjLb0EEEEE10hipError_tT1_PNSt15iterator_traitsISK_E10value_typeET2_T3_PNSL_ISQ_E10value_typeET4_T5_PSV_SW_PNS1_23onesweep_lookback_stateEbbT6_jjT7_P12ihipStream_tbENKUlT_T0_SK_SP_E_clIPsSE_SF_SF_EEDaS13_S14_SK_SP_EUlS13_E_NS1_11comp_targetILNS1_3genE3ELNS1_11target_archE908ELNS1_3gpuE7ELNS1_3repE0EEENS1_47radix_sort_onesweep_sort_config_static_selectorELNS0_4arch9wavefront6targetE1EEEvSK_.kd
    .uniform_work_group_size: 1
    .uses_dynamic_stack: false
    .vgpr_count:     0
    .vgpr_spill_count: 0
    .wavefront_size: 64
  - .agpr_count:     0
    .args:
      - .offset:         0
        .size:           88
        .value_kind:     by_value
    .group_segment_fixed_size: 0
    .kernarg_segment_align: 8
    .kernarg_segment_size: 88
    .language:       OpenCL C
    .language_version:
      - 2
      - 0
    .max_flat_workgroup_size: 256
    .name:           _ZN7rocprim17ROCPRIM_400000_NS6detail17trampoline_kernelINS0_14default_configENS1_35radix_sort_onesweep_config_selectorIsNS0_10empty_typeEEEZZNS1_29radix_sort_onesweep_iterationIS3_Lb0EN6thrust23THRUST_200600_302600_NS6detail15normal_iteratorINS9_10device_ptrIsEEEESE_PS5_SF_jNS0_19identity_decomposerENS1_16block_id_wrapperIjLb0EEEEE10hipError_tT1_PNSt15iterator_traitsISK_E10value_typeET2_T3_PNSL_ISQ_E10value_typeET4_T5_PSV_SW_PNS1_23onesweep_lookback_stateEbbT6_jjT7_P12ihipStream_tbENKUlT_T0_SK_SP_E_clIPsSE_SF_SF_EEDaS13_S14_SK_SP_EUlS13_E_NS1_11comp_targetILNS1_3genE10ELNS1_11target_archE1201ELNS1_3gpuE5ELNS1_3repE0EEENS1_47radix_sort_onesweep_sort_config_static_selectorELNS0_4arch9wavefront6targetE1EEEvSK_
    .private_segment_fixed_size: 0
    .sgpr_count:     6
    .sgpr_spill_count: 0
    .symbol:         _ZN7rocprim17ROCPRIM_400000_NS6detail17trampoline_kernelINS0_14default_configENS1_35radix_sort_onesweep_config_selectorIsNS0_10empty_typeEEEZZNS1_29radix_sort_onesweep_iterationIS3_Lb0EN6thrust23THRUST_200600_302600_NS6detail15normal_iteratorINS9_10device_ptrIsEEEESE_PS5_SF_jNS0_19identity_decomposerENS1_16block_id_wrapperIjLb0EEEEE10hipError_tT1_PNSt15iterator_traitsISK_E10value_typeET2_T3_PNSL_ISQ_E10value_typeET4_T5_PSV_SW_PNS1_23onesweep_lookback_stateEbbT6_jjT7_P12ihipStream_tbENKUlT_T0_SK_SP_E_clIPsSE_SF_SF_EEDaS13_S14_SK_SP_EUlS13_E_NS1_11comp_targetILNS1_3genE10ELNS1_11target_archE1201ELNS1_3gpuE5ELNS1_3repE0EEENS1_47radix_sort_onesweep_sort_config_static_selectorELNS0_4arch9wavefront6targetE1EEEvSK_.kd
    .uniform_work_group_size: 1
    .uses_dynamic_stack: false
    .vgpr_count:     0
    .vgpr_spill_count: 0
    .wavefront_size: 64
  - .agpr_count:     0
    .args:
      - .offset:         0
        .size:           88
        .value_kind:     by_value
    .group_segment_fixed_size: 0
    .kernarg_segment_align: 8
    .kernarg_segment_size: 88
    .language:       OpenCL C
    .language_version:
      - 2
      - 0
    .max_flat_workgroup_size: 256
    .name:           _ZN7rocprim17ROCPRIM_400000_NS6detail17trampoline_kernelINS0_14default_configENS1_35radix_sort_onesweep_config_selectorIsNS0_10empty_typeEEEZZNS1_29radix_sort_onesweep_iterationIS3_Lb0EN6thrust23THRUST_200600_302600_NS6detail15normal_iteratorINS9_10device_ptrIsEEEESE_PS5_SF_jNS0_19identity_decomposerENS1_16block_id_wrapperIjLb0EEEEE10hipError_tT1_PNSt15iterator_traitsISK_E10value_typeET2_T3_PNSL_ISQ_E10value_typeET4_T5_PSV_SW_PNS1_23onesweep_lookback_stateEbbT6_jjT7_P12ihipStream_tbENKUlT_T0_SK_SP_E_clIPsSE_SF_SF_EEDaS13_S14_SK_SP_EUlS13_E_NS1_11comp_targetILNS1_3genE9ELNS1_11target_archE1100ELNS1_3gpuE3ELNS1_3repE0EEENS1_47radix_sort_onesweep_sort_config_static_selectorELNS0_4arch9wavefront6targetE1EEEvSK_
    .private_segment_fixed_size: 0
    .sgpr_count:     6
    .sgpr_spill_count: 0
    .symbol:         _ZN7rocprim17ROCPRIM_400000_NS6detail17trampoline_kernelINS0_14default_configENS1_35radix_sort_onesweep_config_selectorIsNS0_10empty_typeEEEZZNS1_29radix_sort_onesweep_iterationIS3_Lb0EN6thrust23THRUST_200600_302600_NS6detail15normal_iteratorINS9_10device_ptrIsEEEESE_PS5_SF_jNS0_19identity_decomposerENS1_16block_id_wrapperIjLb0EEEEE10hipError_tT1_PNSt15iterator_traitsISK_E10value_typeET2_T3_PNSL_ISQ_E10value_typeET4_T5_PSV_SW_PNS1_23onesweep_lookback_stateEbbT6_jjT7_P12ihipStream_tbENKUlT_T0_SK_SP_E_clIPsSE_SF_SF_EEDaS13_S14_SK_SP_EUlS13_E_NS1_11comp_targetILNS1_3genE9ELNS1_11target_archE1100ELNS1_3gpuE3ELNS1_3repE0EEENS1_47radix_sort_onesweep_sort_config_static_selectorELNS0_4arch9wavefront6targetE1EEEvSK_.kd
    .uniform_work_group_size: 1
    .uses_dynamic_stack: false
    .vgpr_count:     0
    .vgpr_spill_count: 0
    .wavefront_size: 64
  - .agpr_count:     0
    .args:
      - .offset:         0
        .size:           88
        .value_kind:     by_value
    .group_segment_fixed_size: 0
    .kernarg_segment_align: 8
    .kernarg_segment_size: 88
    .language:       OpenCL C
    .language_version:
      - 2
      - 0
    .max_flat_workgroup_size: 256
    .name:           _ZN7rocprim17ROCPRIM_400000_NS6detail17trampoline_kernelINS0_14default_configENS1_35radix_sort_onesweep_config_selectorIsNS0_10empty_typeEEEZZNS1_29radix_sort_onesweep_iterationIS3_Lb0EN6thrust23THRUST_200600_302600_NS6detail15normal_iteratorINS9_10device_ptrIsEEEESE_PS5_SF_jNS0_19identity_decomposerENS1_16block_id_wrapperIjLb0EEEEE10hipError_tT1_PNSt15iterator_traitsISK_E10value_typeET2_T3_PNSL_ISQ_E10value_typeET4_T5_PSV_SW_PNS1_23onesweep_lookback_stateEbbT6_jjT7_P12ihipStream_tbENKUlT_T0_SK_SP_E_clIPsSE_SF_SF_EEDaS13_S14_SK_SP_EUlS13_E_NS1_11comp_targetILNS1_3genE8ELNS1_11target_archE1030ELNS1_3gpuE2ELNS1_3repE0EEENS1_47radix_sort_onesweep_sort_config_static_selectorELNS0_4arch9wavefront6targetE1EEEvSK_
    .private_segment_fixed_size: 0
    .sgpr_count:     6
    .sgpr_spill_count: 0
    .symbol:         _ZN7rocprim17ROCPRIM_400000_NS6detail17trampoline_kernelINS0_14default_configENS1_35radix_sort_onesweep_config_selectorIsNS0_10empty_typeEEEZZNS1_29radix_sort_onesweep_iterationIS3_Lb0EN6thrust23THRUST_200600_302600_NS6detail15normal_iteratorINS9_10device_ptrIsEEEESE_PS5_SF_jNS0_19identity_decomposerENS1_16block_id_wrapperIjLb0EEEEE10hipError_tT1_PNSt15iterator_traitsISK_E10value_typeET2_T3_PNSL_ISQ_E10value_typeET4_T5_PSV_SW_PNS1_23onesweep_lookback_stateEbbT6_jjT7_P12ihipStream_tbENKUlT_T0_SK_SP_E_clIPsSE_SF_SF_EEDaS13_S14_SK_SP_EUlS13_E_NS1_11comp_targetILNS1_3genE8ELNS1_11target_archE1030ELNS1_3gpuE2ELNS1_3repE0EEENS1_47radix_sort_onesweep_sort_config_static_selectorELNS0_4arch9wavefront6targetE1EEEvSK_.kd
    .uniform_work_group_size: 1
    .uses_dynamic_stack: false
    .vgpr_count:     0
    .vgpr_spill_count: 0
    .wavefront_size: 64
  - .agpr_count:     0
    .args:
      - .offset:         0
        .size:           128
        .value_kind:     by_value
    .group_segment_fixed_size: 0
    .kernarg_segment_align: 8
    .kernarg_segment_size: 128
    .language:       OpenCL C
    .language_version:
      - 2
      - 0
    .max_flat_workgroup_size: 128
    .name:           _ZN7rocprim17ROCPRIM_400000_NS6detail17trampoline_kernelINS0_14default_configENS1_25partition_config_selectorILNS1_17partition_subalgoE2EyNS0_10empty_typeEbEEZZNS1_14partition_implILS5_2ELb0ES3_jN6thrust23THRUST_200600_302600_NS6detail15normal_iteratorINSA_7pointerIyNSA_11hip_rocprim3tagENSA_11use_defaultESG_EEEEPS6_NSA_18transform_iteratorI7is_evenIyENSC_INSA_10device_ptrIyEEEESG_SG_EENS0_5tupleIJPySJ_EEENSR_IJSJ_SJ_EEES6_PlJS6_EEE10hipError_tPvRmT3_T4_T5_T6_T7_T9_mT8_P12ihipStream_tbDpT10_ENKUlT_T0_E_clISt17integral_constantIbLb0EES1F_EEDaS1A_S1B_EUlS1A_E_NS1_11comp_targetILNS1_3genE0ELNS1_11target_archE4294967295ELNS1_3gpuE0ELNS1_3repE0EEENS1_30default_config_static_selectorELNS0_4arch9wavefront6targetE1EEEvT1_
    .private_segment_fixed_size: 0
    .sgpr_count:     6
    .sgpr_spill_count: 0
    .symbol:         _ZN7rocprim17ROCPRIM_400000_NS6detail17trampoline_kernelINS0_14default_configENS1_25partition_config_selectorILNS1_17partition_subalgoE2EyNS0_10empty_typeEbEEZZNS1_14partition_implILS5_2ELb0ES3_jN6thrust23THRUST_200600_302600_NS6detail15normal_iteratorINSA_7pointerIyNSA_11hip_rocprim3tagENSA_11use_defaultESG_EEEEPS6_NSA_18transform_iteratorI7is_evenIyENSC_INSA_10device_ptrIyEEEESG_SG_EENS0_5tupleIJPySJ_EEENSR_IJSJ_SJ_EEES6_PlJS6_EEE10hipError_tPvRmT3_T4_T5_T6_T7_T9_mT8_P12ihipStream_tbDpT10_ENKUlT_T0_E_clISt17integral_constantIbLb0EES1F_EEDaS1A_S1B_EUlS1A_E_NS1_11comp_targetILNS1_3genE0ELNS1_11target_archE4294967295ELNS1_3gpuE0ELNS1_3repE0EEENS1_30default_config_static_selectorELNS0_4arch9wavefront6targetE1EEEvT1_.kd
    .uniform_work_group_size: 1
    .uses_dynamic_stack: false
    .vgpr_count:     0
    .vgpr_spill_count: 0
    .wavefront_size: 64
  - .agpr_count:     0
    .args:
      - .offset:         0
        .size:           128
        .value_kind:     by_value
    .group_segment_fixed_size: 28680
    .kernarg_segment_align: 8
    .kernarg_segment_size: 128
    .language:       OpenCL C
    .language_version:
      - 2
      - 0
    .max_flat_workgroup_size: 512
    .name:           _ZN7rocprim17ROCPRIM_400000_NS6detail17trampoline_kernelINS0_14default_configENS1_25partition_config_selectorILNS1_17partition_subalgoE2EyNS0_10empty_typeEbEEZZNS1_14partition_implILS5_2ELb0ES3_jN6thrust23THRUST_200600_302600_NS6detail15normal_iteratorINSA_7pointerIyNSA_11hip_rocprim3tagENSA_11use_defaultESG_EEEEPS6_NSA_18transform_iteratorI7is_evenIyENSC_INSA_10device_ptrIyEEEESG_SG_EENS0_5tupleIJPySJ_EEENSR_IJSJ_SJ_EEES6_PlJS6_EEE10hipError_tPvRmT3_T4_T5_T6_T7_T9_mT8_P12ihipStream_tbDpT10_ENKUlT_T0_E_clISt17integral_constantIbLb0EES1F_EEDaS1A_S1B_EUlS1A_E_NS1_11comp_targetILNS1_3genE5ELNS1_11target_archE942ELNS1_3gpuE9ELNS1_3repE0EEENS1_30default_config_static_selectorELNS0_4arch9wavefront6targetE1EEEvT1_
    .private_segment_fixed_size: 0
    .sgpr_count:     52
    .sgpr_spill_count: 0
    .symbol:         _ZN7rocprim17ROCPRIM_400000_NS6detail17trampoline_kernelINS0_14default_configENS1_25partition_config_selectorILNS1_17partition_subalgoE2EyNS0_10empty_typeEbEEZZNS1_14partition_implILS5_2ELb0ES3_jN6thrust23THRUST_200600_302600_NS6detail15normal_iteratorINSA_7pointerIyNSA_11hip_rocprim3tagENSA_11use_defaultESG_EEEEPS6_NSA_18transform_iteratorI7is_evenIyENSC_INSA_10device_ptrIyEEEESG_SG_EENS0_5tupleIJPySJ_EEENSR_IJSJ_SJ_EEES6_PlJS6_EEE10hipError_tPvRmT3_T4_T5_T6_T7_T9_mT8_P12ihipStream_tbDpT10_ENKUlT_T0_E_clISt17integral_constantIbLb0EES1F_EEDaS1A_S1B_EUlS1A_E_NS1_11comp_targetILNS1_3genE5ELNS1_11target_archE942ELNS1_3gpuE9ELNS1_3repE0EEENS1_30default_config_static_selectorELNS0_4arch9wavefront6targetE1EEEvT1_.kd
    .uniform_work_group_size: 1
    .uses_dynamic_stack: false
    .vgpr_count:     54
    .vgpr_spill_count: 0
    .wavefront_size: 64
  - .agpr_count:     0
    .args:
      - .offset:         0
        .size:           128
        .value_kind:     by_value
    .group_segment_fixed_size: 0
    .kernarg_segment_align: 8
    .kernarg_segment_size: 128
    .language:       OpenCL C
    .language_version:
      - 2
      - 0
    .max_flat_workgroup_size: 192
    .name:           _ZN7rocprim17ROCPRIM_400000_NS6detail17trampoline_kernelINS0_14default_configENS1_25partition_config_selectorILNS1_17partition_subalgoE2EyNS0_10empty_typeEbEEZZNS1_14partition_implILS5_2ELb0ES3_jN6thrust23THRUST_200600_302600_NS6detail15normal_iteratorINSA_7pointerIyNSA_11hip_rocprim3tagENSA_11use_defaultESG_EEEEPS6_NSA_18transform_iteratorI7is_evenIyENSC_INSA_10device_ptrIyEEEESG_SG_EENS0_5tupleIJPySJ_EEENSR_IJSJ_SJ_EEES6_PlJS6_EEE10hipError_tPvRmT3_T4_T5_T6_T7_T9_mT8_P12ihipStream_tbDpT10_ENKUlT_T0_E_clISt17integral_constantIbLb0EES1F_EEDaS1A_S1B_EUlS1A_E_NS1_11comp_targetILNS1_3genE4ELNS1_11target_archE910ELNS1_3gpuE8ELNS1_3repE0EEENS1_30default_config_static_selectorELNS0_4arch9wavefront6targetE1EEEvT1_
    .private_segment_fixed_size: 0
    .sgpr_count:     6
    .sgpr_spill_count: 0
    .symbol:         _ZN7rocprim17ROCPRIM_400000_NS6detail17trampoline_kernelINS0_14default_configENS1_25partition_config_selectorILNS1_17partition_subalgoE2EyNS0_10empty_typeEbEEZZNS1_14partition_implILS5_2ELb0ES3_jN6thrust23THRUST_200600_302600_NS6detail15normal_iteratorINSA_7pointerIyNSA_11hip_rocprim3tagENSA_11use_defaultESG_EEEEPS6_NSA_18transform_iteratorI7is_evenIyENSC_INSA_10device_ptrIyEEEESG_SG_EENS0_5tupleIJPySJ_EEENSR_IJSJ_SJ_EEES6_PlJS6_EEE10hipError_tPvRmT3_T4_T5_T6_T7_T9_mT8_P12ihipStream_tbDpT10_ENKUlT_T0_E_clISt17integral_constantIbLb0EES1F_EEDaS1A_S1B_EUlS1A_E_NS1_11comp_targetILNS1_3genE4ELNS1_11target_archE910ELNS1_3gpuE8ELNS1_3repE0EEENS1_30default_config_static_selectorELNS0_4arch9wavefront6targetE1EEEvT1_.kd
    .uniform_work_group_size: 1
    .uses_dynamic_stack: false
    .vgpr_count:     0
    .vgpr_spill_count: 0
    .wavefront_size: 64
  - .agpr_count:     0
    .args:
      - .offset:         0
        .size:           128
        .value_kind:     by_value
    .group_segment_fixed_size: 0
    .kernarg_segment_align: 8
    .kernarg_segment_size: 128
    .language:       OpenCL C
    .language_version:
      - 2
      - 0
    .max_flat_workgroup_size: 128
    .name:           _ZN7rocprim17ROCPRIM_400000_NS6detail17trampoline_kernelINS0_14default_configENS1_25partition_config_selectorILNS1_17partition_subalgoE2EyNS0_10empty_typeEbEEZZNS1_14partition_implILS5_2ELb0ES3_jN6thrust23THRUST_200600_302600_NS6detail15normal_iteratorINSA_7pointerIyNSA_11hip_rocprim3tagENSA_11use_defaultESG_EEEEPS6_NSA_18transform_iteratorI7is_evenIyENSC_INSA_10device_ptrIyEEEESG_SG_EENS0_5tupleIJPySJ_EEENSR_IJSJ_SJ_EEES6_PlJS6_EEE10hipError_tPvRmT3_T4_T5_T6_T7_T9_mT8_P12ihipStream_tbDpT10_ENKUlT_T0_E_clISt17integral_constantIbLb0EES1F_EEDaS1A_S1B_EUlS1A_E_NS1_11comp_targetILNS1_3genE3ELNS1_11target_archE908ELNS1_3gpuE7ELNS1_3repE0EEENS1_30default_config_static_selectorELNS0_4arch9wavefront6targetE1EEEvT1_
    .private_segment_fixed_size: 0
    .sgpr_count:     6
    .sgpr_spill_count: 0
    .symbol:         _ZN7rocprim17ROCPRIM_400000_NS6detail17trampoline_kernelINS0_14default_configENS1_25partition_config_selectorILNS1_17partition_subalgoE2EyNS0_10empty_typeEbEEZZNS1_14partition_implILS5_2ELb0ES3_jN6thrust23THRUST_200600_302600_NS6detail15normal_iteratorINSA_7pointerIyNSA_11hip_rocprim3tagENSA_11use_defaultESG_EEEEPS6_NSA_18transform_iteratorI7is_evenIyENSC_INSA_10device_ptrIyEEEESG_SG_EENS0_5tupleIJPySJ_EEENSR_IJSJ_SJ_EEES6_PlJS6_EEE10hipError_tPvRmT3_T4_T5_T6_T7_T9_mT8_P12ihipStream_tbDpT10_ENKUlT_T0_E_clISt17integral_constantIbLb0EES1F_EEDaS1A_S1B_EUlS1A_E_NS1_11comp_targetILNS1_3genE3ELNS1_11target_archE908ELNS1_3gpuE7ELNS1_3repE0EEENS1_30default_config_static_selectorELNS0_4arch9wavefront6targetE1EEEvT1_.kd
    .uniform_work_group_size: 1
    .uses_dynamic_stack: false
    .vgpr_count:     0
    .vgpr_spill_count: 0
    .wavefront_size: 64
  - .agpr_count:     0
    .args:
      - .offset:         0
        .size:           128
        .value_kind:     by_value
    .group_segment_fixed_size: 0
    .kernarg_segment_align: 8
    .kernarg_segment_size: 128
    .language:       OpenCL C
    .language_version:
      - 2
      - 0
    .max_flat_workgroup_size: 256
    .name:           _ZN7rocprim17ROCPRIM_400000_NS6detail17trampoline_kernelINS0_14default_configENS1_25partition_config_selectorILNS1_17partition_subalgoE2EyNS0_10empty_typeEbEEZZNS1_14partition_implILS5_2ELb0ES3_jN6thrust23THRUST_200600_302600_NS6detail15normal_iteratorINSA_7pointerIyNSA_11hip_rocprim3tagENSA_11use_defaultESG_EEEEPS6_NSA_18transform_iteratorI7is_evenIyENSC_INSA_10device_ptrIyEEEESG_SG_EENS0_5tupleIJPySJ_EEENSR_IJSJ_SJ_EEES6_PlJS6_EEE10hipError_tPvRmT3_T4_T5_T6_T7_T9_mT8_P12ihipStream_tbDpT10_ENKUlT_T0_E_clISt17integral_constantIbLb0EES1F_EEDaS1A_S1B_EUlS1A_E_NS1_11comp_targetILNS1_3genE2ELNS1_11target_archE906ELNS1_3gpuE6ELNS1_3repE0EEENS1_30default_config_static_selectorELNS0_4arch9wavefront6targetE1EEEvT1_
    .private_segment_fixed_size: 0
    .sgpr_count:     6
    .sgpr_spill_count: 0
    .symbol:         _ZN7rocprim17ROCPRIM_400000_NS6detail17trampoline_kernelINS0_14default_configENS1_25partition_config_selectorILNS1_17partition_subalgoE2EyNS0_10empty_typeEbEEZZNS1_14partition_implILS5_2ELb0ES3_jN6thrust23THRUST_200600_302600_NS6detail15normal_iteratorINSA_7pointerIyNSA_11hip_rocprim3tagENSA_11use_defaultESG_EEEEPS6_NSA_18transform_iteratorI7is_evenIyENSC_INSA_10device_ptrIyEEEESG_SG_EENS0_5tupleIJPySJ_EEENSR_IJSJ_SJ_EEES6_PlJS6_EEE10hipError_tPvRmT3_T4_T5_T6_T7_T9_mT8_P12ihipStream_tbDpT10_ENKUlT_T0_E_clISt17integral_constantIbLb0EES1F_EEDaS1A_S1B_EUlS1A_E_NS1_11comp_targetILNS1_3genE2ELNS1_11target_archE906ELNS1_3gpuE6ELNS1_3repE0EEENS1_30default_config_static_selectorELNS0_4arch9wavefront6targetE1EEEvT1_.kd
    .uniform_work_group_size: 1
    .uses_dynamic_stack: false
    .vgpr_count:     0
    .vgpr_spill_count: 0
    .wavefront_size: 64
  - .agpr_count:     0
    .args:
      - .offset:         0
        .size:           128
        .value_kind:     by_value
    .group_segment_fixed_size: 0
    .kernarg_segment_align: 8
    .kernarg_segment_size: 128
    .language:       OpenCL C
    .language_version:
      - 2
      - 0
    .max_flat_workgroup_size: 256
    .name:           _ZN7rocprim17ROCPRIM_400000_NS6detail17trampoline_kernelINS0_14default_configENS1_25partition_config_selectorILNS1_17partition_subalgoE2EyNS0_10empty_typeEbEEZZNS1_14partition_implILS5_2ELb0ES3_jN6thrust23THRUST_200600_302600_NS6detail15normal_iteratorINSA_7pointerIyNSA_11hip_rocprim3tagENSA_11use_defaultESG_EEEEPS6_NSA_18transform_iteratorI7is_evenIyENSC_INSA_10device_ptrIyEEEESG_SG_EENS0_5tupleIJPySJ_EEENSR_IJSJ_SJ_EEES6_PlJS6_EEE10hipError_tPvRmT3_T4_T5_T6_T7_T9_mT8_P12ihipStream_tbDpT10_ENKUlT_T0_E_clISt17integral_constantIbLb0EES1F_EEDaS1A_S1B_EUlS1A_E_NS1_11comp_targetILNS1_3genE10ELNS1_11target_archE1200ELNS1_3gpuE4ELNS1_3repE0EEENS1_30default_config_static_selectorELNS0_4arch9wavefront6targetE1EEEvT1_
    .private_segment_fixed_size: 0
    .sgpr_count:     6
    .sgpr_spill_count: 0
    .symbol:         _ZN7rocprim17ROCPRIM_400000_NS6detail17trampoline_kernelINS0_14default_configENS1_25partition_config_selectorILNS1_17partition_subalgoE2EyNS0_10empty_typeEbEEZZNS1_14partition_implILS5_2ELb0ES3_jN6thrust23THRUST_200600_302600_NS6detail15normal_iteratorINSA_7pointerIyNSA_11hip_rocprim3tagENSA_11use_defaultESG_EEEEPS6_NSA_18transform_iteratorI7is_evenIyENSC_INSA_10device_ptrIyEEEESG_SG_EENS0_5tupleIJPySJ_EEENSR_IJSJ_SJ_EEES6_PlJS6_EEE10hipError_tPvRmT3_T4_T5_T6_T7_T9_mT8_P12ihipStream_tbDpT10_ENKUlT_T0_E_clISt17integral_constantIbLb0EES1F_EEDaS1A_S1B_EUlS1A_E_NS1_11comp_targetILNS1_3genE10ELNS1_11target_archE1200ELNS1_3gpuE4ELNS1_3repE0EEENS1_30default_config_static_selectorELNS0_4arch9wavefront6targetE1EEEvT1_.kd
    .uniform_work_group_size: 1
    .uses_dynamic_stack: false
    .vgpr_count:     0
    .vgpr_spill_count: 0
    .wavefront_size: 64
  - .agpr_count:     0
    .args:
      - .offset:         0
        .size:           128
        .value_kind:     by_value
    .group_segment_fixed_size: 0
    .kernarg_segment_align: 8
    .kernarg_segment_size: 128
    .language:       OpenCL C
    .language_version:
      - 2
      - 0
    .max_flat_workgroup_size: 512
    .name:           _ZN7rocprim17ROCPRIM_400000_NS6detail17trampoline_kernelINS0_14default_configENS1_25partition_config_selectorILNS1_17partition_subalgoE2EyNS0_10empty_typeEbEEZZNS1_14partition_implILS5_2ELb0ES3_jN6thrust23THRUST_200600_302600_NS6detail15normal_iteratorINSA_7pointerIyNSA_11hip_rocprim3tagENSA_11use_defaultESG_EEEEPS6_NSA_18transform_iteratorI7is_evenIyENSC_INSA_10device_ptrIyEEEESG_SG_EENS0_5tupleIJPySJ_EEENSR_IJSJ_SJ_EEES6_PlJS6_EEE10hipError_tPvRmT3_T4_T5_T6_T7_T9_mT8_P12ihipStream_tbDpT10_ENKUlT_T0_E_clISt17integral_constantIbLb0EES1F_EEDaS1A_S1B_EUlS1A_E_NS1_11comp_targetILNS1_3genE9ELNS1_11target_archE1100ELNS1_3gpuE3ELNS1_3repE0EEENS1_30default_config_static_selectorELNS0_4arch9wavefront6targetE1EEEvT1_
    .private_segment_fixed_size: 0
    .sgpr_count:     6
    .sgpr_spill_count: 0
    .symbol:         _ZN7rocprim17ROCPRIM_400000_NS6detail17trampoline_kernelINS0_14default_configENS1_25partition_config_selectorILNS1_17partition_subalgoE2EyNS0_10empty_typeEbEEZZNS1_14partition_implILS5_2ELb0ES3_jN6thrust23THRUST_200600_302600_NS6detail15normal_iteratorINSA_7pointerIyNSA_11hip_rocprim3tagENSA_11use_defaultESG_EEEEPS6_NSA_18transform_iteratorI7is_evenIyENSC_INSA_10device_ptrIyEEEESG_SG_EENS0_5tupleIJPySJ_EEENSR_IJSJ_SJ_EEES6_PlJS6_EEE10hipError_tPvRmT3_T4_T5_T6_T7_T9_mT8_P12ihipStream_tbDpT10_ENKUlT_T0_E_clISt17integral_constantIbLb0EES1F_EEDaS1A_S1B_EUlS1A_E_NS1_11comp_targetILNS1_3genE9ELNS1_11target_archE1100ELNS1_3gpuE3ELNS1_3repE0EEENS1_30default_config_static_selectorELNS0_4arch9wavefront6targetE1EEEvT1_.kd
    .uniform_work_group_size: 1
    .uses_dynamic_stack: false
    .vgpr_count:     0
    .vgpr_spill_count: 0
    .wavefront_size: 64
  - .agpr_count:     0
    .args:
      - .offset:         0
        .size:           128
        .value_kind:     by_value
    .group_segment_fixed_size: 0
    .kernarg_segment_align: 8
    .kernarg_segment_size: 128
    .language:       OpenCL C
    .language_version:
      - 2
      - 0
    .max_flat_workgroup_size: 512
    .name:           _ZN7rocprim17ROCPRIM_400000_NS6detail17trampoline_kernelINS0_14default_configENS1_25partition_config_selectorILNS1_17partition_subalgoE2EyNS0_10empty_typeEbEEZZNS1_14partition_implILS5_2ELb0ES3_jN6thrust23THRUST_200600_302600_NS6detail15normal_iteratorINSA_7pointerIyNSA_11hip_rocprim3tagENSA_11use_defaultESG_EEEEPS6_NSA_18transform_iteratorI7is_evenIyENSC_INSA_10device_ptrIyEEEESG_SG_EENS0_5tupleIJPySJ_EEENSR_IJSJ_SJ_EEES6_PlJS6_EEE10hipError_tPvRmT3_T4_T5_T6_T7_T9_mT8_P12ihipStream_tbDpT10_ENKUlT_T0_E_clISt17integral_constantIbLb0EES1F_EEDaS1A_S1B_EUlS1A_E_NS1_11comp_targetILNS1_3genE8ELNS1_11target_archE1030ELNS1_3gpuE2ELNS1_3repE0EEENS1_30default_config_static_selectorELNS0_4arch9wavefront6targetE1EEEvT1_
    .private_segment_fixed_size: 0
    .sgpr_count:     6
    .sgpr_spill_count: 0
    .symbol:         _ZN7rocprim17ROCPRIM_400000_NS6detail17trampoline_kernelINS0_14default_configENS1_25partition_config_selectorILNS1_17partition_subalgoE2EyNS0_10empty_typeEbEEZZNS1_14partition_implILS5_2ELb0ES3_jN6thrust23THRUST_200600_302600_NS6detail15normal_iteratorINSA_7pointerIyNSA_11hip_rocprim3tagENSA_11use_defaultESG_EEEEPS6_NSA_18transform_iteratorI7is_evenIyENSC_INSA_10device_ptrIyEEEESG_SG_EENS0_5tupleIJPySJ_EEENSR_IJSJ_SJ_EEES6_PlJS6_EEE10hipError_tPvRmT3_T4_T5_T6_T7_T9_mT8_P12ihipStream_tbDpT10_ENKUlT_T0_E_clISt17integral_constantIbLb0EES1F_EEDaS1A_S1B_EUlS1A_E_NS1_11comp_targetILNS1_3genE8ELNS1_11target_archE1030ELNS1_3gpuE2ELNS1_3repE0EEENS1_30default_config_static_selectorELNS0_4arch9wavefront6targetE1EEEvT1_.kd
    .uniform_work_group_size: 1
    .uses_dynamic_stack: false
    .vgpr_count:     0
    .vgpr_spill_count: 0
    .wavefront_size: 64
  - .agpr_count:     0
    .args:
      - .offset:         0
        .size:           144
        .value_kind:     by_value
    .group_segment_fixed_size: 0
    .kernarg_segment_align: 8
    .kernarg_segment_size: 144
    .language:       OpenCL C
    .language_version:
      - 2
      - 0
    .max_flat_workgroup_size: 128
    .name:           _ZN7rocprim17ROCPRIM_400000_NS6detail17trampoline_kernelINS0_14default_configENS1_25partition_config_selectorILNS1_17partition_subalgoE2EyNS0_10empty_typeEbEEZZNS1_14partition_implILS5_2ELb0ES3_jN6thrust23THRUST_200600_302600_NS6detail15normal_iteratorINSA_7pointerIyNSA_11hip_rocprim3tagENSA_11use_defaultESG_EEEEPS6_NSA_18transform_iteratorI7is_evenIyENSC_INSA_10device_ptrIyEEEESG_SG_EENS0_5tupleIJPySJ_EEENSR_IJSJ_SJ_EEES6_PlJS6_EEE10hipError_tPvRmT3_T4_T5_T6_T7_T9_mT8_P12ihipStream_tbDpT10_ENKUlT_T0_E_clISt17integral_constantIbLb1EES1F_EEDaS1A_S1B_EUlS1A_E_NS1_11comp_targetILNS1_3genE0ELNS1_11target_archE4294967295ELNS1_3gpuE0ELNS1_3repE0EEENS1_30default_config_static_selectorELNS0_4arch9wavefront6targetE1EEEvT1_
    .private_segment_fixed_size: 0
    .sgpr_count:     6
    .sgpr_spill_count: 0
    .symbol:         _ZN7rocprim17ROCPRIM_400000_NS6detail17trampoline_kernelINS0_14default_configENS1_25partition_config_selectorILNS1_17partition_subalgoE2EyNS0_10empty_typeEbEEZZNS1_14partition_implILS5_2ELb0ES3_jN6thrust23THRUST_200600_302600_NS6detail15normal_iteratorINSA_7pointerIyNSA_11hip_rocprim3tagENSA_11use_defaultESG_EEEEPS6_NSA_18transform_iteratorI7is_evenIyENSC_INSA_10device_ptrIyEEEESG_SG_EENS0_5tupleIJPySJ_EEENSR_IJSJ_SJ_EEES6_PlJS6_EEE10hipError_tPvRmT3_T4_T5_T6_T7_T9_mT8_P12ihipStream_tbDpT10_ENKUlT_T0_E_clISt17integral_constantIbLb1EES1F_EEDaS1A_S1B_EUlS1A_E_NS1_11comp_targetILNS1_3genE0ELNS1_11target_archE4294967295ELNS1_3gpuE0ELNS1_3repE0EEENS1_30default_config_static_selectorELNS0_4arch9wavefront6targetE1EEEvT1_.kd
    .uniform_work_group_size: 1
    .uses_dynamic_stack: false
    .vgpr_count:     0
    .vgpr_spill_count: 0
    .wavefront_size: 64
  - .agpr_count:     0
    .args:
      - .offset:         0
        .size:           144
        .value_kind:     by_value
    .group_segment_fixed_size: 28680
    .kernarg_segment_align: 8
    .kernarg_segment_size: 144
    .language:       OpenCL C
    .language_version:
      - 2
      - 0
    .max_flat_workgroup_size: 512
    .name:           _ZN7rocprim17ROCPRIM_400000_NS6detail17trampoline_kernelINS0_14default_configENS1_25partition_config_selectorILNS1_17partition_subalgoE2EyNS0_10empty_typeEbEEZZNS1_14partition_implILS5_2ELb0ES3_jN6thrust23THRUST_200600_302600_NS6detail15normal_iteratorINSA_7pointerIyNSA_11hip_rocprim3tagENSA_11use_defaultESG_EEEEPS6_NSA_18transform_iteratorI7is_evenIyENSC_INSA_10device_ptrIyEEEESG_SG_EENS0_5tupleIJPySJ_EEENSR_IJSJ_SJ_EEES6_PlJS6_EEE10hipError_tPvRmT3_T4_T5_T6_T7_T9_mT8_P12ihipStream_tbDpT10_ENKUlT_T0_E_clISt17integral_constantIbLb1EES1F_EEDaS1A_S1B_EUlS1A_E_NS1_11comp_targetILNS1_3genE5ELNS1_11target_archE942ELNS1_3gpuE9ELNS1_3repE0EEENS1_30default_config_static_selectorELNS0_4arch9wavefront6targetE1EEEvT1_
    .private_segment_fixed_size: 0
    .sgpr_count:     52
    .sgpr_spill_count: 0
    .symbol:         _ZN7rocprim17ROCPRIM_400000_NS6detail17trampoline_kernelINS0_14default_configENS1_25partition_config_selectorILNS1_17partition_subalgoE2EyNS0_10empty_typeEbEEZZNS1_14partition_implILS5_2ELb0ES3_jN6thrust23THRUST_200600_302600_NS6detail15normal_iteratorINSA_7pointerIyNSA_11hip_rocprim3tagENSA_11use_defaultESG_EEEEPS6_NSA_18transform_iteratorI7is_evenIyENSC_INSA_10device_ptrIyEEEESG_SG_EENS0_5tupleIJPySJ_EEENSR_IJSJ_SJ_EEES6_PlJS6_EEE10hipError_tPvRmT3_T4_T5_T6_T7_T9_mT8_P12ihipStream_tbDpT10_ENKUlT_T0_E_clISt17integral_constantIbLb1EES1F_EEDaS1A_S1B_EUlS1A_E_NS1_11comp_targetILNS1_3genE5ELNS1_11target_archE942ELNS1_3gpuE9ELNS1_3repE0EEENS1_30default_config_static_selectorELNS0_4arch9wavefront6targetE1EEEvT1_.kd
    .uniform_work_group_size: 1
    .uses_dynamic_stack: false
    .vgpr_count:     56
    .vgpr_spill_count: 0
    .wavefront_size: 64
  - .agpr_count:     0
    .args:
      - .offset:         0
        .size:           144
        .value_kind:     by_value
    .group_segment_fixed_size: 0
    .kernarg_segment_align: 8
    .kernarg_segment_size: 144
    .language:       OpenCL C
    .language_version:
      - 2
      - 0
    .max_flat_workgroup_size: 192
    .name:           _ZN7rocprim17ROCPRIM_400000_NS6detail17trampoline_kernelINS0_14default_configENS1_25partition_config_selectorILNS1_17partition_subalgoE2EyNS0_10empty_typeEbEEZZNS1_14partition_implILS5_2ELb0ES3_jN6thrust23THRUST_200600_302600_NS6detail15normal_iteratorINSA_7pointerIyNSA_11hip_rocprim3tagENSA_11use_defaultESG_EEEEPS6_NSA_18transform_iteratorI7is_evenIyENSC_INSA_10device_ptrIyEEEESG_SG_EENS0_5tupleIJPySJ_EEENSR_IJSJ_SJ_EEES6_PlJS6_EEE10hipError_tPvRmT3_T4_T5_T6_T7_T9_mT8_P12ihipStream_tbDpT10_ENKUlT_T0_E_clISt17integral_constantIbLb1EES1F_EEDaS1A_S1B_EUlS1A_E_NS1_11comp_targetILNS1_3genE4ELNS1_11target_archE910ELNS1_3gpuE8ELNS1_3repE0EEENS1_30default_config_static_selectorELNS0_4arch9wavefront6targetE1EEEvT1_
    .private_segment_fixed_size: 0
    .sgpr_count:     6
    .sgpr_spill_count: 0
    .symbol:         _ZN7rocprim17ROCPRIM_400000_NS6detail17trampoline_kernelINS0_14default_configENS1_25partition_config_selectorILNS1_17partition_subalgoE2EyNS0_10empty_typeEbEEZZNS1_14partition_implILS5_2ELb0ES3_jN6thrust23THRUST_200600_302600_NS6detail15normal_iteratorINSA_7pointerIyNSA_11hip_rocprim3tagENSA_11use_defaultESG_EEEEPS6_NSA_18transform_iteratorI7is_evenIyENSC_INSA_10device_ptrIyEEEESG_SG_EENS0_5tupleIJPySJ_EEENSR_IJSJ_SJ_EEES6_PlJS6_EEE10hipError_tPvRmT3_T4_T5_T6_T7_T9_mT8_P12ihipStream_tbDpT10_ENKUlT_T0_E_clISt17integral_constantIbLb1EES1F_EEDaS1A_S1B_EUlS1A_E_NS1_11comp_targetILNS1_3genE4ELNS1_11target_archE910ELNS1_3gpuE8ELNS1_3repE0EEENS1_30default_config_static_selectorELNS0_4arch9wavefront6targetE1EEEvT1_.kd
    .uniform_work_group_size: 1
    .uses_dynamic_stack: false
    .vgpr_count:     0
    .vgpr_spill_count: 0
    .wavefront_size: 64
  - .agpr_count:     0
    .args:
      - .offset:         0
        .size:           144
        .value_kind:     by_value
    .group_segment_fixed_size: 0
    .kernarg_segment_align: 8
    .kernarg_segment_size: 144
    .language:       OpenCL C
    .language_version:
      - 2
      - 0
    .max_flat_workgroup_size: 128
    .name:           _ZN7rocprim17ROCPRIM_400000_NS6detail17trampoline_kernelINS0_14default_configENS1_25partition_config_selectorILNS1_17partition_subalgoE2EyNS0_10empty_typeEbEEZZNS1_14partition_implILS5_2ELb0ES3_jN6thrust23THRUST_200600_302600_NS6detail15normal_iteratorINSA_7pointerIyNSA_11hip_rocprim3tagENSA_11use_defaultESG_EEEEPS6_NSA_18transform_iteratorI7is_evenIyENSC_INSA_10device_ptrIyEEEESG_SG_EENS0_5tupleIJPySJ_EEENSR_IJSJ_SJ_EEES6_PlJS6_EEE10hipError_tPvRmT3_T4_T5_T6_T7_T9_mT8_P12ihipStream_tbDpT10_ENKUlT_T0_E_clISt17integral_constantIbLb1EES1F_EEDaS1A_S1B_EUlS1A_E_NS1_11comp_targetILNS1_3genE3ELNS1_11target_archE908ELNS1_3gpuE7ELNS1_3repE0EEENS1_30default_config_static_selectorELNS0_4arch9wavefront6targetE1EEEvT1_
    .private_segment_fixed_size: 0
    .sgpr_count:     6
    .sgpr_spill_count: 0
    .symbol:         _ZN7rocprim17ROCPRIM_400000_NS6detail17trampoline_kernelINS0_14default_configENS1_25partition_config_selectorILNS1_17partition_subalgoE2EyNS0_10empty_typeEbEEZZNS1_14partition_implILS5_2ELb0ES3_jN6thrust23THRUST_200600_302600_NS6detail15normal_iteratorINSA_7pointerIyNSA_11hip_rocprim3tagENSA_11use_defaultESG_EEEEPS6_NSA_18transform_iteratorI7is_evenIyENSC_INSA_10device_ptrIyEEEESG_SG_EENS0_5tupleIJPySJ_EEENSR_IJSJ_SJ_EEES6_PlJS6_EEE10hipError_tPvRmT3_T4_T5_T6_T7_T9_mT8_P12ihipStream_tbDpT10_ENKUlT_T0_E_clISt17integral_constantIbLb1EES1F_EEDaS1A_S1B_EUlS1A_E_NS1_11comp_targetILNS1_3genE3ELNS1_11target_archE908ELNS1_3gpuE7ELNS1_3repE0EEENS1_30default_config_static_selectorELNS0_4arch9wavefront6targetE1EEEvT1_.kd
    .uniform_work_group_size: 1
    .uses_dynamic_stack: false
    .vgpr_count:     0
    .vgpr_spill_count: 0
    .wavefront_size: 64
  - .agpr_count:     0
    .args:
      - .offset:         0
        .size:           144
        .value_kind:     by_value
    .group_segment_fixed_size: 0
    .kernarg_segment_align: 8
    .kernarg_segment_size: 144
    .language:       OpenCL C
    .language_version:
      - 2
      - 0
    .max_flat_workgroup_size: 256
    .name:           _ZN7rocprim17ROCPRIM_400000_NS6detail17trampoline_kernelINS0_14default_configENS1_25partition_config_selectorILNS1_17partition_subalgoE2EyNS0_10empty_typeEbEEZZNS1_14partition_implILS5_2ELb0ES3_jN6thrust23THRUST_200600_302600_NS6detail15normal_iteratorINSA_7pointerIyNSA_11hip_rocprim3tagENSA_11use_defaultESG_EEEEPS6_NSA_18transform_iteratorI7is_evenIyENSC_INSA_10device_ptrIyEEEESG_SG_EENS0_5tupleIJPySJ_EEENSR_IJSJ_SJ_EEES6_PlJS6_EEE10hipError_tPvRmT3_T4_T5_T6_T7_T9_mT8_P12ihipStream_tbDpT10_ENKUlT_T0_E_clISt17integral_constantIbLb1EES1F_EEDaS1A_S1B_EUlS1A_E_NS1_11comp_targetILNS1_3genE2ELNS1_11target_archE906ELNS1_3gpuE6ELNS1_3repE0EEENS1_30default_config_static_selectorELNS0_4arch9wavefront6targetE1EEEvT1_
    .private_segment_fixed_size: 0
    .sgpr_count:     6
    .sgpr_spill_count: 0
    .symbol:         _ZN7rocprim17ROCPRIM_400000_NS6detail17trampoline_kernelINS0_14default_configENS1_25partition_config_selectorILNS1_17partition_subalgoE2EyNS0_10empty_typeEbEEZZNS1_14partition_implILS5_2ELb0ES3_jN6thrust23THRUST_200600_302600_NS6detail15normal_iteratorINSA_7pointerIyNSA_11hip_rocprim3tagENSA_11use_defaultESG_EEEEPS6_NSA_18transform_iteratorI7is_evenIyENSC_INSA_10device_ptrIyEEEESG_SG_EENS0_5tupleIJPySJ_EEENSR_IJSJ_SJ_EEES6_PlJS6_EEE10hipError_tPvRmT3_T4_T5_T6_T7_T9_mT8_P12ihipStream_tbDpT10_ENKUlT_T0_E_clISt17integral_constantIbLb1EES1F_EEDaS1A_S1B_EUlS1A_E_NS1_11comp_targetILNS1_3genE2ELNS1_11target_archE906ELNS1_3gpuE6ELNS1_3repE0EEENS1_30default_config_static_selectorELNS0_4arch9wavefront6targetE1EEEvT1_.kd
    .uniform_work_group_size: 1
    .uses_dynamic_stack: false
    .vgpr_count:     0
    .vgpr_spill_count: 0
    .wavefront_size: 64
  - .agpr_count:     0
    .args:
      - .offset:         0
        .size:           144
        .value_kind:     by_value
    .group_segment_fixed_size: 0
    .kernarg_segment_align: 8
    .kernarg_segment_size: 144
    .language:       OpenCL C
    .language_version:
      - 2
      - 0
    .max_flat_workgroup_size: 256
    .name:           _ZN7rocprim17ROCPRIM_400000_NS6detail17trampoline_kernelINS0_14default_configENS1_25partition_config_selectorILNS1_17partition_subalgoE2EyNS0_10empty_typeEbEEZZNS1_14partition_implILS5_2ELb0ES3_jN6thrust23THRUST_200600_302600_NS6detail15normal_iteratorINSA_7pointerIyNSA_11hip_rocprim3tagENSA_11use_defaultESG_EEEEPS6_NSA_18transform_iteratorI7is_evenIyENSC_INSA_10device_ptrIyEEEESG_SG_EENS0_5tupleIJPySJ_EEENSR_IJSJ_SJ_EEES6_PlJS6_EEE10hipError_tPvRmT3_T4_T5_T6_T7_T9_mT8_P12ihipStream_tbDpT10_ENKUlT_T0_E_clISt17integral_constantIbLb1EES1F_EEDaS1A_S1B_EUlS1A_E_NS1_11comp_targetILNS1_3genE10ELNS1_11target_archE1200ELNS1_3gpuE4ELNS1_3repE0EEENS1_30default_config_static_selectorELNS0_4arch9wavefront6targetE1EEEvT1_
    .private_segment_fixed_size: 0
    .sgpr_count:     6
    .sgpr_spill_count: 0
    .symbol:         _ZN7rocprim17ROCPRIM_400000_NS6detail17trampoline_kernelINS0_14default_configENS1_25partition_config_selectorILNS1_17partition_subalgoE2EyNS0_10empty_typeEbEEZZNS1_14partition_implILS5_2ELb0ES3_jN6thrust23THRUST_200600_302600_NS6detail15normal_iteratorINSA_7pointerIyNSA_11hip_rocprim3tagENSA_11use_defaultESG_EEEEPS6_NSA_18transform_iteratorI7is_evenIyENSC_INSA_10device_ptrIyEEEESG_SG_EENS0_5tupleIJPySJ_EEENSR_IJSJ_SJ_EEES6_PlJS6_EEE10hipError_tPvRmT3_T4_T5_T6_T7_T9_mT8_P12ihipStream_tbDpT10_ENKUlT_T0_E_clISt17integral_constantIbLb1EES1F_EEDaS1A_S1B_EUlS1A_E_NS1_11comp_targetILNS1_3genE10ELNS1_11target_archE1200ELNS1_3gpuE4ELNS1_3repE0EEENS1_30default_config_static_selectorELNS0_4arch9wavefront6targetE1EEEvT1_.kd
    .uniform_work_group_size: 1
    .uses_dynamic_stack: false
    .vgpr_count:     0
    .vgpr_spill_count: 0
    .wavefront_size: 64
  - .agpr_count:     0
    .args:
      - .offset:         0
        .size:           144
        .value_kind:     by_value
    .group_segment_fixed_size: 0
    .kernarg_segment_align: 8
    .kernarg_segment_size: 144
    .language:       OpenCL C
    .language_version:
      - 2
      - 0
    .max_flat_workgroup_size: 512
    .name:           _ZN7rocprim17ROCPRIM_400000_NS6detail17trampoline_kernelINS0_14default_configENS1_25partition_config_selectorILNS1_17partition_subalgoE2EyNS0_10empty_typeEbEEZZNS1_14partition_implILS5_2ELb0ES3_jN6thrust23THRUST_200600_302600_NS6detail15normal_iteratorINSA_7pointerIyNSA_11hip_rocprim3tagENSA_11use_defaultESG_EEEEPS6_NSA_18transform_iteratorI7is_evenIyENSC_INSA_10device_ptrIyEEEESG_SG_EENS0_5tupleIJPySJ_EEENSR_IJSJ_SJ_EEES6_PlJS6_EEE10hipError_tPvRmT3_T4_T5_T6_T7_T9_mT8_P12ihipStream_tbDpT10_ENKUlT_T0_E_clISt17integral_constantIbLb1EES1F_EEDaS1A_S1B_EUlS1A_E_NS1_11comp_targetILNS1_3genE9ELNS1_11target_archE1100ELNS1_3gpuE3ELNS1_3repE0EEENS1_30default_config_static_selectorELNS0_4arch9wavefront6targetE1EEEvT1_
    .private_segment_fixed_size: 0
    .sgpr_count:     6
    .sgpr_spill_count: 0
    .symbol:         _ZN7rocprim17ROCPRIM_400000_NS6detail17trampoline_kernelINS0_14default_configENS1_25partition_config_selectorILNS1_17partition_subalgoE2EyNS0_10empty_typeEbEEZZNS1_14partition_implILS5_2ELb0ES3_jN6thrust23THRUST_200600_302600_NS6detail15normal_iteratorINSA_7pointerIyNSA_11hip_rocprim3tagENSA_11use_defaultESG_EEEEPS6_NSA_18transform_iteratorI7is_evenIyENSC_INSA_10device_ptrIyEEEESG_SG_EENS0_5tupleIJPySJ_EEENSR_IJSJ_SJ_EEES6_PlJS6_EEE10hipError_tPvRmT3_T4_T5_T6_T7_T9_mT8_P12ihipStream_tbDpT10_ENKUlT_T0_E_clISt17integral_constantIbLb1EES1F_EEDaS1A_S1B_EUlS1A_E_NS1_11comp_targetILNS1_3genE9ELNS1_11target_archE1100ELNS1_3gpuE3ELNS1_3repE0EEENS1_30default_config_static_selectorELNS0_4arch9wavefront6targetE1EEEvT1_.kd
    .uniform_work_group_size: 1
    .uses_dynamic_stack: false
    .vgpr_count:     0
    .vgpr_spill_count: 0
    .wavefront_size: 64
  - .agpr_count:     0
    .args:
      - .offset:         0
        .size:           144
        .value_kind:     by_value
    .group_segment_fixed_size: 0
    .kernarg_segment_align: 8
    .kernarg_segment_size: 144
    .language:       OpenCL C
    .language_version:
      - 2
      - 0
    .max_flat_workgroup_size: 512
    .name:           _ZN7rocprim17ROCPRIM_400000_NS6detail17trampoline_kernelINS0_14default_configENS1_25partition_config_selectorILNS1_17partition_subalgoE2EyNS0_10empty_typeEbEEZZNS1_14partition_implILS5_2ELb0ES3_jN6thrust23THRUST_200600_302600_NS6detail15normal_iteratorINSA_7pointerIyNSA_11hip_rocprim3tagENSA_11use_defaultESG_EEEEPS6_NSA_18transform_iteratorI7is_evenIyENSC_INSA_10device_ptrIyEEEESG_SG_EENS0_5tupleIJPySJ_EEENSR_IJSJ_SJ_EEES6_PlJS6_EEE10hipError_tPvRmT3_T4_T5_T6_T7_T9_mT8_P12ihipStream_tbDpT10_ENKUlT_T0_E_clISt17integral_constantIbLb1EES1F_EEDaS1A_S1B_EUlS1A_E_NS1_11comp_targetILNS1_3genE8ELNS1_11target_archE1030ELNS1_3gpuE2ELNS1_3repE0EEENS1_30default_config_static_selectorELNS0_4arch9wavefront6targetE1EEEvT1_
    .private_segment_fixed_size: 0
    .sgpr_count:     6
    .sgpr_spill_count: 0
    .symbol:         _ZN7rocprim17ROCPRIM_400000_NS6detail17trampoline_kernelINS0_14default_configENS1_25partition_config_selectorILNS1_17partition_subalgoE2EyNS0_10empty_typeEbEEZZNS1_14partition_implILS5_2ELb0ES3_jN6thrust23THRUST_200600_302600_NS6detail15normal_iteratorINSA_7pointerIyNSA_11hip_rocprim3tagENSA_11use_defaultESG_EEEEPS6_NSA_18transform_iteratorI7is_evenIyENSC_INSA_10device_ptrIyEEEESG_SG_EENS0_5tupleIJPySJ_EEENSR_IJSJ_SJ_EEES6_PlJS6_EEE10hipError_tPvRmT3_T4_T5_T6_T7_T9_mT8_P12ihipStream_tbDpT10_ENKUlT_T0_E_clISt17integral_constantIbLb1EES1F_EEDaS1A_S1B_EUlS1A_E_NS1_11comp_targetILNS1_3genE8ELNS1_11target_archE1030ELNS1_3gpuE2ELNS1_3repE0EEENS1_30default_config_static_selectorELNS0_4arch9wavefront6targetE1EEEvT1_.kd
    .uniform_work_group_size: 1
    .uses_dynamic_stack: false
    .vgpr_count:     0
    .vgpr_spill_count: 0
    .wavefront_size: 64
  - .agpr_count:     0
    .args:
      - .offset:         0
        .size:           128
        .value_kind:     by_value
    .group_segment_fixed_size: 0
    .kernarg_segment_align: 8
    .kernarg_segment_size: 128
    .language:       OpenCL C
    .language_version:
      - 2
      - 0
    .max_flat_workgroup_size: 128
    .name:           _ZN7rocprim17ROCPRIM_400000_NS6detail17trampoline_kernelINS0_14default_configENS1_25partition_config_selectorILNS1_17partition_subalgoE2EyNS0_10empty_typeEbEEZZNS1_14partition_implILS5_2ELb0ES3_jN6thrust23THRUST_200600_302600_NS6detail15normal_iteratorINSA_7pointerIyNSA_11hip_rocprim3tagENSA_11use_defaultESG_EEEEPS6_NSA_18transform_iteratorI7is_evenIyENSC_INSA_10device_ptrIyEEEESG_SG_EENS0_5tupleIJPySJ_EEENSR_IJSJ_SJ_EEES6_PlJS6_EEE10hipError_tPvRmT3_T4_T5_T6_T7_T9_mT8_P12ihipStream_tbDpT10_ENKUlT_T0_E_clISt17integral_constantIbLb1EES1E_IbLb0EEEEDaS1A_S1B_EUlS1A_E_NS1_11comp_targetILNS1_3genE0ELNS1_11target_archE4294967295ELNS1_3gpuE0ELNS1_3repE0EEENS1_30default_config_static_selectorELNS0_4arch9wavefront6targetE1EEEvT1_
    .private_segment_fixed_size: 0
    .sgpr_count:     6
    .sgpr_spill_count: 0
    .symbol:         _ZN7rocprim17ROCPRIM_400000_NS6detail17trampoline_kernelINS0_14default_configENS1_25partition_config_selectorILNS1_17partition_subalgoE2EyNS0_10empty_typeEbEEZZNS1_14partition_implILS5_2ELb0ES3_jN6thrust23THRUST_200600_302600_NS6detail15normal_iteratorINSA_7pointerIyNSA_11hip_rocprim3tagENSA_11use_defaultESG_EEEEPS6_NSA_18transform_iteratorI7is_evenIyENSC_INSA_10device_ptrIyEEEESG_SG_EENS0_5tupleIJPySJ_EEENSR_IJSJ_SJ_EEES6_PlJS6_EEE10hipError_tPvRmT3_T4_T5_T6_T7_T9_mT8_P12ihipStream_tbDpT10_ENKUlT_T0_E_clISt17integral_constantIbLb1EES1E_IbLb0EEEEDaS1A_S1B_EUlS1A_E_NS1_11comp_targetILNS1_3genE0ELNS1_11target_archE4294967295ELNS1_3gpuE0ELNS1_3repE0EEENS1_30default_config_static_selectorELNS0_4arch9wavefront6targetE1EEEvT1_.kd
    .uniform_work_group_size: 1
    .uses_dynamic_stack: false
    .vgpr_count:     0
    .vgpr_spill_count: 0
    .wavefront_size: 64
  - .agpr_count:     0
    .args:
      - .offset:         0
        .size:           128
        .value_kind:     by_value
    .group_segment_fixed_size: 28680
    .kernarg_segment_align: 8
    .kernarg_segment_size: 128
    .language:       OpenCL C
    .language_version:
      - 2
      - 0
    .max_flat_workgroup_size: 512
    .name:           _ZN7rocprim17ROCPRIM_400000_NS6detail17trampoline_kernelINS0_14default_configENS1_25partition_config_selectorILNS1_17partition_subalgoE2EyNS0_10empty_typeEbEEZZNS1_14partition_implILS5_2ELb0ES3_jN6thrust23THRUST_200600_302600_NS6detail15normal_iteratorINSA_7pointerIyNSA_11hip_rocprim3tagENSA_11use_defaultESG_EEEEPS6_NSA_18transform_iteratorI7is_evenIyENSC_INSA_10device_ptrIyEEEESG_SG_EENS0_5tupleIJPySJ_EEENSR_IJSJ_SJ_EEES6_PlJS6_EEE10hipError_tPvRmT3_T4_T5_T6_T7_T9_mT8_P12ihipStream_tbDpT10_ENKUlT_T0_E_clISt17integral_constantIbLb1EES1E_IbLb0EEEEDaS1A_S1B_EUlS1A_E_NS1_11comp_targetILNS1_3genE5ELNS1_11target_archE942ELNS1_3gpuE9ELNS1_3repE0EEENS1_30default_config_static_selectorELNS0_4arch9wavefront6targetE1EEEvT1_
    .private_segment_fixed_size: 0
    .sgpr_count:     52
    .sgpr_spill_count: 0
    .symbol:         _ZN7rocprim17ROCPRIM_400000_NS6detail17trampoline_kernelINS0_14default_configENS1_25partition_config_selectorILNS1_17partition_subalgoE2EyNS0_10empty_typeEbEEZZNS1_14partition_implILS5_2ELb0ES3_jN6thrust23THRUST_200600_302600_NS6detail15normal_iteratorINSA_7pointerIyNSA_11hip_rocprim3tagENSA_11use_defaultESG_EEEEPS6_NSA_18transform_iteratorI7is_evenIyENSC_INSA_10device_ptrIyEEEESG_SG_EENS0_5tupleIJPySJ_EEENSR_IJSJ_SJ_EEES6_PlJS6_EEE10hipError_tPvRmT3_T4_T5_T6_T7_T9_mT8_P12ihipStream_tbDpT10_ENKUlT_T0_E_clISt17integral_constantIbLb1EES1E_IbLb0EEEEDaS1A_S1B_EUlS1A_E_NS1_11comp_targetILNS1_3genE5ELNS1_11target_archE942ELNS1_3gpuE9ELNS1_3repE0EEENS1_30default_config_static_selectorELNS0_4arch9wavefront6targetE1EEEvT1_.kd
    .uniform_work_group_size: 1
    .uses_dynamic_stack: false
    .vgpr_count:     54
    .vgpr_spill_count: 0
    .wavefront_size: 64
  - .agpr_count:     0
    .args:
      - .offset:         0
        .size:           128
        .value_kind:     by_value
    .group_segment_fixed_size: 0
    .kernarg_segment_align: 8
    .kernarg_segment_size: 128
    .language:       OpenCL C
    .language_version:
      - 2
      - 0
    .max_flat_workgroup_size: 192
    .name:           _ZN7rocprim17ROCPRIM_400000_NS6detail17trampoline_kernelINS0_14default_configENS1_25partition_config_selectorILNS1_17partition_subalgoE2EyNS0_10empty_typeEbEEZZNS1_14partition_implILS5_2ELb0ES3_jN6thrust23THRUST_200600_302600_NS6detail15normal_iteratorINSA_7pointerIyNSA_11hip_rocprim3tagENSA_11use_defaultESG_EEEEPS6_NSA_18transform_iteratorI7is_evenIyENSC_INSA_10device_ptrIyEEEESG_SG_EENS0_5tupleIJPySJ_EEENSR_IJSJ_SJ_EEES6_PlJS6_EEE10hipError_tPvRmT3_T4_T5_T6_T7_T9_mT8_P12ihipStream_tbDpT10_ENKUlT_T0_E_clISt17integral_constantIbLb1EES1E_IbLb0EEEEDaS1A_S1B_EUlS1A_E_NS1_11comp_targetILNS1_3genE4ELNS1_11target_archE910ELNS1_3gpuE8ELNS1_3repE0EEENS1_30default_config_static_selectorELNS0_4arch9wavefront6targetE1EEEvT1_
    .private_segment_fixed_size: 0
    .sgpr_count:     6
    .sgpr_spill_count: 0
    .symbol:         _ZN7rocprim17ROCPRIM_400000_NS6detail17trampoline_kernelINS0_14default_configENS1_25partition_config_selectorILNS1_17partition_subalgoE2EyNS0_10empty_typeEbEEZZNS1_14partition_implILS5_2ELb0ES3_jN6thrust23THRUST_200600_302600_NS6detail15normal_iteratorINSA_7pointerIyNSA_11hip_rocprim3tagENSA_11use_defaultESG_EEEEPS6_NSA_18transform_iteratorI7is_evenIyENSC_INSA_10device_ptrIyEEEESG_SG_EENS0_5tupleIJPySJ_EEENSR_IJSJ_SJ_EEES6_PlJS6_EEE10hipError_tPvRmT3_T4_T5_T6_T7_T9_mT8_P12ihipStream_tbDpT10_ENKUlT_T0_E_clISt17integral_constantIbLb1EES1E_IbLb0EEEEDaS1A_S1B_EUlS1A_E_NS1_11comp_targetILNS1_3genE4ELNS1_11target_archE910ELNS1_3gpuE8ELNS1_3repE0EEENS1_30default_config_static_selectorELNS0_4arch9wavefront6targetE1EEEvT1_.kd
    .uniform_work_group_size: 1
    .uses_dynamic_stack: false
    .vgpr_count:     0
    .vgpr_spill_count: 0
    .wavefront_size: 64
  - .agpr_count:     0
    .args:
      - .offset:         0
        .size:           128
        .value_kind:     by_value
    .group_segment_fixed_size: 0
    .kernarg_segment_align: 8
    .kernarg_segment_size: 128
    .language:       OpenCL C
    .language_version:
      - 2
      - 0
    .max_flat_workgroup_size: 128
    .name:           _ZN7rocprim17ROCPRIM_400000_NS6detail17trampoline_kernelINS0_14default_configENS1_25partition_config_selectorILNS1_17partition_subalgoE2EyNS0_10empty_typeEbEEZZNS1_14partition_implILS5_2ELb0ES3_jN6thrust23THRUST_200600_302600_NS6detail15normal_iteratorINSA_7pointerIyNSA_11hip_rocprim3tagENSA_11use_defaultESG_EEEEPS6_NSA_18transform_iteratorI7is_evenIyENSC_INSA_10device_ptrIyEEEESG_SG_EENS0_5tupleIJPySJ_EEENSR_IJSJ_SJ_EEES6_PlJS6_EEE10hipError_tPvRmT3_T4_T5_T6_T7_T9_mT8_P12ihipStream_tbDpT10_ENKUlT_T0_E_clISt17integral_constantIbLb1EES1E_IbLb0EEEEDaS1A_S1B_EUlS1A_E_NS1_11comp_targetILNS1_3genE3ELNS1_11target_archE908ELNS1_3gpuE7ELNS1_3repE0EEENS1_30default_config_static_selectorELNS0_4arch9wavefront6targetE1EEEvT1_
    .private_segment_fixed_size: 0
    .sgpr_count:     6
    .sgpr_spill_count: 0
    .symbol:         _ZN7rocprim17ROCPRIM_400000_NS6detail17trampoline_kernelINS0_14default_configENS1_25partition_config_selectorILNS1_17partition_subalgoE2EyNS0_10empty_typeEbEEZZNS1_14partition_implILS5_2ELb0ES3_jN6thrust23THRUST_200600_302600_NS6detail15normal_iteratorINSA_7pointerIyNSA_11hip_rocprim3tagENSA_11use_defaultESG_EEEEPS6_NSA_18transform_iteratorI7is_evenIyENSC_INSA_10device_ptrIyEEEESG_SG_EENS0_5tupleIJPySJ_EEENSR_IJSJ_SJ_EEES6_PlJS6_EEE10hipError_tPvRmT3_T4_T5_T6_T7_T9_mT8_P12ihipStream_tbDpT10_ENKUlT_T0_E_clISt17integral_constantIbLb1EES1E_IbLb0EEEEDaS1A_S1B_EUlS1A_E_NS1_11comp_targetILNS1_3genE3ELNS1_11target_archE908ELNS1_3gpuE7ELNS1_3repE0EEENS1_30default_config_static_selectorELNS0_4arch9wavefront6targetE1EEEvT1_.kd
    .uniform_work_group_size: 1
    .uses_dynamic_stack: false
    .vgpr_count:     0
    .vgpr_spill_count: 0
    .wavefront_size: 64
  - .agpr_count:     0
    .args:
      - .offset:         0
        .size:           128
        .value_kind:     by_value
    .group_segment_fixed_size: 0
    .kernarg_segment_align: 8
    .kernarg_segment_size: 128
    .language:       OpenCL C
    .language_version:
      - 2
      - 0
    .max_flat_workgroup_size: 256
    .name:           _ZN7rocprim17ROCPRIM_400000_NS6detail17trampoline_kernelINS0_14default_configENS1_25partition_config_selectorILNS1_17partition_subalgoE2EyNS0_10empty_typeEbEEZZNS1_14partition_implILS5_2ELb0ES3_jN6thrust23THRUST_200600_302600_NS6detail15normal_iteratorINSA_7pointerIyNSA_11hip_rocprim3tagENSA_11use_defaultESG_EEEEPS6_NSA_18transform_iteratorI7is_evenIyENSC_INSA_10device_ptrIyEEEESG_SG_EENS0_5tupleIJPySJ_EEENSR_IJSJ_SJ_EEES6_PlJS6_EEE10hipError_tPvRmT3_T4_T5_T6_T7_T9_mT8_P12ihipStream_tbDpT10_ENKUlT_T0_E_clISt17integral_constantIbLb1EES1E_IbLb0EEEEDaS1A_S1B_EUlS1A_E_NS1_11comp_targetILNS1_3genE2ELNS1_11target_archE906ELNS1_3gpuE6ELNS1_3repE0EEENS1_30default_config_static_selectorELNS0_4arch9wavefront6targetE1EEEvT1_
    .private_segment_fixed_size: 0
    .sgpr_count:     6
    .sgpr_spill_count: 0
    .symbol:         _ZN7rocprim17ROCPRIM_400000_NS6detail17trampoline_kernelINS0_14default_configENS1_25partition_config_selectorILNS1_17partition_subalgoE2EyNS0_10empty_typeEbEEZZNS1_14partition_implILS5_2ELb0ES3_jN6thrust23THRUST_200600_302600_NS6detail15normal_iteratorINSA_7pointerIyNSA_11hip_rocprim3tagENSA_11use_defaultESG_EEEEPS6_NSA_18transform_iteratorI7is_evenIyENSC_INSA_10device_ptrIyEEEESG_SG_EENS0_5tupleIJPySJ_EEENSR_IJSJ_SJ_EEES6_PlJS6_EEE10hipError_tPvRmT3_T4_T5_T6_T7_T9_mT8_P12ihipStream_tbDpT10_ENKUlT_T0_E_clISt17integral_constantIbLb1EES1E_IbLb0EEEEDaS1A_S1B_EUlS1A_E_NS1_11comp_targetILNS1_3genE2ELNS1_11target_archE906ELNS1_3gpuE6ELNS1_3repE0EEENS1_30default_config_static_selectorELNS0_4arch9wavefront6targetE1EEEvT1_.kd
    .uniform_work_group_size: 1
    .uses_dynamic_stack: false
    .vgpr_count:     0
    .vgpr_spill_count: 0
    .wavefront_size: 64
  - .agpr_count:     0
    .args:
      - .offset:         0
        .size:           128
        .value_kind:     by_value
    .group_segment_fixed_size: 0
    .kernarg_segment_align: 8
    .kernarg_segment_size: 128
    .language:       OpenCL C
    .language_version:
      - 2
      - 0
    .max_flat_workgroup_size: 256
    .name:           _ZN7rocprim17ROCPRIM_400000_NS6detail17trampoline_kernelINS0_14default_configENS1_25partition_config_selectorILNS1_17partition_subalgoE2EyNS0_10empty_typeEbEEZZNS1_14partition_implILS5_2ELb0ES3_jN6thrust23THRUST_200600_302600_NS6detail15normal_iteratorINSA_7pointerIyNSA_11hip_rocprim3tagENSA_11use_defaultESG_EEEEPS6_NSA_18transform_iteratorI7is_evenIyENSC_INSA_10device_ptrIyEEEESG_SG_EENS0_5tupleIJPySJ_EEENSR_IJSJ_SJ_EEES6_PlJS6_EEE10hipError_tPvRmT3_T4_T5_T6_T7_T9_mT8_P12ihipStream_tbDpT10_ENKUlT_T0_E_clISt17integral_constantIbLb1EES1E_IbLb0EEEEDaS1A_S1B_EUlS1A_E_NS1_11comp_targetILNS1_3genE10ELNS1_11target_archE1200ELNS1_3gpuE4ELNS1_3repE0EEENS1_30default_config_static_selectorELNS0_4arch9wavefront6targetE1EEEvT1_
    .private_segment_fixed_size: 0
    .sgpr_count:     6
    .sgpr_spill_count: 0
    .symbol:         _ZN7rocprim17ROCPRIM_400000_NS6detail17trampoline_kernelINS0_14default_configENS1_25partition_config_selectorILNS1_17partition_subalgoE2EyNS0_10empty_typeEbEEZZNS1_14partition_implILS5_2ELb0ES3_jN6thrust23THRUST_200600_302600_NS6detail15normal_iteratorINSA_7pointerIyNSA_11hip_rocprim3tagENSA_11use_defaultESG_EEEEPS6_NSA_18transform_iteratorI7is_evenIyENSC_INSA_10device_ptrIyEEEESG_SG_EENS0_5tupleIJPySJ_EEENSR_IJSJ_SJ_EEES6_PlJS6_EEE10hipError_tPvRmT3_T4_T5_T6_T7_T9_mT8_P12ihipStream_tbDpT10_ENKUlT_T0_E_clISt17integral_constantIbLb1EES1E_IbLb0EEEEDaS1A_S1B_EUlS1A_E_NS1_11comp_targetILNS1_3genE10ELNS1_11target_archE1200ELNS1_3gpuE4ELNS1_3repE0EEENS1_30default_config_static_selectorELNS0_4arch9wavefront6targetE1EEEvT1_.kd
    .uniform_work_group_size: 1
    .uses_dynamic_stack: false
    .vgpr_count:     0
    .vgpr_spill_count: 0
    .wavefront_size: 64
  - .agpr_count:     0
    .args:
      - .offset:         0
        .size:           128
        .value_kind:     by_value
    .group_segment_fixed_size: 0
    .kernarg_segment_align: 8
    .kernarg_segment_size: 128
    .language:       OpenCL C
    .language_version:
      - 2
      - 0
    .max_flat_workgroup_size: 512
    .name:           _ZN7rocprim17ROCPRIM_400000_NS6detail17trampoline_kernelINS0_14default_configENS1_25partition_config_selectorILNS1_17partition_subalgoE2EyNS0_10empty_typeEbEEZZNS1_14partition_implILS5_2ELb0ES3_jN6thrust23THRUST_200600_302600_NS6detail15normal_iteratorINSA_7pointerIyNSA_11hip_rocprim3tagENSA_11use_defaultESG_EEEEPS6_NSA_18transform_iteratorI7is_evenIyENSC_INSA_10device_ptrIyEEEESG_SG_EENS0_5tupleIJPySJ_EEENSR_IJSJ_SJ_EEES6_PlJS6_EEE10hipError_tPvRmT3_T4_T5_T6_T7_T9_mT8_P12ihipStream_tbDpT10_ENKUlT_T0_E_clISt17integral_constantIbLb1EES1E_IbLb0EEEEDaS1A_S1B_EUlS1A_E_NS1_11comp_targetILNS1_3genE9ELNS1_11target_archE1100ELNS1_3gpuE3ELNS1_3repE0EEENS1_30default_config_static_selectorELNS0_4arch9wavefront6targetE1EEEvT1_
    .private_segment_fixed_size: 0
    .sgpr_count:     6
    .sgpr_spill_count: 0
    .symbol:         _ZN7rocprim17ROCPRIM_400000_NS6detail17trampoline_kernelINS0_14default_configENS1_25partition_config_selectorILNS1_17partition_subalgoE2EyNS0_10empty_typeEbEEZZNS1_14partition_implILS5_2ELb0ES3_jN6thrust23THRUST_200600_302600_NS6detail15normal_iteratorINSA_7pointerIyNSA_11hip_rocprim3tagENSA_11use_defaultESG_EEEEPS6_NSA_18transform_iteratorI7is_evenIyENSC_INSA_10device_ptrIyEEEESG_SG_EENS0_5tupleIJPySJ_EEENSR_IJSJ_SJ_EEES6_PlJS6_EEE10hipError_tPvRmT3_T4_T5_T6_T7_T9_mT8_P12ihipStream_tbDpT10_ENKUlT_T0_E_clISt17integral_constantIbLb1EES1E_IbLb0EEEEDaS1A_S1B_EUlS1A_E_NS1_11comp_targetILNS1_3genE9ELNS1_11target_archE1100ELNS1_3gpuE3ELNS1_3repE0EEENS1_30default_config_static_selectorELNS0_4arch9wavefront6targetE1EEEvT1_.kd
    .uniform_work_group_size: 1
    .uses_dynamic_stack: false
    .vgpr_count:     0
    .vgpr_spill_count: 0
    .wavefront_size: 64
  - .agpr_count:     0
    .args:
      - .offset:         0
        .size:           128
        .value_kind:     by_value
    .group_segment_fixed_size: 0
    .kernarg_segment_align: 8
    .kernarg_segment_size: 128
    .language:       OpenCL C
    .language_version:
      - 2
      - 0
    .max_flat_workgroup_size: 512
    .name:           _ZN7rocprim17ROCPRIM_400000_NS6detail17trampoline_kernelINS0_14default_configENS1_25partition_config_selectorILNS1_17partition_subalgoE2EyNS0_10empty_typeEbEEZZNS1_14partition_implILS5_2ELb0ES3_jN6thrust23THRUST_200600_302600_NS6detail15normal_iteratorINSA_7pointerIyNSA_11hip_rocprim3tagENSA_11use_defaultESG_EEEEPS6_NSA_18transform_iteratorI7is_evenIyENSC_INSA_10device_ptrIyEEEESG_SG_EENS0_5tupleIJPySJ_EEENSR_IJSJ_SJ_EEES6_PlJS6_EEE10hipError_tPvRmT3_T4_T5_T6_T7_T9_mT8_P12ihipStream_tbDpT10_ENKUlT_T0_E_clISt17integral_constantIbLb1EES1E_IbLb0EEEEDaS1A_S1B_EUlS1A_E_NS1_11comp_targetILNS1_3genE8ELNS1_11target_archE1030ELNS1_3gpuE2ELNS1_3repE0EEENS1_30default_config_static_selectorELNS0_4arch9wavefront6targetE1EEEvT1_
    .private_segment_fixed_size: 0
    .sgpr_count:     6
    .sgpr_spill_count: 0
    .symbol:         _ZN7rocprim17ROCPRIM_400000_NS6detail17trampoline_kernelINS0_14default_configENS1_25partition_config_selectorILNS1_17partition_subalgoE2EyNS0_10empty_typeEbEEZZNS1_14partition_implILS5_2ELb0ES3_jN6thrust23THRUST_200600_302600_NS6detail15normal_iteratorINSA_7pointerIyNSA_11hip_rocprim3tagENSA_11use_defaultESG_EEEEPS6_NSA_18transform_iteratorI7is_evenIyENSC_INSA_10device_ptrIyEEEESG_SG_EENS0_5tupleIJPySJ_EEENSR_IJSJ_SJ_EEES6_PlJS6_EEE10hipError_tPvRmT3_T4_T5_T6_T7_T9_mT8_P12ihipStream_tbDpT10_ENKUlT_T0_E_clISt17integral_constantIbLb1EES1E_IbLb0EEEEDaS1A_S1B_EUlS1A_E_NS1_11comp_targetILNS1_3genE8ELNS1_11target_archE1030ELNS1_3gpuE2ELNS1_3repE0EEENS1_30default_config_static_selectorELNS0_4arch9wavefront6targetE1EEEvT1_.kd
    .uniform_work_group_size: 1
    .uses_dynamic_stack: false
    .vgpr_count:     0
    .vgpr_spill_count: 0
    .wavefront_size: 64
  - .agpr_count:     0
    .args:
      - .offset:         0
        .size:           144
        .value_kind:     by_value
    .group_segment_fixed_size: 0
    .kernarg_segment_align: 8
    .kernarg_segment_size: 144
    .language:       OpenCL C
    .language_version:
      - 2
      - 0
    .max_flat_workgroup_size: 128
    .name:           _ZN7rocprim17ROCPRIM_400000_NS6detail17trampoline_kernelINS0_14default_configENS1_25partition_config_selectorILNS1_17partition_subalgoE2EyNS0_10empty_typeEbEEZZNS1_14partition_implILS5_2ELb0ES3_jN6thrust23THRUST_200600_302600_NS6detail15normal_iteratorINSA_7pointerIyNSA_11hip_rocprim3tagENSA_11use_defaultESG_EEEEPS6_NSA_18transform_iteratorI7is_evenIyENSC_INSA_10device_ptrIyEEEESG_SG_EENS0_5tupleIJPySJ_EEENSR_IJSJ_SJ_EEES6_PlJS6_EEE10hipError_tPvRmT3_T4_T5_T6_T7_T9_mT8_P12ihipStream_tbDpT10_ENKUlT_T0_E_clISt17integral_constantIbLb0EES1E_IbLb1EEEEDaS1A_S1B_EUlS1A_E_NS1_11comp_targetILNS1_3genE0ELNS1_11target_archE4294967295ELNS1_3gpuE0ELNS1_3repE0EEENS1_30default_config_static_selectorELNS0_4arch9wavefront6targetE1EEEvT1_
    .private_segment_fixed_size: 0
    .sgpr_count:     6
    .sgpr_spill_count: 0
    .symbol:         _ZN7rocprim17ROCPRIM_400000_NS6detail17trampoline_kernelINS0_14default_configENS1_25partition_config_selectorILNS1_17partition_subalgoE2EyNS0_10empty_typeEbEEZZNS1_14partition_implILS5_2ELb0ES3_jN6thrust23THRUST_200600_302600_NS6detail15normal_iteratorINSA_7pointerIyNSA_11hip_rocprim3tagENSA_11use_defaultESG_EEEEPS6_NSA_18transform_iteratorI7is_evenIyENSC_INSA_10device_ptrIyEEEESG_SG_EENS0_5tupleIJPySJ_EEENSR_IJSJ_SJ_EEES6_PlJS6_EEE10hipError_tPvRmT3_T4_T5_T6_T7_T9_mT8_P12ihipStream_tbDpT10_ENKUlT_T0_E_clISt17integral_constantIbLb0EES1E_IbLb1EEEEDaS1A_S1B_EUlS1A_E_NS1_11comp_targetILNS1_3genE0ELNS1_11target_archE4294967295ELNS1_3gpuE0ELNS1_3repE0EEENS1_30default_config_static_selectorELNS0_4arch9wavefront6targetE1EEEvT1_.kd
    .uniform_work_group_size: 1
    .uses_dynamic_stack: false
    .vgpr_count:     0
    .vgpr_spill_count: 0
    .wavefront_size: 64
  - .agpr_count:     0
    .args:
      - .offset:         0
        .size:           144
        .value_kind:     by_value
    .group_segment_fixed_size: 28680
    .kernarg_segment_align: 8
    .kernarg_segment_size: 144
    .language:       OpenCL C
    .language_version:
      - 2
      - 0
    .max_flat_workgroup_size: 512
    .name:           _ZN7rocprim17ROCPRIM_400000_NS6detail17trampoline_kernelINS0_14default_configENS1_25partition_config_selectorILNS1_17partition_subalgoE2EyNS0_10empty_typeEbEEZZNS1_14partition_implILS5_2ELb0ES3_jN6thrust23THRUST_200600_302600_NS6detail15normal_iteratorINSA_7pointerIyNSA_11hip_rocprim3tagENSA_11use_defaultESG_EEEEPS6_NSA_18transform_iteratorI7is_evenIyENSC_INSA_10device_ptrIyEEEESG_SG_EENS0_5tupleIJPySJ_EEENSR_IJSJ_SJ_EEES6_PlJS6_EEE10hipError_tPvRmT3_T4_T5_T6_T7_T9_mT8_P12ihipStream_tbDpT10_ENKUlT_T0_E_clISt17integral_constantIbLb0EES1E_IbLb1EEEEDaS1A_S1B_EUlS1A_E_NS1_11comp_targetILNS1_3genE5ELNS1_11target_archE942ELNS1_3gpuE9ELNS1_3repE0EEENS1_30default_config_static_selectorELNS0_4arch9wavefront6targetE1EEEvT1_
    .private_segment_fixed_size: 0
    .sgpr_count:     52
    .sgpr_spill_count: 0
    .symbol:         _ZN7rocprim17ROCPRIM_400000_NS6detail17trampoline_kernelINS0_14default_configENS1_25partition_config_selectorILNS1_17partition_subalgoE2EyNS0_10empty_typeEbEEZZNS1_14partition_implILS5_2ELb0ES3_jN6thrust23THRUST_200600_302600_NS6detail15normal_iteratorINSA_7pointerIyNSA_11hip_rocprim3tagENSA_11use_defaultESG_EEEEPS6_NSA_18transform_iteratorI7is_evenIyENSC_INSA_10device_ptrIyEEEESG_SG_EENS0_5tupleIJPySJ_EEENSR_IJSJ_SJ_EEES6_PlJS6_EEE10hipError_tPvRmT3_T4_T5_T6_T7_T9_mT8_P12ihipStream_tbDpT10_ENKUlT_T0_E_clISt17integral_constantIbLb0EES1E_IbLb1EEEEDaS1A_S1B_EUlS1A_E_NS1_11comp_targetILNS1_3genE5ELNS1_11target_archE942ELNS1_3gpuE9ELNS1_3repE0EEENS1_30default_config_static_selectorELNS0_4arch9wavefront6targetE1EEEvT1_.kd
    .uniform_work_group_size: 1
    .uses_dynamic_stack: false
    .vgpr_count:     56
    .vgpr_spill_count: 0
    .wavefront_size: 64
  - .agpr_count:     0
    .args:
      - .offset:         0
        .size:           144
        .value_kind:     by_value
    .group_segment_fixed_size: 0
    .kernarg_segment_align: 8
    .kernarg_segment_size: 144
    .language:       OpenCL C
    .language_version:
      - 2
      - 0
    .max_flat_workgroup_size: 192
    .name:           _ZN7rocprim17ROCPRIM_400000_NS6detail17trampoline_kernelINS0_14default_configENS1_25partition_config_selectorILNS1_17partition_subalgoE2EyNS0_10empty_typeEbEEZZNS1_14partition_implILS5_2ELb0ES3_jN6thrust23THRUST_200600_302600_NS6detail15normal_iteratorINSA_7pointerIyNSA_11hip_rocprim3tagENSA_11use_defaultESG_EEEEPS6_NSA_18transform_iteratorI7is_evenIyENSC_INSA_10device_ptrIyEEEESG_SG_EENS0_5tupleIJPySJ_EEENSR_IJSJ_SJ_EEES6_PlJS6_EEE10hipError_tPvRmT3_T4_T5_T6_T7_T9_mT8_P12ihipStream_tbDpT10_ENKUlT_T0_E_clISt17integral_constantIbLb0EES1E_IbLb1EEEEDaS1A_S1B_EUlS1A_E_NS1_11comp_targetILNS1_3genE4ELNS1_11target_archE910ELNS1_3gpuE8ELNS1_3repE0EEENS1_30default_config_static_selectorELNS0_4arch9wavefront6targetE1EEEvT1_
    .private_segment_fixed_size: 0
    .sgpr_count:     6
    .sgpr_spill_count: 0
    .symbol:         _ZN7rocprim17ROCPRIM_400000_NS6detail17trampoline_kernelINS0_14default_configENS1_25partition_config_selectorILNS1_17partition_subalgoE2EyNS0_10empty_typeEbEEZZNS1_14partition_implILS5_2ELb0ES3_jN6thrust23THRUST_200600_302600_NS6detail15normal_iteratorINSA_7pointerIyNSA_11hip_rocprim3tagENSA_11use_defaultESG_EEEEPS6_NSA_18transform_iteratorI7is_evenIyENSC_INSA_10device_ptrIyEEEESG_SG_EENS0_5tupleIJPySJ_EEENSR_IJSJ_SJ_EEES6_PlJS6_EEE10hipError_tPvRmT3_T4_T5_T6_T7_T9_mT8_P12ihipStream_tbDpT10_ENKUlT_T0_E_clISt17integral_constantIbLb0EES1E_IbLb1EEEEDaS1A_S1B_EUlS1A_E_NS1_11comp_targetILNS1_3genE4ELNS1_11target_archE910ELNS1_3gpuE8ELNS1_3repE0EEENS1_30default_config_static_selectorELNS0_4arch9wavefront6targetE1EEEvT1_.kd
    .uniform_work_group_size: 1
    .uses_dynamic_stack: false
    .vgpr_count:     0
    .vgpr_spill_count: 0
    .wavefront_size: 64
  - .agpr_count:     0
    .args:
      - .offset:         0
        .size:           144
        .value_kind:     by_value
    .group_segment_fixed_size: 0
    .kernarg_segment_align: 8
    .kernarg_segment_size: 144
    .language:       OpenCL C
    .language_version:
      - 2
      - 0
    .max_flat_workgroup_size: 128
    .name:           _ZN7rocprim17ROCPRIM_400000_NS6detail17trampoline_kernelINS0_14default_configENS1_25partition_config_selectorILNS1_17partition_subalgoE2EyNS0_10empty_typeEbEEZZNS1_14partition_implILS5_2ELb0ES3_jN6thrust23THRUST_200600_302600_NS6detail15normal_iteratorINSA_7pointerIyNSA_11hip_rocprim3tagENSA_11use_defaultESG_EEEEPS6_NSA_18transform_iteratorI7is_evenIyENSC_INSA_10device_ptrIyEEEESG_SG_EENS0_5tupleIJPySJ_EEENSR_IJSJ_SJ_EEES6_PlJS6_EEE10hipError_tPvRmT3_T4_T5_T6_T7_T9_mT8_P12ihipStream_tbDpT10_ENKUlT_T0_E_clISt17integral_constantIbLb0EES1E_IbLb1EEEEDaS1A_S1B_EUlS1A_E_NS1_11comp_targetILNS1_3genE3ELNS1_11target_archE908ELNS1_3gpuE7ELNS1_3repE0EEENS1_30default_config_static_selectorELNS0_4arch9wavefront6targetE1EEEvT1_
    .private_segment_fixed_size: 0
    .sgpr_count:     6
    .sgpr_spill_count: 0
    .symbol:         _ZN7rocprim17ROCPRIM_400000_NS6detail17trampoline_kernelINS0_14default_configENS1_25partition_config_selectorILNS1_17partition_subalgoE2EyNS0_10empty_typeEbEEZZNS1_14partition_implILS5_2ELb0ES3_jN6thrust23THRUST_200600_302600_NS6detail15normal_iteratorINSA_7pointerIyNSA_11hip_rocprim3tagENSA_11use_defaultESG_EEEEPS6_NSA_18transform_iteratorI7is_evenIyENSC_INSA_10device_ptrIyEEEESG_SG_EENS0_5tupleIJPySJ_EEENSR_IJSJ_SJ_EEES6_PlJS6_EEE10hipError_tPvRmT3_T4_T5_T6_T7_T9_mT8_P12ihipStream_tbDpT10_ENKUlT_T0_E_clISt17integral_constantIbLb0EES1E_IbLb1EEEEDaS1A_S1B_EUlS1A_E_NS1_11comp_targetILNS1_3genE3ELNS1_11target_archE908ELNS1_3gpuE7ELNS1_3repE0EEENS1_30default_config_static_selectorELNS0_4arch9wavefront6targetE1EEEvT1_.kd
    .uniform_work_group_size: 1
    .uses_dynamic_stack: false
    .vgpr_count:     0
    .vgpr_spill_count: 0
    .wavefront_size: 64
  - .agpr_count:     0
    .args:
      - .offset:         0
        .size:           144
        .value_kind:     by_value
    .group_segment_fixed_size: 0
    .kernarg_segment_align: 8
    .kernarg_segment_size: 144
    .language:       OpenCL C
    .language_version:
      - 2
      - 0
    .max_flat_workgroup_size: 256
    .name:           _ZN7rocprim17ROCPRIM_400000_NS6detail17trampoline_kernelINS0_14default_configENS1_25partition_config_selectorILNS1_17partition_subalgoE2EyNS0_10empty_typeEbEEZZNS1_14partition_implILS5_2ELb0ES3_jN6thrust23THRUST_200600_302600_NS6detail15normal_iteratorINSA_7pointerIyNSA_11hip_rocprim3tagENSA_11use_defaultESG_EEEEPS6_NSA_18transform_iteratorI7is_evenIyENSC_INSA_10device_ptrIyEEEESG_SG_EENS0_5tupleIJPySJ_EEENSR_IJSJ_SJ_EEES6_PlJS6_EEE10hipError_tPvRmT3_T4_T5_T6_T7_T9_mT8_P12ihipStream_tbDpT10_ENKUlT_T0_E_clISt17integral_constantIbLb0EES1E_IbLb1EEEEDaS1A_S1B_EUlS1A_E_NS1_11comp_targetILNS1_3genE2ELNS1_11target_archE906ELNS1_3gpuE6ELNS1_3repE0EEENS1_30default_config_static_selectorELNS0_4arch9wavefront6targetE1EEEvT1_
    .private_segment_fixed_size: 0
    .sgpr_count:     6
    .sgpr_spill_count: 0
    .symbol:         _ZN7rocprim17ROCPRIM_400000_NS6detail17trampoline_kernelINS0_14default_configENS1_25partition_config_selectorILNS1_17partition_subalgoE2EyNS0_10empty_typeEbEEZZNS1_14partition_implILS5_2ELb0ES3_jN6thrust23THRUST_200600_302600_NS6detail15normal_iteratorINSA_7pointerIyNSA_11hip_rocprim3tagENSA_11use_defaultESG_EEEEPS6_NSA_18transform_iteratorI7is_evenIyENSC_INSA_10device_ptrIyEEEESG_SG_EENS0_5tupleIJPySJ_EEENSR_IJSJ_SJ_EEES6_PlJS6_EEE10hipError_tPvRmT3_T4_T5_T6_T7_T9_mT8_P12ihipStream_tbDpT10_ENKUlT_T0_E_clISt17integral_constantIbLb0EES1E_IbLb1EEEEDaS1A_S1B_EUlS1A_E_NS1_11comp_targetILNS1_3genE2ELNS1_11target_archE906ELNS1_3gpuE6ELNS1_3repE0EEENS1_30default_config_static_selectorELNS0_4arch9wavefront6targetE1EEEvT1_.kd
    .uniform_work_group_size: 1
    .uses_dynamic_stack: false
    .vgpr_count:     0
    .vgpr_spill_count: 0
    .wavefront_size: 64
  - .agpr_count:     0
    .args:
      - .offset:         0
        .size:           144
        .value_kind:     by_value
    .group_segment_fixed_size: 0
    .kernarg_segment_align: 8
    .kernarg_segment_size: 144
    .language:       OpenCL C
    .language_version:
      - 2
      - 0
    .max_flat_workgroup_size: 256
    .name:           _ZN7rocprim17ROCPRIM_400000_NS6detail17trampoline_kernelINS0_14default_configENS1_25partition_config_selectorILNS1_17partition_subalgoE2EyNS0_10empty_typeEbEEZZNS1_14partition_implILS5_2ELb0ES3_jN6thrust23THRUST_200600_302600_NS6detail15normal_iteratorINSA_7pointerIyNSA_11hip_rocprim3tagENSA_11use_defaultESG_EEEEPS6_NSA_18transform_iteratorI7is_evenIyENSC_INSA_10device_ptrIyEEEESG_SG_EENS0_5tupleIJPySJ_EEENSR_IJSJ_SJ_EEES6_PlJS6_EEE10hipError_tPvRmT3_T4_T5_T6_T7_T9_mT8_P12ihipStream_tbDpT10_ENKUlT_T0_E_clISt17integral_constantIbLb0EES1E_IbLb1EEEEDaS1A_S1B_EUlS1A_E_NS1_11comp_targetILNS1_3genE10ELNS1_11target_archE1200ELNS1_3gpuE4ELNS1_3repE0EEENS1_30default_config_static_selectorELNS0_4arch9wavefront6targetE1EEEvT1_
    .private_segment_fixed_size: 0
    .sgpr_count:     6
    .sgpr_spill_count: 0
    .symbol:         _ZN7rocprim17ROCPRIM_400000_NS6detail17trampoline_kernelINS0_14default_configENS1_25partition_config_selectorILNS1_17partition_subalgoE2EyNS0_10empty_typeEbEEZZNS1_14partition_implILS5_2ELb0ES3_jN6thrust23THRUST_200600_302600_NS6detail15normal_iteratorINSA_7pointerIyNSA_11hip_rocprim3tagENSA_11use_defaultESG_EEEEPS6_NSA_18transform_iteratorI7is_evenIyENSC_INSA_10device_ptrIyEEEESG_SG_EENS0_5tupleIJPySJ_EEENSR_IJSJ_SJ_EEES6_PlJS6_EEE10hipError_tPvRmT3_T4_T5_T6_T7_T9_mT8_P12ihipStream_tbDpT10_ENKUlT_T0_E_clISt17integral_constantIbLb0EES1E_IbLb1EEEEDaS1A_S1B_EUlS1A_E_NS1_11comp_targetILNS1_3genE10ELNS1_11target_archE1200ELNS1_3gpuE4ELNS1_3repE0EEENS1_30default_config_static_selectorELNS0_4arch9wavefront6targetE1EEEvT1_.kd
    .uniform_work_group_size: 1
    .uses_dynamic_stack: false
    .vgpr_count:     0
    .vgpr_spill_count: 0
    .wavefront_size: 64
  - .agpr_count:     0
    .args:
      - .offset:         0
        .size:           144
        .value_kind:     by_value
    .group_segment_fixed_size: 0
    .kernarg_segment_align: 8
    .kernarg_segment_size: 144
    .language:       OpenCL C
    .language_version:
      - 2
      - 0
    .max_flat_workgroup_size: 512
    .name:           _ZN7rocprim17ROCPRIM_400000_NS6detail17trampoline_kernelINS0_14default_configENS1_25partition_config_selectorILNS1_17partition_subalgoE2EyNS0_10empty_typeEbEEZZNS1_14partition_implILS5_2ELb0ES3_jN6thrust23THRUST_200600_302600_NS6detail15normal_iteratorINSA_7pointerIyNSA_11hip_rocprim3tagENSA_11use_defaultESG_EEEEPS6_NSA_18transform_iteratorI7is_evenIyENSC_INSA_10device_ptrIyEEEESG_SG_EENS0_5tupleIJPySJ_EEENSR_IJSJ_SJ_EEES6_PlJS6_EEE10hipError_tPvRmT3_T4_T5_T6_T7_T9_mT8_P12ihipStream_tbDpT10_ENKUlT_T0_E_clISt17integral_constantIbLb0EES1E_IbLb1EEEEDaS1A_S1B_EUlS1A_E_NS1_11comp_targetILNS1_3genE9ELNS1_11target_archE1100ELNS1_3gpuE3ELNS1_3repE0EEENS1_30default_config_static_selectorELNS0_4arch9wavefront6targetE1EEEvT1_
    .private_segment_fixed_size: 0
    .sgpr_count:     6
    .sgpr_spill_count: 0
    .symbol:         _ZN7rocprim17ROCPRIM_400000_NS6detail17trampoline_kernelINS0_14default_configENS1_25partition_config_selectorILNS1_17partition_subalgoE2EyNS0_10empty_typeEbEEZZNS1_14partition_implILS5_2ELb0ES3_jN6thrust23THRUST_200600_302600_NS6detail15normal_iteratorINSA_7pointerIyNSA_11hip_rocprim3tagENSA_11use_defaultESG_EEEEPS6_NSA_18transform_iteratorI7is_evenIyENSC_INSA_10device_ptrIyEEEESG_SG_EENS0_5tupleIJPySJ_EEENSR_IJSJ_SJ_EEES6_PlJS6_EEE10hipError_tPvRmT3_T4_T5_T6_T7_T9_mT8_P12ihipStream_tbDpT10_ENKUlT_T0_E_clISt17integral_constantIbLb0EES1E_IbLb1EEEEDaS1A_S1B_EUlS1A_E_NS1_11comp_targetILNS1_3genE9ELNS1_11target_archE1100ELNS1_3gpuE3ELNS1_3repE0EEENS1_30default_config_static_selectorELNS0_4arch9wavefront6targetE1EEEvT1_.kd
    .uniform_work_group_size: 1
    .uses_dynamic_stack: false
    .vgpr_count:     0
    .vgpr_spill_count: 0
    .wavefront_size: 64
  - .agpr_count:     0
    .args:
      - .offset:         0
        .size:           144
        .value_kind:     by_value
    .group_segment_fixed_size: 0
    .kernarg_segment_align: 8
    .kernarg_segment_size: 144
    .language:       OpenCL C
    .language_version:
      - 2
      - 0
    .max_flat_workgroup_size: 512
    .name:           _ZN7rocprim17ROCPRIM_400000_NS6detail17trampoline_kernelINS0_14default_configENS1_25partition_config_selectorILNS1_17partition_subalgoE2EyNS0_10empty_typeEbEEZZNS1_14partition_implILS5_2ELb0ES3_jN6thrust23THRUST_200600_302600_NS6detail15normal_iteratorINSA_7pointerIyNSA_11hip_rocprim3tagENSA_11use_defaultESG_EEEEPS6_NSA_18transform_iteratorI7is_evenIyENSC_INSA_10device_ptrIyEEEESG_SG_EENS0_5tupleIJPySJ_EEENSR_IJSJ_SJ_EEES6_PlJS6_EEE10hipError_tPvRmT3_T4_T5_T6_T7_T9_mT8_P12ihipStream_tbDpT10_ENKUlT_T0_E_clISt17integral_constantIbLb0EES1E_IbLb1EEEEDaS1A_S1B_EUlS1A_E_NS1_11comp_targetILNS1_3genE8ELNS1_11target_archE1030ELNS1_3gpuE2ELNS1_3repE0EEENS1_30default_config_static_selectorELNS0_4arch9wavefront6targetE1EEEvT1_
    .private_segment_fixed_size: 0
    .sgpr_count:     6
    .sgpr_spill_count: 0
    .symbol:         _ZN7rocprim17ROCPRIM_400000_NS6detail17trampoline_kernelINS0_14default_configENS1_25partition_config_selectorILNS1_17partition_subalgoE2EyNS0_10empty_typeEbEEZZNS1_14partition_implILS5_2ELb0ES3_jN6thrust23THRUST_200600_302600_NS6detail15normal_iteratorINSA_7pointerIyNSA_11hip_rocprim3tagENSA_11use_defaultESG_EEEEPS6_NSA_18transform_iteratorI7is_evenIyENSC_INSA_10device_ptrIyEEEESG_SG_EENS0_5tupleIJPySJ_EEENSR_IJSJ_SJ_EEES6_PlJS6_EEE10hipError_tPvRmT3_T4_T5_T6_T7_T9_mT8_P12ihipStream_tbDpT10_ENKUlT_T0_E_clISt17integral_constantIbLb0EES1E_IbLb1EEEEDaS1A_S1B_EUlS1A_E_NS1_11comp_targetILNS1_3genE8ELNS1_11target_archE1030ELNS1_3gpuE2ELNS1_3repE0EEENS1_30default_config_static_selectorELNS0_4arch9wavefront6targetE1EEEvT1_.kd
    .uniform_work_group_size: 1
    .uses_dynamic_stack: false
    .vgpr_count:     0
    .vgpr_spill_count: 0
    .wavefront_size: 64
  - .agpr_count:     0
    .args:
      - .offset:         0
        .size:           16
        .value_kind:     by_value
      - .offset:         16
        .size:           8
        .value_kind:     by_value
      - .offset:         24
        .size:           8
        .value_kind:     by_value
    .group_segment_fixed_size: 0
    .kernarg_segment_align: 8
    .kernarg_segment_size: 32
    .language:       OpenCL C
    .language_version:
      - 2
      - 0
    .max_flat_workgroup_size: 256
    .name:           _ZN6thrust23THRUST_200600_302600_NS11hip_rocprim14__parallel_for6kernelILj256ENS1_13__swap_ranges6swap_fINS0_6detail15normal_iteratorINS0_10device_ptrIyEEEENS0_16reverse_iteratorISA_EEEElLj1EEEvT0_T1_SF_
    .private_segment_fixed_size: 0
    .sgpr_count:     18
    .sgpr_spill_count: 0
    .symbol:         _ZN6thrust23THRUST_200600_302600_NS11hip_rocprim14__parallel_for6kernelILj256ENS1_13__swap_ranges6swap_fINS0_6detail15normal_iteratorINS0_10device_ptrIyEEEENS0_16reverse_iteratorISA_EEEElLj1EEEvT0_T1_SF_.kd
    .uniform_work_group_size: 1
    .uses_dynamic_stack: false
    .vgpr_count:     10
    .vgpr_spill_count: 0
    .wavefront_size: 64
  - .agpr_count:     0
    .args:
      - .offset:         0
        .size:           128
        .value_kind:     by_value
    .group_segment_fixed_size: 0
    .kernarg_segment_align: 8
    .kernarg_segment_size: 128
    .language:       OpenCL C
    .language_version:
      - 2
      - 0
    .max_flat_workgroup_size: 128
    .name:           _ZN7rocprim17ROCPRIM_400000_NS6detail17trampoline_kernelINS0_14default_configENS1_25partition_config_selectorILNS1_17partition_subalgoE2EjNS0_10empty_typeEbEEZZNS1_14partition_implILS5_2ELb0ES3_jN6thrust23THRUST_200600_302600_NS6detail15normal_iteratorINSA_7pointerIjNSA_11hip_rocprim3tagENSA_11use_defaultESG_EEEEPS6_NSA_18transform_iteratorI7is_evenIjENSC_INSA_10device_ptrIjEEEESG_SG_EENS0_5tupleIJPjSJ_EEENSR_IJSJ_SJ_EEES6_PlJS6_EEE10hipError_tPvRmT3_T4_T5_T6_T7_T9_mT8_P12ihipStream_tbDpT10_ENKUlT_T0_E_clISt17integral_constantIbLb0EES1F_EEDaS1A_S1B_EUlS1A_E_NS1_11comp_targetILNS1_3genE0ELNS1_11target_archE4294967295ELNS1_3gpuE0ELNS1_3repE0EEENS1_30default_config_static_selectorELNS0_4arch9wavefront6targetE1EEEvT1_
    .private_segment_fixed_size: 0
    .sgpr_count:     6
    .sgpr_spill_count: 0
    .symbol:         _ZN7rocprim17ROCPRIM_400000_NS6detail17trampoline_kernelINS0_14default_configENS1_25partition_config_selectorILNS1_17partition_subalgoE2EjNS0_10empty_typeEbEEZZNS1_14partition_implILS5_2ELb0ES3_jN6thrust23THRUST_200600_302600_NS6detail15normal_iteratorINSA_7pointerIjNSA_11hip_rocprim3tagENSA_11use_defaultESG_EEEEPS6_NSA_18transform_iteratorI7is_evenIjENSC_INSA_10device_ptrIjEEEESG_SG_EENS0_5tupleIJPjSJ_EEENSR_IJSJ_SJ_EEES6_PlJS6_EEE10hipError_tPvRmT3_T4_T5_T6_T7_T9_mT8_P12ihipStream_tbDpT10_ENKUlT_T0_E_clISt17integral_constantIbLb0EES1F_EEDaS1A_S1B_EUlS1A_E_NS1_11comp_targetILNS1_3genE0ELNS1_11target_archE4294967295ELNS1_3gpuE0ELNS1_3repE0EEENS1_30default_config_static_selectorELNS0_4arch9wavefront6targetE1EEEvT1_.kd
    .uniform_work_group_size: 1
    .uses_dynamic_stack: false
    .vgpr_count:     0
    .vgpr_spill_count: 0
    .wavefront_size: 64
  - .agpr_count:     0
    .args:
      - .offset:         0
        .size:           128
        .value_kind:     by_value
    .group_segment_fixed_size: 30728
    .kernarg_segment_align: 8
    .kernarg_segment_size: 128
    .language:       OpenCL C
    .language_version:
      - 2
      - 0
    .max_flat_workgroup_size: 512
    .name:           _ZN7rocprim17ROCPRIM_400000_NS6detail17trampoline_kernelINS0_14default_configENS1_25partition_config_selectorILNS1_17partition_subalgoE2EjNS0_10empty_typeEbEEZZNS1_14partition_implILS5_2ELb0ES3_jN6thrust23THRUST_200600_302600_NS6detail15normal_iteratorINSA_7pointerIjNSA_11hip_rocprim3tagENSA_11use_defaultESG_EEEEPS6_NSA_18transform_iteratorI7is_evenIjENSC_INSA_10device_ptrIjEEEESG_SG_EENS0_5tupleIJPjSJ_EEENSR_IJSJ_SJ_EEES6_PlJS6_EEE10hipError_tPvRmT3_T4_T5_T6_T7_T9_mT8_P12ihipStream_tbDpT10_ENKUlT_T0_E_clISt17integral_constantIbLb0EES1F_EEDaS1A_S1B_EUlS1A_E_NS1_11comp_targetILNS1_3genE5ELNS1_11target_archE942ELNS1_3gpuE9ELNS1_3repE0EEENS1_30default_config_static_selectorELNS0_4arch9wavefront6targetE1EEEvT1_
    .private_segment_fixed_size: 0
    .sgpr_count:     52
    .sgpr_spill_count: 0
    .symbol:         _ZN7rocprim17ROCPRIM_400000_NS6detail17trampoline_kernelINS0_14default_configENS1_25partition_config_selectorILNS1_17partition_subalgoE2EjNS0_10empty_typeEbEEZZNS1_14partition_implILS5_2ELb0ES3_jN6thrust23THRUST_200600_302600_NS6detail15normal_iteratorINSA_7pointerIjNSA_11hip_rocprim3tagENSA_11use_defaultESG_EEEEPS6_NSA_18transform_iteratorI7is_evenIjENSC_INSA_10device_ptrIjEEEESG_SG_EENS0_5tupleIJPjSJ_EEENSR_IJSJ_SJ_EEES6_PlJS6_EEE10hipError_tPvRmT3_T4_T5_T6_T7_T9_mT8_P12ihipStream_tbDpT10_ENKUlT_T0_E_clISt17integral_constantIbLb0EES1F_EEDaS1A_S1B_EUlS1A_E_NS1_11comp_targetILNS1_3genE5ELNS1_11target_archE942ELNS1_3gpuE9ELNS1_3repE0EEENS1_30default_config_static_selectorELNS0_4arch9wavefront6targetE1EEEvT1_.kd
    .uniform_work_group_size: 1
    .uses_dynamic_stack: false
    .vgpr_count:     65
    .vgpr_spill_count: 0
    .wavefront_size: 64
  - .agpr_count:     0
    .args:
      - .offset:         0
        .size:           128
        .value_kind:     by_value
    .group_segment_fixed_size: 0
    .kernarg_segment_align: 8
    .kernarg_segment_size: 128
    .language:       OpenCL C
    .language_version:
      - 2
      - 0
    .max_flat_workgroup_size: 256
    .name:           _ZN7rocprim17ROCPRIM_400000_NS6detail17trampoline_kernelINS0_14default_configENS1_25partition_config_selectorILNS1_17partition_subalgoE2EjNS0_10empty_typeEbEEZZNS1_14partition_implILS5_2ELb0ES3_jN6thrust23THRUST_200600_302600_NS6detail15normal_iteratorINSA_7pointerIjNSA_11hip_rocprim3tagENSA_11use_defaultESG_EEEEPS6_NSA_18transform_iteratorI7is_evenIjENSC_INSA_10device_ptrIjEEEESG_SG_EENS0_5tupleIJPjSJ_EEENSR_IJSJ_SJ_EEES6_PlJS6_EEE10hipError_tPvRmT3_T4_T5_T6_T7_T9_mT8_P12ihipStream_tbDpT10_ENKUlT_T0_E_clISt17integral_constantIbLb0EES1F_EEDaS1A_S1B_EUlS1A_E_NS1_11comp_targetILNS1_3genE4ELNS1_11target_archE910ELNS1_3gpuE8ELNS1_3repE0EEENS1_30default_config_static_selectorELNS0_4arch9wavefront6targetE1EEEvT1_
    .private_segment_fixed_size: 0
    .sgpr_count:     6
    .sgpr_spill_count: 0
    .symbol:         _ZN7rocprim17ROCPRIM_400000_NS6detail17trampoline_kernelINS0_14default_configENS1_25partition_config_selectorILNS1_17partition_subalgoE2EjNS0_10empty_typeEbEEZZNS1_14partition_implILS5_2ELb0ES3_jN6thrust23THRUST_200600_302600_NS6detail15normal_iteratorINSA_7pointerIjNSA_11hip_rocprim3tagENSA_11use_defaultESG_EEEEPS6_NSA_18transform_iteratorI7is_evenIjENSC_INSA_10device_ptrIjEEEESG_SG_EENS0_5tupleIJPjSJ_EEENSR_IJSJ_SJ_EEES6_PlJS6_EEE10hipError_tPvRmT3_T4_T5_T6_T7_T9_mT8_P12ihipStream_tbDpT10_ENKUlT_T0_E_clISt17integral_constantIbLb0EES1F_EEDaS1A_S1B_EUlS1A_E_NS1_11comp_targetILNS1_3genE4ELNS1_11target_archE910ELNS1_3gpuE8ELNS1_3repE0EEENS1_30default_config_static_selectorELNS0_4arch9wavefront6targetE1EEEvT1_.kd
    .uniform_work_group_size: 1
    .uses_dynamic_stack: false
    .vgpr_count:     0
    .vgpr_spill_count: 0
    .wavefront_size: 64
  - .agpr_count:     0
    .args:
      - .offset:         0
        .size:           128
        .value_kind:     by_value
    .group_segment_fixed_size: 0
    .kernarg_segment_align: 8
    .kernarg_segment_size: 128
    .language:       OpenCL C
    .language_version:
      - 2
      - 0
    .max_flat_workgroup_size: 128
    .name:           _ZN7rocprim17ROCPRIM_400000_NS6detail17trampoline_kernelINS0_14default_configENS1_25partition_config_selectorILNS1_17partition_subalgoE2EjNS0_10empty_typeEbEEZZNS1_14partition_implILS5_2ELb0ES3_jN6thrust23THRUST_200600_302600_NS6detail15normal_iteratorINSA_7pointerIjNSA_11hip_rocprim3tagENSA_11use_defaultESG_EEEEPS6_NSA_18transform_iteratorI7is_evenIjENSC_INSA_10device_ptrIjEEEESG_SG_EENS0_5tupleIJPjSJ_EEENSR_IJSJ_SJ_EEES6_PlJS6_EEE10hipError_tPvRmT3_T4_T5_T6_T7_T9_mT8_P12ihipStream_tbDpT10_ENKUlT_T0_E_clISt17integral_constantIbLb0EES1F_EEDaS1A_S1B_EUlS1A_E_NS1_11comp_targetILNS1_3genE3ELNS1_11target_archE908ELNS1_3gpuE7ELNS1_3repE0EEENS1_30default_config_static_selectorELNS0_4arch9wavefront6targetE1EEEvT1_
    .private_segment_fixed_size: 0
    .sgpr_count:     6
    .sgpr_spill_count: 0
    .symbol:         _ZN7rocprim17ROCPRIM_400000_NS6detail17trampoline_kernelINS0_14default_configENS1_25partition_config_selectorILNS1_17partition_subalgoE2EjNS0_10empty_typeEbEEZZNS1_14partition_implILS5_2ELb0ES3_jN6thrust23THRUST_200600_302600_NS6detail15normal_iteratorINSA_7pointerIjNSA_11hip_rocprim3tagENSA_11use_defaultESG_EEEEPS6_NSA_18transform_iteratorI7is_evenIjENSC_INSA_10device_ptrIjEEEESG_SG_EENS0_5tupleIJPjSJ_EEENSR_IJSJ_SJ_EEES6_PlJS6_EEE10hipError_tPvRmT3_T4_T5_T6_T7_T9_mT8_P12ihipStream_tbDpT10_ENKUlT_T0_E_clISt17integral_constantIbLb0EES1F_EEDaS1A_S1B_EUlS1A_E_NS1_11comp_targetILNS1_3genE3ELNS1_11target_archE908ELNS1_3gpuE7ELNS1_3repE0EEENS1_30default_config_static_selectorELNS0_4arch9wavefront6targetE1EEEvT1_.kd
    .uniform_work_group_size: 1
    .uses_dynamic_stack: false
    .vgpr_count:     0
    .vgpr_spill_count: 0
    .wavefront_size: 64
  - .agpr_count:     0
    .args:
      - .offset:         0
        .size:           128
        .value_kind:     by_value
    .group_segment_fixed_size: 0
    .kernarg_segment_align: 8
    .kernarg_segment_size: 128
    .language:       OpenCL C
    .language_version:
      - 2
      - 0
    .max_flat_workgroup_size: 256
    .name:           _ZN7rocprim17ROCPRIM_400000_NS6detail17trampoline_kernelINS0_14default_configENS1_25partition_config_selectorILNS1_17partition_subalgoE2EjNS0_10empty_typeEbEEZZNS1_14partition_implILS5_2ELb0ES3_jN6thrust23THRUST_200600_302600_NS6detail15normal_iteratorINSA_7pointerIjNSA_11hip_rocprim3tagENSA_11use_defaultESG_EEEEPS6_NSA_18transform_iteratorI7is_evenIjENSC_INSA_10device_ptrIjEEEESG_SG_EENS0_5tupleIJPjSJ_EEENSR_IJSJ_SJ_EEES6_PlJS6_EEE10hipError_tPvRmT3_T4_T5_T6_T7_T9_mT8_P12ihipStream_tbDpT10_ENKUlT_T0_E_clISt17integral_constantIbLb0EES1F_EEDaS1A_S1B_EUlS1A_E_NS1_11comp_targetILNS1_3genE2ELNS1_11target_archE906ELNS1_3gpuE6ELNS1_3repE0EEENS1_30default_config_static_selectorELNS0_4arch9wavefront6targetE1EEEvT1_
    .private_segment_fixed_size: 0
    .sgpr_count:     6
    .sgpr_spill_count: 0
    .symbol:         _ZN7rocprim17ROCPRIM_400000_NS6detail17trampoline_kernelINS0_14default_configENS1_25partition_config_selectorILNS1_17partition_subalgoE2EjNS0_10empty_typeEbEEZZNS1_14partition_implILS5_2ELb0ES3_jN6thrust23THRUST_200600_302600_NS6detail15normal_iteratorINSA_7pointerIjNSA_11hip_rocprim3tagENSA_11use_defaultESG_EEEEPS6_NSA_18transform_iteratorI7is_evenIjENSC_INSA_10device_ptrIjEEEESG_SG_EENS0_5tupleIJPjSJ_EEENSR_IJSJ_SJ_EEES6_PlJS6_EEE10hipError_tPvRmT3_T4_T5_T6_T7_T9_mT8_P12ihipStream_tbDpT10_ENKUlT_T0_E_clISt17integral_constantIbLb0EES1F_EEDaS1A_S1B_EUlS1A_E_NS1_11comp_targetILNS1_3genE2ELNS1_11target_archE906ELNS1_3gpuE6ELNS1_3repE0EEENS1_30default_config_static_selectorELNS0_4arch9wavefront6targetE1EEEvT1_.kd
    .uniform_work_group_size: 1
    .uses_dynamic_stack: false
    .vgpr_count:     0
    .vgpr_spill_count: 0
    .wavefront_size: 64
  - .agpr_count:     0
    .args:
      - .offset:         0
        .size:           128
        .value_kind:     by_value
    .group_segment_fixed_size: 0
    .kernarg_segment_align: 8
    .kernarg_segment_size: 128
    .language:       OpenCL C
    .language_version:
      - 2
      - 0
    .max_flat_workgroup_size: 384
    .name:           _ZN7rocprim17ROCPRIM_400000_NS6detail17trampoline_kernelINS0_14default_configENS1_25partition_config_selectorILNS1_17partition_subalgoE2EjNS0_10empty_typeEbEEZZNS1_14partition_implILS5_2ELb0ES3_jN6thrust23THRUST_200600_302600_NS6detail15normal_iteratorINSA_7pointerIjNSA_11hip_rocprim3tagENSA_11use_defaultESG_EEEEPS6_NSA_18transform_iteratorI7is_evenIjENSC_INSA_10device_ptrIjEEEESG_SG_EENS0_5tupleIJPjSJ_EEENSR_IJSJ_SJ_EEES6_PlJS6_EEE10hipError_tPvRmT3_T4_T5_T6_T7_T9_mT8_P12ihipStream_tbDpT10_ENKUlT_T0_E_clISt17integral_constantIbLb0EES1F_EEDaS1A_S1B_EUlS1A_E_NS1_11comp_targetILNS1_3genE10ELNS1_11target_archE1200ELNS1_3gpuE4ELNS1_3repE0EEENS1_30default_config_static_selectorELNS0_4arch9wavefront6targetE1EEEvT1_
    .private_segment_fixed_size: 0
    .sgpr_count:     6
    .sgpr_spill_count: 0
    .symbol:         _ZN7rocprim17ROCPRIM_400000_NS6detail17trampoline_kernelINS0_14default_configENS1_25partition_config_selectorILNS1_17partition_subalgoE2EjNS0_10empty_typeEbEEZZNS1_14partition_implILS5_2ELb0ES3_jN6thrust23THRUST_200600_302600_NS6detail15normal_iteratorINSA_7pointerIjNSA_11hip_rocprim3tagENSA_11use_defaultESG_EEEEPS6_NSA_18transform_iteratorI7is_evenIjENSC_INSA_10device_ptrIjEEEESG_SG_EENS0_5tupleIJPjSJ_EEENSR_IJSJ_SJ_EEES6_PlJS6_EEE10hipError_tPvRmT3_T4_T5_T6_T7_T9_mT8_P12ihipStream_tbDpT10_ENKUlT_T0_E_clISt17integral_constantIbLb0EES1F_EEDaS1A_S1B_EUlS1A_E_NS1_11comp_targetILNS1_3genE10ELNS1_11target_archE1200ELNS1_3gpuE4ELNS1_3repE0EEENS1_30default_config_static_selectorELNS0_4arch9wavefront6targetE1EEEvT1_.kd
    .uniform_work_group_size: 1
    .uses_dynamic_stack: false
    .vgpr_count:     0
    .vgpr_spill_count: 0
    .wavefront_size: 64
  - .agpr_count:     0
    .args:
      - .offset:         0
        .size:           128
        .value_kind:     by_value
    .group_segment_fixed_size: 0
    .kernarg_segment_align: 8
    .kernarg_segment_size: 128
    .language:       OpenCL C
    .language_version:
      - 2
      - 0
    .max_flat_workgroup_size: 128
    .name:           _ZN7rocprim17ROCPRIM_400000_NS6detail17trampoline_kernelINS0_14default_configENS1_25partition_config_selectorILNS1_17partition_subalgoE2EjNS0_10empty_typeEbEEZZNS1_14partition_implILS5_2ELb0ES3_jN6thrust23THRUST_200600_302600_NS6detail15normal_iteratorINSA_7pointerIjNSA_11hip_rocprim3tagENSA_11use_defaultESG_EEEEPS6_NSA_18transform_iteratorI7is_evenIjENSC_INSA_10device_ptrIjEEEESG_SG_EENS0_5tupleIJPjSJ_EEENSR_IJSJ_SJ_EEES6_PlJS6_EEE10hipError_tPvRmT3_T4_T5_T6_T7_T9_mT8_P12ihipStream_tbDpT10_ENKUlT_T0_E_clISt17integral_constantIbLb0EES1F_EEDaS1A_S1B_EUlS1A_E_NS1_11comp_targetILNS1_3genE9ELNS1_11target_archE1100ELNS1_3gpuE3ELNS1_3repE0EEENS1_30default_config_static_selectorELNS0_4arch9wavefront6targetE1EEEvT1_
    .private_segment_fixed_size: 0
    .sgpr_count:     6
    .sgpr_spill_count: 0
    .symbol:         _ZN7rocprim17ROCPRIM_400000_NS6detail17trampoline_kernelINS0_14default_configENS1_25partition_config_selectorILNS1_17partition_subalgoE2EjNS0_10empty_typeEbEEZZNS1_14partition_implILS5_2ELb0ES3_jN6thrust23THRUST_200600_302600_NS6detail15normal_iteratorINSA_7pointerIjNSA_11hip_rocprim3tagENSA_11use_defaultESG_EEEEPS6_NSA_18transform_iteratorI7is_evenIjENSC_INSA_10device_ptrIjEEEESG_SG_EENS0_5tupleIJPjSJ_EEENSR_IJSJ_SJ_EEES6_PlJS6_EEE10hipError_tPvRmT3_T4_T5_T6_T7_T9_mT8_P12ihipStream_tbDpT10_ENKUlT_T0_E_clISt17integral_constantIbLb0EES1F_EEDaS1A_S1B_EUlS1A_E_NS1_11comp_targetILNS1_3genE9ELNS1_11target_archE1100ELNS1_3gpuE3ELNS1_3repE0EEENS1_30default_config_static_selectorELNS0_4arch9wavefront6targetE1EEEvT1_.kd
    .uniform_work_group_size: 1
    .uses_dynamic_stack: false
    .vgpr_count:     0
    .vgpr_spill_count: 0
    .wavefront_size: 64
  - .agpr_count:     0
    .args:
      - .offset:         0
        .size:           128
        .value_kind:     by_value
    .group_segment_fixed_size: 0
    .kernarg_segment_align: 8
    .kernarg_segment_size: 128
    .language:       OpenCL C
    .language_version:
      - 2
      - 0
    .max_flat_workgroup_size: 512
    .name:           _ZN7rocprim17ROCPRIM_400000_NS6detail17trampoline_kernelINS0_14default_configENS1_25partition_config_selectorILNS1_17partition_subalgoE2EjNS0_10empty_typeEbEEZZNS1_14partition_implILS5_2ELb0ES3_jN6thrust23THRUST_200600_302600_NS6detail15normal_iteratorINSA_7pointerIjNSA_11hip_rocprim3tagENSA_11use_defaultESG_EEEEPS6_NSA_18transform_iteratorI7is_evenIjENSC_INSA_10device_ptrIjEEEESG_SG_EENS0_5tupleIJPjSJ_EEENSR_IJSJ_SJ_EEES6_PlJS6_EEE10hipError_tPvRmT3_T4_T5_T6_T7_T9_mT8_P12ihipStream_tbDpT10_ENKUlT_T0_E_clISt17integral_constantIbLb0EES1F_EEDaS1A_S1B_EUlS1A_E_NS1_11comp_targetILNS1_3genE8ELNS1_11target_archE1030ELNS1_3gpuE2ELNS1_3repE0EEENS1_30default_config_static_selectorELNS0_4arch9wavefront6targetE1EEEvT1_
    .private_segment_fixed_size: 0
    .sgpr_count:     6
    .sgpr_spill_count: 0
    .symbol:         _ZN7rocprim17ROCPRIM_400000_NS6detail17trampoline_kernelINS0_14default_configENS1_25partition_config_selectorILNS1_17partition_subalgoE2EjNS0_10empty_typeEbEEZZNS1_14partition_implILS5_2ELb0ES3_jN6thrust23THRUST_200600_302600_NS6detail15normal_iteratorINSA_7pointerIjNSA_11hip_rocprim3tagENSA_11use_defaultESG_EEEEPS6_NSA_18transform_iteratorI7is_evenIjENSC_INSA_10device_ptrIjEEEESG_SG_EENS0_5tupleIJPjSJ_EEENSR_IJSJ_SJ_EEES6_PlJS6_EEE10hipError_tPvRmT3_T4_T5_T6_T7_T9_mT8_P12ihipStream_tbDpT10_ENKUlT_T0_E_clISt17integral_constantIbLb0EES1F_EEDaS1A_S1B_EUlS1A_E_NS1_11comp_targetILNS1_3genE8ELNS1_11target_archE1030ELNS1_3gpuE2ELNS1_3repE0EEENS1_30default_config_static_selectorELNS0_4arch9wavefront6targetE1EEEvT1_.kd
    .uniform_work_group_size: 1
    .uses_dynamic_stack: false
    .vgpr_count:     0
    .vgpr_spill_count: 0
    .wavefront_size: 64
  - .agpr_count:     0
    .args:
      - .offset:         0
        .size:           144
        .value_kind:     by_value
    .group_segment_fixed_size: 0
    .kernarg_segment_align: 8
    .kernarg_segment_size: 144
    .language:       OpenCL C
    .language_version:
      - 2
      - 0
    .max_flat_workgroup_size: 128
    .name:           _ZN7rocprim17ROCPRIM_400000_NS6detail17trampoline_kernelINS0_14default_configENS1_25partition_config_selectorILNS1_17partition_subalgoE2EjNS0_10empty_typeEbEEZZNS1_14partition_implILS5_2ELb0ES3_jN6thrust23THRUST_200600_302600_NS6detail15normal_iteratorINSA_7pointerIjNSA_11hip_rocprim3tagENSA_11use_defaultESG_EEEEPS6_NSA_18transform_iteratorI7is_evenIjENSC_INSA_10device_ptrIjEEEESG_SG_EENS0_5tupleIJPjSJ_EEENSR_IJSJ_SJ_EEES6_PlJS6_EEE10hipError_tPvRmT3_T4_T5_T6_T7_T9_mT8_P12ihipStream_tbDpT10_ENKUlT_T0_E_clISt17integral_constantIbLb1EES1F_EEDaS1A_S1B_EUlS1A_E_NS1_11comp_targetILNS1_3genE0ELNS1_11target_archE4294967295ELNS1_3gpuE0ELNS1_3repE0EEENS1_30default_config_static_selectorELNS0_4arch9wavefront6targetE1EEEvT1_
    .private_segment_fixed_size: 0
    .sgpr_count:     6
    .sgpr_spill_count: 0
    .symbol:         _ZN7rocprim17ROCPRIM_400000_NS6detail17trampoline_kernelINS0_14default_configENS1_25partition_config_selectorILNS1_17partition_subalgoE2EjNS0_10empty_typeEbEEZZNS1_14partition_implILS5_2ELb0ES3_jN6thrust23THRUST_200600_302600_NS6detail15normal_iteratorINSA_7pointerIjNSA_11hip_rocprim3tagENSA_11use_defaultESG_EEEEPS6_NSA_18transform_iteratorI7is_evenIjENSC_INSA_10device_ptrIjEEEESG_SG_EENS0_5tupleIJPjSJ_EEENSR_IJSJ_SJ_EEES6_PlJS6_EEE10hipError_tPvRmT3_T4_T5_T6_T7_T9_mT8_P12ihipStream_tbDpT10_ENKUlT_T0_E_clISt17integral_constantIbLb1EES1F_EEDaS1A_S1B_EUlS1A_E_NS1_11comp_targetILNS1_3genE0ELNS1_11target_archE4294967295ELNS1_3gpuE0ELNS1_3repE0EEENS1_30default_config_static_selectorELNS0_4arch9wavefront6targetE1EEEvT1_.kd
    .uniform_work_group_size: 1
    .uses_dynamic_stack: false
    .vgpr_count:     0
    .vgpr_spill_count: 0
    .wavefront_size: 64
  - .agpr_count:     0
    .args:
      - .offset:         0
        .size:           144
        .value_kind:     by_value
    .group_segment_fixed_size: 30728
    .kernarg_segment_align: 8
    .kernarg_segment_size: 144
    .language:       OpenCL C
    .language_version:
      - 2
      - 0
    .max_flat_workgroup_size: 512
    .name:           _ZN7rocprim17ROCPRIM_400000_NS6detail17trampoline_kernelINS0_14default_configENS1_25partition_config_selectorILNS1_17partition_subalgoE2EjNS0_10empty_typeEbEEZZNS1_14partition_implILS5_2ELb0ES3_jN6thrust23THRUST_200600_302600_NS6detail15normal_iteratorINSA_7pointerIjNSA_11hip_rocprim3tagENSA_11use_defaultESG_EEEEPS6_NSA_18transform_iteratorI7is_evenIjENSC_INSA_10device_ptrIjEEEESG_SG_EENS0_5tupleIJPjSJ_EEENSR_IJSJ_SJ_EEES6_PlJS6_EEE10hipError_tPvRmT3_T4_T5_T6_T7_T9_mT8_P12ihipStream_tbDpT10_ENKUlT_T0_E_clISt17integral_constantIbLb1EES1F_EEDaS1A_S1B_EUlS1A_E_NS1_11comp_targetILNS1_3genE5ELNS1_11target_archE942ELNS1_3gpuE9ELNS1_3repE0EEENS1_30default_config_static_selectorELNS0_4arch9wavefront6targetE1EEEvT1_
    .private_segment_fixed_size: 0
    .sgpr_count:     52
    .sgpr_spill_count: 0
    .symbol:         _ZN7rocprim17ROCPRIM_400000_NS6detail17trampoline_kernelINS0_14default_configENS1_25partition_config_selectorILNS1_17partition_subalgoE2EjNS0_10empty_typeEbEEZZNS1_14partition_implILS5_2ELb0ES3_jN6thrust23THRUST_200600_302600_NS6detail15normal_iteratorINSA_7pointerIjNSA_11hip_rocprim3tagENSA_11use_defaultESG_EEEEPS6_NSA_18transform_iteratorI7is_evenIjENSC_INSA_10device_ptrIjEEEESG_SG_EENS0_5tupleIJPjSJ_EEENSR_IJSJ_SJ_EEES6_PlJS6_EEE10hipError_tPvRmT3_T4_T5_T6_T7_T9_mT8_P12ihipStream_tbDpT10_ENKUlT_T0_E_clISt17integral_constantIbLb1EES1F_EEDaS1A_S1B_EUlS1A_E_NS1_11comp_targetILNS1_3genE5ELNS1_11target_archE942ELNS1_3gpuE9ELNS1_3repE0EEENS1_30default_config_static_selectorELNS0_4arch9wavefront6targetE1EEEvT1_.kd
    .uniform_work_group_size: 1
    .uses_dynamic_stack: false
    .vgpr_count:     67
    .vgpr_spill_count: 0
    .wavefront_size: 64
  - .agpr_count:     0
    .args:
      - .offset:         0
        .size:           144
        .value_kind:     by_value
    .group_segment_fixed_size: 0
    .kernarg_segment_align: 8
    .kernarg_segment_size: 144
    .language:       OpenCL C
    .language_version:
      - 2
      - 0
    .max_flat_workgroup_size: 256
    .name:           _ZN7rocprim17ROCPRIM_400000_NS6detail17trampoline_kernelINS0_14default_configENS1_25partition_config_selectorILNS1_17partition_subalgoE2EjNS0_10empty_typeEbEEZZNS1_14partition_implILS5_2ELb0ES3_jN6thrust23THRUST_200600_302600_NS6detail15normal_iteratorINSA_7pointerIjNSA_11hip_rocprim3tagENSA_11use_defaultESG_EEEEPS6_NSA_18transform_iteratorI7is_evenIjENSC_INSA_10device_ptrIjEEEESG_SG_EENS0_5tupleIJPjSJ_EEENSR_IJSJ_SJ_EEES6_PlJS6_EEE10hipError_tPvRmT3_T4_T5_T6_T7_T9_mT8_P12ihipStream_tbDpT10_ENKUlT_T0_E_clISt17integral_constantIbLb1EES1F_EEDaS1A_S1B_EUlS1A_E_NS1_11comp_targetILNS1_3genE4ELNS1_11target_archE910ELNS1_3gpuE8ELNS1_3repE0EEENS1_30default_config_static_selectorELNS0_4arch9wavefront6targetE1EEEvT1_
    .private_segment_fixed_size: 0
    .sgpr_count:     6
    .sgpr_spill_count: 0
    .symbol:         _ZN7rocprim17ROCPRIM_400000_NS6detail17trampoline_kernelINS0_14default_configENS1_25partition_config_selectorILNS1_17partition_subalgoE2EjNS0_10empty_typeEbEEZZNS1_14partition_implILS5_2ELb0ES3_jN6thrust23THRUST_200600_302600_NS6detail15normal_iteratorINSA_7pointerIjNSA_11hip_rocprim3tagENSA_11use_defaultESG_EEEEPS6_NSA_18transform_iteratorI7is_evenIjENSC_INSA_10device_ptrIjEEEESG_SG_EENS0_5tupleIJPjSJ_EEENSR_IJSJ_SJ_EEES6_PlJS6_EEE10hipError_tPvRmT3_T4_T5_T6_T7_T9_mT8_P12ihipStream_tbDpT10_ENKUlT_T0_E_clISt17integral_constantIbLb1EES1F_EEDaS1A_S1B_EUlS1A_E_NS1_11comp_targetILNS1_3genE4ELNS1_11target_archE910ELNS1_3gpuE8ELNS1_3repE0EEENS1_30default_config_static_selectorELNS0_4arch9wavefront6targetE1EEEvT1_.kd
    .uniform_work_group_size: 1
    .uses_dynamic_stack: false
    .vgpr_count:     0
    .vgpr_spill_count: 0
    .wavefront_size: 64
  - .agpr_count:     0
    .args:
      - .offset:         0
        .size:           144
        .value_kind:     by_value
    .group_segment_fixed_size: 0
    .kernarg_segment_align: 8
    .kernarg_segment_size: 144
    .language:       OpenCL C
    .language_version:
      - 2
      - 0
    .max_flat_workgroup_size: 128
    .name:           _ZN7rocprim17ROCPRIM_400000_NS6detail17trampoline_kernelINS0_14default_configENS1_25partition_config_selectorILNS1_17partition_subalgoE2EjNS0_10empty_typeEbEEZZNS1_14partition_implILS5_2ELb0ES3_jN6thrust23THRUST_200600_302600_NS6detail15normal_iteratorINSA_7pointerIjNSA_11hip_rocprim3tagENSA_11use_defaultESG_EEEEPS6_NSA_18transform_iteratorI7is_evenIjENSC_INSA_10device_ptrIjEEEESG_SG_EENS0_5tupleIJPjSJ_EEENSR_IJSJ_SJ_EEES6_PlJS6_EEE10hipError_tPvRmT3_T4_T5_T6_T7_T9_mT8_P12ihipStream_tbDpT10_ENKUlT_T0_E_clISt17integral_constantIbLb1EES1F_EEDaS1A_S1B_EUlS1A_E_NS1_11comp_targetILNS1_3genE3ELNS1_11target_archE908ELNS1_3gpuE7ELNS1_3repE0EEENS1_30default_config_static_selectorELNS0_4arch9wavefront6targetE1EEEvT1_
    .private_segment_fixed_size: 0
    .sgpr_count:     6
    .sgpr_spill_count: 0
    .symbol:         _ZN7rocprim17ROCPRIM_400000_NS6detail17trampoline_kernelINS0_14default_configENS1_25partition_config_selectorILNS1_17partition_subalgoE2EjNS0_10empty_typeEbEEZZNS1_14partition_implILS5_2ELb0ES3_jN6thrust23THRUST_200600_302600_NS6detail15normal_iteratorINSA_7pointerIjNSA_11hip_rocprim3tagENSA_11use_defaultESG_EEEEPS6_NSA_18transform_iteratorI7is_evenIjENSC_INSA_10device_ptrIjEEEESG_SG_EENS0_5tupleIJPjSJ_EEENSR_IJSJ_SJ_EEES6_PlJS6_EEE10hipError_tPvRmT3_T4_T5_T6_T7_T9_mT8_P12ihipStream_tbDpT10_ENKUlT_T0_E_clISt17integral_constantIbLb1EES1F_EEDaS1A_S1B_EUlS1A_E_NS1_11comp_targetILNS1_3genE3ELNS1_11target_archE908ELNS1_3gpuE7ELNS1_3repE0EEENS1_30default_config_static_selectorELNS0_4arch9wavefront6targetE1EEEvT1_.kd
    .uniform_work_group_size: 1
    .uses_dynamic_stack: false
    .vgpr_count:     0
    .vgpr_spill_count: 0
    .wavefront_size: 64
  - .agpr_count:     0
    .args:
      - .offset:         0
        .size:           144
        .value_kind:     by_value
    .group_segment_fixed_size: 0
    .kernarg_segment_align: 8
    .kernarg_segment_size: 144
    .language:       OpenCL C
    .language_version:
      - 2
      - 0
    .max_flat_workgroup_size: 256
    .name:           _ZN7rocprim17ROCPRIM_400000_NS6detail17trampoline_kernelINS0_14default_configENS1_25partition_config_selectorILNS1_17partition_subalgoE2EjNS0_10empty_typeEbEEZZNS1_14partition_implILS5_2ELb0ES3_jN6thrust23THRUST_200600_302600_NS6detail15normal_iteratorINSA_7pointerIjNSA_11hip_rocprim3tagENSA_11use_defaultESG_EEEEPS6_NSA_18transform_iteratorI7is_evenIjENSC_INSA_10device_ptrIjEEEESG_SG_EENS0_5tupleIJPjSJ_EEENSR_IJSJ_SJ_EEES6_PlJS6_EEE10hipError_tPvRmT3_T4_T5_T6_T7_T9_mT8_P12ihipStream_tbDpT10_ENKUlT_T0_E_clISt17integral_constantIbLb1EES1F_EEDaS1A_S1B_EUlS1A_E_NS1_11comp_targetILNS1_3genE2ELNS1_11target_archE906ELNS1_3gpuE6ELNS1_3repE0EEENS1_30default_config_static_selectorELNS0_4arch9wavefront6targetE1EEEvT1_
    .private_segment_fixed_size: 0
    .sgpr_count:     6
    .sgpr_spill_count: 0
    .symbol:         _ZN7rocprim17ROCPRIM_400000_NS6detail17trampoline_kernelINS0_14default_configENS1_25partition_config_selectorILNS1_17partition_subalgoE2EjNS0_10empty_typeEbEEZZNS1_14partition_implILS5_2ELb0ES3_jN6thrust23THRUST_200600_302600_NS6detail15normal_iteratorINSA_7pointerIjNSA_11hip_rocprim3tagENSA_11use_defaultESG_EEEEPS6_NSA_18transform_iteratorI7is_evenIjENSC_INSA_10device_ptrIjEEEESG_SG_EENS0_5tupleIJPjSJ_EEENSR_IJSJ_SJ_EEES6_PlJS6_EEE10hipError_tPvRmT3_T4_T5_T6_T7_T9_mT8_P12ihipStream_tbDpT10_ENKUlT_T0_E_clISt17integral_constantIbLb1EES1F_EEDaS1A_S1B_EUlS1A_E_NS1_11comp_targetILNS1_3genE2ELNS1_11target_archE906ELNS1_3gpuE6ELNS1_3repE0EEENS1_30default_config_static_selectorELNS0_4arch9wavefront6targetE1EEEvT1_.kd
    .uniform_work_group_size: 1
    .uses_dynamic_stack: false
    .vgpr_count:     0
    .vgpr_spill_count: 0
    .wavefront_size: 64
  - .agpr_count:     0
    .args:
      - .offset:         0
        .size:           144
        .value_kind:     by_value
    .group_segment_fixed_size: 0
    .kernarg_segment_align: 8
    .kernarg_segment_size: 144
    .language:       OpenCL C
    .language_version:
      - 2
      - 0
    .max_flat_workgroup_size: 384
    .name:           _ZN7rocprim17ROCPRIM_400000_NS6detail17trampoline_kernelINS0_14default_configENS1_25partition_config_selectorILNS1_17partition_subalgoE2EjNS0_10empty_typeEbEEZZNS1_14partition_implILS5_2ELb0ES3_jN6thrust23THRUST_200600_302600_NS6detail15normal_iteratorINSA_7pointerIjNSA_11hip_rocprim3tagENSA_11use_defaultESG_EEEEPS6_NSA_18transform_iteratorI7is_evenIjENSC_INSA_10device_ptrIjEEEESG_SG_EENS0_5tupleIJPjSJ_EEENSR_IJSJ_SJ_EEES6_PlJS6_EEE10hipError_tPvRmT3_T4_T5_T6_T7_T9_mT8_P12ihipStream_tbDpT10_ENKUlT_T0_E_clISt17integral_constantIbLb1EES1F_EEDaS1A_S1B_EUlS1A_E_NS1_11comp_targetILNS1_3genE10ELNS1_11target_archE1200ELNS1_3gpuE4ELNS1_3repE0EEENS1_30default_config_static_selectorELNS0_4arch9wavefront6targetE1EEEvT1_
    .private_segment_fixed_size: 0
    .sgpr_count:     6
    .sgpr_spill_count: 0
    .symbol:         _ZN7rocprim17ROCPRIM_400000_NS6detail17trampoline_kernelINS0_14default_configENS1_25partition_config_selectorILNS1_17partition_subalgoE2EjNS0_10empty_typeEbEEZZNS1_14partition_implILS5_2ELb0ES3_jN6thrust23THRUST_200600_302600_NS6detail15normal_iteratorINSA_7pointerIjNSA_11hip_rocprim3tagENSA_11use_defaultESG_EEEEPS6_NSA_18transform_iteratorI7is_evenIjENSC_INSA_10device_ptrIjEEEESG_SG_EENS0_5tupleIJPjSJ_EEENSR_IJSJ_SJ_EEES6_PlJS6_EEE10hipError_tPvRmT3_T4_T5_T6_T7_T9_mT8_P12ihipStream_tbDpT10_ENKUlT_T0_E_clISt17integral_constantIbLb1EES1F_EEDaS1A_S1B_EUlS1A_E_NS1_11comp_targetILNS1_3genE10ELNS1_11target_archE1200ELNS1_3gpuE4ELNS1_3repE0EEENS1_30default_config_static_selectorELNS0_4arch9wavefront6targetE1EEEvT1_.kd
    .uniform_work_group_size: 1
    .uses_dynamic_stack: false
    .vgpr_count:     0
    .vgpr_spill_count: 0
    .wavefront_size: 64
  - .agpr_count:     0
    .args:
      - .offset:         0
        .size:           144
        .value_kind:     by_value
    .group_segment_fixed_size: 0
    .kernarg_segment_align: 8
    .kernarg_segment_size: 144
    .language:       OpenCL C
    .language_version:
      - 2
      - 0
    .max_flat_workgroup_size: 128
    .name:           _ZN7rocprim17ROCPRIM_400000_NS6detail17trampoline_kernelINS0_14default_configENS1_25partition_config_selectorILNS1_17partition_subalgoE2EjNS0_10empty_typeEbEEZZNS1_14partition_implILS5_2ELb0ES3_jN6thrust23THRUST_200600_302600_NS6detail15normal_iteratorINSA_7pointerIjNSA_11hip_rocprim3tagENSA_11use_defaultESG_EEEEPS6_NSA_18transform_iteratorI7is_evenIjENSC_INSA_10device_ptrIjEEEESG_SG_EENS0_5tupleIJPjSJ_EEENSR_IJSJ_SJ_EEES6_PlJS6_EEE10hipError_tPvRmT3_T4_T5_T6_T7_T9_mT8_P12ihipStream_tbDpT10_ENKUlT_T0_E_clISt17integral_constantIbLb1EES1F_EEDaS1A_S1B_EUlS1A_E_NS1_11comp_targetILNS1_3genE9ELNS1_11target_archE1100ELNS1_3gpuE3ELNS1_3repE0EEENS1_30default_config_static_selectorELNS0_4arch9wavefront6targetE1EEEvT1_
    .private_segment_fixed_size: 0
    .sgpr_count:     6
    .sgpr_spill_count: 0
    .symbol:         _ZN7rocprim17ROCPRIM_400000_NS6detail17trampoline_kernelINS0_14default_configENS1_25partition_config_selectorILNS1_17partition_subalgoE2EjNS0_10empty_typeEbEEZZNS1_14partition_implILS5_2ELb0ES3_jN6thrust23THRUST_200600_302600_NS6detail15normal_iteratorINSA_7pointerIjNSA_11hip_rocprim3tagENSA_11use_defaultESG_EEEEPS6_NSA_18transform_iteratorI7is_evenIjENSC_INSA_10device_ptrIjEEEESG_SG_EENS0_5tupleIJPjSJ_EEENSR_IJSJ_SJ_EEES6_PlJS6_EEE10hipError_tPvRmT3_T4_T5_T6_T7_T9_mT8_P12ihipStream_tbDpT10_ENKUlT_T0_E_clISt17integral_constantIbLb1EES1F_EEDaS1A_S1B_EUlS1A_E_NS1_11comp_targetILNS1_3genE9ELNS1_11target_archE1100ELNS1_3gpuE3ELNS1_3repE0EEENS1_30default_config_static_selectorELNS0_4arch9wavefront6targetE1EEEvT1_.kd
    .uniform_work_group_size: 1
    .uses_dynamic_stack: false
    .vgpr_count:     0
    .vgpr_spill_count: 0
    .wavefront_size: 64
  - .agpr_count:     0
    .args:
      - .offset:         0
        .size:           144
        .value_kind:     by_value
    .group_segment_fixed_size: 0
    .kernarg_segment_align: 8
    .kernarg_segment_size: 144
    .language:       OpenCL C
    .language_version:
      - 2
      - 0
    .max_flat_workgroup_size: 512
    .name:           _ZN7rocprim17ROCPRIM_400000_NS6detail17trampoline_kernelINS0_14default_configENS1_25partition_config_selectorILNS1_17partition_subalgoE2EjNS0_10empty_typeEbEEZZNS1_14partition_implILS5_2ELb0ES3_jN6thrust23THRUST_200600_302600_NS6detail15normal_iteratorINSA_7pointerIjNSA_11hip_rocprim3tagENSA_11use_defaultESG_EEEEPS6_NSA_18transform_iteratorI7is_evenIjENSC_INSA_10device_ptrIjEEEESG_SG_EENS0_5tupleIJPjSJ_EEENSR_IJSJ_SJ_EEES6_PlJS6_EEE10hipError_tPvRmT3_T4_T5_T6_T7_T9_mT8_P12ihipStream_tbDpT10_ENKUlT_T0_E_clISt17integral_constantIbLb1EES1F_EEDaS1A_S1B_EUlS1A_E_NS1_11comp_targetILNS1_3genE8ELNS1_11target_archE1030ELNS1_3gpuE2ELNS1_3repE0EEENS1_30default_config_static_selectorELNS0_4arch9wavefront6targetE1EEEvT1_
    .private_segment_fixed_size: 0
    .sgpr_count:     6
    .sgpr_spill_count: 0
    .symbol:         _ZN7rocprim17ROCPRIM_400000_NS6detail17trampoline_kernelINS0_14default_configENS1_25partition_config_selectorILNS1_17partition_subalgoE2EjNS0_10empty_typeEbEEZZNS1_14partition_implILS5_2ELb0ES3_jN6thrust23THRUST_200600_302600_NS6detail15normal_iteratorINSA_7pointerIjNSA_11hip_rocprim3tagENSA_11use_defaultESG_EEEEPS6_NSA_18transform_iteratorI7is_evenIjENSC_INSA_10device_ptrIjEEEESG_SG_EENS0_5tupleIJPjSJ_EEENSR_IJSJ_SJ_EEES6_PlJS6_EEE10hipError_tPvRmT3_T4_T5_T6_T7_T9_mT8_P12ihipStream_tbDpT10_ENKUlT_T0_E_clISt17integral_constantIbLb1EES1F_EEDaS1A_S1B_EUlS1A_E_NS1_11comp_targetILNS1_3genE8ELNS1_11target_archE1030ELNS1_3gpuE2ELNS1_3repE0EEENS1_30default_config_static_selectorELNS0_4arch9wavefront6targetE1EEEvT1_.kd
    .uniform_work_group_size: 1
    .uses_dynamic_stack: false
    .vgpr_count:     0
    .vgpr_spill_count: 0
    .wavefront_size: 64
  - .agpr_count:     0
    .args:
      - .offset:         0
        .size:           128
        .value_kind:     by_value
    .group_segment_fixed_size: 0
    .kernarg_segment_align: 8
    .kernarg_segment_size: 128
    .language:       OpenCL C
    .language_version:
      - 2
      - 0
    .max_flat_workgroup_size: 128
    .name:           _ZN7rocprim17ROCPRIM_400000_NS6detail17trampoline_kernelINS0_14default_configENS1_25partition_config_selectorILNS1_17partition_subalgoE2EjNS0_10empty_typeEbEEZZNS1_14partition_implILS5_2ELb0ES3_jN6thrust23THRUST_200600_302600_NS6detail15normal_iteratorINSA_7pointerIjNSA_11hip_rocprim3tagENSA_11use_defaultESG_EEEEPS6_NSA_18transform_iteratorI7is_evenIjENSC_INSA_10device_ptrIjEEEESG_SG_EENS0_5tupleIJPjSJ_EEENSR_IJSJ_SJ_EEES6_PlJS6_EEE10hipError_tPvRmT3_T4_T5_T6_T7_T9_mT8_P12ihipStream_tbDpT10_ENKUlT_T0_E_clISt17integral_constantIbLb1EES1E_IbLb0EEEEDaS1A_S1B_EUlS1A_E_NS1_11comp_targetILNS1_3genE0ELNS1_11target_archE4294967295ELNS1_3gpuE0ELNS1_3repE0EEENS1_30default_config_static_selectorELNS0_4arch9wavefront6targetE1EEEvT1_
    .private_segment_fixed_size: 0
    .sgpr_count:     6
    .sgpr_spill_count: 0
    .symbol:         _ZN7rocprim17ROCPRIM_400000_NS6detail17trampoline_kernelINS0_14default_configENS1_25partition_config_selectorILNS1_17partition_subalgoE2EjNS0_10empty_typeEbEEZZNS1_14partition_implILS5_2ELb0ES3_jN6thrust23THRUST_200600_302600_NS6detail15normal_iteratorINSA_7pointerIjNSA_11hip_rocprim3tagENSA_11use_defaultESG_EEEEPS6_NSA_18transform_iteratorI7is_evenIjENSC_INSA_10device_ptrIjEEEESG_SG_EENS0_5tupleIJPjSJ_EEENSR_IJSJ_SJ_EEES6_PlJS6_EEE10hipError_tPvRmT3_T4_T5_T6_T7_T9_mT8_P12ihipStream_tbDpT10_ENKUlT_T0_E_clISt17integral_constantIbLb1EES1E_IbLb0EEEEDaS1A_S1B_EUlS1A_E_NS1_11comp_targetILNS1_3genE0ELNS1_11target_archE4294967295ELNS1_3gpuE0ELNS1_3repE0EEENS1_30default_config_static_selectorELNS0_4arch9wavefront6targetE1EEEvT1_.kd
    .uniform_work_group_size: 1
    .uses_dynamic_stack: false
    .vgpr_count:     0
    .vgpr_spill_count: 0
    .wavefront_size: 64
  - .agpr_count:     0
    .args:
      - .offset:         0
        .size:           128
        .value_kind:     by_value
    .group_segment_fixed_size: 30728
    .kernarg_segment_align: 8
    .kernarg_segment_size: 128
    .language:       OpenCL C
    .language_version:
      - 2
      - 0
    .max_flat_workgroup_size: 512
    .name:           _ZN7rocprim17ROCPRIM_400000_NS6detail17trampoline_kernelINS0_14default_configENS1_25partition_config_selectorILNS1_17partition_subalgoE2EjNS0_10empty_typeEbEEZZNS1_14partition_implILS5_2ELb0ES3_jN6thrust23THRUST_200600_302600_NS6detail15normal_iteratorINSA_7pointerIjNSA_11hip_rocprim3tagENSA_11use_defaultESG_EEEEPS6_NSA_18transform_iteratorI7is_evenIjENSC_INSA_10device_ptrIjEEEESG_SG_EENS0_5tupleIJPjSJ_EEENSR_IJSJ_SJ_EEES6_PlJS6_EEE10hipError_tPvRmT3_T4_T5_T6_T7_T9_mT8_P12ihipStream_tbDpT10_ENKUlT_T0_E_clISt17integral_constantIbLb1EES1E_IbLb0EEEEDaS1A_S1B_EUlS1A_E_NS1_11comp_targetILNS1_3genE5ELNS1_11target_archE942ELNS1_3gpuE9ELNS1_3repE0EEENS1_30default_config_static_selectorELNS0_4arch9wavefront6targetE1EEEvT1_
    .private_segment_fixed_size: 0
    .sgpr_count:     52
    .sgpr_spill_count: 0
    .symbol:         _ZN7rocprim17ROCPRIM_400000_NS6detail17trampoline_kernelINS0_14default_configENS1_25partition_config_selectorILNS1_17partition_subalgoE2EjNS0_10empty_typeEbEEZZNS1_14partition_implILS5_2ELb0ES3_jN6thrust23THRUST_200600_302600_NS6detail15normal_iteratorINSA_7pointerIjNSA_11hip_rocprim3tagENSA_11use_defaultESG_EEEEPS6_NSA_18transform_iteratorI7is_evenIjENSC_INSA_10device_ptrIjEEEESG_SG_EENS0_5tupleIJPjSJ_EEENSR_IJSJ_SJ_EEES6_PlJS6_EEE10hipError_tPvRmT3_T4_T5_T6_T7_T9_mT8_P12ihipStream_tbDpT10_ENKUlT_T0_E_clISt17integral_constantIbLb1EES1E_IbLb0EEEEDaS1A_S1B_EUlS1A_E_NS1_11comp_targetILNS1_3genE5ELNS1_11target_archE942ELNS1_3gpuE9ELNS1_3repE0EEENS1_30default_config_static_selectorELNS0_4arch9wavefront6targetE1EEEvT1_.kd
    .uniform_work_group_size: 1
    .uses_dynamic_stack: false
    .vgpr_count:     65
    .vgpr_spill_count: 0
    .wavefront_size: 64
  - .agpr_count:     0
    .args:
      - .offset:         0
        .size:           128
        .value_kind:     by_value
    .group_segment_fixed_size: 0
    .kernarg_segment_align: 8
    .kernarg_segment_size: 128
    .language:       OpenCL C
    .language_version:
      - 2
      - 0
    .max_flat_workgroup_size: 256
    .name:           _ZN7rocprim17ROCPRIM_400000_NS6detail17trampoline_kernelINS0_14default_configENS1_25partition_config_selectorILNS1_17partition_subalgoE2EjNS0_10empty_typeEbEEZZNS1_14partition_implILS5_2ELb0ES3_jN6thrust23THRUST_200600_302600_NS6detail15normal_iteratorINSA_7pointerIjNSA_11hip_rocprim3tagENSA_11use_defaultESG_EEEEPS6_NSA_18transform_iteratorI7is_evenIjENSC_INSA_10device_ptrIjEEEESG_SG_EENS0_5tupleIJPjSJ_EEENSR_IJSJ_SJ_EEES6_PlJS6_EEE10hipError_tPvRmT3_T4_T5_T6_T7_T9_mT8_P12ihipStream_tbDpT10_ENKUlT_T0_E_clISt17integral_constantIbLb1EES1E_IbLb0EEEEDaS1A_S1B_EUlS1A_E_NS1_11comp_targetILNS1_3genE4ELNS1_11target_archE910ELNS1_3gpuE8ELNS1_3repE0EEENS1_30default_config_static_selectorELNS0_4arch9wavefront6targetE1EEEvT1_
    .private_segment_fixed_size: 0
    .sgpr_count:     6
    .sgpr_spill_count: 0
    .symbol:         _ZN7rocprim17ROCPRIM_400000_NS6detail17trampoline_kernelINS0_14default_configENS1_25partition_config_selectorILNS1_17partition_subalgoE2EjNS0_10empty_typeEbEEZZNS1_14partition_implILS5_2ELb0ES3_jN6thrust23THRUST_200600_302600_NS6detail15normal_iteratorINSA_7pointerIjNSA_11hip_rocprim3tagENSA_11use_defaultESG_EEEEPS6_NSA_18transform_iteratorI7is_evenIjENSC_INSA_10device_ptrIjEEEESG_SG_EENS0_5tupleIJPjSJ_EEENSR_IJSJ_SJ_EEES6_PlJS6_EEE10hipError_tPvRmT3_T4_T5_T6_T7_T9_mT8_P12ihipStream_tbDpT10_ENKUlT_T0_E_clISt17integral_constantIbLb1EES1E_IbLb0EEEEDaS1A_S1B_EUlS1A_E_NS1_11comp_targetILNS1_3genE4ELNS1_11target_archE910ELNS1_3gpuE8ELNS1_3repE0EEENS1_30default_config_static_selectorELNS0_4arch9wavefront6targetE1EEEvT1_.kd
    .uniform_work_group_size: 1
    .uses_dynamic_stack: false
    .vgpr_count:     0
    .vgpr_spill_count: 0
    .wavefront_size: 64
  - .agpr_count:     0
    .args:
      - .offset:         0
        .size:           128
        .value_kind:     by_value
    .group_segment_fixed_size: 0
    .kernarg_segment_align: 8
    .kernarg_segment_size: 128
    .language:       OpenCL C
    .language_version:
      - 2
      - 0
    .max_flat_workgroup_size: 128
    .name:           _ZN7rocprim17ROCPRIM_400000_NS6detail17trampoline_kernelINS0_14default_configENS1_25partition_config_selectorILNS1_17partition_subalgoE2EjNS0_10empty_typeEbEEZZNS1_14partition_implILS5_2ELb0ES3_jN6thrust23THRUST_200600_302600_NS6detail15normal_iteratorINSA_7pointerIjNSA_11hip_rocprim3tagENSA_11use_defaultESG_EEEEPS6_NSA_18transform_iteratorI7is_evenIjENSC_INSA_10device_ptrIjEEEESG_SG_EENS0_5tupleIJPjSJ_EEENSR_IJSJ_SJ_EEES6_PlJS6_EEE10hipError_tPvRmT3_T4_T5_T6_T7_T9_mT8_P12ihipStream_tbDpT10_ENKUlT_T0_E_clISt17integral_constantIbLb1EES1E_IbLb0EEEEDaS1A_S1B_EUlS1A_E_NS1_11comp_targetILNS1_3genE3ELNS1_11target_archE908ELNS1_3gpuE7ELNS1_3repE0EEENS1_30default_config_static_selectorELNS0_4arch9wavefront6targetE1EEEvT1_
    .private_segment_fixed_size: 0
    .sgpr_count:     6
    .sgpr_spill_count: 0
    .symbol:         _ZN7rocprim17ROCPRIM_400000_NS6detail17trampoline_kernelINS0_14default_configENS1_25partition_config_selectorILNS1_17partition_subalgoE2EjNS0_10empty_typeEbEEZZNS1_14partition_implILS5_2ELb0ES3_jN6thrust23THRUST_200600_302600_NS6detail15normal_iteratorINSA_7pointerIjNSA_11hip_rocprim3tagENSA_11use_defaultESG_EEEEPS6_NSA_18transform_iteratorI7is_evenIjENSC_INSA_10device_ptrIjEEEESG_SG_EENS0_5tupleIJPjSJ_EEENSR_IJSJ_SJ_EEES6_PlJS6_EEE10hipError_tPvRmT3_T4_T5_T6_T7_T9_mT8_P12ihipStream_tbDpT10_ENKUlT_T0_E_clISt17integral_constantIbLb1EES1E_IbLb0EEEEDaS1A_S1B_EUlS1A_E_NS1_11comp_targetILNS1_3genE3ELNS1_11target_archE908ELNS1_3gpuE7ELNS1_3repE0EEENS1_30default_config_static_selectorELNS0_4arch9wavefront6targetE1EEEvT1_.kd
    .uniform_work_group_size: 1
    .uses_dynamic_stack: false
    .vgpr_count:     0
    .vgpr_spill_count: 0
    .wavefront_size: 64
  - .agpr_count:     0
    .args:
      - .offset:         0
        .size:           128
        .value_kind:     by_value
    .group_segment_fixed_size: 0
    .kernarg_segment_align: 8
    .kernarg_segment_size: 128
    .language:       OpenCL C
    .language_version:
      - 2
      - 0
    .max_flat_workgroup_size: 256
    .name:           _ZN7rocprim17ROCPRIM_400000_NS6detail17trampoline_kernelINS0_14default_configENS1_25partition_config_selectorILNS1_17partition_subalgoE2EjNS0_10empty_typeEbEEZZNS1_14partition_implILS5_2ELb0ES3_jN6thrust23THRUST_200600_302600_NS6detail15normal_iteratorINSA_7pointerIjNSA_11hip_rocprim3tagENSA_11use_defaultESG_EEEEPS6_NSA_18transform_iteratorI7is_evenIjENSC_INSA_10device_ptrIjEEEESG_SG_EENS0_5tupleIJPjSJ_EEENSR_IJSJ_SJ_EEES6_PlJS6_EEE10hipError_tPvRmT3_T4_T5_T6_T7_T9_mT8_P12ihipStream_tbDpT10_ENKUlT_T0_E_clISt17integral_constantIbLb1EES1E_IbLb0EEEEDaS1A_S1B_EUlS1A_E_NS1_11comp_targetILNS1_3genE2ELNS1_11target_archE906ELNS1_3gpuE6ELNS1_3repE0EEENS1_30default_config_static_selectorELNS0_4arch9wavefront6targetE1EEEvT1_
    .private_segment_fixed_size: 0
    .sgpr_count:     6
    .sgpr_spill_count: 0
    .symbol:         _ZN7rocprim17ROCPRIM_400000_NS6detail17trampoline_kernelINS0_14default_configENS1_25partition_config_selectorILNS1_17partition_subalgoE2EjNS0_10empty_typeEbEEZZNS1_14partition_implILS5_2ELb0ES3_jN6thrust23THRUST_200600_302600_NS6detail15normal_iteratorINSA_7pointerIjNSA_11hip_rocprim3tagENSA_11use_defaultESG_EEEEPS6_NSA_18transform_iteratorI7is_evenIjENSC_INSA_10device_ptrIjEEEESG_SG_EENS0_5tupleIJPjSJ_EEENSR_IJSJ_SJ_EEES6_PlJS6_EEE10hipError_tPvRmT3_T4_T5_T6_T7_T9_mT8_P12ihipStream_tbDpT10_ENKUlT_T0_E_clISt17integral_constantIbLb1EES1E_IbLb0EEEEDaS1A_S1B_EUlS1A_E_NS1_11comp_targetILNS1_3genE2ELNS1_11target_archE906ELNS1_3gpuE6ELNS1_3repE0EEENS1_30default_config_static_selectorELNS0_4arch9wavefront6targetE1EEEvT1_.kd
    .uniform_work_group_size: 1
    .uses_dynamic_stack: false
    .vgpr_count:     0
    .vgpr_spill_count: 0
    .wavefront_size: 64
  - .agpr_count:     0
    .args:
      - .offset:         0
        .size:           128
        .value_kind:     by_value
    .group_segment_fixed_size: 0
    .kernarg_segment_align: 8
    .kernarg_segment_size: 128
    .language:       OpenCL C
    .language_version:
      - 2
      - 0
    .max_flat_workgroup_size: 384
    .name:           _ZN7rocprim17ROCPRIM_400000_NS6detail17trampoline_kernelINS0_14default_configENS1_25partition_config_selectorILNS1_17partition_subalgoE2EjNS0_10empty_typeEbEEZZNS1_14partition_implILS5_2ELb0ES3_jN6thrust23THRUST_200600_302600_NS6detail15normal_iteratorINSA_7pointerIjNSA_11hip_rocprim3tagENSA_11use_defaultESG_EEEEPS6_NSA_18transform_iteratorI7is_evenIjENSC_INSA_10device_ptrIjEEEESG_SG_EENS0_5tupleIJPjSJ_EEENSR_IJSJ_SJ_EEES6_PlJS6_EEE10hipError_tPvRmT3_T4_T5_T6_T7_T9_mT8_P12ihipStream_tbDpT10_ENKUlT_T0_E_clISt17integral_constantIbLb1EES1E_IbLb0EEEEDaS1A_S1B_EUlS1A_E_NS1_11comp_targetILNS1_3genE10ELNS1_11target_archE1200ELNS1_3gpuE4ELNS1_3repE0EEENS1_30default_config_static_selectorELNS0_4arch9wavefront6targetE1EEEvT1_
    .private_segment_fixed_size: 0
    .sgpr_count:     6
    .sgpr_spill_count: 0
    .symbol:         _ZN7rocprim17ROCPRIM_400000_NS6detail17trampoline_kernelINS0_14default_configENS1_25partition_config_selectorILNS1_17partition_subalgoE2EjNS0_10empty_typeEbEEZZNS1_14partition_implILS5_2ELb0ES3_jN6thrust23THRUST_200600_302600_NS6detail15normal_iteratorINSA_7pointerIjNSA_11hip_rocprim3tagENSA_11use_defaultESG_EEEEPS6_NSA_18transform_iteratorI7is_evenIjENSC_INSA_10device_ptrIjEEEESG_SG_EENS0_5tupleIJPjSJ_EEENSR_IJSJ_SJ_EEES6_PlJS6_EEE10hipError_tPvRmT3_T4_T5_T6_T7_T9_mT8_P12ihipStream_tbDpT10_ENKUlT_T0_E_clISt17integral_constantIbLb1EES1E_IbLb0EEEEDaS1A_S1B_EUlS1A_E_NS1_11comp_targetILNS1_3genE10ELNS1_11target_archE1200ELNS1_3gpuE4ELNS1_3repE0EEENS1_30default_config_static_selectorELNS0_4arch9wavefront6targetE1EEEvT1_.kd
    .uniform_work_group_size: 1
    .uses_dynamic_stack: false
    .vgpr_count:     0
    .vgpr_spill_count: 0
    .wavefront_size: 64
  - .agpr_count:     0
    .args:
      - .offset:         0
        .size:           128
        .value_kind:     by_value
    .group_segment_fixed_size: 0
    .kernarg_segment_align: 8
    .kernarg_segment_size: 128
    .language:       OpenCL C
    .language_version:
      - 2
      - 0
    .max_flat_workgroup_size: 128
    .name:           _ZN7rocprim17ROCPRIM_400000_NS6detail17trampoline_kernelINS0_14default_configENS1_25partition_config_selectorILNS1_17partition_subalgoE2EjNS0_10empty_typeEbEEZZNS1_14partition_implILS5_2ELb0ES3_jN6thrust23THRUST_200600_302600_NS6detail15normal_iteratorINSA_7pointerIjNSA_11hip_rocprim3tagENSA_11use_defaultESG_EEEEPS6_NSA_18transform_iteratorI7is_evenIjENSC_INSA_10device_ptrIjEEEESG_SG_EENS0_5tupleIJPjSJ_EEENSR_IJSJ_SJ_EEES6_PlJS6_EEE10hipError_tPvRmT3_T4_T5_T6_T7_T9_mT8_P12ihipStream_tbDpT10_ENKUlT_T0_E_clISt17integral_constantIbLb1EES1E_IbLb0EEEEDaS1A_S1B_EUlS1A_E_NS1_11comp_targetILNS1_3genE9ELNS1_11target_archE1100ELNS1_3gpuE3ELNS1_3repE0EEENS1_30default_config_static_selectorELNS0_4arch9wavefront6targetE1EEEvT1_
    .private_segment_fixed_size: 0
    .sgpr_count:     6
    .sgpr_spill_count: 0
    .symbol:         _ZN7rocprim17ROCPRIM_400000_NS6detail17trampoline_kernelINS0_14default_configENS1_25partition_config_selectorILNS1_17partition_subalgoE2EjNS0_10empty_typeEbEEZZNS1_14partition_implILS5_2ELb0ES3_jN6thrust23THRUST_200600_302600_NS6detail15normal_iteratorINSA_7pointerIjNSA_11hip_rocprim3tagENSA_11use_defaultESG_EEEEPS6_NSA_18transform_iteratorI7is_evenIjENSC_INSA_10device_ptrIjEEEESG_SG_EENS0_5tupleIJPjSJ_EEENSR_IJSJ_SJ_EEES6_PlJS6_EEE10hipError_tPvRmT3_T4_T5_T6_T7_T9_mT8_P12ihipStream_tbDpT10_ENKUlT_T0_E_clISt17integral_constantIbLb1EES1E_IbLb0EEEEDaS1A_S1B_EUlS1A_E_NS1_11comp_targetILNS1_3genE9ELNS1_11target_archE1100ELNS1_3gpuE3ELNS1_3repE0EEENS1_30default_config_static_selectorELNS0_4arch9wavefront6targetE1EEEvT1_.kd
    .uniform_work_group_size: 1
    .uses_dynamic_stack: false
    .vgpr_count:     0
    .vgpr_spill_count: 0
    .wavefront_size: 64
  - .agpr_count:     0
    .args:
      - .offset:         0
        .size:           128
        .value_kind:     by_value
    .group_segment_fixed_size: 0
    .kernarg_segment_align: 8
    .kernarg_segment_size: 128
    .language:       OpenCL C
    .language_version:
      - 2
      - 0
    .max_flat_workgroup_size: 512
    .name:           _ZN7rocprim17ROCPRIM_400000_NS6detail17trampoline_kernelINS0_14default_configENS1_25partition_config_selectorILNS1_17partition_subalgoE2EjNS0_10empty_typeEbEEZZNS1_14partition_implILS5_2ELb0ES3_jN6thrust23THRUST_200600_302600_NS6detail15normal_iteratorINSA_7pointerIjNSA_11hip_rocprim3tagENSA_11use_defaultESG_EEEEPS6_NSA_18transform_iteratorI7is_evenIjENSC_INSA_10device_ptrIjEEEESG_SG_EENS0_5tupleIJPjSJ_EEENSR_IJSJ_SJ_EEES6_PlJS6_EEE10hipError_tPvRmT3_T4_T5_T6_T7_T9_mT8_P12ihipStream_tbDpT10_ENKUlT_T0_E_clISt17integral_constantIbLb1EES1E_IbLb0EEEEDaS1A_S1B_EUlS1A_E_NS1_11comp_targetILNS1_3genE8ELNS1_11target_archE1030ELNS1_3gpuE2ELNS1_3repE0EEENS1_30default_config_static_selectorELNS0_4arch9wavefront6targetE1EEEvT1_
    .private_segment_fixed_size: 0
    .sgpr_count:     6
    .sgpr_spill_count: 0
    .symbol:         _ZN7rocprim17ROCPRIM_400000_NS6detail17trampoline_kernelINS0_14default_configENS1_25partition_config_selectorILNS1_17partition_subalgoE2EjNS0_10empty_typeEbEEZZNS1_14partition_implILS5_2ELb0ES3_jN6thrust23THRUST_200600_302600_NS6detail15normal_iteratorINSA_7pointerIjNSA_11hip_rocprim3tagENSA_11use_defaultESG_EEEEPS6_NSA_18transform_iteratorI7is_evenIjENSC_INSA_10device_ptrIjEEEESG_SG_EENS0_5tupleIJPjSJ_EEENSR_IJSJ_SJ_EEES6_PlJS6_EEE10hipError_tPvRmT3_T4_T5_T6_T7_T9_mT8_P12ihipStream_tbDpT10_ENKUlT_T0_E_clISt17integral_constantIbLb1EES1E_IbLb0EEEEDaS1A_S1B_EUlS1A_E_NS1_11comp_targetILNS1_3genE8ELNS1_11target_archE1030ELNS1_3gpuE2ELNS1_3repE0EEENS1_30default_config_static_selectorELNS0_4arch9wavefront6targetE1EEEvT1_.kd
    .uniform_work_group_size: 1
    .uses_dynamic_stack: false
    .vgpr_count:     0
    .vgpr_spill_count: 0
    .wavefront_size: 64
  - .agpr_count:     0
    .args:
      - .offset:         0
        .size:           144
        .value_kind:     by_value
    .group_segment_fixed_size: 0
    .kernarg_segment_align: 8
    .kernarg_segment_size: 144
    .language:       OpenCL C
    .language_version:
      - 2
      - 0
    .max_flat_workgroup_size: 128
    .name:           _ZN7rocprim17ROCPRIM_400000_NS6detail17trampoline_kernelINS0_14default_configENS1_25partition_config_selectorILNS1_17partition_subalgoE2EjNS0_10empty_typeEbEEZZNS1_14partition_implILS5_2ELb0ES3_jN6thrust23THRUST_200600_302600_NS6detail15normal_iteratorINSA_7pointerIjNSA_11hip_rocprim3tagENSA_11use_defaultESG_EEEEPS6_NSA_18transform_iteratorI7is_evenIjENSC_INSA_10device_ptrIjEEEESG_SG_EENS0_5tupleIJPjSJ_EEENSR_IJSJ_SJ_EEES6_PlJS6_EEE10hipError_tPvRmT3_T4_T5_T6_T7_T9_mT8_P12ihipStream_tbDpT10_ENKUlT_T0_E_clISt17integral_constantIbLb0EES1E_IbLb1EEEEDaS1A_S1B_EUlS1A_E_NS1_11comp_targetILNS1_3genE0ELNS1_11target_archE4294967295ELNS1_3gpuE0ELNS1_3repE0EEENS1_30default_config_static_selectorELNS0_4arch9wavefront6targetE1EEEvT1_
    .private_segment_fixed_size: 0
    .sgpr_count:     6
    .sgpr_spill_count: 0
    .symbol:         _ZN7rocprim17ROCPRIM_400000_NS6detail17trampoline_kernelINS0_14default_configENS1_25partition_config_selectorILNS1_17partition_subalgoE2EjNS0_10empty_typeEbEEZZNS1_14partition_implILS5_2ELb0ES3_jN6thrust23THRUST_200600_302600_NS6detail15normal_iteratorINSA_7pointerIjNSA_11hip_rocprim3tagENSA_11use_defaultESG_EEEEPS6_NSA_18transform_iteratorI7is_evenIjENSC_INSA_10device_ptrIjEEEESG_SG_EENS0_5tupleIJPjSJ_EEENSR_IJSJ_SJ_EEES6_PlJS6_EEE10hipError_tPvRmT3_T4_T5_T6_T7_T9_mT8_P12ihipStream_tbDpT10_ENKUlT_T0_E_clISt17integral_constantIbLb0EES1E_IbLb1EEEEDaS1A_S1B_EUlS1A_E_NS1_11comp_targetILNS1_3genE0ELNS1_11target_archE4294967295ELNS1_3gpuE0ELNS1_3repE0EEENS1_30default_config_static_selectorELNS0_4arch9wavefront6targetE1EEEvT1_.kd
    .uniform_work_group_size: 1
    .uses_dynamic_stack: false
    .vgpr_count:     0
    .vgpr_spill_count: 0
    .wavefront_size: 64
  - .agpr_count:     0
    .args:
      - .offset:         0
        .size:           144
        .value_kind:     by_value
    .group_segment_fixed_size: 30728
    .kernarg_segment_align: 8
    .kernarg_segment_size: 144
    .language:       OpenCL C
    .language_version:
      - 2
      - 0
    .max_flat_workgroup_size: 512
    .name:           _ZN7rocprim17ROCPRIM_400000_NS6detail17trampoline_kernelINS0_14default_configENS1_25partition_config_selectorILNS1_17partition_subalgoE2EjNS0_10empty_typeEbEEZZNS1_14partition_implILS5_2ELb0ES3_jN6thrust23THRUST_200600_302600_NS6detail15normal_iteratorINSA_7pointerIjNSA_11hip_rocprim3tagENSA_11use_defaultESG_EEEEPS6_NSA_18transform_iteratorI7is_evenIjENSC_INSA_10device_ptrIjEEEESG_SG_EENS0_5tupleIJPjSJ_EEENSR_IJSJ_SJ_EEES6_PlJS6_EEE10hipError_tPvRmT3_T4_T5_T6_T7_T9_mT8_P12ihipStream_tbDpT10_ENKUlT_T0_E_clISt17integral_constantIbLb0EES1E_IbLb1EEEEDaS1A_S1B_EUlS1A_E_NS1_11comp_targetILNS1_3genE5ELNS1_11target_archE942ELNS1_3gpuE9ELNS1_3repE0EEENS1_30default_config_static_selectorELNS0_4arch9wavefront6targetE1EEEvT1_
    .private_segment_fixed_size: 0
    .sgpr_count:     52
    .sgpr_spill_count: 0
    .symbol:         _ZN7rocprim17ROCPRIM_400000_NS6detail17trampoline_kernelINS0_14default_configENS1_25partition_config_selectorILNS1_17partition_subalgoE2EjNS0_10empty_typeEbEEZZNS1_14partition_implILS5_2ELb0ES3_jN6thrust23THRUST_200600_302600_NS6detail15normal_iteratorINSA_7pointerIjNSA_11hip_rocprim3tagENSA_11use_defaultESG_EEEEPS6_NSA_18transform_iteratorI7is_evenIjENSC_INSA_10device_ptrIjEEEESG_SG_EENS0_5tupleIJPjSJ_EEENSR_IJSJ_SJ_EEES6_PlJS6_EEE10hipError_tPvRmT3_T4_T5_T6_T7_T9_mT8_P12ihipStream_tbDpT10_ENKUlT_T0_E_clISt17integral_constantIbLb0EES1E_IbLb1EEEEDaS1A_S1B_EUlS1A_E_NS1_11comp_targetILNS1_3genE5ELNS1_11target_archE942ELNS1_3gpuE9ELNS1_3repE0EEENS1_30default_config_static_selectorELNS0_4arch9wavefront6targetE1EEEvT1_.kd
    .uniform_work_group_size: 1
    .uses_dynamic_stack: false
    .vgpr_count:     67
    .vgpr_spill_count: 0
    .wavefront_size: 64
  - .agpr_count:     0
    .args:
      - .offset:         0
        .size:           144
        .value_kind:     by_value
    .group_segment_fixed_size: 0
    .kernarg_segment_align: 8
    .kernarg_segment_size: 144
    .language:       OpenCL C
    .language_version:
      - 2
      - 0
    .max_flat_workgroup_size: 256
    .name:           _ZN7rocprim17ROCPRIM_400000_NS6detail17trampoline_kernelINS0_14default_configENS1_25partition_config_selectorILNS1_17partition_subalgoE2EjNS0_10empty_typeEbEEZZNS1_14partition_implILS5_2ELb0ES3_jN6thrust23THRUST_200600_302600_NS6detail15normal_iteratorINSA_7pointerIjNSA_11hip_rocprim3tagENSA_11use_defaultESG_EEEEPS6_NSA_18transform_iteratorI7is_evenIjENSC_INSA_10device_ptrIjEEEESG_SG_EENS0_5tupleIJPjSJ_EEENSR_IJSJ_SJ_EEES6_PlJS6_EEE10hipError_tPvRmT3_T4_T5_T6_T7_T9_mT8_P12ihipStream_tbDpT10_ENKUlT_T0_E_clISt17integral_constantIbLb0EES1E_IbLb1EEEEDaS1A_S1B_EUlS1A_E_NS1_11comp_targetILNS1_3genE4ELNS1_11target_archE910ELNS1_3gpuE8ELNS1_3repE0EEENS1_30default_config_static_selectorELNS0_4arch9wavefront6targetE1EEEvT1_
    .private_segment_fixed_size: 0
    .sgpr_count:     6
    .sgpr_spill_count: 0
    .symbol:         _ZN7rocprim17ROCPRIM_400000_NS6detail17trampoline_kernelINS0_14default_configENS1_25partition_config_selectorILNS1_17partition_subalgoE2EjNS0_10empty_typeEbEEZZNS1_14partition_implILS5_2ELb0ES3_jN6thrust23THRUST_200600_302600_NS6detail15normal_iteratorINSA_7pointerIjNSA_11hip_rocprim3tagENSA_11use_defaultESG_EEEEPS6_NSA_18transform_iteratorI7is_evenIjENSC_INSA_10device_ptrIjEEEESG_SG_EENS0_5tupleIJPjSJ_EEENSR_IJSJ_SJ_EEES6_PlJS6_EEE10hipError_tPvRmT3_T4_T5_T6_T7_T9_mT8_P12ihipStream_tbDpT10_ENKUlT_T0_E_clISt17integral_constantIbLb0EES1E_IbLb1EEEEDaS1A_S1B_EUlS1A_E_NS1_11comp_targetILNS1_3genE4ELNS1_11target_archE910ELNS1_3gpuE8ELNS1_3repE0EEENS1_30default_config_static_selectorELNS0_4arch9wavefront6targetE1EEEvT1_.kd
    .uniform_work_group_size: 1
    .uses_dynamic_stack: false
    .vgpr_count:     0
    .vgpr_spill_count: 0
    .wavefront_size: 64
  - .agpr_count:     0
    .args:
      - .offset:         0
        .size:           144
        .value_kind:     by_value
    .group_segment_fixed_size: 0
    .kernarg_segment_align: 8
    .kernarg_segment_size: 144
    .language:       OpenCL C
    .language_version:
      - 2
      - 0
    .max_flat_workgroup_size: 128
    .name:           _ZN7rocprim17ROCPRIM_400000_NS6detail17trampoline_kernelINS0_14default_configENS1_25partition_config_selectorILNS1_17partition_subalgoE2EjNS0_10empty_typeEbEEZZNS1_14partition_implILS5_2ELb0ES3_jN6thrust23THRUST_200600_302600_NS6detail15normal_iteratorINSA_7pointerIjNSA_11hip_rocprim3tagENSA_11use_defaultESG_EEEEPS6_NSA_18transform_iteratorI7is_evenIjENSC_INSA_10device_ptrIjEEEESG_SG_EENS0_5tupleIJPjSJ_EEENSR_IJSJ_SJ_EEES6_PlJS6_EEE10hipError_tPvRmT3_T4_T5_T6_T7_T9_mT8_P12ihipStream_tbDpT10_ENKUlT_T0_E_clISt17integral_constantIbLb0EES1E_IbLb1EEEEDaS1A_S1B_EUlS1A_E_NS1_11comp_targetILNS1_3genE3ELNS1_11target_archE908ELNS1_3gpuE7ELNS1_3repE0EEENS1_30default_config_static_selectorELNS0_4arch9wavefront6targetE1EEEvT1_
    .private_segment_fixed_size: 0
    .sgpr_count:     6
    .sgpr_spill_count: 0
    .symbol:         _ZN7rocprim17ROCPRIM_400000_NS6detail17trampoline_kernelINS0_14default_configENS1_25partition_config_selectorILNS1_17partition_subalgoE2EjNS0_10empty_typeEbEEZZNS1_14partition_implILS5_2ELb0ES3_jN6thrust23THRUST_200600_302600_NS6detail15normal_iteratorINSA_7pointerIjNSA_11hip_rocprim3tagENSA_11use_defaultESG_EEEEPS6_NSA_18transform_iteratorI7is_evenIjENSC_INSA_10device_ptrIjEEEESG_SG_EENS0_5tupleIJPjSJ_EEENSR_IJSJ_SJ_EEES6_PlJS6_EEE10hipError_tPvRmT3_T4_T5_T6_T7_T9_mT8_P12ihipStream_tbDpT10_ENKUlT_T0_E_clISt17integral_constantIbLb0EES1E_IbLb1EEEEDaS1A_S1B_EUlS1A_E_NS1_11comp_targetILNS1_3genE3ELNS1_11target_archE908ELNS1_3gpuE7ELNS1_3repE0EEENS1_30default_config_static_selectorELNS0_4arch9wavefront6targetE1EEEvT1_.kd
    .uniform_work_group_size: 1
    .uses_dynamic_stack: false
    .vgpr_count:     0
    .vgpr_spill_count: 0
    .wavefront_size: 64
  - .agpr_count:     0
    .args:
      - .offset:         0
        .size:           144
        .value_kind:     by_value
    .group_segment_fixed_size: 0
    .kernarg_segment_align: 8
    .kernarg_segment_size: 144
    .language:       OpenCL C
    .language_version:
      - 2
      - 0
    .max_flat_workgroup_size: 256
    .name:           _ZN7rocprim17ROCPRIM_400000_NS6detail17trampoline_kernelINS0_14default_configENS1_25partition_config_selectorILNS1_17partition_subalgoE2EjNS0_10empty_typeEbEEZZNS1_14partition_implILS5_2ELb0ES3_jN6thrust23THRUST_200600_302600_NS6detail15normal_iteratorINSA_7pointerIjNSA_11hip_rocprim3tagENSA_11use_defaultESG_EEEEPS6_NSA_18transform_iteratorI7is_evenIjENSC_INSA_10device_ptrIjEEEESG_SG_EENS0_5tupleIJPjSJ_EEENSR_IJSJ_SJ_EEES6_PlJS6_EEE10hipError_tPvRmT3_T4_T5_T6_T7_T9_mT8_P12ihipStream_tbDpT10_ENKUlT_T0_E_clISt17integral_constantIbLb0EES1E_IbLb1EEEEDaS1A_S1B_EUlS1A_E_NS1_11comp_targetILNS1_3genE2ELNS1_11target_archE906ELNS1_3gpuE6ELNS1_3repE0EEENS1_30default_config_static_selectorELNS0_4arch9wavefront6targetE1EEEvT1_
    .private_segment_fixed_size: 0
    .sgpr_count:     6
    .sgpr_spill_count: 0
    .symbol:         _ZN7rocprim17ROCPRIM_400000_NS6detail17trampoline_kernelINS0_14default_configENS1_25partition_config_selectorILNS1_17partition_subalgoE2EjNS0_10empty_typeEbEEZZNS1_14partition_implILS5_2ELb0ES3_jN6thrust23THRUST_200600_302600_NS6detail15normal_iteratorINSA_7pointerIjNSA_11hip_rocprim3tagENSA_11use_defaultESG_EEEEPS6_NSA_18transform_iteratorI7is_evenIjENSC_INSA_10device_ptrIjEEEESG_SG_EENS0_5tupleIJPjSJ_EEENSR_IJSJ_SJ_EEES6_PlJS6_EEE10hipError_tPvRmT3_T4_T5_T6_T7_T9_mT8_P12ihipStream_tbDpT10_ENKUlT_T0_E_clISt17integral_constantIbLb0EES1E_IbLb1EEEEDaS1A_S1B_EUlS1A_E_NS1_11comp_targetILNS1_3genE2ELNS1_11target_archE906ELNS1_3gpuE6ELNS1_3repE0EEENS1_30default_config_static_selectorELNS0_4arch9wavefront6targetE1EEEvT1_.kd
    .uniform_work_group_size: 1
    .uses_dynamic_stack: false
    .vgpr_count:     0
    .vgpr_spill_count: 0
    .wavefront_size: 64
  - .agpr_count:     0
    .args:
      - .offset:         0
        .size:           144
        .value_kind:     by_value
    .group_segment_fixed_size: 0
    .kernarg_segment_align: 8
    .kernarg_segment_size: 144
    .language:       OpenCL C
    .language_version:
      - 2
      - 0
    .max_flat_workgroup_size: 384
    .name:           _ZN7rocprim17ROCPRIM_400000_NS6detail17trampoline_kernelINS0_14default_configENS1_25partition_config_selectorILNS1_17partition_subalgoE2EjNS0_10empty_typeEbEEZZNS1_14partition_implILS5_2ELb0ES3_jN6thrust23THRUST_200600_302600_NS6detail15normal_iteratorINSA_7pointerIjNSA_11hip_rocprim3tagENSA_11use_defaultESG_EEEEPS6_NSA_18transform_iteratorI7is_evenIjENSC_INSA_10device_ptrIjEEEESG_SG_EENS0_5tupleIJPjSJ_EEENSR_IJSJ_SJ_EEES6_PlJS6_EEE10hipError_tPvRmT3_T4_T5_T6_T7_T9_mT8_P12ihipStream_tbDpT10_ENKUlT_T0_E_clISt17integral_constantIbLb0EES1E_IbLb1EEEEDaS1A_S1B_EUlS1A_E_NS1_11comp_targetILNS1_3genE10ELNS1_11target_archE1200ELNS1_3gpuE4ELNS1_3repE0EEENS1_30default_config_static_selectorELNS0_4arch9wavefront6targetE1EEEvT1_
    .private_segment_fixed_size: 0
    .sgpr_count:     6
    .sgpr_spill_count: 0
    .symbol:         _ZN7rocprim17ROCPRIM_400000_NS6detail17trampoline_kernelINS0_14default_configENS1_25partition_config_selectorILNS1_17partition_subalgoE2EjNS0_10empty_typeEbEEZZNS1_14partition_implILS5_2ELb0ES3_jN6thrust23THRUST_200600_302600_NS6detail15normal_iteratorINSA_7pointerIjNSA_11hip_rocprim3tagENSA_11use_defaultESG_EEEEPS6_NSA_18transform_iteratorI7is_evenIjENSC_INSA_10device_ptrIjEEEESG_SG_EENS0_5tupleIJPjSJ_EEENSR_IJSJ_SJ_EEES6_PlJS6_EEE10hipError_tPvRmT3_T4_T5_T6_T7_T9_mT8_P12ihipStream_tbDpT10_ENKUlT_T0_E_clISt17integral_constantIbLb0EES1E_IbLb1EEEEDaS1A_S1B_EUlS1A_E_NS1_11comp_targetILNS1_3genE10ELNS1_11target_archE1200ELNS1_3gpuE4ELNS1_3repE0EEENS1_30default_config_static_selectorELNS0_4arch9wavefront6targetE1EEEvT1_.kd
    .uniform_work_group_size: 1
    .uses_dynamic_stack: false
    .vgpr_count:     0
    .vgpr_spill_count: 0
    .wavefront_size: 64
  - .agpr_count:     0
    .args:
      - .offset:         0
        .size:           144
        .value_kind:     by_value
    .group_segment_fixed_size: 0
    .kernarg_segment_align: 8
    .kernarg_segment_size: 144
    .language:       OpenCL C
    .language_version:
      - 2
      - 0
    .max_flat_workgroup_size: 128
    .name:           _ZN7rocprim17ROCPRIM_400000_NS6detail17trampoline_kernelINS0_14default_configENS1_25partition_config_selectorILNS1_17partition_subalgoE2EjNS0_10empty_typeEbEEZZNS1_14partition_implILS5_2ELb0ES3_jN6thrust23THRUST_200600_302600_NS6detail15normal_iteratorINSA_7pointerIjNSA_11hip_rocprim3tagENSA_11use_defaultESG_EEEEPS6_NSA_18transform_iteratorI7is_evenIjENSC_INSA_10device_ptrIjEEEESG_SG_EENS0_5tupleIJPjSJ_EEENSR_IJSJ_SJ_EEES6_PlJS6_EEE10hipError_tPvRmT3_T4_T5_T6_T7_T9_mT8_P12ihipStream_tbDpT10_ENKUlT_T0_E_clISt17integral_constantIbLb0EES1E_IbLb1EEEEDaS1A_S1B_EUlS1A_E_NS1_11comp_targetILNS1_3genE9ELNS1_11target_archE1100ELNS1_3gpuE3ELNS1_3repE0EEENS1_30default_config_static_selectorELNS0_4arch9wavefront6targetE1EEEvT1_
    .private_segment_fixed_size: 0
    .sgpr_count:     6
    .sgpr_spill_count: 0
    .symbol:         _ZN7rocprim17ROCPRIM_400000_NS6detail17trampoline_kernelINS0_14default_configENS1_25partition_config_selectorILNS1_17partition_subalgoE2EjNS0_10empty_typeEbEEZZNS1_14partition_implILS5_2ELb0ES3_jN6thrust23THRUST_200600_302600_NS6detail15normal_iteratorINSA_7pointerIjNSA_11hip_rocprim3tagENSA_11use_defaultESG_EEEEPS6_NSA_18transform_iteratorI7is_evenIjENSC_INSA_10device_ptrIjEEEESG_SG_EENS0_5tupleIJPjSJ_EEENSR_IJSJ_SJ_EEES6_PlJS6_EEE10hipError_tPvRmT3_T4_T5_T6_T7_T9_mT8_P12ihipStream_tbDpT10_ENKUlT_T0_E_clISt17integral_constantIbLb0EES1E_IbLb1EEEEDaS1A_S1B_EUlS1A_E_NS1_11comp_targetILNS1_3genE9ELNS1_11target_archE1100ELNS1_3gpuE3ELNS1_3repE0EEENS1_30default_config_static_selectorELNS0_4arch9wavefront6targetE1EEEvT1_.kd
    .uniform_work_group_size: 1
    .uses_dynamic_stack: false
    .vgpr_count:     0
    .vgpr_spill_count: 0
    .wavefront_size: 64
  - .agpr_count:     0
    .args:
      - .offset:         0
        .size:           144
        .value_kind:     by_value
    .group_segment_fixed_size: 0
    .kernarg_segment_align: 8
    .kernarg_segment_size: 144
    .language:       OpenCL C
    .language_version:
      - 2
      - 0
    .max_flat_workgroup_size: 512
    .name:           _ZN7rocprim17ROCPRIM_400000_NS6detail17trampoline_kernelINS0_14default_configENS1_25partition_config_selectorILNS1_17partition_subalgoE2EjNS0_10empty_typeEbEEZZNS1_14partition_implILS5_2ELb0ES3_jN6thrust23THRUST_200600_302600_NS6detail15normal_iteratorINSA_7pointerIjNSA_11hip_rocprim3tagENSA_11use_defaultESG_EEEEPS6_NSA_18transform_iteratorI7is_evenIjENSC_INSA_10device_ptrIjEEEESG_SG_EENS0_5tupleIJPjSJ_EEENSR_IJSJ_SJ_EEES6_PlJS6_EEE10hipError_tPvRmT3_T4_T5_T6_T7_T9_mT8_P12ihipStream_tbDpT10_ENKUlT_T0_E_clISt17integral_constantIbLb0EES1E_IbLb1EEEEDaS1A_S1B_EUlS1A_E_NS1_11comp_targetILNS1_3genE8ELNS1_11target_archE1030ELNS1_3gpuE2ELNS1_3repE0EEENS1_30default_config_static_selectorELNS0_4arch9wavefront6targetE1EEEvT1_
    .private_segment_fixed_size: 0
    .sgpr_count:     6
    .sgpr_spill_count: 0
    .symbol:         _ZN7rocprim17ROCPRIM_400000_NS6detail17trampoline_kernelINS0_14default_configENS1_25partition_config_selectorILNS1_17partition_subalgoE2EjNS0_10empty_typeEbEEZZNS1_14partition_implILS5_2ELb0ES3_jN6thrust23THRUST_200600_302600_NS6detail15normal_iteratorINSA_7pointerIjNSA_11hip_rocprim3tagENSA_11use_defaultESG_EEEEPS6_NSA_18transform_iteratorI7is_evenIjENSC_INSA_10device_ptrIjEEEESG_SG_EENS0_5tupleIJPjSJ_EEENSR_IJSJ_SJ_EEES6_PlJS6_EEE10hipError_tPvRmT3_T4_T5_T6_T7_T9_mT8_P12ihipStream_tbDpT10_ENKUlT_T0_E_clISt17integral_constantIbLb0EES1E_IbLb1EEEEDaS1A_S1B_EUlS1A_E_NS1_11comp_targetILNS1_3genE8ELNS1_11target_archE1030ELNS1_3gpuE2ELNS1_3repE0EEENS1_30default_config_static_selectorELNS0_4arch9wavefront6targetE1EEEvT1_.kd
    .uniform_work_group_size: 1
    .uses_dynamic_stack: false
    .vgpr_count:     0
    .vgpr_spill_count: 0
    .wavefront_size: 64
  - .agpr_count:     0
    .args:
      - .offset:         0
        .size:           16
        .value_kind:     by_value
      - .offset:         16
        .size:           8
        .value_kind:     by_value
      - .offset:         24
        .size:           8
        .value_kind:     by_value
    .group_segment_fixed_size: 0
    .kernarg_segment_align: 8
    .kernarg_segment_size: 32
    .language:       OpenCL C
    .language_version:
      - 2
      - 0
    .max_flat_workgroup_size: 256
    .name:           _ZN6thrust23THRUST_200600_302600_NS11hip_rocprim14__parallel_for6kernelILj256ENS1_13__swap_ranges6swap_fINS0_6detail15normal_iteratorINS0_10device_ptrIjEEEENS0_16reverse_iteratorISA_EEEElLj1EEEvT0_T1_SF_
    .private_segment_fixed_size: 0
    .sgpr_count:     18
    .sgpr_spill_count: 0
    .symbol:         _ZN6thrust23THRUST_200600_302600_NS11hip_rocprim14__parallel_for6kernelILj256ENS1_13__swap_ranges6swap_fINS0_6detail15normal_iteratorINS0_10device_ptrIjEEEENS0_16reverse_iteratorISA_EEEElLj1EEEvT0_T1_SF_.kd
    .uniform_work_group_size: 1
    .uses_dynamic_stack: false
    .vgpr_count:     7
    .vgpr_spill_count: 0
    .wavefront_size: 64
  - .agpr_count:     0
    .args:
      - .offset:         0
        .size:           128
        .value_kind:     by_value
    .group_segment_fixed_size: 0
    .kernarg_segment_align: 8
    .kernarg_segment_size: 128
    .language:       OpenCL C
    .language_version:
      - 2
      - 0
    .max_flat_workgroup_size: 256
    .name:           _ZN7rocprim17ROCPRIM_400000_NS6detail17trampoline_kernelINS0_14default_configENS1_25partition_config_selectorILNS1_17partition_subalgoE2EtNS0_10empty_typeEbEEZZNS1_14partition_implILS5_2ELb0ES3_jN6thrust23THRUST_200600_302600_NS6detail15normal_iteratorINSA_7pointerItNSA_11hip_rocprim3tagENSA_11use_defaultESG_EEEEPS6_NSA_18transform_iteratorI7is_evenItENSC_INSA_10device_ptrItEEEESG_SG_EENS0_5tupleIJPtSJ_EEENSR_IJSJ_SJ_EEES6_PlJS6_EEE10hipError_tPvRmT3_T4_T5_T6_T7_T9_mT8_P12ihipStream_tbDpT10_ENKUlT_T0_E_clISt17integral_constantIbLb0EES1F_EEDaS1A_S1B_EUlS1A_E_NS1_11comp_targetILNS1_3genE0ELNS1_11target_archE4294967295ELNS1_3gpuE0ELNS1_3repE0EEENS1_30default_config_static_selectorELNS0_4arch9wavefront6targetE1EEEvT1_
    .private_segment_fixed_size: 0
    .sgpr_count:     6
    .sgpr_spill_count: 0
    .symbol:         _ZN7rocprim17ROCPRIM_400000_NS6detail17trampoline_kernelINS0_14default_configENS1_25partition_config_selectorILNS1_17partition_subalgoE2EtNS0_10empty_typeEbEEZZNS1_14partition_implILS5_2ELb0ES3_jN6thrust23THRUST_200600_302600_NS6detail15normal_iteratorINSA_7pointerItNSA_11hip_rocprim3tagENSA_11use_defaultESG_EEEEPS6_NSA_18transform_iteratorI7is_evenItENSC_INSA_10device_ptrItEEEESG_SG_EENS0_5tupleIJPtSJ_EEENSR_IJSJ_SJ_EEES6_PlJS6_EEE10hipError_tPvRmT3_T4_T5_T6_T7_T9_mT8_P12ihipStream_tbDpT10_ENKUlT_T0_E_clISt17integral_constantIbLb0EES1F_EEDaS1A_S1B_EUlS1A_E_NS1_11comp_targetILNS1_3genE0ELNS1_11target_archE4294967295ELNS1_3gpuE0ELNS1_3repE0EEENS1_30default_config_static_selectorELNS0_4arch9wavefront6targetE1EEEvT1_.kd
    .uniform_work_group_size: 1
    .uses_dynamic_stack: false
    .vgpr_count:     0
    .vgpr_spill_count: 0
    .wavefront_size: 64
  - .agpr_count:     0
    .args:
      - .offset:         0
        .size:           128
        .value_kind:     by_value
    .group_segment_fixed_size: 30728
    .kernarg_segment_align: 8
    .kernarg_segment_size: 128
    .language:       OpenCL C
    .language_version:
      - 2
      - 0
    .max_flat_workgroup_size: 512
    .name:           _ZN7rocprim17ROCPRIM_400000_NS6detail17trampoline_kernelINS0_14default_configENS1_25partition_config_selectorILNS1_17partition_subalgoE2EtNS0_10empty_typeEbEEZZNS1_14partition_implILS5_2ELb0ES3_jN6thrust23THRUST_200600_302600_NS6detail15normal_iteratorINSA_7pointerItNSA_11hip_rocprim3tagENSA_11use_defaultESG_EEEEPS6_NSA_18transform_iteratorI7is_evenItENSC_INSA_10device_ptrItEEEESG_SG_EENS0_5tupleIJPtSJ_EEENSR_IJSJ_SJ_EEES6_PlJS6_EEE10hipError_tPvRmT3_T4_T5_T6_T7_T9_mT8_P12ihipStream_tbDpT10_ENKUlT_T0_E_clISt17integral_constantIbLb0EES1F_EEDaS1A_S1B_EUlS1A_E_NS1_11comp_targetILNS1_3genE5ELNS1_11target_archE942ELNS1_3gpuE9ELNS1_3repE0EEENS1_30default_config_static_selectorELNS0_4arch9wavefront6targetE1EEEvT1_
    .private_segment_fixed_size: 0
    .sgpr_count:     52
    .sgpr_spill_count: 0
    .symbol:         _ZN7rocprim17ROCPRIM_400000_NS6detail17trampoline_kernelINS0_14default_configENS1_25partition_config_selectorILNS1_17partition_subalgoE2EtNS0_10empty_typeEbEEZZNS1_14partition_implILS5_2ELb0ES3_jN6thrust23THRUST_200600_302600_NS6detail15normal_iteratorINSA_7pointerItNSA_11hip_rocprim3tagENSA_11use_defaultESG_EEEEPS6_NSA_18transform_iteratorI7is_evenItENSC_INSA_10device_ptrItEEEESG_SG_EENS0_5tupleIJPtSJ_EEENSR_IJSJ_SJ_EEES6_PlJS6_EEE10hipError_tPvRmT3_T4_T5_T6_T7_T9_mT8_P12ihipStream_tbDpT10_ENKUlT_T0_E_clISt17integral_constantIbLb0EES1F_EEDaS1A_S1B_EUlS1A_E_NS1_11comp_targetILNS1_3genE5ELNS1_11target_archE942ELNS1_3gpuE9ELNS1_3repE0EEENS1_30default_config_static_selectorELNS0_4arch9wavefront6targetE1EEEvT1_.kd
    .uniform_work_group_size: 1
    .uses_dynamic_stack: false
    .vgpr_count:     100
    .vgpr_spill_count: 0
    .wavefront_size: 64
  - .agpr_count:     0
    .args:
      - .offset:         0
        .size:           128
        .value_kind:     by_value
    .group_segment_fixed_size: 0
    .kernarg_segment_align: 8
    .kernarg_segment_size: 128
    .language:       OpenCL C
    .language_version:
      - 2
      - 0
    .max_flat_workgroup_size: 256
    .name:           _ZN7rocprim17ROCPRIM_400000_NS6detail17trampoline_kernelINS0_14default_configENS1_25partition_config_selectorILNS1_17partition_subalgoE2EtNS0_10empty_typeEbEEZZNS1_14partition_implILS5_2ELb0ES3_jN6thrust23THRUST_200600_302600_NS6detail15normal_iteratorINSA_7pointerItNSA_11hip_rocprim3tagENSA_11use_defaultESG_EEEEPS6_NSA_18transform_iteratorI7is_evenItENSC_INSA_10device_ptrItEEEESG_SG_EENS0_5tupleIJPtSJ_EEENSR_IJSJ_SJ_EEES6_PlJS6_EEE10hipError_tPvRmT3_T4_T5_T6_T7_T9_mT8_P12ihipStream_tbDpT10_ENKUlT_T0_E_clISt17integral_constantIbLb0EES1F_EEDaS1A_S1B_EUlS1A_E_NS1_11comp_targetILNS1_3genE4ELNS1_11target_archE910ELNS1_3gpuE8ELNS1_3repE0EEENS1_30default_config_static_selectorELNS0_4arch9wavefront6targetE1EEEvT1_
    .private_segment_fixed_size: 0
    .sgpr_count:     6
    .sgpr_spill_count: 0
    .symbol:         _ZN7rocprim17ROCPRIM_400000_NS6detail17trampoline_kernelINS0_14default_configENS1_25partition_config_selectorILNS1_17partition_subalgoE2EtNS0_10empty_typeEbEEZZNS1_14partition_implILS5_2ELb0ES3_jN6thrust23THRUST_200600_302600_NS6detail15normal_iteratorINSA_7pointerItNSA_11hip_rocprim3tagENSA_11use_defaultESG_EEEEPS6_NSA_18transform_iteratorI7is_evenItENSC_INSA_10device_ptrItEEEESG_SG_EENS0_5tupleIJPtSJ_EEENSR_IJSJ_SJ_EEES6_PlJS6_EEE10hipError_tPvRmT3_T4_T5_T6_T7_T9_mT8_P12ihipStream_tbDpT10_ENKUlT_T0_E_clISt17integral_constantIbLb0EES1F_EEDaS1A_S1B_EUlS1A_E_NS1_11comp_targetILNS1_3genE4ELNS1_11target_archE910ELNS1_3gpuE8ELNS1_3repE0EEENS1_30default_config_static_selectorELNS0_4arch9wavefront6targetE1EEEvT1_.kd
    .uniform_work_group_size: 1
    .uses_dynamic_stack: false
    .vgpr_count:     0
    .vgpr_spill_count: 0
    .wavefront_size: 64
  - .agpr_count:     0
    .args:
      - .offset:         0
        .size:           128
        .value_kind:     by_value
    .group_segment_fixed_size: 0
    .kernarg_segment_align: 8
    .kernarg_segment_size: 128
    .language:       OpenCL C
    .language_version:
      - 2
      - 0
    .max_flat_workgroup_size: 256
    .name:           _ZN7rocprim17ROCPRIM_400000_NS6detail17trampoline_kernelINS0_14default_configENS1_25partition_config_selectorILNS1_17partition_subalgoE2EtNS0_10empty_typeEbEEZZNS1_14partition_implILS5_2ELb0ES3_jN6thrust23THRUST_200600_302600_NS6detail15normal_iteratorINSA_7pointerItNSA_11hip_rocprim3tagENSA_11use_defaultESG_EEEEPS6_NSA_18transform_iteratorI7is_evenItENSC_INSA_10device_ptrItEEEESG_SG_EENS0_5tupleIJPtSJ_EEENSR_IJSJ_SJ_EEES6_PlJS6_EEE10hipError_tPvRmT3_T4_T5_T6_T7_T9_mT8_P12ihipStream_tbDpT10_ENKUlT_T0_E_clISt17integral_constantIbLb0EES1F_EEDaS1A_S1B_EUlS1A_E_NS1_11comp_targetILNS1_3genE3ELNS1_11target_archE908ELNS1_3gpuE7ELNS1_3repE0EEENS1_30default_config_static_selectorELNS0_4arch9wavefront6targetE1EEEvT1_
    .private_segment_fixed_size: 0
    .sgpr_count:     6
    .sgpr_spill_count: 0
    .symbol:         _ZN7rocprim17ROCPRIM_400000_NS6detail17trampoline_kernelINS0_14default_configENS1_25partition_config_selectorILNS1_17partition_subalgoE2EtNS0_10empty_typeEbEEZZNS1_14partition_implILS5_2ELb0ES3_jN6thrust23THRUST_200600_302600_NS6detail15normal_iteratorINSA_7pointerItNSA_11hip_rocprim3tagENSA_11use_defaultESG_EEEEPS6_NSA_18transform_iteratorI7is_evenItENSC_INSA_10device_ptrItEEEESG_SG_EENS0_5tupleIJPtSJ_EEENSR_IJSJ_SJ_EEES6_PlJS6_EEE10hipError_tPvRmT3_T4_T5_T6_T7_T9_mT8_P12ihipStream_tbDpT10_ENKUlT_T0_E_clISt17integral_constantIbLb0EES1F_EEDaS1A_S1B_EUlS1A_E_NS1_11comp_targetILNS1_3genE3ELNS1_11target_archE908ELNS1_3gpuE7ELNS1_3repE0EEENS1_30default_config_static_selectorELNS0_4arch9wavefront6targetE1EEEvT1_.kd
    .uniform_work_group_size: 1
    .uses_dynamic_stack: false
    .vgpr_count:     0
    .vgpr_spill_count: 0
    .wavefront_size: 64
  - .agpr_count:     0
    .args:
      - .offset:         0
        .size:           128
        .value_kind:     by_value
    .group_segment_fixed_size: 0
    .kernarg_segment_align: 8
    .kernarg_segment_size: 128
    .language:       OpenCL C
    .language_version:
      - 2
      - 0
    .max_flat_workgroup_size: 256
    .name:           _ZN7rocprim17ROCPRIM_400000_NS6detail17trampoline_kernelINS0_14default_configENS1_25partition_config_selectorILNS1_17partition_subalgoE2EtNS0_10empty_typeEbEEZZNS1_14partition_implILS5_2ELb0ES3_jN6thrust23THRUST_200600_302600_NS6detail15normal_iteratorINSA_7pointerItNSA_11hip_rocprim3tagENSA_11use_defaultESG_EEEEPS6_NSA_18transform_iteratorI7is_evenItENSC_INSA_10device_ptrItEEEESG_SG_EENS0_5tupleIJPtSJ_EEENSR_IJSJ_SJ_EEES6_PlJS6_EEE10hipError_tPvRmT3_T4_T5_T6_T7_T9_mT8_P12ihipStream_tbDpT10_ENKUlT_T0_E_clISt17integral_constantIbLb0EES1F_EEDaS1A_S1B_EUlS1A_E_NS1_11comp_targetILNS1_3genE2ELNS1_11target_archE906ELNS1_3gpuE6ELNS1_3repE0EEENS1_30default_config_static_selectorELNS0_4arch9wavefront6targetE1EEEvT1_
    .private_segment_fixed_size: 0
    .sgpr_count:     6
    .sgpr_spill_count: 0
    .symbol:         _ZN7rocprim17ROCPRIM_400000_NS6detail17trampoline_kernelINS0_14default_configENS1_25partition_config_selectorILNS1_17partition_subalgoE2EtNS0_10empty_typeEbEEZZNS1_14partition_implILS5_2ELb0ES3_jN6thrust23THRUST_200600_302600_NS6detail15normal_iteratorINSA_7pointerItNSA_11hip_rocprim3tagENSA_11use_defaultESG_EEEEPS6_NSA_18transform_iteratorI7is_evenItENSC_INSA_10device_ptrItEEEESG_SG_EENS0_5tupleIJPtSJ_EEENSR_IJSJ_SJ_EEES6_PlJS6_EEE10hipError_tPvRmT3_T4_T5_T6_T7_T9_mT8_P12ihipStream_tbDpT10_ENKUlT_T0_E_clISt17integral_constantIbLb0EES1F_EEDaS1A_S1B_EUlS1A_E_NS1_11comp_targetILNS1_3genE2ELNS1_11target_archE906ELNS1_3gpuE6ELNS1_3repE0EEENS1_30default_config_static_selectorELNS0_4arch9wavefront6targetE1EEEvT1_.kd
    .uniform_work_group_size: 1
    .uses_dynamic_stack: false
    .vgpr_count:     0
    .vgpr_spill_count: 0
    .wavefront_size: 64
  - .agpr_count:     0
    .args:
      - .offset:         0
        .size:           128
        .value_kind:     by_value
    .group_segment_fixed_size: 0
    .kernarg_segment_align: 8
    .kernarg_segment_size: 128
    .language:       OpenCL C
    .language_version:
      - 2
      - 0
    .max_flat_workgroup_size: 256
    .name:           _ZN7rocprim17ROCPRIM_400000_NS6detail17trampoline_kernelINS0_14default_configENS1_25partition_config_selectorILNS1_17partition_subalgoE2EtNS0_10empty_typeEbEEZZNS1_14partition_implILS5_2ELb0ES3_jN6thrust23THRUST_200600_302600_NS6detail15normal_iteratorINSA_7pointerItNSA_11hip_rocprim3tagENSA_11use_defaultESG_EEEEPS6_NSA_18transform_iteratorI7is_evenItENSC_INSA_10device_ptrItEEEESG_SG_EENS0_5tupleIJPtSJ_EEENSR_IJSJ_SJ_EEES6_PlJS6_EEE10hipError_tPvRmT3_T4_T5_T6_T7_T9_mT8_P12ihipStream_tbDpT10_ENKUlT_T0_E_clISt17integral_constantIbLb0EES1F_EEDaS1A_S1B_EUlS1A_E_NS1_11comp_targetILNS1_3genE10ELNS1_11target_archE1200ELNS1_3gpuE4ELNS1_3repE0EEENS1_30default_config_static_selectorELNS0_4arch9wavefront6targetE1EEEvT1_
    .private_segment_fixed_size: 0
    .sgpr_count:     6
    .sgpr_spill_count: 0
    .symbol:         _ZN7rocprim17ROCPRIM_400000_NS6detail17trampoline_kernelINS0_14default_configENS1_25partition_config_selectorILNS1_17partition_subalgoE2EtNS0_10empty_typeEbEEZZNS1_14partition_implILS5_2ELb0ES3_jN6thrust23THRUST_200600_302600_NS6detail15normal_iteratorINSA_7pointerItNSA_11hip_rocprim3tagENSA_11use_defaultESG_EEEEPS6_NSA_18transform_iteratorI7is_evenItENSC_INSA_10device_ptrItEEEESG_SG_EENS0_5tupleIJPtSJ_EEENSR_IJSJ_SJ_EEES6_PlJS6_EEE10hipError_tPvRmT3_T4_T5_T6_T7_T9_mT8_P12ihipStream_tbDpT10_ENKUlT_T0_E_clISt17integral_constantIbLb0EES1F_EEDaS1A_S1B_EUlS1A_E_NS1_11comp_targetILNS1_3genE10ELNS1_11target_archE1200ELNS1_3gpuE4ELNS1_3repE0EEENS1_30default_config_static_selectorELNS0_4arch9wavefront6targetE1EEEvT1_.kd
    .uniform_work_group_size: 1
    .uses_dynamic_stack: false
    .vgpr_count:     0
    .vgpr_spill_count: 0
    .wavefront_size: 64
  - .agpr_count:     0
    .args:
      - .offset:         0
        .size:           128
        .value_kind:     by_value
    .group_segment_fixed_size: 0
    .kernarg_segment_align: 8
    .kernarg_segment_size: 128
    .language:       OpenCL C
    .language_version:
      - 2
      - 0
    .max_flat_workgroup_size: 128
    .name:           _ZN7rocprim17ROCPRIM_400000_NS6detail17trampoline_kernelINS0_14default_configENS1_25partition_config_selectorILNS1_17partition_subalgoE2EtNS0_10empty_typeEbEEZZNS1_14partition_implILS5_2ELb0ES3_jN6thrust23THRUST_200600_302600_NS6detail15normal_iteratorINSA_7pointerItNSA_11hip_rocprim3tagENSA_11use_defaultESG_EEEEPS6_NSA_18transform_iteratorI7is_evenItENSC_INSA_10device_ptrItEEEESG_SG_EENS0_5tupleIJPtSJ_EEENSR_IJSJ_SJ_EEES6_PlJS6_EEE10hipError_tPvRmT3_T4_T5_T6_T7_T9_mT8_P12ihipStream_tbDpT10_ENKUlT_T0_E_clISt17integral_constantIbLb0EES1F_EEDaS1A_S1B_EUlS1A_E_NS1_11comp_targetILNS1_3genE9ELNS1_11target_archE1100ELNS1_3gpuE3ELNS1_3repE0EEENS1_30default_config_static_selectorELNS0_4arch9wavefront6targetE1EEEvT1_
    .private_segment_fixed_size: 0
    .sgpr_count:     6
    .sgpr_spill_count: 0
    .symbol:         _ZN7rocprim17ROCPRIM_400000_NS6detail17trampoline_kernelINS0_14default_configENS1_25partition_config_selectorILNS1_17partition_subalgoE2EtNS0_10empty_typeEbEEZZNS1_14partition_implILS5_2ELb0ES3_jN6thrust23THRUST_200600_302600_NS6detail15normal_iteratorINSA_7pointerItNSA_11hip_rocprim3tagENSA_11use_defaultESG_EEEEPS6_NSA_18transform_iteratorI7is_evenItENSC_INSA_10device_ptrItEEEESG_SG_EENS0_5tupleIJPtSJ_EEENSR_IJSJ_SJ_EEES6_PlJS6_EEE10hipError_tPvRmT3_T4_T5_T6_T7_T9_mT8_P12ihipStream_tbDpT10_ENKUlT_T0_E_clISt17integral_constantIbLb0EES1F_EEDaS1A_S1B_EUlS1A_E_NS1_11comp_targetILNS1_3genE9ELNS1_11target_archE1100ELNS1_3gpuE3ELNS1_3repE0EEENS1_30default_config_static_selectorELNS0_4arch9wavefront6targetE1EEEvT1_.kd
    .uniform_work_group_size: 1
    .uses_dynamic_stack: false
    .vgpr_count:     0
    .vgpr_spill_count: 0
    .wavefront_size: 64
  - .agpr_count:     0
    .args:
      - .offset:         0
        .size:           128
        .value_kind:     by_value
    .group_segment_fixed_size: 0
    .kernarg_segment_align: 8
    .kernarg_segment_size: 128
    .language:       OpenCL C
    .language_version:
      - 2
      - 0
    .max_flat_workgroup_size: 512
    .name:           _ZN7rocprim17ROCPRIM_400000_NS6detail17trampoline_kernelINS0_14default_configENS1_25partition_config_selectorILNS1_17partition_subalgoE2EtNS0_10empty_typeEbEEZZNS1_14partition_implILS5_2ELb0ES3_jN6thrust23THRUST_200600_302600_NS6detail15normal_iteratorINSA_7pointerItNSA_11hip_rocprim3tagENSA_11use_defaultESG_EEEEPS6_NSA_18transform_iteratorI7is_evenItENSC_INSA_10device_ptrItEEEESG_SG_EENS0_5tupleIJPtSJ_EEENSR_IJSJ_SJ_EEES6_PlJS6_EEE10hipError_tPvRmT3_T4_T5_T6_T7_T9_mT8_P12ihipStream_tbDpT10_ENKUlT_T0_E_clISt17integral_constantIbLb0EES1F_EEDaS1A_S1B_EUlS1A_E_NS1_11comp_targetILNS1_3genE8ELNS1_11target_archE1030ELNS1_3gpuE2ELNS1_3repE0EEENS1_30default_config_static_selectorELNS0_4arch9wavefront6targetE1EEEvT1_
    .private_segment_fixed_size: 0
    .sgpr_count:     6
    .sgpr_spill_count: 0
    .symbol:         _ZN7rocprim17ROCPRIM_400000_NS6detail17trampoline_kernelINS0_14default_configENS1_25partition_config_selectorILNS1_17partition_subalgoE2EtNS0_10empty_typeEbEEZZNS1_14partition_implILS5_2ELb0ES3_jN6thrust23THRUST_200600_302600_NS6detail15normal_iteratorINSA_7pointerItNSA_11hip_rocprim3tagENSA_11use_defaultESG_EEEEPS6_NSA_18transform_iteratorI7is_evenItENSC_INSA_10device_ptrItEEEESG_SG_EENS0_5tupleIJPtSJ_EEENSR_IJSJ_SJ_EEES6_PlJS6_EEE10hipError_tPvRmT3_T4_T5_T6_T7_T9_mT8_P12ihipStream_tbDpT10_ENKUlT_T0_E_clISt17integral_constantIbLb0EES1F_EEDaS1A_S1B_EUlS1A_E_NS1_11comp_targetILNS1_3genE8ELNS1_11target_archE1030ELNS1_3gpuE2ELNS1_3repE0EEENS1_30default_config_static_selectorELNS0_4arch9wavefront6targetE1EEEvT1_.kd
    .uniform_work_group_size: 1
    .uses_dynamic_stack: false
    .vgpr_count:     0
    .vgpr_spill_count: 0
    .wavefront_size: 64
  - .agpr_count:     0
    .args:
      - .offset:         0
        .size:           144
        .value_kind:     by_value
    .group_segment_fixed_size: 0
    .kernarg_segment_align: 8
    .kernarg_segment_size: 144
    .language:       OpenCL C
    .language_version:
      - 2
      - 0
    .max_flat_workgroup_size: 256
    .name:           _ZN7rocprim17ROCPRIM_400000_NS6detail17trampoline_kernelINS0_14default_configENS1_25partition_config_selectorILNS1_17partition_subalgoE2EtNS0_10empty_typeEbEEZZNS1_14partition_implILS5_2ELb0ES3_jN6thrust23THRUST_200600_302600_NS6detail15normal_iteratorINSA_7pointerItNSA_11hip_rocprim3tagENSA_11use_defaultESG_EEEEPS6_NSA_18transform_iteratorI7is_evenItENSC_INSA_10device_ptrItEEEESG_SG_EENS0_5tupleIJPtSJ_EEENSR_IJSJ_SJ_EEES6_PlJS6_EEE10hipError_tPvRmT3_T4_T5_T6_T7_T9_mT8_P12ihipStream_tbDpT10_ENKUlT_T0_E_clISt17integral_constantIbLb1EES1F_EEDaS1A_S1B_EUlS1A_E_NS1_11comp_targetILNS1_3genE0ELNS1_11target_archE4294967295ELNS1_3gpuE0ELNS1_3repE0EEENS1_30default_config_static_selectorELNS0_4arch9wavefront6targetE1EEEvT1_
    .private_segment_fixed_size: 0
    .sgpr_count:     6
    .sgpr_spill_count: 0
    .symbol:         _ZN7rocprim17ROCPRIM_400000_NS6detail17trampoline_kernelINS0_14default_configENS1_25partition_config_selectorILNS1_17partition_subalgoE2EtNS0_10empty_typeEbEEZZNS1_14partition_implILS5_2ELb0ES3_jN6thrust23THRUST_200600_302600_NS6detail15normal_iteratorINSA_7pointerItNSA_11hip_rocprim3tagENSA_11use_defaultESG_EEEEPS6_NSA_18transform_iteratorI7is_evenItENSC_INSA_10device_ptrItEEEESG_SG_EENS0_5tupleIJPtSJ_EEENSR_IJSJ_SJ_EEES6_PlJS6_EEE10hipError_tPvRmT3_T4_T5_T6_T7_T9_mT8_P12ihipStream_tbDpT10_ENKUlT_T0_E_clISt17integral_constantIbLb1EES1F_EEDaS1A_S1B_EUlS1A_E_NS1_11comp_targetILNS1_3genE0ELNS1_11target_archE4294967295ELNS1_3gpuE0ELNS1_3repE0EEENS1_30default_config_static_selectorELNS0_4arch9wavefront6targetE1EEEvT1_.kd
    .uniform_work_group_size: 1
    .uses_dynamic_stack: false
    .vgpr_count:     0
    .vgpr_spill_count: 0
    .wavefront_size: 64
  - .agpr_count:     0
    .args:
      - .offset:         0
        .size:           144
        .value_kind:     by_value
    .group_segment_fixed_size: 30728
    .kernarg_segment_align: 8
    .kernarg_segment_size: 144
    .language:       OpenCL C
    .language_version:
      - 2
      - 0
    .max_flat_workgroup_size: 512
    .name:           _ZN7rocprim17ROCPRIM_400000_NS6detail17trampoline_kernelINS0_14default_configENS1_25partition_config_selectorILNS1_17partition_subalgoE2EtNS0_10empty_typeEbEEZZNS1_14partition_implILS5_2ELb0ES3_jN6thrust23THRUST_200600_302600_NS6detail15normal_iteratorINSA_7pointerItNSA_11hip_rocprim3tagENSA_11use_defaultESG_EEEEPS6_NSA_18transform_iteratorI7is_evenItENSC_INSA_10device_ptrItEEEESG_SG_EENS0_5tupleIJPtSJ_EEENSR_IJSJ_SJ_EEES6_PlJS6_EEE10hipError_tPvRmT3_T4_T5_T6_T7_T9_mT8_P12ihipStream_tbDpT10_ENKUlT_T0_E_clISt17integral_constantIbLb1EES1F_EEDaS1A_S1B_EUlS1A_E_NS1_11comp_targetILNS1_3genE5ELNS1_11target_archE942ELNS1_3gpuE9ELNS1_3repE0EEENS1_30default_config_static_selectorELNS0_4arch9wavefront6targetE1EEEvT1_
    .private_segment_fixed_size: 0
    .sgpr_count:     52
    .sgpr_spill_count: 0
    .symbol:         _ZN7rocprim17ROCPRIM_400000_NS6detail17trampoline_kernelINS0_14default_configENS1_25partition_config_selectorILNS1_17partition_subalgoE2EtNS0_10empty_typeEbEEZZNS1_14partition_implILS5_2ELb0ES3_jN6thrust23THRUST_200600_302600_NS6detail15normal_iteratorINSA_7pointerItNSA_11hip_rocprim3tagENSA_11use_defaultESG_EEEEPS6_NSA_18transform_iteratorI7is_evenItENSC_INSA_10device_ptrItEEEESG_SG_EENS0_5tupleIJPtSJ_EEENSR_IJSJ_SJ_EEES6_PlJS6_EEE10hipError_tPvRmT3_T4_T5_T6_T7_T9_mT8_P12ihipStream_tbDpT10_ENKUlT_T0_E_clISt17integral_constantIbLb1EES1F_EEDaS1A_S1B_EUlS1A_E_NS1_11comp_targetILNS1_3genE5ELNS1_11target_archE942ELNS1_3gpuE9ELNS1_3repE0EEENS1_30default_config_static_selectorELNS0_4arch9wavefront6targetE1EEEvT1_.kd
    .uniform_work_group_size: 1
    .uses_dynamic_stack: false
    .vgpr_count:     102
    .vgpr_spill_count: 0
    .wavefront_size: 64
  - .agpr_count:     0
    .args:
      - .offset:         0
        .size:           144
        .value_kind:     by_value
    .group_segment_fixed_size: 0
    .kernarg_segment_align: 8
    .kernarg_segment_size: 144
    .language:       OpenCL C
    .language_version:
      - 2
      - 0
    .max_flat_workgroup_size: 256
    .name:           _ZN7rocprim17ROCPRIM_400000_NS6detail17trampoline_kernelINS0_14default_configENS1_25partition_config_selectorILNS1_17partition_subalgoE2EtNS0_10empty_typeEbEEZZNS1_14partition_implILS5_2ELb0ES3_jN6thrust23THRUST_200600_302600_NS6detail15normal_iteratorINSA_7pointerItNSA_11hip_rocprim3tagENSA_11use_defaultESG_EEEEPS6_NSA_18transform_iteratorI7is_evenItENSC_INSA_10device_ptrItEEEESG_SG_EENS0_5tupleIJPtSJ_EEENSR_IJSJ_SJ_EEES6_PlJS6_EEE10hipError_tPvRmT3_T4_T5_T6_T7_T9_mT8_P12ihipStream_tbDpT10_ENKUlT_T0_E_clISt17integral_constantIbLb1EES1F_EEDaS1A_S1B_EUlS1A_E_NS1_11comp_targetILNS1_3genE4ELNS1_11target_archE910ELNS1_3gpuE8ELNS1_3repE0EEENS1_30default_config_static_selectorELNS0_4arch9wavefront6targetE1EEEvT1_
    .private_segment_fixed_size: 0
    .sgpr_count:     6
    .sgpr_spill_count: 0
    .symbol:         _ZN7rocprim17ROCPRIM_400000_NS6detail17trampoline_kernelINS0_14default_configENS1_25partition_config_selectorILNS1_17partition_subalgoE2EtNS0_10empty_typeEbEEZZNS1_14partition_implILS5_2ELb0ES3_jN6thrust23THRUST_200600_302600_NS6detail15normal_iteratorINSA_7pointerItNSA_11hip_rocprim3tagENSA_11use_defaultESG_EEEEPS6_NSA_18transform_iteratorI7is_evenItENSC_INSA_10device_ptrItEEEESG_SG_EENS0_5tupleIJPtSJ_EEENSR_IJSJ_SJ_EEES6_PlJS6_EEE10hipError_tPvRmT3_T4_T5_T6_T7_T9_mT8_P12ihipStream_tbDpT10_ENKUlT_T0_E_clISt17integral_constantIbLb1EES1F_EEDaS1A_S1B_EUlS1A_E_NS1_11comp_targetILNS1_3genE4ELNS1_11target_archE910ELNS1_3gpuE8ELNS1_3repE0EEENS1_30default_config_static_selectorELNS0_4arch9wavefront6targetE1EEEvT1_.kd
    .uniform_work_group_size: 1
    .uses_dynamic_stack: false
    .vgpr_count:     0
    .vgpr_spill_count: 0
    .wavefront_size: 64
  - .agpr_count:     0
    .args:
      - .offset:         0
        .size:           144
        .value_kind:     by_value
    .group_segment_fixed_size: 0
    .kernarg_segment_align: 8
    .kernarg_segment_size: 144
    .language:       OpenCL C
    .language_version:
      - 2
      - 0
    .max_flat_workgroup_size: 256
    .name:           _ZN7rocprim17ROCPRIM_400000_NS6detail17trampoline_kernelINS0_14default_configENS1_25partition_config_selectorILNS1_17partition_subalgoE2EtNS0_10empty_typeEbEEZZNS1_14partition_implILS5_2ELb0ES3_jN6thrust23THRUST_200600_302600_NS6detail15normal_iteratorINSA_7pointerItNSA_11hip_rocprim3tagENSA_11use_defaultESG_EEEEPS6_NSA_18transform_iteratorI7is_evenItENSC_INSA_10device_ptrItEEEESG_SG_EENS0_5tupleIJPtSJ_EEENSR_IJSJ_SJ_EEES6_PlJS6_EEE10hipError_tPvRmT3_T4_T5_T6_T7_T9_mT8_P12ihipStream_tbDpT10_ENKUlT_T0_E_clISt17integral_constantIbLb1EES1F_EEDaS1A_S1B_EUlS1A_E_NS1_11comp_targetILNS1_3genE3ELNS1_11target_archE908ELNS1_3gpuE7ELNS1_3repE0EEENS1_30default_config_static_selectorELNS0_4arch9wavefront6targetE1EEEvT1_
    .private_segment_fixed_size: 0
    .sgpr_count:     6
    .sgpr_spill_count: 0
    .symbol:         _ZN7rocprim17ROCPRIM_400000_NS6detail17trampoline_kernelINS0_14default_configENS1_25partition_config_selectorILNS1_17partition_subalgoE2EtNS0_10empty_typeEbEEZZNS1_14partition_implILS5_2ELb0ES3_jN6thrust23THRUST_200600_302600_NS6detail15normal_iteratorINSA_7pointerItNSA_11hip_rocprim3tagENSA_11use_defaultESG_EEEEPS6_NSA_18transform_iteratorI7is_evenItENSC_INSA_10device_ptrItEEEESG_SG_EENS0_5tupleIJPtSJ_EEENSR_IJSJ_SJ_EEES6_PlJS6_EEE10hipError_tPvRmT3_T4_T5_T6_T7_T9_mT8_P12ihipStream_tbDpT10_ENKUlT_T0_E_clISt17integral_constantIbLb1EES1F_EEDaS1A_S1B_EUlS1A_E_NS1_11comp_targetILNS1_3genE3ELNS1_11target_archE908ELNS1_3gpuE7ELNS1_3repE0EEENS1_30default_config_static_selectorELNS0_4arch9wavefront6targetE1EEEvT1_.kd
    .uniform_work_group_size: 1
    .uses_dynamic_stack: false
    .vgpr_count:     0
    .vgpr_spill_count: 0
    .wavefront_size: 64
  - .agpr_count:     0
    .args:
      - .offset:         0
        .size:           144
        .value_kind:     by_value
    .group_segment_fixed_size: 0
    .kernarg_segment_align: 8
    .kernarg_segment_size: 144
    .language:       OpenCL C
    .language_version:
      - 2
      - 0
    .max_flat_workgroup_size: 256
    .name:           _ZN7rocprim17ROCPRIM_400000_NS6detail17trampoline_kernelINS0_14default_configENS1_25partition_config_selectorILNS1_17partition_subalgoE2EtNS0_10empty_typeEbEEZZNS1_14partition_implILS5_2ELb0ES3_jN6thrust23THRUST_200600_302600_NS6detail15normal_iteratorINSA_7pointerItNSA_11hip_rocprim3tagENSA_11use_defaultESG_EEEEPS6_NSA_18transform_iteratorI7is_evenItENSC_INSA_10device_ptrItEEEESG_SG_EENS0_5tupleIJPtSJ_EEENSR_IJSJ_SJ_EEES6_PlJS6_EEE10hipError_tPvRmT3_T4_T5_T6_T7_T9_mT8_P12ihipStream_tbDpT10_ENKUlT_T0_E_clISt17integral_constantIbLb1EES1F_EEDaS1A_S1B_EUlS1A_E_NS1_11comp_targetILNS1_3genE2ELNS1_11target_archE906ELNS1_3gpuE6ELNS1_3repE0EEENS1_30default_config_static_selectorELNS0_4arch9wavefront6targetE1EEEvT1_
    .private_segment_fixed_size: 0
    .sgpr_count:     6
    .sgpr_spill_count: 0
    .symbol:         _ZN7rocprim17ROCPRIM_400000_NS6detail17trampoline_kernelINS0_14default_configENS1_25partition_config_selectorILNS1_17partition_subalgoE2EtNS0_10empty_typeEbEEZZNS1_14partition_implILS5_2ELb0ES3_jN6thrust23THRUST_200600_302600_NS6detail15normal_iteratorINSA_7pointerItNSA_11hip_rocprim3tagENSA_11use_defaultESG_EEEEPS6_NSA_18transform_iteratorI7is_evenItENSC_INSA_10device_ptrItEEEESG_SG_EENS0_5tupleIJPtSJ_EEENSR_IJSJ_SJ_EEES6_PlJS6_EEE10hipError_tPvRmT3_T4_T5_T6_T7_T9_mT8_P12ihipStream_tbDpT10_ENKUlT_T0_E_clISt17integral_constantIbLb1EES1F_EEDaS1A_S1B_EUlS1A_E_NS1_11comp_targetILNS1_3genE2ELNS1_11target_archE906ELNS1_3gpuE6ELNS1_3repE0EEENS1_30default_config_static_selectorELNS0_4arch9wavefront6targetE1EEEvT1_.kd
    .uniform_work_group_size: 1
    .uses_dynamic_stack: false
    .vgpr_count:     0
    .vgpr_spill_count: 0
    .wavefront_size: 64
  - .agpr_count:     0
    .args:
      - .offset:         0
        .size:           144
        .value_kind:     by_value
    .group_segment_fixed_size: 0
    .kernarg_segment_align: 8
    .kernarg_segment_size: 144
    .language:       OpenCL C
    .language_version:
      - 2
      - 0
    .max_flat_workgroup_size: 256
    .name:           _ZN7rocprim17ROCPRIM_400000_NS6detail17trampoline_kernelINS0_14default_configENS1_25partition_config_selectorILNS1_17partition_subalgoE2EtNS0_10empty_typeEbEEZZNS1_14partition_implILS5_2ELb0ES3_jN6thrust23THRUST_200600_302600_NS6detail15normal_iteratorINSA_7pointerItNSA_11hip_rocprim3tagENSA_11use_defaultESG_EEEEPS6_NSA_18transform_iteratorI7is_evenItENSC_INSA_10device_ptrItEEEESG_SG_EENS0_5tupleIJPtSJ_EEENSR_IJSJ_SJ_EEES6_PlJS6_EEE10hipError_tPvRmT3_T4_T5_T6_T7_T9_mT8_P12ihipStream_tbDpT10_ENKUlT_T0_E_clISt17integral_constantIbLb1EES1F_EEDaS1A_S1B_EUlS1A_E_NS1_11comp_targetILNS1_3genE10ELNS1_11target_archE1200ELNS1_3gpuE4ELNS1_3repE0EEENS1_30default_config_static_selectorELNS0_4arch9wavefront6targetE1EEEvT1_
    .private_segment_fixed_size: 0
    .sgpr_count:     6
    .sgpr_spill_count: 0
    .symbol:         _ZN7rocprim17ROCPRIM_400000_NS6detail17trampoline_kernelINS0_14default_configENS1_25partition_config_selectorILNS1_17partition_subalgoE2EtNS0_10empty_typeEbEEZZNS1_14partition_implILS5_2ELb0ES3_jN6thrust23THRUST_200600_302600_NS6detail15normal_iteratorINSA_7pointerItNSA_11hip_rocprim3tagENSA_11use_defaultESG_EEEEPS6_NSA_18transform_iteratorI7is_evenItENSC_INSA_10device_ptrItEEEESG_SG_EENS0_5tupleIJPtSJ_EEENSR_IJSJ_SJ_EEES6_PlJS6_EEE10hipError_tPvRmT3_T4_T5_T6_T7_T9_mT8_P12ihipStream_tbDpT10_ENKUlT_T0_E_clISt17integral_constantIbLb1EES1F_EEDaS1A_S1B_EUlS1A_E_NS1_11comp_targetILNS1_3genE10ELNS1_11target_archE1200ELNS1_3gpuE4ELNS1_3repE0EEENS1_30default_config_static_selectorELNS0_4arch9wavefront6targetE1EEEvT1_.kd
    .uniform_work_group_size: 1
    .uses_dynamic_stack: false
    .vgpr_count:     0
    .vgpr_spill_count: 0
    .wavefront_size: 64
  - .agpr_count:     0
    .args:
      - .offset:         0
        .size:           144
        .value_kind:     by_value
    .group_segment_fixed_size: 0
    .kernarg_segment_align: 8
    .kernarg_segment_size: 144
    .language:       OpenCL C
    .language_version:
      - 2
      - 0
    .max_flat_workgroup_size: 128
    .name:           _ZN7rocprim17ROCPRIM_400000_NS6detail17trampoline_kernelINS0_14default_configENS1_25partition_config_selectorILNS1_17partition_subalgoE2EtNS0_10empty_typeEbEEZZNS1_14partition_implILS5_2ELb0ES3_jN6thrust23THRUST_200600_302600_NS6detail15normal_iteratorINSA_7pointerItNSA_11hip_rocprim3tagENSA_11use_defaultESG_EEEEPS6_NSA_18transform_iteratorI7is_evenItENSC_INSA_10device_ptrItEEEESG_SG_EENS0_5tupleIJPtSJ_EEENSR_IJSJ_SJ_EEES6_PlJS6_EEE10hipError_tPvRmT3_T4_T5_T6_T7_T9_mT8_P12ihipStream_tbDpT10_ENKUlT_T0_E_clISt17integral_constantIbLb1EES1F_EEDaS1A_S1B_EUlS1A_E_NS1_11comp_targetILNS1_3genE9ELNS1_11target_archE1100ELNS1_3gpuE3ELNS1_3repE0EEENS1_30default_config_static_selectorELNS0_4arch9wavefront6targetE1EEEvT1_
    .private_segment_fixed_size: 0
    .sgpr_count:     6
    .sgpr_spill_count: 0
    .symbol:         _ZN7rocprim17ROCPRIM_400000_NS6detail17trampoline_kernelINS0_14default_configENS1_25partition_config_selectorILNS1_17partition_subalgoE2EtNS0_10empty_typeEbEEZZNS1_14partition_implILS5_2ELb0ES3_jN6thrust23THRUST_200600_302600_NS6detail15normal_iteratorINSA_7pointerItNSA_11hip_rocprim3tagENSA_11use_defaultESG_EEEEPS6_NSA_18transform_iteratorI7is_evenItENSC_INSA_10device_ptrItEEEESG_SG_EENS0_5tupleIJPtSJ_EEENSR_IJSJ_SJ_EEES6_PlJS6_EEE10hipError_tPvRmT3_T4_T5_T6_T7_T9_mT8_P12ihipStream_tbDpT10_ENKUlT_T0_E_clISt17integral_constantIbLb1EES1F_EEDaS1A_S1B_EUlS1A_E_NS1_11comp_targetILNS1_3genE9ELNS1_11target_archE1100ELNS1_3gpuE3ELNS1_3repE0EEENS1_30default_config_static_selectorELNS0_4arch9wavefront6targetE1EEEvT1_.kd
    .uniform_work_group_size: 1
    .uses_dynamic_stack: false
    .vgpr_count:     0
    .vgpr_spill_count: 0
    .wavefront_size: 64
  - .agpr_count:     0
    .args:
      - .offset:         0
        .size:           144
        .value_kind:     by_value
    .group_segment_fixed_size: 0
    .kernarg_segment_align: 8
    .kernarg_segment_size: 144
    .language:       OpenCL C
    .language_version:
      - 2
      - 0
    .max_flat_workgroup_size: 512
    .name:           _ZN7rocprim17ROCPRIM_400000_NS6detail17trampoline_kernelINS0_14default_configENS1_25partition_config_selectorILNS1_17partition_subalgoE2EtNS0_10empty_typeEbEEZZNS1_14partition_implILS5_2ELb0ES3_jN6thrust23THRUST_200600_302600_NS6detail15normal_iteratorINSA_7pointerItNSA_11hip_rocprim3tagENSA_11use_defaultESG_EEEEPS6_NSA_18transform_iteratorI7is_evenItENSC_INSA_10device_ptrItEEEESG_SG_EENS0_5tupleIJPtSJ_EEENSR_IJSJ_SJ_EEES6_PlJS6_EEE10hipError_tPvRmT3_T4_T5_T6_T7_T9_mT8_P12ihipStream_tbDpT10_ENKUlT_T0_E_clISt17integral_constantIbLb1EES1F_EEDaS1A_S1B_EUlS1A_E_NS1_11comp_targetILNS1_3genE8ELNS1_11target_archE1030ELNS1_3gpuE2ELNS1_3repE0EEENS1_30default_config_static_selectorELNS0_4arch9wavefront6targetE1EEEvT1_
    .private_segment_fixed_size: 0
    .sgpr_count:     6
    .sgpr_spill_count: 0
    .symbol:         _ZN7rocprim17ROCPRIM_400000_NS6detail17trampoline_kernelINS0_14default_configENS1_25partition_config_selectorILNS1_17partition_subalgoE2EtNS0_10empty_typeEbEEZZNS1_14partition_implILS5_2ELb0ES3_jN6thrust23THRUST_200600_302600_NS6detail15normal_iteratorINSA_7pointerItNSA_11hip_rocprim3tagENSA_11use_defaultESG_EEEEPS6_NSA_18transform_iteratorI7is_evenItENSC_INSA_10device_ptrItEEEESG_SG_EENS0_5tupleIJPtSJ_EEENSR_IJSJ_SJ_EEES6_PlJS6_EEE10hipError_tPvRmT3_T4_T5_T6_T7_T9_mT8_P12ihipStream_tbDpT10_ENKUlT_T0_E_clISt17integral_constantIbLb1EES1F_EEDaS1A_S1B_EUlS1A_E_NS1_11comp_targetILNS1_3genE8ELNS1_11target_archE1030ELNS1_3gpuE2ELNS1_3repE0EEENS1_30default_config_static_selectorELNS0_4arch9wavefront6targetE1EEEvT1_.kd
    .uniform_work_group_size: 1
    .uses_dynamic_stack: false
    .vgpr_count:     0
    .vgpr_spill_count: 0
    .wavefront_size: 64
  - .agpr_count:     0
    .args:
      - .offset:         0
        .size:           128
        .value_kind:     by_value
    .group_segment_fixed_size: 0
    .kernarg_segment_align: 8
    .kernarg_segment_size: 128
    .language:       OpenCL C
    .language_version:
      - 2
      - 0
    .max_flat_workgroup_size: 256
    .name:           _ZN7rocprim17ROCPRIM_400000_NS6detail17trampoline_kernelINS0_14default_configENS1_25partition_config_selectorILNS1_17partition_subalgoE2EtNS0_10empty_typeEbEEZZNS1_14partition_implILS5_2ELb0ES3_jN6thrust23THRUST_200600_302600_NS6detail15normal_iteratorINSA_7pointerItNSA_11hip_rocprim3tagENSA_11use_defaultESG_EEEEPS6_NSA_18transform_iteratorI7is_evenItENSC_INSA_10device_ptrItEEEESG_SG_EENS0_5tupleIJPtSJ_EEENSR_IJSJ_SJ_EEES6_PlJS6_EEE10hipError_tPvRmT3_T4_T5_T6_T7_T9_mT8_P12ihipStream_tbDpT10_ENKUlT_T0_E_clISt17integral_constantIbLb1EES1E_IbLb0EEEEDaS1A_S1B_EUlS1A_E_NS1_11comp_targetILNS1_3genE0ELNS1_11target_archE4294967295ELNS1_3gpuE0ELNS1_3repE0EEENS1_30default_config_static_selectorELNS0_4arch9wavefront6targetE1EEEvT1_
    .private_segment_fixed_size: 0
    .sgpr_count:     6
    .sgpr_spill_count: 0
    .symbol:         _ZN7rocprim17ROCPRIM_400000_NS6detail17trampoline_kernelINS0_14default_configENS1_25partition_config_selectorILNS1_17partition_subalgoE2EtNS0_10empty_typeEbEEZZNS1_14partition_implILS5_2ELb0ES3_jN6thrust23THRUST_200600_302600_NS6detail15normal_iteratorINSA_7pointerItNSA_11hip_rocprim3tagENSA_11use_defaultESG_EEEEPS6_NSA_18transform_iteratorI7is_evenItENSC_INSA_10device_ptrItEEEESG_SG_EENS0_5tupleIJPtSJ_EEENSR_IJSJ_SJ_EEES6_PlJS6_EEE10hipError_tPvRmT3_T4_T5_T6_T7_T9_mT8_P12ihipStream_tbDpT10_ENKUlT_T0_E_clISt17integral_constantIbLb1EES1E_IbLb0EEEEDaS1A_S1B_EUlS1A_E_NS1_11comp_targetILNS1_3genE0ELNS1_11target_archE4294967295ELNS1_3gpuE0ELNS1_3repE0EEENS1_30default_config_static_selectorELNS0_4arch9wavefront6targetE1EEEvT1_.kd
    .uniform_work_group_size: 1
    .uses_dynamic_stack: false
    .vgpr_count:     0
    .vgpr_spill_count: 0
    .wavefront_size: 64
  - .agpr_count:     0
    .args:
      - .offset:         0
        .size:           128
        .value_kind:     by_value
    .group_segment_fixed_size: 30728
    .kernarg_segment_align: 8
    .kernarg_segment_size: 128
    .language:       OpenCL C
    .language_version:
      - 2
      - 0
    .max_flat_workgroup_size: 512
    .name:           _ZN7rocprim17ROCPRIM_400000_NS6detail17trampoline_kernelINS0_14default_configENS1_25partition_config_selectorILNS1_17partition_subalgoE2EtNS0_10empty_typeEbEEZZNS1_14partition_implILS5_2ELb0ES3_jN6thrust23THRUST_200600_302600_NS6detail15normal_iteratorINSA_7pointerItNSA_11hip_rocprim3tagENSA_11use_defaultESG_EEEEPS6_NSA_18transform_iteratorI7is_evenItENSC_INSA_10device_ptrItEEEESG_SG_EENS0_5tupleIJPtSJ_EEENSR_IJSJ_SJ_EEES6_PlJS6_EEE10hipError_tPvRmT3_T4_T5_T6_T7_T9_mT8_P12ihipStream_tbDpT10_ENKUlT_T0_E_clISt17integral_constantIbLb1EES1E_IbLb0EEEEDaS1A_S1B_EUlS1A_E_NS1_11comp_targetILNS1_3genE5ELNS1_11target_archE942ELNS1_3gpuE9ELNS1_3repE0EEENS1_30default_config_static_selectorELNS0_4arch9wavefront6targetE1EEEvT1_
    .private_segment_fixed_size: 0
    .sgpr_count:     52
    .sgpr_spill_count: 0
    .symbol:         _ZN7rocprim17ROCPRIM_400000_NS6detail17trampoline_kernelINS0_14default_configENS1_25partition_config_selectorILNS1_17partition_subalgoE2EtNS0_10empty_typeEbEEZZNS1_14partition_implILS5_2ELb0ES3_jN6thrust23THRUST_200600_302600_NS6detail15normal_iteratorINSA_7pointerItNSA_11hip_rocprim3tagENSA_11use_defaultESG_EEEEPS6_NSA_18transform_iteratorI7is_evenItENSC_INSA_10device_ptrItEEEESG_SG_EENS0_5tupleIJPtSJ_EEENSR_IJSJ_SJ_EEES6_PlJS6_EEE10hipError_tPvRmT3_T4_T5_T6_T7_T9_mT8_P12ihipStream_tbDpT10_ENKUlT_T0_E_clISt17integral_constantIbLb1EES1E_IbLb0EEEEDaS1A_S1B_EUlS1A_E_NS1_11comp_targetILNS1_3genE5ELNS1_11target_archE942ELNS1_3gpuE9ELNS1_3repE0EEENS1_30default_config_static_selectorELNS0_4arch9wavefront6targetE1EEEvT1_.kd
    .uniform_work_group_size: 1
    .uses_dynamic_stack: false
    .vgpr_count:     100
    .vgpr_spill_count: 0
    .wavefront_size: 64
  - .agpr_count:     0
    .args:
      - .offset:         0
        .size:           128
        .value_kind:     by_value
    .group_segment_fixed_size: 0
    .kernarg_segment_align: 8
    .kernarg_segment_size: 128
    .language:       OpenCL C
    .language_version:
      - 2
      - 0
    .max_flat_workgroup_size: 256
    .name:           _ZN7rocprim17ROCPRIM_400000_NS6detail17trampoline_kernelINS0_14default_configENS1_25partition_config_selectorILNS1_17partition_subalgoE2EtNS0_10empty_typeEbEEZZNS1_14partition_implILS5_2ELb0ES3_jN6thrust23THRUST_200600_302600_NS6detail15normal_iteratorINSA_7pointerItNSA_11hip_rocprim3tagENSA_11use_defaultESG_EEEEPS6_NSA_18transform_iteratorI7is_evenItENSC_INSA_10device_ptrItEEEESG_SG_EENS0_5tupleIJPtSJ_EEENSR_IJSJ_SJ_EEES6_PlJS6_EEE10hipError_tPvRmT3_T4_T5_T6_T7_T9_mT8_P12ihipStream_tbDpT10_ENKUlT_T0_E_clISt17integral_constantIbLb1EES1E_IbLb0EEEEDaS1A_S1B_EUlS1A_E_NS1_11comp_targetILNS1_3genE4ELNS1_11target_archE910ELNS1_3gpuE8ELNS1_3repE0EEENS1_30default_config_static_selectorELNS0_4arch9wavefront6targetE1EEEvT1_
    .private_segment_fixed_size: 0
    .sgpr_count:     6
    .sgpr_spill_count: 0
    .symbol:         _ZN7rocprim17ROCPRIM_400000_NS6detail17trampoline_kernelINS0_14default_configENS1_25partition_config_selectorILNS1_17partition_subalgoE2EtNS0_10empty_typeEbEEZZNS1_14partition_implILS5_2ELb0ES3_jN6thrust23THRUST_200600_302600_NS6detail15normal_iteratorINSA_7pointerItNSA_11hip_rocprim3tagENSA_11use_defaultESG_EEEEPS6_NSA_18transform_iteratorI7is_evenItENSC_INSA_10device_ptrItEEEESG_SG_EENS0_5tupleIJPtSJ_EEENSR_IJSJ_SJ_EEES6_PlJS6_EEE10hipError_tPvRmT3_T4_T5_T6_T7_T9_mT8_P12ihipStream_tbDpT10_ENKUlT_T0_E_clISt17integral_constantIbLb1EES1E_IbLb0EEEEDaS1A_S1B_EUlS1A_E_NS1_11comp_targetILNS1_3genE4ELNS1_11target_archE910ELNS1_3gpuE8ELNS1_3repE0EEENS1_30default_config_static_selectorELNS0_4arch9wavefront6targetE1EEEvT1_.kd
    .uniform_work_group_size: 1
    .uses_dynamic_stack: false
    .vgpr_count:     0
    .vgpr_spill_count: 0
    .wavefront_size: 64
  - .agpr_count:     0
    .args:
      - .offset:         0
        .size:           128
        .value_kind:     by_value
    .group_segment_fixed_size: 0
    .kernarg_segment_align: 8
    .kernarg_segment_size: 128
    .language:       OpenCL C
    .language_version:
      - 2
      - 0
    .max_flat_workgroup_size: 256
    .name:           _ZN7rocprim17ROCPRIM_400000_NS6detail17trampoline_kernelINS0_14default_configENS1_25partition_config_selectorILNS1_17partition_subalgoE2EtNS0_10empty_typeEbEEZZNS1_14partition_implILS5_2ELb0ES3_jN6thrust23THRUST_200600_302600_NS6detail15normal_iteratorINSA_7pointerItNSA_11hip_rocprim3tagENSA_11use_defaultESG_EEEEPS6_NSA_18transform_iteratorI7is_evenItENSC_INSA_10device_ptrItEEEESG_SG_EENS0_5tupleIJPtSJ_EEENSR_IJSJ_SJ_EEES6_PlJS6_EEE10hipError_tPvRmT3_T4_T5_T6_T7_T9_mT8_P12ihipStream_tbDpT10_ENKUlT_T0_E_clISt17integral_constantIbLb1EES1E_IbLb0EEEEDaS1A_S1B_EUlS1A_E_NS1_11comp_targetILNS1_3genE3ELNS1_11target_archE908ELNS1_3gpuE7ELNS1_3repE0EEENS1_30default_config_static_selectorELNS0_4arch9wavefront6targetE1EEEvT1_
    .private_segment_fixed_size: 0
    .sgpr_count:     6
    .sgpr_spill_count: 0
    .symbol:         _ZN7rocprim17ROCPRIM_400000_NS6detail17trampoline_kernelINS0_14default_configENS1_25partition_config_selectorILNS1_17partition_subalgoE2EtNS0_10empty_typeEbEEZZNS1_14partition_implILS5_2ELb0ES3_jN6thrust23THRUST_200600_302600_NS6detail15normal_iteratorINSA_7pointerItNSA_11hip_rocprim3tagENSA_11use_defaultESG_EEEEPS6_NSA_18transform_iteratorI7is_evenItENSC_INSA_10device_ptrItEEEESG_SG_EENS0_5tupleIJPtSJ_EEENSR_IJSJ_SJ_EEES6_PlJS6_EEE10hipError_tPvRmT3_T4_T5_T6_T7_T9_mT8_P12ihipStream_tbDpT10_ENKUlT_T0_E_clISt17integral_constantIbLb1EES1E_IbLb0EEEEDaS1A_S1B_EUlS1A_E_NS1_11comp_targetILNS1_3genE3ELNS1_11target_archE908ELNS1_3gpuE7ELNS1_3repE0EEENS1_30default_config_static_selectorELNS0_4arch9wavefront6targetE1EEEvT1_.kd
    .uniform_work_group_size: 1
    .uses_dynamic_stack: false
    .vgpr_count:     0
    .vgpr_spill_count: 0
    .wavefront_size: 64
  - .agpr_count:     0
    .args:
      - .offset:         0
        .size:           128
        .value_kind:     by_value
    .group_segment_fixed_size: 0
    .kernarg_segment_align: 8
    .kernarg_segment_size: 128
    .language:       OpenCL C
    .language_version:
      - 2
      - 0
    .max_flat_workgroup_size: 256
    .name:           _ZN7rocprim17ROCPRIM_400000_NS6detail17trampoline_kernelINS0_14default_configENS1_25partition_config_selectorILNS1_17partition_subalgoE2EtNS0_10empty_typeEbEEZZNS1_14partition_implILS5_2ELb0ES3_jN6thrust23THRUST_200600_302600_NS6detail15normal_iteratorINSA_7pointerItNSA_11hip_rocprim3tagENSA_11use_defaultESG_EEEEPS6_NSA_18transform_iteratorI7is_evenItENSC_INSA_10device_ptrItEEEESG_SG_EENS0_5tupleIJPtSJ_EEENSR_IJSJ_SJ_EEES6_PlJS6_EEE10hipError_tPvRmT3_T4_T5_T6_T7_T9_mT8_P12ihipStream_tbDpT10_ENKUlT_T0_E_clISt17integral_constantIbLb1EES1E_IbLb0EEEEDaS1A_S1B_EUlS1A_E_NS1_11comp_targetILNS1_3genE2ELNS1_11target_archE906ELNS1_3gpuE6ELNS1_3repE0EEENS1_30default_config_static_selectorELNS0_4arch9wavefront6targetE1EEEvT1_
    .private_segment_fixed_size: 0
    .sgpr_count:     6
    .sgpr_spill_count: 0
    .symbol:         _ZN7rocprim17ROCPRIM_400000_NS6detail17trampoline_kernelINS0_14default_configENS1_25partition_config_selectorILNS1_17partition_subalgoE2EtNS0_10empty_typeEbEEZZNS1_14partition_implILS5_2ELb0ES3_jN6thrust23THRUST_200600_302600_NS6detail15normal_iteratorINSA_7pointerItNSA_11hip_rocprim3tagENSA_11use_defaultESG_EEEEPS6_NSA_18transform_iteratorI7is_evenItENSC_INSA_10device_ptrItEEEESG_SG_EENS0_5tupleIJPtSJ_EEENSR_IJSJ_SJ_EEES6_PlJS6_EEE10hipError_tPvRmT3_T4_T5_T6_T7_T9_mT8_P12ihipStream_tbDpT10_ENKUlT_T0_E_clISt17integral_constantIbLb1EES1E_IbLb0EEEEDaS1A_S1B_EUlS1A_E_NS1_11comp_targetILNS1_3genE2ELNS1_11target_archE906ELNS1_3gpuE6ELNS1_3repE0EEENS1_30default_config_static_selectorELNS0_4arch9wavefront6targetE1EEEvT1_.kd
    .uniform_work_group_size: 1
    .uses_dynamic_stack: false
    .vgpr_count:     0
    .vgpr_spill_count: 0
    .wavefront_size: 64
  - .agpr_count:     0
    .args:
      - .offset:         0
        .size:           128
        .value_kind:     by_value
    .group_segment_fixed_size: 0
    .kernarg_segment_align: 8
    .kernarg_segment_size: 128
    .language:       OpenCL C
    .language_version:
      - 2
      - 0
    .max_flat_workgroup_size: 256
    .name:           _ZN7rocprim17ROCPRIM_400000_NS6detail17trampoline_kernelINS0_14default_configENS1_25partition_config_selectorILNS1_17partition_subalgoE2EtNS0_10empty_typeEbEEZZNS1_14partition_implILS5_2ELb0ES3_jN6thrust23THRUST_200600_302600_NS6detail15normal_iteratorINSA_7pointerItNSA_11hip_rocprim3tagENSA_11use_defaultESG_EEEEPS6_NSA_18transform_iteratorI7is_evenItENSC_INSA_10device_ptrItEEEESG_SG_EENS0_5tupleIJPtSJ_EEENSR_IJSJ_SJ_EEES6_PlJS6_EEE10hipError_tPvRmT3_T4_T5_T6_T7_T9_mT8_P12ihipStream_tbDpT10_ENKUlT_T0_E_clISt17integral_constantIbLb1EES1E_IbLb0EEEEDaS1A_S1B_EUlS1A_E_NS1_11comp_targetILNS1_3genE10ELNS1_11target_archE1200ELNS1_3gpuE4ELNS1_3repE0EEENS1_30default_config_static_selectorELNS0_4arch9wavefront6targetE1EEEvT1_
    .private_segment_fixed_size: 0
    .sgpr_count:     6
    .sgpr_spill_count: 0
    .symbol:         _ZN7rocprim17ROCPRIM_400000_NS6detail17trampoline_kernelINS0_14default_configENS1_25partition_config_selectorILNS1_17partition_subalgoE2EtNS0_10empty_typeEbEEZZNS1_14partition_implILS5_2ELb0ES3_jN6thrust23THRUST_200600_302600_NS6detail15normal_iteratorINSA_7pointerItNSA_11hip_rocprim3tagENSA_11use_defaultESG_EEEEPS6_NSA_18transform_iteratorI7is_evenItENSC_INSA_10device_ptrItEEEESG_SG_EENS0_5tupleIJPtSJ_EEENSR_IJSJ_SJ_EEES6_PlJS6_EEE10hipError_tPvRmT3_T4_T5_T6_T7_T9_mT8_P12ihipStream_tbDpT10_ENKUlT_T0_E_clISt17integral_constantIbLb1EES1E_IbLb0EEEEDaS1A_S1B_EUlS1A_E_NS1_11comp_targetILNS1_3genE10ELNS1_11target_archE1200ELNS1_3gpuE4ELNS1_3repE0EEENS1_30default_config_static_selectorELNS0_4arch9wavefront6targetE1EEEvT1_.kd
    .uniform_work_group_size: 1
    .uses_dynamic_stack: false
    .vgpr_count:     0
    .vgpr_spill_count: 0
    .wavefront_size: 64
  - .agpr_count:     0
    .args:
      - .offset:         0
        .size:           128
        .value_kind:     by_value
    .group_segment_fixed_size: 0
    .kernarg_segment_align: 8
    .kernarg_segment_size: 128
    .language:       OpenCL C
    .language_version:
      - 2
      - 0
    .max_flat_workgroup_size: 128
    .name:           _ZN7rocprim17ROCPRIM_400000_NS6detail17trampoline_kernelINS0_14default_configENS1_25partition_config_selectorILNS1_17partition_subalgoE2EtNS0_10empty_typeEbEEZZNS1_14partition_implILS5_2ELb0ES3_jN6thrust23THRUST_200600_302600_NS6detail15normal_iteratorINSA_7pointerItNSA_11hip_rocprim3tagENSA_11use_defaultESG_EEEEPS6_NSA_18transform_iteratorI7is_evenItENSC_INSA_10device_ptrItEEEESG_SG_EENS0_5tupleIJPtSJ_EEENSR_IJSJ_SJ_EEES6_PlJS6_EEE10hipError_tPvRmT3_T4_T5_T6_T7_T9_mT8_P12ihipStream_tbDpT10_ENKUlT_T0_E_clISt17integral_constantIbLb1EES1E_IbLb0EEEEDaS1A_S1B_EUlS1A_E_NS1_11comp_targetILNS1_3genE9ELNS1_11target_archE1100ELNS1_3gpuE3ELNS1_3repE0EEENS1_30default_config_static_selectorELNS0_4arch9wavefront6targetE1EEEvT1_
    .private_segment_fixed_size: 0
    .sgpr_count:     6
    .sgpr_spill_count: 0
    .symbol:         _ZN7rocprim17ROCPRIM_400000_NS6detail17trampoline_kernelINS0_14default_configENS1_25partition_config_selectorILNS1_17partition_subalgoE2EtNS0_10empty_typeEbEEZZNS1_14partition_implILS5_2ELb0ES3_jN6thrust23THRUST_200600_302600_NS6detail15normal_iteratorINSA_7pointerItNSA_11hip_rocprim3tagENSA_11use_defaultESG_EEEEPS6_NSA_18transform_iteratorI7is_evenItENSC_INSA_10device_ptrItEEEESG_SG_EENS0_5tupleIJPtSJ_EEENSR_IJSJ_SJ_EEES6_PlJS6_EEE10hipError_tPvRmT3_T4_T5_T6_T7_T9_mT8_P12ihipStream_tbDpT10_ENKUlT_T0_E_clISt17integral_constantIbLb1EES1E_IbLb0EEEEDaS1A_S1B_EUlS1A_E_NS1_11comp_targetILNS1_3genE9ELNS1_11target_archE1100ELNS1_3gpuE3ELNS1_3repE0EEENS1_30default_config_static_selectorELNS0_4arch9wavefront6targetE1EEEvT1_.kd
    .uniform_work_group_size: 1
    .uses_dynamic_stack: false
    .vgpr_count:     0
    .vgpr_spill_count: 0
    .wavefront_size: 64
  - .agpr_count:     0
    .args:
      - .offset:         0
        .size:           128
        .value_kind:     by_value
    .group_segment_fixed_size: 0
    .kernarg_segment_align: 8
    .kernarg_segment_size: 128
    .language:       OpenCL C
    .language_version:
      - 2
      - 0
    .max_flat_workgroup_size: 512
    .name:           _ZN7rocprim17ROCPRIM_400000_NS6detail17trampoline_kernelINS0_14default_configENS1_25partition_config_selectorILNS1_17partition_subalgoE2EtNS0_10empty_typeEbEEZZNS1_14partition_implILS5_2ELb0ES3_jN6thrust23THRUST_200600_302600_NS6detail15normal_iteratorINSA_7pointerItNSA_11hip_rocprim3tagENSA_11use_defaultESG_EEEEPS6_NSA_18transform_iteratorI7is_evenItENSC_INSA_10device_ptrItEEEESG_SG_EENS0_5tupleIJPtSJ_EEENSR_IJSJ_SJ_EEES6_PlJS6_EEE10hipError_tPvRmT3_T4_T5_T6_T7_T9_mT8_P12ihipStream_tbDpT10_ENKUlT_T0_E_clISt17integral_constantIbLb1EES1E_IbLb0EEEEDaS1A_S1B_EUlS1A_E_NS1_11comp_targetILNS1_3genE8ELNS1_11target_archE1030ELNS1_3gpuE2ELNS1_3repE0EEENS1_30default_config_static_selectorELNS0_4arch9wavefront6targetE1EEEvT1_
    .private_segment_fixed_size: 0
    .sgpr_count:     6
    .sgpr_spill_count: 0
    .symbol:         _ZN7rocprim17ROCPRIM_400000_NS6detail17trampoline_kernelINS0_14default_configENS1_25partition_config_selectorILNS1_17partition_subalgoE2EtNS0_10empty_typeEbEEZZNS1_14partition_implILS5_2ELb0ES3_jN6thrust23THRUST_200600_302600_NS6detail15normal_iteratorINSA_7pointerItNSA_11hip_rocprim3tagENSA_11use_defaultESG_EEEEPS6_NSA_18transform_iteratorI7is_evenItENSC_INSA_10device_ptrItEEEESG_SG_EENS0_5tupleIJPtSJ_EEENSR_IJSJ_SJ_EEES6_PlJS6_EEE10hipError_tPvRmT3_T4_T5_T6_T7_T9_mT8_P12ihipStream_tbDpT10_ENKUlT_T0_E_clISt17integral_constantIbLb1EES1E_IbLb0EEEEDaS1A_S1B_EUlS1A_E_NS1_11comp_targetILNS1_3genE8ELNS1_11target_archE1030ELNS1_3gpuE2ELNS1_3repE0EEENS1_30default_config_static_selectorELNS0_4arch9wavefront6targetE1EEEvT1_.kd
    .uniform_work_group_size: 1
    .uses_dynamic_stack: false
    .vgpr_count:     0
    .vgpr_spill_count: 0
    .wavefront_size: 64
  - .agpr_count:     0
    .args:
      - .offset:         0
        .size:           144
        .value_kind:     by_value
    .group_segment_fixed_size: 0
    .kernarg_segment_align: 8
    .kernarg_segment_size: 144
    .language:       OpenCL C
    .language_version:
      - 2
      - 0
    .max_flat_workgroup_size: 256
    .name:           _ZN7rocprim17ROCPRIM_400000_NS6detail17trampoline_kernelINS0_14default_configENS1_25partition_config_selectorILNS1_17partition_subalgoE2EtNS0_10empty_typeEbEEZZNS1_14partition_implILS5_2ELb0ES3_jN6thrust23THRUST_200600_302600_NS6detail15normal_iteratorINSA_7pointerItNSA_11hip_rocprim3tagENSA_11use_defaultESG_EEEEPS6_NSA_18transform_iteratorI7is_evenItENSC_INSA_10device_ptrItEEEESG_SG_EENS0_5tupleIJPtSJ_EEENSR_IJSJ_SJ_EEES6_PlJS6_EEE10hipError_tPvRmT3_T4_T5_T6_T7_T9_mT8_P12ihipStream_tbDpT10_ENKUlT_T0_E_clISt17integral_constantIbLb0EES1E_IbLb1EEEEDaS1A_S1B_EUlS1A_E_NS1_11comp_targetILNS1_3genE0ELNS1_11target_archE4294967295ELNS1_3gpuE0ELNS1_3repE0EEENS1_30default_config_static_selectorELNS0_4arch9wavefront6targetE1EEEvT1_
    .private_segment_fixed_size: 0
    .sgpr_count:     6
    .sgpr_spill_count: 0
    .symbol:         _ZN7rocprim17ROCPRIM_400000_NS6detail17trampoline_kernelINS0_14default_configENS1_25partition_config_selectorILNS1_17partition_subalgoE2EtNS0_10empty_typeEbEEZZNS1_14partition_implILS5_2ELb0ES3_jN6thrust23THRUST_200600_302600_NS6detail15normal_iteratorINSA_7pointerItNSA_11hip_rocprim3tagENSA_11use_defaultESG_EEEEPS6_NSA_18transform_iteratorI7is_evenItENSC_INSA_10device_ptrItEEEESG_SG_EENS0_5tupleIJPtSJ_EEENSR_IJSJ_SJ_EEES6_PlJS6_EEE10hipError_tPvRmT3_T4_T5_T6_T7_T9_mT8_P12ihipStream_tbDpT10_ENKUlT_T0_E_clISt17integral_constantIbLb0EES1E_IbLb1EEEEDaS1A_S1B_EUlS1A_E_NS1_11comp_targetILNS1_3genE0ELNS1_11target_archE4294967295ELNS1_3gpuE0ELNS1_3repE0EEENS1_30default_config_static_selectorELNS0_4arch9wavefront6targetE1EEEvT1_.kd
    .uniform_work_group_size: 1
    .uses_dynamic_stack: false
    .vgpr_count:     0
    .vgpr_spill_count: 0
    .wavefront_size: 64
  - .agpr_count:     0
    .args:
      - .offset:         0
        .size:           144
        .value_kind:     by_value
    .group_segment_fixed_size: 30728
    .kernarg_segment_align: 8
    .kernarg_segment_size: 144
    .language:       OpenCL C
    .language_version:
      - 2
      - 0
    .max_flat_workgroup_size: 512
    .name:           _ZN7rocprim17ROCPRIM_400000_NS6detail17trampoline_kernelINS0_14default_configENS1_25partition_config_selectorILNS1_17partition_subalgoE2EtNS0_10empty_typeEbEEZZNS1_14partition_implILS5_2ELb0ES3_jN6thrust23THRUST_200600_302600_NS6detail15normal_iteratorINSA_7pointerItNSA_11hip_rocprim3tagENSA_11use_defaultESG_EEEEPS6_NSA_18transform_iteratorI7is_evenItENSC_INSA_10device_ptrItEEEESG_SG_EENS0_5tupleIJPtSJ_EEENSR_IJSJ_SJ_EEES6_PlJS6_EEE10hipError_tPvRmT3_T4_T5_T6_T7_T9_mT8_P12ihipStream_tbDpT10_ENKUlT_T0_E_clISt17integral_constantIbLb0EES1E_IbLb1EEEEDaS1A_S1B_EUlS1A_E_NS1_11comp_targetILNS1_3genE5ELNS1_11target_archE942ELNS1_3gpuE9ELNS1_3repE0EEENS1_30default_config_static_selectorELNS0_4arch9wavefront6targetE1EEEvT1_
    .private_segment_fixed_size: 0
    .sgpr_count:     52
    .sgpr_spill_count: 0
    .symbol:         _ZN7rocprim17ROCPRIM_400000_NS6detail17trampoline_kernelINS0_14default_configENS1_25partition_config_selectorILNS1_17partition_subalgoE2EtNS0_10empty_typeEbEEZZNS1_14partition_implILS5_2ELb0ES3_jN6thrust23THRUST_200600_302600_NS6detail15normal_iteratorINSA_7pointerItNSA_11hip_rocprim3tagENSA_11use_defaultESG_EEEEPS6_NSA_18transform_iteratorI7is_evenItENSC_INSA_10device_ptrItEEEESG_SG_EENS0_5tupleIJPtSJ_EEENSR_IJSJ_SJ_EEES6_PlJS6_EEE10hipError_tPvRmT3_T4_T5_T6_T7_T9_mT8_P12ihipStream_tbDpT10_ENKUlT_T0_E_clISt17integral_constantIbLb0EES1E_IbLb1EEEEDaS1A_S1B_EUlS1A_E_NS1_11comp_targetILNS1_3genE5ELNS1_11target_archE942ELNS1_3gpuE9ELNS1_3repE0EEENS1_30default_config_static_selectorELNS0_4arch9wavefront6targetE1EEEvT1_.kd
    .uniform_work_group_size: 1
    .uses_dynamic_stack: false
    .vgpr_count:     102
    .vgpr_spill_count: 0
    .wavefront_size: 64
  - .agpr_count:     0
    .args:
      - .offset:         0
        .size:           144
        .value_kind:     by_value
    .group_segment_fixed_size: 0
    .kernarg_segment_align: 8
    .kernarg_segment_size: 144
    .language:       OpenCL C
    .language_version:
      - 2
      - 0
    .max_flat_workgroup_size: 256
    .name:           _ZN7rocprim17ROCPRIM_400000_NS6detail17trampoline_kernelINS0_14default_configENS1_25partition_config_selectorILNS1_17partition_subalgoE2EtNS0_10empty_typeEbEEZZNS1_14partition_implILS5_2ELb0ES3_jN6thrust23THRUST_200600_302600_NS6detail15normal_iteratorINSA_7pointerItNSA_11hip_rocprim3tagENSA_11use_defaultESG_EEEEPS6_NSA_18transform_iteratorI7is_evenItENSC_INSA_10device_ptrItEEEESG_SG_EENS0_5tupleIJPtSJ_EEENSR_IJSJ_SJ_EEES6_PlJS6_EEE10hipError_tPvRmT3_T4_T5_T6_T7_T9_mT8_P12ihipStream_tbDpT10_ENKUlT_T0_E_clISt17integral_constantIbLb0EES1E_IbLb1EEEEDaS1A_S1B_EUlS1A_E_NS1_11comp_targetILNS1_3genE4ELNS1_11target_archE910ELNS1_3gpuE8ELNS1_3repE0EEENS1_30default_config_static_selectorELNS0_4arch9wavefront6targetE1EEEvT1_
    .private_segment_fixed_size: 0
    .sgpr_count:     6
    .sgpr_spill_count: 0
    .symbol:         _ZN7rocprim17ROCPRIM_400000_NS6detail17trampoline_kernelINS0_14default_configENS1_25partition_config_selectorILNS1_17partition_subalgoE2EtNS0_10empty_typeEbEEZZNS1_14partition_implILS5_2ELb0ES3_jN6thrust23THRUST_200600_302600_NS6detail15normal_iteratorINSA_7pointerItNSA_11hip_rocprim3tagENSA_11use_defaultESG_EEEEPS6_NSA_18transform_iteratorI7is_evenItENSC_INSA_10device_ptrItEEEESG_SG_EENS0_5tupleIJPtSJ_EEENSR_IJSJ_SJ_EEES6_PlJS6_EEE10hipError_tPvRmT3_T4_T5_T6_T7_T9_mT8_P12ihipStream_tbDpT10_ENKUlT_T0_E_clISt17integral_constantIbLb0EES1E_IbLb1EEEEDaS1A_S1B_EUlS1A_E_NS1_11comp_targetILNS1_3genE4ELNS1_11target_archE910ELNS1_3gpuE8ELNS1_3repE0EEENS1_30default_config_static_selectorELNS0_4arch9wavefront6targetE1EEEvT1_.kd
    .uniform_work_group_size: 1
    .uses_dynamic_stack: false
    .vgpr_count:     0
    .vgpr_spill_count: 0
    .wavefront_size: 64
  - .agpr_count:     0
    .args:
      - .offset:         0
        .size:           144
        .value_kind:     by_value
    .group_segment_fixed_size: 0
    .kernarg_segment_align: 8
    .kernarg_segment_size: 144
    .language:       OpenCL C
    .language_version:
      - 2
      - 0
    .max_flat_workgroup_size: 256
    .name:           _ZN7rocprim17ROCPRIM_400000_NS6detail17trampoline_kernelINS0_14default_configENS1_25partition_config_selectorILNS1_17partition_subalgoE2EtNS0_10empty_typeEbEEZZNS1_14partition_implILS5_2ELb0ES3_jN6thrust23THRUST_200600_302600_NS6detail15normal_iteratorINSA_7pointerItNSA_11hip_rocprim3tagENSA_11use_defaultESG_EEEEPS6_NSA_18transform_iteratorI7is_evenItENSC_INSA_10device_ptrItEEEESG_SG_EENS0_5tupleIJPtSJ_EEENSR_IJSJ_SJ_EEES6_PlJS6_EEE10hipError_tPvRmT3_T4_T5_T6_T7_T9_mT8_P12ihipStream_tbDpT10_ENKUlT_T0_E_clISt17integral_constantIbLb0EES1E_IbLb1EEEEDaS1A_S1B_EUlS1A_E_NS1_11comp_targetILNS1_3genE3ELNS1_11target_archE908ELNS1_3gpuE7ELNS1_3repE0EEENS1_30default_config_static_selectorELNS0_4arch9wavefront6targetE1EEEvT1_
    .private_segment_fixed_size: 0
    .sgpr_count:     6
    .sgpr_spill_count: 0
    .symbol:         _ZN7rocprim17ROCPRIM_400000_NS6detail17trampoline_kernelINS0_14default_configENS1_25partition_config_selectorILNS1_17partition_subalgoE2EtNS0_10empty_typeEbEEZZNS1_14partition_implILS5_2ELb0ES3_jN6thrust23THRUST_200600_302600_NS6detail15normal_iteratorINSA_7pointerItNSA_11hip_rocprim3tagENSA_11use_defaultESG_EEEEPS6_NSA_18transform_iteratorI7is_evenItENSC_INSA_10device_ptrItEEEESG_SG_EENS0_5tupleIJPtSJ_EEENSR_IJSJ_SJ_EEES6_PlJS6_EEE10hipError_tPvRmT3_T4_T5_T6_T7_T9_mT8_P12ihipStream_tbDpT10_ENKUlT_T0_E_clISt17integral_constantIbLb0EES1E_IbLb1EEEEDaS1A_S1B_EUlS1A_E_NS1_11comp_targetILNS1_3genE3ELNS1_11target_archE908ELNS1_3gpuE7ELNS1_3repE0EEENS1_30default_config_static_selectorELNS0_4arch9wavefront6targetE1EEEvT1_.kd
    .uniform_work_group_size: 1
    .uses_dynamic_stack: false
    .vgpr_count:     0
    .vgpr_spill_count: 0
    .wavefront_size: 64
  - .agpr_count:     0
    .args:
      - .offset:         0
        .size:           144
        .value_kind:     by_value
    .group_segment_fixed_size: 0
    .kernarg_segment_align: 8
    .kernarg_segment_size: 144
    .language:       OpenCL C
    .language_version:
      - 2
      - 0
    .max_flat_workgroup_size: 256
    .name:           _ZN7rocprim17ROCPRIM_400000_NS6detail17trampoline_kernelINS0_14default_configENS1_25partition_config_selectorILNS1_17partition_subalgoE2EtNS0_10empty_typeEbEEZZNS1_14partition_implILS5_2ELb0ES3_jN6thrust23THRUST_200600_302600_NS6detail15normal_iteratorINSA_7pointerItNSA_11hip_rocprim3tagENSA_11use_defaultESG_EEEEPS6_NSA_18transform_iteratorI7is_evenItENSC_INSA_10device_ptrItEEEESG_SG_EENS0_5tupleIJPtSJ_EEENSR_IJSJ_SJ_EEES6_PlJS6_EEE10hipError_tPvRmT3_T4_T5_T6_T7_T9_mT8_P12ihipStream_tbDpT10_ENKUlT_T0_E_clISt17integral_constantIbLb0EES1E_IbLb1EEEEDaS1A_S1B_EUlS1A_E_NS1_11comp_targetILNS1_3genE2ELNS1_11target_archE906ELNS1_3gpuE6ELNS1_3repE0EEENS1_30default_config_static_selectorELNS0_4arch9wavefront6targetE1EEEvT1_
    .private_segment_fixed_size: 0
    .sgpr_count:     6
    .sgpr_spill_count: 0
    .symbol:         _ZN7rocprim17ROCPRIM_400000_NS6detail17trampoline_kernelINS0_14default_configENS1_25partition_config_selectorILNS1_17partition_subalgoE2EtNS0_10empty_typeEbEEZZNS1_14partition_implILS5_2ELb0ES3_jN6thrust23THRUST_200600_302600_NS6detail15normal_iteratorINSA_7pointerItNSA_11hip_rocprim3tagENSA_11use_defaultESG_EEEEPS6_NSA_18transform_iteratorI7is_evenItENSC_INSA_10device_ptrItEEEESG_SG_EENS0_5tupleIJPtSJ_EEENSR_IJSJ_SJ_EEES6_PlJS6_EEE10hipError_tPvRmT3_T4_T5_T6_T7_T9_mT8_P12ihipStream_tbDpT10_ENKUlT_T0_E_clISt17integral_constantIbLb0EES1E_IbLb1EEEEDaS1A_S1B_EUlS1A_E_NS1_11comp_targetILNS1_3genE2ELNS1_11target_archE906ELNS1_3gpuE6ELNS1_3repE0EEENS1_30default_config_static_selectorELNS0_4arch9wavefront6targetE1EEEvT1_.kd
    .uniform_work_group_size: 1
    .uses_dynamic_stack: false
    .vgpr_count:     0
    .vgpr_spill_count: 0
    .wavefront_size: 64
  - .agpr_count:     0
    .args:
      - .offset:         0
        .size:           144
        .value_kind:     by_value
    .group_segment_fixed_size: 0
    .kernarg_segment_align: 8
    .kernarg_segment_size: 144
    .language:       OpenCL C
    .language_version:
      - 2
      - 0
    .max_flat_workgroup_size: 256
    .name:           _ZN7rocprim17ROCPRIM_400000_NS6detail17trampoline_kernelINS0_14default_configENS1_25partition_config_selectorILNS1_17partition_subalgoE2EtNS0_10empty_typeEbEEZZNS1_14partition_implILS5_2ELb0ES3_jN6thrust23THRUST_200600_302600_NS6detail15normal_iteratorINSA_7pointerItNSA_11hip_rocprim3tagENSA_11use_defaultESG_EEEEPS6_NSA_18transform_iteratorI7is_evenItENSC_INSA_10device_ptrItEEEESG_SG_EENS0_5tupleIJPtSJ_EEENSR_IJSJ_SJ_EEES6_PlJS6_EEE10hipError_tPvRmT3_T4_T5_T6_T7_T9_mT8_P12ihipStream_tbDpT10_ENKUlT_T0_E_clISt17integral_constantIbLb0EES1E_IbLb1EEEEDaS1A_S1B_EUlS1A_E_NS1_11comp_targetILNS1_3genE10ELNS1_11target_archE1200ELNS1_3gpuE4ELNS1_3repE0EEENS1_30default_config_static_selectorELNS0_4arch9wavefront6targetE1EEEvT1_
    .private_segment_fixed_size: 0
    .sgpr_count:     6
    .sgpr_spill_count: 0
    .symbol:         _ZN7rocprim17ROCPRIM_400000_NS6detail17trampoline_kernelINS0_14default_configENS1_25partition_config_selectorILNS1_17partition_subalgoE2EtNS0_10empty_typeEbEEZZNS1_14partition_implILS5_2ELb0ES3_jN6thrust23THRUST_200600_302600_NS6detail15normal_iteratorINSA_7pointerItNSA_11hip_rocprim3tagENSA_11use_defaultESG_EEEEPS6_NSA_18transform_iteratorI7is_evenItENSC_INSA_10device_ptrItEEEESG_SG_EENS0_5tupleIJPtSJ_EEENSR_IJSJ_SJ_EEES6_PlJS6_EEE10hipError_tPvRmT3_T4_T5_T6_T7_T9_mT8_P12ihipStream_tbDpT10_ENKUlT_T0_E_clISt17integral_constantIbLb0EES1E_IbLb1EEEEDaS1A_S1B_EUlS1A_E_NS1_11comp_targetILNS1_3genE10ELNS1_11target_archE1200ELNS1_3gpuE4ELNS1_3repE0EEENS1_30default_config_static_selectorELNS0_4arch9wavefront6targetE1EEEvT1_.kd
    .uniform_work_group_size: 1
    .uses_dynamic_stack: false
    .vgpr_count:     0
    .vgpr_spill_count: 0
    .wavefront_size: 64
  - .agpr_count:     0
    .args:
      - .offset:         0
        .size:           144
        .value_kind:     by_value
    .group_segment_fixed_size: 0
    .kernarg_segment_align: 8
    .kernarg_segment_size: 144
    .language:       OpenCL C
    .language_version:
      - 2
      - 0
    .max_flat_workgroup_size: 128
    .name:           _ZN7rocprim17ROCPRIM_400000_NS6detail17trampoline_kernelINS0_14default_configENS1_25partition_config_selectorILNS1_17partition_subalgoE2EtNS0_10empty_typeEbEEZZNS1_14partition_implILS5_2ELb0ES3_jN6thrust23THRUST_200600_302600_NS6detail15normal_iteratorINSA_7pointerItNSA_11hip_rocprim3tagENSA_11use_defaultESG_EEEEPS6_NSA_18transform_iteratorI7is_evenItENSC_INSA_10device_ptrItEEEESG_SG_EENS0_5tupleIJPtSJ_EEENSR_IJSJ_SJ_EEES6_PlJS6_EEE10hipError_tPvRmT3_T4_T5_T6_T7_T9_mT8_P12ihipStream_tbDpT10_ENKUlT_T0_E_clISt17integral_constantIbLb0EES1E_IbLb1EEEEDaS1A_S1B_EUlS1A_E_NS1_11comp_targetILNS1_3genE9ELNS1_11target_archE1100ELNS1_3gpuE3ELNS1_3repE0EEENS1_30default_config_static_selectorELNS0_4arch9wavefront6targetE1EEEvT1_
    .private_segment_fixed_size: 0
    .sgpr_count:     6
    .sgpr_spill_count: 0
    .symbol:         _ZN7rocprim17ROCPRIM_400000_NS6detail17trampoline_kernelINS0_14default_configENS1_25partition_config_selectorILNS1_17partition_subalgoE2EtNS0_10empty_typeEbEEZZNS1_14partition_implILS5_2ELb0ES3_jN6thrust23THRUST_200600_302600_NS6detail15normal_iteratorINSA_7pointerItNSA_11hip_rocprim3tagENSA_11use_defaultESG_EEEEPS6_NSA_18transform_iteratorI7is_evenItENSC_INSA_10device_ptrItEEEESG_SG_EENS0_5tupleIJPtSJ_EEENSR_IJSJ_SJ_EEES6_PlJS6_EEE10hipError_tPvRmT3_T4_T5_T6_T7_T9_mT8_P12ihipStream_tbDpT10_ENKUlT_T0_E_clISt17integral_constantIbLb0EES1E_IbLb1EEEEDaS1A_S1B_EUlS1A_E_NS1_11comp_targetILNS1_3genE9ELNS1_11target_archE1100ELNS1_3gpuE3ELNS1_3repE0EEENS1_30default_config_static_selectorELNS0_4arch9wavefront6targetE1EEEvT1_.kd
    .uniform_work_group_size: 1
    .uses_dynamic_stack: false
    .vgpr_count:     0
    .vgpr_spill_count: 0
    .wavefront_size: 64
  - .agpr_count:     0
    .args:
      - .offset:         0
        .size:           144
        .value_kind:     by_value
    .group_segment_fixed_size: 0
    .kernarg_segment_align: 8
    .kernarg_segment_size: 144
    .language:       OpenCL C
    .language_version:
      - 2
      - 0
    .max_flat_workgroup_size: 512
    .name:           _ZN7rocprim17ROCPRIM_400000_NS6detail17trampoline_kernelINS0_14default_configENS1_25partition_config_selectorILNS1_17partition_subalgoE2EtNS0_10empty_typeEbEEZZNS1_14partition_implILS5_2ELb0ES3_jN6thrust23THRUST_200600_302600_NS6detail15normal_iteratorINSA_7pointerItNSA_11hip_rocprim3tagENSA_11use_defaultESG_EEEEPS6_NSA_18transform_iteratorI7is_evenItENSC_INSA_10device_ptrItEEEESG_SG_EENS0_5tupleIJPtSJ_EEENSR_IJSJ_SJ_EEES6_PlJS6_EEE10hipError_tPvRmT3_T4_T5_T6_T7_T9_mT8_P12ihipStream_tbDpT10_ENKUlT_T0_E_clISt17integral_constantIbLb0EES1E_IbLb1EEEEDaS1A_S1B_EUlS1A_E_NS1_11comp_targetILNS1_3genE8ELNS1_11target_archE1030ELNS1_3gpuE2ELNS1_3repE0EEENS1_30default_config_static_selectorELNS0_4arch9wavefront6targetE1EEEvT1_
    .private_segment_fixed_size: 0
    .sgpr_count:     6
    .sgpr_spill_count: 0
    .symbol:         _ZN7rocprim17ROCPRIM_400000_NS6detail17trampoline_kernelINS0_14default_configENS1_25partition_config_selectorILNS1_17partition_subalgoE2EtNS0_10empty_typeEbEEZZNS1_14partition_implILS5_2ELb0ES3_jN6thrust23THRUST_200600_302600_NS6detail15normal_iteratorINSA_7pointerItNSA_11hip_rocprim3tagENSA_11use_defaultESG_EEEEPS6_NSA_18transform_iteratorI7is_evenItENSC_INSA_10device_ptrItEEEESG_SG_EENS0_5tupleIJPtSJ_EEENSR_IJSJ_SJ_EEES6_PlJS6_EEE10hipError_tPvRmT3_T4_T5_T6_T7_T9_mT8_P12ihipStream_tbDpT10_ENKUlT_T0_E_clISt17integral_constantIbLb0EES1E_IbLb1EEEEDaS1A_S1B_EUlS1A_E_NS1_11comp_targetILNS1_3genE8ELNS1_11target_archE1030ELNS1_3gpuE2ELNS1_3repE0EEENS1_30default_config_static_selectorELNS0_4arch9wavefront6targetE1EEEvT1_.kd
    .uniform_work_group_size: 1
    .uses_dynamic_stack: false
    .vgpr_count:     0
    .vgpr_spill_count: 0
    .wavefront_size: 64
  - .agpr_count:     0
    .args:
      - .offset:         0
        .size:           16
        .value_kind:     by_value
      - .offset:         16
        .size:           8
        .value_kind:     by_value
      - .offset:         24
        .size:           8
        .value_kind:     by_value
    .group_segment_fixed_size: 0
    .kernarg_segment_align: 8
    .kernarg_segment_size: 32
    .language:       OpenCL C
    .language_version:
      - 2
      - 0
    .max_flat_workgroup_size: 256
    .name:           _ZN6thrust23THRUST_200600_302600_NS11hip_rocprim14__parallel_for6kernelILj256ENS1_13__swap_ranges6swap_fINS0_6detail15normal_iteratorINS0_10device_ptrItEEEENS0_16reverse_iteratorISA_EEEElLj1EEEvT0_T1_SF_
    .private_segment_fixed_size: 0
    .sgpr_count:     18
    .sgpr_spill_count: 0
    .symbol:         _ZN6thrust23THRUST_200600_302600_NS11hip_rocprim14__parallel_for6kernelILj256ENS1_13__swap_ranges6swap_fINS0_6detail15normal_iteratorINS0_10device_ptrItEEEENS0_16reverse_iteratorISA_EEEElLj1EEEvT0_T1_SF_.kd
    .uniform_work_group_size: 1
    .uses_dynamic_stack: false
    .vgpr_count:     7
    .vgpr_spill_count: 0
    .wavefront_size: 64
  - .agpr_count:     0
    .args:
      - .offset:         0
        .size:           16
        .value_kind:     by_value
      - .offset:         16
        .size:           8
        .value_kind:     by_value
      - .offset:         24
        .size:           8
        .value_kind:     by_value
    .group_segment_fixed_size: 0
    .kernarg_segment_align: 8
    .kernarg_segment_size: 32
    .language:       OpenCL C
    .language_version:
      - 2
      - 0
    .max_flat_workgroup_size: 256
    .name:           _ZN6thrust23THRUST_200600_302600_NS11hip_rocprim14__parallel_for6kernelILj256ENS1_20__uninitialized_fill7functorINS0_10device_ptrIyEEyEEmLj1EEEvT0_T1_SA_
    .private_segment_fixed_size: 0
    .sgpr_count:     18
    .sgpr_spill_count: 0
    .symbol:         _ZN6thrust23THRUST_200600_302600_NS11hip_rocprim14__parallel_for6kernelILj256ENS1_20__uninitialized_fill7functorINS0_10device_ptrIyEEyEEmLj1EEEvT0_T1_SA_.kd
    .uniform_work_group_size: 1
    .uses_dynamic_stack: false
    .vgpr_count:     4
    .vgpr_spill_count: 0
    .wavefront_size: 64
  - .agpr_count:     0
    .args:
      - .offset:         0
        .size:           120
        .value_kind:     by_value
    .group_segment_fixed_size: 0
    .kernarg_segment_align: 8
    .kernarg_segment_size: 120
    .language:       OpenCL C
    .language_version:
      - 2
      - 0
    .max_flat_workgroup_size: 128
    .name:           _ZN7rocprim17ROCPRIM_400000_NS6detail17trampoline_kernelINS0_14default_configENS1_25partition_config_selectorILNS1_17partition_subalgoE0EyNS0_10empty_typeEbEEZZNS1_14partition_implILS5_0ELb0ES3_jN6thrust23THRUST_200600_302600_NS6detail15normal_iteratorINSA_10device_ptrIyEEEEPS6_SG_NS0_5tupleIJSF_SF_EEENSH_IJSG_SG_EEES6_PlJ7is_evenIyEEEE10hipError_tPvRmT3_T4_T5_T6_T7_T9_mT8_P12ihipStream_tbDpT10_ENKUlT_T0_E_clISt17integral_constantIbLb0EES16_EEDaS11_S12_EUlS11_E_NS1_11comp_targetILNS1_3genE0ELNS1_11target_archE4294967295ELNS1_3gpuE0ELNS1_3repE0EEENS1_30default_config_static_selectorELNS0_4arch9wavefront6targetE1EEEvT1_
    .private_segment_fixed_size: 0
    .sgpr_count:     6
    .sgpr_spill_count: 0
    .symbol:         _ZN7rocprim17ROCPRIM_400000_NS6detail17trampoline_kernelINS0_14default_configENS1_25partition_config_selectorILNS1_17partition_subalgoE0EyNS0_10empty_typeEbEEZZNS1_14partition_implILS5_0ELb0ES3_jN6thrust23THRUST_200600_302600_NS6detail15normal_iteratorINSA_10device_ptrIyEEEEPS6_SG_NS0_5tupleIJSF_SF_EEENSH_IJSG_SG_EEES6_PlJ7is_evenIyEEEE10hipError_tPvRmT3_T4_T5_T6_T7_T9_mT8_P12ihipStream_tbDpT10_ENKUlT_T0_E_clISt17integral_constantIbLb0EES16_EEDaS11_S12_EUlS11_E_NS1_11comp_targetILNS1_3genE0ELNS1_11target_archE4294967295ELNS1_3gpuE0ELNS1_3repE0EEENS1_30default_config_static_selectorELNS0_4arch9wavefront6targetE1EEEvT1_.kd
    .uniform_work_group_size: 1
    .uses_dynamic_stack: false
    .vgpr_count:     0
    .vgpr_spill_count: 0
    .wavefront_size: 64
  - .agpr_count:     0
    .args:
      - .offset:         0
        .size:           120
        .value_kind:     by_value
    .group_segment_fixed_size: 28680
    .kernarg_segment_align: 8
    .kernarg_segment_size: 120
    .language:       OpenCL C
    .language_version:
      - 2
      - 0
    .max_flat_workgroup_size: 512
    .name:           _ZN7rocprim17ROCPRIM_400000_NS6detail17trampoline_kernelINS0_14default_configENS1_25partition_config_selectorILNS1_17partition_subalgoE0EyNS0_10empty_typeEbEEZZNS1_14partition_implILS5_0ELb0ES3_jN6thrust23THRUST_200600_302600_NS6detail15normal_iteratorINSA_10device_ptrIyEEEEPS6_SG_NS0_5tupleIJSF_SF_EEENSH_IJSG_SG_EEES6_PlJ7is_evenIyEEEE10hipError_tPvRmT3_T4_T5_T6_T7_T9_mT8_P12ihipStream_tbDpT10_ENKUlT_T0_E_clISt17integral_constantIbLb0EES16_EEDaS11_S12_EUlS11_E_NS1_11comp_targetILNS1_3genE5ELNS1_11target_archE942ELNS1_3gpuE9ELNS1_3repE0EEENS1_30default_config_static_selectorELNS0_4arch9wavefront6targetE1EEEvT1_
    .private_segment_fixed_size: 0
    .sgpr_count:     50
    .sgpr_spill_count: 0
    .symbol:         _ZN7rocprim17ROCPRIM_400000_NS6detail17trampoline_kernelINS0_14default_configENS1_25partition_config_selectorILNS1_17partition_subalgoE0EyNS0_10empty_typeEbEEZZNS1_14partition_implILS5_0ELb0ES3_jN6thrust23THRUST_200600_302600_NS6detail15normal_iteratorINSA_10device_ptrIyEEEEPS6_SG_NS0_5tupleIJSF_SF_EEENSH_IJSG_SG_EEES6_PlJ7is_evenIyEEEE10hipError_tPvRmT3_T4_T5_T6_T7_T9_mT8_P12ihipStream_tbDpT10_ENKUlT_T0_E_clISt17integral_constantIbLb0EES16_EEDaS11_S12_EUlS11_E_NS1_11comp_targetILNS1_3genE5ELNS1_11target_archE942ELNS1_3gpuE9ELNS1_3repE0EEENS1_30default_config_static_selectorELNS0_4arch9wavefront6targetE1EEEvT1_.kd
    .uniform_work_group_size: 1
    .uses_dynamic_stack: false
    .vgpr_count:     57
    .vgpr_spill_count: 0
    .wavefront_size: 64
  - .agpr_count:     0
    .args:
      - .offset:         0
        .size:           120
        .value_kind:     by_value
    .group_segment_fixed_size: 0
    .kernarg_segment_align: 8
    .kernarg_segment_size: 120
    .language:       OpenCL C
    .language_version:
      - 2
      - 0
    .max_flat_workgroup_size: 192
    .name:           _ZN7rocprim17ROCPRIM_400000_NS6detail17trampoline_kernelINS0_14default_configENS1_25partition_config_selectorILNS1_17partition_subalgoE0EyNS0_10empty_typeEbEEZZNS1_14partition_implILS5_0ELb0ES3_jN6thrust23THRUST_200600_302600_NS6detail15normal_iteratorINSA_10device_ptrIyEEEEPS6_SG_NS0_5tupleIJSF_SF_EEENSH_IJSG_SG_EEES6_PlJ7is_evenIyEEEE10hipError_tPvRmT3_T4_T5_T6_T7_T9_mT8_P12ihipStream_tbDpT10_ENKUlT_T0_E_clISt17integral_constantIbLb0EES16_EEDaS11_S12_EUlS11_E_NS1_11comp_targetILNS1_3genE4ELNS1_11target_archE910ELNS1_3gpuE8ELNS1_3repE0EEENS1_30default_config_static_selectorELNS0_4arch9wavefront6targetE1EEEvT1_
    .private_segment_fixed_size: 0
    .sgpr_count:     6
    .sgpr_spill_count: 0
    .symbol:         _ZN7rocprim17ROCPRIM_400000_NS6detail17trampoline_kernelINS0_14default_configENS1_25partition_config_selectorILNS1_17partition_subalgoE0EyNS0_10empty_typeEbEEZZNS1_14partition_implILS5_0ELb0ES3_jN6thrust23THRUST_200600_302600_NS6detail15normal_iteratorINSA_10device_ptrIyEEEEPS6_SG_NS0_5tupleIJSF_SF_EEENSH_IJSG_SG_EEES6_PlJ7is_evenIyEEEE10hipError_tPvRmT3_T4_T5_T6_T7_T9_mT8_P12ihipStream_tbDpT10_ENKUlT_T0_E_clISt17integral_constantIbLb0EES16_EEDaS11_S12_EUlS11_E_NS1_11comp_targetILNS1_3genE4ELNS1_11target_archE910ELNS1_3gpuE8ELNS1_3repE0EEENS1_30default_config_static_selectorELNS0_4arch9wavefront6targetE1EEEvT1_.kd
    .uniform_work_group_size: 1
    .uses_dynamic_stack: false
    .vgpr_count:     0
    .vgpr_spill_count: 0
    .wavefront_size: 64
  - .agpr_count:     0
    .args:
      - .offset:         0
        .size:           120
        .value_kind:     by_value
    .group_segment_fixed_size: 0
    .kernarg_segment_align: 8
    .kernarg_segment_size: 120
    .language:       OpenCL C
    .language_version:
      - 2
      - 0
    .max_flat_workgroup_size: 128
    .name:           _ZN7rocprim17ROCPRIM_400000_NS6detail17trampoline_kernelINS0_14default_configENS1_25partition_config_selectorILNS1_17partition_subalgoE0EyNS0_10empty_typeEbEEZZNS1_14partition_implILS5_0ELb0ES3_jN6thrust23THRUST_200600_302600_NS6detail15normal_iteratorINSA_10device_ptrIyEEEEPS6_SG_NS0_5tupleIJSF_SF_EEENSH_IJSG_SG_EEES6_PlJ7is_evenIyEEEE10hipError_tPvRmT3_T4_T5_T6_T7_T9_mT8_P12ihipStream_tbDpT10_ENKUlT_T0_E_clISt17integral_constantIbLb0EES16_EEDaS11_S12_EUlS11_E_NS1_11comp_targetILNS1_3genE3ELNS1_11target_archE908ELNS1_3gpuE7ELNS1_3repE0EEENS1_30default_config_static_selectorELNS0_4arch9wavefront6targetE1EEEvT1_
    .private_segment_fixed_size: 0
    .sgpr_count:     6
    .sgpr_spill_count: 0
    .symbol:         _ZN7rocprim17ROCPRIM_400000_NS6detail17trampoline_kernelINS0_14default_configENS1_25partition_config_selectorILNS1_17partition_subalgoE0EyNS0_10empty_typeEbEEZZNS1_14partition_implILS5_0ELb0ES3_jN6thrust23THRUST_200600_302600_NS6detail15normal_iteratorINSA_10device_ptrIyEEEEPS6_SG_NS0_5tupleIJSF_SF_EEENSH_IJSG_SG_EEES6_PlJ7is_evenIyEEEE10hipError_tPvRmT3_T4_T5_T6_T7_T9_mT8_P12ihipStream_tbDpT10_ENKUlT_T0_E_clISt17integral_constantIbLb0EES16_EEDaS11_S12_EUlS11_E_NS1_11comp_targetILNS1_3genE3ELNS1_11target_archE908ELNS1_3gpuE7ELNS1_3repE0EEENS1_30default_config_static_selectorELNS0_4arch9wavefront6targetE1EEEvT1_.kd
    .uniform_work_group_size: 1
    .uses_dynamic_stack: false
    .vgpr_count:     0
    .vgpr_spill_count: 0
    .wavefront_size: 64
  - .agpr_count:     0
    .args:
      - .offset:         0
        .size:           120
        .value_kind:     by_value
    .group_segment_fixed_size: 0
    .kernarg_segment_align: 8
    .kernarg_segment_size: 120
    .language:       OpenCL C
    .language_version:
      - 2
      - 0
    .max_flat_workgroup_size: 256
    .name:           _ZN7rocprim17ROCPRIM_400000_NS6detail17trampoline_kernelINS0_14default_configENS1_25partition_config_selectorILNS1_17partition_subalgoE0EyNS0_10empty_typeEbEEZZNS1_14partition_implILS5_0ELb0ES3_jN6thrust23THRUST_200600_302600_NS6detail15normal_iteratorINSA_10device_ptrIyEEEEPS6_SG_NS0_5tupleIJSF_SF_EEENSH_IJSG_SG_EEES6_PlJ7is_evenIyEEEE10hipError_tPvRmT3_T4_T5_T6_T7_T9_mT8_P12ihipStream_tbDpT10_ENKUlT_T0_E_clISt17integral_constantIbLb0EES16_EEDaS11_S12_EUlS11_E_NS1_11comp_targetILNS1_3genE2ELNS1_11target_archE906ELNS1_3gpuE6ELNS1_3repE0EEENS1_30default_config_static_selectorELNS0_4arch9wavefront6targetE1EEEvT1_
    .private_segment_fixed_size: 0
    .sgpr_count:     6
    .sgpr_spill_count: 0
    .symbol:         _ZN7rocprim17ROCPRIM_400000_NS6detail17trampoline_kernelINS0_14default_configENS1_25partition_config_selectorILNS1_17partition_subalgoE0EyNS0_10empty_typeEbEEZZNS1_14partition_implILS5_0ELb0ES3_jN6thrust23THRUST_200600_302600_NS6detail15normal_iteratorINSA_10device_ptrIyEEEEPS6_SG_NS0_5tupleIJSF_SF_EEENSH_IJSG_SG_EEES6_PlJ7is_evenIyEEEE10hipError_tPvRmT3_T4_T5_T6_T7_T9_mT8_P12ihipStream_tbDpT10_ENKUlT_T0_E_clISt17integral_constantIbLb0EES16_EEDaS11_S12_EUlS11_E_NS1_11comp_targetILNS1_3genE2ELNS1_11target_archE906ELNS1_3gpuE6ELNS1_3repE0EEENS1_30default_config_static_selectorELNS0_4arch9wavefront6targetE1EEEvT1_.kd
    .uniform_work_group_size: 1
    .uses_dynamic_stack: false
    .vgpr_count:     0
    .vgpr_spill_count: 0
    .wavefront_size: 64
  - .agpr_count:     0
    .args:
      - .offset:         0
        .size:           120
        .value_kind:     by_value
    .group_segment_fixed_size: 0
    .kernarg_segment_align: 8
    .kernarg_segment_size: 120
    .language:       OpenCL C
    .language_version:
      - 2
      - 0
    .max_flat_workgroup_size: 512
    .name:           _ZN7rocprim17ROCPRIM_400000_NS6detail17trampoline_kernelINS0_14default_configENS1_25partition_config_selectorILNS1_17partition_subalgoE0EyNS0_10empty_typeEbEEZZNS1_14partition_implILS5_0ELb0ES3_jN6thrust23THRUST_200600_302600_NS6detail15normal_iteratorINSA_10device_ptrIyEEEEPS6_SG_NS0_5tupleIJSF_SF_EEENSH_IJSG_SG_EEES6_PlJ7is_evenIyEEEE10hipError_tPvRmT3_T4_T5_T6_T7_T9_mT8_P12ihipStream_tbDpT10_ENKUlT_T0_E_clISt17integral_constantIbLb0EES16_EEDaS11_S12_EUlS11_E_NS1_11comp_targetILNS1_3genE10ELNS1_11target_archE1200ELNS1_3gpuE4ELNS1_3repE0EEENS1_30default_config_static_selectorELNS0_4arch9wavefront6targetE1EEEvT1_
    .private_segment_fixed_size: 0
    .sgpr_count:     6
    .sgpr_spill_count: 0
    .symbol:         _ZN7rocprim17ROCPRIM_400000_NS6detail17trampoline_kernelINS0_14default_configENS1_25partition_config_selectorILNS1_17partition_subalgoE0EyNS0_10empty_typeEbEEZZNS1_14partition_implILS5_0ELb0ES3_jN6thrust23THRUST_200600_302600_NS6detail15normal_iteratorINSA_10device_ptrIyEEEEPS6_SG_NS0_5tupleIJSF_SF_EEENSH_IJSG_SG_EEES6_PlJ7is_evenIyEEEE10hipError_tPvRmT3_T4_T5_T6_T7_T9_mT8_P12ihipStream_tbDpT10_ENKUlT_T0_E_clISt17integral_constantIbLb0EES16_EEDaS11_S12_EUlS11_E_NS1_11comp_targetILNS1_3genE10ELNS1_11target_archE1200ELNS1_3gpuE4ELNS1_3repE0EEENS1_30default_config_static_selectorELNS0_4arch9wavefront6targetE1EEEvT1_.kd
    .uniform_work_group_size: 1
    .uses_dynamic_stack: false
    .vgpr_count:     0
    .vgpr_spill_count: 0
    .wavefront_size: 64
  - .agpr_count:     0
    .args:
      - .offset:         0
        .size:           120
        .value_kind:     by_value
    .group_segment_fixed_size: 0
    .kernarg_segment_align: 8
    .kernarg_segment_size: 120
    .language:       OpenCL C
    .language_version:
      - 2
      - 0
    .max_flat_workgroup_size: 512
    .name:           _ZN7rocprim17ROCPRIM_400000_NS6detail17trampoline_kernelINS0_14default_configENS1_25partition_config_selectorILNS1_17partition_subalgoE0EyNS0_10empty_typeEbEEZZNS1_14partition_implILS5_0ELb0ES3_jN6thrust23THRUST_200600_302600_NS6detail15normal_iteratorINSA_10device_ptrIyEEEEPS6_SG_NS0_5tupleIJSF_SF_EEENSH_IJSG_SG_EEES6_PlJ7is_evenIyEEEE10hipError_tPvRmT3_T4_T5_T6_T7_T9_mT8_P12ihipStream_tbDpT10_ENKUlT_T0_E_clISt17integral_constantIbLb0EES16_EEDaS11_S12_EUlS11_E_NS1_11comp_targetILNS1_3genE9ELNS1_11target_archE1100ELNS1_3gpuE3ELNS1_3repE0EEENS1_30default_config_static_selectorELNS0_4arch9wavefront6targetE1EEEvT1_
    .private_segment_fixed_size: 0
    .sgpr_count:     6
    .sgpr_spill_count: 0
    .symbol:         _ZN7rocprim17ROCPRIM_400000_NS6detail17trampoline_kernelINS0_14default_configENS1_25partition_config_selectorILNS1_17partition_subalgoE0EyNS0_10empty_typeEbEEZZNS1_14partition_implILS5_0ELb0ES3_jN6thrust23THRUST_200600_302600_NS6detail15normal_iteratorINSA_10device_ptrIyEEEEPS6_SG_NS0_5tupleIJSF_SF_EEENSH_IJSG_SG_EEES6_PlJ7is_evenIyEEEE10hipError_tPvRmT3_T4_T5_T6_T7_T9_mT8_P12ihipStream_tbDpT10_ENKUlT_T0_E_clISt17integral_constantIbLb0EES16_EEDaS11_S12_EUlS11_E_NS1_11comp_targetILNS1_3genE9ELNS1_11target_archE1100ELNS1_3gpuE3ELNS1_3repE0EEENS1_30default_config_static_selectorELNS0_4arch9wavefront6targetE1EEEvT1_.kd
    .uniform_work_group_size: 1
    .uses_dynamic_stack: false
    .vgpr_count:     0
    .vgpr_spill_count: 0
    .wavefront_size: 64
  - .agpr_count:     0
    .args:
      - .offset:         0
        .size:           120
        .value_kind:     by_value
    .group_segment_fixed_size: 0
    .kernarg_segment_align: 8
    .kernarg_segment_size: 120
    .language:       OpenCL C
    .language_version:
      - 2
      - 0
    .max_flat_workgroup_size: 512
    .name:           _ZN7rocprim17ROCPRIM_400000_NS6detail17trampoline_kernelINS0_14default_configENS1_25partition_config_selectorILNS1_17partition_subalgoE0EyNS0_10empty_typeEbEEZZNS1_14partition_implILS5_0ELb0ES3_jN6thrust23THRUST_200600_302600_NS6detail15normal_iteratorINSA_10device_ptrIyEEEEPS6_SG_NS0_5tupleIJSF_SF_EEENSH_IJSG_SG_EEES6_PlJ7is_evenIyEEEE10hipError_tPvRmT3_T4_T5_T6_T7_T9_mT8_P12ihipStream_tbDpT10_ENKUlT_T0_E_clISt17integral_constantIbLb0EES16_EEDaS11_S12_EUlS11_E_NS1_11comp_targetILNS1_3genE8ELNS1_11target_archE1030ELNS1_3gpuE2ELNS1_3repE0EEENS1_30default_config_static_selectorELNS0_4arch9wavefront6targetE1EEEvT1_
    .private_segment_fixed_size: 0
    .sgpr_count:     6
    .sgpr_spill_count: 0
    .symbol:         _ZN7rocprim17ROCPRIM_400000_NS6detail17trampoline_kernelINS0_14default_configENS1_25partition_config_selectorILNS1_17partition_subalgoE0EyNS0_10empty_typeEbEEZZNS1_14partition_implILS5_0ELb0ES3_jN6thrust23THRUST_200600_302600_NS6detail15normal_iteratorINSA_10device_ptrIyEEEEPS6_SG_NS0_5tupleIJSF_SF_EEENSH_IJSG_SG_EEES6_PlJ7is_evenIyEEEE10hipError_tPvRmT3_T4_T5_T6_T7_T9_mT8_P12ihipStream_tbDpT10_ENKUlT_T0_E_clISt17integral_constantIbLb0EES16_EEDaS11_S12_EUlS11_E_NS1_11comp_targetILNS1_3genE8ELNS1_11target_archE1030ELNS1_3gpuE2ELNS1_3repE0EEENS1_30default_config_static_selectorELNS0_4arch9wavefront6targetE1EEEvT1_.kd
    .uniform_work_group_size: 1
    .uses_dynamic_stack: false
    .vgpr_count:     0
    .vgpr_spill_count: 0
    .wavefront_size: 64
  - .agpr_count:     0
    .args:
      - .offset:         0
        .size:           136
        .value_kind:     by_value
    .group_segment_fixed_size: 0
    .kernarg_segment_align: 8
    .kernarg_segment_size: 136
    .language:       OpenCL C
    .language_version:
      - 2
      - 0
    .max_flat_workgroup_size: 128
    .name:           _ZN7rocprim17ROCPRIM_400000_NS6detail17trampoline_kernelINS0_14default_configENS1_25partition_config_selectorILNS1_17partition_subalgoE0EyNS0_10empty_typeEbEEZZNS1_14partition_implILS5_0ELb0ES3_jN6thrust23THRUST_200600_302600_NS6detail15normal_iteratorINSA_10device_ptrIyEEEEPS6_SG_NS0_5tupleIJSF_SF_EEENSH_IJSG_SG_EEES6_PlJ7is_evenIyEEEE10hipError_tPvRmT3_T4_T5_T6_T7_T9_mT8_P12ihipStream_tbDpT10_ENKUlT_T0_E_clISt17integral_constantIbLb1EES16_EEDaS11_S12_EUlS11_E_NS1_11comp_targetILNS1_3genE0ELNS1_11target_archE4294967295ELNS1_3gpuE0ELNS1_3repE0EEENS1_30default_config_static_selectorELNS0_4arch9wavefront6targetE1EEEvT1_
    .private_segment_fixed_size: 0
    .sgpr_count:     6
    .sgpr_spill_count: 0
    .symbol:         _ZN7rocprim17ROCPRIM_400000_NS6detail17trampoline_kernelINS0_14default_configENS1_25partition_config_selectorILNS1_17partition_subalgoE0EyNS0_10empty_typeEbEEZZNS1_14partition_implILS5_0ELb0ES3_jN6thrust23THRUST_200600_302600_NS6detail15normal_iteratorINSA_10device_ptrIyEEEEPS6_SG_NS0_5tupleIJSF_SF_EEENSH_IJSG_SG_EEES6_PlJ7is_evenIyEEEE10hipError_tPvRmT3_T4_T5_T6_T7_T9_mT8_P12ihipStream_tbDpT10_ENKUlT_T0_E_clISt17integral_constantIbLb1EES16_EEDaS11_S12_EUlS11_E_NS1_11comp_targetILNS1_3genE0ELNS1_11target_archE4294967295ELNS1_3gpuE0ELNS1_3repE0EEENS1_30default_config_static_selectorELNS0_4arch9wavefront6targetE1EEEvT1_.kd
    .uniform_work_group_size: 1
    .uses_dynamic_stack: false
    .vgpr_count:     0
    .vgpr_spill_count: 0
    .wavefront_size: 64
  - .agpr_count:     0
    .args:
      - .offset:         0
        .size:           136
        .value_kind:     by_value
    .group_segment_fixed_size: 28680
    .kernarg_segment_align: 8
    .kernarg_segment_size: 136
    .language:       OpenCL C
    .language_version:
      - 2
      - 0
    .max_flat_workgroup_size: 512
    .name:           _ZN7rocprim17ROCPRIM_400000_NS6detail17trampoline_kernelINS0_14default_configENS1_25partition_config_selectorILNS1_17partition_subalgoE0EyNS0_10empty_typeEbEEZZNS1_14partition_implILS5_0ELb0ES3_jN6thrust23THRUST_200600_302600_NS6detail15normal_iteratorINSA_10device_ptrIyEEEEPS6_SG_NS0_5tupleIJSF_SF_EEENSH_IJSG_SG_EEES6_PlJ7is_evenIyEEEE10hipError_tPvRmT3_T4_T5_T6_T7_T9_mT8_P12ihipStream_tbDpT10_ENKUlT_T0_E_clISt17integral_constantIbLb1EES16_EEDaS11_S12_EUlS11_E_NS1_11comp_targetILNS1_3genE5ELNS1_11target_archE942ELNS1_3gpuE9ELNS1_3repE0EEENS1_30default_config_static_selectorELNS0_4arch9wavefront6targetE1EEEvT1_
    .private_segment_fixed_size: 0
    .sgpr_count:     50
    .sgpr_spill_count: 0
    .symbol:         _ZN7rocprim17ROCPRIM_400000_NS6detail17trampoline_kernelINS0_14default_configENS1_25partition_config_selectorILNS1_17partition_subalgoE0EyNS0_10empty_typeEbEEZZNS1_14partition_implILS5_0ELb0ES3_jN6thrust23THRUST_200600_302600_NS6detail15normal_iteratorINSA_10device_ptrIyEEEEPS6_SG_NS0_5tupleIJSF_SF_EEENSH_IJSG_SG_EEES6_PlJ7is_evenIyEEEE10hipError_tPvRmT3_T4_T5_T6_T7_T9_mT8_P12ihipStream_tbDpT10_ENKUlT_T0_E_clISt17integral_constantIbLb1EES16_EEDaS11_S12_EUlS11_E_NS1_11comp_targetILNS1_3genE5ELNS1_11target_archE942ELNS1_3gpuE9ELNS1_3repE0EEENS1_30default_config_static_selectorELNS0_4arch9wavefront6targetE1EEEvT1_.kd
    .uniform_work_group_size: 1
    .uses_dynamic_stack: false
    .vgpr_count:     61
    .vgpr_spill_count: 0
    .wavefront_size: 64
  - .agpr_count:     0
    .args:
      - .offset:         0
        .size:           136
        .value_kind:     by_value
    .group_segment_fixed_size: 0
    .kernarg_segment_align: 8
    .kernarg_segment_size: 136
    .language:       OpenCL C
    .language_version:
      - 2
      - 0
    .max_flat_workgroup_size: 192
    .name:           _ZN7rocprim17ROCPRIM_400000_NS6detail17trampoline_kernelINS0_14default_configENS1_25partition_config_selectorILNS1_17partition_subalgoE0EyNS0_10empty_typeEbEEZZNS1_14partition_implILS5_0ELb0ES3_jN6thrust23THRUST_200600_302600_NS6detail15normal_iteratorINSA_10device_ptrIyEEEEPS6_SG_NS0_5tupleIJSF_SF_EEENSH_IJSG_SG_EEES6_PlJ7is_evenIyEEEE10hipError_tPvRmT3_T4_T5_T6_T7_T9_mT8_P12ihipStream_tbDpT10_ENKUlT_T0_E_clISt17integral_constantIbLb1EES16_EEDaS11_S12_EUlS11_E_NS1_11comp_targetILNS1_3genE4ELNS1_11target_archE910ELNS1_3gpuE8ELNS1_3repE0EEENS1_30default_config_static_selectorELNS0_4arch9wavefront6targetE1EEEvT1_
    .private_segment_fixed_size: 0
    .sgpr_count:     6
    .sgpr_spill_count: 0
    .symbol:         _ZN7rocprim17ROCPRIM_400000_NS6detail17trampoline_kernelINS0_14default_configENS1_25partition_config_selectorILNS1_17partition_subalgoE0EyNS0_10empty_typeEbEEZZNS1_14partition_implILS5_0ELb0ES3_jN6thrust23THRUST_200600_302600_NS6detail15normal_iteratorINSA_10device_ptrIyEEEEPS6_SG_NS0_5tupleIJSF_SF_EEENSH_IJSG_SG_EEES6_PlJ7is_evenIyEEEE10hipError_tPvRmT3_T4_T5_T6_T7_T9_mT8_P12ihipStream_tbDpT10_ENKUlT_T0_E_clISt17integral_constantIbLb1EES16_EEDaS11_S12_EUlS11_E_NS1_11comp_targetILNS1_3genE4ELNS1_11target_archE910ELNS1_3gpuE8ELNS1_3repE0EEENS1_30default_config_static_selectorELNS0_4arch9wavefront6targetE1EEEvT1_.kd
    .uniform_work_group_size: 1
    .uses_dynamic_stack: false
    .vgpr_count:     0
    .vgpr_spill_count: 0
    .wavefront_size: 64
  - .agpr_count:     0
    .args:
      - .offset:         0
        .size:           136
        .value_kind:     by_value
    .group_segment_fixed_size: 0
    .kernarg_segment_align: 8
    .kernarg_segment_size: 136
    .language:       OpenCL C
    .language_version:
      - 2
      - 0
    .max_flat_workgroup_size: 128
    .name:           _ZN7rocprim17ROCPRIM_400000_NS6detail17trampoline_kernelINS0_14default_configENS1_25partition_config_selectorILNS1_17partition_subalgoE0EyNS0_10empty_typeEbEEZZNS1_14partition_implILS5_0ELb0ES3_jN6thrust23THRUST_200600_302600_NS6detail15normal_iteratorINSA_10device_ptrIyEEEEPS6_SG_NS0_5tupleIJSF_SF_EEENSH_IJSG_SG_EEES6_PlJ7is_evenIyEEEE10hipError_tPvRmT3_T4_T5_T6_T7_T9_mT8_P12ihipStream_tbDpT10_ENKUlT_T0_E_clISt17integral_constantIbLb1EES16_EEDaS11_S12_EUlS11_E_NS1_11comp_targetILNS1_3genE3ELNS1_11target_archE908ELNS1_3gpuE7ELNS1_3repE0EEENS1_30default_config_static_selectorELNS0_4arch9wavefront6targetE1EEEvT1_
    .private_segment_fixed_size: 0
    .sgpr_count:     6
    .sgpr_spill_count: 0
    .symbol:         _ZN7rocprim17ROCPRIM_400000_NS6detail17trampoline_kernelINS0_14default_configENS1_25partition_config_selectorILNS1_17partition_subalgoE0EyNS0_10empty_typeEbEEZZNS1_14partition_implILS5_0ELb0ES3_jN6thrust23THRUST_200600_302600_NS6detail15normal_iteratorINSA_10device_ptrIyEEEEPS6_SG_NS0_5tupleIJSF_SF_EEENSH_IJSG_SG_EEES6_PlJ7is_evenIyEEEE10hipError_tPvRmT3_T4_T5_T6_T7_T9_mT8_P12ihipStream_tbDpT10_ENKUlT_T0_E_clISt17integral_constantIbLb1EES16_EEDaS11_S12_EUlS11_E_NS1_11comp_targetILNS1_3genE3ELNS1_11target_archE908ELNS1_3gpuE7ELNS1_3repE0EEENS1_30default_config_static_selectorELNS0_4arch9wavefront6targetE1EEEvT1_.kd
    .uniform_work_group_size: 1
    .uses_dynamic_stack: false
    .vgpr_count:     0
    .vgpr_spill_count: 0
    .wavefront_size: 64
  - .agpr_count:     0
    .args:
      - .offset:         0
        .size:           136
        .value_kind:     by_value
    .group_segment_fixed_size: 0
    .kernarg_segment_align: 8
    .kernarg_segment_size: 136
    .language:       OpenCL C
    .language_version:
      - 2
      - 0
    .max_flat_workgroup_size: 256
    .name:           _ZN7rocprim17ROCPRIM_400000_NS6detail17trampoline_kernelINS0_14default_configENS1_25partition_config_selectorILNS1_17partition_subalgoE0EyNS0_10empty_typeEbEEZZNS1_14partition_implILS5_0ELb0ES3_jN6thrust23THRUST_200600_302600_NS6detail15normal_iteratorINSA_10device_ptrIyEEEEPS6_SG_NS0_5tupleIJSF_SF_EEENSH_IJSG_SG_EEES6_PlJ7is_evenIyEEEE10hipError_tPvRmT3_T4_T5_T6_T7_T9_mT8_P12ihipStream_tbDpT10_ENKUlT_T0_E_clISt17integral_constantIbLb1EES16_EEDaS11_S12_EUlS11_E_NS1_11comp_targetILNS1_3genE2ELNS1_11target_archE906ELNS1_3gpuE6ELNS1_3repE0EEENS1_30default_config_static_selectorELNS0_4arch9wavefront6targetE1EEEvT1_
    .private_segment_fixed_size: 0
    .sgpr_count:     6
    .sgpr_spill_count: 0
    .symbol:         _ZN7rocprim17ROCPRIM_400000_NS6detail17trampoline_kernelINS0_14default_configENS1_25partition_config_selectorILNS1_17partition_subalgoE0EyNS0_10empty_typeEbEEZZNS1_14partition_implILS5_0ELb0ES3_jN6thrust23THRUST_200600_302600_NS6detail15normal_iteratorINSA_10device_ptrIyEEEEPS6_SG_NS0_5tupleIJSF_SF_EEENSH_IJSG_SG_EEES6_PlJ7is_evenIyEEEE10hipError_tPvRmT3_T4_T5_T6_T7_T9_mT8_P12ihipStream_tbDpT10_ENKUlT_T0_E_clISt17integral_constantIbLb1EES16_EEDaS11_S12_EUlS11_E_NS1_11comp_targetILNS1_3genE2ELNS1_11target_archE906ELNS1_3gpuE6ELNS1_3repE0EEENS1_30default_config_static_selectorELNS0_4arch9wavefront6targetE1EEEvT1_.kd
    .uniform_work_group_size: 1
    .uses_dynamic_stack: false
    .vgpr_count:     0
    .vgpr_spill_count: 0
    .wavefront_size: 64
  - .agpr_count:     0
    .args:
      - .offset:         0
        .size:           136
        .value_kind:     by_value
    .group_segment_fixed_size: 0
    .kernarg_segment_align: 8
    .kernarg_segment_size: 136
    .language:       OpenCL C
    .language_version:
      - 2
      - 0
    .max_flat_workgroup_size: 512
    .name:           _ZN7rocprim17ROCPRIM_400000_NS6detail17trampoline_kernelINS0_14default_configENS1_25partition_config_selectorILNS1_17partition_subalgoE0EyNS0_10empty_typeEbEEZZNS1_14partition_implILS5_0ELb0ES3_jN6thrust23THRUST_200600_302600_NS6detail15normal_iteratorINSA_10device_ptrIyEEEEPS6_SG_NS0_5tupleIJSF_SF_EEENSH_IJSG_SG_EEES6_PlJ7is_evenIyEEEE10hipError_tPvRmT3_T4_T5_T6_T7_T9_mT8_P12ihipStream_tbDpT10_ENKUlT_T0_E_clISt17integral_constantIbLb1EES16_EEDaS11_S12_EUlS11_E_NS1_11comp_targetILNS1_3genE10ELNS1_11target_archE1200ELNS1_3gpuE4ELNS1_3repE0EEENS1_30default_config_static_selectorELNS0_4arch9wavefront6targetE1EEEvT1_
    .private_segment_fixed_size: 0
    .sgpr_count:     6
    .sgpr_spill_count: 0
    .symbol:         _ZN7rocprim17ROCPRIM_400000_NS6detail17trampoline_kernelINS0_14default_configENS1_25partition_config_selectorILNS1_17partition_subalgoE0EyNS0_10empty_typeEbEEZZNS1_14partition_implILS5_0ELb0ES3_jN6thrust23THRUST_200600_302600_NS6detail15normal_iteratorINSA_10device_ptrIyEEEEPS6_SG_NS0_5tupleIJSF_SF_EEENSH_IJSG_SG_EEES6_PlJ7is_evenIyEEEE10hipError_tPvRmT3_T4_T5_T6_T7_T9_mT8_P12ihipStream_tbDpT10_ENKUlT_T0_E_clISt17integral_constantIbLb1EES16_EEDaS11_S12_EUlS11_E_NS1_11comp_targetILNS1_3genE10ELNS1_11target_archE1200ELNS1_3gpuE4ELNS1_3repE0EEENS1_30default_config_static_selectorELNS0_4arch9wavefront6targetE1EEEvT1_.kd
    .uniform_work_group_size: 1
    .uses_dynamic_stack: false
    .vgpr_count:     0
    .vgpr_spill_count: 0
    .wavefront_size: 64
  - .agpr_count:     0
    .args:
      - .offset:         0
        .size:           136
        .value_kind:     by_value
    .group_segment_fixed_size: 0
    .kernarg_segment_align: 8
    .kernarg_segment_size: 136
    .language:       OpenCL C
    .language_version:
      - 2
      - 0
    .max_flat_workgroup_size: 512
    .name:           _ZN7rocprim17ROCPRIM_400000_NS6detail17trampoline_kernelINS0_14default_configENS1_25partition_config_selectorILNS1_17partition_subalgoE0EyNS0_10empty_typeEbEEZZNS1_14partition_implILS5_0ELb0ES3_jN6thrust23THRUST_200600_302600_NS6detail15normal_iteratorINSA_10device_ptrIyEEEEPS6_SG_NS0_5tupleIJSF_SF_EEENSH_IJSG_SG_EEES6_PlJ7is_evenIyEEEE10hipError_tPvRmT3_T4_T5_T6_T7_T9_mT8_P12ihipStream_tbDpT10_ENKUlT_T0_E_clISt17integral_constantIbLb1EES16_EEDaS11_S12_EUlS11_E_NS1_11comp_targetILNS1_3genE9ELNS1_11target_archE1100ELNS1_3gpuE3ELNS1_3repE0EEENS1_30default_config_static_selectorELNS0_4arch9wavefront6targetE1EEEvT1_
    .private_segment_fixed_size: 0
    .sgpr_count:     6
    .sgpr_spill_count: 0
    .symbol:         _ZN7rocprim17ROCPRIM_400000_NS6detail17trampoline_kernelINS0_14default_configENS1_25partition_config_selectorILNS1_17partition_subalgoE0EyNS0_10empty_typeEbEEZZNS1_14partition_implILS5_0ELb0ES3_jN6thrust23THRUST_200600_302600_NS6detail15normal_iteratorINSA_10device_ptrIyEEEEPS6_SG_NS0_5tupleIJSF_SF_EEENSH_IJSG_SG_EEES6_PlJ7is_evenIyEEEE10hipError_tPvRmT3_T4_T5_T6_T7_T9_mT8_P12ihipStream_tbDpT10_ENKUlT_T0_E_clISt17integral_constantIbLb1EES16_EEDaS11_S12_EUlS11_E_NS1_11comp_targetILNS1_3genE9ELNS1_11target_archE1100ELNS1_3gpuE3ELNS1_3repE0EEENS1_30default_config_static_selectorELNS0_4arch9wavefront6targetE1EEEvT1_.kd
    .uniform_work_group_size: 1
    .uses_dynamic_stack: false
    .vgpr_count:     0
    .vgpr_spill_count: 0
    .wavefront_size: 64
  - .agpr_count:     0
    .args:
      - .offset:         0
        .size:           136
        .value_kind:     by_value
    .group_segment_fixed_size: 0
    .kernarg_segment_align: 8
    .kernarg_segment_size: 136
    .language:       OpenCL C
    .language_version:
      - 2
      - 0
    .max_flat_workgroup_size: 512
    .name:           _ZN7rocprim17ROCPRIM_400000_NS6detail17trampoline_kernelINS0_14default_configENS1_25partition_config_selectorILNS1_17partition_subalgoE0EyNS0_10empty_typeEbEEZZNS1_14partition_implILS5_0ELb0ES3_jN6thrust23THRUST_200600_302600_NS6detail15normal_iteratorINSA_10device_ptrIyEEEEPS6_SG_NS0_5tupleIJSF_SF_EEENSH_IJSG_SG_EEES6_PlJ7is_evenIyEEEE10hipError_tPvRmT3_T4_T5_T6_T7_T9_mT8_P12ihipStream_tbDpT10_ENKUlT_T0_E_clISt17integral_constantIbLb1EES16_EEDaS11_S12_EUlS11_E_NS1_11comp_targetILNS1_3genE8ELNS1_11target_archE1030ELNS1_3gpuE2ELNS1_3repE0EEENS1_30default_config_static_selectorELNS0_4arch9wavefront6targetE1EEEvT1_
    .private_segment_fixed_size: 0
    .sgpr_count:     6
    .sgpr_spill_count: 0
    .symbol:         _ZN7rocprim17ROCPRIM_400000_NS6detail17trampoline_kernelINS0_14default_configENS1_25partition_config_selectorILNS1_17partition_subalgoE0EyNS0_10empty_typeEbEEZZNS1_14partition_implILS5_0ELb0ES3_jN6thrust23THRUST_200600_302600_NS6detail15normal_iteratorINSA_10device_ptrIyEEEEPS6_SG_NS0_5tupleIJSF_SF_EEENSH_IJSG_SG_EEES6_PlJ7is_evenIyEEEE10hipError_tPvRmT3_T4_T5_T6_T7_T9_mT8_P12ihipStream_tbDpT10_ENKUlT_T0_E_clISt17integral_constantIbLb1EES16_EEDaS11_S12_EUlS11_E_NS1_11comp_targetILNS1_3genE8ELNS1_11target_archE1030ELNS1_3gpuE2ELNS1_3repE0EEENS1_30default_config_static_selectorELNS0_4arch9wavefront6targetE1EEEvT1_.kd
    .uniform_work_group_size: 1
    .uses_dynamic_stack: false
    .vgpr_count:     0
    .vgpr_spill_count: 0
    .wavefront_size: 64
  - .agpr_count:     0
    .args:
      - .offset:         0
        .size:           120
        .value_kind:     by_value
    .group_segment_fixed_size: 0
    .kernarg_segment_align: 8
    .kernarg_segment_size: 120
    .language:       OpenCL C
    .language_version:
      - 2
      - 0
    .max_flat_workgroup_size: 128
    .name:           _ZN7rocprim17ROCPRIM_400000_NS6detail17trampoline_kernelINS0_14default_configENS1_25partition_config_selectorILNS1_17partition_subalgoE0EyNS0_10empty_typeEbEEZZNS1_14partition_implILS5_0ELb0ES3_jN6thrust23THRUST_200600_302600_NS6detail15normal_iteratorINSA_10device_ptrIyEEEEPS6_SG_NS0_5tupleIJSF_SF_EEENSH_IJSG_SG_EEES6_PlJ7is_evenIyEEEE10hipError_tPvRmT3_T4_T5_T6_T7_T9_mT8_P12ihipStream_tbDpT10_ENKUlT_T0_E_clISt17integral_constantIbLb1EES15_IbLb0EEEEDaS11_S12_EUlS11_E_NS1_11comp_targetILNS1_3genE0ELNS1_11target_archE4294967295ELNS1_3gpuE0ELNS1_3repE0EEENS1_30default_config_static_selectorELNS0_4arch9wavefront6targetE1EEEvT1_
    .private_segment_fixed_size: 0
    .sgpr_count:     6
    .sgpr_spill_count: 0
    .symbol:         _ZN7rocprim17ROCPRIM_400000_NS6detail17trampoline_kernelINS0_14default_configENS1_25partition_config_selectorILNS1_17partition_subalgoE0EyNS0_10empty_typeEbEEZZNS1_14partition_implILS5_0ELb0ES3_jN6thrust23THRUST_200600_302600_NS6detail15normal_iteratorINSA_10device_ptrIyEEEEPS6_SG_NS0_5tupleIJSF_SF_EEENSH_IJSG_SG_EEES6_PlJ7is_evenIyEEEE10hipError_tPvRmT3_T4_T5_T6_T7_T9_mT8_P12ihipStream_tbDpT10_ENKUlT_T0_E_clISt17integral_constantIbLb1EES15_IbLb0EEEEDaS11_S12_EUlS11_E_NS1_11comp_targetILNS1_3genE0ELNS1_11target_archE4294967295ELNS1_3gpuE0ELNS1_3repE0EEENS1_30default_config_static_selectorELNS0_4arch9wavefront6targetE1EEEvT1_.kd
    .uniform_work_group_size: 1
    .uses_dynamic_stack: false
    .vgpr_count:     0
    .vgpr_spill_count: 0
    .wavefront_size: 64
  - .agpr_count:     0
    .args:
      - .offset:         0
        .size:           120
        .value_kind:     by_value
    .group_segment_fixed_size: 28680
    .kernarg_segment_align: 8
    .kernarg_segment_size: 120
    .language:       OpenCL C
    .language_version:
      - 2
      - 0
    .max_flat_workgroup_size: 512
    .name:           _ZN7rocprim17ROCPRIM_400000_NS6detail17trampoline_kernelINS0_14default_configENS1_25partition_config_selectorILNS1_17partition_subalgoE0EyNS0_10empty_typeEbEEZZNS1_14partition_implILS5_0ELb0ES3_jN6thrust23THRUST_200600_302600_NS6detail15normal_iteratorINSA_10device_ptrIyEEEEPS6_SG_NS0_5tupleIJSF_SF_EEENSH_IJSG_SG_EEES6_PlJ7is_evenIyEEEE10hipError_tPvRmT3_T4_T5_T6_T7_T9_mT8_P12ihipStream_tbDpT10_ENKUlT_T0_E_clISt17integral_constantIbLb1EES15_IbLb0EEEEDaS11_S12_EUlS11_E_NS1_11comp_targetILNS1_3genE5ELNS1_11target_archE942ELNS1_3gpuE9ELNS1_3repE0EEENS1_30default_config_static_selectorELNS0_4arch9wavefront6targetE1EEEvT1_
    .private_segment_fixed_size: 0
    .sgpr_count:     50
    .sgpr_spill_count: 0
    .symbol:         _ZN7rocprim17ROCPRIM_400000_NS6detail17trampoline_kernelINS0_14default_configENS1_25partition_config_selectorILNS1_17partition_subalgoE0EyNS0_10empty_typeEbEEZZNS1_14partition_implILS5_0ELb0ES3_jN6thrust23THRUST_200600_302600_NS6detail15normal_iteratorINSA_10device_ptrIyEEEEPS6_SG_NS0_5tupleIJSF_SF_EEENSH_IJSG_SG_EEES6_PlJ7is_evenIyEEEE10hipError_tPvRmT3_T4_T5_T6_T7_T9_mT8_P12ihipStream_tbDpT10_ENKUlT_T0_E_clISt17integral_constantIbLb1EES15_IbLb0EEEEDaS11_S12_EUlS11_E_NS1_11comp_targetILNS1_3genE5ELNS1_11target_archE942ELNS1_3gpuE9ELNS1_3repE0EEENS1_30default_config_static_selectorELNS0_4arch9wavefront6targetE1EEEvT1_.kd
    .uniform_work_group_size: 1
    .uses_dynamic_stack: false
    .vgpr_count:     57
    .vgpr_spill_count: 0
    .wavefront_size: 64
  - .agpr_count:     0
    .args:
      - .offset:         0
        .size:           120
        .value_kind:     by_value
    .group_segment_fixed_size: 0
    .kernarg_segment_align: 8
    .kernarg_segment_size: 120
    .language:       OpenCL C
    .language_version:
      - 2
      - 0
    .max_flat_workgroup_size: 192
    .name:           _ZN7rocprim17ROCPRIM_400000_NS6detail17trampoline_kernelINS0_14default_configENS1_25partition_config_selectorILNS1_17partition_subalgoE0EyNS0_10empty_typeEbEEZZNS1_14partition_implILS5_0ELb0ES3_jN6thrust23THRUST_200600_302600_NS6detail15normal_iteratorINSA_10device_ptrIyEEEEPS6_SG_NS0_5tupleIJSF_SF_EEENSH_IJSG_SG_EEES6_PlJ7is_evenIyEEEE10hipError_tPvRmT3_T4_T5_T6_T7_T9_mT8_P12ihipStream_tbDpT10_ENKUlT_T0_E_clISt17integral_constantIbLb1EES15_IbLb0EEEEDaS11_S12_EUlS11_E_NS1_11comp_targetILNS1_3genE4ELNS1_11target_archE910ELNS1_3gpuE8ELNS1_3repE0EEENS1_30default_config_static_selectorELNS0_4arch9wavefront6targetE1EEEvT1_
    .private_segment_fixed_size: 0
    .sgpr_count:     6
    .sgpr_spill_count: 0
    .symbol:         _ZN7rocprim17ROCPRIM_400000_NS6detail17trampoline_kernelINS0_14default_configENS1_25partition_config_selectorILNS1_17partition_subalgoE0EyNS0_10empty_typeEbEEZZNS1_14partition_implILS5_0ELb0ES3_jN6thrust23THRUST_200600_302600_NS6detail15normal_iteratorINSA_10device_ptrIyEEEEPS6_SG_NS0_5tupleIJSF_SF_EEENSH_IJSG_SG_EEES6_PlJ7is_evenIyEEEE10hipError_tPvRmT3_T4_T5_T6_T7_T9_mT8_P12ihipStream_tbDpT10_ENKUlT_T0_E_clISt17integral_constantIbLb1EES15_IbLb0EEEEDaS11_S12_EUlS11_E_NS1_11comp_targetILNS1_3genE4ELNS1_11target_archE910ELNS1_3gpuE8ELNS1_3repE0EEENS1_30default_config_static_selectorELNS0_4arch9wavefront6targetE1EEEvT1_.kd
    .uniform_work_group_size: 1
    .uses_dynamic_stack: false
    .vgpr_count:     0
    .vgpr_spill_count: 0
    .wavefront_size: 64
  - .agpr_count:     0
    .args:
      - .offset:         0
        .size:           120
        .value_kind:     by_value
    .group_segment_fixed_size: 0
    .kernarg_segment_align: 8
    .kernarg_segment_size: 120
    .language:       OpenCL C
    .language_version:
      - 2
      - 0
    .max_flat_workgroup_size: 128
    .name:           _ZN7rocprim17ROCPRIM_400000_NS6detail17trampoline_kernelINS0_14default_configENS1_25partition_config_selectorILNS1_17partition_subalgoE0EyNS0_10empty_typeEbEEZZNS1_14partition_implILS5_0ELb0ES3_jN6thrust23THRUST_200600_302600_NS6detail15normal_iteratorINSA_10device_ptrIyEEEEPS6_SG_NS0_5tupleIJSF_SF_EEENSH_IJSG_SG_EEES6_PlJ7is_evenIyEEEE10hipError_tPvRmT3_T4_T5_T6_T7_T9_mT8_P12ihipStream_tbDpT10_ENKUlT_T0_E_clISt17integral_constantIbLb1EES15_IbLb0EEEEDaS11_S12_EUlS11_E_NS1_11comp_targetILNS1_3genE3ELNS1_11target_archE908ELNS1_3gpuE7ELNS1_3repE0EEENS1_30default_config_static_selectorELNS0_4arch9wavefront6targetE1EEEvT1_
    .private_segment_fixed_size: 0
    .sgpr_count:     6
    .sgpr_spill_count: 0
    .symbol:         _ZN7rocprim17ROCPRIM_400000_NS6detail17trampoline_kernelINS0_14default_configENS1_25partition_config_selectorILNS1_17partition_subalgoE0EyNS0_10empty_typeEbEEZZNS1_14partition_implILS5_0ELb0ES3_jN6thrust23THRUST_200600_302600_NS6detail15normal_iteratorINSA_10device_ptrIyEEEEPS6_SG_NS0_5tupleIJSF_SF_EEENSH_IJSG_SG_EEES6_PlJ7is_evenIyEEEE10hipError_tPvRmT3_T4_T5_T6_T7_T9_mT8_P12ihipStream_tbDpT10_ENKUlT_T0_E_clISt17integral_constantIbLb1EES15_IbLb0EEEEDaS11_S12_EUlS11_E_NS1_11comp_targetILNS1_3genE3ELNS1_11target_archE908ELNS1_3gpuE7ELNS1_3repE0EEENS1_30default_config_static_selectorELNS0_4arch9wavefront6targetE1EEEvT1_.kd
    .uniform_work_group_size: 1
    .uses_dynamic_stack: false
    .vgpr_count:     0
    .vgpr_spill_count: 0
    .wavefront_size: 64
  - .agpr_count:     0
    .args:
      - .offset:         0
        .size:           120
        .value_kind:     by_value
    .group_segment_fixed_size: 0
    .kernarg_segment_align: 8
    .kernarg_segment_size: 120
    .language:       OpenCL C
    .language_version:
      - 2
      - 0
    .max_flat_workgroup_size: 256
    .name:           _ZN7rocprim17ROCPRIM_400000_NS6detail17trampoline_kernelINS0_14default_configENS1_25partition_config_selectorILNS1_17partition_subalgoE0EyNS0_10empty_typeEbEEZZNS1_14partition_implILS5_0ELb0ES3_jN6thrust23THRUST_200600_302600_NS6detail15normal_iteratorINSA_10device_ptrIyEEEEPS6_SG_NS0_5tupleIJSF_SF_EEENSH_IJSG_SG_EEES6_PlJ7is_evenIyEEEE10hipError_tPvRmT3_T4_T5_T6_T7_T9_mT8_P12ihipStream_tbDpT10_ENKUlT_T0_E_clISt17integral_constantIbLb1EES15_IbLb0EEEEDaS11_S12_EUlS11_E_NS1_11comp_targetILNS1_3genE2ELNS1_11target_archE906ELNS1_3gpuE6ELNS1_3repE0EEENS1_30default_config_static_selectorELNS0_4arch9wavefront6targetE1EEEvT1_
    .private_segment_fixed_size: 0
    .sgpr_count:     6
    .sgpr_spill_count: 0
    .symbol:         _ZN7rocprim17ROCPRIM_400000_NS6detail17trampoline_kernelINS0_14default_configENS1_25partition_config_selectorILNS1_17partition_subalgoE0EyNS0_10empty_typeEbEEZZNS1_14partition_implILS5_0ELb0ES3_jN6thrust23THRUST_200600_302600_NS6detail15normal_iteratorINSA_10device_ptrIyEEEEPS6_SG_NS0_5tupleIJSF_SF_EEENSH_IJSG_SG_EEES6_PlJ7is_evenIyEEEE10hipError_tPvRmT3_T4_T5_T6_T7_T9_mT8_P12ihipStream_tbDpT10_ENKUlT_T0_E_clISt17integral_constantIbLb1EES15_IbLb0EEEEDaS11_S12_EUlS11_E_NS1_11comp_targetILNS1_3genE2ELNS1_11target_archE906ELNS1_3gpuE6ELNS1_3repE0EEENS1_30default_config_static_selectorELNS0_4arch9wavefront6targetE1EEEvT1_.kd
    .uniform_work_group_size: 1
    .uses_dynamic_stack: false
    .vgpr_count:     0
    .vgpr_spill_count: 0
    .wavefront_size: 64
  - .agpr_count:     0
    .args:
      - .offset:         0
        .size:           120
        .value_kind:     by_value
    .group_segment_fixed_size: 0
    .kernarg_segment_align: 8
    .kernarg_segment_size: 120
    .language:       OpenCL C
    .language_version:
      - 2
      - 0
    .max_flat_workgroup_size: 512
    .name:           _ZN7rocprim17ROCPRIM_400000_NS6detail17trampoline_kernelINS0_14default_configENS1_25partition_config_selectorILNS1_17partition_subalgoE0EyNS0_10empty_typeEbEEZZNS1_14partition_implILS5_0ELb0ES3_jN6thrust23THRUST_200600_302600_NS6detail15normal_iteratorINSA_10device_ptrIyEEEEPS6_SG_NS0_5tupleIJSF_SF_EEENSH_IJSG_SG_EEES6_PlJ7is_evenIyEEEE10hipError_tPvRmT3_T4_T5_T6_T7_T9_mT8_P12ihipStream_tbDpT10_ENKUlT_T0_E_clISt17integral_constantIbLb1EES15_IbLb0EEEEDaS11_S12_EUlS11_E_NS1_11comp_targetILNS1_3genE10ELNS1_11target_archE1200ELNS1_3gpuE4ELNS1_3repE0EEENS1_30default_config_static_selectorELNS0_4arch9wavefront6targetE1EEEvT1_
    .private_segment_fixed_size: 0
    .sgpr_count:     6
    .sgpr_spill_count: 0
    .symbol:         _ZN7rocprim17ROCPRIM_400000_NS6detail17trampoline_kernelINS0_14default_configENS1_25partition_config_selectorILNS1_17partition_subalgoE0EyNS0_10empty_typeEbEEZZNS1_14partition_implILS5_0ELb0ES3_jN6thrust23THRUST_200600_302600_NS6detail15normal_iteratorINSA_10device_ptrIyEEEEPS6_SG_NS0_5tupleIJSF_SF_EEENSH_IJSG_SG_EEES6_PlJ7is_evenIyEEEE10hipError_tPvRmT3_T4_T5_T6_T7_T9_mT8_P12ihipStream_tbDpT10_ENKUlT_T0_E_clISt17integral_constantIbLb1EES15_IbLb0EEEEDaS11_S12_EUlS11_E_NS1_11comp_targetILNS1_3genE10ELNS1_11target_archE1200ELNS1_3gpuE4ELNS1_3repE0EEENS1_30default_config_static_selectorELNS0_4arch9wavefront6targetE1EEEvT1_.kd
    .uniform_work_group_size: 1
    .uses_dynamic_stack: false
    .vgpr_count:     0
    .vgpr_spill_count: 0
    .wavefront_size: 64
  - .agpr_count:     0
    .args:
      - .offset:         0
        .size:           120
        .value_kind:     by_value
    .group_segment_fixed_size: 0
    .kernarg_segment_align: 8
    .kernarg_segment_size: 120
    .language:       OpenCL C
    .language_version:
      - 2
      - 0
    .max_flat_workgroup_size: 512
    .name:           _ZN7rocprim17ROCPRIM_400000_NS6detail17trampoline_kernelINS0_14default_configENS1_25partition_config_selectorILNS1_17partition_subalgoE0EyNS0_10empty_typeEbEEZZNS1_14partition_implILS5_0ELb0ES3_jN6thrust23THRUST_200600_302600_NS6detail15normal_iteratorINSA_10device_ptrIyEEEEPS6_SG_NS0_5tupleIJSF_SF_EEENSH_IJSG_SG_EEES6_PlJ7is_evenIyEEEE10hipError_tPvRmT3_T4_T5_T6_T7_T9_mT8_P12ihipStream_tbDpT10_ENKUlT_T0_E_clISt17integral_constantIbLb1EES15_IbLb0EEEEDaS11_S12_EUlS11_E_NS1_11comp_targetILNS1_3genE9ELNS1_11target_archE1100ELNS1_3gpuE3ELNS1_3repE0EEENS1_30default_config_static_selectorELNS0_4arch9wavefront6targetE1EEEvT1_
    .private_segment_fixed_size: 0
    .sgpr_count:     6
    .sgpr_spill_count: 0
    .symbol:         _ZN7rocprim17ROCPRIM_400000_NS6detail17trampoline_kernelINS0_14default_configENS1_25partition_config_selectorILNS1_17partition_subalgoE0EyNS0_10empty_typeEbEEZZNS1_14partition_implILS5_0ELb0ES3_jN6thrust23THRUST_200600_302600_NS6detail15normal_iteratorINSA_10device_ptrIyEEEEPS6_SG_NS0_5tupleIJSF_SF_EEENSH_IJSG_SG_EEES6_PlJ7is_evenIyEEEE10hipError_tPvRmT3_T4_T5_T6_T7_T9_mT8_P12ihipStream_tbDpT10_ENKUlT_T0_E_clISt17integral_constantIbLb1EES15_IbLb0EEEEDaS11_S12_EUlS11_E_NS1_11comp_targetILNS1_3genE9ELNS1_11target_archE1100ELNS1_3gpuE3ELNS1_3repE0EEENS1_30default_config_static_selectorELNS0_4arch9wavefront6targetE1EEEvT1_.kd
    .uniform_work_group_size: 1
    .uses_dynamic_stack: false
    .vgpr_count:     0
    .vgpr_spill_count: 0
    .wavefront_size: 64
  - .agpr_count:     0
    .args:
      - .offset:         0
        .size:           120
        .value_kind:     by_value
    .group_segment_fixed_size: 0
    .kernarg_segment_align: 8
    .kernarg_segment_size: 120
    .language:       OpenCL C
    .language_version:
      - 2
      - 0
    .max_flat_workgroup_size: 512
    .name:           _ZN7rocprim17ROCPRIM_400000_NS6detail17trampoline_kernelINS0_14default_configENS1_25partition_config_selectorILNS1_17partition_subalgoE0EyNS0_10empty_typeEbEEZZNS1_14partition_implILS5_0ELb0ES3_jN6thrust23THRUST_200600_302600_NS6detail15normal_iteratorINSA_10device_ptrIyEEEEPS6_SG_NS0_5tupleIJSF_SF_EEENSH_IJSG_SG_EEES6_PlJ7is_evenIyEEEE10hipError_tPvRmT3_T4_T5_T6_T7_T9_mT8_P12ihipStream_tbDpT10_ENKUlT_T0_E_clISt17integral_constantIbLb1EES15_IbLb0EEEEDaS11_S12_EUlS11_E_NS1_11comp_targetILNS1_3genE8ELNS1_11target_archE1030ELNS1_3gpuE2ELNS1_3repE0EEENS1_30default_config_static_selectorELNS0_4arch9wavefront6targetE1EEEvT1_
    .private_segment_fixed_size: 0
    .sgpr_count:     6
    .sgpr_spill_count: 0
    .symbol:         _ZN7rocprim17ROCPRIM_400000_NS6detail17trampoline_kernelINS0_14default_configENS1_25partition_config_selectorILNS1_17partition_subalgoE0EyNS0_10empty_typeEbEEZZNS1_14partition_implILS5_0ELb0ES3_jN6thrust23THRUST_200600_302600_NS6detail15normal_iteratorINSA_10device_ptrIyEEEEPS6_SG_NS0_5tupleIJSF_SF_EEENSH_IJSG_SG_EEES6_PlJ7is_evenIyEEEE10hipError_tPvRmT3_T4_T5_T6_T7_T9_mT8_P12ihipStream_tbDpT10_ENKUlT_T0_E_clISt17integral_constantIbLb1EES15_IbLb0EEEEDaS11_S12_EUlS11_E_NS1_11comp_targetILNS1_3genE8ELNS1_11target_archE1030ELNS1_3gpuE2ELNS1_3repE0EEENS1_30default_config_static_selectorELNS0_4arch9wavefront6targetE1EEEvT1_.kd
    .uniform_work_group_size: 1
    .uses_dynamic_stack: false
    .vgpr_count:     0
    .vgpr_spill_count: 0
    .wavefront_size: 64
  - .agpr_count:     0
    .args:
      - .offset:         0
        .size:           136
        .value_kind:     by_value
    .group_segment_fixed_size: 0
    .kernarg_segment_align: 8
    .kernarg_segment_size: 136
    .language:       OpenCL C
    .language_version:
      - 2
      - 0
    .max_flat_workgroup_size: 128
    .name:           _ZN7rocprim17ROCPRIM_400000_NS6detail17trampoline_kernelINS0_14default_configENS1_25partition_config_selectorILNS1_17partition_subalgoE0EyNS0_10empty_typeEbEEZZNS1_14partition_implILS5_0ELb0ES3_jN6thrust23THRUST_200600_302600_NS6detail15normal_iteratorINSA_10device_ptrIyEEEEPS6_SG_NS0_5tupleIJSF_SF_EEENSH_IJSG_SG_EEES6_PlJ7is_evenIyEEEE10hipError_tPvRmT3_T4_T5_T6_T7_T9_mT8_P12ihipStream_tbDpT10_ENKUlT_T0_E_clISt17integral_constantIbLb0EES15_IbLb1EEEEDaS11_S12_EUlS11_E_NS1_11comp_targetILNS1_3genE0ELNS1_11target_archE4294967295ELNS1_3gpuE0ELNS1_3repE0EEENS1_30default_config_static_selectorELNS0_4arch9wavefront6targetE1EEEvT1_
    .private_segment_fixed_size: 0
    .sgpr_count:     6
    .sgpr_spill_count: 0
    .symbol:         _ZN7rocprim17ROCPRIM_400000_NS6detail17trampoline_kernelINS0_14default_configENS1_25partition_config_selectorILNS1_17partition_subalgoE0EyNS0_10empty_typeEbEEZZNS1_14partition_implILS5_0ELb0ES3_jN6thrust23THRUST_200600_302600_NS6detail15normal_iteratorINSA_10device_ptrIyEEEEPS6_SG_NS0_5tupleIJSF_SF_EEENSH_IJSG_SG_EEES6_PlJ7is_evenIyEEEE10hipError_tPvRmT3_T4_T5_T6_T7_T9_mT8_P12ihipStream_tbDpT10_ENKUlT_T0_E_clISt17integral_constantIbLb0EES15_IbLb1EEEEDaS11_S12_EUlS11_E_NS1_11comp_targetILNS1_3genE0ELNS1_11target_archE4294967295ELNS1_3gpuE0ELNS1_3repE0EEENS1_30default_config_static_selectorELNS0_4arch9wavefront6targetE1EEEvT1_.kd
    .uniform_work_group_size: 1
    .uses_dynamic_stack: false
    .vgpr_count:     0
    .vgpr_spill_count: 0
    .wavefront_size: 64
  - .agpr_count:     0
    .args:
      - .offset:         0
        .size:           136
        .value_kind:     by_value
    .group_segment_fixed_size: 28680
    .kernarg_segment_align: 8
    .kernarg_segment_size: 136
    .language:       OpenCL C
    .language_version:
      - 2
      - 0
    .max_flat_workgroup_size: 512
    .name:           _ZN7rocprim17ROCPRIM_400000_NS6detail17trampoline_kernelINS0_14default_configENS1_25partition_config_selectorILNS1_17partition_subalgoE0EyNS0_10empty_typeEbEEZZNS1_14partition_implILS5_0ELb0ES3_jN6thrust23THRUST_200600_302600_NS6detail15normal_iteratorINSA_10device_ptrIyEEEEPS6_SG_NS0_5tupleIJSF_SF_EEENSH_IJSG_SG_EEES6_PlJ7is_evenIyEEEE10hipError_tPvRmT3_T4_T5_T6_T7_T9_mT8_P12ihipStream_tbDpT10_ENKUlT_T0_E_clISt17integral_constantIbLb0EES15_IbLb1EEEEDaS11_S12_EUlS11_E_NS1_11comp_targetILNS1_3genE5ELNS1_11target_archE942ELNS1_3gpuE9ELNS1_3repE0EEENS1_30default_config_static_selectorELNS0_4arch9wavefront6targetE1EEEvT1_
    .private_segment_fixed_size: 0
    .sgpr_count:     50
    .sgpr_spill_count: 0
    .symbol:         _ZN7rocprim17ROCPRIM_400000_NS6detail17trampoline_kernelINS0_14default_configENS1_25partition_config_selectorILNS1_17partition_subalgoE0EyNS0_10empty_typeEbEEZZNS1_14partition_implILS5_0ELb0ES3_jN6thrust23THRUST_200600_302600_NS6detail15normal_iteratorINSA_10device_ptrIyEEEEPS6_SG_NS0_5tupleIJSF_SF_EEENSH_IJSG_SG_EEES6_PlJ7is_evenIyEEEE10hipError_tPvRmT3_T4_T5_T6_T7_T9_mT8_P12ihipStream_tbDpT10_ENKUlT_T0_E_clISt17integral_constantIbLb0EES15_IbLb1EEEEDaS11_S12_EUlS11_E_NS1_11comp_targetILNS1_3genE5ELNS1_11target_archE942ELNS1_3gpuE9ELNS1_3repE0EEENS1_30default_config_static_selectorELNS0_4arch9wavefront6targetE1EEEvT1_.kd
    .uniform_work_group_size: 1
    .uses_dynamic_stack: false
    .vgpr_count:     61
    .vgpr_spill_count: 0
    .wavefront_size: 64
  - .agpr_count:     0
    .args:
      - .offset:         0
        .size:           136
        .value_kind:     by_value
    .group_segment_fixed_size: 0
    .kernarg_segment_align: 8
    .kernarg_segment_size: 136
    .language:       OpenCL C
    .language_version:
      - 2
      - 0
    .max_flat_workgroup_size: 192
    .name:           _ZN7rocprim17ROCPRIM_400000_NS6detail17trampoline_kernelINS0_14default_configENS1_25partition_config_selectorILNS1_17partition_subalgoE0EyNS0_10empty_typeEbEEZZNS1_14partition_implILS5_0ELb0ES3_jN6thrust23THRUST_200600_302600_NS6detail15normal_iteratorINSA_10device_ptrIyEEEEPS6_SG_NS0_5tupleIJSF_SF_EEENSH_IJSG_SG_EEES6_PlJ7is_evenIyEEEE10hipError_tPvRmT3_T4_T5_T6_T7_T9_mT8_P12ihipStream_tbDpT10_ENKUlT_T0_E_clISt17integral_constantIbLb0EES15_IbLb1EEEEDaS11_S12_EUlS11_E_NS1_11comp_targetILNS1_3genE4ELNS1_11target_archE910ELNS1_3gpuE8ELNS1_3repE0EEENS1_30default_config_static_selectorELNS0_4arch9wavefront6targetE1EEEvT1_
    .private_segment_fixed_size: 0
    .sgpr_count:     6
    .sgpr_spill_count: 0
    .symbol:         _ZN7rocprim17ROCPRIM_400000_NS6detail17trampoline_kernelINS0_14default_configENS1_25partition_config_selectorILNS1_17partition_subalgoE0EyNS0_10empty_typeEbEEZZNS1_14partition_implILS5_0ELb0ES3_jN6thrust23THRUST_200600_302600_NS6detail15normal_iteratorINSA_10device_ptrIyEEEEPS6_SG_NS0_5tupleIJSF_SF_EEENSH_IJSG_SG_EEES6_PlJ7is_evenIyEEEE10hipError_tPvRmT3_T4_T5_T6_T7_T9_mT8_P12ihipStream_tbDpT10_ENKUlT_T0_E_clISt17integral_constantIbLb0EES15_IbLb1EEEEDaS11_S12_EUlS11_E_NS1_11comp_targetILNS1_3genE4ELNS1_11target_archE910ELNS1_3gpuE8ELNS1_3repE0EEENS1_30default_config_static_selectorELNS0_4arch9wavefront6targetE1EEEvT1_.kd
    .uniform_work_group_size: 1
    .uses_dynamic_stack: false
    .vgpr_count:     0
    .vgpr_spill_count: 0
    .wavefront_size: 64
  - .agpr_count:     0
    .args:
      - .offset:         0
        .size:           136
        .value_kind:     by_value
    .group_segment_fixed_size: 0
    .kernarg_segment_align: 8
    .kernarg_segment_size: 136
    .language:       OpenCL C
    .language_version:
      - 2
      - 0
    .max_flat_workgroup_size: 128
    .name:           _ZN7rocprim17ROCPRIM_400000_NS6detail17trampoline_kernelINS0_14default_configENS1_25partition_config_selectorILNS1_17partition_subalgoE0EyNS0_10empty_typeEbEEZZNS1_14partition_implILS5_0ELb0ES3_jN6thrust23THRUST_200600_302600_NS6detail15normal_iteratorINSA_10device_ptrIyEEEEPS6_SG_NS0_5tupleIJSF_SF_EEENSH_IJSG_SG_EEES6_PlJ7is_evenIyEEEE10hipError_tPvRmT3_T4_T5_T6_T7_T9_mT8_P12ihipStream_tbDpT10_ENKUlT_T0_E_clISt17integral_constantIbLb0EES15_IbLb1EEEEDaS11_S12_EUlS11_E_NS1_11comp_targetILNS1_3genE3ELNS1_11target_archE908ELNS1_3gpuE7ELNS1_3repE0EEENS1_30default_config_static_selectorELNS0_4arch9wavefront6targetE1EEEvT1_
    .private_segment_fixed_size: 0
    .sgpr_count:     6
    .sgpr_spill_count: 0
    .symbol:         _ZN7rocprim17ROCPRIM_400000_NS6detail17trampoline_kernelINS0_14default_configENS1_25partition_config_selectorILNS1_17partition_subalgoE0EyNS0_10empty_typeEbEEZZNS1_14partition_implILS5_0ELb0ES3_jN6thrust23THRUST_200600_302600_NS6detail15normal_iteratorINSA_10device_ptrIyEEEEPS6_SG_NS0_5tupleIJSF_SF_EEENSH_IJSG_SG_EEES6_PlJ7is_evenIyEEEE10hipError_tPvRmT3_T4_T5_T6_T7_T9_mT8_P12ihipStream_tbDpT10_ENKUlT_T0_E_clISt17integral_constantIbLb0EES15_IbLb1EEEEDaS11_S12_EUlS11_E_NS1_11comp_targetILNS1_3genE3ELNS1_11target_archE908ELNS1_3gpuE7ELNS1_3repE0EEENS1_30default_config_static_selectorELNS0_4arch9wavefront6targetE1EEEvT1_.kd
    .uniform_work_group_size: 1
    .uses_dynamic_stack: false
    .vgpr_count:     0
    .vgpr_spill_count: 0
    .wavefront_size: 64
  - .agpr_count:     0
    .args:
      - .offset:         0
        .size:           136
        .value_kind:     by_value
    .group_segment_fixed_size: 0
    .kernarg_segment_align: 8
    .kernarg_segment_size: 136
    .language:       OpenCL C
    .language_version:
      - 2
      - 0
    .max_flat_workgroup_size: 256
    .name:           _ZN7rocprim17ROCPRIM_400000_NS6detail17trampoline_kernelINS0_14default_configENS1_25partition_config_selectorILNS1_17partition_subalgoE0EyNS0_10empty_typeEbEEZZNS1_14partition_implILS5_0ELb0ES3_jN6thrust23THRUST_200600_302600_NS6detail15normal_iteratorINSA_10device_ptrIyEEEEPS6_SG_NS0_5tupleIJSF_SF_EEENSH_IJSG_SG_EEES6_PlJ7is_evenIyEEEE10hipError_tPvRmT3_T4_T5_T6_T7_T9_mT8_P12ihipStream_tbDpT10_ENKUlT_T0_E_clISt17integral_constantIbLb0EES15_IbLb1EEEEDaS11_S12_EUlS11_E_NS1_11comp_targetILNS1_3genE2ELNS1_11target_archE906ELNS1_3gpuE6ELNS1_3repE0EEENS1_30default_config_static_selectorELNS0_4arch9wavefront6targetE1EEEvT1_
    .private_segment_fixed_size: 0
    .sgpr_count:     6
    .sgpr_spill_count: 0
    .symbol:         _ZN7rocprim17ROCPRIM_400000_NS6detail17trampoline_kernelINS0_14default_configENS1_25partition_config_selectorILNS1_17partition_subalgoE0EyNS0_10empty_typeEbEEZZNS1_14partition_implILS5_0ELb0ES3_jN6thrust23THRUST_200600_302600_NS6detail15normal_iteratorINSA_10device_ptrIyEEEEPS6_SG_NS0_5tupleIJSF_SF_EEENSH_IJSG_SG_EEES6_PlJ7is_evenIyEEEE10hipError_tPvRmT3_T4_T5_T6_T7_T9_mT8_P12ihipStream_tbDpT10_ENKUlT_T0_E_clISt17integral_constantIbLb0EES15_IbLb1EEEEDaS11_S12_EUlS11_E_NS1_11comp_targetILNS1_3genE2ELNS1_11target_archE906ELNS1_3gpuE6ELNS1_3repE0EEENS1_30default_config_static_selectorELNS0_4arch9wavefront6targetE1EEEvT1_.kd
    .uniform_work_group_size: 1
    .uses_dynamic_stack: false
    .vgpr_count:     0
    .vgpr_spill_count: 0
    .wavefront_size: 64
  - .agpr_count:     0
    .args:
      - .offset:         0
        .size:           136
        .value_kind:     by_value
    .group_segment_fixed_size: 0
    .kernarg_segment_align: 8
    .kernarg_segment_size: 136
    .language:       OpenCL C
    .language_version:
      - 2
      - 0
    .max_flat_workgroup_size: 512
    .name:           _ZN7rocprim17ROCPRIM_400000_NS6detail17trampoline_kernelINS0_14default_configENS1_25partition_config_selectorILNS1_17partition_subalgoE0EyNS0_10empty_typeEbEEZZNS1_14partition_implILS5_0ELb0ES3_jN6thrust23THRUST_200600_302600_NS6detail15normal_iteratorINSA_10device_ptrIyEEEEPS6_SG_NS0_5tupleIJSF_SF_EEENSH_IJSG_SG_EEES6_PlJ7is_evenIyEEEE10hipError_tPvRmT3_T4_T5_T6_T7_T9_mT8_P12ihipStream_tbDpT10_ENKUlT_T0_E_clISt17integral_constantIbLb0EES15_IbLb1EEEEDaS11_S12_EUlS11_E_NS1_11comp_targetILNS1_3genE10ELNS1_11target_archE1200ELNS1_3gpuE4ELNS1_3repE0EEENS1_30default_config_static_selectorELNS0_4arch9wavefront6targetE1EEEvT1_
    .private_segment_fixed_size: 0
    .sgpr_count:     6
    .sgpr_spill_count: 0
    .symbol:         _ZN7rocprim17ROCPRIM_400000_NS6detail17trampoline_kernelINS0_14default_configENS1_25partition_config_selectorILNS1_17partition_subalgoE0EyNS0_10empty_typeEbEEZZNS1_14partition_implILS5_0ELb0ES3_jN6thrust23THRUST_200600_302600_NS6detail15normal_iteratorINSA_10device_ptrIyEEEEPS6_SG_NS0_5tupleIJSF_SF_EEENSH_IJSG_SG_EEES6_PlJ7is_evenIyEEEE10hipError_tPvRmT3_T4_T5_T6_T7_T9_mT8_P12ihipStream_tbDpT10_ENKUlT_T0_E_clISt17integral_constantIbLb0EES15_IbLb1EEEEDaS11_S12_EUlS11_E_NS1_11comp_targetILNS1_3genE10ELNS1_11target_archE1200ELNS1_3gpuE4ELNS1_3repE0EEENS1_30default_config_static_selectorELNS0_4arch9wavefront6targetE1EEEvT1_.kd
    .uniform_work_group_size: 1
    .uses_dynamic_stack: false
    .vgpr_count:     0
    .vgpr_spill_count: 0
    .wavefront_size: 64
  - .agpr_count:     0
    .args:
      - .offset:         0
        .size:           136
        .value_kind:     by_value
    .group_segment_fixed_size: 0
    .kernarg_segment_align: 8
    .kernarg_segment_size: 136
    .language:       OpenCL C
    .language_version:
      - 2
      - 0
    .max_flat_workgroup_size: 512
    .name:           _ZN7rocprim17ROCPRIM_400000_NS6detail17trampoline_kernelINS0_14default_configENS1_25partition_config_selectorILNS1_17partition_subalgoE0EyNS0_10empty_typeEbEEZZNS1_14partition_implILS5_0ELb0ES3_jN6thrust23THRUST_200600_302600_NS6detail15normal_iteratorINSA_10device_ptrIyEEEEPS6_SG_NS0_5tupleIJSF_SF_EEENSH_IJSG_SG_EEES6_PlJ7is_evenIyEEEE10hipError_tPvRmT3_T4_T5_T6_T7_T9_mT8_P12ihipStream_tbDpT10_ENKUlT_T0_E_clISt17integral_constantIbLb0EES15_IbLb1EEEEDaS11_S12_EUlS11_E_NS1_11comp_targetILNS1_3genE9ELNS1_11target_archE1100ELNS1_3gpuE3ELNS1_3repE0EEENS1_30default_config_static_selectorELNS0_4arch9wavefront6targetE1EEEvT1_
    .private_segment_fixed_size: 0
    .sgpr_count:     6
    .sgpr_spill_count: 0
    .symbol:         _ZN7rocprim17ROCPRIM_400000_NS6detail17trampoline_kernelINS0_14default_configENS1_25partition_config_selectorILNS1_17partition_subalgoE0EyNS0_10empty_typeEbEEZZNS1_14partition_implILS5_0ELb0ES3_jN6thrust23THRUST_200600_302600_NS6detail15normal_iteratorINSA_10device_ptrIyEEEEPS6_SG_NS0_5tupleIJSF_SF_EEENSH_IJSG_SG_EEES6_PlJ7is_evenIyEEEE10hipError_tPvRmT3_T4_T5_T6_T7_T9_mT8_P12ihipStream_tbDpT10_ENKUlT_T0_E_clISt17integral_constantIbLb0EES15_IbLb1EEEEDaS11_S12_EUlS11_E_NS1_11comp_targetILNS1_3genE9ELNS1_11target_archE1100ELNS1_3gpuE3ELNS1_3repE0EEENS1_30default_config_static_selectorELNS0_4arch9wavefront6targetE1EEEvT1_.kd
    .uniform_work_group_size: 1
    .uses_dynamic_stack: false
    .vgpr_count:     0
    .vgpr_spill_count: 0
    .wavefront_size: 64
  - .agpr_count:     0
    .args:
      - .offset:         0
        .size:           136
        .value_kind:     by_value
    .group_segment_fixed_size: 0
    .kernarg_segment_align: 8
    .kernarg_segment_size: 136
    .language:       OpenCL C
    .language_version:
      - 2
      - 0
    .max_flat_workgroup_size: 512
    .name:           _ZN7rocprim17ROCPRIM_400000_NS6detail17trampoline_kernelINS0_14default_configENS1_25partition_config_selectorILNS1_17partition_subalgoE0EyNS0_10empty_typeEbEEZZNS1_14partition_implILS5_0ELb0ES3_jN6thrust23THRUST_200600_302600_NS6detail15normal_iteratorINSA_10device_ptrIyEEEEPS6_SG_NS0_5tupleIJSF_SF_EEENSH_IJSG_SG_EEES6_PlJ7is_evenIyEEEE10hipError_tPvRmT3_T4_T5_T6_T7_T9_mT8_P12ihipStream_tbDpT10_ENKUlT_T0_E_clISt17integral_constantIbLb0EES15_IbLb1EEEEDaS11_S12_EUlS11_E_NS1_11comp_targetILNS1_3genE8ELNS1_11target_archE1030ELNS1_3gpuE2ELNS1_3repE0EEENS1_30default_config_static_selectorELNS0_4arch9wavefront6targetE1EEEvT1_
    .private_segment_fixed_size: 0
    .sgpr_count:     6
    .sgpr_spill_count: 0
    .symbol:         _ZN7rocprim17ROCPRIM_400000_NS6detail17trampoline_kernelINS0_14default_configENS1_25partition_config_selectorILNS1_17partition_subalgoE0EyNS0_10empty_typeEbEEZZNS1_14partition_implILS5_0ELb0ES3_jN6thrust23THRUST_200600_302600_NS6detail15normal_iteratorINSA_10device_ptrIyEEEEPS6_SG_NS0_5tupleIJSF_SF_EEENSH_IJSG_SG_EEES6_PlJ7is_evenIyEEEE10hipError_tPvRmT3_T4_T5_T6_T7_T9_mT8_P12ihipStream_tbDpT10_ENKUlT_T0_E_clISt17integral_constantIbLb0EES15_IbLb1EEEEDaS11_S12_EUlS11_E_NS1_11comp_targetILNS1_3genE8ELNS1_11target_archE1030ELNS1_3gpuE2ELNS1_3repE0EEENS1_30default_config_static_selectorELNS0_4arch9wavefront6targetE1EEEvT1_.kd
    .uniform_work_group_size: 1
    .uses_dynamic_stack: false
    .vgpr_count:     0
    .vgpr_spill_count: 0
    .wavefront_size: 64
  - .agpr_count:     0
    .args:
      - .offset:         0
        .size:           16
        .value_kind:     by_value
      - .offset:         16
        .size:           8
        .value_kind:     by_value
      - .offset:         24
        .size:           8
        .value_kind:     by_value
    .group_segment_fixed_size: 0
    .kernarg_segment_align: 8
    .kernarg_segment_size: 32
    .language:       OpenCL C
    .language_version:
      - 2
      - 0
    .max_flat_workgroup_size: 256
    .name:           _ZN6thrust23THRUST_200600_302600_NS11hip_rocprim14__parallel_for6kernelILj256ENS1_20__uninitialized_fill7functorINS0_10device_ptrIjEEjEEmLj1EEEvT0_T1_SA_
    .private_segment_fixed_size: 0
    .sgpr_count:     14
    .sgpr_spill_count: 0
    .symbol:         _ZN6thrust23THRUST_200600_302600_NS11hip_rocprim14__parallel_for6kernelILj256ENS1_20__uninitialized_fill7functorINS0_10device_ptrIjEEjEEmLj1EEEvT0_T1_SA_.kd
    .uniform_work_group_size: 1
    .uses_dynamic_stack: false
    .vgpr_count:     4
    .vgpr_spill_count: 0
    .wavefront_size: 64
  - .agpr_count:     0
    .args:
      - .offset:         0
        .size:           120
        .value_kind:     by_value
    .group_segment_fixed_size: 0
    .kernarg_segment_align: 8
    .kernarg_segment_size: 120
    .language:       OpenCL C
    .language_version:
      - 2
      - 0
    .max_flat_workgroup_size: 256
    .name:           _ZN7rocprim17ROCPRIM_400000_NS6detail17trampoline_kernelINS0_14default_configENS1_25partition_config_selectorILNS1_17partition_subalgoE0EjNS0_10empty_typeEbEEZZNS1_14partition_implILS5_0ELb0ES3_jN6thrust23THRUST_200600_302600_NS6detail15normal_iteratorINSA_10device_ptrIjEEEEPS6_SG_NS0_5tupleIJSF_SF_EEENSH_IJSG_SG_EEES6_PlJ7is_evenIjEEEE10hipError_tPvRmT3_T4_T5_T6_T7_T9_mT8_P12ihipStream_tbDpT10_ENKUlT_T0_E_clISt17integral_constantIbLb0EES16_EEDaS11_S12_EUlS11_E_NS1_11comp_targetILNS1_3genE0ELNS1_11target_archE4294967295ELNS1_3gpuE0ELNS1_3repE0EEENS1_30default_config_static_selectorELNS0_4arch9wavefront6targetE1EEEvT1_
    .private_segment_fixed_size: 0
    .sgpr_count:     6
    .sgpr_spill_count: 0
    .symbol:         _ZN7rocprim17ROCPRIM_400000_NS6detail17trampoline_kernelINS0_14default_configENS1_25partition_config_selectorILNS1_17partition_subalgoE0EjNS0_10empty_typeEbEEZZNS1_14partition_implILS5_0ELb0ES3_jN6thrust23THRUST_200600_302600_NS6detail15normal_iteratorINSA_10device_ptrIjEEEEPS6_SG_NS0_5tupleIJSF_SF_EEENSH_IJSG_SG_EEES6_PlJ7is_evenIjEEEE10hipError_tPvRmT3_T4_T5_T6_T7_T9_mT8_P12ihipStream_tbDpT10_ENKUlT_T0_E_clISt17integral_constantIbLb0EES16_EEDaS11_S12_EUlS11_E_NS1_11comp_targetILNS1_3genE0ELNS1_11target_archE4294967295ELNS1_3gpuE0ELNS1_3repE0EEENS1_30default_config_static_selectorELNS0_4arch9wavefront6targetE1EEEvT1_.kd
    .uniform_work_group_size: 1
    .uses_dynamic_stack: false
    .vgpr_count:     0
    .vgpr_spill_count: 0
    .wavefront_size: 64
  - .agpr_count:     0
    .args:
      - .offset:         0
        .size:           120
        .value_kind:     by_value
    .group_segment_fixed_size: 30728
    .kernarg_segment_align: 8
    .kernarg_segment_size: 120
    .language:       OpenCL C
    .language_version:
      - 2
      - 0
    .max_flat_workgroup_size: 512
    .name:           _ZN7rocprim17ROCPRIM_400000_NS6detail17trampoline_kernelINS0_14default_configENS1_25partition_config_selectorILNS1_17partition_subalgoE0EjNS0_10empty_typeEbEEZZNS1_14partition_implILS5_0ELb0ES3_jN6thrust23THRUST_200600_302600_NS6detail15normal_iteratorINSA_10device_ptrIjEEEEPS6_SG_NS0_5tupleIJSF_SF_EEENSH_IJSG_SG_EEES6_PlJ7is_evenIjEEEE10hipError_tPvRmT3_T4_T5_T6_T7_T9_mT8_P12ihipStream_tbDpT10_ENKUlT_T0_E_clISt17integral_constantIbLb0EES16_EEDaS11_S12_EUlS11_E_NS1_11comp_targetILNS1_3genE5ELNS1_11target_archE942ELNS1_3gpuE9ELNS1_3repE0EEENS1_30default_config_static_selectorELNS0_4arch9wavefront6targetE1EEEvT1_
    .private_segment_fixed_size: 0
    .sgpr_count:     50
    .sgpr_spill_count: 0
    .symbol:         _ZN7rocprim17ROCPRIM_400000_NS6detail17trampoline_kernelINS0_14default_configENS1_25partition_config_selectorILNS1_17partition_subalgoE0EjNS0_10empty_typeEbEEZZNS1_14partition_implILS5_0ELb0ES3_jN6thrust23THRUST_200600_302600_NS6detail15normal_iteratorINSA_10device_ptrIjEEEEPS6_SG_NS0_5tupleIJSF_SF_EEENSH_IJSG_SG_EEES6_PlJ7is_evenIjEEEE10hipError_tPvRmT3_T4_T5_T6_T7_T9_mT8_P12ihipStream_tbDpT10_ENKUlT_T0_E_clISt17integral_constantIbLb0EES16_EEDaS11_S12_EUlS11_E_NS1_11comp_targetILNS1_3genE5ELNS1_11target_archE942ELNS1_3gpuE9ELNS1_3repE0EEENS1_30default_config_static_selectorELNS0_4arch9wavefront6targetE1EEEvT1_.kd
    .uniform_work_group_size: 1
    .uses_dynamic_stack: false
    .vgpr_count:     76
    .vgpr_spill_count: 0
    .wavefront_size: 64
  - .agpr_count:     0
    .args:
      - .offset:         0
        .size:           120
        .value_kind:     by_value
    .group_segment_fixed_size: 0
    .kernarg_segment_align: 8
    .kernarg_segment_size: 120
    .language:       OpenCL C
    .language_version:
      - 2
      - 0
    .max_flat_workgroup_size: 256
    .name:           _ZN7rocprim17ROCPRIM_400000_NS6detail17trampoline_kernelINS0_14default_configENS1_25partition_config_selectorILNS1_17partition_subalgoE0EjNS0_10empty_typeEbEEZZNS1_14partition_implILS5_0ELb0ES3_jN6thrust23THRUST_200600_302600_NS6detail15normal_iteratorINSA_10device_ptrIjEEEEPS6_SG_NS0_5tupleIJSF_SF_EEENSH_IJSG_SG_EEES6_PlJ7is_evenIjEEEE10hipError_tPvRmT3_T4_T5_T6_T7_T9_mT8_P12ihipStream_tbDpT10_ENKUlT_T0_E_clISt17integral_constantIbLb0EES16_EEDaS11_S12_EUlS11_E_NS1_11comp_targetILNS1_3genE4ELNS1_11target_archE910ELNS1_3gpuE8ELNS1_3repE0EEENS1_30default_config_static_selectorELNS0_4arch9wavefront6targetE1EEEvT1_
    .private_segment_fixed_size: 0
    .sgpr_count:     6
    .sgpr_spill_count: 0
    .symbol:         _ZN7rocprim17ROCPRIM_400000_NS6detail17trampoline_kernelINS0_14default_configENS1_25partition_config_selectorILNS1_17partition_subalgoE0EjNS0_10empty_typeEbEEZZNS1_14partition_implILS5_0ELb0ES3_jN6thrust23THRUST_200600_302600_NS6detail15normal_iteratorINSA_10device_ptrIjEEEEPS6_SG_NS0_5tupleIJSF_SF_EEENSH_IJSG_SG_EEES6_PlJ7is_evenIjEEEE10hipError_tPvRmT3_T4_T5_T6_T7_T9_mT8_P12ihipStream_tbDpT10_ENKUlT_T0_E_clISt17integral_constantIbLb0EES16_EEDaS11_S12_EUlS11_E_NS1_11comp_targetILNS1_3genE4ELNS1_11target_archE910ELNS1_3gpuE8ELNS1_3repE0EEENS1_30default_config_static_selectorELNS0_4arch9wavefront6targetE1EEEvT1_.kd
    .uniform_work_group_size: 1
    .uses_dynamic_stack: false
    .vgpr_count:     0
    .vgpr_spill_count: 0
    .wavefront_size: 64
  - .agpr_count:     0
    .args:
      - .offset:         0
        .size:           120
        .value_kind:     by_value
    .group_segment_fixed_size: 0
    .kernarg_segment_align: 8
    .kernarg_segment_size: 120
    .language:       OpenCL C
    .language_version:
      - 2
      - 0
    .max_flat_workgroup_size: 256
    .name:           _ZN7rocprim17ROCPRIM_400000_NS6detail17trampoline_kernelINS0_14default_configENS1_25partition_config_selectorILNS1_17partition_subalgoE0EjNS0_10empty_typeEbEEZZNS1_14partition_implILS5_0ELb0ES3_jN6thrust23THRUST_200600_302600_NS6detail15normal_iteratorINSA_10device_ptrIjEEEEPS6_SG_NS0_5tupleIJSF_SF_EEENSH_IJSG_SG_EEES6_PlJ7is_evenIjEEEE10hipError_tPvRmT3_T4_T5_T6_T7_T9_mT8_P12ihipStream_tbDpT10_ENKUlT_T0_E_clISt17integral_constantIbLb0EES16_EEDaS11_S12_EUlS11_E_NS1_11comp_targetILNS1_3genE3ELNS1_11target_archE908ELNS1_3gpuE7ELNS1_3repE0EEENS1_30default_config_static_selectorELNS0_4arch9wavefront6targetE1EEEvT1_
    .private_segment_fixed_size: 0
    .sgpr_count:     6
    .sgpr_spill_count: 0
    .symbol:         _ZN7rocprim17ROCPRIM_400000_NS6detail17trampoline_kernelINS0_14default_configENS1_25partition_config_selectorILNS1_17partition_subalgoE0EjNS0_10empty_typeEbEEZZNS1_14partition_implILS5_0ELb0ES3_jN6thrust23THRUST_200600_302600_NS6detail15normal_iteratorINSA_10device_ptrIjEEEEPS6_SG_NS0_5tupleIJSF_SF_EEENSH_IJSG_SG_EEES6_PlJ7is_evenIjEEEE10hipError_tPvRmT3_T4_T5_T6_T7_T9_mT8_P12ihipStream_tbDpT10_ENKUlT_T0_E_clISt17integral_constantIbLb0EES16_EEDaS11_S12_EUlS11_E_NS1_11comp_targetILNS1_3genE3ELNS1_11target_archE908ELNS1_3gpuE7ELNS1_3repE0EEENS1_30default_config_static_selectorELNS0_4arch9wavefront6targetE1EEEvT1_.kd
    .uniform_work_group_size: 1
    .uses_dynamic_stack: false
    .vgpr_count:     0
    .vgpr_spill_count: 0
    .wavefront_size: 64
  - .agpr_count:     0
    .args:
      - .offset:         0
        .size:           120
        .value_kind:     by_value
    .group_segment_fixed_size: 0
    .kernarg_segment_align: 8
    .kernarg_segment_size: 120
    .language:       OpenCL C
    .language_version:
      - 2
      - 0
    .max_flat_workgroup_size: 192
    .name:           _ZN7rocprim17ROCPRIM_400000_NS6detail17trampoline_kernelINS0_14default_configENS1_25partition_config_selectorILNS1_17partition_subalgoE0EjNS0_10empty_typeEbEEZZNS1_14partition_implILS5_0ELb0ES3_jN6thrust23THRUST_200600_302600_NS6detail15normal_iteratorINSA_10device_ptrIjEEEEPS6_SG_NS0_5tupleIJSF_SF_EEENSH_IJSG_SG_EEES6_PlJ7is_evenIjEEEE10hipError_tPvRmT3_T4_T5_T6_T7_T9_mT8_P12ihipStream_tbDpT10_ENKUlT_T0_E_clISt17integral_constantIbLb0EES16_EEDaS11_S12_EUlS11_E_NS1_11comp_targetILNS1_3genE2ELNS1_11target_archE906ELNS1_3gpuE6ELNS1_3repE0EEENS1_30default_config_static_selectorELNS0_4arch9wavefront6targetE1EEEvT1_
    .private_segment_fixed_size: 0
    .sgpr_count:     6
    .sgpr_spill_count: 0
    .symbol:         _ZN7rocprim17ROCPRIM_400000_NS6detail17trampoline_kernelINS0_14default_configENS1_25partition_config_selectorILNS1_17partition_subalgoE0EjNS0_10empty_typeEbEEZZNS1_14partition_implILS5_0ELb0ES3_jN6thrust23THRUST_200600_302600_NS6detail15normal_iteratorINSA_10device_ptrIjEEEEPS6_SG_NS0_5tupleIJSF_SF_EEENSH_IJSG_SG_EEES6_PlJ7is_evenIjEEEE10hipError_tPvRmT3_T4_T5_T6_T7_T9_mT8_P12ihipStream_tbDpT10_ENKUlT_T0_E_clISt17integral_constantIbLb0EES16_EEDaS11_S12_EUlS11_E_NS1_11comp_targetILNS1_3genE2ELNS1_11target_archE906ELNS1_3gpuE6ELNS1_3repE0EEENS1_30default_config_static_selectorELNS0_4arch9wavefront6targetE1EEEvT1_.kd
    .uniform_work_group_size: 1
    .uses_dynamic_stack: false
    .vgpr_count:     0
    .vgpr_spill_count: 0
    .wavefront_size: 64
  - .agpr_count:     0
    .args:
      - .offset:         0
        .size:           120
        .value_kind:     by_value
    .group_segment_fixed_size: 0
    .kernarg_segment_align: 8
    .kernarg_segment_size: 120
    .language:       OpenCL C
    .language_version:
      - 2
      - 0
    .max_flat_workgroup_size: 512
    .name:           _ZN7rocprim17ROCPRIM_400000_NS6detail17trampoline_kernelINS0_14default_configENS1_25partition_config_selectorILNS1_17partition_subalgoE0EjNS0_10empty_typeEbEEZZNS1_14partition_implILS5_0ELb0ES3_jN6thrust23THRUST_200600_302600_NS6detail15normal_iteratorINSA_10device_ptrIjEEEEPS6_SG_NS0_5tupleIJSF_SF_EEENSH_IJSG_SG_EEES6_PlJ7is_evenIjEEEE10hipError_tPvRmT3_T4_T5_T6_T7_T9_mT8_P12ihipStream_tbDpT10_ENKUlT_T0_E_clISt17integral_constantIbLb0EES16_EEDaS11_S12_EUlS11_E_NS1_11comp_targetILNS1_3genE10ELNS1_11target_archE1200ELNS1_3gpuE4ELNS1_3repE0EEENS1_30default_config_static_selectorELNS0_4arch9wavefront6targetE1EEEvT1_
    .private_segment_fixed_size: 0
    .sgpr_count:     6
    .sgpr_spill_count: 0
    .symbol:         _ZN7rocprim17ROCPRIM_400000_NS6detail17trampoline_kernelINS0_14default_configENS1_25partition_config_selectorILNS1_17partition_subalgoE0EjNS0_10empty_typeEbEEZZNS1_14partition_implILS5_0ELb0ES3_jN6thrust23THRUST_200600_302600_NS6detail15normal_iteratorINSA_10device_ptrIjEEEEPS6_SG_NS0_5tupleIJSF_SF_EEENSH_IJSG_SG_EEES6_PlJ7is_evenIjEEEE10hipError_tPvRmT3_T4_T5_T6_T7_T9_mT8_P12ihipStream_tbDpT10_ENKUlT_T0_E_clISt17integral_constantIbLb0EES16_EEDaS11_S12_EUlS11_E_NS1_11comp_targetILNS1_3genE10ELNS1_11target_archE1200ELNS1_3gpuE4ELNS1_3repE0EEENS1_30default_config_static_selectorELNS0_4arch9wavefront6targetE1EEEvT1_.kd
    .uniform_work_group_size: 1
    .uses_dynamic_stack: false
    .vgpr_count:     0
    .vgpr_spill_count: 0
    .wavefront_size: 64
  - .agpr_count:     0
    .args:
      - .offset:         0
        .size:           120
        .value_kind:     by_value
    .group_segment_fixed_size: 0
    .kernarg_segment_align: 8
    .kernarg_segment_size: 120
    .language:       OpenCL C
    .language_version:
      - 2
      - 0
    .max_flat_workgroup_size: 128
    .name:           _ZN7rocprim17ROCPRIM_400000_NS6detail17trampoline_kernelINS0_14default_configENS1_25partition_config_selectorILNS1_17partition_subalgoE0EjNS0_10empty_typeEbEEZZNS1_14partition_implILS5_0ELb0ES3_jN6thrust23THRUST_200600_302600_NS6detail15normal_iteratorINSA_10device_ptrIjEEEEPS6_SG_NS0_5tupleIJSF_SF_EEENSH_IJSG_SG_EEES6_PlJ7is_evenIjEEEE10hipError_tPvRmT3_T4_T5_T6_T7_T9_mT8_P12ihipStream_tbDpT10_ENKUlT_T0_E_clISt17integral_constantIbLb0EES16_EEDaS11_S12_EUlS11_E_NS1_11comp_targetILNS1_3genE9ELNS1_11target_archE1100ELNS1_3gpuE3ELNS1_3repE0EEENS1_30default_config_static_selectorELNS0_4arch9wavefront6targetE1EEEvT1_
    .private_segment_fixed_size: 0
    .sgpr_count:     6
    .sgpr_spill_count: 0
    .symbol:         _ZN7rocprim17ROCPRIM_400000_NS6detail17trampoline_kernelINS0_14default_configENS1_25partition_config_selectorILNS1_17partition_subalgoE0EjNS0_10empty_typeEbEEZZNS1_14partition_implILS5_0ELb0ES3_jN6thrust23THRUST_200600_302600_NS6detail15normal_iteratorINSA_10device_ptrIjEEEEPS6_SG_NS0_5tupleIJSF_SF_EEENSH_IJSG_SG_EEES6_PlJ7is_evenIjEEEE10hipError_tPvRmT3_T4_T5_T6_T7_T9_mT8_P12ihipStream_tbDpT10_ENKUlT_T0_E_clISt17integral_constantIbLb0EES16_EEDaS11_S12_EUlS11_E_NS1_11comp_targetILNS1_3genE9ELNS1_11target_archE1100ELNS1_3gpuE3ELNS1_3repE0EEENS1_30default_config_static_selectorELNS0_4arch9wavefront6targetE1EEEvT1_.kd
    .uniform_work_group_size: 1
    .uses_dynamic_stack: false
    .vgpr_count:     0
    .vgpr_spill_count: 0
    .wavefront_size: 64
  - .agpr_count:     0
    .args:
      - .offset:         0
        .size:           120
        .value_kind:     by_value
    .group_segment_fixed_size: 0
    .kernarg_segment_align: 8
    .kernarg_segment_size: 120
    .language:       OpenCL C
    .language_version:
      - 2
      - 0
    .max_flat_workgroup_size: 512
    .name:           _ZN7rocprim17ROCPRIM_400000_NS6detail17trampoline_kernelINS0_14default_configENS1_25partition_config_selectorILNS1_17partition_subalgoE0EjNS0_10empty_typeEbEEZZNS1_14partition_implILS5_0ELb0ES3_jN6thrust23THRUST_200600_302600_NS6detail15normal_iteratorINSA_10device_ptrIjEEEEPS6_SG_NS0_5tupleIJSF_SF_EEENSH_IJSG_SG_EEES6_PlJ7is_evenIjEEEE10hipError_tPvRmT3_T4_T5_T6_T7_T9_mT8_P12ihipStream_tbDpT10_ENKUlT_T0_E_clISt17integral_constantIbLb0EES16_EEDaS11_S12_EUlS11_E_NS1_11comp_targetILNS1_3genE8ELNS1_11target_archE1030ELNS1_3gpuE2ELNS1_3repE0EEENS1_30default_config_static_selectorELNS0_4arch9wavefront6targetE1EEEvT1_
    .private_segment_fixed_size: 0
    .sgpr_count:     6
    .sgpr_spill_count: 0
    .symbol:         _ZN7rocprim17ROCPRIM_400000_NS6detail17trampoline_kernelINS0_14default_configENS1_25partition_config_selectorILNS1_17partition_subalgoE0EjNS0_10empty_typeEbEEZZNS1_14partition_implILS5_0ELb0ES3_jN6thrust23THRUST_200600_302600_NS6detail15normal_iteratorINSA_10device_ptrIjEEEEPS6_SG_NS0_5tupleIJSF_SF_EEENSH_IJSG_SG_EEES6_PlJ7is_evenIjEEEE10hipError_tPvRmT3_T4_T5_T6_T7_T9_mT8_P12ihipStream_tbDpT10_ENKUlT_T0_E_clISt17integral_constantIbLb0EES16_EEDaS11_S12_EUlS11_E_NS1_11comp_targetILNS1_3genE8ELNS1_11target_archE1030ELNS1_3gpuE2ELNS1_3repE0EEENS1_30default_config_static_selectorELNS0_4arch9wavefront6targetE1EEEvT1_.kd
    .uniform_work_group_size: 1
    .uses_dynamic_stack: false
    .vgpr_count:     0
    .vgpr_spill_count: 0
    .wavefront_size: 64
  - .agpr_count:     0
    .args:
      - .offset:         0
        .size:           136
        .value_kind:     by_value
    .group_segment_fixed_size: 0
    .kernarg_segment_align: 8
    .kernarg_segment_size: 136
    .language:       OpenCL C
    .language_version:
      - 2
      - 0
    .max_flat_workgroup_size: 256
    .name:           _ZN7rocprim17ROCPRIM_400000_NS6detail17trampoline_kernelINS0_14default_configENS1_25partition_config_selectorILNS1_17partition_subalgoE0EjNS0_10empty_typeEbEEZZNS1_14partition_implILS5_0ELb0ES3_jN6thrust23THRUST_200600_302600_NS6detail15normal_iteratorINSA_10device_ptrIjEEEEPS6_SG_NS0_5tupleIJSF_SF_EEENSH_IJSG_SG_EEES6_PlJ7is_evenIjEEEE10hipError_tPvRmT3_T4_T5_T6_T7_T9_mT8_P12ihipStream_tbDpT10_ENKUlT_T0_E_clISt17integral_constantIbLb1EES16_EEDaS11_S12_EUlS11_E_NS1_11comp_targetILNS1_3genE0ELNS1_11target_archE4294967295ELNS1_3gpuE0ELNS1_3repE0EEENS1_30default_config_static_selectorELNS0_4arch9wavefront6targetE1EEEvT1_
    .private_segment_fixed_size: 0
    .sgpr_count:     6
    .sgpr_spill_count: 0
    .symbol:         _ZN7rocprim17ROCPRIM_400000_NS6detail17trampoline_kernelINS0_14default_configENS1_25partition_config_selectorILNS1_17partition_subalgoE0EjNS0_10empty_typeEbEEZZNS1_14partition_implILS5_0ELb0ES3_jN6thrust23THRUST_200600_302600_NS6detail15normal_iteratorINSA_10device_ptrIjEEEEPS6_SG_NS0_5tupleIJSF_SF_EEENSH_IJSG_SG_EEES6_PlJ7is_evenIjEEEE10hipError_tPvRmT3_T4_T5_T6_T7_T9_mT8_P12ihipStream_tbDpT10_ENKUlT_T0_E_clISt17integral_constantIbLb1EES16_EEDaS11_S12_EUlS11_E_NS1_11comp_targetILNS1_3genE0ELNS1_11target_archE4294967295ELNS1_3gpuE0ELNS1_3repE0EEENS1_30default_config_static_selectorELNS0_4arch9wavefront6targetE1EEEvT1_.kd
    .uniform_work_group_size: 1
    .uses_dynamic_stack: false
    .vgpr_count:     0
    .vgpr_spill_count: 0
    .wavefront_size: 64
  - .agpr_count:     0
    .args:
      - .offset:         0
        .size:           136
        .value_kind:     by_value
    .group_segment_fixed_size: 30728
    .kernarg_segment_align: 8
    .kernarg_segment_size: 136
    .language:       OpenCL C
    .language_version:
      - 2
      - 0
    .max_flat_workgroup_size: 512
    .name:           _ZN7rocprim17ROCPRIM_400000_NS6detail17trampoline_kernelINS0_14default_configENS1_25partition_config_selectorILNS1_17partition_subalgoE0EjNS0_10empty_typeEbEEZZNS1_14partition_implILS5_0ELb0ES3_jN6thrust23THRUST_200600_302600_NS6detail15normal_iteratorINSA_10device_ptrIjEEEEPS6_SG_NS0_5tupleIJSF_SF_EEENSH_IJSG_SG_EEES6_PlJ7is_evenIjEEEE10hipError_tPvRmT3_T4_T5_T6_T7_T9_mT8_P12ihipStream_tbDpT10_ENKUlT_T0_E_clISt17integral_constantIbLb1EES16_EEDaS11_S12_EUlS11_E_NS1_11comp_targetILNS1_3genE5ELNS1_11target_archE942ELNS1_3gpuE9ELNS1_3repE0EEENS1_30default_config_static_selectorELNS0_4arch9wavefront6targetE1EEEvT1_
    .private_segment_fixed_size: 0
    .sgpr_count:     50
    .sgpr_spill_count: 0
    .symbol:         _ZN7rocprim17ROCPRIM_400000_NS6detail17trampoline_kernelINS0_14default_configENS1_25partition_config_selectorILNS1_17partition_subalgoE0EjNS0_10empty_typeEbEEZZNS1_14partition_implILS5_0ELb0ES3_jN6thrust23THRUST_200600_302600_NS6detail15normal_iteratorINSA_10device_ptrIjEEEEPS6_SG_NS0_5tupleIJSF_SF_EEENSH_IJSG_SG_EEES6_PlJ7is_evenIjEEEE10hipError_tPvRmT3_T4_T5_T6_T7_T9_mT8_P12ihipStream_tbDpT10_ENKUlT_T0_E_clISt17integral_constantIbLb1EES16_EEDaS11_S12_EUlS11_E_NS1_11comp_targetILNS1_3genE5ELNS1_11target_archE942ELNS1_3gpuE9ELNS1_3repE0EEENS1_30default_config_static_selectorELNS0_4arch9wavefront6targetE1EEEvT1_.kd
    .uniform_work_group_size: 1
    .uses_dynamic_stack: false
    .vgpr_count:     80
    .vgpr_spill_count: 0
    .wavefront_size: 64
  - .agpr_count:     0
    .args:
      - .offset:         0
        .size:           136
        .value_kind:     by_value
    .group_segment_fixed_size: 0
    .kernarg_segment_align: 8
    .kernarg_segment_size: 136
    .language:       OpenCL C
    .language_version:
      - 2
      - 0
    .max_flat_workgroup_size: 256
    .name:           _ZN7rocprim17ROCPRIM_400000_NS6detail17trampoline_kernelINS0_14default_configENS1_25partition_config_selectorILNS1_17partition_subalgoE0EjNS0_10empty_typeEbEEZZNS1_14partition_implILS5_0ELb0ES3_jN6thrust23THRUST_200600_302600_NS6detail15normal_iteratorINSA_10device_ptrIjEEEEPS6_SG_NS0_5tupleIJSF_SF_EEENSH_IJSG_SG_EEES6_PlJ7is_evenIjEEEE10hipError_tPvRmT3_T4_T5_T6_T7_T9_mT8_P12ihipStream_tbDpT10_ENKUlT_T0_E_clISt17integral_constantIbLb1EES16_EEDaS11_S12_EUlS11_E_NS1_11comp_targetILNS1_3genE4ELNS1_11target_archE910ELNS1_3gpuE8ELNS1_3repE0EEENS1_30default_config_static_selectorELNS0_4arch9wavefront6targetE1EEEvT1_
    .private_segment_fixed_size: 0
    .sgpr_count:     6
    .sgpr_spill_count: 0
    .symbol:         _ZN7rocprim17ROCPRIM_400000_NS6detail17trampoline_kernelINS0_14default_configENS1_25partition_config_selectorILNS1_17partition_subalgoE0EjNS0_10empty_typeEbEEZZNS1_14partition_implILS5_0ELb0ES3_jN6thrust23THRUST_200600_302600_NS6detail15normal_iteratorINSA_10device_ptrIjEEEEPS6_SG_NS0_5tupleIJSF_SF_EEENSH_IJSG_SG_EEES6_PlJ7is_evenIjEEEE10hipError_tPvRmT3_T4_T5_T6_T7_T9_mT8_P12ihipStream_tbDpT10_ENKUlT_T0_E_clISt17integral_constantIbLb1EES16_EEDaS11_S12_EUlS11_E_NS1_11comp_targetILNS1_3genE4ELNS1_11target_archE910ELNS1_3gpuE8ELNS1_3repE0EEENS1_30default_config_static_selectorELNS0_4arch9wavefront6targetE1EEEvT1_.kd
    .uniform_work_group_size: 1
    .uses_dynamic_stack: false
    .vgpr_count:     0
    .vgpr_spill_count: 0
    .wavefront_size: 64
  - .agpr_count:     0
    .args:
      - .offset:         0
        .size:           136
        .value_kind:     by_value
    .group_segment_fixed_size: 0
    .kernarg_segment_align: 8
    .kernarg_segment_size: 136
    .language:       OpenCL C
    .language_version:
      - 2
      - 0
    .max_flat_workgroup_size: 256
    .name:           _ZN7rocprim17ROCPRIM_400000_NS6detail17trampoline_kernelINS0_14default_configENS1_25partition_config_selectorILNS1_17partition_subalgoE0EjNS0_10empty_typeEbEEZZNS1_14partition_implILS5_0ELb0ES3_jN6thrust23THRUST_200600_302600_NS6detail15normal_iteratorINSA_10device_ptrIjEEEEPS6_SG_NS0_5tupleIJSF_SF_EEENSH_IJSG_SG_EEES6_PlJ7is_evenIjEEEE10hipError_tPvRmT3_T4_T5_T6_T7_T9_mT8_P12ihipStream_tbDpT10_ENKUlT_T0_E_clISt17integral_constantIbLb1EES16_EEDaS11_S12_EUlS11_E_NS1_11comp_targetILNS1_3genE3ELNS1_11target_archE908ELNS1_3gpuE7ELNS1_3repE0EEENS1_30default_config_static_selectorELNS0_4arch9wavefront6targetE1EEEvT1_
    .private_segment_fixed_size: 0
    .sgpr_count:     6
    .sgpr_spill_count: 0
    .symbol:         _ZN7rocprim17ROCPRIM_400000_NS6detail17trampoline_kernelINS0_14default_configENS1_25partition_config_selectorILNS1_17partition_subalgoE0EjNS0_10empty_typeEbEEZZNS1_14partition_implILS5_0ELb0ES3_jN6thrust23THRUST_200600_302600_NS6detail15normal_iteratorINSA_10device_ptrIjEEEEPS6_SG_NS0_5tupleIJSF_SF_EEENSH_IJSG_SG_EEES6_PlJ7is_evenIjEEEE10hipError_tPvRmT3_T4_T5_T6_T7_T9_mT8_P12ihipStream_tbDpT10_ENKUlT_T0_E_clISt17integral_constantIbLb1EES16_EEDaS11_S12_EUlS11_E_NS1_11comp_targetILNS1_3genE3ELNS1_11target_archE908ELNS1_3gpuE7ELNS1_3repE0EEENS1_30default_config_static_selectorELNS0_4arch9wavefront6targetE1EEEvT1_.kd
    .uniform_work_group_size: 1
    .uses_dynamic_stack: false
    .vgpr_count:     0
    .vgpr_spill_count: 0
    .wavefront_size: 64
  - .agpr_count:     0
    .args:
      - .offset:         0
        .size:           136
        .value_kind:     by_value
    .group_segment_fixed_size: 0
    .kernarg_segment_align: 8
    .kernarg_segment_size: 136
    .language:       OpenCL C
    .language_version:
      - 2
      - 0
    .max_flat_workgroup_size: 192
    .name:           _ZN7rocprim17ROCPRIM_400000_NS6detail17trampoline_kernelINS0_14default_configENS1_25partition_config_selectorILNS1_17partition_subalgoE0EjNS0_10empty_typeEbEEZZNS1_14partition_implILS5_0ELb0ES3_jN6thrust23THRUST_200600_302600_NS6detail15normal_iteratorINSA_10device_ptrIjEEEEPS6_SG_NS0_5tupleIJSF_SF_EEENSH_IJSG_SG_EEES6_PlJ7is_evenIjEEEE10hipError_tPvRmT3_T4_T5_T6_T7_T9_mT8_P12ihipStream_tbDpT10_ENKUlT_T0_E_clISt17integral_constantIbLb1EES16_EEDaS11_S12_EUlS11_E_NS1_11comp_targetILNS1_3genE2ELNS1_11target_archE906ELNS1_3gpuE6ELNS1_3repE0EEENS1_30default_config_static_selectorELNS0_4arch9wavefront6targetE1EEEvT1_
    .private_segment_fixed_size: 0
    .sgpr_count:     6
    .sgpr_spill_count: 0
    .symbol:         _ZN7rocprim17ROCPRIM_400000_NS6detail17trampoline_kernelINS0_14default_configENS1_25partition_config_selectorILNS1_17partition_subalgoE0EjNS0_10empty_typeEbEEZZNS1_14partition_implILS5_0ELb0ES3_jN6thrust23THRUST_200600_302600_NS6detail15normal_iteratorINSA_10device_ptrIjEEEEPS6_SG_NS0_5tupleIJSF_SF_EEENSH_IJSG_SG_EEES6_PlJ7is_evenIjEEEE10hipError_tPvRmT3_T4_T5_T6_T7_T9_mT8_P12ihipStream_tbDpT10_ENKUlT_T0_E_clISt17integral_constantIbLb1EES16_EEDaS11_S12_EUlS11_E_NS1_11comp_targetILNS1_3genE2ELNS1_11target_archE906ELNS1_3gpuE6ELNS1_3repE0EEENS1_30default_config_static_selectorELNS0_4arch9wavefront6targetE1EEEvT1_.kd
    .uniform_work_group_size: 1
    .uses_dynamic_stack: false
    .vgpr_count:     0
    .vgpr_spill_count: 0
    .wavefront_size: 64
  - .agpr_count:     0
    .args:
      - .offset:         0
        .size:           136
        .value_kind:     by_value
    .group_segment_fixed_size: 0
    .kernarg_segment_align: 8
    .kernarg_segment_size: 136
    .language:       OpenCL C
    .language_version:
      - 2
      - 0
    .max_flat_workgroup_size: 512
    .name:           _ZN7rocprim17ROCPRIM_400000_NS6detail17trampoline_kernelINS0_14default_configENS1_25partition_config_selectorILNS1_17partition_subalgoE0EjNS0_10empty_typeEbEEZZNS1_14partition_implILS5_0ELb0ES3_jN6thrust23THRUST_200600_302600_NS6detail15normal_iteratorINSA_10device_ptrIjEEEEPS6_SG_NS0_5tupleIJSF_SF_EEENSH_IJSG_SG_EEES6_PlJ7is_evenIjEEEE10hipError_tPvRmT3_T4_T5_T6_T7_T9_mT8_P12ihipStream_tbDpT10_ENKUlT_T0_E_clISt17integral_constantIbLb1EES16_EEDaS11_S12_EUlS11_E_NS1_11comp_targetILNS1_3genE10ELNS1_11target_archE1200ELNS1_3gpuE4ELNS1_3repE0EEENS1_30default_config_static_selectorELNS0_4arch9wavefront6targetE1EEEvT1_
    .private_segment_fixed_size: 0
    .sgpr_count:     6
    .sgpr_spill_count: 0
    .symbol:         _ZN7rocprim17ROCPRIM_400000_NS6detail17trampoline_kernelINS0_14default_configENS1_25partition_config_selectorILNS1_17partition_subalgoE0EjNS0_10empty_typeEbEEZZNS1_14partition_implILS5_0ELb0ES3_jN6thrust23THRUST_200600_302600_NS6detail15normal_iteratorINSA_10device_ptrIjEEEEPS6_SG_NS0_5tupleIJSF_SF_EEENSH_IJSG_SG_EEES6_PlJ7is_evenIjEEEE10hipError_tPvRmT3_T4_T5_T6_T7_T9_mT8_P12ihipStream_tbDpT10_ENKUlT_T0_E_clISt17integral_constantIbLb1EES16_EEDaS11_S12_EUlS11_E_NS1_11comp_targetILNS1_3genE10ELNS1_11target_archE1200ELNS1_3gpuE4ELNS1_3repE0EEENS1_30default_config_static_selectorELNS0_4arch9wavefront6targetE1EEEvT1_.kd
    .uniform_work_group_size: 1
    .uses_dynamic_stack: false
    .vgpr_count:     0
    .vgpr_spill_count: 0
    .wavefront_size: 64
  - .agpr_count:     0
    .args:
      - .offset:         0
        .size:           136
        .value_kind:     by_value
    .group_segment_fixed_size: 0
    .kernarg_segment_align: 8
    .kernarg_segment_size: 136
    .language:       OpenCL C
    .language_version:
      - 2
      - 0
    .max_flat_workgroup_size: 128
    .name:           _ZN7rocprim17ROCPRIM_400000_NS6detail17trampoline_kernelINS0_14default_configENS1_25partition_config_selectorILNS1_17partition_subalgoE0EjNS0_10empty_typeEbEEZZNS1_14partition_implILS5_0ELb0ES3_jN6thrust23THRUST_200600_302600_NS6detail15normal_iteratorINSA_10device_ptrIjEEEEPS6_SG_NS0_5tupleIJSF_SF_EEENSH_IJSG_SG_EEES6_PlJ7is_evenIjEEEE10hipError_tPvRmT3_T4_T5_T6_T7_T9_mT8_P12ihipStream_tbDpT10_ENKUlT_T0_E_clISt17integral_constantIbLb1EES16_EEDaS11_S12_EUlS11_E_NS1_11comp_targetILNS1_3genE9ELNS1_11target_archE1100ELNS1_3gpuE3ELNS1_3repE0EEENS1_30default_config_static_selectorELNS0_4arch9wavefront6targetE1EEEvT1_
    .private_segment_fixed_size: 0
    .sgpr_count:     6
    .sgpr_spill_count: 0
    .symbol:         _ZN7rocprim17ROCPRIM_400000_NS6detail17trampoline_kernelINS0_14default_configENS1_25partition_config_selectorILNS1_17partition_subalgoE0EjNS0_10empty_typeEbEEZZNS1_14partition_implILS5_0ELb0ES3_jN6thrust23THRUST_200600_302600_NS6detail15normal_iteratorINSA_10device_ptrIjEEEEPS6_SG_NS0_5tupleIJSF_SF_EEENSH_IJSG_SG_EEES6_PlJ7is_evenIjEEEE10hipError_tPvRmT3_T4_T5_T6_T7_T9_mT8_P12ihipStream_tbDpT10_ENKUlT_T0_E_clISt17integral_constantIbLb1EES16_EEDaS11_S12_EUlS11_E_NS1_11comp_targetILNS1_3genE9ELNS1_11target_archE1100ELNS1_3gpuE3ELNS1_3repE0EEENS1_30default_config_static_selectorELNS0_4arch9wavefront6targetE1EEEvT1_.kd
    .uniform_work_group_size: 1
    .uses_dynamic_stack: false
    .vgpr_count:     0
    .vgpr_spill_count: 0
    .wavefront_size: 64
  - .agpr_count:     0
    .args:
      - .offset:         0
        .size:           136
        .value_kind:     by_value
    .group_segment_fixed_size: 0
    .kernarg_segment_align: 8
    .kernarg_segment_size: 136
    .language:       OpenCL C
    .language_version:
      - 2
      - 0
    .max_flat_workgroup_size: 512
    .name:           _ZN7rocprim17ROCPRIM_400000_NS6detail17trampoline_kernelINS0_14default_configENS1_25partition_config_selectorILNS1_17partition_subalgoE0EjNS0_10empty_typeEbEEZZNS1_14partition_implILS5_0ELb0ES3_jN6thrust23THRUST_200600_302600_NS6detail15normal_iteratorINSA_10device_ptrIjEEEEPS6_SG_NS0_5tupleIJSF_SF_EEENSH_IJSG_SG_EEES6_PlJ7is_evenIjEEEE10hipError_tPvRmT3_T4_T5_T6_T7_T9_mT8_P12ihipStream_tbDpT10_ENKUlT_T0_E_clISt17integral_constantIbLb1EES16_EEDaS11_S12_EUlS11_E_NS1_11comp_targetILNS1_3genE8ELNS1_11target_archE1030ELNS1_3gpuE2ELNS1_3repE0EEENS1_30default_config_static_selectorELNS0_4arch9wavefront6targetE1EEEvT1_
    .private_segment_fixed_size: 0
    .sgpr_count:     6
    .sgpr_spill_count: 0
    .symbol:         _ZN7rocprim17ROCPRIM_400000_NS6detail17trampoline_kernelINS0_14default_configENS1_25partition_config_selectorILNS1_17partition_subalgoE0EjNS0_10empty_typeEbEEZZNS1_14partition_implILS5_0ELb0ES3_jN6thrust23THRUST_200600_302600_NS6detail15normal_iteratorINSA_10device_ptrIjEEEEPS6_SG_NS0_5tupleIJSF_SF_EEENSH_IJSG_SG_EEES6_PlJ7is_evenIjEEEE10hipError_tPvRmT3_T4_T5_T6_T7_T9_mT8_P12ihipStream_tbDpT10_ENKUlT_T0_E_clISt17integral_constantIbLb1EES16_EEDaS11_S12_EUlS11_E_NS1_11comp_targetILNS1_3genE8ELNS1_11target_archE1030ELNS1_3gpuE2ELNS1_3repE0EEENS1_30default_config_static_selectorELNS0_4arch9wavefront6targetE1EEEvT1_.kd
    .uniform_work_group_size: 1
    .uses_dynamic_stack: false
    .vgpr_count:     0
    .vgpr_spill_count: 0
    .wavefront_size: 64
  - .agpr_count:     0
    .args:
      - .offset:         0
        .size:           120
        .value_kind:     by_value
    .group_segment_fixed_size: 0
    .kernarg_segment_align: 8
    .kernarg_segment_size: 120
    .language:       OpenCL C
    .language_version:
      - 2
      - 0
    .max_flat_workgroup_size: 256
    .name:           _ZN7rocprim17ROCPRIM_400000_NS6detail17trampoline_kernelINS0_14default_configENS1_25partition_config_selectorILNS1_17partition_subalgoE0EjNS0_10empty_typeEbEEZZNS1_14partition_implILS5_0ELb0ES3_jN6thrust23THRUST_200600_302600_NS6detail15normal_iteratorINSA_10device_ptrIjEEEEPS6_SG_NS0_5tupleIJSF_SF_EEENSH_IJSG_SG_EEES6_PlJ7is_evenIjEEEE10hipError_tPvRmT3_T4_T5_T6_T7_T9_mT8_P12ihipStream_tbDpT10_ENKUlT_T0_E_clISt17integral_constantIbLb1EES15_IbLb0EEEEDaS11_S12_EUlS11_E_NS1_11comp_targetILNS1_3genE0ELNS1_11target_archE4294967295ELNS1_3gpuE0ELNS1_3repE0EEENS1_30default_config_static_selectorELNS0_4arch9wavefront6targetE1EEEvT1_
    .private_segment_fixed_size: 0
    .sgpr_count:     6
    .sgpr_spill_count: 0
    .symbol:         _ZN7rocprim17ROCPRIM_400000_NS6detail17trampoline_kernelINS0_14default_configENS1_25partition_config_selectorILNS1_17partition_subalgoE0EjNS0_10empty_typeEbEEZZNS1_14partition_implILS5_0ELb0ES3_jN6thrust23THRUST_200600_302600_NS6detail15normal_iteratorINSA_10device_ptrIjEEEEPS6_SG_NS0_5tupleIJSF_SF_EEENSH_IJSG_SG_EEES6_PlJ7is_evenIjEEEE10hipError_tPvRmT3_T4_T5_T6_T7_T9_mT8_P12ihipStream_tbDpT10_ENKUlT_T0_E_clISt17integral_constantIbLb1EES15_IbLb0EEEEDaS11_S12_EUlS11_E_NS1_11comp_targetILNS1_3genE0ELNS1_11target_archE4294967295ELNS1_3gpuE0ELNS1_3repE0EEENS1_30default_config_static_selectorELNS0_4arch9wavefront6targetE1EEEvT1_.kd
    .uniform_work_group_size: 1
    .uses_dynamic_stack: false
    .vgpr_count:     0
    .vgpr_spill_count: 0
    .wavefront_size: 64
  - .agpr_count:     0
    .args:
      - .offset:         0
        .size:           120
        .value_kind:     by_value
    .group_segment_fixed_size: 30728
    .kernarg_segment_align: 8
    .kernarg_segment_size: 120
    .language:       OpenCL C
    .language_version:
      - 2
      - 0
    .max_flat_workgroup_size: 512
    .name:           _ZN7rocprim17ROCPRIM_400000_NS6detail17trampoline_kernelINS0_14default_configENS1_25partition_config_selectorILNS1_17partition_subalgoE0EjNS0_10empty_typeEbEEZZNS1_14partition_implILS5_0ELb0ES3_jN6thrust23THRUST_200600_302600_NS6detail15normal_iteratorINSA_10device_ptrIjEEEEPS6_SG_NS0_5tupleIJSF_SF_EEENSH_IJSG_SG_EEES6_PlJ7is_evenIjEEEE10hipError_tPvRmT3_T4_T5_T6_T7_T9_mT8_P12ihipStream_tbDpT10_ENKUlT_T0_E_clISt17integral_constantIbLb1EES15_IbLb0EEEEDaS11_S12_EUlS11_E_NS1_11comp_targetILNS1_3genE5ELNS1_11target_archE942ELNS1_3gpuE9ELNS1_3repE0EEENS1_30default_config_static_selectorELNS0_4arch9wavefront6targetE1EEEvT1_
    .private_segment_fixed_size: 0
    .sgpr_count:     50
    .sgpr_spill_count: 0
    .symbol:         _ZN7rocprim17ROCPRIM_400000_NS6detail17trampoline_kernelINS0_14default_configENS1_25partition_config_selectorILNS1_17partition_subalgoE0EjNS0_10empty_typeEbEEZZNS1_14partition_implILS5_0ELb0ES3_jN6thrust23THRUST_200600_302600_NS6detail15normal_iteratorINSA_10device_ptrIjEEEEPS6_SG_NS0_5tupleIJSF_SF_EEENSH_IJSG_SG_EEES6_PlJ7is_evenIjEEEE10hipError_tPvRmT3_T4_T5_T6_T7_T9_mT8_P12ihipStream_tbDpT10_ENKUlT_T0_E_clISt17integral_constantIbLb1EES15_IbLb0EEEEDaS11_S12_EUlS11_E_NS1_11comp_targetILNS1_3genE5ELNS1_11target_archE942ELNS1_3gpuE9ELNS1_3repE0EEENS1_30default_config_static_selectorELNS0_4arch9wavefront6targetE1EEEvT1_.kd
    .uniform_work_group_size: 1
    .uses_dynamic_stack: false
    .vgpr_count:     76
    .vgpr_spill_count: 0
    .wavefront_size: 64
  - .agpr_count:     0
    .args:
      - .offset:         0
        .size:           120
        .value_kind:     by_value
    .group_segment_fixed_size: 0
    .kernarg_segment_align: 8
    .kernarg_segment_size: 120
    .language:       OpenCL C
    .language_version:
      - 2
      - 0
    .max_flat_workgroup_size: 256
    .name:           _ZN7rocprim17ROCPRIM_400000_NS6detail17trampoline_kernelINS0_14default_configENS1_25partition_config_selectorILNS1_17partition_subalgoE0EjNS0_10empty_typeEbEEZZNS1_14partition_implILS5_0ELb0ES3_jN6thrust23THRUST_200600_302600_NS6detail15normal_iteratorINSA_10device_ptrIjEEEEPS6_SG_NS0_5tupleIJSF_SF_EEENSH_IJSG_SG_EEES6_PlJ7is_evenIjEEEE10hipError_tPvRmT3_T4_T5_T6_T7_T9_mT8_P12ihipStream_tbDpT10_ENKUlT_T0_E_clISt17integral_constantIbLb1EES15_IbLb0EEEEDaS11_S12_EUlS11_E_NS1_11comp_targetILNS1_3genE4ELNS1_11target_archE910ELNS1_3gpuE8ELNS1_3repE0EEENS1_30default_config_static_selectorELNS0_4arch9wavefront6targetE1EEEvT1_
    .private_segment_fixed_size: 0
    .sgpr_count:     6
    .sgpr_spill_count: 0
    .symbol:         _ZN7rocprim17ROCPRIM_400000_NS6detail17trampoline_kernelINS0_14default_configENS1_25partition_config_selectorILNS1_17partition_subalgoE0EjNS0_10empty_typeEbEEZZNS1_14partition_implILS5_0ELb0ES3_jN6thrust23THRUST_200600_302600_NS6detail15normal_iteratorINSA_10device_ptrIjEEEEPS6_SG_NS0_5tupleIJSF_SF_EEENSH_IJSG_SG_EEES6_PlJ7is_evenIjEEEE10hipError_tPvRmT3_T4_T5_T6_T7_T9_mT8_P12ihipStream_tbDpT10_ENKUlT_T0_E_clISt17integral_constantIbLb1EES15_IbLb0EEEEDaS11_S12_EUlS11_E_NS1_11comp_targetILNS1_3genE4ELNS1_11target_archE910ELNS1_3gpuE8ELNS1_3repE0EEENS1_30default_config_static_selectorELNS0_4arch9wavefront6targetE1EEEvT1_.kd
    .uniform_work_group_size: 1
    .uses_dynamic_stack: false
    .vgpr_count:     0
    .vgpr_spill_count: 0
    .wavefront_size: 64
  - .agpr_count:     0
    .args:
      - .offset:         0
        .size:           120
        .value_kind:     by_value
    .group_segment_fixed_size: 0
    .kernarg_segment_align: 8
    .kernarg_segment_size: 120
    .language:       OpenCL C
    .language_version:
      - 2
      - 0
    .max_flat_workgroup_size: 256
    .name:           _ZN7rocprim17ROCPRIM_400000_NS6detail17trampoline_kernelINS0_14default_configENS1_25partition_config_selectorILNS1_17partition_subalgoE0EjNS0_10empty_typeEbEEZZNS1_14partition_implILS5_0ELb0ES3_jN6thrust23THRUST_200600_302600_NS6detail15normal_iteratorINSA_10device_ptrIjEEEEPS6_SG_NS0_5tupleIJSF_SF_EEENSH_IJSG_SG_EEES6_PlJ7is_evenIjEEEE10hipError_tPvRmT3_T4_T5_T6_T7_T9_mT8_P12ihipStream_tbDpT10_ENKUlT_T0_E_clISt17integral_constantIbLb1EES15_IbLb0EEEEDaS11_S12_EUlS11_E_NS1_11comp_targetILNS1_3genE3ELNS1_11target_archE908ELNS1_3gpuE7ELNS1_3repE0EEENS1_30default_config_static_selectorELNS0_4arch9wavefront6targetE1EEEvT1_
    .private_segment_fixed_size: 0
    .sgpr_count:     6
    .sgpr_spill_count: 0
    .symbol:         _ZN7rocprim17ROCPRIM_400000_NS6detail17trampoline_kernelINS0_14default_configENS1_25partition_config_selectorILNS1_17partition_subalgoE0EjNS0_10empty_typeEbEEZZNS1_14partition_implILS5_0ELb0ES3_jN6thrust23THRUST_200600_302600_NS6detail15normal_iteratorINSA_10device_ptrIjEEEEPS6_SG_NS0_5tupleIJSF_SF_EEENSH_IJSG_SG_EEES6_PlJ7is_evenIjEEEE10hipError_tPvRmT3_T4_T5_T6_T7_T9_mT8_P12ihipStream_tbDpT10_ENKUlT_T0_E_clISt17integral_constantIbLb1EES15_IbLb0EEEEDaS11_S12_EUlS11_E_NS1_11comp_targetILNS1_3genE3ELNS1_11target_archE908ELNS1_3gpuE7ELNS1_3repE0EEENS1_30default_config_static_selectorELNS0_4arch9wavefront6targetE1EEEvT1_.kd
    .uniform_work_group_size: 1
    .uses_dynamic_stack: false
    .vgpr_count:     0
    .vgpr_spill_count: 0
    .wavefront_size: 64
  - .agpr_count:     0
    .args:
      - .offset:         0
        .size:           120
        .value_kind:     by_value
    .group_segment_fixed_size: 0
    .kernarg_segment_align: 8
    .kernarg_segment_size: 120
    .language:       OpenCL C
    .language_version:
      - 2
      - 0
    .max_flat_workgroup_size: 192
    .name:           _ZN7rocprim17ROCPRIM_400000_NS6detail17trampoline_kernelINS0_14default_configENS1_25partition_config_selectorILNS1_17partition_subalgoE0EjNS0_10empty_typeEbEEZZNS1_14partition_implILS5_0ELb0ES3_jN6thrust23THRUST_200600_302600_NS6detail15normal_iteratorINSA_10device_ptrIjEEEEPS6_SG_NS0_5tupleIJSF_SF_EEENSH_IJSG_SG_EEES6_PlJ7is_evenIjEEEE10hipError_tPvRmT3_T4_T5_T6_T7_T9_mT8_P12ihipStream_tbDpT10_ENKUlT_T0_E_clISt17integral_constantIbLb1EES15_IbLb0EEEEDaS11_S12_EUlS11_E_NS1_11comp_targetILNS1_3genE2ELNS1_11target_archE906ELNS1_3gpuE6ELNS1_3repE0EEENS1_30default_config_static_selectorELNS0_4arch9wavefront6targetE1EEEvT1_
    .private_segment_fixed_size: 0
    .sgpr_count:     6
    .sgpr_spill_count: 0
    .symbol:         _ZN7rocprim17ROCPRIM_400000_NS6detail17trampoline_kernelINS0_14default_configENS1_25partition_config_selectorILNS1_17partition_subalgoE0EjNS0_10empty_typeEbEEZZNS1_14partition_implILS5_0ELb0ES3_jN6thrust23THRUST_200600_302600_NS6detail15normal_iteratorINSA_10device_ptrIjEEEEPS6_SG_NS0_5tupleIJSF_SF_EEENSH_IJSG_SG_EEES6_PlJ7is_evenIjEEEE10hipError_tPvRmT3_T4_T5_T6_T7_T9_mT8_P12ihipStream_tbDpT10_ENKUlT_T0_E_clISt17integral_constantIbLb1EES15_IbLb0EEEEDaS11_S12_EUlS11_E_NS1_11comp_targetILNS1_3genE2ELNS1_11target_archE906ELNS1_3gpuE6ELNS1_3repE0EEENS1_30default_config_static_selectorELNS0_4arch9wavefront6targetE1EEEvT1_.kd
    .uniform_work_group_size: 1
    .uses_dynamic_stack: false
    .vgpr_count:     0
    .vgpr_spill_count: 0
    .wavefront_size: 64
  - .agpr_count:     0
    .args:
      - .offset:         0
        .size:           120
        .value_kind:     by_value
    .group_segment_fixed_size: 0
    .kernarg_segment_align: 8
    .kernarg_segment_size: 120
    .language:       OpenCL C
    .language_version:
      - 2
      - 0
    .max_flat_workgroup_size: 512
    .name:           _ZN7rocprim17ROCPRIM_400000_NS6detail17trampoline_kernelINS0_14default_configENS1_25partition_config_selectorILNS1_17partition_subalgoE0EjNS0_10empty_typeEbEEZZNS1_14partition_implILS5_0ELb0ES3_jN6thrust23THRUST_200600_302600_NS6detail15normal_iteratorINSA_10device_ptrIjEEEEPS6_SG_NS0_5tupleIJSF_SF_EEENSH_IJSG_SG_EEES6_PlJ7is_evenIjEEEE10hipError_tPvRmT3_T4_T5_T6_T7_T9_mT8_P12ihipStream_tbDpT10_ENKUlT_T0_E_clISt17integral_constantIbLb1EES15_IbLb0EEEEDaS11_S12_EUlS11_E_NS1_11comp_targetILNS1_3genE10ELNS1_11target_archE1200ELNS1_3gpuE4ELNS1_3repE0EEENS1_30default_config_static_selectorELNS0_4arch9wavefront6targetE1EEEvT1_
    .private_segment_fixed_size: 0
    .sgpr_count:     6
    .sgpr_spill_count: 0
    .symbol:         _ZN7rocprim17ROCPRIM_400000_NS6detail17trampoline_kernelINS0_14default_configENS1_25partition_config_selectorILNS1_17partition_subalgoE0EjNS0_10empty_typeEbEEZZNS1_14partition_implILS5_0ELb0ES3_jN6thrust23THRUST_200600_302600_NS6detail15normal_iteratorINSA_10device_ptrIjEEEEPS6_SG_NS0_5tupleIJSF_SF_EEENSH_IJSG_SG_EEES6_PlJ7is_evenIjEEEE10hipError_tPvRmT3_T4_T5_T6_T7_T9_mT8_P12ihipStream_tbDpT10_ENKUlT_T0_E_clISt17integral_constantIbLb1EES15_IbLb0EEEEDaS11_S12_EUlS11_E_NS1_11comp_targetILNS1_3genE10ELNS1_11target_archE1200ELNS1_3gpuE4ELNS1_3repE0EEENS1_30default_config_static_selectorELNS0_4arch9wavefront6targetE1EEEvT1_.kd
    .uniform_work_group_size: 1
    .uses_dynamic_stack: false
    .vgpr_count:     0
    .vgpr_spill_count: 0
    .wavefront_size: 64
  - .agpr_count:     0
    .args:
      - .offset:         0
        .size:           120
        .value_kind:     by_value
    .group_segment_fixed_size: 0
    .kernarg_segment_align: 8
    .kernarg_segment_size: 120
    .language:       OpenCL C
    .language_version:
      - 2
      - 0
    .max_flat_workgroup_size: 128
    .name:           _ZN7rocprim17ROCPRIM_400000_NS6detail17trampoline_kernelINS0_14default_configENS1_25partition_config_selectorILNS1_17partition_subalgoE0EjNS0_10empty_typeEbEEZZNS1_14partition_implILS5_0ELb0ES3_jN6thrust23THRUST_200600_302600_NS6detail15normal_iteratorINSA_10device_ptrIjEEEEPS6_SG_NS0_5tupleIJSF_SF_EEENSH_IJSG_SG_EEES6_PlJ7is_evenIjEEEE10hipError_tPvRmT3_T4_T5_T6_T7_T9_mT8_P12ihipStream_tbDpT10_ENKUlT_T0_E_clISt17integral_constantIbLb1EES15_IbLb0EEEEDaS11_S12_EUlS11_E_NS1_11comp_targetILNS1_3genE9ELNS1_11target_archE1100ELNS1_3gpuE3ELNS1_3repE0EEENS1_30default_config_static_selectorELNS0_4arch9wavefront6targetE1EEEvT1_
    .private_segment_fixed_size: 0
    .sgpr_count:     6
    .sgpr_spill_count: 0
    .symbol:         _ZN7rocprim17ROCPRIM_400000_NS6detail17trampoline_kernelINS0_14default_configENS1_25partition_config_selectorILNS1_17partition_subalgoE0EjNS0_10empty_typeEbEEZZNS1_14partition_implILS5_0ELb0ES3_jN6thrust23THRUST_200600_302600_NS6detail15normal_iteratorINSA_10device_ptrIjEEEEPS6_SG_NS0_5tupleIJSF_SF_EEENSH_IJSG_SG_EEES6_PlJ7is_evenIjEEEE10hipError_tPvRmT3_T4_T5_T6_T7_T9_mT8_P12ihipStream_tbDpT10_ENKUlT_T0_E_clISt17integral_constantIbLb1EES15_IbLb0EEEEDaS11_S12_EUlS11_E_NS1_11comp_targetILNS1_3genE9ELNS1_11target_archE1100ELNS1_3gpuE3ELNS1_3repE0EEENS1_30default_config_static_selectorELNS0_4arch9wavefront6targetE1EEEvT1_.kd
    .uniform_work_group_size: 1
    .uses_dynamic_stack: false
    .vgpr_count:     0
    .vgpr_spill_count: 0
    .wavefront_size: 64
  - .agpr_count:     0
    .args:
      - .offset:         0
        .size:           120
        .value_kind:     by_value
    .group_segment_fixed_size: 0
    .kernarg_segment_align: 8
    .kernarg_segment_size: 120
    .language:       OpenCL C
    .language_version:
      - 2
      - 0
    .max_flat_workgroup_size: 512
    .name:           _ZN7rocprim17ROCPRIM_400000_NS6detail17trampoline_kernelINS0_14default_configENS1_25partition_config_selectorILNS1_17partition_subalgoE0EjNS0_10empty_typeEbEEZZNS1_14partition_implILS5_0ELb0ES3_jN6thrust23THRUST_200600_302600_NS6detail15normal_iteratorINSA_10device_ptrIjEEEEPS6_SG_NS0_5tupleIJSF_SF_EEENSH_IJSG_SG_EEES6_PlJ7is_evenIjEEEE10hipError_tPvRmT3_T4_T5_T6_T7_T9_mT8_P12ihipStream_tbDpT10_ENKUlT_T0_E_clISt17integral_constantIbLb1EES15_IbLb0EEEEDaS11_S12_EUlS11_E_NS1_11comp_targetILNS1_3genE8ELNS1_11target_archE1030ELNS1_3gpuE2ELNS1_3repE0EEENS1_30default_config_static_selectorELNS0_4arch9wavefront6targetE1EEEvT1_
    .private_segment_fixed_size: 0
    .sgpr_count:     6
    .sgpr_spill_count: 0
    .symbol:         _ZN7rocprim17ROCPRIM_400000_NS6detail17trampoline_kernelINS0_14default_configENS1_25partition_config_selectorILNS1_17partition_subalgoE0EjNS0_10empty_typeEbEEZZNS1_14partition_implILS5_0ELb0ES3_jN6thrust23THRUST_200600_302600_NS6detail15normal_iteratorINSA_10device_ptrIjEEEEPS6_SG_NS0_5tupleIJSF_SF_EEENSH_IJSG_SG_EEES6_PlJ7is_evenIjEEEE10hipError_tPvRmT3_T4_T5_T6_T7_T9_mT8_P12ihipStream_tbDpT10_ENKUlT_T0_E_clISt17integral_constantIbLb1EES15_IbLb0EEEEDaS11_S12_EUlS11_E_NS1_11comp_targetILNS1_3genE8ELNS1_11target_archE1030ELNS1_3gpuE2ELNS1_3repE0EEENS1_30default_config_static_selectorELNS0_4arch9wavefront6targetE1EEEvT1_.kd
    .uniform_work_group_size: 1
    .uses_dynamic_stack: false
    .vgpr_count:     0
    .vgpr_spill_count: 0
    .wavefront_size: 64
  - .agpr_count:     0
    .args:
      - .offset:         0
        .size:           136
        .value_kind:     by_value
    .group_segment_fixed_size: 0
    .kernarg_segment_align: 8
    .kernarg_segment_size: 136
    .language:       OpenCL C
    .language_version:
      - 2
      - 0
    .max_flat_workgroup_size: 256
    .name:           _ZN7rocprim17ROCPRIM_400000_NS6detail17trampoline_kernelINS0_14default_configENS1_25partition_config_selectorILNS1_17partition_subalgoE0EjNS0_10empty_typeEbEEZZNS1_14partition_implILS5_0ELb0ES3_jN6thrust23THRUST_200600_302600_NS6detail15normal_iteratorINSA_10device_ptrIjEEEEPS6_SG_NS0_5tupleIJSF_SF_EEENSH_IJSG_SG_EEES6_PlJ7is_evenIjEEEE10hipError_tPvRmT3_T4_T5_T6_T7_T9_mT8_P12ihipStream_tbDpT10_ENKUlT_T0_E_clISt17integral_constantIbLb0EES15_IbLb1EEEEDaS11_S12_EUlS11_E_NS1_11comp_targetILNS1_3genE0ELNS1_11target_archE4294967295ELNS1_3gpuE0ELNS1_3repE0EEENS1_30default_config_static_selectorELNS0_4arch9wavefront6targetE1EEEvT1_
    .private_segment_fixed_size: 0
    .sgpr_count:     6
    .sgpr_spill_count: 0
    .symbol:         _ZN7rocprim17ROCPRIM_400000_NS6detail17trampoline_kernelINS0_14default_configENS1_25partition_config_selectorILNS1_17partition_subalgoE0EjNS0_10empty_typeEbEEZZNS1_14partition_implILS5_0ELb0ES3_jN6thrust23THRUST_200600_302600_NS6detail15normal_iteratorINSA_10device_ptrIjEEEEPS6_SG_NS0_5tupleIJSF_SF_EEENSH_IJSG_SG_EEES6_PlJ7is_evenIjEEEE10hipError_tPvRmT3_T4_T5_T6_T7_T9_mT8_P12ihipStream_tbDpT10_ENKUlT_T0_E_clISt17integral_constantIbLb0EES15_IbLb1EEEEDaS11_S12_EUlS11_E_NS1_11comp_targetILNS1_3genE0ELNS1_11target_archE4294967295ELNS1_3gpuE0ELNS1_3repE0EEENS1_30default_config_static_selectorELNS0_4arch9wavefront6targetE1EEEvT1_.kd
    .uniform_work_group_size: 1
    .uses_dynamic_stack: false
    .vgpr_count:     0
    .vgpr_spill_count: 0
    .wavefront_size: 64
  - .agpr_count:     0
    .args:
      - .offset:         0
        .size:           136
        .value_kind:     by_value
    .group_segment_fixed_size: 30728
    .kernarg_segment_align: 8
    .kernarg_segment_size: 136
    .language:       OpenCL C
    .language_version:
      - 2
      - 0
    .max_flat_workgroup_size: 512
    .name:           _ZN7rocprim17ROCPRIM_400000_NS6detail17trampoline_kernelINS0_14default_configENS1_25partition_config_selectorILNS1_17partition_subalgoE0EjNS0_10empty_typeEbEEZZNS1_14partition_implILS5_0ELb0ES3_jN6thrust23THRUST_200600_302600_NS6detail15normal_iteratorINSA_10device_ptrIjEEEEPS6_SG_NS0_5tupleIJSF_SF_EEENSH_IJSG_SG_EEES6_PlJ7is_evenIjEEEE10hipError_tPvRmT3_T4_T5_T6_T7_T9_mT8_P12ihipStream_tbDpT10_ENKUlT_T0_E_clISt17integral_constantIbLb0EES15_IbLb1EEEEDaS11_S12_EUlS11_E_NS1_11comp_targetILNS1_3genE5ELNS1_11target_archE942ELNS1_3gpuE9ELNS1_3repE0EEENS1_30default_config_static_selectorELNS0_4arch9wavefront6targetE1EEEvT1_
    .private_segment_fixed_size: 0
    .sgpr_count:     50
    .sgpr_spill_count: 0
    .symbol:         _ZN7rocprim17ROCPRIM_400000_NS6detail17trampoline_kernelINS0_14default_configENS1_25partition_config_selectorILNS1_17partition_subalgoE0EjNS0_10empty_typeEbEEZZNS1_14partition_implILS5_0ELb0ES3_jN6thrust23THRUST_200600_302600_NS6detail15normal_iteratorINSA_10device_ptrIjEEEEPS6_SG_NS0_5tupleIJSF_SF_EEENSH_IJSG_SG_EEES6_PlJ7is_evenIjEEEE10hipError_tPvRmT3_T4_T5_T6_T7_T9_mT8_P12ihipStream_tbDpT10_ENKUlT_T0_E_clISt17integral_constantIbLb0EES15_IbLb1EEEEDaS11_S12_EUlS11_E_NS1_11comp_targetILNS1_3genE5ELNS1_11target_archE942ELNS1_3gpuE9ELNS1_3repE0EEENS1_30default_config_static_selectorELNS0_4arch9wavefront6targetE1EEEvT1_.kd
    .uniform_work_group_size: 1
    .uses_dynamic_stack: false
    .vgpr_count:     80
    .vgpr_spill_count: 0
    .wavefront_size: 64
  - .agpr_count:     0
    .args:
      - .offset:         0
        .size:           136
        .value_kind:     by_value
    .group_segment_fixed_size: 0
    .kernarg_segment_align: 8
    .kernarg_segment_size: 136
    .language:       OpenCL C
    .language_version:
      - 2
      - 0
    .max_flat_workgroup_size: 256
    .name:           _ZN7rocprim17ROCPRIM_400000_NS6detail17trampoline_kernelINS0_14default_configENS1_25partition_config_selectorILNS1_17partition_subalgoE0EjNS0_10empty_typeEbEEZZNS1_14partition_implILS5_0ELb0ES3_jN6thrust23THRUST_200600_302600_NS6detail15normal_iteratorINSA_10device_ptrIjEEEEPS6_SG_NS0_5tupleIJSF_SF_EEENSH_IJSG_SG_EEES6_PlJ7is_evenIjEEEE10hipError_tPvRmT3_T4_T5_T6_T7_T9_mT8_P12ihipStream_tbDpT10_ENKUlT_T0_E_clISt17integral_constantIbLb0EES15_IbLb1EEEEDaS11_S12_EUlS11_E_NS1_11comp_targetILNS1_3genE4ELNS1_11target_archE910ELNS1_3gpuE8ELNS1_3repE0EEENS1_30default_config_static_selectorELNS0_4arch9wavefront6targetE1EEEvT1_
    .private_segment_fixed_size: 0
    .sgpr_count:     6
    .sgpr_spill_count: 0
    .symbol:         _ZN7rocprim17ROCPRIM_400000_NS6detail17trampoline_kernelINS0_14default_configENS1_25partition_config_selectorILNS1_17partition_subalgoE0EjNS0_10empty_typeEbEEZZNS1_14partition_implILS5_0ELb0ES3_jN6thrust23THRUST_200600_302600_NS6detail15normal_iteratorINSA_10device_ptrIjEEEEPS6_SG_NS0_5tupleIJSF_SF_EEENSH_IJSG_SG_EEES6_PlJ7is_evenIjEEEE10hipError_tPvRmT3_T4_T5_T6_T7_T9_mT8_P12ihipStream_tbDpT10_ENKUlT_T0_E_clISt17integral_constantIbLb0EES15_IbLb1EEEEDaS11_S12_EUlS11_E_NS1_11comp_targetILNS1_3genE4ELNS1_11target_archE910ELNS1_3gpuE8ELNS1_3repE0EEENS1_30default_config_static_selectorELNS0_4arch9wavefront6targetE1EEEvT1_.kd
    .uniform_work_group_size: 1
    .uses_dynamic_stack: false
    .vgpr_count:     0
    .vgpr_spill_count: 0
    .wavefront_size: 64
  - .agpr_count:     0
    .args:
      - .offset:         0
        .size:           136
        .value_kind:     by_value
    .group_segment_fixed_size: 0
    .kernarg_segment_align: 8
    .kernarg_segment_size: 136
    .language:       OpenCL C
    .language_version:
      - 2
      - 0
    .max_flat_workgroup_size: 256
    .name:           _ZN7rocprim17ROCPRIM_400000_NS6detail17trampoline_kernelINS0_14default_configENS1_25partition_config_selectorILNS1_17partition_subalgoE0EjNS0_10empty_typeEbEEZZNS1_14partition_implILS5_0ELb0ES3_jN6thrust23THRUST_200600_302600_NS6detail15normal_iteratorINSA_10device_ptrIjEEEEPS6_SG_NS0_5tupleIJSF_SF_EEENSH_IJSG_SG_EEES6_PlJ7is_evenIjEEEE10hipError_tPvRmT3_T4_T5_T6_T7_T9_mT8_P12ihipStream_tbDpT10_ENKUlT_T0_E_clISt17integral_constantIbLb0EES15_IbLb1EEEEDaS11_S12_EUlS11_E_NS1_11comp_targetILNS1_3genE3ELNS1_11target_archE908ELNS1_3gpuE7ELNS1_3repE0EEENS1_30default_config_static_selectorELNS0_4arch9wavefront6targetE1EEEvT1_
    .private_segment_fixed_size: 0
    .sgpr_count:     6
    .sgpr_spill_count: 0
    .symbol:         _ZN7rocprim17ROCPRIM_400000_NS6detail17trampoline_kernelINS0_14default_configENS1_25partition_config_selectorILNS1_17partition_subalgoE0EjNS0_10empty_typeEbEEZZNS1_14partition_implILS5_0ELb0ES3_jN6thrust23THRUST_200600_302600_NS6detail15normal_iteratorINSA_10device_ptrIjEEEEPS6_SG_NS0_5tupleIJSF_SF_EEENSH_IJSG_SG_EEES6_PlJ7is_evenIjEEEE10hipError_tPvRmT3_T4_T5_T6_T7_T9_mT8_P12ihipStream_tbDpT10_ENKUlT_T0_E_clISt17integral_constantIbLb0EES15_IbLb1EEEEDaS11_S12_EUlS11_E_NS1_11comp_targetILNS1_3genE3ELNS1_11target_archE908ELNS1_3gpuE7ELNS1_3repE0EEENS1_30default_config_static_selectorELNS0_4arch9wavefront6targetE1EEEvT1_.kd
    .uniform_work_group_size: 1
    .uses_dynamic_stack: false
    .vgpr_count:     0
    .vgpr_spill_count: 0
    .wavefront_size: 64
  - .agpr_count:     0
    .args:
      - .offset:         0
        .size:           136
        .value_kind:     by_value
    .group_segment_fixed_size: 0
    .kernarg_segment_align: 8
    .kernarg_segment_size: 136
    .language:       OpenCL C
    .language_version:
      - 2
      - 0
    .max_flat_workgroup_size: 192
    .name:           _ZN7rocprim17ROCPRIM_400000_NS6detail17trampoline_kernelINS0_14default_configENS1_25partition_config_selectorILNS1_17partition_subalgoE0EjNS0_10empty_typeEbEEZZNS1_14partition_implILS5_0ELb0ES3_jN6thrust23THRUST_200600_302600_NS6detail15normal_iteratorINSA_10device_ptrIjEEEEPS6_SG_NS0_5tupleIJSF_SF_EEENSH_IJSG_SG_EEES6_PlJ7is_evenIjEEEE10hipError_tPvRmT3_T4_T5_T6_T7_T9_mT8_P12ihipStream_tbDpT10_ENKUlT_T0_E_clISt17integral_constantIbLb0EES15_IbLb1EEEEDaS11_S12_EUlS11_E_NS1_11comp_targetILNS1_3genE2ELNS1_11target_archE906ELNS1_3gpuE6ELNS1_3repE0EEENS1_30default_config_static_selectorELNS0_4arch9wavefront6targetE1EEEvT1_
    .private_segment_fixed_size: 0
    .sgpr_count:     6
    .sgpr_spill_count: 0
    .symbol:         _ZN7rocprim17ROCPRIM_400000_NS6detail17trampoline_kernelINS0_14default_configENS1_25partition_config_selectorILNS1_17partition_subalgoE0EjNS0_10empty_typeEbEEZZNS1_14partition_implILS5_0ELb0ES3_jN6thrust23THRUST_200600_302600_NS6detail15normal_iteratorINSA_10device_ptrIjEEEEPS6_SG_NS0_5tupleIJSF_SF_EEENSH_IJSG_SG_EEES6_PlJ7is_evenIjEEEE10hipError_tPvRmT3_T4_T5_T6_T7_T9_mT8_P12ihipStream_tbDpT10_ENKUlT_T0_E_clISt17integral_constantIbLb0EES15_IbLb1EEEEDaS11_S12_EUlS11_E_NS1_11comp_targetILNS1_3genE2ELNS1_11target_archE906ELNS1_3gpuE6ELNS1_3repE0EEENS1_30default_config_static_selectorELNS0_4arch9wavefront6targetE1EEEvT1_.kd
    .uniform_work_group_size: 1
    .uses_dynamic_stack: false
    .vgpr_count:     0
    .vgpr_spill_count: 0
    .wavefront_size: 64
  - .agpr_count:     0
    .args:
      - .offset:         0
        .size:           136
        .value_kind:     by_value
    .group_segment_fixed_size: 0
    .kernarg_segment_align: 8
    .kernarg_segment_size: 136
    .language:       OpenCL C
    .language_version:
      - 2
      - 0
    .max_flat_workgroup_size: 512
    .name:           _ZN7rocprim17ROCPRIM_400000_NS6detail17trampoline_kernelINS0_14default_configENS1_25partition_config_selectorILNS1_17partition_subalgoE0EjNS0_10empty_typeEbEEZZNS1_14partition_implILS5_0ELb0ES3_jN6thrust23THRUST_200600_302600_NS6detail15normal_iteratorINSA_10device_ptrIjEEEEPS6_SG_NS0_5tupleIJSF_SF_EEENSH_IJSG_SG_EEES6_PlJ7is_evenIjEEEE10hipError_tPvRmT3_T4_T5_T6_T7_T9_mT8_P12ihipStream_tbDpT10_ENKUlT_T0_E_clISt17integral_constantIbLb0EES15_IbLb1EEEEDaS11_S12_EUlS11_E_NS1_11comp_targetILNS1_3genE10ELNS1_11target_archE1200ELNS1_3gpuE4ELNS1_3repE0EEENS1_30default_config_static_selectorELNS0_4arch9wavefront6targetE1EEEvT1_
    .private_segment_fixed_size: 0
    .sgpr_count:     6
    .sgpr_spill_count: 0
    .symbol:         _ZN7rocprim17ROCPRIM_400000_NS6detail17trampoline_kernelINS0_14default_configENS1_25partition_config_selectorILNS1_17partition_subalgoE0EjNS0_10empty_typeEbEEZZNS1_14partition_implILS5_0ELb0ES3_jN6thrust23THRUST_200600_302600_NS6detail15normal_iteratorINSA_10device_ptrIjEEEEPS6_SG_NS0_5tupleIJSF_SF_EEENSH_IJSG_SG_EEES6_PlJ7is_evenIjEEEE10hipError_tPvRmT3_T4_T5_T6_T7_T9_mT8_P12ihipStream_tbDpT10_ENKUlT_T0_E_clISt17integral_constantIbLb0EES15_IbLb1EEEEDaS11_S12_EUlS11_E_NS1_11comp_targetILNS1_3genE10ELNS1_11target_archE1200ELNS1_3gpuE4ELNS1_3repE0EEENS1_30default_config_static_selectorELNS0_4arch9wavefront6targetE1EEEvT1_.kd
    .uniform_work_group_size: 1
    .uses_dynamic_stack: false
    .vgpr_count:     0
    .vgpr_spill_count: 0
    .wavefront_size: 64
  - .agpr_count:     0
    .args:
      - .offset:         0
        .size:           136
        .value_kind:     by_value
    .group_segment_fixed_size: 0
    .kernarg_segment_align: 8
    .kernarg_segment_size: 136
    .language:       OpenCL C
    .language_version:
      - 2
      - 0
    .max_flat_workgroup_size: 128
    .name:           _ZN7rocprim17ROCPRIM_400000_NS6detail17trampoline_kernelINS0_14default_configENS1_25partition_config_selectorILNS1_17partition_subalgoE0EjNS0_10empty_typeEbEEZZNS1_14partition_implILS5_0ELb0ES3_jN6thrust23THRUST_200600_302600_NS6detail15normal_iteratorINSA_10device_ptrIjEEEEPS6_SG_NS0_5tupleIJSF_SF_EEENSH_IJSG_SG_EEES6_PlJ7is_evenIjEEEE10hipError_tPvRmT3_T4_T5_T6_T7_T9_mT8_P12ihipStream_tbDpT10_ENKUlT_T0_E_clISt17integral_constantIbLb0EES15_IbLb1EEEEDaS11_S12_EUlS11_E_NS1_11comp_targetILNS1_3genE9ELNS1_11target_archE1100ELNS1_3gpuE3ELNS1_3repE0EEENS1_30default_config_static_selectorELNS0_4arch9wavefront6targetE1EEEvT1_
    .private_segment_fixed_size: 0
    .sgpr_count:     6
    .sgpr_spill_count: 0
    .symbol:         _ZN7rocprim17ROCPRIM_400000_NS6detail17trampoline_kernelINS0_14default_configENS1_25partition_config_selectorILNS1_17partition_subalgoE0EjNS0_10empty_typeEbEEZZNS1_14partition_implILS5_0ELb0ES3_jN6thrust23THRUST_200600_302600_NS6detail15normal_iteratorINSA_10device_ptrIjEEEEPS6_SG_NS0_5tupleIJSF_SF_EEENSH_IJSG_SG_EEES6_PlJ7is_evenIjEEEE10hipError_tPvRmT3_T4_T5_T6_T7_T9_mT8_P12ihipStream_tbDpT10_ENKUlT_T0_E_clISt17integral_constantIbLb0EES15_IbLb1EEEEDaS11_S12_EUlS11_E_NS1_11comp_targetILNS1_3genE9ELNS1_11target_archE1100ELNS1_3gpuE3ELNS1_3repE0EEENS1_30default_config_static_selectorELNS0_4arch9wavefront6targetE1EEEvT1_.kd
    .uniform_work_group_size: 1
    .uses_dynamic_stack: false
    .vgpr_count:     0
    .vgpr_spill_count: 0
    .wavefront_size: 64
  - .agpr_count:     0
    .args:
      - .offset:         0
        .size:           136
        .value_kind:     by_value
    .group_segment_fixed_size: 0
    .kernarg_segment_align: 8
    .kernarg_segment_size: 136
    .language:       OpenCL C
    .language_version:
      - 2
      - 0
    .max_flat_workgroup_size: 512
    .name:           _ZN7rocprim17ROCPRIM_400000_NS6detail17trampoline_kernelINS0_14default_configENS1_25partition_config_selectorILNS1_17partition_subalgoE0EjNS0_10empty_typeEbEEZZNS1_14partition_implILS5_0ELb0ES3_jN6thrust23THRUST_200600_302600_NS6detail15normal_iteratorINSA_10device_ptrIjEEEEPS6_SG_NS0_5tupleIJSF_SF_EEENSH_IJSG_SG_EEES6_PlJ7is_evenIjEEEE10hipError_tPvRmT3_T4_T5_T6_T7_T9_mT8_P12ihipStream_tbDpT10_ENKUlT_T0_E_clISt17integral_constantIbLb0EES15_IbLb1EEEEDaS11_S12_EUlS11_E_NS1_11comp_targetILNS1_3genE8ELNS1_11target_archE1030ELNS1_3gpuE2ELNS1_3repE0EEENS1_30default_config_static_selectorELNS0_4arch9wavefront6targetE1EEEvT1_
    .private_segment_fixed_size: 0
    .sgpr_count:     6
    .sgpr_spill_count: 0
    .symbol:         _ZN7rocprim17ROCPRIM_400000_NS6detail17trampoline_kernelINS0_14default_configENS1_25partition_config_selectorILNS1_17partition_subalgoE0EjNS0_10empty_typeEbEEZZNS1_14partition_implILS5_0ELb0ES3_jN6thrust23THRUST_200600_302600_NS6detail15normal_iteratorINSA_10device_ptrIjEEEEPS6_SG_NS0_5tupleIJSF_SF_EEENSH_IJSG_SG_EEES6_PlJ7is_evenIjEEEE10hipError_tPvRmT3_T4_T5_T6_T7_T9_mT8_P12ihipStream_tbDpT10_ENKUlT_T0_E_clISt17integral_constantIbLb0EES15_IbLb1EEEEDaS11_S12_EUlS11_E_NS1_11comp_targetILNS1_3genE8ELNS1_11target_archE1030ELNS1_3gpuE2ELNS1_3repE0EEENS1_30default_config_static_selectorELNS0_4arch9wavefront6targetE1EEEvT1_.kd
    .uniform_work_group_size: 1
    .uses_dynamic_stack: false
    .vgpr_count:     0
    .vgpr_spill_count: 0
    .wavefront_size: 64
  - .agpr_count:     0
    .args:
      - .offset:         0
        .size:           16
        .value_kind:     by_value
      - .offset:         16
        .size:           8
        .value_kind:     by_value
      - .offset:         24
        .size:           8
        .value_kind:     by_value
    .group_segment_fixed_size: 0
    .kernarg_segment_align: 8
    .kernarg_segment_size: 32
    .language:       OpenCL C
    .language_version:
      - 2
      - 0
    .max_flat_workgroup_size: 256
    .name:           _ZN6thrust23THRUST_200600_302600_NS11hip_rocprim14__parallel_for6kernelILj256ENS1_20__uninitialized_fill7functorINS0_10device_ptrItEEtEEmLj1EEEvT0_T1_SA_
    .private_segment_fixed_size: 0
    .sgpr_count:     14
    .sgpr_spill_count: 0
    .symbol:         _ZN6thrust23THRUST_200600_302600_NS11hip_rocprim14__parallel_for6kernelILj256ENS1_20__uninitialized_fill7functorINS0_10device_ptrItEEtEEmLj1EEEvT0_T1_SA_.kd
    .uniform_work_group_size: 1
    .uses_dynamic_stack: false
    .vgpr_count:     4
    .vgpr_spill_count: 0
    .wavefront_size: 64
  - .agpr_count:     0
    .args:
      - .offset:         0
        .size:           120
        .value_kind:     by_value
    .group_segment_fixed_size: 0
    .kernarg_segment_align: 8
    .kernarg_segment_size: 120
    .language:       OpenCL C
    .language_version:
      - 2
      - 0
    .max_flat_workgroup_size: 256
    .name:           _ZN7rocprim17ROCPRIM_400000_NS6detail17trampoline_kernelINS0_14default_configENS1_25partition_config_selectorILNS1_17partition_subalgoE0EtNS0_10empty_typeEbEEZZNS1_14partition_implILS5_0ELb0ES3_jN6thrust23THRUST_200600_302600_NS6detail15normal_iteratorINSA_10device_ptrItEEEEPS6_SG_NS0_5tupleIJSF_SF_EEENSH_IJSG_SG_EEES6_PlJ7is_evenItEEEE10hipError_tPvRmT3_T4_T5_T6_T7_T9_mT8_P12ihipStream_tbDpT10_ENKUlT_T0_E_clISt17integral_constantIbLb0EES16_EEDaS11_S12_EUlS11_E_NS1_11comp_targetILNS1_3genE0ELNS1_11target_archE4294967295ELNS1_3gpuE0ELNS1_3repE0EEENS1_30default_config_static_selectorELNS0_4arch9wavefront6targetE1EEEvT1_
    .private_segment_fixed_size: 0
    .sgpr_count:     6
    .sgpr_spill_count: 0
    .symbol:         _ZN7rocprim17ROCPRIM_400000_NS6detail17trampoline_kernelINS0_14default_configENS1_25partition_config_selectorILNS1_17partition_subalgoE0EtNS0_10empty_typeEbEEZZNS1_14partition_implILS5_0ELb0ES3_jN6thrust23THRUST_200600_302600_NS6detail15normal_iteratorINSA_10device_ptrItEEEEPS6_SG_NS0_5tupleIJSF_SF_EEENSH_IJSG_SG_EEES6_PlJ7is_evenItEEEE10hipError_tPvRmT3_T4_T5_T6_T7_T9_mT8_P12ihipStream_tbDpT10_ENKUlT_T0_E_clISt17integral_constantIbLb0EES16_EEDaS11_S12_EUlS11_E_NS1_11comp_targetILNS1_3genE0ELNS1_11target_archE4294967295ELNS1_3gpuE0ELNS1_3repE0EEENS1_30default_config_static_selectorELNS0_4arch9wavefront6targetE1EEEvT1_.kd
    .uniform_work_group_size: 1
    .uses_dynamic_stack: false
    .vgpr_count:     0
    .vgpr_spill_count: 0
    .wavefront_size: 64
  - .agpr_count:     0
    .args:
      - .offset:         0
        .size:           120
        .value_kind:     by_value
    .group_segment_fixed_size: 30728
    .kernarg_segment_align: 8
    .kernarg_segment_size: 120
    .language:       OpenCL C
    .language_version:
      - 2
      - 0
    .max_flat_workgroup_size: 512
    .name:           _ZN7rocprim17ROCPRIM_400000_NS6detail17trampoline_kernelINS0_14default_configENS1_25partition_config_selectorILNS1_17partition_subalgoE0EtNS0_10empty_typeEbEEZZNS1_14partition_implILS5_0ELb0ES3_jN6thrust23THRUST_200600_302600_NS6detail15normal_iteratorINSA_10device_ptrItEEEEPS6_SG_NS0_5tupleIJSF_SF_EEENSH_IJSG_SG_EEES6_PlJ7is_evenItEEEE10hipError_tPvRmT3_T4_T5_T6_T7_T9_mT8_P12ihipStream_tbDpT10_ENKUlT_T0_E_clISt17integral_constantIbLb0EES16_EEDaS11_S12_EUlS11_E_NS1_11comp_targetILNS1_3genE5ELNS1_11target_archE942ELNS1_3gpuE9ELNS1_3repE0EEENS1_30default_config_static_selectorELNS0_4arch9wavefront6targetE1EEEvT1_
    .private_segment_fixed_size: 0
    .sgpr_count:     50
    .sgpr_spill_count: 0
    .symbol:         _ZN7rocprim17ROCPRIM_400000_NS6detail17trampoline_kernelINS0_14default_configENS1_25partition_config_selectorILNS1_17partition_subalgoE0EtNS0_10empty_typeEbEEZZNS1_14partition_implILS5_0ELb0ES3_jN6thrust23THRUST_200600_302600_NS6detail15normal_iteratorINSA_10device_ptrItEEEEPS6_SG_NS0_5tupleIJSF_SF_EEENSH_IJSG_SG_EEES6_PlJ7is_evenItEEEE10hipError_tPvRmT3_T4_T5_T6_T7_T9_mT8_P12ihipStream_tbDpT10_ENKUlT_T0_E_clISt17integral_constantIbLb0EES16_EEDaS11_S12_EUlS11_E_NS1_11comp_targetILNS1_3genE5ELNS1_11target_archE942ELNS1_3gpuE9ELNS1_3repE0EEENS1_30default_config_static_selectorELNS0_4arch9wavefront6targetE1EEEvT1_.kd
    .uniform_work_group_size: 1
    .uses_dynamic_stack: false
    .vgpr_count:     120
    .vgpr_spill_count: 0
    .wavefront_size: 64
  - .agpr_count:     0
    .args:
      - .offset:         0
        .size:           120
        .value_kind:     by_value
    .group_segment_fixed_size: 0
    .kernarg_segment_align: 8
    .kernarg_segment_size: 120
    .language:       OpenCL C
    .language_version:
      - 2
      - 0
    .max_flat_workgroup_size: 256
    .name:           _ZN7rocprim17ROCPRIM_400000_NS6detail17trampoline_kernelINS0_14default_configENS1_25partition_config_selectorILNS1_17partition_subalgoE0EtNS0_10empty_typeEbEEZZNS1_14partition_implILS5_0ELb0ES3_jN6thrust23THRUST_200600_302600_NS6detail15normal_iteratorINSA_10device_ptrItEEEEPS6_SG_NS0_5tupleIJSF_SF_EEENSH_IJSG_SG_EEES6_PlJ7is_evenItEEEE10hipError_tPvRmT3_T4_T5_T6_T7_T9_mT8_P12ihipStream_tbDpT10_ENKUlT_T0_E_clISt17integral_constantIbLb0EES16_EEDaS11_S12_EUlS11_E_NS1_11comp_targetILNS1_3genE4ELNS1_11target_archE910ELNS1_3gpuE8ELNS1_3repE0EEENS1_30default_config_static_selectorELNS0_4arch9wavefront6targetE1EEEvT1_
    .private_segment_fixed_size: 0
    .sgpr_count:     6
    .sgpr_spill_count: 0
    .symbol:         _ZN7rocprim17ROCPRIM_400000_NS6detail17trampoline_kernelINS0_14default_configENS1_25partition_config_selectorILNS1_17partition_subalgoE0EtNS0_10empty_typeEbEEZZNS1_14partition_implILS5_0ELb0ES3_jN6thrust23THRUST_200600_302600_NS6detail15normal_iteratorINSA_10device_ptrItEEEEPS6_SG_NS0_5tupleIJSF_SF_EEENSH_IJSG_SG_EEES6_PlJ7is_evenItEEEE10hipError_tPvRmT3_T4_T5_T6_T7_T9_mT8_P12ihipStream_tbDpT10_ENKUlT_T0_E_clISt17integral_constantIbLb0EES16_EEDaS11_S12_EUlS11_E_NS1_11comp_targetILNS1_3genE4ELNS1_11target_archE910ELNS1_3gpuE8ELNS1_3repE0EEENS1_30default_config_static_selectorELNS0_4arch9wavefront6targetE1EEEvT1_.kd
    .uniform_work_group_size: 1
    .uses_dynamic_stack: false
    .vgpr_count:     0
    .vgpr_spill_count: 0
    .wavefront_size: 64
  - .agpr_count:     0
    .args:
      - .offset:         0
        .size:           120
        .value_kind:     by_value
    .group_segment_fixed_size: 0
    .kernarg_segment_align: 8
    .kernarg_segment_size: 120
    .language:       OpenCL C
    .language_version:
      - 2
      - 0
    .max_flat_workgroup_size: 256
    .name:           _ZN7rocprim17ROCPRIM_400000_NS6detail17trampoline_kernelINS0_14default_configENS1_25partition_config_selectorILNS1_17partition_subalgoE0EtNS0_10empty_typeEbEEZZNS1_14partition_implILS5_0ELb0ES3_jN6thrust23THRUST_200600_302600_NS6detail15normal_iteratorINSA_10device_ptrItEEEEPS6_SG_NS0_5tupleIJSF_SF_EEENSH_IJSG_SG_EEES6_PlJ7is_evenItEEEE10hipError_tPvRmT3_T4_T5_T6_T7_T9_mT8_P12ihipStream_tbDpT10_ENKUlT_T0_E_clISt17integral_constantIbLb0EES16_EEDaS11_S12_EUlS11_E_NS1_11comp_targetILNS1_3genE3ELNS1_11target_archE908ELNS1_3gpuE7ELNS1_3repE0EEENS1_30default_config_static_selectorELNS0_4arch9wavefront6targetE1EEEvT1_
    .private_segment_fixed_size: 0
    .sgpr_count:     6
    .sgpr_spill_count: 0
    .symbol:         _ZN7rocprim17ROCPRIM_400000_NS6detail17trampoline_kernelINS0_14default_configENS1_25partition_config_selectorILNS1_17partition_subalgoE0EtNS0_10empty_typeEbEEZZNS1_14partition_implILS5_0ELb0ES3_jN6thrust23THRUST_200600_302600_NS6detail15normal_iteratorINSA_10device_ptrItEEEEPS6_SG_NS0_5tupleIJSF_SF_EEENSH_IJSG_SG_EEES6_PlJ7is_evenItEEEE10hipError_tPvRmT3_T4_T5_T6_T7_T9_mT8_P12ihipStream_tbDpT10_ENKUlT_T0_E_clISt17integral_constantIbLb0EES16_EEDaS11_S12_EUlS11_E_NS1_11comp_targetILNS1_3genE3ELNS1_11target_archE908ELNS1_3gpuE7ELNS1_3repE0EEENS1_30default_config_static_selectorELNS0_4arch9wavefront6targetE1EEEvT1_.kd
    .uniform_work_group_size: 1
    .uses_dynamic_stack: false
    .vgpr_count:     0
    .vgpr_spill_count: 0
    .wavefront_size: 64
  - .agpr_count:     0
    .args:
      - .offset:         0
        .size:           120
        .value_kind:     by_value
    .group_segment_fixed_size: 0
    .kernarg_segment_align: 8
    .kernarg_segment_size: 120
    .language:       OpenCL C
    .language_version:
      - 2
      - 0
    .max_flat_workgroup_size: 256
    .name:           _ZN7rocprim17ROCPRIM_400000_NS6detail17trampoline_kernelINS0_14default_configENS1_25partition_config_selectorILNS1_17partition_subalgoE0EtNS0_10empty_typeEbEEZZNS1_14partition_implILS5_0ELb0ES3_jN6thrust23THRUST_200600_302600_NS6detail15normal_iteratorINSA_10device_ptrItEEEEPS6_SG_NS0_5tupleIJSF_SF_EEENSH_IJSG_SG_EEES6_PlJ7is_evenItEEEE10hipError_tPvRmT3_T4_T5_T6_T7_T9_mT8_P12ihipStream_tbDpT10_ENKUlT_T0_E_clISt17integral_constantIbLb0EES16_EEDaS11_S12_EUlS11_E_NS1_11comp_targetILNS1_3genE2ELNS1_11target_archE906ELNS1_3gpuE6ELNS1_3repE0EEENS1_30default_config_static_selectorELNS0_4arch9wavefront6targetE1EEEvT1_
    .private_segment_fixed_size: 0
    .sgpr_count:     6
    .sgpr_spill_count: 0
    .symbol:         _ZN7rocprim17ROCPRIM_400000_NS6detail17trampoline_kernelINS0_14default_configENS1_25partition_config_selectorILNS1_17partition_subalgoE0EtNS0_10empty_typeEbEEZZNS1_14partition_implILS5_0ELb0ES3_jN6thrust23THRUST_200600_302600_NS6detail15normal_iteratorINSA_10device_ptrItEEEEPS6_SG_NS0_5tupleIJSF_SF_EEENSH_IJSG_SG_EEES6_PlJ7is_evenItEEEE10hipError_tPvRmT3_T4_T5_T6_T7_T9_mT8_P12ihipStream_tbDpT10_ENKUlT_T0_E_clISt17integral_constantIbLb0EES16_EEDaS11_S12_EUlS11_E_NS1_11comp_targetILNS1_3genE2ELNS1_11target_archE906ELNS1_3gpuE6ELNS1_3repE0EEENS1_30default_config_static_selectorELNS0_4arch9wavefront6targetE1EEEvT1_.kd
    .uniform_work_group_size: 1
    .uses_dynamic_stack: false
    .vgpr_count:     0
    .vgpr_spill_count: 0
    .wavefront_size: 64
  - .agpr_count:     0
    .args:
      - .offset:         0
        .size:           120
        .value_kind:     by_value
    .group_segment_fixed_size: 0
    .kernarg_segment_align: 8
    .kernarg_segment_size: 120
    .language:       OpenCL C
    .language_version:
      - 2
      - 0
    .max_flat_workgroup_size: 384
    .name:           _ZN7rocprim17ROCPRIM_400000_NS6detail17trampoline_kernelINS0_14default_configENS1_25partition_config_selectorILNS1_17partition_subalgoE0EtNS0_10empty_typeEbEEZZNS1_14partition_implILS5_0ELb0ES3_jN6thrust23THRUST_200600_302600_NS6detail15normal_iteratorINSA_10device_ptrItEEEEPS6_SG_NS0_5tupleIJSF_SF_EEENSH_IJSG_SG_EEES6_PlJ7is_evenItEEEE10hipError_tPvRmT3_T4_T5_T6_T7_T9_mT8_P12ihipStream_tbDpT10_ENKUlT_T0_E_clISt17integral_constantIbLb0EES16_EEDaS11_S12_EUlS11_E_NS1_11comp_targetILNS1_3genE10ELNS1_11target_archE1200ELNS1_3gpuE4ELNS1_3repE0EEENS1_30default_config_static_selectorELNS0_4arch9wavefront6targetE1EEEvT1_
    .private_segment_fixed_size: 0
    .sgpr_count:     6
    .sgpr_spill_count: 0
    .symbol:         _ZN7rocprim17ROCPRIM_400000_NS6detail17trampoline_kernelINS0_14default_configENS1_25partition_config_selectorILNS1_17partition_subalgoE0EtNS0_10empty_typeEbEEZZNS1_14partition_implILS5_0ELb0ES3_jN6thrust23THRUST_200600_302600_NS6detail15normal_iteratorINSA_10device_ptrItEEEEPS6_SG_NS0_5tupleIJSF_SF_EEENSH_IJSG_SG_EEES6_PlJ7is_evenItEEEE10hipError_tPvRmT3_T4_T5_T6_T7_T9_mT8_P12ihipStream_tbDpT10_ENKUlT_T0_E_clISt17integral_constantIbLb0EES16_EEDaS11_S12_EUlS11_E_NS1_11comp_targetILNS1_3genE10ELNS1_11target_archE1200ELNS1_3gpuE4ELNS1_3repE0EEENS1_30default_config_static_selectorELNS0_4arch9wavefront6targetE1EEEvT1_.kd
    .uniform_work_group_size: 1
    .uses_dynamic_stack: false
    .vgpr_count:     0
    .vgpr_spill_count: 0
    .wavefront_size: 64
  - .agpr_count:     0
    .args:
      - .offset:         0
        .size:           120
        .value_kind:     by_value
    .group_segment_fixed_size: 0
    .kernarg_segment_align: 8
    .kernarg_segment_size: 120
    .language:       OpenCL C
    .language_version:
      - 2
      - 0
    .max_flat_workgroup_size: 128
    .name:           _ZN7rocprim17ROCPRIM_400000_NS6detail17trampoline_kernelINS0_14default_configENS1_25partition_config_selectorILNS1_17partition_subalgoE0EtNS0_10empty_typeEbEEZZNS1_14partition_implILS5_0ELb0ES3_jN6thrust23THRUST_200600_302600_NS6detail15normal_iteratorINSA_10device_ptrItEEEEPS6_SG_NS0_5tupleIJSF_SF_EEENSH_IJSG_SG_EEES6_PlJ7is_evenItEEEE10hipError_tPvRmT3_T4_T5_T6_T7_T9_mT8_P12ihipStream_tbDpT10_ENKUlT_T0_E_clISt17integral_constantIbLb0EES16_EEDaS11_S12_EUlS11_E_NS1_11comp_targetILNS1_3genE9ELNS1_11target_archE1100ELNS1_3gpuE3ELNS1_3repE0EEENS1_30default_config_static_selectorELNS0_4arch9wavefront6targetE1EEEvT1_
    .private_segment_fixed_size: 0
    .sgpr_count:     6
    .sgpr_spill_count: 0
    .symbol:         _ZN7rocprim17ROCPRIM_400000_NS6detail17trampoline_kernelINS0_14default_configENS1_25partition_config_selectorILNS1_17partition_subalgoE0EtNS0_10empty_typeEbEEZZNS1_14partition_implILS5_0ELb0ES3_jN6thrust23THRUST_200600_302600_NS6detail15normal_iteratorINSA_10device_ptrItEEEEPS6_SG_NS0_5tupleIJSF_SF_EEENSH_IJSG_SG_EEES6_PlJ7is_evenItEEEE10hipError_tPvRmT3_T4_T5_T6_T7_T9_mT8_P12ihipStream_tbDpT10_ENKUlT_T0_E_clISt17integral_constantIbLb0EES16_EEDaS11_S12_EUlS11_E_NS1_11comp_targetILNS1_3genE9ELNS1_11target_archE1100ELNS1_3gpuE3ELNS1_3repE0EEENS1_30default_config_static_selectorELNS0_4arch9wavefront6targetE1EEEvT1_.kd
    .uniform_work_group_size: 1
    .uses_dynamic_stack: false
    .vgpr_count:     0
    .vgpr_spill_count: 0
    .wavefront_size: 64
  - .agpr_count:     0
    .args:
      - .offset:         0
        .size:           120
        .value_kind:     by_value
    .group_segment_fixed_size: 0
    .kernarg_segment_align: 8
    .kernarg_segment_size: 120
    .language:       OpenCL C
    .language_version:
      - 2
      - 0
    .max_flat_workgroup_size: 128
    .name:           _ZN7rocprim17ROCPRIM_400000_NS6detail17trampoline_kernelINS0_14default_configENS1_25partition_config_selectorILNS1_17partition_subalgoE0EtNS0_10empty_typeEbEEZZNS1_14partition_implILS5_0ELb0ES3_jN6thrust23THRUST_200600_302600_NS6detail15normal_iteratorINSA_10device_ptrItEEEEPS6_SG_NS0_5tupleIJSF_SF_EEENSH_IJSG_SG_EEES6_PlJ7is_evenItEEEE10hipError_tPvRmT3_T4_T5_T6_T7_T9_mT8_P12ihipStream_tbDpT10_ENKUlT_T0_E_clISt17integral_constantIbLb0EES16_EEDaS11_S12_EUlS11_E_NS1_11comp_targetILNS1_3genE8ELNS1_11target_archE1030ELNS1_3gpuE2ELNS1_3repE0EEENS1_30default_config_static_selectorELNS0_4arch9wavefront6targetE1EEEvT1_
    .private_segment_fixed_size: 0
    .sgpr_count:     6
    .sgpr_spill_count: 0
    .symbol:         _ZN7rocprim17ROCPRIM_400000_NS6detail17trampoline_kernelINS0_14default_configENS1_25partition_config_selectorILNS1_17partition_subalgoE0EtNS0_10empty_typeEbEEZZNS1_14partition_implILS5_0ELb0ES3_jN6thrust23THRUST_200600_302600_NS6detail15normal_iteratorINSA_10device_ptrItEEEEPS6_SG_NS0_5tupleIJSF_SF_EEENSH_IJSG_SG_EEES6_PlJ7is_evenItEEEE10hipError_tPvRmT3_T4_T5_T6_T7_T9_mT8_P12ihipStream_tbDpT10_ENKUlT_T0_E_clISt17integral_constantIbLb0EES16_EEDaS11_S12_EUlS11_E_NS1_11comp_targetILNS1_3genE8ELNS1_11target_archE1030ELNS1_3gpuE2ELNS1_3repE0EEENS1_30default_config_static_selectorELNS0_4arch9wavefront6targetE1EEEvT1_.kd
    .uniform_work_group_size: 1
    .uses_dynamic_stack: false
    .vgpr_count:     0
    .vgpr_spill_count: 0
    .wavefront_size: 64
  - .agpr_count:     0
    .args:
      - .offset:         0
        .size:           136
        .value_kind:     by_value
    .group_segment_fixed_size: 0
    .kernarg_segment_align: 8
    .kernarg_segment_size: 136
    .language:       OpenCL C
    .language_version:
      - 2
      - 0
    .max_flat_workgroup_size: 256
    .name:           _ZN7rocprim17ROCPRIM_400000_NS6detail17trampoline_kernelINS0_14default_configENS1_25partition_config_selectorILNS1_17partition_subalgoE0EtNS0_10empty_typeEbEEZZNS1_14partition_implILS5_0ELb0ES3_jN6thrust23THRUST_200600_302600_NS6detail15normal_iteratorINSA_10device_ptrItEEEEPS6_SG_NS0_5tupleIJSF_SF_EEENSH_IJSG_SG_EEES6_PlJ7is_evenItEEEE10hipError_tPvRmT3_T4_T5_T6_T7_T9_mT8_P12ihipStream_tbDpT10_ENKUlT_T0_E_clISt17integral_constantIbLb1EES16_EEDaS11_S12_EUlS11_E_NS1_11comp_targetILNS1_3genE0ELNS1_11target_archE4294967295ELNS1_3gpuE0ELNS1_3repE0EEENS1_30default_config_static_selectorELNS0_4arch9wavefront6targetE1EEEvT1_
    .private_segment_fixed_size: 0
    .sgpr_count:     6
    .sgpr_spill_count: 0
    .symbol:         _ZN7rocprim17ROCPRIM_400000_NS6detail17trampoline_kernelINS0_14default_configENS1_25partition_config_selectorILNS1_17partition_subalgoE0EtNS0_10empty_typeEbEEZZNS1_14partition_implILS5_0ELb0ES3_jN6thrust23THRUST_200600_302600_NS6detail15normal_iteratorINSA_10device_ptrItEEEEPS6_SG_NS0_5tupleIJSF_SF_EEENSH_IJSG_SG_EEES6_PlJ7is_evenItEEEE10hipError_tPvRmT3_T4_T5_T6_T7_T9_mT8_P12ihipStream_tbDpT10_ENKUlT_T0_E_clISt17integral_constantIbLb1EES16_EEDaS11_S12_EUlS11_E_NS1_11comp_targetILNS1_3genE0ELNS1_11target_archE4294967295ELNS1_3gpuE0ELNS1_3repE0EEENS1_30default_config_static_selectorELNS0_4arch9wavefront6targetE1EEEvT1_.kd
    .uniform_work_group_size: 1
    .uses_dynamic_stack: false
    .vgpr_count:     0
    .vgpr_spill_count: 0
    .wavefront_size: 64
  - .agpr_count:     0
    .args:
      - .offset:         0
        .size:           136
        .value_kind:     by_value
    .group_segment_fixed_size: 30728
    .kernarg_segment_align: 8
    .kernarg_segment_size: 136
    .language:       OpenCL C
    .language_version:
      - 2
      - 0
    .max_flat_workgroup_size: 512
    .name:           _ZN7rocprim17ROCPRIM_400000_NS6detail17trampoline_kernelINS0_14default_configENS1_25partition_config_selectorILNS1_17partition_subalgoE0EtNS0_10empty_typeEbEEZZNS1_14partition_implILS5_0ELb0ES3_jN6thrust23THRUST_200600_302600_NS6detail15normal_iteratorINSA_10device_ptrItEEEEPS6_SG_NS0_5tupleIJSF_SF_EEENSH_IJSG_SG_EEES6_PlJ7is_evenItEEEE10hipError_tPvRmT3_T4_T5_T6_T7_T9_mT8_P12ihipStream_tbDpT10_ENKUlT_T0_E_clISt17integral_constantIbLb1EES16_EEDaS11_S12_EUlS11_E_NS1_11comp_targetILNS1_3genE5ELNS1_11target_archE942ELNS1_3gpuE9ELNS1_3repE0EEENS1_30default_config_static_selectorELNS0_4arch9wavefront6targetE1EEEvT1_
    .private_segment_fixed_size: 0
    .sgpr_count:     50
    .sgpr_spill_count: 0
    .symbol:         _ZN7rocprim17ROCPRIM_400000_NS6detail17trampoline_kernelINS0_14default_configENS1_25partition_config_selectorILNS1_17partition_subalgoE0EtNS0_10empty_typeEbEEZZNS1_14partition_implILS5_0ELb0ES3_jN6thrust23THRUST_200600_302600_NS6detail15normal_iteratorINSA_10device_ptrItEEEEPS6_SG_NS0_5tupleIJSF_SF_EEENSH_IJSG_SG_EEES6_PlJ7is_evenItEEEE10hipError_tPvRmT3_T4_T5_T6_T7_T9_mT8_P12ihipStream_tbDpT10_ENKUlT_T0_E_clISt17integral_constantIbLb1EES16_EEDaS11_S12_EUlS11_E_NS1_11comp_targetILNS1_3genE5ELNS1_11target_archE942ELNS1_3gpuE9ELNS1_3repE0EEENS1_30default_config_static_selectorELNS0_4arch9wavefront6targetE1EEEvT1_.kd
    .uniform_work_group_size: 1
    .uses_dynamic_stack: false
    .vgpr_count:     124
    .vgpr_spill_count: 0
    .wavefront_size: 64
  - .agpr_count:     0
    .args:
      - .offset:         0
        .size:           136
        .value_kind:     by_value
    .group_segment_fixed_size: 0
    .kernarg_segment_align: 8
    .kernarg_segment_size: 136
    .language:       OpenCL C
    .language_version:
      - 2
      - 0
    .max_flat_workgroup_size: 256
    .name:           _ZN7rocprim17ROCPRIM_400000_NS6detail17trampoline_kernelINS0_14default_configENS1_25partition_config_selectorILNS1_17partition_subalgoE0EtNS0_10empty_typeEbEEZZNS1_14partition_implILS5_0ELb0ES3_jN6thrust23THRUST_200600_302600_NS6detail15normal_iteratorINSA_10device_ptrItEEEEPS6_SG_NS0_5tupleIJSF_SF_EEENSH_IJSG_SG_EEES6_PlJ7is_evenItEEEE10hipError_tPvRmT3_T4_T5_T6_T7_T9_mT8_P12ihipStream_tbDpT10_ENKUlT_T0_E_clISt17integral_constantIbLb1EES16_EEDaS11_S12_EUlS11_E_NS1_11comp_targetILNS1_3genE4ELNS1_11target_archE910ELNS1_3gpuE8ELNS1_3repE0EEENS1_30default_config_static_selectorELNS0_4arch9wavefront6targetE1EEEvT1_
    .private_segment_fixed_size: 0
    .sgpr_count:     6
    .sgpr_spill_count: 0
    .symbol:         _ZN7rocprim17ROCPRIM_400000_NS6detail17trampoline_kernelINS0_14default_configENS1_25partition_config_selectorILNS1_17partition_subalgoE0EtNS0_10empty_typeEbEEZZNS1_14partition_implILS5_0ELb0ES3_jN6thrust23THRUST_200600_302600_NS6detail15normal_iteratorINSA_10device_ptrItEEEEPS6_SG_NS0_5tupleIJSF_SF_EEENSH_IJSG_SG_EEES6_PlJ7is_evenItEEEE10hipError_tPvRmT3_T4_T5_T6_T7_T9_mT8_P12ihipStream_tbDpT10_ENKUlT_T0_E_clISt17integral_constantIbLb1EES16_EEDaS11_S12_EUlS11_E_NS1_11comp_targetILNS1_3genE4ELNS1_11target_archE910ELNS1_3gpuE8ELNS1_3repE0EEENS1_30default_config_static_selectorELNS0_4arch9wavefront6targetE1EEEvT1_.kd
    .uniform_work_group_size: 1
    .uses_dynamic_stack: false
    .vgpr_count:     0
    .vgpr_spill_count: 0
    .wavefront_size: 64
  - .agpr_count:     0
    .args:
      - .offset:         0
        .size:           136
        .value_kind:     by_value
    .group_segment_fixed_size: 0
    .kernarg_segment_align: 8
    .kernarg_segment_size: 136
    .language:       OpenCL C
    .language_version:
      - 2
      - 0
    .max_flat_workgroup_size: 256
    .name:           _ZN7rocprim17ROCPRIM_400000_NS6detail17trampoline_kernelINS0_14default_configENS1_25partition_config_selectorILNS1_17partition_subalgoE0EtNS0_10empty_typeEbEEZZNS1_14partition_implILS5_0ELb0ES3_jN6thrust23THRUST_200600_302600_NS6detail15normal_iteratorINSA_10device_ptrItEEEEPS6_SG_NS0_5tupleIJSF_SF_EEENSH_IJSG_SG_EEES6_PlJ7is_evenItEEEE10hipError_tPvRmT3_T4_T5_T6_T7_T9_mT8_P12ihipStream_tbDpT10_ENKUlT_T0_E_clISt17integral_constantIbLb1EES16_EEDaS11_S12_EUlS11_E_NS1_11comp_targetILNS1_3genE3ELNS1_11target_archE908ELNS1_3gpuE7ELNS1_3repE0EEENS1_30default_config_static_selectorELNS0_4arch9wavefront6targetE1EEEvT1_
    .private_segment_fixed_size: 0
    .sgpr_count:     6
    .sgpr_spill_count: 0
    .symbol:         _ZN7rocprim17ROCPRIM_400000_NS6detail17trampoline_kernelINS0_14default_configENS1_25partition_config_selectorILNS1_17partition_subalgoE0EtNS0_10empty_typeEbEEZZNS1_14partition_implILS5_0ELb0ES3_jN6thrust23THRUST_200600_302600_NS6detail15normal_iteratorINSA_10device_ptrItEEEEPS6_SG_NS0_5tupleIJSF_SF_EEENSH_IJSG_SG_EEES6_PlJ7is_evenItEEEE10hipError_tPvRmT3_T4_T5_T6_T7_T9_mT8_P12ihipStream_tbDpT10_ENKUlT_T0_E_clISt17integral_constantIbLb1EES16_EEDaS11_S12_EUlS11_E_NS1_11comp_targetILNS1_3genE3ELNS1_11target_archE908ELNS1_3gpuE7ELNS1_3repE0EEENS1_30default_config_static_selectorELNS0_4arch9wavefront6targetE1EEEvT1_.kd
    .uniform_work_group_size: 1
    .uses_dynamic_stack: false
    .vgpr_count:     0
    .vgpr_spill_count: 0
    .wavefront_size: 64
  - .agpr_count:     0
    .args:
      - .offset:         0
        .size:           136
        .value_kind:     by_value
    .group_segment_fixed_size: 0
    .kernarg_segment_align: 8
    .kernarg_segment_size: 136
    .language:       OpenCL C
    .language_version:
      - 2
      - 0
    .max_flat_workgroup_size: 256
    .name:           _ZN7rocprim17ROCPRIM_400000_NS6detail17trampoline_kernelINS0_14default_configENS1_25partition_config_selectorILNS1_17partition_subalgoE0EtNS0_10empty_typeEbEEZZNS1_14partition_implILS5_0ELb0ES3_jN6thrust23THRUST_200600_302600_NS6detail15normal_iteratorINSA_10device_ptrItEEEEPS6_SG_NS0_5tupleIJSF_SF_EEENSH_IJSG_SG_EEES6_PlJ7is_evenItEEEE10hipError_tPvRmT3_T4_T5_T6_T7_T9_mT8_P12ihipStream_tbDpT10_ENKUlT_T0_E_clISt17integral_constantIbLb1EES16_EEDaS11_S12_EUlS11_E_NS1_11comp_targetILNS1_3genE2ELNS1_11target_archE906ELNS1_3gpuE6ELNS1_3repE0EEENS1_30default_config_static_selectorELNS0_4arch9wavefront6targetE1EEEvT1_
    .private_segment_fixed_size: 0
    .sgpr_count:     6
    .sgpr_spill_count: 0
    .symbol:         _ZN7rocprim17ROCPRIM_400000_NS6detail17trampoline_kernelINS0_14default_configENS1_25partition_config_selectorILNS1_17partition_subalgoE0EtNS0_10empty_typeEbEEZZNS1_14partition_implILS5_0ELb0ES3_jN6thrust23THRUST_200600_302600_NS6detail15normal_iteratorINSA_10device_ptrItEEEEPS6_SG_NS0_5tupleIJSF_SF_EEENSH_IJSG_SG_EEES6_PlJ7is_evenItEEEE10hipError_tPvRmT3_T4_T5_T6_T7_T9_mT8_P12ihipStream_tbDpT10_ENKUlT_T0_E_clISt17integral_constantIbLb1EES16_EEDaS11_S12_EUlS11_E_NS1_11comp_targetILNS1_3genE2ELNS1_11target_archE906ELNS1_3gpuE6ELNS1_3repE0EEENS1_30default_config_static_selectorELNS0_4arch9wavefront6targetE1EEEvT1_.kd
    .uniform_work_group_size: 1
    .uses_dynamic_stack: false
    .vgpr_count:     0
    .vgpr_spill_count: 0
    .wavefront_size: 64
  - .agpr_count:     0
    .args:
      - .offset:         0
        .size:           136
        .value_kind:     by_value
    .group_segment_fixed_size: 0
    .kernarg_segment_align: 8
    .kernarg_segment_size: 136
    .language:       OpenCL C
    .language_version:
      - 2
      - 0
    .max_flat_workgroup_size: 384
    .name:           _ZN7rocprim17ROCPRIM_400000_NS6detail17trampoline_kernelINS0_14default_configENS1_25partition_config_selectorILNS1_17partition_subalgoE0EtNS0_10empty_typeEbEEZZNS1_14partition_implILS5_0ELb0ES3_jN6thrust23THRUST_200600_302600_NS6detail15normal_iteratorINSA_10device_ptrItEEEEPS6_SG_NS0_5tupleIJSF_SF_EEENSH_IJSG_SG_EEES6_PlJ7is_evenItEEEE10hipError_tPvRmT3_T4_T5_T6_T7_T9_mT8_P12ihipStream_tbDpT10_ENKUlT_T0_E_clISt17integral_constantIbLb1EES16_EEDaS11_S12_EUlS11_E_NS1_11comp_targetILNS1_3genE10ELNS1_11target_archE1200ELNS1_3gpuE4ELNS1_3repE0EEENS1_30default_config_static_selectorELNS0_4arch9wavefront6targetE1EEEvT1_
    .private_segment_fixed_size: 0
    .sgpr_count:     6
    .sgpr_spill_count: 0
    .symbol:         _ZN7rocprim17ROCPRIM_400000_NS6detail17trampoline_kernelINS0_14default_configENS1_25partition_config_selectorILNS1_17partition_subalgoE0EtNS0_10empty_typeEbEEZZNS1_14partition_implILS5_0ELb0ES3_jN6thrust23THRUST_200600_302600_NS6detail15normal_iteratorINSA_10device_ptrItEEEEPS6_SG_NS0_5tupleIJSF_SF_EEENSH_IJSG_SG_EEES6_PlJ7is_evenItEEEE10hipError_tPvRmT3_T4_T5_T6_T7_T9_mT8_P12ihipStream_tbDpT10_ENKUlT_T0_E_clISt17integral_constantIbLb1EES16_EEDaS11_S12_EUlS11_E_NS1_11comp_targetILNS1_3genE10ELNS1_11target_archE1200ELNS1_3gpuE4ELNS1_3repE0EEENS1_30default_config_static_selectorELNS0_4arch9wavefront6targetE1EEEvT1_.kd
    .uniform_work_group_size: 1
    .uses_dynamic_stack: false
    .vgpr_count:     0
    .vgpr_spill_count: 0
    .wavefront_size: 64
  - .agpr_count:     0
    .args:
      - .offset:         0
        .size:           136
        .value_kind:     by_value
    .group_segment_fixed_size: 0
    .kernarg_segment_align: 8
    .kernarg_segment_size: 136
    .language:       OpenCL C
    .language_version:
      - 2
      - 0
    .max_flat_workgroup_size: 128
    .name:           _ZN7rocprim17ROCPRIM_400000_NS6detail17trampoline_kernelINS0_14default_configENS1_25partition_config_selectorILNS1_17partition_subalgoE0EtNS0_10empty_typeEbEEZZNS1_14partition_implILS5_0ELb0ES3_jN6thrust23THRUST_200600_302600_NS6detail15normal_iteratorINSA_10device_ptrItEEEEPS6_SG_NS0_5tupleIJSF_SF_EEENSH_IJSG_SG_EEES6_PlJ7is_evenItEEEE10hipError_tPvRmT3_T4_T5_T6_T7_T9_mT8_P12ihipStream_tbDpT10_ENKUlT_T0_E_clISt17integral_constantIbLb1EES16_EEDaS11_S12_EUlS11_E_NS1_11comp_targetILNS1_3genE9ELNS1_11target_archE1100ELNS1_3gpuE3ELNS1_3repE0EEENS1_30default_config_static_selectorELNS0_4arch9wavefront6targetE1EEEvT1_
    .private_segment_fixed_size: 0
    .sgpr_count:     6
    .sgpr_spill_count: 0
    .symbol:         _ZN7rocprim17ROCPRIM_400000_NS6detail17trampoline_kernelINS0_14default_configENS1_25partition_config_selectorILNS1_17partition_subalgoE0EtNS0_10empty_typeEbEEZZNS1_14partition_implILS5_0ELb0ES3_jN6thrust23THRUST_200600_302600_NS6detail15normal_iteratorINSA_10device_ptrItEEEEPS6_SG_NS0_5tupleIJSF_SF_EEENSH_IJSG_SG_EEES6_PlJ7is_evenItEEEE10hipError_tPvRmT3_T4_T5_T6_T7_T9_mT8_P12ihipStream_tbDpT10_ENKUlT_T0_E_clISt17integral_constantIbLb1EES16_EEDaS11_S12_EUlS11_E_NS1_11comp_targetILNS1_3genE9ELNS1_11target_archE1100ELNS1_3gpuE3ELNS1_3repE0EEENS1_30default_config_static_selectorELNS0_4arch9wavefront6targetE1EEEvT1_.kd
    .uniform_work_group_size: 1
    .uses_dynamic_stack: false
    .vgpr_count:     0
    .vgpr_spill_count: 0
    .wavefront_size: 64
  - .agpr_count:     0
    .args:
      - .offset:         0
        .size:           136
        .value_kind:     by_value
    .group_segment_fixed_size: 0
    .kernarg_segment_align: 8
    .kernarg_segment_size: 136
    .language:       OpenCL C
    .language_version:
      - 2
      - 0
    .max_flat_workgroup_size: 128
    .name:           _ZN7rocprim17ROCPRIM_400000_NS6detail17trampoline_kernelINS0_14default_configENS1_25partition_config_selectorILNS1_17partition_subalgoE0EtNS0_10empty_typeEbEEZZNS1_14partition_implILS5_0ELb0ES3_jN6thrust23THRUST_200600_302600_NS6detail15normal_iteratorINSA_10device_ptrItEEEEPS6_SG_NS0_5tupleIJSF_SF_EEENSH_IJSG_SG_EEES6_PlJ7is_evenItEEEE10hipError_tPvRmT3_T4_T5_T6_T7_T9_mT8_P12ihipStream_tbDpT10_ENKUlT_T0_E_clISt17integral_constantIbLb1EES16_EEDaS11_S12_EUlS11_E_NS1_11comp_targetILNS1_3genE8ELNS1_11target_archE1030ELNS1_3gpuE2ELNS1_3repE0EEENS1_30default_config_static_selectorELNS0_4arch9wavefront6targetE1EEEvT1_
    .private_segment_fixed_size: 0
    .sgpr_count:     6
    .sgpr_spill_count: 0
    .symbol:         _ZN7rocprim17ROCPRIM_400000_NS6detail17trampoline_kernelINS0_14default_configENS1_25partition_config_selectorILNS1_17partition_subalgoE0EtNS0_10empty_typeEbEEZZNS1_14partition_implILS5_0ELb0ES3_jN6thrust23THRUST_200600_302600_NS6detail15normal_iteratorINSA_10device_ptrItEEEEPS6_SG_NS0_5tupleIJSF_SF_EEENSH_IJSG_SG_EEES6_PlJ7is_evenItEEEE10hipError_tPvRmT3_T4_T5_T6_T7_T9_mT8_P12ihipStream_tbDpT10_ENKUlT_T0_E_clISt17integral_constantIbLb1EES16_EEDaS11_S12_EUlS11_E_NS1_11comp_targetILNS1_3genE8ELNS1_11target_archE1030ELNS1_3gpuE2ELNS1_3repE0EEENS1_30default_config_static_selectorELNS0_4arch9wavefront6targetE1EEEvT1_.kd
    .uniform_work_group_size: 1
    .uses_dynamic_stack: false
    .vgpr_count:     0
    .vgpr_spill_count: 0
    .wavefront_size: 64
  - .agpr_count:     0
    .args:
      - .offset:         0
        .size:           120
        .value_kind:     by_value
    .group_segment_fixed_size: 0
    .kernarg_segment_align: 8
    .kernarg_segment_size: 120
    .language:       OpenCL C
    .language_version:
      - 2
      - 0
    .max_flat_workgroup_size: 256
    .name:           _ZN7rocprim17ROCPRIM_400000_NS6detail17trampoline_kernelINS0_14default_configENS1_25partition_config_selectorILNS1_17partition_subalgoE0EtNS0_10empty_typeEbEEZZNS1_14partition_implILS5_0ELb0ES3_jN6thrust23THRUST_200600_302600_NS6detail15normal_iteratorINSA_10device_ptrItEEEEPS6_SG_NS0_5tupleIJSF_SF_EEENSH_IJSG_SG_EEES6_PlJ7is_evenItEEEE10hipError_tPvRmT3_T4_T5_T6_T7_T9_mT8_P12ihipStream_tbDpT10_ENKUlT_T0_E_clISt17integral_constantIbLb1EES15_IbLb0EEEEDaS11_S12_EUlS11_E_NS1_11comp_targetILNS1_3genE0ELNS1_11target_archE4294967295ELNS1_3gpuE0ELNS1_3repE0EEENS1_30default_config_static_selectorELNS0_4arch9wavefront6targetE1EEEvT1_
    .private_segment_fixed_size: 0
    .sgpr_count:     6
    .sgpr_spill_count: 0
    .symbol:         _ZN7rocprim17ROCPRIM_400000_NS6detail17trampoline_kernelINS0_14default_configENS1_25partition_config_selectorILNS1_17partition_subalgoE0EtNS0_10empty_typeEbEEZZNS1_14partition_implILS5_0ELb0ES3_jN6thrust23THRUST_200600_302600_NS6detail15normal_iteratorINSA_10device_ptrItEEEEPS6_SG_NS0_5tupleIJSF_SF_EEENSH_IJSG_SG_EEES6_PlJ7is_evenItEEEE10hipError_tPvRmT3_T4_T5_T6_T7_T9_mT8_P12ihipStream_tbDpT10_ENKUlT_T0_E_clISt17integral_constantIbLb1EES15_IbLb0EEEEDaS11_S12_EUlS11_E_NS1_11comp_targetILNS1_3genE0ELNS1_11target_archE4294967295ELNS1_3gpuE0ELNS1_3repE0EEENS1_30default_config_static_selectorELNS0_4arch9wavefront6targetE1EEEvT1_.kd
    .uniform_work_group_size: 1
    .uses_dynamic_stack: false
    .vgpr_count:     0
    .vgpr_spill_count: 0
    .wavefront_size: 64
  - .agpr_count:     0
    .args:
      - .offset:         0
        .size:           120
        .value_kind:     by_value
    .group_segment_fixed_size: 30728
    .kernarg_segment_align: 8
    .kernarg_segment_size: 120
    .language:       OpenCL C
    .language_version:
      - 2
      - 0
    .max_flat_workgroup_size: 512
    .name:           _ZN7rocprim17ROCPRIM_400000_NS6detail17trampoline_kernelINS0_14default_configENS1_25partition_config_selectorILNS1_17partition_subalgoE0EtNS0_10empty_typeEbEEZZNS1_14partition_implILS5_0ELb0ES3_jN6thrust23THRUST_200600_302600_NS6detail15normal_iteratorINSA_10device_ptrItEEEEPS6_SG_NS0_5tupleIJSF_SF_EEENSH_IJSG_SG_EEES6_PlJ7is_evenItEEEE10hipError_tPvRmT3_T4_T5_T6_T7_T9_mT8_P12ihipStream_tbDpT10_ENKUlT_T0_E_clISt17integral_constantIbLb1EES15_IbLb0EEEEDaS11_S12_EUlS11_E_NS1_11comp_targetILNS1_3genE5ELNS1_11target_archE942ELNS1_3gpuE9ELNS1_3repE0EEENS1_30default_config_static_selectorELNS0_4arch9wavefront6targetE1EEEvT1_
    .private_segment_fixed_size: 0
    .sgpr_count:     50
    .sgpr_spill_count: 0
    .symbol:         _ZN7rocprim17ROCPRIM_400000_NS6detail17trampoline_kernelINS0_14default_configENS1_25partition_config_selectorILNS1_17partition_subalgoE0EtNS0_10empty_typeEbEEZZNS1_14partition_implILS5_0ELb0ES3_jN6thrust23THRUST_200600_302600_NS6detail15normal_iteratorINSA_10device_ptrItEEEEPS6_SG_NS0_5tupleIJSF_SF_EEENSH_IJSG_SG_EEES6_PlJ7is_evenItEEEE10hipError_tPvRmT3_T4_T5_T6_T7_T9_mT8_P12ihipStream_tbDpT10_ENKUlT_T0_E_clISt17integral_constantIbLb1EES15_IbLb0EEEEDaS11_S12_EUlS11_E_NS1_11comp_targetILNS1_3genE5ELNS1_11target_archE942ELNS1_3gpuE9ELNS1_3repE0EEENS1_30default_config_static_selectorELNS0_4arch9wavefront6targetE1EEEvT1_.kd
    .uniform_work_group_size: 1
    .uses_dynamic_stack: false
    .vgpr_count:     120
    .vgpr_spill_count: 0
    .wavefront_size: 64
  - .agpr_count:     0
    .args:
      - .offset:         0
        .size:           120
        .value_kind:     by_value
    .group_segment_fixed_size: 0
    .kernarg_segment_align: 8
    .kernarg_segment_size: 120
    .language:       OpenCL C
    .language_version:
      - 2
      - 0
    .max_flat_workgroup_size: 256
    .name:           _ZN7rocprim17ROCPRIM_400000_NS6detail17trampoline_kernelINS0_14default_configENS1_25partition_config_selectorILNS1_17partition_subalgoE0EtNS0_10empty_typeEbEEZZNS1_14partition_implILS5_0ELb0ES3_jN6thrust23THRUST_200600_302600_NS6detail15normal_iteratorINSA_10device_ptrItEEEEPS6_SG_NS0_5tupleIJSF_SF_EEENSH_IJSG_SG_EEES6_PlJ7is_evenItEEEE10hipError_tPvRmT3_T4_T5_T6_T7_T9_mT8_P12ihipStream_tbDpT10_ENKUlT_T0_E_clISt17integral_constantIbLb1EES15_IbLb0EEEEDaS11_S12_EUlS11_E_NS1_11comp_targetILNS1_3genE4ELNS1_11target_archE910ELNS1_3gpuE8ELNS1_3repE0EEENS1_30default_config_static_selectorELNS0_4arch9wavefront6targetE1EEEvT1_
    .private_segment_fixed_size: 0
    .sgpr_count:     6
    .sgpr_spill_count: 0
    .symbol:         _ZN7rocprim17ROCPRIM_400000_NS6detail17trampoline_kernelINS0_14default_configENS1_25partition_config_selectorILNS1_17partition_subalgoE0EtNS0_10empty_typeEbEEZZNS1_14partition_implILS5_0ELb0ES3_jN6thrust23THRUST_200600_302600_NS6detail15normal_iteratorINSA_10device_ptrItEEEEPS6_SG_NS0_5tupleIJSF_SF_EEENSH_IJSG_SG_EEES6_PlJ7is_evenItEEEE10hipError_tPvRmT3_T4_T5_T6_T7_T9_mT8_P12ihipStream_tbDpT10_ENKUlT_T0_E_clISt17integral_constantIbLb1EES15_IbLb0EEEEDaS11_S12_EUlS11_E_NS1_11comp_targetILNS1_3genE4ELNS1_11target_archE910ELNS1_3gpuE8ELNS1_3repE0EEENS1_30default_config_static_selectorELNS0_4arch9wavefront6targetE1EEEvT1_.kd
    .uniform_work_group_size: 1
    .uses_dynamic_stack: false
    .vgpr_count:     0
    .vgpr_spill_count: 0
    .wavefront_size: 64
  - .agpr_count:     0
    .args:
      - .offset:         0
        .size:           120
        .value_kind:     by_value
    .group_segment_fixed_size: 0
    .kernarg_segment_align: 8
    .kernarg_segment_size: 120
    .language:       OpenCL C
    .language_version:
      - 2
      - 0
    .max_flat_workgroup_size: 256
    .name:           _ZN7rocprim17ROCPRIM_400000_NS6detail17trampoline_kernelINS0_14default_configENS1_25partition_config_selectorILNS1_17partition_subalgoE0EtNS0_10empty_typeEbEEZZNS1_14partition_implILS5_0ELb0ES3_jN6thrust23THRUST_200600_302600_NS6detail15normal_iteratorINSA_10device_ptrItEEEEPS6_SG_NS0_5tupleIJSF_SF_EEENSH_IJSG_SG_EEES6_PlJ7is_evenItEEEE10hipError_tPvRmT3_T4_T5_T6_T7_T9_mT8_P12ihipStream_tbDpT10_ENKUlT_T0_E_clISt17integral_constantIbLb1EES15_IbLb0EEEEDaS11_S12_EUlS11_E_NS1_11comp_targetILNS1_3genE3ELNS1_11target_archE908ELNS1_3gpuE7ELNS1_3repE0EEENS1_30default_config_static_selectorELNS0_4arch9wavefront6targetE1EEEvT1_
    .private_segment_fixed_size: 0
    .sgpr_count:     6
    .sgpr_spill_count: 0
    .symbol:         _ZN7rocprim17ROCPRIM_400000_NS6detail17trampoline_kernelINS0_14default_configENS1_25partition_config_selectorILNS1_17partition_subalgoE0EtNS0_10empty_typeEbEEZZNS1_14partition_implILS5_0ELb0ES3_jN6thrust23THRUST_200600_302600_NS6detail15normal_iteratorINSA_10device_ptrItEEEEPS6_SG_NS0_5tupleIJSF_SF_EEENSH_IJSG_SG_EEES6_PlJ7is_evenItEEEE10hipError_tPvRmT3_T4_T5_T6_T7_T9_mT8_P12ihipStream_tbDpT10_ENKUlT_T0_E_clISt17integral_constantIbLb1EES15_IbLb0EEEEDaS11_S12_EUlS11_E_NS1_11comp_targetILNS1_3genE3ELNS1_11target_archE908ELNS1_3gpuE7ELNS1_3repE0EEENS1_30default_config_static_selectorELNS0_4arch9wavefront6targetE1EEEvT1_.kd
    .uniform_work_group_size: 1
    .uses_dynamic_stack: false
    .vgpr_count:     0
    .vgpr_spill_count: 0
    .wavefront_size: 64
  - .agpr_count:     0
    .args:
      - .offset:         0
        .size:           120
        .value_kind:     by_value
    .group_segment_fixed_size: 0
    .kernarg_segment_align: 8
    .kernarg_segment_size: 120
    .language:       OpenCL C
    .language_version:
      - 2
      - 0
    .max_flat_workgroup_size: 256
    .name:           _ZN7rocprim17ROCPRIM_400000_NS6detail17trampoline_kernelINS0_14default_configENS1_25partition_config_selectorILNS1_17partition_subalgoE0EtNS0_10empty_typeEbEEZZNS1_14partition_implILS5_0ELb0ES3_jN6thrust23THRUST_200600_302600_NS6detail15normal_iteratorINSA_10device_ptrItEEEEPS6_SG_NS0_5tupleIJSF_SF_EEENSH_IJSG_SG_EEES6_PlJ7is_evenItEEEE10hipError_tPvRmT3_T4_T5_T6_T7_T9_mT8_P12ihipStream_tbDpT10_ENKUlT_T0_E_clISt17integral_constantIbLb1EES15_IbLb0EEEEDaS11_S12_EUlS11_E_NS1_11comp_targetILNS1_3genE2ELNS1_11target_archE906ELNS1_3gpuE6ELNS1_3repE0EEENS1_30default_config_static_selectorELNS0_4arch9wavefront6targetE1EEEvT1_
    .private_segment_fixed_size: 0
    .sgpr_count:     6
    .sgpr_spill_count: 0
    .symbol:         _ZN7rocprim17ROCPRIM_400000_NS6detail17trampoline_kernelINS0_14default_configENS1_25partition_config_selectorILNS1_17partition_subalgoE0EtNS0_10empty_typeEbEEZZNS1_14partition_implILS5_0ELb0ES3_jN6thrust23THRUST_200600_302600_NS6detail15normal_iteratorINSA_10device_ptrItEEEEPS6_SG_NS0_5tupleIJSF_SF_EEENSH_IJSG_SG_EEES6_PlJ7is_evenItEEEE10hipError_tPvRmT3_T4_T5_T6_T7_T9_mT8_P12ihipStream_tbDpT10_ENKUlT_T0_E_clISt17integral_constantIbLb1EES15_IbLb0EEEEDaS11_S12_EUlS11_E_NS1_11comp_targetILNS1_3genE2ELNS1_11target_archE906ELNS1_3gpuE6ELNS1_3repE0EEENS1_30default_config_static_selectorELNS0_4arch9wavefront6targetE1EEEvT1_.kd
    .uniform_work_group_size: 1
    .uses_dynamic_stack: false
    .vgpr_count:     0
    .vgpr_spill_count: 0
    .wavefront_size: 64
  - .agpr_count:     0
    .args:
      - .offset:         0
        .size:           120
        .value_kind:     by_value
    .group_segment_fixed_size: 0
    .kernarg_segment_align: 8
    .kernarg_segment_size: 120
    .language:       OpenCL C
    .language_version:
      - 2
      - 0
    .max_flat_workgroup_size: 384
    .name:           _ZN7rocprim17ROCPRIM_400000_NS6detail17trampoline_kernelINS0_14default_configENS1_25partition_config_selectorILNS1_17partition_subalgoE0EtNS0_10empty_typeEbEEZZNS1_14partition_implILS5_0ELb0ES3_jN6thrust23THRUST_200600_302600_NS6detail15normal_iteratorINSA_10device_ptrItEEEEPS6_SG_NS0_5tupleIJSF_SF_EEENSH_IJSG_SG_EEES6_PlJ7is_evenItEEEE10hipError_tPvRmT3_T4_T5_T6_T7_T9_mT8_P12ihipStream_tbDpT10_ENKUlT_T0_E_clISt17integral_constantIbLb1EES15_IbLb0EEEEDaS11_S12_EUlS11_E_NS1_11comp_targetILNS1_3genE10ELNS1_11target_archE1200ELNS1_3gpuE4ELNS1_3repE0EEENS1_30default_config_static_selectorELNS0_4arch9wavefront6targetE1EEEvT1_
    .private_segment_fixed_size: 0
    .sgpr_count:     6
    .sgpr_spill_count: 0
    .symbol:         _ZN7rocprim17ROCPRIM_400000_NS6detail17trampoline_kernelINS0_14default_configENS1_25partition_config_selectorILNS1_17partition_subalgoE0EtNS0_10empty_typeEbEEZZNS1_14partition_implILS5_0ELb0ES3_jN6thrust23THRUST_200600_302600_NS6detail15normal_iteratorINSA_10device_ptrItEEEEPS6_SG_NS0_5tupleIJSF_SF_EEENSH_IJSG_SG_EEES6_PlJ7is_evenItEEEE10hipError_tPvRmT3_T4_T5_T6_T7_T9_mT8_P12ihipStream_tbDpT10_ENKUlT_T0_E_clISt17integral_constantIbLb1EES15_IbLb0EEEEDaS11_S12_EUlS11_E_NS1_11comp_targetILNS1_3genE10ELNS1_11target_archE1200ELNS1_3gpuE4ELNS1_3repE0EEENS1_30default_config_static_selectorELNS0_4arch9wavefront6targetE1EEEvT1_.kd
    .uniform_work_group_size: 1
    .uses_dynamic_stack: false
    .vgpr_count:     0
    .vgpr_spill_count: 0
    .wavefront_size: 64
  - .agpr_count:     0
    .args:
      - .offset:         0
        .size:           120
        .value_kind:     by_value
    .group_segment_fixed_size: 0
    .kernarg_segment_align: 8
    .kernarg_segment_size: 120
    .language:       OpenCL C
    .language_version:
      - 2
      - 0
    .max_flat_workgroup_size: 128
    .name:           _ZN7rocprim17ROCPRIM_400000_NS6detail17trampoline_kernelINS0_14default_configENS1_25partition_config_selectorILNS1_17partition_subalgoE0EtNS0_10empty_typeEbEEZZNS1_14partition_implILS5_0ELb0ES3_jN6thrust23THRUST_200600_302600_NS6detail15normal_iteratorINSA_10device_ptrItEEEEPS6_SG_NS0_5tupleIJSF_SF_EEENSH_IJSG_SG_EEES6_PlJ7is_evenItEEEE10hipError_tPvRmT3_T4_T5_T6_T7_T9_mT8_P12ihipStream_tbDpT10_ENKUlT_T0_E_clISt17integral_constantIbLb1EES15_IbLb0EEEEDaS11_S12_EUlS11_E_NS1_11comp_targetILNS1_3genE9ELNS1_11target_archE1100ELNS1_3gpuE3ELNS1_3repE0EEENS1_30default_config_static_selectorELNS0_4arch9wavefront6targetE1EEEvT1_
    .private_segment_fixed_size: 0
    .sgpr_count:     6
    .sgpr_spill_count: 0
    .symbol:         _ZN7rocprim17ROCPRIM_400000_NS6detail17trampoline_kernelINS0_14default_configENS1_25partition_config_selectorILNS1_17partition_subalgoE0EtNS0_10empty_typeEbEEZZNS1_14partition_implILS5_0ELb0ES3_jN6thrust23THRUST_200600_302600_NS6detail15normal_iteratorINSA_10device_ptrItEEEEPS6_SG_NS0_5tupleIJSF_SF_EEENSH_IJSG_SG_EEES6_PlJ7is_evenItEEEE10hipError_tPvRmT3_T4_T5_T6_T7_T9_mT8_P12ihipStream_tbDpT10_ENKUlT_T0_E_clISt17integral_constantIbLb1EES15_IbLb0EEEEDaS11_S12_EUlS11_E_NS1_11comp_targetILNS1_3genE9ELNS1_11target_archE1100ELNS1_3gpuE3ELNS1_3repE0EEENS1_30default_config_static_selectorELNS0_4arch9wavefront6targetE1EEEvT1_.kd
    .uniform_work_group_size: 1
    .uses_dynamic_stack: false
    .vgpr_count:     0
    .vgpr_spill_count: 0
    .wavefront_size: 64
  - .agpr_count:     0
    .args:
      - .offset:         0
        .size:           120
        .value_kind:     by_value
    .group_segment_fixed_size: 0
    .kernarg_segment_align: 8
    .kernarg_segment_size: 120
    .language:       OpenCL C
    .language_version:
      - 2
      - 0
    .max_flat_workgroup_size: 128
    .name:           _ZN7rocprim17ROCPRIM_400000_NS6detail17trampoline_kernelINS0_14default_configENS1_25partition_config_selectorILNS1_17partition_subalgoE0EtNS0_10empty_typeEbEEZZNS1_14partition_implILS5_0ELb0ES3_jN6thrust23THRUST_200600_302600_NS6detail15normal_iteratorINSA_10device_ptrItEEEEPS6_SG_NS0_5tupleIJSF_SF_EEENSH_IJSG_SG_EEES6_PlJ7is_evenItEEEE10hipError_tPvRmT3_T4_T5_T6_T7_T9_mT8_P12ihipStream_tbDpT10_ENKUlT_T0_E_clISt17integral_constantIbLb1EES15_IbLb0EEEEDaS11_S12_EUlS11_E_NS1_11comp_targetILNS1_3genE8ELNS1_11target_archE1030ELNS1_3gpuE2ELNS1_3repE0EEENS1_30default_config_static_selectorELNS0_4arch9wavefront6targetE1EEEvT1_
    .private_segment_fixed_size: 0
    .sgpr_count:     6
    .sgpr_spill_count: 0
    .symbol:         _ZN7rocprim17ROCPRIM_400000_NS6detail17trampoline_kernelINS0_14default_configENS1_25partition_config_selectorILNS1_17partition_subalgoE0EtNS0_10empty_typeEbEEZZNS1_14partition_implILS5_0ELb0ES3_jN6thrust23THRUST_200600_302600_NS6detail15normal_iteratorINSA_10device_ptrItEEEEPS6_SG_NS0_5tupleIJSF_SF_EEENSH_IJSG_SG_EEES6_PlJ7is_evenItEEEE10hipError_tPvRmT3_T4_T5_T6_T7_T9_mT8_P12ihipStream_tbDpT10_ENKUlT_T0_E_clISt17integral_constantIbLb1EES15_IbLb0EEEEDaS11_S12_EUlS11_E_NS1_11comp_targetILNS1_3genE8ELNS1_11target_archE1030ELNS1_3gpuE2ELNS1_3repE0EEENS1_30default_config_static_selectorELNS0_4arch9wavefront6targetE1EEEvT1_.kd
    .uniform_work_group_size: 1
    .uses_dynamic_stack: false
    .vgpr_count:     0
    .vgpr_spill_count: 0
    .wavefront_size: 64
  - .agpr_count:     0
    .args:
      - .offset:         0
        .size:           136
        .value_kind:     by_value
    .group_segment_fixed_size: 0
    .kernarg_segment_align: 8
    .kernarg_segment_size: 136
    .language:       OpenCL C
    .language_version:
      - 2
      - 0
    .max_flat_workgroup_size: 256
    .name:           _ZN7rocprim17ROCPRIM_400000_NS6detail17trampoline_kernelINS0_14default_configENS1_25partition_config_selectorILNS1_17partition_subalgoE0EtNS0_10empty_typeEbEEZZNS1_14partition_implILS5_0ELb0ES3_jN6thrust23THRUST_200600_302600_NS6detail15normal_iteratorINSA_10device_ptrItEEEEPS6_SG_NS0_5tupleIJSF_SF_EEENSH_IJSG_SG_EEES6_PlJ7is_evenItEEEE10hipError_tPvRmT3_T4_T5_T6_T7_T9_mT8_P12ihipStream_tbDpT10_ENKUlT_T0_E_clISt17integral_constantIbLb0EES15_IbLb1EEEEDaS11_S12_EUlS11_E_NS1_11comp_targetILNS1_3genE0ELNS1_11target_archE4294967295ELNS1_3gpuE0ELNS1_3repE0EEENS1_30default_config_static_selectorELNS0_4arch9wavefront6targetE1EEEvT1_
    .private_segment_fixed_size: 0
    .sgpr_count:     6
    .sgpr_spill_count: 0
    .symbol:         _ZN7rocprim17ROCPRIM_400000_NS6detail17trampoline_kernelINS0_14default_configENS1_25partition_config_selectorILNS1_17partition_subalgoE0EtNS0_10empty_typeEbEEZZNS1_14partition_implILS5_0ELb0ES3_jN6thrust23THRUST_200600_302600_NS6detail15normal_iteratorINSA_10device_ptrItEEEEPS6_SG_NS0_5tupleIJSF_SF_EEENSH_IJSG_SG_EEES6_PlJ7is_evenItEEEE10hipError_tPvRmT3_T4_T5_T6_T7_T9_mT8_P12ihipStream_tbDpT10_ENKUlT_T0_E_clISt17integral_constantIbLb0EES15_IbLb1EEEEDaS11_S12_EUlS11_E_NS1_11comp_targetILNS1_3genE0ELNS1_11target_archE4294967295ELNS1_3gpuE0ELNS1_3repE0EEENS1_30default_config_static_selectorELNS0_4arch9wavefront6targetE1EEEvT1_.kd
    .uniform_work_group_size: 1
    .uses_dynamic_stack: false
    .vgpr_count:     0
    .vgpr_spill_count: 0
    .wavefront_size: 64
  - .agpr_count:     0
    .args:
      - .offset:         0
        .size:           136
        .value_kind:     by_value
    .group_segment_fixed_size: 30728
    .kernarg_segment_align: 8
    .kernarg_segment_size: 136
    .language:       OpenCL C
    .language_version:
      - 2
      - 0
    .max_flat_workgroup_size: 512
    .name:           _ZN7rocprim17ROCPRIM_400000_NS6detail17trampoline_kernelINS0_14default_configENS1_25partition_config_selectorILNS1_17partition_subalgoE0EtNS0_10empty_typeEbEEZZNS1_14partition_implILS5_0ELb0ES3_jN6thrust23THRUST_200600_302600_NS6detail15normal_iteratorINSA_10device_ptrItEEEEPS6_SG_NS0_5tupleIJSF_SF_EEENSH_IJSG_SG_EEES6_PlJ7is_evenItEEEE10hipError_tPvRmT3_T4_T5_T6_T7_T9_mT8_P12ihipStream_tbDpT10_ENKUlT_T0_E_clISt17integral_constantIbLb0EES15_IbLb1EEEEDaS11_S12_EUlS11_E_NS1_11comp_targetILNS1_3genE5ELNS1_11target_archE942ELNS1_3gpuE9ELNS1_3repE0EEENS1_30default_config_static_selectorELNS0_4arch9wavefront6targetE1EEEvT1_
    .private_segment_fixed_size: 0
    .sgpr_count:     50
    .sgpr_spill_count: 0
    .symbol:         _ZN7rocprim17ROCPRIM_400000_NS6detail17trampoline_kernelINS0_14default_configENS1_25partition_config_selectorILNS1_17partition_subalgoE0EtNS0_10empty_typeEbEEZZNS1_14partition_implILS5_0ELb0ES3_jN6thrust23THRUST_200600_302600_NS6detail15normal_iteratorINSA_10device_ptrItEEEEPS6_SG_NS0_5tupleIJSF_SF_EEENSH_IJSG_SG_EEES6_PlJ7is_evenItEEEE10hipError_tPvRmT3_T4_T5_T6_T7_T9_mT8_P12ihipStream_tbDpT10_ENKUlT_T0_E_clISt17integral_constantIbLb0EES15_IbLb1EEEEDaS11_S12_EUlS11_E_NS1_11comp_targetILNS1_3genE5ELNS1_11target_archE942ELNS1_3gpuE9ELNS1_3repE0EEENS1_30default_config_static_selectorELNS0_4arch9wavefront6targetE1EEEvT1_.kd
    .uniform_work_group_size: 1
    .uses_dynamic_stack: false
    .vgpr_count:     124
    .vgpr_spill_count: 0
    .wavefront_size: 64
  - .agpr_count:     0
    .args:
      - .offset:         0
        .size:           136
        .value_kind:     by_value
    .group_segment_fixed_size: 0
    .kernarg_segment_align: 8
    .kernarg_segment_size: 136
    .language:       OpenCL C
    .language_version:
      - 2
      - 0
    .max_flat_workgroup_size: 256
    .name:           _ZN7rocprim17ROCPRIM_400000_NS6detail17trampoline_kernelINS0_14default_configENS1_25partition_config_selectorILNS1_17partition_subalgoE0EtNS0_10empty_typeEbEEZZNS1_14partition_implILS5_0ELb0ES3_jN6thrust23THRUST_200600_302600_NS6detail15normal_iteratorINSA_10device_ptrItEEEEPS6_SG_NS0_5tupleIJSF_SF_EEENSH_IJSG_SG_EEES6_PlJ7is_evenItEEEE10hipError_tPvRmT3_T4_T5_T6_T7_T9_mT8_P12ihipStream_tbDpT10_ENKUlT_T0_E_clISt17integral_constantIbLb0EES15_IbLb1EEEEDaS11_S12_EUlS11_E_NS1_11comp_targetILNS1_3genE4ELNS1_11target_archE910ELNS1_3gpuE8ELNS1_3repE0EEENS1_30default_config_static_selectorELNS0_4arch9wavefront6targetE1EEEvT1_
    .private_segment_fixed_size: 0
    .sgpr_count:     6
    .sgpr_spill_count: 0
    .symbol:         _ZN7rocprim17ROCPRIM_400000_NS6detail17trampoline_kernelINS0_14default_configENS1_25partition_config_selectorILNS1_17partition_subalgoE0EtNS0_10empty_typeEbEEZZNS1_14partition_implILS5_0ELb0ES3_jN6thrust23THRUST_200600_302600_NS6detail15normal_iteratorINSA_10device_ptrItEEEEPS6_SG_NS0_5tupleIJSF_SF_EEENSH_IJSG_SG_EEES6_PlJ7is_evenItEEEE10hipError_tPvRmT3_T4_T5_T6_T7_T9_mT8_P12ihipStream_tbDpT10_ENKUlT_T0_E_clISt17integral_constantIbLb0EES15_IbLb1EEEEDaS11_S12_EUlS11_E_NS1_11comp_targetILNS1_3genE4ELNS1_11target_archE910ELNS1_3gpuE8ELNS1_3repE0EEENS1_30default_config_static_selectorELNS0_4arch9wavefront6targetE1EEEvT1_.kd
    .uniform_work_group_size: 1
    .uses_dynamic_stack: false
    .vgpr_count:     0
    .vgpr_spill_count: 0
    .wavefront_size: 64
  - .agpr_count:     0
    .args:
      - .offset:         0
        .size:           136
        .value_kind:     by_value
    .group_segment_fixed_size: 0
    .kernarg_segment_align: 8
    .kernarg_segment_size: 136
    .language:       OpenCL C
    .language_version:
      - 2
      - 0
    .max_flat_workgroup_size: 256
    .name:           _ZN7rocprim17ROCPRIM_400000_NS6detail17trampoline_kernelINS0_14default_configENS1_25partition_config_selectorILNS1_17partition_subalgoE0EtNS0_10empty_typeEbEEZZNS1_14partition_implILS5_0ELb0ES3_jN6thrust23THRUST_200600_302600_NS6detail15normal_iteratorINSA_10device_ptrItEEEEPS6_SG_NS0_5tupleIJSF_SF_EEENSH_IJSG_SG_EEES6_PlJ7is_evenItEEEE10hipError_tPvRmT3_T4_T5_T6_T7_T9_mT8_P12ihipStream_tbDpT10_ENKUlT_T0_E_clISt17integral_constantIbLb0EES15_IbLb1EEEEDaS11_S12_EUlS11_E_NS1_11comp_targetILNS1_3genE3ELNS1_11target_archE908ELNS1_3gpuE7ELNS1_3repE0EEENS1_30default_config_static_selectorELNS0_4arch9wavefront6targetE1EEEvT1_
    .private_segment_fixed_size: 0
    .sgpr_count:     6
    .sgpr_spill_count: 0
    .symbol:         _ZN7rocprim17ROCPRIM_400000_NS6detail17trampoline_kernelINS0_14default_configENS1_25partition_config_selectorILNS1_17partition_subalgoE0EtNS0_10empty_typeEbEEZZNS1_14partition_implILS5_0ELb0ES3_jN6thrust23THRUST_200600_302600_NS6detail15normal_iteratorINSA_10device_ptrItEEEEPS6_SG_NS0_5tupleIJSF_SF_EEENSH_IJSG_SG_EEES6_PlJ7is_evenItEEEE10hipError_tPvRmT3_T4_T5_T6_T7_T9_mT8_P12ihipStream_tbDpT10_ENKUlT_T0_E_clISt17integral_constantIbLb0EES15_IbLb1EEEEDaS11_S12_EUlS11_E_NS1_11comp_targetILNS1_3genE3ELNS1_11target_archE908ELNS1_3gpuE7ELNS1_3repE0EEENS1_30default_config_static_selectorELNS0_4arch9wavefront6targetE1EEEvT1_.kd
    .uniform_work_group_size: 1
    .uses_dynamic_stack: false
    .vgpr_count:     0
    .vgpr_spill_count: 0
    .wavefront_size: 64
  - .agpr_count:     0
    .args:
      - .offset:         0
        .size:           136
        .value_kind:     by_value
    .group_segment_fixed_size: 0
    .kernarg_segment_align: 8
    .kernarg_segment_size: 136
    .language:       OpenCL C
    .language_version:
      - 2
      - 0
    .max_flat_workgroup_size: 256
    .name:           _ZN7rocprim17ROCPRIM_400000_NS6detail17trampoline_kernelINS0_14default_configENS1_25partition_config_selectorILNS1_17partition_subalgoE0EtNS0_10empty_typeEbEEZZNS1_14partition_implILS5_0ELb0ES3_jN6thrust23THRUST_200600_302600_NS6detail15normal_iteratorINSA_10device_ptrItEEEEPS6_SG_NS0_5tupleIJSF_SF_EEENSH_IJSG_SG_EEES6_PlJ7is_evenItEEEE10hipError_tPvRmT3_T4_T5_T6_T7_T9_mT8_P12ihipStream_tbDpT10_ENKUlT_T0_E_clISt17integral_constantIbLb0EES15_IbLb1EEEEDaS11_S12_EUlS11_E_NS1_11comp_targetILNS1_3genE2ELNS1_11target_archE906ELNS1_3gpuE6ELNS1_3repE0EEENS1_30default_config_static_selectorELNS0_4arch9wavefront6targetE1EEEvT1_
    .private_segment_fixed_size: 0
    .sgpr_count:     6
    .sgpr_spill_count: 0
    .symbol:         _ZN7rocprim17ROCPRIM_400000_NS6detail17trampoline_kernelINS0_14default_configENS1_25partition_config_selectorILNS1_17partition_subalgoE0EtNS0_10empty_typeEbEEZZNS1_14partition_implILS5_0ELb0ES3_jN6thrust23THRUST_200600_302600_NS6detail15normal_iteratorINSA_10device_ptrItEEEEPS6_SG_NS0_5tupleIJSF_SF_EEENSH_IJSG_SG_EEES6_PlJ7is_evenItEEEE10hipError_tPvRmT3_T4_T5_T6_T7_T9_mT8_P12ihipStream_tbDpT10_ENKUlT_T0_E_clISt17integral_constantIbLb0EES15_IbLb1EEEEDaS11_S12_EUlS11_E_NS1_11comp_targetILNS1_3genE2ELNS1_11target_archE906ELNS1_3gpuE6ELNS1_3repE0EEENS1_30default_config_static_selectorELNS0_4arch9wavefront6targetE1EEEvT1_.kd
    .uniform_work_group_size: 1
    .uses_dynamic_stack: false
    .vgpr_count:     0
    .vgpr_spill_count: 0
    .wavefront_size: 64
  - .agpr_count:     0
    .args:
      - .offset:         0
        .size:           136
        .value_kind:     by_value
    .group_segment_fixed_size: 0
    .kernarg_segment_align: 8
    .kernarg_segment_size: 136
    .language:       OpenCL C
    .language_version:
      - 2
      - 0
    .max_flat_workgroup_size: 384
    .name:           _ZN7rocprim17ROCPRIM_400000_NS6detail17trampoline_kernelINS0_14default_configENS1_25partition_config_selectorILNS1_17partition_subalgoE0EtNS0_10empty_typeEbEEZZNS1_14partition_implILS5_0ELb0ES3_jN6thrust23THRUST_200600_302600_NS6detail15normal_iteratorINSA_10device_ptrItEEEEPS6_SG_NS0_5tupleIJSF_SF_EEENSH_IJSG_SG_EEES6_PlJ7is_evenItEEEE10hipError_tPvRmT3_T4_T5_T6_T7_T9_mT8_P12ihipStream_tbDpT10_ENKUlT_T0_E_clISt17integral_constantIbLb0EES15_IbLb1EEEEDaS11_S12_EUlS11_E_NS1_11comp_targetILNS1_3genE10ELNS1_11target_archE1200ELNS1_3gpuE4ELNS1_3repE0EEENS1_30default_config_static_selectorELNS0_4arch9wavefront6targetE1EEEvT1_
    .private_segment_fixed_size: 0
    .sgpr_count:     6
    .sgpr_spill_count: 0
    .symbol:         _ZN7rocprim17ROCPRIM_400000_NS6detail17trampoline_kernelINS0_14default_configENS1_25partition_config_selectorILNS1_17partition_subalgoE0EtNS0_10empty_typeEbEEZZNS1_14partition_implILS5_0ELb0ES3_jN6thrust23THRUST_200600_302600_NS6detail15normal_iteratorINSA_10device_ptrItEEEEPS6_SG_NS0_5tupleIJSF_SF_EEENSH_IJSG_SG_EEES6_PlJ7is_evenItEEEE10hipError_tPvRmT3_T4_T5_T6_T7_T9_mT8_P12ihipStream_tbDpT10_ENKUlT_T0_E_clISt17integral_constantIbLb0EES15_IbLb1EEEEDaS11_S12_EUlS11_E_NS1_11comp_targetILNS1_3genE10ELNS1_11target_archE1200ELNS1_3gpuE4ELNS1_3repE0EEENS1_30default_config_static_selectorELNS0_4arch9wavefront6targetE1EEEvT1_.kd
    .uniform_work_group_size: 1
    .uses_dynamic_stack: false
    .vgpr_count:     0
    .vgpr_spill_count: 0
    .wavefront_size: 64
  - .agpr_count:     0
    .args:
      - .offset:         0
        .size:           136
        .value_kind:     by_value
    .group_segment_fixed_size: 0
    .kernarg_segment_align: 8
    .kernarg_segment_size: 136
    .language:       OpenCL C
    .language_version:
      - 2
      - 0
    .max_flat_workgroup_size: 128
    .name:           _ZN7rocprim17ROCPRIM_400000_NS6detail17trampoline_kernelINS0_14default_configENS1_25partition_config_selectorILNS1_17partition_subalgoE0EtNS0_10empty_typeEbEEZZNS1_14partition_implILS5_0ELb0ES3_jN6thrust23THRUST_200600_302600_NS6detail15normal_iteratorINSA_10device_ptrItEEEEPS6_SG_NS0_5tupleIJSF_SF_EEENSH_IJSG_SG_EEES6_PlJ7is_evenItEEEE10hipError_tPvRmT3_T4_T5_T6_T7_T9_mT8_P12ihipStream_tbDpT10_ENKUlT_T0_E_clISt17integral_constantIbLb0EES15_IbLb1EEEEDaS11_S12_EUlS11_E_NS1_11comp_targetILNS1_3genE9ELNS1_11target_archE1100ELNS1_3gpuE3ELNS1_3repE0EEENS1_30default_config_static_selectorELNS0_4arch9wavefront6targetE1EEEvT1_
    .private_segment_fixed_size: 0
    .sgpr_count:     6
    .sgpr_spill_count: 0
    .symbol:         _ZN7rocprim17ROCPRIM_400000_NS6detail17trampoline_kernelINS0_14default_configENS1_25partition_config_selectorILNS1_17partition_subalgoE0EtNS0_10empty_typeEbEEZZNS1_14partition_implILS5_0ELb0ES3_jN6thrust23THRUST_200600_302600_NS6detail15normal_iteratorINSA_10device_ptrItEEEEPS6_SG_NS0_5tupleIJSF_SF_EEENSH_IJSG_SG_EEES6_PlJ7is_evenItEEEE10hipError_tPvRmT3_T4_T5_T6_T7_T9_mT8_P12ihipStream_tbDpT10_ENKUlT_T0_E_clISt17integral_constantIbLb0EES15_IbLb1EEEEDaS11_S12_EUlS11_E_NS1_11comp_targetILNS1_3genE9ELNS1_11target_archE1100ELNS1_3gpuE3ELNS1_3repE0EEENS1_30default_config_static_selectorELNS0_4arch9wavefront6targetE1EEEvT1_.kd
    .uniform_work_group_size: 1
    .uses_dynamic_stack: false
    .vgpr_count:     0
    .vgpr_spill_count: 0
    .wavefront_size: 64
  - .agpr_count:     0
    .args:
      - .offset:         0
        .size:           136
        .value_kind:     by_value
    .group_segment_fixed_size: 0
    .kernarg_segment_align: 8
    .kernarg_segment_size: 136
    .language:       OpenCL C
    .language_version:
      - 2
      - 0
    .max_flat_workgroup_size: 128
    .name:           _ZN7rocprim17ROCPRIM_400000_NS6detail17trampoline_kernelINS0_14default_configENS1_25partition_config_selectorILNS1_17partition_subalgoE0EtNS0_10empty_typeEbEEZZNS1_14partition_implILS5_0ELb0ES3_jN6thrust23THRUST_200600_302600_NS6detail15normal_iteratorINSA_10device_ptrItEEEEPS6_SG_NS0_5tupleIJSF_SF_EEENSH_IJSG_SG_EEES6_PlJ7is_evenItEEEE10hipError_tPvRmT3_T4_T5_T6_T7_T9_mT8_P12ihipStream_tbDpT10_ENKUlT_T0_E_clISt17integral_constantIbLb0EES15_IbLb1EEEEDaS11_S12_EUlS11_E_NS1_11comp_targetILNS1_3genE8ELNS1_11target_archE1030ELNS1_3gpuE2ELNS1_3repE0EEENS1_30default_config_static_selectorELNS0_4arch9wavefront6targetE1EEEvT1_
    .private_segment_fixed_size: 0
    .sgpr_count:     6
    .sgpr_spill_count: 0
    .symbol:         _ZN7rocprim17ROCPRIM_400000_NS6detail17trampoline_kernelINS0_14default_configENS1_25partition_config_selectorILNS1_17partition_subalgoE0EtNS0_10empty_typeEbEEZZNS1_14partition_implILS5_0ELb0ES3_jN6thrust23THRUST_200600_302600_NS6detail15normal_iteratorINSA_10device_ptrItEEEEPS6_SG_NS0_5tupleIJSF_SF_EEENSH_IJSG_SG_EEES6_PlJ7is_evenItEEEE10hipError_tPvRmT3_T4_T5_T6_T7_T9_mT8_P12ihipStream_tbDpT10_ENKUlT_T0_E_clISt17integral_constantIbLb0EES15_IbLb1EEEEDaS11_S12_EUlS11_E_NS1_11comp_targetILNS1_3genE8ELNS1_11target_archE1030ELNS1_3gpuE2ELNS1_3repE0EEENS1_30default_config_static_selectorELNS0_4arch9wavefront6targetE1EEEvT1_.kd
    .uniform_work_group_size: 1
    .uses_dynamic_stack: false
    .vgpr_count:     0
    .vgpr_spill_count: 0
    .wavefront_size: 64
  - .agpr_count:     0
    .args:
      - .offset:         0
        .size:           16
        .value_kind:     by_value
      - .offset:         16
        .size:           8
        .value_kind:     by_value
      - .offset:         24
        .size:           8
        .value_kind:     by_value
    .group_segment_fixed_size: 0
    .kernarg_segment_align: 8
    .kernarg_segment_size: 32
    .language:       OpenCL C
    .language_version:
      - 2
      - 0
    .max_flat_workgroup_size: 256
    .name:           _ZN6thrust23THRUST_200600_302600_NS11hip_rocprim14__parallel_for6kernelILj256ENS1_20__uninitialized_fill7functorINS0_10device_ptrIiEEiEEmLj1EEEvT0_T1_SA_
    .private_segment_fixed_size: 0
    .sgpr_count:     14
    .sgpr_spill_count: 0
    .symbol:         _ZN6thrust23THRUST_200600_302600_NS11hip_rocprim14__parallel_for6kernelILj256ENS1_20__uninitialized_fill7functorINS0_10device_ptrIiEEiEEmLj1EEEvT0_T1_SA_.kd
    .uniform_work_group_size: 1
    .uses_dynamic_stack: false
    .vgpr_count:     4
    .vgpr_spill_count: 0
    .wavefront_size: 64
  - .agpr_count:     0
    .args:
      - .offset:         0
        .size:           128
        .value_kind:     by_value
    .group_segment_fixed_size: 0
    .kernarg_segment_align: 8
    .kernarg_segment_size: 128
    .language:       OpenCL C
    .language_version:
      - 2
      - 0
    .max_flat_workgroup_size: 128
    .name:           _ZN7rocprim17ROCPRIM_400000_NS6detail17trampoline_kernelINS0_14default_configENS1_25partition_config_selectorILNS1_17partition_subalgoE1EyNS0_10empty_typeEbEEZZNS1_14partition_implILS5_1ELb0ES3_jN6thrust23THRUST_200600_302600_NS6detail15normal_iteratorINSA_10device_ptrIyEEEEPS6_NSA_18transform_iteratorI7is_evenIyESF_NSA_11use_defaultESK_EENS0_5tupleIJSF_SF_EEENSM_IJSG_SG_EEES6_PlJS6_EEE10hipError_tPvRmT3_T4_T5_T6_T7_T9_mT8_P12ihipStream_tbDpT10_ENKUlT_T0_E_clISt17integral_constantIbLb0EES19_EEDaS14_S15_EUlS14_E_NS1_11comp_targetILNS1_3genE0ELNS1_11target_archE4294967295ELNS1_3gpuE0ELNS1_3repE0EEENS1_30default_config_static_selectorELNS0_4arch9wavefront6targetE1EEEvT1_
    .private_segment_fixed_size: 0
    .sgpr_count:     6
    .sgpr_spill_count: 0
    .symbol:         _ZN7rocprim17ROCPRIM_400000_NS6detail17trampoline_kernelINS0_14default_configENS1_25partition_config_selectorILNS1_17partition_subalgoE1EyNS0_10empty_typeEbEEZZNS1_14partition_implILS5_1ELb0ES3_jN6thrust23THRUST_200600_302600_NS6detail15normal_iteratorINSA_10device_ptrIyEEEEPS6_NSA_18transform_iteratorI7is_evenIyESF_NSA_11use_defaultESK_EENS0_5tupleIJSF_SF_EEENSM_IJSG_SG_EEES6_PlJS6_EEE10hipError_tPvRmT3_T4_T5_T6_T7_T9_mT8_P12ihipStream_tbDpT10_ENKUlT_T0_E_clISt17integral_constantIbLb0EES19_EEDaS14_S15_EUlS14_E_NS1_11comp_targetILNS1_3genE0ELNS1_11target_archE4294967295ELNS1_3gpuE0ELNS1_3repE0EEENS1_30default_config_static_selectorELNS0_4arch9wavefront6targetE1EEEvT1_.kd
    .uniform_work_group_size: 1
    .uses_dynamic_stack: false
    .vgpr_count:     0
    .vgpr_spill_count: 0
    .wavefront_size: 64
  - .agpr_count:     0
    .args:
      - .offset:         0
        .size:           128
        .value_kind:     by_value
    .group_segment_fixed_size: 28680
    .kernarg_segment_align: 8
    .kernarg_segment_size: 128
    .language:       OpenCL C
    .language_version:
      - 2
      - 0
    .max_flat_workgroup_size: 512
    .name:           _ZN7rocprim17ROCPRIM_400000_NS6detail17trampoline_kernelINS0_14default_configENS1_25partition_config_selectorILNS1_17partition_subalgoE1EyNS0_10empty_typeEbEEZZNS1_14partition_implILS5_1ELb0ES3_jN6thrust23THRUST_200600_302600_NS6detail15normal_iteratorINSA_10device_ptrIyEEEEPS6_NSA_18transform_iteratorI7is_evenIyESF_NSA_11use_defaultESK_EENS0_5tupleIJSF_SF_EEENSM_IJSG_SG_EEES6_PlJS6_EEE10hipError_tPvRmT3_T4_T5_T6_T7_T9_mT8_P12ihipStream_tbDpT10_ENKUlT_T0_E_clISt17integral_constantIbLb0EES19_EEDaS14_S15_EUlS14_E_NS1_11comp_targetILNS1_3genE5ELNS1_11target_archE942ELNS1_3gpuE9ELNS1_3repE0EEENS1_30default_config_static_selectorELNS0_4arch9wavefront6targetE1EEEvT1_
    .private_segment_fixed_size: 0
    .sgpr_count:     50
    .sgpr_spill_count: 0
    .symbol:         _ZN7rocprim17ROCPRIM_400000_NS6detail17trampoline_kernelINS0_14default_configENS1_25partition_config_selectorILNS1_17partition_subalgoE1EyNS0_10empty_typeEbEEZZNS1_14partition_implILS5_1ELb0ES3_jN6thrust23THRUST_200600_302600_NS6detail15normal_iteratorINSA_10device_ptrIyEEEEPS6_NSA_18transform_iteratorI7is_evenIyESF_NSA_11use_defaultESK_EENS0_5tupleIJSF_SF_EEENSM_IJSG_SG_EEES6_PlJS6_EEE10hipError_tPvRmT3_T4_T5_T6_T7_T9_mT8_P12ihipStream_tbDpT10_ENKUlT_T0_E_clISt17integral_constantIbLb0EES19_EEDaS14_S15_EUlS14_E_NS1_11comp_targetILNS1_3genE5ELNS1_11target_archE942ELNS1_3gpuE9ELNS1_3repE0EEENS1_30default_config_static_selectorELNS0_4arch9wavefront6targetE1EEEvT1_.kd
    .uniform_work_group_size: 1
    .uses_dynamic_stack: false
    .vgpr_count:     54
    .vgpr_spill_count: 0
    .wavefront_size: 64
  - .agpr_count:     0
    .args:
      - .offset:         0
        .size:           128
        .value_kind:     by_value
    .group_segment_fixed_size: 0
    .kernarg_segment_align: 8
    .kernarg_segment_size: 128
    .language:       OpenCL C
    .language_version:
      - 2
      - 0
    .max_flat_workgroup_size: 192
    .name:           _ZN7rocprim17ROCPRIM_400000_NS6detail17trampoline_kernelINS0_14default_configENS1_25partition_config_selectorILNS1_17partition_subalgoE1EyNS0_10empty_typeEbEEZZNS1_14partition_implILS5_1ELb0ES3_jN6thrust23THRUST_200600_302600_NS6detail15normal_iteratorINSA_10device_ptrIyEEEEPS6_NSA_18transform_iteratorI7is_evenIyESF_NSA_11use_defaultESK_EENS0_5tupleIJSF_SF_EEENSM_IJSG_SG_EEES6_PlJS6_EEE10hipError_tPvRmT3_T4_T5_T6_T7_T9_mT8_P12ihipStream_tbDpT10_ENKUlT_T0_E_clISt17integral_constantIbLb0EES19_EEDaS14_S15_EUlS14_E_NS1_11comp_targetILNS1_3genE4ELNS1_11target_archE910ELNS1_3gpuE8ELNS1_3repE0EEENS1_30default_config_static_selectorELNS0_4arch9wavefront6targetE1EEEvT1_
    .private_segment_fixed_size: 0
    .sgpr_count:     6
    .sgpr_spill_count: 0
    .symbol:         _ZN7rocprim17ROCPRIM_400000_NS6detail17trampoline_kernelINS0_14default_configENS1_25partition_config_selectorILNS1_17partition_subalgoE1EyNS0_10empty_typeEbEEZZNS1_14partition_implILS5_1ELb0ES3_jN6thrust23THRUST_200600_302600_NS6detail15normal_iteratorINSA_10device_ptrIyEEEEPS6_NSA_18transform_iteratorI7is_evenIyESF_NSA_11use_defaultESK_EENS0_5tupleIJSF_SF_EEENSM_IJSG_SG_EEES6_PlJS6_EEE10hipError_tPvRmT3_T4_T5_T6_T7_T9_mT8_P12ihipStream_tbDpT10_ENKUlT_T0_E_clISt17integral_constantIbLb0EES19_EEDaS14_S15_EUlS14_E_NS1_11comp_targetILNS1_3genE4ELNS1_11target_archE910ELNS1_3gpuE8ELNS1_3repE0EEENS1_30default_config_static_selectorELNS0_4arch9wavefront6targetE1EEEvT1_.kd
    .uniform_work_group_size: 1
    .uses_dynamic_stack: false
    .vgpr_count:     0
    .vgpr_spill_count: 0
    .wavefront_size: 64
  - .agpr_count:     0
    .args:
      - .offset:         0
        .size:           128
        .value_kind:     by_value
    .group_segment_fixed_size: 0
    .kernarg_segment_align: 8
    .kernarg_segment_size: 128
    .language:       OpenCL C
    .language_version:
      - 2
      - 0
    .max_flat_workgroup_size: 128
    .name:           _ZN7rocprim17ROCPRIM_400000_NS6detail17trampoline_kernelINS0_14default_configENS1_25partition_config_selectorILNS1_17partition_subalgoE1EyNS0_10empty_typeEbEEZZNS1_14partition_implILS5_1ELb0ES3_jN6thrust23THRUST_200600_302600_NS6detail15normal_iteratorINSA_10device_ptrIyEEEEPS6_NSA_18transform_iteratorI7is_evenIyESF_NSA_11use_defaultESK_EENS0_5tupleIJSF_SF_EEENSM_IJSG_SG_EEES6_PlJS6_EEE10hipError_tPvRmT3_T4_T5_T6_T7_T9_mT8_P12ihipStream_tbDpT10_ENKUlT_T0_E_clISt17integral_constantIbLb0EES19_EEDaS14_S15_EUlS14_E_NS1_11comp_targetILNS1_3genE3ELNS1_11target_archE908ELNS1_3gpuE7ELNS1_3repE0EEENS1_30default_config_static_selectorELNS0_4arch9wavefront6targetE1EEEvT1_
    .private_segment_fixed_size: 0
    .sgpr_count:     6
    .sgpr_spill_count: 0
    .symbol:         _ZN7rocprim17ROCPRIM_400000_NS6detail17trampoline_kernelINS0_14default_configENS1_25partition_config_selectorILNS1_17partition_subalgoE1EyNS0_10empty_typeEbEEZZNS1_14partition_implILS5_1ELb0ES3_jN6thrust23THRUST_200600_302600_NS6detail15normal_iteratorINSA_10device_ptrIyEEEEPS6_NSA_18transform_iteratorI7is_evenIyESF_NSA_11use_defaultESK_EENS0_5tupleIJSF_SF_EEENSM_IJSG_SG_EEES6_PlJS6_EEE10hipError_tPvRmT3_T4_T5_T6_T7_T9_mT8_P12ihipStream_tbDpT10_ENKUlT_T0_E_clISt17integral_constantIbLb0EES19_EEDaS14_S15_EUlS14_E_NS1_11comp_targetILNS1_3genE3ELNS1_11target_archE908ELNS1_3gpuE7ELNS1_3repE0EEENS1_30default_config_static_selectorELNS0_4arch9wavefront6targetE1EEEvT1_.kd
    .uniform_work_group_size: 1
    .uses_dynamic_stack: false
    .vgpr_count:     0
    .vgpr_spill_count: 0
    .wavefront_size: 64
  - .agpr_count:     0
    .args:
      - .offset:         0
        .size:           128
        .value_kind:     by_value
    .group_segment_fixed_size: 0
    .kernarg_segment_align: 8
    .kernarg_segment_size: 128
    .language:       OpenCL C
    .language_version:
      - 2
      - 0
    .max_flat_workgroup_size: 256
    .name:           _ZN7rocprim17ROCPRIM_400000_NS6detail17trampoline_kernelINS0_14default_configENS1_25partition_config_selectorILNS1_17partition_subalgoE1EyNS0_10empty_typeEbEEZZNS1_14partition_implILS5_1ELb0ES3_jN6thrust23THRUST_200600_302600_NS6detail15normal_iteratorINSA_10device_ptrIyEEEEPS6_NSA_18transform_iteratorI7is_evenIyESF_NSA_11use_defaultESK_EENS0_5tupleIJSF_SF_EEENSM_IJSG_SG_EEES6_PlJS6_EEE10hipError_tPvRmT3_T4_T5_T6_T7_T9_mT8_P12ihipStream_tbDpT10_ENKUlT_T0_E_clISt17integral_constantIbLb0EES19_EEDaS14_S15_EUlS14_E_NS1_11comp_targetILNS1_3genE2ELNS1_11target_archE906ELNS1_3gpuE6ELNS1_3repE0EEENS1_30default_config_static_selectorELNS0_4arch9wavefront6targetE1EEEvT1_
    .private_segment_fixed_size: 0
    .sgpr_count:     6
    .sgpr_spill_count: 0
    .symbol:         _ZN7rocprim17ROCPRIM_400000_NS6detail17trampoline_kernelINS0_14default_configENS1_25partition_config_selectorILNS1_17partition_subalgoE1EyNS0_10empty_typeEbEEZZNS1_14partition_implILS5_1ELb0ES3_jN6thrust23THRUST_200600_302600_NS6detail15normal_iteratorINSA_10device_ptrIyEEEEPS6_NSA_18transform_iteratorI7is_evenIyESF_NSA_11use_defaultESK_EENS0_5tupleIJSF_SF_EEENSM_IJSG_SG_EEES6_PlJS6_EEE10hipError_tPvRmT3_T4_T5_T6_T7_T9_mT8_P12ihipStream_tbDpT10_ENKUlT_T0_E_clISt17integral_constantIbLb0EES19_EEDaS14_S15_EUlS14_E_NS1_11comp_targetILNS1_3genE2ELNS1_11target_archE906ELNS1_3gpuE6ELNS1_3repE0EEENS1_30default_config_static_selectorELNS0_4arch9wavefront6targetE1EEEvT1_.kd
    .uniform_work_group_size: 1
    .uses_dynamic_stack: false
    .vgpr_count:     0
    .vgpr_spill_count: 0
    .wavefront_size: 64
  - .agpr_count:     0
    .args:
      - .offset:         0
        .size:           128
        .value_kind:     by_value
    .group_segment_fixed_size: 0
    .kernarg_segment_align: 8
    .kernarg_segment_size: 128
    .language:       OpenCL C
    .language_version:
      - 2
      - 0
    .max_flat_workgroup_size: 256
    .name:           _ZN7rocprim17ROCPRIM_400000_NS6detail17trampoline_kernelINS0_14default_configENS1_25partition_config_selectorILNS1_17partition_subalgoE1EyNS0_10empty_typeEbEEZZNS1_14partition_implILS5_1ELb0ES3_jN6thrust23THRUST_200600_302600_NS6detail15normal_iteratorINSA_10device_ptrIyEEEEPS6_NSA_18transform_iteratorI7is_evenIyESF_NSA_11use_defaultESK_EENS0_5tupleIJSF_SF_EEENSM_IJSG_SG_EEES6_PlJS6_EEE10hipError_tPvRmT3_T4_T5_T6_T7_T9_mT8_P12ihipStream_tbDpT10_ENKUlT_T0_E_clISt17integral_constantIbLb0EES19_EEDaS14_S15_EUlS14_E_NS1_11comp_targetILNS1_3genE10ELNS1_11target_archE1200ELNS1_3gpuE4ELNS1_3repE0EEENS1_30default_config_static_selectorELNS0_4arch9wavefront6targetE1EEEvT1_
    .private_segment_fixed_size: 0
    .sgpr_count:     6
    .sgpr_spill_count: 0
    .symbol:         _ZN7rocprim17ROCPRIM_400000_NS6detail17trampoline_kernelINS0_14default_configENS1_25partition_config_selectorILNS1_17partition_subalgoE1EyNS0_10empty_typeEbEEZZNS1_14partition_implILS5_1ELb0ES3_jN6thrust23THRUST_200600_302600_NS6detail15normal_iteratorINSA_10device_ptrIyEEEEPS6_NSA_18transform_iteratorI7is_evenIyESF_NSA_11use_defaultESK_EENS0_5tupleIJSF_SF_EEENSM_IJSG_SG_EEES6_PlJS6_EEE10hipError_tPvRmT3_T4_T5_T6_T7_T9_mT8_P12ihipStream_tbDpT10_ENKUlT_T0_E_clISt17integral_constantIbLb0EES19_EEDaS14_S15_EUlS14_E_NS1_11comp_targetILNS1_3genE10ELNS1_11target_archE1200ELNS1_3gpuE4ELNS1_3repE0EEENS1_30default_config_static_selectorELNS0_4arch9wavefront6targetE1EEEvT1_.kd
    .uniform_work_group_size: 1
    .uses_dynamic_stack: false
    .vgpr_count:     0
    .vgpr_spill_count: 0
    .wavefront_size: 64
  - .agpr_count:     0
    .args:
      - .offset:         0
        .size:           128
        .value_kind:     by_value
    .group_segment_fixed_size: 0
    .kernarg_segment_align: 8
    .kernarg_segment_size: 128
    .language:       OpenCL C
    .language_version:
      - 2
      - 0
    .max_flat_workgroup_size: 128
    .name:           _ZN7rocprim17ROCPRIM_400000_NS6detail17trampoline_kernelINS0_14default_configENS1_25partition_config_selectorILNS1_17partition_subalgoE1EyNS0_10empty_typeEbEEZZNS1_14partition_implILS5_1ELb0ES3_jN6thrust23THRUST_200600_302600_NS6detail15normal_iteratorINSA_10device_ptrIyEEEEPS6_NSA_18transform_iteratorI7is_evenIyESF_NSA_11use_defaultESK_EENS0_5tupleIJSF_SF_EEENSM_IJSG_SG_EEES6_PlJS6_EEE10hipError_tPvRmT3_T4_T5_T6_T7_T9_mT8_P12ihipStream_tbDpT10_ENKUlT_T0_E_clISt17integral_constantIbLb0EES19_EEDaS14_S15_EUlS14_E_NS1_11comp_targetILNS1_3genE9ELNS1_11target_archE1100ELNS1_3gpuE3ELNS1_3repE0EEENS1_30default_config_static_selectorELNS0_4arch9wavefront6targetE1EEEvT1_
    .private_segment_fixed_size: 0
    .sgpr_count:     6
    .sgpr_spill_count: 0
    .symbol:         _ZN7rocprim17ROCPRIM_400000_NS6detail17trampoline_kernelINS0_14default_configENS1_25partition_config_selectorILNS1_17partition_subalgoE1EyNS0_10empty_typeEbEEZZNS1_14partition_implILS5_1ELb0ES3_jN6thrust23THRUST_200600_302600_NS6detail15normal_iteratorINSA_10device_ptrIyEEEEPS6_NSA_18transform_iteratorI7is_evenIyESF_NSA_11use_defaultESK_EENS0_5tupleIJSF_SF_EEENSM_IJSG_SG_EEES6_PlJS6_EEE10hipError_tPvRmT3_T4_T5_T6_T7_T9_mT8_P12ihipStream_tbDpT10_ENKUlT_T0_E_clISt17integral_constantIbLb0EES19_EEDaS14_S15_EUlS14_E_NS1_11comp_targetILNS1_3genE9ELNS1_11target_archE1100ELNS1_3gpuE3ELNS1_3repE0EEENS1_30default_config_static_selectorELNS0_4arch9wavefront6targetE1EEEvT1_.kd
    .uniform_work_group_size: 1
    .uses_dynamic_stack: false
    .vgpr_count:     0
    .vgpr_spill_count: 0
    .wavefront_size: 64
  - .agpr_count:     0
    .args:
      - .offset:         0
        .size:           128
        .value_kind:     by_value
    .group_segment_fixed_size: 0
    .kernarg_segment_align: 8
    .kernarg_segment_size: 128
    .language:       OpenCL C
    .language_version:
      - 2
      - 0
    .max_flat_workgroup_size: 512
    .name:           _ZN7rocprim17ROCPRIM_400000_NS6detail17trampoline_kernelINS0_14default_configENS1_25partition_config_selectorILNS1_17partition_subalgoE1EyNS0_10empty_typeEbEEZZNS1_14partition_implILS5_1ELb0ES3_jN6thrust23THRUST_200600_302600_NS6detail15normal_iteratorINSA_10device_ptrIyEEEEPS6_NSA_18transform_iteratorI7is_evenIyESF_NSA_11use_defaultESK_EENS0_5tupleIJSF_SF_EEENSM_IJSG_SG_EEES6_PlJS6_EEE10hipError_tPvRmT3_T4_T5_T6_T7_T9_mT8_P12ihipStream_tbDpT10_ENKUlT_T0_E_clISt17integral_constantIbLb0EES19_EEDaS14_S15_EUlS14_E_NS1_11comp_targetILNS1_3genE8ELNS1_11target_archE1030ELNS1_3gpuE2ELNS1_3repE0EEENS1_30default_config_static_selectorELNS0_4arch9wavefront6targetE1EEEvT1_
    .private_segment_fixed_size: 0
    .sgpr_count:     6
    .sgpr_spill_count: 0
    .symbol:         _ZN7rocprim17ROCPRIM_400000_NS6detail17trampoline_kernelINS0_14default_configENS1_25partition_config_selectorILNS1_17partition_subalgoE1EyNS0_10empty_typeEbEEZZNS1_14partition_implILS5_1ELb0ES3_jN6thrust23THRUST_200600_302600_NS6detail15normal_iteratorINSA_10device_ptrIyEEEEPS6_NSA_18transform_iteratorI7is_evenIyESF_NSA_11use_defaultESK_EENS0_5tupleIJSF_SF_EEENSM_IJSG_SG_EEES6_PlJS6_EEE10hipError_tPvRmT3_T4_T5_T6_T7_T9_mT8_P12ihipStream_tbDpT10_ENKUlT_T0_E_clISt17integral_constantIbLb0EES19_EEDaS14_S15_EUlS14_E_NS1_11comp_targetILNS1_3genE8ELNS1_11target_archE1030ELNS1_3gpuE2ELNS1_3repE0EEENS1_30default_config_static_selectorELNS0_4arch9wavefront6targetE1EEEvT1_.kd
    .uniform_work_group_size: 1
    .uses_dynamic_stack: false
    .vgpr_count:     0
    .vgpr_spill_count: 0
    .wavefront_size: 64
  - .agpr_count:     0
    .args:
      - .offset:         0
        .size:           144
        .value_kind:     by_value
    .group_segment_fixed_size: 0
    .kernarg_segment_align: 8
    .kernarg_segment_size: 144
    .language:       OpenCL C
    .language_version:
      - 2
      - 0
    .max_flat_workgroup_size: 128
    .name:           _ZN7rocprim17ROCPRIM_400000_NS6detail17trampoline_kernelINS0_14default_configENS1_25partition_config_selectorILNS1_17partition_subalgoE1EyNS0_10empty_typeEbEEZZNS1_14partition_implILS5_1ELb0ES3_jN6thrust23THRUST_200600_302600_NS6detail15normal_iteratorINSA_10device_ptrIyEEEEPS6_NSA_18transform_iteratorI7is_evenIyESF_NSA_11use_defaultESK_EENS0_5tupleIJSF_SF_EEENSM_IJSG_SG_EEES6_PlJS6_EEE10hipError_tPvRmT3_T4_T5_T6_T7_T9_mT8_P12ihipStream_tbDpT10_ENKUlT_T0_E_clISt17integral_constantIbLb1EES19_EEDaS14_S15_EUlS14_E_NS1_11comp_targetILNS1_3genE0ELNS1_11target_archE4294967295ELNS1_3gpuE0ELNS1_3repE0EEENS1_30default_config_static_selectorELNS0_4arch9wavefront6targetE1EEEvT1_
    .private_segment_fixed_size: 0
    .sgpr_count:     6
    .sgpr_spill_count: 0
    .symbol:         _ZN7rocprim17ROCPRIM_400000_NS6detail17trampoline_kernelINS0_14default_configENS1_25partition_config_selectorILNS1_17partition_subalgoE1EyNS0_10empty_typeEbEEZZNS1_14partition_implILS5_1ELb0ES3_jN6thrust23THRUST_200600_302600_NS6detail15normal_iteratorINSA_10device_ptrIyEEEEPS6_NSA_18transform_iteratorI7is_evenIyESF_NSA_11use_defaultESK_EENS0_5tupleIJSF_SF_EEENSM_IJSG_SG_EEES6_PlJS6_EEE10hipError_tPvRmT3_T4_T5_T6_T7_T9_mT8_P12ihipStream_tbDpT10_ENKUlT_T0_E_clISt17integral_constantIbLb1EES19_EEDaS14_S15_EUlS14_E_NS1_11comp_targetILNS1_3genE0ELNS1_11target_archE4294967295ELNS1_3gpuE0ELNS1_3repE0EEENS1_30default_config_static_selectorELNS0_4arch9wavefront6targetE1EEEvT1_.kd
    .uniform_work_group_size: 1
    .uses_dynamic_stack: false
    .vgpr_count:     0
    .vgpr_spill_count: 0
    .wavefront_size: 64
  - .agpr_count:     0
    .args:
      - .offset:         0
        .size:           144
        .value_kind:     by_value
    .group_segment_fixed_size: 28680
    .kernarg_segment_align: 8
    .kernarg_segment_size: 144
    .language:       OpenCL C
    .language_version:
      - 2
      - 0
    .max_flat_workgroup_size: 512
    .name:           _ZN7rocprim17ROCPRIM_400000_NS6detail17trampoline_kernelINS0_14default_configENS1_25partition_config_selectorILNS1_17partition_subalgoE1EyNS0_10empty_typeEbEEZZNS1_14partition_implILS5_1ELb0ES3_jN6thrust23THRUST_200600_302600_NS6detail15normal_iteratorINSA_10device_ptrIyEEEEPS6_NSA_18transform_iteratorI7is_evenIyESF_NSA_11use_defaultESK_EENS0_5tupleIJSF_SF_EEENSM_IJSG_SG_EEES6_PlJS6_EEE10hipError_tPvRmT3_T4_T5_T6_T7_T9_mT8_P12ihipStream_tbDpT10_ENKUlT_T0_E_clISt17integral_constantIbLb1EES19_EEDaS14_S15_EUlS14_E_NS1_11comp_targetILNS1_3genE5ELNS1_11target_archE942ELNS1_3gpuE9ELNS1_3repE0EEENS1_30default_config_static_selectorELNS0_4arch9wavefront6targetE1EEEvT1_
    .private_segment_fixed_size: 0
    .sgpr_count:     50
    .sgpr_spill_count: 0
    .symbol:         _ZN7rocprim17ROCPRIM_400000_NS6detail17trampoline_kernelINS0_14default_configENS1_25partition_config_selectorILNS1_17partition_subalgoE1EyNS0_10empty_typeEbEEZZNS1_14partition_implILS5_1ELb0ES3_jN6thrust23THRUST_200600_302600_NS6detail15normal_iteratorINSA_10device_ptrIyEEEEPS6_NSA_18transform_iteratorI7is_evenIyESF_NSA_11use_defaultESK_EENS0_5tupleIJSF_SF_EEENSM_IJSG_SG_EEES6_PlJS6_EEE10hipError_tPvRmT3_T4_T5_T6_T7_T9_mT8_P12ihipStream_tbDpT10_ENKUlT_T0_E_clISt17integral_constantIbLb1EES19_EEDaS14_S15_EUlS14_E_NS1_11comp_targetILNS1_3genE5ELNS1_11target_archE942ELNS1_3gpuE9ELNS1_3repE0EEENS1_30default_config_static_selectorELNS0_4arch9wavefront6targetE1EEEvT1_.kd
    .uniform_work_group_size: 1
    .uses_dynamic_stack: false
    .vgpr_count:     58
    .vgpr_spill_count: 0
    .wavefront_size: 64
  - .agpr_count:     0
    .args:
      - .offset:         0
        .size:           144
        .value_kind:     by_value
    .group_segment_fixed_size: 0
    .kernarg_segment_align: 8
    .kernarg_segment_size: 144
    .language:       OpenCL C
    .language_version:
      - 2
      - 0
    .max_flat_workgroup_size: 192
    .name:           _ZN7rocprim17ROCPRIM_400000_NS6detail17trampoline_kernelINS0_14default_configENS1_25partition_config_selectorILNS1_17partition_subalgoE1EyNS0_10empty_typeEbEEZZNS1_14partition_implILS5_1ELb0ES3_jN6thrust23THRUST_200600_302600_NS6detail15normal_iteratorINSA_10device_ptrIyEEEEPS6_NSA_18transform_iteratorI7is_evenIyESF_NSA_11use_defaultESK_EENS0_5tupleIJSF_SF_EEENSM_IJSG_SG_EEES6_PlJS6_EEE10hipError_tPvRmT3_T4_T5_T6_T7_T9_mT8_P12ihipStream_tbDpT10_ENKUlT_T0_E_clISt17integral_constantIbLb1EES19_EEDaS14_S15_EUlS14_E_NS1_11comp_targetILNS1_3genE4ELNS1_11target_archE910ELNS1_3gpuE8ELNS1_3repE0EEENS1_30default_config_static_selectorELNS0_4arch9wavefront6targetE1EEEvT1_
    .private_segment_fixed_size: 0
    .sgpr_count:     6
    .sgpr_spill_count: 0
    .symbol:         _ZN7rocprim17ROCPRIM_400000_NS6detail17trampoline_kernelINS0_14default_configENS1_25partition_config_selectorILNS1_17partition_subalgoE1EyNS0_10empty_typeEbEEZZNS1_14partition_implILS5_1ELb0ES3_jN6thrust23THRUST_200600_302600_NS6detail15normal_iteratorINSA_10device_ptrIyEEEEPS6_NSA_18transform_iteratorI7is_evenIyESF_NSA_11use_defaultESK_EENS0_5tupleIJSF_SF_EEENSM_IJSG_SG_EEES6_PlJS6_EEE10hipError_tPvRmT3_T4_T5_T6_T7_T9_mT8_P12ihipStream_tbDpT10_ENKUlT_T0_E_clISt17integral_constantIbLb1EES19_EEDaS14_S15_EUlS14_E_NS1_11comp_targetILNS1_3genE4ELNS1_11target_archE910ELNS1_3gpuE8ELNS1_3repE0EEENS1_30default_config_static_selectorELNS0_4arch9wavefront6targetE1EEEvT1_.kd
    .uniform_work_group_size: 1
    .uses_dynamic_stack: false
    .vgpr_count:     0
    .vgpr_spill_count: 0
    .wavefront_size: 64
  - .agpr_count:     0
    .args:
      - .offset:         0
        .size:           144
        .value_kind:     by_value
    .group_segment_fixed_size: 0
    .kernarg_segment_align: 8
    .kernarg_segment_size: 144
    .language:       OpenCL C
    .language_version:
      - 2
      - 0
    .max_flat_workgroup_size: 128
    .name:           _ZN7rocprim17ROCPRIM_400000_NS6detail17trampoline_kernelINS0_14default_configENS1_25partition_config_selectorILNS1_17partition_subalgoE1EyNS0_10empty_typeEbEEZZNS1_14partition_implILS5_1ELb0ES3_jN6thrust23THRUST_200600_302600_NS6detail15normal_iteratorINSA_10device_ptrIyEEEEPS6_NSA_18transform_iteratorI7is_evenIyESF_NSA_11use_defaultESK_EENS0_5tupleIJSF_SF_EEENSM_IJSG_SG_EEES6_PlJS6_EEE10hipError_tPvRmT3_T4_T5_T6_T7_T9_mT8_P12ihipStream_tbDpT10_ENKUlT_T0_E_clISt17integral_constantIbLb1EES19_EEDaS14_S15_EUlS14_E_NS1_11comp_targetILNS1_3genE3ELNS1_11target_archE908ELNS1_3gpuE7ELNS1_3repE0EEENS1_30default_config_static_selectorELNS0_4arch9wavefront6targetE1EEEvT1_
    .private_segment_fixed_size: 0
    .sgpr_count:     6
    .sgpr_spill_count: 0
    .symbol:         _ZN7rocprim17ROCPRIM_400000_NS6detail17trampoline_kernelINS0_14default_configENS1_25partition_config_selectorILNS1_17partition_subalgoE1EyNS0_10empty_typeEbEEZZNS1_14partition_implILS5_1ELb0ES3_jN6thrust23THRUST_200600_302600_NS6detail15normal_iteratorINSA_10device_ptrIyEEEEPS6_NSA_18transform_iteratorI7is_evenIyESF_NSA_11use_defaultESK_EENS0_5tupleIJSF_SF_EEENSM_IJSG_SG_EEES6_PlJS6_EEE10hipError_tPvRmT3_T4_T5_T6_T7_T9_mT8_P12ihipStream_tbDpT10_ENKUlT_T0_E_clISt17integral_constantIbLb1EES19_EEDaS14_S15_EUlS14_E_NS1_11comp_targetILNS1_3genE3ELNS1_11target_archE908ELNS1_3gpuE7ELNS1_3repE0EEENS1_30default_config_static_selectorELNS0_4arch9wavefront6targetE1EEEvT1_.kd
    .uniform_work_group_size: 1
    .uses_dynamic_stack: false
    .vgpr_count:     0
    .vgpr_spill_count: 0
    .wavefront_size: 64
  - .agpr_count:     0
    .args:
      - .offset:         0
        .size:           144
        .value_kind:     by_value
    .group_segment_fixed_size: 0
    .kernarg_segment_align: 8
    .kernarg_segment_size: 144
    .language:       OpenCL C
    .language_version:
      - 2
      - 0
    .max_flat_workgroup_size: 256
    .name:           _ZN7rocprim17ROCPRIM_400000_NS6detail17trampoline_kernelINS0_14default_configENS1_25partition_config_selectorILNS1_17partition_subalgoE1EyNS0_10empty_typeEbEEZZNS1_14partition_implILS5_1ELb0ES3_jN6thrust23THRUST_200600_302600_NS6detail15normal_iteratorINSA_10device_ptrIyEEEEPS6_NSA_18transform_iteratorI7is_evenIyESF_NSA_11use_defaultESK_EENS0_5tupleIJSF_SF_EEENSM_IJSG_SG_EEES6_PlJS6_EEE10hipError_tPvRmT3_T4_T5_T6_T7_T9_mT8_P12ihipStream_tbDpT10_ENKUlT_T0_E_clISt17integral_constantIbLb1EES19_EEDaS14_S15_EUlS14_E_NS1_11comp_targetILNS1_3genE2ELNS1_11target_archE906ELNS1_3gpuE6ELNS1_3repE0EEENS1_30default_config_static_selectorELNS0_4arch9wavefront6targetE1EEEvT1_
    .private_segment_fixed_size: 0
    .sgpr_count:     6
    .sgpr_spill_count: 0
    .symbol:         _ZN7rocprim17ROCPRIM_400000_NS6detail17trampoline_kernelINS0_14default_configENS1_25partition_config_selectorILNS1_17partition_subalgoE1EyNS0_10empty_typeEbEEZZNS1_14partition_implILS5_1ELb0ES3_jN6thrust23THRUST_200600_302600_NS6detail15normal_iteratorINSA_10device_ptrIyEEEEPS6_NSA_18transform_iteratorI7is_evenIyESF_NSA_11use_defaultESK_EENS0_5tupleIJSF_SF_EEENSM_IJSG_SG_EEES6_PlJS6_EEE10hipError_tPvRmT3_T4_T5_T6_T7_T9_mT8_P12ihipStream_tbDpT10_ENKUlT_T0_E_clISt17integral_constantIbLb1EES19_EEDaS14_S15_EUlS14_E_NS1_11comp_targetILNS1_3genE2ELNS1_11target_archE906ELNS1_3gpuE6ELNS1_3repE0EEENS1_30default_config_static_selectorELNS0_4arch9wavefront6targetE1EEEvT1_.kd
    .uniform_work_group_size: 1
    .uses_dynamic_stack: false
    .vgpr_count:     0
    .vgpr_spill_count: 0
    .wavefront_size: 64
  - .agpr_count:     0
    .args:
      - .offset:         0
        .size:           144
        .value_kind:     by_value
    .group_segment_fixed_size: 0
    .kernarg_segment_align: 8
    .kernarg_segment_size: 144
    .language:       OpenCL C
    .language_version:
      - 2
      - 0
    .max_flat_workgroup_size: 256
    .name:           _ZN7rocprim17ROCPRIM_400000_NS6detail17trampoline_kernelINS0_14default_configENS1_25partition_config_selectorILNS1_17partition_subalgoE1EyNS0_10empty_typeEbEEZZNS1_14partition_implILS5_1ELb0ES3_jN6thrust23THRUST_200600_302600_NS6detail15normal_iteratorINSA_10device_ptrIyEEEEPS6_NSA_18transform_iteratorI7is_evenIyESF_NSA_11use_defaultESK_EENS0_5tupleIJSF_SF_EEENSM_IJSG_SG_EEES6_PlJS6_EEE10hipError_tPvRmT3_T4_T5_T6_T7_T9_mT8_P12ihipStream_tbDpT10_ENKUlT_T0_E_clISt17integral_constantIbLb1EES19_EEDaS14_S15_EUlS14_E_NS1_11comp_targetILNS1_3genE10ELNS1_11target_archE1200ELNS1_3gpuE4ELNS1_3repE0EEENS1_30default_config_static_selectorELNS0_4arch9wavefront6targetE1EEEvT1_
    .private_segment_fixed_size: 0
    .sgpr_count:     6
    .sgpr_spill_count: 0
    .symbol:         _ZN7rocprim17ROCPRIM_400000_NS6detail17trampoline_kernelINS0_14default_configENS1_25partition_config_selectorILNS1_17partition_subalgoE1EyNS0_10empty_typeEbEEZZNS1_14partition_implILS5_1ELb0ES3_jN6thrust23THRUST_200600_302600_NS6detail15normal_iteratorINSA_10device_ptrIyEEEEPS6_NSA_18transform_iteratorI7is_evenIyESF_NSA_11use_defaultESK_EENS0_5tupleIJSF_SF_EEENSM_IJSG_SG_EEES6_PlJS6_EEE10hipError_tPvRmT3_T4_T5_T6_T7_T9_mT8_P12ihipStream_tbDpT10_ENKUlT_T0_E_clISt17integral_constantIbLb1EES19_EEDaS14_S15_EUlS14_E_NS1_11comp_targetILNS1_3genE10ELNS1_11target_archE1200ELNS1_3gpuE4ELNS1_3repE0EEENS1_30default_config_static_selectorELNS0_4arch9wavefront6targetE1EEEvT1_.kd
    .uniform_work_group_size: 1
    .uses_dynamic_stack: false
    .vgpr_count:     0
    .vgpr_spill_count: 0
    .wavefront_size: 64
  - .agpr_count:     0
    .args:
      - .offset:         0
        .size:           144
        .value_kind:     by_value
    .group_segment_fixed_size: 0
    .kernarg_segment_align: 8
    .kernarg_segment_size: 144
    .language:       OpenCL C
    .language_version:
      - 2
      - 0
    .max_flat_workgroup_size: 128
    .name:           _ZN7rocprim17ROCPRIM_400000_NS6detail17trampoline_kernelINS0_14default_configENS1_25partition_config_selectorILNS1_17partition_subalgoE1EyNS0_10empty_typeEbEEZZNS1_14partition_implILS5_1ELb0ES3_jN6thrust23THRUST_200600_302600_NS6detail15normal_iteratorINSA_10device_ptrIyEEEEPS6_NSA_18transform_iteratorI7is_evenIyESF_NSA_11use_defaultESK_EENS0_5tupleIJSF_SF_EEENSM_IJSG_SG_EEES6_PlJS6_EEE10hipError_tPvRmT3_T4_T5_T6_T7_T9_mT8_P12ihipStream_tbDpT10_ENKUlT_T0_E_clISt17integral_constantIbLb1EES19_EEDaS14_S15_EUlS14_E_NS1_11comp_targetILNS1_3genE9ELNS1_11target_archE1100ELNS1_3gpuE3ELNS1_3repE0EEENS1_30default_config_static_selectorELNS0_4arch9wavefront6targetE1EEEvT1_
    .private_segment_fixed_size: 0
    .sgpr_count:     6
    .sgpr_spill_count: 0
    .symbol:         _ZN7rocprim17ROCPRIM_400000_NS6detail17trampoline_kernelINS0_14default_configENS1_25partition_config_selectorILNS1_17partition_subalgoE1EyNS0_10empty_typeEbEEZZNS1_14partition_implILS5_1ELb0ES3_jN6thrust23THRUST_200600_302600_NS6detail15normal_iteratorINSA_10device_ptrIyEEEEPS6_NSA_18transform_iteratorI7is_evenIyESF_NSA_11use_defaultESK_EENS0_5tupleIJSF_SF_EEENSM_IJSG_SG_EEES6_PlJS6_EEE10hipError_tPvRmT3_T4_T5_T6_T7_T9_mT8_P12ihipStream_tbDpT10_ENKUlT_T0_E_clISt17integral_constantIbLb1EES19_EEDaS14_S15_EUlS14_E_NS1_11comp_targetILNS1_3genE9ELNS1_11target_archE1100ELNS1_3gpuE3ELNS1_3repE0EEENS1_30default_config_static_selectorELNS0_4arch9wavefront6targetE1EEEvT1_.kd
    .uniform_work_group_size: 1
    .uses_dynamic_stack: false
    .vgpr_count:     0
    .vgpr_spill_count: 0
    .wavefront_size: 64
  - .agpr_count:     0
    .args:
      - .offset:         0
        .size:           144
        .value_kind:     by_value
    .group_segment_fixed_size: 0
    .kernarg_segment_align: 8
    .kernarg_segment_size: 144
    .language:       OpenCL C
    .language_version:
      - 2
      - 0
    .max_flat_workgroup_size: 512
    .name:           _ZN7rocprim17ROCPRIM_400000_NS6detail17trampoline_kernelINS0_14default_configENS1_25partition_config_selectorILNS1_17partition_subalgoE1EyNS0_10empty_typeEbEEZZNS1_14partition_implILS5_1ELb0ES3_jN6thrust23THRUST_200600_302600_NS6detail15normal_iteratorINSA_10device_ptrIyEEEEPS6_NSA_18transform_iteratorI7is_evenIyESF_NSA_11use_defaultESK_EENS0_5tupleIJSF_SF_EEENSM_IJSG_SG_EEES6_PlJS6_EEE10hipError_tPvRmT3_T4_T5_T6_T7_T9_mT8_P12ihipStream_tbDpT10_ENKUlT_T0_E_clISt17integral_constantIbLb1EES19_EEDaS14_S15_EUlS14_E_NS1_11comp_targetILNS1_3genE8ELNS1_11target_archE1030ELNS1_3gpuE2ELNS1_3repE0EEENS1_30default_config_static_selectorELNS0_4arch9wavefront6targetE1EEEvT1_
    .private_segment_fixed_size: 0
    .sgpr_count:     6
    .sgpr_spill_count: 0
    .symbol:         _ZN7rocprim17ROCPRIM_400000_NS6detail17trampoline_kernelINS0_14default_configENS1_25partition_config_selectorILNS1_17partition_subalgoE1EyNS0_10empty_typeEbEEZZNS1_14partition_implILS5_1ELb0ES3_jN6thrust23THRUST_200600_302600_NS6detail15normal_iteratorINSA_10device_ptrIyEEEEPS6_NSA_18transform_iteratorI7is_evenIyESF_NSA_11use_defaultESK_EENS0_5tupleIJSF_SF_EEENSM_IJSG_SG_EEES6_PlJS6_EEE10hipError_tPvRmT3_T4_T5_T6_T7_T9_mT8_P12ihipStream_tbDpT10_ENKUlT_T0_E_clISt17integral_constantIbLb1EES19_EEDaS14_S15_EUlS14_E_NS1_11comp_targetILNS1_3genE8ELNS1_11target_archE1030ELNS1_3gpuE2ELNS1_3repE0EEENS1_30default_config_static_selectorELNS0_4arch9wavefront6targetE1EEEvT1_.kd
    .uniform_work_group_size: 1
    .uses_dynamic_stack: false
    .vgpr_count:     0
    .vgpr_spill_count: 0
    .wavefront_size: 64
  - .agpr_count:     0
    .args:
      - .offset:         0
        .size:           128
        .value_kind:     by_value
    .group_segment_fixed_size: 0
    .kernarg_segment_align: 8
    .kernarg_segment_size: 128
    .language:       OpenCL C
    .language_version:
      - 2
      - 0
    .max_flat_workgroup_size: 128
    .name:           _ZN7rocprim17ROCPRIM_400000_NS6detail17trampoline_kernelINS0_14default_configENS1_25partition_config_selectorILNS1_17partition_subalgoE1EyNS0_10empty_typeEbEEZZNS1_14partition_implILS5_1ELb0ES3_jN6thrust23THRUST_200600_302600_NS6detail15normal_iteratorINSA_10device_ptrIyEEEEPS6_NSA_18transform_iteratorI7is_evenIyESF_NSA_11use_defaultESK_EENS0_5tupleIJSF_SF_EEENSM_IJSG_SG_EEES6_PlJS6_EEE10hipError_tPvRmT3_T4_T5_T6_T7_T9_mT8_P12ihipStream_tbDpT10_ENKUlT_T0_E_clISt17integral_constantIbLb1EES18_IbLb0EEEEDaS14_S15_EUlS14_E_NS1_11comp_targetILNS1_3genE0ELNS1_11target_archE4294967295ELNS1_3gpuE0ELNS1_3repE0EEENS1_30default_config_static_selectorELNS0_4arch9wavefront6targetE1EEEvT1_
    .private_segment_fixed_size: 0
    .sgpr_count:     6
    .sgpr_spill_count: 0
    .symbol:         _ZN7rocprim17ROCPRIM_400000_NS6detail17trampoline_kernelINS0_14default_configENS1_25partition_config_selectorILNS1_17partition_subalgoE1EyNS0_10empty_typeEbEEZZNS1_14partition_implILS5_1ELb0ES3_jN6thrust23THRUST_200600_302600_NS6detail15normal_iteratorINSA_10device_ptrIyEEEEPS6_NSA_18transform_iteratorI7is_evenIyESF_NSA_11use_defaultESK_EENS0_5tupleIJSF_SF_EEENSM_IJSG_SG_EEES6_PlJS6_EEE10hipError_tPvRmT3_T4_T5_T6_T7_T9_mT8_P12ihipStream_tbDpT10_ENKUlT_T0_E_clISt17integral_constantIbLb1EES18_IbLb0EEEEDaS14_S15_EUlS14_E_NS1_11comp_targetILNS1_3genE0ELNS1_11target_archE4294967295ELNS1_3gpuE0ELNS1_3repE0EEENS1_30default_config_static_selectorELNS0_4arch9wavefront6targetE1EEEvT1_.kd
    .uniform_work_group_size: 1
    .uses_dynamic_stack: false
    .vgpr_count:     0
    .vgpr_spill_count: 0
    .wavefront_size: 64
  - .agpr_count:     0
    .args:
      - .offset:         0
        .size:           128
        .value_kind:     by_value
    .group_segment_fixed_size: 28680
    .kernarg_segment_align: 8
    .kernarg_segment_size: 128
    .language:       OpenCL C
    .language_version:
      - 2
      - 0
    .max_flat_workgroup_size: 512
    .name:           _ZN7rocprim17ROCPRIM_400000_NS6detail17trampoline_kernelINS0_14default_configENS1_25partition_config_selectorILNS1_17partition_subalgoE1EyNS0_10empty_typeEbEEZZNS1_14partition_implILS5_1ELb0ES3_jN6thrust23THRUST_200600_302600_NS6detail15normal_iteratorINSA_10device_ptrIyEEEEPS6_NSA_18transform_iteratorI7is_evenIyESF_NSA_11use_defaultESK_EENS0_5tupleIJSF_SF_EEENSM_IJSG_SG_EEES6_PlJS6_EEE10hipError_tPvRmT3_T4_T5_T6_T7_T9_mT8_P12ihipStream_tbDpT10_ENKUlT_T0_E_clISt17integral_constantIbLb1EES18_IbLb0EEEEDaS14_S15_EUlS14_E_NS1_11comp_targetILNS1_3genE5ELNS1_11target_archE942ELNS1_3gpuE9ELNS1_3repE0EEENS1_30default_config_static_selectorELNS0_4arch9wavefront6targetE1EEEvT1_
    .private_segment_fixed_size: 0
    .sgpr_count:     50
    .sgpr_spill_count: 0
    .symbol:         _ZN7rocprim17ROCPRIM_400000_NS6detail17trampoline_kernelINS0_14default_configENS1_25partition_config_selectorILNS1_17partition_subalgoE1EyNS0_10empty_typeEbEEZZNS1_14partition_implILS5_1ELb0ES3_jN6thrust23THRUST_200600_302600_NS6detail15normal_iteratorINSA_10device_ptrIyEEEEPS6_NSA_18transform_iteratorI7is_evenIyESF_NSA_11use_defaultESK_EENS0_5tupleIJSF_SF_EEENSM_IJSG_SG_EEES6_PlJS6_EEE10hipError_tPvRmT3_T4_T5_T6_T7_T9_mT8_P12ihipStream_tbDpT10_ENKUlT_T0_E_clISt17integral_constantIbLb1EES18_IbLb0EEEEDaS14_S15_EUlS14_E_NS1_11comp_targetILNS1_3genE5ELNS1_11target_archE942ELNS1_3gpuE9ELNS1_3repE0EEENS1_30default_config_static_selectorELNS0_4arch9wavefront6targetE1EEEvT1_.kd
    .uniform_work_group_size: 1
    .uses_dynamic_stack: false
    .vgpr_count:     54
    .vgpr_spill_count: 0
    .wavefront_size: 64
  - .agpr_count:     0
    .args:
      - .offset:         0
        .size:           128
        .value_kind:     by_value
    .group_segment_fixed_size: 0
    .kernarg_segment_align: 8
    .kernarg_segment_size: 128
    .language:       OpenCL C
    .language_version:
      - 2
      - 0
    .max_flat_workgroup_size: 192
    .name:           _ZN7rocprim17ROCPRIM_400000_NS6detail17trampoline_kernelINS0_14default_configENS1_25partition_config_selectorILNS1_17partition_subalgoE1EyNS0_10empty_typeEbEEZZNS1_14partition_implILS5_1ELb0ES3_jN6thrust23THRUST_200600_302600_NS6detail15normal_iteratorINSA_10device_ptrIyEEEEPS6_NSA_18transform_iteratorI7is_evenIyESF_NSA_11use_defaultESK_EENS0_5tupleIJSF_SF_EEENSM_IJSG_SG_EEES6_PlJS6_EEE10hipError_tPvRmT3_T4_T5_T6_T7_T9_mT8_P12ihipStream_tbDpT10_ENKUlT_T0_E_clISt17integral_constantIbLb1EES18_IbLb0EEEEDaS14_S15_EUlS14_E_NS1_11comp_targetILNS1_3genE4ELNS1_11target_archE910ELNS1_3gpuE8ELNS1_3repE0EEENS1_30default_config_static_selectorELNS0_4arch9wavefront6targetE1EEEvT1_
    .private_segment_fixed_size: 0
    .sgpr_count:     6
    .sgpr_spill_count: 0
    .symbol:         _ZN7rocprim17ROCPRIM_400000_NS6detail17trampoline_kernelINS0_14default_configENS1_25partition_config_selectorILNS1_17partition_subalgoE1EyNS0_10empty_typeEbEEZZNS1_14partition_implILS5_1ELb0ES3_jN6thrust23THRUST_200600_302600_NS6detail15normal_iteratorINSA_10device_ptrIyEEEEPS6_NSA_18transform_iteratorI7is_evenIyESF_NSA_11use_defaultESK_EENS0_5tupleIJSF_SF_EEENSM_IJSG_SG_EEES6_PlJS6_EEE10hipError_tPvRmT3_T4_T5_T6_T7_T9_mT8_P12ihipStream_tbDpT10_ENKUlT_T0_E_clISt17integral_constantIbLb1EES18_IbLb0EEEEDaS14_S15_EUlS14_E_NS1_11comp_targetILNS1_3genE4ELNS1_11target_archE910ELNS1_3gpuE8ELNS1_3repE0EEENS1_30default_config_static_selectorELNS0_4arch9wavefront6targetE1EEEvT1_.kd
    .uniform_work_group_size: 1
    .uses_dynamic_stack: false
    .vgpr_count:     0
    .vgpr_spill_count: 0
    .wavefront_size: 64
  - .agpr_count:     0
    .args:
      - .offset:         0
        .size:           128
        .value_kind:     by_value
    .group_segment_fixed_size: 0
    .kernarg_segment_align: 8
    .kernarg_segment_size: 128
    .language:       OpenCL C
    .language_version:
      - 2
      - 0
    .max_flat_workgroup_size: 128
    .name:           _ZN7rocprim17ROCPRIM_400000_NS6detail17trampoline_kernelINS0_14default_configENS1_25partition_config_selectorILNS1_17partition_subalgoE1EyNS0_10empty_typeEbEEZZNS1_14partition_implILS5_1ELb0ES3_jN6thrust23THRUST_200600_302600_NS6detail15normal_iteratorINSA_10device_ptrIyEEEEPS6_NSA_18transform_iteratorI7is_evenIyESF_NSA_11use_defaultESK_EENS0_5tupleIJSF_SF_EEENSM_IJSG_SG_EEES6_PlJS6_EEE10hipError_tPvRmT3_T4_T5_T6_T7_T9_mT8_P12ihipStream_tbDpT10_ENKUlT_T0_E_clISt17integral_constantIbLb1EES18_IbLb0EEEEDaS14_S15_EUlS14_E_NS1_11comp_targetILNS1_3genE3ELNS1_11target_archE908ELNS1_3gpuE7ELNS1_3repE0EEENS1_30default_config_static_selectorELNS0_4arch9wavefront6targetE1EEEvT1_
    .private_segment_fixed_size: 0
    .sgpr_count:     6
    .sgpr_spill_count: 0
    .symbol:         _ZN7rocprim17ROCPRIM_400000_NS6detail17trampoline_kernelINS0_14default_configENS1_25partition_config_selectorILNS1_17partition_subalgoE1EyNS0_10empty_typeEbEEZZNS1_14partition_implILS5_1ELb0ES3_jN6thrust23THRUST_200600_302600_NS6detail15normal_iteratorINSA_10device_ptrIyEEEEPS6_NSA_18transform_iteratorI7is_evenIyESF_NSA_11use_defaultESK_EENS0_5tupleIJSF_SF_EEENSM_IJSG_SG_EEES6_PlJS6_EEE10hipError_tPvRmT3_T4_T5_T6_T7_T9_mT8_P12ihipStream_tbDpT10_ENKUlT_T0_E_clISt17integral_constantIbLb1EES18_IbLb0EEEEDaS14_S15_EUlS14_E_NS1_11comp_targetILNS1_3genE3ELNS1_11target_archE908ELNS1_3gpuE7ELNS1_3repE0EEENS1_30default_config_static_selectorELNS0_4arch9wavefront6targetE1EEEvT1_.kd
    .uniform_work_group_size: 1
    .uses_dynamic_stack: false
    .vgpr_count:     0
    .vgpr_spill_count: 0
    .wavefront_size: 64
  - .agpr_count:     0
    .args:
      - .offset:         0
        .size:           128
        .value_kind:     by_value
    .group_segment_fixed_size: 0
    .kernarg_segment_align: 8
    .kernarg_segment_size: 128
    .language:       OpenCL C
    .language_version:
      - 2
      - 0
    .max_flat_workgroup_size: 256
    .name:           _ZN7rocprim17ROCPRIM_400000_NS6detail17trampoline_kernelINS0_14default_configENS1_25partition_config_selectorILNS1_17partition_subalgoE1EyNS0_10empty_typeEbEEZZNS1_14partition_implILS5_1ELb0ES3_jN6thrust23THRUST_200600_302600_NS6detail15normal_iteratorINSA_10device_ptrIyEEEEPS6_NSA_18transform_iteratorI7is_evenIyESF_NSA_11use_defaultESK_EENS0_5tupleIJSF_SF_EEENSM_IJSG_SG_EEES6_PlJS6_EEE10hipError_tPvRmT3_T4_T5_T6_T7_T9_mT8_P12ihipStream_tbDpT10_ENKUlT_T0_E_clISt17integral_constantIbLb1EES18_IbLb0EEEEDaS14_S15_EUlS14_E_NS1_11comp_targetILNS1_3genE2ELNS1_11target_archE906ELNS1_3gpuE6ELNS1_3repE0EEENS1_30default_config_static_selectorELNS0_4arch9wavefront6targetE1EEEvT1_
    .private_segment_fixed_size: 0
    .sgpr_count:     6
    .sgpr_spill_count: 0
    .symbol:         _ZN7rocprim17ROCPRIM_400000_NS6detail17trampoline_kernelINS0_14default_configENS1_25partition_config_selectorILNS1_17partition_subalgoE1EyNS0_10empty_typeEbEEZZNS1_14partition_implILS5_1ELb0ES3_jN6thrust23THRUST_200600_302600_NS6detail15normal_iteratorINSA_10device_ptrIyEEEEPS6_NSA_18transform_iteratorI7is_evenIyESF_NSA_11use_defaultESK_EENS0_5tupleIJSF_SF_EEENSM_IJSG_SG_EEES6_PlJS6_EEE10hipError_tPvRmT3_T4_T5_T6_T7_T9_mT8_P12ihipStream_tbDpT10_ENKUlT_T0_E_clISt17integral_constantIbLb1EES18_IbLb0EEEEDaS14_S15_EUlS14_E_NS1_11comp_targetILNS1_3genE2ELNS1_11target_archE906ELNS1_3gpuE6ELNS1_3repE0EEENS1_30default_config_static_selectorELNS0_4arch9wavefront6targetE1EEEvT1_.kd
    .uniform_work_group_size: 1
    .uses_dynamic_stack: false
    .vgpr_count:     0
    .vgpr_spill_count: 0
    .wavefront_size: 64
  - .agpr_count:     0
    .args:
      - .offset:         0
        .size:           128
        .value_kind:     by_value
    .group_segment_fixed_size: 0
    .kernarg_segment_align: 8
    .kernarg_segment_size: 128
    .language:       OpenCL C
    .language_version:
      - 2
      - 0
    .max_flat_workgroup_size: 256
    .name:           _ZN7rocprim17ROCPRIM_400000_NS6detail17trampoline_kernelINS0_14default_configENS1_25partition_config_selectorILNS1_17partition_subalgoE1EyNS0_10empty_typeEbEEZZNS1_14partition_implILS5_1ELb0ES3_jN6thrust23THRUST_200600_302600_NS6detail15normal_iteratorINSA_10device_ptrIyEEEEPS6_NSA_18transform_iteratorI7is_evenIyESF_NSA_11use_defaultESK_EENS0_5tupleIJSF_SF_EEENSM_IJSG_SG_EEES6_PlJS6_EEE10hipError_tPvRmT3_T4_T5_T6_T7_T9_mT8_P12ihipStream_tbDpT10_ENKUlT_T0_E_clISt17integral_constantIbLb1EES18_IbLb0EEEEDaS14_S15_EUlS14_E_NS1_11comp_targetILNS1_3genE10ELNS1_11target_archE1200ELNS1_3gpuE4ELNS1_3repE0EEENS1_30default_config_static_selectorELNS0_4arch9wavefront6targetE1EEEvT1_
    .private_segment_fixed_size: 0
    .sgpr_count:     6
    .sgpr_spill_count: 0
    .symbol:         _ZN7rocprim17ROCPRIM_400000_NS6detail17trampoline_kernelINS0_14default_configENS1_25partition_config_selectorILNS1_17partition_subalgoE1EyNS0_10empty_typeEbEEZZNS1_14partition_implILS5_1ELb0ES3_jN6thrust23THRUST_200600_302600_NS6detail15normal_iteratorINSA_10device_ptrIyEEEEPS6_NSA_18transform_iteratorI7is_evenIyESF_NSA_11use_defaultESK_EENS0_5tupleIJSF_SF_EEENSM_IJSG_SG_EEES6_PlJS6_EEE10hipError_tPvRmT3_T4_T5_T6_T7_T9_mT8_P12ihipStream_tbDpT10_ENKUlT_T0_E_clISt17integral_constantIbLb1EES18_IbLb0EEEEDaS14_S15_EUlS14_E_NS1_11comp_targetILNS1_3genE10ELNS1_11target_archE1200ELNS1_3gpuE4ELNS1_3repE0EEENS1_30default_config_static_selectorELNS0_4arch9wavefront6targetE1EEEvT1_.kd
    .uniform_work_group_size: 1
    .uses_dynamic_stack: false
    .vgpr_count:     0
    .vgpr_spill_count: 0
    .wavefront_size: 64
  - .agpr_count:     0
    .args:
      - .offset:         0
        .size:           128
        .value_kind:     by_value
    .group_segment_fixed_size: 0
    .kernarg_segment_align: 8
    .kernarg_segment_size: 128
    .language:       OpenCL C
    .language_version:
      - 2
      - 0
    .max_flat_workgroup_size: 128
    .name:           _ZN7rocprim17ROCPRIM_400000_NS6detail17trampoline_kernelINS0_14default_configENS1_25partition_config_selectorILNS1_17partition_subalgoE1EyNS0_10empty_typeEbEEZZNS1_14partition_implILS5_1ELb0ES3_jN6thrust23THRUST_200600_302600_NS6detail15normal_iteratorINSA_10device_ptrIyEEEEPS6_NSA_18transform_iteratorI7is_evenIyESF_NSA_11use_defaultESK_EENS0_5tupleIJSF_SF_EEENSM_IJSG_SG_EEES6_PlJS6_EEE10hipError_tPvRmT3_T4_T5_T6_T7_T9_mT8_P12ihipStream_tbDpT10_ENKUlT_T0_E_clISt17integral_constantIbLb1EES18_IbLb0EEEEDaS14_S15_EUlS14_E_NS1_11comp_targetILNS1_3genE9ELNS1_11target_archE1100ELNS1_3gpuE3ELNS1_3repE0EEENS1_30default_config_static_selectorELNS0_4arch9wavefront6targetE1EEEvT1_
    .private_segment_fixed_size: 0
    .sgpr_count:     6
    .sgpr_spill_count: 0
    .symbol:         _ZN7rocprim17ROCPRIM_400000_NS6detail17trampoline_kernelINS0_14default_configENS1_25partition_config_selectorILNS1_17partition_subalgoE1EyNS0_10empty_typeEbEEZZNS1_14partition_implILS5_1ELb0ES3_jN6thrust23THRUST_200600_302600_NS6detail15normal_iteratorINSA_10device_ptrIyEEEEPS6_NSA_18transform_iteratorI7is_evenIyESF_NSA_11use_defaultESK_EENS0_5tupleIJSF_SF_EEENSM_IJSG_SG_EEES6_PlJS6_EEE10hipError_tPvRmT3_T4_T5_T6_T7_T9_mT8_P12ihipStream_tbDpT10_ENKUlT_T0_E_clISt17integral_constantIbLb1EES18_IbLb0EEEEDaS14_S15_EUlS14_E_NS1_11comp_targetILNS1_3genE9ELNS1_11target_archE1100ELNS1_3gpuE3ELNS1_3repE0EEENS1_30default_config_static_selectorELNS0_4arch9wavefront6targetE1EEEvT1_.kd
    .uniform_work_group_size: 1
    .uses_dynamic_stack: false
    .vgpr_count:     0
    .vgpr_spill_count: 0
    .wavefront_size: 64
  - .agpr_count:     0
    .args:
      - .offset:         0
        .size:           128
        .value_kind:     by_value
    .group_segment_fixed_size: 0
    .kernarg_segment_align: 8
    .kernarg_segment_size: 128
    .language:       OpenCL C
    .language_version:
      - 2
      - 0
    .max_flat_workgroup_size: 512
    .name:           _ZN7rocprim17ROCPRIM_400000_NS6detail17trampoline_kernelINS0_14default_configENS1_25partition_config_selectorILNS1_17partition_subalgoE1EyNS0_10empty_typeEbEEZZNS1_14partition_implILS5_1ELb0ES3_jN6thrust23THRUST_200600_302600_NS6detail15normal_iteratorINSA_10device_ptrIyEEEEPS6_NSA_18transform_iteratorI7is_evenIyESF_NSA_11use_defaultESK_EENS0_5tupleIJSF_SF_EEENSM_IJSG_SG_EEES6_PlJS6_EEE10hipError_tPvRmT3_T4_T5_T6_T7_T9_mT8_P12ihipStream_tbDpT10_ENKUlT_T0_E_clISt17integral_constantIbLb1EES18_IbLb0EEEEDaS14_S15_EUlS14_E_NS1_11comp_targetILNS1_3genE8ELNS1_11target_archE1030ELNS1_3gpuE2ELNS1_3repE0EEENS1_30default_config_static_selectorELNS0_4arch9wavefront6targetE1EEEvT1_
    .private_segment_fixed_size: 0
    .sgpr_count:     6
    .sgpr_spill_count: 0
    .symbol:         _ZN7rocprim17ROCPRIM_400000_NS6detail17trampoline_kernelINS0_14default_configENS1_25partition_config_selectorILNS1_17partition_subalgoE1EyNS0_10empty_typeEbEEZZNS1_14partition_implILS5_1ELb0ES3_jN6thrust23THRUST_200600_302600_NS6detail15normal_iteratorINSA_10device_ptrIyEEEEPS6_NSA_18transform_iteratorI7is_evenIyESF_NSA_11use_defaultESK_EENS0_5tupleIJSF_SF_EEENSM_IJSG_SG_EEES6_PlJS6_EEE10hipError_tPvRmT3_T4_T5_T6_T7_T9_mT8_P12ihipStream_tbDpT10_ENKUlT_T0_E_clISt17integral_constantIbLb1EES18_IbLb0EEEEDaS14_S15_EUlS14_E_NS1_11comp_targetILNS1_3genE8ELNS1_11target_archE1030ELNS1_3gpuE2ELNS1_3repE0EEENS1_30default_config_static_selectorELNS0_4arch9wavefront6targetE1EEEvT1_.kd
    .uniform_work_group_size: 1
    .uses_dynamic_stack: false
    .vgpr_count:     0
    .vgpr_spill_count: 0
    .wavefront_size: 64
  - .agpr_count:     0
    .args:
      - .offset:         0
        .size:           144
        .value_kind:     by_value
    .group_segment_fixed_size: 0
    .kernarg_segment_align: 8
    .kernarg_segment_size: 144
    .language:       OpenCL C
    .language_version:
      - 2
      - 0
    .max_flat_workgroup_size: 128
    .name:           _ZN7rocprim17ROCPRIM_400000_NS6detail17trampoline_kernelINS0_14default_configENS1_25partition_config_selectorILNS1_17partition_subalgoE1EyNS0_10empty_typeEbEEZZNS1_14partition_implILS5_1ELb0ES3_jN6thrust23THRUST_200600_302600_NS6detail15normal_iteratorINSA_10device_ptrIyEEEEPS6_NSA_18transform_iteratorI7is_evenIyESF_NSA_11use_defaultESK_EENS0_5tupleIJSF_SF_EEENSM_IJSG_SG_EEES6_PlJS6_EEE10hipError_tPvRmT3_T4_T5_T6_T7_T9_mT8_P12ihipStream_tbDpT10_ENKUlT_T0_E_clISt17integral_constantIbLb0EES18_IbLb1EEEEDaS14_S15_EUlS14_E_NS1_11comp_targetILNS1_3genE0ELNS1_11target_archE4294967295ELNS1_3gpuE0ELNS1_3repE0EEENS1_30default_config_static_selectorELNS0_4arch9wavefront6targetE1EEEvT1_
    .private_segment_fixed_size: 0
    .sgpr_count:     6
    .sgpr_spill_count: 0
    .symbol:         _ZN7rocprim17ROCPRIM_400000_NS6detail17trampoline_kernelINS0_14default_configENS1_25partition_config_selectorILNS1_17partition_subalgoE1EyNS0_10empty_typeEbEEZZNS1_14partition_implILS5_1ELb0ES3_jN6thrust23THRUST_200600_302600_NS6detail15normal_iteratorINSA_10device_ptrIyEEEEPS6_NSA_18transform_iteratorI7is_evenIyESF_NSA_11use_defaultESK_EENS0_5tupleIJSF_SF_EEENSM_IJSG_SG_EEES6_PlJS6_EEE10hipError_tPvRmT3_T4_T5_T6_T7_T9_mT8_P12ihipStream_tbDpT10_ENKUlT_T0_E_clISt17integral_constantIbLb0EES18_IbLb1EEEEDaS14_S15_EUlS14_E_NS1_11comp_targetILNS1_3genE0ELNS1_11target_archE4294967295ELNS1_3gpuE0ELNS1_3repE0EEENS1_30default_config_static_selectorELNS0_4arch9wavefront6targetE1EEEvT1_.kd
    .uniform_work_group_size: 1
    .uses_dynamic_stack: false
    .vgpr_count:     0
    .vgpr_spill_count: 0
    .wavefront_size: 64
  - .agpr_count:     0
    .args:
      - .offset:         0
        .size:           144
        .value_kind:     by_value
    .group_segment_fixed_size: 28680
    .kernarg_segment_align: 8
    .kernarg_segment_size: 144
    .language:       OpenCL C
    .language_version:
      - 2
      - 0
    .max_flat_workgroup_size: 512
    .name:           _ZN7rocprim17ROCPRIM_400000_NS6detail17trampoline_kernelINS0_14default_configENS1_25partition_config_selectorILNS1_17partition_subalgoE1EyNS0_10empty_typeEbEEZZNS1_14partition_implILS5_1ELb0ES3_jN6thrust23THRUST_200600_302600_NS6detail15normal_iteratorINSA_10device_ptrIyEEEEPS6_NSA_18transform_iteratorI7is_evenIyESF_NSA_11use_defaultESK_EENS0_5tupleIJSF_SF_EEENSM_IJSG_SG_EEES6_PlJS6_EEE10hipError_tPvRmT3_T4_T5_T6_T7_T9_mT8_P12ihipStream_tbDpT10_ENKUlT_T0_E_clISt17integral_constantIbLb0EES18_IbLb1EEEEDaS14_S15_EUlS14_E_NS1_11comp_targetILNS1_3genE5ELNS1_11target_archE942ELNS1_3gpuE9ELNS1_3repE0EEENS1_30default_config_static_selectorELNS0_4arch9wavefront6targetE1EEEvT1_
    .private_segment_fixed_size: 0
    .sgpr_count:     50
    .sgpr_spill_count: 0
    .symbol:         _ZN7rocprim17ROCPRIM_400000_NS6detail17trampoline_kernelINS0_14default_configENS1_25partition_config_selectorILNS1_17partition_subalgoE1EyNS0_10empty_typeEbEEZZNS1_14partition_implILS5_1ELb0ES3_jN6thrust23THRUST_200600_302600_NS6detail15normal_iteratorINSA_10device_ptrIyEEEEPS6_NSA_18transform_iteratorI7is_evenIyESF_NSA_11use_defaultESK_EENS0_5tupleIJSF_SF_EEENSM_IJSG_SG_EEES6_PlJS6_EEE10hipError_tPvRmT3_T4_T5_T6_T7_T9_mT8_P12ihipStream_tbDpT10_ENKUlT_T0_E_clISt17integral_constantIbLb0EES18_IbLb1EEEEDaS14_S15_EUlS14_E_NS1_11comp_targetILNS1_3genE5ELNS1_11target_archE942ELNS1_3gpuE9ELNS1_3repE0EEENS1_30default_config_static_selectorELNS0_4arch9wavefront6targetE1EEEvT1_.kd
    .uniform_work_group_size: 1
    .uses_dynamic_stack: false
    .vgpr_count:     58
    .vgpr_spill_count: 0
    .wavefront_size: 64
  - .agpr_count:     0
    .args:
      - .offset:         0
        .size:           144
        .value_kind:     by_value
    .group_segment_fixed_size: 0
    .kernarg_segment_align: 8
    .kernarg_segment_size: 144
    .language:       OpenCL C
    .language_version:
      - 2
      - 0
    .max_flat_workgroup_size: 192
    .name:           _ZN7rocprim17ROCPRIM_400000_NS6detail17trampoline_kernelINS0_14default_configENS1_25partition_config_selectorILNS1_17partition_subalgoE1EyNS0_10empty_typeEbEEZZNS1_14partition_implILS5_1ELb0ES3_jN6thrust23THRUST_200600_302600_NS6detail15normal_iteratorINSA_10device_ptrIyEEEEPS6_NSA_18transform_iteratorI7is_evenIyESF_NSA_11use_defaultESK_EENS0_5tupleIJSF_SF_EEENSM_IJSG_SG_EEES6_PlJS6_EEE10hipError_tPvRmT3_T4_T5_T6_T7_T9_mT8_P12ihipStream_tbDpT10_ENKUlT_T0_E_clISt17integral_constantIbLb0EES18_IbLb1EEEEDaS14_S15_EUlS14_E_NS1_11comp_targetILNS1_3genE4ELNS1_11target_archE910ELNS1_3gpuE8ELNS1_3repE0EEENS1_30default_config_static_selectorELNS0_4arch9wavefront6targetE1EEEvT1_
    .private_segment_fixed_size: 0
    .sgpr_count:     6
    .sgpr_spill_count: 0
    .symbol:         _ZN7rocprim17ROCPRIM_400000_NS6detail17trampoline_kernelINS0_14default_configENS1_25partition_config_selectorILNS1_17partition_subalgoE1EyNS0_10empty_typeEbEEZZNS1_14partition_implILS5_1ELb0ES3_jN6thrust23THRUST_200600_302600_NS6detail15normal_iteratorINSA_10device_ptrIyEEEEPS6_NSA_18transform_iteratorI7is_evenIyESF_NSA_11use_defaultESK_EENS0_5tupleIJSF_SF_EEENSM_IJSG_SG_EEES6_PlJS6_EEE10hipError_tPvRmT3_T4_T5_T6_T7_T9_mT8_P12ihipStream_tbDpT10_ENKUlT_T0_E_clISt17integral_constantIbLb0EES18_IbLb1EEEEDaS14_S15_EUlS14_E_NS1_11comp_targetILNS1_3genE4ELNS1_11target_archE910ELNS1_3gpuE8ELNS1_3repE0EEENS1_30default_config_static_selectorELNS0_4arch9wavefront6targetE1EEEvT1_.kd
    .uniform_work_group_size: 1
    .uses_dynamic_stack: false
    .vgpr_count:     0
    .vgpr_spill_count: 0
    .wavefront_size: 64
  - .agpr_count:     0
    .args:
      - .offset:         0
        .size:           144
        .value_kind:     by_value
    .group_segment_fixed_size: 0
    .kernarg_segment_align: 8
    .kernarg_segment_size: 144
    .language:       OpenCL C
    .language_version:
      - 2
      - 0
    .max_flat_workgroup_size: 128
    .name:           _ZN7rocprim17ROCPRIM_400000_NS6detail17trampoline_kernelINS0_14default_configENS1_25partition_config_selectorILNS1_17partition_subalgoE1EyNS0_10empty_typeEbEEZZNS1_14partition_implILS5_1ELb0ES3_jN6thrust23THRUST_200600_302600_NS6detail15normal_iteratorINSA_10device_ptrIyEEEEPS6_NSA_18transform_iteratorI7is_evenIyESF_NSA_11use_defaultESK_EENS0_5tupleIJSF_SF_EEENSM_IJSG_SG_EEES6_PlJS6_EEE10hipError_tPvRmT3_T4_T5_T6_T7_T9_mT8_P12ihipStream_tbDpT10_ENKUlT_T0_E_clISt17integral_constantIbLb0EES18_IbLb1EEEEDaS14_S15_EUlS14_E_NS1_11comp_targetILNS1_3genE3ELNS1_11target_archE908ELNS1_3gpuE7ELNS1_3repE0EEENS1_30default_config_static_selectorELNS0_4arch9wavefront6targetE1EEEvT1_
    .private_segment_fixed_size: 0
    .sgpr_count:     6
    .sgpr_spill_count: 0
    .symbol:         _ZN7rocprim17ROCPRIM_400000_NS6detail17trampoline_kernelINS0_14default_configENS1_25partition_config_selectorILNS1_17partition_subalgoE1EyNS0_10empty_typeEbEEZZNS1_14partition_implILS5_1ELb0ES3_jN6thrust23THRUST_200600_302600_NS6detail15normal_iteratorINSA_10device_ptrIyEEEEPS6_NSA_18transform_iteratorI7is_evenIyESF_NSA_11use_defaultESK_EENS0_5tupleIJSF_SF_EEENSM_IJSG_SG_EEES6_PlJS6_EEE10hipError_tPvRmT3_T4_T5_T6_T7_T9_mT8_P12ihipStream_tbDpT10_ENKUlT_T0_E_clISt17integral_constantIbLb0EES18_IbLb1EEEEDaS14_S15_EUlS14_E_NS1_11comp_targetILNS1_3genE3ELNS1_11target_archE908ELNS1_3gpuE7ELNS1_3repE0EEENS1_30default_config_static_selectorELNS0_4arch9wavefront6targetE1EEEvT1_.kd
    .uniform_work_group_size: 1
    .uses_dynamic_stack: false
    .vgpr_count:     0
    .vgpr_spill_count: 0
    .wavefront_size: 64
  - .agpr_count:     0
    .args:
      - .offset:         0
        .size:           144
        .value_kind:     by_value
    .group_segment_fixed_size: 0
    .kernarg_segment_align: 8
    .kernarg_segment_size: 144
    .language:       OpenCL C
    .language_version:
      - 2
      - 0
    .max_flat_workgroup_size: 256
    .name:           _ZN7rocprim17ROCPRIM_400000_NS6detail17trampoline_kernelINS0_14default_configENS1_25partition_config_selectorILNS1_17partition_subalgoE1EyNS0_10empty_typeEbEEZZNS1_14partition_implILS5_1ELb0ES3_jN6thrust23THRUST_200600_302600_NS6detail15normal_iteratorINSA_10device_ptrIyEEEEPS6_NSA_18transform_iteratorI7is_evenIyESF_NSA_11use_defaultESK_EENS0_5tupleIJSF_SF_EEENSM_IJSG_SG_EEES6_PlJS6_EEE10hipError_tPvRmT3_T4_T5_T6_T7_T9_mT8_P12ihipStream_tbDpT10_ENKUlT_T0_E_clISt17integral_constantIbLb0EES18_IbLb1EEEEDaS14_S15_EUlS14_E_NS1_11comp_targetILNS1_3genE2ELNS1_11target_archE906ELNS1_3gpuE6ELNS1_3repE0EEENS1_30default_config_static_selectorELNS0_4arch9wavefront6targetE1EEEvT1_
    .private_segment_fixed_size: 0
    .sgpr_count:     6
    .sgpr_spill_count: 0
    .symbol:         _ZN7rocprim17ROCPRIM_400000_NS6detail17trampoline_kernelINS0_14default_configENS1_25partition_config_selectorILNS1_17partition_subalgoE1EyNS0_10empty_typeEbEEZZNS1_14partition_implILS5_1ELb0ES3_jN6thrust23THRUST_200600_302600_NS6detail15normal_iteratorINSA_10device_ptrIyEEEEPS6_NSA_18transform_iteratorI7is_evenIyESF_NSA_11use_defaultESK_EENS0_5tupleIJSF_SF_EEENSM_IJSG_SG_EEES6_PlJS6_EEE10hipError_tPvRmT3_T4_T5_T6_T7_T9_mT8_P12ihipStream_tbDpT10_ENKUlT_T0_E_clISt17integral_constantIbLb0EES18_IbLb1EEEEDaS14_S15_EUlS14_E_NS1_11comp_targetILNS1_3genE2ELNS1_11target_archE906ELNS1_3gpuE6ELNS1_3repE0EEENS1_30default_config_static_selectorELNS0_4arch9wavefront6targetE1EEEvT1_.kd
    .uniform_work_group_size: 1
    .uses_dynamic_stack: false
    .vgpr_count:     0
    .vgpr_spill_count: 0
    .wavefront_size: 64
  - .agpr_count:     0
    .args:
      - .offset:         0
        .size:           144
        .value_kind:     by_value
    .group_segment_fixed_size: 0
    .kernarg_segment_align: 8
    .kernarg_segment_size: 144
    .language:       OpenCL C
    .language_version:
      - 2
      - 0
    .max_flat_workgroup_size: 256
    .name:           _ZN7rocprim17ROCPRIM_400000_NS6detail17trampoline_kernelINS0_14default_configENS1_25partition_config_selectorILNS1_17partition_subalgoE1EyNS0_10empty_typeEbEEZZNS1_14partition_implILS5_1ELb0ES3_jN6thrust23THRUST_200600_302600_NS6detail15normal_iteratorINSA_10device_ptrIyEEEEPS6_NSA_18transform_iteratorI7is_evenIyESF_NSA_11use_defaultESK_EENS0_5tupleIJSF_SF_EEENSM_IJSG_SG_EEES6_PlJS6_EEE10hipError_tPvRmT3_T4_T5_T6_T7_T9_mT8_P12ihipStream_tbDpT10_ENKUlT_T0_E_clISt17integral_constantIbLb0EES18_IbLb1EEEEDaS14_S15_EUlS14_E_NS1_11comp_targetILNS1_3genE10ELNS1_11target_archE1200ELNS1_3gpuE4ELNS1_3repE0EEENS1_30default_config_static_selectorELNS0_4arch9wavefront6targetE1EEEvT1_
    .private_segment_fixed_size: 0
    .sgpr_count:     6
    .sgpr_spill_count: 0
    .symbol:         _ZN7rocprim17ROCPRIM_400000_NS6detail17trampoline_kernelINS0_14default_configENS1_25partition_config_selectorILNS1_17partition_subalgoE1EyNS0_10empty_typeEbEEZZNS1_14partition_implILS5_1ELb0ES3_jN6thrust23THRUST_200600_302600_NS6detail15normal_iteratorINSA_10device_ptrIyEEEEPS6_NSA_18transform_iteratorI7is_evenIyESF_NSA_11use_defaultESK_EENS0_5tupleIJSF_SF_EEENSM_IJSG_SG_EEES6_PlJS6_EEE10hipError_tPvRmT3_T4_T5_T6_T7_T9_mT8_P12ihipStream_tbDpT10_ENKUlT_T0_E_clISt17integral_constantIbLb0EES18_IbLb1EEEEDaS14_S15_EUlS14_E_NS1_11comp_targetILNS1_3genE10ELNS1_11target_archE1200ELNS1_3gpuE4ELNS1_3repE0EEENS1_30default_config_static_selectorELNS0_4arch9wavefront6targetE1EEEvT1_.kd
    .uniform_work_group_size: 1
    .uses_dynamic_stack: false
    .vgpr_count:     0
    .vgpr_spill_count: 0
    .wavefront_size: 64
  - .agpr_count:     0
    .args:
      - .offset:         0
        .size:           144
        .value_kind:     by_value
    .group_segment_fixed_size: 0
    .kernarg_segment_align: 8
    .kernarg_segment_size: 144
    .language:       OpenCL C
    .language_version:
      - 2
      - 0
    .max_flat_workgroup_size: 128
    .name:           _ZN7rocprim17ROCPRIM_400000_NS6detail17trampoline_kernelINS0_14default_configENS1_25partition_config_selectorILNS1_17partition_subalgoE1EyNS0_10empty_typeEbEEZZNS1_14partition_implILS5_1ELb0ES3_jN6thrust23THRUST_200600_302600_NS6detail15normal_iteratorINSA_10device_ptrIyEEEEPS6_NSA_18transform_iteratorI7is_evenIyESF_NSA_11use_defaultESK_EENS0_5tupleIJSF_SF_EEENSM_IJSG_SG_EEES6_PlJS6_EEE10hipError_tPvRmT3_T4_T5_T6_T7_T9_mT8_P12ihipStream_tbDpT10_ENKUlT_T0_E_clISt17integral_constantIbLb0EES18_IbLb1EEEEDaS14_S15_EUlS14_E_NS1_11comp_targetILNS1_3genE9ELNS1_11target_archE1100ELNS1_3gpuE3ELNS1_3repE0EEENS1_30default_config_static_selectorELNS0_4arch9wavefront6targetE1EEEvT1_
    .private_segment_fixed_size: 0
    .sgpr_count:     6
    .sgpr_spill_count: 0
    .symbol:         _ZN7rocprim17ROCPRIM_400000_NS6detail17trampoline_kernelINS0_14default_configENS1_25partition_config_selectorILNS1_17partition_subalgoE1EyNS0_10empty_typeEbEEZZNS1_14partition_implILS5_1ELb0ES3_jN6thrust23THRUST_200600_302600_NS6detail15normal_iteratorINSA_10device_ptrIyEEEEPS6_NSA_18transform_iteratorI7is_evenIyESF_NSA_11use_defaultESK_EENS0_5tupleIJSF_SF_EEENSM_IJSG_SG_EEES6_PlJS6_EEE10hipError_tPvRmT3_T4_T5_T6_T7_T9_mT8_P12ihipStream_tbDpT10_ENKUlT_T0_E_clISt17integral_constantIbLb0EES18_IbLb1EEEEDaS14_S15_EUlS14_E_NS1_11comp_targetILNS1_3genE9ELNS1_11target_archE1100ELNS1_3gpuE3ELNS1_3repE0EEENS1_30default_config_static_selectorELNS0_4arch9wavefront6targetE1EEEvT1_.kd
    .uniform_work_group_size: 1
    .uses_dynamic_stack: false
    .vgpr_count:     0
    .vgpr_spill_count: 0
    .wavefront_size: 64
  - .agpr_count:     0
    .args:
      - .offset:         0
        .size:           144
        .value_kind:     by_value
    .group_segment_fixed_size: 0
    .kernarg_segment_align: 8
    .kernarg_segment_size: 144
    .language:       OpenCL C
    .language_version:
      - 2
      - 0
    .max_flat_workgroup_size: 512
    .name:           _ZN7rocprim17ROCPRIM_400000_NS6detail17trampoline_kernelINS0_14default_configENS1_25partition_config_selectorILNS1_17partition_subalgoE1EyNS0_10empty_typeEbEEZZNS1_14partition_implILS5_1ELb0ES3_jN6thrust23THRUST_200600_302600_NS6detail15normal_iteratorINSA_10device_ptrIyEEEEPS6_NSA_18transform_iteratorI7is_evenIyESF_NSA_11use_defaultESK_EENS0_5tupleIJSF_SF_EEENSM_IJSG_SG_EEES6_PlJS6_EEE10hipError_tPvRmT3_T4_T5_T6_T7_T9_mT8_P12ihipStream_tbDpT10_ENKUlT_T0_E_clISt17integral_constantIbLb0EES18_IbLb1EEEEDaS14_S15_EUlS14_E_NS1_11comp_targetILNS1_3genE8ELNS1_11target_archE1030ELNS1_3gpuE2ELNS1_3repE0EEENS1_30default_config_static_selectorELNS0_4arch9wavefront6targetE1EEEvT1_
    .private_segment_fixed_size: 0
    .sgpr_count:     6
    .sgpr_spill_count: 0
    .symbol:         _ZN7rocprim17ROCPRIM_400000_NS6detail17trampoline_kernelINS0_14default_configENS1_25partition_config_selectorILNS1_17partition_subalgoE1EyNS0_10empty_typeEbEEZZNS1_14partition_implILS5_1ELb0ES3_jN6thrust23THRUST_200600_302600_NS6detail15normal_iteratorINSA_10device_ptrIyEEEEPS6_NSA_18transform_iteratorI7is_evenIyESF_NSA_11use_defaultESK_EENS0_5tupleIJSF_SF_EEENSM_IJSG_SG_EEES6_PlJS6_EEE10hipError_tPvRmT3_T4_T5_T6_T7_T9_mT8_P12ihipStream_tbDpT10_ENKUlT_T0_E_clISt17integral_constantIbLb0EES18_IbLb1EEEEDaS14_S15_EUlS14_E_NS1_11comp_targetILNS1_3genE8ELNS1_11target_archE1030ELNS1_3gpuE2ELNS1_3repE0EEENS1_30default_config_static_selectorELNS0_4arch9wavefront6targetE1EEEvT1_.kd
    .uniform_work_group_size: 1
    .uses_dynamic_stack: false
    .vgpr_count:     0
    .vgpr_spill_count: 0
    .wavefront_size: 64
  - .agpr_count:     0
    .args:
      - .offset:         0
        .size:           128
        .value_kind:     by_value
    .group_segment_fixed_size: 0
    .kernarg_segment_align: 8
    .kernarg_segment_size: 128
    .language:       OpenCL C
    .language_version:
      - 2
      - 0
    .max_flat_workgroup_size: 256
    .name:           _ZN7rocprim17ROCPRIM_400000_NS6detail17trampoline_kernelINS0_14default_configENS1_25partition_config_selectorILNS1_17partition_subalgoE1EjNS0_10empty_typeEbEEZZNS1_14partition_implILS5_1ELb0ES3_jN6thrust23THRUST_200600_302600_NS6detail15normal_iteratorINSA_10device_ptrIjEEEEPS6_NSA_18transform_iteratorI7is_evenIjESF_NSA_11use_defaultESK_EENS0_5tupleIJSF_SF_EEENSM_IJSG_SG_EEES6_PlJS6_EEE10hipError_tPvRmT3_T4_T5_T6_T7_T9_mT8_P12ihipStream_tbDpT10_ENKUlT_T0_E_clISt17integral_constantIbLb0EES19_EEDaS14_S15_EUlS14_E_NS1_11comp_targetILNS1_3genE0ELNS1_11target_archE4294967295ELNS1_3gpuE0ELNS1_3repE0EEENS1_30default_config_static_selectorELNS0_4arch9wavefront6targetE1EEEvT1_
    .private_segment_fixed_size: 0
    .sgpr_count:     6
    .sgpr_spill_count: 0
    .symbol:         _ZN7rocprim17ROCPRIM_400000_NS6detail17trampoline_kernelINS0_14default_configENS1_25partition_config_selectorILNS1_17partition_subalgoE1EjNS0_10empty_typeEbEEZZNS1_14partition_implILS5_1ELb0ES3_jN6thrust23THRUST_200600_302600_NS6detail15normal_iteratorINSA_10device_ptrIjEEEEPS6_NSA_18transform_iteratorI7is_evenIjESF_NSA_11use_defaultESK_EENS0_5tupleIJSF_SF_EEENSM_IJSG_SG_EEES6_PlJS6_EEE10hipError_tPvRmT3_T4_T5_T6_T7_T9_mT8_P12ihipStream_tbDpT10_ENKUlT_T0_E_clISt17integral_constantIbLb0EES19_EEDaS14_S15_EUlS14_E_NS1_11comp_targetILNS1_3genE0ELNS1_11target_archE4294967295ELNS1_3gpuE0ELNS1_3repE0EEENS1_30default_config_static_selectorELNS0_4arch9wavefront6targetE1EEEvT1_.kd
    .uniform_work_group_size: 1
    .uses_dynamic_stack: false
    .vgpr_count:     0
    .vgpr_spill_count: 0
    .wavefront_size: 64
  - .agpr_count:     0
    .args:
      - .offset:         0
        .size:           128
        .value_kind:     by_value
    .group_segment_fixed_size: 30728
    .kernarg_segment_align: 8
    .kernarg_segment_size: 128
    .language:       OpenCL C
    .language_version:
      - 2
      - 0
    .max_flat_workgroup_size: 512
    .name:           _ZN7rocprim17ROCPRIM_400000_NS6detail17trampoline_kernelINS0_14default_configENS1_25partition_config_selectorILNS1_17partition_subalgoE1EjNS0_10empty_typeEbEEZZNS1_14partition_implILS5_1ELb0ES3_jN6thrust23THRUST_200600_302600_NS6detail15normal_iteratorINSA_10device_ptrIjEEEEPS6_NSA_18transform_iteratorI7is_evenIjESF_NSA_11use_defaultESK_EENS0_5tupleIJSF_SF_EEENSM_IJSG_SG_EEES6_PlJS6_EEE10hipError_tPvRmT3_T4_T5_T6_T7_T9_mT8_P12ihipStream_tbDpT10_ENKUlT_T0_E_clISt17integral_constantIbLb0EES19_EEDaS14_S15_EUlS14_E_NS1_11comp_targetILNS1_3genE5ELNS1_11target_archE942ELNS1_3gpuE9ELNS1_3repE0EEENS1_30default_config_static_selectorELNS0_4arch9wavefront6targetE1EEEvT1_
    .private_segment_fixed_size: 0
    .sgpr_count:     50
    .sgpr_spill_count: 0
    .symbol:         _ZN7rocprim17ROCPRIM_400000_NS6detail17trampoline_kernelINS0_14default_configENS1_25partition_config_selectorILNS1_17partition_subalgoE1EjNS0_10empty_typeEbEEZZNS1_14partition_implILS5_1ELb0ES3_jN6thrust23THRUST_200600_302600_NS6detail15normal_iteratorINSA_10device_ptrIjEEEEPS6_NSA_18transform_iteratorI7is_evenIjESF_NSA_11use_defaultESK_EENS0_5tupleIJSF_SF_EEENSM_IJSG_SG_EEES6_PlJS6_EEE10hipError_tPvRmT3_T4_T5_T6_T7_T9_mT8_P12ihipStream_tbDpT10_ENKUlT_T0_E_clISt17integral_constantIbLb0EES19_EEDaS14_S15_EUlS14_E_NS1_11comp_targetILNS1_3genE5ELNS1_11target_archE942ELNS1_3gpuE9ELNS1_3repE0EEENS1_30default_config_static_selectorELNS0_4arch9wavefront6targetE1EEEvT1_.kd
    .uniform_work_group_size: 1
    .uses_dynamic_stack: false
    .vgpr_count:     65
    .vgpr_spill_count: 0
    .wavefront_size: 64
  - .agpr_count:     0
    .args:
      - .offset:         0
        .size:           128
        .value_kind:     by_value
    .group_segment_fixed_size: 0
    .kernarg_segment_align: 8
    .kernarg_segment_size: 128
    .language:       OpenCL C
    .language_version:
      - 2
      - 0
    .max_flat_workgroup_size: 256
    .name:           _ZN7rocprim17ROCPRIM_400000_NS6detail17trampoline_kernelINS0_14default_configENS1_25partition_config_selectorILNS1_17partition_subalgoE1EjNS0_10empty_typeEbEEZZNS1_14partition_implILS5_1ELb0ES3_jN6thrust23THRUST_200600_302600_NS6detail15normal_iteratorINSA_10device_ptrIjEEEEPS6_NSA_18transform_iteratorI7is_evenIjESF_NSA_11use_defaultESK_EENS0_5tupleIJSF_SF_EEENSM_IJSG_SG_EEES6_PlJS6_EEE10hipError_tPvRmT3_T4_T5_T6_T7_T9_mT8_P12ihipStream_tbDpT10_ENKUlT_T0_E_clISt17integral_constantIbLb0EES19_EEDaS14_S15_EUlS14_E_NS1_11comp_targetILNS1_3genE4ELNS1_11target_archE910ELNS1_3gpuE8ELNS1_3repE0EEENS1_30default_config_static_selectorELNS0_4arch9wavefront6targetE1EEEvT1_
    .private_segment_fixed_size: 0
    .sgpr_count:     6
    .sgpr_spill_count: 0
    .symbol:         _ZN7rocprim17ROCPRIM_400000_NS6detail17trampoline_kernelINS0_14default_configENS1_25partition_config_selectorILNS1_17partition_subalgoE1EjNS0_10empty_typeEbEEZZNS1_14partition_implILS5_1ELb0ES3_jN6thrust23THRUST_200600_302600_NS6detail15normal_iteratorINSA_10device_ptrIjEEEEPS6_NSA_18transform_iteratorI7is_evenIjESF_NSA_11use_defaultESK_EENS0_5tupleIJSF_SF_EEENSM_IJSG_SG_EEES6_PlJS6_EEE10hipError_tPvRmT3_T4_T5_T6_T7_T9_mT8_P12ihipStream_tbDpT10_ENKUlT_T0_E_clISt17integral_constantIbLb0EES19_EEDaS14_S15_EUlS14_E_NS1_11comp_targetILNS1_3genE4ELNS1_11target_archE910ELNS1_3gpuE8ELNS1_3repE0EEENS1_30default_config_static_selectorELNS0_4arch9wavefront6targetE1EEEvT1_.kd
    .uniform_work_group_size: 1
    .uses_dynamic_stack: false
    .vgpr_count:     0
    .vgpr_spill_count: 0
    .wavefront_size: 64
  - .agpr_count:     0
    .args:
      - .offset:         0
        .size:           128
        .value_kind:     by_value
    .group_segment_fixed_size: 0
    .kernarg_segment_align: 8
    .kernarg_segment_size: 128
    .language:       OpenCL C
    .language_version:
      - 2
      - 0
    .max_flat_workgroup_size: 256
    .name:           _ZN7rocprim17ROCPRIM_400000_NS6detail17trampoline_kernelINS0_14default_configENS1_25partition_config_selectorILNS1_17partition_subalgoE1EjNS0_10empty_typeEbEEZZNS1_14partition_implILS5_1ELb0ES3_jN6thrust23THRUST_200600_302600_NS6detail15normal_iteratorINSA_10device_ptrIjEEEEPS6_NSA_18transform_iteratorI7is_evenIjESF_NSA_11use_defaultESK_EENS0_5tupleIJSF_SF_EEENSM_IJSG_SG_EEES6_PlJS6_EEE10hipError_tPvRmT3_T4_T5_T6_T7_T9_mT8_P12ihipStream_tbDpT10_ENKUlT_T0_E_clISt17integral_constantIbLb0EES19_EEDaS14_S15_EUlS14_E_NS1_11comp_targetILNS1_3genE3ELNS1_11target_archE908ELNS1_3gpuE7ELNS1_3repE0EEENS1_30default_config_static_selectorELNS0_4arch9wavefront6targetE1EEEvT1_
    .private_segment_fixed_size: 0
    .sgpr_count:     6
    .sgpr_spill_count: 0
    .symbol:         _ZN7rocprim17ROCPRIM_400000_NS6detail17trampoline_kernelINS0_14default_configENS1_25partition_config_selectorILNS1_17partition_subalgoE1EjNS0_10empty_typeEbEEZZNS1_14partition_implILS5_1ELb0ES3_jN6thrust23THRUST_200600_302600_NS6detail15normal_iteratorINSA_10device_ptrIjEEEEPS6_NSA_18transform_iteratorI7is_evenIjESF_NSA_11use_defaultESK_EENS0_5tupleIJSF_SF_EEENSM_IJSG_SG_EEES6_PlJS6_EEE10hipError_tPvRmT3_T4_T5_T6_T7_T9_mT8_P12ihipStream_tbDpT10_ENKUlT_T0_E_clISt17integral_constantIbLb0EES19_EEDaS14_S15_EUlS14_E_NS1_11comp_targetILNS1_3genE3ELNS1_11target_archE908ELNS1_3gpuE7ELNS1_3repE0EEENS1_30default_config_static_selectorELNS0_4arch9wavefront6targetE1EEEvT1_.kd
    .uniform_work_group_size: 1
    .uses_dynamic_stack: false
    .vgpr_count:     0
    .vgpr_spill_count: 0
    .wavefront_size: 64
  - .agpr_count:     0
    .args:
      - .offset:         0
        .size:           128
        .value_kind:     by_value
    .group_segment_fixed_size: 0
    .kernarg_segment_align: 8
    .kernarg_segment_size: 128
    .language:       OpenCL C
    .language_version:
      - 2
      - 0
    .max_flat_workgroup_size: 256
    .name:           _ZN7rocprim17ROCPRIM_400000_NS6detail17trampoline_kernelINS0_14default_configENS1_25partition_config_selectorILNS1_17partition_subalgoE1EjNS0_10empty_typeEbEEZZNS1_14partition_implILS5_1ELb0ES3_jN6thrust23THRUST_200600_302600_NS6detail15normal_iteratorINSA_10device_ptrIjEEEEPS6_NSA_18transform_iteratorI7is_evenIjESF_NSA_11use_defaultESK_EENS0_5tupleIJSF_SF_EEENSM_IJSG_SG_EEES6_PlJS6_EEE10hipError_tPvRmT3_T4_T5_T6_T7_T9_mT8_P12ihipStream_tbDpT10_ENKUlT_T0_E_clISt17integral_constantIbLb0EES19_EEDaS14_S15_EUlS14_E_NS1_11comp_targetILNS1_3genE2ELNS1_11target_archE906ELNS1_3gpuE6ELNS1_3repE0EEENS1_30default_config_static_selectorELNS0_4arch9wavefront6targetE1EEEvT1_
    .private_segment_fixed_size: 0
    .sgpr_count:     6
    .sgpr_spill_count: 0
    .symbol:         _ZN7rocprim17ROCPRIM_400000_NS6detail17trampoline_kernelINS0_14default_configENS1_25partition_config_selectorILNS1_17partition_subalgoE1EjNS0_10empty_typeEbEEZZNS1_14partition_implILS5_1ELb0ES3_jN6thrust23THRUST_200600_302600_NS6detail15normal_iteratorINSA_10device_ptrIjEEEEPS6_NSA_18transform_iteratorI7is_evenIjESF_NSA_11use_defaultESK_EENS0_5tupleIJSF_SF_EEENSM_IJSG_SG_EEES6_PlJS6_EEE10hipError_tPvRmT3_T4_T5_T6_T7_T9_mT8_P12ihipStream_tbDpT10_ENKUlT_T0_E_clISt17integral_constantIbLb0EES19_EEDaS14_S15_EUlS14_E_NS1_11comp_targetILNS1_3genE2ELNS1_11target_archE906ELNS1_3gpuE6ELNS1_3repE0EEENS1_30default_config_static_selectorELNS0_4arch9wavefront6targetE1EEEvT1_.kd
    .uniform_work_group_size: 1
    .uses_dynamic_stack: false
    .vgpr_count:     0
    .vgpr_spill_count: 0
    .wavefront_size: 64
  - .agpr_count:     0
    .args:
      - .offset:         0
        .size:           128
        .value_kind:     by_value
    .group_segment_fixed_size: 0
    .kernarg_segment_align: 8
    .kernarg_segment_size: 128
    .language:       OpenCL C
    .language_version:
      - 2
      - 0
    .max_flat_workgroup_size: 256
    .name:           _ZN7rocprim17ROCPRIM_400000_NS6detail17trampoline_kernelINS0_14default_configENS1_25partition_config_selectorILNS1_17partition_subalgoE1EjNS0_10empty_typeEbEEZZNS1_14partition_implILS5_1ELb0ES3_jN6thrust23THRUST_200600_302600_NS6detail15normal_iteratorINSA_10device_ptrIjEEEEPS6_NSA_18transform_iteratorI7is_evenIjESF_NSA_11use_defaultESK_EENS0_5tupleIJSF_SF_EEENSM_IJSG_SG_EEES6_PlJS6_EEE10hipError_tPvRmT3_T4_T5_T6_T7_T9_mT8_P12ihipStream_tbDpT10_ENKUlT_T0_E_clISt17integral_constantIbLb0EES19_EEDaS14_S15_EUlS14_E_NS1_11comp_targetILNS1_3genE10ELNS1_11target_archE1200ELNS1_3gpuE4ELNS1_3repE0EEENS1_30default_config_static_selectorELNS0_4arch9wavefront6targetE1EEEvT1_
    .private_segment_fixed_size: 0
    .sgpr_count:     6
    .sgpr_spill_count: 0
    .symbol:         _ZN7rocprim17ROCPRIM_400000_NS6detail17trampoline_kernelINS0_14default_configENS1_25partition_config_selectorILNS1_17partition_subalgoE1EjNS0_10empty_typeEbEEZZNS1_14partition_implILS5_1ELb0ES3_jN6thrust23THRUST_200600_302600_NS6detail15normal_iteratorINSA_10device_ptrIjEEEEPS6_NSA_18transform_iteratorI7is_evenIjESF_NSA_11use_defaultESK_EENS0_5tupleIJSF_SF_EEENSM_IJSG_SG_EEES6_PlJS6_EEE10hipError_tPvRmT3_T4_T5_T6_T7_T9_mT8_P12ihipStream_tbDpT10_ENKUlT_T0_E_clISt17integral_constantIbLb0EES19_EEDaS14_S15_EUlS14_E_NS1_11comp_targetILNS1_3genE10ELNS1_11target_archE1200ELNS1_3gpuE4ELNS1_3repE0EEENS1_30default_config_static_selectorELNS0_4arch9wavefront6targetE1EEEvT1_.kd
    .uniform_work_group_size: 1
    .uses_dynamic_stack: false
    .vgpr_count:     0
    .vgpr_spill_count: 0
    .wavefront_size: 64
  - .agpr_count:     0
    .args:
      - .offset:         0
        .size:           128
        .value_kind:     by_value
    .group_segment_fixed_size: 0
    .kernarg_segment_align: 8
    .kernarg_segment_size: 128
    .language:       OpenCL C
    .language_version:
      - 2
      - 0
    .max_flat_workgroup_size: 128
    .name:           _ZN7rocprim17ROCPRIM_400000_NS6detail17trampoline_kernelINS0_14default_configENS1_25partition_config_selectorILNS1_17partition_subalgoE1EjNS0_10empty_typeEbEEZZNS1_14partition_implILS5_1ELb0ES3_jN6thrust23THRUST_200600_302600_NS6detail15normal_iteratorINSA_10device_ptrIjEEEEPS6_NSA_18transform_iteratorI7is_evenIjESF_NSA_11use_defaultESK_EENS0_5tupleIJSF_SF_EEENSM_IJSG_SG_EEES6_PlJS6_EEE10hipError_tPvRmT3_T4_T5_T6_T7_T9_mT8_P12ihipStream_tbDpT10_ENKUlT_T0_E_clISt17integral_constantIbLb0EES19_EEDaS14_S15_EUlS14_E_NS1_11comp_targetILNS1_3genE9ELNS1_11target_archE1100ELNS1_3gpuE3ELNS1_3repE0EEENS1_30default_config_static_selectorELNS0_4arch9wavefront6targetE1EEEvT1_
    .private_segment_fixed_size: 0
    .sgpr_count:     6
    .sgpr_spill_count: 0
    .symbol:         _ZN7rocprim17ROCPRIM_400000_NS6detail17trampoline_kernelINS0_14default_configENS1_25partition_config_selectorILNS1_17partition_subalgoE1EjNS0_10empty_typeEbEEZZNS1_14partition_implILS5_1ELb0ES3_jN6thrust23THRUST_200600_302600_NS6detail15normal_iteratorINSA_10device_ptrIjEEEEPS6_NSA_18transform_iteratorI7is_evenIjESF_NSA_11use_defaultESK_EENS0_5tupleIJSF_SF_EEENSM_IJSG_SG_EEES6_PlJS6_EEE10hipError_tPvRmT3_T4_T5_T6_T7_T9_mT8_P12ihipStream_tbDpT10_ENKUlT_T0_E_clISt17integral_constantIbLb0EES19_EEDaS14_S15_EUlS14_E_NS1_11comp_targetILNS1_3genE9ELNS1_11target_archE1100ELNS1_3gpuE3ELNS1_3repE0EEENS1_30default_config_static_selectorELNS0_4arch9wavefront6targetE1EEEvT1_.kd
    .uniform_work_group_size: 1
    .uses_dynamic_stack: false
    .vgpr_count:     0
    .vgpr_spill_count: 0
    .wavefront_size: 64
  - .agpr_count:     0
    .args:
      - .offset:         0
        .size:           128
        .value_kind:     by_value
    .group_segment_fixed_size: 0
    .kernarg_segment_align: 8
    .kernarg_segment_size: 128
    .language:       OpenCL C
    .language_version:
      - 2
      - 0
    .max_flat_workgroup_size: 512
    .name:           _ZN7rocprim17ROCPRIM_400000_NS6detail17trampoline_kernelINS0_14default_configENS1_25partition_config_selectorILNS1_17partition_subalgoE1EjNS0_10empty_typeEbEEZZNS1_14partition_implILS5_1ELb0ES3_jN6thrust23THRUST_200600_302600_NS6detail15normal_iteratorINSA_10device_ptrIjEEEEPS6_NSA_18transform_iteratorI7is_evenIjESF_NSA_11use_defaultESK_EENS0_5tupleIJSF_SF_EEENSM_IJSG_SG_EEES6_PlJS6_EEE10hipError_tPvRmT3_T4_T5_T6_T7_T9_mT8_P12ihipStream_tbDpT10_ENKUlT_T0_E_clISt17integral_constantIbLb0EES19_EEDaS14_S15_EUlS14_E_NS1_11comp_targetILNS1_3genE8ELNS1_11target_archE1030ELNS1_3gpuE2ELNS1_3repE0EEENS1_30default_config_static_selectorELNS0_4arch9wavefront6targetE1EEEvT1_
    .private_segment_fixed_size: 0
    .sgpr_count:     6
    .sgpr_spill_count: 0
    .symbol:         _ZN7rocprim17ROCPRIM_400000_NS6detail17trampoline_kernelINS0_14default_configENS1_25partition_config_selectorILNS1_17partition_subalgoE1EjNS0_10empty_typeEbEEZZNS1_14partition_implILS5_1ELb0ES3_jN6thrust23THRUST_200600_302600_NS6detail15normal_iteratorINSA_10device_ptrIjEEEEPS6_NSA_18transform_iteratorI7is_evenIjESF_NSA_11use_defaultESK_EENS0_5tupleIJSF_SF_EEENSM_IJSG_SG_EEES6_PlJS6_EEE10hipError_tPvRmT3_T4_T5_T6_T7_T9_mT8_P12ihipStream_tbDpT10_ENKUlT_T0_E_clISt17integral_constantIbLb0EES19_EEDaS14_S15_EUlS14_E_NS1_11comp_targetILNS1_3genE8ELNS1_11target_archE1030ELNS1_3gpuE2ELNS1_3repE0EEENS1_30default_config_static_selectorELNS0_4arch9wavefront6targetE1EEEvT1_.kd
    .uniform_work_group_size: 1
    .uses_dynamic_stack: false
    .vgpr_count:     0
    .vgpr_spill_count: 0
    .wavefront_size: 64
  - .agpr_count:     0
    .args:
      - .offset:         0
        .size:           144
        .value_kind:     by_value
    .group_segment_fixed_size: 0
    .kernarg_segment_align: 8
    .kernarg_segment_size: 144
    .language:       OpenCL C
    .language_version:
      - 2
      - 0
    .max_flat_workgroup_size: 256
    .name:           _ZN7rocprim17ROCPRIM_400000_NS6detail17trampoline_kernelINS0_14default_configENS1_25partition_config_selectorILNS1_17partition_subalgoE1EjNS0_10empty_typeEbEEZZNS1_14partition_implILS5_1ELb0ES3_jN6thrust23THRUST_200600_302600_NS6detail15normal_iteratorINSA_10device_ptrIjEEEEPS6_NSA_18transform_iteratorI7is_evenIjESF_NSA_11use_defaultESK_EENS0_5tupleIJSF_SF_EEENSM_IJSG_SG_EEES6_PlJS6_EEE10hipError_tPvRmT3_T4_T5_T6_T7_T9_mT8_P12ihipStream_tbDpT10_ENKUlT_T0_E_clISt17integral_constantIbLb1EES19_EEDaS14_S15_EUlS14_E_NS1_11comp_targetILNS1_3genE0ELNS1_11target_archE4294967295ELNS1_3gpuE0ELNS1_3repE0EEENS1_30default_config_static_selectorELNS0_4arch9wavefront6targetE1EEEvT1_
    .private_segment_fixed_size: 0
    .sgpr_count:     6
    .sgpr_spill_count: 0
    .symbol:         _ZN7rocprim17ROCPRIM_400000_NS6detail17trampoline_kernelINS0_14default_configENS1_25partition_config_selectorILNS1_17partition_subalgoE1EjNS0_10empty_typeEbEEZZNS1_14partition_implILS5_1ELb0ES3_jN6thrust23THRUST_200600_302600_NS6detail15normal_iteratorINSA_10device_ptrIjEEEEPS6_NSA_18transform_iteratorI7is_evenIjESF_NSA_11use_defaultESK_EENS0_5tupleIJSF_SF_EEENSM_IJSG_SG_EEES6_PlJS6_EEE10hipError_tPvRmT3_T4_T5_T6_T7_T9_mT8_P12ihipStream_tbDpT10_ENKUlT_T0_E_clISt17integral_constantIbLb1EES19_EEDaS14_S15_EUlS14_E_NS1_11comp_targetILNS1_3genE0ELNS1_11target_archE4294967295ELNS1_3gpuE0ELNS1_3repE0EEENS1_30default_config_static_selectorELNS0_4arch9wavefront6targetE1EEEvT1_.kd
    .uniform_work_group_size: 1
    .uses_dynamic_stack: false
    .vgpr_count:     0
    .vgpr_spill_count: 0
    .wavefront_size: 64
  - .agpr_count:     0
    .args:
      - .offset:         0
        .size:           144
        .value_kind:     by_value
    .group_segment_fixed_size: 30728
    .kernarg_segment_align: 8
    .kernarg_segment_size: 144
    .language:       OpenCL C
    .language_version:
      - 2
      - 0
    .max_flat_workgroup_size: 512
    .name:           _ZN7rocprim17ROCPRIM_400000_NS6detail17trampoline_kernelINS0_14default_configENS1_25partition_config_selectorILNS1_17partition_subalgoE1EjNS0_10empty_typeEbEEZZNS1_14partition_implILS5_1ELb0ES3_jN6thrust23THRUST_200600_302600_NS6detail15normal_iteratorINSA_10device_ptrIjEEEEPS6_NSA_18transform_iteratorI7is_evenIjESF_NSA_11use_defaultESK_EENS0_5tupleIJSF_SF_EEENSM_IJSG_SG_EEES6_PlJS6_EEE10hipError_tPvRmT3_T4_T5_T6_T7_T9_mT8_P12ihipStream_tbDpT10_ENKUlT_T0_E_clISt17integral_constantIbLb1EES19_EEDaS14_S15_EUlS14_E_NS1_11comp_targetILNS1_3genE5ELNS1_11target_archE942ELNS1_3gpuE9ELNS1_3repE0EEENS1_30default_config_static_selectorELNS0_4arch9wavefront6targetE1EEEvT1_
    .private_segment_fixed_size: 0
    .sgpr_count:     50
    .sgpr_spill_count: 0
    .symbol:         _ZN7rocprim17ROCPRIM_400000_NS6detail17trampoline_kernelINS0_14default_configENS1_25partition_config_selectorILNS1_17partition_subalgoE1EjNS0_10empty_typeEbEEZZNS1_14partition_implILS5_1ELb0ES3_jN6thrust23THRUST_200600_302600_NS6detail15normal_iteratorINSA_10device_ptrIjEEEEPS6_NSA_18transform_iteratorI7is_evenIjESF_NSA_11use_defaultESK_EENS0_5tupleIJSF_SF_EEENSM_IJSG_SG_EEES6_PlJS6_EEE10hipError_tPvRmT3_T4_T5_T6_T7_T9_mT8_P12ihipStream_tbDpT10_ENKUlT_T0_E_clISt17integral_constantIbLb1EES19_EEDaS14_S15_EUlS14_E_NS1_11comp_targetILNS1_3genE5ELNS1_11target_archE942ELNS1_3gpuE9ELNS1_3repE0EEENS1_30default_config_static_selectorELNS0_4arch9wavefront6targetE1EEEvT1_.kd
    .uniform_work_group_size: 1
    .uses_dynamic_stack: false
    .vgpr_count:     69
    .vgpr_spill_count: 0
    .wavefront_size: 64
  - .agpr_count:     0
    .args:
      - .offset:         0
        .size:           144
        .value_kind:     by_value
    .group_segment_fixed_size: 0
    .kernarg_segment_align: 8
    .kernarg_segment_size: 144
    .language:       OpenCL C
    .language_version:
      - 2
      - 0
    .max_flat_workgroup_size: 256
    .name:           _ZN7rocprim17ROCPRIM_400000_NS6detail17trampoline_kernelINS0_14default_configENS1_25partition_config_selectorILNS1_17partition_subalgoE1EjNS0_10empty_typeEbEEZZNS1_14partition_implILS5_1ELb0ES3_jN6thrust23THRUST_200600_302600_NS6detail15normal_iteratorINSA_10device_ptrIjEEEEPS6_NSA_18transform_iteratorI7is_evenIjESF_NSA_11use_defaultESK_EENS0_5tupleIJSF_SF_EEENSM_IJSG_SG_EEES6_PlJS6_EEE10hipError_tPvRmT3_T4_T5_T6_T7_T9_mT8_P12ihipStream_tbDpT10_ENKUlT_T0_E_clISt17integral_constantIbLb1EES19_EEDaS14_S15_EUlS14_E_NS1_11comp_targetILNS1_3genE4ELNS1_11target_archE910ELNS1_3gpuE8ELNS1_3repE0EEENS1_30default_config_static_selectorELNS0_4arch9wavefront6targetE1EEEvT1_
    .private_segment_fixed_size: 0
    .sgpr_count:     6
    .sgpr_spill_count: 0
    .symbol:         _ZN7rocprim17ROCPRIM_400000_NS6detail17trampoline_kernelINS0_14default_configENS1_25partition_config_selectorILNS1_17partition_subalgoE1EjNS0_10empty_typeEbEEZZNS1_14partition_implILS5_1ELb0ES3_jN6thrust23THRUST_200600_302600_NS6detail15normal_iteratorINSA_10device_ptrIjEEEEPS6_NSA_18transform_iteratorI7is_evenIjESF_NSA_11use_defaultESK_EENS0_5tupleIJSF_SF_EEENSM_IJSG_SG_EEES6_PlJS6_EEE10hipError_tPvRmT3_T4_T5_T6_T7_T9_mT8_P12ihipStream_tbDpT10_ENKUlT_T0_E_clISt17integral_constantIbLb1EES19_EEDaS14_S15_EUlS14_E_NS1_11comp_targetILNS1_3genE4ELNS1_11target_archE910ELNS1_3gpuE8ELNS1_3repE0EEENS1_30default_config_static_selectorELNS0_4arch9wavefront6targetE1EEEvT1_.kd
    .uniform_work_group_size: 1
    .uses_dynamic_stack: false
    .vgpr_count:     0
    .vgpr_spill_count: 0
    .wavefront_size: 64
  - .agpr_count:     0
    .args:
      - .offset:         0
        .size:           144
        .value_kind:     by_value
    .group_segment_fixed_size: 0
    .kernarg_segment_align: 8
    .kernarg_segment_size: 144
    .language:       OpenCL C
    .language_version:
      - 2
      - 0
    .max_flat_workgroup_size: 256
    .name:           _ZN7rocprim17ROCPRIM_400000_NS6detail17trampoline_kernelINS0_14default_configENS1_25partition_config_selectorILNS1_17partition_subalgoE1EjNS0_10empty_typeEbEEZZNS1_14partition_implILS5_1ELb0ES3_jN6thrust23THRUST_200600_302600_NS6detail15normal_iteratorINSA_10device_ptrIjEEEEPS6_NSA_18transform_iteratorI7is_evenIjESF_NSA_11use_defaultESK_EENS0_5tupleIJSF_SF_EEENSM_IJSG_SG_EEES6_PlJS6_EEE10hipError_tPvRmT3_T4_T5_T6_T7_T9_mT8_P12ihipStream_tbDpT10_ENKUlT_T0_E_clISt17integral_constantIbLb1EES19_EEDaS14_S15_EUlS14_E_NS1_11comp_targetILNS1_3genE3ELNS1_11target_archE908ELNS1_3gpuE7ELNS1_3repE0EEENS1_30default_config_static_selectorELNS0_4arch9wavefront6targetE1EEEvT1_
    .private_segment_fixed_size: 0
    .sgpr_count:     6
    .sgpr_spill_count: 0
    .symbol:         _ZN7rocprim17ROCPRIM_400000_NS6detail17trampoline_kernelINS0_14default_configENS1_25partition_config_selectorILNS1_17partition_subalgoE1EjNS0_10empty_typeEbEEZZNS1_14partition_implILS5_1ELb0ES3_jN6thrust23THRUST_200600_302600_NS6detail15normal_iteratorINSA_10device_ptrIjEEEEPS6_NSA_18transform_iteratorI7is_evenIjESF_NSA_11use_defaultESK_EENS0_5tupleIJSF_SF_EEENSM_IJSG_SG_EEES6_PlJS6_EEE10hipError_tPvRmT3_T4_T5_T6_T7_T9_mT8_P12ihipStream_tbDpT10_ENKUlT_T0_E_clISt17integral_constantIbLb1EES19_EEDaS14_S15_EUlS14_E_NS1_11comp_targetILNS1_3genE3ELNS1_11target_archE908ELNS1_3gpuE7ELNS1_3repE0EEENS1_30default_config_static_selectorELNS0_4arch9wavefront6targetE1EEEvT1_.kd
    .uniform_work_group_size: 1
    .uses_dynamic_stack: false
    .vgpr_count:     0
    .vgpr_spill_count: 0
    .wavefront_size: 64
  - .agpr_count:     0
    .args:
      - .offset:         0
        .size:           144
        .value_kind:     by_value
    .group_segment_fixed_size: 0
    .kernarg_segment_align: 8
    .kernarg_segment_size: 144
    .language:       OpenCL C
    .language_version:
      - 2
      - 0
    .max_flat_workgroup_size: 256
    .name:           _ZN7rocprim17ROCPRIM_400000_NS6detail17trampoline_kernelINS0_14default_configENS1_25partition_config_selectorILNS1_17partition_subalgoE1EjNS0_10empty_typeEbEEZZNS1_14partition_implILS5_1ELb0ES3_jN6thrust23THRUST_200600_302600_NS6detail15normal_iteratorINSA_10device_ptrIjEEEEPS6_NSA_18transform_iteratorI7is_evenIjESF_NSA_11use_defaultESK_EENS0_5tupleIJSF_SF_EEENSM_IJSG_SG_EEES6_PlJS6_EEE10hipError_tPvRmT3_T4_T5_T6_T7_T9_mT8_P12ihipStream_tbDpT10_ENKUlT_T0_E_clISt17integral_constantIbLb1EES19_EEDaS14_S15_EUlS14_E_NS1_11comp_targetILNS1_3genE2ELNS1_11target_archE906ELNS1_3gpuE6ELNS1_3repE0EEENS1_30default_config_static_selectorELNS0_4arch9wavefront6targetE1EEEvT1_
    .private_segment_fixed_size: 0
    .sgpr_count:     6
    .sgpr_spill_count: 0
    .symbol:         _ZN7rocprim17ROCPRIM_400000_NS6detail17trampoline_kernelINS0_14default_configENS1_25partition_config_selectorILNS1_17partition_subalgoE1EjNS0_10empty_typeEbEEZZNS1_14partition_implILS5_1ELb0ES3_jN6thrust23THRUST_200600_302600_NS6detail15normal_iteratorINSA_10device_ptrIjEEEEPS6_NSA_18transform_iteratorI7is_evenIjESF_NSA_11use_defaultESK_EENS0_5tupleIJSF_SF_EEENSM_IJSG_SG_EEES6_PlJS6_EEE10hipError_tPvRmT3_T4_T5_T6_T7_T9_mT8_P12ihipStream_tbDpT10_ENKUlT_T0_E_clISt17integral_constantIbLb1EES19_EEDaS14_S15_EUlS14_E_NS1_11comp_targetILNS1_3genE2ELNS1_11target_archE906ELNS1_3gpuE6ELNS1_3repE0EEENS1_30default_config_static_selectorELNS0_4arch9wavefront6targetE1EEEvT1_.kd
    .uniform_work_group_size: 1
    .uses_dynamic_stack: false
    .vgpr_count:     0
    .vgpr_spill_count: 0
    .wavefront_size: 64
  - .agpr_count:     0
    .args:
      - .offset:         0
        .size:           144
        .value_kind:     by_value
    .group_segment_fixed_size: 0
    .kernarg_segment_align: 8
    .kernarg_segment_size: 144
    .language:       OpenCL C
    .language_version:
      - 2
      - 0
    .max_flat_workgroup_size: 256
    .name:           _ZN7rocprim17ROCPRIM_400000_NS6detail17trampoline_kernelINS0_14default_configENS1_25partition_config_selectorILNS1_17partition_subalgoE1EjNS0_10empty_typeEbEEZZNS1_14partition_implILS5_1ELb0ES3_jN6thrust23THRUST_200600_302600_NS6detail15normal_iteratorINSA_10device_ptrIjEEEEPS6_NSA_18transform_iteratorI7is_evenIjESF_NSA_11use_defaultESK_EENS0_5tupleIJSF_SF_EEENSM_IJSG_SG_EEES6_PlJS6_EEE10hipError_tPvRmT3_T4_T5_T6_T7_T9_mT8_P12ihipStream_tbDpT10_ENKUlT_T0_E_clISt17integral_constantIbLb1EES19_EEDaS14_S15_EUlS14_E_NS1_11comp_targetILNS1_3genE10ELNS1_11target_archE1200ELNS1_3gpuE4ELNS1_3repE0EEENS1_30default_config_static_selectorELNS0_4arch9wavefront6targetE1EEEvT1_
    .private_segment_fixed_size: 0
    .sgpr_count:     6
    .sgpr_spill_count: 0
    .symbol:         _ZN7rocprim17ROCPRIM_400000_NS6detail17trampoline_kernelINS0_14default_configENS1_25partition_config_selectorILNS1_17partition_subalgoE1EjNS0_10empty_typeEbEEZZNS1_14partition_implILS5_1ELb0ES3_jN6thrust23THRUST_200600_302600_NS6detail15normal_iteratorINSA_10device_ptrIjEEEEPS6_NSA_18transform_iteratorI7is_evenIjESF_NSA_11use_defaultESK_EENS0_5tupleIJSF_SF_EEENSM_IJSG_SG_EEES6_PlJS6_EEE10hipError_tPvRmT3_T4_T5_T6_T7_T9_mT8_P12ihipStream_tbDpT10_ENKUlT_T0_E_clISt17integral_constantIbLb1EES19_EEDaS14_S15_EUlS14_E_NS1_11comp_targetILNS1_3genE10ELNS1_11target_archE1200ELNS1_3gpuE4ELNS1_3repE0EEENS1_30default_config_static_selectorELNS0_4arch9wavefront6targetE1EEEvT1_.kd
    .uniform_work_group_size: 1
    .uses_dynamic_stack: false
    .vgpr_count:     0
    .vgpr_spill_count: 0
    .wavefront_size: 64
  - .agpr_count:     0
    .args:
      - .offset:         0
        .size:           144
        .value_kind:     by_value
    .group_segment_fixed_size: 0
    .kernarg_segment_align: 8
    .kernarg_segment_size: 144
    .language:       OpenCL C
    .language_version:
      - 2
      - 0
    .max_flat_workgroup_size: 128
    .name:           _ZN7rocprim17ROCPRIM_400000_NS6detail17trampoline_kernelINS0_14default_configENS1_25partition_config_selectorILNS1_17partition_subalgoE1EjNS0_10empty_typeEbEEZZNS1_14partition_implILS5_1ELb0ES3_jN6thrust23THRUST_200600_302600_NS6detail15normal_iteratorINSA_10device_ptrIjEEEEPS6_NSA_18transform_iteratorI7is_evenIjESF_NSA_11use_defaultESK_EENS0_5tupleIJSF_SF_EEENSM_IJSG_SG_EEES6_PlJS6_EEE10hipError_tPvRmT3_T4_T5_T6_T7_T9_mT8_P12ihipStream_tbDpT10_ENKUlT_T0_E_clISt17integral_constantIbLb1EES19_EEDaS14_S15_EUlS14_E_NS1_11comp_targetILNS1_3genE9ELNS1_11target_archE1100ELNS1_3gpuE3ELNS1_3repE0EEENS1_30default_config_static_selectorELNS0_4arch9wavefront6targetE1EEEvT1_
    .private_segment_fixed_size: 0
    .sgpr_count:     6
    .sgpr_spill_count: 0
    .symbol:         _ZN7rocprim17ROCPRIM_400000_NS6detail17trampoline_kernelINS0_14default_configENS1_25partition_config_selectorILNS1_17partition_subalgoE1EjNS0_10empty_typeEbEEZZNS1_14partition_implILS5_1ELb0ES3_jN6thrust23THRUST_200600_302600_NS6detail15normal_iteratorINSA_10device_ptrIjEEEEPS6_NSA_18transform_iteratorI7is_evenIjESF_NSA_11use_defaultESK_EENS0_5tupleIJSF_SF_EEENSM_IJSG_SG_EEES6_PlJS6_EEE10hipError_tPvRmT3_T4_T5_T6_T7_T9_mT8_P12ihipStream_tbDpT10_ENKUlT_T0_E_clISt17integral_constantIbLb1EES19_EEDaS14_S15_EUlS14_E_NS1_11comp_targetILNS1_3genE9ELNS1_11target_archE1100ELNS1_3gpuE3ELNS1_3repE0EEENS1_30default_config_static_selectorELNS0_4arch9wavefront6targetE1EEEvT1_.kd
    .uniform_work_group_size: 1
    .uses_dynamic_stack: false
    .vgpr_count:     0
    .vgpr_spill_count: 0
    .wavefront_size: 64
  - .agpr_count:     0
    .args:
      - .offset:         0
        .size:           144
        .value_kind:     by_value
    .group_segment_fixed_size: 0
    .kernarg_segment_align: 8
    .kernarg_segment_size: 144
    .language:       OpenCL C
    .language_version:
      - 2
      - 0
    .max_flat_workgroup_size: 512
    .name:           _ZN7rocprim17ROCPRIM_400000_NS6detail17trampoline_kernelINS0_14default_configENS1_25partition_config_selectorILNS1_17partition_subalgoE1EjNS0_10empty_typeEbEEZZNS1_14partition_implILS5_1ELb0ES3_jN6thrust23THRUST_200600_302600_NS6detail15normal_iteratorINSA_10device_ptrIjEEEEPS6_NSA_18transform_iteratorI7is_evenIjESF_NSA_11use_defaultESK_EENS0_5tupleIJSF_SF_EEENSM_IJSG_SG_EEES6_PlJS6_EEE10hipError_tPvRmT3_T4_T5_T6_T7_T9_mT8_P12ihipStream_tbDpT10_ENKUlT_T0_E_clISt17integral_constantIbLb1EES19_EEDaS14_S15_EUlS14_E_NS1_11comp_targetILNS1_3genE8ELNS1_11target_archE1030ELNS1_3gpuE2ELNS1_3repE0EEENS1_30default_config_static_selectorELNS0_4arch9wavefront6targetE1EEEvT1_
    .private_segment_fixed_size: 0
    .sgpr_count:     6
    .sgpr_spill_count: 0
    .symbol:         _ZN7rocprim17ROCPRIM_400000_NS6detail17trampoline_kernelINS0_14default_configENS1_25partition_config_selectorILNS1_17partition_subalgoE1EjNS0_10empty_typeEbEEZZNS1_14partition_implILS5_1ELb0ES3_jN6thrust23THRUST_200600_302600_NS6detail15normal_iteratorINSA_10device_ptrIjEEEEPS6_NSA_18transform_iteratorI7is_evenIjESF_NSA_11use_defaultESK_EENS0_5tupleIJSF_SF_EEENSM_IJSG_SG_EEES6_PlJS6_EEE10hipError_tPvRmT3_T4_T5_T6_T7_T9_mT8_P12ihipStream_tbDpT10_ENKUlT_T0_E_clISt17integral_constantIbLb1EES19_EEDaS14_S15_EUlS14_E_NS1_11comp_targetILNS1_3genE8ELNS1_11target_archE1030ELNS1_3gpuE2ELNS1_3repE0EEENS1_30default_config_static_selectorELNS0_4arch9wavefront6targetE1EEEvT1_.kd
    .uniform_work_group_size: 1
    .uses_dynamic_stack: false
    .vgpr_count:     0
    .vgpr_spill_count: 0
    .wavefront_size: 64
  - .agpr_count:     0
    .args:
      - .offset:         0
        .size:           128
        .value_kind:     by_value
    .group_segment_fixed_size: 0
    .kernarg_segment_align: 8
    .kernarg_segment_size: 128
    .language:       OpenCL C
    .language_version:
      - 2
      - 0
    .max_flat_workgroup_size: 256
    .name:           _ZN7rocprim17ROCPRIM_400000_NS6detail17trampoline_kernelINS0_14default_configENS1_25partition_config_selectorILNS1_17partition_subalgoE1EjNS0_10empty_typeEbEEZZNS1_14partition_implILS5_1ELb0ES3_jN6thrust23THRUST_200600_302600_NS6detail15normal_iteratorINSA_10device_ptrIjEEEEPS6_NSA_18transform_iteratorI7is_evenIjESF_NSA_11use_defaultESK_EENS0_5tupleIJSF_SF_EEENSM_IJSG_SG_EEES6_PlJS6_EEE10hipError_tPvRmT3_T4_T5_T6_T7_T9_mT8_P12ihipStream_tbDpT10_ENKUlT_T0_E_clISt17integral_constantIbLb1EES18_IbLb0EEEEDaS14_S15_EUlS14_E_NS1_11comp_targetILNS1_3genE0ELNS1_11target_archE4294967295ELNS1_3gpuE0ELNS1_3repE0EEENS1_30default_config_static_selectorELNS0_4arch9wavefront6targetE1EEEvT1_
    .private_segment_fixed_size: 0
    .sgpr_count:     6
    .sgpr_spill_count: 0
    .symbol:         _ZN7rocprim17ROCPRIM_400000_NS6detail17trampoline_kernelINS0_14default_configENS1_25partition_config_selectorILNS1_17partition_subalgoE1EjNS0_10empty_typeEbEEZZNS1_14partition_implILS5_1ELb0ES3_jN6thrust23THRUST_200600_302600_NS6detail15normal_iteratorINSA_10device_ptrIjEEEEPS6_NSA_18transform_iteratorI7is_evenIjESF_NSA_11use_defaultESK_EENS0_5tupleIJSF_SF_EEENSM_IJSG_SG_EEES6_PlJS6_EEE10hipError_tPvRmT3_T4_T5_T6_T7_T9_mT8_P12ihipStream_tbDpT10_ENKUlT_T0_E_clISt17integral_constantIbLb1EES18_IbLb0EEEEDaS14_S15_EUlS14_E_NS1_11comp_targetILNS1_3genE0ELNS1_11target_archE4294967295ELNS1_3gpuE0ELNS1_3repE0EEENS1_30default_config_static_selectorELNS0_4arch9wavefront6targetE1EEEvT1_.kd
    .uniform_work_group_size: 1
    .uses_dynamic_stack: false
    .vgpr_count:     0
    .vgpr_spill_count: 0
    .wavefront_size: 64
  - .agpr_count:     0
    .args:
      - .offset:         0
        .size:           128
        .value_kind:     by_value
    .group_segment_fixed_size: 30728
    .kernarg_segment_align: 8
    .kernarg_segment_size: 128
    .language:       OpenCL C
    .language_version:
      - 2
      - 0
    .max_flat_workgroup_size: 512
    .name:           _ZN7rocprim17ROCPRIM_400000_NS6detail17trampoline_kernelINS0_14default_configENS1_25partition_config_selectorILNS1_17partition_subalgoE1EjNS0_10empty_typeEbEEZZNS1_14partition_implILS5_1ELb0ES3_jN6thrust23THRUST_200600_302600_NS6detail15normal_iteratorINSA_10device_ptrIjEEEEPS6_NSA_18transform_iteratorI7is_evenIjESF_NSA_11use_defaultESK_EENS0_5tupleIJSF_SF_EEENSM_IJSG_SG_EEES6_PlJS6_EEE10hipError_tPvRmT3_T4_T5_T6_T7_T9_mT8_P12ihipStream_tbDpT10_ENKUlT_T0_E_clISt17integral_constantIbLb1EES18_IbLb0EEEEDaS14_S15_EUlS14_E_NS1_11comp_targetILNS1_3genE5ELNS1_11target_archE942ELNS1_3gpuE9ELNS1_3repE0EEENS1_30default_config_static_selectorELNS0_4arch9wavefront6targetE1EEEvT1_
    .private_segment_fixed_size: 0
    .sgpr_count:     50
    .sgpr_spill_count: 0
    .symbol:         _ZN7rocprim17ROCPRIM_400000_NS6detail17trampoline_kernelINS0_14default_configENS1_25partition_config_selectorILNS1_17partition_subalgoE1EjNS0_10empty_typeEbEEZZNS1_14partition_implILS5_1ELb0ES3_jN6thrust23THRUST_200600_302600_NS6detail15normal_iteratorINSA_10device_ptrIjEEEEPS6_NSA_18transform_iteratorI7is_evenIjESF_NSA_11use_defaultESK_EENS0_5tupleIJSF_SF_EEENSM_IJSG_SG_EEES6_PlJS6_EEE10hipError_tPvRmT3_T4_T5_T6_T7_T9_mT8_P12ihipStream_tbDpT10_ENKUlT_T0_E_clISt17integral_constantIbLb1EES18_IbLb0EEEEDaS14_S15_EUlS14_E_NS1_11comp_targetILNS1_3genE5ELNS1_11target_archE942ELNS1_3gpuE9ELNS1_3repE0EEENS1_30default_config_static_selectorELNS0_4arch9wavefront6targetE1EEEvT1_.kd
    .uniform_work_group_size: 1
    .uses_dynamic_stack: false
    .vgpr_count:     65
    .vgpr_spill_count: 0
    .wavefront_size: 64
  - .agpr_count:     0
    .args:
      - .offset:         0
        .size:           128
        .value_kind:     by_value
    .group_segment_fixed_size: 0
    .kernarg_segment_align: 8
    .kernarg_segment_size: 128
    .language:       OpenCL C
    .language_version:
      - 2
      - 0
    .max_flat_workgroup_size: 256
    .name:           _ZN7rocprim17ROCPRIM_400000_NS6detail17trampoline_kernelINS0_14default_configENS1_25partition_config_selectorILNS1_17partition_subalgoE1EjNS0_10empty_typeEbEEZZNS1_14partition_implILS5_1ELb0ES3_jN6thrust23THRUST_200600_302600_NS6detail15normal_iteratorINSA_10device_ptrIjEEEEPS6_NSA_18transform_iteratorI7is_evenIjESF_NSA_11use_defaultESK_EENS0_5tupleIJSF_SF_EEENSM_IJSG_SG_EEES6_PlJS6_EEE10hipError_tPvRmT3_T4_T5_T6_T7_T9_mT8_P12ihipStream_tbDpT10_ENKUlT_T0_E_clISt17integral_constantIbLb1EES18_IbLb0EEEEDaS14_S15_EUlS14_E_NS1_11comp_targetILNS1_3genE4ELNS1_11target_archE910ELNS1_3gpuE8ELNS1_3repE0EEENS1_30default_config_static_selectorELNS0_4arch9wavefront6targetE1EEEvT1_
    .private_segment_fixed_size: 0
    .sgpr_count:     6
    .sgpr_spill_count: 0
    .symbol:         _ZN7rocprim17ROCPRIM_400000_NS6detail17trampoline_kernelINS0_14default_configENS1_25partition_config_selectorILNS1_17partition_subalgoE1EjNS0_10empty_typeEbEEZZNS1_14partition_implILS5_1ELb0ES3_jN6thrust23THRUST_200600_302600_NS6detail15normal_iteratorINSA_10device_ptrIjEEEEPS6_NSA_18transform_iteratorI7is_evenIjESF_NSA_11use_defaultESK_EENS0_5tupleIJSF_SF_EEENSM_IJSG_SG_EEES6_PlJS6_EEE10hipError_tPvRmT3_T4_T5_T6_T7_T9_mT8_P12ihipStream_tbDpT10_ENKUlT_T0_E_clISt17integral_constantIbLb1EES18_IbLb0EEEEDaS14_S15_EUlS14_E_NS1_11comp_targetILNS1_3genE4ELNS1_11target_archE910ELNS1_3gpuE8ELNS1_3repE0EEENS1_30default_config_static_selectorELNS0_4arch9wavefront6targetE1EEEvT1_.kd
    .uniform_work_group_size: 1
    .uses_dynamic_stack: false
    .vgpr_count:     0
    .vgpr_spill_count: 0
    .wavefront_size: 64
  - .agpr_count:     0
    .args:
      - .offset:         0
        .size:           128
        .value_kind:     by_value
    .group_segment_fixed_size: 0
    .kernarg_segment_align: 8
    .kernarg_segment_size: 128
    .language:       OpenCL C
    .language_version:
      - 2
      - 0
    .max_flat_workgroup_size: 256
    .name:           _ZN7rocprim17ROCPRIM_400000_NS6detail17trampoline_kernelINS0_14default_configENS1_25partition_config_selectorILNS1_17partition_subalgoE1EjNS0_10empty_typeEbEEZZNS1_14partition_implILS5_1ELb0ES3_jN6thrust23THRUST_200600_302600_NS6detail15normal_iteratorINSA_10device_ptrIjEEEEPS6_NSA_18transform_iteratorI7is_evenIjESF_NSA_11use_defaultESK_EENS0_5tupleIJSF_SF_EEENSM_IJSG_SG_EEES6_PlJS6_EEE10hipError_tPvRmT3_T4_T5_T6_T7_T9_mT8_P12ihipStream_tbDpT10_ENKUlT_T0_E_clISt17integral_constantIbLb1EES18_IbLb0EEEEDaS14_S15_EUlS14_E_NS1_11comp_targetILNS1_3genE3ELNS1_11target_archE908ELNS1_3gpuE7ELNS1_3repE0EEENS1_30default_config_static_selectorELNS0_4arch9wavefront6targetE1EEEvT1_
    .private_segment_fixed_size: 0
    .sgpr_count:     6
    .sgpr_spill_count: 0
    .symbol:         _ZN7rocprim17ROCPRIM_400000_NS6detail17trampoline_kernelINS0_14default_configENS1_25partition_config_selectorILNS1_17partition_subalgoE1EjNS0_10empty_typeEbEEZZNS1_14partition_implILS5_1ELb0ES3_jN6thrust23THRUST_200600_302600_NS6detail15normal_iteratorINSA_10device_ptrIjEEEEPS6_NSA_18transform_iteratorI7is_evenIjESF_NSA_11use_defaultESK_EENS0_5tupleIJSF_SF_EEENSM_IJSG_SG_EEES6_PlJS6_EEE10hipError_tPvRmT3_T4_T5_T6_T7_T9_mT8_P12ihipStream_tbDpT10_ENKUlT_T0_E_clISt17integral_constantIbLb1EES18_IbLb0EEEEDaS14_S15_EUlS14_E_NS1_11comp_targetILNS1_3genE3ELNS1_11target_archE908ELNS1_3gpuE7ELNS1_3repE0EEENS1_30default_config_static_selectorELNS0_4arch9wavefront6targetE1EEEvT1_.kd
    .uniform_work_group_size: 1
    .uses_dynamic_stack: false
    .vgpr_count:     0
    .vgpr_spill_count: 0
    .wavefront_size: 64
  - .agpr_count:     0
    .args:
      - .offset:         0
        .size:           128
        .value_kind:     by_value
    .group_segment_fixed_size: 0
    .kernarg_segment_align: 8
    .kernarg_segment_size: 128
    .language:       OpenCL C
    .language_version:
      - 2
      - 0
    .max_flat_workgroup_size: 256
    .name:           _ZN7rocprim17ROCPRIM_400000_NS6detail17trampoline_kernelINS0_14default_configENS1_25partition_config_selectorILNS1_17partition_subalgoE1EjNS0_10empty_typeEbEEZZNS1_14partition_implILS5_1ELb0ES3_jN6thrust23THRUST_200600_302600_NS6detail15normal_iteratorINSA_10device_ptrIjEEEEPS6_NSA_18transform_iteratorI7is_evenIjESF_NSA_11use_defaultESK_EENS0_5tupleIJSF_SF_EEENSM_IJSG_SG_EEES6_PlJS6_EEE10hipError_tPvRmT3_T4_T5_T6_T7_T9_mT8_P12ihipStream_tbDpT10_ENKUlT_T0_E_clISt17integral_constantIbLb1EES18_IbLb0EEEEDaS14_S15_EUlS14_E_NS1_11comp_targetILNS1_3genE2ELNS1_11target_archE906ELNS1_3gpuE6ELNS1_3repE0EEENS1_30default_config_static_selectorELNS0_4arch9wavefront6targetE1EEEvT1_
    .private_segment_fixed_size: 0
    .sgpr_count:     6
    .sgpr_spill_count: 0
    .symbol:         _ZN7rocprim17ROCPRIM_400000_NS6detail17trampoline_kernelINS0_14default_configENS1_25partition_config_selectorILNS1_17partition_subalgoE1EjNS0_10empty_typeEbEEZZNS1_14partition_implILS5_1ELb0ES3_jN6thrust23THRUST_200600_302600_NS6detail15normal_iteratorINSA_10device_ptrIjEEEEPS6_NSA_18transform_iteratorI7is_evenIjESF_NSA_11use_defaultESK_EENS0_5tupleIJSF_SF_EEENSM_IJSG_SG_EEES6_PlJS6_EEE10hipError_tPvRmT3_T4_T5_T6_T7_T9_mT8_P12ihipStream_tbDpT10_ENKUlT_T0_E_clISt17integral_constantIbLb1EES18_IbLb0EEEEDaS14_S15_EUlS14_E_NS1_11comp_targetILNS1_3genE2ELNS1_11target_archE906ELNS1_3gpuE6ELNS1_3repE0EEENS1_30default_config_static_selectorELNS0_4arch9wavefront6targetE1EEEvT1_.kd
    .uniform_work_group_size: 1
    .uses_dynamic_stack: false
    .vgpr_count:     0
    .vgpr_spill_count: 0
    .wavefront_size: 64
  - .agpr_count:     0
    .args:
      - .offset:         0
        .size:           128
        .value_kind:     by_value
    .group_segment_fixed_size: 0
    .kernarg_segment_align: 8
    .kernarg_segment_size: 128
    .language:       OpenCL C
    .language_version:
      - 2
      - 0
    .max_flat_workgroup_size: 256
    .name:           _ZN7rocprim17ROCPRIM_400000_NS6detail17trampoline_kernelINS0_14default_configENS1_25partition_config_selectorILNS1_17partition_subalgoE1EjNS0_10empty_typeEbEEZZNS1_14partition_implILS5_1ELb0ES3_jN6thrust23THRUST_200600_302600_NS6detail15normal_iteratorINSA_10device_ptrIjEEEEPS6_NSA_18transform_iteratorI7is_evenIjESF_NSA_11use_defaultESK_EENS0_5tupleIJSF_SF_EEENSM_IJSG_SG_EEES6_PlJS6_EEE10hipError_tPvRmT3_T4_T5_T6_T7_T9_mT8_P12ihipStream_tbDpT10_ENKUlT_T0_E_clISt17integral_constantIbLb1EES18_IbLb0EEEEDaS14_S15_EUlS14_E_NS1_11comp_targetILNS1_3genE10ELNS1_11target_archE1200ELNS1_3gpuE4ELNS1_3repE0EEENS1_30default_config_static_selectorELNS0_4arch9wavefront6targetE1EEEvT1_
    .private_segment_fixed_size: 0
    .sgpr_count:     6
    .sgpr_spill_count: 0
    .symbol:         _ZN7rocprim17ROCPRIM_400000_NS6detail17trampoline_kernelINS0_14default_configENS1_25partition_config_selectorILNS1_17partition_subalgoE1EjNS0_10empty_typeEbEEZZNS1_14partition_implILS5_1ELb0ES3_jN6thrust23THRUST_200600_302600_NS6detail15normal_iteratorINSA_10device_ptrIjEEEEPS6_NSA_18transform_iteratorI7is_evenIjESF_NSA_11use_defaultESK_EENS0_5tupleIJSF_SF_EEENSM_IJSG_SG_EEES6_PlJS6_EEE10hipError_tPvRmT3_T4_T5_T6_T7_T9_mT8_P12ihipStream_tbDpT10_ENKUlT_T0_E_clISt17integral_constantIbLb1EES18_IbLb0EEEEDaS14_S15_EUlS14_E_NS1_11comp_targetILNS1_3genE10ELNS1_11target_archE1200ELNS1_3gpuE4ELNS1_3repE0EEENS1_30default_config_static_selectorELNS0_4arch9wavefront6targetE1EEEvT1_.kd
    .uniform_work_group_size: 1
    .uses_dynamic_stack: false
    .vgpr_count:     0
    .vgpr_spill_count: 0
    .wavefront_size: 64
  - .agpr_count:     0
    .args:
      - .offset:         0
        .size:           128
        .value_kind:     by_value
    .group_segment_fixed_size: 0
    .kernarg_segment_align: 8
    .kernarg_segment_size: 128
    .language:       OpenCL C
    .language_version:
      - 2
      - 0
    .max_flat_workgroup_size: 128
    .name:           _ZN7rocprim17ROCPRIM_400000_NS6detail17trampoline_kernelINS0_14default_configENS1_25partition_config_selectorILNS1_17partition_subalgoE1EjNS0_10empty_typeEbEEZZNS1_14partition_implILS5_1ELb0ES3_jN6thrust23THRUST_200600_302600_NS6detail15normal_iteratorINSA_10device_ptrIjEEEEPS6_NSA_18transform_iteratorI7is_evenIjESF_NSA_11use_defaultESK_EENS0_5tupleIJSF_SF_EEENSM_IJSG_SG_EEES6_PlJS6_EEE10hipError_tPvRmT3_T4_T5_T6_T7_T9_mT8_P12ihipStream_tbDpT10_ENKUlT_T0_E_clISt17integral_constantIbLb1EES18_IbLb0EEEEDaS14_S15_EUlS14_E_NS1_11comp_targetILNS1_3genE9ELNS1_11target_archE1100ELNS1_3gpuE3ELNS1_3repE0EEENS1_30default_config_static_selectorELNS0_4arch9wavefront6targetE1EEEvT1_
    .private_segment_fixed_size: 0
    .sgpr_count:     6
    .sgpr_spill_count: 0
    .symbol:         _ZN7rocprim17ROCPRIM_400000_NS6detail17trampoline_kernelINS0_14default_configENS1_25partition_config_selectorILNS1_17partition_subalgoE1EjNS0_10empty_typeEbEEZZNS1_14partition_implILS5_1ELb0ES3_jN6thrust23THRUST_200600_302600_NS6detail15normal_iteratorINSA_10device_ptrIjEEEEPS6_NSA_18transform_iteratorI7is_evenIjESF_NSA_11use_defaultESK_EENS0_5tupleIJSF_SF_EEENSM_IJSG_SG_EEES6_PlJS6_EEE10hipError_tPvRmT3_T4_T5_T6_T7_T9_mT8_P12ihipStream_tbDpT10_ENKUlT_T0_E_clISt17integral_constantIbLb1EES18_IbLb0EEEEDaS14_S15_EUlS14_E_NS1_11comp_targetILNS1_3genE9ELNS1_11target_archE1100ELNS1_3gpuE3ELNS1_3repE0EEENS1_30default_config_static_selectorELNS0_4arch9wavefront6targetE1EEEvT1_.kd
    .uniform_work_group_size: 1
    .uses_dynamic_stack: false
    .vgpr_count:     0
    .vgpr_spill_count: 0
    .wavefront_size: 64
  - .agpr_count:     0
    .args:
      - .offset:         0
        .size:           128
        .value_kind:     by_value
    .group_segment_fixed_size: 0
    .kernarg_segment_align: 8
    .kernarg_segment_size: 128
    .language:       OpenCL C
    .language_version:
      - 2
      - 0
    .max_flat_workgroup_size: 512
    .name:           _ZN7rocprim17ROCPRIM_400000_NS6detail17trampoline_kernelINS0_14default_configENS1_25partition_config_selectorILNS1_17partition_subalgoE1EjNS0_10empty_typeEbEEZZNS1_14partition_implILS5_1ELb0ES3_jN6thrust23THRUST_200600_302600_NS6detail15normal_iteratorINSA_10device_ptrIjEEEEPS6_NSA_18transform_iteratorI7is_evenIjESF_NSA_11use_defaultESK_EENS0_5tupleIJSF_SF_EEENSM_IJSG_SG_EEES6_PlJS6_EEE10hipError_tPvRmT3_T4_T5_T6_T7_T9_mT8_P12ihipStream_tbDpT10_ENKUlT_T0_E_clISt17integral_constantIbLb1EES18_IbLb0EEEEDaS14_S15_EUlS14_E_NS1_11comp_targetILNS1_3genE8ELNS1_11target_archE1030ELNS1_3gpuE2ELNS1_3repE0EEENS1_30default_config_static_selectorELNS0_4arch9wavefront6targetE1EEEvT1_
    .private_segment_fixed_size: 0
    .sgpr_count:     6
    .sgpr_spill_count: 0
    .symbol:         _ZN7rocprim17ROCPRIM_400000_NS6detail17trampoline_kernelINS0_14default_configENS1_25partition_config_selectorILNS1_17partition_subalgoE1EjNS0_10empty_typeEbEEZZNS1_14partition_implILS5_1ELb0ES3_jN6thrust23THRUST_200600_302600_NS6detail15normal_iteratorINSA_10device_ptrIjEEEEPS6_NSA_18transform_iteratorI7is_evenIjESF_NSA_11use_defaultESK_EENS0_5tupleIJSF_SF_EEENSM_IJSG_SG_EEES6_PlJS6_EEE10hipError_tPvRmT3_T4_T5_T6_T7_T9_mT8_P12ihipStream_tbDpT10_ENKUlT_T0_E_clISt17integral_constantIbLb1EES18_IbLb0EEEEDaS14_S15_EUlS14_E_NS1_11comp_targetILNS1_3genE8ELNS1_11target_archE1030ELNS1_3gpuE2ELNS1_3repE0EEENS1_30default_config_static_selectorELNS0_4arch9wavefront6targetE1EEEvT1_.kd
    .uniform_work_group_size: 1
    .uses_dynamic_stack: false
    .vgpr_count:     0
    .vgpr_spill_count: 0
    .wavefront_size: 64
  - .agpr_count:     0
    .args:
      - .offset:         0
        .size:           144
        .value_kind:     by_value
    .group_segment_fixed_size: 0
    .kernarg_segment_align: 8
    .kernarg_segment_size: 144
    .language:       OpenCL C
    .language_version:
      - 2
      - 0
    .max_flat_workgroup_size: 256
    .name:           _ZN7rocprim17ROCPRIM_400000_NS6detail17trampoline_kernelINS0_14default_configENS1_25partition_config_selectorILNS1_17partition_subalgoE1EjNS0_10empty_typeEbEEZZNS1_14partition_implILS5_1ELb0ES3_jN6thrust23THRUST_200600_302600_NS6detail15normal_iteratorINSA_10device_ptrIjEEEEPS6_NSA_18transform_iteratorI7is_evenIjESF_NSA_11use_defaultESK_EENS0_5tupleIJSF_SF_EEENSM_IJSG_SG_EEES6_PlJS6_EEE10hipError_tPvRmT3_T4_T5_T6_T7_T9_mT8_P12ihipStream_tbDpT10_ENKUlT_T0_E_clISt17integral_constantIbLb0EES18_IbLb1EEEEDaS14_S15_EUlS14_E_NS1_11comp_targetILNS1_3genE0ELNS1_11target_archE4294967295ELNS1_3gpuE0ELNS1_3repE0EEENS1_30default_config_static_selectorELNS0_4arch9wavefront6targetE1EEEvT1_
    .private_segment_fixed_size: 0
    .sgpr_count:     6
    .sgpr_spill_count: 0
    .symbol:         _ZN7rocprim17ROCPRIM_400000_NS6detail17trampoline_kernelINS0_14default_configENS1_25partition_config_selectorILNS1_17partition_subalgoE1EjNS0_10empty_typeEbEEZZNS1_14partition_implILS5_1ELb0ES3_jN6thrust23THRUST_200600_302600_NS6detail15normal_iteratorINSA_10device_ptrIjEEEEPS6_NSA_18transform_iteratorI7is_evenIjESF_NSA_11use_defaultESK_EENS0_5tupleIJSF_SF_EEENSM_IJSG_SG_EEES6_PlJS6_EEE10hipError_tPvRmT3_T4_T5_T6_T7_T9_mT8_P12ihipStream_tbDpT10_ENKUlT_T0_E_clISt17integral_constantIbLb0EES18_IbLb1EEEEDaS14_S15_EUlS14_E_NS1_11comp_targetILNS1_3genE0ELNS1_11target_archE4294967295ELNS1_3gpuE0ELNS1_3repE0EEENS1_30default_config_static_selectorELNS0_4arch9wavefront6targetE1EEEvT1_.kd
    .uniform_work_group_size: 1
    .uses_dynamic_stack: false
    .vgpr_count:     0
    .vgpr_spill_count: 0
    .wavefront_size: 64
  - .agpr_count:     0
    .args:
      - .offset:         0
        .size:           144
        .value_kind:     by_value
    .group_segment_fixed_size: 30728
    .kernarg_segment_align: 8
    .kernarg_segment_size: 144
    .language:       OpenCL C
    .language_version:
      - 2
      - 0
    .max_flat_workgroup_size: 512
    .name:           _ZN7rocprim17ROCPRIM_400000_NS6detail17trampoline_kernelINS0_14default_configENS1_25partition_config_selectorILNS1_17partition_subalgoE1EjNS0_10empty_typeEbEEZZNS1_14partition_implILS5_1ELb0ES3_jN6thrust23THRUST_200600_302600_NS6detail15normal_iteratorINSA_10device_ptrIjEEEEPS6_NSA_18transform_iteratorI7is_evenIjESF_NSA_11use_defaultESK_EENS0_5tupleIJSF_SF_EEENSM_IJSG_SG_EEES6_PlJS6_EEE10hipError_tPvRmT3_T4_T5_T6_T7_T9_mT8_P12ihipStream_tbDpT10_ENKUlT_T0_E_clISt17integral_constantIbLb0EES18_IbLb1EEEEDaS14_S15_EUlS14_E_NS1_11comp_targetILNS1_3genE5ELNS1_11target_archE942ELNS1_3gpuE9ELNS1_3repE0EEENS1_30default_config_static_selectorELNS0_4arch9wavefront6targetE1EEEvT1_
    .private_segment_fixed_size: 0
    .sgpr_count:     50
    .sgpr_spill_count: 0
    .symbol:         _ZN7rocprim17ROCPRIM_400000_NS6detail17trampoline_kernelINS0_14default_configENS1_25partition_config_selectorILNS1_17partition_subalgoE1EjNS0_10empty_typeEbEEZZNS1_14partition_implILS5_1ELb0ES3_jN6thrust23THRUST_200600_302600_NS6detail15normal_iteratorINSA_10device_ptrIjEEEEPS6_NSA_18transform_iteratorI7is_evenIjESF_NSA_11use_defaultESK_EENS0_5tupleIJSF_SF_EEENSM_IJSG_SG_EEES6_PlJS6_EEE10hipError_tPvRmT3_T4_T5_T6_T7_T9_mT8_P12ihipStream_tbDpT10_ENKUlT_T0_E_clISt17integral_constantIbLb0EES18_IbLb1EEEEDaS14_S15_EUlS14_E_NS1_11comp_targetILNS1_3genE5ELNS1_11target_archE942ELNS1_3gpuE9ELNS1_3repE0EEENS1_30default_config_static_selectorELNS0_4arch9wavefront6targetE1EEEvT1_.kd
    .uniform_work_group_size: 1
    .uses_dynamic_stack: false
    .vgpr_count:     69
    .vgpr_spill_count: 0
    .wavefront_size: 64
  - .agpr_count:     0
    .args:
      - .offset:         0
        .size:           144
        .value_kind:     by_value
    .group_segment_fixed_size: 0
    .kernarg_segment_align: 8
    .kernarg_segment_size: 144
    .language:       OpenCL C
    .language_version:
      - 2
      - 0
    .max_flat_workgroup_size: 256
    .name:           _ZN7rocprim17ROCPRIM_400000_NS6detail17trampoline_kernelINS0_14default_configENS1_25partition_config_selectorILNS1_17partition_subalgoE1EjNS0_10empty_typeEbEEZZNS1_14partition_implILS5_1ELb0ES3_jN6thrust23THRUST_200600_302600_NS6detail15normal_iteratorINSA_10device_ptrIjEEEEPS6_NSA_18transform_iteratorI7is_evenIjESF_NSA_11use_defaultESK_EENS0_5tupleIJSF_SF_EEENSM_IJSG_SG_EEES6_PlJS6_EEE10hipError_tPvRmT3_T4_T5_T6_T7_T9_mT8_P12ihipStream_tbDpT10_ENKUlT_T0_E_clISt17integral_constantIbLb0EES18_IbLb1EEEEDaS14_S15_EUlS14_E_NS1_11comp_targetILNS1_3genE4ELNS1_11target_archE910ELNS1_3gpuE8ELNS1_3repE0EEENS1_30default_config_static_selectorELNS0_4arch9wavefront6targetE1EEEvT1_
    .private_segment_fixed_size: 0
    .sgpr_count:     6
    .sgpr_spill_count: 0
    .symbol:         _ZN7rocprim17ROCPRIM_400000_NS6detail17trampoline_kernelINS0_14default_configENS1_25partition_config_selectorILNS1_17partition_subalgoE1EjNS0_10empty_typeEbEEZZNS1_14partition_implILS5_1ELb0ES3_jN6thrust23THRUST_200600_302600_NS6detail15normal_iteratorINSA_10device_ptrIjEEEEPS6_NSA_18transform_iteratorI7is_evenIjESF_NSA_11use_defaultESK_EENS0_5tupleIJSF_SF_EEENSM_IJSG_SG_EEES6_PlJS6_EEE10hipError_tPvRmT3_T4_T5_T6_T7_T9_mT8_P12ihipStream_tbDpT10_ENKUlT_T0_E_clISt17integral_constantIbLb0EES18_IbLb1EEEEDaS14_S15_EUlS14_E_NS1_11comp_targetILNS1_3genE4ELNS1_11target_archE910ELNS1_3gpuE8ELNS1_3repE0EEENS1_30default_config_static_selectorELNS0_4arch9wavefront6targetE1EEEvT1_.kd
    .uniform_work_group_size: 1
    .uses_dynamic_stack: false
    .vgpr_count:     0
    .vgpr_spill_count: 0
    .wavefront_size: 64
  - .agpr_count:     0
    .args:
      - .offset:         0
        .size:           144
        .value_kind:     by_value
    .group_segment_fixed_size: 0
    .kernarg_segment_align: 8
    .kernarg_segment_size: 144
    .language:       OpenCL C
    .language_version:
      - 2
      - 0
    .max_flat_workgroup_size: 256
    .name:           _ZN7rocprim17ROCPRIM_400000_NS6detail17trampoline_kernelINS0_14default_configENS1_25partition_config_selectorILNS1_17partition_subalgoE1EjNS0_10empty_typeEbEEZZNS1_14partition_implILS5_1ELb0ES3_jN6thrust23THRUST_200600_302600_NS6detail15normal_iteratorINSA_10device_ptrIjEEEEPS6_NSA_18transform_iteratorI7is_evenIjESF_NSA_11use_defaultESK_EENS0_5tupleIJSF_SF_EEENSM_IJSG_SG_EEES6_PlJS6_EEE10hipError_tPvRmT3_T4_T5_T6_T7_T9_mT8_P12ihipStream_tbDpT10_ENKUlT_T0_E_clISt17integral_constantIbLb0EES18_IbLb1EEEEDaS14_S15_EUlS14_E_NS1_11comp_targetILNS1_3genE3ELNS1_11target_archE908ELNS1_3gpuE7ELNS1_3repE0EEENS1_30default_config_static_selectorELNS0_4arch9wavefront6targetE1EEEvT1_
    .private_segment_fixed_size: 0
    .sgpr_count:     6
    .sgpr_spill_count: 0
    .symbol:         _ZN7rocprim17ROCPRIM_400000_NS6detail17trampoline_kernelINS0_14default_configENS1_25partition_config_selectorILNS1_17partition_subalgoE1EjNS0_10empty_typeEbEEZZNS1_14partition_implILS5_1ELb0ES3_jN6thrust23THRUST_200600_302600_NS6detail15normal_iteratorINSA_10device_ptrIjEEEEPS6_NSA_18transform_iteratorI7is_evenIjESF_NSA_11use_defaultESK_EENS0_5tupleIJSF_SF_EEENSM_IJSG_SG_EEES6_PlJS6_EEE10hipError_tPvRmT3_T4_T5_T6_T7_T9_mT8_P12ihipStream_tbDpT10_ENKUlT_T0_E_clISt17integral_constantIbLb0EES18_IbLb1EEEEDaS14_S15_EUlS14_E_NS1_11comp_targetILNS1_3genE3ELNS1_11target_archE908ELNS1_3gpuE7ELNS1_3repE0EEENS1_30default_config_static_selectorELNS0_4arch9wavefront6targetE1EEEvT1_.kd
    .uniform_work_group_size: 1
    .uses_dynamic_stack: false
    .vgpr_count:     0
    .vgpr_spill_count: 0
    .wavefront_size: 64
  - .agpr_count:     0
    .args:
      - .offset:         0
        .size:           144
        .value_kind:     by_value
    .group_segment_fixed_size: 0
    .kernarg_segment_align: 8
    .kernarg_segment_size: 144
    .language:       OpenCL C
    .language_version:
      - 2
      - 0
    .max_flat_workgroup_size: 256
    .name:           _ZN7rocprim17ROCPRIM_400000_NS6detail17trampoline_kernelINS0_14default_configENS1_25partition_config_selectorILNS1_17partition_subalgoE1EjNS0_10empty_typeEbEEZZNS1_14partition_implILS5_1ELb0ES3_jN6thrust23THRUST_200600_302600_NS6detail15normal_iteratorINSA_10device_ptrIjEEEEPS6_NSA_18transform_iteratorI7is_evenIjESF_NSA_11use_defaultESK_EENS0_5tupleIJSF_SF_EEENSM_IJSG_SG_EEES6_PlJS6_EEE10hipError_tPvRmT3_T4_T5_T6_T7_T9_mT8_P12ihipStream_tbDpT10_ENKUlT_T0_E_clISt17integral_constantIbLb0EES18_IbLb1EEEEDaS14_S15_EUlS14_E_NS1_11comp_targetILNS1_3genE2ELNS1_11target_archE906ELNS1_3gpuE6ELNS1_3repE0EEENS1_30default_config_static_selectorELNS0_4arch9wavefront6targetE1EEEvT1_
    .private_segment_fixed_size: 0
    .sgpr_count:     6
    .sgpr_spill_count: 0
    .symbol:         _ZN7rocprim17ROCPRIM_400000_NS6detail17trampoline_kernelINS0_14default_configENS1_25partition_config_selectorILNS1_17partition_subalgoE1EjNS0_10empty_typeEbEEZZNS1_14partition_implILS5_1ELb0ES3_jN6thrust23THRUST_200600_302600_NS6detail15normal_iteratorINSA_10device_ptrIjEEEEPS6_NSA_18transform_iteratorI7is_evenIjESF_NSA_11use_defaultESK_EENS0_5tupleIJSF_SF_EEENSM_IJSG_SG_EEES6_PlJS6_EEE10hipError_tPvRmT3_T4_T5_T6_T7_T9_mT8_P12ihipStream_tbDpT10_ENKUlT_T0_E_clISt17integral_constantIbLb0EES18_IbLb1EEEEDaS14_S15_EUlS14_E_NS1_11comp_targetILNS1_3genE2ELNS1_11target_archE906ELNS1_3gpuE6ELNS1_3repE0EEENS1_30default_config_static_selectorELNS0_4arch9wavefront6targetE1EEEvT1_.kd
    .uniform_work_group_size: 1
    .uses_dynamic_stack: false
    .vgpr_count:     0
    .vgpr_spill_count: 0
    .wavefront_size: 64
  - .agpr_count:     0
    .args:
      - .offset:         0
        .size:           144
        .value_kind:     by_value
    .group_segment_fixed_size: 0
    .kernarg_segment_align: 8
    .kernarg_segment_size: 144
    .language:       OpenCL C
    .language_version:
      - 2
      - 0
    .max_flat_workgroup_size: 256
    .name:           _ZN7rocprim17ROCPRIM_400000_NS6detail17trampoline_kernelINS0_14default_configENS1_25partition_config_selectorILNS1_17partition_subalgoE1EjNS0_10empty_typeEbEEZZNS1_14partition_implILS5_1ELb0ES3_jN6thrust23THRUST_200600_302600_NS6detail15normal_iteratorINSA_10device_ptrIjEEEEPS6_NSA_18transform_iteratorI7is_evenIjESF_NSA_11use_defaultESK_EENS0_5tupleIJSF_SF_EEENSM_IJSG_SG_EEES6_PlJS6_EEE10hipError_tPvRmT3_T4_T5_T6_T7_T9_mT8_P12ihipStream_tbDpT10_ENKUlT_T0_E_clISt17integral_constantIbLb0EES18_IbLb1EEEEDaS14_S15_EUlS14_E_NS1_11comp_targetILNS1_3genE10ELNS1_11target_archE1200ELNS1_3gpuE4ELNS1_3repE0EEENS1_30default_config_static_selectorELNS0_4arch9wavefront6targetE1EEEvT1_
    .private_segment_fixed_size: 0
    .sgpr_count:     6
    .sgpr_spill_count: 0
    .symbol:         _ZN7rocprim17ROCPRIM_400000_NS6detail17trampoline_kernelINS0_14default_configENS1_25partition_config_selectorILNS1_17partition_subalgoE1EjNS0_10empty_typeEbEEZZNS1_14partition_implILS5_1ELb0ES3_jN6thrust23THRUST_200600_302600_NS6detail15normal_iteratorINSA_10device_ptrIjEEEEPS6_NSA_18transform_iteratorI7is_evenIjESF_NSA_11use_defaultESK_EENS0_5tupleIJSF_SF_EEENSM_IJSG_SG_EEES6_PlJS6_EEE10hipError_tPvRmT3_T4_T5_T6_T7_T9_mT8_P12ihipStream_tbDpT10_ENKUlT_T0_E_clISt17integral_constantIbLb0EES18_IbLb1EEEEDaS14_S15_EUlS14_E_NS1_11comp_targetILNS1_3genE10ELNS1_11target_archE1200ELNS1_3gpuE4ELNS1_3repE0EEENS1_30default_config_static_selectorELNS0_4arch9wavefront6targetE1EEEvT1_.kd
    .uniform_work_group_size: 1
    .uses_dynamic_stack: false
    .vgpr_count:     0
    .vgpr_spill_count: 0
    .wavefront_size: 64
  - .agpr_count:     0
    .args:
      - .offset:         0
        .size:           144
        .value_kind:     by_value
    .group_segment_fixed_size: 0
    .kernarg_segment_align: 8
    .kernarg_segment_size: 144
    .language:       OpenCL C
    .language_version:
      - 2
      - 0
    .max_flat_workgroup_size: 128
    .name:           _ZN7rocprim17ROCPRIM_400000_NS6detail17trampoline_kernelINS0_14default_configENS1_25partition_config_selectorILNS1_17partition_subalgoE1EjNS0_10empty_typeEbEEZZNS1_14partition_implILS5_1ELb0ES3_jN6thrust23THRUST_200600_302600_NS6detail15normal_iteratorINSA_10device_ptrIjEEEEPS6_NSA_18transform_iteratorI7is_evenIjESF_NSA_11use_defaultESK_EENS0_5tupleIJSF_SF_EEENSM_IJSG_SG_EEES6_PlJS6_EEE10hipError_tPvRmT3_T4_T5_T6_T7_T9_mT8_P12ihipStream_tbDpT10_ENKUlT_T0_E_clISt17integral_constantIbLb0EES18_IbLb1EEEEDaS14_S15_EUlS14_E_NS1_11comp_targetILNS1_3genE9ELNS1_11target_archE1100ELNS1_3gpuE3ELNS1_3repE0EEENS1_30default_config_static_selectorELNS0_4arch9wavefront6targetE1EEEvT1_
    .private_segment_fixed_size: 0
    .sgpr_count:     6
    .sgpr_spill_count: 0
    .symbol:         _ZN7rocprim17ROCPRIM_400000_NS6detail17trampoline_kernelINS0_14default_configENS1_25partition_config_selectorILNS1_17partition_subalgoE1EjNS0_10empty_typeEbEEZZNS1_14partition_implILS5_1ELb0ES3_jN6thrust23THRUST_200600_302600_NS6detail15normal_iteratorINSA_10device_ptrIjEEEEPS6_NSA_18transform_iteratorI7is_evenIjESF_NSA_11use_defaultESK_EENS0_5tupleIJSF_SF_EEENSM_IJSG_SG_EEES6_PlJS6_EEE10hipError_tPvRmT3_T4_T5_T6_T7_T9_mT8_P12ihipStream_tbDpT10_ENKUlT_T0_E_clISt17integral_constantIbLb0EES18_IbLb1EEEEDaS14_S15_EUlS14_E_NS1_11comp_targetILNS1_3genE9ELNS1_11target_archE1100ELNS1_3gpuE3ELNS1_3repE0EEENS1_30default_config_static_selectorELNS0_4arch9wavefront6targetE1EEEvT1_.kd
    .uniform_work_group_size: 1
    .uses_dynamic_stack: false
    .vgpr_count:     0
    .vgpr_spill_count: 0
    .wavefront_size: 64
  - .agpr_count:     0
    .args:
      - .offset:         0
        .size:           144
        .value_kind:     by_value
    .group_segment_fixed_size: 0
    .kernarg_segment_align: 8
    .kernarg_segment_size: 144
    .language:       OpenCL C
    .language_version:
      - 2
      - 0
    .max_flat_workgroup_size: 512
    .name:           _ZN7rocprim17ROCPRIM_400000_NS6detail17trampoline_kernelINS0_14default_configENS1_25partition_config_selectorILNS1_17partition_subalgoE1EjNS0_10empty_typeEbEEZZNS1_14partition_implILS5_1ELb0ES3_jN6thrust23THRUST_200600_302600_NS6detail15normal_iteratorINSA_10device_ptrIjEEEEPS6_NSA_18transform_iteratorI7is_evenIjESF_NSA_11use_defaultESK_EENS0_5tupleIJSF_SF_EEENSM_IJSG_SG_EEES6_PlJS6_EEE10hipError_tPvRmT3_T4_T5_T6_T7_T9_mT8_P12ihipStream_tbDpT10_ENKUlT_T0_E_clISt17integral_constantIbLb0EES18_IbLb1EEEEDaS14_S15_EUlS14_E_NS1_11comp_targetILNS1_3genE8ELNS1_11target_archE1030ELNS1_3gpuE2ELNS1_3repE0EEENS1_30default_config_static_selectorELNS0_4arch9wavefront6targetE1EEEvT1_
    .private_segment_fixed_size: 0
    .sgpr_count:     6
    .sgpr_spill_count: 0
    .symbol:         _ZN7rocprim17ROCPRIM_400000_NS6detail17trampoline_kernelINS0_14default_configENS1_25partition_config_selectorILNS1_17partition_subalgoE1EjNS0_10empty_typeEbEEZZNS1_14partition_implILS5_1ELb0ES3_jN6thrust23THRUST_200600_302600_NS6detail15normal_iteratorINSA_10device_ptrIjEEEEPS6_NSA_18transform_iteratorI7is_evenIjESF_NSA_11use_defaultESK_EENS0_5tupleIJSF_SF_EEENSM_IJSG_SG_EEES6_PlJS6_EEE10hipError_tPvRmT3_T4_T5_T6_T7_T9_mT8_P12ihipStream_tbDpT10_ENKUlT_T0_E_clISt17integral_constantIbLb0EES18_IbLb1EEEEDaS14_S15_EUlS14_E_NS1_11comp_targetILNS1_3genE8ELNS1_11target_archE1030ELNS1_3gpuE2ELNS1_3repE0EEENS1_30default_config_static_selectorELNS0_4arch9wavefront6targetE1EEEvT1_.kd
    .uniform_work_group_size: 1
    .uses_dynamic_stack: false
    .vgpr_count:     0
    .vgpr_spill_count: 0
    .wavefront_size: 64
  - .agpr_count:     0
    .args:
      - .offset:         0
        .size:           128
        .value_kind:     by_value
    .group_segment_fixed_size: 0
    .kernarg_segment_align: 8
    .kernarg_segment_size: 128
    .language:       OpenCL C
    .language_version:
      - 2
      - 0
    .max_flat_workgroup_size: 256
    .name:           _ZN7rocprim17ROCPRIM_400000_NS6detail17trampoline_kernelINS0_14default_configENS1_25partition_config_selectorILNS1_17partition_subalgoE1EtNS0_10empty_typeEbEEZZNS1_14partition_implILS5_1ELb0ES3_jN6thrust23THRUST_200600_302600_NS6detail15normal_iteratorINSA_10device_ptrItEEEEPS6_NSA_18transform_iteratorI7is_evenItESF_NSA_11use_defaultESK_EENS0_5tupleIJSF_SF_EEENSM_IJSG_SG_EEES6_PlJS6_EEE10hipError_tPvRmT3_T4_T5_T6_T7_T9_mT8_P12ihipStream_tbDpT10_ENKUlT_T0_E_clISt17integral_constantIbLb0EES19_EEDaS14_S15_EUlS14_E_NS1_11comp_targetILNS1_3genE0ELNS1_11target_archE4294967295ELNS1_3gpuE0ELNS1_3repE0EEENS1_30default_config_static_selectorELNS0_4arch9wavefront6targetE1EEEvT1_
    .private_segment_fixed_size: 0
    .sgpr_count:     6
    .sgpr_spill_count: 0
    .symbol:         _ZN7rocprim17ROCPRIM_400000_NS6detail17trampoline_kernelINS0_14default_configENS1_25partition_config_selectorILNS1_17partition_subalgoE1EtNS0_10empty_typeEbEEZZNS1_14partition_implILS5_1ELb0ES3_jN6thrust23THRUST_200600_302600_NS6detail15normal_iteratorINSA_10device_ptrItEEEEPS6_NSA_18transform_iteratorI7is_evenItESF_NSA_11use_defaultESK_EENS0_5tupleIJSF_SF_EEENSM_IJSG_SG_EEES6_PlJS6_EEE10hipError_tPvRmT3_T4_T5_T6_T7_T9_mT8_P12ihipStream_tbDpT10_ENKUlT_T0_E_clISt17integral_constantIbLb0EES19_EEDaS14_S15_EUlS14_E_NS1_11comp_targetILNS1_3genE0ELNS1_11target_archE4294967295ELNS1_3gpuE0ELNS1_3repE0EEENS1_30default_config_static_selectorELNS0_4arch9wavefront6targetE1EEEvT1_.kd
    .uniform_work_group_size: 1
    .uses_dynamic_stack: false
    .vgpr_count:     0
    .vgpr_spill_count: 0
    .wavefront_size: 64
  - .agpr_count:     0
    .args:
      - .offset:         0
        .size:           128
        .value_kind:     by_value
    .group_segment_fixed_size: 28680
    .kernarg_segment_align: 8
    .kernarg_segment_size: 128
    .language:       OpenCL C
    .language_version:
      - 2
      - 0
    .max_flat_workgroup_size: 512
    .name:           _ZN7rocprim17ROCPRIM_400000_NS6detail17trampoline_kernelINS0_14default_configENS1_25partition_config_selectorILNS1_17partition_subalgoE1EtNS0_10empty_typeEbEEZZNS1_14partition_implILS5_1ELb0ES3_jN6thrust23THRUST_200600_302600_NS6detail15normal_iteratorINSA_10device_ptrItEEEEPS6_NSA_18transform_iteratorI7is_evenItESF_NSA_11use_defaultESK_EENS0_5tupleIJSF_SF_EEENSM_IJSG_SG_EEES6_PlJS6_EEE10hipError_tPvRmT3_T4_T5_T6_T7_T9_mT8_P12ihipStream_tbDpT10_ENKUlT_T0_E_clISt17integral_constantIbLb0EES19_EEDaS14_S15_EUlS14_E_NS1_11comp_targetILNS1_3genE5ELNS1_11target_archE942ELNS1_3gpuE9ELNS1_3repE0EEENS1_30default_config_static_selectorELNS0_4arch9wavefront6targetE1EEEvT1_
    .private_segment_fixed_size: 0
    .sgpr_count:     50
    .sgpr_spill_count: 0
    .symbol:         _ZN7rocprim17ROCPRIM_400000_NS6detail17trampoline_kernelINS0_14default_configENS1_25partition_config_selectorILNS1_17partition_subalgoE1EtNS0_10empty_typeEbEEZZNS1_14partition_implILS5_1ELb0ES3_jN6thrust23THRUST_200600_302600_NS6detail15normal_iteratorINSA_10device_ptrItEEEEPS6_NSA_18transform_iteratorI7is_evenItESF_NSA_11use_defaultESK_EENS0_5tupleIJSF_SF_EEENSM_IJSG_SG_EEES6_PlJS6_EEE10hipError_tPvRmT3_T4_T5_T6_T7_T9_mT8_P12ihipStream_tbDpT10_ENKUlT_T0_E_clISt17integral_constantIbLb0EES19_EEDaS14_S15_EUlS14_E_NS1_11comp_targetILNS1_3genE5ELNS1_11target_archE942ELNS1_3gpuE9ELNS1_3repE0EEENS1_30default_config_static_selectorELNS0_4arch9wavefront6targetE1EEEvT1_.kd
    .uniform_work_group_size: 1
    .uses_dynamic_stack: false
    .vgpr_count:     79
    .vgpr_spill_count: 0
    .wavefront_size: 64
  - .agpr_count:     0
    .args:
      - .offset:         0
        .size:           128
        .value_kind:     by_value
    .group_segment_fixed_size: 0
    .kernarg_segment_align: 8
    .kernarg_segment_size: 128
    .language:       OpenCL C
    .language_version:
      - 2
      - 0
    .max_flat_workgroup_size: 256
    .name:           _ZN7rocprim17ROCPRIM_400000_NS6detail17trampoline_kernelINS0_14default_configENS1_25partition_config_selectorILNS1_17partition_subalgoE1EtNS0_10empty_typeEbEEZZNS1_14partition_implILS5_1ELb0ES3_jN6thrust23THRUST_200600_302600_NS6detail15normal_iteratorINSA_10device_ptrItEEEEPS6_NSA_18transform_iteratorI7is_evenItESF_NSA_11use_defaultESK_EENS0_5tupleIJSF_SF_EEENSM_IJSG_SG_EEES6_PlJS6_EEE10hipError_tPvRmT3_T4_T5_T6_T7_T9_mT8_P12ihipStream_tbDpT10_ENKUlT_T0_E_clISt17integral_constantIbLb0EES19_EEDaS14_S15_EUlS14_E_NS1_11comp_targetILNS1_3genE4ELNS1_11target_archE910ELNS1_3gpuE8ELNS1_3repE0EEENS1_30default_config_static_selectorELNS0_4arch9wavefront6targetE1EEEvT1_
    .private_segment_fixed_size: 0
    .sgpr_count:     6
    .sgpr_spill_count: 0
    .symbol:         _ZN7rocprim17ROCPRIM_400000_NS6detail17trampoline_kernelINS0_14default_configENS1_25partition_config_selectorILNS1_17partition_subalgoE1EtNS0_10empty_typeEbEEZZNS1_14partition_implILS5_1ELb0ES3_jN6thrust23THRUST_200600_302600_NS6detail15normal_iteratorINSA_10device_ptrItEEEEPS6_NSA_18transform_iteratorI7is_evenItESF_NSA_11use_defaultESK_EENS0_5tupleIJSF_SF_EEENSM_IJSG_SG_EEES6_PlJS6_EEE10hipError_tPvRmT3_T4_T5_T6_T7_T9_mT8_P12ihipStream_tbDpT10_ENKUlT_T0_E_clISt17integral_constantIbLb0EES19_EEDaS14_S15_EUlS14_E_NS1_11comp_targetILNS1_3genE4ELNS1_11target_archE910ELNS1_3gpuE8ELNS1_3repE0EEENS1_30default_config_static_selectorELNS0_4arch9wavefront6targetE1EEEvT1_.kd
    .uniform_work_group_size: 1
    .uses_dynamic_stack: false
    .vgpr_count:     0
    .vgpr_spill_count: 0
    .wavefront_size: 64
  - .agpr_count:     0
    .args:
      - .offset:         0
        .size:           128
        .value_kind:     by_value
    .group_segment_fixed_size: 0
    .kernarg_segment_align: 8
    .kernarg_segment_size: 128
    .language:       OpenCL C
    .language_version:
      - 2
      - 0
    .max_flat_workgroup_size: 256
    .name:           _ZN7rocprim17ROCPRIM_400000_NS6detail17trampoline_kernelINS0_14default_configENS1_25partition_config_selectorILNS1_17partition_subalgoE1EtNS0_10empty_typeEbEEZZNS1_14partition_implILS5_1ELb0ES3_jN6thrust23THRUST_200600_302600_NS6detail15normal_iteratorINSA_10device_ptrItEEEEPS6_NSA_18transform_iteratorI7is_evenItESF_NSA_11use_defaultESK_EENS0_5tupleIJSF_SF_EEENSM_IJSG_SG_EEES6_PlJS6_EEE10hipError_tPvRmT3_T4_T5_T6_T7_T9_mT8_P12ihipStream_tbDpT10_ENKUlT_T0_E_clISt17integral_constantIbLb0EES19_EEDaS14_S15_EUlS14_E_NS1_11comp_targetILNS1_3genE3ELNS1_11target_archE908ELNS1_3gpuE7ELNS1_3repE0EEENS1_30default_config_static_selectorELNS0_4arch9wavefront6targetE1EEEvT1_
    .private_segment_fixed_size: 0
    .sgpr_count:     6
    .sgpr_spill_count: 0
    .symbol:         _ZN7rocprim17ROCPRIM_400000_NS6detail17trampoline_kernelINS0_14default_configENS1_25partition_config_selectorILNS1_17partition_subalgoE1EtNS0_10empty_typeEbEEZZNS1_14partition_implILS5_1ELb0ES3_jN6thrust23THRUST_200600_302600_NS6detail15normal_iteratorINSA_10device_ptrItEEEEPS6_NSA_18transform_iteratorI7is_evenItESF_NSA_11use_defaultESK_EENS0_5tupleIJSF_SF_EEENSM_IJSG_SG_EEES6_PlJS6_EEE10hipError_tPvRmT3_T4_T5_T6_T7_T9_mT8_P12ihipStream_tbDpT10_ENKUlT_T0_E_clISt17integral_constantIbLb0EES19_EEDaS14_S15_EUlS14_E_NS1_11comp_targetILNS1_3genE3ELNS1_11target_archE908ELNS1_3gpuE7ELNS1_3repE0EEENS1_30default_config_static_selectorELNS0_4arch9wavefront6targetE1EEEvT1_.kd
    .uniform_work_group_size: 1
    .uses_dynamic_stack: false
    .vgpr_count:     0
    .vgpr_spill_count: 0
    .wavefront_size: 64
  - .agpr_count:     0
    .args:
      - .offset:         0
        .size:           128
        .value_kind:     by_value
    .group_segment_fixed_size: 0
    .kernarg_segment_align: 8
    .kernarg_segment_size: 128
    .language:       OpenCL C
    .language_version:
      - 2
      - 0
    .max_flat_workgroup_size: 256
    .name:           _ZN7rocprim17ROCPRIM_400000_NS6detail17trampoline_kernelINS0_14default_configENS1_25partition_config_selectorILNS1_17partition_subalgoE1EtNS0_10empty_typeEbEEZZNS1_14partition_implILS5_1ELb0ES3_jN6thrust23THRUST_200600_302600_NS6detail15normal_iteratorINSA_10device_ptrItEEEEPS6_NSA_18transform_iteratorI7is_evenItESF_NSA_11use_defaultESK_EENS0_5tupleIJSF_SF_EEENSM_IJSG_SG_EEES6_PlJS6_EEE10hipError_tPvRmT3_T4_T5_T6_T7_T9_mT8_P12ihipStream_tbDpT10_ENKUlT_T0_E_clISt17integral_constantIbLb0EES19_EEDaS14_S15_EUlS14_E_NS1_11comp_targetILNS1_3genE2ELNS1_11target_archE906ELNS1_3gpuE6ELNS1_3repE0EEENS1_30default_config_static_selectorELNS0_4arch9wavefront6targetE1EEEvT1_
    .private_segment_fixed_size: 0
    .sgpr_count:     6
    .sgpr_spill_count: 0
    .symbol:         _ZN7rocprim17ROCPRIM_400000_NS6detail17trampoline_kernelINS0_14default_configENS1_25partition_config_selectorILNS1_17partition_subalgoE1EtNS0_10empty_typeEbEEZZNS1_14partition_implILS5_1ELb0ES3_jN6thrust23THRUST_200600_302600_NS6detail15normal_iteratorINSA_10device_ptrItEEEEPS6_NSA_18transform_iteratorI7is_evenItESF_NSA_11use_defaultESK_EENS0_5tupleIJSF_SF_EEENSM_IJSG_SG_EEES6_PlJS6_EEE10hipError_tPvRmT3_T4_T5_T6_T7_T9_mT8_P12ihipStream_tbDpT10_ENKUlT_T0_E_clISt17integral_constantIbLb0EES19_EEDaS14_S15_EUlS14_E_NS1_11comp_targetILNS1_3genE2ELNS1_11target_archE906ELNS1_3gpuE6ELNS1_3repE0EEENS1_30default_config_static_selectorELNS0_4arch9wavefront6targetE1EEEvT1_.kd
    .uniform_work_group_size: 1
    .uses_dynamic_stack: false
    .vgpr_count:     0
    .vgpr_spill_count: 0
    .wavefront_size: 64
  - .agpr_count:     0
    .args:
      - .offset:         0
        .size:           128
        .value_kind:     by_value
    .group_segment_fixed_size: 0
    .kernarg_segment_align: 8
    .kernarg_segment_size: 128
    .language:       OpenCL C
    .language_version:
      - 2
      - 0
    .max_flat_workgroup_size: 384
    .name:           _ZN7rocprim17ROCPRIM_400000_NS6detail17trampoline_kernelINS0_14default_configENS1_25partition_config_selectorILNS1_17partition_subalgoE1EtNS0_10empty_typeEbEEZZNS1_14partition_implILS5_1ELb0ES3_jN6thrust23THRUST_200600_302600_NS6detail15normal_iteratorINSA_10device_ptrItEEEEPS6_NSA_18transform_iteratorI7is_evenItESF_NSA_11use_defaultESK_EENS0_5tupleIJSF_SF_EEENSM_IJSG_SG_EEES6_PlJS6_EEE10hipError_tPvRmT3_T4_T5_T6_T7_T9_mT8_P12ihipStream_tbDpT10_ENKUlT_T0_E_clISt17integral_constantIbLb0EES19_EEDaS14_S15_EUlS14_E_NS1_11comp_targetILNS1_3genE10ELNS1_11target_archE1200ELNS1_3gpuE4ELNS1_3repE0EEENS1_30default_config_static_selectorELNS0_4arch9wavefront6targetE1EEEvT1_
    .private_segment_fixed_size: 0
    .sgpr_count:     6
    .sgpr_spill_count: 0
    .symbol:         _ZN7rocprim17ROCPRIM_400000_NS6detail17trampoline_kernelINS0_14default_configENS1_25partition_config_selectorILNS1_17partition_subalgoE1EtNS0_10empty_typeEbEEZZNS1_14partition_implILS5_1ELb0ES3_jN6thrust23THRUST_200600_302600_NS6detail15normal_iteratorINSA_10device_ptrItEEEEPS6_NSA_18transform_iteratorI7is_evenItESF_NSA_11use_defaultESK_EENS0_5tupleIJSF_SF_EEENSM_IJSG_SG_EEES6_PlJS6_EEE10hipError_tPvRmT3_T4_T5_T6_T7_T9_mT8_P12ihipStream_tbDpT10_ENKUlT_T0_E_clISt17integral_constantIbLb0EES19_EEDaS14_S15_EUlS14_E_NS1_11comp_targetILNS1_3genE10ELNS1_11target_archE1200ELNS1_3gpuE4ELNS1_3repE0EEENS1_30default_config_static_selectorELNS0_4arch9wavefront6targetE1EEEvT1_.kd
    .uniform_work_group_size: 1
    .uses_dynamic_stack: false
    .vgpr_count:     0
    .vgpr_spill_count: 0
    .wavefront_size: 64
  - .agpr_count:     0
    .args:
      - .offset:         0
        .size:           128
        .value_kind:     by_value
    .group_segment_fixed_size: 0
    .kernarg_segment_align: 8
    .kernarg_segment_size: 128
    .language:       OpenCL C
    .language_version:
      - 2
      - 0
    .max_flat_workgroup_size: 128
    .name:           _ZN7rocprim17ROCPRIM_400000_NS6detail17trampoline_kernelINS0_14default_configENS1_25partition_config_selectorILNS1_17partition_subalgoE1EtNS0_10empty_typeEbEEZZNS1_14partition_implILS5_1ELb0ES3_jN6thrust23THRUST_200600_302600_NS6detail15normal_iteratorINSA_10device_ptrItEEEEPS6_NSA_18transform_iteratorI7is_evenItESF_NSA_11use_defaultESK_EENS0_5tupleIJSF_SF_EEENSM_IJSG_SG_EEES6_PlJS6_EEE10hipError_tPvRmT3_T4_T5_T6_T7_T9_mT8_P12ihipStream_tbDpT10_ENKUlT_T0_E_clISt17integral_constantIbLb0EES19_EEDaS14_S15_EUlS14_E_NS1_11comp_targetILNS1_3genE9ELNS1_11target_archE1100ELNS1_3gpuE3ELNS1_3repE0EEENS1_30default_config_static_selectorELNS0_4arch9wavefront6targetE1EEEvT1_
    .private_segment_fixed_size: 0
    .sgpr_count:     6
    .sgpr_spill_count: 0
    .symbol:         _ZN7rocprim17ROCPRIM_400000_NS6detail17trampoline_kernelINS0_14default_configENS1_25partition_config_selectorILNS1_17partition_subalgoE1EtNS0_10empty_typeEbEEZZNS1_14partition_implILS5_1ELb0ES3_jN6thrust23THRUST_200600_302600_NS6detail15normal_iteratorINSA_10device_ptrItEEEEPS6_NSA_18transform_iteratorI7is_evenItESF_NSA_11use_defaultESK_EENS0_5tupleIJSF_SF_EEENSM_IJSG_SG_EEES6_PlJS6_EEE10hipError_tPvRmT3_T4_T5_T6_T7_T9_mT8_P12ihipStream_tbDpT10_ENKUlT_T0_E_clISt17integral_constantIbLb0EES19_EEDaS14_S15_EUlS14_E_NS1_11comp_targetILNS1_3genE9ELNS1_11target_archE1100ELNS1_3gpuE3ELNS1_3repE0EEENS1_30default_config_static_selectorELNS0_4arch9wavefront6targetE1EEEvT1_.kd
    .uniform_work_group_size: 1
    .uses_dynamic_stack: false
    .vgpr_count:     0
    .vgpr_spill_count: 0
    .wavefront_size: 64
  - .agpr_count:     0
    .args:
      - .offset:         0
        .size:           128
        .value_kind:     by_value
    .group_segment_fixed_size: 0
    .kernarg_segment_align: 8
    .kernarg_segment_size: 128
    .language:       OpenCL C
    .language_version:
      - 2
      - 0
    .max_flat_workgroup_size: 512
    .name:           _ZN7rocprim17ROCPRIM_400000_NS6detail17trampoline_kernelINS0_14default_configENS1_25partition_config_selectorILNS1_17partition_subalgoE1EtNS0_10empty_typeEbEEZZNS1_14partition_implILS5_1ELb0ES3_jN6thrust23THRUST_200600_302600_NS6detail15normal_iteratorINSA_10device_ptrItEEEEPS6_NSA_18transform_iteratorI7is_evenItESF_NSA_11use_defaultESK_EENS0_5tupleIJSF_SF_EEENSM_IJSG_SG_EEES6_PlJS6_EEE10hipError_tPvRmT3_T4_T5_T6_T7_T9_mT8_P12ihipStream_tbDpT10_ENKUlT_T0_E_clISt17integral_constantIbLb0EES19_EEDaS14_S15_EUlS14_E_NS1_11comp_targetILNS1_3genE8ELNS1_11target_archE1030ELNS1_3gpuE2ELNS1_3repE0EEENS1_30default_config_static_selectorELNS0_4arch9wavefront6targetE1EEEvT1_
    .private_segment_fixed_size: 0
    .sgpr_count:     6
    .sgpr_spill_count: 0
    .symbol:         _ZN7rocprim17ROCPRIM_400000_NS6detail17trampoline_kernelINS0_14default_configENS1_25partition_config_selectorILNS1_17partition_subalgoE1EtNS0_10empty_typeEbEEZZNS1_14partition_implILS5_1ELb0ES3_jN6thrust23THRUST_200600_302600_NS6detail15normal_iteratorINSA_10device_ptrItEEEEPS6_NSA_18transform_iteratorI7is_evenItESF_NSA_11use_defaultESK_EENS0_5tupleIJSF_SF_EEENSM_IJSG_SG_EEES6_PlJS6_EEE10hipError_tPvRmT3_T4_T5_T6_T7_T9_mT8_P12ihipStream_tbDpT10_ENKUlT_T0_E_clISt17integral_constantIbLb0EES19_EEDaS14_S15_EUlS14_E_NS1_11comp_targetILNS1_3genE8ELNS1_11target_archE1030ELNS1_3gpuE2ELNS1_3repE0EEENS1_30default_config_static_selectorELNS0_4arch9wavefront6targetE1EEEvT1_.kd
    .uniform_work_group_size: 1
    .uses_dynamic_stack: false
    .vgpr_count:     0
    .vgpr_spill_count: 0
    .wavefront_size: 64
  - .agpr_count:     0
    .args:
      - .offset:         0
        .size:           144
        .value_kind:     by_value
    .group_segment_fixed_size: 0
    .kernarg_segment_align: 8
    .kernarg_segment_size: 144
    .language:       OpenCL C
    .language_version:
      - 2
      - 0
    .max_flat_workgroup_size: 256
    .name:           _ZN7rocprim17ROCPRIM_400000_NS6detail17trampoline_kernelINS0_14default_configENS1_25partition_config_selectorILNS1_17partition_subalgoE1EtNS0_10empty_typeEbEEZZNS1_14partition_implILS5_1ELb0ES3_jN6thrust23THRUST_200600_302600_NS6detail15normal_iteratorINSA_10device_ptrItEEEEPS6_NSA_18transform_iteratorI7is_evenItESF_NSA_11use_defaultESK_EENS0_5tupleIJSF_SF_EEENSM_IJSG_SG_EEES6_PlJS6_EEE10hipError_tPvRmT3_T4_T5_T6_T7_T9_mT8_P12ihipStream_tbDpT10_ENKUlT_T0_E_clISt17integral_constantIbLb1EES19_EEDaS14_S15_EUlS14_E_NS1_11comp_targetILNS1_3genE0ELNS1_11target_archE4294967295ELNS1_3gpuE0ELNS1_3repE0EEENS1_30default_config_static_selectorELNS0_4arch9wavefront6targetE1EEEvT1_
    .private_segment_fixed_size: 0
    .sgpr_count:     6
    .sgpr_spill_count: 0
    .symbol:         _ZN7rocprim17ROCPRIM_400000_NS6detail17trampoline_kernelINS0_14default_configENS1_25partition_config_selectorILNS1_17partition_subalgoE1EtNS0_10empty_typeEbEEZZNS1_14partition_implILS5_1ELb0ES3_jN6thrust23THRUST_200600_302600_NS6detail15normal_iteratorINSA_10device_ptrItEEEEPS6_NSA_18transform_iteratorI7is_evenItESF_NSA_11use_defaultESK_EENS0_5tupleIJSF_SF_EEENSM_IJSG_SG_EEES6_PlJS6_EEE10hipError_tPvRmT3_T4_T5_T6_T7_T9_mT8_P12ihipStream_tbDpT10_ENKUlT_T0_E_clISt17integral_constantIbLb1EES19_EEDaS14_S15_EUlS14_E_NS1_11comp_targetILNS1_3genE0ELNS1_11target_archE4294967295ELNS1_3gpuE0ELNS1_3repE0EEENS1_30default_config_static_selectorELNS0_4arch9wavefront6targetE1EEEvT1_.kd
    .uniform_work_group_size: 1
    .uses_dynamic_stack: false
    .vgpr_count:     0
    .vgpr_spill_count: 0
    .wavefront_size: 64
  - .agpr_count:     0
    .args:
      - .offset:         0
        .size:           144
        .value_kind:     by_value
    .group_segment_fixed_size: 28680
    .kernarg_segment_align: 8
    .kernarg_segment_size: 144
    .language:       OpenCL C
    .language_version:
      - 2
      - 0
    .max_flat_workgroup_size: 512
    .name:           _ZN7rocprim17ROCPRIM_400000_NS6detail17trampoline_kernelINS0_14default_configENS1_25partition_config_selectorILNS1_17partition_subalgoE1EtNS0_10empty_typeEbEEZZNS1_14partition_implILS5_1ELb0ES3_jN6thrust23THRUST_200600_302600_NS6detail15normal_iteratorINSA_10device_ptrItEEEEPS6_NSA_18transform_iteratorI7is_evenItESF_NSA_11use_defaultESK_EENS0_5tupleIJSF_SF_EEENSM_IJSG_SG_EEES6_PlJS6_EEE10hipError_tPvRmT3_T4_T5_T6_T7_T9_mT8_P12ihipStream_tbDpT10_ENKUlT_T0_E_clISt17integral_constantIbLb1EES19_EEDaS14_S15_EUlS14_E_NS1_11comp_targetILNS1_3genE5ELNS1_11target_archE942ELNS1_3gpuE9ELNS1_3repE0EEENS1_30default_config_static_selectorELNS0_4arch9wavefront6targetE1EEEvT1_
    .private_segment_fixed_size: 0
    .sgpr_count:     50
    .sgpr_spill_count: 0
    .symbol:         _ZN7rocprim17ROCPRIM_400000_NS6detail17trampoline_kernelINS0_14default_configENS1_25partition_config_selectorILNS1_17partition_subalgoE1EtNS0_10empty_typeEbEEZZNS1_14partition_implILS5_1ELb0ES3_jN6thrust23THRUST_200600_302600_NS6detail15normal_iteratorINSA_10device_ptrItEEEEPS6_NSA_18transform_iteratorI7is_evenItESF_NSA_11use_defaultESK_EENS0_5tupleIJSF_SF_EEENSM_IJSG_SG_EEES6_PlJS6_EEE10hipError_tPvRmT3_T4_T5_T6_T7_T9_mT8_P12ihipStream_tbDpT10_ENKUlT_T0_E_clISt17integral_constantIbLb1EES19_EEDaS14_S15_EUlS14_E_NS1_11comp_targetILNS1_3genE5ELNS1_11target_archE942ELNS1_3gpuE9ELNS1_3repE0EEENS1_30default_config_static_selectorELNS0_4arch9wavefront6targetE1EEEvT1_.kd
    .uniform_work_group_size: 1
    .uses_dynamic_stack: false
    .vgpr_count:     83
    .vgpr_spill_count: 0
    .wavefront_size: 64
  - .agpr_count:     0
    .args:
      - .offset:         0
        .size:           144
        .value_kind:     by_value
    .group_segment_fixed_size: 0
    .kernarg_segment_align: 8
    .kernarg_segment_size: 144
    .language:       OpenCL C
    .language_version:
      - 2
      - 0
    .max_flat_workgroup_size: 256
    .name:           _ZN7rocprim17ROCPRIM_400000_NS6detail17trampoline_kernelINS0_14default_configENS1_25partition_config_selectorILNS1_17partition_subalgoE1EtNS0_10empty_typeEbEEZZNS1_14partition_implILS5_1ELb0ES3_jN6thrust23THRUST_200600_302600_NS6detail15normal_iteratorINSA_10device_ptrItEEEEPS6_NSA_18transform_iteratorI7is_evenItESF_NSA_11use_defaultESK_EENS0_5tupleIJSF_SF_EEENSM_IJSG_SG_EEES6_PlJS6_EEE10hipError_tPvRmT3_T4_T5_T6_T7_T9_mT8_P12ihipStream_tbDpT10_ENKUlT_T0_E_clISt17integral_constantIbLb1EES19_EEDaS14_S15_EUlS14_E_NS1_11comp_targetILNS1_3genE4ELNS1_11target_archE910ELNS1_3gpuE8ELNS1_3repE0EEENS1_30default_config_static_selectorELNS0_4arch9wavefront6targetE1EEEvT1_
    .private_segment_fixed_size: 0
    .sgpr_count:     6
    .sgpr_spill_count: 0
    .symbol:         _ZN7rocprim17ROCPRIM_400000_NS6detail17trampoline_kernelINS0_14default_configENS1_25partition_config_selectorILNS1_17partition_subalgoE1EtNS0_10empty_typeEbEEZZNS1_14partition_implILS5_1ELb0ES3_jN6thrust23THRUST_200600_302600_NS6detail15normal_iteratorINSA_10device_ptrItEEEEPS6_NSA_18transform_iteratorI7is_evenItESF_NSA_11use_defaultESK_EENS0_5tupleIJSF_SF_EEENSM_IJSG_SG_EEES6_PlJS6_EEE10hipError_tPvRmT3_T4_T5_T6_T7_T9_mT8_P12ihipStream_tbDpT10_ENKUlT_T0_E_clISt17integral_constantIbLb1EES19_EEDaS14_S15_EUlS14_E_NS1_11comp_targetILNS1_3genE4ELNS1_11target_archE910ELNS1_3gpuE8ELNS1_3repE0EEENS1_30default_config_static_selectorELNS0_4arch9wavefront6targetE1EEEvT1_.kd
    .uniform_work_group_size: 1
    .uses_dynamic_stack: false
    .vgpr_count:     0
    .vgpr_spill_count: 0
    .wavefront_size: 64
  - .agpr_count:     0
    .args:
      - .offset:         0
        .size:           144
        .value_kind:     by_value
    .group_segment_fixed_size: 0
    .kernarg_segment_align: 8
    .kernarg_segment_size: 144
    .language:       OpenCL C
    .language_version:
      - 2
      - 0
    .max_flat_workgroup_size: 256
    .name:           _ZN7rocprim17ROCPRIM_400000_NS6detail17trampoline_kernelINS0_14default_configENS1_25partition_config_selectorILNS1_17partition_subalgoE1EtNS0_10empty_typeEbEEZZNS1_14partition_implILS5_1ELb0ES3_jN6thrust23THRUST_200600_302600_NS6detail15normal_iteratorINSA_10device_ptrItEEEEPS6_NSA_18transform_iteratorI7is_evenItESF_NSA_11use_defaultESK_EENS0_5tupleIJSF_SF_EEENSM_IJSG_SG_EEES6_PlJS6_EEE10hipError_tPvRmT3_T4_T5_T6_T7_T9_mT8_P12ihipStream_tbDpT10_ENKUlT_T0_E_clISt17integral_constantIbLb1EES19_EEDaS14_S15_EUlS14_E_NS1_11comp_targetILNS1_3genE3ELNS1_11target_archE908ELNS1_3gpuE7ELNS1_3repE0EEENS1_30default_config_static_selectorELNS0_4arch9wavefront6targetE1EEEvT1_
    .private_segment_fixed_size: 0
    .sgpr_count:     6
    .sgpr_spill_count: 0
    .symbol:         _ZN7rocprim17ROCPRIM_400000_NS6detail17trampoline_kernelINS0_14default_configENS1_25partition_config_selectorILNS1_17partition_subalgoE1EtNS0_10empty_typeEbEEZZNS1_14partition_implILS5_1ELb0ES3_jN6thrust23THRUST_200600_302600_NS6detail15normal_iteratorINSA_10device_ptrItEEEEPS6_NSA_18transform_iteratorI7is_evenItESF_NSA_11use_defaultESK_EENS0_5tupleIJSF_SF_EEENSM_IJSG_SG_EEES6_PlJS6_EEE10hipError_tPvRmT3_T4_T5_T6_T7_T9_mT8_P12ihipStream_tbDpT10_ENKUlT_T0_E_clISt17integral_constantIbLb1EES19_EEDaS14_S15_EUlS14_E_NS1_11comp_targetILNS1_3genE3ELNS1_11target_archE908ELNS1_3gpuE7ELNS1_3repE0EEENS1_30default_config_static_selectorELNS0_4arch9wavefront6targetE1EEEvT1_.kd
    .uniform_work_group_size: 1
    .uses_dynamic_stack: false
    .vgpr_count:     0
    .vgpr_spill_count: 0
    .wavefront_size: 64
  - .agpr_count:     0
    .args:
      - .offset:         0
        .size:           144
        .value_kind:     by_value
    .group_segment_fixed_size: 0
    .kernarg_segment_align: 8
    .kernarg_segment_size: 144
    .language:       OpenCL C
    .language_version:
      - 2
      - 0
    .max_flat_workgroup_size: 256
    .name:           _ZN7rocprim17ROCPRIM_400000_NS6detail17trampoline_kernelINS0_14default_configENS1_25partition_config_selectorILNS1_17partition_subalgoE1EtNS0_10empty_typeEbEEZZNS1_14partition_implILS5_1ELb0ES3_jN6thrust23THRUST_200600_302600_NS6detail15normal_iteratorINSA_10device_ptrItEEEEPS6_NSA_18transform_iteratorI7is_evenItESF_NSA_11use_defaultESK_EENS0_5tupleIJSF_SF_EEENSM_IJSG_SG_EEES6_PlJS6_EEE10hipError_tPvRmT3_T4_T5_T6_T7_T9_mT8_P12ihipStream_tbDpT10_ENKUlT_T0_E_clISt17integral_constantIbLb1EES19_EEDaS14_S15_EUlS14_E_NS1_11comp_targetILNS1_3genE2ELNS1_11target_archE906ELNS1_3gpuE6ELNS1_3repE0EEENS1_30default_config_static_selectorELNS0_4arch9wavefront6targetE1EEEvT1_
    .private_segment_fixed_size: 0
    .sgpr_count:     6
    .sgpr_spill_count: 0
    .symbol:         _ZN7rocprim17ROCPRIM_400000_NS6detail17trampoline_kernelINS0_14default_configENS1_25partition_config_selectorILNS1_17partition_subalgoE1EtNS0_10empty_typeEbEEZZNS1_14partition_implILS5_1ELb0ES3_jN6thrust23THRUST_200600_302600_NS6detail15normal_iteratorINSA_10device_ptrItEEEEPS6_NSA_18transform_iteratorI7is_evenItESF_NSA_11use_defaultESK_EENS0_5tupleIJSF_SF_EEENSM_IJSG_SG_EEES6_PlJS6_EEE10hipError_tPvRmT3_T4_T5_T6_T7_T9_mT8_P12ihipStream_tbDpT10_ENKUlT_T0_E_clISt17integral_constantIbLb1EES19_EEDaS14_S15_EUlS14_E_NS1_11comp_targetILNS1_3genE2ELNS1_11target_archE906ELNS1_3gpuE6ELNS1_3repE0EEENS1_30default_config_static_selectorELNS0_4arch9wavefront6targetE1EEEvT1_.kd
    .uniform_work_group_size: 1
    .uses_dynamic_stack: false
    .vgpr_count:     0
    .vgpr_spill_count: 0
    .wavefront_size: 64
  - .agpr_count:     0
    .args:
      - .offset:         0
        .size:           144
        .value_kind:     by_value
    .group_segment_fixed_size: 0
    .kernarg_segment_align: 8
    .kernarg_segment_size: 144
    .language:       OpenCL C
    .language_version:
      - 2
      - 0
    .max_flat_workgroup_size: 384
    .name:           _ZN7rocprim17ROCPRIM_400000_NS6detail17trampoline_kernelINS0_14default_configENS1_25partition_config_selectorILNS1_17partition_subalgoE1EtNS0_10empty_typeEbEEZZNS1_14partition_implILS5_1ELb0ES3_jN6thrust23THRUST_200600_302600_NS6detail15normal_iteratorINSA_10device_ptrItEEEEPS6_NSA_18transform_iteratorI7is_evenItESF_NSA_11use_defaultESK_EENS0_5tupleIJSF_SF_EEENSM_IJSG_SG_EEES6_PlJS6_EEE10hipError_tPvRmT3_T4_T5_T6_T7_T9_mT8_P12ihipStream_tbDpT10_ENKUlT_T0_E_clISt17integral_constantIbLb1EES19_EEDaS14_S15_EUlS14_E_NS1_11comp_targetILNS1_3genE10ELNS1_11target_archE1200ELNS1_3gpuE4ELNS1_3repE0EEENS1_30default_config_static_selectorELNS0_4arch9wavefront6targetE1EEEvT1_
    .private_segment_fixed_size: 0
    .sgpr_count:     6
    .sgpr_spill_count: 0
    .symbol:         _ZN7rocprim17ROCPRIM_400000_NS6detail17trampoline_kernelINS0_14default_configENS1_25partition_config_selectorILNS1_17partition_subalgoE1EtNS0_10empty_typeEbEEZZNS1_14partition_implILS5_1ELb0ES3_jN6thrust23THRUST_200600_302600_NS6detail15normal_iteratorINSA_10device_ptrItEEEEPS6_NSA_18transform_iteratorI7is_evenItESF_NSA_11use_defaultESK_EENS0_5tupleIJSF_SF_EEENSM_IJSG_SG_EEES6_PlJS6_EEE10hipError_tPvRmT3_T4_T5_T6_T7_T9_mT8_P12ihipStream_tbDpT10_ENKUlT_T0_E_clISt17integral_constantIbLb1EES19_EEDaS14_S15_EUlS14_E_NS1_11comp_targetILNS1_3genE10ELNS1_11target_archE1200ELNS1_3gpuE4ELNS1_3repE0EEENS1_30default_config_static_selectorELNS0_4arch9wavefront6targetE1EEEvT1_.kd
    .uniform_work_group_size: 1
    .uses_dynamic_stack: false
    .vgpr_count:     0
    .vgpr_spill_count: 0
    .wavefront_size: 64
  - .agpr_count:     0
    .args:
      - .offset:         0
        .size:           144
        .value_kind:     by_value
    .group_segment_fixed_size: 0
    .kernarg_segment_align: 8
    .kernarg_segment_size: 144
    .language:       OpenCL C
    .language_version:
      - 2
      - 0
    .max_flat_workgroup_size: 128
    .name:           _ZN7rocprim17ROCPRIM_400000_NS6detail17trampoline_kernelINS0_14default_configENS1_25partition_config_selectorILNS1_17partition_subalgoE1EtNS0_10empty_typeEbEEZZNS1_14partition_implILS5_1ELb0ES3_jN6thrust23THRUST_200600_302600_NS6detail15normal_iteratorINSA_10device_ptrItEEEEPS6_NSA_18transform_iteratorI7is_evenItESF_NSA_11use_defaultESK_EENS0_5tupleIJSF_SF_EEENSM_IJSG_SG_EEES6_PlJS6_EEE10hipError_tPvRmT3_T4_T5_T6_T7_T9_mT8_P12ihipStream_tbDpT10_ENKUlT_T0_E_clISt17integral_constantIbLb1EES19_EEDaS14_S15_EUlS14_E_NS1_11comp_targetILNS1_3genE9ELNS1_11target_archE1100ELNS1_3gpuE3ELNS1_3repE0EEENS1_30default_config_static_selectorELNS0_4arch9wavefront6targetE1EEEvT1_
    .private_segment_fixed_size: 0
    .sgpr_count:     6
    .sgpr_spill_count: 0
    .symbol:         _ZN7rocprim17ROCPRIM_400000_NS6detail17trampoline_kernelINS0_14default_configENS1_25partition_config_selectorILNS1_17partition_subalgoE1EtNS0_10empty_typeEbEEZZNS1_14partition_implILS5_1ELb0ES3_jN6thrust23THRUST_200600_302600_NS6detail15normal_iteratorINSA_10device_ptrItEEEEPS6_NSA_18transform_iteratorI7is_evenItESF_NSA_11use_defaultESK_EENS0_5tupleIJSF_SF_EEENSM_IJSG_SG_EEES6_PlJS6_EEE10hipError_tPvRmT3_T4_T5_T6_T7_T9_mT8_P12ihipStream_tbDpT10_ENKUlT_T0_E_clISt17integral_constantIbLb1EES19_EEDaS14_S15_EUlS14_E_NS1_11comp_targetILNS1_3genE9ELNS1_11target_archE1100ELNS1_3gpuE3ELNS1_3repE0EEENS1_30default_config_static_selectorELNS0_4arch9wavefront6targetE1EEEvT1_.kd
    .uniform_work_group_size: 1
    .uses_dynamic_stack: false
    .vgpr_count:     0
    .vgpr_spill_count: 0
    .wavefront_size: 64
  - .agpr_count:     0
    .args:
      - .offset:         0
        .size:           144
        .value_kind:     by_value
    .group_segment_fixed_size: 0
    .kernarg_segment_align: 8
    .kernarg_segment_size: 144
    .language:       OpenCL C
    .language_version:
      - 2
      - 0
    .max_flat_workgroup_size: 512
    .name:           _ZN7rocprim17ROCPRIM_400000_NS6detail17trampoline_kernelINS0_14default_configENS1_25partition_config_selectorILNS1_17partition_subalgoE1EtNS0_10empty_typeEbEEZZNS1_14partition_implILS5_1ELb0ES3_jN6thrust23THRUST_200600_302600_NS6detail15normal_iteratorINSA_10device_ptrItEEEEPS6_NSA_18transform_iteratorI7is_evenItESF_NSA_11use_defaultESK_EENS0_5tupleIJSF_SF_EEENSM_IJSG_SG_EEES6_PlJS6_EEE10hipError_tPvRmT3_T4_T5_T6_T7_T9_mT8_P12ihipStream_tbDpT10_ENKUlT_T0_E_clISt17integral_constantIbLb1EES19_EEDaS14_S15_EUlS14_E_NS1_11comp_targetILNS1_3genE8ELNS1_11target_archE1030ELNS1_3gpuE2ELNS1_3repE0EEENS1_30default_config_static_selectorELNS0_4arch9wavefront6targetE1EEEvT1_
    .private_segment_fixed_size: 0
    .sgpr_count:     6
    .sgpr_spill_count: 0
    .symbol:         _ZN7rocprim17ROCPRIM_400000_NS6detail17trampoline_kernelINS0_14default_configENS1_25partition_config_selectorILNS1_17partition_subalgoE1EtNS0_10empty_typeEbEEZZNS1_14partition_implILS5_1ELb0ES3_jN6thrust23THRUST_200600_302600_NS6detail15normal_iteratorINSA_10device_ptrItEEEEPS6_NSA_18transform_iteratorI7is_evenItESF_NSA_11use_defaultESK_EENS0_5tupleIJSF_SF_EEENSM_IJSG_SG_EEES6_PlJS6_EEE10hipError_tPvRmT3_T4_T5_T6_T7_T9_mT8_P12ihipStream_tbDpT10_ENKUlT_T0_E_clISt17integral_constantIbLb1EES19_EEDaS14_S15_EUlS14_E_NS1_11comp_targetILNS1_3genE8ELNS1_11target_archE1030ELNS1_3gpuE2ELNS1_3repE0EEENS1_30default_config_static_selectorELNS0_4arch9wavefront6targetE1EEEvT1_.kd
    .uniform_work_group_size: 1
    .uses_dynamic_stack: false
    .vgpr_count:     0
    .vgpr_spill_count: 0
    .wavefront_size: 64
  - .agpr_count:     0
    .args:
      - .offset:         0
        .size:           128
        .value_kind:     by_value
    .group_segment_fixed_size: 0
    .kernarg_segment_align: 8
    .kernarg_segment_size: 128
    .language:       OpenCL C
    .language_version:
      - 2
      - 0
    .max_flat_workgroup_size: 256
    .name:           _ZN7rocprim17ROCPRIM_400000_NS6detail17trampoline_kernelINS0_14default_configENS1_25partition_config_selectorILNS1_17partition_subalgoE1EtNS0_10empty_typeEbEEZZNS1_14partition_implILS5_1ELb0ES3_jN6thrust23THRUST_200600_302600_NS6detail15normal_iteratorINSA_10device_ptrItEEEEPS6_NSA_18transform_iteratorI7is_evenItESF_NSA_11use_defaultESK_EENS0_5tupleIJSF_SF_EEENSM_IJSG_SG_EEES6_PlJS6_EEE10hipError_tPvRmT3_T4_T5_T6_T7_T9_mT8_P12ihipStream_tbDpT10_ENKUlT_T0_E_clISt17integral_constantIbLb1EES18_IbLb0EEEEDaS14_S15_EUlS14_E_NS1_11comp_targetILNS1_3genE0ELNS1_11target_archE4294967295ELNS1_3gpuE0ELNS1_3repE0EEENS1_30default_config_static_selectorELNS0_4arch9wavefront6targetE1EEEvT1_
    .private_segment_fixed_size: 0
    .sgpr_count:     6
    .sgpr_spill_count: 0
    .symbol:         _ZN7rocprim17ROCPRIM_400000_NS6detail17trampoline_kernelINS0_14default_configENS1_25partition_config_selectorILNS1_17partition_subalgoE1EtNS0_10empty_typeEbEEZZNS1_14partition_implILS5_1ELb0ES3_jN6thrust23THRUST_200600_302600_NS6detail15normal_iteratorINSA_10device_ptrItEEEEPS6_NSA_18transform_iteratorI7is_evenItESF_NSA_11use_defaultESK_EENS0_5tupleIJSF_SF_EEENSM_IJSG_SG_EEES6_PlJS6_EEE10hipError_tPvRmT3_T4_T5_T6_T7_T9_mT8_P12ihipStream_tbDpT10_ENKUlT_T0_E_clISt17integral_constantIbLb1EES18_IbLb0EEEEDaS14_S15_EUlS14_E_NS1_11comp_targetILNS1_3genE0ELNS1_11target_archE4294967295ELNS1_3gpuE0ELNS1_3repE0EEENS1_30default_config_static_selectorELNS0_4arch9wavefront6targetE1EEEvT1_.kd
    .uniform_work_group_size: 1
    .uses_dynamic_stack: false
    .vgpr_count:     0
    .vgpr_spill_count: 0
    .wavefront_size: 64
  - .agpr_count:     0
    .args:
      - .offset:         0
        .size:           128
        .value_kind:     by_value
    .group_segment_fixed_size: 28680
    .kernarg_segment_align: 8
    .kernarg_segment_size: 128
    .language:       OpenCL C
    .language_version:
      - 2
      - 0
    .max_flat_workgroup_size: 512
    .name:           _ZN7rocprim17ROCPRIM_400000_NS6detail17trampoline_kernelINS0_14default_configENS1_25partition_config_selectorILNS1_17partition_subalgoE1EtNS0_10empty_typeEbEEZZNS1_14partition_implILS5_1ELb0ES3_jN6thrust23THRUST_200600_302600_NS6detail15normal_iteratorINSA_10device_ptrItEEEEPS6_NSA_18transform_iteratorI7is_evenItESF_NSA_11use_defaultESK_EENS0_5tupleIJSF_SF_EEENSM_IJSG_SG_EEES6_PlJS6_EEE10hipError_tPvRmT3_T4_T5_T6_T7_T9_mT8_P12ihipStream_tbDpT10_ENKUlT_T0_E_clISt17integral_constantIbLb1EES18_IbLb0EEEEDaS14_S15_EUlS14_E_NS1_11comp_targetILNS1_3genE5ELNS1_11target_archE942ELNS1_3gpuE9ELNS1_3repE0EEENS1_30default_config_static_selectorELNS0_4arch9wavefront6targetE1EEEvT1_
    .private_segment_fixed_size: 0
    .sgpr_count:     50
    .sgpr_spill_count: 0
    .symbol:         _ZN7rocprim17ROCPRIM_400000_NS6detail17trampoline_kernelINS0_14default_configENS1_25partition_config_selectorILNS1_17partition_subalgoE1EtNS0_10empty_typeEbEEZZNS1_14partition_implILS5_1ELb0ES3_jN6thrust23THRUST_200600_302600_NS6detail15normal_iteratorINSA_10device_ptrItEEEEPS6_NSA_18transform_iteratorI7is_evenItESF_NSA_11use_defaultESK_EENS0_5tupleIJSF_SF_EEENSM_IJSG_SG_EEES6_PlJS6_EEE10hipError_tPvRmT3_T4_T5_T6_T7_T9_mT8_P12ihipStream_tbDpT10_ENKUlT_T0_E_clISt17integral_constantIbLb1EES18_IbLb0EEEEDaS14_S15_EUlS14_E_NS1_11comp_targetILNS1_3genE5ELNS1_11target_archE942ELNS1_3gpuE9ELNS1_3repE0EEENS1_30default_config_static_selectorELNS0_4arch9wavefront6targetE1EEEvT1_.kd
    .uniform_work_group_size: 1
    .uses_dynamic_stack: false
    .vgpr_count:     79
    .vgpr_spill_count: 0
    .wavefront_size: 64
  - .agpr_count:     0
    .args:
      - .offset:         0
        .size:           128
        .value_kind:     by_value
    .group_segment_fixed_size: 0
    .kernarg_segment_align: 8
    .kernarg_segment_size: 128
    .language:       OpenCL C
    .language_version:
      - 2
      - 0
    .max_flat_workgroup_size: 256
    .name:           _ZN7rocprim17ROCPRIM_400000_NS6detail17trampoline_kernelINS0_14default_configENS1_25partition_config_selectorILNS1_17partition_subalgoE1EtNS0_10empty_typeEbEEZZNS1_14partition_implILS5_1ELb0ES3_jN6thrust23THRUST_200600_302600_NS6detail15normal_iteratorINSA_10device_ptrItEEEEPS6_NSA_18transform_iteratorI7is_evenItESF_NSA_11use_defaultESK_EENS0_5tupleIJSF_SF_EEENSM_IJSG_SG_EEES6_PlJS6_EEE10hipError_tPvRmT3_T4_T5_T6_T7_T9_mT8_P12ihipStream_tbDpT10_ENKUlT_T0_E_clISt17integral_constantIbLb1EES18_IbLb0EEEEDaS14_S15_EUlS14_E_NS1_11comp_targetILNS1_3genE4ELNS1_11target_archE910ELNS1_3gpuE8ELNS1_3repE0EEENS1_30default_config_static_selectorELNS0_4arch9wavefront6targetE1EEEvT1_
    .private_segment_fixed_size: 0
    .sgpr_count:     6
    .sgpr_spill_count: 0
    .symbol:         _ZN7rocprim17ROCPRIM_400000_NS6detail17trampoline_kernelINS0_14default_configENS1_25partition_config_selectorILNS1_17partition_subalgoE1EtNS0_10empty_typeEbEEZZNS1_14partition_implILS5_1ELb0ES3_jN6thrust23THRUST_200600_302600_NS6detail15normal_iteratorINSA_10device_ptrItEEEEPS6_NSA_18transform_iteratorI7is_evenItESF_NSA_11use_defaultESK_EENS0_5tupleIJSF_SF_EEENSM_IJSG_SG_EEES6_PlJS6_EEE10hipError_tPvRmT3_T4_T5_T6_T7_T9_mT8_P12ihipStream_tbDpT10_ENKUlT_T0_E_clISt17integral_constantIbLb1EES18_IbLb0EEEEDaS14_S15_EUlS14_E_NS1_11comp_targetILNS1_3genE4ELNS1_11target_archE910ELNS1_3gpuE8ELNS1_3repE0EEENS1_30default_config_static_selectorELNS0_4arch9wavefront6targetE1EEEvT1_.kd
    .uniform_work_group_size: 1
    .uses_dynamic_stack: false
    .vgpr_count:     0
    .vgpr_spill_count: 0
    .wavefront_size: 64
  - .agpr_count:     0
    .args:
      - .offset:         0
        .size:           128
        .value_kind:     by_value
    .group_segment_fixed_size: 0
    .kernarg_segment_align: 8
    .kernarg_segment_size: 128
    .language:       OpenCL C
    .language_version:
      - 2
      - 0
    .max_flat_workgroup_size: 256
    .name:           _ZN7rocprim17ROCPRIM_400000_NS6detail17trampoline_kernelINS0_14default_configENS1_25partition_config_selectorILNS1_17partition_subalgoE1EtNS0_10empty_typeEbEEZZNS1_14partition_implILS5_1ELb0ES3_jN6thrust23THRUST_200600_302600_NS6detail15normal_iteratorINSA_10device_ptrItEEEEPS6_NSA_18transform_iteratorI7is_evenItESF_NSA_11use_defaultESK_EENS0_5tupleIJSF_SF_EEENSM_IJSG_SG_EEES6_PlJS6_EEE10hipError_tPvRmT3_T4_T5_T6_T7_T9_mT8_P12ihipStream_tbDpT10_ENKUlT_T0_E_clISt17integral_constantIbLb1EES18_IbLb0EEEEDaS14_S15_EUlS14_E_NS1_11comp_targetILNS1_3genE3ELNS1_11target_archE908ELNS1_3gpuE7ELNS1_3repE0EEENS1_30default_config_static_selectorELNS0_4arch9wavefront6targetE1EEEvT1_
    .private_segment_fixed_size: 0
    .sgpr_count:     6
    .sgpr_spill_count: 0
    .symbol:         _ZN7rocprim17ROCPRIM_400000_NS6detail17trampoline_kernelINS0_14default_configENS1_25partition_config_selectorILNS1_17partition_subalgoE1EtNS0_10empty_typeEbEEZZNS1_14partition_implILS5_1ELb0ES3_jN6thrust23THRUST_200600_302600_NS6detail15normal_iteratorINSA_10device_ptrItEEEEPS6_NSA_18transform_iteratorI7is_evenItESF_NSA_11use_defaultESK_EENS0_5tupleIJSF_SF_EEENSM_IJSG_SG_EEES6_PlJS6_EEE10hipError_tPvRmT3_T4_T5_T6_T7_T9_mT8_P12ihipStream_tbDpT10_ENKUlT_T0_E_clISt17integral_constantIbLb1EES18_IbLb0EEEEDaS14_S15_EUlS14_E_NS1_11comp_targetILNS1_3genE3ELNS1_11target_archE908ELNS1_3gpuE7ELNS1_3repE0EEENS1_30default_config_static_selectorELNS0_4arch9wavefront6targetE1EEEvT1_.kd
    .uniform_work_group_size: 1
    .uses_dynamic_stack: false
    .vgpr_count:     0
    .vgpr_spill_count: 0
    .wavefront_size: 64
  - .agpr_count:     0
    .args:
      - .offset:         0
        .size:           128
        .value_kind:     by_value
    .group_segment_fixed_size: 0
    .kernarg_segment_align: 8
    .kernarg_segment_size: 128
    .language:       OpenCL C
    .language_version:
      - 2
      - 0
    .max_flat_workgroup_size: 256
    .name:           _ZN7rocprim17ROCPRIM_400000_NS6detail17trampoline_kernelINS0_14default_configENS1_25partition_config_selectorILNS1_17partition_subalgoE1EtNS0_10empty_typeEbEEZZNS1_14partition_implILS5_1ELb0ES3_jN6thrust23THRUST_200600_302600_NS6detail15normal_iteratorINSA_10device_ptrItEEEEPS6_NSA_18transform_iteratorI7is_evenItESF_NSA_11use_defaultESK_EENS0_5tupleIJSF_SF_EEENSM_IJSG_SG_EEES6_PlJS6_EEE10hipError_tPvRmT3_T4_T5_T6_T7_T9_mT8_P12ihipStream_tbDpT10_ENKUlT_T0_E_clISt17integral_constantIbLb1EES18_IbLb0EEEEDaS14_S15_EUlS14_E_NS1_11comp_targetILNS1_3genE2ELNS1_11target_archE906ELNS1_3gpuE6ELNS1_3repE0EEENS1_30default_config_static_selectorELNS0_4arch9wavefront6targetE1EEEvT1_
    .private_segment_fixed_size: 0
    .sgpr_count:     6
    .sgpr_spill_count: 0
    .symbol:         _ZN7rocprim17ROCPRIM_400000_NS6detail17trampoline_kernelINS0_14default_configENS1_25partition_config_selectorILNS1_17partition_subalgoE1EtNS0_10empty_typeEbEEZZNS1_14partition_implILS5_1ELb0ES3_jN6thrust23THRUST_200600_302600_NS6detail15normal_iteratorINSA_10device_ptrItEEEEPS6_NSA_18transform_iteratorI7is_evenItESF_NSA_11use_defaultESK_EENS0_5tupleIJSF_SF_EEENSM_IJSG_SG_EEES6_PlJS6_EEE10hipError_tPvRmT3_T4_T5_T6_T7_T9_mT8_P12ihipStream_tbDpT10_ENKUlT_T0_E_clISt17integral_constantIbLb1EES18_IbLb0EEEEDaS14_S15_EUlS14_E_NS1_11comp_targetILNS1_3genE2ELNS1_11target_archE906ELNS1_3gpuE6ELNS1_3repE0EEENS1_30default_config_static_selectorELNS0_4arch9wavefront6targetE1EEEvT1_.kd
    .uniform_work_group_size: 1
    .uses_dynamic_stack: false
    .vgpr_count:     0
    .vgpr_spill_count: 0
    .wavefront_size: 64
  - .agpr_count:     0
    .args:
      - .offset:         0
        .size:           128
        .value_kind:     by_value
    .group_segment_fixed_size: 0
    .kernarg_segment_align: 8
    .kernarg_segment_size: 128
    .language:       OpenCL C
    .language_version:
      - 2
      - 0
    .max_flat_workgroup_size: 384
    .name:           _ZN7rocprim17ROCPRIM_400000_NS6detail17trampoline_kernelINS0_14default_configENS1_25partition_config_selectorILNS1_17partition_subalgoE1EtNS0_10empty_typeEbEEZZNS1_14partition_implILS5_1ELb0ES3_jN6thrust23THRUST_200600_302600_NS6detail15normal_iteratorINSA_10device_ptrItEEEEPS6_NSA_18transform_iteratorI7is_evenItESF_NSA_11use_defaultESK_EENS0_5tupleIJSF_SF_EEENSM_IJSG_SG_EEES6_PlJS6_EEE10hipError_tPvRmT3_T4_T5_T6_T7_T9_mT8_P12ihipStream_tbDpT10_ENKUlT_T0_E_clISt17integral_constantIbLb1EES18_IbLb0EEEEDaS14_S15_EUlS14_E_NS1_11comp_targetILNS1_3genE10ELNS1_11target_archE1200ELNS1_3gpuE4ELNS1_3repE0EEENS1_30default_config_static_selectorELNS0_4arch9wavefront6targetE1EEEvT1_
    .private_segment_fixed_size: 0
    .sgpr_count:     6
    .sgpr_spill_count: 0
    .symbol:         _ZN7rocprim17ROCPRIM_400000_NS6detail17trampoline_kernelINS0_14default_configENS1_25partition_config_selectorILNS1_17partition_subalgoE1EtNS0_10empty_typeEbEEZZNS1_14partition_implILS5_1ELb0ES3_jN6thrust23THRUST_200600_302600_NS6detail15normal_iteratorINSA_10device_ptrItEEEEPS6_NSA_18transform_iteratorI7is_evenItESF_NSA_11use_defaultESK_EENS0_5tupleIJSF_SF_EEENSM_IJSG_SG_EEES6_PlJS6_EEE10hipError_tPvRmT3_T4_T5_T6_T7_T9_mT8_P12ihipStream_tbDpT10_ENKUlT_T0_E_clISt17integral_constantIbLb1EES18_IbLb0EEEEDaS14_S15_EUlS14_E_NS1_11comp_targetILNS1_3genE10ELNS1_11target_archE1200ELNS1_3gpuE4ELNS1_3repE0EEENS1_30default_config_static_selectorELNS0_4arch9wavefront6targetE1EEEvT1_.kd
    .uniform_work_group_size: 1
    .uses_dynamic_stack: false
    .vgpr_count:     0
    .vgpr_spill_count: 0
    .wavefront_size: 64
  - .agpr_count:     0
    .args:
      - .offset:         0
        .size:           128
        .value_kind:     by_value
    .group_segment_fixed_size: 0
    .kernarg_segment_align: 8
    .kernarg_segment_size: 128
    .language:       OpenCL C
    .language_version:
      - 2
      - 0
    .max_flat_workgroup_size: 128
    .name:           _ZN7rocprim17ROCPRIM_400000_NS6detail17trampoline_kernelINS0_14default_configENS1_25partition_config_selectorILNS1_17partition_subalgoE1EtNS0_10empty_typeEbEEZZNS1_14partition_implILS5_1ELb0ES3_jN6thrust23THRUST_200600_302600_NS6detail15normal_iteratorINSA_10device_ptrItEEEEPS6_NSA_18transform_iteratorI7is_evenItESF_NSA_11use_defaultESK_EENS0_5tupleIJSF_SF_EEENSM_IJSG_SG_EEES6_PlJS6_EEE10hipError_tPvRmT3_T4_T5_T6_T7_T9_mT8_P12ihipStream_tbDpT10_ENKUlT_T0_E_clISt17integral_constantIbLb1EES18_IbLb0EEEEDaS14_S15_EUlS14_E_NS1_11comp_targetILNS1_3genE9ELNS1_11target_archE1100ELNS1_3gpuE3ELNS1_3repE0EEENS1_30default_config_static_selectorELNS0_4arch9wavefront6targetE1EEEvT1_
    .private_segment_fixed_size: 0
    .sgpr_count:     6
    .sgpr_spill_count: 0
    .symbol:         _ZN7rocprim17ROCPRIM_400000_NS6detail17trampoline_kernelINS0_14default_configENS1_25partition_config_selectorILNS1_17partition_subalgoE1EtNS0_10empty_typeEbEEZZNS1_14partition_implILS5_1ELb0ES3_jN6thrust23THRUST_200600_302600_NS6detail15normal_iteratorINSA_10device_ptrItEEEEPS6_NSA_18transform_iteratorI7is_evenItESF_NSA_11use_defaultESK_EENS0_5tupleIJSF_SF_EEENSM_IJSG_SG_EEES6_PlJS6_EEE10hipError_tPvRmT3_T4_T5_T6_T7_T9_mT8_P12ihipStream_tbDpT10_ENKUlT_T0_E_clISt17integral_constantIbLb1EES18_IbLb0EEEEDaS14_S15_EUlS14_E_NS1_11comp_targetILNS1_3genE9ELNS1_11target_archE1100ELNS1_3gpuE3ELNS1_3repE0EEENS1_30default_config_static_selectorELNS0_4arch9wavefront6targetE1EEEvT1_.kd
    .uniform_work_group_size: 1
    .uses_dynamic_stack: false
    .vgpr_count:     0
    .vgpr_spill_count: 0
    .wavefront_size: 64
  - .agpr_count:     0
    .args:
      - .offset:         0
        .size:           128
        .value_kind:     by_value
    .group_segment_fixed_size: 0
    .kernarg_segment_align: 8
    .kernarg_segment_size: 128
    .language:       OpenCL C
    .language_version:
      - 2
      - 0
    .max_flat_workgroup_size: 512
    .name:           _ZN7rocprim17ROCPRIM_400000_NS6detail17trampoline_kernelINS0_14default_configENS1_25partition_config_selectorILNS1_17partition_subalgoE1EtNS0_10empty_typeEbEEZZNS1_14partition_implILS5_1ELb0ES3_jN6thrust23THRUST_200600_302600_NS6detail15normal_iteratorINSA_10device_ptrItEEEEPS6_NSA_18transform_iteratorI7is_evenItESF_NSA_11use_defaultESK_EENS0_5tupleIJSF_SF_EEENSM_IJSG_SG_EEES6_PlJS6_EEE10hipError_tPvRmT3_T4_T5_T6_T7_T9_mT8_P12ihipStream_tbDpT10_ENKUlT_T0_E_clISt17integral_constantIbLb1EES18_IbLb0EEEEDaS14_S15_EUlS14_E_NS1_11comp_targetILNS1_3genE8ELNS1_11target_archE1030ELNS1_3gpuE2ELNS1_3repE0EEENS1_30default_config_static_selectorELNS0_4arch9wavefront6targetE1EEEvT1_
    .private_segment_fixed_size: 0
    .sgpr_count:     6
    .sgpr_spill_count: 0
    .symbol:         _ZN7rocprim17ROCPRIM_400000_NS6detail17trampoline_kernelINS0_14default_configENS1_25partition_config_selectorILNS1_17partition_subalgoE1EtNS0_10empty_typeEbEEZZNS1_14partition_implILS5_1ELb0ES3_jN6thrust23THRUST_200600_302600_NS6detail15normal_iteratorINSA_10device_ptrItEEEEPS6_NSA_18transform_iteratorI7is_evenItESF_NSA_11use_defaultESK_EENS0_5tupleIJSF_SF_EEENSM_IJSG_SG_EEES6_PlJS6_EEE10hipError_tPvRmT3_T4_T5_T6_T7_T9_mT8_P12ihipStream_tbDpT10_ENKUlT_T0_E_clISt17integral_constantIbLb1EES18_IbLb0EEEEDaS14_S15_EUlS14_E_NS1_11comp_targetILNS1_3genE8ELNS1_11target_archE1030ELNS1_3gpuE2ELNS1_3repE0EEENS1_30default_config_static_selectorELNS0_4arch9wavefront6targetE1EEEvT1_.kd
    .uniform_work_group_size: 1
    .uses_dynamic_stack: false
    .vgpr_count:     0
    .vgpr_spill_count: 0
    .wavefront_size: 64
  - .agpr_count:     0
    .args:
      - .offset:         0
        .size:           144
        .value_kind:     by_value
    .group_segment_fixed_size: 0
    .kernarg_segment_align: 8
    .kernarg_segment_size: 144
    .language:       OpenCL C
    .language_version:
      - 2
      - 0
    .max_flat_workgroup_size: 256
    .name:           _ZN7rocprim17ROCPRIM_400000_NS6detail17trampoline_kernelINS0_14default_configENS1_25partition_config_selectorILNS1_17partition_subalgoE1EtNS0_10empty_typeEbEEZZNS1_14partition_implILS5_1ELb0ES3_jN6thrust23THRUST_200600_302600_NS6detail15normal_iteratorINSA_10device_ptrItEEEEPS6_NSA_18transform_iteratorI7is_evenItESF_NSA_11use_defaultESK_EENS0_5tupleIJSF_SF_EEENSM_IJSG_SG_EEES6_PlJS6_EEE10hipError_tPvRmT3_T4_T5_T6_T7_T9_mT8_P12ihipStream_tbDpT10_ENKUlT_T0_E_clISt17integral_constantIbLb0EES18_IbLb1EEEEDaS14_S15_EUlS14_E_NS1_11comp_targetILNS1_3genE0ELNS1_11target_archE4294967295ELNS1_3gpuE0ELNS1_3repE0EEENS1_30default_config_static_selectorELNS0_4arch9wavefront6targetE1EEEvT1_
    .private_segment_fixed_size: 0
    .sgpr_count:     6
    .sgpr_spill_count: 0
    .symbol:         _ZN7rocprim17ROCPRIM_400000_NS6detail17trampoline_kernelINS0_14default_configENS1_25partition_config_selectorILNS1_17partition_subalgoE1EtNS0_10empty_typeEbEEZZNS1_14partition_implILS5_1ELb0ES3_jN6thrust23THRUST_200600_302600_NS6detail15normal_iteratorINSA_10device_ptrItEEEEPS6_NSA_18transform_iteratorI7is_evenItESF_NSA_11use_defaultESK_EENS0_5tupleIJSF_SF_EEENSM_IJSG_SG_EEES6_PlJS6_EEE10hipError_tPvRmT3_T4_T5_T6_T7_T9_mT8_P12ihipStream_tbDpT10_ENKUlT_T0_E_clISt17integral_constantIbLb0EES18_IbLb1EEEEDaS14_S15_EUlS14_E_NS1_11comp_targetILNS1_3genE0ELNS1_11target_archE4294967295ELNS1_3gpuE0ELNS1_3repE0EEENS1_30default_config_static_selectorELNS0_4arch9wavefront6targetE1EEEvT1_.kd
    .uniform_work_group_size: 1
    .uses_dynamic_stack: false
    .vgpr_count:     0
    .vgpr_spill_count: 0
    .wavefront_size: 64
  - .agpr_count:     0
    .args:
      - .offset:         0
        .size:           144
        .value_kind:     by_value
    .group_segment_fixed_size: 28680
    .kernarg_segment_align: 8
    .kernarg_segment_size: 144
    .language:       OpenCL C
    .language_version:
      - 2
      - 0
    .max_flat_workgroup_size: 512
    .name:           _ZN7rocprim17ROCPRIM_400000_NS6detail17trampoline_kernelINS0_14default_configENS1_25partition_config_selectorILNS1_17partition_subalgoE1EtNS0_10empty_typeEbEEZZNS1_14partition_implILS5_1ELb0ES3_jN6thrust23THRUST_200600_302600_NS6detail15normal_iteratorINSA_10device_ptrItEEEEPS6_NSA_18transform_iteratorI7is_evenItESF_NSA_11use_defaultESK_EENS0_5tupleIJSF_SF_EEENSM_IJSG_SG_EEES6_PlJS6_EEE10hipError_tPvRmT3_T4_T5_T6_T7_T9_mT8_P12ihipStream_tbDpT10_ENKUlT_T0_E_clISt17integral_constantIbLb0EES18_IbLb1EEEEDaS14_S15_EUlS14_E_NS1_11comp_targetILNS1_3genE5ELNS1_11target_archE942ELNS1_3gpuE9ELNS1_3repE0EEENS1_30default_config_static_selectorELNS0_4arch9wavefront6targetE1EEEvT1_
    .private_segment_fixed_size: 0
    .sgpr_count:     50
    .sgpr_spill_count: 0
    .symbol:         _ZN7rocprim17ROCPRIM_400000_NS6detail17trampoline_kernelINS0_14default_configENS1_25partition_config_selectorILNS1_17partition_subalgoE1EtNS0_10empty_typeEbEEZZNS1_14partition_implILS5_1ELb0ES3_jN6thrust23THRUST_200600_302600_NS6detail15normal_iteratorINSA_10device_ptrItEEEEPS6_NSA_18transform_iteratorI7is_evenItESF_NSA_11use_defaultESK_EENS0_5tupleIJSF_SF_EEENSM_IJSG_SG_EEES6_PlJS6_EEE10hipError_tPvRmT3_T4_T5_T6_T7_T9_mT8_P12ihipStream_tbDpT10_ENKUlT_T0_E_clISt17integral_constantIbLb0EES18_IbLb1EEEEDaS14_S15_EUlS14_E_NS1_11comp_targetILNS1_3genE5ELNS1_11target_archE942ELNS1_3gpuE9ELNS1_3repE0EEENS1_30default_config_static_selectorELNS0_4arch9wavefront6targetE1EEEvT1_.kd
    .uniform_work_group_size: 1
    .uses_dynamic_stack: false
    .vgpr_count:     83
    .vgpr_spill_count: 0
    .wavefront_size: 64
  - .agpr_count:     0
    .args:
      - .offset:         0
        .size:           144
        .value_kind:     by_value
    .group_segment_fixed_size: 0
    .kernarg_segment_align: 8
    .kernarg_segment_size: 144
    .language:       OpenCL C
    .language_version:
      - 2
      - 0
    .max_flat_workgroup_size: 256
    .name:           _ZN7rocprim17ROCPRIM_400000_NS6detail17trampoline_kernelINS0_14default_configENS1_25partition_config_selectorILNS1_17partition_subalgoE1EtNS0_10empty_typeEbEEZZNS1_14partition_implILS5_1ELb0ES3_jN6thrust23THRUST_200600_302600_NS6detail15normal_iteratorINSA_10device_ptrItEEEEPS6_NSA_18transform_iteratorI7is_evenItESF_NSA_11use_defaultESK_EENS0_5tupleIJSF_SF_EEENSM_IJSG_SG_EEES6_PlJS6_EEE10hipError_tPvRmT3_T4_T5_T6_T7_T9_mT8_P12ihipStream_tbDpT10_ENKUlT_T0_E_clISt17integral_constantIbLb0EES18_IbLb1EEEEDaS14_S15_EUlS14_E_NS1_11comp_targetILNS1_3genE4ELNS1_11target_archE910ELNS1_3gpuE8ELNS1_3repE0EEENS1_30default_config_static_selectorELNS0_4arch9wavefront6targetE1EEEvT1_
    .private_segment_fixed_size: 0
    .sgpr_count:     6
    .sgpr_spill_count: 0
    .symbol:         _ZN7rocprim17ROCPRIM_400000_NS6detail17trampoline_kernelINS0_14default_configENS1_25partition_config_selectorILNS1_17partition_subalgoE1EtNS0_10empty_typeEbEEZZNS1_14partition_implILS5_1ELb0ES3_jN6thrust23THRUST_200600_302600_NS6detail15normal_iteratorINSA_10device_ptrItEEEEPS6_NSA_18transform_iteratorI7is_evenItESF_NSA_11use_defaultESK_EENS0_5tupleIJSF_SF_EEENSM_IJSG_SG_EEES6_PlJS6_EEE10hipError_tPvRmT3_T4_T5_T6_T7_T9_mT8_P12ihipStream_tbDpT10_ENKUlT_T0_E_clISt17integral_constantIbLb0EES18_IbLb1EEEEDaS14_S15_EUlS14_E_NS1_11comp_targetILNS1_3genE4ELNS1_11target_archE910ELNS1_3gpuE8ELNS1_3repE0EEENS1_30default_config_static_selectorELNS0_4arch9wavefront6targetE1EEEvT1_.kd
    .uniform_work_group_size: 1
    .uses_dynamic_stack: false
    .vgpr_count:     0
    .vgpr_spill_count: 0
    .wavefront_size: 64
  - .agpr_count:     0
    .args:
      - .offset:         0
        .size:           144
        .value_kind:     by_value
    .group_segment_fixed_size: 0
    .kernarg_segment_align: 8
    .kernarg_segment_size: 144
    .language:       OpenCL C
    .language_version:
      - 2
      - 0
    .max_flat_workgroup_size: 256
    .name:           _ZN7rocprim17ROCPRIM_400000_NS6detail17trampoline_kernelINS0_14default_configENS1_25partition_config_selectorILNS1_17partition_subalgoE1EtNS0_10empty_typeEbEEZZNS1_14partition_implILS5_1ELb0ES3_jN6thrust23THRUST_200600_302600_NS6detail15normal_iteratorINSA_10device_ptrItEEEEPS6_NSA_18transform_iteratorI7is_evenItESF_NSA_11use_defaultESK_EENS0_5tupleIJSF_SF_EEENSM_IJSG_SG_EEES6_PlJS6_EEE10hipError_tPvRmT3_T4_T5_T6_T7_T9_mT8_P12ihipStream_tbDpT10_ENKUlT_T0_E_clISt17integral_constantIbLb0EES18_IbLb1EEEEDaS14_S15_EUlS14_E_NS1_11comp_targetILNS1_3genE3ELNS1_11target_archE908ELNS1_3gpuE7ELNS1_3repE0EEENS1_30default_config_static_selectorELNS0_4arch9wavefront6targetE1EEEvT1_
    .private_segment_fixed_size: 0
    .sgpr_count:     6
    .sgpr_spill_count: 0
    .symbol:         _ZN7rocprim17ROCPRIM_400000_NS6detail17trampoline_kernelINS0_14default_configENS1_25partition_config_selectorILNS1_17partition_subalgoE1EtNS0_10empty_typeEbEEZZNS1_14partition_implILS5_1ELb0ES3_jN6thrust23THRUST_200600_302600_NS6detail15normal_iteratorINSA_10device_ptrItEEEEPS6_NSA_18transform_iteratorI7is_evenItESF_NSA_11use_defaultESK_EENS0_5tupleIJSF_SF_EEENSM_IJSG_SG_EEES6_PlJS6_EEE10hipError_tPvRmT3_T4_T5_T6_T7_T9_mT8_P12ihipStream_tbDpT10_ENKUlT_T0_E_clISt17integral_constantIbLb0EES18_IbLb1EEEEDaS14_S15_EUlS14_E_NS1_11comp_targetILNS1_3genE3ELNS1_11target_archE908ELNS1_3gpuE7ELNS1_3repE0EEENS1_30default_config_static_selectorELNS0_4arch9wavefront6targetE1EEEvT1_.kd
    .uniform_work_group_size: 1
    .uses_dynamic_stack: false
    .vgpr_count:     0
    .vgpr_spill_count: 0
    .wavefront_size: 64
  - .agpr_count:     0
    .args:
      - .offset:         0
        .size:           144
        .value_kind:     by_value
    .group_segment_fixed_size: 0
    .kernarg_segment_align: 8
    .kernarg_segment_size: 144
    .language:       OpenCL C
    .language_version:
      - 2
      - 0
    .max_flat_workgroup_size: 256
    .name:           _ZN7rocprim17ROCPRIM_400000_NS6detail17trampoline_kernelINS0_14default_configENS1_25partition_config_selectorILNS1_17partition_subalgoE1EtNS0_10empty_typeEbEEZZNS1_14partition_implILS5_1ELb0ES3_jN6thrust23THRUST_200600_302600_NS6detail15normal_iteratorINSA_10device_ptrItEEEEPS6_NSA_18transform_iteratorI7is_evenItESF_NSA_11use_defaultESK_EENS0_5tupleIJSF_SF_EEENSM_IJSG_SG_EEES6_PlJS6_EEE10hipError_tPvRmT3_T4_T5_T6_T7_T9_mT8_P12ihipStream_tbDpT10_ENKUlT_T0_E_clISt17integral_constantIbLb0EES18_IbLb1EEEEDaS14_S15_EUlS14_E_NS1_11comp_targetILNS1_3genE2ELNS1_11target_archE906ELNS1_3gpuE6ELNS1_3repE0EEENS1_30default_config_static_selectorELNS0_4arch9wavefront6targetE1EEEvT1_
    .private_segment_fixed_size: 0
    .sgpr_count:     6
    .sgpr_spill_count: 0
    .symbol:         _ZN7rocprim17ROCPRIM_400000_NS6detail17trampoline_kernelINS0_14default_configENS1_25partition_config_selectorILNS1_17partition_subalgoE1EtNS0_10empty_typeEbEEZZNS1_14partition_implILS5_1ELb0ES3_jN6thrust23THRUST_200600_302600_NS6detail15normal_iteratorINSA_10device_ptrItEEEEPS6_NSA_18transform_iteratorI7is_evenItESF_NSA_11use_defaultESK_EENS0_5tupleIJSF_SF_EEENSM_IJSG_SG_EEES6_PlJS6_EEE10hipError_tPvRmT3_T4_T5_T6_T7_T9_mT8_P12ihipStream_tbDpT10_ENKUlT_T0_E_clISt17integral_constantIbLb0EES18_IbLb1EEEEDaS14_S15_EUlS14_E_NS1_11comp_targetILNS1_3genE2ELNS1_11target_archE906ELNS1_3gpuE6ELNS1_3repE0EEENS1_30default_config_static_selectorELNS0_4arch9wavefront6targetE1EEEvT1_.kd
    .uniform_work_group_size: 1
    .uses_dynamic_stack: false
    .vgpr_count:     0
    .vgpr_spill_count: 0
    .wavefront_size: 64
  - .agpr_count:     0
    .args:
      - .offset:         0
        .size:           144
        .value_kind:     by_value
    .group_segment_fixed_size: 0
    .kernarg_segment_align: 8
    .kernarg_segment_size: 144
    .language:       OpenCL C
    .language_version:
      - 2
      - 0
    .max_flat_workgroup_size: 384
    .name:           _ZN7rocprim17ROCPRIM_400000_NS6detail17trampoline_kernelINS0_14default_configENS1_25partition_config_selectorILNS1_17partition_subalgoE1EtNS0_10empty_typeEbEEZZNS1_14partition_implILS5_1ELb0ES3_jN6thrust23THRUST_200600_302600_NS6detail15normal_iteratorINSA_10device_ptrItEEEEPS6_NSA_18transform_iteratorI7is_evenItESF_NSA_11use_defaultESK_EENS0_5tupleIJSF_SF_EEENSM_IJSG_SG_EEES6_PlJS6_EEE10hipError_tPvRmT3_T4_T5_T6_T7_T9_mT8_P12ihipStream_tbDpT10_ENKUlT_T0_E_clISt17integral_constantIbLb0EES18_IbLb1EEEEDaS14_S15_EUlS14_E_NS1_11comp_targetILNS1_3genE10ELNS1_11target_archE1200ELNS1_3gpuE4ELNS1_3repE0EEENS1_30default_config_static_selectorELNS0_4arch9wavefront6targetE1EEEvT1_
    .private_segment_fixed_size: 0
    .sgpr_count:     6
    .sgpr_spill_count: 0
    .symbol:         _ZN7rocprim17ROCPRIM_400000_NS6detail17trampoline_kernelINS0_14default_configENS1_25partition_config_selectorILNS1_17partition_subalgoE1EtNS0_10empty_typeEbEEZZNS1_14partition_implILS5_1ELb0ES3_jN6thrust23THRUST_200600_302600_NS6detail15normal_iteratorINSA_10device_ptrItEEEEPS6_NSA_18transform_iteratorI7is_evenItESF_NSA_11use_defaultESK_EENS0_5tupleIJSF_SF_EEENSM_IJSG_SG_EEES6_PlJS6_EEE10hipError_tPvRmT3_T4_T5_T6_T7_T9_mT8_P12ihipStream_tbDpT10_ENKUlT_T0_E_clISt17integral_constantIbLb0EES18_IbLb1EEEEDaS14_S15_EUlS14_E_NS1_11comp_targetILNS1_3genE10ELNS1_11target_archE1200ELNS1_3gpuE4ELNS1_3repE0EEENS1_30default_config_static_selectorELNS0_4arch9wavefront6targetE1EEEvT1_.kd
    .uniform_work_group_size: 1
    .uses_dynamic_stack: false
    .vgpr_count:     0
    .vgpr_spill_count: 0
    .wavefront_size: 64
  - .agpr_count:     0
    .args:
      - .offset:         0
        .size:           144
        .value_kind:     by_value
    .group_segment_fixed_size: 0
    .kernarg_segment_align: 8
    .kernarg_segment_size: 144
    .language:       OpenCL C
    .language_version:
      - 2
      - 0
    .max_flat_workgroup_size: 128
    .name:           _ZN7rocprim17ROCPRIM_400000_NS6detail17trampoline_kernelINS0_14default_configENS1_25partition_config_selectorILNS1_17partition_subalgoE1EtNS0_10empty_typeEbEEZZNS1_14partition_implILS5_1ELb0ES3_jN6thrust23THRUST_200600_302600_NS6detail15normal_iteratorINSA_10device_ptrItEEEEPS6_NSA_18transform_iteratorI7is_evenItESF_NSA_11use_defaultESK_EENS0_5tupleIJSF_SF_EEENSM_IJSG_SG_EEES6_PlJS6_EEE10hipError_tPvRmT3_T4_T5_T6_T7_T9_mT8_P12ihipStream_tbDpT10_ENKUlT_T0_E_clISt17integral_constantIbLb0EES18_IbLb1EEEEDaS14_S15_EUlS14_E_NS1_11comp_targetILNS1_3genE9ELNS1_11target_archE1100ELNS1_3gpuE3ELNS1_3repE0EEENS1_30default_config_static_selectorELNS0_4arch9wavefront6targetE1EEEvT1_
    .private_segment_fixed_size: 0
    .sgpr_count:     6
    .sgpr_spill_count: 0
    .symbol:         _ZN7rocprim17ROCPRIM_400000_NS6detail17trampoline_kernelINS0_14default_configENS1_25partition_config_selectorILNS1_17partition_subalgoE1EtNS0_10empty_typeEbEEZZNS1_14partition_implILS5_1ELb0ES3_jN6thrust23THRUST_200600_302600_NS6detail15normal_iteratorINSA_10device_ptrItEEEEPS6_NSA_18transform_iteratorI7is_evenItESF_NSA_11use_defaultESK_EENS0_5tupleIJSF_SF_EEENSM_IJSG_SG_EEES6_PlJS6_EEE10hipError_tPvRmT3_T4_T5_T6_T7_T9_mT8_P12ihipStream_tbDpT10_ENKUlT_T0_E_clISt17integral_constantIbLb0EES18_IbLb1EEEEDaS14_S15_EUlS14_E_NS1_11comp_targetILNS1_3genE9ELNS1_11target_archE1100ELNS1_3gpuE3ELNS1_3repE0EEENS1_30default_config_static_selectorELNS0_4arch9wavefront6targetE1EEEvT1_.kd
    .uniform_work_group_size: 1
    .uses_dynamic_stack: false
    .vgpr_count:     0
    .vgpr_spill_count: 0
    .wavefront_size: 64
  - .agpr_count:     0
    .args:
      - .offset:         0
        .size:           144
        .value_kind:     by_value
    .group_segment_fixed_size: 0
    .kernarg_segment_align: 8
    .kernarg_segment_size: 144
    .language:       OpenCL C
    .language_version:
      - 2
      - 0
    .max_flat_workgroup_size: 512
    .name:           _ZN7rocprim17ROCPRIM_400000_NS6detail17trampoline_kernelINS0_14default_configENS1_25partition_config_selectorILNS1_17partition_subalgoE1EtNS0_10empty_typeEbEEZZNS1_14partition_implILS5_1ELb0ES3_jN6thrust23THRUST_200600_302600_NS6detail15normal_iteratorINSA_10device_ptrItEEEEPS6_NSA_18transform_iteratorI7is_evenItESF_NSA_11use_defaultESK_EENS0_5tupleIJSF_SF_EEENSM_IJSG_SG_EEES6_PlJS6_EEE10hipError_tPvRmT3_T4_T5_T6_T7_T9_mT8_P12ihipStream_tbDpT10_ENKUlT_T0_E_clISt17integral_constantIbLb0EES18_IbLb1EEEEDaS14_S15_EUlS14_E_NS1_11comp_targetILNS1_3genE8ELNS1_11target_archE1030ELNS1_3gpuE2ELNS1_3repE0EEENS1_30default_config_static_selectorELNS0_4arch9wavefront6targetE1EEEvT1_
    .private_segment_fixed_size: 0
    .sgpr_count:     6
    .sgpr_spill_count: 0
    .symbol:         _ZN7rocprim17ROCPRIM_400000_NS6detail17trampoline_kernelINS0_14default_configENS1_25partition_config_selectorILNS1_17partition_subalgoE1EtNS0_10empty_typeEbEEZZNS1_14partition_implILS5_1ELb0ES3_jN6thrust23THRUST_200600_302600_NS6detail15normal_iteratorINSA_10device_ptrItEEEEPS6_NSA_18transform_iteratorI7is_evenItESF_NSA_11use_defaultESK_EENS0_5tupleIJSF_SF_EEENSM_IJSG_SG_EEES6_PlJS6_EEE10hipError_tPvRmT3_T4_T5_T6_T7_T9_mT8_P12ihipStream_tbDpT10_ENKUlT_T0_E_clISt17integral_constantIbLb0EES18_IbLb1EEEEDaS14_S15_EUlS14_E_NS1_11comp_targetILNS1_3genE8ELNS1_11target_archE1030ELNS1_3gpuE2ELNS1_3repE0EEENS1_30default_config_static_selectorELNS0_4arch9wavefront6targetE1EEEvT1_.kd
    .uniform_work_group_size: 1
    .uses_dynamic_stack: false
    .vgpr_count:     0
    .vgpr_spill_count: 0
    .wavefront_size: 64
  - .agpr_count:     0
    .args:
      - .offset:         0
        .size:           136
        .value_kind:     by_value
    .group_segment_fixed_size: 0
    .kernarg_segment_align: 8
    .kernarg_segment_size: 136
    .language:       OpenCL C
    .language_version:
      - 2
      - 0
    .max_flat_workgroup_size: 128
    .name:           _ZN7rocprim17ROCPRIM_400000_NS6detail17trampoline_kernelINS0_14default_configENS1_25partition_config_selectorILNS1_17partition_subalgoE0EyNS0_10empty_typeEbEEZZNS1_14partition_implILS5_0ELb0ES3_jN6thrust23THRUST_200600_302600_NS6detail15normal_iteratorINSA_10device_ptrIyEEEEPS6_SG_NS0_5tupleIJNSA_16discard_iteratorINSA_11use_defaultEEESK_EEENSH_IJSG_SG_EEES6_PlJ7is_evenIyEEEE10hipError_tPvRmT3_T4_T5_T6_T7_T9_mT8_P12ihipStream_tbDpT10_ENKUlT_T0_E_clISt17integral_constantIbLb0EES19_EEDaS14_S15_EUlS14_E_NS1_11comp_targetILNS1_3genE0ELNS1_11target_archE4294967295ELNS1_3gpuE0ELNS1_3repE0EEENS1_30default_config_static_selectorELNS0_4arch9wavefront6targetE1EEEvT1_
    .private_segment_fixed_size: 0
    .sgpr_count:     6
    .sgpr_spill_count: 0
    .symbol:         _ZN7rocprim17ROCPRIM_400000_NS6detail17trampoline_kernelINS0_14default_configENS1_25partition_config_selectorILNS1_17partition_subalgoE0EyNS0_10empty_typeEbEEZZNS1_14partition_implILS5_0ELb0ES3_jN6thrust23THRUST_200600_302600_NS6detail15normal_iteratorINSA_10device_ptrIyEEEEPS6_SG_NS0_5tupleIJNSA_16discard_iteratorINSA_11use_defaultEEESK_EEENSH_IJSG_SG_EEES6_PlJ7is_evenIyEEEE10hipError_tPvRmT3_T4_T5_T6_T7_T9_mT8_P12ihipStream_tbDpT10_ENKUlT_T0_E_clISt17integral_constantIbLb0EES19_EEDaS14_S15_EUlS14_E_NS1_11comp_targetILNS1_3genE0ELNS1_11target_archE4294967295ELNS1_3gpuE0ELNS1_3repE0EEENS1_30default_config_static_selectorELNS0_4arch9wavefront6targetE1EEEvT1_.kd
    .uniform_work_group_size: 1
    .uses_dynamic_stack: false
    .vgpr_count:     0
    .vgpr_spill_count: 0
    .wavefront_size: 64
  - .agpr_count:     0
    .args:
      - .offset:         0
        .size:           136
        .value_kind:     by_value
    .group_segment_fixed_size: 28680
    .kernarg_segment_align: 8
    .kernarg_segment_size: 136
    .language:       OpenCL C
    .language_version:
      - 2
      - 0
    .max_flat_workgroup_size: 512
    .name:           _ZN7rocprim17ROCPRIM_400000_NS6detail17trampoline_kernelINS0_14default_configENS1_25partition_config_selectorILNS1_17partition_subalgoE0EyNS0_10empty_typeEbEEZZNS1_14partition_implILS5_0ELb0ES3_jN6thrust23THRUST_200600_302600_NS6detail15normal_iteratorINSA_10device_ptrIyEEEEPS6_SG_NS0_5tupleIJNSA_16discard_iteratorINSA_11use_defaultEEESK_EEENSH_IJSG_SG_EEES6_PlJ7is_evenIyEEEE10hipError_tPvRmT3_T4_T5_T6_T7_T9_mT8_P12ihipStream_tbDpT10_ENKUlT_T0_E_clISt17integral_constantIbLb0EES19_EEDaS14_S15_EUlS14_E_NS1_11comp_targetILNS1_3genE5ELNS1_11target_archE942ELNS1_3gpuE9ELNS1_3repE0EEENS1_30default_config_static_selectorELNS0_4arch9wavefront6targetE1EEEvT1_
    .private_segment_fixed_size: 0
    .sgpr_count:     42
    .sgpr_spill_count: 0
    .symbol:         _ZN7rocprim17ROCPRIM_400000_NS6detail17trampoline_kernelINS0_14default_configENS1_25partition_config_selectorILNS1_17partition_subalgoE0EyNS0_10empty_typeEbEEZZNS1_14partition_implILS5_0ELb0ES3_jN6thrust23THRUST_200600_302600_NS6detail15normal_iteratorINSA_10device_ptrIyEEEEPS6_SG_NS0_5tupleIJNSA_16discard_iteratorINSA_11use_defaultEEESK_EEENSH_IJSG_SG_EEES6_PlJ7is_evenIyEEEE10hipError_tPvRmT3_T4_T5_T6_T7_T9_mT8_P12ihipStream_tbDpT10_ENKUlT_T0_E_clISt17integral_constantIbLb0EES19_EEDaS14_S15_EUlS14_E_NS1_11comp_targetILNS1_3genE5ELNS1_11target_archE942ELNS1_3gpuE9ELNS1_3repE0EEENS1_30default_config_static_selectorELNS0_4arch9wavefront6targetE1EEEvT1_.kd
    .uniform_work_group_size: 1
    .uses_dynamic_stack: false
    .vgpr_count:     56
    .vgpr_spill_count: 0
    .wavefront_size: 64
  - .agpr_count:     0
    .args:
      - .offset:         0
        .size:           136
        .value_kind:     by_value
    .group_segment_fixed_size: 0
    .kernarg_segment_align: 8
    .kernarg_segment_size: 136
    .language:       OpenCL C
    .language_version:
      - 2
      - 0
    .max_flat_workgroup_size: 192
    .name:           _ZN7rocprim17ROCPRIM_400000_NS6detail17trampoline_kernelINS0_14default_configENS1_25partition_config_selectorILNS1_17partition_subalgoE0EyNS0_10empty_typeEbEEZZNS1_14partition_implILS5_0ELb0ES3_jN6thrust23THRUST_200600_302600_NS6detail15normal_iteratorINSA_10device_ptrIyEEEEPS6_SG_NS0_5tupleIJNSA_16discard_iteratorINSA_11use_defaultEEESK_EEENSH_IJSG_SG_EEES6_PlJ7is_evenIyEEEE10hipError_tPvRmT3_T4_T5_T6_T7_T9_mT8_P12ihipStream_tbDpT10_ENKUlT_T0_E_clISt17integral_constantIbLb0EES19_EEDaS14_S15_EUlS14_E_NS1_11comp_targetILNS1_3genE4ELNS1_11target_archE910ELNS1_3gpuE8ELNS1_3repE0EEENS1_30default_config_static_selectorELNS0_4arch9wavefront6targetE1EEEvT1_
    .private_segment_fixed_size: 0
    .sgpr_count:     6
    .sgpr_spill_count: 0
    .symbol:         _ZN7rocprim17ROCPRIM_400000_NS6detail17trampoline_kernelINS0_14default_configENS1_25partition_config_selectorILNS1_17partition_subalgoE0EyNS0_10empty_typeEbEEZZNS1_14partition_implILS5_0ELb0ES3_jN6thrust23THRUST_200600_302600_NS6detail15normal_iteratorINSA_10device_ptrIyEEEEPS6_SG_NS0_5tupleIJNSA_16discard_iteratorINSA_11use_defaultEEESK_EEENSH_IJSG_SG_EEES6_PlJ7is_evenIyEEEE10hipError_tPvRmT3_T4_T5_T6_T7_T9_mT8_P12ihipStream_tbDpT10_ENKUlT_T0_E_clISt17integral_constantIbLb0EES19_EEDaS14_S15_EUlS14_E_NS1_11comp_targetILNS1_3genE4ELNS1_11target_archE910ELNS1_3gpuE8ELNS1_3repE0EEENS1_30default_config_static_selectorELNS0_4arch9wavefront6targetE1EEEvT1_.kd
    .uniform_work_group_size: 1
    .uses_dynamic_stack: false
    .vgpr_count:     0
    .vgpr_spill_count: 0
    .wavefront_size: 64
  - .agpr_count:     0
    .args:
      - .offset:         0
        .size:           136
        .value_kind:     by_value
    .group_segment_fixed_size: 0
    .kernarg_segment_align: 8
    .kernarg_segment_size: 136
    .language:       OpenCL C
    .language_version:
      - 2
      - 0
    .max_flat_workgroup_size: 128
    .name:           _ZN7rocprim17ROCPRIM_400000_NS6detail17trampoline_kernelINS0_14default_configENS1_25partition_config_selectorILNS1_17partition_subalgoE0EyNS0_10empty_typeEbEEZZNS1_14partition_implILS5_0ELb0ES3_jN6thrust23THRUST_200600_302600_NS6detail15normal_iteratorINSA_10device_ptrIyEEEEPS6_SG_NS0_5tupleIJNSA_16discard_iteratorINSA_11use_defaultEEESK_EEENSH_IJSG_SG_EEES6_PlJ7is_evenIyEEEE10hipError_tPvRmT3_T4_T5_T6_T7_T9_mT8_P12ihipStream_tbDpT10_ENKUlT_T0_E_clISt17integral_constantIbLb0EES19_EEDaS14_S15_EUlS14_E_NS1_11comp_targetILNS1_3genE3ELNS1_11target_archE908ELNS1_3gpuE7ELNS1_3repE0EEENS1_30default_config_static_selectorELNS0_4arch9wavefront6targetE1EEEvT1_
    .private_segment_fixed_size: 0
    .sgpr_count:     6
    .sgpr_spill_count: 0
    .symbol:         _ZN7rocprim17ROCPRIM_400000_NS6detail17trampoline_kernelINS0_14default_configENS1_25partition_config_selectorILNS1_17partition_subalgoE0EyNS0_10empty_typeEbEEZZNS1_14partition_implILS5_0ELb0ES3_jN6thrust23THRUST_200600_302600_NS6detail15normal_iteratorINSA_10device_ptrIyEEEEPS6_SG_NS0_5tupleIJNSA_16discard_iteratorINSA_11use_defaultEEESK_EEENSH_IJSG_SG_EEES6_PlJ7is_evenIyEEEE10hipError_tPvRmT3_T4_T5_T6_T7_T9_mT8_P12ihipStream_tbDpT10_ENKUlT_T0_E_clISt17integral_constantIbLb0EES19_EEDaS14_S15_EUlS14_E_NS1_11comp_targetILNS1_3genE3ELNS1_11target_archE908ELNS1_3gpuE7ELNS1_3repE0EEENS1_30default_config_static_selectorELNS0_4arch9wavefront6targetE1EEEvT1_.kd
    .uniform_work_group_size: 1
    .uses_dynamic_stack: false
    .vgpr_count:     0
    .vgpr_spill_count: 0
    .wavefront_size: 64
  - .agpr_count:     0
    .args:
      - .offset:         0
        .size:           136
        .value_kind:     by_value
    .group_segment_fixed_size: 0
    .kernarg_segment_align: 8
    .kernarg_segment_size: 136
    .language:       OpenCL C
    .language_version:
      - 2
      - 0
    .max_flat_workgroup_size: 256
    .name:           _ZN7rocprim17ROCPRIM_400000_NS6detail17trampoline_kernelINS0_14default_configENS1_25partition_config_selectorILNS1_17partition_subalgoE0EyNS0_10empty_typeEbEEZZNS1_14partition_implILS5_0ELb0ES3_jN6thrust23THRUST_200600_302600_NS6detail15normal_iteratorINSA_10device_ptrIyEEEEPS6_SG_NS0_5tupleIJNSA_16discard_iteratorINSA_11use_defaultEEESK_EEENSH_IJSG_SG_EEES6_PlJ7is_evenIyEEEE10hipError_tPvRmT3_T4_T5_T6_T7_T9_mT8_P12ihipStream_tbDpT10_ENKUlT_T0_E_clISt17integral_constantIbLb0EES19_EEDaS14_S15_EUlS14_E_NS1_11comp_targetILNS1_3genE2ELNS1_11target_archE906ELNS1_3gpuE6ELNS1_3repE0EEENS1_30default_config_static_selectorELNS0_4arch9wavefront6targetE1EEEvT1_
    .private_segment_fixed_size: 0
    .sgpr_count:     6
    .sgpr_spill_count: 0
    .symbol:         _ZN7rocprim17ROCPRIM_400000_NS6detail17trampoline_kernelINS0_14default_configENS1_25partition_config_selectorILNS1_17partition_subalgoE0EyNS0_10empty_typeEbEEZZNS1_14partition_implILS5_0ELb0ES3_jN6thrust23THRUST_200600_302600_NS6detail15normal_iteratorINSA_10device_ptrIyEEEEPS6_SG_NS0_5tupleIJNSA_16discard_iteratorINSA_11use_defaultEEESK_EEENSH_IJSG_SG_EEES6_PlJ7is_evenIyEEEE10hipError_tPvRmT3_T4_T5_T6_T7_T9_mT8_P12ihipStream_tbDpT10_ENKUlT_T0_E_clISt17integral_constantIbLb0EES19_EEDaS14_S15_EUlS14_E_NS1_11comp_targetILNS1_3genE2ELNS1_11target_archE906ELNS1_3gpuE6ELNS1_3repE0EEENS1_30default_config_static_selectorELNS0_4arch9wavefront6targetE1EEEvT1_.kd
    .uniform_work_group_size: 1
    .uses_dynamic_stack: false
    .vgpr_count:     0
    .vgpr_spill_count: 0
    .wavefront_size: 64
  - .agpr_count:     0
    .args:
      - .offset:         0
        .size:           136
        .value_kind:     by_value
    .group_segment_fixed_size: 0
    .kernarg_segment_align: 8
    .kernarg_segment_size: 136
    .language:       OpenCL C
    .language_version:
      - 2
      - 0
    .max_flat_workgroup_size: 512
    .name:           _ZN7rocprim17ROCPRIM_400000_NS6detail17trampoline_kernelINS0_14default_configENS1_25partition_config_selectorILNS1_17partition_subalgoE0EyNS0_10empty_typeEbEEZZNS1_14partition_implILS5_0ELb0ES3_jN6thrust23THRUST_200600_302600_NS6detail15normal_iteratorINSA_10device_ptrIyEEEEPS6_SG_NS0_5tupleIJNSA_16discard_iteratorINSA_11use_defaultEEESK_EEENSH_IJSG_SG_EEES6_PlJ7is_evenIyEEEE10hipError_tPvRmT3_T4_T5_T6_T7_T9_mT8_P12ihipStream_tbDpT10_ENKUlT_T0_E_clISt17integral_constantIbLb0EES19_EEDaS14_S15_EUlS14_E_NS1_11comp_targetILNS1_3genE10ELNS1_11target_archE1200ELNS1_3gpuE4ELNS1_3repE0EEENS1_30default_config_static_selectorELNS0_4arch9wavefront6targetE1EEEvT1_
    .private_segment_fixed_size: 0
    .sgpr_count:     6
    .sgpr_spill_count: 0
    .symbol:         _ZN7rocprim17ROCPRIM_400000_NS6detail17trampoline_kernelINS0_14default_configENS1_25partition_config_selectorILNS1_17partition_subalgoE0EyNS0_10empty_typeEbEEZZNS1_14partition_implILS5_0ELb0ES3_jN6thrust23THRUST_200600_302600_NS6detail15normal_iteratorINSA_10device_ptrIyEEEEPS6_SG_NS0_5tupleIJNSA_16discard_iteratorINSA_11use_defaultEEESK_EEENSH_IJSG_SG_EEES6_PlJ7is_evenIyEEEE10hipError_tPvRmT3_T4_T5_T6_T7_T9_mT8_P12ihipStream_tbDpT10_ENKUlT_T0_E_clISt17integral_constantIbLb0EES19_EEDaS14_S15_EUlS14_E_NS1_11comp_targetILNS1_3genE10ELNS1_11target_archE1200ELNS1_3gpuE4ELNS1_3repE0EEENS1_30default_config_static_selectorELNS0_4arch9wavefront6targetE1EEEvT1_.kd
    .uniform_work_group_size: 1
    .uses_dynamic_stack: false
    .vgpr_count:     0
    .vgpr_spill_count: 0
    .wavefront_size: 64
  - .agpr_count:     0
    .args:
      - .offset:         0
        .size:           136
        .value_kind:     by_value
    .group_segment_fixed_size: 0
    .kernarg_segment_align: 8
    .kernarg_segment_size: 136
    .language:       OpenCL C
    .language_version:
      - 2
      - 0
    .max_flat_workgroup_size: 512
    .name:           _ZN7rocprim17ROCPRIM_400000_NS6detail17trampoline_kernelINS0_14default_configENS1_25partition_config_selectorILNS1_17partition_subalgoE0EyNS0_10empty_typeEbEEZZNS1_14partition_implILS5_0ELb0ES3_jN6thrust23THRUST_200600_302600_NS6detail15normal_iteratorINSA_10device_ptrIyEEEEPS6_SG_NS0_5tupleIJNSA_16discard_iteratorINSA_11use_defaultEEESK_EEENSH_IJSG_SG_EEES6_PlJ7is_evenIyEEEE10hipError_tPvRmT3_T4_T5_T6_T7_T9_mT8_P12ihipStream_tbDpT10_ENKUlT_T0_E_clISt17integral_constantIbLb0EES19_EEDaS14_S15_EUlS14_E_NS1_11comp_targetILNS1_3genE9ELNS1_11target_archE1100ELNS1_3gpuE3ELNS1_3repE0EEENS1_30default_config_static_selectorELNS0_4arch9wavefront6targetE1EEEvT1_
    .private_segment_fixed_size: 0
    .sgpr_count:     6
    .sgpr_spill_count: 0
    .symbol:         _ZN7rocprim17ROCPRIM_400000_NS6detail17trampoline_kernelINS0_14default_configENS1_25partition_config_selectorILNS1_17partition_subalgoE0EyNS0_10empty_typeEbEEZZNS1_14partition_implILS5_0ELb0ES3_jN6thrust23THRUST_200600_302600_NS6detail15normal_iteratorINSA_10device_ptrIyEEEEPS6_SG_NS0_5tupleIJNSA_16discard_iteratorINSA_11use_defaultEEESK_EEENSH_IJSG_SG_EEES6_PlJ7is_evenIyEEEE10hipError_tPvRmT3_T4_T5_T6_T7_T9_mT8_P12ihipStream_tbDpT10_ENKUlT_T0_E_clISt17integral_constantIbLb0EES19_EEDaS14_S15_EUlS14_E_NS1_11comp_targetILNS1_3genE9ELNS1_11target_archE1100ELNS1_3gpuE3ELNS1_3repE0EEENS1_30default_config_static_selectorELNS0_4arch9wavefront6targetE1EEEvT1_.kd
    .uniform_work_group_size: 1
    .uses_dynamic_stack: false
    .vgpr_count:     0
    .vgpr_spill_count: 0
    .wavefront_size: 64
  - .agpr_count:     0
    .args:
      - .offset:         0
        .size:           136
        .value_kind:     by_value
    .group_segment_fixed_size: 0
    .kernarg_segment_align: 8
    .kernarg_segment_size: 136
    .language:       OpenCL C
    .language_version:
      - 2
      - 0
    .max_flat_workgroup_size: 512
    .name:           _ZN7rocprim17ROCPRIM_400000_NS6detail17trampoline_kernelINS0_14default_configENS1_25partition_config_selectorILNS1_17partition_subalgoE0EyNS0_10empty_typeEbEEZZNS1_14partition_implILS5_0ELb0ES3_jN6thrust23THRUST_200600_302600_NS6detail15normal_iteratorINSA_10device_ptrIyEEEEPS6_SG_NS0_5tupleIJNSA_16discard_iteratorINSA_11use_defaultEEESK_EEENSH_IJSG_SG_EEES6_PlJ7is_evenIyEEEE10hipError_tPvRmT3_T4_T5_T6_T7_T9_mT8_P12ihipStream_tbDpT10_ENKUlT_T0_E_clISt17integral_constantIbLb0EES19_EEDaS14_S15_EUlS14_E_NS1_11comp_targetILNS1_3genE8ELNS1_11target_archE1030ELNS1_3gpuE2ELNS1_3repE0EEENS1_30default_config_static_selectorELNS0_4arch9wavefront6targetE1EEEvT1_
    .private_segment_fixed_size: 0
    .sgpr_count:     6
    .sgpr_spill_count: 0
    .symbol:         _ZN7rocprim17ROCPRIM_400000_NS6detail17trampoline_kernelINS0_14default_configENS1_25partition_config_selectorILNS1_17partition_subalgoE0EyNS0_10empty_typeEbEEZZNS1_14partition_implILS5_0ELb0ES3_jN6thrust23THRUST_200600_302600_NS6detail15normal_iteratorINSA_10device_ptrIyEEEEPS6_SG_NS0_5tupleIJNSA_16discard_iteratorINSA_11use_defaultEEESK_EEENSH_IJSG_SG_EEES6_PlJ7is_evenIyEEEE10hipError_tPvRmT3_T4_T5_T6_T7_T9_mT8_P12ihipStream_tbDpT10_ENKUlT_T0_E_clISt17integral_constantIbLb0EES19_EEDaS14_S15_EUlS14_E_NS1_11comp_targetILNS1_3genE8ELNS1_11target_archE1030ELNS1_3gpuE2ELNS1_3repE0EEENS1_30default_config_static_selectorELNS0_4arch9wavefront6targetE1EEEvT1_.kd
    .uniform_work_group_size: 1
    .uses_dynamic_stack: false
    .vgpr_count:     0
    .vgpr_spill_count: 0
    .wavefront_size: 64
  - .agpr_count:     0
    .args:
      - .offset:         0
        .size:           152
        .value_kind:     by_value
    .group_segment_fixed_size: 0
    .kernarg_segment_align: 8
    .kernarg_segment_size: 152
    .language:       OpenCL C
    .language_version:
      - 2
      - 0
    .max_flat_workgroup_size: 128
    .name:           _ZN7rocprim17ROCPRIM_400000_NS6detail17trampoline_kernelINS0_14default_configENS1_25partition_config_selectorILNS1_17partition_subalgoE0EyNS0_10empty_typeEbEEZZNS1_14partition_implILS5_0ELb0ES3_jN6thrust23THRUST_200600_302600_NS6detail15normal_iteratorINSA_10device_ptrIyEEEEPS6_SG_NS0_5tupleIJNSA_16discard_iteratorINSA_11use_defaultEEESK_EEENSH_IJSG_SG_EEES6_PlJ7is_evenIyEEEE10hipError_tPvRmT3_T4_T5_T6_T7_T9_mT8_P12ihipStream_tbDpT10_ENKUlT_T0_E_clISt17integral_constantIbLb1EES19_EEDaS14_S15_EUlS14_E_NS1_11comp_targetILNS1_3genE0ELNS1_11target_archE4294967295ELNS1_3gpuE0ELNS1_3repE0EEENS1_30default_config_static_selectorELNS0_4arch9wavefront6targetE1EEEvT1_
    .private_segment_fixed_size: 0
    .sgpr_count:     6
    .sgpr_spill_count: 0
    .symbol:         _ZN7rocprim17ROCPRIM_400000_NS6detail17trampoline_kernelINS0_14default_configENS1_25partition_config_selectorILNS1_17partition_subalgoE0EyNS0_10empty_typeEbEEZZNS1_14partition_implILS5_0ELb0ES3_jN6thrust23THRUST_200600_302600_NS6detail15normal_iteratorINSA_10device_ptrIyEEEEPS6_SG_NS0_5tupleIJNSA_16discard_iteratorINSA_11use_defaultEEESK_EEENSH_IJSG_SG_EEES6_PlJ7is_evenIyEEEE10hipError_tPvRmT3_T4_T5_T6_T7_T9_mT8_P12ihipStream_tbDpT10_ENKUlT_T0_E_clISt17integral_constantIbLb1EES19_EEDaS14_S15_EUlS14_E_NS1_11comp_targetILNS1_3genE0ELNS1_11target_archE4294967295ELNS1_3gpuE0ELNS1_3repE0EEENS1_30default_config_static_selectorELNS0_4arch9wavefront6targetE1EEEvT1_.kd
    .uniform_work_group_size: 1
    .uses_dynamic_stack: false
    .vgpr_count:     0
    .vgpr_spill_count: 0
    .wavefront_size: 64
  - .agpr_count:     0
    .args:
      - .offset:         0
        .size:           152
        .value_kind:     by_value
    .group_segment_fixed_size: 28680
    .kernarg_segment_align: 8
    .kernarg_segment_size: 152
    .language:       OpenCL C
    .language_version:
      - 2
      - 0
    .max_flat_workgroup_size: 512
    .name:           _ZN7rocprim17ROCPRIM_400000_NS6detail17trampoline_kernelINS0_14default_configENS1_25partition_config_selectorILNS1_17partition_subalgoE0EyNS0_10empty_typeEbEEZZNS1_14partition_implILS5_0ELb0ES3_jN6thrust23THRUST_200600_302600_NS6detail15normal_iteratorINSA_10device_ptrIyEEEEPS6_SG_NS0_5tupleIJNSA_16discard_iteratorINSA_11use_defaultEEESK_EEENSH_IJSG_SG_EEES6_PlJ7is_evenIyEEEE10hipError_tPvRmT3_T4_T5_T6_T7_T9_mT8_P12ihipStream_tbDpT10_ENKUlT_T0_E_clISt17integral_constantIbLb1EES19_EEDaS14_S15_EUlS14_E_NS1_11comp_targetILNS1_3genE5ELNS1_11target_archE942ELNS1_3gpuE9ELNS1_3repE0EEENS1_30default_config_static_selectorELNS0_4arch9wavefront6targetE1EEEvT1_
    .private_segment_fixed_size: 0
    .sgpr_count:     42
    .sgpr_spill_count: 0
    .symbol:         _ZN7rocprim17ROCPRIM_400000_NS6detail17trampoline_kernelINS0_14default_configENS1_25partition_config_selectorILNS1_17partition_subalgoE0EyNS0_10empty_typeEbEEZZNS1_14partition_implILS5_0ELb0ES3_jN6thrust23THRUST_200600_302600_NS6detail15normal_iteratorINSA_10device_ptrIyEEEEPS6_SG_NS0_5tupleIJNSA_16discard_iteratorINSA_11use_defaultEEESK_EEENSH_IJSG_SG_EEES6_PlJ7is_evenIyEEEE10hipError_tPvRmT3_T4_T5_T6_T7_T9_mT8_P12ihipStream_tbDpT10_ENKUlT_T0_E_clISt17integral_constantIbLb1EES19_EEDaS14_S15_EUlS14_E_NS1_11comp_targetILNS1_3genE5ELNS1_11target_archE942ELNS1_3gpuE9ELNS1_3repE0EEENS1_30default_config_static_selectorELNS0_4arch9wavefront6targetE1EEEvT1_.kd
    .uniform_work_group_size: 1
    .uses_dynamic_stack: false
    .vgpr_count:     58
    .vgpr_spill_count: 0
    .wavefront_size: 64
  - .agpr_count:     0
    .args:
      - .offset:         0
        .size:           152
        .value_kind:     by_value
    .group_segment_fixed_size: 0
    .kernarg_segment_align: 8
    .kernarg_segment_size: 152
    .language:       OpenCL C
    .language_version:
      - 2
      - 0
    .max_flat_workgroup_size: 192
    .name:           _ZN7rocprim17ROCPRIM_400000_NS6detail17trampoline_kernelINS0_14default_configENS1_25partition_config_selectorILNS1_17partition_subalgoE0EyNS0_10empty_typeEbEEZZNS1_14partition_implILS5_0ELb0ES3_jN6thrust23THRUST_200600_302600_NS6detail15normal_iteratorINSA_10device_ptrIyEEEEPS6_SG_NS0_5tupleIJNSA_16discard_iteratorINSA_11use_defaultEEESK_EEENSH_IJSG_SG_EEES6_PlJ7is_evenIyEEEE10hipError_tPvRmT3_T4_T5_T6_T7_T9_mT8_P12ihipStream_tbDpT10_ENKUlT_T0_E_clISt17integral_constantIbLb1EES19_EEDaS14_S15_EUlS14_E_NS1_11comp_targetILNS1_3genE4ELNS1_11target_archE910ELNS1_3gpuE8ELNS1_3repE0EEENS1_30default_config_static_selectorELNS0_4arch9wavefront6targetE1EEEvT1_
    .private_segment_fixed_size: 0
    .sgpr_count:     6
    .sgpr_spill_count: 0
    .symbol:         _ZN7rocprim17ROCPRIM_400000_NS6detail17trampoline_kernelINS0_14default_configENS1_25partition_config_selectorILNS1_17partition_subalgoE0EyNS0_10empty_typeEbEEZZNS1_14partition_implILS5_0ELb0ES3_jN6thrust23THRUST_200600_302600_NS6detail15normal_iteratorINSA_10device_ptrIyEEEEPS6_SG_NS0_5tupleIJNSA_16discard_iteratorINSA_11use_defaultEEESK_EEENSH_IJSG_SG_EEES6_PlJ7is_evenIyEEEE10hipError_tPvRmT3_T4_T5_T6_T7_T9_mT8_P12ihipStream_tbDpT10_ENKUlT_T0_E_clISt17integral_constantIbLb1EES19_EEDaS14_S15_EUlS14_E_NS1_11comp_targetILNS1_3genE4ELNS1_11target_archE910ELNS1_3gpuE8ELNS1_3repE0EEENS1_30default_config_static_selectorELNS0_4arch9wavefront6targetE1EEEvT1_.kd
    .uniform_work_group_size: 1
    .uses_dynamic_stack: false
    .vgpr_count:     0
    .vgpr_spill_count: 0
    .wavefront_size: 64
  - .agpr_count:     0
    .args:
      - .offset:         0
        .size:           152
        .value_kind:     by_value
    .group_segment_fixed_size: 0
    .kernarg_segment_align: 8
    .kernarg_segment_size: 152
    .language:       OpenCL C
    .language_version:
      - 2
      - 0
    .max_flat_workgroup_size: 128
    .name:           _ZN7rocprim17ROCPRIM_400000_NS6detail17trampoline_kernelINS0_14default_configENS1_25partition_config_selectorILNS1_17partition_subalgoE0EyNS0_10empty_typeEbEEZZNS1_14partition_implILS5_0ELb0ES3_jN6thrust23THRUST_200600_302600_NS6detail15normal_iteratorINSA_10device_ptrIyEEEEPS6_SG_NS0_5tupleIJNSA_16discard_iteratorINSA_11use_defaultEEESK_EEENSH_IJSG_SG_EEES6_PlJ7is_evenIyEEEE10hipError_tPvRmT3_T4_T5_T6_T7_T9_mT8_P12ihipStream_tbDpT10_ENKUlT_T0_E_clISt17integral_constantIbLb1EES19_EEDaS14_S15_EUlS14_E_NS1_11comp_targetILNS1_3genE3ELNS1_11target_archE908ELNS1_3gpuE7ELNS1_3repE0EEENS1_30default_config_static_selectorELNS0_4arch9wavefront6targetE1EEEvT1_
    .private_segment_fixed_size: 0
    .sgpr_count:     6
    .sgpr_spill_count: 0
    .symbol:         _ZN7rocprim17ROCPRIM_400000_NS6detail17trampoline_kernelINS0_14default_configENS1_25partition_config_selectorILNS1_17partition_subalgoE0EyNS0_10empty_typeEbEEZZNS1_14partition_implILS5_0ELb0ES3_jN6thrust23THRUST_200600_302600_NS6detail15normal_iteratorINSA_10device_ptrIyEEEEPS6_SG_NS0_5tupleIJNSA_16discard_iteratorINSA_11use_defaultEEESK_EEENSH_IJSG_SG_EEES6_PlJ7is_evenIyEEEE10hipError_tPvRmT3_T4_T5_T6_T7_T9_mT8_P12ihipStream_tbDpT10_ENKUlT_T0_E_clISt17integral_constantIbLb1EES19_EEDaS14_S15_EUlS14_E_NS1_11comp_targetILNS1_3genE3ELNS1_11target_archE908ELNS1_3gpuE7ELNS1_3repE0EEENS1_30default_config_static_selectorELNS0_4arch9wavefront6targetE1EEEvT1_.kd
    .uniform_work_group_size: 1
    .uses_dynamic_stack: false
    .vgpr_count:     0
    .vgpr_spill_count: 0
    .wavefront_size: 64
  - .agpr_count:     0
    .args:
      - .offset:         0
        .size:           152
        .value_kind:     by_value
    .group_segment_fixed_size: 0
    .kernarg_segment_align: 8
    .kernarg_segment_size: 152
    .language:       OpenCL C
    .language_version:
      - 2
      - 0
    .max_flat_workgroup_size: 256
    .name:           _ZN7rocprim17ROCPRIM_400000_NS6detail17trampoline_kernelINS0_14default_configENS1_25partition_config_selectorILNS1_17partition_subalgoE0EyNS0_10empty_typeEbEEZZNS1_14partition_implILS5_0ELb0ES3_jN6thrust23THRUST_200600_302600_NS6detail15normal_iteratorINSA_10device_ptrIyEEEEPS6_SG_NS0_5tupleIJNSA_16discard_iteratorINSA_11use_defaultEEESK_EEENSH_IJSG_SG_EEES6_PlJ7is_evenIyEEEE10hipError_tPvRmT3_T4_T5_T6_T7_T9_mT8_P12ihipStream_tbDpT10_ENKUlT_T0_E_clISt17integral_constantIbLb1EES19_EEDaS14_S15_EUlS14_E_NS1_11comp_targetILNS1_3genE2ELNS1_11target_archE906ELNS1_3gpuE6ELNS1_3repE0EEENS1_30default_config_static_selectorELNS0_4arch9wavefront6targetE1EEEvT1_
    .private_segment_fixed_size: 0
    .sgpr_count:     6
    .sgpr_spill_count: 0
    .symbol:         _ZN7rocprim17ROCPRIM_400000_NS6detail17trampoline_kernelINS0_14default_configENS1_25partition_config_selectorILNS1_17partition_subalgoE0EyNS0_10empty_typeEbEEZZNS1_14partition_implILS5_0ELb0ES3_jN6thrust23THRUST_200600_302600_NS6detail15normal_iteratorINSA_10device_ptrIyEEEEPS6_SG_NS0_5tupleIJNSA_16discard_iteratorINSA_11use_defaultEEESK_EEENSH_IJSG_SG_EEES6_PlJ7is_evenIyEEEE10hipError_tPvRmT3_T4_T5_T6_T7_T9_mT8_P12ihipStream_tbDpT10_ENKUlT_T0_E_clISt17integral_constantIbLb1EES19_EEDaS14_S15_EUlS14_E_NS1_11comp_targetILNS1_3genE2ELNS1_11target_archE906ELNS1_3gpuE6ELNS1_3repE0EEENS1_30default_config_static_selectorELNS0_4arch9wavefront6targetE1EEEvT1_.kd
    .uniform_work_group_size: 1
    .uses_dynamic_stack: false
    .vgpr_count:     0
    .vgpr_spill_count: 0
    .wavefront_size: 64
  - .agpr_count:     0
    .args:
      - .offset:         0
        .size:           152
        .value_kind:     by_value
    .group_segment_fixed_size: 0
    .kernarg_segment_align: 8
    .kernarg_segment_size: 152
    .language:       OpenCL C
    .language_version:
      - 2
      - 0
    .max_flat_workgroup_size: 512
    .name:           _ZN7rocprim17ROCPRIM_400000_NS6detail17trampoline_kernelINS0_14default_configENS1_25partition_config_selectorILNS1_17partition_subalgoE0EyNS0_10empty_typeEbEEZZNS1_14partition_implILS5_0ELb0ES3_jN6thrust23THRUST_200600_302600_NS6detail15normal_iteratorINSA_10device_ptrIyEEEEPS6_SG_NS0_5tupleIJNSA_16discard_iteratorINSA_11use_defaultEEESK_EEENSH_IJSG_SG_EEES6_PlJ7is_evenIyEEEE10hipError_tPvRmT3_T4_T5_T6_T7_T9_mT8_P12ihipStream_tbDpT10_ENKUlT_T0_E_clISt17integral_constantIbLb1EES19_EEDaS14_S15_EUlS14_E_NS1_11comp_targetILNS1_3genE10ELNS1_11target_archE1200ELNS1_3gpuE4ELNS1_3repE0EEENS1_30default_config_static_selectorELNS0_4arch9wavefront6targetE1EEEvT1_
    .private_segment_fixed_size: 0
    .sgpr_count:     6
    .sgpr_spill_count: 0
    .symbol:         _ZN7rocprim17ROCPRIM_400000_NS6detail17trampoline_kernelINS0_14default_configENS1_25partition_config_selectorILNS1_17partition_subalgoE0EyNS0_10empty_typeEbEEZZNS1_14partition_implILS5_0ELb0ES3_jN6thrust23THRUST_200600_302600_NS6detail15normal_iteratorINSA_10device_ptrIyEEEEPS6_SG_NS0_5tupleIJNSA_16discard_iteratorINSA_11use_defaultEEESK_EEENSH_IJSG_SG_EEES6_PlJ7is_evenIyEEEE10hipError_tPvRmT3_T4_T5_T6_T7_T9_mT8_P12ihipStream_tbDpT10_ENKUlT_T0_E_clISt17integral_constantIbLb1EES19_EEDaS14_S15_EUlS14_E_NS1_11comp_targetILNS1_3genE10ELNS1_11target_archE1200ELNS1_3gpuE4ELNS1_3repE0EEENS1_30default_config_static_selectorELNS0_4arch9wavefront6targetE1EEEvT1_.kd
    .uniform_work_group_size: 1
    .uses_dynamic_stack: false
    .vgpr_count:     0
    .vgpr_spill_count: 0
    .wavefront_size: 64
  - .agpr_count:     0
    .args:
      - .offset:         0
        .size:           152
        .value_kind:     by_value
    .group_segment_fixed_size: 0
    .kernarg_segment_align: 8
    .kernarg_segment_size: 152
    .language:       OpenCL C
    .language_version:
      - 2
      - 0
    .max_flat_workgroup_size: 512
    .name:           _ZN7rocprim17ROCPRIM_400000_NS6detail17trampoline_kernelINS0_14default_configENS1_25partition_config_selectorILNS1_17partition_subalgoE0EyNS0_10empty_typeEbEEZZNS1_14partition_implILS5_0ELb0ES3_jN6thrust23THRUST_200600_302600_NS6detail15normal_iteratorINSA_10device_ptrIyEEEEPS6_SG_NS0_5tupleIJNSA_16discard_iteratorINSA_11use_defaultEEESK_EEENSH_IJSG_SG_EEES6_PlJ7is_evenIyEEEE10hipError_tPvRmT3_T4_T5_T6_T7_T9_mT8_P12ihipStream_tbDpT10_ENKUlT_T0_E_clISt17integral_constantIbLb1EES19_EEDaS14_S15_EUlS14_E_NS1_11comp_targetILNS1_3genE9ELNS1_11target_archE1100ELNS1_3gpuE3ELNS1_3repE0EEENS1_30default_config_static_selectorELNS0_4arch9wavefront6targetE1EEEvT1_
    .private_segment_fixed_size: 0
    .sgpr_count:     6
    .sgpr_spill_count: 0
    .symbol:         _ZN7rocprim17ROCPRIM_400000_NS6detail17trampoline_kernelINS0_14default_configENS1_25partition_config_selectorILNS1_17partition_subalgoE0EyNS0_10empty_typeEbEEZZNS1_14partition_implILS5_0ELb0ES3_jN6thrust23THRUST_200600_302600_NS6detail15normal_iteratorINSA_10device_ptrIyEEEEPS6_SG_NS0_5tupleIJNSA_16discard_iteratorINSA_11use_defaultEEESK_EEENSH_IJSG_SG_EEES6_PlJ7is_evenIyEEEE10hipError_tPvRmT3_T4_T5_T6_T7_T9_mT8_P12ihipStream_tbDpT10_ENKUlT_T0_E_clISt17integral_constantIbLb1EES19_EEDaS14_S15_EUlS14_E_NS1_11comp_targetILNS1_3genE9ELNS1_11target_archE1100ELNS1_3gpuE3ELNS1_3repE0EEENS1_30default_config_static_selectorELNS0_4arch9wavefront6targetE1EEEvT1_.kd
    .uniform_work_group_size: 1
    .uses_dynamic_stack: false
    .vgpr_count:     0
    .vgpr_spill_count: 0
    .wavefront_size: 64
  - .agpr_count:     0
    .args:
      - .offset:         0
        .size:           152
        .value_kind:     by_value
    .group_segment_fixed_size: 0
    .kernarg_segment_align: 8
    .kernarg_segment_size: 152
    .language:       OpenCL C
    .language_version:
      - 2
      - 0
    .max_flat_workgroup_size: 512
    .name:           _ZN7rocprim17ROCPRIM_400000_NS6detail17trampoline_kernelINS0_14default_configENS1_25partition_config_selectorILNS1_17partition_subalgoE0EyNS0_10empty_typeEbEEZZNS1_14partition_implILS5_0ELb0ES3_jN6thrust23THRUST_200600_302600_NS6detail15normal_iteratorINSA_10device_ptrIyEEEEPS6_SG_NS0_5tupleIJNSA_16discard_iteratorINSA_11use_defaultEEESK_EEENSH_IJSG_SG_EEES6_PlJ7is_evenIyEEEE10hipError_tPvRmT3_T4_T5_T6_T7_T9_mT8_P12ihipStream_tbDpT10_ENKUlT_T0_E_clISt17integral_constantIbLb1EES19_EEDaS14_S15_EUlS14_E_NS1_11comp_targetILNS1_3genE8ELNS1_11target_archE1030ELNS1_3gpuE2ELNS1_3repE0EEENS1_30default_config_static_selectorELNS0_4arch9wavefront6targetE1EEEvT1_
    .private_segment_fixed_size: 0
    .sgpr_count:     6
    .sgpr_spill_count: 0
    .symbol:         _ZN7rocprim17ROCPRIM_400000_NS6detail17trampoline_kernelINS0_14default_configENS1_25partition_config_selectorILNS1_17partition_subalgoE0EyNS0_10empty_typeEbEEZZNS1_14partition_implILS5_0ELb0ES3_jN6thrust23THRUST_200600_302600_NS6detail15normal_iteratorINSA_10device_ptrIyEEEEPS6_SG_NS0_5tupleIJNSA_16discard_iteratorINSA_11use_defaultEEESK_EEENSH_IJSG_SG_EEES6_PlJ7is_evenIyEEEE10hipError_tPvRmT3_T4_T5_T6_T7_T9_mT8_P12ihipStream_tbDpT10_ENKUlT_T0_E_clISt17integral_constantIbLb1EES19_EEDaS14_S15_EUlS14_E_NS1_11comp_targetILNS1_3genE8ELNS1_11target_archE1030ELNS1_3gpuE2ELNS1_3repE0EEENS1_30default_config_static_selectorELNS0_4arch9wavefront6targetE1EEEvT1_.kd
    .uniform_work_group_size: 1
    .uses_dynamic_stack: false
    .vgpr_count:     0
    .vgpr_spill_count: 0
    .wavefront_size: 64
  - .agpr_count:     0
    .args:
      - .offset:         0
        .size:           136
        .value_kind:     by_value
    .group_segment_fixed_size: 0
    .kernarg_segment_align: 8
    .kernarg_segment_size: 136
    .language:       OpenCL C
    .language_version:
      - 2
      - 0
    .max_flat_workgroup_size: 128
    .name:           _ZN7rocprim17ROCPRIM_400000_NS6detail17trampoline_kernelINS0_14default_configENS1_25partition_config_selectorILNS1_17partition_subalgoE0EyNS0_10empty_typeEbEEZZNS1_14partition_implILS5_0ELb0ES3_jN6thrust23THRUST_200600_302600_NS6detail15normal_iteratorINSA_10device_ptrIyEEEEPS6_SG_NS0_5tupleIJNSA_16discard_iteratorINSA_11use_defaultEEESK_EEENSH_IJSG_SG_EEES6_PlJ7is_evenIyEEEE10hipError_tPvRmT3_T4_T5_T6_T7_T9_mT8_P12ihipStream_tbDpT10_ENKUlT_T0_E_clISt17integral_constantIbLb1EES18_IbLb0EEEEDaS14_S15_EUlS14_E_NS1_11comp_targetILNS1_3genE0ELNS1_11target_archE4294967295ELNS1_3gpuE0ELNS1_3repE0EEENS1_30default_config_static_selectorELNS0_4arch9wavefront6targetE1EEEvT1_
    .private_segment_fixed_size: 0
    .sgpr_count:     6
    .sgpr_spill_count: 0
    .symbol:         _ZN7rocprim17ROCPRIM_400000_NS6detail17trampoline_kernelINS0_14default_configENS1_25partition_config_selectorILNS1_17partition_subalgoE0EyNS0_10empty_typeEbEEZZNS1_14partition_implILS5_0ELb0ES3_jN6thrust23THRUST_200600_302600_NS6detail15normal_iteratorINSA_10device_ptrIyEEEEPS6_SG_NS0_5tupleIJNSA_16discard_iteratorINSA_11use_defaultEEESK_EEENSH_IJSG_SG_EEES6_PlJ7is_evenIyEEEE10hipError_tPvRmT3_T4_T5_T6_T7_T9_mT8_P12ihipStream_tbDpT10_ENKUlT_T0_E_clISt17integral_constantIbLb1EES18_IbLb0EEEEDaS14_S15_EUlS14_E_NS1_11comp_targetILNS1_3genE0ELNS1_11target_archE4294967295ELNS1_3gpuE0ELNS1_3repE0EEENS1_30default_config_static_selectorELNS0_4arch9wavefront6targetE1EEEvT1_.kd
    .uniform_work_group_size: 1
    .uses_dynamic_stack: false
    .vgpr_count:     0
    .vgpr_spill_count: 0
    .wavefront_size: 64
  - .agpr_count:     0
    .args:
      - .offset:         0
        .size:           136
        .value_kind:     by_value
    .group_segment_fixed_size: 28680
    .kernarg_segment_align: 8
    .kernarg_segment_size: 136
    .language:       OpenCL C
    .language_version:
      - 2
      - 0
    .max_flat_workgroup_size: 512
    .name:           _ZN7rocprim17ROCPRIM_400000_NS6detail17trampoline_kernelINS0_14default_configENS1_25partition_config_selectorILNS1_17partition_subalgoE0EyNS0_10empty_typeEbEEZZNS1_14partition_implILS5_0ELb0ES3_jN6thrust23THRUST_200600_302600_NS6detail15normal_iteratorINSA_10device_ptrIyEEEEPS6_SG_NS0_5tupleIJNSA_16discard_iteratorINSA_11use_defaultEEESK_EEENSH_IJSG_SG_EEES6_PlJ7is_evenIyEEEE10hipError_tPvRmT3_T4_T5_T6_T7_T9_mT8_P12ihipStream_tbDpT10_ENKUlT_T0_E_clISt17integral_constantIbLb1EES18_IbLb0EEEEDaS14_S15_EUlS14_E_NS1_11comp_targetILNS1_3genE5ELNS1_11target_archE942ELNS1_3gpuE9ELNS1_3repE0EEENS1_30default_config_static_selectorELNS0_4arch9wavefront6targetE1EEEvT1_
    .private_segment_fixed_size: 0
    .sgpr_count:     42
    .sgpr_spill_count: 0
    .symbol:         _ZN7rocprim17ROCPRIM_400000_NS6detail17trampoline_kernelINS0_14default_configENS1_25partition_config_selectorILNS1_17partition_subalgoE0EyNS0_10empty_typeEbEEZZNS1_14partition_implILS5_0ELb0ES3_jN6thrust23THRUST_200600_302600_NS6detail15normal_iteratorINSA_10device_ptrIyEEEEPS6_SG_NS0_5tupleIJNSA_16discard_iteratorINSA_11use_defaultEEESK_EEENSH_IJSG_SG_EEES6_PlJ7is_evenIyEEEE10hipError_tPvRmT3_T4_T5_T6_T7_T9_mT8_P12ihipStream_tbDpT10_ENKUlT_T0_E_clISt17integral_constantIbLb1EES18_IbLb0EEEEDaS14_S15_EUlS14_E_NS1_11comp_targetILNS1_3genE5ELNS1_11target_archE942ELNS1_3gpuE9ELNS1_3repE0EEENS1_30default_config_static_selectorELNS0_4arch9wavefront6targetE1EEEvT1_.kd
    .uniform_work_group_size: 1
    .uses_dynamic_stack: false
    .vgpr_count:     56
    .vgpr_spill_count: 0
    .wavefront_size: 64
  - .agpr_count:     0
    .args:
      - .offset:         0
        .size:           136
        .value_kind:     by_value
    .group_segment_fixed_size: 0
    .kernarg_segment_align: 8
    .kernarg_segment_size: 136
    .language:       OpenCL C
    .language_version:
      - 2
      - 0
    .max_flat_workgroup_size: 192
    .name:           _ZN7rocprim17ROCPRIM_400000_NS6detail17trampoline_kernelINS0_14default_configENS1_25partition_config_selectorILNS1_17partition_subalgoE0EyNS0_10empty_typeEbEEZZNS1_14partition_implILS5_0ELb0ES3_jN6thrust23THRUST_200600_302600_NS6detail15normal_iteratorINSA_10device_ptrIyEEEEPS6_SG_NS0_5tupleIJNSA_16discard_iteratorINSA_11use_defaultEEESK_EEENSH_IJSG_SG_EEES6_PlJ7is_evenIyEEEE10hipError_tPvRmT3_T4_T5_T6_T7_T9_mT8_P12ihipStream_tbDpT10_ENKUlT_T0_E_clISt17integral_constantIbLb1EES18_IbLb0EEEEDaS14_S15_EUlS14_E_NS1_11comp_targetILNS1_3genE4ELNS1_11target_archE910ELNS1_3gpuE8ELNS1_3repE0EEENS1_30default_config_static_selectorELNS0_4arch9wavefront6targetE1EEEvT1_
    .private_segment_fixed_size: 0
    .sgpr_count:     6
    .sgpr_spill_count: 0
    .symbol:         _ZN7rocprim17ROCPRIM_400000_NS6detail17trampoline_kernelINS0_14default_configENS1_25partition_config_selectorILNS1_17partition_subalgoE0EyNS0_10empty_typeEbEEZZNS1_14partition_implILS5_0ELb0ES3_jN6thrust23THRUST_200600_302600_NS6detail15normal_iteratorINSA_10device_ptrIyEEEEPS6_SG_NS0_5tupleIJNSA_16discard_iteratorINSA_11use_defaultEEESK_EEENSH_IJSG_SG_EEES6_PlJ7is_evenIyEEEE10hipError_tPvRmT3_T4_T5_T6_T7_T9_mT8_P12ihipStream_tbDpT10_ENKUlT_T0_E_clISt17integral_constantIbLb1EES18_IbLb0EEEEDaS14_S15_EUlS14_E_NS1_11comp_targetILNS1_3genE4ELNS1_11target_archE910ELNS1_3gpuE8ELNS1_3repE0EEENS1_30default_config_static_selectorELNS0_4arch9wavefront6targetE1EEEvT1_.kd
    .uniform_work_group_size: 1
    .uses_dynamic_stack: false
    .vgpr_count:     0
    .vgpr_spill_count: 0
    .wavefront_size: 64
  - .agpr_count:     0
    .args:
      - .offset:         0
        .size:           136
        .value_kind:     by_value
    .group_segment_fixed_size: 0
    .kernarg_segment_align: 8
    .kernarg_segment_size: 136
    .language:       OpenCL C
    .language_version:
      - 2
      - 0
    .max_flat_workgroup_size: 128
    .name:           _ZN7rocprim17ROCPRIM_400000_NS6detail17trampoline_kernelINS0_14default_configENS1_25partition_config_selectorILNS1_17partition_subalgoE0EyNS0_10empty_typeEbEEZZNS1_14partition_implILS5_0ELb0ES3_jN6thrust23THRUST_200600_302600_NS6detail15normal_iteratorINSA_10device_ptrIyEEEEPS6_SG_NS0_5tupleIJNSA_16discard_iteratorINSA_11use_defaultEEESK_EEENSH_IJSG_SG_EEES6_PlJ7is_evenIyEEEE10hipError_tPvRmT3_T4_T5_T6_T7_T9_mT8_P12ihipStream_tbDpT10_ENKUlT_T0_E_clISt17integral_constantIbLb1EES18_IbLb0EEEEDaS14_S15_EUlS14_E_NS1_11comp_targetILNS1_3genE3ELNS1_11target_archE908ELNS1_3gpuE7ELNS1_3repE0EEENS1_30default_config_static_selectorELNS0_4arch9wavefront6targetE1EEEvT1_
    .private_segment_fixed_size: 0
    .sgpr_count:     6
    .sgpr_spill_count: 0
    .symbol:         _ZN7rocprim17ROCPRIM_400000_NS6detail17trampoline_kernelINS0_14default_configENS1_25partition_config_selectorILNS1_17partition_subalgoE0EyNS0_10empty_typeEbEEZZNS1_14partition_implILS5_0ELb0ES3_jN6thrust23THRUST_200600_302600_NS6detail15normal_iteratorINSA_10device_ptrIyEEEEPS6_SG_NS0_5tupleIJNSA_16discard_iteratorINSA_11use_defaultEEESK_EEENSH_IJSG_SG_EEES6_PlJ7is_evenIyEEEE10hipError_tPvRmT3_T4_T5_T6_T7_T9_mT8_P12ihipStream_tbDpT10_ENKUlT_T0_E_clISt17integral_constantIbLb1EES18_IbLb0EEEEDaS14_S15_EUlS14_E_NS1_11comp_targetILNS1_3genE3ELNS1_11target_archE908ELNS1_3gpuE7ELNS1_3repE0EEENS1_30default_config_static_selectorELNS0_4arch9wavefront6targetE1EEEvT1_.kd
    .uniform_work_group_size: 1
    .uses_dynamic_stack: false
    .vgpr_count:     0
    .vgpr_spill_count: 0
    .wavefront_size: 64
  - .agpr_count:     0
    .args:
      - .offset:         0
        .size:           136
        .value_kind:     by_value
    .group_segment_fixed_size: 0
    .kernarg_segment_align: 8
    .kernarg_segment_size: 136
    .language:       OpenCL C
    .language_version:
      - 2
      - 0
    .max_flat_workgroup_size: 256
    .name:           _ZN7rocprim17ROCPRIM_400000_NS6detail17trampoline_kernelINS0_14default_configENS1_25partition_config_selectorILNS1_17partition_subalgoE0EyNS0_10empty_typeEbEEZZNS1_14partition_implILS5_0ELb0ES3_jN6thrust23THRUST_200600_302600_NS6detail15normal_iteratorINSA_10device_ptrIyEEEEPS6_SG_NS0_5tupleIJNSA_16discard_iteratorINSA_11use_defaultEEESK_EEENSH_IJSG_SG_EEES6_PlJ7is_evenIyEEEE10hipError_tPvRmT3_T4_T5_T6_T7_T9_mT8_P12ihipStream_tbDpT10_ENKUlT_T0_E_clISt17integral_constantIbLb1EES18_IbLb0EEEEDaS14_S15_EUlS14_E_NS1_11comp_targetILNS1_3genE2ELNS1_11target_archE906ELNS1_3gpuE6ELNS1_3repE0EEENS1_30default_config_static_selectorELNS0_4arch9wavefront6targetE1EEEvT1_
    .private_segment_fixed_size: 0
    .sgpr_count:     6
    .sgpr_spill_count: 0
    .symbol:         _ZN7rocprim17ROCPRIM_400000_NS6detail17trampoline_kernelINS0_14default_configENS1_25partition_config_selectorILNS1_17partition_subalgoE0EyNS0_10empty_typeEbEEZZNS1_14partition_implILS5_0ELb0ES3_jN6thrust23THRUST_200600_302600_NS6detail15normal_iteratorINSA_10device_ptrIyEEEEPS6_SG_NS0_5tupleIJNSA_16discard_iteratorINSA_11use_defaultEEESK_EEENSH_IJSG_SG_EEES6_PlJ7is_evenIyEEEE10hipError_tPvRmT3_T4_T5_T6_T7_T9_mT8_P12ihipStream_tbDpT10_ENKUlT_T0_E_clISt17integral_constantIbLb1EES18_IbLb0EEEEDaS14_S15_EUlS14_E_NS1_11comp_targetILNS1_3genE2ELNS1_11target_archE906ELNS1_3gpuE6ELNS1_3repE0EEENS1_30default_config_static_selectorELNS0_4arch9wavefront6targetE1EEEvT1_.kd
    .uniform_work_group_size: 1
    .uses_dynamic_stack: false
    .vgpr_count:     0
    .vgpr_spill_count: 0
    .wavefront_size: 64
  - .agpr_count:     0
    .args:
      - .offset:         0
        .size:           136
        .value_kind:     by_value
    .group_segment_fixed_size: 0
    .kernarg_segment_align: 8
    .kernarg_segment_size: 136
    .language:       OpenCL C
    .language_version:
      - 2
      - 0
    .max_flat_workgroup_size: 512
    .name:           _ZN7rocprim17ROCPRIM_400000_NS6detail17trampoline_kernelINS0_14default_configENS1_25partition_config_selectorILNS1_17partition_subalgoE0EyNS0_10empty_typeEbEEZZNS1_14partition_implILS5_0ELb0ES3_jN6thrust23THRUST_200600_302600_NS6detail15normal_iteratorINSA_10device_ptrIyEEEEPS6_SG_NS0_5tupleIJNSA_16discard_iteratorINSA_11use_defaultEEESK_EEENSH_IJSG_SG_EEES6_PlJ7is_evenIyEEEE10hipError_tPvRmT3_T4_T5_T6_T7_T9_mT8_P12ihipStream_tbDpT10_ENKUlT_T0_E_clISt17integral_constantIbLb1EES18_IbLb0EEEEDaS14_S15_EUlS14_E_NS1_11comp_targetILNS1_3genE10ELNS1_11target_archE1200ELNS1_3gpuE4ELNS1_3repE0EEENS1_30default_config_static_selectorELNS0_4arch9wavefront6targetE1EEEvT1_
    .private_segment_fixed_size: 0
    .sgpr_count:     6
    .sgpr_spill_count: 0
    .symbol:         _ZN7rocprim17ROCPRIM_400000_NS6detail17trampoline_kernelINS0_14default_configENS1_25partition_config_selectorILNS1_17partition_subalgoE0EyNS0_10empty_typeEbEEZZNS1_14partition_implILS5_0ELb0ES3_jN6thrust23THRUST_200600_302600_NS6detail15normal_iteratorINSA_10device_ptrIyEEEEPS6_SG_NS0_5tupleIJNSA_16discard_iteratorINSA_11use_defaultEEESK_EEENSH_IJSG_SG_EEES6_PlJ7is_evenIyEEEE10hipError_tPvRmT3_T4_T5_T6_T7_T9_mT8_P12ihipStream_tbDpT10_ENKUlT_T0_E_clISt17integral_constantIbLb1EES18_IbLb0EEEEDaS14_S15_EUlS14_E_NS1_11comp_targetILNS1_3genE10ELNS1_11target_archE1200ELNS1_3gpuE4ELNS1_3repE0EEENS1_30default_config_static_selectorELNS0_4arch9wavefront6targetE1EEEvT1_.kd
    .uniform_work_group_size: 1
    .uses_dynamic_stack: false
    .vgpr_count:     0
    .vgpr_spill_count: 0
    .wavefront_size: 64
  - .agpr_count:     0
    .args:
      - .offset:         0
        .size:           136
        .value_kind:     by_value
    .group_segment_fixed_size: 0
    .kernarg_segment_align: 8
    .kernarg_segment_size: 136
    .language:       OpenCL C
    .language_version:
      - 2
      - 0
    .max_flat_workgroup_size: 512
    .name:           _ZN7rocprim17ROCPRIM_400000_NS6detail17trampoline_kernelINS0_14default_configENS1_25partition_config_selectorILNS1_17partition_subalgoE0EyNS0_10empty_typeEbEEZZNS1_14partition_implILS5_0ELb0ES3_jN6thrust23THRUST_200600_302600_NS6detail15normal_iteratorINSA_10device_ptrIyEEEEPS6_SG_NS0_5tupleIJNSA_16discard_iteratorINSA_11use_defaultEEESK_EEENSH_IJSG_SG_EEES6_PlJ7is_evenIyEEEE10hipError_tPvRmT3_T4_T5_T6_T7_T9_mT8_P12ihipStream_tbDpT10_ENKUlT_T0_E_clISt17integral_constantIbLb1EES18_IbLb0EEEEDaS14_S15_EUlS14_E_NS1_11comp_targetILNS1_3genE9ELNS1_11target_archE1100ELNS1_3gpuE3ELNS1_3repE0EEENS1_30default_config_static_selectorELNS0_4arch9wavefront6targetE1EEEvT1_
    .private_segment_fixed_size: 0
    .sgpr_count:     6
    .sgpr_spill_count: 0
    .symbol:         _ZN7rocprim17ROCPRIM_400000_NS6detail17trampoline_kernelINS0_14default_configENS1_25partition_config_selectorILNS1_17partition_subalgoE0EyNS0_10empty_typeEbEEZZNS1_14partition_implILS5_0ELb0ES3_jN6thrust23THRUST_200600_302600_NS6detail15normal_iteratorINSA_10device_ptrIyEEEEPS6_SG_NS0_5tupleIJNSA_16discard_iteratorINSA_11use_defaultEEESK_EEENSH_IJSG_SG_EEES6_PlJ7is_evenIyEEEE10hipError_tPvRmT3_T4_T5_T6_T7_T9_mT8_P12ihipStream_tbDpT10_ENKUlT_T0_E_clISt17integral_constantIbLb1EES18_IbLb0EEEEDaS14_S15_EUlS14_E_NS1_11comp_targetILNS1_3genE9ELNS1_11target_archE1100ELNS1_3gpuE3ELNS1_3repE0EEENS1_30default_config_static_selectorELNS0_4arch9wavefront6targetE1EEEvT1_.kd
    .uniform_work_group_size: 1
    .uses_dynamic_stack: false
    .vgpr_count:     0
    .vgpr_spill_count: 0
    .wavefront_size: 64
  - .agpr_count:     0
    .args:
      - .offset:         0
        .size:           136
        .value_kind:     by_value
    .group_segment_fixed_size: 0
    .kernarg_segment_align: 8
    .kernarg_segment_size: 136
    .language:       OpenCL C
    .language_version:
      - 2
      - 0
    .max_flat_workgroup_size: 512
    .name:           _ZN7rocprim17ROCPRIM_400000_NS6detail17trampoline_kernelINS0_14default_configENS1_25partition_config_selectorILNS1_17partition_subalgoE0EyNS0_10empty_typeEbEEZZNS1_14partition_implILS5_0ELb0ES3_jN6thrust23THRUST_200600_302600_NS6detail15normal_iteratorINSA_10device_ptrIyEEEEPS6_SG_NS0_5tupleIJNSA_16discard_iteratorINSA_11use_defaultEEESK_EEENSH_IJSG_SG_EEES6_PlJ7is_evenIyEEEE10hipError_tPvRmT3_T4_T5_T6_T7_T9_mT8_P12ihipStream_tbDpT10_ENKUlT_T0_E_clISt17integral_constantIbLb1EES18_IbLb0EEEEDaS14_S15_EUlS14_E_NS1_11comp_targetILNS1_3genE8ELNS1_11target_archE1030ELNS1_3gpuE2ELNS1_3repE0EEENS1_30default_config_static_selectorELNS0_4arch9wavefront6targetE1EEEvT1_
    .private_segment_fixed_size: 0
    .sgpr_count:     6
    .sgpr_spill_count: 0
    .symbol:         _ZN7rocprim17ROCPRIM_400000_NS6detail17trampoline_kernelINS0_14default_configENS1_25partition_config_selectorILNS1_17partition_subalgoE0EyNS0_10empty_typeEbEEZZNS1_14partition_implILS5_0ELb0ES3_jN6thrust23THRUST_200600_302600_NS6detail15normal_iteratorINSA_10device_ptrIyEEEEPS6_SG_NS0_5tupleIJNSA_16discard_iteratorINSA_11use_defaultEEESK_EEENSH_IJSG_SG_EEES6_PlJ7is_evenIyEEEE10hipError_tPvRmT3_T4_T5_T6_T7_T9_mT8_P12ihipStream_tbDpT10_ENKUlT_T0_E_clISt17integral_constantIbLb1EES18_IbLb0EEEEDaS14_S15_EUlS14_E_NS1_11comp_targetILNS1_3genE8ELNS1_11target_archE1030ELNS1_3gpuE2ELNS1_3repE0EEENS1_30default_config_static_selectorELNS0_4arch9wavefront6targetE1EEEvT1_.kd
    .uniform_work_group_size: 1
    .uses_dynamic_stack: false
    .vgpr_count:     0
    .vgpr_spill_count: 0
    .wavefront_size: 64
  - .agpr_count:     0
    .args:
      - .offset:         0
        .size:           152
        .value_kind:     by_value
    .group_segment_fixed_size: 0
    .kernarg_segment_align: 8
    .kernarg_segment_size: 152
    .language:       OpenCL C
    .language_version:
      - 2
      - 0
    .max_flat_workgroup_size: 128
    .name:           _ZN7rocprim17ROCPRIM_400000_NS6detail17trampoline_kernelINS0_14default_configENS1_25partition_config_selectorILNS1_17partition_subalgoE0EyNS0_10empty_typeEbEEZZNS1_14partition_implILS5_0ELb0ES3_jN6thrust23THRUST_200600_302600_NS6detail15normal_iteratorINSA_10device_ptrIyEEEEPS6_SG_NS0_5tupleIJNSA_16discard_iteratorINSA_11use_defaultEEESK_EEENSH_IJSG_SG_EEES6_PlJ7is_evenIyEEEE10hipError_tPvRmT3_T4_T5_T6_T7_T9_mT8_P12ihipStream_tbDpT10_ENKUlT_T0_E_clISt17integral_constantIbLb0EES18_IbLb1EEEEDaS14_S15_EUlS14_E_NS1_11comp_targetILNS1_3genE0ELNS1_11target_archE4294967295ELNS1_3gpuE0ELNS1_3repE0EEENS1_30default_config_static_selectorELNS0_4arch9wavefront6targetE1EEEvT1_
    .private_segment_fixed_size: 0
    .sgpr_count:     6
    .sgpr_spill_count: 0
    .symbol:         _ZN7rocprim17ROCPRIM_400000_NS6detail17trampoline_kernelINS0_14default_configENS1_25partition_config_selectorILNS1_17partition_subalgoE0EyNS0_10empty_typeEbEEZZNS1_14partition_implILS5_0ELb0ES3_jN6thrust23THRUST_200600_302600_NS6detail15normal_iteratorINSA_10device_ptrIyEEEEPS6_SG_NS0_5tupleIJNSA_16discard_iteratorINSA_11use_defaultEEESK_EEENSH_IJSG_SG_EEES6_PlJ7is_evenIyEEEE10hipError_tPvRmT3_T4_T5_T6_T7_T9_mT8_P12ihipStream_tbDpT10_ENKUlT_T0_E_clISt17integral_constantIbLb0EES18_IbLb1EEEEDaS14_S15_EUlS14_E_NS1_11comp_targetILNS1_3genE0ELNS1_11target_archE4294967295ELNS1_3gpuE0ELNS1_3repE0EEENS1_30default_config_static_selectorELNS0_4arch9wavefront6targetE1EEEvT1_.kd
    .uniform_work_group_size: 1
    .uses_dynamic_stack: false
    .vgpr_count:     0
    .vgpr_spill_count: 0
    .wavefront_size: 64
  - .agpr_count:     0
    .args:
      - .offset:         0
        .size:           152
        .value_kind:     by_value
    .group_segment_fixed_size: 28680
    .kernarg_segment_align: 8
    .kernarg_segment_size: 152
    .language:       OpenCL C
    .language_version:
      - 2
      - 0
    .max_flat_workgroup_size: 512
    .name:           _ZN7rocprim17ROCPRIM_400000_NS6detail17trampoline_kernelINS0_14default_configENS1_25partition_config_selectorILNS1_17partition_subalgoE0EyNS0_10empty_typeEbEEZZNS1_14partition_implILS5_0ELb0ES3_jN6thrust23THRUST_200600_302600_NS6detail15normal_iteratorINSA_10device_ptrIyEEEEPS6_SG_NS0_5tupleIJNSA_16discard_iteratorINSA_11use_defaultEEESK_EEENSH_IJSG_SG_EEES6_PlJ7is_evenIyEEEE10hipError_tPvRmT3_T4_T5_T6_T7_T9_mT8_P12ihipStream_tbDpT10_ENKUlT_T0_E_clISt17integral_constantIbLb0EES18_IbLb1EEEEDaS14_S15_EUlS14_E_NS1_11comp_targetILNS1_3genE5ELNS1_11target_archE942ELNS1_3gpuE9ELNS1_3repE0EEENS1_30default_config_static_selectorELNS0_4arch9wavefront6targetE1EEEvT1_
    .private_segment_fixed_size: 0
    .sgpr_count:     42
    .sgpr_spill_count: 0
    .symbol:         _ZN7rocprim17ROCPRIM_400000_NS6detail17trampoline_kernelINS0_14default_configENS1_25partition_config_selectorILNS1_17partition_subalgoE0EyNS0_10empty_typeEbEEZZNS1_14partition_implILS5_0ELb0ES3_jN6thrust23THRUST_200600_302600_NS6detail15normal_iteratorINSA_10device_ptrIyEEEEPS6_SG_NS0_5tupleIJNSA_16discard_iteratorINSA_11use_defaultEEESK_EEENSH_IJSG_SG_EEES6_PlJ7is_evenIyEEEE10hipError_tPvRmT3_T4_T5_T6_T7_T9_mT8_P12ihipStream_tbDpT10_ENKUlT_T0_E_clISt17integral_constantIbLb0EES18_IbLb1EEEEDaS14_S15_EUlS14_E_NS1_11comp_targetILNS1_3genE5ELNS1_11target_archE942ELNS1_3gpuE9ELNS1_3repE0EEENS1_30default_config_static_selectorELNS0_4arch9wavefront6targetE1EEEvT1_.kd
    .uniform_work_group_size: 1
    .uses_dynamic_stack: false
    .vgpr_count:     58
    .vgpr_spill_count: 0
    .wavefront_size: 64
  - .agpr_count:     0
    .args:
      - .offset:         0
        .size:           152
        .value_kind:     by_value
    .group_segment_fixed_size: 0
    .kernarg_segment_align: 8
    .kernarg_segment_size: 152
    .language:       OpenCL C
    .language_version:
      - 2
      - 0
    .max_flat_workgroup_size: 192
    .name:           _ZN7rocprim17ROCPRIM_400000_NS6detail17trampoline_kernelINS0_14default_configENS1_25partition_config_selectorILNS1_17partition_subalgoE0EyNS0_10empty_typeEbEEZZNS1_14partition_implILS5_0ELb0ES3_jN6thrust23THRUST_200600_302600_NS6detail15normal_iteratorINSA_10device_ptrIyEEEEPS6_SG_NS0_5tupleIJNSA_16discard_iteratorINSA_11use_defaultEEESK_EEENSH_IJSG_SG_EEES6_PlJ7is_evenIyEEEE10hipError_tPvRmT3_T4_T5_T6_T7_T9_mT8_P12ihipStream_tbDpT10_ENKUlT_T0_E_clISt17integral_constantIbLb0EES18_IbLb1EEEEDaS14_S15_EUlS14_E_NS1_11comp_targetILNS1_3genE4ELNS1_11target_archE910ELNS1_3gpuE8ELNS1_3repE0EEENS1_30default_config_static_selectorELNS0_4arch9wavefront6targetE1EEEvT1_
    .private_segment_fixed_size: 0
    .sgpr_count:     6
    .sgpr_spill_count: 0
    .symbol:         _ZN7rocprim17ROCPRIM_400000_NS6detail17trampoline_kernelINS0_14default_configENS1_25partition_config_selectorILNS1_17partition_subalgoE0EyNS0_10empty_typeEbEEZZNS1_14partition_implILS5_0ELb0ES3_jN6thrust23THRUST_200600_302600_NS6detail15normal_iteratorINSA_10device_ptrIyEEEEPS6_SG_NS0_5tupleIJNSA_16discard_iteratorINSA_11use_defaultEEESK_EEENSH_IJSG_SG_EEES6_PlJ7is_evenIyEEEE10hipError_tPvRmT3_T4_T5_T6_T7_T9_mT8_P12ihipStream_tbDpT10_ENKUlT_T0_E_clISt17integral_constantIbLb0EES18_IbLb1EEEEDaS14_S15_EUlS14_E_NS1_11comp_targetILNS1_3genE4ELNS1_11target_archE910ELNS1_3gpuE8ELNS1_3repE0EEENS1_30default_config_static_selectorELNS0_4arch9wavefront6targetE1EEEvT1_.kd
    .uniform_work_group_size: 1
    .uses_dynamic_stack: false
    .vgpr_count:     0
    .vgpr_spill_count: 0
    .wavefront_size: 64
  - .agpr_count:     0
    .args:
      - .offset:         0
        .size:           152
        .value_kind:     by_value
    .group_segment_fixed_size: 0
    .kernarg_segment_align: 8
    .kernarg_segment_size: 152
    .language:       OpenCL C
    .language_version:
      - 2
      - 0
    .max_flat_workgroup_size: 128
    .name:           _ZN7rocprim17ROCPRIM_400000_NS6detail17trampoline_kernelINS0_14default_configENS1_25partition_config_selectorILNS1_17partition_subalgoE0EyNS0_10empty_typeEbEEZZNS1_14partition_implILS5_0ELb0ES3_jN6thrust23THRUST_200600_302600_NS6detail15normal_iteratorINSA_10device_ptrIyEEEEPS6_SG_NS0_5tupleIJNSA_16discard_iteratorINSA_11use_defaultEEESK_EEENSH_IJSG_SG_EEES6_PlJ7is_evenIyEEEE10hipError_tPvRmT3_T4_T5_T6_T7_T9_mT8_P12ihipStream_tbDpT10_ENKUlT_T0_E_clISt17integral_constantIbLb0EES18_IbLb1EEEEDaS14_S15_EUlS14_E_NS1_11comp_targetILNS1_3genE3ELNS1_11target_archE908ELNS1_3gpuE7ELNS1_3repE0EEENS1_30default_config_static_selectorELNS0_4arch9wavefront6targetE1EEEvT1_
    .private_segment_fixed_size: 0
    .sgpr_count:     6
    .sgpr_spill_count: 0
    .symbol:         _ZN7rocprim17ROCPRIM_400000_NS6detail17trampoline_kernelINS0_14default_configENS1_25partition_config_selectorILNS1_17partition_subalgoE0EyNS0_10empty_typeEbEEZZNS1_14partition_implILS5_0ELb0ES3_jN6thrust23THRUST_200600_302600_NS6detail15normal_iteratorINSA_10device_ptrIyEEEEPS6_SG_NS0_5tupleIJNSA_16discard_iteratorINSA_11use_defaultEEESK_EEENSH_IJSG_SG_EEES6_PlJ7is_evenIyEEEE10hipError_tPvRmT3_T4_T5_T6_T7_T9_mT8_P12ihipStream_tbDpT10_ENKUlT_T0_E_clISt17integral_constantIbLb0EES18_IbLb1EEEEDaS14_S15_EUlS14_E_NS1_11comp_targetILNS1_3genE3ELNS1_11target_archE908ELNS1_3gpuE7ELNS1_3repE0EEENS1_30default_config_static_selectorELNS0_4arch9wavefront6targetE1EEEvT1_.kd
    .uniform_work_group_size: 1
    .uses_dynamic_stack: false
    .vgpr_count:     0
    .vgpr_spill_count: 0
    .wavefront_size: 64
  - .agpr_count:     0
    .args:
      - .offset:         0
        .size:           152
        .value_kind:     by_value
    .group_segment_fixed_size: 0
    .kernarg_segment_align: 8
    .kernarg_segment_size: 152
    .language:       OpenCL C
    .language_version:
      - 2
      - 0
    .max_flat_workgroup_size: 256
    .name:           _ZN7rocprim17ROCPRIM_400000_NS6detail17trampoline_kernelINS0_14default_configENS1_25partition_config_selectorILNS1_17partition_subalgoE0EyNS0_10empty_typeEbEEZZNS1_14partition_implILS5_0ELb0ES3_jN6thrust23THRUST_200600_302600_NS6detail15normal_iteratorINSA_10device_ptrIyEEEEPS6_SG_NS0_5tupleIJNSA_16discard_iteratorINSA_11use_defaultEEESK_EEENSH_IJSG_SG_EEES6_PlJ7is_evenIyEEEE10hipError_tPvRmT3_T4_T5_T6_T7_T9_mT8_P12ihipStream_tbDpT10_ENKUlT_T0_E_clISt17integral_constantIbLb0EES18_IbLb1EEEEDaS14_S15_EUlS14_E_NS1_11comp_targetILNS1_3genE2ELNS1_11target_archE906ELNS1_3gpuE6ELNS1_3repE0EEENS1_30default_config_static_selectorELNS0_4arch9wavefront6targetE1EEEvT1_
    .private_segment_fixed_size: 0
    .sgpr_count:     6
    .sgpr_spill_count: 0
    .symbol:         _ZN7rocprim17ROCPRIM_400000_NS6detail17trampoline_kernelINS0_14default_configENS1_25partition_config_selectorILNS1_17partition_subalgoE0EyNS0_10empty_typeEbEEZZNS1_14partition_implILS5_0ELb0ES3_jN6thrust23THRUST_200600_302600_NS6detail15normal_iteratorINSA_10device_ptrIyEEEEPS6_SG_NS0_5tupleIJNSA_16discard_iteratorINSA_11use_defaultEEESK_EEENSH_IJSG_SG_EEES6_PlJ7is_evenIyEEEE10hipError_tPvRmT3_T4_T5_T6_T7_T9_mT8_P12ihipStream_tbDpT10_ENKUlT_T0_E_clISt17integral_constantIbLb0EES18_IbLb1EEEEDaS14_S15_EUlS14_E_NS1_11comp_targetILNS1_3genE2ELNS1_11target_archE906ELNS1_3gpuE6ELNS1_3repE0EEENS1_30default_config_static_selectorELNS0_4arch9wavefront6targetE1EEEvT1_.kd
    .uniform_work_group_size: 1
    .uses_dynamic_stack: false
    .vgpr_count:     0
    .vgpr_spill_count: 0
    .wavefront_size: 64
  - .agpr_count:     0
    .args:
      - .offset:         0
        .size:           152
        .value_kind:     by_value
    .group_segment_fixed_size: 0
    .kernarg_segment_align: 8
    .kernarg_segment_size: 152
    .language:       OpenCL C
    .language_version:
      - 2
      - 0
    .max_flat_workgroup_size: 512
    .name:           _ZN7rocprim17ROCPRIM_400000_NS6detail17trampoline_kernelINS0_14default_configENS1_25partition_config_selectorILNS1_17partition_subalgoE0EyNS0_10empty_typeEbEEZZNS1_14partition_implILS5_0ELb0ES3_jN6thrust23THRUST_200600_302600_NS6detail15normal_iteratorINSA_10device_ptrIyEEEEPS6_SG_NS0_5tupleIJNSA_16discard_iteratorINSA_11use_defaultEEESK_EEENSH_IJSG_SG_EEES6_PlJ7is_evenIyEEEE10hipError_tPvRmT3_T4_T5_T6_T7_T9_mT8_P12ihipStream_tbDpT10_ENKUlT_T0_E_clISt17integral_constantIbLb0EES18_IbLb1EEEEDaS14_S15_EUlS14_E_NS1_11comp_targetILNS1_3genE10ELNS1_11target_archE1200ELNS1_3gpuE4ELNS1_3repE0EEENS1_30default_config_static_selectorELNS0_4arch9wavefront6targetE1EEEvT1_
    .private_segment_fixed_size: 0
    .sgpr_count:     6
    .sgpr_spill_count: 0
    .symbol:         _ZN7rocprim17ROCPRIM_400000_NS6detail17trampoline_kernelINS0_14default_configENS1_25partition_config_selectorILNS1_17partition_subalgoE0EyNS0_10empty_typeEbEEZZNS1_14partition_implILS5_0ELb0ES3_jN6thrust23THRUST_200600_302600_NS6detail15normal_iteratorINSA_10device_ptrIyEEEEPS6_SG_NS0_5tupleIJNSA_16discard_iteratorINSA_11use_defaultEEESK_EEENSH_IJSG_SG_EEES6_PlJ7is_evenIyEEEE10hipError_tPvRmT3_T4_T5_T6_T7_T9_mT8_P12ihipStream_tbDpT10_ENKUlT_T0_E_clISt17integral_constantIbLb0EES18_IbLb1EEEEDaS14_S15_EUlS14_E_NS1_11comp_targetILNS1_3genE10ELNS1_11target_archE1200ELNS1_3gpuE4ELNS1_3repE0EEENS1_30default_config_static_selectorELNS0_4arch9wavefront6targetE1EEEvT1_.kd
    .uniform_work_group_size: 1
    .uses_dynamic_stack: false
    .vgpr_count:     0
    .vgpr_spill_count: 0
    .wavefront_size: 64
  - .agpr_count:     0
    .args:
      - .offset:         0
        .size:           152
        .value_kind:     by_value
    .group_segment_fixed_size: 0
    .kernarg_segment_align: 8
    .kernarg_segment_size: 152
    .language:       OpenCL C
    .language_version:
      - 2
      - 0
    .max_flat_workgroup_size: 512
    .name:           _ZN7rocprim17ROCPRIM_400000_NS6detail17trampoline_kernelINS0_14default_configENS1_25partition_config_selectorILNS1_17partition_subalgoE0EyNS0_10empty_typeEbEEZZNS1_14partition_implILS5_0ELb0ES3_jN6thrust23THRUST_200600_302600_NS6detail15normal_iteratorINSA_10device_ptrIyEEEEPS6_SG_NS0_5tupleIJNSA_16discard_iteratorINSA_11use_defaultEEESK_EEENSH_IJSG_SG_EEES6_PlJ7is_evenIyEEEE10hipError_tPvRmT3_T4_T5_T6_T7_T9_mT8_P12ihipStream_tbDpT10_ENKUlT_T0_E_clISt17integral_constantIbLb0EES18_IbLb1EEEEDaS14_S15_EUlS14_E_NS1_11comp_targetILNS1_3genE9ELNS1_11target_archE1100ELNS1_3gpuE3ELNS1_3repE0EEENS1_30default_config_static_selectorELNS0_4arch9wavefront6targetE1EEEvT1_
    .private_segment_fixed_size: 0
    .sgpr_count:     6
    .sgpr_spill_count: 0
    .symbol:         _ZN7rocprim17ROCPRIM_400000_NS6detail17trampoline_kernelINS0_14default_configENS1_25partition_config_selectorILNS1_17partition_subalgoE0EyNS0_10empty_typeEbEEZZNS1_14partition_implILS5_0ELb0ES3_jN6thrust23THRUST_200600_302600_NS6detail15normal_iteratorINSA_10device_ptrIyEEEEPS6_SG_NS0_5tupleIJNSA_16discard_iteratorINSA_11use_defaultEEESK_EEENSH_IJSG_SG_EEES6_PlJ7is_evenIyEEEE10hipError_tPvRmT3_T4_T5_T6_T7_T9_mT8_P12ihipStream_tbDpT10_ENKUlT_T0_E_clISt17integral_constantIbLb0EES18_IbLb1EEEEDaS14_S15_EUlS14_E_NS1_11comp_targetILNS1_3genE9ELNS1_11target_archE1100ELNS1_3gpuE3ELNS1_3repE0EEENS1_30default_config_static_selectorELNS0_4arch9wavefront6targetE1EEEvT1_.kd
    .uniform_work_group_size: 1
    .uses_dynamic_stack: false
    .vgpr_count:     0
    .vgpr_spill_count: 0
    .wavefront_size: 64
  - .agpr_count:     0
    .args:
      - .offset:         0
        .size:           152
        .value_kind:     by_value
    .group_segment_fixed_size: 0
    .kernarg_segment_align: 8
    .kernarg_segment_size: 152
    .language:       OpenCL C
    .language_version:
      - 2
      - 0
    .max_flat_workgroup_size: 512
    .name:           _ZN7rocprim17ROCPRIM_400000_NS6detail17trampoline_kernelINS0_14default_configENS1_25partition_config_selectorILNS1_17partition_subalgoE0EyNS0_10empty_typeEbEEZZNS1_14partition_implILS5_0ELb0ES3_jN6thrust23THRUST_200600_302600_NS6detail15normal_iteratorINSA_10device_ptrIyEEEEPS6_SG_NS0_5tupleIJNSA_16discard_iteratorINSA_11use_defaultEEESK_EEENSH_IJSG_SG_EEES6_PlJ7is_evenIyEEEE10hipError_tPvRmT3_T4_T5_T6_T7_T9_mT8_P12ihipStream_tbDpT10_ENKUlT_T0_E_clISt17integral_constantIbLb0EES18_IbLb1EEEEDaS14_S15_EUlS14_E_NS1_11comp_targetILNS1_3genE8ELNS1_11target_archE1030ELNS1_3gpuE2ELNS1_3repE0EEENS1_30default_config_static_selectorELNS0_4arch9wavefront6targetE1EEEvT1_
    .private_segment_fixed_size: 0
    .sgpr_count:     6
    .sgpr_spill_count: 0
    .symbol:         _ZN7rocprim17ROCPRIM_400000_NS6detail17trampoline_kernelINS0_14default_configENS1_25partition_config_selectorILNS1_17partition_subalgoE0EyNS0_10empty_typeEbEEZZNS1_14partition_implILS5_0ELb0ES3_jN6thrust23THRUST_200600_302600_NS6detail15normal_iteratorINSA_10device_ptrIyEEEEPS6_SG_NS0_5tupleIJNSA_16discard_iteratorINSA_11use_defaultEEESK_EEENSH_IJSG_SG_EEES6_PlJ7is_evenIyEEEE10hipError_tPvRmT3_T4_T5_T6_T7_T9_mT8_P12ihipStream_tbDpT10_ENKUlT_T0_E_clISt17integral_constantIbLb0EES18_IbLb1EEEEDaS14_S15_EUlS14_E_NS1_11comp_targetILNS1_3genE8ELNS1_11target_archE1030ELNS1_3gpuE2ELNS1_3repE0EEENS1_30default_config_static_selectorELNS0_4arch9wavefront6targetE1EEEvT1_.kd
    .uniform_work_group_size: 1
    .uses_dynamic_stack: false
    .vgpr_count:     0
    .vgpr_spill_count: 0
    .wavefront_size: 64
  - .agpr_count:     0
    .args:
      - .offset:         0
        .size:           128
        .value_kind:     by_value
    .group_segment_fixed_size: 0
    .kernarg_segment_align: 8
    .kernarg_segment_size: 128
    .language:       OpenCL C
    .language_version:
      - 2
      - 0
    .max_flat_workgroup_size: 128
    .name:           _ZN7rocprim17ROCPRIM_400000_NS6detail17trampoline_kernelINS0_14default_configENS1_25partition_config_selectorILNS1_17partition_subalgoE0EyNS0_10empty_typeEbEEZZNS1_14partition_implILS5_0ELb0ES3_jN6thrust23THRUST_200600_302600_NS6detail15normal_iteratorINSA_10device_ptrIyEEEEPS6_SG_NS0_5tupleIJSF_NSA_16discard_iteratorINSA_11use_defaultEEEEEENSH_IJSG_SG_EEES6_PlJ7is_evenIyEEEE10hipError_tPvRmT3_T4_T5_T6_T7_T9_mT8_P12ihipStream_tbDpT10_ENKUlT_T0_E_clISt17integral_constantIbLb0EES19_EEDaS14_S15_EUlS14_E_NS1_11comp_targetILNS1_3genE0ELNS1_11target_archE4294967295ELNS1_3gpuE0ELNS1_3repE0EEENS1_30default_config_static_selectorELNS0_4arch9wavefront6targetE1EEEvT1_
    .private_segment_fixed_size: 0
    .sgpr_count:     6
    .sgpr_spill_count: 0
    .symbol:         _ZN7rocprim17ROCPRIM_400000_NS6detail17trampoline_kernelINS0_14default_configENS1_25partition_config_selectorILNS1_17partition_subalgoE0EyNS0_10empty_typeEbEEZZNS1_14partition_implILS5_0ELb0ES3_jN6thrust23THRUST_200600_302600_NS6detail15normal_iteratorINSA_10device_ptrIyEEEEPS6_SG_NS0_5tupleIJSF_NSA_16discard_iteratorINSA_11use_defaultEEEEEENSH_IJSG_SG_EEES6_PlJ7is_evenIyEEEE10hipError_tPvRmT3_T4_T5_T6_T7_T9_mT8_P12ihipStream_tbDpT10_ENKUlT_T0_E_clISt17integral_constantIbLb0EES19_EEDaS14_S15_EUlS14_E_NS1_11comp_targetILNS1_3genE0ELNS1_11target_archE4294967295ELNS1_3gpuE0ELNS1_3repE0EEENS1_30default_config_static_selectorELNS0_4arch9wavefront6targetE1EEEvT1_.kd
    .uniform_work_group_size: 1
    .uses_dynamic_stack: false
    .vgpr_count:     0
    .vgpr_spill_count: 0
    .wavefront_size: 64
  - .agpr_count:     0
    .args:
      - .offset:         0
        .size:           128
        .value_kind:     by_value
    .group_segment_fixed_size: 28680
    .kernarg_segment_align: 8
    .kernarg_segment_size: 128
    .language:       OpenCL C
    .language_version:
      - 2
      - 0
    .max_flat_workgroup_size: 512
    .name:           _ZN7rocprim17ROCPRIM_400000_NS6detail17trampoline_kernelINS0_14default_configENS1_25partition_config_selectorILNS1_17partition_subalgoE0EyNS0_10empty_typeEbEEZZNS1_14partition_implILS5_0ELb0ES3_jN6thrust23THRUST_200600_302600_NS6detail15normal_iteratorINSA_10device_ptrIyEEEEPS6_SG_NS0_5tupleIJSF_NSA_16discard_iteratorINSA_11use_defaultEEEEEENSH_IJSG_SG_EEES6_PlJ7is_evenIyEEEE10hipError_tPvRmT3_T4_T5_T6_T7_T9_mT8_P12ihipStream_tbDpT10_ENKUlT_T0_E_clISt17integral_constantIbLb0EES19_EEDaS14_S15_EUlS14_E_NS1_11comp_targetILNS1_3genE5ELNS1_11target_archE942ELNS1_3gpuE9ELNS1_3repE0EEENS1_30default_config_static_selectorELNS0_4arch9wavefront6targetE1EEEvT1_
    .private_segment_fixed_size: 0
    .sgpr_count:     46
    .sgpr_spill_count: 0
    .symbol:         _ZN7rocprim17ROCPRIM_400000_NS6detail17trampoline_kernelINS0_14default_configENS1_25partition_config_selectorILNS1_17partition_subalgoE0EyNS0_10empty_typeEbEEZZNS1_14partition_implILS5_0ELb0ES3_jN6thrust23THRUST_200600_302600_NS6detail15normal_iteratorINSA_10device_ptrIyEEEEPS6_SG_NS0_5tupleIJSF_NSA_16discard_iteratorINSA_11use_defaultEEEEEENSH_IJSG_SG_EEES6_PlJ7is_evenIyEEEE10hipError_tPvRmT3_T4_T5_T6_T7_T9_mT8_P12ihipStream_tbDpT10_ENKUlT_T0_E_clISt17integral_constantIbLb0EES19_EEDaS14_S15_EUlS14_E_NS1_11comp_targetILNS1_3genE5ELNS1_11target_archE942ELNS1_3gpuE9ELNS1_3repE0EEENS1_30default_config_static_selectorELNS0_4arch9wavefront6targetE1EEEvT1_.kd
    .uniform_work_group_size: 1
    .uses_dynamic_stack: false
    .vgpr_count:     57
    .vgpr_spill_count: 0
    .wavefront_size: 64
  - .agpr_count:     0
    .args:
      - .offset:         0
        .size:           128
        .value_kind:     by_value
    .group_segment_fixed_size: 0
    .kernarg_segment_align: 8
    .kernarg_segment_size: 128
    .language:       OpenCL C
    .language_version:
      - 2
      - 0
    .max_flat_workgroup_size: 192
    .name:           _ZN7rocprim17ROCPRIM_400000_NS6detail17trampoline_kernelINS0_14default_configENS1_25partition_config_selectorILNS1_17partition_subalgoE0EyNS0_10empty_typeEbEEZZNS1_14partition_implILS5_0ELb0ES3_jN6thrust23THRUST_200600_302600_NS6detail15normal_iteratorINSA_10device_ptrIyEEEEPS6_SG_NS0_5tupleIJSF_NSA_16discard_iteratorINSA_11use_defaultEEEEEENSH_IJSG_SG_EEES6_PlJ7is_evenIyEEEE10hipError_tPvRmT3_T4_T5_T6_T7_T9_mT8_P12ihipStream_tbDpT10_ENKUlT_T0_E_clISt17integral_constantIbLb0EES19_EEDaS14_S15_EUlS14_E_NS1_11comp_targetILNS1_3genE4ELNS1_11target_archE910ELNS1_3gpuE8ELNS1_3repE0EEENS1_30default_config_static_selectorELNS0_4arch9wavefront6targetE1EEEvT1_
    .private_segment_fixed_size: 0
    .sgpr_count:     6
    .sgpr_spill_count: 0
    .symbol:         _ZN7rocprim17ROCPRIM_400000_NS6detail17trampoline_kernelINS0_14default_configENS1_25partition_config_selectorILNS1_17partition_subalgoE0EyNS0_10empty_typeEbEEZZNS1_14partition_implILS5_0ELb0ES3_jN6thrust23THRUST_200600_302600_NS6detail15normal_iteratorINSA_10device_ptrIyEEEEPS6_SG_NS0_5tupleIJSF_NSA_16discard_iteratorINSA_11use_defaultEEEEEENSH_IJSG_SG_EEES6_PlJ7is_evenIyEEEE10hipError_tPvRmT3_T4_T5_T6_T7_T9_mT8_P12ihipStream_tbDpT10_ENKUlT_T0_E_clISt17integral_constantIbLb0EES19_EEDaS14_S15_EUlS14_E_NS1_11comp_targetILNS1_3genE4ELNS1_11target_archE910ELNS1_3gpuE8ELNS1_3repE0EEENS1_30default_config_static_selectorELNS0_4arch9wavefront6targetE1EEEvT1_.kd
    .uniform_work_group_size: 1
    .uses_dynamic_stack: false
    .vgpr_count:     0
    .vgpr_spill_count: 0
    .wavefront_size: 64
  - .agpr_count:     0
    .args:
      - .offset:         0
        .size:           128
        .value_kind:     by_value
    .group_segment_fixed_size: 0
    .kernarg_segment_align: 8
    .kernarg_segment_size: 128
    .language:       OpenCL C
    .language_version:
      - 2
      - 0
    .max_flat_workgroup_size: 128
    .name:           _ZN7rocprim17ROCPRIM_400000_NS6detail17trampoline_kernelINS0_14default_configENS1_25partition_config_selectorILNS1_17partition_subalgoE0EyNS0_10empty_typeEbEEZZNS1_14partition_implILS5_0ELb0ES3_jN6thrust23THRUST_200600_302600_NS6detail15normal_iteratorINSA_10device_ptrIyEEEEPS6_SG_NS0_5tupleIJSF_NSA_16discard_iteratorINSA_11use_defaultEEEEEENSH_IJSG_SG_EEES6_PlJ7is_evenIyEEEE10hipError_tPvRmT3_T4_T5_T6_T7_T9_mT8_P12ihipStream_tbDpT10_ENKUlT_T0_E_clISt17integral_constantIbLb0EES19_EEDaS14_S15_EUlS14_E_NS1_11comp_targetILNS1_3genE3ELNS1_11target_archE908ELNS1_3gpuE7ELNS1_3repE0EEENS1_30default_config_static_selectorELNS0_4arch9wavefront6targetE1EEEvT1_
    .private_segment_fixed_size: 0
    .sgpr_count:     6
    .sgpr_spill_count: 0
    .symbol:         _ZN7rocprim17ROCPRIM_400000_NS6detail17trampoline_kernelINS0_14default_configENS1_25partition_config_selectorILNS1_17partition_subalgoE0EyNS0_10empty_typeEbEEZZNS1_14partition_implILS5_0ELb0ES3_jN6thrust23THRUST_200600_302600_NS6detail15normal_iteratorINSA_10device_ptrIyEEEEPS6_SG_NS0_5tupleIJSF_NSA_16discard_iteratorINSA_11use_defaultEEEEEENSH_IJSG_SG_EEES6_PlJ7is_evenIyEEEE10hipError_tPvRmT3_T4_T5_T6_T7_T9_mT8_P12ihipStream_tbDpT10_ENKUlT_T0_E_clISt17integral_constantIbLb0EES19_EEDaS14_S15_EUlS14_E_NS1_11comp_targetILNS1_3genE3ELNS1_11target_archE908ELNS1_3gpuE7ELNS1_3repE0EEENS1_30default_config_static_selectorELNS0_4arch9wavefront6targetE1EEEvT1_.kd
    .uniform_work_group_size: 1
    .uses_dynamic_stack: false
    .vgpr_count:     0
    .vgpr_spill_count: 0
    .wavefront_size: 64
  - .agpr_count:     0
    .args:
      - .offset:         0
        .size:           128
        .value_kind:     by_value
    .group_segment_fixed_size: 0
    .kernarg_segment_align: 8
    .kernarg_segment_size: 128
    .language:       OpenCL C
    .language_version:
      - 2
      - 0
    .max_flat_workgroup_size: 256
    .name:           _ZN7rocprim17ROCPRIM_400000_NS6detail17trampoline_kernelINS0_14default_configENS1_25partition_config_selectorILNS1_17partition_subalgoE0EyNS0_10empty_typeEbEEZZNS1_14partition_implILS5_0ELb0ES3_jN6thrust23THRUST_200600_302600_NS6detail15normal_iteratorINSA_10device_ptrIyEEEEPS6_SG_NS0_5tupleIJSF_NSA_16discard_iteratorINSA_11use_defaultEEEEEENSH_IJSG_SG_EEES6_PlJ7is_evenIyEEEE10hipError_tPvRmT3_T4_T5_T6_T7_T9_mT8_P12ihipStream_tbDpT10_ENKUlT_T0_E_clISt17integral_constantIbLb0EES19_EEDaS14_S15_EUlS14_E_NS1_11comp_targetILNS1_3genE2ELNS1_11target_archE906ELNS1_3gpuE6ELNS1_3repE0EEENS1_30default_config_static_selectorELNS0_4arch9wavefront6targetE1EEEvT1_
    .private_segment_fixed_size: 0
    .sgpr_count:     6
    .sgpr_spill_count: 0
    .symbol:         _ZN7rocprim17ROCPRIM_400000_NS6detail17trampoline_kernelINS0_14default_configENS1_25partition_config_selectorILNS1_17partition_subalgoE0EyNS0_10empty_typeEbEEZZNS1_14partition_implILS5_0ELb0ES3_jN6thrust23THRUST_200600_302600_NS6detail15normal_iteratorINSA_10device_ptrIyEEEEPS6_SG_NS0_5tupleIJSF_NSA_16discard_iteratorINSA_11use_defaultEEEEEENSH_IJSG_SG_EEES6_PlJ7is_evenIyEEEE10hipError_tPvRmT3_T4_T5_T6_T7_T9_mT8_P12ihipStream_tbDpT10_ENKUlT_T0_E_clISt17integral_constantIbLb0EES19_EEDaS14_S15_EUlS14_E_NS1_11comp_targetILNS1_3genE2ELNS1_11target_archE906ELNS1_3gpuE6ELNS1_3repE0EEENS1_30default_config_static_selectorELNS0_4arch9wavefront6targetE1EEEvT1_.kd
    .uniform_work_group_size: 1
    .uses_dynamic_stack: false
    .vgpr_count:     0
    .vgpr_spill_count: 0
    .wavefront_size: 64
  - .agpr_count:     0
    .args:
      - .offset:         0
        .size:           128
        .value_kind:     by_value
    .group_segment_fixed_size: 0
    .kernarg_segment_align: 8
    .kernarg_segment_size: 128
    .language:       OpenCL C
    .language_version:
      - 2
      - 0
    .max_flat_workgroup_size: 512
    .name:           _ZN7rocprim17ROCPRIM_400000_NS6detail17trampoline_kernelINS0_14default_configENS1_25partition_config_selectorILNS1_17partition_subalgoE0EyNS0_10empty_typeEbEEZZNS1_14partition_implILS5_0ELb0ES3_jN6thrust23THRUST_200600_302600_NS6detail15normal_iteratorINSA_10device_ptrIyEEEEPS6_SG_NS0_5tupleIJSF_NSA_16discard_iteratorINSA_11use_defaultEEEEEENSH_IJSG_SG_EEES6_PlJ7is_evenIyEEEE10hipError_tPvRmT3_T4_T5_T6_T7_T9_mT8_P12ihipStream_tbDpT10_ENKUlT_T0_E_clISt17integral_constantIbLb0EES19_EEDaS14_S15_EUlS14_E_NS1_11comp_targetILNS1_3genE10ELNS1_11target_archE1200ELNS1_3gpuE4ELNS1_3repE0EEENS1_30default_config_static_selectorELNS0_4arch9wavefront6targetE1EEEvT1_
    .private_segment_fixed_size: 0
    .sgpr_count:     6
    .sgpr_spill_count: 0
    .symbol:         _ZN7rocprim17ROCPRIM_400000_NS6detail17trampoline_kernelINS0_14default_configENS1_25partition_config_selectorILNS1_17partition_subalgoE0EyNS0_10empty_typeEbEEZZNS1_14partition_implILS5_0ELb0ES3_jN6thrust23THRUST_200600_302600_NS6detail15normal_iteratorINSA_10device_ptrIyEEEEPS6_SG_NS0_5tupleIJSF_NSA_16discard_iteratorINSA_11use_defaultEEEEEENSH_IJSG_SG_EEES6_PlJ7is_evenIyEEEE10hipError_tPvRmT3_T4_T5_T6_T7_T9_mT8_P12ihipStream_tbDpT10_ENKUlT_T0_E_clISt17integral_constantIbLb0EES19_EEDaS14_S15_EUlS14_E_NS1_11comp_targetILNS1_3genE10ELNS1_11target_archE1200ELNS1_3gpuE4ELNS1_3repE0EEENS1_30default_config_static_selectorELNS0_4arch9wavefront6targetE1EEEvT1_.kd
    .uniform_work_group_size: 1
    .uses_dynamic_stack: false
    .vgpr_count:     0
    .vgpr_spill_count: 0
    .wavefront_size: 64
  - .agpr_count:     0
    .args:
      - .offset:         0
        .size:           128
        .value_kind:     by_value
    .group_segment_fixed_size: 0
    .kernarg_segment_align: 8
    .kernarg_segment_size: 128
    .language:       OpenCL C
    .language_version:
      - 2
      - 0
    .max_flat_workgroup_size: 512
    .name:           _ZN7rocprim17ROCPRIM_400000_NS6detail17trampoline_kernelINS0_14default_configENS1_25partition_config_selectorILNS1_17partition_subalgoE0EyNS0_10empty_typeEbEEZZNS1_14partition_implILS5_0ELb0ES3_jN6thrust23THRUST_200600_302600_NS6detail15normal_iteratorINSA_10device_ptrIyEEEEPS6_SG_NS0_5tupleIJSF_NSA_16discard_iteratorINSA_11use_defaultEEEEEENSH_IJSG_SG_EEES6_PlJ7is_evenIyEEEE10hipError_tPvRmT3_T4_T5_T6_T7_T9_mT8_P12ihipStream_tbDpT10_ENKUlT_T0_E_clISt17integral_constantIbLb0EES19_EEDaS14_S15_EUlS14_E_NS1_11comp_targetILNS1_3genE9ELNS1_11target_archE1100ELNS1_3gpuE3ELNS1_3repE0EEENS1_30default_config_static_selectorELNS0_4arch9wavefront6targetE1EEEvT1_
    .private_segment_fixed_size: 0
    .sgpr_count:     6
    .sgpr_spill_count: 0
    .symbol:         _ZN7rocprim17ROCPRIM_400000_NS6detail17trampoline_kernelINS0_14default_configENS1_25partition_config_selectorILNS1_17partition_subalgoE0EyNS0_10empty_typeEbEEZZNS1_14partition_implILS5_0ELb0ES3_jN6thrust23THRUST_200600_302600_NS6detail15normal_iteratorINSA_10device_ptrIyEEEEPS6_SG_NS0_5tupleIJSF_NSA_16discard_iteratorINSA_11use_defaultEEEEEENSH_IJSG_SG_EEES6_PlJ7is_evenIyEEEE10hipError_tPvRmT3_T4_T5_T6_T7_T9_mT8_P12ihipStream_tbDpT10_ENKUlT_T0_E_clISt17integral_constantIbLb0EES19_EEDaS14_S15_EUlS14_E_NS1_11comp_targetILNS1_3genE9ELNS1_11target_archE1100ELNS1_3gpuE3ELNS1_3repE0EEENS1_30default_config_static_selectorELNS0_4arch9wavefront6targetE1EEEvT1_.kd
    .uniform_work_group_size: 1
    .uses_dynamic_stack: false
    .vgpr_count:     0
    .vgpr_spill_count: 0
    .wavefront_size: 64
  - .agpr_count:     0
    .args:
      - .offset:         0
        .size:           128
        .value_kind:     by_value
    .group_segment_fixed_size: 0
    .kernarg_segment_align: 8
    .kernarg_segment_size: 128
    .language:       OpenCL C
    .language_version:
      - 2
      - 0
    .max_flat_workgroup_size: 512
    .name:           _ZN7rocprim17ROCPRIM_400000_NS6detail17trampoline_kernelINS0_14default_configENS1_25partition_config_selectorILNS1_17partition_subalgoE0EyNS0_10empty_typeEbEEZZNS1_14partition_implILS5_0ELb0ES3_jN6thrust23THRUST_200600_302600_NS6detail15normal_iteratorINSA_10device_ptrIyEEEEPS6_SG_NS0_5tupleIJSF_NSA_16discard_iteratorINSA_11use_defaultEEEEEENSH_IJSG_SG_EEES6_PlJ7is_evenIyEEEE10hipError_tPvRmT3_T4_T5_T6_T7_T9_mT8_P12ihipStream_tbDpT10_ENKUlT_T0_E_clISt17integral_constantIbLb0EES19_EEDaS14_S15_EUlS14_E_NS1_11comp_targetILNS1_3genE8ELNS1_11target_archE1030ELNS1_3gpuE2ELNS1_3repE0EEENS1_30default_config_static_selectorELNS0_4arch9wavefront6targetE1EEEvT1_
    .private_segment_fixed_size: 0
    .sgpr_count:     6
    .sgpr_spill_count: 0
    .symbol:         _ZN7rocprim17ROCPRIM_400000_NS6detail17trampoline_kernelINS0_14default_configENS1_25partition_config_selectorILNS1_17partition_subalgoE0EyNS0_10empty_typeEbEEZZNS1_14partition_implILS5_0ELb0ES3_jN6thrust23THRUST_200600_302600_NS6detail15normal_iteratorINSA_10device_ptrIyEEEEPS6_SG_NS0_5tupleIJSF_NSA_16discard_iteratorINSA_11use_defaultEEEEEENSH_IJSG_SG_EEES6_PlJ7is_evenIyEEEE10hipError_tPvRmT3_T4_T5_T6_T7_T9_mT8_P12ihipStream_tbDpT10_ENKUlT_T0_E_clISt17integral_constantIbLb0EES19_EEDaS14_S15_EUlS14_E_NS1_11comp_targetILNS1_3genE8ELNS1_11target_archE1030ELNS1_3gpuE2ELNS1_3repE0EEENS1_30default_config_static_selectorELNS0_4arch9wavefront6targetE1EEEvT1_.kd
    .uniform_work_group_size: 1
    .uses_dynamic_stack: false
    .vgpr_count:     0
    .vgpr_spill_count: 0
    .wavefront_size: 64
  - .agpr_count:     0
    .args:
      - .offset:         0
        .size:           144
        .value_kind:     by_value
    .group_segment_fixed_size: 0
    .kernarg_segment_align: 8
    .kernarg_segment_size: 144
    .language:       OpenCL C
    .language_version:
      - 2
      - 0
    .max_flat_workgroup_size: 128
    .name:           _ZN7rocprim17ROCPRIM_400000_NS6detail17trampoline_kernelINS0_14default_configENS1_25partition_config_selectorILNS1_17partition_subalgoE0EyNS0_10empty_typeEbEEZZNS1_14partition_implILS5_0ELb0ES3_jN6thrust23THRUST_200600_302600_NS6detail15normal_iteratorINSA_10device_ptrIyEEEEPS6_SG_NS0_5tupleIJSF_NSA_16discard_iteratorINSA_11use_defaultEEEEEENSH_IJSG_SG_EEES6_PlJ7is_evenIyEEEE10hipError_tPvRmT3_T4_T5_T6_T7_T9_mT8_P12ihipStream_tbDpT10_ENKUlT_T0_E_clISt17integral_constantIbLb1EES19_EEDaS14_S15_EUlS14_E_NS1_11comp_targetILNS1_3genE0ELNS1_11target_archE4294967295ELNS1_3gpuE0ELNS1_3repE0EEENS1_30default_config_static_selectorELNS0_4arch9wavefront6targetE1EEEvT1_
    .private_segment_fixed_size: 0
    .sgpr_count:     6
    .sgpr_spill_count: 0
    .symbol:         _ZN7rocprim17ROCPRIM_400000_NS6detail17trampoline_kernelINS0_14default_configENS1_25partition_config_selectorILNS1_17partition_subalgoE0EyNS0_10empty_typeEbEEZZNS1_14partition_implILS5_0ELb0ES3_jN6thrust23THRUST_200600_302600_NS6detail15normal_iteratorINSA_10device_ptrIyEEEEPS6_SG_NS0_5tupleIJSF_NSA_16discard_iteratorINSA_11use_defaultEEEEEENSH_IJSG_SG_EEES6_PlJ7is_evenIyEEEE10hipError_tPvRmT3_T4_T5_T6_T7_T9_mT8_P12ihipStream_tbDpT10_ENKUlT_T0_E_clISt17integral_constantIbLb1EES19_EEDaS14_S15_EUlS14_E_NS1_11comp_targetILNS1_3genE0ELNS1_11target_archE4294967295ELNS1_3gpuE0ELNS1_3repE0EEENS1_30default_config_static_selectorELNS0_4arch9wavefront6targetE1EEEvT1_.kd
    .uniform_work_group_size: 1
    .uses_dynamic_stack: false
    .vgpr_count:     0
    .vgpr_spill_count: 0
    .wavefront_size: 64
  - .agpr_count:     0
    .args:
      - .offset:         0
        .size:           144
        .value_kind:     by_value
    .group_segment_fixed_size: 28680
    .kernarg_segment_align: 8
    .kernarg_segment_size: 144
    .language:       OpenCL C
    .language_version:
      - 2
      - 0
    .max_flat_workgroup_size: 512
    .name:           _ZN7rocprim17ROCPRIM_400000_NS6detail17trampoline_kernelINS0_14default_configENS1_25partition_config_selectorILNS1_17partition_subalgoE0EyNS0_10empty_typeEbEEZZNS1_14partition_implILS5_0ELb0ES3_jN6thrust23THRUST_200600_302600_NS6detail15normal_iteratorINSA_10device_ptrIyEEEEPS6_SG_NS0_5tupleIJSF_NSA_16discard_iteratorINSA_11use_defaultEEEEEENSH_IJSG_SG_EEES6_PlJ7is_evenIyEEEE10hipError_tPvRmT3_T4_T5_T6_T7_T9_mT8_P12ihipStream_tbDpT10_ENKUlT_T0_E_clISt17integral_constantIbLb1EES19_EEDaS14_S15_EUlS14_E_NS1_11comp_targetILNS1_3genE5ELNS1_11target_archE942ELNS1_3gpuE9ELNS1_3repE0EEENS1_30default_config_static_selectorELNS0_4arch9wavefront6targetE1EEEvT1_
    .private_segment_fixed_size: 0
    .sgpr_count:     46
    .sgpr_spill_count: 0
    .symbol:         _ZN7rocprim17ROCPRIM_400000_NS6detail17trampoline_kernelINS0_14default_configENS1_25partition_config_selectorILNS1_17partition_subalgoE0EyNS0_10empty_typeEbEEZZNS1_14partition_implILS5_0ELb0ES3_jN6thrust23THRUST_200600_302600_NS6detail15normal_iteratorINSA_10device_ptrIyEEEEPS6_SG_NS0_5tupleIJSF_NSA_16discard_iteratorINSA_11use_defaultEEEEEENSH_IJSG_SG_EEES6_PlJ7is_evenIyEEEE10hipError_tPvRmT3_T4_T5_T6_T7_T9_mT8_P12ihipStream_tbDpT10_ENKUlT_T0_E_clISt17integral_constantIbLb1EES19_EEDaS14_S15_EUlS14_E_NS1_11comp_targetILNS1_3genE5ELNS1_11target_archE942ELNS1_3gpuE9ELNS1_3repE0EEENS1_30default_config_static_selectorELNS0_4arch9wavefront6targetE1EEEvT1_.kd
    .uniform_work_group_size: 1
    .uses_dynamic_stack: false
    .vgpr_count:     59
    .vgpr_spill_count: 0
    .wavefront_size: 64
  - .agpr_count:     0
    .args:
      - .offset:         0
        .size:           144
        .value_kind:     by_value
    .group_segment_fixed_size: 0
    .kernarg_segment_align: 8
    .kernarg_segment_size: 144
    .language:       OpenCL C
    .language_version:
      - 2
      - 0
    .max_flat_workgroup_size: 192
    .name:           _ZN7rocprim17ROCPRIM_400000_NS6detail17trampoline_kernelINS0_14default_configENS1_25partition_config_selectorILNS1_17partition_subalgoE0EyNS0_10empty_typeEbEEZZNS1_14partition_implILS5_0ELb0ES3_jN6thrust23THRUST_200600_302600_NS6detail15normal_iteratorINSA_10device_ptrIyEEEEPS6_SG_NS0_5tupleIJSF_NSA_16discard_iteratorINSA_11use_defaultEEEEEENSH_IJSG_SG_EEES6_PlJ7is_evenIyEEEE10hipError_tPvRmT3_T4_T5_T6_T7_T9_mT8_P12ihipStream_tbDpT10_ENKUlT_T0_E_clISt17integral_constantIbLb1EES19_EEDaS14_S15_EUlS14_E_NS1_11comp_targetILNS1_3genE4ELNS1_11target_archE910ELNS1_3gpuE8ELNS1_3repE0EEENS1_30default_config_static_selectorELNS0_4arch9wavefront6targetE1EEEvT1_
    .private_segment_fixed_size: 0
    .sgpr_count:     6
    .sgpr_spill_count: 0
    .symbol:         _ZN7rocprim17ROCPRIM_400000_NS6detail17trampoline_kernelINS0_14default_configENS1_25partition_config_selectorILNS1_17partition_subalgoE0EyNS0_10empty_typeEbEEZZNS1_14partition_implILS5_0ELb0ES3_jN6thrust23THRUST_200600_302600_NS6detail15normal_iteratorINSA_10device_ptrIyEEEEPS6_SG_NS0_5tupleIJSF_NSA_16discard_iteratorINSA_11use_defaultEEEEEENSH_IJSG_SG_EEES6_PlJ7is_evenIyEEEE10hipError_tPvRmT3_T4_T5_T6_T7_T9_mT8_P12ihipStream_tbDpT10_ENKUlT_T0_E_clISt17integral_constantIbLb1EES19_EEDaS14_S15_EUlS14_E_NS1_11comp_targetILNS1_3genE4ELNS1_11target_archE910ELNS1_3gpuE8ELNS1_3repE0EEENS1_30default_config_static_selectorELNS0_4arch9wavefront6targetE1EEEvT1_.kd
    .uniform_work_group_size: 1
    .uses_dynamic_stack: false
    .vgpr_count:     0
    .vgpr_spill_count: 0
    .wavefront_size: 64
  - .agpr_count:     0
    .args:
      - .offset:         0
        .size:           144
        .value_kind:     by_value
    .group_segment_fixed_size: 0
    .kernarg_segment_align: 8
    .kernarg_segment_size: 144
    .language:       OpenCL C
    .language_version:
      - 2
      - 0
    .max_flat_workgroup_size: 128
    .name:           _ZN7rocprim17ROCPRIM_400000_NS6detail17trampoline_kernelINS0_14default_configENS1_25partition_config_selectorILNS1_17partition_subalgoE0EyNS0_10empty_typeEbEEZZNS1_14partition_implILS5_0ELb0ES3_jN6thrust23THRUST_200600_302600_NS6detail15normal_iteratorINSA_10device_ptrIyEEEEPS6_SG_NS0_5tupleIJSF_NSA_16discard_iteratorINSA_11use_defaultEEEEEENSH_IJSG_SG_EEES6_PlJ7is_evenIyEEEE10hipError_tPvRmT3_T4_T5_T6_T7_T9_mT8_P12ihipStream_tbDpT10_ENKUlT_T0_E_clISt17integral_constantIbLb1EES19_EEDaS14_S15_EUlS14_E_NS1_11comp_targetILNS1_3genE3ELNS1_11target_archE908ELNS1_3gpuE7ELNS1_3repE0EEENS1_30default_config_static_selectorELNS0_4arch9wavefront6targetE1EEEvT1_
    .private_segment_fixed_size: 0
    .sgpr_count:     6
    .sgpr_spill_count: 0
    .symbol:         _ZN7rocprim17ROCPRIM_400000_NS6detail17trampoline_kernelINS0_14default_configENS1_25partition_config_selectorILNS1_17partition_subalgoE0EyNS0_10empty_typeEbEEZZNS1_14partition_implILS5_0ELb0ES3_jN6thrust23THRUST_200600_302600_NS6detail15normal_iteratorINSA_10device_ptrIyEEEEPS6_SG_NS0_5tupleIJSF_NSA_16discard_iteratorINSA_11use_defaultEEEEEENSH_IJSG_SG_EEES6_PlJ7is_evenIyEEEE10hipError_tPvRmT3_T4_T5_T6_T7_T9_mT8_P12ihipStream_tbDpT10_ENKUlT_T0_E_clISt17integral_constantIbLb1EES19_EEDaS14_S15_EUlS14_E_NS1_11comp_targetILNS1_3genE3ELNS1_11target_archE908ELNS1_3gpuE7ELNS1_3repE0EEENS1_30default_config_static_selectorELNS0_4arch9wavefront6targetE1EEEvT1_.kd
    .uniform_work_group_size: 1
    .uses_dynamic_stack: false
    .vgpr_count:     0
    .vgpr_spill_count: 0
    .wavefront_size: 64
  - .agpr_count:     0
    .args:
      - .offset:         0
        .size:           144
        .value_kind:     by_value
    .group_segment_fixed_size: 0
    .kernarg_segment_align: 8
    .kernarg_segment_size: 144
    .language:       OpenCL C
    .language_version:
      - 2
      - 0
    .max_flat_workgroup_size: 256
    .name:           _ZN7rocprim17ROCPRIM_400000_NS6detail17trampoline_kernelINS0_14default_configENS1_25partition_config_selectorILNS1_17partition_subalgoE0EyNS0_10empty_typeEbEEZZNS1_14partition_implILS5_0ELb0ES3_jN6thrust23THRUST_200600_302600_NS6detail15normal_iteratorINSA_10device_ptrIyEEEEPS6_SG_NS0_5tupleIJSF_NSA_16discard_iteratorINSA_11use_defaultEEEEEENSH_IJSG_SG_EEES6_PlJ7is_evenIyEEEE10hipError_tPvRmT3_T4_T5_T6_T7_T9_mT8_P12ihipStream_tbDpT10_ENKUlT_T0_E_clISt17integral_constantIbLb1EES19_EEDaS14_S15_EUlS14_E_NS1_11comp_targetILNS1_3genE2ELNS1_11target_archE906ELNS1_3gpuE6ELNS1_3repE0EEENS1_30default_config_static_selectorELNS0_4arch9wavefront6targetE1EEEvT1_
    .private_segment_fixed_size: 0
    .sgpr_count:     6
    .sgpr_spill_count: 0
    .symbol:         _ZN7rocprim17ROCPRIM_400000_NS6detail17trampoline_kernelINS0_14default_configENS1_25partition_config_selectorILNS1_17partition_subalgoE0EyNS0_10empty_typeEbEEZZNS1_14partition_implILS5_0ELb0ES3_jN6thrust23THRUST_200600_302600_NS6detail15normal_iteratorINSA_10device_ptrIyEEEEPS6_SG_NS0_5tupleIJSF_NSA_16discard_iteratorINSA_11use_defaultEEEEEENSH_IJSG_SG_EEES6_PlJ7is_evenIyEEEE10hipError_tPvRmT3_T4_T5_T6_T7_T9_mT8_P12ihipStream_tbDpT10_ENKUlT_T0_E_clISt17integral_constantIbLb1EES19_EEDaS14_S15_EUlS14_E_NS1_11comp_targetILNS1_3genE2ELNS1_11target_archE906ELNS1_3gpuE6ELNS1_3repE0EEENS1_30default_config_static_selectorELNS0_4arch9wavefront6targetE1EEEvT1_.kd
    .uniform_work_group_size: 1
    .uses_dynamic_stack: false
    .vgpr_count:     0
    .vgpr_spill_count: 0
    .wavefront_size: 64
  - .agpr_count:     0
    .args:
      - .offset:         0
        .size:           144
        .value_kind:     by_value
    .group_segment_fixed_size: 0
    .kernarg_segment_align: 8
    .kernarg_segment_size: 144
    .language:       OpenCL C
    .language_version:
      - 2
      - 0
    .max_flat_workgroup_size: 512
    .name:           _ZN7rocprim17ROCPRIM_400000_NS6detail17trampoline_kernelINS0_14default_configENS1_25partition_config_selectorILNS1_17partition_subalgoE0EyNS0_10empty_typeEbEEZZNS1_14partition_implILS5_0ELb0ES3_jN6thrust23THRUST_200600_302600_NS6detail15normal_iteratorINSA_10device_ptrIyEEEEPS6_SG_NS0_5tupleIJSF_NSA_16discard_iteratorINSA_11use_defaultEEEEEENSH_IJSG_SG_EEES6_PlJ7is_evenIyEEEE10hipError_tPvRmT3_T4_T5_T6_T7_T9_mT8_P12ihipStream_tbDpT10_ENKUlT_T0_E_clISt17integral_constantIbLb1EES19_EEDaS14_S15_EUlS14_E_NS1_11comp_targetILNS1_3genE10ELNS1_11target_archE1200ELNS1_3gpuE4ELNS1_3repE0EEENS1_30default_config_static_selectorELNS0_4arch9wavefront6targetE1EEEvT1_
    .private_segment_fixed_size: 0
    .sgpr_count:     6
    .sgpr_spill_count: 0
    .symbol:         _ZN7rocprim17ROCPRIM_400000_NS6detail17trampoline_kernelINS0_14default_configENS1_25partition_config_selectorILNS1_17partition_subalgoE0EyNS0_10empty_typeEbEEZZNS1_14partition_implILS5_0ELb0ES3_jN6thrust23THRUST_200600_302600_NS6detail15normal_iteratorINSA_10device_ptrIyEEEEPS6_SG_NS0_5tupleIJSF_NSA_16discard_iteratorINSA_11use_defaultEEEEEENSH_IJSG_SG_EEES6_PlJ7is_evenIyEEEE10hipError_tPvRmT3_T4_T5_T6_T7_T9_mT8_P12ihipStream_tbDpT10_ENKUlT_T0_E_clISt17integral_constantIbLb1EES19_EEDaS14_S15_EUlS14_E_NS1_11comp_targetILNS1_3genE10ELNS1_11target_archE1200ELNS1_3gpuE4ELNS1_3repE0EEENS1_30default_config_static_selectorELNS0_4arch9wavefront6targetE1EEEvT1_.kd
    .uniform_work_group_size: 1
    .uses_dynamic_stack: false
    .vgpr_count:     0
    .vgpr_spill_count: 0
    .wavefront_size: 64
  - .agpr_count:     0
    .args:
      - .offset:         0
        .size:           144
        .value_kind:     by_value
    .group_segment_fixed_size: 0
    .kernarg_segment_align: 8
    .kernarg_segment_size: 144
    .language:       OpenCL C
    .language_version:
      - 2
      - 0
    .max_flat_workgroup_size: 512
    .name:           _ZN7rocprim17ROCPRIM_400000_NS6detail17trampoline_kernelINS0_14default_configENS1_25partition_config_selectorILNS1_17partition_subalgoE0EyNS0_10empty_typeEbEEZZNS1_14partition_implILS5_0ELb0ES3_jN6thrust23THRUST_200600_302600_NS6detail15normal_iteratorINSA_10device_ptrIyEEEEPS6_SG_NS0_5tupleIJSF_NSA_16discard_iteratorINSA_11use_defaultEEEEEENSH_IJSG_SG_EEES6_PlJ7is_evenIyEEEE10hipError_tPvRmT3_T4_T5_T6_T7_T9_mT8_P12ihipStream_tbDpT10_ENKUlT_T0_E_clISt17integral_constantIbLb1EES19_EEDaS14_S15_EUlS14_E_NS1_11comp_targetILNS1_3genE9ELNS1_11target_archE1100ELNS1_3gpuE3ELNS1_3repE0EEENS1_30default_config_static_selectorELNS0_4arch9wavefront6targetE1EEEvT1_
    .private_segment_fixed_size: 0
    .sgpr_count:     6
    .sgpr_spill_count: 0
    .symbol:         _ZN7rocprim17ROCPRIM_400000_NS6detail17trampoline_kernelINS0_14default_configENS1_25partition_config_selectorILNS1_17partition_subalgoE0EyNS0_10empty_typeEbEEZZNS1_14partition_implILS5_0ELb0ES3_jN6thrust23THRUST_200600_302600_NS6detail15normal_iteratorINSA_10device_ptrIyEEEEPS6_SG_NS0_5tupleIJSF_NSA_16discard_iteratorINSA_11use_defaultEEEEEENSH_IJSG_SG_EEES6_PlJ7is_evenIyEEEE10hipError_tPvRmT3_T4_T5_T6_T7_T9_mT8_P12ihipStream_tbDpT10_ENKUlT_T0_E_clISt17integral_constantIbLb1EES19_EEDaS14_S15_EUlS14_E_NS1_11comp_targetILNS1_3genE9ELNS1_11target_archE1100ELNS1_3gpuE3ELNS1_3repE0EEENS1_30default_config_static_selectorELNS0_4arch9wavefront6targetE1EEEvT1_.kd
    .uniform_work_group_size: 1
    .uses_dynamic_stack: false
    .vgpr_count:     0
    .vgpr_spill_count: 0
    .wavefront_size: 64
  - .agpr_count:     0
    .args:
      - .offset:         0
        .size:           144
        .value_kind:     by_value
    .group_segment_fixed_size: 0
    .kernarg_segment_align: 8
    .kernarg_segment_size: 144
    .language:       OpenCL C
    .language_version:
      - 2
      - 0
    .max_flat_workgroup_size: 512
    .name:           _ZN7rocprim17ROCPRIM_400000_NS6detail17trampoline_kernelINS0_14default_configENS1_25partition_config_selectorILNS1_17partition_subalgoE0EyNS0_10empty_typeEbEEZZNS1_14partition_implILS5_0ELb0ES3_jN6thrust23THRUST_200600_302600_NS6detail15normal_iteratorINSA_10device_ptrIyEEEEPS6_SG_NS0_5tupleIJSF_NSA_16discard_iteratorINSA_11use_defaultEEEEEENSH_IJSG_SG_EEES6_PlJ7is_evenIyEEEE10hipError_tPvRmT3_T4_T5_T6_T7_T9_mT8_P12ihipStream_tbDpT10_ENKUlT_T0_E_clISt17integral_constantIbLb1EES19_EEDaS14_S15_EUlS14_E_NS1_11comp_targetILNS1_3genE8ELNS1_11target_archE1030ELNS1_3gpuE2ELNS1_3repE0EEENS1_30default_config_static_selectorELNS0_4arch9wavefront6targetE1EEEvT1_
    .private_segment_fixed_size: 0
    .sgpr_count:     6
    .sgpr_spill_count: 0
    .symbol:         _ZN7rocprim17ROCPRIM_400000_NS6detail17trampoline_kernelINS0_14default_configENS1_25partition_config_selectorILNS1_17partition_subalgoE0EyNS0_10empty_typeEbEEZZNS1_14partition_implILS5_0ELb0ES3_jN6thrust23THRUST_200600_302600_NS6detail15normal_iteratorINSA_10device_ptrIyEEEEPS6_SG_NS0_5tupleIJSF_NSA_16discard_iteratorINSA_11use_defaultEEEEEENSH_IJSG_SG_EEES6_PlJ7is_evenIyEEEE10hipError_tPvRmT3_T4_T5_T6_T7_T9_mT8_P12ihipStream_tbDpT10_ENKUlT_T0_E_clISt17integral_constantIbLb1EES19_EEDaS14_S15_EUlS14_E_NS1_11comp_targetILNS1_3genE8ELNS1_11target_archE1030ELNS1_3gpuE2ELNS1_3repE0EEENS1_30default_config_static_selectorELNS0_4arch9wavefront6targetE1EEEvT1_.kd
    .uniform_work_group_size: 1
    .uses_dynamic_stack: false
    .vgpr_count:     0
    .vgpr_spill_count: 0
    .wavefront_size: 64
  - .agpr_count:     0
    .args:
      - .offset:         0
        .size:           128
        .value_kind:     by_value
    .group_segment_fixed_size: 0
    .kernarg_segment_align: 8
    .kernarg_segment_size: 128
    .language:       OpenCL C
    .language_version:
      - 2
      - 0
    .max_flat_workgroup_size: 128
    .name:           _ZN7rocprim17ROCPRIM_400000_NS6detail17trampoline_kernelINS0_14default_configENS1_25partition_config_selectorILNS1_17partition_subalgoE0EyNS0_10empty_typeEbEEZZNS1_14partition_implILS5_0ELb0ES3_jN6thrust23THRUST_200600_302600_NS6detail15normal_iteratorINSA_10device_ptrIyEEEEPS6_SG_NS0_5tupleIJSF_NSA_16discard_iteratorINSA_11use_defaultEEEEEENSH_IJSG_SG_EEES6_PlJ7is_evenIyEEEE10hipError_tPvRmT3_T4_T5_T6_T7_T9_mT8_P12ihipStream_tbDpT10_ENKUlT_T0_E_clISt17integral_constantIbLb1EES18_IbLb0EEEEDaS14_S15_EUlS14_E_NS1_11comp_targetILNS1_3genE0ELNS1_11target_archE4294967295ELNS1_3gpuE0ELNS1_3repE0EEENS1_30default_config_static_selectorELNS0_4arch9wavefront6targetE1EEEvT1_
    .private_segment_fixed_size: 0
    .sgpr_count:     6
    .sgpr_spill_count: 0
    .symbol:         _ZN7rocprim17ROCPRIM_400000_NS6detail17trampoline_kernelINS0_14default_configENS1_25partition_config_selectorILNS1_17partition_subalgoE0EyNS0_10empty_typeEbEEZZNS1_14partition_implILS5_0ELb0ES3_jN6thrust23THRUST_200600_302600_NS6detail15normal_iteratorINSA_10device_ptrIyEEEEPS6_SG_NS0_5tupleIJSF_NSA_16discard_iteratorINSA_11use_defaultEEEEEENSH_IJSG_SG_EEES6_PlJ7is_evenIyEEEE10hipError_tPvRmT3_T4_T5_T6_T7_T9_mT8_P12ihipStream_tbDpT10_ENKUlT_T0_E_clISt17integral_constantIbLb1EES18_IbLb0EEEEDaS14_S15_EUlS14_E_NS1_11comp_targetILNS1_3genE0ELNS1_11target_archE4294967295ELNS1_3gpuE0ELNS1_3repE0EEENS1_30default_config_static_selectorELNS0_4arch9wavefront6targetE1EEEvT1_.kd
    .uniform_work_group_size: 1
    .uses_dynamic_stack: false
    .vgpr_count:     0
    .vgpr_spill_count: 0
    .wavefront_size: 64
  - .agpr_count:     0
    .args:
      - .offset:         0
        .size:           128
        .value_kind:     by_value
    .group_segment_fixed_size: 28680
    .kernarg_segment_align: 8
    .kernarg_segment_size: 128
    .language:       OpenCL C
    .language_version:
      - 2
      - 0
    .max_flat_workgroup_size: 512
    .name:           _ZN7rocprim17ROCPRIM_400000_NS6detail17trampoline_kernelINS0_14default_configENS1_25partition_config_selectorILNS1_17partition_subalgoE0EyNS0_10empty_typeEbEEZZNS1_14partition_implILS5_0ELb0ES3_jN6thrust23THRUST_200600_302600_NS6detail15normal_iteratorINSA_10device_ptrIyEEEEPS6_SG_NS0_5tupleIJSF_NSA_16discard_iteratorINSA_11use_defaultEEEEEENSH_IJSG_SG_EEES6_PlJ7is_evenIyEEEE10hipError_tPvRmT3_T4_T5_T6_T7_T9_mT8_P12ihipStream_tbDpT10_ENKUlT_T0_E_clISt17integral_constantIbLb1EES18_IbLb0EEEEDaS14_S15_EUlS14_E_NS1_11comp_targetILNS1_3genE5ELNS1_11target_archE942ELNS1_3gpuE9ELNS1_3repE0EEENS1_30default_config_static_selectorELNS0_4arch9wavefront6targetE1EEEvT1_
    .private_segment_fixed_size: 0
    .sgpr_count:     46
    .sgpr_spill_count: 0
    .symbol:         _ZN7rocprim17ROCPRIM_400000_NS6detail17trampoline_kernelINS0_14default_configENS1_25partition_config_selectorILNS1_17partition_subalgoE0EyNS0_10empty_typeEbEEZZNS1_14partition_implILS5_0ELb0ES3_jN6thrust23THRUST_200600_302600_NS6detail15normal_iteratorINSA_10device_ptrIyEEEEPS6_SG_NS0_5tupleIJSF_NSA_16discard_iteratorINSA_11use_defaultEEEEEENSH_IJSG_SG_EEES6_PlJ7is_evenIyEEEE10hipError_tPvRmT3_T4_T5_T6_T7_T9_mT8_P12ihipStream_tbDpT10_ENKUlT_T0_E_clISt17integral_constantIbLb1EES18_IbLb0EEEEDaS14_S15_EUlS14_E_NS1_11comp_targetILNS1_3genE5ELNS1_11target_archE942ELNS1_3gpuE9ELNS1_3repE0EEENS1_30default_config_static_selectorELNS0_4arch9wavefront6targetE1EEEvT1_.kd
    .uniform_work_group_size: 1
    .uses_dynamic_stack: false
    .vgpr_count:     57
    .vgpr_spill_count: 0
    .wavefront_size: 64
  - .agpr_count:     0
    .args:
      - .offset:         0
        .size:           128
        .value_kind:     by_value
    .group_segment_fixed_size: 0
    .kernarg_segment_align: 8
    .kernarg_segment_size: 128
    .language:       OpenCL C
    .language_version:
      - 2
      - 0
    .max_flat_workgroup_size: 192
    .name:           _ZN7rocprim17ROCPRIM_400000_NS6detail17trampoline_kernelINS0_14default_configENS1_25partition_config_selectorILNS1_17partition_subalgoE0EyNS0_10empty_typeEbEEZZNS1_14partition_implILS5_0ELb0ES3_jN6thrust23THRUST_200600_302600_NS6detail15normal_iteratorINSA_10device_ptrIyEEEEPS6_SG_NS0_5tupleIJSF_NSA_16discard_iteratorINSA_11use_defaultEEEEEENSH_IJSG_SG_EEES6_PlJ7is_evenIyEEEE10hipError_tPvRmT3_T4_T5_T6_T7_T9_mT8_P12ihipStream_tbDpT10_ENKUlT_T0_E_clISt17integral_constantIbLb1EES18_IbLb0EEEEDaS14_S15_EUlS14_E_NS1_11comp_targetILNS1_3genE4ELNS1_11target_archE910ELNS1_3gpuE8ELNS1_3repE0EEENS1_30default_config_static_selectorELNS0_4arch9wavefront6targetE1EEEvT1_
    .private_segment_fixed_size: 0
    .sgpr_count:     6
    .sgpr_spill_count: 0
    .symbol:         _ZN7rocprim17ROCPRIM_400000_NS6detail17trampoline_kernelINS0_14default_configENS1_25partition_config_selectorILNS1_17partition_subalgoE0EyNS0_10empty_typeEbEEZZNS1_14partition_implILS5_0ELb0ES3_jN6thrust23THRUST_200600_302600_NS6detail15normal_iteratorINSA_10device_ptrIyEEEEPS6_SG_NS0_5tupleIJSF_NSA_16discard_iteratorINSA_11use_defaultEEEEEENSH_IJSG_SG_EEES6_PlJ7is_evenIyEEEE10hipError_tPvRmT3_T4_T5_T6_T7_T9_mT8_P12ihipStream_tbDpT10_ENKUlT_T0_E_clISt17integral_constantIbLb1EES18_IbLb0EEEEDaS14_S15_EUlS14_E_NS1_11comp_targetILNS1_3genE4ELNS1_11target_archE910ELNS1_3gpuE8ELNS1_3repE0EEENS1_30default_config_static_selectorELNS0_4arch9wavefront6targetE1EEEvT1_.kd
    .uniform_work_group_size: 1
    .uses_dynamic_stack: false
    .vgpr_count:     0
    .vgpr_spill_count: 0
    .wavefront_size: 64
  - .agpr_count:     0
    .args:
      - .offset:         0
        .size:           128
        .value_kind:     by_value
    .group_segment_fixed_size: 0
    .kernarg_segment_align: 8
    .kernarg_segment_size: 128
    .language:       OpenCL C
    .language_version:
      - 2
      - 0
    .max_flat_workgroup_size: 128
    .name:           _ZN7rocprim17ROCPRIM_400000_NS6detail17trampoline_kernelINS0_14default_configENS1_25partition_config_selectorILNS1_17partition_subalgoE0EyNS0_10empty_typeEbEEZZNS1_14partition_implILS5_0ELb0ES3_jN6thrust23THRUST_200600_302600_NS6detail15normal_iteratorINSA_10device_ptrIyEEEEPS6_SG_NS0_5tupleIJSF_NSA_16discard_iteratorINSA_11use_defaultEEEEEENSH_IJSG_SG_EEES6_PlJ7is_evenIyEEEE10hipError_tPvRmT3_T4_T5_T6_T7_T9_mT8_P12ihipStream_tbDpT10_ENKUlT_T0_E_clISt17integral_constantIbLb1EES18_IbLb0EEEEDaS14_S15_EUlS14_E_NS1_11comp_targetILNS1_3genE3ELNS1_11target_archE908ELNS1_3gpuE7ELNS1_3repE0EEENS1_30default_config_static_selectorELNS0_4arch9wavefront6targetE1EEEvT1_
    .private_segment_fixed_size: 0
    .sgpr_count:     6
    .sgpr_spill_count: 0
    .symbol:         _ZN7rocprim17ROCPRIM_400000_NS6detail17trampoline_kernelINS0_14default_configENS1_25partition_config_selectorILNS1_17partition_subalgoE0EyNS0_10empty_typeEbEEZZNS1_14partition_implILS5_0ELb0ES3_jN6thrust23THRUST_200600_302600_NS6detail15normal_iteratorINSA_10device_ptrIyEEEEPS6_SG_NS0_5tupleIJSF_NSA_16discard_iteratorINSA_11use_defaultEEEEEENSH_IJSG_SG_EEES6_PlJ7is_evenIyEEEE10hipError_tPvRmT3_T4_T5_T6_T7_T9_mT8_P12ihipStream_tbDpT10_ENKUlT_T0_E_clISt17integral_constantIbLb1EES18_IbLb0EEEEDaS14_S15_EUlS14_E_NS1_11comp_targetILNS1_3genE3ELNS1_11target_archE908ELNS1_3gpuE7ELNS1_3repE0EEENS1_30default_config_static_selectorELNS0_4arch9wavefront6targetE1EEEvT1_.kd
    .uniform_work_group_size: 1
    .uses_dynamic_stack: false
    .vgpr_count:     0
    .vgpr_spill_count: 0
    .wavefront_size: 64
  - .agpr_count:     0
    .args:
      - .offset:         0
        .size:           128
        .value_kind:     by_value
    .group_segment_fixed_size: 0
    .kernarg_segment_align: 8
    .kernarg_segment_size: 128
    .language:       OpenCL C
    .language_version:
      - 2
      - 0
    .max_flat_workgroup_size: 256
    .name:           _ZN7rocprim17ROCPRIM_400000_NS6detail17trampoline_kernelINS0_14default_configENS1_25partition_config_selectorILNS1_17partition_subalgoE0EyNS0_10empty_typeEbEEZZNS1_14partition_implILS5_0ELb0ES3_jN6thrust23THRUST_200600_302600_NS6detail15normal_iteratorINSA_10device_ptrIyEEEEPS6_SG_NS0_5tupleIJSF_NSA_16discard_iteratorINSA_11use_defaultEEEEEENSH_IJSG_SG_EEES6_PlJ7is_evenIyEEEE10hipError_tPvRmT3_T4_T5_T6_T7_T9_mT8_P12ihipStream_tbDpT10_ENKUlT_T0_E_clISt17integral_constantIbLb1EES18_IbLb0EEEEDaS14_S15_EUlS14_E_NS1_11comp_targetILNS1_3genE2ELNS1_11target_archE906ELNS1_3gpuE6ELNS1_3repE0EEENS1_30default_config_static_selectorELNS0_4arch9wavefront6targetE1EEEvT1_
    .private_segment_fixed_size: 0
    .sgpr_count:     6
    .sgpr_spill_count: 0
    .symbol:         _ZN7rocprim17ROCPRIM_400000_NS6detail17trampoline_kernelINS0_14default_configENS1_25partition_config_selectorILNS1_17partition_subalgoE0EyNS0_10empty_typeEbEEZZNS1_14partition_implILS5_0ELb0ES3_jN6thrust23THRUST_200600_302600_NS6detail15normal_iteratorINSA_10device_ptrIyEEEEPS6_SG_NS0_5tupleIJSF_NSA_16discard_iteratorINSA_11use_defaultEEEEEENSH_IJSG_SG_EEES6_PlJ7is_evenIyEEEE10hipError_tPvRmT3_T4_T5_T6_T7_T9_mT8_P12ihipStream_tbDpT10_ENKUlT_T0_E_clISt17integral_constantIbLb1EES18_IbLb0EEEEDaS14_S15_EUlS14_E_NS1_11comp_targetILNS1_3genE2ELNS1_11target_archE906ELNS1_3gpuE6ELNS1_3repE0EEENS1_30default_config_static_selectorELNS0_4arch9wavefront6targetE1EEEvT1_.kd
    .uniform_work_group_size: 1
    .uses_dynamic_stack: false
    .vgpr_count:     0
    .vgpr_spill_count: 0
    .wavefront_size: 64
  - .agpr_count:     0
    .args:
      - .offset:         0
        .size:           128
        .value_kind:     by_value
    .group_segment_fixed_size: 0
    .kernarg_segment_align: 8
    .kernarg_segment_size: 128
    .language:       OpenCL C
    .language_version:
      - 2
      - 0
    .max_flat_workgroup_size: 512
    .name:           _ZN7rocprim17ROCPRIM_400000_NS6detail17trampoline_kernelINS0_14default_configENS1_25partition_config_selectorILNS1_17partition_subalgoE0EyNS0_10empty_typeEbEEZZNS1_14partition_implILS5_0ELb0ES3_jN6thrust23THRUST_200600_302600_NS6detail15normal_iteratorINSA_10device_ptrIyEEEEPS6_SG_NS0_5tupleIJSF_NSA_16discard_iteratorINSA_11use_defaultEEEEEENSH_IJSG_SG_EEES6_PlJ7is_evenIyEEEE10hipError_tPvRmT3_T4_T5_T6_T7_T9_mT8_P12ihipStream_tbDpT10_ENKUlT_T0_E_clISt17integral_constantIbLb1EES18_IbLb0EEEEDaS14_S15_EUlS14_E_NS1_11comp_targetILNS1_3genE10ELNS1_11target_archE1200ELNS1_3gpuE4ELNS1_3repE0EEENS1_30default_config_static_selectorELNS0_4arch9wavefront6targetE1EEEvT1_
    .private_segment_fixed_size: 0
    .sgpr_count:     6
    .sgpr_spill_count: 0
    .symbol:         _ZN7rocprim17ROCPRIM_400000_NS6detail17trampoline_kernelINS0_14default_configENS1_25partition_config_selectorILNS1_17partition_subalgoE0EyNS0_10empty_typeEbEEZZNS1_14partition_implILS5_0ELb0ES3_jN6thrust23THRUST_200600_302600_NS6detail15normal_iteratorINSA_10device_ptrIyEEEEPS6_SG_NS0_5tupleIJSF_NSA_16discard_iteratorINSA_11use_defaultEEEEEENSH_IJSG_SG_EEES6_PlJ7is_evenIyEEEE10hipError_tPvRmT3_T4_T5_T6_T7_T9_mT8_P12ihipStream_tbDpT10_ENKUlT_T0_E_clISt17integral_constantIbLb1EES18_IbLb0EEEEDaS14_S15_EUlS14_E_NS1_11comp_targetILNS1_3genE10ELNS1_11target_archE1200ELNS1_3gpuE4ELNS1_3repE0EEENS1_30default_config_static_selectorELNS0_4arch9wavefront6targetE1EEEvT1_.kd
    .uniform_work_group_size: 1
    .uses_dynamic_stack: false
    .vgpr_count:     0
    .vgpr_spill_count: 0
    .wavefront_size: 64
  - .agpr_count:     0
    .args:
      - .offset:         0
        .size:           128
        .value_kind:     by_value
    .group_segment_fixed_size: 0
    .kernarg_segment_align: 8
    .kernarg_segment_size: 128
    .language:       OpenCL C
    .language_version:
      - 2
      - 0
    .max_flat_workgroup_size: 512
    .name:           _ZN7rocprim17ROCPRIM_400000_NS6detail17trampoline_kernelINS0_14default_configENS1_25partition_config_selectorILNS1_17partition_subalgoE0EyNS0_10empty_typeEbEEZZNS1_14partition_implILS5_0ELb0ES3_jN6thrust23THRUST_200600_302600_NS6detail15normal_iteratorINSA_10device_ptrIyEEEEPS6_SG_NS0_5tupleIJSF_NSA_16discard_iteratorINSA_11use_defaultEEEEEENSH_IJSG_SG_EEES6_PlJ7is_evenIyEEEE10hipError_tPvRmT3_T4_T5_T6_T7_T9_mT8_P12ihipStream_tbDpT10_ENKUlT_T0_E_clISt17integral_constantIbLb1EES18_IbLb0EEEEDaS14_S15_EUlS14_E_NS1_11comp_targetILNS1_3genE9ELNS1_11target_archE1100ELNS1_3gpuE3ELNS1_3repE0EEENS1_30default_config_static_selectorELNS0_4arch9wavefront6targetE1EEEvT1_
    .private_segment_fixed_size: 0
    .sgpr_count:     6
    .sgpr_spill_count: 0
    .symbol:         _ZN7rocprim17ROCPRIM_400000_NS6detail17trampoline_kernelINS0_14default_configENS1_25partition_config_selectorILNS1_17partition_subalgoE0EyNS0_10empty_typeEbEEZZNS1_14partition_implILS5_0ELb0ES3_jN6thrust23THRUST_200600_302600_NS6detail15normal_iteratorINSA_10device_ptrIyEEEEPS6_SG_NS0_5tupleIJSF_NSA_16discard_iteratorINSA_11use_defaultEEEEEENSH_IJSG_SG_EEES6_PlJ7is_evenIyEEEE10hipError_tPvRmT3_T4_T5_T6_T7_T9_mT8_P12ihipStream_tbDpT10_ENKUlT_T0_E_clISt17integral_constantIbLb1EES18_IbLb0EEEEDaS14_S15_EUlS14_E_NS1_11comp_targetILNS1_3genE9ELNS1_11target_archE1100ELNS1_3gpuE3ELNS1_3repE0EEENS1_30default_config_static_selectorELNS0_4arch9wavefront6targetE1EEEvT1_.kd
    .uniform_work_group_size: 1
    .uses_dynamic_stack: false
    .vgpr_count:     0
    .vgpr_spill_count: 0
    .wavefront_size: 64
  - .agpr_count:     0
    .args:
      - .offset:         0
        .size:           128
        .value_kind:     by_value
    .group_segment_fixed_size: 0
    .kernarg_segment_align: 8
    .kernarg_segment_size: 128
    .language:       OpenCL C
    .language_version:
      - 2
      - 0
    .max_flat_workgroup_size: 512
    .name:           _ZN7rocprim17ROCPRIM_400000_NS6detail17trampoline_kernelINS0_14default_configENS1_25partition_config_selectorILNS1_17partition_subalgoE0EyNS0_10empty_typeEbEEZZNS1_14partition_implILS5_0ELb0ES3_jN6thrust23THRUST_200600_302600_NS6detail15normal_iteratorINSA_10device_ptrIyEEEEPS6_SG_NS0_5tupleIJSF_NSA_16discard_iteratorINSA_11use_defaultEEEEEENSH_IJSG_SG_EEES6_PlJ7is_evenIyEEEE10hipError_tPvRmT3_T4_T5_T6_T7_T9_mT8_P12ihipStream_tbDpT10_ENKUlT_T0_E_clISt17integral_constantIbLb1EES18_IbLb0EEEEDaS14_S15_EUlS14_E_NS1_11comp_targetILNS1_3genE8ELNS1_11target_archE1030ELNS1_3gpuE2ELNS1_3repE0EEENS1_30default_config_static_selectorELNS0_4arch9wavefront6targetE1EEEvT1_
    .private_segment_fixed_size: 0
    .sgpr_count:     6
    .sgpr_spill_count: 0
    .symbol:         _ZN7rocprim17ROCPRIM_400000_NS6detail17trampoline_kernelINS0_14default_configENS1_25partition_config_selectorILNS1_17partition_subalgoE0EyNS0_10empty_typeEbEEZZNS1_14partition_implILS5_0ELb0ES3_jN6thrust23THRUST_200600_302600_NS6detail15normal_iteratorINSA_10device_ptrIyEEEEPS6_SG_NS0_5tupleIJSF_NSA_16discard_iteratorINSA_11use_defaultEEEEEENSH_IJSG_SG_EEES6_PlJ7is_evenIyEEEE10hipError_tPvRmT3_T4_T5_T6_T7_T9_mT8_P12ihipStream_tbDpT10_ENKUlT_T0_E_clISt17integral_constantIbLb1EES18_IbLb0EEEEDaS14_S15_EUlS14_E_NS1_11comp_targetILNS1_3genE8ELNS1_11target_archE1030ELNS1_3gpuE2ELNS1_3repE0EEENS1_30default_config_static_selectorELNS0_4arch9wavefront6targetE1EEEvT1_.kd
    .uniform_work_group_size: 1
    .uses_dynamic_stack: false
    .vgpr_count:     0
    .vgpr_spill_count: 0
    .wavefront_size: 64
  - .agpr_count:     0
    .args:
      - .offset:         0
        .size:           144
        .value_kind:     by_value
    .group_segment_fixed_size: 0
    .kernarg_segment_align: 8
    .kernarg_segment_size: 144
    .language:       OpenCL C
    .language_version:
      - 2
      - 0
    .max_flat_workgroup_size: 128
    .name:           _ZN7rocprim17ROCPRIM_400000_NS6detail17trampoline_kernelINS0_14default_configENS1_25partition_config_selectorILNS1_17partition_subalgoE0EyNS0_10empty_typeEbEEZZNS1_14partition_implILS5_0ELb0ES3_jN6thrust23THRUST_200600_302600_NS6detail15normal_iteratorINSA_10device_ptrIyEEEEPS6_SG_NS0_5tupleIJSF_NSA_16discard_iteratorINSA_11use_defaultEEEEEENSH_IJSG_SG_EEES6_PlJ7is_evenIyEEEE10hipError_tPvRmT3_T4_T5_T6_T7_T9_mT8_P12ihipStream_tbDpT10_ENKUlT_T0_E_clISt17integral_constantIbLb0EES18_IbLb1EEEEDaS14_S15_EUlS14_E_NS1_11comp_targetILNS1_3genE0ELNS1_11target_archE4294967295ELNS1_3gpuE0ELNS1_3repE0EEENS1_30default_config_static_selectorELNS0_4arch9wavefront6targetE1EEEvT1_
    .private_segment_fixed_size: 0
    .sgpr_count:     6
    .sgpr_spill_count: 0
    .symbol:         _ZN7rocprim17ROCPRIM_400000_NS6detail17trampoline_kernelINS0_14default_configENS1_25partition_config_selectorILNS1_17partition_subalgoE0EyNS0_10empty_typeEbEEZZNS1_14partition_implILS5_0ELb0ES3_jN6thrust23THRUST_200600_302600_NS6detail15normal_iteratorINSA_10device_ptrIyEEEEPS6_SG_NS0_5tupleIJSF_NSA_16discard_iteratorINSA_11use_defaultEEEEEENSH_IJSG_SG_EEES6_PlJ7is_evenIyEEEE10hipError_tPvRmT3_T4_T5_T6_T7_T9_mT8_P12ihipStream_tbDpT10_ENKUlT_T0_E_clISt17integral_constantIbLb0EES18_IbLb1EEEEDaS14_S15_EUlS14_E_NS1_11comp_targetILNS1_3genE0ELNS1_11target_archE4294967295ELNS1_3gpuE0ELNS1_3repE0EEENS1_30default_config_static_selectorELNS0_4arch9wavefront6targetE1EEEvT1_.kd
    .uniform_work_group_size: 1
    .uses_dynamic_stack: false
    .vgpr_count:     0
    .vgpr_spill_count: 0
    .wavefront_size: 64
  - .agpr_count:     0
    .args:
      - .offset:         0
        .size:           144
        .value_kind:     by_value
    .group_segment_fixed_size: 28680
    .kernarg_segment_align: 8
    .kernarg_segment_size: 144
    .language:       OpenCL C
    .language_version:
      - 2
      - 0
    .max_flat_workgroup_size: 512
    .name:           _ZN7rocprim17ROCPRIM_400000_NS6detail17trampoline_kernelINS0_14default_configENS1_25partition_config_selectorILNS1_17partition_subalgoE0EyNS0_10empty_typeEbEEZZNS1_14partition_implILS5_0ELb0ES3_jN6thrust23THRUST_200600_302600_NS6detail15normal_iteratorINSA_10device_ptrIyEEEEPS6_SG_NS0_5tupleIJSF_NSA_16discard_iteratorINSA_11use_defaultEEEEEENSH_IJSG_SG_EEES6_PlJ7is_evenIyEEEE10hipError_tPvRmT3_T4_T5_T6_T7_T9_mT8_P12ihipStream_tbDpT10_ENKUlT_T0_E_clISt17integral_constantIbLb0EES18_IbLb1EEEEDaS14_S15_EUlS14_E_NS1_11comp_targetILNS1_3genE5ELNS1_11target_archE942ELNS1_3gpuE9ELNS1_3repE0EEENS1_30default_config_static_selectorELNS0_4arch9wavefront6targetE1EEEvT1_
    .private_segment_fixed_size: 0
    .sgpr_count:     46
    .sgpr_spill_count: 0
    .symbol:         _ZN7rocprim17ROCPRIM_400000_NS6detail17trampoline_kernelINS0_14default_configENS1_25partition_config_selectorILNS1_17partition_subalgoE0EyNS0_10empty_typeEbEEZZNS1_14partition_implILS5_0ELb0ES3_jN6thrust23THRUST_200600_302600_NS6detail15normal_iteratorINSA_10device_ptrIyEEEEPS6_SG_NS0_5tupleIJSF_NSA_16discard_iteratorINSA_11use_defaultEEEEEENSH_IJSG_SG_EEES6_PlJ7is_evenIyEEEE10hipError_tPvRmT3_T4_T5_T6_T7_T9_mT8_P12ihipStream_tbDpT10_ENKUlT_T0_E_clISt17integral_constantIbLb0EES18_IbLb1EEEEDaS14_S15_EUlS14_E_NS1_11comp_targetILNS1_3genE5ELNS1_11target_archE942ELNS1_3gpuE9ELNS1_3repE0EEENS1_30default_config_static_selectorELNS0_4arch9wavefront6targetE1EEEvT1_.kd
    .uniform_work_group_size: 1
    .uses_dynamic_stack: false
    .vgpr_count:     59
    .vgpr_spill_count: 0
    .wavefront_size: 64
  - .agpr_count:     0
    .args:
      - .offset:         0
        .size:           144
        .value_kind:     by_value
    .group_segment_fixed_size: 0
    .kernarg_segment_align: 8
    .kernarg_segment_size: 144
    .language:       OpenCL C
    .language_version:
      - 2
      - 0
    .max_flat_workgroup_size: 192
    .name:           _ZN7rocprim17ROCPRIM_400000_NS6detail17trampoline_kernelINS0_14default_configENS1_25partition_config_selectorILNS1_17partition_subalgoE0EyNS0_10empty_typeEbEEZZNS1_14partition_implILS5_0ELb0ES3_jN6thrust23THRUST_200600_302600_NS6detail15normal_iteratorINSA_10device_ptrIyEEEEPS6_SG_NS0_5tupleIJSF_NSA_16discard_iteratorINSA_11use_defaultEEEEEENSH_IJSG_SG_EEES6_PlJ7is_evenIyEEEE10hipError_tPvRmT3_T4_T5_T6_T7_T9_mT8_P12ihipStream_tbDpT10_ENKUlT_T0_E_clISt17integral_constantIbLb0EES18_IbLb1EEEEDaS14_S15_EUlS14_E_NS1_11comp_targetILNS1_3genE4ELNS1_11target_archE910ELNS1_3gpuE8ELNS1_3repE0EEENS1_30default_config_static_selectorELNS0_4arch9wavefront6targetE1EEEvT1_
    .private_segment_fixed_size: 0
    .sgpr_count:     6
    .sgpr_spill_count: 0
    .symbol:         _ZN7rocprim17ROCPRIM_400000_NS6detail17trampoline_kernelINS0_14default_configENS1_25partition_config_selectorILNS1_17partition_subalgoE0EyNS0_10empty_typeEbEEZZNS1_14partition_implILS5_0ELb0ES3_jN6thrust23THRUST_200600_302600_NS6detail15normal_iteratorINSA_10device_ptrIyEEEEPS6_SG_NS0_5tupleIJSF_NSA_16discard_iteratorINSA_11use_defaultEEEEEENSH_IJSG_SG_EEES6_PlJ7is_evenIyEEEE10hipError_tPvRmT3_T4_T5_T6_T7_T9_mT8_P12ihipStream_tbDpT10_ENKUlT_T0_E_clISt17integral_constantIbLb0EES18_IbLb1EEEEDaS14_S15_EUlS14_E_NS1_11comp_targetILNS1_3genE4ELNS1_11target_archE910ELNS1_3gpuE8ELNS1_3repE0EEENS1_30default_config_static_selectorELNS0_4arch9wavefront6targetE1EEEvT1_.kd
    .uniform_work_group_size: 1
    .uses_dynamic_stack: false
    .vgpr_count:     0
    .vgpr_spill_count: 0
    .wavefront_size: 64
  - .agpr_count:     0
    .args:
      - .offset:         0
        .size:           144
        .value_kind:     by_value
    .group_segment_fixed_size: 0
    .kernarg_segment_align: 8
    .kernarg_segment_size: 144
    .language:       OpenCL C
    .language_version:
      - 2
      - 0
    .max_flat_workgroup_size: 128
    .name:           _ZN7rocprim17ROCPRIM_400000_NS6detail17trampoline_kernelINS0_14default_configENS1_25partition_config_selectorILNS1_17partition_subalgoE0EyNS0_10empty_typeEbEEZZNS1_14partition_implILS5_0ELb0ES3_jN6thrust23THRUST_200600_302600_NS6detail15normal_iteratorINSA_10device_ptrIyEEEEPS6_SG_NS0_5tupleIJSF_NSA_16discard_iteratorINSA_11use_defaultEEEEEENSH_IJSG_SG_EEES6_PlJ7is_evenIyEEEE10hipError_tPvRmT3_T4_T5_T6_T7_T9_mT8_P12ihipStream_tbDpT10_ENKUlT_T0_E_clISt17integral_constantIbLb0EES18_IbLb1EEEEDaS14_S15_EUlS14_E_NS1_11comp_targetILNS1_3genE3ELNS1_11target_archE908ELNS1_3gpuE7ELNS1_3repE0EEENS1_30default_config_static_selectorELNS0_4arch9wavefront6targetE1EEEvT1_
    .private_segment_fixed_size: 0
    .sgpr_count:     6
    .sgpr_spill_count: 0
    .symbol:         _ZN7rocprim17ROCPRIM_400000_NS6detail17trampoline_kernelINS0_14default_configENS1_25partition_config_selectorILNS1_17partition_subalgoE0EyNS0_10empty_typeEbEEZZNS1_14partition_implILS5_0ELb0ES3_jN6thrust23THRUST_200600_302600_NS6detail15normal_iteratorINSA_10device_ptrIyEEEEPS6_SG_NS0_5tupleIJSF_NSA_16discard_iteratorINSA_11use_defaultEEEEEENSH_IJSG_SG_EEES6_PlJ7is_evenIyEEEE10hipError_tPvRmT3_T4_T5_T6_T7_T9_mT8_P12ihipStream_tbDpT10_ENKUlT_T0_E_clISt17integral_constantIbLb0EES18_IbLb1EEEEDaS14_S15_EUlS14_E_NS1_11comp_targetILNS1_3genE3ELNS1_11target_archE908ELNS1_3gpuE7ELNS1_3repE0EEENS1_30default_config_static_selectorELNS0_4arch9wavefront6targetE1EEEvT1_.kd
    .uniform_work_group_size: 1
    .uses_dynamic_stack: false
    .vgpr_count:     0
    .vgpr_spill_count: 0
    .wavefront_size: 64
  - .agpr_count:     0
    .args:
      - .offset:         0
        .size:           144
        .value_kind:     by_value
    .group_segment_fixed_size: 0
    .kernarg_segment_align: 8
    .kernarg_segment_size: 144
    .language:       OpenCL C
    .language_version:
      - 2
      - 0
    .max_flat_workgroup_size: 256
    .name:           _ZN7rocprim17ROCPRIM_400000_NS6detail17trampoline_kernelINS0_14default_configENS1_25partition_config_selectorILNS1_17partition_subalgoE0EyNS0_10empty_typeEbEEZZNS1_14partition_implILS5_0ELb0ES3_jN6thrust23THRUST_200600_302600_NS6detail15normal_iteratorINSA_10device_ptrIyEEEEPS6_SG_NS0_5tupleIJSF_NSA_16discard_iteratorINSA_11use_defaultEEEEEENSH_IJSG_SG_EEES6_PlJ7is_evenIyEEEE10hipError_tPvRmT3_T4_T5_T6_T7_T9_mT8_P12ihipStream_tbDpT10_ENKUlT_T0_E_clISt17integral_constantIbLb0EES18_IbLb1EEEEDaS14_S15_EUlS14_E_NS1_11comp_targetILNS1_3genE2ELNS1_11target_archE906ELNS1_3gpuE6ELNS1_3repE0EEENS1_30default_config_static_selectorELNS0_4arch9wavefront6targetE1EEEvT1_
    .private_segment_fixed_size: 0
    .sgpr_count:     6
    .sgpr_spill_count: 0
    .symbol:         _ZN7rocprim17ROCPRIM_400000_NS6detail17trampoline_kernelINS0_14default_configENS1_25partition_config_selectorILNS1_17partition_subalgoE0EyNS0_10empty_typeEbEEZZNS1_14partition_implILS5_0ELb0ES3_jN6thrust23THRUST_200600_302600_NS6detail15normal_iteratorINSA_10device_ptrIyEEEEPS6_SG_NS0_5tupleIJSF_NSA_16discard_iteratorINSA_11use_defaultEEEEEENSH_IJSG_SG_EEES6_PlJ7is_evenIyEEEE10hipError_tPvRmT3_T4_T5_T6_T7_T9_mT8_P12ihipStream_tbDpT10_ENKUlT_T0_E_clISt17integral_constantIbLb0EES18_IbLb1EEEEDaS14_S15_EUlS14_E_NS1_11comp_targetILNS1_3genE2ELNS1_11target_archE906ELNS1_3gpuE6ELNS1_3repE0EEENS1_30default_config_static_selectorELNS0_4arch9wavefront6targetE1EEEvT1_.kd
    .uniform_work_group_size: 1
    .uses_dynamic_stack: false
    .vgpr_count:     0
    .vgpr_spill_count: 0
    .wavefront_size: 64
  - .agpr_count:     0
    .args:
      - .offset:         0
        .size:           144
        .value_kind:     by_value
    .group_segment_fixed_size: 0
    .kernarg_segment_align: 8
    .kernarg_segment_size: 144
    .language:       OpenCL C
    .language_version:
      - 2
      - 0
    .max_flat_workgroup_size: 512
    .name:           _ZN7rocprim17ROCPRIM_400000_NS6detail17trampoline_kernelINS0_14default_configENS1_25partition_config_selectorILNS1_17partition_subalgoE0EyNS0_10empty_typeEbEEZZNS1_14partition_implILS5_0ELb0ES3_jN6thrust23THRUST_200600_302600_NS6detail15normal_iteratorINSA_10device_ptrIyEEEEPS6_SG_NS0_5tupleIJSF_NSA_16discard_iteratorINSA_11use_defaultEEEEEENSH_IJSG_SG_EEES6_PlJ7is_evenIyEEEE10hipError_tPvRmT3_T4_T5_T6_T7_T9_mT8_P12ihipStream_tbDpT10_ENKUlT_T0_E_clISt17integral_constantIbLb0EES18_IbLb1EEEEDaS14_S15_EUlS14_E_NS1_11comp_targetILNS1_3genE10ELNS1_11target_archE1200ELNS1_3gpuE4ELNS1_3repE0EEENS1_30default_config_static_selectorELNS0_4arch9wavefront6targetE1EEEvT1_
    .private_segment_fixed_size: 0
    .sgpr_count:     6
    .sgpr_spill_count: 0
    .symbol:         _ZN7rocprim17ROCPRIM_400000_NS6detail17trampoline_kernelINS0_14default_configENS1_25partition_config_selectorILNS1_17partition_subalgoE0EyNS0_10empty_typeEbEEZZNS1_14partition_implILS5_0ELb0ES3_jN6thrust23THRUST_200600_302600_NS6detail15normal_iteratorINSA_10device_ptrIyEEEEPS6_SG_NS0_5tupleIJSF_NSA_16discard_iteratorINSA_11use_defaultEEEEEENSH_IJSG_SG_EEES6_PlJ7is_evenIyEEEE10hipError_tPvRmT3_T4_T5_T6_T7_T9_mT8_P12ihipStream_tbDpT10_ENKUlT_T0_E_clISt17integral_constantIbLb0EES18_IbLb1EEEEDaS14_S15_EUlS14_E_NS1_11comp_targetILNS1_3genE10ELNS1_11target_archE1200ELNS1_3gpuE4ELNS1_3repE0EEENS1_30default_config_static_selectorELNS0_4arch9wavefront6targetE1EEEvT1_.kd
    .uniform_work_group_size: 1
    .uses_dynamic_stack: false
    .vgpr_count:     0
    .vgpr_spill_count: 0
    .wavefront_size: 64
  - .agpr_count:     0
    .args:
      - .offset:         0
        .size:           144
        .value_kind:     by_value
    .group_segment_fixed_size: 0
    .kernarg_segment_align: 8
    .kernarg_segment_size: 144
    .language:       OpenCL C
    .language_version:
      - 2
      - 0
    .max_flat_workgroup_size: 512
    .name:           _ZN7rocprim17ROCPRIM_400000_NS6detail17trampoline_kernelINS0_14default_configENS1_25partition_config_selectorILNS1_17partition_subalgoE0EyNS0_10empty_typeEbEEZZNS1_14partition_implILS5_0ELb0ES3_jN6thrust23THRUST_200600_302600_NS6detail15normal_iteratorINSA_10device_ptrIyEEEEPS6_SG_NS0_5tupleIJSF_NSA_16discard_iteratorINSA_11use_defaultEEEEEENSH_IJSG_SG_EEES6_PlJ7is_evenIyEEEE10hipError_tPvRmT3_T4_T5_T6_T7_T9_mT8_P12ihipStream_tbDpT10_ENKUlT_T0_E_clISt17integral_constantIbLb0EES18_IbLb1EEEEDaS14_S15_EUlS14_E_NS1_11comp_targetILNS1_3genE9ELNS1_11target_archE1100ELNS1_3gpuE3ELNS1_3repE0EEENS1_30default_config_static_selectorELNS0_4arch9wavefront6targetE1EEEvT1_
    .private_segment_fixed_size: 0
    .sgpr_count:     6
    .sgpr_spill_count: 0
    .symbol:         _ZN7rocprim17ROCPRIM_400000_NS6detail17trampoline_kernelINS0_14default_configENS1_25partition_config_selectorILNS1_17partition_subalgoE0EyNS0_10empty_typeEbEEZZNS1_14partition_implILS5_0ELb0ES3_jN6thrust23THRUST_200600_302600_NS6detail15normal_iteratorINSA_10device_ptrIyEEEEPS6_SG_NS0_5tupleIJSF_NSA_16discard_iteratorINSA_11use_defaultEEEEEENSH_IJSG_SG_EEES6_PlJ7is_evenIyEEEE10hipError_tPvRmT3_T4_T5_T6_T7_T9_mT8_P12ihipStream_tbDpT10_ENKUlT_T0_E_clISt17integral_constantIbLb0EES18_IbLb1EEEEDaS14_S15_EUlS14_E_NS1_11comp_targetILNS1_3genE9ELNS1_11target_archE1100ELNS1_3gpuE3ELNS1_3repE0EEENS1_30default_config_static_selectorELNS0_4arch9wavefront6targetE1EEEvT1_.kd
    .uniform_work_group_size: 1
    .uses_dynamic_stack: false
    .vgpr_count:     0
    .vgpr_spill_count: 0
    .wavefront_size: 64
  - .agpr_count:     0
    .args:
      - .offset:         0
        .size:           144
        .value_kind:     by_value
    .group_segment_fixed_size: 0
    .kernarg_segment_align: 8
    .kernarg_segment_size: 144
    .language:       OpenCL C
    .language_version:
      - 2
      - 0
    .max_flat_workgroup_size: 512
    .name:           _ZN7rocprim17ROCPRIM_400000_NS6detail17trampoline_kernelINS0_14default_configENS1_25partition_config_selectorILNS1_17partition_subalgoE0EyNS0_10empty_typeEbEEZZNS1_14partition_implILS5_0ELb0ES3_jN6thrust23THRUST_200600_302600_NS6detail15normal_iteratorINSA_10device_ptrIyEEEEPS6_SG_NS0_5tupleIJSF_NSA_16discard_iteratorINSA_11use_defaultEEEEEENSH_IJSG_SG_EEES6_PlJ7is_evenIyEEEE10hipError_tPvRmT3_T4_T5_T6_T7_T9_mT8_P12ihipStream_tbDpT10_ENKUlT_T0_E_clISt17integral_constantIbLb0EES18_IbLb1EEEEDaS14_S15_EUlS14_E_NS1_11comp_targetILNS1_3genE8ELNS1_11target_archE1030ELNS1_3gpuE2ELNS1_3repE0EEENS1_30default_config_static_selectorELNS0_4arch9wavefront6targetE1EEEvT1_
    .private_segment_fixed_size: 0
    .sgpr_count:     6
    .sgpr_spill_count: 0
    .symbol:         _ZN7rocprim17ROCPRIM_400000_NS6detail17trampoline_kernelINS0_14default_configENS1_25partition_config_selectorILNS1_17partition_subalgoE0EyNS0_10empty_typeEbEEZZNS1_14partition_implILS5_0ELb0ES3_jN6thrust23THRUST_200600_302600_NS6detail15normal_iteratorINSA_10device_ptrIyEEEEPS6_SG_NS0_5tupleIJSF_NSA_16discard_iteratorINSA_11use_defaultEEEEEENSH_IJSG_SG_EEES6_PlJ7is_evenIyEEEE10hipError_tPvRmT3_T4_T5_T6_T7_T9_mT8_P12ihipStream_tbDpT10_ENKUlT_T0_E_clISt17integral_constantIbLb0EES18_IbLb1EEEEDaS14_S15_EUlS14_E_NS1_11comp_targetILNS1_3genE8ELNS1_11target_archE1030ELNS1_3gpuE2ELNS1_3repE0EEENS1_30default_config_static_selectorELNS0_4arch9wavefront6targetE1EEEvT1_.kd
    .uniform_work_group_size: 1
    .uses_dynamic_stack: false
    .vgpr_count:     0
    .vgpr_spill_count: 0
    .wavefront_size: 64
  - .agpr_count:     0
    .args:
      - .offset:         0
        .size:           128
        .value_kind:     by_value
    .group_segment_fixed_size: 0
    .kernarg_segment_align: 8
    .kernarg_segment_size: 128
    .language:       OpenCL C
    .language_version:
      - 2
      - 0
    .max_flat_workgroup_size: 128
    .name:           _ZN7rocprim17ROCPRIM_400000_NS6detail17trampoline_kernelINS0_14default_configENS1_25partition_config_selectorILNS1_17partition_subalgoE0EyNS0_10empty_typeEbEEZZNS1_14partition_implILS5_0ELb0ES3_jN6thrust23THRUST_200600_302600_NS6detail15normal_iteratorINSA_10device_ptrIyEEEEPS6_SG_NS0_5tupleIJNSA_16discard_iteratorINSA_11use_defaultEEESF_EEENSH_IJSG_SG_EEES6_PlJ7is_evenIyEEEE10hipError_tPvRmT3_T4_T5_T6_T7_T9_mT8_P12ihipStream_tbDpT10_ENKUlT_T0_E_clISt17integral_constantIbLb0EES19_EEDaS14_S15_EUlS14_E_NS1_11comp_targetILNS1_3genE0ELNS1_11target_archE4294967295ELNS1_3gpuE0ELNS1_3repE0EEENS1_30default_config_static_selectorELNS0_4arch9wavefront6targetE1EEEvT1_
    .private_segment_fixed_size: 0
    .sgpr_count:     6
    .sgpr_spill_count: 0
    .symbol:         _ZN7rocprim17ROCPRIM_400000_NS6detail17trampoline_kernelINS0_14default_configENS1_25partition_config_selectorILNS1_17partition_subalgoE0EyNS0_10empty_typeEbEEZZNS1_14partition_implILS5_0ELb0ES3_jN6thrust23THRUST_200600_302600_NS6detail15normal_iteratorINSA_10device_ptrIyEEEEPS6_SG_NS0_5tupleIJNSA_16discard_iteratorINSA_11use_defaultEEESF_EEENSH_IJSG_SG_EEES6_PlJ7is_evenIyEEEE10hipError_tPvRmT3_T4_T5_T6_T7_T9_mT8_P12ihipStream_tbDpT10_ENKUlT_T0_E_clISt17integral_constantIbLb0EES19_EEDaS14_S15_EUlS14_E_NS1_11comp_targetILNS1_3genE0ELNS1_11target_archE4294967295ELNS1_3gpuE0ELNS1_3repE0EEENS1_30default_config_static_selectorELNS0_4arch9wavefront6targetE1EEEvT1_.kd
    .uniform_work_group_size: 1
    .uses_dynamic_stack: false
    .vgpr_count:     0
    .vgpr_spill_count: 0
    .wavefront_size: 64
  - .agpr_count:     0
    .args:
      - .offset:         0
        .size:           128
        .value_kind:     by_value
    .group_segment_fixed_size: 28680
    .kernarg_segment_align: 8
    .kernarg_segment_size: 128
    .language:       OpenCL C
    .language_version:
      - 2
      - 0
    .max_flat_workgroup_size: 512
    .name:           _ZN7rocprim17ROCPRIM_400000_NS6detail17trampoline_kernelINS0_14default_configENS1_25partition_config_selectorILNS1_17partition_subalgoE0EyNS0_10empty_typeEbEEZZNS1_14partition_implILS5_0ELb0ES3_jN6thrust23THRUST_200600_302600_NS6detail15normal_iteratorINSA_10device_ptrIyEEEEPS6_SG_NS0_5tupleIJNSA_16discard_iteratorINSA_11use_defaultEEESF_EEENSH_IJSG_SG_EEES6_PlJ7is_evenIyEEEE10hipError_tPvRmT3_T4_T5_T6_T7_T9_mT8_P12ihipStream_tbDpT10_ENKUlT_T0_E_clISt17integral_constantIbLb0EES19_EEDaS14_S15_EUlS14_E_NS1_11comp_targetILNS1_3genE5ELNS1_11target_archE942ELNS1_3gpuE9ELNS1_3repE0EEENS1_30default_config_static_selectorELNS0_4arch9wavefront6targetE1EEEvT1_
    .private_segment_fixed_size: 0
    .sgpr_count:     50
    .sgpr_spill_count: 0
    .symbol:         _ZN7rocprim17ROCPRIM_400000_NS6detail17trampoline_kernelINS0_14default_configENS1_25partition_config_selectorILNS1_17partition_subalgoE0EyNS0_10empty_typeEbEEZZNS1_14partition_implILS5_0ELb0ES3_jN6thrust23THRUST_200600_302600_NS6detail15normal_iteratorINSA_10device_ptrIyEEEEPS6_SG_NS0_5tupleIJNSA_16discard_iteratorINSA_11use_defaultEEESF_EEENSH_IJSG_SG_EEES6_PlJ7is_evenIyEEEE10hipError_tPvRmT3_T4_T5_T6_T7_T9_mT8_P12ihipStream_tbDpT10_ENKUlT_T0_E_clISt17integral_constantIbLb0EES19_EEDaS14_S15_EUlS14_E_NS1_11comp_targetILNS1_3genE5ELNS1_11target_archE942ELNS1_3gpuE9ELNS1_3repE0EEENS1_30default_config_static_selectorELNS0_4arch9wavefront6targetE1EEEvT1_.kd
    .uniform_work_group_size: 1
    .uses_dynamic_stack: false
    .vgpr_count:     57
    .vgpr_spill_count: 0
    .wavefront_size: 64
  - .agpr_count:     0
    .args:
      - .offset:         0
        .size:           128
        .value_kind:     by_value
    .group_segment_fixed_size: 0
    .kernarg_segment_align: 8
    .kernarg_segment_size: 128
    .language:       OpenCL C
    .language_version:
      - 2
      - 0
    .max_flat_workgroup_size: 192
    .name:           _ZN7rocprim17ROCPRIM_400000_NS6detail17trampoline_kernelINS0_14default_configENS1_25partition_config_selectorILNS1_17partition_subalgoE0EyNS0_10empty_typeEbEEZZNS1_14partition_implILS5_0ELb0ES3_jN6thrust23THRUST_200600_302600_NS6detail15normal_iteratorINSA_10device_ptrIyEEEEPS6_SG_NS0_5tupleIJNSA_16discard_iteratorINSA_11use_defaultEEESF_EEENSH_IJSG_SG_EEES6_PlJ7is_evenIyEEEE10hipError_tPvRmT3_T4_T5_T6_T7_T9_mT8_P12ihipStream_tbDpT10_ENKUlT_T0_E_clISt17integral_constantIbLb0EES19_EEDaS14_S15_EUlS14_E_NS1_11comp_targetILNS1_3genE4ELNS1_11target_archE910ELNS1_3gpuE8ELNS1_3repE0EEENS1_30default_config_static_selectorELNS0_4arch9wavefront6targetE1EEEvT1_
    .private_segment_fixed_size: 0
    .sgpr_count:     6
    .sgpr_spill_count: 0
    .symbol:         _ZN7rocprim17ROCPRIM_400000_NS6detail17trampoline_kernelINS0_14default_configENS1_25partition_config_selectorILNS1_17partition_subalgoE0EyNS0_10empty_typeEbEEZZNS1_14partition_implILS5_0ELb0ES3_jN6thrust23THRUST_200600_302600_NS6detail15normal_iteratorINSA_10device_ptrIyEEEEPS6_SG_NS0_5tupleIJNSA_16discard_iteratorINSA_11use_defaultEEESF_EEENSH_IJSG_SG_EEES6_PlJ7is_evenIyEEEE10hipError_tPvRmT3_T4_T5_T6_T7_T9_mT8_P12ihipStream_tbDpT10_ENKUlT_T0_E_clISt17integral_constantIbLb0EES19_EEDaS14_S15_EUlS14_E_NS1_11comp_targetILNS1_3genE4ELNS1_11target_archE910ELNS1_3gpuE8ELNS1_3repE0EEENS1_30default_config_static_selectorELNS0_4arch9wavefront6targetE1EEEvT1_.kd
    .uniform_work_group_size: 1
    .uses_dynamic_stack: false
    .vgpr_count:     0
    .vgpr_spill_count: 0
    .wavefront_size: 64
  - .agpr_count:     0
    .args:
      - .offset:         0
        .size:           128
        .value_kind:     by_value
    .group_segment_fixed_size: 0
    .kernarg_segment_align: 8
    .kernarg_segment_size: 128
    .language:       OpenCL C
    .language_version:
      - 2
      - 0
    .max_flat_workgroup_size: 128
    .name:           _ZN7rocprim17ROCPRIM_400000_NS6detail17trampoline_kernelINS0_14default_configENS1_25partition_config_selectorILNS1_17partition_subalgoE0EyNS0_10empty_typeEbEEZZNS1_14partition_implILS5_0ELb0ES3_jN6thrust23THRUST_200600_302600_NS6detail15normal_iteratorINSA_10device_ptrIyEEEEPS6_SG_NS0_5tupleIJNSA_16discard_iteratorINSA_11use_defaultEEESF_EEENSH_IJSG_SG_EEES6_PlJ7is_evenIyEEEE10hipError_tPvRmT3_T4_T5_T6_T7_T9_mT8_P12ihipStream_tbDpT10_ENKUlT_T0_E_clISt17integral_constantIbLb0EES19_EEDaS14_S15_EUlS14_E_NS1_11comp_targetILNS1_3genE3ELNS1_11target_archE908ELNS1_3gpuE7ELNS1_3repE0EEENS1_30default_config_static_selectorELNS0_4arch9wavefront6targetE1EEEvT1_
    .private_segment_fixed_size: 0
    .sgpr_count:     6
    .sgpr_spill_count: 0
    .symbol:         _ZN7rocprim17ROCPRIM_400000_NS6detail17trampoline_kernelINS0_14default_configENS1_25partition_config_selectorILNS1_17partition_subalgoE0EyNS0_10empty_typeEbEEZZNS1_14partition_implILS5_0ELb0ES3_jN6thrust23THRUST_200600_302600_NS6detail15normal_iteratorINSA_10device_ptrIyEEEEPS6_SG_NS0_5tupleIJNSA_16discard_iteratorINSA_11use_defaultEEESF_EEENSH_IJSG_SG_EEES6_PlJ7is_evenIyEEEE10hipError_tPvRmT3_T4_T5_T6_T7_T9_mT8_P12ihipStream_tbDpT10_ENKUlT_T0_E_clISt17integral_constantIbLb0EES19_EEDaS14_S15_EUlS14_E_NS1_11comp_targetILNS1_3genE3ELNS1_11target_archE908ELNS1_3gpuE7ELNS1_3repE0EEENS1_30default_config_static_selectorELNS0_4arch9wavefront6targetE1EEEvT1_.kd
    .uniform_work_group_size: 1
    .uses_dynamic_stack: false
    .vgpr_count:     0
    .vgpr_spill_count: 0
    .wavefront_size: 64
  - .agpr_count:     0
    .args:
      - .offset:         0
        .size:           128
        .value_kind:     by_value
    .group_segment_fixed_size: 0
    .kernarg_segment_align: 8
    .kernarg_segment_size: 128
    .language:       OpenCL C
    .language_version:
      - 2
      - 0
    .max_flat_workgroup_size: 256
    .name:           _ZN7rocprim17ROCPRIM_400000_NS6detail17trampoline_kernelINS0_14default_configENS1_25partition_config_selectorILNS1_17partition_subalgoE0EyNS0_10empty_typeEbEEZZNS1_14partition_implILS5_0ELb0ES3_jN6thrust23THRUST_200600_302600_NS6detail15normal_iteratorINSA_10device_ptrIyEEEEPS6_SG_NS0_5tupleIJNSA_16discard_iteratorINSA_11use_defaultEEESF_EEENSH_IJSG_SG_EEES6_PlJ7is_evenIyEEEE10hipError_tPvRmT3_T4_T5_T6_T7_T9_mT8_P12ihipStream_tbDpT10_ENKUlT_T0_E_clISt17integral_constantIbLb0EES19_EEDaS14_S15_EUlS14_E_NS1_11comp_targetILNS1_3genE2ELNS1_11target_archE906ELNS1_3gpuE6ELNS1_3repE0EEENS1_30default_config_static_selectorELNS0_4arch9wavefront6targetE1EEEvT1_
    .private_segment_fixed_size: 0
    .sgpr_count:     6
    .sgpr_spill_count: 0
    .symbol:         _ZN7rocprim17ROCPRIM_400000_NS6detail17trampoline_kernelINS0_14default_configENS1_25partition_config_selectorILNS1_17partition_subalgoE0EyNS0_10empty_typeEbEEZZNS1_14partition_implILS5_0ELb0ES3_jN6thrust23THRUST_200600_302600_NS6detail15normal_iteratorINSA_10device_ptrIyEEEEPS6_SG_NS0_5tupleIJNSA_16discard_iteratorINSA_11use_defaultEEESF_EEENSH_IJSG_SG_EEES6_PlJ7is_evenIyEEEE10hipError_tPvRmT3_T4_T5_T6_T7_T9_mT8_P12ihipStream_tbDpT10_ENKUlT_T0_E_clISt17integral_constantIbLb0EES19_EEDaS14_S15_EUlS14_E_NS1_11comp_targetILNS1_3genE2ELNS1_11target_archE906ELNS1_3gpuE6ELNS1_3repE0EEENS1_30default_config_static_selectorELNS0_4arch9wavefront6targetE1EEEvT1_.kd
    .uniform_work_group_size: 1
    .uses_dynamic_stack: false
    .vgpr_count:     0
    .vgpr_spill_count: 0
    .wavefront_size: 64
  - .agpr_count:     0
    .args:
      - .offset:         0
        .size:           128
        .value_kind:     by_value
    .group_segment_fixed_size: 0
    .kernarg_segment_align: 8
    .kernarg_segment_size: 128
    .language:       OpenCL C
    .language_version:
      - 2
      - 0
    .max_flat_workgroup_size: 512
    .name:           _ZN7rocprim17ROCPRIM_400000_NS6detail17trampoline_kernelINS0_14default_configENS1_25partition_config_selectorILNS1_17partition_subalgoE0EyNS0_10empty_typeEbEEZZNS1_14partition_implILS5_0ELb0ES3_jN6thrust23THRUST_200600_302600_NS6detail15normal_iteratorINSA_10device_ptrIyEEEEPS6_SG_NS0_5tupleIJNSA_16discard_iteratorINSA_11use_defaultEEESF_EEENSH_IJSG_SG_EEES6_PlJ7is_evenIyEEEE10hipError_tPvRmT3_T4_T5_T6_T7_T9_mT8_P12ihipStream_tbDpT10_ENKUlT_T0_E_clISt17integral_constantIbLb0EES19_EEDaS14_S15_EUlS14_E_NS1_11comp_targetILNS1_3genE10ELNS1_11target_archE1200ELNS1_3gpuE4ELNS1_3repE0EEENS1_30default_config_static_selectorELNS0_4arch9wavefront6targetE1EEEvT1_
    .private_segment_fixed_size: 0
    .sgpr_count:     6
    .sgpr_spill_count: 0
    .symbol:         _ZN7rocprim17ROCPRIM_400000_NS6detail17trampoline_kernelINS0_14default_configENS1_25partition_config_selectorILNS1_17partition_subalgoE0EyNS0_10empty_typeEbEEZZNS1_14partition_implILS5_0ELb0ES3_jN6thrust23THRUST_200600_302600_NS6detail15normal_iteratorINSA_10device_ptrIyEEEEPS6_SG_NS0_5tupleIJNSA_16discard_iteratorINSA_11use_defaultEEESF_EEENSH_IJSG_SG_EEES6_PlJ7is_evenIyEEEE10hipError_tPvRmT3_T4_T5_T6_T7_T9_mT8_P12ihipStream_tbDpT10_ENKUlT_T0_E_clISt17integral_constantIbLb0EES19_EEDaS14_S15_EUlS14_E_NS1_11comp_targetILNS1_3genE10ELNS1_11target_archE1200ELNS1_3gpuE4ELNS1_3repE0EEENS1_30default_config_static_selectorELNS0_4arch9wavefront6targetE1EEEvT1_.kd
    .uniform_work_group_size: 1
    .uses_dynamic_stack: false
    .vgpr_count:     0
    .vgpr_spill_count: 0
    .wavefront_size: 64
  - .agpr_count:     0
    .args:
      - .offset:         0
        .size:           128
        .value_kind:     by_value
    .group_segment_fixed_size: 0
    .kernarg_segment_align: 8
    .kernarg_segment_size: 128
    .language:       OpenCL C
    .language_version:
      - 2
      - 0
    .max_flat_workgroup_size: 512
    .name:           _ZN7rocprim17ROCPRIM_400000_NS6detail17trampoline_kernelINS0_14default_configENS1_25partition_config_selectorILNS1_17partition_subalgoE0EyNS0_10empty_typeEbEEZZNS1_14partition_implILS5_0ELb0ES3_jN6thrust23THRUST_200600_302600_NS6detail15normal_iteratorINSA_10device_ptrIyEEEEPS6_SG_NS0_5tupleIJNSA_16discard_iteratorINSA_11use_defaultEEESF_EEENSH_IJSG_SG_EEES6_PlJ7is_evenIyEEEE10hipError_tPvRmT3_T4_T5_T6_T7_T9_mT8_P12ihipStream_tbDpT10_ENKUlT_T0_E_clISt17integral_constantIbLb0EES19_EEDaS14_S15_EUlS14_E_NS1_11comp_targetILNS1_3genE9ELNS1_11target_archE1100ELNS1_3gpuE3ELNS1_3repE0EEENS1_30default_config_static_selectorELNS0_4arch9wavefront6targetE1EEEvT1_
    .private_segment_fixed_size: 0
    .sgpr_count:     6
    .sgpr_spill_count: 0
    .symbol:         _ZN7rocprim17ROCPRIM_400000_NS6detail17trampoline_kernelINS0_14default_configENS1_25partition_config_selectorILNS1_17partition_subalgoE0EyNS0_10empty_typeEbEEZZNS1_14partition_implILS5_0ELb0ES3_jN6thrust23THRUST_200600_302600_NS6detail15normal_iteratorINSA_10device_ptrIyEEEEPS6_SG_NS0_5tupleIJNSA_16discard_iteratorINSA_11use_defaultEEESF_EEENSH_IJSG_SG_EEES6_PlJ7is_evenIyEEEE10hipError_tPvRmT3_T4_T5_T6_T7_T9_mT8_P12ihipStream_tbDpT10_ENKUlT_T0_E_clISt17integral_constantIbLb0EES19_EEDaS14_S15_EUlS14_E_NS1_11comp_targetILNS1_3genE9ELNS1_11target_archE1100ELNS1_3gpuE3ELNS1_3repE0EEENS1_30default_config_static_selectorELNS0_4arch9wavefront6targetE1EEEvT1_.kd
    .uniform_work_group_size: 1
    .uses_dynamic_stack: false
    .vgpr_count:     0
    .vgpr_spill_count: 0
    .wavefront_size: 64
  - .agpr_count:     0
    .args:
      - .offset:         0
        .size:           128
        .value_kind:     by_value
    .group_segment_fixed_size: 0
    .kernarg_segment_align: 8
    .kernarg_segment_size: 128
    .language:       OpenCL C
    .language_version:
      - 2
      - 0
    .max_flat_workgroup_size: 512
    .name:           _ZN7rocprim17ROCPRIM_400000_NS6detail17trampoline_kernelINS0_14default_configENS1_25partition_config_selectorILNS1_17partition_subalgoE0EyNS0_10empty_typeEbEEZZNS1_14partition_implILS5_0ELb0ES3_jN6thrust23THRUST_200600_302600_NS6detail15normal_iteratorINSA_10device_ptrIyEEEEPS6_SG_NS0_5tupleIJNSA_16discard_iteratorINSA_11use_defaultEEESF_EEENSH_IJSG_SG_EEES6_PlJ7is_evenIyEEEE10hipError_tPvRmT3_T4_T5_T6_T7_T9_mT8_P12ihipStream_tbDpT10_ENKUlT_T0_E_clISt17integral_constantIbLb0EES19_EEDaS14_S15_EUlS14_E_NS1_11comp_targetILNS1_3genE8ELNS1_11target_archE1030ELNS1_3gpuE2ELNS1_3repE0EEENS1_30default_config_static_selectorELNS0_4arch9wavefront6targetE1EEEvT1_
    .private_segment_fixed_size: 0
    .sgpr_count:     6
    .sgpr_spill_count: 0
    .symbol:         _ZN7rocprim17ROCPRIM_400000_NS6detail17trampoline_kernelINS0_14default_configENS1_25partition_config_selectorILNS1_17partition_subalgoE0EyNS0_10empty_typeEbEEZZNS1_14partition_implILS5_0ELb0ES3_jN6thrust23THRUST_200600_302600_NS6detail15normal_iteratorINSA_10device_ptrIyEEEEPS6_SG_NS0_5tupleIJNSA_16discard_iteratorINSA_11use_defaultEEESF_EEENSH_IJSG_SG_EEES6_PlJ7is_evenIyEEEE10hipError_tPvRmT3_T4_T5_T6_T7_T9_mT8_P12ihipStream_tbDpT10_ENKUlT_T0_E_clISt17integral_constantIbLb0EES19_EEDaS14_S15_EUlS14_E_NS1_11comp_targetILNS1_3genE8ELNS1_11target_archE1030ELNS1_3gpuE2ELNS1_3repE0EEENS1_30default_config_static_selectorELNS0_4arch9wavefront6targetE1EEEvT1_.kd
    .uniform_work_group_size: 1
    .uses_dynamic_stack: false
    .vgpr_count:     0
    .vgpr_spill_count: 0
    .wavefront_size: 64
  - .agpr_count:     0
    .args:
      - .offset:         0
        .size:           144
        .value_kind:     by_value
    .group_segment_fixed_size: 0
    .kernarg_segment_align: 8
    .kernarg_segment_size: 144
    .language:       OpenCL C
    .language_version:
      - 2
      - 0
    .max_flat_workgroup_size: 128
    .name:           _ZN7rocprim17ROCPRIM_400000_NS6detail17trampoline_kernelINS0_14default_configENS1_25partition_config_selectorILNS1_17partition_subalgoE0EyNS0_10empty_typeEbEEZZNS1_14partition_implILS5_0ELb0ES3_jN6thrust23THRUST_200600_302600_NS6detail15normal_iteratorINSA_10device_ptrIyEEEEPS6_SG_NS0_5tupleIJNSA_16discard_iteratorINSA_11use_defaultEEESF_EEENSH_IJSG_SG_EEES6_PlJ7is_evenIyEEEE10hipError_tPvRmT3_T4_T5_T6_T7_T9_mT8_P12ihipStream_tbDpT10_ENKUlT_T0_E_clISt17integral_constantIbLb1EES19_EEDaS14_S15_EUlS14_E_NS1_11comp_targetILNS1_3genE0ELNS1_11target_archE4294967295ELNS1_3gpuE0ELNS1_3repE0EEENS1_30default_config_static_selectorELNS0_4arch9wavefront6targetE1EEEvT1_
    .private_segment_fixed_size: 0
    .sgpr_count:     6
    .sgpr_spill_count: 0
    .symbol:         _ZN7rocprim17ROCPRIM_400000_NS6detail17trampoline_kernelINS0_14default_configENS1_25partition_config_selectorILNS1_17partition_subalgoE0EyNS0_10empty_typeEbEEZZNS1_14partition_implILS5_0ELb0ES3_jN6thrust23THRUST_200600_302600_NS6detail15normal_iteratorINSA_10device_ptrIyEEEEPS6_SG_NS0_5tupleIJNSA_16discard_iteratorINSA_11use_defaultEEESF_EEENSH_IJSG_SG_EEES6_PlJ7is_evenIyEEEE10hipError_tPvRmT3_T4_T5_T6_T7_T9_mT8_P12ihipStream_tbDpT10_ENKUlT_T0_E_clISt17integral_constantIbLb1EES19_EEDaS14_S15_EUlS14_E_NS1_11comp_targetILNS1_3genE0ELNS1_11target_archE4294967295ELNS1_3gpuE0ELNS1_3repE0EEENS1_30default_config_static_selectorELNS0_4arch9wavefront6targetE1EEEvT1_.kd
    .uniform_work_group_size: 1
    .uses_dynamic_stack: false
    .vgpr_count:     0
    .vgpr_spill_count: 0
    .wavefront_size: 64
  - .agpr_count:     0
    .args:
      - .offset:         0
        .size:           144
        .value_kind:     by_value
    .group_segment_fixed_size: 28680
    .kernarg_segment_align: 8
    .kernarg_segment_size: 144
    .language:       OpenCL C
    .language_version:
      - 2
      - 0
    .max_flat_workgroup_size: 512
    .name:           _ZN7rocprim17ROCPRIM_400000_NS6detail17trampoline_kernelINS0_14default_configENS1_25partition_config_selectorILNS1_17partition_subalgoE0EyNS0_10empty_typeEbEEZZNS1_14partition_implILS5_0ELb0ES3_jN6thrust23THRUST_200600_302600_NS6detail15normal_iteratorINSA_10device_ptrIyEEEEPS6_SG_NS0_5tupleIJNSA_16discard_iteratorINSA_11use_defaultEEESF_EEENSH_IJSG_SG_EEES6_PlJ7is_evenIyEEEE10hipError_tPvRmT3_T4_T5_T6_T7_T9_mT8_P12ihipStream_tbDpT10_ENKUlT_T0_E_clISt17integral_constantIbLb1EES19_EEDaS14_S15_EUlS14_E_NS1_11comp_targetILNS1_3genE5ELNS1_11target_archE942ELNS1_3gpuE9ELNS1_3repE0EEENS1_30default_config_static_selectorELNS0_4arch9wavefront6targetE1EEEvT1_
    .private_segment_fixed_size: 0
    .sgpr_count:     48
    .sgpr_spill_count: 0
    .symbol:         _ZN7rocprim17ROCPRIM_400000_NS6detail17trampoline_kernelINS0_14default_configENS1_25partition_config_selectorILNS1_17partition_subalgoE0EyNS0_10empty_typeEbEEZZNS1_14partition_implILS5_0ELb0ES3_jN6thrust23THRUST_200600_302600_NS6detail15normal_iteratorINSA_10device_ptrIyEEEEPS6_SG_NS0_5tupleIJNSA_16discard_iteratorINSA_11use_defaultEEESF_EEENSH_IJSG_SG_EEES6_PlJ7is_evenIyEEEE10hipError_tPvRmT3_T4_T5_T6_T7_T9_mT8_P12ihipStream_tbDpT10_ENKUlT_T0_E_clISt17integral_constantIbLb1EES19_EEDaS14_S15_EUlS14_E_NS1_11comp_targetILNS1_3genE5ELNS1_11target_archE942ELNS1_3gpuE9ELNS1_3repE0EEENS1_30default_config_static_selectorELNS0_4arch9wavefront6targetE1EEEvT1_.kd
    .uniform_work_group_size: 1
    .uses_dynamic_stack: false
    .vgpr_count:     61
    .vgpr_spill_count: 0
    .wavefront_size: 64
  - .agpr_count:     0
    .args:
      - .offset:         0
        .size:           144
        .value_kind:     by_value
    .group_segment_fixed_size: 0
    .kernarg_segment_align: 8
    .kernarg_segment_size: 144
    .language:       OpenCL C
    .language_version:
      - 2
      - 0
    .max_flat_workgroup_size: 192
    .name:           _ZN7rocprim17ROCPRIM_400000_NS6detail17trampoline_kernelINS0_14default_configENS1_25partition_config_selectorILNS1_17partition_subalgoE0EyNS0_10empty_typeEbEEZZNS1_14partition_implILS5_0ELb0ES3_jN6thrust23THRUST_200600_302600_NS6detail15normal_iteratorINSA_10device_ptrIyEEEEPS6_SG_NS0_5tupleIJNSA_16discard_iteratorINSA_11use_defaultEEESF_EEENSH_IJSG_SG_EEES6_PlJ7is_evenIyEEEE10hipError_tPvRmT3_T4_T5_T6_T7_T9_mT8_P12ihipStream_tbDpT10_ENKUlT_T0_E_clISt17integral_constantIbLb1EES19_EEDaS14_S15_EUlS14_E_NS1_11comp_targetILNS1_3genE4ELNS1_11target_archE910ELNS1_3gpuE8ELNS1_3repE0EEENS1_30default_config_static_selectorELNS0_4arch9wavefront6targetE1EEEvT1_
    .private_segment_fixed_size: 0
    .sgpr_count:     6
    .sgpr_spill_count: 0
    .symbol:         _ZN7rocprim17ROCPRIM_400000_NS6detail17trampoline_kernelINS0_14default_configENS1_25partition_config_selectorILNS1_17partition_subalgoE0EyNS0_10empty_typeEbEEZZNS1_14partition_implILS5_0ELb0ES3_jN6thrust23THRUST_200600_302600_NS6detail15normal_iteratorINSA_10device_ptrIyEEEEPS6_SG_NS0_5tupleIJNSA_16discard_iteratorINSA_11use_defaultEEESF_EEENSH_IJSG_SG_EEES6_PlJ7is_evenIyEEEE10hipError_tPvRmT3_T4_T5_T6_T7_T9_mT8_P12ihipStream_tbDpT10_ENKUlT_T0_E_clISt17integral_constantIbLb1EES19_EEDaS14_S15_EUlS14_E_NS1_11comp_targetILNS1_3genE4ELNS1_11target_archE910ELNS1_3gpuE8ELNS1_3repE0EEENS1_30default_config_static_selectorELNS0_4arch9wavefront6targetE1EEEvT1_.kd
    .uniform_work_group_size: 1
    .uses_dynamic_stack: false
    .vgpr_count:     0
    .vgpr_spill_count: 0
    .wavefront_size: 64
  - .agpr_count:     0
    .args:
      - .offset:         0
        .size:           144
        .value_kind:     by_value
    .group_segment_fixed_size: 0
    .kernarg_segment_align: 8
    .kernarg_segment_size: 144
    .language:       OpenCL C
    .language_version:
      - 2
      - 0
    .max_flat_workgroup_size: 128
    .name:           _ZN7rocprim17ROCPRIM_400000_NS6detail17trampoline_kernelINS0_14default_configENS1_25partition_config_selectorILNS1_17partition_subalgoE0EyNS0_10empty_typeEbEEZZNS1_14partition_implILS5_0ELb0ES3_jN6thrust23THRUST_200600_302600_NS6detail15normal_iteratorINSA_10device_ptrIyEEEEPS6_SG_NS0_5tupleIJNSA_16discard_iteratorINSA_11use_defaultEEESF_EEENSH_IJSG_SG_EEES6_PlJ7is_evenIyEEEE10hipError_tPvRmT3_T4_T5_T6_T7_T9_mT8_P12ihipStream_tbDpT10_ENKUlT_T0_E_clISt17integral_constantIbLb1EES19_EEDaS14_S15_EUlS14_E_NS1_11comp_targetILNS1_3genE3ELNS1_11target_archE908ELNS1_3gpuE7ELNS1_3repE0EEENS1_30default_config_static_selectorELNS0_4arch9wavefront6targetE1EEEvT1_
    .private_segment_fixed_size: 0
    .sgpr_count:     6
    .sgpr_spill_count: 0
    .symbol:         _ZN7rocprim17ROCPRIM_400000_NS6detail17trampoline_kernelINS0_14default_configENS1_25partition_config_selectorILNS1_17partition_subalgoE0EyNS0_10empty_typeEbEEZZNS1_14partition_implILS5_0ELb0ES3_jN6thrust23THRUST_200600_302600_NS6detail15normal_iteratorINSA_10device_ptrIyEEEEPS6_SG_NS0_5tupleIJNSA_16discard_iteratorINSA_11use_defaultEEESF_EEENSH_IJSG_SG_EEES6_PlJ7is_evenIyEEEE10hipError_tPvRmT3_T4_T5_T6_T7_T9_mT8_P12ihipStream_tbDpT10_ENKUlT_T0_E_clISt17integral_constantIbLb1EES19_EEDaS14_S15_EUlS14_E_NS1_11comp_targetILNS1_3genE3ELNS1_11target_archE908ELNS1_3gpuE7ELNS1_3repE0EEENS1_30default_config_static_selectorELNS0_4arch9wavefront6targetE1EEEvT1_.kd
    .uniform_work_group_size: 1
    .uses_dynamic_stack: false
    .vgpr_count:     0
    .vgpr_spill_count: 0
    .wavefront_size: 64
  - .agpr_count:     0
    .args:
      - .offset:         0
        .size:           144
        .value_kind:     by_value
    .group_segment_fixed_size: 0
    .kernarg_segment_align: 8
    .kernarg_segment_size: 144
    .language:       OpenCL C
    .language_version:
      - 2
      - 0
    .max_flat_workgroup_size: 256
    .name:           _ZN7rocprim17ROCPRIM_400000_NS6detail17trampoline_kernelINS0_14default_configENS1_25partition_config_selectorILNS1_17partition_subalgoE0EyNS0_10empty_typeEbEEZZNS1_14partition_implILS5_0ELb0ES3_jN6thrust23THRUST_200600_302600_NS6detail15normal_iteratorINSA_10device_ptrIyEEEEPS6_SG_NS0_5tupleIJNSA_16discard_iteratorINSA_11use_defaultEEESF_EEENSH_IJSG_SG_EEES6_PlJ7is_evenIyEEEE10hipError_tPvRmT3_T4_T5_T6_T7_T9_mT8_P12ihipStream_tbDpT10_ENKUlT_T0_E_clISt17integral_constantIbLb1EES19_EEDaS14_S15_EUlS14_E_NS1_11comp_targetILNS1_3genE2ELNS1_11target_archE906ELNS1_3gpuE6ELNS1_3repE0EEENS1_30default_config_static_selectorELNS0_4arch9wavefront6targetE1EEEvT1_
    .private_segment_fixed_size: 0
    .sgpr_count:     6
    .sgpr_spill_count: 0
    .symbol:         _ZN7rocprim17ROCPRIM_400000_NS6detail17trampoline_kernelINS0_14default_configENS1_25partition_config_selectorILNS1_17partition_subalgoE0EyNS0_10empty_typeEbEEZZNS1_14partition_implILS5_0ELb0ES3_jN6thrust23THRUST_200600_302600_NS6detail15normal_iteratorINSA_10device_ptrIyEEEEPS6_SG_NS0_5tupleIJNSA_16discard_iteratorINSA_11use_defaultEEESF_EEENSH_IJSG_SG_EEES6_PlJ7is_evenIyEEEE10hipError_tPvRmT3_T4_T5_T6_T7_T9_mT8_P12ihipStream_tbDpT10_ENKUlT_T0_E_clISt17integral_constantIbLb1EES19_EEDaS14_S15_EUlS14_E_NS1_11comp_targetILNS1_3genE2ELNS1_11target_archE906ELNS1_3gpuE6ELNS1_3repE0EEENS1_30default_config_static_selectorELNS0_4arch9wavefront6targetE1EEEvT1_.kd
    .uniform_work_group_size: 1
    .uses_dynamic_stack: false
    .vgpr_count:     0
    .vgpr_spill_count: 0
    .wavefront_size: 64
  - .agpr_count:     0
    .args:
      - .offset:         0
        .size:           144
        .value_kind:     by_value
    .group_segment_fixed_size: 0
    .kernarg_segment_align: 8
    .kernarg_segment_size: 144
    .language:       OpenCL C
    .language_version:
      - 2
      - 0
    .max_flat_workgroup_size: 512
    .name:           _ZN7rocprim17ROCPRIM_400000_NS6detail17trampoline_kernelINS0_14default_configENS1_25partition_config_selectorILNS1_17partition_subalgoE0EyNS0_10empty_typeEbEEZZNS1_14partition_implILS5_0ELb0ES3_jN6thrust23THRUST_200600_302600_NS6detail15normal_iteratorINSA_10device_ptrIyEEEEPS6_SG_NS0_5tupleIJNSA_16discard_iteratorINSA_11use_defaultEEESF_EEENSH_IJSG_SG_EEES6_PlJ7is_evenIyEEEE10hipError_tPvRmT3_T4_T5_T6_T7_T9_mT8_P12ihipStream_tbDpT10_ENKUlT_T0_E_clISt17integral_constantIbLb1EES19_EEDaS14_S15_EUlS14_E_NS1_11comp_targetILNS1_3genE10ELNS1_11target_archE1200ELNS1_3gpuE4ELNS1_3repE0EEENS1_30default_config_static_selectorELNS0_4arch9wavefront6targetE1EEEvT1_
    .private_segment_fixed_size: 0
    .sgpr_count:     6
    .sgpr_spill_count: 0
    .symbol:         _ZN7rocprim17ROCPRIM_400000_NS6detail17trampoline_kernelINS0_14default_configENS1_25partition_config_selectorILNS1_17partition_subalgoE0EyNS0_10empty_typeEbEEZZNS1_14partition_implILS5_0ELb0ES3_jN6thrust23THRUST_200600_302600_NS6detail15normal_iteratorINSA_10device_ptrIyEEEEPS6_SG_NS0_5tupleIJNSA_16discard_iteratorINSA_11use_defaultEEESF_EEENSH_IJSG_SG_EEES6_PlJ7is_evenIyEEEE10hipError_tPvRmT3_T4_T5_T6_T7_T9_mT8_P12ihipStream_tbDpT10_ENKUlT_T0_E_clISt17integral_constantIbLb1EES19_EEDaS14_S15_EUlS14_E_NS1_11comp_targetILNS1_3genE10ELNS1_11target_archE1200ELNS1_3gpuE4ELNS1_3repE0EEENS1_30default_config_static_selectorELNS0_4arch9wavefront6targetE1EEEvT1_.kd
    .uniform_work_group_size: 1
    .uses_dynamic_stack: false
    .vgpr_count:     0
    .vgpr_spill_count: 0
    .wavefront_size: 64
  - .agpr_count:     0
    .args:
      - .offset:         0
        .size:           144
        .value_kind:     by_value
    .group_segment_fixed_size: 0
    .kernarg_segment_align: 8
    .kernarg_segment_size: 144
    .language:       OpenCL C
    .language_version:
      - 2
      - 0
    .max_flat_workgroup_size: 512
    .name:           _ZN7rocprim17ROCPRIM_400000_NS6detail17trampoline_kernelINS0_14default_configENS1_25partition_config_selectorILNS1_17partition_subalgoE0EyNS0_10empty_typeEbEEZZNS1_14partition_implILS5_0ELb0ES3_jN6thrust23THRUST_200600_302600_NS6detail15normal_iteratorINSA_10device_ptrIyEEEEPS6_SG_NS0_5tupleIJNSA_16discard_iteratorINSA_11use_defaultEEESF_EEENSH_IJSG_SG_EEES6_PlJ7is_evenIyEEEE10hipError_tPvRmT3_T4_T5_T6_T7_T9_mT8_P12ihipStream_tbDpT10_ENKUlT_T0_E_clISt17integral_constantIbLb1EES19_EEDaS14_S15_EUlS14_E_NS1_11comp_targetILNS1_3genE9ELNS1_11target_archE1100ELNS1_3gpuE3ELNS1_3repE0EEENS1_30default_config_static_selectorELNS0_4arch9wavefront6targetE1EEEvT1_
    .private_segment_fixed_size: 0
    .sgpr_count:     6
    .sgpr_spill_count: 0
    .symbol:         _ZN7rocprim17ROCPRIM_400000_NS6detail17trampoline_kernelINS0_14default_configENS1_25partition_config_selectorILNS1_17partition_subalgoE0EyNS0_10empty_typeEbEEZZNS1_14partition_implILS5_0ELb0ES3_jN6thrust23THRUST_200600_302600_NS6detail15normal_iteratorINSA_10device_ptrIyEEEEPS6_SG_NS0_5tupleIJNSA_16discard_iteratorINSA_11use_defaultEEESF_EEENSH_IJSG_SG_EEES6_PlJ7is_evenIyEEEE10hipError_tPvRmT3_T4_T5_T6_T7_T9_mT8_P12ihipStream_tbDpT10_ENKUlT_T0_E_clISt17integral_constantIbLb1EES19_EEDaS14_S15_EUlS14_E_NS1_11comp_targetILNS1_3genE9ELNS1_11target_archE1100ELNS1_3gpuE3ELNS1_3repE0EEENS1_30default_config_static_selectorELNS0_4arch9wavefront6targetE1EEEvT1_.kd
    .uniform_work_group_size: 1
    .uses_dynamic_stack: false
    .vgpr_count:     0
    .vgpr_spill_count: 0
    .wavefront_size: 64
  - .agpr_count:     0
    .args:
      - .offset:         0
        .size:           144
        .value_kind:     by_value
    .group_segment_fixed_size: 0
    .kernarg_segment_align: 8
    .kernarg_segment_size: 144
    .language:       OpenCL C
    .language_version:
      - 2
      - 0
    .max_flat_workgroup_size: 512
    .name:           _ZN7rocprim17ROCPRIM_400000_NS6detail17trampoline_kernelINS0_14default_configENS1_25partition_config_selectorILNS1_17partition_subalgoE0EyNS0_10empty_typeEbEEZZNS1_14partition_implILS5_0ELb0ES3_jN6thrust23THRUST_200600_302600_NS6detail15normal_iteratorINSA_10device_ptrIyEEEEPS6_SG_NS0_5tupleIJNSA_16discard_iteratorINSA_11use_defaultEEESF_EEENSH_IJSG_SG_EEES6_PlJ7is_evenIyEEEE10hipError_tPvRmT3_T4_T5_T6_T7_T9_mT8_P12ihipStream_tbDpT10_ENKUlT_T0_E_clISt17integral_constantIbLb1EES19_EEDaS14_S15_EUlS14_E_NS1_11comp_targetILNS1_3genE8ELNS1_11target_archE1030ELNS1_3gpuE2ELNS1_3repE0EEENS1_30default_config_static_selectorELNS0_4arch9wavefront6targetE1EEEvT1_
    .private_segment_fixed_size: 0
    .sgpr_count:     6
    .sgpr_spill_count: 0
    .symbol:         _ZN7rocprim17ROCPRIM_400000_NS6detail17trampoline_kernelINS0_14default_configENS1_25partition_config_selectorILNS1_17partition_subalgoE0EyNS0_10empty_typeEbEEZZNS1_14partition_implILS5_0ELb0ES3_jN6thrust23THRUST_200600_302600_NS6detail15normal_iteratorINSA_10device_ptrIyEEEEPS6_SG_NS0_5tupleIJNSA_16discard_iteratorINSA_11use_defaultEEESF_EEENSH_IJSG_SG_EEES6_PlJ7is_evenIyEEEE10hipError_tPvRmT3_T4_T5_T6_T7_T9_mT8_P12ihipStream_tbDpT10_ENKUlT_T0_E_clISt17integral_constantIbLb1EES19_EEDaS14_S15_EUlS14_E_NS1_11comp_targetILNS1_3genE8ELNS1_11target_archE1030ELNS1_3gpuE2ELNS1_3repE0EEENS1_30default_config_static_selectorELNS0_4arch9wavefront6targetE1EEEvT1_.kd
    .uniform_work_group_size: 1
    .uses_dynamic_stack: false
    .vgpr_count:     0
    .vgpr_spill_count: 0
    .wavefront_size: 64
  - .agpr_count:     0
    .args:
      - .offset:         0
        .size:           128
        .value_kind:     by_value
    .group_segment_fixed_size: 0
    .kernarg_segment_align: 8
    .kernarg_segment_size: 128
    .language:       OpenCL C
    .language_version:
      - 2
      - 0
    .max_flat_workgroup_size: 128
    .name:           _ZN7rocprim17ROCPRIM_400000_NS6detail17trampoline_kernelINS0_14default_configENS1_25partition_config_selectorILNS1_17partition_subalgoE0EyNS0_10empty_typeEbEEZZNS1_14partition_implILS5_0ELb0ES3_jN6thrust23THRUST_200600_302600_NS6detail15normal_iteratorINSA_10device_ptrIyEEEEPS6_SG_NS0_5tupleIJNSA_16discard_iteratorINSA_11use_defaultEEESF_EEENSH_IJSG_SG_EEES6_PlJ7is_evenIyEEEE10hipError_tPvRmT3_T4_T5_T6_T7_T9_mT8_P12ihipStream_tbDpT10_ENKUlT_T0_E_clISt17integral_constantIbLb1EES18_IbLb0EEEEDaS14_S15_EUlS14_E_NS1_11comp_targetILNS1_3genE0ELNS1_11target_archE4294967295ELNS1_3gpuE0ELNS1_3repE0EEENS1_30default_config_static_selectorELNS0_4arch9wavefront6targetE1EEEvT1_
    .private_segment_fixed_size: 0
    .sgpr_count:     6
    .sgpr_spill_count: 0
    .symbol:         _ZN7rocprim17ROCPRIM_400000_NS6detail17trampoline_kernelINS0_14default_configENS1_25partition_config_selectorILNS1_17partition_subalgoE0EyNS0_10empty_typeEbEEZZNS1_14partition_implILS5_0ELb0ES3_jN6thrust23THRUST_200600_302600_NS6detail15normal_iteratorINSA_10device_ptrIyEEEEPS6_SG_NS0_5tupleIJNSA_16discard_iteratorINSA_11use_defaultEEESF_EEENSH_IJSG_SG_EEES6_PlJ7is_evenIyEEEE10hipError_tPvRmT3_T4_T5_T6_T7_T9_mT8_P12ihipStream_tbDpT10_ENKUlT_T0_E_clISt17integral_constantIbLb1EES18_IbLb0EEEEDaS14_S15_EUlS14_E_NS1_11comp_targetILNS1_3genE0ELNS1_11target_archE4294967295ELNS1_3gpuE0ELNS1_3repE0EEENS1_30default_config_static_selectorELNS0_4arch9wavefront6targetE1EEEvT1_.kd
    .uniform_work_group_size: 1
    .uses_dynamic_stack: false
    .vgpr_count:     0
    .vgpr_spill_count: 0
    .wavefront_size: 64
  - .agpr_count:     0
    .args:
      - .offset:         0
        .size:           128
        .value_kind:     by_value
    .group_segment_fixed_size: 28680
    .kernarg_segment_align: 8
    .kernarg_segment_size: 128
    .language:       OpenCL C
    .language_version:
      - 2
      - 0
    .max_flat_workgroup_size: 512
    .name:           _ZN7rocprim17ROCPRIM_400000_NS6detail17trampoline_kernelINS0_14default_configENS1_25partition_config_selectorILNS1_17partition_subalgoE0EyNS0_10empty_typeEbEEZZNS1_14partition_implILS5_0ELb0ES3_jN6thrust23THRUST_200600_302600_NS6detail15normal_iteratorINSA_10device_ptrIyEEEEPS6_SG_NS0_5tupleIJNSA_16discard_iteratorINSA_11use_defaultEEESF_EEENSH_IJSG_SG_EEES6_PlJ7is_evenIyEEEE10hipError_tPvRmT3_T4_T5_T6_T7_T9_mT8_P12ihipStream_tbDpT10_ENKUlT_T0_E_clISt17integral_constantIbLb1EES18_IbLb0EEEEDaS14_S15_EUlS14_E_NS1_11comp_targetILNS1_3genE5ELNS1_11target_archE942ELNS1_3gpuE9ELNS1_3repE0EEENS1_30default_config_static_selectorELNS0_4arch9wavefront6targetE1EEEvT1_
    .private_segment_fixed_size: 0
    .sgpr_count:     50
    .sgpr_spill_count: 0
    .symbol:         _ZN7rocprim17ROCPRIM_400000_NS6detail17trampoline_kernelINS0_14default_configENS1_25partition_config_selectorILNS1_17partition_subalgoE0EyNS0_10empty_typeEbEEZZNS1_14partition_implILS5_0ELb0ES3_jN6thrust23THRUST_200600_302600_NS6detail15normal_iteratorINSA_10device_ptrIyEEEEPS6_SG_NS0_5tupleIJNSA_16discard_iteratorINSA_11use_defaultEEESF_EEENSH_IJSG_SG_EEES6_PlJ7is_evenIyEEEE10hipError_tPvRmT3_T4_T5_T6_T7_T9_mT8_P12ihipStream_tbDpT10_ENKUlT_T0_E_clISt17integral_constantIbLb1EES18_IbLb0EEEEDaS14_S15_EUlS14_E_NS1_11comp_targetILNS1_3genE5ELNS1_11target_archE942ELNS1_3gpuE9ELNS1_3repE0EEENS1_30default_config_static_selectorELNS0_4arch9wavefront6targetE1EEEvT1_.kd
    .uniform_work_group_size: 1
    .uses_dynamic_stack: false
    .vgpr_count:     57
    .vgpr_spill_count: 0
    .wavefront_size: 64
  - .agpr_count:     0
    .args:
      - .offset:         0
        .size:           128
        .value_kind:     by_value
    .group_segment_fixed_size: 0
    .kernarg_segment_align: 8
    .kernarg_segment_size: 128
    .language:       OpenCL C
    .language_version:
      - 2
      - 0
    .max_flat_workgroup_size: 192
    .name:           _ZN7rocprim17ROCPRIM_400000_NS6detail17trampoline_kernelINS0_14default_configENS1_25partition_config_selectorILNS1_17partition_subalgoE0EyNS0_10empty_typeEbEEZZNS1_14partition_implILS5_0ELb0ES3_jN6thrust23THRUST_200600_302600_NS6detail15normal_iteratorINSA_10device_ptrIyEEEEPS6_SG_NS0_5tupleIJNSA_16discard_iteratorINSA_11use_defaultEEESF_EEENSH_IJSG_SG_EEES6_PlJ7is_evenIyEEEE10hipError_tPvRmT3_T4_T5_T6_T7_T9_mT8_P12ihipStream_tbDpT10_ENKUlT_T0_E_clISt17integral_constantIbLb1EES18_IbLb0EEEEDaS14_S15_EUlS14_E_NS1_11comp_targetILNS1_3genE4ELNS1_11target_archE910ELNS1_3gpuE8ELNS1_3repE0EEENS1_30default_config_static_selectorELNS0_4arch9wavefront6targetE1EEEvT1_
    .private_segment_fixed_size: 0
    .sgpr_count:     6
    .sgpr_spill_count: 0
    .symbol:         _ZN7rocprim17ROCPRIM_400000_NS6detail17trampoline_kernelINS0_14default_configENS1_25partition_config_selectorILNS1_17partition_subalgoE0EyNS0_10empty_typeEbEEZZNS1_14partition_implILS5_0ELb0ES3_jN6thrust23THRUST_200600_302600_NS6detail15normal_iteratorINSA_10device_ptrIyEEEEPS6_SG_NS0_5tupleIJNSA_16discard_iteratorINSA_11use_defaultEEESF_EEENSH_IJSG_SG_EEES6_PlJ7is_evenIyEEEE10hipError_tPvRmT3_T4_T5_T6_T7_T9_mT8_P12ihipStream_tbDpT10_ENKUlT_T0_E_clISt17integral_constantIbLb1EES18_IbLb0EEEEDaS14_S15_EUlS14_E_NS1_11comp_targetILNS1_3genE4ELNS1_11target_archE910ELNS1_3gpuE8ELNS1_3repE0EEENS1_30default_config_static_selectorELNS0_4arch9wavefront6targetE1EEEvT1_.kd
    .uniform_work_group_size: 1
    .uses_dynamic_stack: false
    .vgpr_count:     0
    .vgpr_spill_count: 0
    .wavefront_size: 64
  - .agpr_count:     0
    .args:
      - .offset:         0
        .size:           128
        .value_kind:     by_value
    .group_segment_fixed_size: 0
    .kernarg_segment_align: 8
    .kernarg_segment_size: 128
    .language:       OpenCL C
    .language_version:
      - 2
      - 0
    .max_flat_workgroup_size: 128
    .name:           _ZN7rocprim17ROCPRIM_400000_NS6detail17trampoline_kernelINS0_14default_configENS1_25partition_config_selectorILNS1_17partition_subalgoE0EyNS0_10empty_typeEbEEZZNS1_14partition_implILS5_0ELb0ES3_jN6thrust23THRUST_200600_302600_NS6detail15normal_iteratorINSA_10device_ptrIyEEEEPS6_SG_NS0_5tupleIJNSA_16discard_iteratorINSA_11use_defaultEEESF_EEENSH_IJSG_SG_EEES6_PlJ7is_evenIyEEEE10hipError_tPvRmT3_T4_T5_T6_T7_T9_mT8_P12ihipStream_tbDpT10_ENKUlT_T0_E_clISt17integral_constantIbLb1EES18_IbLb0EEEEDaS14_S15_EUlS14_E_NS1_11comp_targetILNS1_3genE3ELNS1_11target_archE908ELNS1_3gpuE7ELNS1_3repE0EEENS1_30default_config_static_selectorELNS0_4arch9wavefront6targetE1EEEvT1_
    .private_segment_fixed_size: 0
    .sgpr_count:     6
    .sgpr_spill_count: 0
    .symbol:         _ZN7rocprim17ROCPRIM_400000_NS6detail17trampoline_kernelINS0_14default_configENS1_25partition_config_selectorILNS1_17partition_subalgoE0EyNS0_10empty_typeEbEEZZNS1_14partition_implILS5_0ELb0ES3_jN6thrust23THRUST_200600_302600_NS6detail15normal_iteratorINSA_10device_ptrIyEEEEPS6_SG_NS0_5tupleIJNSA_16discard_iteratorINSA_11use_defaultEEESF_EEENSH_IJSG_SG_EEES6_PlJ7is_evenIyEEEE10hipError_tPvRmT3_T4_T5_T6_T7_T9_mT8_P12ihipStream_tbDpT10_ENKUlT_T0_E_clISt17integral_constantIbLb1EES18_IbLb0EEEEDaS14_S15_EUlS14_E_NS1_11comp_targetILNS1_3genE3ELNS1_11target_archE908ELNS1_3gpuE7ELNS1_3repE0EEENS1_30default_config_static_selectorELNS0_4arch9wavefront6targetE1EEEvT1_.kd
    .uniform_work_group_size: 1
    .uses_dynamic_stack: false
    .vgpr_count:     0
    .vgpr_spill_count: 0
    .wavefront_size: 64
  - .agpr_count:     0
    .args:
      - .offset:         0
        .size:           128
        .value_kind:     by_value
    .group_segment_fixed_size: 0
    .kernarg_segment_align: 8
    .kernarg_segment_size: 128
    .language:       OpenCL C
    .language_version:
      - 2
      - 0
    .max_flat_workgroup_size: 256
    .name:           _ZN7rocprim17ROCPRIM_400000_NS6detail17trampoline_kernelINS0_14default_configENS1_25partition_config_selectorILNS1_17partition_subalgoE0EyNS0_10empty_typeEbEEZZNS1_14partition_implILS5_0ELb0ES3_jN6thrust23THRUST_200600_302600_NS6detail15normal_iteratorINSA_10device_ptrIyEEEEPS6_SG_NS0_5tupleIJNSA_16discard_iteratorINSA_11use_defaultEEESF_EEENSH_IJSG_SG_EEES6_PlJ7is_evenIyEEEE10hipError_tPvRmT3_T4_T5_T6_T7_T9_mT8_P12ihipStream_tbDpT10_ENKUlT_T0_E_clISt17integral_constantIbLb1EES18_IbLb0EEEEDaS14_S15_EUlS14_E_NS1_11comp_targetILNS1_3genE2ELNS1_11target_archE906ELNS1_3gpuE6ELNS1_3repE0EEENS1_30default_config_static_selectorELNS0_4arch9wavefront6targetE1EEEvT1_
    .private_segment_fixed_size: 0
    .sgpr_count:     6
    .sgpr_spill_count: 0
    .symbol:         _ZN7rocprim17ROCPRIM_400000_NS6detail17trampoline_kernelINS0_14default_configENS1_25partition_config_selectorILNS1_17partition_subalgoE0EyNS0_10empty_typeEbEEZZNS1_14partition_implILS5_0ELb0ES3_jN6thrust23THRUST_200600_302600_NS6detail15normal_iteratorINSA_10device_ptrIyEEEEPS6_SG_NS0_5tupleIJNSA_16discard_iteratorINSA_11use_defaultEEESF_EEENSH_IJSG_SG_EEES6_PlJ7is_evenIyEEEE10hipError_tPvRmT3_T4_T5_T6_T7_T9_mT8_P12ihipStream_tbDpT10_ENKUlT_T0_E_clISt17integral_constantIbLb1EES18_IbLb0EEEEDaS14_S15_EUlS14_E_NS1_11comp_targetILNS1_3genE2ELNS1_11target_archE906ELNS1_3gpuE6ELNS1_3repE0EEENS1_30default_config_static_selectorELNS0_4arch9wavefront6targetE1EEEvT1_.kd
    .uniform_work_group_size: 1
    .uses_dynamic_stack: false
    .vgpr_count:     0
    .vgpr_spill_count: 0
    .wavefront_size: 64
  - .agpr_count:     0
    .args:
      - .offset:         0
        .size:           128
        .value_kind:     by_value
    .group_segment_fixed_size: 0
    .kernarg_segment_align: 8
    .kernarg_segment_size: 128
    .language:       OpenCL C
    .language_version:
      - 2
      - 0
    .max_flat_workgroup_size: 512
    .name:           _ZN7rocprim17ROCPRIM_400000_NS6detail17trampoline_kernelINS0_14default_configENS1_25partition_config_selectorILNS1_17partition_subalgoE0EyNS0_10empty_typeEbEEZZNS1_14partition_implILS5_0ELb0ES3_jN6thrust23THRUST_200600_302600_NS6detail15normal_iteratorINSA_10device_ptrIyEEEEPS6_SG_NS0_5tupleIJNSA_16discard_iteratorINSA_11use_defaultEEESF_EEENSH_IJSG_SG_EEES6_PlJ7is_evenIyEEEE10hipError_tPvRmT3_T4_T5_T6_T7_T9_mT8_P12ihipStream_tbDpT10_ENKUlT_T0_E_clISt17integral_constantIbLb1EES18_IbLb0EEEEDaS14_S15_EUlS14_E_NS1_11comp_targetILNS1_3genE10ELNS1_11target_archE1200ELNS1_3gpuE4ELNS1_3repE0EEENS1_30default_config_static_selectorELNS0_4arch9wavefront6targetE1EEEvT1_
    .private_segment_fixed_size: 0
    .sgpr_count:     6
    .sgpr_spill_count: 0
    .symbol:         _ZN7rocprim17ROCPRIM_400000_NS6detail17trampoline_kernelINS0_14default_configENS1_25partition_config_selectorILNS1_17partition_subalgoE0EyNS0_10empty_typeEbEEZZNS1_14partition_implILS5_0ELb0ES3_jN6thrust23THRUST_200600_302600_NS6detail15normal_iteratorINSA_10device_ptrIyEEEEPS6_SG_NS0_5tupleIJNSA_16discard_iteratorINSA_11use_defaultEEESF_EEENSH_IJSG_SG_EEES6_PlJ7is_evenIyEEEE10hipError_tPvRmT3_T4_T5_T6_T7_T9_mT8_P12ihipStream_tbDpT10_ENKUlT_T0_E_clISt17integral_constantIbLb1EES18_IbLb0EEEEDaS14_S15_EUlS14_E_NS1_11comp_targetILNS1_3genE10ELNS1_11target_archE1200ELNS1_3gpuE4ELNS1_3repE0EEENS1_30default_config_static_selectorELNS0_4arch9wavefront6targetE1EEEvT1_.kd
    .uniform_work_group_size: 1
    .uses_dynamic_stack: false
    .vgpr_count:     0
    .vgpr_spill_count: 0
    .wavefront_size: 64
  - .agpr_count:     0
    .args:
      - .offset:         0
        .size:           128
        .value_kind:     by_value
    .group_segment_fixed_size: 0
    .kernarg_segment_align: 8
    .kernarg_segment_size: 128
    .language:       OpenCL C
    .language_version:
      - 2
      - 0
    .max_flat_workgroup_size: 512
    .name:           _ZN7rocprim17ROCPRIM_400000_NS6detail17trampoline_kernelINS0_14default_configENS1_25partition_config_selectorILNS1_17partition_subalgoE0EyNS0_10empty_typeEbEEZZNS1_14partition_implILS5_0ELb0ES3_jN6thrust23THRUST_200600_302600_NS6detail15normal_iteratorINSA_10device_ptrIyEEEEPS6_SG_NS0_5tupleIJNSA_16discard_iteratorINSA_11use_defaultEEESF_EEENSH_IJSG_SG_EEES6_PlJ7is_evenIyEEEE10hipError_tPvRmT3_T4_T5_T6_T7_T9_mT8_P12ihipStream_tbDpT10_ENKUlT_T0_E_clISt17integral_constantIbLb1EES18_IbLb0EEEEDaS14_S15_EUlS14_E_NS1_11comp_targetILNS1_3genE9ELNS1_11target_archE1100ELNS1_3gpuE3ELNS1_3repE0EEENS1_30default_config_static_selectorELNS0_4arch9wavefront6targetE1EEEvT1_
    .private_segment_fixed_size: 0
    .sgpr_count:     6
    .sgpr_spill_count: 0
    .symbol:         _ZN7rocprim17ROCPRIM_400000_NS6detail17trampoline_kernelINS0_14default_configENS1_25partition_config_selectorILNS1_17partition_subalgoE0EyNS0_10empty_typeEbEEZZNS1_14partition_implILS5_0ELb0ES3_jN6thrust23THRUST_200600_302600_NS6detail15normal_iteratorINSA_10device_ptrIyEEEEPS6_SG_NS0_5tupleIJNSA_16discard_iteratorINSA_11use_defaultEEESF_EEENSH_IJSG_SG_EEES6_PlJ7is_evenIyEEEE10hipError_tPvRmT3_T4_T5_T6_T7_T9_mT8_P12ihipStream_tbDpT10_ENKUlT_T0_E_clISt17integral_constantIbLb1EES18_IbLb0EEEEDaS14_S15_EUlS14_E_NS1_11comp_targetILNS1_3genE9ELNS1_11target_archE1100ELNS1_3gpuE3ELNS1_3repE0EEENS1_30default_config_static_selectorELNS0_4arch9wavefront6targetE1EEEvT1_.kd
    .uniform_work_group_size: 1
    .uses_dynamic_stack: false
    .vgpr_count:     0
    .vgpr_spill_count: 0
    .wavefront_size: 64
  - .agpr_count:     0
    .args:
      - .offset:         0
        .size:           128
        .value_kind:     by_value
    .group_segment_fixed_size: 0
    .kernarg_segment_align: 8
    .kernarg_segment_size: 128
    .language:       OpenCL C
    .language_version:
      - 2
      - 0
    .max_flat_workgroup_size: 512
    .name:           _ZN7rocprim17ROCPRIM_400000_NS6detail17trampoline_kernelINS0_14default_configENS1_25partition_config_selectorILNS1_17partition_subalgoE0EyNS0_10empty_typeEbEEZZNS1_14partition_implILS5_0ELb0ES3_jN6thrust23THRUST_200600_302600_NS6detail15normal_iteratorINSA_10device_ptrIyEEEEPS6_SG_NS0_5tupleIJNSA_16discard_iteratorINSA_11use_defaultEEESF_EEENSH_IJSG_SG_EEES6_PlJ7is_evenIyEEEE10hipError_tPvRmT3_T4_T5_T6_T7_T9_mT8_P12ihipStream_tbDpT10_ENKUlT_T0_E_clISt17integral_constantIbLb1EES18_IbLb0EEEEDaS14_S15_EUlS14_E_NS1_11comp_targetILNS1_3genE8ELNS1_11target_archE1030ELNS1_3gpuE2ELNS1_3repE0EEENS1_30default_config_static_selectorELNS0_4arch9wavefront6targetE1EEEvT1_
    .private_segment_fixed_size: 0
    .sgpr_count:     6
    .sgpr_spill_count: 0
    .symbol:         _ZN7rocprim17ROCPRIM_400000_NS6detail17trampoline_kernelINS0_14default_configENS1_25partition_config_selectorILNS1_17partition_subalgoE0EyNS0_10empty_typeEbEEZZNS1_14partition_implILS5_0ELb0ES3_jN6thrust23THRUST_200600_302600_NS6detail15normal_iteratorINSA_10device_ptrIyEEEEPS6_SG_NS0_5tupleIJNSA_16discard_iteratorINSA_11use_defaultEEESF_EEENSH_IJSG_SG_EEES6_PlJ7is_evenIyEEEE10hipError_tPvRmT3_T4_T5_T6_T7_T9_mT8_P12ihipStream_tbDpT10_ENKUlT_T0_E_clISt17integral_constantIbLb1EES18_IbLb0EEEEDaS14_S15_EUlS14_E_NS1_11comp_targetILNS1_3genE8ELNS1_11target_archE1030ELNS1_3gpuE2ELNS1_3repE0EEENS1_30default_config_static_selectorELNS0_4arch9wavefront6targetE1EEEvT1_.kd
    .uniform_work_group_size: 1
    .uses_dynamic_stack: false
    .vgpr_count:     0
    .vgpr_spill_count: 0
    .wavefront_size: 64
  - .agpr_count:     0
    .args:
      - .offset:         0
        .size:           144
        .value_kind:     by_value
    .group_segment_fixed_size: 0
    .kernarg_segment_align: 8
    .kernarg_segment_size: 144
    .language:       OpenCL C
    .language_version:
      - 2
      - 0
    .max_flat_workgroup_size: 128
    .name:           _ZN7rocprim17ROCPRIM_400000_NS6detail17trampoline_kernelINS0_14default_configENS1_25partition_config_selectorILNS1_17partition_subalgoE0EyNS0_10empty_typeEbEEZZNS1_14partition_implILS5_0ELb0ES3_jN6thrust23THRUST_200600_302600_NS6detail15normal_iteratorINSA_10device_ptrIyEEEEPS6_SG_NS0_5tupleIJNSA_16discard_iteratorINSA_11use_defaultEEESF_EEENSH_IJSG_SG_EEES6_PlJ7is_evenIyEEEE10hipError_tPvRmT3_T4_T5_T6_T7_T9_mT8_P12ihipStream_tbDpT10_ENKUlT_T0_E_clISt17integral_constantIbLb0EES18_IbLb1EEEEDaS14_S15_EUlS14_E_NS1_11comp_targetILNS1_3genE0ELNS1_11target_archE4294967295ELNS1_3gpuE0ELNS1_3repE0EEENS1_30default_config_static_selectorELNS0_4arch9wavefront6targetE1EEEvT1_
    .private_segment_fixed_size: 0
    .sgpr_count:     6
    .sgpr_spill_count: 0
    .symbol:         _ZN7rocprim17ROCPRIM_400000_NS6detail17trampoline_kernelINS0_14default_configENS1_25partition_config_selectorILNS1_17partition_subalgoE0EyNS0_10empty_typeEbEEZZNS1_14partition_implILS5_0ELb0ES3_jN6thrust23THRUST_200600_302600_NS6detail15normal_iteratorINSA_10device_ptrIyEEEEPS6_SG_NS0_5tupleIJNSA_16discard_iteratorINSA_11use_defaultEEESF_EEENSH_IJSG_SG_EEES6_PlJ7is_evenIyEEEE10hipError_tPvRmT3_T4_T5_T6_T7_T9_mT8_P12ihipStream_tbDpT10_ENKUlT_T0_E_clISt17integral_constantIbLb0EES18_IbLb1EEEEDaS14_S15_EUlS14_E_NS1_11comp_targetILNS1_3genE0ELNS1_11target_archE4294967295ELNS1_3gpuE0ELNS1_3repE0EEENS1_30default_config_static_selectorELNS0_4arch9wavefront6targetE1EEEvT1_.kd
    .uniform_work_group_size: 1
    .uses_dynamic_stack: false
    .vgpr_count:     0
    .vgpr_spill_count: 0
    .wavefront_size: 64
  - .agpr_count:     0
    .args:
      - .offset:         0
        .size:           144
        .value_kind:     by_value
    .group_segment_fixed_size: 28680
    .kernarg_segment_align: 8
    .kernarg_segment_size: 144
    .language:       OpenCL C
    .language_version:
      - 2
      - 0
    .max_flat_workgroup_size: 512
    .name:           _ZN7rocprim17ROCPRIM_400000_NS6detail17trampoline_kernelINS0_14default_configENS1_25partition_config_selectorILNS1_17partition_subalgoE0EyNS0_10empty_typeEbEEZZNS1_14partition_implILS5_0ELb0ES3_jN6thrust23THRUST_200600_302600_NS6detail15normal_iteratorINSA_10device_ptrIyEEEEPS6_SG_NS0_5tupleIJNSA_16discard_iteratorINSA_11use_defaultEEESF_EEENSH_IJSG_SG_EEES6_PlJ7is_evenIyEEEE10hipError_tPvRmT3_T4_T5_T6_T7_T9_mT8_P12ihipStream_tbDpT10_ENKUlT_T0_E_clISt17integral_constantIbLb0EES18_IbLb1EEEEDaS14_S15_EUlS14_E_NS1_11comp_targetILNS1_3genE5ELNS1_11target_archE942ELNS1_3gpuE9ELNS1_3repE0EEENS1_30default_config_static_selectorELNS0_4arch9wavefront6targetE1EEEvT1_
    .private_segment_fixed_size: 0
    .sgpr_count:     48
    .sgpr_spill_count: 0
    .symbol:         _ZN7rocprim17ROCPRIM_400000_NS6detail17trampoline_kernelINS0_14default_configENS1_25partition_config_selectorILNS1_17partition_subalgoE0EyNS0_10empty_typeEbEEZZNS1_14partition_implILS5_0ELb0ES3_jN6thrust23THRUST_200600_302600_NS6detail15normal_iteratorINSA_10device_ptrIyEEEEPS6_SG_NS0_5tupleIJNSA_16discard_iteratorINSA_11use_defaultEEESF_EEENSH_IJSG_SG_EEES6_PlJ7is_evenIyEEEE10hipError_tPvRmT3_T4_T5_T6_T7_T9_mT8_P12ihipStream_tbDpT10_ENKUlT_T0_E_clISt17integral_constantIbLb0EES18_IbLb1EEEEDaS14_S15_EUlS14_E_NS1_11comp_targetILNS1_3genE5ELNS1_11target_archE942ELNS1_3gpuE9ELNS1_3repE0EEENS1_30default_config_static_selectorELNS0_4arch9wavefront6targetE1EEEvT1_.kd
    .uniform_work_group_size: 1
    .uses_dynamic_stack: false
    .vgpr_count:     61
    .vgpr_spill_count: 0
    .wavefront_size: 64
  - .agpr_count:     0
    .args:
      - .offset:         0
        .size:           144
        .value_kind:     by_value
    .group_segment_fixed_size: 0
    .kernarg_segment_align: 8
    .kernarg_segment_size: 144
    .language:       OpenCL C
    .language_version:
      - 2
      - 0
    .max_flat_workgroup_size: 192
    .name:           _ZN7rocprim17ROCPRIM_400000_NS6detail17trampoline_kernelINS0_14default_configENS1_25partition_config_selectorILNS1_17partition_subalgoE0EyNS0_10empty_typeEbEEZZNS1_14partition_implILS5_0ELb0ES3_jN6thrust23THRUST_200600_302600_NS6detail15normal_iteratorINSA_10device_ptrIyEEEEPS6_SG_NS0_5tupleIJNSA_16discard_iteratorINSA_11use_defaultEEESF_EEENSH_IJSG_SG_EEES6_PlJ7is_evenIyEEEE10hipError_tPvRmT3_T4_T5_T6_T7_T9_mT8_P12ihipStream_tbDpT10_ENKUlT_T0_E_clISt17integral_constantIbLb0EES18_IbLb1EEEEDaS14_S15_EUlS14_E_NS1_11comp_targetILNS1_3genE4ELNS1_11target_archE910ELNS1_3gpuE8ELNS1_3repE0EEENS1_30default_config_static_selectorELNS0_4arch9wavefront6targetE1EEEvT1_
    .private_segment_fixed_size: 0
    .sgpr_count:     6
    .sgpr_spill_count: 0
    .symbol:         _ZN7rocprim17ROCPRIM_400000_NS6detail17trampoline_kernelINS0_14default_configENS1_25partition_config_selectorILNS1_17partition_subalgoE0EyNS0_10empty_typeEbEEZZNS1_14partition_implILS5_0ELb0ES3_jN6thrust23THRUST_200600_302600_NS6detail15normal_iteratorINSA_10device_ptrIyEEEEPS6_SG_NS0_5tupleIJNSA_16discard_iteratorINSA_11use_defaultEEESF_EEENSH_IJSG_SG_EEES6_PlJ7is_evenIyEEEE10hipError_tPvRmT3_T4_T5_T6_T7_T9_mT8_P12ihipStream_tbDpT10_ENKUlT_T0_E_clISt17integral_constantIbLb0EES18_IbLb1EEEEDaS14_S15_EUlS14_E_NS1_11comp_targetILNS1_3genE4ELNS1_11target_archE910ELNS1_3gpuE8ELNS1_3repE0EEENS1_30default_config_static_selectorELNS0_4arch9wavefront6targetE1EEEvT1_.kd
    .uniform_work_group_size: 1
    .uses_dynamic_stack: false
    .vgpr_count:     0
    .vgpr_spill_count: 0
    .wavefront_size: 64
  - .agpr_count:     0
    .args:
      - .offset:         0
        .size:           144
        .value_kind:     by_value
    .group_segment_fixed_size: 0
    .kernarg_segment_align: 8
    .kernarg_segment_size: 144
    .language:       OpenCL C
    .language_version:
      - 2
      - 0
    .max_flat_workgroup_size: 128
    .name:           _ZN7rocprim17ROCPRIM_400000_NS6detail17trampoline_kernelINS0_14default_configENS1_25partition_config_selectorILNS1_17partition_subalgoE0EyNS0_10empty_typeEbEEZZNS1_14partition_implILS5_0ELb0ES3_jN6thrust23THRUST_200600_302600_NS6detail15normal_iteratorINSA_10device_ptrIyEEEEPS6_SG_NS0_5tupleIJNSA_16discard_iteratorINSA_11use_defaultEEESF_EEENSH_IJSG_SG_EEES6_PlJ7is_evenIyEEEE10hipError_tPvRmT3_T4_T5_T6_T7_T9_mT8_P12ihipStream_tbDpT10_ENKUlT_T0_E_clISt17integral_constantIbLb0EES18_IbLb1EEEEDaS14_S15_EUlS14_E_NS1_11comp_targetILNS1_3genE3ELNS1_11target_archE908ELNS1_3gpuE7ELNS1_3repE0EEENS1_30default_config_static_selectorELNS0_4arch9wavefront6targetE1EEEvT1_
    .private_segment_fixed_size: 0
    .sgpr_count:     6
    .sgpr_spill_count: 0
    .symbol:         _ZN7rocprim17ROCPRIM_400000_NS6detail17trampoline_kernelINS0_14default_configENS1_25partition_config_selectorILNS1_17partition_subalgoE0EyNS0_10empty_typeEbEEZZNS1_14partition_implILS5_0ELb0ES3_jN6thrust23THRUST_200600_302600_NS6detail15normal_iteratorINSA_10device_ptrIyEEEEPS6_SG_NS0_5tupleIJNSA_16discard_iteratorINSA_11use_defaultEEESF_EEENSH_IJSG_SG_EEES6_PlJ7is_evenIyEEEE10hipError_tPvRmT3_T4_T5_T6_T7_T9_mT8_P12ihipStream_tbDpT10_ENKUlT_T0_E_clISt17integral_constantIbLb0EES18_IbLb1EEEEDaS14_S15_EUlS14_E_NS1_11comp_targetILNS1_3genE3ELNS1_11target_archE908ELNS1_3gpuE7ELNS1_3repE0EEENS1_30default_config_static_selectorELNS0_4arch9wavefront6targetE1EEEvT1_.kd
    .uniform_work_group_size: 1
    .uses_dynamic_stack: false
    .vgpr_count:     0
    .vgpr_spill_count: 0
    .wavefront_size: 64
  - .agpr_count:     0
    .args:
      - .offset:         0
        .size:           144
        .value_kind:     by_value
    .group_segment_fixed_size: 0
    .kernarg_segment_align: 8
    .kernarg_segment_size: 144
    .language:       OpenCL C
    .language_version:
      - 2
      - 0
    .max_flat_workgroup_size: 256
    .name:           _ZN7rocprim17ROCPRIM_400000_NS6detail17trampoline_kernelINS0_14default_configENS1_25partition_config_selectorILNS1_17partition_subalgoE0EyNS0_10empty_typeEbEEZZNS1_14partition_implILS5_0ELb0ES3_jN6thrust23THRUST_200600_302600_NS6detail15normal_iteratorINSA_10device_ptrIyEEEEPS6_SG_NS0_5tupleIJNSA_16discard_iteratorINSA_11use_defaultEEESF_EEENSH_IJSG_SG_EEES6_PlJ7is_evenIyEEEE10hipError_tPvRmT3_T4_T5_T6_T7_T9_mT8_P12ihipStream_tbDpT10_ENKUlT_T0_E_clISt17integral_constantIbLb0EES18_IbLb1EEEEDaS14_S15_EUlS14_E_NS1_11comp_targetILNS1_3genE2ELNS1_11target_archE906ELNS1_3gpuE6ELNS1_3repE0EEENS1_30default_config_static_selectorELNS0_4arch9wavefront6targetE1EEEvT1_
    .private_segment_fixed_size: 0
    .sgpr_count:     6
    .sgpr_spill_count: 0
    .symbol:         _ZN7rocprim17ROCPRIM_400000_NS6detail17trampoline_kernelINS0_14default_configENS1_25partition_config_selectorILNS1_17partition_subalgoE0EyNS0_10empty_typeEbEEZZNS1_14partition_implILS5_0ELb0ES3_jN6thrust23THRUST_200600_302600_NS6detail15normal_iteratorINSA_10device_ptrIyEEEEPS6_SG_NS0_5tupleIJNSA_16discard_iteratorINSA_11use_defaultEEESF_EEENSH_IJSG_SG_EEES6_PlJ7is_evenIyEEEE10hipError_tPvRmT3_T4_T5_T6_T7_T9_mT8_P12ihipStream_tbDpT10_ENKUlT_T0_E_clISt17integral_constantIbLb0EES18_IbLb1EEEEDaS14_S15_EUlS14_E_NS1_11comp_targetILNS1_3genE2ELNS1_11target_archE906ELNS1_3gpuE6ELNS1_3repE0EEENS1_30default_config_static_selectorELNS0_4arch9wavefront6targetE1EEEvT1_.kd
    .uniform_work_group_size: 1
    .uses_dynamic_stack: false
    .vgpr_count:     0
    .vgpr_spill_count: 0
    .wavefront_size: 64
  - .agpr_count:     0
    .args:
      - .offset:         0
        .size:           144
        .value_kind:     by_value
    .group_segment_fixed_size: 0
    .kernarg_segment_align: 8
    .kernarg_segment_size: 144
    .language:       OpenCL C
    .language_version:
      - 2
      - 0
    .max_flat_workgroup_size: 512
    .name:           _ZN7rocprim17ROCPRIM_400000_NS6detail17trampoline_kernelINS0_14default_configENS1_25partition_config_selectorILNS1_17partition_subalgoE0EyNS0_10empty_typeEbEEZZNS1_14partition_implILS5_0ELb0ES3_jN6thrust23THRUST_200600_302600_NS6detail15normal_iteratorINSA_10device_ptrIyEEEEPS6_SG_NS0_5tupleIJNSA_16discard_iteratorINSA_11use_defaultEEESF_EEENSH_IJSG_SG_EEES6_PlJ7is_evenIyEEEE10hipError_tPvRmT3_T4_T5_T6_T7_T9_mT8_P12ihipStream_tbDpT10_ENKUlT_T0_E_clISt17integral_constantIbLb0EES18_IbLb1EEEEDaS14_S15_EUlS14_E_NS1_11comp_targetILNS1_3genE10ELNS1_11target_archE1200ELNS1_3gpuE4ELNS1_3repE0EEENS1_30default_config_static_selectorELNS0_4arch9wavefront6targetE1EEEvT1_
    .private_segment_fixed_size: 0
    .sgpr_count:     6
    .sgpr_spill_count: 0
    .symbol:         _ZN7rocprim17ROCPRIM_400000_NS6detail17trampoline_kernelINS0_14default_configENS1_25partition_config_selectorILNS1_17partition_subalgoE0EyNS0_10empty_typeEbEEZZNS1_14partition_implILS5_0ELb0ES3_jN6thrust23THRUST_200600_302600_NS6detail15normal_iteratorINSA_10device_ptrIyEEEEPS6_SG_NS0_5tupleIJNSA_16discard_iteratorINSA_11use_defaultEEESF_EEENSH_IJSG_SG_EEES6_PlJ7is_evenIyEEEE10hipError_tPvRmT3_T4_T5_T6_T7_T9_mT8_P12ihipStream_tbDpT10_ENKUlT_T0_E_clISt17integral_constantIbLb0EES18_IbLb1EEEEDaS14_S15_EUlS14_E_NS1_11comp_targetILNS1_3genE10ELNS1_11target_archE1200ELNS1_3gpuE4ELNS1_3repE0EEENS1_30default_config_static_selectorELNS0_4arch9wavefront6targetE1EEEvT1_.kd
    .uniform_work_group_size: 1
    .uses_dynamic_stack: false
    .vgpr_count:     0
    .vgpr_spill_count: 0
    .wavefront_size: 64
  - .agpr_count:     0
    .args:
      - .offset:         0
        .size:           144
        .value_kind:     by_value
    .group_segment_fixed_size: 0
    .kernarg_segment_align: 8
    .kernarg_segment_size: 144
    .language:       OpenCL C
    .language_version:
      - 2
      - 0
    .max_flat_workgroup_size: 512
    .name:           _ZN7rocprim17ROCPRIM_400000_NS6detail17trampoline_kernelINS0_14default_configENS1_25partition_config_selectorILNS1_17partition_subalgoE0EyNS0_10empty_typeEbEEZZNS1_14partition_implILS5_0ELb0ES3_jN6thrust23THRUST_200600_302600_NS6detail15normal_iteratorINSA_10device_ptrIyEEEEPS6_SG_NS0_5tupleIJNSA_16discard_iteratorINSA_11use_defaultEEESF_EEENSH_IJSG_SG_EEES6_PlJ7is_evenIyEEEE10hipError_tPvRmT3_T4_T5_T6_T7_T9_mT8_P12ihipStream_tbDpT10_ENKUlT_T0_E_clISt17integral_constantIbLb0EES18_IbLb1EEEEDaS14_S15_EUlS14_E_NS1_11comp_targetILNS1_3genE9ELNS1_11target_archE1100ELNS1_3gpuE3ELNS1_3repE0EEENS1_30default_config_static_selectorELNS0_4arch9wavefront6targetE1EEEvT1_
    .private_segment_fixed_size: 0
    .sgpr_count:     6
    .sgpr_spill_count: 0
    .symbol:         _ZN7rocprim17ROCPRIM_400000_NS6detail17trampoline_kernelINS0_14default_configENS1_25partition_config_selectorILNS1_17partition_subalgoE0EyNS0_10empty_typeEbEEZZNS1_14partition_implILS5_0ELb0ES3_jN6thrust23THRUST_200600_302600_NS6detail15normal_iteratorINSA_10device_ptrIyEEEEPS6_SG_NS0_5tupleIJNSA_16discard_iteratorINSA_11use_defaultEEESF_EEENSH_IJSG_SG_EEES6_PlJ7is_evenIyEEEE10hipError_tPvRmT3_T4_T5_T6_T7_T9_mT8_P12ihipStream_tbDpT10_ENKUlT_T0_E_clISt17integral_constantIbLb0EES18_IbLb1EEEEDaS14_S15_EUlS14_E_NS1_11comp_targetILNS1_3genE9ELNS1_11target_archE1100ELNS1_3gpuE3ELNS1_3repE0EEENS1_30default_config_static_selectorELNS0_4arch9wavefront6targetE1EEEvT1_.kd
    .uniform_work_group_size: 1
    .uses_dynamic_stack: false
    .vgpr_count:     0
    .vgpr_spill_count: 0
    .wavefront_size: 64
  - .agpr_count:     0
    .args:
      - .offset:         0
        .size:           144
        .value_kind:     by_value
    .group_segment_fixed_size: 0
    .kernarg_segment_align: 8
    .kernarg_segment_size: 144
    .language:       OpenCL C
    .language_version:
      - 2
      - 0
    .max_flat_workgroup_size: 512
    .name:           _ZN7rocprim17ROCPRIM_400000_NS6detail17trampoline_kernelINS0_14default_configENS1_25partition_config_selectorILNS1_17partition_subalgoE0EyNS0_10empty_typeEbEEZZNS1_14partition_implILS5_0ELb0ES3_jN6thrust23THRUST_200600_302600_NS6detail15normal_iteratorINSA_10device_ptrIyEEEEPS6_SG_NS0_5tupleIJNSA_16discard_iteratorINSA_11use_defaultEEESF_EEENSH_IJSG_SG_EEES6_PlJ7is_evenIyEEEE10hipError_tPvRmT3_T4_T5_T6_T7_T9_mT8_P12ihipStream_tbDpT10_ENKUlT_T0_E_clISt17integral_constantIbLb0EES18_IbLb1EEEEDaS14_S15_EUlS14_E_NS1_11comp_targetILNS1_3genE8ELNS1_11target_archE1030ELNS1_3gpuE2ELNS1_3repE0EEENS1_30default_config_static_selectorELNS0_4arch9wavefront6targetE1EEEvT1_
    .private_segment_fixed_size: 0
    .sgpr_count:     6
    .sgpr_spill_count: 0
    .symbol:         _ZN7rocprim17ROCPRIM_400000_NS6detail17trampoline_kernelINS0_14default_configENS1_25partition_config_selectorILNS1_17partition_subalgoE0EyNS0_10empty_typeEbEEZZNS1_14partition_implILS5_0ELb0ES3_jN6thrust23THRUST_200600_302600_NS6detail15normal_iteratorINSA_10device_ptrIyEEEEPS6_SG_NS0_5tupleIJNSA_16discard_iteratorINSA_11use_defaultEEESF_EEENSH_IJSG_SG_EEES6_PlJ7is_evenIyEEEE10hipError_tPvRmT3_T4_T5_T6_T7_T9_mT8_P12ihipStream_tbDpT10_ENKUlT_T0_E_clISt17integral_constantIbLb0EES18_IbLb1EEEEDaS14_S15_EUlS14_E_NS1_11comp_targetILNS1_3genE8ELNS1_11target_archE1030ELNS1_3gpuE2ELNS1_3repE0EEENS1_30default_config_static_selectorELNS0_4arch9wavefront6targetE1EEEvT1_.kd
    .uniform_work_group_size: 1
    .uses_dynamic_stack: false
    .vgpr_count:     0
    .vgpr_spill_count: 0
    .wavefront_size: 64
  - .agpr_count:     0
    .args:
      - .offset:         0
        .size:           136
        .value_kind:     by_value
    .group_segment_fixed_size: 0
    .kernarg_segment_align: 8
    .kernarg_segment_size: 136
    .language:       OpenCL C
    .language_version:
      - 2
      - 0
    .max_flat_workgroup_size: 256
    .name:           _ZN7rocprim17ROCPRIM_400000_NS6detail17trampoline_kernelINS0_14default_configENS1_25partition_config_selectorILNS1_17partition_subalgoE0EjNS0_10empty_typeEbEEZZNS1_14partition_implILS5_0ELb0ES3_jN6thrust23THRUST_200600_302600_NS6detail15normal_iteratorINSA_10device_ptrIjEEEEPS6_SG_NS0_5tupleIJNSA_16discard_iteratorINSA_11use_defaultEEESK_EEENSH_IJSG_SG_EEES6_PlJ7is_evenIjEEEE10hipError_tPvRmT3_T4_T5_T6_T7_T9_mT8_P12ihipStream_tbDpT10_ENKUlT_T0_E_clISt17integral_constantIbLb0EES19_EEDaS14_S15_EUlS14_E_NS1_11comp_targetILNS1_3genE0ELNS1_11target_archE4294967295ELNS1_3gpuE0ELNS1_3repE0EEENS1_30default_config_static_selectorELNS0_4arch9wavefront6targetE1EEEvT1_
    .private_segment_fixed_size: 0
    .sgpr_count:     6
    .sgpr_spill_count: 0
    .symbol:         _ZN7rocprim17ROCPRIM_400000_NS6detail17trampoline_kernelINS0_14default_configENS1_25partition_config_selectorILNS1_17partition_subalgoE0EjNS0_10empty_typeEbEEZZNS1_14partition_implILS5_0ELb0ES3_jN6thrust23THRUST_200600_302600_NS6detail15normal_iteratorINSA_10device_ptrIjEEEEPS6_SG_NS0_5tupleIJNSA_16discard_iteratorINSA_11use_defaultEEESK_EEENSH_IJSG_SG_EEES6_PlJ7is_evenIjEEEE10hipError_tPvRmT3_T4_T5_T6_T7_T9_mT8_P12ihipStream_tbDpT10_ENKUlT_T0_E_clISt17integral_constantIbLb0EES19_EEDaS14_S15_EUlS14_E_NS1_11comp_targetILNS1_3genE0ELNS1_11target_archE4294967295ELNS1_3gpuE0ELNS1_3repE0EEENS1_30default_config_static_selectorELNS0_4arch9wavefront6targetE1EEEvT1_.kd
    .uniform_work_group_size: 1
    .uses_dynamic_stack: false
    .vgpr_count:     0
    .vgpr_spill_count: 0
    .wavefront_size: 64
  - .agpr_count:     0
    .args:
      - .offset:         0
        .size:           136
        .value_kind:     by_value
    .group_segment_fixed_size: 30728
    .kernarg_segment_align: 8
    .kernarg_segment_size: 136
    .language:       OpenCL C
    .language_version:
      - 2
      - 0
    .max_flat_workgroup_size: 512
    .name:           _ZN7rocprim17ROCPRIM_400000_NS6detail17trampoline_kernelINS0_14default_configENS1_25partition_config_selectorILNS1_17partition_subalgoE0EjNS0_10empty_typeEbEEZZNS1_14partition_implILS5_0ELb0ES3_jN6thrust23THRUST_200600_302600_NS6detail15normal_iteratorINSA_10device_ptrIjEEEEPS6_SG_NS0_5tupleIJNSA_16discard_iteratorINSA_11use_defaultEEESK_EEENSH_IJSG_SG_EEES6_PlJ7is_evenIjEEEE10hipError_tPvRmT3_T4_T5_T6_T7_T9_mT8_P12ihipStream_tbDpT10_ENKUlT_T0_E_clISt17integral_constantIbLb0EES19_EEDaS14_S15_EUlS14_E_NS1_11comp_targetILNS1_3genE5ELNS1_11target_archE942ELNS1_3gpuE9ELNS1_3repE0EEENS1_30default_config_static_selectorELNS0_4arch9wavefront6targetE1EEEvT1_
    .private_segment_fixed_size: 0
    .sgpr_count:     42
    .sgpr_spill_count: 0
    .symbol:         _ZN7rocprim17ROCPRIM_400000_NS6detail17trampoline_kernelINS0_14default_configENS1_25partition_config_selectorILNS1_17partition_subalgoE0EjNS0_10empty_typeEbEEZZNS1_14partition_implILS5_0ELb0ES3_jN6thrust23THRUST_200600_302600_NS6detail15normal_iteratorINSA_10device_ptrIjEEEEPS6_SG_NS0_5tupleIJNSA_16discard_iteratorINSA_11use_defaultEEESK_EEENSH_IJSG_SG_EEES6_PlJ7is_evenIjEEEE10hipError_tPvRmT3_T4_T5_T6_T7_T9_mT8_P12ihipStream_tbDpT10_ENKUlT_T0_E_clISt17integral_constantIbLb0EES19_EEDaS14_S15_EUlS14_E_NS1_11comp_targetILNS1_3genE5ELNS1_11target_archE942ELNS1_3gpuE9ELNS1_3repE0EEENS1_30default_config_static_selectorELNS0_4arch9wavefront6targetE1EEEvT1_.kd
    .uniform_work_group_size: 1
    .uses_dynamic_stack: false
    .vgpr_count:     75
    .vgpr_spill_count: 0
    .wavefront_size: 64
  - .agpr_count:     0
    .args:
      - .offset:         0
        .size:           136
        .value_kind:     by_value
    .group_segment_fixed_size: 0
    .kernarg_segment_align: 8
    .kernarg_segment_size: 136
    .language:       OpenCL C
    .language_version:
      - 2
      - 0
    .max_flat_workgroup_size: 256
    .name:           _ZN7rocprim17ROCPRIM_400000_NS6detail17trampoline_kernelINS0_14default_configENS1_25partition_config_selectorILNS1_17partition_subalgoE0EjNS0_10empty_typeEbEEZZNS1_14partition_implILS5_0ELb0ES3_jN6thrust23THRUST_200600_302600_NS6detail15normal_iteratorINSA_10device_ptrIjEEEEPS6_SG_NS0_5tupleIJNSA_16discard_iteratorINSA_11use_defaultEEESK_EEENSH_IJSG_SG_EEES6_PlJ7is_evenIjEEEE10hipError_tPvRmT3_T4_T5_T6_T7_T9_mT8_P12ihipStream_tbDpT10_ENKUlT_T0_E_clISt17integral_constantIbLb0EES19_EEDaS14_S15_EUlS14_E_NS1_11comp_targetILNS1_3genE4ELNS1_11target_archE910ELNS1_3gpuE8ELNS1_3repE0EEENS1_30default_config_static_selectorELNS0_4arch9wavefront6targetE1EEEvT1_
    .private_segment_fixed_size: 0
    .sgpr_count:     6
    .sgpr_spill_count: 0
    .symbol:         _ZN7rocprim17ROCPRIM_400000_NS6detail17trampoline_kernelINS0_14default_configENS1_25partition_config_selectorILNS1_17partition_subalgoE0EjNS0_10empty_typeEbEEZZNS1_14partition_implILS5_0ELb0ES3_jN6thrust23THRUST_200600_302600_NS6detail15normal_iteratorINSA_10device_ptrIjEEEEPS6_SG_NS0_5tupleIJNSA_16discard_iteratorINSA_11use_defaultEEESK_EEENSH_IJSG_SG_EEES6_PlJ7is_evenIjEEEE10hipError_tPvRmT3_T4_T5_T6_T7_T9_mT8_P12ihipStream_tbDpT10_ENKUlT_T0_E_clISt17integral_constantIbLb0EES19_EEDaS14_S15_EUlS14_E_NS1_11comp_targetILNS1_3genE4ELNS1_11target_archE910ELNS1_3gpuE8ELNS1_3repE0EEENS1_30default_config_static_selectorELNS0_4arch9wavefront6targetE1EEEvT1_.kd
    .uniform_work_group_size: 1
    .uses_dynamic_stack: false
    .vgpr_count:     0
    .vgpr_spill_count: 0
    .wavefront_size: 64
  - .agpr_count:     0
    .args:
      - .offset:         0
        .size:           136
        .value_kind:     by_value
    .group_segment_fixed_size: 0
    .kernarg_segment_align: 8
    .kernarg_segment_size: 136
    .language:       OpenCL C
    .language_version:
      - 2
      - 0
    .max_flat_workgroup_size: 256
    .name:           _ZN7rocprim17ROCPRIM_400000_NS6detail17trampoline_kernelINS0_14default_configENS1_25partition_config_selectorILNS1_17partition_subalgoE0EjNS0_10empty_typeEbEEZZNS1_14partition_implILS5_0ELb0ES3_jN6thrust23THRUST_200600_302600_NS6detail15normal_iteratorINSA_10device_ptrIjEEEEPS6_SG_NS0_5tupleIJNSA_16discard_iteratorINSA_11use_defaultEEESK_EEENSH_IJSG_SG_EEES6_PlJ7is_evenIjEEEE10hipError_tPvRmT3_T4_T5_T6_T7_T9_mT8_P12ihipStream_tbDpT10_ENKUlT_T0_E_clISt17integral_constantIbLb0EES19_EEDaS14_S15_EUlS14_E_NS1_11comp_targetILNS1_3genE3ELNS1_11target_archE908ELNS1_3gpuE7ELNS1_3repE0EEENS1_30default_config_static_selectorELNS0_4arch9wavefront6targetE1EEEvT1_
    .private_segment_fixed_size: 0
    .sgpr_count:     6
    .sgpr_spill_count: 0
    .symbol:         _ZN7rocprim17ROCPRIM_400000_NS6detail17trampoline_kernelINS0_14default_configENS1_25partition_config_selectorILNS1_17partition_subalgoE0EjNS0_10empty_typeEbEEZZNS1_14partition_implILS5_0ELb0ES3_jN6thrust23THRUST_200600_302600_NS6detail15normal_iteratorINSA_10device_ptrIjEEEEPS6_SG_NS0_5tupleIJNSA_16discard_iteratorINSA_11use_defaultEEESK_EEENSH_IJSG_SG_EEES6_PlJ7is_evenIjEEEE10hipError_tPvRmT3_T4_T5_T6_T7_T9_mT8_P12ihipStream_tbDpT10_ENKUlT_T0_E_clISt17integral_constantIbLb0EES19_EEDaS14_S15_EUlS14_E_NS1_11comp_targetILNS1_3genE3ELNS1_11target_archE908ELNS1_3gpuE7ELNS1_3repE0EEENS1_30default_config_static_selectorELNS0_4arch9wavefront6targetE1EEEvT1_.kd
    .uniform_work_group_size: 1
    .uses_dynamic_stack: false
    .vgpr_count:     0
    .vgpr_spill_count: 0
    .wavefront_size: 64
  - .agpr_count:     0
    .args:
      - .offset:         0
        .size:           136
        .value_kind:     by_value
    .group_segment_fixed_size: 0
    .kernarg_segment_align: 8
    .kernarg_segment_size: 136
    .language:       OpenCL C
    .language_version:
      - 2
      - 0
    .max_flat_workgroup_size: 192
    .name:           _ZN7rocprim17ROCPRIM_400000_NS6detail17trampoline_kernelINS0_14default_configENS1_25partition_config_selectorILNS1_17partition_subalgoE0EjNS0_10empty_typeEbEEZZNS1_14partition_implILS5_0ELb0ES3_jN6thrust23THRUST_200600_302600_NS6detail15normal_iteratorINSA_10device_ptrIjEEEEPS6_SG_NS0_5tupleIJNSA_16discard_iteratorINSA_11use_defaultEEESK_EEENSH_IJSG_SG_EEES6_PlJ7is_evenIjEEEE10hipError_tPvRmT3_T4_T5_T6_T7_T9_mT8_P12ihipStream_tbDpT10_ENKUlT_T0_E_clISt17integral_constantIbLb0EES19_EEDaS14_S15_EUlS14_E_NS1_11comp_targetILNS1_3genE2ELNS1_11target_archE906ELNS1_3gpuE6ELNS1_3repE0EEENS1_30default_config_static_selectorELNS0_4arch9wavefront6targetE1EEEvT1_
    .private_segment_fixed_size: 0
    .sgpr_count:     6
    .sgpr_spill_count: 0
    .symbol:         _ZN7rocprim17ROCPRIM_400000_NS6detail17trampoline_kernelINS0_14default_configENS1_25partition_config_selectorILNS1_17partition_subalgoE0EjNS0_10empty_typeEbEEZZNS1_14partition_implILS5_0ELb0ES3_jN6thrust23THRUST_200600_302600_NS6detail15normal_iteratorINSA_10device_ptrIjEEEEPS6_SG_NS0_5tupleIJNSA_16discard_iteratorINSA_11use_defaultEEESK_EEENSH_IJSG_SG_EEES6_PlJ7is_evenIjEEEE10hipError_tPvRmT3_T4_T5_T6_T7_T9_mT8_P12ihipStream_tbDpT10_ENKUlT_T0_E_clISt17integral_constantIbLb0EES19_EEDaS14_S15_EUlS14_E_NS1_11comp_targetILNS1_3genE2ELNS1_11target_archE906ELNS1_3gpuE6ELNS1_3repE0EEENS1_30default_config_static_selectorELNS0_4arch9wavefront6targetE1EEEvT1_.kd
    .uniform_work_group_size: 1
    .uses_dynamic_stack: false
    .vgpr_count:     0
    .vgpr_spill_count: 0
    .wavefront_size: 64
  - .agpr_count:     0
    .args:
      - .offset:         0
        .size:           136
        .value_kind:     by_value
    .group_segment_fixed_size: 0
    .kernarg_segment_align: 8
    .kernarg_segment_size: 136
    .language:       OpenCL C
    .language_version:
      - 2
      - 0
    .max_flat_workgroup_size: 512
    .name:           _ZN7rocprim17ROCPRIM_400000_NS6detail17trampoline_kernelINS0_14default_configENS1_25partition_config_selectorILNS1_17partition_subalgoE0EjNS0_10empty_typeEbEEZZNS1_14partition_implILS5_0ELb0ES3_jN6thrust23THRUST_200600_302600_NS6detail15normal_iteratorINSA_10device_ptrIjEEEEPS6_SG_NS0_5tupleIJNSA_16discard_iteratorINSA_11use_defaultEEESK_EEENSH_IJSG_SG_EEES6_PlJ7is_evenIjEEEE10hipError_tPvRmT3_T4_T5_T6_T7_T9_mT8_P12ihipStream_tbDpT10_ENKUlT_T0_E_clISt17integral_constantIbLb0EES19_EEDaS14_S15_EUlS14_E_NS1_11comp_targetILNS1_3genE10ELNS1_11target_archE1200ELNS1_3gpuE4ELNS1_3repE0EEENS1_30default_config_static_selectorELNS0_4arch9wavefront6targetE1EEEvT1_
    .private_segment_fixed_size: 0
    .sgpr_count:     6
    .sgpr_spill_count: 0
    .symbol:         _ZN7rocprim17ROCPRIM_400000_NS6detail17trampoline_kernelINS0_14default_configENS1_25partition_config_selectorILNS1_17partition_subalgoE0EjNS0_10empty_typeEbEEZZNS1_14partition_implILS5_0ELb0ES3_jN6thrust23THRUST_200600_302600_NS6detail15normal_iteratorINSA_10device_ptrIjEEEEPS6_SG_NS0_5tupleIJNSA_16discard_iteratorINSA_11use_defaultEEESK_EEENSH_IJSG_SG_EEES6_PlJ7is_evenIjEEEE10hipError_tPvRmT3_T4_T5_T6_T7_T9_mT8_P12ihipStream_tbDpT10_ENKUlT_T0_E_clISt17integral_constantIbLb0EES19_EEDaS14_S15_EUlS14_E_NS1_11comp_targetILNS1_3genE10ELNS1_11target_archE1200ELNS1_3gpuE4ELNS1_3repE0EEENS1_30default_config_static_selectorELNS0_4arch9wavefront6targetE1EEEvT1_.kd
    .uniform_work_group_size: 1
    .uses_dynamic_stack: false
    .vgpr_count:     0
    .vgpr_spill_count: 0
    .wavefront_size: 64
  - .agpr_count:     0
    .args:
      - .offset:         0
        .size:           136
        .value_kind:     by_value
    .group_segment_fixed_size: 0
    .kernarg_segment_align: 8
    .kernarg_segment_size: 136
    .language:       OpenCL C
    .language_version:
      - 2
      - 0
    .max_flat_workgroup_size: 128
    .name:           _ZN7rocprim17ROCPRIM_400000_NS6detail17trampoline_kernelINS0_14default_configENS1_25partition_config_selectorILNS1_17partition_subalgoE0EjNS0_10empty_typeEbEEZZNS1_14partition_implILS5_0ELb0ES3_jN6thrust23THRUST_200600_302600_NS6detail15normal_iteratorINSA_10device_ptrIjEEEEPS6_SG_NS0_5tupleIJNSA_16discard_iteratorINSA_11use_defaultEEESK_EEENSH_IJSG_SG_EEES6_PlJ7is_evenIjEEEE10hipError_tPvRmT3_T4_T5_T6_T7_T9_mT8_P12ihipStream_tbDpT10_ENKUlT_T0_E_clISt17integral_constantIbLb0EES19_EEDaS14_S15_EUlS14_E_NS1_11comp_targetILNS1_3genE9ELNS1_11target_archE1100ELNS1_3gpuE3ELNS1_3repE0EEENS1_30default_config_static_selectorELNS0_4arch9wavefront6targetE1EEEvT1_
    .private_segment_fixed_size: 0
    .sgpr_count:     6
    .sgpr_spill_count: 0
    .symbol:         _ZN7rocprim17ROCPRIM_400000_NS6detail17trampoline_kernelINS0_14default_configENS1_25partition_config_selectorILNS1_17partition_subalgoE0EjNS0_10empty_typeEbEEZZNS1_14partition_implILS5_0ELb0ES3_jN6thrust23THRUST_200600_302600_NS6detail15normal_iteratorINSA_10device_ptrIjEEEEPS6_SG_NS0_5tupleIJNSA_16discard_iteratorINSA_11use_defaultEEESK_EEENSH_IJSG_SG_EEES6_PlJ7is_evenIjEEEE10hipError_tPvRmT3_T4_T5_T6_T7_T9_mT8_P12ihipStream_tbDpT10_ENKUlT_T0_E_clISt17integral_constantIbLb0EES19_EEDaS14_S15_EUlS14_E_NS1_11comp_targetILNS1_3genE9ELNS1_11target_archE1100ELNS1_3gpuE3ELNS1_3repE0EEENS1_30default_config_static_selectorELNS0_4arch9wavefront6targetE1EEEvT1_.kd
    .uniform_work_group_size: 1
    .uses_dynamic_stack: false
    .vgpr_count:     0
    .vgpr_spill_count: 0
    .wavefront_size: 64
  - .agpr_count:     0
    .args:
      - .offset:         0
        .size:           136
        .value_kind:     by_value
    .group_segment_fixed_size: 0
    .kernarg_segment_align: 8
    .kernarg_segment_size: 136
    .language:       OpenCL C
    .language_version:
      - 2
      - 0
    .max_flat_workgroup_size: 512
    .name:           _ZN7rocprim17ROCPRIM_400000_NS6detail17trampoline_kernelINS0_14default_configENS1_25partition_config_selectorILNS1_17partition_subalgoE0EjNS0_10empty_typeEbEEZZNS1_14partition_implILS5_0ELb0ES3_jN6thrust23THRUST_200600_302600_NS6detail15normal_iteratorINSA_10device_ptrIjEEEEPS6_SG_NS0_5tupleIJNSA_16discard_iteratorINSA_11use_defaultEEESK_EEENSH_IJSG_SG_EEES6_PlJ7is_evenIjEEEE10hipError_tPvRmT3_T4_T5_T6_T7_T9_mT8_P12ihipStream_tbDpT10_ENKUlT_T0_E_clISt17integral_constantIbLb0EES19_EEDaS14_S15_EUlS14_E_NS1_11comp_targetILNS1_3genE8ELNS1_11target_archE1030ELNS1_3gpuE2ELNS1_3repE0EEENS1_30default_config_static_selectorELNS0_4arch9wavefront6targetE1EEEvT1_
    .private_segment_fixed_size: 0
    .sgpr_count:     6
    .sgpr_spill_count: 0
    .symbol:         _ZN7rocprim17ROCPRIM_400000_NS6detail17trampoline_kernelINS0_14default_configENS1_25partition_config_selectorILNS1_17partition_subalgoE0EjNS0_10empty_typeEbEEZZNS1_14partition_implILS5_0ELb0ES3_jN6thrust23THRUST_200600_302600_NS6detail15normal_iteratorINSA_10device_ptrIjEEEEPS6_SG_NS0_5tupleIJNSA_16discard_iteratorINSA_11use_defaultEEESK_EEENSH_IJSG_SG_EEES6_PlJ7is_evenIjEEEE10hipError_tPvRmT3_T4_T5_T6_T7_T9_mT8_P12ihipStream_tbDpT10_ENKUlT_T0_E_clISt17integral_constantIbLb0EES19_EEDaS14_S15_EUlS14_E_NS1_11comp_targetILNS1_3genE8ELNS1_11target_archE1030ELNS1_3gpuE2ELNS1_3repE0EEENS1_30default_config_static_selectorELNS0_4arch9wavefront6targetE1EEEvT1_.kd
    .uniform_work_group_size: 1
    .uses_dynamic_stack: false
    .vgpr_count:     0
    .vgpr_spill_count: 0
    .wavefront_size: 64
  - .agpr_count:     0
    .args:
      - .offset:         0
        .size:           152
        .value_kind:     by_value
    .group_segment_fixed_size: 0
    .kernarg_segment_align: 8
    .kernarg_segment_size: 152
    .language:       OpenCL C
    .language_version:
      - 2
      - 0
    .max_flat_workgroup_size: 256
    .name:           _ZN7rocprim17ROCPRIM_400000_NS6detail17trampoline_kernelINS0_14default_configENS1_25partition_config_selectorILNS1_17partition_subalgoE0EjNS0_10empty_typeEbEEZZNS1_14partition_implILS5_0ELb0ES3_jN6thrust23THRUST_200600_302600_NS6detail15normal_iteratorINSA_10device_ptrIjEEEEPS6_SG_NS0_5tupleIJNSA_16discard_iteratorINSA_11use_defaultEEESK_EEENSH_IJSG_SG_EEES6_PlJ7is_evenIjEEEE10hipError_tPvRmT3_T4_T5_T6_T7_T9_mT8_P12ihipStream_tbDpT10_ENKUlT_T0_E_clISt17integral_constantIbLb1EES19_EEDaS14_S15_EUlS14_E_NS1_11comp_targetILNS1_3genE0ELNS1_11target_archE4294967295ELNS1_3gpuE0ELNS1_3repE0EEENS1_30default_config_static_selectorELNS0_4arch9wavefront6targetE1EEEvT1_
    .private_segment_fixed_size: 0
    .sgpr_count:     6
    .sgpr_spill_count: 0
    .symbol:         _ZN7rocprim17ROCPRIM_400000_NS6detail17trampoline_kernelINS0_14default_configENS1_25partition_config_selectorILNS1_17partition_subalgoE0EjNS0_10empty_typeEbEEZZNS1_14partition_implILS5_0ELb0ES3_jN6thrust23THRUST_200600_302600_NS6detail15normal_iteratorINSA_10device_ptrIjEEEEPS6_SG_NS0_5tupleIJNSA_16discard_iteratorINSA_11use_defaultEEESK_EEENSH_IJSG_SG_EEES6_PlJ7is_evenIjEEEE10hipError_tPvRmT3_T4_T5_T6_T7_T9_mT8_P12ihipStream_tbDpT10_ENKUlT_T0_E_clISt17integral_constantIbLb1EES19_EEDaS14_S15_EUlS14_E_NS1_11comp_targetILNS1_3genE0ELNS1_11target_archE4294967295ELNS1_3gpuE0ELNS1_3repE0EEENS1_30default_config_static_selectorELNS0_4arch9wavefront6targetE1EEEvT1_.kd
    .uniform_work_group_size: 1
    .uses_dynamic_stack: false
    .vgpr_count:     0
    .vgpr_spill_count: 0
    .wavefront_size: 64
  - .agpr_count:     0
    .args:
      - .offset:         0
        .size:           152
        .value_kind:     by_value
    .group_segment_fixed_size: 30728
    .kernarg_segment_align: 8
    .kernarg_segment_size: 152
    .language:       OpenCL C
    .language_version:
      - 2
      - 0
    .max_flat_workgroup_size: 512
    .name:           _ZN7rocprim17ROCPRIM_400000_NS6detail17trampoline_kernelINS0_14default_configENS1_25partition_config_selectorILNS1_17partition_subalgoE0EjNS0_10empty_typeEbEEZZNS1_14partition_implILS5_0ELb0ES3_jN6thrust23THRUST_200600_302600_NS6detail15normal_iteratorINSA_10device_ptrIjEEEEPS6_SG_NS0_5tupleIJNSA_16discard_iteratorINSA_11use_defaultEEESK_EEENSH_IJSG_SG_EEES6_PlJ7is_evenIjEEEE10hipError_tPvRmT3_T4_T5_T6_T7_T9_mT8_P12ihipStream_tbDpT10_ENKUlT_T0_E_clISt17integral_constantIbLb1EES19_EEDaS14_S15_EUlS14_E_NS1_11comp_targetILNS1_3genE5ELNS1_11target_archE942ELNS1_3gpuE9ELNS1_3repE0EEENS1_30default_config_static_selectorELNS0_4arch9wavefront6targetE1EEEvT1_
    .private_segment_fixed_size: 0
    .sgpr_count:     42
    .sgpr_spill_count: 0
    .symbol:         _ZN7rocprim17ROCPRIM_400000_NS6detail17trampoline_kernelINS0_14default_configENS1_25partition_config_selectorILNS1_17partition_subalgoE0EjNS0_10empty_typeEbEEZZNS1_14partition_implILS5_0ELb0ES3_jN6thrust23THRUST_200600_302600_NS6detail15normal_iteratorINSA_10device_ptrIjEEEEPS6_SG_NS0_5tupleIJNSA_16discard_iteratorINSA_11use_defaultEEESK_EEENSH_IJSG_SG_EEES6_PlJ7is_evenIjEEEE10hipError_tPvRmT3_T4_T5_T6_T7_T9_mT8_P12ihipStream_tbDpT10_ENKUlT_T0_E_clISt17integral_constantIbLb1EES19_EEDaS14_S15_EUlS14_E_NS1_11comp_targetILNS1_3genE5ELNS1_11target_archE942ELNS1_3gpuE9ELNS1_3repE0EEENS1_30default_config_static_selectorELNS0_4arch9wavefront6targetE1EEEvT1_.kd
    .uniform_work_group_size: 1
    .uses_dynamic_stack: false
    .vgpr_count:     77
    .vgpr_spill_count: 0
    .wavefront_size: 64
  - .agpr_count:     0
    .args:
      - .offset:         0
        .size:           152
        .value_kind:     by_value
    .group_segment_fixed_size: 0
    .kernarg_segment_align: 8
    .kernarg_segment_size: 152
    .language:       OpenCL C
    .language_version:
      - 2
      - 0
    .max_flat_workgroup_size: 256
    .name:           _ZN7rocprim17ROCPRIM_400000_NS6detail17trampoline_kernelINS0_14default_configENS1_25partition_config_selectorILNS1_17partition_subalgoE0EjNS0_10empty_typeEbEEZZNS1_14partition_implILS5_0ELb0ES3_jN6thrust23THRUST_200600_302600_NS6detail15normal_iteratorINSA_10device_ptrIjEEEEPS6_SG_NS0_5tupleIJNSA_16discard_iteratorINSA_11use_defaultEEESK_EEENSH_IJSG_SG_EEES6_PlJ7is_evenIjEEEE10hipError_tPvRmT3_T4_T5_T6_T7_T9_mT8_P12ihipStream_tbDpT10_ENKUlT_T0_E_clISt17integral_constantIbLb1EES19_EEDaS14_S15_EUlS14_E_NS1_11comp_targetILNS1_3genE4ELNS1_11target_archE910ELNS1_3gpuE8ELNS1_3repE0EEENS1_30default_config_static_selectorELNS0_4arch9wavefront6targetE1EEEvT1_
    .private_segment_fixed_size: 0
    .sgpr_count:     6
    .sgpr_spill_count: 0
    .symbol:         _ZN7rocprim17ROCPRIM_400000_NS6detail17trampoline_kernelINS0_14default_configENS1_25partition_config_selectorILNS1_17partition_subalgoE0EjNS0_10empty_typeEbEEZZNS1_14partition_implILS5_0ELb0ES3_jN6thrust23THRUST_200600_302600_NS6detail15normal_iteratorINSA_10device_ptrIjEEEEPS6_SG_NS0_5tupleIJNSA_16discard_iteratorINSA_11use_defaultEEESK_EEENSH_IJSG_SG_EEES6_PlJ7is_evenIjEEEE10hipError_tPvRmT3_T4_T5_T6_T7_T9_mT8_P12ihipStream_tbDpT10_ENKUlT_T0_E_clISt17integral_constantIbLb1EES19_EEDaS14_S15_EUlS14_E_NS1_11comp_targetILNS1_3genE4ELNS1_11target_archE910ELNS1_3gpuE8ELNS1_3repE0EEENS1_30default_config_static_selectorELNS0_4arch9wavefront6targetE1EEEvT1_.kd
    .uniform_work_group_size: 1
    .uses_dynamic_stack: false
    .vgpr_count:     0
    .vgpr_spill_count: 0
    .wavefront_size: 64
  - .agpr_count:     0
    .args:
      - .offset:         0
        .size:           152
        .value_kind:     by_value
    .group_segment_fixed_size: 0
    .kernarg_segment_align: 8
    .kernarg_segment_size: 152
    .language:       OpenCL C
    .language_version:
      - 2
      - 0
    .max_flat_workgroup_size: 256
    .name:           _ZN7rocprim17ROCPRIM_400000_NS6detail17trampoline_kernelINS0_14default_configENS1_25partition_config_selectorILNS1_17partition_subalgoE0EjNS0_10empty_typeEbEEZZNS1_14partition_implILS5_0ELb0ES3_jN6thrust23THRUST_200600_302600_NS6detail15normal_iteratorINSA_10device_ptrIjEEEEPS6_SG_NS0_5tupleIJNSA_16discard_iteratorINSA_11use_defaultEEESK_EEENSH_IJSG_SG_EEES6_PlJ7is_evenIjEEEE10hipError_tPvRmT3_T4_T5_T6_T7_T9_mT8_P12ihipStream_tbDpT10_ENKUlT_T0_E_clISt17integral_constantIbLb1EES19_EEDaS14_S15_EUlS14_E_NS1_11comp_targetILNS1_3genE3ELNS1_11target_archE908ELNS1_3gpuE7ELNS1_3repE0EEENS1_30default_config_static_selectorELNS0_4arch9wavefront6targetE1EEEvT1_
    .private_segment_fixed_size: 0
    .sgpr_count:     6
    .sgpr_spill_count: 0
    .symbol:         _ZN7rocprim17ROCPRIM_400000_NS6detail17trampoline_kernelINS0_14default_configENS1_25partition_config_selectorILNS1_17partition_subalgoE0EjNS0_10empty_typeEbEEZZNS1_14partition_implILS5_0ELb0ES3_jN6thrust23THRUST_200600_302600_NS6detail15normal_iteratorINSA_10device_ptrIjEEEEPS6_SG_NS0_5tupleIJNSA_16discard_iteratorINSA_11use_defaultEEESK_EEENSH_IJSG_SG_EEES6_PlJ7is_evenIjEEEE10hipError_tPvRmT3_T4_T5_T6_T7_T9_mT8_P12ihipStream_tbDpT10_ENKUlT_T0_E_clISt17integral_constantIbLb1EES19_EEDaS14_S15_EUlS14_E_NS1_11comp_targetILNS1_3genE3ELNS1_11target_archE908ELNS1_3gpuE7ELNS1_3repE0EEENS1_30default_config_static_selectorELNS0_4arch9wavefront6targetE1EEEvT1_.kd
    .uniform_work_group_size: 1
    .uses_dynamic_stack: false
    .vgpr_count:     0
    .vgpr_spill_count: 0
    .wavefront_size: 64
  - .agpr_count:     0
    .args:
      - .offset:         0
        .size:           152
        .value_kind:     by_value
    .group_segment_fixed_size: 0
    .kernarg_segment_align: 8
    .kernarg_segment_size: 152
    .language:       OpenCL C
    .language_version:
      - 2
      - 0
    .max_flat_workgroup_size: 192
    .name:           _ZN7rocprim17ROCPRIM_400000_NS6detail17trampoline_kernelINS0_14default_configENS1_25partition_config_selectorILNS1_17partition_subalgoE0EjNS0_10empty_typeEbEEZZNS1_14partition_implILS5_0ELb0ES3_jN6thrust23THRUST_200600_302600_NS6detail15normal_iteratorINSA_10device_ptrIjEEEEPS6_SG_NS0_5tupleIJNSA_16discard_iteratorINSA_11use_defaultEEESK_EEENSH_IJSG_SG_EEES6_PlJ7is_evenIjEEEE10hipError_tPvRmT3_T4_T5_T6_T7_T9_mT8_P12ihipStream_tbDpT10_ENKUlT_T0_E_clISt17integral_constantIbLb1EES19_EEDaS14_S15_EUlS14_E_NS1_11comp_targetILNS1_3genE2ELNS1_11target_archE906ELNS1_3gpuE6ELNS1_3repE0EEENS1_30default_config_static_selectorELNS0_4arch9wavefront6targetE1EEEvT1_
    .private_segment_fixed_size: 0
    .sgpr_count:     6
    .sgpr_spill_count: 0
    .symbol:         _ZN7rocprim17ROCPRIM_400000_NS6detail17trampoline_kernelINS0_14default_configENS1_25partition_config_selectorILNS1_17partition_subalgoE0EjNS0_10empty_typeEbEEZZNS1_14partition_implILS5_0ELb0ES3_jN6thrust23THRUST_200600_302600_NS6detail15normal_iteratorINSA_10device_ptrIjEEEEPS6_SG_NS0_5tupleIJNSA_16discard_iteratorINSA_11use_defaultEEESK_EEENSH_IJSG_SG_EEES6_PlJ7is_evenIjEEEE10hipError_tPvRmT3_T4_T5_T6_T7_T9_mT8_P12ihipStream_tbDpT10_ENKUlT_T0_E_clISt17integral_constantIbLb1EES19_EEDaS14_S15_EUlS14_E_NS1_11comp_targetILNS1_3genE2ELNS1_11target_archE906ELNS1_3gpuE6ELNS1_3repE0EEENS1_30default_config_static_selectorELNS0_4arch9wavefront6targetE1EEEvT1_.kd
    .uniform_work_group_size: 1
    .uses_dynamic_stack: false
    .vgpr_count:     0
    .vgpr_spill_count: 0
    .wavefront_size: 64
  - .agpr_count:     0
    .args:
      - .offset:         0
        .size:           152
        .value_kind:     by_value
    .group_segment_fixed_size: 0
    .kernarg_segment_align: 8
    .kernarg_segment_size: 152
    .language:       OpenCL C
    .language_version:
      - 2
      - 0
    .max_flat_workgroup_size: 512
    .name:           _ZN7rocprim17ROCPRIM_400000_NS6detail17trampoline_kernelINS0_14default_configENS1_25partition_config_selectorILNS1_17partition_subalgoE0EjNS0_10empty_typeEbEEZZNS1_14partition_implILS5_0ELb0ES3_jN6thrust23THRUST_200600_302600_NS6detail15normal_iteratorINSA_10device_ptrIjEEEEPS6_SG_NS0_5tupleIJNSA_16discard_iteratorINSA_11use_defaultEEESK_EEENSH_IJSG_SG_EEES6_PlJ7is_evenIjEEEE10hipError_tPvRmT3_T4_T5_T6_T7_T9_mT8_P12ihipStream_tbDpT10_ENKUlT_T0_E_clISt17integral_constantIbLb1EES19_EEDaS14_S15_EUlS14_E_NS1_11comp_targetILNS1_3genE10ELNS1_11target_archE1200ELNS1_3gpuE4ELNS1_3repE0EEENS1_30default_config_static_selectorELNS0_4arch9wavefront6targetE1EEEvT1_
    .private_segment_fixed_size: 0
    .sgpr_count:     6
    .sgpr_spill_count: 0
    .symbol:         _ZN7rocprim17ROCPRIM_400000_NS6detail17trampoline_kernelINS0_14default_configENS1_25partition_config_selectorILNS1_17partition_subalgoE0EjNS0_10empty_typeEbEEZZNS1_14partition_implILS5_0ELb0ES3_jN6thrust23THRUST_200600_302600_NS6detail15normal_iteratorINSA_10device_ptrIjEEEEPS6_SG_NS0_5tupleIJNSA_16discard_iteratorINSA_11use_defaultEEESK_EEENSH_IJSG_SG_EEES6_PlJ7is_evenIjEEEE10hipError_tPvRmT3_T4_T5_T6_T7_T9_mT8_P12ihipStream_tbDpT10_ENKUlT_T0_E_clISt17integral_constantIbLb1EES19_EEDaS14_S15_EUlS14_E_NS1_11comp_targetILNS1_3genE10ELNS1_11target_archE1200ELNS1_3gpuE4ELNS1_3repE0EEENS1_30default_config_static_selectorELNS0_4arch9wavefront6targetE1EEEvT1_.kd
    .uniform_work_group_size: 1
    .uses_dynamic_stack: false
    .vgpr_count:     0
    .vgpr_spill_count: 0
    .wavefront_size: 64
  - .agpr_count:     0
    .args:
      - .offset:         0
        .size:           152
        .value_kind:     by_value
    .group_segment_fixed_size: 0
    .kernarg_segment_align: 8
    .kernarg_segment_size: 152
    .language:       OpenCL C
    .language_version:
      - 2
      - 0
    .max_flat_workgroup_size: 128
    .name:           _ZN7rocprim17ROCPRIM_400000_NS6detail17trampoline_kernelINS0_14default_configENS1_25partition_config_selectorILNS1_17partition_subalgoE0EjNS0_10empty_typeEbEEZZNS1_14partition_implILS5_0ELb0ES3_jN6thrust23THRUST_200600_302600_NS6detail15normal_iteratorINSA_10device_ptrIjEEEEPS6_SG_NS0_5tupleIJNSA_16discard_iteratorINSA_11use_defaultEEESK_EEENSH_IJSG_SG_EEES6_PlJ7is_evenIjEEEE10hipError_tPvRmT3_T4_T5_T6_T7_T9_mT8_P12ihipStream_tbDpT10_ENKUlT_T0_E_clISt17integral_constantIbLb1EES19_EEDaS14_S15_EUlS14_E_NS1_11comp_targetILNS1_3genE9ELNS1_11target_archE1100ELNS1_3gpuE3ELNS1_3repE0EEENS1_30default_config_static_selectorELNS0_4arch9wavefront6targetE1EEEvT1_
    .private_segment_fixed_size: 0
    .sgpr_count:     6
    .sgpr_spill_count: 0
    .symbol:         _ZN7rocprim17ROCPRIM_400000_NS6detail17trampoline_kernelINS0_14default_configENS1_25partition_config_selectorILNS1_17partition_subalgoE0EjNS0_10empty_typeEbEEZZNS1_14partition_implILS5_0ELb0ES3_jN6thrust23THRUST_200600_302600_NS6detail15normal_iteratorINSA_10device_ptrIjEEEEPS6_SG_NS0_5tupleIJNSA_16discard_iteratorINSA_11use_defaultEEESK_EEENSH_IJSG_SG_EEES6_PlJ7is_evenIjEEEE10hipError_tPvRmT3_T4_T5_T6_T7_T9_mT8_P12ihipStream_tbDpT10_ENKUlT_T0_E_clISt17integral_constantIbLb1EES19_EEDaS14_S15_EUlS14_E_NS1_11comp_targetILNS1_3genE9ELNS1_11target_archE1100ELNS1_3gpuE3ELNS1_3repE0EEENS1_30default_config_static_selectorELNS0_4arch9wavefront6targetE1EEEvT1_.kd
    .uniform_work_group_size: 1
    .uses_dynamic_stack: false
    .vgpr_count:     0
    .vgpr_spill_count: 0
    .wavefront_size: 64
  - .agpr_count:     0
    .args:
      - .offset:         0
        .size:           152
        .value_kind:     by_value
    .group_segment_fixed_size: 0
    .kernarg_segment_align: 8
    .kernarg_segment_size: 152
    .language:       OpenCL C
    .language_version:
      - 2
      - 0
    .max_flat_workgroup_size: 512
    .name:           _ZN7rocprim17ROCPRIM_400000_NS6detail17trampoline_kernelINS0_14default_configENS1_25partition_config_selectorILNS1_17partition_subalgoE0EjNS0_10empty_typeEbEEZZNS1_14partition_implILS5_0ELb0ES3_jN6thrust23THRUST_200600_302600_NS6detail15normal_iteratorINSA_10device_ptrIjEEEEPS6_SG_NS0_5tupleIJNSA_16discard_iteratorINSA_11use_defaultEEESK_EEENSH_IJSG_SG_EEES6_PlJ7is_evenIjEEEE10hipError_tPvRmT3_T4_T5_T6_T7_T9_mT8_P12ihipStream_tbDpT10_ENKUlT_T0_E_clISt17integral_constantIbLb1EES19_EEDaS14_S15_EUlS14_E_NS1_11comp_targetILNS1_3genE8ELNS1_11target_archE1030ELNS1_3gpuE2ELNS1_3repE0EEENS1_30default_config_static_selectorELNS0_4arch9wavefront6targetE1EEEvT1_
    .private_segment_fixed_size: 0
    .sgpr_count:     6
    .sgpr_spill_count: 0
    .symbol:         _ZN7rocprim17ROCPRIM_400000_NS6detail17trampoline_kernelINS0_14default_configENS1_25partition_config_selectorILNS1_17partition_subalgoE0EjNS0_10empty_typeEbEEZZNS1_14partition_implILS5_0ELb0ES3_jN6thrust23THRUST_200600_302600_NS6detail15normal_iteratorINSA_10device_ptrIjEEEEPS6_SG_NS0_5tupleIJNSA_16discard_iteratorINSA_11use_defaultEEESK_EEENSH_IJSG_SG_EEES6_PlJ7is_evenIjEEEE10hipError_tPvRmT3_T4_T5_T6_T7_T9_mT8_P12ihipStream_tbDpT10_ENKUlT_T0_E_clISt17integral_constantIbLb1EES19_EEDaS14_S15_EUlS14_E_NS1_11comp_targetILNS1_3genE8ELNS1_11target_archE1030ELNS1_3gpuE2ELNS1_3repE0EEENS1_30default_config_static_selectorELNS0_4arch9wavefront6targetE1EEEvT1_.kd
    .uniform_work_group_size: 1
    .uses_dynamic_stack: false
    .vgpr_count:     0
    .vgpr_spill_count: 0
    .wavefront_size: 64
  - .agpr_count:     0
    .args:
      - .offset:         0
        .size:           136
        .value_kind:     by_value
    .group_segment_fixed_size: 0
    .kernarg_segment_align: 8
    .kernarg_segment_size: 136
    .language:       OpenCL C
    .language_version:
      - 2
      - 0
    .max_flat_workgroup_size: 256
    .name:           _ZN7rocprim17ROCPRIM_400000_NS6detail17trampoline_kernelINS0_14default_configENS1_25partition_config_selectorILNS1_17partition_subalgoE0EjNS0_10empty_typeEbEEZZNS1_14partition_implILS5_0ELb0ES3_jN6thrust23THRUST_200600_302600_NS6detail15normal_iteratorINSA_10device_ptrIjEEEEPS6_SG_NS0_5tupleIJNSA_16discard_iteratorINSA_11use_defaultEEESK_EEENSH_IJSG_SG_EEES6_PlJ7is_evenIjEEEE10hipError_tPvRmT3_T4_T5_T6_T7_T9_mT8_P12ihipStream_tbDpT10_ENKUlT_T0_E_clISt17integral_constantIbLb1EES18_IbLb0EEEEDaS14_S15_EUlS14_E_NS1_11comp_targetILNS1_3genE0ELNS1_11target_archE4294967295ELNS1_3gpuE0ELNS1_3repE0EEENS1_30default_config_static_selectorELNS0_4arch9wavefront6targetE1EEEvT1_
    .private_segment_fixed_size: 0
    .sgpr_count:     6
    .sgpr_spill_count: 0
    .symbol:         _ZN7rocprim17ROCPRIM_400000_NS6detail17trampoline_kernelINS0_14default_configENS1_25partition_config_selectorILNS1_17partition_subalgoE0EjNS0_10empty_typeEbEEZZNS1_14partition_implILS5_0ELb0ES3_jN6thrust23THRUST_200600_302600_NS6detail15normal_iteratorINSA_10device_ptrIjEEEEPS6_SG_NS0_5tupleIJNSA_16discard_iteratorINSA_11use_defaultEEESK_EEENSH_IJSG_SG_EEES6_PlJ7is_evenIjEEEE10hipError_tPvRmT3_T4_T5_T6_T7_T9_mT8_P12ihipStream_tbDpT10_ENKUlT_T0_E_clISt17integral_constantIbLb1EES18_IbLb0EEEEDaS14_S15_EUlS14_E_NS1_11comp_targetILNS1_3genE0ELNS1_11target_archE4294967295ELNS1_3gpuE0ELNS1_3repE0EEENS1_30default_config_static_selectorELNS0_4arch9wavefront6targetE1EEEvT1_.kd
    .uniform_work_group_size: 1
    .uses_dynamic_stack: false
    .vgpr_count:     0
    .vgpr_spill_count: 0
    .wavefront_size: 64
  - .agpr_count:     0
    .args:
      - .offset:         0
        .size:           136
        .value_kind:     by_value
    .group_segment_fixed_size: 30728
    .kernarg_segment_align: 8
    .kernarg_segment_size: 136
    .language:       OpenCL C
    .language_version:
      - 2
      - 0
    .max_flat_workgroup_size: 512
    .name:           _ZN7rocprim17ROCPRIM_400000_NS6detail17trampoline_kernelINS0_14default_configENS1_25partition_config_selectorILNS1_17partition_subalgoE0EjNS0_10empty_typeEbEEZZNS1_14partition_implILS5_0ELb0ES3_jN6thrust23THRUST_200600_302600_NS6detail15normal_iteratorINSA_10device_ptrIjEEEEPS6_SG_NS0_5tupleIJNSA_16discard_iteratorINSA_11use_defaultEEESK_EEENSH_IJSG_SG_EEES6_PlJ7is_evenIjEEEE10hipError_tPvRmT3_T4_T5_T6_T7_T9_mT8_P12ihipStream_tbDpT10_ENKUlT_T0_E_clISt17integral_constantIbLb1EES18_IbLb0EEEEDaS14_S15_EUlS14_E_NS1_11comp_targetILNS1_3genE5ELNS1_11target_archE942ELNS1_3gpuE9ELNS1_3repE0EEENS1_30default_config_static_selectorELNS0_4arch9wavefront6targetE1EEEvT1_
    .private_segment_fixed_size: 0
    .sgpr_count:     42
    .sgpr_spill_count: 0
    .symbol:         _ZN7rocprim17ROCPRIM_400000_NS6detail17trampoline_kernelINS0_14default_configENS1_25partition_config_selectorILNS1_17partition_subalgoE0EjNS0_10empty_typeEbEEZZNS1_14partition_implILS5_0ELb0ES3_jN6thrust23THRUST_200600_302600_NS6detail15normal_iteratorINSA_10device_ptrIjEEEEPS6_SG_NS0_5tupleIJNSA_16discard_iteratorINSA_11use_defaultEEESK_EEENSH_IJSG_SG_EEES6_PlJ7is_evenIjEEEE10hipError_tPvRmT3_T4_T5_T6_T7_T9_mT8_P12ihipStream_tbDpT10_ENKUlT_T0_E_clISt17integral_constantIbLb1EES18_IbLb0EEEEDaS14_S15_EUlS14_E_NS1_11comp_targetILNS1_3genE5ELNS1_11target_archE942ELNS1_3gpuE9ELNS1_3repE0EEENS1_30default_config_static_selectorELNS0_4arch9wavefront6targetE1EEEvT1_.kd
    .uniform_work_group_size: 1
    .uses_dynamic_stack: false
    .vgpr_count:     75
    .vgpr_spill_count: 0
    .wavefront_size: 64
  - .agpr_count:     0
    .args:
      - .offset:         0
        .size:           136
        .value_kind:     by_value
    .group_segment_fixed_size: 0
    .kernarg_segment_align: 8
    .kernarg_segment_size: 136
    .language:       OpenCL C
    .language_version:
      - 2
      - 0
    .max_flat_workgroup_size: 256
    .name:           _ZN7rocprim17ROCPRIM_400000_NS6detail17trampoline_kernelINS0_14default_configENS1_25partition_config_selectorILNS1_17partition_subalgoE0EjNS0_10empty_typeEbEEZZNS1_14partition_implILS5_0ELb0ES3_jN6thrust23THRUST_200600_302600_NS6detail15normal_iteratorINSA_10device_ptrIjEEEEPS6_SG_NS0_5tupleIJNSA_16discard_iteratorINSA_11use_defaultEEESK_EEENSH_IJSG_SG_EEES6_PlJ7is_evenIjEEEE10hipError_tPvRmT3_T4_T5_T6_T7_T9_mT8_P12ihipStream_tbDpT10_ENKUlT_T0_E_clISt17integral_constantIbLb1EES18_IbLb0EEEEDaS14_S15_EUlS14_E_NS1_11comp_targetILNS1_3genE4ELNS1_11target_archE910ELNS1_3gpuE8ELNS1_3repE0EEENS1_30default_config_static_selectorELNS0_4arch9wavefront6targetE1EEEvT1_
    .private_segment_fixed_size: 0
    .sgpr_count:     6
    .sgpr_spill_count: 0
    .symbol:         _ZN7rocprim17ROCPRIM_400000_NS6detail17trampoline_kernelINS0_14default_configENS1_25partition_config_selectorILNS1_17partition_subalgoE0EjNS0_10empty_typeEbEEZZNS1_14partition_implILS5_0ELb0ES3_jN6thrust23THRUST_200600_302600_NS6detail15normal_iteratorINSA_10device_ptrIjEEEEPS6_SG_NS0_5tupleIJNSA_16discard_iteratorINSA_11use_defaultEEESK_EEENSH_IJSG_SG_EEES6_PlJ7is_evenIjEEEE10hipError_tPvRmT3_T4_T5_T6_T7_T9_mT8_P12ihipStream_tbDpT10_ENKUlT_T0_E_clISt17integral_constantIbLb1EES18_IbLb0EEEEDaS14_S15_EUlS14_E_NS1_11comp_targetILNS1_3genE4ELNS1_11target_archE910ELNS1_3gpuE8ELNS1_3repE0EEENS1_30default_config_static_selectorELNS0_4arch9wavefront6targetE1EEEvT1_.kd
    .uniform_work_group_size: 1
    .uses_dynamic_stack: false
    .vgpr_count:     0
    .vgpr_spill_count: 0
    .wavefront_size: 64
  - .agpr_count:     0
    .args:
      - .offset:         0
        .size:           136
        .value_kind:     by_value
    .group_segment_fixed_size: 0
    .kernarg_segment_align: 8
    .kernarg_segment_size: 136
    .language:       OpenCL C
    .language_version:
      - 2
      - 0
    .max_flat_workgroup_size: 256
    .name:           _ZN7rocprim17ROCPRIM_400000_NS6detail17trampoline_kernelINS0_14default_configENS1_25partition_config_selectorILNS1_17partition_subalgoE0EjNS0_10empty_typeEbEEZZNS1_14partition_implILS5_0ELb0ES3_jN6thrust23THRUST_200600_302600_NS6detail15normal_iteratorINSA_10device_ptrIjEEEEPS6_SG_NS0_5tupleIJNSA_16discard_iteratorINSA_11use_defaultEEESK_EEENSH_IJSG_SG_EEES6_PlJ7is_evenIjEEEE10hipError_tPvRmT3_T4_T5_T6_T7_T9_mT8_P12ihipStream_tbDpT10_ENKUlT_T0_E_clISt17integral_constantIbLb1EES18_IbLb0EEEEDaS14_S15_EUlS14_E_NS1_11comp_targetILNS1_3genE3ELNS1_11target_archE908ELNS1_3gpuE7ELNS1_3repE0EEENS1_30default_config_static_selectorELNS0_4arch9wavefront6targetE1EEEvT1_
    .private_segment_fixed_size: 0
    .sgpr_count:     6
    .sgpr_spill_count: 0
    .symbol:         _ZN7rocprim17ROCPRIM_400000_NS6detail17trampoline_kernelINS0_14default_configENS1_25partition_config_selectorILNS1_17partition_subalgoE0EjNS0_10empty_typeEbEEZZNS1_14partition_implILS5_0ELb0ES3_jN6thrust23THRUST_200600_302600_NS6detail15normal_iteratorINSA_10device_ptrIjEEEEPS6_SG_NS0_5tupleIJNSA_16discard_iteratorINSA_11use_defaultEEESK_EEENSH_IJSG_SG_EEES6_PlJ7is_evenIjEEEE10hipError_tPvRmT3_T4_T5_T6_T7_T9_mT8_P12ihipStream_tbDpT10_ENKUlT_T0_E_clISt17integral_constantIbLb1EES18_IbLb0EEEEDaS14_S15_EUlS14_E_NS1_11comp_targetILNS1_3genE3ELNS1_11target_archE908ELNS1_3gpuE7ELNS1_3repE0EEENS1_30default_config_static_selectorELNS0_4arch9wavefront6targetE1EEEvT1_.kd
    .uniform_work_group_size: 1
    .uses_dynamic_stack: false
    .vgpr_count:     0
    .vgpr_spill_count: 0
    .wavefront_size: 64
  - .agpr_count:     0
    .args:
      - .offset:         0
        .size:           136
        .value_kind:     by_value
    .group_segment_fixed_size: 0
    .kernarg_segment_align: 8
    .kernarg_segment_size: 136
    .language:       OpenCL C
    .language_version:
      - 2
      - 0
    .max_flat_workgroup_size: 192
    .name:           _ZN7rocprim17ROCPRIM_400000_NS6detail17trampoline_kernelINS0_14default_configENS1_25partition_config_selectorILNS1_17partition_subalgoE0EjNS0_10empty_typeEbEEZZNS1_14partition_implILS5_0ELb0ES3_jN6thrust23THRUST_200600_302600_NS6detail15normal_iteratorINSA_10device_ptrIjEEEEPS6_SG_NS0_5tupleIJNSA_16discard_iteratorINSA_11use_defaultEEESK_EEENSH_IJSG_SG_EEES6_PlJ7is_evenIjEEEE10hipError_tPvRmT3_T4_T5_T6_T7_T9_mT8_P12ihipStream_tbDpT10_ENKUlT_T0_E_clISt17integral_constantIbLb1EES18_IbLb0EEEEDaS14_S15_EUlS14_E_NS1_11comp_targetILNS1_3genE2ELNS1_11target_archE906ELNS1_3gpuE6ELNS1_3repE0EEENS1_30default_config_static_selectorELNS0_4arch9wavefront6targetE1EEEvT1_
    .private_segment_fixed_size: 0
    .sgpr_count:     6
    .sgpr_spill_count: 0
    .symbol:         _ZN7rocprim17ROCPRIM_400000_NS6detail17trampoline_kernelINS0_14default_configENS1_25partition_config_selectorILNS1_17partition_subalgoE0EjNS0_10empty_typeEbEEZZNS1_14partition_implILS5_0ELb0ES3_jN6thrust23THRUST_200600_302600_NS6detail15normal_iteratorINSA_10device_ptrIjEEEEPS6_SG_NS0_5tupleIJNSA_16discard_iteratorINSA_11use_defaultEEESK_EEENSH_IJSG_SG_EEES6_PlJ7is_evenIjEEEE10hipError_tPvRmT3_T4_T5_T6_T7_T9_mT8_P12ihipStream_tbDpT10_ENKUlT_T0_E_clISt17integral_constantIbLb1EES18_IbLb0EEEEDaS14_S15_EUlS14_E_NS1_11comp_targetILNS1_3genE2ELNS1_11target_archE906ELNS1_3gpuE6ELNS1_3repE0EEENS1_30default_config_static_selectorELNS0_4arch9wavefront6targetE1EEEvT1_.kd
    .uniform_work_group_size: 1
    .uses_dynamic_stack: false
    .vgpr_count:     0
    .vgpr_spill_count: 0
    .wavefront_size: 64
  - .agpr_count:     0
    .args:
      - .offset:         0
        .size:           136
        .value_kind:     by_value
    .group_segment_fixed_size: 0
    .kernarg_segment_align: 8
    .kernarg_segment_size: 136
    .language:       OpenCL C
    .language_version:
      - 2
      - 0
    .max_flat_workgroup_size: 512
    .name:           _ZN7rocprim17ROCPRIM_400000_NS6detail17trampoline_kernelINS0_14default_configENS1_25partition_config_selectorILNS1_17partition_subalgoE0EjNS0_10empty_typeEbEEZZNS1_14partition_implILS5_0ELb0ES3_jN6thrust23THRUST_200600_302600_NS6detail15normal_iteratorINSA_10device_ptrIjEEEEPS6_SG_NS0_5tupleIJNSA_16discard_iteratorINSA_11use_defaultEEESK_EEENSH_IJSG_SG_EEES6_PlJ7is_evenIjEEEE10hipError_tPvRmT3_T4_T5_T6_T7_T9_mT8_P12ihipStream_tbDpT10_ENKUlT_T0_E_clISt17integral_constantIbLb1EES18_IbLb0EEEEDaS14_S15_EUlS14_E_NS1_11comp_targetILNS1_3genE10ELNS1_11target_archE1200ELNS1_3gpuE4ELNS1_3repE0EEENS1_30default_config_static_selectorELNS0_4arch9wavefront6targetE1EEEvT1_
    .private_segment_fixed_size: 0
    .sgpr_count:     6
    .sgpr_spill_count: 0
    .symbol:         _ZN7rocprim17ROCPRIM_400000_NS6detail17trampoline_kernelINS0_14default_configENS1_25partition_config_selectorILNS1_17partition_subalgoE0EjNS0_10empty_typeEbEEZZNS1_14partition_implILS5_0ELb0ES3_jN6thrust23THRUST_200600_302600_NS6detail15normal_iteratorINSA_10device_ptrIjEEEEPS6_SG_NS0_5tupleIJNSA_16discard_iteratorINSA_11use_defaultEEESK_EEENSH_IJSG_SG_EEES6_PlJ7is_evenIjEEEE10hipError_tPvRmT3_T4_T5_T6_T7_T9_mT8_P12ihipStream_tbDpT10_ENKUlT_T0_E_clISt17integral_constantIbLb1EES18_IbLb0EEEEDaS14_S15_EUlS14_E_NS1_11comp_targetILNS1_3genE10ELNS1_11target_archE1200ELNS1_3gpuE4ELNS1_3repE0EEENS1_30default_config_static_selectorELNS0_4arch9wavefront6targetE1EEEvT1_.kd
    .uniform_work_group_size: 1
    .uses_dynamic_stack: false
    .vgpr_count:     0
    .vgpr_spill_count: 0
    .wavefront_size: 64
  - .agpr_count:     0
    .args:
      - .offset:         0
        .size:           136
        .value_kind:     by_value
    .group_segment_fixed_size: 0
    .kernarg_segment_align: 8
    .kernarg_segment_size: 136
    .language:       OpenCL C
    .language_version:
      - 2
      - 0
    .max_flat_workgroup_size: 128
    .name:           _ZN7rocprim17ROCPRIM_400000_NS6detail17trampoline_kernelINS0_14default_configENS1_25partition_config_selectorILNS1_17partition_subalgoE0EjNS0_10empty_typeEbEEZZNS1_14partition_implILS5_0ELb0ES3_jN6thrust23THRUST_200600_302600_NS6detail15normal_iteratorINSA_10device_ptrIjEEEEPS6_SG_NS0_5tupleIJNSA_16discard_iteratorINSA_11use_defaultEEESK_EEENSH_IJSG_SG_EEES6_PlJ7is_evenIjEEEE10hipError_tPvRmT3_T4_T5_T6_T7_T9_mT8_P12ihipStream_tbDpT10_ENKUlT_T0_E_clISt17integral_constantIbLb1EES18_IbLb0EEEEDaS14_S15_EUlS14_E_NS1_11comp_targetILNS1_3genE9ELNS1_11target_archE1100ELNS1_3gpuE3ELNS1_3repE0EEENS1_30default_config_static_selectorELNS0_4arch9wavefront6targetE1EEEvT1_
    .private_segment_fixed_size: 0
    .sgpr_count:     6
    .sgpr_spill_count: 0
    .symbol:         _ZN7rocprim17ROCPRIM_400000_NS6detail17trampoline_kernelINS0_14default_configENS1_25partition_config_selectorILNS1_17partition_subalgoE0EjNS0_10empty_typeEbEEZZNS1_14partition_implILS5_0ELb0ES3_jN6thrust23THRUST_200600_302600_NS6detail15normal_iteratorINSA_10device_ptrIjEEEEPS6_SG_NS0_5tupleIJNSA_16discard_iteratorINSA_11use_defaultEEESK_EEENSH_IJSG_SG_EEES6_PlJ7is_evenIjEEEE10hipError_tPvRmT3_T4_T5_T6_T7_T9_mT8_P12ihipStream_tbDpT10_ENKUlT_T0_E_clISt17integral_constantIbLb1EES18_IbLb0EEEEDaS14_S15_EUlS14_E_NS1_11comp_targetILNS1_3genE9ELNS1_11target_archE1100ELNS1_3gpuE3ELNS1_3repE0EEENS1_30default_config_static_selectorELNS0_4arch9wavefront6targetE1EEEvT1_.kd
    .uniform_work_group_size: 1
    .uses_dynamic_stack: false
    .vgpr_count:     0
    .vgpr_spill_count: 0
    .wavefront_size: 64
  - .agpr_count:     0
    .args:
      - .offset:         0
        .size:           136
        .value_kind:     by_value
    .group_segment_fixed_size: 0
    .kernarg_segment_align: 8
    .kernarg_segment_size: 136
    .language:       OpenCL C
    .language_version:
      - 2
      - 0
    .max_flat_workgroup_size: 512
    .name:           _ZN7rocprim17ROCPRIM_400000_NS6detail17trampoline_kernelINS0_14default_configENS1_25partition_config_selectorILNS1_17partition_subalgoE0EjNS0_10empty_typeEbEEZZNS1_14partition_implILS5_0ELb0ES3_jN6thrust23THRUST_200600_302600_NS6detail15normal_iteratorINSA_10device_ptrIjEEEEPS6_SG_NS0_5tupleIJNSA_16discard_iteratorINSA_11use_defaultEEESK_EEENSH_IJSG_SG_EEES6_PlJ7is_evenIjEEEE10hipError_tPvRmT3_T4_T5_T6_T7_T9_mT8_P12ihipStream_tbDpT10_ENKUlT_T0_E_clISt17integral_constantIbLb1EES18_IbLb0EEEEDaS14_S15_EUlS14_E_NS1_11comp_targetILNS1_3genE8ELNS1_11target_archE1030ELNS1_3gpuE2ELNS1_3repE0EEENS1_30default_config_static_selectorELNS0_4arch9wavefront6targetE1EEEvT1_
    .private_segment_fixed_size: 0
    .sgpr_count:     6
    .sgpr_spill_count: 0
    .symbol:         _ZN7rocprim17ROCPRIM_400000_NS6detail17trampoline_kernelINS0_14default_configENS1_25partition_config_selectorILNS1_17partition_subalgoE0EjNS0_10empty_typeEbEEZZNS1_14partition_implILS5_0ELb0ES3_jN6thrust23THRUST_200600_302600_NS6detail15normal_iteratorINSA_10device_ptrIjEEEEPS6_SG_NS0_5tupleIJNSA_16discard_iteratorINSA_11use_defaultEEESK_EEENSH_IJSG_SG_EEES6_PlJ7is_evenIjEEEE10hipError_tPvRmT3_T4_T5_T6_T7_T9_mT8_P12ihipStream_tbDpT10_ENKUlT_T0_E_clISt17integral_constantIbLb1EES18_IbLb0EEEEDaS14_S15_EUlS14_E_NS1_11comp_targetILNS1_3genE8ELNS1_11target_archE1030ELNS1_3gpuE2ELNS1_3repE0EEENS1_30default_config_static_selectorELNS0_4arch9wavefront6targetE1EEEvT1_.kd
    .uniform_work_group_size: 1
    .uses_dynamic_stack: false
    .vgpr_count:     0
    .vgpr_spill_count: 0
    .wavefront_size: 64
  - .agpr_count:     0
    .args:
      - .offset:         0
        .size:           152
        .value_kind:     by_value
    .group_segment_fixed_size: 0
    .kernarg_segment_align: 8
    .kernarg_segment_size: 152
    .language:       OpenCL C
    .language_version:
      - 2
      - 0
    .max_flat_workgroup_size: 256
    .name:           _ZN7rocprim17ROCPRIM_400000_NS6detail17trampoline_kernelINS0_14default_configENS1_25partition_config_selectorILNS1_17partition_subalgoE0EjNS0_10empty_typeEbEEZZNS1_14partition_implILS5_0ELb0ES3_jN6thrust23THRUST_200600_302600_NS6detail15normal_iteratorINSA_10device_ptrIjEEEEPS6_SG_NS0_5tupleIJNSA_16discard_iteratorINSA_11use_defaultEEESK_EEENSH_IJSG_SG_EEES6_PlJ7is_evenIjEEEE10hipError_tPvRmT3_T4_T5_T6_T7_T9_mT8_P12ihipStream_tbDpT10_ENKUlT_T0_E_clISt17integral_constantIbLb0EES18_IbLb1EEEEDaS14_S15_EUlS14_E_NS1_11comp_targetILNS1_3genE0ELNS1_11target_archE4294967295ELNS1_3gpuE0ELNS1_3repE0EEENS1_30default_config_static_selectorELNS0_4arch9wavefront6targetE1EEEvT1_
    .private_segment_fixed_size: 0
    .sgpr_count:     6
    .sgpr_spill_count: 0
    .symbol:         _ZN7rocprim17ROCPRIM_400000_NS6detail17trampoline_kernelINS0_14default_configENS1_25partition_config_selectorILNS1_17partition_subalgoE0EjNS0_10empty_typeEbEEZZNS1_14partition_implILS5_0ELb0ES3_jN6thrust23THRUST_200600_302600_NS6detail15normal_iteratorINSA_10device_ptrIjEEEEPS6_SG_NS0_5tupleIJNSA_16discard_iteratorINSA_11use_defaultEEESK_EEENSH_IJSG_SG_EEES6_PlJ7is_evenIjEEEE10hipError_tPvRmT3_T4_T5_T6_T7_T9_mT8_P12ihipStream_tbDpT10_ENKUlT_T0_E_clISt17integral_constantIbLb0EES18_IbLb1EEEEDaS14_S15_EUlS14_E_NS1_11comp_targetILNS1_3genE0ELNS1_11target_archE4294967295ELNS1_3gpuE0ELNS1_3repE0EEENS1_30default_config_static_selectorELNS0_4arch9wavefront6targetE1EEEvT1_.kd
    .uniform_work_group_size: 1
    .uses_dynamic_stack: false
    .vgpr_count:     0
    .vgpr_spill_count: 0
    .wavefront_size: 64
  - .agpr_count:     0
    .args:
      - .offset:         0
        .size:           152
        .value_kind:     by_value
    .group_segment_fixed_size: 30728
    .kernarg_segment_align: 8
    .kernarg_segment_size: 152
    .language:       OpenCL C
    .language_version:
      - 2
      - 0
    .max_flat_workgroup_size: 512
    .name:           _ZN7rocprim17ROCPRIM_400000_NS6detail17trampoline_kernelINS0_14default_configENS1_25partition_config_selectorILNS1_17partition_subalgoE0EjNS0_10empty_typeEbEEZZNS1_14partition_implILS5_0ELb0ES3_jN6thrust23THRUST_200600_302600_NS6detail15normal_iteratorINSA_10device_ptrIjEEEEPS6_SG_NS0_5tupleIJNSA_16discard_iteratorINSA_11use_defaultEEESK_EEENSH_IJSG_SG_EEES6_PlJ7is_evenIjEEEE10hipError_tPvRmT3_T4_T5_T6_T7_T9_mT8_P12ihipStream_tbDpT10_ENKUlT_T0_E_clISt17integral_constantIbLb0EES18_IbLb1EEEEDaS14_S15_EUlS14_E_NS1_11comp_targetILNS1_3genE5ELNS1_11target_archE942ELNS1_3gpuE9ELNS1_3repE0EEENS1_30default_config_static_selectorELNS0_4arch9wavefront6targetE1EEEvT1_
    .private_segment_fixed_size: 0
    .sgpr_count:     42
    .sgpr_spill_count: 0
    .symbol:         _ZN7rocprim17ROCPRIM_400000_NS6detail17trampoline_kernelINS0_14default_configENS1_25partition_config_selectorILNS1_17partition_subalgoE0EjNS0_10empty_typeEbEEZZNS1_14partition_implILS5_0ELb0ES3_jN6thrust23THRUST_200600_302600_NS6detail15normal_iteratorINSA_10device_ptrIjEEEEPS6_SG_NS0_5tupleIJNSA_16discard_iteratorINSA_11use_defaultEEESK_EEENSH_IJSG_SG_EEES6_PlJ7is_evenIjEEEE10hipError_tPvRmT3_T4_T5_T6_T7_T9_mT8_P12ihipStream_tbDpT10_ENKUlT_T0_E_clISt17integral_constantIbLb0EES18_IbLb1EEEEDaS14_S15_EUlS14_E_NS1_11comp_targetILNS1_3genE5ELNS1_11target_archE942ELNS1_3gpuE9ELNS1_3repE0EEENS1_30default_config_static_selectorELNS0_4arch9wavefront6targetE1EEEvT1_.kd
    .uniform_work_group_size: 1
    .uses_dynamic_stack: false
    .vgpr_count:     77
    .vgpr_spill_count: 0
    .wavefront_size: 64
  - .agpr_count:     0
    .args:
      - .offset:         0
        .size:           152
        .value_kind:     by_value
    .group_segment_fixed_size: 0
    .kernarg_segment_align: 8
    .kernarg_segment_size: 152
    .language:       OpenCL C
    .language_version:
      - 2
      - 0
    .max_flat_workgroup_size: 256
    .name:           _ZN7rocprim17ROCPRIM_400000_NS6detail17trampoline_kernelINS0_14default_configENS1_25partition_config_selectorILNS1_17partition_subalgoE0EjNS0_10empty_typeEbEEZZNS1_14partition_implILS5_0ELb0ES3_jN6thrust23THRUST_200600_302600_NS6detail15normal_iteratorINSA_10device_ptrIjEEEEPS6_SG_NS0_5tupleIJNSA_16discard_iteratorINSA_11use_defaultEEESK_EEENSH_IJSG_SG_EEES6_PlJ7is_evenIjEEEE10hipError_tPvRmT3_T4_T5_T6_T7_T9_mT8_P12ihipStream_tbDpT10_ENKUlT_T0_E_clISt17integral_constantIbLb0EES18_IbLb1EEEEDaS14_S15_EUlS14_E_NS1_11comp_targetILNS1_3genE4ELNS1_11target_archE910ELNS1_3gpuE8ELNS1_3repE0EEENS1_30default_config_static_selectorELNS0_4arch9wavefront6targetE1EEEvT1_
    .private_segment_fixed_size: 0
    .sgpr_count:     6
    .sgpr_spill_count: 0
    .symbol:         _ZN7rocprim17ROCPRIM_400000_NS6detail17trampoline_kernelINS0_14default_configENS1_25partition_config_selectorILNS1_17partition_subalgoE0EjNS0_10empty_typeEbEEZZNS1_14partition_implILS5_0ELb0ES3_jN6thrust23THRUST_200600_302600_NS6detail15normal_iteratorINSA_10device_ptrIjEEEEPS6_SG_NS0_5tupleIJNSA_16discard_iteratorINSA_11use_defaultEEESK_EEENSH_IJSG_SG_EEES6_PlJ7is_evenIjEEEE10hipError_tPvRmT3_T4_T5_T6_T7_T9_mT8_P12ihipStream_tbDpT10_ENKUlT_T0_E_clISt17integral_constantIbLb0EES18_IbLb1EEEEDaS14_S15_EUlS14_E_NS1_11comp_targetILNS1_3genE4ELNS1_11target_archE910ELNS1_3gpuE8ELNS1_3repE0EEENS1_30default_config_static_selectorELNS0_4arch9wavefront6targetE1EEEvT1_.kd
    .uniform_work_group_size: 1
    .uses_dynamic_stack: false
    .vgpr_count:     0
    .vgpr_spill_count: 0
    .wavefront_size: 64
  - .agpr_count:     0
    .args:
      - .offset:         0
        .size:           152
        .value_kind:     by_value
    .group_segment_fixed_size: 0
    .kernarg_segment_align: 8
    .kernarg_segment_size: 152
    .language:       OpenCL C
    .language_version:
      - 2
      - 0
    .max_flat_workgroup_size: 256
    .name:           _ZN7rocprim17ROCPRIM_400000_NS6detail17trampoline_kernelINS0_14default_configENS1_25partition_config_selectorILNS1_17partition_subalgoE0EjNS0_10empty_typeEbEEZZNS1_14partition_implILS5_0ELb0ES3_jN6thrust23THRUST_200600_302600_NS6detail15normal_iteratorINSA_10device_ptrIjEEEEPS6_SG_NS0_5tupleIJNSA_16discard_iteratorINSA_11use_defaultEEESK_EEENSH_IJSG_SG_EEES6_PlJ7is_evenIjEEEE10hipError_tPvRmT3_T4_T5_T6_T7_T9_mT8_P12ihipStream_tbDpT10_ENKUlT_T0_E_clISt17integral_constantIbLb0EES18_IbLb1EEEEDaS14_S15_EUlS14_E_NS1_11comp_targetILNS1_3genE3ELNS1_11target_archE908ELNS1_3gpuE7ELNS1_3repE0EEENS1_30default_config_static_selectorELNS0_4arch9wavefront6targetE1EEEvT1_
    .private_segment_fixed_size: 0
    .sgpr_count:     6
    .sgpr_spill_count: 0
    .symbol:         _ZN7rocprim17ROCPRIM_400000_NS6detail17trampoline_kernelINS0_14default_configENS1_25partition_config_selectorILNS1_17partition_subalgoE0EjNS0_10empty_typeEbEEZZNS1_14partition_implILS5_0ELb0ES3_jN6thrust23THRUST_200600_302600_NS6detail15normal_iteratorINSA_10device_ptrIjEEEEPS6_SG_NS0_5tupleIJNSA_16discard_iteratorINSA_11use_defaultEEESK_EEENSH_IJSG_SG_EEES6_PlJ7is_evenIjEEEE10hipError_tPvRmT3_T4_T5_T6_T7_T9_mT8_P12ihipStream_tbDpT10_ENKUlT_T0_E_clISt17integral_constantIbLb0EES18_IbLb1EEEEDaS14_S15_EUlS14_E_NS1_11comp_targetILNS1_3genE3ELNS1_11target_archE908ELNS1_3gpuE7ELNS1_3repE0EEENS1_30default_config_static_selectorELNS0_4arch9wavefront6targetE1EEEvT1_.kd
    .uniform_work_group_size: 1
    .uses_dynamic_stack: false
    .vgpr_count:     0
    .vgpr_spill_count: 0
    .wavefront_size: 64
  - .agpr_count:     0
    .args:
      - .offset:         0
        .size:           152
        .value_kind:     by_value
    .group_segment_fixed_size: 0
    .kernarg_segment_align: 8
    .kernarg_segment_size: 152
    .language:       OpenCL C
    .language_version:
      - 2
      - 0
    .max_flat_workgroup_size: 192
    .name:           _ZN7rocprim17ROCPRIM_400000_NS6detail17trampoline_kernelINS0_14default_configENS1_25partition_config_selectorILNS1_17partition_subalgoE0EjNS0_10empty_typeEbEEZZNS1_14partition_implILS5_0ELb0ES3_jN6thrust23THRUST_200600_302600_NS6detail15normal_iteratorINSA_10device_ptrIjEEEEPS6_SG_NS0_5tupleIJNSA_16discard_iteratorINSA_11use_defaultEEESK_EEENSH_IJSG_SG_EEES6_PlJ7is_evenIjEEEE10hipError_tPvRmT3_T4_T5_T6_T7_T9_mT8_P12ihipStream_tbDpT10_ENKUlT_T0_E_clISt17integral_constantIbLb0EES18_IbLb1EEEEDaS14_S15_EUlS14_E_NS1_11comp_targetILNS1_3genE2ELNS1_11target_archE906ELNS1_3gpuE6ELNS1_3repE0EEENS1_30default_config_static_selectorELNS0_4arch9wavefront6targetE1EEEvT1_
    .private_segment_fixed_size: 0
    .sgpr_count:     6
    .sgpr_spill_count: 0
    .symbol:         _ZN7rocprim17ROCPRIM_400000_NS6detail17trampoline_kernelINS0_14default_configENS1_25partition_config_selectorILNS1_17partition_subalgoE0EjNS0_10empty_typeEbEEZZNS1_14partition_implILS5_0ELb0ES3_jN6thrust23THRUST_200600_302600_NS6detail15normal_iteratorINSA_10device_ptrIjEEEEPS6_SG_NS0_5tupleIJNSA_16discard_iteratorINSA_11use_defaultEEESK_EEENSH_IJSG_SG_EEES6_PlJ7is_evenIjEEEE10hipError_tPvRmT3_T4_T5_T6_T7_T9_mT8_P12ihipStream_tbDpT10_ENKUlT_T0_E_clISt17integral_constantIbLb0EES18_IbLb1EEEEDaS14_S15_EUlS14_E_NS1_11comp_targetILNS1_3genE2ELNS1_11target_archE906ELNS1_3gpuE6ELNS1_3repE0EEENS1_30default_config_static_selectorELNS0_4arch9wavefront6targetE1EEEvT1_.kd
    .uniform_work_group_size: 1
    .uses_dynamic_stack: false
    .vgpr_count:     0
    .vgpr_spill_count: 0
    .wavefront_size: 64
  - .agpr_count:     0
    .args:
      - .offset:         0
        .size:           152
        .value_kind:     by_value
    .group_segment_fixed_size: 0
    .kernarg_segment_align: 8
    .kernarg_segment_size: 152
    .language:       OpenCL C
    .language_version:
      - 2
      - 0
    .max_flat_workgroup_size: 512
    .name:           _ZN7rocprim17ROCPRIM_400000_NS6detail17trampoline_kernelINS0_14default_configENS1_25partition_config_selectorILNS1_17partition_subalgoE0EjNS0_10empty_typeEbEEZZNS1_14partition_implILS5_0ELb0ES3_jN6thrust23THRUST_200600_302600_NS6detail15normal_iteratorINSA_10device_ptrIjEEEEPS6_SG_NS0_5tupleIJNSA_16discard_iteratorINSA_11use_defaultEEESK_EEENSH_IJSG_SG_EEES6_PlJ7is_evenIjEEEE10hipError_tPvRmT3_T4_T5_T6_T7_T9_mT8_P12ihipStream_tbDpT10_ENKUlT_T0_E_clISt17integral_constantIbLb0EES18_IbLb1EEEEDaS14_S15_EUlS14_E_NS1_11comp_targetILNS1_3genE10ELNS1_11target_archE1200ELNS1_3gpuE4ELNS1_3repE0EEENS1_30default_config_static_selectorELNS0_4arch9wavefront6targetE1EEEvT1_
    .private_segment_fixed_size: 0
    .sgpr_count:     6
    .sgpr_spill_count: 0
    .symbol:         _ZN7rocprim17ROCPRIM_400000_NS6detail17trampoline_kernelINS0_14default_configENS1_25partition_config_selectorILNS1_17partition_subalgoE0EjNS0_10empty_typeEbEEZZNS1_14partition_implILS5_0ELb0ES3_jN6thrust23THRUST_200600_302600_NS6detail15normal_iteratorINSA_10device_ptrIjEEEEPS6_SG_NS0_5tupleIJNSA_16discard_iteratorINSA_11use_defaultEEESK_EEENSH_IJSG_SG_EEES6_PlJ7is_evenIjEEEE10hipError_tPvRmT3_T4_T5_T6_T7_T9_mT8_P12ihipStream_tbDpT10_ENKUlT_T0_E_clISt17integral_constantIbLb0EES18_IbLb1EEEEDaS14_S15_EUlS14_E_NS1_11comp_targetILNS1_3genE10ELNS1_11target_archE1200ELNS1_3gpuE4ELNS1_3repE0EEENS1_30default_config_static_selectorELNS0_4arch9wavefront6targetE1EEEvT1_.kd
    .uniform_work_group_size: 1
    .uses_dynamic_stack: false
    .vgpr_count:     0
    .vgpr_spill_count: 0
    .wavefront_size: 64
  - .agpr_count:     0
    .args:
      - .offset:         0
        .size:           152
        .value_kind:     by_value
    .group_segment_fixed_size: 0
    .kernarg_segment_align: 8
    .kernarg_segment_size: 152
    .language:       OpenCL C
    .language_version:
      - 2
      - 0
    .max_flat_workgroup_size: 128
    .name:           _ZN7rocprim17ROCPRIM_400000_NS6detail17trampoline_kernelINS0_14default_configENS1_25partition_config_selectorILNS1_17partition_subalgoE0EjNS0_10empty_typeEbEEZZNS1_14partition_implILS5_0ELb0ES3_jN6thrust23THRUST_200600_302600_NS6detail15normal_iteratorINSA_10device_ptrIjEEEEPS6_SG_NS0_5tupleIJNSA_16discard_iteratorINSA_11use_defaultEEESK_EEENSH_IJSG_SG_EEES6_PlJ7is_evenIjEEEE10hipError_tPvRmT3_T4_T5_T6_T7_T9_mT8_P12ihipStream_tbDpT10_ENKUlT_T0_E_clISt17integral_constantIbLb0EES18_IbLb1EEEEDaS14_S15_EUlS14_E_NS1_11comp_targetILNS1_3genE9ELNS1_11target_archE1100ELNS1_3gpuE3ELNS1_3repE0EEENS1_30default_config_static_selectorELNS0_4arch9wavefront6targetE1EEEvT1_
    .private_segment_fixed_size: 0
    .sgpr_count:     6
    .sgpr_spill_count: 0
    .symbol:         _ZN7rocprim17ROCPRIM_400000_NS6detail17trampoline_kernelINS0_14default_configENS1_25partition_config_selectorILNS1_17partition_subalgoE0EjNS0_10empty_typeEbEEZZNS1_14partition_implILS5_0ELb0ES3_jN6thrust23THRUST_200600_302600_NS6detail15normal_iteratorINSA_10device_ptrIjEEEEPS6_SG_NS0_5tupleIJNSA_16discard_iteratorINSA_11use_defaultEEESK_EEENSH_IJSG_SG_EEES6_PlJ7is_evenIjEEEE10hipError_tPvRmT3_T4_T5_T6_T7_T9_mT8_P12ihipStream_tbDpT10_ENKUlT_T0_E_clISt17integral_constantIbLb0EES18_IbLb1EEEEDaS14_S15_EUlS14_E_NS1_11comp_targetILNS1_3genE9ELNS1_11target_archE1100ELNS1_3gpuE3ELNS1_3repE0EEENS1_30default_config_static_selectorELNS0_4arch9wavefront6targetE1EEEvT1_.kd
    .uniform_work_group_size: 1
    .uses_dynamic_stack: false
    .vgpr_count:     0
    .vgpr_spill_count: 0
    .wavefront_size: 64
  - .agpr_count:     0
    .args:
      - .offset:         0
        .size:           152
        .value_kind:     by_value
    .group_segment_fixed_size: 0
    .kernarg_segment_align: 8
    .kernarg_segment_size: 152
    .language:       OpenCL C
    .language_version:
      - 2
      - 0
    .max_flat_workgroup_size: 512
    .name:           _ZN7rocprim17ROCPRIM_400000_NS6detail17trampoline_kernelINS0_14default_configENS1_25partition_config_selectorILNS1_17partition_subalgoE0EjNS0_10empty_typeEbEEZZNS1_14partition_implILS5_0ELb0ES3_jN6thrust23THRUST_200600_302600_NS6detail15normal_iteratorINSA_10device_ptrIjEEEEPS6_SG_NS0_5tupleIJNSA_16discard_iteratorINSA_11use_defaultEEESK_EEENSH_IJSG_SG_EEES6_PlJ7is_evenIjEEEE10hipError_tPvRmT3_T4_T5_T6_T7_T9_mT8_P12ihipStream_tbDpT10_ENKUlT_T0_E_clISt17integral_constantIbLb0EES18_IbLb1EEEEDaS14_S15_EUlS14_E_NS1_11comp_targetILNS1_3genE8ELNS1_11target_archE1030ELNS1_3gpuE2ELNS1_3repE0EEENS1_30default_config_static_selectorELNS0_4arch9wavefront6targetE1EEEvT1_
    .private_segment_fixed_size: 0
    .sgpr_count:     6
    .sgpr_spill_count: 0
    .symbol:         _ZN7rocprim17ROCPRIM_400000_NS6detail17trampoline_kernelINS0_14default_configENS1_25partition_config_selectorILNS1_17partition_subalgoE0EjNS0_10empty_typeEbEEZZNS1_14partition_implILS5_0ELb0ES3_jN6thrust23THRUST_200600_302600_NS6detail15normal_iteratorINSA_10device_ptrIjEEEEPS6_SG_NS0_5tupleIJNSA_16discard_iteratorINSA_11use_defaultEEESK_EEENSH_IJSG_SG_EEES6_PlJ7is_evenIjEEEE10hipError_tPvRmT3_T4_T5_T6_T7_T9_mT8_P12ihipStream_tbDpT10_ENKUlT_T0_E_clISt17integral_constantIbLb0EES18_IbLb1EEEEDaS14_S15_EUlS14_E_NS1_11comp_targetILNS1_3genE8ELNS1_11target_archE1030ELNS1_3gpuE2ELNS1_3repE0EEENS1_30default_config_static_selectorELNS0_4arch9wavefront6targetE1EEEvT1_.kd
    .uniform_work_group_size: 1
    .uses_dynamic_stack: false
    .vgpr_count:     0
    .vgpr_spill_count: 0
    .wavefront_size: 64
  - .agpr_count:     0
    .args:
      - .offset:         0
        .size:           128
        .value_kind:     by_value
    .group_segment_fixed_size: 0
    .kernarg_segment_align: 8
    .kernarg_segment_size: 128
    .language:       OpenCL C
    .language_version:
      - 2
      - 0
    .max_flat_workgroup_size: 256
    .name:           _ZN7rocprim17ROCPRIM_400000_NS6detail17trampoline_kernelINS0_14default_configENS1_25partition_config_selectorILNS1_17partition_subalgoE0EjNS0_10empty_typeEbEEZZNS1_14partition_implILS5_0ELb0ES3_jN6thrust23THRUST_200600_302600_NS6detail15normal_iteratorINSA_10device_ptrIjEEEEPS6_SG_NS0_5tupleIJSF_NSA_16discard_iteratorINSA_11use_defaultEEEEEENSH_IJSG_SG_EEES6_PlJ7is_evenIjEEEE10hipError_tPvRmT3_T4_T5_T6_T7_T9_mT8_P12ihipStream_tbDpT10_ENKUlT_T0_E_clISt17integral_constantIbLb0EES19_EEDaS14_S15_EUlS14_E_NS1_11comp_targetILNS1_3genE0ELNS1_11target_archE4294967295ELNS1_3gpuE0ELNS1_3repE0EEENS1_30default_config_static_selectorELNS0_4arch9wavefront6targetE1EEEvT1_
    .private_segment_fixed_size: 0
    .sgpr_count:     6
    .sgpr_spill_count: 0
    .symbol:         _ZN7rocprim17ROCPRIM_400000_NS6detail17trampoline_kernelINS0_14default_configENS1_25partition_config_selectorILNS1_17partition_subalgoE0EjNS0_10empty_typeEbEEZZNS1_14partition_implILS5_0ELb0ES3_jN6thrust23THRUST_200600_302600_NS6detail15normal_iteratorINSA_10device_ptrIjEEEEPS6_SG_NS0_5tupleIJSF_NSA_16discard_iteratorINSA_11use_defaultEEEEEENSH_IJSG_SG_EEES6_PlJ7is_evenIjEEEE10hipError_tPvRmT3_T4_T5_T6_T7_T9_mT8_P12ihipStream_tbDpT10_ENKUlT_T0_E_clISt17integral_constantIbLb0EES19_EEDaS14_S15_EUlS14_E_NS1_11comp_targetILNS1_3genE0ELNS1_11target_archE4294967295ELNS1_3gpuE0ELNS1_3repE0EEENS1_30default_config_static_selectorELNS0_4arch9wavefront6targetE1EEEvT1_.kd
    .uniform_work_group_size: 1
    .uses_dynamic_stack: false
    .vgpr_count:     0
    .vgpr_spill_count: 0
    .wavefront_size: 64
  - .agpr_count:     0
    .args:
      - .offset:         0
        .size:           128
        .value_kind:     by_value
    .group_segment_fixed_size: 30728
    .kernarg_segment_align: 8
    .kernarg_segment_size: 128
    .language:       OpenCL C
    .language_version:
      - 2
      - 0
    .max_flat_workgroup_size: 512
    .name:           _ZN7rocprim17ROCPRIM_400000_NS6detail17trampoline_kernelINS0_14default_configENS1_25partition_config_selectorILNS1_17partition_subalgoE0EjNS0_10empty_typeEbEEZZNS1_14partition_implILS5_0ELb0ES3_jN6thrust23THRUST_200600_302600_NS6detail15normal_iteratorINSA_10device_ptrIjEEEEPS6_SG_NS0_5tupleIJSF_NSA_16discard_iteratorINSA_11use_defaultEEEEEENSH_IJSG_SG_EEES6_PlJ7is_evenIjEEEE10hipError_tPvRmT3_T4_T5_T6_T7_T9_mT8_P12ihipStream_tbDpT10_ENKUlT_T0_E_clISt17integral_constantIbLb0EES19_EEDaS14_S15_EUlS14_E_NS1_11comp_targetILNS1_3genE5ELNS1_11target_archE942ELNS1_3gpuE9ELNS1_3repE0EEENS1_30default_config_static_selectorELNS0_4arch9wavefront6targetE1EEEvT1_
    .private_segment_fixed_size: 0
    .sgpr_count:     46
    .sgpr_spill_count: 0
    .symbol:         _ZN7rocprim17ROCPRIM_400000_NS6detail17trampoline_kernelINS0_14default_configENS1_25partition_config_selectorILNS1_17partition_subalgoE0EjNS0_10empty_typeEbEEZZNS1_14partition_implILS5_0ELb0ES3_jN6thrust23THRUST_200600_302600_NS6detail15normal_iteratorINSA_10device_ptrIjEEEEPS6_SG_NS0_5tupleIJSF_NSA_16discard_iteratorINSA_11use_defaultEEEEEENSH_IJSG_SG_EEES6_PlJ7is_evenIjEEEE10hipError_tPvRmT3_T4_T5_T6_T7_T9_mT8_P12ihipStream_tbDpT10_ENKUlT_T0_E_clISt17integral_constantIbLb0EES19_EEDaS14_S15_EUlS14_E_NS1_11comp_targetILNS1_3genE5ELNS1_11target_archE942ELNS1_3gpuE9ELNS1_3repE0EEENS1_30default_config_static_selectorELNS0_4arch9wavefront6targetE1EEEvT1_.kd
    .uniform_work_group_size: 1
    .uses_dynamic_stack: false
    .vgpr_count:     76
    .vgpr_spill_count: 0
    .wavefront_size: 64
  - .agpr_count:     0
    .args:
      - .offset:         0
        .size:           128
        .value_kind:     by_value
    .group_segment_fixed_size: 0
    .kernarg_segment_align: 8
    .kernarg_segment_size: 128
    .language:       OpenCL C
    .language_version:
      - 2
      - 0
    .max_flat_workgroup_size: 256
    .name:           _ZN7rocprim17ROCPRIM_400000_NS6detail17trampoline_kernelINS0_14default_configENS1_25partition_config_selectorILNS1_17partition_subalgoE0EjNS0_10empty_typeEbEEZZNS1_14partition_implILS5_0ELb0ES3_jN6thrust23THRUST_200600_302600_NS6detail15normal_iteratorINSA_10device_ptrIjEEEEPS6_SG_NS0_5tupleIJSF_NSA_16discard_iteratorINSA_11use_defaultEEEEEENSH_IJSG_SG_EEES6_PlJ7is_evenIjEEEE10hipError_tPvRmT3_T4_T5_T6_T7_T9_mT8_P12ihipStream_tbDpT10_ENKUlT_T0_E_clISt17integral_constantIbLb0EES19_EEDaS14_S15_EUlS14_E_NS1_11comp_targetILNS1_3genE4ELNS1_11target_archE910ELNS1_3gpuE8ELNS1_3repE0EEENS1_30default_config_static_selectorELNS0_4arch9wavefront6targetE1EEEvT1_
    .private_segment_fixed_size: 0
    .sgpr_count:     6
    .sgpr_spill_count: 0
    .symbol:         _ZN7rocprim17ROCPRIM_400000_NS6detail17trampoline_kernelINS0_14default_configENS1_25partition_config_selectorILNS1_17partition_subalgoE0EjNS0_10empty_typeEbEEZZNS1_14partition_implILS5_0ELb0ES3_jN6thrust23THRUST_200600_302600_NS6detail15normal_iteratorINSA_10device_ptrIjEEEEPS6_SG_NS0_5tupleIJSF_NSA_16discard_iteratorINSA_11use_defaultEEEEEENSH_IJSG_SG_EEES6_PlJ7is_evenIjEEEE10hipError_tPvRmT3_T4_T5_T6_T7_T9_mT8_P12ihipStream_tbDpT10_ENKUlT_T0_E_clISt17integral_constantIbLb0EES19_EEDaS14_S15_EUlS14_E_NS1_11comp_targetILNS1_3genE4ELNS1_11target_archE910ELNS1_3gpuE8ELNS1_3repE0EEENS1_30default_config_static_selectorELNS0_4arch9wavefront6targetE1EEEvT1_.kd
    .uniform_work_group_size: 1
    .uses_dynamic_stack: false
    .vgpr_count:     0
    .vgpr_spill_count: 0
    .wavefront_size: 64
  - .agpr_count:     0
    .args:
      - .offset:         0
        .size:           128
        .value_kind:     by_value
    .group_segment_fixed_size: 0
    .kernarg_segment_align: 8
    .kernarg_segment_size: 128
    .language:       OpenCL C
    .language_version:
      - 2
      - 0
    .max_flat_workgroup_size: 256
    .name:           _ZN7rocprim17ROCPRIM_400000_NS6detail17trampoline_kernelINS0_14default_configENS1_25partition_config_selectorILNS1_17partition_subalgoE0EjNS0_10empty_typeEbEEZZNS1_14partition_implILS5_0ELb0ES3_jN6thrust23THRUST_200600_302600_NS6detail15normal_iteratorINSA_10device_ptrIjEEEEPS6_SG_NS0_5tupleIJSF_NSA_16discard_iteratorINSA_11use_defaultEEEEEENSH_IJSG_SG_EEES6_PlJ7is_evenIjEEEE10hipError_tPvRmT3_T4_T5_T6_T7_T9_mT8_P12ihipStream_tbDpT10_ENKUlT_T0_E_clISt17integral_constantIbLb0EES19_EEDaS14_S15_EUlS14_E_NS1_11comp_targetILNS1_3genE3ELNS1_11target_archE908ELNS1_3gpuE7ELNS1_3repE0EEENS1_30default_config_static_selectorELNS0_4arch9wavefront6targetE1EEEvT1_
    .private_segment_fixed_size: 0
    .sgpr_count:     6
    .sgpr_spill_count: 0
    .symbol:         _ZN7rocprim17ROCPRIM_400000_NS6detail17trampoline_kernelINS0_14default_configENS1_25partition_config_selectorILNS1_17partition_subalgoE0EjNS0_10empty_typeEbEEZZNS1_14partition_implILS5_0ELb0ES3_jN6thrust23THRUST_200600_302600_NS6detail15normal_iteratorINSA_10device_ptrIjEEEEPS6_SG_NS0_5tupleIJSF_NSA_16discard_iteratorINSA_11use_defaultEEEEEENSH_IJSG_SG_EEES6_PlJ7is_evenIjEEEE10hipError_tPvRmT3_T4_T5_T6_T7_T9_mT8_P12ihipStream_tbDpT10_ENKUlT_T0_E_clISt17integral_constantIbLb0EES19_EEDaS14_S15_EUlS14_E_NS1_11comp_targetILNS1_3genE3ELNS1_11target_archE908ELNS1_3gpuE7ELNS1_3repE0EEENS1_30default_config_static_selectorELNS0_4arch9wavefront6targetE1EEEvT1_.kd
    .uniform_work_group_size: 1
    .uses_dynamic_stack: false
    .vgpr_count:     0
    .vgpr_spill_count: 0
    .wavefront_size: 64
  - .agpr_count:     0
    .args:
      - .offset:         0
        .size:           128
        .value_kind:     by_value
    .group_segment_fixed_size: 0
    .kernarg_segment_align: 8
    .kernarg_segment_size: 128
    .language:       OpenCL C
    .language_version:
      - 2
      - 0
    .max_flat_workgroup_size: 192
    .name:           _ZN7rocprim17ROCPRIM_400000_NS6detail17trampoline_kernelINS0_14default_configENS1_25partition_config_selectorILNS1_17partition_subalgoE0EjNS0_10empty_typeEbEEZZNS1_14partition_implILS5_0ELb0ES3_jN6thrust23THRUST_200600_302600_NS6detail15normal_iteratorINSA_10device_ptrIjEEEEPS6_SG_NS0_5tupleIJSF_NSA_16discard_iteratorINSA_11use_defaultEEEEEENSH_IJSG_SG_EEES6_PlJ7is_evenIjEEEE10hipError_tPvRmT3_T4_T5_T6_T7_T9_mT8_P12ihipStream_tbDpT10_ENKUlT_T0_E_clISt17integral_constantIbLb0EES19_EEDaS14_S15_EUlS14_E_NS1_11comp_targetILNS1_3genE2ELNS1_11target_archE906ELNS1_3gpuE6ELNS1_3repE0EEENS1_30default_config_static_selectorELNS0_4arch9wavefront6targetE1EEEvT1_
    .private_segment_fixed_size: 0
    .sgpr_count:     6
    .sgpr_spill_count: 0
    .symbol:         _ZN7rocprim17ROCPRIM_400000_NS6detail17trampoline_kernelINS0_14default_configENS1_25partition_config_selectorILNS1_17partition_subalgoE0EjNS0_10empty_typeEbEEZZNS1_14partition_implILS5_0ELb0ES3_jN6thrust23THRUST_200600_302600_NS6detail15normal_iteratorINSA_10device_ptrIjEEEEPS6_SG_NS0_5tupleIJSF_NSA_16discard_iteratorINSA_11use_defaultEEEEEENSH_IJSG_SG_EEES6_PlJ7is_evenIjEEEE10hipError_tPvRmT3_T4_T5_T6_T7_T9_mT8_P12ihipStream_tbDpT10_ENKUlT_T0_E_clISt17integral_constantIbLb0EES19_EEDaS14_S15_EUlS14_E_NS1_11comp_targetILNS1_3genE2ELNS1_11target_archE906ELNS1_3gpuE6ELNS1_3repE0EEENS1_30default_config_static_selectorELNS0_4arch9wavefront6targetE1EEEvT1_.kd
    .uniform_work_group_size: 1
    .uses_dynamic_stack: false
    .vgpr_count:     0
    .vgpr_spill_count: 0
    .wavefront_size: 64
  - .agpr_count:     0
    .args:
      - .offset:         0
        .size:           128
        .value_kind:     by_value
    .group_segment_fixed_size: 0
    .kernarg_segment_align: 8
    .kernarg_segment_size: 128
    .language:       OpenCL C
    .language_version:
      - 2
      - 0
    .max_flat_workgroup_size: 512
    .name:           _ZN7rocprim17ROCPRIM_400000_NS6detail17trampoline_kernelINS0_14default_configENS1_25partition_config_selectorILNS1_17partition_subalgoE0EjNS0_10empty_typeEbEEZZNS1_14partition_implILS5_0ELb0ES3_jN6thrust23THRUST_200600_302600_NS6detail15normal_iteratorINSA_10device_ptrIjEEEEPS6_SG_NS0_5tupleIJSF_NSA_16discard_iteratorINSA_11use_defaultEEEEEENSH_IJSG_SG_EEES6_PlJ7is_evenIjEEEE10hipError_tPvRmT3_T4_T5_T6_T7_T9_mT8_P12ihipStream_tbDpT10_ENKUlT_T0_E_clISt17integral_constantIbLb0EES19_EEDaS14_S15_EUlS14_E_NS1_11comp_targetILNS1_3genE10ELNS1_11target_archE1200ELNS1_3gpuE4ELNS1_3repE0EEENS1_30default_config_static_selectorELNS0_4arch9wavefront6targetE1EEEvT1_
    .private_segment_fixed_size: 0
    .sgpr_count:     6
    .sgpr_spill_count: 0
    .symbol:         _ZN7rocprim17ROCPRIM_400000_NS6detail17trampoline_kernelINS0_14default_configENS1_25partition_config_selectorILNS1_17partition_subalgoE0EjNS0_10empty_typeEbEEZZNS1_14partition_implILS5_0ELb0ES3_jN6thrust23THRUST_200600_302600_NS6detail15normal_iteratorINSA_10device_ptrIjEEEEPS6_SG_NS0_5tupleIJSF_NSA_16discard_iteratorINSA_11use_defaultEEEEEENSH_IJSG_SG_EEES6_PlJ7is_evenIjEEEE10hipError_tPvRmT3_T4_T5_T6_T7_T9_mT8_P12ihipStream_tbDpT10_ENKUlT_T0_E_clISt17integral_constantIbLb0EES19_EEDaS14_S15_EUlS14_E_NS1_11comp_targetILNS1_3genE10ELNS1_11target_archE1200ELNS1_3gpuE4ELNS1_3repE0EEENS1_30default_config_static_selectorELNS0_4arch9wavefront6targetE1EEEvT1_.kd
    .uniform_work_group_size: 1
    .uses_dynamic_stack: false
    .vgpr_count:     0
    .vgpr_spill_count: 0
    .wavefront_size: 64
  - .agpr_count:     0
    .args:
      - .offset:         0
        .size:           128
        .value_kind:     by_value
    .group_segment_fixed_size: 0
    .kernarg_segment_align: 8
    .kernarg_segment_size: 128
    .language:       OpenCL C
    .language_version:
      - 2
      - 0
    .max_flat_workgroup_size: 128
    .name:           _ZN7rocprim17ROCPRIM_400000_NS6detail17trampoline_kernelINS0_14default_configENS1_25partition_config_selectorILNS1_17partition_subalgoE0EjNS0_10empty_typeEbEEZZNS1_14partition_implILS5_0ELb0ES3_jN6thrust23THRUST_200600_302600_NS6detail15normal_iteratorINSA_10device_ptrIjEEEEPS6_SG_NS0_5tupleIJSF_NSA_16discard_iteratorINSA_11use_defaultEEEEEENSH_IJSG_SG_EEES6_PlJ7is_evenIjEEEE10hipError_tPvRmT3_T4_T5_T6_T7_T9_mT8_P12ihipStream_tbDpT10_ENKUlT_T0_E_clISt17integral_constantIbLb0EES19_EEDaS14_S15_EUlS14_E_NS1_11comp_targetILNS1_3genE9ELNS1_11target_archE1100ELNS1_3gpuE3ELNS1_3repE0EEENS1_30default_config_static_selectorELNS0_4arch9wavefront6targetE1EEEvT1_
    .private_segment_fixed_size: 0
    .sgpr_count:     6
    .sgpr_spill_count: 0
    .symbol:         _ZN7rocprim17ROCPRIM_400000_NS6detail17trampoline_kernelINS0_14default_configENS1_25partition_config_selectorILNS1_17partition_subalgoE0EjNS0_10empty_typeEbEEZZNS1_14partition_implILS5_0ELb0ES3_jN6thrust23THRUST_200600_302600_NS6detail15normal_iteratorINSA_10device_ptrIjEEEEPS6_SG_NS0_5tupleIJSF_NSA_16discard_iteratorINSA_11use_defaultEEEEEENSH_IJSG_SG_EEES6_PlJ7is_evenIjEEEE10hipError_tPvRmT3_T4_T5_T6_T7_T9_mT8_P12ihipStream_tbDpT10_ENKUlT_T0_E_clISt17integral_constantIbLb0EES19_EEDaS14_S15_EUlS14_E_NS1_11comp_targetILNS1_3genE9ELNS1_11target_archE1100ELNS1_3gpuE3ELNS1_3repE0EEENS1_30default_config_static_selectorELNS0_4arch9wavefront6targetE1EEEvT1_.kd
    .uniform_work_group_size: 1
    .uses_dynamic_stack: false
    .vgpr_count:     0
    .vgpr_spill_count: 0
    .wavefront_size: 64
  - .agpr_count:     0
    .args:
      - .offset:         0
        .size:           128
        .value_kind:     by_value
    .group_segment_fixed_size: 0
    .kernarg_segment_align: 8
    .kernarg_segment_size: 128
    .language:       OpenCL C
    .language_version:
      - 2
      - 0
    .max_flat_workgroup_size: 512
    .name:           _ZN7rocprim17ROCPRIM_400000_NS6detail17trampoline_kernelINS0_14default_configENS1_25partition_config_selectorILNS1_17partition_subalgoE0EjNS0_10empty_typeEbEEZZNS1_14partition_implILS5_0ELb0ES3_jN6thrust23THRUST_200600_302600_NS6detail15normal_iteratorINSA_10device_ptrIjEEEEPS6_SG_NS0_5tupleIJSF_NSA_16discard_iteratorINSA_11use_defaultEEEEEENSH_IJSG_SG_EEES6_PlJ7is_evenIjEEEE10hipError_tPvRmT3_T4_T5_T6_T7_T9_mT8_P12ihipStream_tbDpT10_ENKUlT_T0_E_clISt17integral_constantIbLb0EES19_EEDaS14_S15_EUlS14_E_NS1_11comp_targetILNS1_3genE8ELNS1_11target_archE1030ELNS1_3gpuE2ELNS1_3repE0EEENS1_30default_config_static_selectorELNS0_4arch9wavefront6targetE1EEEvT1_
    .private_segment_fixed_size: 0
    .sgpr_count:     6
    .sgpr_spill_count: 0
    .symbol:         _ZN7rocprim17ROCPRIM_400000_NS6detail17trampoline_kernelINS0_14default_configENS1_25partition_config_selectorILNS1_17partition_subalgoE0EjNS0_10empty_typeEbEEZZNS1_14partition_implILS5_0ELb0ES3_jN6thrust23THRUST_200600_302600_NS6detail15normal_iteratorINSA_10device_ptrIjEEEEPS6_SG_NS0_5tupleIJSF_NSA_16discard_iteratorINSA_11use_defaultEEEEEENSH_IJSG_SG_EEES6_PlJ7is_evenIjEEEE10hipError_tPvRmT3_T4_T5_T6_T7_T9_mT8_P12ihipStream_tbDpT10_ENKUlT_T0_E_clISt17integral_constantIbLb0EES19_EEDaS14_S15_EUlS14_E_NS1_11comp_targetILNS1_3genE8ELNS1_11target_archE1030ELNS1_3gpuE2ELNS1_3repE0EEENS1_30default_config_static_selectorELNS0_4arch9wavefront6targetE1EEEvT1_.kd
    .uniform_work_group_size: 1
    .uses_dynamic_stack: false
    .vgpr_count:     0
    .vgpr_spill_count: 0
    .wavefront_size: 64
  - .agpr_count:     0
    .args:
      - .offset:         0
        .size:           144
        .value_kind:     by_value
    .group_segment_fixed_size: 0
    .kernarg_segment_align: 8
    .kernarg_segment_size: 144
    .language:       OpenCL C
    .language_version:
      - 2
      - 0
    .max_flat_workgroup_size: 256
    .name:           _ZN7rocprim17ROCPRIM_400000_NS6detail17trampoline_kernelINS0_14default_configENS1_25partition_config_selectorILNS1_17partition_subalgoE0EjNS0_10empty_typeEbEEZZNS1_14partition_implILS5_0ELb0ES3_jN6thrust23THRUST_200600_302600_NS6detail15normal_iteratorINSA_10device_ptrIjEEEEPS6_SG_NS0_5tupleIJSF_NSA_16discard_iteratorINSA_11use_defaultEEEEEENSH_IJSG_SG_EEES6_PlJ7is_evenIjEEEE10hipError_tPvRmT3_T4_T5_T6_T7_T9_mT8_P12ihipStream_tbDpT10_ENKUlT_T0_E_clISt17integral_constantIbLb1EES19_EEDaS14_S15_EUlS14_E_NS1_11comp_targetILNS1_3genE0ELNS1_11target_archE4294967295ELNS1_3gpuE0ELNS1_3repE0EEENS1_30default_config_static_selectorELNS0_4arch9wavefront6targetE1EEEvT1_
    .private_segment_fixed_size: 0
    .sgpr_count:     6
    .sgpr_spill_count: 0
    .symbol:         _ZN7rocprim17ROCPRIM_400000_NS6detail17trampoline_kernelINS0_14default_configENS1_25partition_config_selectorILNS1_17partition_subalgoE0EjNS0_10empty_typeEbEEZZNS1_14partition_implILS5_0ELb0ES3_jN6thrust23THRUST_200600_302600_NS6detail15normal_iteratorINSA_10device_ptrIjEEEEPS6_SG_NS0_5tupleIJSF_NSA_16discard_iteratorINSA_11use_defaultEEEEEENSH_IJSG_SG_EEES6_PlJ7is_evenIjEEEE10hipError_tPvRmT3_T4_T5_T6_T7_T9_mT8_P12ihipStream_tbDpT10_ENKUlT_T0_E_clISt17integral_constantIbLb1EES19_EEDaS14_S15_EUlS14_E_NS1_11comp_targetILNS1_3genE0ELNS1_11target_archE4294967295ELNS1_3gpuE0ELNS1_3repE0EEENS1_30default_config_static_selectorELNS0_4arch9wavefront6targetE1EEEvT1_.kd
    .uniform_work_group_size: 1
    .uses_dynamic_stack: false
    .vgpr_count:     0
    .vgpr_spill_count: 0
    .wavefront_size: 64
  - .agpr_count:     0
    .args:
      - .offset:         0
        .size:           144
        .value_kind:     by_value
    .group_segment_fixed_size: 30728
    .kernarg_segment_align: 8
    .kernarg_segment_size: 144
    .language:       OpenCL C
    .language_version:
      - 2
      - 0
    .max_flat_workgroup_size: 512
    .name:           _ZN7rocprim17ROCPRIM_400000_NS6detail17trampoline_kernelINS0_14default_configENS1_25partition_config_selectorILNS1_17partition_subalgoE0EjNS0_10empty_typeEbEEZZNS1_14partition_implILS5_0ELb0ES3_jN6thrust23THRUST_200600_302600_NS6detail15normal_iteratorINSA_10device_ptrIjEEEEPS6_SG_NS0_5tupleIJSF_NSA_16discard_iteratorINSA_11use_defaultEEEEEENSH_IJSG_SG_EEES6_PlJ7is_evenIjEEEE10hipError_tPvRmT3_T4_T5_T6_T7_T9_mT8_P12ihipStream_tbDpT10_ENKUlT_T0_E_clISt17integral_constantIbLb1EES19_EEDaS14_S15_EUlS14_E_NS1_11comp_targetILNS1_3genE5ELNS1_11target_archE942ELNS1_3gpuE9ELNS1_3repE0EEENS1_30default_config_static_selectorELNS0_4arch9wavefront6targetE1EEEvT1_
    .private_segment_fixed_size: 0
    .sgpr_count:     46
    .sgpr_spill_count: 0
    .symbol:         _ZN7rocprim17ROCPRIM_400000_NS6detail17trampoline_kernelINS0_14default_configENS1_25partition_config_selectorILNS1_17partition_subalgoE0EjNS0_10empty_typeEbEEZZNS1_14partition_implILS5_0ELb0ES3_jN6thrust23THRUST_200600_302600_NS6detail15normal_iteratorINSA_10device_ptrIjEEEEPS6_SG_NS0_5tupleIJSF_NSA_16discard_iteratorINSA_11use_defaultEEEEEENSH_IJSG_SG_EEES6_PlJ7is_evenIjEEEE10hipError_tPvRmT3_T4_T5_T6_T7_T9_mT8_P12ihipStream_tbDpT10_ENKUlT_T0_E_clISt17integral_constantIbLb1EES19_EEDaS14_S15_EUlS14_E_NS1_11comp_targetILNS1_3genE5ELNS1_11target_archE942ELNS1_3gpuE9ELNS1_3repE0EEENS1_30default_config_static_selectorELNS0_4arch9wavefront6targetE1EEEvT1_.kd
    .uniform_work_group_size: 1
    .uses_dynamic_stack: false
    .vgpr_count:     78
    .vgpr_spill_count: 0
    .wavefront_size: 64
  - .agpr_count:     0
    .args:
      - .offset:         0
        .size:           144
        .value_kind:     by_value
    .group_segment_fixed_size: 0
    .kernarg_segment_align: 8
    .kernarg_segment_size: 144
    .language:       OpenCL C
    .language_version:
      - 2
      - 0
    .max_flat_workgroup_size: 256
    .name:           _ZN7rocprim17ROCPRIM_400000_NS6detail17trampoline_kernelINS0_14default_configENS1_25partition_config_selectorILNS1_17partition_subalgoE0EjNS0_10empty_typeEbEEZZNS1_14partition_implILS5_0ELb0ES3_jN6thrust23THRUST_200600_302600_NS6detail15normal_iteratorINSA_10device_ptrIjEEEEPS6_SG_NS0_5tupleIJSF_NSA_16discard_iteratorINSA_11use_defaultEEEEEENSH_IJSG_SG_EEES6_PlJ7is_evenIjEEEE10hipError_tPvRmT3_T4_T5_T6_T7_T9_mT8_P12ihipStream_tbDpT10_ENKUlT_T0_E_clISt17integral_constantIbLb1EES19_EEDaS14_S15_EUlS14_E_NS1_11comp_targetILNS1_3genE4ELNS1_11target_archE910ELNS1_3gpuE8ELNS1_3repE0EEENS1_30default_config_static_selectorELNS0_4arch9wavefront6targetE1EEEvT1_
    .private_segment_fixed_size: 0
    .sgpr_count:     6
    .sgpr_spill_count: 0
    .symbol:         _ZN7rocprim17ROCPRIM_400000_NS6detail17trampoline_kernelINS0_14default_configENS1_25partition_config_selectorILNS1_17partition_subalgoE0EjNS0_10empty_typeEbEEZZNS1_14partition_implILS5_0ELb0ES3_jN6thrust23THRUST_200600_302600_NS6detail15normal_iteratorINSA_10device_ptrIjEEEEPS6_SG_NS0_5tupleIJSF_NSA_16discard_iteratorINSA_11use_defaultEEEEEENSH_IJSG_SG_EEES6_PlJ7is_evenIjEEEE10hipError_tPvRmT3_T4_T5_T6_T7_T9_mT8_P12ihipStream_tbDpT10_ENKUlT_T0_E_clISt17integral_constantIbLb1EES19_EEDaS14_S15_EUlS14_E_NS1_11comp_targetILNS1_3genE4ELNS1_11target_archE910ELNS1_3gpuE8ELNS1_3repE0EEENS1_30default_config_static_selectorELNS0_4arch9wavefront6targetE1EEEvT1_.kd
    .uniform_work_group_size: 1
    .uses_dynamic_stack: false
    .vgpr_count:     0
    .vgpr_spill_count: 0
    .wavefront_size: 64
  - .agpr_count:     0
    .args:
      - .offset:         0
        .size:           144
        .value_kind:     by_value
    .group_segment_fixed_size: 0
    .kernarg_segment_align: 8
    .kernarg_segment_size: 144
    .language:       OpenCL C
    .language_version:
      - 2
      - 0
    .max_flat_workgroup_size: 256
    .name:           _ZN7rocprim17ROCPRIM_400000_NS6detail17trampoline_kernelINS0_14default_configENS1_25partition_config_selectorILNS1_17partition_subalgoE0EjNS0_10empty_typeEbEEZZNS1_14partition_implILS5_0ELb0ES3_jN6thrust23THRUST_200600_302600_NS6detail15normal_iteratorINSA_10device_ptrIjEEEEPS6_SG_NS0_5tupleIJSF_NSA_16discard_iteratorINSA_11use_defaultEEEEEENSH_IJSG_SG_EEES6_PlJ7is_evenIjEEEE10hipError_tPvRmT3_T4_T5_T6_T7_T9_mT8_P12ihipStream_tbDpT10_ENKUlT_T0_E_clISt17integral_constantIbLb1EES19_EEDaS14_S15_EUlS14_E_NS1_11comp_targetILNS1_3genE3ELNS1_11target_archE908ELNS1_3gpuE7ELNS1_3repE0EEENS1_30default_config_static_selectorELNS0_4arch9wavefront6targetE1EEEvT1_
    .private_segment_fixed_size: 0
    .sgpr_count:     6
    .sgpr_spill_count: 0
    .symbol:         _ZN7rocprim17ROCPRIM_400000_NS6detail17trampoline_kernelINS0_14default_configENS1_25partition_config_selectorILNS1_17partition_subalgoE0EjNS0_10empty_typeEbEEZZNS1_14partition_implILS5_0ELb0ES3_jN6thrust23THRUST_200600_302600_NS6detail15normal_iteratorINSA_10device_ptrIjEEEEPS6_SG_NS0_5tupleIJSF_NSA_16discard_iteratorINSA_11use_defaultEEEEEENSH_IJSG_SG_EEES6_PlJ7is_evenIjEEEE10hipError_tPvRmT3_T4_T5_T6_T7_T9_mT8_P12ihipStream_tbDpT10_ENKUlT_T0_E_clISt17integral_constantIbLb1EES19_EEDaS14_S15_EUlS14_E_NS1_11comp_targetILNS1_3genE3ELNS1_11target_archE908ELNS1_3gpuE7ELNS1_3repE0EEENS1_30default_config_static_selectorELNS0_4arch9wavefront6targetE1EEEvT1_.kd
    .uniform_work_group_size: 1
    .uses_dynamic_stack: false
    .vgpr_count:     0
    .vgpr_spill_count: 0
    .wavefront_size: 64
  - .agpr_count:     0
    .args:
      - .offset:         0
        .size:           144
        .value_kind:     by_value
    .group_segment_fixed_size: 0
    .kernarg_segment_align: 8
    .kernarg_segment_size: 144
    .language:       OpenCL C
    .language_version:
      - 2
      - 0
    .max_flat_workgroup_size: 192
    .name:           _ZN7rocprim17ROCPRIM_400000_NS6detail17trampoline_kernelINS0_14default_configENS1_25partition_config_selectorILNS1_17partition_subalgoE0EjNS0_10empty_typeEbEEZZNS1_14partition_implILS5_0ELb0ES3_jN6thrust23THRUST_200600_302600_NS6detail15normal_iteratorINSA_10device_ptrIjEEEEPS6_SG_NS0_5tupleIJSF_NSA_16discard_iteratorINSA_11use_defaultEEEEEENSH_IJSG_SG_EEES6_PlJ7is_evenIjEEEE10hipError_tPvRmT3_T4_T5_T6_T7_T9_mT8_P12ihipStream_tbDpT10_ENKUlT_T0_E_clISt17integral_constantIbLb1EES19_EEDaS14_S15_EUlS14_E_NS1_11comp_targetILNS1_3genE2ELNS1_11target_archE906ELNS1_3gpuE6ELNS1_3repE0EEENS1_30default_config_static_selectorELNS0_4arch9wavefront6targetE1EEEvT1_
    .private_segment_fixed_size: 0
    .sgpr_count:     6
    .sgpr_spill_count: 0
    .symbol:         _ZN7rocprim17ROCPRIM_400000_NS6detail17trampoline_kernelINS0_14default_configENS1_25partition_config_selectorILNS1_17partition_subalgoE0EjNS0_10empty_typeEbEEZZNS1_14partition_implILS5_0ELb0ES3_jN6thrust23THRUST_200600_302600_NS6detail15normal_iteratorINSA_10device_ptrIjEEEEPS6_SG_NS0_5tupleIJSF_NSA_16discard_iteratorINSA_11use_defaultEEEEEENSH_IJSG_SG_EEES6_PlJ7is_evenIjEEEE10hipError_tPvRmT3_T4_T5_T6_T7_T9_mT8_P12ihipStream_tbDpT10_ENKUlT_T0_E_clISt17integral_constantIbLb1EES19_EEDaS14_S15_EUlS14_E_NS1_11comp_targetILNS1_3genE2ELNS1_11target_archE906ELNS1_3gpuE6ELNS1_3repE0EEENS1_30default_config_static_selectorELNS0_4arch9wavefront6targetE1EEEvT1_.kd
    .uniform_work_group_size: 1
    .uses_dynamic_stack: false
    .vgpr_count:     0
    .vgpr_spill_count: 0
    .wavefront_size: 64
  - .agpr_count:     0
    .args:
      - .offset:         0
        .size:           144
        .value_kind:     by_value
    .group_segment_fixed_size: 0
    .kernarg_segment_align: 8
    .kernarg_segment_size: 144
    .language:       OpenCL C
    .language_version:
      - 2
      - 0
    .max_flat_workgroup_size: 512
    .name:           _ZN7rocprim17ROCPRIM_400000_NS6detail17trampoline_kernelINS0_14default_configENS1_25partition_config_selectorILNS1_17partition_subalgoE0EjNS0_10empty_typeEbEEZZNS1_14partition_implILS5_0ELb0ES3_jN6thrust23THRUST_200600_302600_NS6detail15normal_iteratorINSA_10device_ptrIjEEEEPS6_SG_NS0_5tupleIJSF_NSA_16discard_iteratorINSA_11use_defaultEEEEEENSH_IJSG_SG_EEES6_PlJ7is_evenIjEEEE10hipError_tPvRmT3_T4_T5_T6_T7_T9_mT8_P12ihipStream_tbDpT10_ENKUlT_T0_E_clISt17integral_constantIbLb1EES19_EEDaS14_S15_EUlS14_E_NS1_11comp_targetILNS1_3genE10ELNS1_11target_archE1200ELNS1_3gpuE4ELNS1_3repE0EEENS1_30default_config_static_selectorELNS0_4arch9wavefront6targetE1EEEvT1_
    .private_segment_fixed_size: 0
    .sgpr_count:     6
    .sgpr_spill_count: 0
    .symbol:         _ZN7rocprim17ROCPRIM_400000_NS6detail17trampoline_kernelINS0_14default_configENS1_25partition_config_selectorILNS1_17partition_subalgoE0EjNS0_10empty_typeEbEEZZNS1_14partition_implILS5_0ELb0ES3_jN6thrust23THRUST_200600_302600_NS6detail15normal_iteratorINSA_10device_ptrIjEEEEPS6_SG_NS0_5tupleIJSF_NSA_16discard_iteratorINSA_11use_defaultEEEEEENSH_IJSG_SG_EEES6_PlJ7is_evenIjEEEE10hipError_tPvRmT3_T4_T5_T6_T7_T9_mT8_P12ihipStream_tbDpT10_ENKUlT_T0_E_clISt17integral_constantIbLb1EES19_EEDaS14_S15_EUlS14_E_NS1_11comp_targetILNS1_3genE10ELNS1_11target_archE1200ELNS1_3gpuE4ELNS1_3repE0EEENS1_30default_config_static_selectorELNS0_4arch9wavefront6targetE1EEEvT1_.kd
    .uniform_work_group_size: 1
    .uses_dynamic_stack: false
    .vgpr_count:     0
    .vgpr_spill_count: 0
    .wavefront_size: 64
  - .agpr_count:     0
    .args:
      - .offset:         0
        .size:           144
        .value_kind:     by_value
    .group_segment_fixed_size: 0
    .kernarg_segment_align: 8
    .kernarg_segment_size: 144
    .language:       OpenCL C
    .language_version:
      - 2
      - 0
    .max_flat_workgroup_size: 128
    .name:           _ZN7rocprim17ROCPRIM_400000_NS6detail17trampoline_kernelINS0_14default_configENS1_25partition_config_selectorILNS1_17partition_subalgoE0EjNS0_10empty_typeEbEEZZNS1_14partition_implILS5_0ELb0ES3_jN6thrust23THRUST_200600_302600_NS6detail15normal_iteratorINSA_10device_ptrIjEEEEPS6_SG_NS0_5tupleIJSF_NSA_16discard_iteratorINSA_11use_defaultEEEEEENSH_IJSG_SG_EEES6_PlJ7is_evenIjEEEE10hipError_tPvRmT3_T4_T5_T6_T7_T9_mT8_P12ihipStream_tbDpT10_ENKUlT_T0_E_clISt17integral_constantIbLb1EES19_EEDaS14_S15_EUlS14_E_NS1_11comp_targetILNS1_3genE9ELNS1_11target_archE1100ELNS1_3gpuE3ELNS1_3repE0EEENS1_30default_config_static_selectorELNS0_4arch9wavefront6targetE1EEEvT1_
    .private_segment_fixed_size: 0
    .sgpr_count:     6
    .sgpr_spill_count: 0
    .symbol:         _ZN7rocprim17ROCPRIM_400000_NS6detail17trampoline_kernelINS0_14default_configENS1_25partition_config_selectorILNS1_17partition_subalgoE0EjNS0_10empty_typeEbEEZZNS1_14partition_implILS5_0ELb0ES3_jN6thrust23THRUST_200600_302600_NS6detail15normal_iteratorINSA_10device_ptrIjEEEEPS6_SG_NS0_5tupleIJSF_NSA_16discard_iteratorINSA_11use_defaultEEEEEENSH_IJSG_SG_EEES6_PlJ7is_evenIjEEEE10hipError_tPvRmT3_T4_T5_T6_T7_T9_mT8_P12ihipStream_tbDpT10_ENKUlT_T0_E_clISt17integral_constantIbLb1EES19_EEDaS14_S15_EUlS14_E_NS1_11comp_targetILNS1_3genE9ELNS1_11target_archE1100ELNS1_3gpuE3ELNS1_3repE0EEENS1_30default_config_static_selectorELNS0_4arch9wavefront6targetE1EEEvT1_.kd
    .uniform_work_group_size: 1
    .uses_dynamic_stack: false
    .vgpr_count:     0
    .vgpr_spill_count: 0
    .wavefront_size: 64
  - .agpr_count:     0
    .args:
      - .offset:         0
        .size:           144
        .value_kind:     by_value
    .group_segment_fixed_size: 0
    .kernarg_segment_align: 8
    .kernarg_segment_size: 144
    .language:       OpenCL C
    .language_version:
      - 2
      - 0
    .max_flat_workgroup_size: 512
    .name:           _ZN7rocprim17ROCPRIM_400000_NS6detail17trampoline_kernelINS0_14default_configENS1_25partition_config_selectorILNS1_17partition_subalgoE0EjNS0_10empty_typeEbEEZZNS1_14partition_implILS5_0ELb0ES3_jN6thrust23THRUST_200600_302600_NS6detail15normal_iteratorINSA_10device_ptrIjEEEEPS6_SG_NS0_5tupleIJSF_NSA_16discard_iteratorINSA_11use_defaultEEEEEENSH_IJSG_SG_EEES6_PlJ7is_evenIjEEEE10hipError_tPvRmT3_T4_T5_T6_T7_T9_mT8_P12ihipStream_tbDpT10_ENKUlT_T0_E_clISt17integral_constantIbLb1EES19_EEDaS14_S15_EUlS14_E_NS1_11comp_targetILNS1_3genE8ELNS1_11target_archE1030ELNS1_3gpuE2ELNS1_3repE0EEENS1_30default_config_static_selectorELNS0_4arch9wavefront6targetE1EEEvT1_
    .private_segment_fixed_size: 0
    .sgpr_count:     6
    .sgpr_spill_count: 0
    .symbol:         _ZN7rocprim17ROCPRIM_400000_NS6detail17trampoline_kernelINS0_14default_configENS1_25partition_config_selectorILNS1_17partition_subalgoE0EjNS0_10empty_typeEbEEZZNS1_14partition_implILS5_0ELb0ES3_jN6thrust23THRUST_200600_302600_NS6detail15normal_iteratorINSA_10device_ptrIjEEEEPS6_SG_NS0_5tupleIJSF_NSA_16discard_iteratorINSA_11use_defaultEEEEEENSH_IJSG_SG_EEES6_PlJ7is_evenIjEEEE10hipError_tPvRmT3_T4_T5_T6_T7_T9_mT8_P12ihipStream_tbDpT10_ENKUlT_T0_E_clISt17integral_constantIbLb1EES19_EEDaS14_S15_EUlS14_E_NS1_11comp_targetILNS1_3genE8ELNS1_11target_archE1030ELNS1_3gpuE2ELNS1_3repE0EEENS1_30default_config_static_selectorELNS0_4arch9wavefront6targetE1EEEvT1_.kd
    .uniform_work_group_size: 1
    .uses_dynamic_stack: false
    .vgpr_count:     0
    .vgpr_spill_count: 0
    .wavefront_size: 64
  - .agpr_count:     0
    .args:
      - .offset:         0
        .size:           128
        .value_kind:     by_value
    .group_segment_fixed_size: 0
    .kernarg_segment_align: 8
    .kernarg_segment_size: 128
    .language:       OpenCL C
    .language_version:
      - 2
      - 0
    .max_flat_workgroup_size: 256
    .name:           _ZN7rocprim17ROCPRIM_400000_NS6detail17trampoline_kernelINS0_14default_configENS1_25partition_config_selectorILNS1_17partition_subalgoE0EjNS0_10empty_typeEbEEZZNS1_14partition_implILS5_0ELb0ES3_jN6thrust23THRUST_200600_302600_NS6detail15normal_iteratorINSA_10device_ptrIjEEEEPS6_SG_NS0_5tupleIJSF_NSA_16discard_iteratorINSA_11use_defaultEEEEEENSH_IJSG_SG_EEES6_PlJ7is_evenIjEEEE10hipError_tPvRmT3_T4_T5_T6_T7_T9_mT8_P12ihipStream_tbDpT10_ENKUlT_T0_E_clISt17integral_constantIbLb1EES18_IbLb0EEEEDaS14_S15_EUlS14_E_NS1_11comp_targetILNS1_3genE0ELNS1_11target_archE4294967295ELNS1_3gpuE0ELNS1_3repE0EEENS1_30default_config_static_selectorELNS0_4arch9wavefront6targetE1EEEvT1_
    .private_segment_fixed_size: 0
    .sgpr_count:     6
    .sgpr_spill_count: 0
    .symbol:         _ZN7rocprim17ROCPRIM_400000_NS6detail17trampoline_kernelINS0_14default_configENS1_25partition_config_selectorILNS1_17partition_subalgoE0EjNS0_10empty_typeEbEEZZNS1_14partition_implILS5_0ELb0ES3_jN6thrust23THRUST_200600_302600_NS6detail15normal_iteratorINSA_10device_ptrIjEEEEPS6_SG_NS0_5tupleIJSF_NSA_16discard_iteratorINSA_11use_defaultEEEEEENSH_IJSG_SG_EEES6_PlJ7is_evenIjEEEE10hipError_tPvRmT3_T4_T5_T6_T7_T9_mT8_P12ihipStream_tbDpT10_ENKUlT_T0_E_clISt17integral_constantIbLb1EES18_IbLb0EEEEDaS14_S15_EUlS14_E_NS1_11comp_targetILNS1_3genE0ELNS1_11target_archE4294967295ELNS1_3gpuE0ELNS1_3repE0EEENS1_30default_config_static_selectorELNS0_4arch9wavefront6targetE1EEEvT1_.kd
    .uniform_work_group_size: 1
    .uses_dynamic_stack: false
    .vgpr_count:     0
    .vgpr_spill_count: 0
    .wavefront_size: 64
  - .agpr_count:     0
    .args:
      - .offset:         0
        .size:           128
        .value_kind:     by_value
    .group_segment_fixed_size: 30728
    .kernarg_segment_align: 8
    .kernarg_segment_size: 128
    .language:       OpenCL C
    .language_version:
      - 2
      - 0
    .max_flat_workgroup_size: 512
    .name:           _ZN7rocprim17ROCPRIM_400000_NS6detail17trampoline_kernelINS0_14default_configENS1_25partition_config_selectorILNS1_17partition_subalgoE0EjNS0_10empty_typeEbEEZZNS1_14partition_implILS5_0ELb0ES3_jN6thrust23THRUST_200600_302600_NS6detail15normal_iteratorINSA_10device_ptrIjEEEEPS6_SG_NS0_5tupleIJSF_NSA_16discard_iteratorINSA_11use_defaultEEEEEENSH_IJSG_SG_EEES6_PlJ7is_evenIjEEEE10hipError_tPvRmT3_T4_T5_T6_T7_T9_mT8_P12ihipStream_tbDpT10_ENKUlT_T0_E_clISt17integral_constantIbLb1EES18_IbLb0EEEEDaS14_S15_EUlS14_E_NS1_11comp_targetILNS1_3genE5ELNS1_11target_archE942ELNS1_3gpuE9ELNS1_3repE0EEENS1_30default_config_static_selectorELNS0_4arch9wavefront6targetE1EEEvT1_
    .private_segment_fixed_size: 0
    .sgpr_count:     46
    .sgpr_spill_count: 0
    .symbol:         _ZN7rocprim17ROCPRIM_400000_NS6detail17trampoline_kernelINS0_14default_configENS1_25partition_config_selectorILNS1_17partition_subalgoE0EjNS0_10empty_typeEbEEZZNS1_14partition_implILS5_0ELb0ES3_jN6thrust23THRUST_200600_302600_NS6detail15normal_iteratorINSA_10device_ptrIjEEEEPS6_SG_NS0_5tupleIJSF_NSA_16discard_iteratorINSA_11use_defaultEEEEEENSH_IJSG_SG_EEES6_PlJ7is_evenIjEEEE10hipError_tPvRmT3_T4_T5_T6_T7_T9_mT8_P12ihipStream_tbDpT10_ENKUlT_T0_E_clISt17integral_constantIbLb1EES18_IbLb0EEEEDaS14_S15_EUlS14_E_NS1_11comp_targetILNS1_3genE5ELNS1_11target_archE942ELNS1_3gpuE9ELNS1_3repE0EEENS1_30default_config_static_selectorELNS0_4arch9wavefront6targetE1EEEvT1_.kd
    .uniform_work_group_size: 1
    .uses_dynamic_stack: false
    .vgpr_count:     76
    .vgpr_spill_count: 0
    .wavefront_size: 64
  - .agpr_count:     0
    .args:
      - .offset:         0
        .size:           128
        .value_kind:     by_value
    .group_segment_fixed_size: 0
    .kernarg_segment_align: 8
    .kernarg_segment_size: 128
    .language:       OpenCL C
    .language_version:
      - 2
      - 0
    .max_flat_workgroup_size: 256
    .name:           _ZN7rocprim17ROCPRIM_400000_NS6detail17trampoline_kernelINS0_14default_configENS1_25partition_config_selectorILNS1_17partition_subalgoE0EjNS0_10empty_typeEbEEZZNS1_14partition_implILS5_0ELb0ES3_jN6thrust23THRUST_200600_302600_NS6detail15normal_iteratorINSA_10device_ptrIjEEEEPS6_SG_NS0_5tupleIJSF_NSA_16discard_iteratorINSA_11use_defaultEEEEEENSH_IJSG_SG_EEES6_PlJ7is_evenIjEEEE10hipError_tPvRmT3_T4_T5_T6_T7_T9_mT8_P12ihipStream_tbDpT10_ENKUlT_T0_E_clISt17integral_constantIbLb1EES18_IbLb0EEEEDaS14_S15_EUlS14_E_NS1_11comp_targetILNS1_3genE4ELNS1_11target_archE910ELNS1_3gpuE8ELNS1_3repE0EEENS1_30default_config_static_selectorELNS0_4arch9wavefront6targetE1EEEvT1_
    .private_segment_fixed_size: 0
    .sgpr_count:     6
    .sgpr_spill_count: 0
    .symbol:         _ZN7rocprim17ROCPRIM_400000_NS6detail17trampoline_kernelINS0_14default_configENS1_25partition_config_selectorILNS1_17partition_subalgoE0EjNS0_10empty_typeEbEEZZNS1_14partition_implILS5_0ELb0ES3_jN6thrust23THRUST_200600_302600_NS6detail15normal_iteratorINSA_10device_ptrIjEEEEPS6_SG_NS0_5tupleIJSF_NSA_16discard_iteratorINSA_11use_defaultEEEEEENSH_IJSG_SG_EEES6_PlJ7is_evenIjEEEE10hipError_tPvRmT3_T4_T5_T6_T7_T9_mT8_P12ihipStream_tbDpT10_ENKUlT_T0_E_clISt17integral_constantIbLb1EES18_IbLb0EEEEDaS14_S15_EUlS14_E_NS1_11comp_targetILNS1_3genE4ELNS1_11target_archE910ELNS1_3gpuE8ELNS1_3repE0EEENS1_30default_config_static_selectorELNS0_4arch9wavefront6targetE1EEEvT1_.kd
    .uniform_work_group_size: 1
    .uses_dynamic_stack: false
    .vgpr_count:     0
    .vgpr_spill_count: 0
    .wavefront_size: 64
  - .agpr_count:     0
    .args:
      - .offset:         0
        .size:           128
        .value_kind:     by_value
    .group_segment_fixed_size: 0
    .kernarg_segment_align: 8
    .kernarg_segment_size: 128
    .language:       OpenCL C
    .language_version:
      - 2
      - 0
    .max_flat_workgroup_size: 256
    .name:           _ZN7rocprim17ROCPRIM_400000_NS6detail17trampoline_kernelINS0_14default_configENS1_25partition_config_selectorILNS1_17partition_subalgoE0EjNS0_10empty_typeEbEEZZNS1_14partition_implILS5_0ELb0ES3_jN6thrust23THRUST_200600_302600_NS6detail15normal_iteratorINSA_10device_ptrIjEEEEPS6_SG_NS0_5tupleIJSF_NSA_16discard_iteratorINSA_11use_defaultEEEEEENSH_IJSG_SG_EEES6_PlJ7is_evenIjEEEE10hipError_tPvRmT3_T4_T5_T6_T7_T9_mT8_P12ihipStream_tbDpT10_ENKUlT_T0_E_clISt17integral_constantIbLb1EES18_IbLb0EEEEDaS14_S15_EUlS14_E_NS1_11comp_targetILNS1_3genE3ELNS1_11target_archE908ELNS1_3gpuE7ELNS1_3repE0EEENS1_30default_config_static_selectorELNS0_4arch9wavefront6targetE1EEEvT1_
    .private_segment_fixed_size: 0
    .sgpr_count:     6
    .sgpr_spill_count: 0
    .symbol:         _ZN7rocprim17ROCPRIM_400000_NS6detail17trampoline_kernelINS0_14default_configENS1_25partition_config_selectorILNS1_17partition_subalgoE0EjNS0_10empty_typeEbEEZZNS1_14partition_implILS5_0ELb0ES3_jN6thrust23THRUST_200600_302600_NS6detail15normal_iteratorINSA_10device_ptrIjEEEEPS6_SG_NS0_5tupleIJSF_NSA_16discard_iteratorINSA_11use_defaultEEEEEENSH_IJSG_SG_EEES6_PlJ7is_evenIjEEEE10hipError_tPvRmT3_T4_T5_T6_T7_T9_mT8_P12ihipStream_tbDpT10_ENKUlT_T0_E_clISt17integral_constantIbLb1EES18_IbLb0EEEEDaS14_S15_EUlS14_E_NS1_11comp_targetILNS1_3genE3ELNS1_11target_archE908ELNS1_3gpuE7ELNS1_3repE0EEENS1_30default_config_static_selectorELNS0_4arch9wavefront6targetE1EEEvT1_.kd
    .uniform_work_group_size: 1
    .uses_dynamic_stack: false
    .vgpr_count:     0
    .vgpr_spill_count: 0
    .wavefront_size: 64
  - .agpr_count:     0
    .args:
      - .offset:         0
        .size:           128
        .value_kind:     by_value
    .group_segment_fixed_size: 0
    .kernarg_segment_align: 8
    .kernarg_segment_size: 128
    .language:       OpenCL C
    .language_version:
      - 2
      - 0
    .max_flat_workgroup_size: 192
    .name:           _ZN7rocprim17ROCPRIM_400000_NS6detail17trampoline_kernelINS0_14default_configENS1_25partition_config_selectorILNS1_17partition_subalgoE0EjNS0_10empty_typeEbEEZZNS1_14partition_implILS5_0ELb0ES3_jN6thrust23THRUST_200600_302600_NS6detail15normal_iteratorINSA_10device_ptrIjEEEEPS6_SG_NS0_5tupleIJSF_NSA_16discard_iteratorINSA_11use_defaultEEEEEENSH_IJSG_SG_EEES6_PlJ7is_evenIjEEEE10hipError_tPvRmT3_T4_T5_T6_T7_T9_mT8_P12ihipStream_tbDpT10_ENKUlT_T0_E_clISt17integral_constantIbLb1EES18_IbLb0EEEEDaS14_S15_EUlS14_E_NS1_11comp_targetILNS1_3genE2ELNS1_11target_archE906ELNS1_3gpuE6ELNS1_3repE0EEENS1_30default_config_static_selectorELNS0_4arch9wavefront6targetE1EEEvT1_
    .private_segment_fixed_size: 0
    .sgpr_count:     6
    .sgpr_spill_count: 0
    .symbol:         _ZN7rocprim17ROCPRIM_400000_NS6detail17trampoline_kernelINS0_14default_configENS1_25partition_config_selectorILNS1_17partition_subalgoE0EjNS0_10empty_typeEbEEZZNS1_14partition_implILS5_0ELb0ES3_jN6thrust23THRUST_200600_302600_NS6detail15normal_iteratorINSA_10device_ptrIjEEEEPS6_SG_NS0_5tupleIJSF_NSA_16discard_iteratorINSA_11use_defaultEEEEEENSH_IJSG_SG_EEES6_PlJ7is_evenIjEEEE10hipError_tPvRmT3_T4_T5_T6_T7_T9_mT8_P12ihipStream_tbDpT10_ENKUlT_T0_E_clISt17integral_constantIbLb1EES18_IbLb0EEEEDaS14_S15_EUlS14_E_NS1_11comp_targetILNS1_3genE2ELNS1_11target_archE906ELNS1_3gpuE6ELNS1_3repE0EEENS1_30default_config_static_selectorELNS0_4arch9wavefront6targetE1EEEvT1_.kd
    .uniform_work_group_size: 1
    .uses_dynamic_stack: false
    .vgpr_count:     0
    .vgpr_spill_count: 0
    .wavefront_size: 64
  - .agpr_count:     0
    .args:
      - .offset:         0
        .size:           128
        .value_kind:     by_value
    .group_segment_fixed_size: 0
    .kernarg_segment_align: 8
    .kernarg_segment_size: 128
    .language:       OpenCL C
    .language_version:
      - 2
      - 0
    .max_flat_workgroup_size: 512
    .name:           _ZN7rocprim17ROCPRIM_400000_NS6detail17trampoline_kernelINS0_14default_configENS1_25partition_config_selectorILNS1_17partition_subalgoE0EjNS0_10empty_typeEbEEZZNS1_14partition_implILS5_0ELb0ES3_jN6thrust23THRUST_200600_302600_NS6detail15normal_iteratorINSA_10device_ptrIjEEEEPS6_SG_NS0_5tupleIJSF_NSA_16discard_iteratorINSA_11use_defaultEEEEEENSH_IJSG_SG_EEES6_PlJ7is_evenIjEEEE10hipError_tPvRmT3_T4_T5_T6_T7_T9_mT8_P12ihipStream_tbDpT10_ENKUlT_T0_E_clISt17integral_constantIbLb1EES18_IbLb0EEEEDaS14_S15_EUlS14_E_NS1_11comp_targetILNS1_3genE10ELNS1_11target_archE1200ELNS1_3gpuE4ELNS1_3repE0EEENS1_30default_config_static_selectorELNS0_4arch9wavefront6targetE1EEEvT1_
    .private_segment_fixed_size: 0
    .sgpr_count:     6
    .sgpr_spill_count: 0
    .symbol:         _ZN7rocprim17ROCPRIM_400000_NS6detail17trampoline_kernelINS0_14default_configENS1_25partition_config_selectorILNS1_17partition_subalgoE0EjNS0_10empty_typeEbEEZZNS1_14partition_implILS5_0ELb0ES3_jN6thrust23THRUST_200600_302600_NS6detail15normal_iteratorINSA_10device_ptrIjEEEEPS6_SG_NS0_5tupleIJSF_NSA_16discard_iteratorINSA_11use_defaultEEEEEENSH_IJSG_SG_EEES6_PlJ7is_evenIjEEEE10hipError_tPvRmT3_T4_T5_T6_T7_T9_mT8_P12ihipStream_tbDpT10_ENKUlT_T0_E_clISt17integral_constantIbLb1EES18_IbLb0EEEEDaS14_S15_EUlS14_E_NS1_11comp_targetILNS1_3genE10ELNS1_11target_archE1200ELNS1_3gpuE4ELNS1_3repE0EEENS1_30default_config_static_selectorELNS0_4arch9wavefront6targetE1EEEvT1_.kd
    .uniform_work_group_size: 1
    .uses_dynamic_stack: false
    .vgpr_count:     0
    .vgpr_spill_count: 0
    .wavefront_size: 64
  - .agpr_count:     0
    .args:
      - .offset:         0
        .size:           128
        .value_kind:     by_value
    .group_segment_fixed_size: 0
    .kernarg_segment_align: 8
    .kernarg_segment_size: 128
    .language:       OpenCL C
    .language_version:
      - 2
      - 0
    .max_flat_workgroup_size: 128
    .name:           _ZN7rocprim17ROCPRIM_400000_NS6detail17trampoline_kernelINS0_14default_configENS1_25partition_config_selectorILNS1_17partition_subalgoE0EjNS0_10empty_typeEbEEZZNS1_14partition_implILS5_0ELb0ES3_jN6thrust23THRUST_200600_302600_NS6detail15normal_iteratorINSA_10device_ptrIjEEEEPS6_SG_NS0_5tupleIJSF_NSA_16discard_iteratorINSA_11use_defaultEEEEEENSH_IJSG_SG_EEES6_PlJ7is_evenIjEEEE10hipError_tPvRmT3_T4_T5_T6_T7_T9_mT8_P12ihipStream_tbDpT10_ENKUlT_T0_E_clISt17integral_constantIbLb1EES18_IbLb0EEEEDaS14_S15_EUlS14_E_NS1_11comp_targetILNS1_3genE9ELNS1_11target_archE1100ELNS1_3gpuE3ELNS1_3repE0EEENS1_30default_config_static_selectorELNS0_4arch9wavefront6targetE1EEEvT1_
    .private_segment_fixed_size: 0
    .sgpr_count:     6
    .sgpr_spill_count: 0
    .symbol:         _ZN7rocprim17ROCPRIM_400000_NS6detail17trampoline_kernelINS0_14default_configENS1_25partition_config_selectorILNS1_17partition_subalgoE0EjNS0_10empty_typeEbEEZZNS1_14partition_implILS5_0ELb0ES3_jN6thrust23THRUST_200600_302600_NS6detail15normal_iteratorINSA_10device_ptrIjEEEEPS6_SG_NS0_5tupleIJSF_NSA_16discard_iteratorINSA_11use_defaultEEEEEENSH_IJSG_SG_EEES6_PlJ7is_evenIjEEEE10hipError_tPvRmT3_T4_T5_T6_T7_T9_mT8_P12ihipStream_tbDpT10_ENKUlT_T0_E_clISt17integral_constantIbLb1EES18_IbLb0EEEEDaS14_S15_EUlS14_E_NS1_11comp_targetILNS1_3genE9ELNS1_11target_archE1100ELNS1_3gpuE3ELNS1_3repE0EEENS1_30default_config_static_selectorELNS0_4arch9wavefront6targetE1EEEvT1_.kd
    .uniform_work_group_size: 1
    .uses_dynamic_stack: false
    .vgpr_count:     0
    .vgpr_spill_count: 0
    .wavefront_size: 64
  - .agpr_count:     0
    .args:
      - .offset:         0
        .size:           128
        .value_kind:     by_value
    .group_segment_fixed_size: 0
    .kernarg_segment_align: 8
    .kernarg_segment_size: 128
    .language:       OpenCL C
    .language_version:
      - 2
      - 0
    .max_flat_workgroup_size: 512
    .name:           _ZN7rocprim17ROCPRIM_400000_NS6detail17trampoline_kernelINS0_14default_configENS1_25partition_config_selectorILNS1_17partition_subalgoE0EjNS0_10empty_typeEbEEZZNS1_14partition_implILS5_0ELb0ES3_jN6thrust23THRUST_200600_302600_NS6detail15normal_iteratorINSA_10device_ptrIjEEEEPS6_SG_NS0_5tupleIJSF_NSA_16discard_iteratorINSA_11use_defaultEEEEEENSH_IJSG_SG_EEES6_PlJ7is_evenIjEEEE10hipError_tPvRmT3_T4_T5_T6_T7_T9_mT8_P12ihipStream_tbDpT10_ENKUlT_T0_E_clISt17integral_constantIbLb1EES18_IbLb0EEEEDaS14_S15_EUlS14_E_NS1_11comp_targetILNS1_3genE8ELNS1_11target_archE1030ELNS1_3gpuE2ELNS1_3repE0EEENS1_30default_config_static_selectorELNS0_4arch9wavefront6targetE1EEEvT1_
    .private_segment_fixed_size: 0
    .sgpr_count:     6
    .sgpr_spill_count: 0
    .symbol:         _ZN7rocprim17ROCPRIM_400000_NS6detail17trampoline_kernelINS0_14default_configENS1_25partition_config_selectorILNS1_17partition_subalgoE0EjNS0_10empty_typeEbEEZZNS1_14partition_implILS5_0ELb0ES3_jN6thrust23THRUST_200600_302600_NS6detail15normal_iteratorINSA_10device_ptrIjEEEEPS6_SG_NS0_5tupleIJSF_NSA_16discard_iteratorINSA_11use_defaultEEEEEENSH_IJSG_SG_EEES6_PlJ7is_evenIjEEEE10hipError_tPvRmT3_T4_T5_T6_T7_T9_mT8_P12ihipStream_tbDpT10_ENKUlT_T0_E_clISt17integral_constantIbLb1EES18_IbLb0EEEEDaS14_S15_EUlS14_E_NS1_11comp_targetILNS1_3genE8ELNS1_11target_archE1030ELNS1_3gpuE2ELNS1_3repE0EEENS1_30default_config_static_selectorELNS0_4arch9wavefront6targetE1EEEvT1_.kd
    .uniform_work_group_size: 1
    .uses_dynamic_stack: false
    .vgpr_count:     0
    .vgpr_spill_count: 0
    .wavefront_size: 64
  - .agpr_count:     0
    .args:
      - .offset:         0
        .size:           144
        .value_kind:     by_value
    .group_segment_fixed_size: 0
    .kernarg_segment_align: 8
    .kernarg_segment_size: 144
    .language:       OpenCL C
    .language_version:
      - 2
      - 0
    .max_flat_workgroup_size: 256
    .name:           _ZN7rocprim17ROCPRIM_400000_NS6detail17trampoline_kernelINS0_14default_configENS1_25partition_config_selectorILNS1_17partition_subalgoE0EjNS0_10empty_typeEbEEZZNS1_14partition_implILS5_0ELb0ES3_jN6thrust23THRUST_200600_302600_NS6detail15normal_iteratorINSA_10device_ptrIjEEEEPS6_SG_NS0_5tupleIJSF_NSA_16discard_iteratorINSA_11use_defaultEEEEEENSH_IJSG_SG_EEES6_PlJ7is_evenIjEEEE10hipError_tPvRmT3_T4_T5_T6_T7_T9_mT8_P12ihipStream_tbDpT10_ENKUlT_T0_E_clISt17integral_constantIbLb0EES18_IbLb1EEEEDaS14_S15_EUlS14_E_NS1_11comp_targetILNS1_3genE0ELNS1_11target_archE4294967295ELNS1_3gpuE0ELNS1_3repE0EEENS1_30default_config_static_selectorELNS0_4arch9wavefront6targetE1EEEvT1_
    .private_segment_fixed_size: 0
    .sgpr_count:     6
    .sgpr_spill_count: 0
    .symbol:         _ZN7rocprim17ROCPRIM_400000_NS6detail17trampoline_kernelINS0_14default_configENS1_25partition_config_selectorILNS1_17partition_subalgoE0EjNS0_10empty_typeEbEEZZNS1_14partition_implILS5_0ELb0ES3_jN6thrust23THRUST_200600_302600_NS6detail15normal_iteratorINSA_10device_ptrIjEEEEPS6_SG_NS0_5tupleIJSF_NSA_16discard_iteratorINSA_11use_defaultEEEEEENSH_IJSG_SG_EEES6_PlJ7is_evenIjEEEE10hipError_tPvRmT3_T4_T5_T6_T7_T9_mT8_P12ihipStream_tbDpT10_ENKUlT_T0_E_clISt17integral_constantIbLb0EES18_IbLb1EEEEDaS14_S15_EUlS14_E_NS1_11comp_targetILNS1_3genE0ELNS1_11target_archE4294967295ELNS1_3gpuE0ELNS1_3repE0EEENS1_30default_config_static_selectorELNS0_4arch9wavefront6targetE1EEEvT1_.kd
    .uniform_work_group_size: 1
    .uses_dynamic_stack: false
    .vgpr_count:     0
    .vgpr_spill_count: 0
    .wavefront_size: 64
  - .agpr_count:     0
    .args:
      - .offset:         0
        .size:           144
        .value_kind:     by_value
    .group_segment_fixed_size: 30728
    .kernarg_segment_align: 8
    .kernarg_segment_size: 144
    .language:       OpenCL C
    .language_version:
      - 2
      - 0
    .max_flat_workgroup_size: 512
    .name:           _ZN7rocprim17ROCPRIM_400000_NS6detail17trampoline_kernelINS0_14default_configENS1_25partition_config_selectorILNS1_17partition_subalgoE0EjNS0_10empty_typeEbEEZZNS1_14partition_implILS5_0ELb0ES3_jN6thrust23THRUST_200600_302600_NS6detail15normal_iteratorINSA_10device_ptrIjEEEEPS6_SG_NS0_5tupleIJSF_NSA_16discard_iteratorINSA_11use_defaultEEEEEENSH_IJSG_SG_EEES6_PlJ7is_evenIjEEEE10hipError_tPvRmT3_T4_T5_T6_T7_T9_mT8_P12ihipStream_tbDpT10_ENKUlT_T0_E_clISt17integral_constantIbLb0EES18_IbLb1EEEEDaS14_S15_EUlS14_E_NS1_11comp_targetILNS1_3genE5ELNS1_11target_archE942ELNS1_3gpuE9ELNS1_3repE0EEENS1_30default_config_static_selectorELNS0_4arch9wavefront6targetE1EEEvT1_
    .private_segment_fixed_size: 0
    .sgpr_count:     46
    .sgpr_spill_count: 0
    .symbol:         _ZN7rocprim17ROCPRIM_400000_NS6detail17trampoline_kernelINS0_14default_configENS1_25partition_config_selectorILNS1_17partition_subalgoE0EjNS0_10empty_typeEbEEZZNS1_14partition_implILS5_0ELb0ES3_jN6thrust23THRUST_200600_302600_NS6detail15normal_iteratorINSA_10device_ptrIjEEEEPS6_SG_NS0_5tupleIJSF_NSA_16discard_iteratorINSA_11use_defaultEEEEEENSH_IJSG_SG_EEES6_PlJ7is_evenIjEEEE10hipError_tPvRmT3_T4_T5_T6_T7_T9_mT8_P12ihipStream_tbDpT10_ENKUlT_T0_E_clISt17integral_constantIbLb0EES18_IbLb1EEEEDaS14_S15_EUlS14_E_NS1_11comp_targetILNS1_3genE5ELNS1_11target_archE942ELNS1_3gpuE9ELNS1_3repE0EEENS1_30default_config_static_selectorELNS0_4arch9wavefront6targetE1EEEvT1_.kd
    .uniform_work_group_size: 1
    .uses_dynamic_stack: false
    .vgpr_count:     78
    .vgpr_spill_count: 0
    .wavefront_size: 64
  - .agpr_count:     0
    .args:
      - .offset:         0
        .size:           144
        .value_kind:     by_value
    .group_segment_fixed_size: 0
    .kernarg_segment_align: 8
    .kernarg_segment_size: 144
    .language:       OpenCL C
    .language_version:
      - 2
      - 0
    .max_flat_workgroup_size: 256
    .name:           _ZN7rocprim17ROCPRIM_400000_NS6detail17trampoline_kernelINS0_14default_configENS1_25partition_config_selectorILNS1_17partition_subalgoE0EjNS0_10empty_typeEbEEZZNS1_14partition_implILS5_0ELb0ES3_jN6thrust23THRUST_200600_302600_NS6detail15normal_iteratorINSA_10device_ptrIjEEEEPS6_SG_NS0_5tupleIJSF_NSA_16discard_iteratorINSA_11use_defaultEEEEEENSH_IJSG_SG_EEES6_PlJ7is_evenIjEEEE10hipError_tPvRmT3_T4_T5_T6_T7_T9_mT8_P12ihipStream_tbDpT10_ENKUlT_T0_E_clISt17integral_constantIbLb0EES18_IbLb1EEEEDaS14_S15_EUlS14_E_NS1_11comp_targetILNS1_3genE4ELNS1_11target_archE910ELNS1_3gpuE8ELNS1_3repE0EEENS1_30default_config_static_selectorELNS0_4arch9wavefront6targetE1EEEvT1_
    .private_segment_fixed_size: 0
    .sgpr_count:     6
    .sgpr_spill_count: 0
    .symbol:         _ZN7rocprim17ROCPRIM_400000_NS6detail17trampoline_kernelINS0_14default_configENS1_25partition_config_selectorILNS1_17partition_subalgoE0EjNS0_10empty_typeEbEEZZNS1_14partition_implILS5_0ELb0ES3_jN6thrust23THRUST_200600_302600_NS6detail15normal_iteratorINSA_10device_ptrIjEEEEPS6_SG_NS0_5tupleIJSF_NSA_16discard_iteratorINSA_11use_defaultEEEEEENSH_IJSG_SG_EEES6_PlJ7is_evenIjEEEE10hipError_tPvRmT3_T4_T5_T6_T7_T9_mT8_P12ihipStream_tbDpT10_ENKUlT_T0_E_clISt17integral_constantIbLb0EES18_IbLb1EEEEDaS14_S15_EUlS14_E_NS1_11comp_targetILNS1_3genE4ELNS1_11target_archE910ELNS1_3gpuE8ELNS1_3repE0EEENS1_30default_config_static_selectorELNS0_4arch9wavefront6targetE1EEEvT1_.kd
    .uniform_work_group_size: 1
    .uses_dynamic_stack: false
    .vgpr_count:     0
    .vgpr_spill_count: 0
    .wavefront_size: 64
  - .agpr_count:     0
    .args:
      - .offset:         0
        .size:           144
        .value_kind:     by_value
    .group_segment_fixed_size: 0
    .kernarg_segment_align: 8
    .kernarg_segment_size: 144
    .language:       OpenCL C
    .language_version:
      - 2
      - 0
    .max_flat_workgroup_size: 256
    .name:           _ZN7rocprim17ROCPRIM_400000_NS6detail17trampoline_kernelINS0_14default_configENS1_25partition_config_selectorILNS1_17partition_subalgoE0EjNS0_10empty_typeEbEEZZNS1_14partition_implILS5_0ELb0ES3_jN6thrust23THRUST_200600_302600_NS6detail15normal_iteratorINSA_10device_ptrIjEEEEPS6_SG_NS0_5tupleIJSF_NSA_16discard_iteratorINSA_11use_defaultEEEEEENSH_IJSG_SG_EEES6_PlJ7is_evenIjEEEE10hipError_tPvRmT3_T4_T5_T6_T7_T9_mT8_P12ihipStream_tbDpT10_ENKUlT_T0_E_clISt17integral_constantIbLb0EES18_IbLb1EEEEDaS14_S15_EUlS14_E_NS1_11comp_targetILNS1_3genE3ELNS1_11target_archE908ELNS1_3gpuE7ELNS1_3repE0EEENS1_30default_config_static_selectorELNS0_4arch9wavefront6targetE1EEEvT1_
    .private_segment_fixed_size: 0
    .sgpr_count:     6
    .sgpr_spill_count: 0
    .symbol:         _ZN7rocprim17ROCPRIM_400000_NS6detail17trampoline_kernelINS0_14default_configENS1_25partition_config_selectorILNS1_17partition_subalgoE0EjNS0_10empty_typeEbEEZZNS1_14partition_implILS5_0ELb0ES3_jN6thrust23THRUST_200600_302600_NS6detail15normal_iteratorINSA_10device_ptrIjEEEEPS6_SG_NS0_5tupleIJSF_NSA_16discard_iteratorINSA_11use_defaultEEEEEENSH_IJSG_SG_EEES6_PlJ7is_evenIjEEEE10hipError_tPvRmT3_T4_T5_T6_T7_T9_mT8_P12ihipStream_tbDpT10_ENKUlT_T0_E_clISt17integral_constantIbLb0EES18_IbLb1EEEEDaS14_S15_EUlS14_E_NS1_11comp_targetILNS1_3genE3ELNS1_11target_archE908ELNS1_3gpuE7ELNS1_3repE0EEENS1_30default_config_static_selectorELNS0_4arch9wavefront6targetE1EEEvT1_.kd
    .uniform_work_group_size: 1
    .uses_dynamic_stack: false
    .vgpr_count:     0
    .vgpr_spill_count: 0
    .wavefront_size: 64
  - .agpr_count:     0
    .args:
      - .offset:         0
        .size:           144
        .value_kind:     by_value
    .group_segment_fixed_size: 0
    .kernarg_segment_align: 8
    .kernarg_segment_size: 144
    .language:       OpenCL C
    .language_version:
      - 2
      - 0
    .max_flat_workgroup_size: 192
    .name:           _ZN7rocprim17ROCPRIM_400000_NS6detail17trampoline_kernelINS0_14default_configENS1_25partition_config_selectorILNS1_17partition_subalgoE0EjNS0_10empty_typeEbEEZZNS1_14partition_implILS5_0ELb0ES3_jN6thrust23THRUST_200600_302600_NS6detail15normal_iteratorINSA_10device_ptrIjEEEEPS6_SG_NS0_5tupleIJSF_NSA_16discard_iteratorINSA_11use_defaultEEEEEENSH_IJSG_SG_EEES6_PlJ7is_evenIjEEEE10hipError_tPvRmT3_T4_T5_T6_T7_T9_mT8_P12ihipStream_tbDpT10_ENKUlT_T0_E_clISt17integral_constantIbLb0EES18_IbLb1EEEEDaS14_S15_EUlS14_E_NS1_11comp_targetILNS1_3genE2ELNS1_11target_archE906ELNS1_3gpuE6ELNS1_3repE0EEENS1_30default_config_static_selectorELNS0_4arch9wavefront6targetE1EEEvT1_
    .private_segment_fixed_size: 0
    .sgpr_count:     6
    .sgpr_spill_count: 0
    .symbol:         _ZN7rocprim17ROCPRIM_400000_NS6detail17trampoline_kernelINS0_14default_configENS1_25partition_config_selectorILNS1_17partition_subalgoE0EjNS0_10empty_typeEbEEZZNS1_14partition_implILS5_0ELb0ES3_jN6thrust23THRUST_200600_302600_NS6detail15normal_iteratorINSA_10device_ptrIjEEEEPS6_SG_NS0_5tupleIJSF_NSA_16discard_iteratorINSA_11use_defaultEEEEEENSH_IJSG_SG_EEES6_PlJ7is_evenIjEEEE10hipError_tPvRmT3_T4_T5_T6_T7_T9_mT8_P12ihipStream_tbDpT10_ENKUlT_T0_E_clISt17integral_constantIbLb0EES18_IbLb1EEEEDaS14_S15_EUlS14_E_NS1_11comp_targetILNS1_3genE2ELNS1_11target_archE906ELNS1_3gpuE6ELNS1_3repE0EEENS1_30default_config_static_selectorELNS0_4arch9wavefront6targetE1EEEvT1_.kd
    .uniform_work_group_size: 1
    .uses_dynamic_stack: false
    .vgpr_count:     0
    .vgpr_spill_count: 0
    .wavefront_size: 64
  - .agpr_count:     0
    .args:
      - .offset:         0
        .size:           144
        .value_kind:     by_value
    .group_segment_fixed_size: 0
    .kernarg_segment_align: 8
    .kernarg_segment_size: 144
    .language:       OpenCL C
    .language_version:
      - 2
      - 0
    .max_flat_workgroup_size: 512
    .name:           _ZN7rocprim17ROCPRIM_400000_NS6detail17trampoline_kernelINS0_14default_configENS1_25partition_config_selectorILNS1_17partition_subalgoE0EjNS0_10empty_typeEbEEZZNS1_14partition_implILS5_0ELb0ES3_jN6thrust23THRUST_200600_302600_NS6detail15normal_iteratorINSA_10device_ptrIjEEEEPS6_SG_NS0_5tupleIJSF_NSA_16discard_iteratorINSA_11use_defaultEEEEEENSH_IJSG_SG_EEES6_PlJ7is_evenIjEEEE10hipError_tPvRmT3_T4_T5_T6_T7_T9_mT8_P12ihipStream_tbDpT10_ENKUlT_T0_E_clISt17integral_constantIbLb0EES18_IbLb1EEEEDaS14_S15_EUlS14_E_NS1_11comp_targetILNS1_3genE10ELNS1_11target_archE1200ELNS1_3gpuE4ELNS1_3repE0EEENS1_30default_config_static_selectorELNS0_4arch9wavefront6targetE1EEEvT1_
    .private_segment_fixed_size: 0
    .sgpr_count:     6
    .sgpr_spill_count: 0
    .symbol:         _ZN7rocprim17ROCPRIM_400000_NS6detail17trampoline_kernelINS0_14default_configENS1_25partition_config_selectorILNS1_17partition_subalgoE0EjNS0_10empty_typeEbEEZZNS1_14partition_implILS5_0ELb0ES3_jN6thrust23THRUST_200600_302600_NS6detail15normal_iteratorINSA_10device_ptrIjEEEEPS6_SG_NS0_5tupleIJSF_NSA_16discard_iteratorINSA_11use_defaultEEEEEENSH_IJSG_SG_EEES6_PlJ7is_evenIjEEEE10hipError_tPvRmT3_T4_T5_T6_T7_T9_mT8_P12ihipStream_tbDpT10_ENKUlT_T0_E_clISt17integral_constantIbLb0EES18_IbLb1EEEEDaS14_S15_EUlS14_E_NS1_11comp_targetILNS1_3genE10ELNS1_11target_archE1200ELNS1_3gpuE4ELNS1_3repE0EEENS1_30default_config_static_selectorELNS0_4arch9wavefront6targetE1EEEvT1_.kd
    .uniform_work_group_size: 1
    .uses_dynamic_stack: false
    .vgpr_count:     0
    .vgpr_spill_count: 0
    .wavefront_size: 64
  - .agpr_count:     0
    .args:
      - .offset:         0
        .size:           144
        .value_kind:     by_value
    .group_segment_fixed_size: 0
    .kernarg_segment_align: 8
    .kernarg_segment_size: 144
    .language:       OpenCL C
    .language_version:
      - 2
      - 0
    .max_flat_workgroup_size: 128
    .name:           _ZN7rocprim17ROCPRIM_400000_NS6detail17trampoline_kernelINS0_14default_configENS1_25partition_config_selectorILNS1_17partition_subalgoE0EjNS0_10empty_typeEbEEZZNS1_14partition_implILS5_0ELb0ES3_jN6thrust23THRUST_200600_302600_NS6detail15normal_iteratorINSA_10device_ptrIjEEEEPS6_SG_NS0_5tupleIJSF_NSA_16discard_iteratorINSA_11use_defaultEEEEEENSH_IJSG_SG_EEES6_PlJ7is_evenIjEEEE10hipError_tPvRmT3_T4_T5_T6_T7_T9_mT8_P12ihipStream_tbDpT10_ENKUlT_T0_E_clISt17integral_constantIbLb0EES18_IbLb1EEEEDaS14_S15_EUlS14_E_NS1_11comp_targetILNS1_3genE9ELNS1_11target_archE1100ELNS1_3gpuE3ELNS1_3repE0EEENS1_30default_config_static_selectorELNS0_4arch9wavefront6targetE1EEEvT1_
    .private_segment_fixed_size: 0
    .sgpr_count:     6
    .sgpr_spill_count: 0
    .symbol:         _ZN7rocprim17ROCPRIM_400000_NS6detail17trampoline_kernelINS0_14default_configENS1_25partition_config_selectorILNS1_17partition_subalgoE0EjNS0_10empty_typeEbEEZZNS1_14partition_implILS5_0ELb0ES3_jN6thrust23THRUST_200600_302600_NS6detail15normal_iteratorINSA_10device_ptrIjEEEEPS6_SG_NS0_5tupleIJSF_NSA_16discard_iteratorINSA_11use_defaultEEEEEENSH_IJSG_SG_EEES6_PlJ7is_evenIjEEEE10hipError_tPvRmT3_T4_T5_T6_T7_T9_mT8_P12ihipStream_tbDpT10_ENKUlT_T0_E_clISt17integral_constantIbLb0EES18_IbLb1EEEEDaS14_S15_EUlS14_E_NS1_11comp_targetILNS1_3genE9ELNS1_11target_archE1100ELNS1_3gpuE3ELNS1_3repE0EEENS1_30default_config_static_selectorELNS0_4arch9wavefront6targetE1EEEvT1_.kd
    .uniform_work_group_size: 1
    .uses_dynamic_stack: false
    .vgpr_count:     0
    .vgpr_spill_count: 0
    .wavefront_size: 64
  - .agpr_count:     0
    .args:
      - .offset:         0
        .size:           144
        .value_kind:     by_value
    .group_segment_fixed_size: 0
    .kernarg_segment_align: 8
    .kernarg_segment_size: 144
    .language:       OpenCL C
    .language_version:
      - 2
      - 0
    .max_flat_workgroup_size: 512
    .name:           _ZN7rocprim17ROCPRIM_400000_NS6detail17trampoline_kernelINS0_14default_configENS1_25partition_config_selectorILNS1_17partition_subalgoE0EjNS0_10empty_typeEbEEZZNS1_14partition_implILS5_0ELb0ES3_jN6thrust23THRUST_200600_302600_NS6detail15normal_iteratorINSA_10device_ptrIjEEEEPS6_SG_NS0_5tupleIJSF_NSA_16discard_iteratorINSA_11use_defaultEEEEEENSH_IJSG_SG_EEES6_PlJ7is_evenIjEEEE10hipError_tPvRmT3_T4_T5_T6_T7_T9_mT8_P12ihipStream_tbDpT10_ENKUlT_T0_E_clISt17integral_constantIbLb0EES18_IbLb1EEEEDaS14_S15_EUlS14_E_NS1_11comp_targetILNS1_3genE8ELNS1_11target_archE1030ELNS1_3gpuE2ELNS1_3repE0EEENS1_30default_config_static_selectorELNS0_4arch9wavefront6targetE1EEEvT1_
    .private_segment_fixed_size: 0
    .sgpr_count:     6
    .sgpr_spill_count: 0
    .symbol:         _ZN7rocprim17ROCPRIM_400000_NS6detail17trampoline_kernelINS0_14default_configENS1_25partition_config_selectorILNS1_17partition_subalgoE0EjNS0_10empty_typeEbEEZZNS1_14partition_implILS5_0ELb0ES3_jN6thrust23THRUST_200600_302600_NS6detail15normal_iteratorINSA_10device_ptrIjEEEEPS6_SG_NS0_5tupleIJSF_NSA_16discard_iteratorINSA_11use_defaultEEEEEENSH_IJSG_SG_EEES6_PlJ7is_evenIjEEEE10hipError_tPvRmT3_T4_T5_T6_T7_T9_mT8_P12ihipStream_tbDpT10_ENKUlT_T0_E_clISt17integral_constantIbLb0EES18_IbLb1EEEEDaS14_S15_EUlS14_E_NS1_11comp_targetILNS1_3genE8ELNS1_11target_archE1030ELNS1_3gpuE2ELNS1_3repE0EEENS1_30default_config_static_selectorELNS0_4arch9wavefront6targetE1EEEvT1_.kd
    .uniform_work_group_size: 1
    .uses_dynamic_stack: false
    .vgpr_count:     0
    .vgpr_spill_count: 0
    .wavefront_size: 64
  - .agpr_count:     0
    .args:
      - .offset:         0
        .size:           128
        .value_kind:     by_value
    .group_segment_fixed_size: 0
    .kernarg_segment_align: 8
    .kernarg_segment_size: 128
    .language:       OpenCL C
    .language_version:
      - 2
      - 0
    .max_flat_workgroup_size: 256
    .name:           _ZN7rocprim17ROCPRIM_400000_NS6detail17trampoline_kernelINS0_14default_configENS1_25partition_config_selectorILNS1_17partition_subalgoE0EjNS0_10empty_typeEbEEZZNS1_14partition_implILS5_0ELb0ES3_jN6thrust23THRUST_200600_302600_NS6detail15normal_iteratorINSA_10device_ptrIjEEEEPS6_SG_NS0_5tupleIJNSA_16discard_iteratorINSA_11use_defaultEEESF_EEENSH_IJSG_SG_EEES6_PlJ7is_evenIjEEEE10hipError_tPvRmT3_T4_T5_T6_T7_T9_mT8_P12ihipStream_tbDpT10_ENKUlT_T0_E_clISt17integral_constantIbLb0EES19_EEDaS14_S15_EUlS14_E_NS1_11comp_targetILNS1_3genE0ELNS1_11target_archE4294967295ELNS1_3gpuE0ELNS1_3repE0EEENS1_30default_config_static_selectorELNS0_4arch9wavefront6targetE1EEEvT1_
    .private_segment_fixed_size: 0
    .sgpr_count:     6
    .sgpr_spill_count: 0
    .symbol:         _ZN7rocprim17ROCPRIM_400000_NS6detail17trampoline_kernelINS0_14default_configENS1_25partition_config_selectorILNS1_17partition_subalgoE0EjNS0_10empty_typeEbEEZZNS1_14partition_implILS5_0ELb0ES3_jN6thrust23THRUST_200600_302600_NS6detail15normal_iteratorINSA_10device_ptrIjEEEEPS6_SG_NS0_5tupleIJNSA_16discard_iteratorINSA_11use_defaultEEESF_EEENSH_IJSG_SG_EEES6_PlJ7is_evenIjEEEE10hipError_tPvRmT3_T4_T5_T6_T7_T9_mT8_P12ihipStream_tbDpT10_ENKUlT_T0_E_clISt17integral_constantIbLb0EES19_EEDaS14_S15_EUlS14_E_NS1_11comp_targetILNS1_3genE0ELNS1_11target_archE4294967295ELNS1_3gpuE0ELNS1_3repE0EEENS1_30default_config_static_selectorELNS0_4arch9wavefront6targetE1EEEvT1_.kd
    .uniform_work_group_size: 1
    .uses_dynamic_stack: false
    .vgpr_count:     0
    .vgpr_spill_count: 0
    .wavefront_size: 64
  - .agpr_count:     0
    .args:
      - .offset:         0
        .size:           128
        .value_kind:     by_value
    .group_segment_fixed_size: 30728
    .kernarg_segment_align: 8
    .kernarg_segment_size: 128
    .language:       OpenCL C
    .language_version:
      - 2
      - 0
    .max_flat_workgroup_size: 512
    .name:           _ZN7rocprim17ROCPRIM_400000_NS6detail17trampoline_kernelINS0_14default_configENS1_25partition_config_selectorILNS1_17partition_subalgoE0EjNS0_10empty_typeEbEEZZNS1_14partition_implILS5_0ELb0ES3_jN6thrust23THRUST_200600_302600_NS6detail15normal_iteratorINSA_10device_ptrIjEEEEPS6_SG_NS0_5tupleIJNSA_16discard_iteratorINSA_11use_defaultEEESF_EEENSH_IJSG_SG_EEES6_PlJ7is_evenIjEEEE10hipError_tPvRmT3_T4_T5_T6_T7_T9_mT8_P12ihipStream_tbDpT10_ENKUlT_T0_E_clISt17integral_constantIbLb0EES19_EEDaS14_S15_EUlS14_E_NS1_11comp_targetILNS1_3genE5ELNS1_11target_archE942ELNS1_3gpuE9ELNS1_3repE0EEENS1_30default_config_static_selectorELNS0_4arch9wavefront6targetE1EEEvT1_
    .private_segment_fixed_size: 0
    .sgpr_count:     50
    .sgpr_spill_count: 0
    .symbol:         _ZN7rocprim17ROCPRIM_400000_NS6detail17trampoline_kernelINS0_14default_configENS1_25partition_config_selectorILNS1_17partition_subalgoE0EjNS0_10empty_typeEbEEZZNS1_14partition_implILS5_0ELb0ES3_jN6thrust23THRUST_200600_302600_NS6detail15normal_iteratorINSA_10device_ptrIjEEEEPS6_SG_NS0_5tupleIJNSA_16discard_iteratorINSA_11use_defaultEEESF_EEENSH_IJSG_SG_EEES6_PlJ7is_evenIjEEEE10hipError_tPvRmT3_T4_T5_T6_T7_T9_mT8_P12ihipStream_tbDpT10_ENKUlT_T0_E_clISt17integral_constantIbLb0EES19_EEDaS14_S15_EUlS14_E_NS1_11comp_targetILNS1_3genE5ELNS1_11target_archE942ELNS1_3gpuE9ELNS1_3repE0EEENS1_30default_config_static_selectorELNS0_4arch9wavefront6targetE1EEEvT1_.kd
    .uniform_work_group_size: 1
    .uses_dynamic_stack: false
    .vgpr_count:     76
    .vgpr_spill_count: 0
    .wavefront_size: 64
  - .agpr_count:     0
    .args:
      - .offset:         0
        .size:           128
        .value_kind:     by_value
    .group_segment_fixed_size: 0
    .kernarg_segment_align: 8
    .kernarg_segment_size: 128
    .language:       OpenCL C
    .language_version:
      - 2
      - 0
    .max_flat_workgroup_size: 256
    .name:           _ZN7rocprim17ROCPRIM_400000_NS6detail17trampoline_kernelINS0_14default_configENS1_25partition_config_selectorILNS1_17partition_subalgoE0EjNS0_10empty_typeEbEEZZNS1_14partition_implILS5_0ELb0ES3_jN6thrust23THRUST_200600_302600_NS6detail15normal_iteratorINSA_10device_ptrIjEEEEPS6_SG_NS0_5tupleIJNSA_16discard_iteratorINSA_11use_defaultEEESF_EEENSH_IJSG_SG_EEES6_PlJ7is_evenIjEEEE10hipError_tPvRmT3_T4_T5_T6_T7_T9_mT8_P12ihipStream_tbDpT10_ENKUlT_T0_E_clISt17integral_constantIbLb0EES19_EEDaS14_S15_EUlS14_E_NS1_11comp_targetILNS1_3genE4ELNS1_11target_archE910ELNS1_3gpuE8ELNS1_3repE0EEENS1_30default_config_static_selectorELNS0_4arch9wavefront6targetE1EEEvT1_
    .private_segment_fixed_size: 0
    .sgpr_count:     6
    .sgpr_spill_count: 0
    .symbol:         _ZN7rocprim17ROCPRIM_400000_NS6detail17trampoline_kernelINS0_14default_configENS1_25partition_config_selectorILNS1_17partition_subalgoE0EjNS0_10empty_typeEbEEZZNS1_14partition_implILS5_0ELb0ES3_jN6thrust23THRUST_200600_302600_NS6detail15normal_iteratorINSA_10device_ptrIjEEEEPS6_SG_NS0_5tupleIJNSA_16discard_iteratorINSA_11use_defaultEEESF_EEENSH_IJSG_SG_EEES6_PlJ7is_evenIjEEEE10hipError_tPvRmT3_T4_T5_T6_T7_T9_mT8_P12ihipStream_tbDpT10_ENKUlT_T0_E_clISt17integral_constantIbLb0EES19_EEDaS14_S15_EUlS14_E_NS1_11comp_targetILNS1_3genE4ELNS1_11target_archE910ELNS1_3gpuE8ELNS1_3repE0EEENS1_30default_config_static_selectorELNS0_4arch9wavefront6targetE1EEEvT1_.kd
    .uniform_work_group_size: 1
    .uses_dynamic_stack: false
    .vgpr_count:     0
    .vgpr_spill_count: 0
    .wavefront_size: 64
  - .agpr_count:     0
    .args:
      - .offset:         0
        .size:           128
        .value_kind:     by_value
    .group_segment_fixed_size: 0
    .kernarg_segment_align: 8
    .kernarg_segment_size: 128
    .language:       OpenCL C
    .language_version:
      - 2
      - 0
    .max_flat_workgroup_size: 256
    .name:           _ZN7rocprim17ROCPRIM_400000_NS6detail17trampoline_kernelINS0_14default_configENS1_25partition_config_selectorILNS1_17partition_subalgoE0EjNS0_10empty_typeEbEEZZNS1_14partition_implILS5_0ELb0ES3_jN6thrust23THRUST_200600_302600_NS6detail15normal_iteratorINSA_10device_ptrIjEEEEPS6_SG_NS0_5tupleIJNSA_16discard_iteratorINSA_11use_defaultEEESF_EEENSH_IJSG_SG_EEES6_PlJ7is_evenIjEEEE10hipError_tPvRmT3_T4_T5_T6_T7_T9_mT8_P12ihipStream_tbDpT10_ENKUlT_T0_E_clISt17integral_constantIbLb0EES19_EEDaS14_S15_EUlS14_E_NS1_11comp_targetILNS1_3genE3ELNS1_11target_archE908ELNS1_3gpuE7ELNS1_3repE0EEENS1_30default_config_static_selectorELNS0_4arch9wavefront6targetE1EEEvT1_
    .private_segment_fixed_size: 0
    .sgpr_count:     6
    .sgpr_spill_count: 0
    .symbol:         _ZN7rocprim17ROCPRIM_400000_NS6detail17trampoline_kernelINS0_14default_configENS1_25partition_config_selectorILNS1_17partition_subalgoE0EjNS0_10empty_typeEbEEZZNS1_14partition_implILS5_0ELb0ES3_jN6thrust23THRUST_200600_302600_NS6detail15normal_iteratorINSA_10device_ptrIjEEEEPS6_SG_NS0_5tupleIJNSA_16discard_iteratorINSA_11use_defaultEEESF_EEENSH_IJSG_SG_EEES6_PlJ7is_evenIjEEEE10hipError_tPvRmT3_T4_T5_T6_T7_T9_mT8_P12ihipStream_tbDpT10_ENKUlT_T0_E_clISt17integral_constantIbLb0EES19_EEDaS14_S15_EUlS14_E_NS1_11comp_targetILNS1_3genE3ELNS1_11target_archE908ELNS1_3gpuE7ELNS1_3repE0EEENS1_30default_config_static_selectorELNS0_4arch9wavefront6targetE1EEEvT1_.kd
    .uniform_work_group_size: 1
    .uses_dynamic_stack: false
    .vgpr_count:     0
    .vgpr_spill_count: 0
    .wavefront_size: 64
  - .agpr_count:     0
    .args:
      - .offset:         0
        .size:           128
        .value_kind:     by_value
    .group_segment_fixed_size: 0
    .kernarg_segment_align: 8
    .kernarg_segment_size: 128
    .language:       OpenCL C
    .language_version:
      - 2
      - 0
    .max_flat_workgroup_size: 192
    .name:           _ZN7rocprim17ROCPRIM_400000_NS6detail17trampoline_kernelINS0_14default_configENS1_25partition_config_selectorILNS1_17partition_subalgoE0EjNS0_10empty_typeEbEEZZNS1_14partition_implILS5_0ELb0ES3_jN6thrust23THRUST_200600_302600_NS6detail15normal_iteratorINSA_10device_ptrIjEEEEPS6_SG_NS0_5tupleIJNSA_16discard_iteratorINSA_11use_defaultEEESF_EEENSH_IJSG_SG_EEES6_PlJ7is_evenIjEEEE10hipError_tPvRmT3_T4_T5_T6_T7_T9_mT8_P12ihipStream_tbDpT10_ENKUlT_T0_E_clISt17integral_constantIbLb0EES19_EEDaS14_S15_EUlS14_E_NS1_11comp_targetILNS1_3genE2ELNS1_11target_archE906ELNS1_3gpuE6ELNS1_3repE0EEENS1_30default_config_static_selectorELNS0_4arch9wavefront6targetE1EEEvT1_
    .private_segment_fixed_size: 0
    .sgpr_count:     6
    .sgpr_spill_count: 0
    .symbol:         _ZN7rocprim17ROCPRIM_400000_NS6detail17trampoline_kernelINS0_14default_configENS1_25partition_config_selectorILNS1_17partition_subalgoE0EjNS0_10empty_typeEbEEZZNS1_14partition_implILS5_0ELb0ES3_jN6thrust23THRUST_200600_302600_NS6detail15normal_iteratorINSA_10device_ptrIjEEEEPS6_SG_NS0_5tupleIJNSA_16discard_iteratorINSA_11use_defaultEEESF_EEENSH_IJSG_SG_EEES6_PlJ7is_evenIjEEEE10hipError_tPvRmT3_T4_T5_T6_T7_T9_mT8_P12ihipStream_tbDpT10_ENKUlT_T0_E_clISt17integral_constantIbLb0EES19_EEDaS14_S15_EUlS14_E_NS1_11comp_targetILNS1_3genE2ELNS1_11target_archE906ELNS1_3gpuE6ELNS1_3repE0EEENS1_30default_config_static_selectorELNS0_4arch9wavefront6targetE1EEEvT1_.kd
    .uniform_work_group_size: 1
    .uses_dynamic_stack: false
    .vgpr_count:     0
    .vgpr_spill_count: 0
    .wavefront_size: 64
  - .agpr_count:     0
    .args:
      - .offset:         0
        .size:           128
        .value_kind:     by_value
    .group_segment_fixed_size: 0
    .kernarg_segment_align: 8
    .kernarg_segment_size: 128
    .language:       OpenCL C
    .language_version:
      - 2
      - 0
    .max_flat_workgroup_size: 512
    .name:           _ZN7rocprim17ROCPRIM_400000_NS6detail17trampoline_kernelINS0_14default_configENS1_25partition_config_selectorILNS1_17partition_subalgoE0EjNS0_10empty_typeEbEEZZNS1_14partition_implILS5_0ELb0ES3_jN6thrust23THRUST_200600_302600_NS6detail15normal_iteratorINSA_10device_ptrIjEEEEPS6_SG_NS0_5tupleIJNSA_16discard_iteratorINSA_11use_defaultEEESF_EEENSH_IJSG_SG_EEES6_PlJ7is_evenIjEEEE10hipError_tPvRmT3_T4_T5_T6_T7_T9_mT8_P12ihipStream_tbDpT10_ENKUlT_T0_E_clISt17integral_constantIbLb0EES19_EEDaS14_S15_EUlS14_E_NS1_11comp_targetILNS1_3genE10ELNS1_11target_archE1200ELNS1_3gpuE4ELNS1_3repE0EEENS1_30default_config_static_selectorELNS0_4arch9wavefront6targetE1EEEvT1_
    .private_segment_fixed_size: 0
    .sgpr_count:     6
    .sgpr_spill_count: 0
    .symbol:         _ZN7rocprim17ROCPRIM_400000_NS6detail17trampoline_kernelINS0_14default_configENS1_25partition_config_selectorILNS1_17partition_subalgoE0EjNS0_10empty_typeEbEEZZNS1_14partition_implILS5_0ELb0ES3_jN6thrust23THRUST_200600_302600_NS6detail15normal_iteratorINSA_10device_ptrIjEEEEPS6_SG_NS0_5tupleIJNSA_16discard_iteratorINSA_11use_defaultEEESF_EEENSH_IJSG_SG_EEES6_PlJ7is_evenIjEEEE10hipError_tPvRmT3_T4_T5_T6_T7_T9_mT8_P12ihipStream_tbDpT10_ENKUlT_T0_E_clISt17integral_constantIbLb0EES19_EEDaS14_S15_EUlS14_E_NS1_11comp_targetILNS1_3genE10ELNS1_11target_archE1200ELNS1_3gpuE4ELNS1_3repE0EEENS1_30default_config_static_selectorELNS0_4arch9wavefront6targetE1EEEvT1_.kd
    .uniform_work_group_size: 1
    .uses_dynamic_stack: false
    .vgpr_count:     0
    .vgpr_spill_count: 0
    .wavefront_size: 64
  - .agpr_count:     0
    .args:
      - .offset:         0
        .size:           128
        .value_kind:     by_value
    .group_segment_fixed_size: 0
    .kernarg_segment_align: 8
    .kernarg_segment_size: 128
    .language:       OpenCL C
    .language_version:
      - 2
      - 0
    .max_flat_workgroup_size: 128
    .name:           _ZN7rocprim17ROCPRIM_400000_NS6detail17trampoline_kernelINS0_14default_configENS1_25partition_config_selectorILNS1_17partition_subalgoE0EjNS0_10empty_typeEbEEZZNS1_14partition_implILS5_0ELb0ES3_jN6thrust23THRUST_200600_302600_NS6detail15normal_iteratorINSA_10device_ptrIjEEEEPS6_SG_NS0_5tupleIJNSA_16discard_iteratorINSA_11use_defaultEEESF_EEENSH_IJSG_SG_EEES6_PlJ7is_evenIjEEEE10hipError_tPvRmT3_T4_T5_T6_T7_T9_mT8_P12ihipStream_tbDpT10_ENKUlT_T0_E_clISt17integral_constantIbLb0EES19_EEDaS14_S15_EUlS14_E_NS1_11comp_targetILNS1_3genE9ELNS1_11target_archE1100ELNS1_3gpuE3ELNS1_3repE0EEENS1_30default_config_static_selectorELNS0_4arch9wavefront6targetE1EEEvT1_
    .private_segment_fixed_size: 0
    .sgpr_count:     6
    .sgpr_spill_count: 0
    .symbol:         _ZN7rocprim17ROCPRIM_400000_NS6detail17trampoline_kernelINS0_14default_configENS1_25partition_config_selectorILNS1_17partition_subalgoE0EjNS0_10empty_typeEbEEZZNS1_14partition_implILS5_0ELb0ES3_jN6thrust23THRUST_200600_302600_NS6detail15normal_iteratorINSA_10device_ptrIjEEEEPS6_SG_NS0_5tupleIJNSA_16discard_iteratorINSA_11use_defaultEEESF_EEENSH_IJSG_SG_EEES6_PlJ7is_evenIjEEEE10hipError_tPvRmT3_T4_T5_T6_T7_T9_mT8_P12ihipStream_tbDpT10_ENKUlT_T0_E_clISt17integral_constantIbLb0EES19_EEDaS14_S15_EUlS14_E_NS1_11comp_targetILNS1_3genE9ELNS1_11target_archE1100ELNS1_3gpuE3ELNS1_3repE0EEENS1_30default_config_static_selectorELNS0_4arch9wavefront6targetE1EEEvT1_.kd
    .uniform_work_group_size: 1
    .uses_dynamic_stack: false
    .vgpr_count:     0
    .vgpr_spill_count: 0
    .wavefront_size: 64
  - .agpr_count:     0
    .args:
      - .offset:         0
        .size:           128
        .value_kind:     by_value
    .group_segment_fixed_size: 0
    .kernarg_segment_align: 8
    .kernarg_segment_size: 128
    .language:       OpenCL C
    .language_version:
      - 2
      - 0
    .max_flat_workgroup_size: 512
    .name:           _ZN7rocprim17ROCPRIM_400000_NS6detail17trampoline_kernelINS0_14default_configENS1_25partition_config_selectorILNS1_17partition_subalgoE0EjNS0_10empty_typeEbEEZZNS1_14partition_implILS5_0ELb0ES3_jN6thrust23THRUST_200600_302600_NS6detail15normal_iteratorINSA_10device_ptrIjEEEEPS6_SG_NS0_5tupleIJNSA_16discard_iteratorINSA_11use_defaultEEESF_EEENSH_IJSG_SG_EEES6_PlJ7is_evenIjEEEE10hipError_tPvRmT3_T4_T5_T6_T7_T9_mT8_P12ihipStream_tbDpT10_ENKUlT_T0_E_clISt17integral_constantIbLb0EES19_EEDaS14_S15_EUlS14_E_NS1_11comp_targetILNS1_3genE8ELNS1_11target_archE1030ELNS1_3gpuE2ELNS1_3repE0EEENS1_30default_config_static_selectorELNS0_4arch9wavefront6targetE1EEEvT1_
    .private_segment_fixed_size: 0
    .sgpr_count:     6
    .sgpr_spill_count: 0
    .symbol:         _ZN7rocprim17ROCPRIM_400000_NS6detail17trampoline_kernelINS0_14default_configENS1_25partition_config_selectorILNS1_17partition_subalgoE0EjNS0_10empty_typeEbEEZZNS1_14partition_implILS5_0ELb0ES3_jN6thrust23THRUST_200600_302600_NS6detail15normal_iteratorINSA_10device_ptrIjEEEEPS6_SG_NS0_5tupleIJNSA_16discard_iteratorINSA_11use_defaultEEESF_EEENSH_IJSG_SG_EEES6_PlJ7is_evenIjEEEE10hipError_tPvRmT3_T4_T5_T6_T7_T9_mT8_P12ihipStream_tbDpT10_ENKUlT_T0_E_clISt17integral_constantIbLb0EES19_EEDaS14_S15_EUlS14_E_NS1_11comp_targetILNS1_3genE8ELNS1_11target_archE1030ELNS1_3gpuE2ELNS1_3repE0EEENS1_30default_config_static_selectorELNS0_4arch9wavefront6targetE1EEEvT1_.kd
    .uniform_work_group_size: 1
    .uses_dynamic_stack: false
    .vgpr_count:     0
    .vgpr_spill_count: 0
    .wavefront_size: 64
  - .agpr_count:     0
    .args:
      - .offset:         0
        .size:           144
        .value_kind:     by_value
    .group_segment_fixed_size: 0
    .kernarg_segment_align: 8
    .kernarg_segment_size: 144
    .language:       OpenCL C
    .language_version:
      - 2
      - 0
    .max_flat_workgroup_size: 256
    .name:           _ZN7rocprim17ROCPRIM_400000_NS6detail17trampoline_kernelINS0_14default_configENS1_25partition_config_selectorILNS1_17partition_subalgoE0EjNS0_10empty_typeEbEEZZNS1_14partition_implILS5_0ELb0ES3_jN6thrust23THRUST_200600_302600_NS6detail15normal_iteratorINSA_10device_ptrIjEEEEPS6_SG_NS0_5tupleIJNSA_16discard_iteratorINSA_11use_defaultEEESF_EEENSH_IJSG_SG_EEES6_PlJ7is_evenIjEEEE10hipError_tPvRmT3_T4_T5_T6_T7_T9_mT8_P12ihipStream_tbDpT10_ENKUlT_T0_E_clISt17integral_constantIbLb1EES19_EEDaS14_S15_EUlS14_E_NS1_11comp_targetILNS1_3genE0ELNS1_11target_archE4294967295ELNS1_3gpuE0ELNS1_3repE0EEENS1_30default_config_static_selectorELNS0_4arch9wavefront6targetE1EEEvT1_
    .private_segment_fixed_size: 0
    .sgpr_count:     6
    .sgpr_spill_count: 0
    .symbol:         _ZN7rocprim17ROCPRIM_400000_NS6detail17trampoline_kernelINS0_14default_configENS1_25partition_config_selectorILNS1_17partition_subalgoE0EjNS0_10empty_typeEbEEZZNS1_14partition_implILS5_0ELb0ES3_jN6thrust23THRUST_200600_302600_NS6detail15normal_iteratorINSA_10device_ptrIjEEEEPS6_SG_NS0_5tupleIJNSA_16discard_iteratorINSA_11use_defaultEEESF_EEENSH_IJSG_SG_EEES6_PlJ7is_evenIjEEEE10hipError_tPvRmT3_T4_T5_T6_T7_T9_mT8_P12ihipStream_tbDpT10_ENKUlT_T0_E_clISt17integral_constantIbLb1EES19_EEDaS14_S15_EUlS14_E_NS1_11comp_targetILNS1_3genE0ELNS1_11target_archE4294967295ELNS1_3gpuE0ELNS1_3repE0EEENS1_30default_config_static_selectorELNS0_4arch9wavefront6targetE1EEEvT1_.kd
    .uniform_work_group_size: 1
    .uses_dynamic_stack: false
    .vgpr_count:     0
    .vgpr_spill_count: 0
    .wavefront_size: 64
  - .agpr_count:     0
    .args:
      - .offset:         0
        .size:           144
        .value_kind:     by_value
    .group_segment_fixed_size: 30728
    .kernarg_segment_align: 8
    .kernarg_segment_size: 144
    .language:       OpenCL C
    .language_version:
      - 2
      - 0
    .max_flat_workgroup_size: 512
    .name:           _ZN7rocprim17ROCPRIM_400000_NS6detail17trampoline_kernelINS0_14default_configENS1_25partition_config_selectorILNS1_17partition_subalgoE0EjNS0_10empty_typeEbEEZZNS1_14partition_implILS5_0ELb0ES3_jN6thrust23THRUST_200600_302600_NS6detail15normal_iteratorINSA_10device_ptrIjEEEEPS6_SG_NS0_5tupleIJNSA_16discard_iteratorINSA_11use_defaultEEESF_EEENSH_IJSG_SG_EEES6_PlJ7is_evenIjEEEE10hipError_tPvRmT3_T4_T5_T6_T7_T9_mT8_P12ihipStream_tbDpT10_ENKUlT_T0_E_clISt17integral_constantIbLb1EES19_EEDaS14_S15_EUlS14_E_NS1_11comp_targetILNS1_3genE5ELNS1_11target_archE942ELNS1_3gpuE9ELNS1_3repE0EEENS1_30default_config_static_selectorELNS0_4arch9wavefront6targetE1EEEvT1_
    .private_segment_fixed_size: 0
    .sgpr_count:     48
    .sgpr_spill_count: 0
    .symbol:         _ZN7rocprim17ROCPRIM_400000_NS6detail17trampoline_kernelINS0_14default_configENS1_25partition_config_selectorILNS1_17partition_subalgoE0EjNS0_10empty_typeEbEEZZNS1_14partition_implILS5_0ELb0ES3_jN6thrust23THRUST_200600_302600_NS6detail15normal_iteratorINSA_10device_ptrIjEEEEPS6_SG_NS0_5tupleIJNSA_16discard_iteratorINSA_11use_defaultEEESF_EEENSH_IJSG_SG_EEES6_PlJ7is_evenIjEEEE10hipError_tPvRmT3_T4_T5_T6_T7_T9_mT8_P12ihipStream_tbDpT10_ENKUlT_T0_E_clISt17integral_constantIbLb1EES19_EEDaS14_S15_EUlS14_E_NS1_11comp_targetILNS1_3genE5ELNS1_11target_archE942ELNS1_3gpuE9ELNS1_3repE0EEENS1_30default_config_static_selectorELNS0_4arch9wavefront6targetE1EEEvT1_.kd
    .uniform_work_group_size: 1
    .uses_dynamic_stack: false
    .vgpr_count:     80
    .vgpr_spill_count: 0
    .wavefront_size: 64
  - .agpr_count:     0
    .args:
      - .offset:         0
        .size:           144
        .value_kind:     by_value
    .group_segment_fixed_size: 0
    .kernarg_segment_align: 8
    .kernarg_segment_size: 144
    .language:       OpenCL C
    .language_version:
      - 2
      - 0
    .max_flat_workgroup_size: 256
    .name:           _ZN7rocprim17ROCPRIM_400000_NS6detail17trampoline_kernelINS0_14default_configENS1_25partition_config_selectorILNS1_17partition_subalgoE0EjNS0_10empty_typeEbEEZZNS1_14partition_implILS5_0ELb0ES3_jN6thrust23THRUST_200600_302600_NS6detail15normal_iteratorINSA_10device_ptrIjEEEEPS6_SG_NS0_5tupleIJNSA_16discard_iteratorINSA_11use_defaultEEESF_EEENSH_IJSG_SG_EEES6_PlJ7is_evenIjEEEE10hipError_tPvRmT3_T4_T5_T6_T7_T9_mT8_P12ihipStream_tbDpT10_ENKUlT_T0_E_clISt17integral_constantIbLb1EES19_EEDaS14_S15_EUlS14_E_NS1_11comp_targetILNS1_3genE4ELNS1_11target_archE910ELNS1_3gpuE8ELNS1_3repE0EEENS1_30default_config_static_selectorELNS0_4arch9wavefront6targetE1EEEvT1_
    .private_segment_fixed_size: 0
    .sgpr_count:     6
    .sgpr_spill_count: 0
    .symbol:         _ZN7rocprim17ROCPRIM_400000_NS6detail17trampoline_kernelINS0_14default_configENS1_25partition_config_selectorILNS1_17partition_subalgoE0EjNS0_10empty_typeEbEEZZNS1_14partition_implILS5_0ELb0ES3_jN6thrust23THRUST_200600_302600_NS6detail15normal_iteratorINSA_10device_ptrIjEEEEPS6_SG_NS0_5tupleIJNSA_16discard_iteratorINSA_11use_defaultEEESF_EEENSH_IJSG_SG_EEES6_PlJ7is_evenIjEEEE10hipError_tPvRmT3_T4_T5_T6_T7_T9_mT8_P12ihipStream_tbDpT10_ENKUlT_T0_E_clISt17integral_constantIbLb1EES19_EEDaS14_S15_EUlS14_E_NS1_11comp_targetILNS1_3genE4ELNS1_11target_archE910ELNS1_3gpuE8ELNS1_3repE0EEENS1_30default_config_static_selectorELNS0_4arch9wavefront6targetE1EEEvT1_.kd
    .uniform_work_group_size: 1
    .uses_dynamic_stack: false
    .vgpr_count:     0
    .vgpr_spill_count: 0
    .wavefront_size: 64
  - .agpr_count:     0
    .args:
      - .offset:         0
        .size:           144
        .value_kind:     by_value
    .group_segment_fixed_size: 0
    .kernarg_segment_align: 8
    .kernarg_segment_size: 144
    .language:       OpenCL C
    .language_version:
      - 2
      - 0
    .max_flat_workgroup_size: 256
    .name:           _ZN7rocprim17ROCPRIM_400000_NS6detail17trampoline_kernelINS0_14default_configENS1_25partition_config_selectorILNS1_17partition_subalgoE0EjNS0_10empty_typeEbEEZZNS1_14partition_implILS5_0ELb0ES3_jN6thrust23THRUST_200600_302600_NS6detail15normal_iteratorINSA_10device_ptrIjEEEEPS6_SG_NS0_5tupleIJNSA_16discard_iteratorINSA_11use_defaultEEESF_EEENSH_IJSG_SG_EEES6_PlJ7is_evenIjEEEE10hipError_tPvRmT3_T4_T5_T6_T7_T9_mT8_P12ihipStream_tbDpT10_ENKUlT_T0_E_clISt17integral_constantIbLb1EES19_EEDaS14_S15_EUlS14_E_NS1_11comp_targetILNS1_3genE3ELNS1_11target_archE908ELNS1_3gpuE7ELNS1_3repE0EEENS1_30default_config_static_selectorELNS0_4arch9wavefront6targetE1EEEvT1_
    .private_segment_fixed_size: 0
    .sgpr_count:     6
    .sgpr_spill_count: 0
    .symbol:         _ZN7rocprim17ROCPRIM_400000_NS6detail17trampoline_kernelINS0_14default_configENS1_25partition_config_selectorILNS1_17partition_subalgoE0EjNS0_10empty_typeEbEEZZNS1_14partition_implILS5_0ELb0ES3_jN6thrust23THRUST_200600_302600_NS6detail15normal_iteratorINSA_10device_ptrIjEEEEPS6_SG_NS0_5tupleIJNSA_16discard_iteratorINSA_11use_defaultEEESF_EEENSH_IJSG_SG_EEES6_PlJ7is_evenIjEEEE10hipError_tPvRmT3_T4_T5_T6_T7_T9_mT8_P12ihipStream_tbDpT10_ENKUlT_T0_E_clISt17integral_constantIbLb1EES19_EEDaS14_S15_EUlS14_E_NS1_11comp_targetILNS1_3genE3ELNS1_11target_archE908ELNS1_3gpuE7ELNS1_3repE0EEENS1_30default_config_static_selectorELNS0_4arch9wavefront6targetE1EEEvT1_.kd
    .uniform_work_group_size: 1
    .uses_dynamic_stack: false
    .vgpr_count:     0
    .vgpr_spill_count: 0
    .wavefront_size: 64
  - .agpr_count:     0
    .args:
      - .offset:         0
        .size:           144
        .value_kind:     by_value
    .group_segment_fixed_size: 0
    .kernarg_segment_align: 8
    .kernarg_segment_size: 144
    .language:       OpenCL C
    .language_version:
      - 2
      - 0
    .max_flat_workgroup_size: 192
    .name:           _ZN7rocprim17ROCPRIM_400000_NS6detail17trampoline_kernelINS0_14default_configENS1_25partition_config_selectorILNS1_17partition_subalgoE0EjNS0_10empty_typeEbEEZZNS1_14partition_implILS5_0ELb0ES3_jN6thrust23THRUST_200600_302600_NS6detail15normal_iteratorINSA_10device_ptrIjEEEEPS6_SG_NS0_5tupleIJNSA_16discard_iteratorINSA_11use_defaultEEESF_EEENSH_IJSG_SG_EEES6_PlJ7is_evenIjEEEE10hipError_tPvRmT3_T4_T5_T6_T7_T9_mT8_P12ihipStream_tbDpT10_ENKUlT_T0_E_clISt17integral_constantIbLb1EES19_EEDaS14_S15_EUlS14_E_NS1_11comp_targetILNS1_3genE2ELNS1_11target_archE906ELNS1_3gpuE6ELNS1_3repE0EEENS1_30default_config_static_selectorELNS0_4arch9wavefront6targetE1EEEvT1_
    .private_segment_fixed_size: 0
    .sgpr_count:     6
    .sgpr_spill_count: 0
    .symbol:         _ZN7rocprim17ROCPRIM_400000_NS6detail17trampoline_kernelINS0_14default_configENS1_25partition_config_selectorILNS1_17partition_subalgoE0EjNS0_10empty_typeEbEEZZNS1_14partition_implILS5_0ELb0ES3_jN6thrust23THRUST_200600_302600_NS6detail15normal_iteratorINSA_10device_ptrIjEEEEPS6_SG_NS0_5tupleIJNSA_16discard_iteratorINSA_11use_defaultEEESF_EEENSH_IJSG_SG_EEES6_PlJ7is_evenIjEEEE10hipError_tPvRmT3_T4_T5_T6_T7_T9_mT8_P12ihipStream_tbDpT10_ENKUlT_T0_E_clISt17integral_constantIbLb1EES19_EEDaS14_S15_EUlS14_E_NS1_11comp_targetILNS1_3genE2ELNS1_11target_archE906ELNS1_3gpuE6ELNS1_3repE0EEENS1_30default_config_static_selectorELNS0_4arch9wavefront6targetE1EEEvT1_.kd
    .uniform_work_group_size: 1
    .uses_dynamic_stack: false
    .vgpr_count:     0
    .vgpr_spill_count: 0
    .wavefront_size: 64
  - .agpr_count:     0
    .args:
      - .offset:         0
        .size:           144
        .value_kind:     by_value
    .group_segment_fixed_size: 0
    .kernarg_segment_align: 8
    .kernarg_segment_size: 144
    .language:       OpenCL C
    .language_version:
      - 2
      - 0
    .max_flat_workgroup_size: 512
    .name:           _ZN7rocprim17ROCPRIM_400000_NS6detail17trampoline_kernelINS0_14default_configENS1_25partition_config_selectorILNS1_17partition_subalgoE0EjNS0_10empty_typeEbEEZZNS1_14partition_implILS5_0ELb0ES3_jN6thrust23THRUST_200600_302600_NS6detail15normal_iteratorINSA_10device_ptrIjEEEEPS6_SG_NS0_5tupleIJNSA_16discard_iteratorINSA_11use_defaultEEESF_EEENSH_IJSG_SG_EEES6_PlJ7is_evenIjEEEE10hipError_tPvRmT3_T4_T5_T6_T7_T9_mT8_P12ihipStream_tbDpT10_ENKUlT_T0_E_clISt17integral_constantIbLb1EES19_EEDaS14_S15_EUlS14_E_NS1_11comp_targetILNS1_3genE10ELNS1_11target_archE1200ELNS1_3gpuE4ELNS1_3repE0EEENS1_30default_config_static_selectorELNS0_4arch9wavefront6targetE1EEEvT1_
    .private_segment_fixed_size: 0
    .sgpr_count:     6
    .sgpr_spill_count: 0
    .symbol:         _ZN7rocprim17ROCPRIM_400000_NS6detail17trampoline_kernelINS0_14default_configENS1_25partition_config_selectorILNS1_17partition_subalgoE0EjNS0_10empty_typeEbEEZZNS1_14partition_implILS5_0ELb0ES3_jN6thrust23THRUST_200600_302600_NS6detail15normal_iteratorINSA_10device_ptrIjEEEEPS6_SG_NS0_5tupleIJNSA_16discard_iteratorINSA_11use_defaultEEESF_EEENSH_IJSG_SG_EEES6_PlJ7is_evenIjEEEE10hipError_tPvRmT3_T4_T5_T6_T7_T9_mT8_P12ihipStream_tbDpT10_ENKUlT_T0_E_clISt17integral_constantIbLb1EES19_EEDaS14_S15_EUlS14_E_NS1_11comp_targetILNS1_3genE10ELNS1_11target_archE1200ELNS1_3gpuE4ELNS1_3repE0EEENS1_30default_config_static_selectorELNS0_4arch9wavefront6targetE1EEEvT1_.kd
    .uniform_work_group_size: 1
    .uses_dynamic_stack: false
    .vgpr_count:     0
    .vgpr_spill_count: 0
    .wavefront_size: 64
  - .agpr_count:     0
    .args:
      - .offset:         0
        .size:           144
        .value_kind:     by_value
    .group_segment_fixed_size: 0
    .kernarg_segment_align: 8
    .kernarg_segment_size: 144
    .language:       OpenCL C
    .language_version:
      - 2
      - 0
    .max_flat_workgroup_size: 128
    .name:           _ZN7rocprim17ROCPRIM_400000_NS6detail17trampoline_kernelINS0_14default_configENS1_25partition_config_selectorILNS1_17partition_subalgoE0EjNS0_10empty_typeEbEEZZNS1_14partition_implILS5_0ELb0ES3_jN6thrust23THRUST_200600_302600_NS6detail15normal_iteratorINSA_10device_ptrIjEEEEPS6_SG_NS0_5tupleIJNSA_16discard_iteratorINSA_11use_defaultEEESF_EEENSH_IJSG_SG_EEES6_PlJ7is_evenIjEEEE10hipError_tPvRmT3_T4_T5_T6_T7_T9_mT8_P12ihipStream_tbDpT10_ENKUlT_T0_E_clISt17integral_constantIbLb1EES19_EEDaS14_S15_EUlS14_E_NS1_11comp_targetILNS1_3genE9ELNS1_11target_archE1100ELNS1_3gpuE3ELNS1_3repE0EEENS1_30default_config_static_selectorELNS0_4arch9wavefront6targetE1EEEvT1_
    .private_segment_fixed_size: 0
    .sgpr_count:     6
    .sgpr_spill_count: 0
    .symbol:         _ZN7rocprim17ROCPRIM_400000_NS6detail17trampoline_kernelINS0_14default_configENS1_25partition_config_selectorILNS1_17partition_subalgoE0EjNS0_10empty_typeEbEEZZNS1_14partition_implILS5_0ELb0ES3_jN6thrust23THRUST_200600_302600_NS6detail15normal_iteratorINSA_10device_ptrIjEEEEPS6_SG_NS0_5tupleIJNSA_16discard_iteratorINSA_11use_defaultEEESF_EEENSH_IJSG_SG_EEES6_PlJ7is_evenIjEEEE10hipError_tPvRmT3_T4_T5_T6_T7_T9_mT8_P12ihipStream_tbDpT10_ENKUlT_T0_E_clISt17integral_constantIbLb1EES19_EEDaS14_S15_EUlS14_E_NS1_11comp_targetILNS1_3genE9ELNS1_11target_archE1100ELNS1_3gpuE3ELNS1_3repE0EEENS1_30default_config_static_selectorELNS0_4arch9wavefront6targetE1EEEvT1_.kd
    .uniform_work_group_size: 1
    .uses_dynamic_stack: false
    .vgpr_count:     0
    .vgpr_spill_count: 0
    .wavefront_size: 64
  - .agpr_count:     0
    .args:
      - .offset:         0
        .size:           144
        .value_kind:     by_value
    .group_segment_fixed_size: 0
    .kernarg_segment_align: 8
    .kernarg_segment_size: 144
    .language:       OpenCL C
    .language_version:
      - 2
      - 0
    .max_flat_workgroup_size: 512
    .name:           _ZN7rocprim17ROCPRIM_400000_NS6detail17trampoline_kernelINS0_14default_configENS1_25partition_config_selectorILNS1_17partition_subalgoE0EjNS0_10empty_typeEbEEZZNS1_14partition_implILS5_0ELb0ES3_jN6thrust23THRUST_200600_302600_NS6detail15normal_iteratorINSA_10device_ptrIjEEEEPS6_SG_NS0_5tupleIJNSA_16discard_iteratorINSA_11use_defaultEEESF_EEENSH_IJSG_SG_EEES6_PlJ7is_evenIjEEEE10hipError_tPvRmT3_T4_T5_T6_T7_T9_mT8_P12ihipStream_tbDpT10_ENKUlT_T0_E_clISt17integral_constantIbLb1EES19_EEDaS14_S15_EUlS14_E_NS1_11comp_targetILNS1_3genE8ELNS1_11target_archE1030ELNS1_3gpuE2ELNS1_3repE0EEENS1_30default_config_static_selectorELNS0_4arch9wavefront6targetE1EEEvT1_
    .private_segment_fixed_size: 0
    .sgpr_count:     6
    .sgpr_spill_count: 0
    .symbol:         _ZN7rocprim17ROCPRIM_400000_NS6detail17trampoline_kernelINS0_14default_configENS1_25partition_config_selectorILNS1_17partition_subalgoE0EjNS0_10empty_typeEbEEZZNS1_14partition_implILS5_0ELb0ES3_jN6thrust23THRUST_200600_302600_NS6detail15normal_iteratorINSA_10device_ptrIjEEEEPS6_SG_NS0_5tupleIJNSA_16discard_iteratorINSA_11use_defaultEEESF_EEENSH_IJSG_SG_EEES6_PlJ7is_evenIjEEEE10hipError_tPvRmT3_T4_T5_T6_T7_T9_mT8_P12ihipStream_tbDpT10_ENKUlT_T0_E_clISt17integral_constantIbLb1EES19_EEDaS14_S15_EUlS14_E_NS1_11comp_targetILNS1_3genE8ELNS1_11target_archE1030ELNS1_3gpuE2ELNS1_3repE0EEENS1_30default_config_static_selectorELNS0_4arch9wavefront6targetE1EEEvT1_.kd
    .uniform_work_group_size: 1
    .uses_dynamic_stack: false
    .vgpr_count:     0
    .vgpr_spill_count: 0
    .wavefront_size: 64
  - .agpr_count:     0
    .args:
      - .offset:         0
        .size:           128
        .value_kind:     by_value
    .group_segment_fixed_size: 0
    .kernarg_segment_align: 8
    .kernarg_segment_size: 128
    .language:       OpenCL C
    .language_version:
      - 2
      - 0
    .max_flat_workgroup_size: 256
    .name:           _ZN7rocprim17ROCPRIM_400000_NS6detail17trampoline_kernelINS0_14default_configENS1_25partition_config_selectorILNS1_17partition_subalgoE0EjNS0_10empty_typeEbEEZZNS1_14partition_implILS5_0ELb0ES3_jN6thrust23THRUST_200600_302600_NS6detail15normal_iteratorINSA_10device_ptrIjEEEEPS6_SG_NS0_5tupleIJNSA_16discard_iteratorINSA_11use_defaultEEESF_EEENSH_IJSG_SG_EEES6_PlJ7is_evenIjEEEE10hipError_tPvRmT3_T4_T5_T6_T7_T9_mT8_P12ihipStream_tbDpT10_ENKUlT_T0_E_clISt17integral_constantIbLb1EES18_IbLb0EEEEDaS14_S15_EUlS14_E_NS1_11comp_targetILNS1_3genE0ELNS1_11target_archE4294967295ELNS1_3gpuE0ELNS1_3repE0EEENS1_30default_config_static_selectorELNS0_4arch9wavefront6targetE1EEEvT1_
    .private_segment_fixed_size: 0
    .sgpr_count:     6
    .sgpr_spill_count: 0
    .symbol:         _ZN7rocprim17ROCPRIM_400000_NS6detail17trampoline_kernelINS0_14default_configENS1_25partition_config_selectorILNS1_17partition_subalgoE0EjNS0_10empty_typeEbEEZZNS1_14partition_implILS5_0ELb0ES3_jN6thrust23THRUST_200600_302600_NS6detail15normal_iteratorINSA_10device_ptrIjEEEEPS6_SG_NS0_5tupleIJNSA_16discard_iteratorINSA_11use_defaultEEESF_EEENSH_IJSG_SG_EEES6_PlJ7is_evenIjEEEE10hipError_tPvRmT3_T4_T5_T6_T7_T9_mT8_P12ihipStream_tbDpT10_ENKUlT_T0_E_clISt17integral_constantIbLb1EES18_IbLb0EEEEDaS14_S15_EUlS14_E_NS1_11comp_targetILNS1_3genE0ELNS1_11target_archE4294967295ELNS1_3gpuE0ELNS1_3repE0EEENS1_30default_config_static_selectorELNS0_4arch9wavefront6targetE1EEEvT1_.kd
    .uniform_work_group_size: 1
    .uses_dynamic_stack: false
    .vgpr_count:     0
    .vgpr_spill_count: 0
    .wavefront_size: 64
  - .agpr_count:     0
    .args:
      - .offset:         0
        .size:           128
        .value_kind:     by_value
    .group_segment_fixed_size: 30728
    .kernarg_segment_align: 8
    .kernarg_segment_size: 128
    .language:       OpenCL C
    .language_version:
      - 2
      - 0
    .max_flat_workgroup_size: 512
    .name:           _ZN7rocprim17ROCPRIM_400000_NS6detail17trampoline_kernelINS0_14default_configENS1_25partition_config_selectorILNS1_17partition_subalgoE0EjNS0_10empty_typeEbEEZZNS1_14partition_implILS5_0ELb0ES3_jN6thrust23THRUST_200600_302600_NS6detail15normal_iteratorINSA_10device_ptrIjEEEEPS6_SG_NS0_5tupleIJNSA_16discard_iteratorINSA_11use_defaultEEESF_EEENSH_IJSG_SG_EEES6_PlJ7is_evenIjEEEE10hipError_tPvRmT3_T4_T5_T6_T7_T9_mT8_P12ihipStream_tbDpT10_ENKUlT_T0_E_clISt17integral_constantIbLb1EES18_IbLb0EEEEDaS14_S15_EUlS14_E_NS1_11comp_targetILNS1_3genE5ELNS1_11target_archE942ELNS1_3gpuE9ELNS1_3repE0EEENS1_30default_config_static_selectorELNS0_4arch9wavefront6targetE1EEEvT1_
    .private_segment_fixed_size: 0
    .sgpr_count:     50
    .sgpr_spill_count: 0
    .symbol:         _ZN7rocprim17ROCPRIM_400000_NS6detail17trampoline_kernelINS0_14default_configENS1_25partition_config_selectorILNS1_17partition_subalgoE0EjNS0_10empty_typeEbEEZZNS1_14partition_implILS5_0ELb0ES3_jN6thrust23THRUST_200600_302600_NS6detail15normal_iteratorINSA_10device_ptrIjEEEEPS6_SG_NS0_5tupleIJNSA_16discard_iteratorINSA_11use_defaultEEESF_EEENSH_IJSG_SG_EEES6_PlJ7is_evenIjEEEE10hipError_tPvRmT3_T4_T5_T6_T7_T9_mT8_P12ihipStream_tbDpT10_ENKUlT_T0_E_clISt17integral_constantIbLb1EES18_IbLb0EEEEDaS14_S15_EUlS14_E_NS1_11comp_targetILNS1_3genE5ELNS1_11target_archE942ELNS1_3gpuE9ELNS1_3repE0EEENS1_30default_config_static_selectorELNS0_4arch9wavefront6targetE1EEEvT1_.kd
    .uniform_work_group_size: 1
    .uses_dynamic_stack: false
    .vgpr_count:     76
    .vgpr_spill_count: 0
    .wavefront_size: 64
  - .agpr_count:     0
    .args:
      - .offset:         0
        .size:           128
        .value_kind:     by_value
    .group_segment_fixed_size: 0
    .kernarg_segment_align: 8
    .kernarg_segment_size: 128
    .language:       OpenCL C
    .language_version:
      - 2
      - 0
    .max_flat_workgroup_size: 256
    .name:           _ZN7rocprim17ROCPRIM_400000_NS6detail17trampoline_kernelINS0_14default_configENS1_25partition_config_selectorILNS1_17partition_subalgoE0EjNS0_10empty_typeEbEEZZNS1_14partition_implILS5_0ELb0ES3_jN6thrust23THRUST_200600_302600_NS6detail15normal_iteratorINSA_10device_ptrIjEEEEPS6_SG_NS0_5tupleIJNSA_16discard_iteratorINSA_11use_defaultEEESF_EEENSH_IJSG_SG_EEES6_PlJ7is_evenIjEEEE10hipError_tPvRmT3_T4_T5_T6_T7_T9_mT8_P12ihipStream_tbDpT10_ENKUlT_T0_E_clISt17integral_constantIbLb1EES18_IbLb0EEEEDaS14_S15_EUlS14_E_NS1_11comp_targetILNS1_3genE4ELNS1_11target_archE910ELNS1_3gpuE8ELNS1_3repE0EEENS1_30default_config_static_selectorELNS0_4arch9wavefront6targetE1EEEvT1_
    .private_segment_fixed_size: 0
    .sgpr_count:     6
    .sgpr_spill_count: 0
    .symbol:         _ZN7rocprim17ROCPRIM_400000_NS6detail17trampoline_kernelINS0_14default_configENS1_25partition_config_selectorILNS1_17partition_subalgoE0EjNS0_10empty_typeEbEEZZNS1_14partition_implILS5_0ELb0ES3_jN6thrust23THRUST_200600_302600_NS6detail15normal_iteratorINSA_10device_ptrIjEEEEPS6_SG_NS0_5tupleIJNSA_16discard_iteratorINSA_11use_defaultEEESF_EEENSH_IJSG_SG_EEES6_PlJ7is_evenIjEEEE10hipError_tPvRmT3_T4_T5_T6_T7_T9_mT8_P12ihipStream_tbDpT10_ENKUlT_T0_E_clISt17integral_constantIbLb1EES18_IbLb0EEEEDaS14_S15_EUlS14_E_NS1_11comp_targetILNS1_3genE4ELNS1_11target_archE910ELNS1_3gpuE8ELNS1_3repE0EEENS1_30default_config_static_selectorELNS0_4arch9wavefront6targetE1EEEvT1_.kd
    .uniform_work_group_size: 1
    .uses_dynamic_stack: false
    .vgpr_count:     0
    .vgpr_spill_count: 0
    .wavefront_size: 64
  - .agpr_count:     0
    .args:
      - .offset:         0
        .size:           128
        .value_kind:     by_value
    .group_segment_fixed_size: 0
    .kernarg_segment_align: 8
    .kernarg_segment_size: 128
    .language:       OpenCL C
    .language_version:
      - 2
      - 0
    .max_flat_workgroup_size: 256
    .name:           _ZN7rocprim17ROCPRIM_400000_NS6detail17trampoline_kernelINS0_14default_configENS1_25partition_config_selectorILNS1_17partition_subalgoE0EjNS0_10empty_typeEbEEZZNS1_14partition_implILS5_0ELb0ES3_jN6thrust23THRUST_200600_302600_NS6detail15normal_iteratorINSA_10device_ptrIjEEEEPS6_SG_NS0_5tupleIJNSA_16discard_iteratorINSA_11use_defaultEEESF_EEENSH_IJSG_SG_EEES6_PlJ7is_evenIjEEEE10hipError_tPvRmT3_T4_T5_T6_T7_T9_mT8_P12ihipStream_tbDpT10_ENKUlT_T0_E_clISt17integral_constantIbLb1EES18_IbLb0EEEEDaS14_S15_EUlS14_E_NS1_11comp_targetILNS1_3genE3ELNS1_11target_archE908ELNS1_3gpuE7ELNS1_3repE0EEENS1_30default_config_static_selectorELNS0_4arch9wavefront6targetE1EEEvT1_
    .private_segment_fixed_size: 0
    .sgpr_count:     6
    .sgpr_spill_count: 0
    .symbol:         _ZN7rocprim17ROCPRIM_400000_NS6detail17trampoline_kernelINS0_14default_configENS1_25partition_config_selectorILNS1_17partition_subalgoE0EjNS0_10empty_typeEbEEZZNS1_14partition_implILS5_0ELb0ES3_jN6thrust23THRUST_200600_302600_NS6detail15normal_iteratorINSA_10device_ptrIjEEEEPS6_SG_NS0_5tupleIJNSA_16discard_iteratorINSA_11use_defaultEEESF_EEENSH_IJSG_SG_EEES6_PlJ7is_evenIjEEEE10hipError_tPvRmT3_T4_T5_T6_T7_T9_mT8_P12ihipStream_tbDpT10_ENKUlT_T0_E_clISt17integral_constantIbLb1EES18_IbLb0EEEEDaS14_S15_EUlS14_E_NS1_11comp_targetILNS1_3genE3ELNS1_11target_archE908ELNS1_3gpuE7ELNS1_3repE0EEENS1_30default_config_static_selectorELNS0_4arch9wavefront6targetE1EEEvT1_.kd
    .uniform_work_group_size: 1
    .uses_dynamic_stack: false
    .vgpr_count:     0
    .vgpr_spill_count: 0
    .wavefront_size: 64
  - .agpr_count:     0
    .args:
      - .offset:         0
        .size:           128
        .value_kind:     by_value
    .group_segment_fixed_size: 0
    .kernarg_segment_align: 8
    .kernarg_segment_size: 128
    .language:       OpenCL C
    .language_version:
      - 2
      - 0
    .max_flat_workgroup_size: 192
    .name:           _ZN7rocprim17ROCPRIM_400000_NS6detail17trampoline_kernelINS0_14default_configENS1_25partition_config_selectorILNS1_17partition_subalgoE0EjNS0_10empty_typeEbEEZZNS1_14partition_implILS5_0ELb0ES3_jN6thrust23THRUST_200600_302600_NS6detail15normal_iteratorINSA_10device_ptrIjEEEEPS6_SG_NS0_5tupleIJNSA_16discard_iteratorINSA_11use_defaultEEESF_EEENSH_IJSG_SG_EEES6_PlJ7is_evenIjEEEE10hipError_tPvRmT3_T4_T5_T6_T7_T9_mT8_P12ihipStream_tbDpT10_ENKUlT_T0_E_clISt17integral_constantIbLb1EES18_IbLb0EEEEDaS14_S15_EUlS14_E_NS1_11comp_targetILNS1_3genE2ELNS1_11target_archE906ELNS1_3gpuE6ELNS1_3repE0EEENS1_30default_config_static_selectorELNS0_4arch9wavefront6targetE1EEEvT1_
    .private_segment_fixed_size: 0
    .sgpr_count:     6
    .sgpr_spill_count: 0
    .symbol:         _ZN7rocprim17ROCPRIM_400000_NS6detail17trampoline_kernelINS0_14default_configENS1_25partition_config_selectorILNS1_17partition_subalgoE0EjNS0_10empty_typeEbEEZZNS1_14partition_implILS5_0ELb0ES3_jN6thrust23THRUST_200600_302600_NS6detail15normal_iteratorINSA_10device_ptrIjEEEEPS6_SG_NS0_5tupleIJNSA_16discard_iteratorINSA_11use_defaultEEESF_EEENSH_IJSG_SG_EEES6_PlJ7is_evenIjEEEE10hipError_tPvRmT3_T4_T5_T6_T7_T9_mT8_P12ihipStream_tbDpT10_ENKUlT_T0_E_clISt17integral_constantIbLb1EES18_IbLb0EEEEDaS14_S15_EUlS14_E_NS1_11comp_targetILNS1_3genE2ELNS1_11target_archE906ELNS1_3gpuE6ELNS1_3repE0EEENS1_30default_config_static_selectorELNS0_4arch9wavefront6targetE1EEEvT1_.kd
    .uniform_work_group_size: 1
    .uses_dynamic_stack: false
    .vgpr_count:     0
    .vgpr_spill_count: 0
    .wavefront_size: 64
  - .agpr_count:     0
    .args:
      - .offset:         0
        .size:           128
        .value_kind:     by_value
    .group_segment_fixed_size: 0
    .kernarg_segment_align: 8
    .kernarg_segment_size: 128
    .language:       OpenCL C
    .language_version:
      - 2
      - 0
    .max_flat_workgroup_size: 512
    .name:           _ZN7rocprim17ROCPRIM_400000_NS6detail17trampoline_kernelINS0_14default_configENS1_25partition_config_selectorILNS1_17partition_subalgoE0EjNS0_10empty_typeEbEEZZNS1_14partition_implILS5_0ELb0ES3_jN6thrust23THRUST_200600_302600_NS6detail15normal_iteratorINSA_10device_ptrIjEEEEPS6_SG_NS0_5tupleIJNSA_16discard_iteratorINSA_11use_defaultEEESF_EEENSH_IJSG_SG_EEES6_PlJ7is_evenIjEEEE10hipError_tPvRmT3_T4_T5_T6_T7_T9_mT8_P12ihipStream_tbDpT10_ENKUlT_T0_E_clISt17integral_constantIbLb1EES18_IbLb0EEEEDaS14_S15_EUlS14_E_NS1_11comp_targetILNS1_3genE10ELNS1_11target_archE1200ELNS1_3gpuE4ELNS1_3repE0EEENS1_30default_config_static_selectorELNS0_4arch9wavefront6targetE1EEEvT1_
    .private_segment_fixed_size: 0
    .sgpr_count:     6
    .sgpr_spill_count: 0
    .symbol:         _ZN7rocprim17ROCPRIM_400000_NS6detail17trampoline_kernelINS0_14default_configENS1_25partition_config_selectorILNS1_17partition_subalgoE0EjNS0_10empty_typeEbEEZZNS1_14partition_implILS5_0ELb0ES3_jN6thrust23THRUST_200600_302600_NS6detail15normal_iteratorINSA_10device_ptrIjEEEEPS6_SG_NS0_5tupleIJNSA_16discard_iteratorINSA_11use_defaultEEESF_EEENSH_IJSG_SG_EEES6_PlJ7is_evenIjEEEE10hipError_tPvRmT3_T4_T5_T6_T7_T9_mT8_P12ihipStream_tbDpT10_ENKUlT_T0_E_clISt17integral_constantIbLb1EES18_IbLb0EEEEDaS14_S15_EUlS14_E_NS1_11comp_targetILNS1_3genE10ELNS1_11target_archE1200ELNS1_3gpuE4ELNS1_3repE0EEENS1_30default_config_static_selectorELNS0_4arch9wavefront6targetE1EEEvT1_.kd
    .uniform_work_group_size: 1
    .uses_dynamic_stack: false
    .vgpr_count:     0
    .vgpr_spill_count: 0
    .wavefront_size: 64
  - .agpr_count:     0
    .args:
      - .offset:         0
        .size:           128
        .value_kind:     by_value
    .group_segment_fixed_size: 0
    .kernarg_segment_align: 8
    .kernarg_segment_size: 128
    .language:       OpenCL C
    .language_version:
      - 2
      - 0
    .max_flat_workgroup_size: 128
    .name:           _ZN7rocprim17ROCPRIM_400000_NS6detail17trampoline_kernelINS0_14default_configENS1_25partition_config_selectorILNS1_17partition_subalgoE0EjNS0_10empty_typeEbEEZZNS1_14partition_implILS5_0ELb0ES3_jN6thrust23THRUST_200600_302600_NS6detail15normal_iteratorINSA_10device_ptrIjEEEEPS6_SG_NS0_5tupleIJNSA_16discard_iteratorINSA_11use_defaultEEESF_EEENSH_IJSG_SG_EEES6_PlJ7is_evenIjEEEE10hipError_tPvRmT3_T4_T5_T6_T7_T9_mT8_P12ihipStream_tbDpT10_ENKUlT_T0_E_clISt17integral_constantIbLb1EES18_IbLb0EEEEDaS14_S15_EUlS14_E_NS1_11comp_targetILNS1_3genE9ELNS1_11target_archE1100ELNS1_3gpuE3ELNS1_3repE0EEENS1_30default_config_static_selectorELNS0_4arch9wavefront6targetE1EEEvT1_
    .private_segment_fixed_size: 0
    .sgpr_count:     6
    .sgpr_spill_count: 0
    .symbol:         _ZN7rocprim17ROCPRIM_400000_NS6detail17trampoline_kernelINS0_14default_configENS1_25partition_config_selectorILNS1_17partition_subalgoE0EjNS0_10empty_typeEbEEZZNS1_14partition_implILS5_0ELb0ES3_jN6thrust23THRUST_200600_302600_NS6detail15normal_iteratorINSA_10device_ptrIjEEEEPS6_SG_NS0_5tupleIJNSA_16discard_iteratorINSA_11use_defaultEEESF_EEENSH_IJSG_SG_EEES6_PlJ7is_evenIjEEEE10hipError_tPvRmT3_T4_T5_T6_T7_T9_mT8_P12ihipStream_tbDpT10_ENKUlT_T0_E_clISt17integral_constantIbLb1EES18_IbLb0EEEEDaS14_S15_EUlS14_E_NS1_11comp_targetILNS1_3genE9ELNS1_11target_archE1100ELNS1_3gpuE3ELNS1_3repE0EEENS1_30default_config_static_selectorELNS0_4arch9wavefront6targetE1EEEvT1_.kd
    .uniform_work_group_size: 1
    .uses_dynamic_stack: false
    .vgpr_count:     0
    .vgpr_spill_count: 0
    .wavefront_size: 64
  - .agpr_count:     0
    .args:
      - .offset:         0
        .size:           128
        .value_kind:     by_value
    .group_segment_fixed_size: 0
    .kernarg_segment_align: 8
    .kernarg_segment_size: 128
    .language:       OpenCL C
    .language_version:
      - 2
      - 0
    .max_flat_workgroup_size: 512
    .name:           _ZN7rocprim17ROCPRIM_400000_NS6detail17trampoline_kernelINS0_14default_configENS1_25partition_config_selectorILNS1_17partition_subalgoE0EjNS0_10empty_typeEbEEZZNS1_14partition_implILS5_0ELb0ES3_jN6thrust23THRUST_200600_302600_NS6detail15normal_iteratorINSA_10device_ptrIjEEEEPS6_SG_NS0_5tupleIJNSA_16discard_iteratorINSA_11use_defaultEEESF_EEENSH_IJSG_SG_EEES6_PlJ7is_evenIjEEEE10hipError_tPvRmT3_T4_T5_T6_T7_T9_mT8_P12ihipStream_tbDpT10_ENKUlT_T0_E_clISt17integral_constantIbLb1EES18_IbLb0EEEEDaS14_S15_EUlS14_E_NS1_11comp_targetILNS1_3genE8ELNS1_11target_archE1030ELNS1_3gpuE2ELNS1_3repE0EEENS1_30default_config_static_selectorELNS0_4arch9wavefront6targetE1EEEvT1_
    .private_segment_fixed_size: 0
    .sgpr_count:     6
    .sgpr_spill_count: 0
    .symbol:         _ZN7rocprim17ROCPRIM_400000_NS6detail17trampoline_kernelINS0_14default_configENS1_25partition_config_selectorILNS1_17partition_subalgoE0EjNS0_10empty_typeEbEEZZNS1_14partition_implILS5_0ELb0ES3_jN6thrust23THRUST_200600_302600_NS6detail15normal_iteratorINSA_10device_ptrIjEEEEPS6_SG_NS0_5tupleIJNSA_16discard_iteratorINSA_11use_defaultEEESF_EEENSH_IJSG_SG_EEES6_PlJ7is_evenIjEEEE10hipError_tPvRmT3_T4_T5_T6_T7_T9_mT8_P12ihipStream_tbDpT10_ENKUlT_T0_E_clISt17integral_constantIbLb1EES18_IbLb0EEEEDaS14_S15_EUlS14_E_NS1_11comp_targetILNS1_3genE8ELNS1_11target_archE1030ELNS1_3gpuE2ELNS1_3repE0EEENS1_30default_config_static_selectorELNS0_4arch9wavefront6targetE1EEEvT1_.kd
    .uniform_work_group_size: 1
    .uses_dynamic_stack: false
    .vgpr_count:     0
    .vgpr_spill_count: 0
    .wavefront_size: 64
  - .agpr_count:     0
    .args:
      - .offset:         0
        .size:           144
        .value_kind:     by_value
    .group_segment_fixed_size: 0
    .kernarg_segment_align: 8
    .kernarg_segment_size: 144
    .language:       OpenCL C
    .language_version:
      - 2
      - 0
    .max_flat_workgroup_size: 256
    .name:           _ZN7rocprim17ROCPRIM_400000_NS6detail17trampoline_kernelINS0_14default_configENS1_25partition_config_selectorILNS1_17partition_subalgoE0EjNS0_10empty_typeEbEEZZNS1_14partition_implILS5_0ELb0ES3_jN6thrust23THRUST_200600_302600_NS6detail15normal_iteratorINSA_10device_ptrIjEEEEPS6_SG_NS0_5tupleIJNSA_16discard_iteratorINSA_11use_defaultEEESF_EEENSH_IJSG_SG_EEES6_PlJ7is_evenIjEEEE10hipError_tPvRmT3_T4_T5_T6_T7_T9_mT8_P12ihipStream_tbDpT10_ENKUlT_T0_E_clISt17integral_constantIbLb0EES18_IbLb1EEEEDaS14_S15_EUlS14_E_NS1_11comp_targetILNS1_3genE0ELNS1_11target_archE4294967295ELNS1_3gpuE0ELNS1_3repE0EEENS1_30default_config_static_selectorELNS0_4arch9wavefront6targetE1EEEvT1_
    .private_segment_fixed_size: 0
    .sgpr_count:     6
    .sgpr_spill_count: 0
    .symbol:         _ZN7rocprim17ROCPRIM_400000_NS6detail17trampoline_kernelINS0_14default_configENS1_25partition_config_selectorILNS1_17partition_subalgoE0EjNS0_10empty_typeEbEEZZNS1_14partition_implILS5_0ELb0ES3_jN6thrust23THRUST_200600_302600_NS6detail15normal_iteratorINSA_10device_ptrIjEEEEPS6_SG_NS0_5tupleIJNSA_16discard_iteratorINSA_11use_defaultEEESF_EEENSH_IJSG_SG_EEES6_PlJ7is_evenIjEEEE10hipError_tPvRmT3_T4_T5_T6_T7_T9_mT8_P12ihipStream_tbDpT10_ENKUlT_T0_E_clISt17integral_constantIbLb0EES18_IbLb1EEEEDaS14_S15_EUlS14_E_NS1_11comp_targetILNS1_3genE0ELNS1_11target_archE4294967295ELNS1_3gpuE0ELNS1_3repE0EEENS1_30default_config_static_selectorELNS0_4arch9wavefront6targetE1EEEvT1_.kd
    .uniform_work_group_size: 1
    .uses_dynamic_stack: false
    .vgpr_count:     0
    .vgpr_spill_count: 0
    .wavefront_size: 64
  - .agpr_count:     0
    .args:
      - .offset:         0
        .size:           144
        .value_kind:     by_value
    .group_segment_fixed_size: 30728
    .kernarg_segment_align: 8
    .kernarg_segment_size: 144
    .language:       OpenCL C
    .language_version:
      - 2
      - 0
    .max_flat_workgroup_size: 512
    .name:           _ZN7rocprim17ROCPRIM_400000_NS6detail17trampoline_kernelINS0_14default_configENS1_25partition_config_selectorILNS1_17partition_subalgoE0EjNS0_10empty_typeEbEEZZNS1_14partition_implILS5_0ELb0ES3_jN6thrust23THRUST_200600_302600_NS6detail15normal_iteratorINSA_10device_ptrIjEEEEPS6_SG_NS0_5tupleIJNSA_16discard_iteratorINSA_11use_defaultEEESF_EEENSH_IJSG_SG_EEES6_PlJ7is_evenIjEEEE10hipError_tPvRmT3_T4_T5_T6_T7_T9_mT8_P12ihipStream_tbDpT10_ENKUlT_T0_E_clISt17integral_constantIbLb0EES18_IbLb1EEEEDaS14_S15_EUlS14_E_NS1_11comp_targetILNS1_3genE5ELNS1_11target_archE942ELNS1_3gpuE9ELNS1_3repE0EEENS1_30default_config_static_selectorELNS0_4arch9wavefront6targetE1EEEvT1_
    .private_segment_fixed_size: 0
    .sgpr_count:     48
    .sgpr_spill_count: 0
    .symbol:         _ZN7rocprim17ROCPRIM_400000_NS6detail17trampoline_kernelINS0_14default_configENS1_25partition_config_selectorILNS1_17partition_subalgoE0EjNS0_10empty_typeEbEEZZNS1_14partition_implILS5_0ELb0ES3_jN6thrust23THRUST_200600_302600_NS6detail15normal_iteratorINSA_10device_ptrIjEEEEPS6_SG_NS0_5tupleIJNSA_16discard_iteratorINSA_11use_defaultEEESF_EEENSH_IJSG_SG_EEES6_PlJ7is_evenIjEEEE10hipError_tPvRmT3_T4_T5_T6_T7_T9_mT8_P12ihipStream_tbDpT10_ENKUlT_T0_E_clISt17integral_constantIbLb0EES18_IbLb1EEEEDaS14_S15_EUlS14_E_NS1_11comp_targetILNS1_3genE5ELNS1_11target_archE942ELNS1_3gpuE9ELNS1_3repE0EEENS1_30default_config_static_selectorELNS0_4arch9wavefront6targetE1EEEvT1_.kd
    .uniform_work_group_size: 1
    .uses_dynamic_stack: false
    .vgpr_count:     80
    .vgpr_spill_count: 0
    .wavefront_size: 64
  - .agpr_count:     0
    .args:
      - .offset:         0
        .size:           144
        .value_kind:     by_value
    .group_segment_fixed_size: 0
    .kernarg_segment_align: 8
    .kernarg_segment_size: 144
    .language:       OpenCL C
    .language_version:
      - 2
      - 0
    .max_flat_workgroup_size: 256
    .name:           _ZN7rocprim17ROCPRIM_400000_NS6detail17trampoline_kernelINS0_14default_configENS1_25partition_config_selectorILNS1_17partition_subalgoE0EjNS0_10empty_typeEbEEZZNS1_14partition_implILS5_0ELb0ES3_jN6thrust23THRUST_200600_302600_NS6detail15normal_iteratorINSA_10device_ptrIjEEEEPS6_SG_NS0_5tupleIJNSA_16discard_iteratorINSA_11use_defaultEEESF_EEENSH_IJSG_SG_EEES6_PlJ7is_evenIjEEEE10hipError_tPvRmT3_T4_T5_T6_T7_T9_mT8_P12ihipStream_tbDpT10_ENKUlT_T0_E_clISt17integral_constantIbLb0EES18_IbLb1EEEEDaS14_S15_EUlS14_E_NS1_11comp_targetILNS1_3genE4ELNS1_11target_archE910ELNS1_3gpuE8ELNS1_3repE0EEENS1_30default_config_static_selectorELNS0_4arch9wavefront6targetE1EEEvT1_
    .private_segment_fixed_size: 0
    .sgpr_count:     6
    .sgpr_spill_count: 0
    .symbol:         _ZN7rocprim17ROCPRIM_400000_NS6detail17trampoline_kernelINS0_14default_configENS1_25partition_config_selectorILNS1_17partition_subalgoE0EjNS0_10empty_typeEbEEZZNS1_14partition_implILS5_0ELb0ES3_jN6thrust23THRUST_200600_302600_NS6detail15normal_iteratorINSA_10device_ptrIjEEEEPS6_SG_NS0_5tupleIJNSA_16discard_iteratorINSA_11use_defaultEEESF_EEENSH_IJSG_SG_EEES6_PlJ7is_evenIjEEEE10hipError_tPvRmT3_T4_T5_T6_T7_T9_mT8_P12ihipStream_tbDpT10_ENKUlT_T0_E_clISt17integral_constantIbLb0EES18_IbLb1EEEEDaS14_S15_EUlS14_E_NS1_11comp_targetILNS1_3genE4ELNS1_11target_archE910ELNS1_3gpuE8ELNS1_3repE0EEENS1_30default_config_static_selectorELNS0_4arch9wavefront6targetE1EEEvT1_.kd
    .uniform_work_group_size: 1
    .uses_dynamic_stack: false
    .vgpr_count:     0
    .vgpr_spill_count: 0
    .wavefront_size: 64
  - .agpr_count:     0
    .args:
      - .offset:         0
        .size:           144
        .value_kind:     by_value
    .group_segment_fixed_size: 0
    .kernarg_segment_align: 8
    .kernarg_segment_size: 144
    .language:       OpenCL C
    .language_version:
      - 2
      - 0
    .max_flat_workgroup_size: 256
    .name:           _ZN7rocprim17ROCPRIM_400000_NS6detail17trampoline_kernelINS0_14default_configENS1_25partition_config_selectorILNS1_17partition_subalgoE0EjNS0_10empty_typeEbEEZZNS1_14partition_implILS5_0ELb0ES3_jN6thrust23THRUST_200600_302600_NS6detail15normal_iteratorINSA_10device_ptrIjEEEEPS6_SG_NS0_5tupleIJNSA_16discard_iteratorINSA_11use_defaultEEESF_EEENSH_IJSG_SG_EEES6_PlJ7is_evenIjEEEE10hipError_tPvRmT3_T4_T5_T6_T7_T9_mT8_P12ihipStream_tbDpT10_ENKUlT_T0_E_clISt17integral_constantIbLb0EES18_IbLb1EEEEDaS14_S15_EUlS14_E_NS1_11comp_targetILNS1_3genE3ELNS1_11target_archE908ELNS1_3gpuE7ELNS1_3repE0EEENS1_30default_config_static_selectorELNS0_4arch9wavefront6targetE1EEEvT1_
    .private_segment_fixed_size: 0
    .sgpr_count:     6
    .sgpr_spill_count: 0
    .symbol:         _ZN7rocprim17ROCPRIM_400000_NS6detail17trampoline_kernelINS0_14default_configENS1_25partition_config_selectorILNS1_17partition_subalgoE0EjNS0_10empty_typeEbEEZZNS1_14partition_implILS5_0ELb0ES3_jN6thrust23THRUST_200600_302600_NS6detail15normal_iteratorINSA_10device_ptrIjEEEEPS6_SG_NS0_5tupleIJNSA_16discard_iteratorINSA_11use_defaultEEESF_EEENSH_IJSG_SG_EEES6_PlJ7is_evenIjEEEE10hipError_tPvRmT3_T4_T5_T6_T7_T9_mT8_P12ihipStream_tbDpT10_ENKUlT_T0_E_clISt17integral_constantIbLb0EES18_IbLb1EEEEDaS14_S15_EUlS14_E_NS1_11comp_targetILNS1_3genE3ELNS1_11target_archE908ELNS1_3gpuE7ELNS1_3repE0EEENS1_30default_config_static_selectorELNS0_4arch9wavefront6targetE1EEEvT1_.kd
    .uniform_work_group_size: 1
    .uses_dynamic_stack: false
    .vgpr_count:     0
    .vgpr_spill_count: 0
    .wavefront_size: 64
  - .agpr_count:     0
    .args:
      - .offset:         0
        .size:           144
        .value_kind:     by_value
    .group_segment_fixed_size: 0
    .kernarg_segment_align: 8
    .kernarg_segment_size: 144
    .language:       OpenCL C
    .language_version:
      - 2
      - 0
    .max_flat_workgroup_size: 192
    .name:           _ZN7rocprim17ROCPRIM_400000_NS6detail17trampoline_kernelINS0_14default_configENS1_25partition_config_selectorILNS1_17partition_subalgoE0EjNS0_10empty_typeEbEEZZNS1_14partition_implILS5_0ELb0ES3_jN6thrust23THRUST_200600_302600_NS6detail15normal_iteratorINSA_10device_ptrIjEEEEPS6_SG_NS0_5tupleIJNSA_16discard_iteratorINSA_11use_defaultEEESF_EEENSH_IJSG_SG_EEES6_PlJ7is_evenIjEEEE10hipError_tPvRmT3_T4_T5_T6_T7_T9_mT8_P12ihipStream_tbDpT10_ENKUlT_T0_E_clISt17integral_constantIbLb0EES18_IbLb1EEEEDaS14_S15_EUlS14_E_NS1_11comp_targetILNS1_3genE2ELNS1_11target_archE906ELNS1_3gpuE6ELNS1_3repE0EEENS1_30default_config_static_selectorELNS0_4arch9wavefront6targetE1EEEvT1_
    .private_segment_fixed_size: 0
    .sgpr_count:     6
    .sgpr_spill_count: 0
    .symbol:         _ZN7rocprim17ROCPRIM_400000_NS6detail17trampoline_kernelINS0_14default_configENS1_25partition_config_selectorILNS1_17partition_subalgoE0EjNS0_10empty_typeEbEEZZNS1_14partition_implILS5_0ELb0ES3_jN6thrust23THRUST_200600_302600_NS6detail15normal_iteratorINSA_10device_ptrIjEEEEPS6_SG_NS0_5tupleIJNSA_16discard_iteratorINSA_11use_defaultEEESF_EEENSH_IJSG_SG_EEES6_PlJ7is_evenIjEEEE10hipError_tPvRmT3_T4_T5_T6_T7_T9_mT8_P12ihipStream_tbDpT10_ENKUlT_T0_E_clISt17integral_constantIbLb0EES18_IbLb1EEEEDaS14_S15_EUlS14_E_NS1_11comp_targetILNS1_3genE2ELNS1_11target_archE906ELNS1_3gpuE6ELNS1_3repE0EEENS1_30default_config_static_selectorELNS0_4arch9wavefront6targetE1EEEvT1_.kd
    .uniform_work_group_size: 1
    .uses_dynamic_stack: false
    .vgpr_count:     0
    .vgpr_spill_count: 0
    .wavefront_size: 64
  - .agpr_count:     0
    .args:
      - .offset:         0
        .size:           144
        .value_kind:     by_value
    .group_segment_fixed_size: 0
    .kernarg_segment_align: 8
    .kernarg_segment_size: 144
    .language:       OpenCL C
    .language_version:
      - 2
      - 0
    .max_flat_workgroup_size: 512
    .name:           _ZN7rocprim17ROCPRIM_400000_NS6detail17trampoline_kernelINS0_14default_configENS1_25partition_config_selectorILNS1_17partition_subalgoE0EjNS0_10empty_typeEbEEZZNS1_14partition_implILS5_0ELb0ES3_jN6thrust23THRUST_200600_302600_NS6detail15normal_iteratorINSA_10device_ptrIjEEEEPS6_SG_NS0_5tupleIJNSA_16discard_iteratorINSA_11use_defaultEEESF_EEENSH_IJSG_SG_EEES6_PlJ7is_evenIjEEEE10hipError_tPvRmT3_T4_T5_T6_T7_T9_mT8_P12ihipStream_tbDpT10_ENKUlT_T0_E_clISt17integral_constantIbLb0EES18_IbLb1EEEEDaS14_S15_EUlS14_E_NS1_11comp_targetILNS1_3genE10ELNS1_11target_archE1200ELNS1_3gpuE4ELNS1_3repE0EEENS1_30default_config_static_selectorELNS0_4arch9wavefront6targetE1EEEvT1_
    .private_segment_fixed_size: 0
    .sgpr_count:     6
    .sgpr_spill_count: 0
    .symbol:         _ZN7rocprim17ROCPRIM_400000_NS6detail17trampoline_kernelINS0_14default_configENS1_25partition_config_selectorILNS1_17partition_subalgoE0EjNS0_10empty_typeEbEEZZNS1_14partition_implILS5_0ELb0ES3_jN6thrust23THRUST_200600_302600_NS6detail15normal_iteratorINSA_10device_ptrIjEEEEPS6_SG_NS0_5tupleIJNSA_16discard_iteratorINSA_11use_defaultEEESF_EEENSH_IJSG_SG_EEES6_PlJ7is_evenIjEEEE10hipError_tPvRmT3_T4_T5_T6_T7_T9_mT8_P12ihipStream_tbDpT10_ENKUlT_T0_E_clISt17integral_constantIbLb0EES18_IbLb1EEEEDaS14_S15_EUlS14_E_NS1_11comp_targetILNS1_3genE10ELNS1_11target_archE1200ELNS1_3gpuE4ELNS1_3repE0EEENS1_30default_config_static_selectorELNS0_4arch9wavefront6targetE1EEEvT1_.kd
    .uniform_work_group_size: 1
    .uses_dynamic_stack: false
    .vgpr_count:     0
    .vgpr_spill_count: 0
    .wavefront_size: 64
  - .agpr_count:     0
    .args:
      - .offset:         0
        .size:           144
        .value_kind:     by_value
    .group_segment_fixed_size: 0
    .kernarg_segment_align: 8
    .kernarg_segment_size: 144
    .language:       OpenCL C
    .language_version:
      - 2
      - 0
    .max_flat_workgroup_size: 128
    .name:           _ZN7rocprim17ROCPRIM_400000_NS6detail17trampoline_kernelINS0_14default_configENS1_25partition_config_selectorILNS1_17partition_subalgoE0EjNS0_10empty_typeEbEEZZNS1_14partition_implILS5_0ELb0ES3_jN6thrust23THRUST_200600_302600_NS6detail15normal_iteratorINSA_10device_ptrIjEEEEPS6_SG_NS0_5tupleIJNSA_16discard_iteratorINSA_11use_defaultEEESF_EEENSH_IJSG_SG_EEES6_PlJ7is_evenIjEEEE10hipError_tPvRmT3_T4_T5_T6_T7_T9_mT8_P12ihipStream_tbDpT10_ENKUlT_T0_E_clISt17integral_constantIbLb0EES18_IbLb1EEEEDaS14_S15_EUlS14_E_NS1_11comp_targetILNS1_3genE9ELNS1_11target_archE1100ELNS1_3gpuE3ELNS1_3repE0EEENS1_30default_config_static_selectorELNS0_4arch9wavefront6targetE1EEEvT1_
    .private_segment_fixed_size: 0
    .sgpr_count:     6
    .sgpr_spill_count: 0
    .symbol:         _ZN7rocprim17ROCPRIM_400000_NS6detail17trampoline_kernelINS0_14default_configENS1_25partition_config_selectorILNS1_17partition_subalgoE0EjNS0_10empty_typeEbEEZZNS1_14partition_implILS5_0ELb0ES3_jN6thrust23THRUST_200600_302600_NS6detail15normal_iteratorINSA_10device_ptrIjEEEEPS6_SG_NS0_5tupleIJNSA_16discard_iteratorINSA_11use_defaultEEESF_EEENSH_IJSG_SG_EEES6_PlJ7is_evenIjEEEE10hipError_tPvRmT3_T4_T5_T6_T7_T9_mT8_P12ihipStream_tbDpT10_ENKUlT_T0_E_clISt17integral_constantIbLb0EES18_IbLb1EEEEDaS14_S15_EUlS14_E_NS1_11comp_targetILNS1_3genE9ELNS1_11target_archE1100ELNS1_3gpuE3ELNS1_3repE0EEENS1_30default_config_static_selectorELNS0_4arch9wavefront6targetE1EEEvT1_.kd
    .uniform_work_group_size: 1
    .uses_dynamic_stack: false
    .vgpr_count:     0
    .vgpr_spill_count: 0
    .wavefront_size: 64
  - .agpr_count:     0
    .args:
      - .offset:         0
        .size:           144
        .value_kind:     by_value
    .group_segment_fixed_size: 0
    .kernarg_segment_align: 8
    .kernarg_segment_size: 144
    .language:       OpenCL C
    .language_version:
      - 2
      - 0
    .max_flat_workgroup_size: 512
    .name:           _ZN7rocprim17ROCPRIM_400000_NS6detail17trampoline_kernelINS0_14default_configENS1_25partition_config_selectorILNS1_17partition_subalgoE0EjNS0_10empty_typeEbEEZZNS1_14partition_implILS5_0ELb0ES3_jN6thrust23THRUST_200600_302600_NS6detail15normal_iteratorINSA_10device_ptrIjEEEEPS6_SG_NS0_5tupleIJNSA_16discard_iteratorINSA_11use_defaultEEESF_EEENSH_IJSG_SG_EEES6_PlJ7is_evenIjEEEE10hipError_tPvRmT3_T4_T5_T6_T7_T9_mT8_P12ihipStream_tbDpT10_ENKUlT_T0_E_clISt17integral_constantIbLb0EES18_IbLb1EEEEDaS14_S15_EUlS14_E_NS1_11comp_targetILNS1_3genE8ELNS1_11target_archE1030ELNS1_3gpuE2ELNS1_3repE0EEENS1_30default_config_static_selectorELNS0_4arch9wavefront6targetE1EEEvT1_
    .private_segment_fixed_size: 0
    .sgpr_count:     6
    .sgpr_spill_count: 0
    .symbol:         _ZN7rocprim17ROCPRIM_400000_NS6detail17trampoline_kernelINS0_14default_configENS1_25partition_config_selectorILNS1_17partition_subalgoE0EjNS0_10empty_typeEbEEZZNS1_14partition_implILS5_0ELb0ES3_jN6thrust23THRUST_200600_302600_NS6detail15normal_iteratorINSA_10device_ptrIjEEEEPS6_SG_NS0_5tupleIJNSA_16discard_iteratorINSA_11use_defaultEEESF_EEENSH_IJSG_SG_EEES6_PlJ7is_evenIjEEEE10hipError_tPvRmT3_T4_T5_T6_T7_T9_mT8_P12ihipStream_tbDpT10_ENKUlT_T0_E_clISt17integral_constantIbLb0EES18_IbLb1EEEEDaS14_S15_EUlS14_E_NS1_11comp_targetILNS1_3genE8ELNS1_11target_archE1030ELNS1_3gpuE2ELNS1_3repE0EEENS1_30default_config_static_selectorELNS0_4arch9wavefront6targetE1EEEvT1_.kd
    .uniform_work_group_size: 1
    .uses_dynamic_stack: false
    .vgpr_count:     0
    .vgpr_spill_count: 0
    .wavefront_size: 64
  - .agpr_count:     0
    .args:
      - .offset:         0
        .size:           136
        .value_kind:     by_value
    .group_segment_fixed_size: 0
    .kernarg_segment_align: 8
    .kernarg_segment_size: 136
    .language:       OpenCL C
    .language_version:
      - 2
      - 0
    .max_flat_workgroup_size: 256
    .name:           _ZN7rocprim17ROCPRIM_400000_NS6detail17trampoline_kernelINS0_14default_configENS1_25partition_config_selectorILNS1_17partition_subalgoE0EtNS0_10empty_typeEbEEZZNS1_14partition_implILS5_0ELb0ES3_jN6thrust23THRUST_200600_302600_NS6detail15normal_iteratorINSA_10device_ptrItEEEEPS6_SG_NS0_5tupleIJNSA_16discard_iteratorINSA_11use_defaultEEESK_EEENSH_IJSG_SG_EEES6_PlJ7is_evenItEEEE10hipError_tPvRmT3_T4_T5_T6_T7_T9_mT8_P12ihipStream_tbDpT10_ENKUlT_T0_E_clISt17integral_constantIbLb0EES19_EEDaS14_S15_EUlS14_E_NS1_11comp_targetILNS1_3genE0ELNS1_11target_archE4294967295ELNS1_3gpuE0ELNS1_3repE0EEENS1_30default_config_static_selectorELNS0_4arch9wavefront6targetE1EEEvT1_
    .private_segment_fixed_size: 0
    .sgpr_count:     6
    .sgpr_spill_count: 0
    .symbol:         _ZN7rocprim17ROCPRIM_400000_NS6detail17trampoline_kernelINS0_14default_configENS1_25partition_config_selectorILNS1_17partition_subalgoE0EtNS0_10empty_typeEbEEZZNS1_14partition_implILS5_0ELb0ES3_jN6thrust23THRUST_200600_302600_NS6detail15normal_iteratorINSA_10device_ptrItEEEEPS6_SG_NS0_5tupleIJNSA_16discard_iteratorINSA_11use_defaultEEESK_EEENSH_IJSG_SG_EEES6_PlJ7is_evenItEEEE10hipError_tPvRmT3_T4_T5_T6_T7_T9_mT8_P12ihipStream_tbDpT10_ENKUlT_T0_E_clISt17integral_constantIbLb0EES19_EEDaS14_S15_EUlS14_E_NS1_11comp_targetILNS1_3genE0ELNS1_11target_archE4294967295ELNS1_3gpuE0ELNS1_3repE0EEENS1_30default_config_static_selectorELNS0_4arch9wavefront6targetE1EEEvT1_.kd
    .uniform_work_group_size: 1
    .uses_dynamic_stack: false
    .vgpr_count:     0
    .vgpr_spill_count: 0
    .wavefront_size: 64
  - .agpr_count:     0
    .args:
      - .offset:         0
        .size:           136
        .value_kind:     by_value
    .group_segment_fixed_size: 30728
    .kernarg_segment_align: 8
    .kernarg_segment_size: 136
    .language:       OpenCL C
    .language_version:
      - 2
      - 0
    .max_flat_workgroup_size: 512
    .name:           _ZN7rocprim17ROCPRIM_400000_NS6detail17trampoline_kernelINS0_14default_configENS1_25partition_config_selectorILNS1_17partition_subalgoE0EtNS0_10empty_typeEbEEZZNS1_14partition_implILS5_0ELb0ES3_jN6thrust23THRUST_200600_302600_NS6detail15normal_iteratorINSA_10device_ptrItEEEEPS6_SG_NS0_5tupleIJNSA_16discard_iteratorINSA_11use_defaultEEESK_EEENSH_IJSG_SG_EEES6_PlJ7is_evenItEEEE10hipError_tPvRmT3_T4_T5_T6_T7_T9_mT8_P12ihipStream_tbDpT10_ENKUlT_T0_E_clISt17integral_constantIbLb0EES19_EEDaS14_S15_EUlS14_E_NS1_11comp_targetILNS1_3genE5ELNS1_11target_archE942ELNS1_3gpuE9ELNS1_3repE0EEENS1_30default_config_static_selectorELNS0_4arch9wavefront6targetE1EEEvT1_
    .private_segment_fixed_size: 0
    .sgpr_count:     42
    .sgpr_spill_count: 0
    .symbol:         _ZN7rocprim17ROCPRIM_400000_NS6detail17trampoline_kernelINS0_14default_configENS1_25partition_config_selectorILNS1_17partition_subalgoE0EtNS0_10empty_typeEbEEZZNS1_14partition_implILS5_0ELb0ES3_jN6thrust23THRUST_200600_302600_NS6detail15normal_iteratorINSA_10device_ptrItEEEEPS6_SG_NS0_5tupleIJNSA_16discard_iteratorINSA_11use_defaultEEESK_EEENSH_IJSG_SG_EEES6_PlJ7is_evenItEEEE10hipError_tPvRmT3_T4_T5_T6_T7_T9_mT8_P12ihipStream_tbDpT10_ENKUlT_T0_E_clISt17integral_constantIbLb0EES19_EEDaS14_S15_EUlS14_E_NS1_11comp_targetILNS1_3genE5ELNS1_11target_archE942ELNS1_3gpuE9ELNS1_3repE0EEENS1_30default_config_static_selectorELNS0_4arch9wavefront6targetE1EEEvT1_.kd
    .uniform_work_group_size: 1
    .uses_dynamic_stack: false
    .vgpr_count:     119
    .vgpr_spill_count: 0
    .wavefront_size: 64
  - .agpr_count:     0
    .args:
      - .offset:         0
        .size:           136
        .value_kind:     by_value
    .group_segment_fixed_size: 0
    .kernarg_segment_align: 8
    .kernarg_segment_size: 136
    .language:       OpenCL C
    .language_version:
      - 2
      - 0
    .max_flat_workgroup_size: 256
    .name:           _ZN7rocprim17ROCPRIM_400000_NS6detail17trampoline_kernelINS0_14default_configENS1_25partition_config_selectorILNS1_17partition_subalgoE0EtNS0_10empty_typeEbEEZZNS1_14partition_implILS5_0ELb0ES3_jN6thrust23THRUST_200600_302600_NS6detail15normal_iteratorINSA_10device_ptrItEEEEPS6_SG_NS0_5tupleIJNSA_16discard_iteratorINSA_11use_defaultEEESK_EEENSH_IJSG_SG_EEES6_PlJ7is_evenItEEEE10hipError_tPvRmT3_T4_T5_T6_T7_T9_mT8_P12ihipStream_tbDpT10_ENKUlT_T0_E_clISt17integral_constantIbLb0EES19_EEDaS14_S15_EUlS14_E_NS1_11comp_targetILNS1_3genE4ELNS1_11target_archE910ELNS1_3gpuE8ELNS1_3repE0EEENS1_30default_config_static_selectorELNS0_4arch9wavefront6targetE1EEEvT1_
    .private_segment_fixed_size: 0
    .sgpr_count:     6
    .sgpr_spill_count: 0
    .symbol:         _ZN7rocprim17ROCPRIM_400000_NS6detail17trampoline_kernelINS0_14default_configENS1_25partition_config_selectorILNS1_17partition_subalgoE0EtNS0_10empty_typeEbEEZZNS1_14partition_implILS5_0ELb0ES3_jN6thrust23THRUST_200600_302600_NS6detail15normal_iteratorINSA_10device_ptrItEEEEPS6_SG_NS0_5tupleIJNSA_16discard_iteratorINSA_11use_defaultEEESK_EEENSH_IJSG_SG_EEES6_PlJ7is_evenItEEEE10hipError_tPvRmT3_T4_T5_T6_T7_T9_mT8_P12ihipStream_tbDpT10_ENKUlT_T0_E_clISt17integral_constantIbLb0EES19_EEDaS14_S15_EUlS14_E_NS1_11comp_targetILNS1_3genE4ELNS1_11target_archE910ELNS1_3gpuE8ELNS1_3repE0EEENS1_30default_config_static_selectorELNS0_4arch9wavefront6targetE1EEEvT1_.kd
    .uniform_work_group_size: 1
    .uses_dynamic_stack: false
    .vgpr_count:     0
    .vgpr_spill_count: 0
    .wavefront_size: 64
  - .agpr_count:     0
    .args:
      - .offset:         0
        .size:           136
        .value_kind:     by_value
    .group_segment_fixed_size: 0
    .kernarg_segment_align: 8
    .kernarg_segment_size: 136
    .language:       OpenCL C
    .language_version:
      - 2
      - 0
    .max_flat_workgroup_size: 256
    .name:           _ZN7rocprim17ROCPRIM_400000_NS6detail17trampoline_kernelINS0_14default_configENS1_25partition_config_selectorILNS1_17partition_subalgoE0EtNS0_10empty_typeEbEEZZNS1_14partition_implILS5_0ELb0ES3_jN6thrust23THRUST_200600_302600_NS6detail15normal_iteratorINSA_10device_ptrItEEEEPS6_SG_NS0_5tupleIJNSA_16discard_iteratorINSA_11use_defaultEEESK_EEENSH_IJSG_SG_EEES6_PlJ7is_evenItEEEE10hipError_tPvRmT3_T4_T5_T6_T7_T9_mT8_P12ihipStream_tbDpT10_ENKUlT_T0_E_clISt17integral_constantIbLb0EES19_EEDaS14_S15_EUlS14_E_NS1_11comp_targetILNS1_3genE3ELNS1_11target_archE908ELNS1_3gpuE7ELNS1_3repE0EEENS1_30default_config_static_selectorELNS0_4arch9wavefront6targetE1EEEvT1_
    .private_segment_fixed_size: 0
    .sgpr_count:     6
    .sgpr_spill_count: 0
    .symbol:         _ZN7rocprim17ROCPRIM_400000_NS6detail17trampoline_kernelINS0_14default_configENS1_25partition_config_selectorILNS1_17partition_subalgoE0EtNS0_10empty_typeEbEEZZNS1_14partition_implILS5_0ELb0ES3_jN6thrust23THRUST_200600_302600_NS6detail15normal_iteratorINSA_10device_ptrItEEEEPS6_SG_NS0_5tupleIJNSA_16discard_iteratorINSA_11use_defaultEEESK_EEENSH_IJSG_SG_EEES6_PlJ7is_evenItEEEE10hipError_tPvRmT3_T4_T5_T6_T7_T9_mT8_P12ihipStream_tbDpT10_ENKUlT_T0_E_clISt17integral_constantIbLb0EES19_EEDaS14_S15_EUlS14_E_NS1_11comp_targetILNS1_3genE3ELNS1_11target_archE908ELNS1_3gpuE7ELNS1_3repE0EEENS1_30default_config_static_selectorELNS0_4arch9wavefront6targetE1EEEvT1_.kd
    .uniform_work_group_size: 1
    .uses_dynamic_stack: false
    .vgpr_count:     0
    .vgpr_spill_count: 0
    .wavefront_size: 64
  - .agpr_count:     0
    .args:
      - .offset:         0
        .size:           136
        .value_kind:     by_value
    .group_segment_fixed_size: 0
    .kernarg_segment_align: 8
    .kernarg_segment_size: 136
    .language:       OpenCL C
    .language_version:
      - 2
      - 0
    .max_flat_workgroup_size: 256
    .name:           _ZN7rocprim17ROCPRIM_400000_NS6detail17trampoline_kernelINS0_14default_configENS1_25partition_config_selectorILNS1_17partition_subalgoE0EtNS0_10empty_typeEbEEZZNS1_14partition_implILS5_0ELb0ES3_jN6thrust23THRUST_200600_302600_NS6detail15normal_iteratorINSA_10device_ptrItEEEEPS6_SG_NS0_5tupleIJNSA_16discard_iteratorINSA_11use_defaultEEESK_EEENSH_IJSG_SG_EEES6_PlJ7is_evenItEEEE10hipError_tPvRmT3_T4_T5_T6_T7_T9_mT8_P12ihipStream_tbDpT10_ENKUlT_T0_E_clISt17integral_constantIbLb0EES19_EEDaS14_S15_EUlS14_E_NS1_11comp_targetILNS1_3genE2ELNS1_11target_archE906ELNS1_3gpuE6ELNS1_3repE0EEENS1_30default_config_static_selectorELNS0_4arch9wavefront6targetE1EEEvT1_
    .private_segment_fixed_size: 0
    .sgpr_count:     6
    .sgpr_spill_count: 0
    .symbol:         _ZN7rocprim17ROCPRIM_400000_NS6detail17trampoline_kernelINS0_14default_configENS1_25partition_config_selectorILNS1_17partition_subalgoE0EtNS0_10empty_typeEbEEZZNS1_14partition_implILS5_0ELb0ES3_jN6thrust23THRUST_200600_302600_NS6detail15normal_iteratorINSA_10device_ptrItEEEEPS6_SG_NS0_5tupleIJNSA_16discard_iteratorINSA_11use_defaultEEESK_EEENSH_IJSG_SG_EEES6_PlJ7is_evenItEEEE10hipError_tPvRmT3_T4_T5_T6_T7_T9_mT8_P12ihipStream_tbDpT10_ENKUlT_T0_E_clISt17integral_constantIbLb0EES19_EEDaS14_S15_EUlS14_E_NS1_11comp_targetILNS1_3genE2ELNS1_11target_archE906ELNS1_3gpuE6ELNS1_3repE0EEENS1_30default_config_static_selectorELNS0_4arch9wavefront6targetE1EEEvT1_.kd
    .uniform_work_group_size: 1
    .uses_dynamic_stack: false
    .vgpr_count:     0
    .vgpr_spill_count: 0
    .wavefront_size: 64
  - .agpr_count:     0
    .args:
      - .offset:         0
        .size:           136
        .value_kind:     by_value
    .group_segment_fixed_size: 0
    .kernarg_segment_align: 8
    .kernarg_segment_size: 136
    .language:       OpenCL C
    .language_version:
      - 2
      - 0
    .max_flat_workgroup_size: 384
    .name:           _ZN7rocprim17ROCPRIM_400000_NS6detail17trampoline_kernelINS0_14default_configENS1_25partition_config_selectorILNS1_17partition_subalgoE0EtNS0_10empty_typeEbEEZZNS1_14partition_implILS5_0ELb0ES3_jN6thrust23THRUST_200600_302600_NS6detail15normal_iteratorINSA_10device_ptrItEEEEPS6_SG_NS0_5tupleIJNSA_16discard_iteratorINSA_11use_defaultEEESK_EEENSH_IJSG_SG_EEES6_PlJ7is_evenItEEEE10hipError_tPvRmT3_T4_T5_T6_T7_T9_mT8_P12ihipStream_tbDpT10_ENKUlT_T0_E_clISt17integral_constantIbLb0EES19_EEDaS14_S15_EUlS14_E_NS1_11comp_targetILNS1_3genE10ELNS1_11target_archE1200ELNS1_3gpuE4ELNS1_3repE0EEENS1_30default_config_static_selectorELNS0_4arch9wavefront6targetE1EEEvT1_
    .private_segment_fixed_size: 0
    .sgpr_count:     6
    .sgpr_spill_count: 0
    .symbol:         _ZN7rocprim17ROCPRIM_400000_NS6detail17trampoline_kernelINS0_14default_configENS1_25partition_config_selectorILNS1_17partition_subalgoE0EtNS0_10empty_typeEbEEZZNS1_14partition_implILS5_0ELb0ES3_jN6thrust23THRUST_200600_302600_NS6detail15normal_iteratorINSA_10device_ptrItEEEEPS6_SG_NS0_5tupleIJNSA_16discard_iteratorINSA_11use_defaultEEESK_EEENSH_IJSG_SG_EEES6_PlJ7is_evenItEEEE10hipError_tPvRmT3_T4_T5_T6_T7_T9_mT8_P12ihipStream_tbDpT10_ENKUlT_T0_E_clISt17integral_constantIbLb0EES19_EEDaS14_S15_EUlS14_E_NS1_11comp_targetILNS1_3genE10ELNS1_11target_archE1200ELNS1_3gpuE4ELNS1_3repE0EEENS1_30default_config_static_selectorELNS0_4arch9wavefront6targetE1EEEvT1_.kd
    .uniform_work_group_size: 1
    .uses_dynamic_stack: false
    .vgpr_count:     0
    .vgpr_spill_count: 0
    .wavefront_size: 64
  - .agpr_count:     0
    .args:
      - .offset:         0
        .size:           136
        .value_kind:     by_value
    .group_segment_fixed_size: 0
    .kernarg_segment_align: 8
    .kernarg_segment_size: 136
    .language:       OpenCL C
    .language_version:
      - 2
      - 0
    .max_flat_workgroup_size: 128
    .name:           _ZN7rocprim17ROCPRIM_400000_NS6detail17trampoline_kernelINS0_14default_configENS1_25partition_config_selectorILNS1_17partition_subalgoE0EtNS0_10empty_typeEbEEZZNS1_14partition_implILS5_0ELb0ES3_jN6thrust23THRUST_200600_302600_NS6detail15normal_iteratorINSA_10device_ptrItEEEEPS6_SG_NS0_5tupleIJNSA_16discard_iteratorINSA_11use_defaultEEESK_EEENSH_IJSG_SG_EEES6_PlJ7is_evenItEEEE10hipError_tPvRmT3_T4_T5_T6_T7_T9_mT8_P12ihipStream_tbDpT10_ENKUlT_T0_E_clISt17integral_constantIbLb0EES19_EEDaS14_S15_EUlS14_E_NS1_11comp_targetILNS1_3genE9ELNS1_11target_archE1100ELNS1_3gpuE3ELNS1_3repE0EEENS1_30default_config_static_selectorELNS0_4arch9wavefront6targetE1EEEvT1_
    .private_segment_fixed_size: 0
    .sgpr_count:     6
    .sgpr_spill_count: 0
    .symbol:         _ZN7rocprim17ROCPRIM_400000_NS6detail17trampoline_kernelINS0_14default_configENS1_25partition_config_selectorILNS1_17partition_subalgoE0EtNS0_10empty_typeEbEEZZNS1_14partition_implILS5_0ELb0ES3_jN6thrust23THRUST_200600_302600_NS6detail15normal_iteratorINSA_10device_ptrItEEEEPS6_SG_NS0_5tupleIJNSA_16discard_iteratorINSA_11use_defaultEEESK_EEENSH_IJSG_SG_EEES6_PlJ7is_evenItEEEE10hipError_tPvRmT3_T4_T5_T6_T7_T9_mT8_P12ihipStream_tbDpT10_ENKUlT_T0_E_clISt17integral_constantIbLb0EES19_EEDaS14_S15_EUlS14_E_NS1_11comp_targetILNS1_3genE9ELNS1_11target_archE1100ELNS1_3gpuE3ELNS1_3repE0EEENS1_30default_config_static_selectorELNS0_4arch9wavefront6targetE1EEEvT1_.kd
    .uniform_work_group_size: 1
    .uses_dynamic_stack: false
    .vgpr_count:     0
    .vgpr_spill_count: 0
    .wavefront_size: 64
  - .agpr_count:     0
    .args:
      - .offset:         0
        .size:           136
        .value_kind:     by_value
    .group_segment_fixed_size: 0
    .kernarg_segment_align: 8
    .kernarg_segment_size: 136
    .language:       OpenCL C
    .language_version:
      - 2
      - 0
    .max_flat_workgroup_size: 128
    .name:           _ZN7rocprim17ROCPRIM_400000_NS6detail17trampoline_kernelINS0_14default_configENS1_25partition_config_selectorILNS1_17partition_subalgoE0EtNS0_10empty_typeEbEEZZNS1_14partition_implILS5_0ELb0ES3_jN6thrust23THRUST_200600_302600_NS6detail15normal_iteratorINSA_10device_ptrItEEEEPS6_SG_NS0_5tupleIJNSA_16discard_iteratorINSA_11use_defaultEEESK_EEENSH_IJSG_SG_EEES6_PlJ7is_evenItEEEE10hipError_tPvRmT3_T4_T5_T6_T7_T9_mT8_P12ihipStream_tbDpT10_ENKUlT_T0_E_clISt17integral_constantIbLb0EES19_EEDaS14_S15_EUlS14_E_NS1_11comp_targetILNS1_3genE8ELNS1_11target_archE1030ELNS1_3gpuE2ELNS1_3repE0EEENS1_30default_config_static_selectorELNS0_4arch9wavefront6targetE1EEEvT1_
    .private_segment_fixed_size: 0
    .sgpr_count:     6
    .sgpr_spill_count: 0
    .symbol:         _ZN7rocprim17ROCPRIM_400000_NS6detail17trampoline_kernelINS0_14default_configENS1_25partition_config_selectorILNS1_17partition_subalgoE0EtNS0_10empty_typeEbEEZZNS1_14partition_implILS5_0ELb0ES3_jN6thrust23THRUST_200600_302600_NS6detail15normal_iteratorINSA_10device_ptrItEEEEPS6_SG_NS0_5tupleIJNSA_16discard_iteratorINSA_11use_defaultEEESK_EEENSH_IJSG_SG_EEES6_PlJ7is_evenItEEEE10hipError_tPvRmT3_T4_T5_T6_T7_T9_mT8_P12ihipStream_tbDpT10_ENKUlT_T0_E_clISt17integral_constantIbLb0EES19_EEDaS14_S15_EUlS14_E_NS1_11comp_targetILNS1_3genE8ELNS1_11target_archE1030ELNS1_3gpuE2ELNS1_3repE0EEENS1_30default_config_static_selectorELNS0_4arch9wavefront6targetE1EEEvT1_.kd
    .uniform_work_group_size: 1
    .uses_dynamic_stack: false
    .vgpr_count:     0
    .vgpr_spill_count: 0
    .wavefront_size: 64
  - .agpr_count:     0
    .args:
      - .offset:         0
        .size:           152
        .value_kind:     by_value
    .group_segment_fixed_size: 0
    .kernarg_segment_align: 8
    .kernarg_segment_size: 152
    .language:       OpenCL C
    .language_version:
      - 2
      - 0
    .max_flat_workgroup_size: 256
    .name:           _ZN7rocprim17ROCPRIM_400000_NS6detail17trampoline_kernelINS0_14default_configENS1_25partition_config_selectorILNS1_17partition_subalgoE0EtNS0_10empty_typeEbEEZZNS1_14partition_implILS5_0ELb0ES3_jN6thrust23THRUST_200600_302600_NS6detail15normal_iteratorINSA_10device_ptrItEEEEPS6_SG_NS0_5tupleIJNSA_16discard_iteratorINSA_11use_defaultEEESK_EEENSH_IJSG_SG_EEES6_PlJ7is_evenItEEEE10hipError_tPvRmT3_T4_T5_T6_T7_T9_mT8_P12ihipStream_tbDpT10_ENKUlT_T0_E_clISt17integral_constantIbLb1EES19_EEDaS14_S15_EUlS14_E_NS1_11comp_targetILNS1_3genE0ELNS1_11target_archE4294967295ELNS1_3gpuE0ELNS1_3repE0EEENS1_30default_config_static_selectorELNS0_4arch9wavefront6targetE1EEEvT1_
    .private_segment_fixed_size: 0
    .sgpr_count:     6
    .sgpr_spill_count: 0
    .symbol:         _ZN7rocprim17ROCPRIM_400000_NS6detail17trampoline_kernelINS0_14default_configENS1_25partition_config_selectorILNS1_17partition_subalgoE0EtNS0_10empty_typeEbEEZZNS1_14partition_implILS5_0ELb0ES3_jN6thrust23THRUST_200600_302600_NS6detail15normal_iteratorINSA_10device_ptrItEEEEPS6_SG_NS0_5tupleIJNSA_16discard_iteratorINSA_11use_defaultEEESK_EEENSH_IJSG_SG_EEES6_PlJ7is_evenItEEEE10hipError_tPvRmT3_T4_T5_T6_T7_T9_mT8_P12ihipStream_tbDpT10_ENKUlT_T0_E_clISt17integral_constantIbLb1EES19_EEDaS14_S15_EUlS14_E_NS1_11comp_targetILNS1_3genE0ELNS1_11target_archE4294967295ELNS1_3gpuE0ELNS1_3repE0EEENS1_30default_config_static_selectorELNS0_4arch9wavefront6targetE1EEEvT1_.kd
    .uniform_work_group_size: 1
    .uses_dynamic_stack: false
    .vgpr_count:     0
    .vgpr_spill_count: 0
    .wavefront_size: 64
  - .agpr_count:     0
    .args:
      - .offset:         0
        .size:           152
        .value_kind:     by_value
    .group_segment_fixed_size: 30728
    .kernarg_segment_align: 8
    .kernarg_segment_size: 152
    .language:       OpenCL C
    .language_version:
      - 2
      - 0
    .max_flat_workgroup_size: 512
    .name:           _ZN7rocprim17ROCPRIM_400000_NS6detail17trampoline_kernelINS0_14default_configENS1_25partition_config_selectorILNS1_17partition_subalgoE0EtNS0_10empty_typeEbEEZZNS1_14partition_implILS5_0ELb0ES3_jN6thrust23THRUST_200600_302600_NS6detail15normal_iteratorINSA_10device_ptrItEEEEPS6_SG_NS0_5tupleIJNSA_16discard_iteratorINSA_11use_defaultEEESK_EEENSH_IJSG_SG_EEES6_PlJ7is_evenItEEEE10hipError_tPvRmT3_T4_T5_T6_T7_T9_mT8_P12ihipStream_tbDpT10_ENKUlT_T0_E_clISt17integral_constantIbLb1EES19_EEDaS14_S15_EUlS14_E_NS1_11comp_targetILNS1_3genE5ELNS1_11target_archE942ELNS1_3gpuE9ELNS1_3repE0EEENS1_30default_config_static_selectorELNS0_4arch9wavefront6targetE1EEEvT1_
    .private_segment_fixed_size: 0
    .sgpr_count:     42
    .sgpr_spill_count: 0
    .symbol:         _ZN7rocprim17ROCPRIM_400000_NS6detail17trampoline_kernelINS0_14default_configENS1_25partition_config_selectorILNS1_17partition_subalgoE0EtNS0_10empty_typeEbEEZZNS1_14partition_implILS5_0ELb0ES3_jN6thrust23THRUST_200600_302600_NS6detail15normal_iteratorINSA_10device_ptrItEEEEPS6_SG_NS0_5tupleIJNSA_16discard_iteratorINSA_11use_defaultEEESK_EEENSH_IJSG_SG_EEES6_PlJ7is_evenItEEEE10hipError_tPvRmT3_T4_T5_T6_T7_T9_mT8_P12ihipStream_tbDpT10_ENKUlT_T0_E_clISt17integral_constantIbLb1EES19_EEDaS14_S15_EUlS14_E_NS1_11comp_targetILNS1_3genE5ELNS1_11target_archE942ELNS1_3gpuE9ELNS1_3repE0EEENS1_30default_config_static_selectorELNS0_4arch9wavefront6targetE1EEEvT1_.kd
    .uniform_work_group_size: 1
    .uses_dynamic_stack: false
    .vgpr_count:     121
    .vgpr_spill_count: 0
    .wavefront_size: 64
  - .agpr_count:     0
    .args:
      - .offset:         0
        .size:           152
        .value_kind:     by_value
    .group_segment_fixed_size: 0
    .kernarg_segment_align: 8
    .kernarg_segment_size: 152
    .language:       OpenCL C
    .language_version:
      - 2
      - 0
    .max_flat_workgroup_size: 256
    .name:           _ZN7rocprim17ROCPRIM_400000_NS6detail17trampoline_kernelINS0_14default_configENS1_25partition_config_selectorILNS1_17partition_subalgoE0EtNS0_10empty_typeEbEEZZNS1_14partition_implILS5_0ELb0ES3_jN6thrust23THRUST_200600_302600_NS6detail15normal_iteratorINSA_10device_ptrItEEEEPS6_SG_NS0_5tupleIJNSA_16discard_iteratorINSA_11use_defaultEEESK_EEENSH_IJSG_SG_EEES6_PlJ7is_evenItEEEE10hipError_tPvRmT3_T4_T5_T6_T7_T9_mT8_P12ihipStream_tbDpT10_ENKUlT_T0_E_clISt17integral_constantIbLb1EES19_EEDaS14_S15_EUlS14_E_NS1_11comp_targetILNS1_3genE4ELNS1_11target_archE910ELNS1_3gpuE8ELNS1_3repE0EEENS1_30default_config_static_selectorELNS0_4arch9wavefront6targetE1EEEvT1_
    .private_segment_fixed_size: 0
    .sgpr_count:     6
    .sgpr_spill_count: 0
    .symbol:         _ZN7rocprim17ROCPRIM_400000_NS6detail17trampoline_kernelINS0_14default_configENS1_25partition_config_selectorILNS1_17partition_subalgoE0EtNS0_10empty_typeEbEEZZNS1_14partition_implILS5_0ELb0ES3_jN6thrust23THRUST_200600_302600_NS6detail15normal_iteratorINSA_10device_ptrItEEEEPS6_SG_NS0_5tupleIJNSA_16discard_iteratorINSA_11use_defaultEEESK_EEENSH_IJSG_SG_EEES6_PlJ7is_evenItEEEE10hipError_tPvRmT3_T4_T5_T6_T7_T9_mT8_P12ihipStream_tbDpT10_ENKUlT_T0_E_clISt17integral_constantIbLb1EES19_EEDaS14_S15_EUlS14_E_NS1_11comp_targetILNS1_3genE4ELNS1_11target_archE910ELNS1_3gpuE8ELNS1_3repE0EEENS1_30default_config_static_selectorELNS0_4arch9wavefront6targetE1EEEvT1_.kd
    .uniform_work_group_size: 1
    .uses_dynamic_stack: false
    .vgpr_count:     0
    .vgpr_spill_count: 0
    .wavefront_size: 64
  - .agpr_count:     0
    .args:
      - .offset:         0
        .size:           152
        .value_kind:     by_value
    .group_segment_fixed_size: 0
    .kernarg_segment_align: 8
    .kernarg_segment_size: 152
    .language:       OpenCL C
    .language_version:
      - 2
      - 0
    .max_flat_workgroup_size: 256
    .name:           _ZN7rocprim17ROCPRIM_400000_NS6detail17trampoline_kernelINS0_14default_configENS1_25partition_config_selectorILNS1_17partition_subalgoE0EtNS0_10empty_typeEbEEZZNS1_14partition_implILS5_0ELb0ES3_jN6thrust23THRUST_200600_302600_NS6detail15normal_iteratorINSA_10device_ptrItEEEEPS6_SG_NS0_5tupleIJNSA_16discard_iteratorINSA_11use_defaultEEESK_EEENSH_IJSG_SG_EEES6_PlJ7is_evenItEEEE10hipError_tPvRmT3_T4_T5_T6_T7_T9_mT8_P12ihipStream_tbDpT10_ENKUlT_T0_E_clISt17integral_constantIbLb1EES19_EEDaS14_S15_EUlS14_E_NS1_11comp_targetILNS1_3genE3ELNS1_11target_archE908ELNS1_3gpuE7ELNS1_3repE0EEENS1_30default_config_static_selectorELNS0_4arch9wavefront6targetE1EEEvT1_
    .private_segment_fixed_size: 0
    .sgpr_count:     6
    .sgpr_spill_count: 0
    .symbol:         _ZN7rocprim17ROCPRIM_400000_NS6detail17trampoline_kernelINS0_14default_configENS1_25partition_config_selectorILNS1_17partition_subalgoE0EtNS0_10empty_typeEbEEZZNS1_14partition_implILS5_0ELb0ES3_jN6thrust23THRUST_200600_302600_NS6detail15normal_iteratorINSA_10device_ptrItEEEEPS6_SG_NS0_5tupleIJNSA_16discard_iteratorINSA_11use_defaultEEESK_EEENSH_IJSG_SG_EEES6_PlJ7is_evenItEEEE10hipError_tPvRmT3_T4_T5_T6_T7_T9_mT8_P12ihipStream_tbDpT10_ENKUlT_T0_E_clISt17integral_constantIbLb1EES19_EEDaS14_S15_EUlS14_E_NS1_11comp_targetILNS1_3genE3ELNS1_11target_archE908ELNS1_3gpuE7ELNS1_3repE0EEENS1_30default_config_static_selectorELNS0_4arch9wavefront6targetE1EEEvT1_.kd
    .uniform_work_group_size: 1
    .uses_dynamic_stack: false
    .vgpr_count:     0
    .vgpr_spill_count: 0
    .wavefront_size: 64
  - .agpr_count:     0
    .args:
      - .offset:         0
        .size:           152
        .value_kind:     by_value
    .group_segment_fixed_size: 0
    .kernarg_segment_align: 8
    .kernarg_segment_size: 152
    .language:       OpenCL C
    .language_version:
      - 2
      - 0
    .max_flat_workgroup_size: 256
    .name:           _ZN7rocprim17ROCPRIM_400000_NS6detail17trampoline_kernelINS0_14default_configENS1_25partition_config_selectorILNS1_17partition_subalgoE0EtNS0_10empty_typeEbEEZZNS1_14partition_implILS5_0ELb0ES3_jN6thrust23THRUST_200600_302600_NS6detail15normal_iteratorINSA_10device_ptrItEEEEPS6_SG_NS0_5tupleIJNSA_16discard_iteratorINSA_11use_defaultEEESK_EEENSH_IJSG_SG_EEES6_PlJ7is_evenItEEEE10hipError_tPvRmT3_T4_T5_T6_T7_T9_mT8_P12ihipStream_tbDpT10_ENKUlT_T0_E_clISt17integral_constantIbLb1EES19_EEDaS14_S15_EUlS14_E_NS1_11comp_targetILNS1_3genE2ELNS1_11target_archE906ELNS1_3gpuE6ELNS1_3repE0EEENS1_30default_config_static_selectorELNS0_4arch9wavefront6targetE1EEEvT1_
    .private_segment_fixed_size: 0
    .sgpr_count:     6
    .sgpr_spill_count: 0
    .symbol:         _ZN7rocprim17ROCPRIM_400000_NS6detail17trampoline_kernelINS0_14default_configENS1_25partition_config_selectorILNS1_17partition_subalgoE0EtNS0_10empty_typeEbEEZZNS1_14partition_implILS5_0ELb0ES3_jN6thrust23THRUST_200600_302600_NS6detail15normal_iteratorINSA_10device_ptrItEEEEPS6_SG_NS0_5tupleIJNSA_16discard_iteratorINSA_11use_defaultEEESK_EEENSH_IJSG_SG_EEES6_PlJ7is_evenItEEEE10hipError_tPvRmT3_T4_T5_T6_T7_T9_mT8_P12ihipStream_tbDpT10_ENKUlT_T0_E_clISt17integral_constantIbLb1EES19_EEDaS14_S15_EUlS14_E_NS1_11comp_targetILNS1_3genE2ELNS1_11target_archE906ELNS1_3gpuE6ELNS1_3repE0EEENS1_30default_config_static_selectorELNS0_4arch9wavefront6targetE1EEEvT1_.kd
    .uniform_work_group_size: 1
    .uses_dynamic_stack: false
    .vgpr_count:     0
    .vgpr_spill_count: 0
    .wavefront_size: 64
  - .agpr_count:     0
    .args:
      - .offset:         0
        .size:           152
        .value_kind:     by_value
    .group_segment_fixed_size: 0
    .kernarg_segment_align: 8
    .kernarg_segment_size: 152
    .language:       OpenCL C
    .language_version:
      - 2
      - 0
    .max_flat_workgroup_size: 384
    .name:           _ZN7rocprim17ROCPRIM_400000_NS6detail17trampoline_kernelINS0_14default_configENS1_25partition_config_selectorILNS1_17partition_subalgoE0EtNS0_10empty_typeEbEEZZNS1_14partition_implILS5_0ELb0ES3_jN6thrust23THRUST_200600_302600_NS6detail15normal_iteratorINSA_10device_ptrItEEEEPS6_SG_NS0_5tupleIJNSA_16discard_iteratorINSA_11use_defaultEEESK_EEENSH_IJSG_SG_EEES6_PlJ7is_evenItEEEE10hipError_tPvRmT3_T4_T5_T6_T7_T9_mT8_P12ihipStream_tbDpT10_ENKUlT_T0_E_clISt17integral_constantIbLb1EES19_EEDaS14_S15_EUlS14_E_NS1_11comp_targetILNS1_3genE10ELNS1_11target_archE1200ELNS1_3gpuE4ELNS1_3repE0EEENS1_30default_config_static_selectorELNS0_4arch9wavefront6targetE1EEEvT1_
    .private_segment_fixed_size: 0
    .sgpr_count:     6
    .sgpr_spill_count: 0
    .symbol:         _ZN7rocprim17ROCPRIM_400000_NS6detail17trampoline_kernelINS0_14default_configENS1_25partition_config_selectorILNS1_17partition_subalgoE0EtNS0_10empty_typeEbEEZZNS1_14partition_implILS5_0ELb0ES3_jN6thrust23THRUST_200600_302600_NS6detail15normal_iteratorINSA_10device_ptrItEEEEPS6_SG_NS0_5tupleIJNSA_16discard_iteratorINSA_11use_defaultEEESK_EEENSH_IJSG_SG_EEES6_PlJ7is_evenItEEEE10hipError_tPvRmT3_T4_T5_T6_T7_T9_mT8_P12ihipStream_tbDpT10_ENKUlT_T0_E_clISt17integral_constantIbLb1EES19_EEDaS14_S15_EUlS14_E_NS1_11comp_targetILNS1_3genE10ELNS1_11target_archE1200ELNS1_3gpuE4ELNS1_3repE0EEENS1_30default_config_static_selectorELNS0_4arch9wavefront6targetE1EEEvT1_.kd
    .uniform_work_group_size: 1
    .uses_dynamic_stack: false
    .vgpr_count:     0
    .vgpr_spill_count: 0
    .wavefront_size: 64
  - .agpr_count:     0
    .args:
      - .offset:         0
        .size:           152
        .value_kind:     by_value
    .group_segment_fixed_size: 0
    .kernarg_segment_align: 8
    .kernarg_segment_size: 152
    .language:       OpenCL C
    .language_version:
      - 2
      - 0
    .max_flat_workgroup_size: 128
    .name:           _ZN7rocprim17ROCPRIM_400000_NS6detail17trampoline_kernelINS0_14default_configENS1_25partition_config_selectorILNS1_17partition_subalgoE0EtNS0_10empty_typeEbEEZZNS1_14partition_implILS5_0ELb0ES3_jN6thrust23THRUST_200600_302600_NS6detail15normal_iteratorINSA_10device_ptrItEEEEPS6_SG_NS0_5tupleIJNSA_16discard_iteratorINSA_11use_defaultEEESK_EEENSH_IJSG_SG_EEES6_PlJ7is_evenItEEEE10hipError_tPvRmT3_T4_T5_T6_T7_T9_mT8_P12ihipStream_tbDpT10_ENKUlT_T0_E_clISt17integral_constantIbLb1EES19_EEDaS14_S15_EUlS14_E_NS1_11comp_targetILNS1_3genE9ELNS1_11target_archE1100ELNS1_3gpuE3ELNS1_3repE0EEENS1_30default_config_static_selectorELNS0_4arch9wavefront6targetE1EEEvT1_
    .private_segment_fixed_size: 0
    .sgpr_count:     6
    .sgpr_spill_count: 0
    .symbol:         _ZN7rocprim17ROCPRIM_400000_NS6detail17trampoline_kernelINS0_14default_configENS1_25partition_config_selectorILNS1_17partition_subalgoE0EtNS0_10empty_typeEbEEZZNS1_14partition_implILS5_0ELb0ES3_jN6thrust23THRUST_200600_302600_NS6detail15normal_iteratorINSA_10device_ptrItEEEEPS6_SG_NS0_5tupleIJNSA_16discard_iteratorINSA_11use_defaultEEESK_EEENSH_IJSG_SG_EEES6_PlJ7is_evenItEEEE10hipError_tPvRmT3_T4_T5_T6_T7_T9_mT8_P12ihipStream_tbDpT10_ENKUlT_T0_E_clISt17integral_constantIbLb1EES19_EEDaS14_S15_EUlS14_E_NS1_11comp_targetILNS1_3genE9ELNS1_11target_archE1100ELNS1_3gpuE3ELNS1_3repE0EEENS1_30default_config_static_selectorELNS0_4arch9wavefront6targetE1EEEvT1_.kd
    .uniform_work_group_size: 1
    .uses_dynamic_stack: false
    .vgpr_count:     0
    .vgpr_spill_count: 0
    .wavefront_size: 64
  - .agpr_count:     0
    .args:
      - .offset:         0
        .size:           152
        .value_kind:     by_value
    .group_segment_fixed_size: 0
    .kernarg_segment_align: 8
    .kernarg_segment_size: 152
    .language:       OpenCL C
    .language_version:
      - 2
      - 0
    .max_flat_workgroup_size: 128
    .name:           _ZN7rocprim17ROCPRIM_400000_NS6detail17trampoline_kernelINS0_14default_configENS1_25partition_config_selectorILNS1_17partition_subalgoE0EtNS0_10empty_typeEbEEZZNS1_14partition_implILS5_0ELb0ES3_jN6thrust23THRUST_200600_302600_NS6detail15normal_iteratorINSA_10device_ptrItEEEEPS6_SG_NS0_5tupleIJNSA_16discard_iteratorINSA_11use_defaultEEESK_EEENSH_IJSG_SG_EEES6_PlJ7is_evenItEEEE10hipError_tPvRmT3_T4_T5_T6_T7_T9_mT8_P12ihipStream_tbDpT10_ENKUlT_T0_E_clISt17integral_constantIbLb1EES19_EEDaS14_S15_EUlS14_E_NS1_11comp_targetILNS1_3genE8ELNS1_11target_archE1030ELNS1_3gpuE2ELNS1_3repE0EEENS1_30default_config_static_selectorELNS0_4arch9wavefront6targetE1EEEvT1_
    .private_segment_fixed_size: 0
    .sgpr_count:     6
    .sgpr_spill_count: 0
    .symbol:         _ZN7rocprim17ROCPRIM_400000_NS6detail17trampoline_kernelINS0_14default_configENS1_25partition_config_selectorILNS1_17partition_subalgoE0EtNS0_10empty_typeEbEEZZNS1_14partition_implILS5_0ELb0ES3_jN6thrust23THRUST_200600_302600_NS6detail15normal_iteratorINSA_10device_ptrItEEEEPS6_SG_NS0_5tupleIJNSA_16discard_iteratorINSA_11use_defaultEEESK_EEENSH_IJSG_SG_EEES6_PlJ7is_evenItEEEE10hipError_tPvRmT3_T4_T5_T6_T7_T9_mT8_P12ihipStream_tbDpT10_ENKUlT_T0_E_clISt17integral_constantIbLb1EES19_EEDaS14_S15_EUlS14_E_NS1_11comp_targetILNS1_3genE8ELNS1_11target_archE1030ELNS1_3gpuE2ELNS1_3repE0EEENS1_30default_config_static_selectorELNS0_4arch9wavefront6targetE1EEEvT1_.kd
    .uniform_work_group_size: 1
    .uses_dynamic_stack: false
    .vgpr_count:     0
    .vgpr_spill_count: 0
    .wavefront_size: 64
  - .agpr_count:     0
    .args:
      - .offset:         0
        .size:           136
        .value_kind:     by_value
    .group_segment_fixed_size: 0
    .kernarg_segment_align: 8
    .kernarg_segment_size: 136
    .language:       OpenCL C
    .language_version:
      - 2
      - 0
    .max_flat_workgroup_size: 256
    .name:           _ZN7rocprim17ROCPRIM_400000_NS6detail17trampoline_kernelINS0_14default_configENS1_25partition_config_selectorILNS1_17partition_subalgoE0EtNS0_10empty_typeEbEEZZNS1_14partition_implILS5_0ELb0ES3_jN6thrust23THRUST_200600_302600_NS6detail15normal_iteratorINSA_10device_ptrItEEEEPS6_SG_NS0_5tupleIJNSA_16discard_iteratorINSA_11use_defaultEEESK_EEENSH_IJSG_SG_EEES6_PlJ7is_evenItEEEE10hipError_tPvRmT3_T4_T5_T6_T7_T9_mT8_P12ihipStream_tbDpT10_ENKUlT_T0_E_clISt17integral_constantIbLb1EES18_IbLb0EEEEDaS14_S15_EUlS14_E_NS1_11comp_targetILNS1_3genE0ELNS1_11target_archE4294967295ELNS1_3gpuE0ELNS1_3repE0EEENS1_30default_config_static_selectorELNS0_4arch9wavefront6targetE1EEEvT1_
    .private_segment_fixed_size: 0
    .sgpr_count:     6
    .sgpr_spill_count: 0
    .symbol:         _ZN7rocprim17ROCPRIM_400000_NS6detail17trampoline_kernelINS0_14default_configENS1_25partition_config_selectorILNS1_17partition_subalgoE0EtNS0_10empty_typeEbEEZZNS1_14partition_implILS5_0ELb0ES3_jN6thrust23THRUST_200600_302600_NS6detail15normal_iteratorINSA_10device_ptrItEEEEPS6_SG_NS0_5tupleIJNSA_16discard_iteratorINSA_11use_defaultEEESK_EEENSH_IJSG_SG_EEES6_PlJ7is_evenItEEEE10hipError_tPvRmT3_T4_T5_T6_T7_T9_mT8_P12ihipStream_tbDpT10_ENKUlT_T0_E_clISt17integral_constantIbLb1EES18_IbLb0EEEEDaS14_S15_EUlS14_E_NS1_11comp_targetILNS1_3genE0ELNS1_11target_archE4294967295ELNS1_3gpuE0ELNS1_3repE0EEENS1_30default_config_static_selectorELNS0_4arch9wavefront6targetE1EEEvT1_.kd
    .uniform_work_group_size: 1
    .uses_dynamic_stack: false
    .vgpr_count:     0
    .vgpr_spill_count: 0
    .wavefront_size: 64
  - .agpr_count:     0
    .args:
      - .offset:         0
        .size:           136
        .value_kind:     by_value
    .group_segment_fixed_size: 30728
    .kernarg_segment_align: 8
    .kernarg_segment_size: 136
    .language:       OpenCL C
    .language_version:
      - 2
      - 0
    .max_flat_workgroup_size: 512
    .name:           _ZN7rocprim17ROCPRIM_400000_NS6detail17trampoline_kernelINS0_14default_configENS1_25partition_config_selectorILNS1_17partition_subalgoE0EtNS0_10empty_typeEbEEZZNS1_14partition_implILS5_0ELb0ES3_jN6thrust23THRUST_200600_302600_NS6detail15normal_iteratorINSA_10device_ptrItEEEEPS6_SG_NS0_5tupleIJNSA_16discard_iteratorINSA_11use_defaultEEESK_EEENSH_IJSG_SG_EEES6_PlJ7is_evenItEEEE10hipError_tPvRmT3_T4_T5_T6_T7_T9_mT8_P12ihipStream_tbDpT10_ENKUlT_T0_E_clISt17integral_constantIbLb1EES18_IbLb0EEEEDaS14_S15_EUlS14_E_NS1_11comp_targetILNS1_3genE5ELNS1_11target_archE942ELNS1_3gpuE9ELNS1_3repE0EEENS1_30default_config_static_selectorELNS0_4arch9wavefront6targetE1EEEvT1_
    .private_segment_fixed_size: 0
    .sgpr_count:     42
    .sgpr_spill_count: 0
    .symbol:         _ZN7rocprim17ROCPRIM_400000_NS6detail17trampoline_kernelINS0_14default_configENS1_25partition_config_selectorILNS1_17partition_subalgoE0EtNS0_10empty_typeEbEEZZNS1_14partition_implILS5_0ELb0ES3_jN6thrust23THRUST_200600_302600_NS6detail15normal_iteratorINSA_10device_ptrItEEEEPS6_SG_NS0_5tupleIJNSA_16discard_iteratorINSA_11use_defaultEEESK_EEENSH_IJSG_SG_EEES6_PlJ7is_evenItEEEE10hipError_tPvRmT3_T4_T5_T6_T7_T9_mT8_P12ihipStream_tbDpT10_ENKUlT_T0_E_clISt17integral_constantIbLb1EES18_IbLb0EEEEDaS14_S15_EUlS14_E_NS1_11comp_targetILNS1_3genE5ELNS1_11target_archE942ELNS1_3gpuE9ELNS1_3repE0EEENS1_30default_config_static_selectorELNS0_4arch9wavefront6targetE1EEEvT1_.kd
    .uniform_work_group_size: 1
    .uses_dynamic_stack: false
    .vgpr_count:     119
    .vgpr_spill_count: 0
    .wavefront_size: 64
  - .agpr_count:     0
    .args:
      - .offset:         0
        .size:           136
        .value_kind:     by_value
    .group_segment_fixed_size: 0
    .kernarg_segment_align: 8
    .kernarg_segment_size: 136
    .language:       OpenCL C
    .language_version:
      - 2
      - 0
    .max_flat_workgroup_size: 256
    .name:           _ZN7rocprim17ROCPRIM_400000_NS6detail17trampoline_kernelINS0_14default_configENS1_25partition_config_selectorILNS1_17partition_subalgoE0EtNS0_10empty_typeEbEEZZNS1_14partition_implILS5_0ELb0ES3_jN6thrust23THRUST_200600_302600_NS6detail15normal_iteratorINSA_10device_ptrItEEEEPS6_SG_NS0_5tupleIJNSA_16discard_iteratorINSA_11use_defaultEEESK_EEENSH_IJSG_SG_EEES6_PlJ7is_evenItEEEE10hipError_tPvRmT3_T4_T5_T6_T7_T9_mT8_P12ihipStream_tbDpT10_ENKUlT_T0_E_clISt17integral_constantIbLb1EES18_IbLb0EEEEDaS14_S15_EUlS14_E_NS1_11comp_targetILNS1_3genE4ELNS1_11target_archE910ELNS1_3gpuE8ELNS1_3repE0EEENS1_30default_config_static_selectorELNS0_4arch9wavefront6targetE1EEEvT1_
    .private_segment_fixed_size: 0
    .sgpr_count:     6
    .sgpr_spill_count: 0
    .symbol:         _ZN7rocprim17ROCPRIM_400000_NS6detail17trampoline_kernelINS0_14default_configENS1_25partition_config_selectorILNS1_17partition_subalgoE0EtNS0_10empty_typeEbEEZZNS1_14partition_implILS5_0ELb0ES3_jN6thrust23THRUST_200600_302600_NS6detail15normal_iteratorINSA_10device_ptrItEEEEPS6_SG_NS0_5tupleIJNSA_16discard_iteratorINSA_11use_defaultEEESK_EEENSH_IJSG_SG_EEES6_PlJ7is_evenItEEEE10hipError_tPvRmT3_T4_T5_T6_T7_T9_mT8_P12ihipStream_tbDpT10_ENKUlT_T0_E_clISt17integral_constantIbLb1EES18_IbLb0EEEEDaS14_S15_EUlS14_E_NS1_11comp_targetILNS1_3genE4ELNS1_11target_archE910ELNS1_3gpuE8ELNS1_3repE0EEENS1_30default_config_static_selectorELNS0_4arch9wavefront6targetE1EEEvT1_.kd
    .uniform_work_group_size: 1
    .uses_dynamic_stack: false
    .vgpr_count:     0
    .vgpr_spill_count: 0
    .wavefront_size: 64
  - .agpr_count:     0
    .args:
      - .offset:         0
        .size:           136
        .value_kind:     by_value
    .group_segment_fixed_size: 0
    .kernarg_segment_align: 8
    .kernarg_segment_size: 136
    .language:       OpenCL C
    .language_version:
      - 2
      - 0
    .max_flat_workgroup_size: 256
    .name:           _ZN7rocprim17ROCPRIM_400000_NS6detail17trampoline_kernelINS0_14default_configENS1_25partition_config_selectorILNS1_17partition_subalgoE0EtNS0_10empty_typeEbEEZZNS1_14partition_implILS5_0ELb0ES3_jN6thrust23THRUST_200600_302600_NS6detail15normal_iteratorINSA_10device_ptrItEEEEPS6_SG_NS0_5tupleIJNSA_16discard_iteratorINSA_11use_defaultEEESK_EEENSH_IJSG_SG_EEES6_PlJ7is_evenItEEEE10hipError_tPvRmT3_T4_T5_T6_T7_T9_mT8_P12ihipStream_tbDpT10_ENKUlT_T0_E_clISt17integral_constantIbLb1EES18_IbLb0EEEEDaS14_S15_EUlS14_E_NS1_11comp_targetILNS1_3genE3ELNS1_11target_archE908ELNS1_3gpuE7ELNS1_3repE0EEENS1_30default_config_static_selectorELNS0_4arch9wavefront6targetE1EEEvT1_
    .private_segment_fixed_size: 0
    .sgpr_count:     6
    .sgpr_spill_count: 0
    .symbol:         _ZN7rocprim17ROCPRIM_400000_NS6detail17trampoline_kernelINS0_14default_configENS1_25partition_config_selectorILNS1_17partition_subalgoE0EtNS0_10empty_typeEbEEZZNS1_14partition_implILS5_0ELb0ES3_jN6thrust23THRUST_200600_302600_NS6detail15normal_iteratorINSA_10device_ptrItEEEEPS6_SG_NS0_5tupleIJNSA_16discard_iteratorINSA_11use_defaultEEESK_EEENSH_IJSG_SG_EEES6_PlJ7is_evenItEEEE10hipError_tPvRmT3_T4_T5_T6_T7_T9_mT8_P12ihipStream_tbDpT10_ENKUlT_T0_E_clISt17integral_constantIbLb1EES18_IbLb0EEEEDaS14_S15_EUlS14_E_NS1_11comp_targetILNS1_3genE3ELNS1_11target_archE908ELNS1_3gpuE7ELNS1_3repE0EEENS1_30default_config_static_selectorELNS0_4arch9wavefront6targetE1EEEvT1_.kd
    .uniform_work_group_size: 1
    .uses_dynamic_stack: false
    .vgpr_count:     0
    .vgpr_spill_count: 0
    .wavefront_size: 64
  - .agpr_count:     0
    .args:
      - .offset:         0
        .size:           136
        .value_kind:     by_value
    .group_segment_fixed_size: 0
    .kernarg_segment_align: 8
    .kernarg_segment_size: 136
    .language:       OpenCL C
    .language_version:
      - 2
      - 0
    .max_flat_workgroup_size: 256
    .name:           _ZN7rocprim17ROCPRIM_400000_NS6detail17trampoline_kernelINS0_14default_configENS1_25partition_config_selectorILNS1_17partition_subalgoE0EtNS0_10empty_typeEbEEZZNS1_14partition_implILS5_0ELb0ES3_jN6thrust23THRUST_200600_302600_NS6detail15normal_iteratorINSA_10device_ptrItEEEEPS6_SG_NS0_5tupleIJNSA_16discard_iteratorINSA_11use_defaultEEESK_EEENSH_IJSG_SG_EEES6_PlJ7is_evenItEEEE10hipError_tPvRmT3_T4_T5_T6_T7_T9_mT8_P12ihipStream_tbDpT10_ENKUlT_T0_E_clISt17integral_constantIbLb1EES18_IbLb0EEEEDaS14_S15_EUlS14_E_NS1_11comp_targetILNS1_3genE2ELNS1_11target_archE906ELNS1_3gpuE6ELNS1_3repE0EEENS1_30default_config_static_selectorELNS0_4arch9wavefront6targetE1EEEvT1_
    .private_segment_fixed_size: 0
    .sgpr_count:     6
    .sgpr_spill_count: 0
    .symbol:         _ZN7rocprim17ROCPRIM_400000_NS6detail17trampoline_kernelINS0_14default_configENS1_25partition_config_selectorILNS1_17partition_subalgoE0EtNS0_10empty_typeEbEEZZNS1_14partition_implILS5_0ELb0ES3_jN6thrust23THRUST_200600_302600_NS6detail15normal_iteratorINSA_10device_ptrItEEEEPS6_SG_NS0_5tupleIJNSA_16discard_iteratorINSA_11use_defaultEEESK_EEENSH_IJSG_SG_EEES6_PlJ7is_evenItEEEE10hipError_tPvRmT3_T4_T5_T6_T7_T9_mT8_P12ihipStream_tbDpT10_ENKUlT_T0_E_clISt17integral_constantIbLb1EES18_IbLb0EEEEDaS14_S15_EUlS14_E_NS1_11comp_targetILNS1_3genE2ELNS1_11target_archE906ELNS1_3gpuE6ELNS1_3repE0EEENS1_30default_config_static_selectorELNS0_4arch9wavefront6targetE1EEEvT1_.kd
    .uniform_work_group_size: 1
    .uses_dynamic_stack: false
    .vgpr_count:     0
    .vgpr_spill_count: 0
    .wavefront_size: 64
  - .agpr_count:     0
    .args:
      - .offset:         0
        .size:           136
        .value_kind:     by_value
    .group_segment_fixed_size: 0
    .kernarg_segment_align: 8
    .kernarg_segment_size: 136
    .language:       OpenCL C
    .language_version:
      - 2
      - 0
    .max_flat_workgroup_size: 384
    .name:           _ZN7rocprim17ROCPRIM_400000_NS6detail17trampoline_kernelINS0_14default_configENS1_25partition_config_selectorILNS1_17partition_subalgoE0EtNS0_10empty_typeEbEEZZNS1_14partition_implILS5_0ELb0ES3_jN6thrust23THRUST_200600_302600_NS6detail15normal_iteratorINSA_10device_ptrItEEEEPS6_SG_NS0_5tupleIJNSA_16discard_iteratorINSA_11use_defaultEEESK_EEENSH_IJSG_SG_EEES6_PlJ7is_evenItEEEE10hipError_tPvRmT3_T4_T5_T6_T7_T9_mT8_P12ihipStream_tbDpT10_ENKUlT_T0_E_clISt17integral_constantIbLb1EES18_IbLb0EEEEDaS14_S15_EUlS14_E_NS1_11comp_targetILNS1_3genE10ELNS1_11target_archE1200ELNS1_3gpuE4ELNS1_3repE0EEENS1_30default_config_static_selectorELNS0_4arch9wavefront6targetE1EEEvT1_
    .private_segment_fixed_size: 0
    .sgpr_count:     6
    .sgpr_spill_count: 0
    .symbol:         _ZN7rocprim17ROCPRIM_400000_NS6detail17trampoline_kernelINS0_14default_configENS1_25partition_config_selectorILNS1_17partition_subalgoE0EtNS0_10empty_typeEbEEZZNS1_14partition_implILS5_0ELb0ES3_jN6thrust23THRUST_200600_302600_NS6detail15normal_iteratorINSA_10device_ptrItEEEEPS6_SG_NS0_5tupleIJNSA_16discard_iteratorINSA_11use_defaultEEESK_EEENSH_IJSG_SG_EEES6_PlJ7is_evenItEEEE10hipError_tPvRmT3_T4_T5_T6_T7_T9_mT8_P12ihipStream_tbDpT10_ENKUlT_T0_E_clISt17integral_constantIbLb1EES18_IbLb0EEEEDaS14_S15_EUlS14_E_NS1_11comp_targetILNS1_3genE10ELNS1_11target_archE1200ELNS1_3gpuE4ELNS1_3repE0EEENS1_30default_config_static_selectorELNS0_4arch9wavefront6targetE1EEEvT1_.kd
    .uniform_work_group_size: 1
    .uses_dynamic_stack: false
    .vgpr_count:     0
    .vgpr_spill_count: 0
    .wavefront_size: 64
  - .agpr_count:     0
    .args:
      - .offset:         0
        .size:           136
        .value_kind:     by_value
    .group_segment_fixed_size: 0
    .kernarg_segment_align: 8
    .kernarg_segment_size: 136
    .language:       OpenCL C
    .language_version:
      - 2
      - 0
    .max_flat_workgroup_size: 128
    .name:           _ZN7rocprim17ROCPRIM_400000_NS6detail17trampoline_kernelINS0_14default_configENS1_25partition_config_selectorILNS1_17partition_subalgoE0EtNS0_10empty_typeEbEEZZNS1_14partition_implILS5_0ELb0ES3_jN6thrust23THRUST_200600_302600_NS6detail15normal_iteratorINSA_10device_ptrItEEEEPS6_SG_NS0_5tupleIJNSA_16discard_iteratorINSA_11use_defaultEEESK_EEENSH_IJSG_SG_EEES6_PlJ7is_evenItEEEE10hipError_tPvRmT3_T4_T5_T6_T7_T9_mT8_P12ihipStream_tbDpT10_ENKUlT_T0_E_clISt17integral_constantIbLb1EES18_IbLb0EEEEDaS14_S15_EUlS14_E_NS1_11comp_targetILNS1_3genE9ELNS1_11target_archE1100ELNS1_3gpuE3ELNS1_3repE0EEENS1_30default_config_static_selectorELNS0_4arch9wavefront6targetE1EEEvT1_
    .private_segment_fixed_size: 0
    .sgpr_count:     6
    .sgpr_spill_count: 0
    .symbol:         _ZN7rocprim17ROCPRIM_400000_NS6detail17trampoline_kernelINS0_14default_configENS1_25partition_config_selectorILNS1_17partition_subalgoE0EtNS0_10empty_typeEbEEZZNS1_14partition_implILS5_0ELb0ES3_jN6thrust23THRUST_200600_302600_NS6detail15normal_iteratorINSA_10device_ptrItEEEEPS6_SG_NS0_5tupleIJNSA_16discard_iteratorINSA_11use_defaultEEESK_EEENSH_IJSG_SG_EEES6_PlJ7is_evenItEEEE10hipError_tPvRmT3_T4_T5_T6_T7_T9_mT8_P12ihipStream_tbDpT10_ENKUlT_T0_E_clISt17integral_constantIbLb1EES18_IbLb0EEEEDaS14_S15_EUlS14_E_NS1_11comp_targetILNS1_3genE9ELNS1_11target_archE1100ELNS1_3gpuE3ELNS1_3repE0EEENS1_30default_config_static_selectorELNS0_4arch9wavefront6targetE1EEEvT1_.kd
    .uniform_work_group_size: 1
    .uses_dynamic_stack: false
    .vgpr_count:     0
    .vgpr_spill_count: 0
    .wavefront_size: 64
  - .agpr_count:     0
    .args:
      - .offset:         0
        .size:           136
        .value_kind:     by_value
    .group_segment_fixed_size: 0
    .kernarg_segment_align: 8
    .kernarg_segment_size: 136
    .language:       OpenCL C
    .language_version:
      - 2
      - 0
    .max_flat_workgroup_size: 128
    .name:           _ZN7rocprim17ROCPRIM_400000_NS6detail17trampoline_kernelINS0_14default_configENS1_25partition_config_selectorILNS1_17partition_subalgoE0EtNS0_10empty_typeEbEEZZNS1_14partition_implILS5_0ELb0ES3_jN6thrust23THRUST_200600_302600_NS6detail15normal_iteratorINSA_10device_ptrItEEEEPS6_SG_NS0_5tupleIJNSA_16discard_iteratorINSA_11use_defaultEEESK_EEENSH_IJSG_SG_EEES6_PlJ7is_evenItEEEE10hipError_tPvRmT3_T4_T5_T6_T7_T9_mT8_P12ihipStream_tbDpT10_ENKUlT_T0_E_clISt17integral_constantIbLb1EES18_IbLb0EEEEDaS14_S15_EUlS14_E_NS1_11comp_targetILNS1_3genE8ELNS1_11target_archE1030ELNS1_3gpuE2ELNS1_3repE0EEENS1_30default_config_static_selectorELNS0_4arch9wavefront6targetE1EEEvT1_
    .private_segment_fixed_size: 0
    .sgpr_count:     6
    .sgpr_spill_count: 0
    .symbol:         _ZN7rocprim17ROCPRIM_400000_NS6detail17trampoline_kernelINS0_14default_configENS1_25partition_config_selectorILNS1_17partition_subalgoE0EtNS0_10empty_typeEbEEZZNS1_14partition_implILS5_0ELb0ES3_jN6thrust23THRUST_200600_302600_NS6detail15normal_iteratorINSA_10device_ptrItEEEEPS6_SG_NS0_5tupleIJNSA_16discard_iteratorINSA_11use_defaultEEESK_EEENSH_IJSG_SG_EEES6_PlJ7is_evenItEEEE10hipError_tPvRmT3_T4_T5_T6_T7_T9_mT8_P12ihipStream_tbDpT10_ENKUlT_T0_E_clISt17integral_constantIbLb1EES18_IbLb0EEEEDaS14_S15_EUlS14_E_NS1_11comp_targetILNS1_3genE8ELNS1_11target_archE1030ELNS1_3gpuE2ELNS1_3repE0EEENS1_30default_config_static_selectorELNS0_4arch9wavefront6targetE1EEEvT1_.kd
    .uniform_work_group_size: 1
    .uses_dynamic_stack: false
    .vgpr_count:     0
    .vgpr_spill_count: 0
    .wavefront_size: 64
  - .agpr_count:     0
    .args:
      - .offset:         0
        .size:           152
        .value_kind:     by_value
    .group_segment_fixed_size: 0
    .kernarg_segment_align: 8
    .kernarg_segment_size: 152
    .language:       OpenCL C
    .language_version:
      - 2
      - 0
    .max_flat_workgroup_size: 256
    .name:           _ZN7rocprim17ROCPRIM_400000_NS6detail17trampoline_kernelINS0_14default_configENS1_25partition_config_selectorILNS1_17partition_subalgoE0EtNS0_10empty_typeEbEEZZNS1_14partition_implILS5_0ELb0ES3_jN6thrust23THRUST_200600_302600_NS6detail15normal_iteratorINSA_10device_ptrItEEEEPS6_SG_NS0_5tupleIJNSA_16discard_iteratorINSA_11use_defaultEEESK_EEENSH_IJSG_SG_EEES6_PlJ7is_evenItEEEE10hipError_tPvRmT3_T4_T5_T6_T7_T9_mT8_P12ihipStream_tbDpT10_ENKUlT_T0_E_clISt17integral_constantIbLb0EES18_IbLb1EEEEDaS14_S15_EUlS14_E_NS1_11comp_targetILNS1_3genE0ELNS1_11target_archE4294967295ELNS1_3gpuE0ELNS1_3repE0EEENS1_30default_config_static_selectorELNS0_4arch9wavefront6targetE1EEEvT1_
    .private_segment_fixed_size: 0
    .sgpr_count:     6
    .sgpr_spill_count: 0
    .symbol:         _ZN7rocprim17ROCPRIM_400000_NS6detail17trampoline_kernelINS0_14default_configENS1_25partition_config_selectorILNS1_17partition_subalgoE0EtNS0_10empty_typeEbEEZZNS1_14partition_implILS5_0ELb0ES3_jN6thrust23THRUST_200600_302600_NS6detail15normal_iteratorINSA_10device_ptrItEEEEPS6_SG_NS0_5tupleIJNSA_16discard_iteratorINSA_11use_defaultEEESK_EEENSH_IJSG_SG_EEES6_PlJ7is_evenItEEEE10hipError_tPvRmT3_T4_T5_T6_T7_T9_mT8_P12ihipStream_tbDpT10_ENKUlT_T0_E_clISt17integral_constantIbLb0EES18_IbLb1EEEEDaS14_S15_EUlS14_E_NS1_11comp_targetILNS1_3genE0ELNS1_11target_archE4294967295ELNS1_3gpuE0ELNS1_3repE0EEENS1_30default_config_static_selectorELNS0_4arch9wavefront6targetE1EEEvT1_.kd
    .uniform_work_group_size: 1
    .uses_dynamic_stack: false
    .vgpr_count:     0
    .vgpr_spill_count: 0
    .wavefront_size: 64
  - .agpr_count:     0
    .args:
      - .offset:         0
        .size:           152
        .value_kind:     by_value
    .group_segment_fixed_size: 30728
    .kernarg_segment_align: 8
    .kernarg_segment_size: 152
    .language:       OpenCL C
    .language_version:
      - 2
      - 0
    .max_flat_workgroup_size: 512
    .name:           _ZN7rocprim17ROCPRIM_400000_NS6detail17trampoline_kernelINS0_14default_configENS1_25partition_config_selectorILNS1_17partition_subalgoE0EtNS0_10empty_typeEbEEZZNS1_14partition_implILS5_0ELb0ES3_jN6thrust23THRUST_200600_302600_NS6detail15normal_iteratorINSA_10device_ptrItEEEEPS6_SG_NS0_5tupleIJNSA_16discard_iteratorINSA_11use_defaultEEESK_EEENSH_IJSG_SG_EEES6_PlJ7is_evenItEEEE10hipError_tPvRmT3_T4_T5_T6_T7_T9_mT8_P12ihipStream_tbDpT10_ENKUlT_T0_E_clISt17integral_constantIbLb0EES18_IbLb1EEEEDaS14_S15_EUlS14_E_NS1_11comp_targetILNS1_3genE5ELNS1_11target_archE942ELNS1_3gpuE9ELNS1_3repE0EEENS1_30default_config_static_selectorELNS0_4arch9wavefront6targetE1EEEvT1_
    .private_segment_fixed_size: 0
    .sgpr_count:     42
    .sgpr_spill_count: 0
    .symbol:         _ZN7rocprim17ROCPRIM_400000_NS6detail17trampoline_kernelINS0_14default_configENS1_25partition_config_selectorILNS1_17partition_subalgoE0EtNS0_10empty_typeEbEEZZNS1_14partition_implILS5_0ELb0ES3_jN6thrust23THRUST_200600_302600_NS6detail15normal_iteratorINSA_10device_ptrItEEEEPS6_SG_NS0_5tupleIJNSA_16discard_iteratorINSA_11use_defaultEEESK_EEENSH_IJSG_SG_EEES6_PlJ7is_evenItEEEE10hipError_tPvRmT3_T4_T5_T6_T7_T9_mT8_P12ihipStream_tbDpT10_ENKUlT_T0_E_clISt17integral_constantIbLb0EES18_IbLb1EEEEDaS14_S15_EUlS14_E_NS1_11comp_targetILNS1_3genE5ELNS1_11target_archE942ELNS1_3gpuE9ELNS1_3repE0EEENS1_30default_config_static_selectorELNS0_4arch9wavefront6targetE1EEEvT1_.kd
    .uniform_work_group_size: 1
    .uses_dynamic_stack: false
    .vgpr_count:     121
    .vgpr_spill_count: 0
    .wavefront_size: 64
  - .agpr_count:     0
    .args:
      - .offset:         0
        .size:           152
        .value_kind:     by_value
    .group_segment_fixed_size: 0
    .kernarg_segment_align: 8
    .kernarg_segment_size: 152
    .language:       OpenCL C
    .language_version:
      - 2
      - 0
    .max_flat_workgroup_size: 256
    .name:           _ZN7rocprim17ROCPRIM_400000_NS6detail17trampoline_kernelINS0_14default_configENS1_25partition_config_selectorILNS1_17partition_subalgoE0EtNS0_10empty_typeEbEEZZNS1_14partition_implILS5_0ELb0ES3_jN6thrust23THRUST_200600_302600_NS6detail15normal_iteratorINSA_10device_ptrItEEEEPS6_SG_NS0_5tupleIJNSA_16discard_iteratorINSA_11use_defaultEEESK_EEENSH_IJSG_SG_EEES6_PlJ7is_evenItEEEE10hipError_tPvRmT3_T4_T5_T6_T7_T9_mT8_P12ihipStream_tbDpT10_ENKUlT_T0_E_clISt17integral_constantIbLb0EES18_IbLb1EEEEDaS14_S15_EUlS14_E_NS1_11comp_targetILNS1_3genE4ELNS1_11target_archE910ELNS1_3gpuE8ELNS1_3repE0EEENS1_30default_config_static_selectorELNS0_4arch9wavefront6targetE1EEEvT1_
    .private_segment_fixed_size: 0
    .sgpr_count:     6
    .sgpr_spill_count: 0
    .symbol:         _ZN7rocprim17ROCPRIM_400000_NS6detail17trampoline_kernelINS0_14default_configENS1_25partition_config_selectorILNS1_17partition_subalgoE0EtNS0_10empty_typeEbEEZZNS1_14partition_implILS5_0ELb0ES3_jN6thrust23THRUST_200600_302600_NS6detail15normal_iteratorINSA_10device_ptrItEEEEPS6_SG_NS0_5tupleIJNSA_16discard_iteratorINSA_11use_defaultEEESK_EEENSH_IJSG_SG_EEES6_PlJ7is_evenItEEEE10hipError_tPvRmT3_T4_T5_T6_T7_T9_mT8_P12ihipStream_tbDpT10_ENKUlT_T0_E_clISt17integral_constantIbLb0EES18_IbLb1EEEEDaS14_S15_EUlS14_E_NS1_11comp_targetILNS1_3genE4ELNS1_11target_archE910ELNS1_3gpuE8ELNS1_3repE0EEENS1_30default_config_static_selectorELNS0_4arch9wavefront6targetE1EEEvT1_.kd
    .uniform_work_group_size: 1
    .uses_dynamic_stack: false
    .vgpr_count:     0
    .vgpr_spill_count: 0
    .wavefront_size: 64
  - .agpr_count:     0
    .args:
      - .offset:         0
        .size:           152
        .value_kind:     by_value
    .group_segment_fixed_size: 0
    .kernarg_segment_align: 8
    .kernarg_segment_size: 152
    .language:       OpenCL C
    .language_version:
      - 2
      - 0
    .max_flat_workgroup_size: 256
    .name:           _ZN7rocprim17ROCPRIM_400000_NS6detail17trampoline_kernelINS0_14default_configENS1_25partition_config_selectorILNS1_17partition_subalgoE0EtNS0_10empty_typeEbEEZZNS1_14partition_implILS5_0ELb0ES3_jN6thrust23THRUST_200600_302600_NS6detail15normal_iteratorINSA_10device_ptrItEEEEPS6_SG_NS0_5tupleIJNSA_16discard_iteratorINSA_11use_defaultEEESK_EEENSH_IJSG_SG_EEES6_PlJ7is_evenItEEEE10hipError_tPvRmT3_T4_T5_T6_T7_T9_mT8_P12ihipStream_tbDpT10_ENKUlT_T0_E_clISt17integral_constantIbLb0EES18_IbLb1EEEEDaS14_S15_EUlS14_E_NS1_11comp_targetILNS1_3genE3ELNS1_11target_archE908ELNS1_3gpuE7ELNS1_3repE0EEENS1_30default_config_static_selectorELNS0_4arch9wavefront6targetE1EEEvT1_
    .private_segment_fixed_size: 0
    .sgpr_count:     6
    .sgpr_spill_count: 0
    .symbol:         _ZN7rocprim17ROCPRIM_400000_NS6detail17trampoline_kernelINS0_14default_configENS1_25partition_config_selectorILNS1_17partition_subalgoE0EtNS0_10empty_typeEbEEZZNS1_14partition_implILS5_0ELb0ES3_jN6thrust23THRUST_200600_302600_NS6detail15normal_iteratorINSA_10device_ptrItEEEEPS6_SG_NS0_5tupleIJNSA_16discard_iteratorINSA_11use_defaultEEESK_EEENSH_IJSG_SG_EEES6_PlJ7is_evenItEEEE10hipError_tPvRmT3_T4_T5_T6_T7_T9_mT8_P12ihipStream_tbDpT10_ENKUlT_T0_E_clISt17integral_constantIbLb0EES18_IbLb1EEEEDaS14_S15_EUlS14_E_NS1_11comp_targetILNS1_3genE3ELNS1_11target_archE908ELNS1_3gpuE7ELNS1_3repE0EEENS1_30default_config_static_selectorELNS0_4arch9wavefront6targetE1EEEvT1_.kd
    .uniform_work_group_size: 1
    .uses_dynamic_stack: false
    .vgpr_count:     0
    .vgpr_spill_count: 0
    .wavefront_size: 64
  - .agpr_count:     0
    .args:
      - .offset:         0
        .size:           152
        .value_kind:     by_value
    .group_segment_fixed_size: 0
    .kernarg_segment_align: 8
    .kernarg_segment_size: 152
    .language:       OpenCL C
    .language_version:
      - 2
      - 0
    .max_flat_workgroup_size: 256
    .name:           _ZN7rocprim17ROCPRIM_400000_NS6detail17trampoline_kernelINS0_14default_configENS1_25partition_config_selectorILNS1_17partition_subalgoE0EtNS0_10empty_typeEbEEZZNS1_14partition_implILS5_0ELb0ES3_jN6thrust23THRUST_200600_302600_NS6detail15normal_iteratorINSA_10device_ptrItEEEEPS6_SG_NS0_5tupleIJNSA_16discard_iteratorINSA_11use_defaultEEESK_EEENSH_IJSG_SG_EEES6_PlJ7is_evenItEEEE10hipError_tPvRmT3_T4_T5_T6_T7_T9_mT8_P12ihipStream_tbDpT10_ENKUlT_T0_E_clISt17integral_constantIbLb0EES18_IbLb1EEEEDaS14_S15_EUlS14_E_NS1_11comp_targetILNS1_3genE2ELNS1_11target_archE906ELNS1_3gpuE6ELNS1_3repE0EEENS1_30default_config_static_selectorELNS0_4arch9wavefront6targetE1EEEvT1_
    .private_segment_fixed_size: 0
    .sgpr_count:     6
    .sgpr_spill_count: 0
    .symbol:         _ZN7rocprim17ROCPRIM_400000_NS6detail17trampoline_kernelINS0_14default_configENS1_25partition_config_selectorILNS1_17partition_subalgoE0EtNS0_10empty_typeEbEEZZNS1_14partition_implILS5_0ELb0ES3_jN6thrust23THRUST_200600_302600_NS6detail15normal_iteratorINSA_10device_ptrItEEEEPS6_SG_NS0_5tupleIJNSA_16discard_iteratorINSA_11use_defaultEEESK_EEENSH_IJSG_SG_EEES6_PlJ7is_evenItEEEE10hipError_tPvRmT3_T4_T5_T6_T7_T9_mT8_P12ihipStream_tbDpT10_ENKUlT_T0_E_clISt17integral_constantIbLb0EES18_IbLb1EEEEDaS14_S15_EUlS14_E_NS1_11comp_targetILNS1_3genE2ELNS1_11target_archE906ELNS1_3gpuE6ELNS1_3repE0EEENS1_30default_config_static_selectorELNS0_4arch9wavefront6targetE1EEEvT1_.kd
    .uniform_work_group_size: 1
    .uses_dynamic_stack: false
    .vgpr_count:     0
    .vgpr_spill_count: 0
    .wavefront_size: 64
  - .agpr_count:     0
    .args:
      - .offset:         0
        .size:           152
        .value_kind:     by_value
    .group_segment_fixed_size: 0
    .kernarg_segment_align: 8
    .kernarg_segment_size: 152
    .language:       OpenCL C
    .language_version:
      - 2
      - 0
    .max_flat_workgroup_size: 384
    .name:           _ZN7rocprim17ROCPRIM_400000_NS6detail17trampoline_kernelINS0_14default_configENS1_25partition_config_selectorILNS1_17partition_subalgoE0EtNS0_10empty_typeEbEEZZNS1_14partition_implILS5_0ELb0ES3_jN6thrust23THRUST_200600_302600_NS6detail15normal_iteratorINSA_10device_ptrItEEEEPS6_SG_NS0_5tupleIJNSA_16discard_iteratorINSA_11use_defaultEEESK_EEENSH_IJSG_SG_EEES6_PlJ7is_evenItEEEE10hipError_tPvRmT3_T4_T5_T6_T7_T9_mT8_P12ihipStream_tbDpT10_ENKUlT_T0_E_clISt17integral_constantIbLb0EES18_IbLb1EEEEDaS14_S15_EUlS14_E_NS1_11comp_targetILNS1_3genE10ELNS1_11target_archE1200ELNS1_3gpuE4ELNS1_3repE0EEENS1_30default_config_static_selectorELNS0_4arch9wavefront6targetE1EEEvT1_
    .private_segment_fixed_size: 0
    .sgpr_count:     6
    .sgpr_spill_count: 0
    .symbol:         _ZN7rocprim17ROCPRIM_400000_NS6detail17trampoline_kernelINS0_14default_configENS1_25partition_config_selectorILNS1_17partition_subalgoE0EtNS0_10empty_typeEbEEZZNS1_14partition_implILS5_0ELb0ES3_jN6thrust23THRUST_200600_302600_NS6detail15normal_iteratorINSA_10device_ptrItEEEEPS6_SG_NS0_5tupleIJNSA_16discard_iteratorINSA_11use_defaultEEESK_EEENSH_IJSG_SG_EEES6_PlJ7is_evenItEEEE10hipError_tPvRmT3_T4_T5_T6_T7_T9_mT8_P12ihipStream_tbDpT10_ENKUlT_T0_E_clISt17integral_constantIbLb0EES18_IbLb1EEEEDaS14_S15_EUlS14_E_NS1_11comp_targetILNS1_3genE10ELNS1_11target_archE1200ELNS1_3gpuE4ELNS1_3repE0EEENS1_30default_config_static_selectorELNS0_4arch9wavefront6targetE1EEEvT1_.kd
    .uniform_work_group_size: 1
    .uses_dynamic_stack: false
    .vgpr_count:     0
    .vgpr_spill_count: 0
    .wavefront_size: 64
  - .agpr_count:     0
    .args:
      - .offset:         0
        .size:           152
        .value_kind:     by_value
    .group_segment_fixed_size: 0
    .kernarg_segment_align: 8
    .kernarg_segment_size: 152
    .language:       OpenCL C
    .language_version:
      - 2
      - 0
    .max_flat_workgroup_size: 128
    .name:           _ZN7rocprim17ROCPRIM_400000_NS6detail17trampoline_kernelINS0_14default_configENS1_25partition_config_selectorILNS1_17partition_subalgoE0EtNS0_10empty_typeEbEEZZNS1_14partition_implILS5_0ELb0ES3_jN6thrust23THRUST_200600_302600_NS6detail15normal_iteratorINSA_10device_ptrItEEEEPS6_SG_NS0_5tupleIJNSA_16discard_iteratorINSA_11use_defaultEEESK_EEENSH_IJSG_SG_EEES6_PlJ7is_evenItEEEE10hipError_tPvRmT3_T4_T5_T6_T7_T9_mT8_P12ihipStream_tbDpT10_ENKUlT_T0_E_clISt17integral_constantIbLb0EES18_IbLb1EEEEDaS14_S15_EUlS14_E_NS1_11comp_targetILNS1_3genE9ELNS1_11target_archE1100ELNS1_3gpuE3ELNS1_3repE0EEENS1_30default_config_static_selectorELNS0_4arch9wavefront6targetE1EEEvT1_
    .private_segment_fixed_size: 0
    .sgpr_count:     6
    .sgpr_spill_count: 0
    .symbol:         _ZN7rocprim17ROCPRIM_400000_NS6detail17trampoline_kernelINS0_14default_configENS1_25partition_config_selectorILNS1_17partition_subalgoE0EtNS0_10empty_typeEbEEZZNS1_14partition_implILS5_0ELb0ES3_jN6thrust23THRUST_200600_302600_NS6detail15normal_iteratorINSA_10device_ptrItEEEEPS6_SG_NS0_5tupleIJNSA_16discard_iteratorINSA_11use_defaultEEESK_EEENSH_IJSG_SG_EEES6_PlJ7is_evenItEEEE10hipError_tPvRmT3_T4_T5_T6_T7_T9_mT8_P12ihipStream_tbDpT10_ENKUlT_T0_E_clISt17integral_constantIbLb0EES18_IbLb1EEEEDaS14_S15_EUlS14_E_NS1_11comp_targetILNS1_3genE9ELNS1_11target_archE1100ELNS1_3gpuE3ELNS1_3repE0EEENS1_30default_config_static_selectorELNS0_4arch9wavefront6targetE1EEEvT1_.kd
    .uniform_work_group_size: 1
    .uses_dynamic_stack: false
    .vgpr_count:     0
    .vgpr_spill_count: 0
    .wavefront_size: 64
  - .agpr_count:     0
    .args:
      - .offset:         0
        .size:           152
        .value_kind:     by_value
    .group_segment_fixed_size: 0
    .kernarg_segment_align: 8
    .kernarg_segment_size: 152
    .language:       OpenCL C
    .language_version:
      - 2
      - 0
    .max_flat_workgroup_size: 128
    .name:           _ZN7rocprim17ROCPRIM_400000_NS6detail17trampoline_kernelINS0_14default_configENS1_25partition_config_selectorILNS1_17partition_subalgoE0EtNS0_10empty_typeEbEEZZNS1_14partition_implILS5_0ELb0ES3_jN6thrust23THRUST_200600_302600_NS6detail15normal_iteratorINSA_10device_ptrItEEEEPS6_SG_NS0_5tupleIJNSA_16discard_iteratorINSA_11use_defaultEEESK_EEENSH_IJSG_SG_EEES6_PlJ7is_evenItEEEE10hipError_tPvRmT3_T4_T5_T6_T7_T9_mT8_P12ihipStream_tbDpT10_ENKUlT_T0_E_clISt17integral_constantIbLb0EES18_IbLb1EEEEDaS14_S15_EUlS14_E_NS1_11comp_targetILNS1_3genE8ELNS1_11target_archE1030ELNS1_3gpuE2ELNS1_3repE0EEENS1_30default_config_static_selectorELNS0_4arch9wavefront6targetE1EEEvT1_
    .private_segment_fixed_size: 0
    .sgpr_count:     6
    .sgpr_spill_count: 0
    .symbol:         _ZN7rocprim17ROCPRIM_400000_NS6detail17trampoline_kernelINS0_14default_configENS1_25partition_config_selectorILNS1_17partition_subalgoE0EtNS0_10empty_typeEbEEZZNS1_14partition_implILS5_0ELb0ES3_jN6thrust23THRUST_200600_302600_NS6detail15normal_iteratorINSA_10device_ptrItEEEEPS6_SG_NS0_5tupleIJNSA_16discard_iteratorINSA_11use_defaultEEESK_EEENSH_IJSG_SG_EEES6_PlJ7is_evenItEEEE10hipError_tPvRmT3_T4_T5_T6_T7_T9_mT8_P12ihipStream_tbDpT10_ENKUlT_T0_E_clISt17integral_constantIbLb0EES18_IbLb1EEEEDaS14_S15_EUlS14_E_NS1_11comp_targetILNS1_3genE8ELNS1_11target_archE1030ELNS1_3gpuE2ELNS1_3repE0EEENS1_30default_config_static_selectorELNS0_4arch9wavefront6targetE1EEEvT1_.kd
    .uniform_work_group_size: 1
    .uses_dynamic_stack: false
    .vgpr_count:     0
    .vgpr_spill_count: 0
    .wavefront_size: 64
  - .agpr_count:     0
    .args:
      - .offset:         0
        .size:           128
        .value_kind:     by_value
    .group_segment_fixed_size: 0
    .kernarg_segment_align: 8
    .kernarg_segment_size: 128
    .language:       OpenCL C
    .language_version:
      - 2
      - 0
    .max_flat_workgroup_size: 256
    .name:           _ZN7rocprim17ROCPRIM_400000_NS6detail17trampoline_kernelINS0_14default_configENS1_25partition_config_selectorILNS1_17partition_subalgoE0EtNS0_10empty_typeEbEEZZNS1_14partition_implILS5_0ELb0ES3_jN6thrust23THRUST_200600_302600_NS6detail15normal_iteratorINSA_10device_ptrItEEEEPS6_SG_NS0_5tupleIJSF_NSA_16discard_iteratorINSA_11use_defaultEEEEEENSH_IJSG_SG_EEES6_PlJ7is_evenItEEEE10hipError_tPvRmT3_T4_T5_T6_T7_T9_mT8_P12ihipStream_tbDpT10_ENKUlT_T0_E_clISt17integral_constantIbLb0EES19_EEDaS14_S15_EUlS14_E_NS1_11comp_targetILNS1_3genE0ELNS1_11target_archE4294967295ELNS1_3gpuE0ELNS1_3repE0EEENS1_30default_config_static_selectorELNS0_4arch9wavefront6targetE1EEEvT1_
    .private_segment_fixed_size: 0
    .sgpr_count:     6
    .sgpr_spill_count: 0
    .symbol:         _ZN7rocprim17ROCPRIM_400000_NS6detail17trampoline_kernelINS0_14default_configENS1_25partition_config_selectorILNS1_17partition_subalgoE0EtNS0_10empty_typeEbEEZZNS1_14partition_implILS5_0ELb0ES3_jN6thrust23THRUST_200600_302600_NS6detail15normal_iteratorINSA_10device_ptrItEEEEPS6_SG_NS0_5tupleIJSF_NSA_16discard_iteratorINSA_11use_defaultEEEEEENSH_IJSG_SG_EEES6_PlJ7is_evenItEEEE10hipError_tPvRmT3_T4_T5_T6_T7_T9_mT8_P12ihipStream_tbDpT10_ENKUlT_T0_E_clISt17integral_constantIbLb0EES19_EEDaS14_S15_EUlS14_E_NS1_11comp_targetILNS1_3genE0ELNS1_11target_archE4294967295ELNS1_3gpuE0ELNS1_3repE0EEENS1_30default_config_static_selectorELNS0_4arch9wavefront6targetE1EEEvT1_.kd
    .uniform_work_group_size: 1
    .uses_dynamic_stack: false
    .vgpr_count:     0
    .vgpr_spill_count: 0
    .wavefront_size: 64
  - .agpr_count:     0
    .args:
      - .offset:         0
        .size:           128
        .value_kind:     by_value
    .group_segment_fixed_size: 30728
    .kernarg_segment_align: 8
    .kernarg_segment_size: 128
    .language:       OpenCL C
    .language_version:
      - 2
      - 0
    .max_flat_workgroup_size: 512
    .name:           _ZN7rocprim17ROCPRIM_400000_NS6detail17trampoline_kernelINS0_14default_configENS1_25partition_config_selectorILNS1_17partition_subalgoE0EtNS0_10empty_typeEbEEZZNS1_14partition_implILS5_0ELb0ES3_jN6thrust23THRUST_200600_302600_NS6detail15normal_iteratorINSA_10device_ptrItEEEEPS6_SG_NS0_5tupleIJSF_NSA_16discard_iteratorINSA_11use_defaultEEEEEENSH_IJSG_SG_EEES6_PlJ7is_evenItEEEE10hipError_tPvRmT3_T4_T5_T6_T7_T9_mT8_P12ihipStream_tbDpT10_ENKUlT_T0_E_clISt17integral_constantIbLb0EES19_EEDaS14_S15_EUlS14_E_NS1_11comp_targetILNS1_3genE5ELNS1_11target_archE942ELNS1_3gpuE9ELNS1_3repE0EEENS1_30default_config_static_selectorELNS0_4arch9wavefront6targetE1EEEvT1_
    .private_segment_fixed_size: 0
    .sgpr_count:     46
    .sgpr_spill_count: 0
    .symbol:         _ZN7rocprim17ROCPRIM_400000_NS6detail17trampoline_kernelINS0_14default_configENS1_25partition_config_selectorILNS1_17partition_subalgoE0EtNS0_10empty_typeEbEEZZNS1_14partition_implILS5_0ELb0ES3_jN6thrust23THRUST_200600_302600_NS6detail15normal_iteratorINSA_10device_ptrItEEEEPS6_SG_NS0_5tupleIJSF_NSA_16discard_iteratorINSA_11use_defaultEEEEEENSH_IJSG_SG_EEES6_PlJ7is_evenItEEEE10hipError_tPvRmT3_T4_T5_T6_T7_T9_mT8_P12ihipStream_tbDpT10_ENKUlT_T0_E_clISt17integral_constantIbLb0EES19_EEDaS14_S15_EUlS14_E_NS1_11comp_targetILNS1_3genE5ELNS1_11target_archE942ELNS1_3gpuE9ELNS1_3repE0EEENS1_30default_config_static_selectorELNS0_4arch9wavefront6targetE1EEEvT1_.kd
    .uniform_work_group_size: 1
    .uses_dynamic_stack: false
    .vgpr_count:     120
    .vgpr_spill_count: 0
    .wavefront_size: 64
  - .agpr_count:     0
    .args:
      - .offset:         0
        .size:           128
        .value_kind:     by_value
    .group_segment_fixed_size: 0
    .kernarg_segment_align: 8
    .kernarg_segment_size: 128
    .language:       OpenCL C
    .language_version:
      - 2
      - 0
    .max_flat_workgroup_size: 256
    .name:           _ZN7rocprim17ROCPRIM_400000_NS6detail17trampoline_kernelINS0_14default_configENS1_25partition_config_selectorILNS1_17partition_subalgoE0EtNS0_10empty_typeEbEEZZNS1_14partition_implILS5_0ELb0ES3_jN6thrust23THRUST_200600_302600_NS6detail15normal_iteratorINSA_10device_ptrItEEEEPS6_SG_NS0_5tupleIJSF_NSA_16discard_iteratorINSA_11use_defaultEEEEEENSH_IJSG_SG_EEES6_PlJ7is_evenItEEEE10hipError_tPvRmT3_T4_T5_T6_T7_T9_mT8_P12ihipStream_tbDpT10_ENKUlT_T0_E_clISt17integral_constantIbLb0EES19_EEDaS14_S15_EUlS14_E_NS1_11comp_targetILNS1_3genE4ELNS1_11target_archE910ELNS1_3gpuE8ELNS1_3repE0EEENS1_30default_config_static_selectorELNS0_4arch9wavefront6targetE1EEEvT1_
    .private_segment_fixed_size: 0
    .sgpr_count:     6
    .sgpr_spill_count: 0
    .symbol:         _ZN7rocprim17ROCPRIM_400000_NS6detail17trampoline_kernelINS0_14default_configENS1_25partition_config_selectorILNS1_17partition_subalgoE0EtNS0_10empty_typeEbEEZZNS1_14partition_implILS5_0ELb0ES3_jN6thrust23THRUST_200600_302600_NS6detail15normal_iteratorINSA_10device_ptrItEEEEPS6_SG_NS0_5tupleIJSF_NSA_16discard_iteratorINSA_11use_defaultEEEEEENSH_IJSG_SG_EEES6_PlJ7is_evenItEEEE10hipError_tPvRmT3_T4_T5_T6_T7_T9_mT8_P12ihipStream_tbDpT10_ENKUlT_T0_E_clISt17integral_constantIbLb0EES19_EEDaS14_S15_EUlS14_E_NS1_11comp_targetILNS1_3genE4ELNS1_11target_archE910ELNS1_3gpuE8ELNS1_3repE0EEENS1_30default_config_static_selectorELNS0_4arch9wavefront6targetE1EEEvT1_.kd
    .uniform_work_group_size: 1
    .uses_dynamic_stack: false
    .vgpr_count:     0
    .vgpr_spill_count: 0
    .wavefront_size: 64
  - .agpr_count:     0
    .args:
      - .offset:         0
        .size:           128
        .value_kind:     by_value
    .group_segment_fixed_size: 0
    .kernarg_segment_align: 8
    .kernarg_segment_size: 128
    .language:       OpenCL C
    .language_version:
      - 2
      - 0
    .max_flat_workgroup_size: 256
    .name:           _ZN7rocprim17ROCPRIM_400000_NS6detail17trampoline_kernelINS0_14default_configENS1_25partition_config_selectorILNS1_17partition_subalgoE0EtNS0_10empty_typeEbEEZZNS1_14partition_implILS5_0ELb0ES3_jN6thrust23THRUST_200600_302600_NS6detail15normal_iteratorINSA_10device_ptrItEEEEPS6_SG_NS0_5tupleIJSF_NSA_16discard_iteratorINSA_11use_defaultEEEEEENSH_IJSG_SG_EEES6_PlJ7is_evenItEEEE10hipError_tPvRmT3_T4_T5_T6_T7_T9_mT8_P12ihipStream_tbDpT10_ENKUlT_T0_E_clISt17integral_constantIbLb0EES19_EEDaS14_S15_EUlS14_E_NS1_11comp_targetILNS1_3genE3ELNS1_11target_archE908ELNS1_3gpuE7ELNS1_3repE0EEENS1_30default_config_static_selectorELNS0_4arch9wavefront6targetE1EEEvT1_
    .private_segment_fixed_size: 0
    .sgpr_count:     6
    .sgpr_spill_count: 0
    .symbol:         _ZN7rocprim17ROCPRIM_400000_NS6detail17trampoline_kernelINS0_14default_configENS1_25partition_config_selectorILNS1_17partition_subalgoE0EtNS0_10empty_typeEbEEZZNS1_14partition_implILS5_0ELb0ES3_jN6thrust23THRUST_200600_302600_NS6detail15normal_iteratorINSA_10device_ptrItEEEEPS6_SG_NS0_5tupleIJSF_NSA_16discard_iteratorINSA_11use_defaultEEEEEENSH_IJSG_SG_EEES6_PlJ7is_evenItEEEE10hipError_tPvRmT3_T4_T5_T6_T7_T9_mT8_P12ihipStream_tbDpT10_ENKUlT_T0_E_clISt17integral_constantIbLb0EES19_EEDaS14_S15_EUlS14_E_NS1_11comp_targetILNS1_3genE3ELNS1_11target_archE908ELNS1_3gpuE7ELNS1_3repE0EEENS1_30default_config_static_selectorELNS0_4arch9wavefront6targetE1EEEvT1_.kd
    .uniform_work_group_size: 1
    .uses_dynamic_stack: false
    .vgpr_count:     0
    .vgpr_spill_count: 0
    .wavefront_size: 64
  - .agpr_count:     0
    .args:
      - .offset:         0
        .size:           128
        .value_kind:     by_value
    .group_segment_fixed_size: 0
    .kernarg_segment_align: 8
    .kernarg_segment_size: 128
    .language:       OpenCL C
    .language_version:
      - 2
      - 0
    .max_flat_workgroup_size: 256
    .name:           _ZN7rocprim17ROCPRIM_400000_NS6detail17trampoline_kernelINS0_14default_configENS1_25partition_config_selectorILNS1_17partition_subalgoE0EtNS0_10empty_typeEbEEZZNS1_14partition_implILS5_0ELb0ES3_jN6thrust23THRUST_200600_302600_NS6detail15normal_iteratorINSA_10device_ptrItEEEEPS6_SG_NS0_5tupleIJSF_NSA_16discard_iteratorINSA_11use_defaultEEEEEENSH_IJSG_SG_EEES6_PlJ7is_evenItEEEE10hipError_tPvRmT3_T4_T5_T6_T7_T9_mT8_P12ihipStream_tbDpT10_ENKUlT_T0_E_clISt17integral_constantIbLb0EES19_EEDaS14_S15_EUlS14_E_NS1_11comp_targetILNS1_3genE2ELNS1_11target_archE906ELNS1_3gpuE6ELNS1_3repE0EEENS1_30default_config_static_selectorELNS0_4arch9wavefront6targetE1EEEvT1_
    .private_segment_fixed_size: 0
    .sgpr_count:     6
    .sgpr_spill_count: 0
    .symbol:         _ZN7rocprim17ROCPRIM_400000_NS6detail17trampoline_kernelINS0_14default_configENS1_25partition_config_selectorILNS1_17partition_subalgoE0EtNS0_10empty_typeEbEEZZNS1_14partition_implILS5_0ELb0ES3_jN6thrust23THRUST_200600_302600_NS6detail15normal_iteratorINSA_10device_ptrItEEEEPS6_SG_NS0_5tupleIJSF_NSA_16discard_iteratorINSA_11use_defaultEEEEEENSH_IJSG_SG_EEES6_PlJ7is_evenItEEEE10hipError_tPvRmT3_T4_T5_T6_T7_T9_mT8_P12ihipStream_tbDpT10_ENKUlT_T0_E_clISt17integral_constantIbLb0EES19_EEDaS14_S15_EUlS14_E_NS1_11comp_targetILNS1_3genE2ELNS1_11target_archE906ELNS1_3gpuE6ELNS1_3repE0EEENS1_30default_config_static_selectorELNS0_4arch9wavefront6targetE1EEEvT1_.kd
    .uniform_work_group_size: 1
    .uses_dynamic_stack: false
    .vgpr_count:     0
    .vgpr_spill_count: 0
    .wavefront_size: 64
  - .agpr_count:     0
    .args:
      - .offset:         0
        .size:           128
        .value_kind:     by_value
    .group_segment_fixed_size: 0
    .kernarg_segment_align: 8
    .kernarg_segment_size: 128
    .language:       OpenCL C
    .language_version:
      - 2
      - 0
    .max_flat_workgroup_size: 384
    .name:           _ZN7rocprim17ROCPRIM_400000_NS6detail17trampoline_kernelINS0_14default_configENS1_25partition_config_selectorILNS1_17partition_subalgoE0EtNS0_10empty_typeEbEEZZNS1_14partition_implILS5_0ELb0ES3_jN6thrust23THRUST_200600_302600_NS6detail15normal_iteratorINSA_10device_ptrItEEEEPS6_SG_NS0_5tupleIJSF_NSA_16discard_iteratorINSA_11use_defaultEEEEEENSH_IJSG_SG_EEES6_PlJ7is_evenItEEEE10hipError_tPvRmT3_T4_T5_T6_T7_T9_mT8_P12ihipStream_tbDpT10_ENKUlT_T0_E_clISt17integral_constantIbLb0EES19_EEDaS14_S15_EUlS14_E_NS1_11comp_targetILNS1_3genE10ELNS1_11target_archE1200ELNS1_3gpuE4ELNS1_3repE0EEENS1_30default_config_static_selectorELNS0_4arch9wavefront6targetE1EEEvT1_
    .private_segment_fixed_size: 0
    .sgpr_count:     6
    .sgpr_spill_count: 0
    .symbol:         _ZN7rocprim17ROCPRIM_400000_NS6detail17trampoline_kernelINS0_14default_configENS1_25partition_config_selectorILNS1_17partition_subalgoE0EtNS0_10empty_typeEbEEZZNS1_14partition_implILS5_0ELb0ES3_jN6thrust23THRUST_200600_302600_NS6detail15normal_iteratorINSA_10device_ptrItEEEEPS6_SG_NS0_5tupleIJSF_NSA_16discard_iteratorINSA_11use_defaultEEEEEENSH_IJSG_SG_EEES6_PlJ7is_evenItEEEE10hipError_tPvRmT3_T4_T5_T6_T7_T9_mT8_P12ihipStream_tbDpT10_ENKUlT_T0_E_clISt17integral_constantIbLb0EES19_EEDaS14_S15_EUlS14_E_NS1_11comp_targetILNS1_3genE10ELNS1_11target_archE1200ELNS1_3gpuE4ELNS1_3repE0EEENS1_30default_config_static_selectorELNS0_4arch9wavefront6targetE1EEEvT1_.kd
    .uniform_work_group_size: 1
    .uses_dynamic_stack: false
    .vgpr_count:     0
    .vgpr_spill_count: 0
    .wavefront_size: 64
  - .agpr_count:     0
    .args:
      - .offset:         0
        .size:           128
        .value_kind:     by_value
    .group_segment_fixed_size: 0
    .kernarg_segment_align: 8
    .kernarg_segment_size: 128
    .language:       OpenCL C
    .language_version:
      - 2
      - 0
    .max_flat_workgroup_size: 128
    .name:           _ZN7rocprim17ROCPRIM_400000_NS6detail17trampoline_kernelINS0_14default_configENS1_25partition_config_selectorILNS1_17partition_subalgoE0EtNS0_10empty_typeEbEEZZNS1_14partition_implILS5_0ELb0ES3_jN6thrust23THRUST_200600_302600_NS6detail15normal_iteratorINSA_10device_ptrItEEEEPS6_SG_NS0_5tupleIJSF_NSA_16discard_iteratorINSA_11use_defaultEEEEEENSH_IJSG_SG_EEES6_PlJ7is_evenItEEEE10hipError_tPvRmT3_T4_T5_T6_T7_T9_mT8_P12ihipStream_tbDpT10_ENKUlT_T0_E_clISt17integral_constantIbLb0EES19_EEDaS14_S15_EUlS14_E_NS1_11comp_targetILNS1_3genE9ELNS1_11target_archE1100ELNS1_3gpuE3ELNS1_3repE0EEENS1_30default_config_static_selectorELNS0_4arch9wavefront6targetE1EEEvT1_
    .private_segment_fixed_size: 0
    .sgpr_count:     6
    .sgpr_spill_count: 0
    .symbol:         _ZN7rocprim17ROCPRIM_400000_NS6detail17trampoline_kernelINS0_14default_configENS1_25partition_config_selectorILNS1_17partition_subalgoE0EtNS0_10empty_typeEbEEZZNS1_14partition_implILS5_0ELb0ES3_jN6thrust23THRUST_200600_302600_NS6detail15normal_iteratorINSA_10device_ptrItEEEEPS6_SG_NS0_5tupleIJSF_NSA_16discard_iteratorINSA_11use_defaultEEEEEENSH_IJSG_SG_EEES6_PlJ7is_evenItEEEE10hipError_tPvRmT3_T4_T5_T6_T7_T9_mT8_P12ihipStream_tbDpT10_ENKUlT_T0_E_clISt17integral_constantIbLb0EES19_EEDaS14_S15_EUlS14_E_NS1_11comp_targetILNS1_3genE9ELNS1_11target_archE1100ELNS1_3gpuE3ELNS1_3repE0EEENS1_30default_config_static_selectorELNS0_4arch9wavefront6targetE1EEEvT1_.kd
    .uniform_work_group_size: 1
    .uses_dynamic_stack: false
    .vgpr_count:     0
    .vgpr_spill_count: 0
    .wavefront_size: 64
  - .agpr_count:     0
    .args:
      - .offset:         0
        .size:           128
        .value_kind:     by_value
    .group_segment_fixed_size: 0
    .kernarg_segment_align: 8
    .kernarg_segment_size: 128
    .language:       OpenCL C
    .language_version:
      - 2
      - 0
    .max_flat_workgroup_size: 128
    .name:           _ZN7rocprim17ROCPRIM_400000_NS6detail17trampoline_kernelINS0_14default_configENS1_25partition_config_selectorILNS1_17partition_subalgoE0EtNS0_10empty_typeEbEEZZNS1_14partition_implILS5_0ELb0ES3_jN6thrust23THRUST_200600_302600_NS6detail15normal_iteratorINSA_10device_ptrItEEEEPS6_SG_NS0_5tupleIJSF_NSA_16discard_iteratorINSA_11use_defaultEEEEEENSH_IJSG_SG_EEES6_PlJ7is_evenItEEEE10hipError_tPvRmT3_T4_T5_T6_T7_T9_mT8_P12ihipStream_tbDpT10_ENKUlT_T0_E_clISt17integral_constantIbLb0EES19_EEDaS14_S15_EUlS14_E_NS1_11comp_targetILNS1_3genE8ELNS1_11target_archE1030ELNS1_3gpuE2ELNS1_3repE0EEENS1_30default_config_static_selectorELNS0_4arch9wavefront6targetE1EEEvT1_
    .private_segment_fixed_size: 0
    .sgpr_count:     6
    .sgpr_spill_count: 0
    .symbol:         _ZN7rocprim17ROCPRIM_400000_NS6detail17trampoline_kernelINS0_14default_configENS1_25partition_config_selectorILNS1_17partition_subalgoE0EtNS0_10empty_typeEbEEZZNS1_14partition_implILS5_0ELb0ES3_jN6thrust23THRUST_200600_302600_NS6detail15normal_iteratorINSA_10device_ptrItEEEEPS6_SG_NS0_5tupleIJSF_NSA_16discard_iteratorINSA_11use_defaultEEEEEENSH_IJSG_SG_EEES6_PlJ7is_evenItEEEE10hipError_tPvRmT3_T4_T5_T6_T7_T9_mT8_P12ihipStream_tbDpT10_ENKUlT_T0_E_clISt17integral_constantIbLb0EES19_EEDaS14_S15_EUlS14_E_NS1_11comp_targetILNS1_3genE8ELNS1_11target_archE1030ELNS1_3gpuE2ELNS1_3repE0EEENS1_30default_config_static_selectorELNS0_4arch9wavefront6targetE1EEEvT1_.kd
    .uniform_work_group_size: 1
    .uses_dynamic_stack: false
    .vgpr_count:     0
    .vgpr_spill_count: 0
    .wavefront_size: 64
  - .agpr_count:     0
    .args:
      - .offset:         0
        .size:           144
        .value_kind:     by_value
    .group_segment_fixed_size: 0
    .kernarg_segment_align: 8
    .kernarg_segment_size: 144
    .language:       OpenCL C
    .language_version:
      - 2
      - 0
    .max_flat_workgroup_size: 256
    .name:           _ZN7rocprim17ROCPRIM_400000_NS6detail17trampoline_kernelINS0_14default_configENS1_25partition_config_selectorILNS1_17partition_subalgoE0EtNS0_10empty_typeEbEEZZNS1_14partition_implILS5_0ELb0ES3_jN6thrust23THRUST_200600_302600_NS6detail15normal_iteratorINSA_10device_ptrItEEEEPS6_SG_NS0_5tupleIJSF_NSA_16discard_iteratorINSA_11use_defaultEEEEEENSH_IJSG_SG_EEES6_PlJ7is_evenItEEEE10hipError_tPvRmT3_T4_T5_T6_T7_T9_mT8_P12ihipStream_tbDpT10_ENKUlT_T0_E_clISt17integral_constantIbLb1EES19_EEDaS14_S15_EUlS14_E_NS1_11comp_targetILNS1_3genE0ELNS1_11target_archE4294967295ELNS1_3gpuE0ELNS1_3repE0EEENS1_30default_config_static_selectorELNS0_4arch9wavefront6targetE1EEEvT1_
    .private_segment_fixed_size: 0
    .sgpr_count:     6
    .sgpr_spill_count: 0
    .symbol:         _ZN7rocprim17ROCPRIM_400000_NS6detail17trampoline_kernelINS0_14default_configENS1_25partition_config_selectorILNS1_17partition_subalgoE0EtNS0_10empty_typeEbEEZZNS1_14partition_implILS5_0ELb0ES3_jN6thrust23THRUST_200600_302600_NS6detail15normal_iteratorINSA_10device_ptrItEEEEPS6_SG_NS0_5tupleIJSF_NSA_16discard_iteratorINSA_11use_defaultEEEEEENSH_IJSG_SG_EEES6_PlJ7is_evenItEEEE10hipError_tPvRmT3_T4_T5_T6_T7_T9_mT8_P12ihipStream_tbDpT10_ENKUlT_T0_E_clISt17integral_constantIbLb1EES19_EEDaS14_S15_EUlS14_E_NS1_11comp_targetILNS1_3genE0ELNS1_11target_archE4294967295ELNS1_3gpuE0ELNS1_3repE0EEENS1_30default_config_static_selectorELNS0_4arch9wavefront6targetE1EEEvT1_.kd
    .uniform_work_group_size: 1
    .uses_dynamic_stack: false
    .vgpr_count:     0
    .vgpr_spill_count: 0
    .wavefront_size: 64
  - .agpr_count:     0
    .args:
      - .offset:         0
        .size:           144
        .value_kind:     by_value
    .group_segment_fixed_size: 30728
    .kernarg_segment_align: 8
    .kernarg_segment_size: 144
    .language:       OpenCL C
    .language_version:
      - 2
      - 0
    .max_flat_workgroup_size: 512
    .name:           _ZN7rocprim17ROCPRIM_400000_NS6detail17trampoline_kernelINS0_14default_configENS1_25partition_config_selectorILNS1_17partition_subalgoE0EtNS0_10empty_typeEbEEZZNS1_14partition_implILS5_0ELb0ES3_jN6thrust23THRUST_200600_302600_NS6detail15normal_iteratorINSA_10device_ptrItEEEEPS6_SG_NS0_5tupleIJSF_NSA_16discard_iteratorINSA_11use_defaultEEEEEENSH_IJSG_SG_EEES6_PlJ7is_evenItEEEE10hipError_tPvRmT3_T4_T5_T6_T7_T9_mT8_P12ihipStream_tbDpT10_ENKUlT_T0_E_clISt17integral_constantIbLb1EES19_EEDaS14_S15_EUlS14_E_NS1_11comp_targetILNS1_3genE5ELNS1_11target_archE942ELNS1_3gpuE9ELNS1_3repE0EEENS1_30default_config_static_selectorELNS0_4arch9wavefront6targetE1EEEvT1_
    .private_segment_fixed_size: 0
    .sgpr_count:     46
    .sgpr_spill_count: 0
    .symbol:         _ZN7rocprim17ROCPRIM_400000_NS6detail17trampoline_kernelINS0_14default_configENS1_25partition_config_selectorILNS1_17partition_subalgoE0EtNS0_10empty_typeEbEEZZNS1_14partition_implILS5_0ELb0ES3_jN6thrust23THRUST_200600_302600_NS6detail15normal_iteratorINSA_10device_ptrItEEEEPS6_SG_NS0_5tupleIJSF_NSA_16discard_iteratorINSA_11use_defaultEEEEEENSH_IJSG_SG_EEES6_PlJ7is_evenItEEEE10hipError_tPvRmT3_T4_T5_T6_T7_T9_mT8_P12ihipStream_tbDpT10_ENKUlT_T0_E_clISt17integral_constantIbLb1EES19_EEDaS14_S15_EUlS14_E_NS1_11comp_targetILNS1_3genE5ELNS1_11target_archE942ELNS1_3gpuE9ELNS1_3repE0EEENS1_30default_config_static_selectorELNS0_4arch9wavefront6targetE1EEEvT1_.kd
    .uniform_work_group_size: 1
    .uses_dynamic_stack: false
    .vgpr_count:     122
    .vgpr_spill_count: 0
    .wavefront_size: 64
  - .agpr_count:     0
    .args:
      - .offset:         0
        .size:           144
        .value_kind:     by_value
    .group_segment_fixed_size: 0
    .kernarg_segment_align: 8
    .kernarg_segment_size: 144
    .language:       OpenCL C
    .language_version:
      - 2
      - 0
    .max_flat_workgroup_size: 256
    .name:           _ZN7rocprim17ROCPRIM_400000_NS6detail17trampoline_kernelINS0_14default_configENS1_25partition_config_selectorILNS1_17partition_subalgoE0EtNS0_10empty_typeEbEEZZNS1_14partition_implILS5_0ELb0ES3_jN6thrust23THRUST_200600_302600_NS6detail15normal_iteratorINSA_10device_ptrItEEEEPS6_SG_NS0_5tupleIJSF_NSA_16discard_iteratorINSA_11use_defaultEEEEEENSH_IJSG_SG_EEES6_PlJ7is_evenItEEEE10hipError_tPvRmT3_T4_T5_T6_T7_T9_mT8_P12ihipStream_tbDpT10_ENKUlT_T0_E_clISt17integral_constantIbLb1EES19_EEDaS14_S15_EUlS14_E_NS1_11comp_targetILNS1_3genE4ELNS1_11target_archE910ELNS1_3gpuE8ELNS1_3repE0EEENS1_30default_config_static_selectorELNS0_4arch9wavefront6targetE1EEEvT1_
    .private_segment_fixed_size: 0
    .sgpr_count:     6
    .sgpr_spill_count: 0
    .symbol:         _ZN7rocprim17ROCPRIM_400000_NS6detail17trampoline_kernelINS0_14default_configENS1_25partition_config_selectorILNS1_17partition_subalgoE0EtNS0_10empty_typeEbEEZZNS1_14partition_implILS5_0ELb0ES3_jN6thrust23THRUST_200600_302600_NS6detail15normal_iteratorINSA_10device_ptrItEEEEPS6_SG_NS0_5tupleIJSF_NSA_16discard_iteratorINSA_11use_defaultEEEEEENSH_IJSG_SG_EEES6_PlJ7is_evenItEEEE10hipError_tPvRmT3_T4_T5_T6_T7_T9_mT8_P12ihipStream_tbDpT10_ENKUlT_T0_E_clISt17integral_constantIbLb1EES19_EEDaS14_S15_EUlS14_E_NS1_11comp_targetILNS1_3genE4ELNS1_11target_archE910ELNS1_3gpuE8ELNS1_3repE0EEENS1_30default_config_static_selectorELNS0_4arch9wavefront6targetE1EEEvT1_.kd
    .uniform_work_group_size: 1
    .uses_dynamic_stack: false
    .vgpr_count:     0
    .vgpr_spill_count: 0
    .wavefront_size: 64
  - .agpr_count:     0
    .args:
      - .offset:         0
        .size:           144
        .value_kind:     by_value
    .group_segment_fixed_size: 0
    .kernarg_segment_align: 8
    .kernarg_segment_size: 144
    .language:       OpenCL C
    .language_version:
      - 2
      - 0
    .max_flat_workgroup_size: 256
    .name:           _ZN7rocprim17ROCPRIM_400000_NS6detail17trampoline_kernelINS0_14default_configENS1_25partition_config_selectorILNS1_17partition_subalgoE0EtNS0_10empty_typeEbEEZZNS1_14partition_implILS5_0ELb0ES3_jN6thrust23THRUST_200600_302600_NS6detail15normal_iteratorINSA_10device_ptrItEEEEPS6_SG_NS0_5tupleIJSF_NSA_16discard_iteratorINSA_11use_defaultEEEEEENSH_IJSG_SG_EEES6_PlJ7is_evenItEEEE10hipError_tPvRmT3_T4_T5_T6_T7_T9_mT8_P12ihipStream_tbDpT10_ENKUlT_T0_E_clISt17integral_constantIbLb1EES19_EEDaS14_S15_EUlS14_E_NS1_11comp_targetILNS1_3genE3ELNS1_11target_archE908ELNS1_3gpuE7ELNS1_3repE0EEENS1_30default_config_static_selectorELNS0_4arch9wavefront6targetE1EEEvT1_
    .private_segment_fixed_size: 0
    .sgpr_count:     6
    .sgpr_spill_count: 0
    .symbol:         _ZN7rocprim17ROCPRIM_400000_NS6detail17trampoline_kernelINS0_14default_configENS1_25partition_config_selectorILNS1_17partition_subalgoE0EtNS0_10empty_typeEbEEZZNS1_14partition_implILS5_0ELb0ES3_jN6thrust23THRUST_200600_302600_NS6detail15normal_iteratorINSA_10device_ptrItEEEEPS6_SG_NS0_5tupleIJSF_NSA_16discard_iteratorINSA_11use_defaultEEEEEENSH_IJSG_SG_EEES6_PlJ7is_evenItEEEE10hipError_tPvRmT3_T4_T5_T6_T7_T9_mT8_P12ihipStream_tbDpT10_ENKUlT_T0_E_clISt17integral_constantIbLb1EES19_EEDaS14_S15_EUlS14_E_NS1_11comp_targetILNS1_3genE3ELNS1_11target_archE908ELNS1_3gpuE7ELNS1_3repE0EEENS1_30default_config_static_selectorELNS0_4arch9wavefront6targetE1EEEvT1_.kd
    .uniform_work_group_size: 1
    .uses_dynamic_stack: false
    .vgpr_count:     0
    .vgpr_spill_count: 0
    .wavefront_size: 64
  - .agpr_count:     0
    .args:
      - .offset:         0
        .size:           144
        .value_kind:     by_value
    .group_segment_fixed_size: 0
    .kernarg_segment_align: 8
    .kernarg_segment_size: 144
    .language:       OpenCL C
    .language_version:
      - 2
      - 0
    .max_flat_workgroup_size: 256
    .name:           _ZN7rocprim17ROCPRIM_400000_NS6detail17trampoline_kernelINS0_14default_configENS1_25partition_config_selectorILNS1_17partition_subalgoE0EtNS0_10empty_typeEbEEZZNS1_14partition_implILS5_0ELb0ES3_jN6thrust23THRUST_200600_302600_NS6detail15normal_iteratorINSA_10device_ptrItEEEEPS6_SG_NS0_5tupleIJSF_NSA_16discard_iteratorINSA_11use_defaultEEEEEENSH_IJSG_SG_EEES6_PlJ7is_evenItEEEE10hipError_tPvRmT3_T4_T5_T6_T7_T9_mT8_P12ihipStream_tbDpT10_ENKUlT_T0_E_clISt17integral_constantIbLb1EES19_EEDaS14_S15_EUlS14_E_NS1_11comp_targetILNS1_3genE2ELNS1_11target_archE906ELNS1_3gpuE6ELNS1_3repE0EEENS1_30default_config_static_selectorELNS0_4arch9wavefront6targetE1EEEvT1_
    .private_segment_fixed_size: 0
    .sgpr_count:     6
    .sgpr_spill_count: 0
    .symbol:         _ZN7rocprim17ROCPRIM_400000_NS6detail17trampoline_kernelINS0_14default_configENS1_25partition_config_selectorILNS1_17partition_subalgoE0EtNS0_10empty_typeEbEEZZNS1_14partition_implILS5_0ELb0ES3_jN6thrust23THRUST_200600_302600_NS6detail15normal_iteratorINSA_10device_ptrItEEEEPS6_SG_NS0_5tupleIJSF_NSA_16discard_iteratorINSA_11use_defaultEEEEEENSH_IJSG_SG_EEES6_PlJ7is_evenItEEEE10hipError_tPvRmT3_T4_T5_T6_T7_T9_mT8_P12ihipStream_tbDpT10_ENKUlT_T0_E_clISt17integral_constantIbLb1EES19_EEDaS14_S15_EUlS14_E_NS1_11comp_targetILNS1_3genE2ELNS1_11target_archE906ELNS1_3gpuE6ELNS1_3repE0EEENS1_30default_config_static_selectorELNS0_4arch9wavefront6targetE1EEEvT1_.kd
    .uniform_work_group_size: 1
    .uses_dynamic_stack: false
    .vgpr_count:     0
    .vgpr_spill_count: 0
    .wavefront_size: 64
  - .agpr_count:     0
    .args:
      - .offset:         0
        .size:           144
        .value_kind:     by_value
    .group_segment_fixed_size: 0
    .kernarg_segment_align: 8
    .kernarg_segment_size: 144
    .language:       OpenCL C
    .language_version:
      - 2
      - 0
    .max_flat_workgroup_size: 384
    .name:           _ZN7rocprim17ROCPRIM_400000_NS6detail17trampoline_kernelINS0_14default_configENS1_25partition_config_selectorILNS1_17partition_subalgoE0EtNS0_10empty_typeEbEEZZNS1_14partition_implILS5_0ELb0ES3_jN6thrust23THRUST_200600_302600_NS6detail15normal_iteratorINSA_10device_ptrItEEEEPS6_SG_NS0_5tupleIJSF_NSA_16discard_iteratorINSA_11use_defaultEEEEEENSH_IJSG_SG_EEES6_PlJ7is_evenItEEEE10hipError_tPvRmT3_T4_T5_T6_T7_T9_mT8_P12ihipStream_tbDpT10_ENKUlT_T0_E_clISt17integral_constantIbLb1EES19_EEDaS14_S15_EUlS14_E_NS1_11comp_targetILNS1_3genE10ELNS1_11target_archE1200ELNS1_3gpuE4ELNS1_3repE0EEENS1_30default_config_static_selectorELNS0_4arch9wavefront6targetE1EEEvT1_
    .private_segment_fixed_size: 0
    .sgpr_count:     6
    .sgpr_spill_count: 0
    .symbol:         _ZN7rocprim17ROCPRIM_400000_NS6detail17trampoline_kernelINS0_14default_configENS1_25partition_config_selectorILNS1_17partition_subalgoE0EtNS0_10empty_typeEbEEZZNS1_14partition_implILS5_0ELb0ES3_jN6thrust23THRUST_200600_302600_NS6detail15normal_iteratorINSA_10device_ptrItEEEEPS6_SG_NS0_5tupleIJSF_NSA_16discard_iteratorINSA_11use_defaultEEEEEENSH_IJSG_SG_EEES6_PlJ7is_evenItEEEE10hipError_tPvRmT3_T4_T5_T6_T7_T9_mT8_P12ihipStream_tbDpT10_ENKUlT_T0_E_clISt17integral_constantIbLb1EES19_EEDaS14_S15_EUlS14_E_NS1_11comp_targetILNS1_3genE10ELNS1_11target_archE1200ELNS1_3gpuE4ELNS1_3repE0EEENS1_30default_config_static_selectorELNS0_4arch9wavefront6targetE1EEEvT1_.kd
    .uniform_work_group_size: 1
    .uses_dynamic_stack: false
    .vgpr_count:     0
    .vgpr_spill_count: 0
    .wavefront_size: 64
  - .agpr_count:     0
    .args:
      - .offset:         0
        .size:           144
        .value_kind:     by_value
    .group_segment_fixed_size: 0
    .kernarg_segment_align: 8
    .kernarg_segment_size: 144
    .language:       OpenCL C
    .language_version:
      - 2
      - 0
    .max_flat_workgroup_size: 128
    .name:           _ZN7rocprim17ROCPRIM_400000_NS6detail17trampoline_kernelINS0_14default_configENS1_25partition_config_selectorILNS1_17partition_subalgoE0EtNS0_10empty_typeEbEEZZNS1_14partition_implILS5_0ELb0ES3_jN6thrust23THRUST_200600_302600_NS6detail15normal_iteratorINSA_10device_ptrItEEEEPS6_SG_NS0_5tupleIJSF_NSA_16discard_iteratorINSA_11use_defaultEEEEEENSH_IJSG_SG_EEES6_PlJ7is_evenItEEEE10hipError_tPvRmT3_T4_T5_T6_T7_T9_mT8_P12ihipStream_tbDpT10_ENKUlT_T0_E_clISt17integral_constantIbLb1EES19_EEDaS14_S15_EUlS14_E_NS1_11comp_targetILNS1_3genE9ELNS1_11target_archE1100ELNS1_3gpuE3ELNS1_3repE0EEENS1_30default_config_static_selectorELNS0_4arch9wavefront6targetE1EEEvT1_
    .private_segment_fixed_size: 0
    .sgpr_count:     6
    .sgpr_spill_count: 0
    .symbol:         _ZN7rocprim17ROCPRIM_400000_NS6detail17trampoline_kernelINS0_14default_configENS1_25partition_config_selectorILNS1_17partition_subalgoE0EtNS0_10empty_typeEbEEZZNS1_14partition_implILS5_0ELb0ES3_jN6thrust23THRUST_200600_302600_NS6detail15normal_iteratorINSA_10device_ptrItEEEEPS6_SG_NS0_5tupleIJSF_NSA_16discard_iteratorINSA_11use_defaultEEEEEENSH_IJSG_SG_EEES6_PlJ7is_evenItEEEE10hipError_tPvRmT3_T4_T5_T6_T7_T9_mT8_P12ihipStream_tbDpT10_ENKUlT_T0_E_clISt17integral_constantIbLb1EES19_EEDaS14_S15_EUlS14_E_NS1_11comp_targetILNS1_3genE9ELNS1_11target_archE1100ELNS1_3gpuE3ELNS1_3repE0EEENS1_30default_config_static_selectorELNS0_4arch9wavefront6targetE1EEEvT1_.kd
    .uniform_work_group_size: 1
    .uses_dynamic_stack: false
    .vgpr_count:     0
    .vgpr_spill_count: 0
    .wavefront_size: 64
  - .agpr_count:     0
    .args:
      - .offset:         0
        .size:           144
        .value_kind:     by_value
    .group_segment_fixed_size: 0
    .kernarg_segment_align: 8
    .kernarg_segment_size: 144
    .language:       OpenCL C
    .language_version:
      - 2
      - 0
    .max_flat_workgroup_size: 128
    .name:           _ZN7rocprim17ROCPRIM_400000_NS6detail17trampoline_kernelINS0_14default_configENS1_25partition_config_selectorILNS1_17partition_subalgoE0EtNS0_10empty_typeEbEEZZNS1_14partition_implILS5_0ELb0ES3_jN6thrust23THRUST_200600_302600_NS6detail15normal_iteratorINSA_10device_ptrItEEEEPS6_SG_NS0_5tupleIJSF_NSA_16discard_iteratorINSA_11use_defaultEEEEEENSH_IJSG_SG_EEES6_PlJ7is_evenItEEEE10hipError_tPvRmT3_T4_T5_T6_T7_T9_mT8_P12ihipStream_tbDpT10_ENKUlT_T0_E_clISt17integral_constantIbLb1EES19_EEDaS14_S15_EUlS14_E_NS1_11comp_targetILNS1_3genE8ELNS1_11target_archE1030ELNS1_3gpuE2ELNS1_3repE0EEENS1_30default_config_static_selectorELNS0_4arch9wavefront6targetE1EEEvT1_
    .private_segment_fixed_size: 0
    .sgpr_count:     6
    .sgpr_spill_count: 0
    .symbol:         _ZN7rocprim17ROCPRIM_400000_NS6detail17trampoline_kernelINS0_14default_configENS1_25partition_config_selectorILNS1_17partition_subalgoE0EtNS0_10empty_typeEbEEZZNS1_14partition_implILS5_0ELb0ES3_jN6thrust23THRUST_200600_302600_NS6detail15normal_iteratorINSA_10device_ptrItEEEEPS6_SG_NS0_5tupleIJSF_NSA_16discard_iteratorINSA_11use_defaultEEEEEENSH_IJSG_SG_EEES6_PlJ7is_evenItEEEE10hipError_tPvRmT3_T4_T5_T6_T7_T9_mT8_P12ihipStream_tbDpT10_ENKUlT_T0_E_clISt17integral_constantIbLb1EES19_EEDaS14_S15_EUlS14_E_NS1_11comp_targetILNS1_3genE8ELNS1_11target_archE1030ELNS1_3gpuE2ELNS1_3repE0EEENS1_30default_config_static_selectorELNS0_4arch9wavefront6targetE1EEEvT1_.kd
    .uniform_work_group_size: 1
    .uses_dynamic_stack: false
    .vgpr_count:     0
    .vgpr_spill_count: 0
    .wavefront_size: 64
  - .agpr_count:     0
    .args:
      - .offset:         0
        .size:           128
        .value_kind:     by_value
    .group_segment_fixed_size: 0
    .kernarg_segment_align: 8
    .kernarg_segment_size: 128
    .language:       OpenCL C
    .language_version:
      - 2
      - 0
    .max_flat_workgroup_size: 256
    .name:           _ZN7rocprim17ROCPRIM_400000_NS6detail17trampoline_kernelINS0_14default_configENS1_25partition_config_selectorILNS1_17partition_subalgoE0EtNS0_10empty_typeEbEEZZNS1_14partition_implILS5_0ELb0ES3_jN6thrust23THRUST_200600_302600_NS6detail15normal_iteratorINSA_10device_ptrItEEEEPS6_SG_NS0_5tupleIJSF_NSA_16discard_iteratorINSA_11use_defaultEEEEEENSH_IJSG_SG_EEES6_PlJ7is_evenItEEEE10hipError_tPvRmT3_T4_T5_T6_T7_T9_mT8_P12ihipStream_tbDpT10_ENKUlT_T0_E_clISt17integral_constantIbLb1EES18_IbLb0EEEEDaS14_S15_EUlS14_E_NS1_11comp_targetILNS1_3genE0ELNS1_11target_archE4294967295ELNS1_3gpuE0ELNS1_3repE0EEENS1_30default_config_static_selectorELNS0_4arch9wavefront6targetE1EEEvT1_
    .private_segment_fixed_size: 0
    .sgpr_count:     6
    .sgpr_spill_count: 0
    .symbol:         _ZN7rocprim17ROCPRIM_400000_NS6detail17trampoline_kernelINS0_14default_configENS1_25partition_config_selectorILNS1_17partition_subalgoE0EtNS0_10empty_typeEbEEZZNS1_14partition_implILS5_0ELb0ES3_jN6thrust23THRUST_200600_302600_NS6detail15normal_iteratorINSA_10device_ptrItEEEEPS6_SG_NS0_5tupleIJSF_NSA_16discard_iteratorINSA_11use_defaultEEEEEENSH_IJSG_SG_EEES6_PlJ7is_evenItEEEE10hipError_tPvRmT3_T4_T5_T6_T7_T9_mT8_P12ihipStream_tbDpT10_ENKUlT_T0_E_clISt17integral_constantIbLb1EES18_IbLb0EEEEDaS14_S15_EUlS14_E_NS1_11comp_targetILNS1_3genE0ELNS1_11target_archE4294967295ELNS1_3gpuE0ELNS1_3repE0EEENS1_30default_config_static_selectorELNS0_4arch9wavefront6targetE1EEEvT1_.kd
    .uniform_work_group_size: 1
    .uses_dynamic_stack: false
    .vgpr_count:     0
    .vgpr_spill_count: 0
    .wavefront_size: 64
  - .agpr_count:     0
    .args:
      - .offset:         0
        .size:           128
        .value_kind:     by_value
    .group_segment_fixed_size: 30728
    .kernarg_segment_align: 8
    .kernarg_segment_size: 128
    .language:       OpenCL C
    .language_version:
      - 2
      - 0
    .max_flat_workgroup_size: 512
    .name:           _ZN7rocprim17ROCPRIM_400000_NS6detail17trampoline_kernelINS0_14default_configENS1_25partition_config_selectorILNS1_17partition_subalgoE0EtNS0_10empty_typeEbEEZZNS1_14partition_implILS5_0ELb0ES3_jN6thrust23THRUST_200600_302600_NS6detail15normal_iteratorINSA_10device_ptrItEEEEPS6_SG_NS0_5tupleIJSF_NSA_16discard_iteratorINSA_11use_defaultEEEEEENSH_IJSG_SG_EEES6_PlJ7is_evenItEEEE10hipError_tPvRmT3_T4_T5_T6_T7_T9_mT8_P12ihipStream_tbDpT10_ENKUlT_T0_E_clISt17integral_constantIbLb1EES18_IbLb0EEEEDaS14_S15_EUlS14_E_NS1_11comp_targetILNS1_3genE5ELNS1_11target_archE942ELNS1_3gpuE9ELNS1_3repE0EEENS1_30default_config_static_selectorELNS0_4arch9wavefront6targetE1EEEvT1_
    .private_segment_fixed_size: 0
    .sgpr_count:     46
    .sgpr_spill_count: 0
    .symbol:         _ZN7rocprim17ROCPRIM_400000_NS6detail17trampoline_kernelINS0_14default_configENS1_25partition_config_selectorILNS1_17partition_subalgoE0EtNS0_10empty_typeEbEEZZNS1_14partition_implILS5_0ELb0ES3_jN6thrust23THRUST_200600_302600_NS6detail15normal_iteratorINSA_10device_ptrItEEEEPS6_SG_NS0_5tupleIJSF_NSA_16discard_iteratorINSA_11use_defaultEEEEEENSH_IJSG_SG_EEES6_PlJ7is_evenItEEEE10hipError_tPvRmT3_T4_T5_T6_T7_T9_mT8_P12ihipStream_tbDpT10_ENKUlT_T0_E_clISt17integral_constantIbLb1EES18_IbLb0EEEEDaS14_S15_EUlS14_E_NS1_11comp_targetILNS1_3genE5ELNS1_11target_archE942ELNS1_3gpuE9ELNS1_3repE0EEENS1_30default_config_static_selectorELNS0_4arch9wavefront6targetE1EEEvT1_.kd
    .uniform_work_group_size: 1
    .uses_dynamic_stack: false
    .vgpr_count:     120
    .vgpr_spill_count: 0
    .wavefront_size: 64
  - .agpr_count:     0
    .args:
      - .offset:         0
        .size:           128
        .value_kind:     by_value
    .group_segment_fixed_size: 0
    .kernarg_segment_align: 8
    .kernarg_segment_size: 128
    .language:       OpenCL C
    .language_version:
      - 2
      - 0
    .max_flat_workgroup_size: 256
    .name:           _ZN7rocprim17ROCPRIM_400000_NS6detail17trampoline_kernelINS0_14default_configENS1_25partition_config_selectorILNS1_17partition_subalgoE0EtNS0_10empty_typeEbEEZZNS1_14partition_implILS5_0ELb0ES3_jN6thrust23THRUST_200600_302600_NS6detail15normal_iteratorINSA_10device_ptrItEEEEPS6_SG_NS0_5tupleIJSF_NSA_16discard_iteratorINSA_11use_defaultEEEEEENSH_IJSG_SG_EEES6_PlJ7is_evenItEEEE10hipError_tPvRmT3_T4_T5_T6_T7_T9_mT8_P12ihipStream_tbDpT10_ENKUlT_T0_E_clISt17integral_constantIbLb1EES18_IbLb0EEEEDaS14_S15_EUlS14_E_NS1_11comp_targetILNS1_3genE4ELNS1_11target_archE910ELNS1_3gpuE8ELNS1_3repE0EEENS1_30default_config_static_selectorELNS0_4arch9wavefront6targetE1EEEvT1_
    .private_segment_fixed_size: 0
    .sgpr_count:     6
    .sgpr_spill_count: 0
    .symbol:         _ZN7rocprim17ROCPRIM_400000_NS6detail17trampoline_kernelINS0_14default_configENS1_25partition_config_selectorILNS1_17partition_subalgoE0EtNS0_10empty_typeEbEEZZNS1_14partition_implILS5_0ELb0ES3_jN6thrust23THRUST_200600_302600_NS6detail15normal_iteratorINSA_10device_ptrItEEEEPS6_SG_NS0_5tupleIJSF_NSA_16discard_iteratorINSA_11use_defaultEEEEEENSH_IJSG_SG_EEES6_PlJ7is_evenItEEEE10hipError_tPvRmT3_T4_T5_T6_T7_T9_mT8_P12ihipStream_tbDpT10_ENKUlT_T0_E_clISt17integral_constantIbLb1EES18_IbLb0EEEEDaS14_S15_EUlS14_E_NS1_11comp_targetILNS1_3genE4ELNS1_11target_archE910ELNS1_3gpuE8ELNS1_3repE0EEENS1_30default_config_static_selectorELNS0_4arch9wavefront6targetE1EEEvT1_.kd
    .uniform_work_group_size: 1
    .uses_dynamic_stack: false
    .vgpr_count:     0
    .vgpr_spill_count: 0
    .wavefront_size: 64
  - .agpr_count:     0
    .args:
      - .offset:         0
        .size:           128
        .value_kind:     by_value
    .group_segment_fixed_size: 0
    .kernarg_segment_align: 8
    .kernarg_segment_size: 128
    .language:       OpenCL C
    .language_version:
      - 2
      - 0
    .max_flat_workgroup_size: 256
    .name:           _ZN7rocprim17ROCPRIM_400000_NS6detail17trampoline_kernelINS0_14default_configENS1_25partition_config_selectorILNS1_17partition_subalgoE0EtNS0_10empty_typeEbEEZZNS1_14partition_implILS5_0ELb0ES3_jN6thrust23THRUST_200600_302600_NS6detail15normal_iteratorINSA_10device_ptrItEEEEPS6_SG_NS0_5tupleIJSF_NSA_16discard_iteratorINSA_11use_defaultEEEEEENSH_IJSG_SG_EEES6_PlJ7is_evenItEEEE10hipError_tPvRmT3_T4_T5_T6_T7_T9_mT8_P12ihipStream_tbDpT10_ENKUlT_T0_E_clISt17integral_constantIbLb1EES18_IbLb0EEEEDaS14_S15_EUlS14_E_NS1_11comp_targetILNS1_3genE3ELNS1_11target_archE908ELNS1_3gpuE7ELNS1_3repE0EEENS1_30default_config_static_selectorELNS0_4arch9wavefront6targetE1EEEvT1_
    .private_segment_fixed_size: 0
    .sgpr_count:     6
    .sgpr_spill_count: 0
    .symbol:         _ZN7rocprim17ROCPRIM_400000_NS6detail17trampoline_kernelINS0_14default_configENS1_25partition_config_selectorILNS1_17partition_subalgoE0EtNS0_10empty_typeEbEEZZNS1_14partition_implILS5_0ELb0ES3_jN6thrust23THRUST_200600_302600_NS6detail15normal_iteratorINSA_10device_ptrItEEEEPS6_SG_NS0_5tupleIJSF_NSA_16discard_iteratorINSA_11use_defaultEEEEEENSH_IJSG_SG_EEES6_PlJ7is_evenItEEEE10hipError_tPvRmT3_T4_T5_T6_T7_T9_mT8_P12ihipStream_tbDpT10_ENKUlT_T0_E_clISt17integral_constantIbLb1EES18_IbLb0EEEEDaS14_S15_EUlS14_E_NS1_11comp_targetILNS1_3genE3ELNS1_11target_archE908ELNS1_3gpuE7ELNS1_3repE0EEENS1_30default_config_static_selectorELNS0_4arch9wavefront6targetE1EEEvT1_.kd
    .uniform_work_group_size: 1
    .uses_dynamic_stack: false
    .vgpr_count:     0
    .vgpr_spill_count: 0
    .wavefront_size: 64
  - .agpr_count:     0
    .args:
      - .offset:         0
        .size:           128
        .value_kind:     by_value
    .group_segment_fixed_size: 0
    .kernarg_segment_align: 8
    .kernarg_segment_size: 128
    .language:       OpenCL C
    .language_version:
      - 2
      - 0
    .max_flat_workgroup_size: 256
    .name:           _ZN7rocprim17ROCPRIM_400000_NS6detail17trampoline_kernelINS0_14default_configENS1_25partition_config_selectorILNS1_17partition_subalgoE0EtNS0_10empty_typeEbEEZZNS1_14partition_implILS5_0ELb0ES3_jN6thrust23THRUST_200600_302600_NS6detail15normal_iteratorINSA_10device_ptrItEEEEPS6_SG_NS0_5tupleIJSF_NSA_16discard_iteratorINSA_11use_defaultEEEEEENSH_IJSG_SG_EEES6_PlJ7is_evenItEEEE10hipError_tPvRmT3_T4_T5_T6_T7_T9_mT8_P12ihipStream_tbDpT10_ENKUlT_T0_E_clISt17integral_constantIbLb1EES18_IbLb0EEEEDaS14_S15_EUlS14_E_NS1_11comp_targetILNS1_3genE2ELNS1_11target_archE906ELNS1_3gpuE6ELNS1_3repE0EEENS1_30default_config_static_selectorELNS0_4arch9wavefront6targetE1EEEvT1_
    .private_segment_fixed_size: 0
    .sgpr_count:     6
    .sgpr_spill_count: 0
    .symbol:         _ZN7rocprim17ROCPRIM_400000_NS6detail17trampoline_kernelINS0_14default_configENS1_25partition_config_selectorILNS1_17partition_subalgoE0EtNS0_10empty_typeEbEEZZNS1_14partition_implILS5_0ELb0ES3_jN6thrust23THRUST_200600_302600_NS6detail15normal_iteratorINSA_10device_ptrItEEEEPS6_SG_NS0_5tupleIJSF_NSA_16discard_iteratorINSA_11use_defaultEEEEEENSH_IJSG_SG_EEES6_PlJ7is_evenItEEEE10hipError_tPvRmT3_T4_T5_T6_T7_T9_mT8_P12ihipStream_tbDpT10_ENKUlT_T0_E_clISt17integral_constantIbLb1EES18_IbLb0EEEEDaS14_S15_EUlS14_E_NS1_11comp_targetILNS1_3genE2ELNS1_11target_archE906ELNS1_3gpuE6ELNS1_3repE0EEENS1_30default_config_static_selectorELNS0_4arch9wavefront6targetE1EEEvT1_.kd
    .uniform_work_group_size: 1
    .uses_dynamic_stack: false
    .vgpr_count:     0
    .vgpr_spill_count: 0
    .wavefront_size: 64
  - .agpr_count:     0
    .args:
      - .offset:         0
        .size:           128
        .value_kind:     by_value
    .group_segment_fixed_size: 0
    .kernarg_segment_align: 8
    .kernarg_segment_size: 128
    .language:       OpenCL C
    .language_version:
      - 2
      - 0
    .max_flat_workgroup_size: 384
    .name:           _ZN7rocprim17ROCPRIM_400000_NS6detail17trampoline_kernelINS0_14default_configENS1_25partition_config_selectorILNS1_17partition_subalgoE0EtNS0_10empty_typeEbEEZZNS1_14partition_implILS5_0ELb0ES3_jN6thrust23THRUST_200600_302600_NS6detail15normal_iteratorINSA_10device_ptrItEEEEPS6_SG_NS0_5tupleIJSF_NSA_16discard_iteratorINSA_11use_defaultEEEEEENSH_IJSG_SG_EEES6_PlJ7is_evenItEEEE10hipError_tPvRmT3_T4_T5_T6_T7_T9_mT8_P12ihipStream_tbDpT10_ENKUlT_T0_E_clISt17integral_constantIbLb1EES18_IbLb0EEEEDaS14_S15_EUlS14_E_NS1_11comp_targetILNS1_3genE10ELNS1_11target_archE1200ELNS1_3gpuE4ELNS1_3repE0EEENS1_30default_config_static_selectorELNS0_4arch9wavefront6targetE1EEEvT1_
    .private_segment_fixed_size: 0
    .sgpr_count:     6
    .sgpr_spill_count: 0
    .symbol:         _ZN7rocprim17ROCPRIM_400000_NS6detail17trampoline_kernelINS0_14default_configENS1_25partition_config_selectorILNS1_17partition_subalgoE0EtNS0_10empty_typeEbEEZZNS1_14partition_implILS5_0ELb0ES3_jN6thrust23THRUST_200600_302600_NS6detail15normal_iteratorINSA_10device_ptrItEEEEPS6_SG_NS0_5tupleIJSF_NSA_16discard_iteratorINSA_11use_defaultEEEEEENSH_IJSG_SG_EEES6_PlJ7is_evenItEEEE10hipError_tPvRmT3_T4_T5_T6_T7_T9_mT8_P12ihipStream_tbDpT10_ENKUlT_T0_E_clISt17integral_constantIbLb1EES18_IbLb0EEEEDaS14_S15_EUlS14_E_NS1_11comp_targetILNS1_3genE10ELNS1_11target_archE1200ELNS1_3gpuE4ELNS1_3repE0EEENS1_30default_config_static_selectorELNS0_4arch9wavefront6targetE1EEEvT1_.kd
    .uniform_work_group_size: 1
    .uses_dynamic_stack: false
    .vgpr_count:     0
    .vgpr_spill_count: 0
    .wavefront_size: 64
  - .agpr_count:     0
    .args:
      - .offset:         0
        .size:           128
        .value_kind:     by_value
    .group_segment_fixed_size: 0
    .kernarg_segment_align: 8
    .kernarg_segment_size: 128
    .language:       OpenCL C
    .language_version:
      - 2
      - 0
    .max_flat_workgroup_size: 128
    .name:           _ZN7rocprim17ROCPRIM_400000_NS6detail17trampoline_kernelINS0_14default_configENS1_25partition_config_selectorILNS1_17partition_subalgoE0EtNS0_10empty_typeEbEEZZNS1_14partition_implILS5_0ELb0ES3_jN6thrust23THRUST_200600_302600_NS6detail15normal_iteratorINSA_10device_ptrItEEEEPS6_SG_NS0_5tupleIJSF_NSA_16discard_iteratorINSA_11use_defaultEEEEEENSH_IJSG_SG_EEES6_PlJ7is_evenItEEEE10hipError_tPvRmT3_T4_T5_T6_T7_T9_mT8_P12ihipStream_tbDpT10_ENKUlT_T0_E_clISt17integral_constantIbLb1EES18_IbLb0EEEEDaS14_S15_EUlS14_E_NS1_11comp_targetILNS1_3genE9ELNS1_11target_archE1100ELNS1_3gpuE3ELNS1_3repE0EEENS1_30default_config_static_selectorELNS0_4arch9wavefront6targetE1EEEvT1_
    .private_segment_fixed_size: 0
    .sgpr_count:     6
    .sgpr_spill_count: 0
    .symbol:         _ZN7rocprim17ROCPRIM_400000_NS6detail17trampoline_kernelINS0_14default_configENS1_25partition_config_selectorILNS1_17partition_subalgoE0EtNS0_10empty_typeEbEEZZNS1_14partition_implILS5_0ELb0ES3_jN6thrust23THRUST_200600_302600_NS6detail15normal_iteratorINSA_10device_ptrItEEEEPS6_SG_NS0_5tupleIJSF_NSA_16discard_iteratorINSA_11use_defaultEEEEEENSH_IJSG_SG_EEES6_PlJ7is_evenItEEEE10hipError_tPvRmT3_T4_T5_T6_T7_T9_mT8_P12ihipStream_tbDpT10_ENKUlT_T0_E_clISt17integral_constantIbLb1EES18_IbLb0EEEEDaS14_S15_EUlS14_E_NS1_11comp_targetILNS1_3genE9ELNS1_11target_archE1100ELNS1_3gpuE3ELNS1_3repE0EEENS1_30default_config_static_selectorELNS0_4arch9wavefront6targetE1EEEvT1_.kd
    .uniform_work_group_size: 1
    .uses_dynamic_stack: false
    .vgpr_count:     0
    .vgpr_spill_count: 0
    .wavefront_size: 64
  - .agpr_count:     0
    .args:
      - .offset:         0
        .size:           128
        .value_kind:     by_value
    .group_segment_fixed_size: 0
    .kernarg_segment_align: 8
    .kernarg_segment_size: 128
    .language:       OpenCL C
    .language_version:
      - 2
      - 0
    .max_flat_workgroup_size: 128
    .name:           _ZN7rocprim17ROCPRIM_400000_NS6detail17trampoline_kernelINS0_14default_configENS1_25partition_config_selectorILNS1_17partition_subalgoE0EtNS0_10empty_typeEbEEZZNS1_14partition_implILS5_0ELb0ES3_jN6thrust23THRUST_200600_302600_NS6detail15normal_iteratorINSA_10device_ptrItEEEEPS6_SG_NS0_5tupleIJSF_NSA_16discard_iteratorINSA_11use_defaultEEEEEENSH_IJSG_SG_EEES6_PlJ7is_evenItEEEE10hipError_tPvRmT3_T4_T5_T6_T7_T9_mT8_P12ihipStream_tbDpT10_ENKUlT_T0_E_clISt17integral_constantIbLb1EES18_IbLb0EEEEDaS14_S15_EUlS14_E_NS1_11comp_targetILNS1_3genE8ELNS1_11target_archE1030ELNS1_3gpuE2ELNS1_3repE0EEENS1_30default_config_static_selectorELNS0_4arch9wavefront6targetE1EEEvT1_
    .private_segment_fixed_size: 0
    .sgpr_count:     6
    .sgpr_spill_count: 0
    .symbol:         _ZN7rocprim17ROCPRIM_400000_NS6detail17trampoline_kernelINS0_14default_configENS1_25partition_config_selectorILNS1_17partition_subalgoE0EtNS0_10empty_typeEbEEZZNS1_14partition_implILS5_0ELb0ES3_jN6thrust23THRUST_200600_302600_NS6detail15normal_iteratorINSA_10device_ptrItEEEEPS6_SG_NS0_5tupleIJSF_NSA_16discard_iteratorINSA_11use_defaultEEEEEENSH_IJSG_SG_EEES6_PlJ7is_evenItEEEE10hipError_tPvRmT3_T4_T5_T6_T7_T9_mT8_P12ihipStream_tbDpT10_ENKUlT_T0_E_clISt17integral_constantIbLb1EES18_IbLb0EEEEDaS14_S15_EUlS14_E_NS1_11comp_targetILNS1_3genE8ELNS1_11target_archE1030ELNS1_3gpuE2ELNS1_3repE0EEENS1_30default_config_static_selectorELNS0_4arch9wavefront6targetE1EEEvT1_.kd
    .uniform_work_group_size: 1
    .uses_dynamic_stack: false
    .vgpr_count:     0
    .vgpr_spill_count: 0
    .wavefront_size: 64
  - .agpr_count:     0
    .args:
      - .offset:         0
        .size:           144
        .value_kind:     by_value
    .group_segment_fixed_size: 0
    .kernarg_segment_align: 8
    .kernarg_segment_size: 144
    .language:       OpenCL C
    .language_version:
      - 2
      - 0
    .max_flat_workgroup_size: 256
    .name:           _ZN7rocprim17ROCPRIM_400000_NS6detail17trampoline_kernelINS0_14default_configENS1_25partition_config_selectorILNS1_17partition_subalgoE0EtNS0_10empty_typeEbEEZZNS1_14partition_implILS5_0ELb0ES3_jN6thrust23THRUST_200600_302600_NS6detail15normal_iteratorINSA_10device_ptrItEEEEPS6_SG_NS0_5tupleIJSF_NSA_16discard_iteratorINSA_11use_defaultEEEEEENSH_IJSG_SG_EEES6_PlJ7is_evenItEEEE10hipError_tPvRmT3_T4_T5_T6_T7_T9_mT8_P12ihipStream_tbDpT10_ENKUlT_T0_E_clISt17integral_constantIbLb0EES18_IbLb1EEEEDaS14_S15_EUlS14_E_NS1_11comp_targetILNS1_3genE0ELNS1_11target_archE4294967295ELNS1_3gpuE0ELNS1_3repE0EEENS1_30default_config_static_selectorELNS0_4arch9wavefront6targetE1EEEvT1_
    .private_segment_fixed_size: 0
    .sgpr_count:     6
    .sgpr_spill_count: 0
    .symbol:         _ZN7rocprim17ROCPRIM_400000_NS6detail17trampoline_kernelINS0_14default_configENS1_25partition_config_selectorILNS1_17partition_subalgoE0EtNS0_10empty_typeEbEEZZNS1_14partition_implILS5_0ELb0ES3_jN6thrust23THRUST_200600_302600_NS6detail15normal_iteratorINSA_10device_ptrItEEEEPS6_SG_NS0_5tupleIJSF_NSA_16discard_iteratorINSA_11use_defaultEEEEEENSH_IJSG_SG_EEES6_PlJ7is_evenItEEEE10hipError_tPvRmT3_T4_T5_T6_T7_T9_mT8_P12ihipStream_tbDpT10_ENKUlT_T0_E_clISt17integral_constantIbLb0EES18_IbLb1EEEEDaS14_S15_EUlS14_E_NS1_11comp_targetILNS1_3genE0ELNS1_11target_archE4294967295ELNS1_3gpuE0ELNS1_3repE0EEENS1_30default_config_static_selectorELNS0_4arch9wavefront6targetE1EEEvT1_.kd
    .uniform_work_group_size: 1
    .uses_dynamic_stack: false
    .vgpr_count:     0
    .vgpr_spill_count: 0
    .wavefront_size: 64
  - .agpr_count:     0
    .args:
      - .offset:         0
        .size:           144
        .value_kind:     by_value
    .group_segment_fixed_size: 30728
    .kernarg_segment_align: 8
    .kernarg_segment_size: 144
    .language:       OpenCL C
    .language_version:
      - 2
      - 0
    .max_flat_workgroup_size: 512
    .name:           _ZN7rocprim17ROCPRIM_400000_NS6detail17trampoline_kernelINS0_14default_configENS1_25partition_config_selectorILNS1_17partition_subalgoE0EtNS0_10empty_typeEbEEZZNS1_14partition_implILS5_0ELb0ES3_jN6thrust23THRUST_200600_302600_NS6detail15normal_iteratorINSA_10device_ptrItEEEEPS6_SG_NS0_5tupleIJSF_NSA_16discard_iteratorINSA_11use_defaultEEEEEENSH_IJSG_SG_EEES6_PlJ7is_evenItEEEE10hipError_tPvRmT3_T4_T5_T6_T7_T9_mT8_P12ihipStream_tbDpT10_ENKUlT_T0_E_clISt17integral_constantIbLb0EES18_IbLb1EEEEDaS14_S15_EUlS14_E_NS1_11comp_targetILNS1_3genE5ELNS1_11target_archE942ELNS1_3gpuE9ELNS1_3repE0EEENS1_30default_config_static_selectorELNS0_4arch9wavefront6targetE1EEEvT1_
    .private_segment_fixed_size: 0
    .sgpr_count:     46
    .sgpr_spill_count: 0
    .symbol:         _ZN7rocprim17ROCPRIM_400000_NS6detail17trampoline_kernelINS0_14default_configENS1_25partition_config_selectorILNS1_17partition_subalgoE0EtNS0_10empty_typeEbEEZZNS1_14partition_implILS5_0ELb0ES3_jN6thrust23THRUST_200600_302600_NS6detail15normal_iteratorINSA_10device_ptrItEEEEPS6_SG_NS0_5tupleIJSF_NSA_16discard_iteratorINSA_11use_defaultEEEEEENSH_IJSG_SG_EEES6_PlJ7is_evenItEEEE10hipError_tPvRmT3_T4_T5_T6_T7_T9_mT8_P12ihipStream_tbDpT10_ENKUlT_T0_E_clISt17integral_constantIbLb0EES18_IbLb1EEEEDaS14_S15_EUlS14_E_NS1_11comp_targetILNS1_3genE5ELNS1_11target_archE942ELNS1_3gpuE9ELNS1_3repE0EEENS1_30default_config_static_selectorELNS0_4arch9wavefront6targetE1EEEvT1_.kd
    .uniform_work_group_size: 1
    .uses_dynamic_stack: false
    .vgpr_count:     122
    .vgpr_spill_count: 0
    .wavefront_size: 64
  - .agpr_count:     0
    .args:
      - .offset:         0
        .size:           144
        .value_kind:     by_value
    .group_segment_fixed_size: 0
    .kernarg_segment_align: 8
    .kernarg_segment_size: 144
    .language:       OpenCL C
    .language_version:
      - 2
      - 0
    .max_flat_workgroup_size: 256
    .name:           _ZN7rocprim17ROCPRIM_400000_NS6detail17trampoline_kernelINS0_14default_configENS1_25partition_config_selectorILNS1_17partition_subalgoE0EtNS0_10empty_typeEbEEZZNS1_14partition_implILS5_0ELb0ES3_jN6thrust23THRUST_200600_302600_NS6detail15normal_iteratorINSA_10device_ptrItEEEEPS6_SG_NS0_5tupleIJSF_NSA_16discard_iteratorINSA_11use_defaultEEEEEENSH_IJSG_SG_EEES6_PlJ7is_evenItEEEE10hipError_tPvRmT3_T4_T5_T6_T7_T9_mT8_P12ihipStream_tbDpT10_ENKUlT_T0_E_clISt17integral_constantIbLb0EES18_IbLb1EEEEDaS14_S15_EUlS14_E_NS1_11comp_targetILNS1_3genE4ELNS1_11target_archE910ELNS1_3gpuE8ELNS1_3repE0EEENS1_30default_config_static_selectorELNS0_4arch9wavefront6targetE1EEEvT1_
    .private_segment_fixed_size: 0
    .sgpr_count:     6
    .sgpr_spill_count: 0
    .symbol:         _ZN7rocprim17ROCPRIM_400000_NS6detail17trampoline_kernelINS0_14default_configENS1_25partition_config_selectorILNS1_17partition_subalgoE0EtNS0_10empty_typeEbEEZZNS1_14partition_implILS5_0ELb0ES3_jN6thrust23THRUST_200600_302600_NS6detail15normal_iteratorINSA_10device_ptrItEEEEPS6_SG_NS0_5tupleIJSF_NSA_16discard_iteratorINSA_11use_defaultEEEEEENSH_IJSG_SG_EEES6_PlJ7is_evenItEEEE10hipError_tPvRmT3_T4_T5_T6_T7_T9_mT8_P12ihipStream_tbDpT10_ENKUlT_T0_E_clISt17integral_constantIbLb0EES18_IbLb1EEEEDaS14_S15_EUlS14_E_NS1_11comp_targetILNS1_3genE4ELNS1_11target_archE910ELNS1_3gpuE8ELNS1_3repE0EEENS1_30default_config_static_selectorELNS0_4arch9wavefront6targetE1EEEvT1_.kd
    .uniform_work_group_size: 1
    .uses_dynamic_stack: false
    .vgpr_count:     0
    .vgpr_spill_count: 0
    .wavefront_size: 64
  - .agpr_count:     0
    .args:
      - .offset:         0
        .size:           144
        .value_kind:     by_value
    .group_segment_fixed_size: 0
    .kernarg_segment_align: 8
    .kernarg_segment_size: 144
    .language:       OpenCL C
    .language_version:
      - 2
      - 0
    .max_flat_workgroup_size: 256
    .name:           _ZN7rocprim17ROCPRIM_400000_NS6detail17trampoline_kernelINS0_14default_configENS1_25partition_config_selectorILNS1_17partition_subalgoE0EtNS0_10empty_typeEbEEZZNS1_14partition_implILS5_0ELb0ES3_jN6thrust23THRUST_200600_302600_NS6detail15normal_iteratorINSA_10device_ptrItEEEEPS6_SG_NS0_5tupleIJSF_NSA_16discard_iteratorINSA_11use_defaultEEEEEENSH_IJSG_SG_EEES6_PlJ7is_evenItEEEE10hipError_tPvRmT3_T4_T5_T6_T7_T9_mT8_P12ihipStream_tbDpT10_ENKUlT_T0_E_clISt17integral_constantIbLb0EES18_IbLb1EEEEDaS14_S15_EUlS14_E_NS1_11comp_targetILNS1_3genE3ELNS1_11target_archE908ELNS1_3gpuE7ELNS1_3repE0EEENS1_30default_config_static_selectorELNS0_4arch9wavefront6targetE1EEEvT1_
    .private_segment_fixed_size: 0
    .sgpr_count:     6
    .sgpr_spill_count: 0
    .symbol:         _ZN7rocprim17ROCPRIM_400000_NS6detail17trampoline_kernelINS0_14default_configENS1_25partition_config_selectorILNS1_17partition_subalgoE0EtNS0_10empty_typeEbEEZZNS1_14partition_implILS5_0ELb0ES3_jN6thrust23THRUST_200600_302600_NS6detail15normal_iteratorINSA_10device_ptrItEEEEPS6_SG_NS0_5tupleIJSF_NSA_16discard_iteratorINSA_11use_defaultEEEEEENSH_IJSG_SG_EEES6_PlJ7is_evenItEEEE10hipError_tPvRmT3_T4_T5_T6_T7_T9_mT8_P12ihipStream_tbDpT10_ENKUlT_T0_E_clISt17integral_constantIbLb0EES18_IbLb1EEEEDaS14_S15_EUlS14_E_NS1_11comp_targetILNS1_3genE3ELNS1_11target_archE908ELNS1_3gpuE7ELNS1_3repE0EEENS1_30default_config_static_selectorELNS0_4arch9wavefront6targetE1EEEvT1_.kd
    .uniform_work_group_size: 1
    .uses_dynamic_stack: false
    .vgpr_count:     0
    .vgpr_spill_count: 0
    .wavefront_size: 64
  - .agpr_count:     0
    .args:
      - .offset:         0
        .size:           144
        .value_kind:     by_value
    .group_segment_fixed_size: 0
    .kernarg_segment_align: 8
    .kernarg_segment_size: 144
    .language:       OpenCL C
    .language_version:
      - 2
      - 0
    .max_flat_workgroup_size: 256
    .name:           _ZN7rocprim17ROCPRIM_400000_NS6detail17trampoline_kernelINS0_14default_configENS1_25partition_config_selectorILNS1_17partition_subalgoE0EtNS0_10empty_typeEbEEZZNS1_14partition_implILS5_0ELb0ES3_jN6thrust23THRUST_200600_302600_NS6detail15normal_iteratorINSA_10device_ptrItEEEEPS6_SG_NS0_5tupleIJSF_NSA_16discard_iteratorINSA_11use_defaultEEEEEENSH_IJSG_SG_EEES6_PlJ7is_evenItEEEE10hipError_tPvRmT3_T4_T5_T6_T7_T9_mT8_P12ihipStream_tbDpT10_ENKUlT_T0_E_clISt17integral_constantIbLb0EES18_IbLb1EEEEDaS14_S15_EUlS14_E_NS1_11comp_targetILNS1_3genE2ELNS1_11target_archE906ELNS1_3gpuE6ELNS1_3repE0EEENS1_30default_config_static_selectorELNS0_4arch9wavefront6targetE1EEEvT1_
    .private_segment_fixed_size: 0
    .sgpr_count:     6
    .sgpr_spill_count: 0
    .symbol:         _ZN7rocprim17ROCPRIM_400000_NS6detail17trampoline_kernelINS0_14default_configENS1_25partition_config_selectorILNS1_17partition_subalgoE0EtNS0_10empty_typeEbEEZZNS1_14partition_implILS5_0ELb0ES3_jN6thrust23THRUST_200600_302600_NS6detail15normal_iteratorINSA_10device_ptrItEEEEPS6_SG_NS0_5tupleIJSF_NSA_16discard_iteratorINSA_11use_defaultEEEEEENSH_IJSG_SG_EEES6_PlJ7is_evenItEEEE10hipError_tPvRmT3_T4_T5_T6_T7_T9_mT8_P12ihipStream_tbDpT10_ENKUlT_T0_E_clISt17integral_constantIbLb0EES18_IbLb1EEEEDaS14_S15_EUlS14_E_NS1_11comp_targetILNS1_3genE2ELNS1_11target_archE906ELNS1_3gpuE6ELNS1_3repE0EEENS1_30default_config_static_selectorELNS0_4arch9wavefront6targetE1EEEvT1_.kd
    .uniform_work_group_size: 1
    .uses_dynamic_stack: false
    .vgpr_count:     0
    .vgpr_spill_count: 0
    .wavefront_size: 64
  - .agpr_count:     0
    .args:
      - .offset:         0
        .size:           144
        .value_kind:     by_value
    .group_segment_fixed_size: 0
    .kernarg_segment_align: 8
    .kernarg_segment_size: 144
    .language:       OpenCL C
    .language_version:
      - 2
      - 0
    .max_flat_workgroup_size: 384
    .name:           _ZN7rocprim17ROCPRIM_400000_NS6detail17trampoline_kernelINS0_14default_configENS1_25partition_config_selectorILNS1_17partition_subalgoE0EtNS0_10empty_typeEbEEZZNS1_14partition_implILS5_0ELb0ES3_jN6thrust23THRUST_200600_302600_NS6detail15normal_iteratorINSA_10device_ptrItEEEEPS6_SG_NS0_5tupleIJSF_NSA_16discard_iteratorINSA_11use_defaultEEEEEENSH_IJSG_SG_EEES6_PlJ7is_evenItEEEE10hipError_tPvRmT3_T4_T5_T6_T7_T9_mT8_P12ihipStream_tbDpT10_ENKUlT_T0_E_clISt17integral_constantIbLb0EES18_IbLb1EEEEDaS14_S15_EUlS14_E_NS1_11comp_targetILNS1_3genE10ELNS1_11target_archE1200ELNS1_3gpuE4ELNS1_3repE0EEENS1_30default_config_static_selectorELNS0_4arch9wavefront6targetE1EEEvT1_
    .private_segment_fixed_size: 0
    .sgpr_count:     6
    .sgpr_spill_count: 0
    .symbol:         _ZN7rocprim17ROCPRIM_400000_NS6detail17trampoline_kernelINS0_14default_configENS1_25partition_config_selectorILNS1_17partition_subalgoE0EtNS0_10empty_typeEbEEZZNS1_14partition_implILS5_0ELb0ES3_jN6thrust23THRUST_200600_302600_NS6detail15normal_iteratorINSA_10device_ptrItEEEEPS6_SG_NS0_5tupleIJSF_NSA_16discard_iteratorINSA_11use_defaultEEEEEENSH_IJSG_SG_EEES6_PlJ7is_evenItEEEE10hipError_tPvRmT3_T4_T5_T6_T7_T9_mT8_P12ihipStream_tbDpT10_ENKUlT_T0_E_clISt17integral_constantIbLb0EES18_IbLb1EEEEDaS14_S15_EUlS14_E_NS1_11comp_targetILNS1_3genE10ELNS1_11target_archE1200ELNS1_3gpuE4ELNS1_3repE0EEENS1_30default_config_static_selectorELNS0_4arch9wavefront6targetE1EEEvT1_.kd
    .uniform_work_group_size: 1
    .uses_dynamic_stack: false
    .vgpr_count:     0
    .vgpr_spill_count: 0
    .wavefront_size: 64
  - .agpr_count:     0
    .args:
      - .offset:         0
        .size:           144
        .value_kind:     by_value
    .group_segment_fixed_size: 0
    .kernarg_segment_align: 8
    .kernarg_segment_size: 144
    .language:       OpenCL C
    .language_version:
      - 2
      - 0
    .max_flat_workgroup_size: 128
    .name:           _ZN7rocprim17ROCPRIM_400000_NS6detail17trampoline_kernelINS0_14default_configENS1_25partition_config_selectorILNS1_17partition_subalgoE0EtNS0_10empty_typeEbEEZZNS1_14partition_implILS5_0ELb0ES3_jN6thrust23THRUST_200600_302600_NS6detail15normal_iteratorINSA_10device_ptrItEEEEPS6_SG_NS0_5tupleIJSF_NSA_16discard_iteratorINSA_11use_defaultEEEEEENSH_IJSG_SG_EEES6_PlJ7is_evenItEEEE10hipError_tPvRmT3_T4_T5_T6_T7_T9_mT8_P12ihipStream_tbDpT10_ENKUlT_T0_E_clISt17integral_constantIbLb0EES18_IbLb1EEEEDaS14_S15_EUlS14_E_NS1_11comp_targetILNS1_3genE9ELNS1_11target_archE1100ELNS1_3gpuE3ELNS1_3repE0EEENS1_30default_config_static_selectorELNS0_4arch9wavefront6targetE1EEEvT1_
    .private_segment_fixed_size: 0
    .sgpr_count:     6
    .sgpr_spill_count: 0
    .symbol:         _ZN7rocprim17ROCPRIM_400000_NS6detail17trampoline_kernelINS0_14default_configENS1_25partition_config_selectorILNS1_17partition_subalgoE0EtNS0_10empty_typeEbEEZZNS1_14partition_implILS5_0ELb0ES3_jN6thrust23THRUST_200600_302600_NS6detail15normal_iteratorINSA_10device_ptrItEEEEPS6_SG_NS0_5tupleIJSF_NSA_16discard_iteratorINSA_11use_defaultEEEEEENSH_IJSG_SG_EEES6_PlJ7is_evenItEEEE10hipError_tPvRmT3_T4_T5_T6_T7_T9_mT8_P12ihipStream_tbDpT10_ENKUlT_T0_E_clISt17integral_constantIbLb0EES18_IbLb1EEEEDaS14_S15_EUlS14_E_NS1_11comp_targetILNS1_3genE9ELNS1_11target_archE1100ELNS1_3gpuE3ELNS1_3repE0EEENS1_30default_config_static_selectorELNS0_4arch9wavefront6targetE1EEEvT1_.kd
    .uniform_work_group_size: 1
    .uses_dynamic_stack: false
    .vgpr_count:     0
    .vgpr_spill_count: 0
    .wavefront_size: 64
  - .agpr_count:     0
    .args:
      - .offset:         0
        .size:           144
        .value_kind:     by_value
    .group_segment_fixed_size: 0
    .kernarg_segment_align: 8
    .kernarg_segment_size: 144
    .language:       OpenCL C
    .language_version:
      - 2
      - 0
    .max_flat_workgroup_size: 128
    .name:           _ZN7rocprim17ROCPRIM_400000_NS6detail17trampoline_kernelINS0_14default_configENS1_25partition_config_selectorILNS1_17partition_subalgoE0EtNS0_10empty_typeEbEEZZNS1_14partition_implILS5_0ELb0ES3_jN6thrust23THRUST_200600_302600_NS6detail15normal_iteratorINSA_10device_ptrItEEEEPS6_SG_NS0_5tupleIJSF_NSA_16discard_iteratorINSA_11use_defaultEEEEEENSH_IJSG_SG_EEES6_PlJ7is_evenItEEEE10hipError_tPvRmT3_T4_T5_T6_T7_T9_mT8_P12ihipStream_tbDpT10_ENKUlT_T0_E_clISt17integral_constantIbLb0EES18_IbLb1EEEEDaS14_S15_EUlS14_E_NS1_11comp_targetILNS1_3genE8ELNS1_11target_archE1030ELNS1_3gpuE2ELNS1_3repE0EEENS1_30default_config_static_selectorELNS0_4arch9wavefront6targetE1EEEvT1_
    .private_segment_fixed_size: 0
    .sgpr_count:     6
    .sgpr_spill_count: 0
    .symbol:         _ZN7rocprim17ROCPRIM_400000_NS6detail17trampoline_kernelINS0_14default_configENS1_25partition_config_selectorILNS1_17partition_subalgoE0EtNS0_10empty_typeEbEEZZNS1_14partition_implILS5_0ELb0ES3_jN6thrust23THRUST_200600_302600_NS6detail15normal_iteratorINSA_10device_ptrItEEEEPS6_SG_NS0_5tupleIJSF_NSA_16discard_iteratorINSA_11use_defaultEEEEEENSH_IJSG_SG_EEES6_PlJ7is_evenItEEEE10hipError_tPvRmT3_T4_T5_T6_T7_T9_mT8_P12ihipStream_tbDpT10_ENKUlT_T0_E_clISt17integral_constantIbLb0EES18_IbLb1EEEEDaS14_S15_EUlS14_E_NS1_11comp_targetILNS1_3genE8ELNS1_11target_archE1030ELNS1_3gpuE2ELNS1_3repE0EEENS1_30default_config_static_selectorELNS0_4arch9wavefront6targetE1EEEvT1_.kd
    .uniform_work_group_size: 1
    .uses_dynamic_stack: false
    .vgpr_count:     0
    .vgpr_spill_count: 0
    .wavefront_size: 64
  - .agpr_count:     0
    .args:
      - .offset:         0
        .size:           128
        .value_kind:     by_value
    .group_segment_fixed_size: 0
    .kernarg_segment_align: 8
    .kernarg_segment_size: 128
    .language:       OpenCL C
    .language_version:
      - 2
      - 0
    .max_flat_workgroup_size: 256
    .name:           _ZN7rocprim17ROCPRIM_400000_NS6detail17trampoline_kernelINS0_14default_configENS1_25partition_config_selectorILNS1_17partition_subalgoE0EtNS0_10empty_typeEbEEZZNS1_14partition_implILS5_0ELb0ES3_jN6thrust23THRUST_200600_302600_NS6detail15normal_iteratorINSA_10device_ptrItEEEEPS6_SG_NS0_5tupleIJNSA_16discard_iteratorINSA_11use_defaultEEESF_EEENSH_IJSG_SG_EEES6_PlJ7is_evenItEEEE10hipError_tPvRmT3_T4_T5_T6_T7_T9_mT8_P12ihipStream_tbDpT10_ENKUlT_T0_E_clISt17integral_constantIbLb0EES19_EEDaS14_S15_EUlS14_E_NS1_11comp_targetILNS1_3genE0ELNS1_11target_archE4294967295ELNS1_3gpuE0ELNS1_3repE0EEENS1_30default_config_static_selectorELNS0_4arch9wavefront6targetE1EEEvT1_
    .private_segment_fixed_size: 0
    .sgpr_count:     6
    .sgpr_spill_count: 0
    .symbol:         _ZN7rocprim17ROCPRIM_400000_NS6detail17trampoline_kernelINS0_14default_configENS1_25partition_config_selectorILNS1_17partition_subalgoE0EtNS0_10empty_typeEbEEZZNS1_14partition_implILS5_0ELb0ES3_jN6thrust23THRUST_200600_302600_NS6detail15normal_iteratorINSA_10device_ptrItEEEEPS6_SG_NS0_5tupleIJNSA_16discard_iteratorINSA_11use_defaultEEESF_EEENSH_IJSG_SG_EEES6_PlJ7is_evenItEEEE10hipError_tPvRmT3_T4_T5_T6_T7_T9_mT8_P12ihipStream_tbDpT10_ENKUlT_T0_E_clISt17integral_constantIbLb0EES19_EEDaS14_S15_EUlS14_E_NS1_11comp_targetILNS1_3genE0ELNS1_11target_archE4294967295ELNS1_3gpuE0ELNS1_3repE0EEENS1_30default_config_static_selectorELNS0_4arch9wavefront6targetE1EEEvT1_.kd
    .uniform_work_group_size: 1
    .uses_dynamic_stack: false
    .vgpr_count:     0
    .vgpr_spill_count: 0
    .wavefront_size: 64
  - .agpr_count:     0
    .args:
      - .offset:         0
        .size:           128
        .value_kind:     by_value
    .group_segment_fixed_size: 30728
    .kernarg_segment_align: 8
    .kernarg_segment_size: 128
    .language:       OpenCL C
    .language_version:
      - 2
      - 0
    .max_flat_workgroup_size: 512
    .name:           _ZN7rocprim17ROCPRIM_400000_NS6detail17trampoline_kernelINS0_14default_configENS1_25partition_config_selectorILNS1_17partition_subalgoE0EtNS0_10empty_typeEbEEZZNS1_14partition_implILS5_0ELb0ES3_jN6thrust23THRUST_200600_302600_NS6detail15normal_iteratorINSA_10device_ptrItEEEEPS6_SG_NS0_5tupleIJNSA_16discard_iteratorINSA_11use_defaultEEESF_EEENSH_IJSG_SG_EEES6_PlJ7is_evenItEEEE10hipError_tPvRmT3_T4_T5_T6_T7_T9_mT8_P12ihipStream_tbDpT10_ENKUlT_T0_E_clISt17integral_constantIbLb0EES19_EEDaS14_S15_EUlS14_E_NS1_11comp_targetILNS1_3genE5ELNS1_11target_archE942ELNS1_3gpuE9ELNS1_3repE0EEENS1_30default_config_static_selectorELNS0_4arch9wavefront6targetE1EEEvT1_
    .private_segment_fixed_size: 0
    .sgpr_count:     50
    .sgpr_spill_count: 0
    .symbol:         _ZN7rocprim17ROCPRIM_400000_NS6detail17trampoline_kernelINS0_14default_configENS1_25partition_config_selectorILNS1_17partition_subalgoE0EtNS0_10empty_typeEbEEZZNS1_14partition_implILS5_0ELb0ES3_jN6thrust23THRUST_200600_302600_NS6detail15normal_iteratorINSA_10device_ptrItEEEEPS6_SG_NS0_5tupleIJNSA_16discard_iteratorINSA_11use_defaultEEESF_EEENSH_IJSG_SG_EEES6_PlJ7is_evenItEEEE10hipError_tPvRmT3_T4_T5_T6_T7_T9_mT8_P12ihipStream_tbDpT10_ENKUlT_T0_E_clISt17integral_constantIbLb0EES19_EEDaS14_S15_EUlS14_E_NS1_11comp_targetILNS1_3genE5ELNS1_11target_archE942ELNS1_3gpuE9ELNS1_3repE0EEENS1_30default_config_static_selectorELNS0_4arch9wavefront6targetE1EEEvT1_.kd
    .uniform_work_group_size: 1
    .uses_dynamic_stack: false
    .vgpr_count:     120
    .vgpr_spill_count: 0
    .wavefront_size: 64
  - .agpr_count:     0
    .args:
      - .offset:         0
        .size:           128
        .value_kind:     by_value
    .group_segment_fixed_size: 0
    .kernarg_segment_align: 8
    .kernarg_segment_size: 128
    .language:       OpenCL C
    .language_version:
      - 2
      - 0
    .max_flat_workgroup_size: 256
    .name:           _ZN7rocprim17ROCPRIM_400000_NS6detail17trampoline_kernelINS0_14default_configENS1_25partition_config_selectorILNS1_17partition_subalgoE0EtNS0_10empty_typeEbEEZZNS1_14partition_implILS5_0ELb0ES3_jN6thrust23THRUST_200600_302600_NS6detail15normal_iteratorINSA_10device_ptrItEEEEPS6_SG_NS0_5tupleIJNSA_16discard_iteratorINSA_11use_defaultEEESF_EEENSH_IJSG_SG_EEES6_PlJ7is_evenItEEEE10hipError_tPvRmT3_T4_T5_T6_T7_T9_mT8_P12ihipStream_tbDpT10_ENKUlT_T0_E_clISt17integral_constantIbLb0EES19_EEDaS14_S15_EUlS14_E_NS1_11comp_targetILNS1_3genE4ELNS1_11target_archE910ELNS1_3gpuE8ELNS1_3repE0EEENS1_30default_config_static_selectorELNS0_4arch9wavefront6targetE1EEEvT1_
    .private_segment_fixed_size: 0
    .sgpr_count:     6
    .sgpr_spill_count: 0
    .symbol:         _ZN7rocprim17ROCPRIM_400000_NS6detail17trampoline_kernelINS0_14default_configENS1_25partition_config_selectorILNS1_17partition_subalgoE0EtNS0_10empty_typeEbEEZZNS1_14partition_implILS5_0ELb0ES3_jN6thrust23THRUST_200600_302600_NS6detail15normal_iteratorINSA_10device_ptrItEEEEPS6_SG_NS0_5tupleIJNSA_16discard_iteratorINSA_11use_defaultEEESF_EEENSH_IJSG_SG_EEES6_PlJ7is_evenItEEEE10hipError_tPvRmT3_T4_T5_T6_T7_T9_mT8_P12ihipStream_tbDpT10_ENKUlT_T0_E_clISt17integral_constantIbLb0EES19_EEDaS14_S15_EUlS14_E_NS1_11comp_targetILNS1_3genE4ELNS1_11target_archE910ELNS1_3gpuE8ELNS1_3repE0EEENS1_30default_config_static_selectorELNS0_4arch9wavefront6targetE1EEEvT1_.kd
    .uniform_work_group_size: 1
    .uses_dynamic_stack: false
    .vgpr_count:     0
    .vgpr_spill_count: 0
    .wavefront_size: 64
  - .agpr_count:     0
    .args:
      - .offset:         0
        .size:           128
        .value_kind:     by_value
    .group_segment_fixed_size: 0
    .kernarg_segment_align: 8
    .kernarg_segment_size: 128
    .language:       OpenCL C
    .language_version:
      - 2
      - 0
    .max_flat_workgroup_size: 256
    .name:           _ZN7rocprim17ROCPRIM_400000_NS6detail17trampoline_kernelINS0_14default_configENS1_25partition_config_selectorILNS1_17partition_subalgoE0EtNS0_10empty_typeEbEEZZNS1_14partition_implILS5_0ELb0ES3_jN6thrust23THRUST_200600_302600_NS6detail15normal_iteratorINSA_10device_ptrItEEEEPS6_SG_NS0_5tupleIJNSA_16discard_iteratorINSA_11use_defaultEEESF_EEENSH_IJSG_SG_EEES6_PlJ7is_evenItEEEE10hipError_tPvRmT3_T4_T5_T6_T7_T9_mT8_P12ihipStream_tbDpT10_ENKUlT_T0_E_clISt17integral_constantIbLb0EES19_EEDaS14_S15_EUlS14_E_NS1_11comp_targetILNS1_3genE3ELNS1_11target_archE908ELNS1_3gpuE7ELNS1_3repE0EEENS1_30default_config_static_selectorELNS0_4arch9wavefront6targetE1EEEvT1_
    .private_segment_fixed_size: 0
    .sgpr_count:     6
    .sgpr_spill_count: 0
    .symbol:         _ZN7rocprim17ROCPRIM_400000_NS6detail17trampoline_kernelINS0_14default_configENS1_25partition_config_selectorILNS1_17partition_subalgoE0EtNS0_10empty_typeEbEEZZNS1_14partition_implILS5_0ELb0ES3_jN6thrust23THRUST_200600_302600_NS6detail15normal_iteratorINSA_10device_ptrItEEEEPS6_SG_NS0_5tupleIJNSA_16discard_iteratorINSA_11use_defaultEEESF_EEENSH_IJSG_SG_EEES6_PlJ7is_evenItEEEE10hipError_tPvRmT3_T4_T5_T6_T7_T9_mT8_P12ihipStream_tbDpT10_ENKUlT_T0_E_clISt17integral_constantIbLb0EES19_EEDaS14_S15_EUlS14_E_NS1_11comp_targetILNS1_3genE3ELNS1_11target_archE908ELNS1_3gpuE7ELNS1_3repE0EEENS1_30default_config_static_selectorELNS0_4arch9wavefront6targetE1EEEvT1_.kd
    .uniform_work_group_size: 1
    .uses_dynamic_stack: false
    .vgpr_count:     0
    .vgpr_spill_count: 0
    .wavefront_size: 64
  - .agpr_count:     0
    .args:
      - .offset:         0
        .size:           128
        .value_kind:     by_value
    .group_segment_fixed_size: 0
    .kernarg_segment_align: 8
    .kernarg_segment_size: 128
    .language:       OpenCL C
    .language_version:
      - 2
      - 0
    .max_flat_workgroup_size: 256
    .name:           _ZN7rocprim17ROCPRIM_400000_NS6detail17trampoline_kernelINS0_14default_configENS1_25partition_config_selectorILNS1_17partition_subalgoE0EtNS0_10empty_typeEbEEZZNS1_14partition_implILS5_0ELb0ES3_jN6thrust23THRUST_200600_302600_NS6detail15normal_iteratorINSA_10device_ptrItEEEEPS6_SG_NS0_5tupleIJNSA_16discard_iteratorINSA_11use_defaultEEESF_EEENSH_IJSG_SG_EEES6_PlJ7is_evenItEEEE10hipError_tPvRmT3_T4_T5_T6_T7_T9_mT8_P12ihipStream_tbDpT10_ENKUlT_T0_E_clISt17integral_constantIbLb0EES19_EEDaS14_S15_EUlS14_E_NS1_11comp_targetILNS1_3genE2ELNS1_11target_archE906ELNS1_3gpuE6ELNS1_3repE0EEENS1_30default_config_static_selectorELNS0_4arch9wavefront6targetE1EEEvT1_
    .private_segment_fixed_size: 0
    .sgpr_count:     6
    .sgpr_spill_count: 0
    .symbol:         _ZN7rocprim17ROCPRIM_400000_NS6detail17trampoline_kernelINS0_14default_configENS1_25partition_config_selectorILNS1_17partition_subalgoE0EtNS0_10empty_typeEbEEZZNS1_14partition_implILS5_0ELb0ES3_jN6thrust23THRUST_200600_302600_NS6detail15normal_iteratorINSA_10device_ptrItEEEEPS6_SG_NS0_5tupleIJNSA_16discard_iteratorINSA_11use_defaultEEESF_EEENSH_IJSG_SG_EEES6_PlJ7is_evenItEEEE10hipError_tPvRmT3_T4_T5_T6_T7_T9_mT8_P12ihipStream_tbDpT10_ENKUlT_T0_E_clISt17integral_constantIbLb0EES19_EEDaS14_S15_EUlS14_E_NS1_11comp_targetILNS1_3genE2ELNS1_11target_archE906ELNS1_3gpuE6ELNS1_3repE0EEENS1_30default_config_static_selectorELNS0_4arch9wavefront6targetE1EEEvT1_.kd
    .uniform_work_group_size: 1
    .uses_dynamic_stack: false
    .vgpr_count:     0
    .vgpr_spill_count: 0
    .wavefront_size: 64
  - .agpr_count:     0
    .args:
      - .offset:         0
        .size:           128
        .value_kind:     by_value
    .group_segment_fixed_size: 0
    .kernarg_segment_align: 8
    .kernarg_segment_size: 128
    .language:       OpenCL C
    .language_version:
      - 2
      - 0
    .max_flat_workgroup_size: 384
    .name:           _ZN7rocprim17ROCPRIM_400000_NS6detail17trampoline_kernelINS0_14default_configENS1_25partition_config_selectorILNS1_17partition_subalgoE0EtNS0_10empty_typeEbEEZZNS1_14partition_implILS5_0ELb0ES3_jN6thrust23THRUST_200600_302600_NS6detail15normal_iteratorINSA_10device_ptrItEEEEPS6_SG_NS0_5tupleIJNSA_16discard_iteratorINSA_11use_defaultEEESF_EEENSH_IJSG_SG_EEES6_PlJ7is_evenItEEEE10hipError_tPvRmT3_T4_T5_T6_T7_T9_mT8_P12ihipStream_tbDpT10_ENKUlT_T0_E_clISt17integral_constantIbLb0EES19_EEDaS14_S15_EUlS14_E_NS1_11comp_targetILNS1_3genE10ELNS1_11target_archE1200ELNS1_3gpuE4ELNS1_3repE0EEENS1_30default_config_static_selectorELNS0_4arch9wavefront6targetE1EEEvT1_
    .private_segment_fixed_size: 0
    .sgpr_count:     6
    .sgpr_spill_count: 0
    .symbol:         _ZN7rocprim17ROCPRIM_400000_NS6detail17trampoline_kernelINS0_14default_configENS1_25partition_config_selectorILNS1_17partition_subalgoE0EtNS0_10empty_typeEbEEZZNS1_14partition_implILS5_0ELb0ES3_jN6thrust23THRUST_200600_302600_NS6detail15normal_iteratorINSA_10device_ptrItEEEEPS6_SG_NS0_5tupleIJNSA_16discard_iteratorINSA_11use_defaultEEESF_EEENSH_IJSG_SG_EEES6_PlJ7is_evenItEEEE10hipError_tPvRmT3_T4_T5_T6_T7_T9_mT8_P12ihipStream_tbDpT10_ENKUlT_T0_E_clISt17integral_constantIbLb0EES19_EEDaS14_S15_EUlS14_E_NS1_11comp_targetILNS1_3genE10ELNS1_11target_archE1200ELNS1_3gpuE4ELNS1_3repE0EEENS1_30default_config_static_selectorELNS0_4arch9wavefront6targetE1EEEvT1_.kd
    .uniform_work_group_size: 1
    .uses_dynamic_stack: false
    .vgpr_count:     0
    .vgpr_spill_count: 0
    .wavefront_size: 64
  - .agpr_count:     0
    .args:
      - .offset:         0
        .size:           128
        .value_kind:     by_value
    .group_segment_fixed_size: 0
    .kernarg_segment_align: 8
    .kernarg_segment_size: 128
    .language:       OpenCL C
    .language_version:
      - 2
      - 0
    .max_flat_workgroup_size: 128
    .name:           _ZN7rocprim17ROCPRIM_400000_NS6detail17trampoline_kernelINS0_14default_configENS1_25partition_config_selectorILNS1_17partition_subalgoE0EtNS0_10empty_typeEbEEZZNS1_14partition_implILS5_0ELb0ES3_jN6thrust23THRUST_200600_302600_NS6detail15normal_iteratorINSA_10device_ptrItEEEEPS6_SG_NS0_5tupleIJNSA_16discard_iteratorINSA_11use_defaultEEESF_EEENSH_IJSG_SG_EEES6_PlJ7is_evenItEEEE10hipError_tPvRmT3_T4_T5_T6_T7_T9_mT8_P12ihipStream_tbDpT10_ENKUlT_T0_E_clISt17integral_constantIbLb0EES19_EEDaS14_S15_EUlS14_E_NS1_11comp_targetILNS1_3genE9ELNS1_11target_archE1100ELNS1_3gpuE3ELNS1_3repE0EEENS1_30default_config_static_selectorELNS0_4arch9wavefront6targetE1EEEvT1_
    .private_segment_fixed_size: 0
    .sgpr_count:     6
    .sgpr_spill_count: 0
    .symbol:         _ZN7rocprim17ROCPRIM_400000_NS6detail17trampoline_kernelINS0_14default_configENS1_25partition_config_selectorILNS1_17partition_subalgoE0EtNS0_10empty_typeEbEEZZNS1_14partition_implILS5_0ELb0ES3_jN6thrust23THRUST_200600_302600_NS6detail15normal_iteratorINSA_10device_ptrItEEEEPS6_SG_NS0_5tupleIJNSA_16discard_iteratorINSA_11use_defaultEEESF_EEENSH_IJSG_SG_EEES6_PlJ7is_evenItEEEE10hipError_tPvRmT3_T4_T5_T6_T7_T9_mT8_P12ihipStream_tbDpT10_ENKUlT_T0_E_clISt17integral_constantIbLb0EES19_EEDaS14_S15_EUlS14_E_NS1_11comp_targetILNS1_3genE9ELNS1_11target_archE1100ELNS1_3gpuE3ELNS1_3repE0EEENS1_30default_config_static_selectorELNS0_4arch9wavefront6targetE1EEEvT1_.kd
    .uniform_work_group_size: 1
    .uses_dynamic_stack: false
    .vgpr_count:     0
    .vgpr_spill_count: 0
    .wavefront_size: 64
  - .agpr_count:     0
    .args:
      - .offset:         0
        .size:           128
        .value_kind:     by_value
    .group_segment_fixed_size: 0
    .kernarg_segment_align: 8
    .kernarg_segment_size: 128
    .language:       OpenCL C
    .language_version:
      - 2
      - 0
    .max_flat_workgroup_size: 128
    .name:           _ZN7rocprim17ROCPRIM_400000_NS6detail17trampoline_kernelINS0_14default_configENS1_25partition_config_selectorILNS1_17partition_subalgoE0EtNS0_10empty_typeEbEEZZNS1_14partition_implILS5_0ELb0ES3_jN6thrust23THRUST_200600_302600_NS6detail15normal_iteratorINSA_10device_ptrItEEEEPS6_SG_NS0_5tupleIJNSA_16discard_iteratorINSA_11use_defaultEEESF_EEENSH_IJSG_SG_EEES6_PlJ7is_evenItEEEE10hipError_tPvRmT3_T4_T5_T6_T7_T9_mT8_P12ihipStream_tbDpT10_ENKUlT_T0_E_clISt17integral_constantIbLb0EES19_EEDaS14_S15_EUlS14_E_NS1_11comp_targetILNS1_3genE8ELNS1_11target_archE1030ELNS1_3gpuE2ELNS1_3repE0EEENS1_30default_config_static_selectorELNS0_4arch9wavefront6targetE1EEEvT1_
    .private_segment_fixed_size: 0
    .sgpr_count:     6
    .sgpr_spill_count: 0
    .symbol:         _ZN7rocprim17ROCPRIM_400000_NS6detail17trampoline_kernelINS0_14default_configENS1_25partition_config_selectorILNS1_17partition_subalgoE0EtNS0_10empty_typeEbEEZZNS1_14partition_implILS5_0ELb0ES3_jN6thrust23THRUST_200600_302600_NS6detail15normal_iteratorINSA_10device_ptrItEEEEPS6_SG_NS0_5tupleIJNSA_16discard_iteratorINSA_11use_defaultEEESF_EEENSH_IJSG_SG_EEES6_PlJ7is_evenItEEEE10hipError_tPvRmT3_T4_T5_T6_T7_T9_mT8_P12ihipStream_tbDpT10_ENKUlT_T0_E_clISt17integral_constantIbLb0EES19_EEDaS14_S15_EUlS14_E_NS1_11comp_targetILNS1_3genE8ELNS1_11target_archE1030ELNS1_3gpuE2ELNS1_3repE0EEENS1_30default_config_static_selectorELNS0_4arch9wavefront6targetE1EEEvT1_.kd
    .uniform_work_group_size: 1
    .uses_dynamic_stack: false
    .vgpr_count:     0
    .vgpr_spill_count: 0
    .wavefront_size: 64
  - .agpr_count:     0
    .args:
      - .offset:         0
        .size:           144
        .value_kind:     by_value
    .group_segment_fixed_size: 0
    .kernarg_segment_align: 8
    .kernarg_segment_size: 144
    .language:       OpenCL C
    .language_version:
      - 2
      - 0
    .max_flat_workgroup_size: 256
    .name:           _ZN7rocprim17ROCPRIM_400000_NS6detail17trampoline_kernelINS0_14default_configENS1_25partition_config_selectorILNS1_17partition_subalgoE0EtNS0_10empty_typeEbEEZZNS1_14partition_implILS5_0ELb0ES3_jN6thrust23THRUST_200600_302600_NS6detail15normal_iteratorINSA_10device_ptrItEEEEPS6_SG_NS0_5tupleIJNSA_16discard_iteratorINSA_11use_defaultEEESF_EEENSH_IJSG_SG_EEES6_PlJ7is_evenItEEEE10hipError_tPvRmT3_T4_T5_T6_T7_T9_mT8_P12ihipStream_tbDpT10_ENKUlT_T0_E_clISt17integral_constantIbLb1EES19_EEDaS14_S15_EUlS14_E_NS1_11comp_targetILNS1_3genE0ELNS1_11target_archE4294967295ELNS1_3gpuE0ELNS1_3repE0EEENS1_30default_config_static_selectorELNS0_4arch9wavefront6targetE1EEEvT1_
    .private_segment_fixed_size: 0
    .sgpr_count:     6
    .sgpr_spill_count: 0
    .symbol:         _ZN7rocprim17ROCPRIM_400000_NS6detail17trampoline_kernelINS0_14default_configENS1_25partition_config_selectorILNS1_17partition_subalgoE0EtNS0_10empty_typeEbEEZZNS1_14partition_implILS5_0ELb0ES3_jN6thrust23THRUST_200600_302600_NS6detail15normal_iteratorINSA_10device_ptrItEEEEPS6_SG_NS0_5tupleIJNSA_16discard_iteratorINSA_11use_defaultEEESF_EEENSH_IJSG_SG_EEES6_PlJ7is_evenItEEEE10hipError_tPvRmT3_T4_T5_T6_T7_T9_mT8_P12ihipStream_tbDpT10_ENKUlT_T0_E_clISt17integral_constantIbLb1EES19_EEDaS14_S15_EUlS14_E_NS1_11comp_targetILNS1_3genE0ELNS1_11target_archE4294967295ELNS1_3gpuE0ELNS1_3repE0EEENS1_30default_config_static_selectorELNS0_4arch9wavefront6targetE1EEEvT1_.kd
    .uniform_work_group_size: 1
    .uses_dynamic_stack: false
    .vgpr_count:     0
    .vgpr_spill_count: 0
    .wavefront_size: 64
  - .agpr_count:     0
    .args:
      - .offset:         0
        .size:           144
        .value_kind:     by_value
    .group_segment_fixed_size: 30728
    .kernarg_segment_align: 8
    .kernarg_segment_size: 144
    .language:       OpenCL C
    .language_version:
      - 2
      - 0
    .max_flat_workgroup_size: 512
    .name:           _ZN7rocprim17ROCPRIM_400000_NS6detail17trampoline_kernelINS0_14default_configENS1_25partition_config_selectorILNS1_17partition_subalgoE0EtNS0_10empty_typeEbEEZZNS1_14partition_implILS5_0ELb0ES3_jN6thrust23THRUST_200600_302600_NS6detail15normal_iteratorINSA_10device_ptrItEEEEPS6_SG_NS0_5tupleIJNSA_16discard_iteratorINSA_11use_defaultEEESF_EEENSH_IJSG_SG_EEES6_PlJ7is_evenItEEEE10hipError_tPvRmT3_T4_T5_T6_T7_T9_mT8_P12ihipStream_tbDpT10_ENKUlT_T0_E_clISt17integral_constantIbLb1EES19_EEDaS14_S15_EUlS14_E_NS1_11comp_targetILNS1_3genE5ELNS1_11target_archE942ELNS1_3gpuE9ELNS1_3repE0EEENS1_30default_config_static_selectorELNS0_4arch9wavefront6targetE1EEEvT1_
    .private_segment_fixed_size: 0
    .sgpr_count:     48
    .sgpr_spill_count: 0
    .symbol:         _ZN7rocprim17ROCPRIM_400000_NS6detail17trampoline_kernelINS0_14default_configENS1_25partition_config_selectorILNS1_17partition_subalgoE0EtNS0_10empty_typeEbEEZZNS1_14partition_implILS5_0ELb0ES3_jN6thrust23THRUST_200600_302600_NS6detail15normal_iteratorINSA_10device_ptrItEEEEPS6_SG_NS0_5tupleIJNSA_16discard_iteratorINSA_11use_defaultEEESF_EEENSH_IJSG_SG_EEES6_PlJ7is_evenItEEEE10hipError_tPvRmT3_T4_T5_T6_T7_T9_mT8_P12ihipStream_tbDpT10_ENKUlT_T0_E_clISt17integral_constantIbLb1EES19_EEDaS14_S15_EUlS14_E_NS1_11comp_targetILNS1_3genE5ELNS1_11target_archE942ELNS1_3gpuE9ELNS1_3repE0EEENS1_30default_config_static_selectorELNS0_4arch9wavefront6targetE1EEEvT1_.kd
    .uniform_work_group_size: 1
    .uses_dynamic_stack: false
    .vgpr_count:     124
    .vgpr_spill_count: 0
    .wavefront_size: 64
  - .agpr_count:     0
    .args:
      - .offset:         0
        .size:           144
        .value_kind:     by_value
    .group_segment_fixed_size: 0
    .kernarg_segment_align: 8
    .kernarg_segment_size: 144
    .language:       OpenCL C
    .language_version:
      - 2
      - 0
    .max_flat_workgroup_size: 256
    .name:           _ZN7rocprim17ROCPRIM_400000_NS6detail17trampoline_kernelINS0_14default_configENS1_25partition_config_selectorILNS1_17partition_subalgoE0EtNS0_10empty_typeEbEEZZNS1_14partition_implILS5_0ELb0ES3_jN6thrust23THRUST_200600_302600_NS6detail15normal_iteratorINSA_10device_ptrItEEEEPS6_SG_NS0_5tupleIJNSA_16discard_iteratorINSA_11use_defaultEEESF_EEENSH_IJSG_SG_EEES6_PlJ7is_evenItEEEE10hipError_tPvRmT3_T4_T5_T6_T7_T9_mT8_P12ihipStream_tbDpT10_ENKUlT_T0_E_clISt17integral_constantIbLb1EES19_EEDaS14_S15_EUlS14_E_NS1_11comp_targetILNS1_3genE4ELNS1_11target_archE910ELNS1_3gpuE8ELNS1_3repE0EEENS1_30default_config_static_selectorELNS0_4arch9wavefront6targetE1EEEvT1_
    .private_segment_fixed_size: 0
    .sgpr_count:     6
    .sgpr_spill_count: 0
    .symbol:         _ZN7rocprim17ROCPRIM_400000_NS6detail17trampoline_kernelINS0_14default_configENS1_25partition_config_selectorILNS1_17partition_subalgoE0EtNS0_10empty_typeEbEEZZNS1_14partition_implILS5_0ELb0ES3_jN6thrust23THRUST_200600_302600_NS6detail15normal_iteratorINSA_10device_ptrItEEEEPS6_SG_NS0_5tupleIJNSA_16discard_iteratorINSA_11use_defaultEEESF_EEENSH_IJSG_SG_EEES6_PlJ7is_evenItEEEE10hipError_tPvRmT3_T4_T5_T6_T7_T9_mT8_P12ihipStream_tbDpT10_ENKUlT_T0_E_clISt17integral_constantIbLb1EES19_EEDaS14_S15_EUlS14_E_NS1_11comp_targetILNS1_3genE4ELNS1_11target_archE910ELNS1_3gpuE8ELNS1_3repE0EEENS1_30default_config_static_selectorELNS0_4arch9wavefront6targetE1EEEvT1_.kd
    .uniform_work_group_size: 1
    .uses_dynamic_stack: false
    .vgpr_count:     0
    .vgpr_spill_count: 0
    .wavefront_size: 64
  - .agpr_count:     0
    .args:
      - .offset:         0
        .size:           144
        .value_kind:     by_value
    .group_segment_fixed_size: 0
    .kernarg_segment_align: 8
    .kernarg_segment_size: 144
    .language:       OpenCL C
    .language_version:
      - 2
      - 0
    .max_flat_workgroup_size: 256
    .name:           _ZN7rocprim17ROCPRIM_400000_NS6detail17trampoline_kernelINS0_14default_configENS1_25partition_config_selectorILNS1_17partition_subalgoE0EtNS0_10empty_typeEbEEZZNS1_14partition_implILS5_0ELb0ES3_jN6thrust23THRUST_200600_302600_NS6detail15normal_iteratorINSA_10device_ptrItEEEEPS6_SG_NS0_5tupleIJNSA_16discard_iteratorINSA_11use_defaultEEESF_EEENSH_IJSG_SG_EEES6_PlJ7is_evenItEEEE10hipError_tPvRmT3_T4_T5_T6_T7_T9_mT8_P12ihipStream_tbDpT10_ENKUlT_T0_E_clISt17integral_constantIbLb1EES19_EEDaS14_S15_EUlS14_E_NS1_11comp_targetILNS1_3genE3ELNS1_11target_archE908ELNS1_3gpuE7ELNS1_3repE0EEENS1_30default_config_static_selectorELNS0_4arch9wavefront6targetE1EEEvT1_
    .private_segment_fixed_size: 0
    .sgpr_count:     6
    .sgpr_spill_count: 0
    .symbol:         _ZN7rocprim17ROCPRIM_400000_NS6detail17trampoline_kernelINS0_14default_configENS1_25partition_config_selectorILNS1_17partition_subalgoE0EtNS0_10empty_typeEbEEZZNS1_14partition_implILS5_0ELb0ES3_jN6thrust23THRUST_200600_302600_NS6detail15normal_iteratorINSA_10device_ptrItEEEEPS6_SG_NS0_5tupleIJNSA_16discard_iteratorINSA_11use_defaultEEESF_EEENSH_IJSG_SG_EEES6_PlJ7is_evenItEEEE10hipError_tPvRmT3_T4_T5_T6_T7_T9_mT8_P12ihipStream_tbDpT10_ENKUlT_T0_E_clISt17integral_constantIbLb1EES19_EEDaS14_S15_EUlS14_E_NS1_11comp_targetILNS1_3genE3ELNS1_11target_archE908ELNS1_3gpuE7ELNS1_3repE0EEENS1_30default_config_static_selectorELNS0_4arch9wavefront6targetE1EEEvT1_.kd
    .uniform_work_group_size: 1
    .uses_dynamic_stack: false
    .vgpr_count:     0
    .vgpr_spill_count: 0
    .wavefront_size: 64
  - .agpr_count:     0
    .args:
      - .offset:         0
        .size:           144
        .value_kind:     by_value
    .group_segment_fixed_size: 0
    .kernarg_segment_align: 8
    .kernarg_segment_size: 144
    .language:       OpenCL C
    .language_version:
      - 2
      - 0
    .max_flat_workgroup_size: 256
    .name:           _ZN7rocprim17ROCPRIM_400000_NS6detail17trampoline_kernelINS0_14default_configENS1_25partition_config_selectorILNS1_17partition_subalgoE0EtNS0_10empty_typeEbEEZZNS1_14partition_implILS5_0ELb0ES3_jN6thrust23THRUST_200600_302600_NS6detail15normal_iteratorINSA_10device_ptrItEEEEPS6_SG_NS0_5tupleIJNSA_16discard_iteratorINSA_11use_defaultEEESF_EEENSH_IJSG_SG_EEES6_PlJ7is_evenItEEEE10hipError_tPvRmT3_T4_T5_T6_T7_T9_mT8_P12ihipStream_tbDpT10_ENKUlT_T0_E_clISt17integral_constantIbLb1EES19_EEDaS14_S15_EUlS14_E_NS1_11comp_targetILNS1_3genE2ELNS1_11target_archE906ELNS1_3gpuE6ELNS1_3repE0EEENS1_30default_config_static_selectorELNS0_4arch9wavefront6targetE1EEEvT1_
    .private_segment_fixed_size: 0
    .sgpr_count:     6
    .sgpr_spill_count: 0
    .symbol:         _ZN7rocprim17ROCPRIM_400000_NS6detail17trampoline_kernelINS0_14default_configENS1_25partition_config_selectorILNS1_17partition_subalgoE0EtNS0_10empty_typeEbEEZZNS1_14partition_implILS5_0ELb0ES3_jN6thrust23THRUST_200600_302600_NS6detail15normal_iteratorINSA_10device_ptrItEEEEPS6_SG_NS0_5tupleIJNSA_16discard_iteratorINSA_11use_defaultEEESF_EEENSH_IJSG_SG_EEES6_PlJ7is_evenItEEEE10hipError_tPvRmT3_T4_T5_T6_T7_T9_mT8_P12ihipStream_tbDpT10_ENKUlT_T0_E_clISt17integral_constantIbLb1EES19_EEDaS14_S15_EUlS14_E_NS1_11comp_targetILNS1_3genE2ELNS1_11target_archE906ELNS1_3gpuE6ELNS1_3repE0EEENS1_30default_config_static_selectorELNS0_4arch9wavefront6targetE1EEEvT1_.kd
    .uniform_work_group_size: 1
    .uses_dynamic_stack: false
    .vgpr_count:     0
    .vgpr_spill_count: 0
    .wavefront_size: 64
  - .agpr_count:     0
    .args:
      - .offset:         0
        .size:           144
        .value_kind:     by_value
    .group_segment_fixed_size: 0
    .kernarg_segment_align: 8
    .kernarg_segment_size: 144
    .language:       OpenCL C
    .language_version:
      - 2
      - 0
    .max_flat_workgroup_size: 384
    .name:           _ZN7rocprim17ROCPRIM_400000_NS6detail17trampoline_kernelINS0_14default_configENS1_25partition_config_selectorILNS1_17partition_subalgoE0EtNS0_10empty_typeEbEEZZNS1_14partition_implILS5_0ELb0ES3_jN6thrust23THRUST_200600_302600_NS6detail15normal_iteratorINSA_10device_ptrItEEEEPS6_SG_NS0_5tupleIJNSA_16discard_iteratorINSA_11use_defaultEEESF_EEENSH_IJSG_SG_EEES6_PlJ7is_evenItEEEE10hipError_tPvRmT3_T4_T5_T6_T7_T9_mT8_P12ihipStream_tbDpT10_ENKUlT_T0_E_clISt17integral_constantIbLb1EES19_EEDaS14_S15_EUlS14_E_NS1_11comp_targetILNS1_3genE10ELNS1_11target_archE1200ELNS1_3gpuE4ELNS1_3repE0EEENS1_30default_config_static_selectorELNS0_4arch9wavefront6targetE1EEEvT1_
    .private_segment_fixed_size: 0
    .sgpr_count:     6
    .sgpr_spill_count: 0
    .symbol:         _ZN7rocprim17ROCPRIM_400000_NS6detail17trampoline_kernelINS0_14default_configENS1_25partition_config_selectorILNS1_17partition_subalgoE0EtNS0_10empty_typeEbEEZZNS1_14partition_implILS5_0ELb0ES3_jN6thrust23THRUST_200600_302600_NS6detail15normal_iteratorINSA_10device_ptrItEEEEPS6_SG_NS0_5tupleIJNSA_16discard_iteratorINSA_11use_defaultEEESF_EEENSH_IJSG_SG_EEES6_PlJ7is_evenItEEEE10hipError_tPvRmT3_T4_T5_T6_T7_T9_mT8_P12ihipStream_tbDpT10_ENKUlT_T0_E_clISt17integral_constantIbLb1EES19_EEDaS14_S15_EUlS14_E_NS1_11comp_targetILNS1_3genE10ELNS1_11target_archE1200ELNS1_3gpuE4ELNS1_3repE0EEENS1_30default_config_static_selectorELNS0_4arch9wavefront6targetE1EEEvT1_.kd
    .uniform_work_group_size: 1
    .uses_dynamic_stack: false
    .vgpr_count:     0
    .vgpr_spill_count: 0
    .wavefront_size: 64
  - .agpr_count:     0
    .args:
      - .offset:         0
        .size:           144
        .value_kind:     by_value
    .group_segment_fixed_size: 0
    .kernarg_segment_align: 8
    .kernarg_segment_size: 144
    .language:       OpenCL C
    .language_version:
      - 2
      - 0
    .max_flat_workgroup_size: 128
    .name:           _ZN7rocprim17ROCPRIM_400000_NS6detail17trampoline_kernelINS0_14default_configENS1_25partition_config_selectorILNS1_17partition_subalgoE0EtNS0_10empty_typeEbEEZZNS1_14partition_implILS5_0ELb0ES3_jN6thrust23THRUST_200600_302600_NS6detail15normal_iteratorINSA_10device_ptrItEEEEPS6_SG_NS0_5tupleIJNSA_16discard_iteratorINSA_11use_defaultEEESF_EEENSH_IJSG_SG_EEES6_PlJ7is_evenItEEEE10hipError_tPvRmT3_T4_T5_T6_T7_T9_mT8_P12ihipStream_tbDpT10_ENKUlT_T0_E_clISt17integral_constantIbLb1EES19_EEDaS14_S15_EUlS14_E_NS1_11comp_targetILNS1_3genE9ELNS1_11target_archE1100ELNS1_3gpuE3ELNS1_3repE0EEENS1_30default_config_static_selectorELNS0_4arch9wavefront6targetE1EEEvT1_
    .private_segment_fixed_size: 0
    .sgpr_count:     6
    .sgpr_spill_count: 0
    .symbol:         _ZN7rocprim17ROCPRIM_400000_NS6detail17trampoline_kernelINS0_14default_configENS1_25partition_config_selectorILNS1_17partition_subalgoE0EtNS0_10empty_typeEbEEZZNS1_14partition_implILS5_0ELb0ES3_jN6thrust23THRUST_200600_302600_NS6detail15normal_iteratorINSA_10device_ptrItEEEEPS6_SG_NS0_5tupleIJNSA_16discard_iteratorINSA_11use_defaultEEESF_EEENSH_IJSG_SG_EEES6_PlJ7is_evenItEEEE10hipError_tPvRmT3_T4_T5_T6_T7_T9_mT8_P12ihipStream_tbDpT10_ENKUlT_T0_E_clISt17integral_constantIbLb1EES19_EEDaS14_S15_EUlS14_E_NS1_11comp_targetILNS1_3genE9ELNS1_11target_archE1100ELNS1_3gpuE3ELNS1_3repE0EEENS1_30default_config_static_selectorELNS0_4arch9wavefront6targetE1EEEvT1_.kd
    .uniform_work_group_size: 1
    .uses_dynamic_stack: false
    .vgpr_count:     0
    .vgpr_spill_count: 0
    .wavefront_size: 64
  - .agpr_count:     0
    .args:
      - .offset:         0
        .size:           144
        .value_kind:     by_value
    .group_segment_fixed_size: 0
    .kernarg_segment_align: 8
    .kernarg_segment_size: 144
    .language:       OpenCL C
    .language_version:
      - 2
      - 0
    .max_flat_workgroup_size: 128
    .name:           _ZN7rocprim17ROCPRIM_400000_NS6detail17trampoline_kernelINS0_14default_configENS1_25partition_config_selectorILNS1_17partition_subalgoE0EtNS0_10empty_typeEbEEZZNS1_14partition_implILS5_0ELb0ES3_jN6thrust23THRUST_200600_302600_NS6detail15normal_iteratorINSA_10device_ptrItEEEEPS6_SG_NS0_5tupleIJNSA_16discard_iteratorINSA_11use_defaultEEESF_EEENSH_IJSG_SG_EEES6_PlJ7is_evenItEEEE10hipError_tPvRmT3_T4_T5_T6_T7_T9_mT8_P12ihipStream_tbDpT10_ENKUlT_T0_E_clISt17integral_constantIbLb1EES19_EEDaS14_S15_EUlS14_E_NS1_11comp_targetILNS1_3genE8ELNS1_11target_archE1030ELNS1_3gpuE2ELNS1_3repE0EEENS1_30default_config_static_selectorELNS0_4arch9wavefront6targetE1EEEvT1_
    .private_segment_fixed_size: 0
    .sgpr_count:     6
    .sgpr_spill_count: 0
    .symbol:         _ZN7rocprim17ROCPRIM_400000_NS6detail17trampoline_kernelINS0_14default_configENS1_25partition_config_selectorILNS1_17partition_subalgoE0EtNS0_10empty_typeEbEEZZNS1_14partition_implILS5_0ELb0ES3_jN6thrust23THRUST_200600_302600_NS6detail15normal_iteratorINSA_10device_ptrItEEEEPS6_SG_NS0_5tupleIJNSA_16discard_iteratorINSA_11use_defaultEEESF_EEENSH_IJSG_SG_EEES6_PlJ7is_evenItEEEE10hipError_tPvRmT3_T4_T5_T6_T7_T9_mT8_P12ihipStream_tbDpT10_ENKUlT_T0_E_clISt17integral_constantIbLb1EES19_EEDaS14_S15_EUlS14_E_NS1_11comp_targetILNS1_3genE8ELNS1_11target_archE1030ELNS1_3gpuE2ELNS1_3repE0EEENS1_30default_config_static_selectorELNS0_4arch9wavefront6targetE1EEEvT1_.kd
    .uniform_work_group_size: 1
    .uses_dynamic_stack: false
    .vgpr_count:     0
    .vgpr_spill_count: 0
    .wavefront_size: 64
  - .agpr_count:     0
    .args:
      - .offset:         0
        .size:           128
        .value_kind:     by_value
    .group_segment_fixed_size: 0
    .kernarg_segment_align: 8
    .kernarg_segment_size: 128
    .language:       OpenCL C
    .language_version:
      - 2
      - 0
    .max_flat_workgroup_size: 256
    .name:           _ZN7rocprim17ROCPRIM_400000_NS6detail17trampoline_kernelINS0_14default_configENS1_25partition_config_selectorILNS1_17partition_subalgoE0EtNS0_10empty_typeEbEEZZNS1_14partition_implILS5_0ELb0ES3_jN6thrust23THRUST_200600_302600_NS6detail15normal_iteratorINSA_10device_ptrItEEEEPS6_SG_NS0_5tupleIJNSA_16discard_iteratorINSA_11use_defaultEEESF_EEENSH_IJSG_SG_EEES6_PlJ7is_evenItEEEE10hipError_tPvRmT3_T4_T5_T6_T7_T9_mT8_P12ihipStream_tbDpT10_ENKUlT_T0_E_clISt17integral_constantIbLb1EES18_IbLb0EEEEDaS14_S15_EUlS14_E_NS1_11comp_targetILNS1_3genE0ELNS1_11target_archE4294967295ELNS1_3gpuE0ELNS1_3repE0EEENS1_30default_config_static_selectorELNS0_4arch9wavefront6targetE1EEEvT1_
    .private_segment_fixed_size: 0
    .sgpr_count:     6
    .sgpr_spill_count: 0
    .symbol:         _ZN7rocprim17ROCPRIM_400000_NS6detail17trampoline_kernelINS0_14default_configENS1_25partition_config_selectorILNS1_17partition_subalgoE0EtNS0_10empty_typeEbEEZZNS1_14partition_implILS5_0ELb0ES3_jN6thrust23THRUST_200600_302600_NS6detail15normal_iteratorINSA_10device_ptrItEEEEPS6_SG_NS0_5tupleIJNSA_16discard_iteratorINSA_11use_defaultEEESF_EEENSH_IJSG_SG_EEES6_PlJ7is_evenItEEEE10hipError_tPvRmT3_T4_T5_T6_T7_T9_mT8_P12ihipStream_tbDpT10_ENKUlT_T0_E_clISt17integral_constantIbLb1EES18_IbLb0EEEEDaS14_S15_EUlS14_E_NS1_11comp_targetILNS1_3genE0ELNS1_11target_archE4294967295ELNS1_3gpuE0ELNS1_3repE0EEENS1_30default_config_static_selectorELNS0_4arch9wavefront6targetE1EEEvT1_.kd
    .uniform_work_group_size: 1
    .uses_dynamic_stack: false
    .vgpr_count:     0
    .vgpr_spill_count: 0
    .wavefront_size: 64
  - .agpr_count:     0
    .args:
      - .offset:         0
        .size:           128
        .value_kind:     by_value
    .group_segment_fixed_size: 30728
    .kernarg_segment_align: 8
    .kernarg_segment_size: 128
    .language:       OpenCL C
    .language_version:
      - 2
      - 0
    .max_flat_workgroup_size: 512
    .name:           _ZN7rocprim17ROCPRIM_400000_NS6detail17trampoline_kernelINS0_14default_configENS1_25partition_config_selectorILNS1_17partition_subalgoE0EtNS0_10empty_typeEbEEZZNS1_14partition_implILS5_0ELb0ES3_jN6thrust23THRUST_200600_302600_NS6detail15normal_iteratorINSA_10device_ptrItEEEEPS6_SG_NS0_5tupleIJNSA_16discard_iteratorINSA_11use_defaultEEESF_EEENSH_IJSG_SG_EEES6_PlJ7is_evenItEEEE10hipError_tPvRmT3_T4_T5_T6_T7_T9_mT8_P12ihipStream_tbDpT10_ENKUlT_T0_E_clISt17integral_constantIbLb1EES18_IbLb0EEEEDaS14_S15_EUlS14_E_NS1_11comp_targetILNS1_3genE5ELNS1_11target_archE942ELNS1_3gpuE9ELNS1_3repE0EEENS1_30default_config_static_selectorELNS0_4arch9wavefront6targetE1EEEvT1_
    .private_segment_fixed_size: 0
    .sgpr_count:     50
    .sgpr_spill_count: 0
    .symbol:         _ZN7rocprim17ROCPRIM_400000_NS6detail17trampoline_kernelINS0_14default_configENS1_25partition_config_selectorILNS1_17partition_subalgoE0EtNS0_10empty_typeEbEEZZNS1_14partition_implILS5_0ELb0ES3_jN6thrust23THRUST_200600_302600_NS6detail15normal_iteratorINSA_10device_ptrItEEEEPS6_SG_NS0_5tupleIJNSA_16discard_iteratorINSA_11use_defaultEEESF_EEENSH_IJSG_SG_EEES6_PlJ7is_evenItEEEE10hipError_tPvRmT3_T4_T5_T6_T7_T9_mT8_P12ihipStream_tbDpT10_ENKUlT_T0_E_clISt17integral_constantIbLb1EES18_IbLb0EEEEDaS14_S15_EUlS14_E_NS1_11comp_targetILNS1_3genE5ELNS1_11target_archE942ELNS1_3gpuE9ELNS1_3repE0EEENS1_30default_config_static_selectorELNS0_4arch9wavefront6targetE1EEEvT1_.kd
    .uniform_work_group_size: 1
    .uses_dynamic_stack: false
    .vgpr_count:     120
    .vgpr_spill_count: 0
    .wavefront_size: 64
  - .agpr_count:     0
    .args:
      - .offset:         0
        .size:           128
        .value_kind:     by_value
    .group_segment_fixed_size: 0
    .kernarg_segment_align: 8
    .kernarg_segment_size: 128
    .language:       OpenCL C
    .language_version:
      - 2
      - 0
    .max_flat_workgroup_size: 256
    .name:           _ZN7rocprim17ROCPRIM_400000_NS6detail17trampoline_kernelINS0_14default_configENS1_25partition_config_selectorILNS1_17partition_subalgoE0EtNS0_10empty_typeEbEEZZNS1_14partition_implILS5_0ELb0ES3_jN6thrust23THRUST_200600_302600_NS6detail15normal_iteratorINSA_10device_ptrItEEEEPS6_SG_NS0_5tupleIJNSA_16discard_iteratorINSA_11use_defaultEEESF_EEENSH_IJSG_SG_EEES6_PlJ7is_evenItEEEE10hipError_tPvRmT3_T4_T5_T6_T7_T9_mT8_P12ihipStream_tbDpT10_ENKUlT_T0_E_clISt17integral_constantIbLb1EES18_IbLb0EEEEDaS14_S15_EUlS14_E_NS1_11comp_targetILNS1_3genE4ELNS1_11target_archE910ELNS1_3gpuE8ELNS1_3repE0EEENS1_30default_config_static_selectorELNS0_4arch9wavefront6targetE1EEEvT1_
    .private_segment_fixed_size: 0
    .sgpr_count:     6
    .sgpr_spill_count: 0
    .symbol:         _ZN7rocprim17ROCPRIM_400000_NS6detail17trampoline_kernelINS0_14default_configENS1_25partition_config_selectorILNS1_17partition_subalgoE0EtNS0_10empty_typeEbEEZZNS1_14partition_implILS5_0ELb0ES3_jN6thrust23THRUST_200600_302600_NS6detail15normal_iteratorINSA_10device_ptrItEEEEPS6_SG_NS0_5tupleIJNSA_16discard_iteratorINSA_11use_defaultEEESF_EEENSH_IJSG_SG_EEES6_PlJ7is_evenItEEEE10hipError_tPvRmT3_T4_T5_T6_T7_T9_mT8_P12ihipStream_tbDpT10_ENKUlT_T0_E_clISt17integral_constantIbLb1EES18_IbLb0EEEEDaS14_S15_EUlS14_E_NS1_11comp_targetILNS1_3genE4ELNS1_11target_archE910ELNS1_3gpuE8ELNS1_3repE0EEENS1_30default_config_static_selectorELNS0_4arch9wavefront6targetE1EEEvT1_.kd
    .uniform_work_group_size: 1
    .uses_dynamic_stack: false
    .vgpr_count:     0
    .vgpr_spill_count: 0
    .wavefront_size: 64
  - .agpr_count:     0
    .args:
      - .offset:         0
        .size:           128
        .value_kind:     by_value
    .group_segment_fixed_size: 0
    .kernarg_segment_align: 8
    .kernarg_segment_size: 128
    .language:       OpenCL C
    .language_version:
      - 2
      - 0
    .max_flat_workgroup_size: 256
    .name:           _ZN7rocprim17ROCPRIM_400000_NS6detail17trampoline_kernelINS0_14default_configENS1_25partition_config_selectorILNS1_17partition_subalgoE0EtNS0_10empty_typeEbEEZZNS1_14partition_implILS5_0ELb0ES3_jN6thrust23THRUST_200600_302600_NS6detail15normal_iteratorINSA_10device_ptrItEEEEPS6_SG_NS0_5tupleIJNSA_16discard_iteratorINSA_11use_defaultEEESF_EEENSH_IJSG_SG_EEES6_PlJ7is_evenItEEEE10hipError_tPvRmT3_T4_T5_T6_T7_T9_mT8_P12ihipStream_tbDpT10_ENKUlT_T0_E_clISt17integral_constantIbLb1EES18_IbLb0EEEEDaS14_S15_EUlS14_E_NS1_11comp_targetILNS1_3genE3ELNS1_11target_archE908ELNS1_3gpuE7ELNS1_3repE0EEENS1_30default_config_static_selectorELNS0_4arch9wavefront6targetE1EEEvT1_
    .private_segment_fixed_size: 0
    .sgpr_count:     6
    .sgpr_spill_count: 0
    .symbol:         _ZN7rocprim17ROCPRIM_400000_NS6detail17trampoline_kernelINS0_14default_configENS1_25partition_config_selectorILNS1_17partition_subalgoE0EtNS0_10empty_typeEbEEZZNS1_14partition_implILS5_0ELb0ES3_jN6thrust23THRUST_200600_302600_NS6detail15normal_iteratorINSA_10device_ptrItEEEEPS6_SG_NS0_5tupleIJNSA_16discard_iteratorINSA_11use_defaultEEESF_EEENSH_IJSG_SG_EEES6_PlJ7is_evenItEEEE10hipError_tPvRmT3_T4_T5_T6_T7_T9_mT8_P12ihipStream_tbDpT10_ENKUlT_T0_E_clISt17integral_constantIbLb1EES18_IbLb0EEEEDaS14_S15_EUlS14_E_NS1_11comp_targetILNS1_3genE3ELNS1_11target_archE908ELNS1_3gpuE7ELNS1_3repE0EEENS1_30default_config_static_selectorELNS0_4arch9wavefront6targetE1EEEvT1_.kd
    .uniform_work_group_size: 1
    .uses_dynamic_stack: false
    .vgpr_count:     0
    .vgpr_spill_count: 0
    .wavefront_size: 64
  - .agpr_count:     0
    .args:
      - .offset:         0
        .size:           128
        .value_kind:     by_value
    .group_segment_fixed_size: 0
    .kernarg_segment_align: 8
    .kernarg_segment_size: 128
    .language:       OpenCL C
    .language_version:
      - 2
      - 0
    .max_flat_workgroup_size: 256
    .name:           _ZN7rocprim17ROCPRIM_400000_NS6detail17trampoline_kernelINS0_14default_configENS1_25partition_config_selectorILNS1_17partition_subalgoE0EtNS0_10empty_typeEbEEZZNS1_14partition_implILS5_0ELb0ES3_jN6thrust23THRUST_200600_302600_NS6detail15normal_iteratorINSA_10device_ptrItEEEEPS6_SG_NS0_5tupleIJNSA_16discard_iteratorINSA_11use_defaultEEESF_EEENSH_IJSG_SG_EEES6_PlJ7is_evenItEEEE10hipError_tPvRmT3_T4_T5_T6_T7_T9_mT8_P12ihipStream_tbDpT10_ENKUlT_T0_E_clISt17integral_constantIbLb1EES18_IbLb0EEEEDaS14_S15_EUlS14_E_NS1_11comp_targetILNS1_3genE2ELNS1_11target_archE906ELNS1_3gpuE6ELNS1_3repE0EEENS1_30default_config_static_selectorELNS0_4arch9wavefront6targetE1EEEvT1_
    .private_segment_fixed_size: 0
    .sgpr_count:     6
    .sgpr_spill_count: 0
    .symbol:         _ZN7rocprim17ROCPRIM_400000_NS6detail17trampoline_kernelINS0_14default_configENS1_25partition_config_selectorILNS1_17partition_subalgoE0EtNS0_10empty_typeEbEEZZNS1_14partition_implILS5_0ELb0ES3_jN6thrust23THRUST_200600_302600_NS6detail15normal_iteratorINSA_10device_ptrItEEEEPS6_SG_NS0_5tupleIJNSA_16discard_iteratorINSA_11use_defaultEEESF_EEENSH_IJSG_SG_EEES6_PlJ7is_evenItEEEE10hipError_tPvRmT3_T4_T5_T6_T7_T9_mT8_P12ihipStream_tbDpT10_ENKUlT_T0_E_clISt17integral_constantIbLb1EES18_IbLb0EEEEDaS14_S15_EUlS14_E_NS1_11comp_targetILNS1_3genE2ELNS1_11target_archE906ELNS1_3gpuE6ELNS1_3repE0EEENS1_30default_config_static_selectorELNS0_4arch9wavefront6targetE1EEEvT1_.kd
    .uniform_work_group_size: 1
    .uses_dynamic_stack: false
    .vgpr_count:     0
    .vgpr_spill_count: 0
    .wavefront_size: 64
  - .agpr_count:     0
    .args:
      - .offset:         0
        .size:           128
        .value_kind:     by_value
    .group_segment_fixed_size: 0
    .kernarg_segment_align: 8
    .kernarg_segment_size: 128
    .language:       OpenCL C
    .language_version:
      - 2
      - 0
    .max_flat_workgroup_size: 384
    .name:           _ZN7rocprim17ROCPRIM_400000_NS6detail17trampoline_kernelINS0_14default_configENS1_25partition_config_selectorILNS1_17partition_subalgoE0EtNS0_10empty_typeEbEEZZNS1_14partition_implILS5_0ELb0ES3_jN6thrust23THRUST_200600_302600_NS6detail15normal_iteratorINSA_10device_ptrItEEEEPS6_SG_NS0_5tupleIJNSA_16discard_iteratorINSA_11use_defaultEEESF_EEENSH_IJSG_SG_EEES6_PlJ7is_evenItEEEE10hipError_tPvRmT3_T4_T5_T6_T7_T9_mT8_P12ihipStream_tbDpT10_ENKUlT_T0_E_clISt17integral_constantIbLb1EES18_IbLb0EEEEDaS14_S15_EUlS14_E_NS1_11comp_targetILNS1_3genE10ELNS1_11target_archE1200ELNS1_3gpuE4ELNS1_3repE0EEENS1_30default_config_static_selectorELNS0_4arch9wavefront6targetE1EEEvT1_
    .private_segment_fixed_size: 0
    .sgpr_count:     6
    .sgpr_spill_count: 0
    .symbol:         _ZN7rocprim17ROCPRIM_400000_NS6detail17trampoline_kernelINS0_14default_configENS1_25partition_config_selectorILNS1_17partition_subalgoE0EtNS0_10empty_typeEbEEZZNS1_14partition_implILS5_0ELb0ES3_jN6thrust23THRUST_200600_302600_NS6detail15normal_iteratorINSA_10device_ptrItEEEEPS6_SG_NS0_5tupleIJNSA_16discard_iteratorINSA_11use_defaultEEESF_EEENSH_IJSG_SG_EEES6_PlJ7is_evenItEEEE10hipError_tPvRmT3_T4_T5_T6_T7_T9_mT8_P12ihipStream_tbDpT10_ENKUlT_T0_E_clISt17integral_constantIbLb1EES18_IbLb0EEEEDaS14_S15_EUlS14_E_NS1_11comp_targetILNS1_3genE10ELNS1_11target_archE1200ELNS1_3gpuE4ELNS1_3repE0EEENS1_30default_config_static_selectorELNS0_4arch9wavefront6targetE1EEEvT1_.kd
    .uniform_work_group_size: 1
    .uses_dynamic_stack: false
    .vgpr_count:     0
    .vgpr_spill_count: 0
    .wavefront_size: 64
  - .agpr_count:     0
    .args:
      - .offset:         0
        .size:           128
        .value_kind:     by_value
    .group_segment_fixed_size: 0
    .kernarg_segment_align: 8
    .kernarg_segment_size: 128
    .language:       OpenCL C
    .language_version:
      - 2
      - 0
    .max_flat_workgroup_size: 128
    .name:           _ZN7rocprim17ROCPRIM_400000_NS6detail17trampoline_kernelINS0_14default_configENS1_25partition_config_selectorILNS1_17partition_subalgoE0EtNS0_10empty_typeEbEEZZNS1_14partition_implILS5_0ELb0ES3_jN6thrust23THRUST_200600_302600_NS6detail15normal_iteratorINSA_10device_ptrItEEEEPS6_SG_NS0_5tupleIJNSA_16discard_iteratorINSA_11use_defaultEEESF_EEENSH_IJSG_SG_EEES6_PlJ7is_evenItEEEE10hipError_tPvRmT3_T4_T5_T6_T7_T9_mT8_P12ihipStream_tbDpT10_ENKUlT_T0_E_clISt17integral_constantIbLb1EES18_IbLb0EEEEDaS14_S15_EUlS14_E_NS1_11comp_targetILNS1_3genE9ELNS1_11target_archE1100ELNS1_3gpuE3ELNS1_3repE0EEENS1_30default_config_static_selectorELNS0_4arch9wavefront6targetE1EEEvT1_
    .private_segment_fixed_size: 0
    .sgpr_count:     6
    .sgpr_spill_count: 0
    .symbol:         _ZN7rocprim17ROCPRIM_400000_NS6detail17trampoline_kernelINS0_14default_configENS1_25partition_config_selectorILNS1_17partition_subalgoE0EtNS0_10empty_typeEbEEZZNS1_14partition_implILS5_0ELb0ES3_jN6thrust23THRUST_200600_302600_NS6detail15normal_iteratorINSA_10device_ptrItEEEEPS6_SG_NS0_5tupleIJNSA_16discard_iteratorINSA_11use_defaultEEESF_EEENSH_IJSG_SG_EEES6_PlJ7is_evenItEEEE10hipError_tPvRmT3_T4_T5_T6_T7_T9_mT8_P12ihipStream_tbDpT10_ENKUlT_T0_E_clISt17integral_constantIbLb1EES18_IbLb0EEEEDaS14_S15_EUlS14_E_NS1_11comp_targetILNS1_3genE9ELNS1_11target_archE1100ELNS1_3gpuE3ELNS1_3repE0EEENS1_30default_config_static_selectorELNS0_4arch9wavefront6targetE1EEEvT1_.kd
    .uniform_work_group_size: 1
    .uses_dynamic_stack: false
    .vgpr_count:     0
    .vgpr_spill_count: 0
    .wavefront_size: 64
  - .agpr_count:     0
    .args:
      - .offset:         0
        .size:           128
        .value_kind:     by_value
    .group_segment_fixed_size: 0
    .kernarg_segment_align: 8
    .kernarg_segment_size: 128
    .language:       OpenCL C
    .language_version:
      - 2
      - 0
    .max_flat_workgroup_size: 128
    .name:           _ZN7rocprim17ROCPRIM_400000_NS6detail17trampoline_kernelINS0_14default_configENS1_25partition_config_selectorILNS1_17partition_subalgoE0EtNS0_10empty_typeEbEEZZNS1_14partition_implILS5_0ELb0ES3_jN6thrust23THRUST_200600_302600_NS6detail15normal_iteratorINSA_10device_ptrItEEEEPS6_SG_NS0_5tupleIJNSA_16discard_iteratorINSA_11use_defaultEEESF_EEENSH_IJSG_SG_EEES6_PlJ7is_evenItEEEE10hipError_tPvRmT3_T4_T5_T6_T7_T9_mT8_P12ihipStream_tbDpT10_ENKUlT_T0_E_clISt17integral_constantIbLb1EES18_IbLb0EEEEDaS14_S15_EUlS14_E_NS1_11comp_targetILNS1_3genE8ELNS1_11target_archE1030ELNS1_3gpuE2ELNS1_3repE0EEENS1_30default_config_static_selectorELNS0_4arch9wavefront6targetE1EEEvT1_
    .private_segment_fixed_size: 0
    .sgpr_count:     6
    .sgpr_spill_count: 0
    .symbol:         _ZN7rocprim17ROCPRIM_400000_NS6detail17trampoline_kernelINS0_14default_configENS1_25partition_config_selectorILNS1_17partition_subalgoE0EtNS0_10empty_typeEbEEZZNS1_14partition_implILS5_0ELb0ES3_jN6thrust23THRUST_200600_302600_NS6detail15normal_iteratorINSA_10device_ptrItEEEEPS6_SG_NS0_5tupleIJNSA_16discard_iteratorINSA_11use_defaultEEESF_EEENSH_IJSG_SG_EEES6_PlJ7is_evenItEEEE10hipError_tPvRmT3_T4_T5_T6_T7_T9_mT8_P12ihipStream_tbDpT10_ENKUlT_T0_E_clISt17integral_constantIbLb1EES18_IbLb0EEEEDaS14_S15_EUlS14_E_NS1_11comp_targetILNS1_3genE8ELNS1_11target_archE1030ELNS1_3gpuE2ELNS1_3repE0EEENS1_30default_config_static_selectorELNS0_4arch9wavefront6targetE1EEEvT1_.kd
    .uniform_work_group_size: 1
    .uses_dynamic_stack: false
    .vgpr_count:     0
    .vgpr_spill_count: 0
    .wavefront_size: 64
  - .agpr_count:     0
    .args:
      - .offset:         0
        .size:           144
        .value_kind:     by_value
    .group_segment_fixed_size: 0
    .kernarg_segment_align: 8
    .kernarg_segment_size: 144
    .language:       OpenCL C
    .language_version:
      - 2
      - 0
    .max_flat_workgroup_size: 256
    .name:           _ZN7rocprim17ROCPRIM_400000_NS6detail17trampoline_kernelINS0_14default_configENS1_25partition_config_selectorILNS1_17partition_subalgoE0EtNS0_10empty_typeEbEEZZNS1_14partition_implILS5_0ELb0ES3_jN6thrust23THRUST_200600_302600_NS6detail15normal_iteratorINSA_10device_ptrItEEEEPS6_SG_NS0_5tupleIJNSA_16discard_iteratorINSA_11use_defaultEEESF_EEENSH_IJSG_SG_EEES6_PlJ7is_evenItEEEE10hipError_tPvRmT3_T4_T5_T6_T7_T9_mT8_P12ihipStream_tbDpT10_ENKUlT_T0_E_clISt17integral_constantIbLb0EES18_IbLb1EEEEDaS14_S15_EUlS14_E_NS1_11comp_targetILNS1_3genE0ELNS1_11target_archE4294967295ELNS1_3gpuE0ELNS1_3repE0EEENS1_30default_config_static_selectorELNS0_4arch9wavefront6targetE1EEEvT1_
    .private_segment_fixed_size: 0
    .sgpr_count:     6
    .sgpr_spill_count: 0
    .symbol:         _ZN7rocprim17ROCPRIM_400000_NS6detail17trampoline_kernelINS0_14default_configENS1_25partition_config_selectorILNS1_17partition_subalgoE0EtNS0_10empty_typeEbEEZZNS1_14partition_implILS5_0ELb0ES3_jN6thrust23THRUST_200600_302600_NS6detail15normal_iteratorINSA_10device_ptrItEEEEPS6_SG_NS0_5tupleIJNSA_16discard_iteratorINSA_11use_defaultEEESF_EEENSH_IJSG_SG_EEES6_PlJ7is_evenItEEEE10hipError_tPvRmT3_T4_T5_T6_T7_T9_mT8_P12ihipStream_tbDpT10_ENKUlT_T0_E_clISt17integral_constantIbLb0EES18_IbLb1EEEEDaS14_S15_EUlS14_E_NS1_11comp_targetILNS1_3genE0ELNS1_11target_archE4294967295ELNS1_3gpuE0ELNS1_3repE0EEENS1_30default_config_static_selectorELNS0_4arch9wavefront6targetE1EEEvT1_.kd
    .uniform_work_group_size: 1
    .uses_dynamic_stack: false
    .vgpr_count:     0
    .vgpr_spill_count: 0
    .wavefront_size: 64
  - .agpr_count:     0
    .args:
      - .offset:         0
        .size:           144
        .value_kind:     by_value
    .group_segment_fixed_size: 30728
    .kernarg_segment_align: 8
    .kernarg_segment_size: 144
    .language:       OpenCL C
    .language_version:
      - 2
      - 0
    .max_flat_workgroup_size: 512
    .name:           _ZN7rocprim17ROCPRIM_400000_NS6detail17trampoline_kernelINS0_14default_configENS1_25partition_config_selectorILNS1_17partition_subalgoE0EtNS0_10empty_typeEbEEZZNS1_14partition_implILS5_0ELb0ES3_jN6thrust23THRUST_200600_302600_NS6detail15normal_iteratorINSA_10device_ptrItEEEEPS6_SG_NS0_5tupleIJNSA_16discard_iteratorINSA_11use_defaultEEESF_EEENSH_IJSG_SG_EEES6_PlJ7is_evenItEEEE10hipError_tPvRmT3_T4_T5_T6_T7_T9_mT8_P12ihipStream_tbDpT10_ENKUlT_T0_E_clISt17integral_constantIbLb0EES18_IbLb1EEEEDaS14_S15_EUlS14_E_NS1_11comp_targetILNS1_3genE5ELNS1_11target_archE942ELNS1_3gpuE9ELNS1_3repE0EEENS1_30default_config_static_selectorELNS0_4arch9wavefront6targetE1EEEvT1_
    .private_segment_fixed_size: 0
    .sgpr_count:     48
    .sgpr_spill_count: 0
    .symbol:         _ZN7rocprim17ROCPRIM_400000_NS6detail17trampoline_kernelINS0_14default_configENS1_25partition_config_selectorILNS1_17partition_subalgoE0EtNS0_10empty_typeEbEEZZNS1_14partition_implILS5_0ELb0ES3_jN6thrust23THRUST_200600_302600_NS6detail15normal_iteratorINSA_10device_ptrItEEEEPS6_SG_NS0_5tupleIJNSA_16discard_iteratorINSA_11use_defaultEEESF_EEENSH_IJSG_SG_EEES6_PlJ7is_evenItEEEE10hipError_tPvRmT3_T4_T5_T6_T7_T9_mT8_P12ihipStream_tbDpT10_ENKUlT_T0_E_clISt17integral_constantIbLb0EES18_IbLb1EEEEDaS14_S15_EUlS14_E_NS1_11comp_targetILNS1_3genE5ELNS1_11target_archE942ELNS1_3gpuE9ELNS1_3repE0EEENS1_30default_config_static_selectorELNS0_4arch9wavefront6targetE1EEEvT1_.kd
    .uniform_work_group_size: 1
    .uses_dynamic_stack: false
    .vgpr_count:     124
    .vgpr_spill_count: 0
    .wavefront_size: 64
  - .agpr_count:     0
    .args:
      - .offset:         0
        .size:           144
        .value_kind:     by_value
    .group_segment_fixed_size: 0
    .kernarg_segment_align: 8
    .kernarg_segment_size: 144
    .language:       OpenCL C
    .language_version:
      - 2
      - 0
    .max_flat_workgroup_size: 256
    .name:           _ZN7rocprim17ROCPRIM_400000_NS6detail17trampoline_kernelINS0_14default_configENS1_25partition_config_selectorILNS1_17partition_subalgoE0EtNS0_10empty_typeEbEEZZNS1_14partition_implILS5_0ELb0ES3_jN6thrust23THRUST_200600_302600_NS6detail15normal_iteratorINSA_10device_ptrItEEEEPS6_SG_NS0_5tupleIJNSA_16discard_iteratorINSA_11use_defaultEEESF_EEENSH_IJSG_SG_EEES6_PlJ7is_evenItEEEE10hipError_tPvRmT3_T4_T5_T6_T7_T9_mT8_P12ihipStream_tbDpT10_ENKUlT_T0_E_clISt17integral_constantIbLb0EES18_IbLb1EEEEDaS14_S15_EUlS14_E_NS1_11comp_targetILNS1_3genE4ELNS1_11target_archE910ELNS1_3gpuE8ELNS1_3repE0EEENS1_30default_config_static_selectorELNS0_4arch9wavefront6targetE1EEEvT1_
    .private_segment_fixed_size: 0
    .sgpr_count:     6
    .sgpr_spill_count: 0
    .symbol:         _ZN7rocprim17ROCPRIM_400000_NS6detail17trampoline_kernelINS0_14default_configENS1_25partition_config_selectorILNS1_17partition_subalgoE0EtNS0_10empty_typeEbEEZZNS1_14partition_implILS5_0ELb0ES3_jN6thrust23THRUST_200600_302600_NS6detail15normal_iteratorINSA_10device_ptrItEEEEPS6_SG_NS0_5tupleIJNSA_16discard_iteratorINSA_11use_defaultEEESF_EEENSH_IJSG_SG_EEES6_PlJ7is_evenItEEEE10hipError_tPvRmT3_T4_T5_T6_T7_T9_mT8_P12ihipStream_tbDpT10_ENKUlT_T0_E_clISt17integral_constantIbLb0EES18_IbLb1EEEEDaS14_S15_EUlS14_E_NS1_11comp_targetILNS1_3genE4ELNS1_11target_archE910ELNS1_3gpuE8ELNS1_3repE0EEENS1_30default_config_static_selectorELNS0_4arch9wavefront6targetE1EEEvT1_.kd
    .uniform_work_group_size: 1
    .uses_dynamic_stack: false
    .vgpr_count:     0
    .vgpr_spill_count: 0
    .wavefront_size: 64
  - .agpr_count:     0
    .args:
      - .offset:         0
        .size:           144
        .value_kind:     by_value
    .group_segment_fixed_size: 0
    .kernarg_segment_align: 8
    .kernarg_segment_size: 144
    .language:       OpenCL C
    .language_version:
      - 2
      - 0
    .max_flat_workgroup_size: 256
    .name:           _ZN7rocprim17ROCPRIM_400000_NS6detail17trampoline_kernelINS0_14default_configENS1_25partition_config_selectorILNS1_17partition_subalgoE0EtNS0_10empty_typeEbEEZZNS1_14partition_implILS5_0ELb0ES3_jN6thrust23THRUST_200600_302600_NS6detail15normal_iteratorINSA_10device_ptrItEEEEPS6_SG_NS0_5tupleIJNSA_16discard_iteratorINSA_11use_defaultEEESF_EEENSH_IJSG_SG_EEES6_PlJ7is_evenItEEEE10hipError_tPvRmT3_T4_T5_T6_T7_T9_mT8_P12ihipStream_tbDpT10_ENKUlT_T0_E_clISt17integral_constantIbLb0EES18_IbLb1EEEEDaS14_S15_EUlS14_E_NS1_11comp_targetILNS1_3genE3ELNS1_11target_archE908ELNS1_3gpuE7ELNS1_3repE0EEENS1_30default_config_static_selectorELNS0_4arch9wavefront6targetE1EEEvT1_
    .private_segment_fixed_size: 0
    .sgpr_count:     6
    .sgpr_spill_count: 0
    .symbol:         _ZN7rocprim17ROCPRIM_400000_NS6detail17trampoline_kernelINS0_14default_configENS1_25partition_config_selectorILNS1_17partition_subalgoE0EtNS0_10empty_typeEbEEZZNS1_14partition_implILS5_0ELb0ES3_jN6thrust23THRUST_200600_302600_NS6detail15normal_iteratorINSA_10device_ptrItEEEEPS6_SG_NS0_5tupleIJNSA_16discard_iteratorINSA_11use_defaultEEESF_EEENSH_IJSG_SG_EEES6_PlJ7is_evenItEEEE10hipError_tPvRmT3_T4_T5_T6_T7_T9_mT8_P12ihipStream_tbDpT10_ENKUlT_T0_E_clISt17integral_constantIbLb0EES18_IbLb1EEEEDaS14_S15_EUlS14_E_NS1_11comp_targetILNS1_3genE3ELNS1_11target_archE908ELNS1_3gpuE7ELNS1_3repE0EEENS1_30default_config_static_selectorELNS0_4arch9wavefront6targetE1EEEvT1_.kd
    .uniform_work_group_size: 1
    .uses_dynamic_stack: false
    .vgpr_count:     0
    .vgpr_spill_count: 0
    .wavefront_size: 64
  - .agpr_count:     0
    .args:
      - .offset:         0
        .size:           144
        .value_kind:     by_value
    .group_segment_fixed_size: 0
    .kernarg_segment_align: 8
    .kernarg_segment_size: 144
    .language:       OpenCL C
    .language_version:
      - 2
      - 0
    .max_flat_workgroup_size: 256
    .name:           _ZN7rocprim17ROCPRIM_400000_NS6detail17trampoline_kernelINS0_14default_configENS1_25partition_config_selectorILNS1_17partition_subalgoE0EtNS0_10empty_typeEbEEZZNS1_14partition_implILS5_0ELb0ES3_jN6thrust23THRUST_200600_302600_NS6detail15normal_iteratorINSA_10device_ptrItEEEEPS6_SG_NS0_5tupleIJNSA_16discard_iteratorINSA_11use_defaultEEESF_EEENSH_IJSG_SG_EEES6_PlJ7is_evenItEEEE10hipError_tPvRmT3_T4_T5_T6_T7_T9_mT8_P12ihipStream_tbDpT10_ENKUlT_T0_E_clISt17integral_constantIbLb0EES18_IbLb1EEEEDaS14_S15_EUlS14_E_NS1_11comp_targetILNS1_3genE2ELNS1_11target_archE906ELNS1_3gpuE6ELNS1_3repE0EEENS1_30default_config_static_selectorELNS0_4arch9wavefront6targetE1EEEvT1_
    .private_segment_fixed_size: 0
    .sgpr_count:     6
    .sgpr_spill_count: 0
    .symbol:         _ZN7rocprim17ROCPRIM_400000_NS6detail17trampoline_kernelINS0_14default_configENS1_25partition_config_selectorILNS1_17partition_subalgoE0EtNS0_10empty_typeEbEEZZNS1_14partition_implILS5_0ELb0ES3_jN6thrust23THRUST_200600_302600_NS6detail15normal_iteratorINSA_10device_ptrItEEEEPS6_SG_NS0_5tupleIJNSA_16discard_iteratorINSA_11use_defaultEEESF_EEENSH_IJSG_SG_EEES6_PlJ7is_evenItEEEE10hipError_tPvRmT3_T4_T5_T6_T7_T9_mT8_P12ihipStream_tbDpT10_ENKUlT_T0_E_clISt17integral_constantIbLb0EES18_IbLb1EEEEDaS14_S15_EUlS14_E_NS1_11comp_targetILNS1_3genE2ELNS1_11target_archE906ELNS1_3gpuE6ELNS1_3repE0EEENS1_30default_config_static_selectorELNS0_4arch9wavefront6targetE1EEEvT1_.kd
    .uniform_work_group_size: 1
    .uses_dynamic_stack: false
    .vgpr_count:     0
    .vgpr_spill_count: 0
    .wavefront_size: 64
  - .agpr_count:     0
    .args:
      - .offset:         0
        .size:           144
        .value_kind:     by_value
    .group_segment_fixed_size: 0
    .kernarg_segment_align: 8
    .kernarg_segment_size: 144
    .language:       OpenCL C
    .language_version:
      - 2
      - 0
    .max_flat_workgroup_size: 384
    .name:           _ZN7rocprim17ROCPRIM_400000_NS6detail17trampoline_kernelINS0_14default_configENS1_25partition_config_selectorILNS1_17partition_subalgoE0EtNS0_10empty_typeEbEEZZNS1_14partition_implILS5_0ELb0ES3_jN6thrust23THRUST_200600_302600_NS6detail15normal_iteratorINSA_10device_ptrItEEEEPS6_SG_NS0_5tupleIJNSA_16discard_iteratorINSA_11use_defaultEEESF_EEENSH_IJSG_SG_EEES6_PlJ7is_evenItEEEE10hipError_tPvRmT3_T4_T5_T6_T7_T9_mT8_P12ihipStream_tbDpT10_ENKUlT_T0_E_clISt17integral_constantIbLb0EES18_IbLb1EEEEDaS14_S15_EUlS14_E_NS1_11comp_targetILNS1_3genE10ELNS1_11target_archE1200ELNS1_3gpuE4ELNS1_3repE0EEENS1_30default_config_static_selectorELNS0_4arch9wavefront6targetE1EEEvT1_
    .private_segment_fixed_size: 0
    .sgpr_count:     6
    .sgpr_spill_count: 0
    .symbol:         _ZN7rocprim17ROCPRIM_400000_NS6detail17trampoline_kernelINS0_14default_configENS1_25partition_config_selectorILNS1_17partition_subalgoE0EtNS0_10empty_typeEbEEZZNS1_14partition_implILS5_0ELb0ES3_jN6thrust23THRUST_200600_302600_NS6detail15normal_iteratorINSA_10device_ptrItEEEEPS6_SG_NS0_5tupleIJNSA_16discard_iteratorINSA_11use_defaultEEESF_EEENSH_IJSG_SG_EEES6_PlJ7is_evenItEEEE10hipError_tPvRmT3_T4_T5_T6_T7_T9_mT8_P12ihipStream_tbDpT10_ENKUlT_T0_E_clISt17integral_constantIbLb0EES18_IbLb1EEEEDaS14_S15_EUlS14_E_NS1_11comp_targetILNS1_3genE10ELNS1_11target_archE1200ELNS1_3gpuE4ELNS1_3repE0EEENS1_30default_config_static_selectorELNS0_4arch9wavefront6targetE1EEEvT1_.kd
    .uniform_work_group_size: 1
    .uses_dynamic_stack: false
    .vgpr_count:     0
    .vgpr_spill_count: 0
    .wavefront_size: 64
  - .agpr_count:     0
    .args:
      - .offset:         0
        .size:           144
        .value_kind:     by_value
    .group_segment_fixed_size: 0
    .kernarg_segment_align: 8
    .kernarg_segment_size: 144
    .language:       OpenCL C
    .language_version:
      - 2
      - 0
    .max_flat_workgroup_size: 128
    .name:           _ZN7rocprim17ROCPRIM_400000_NS6detail17trampoline_kernelINS0_14default_configENS1_25partition_config_selectorILNS1_17partition_subalgoE0EtNS0_10empty_typeEbEEZZNS1_14partition_implILS5_0ELb0ES3_jN6thrust23THRUST_200600_302600_NS6detail15normal_iteratorINSA_10device_ptrItEEEEPS6_SG_NS0_5tupleIJNSA_16discard_iteratorINSA_11use_defaultEEESF_EEENSH_IJSG_SG_EEES6_PlJ7is_evenItEEEE10hipError_tPvRmT3_T4_T5_T6_T7_T9_mT8_P12ihipStream_tbDpT10_ENKUlT_T0_E_clISt17integral_constantIbLb0EES18_IbLb1EEEEDaS14_S15_EUlS14_E_NS1_11comp_targetILNS1_3genE9ELNS1_11target_archE1100ELNS1_3gpuE3ELNS1_3repE0EEENS1_30default_config_static_selectorELNS0_4arch9wavefront6targetE1EEEvT1_
    .private_segment_fixed_size: 0
    .sgpr_count:     6
    .sgpr_spill_count: 0
    .symbol:         _ZN7rocprim17ROCPRIM_400000_NS6detail17trampoline_kernelINS0_14default_configENS1_25partition_config_selectorILNS1_17partition_subalgoE0EtNS0_10empty_typeEbEEZZNS1_14partition_implILS5_0ELb0ES3_jN6thrust23THRUST_200600_302600_NS6detail15normal_iteratorINSA_10device_ptrItEEEEPS6_SG_NS0_5tupleIJNSA_16discard_iteratorINSA_11use_defaultEEESF_EEENSH_IJSG_SG_EEES6_PlJ7is_evenItEEEE10hipError_tPvRmT3_T4_T5_T6_T7_T9_mT8_P12ihipStream_tbDpT10_ENKUlT_T0_E_clISt17integral_constantIbLb0EES18_IbLb1EEEEDaS14_S15_EUlS14_E_NS1_11comp_targetILNS1_3genE9ELNS1_11target_archE1100ELNS1_3gpuE3ELNS1_3repE0EEENS1_30default_config_static_selectorELNS0_4arch9wavefront6targetE1EEEvT1_.kd
    .uniform_work_group_size: 1
    .uses_dynamic_stack: false
    .vgpr_count:     0
    .vgpr_spill_count: 0
    .wavefront_size: 64
  - .agpr_count:     0
    .args:
      - .offset:         0
        .size:           144
        .value_kind:     by_value
    .group_segment_fixed_size: 0
    .kernarg_segment_align: 8
    .kernarg_segment_size: 144
    .language:       OpenCL C
    .language_version:
      - 2
      - 0
    .max_flat_workgroup_size: 128
    .name:           _ZN7rocprim17ROCPRIM_400000_NS6detail17trampoline_kernelINS0_14default_configENS1_25partition_config_selectorILNS1_17partition_subalgoE0EtNS0_10empty_typeEbEEZZNS1_14partition_implILS5_0ELb0ES3_jN6thrust23THRUST_200600_302600_NS6detail15normal_iteratorINSA_10device_ptrItEEEEPS6_SG_NS0_5tupleIJNSA_16discard_iteratorINSA_11use_defaultEEESF_EEENSH_IJSG_SG_EEES6_PlJ7is_evenItEEEE10hipError_tPvRmT3_T4_T5_T6_T7_T9_mT8_P12ihipStream_tbDpT10_ENKUlT_T0_E_clISt17integral_constantIbLb0EES18_IbLb1EEEEDaS14_S15_EUlS14_E_NS1_11comp_targetILNS1_3genE8ELNS1_11target_archE1030ELNS1_3gpuE2ELNS1_3repE0EEENS1_30default_config_static_selectorELNS0_4arch9wavefront6targetE1EEEvT1_
    .private_segment_fixed_size: 0
    .sgpr_count:     6
    .sgpr_spill_count: 0
    .symbol:         _ZN7rocprim17ROCPRIM_400000_NS6detail17trampoline_kernelINS0_14default_configENS1_25partition_config_selectorILNS1_17partition_subalgoE0EtNS0_10empty_typeEbEEZZNS1_14partition_implILS5_0ELb0ES3_jN6thrust23THRUST_200600_302600_NS6detail15normal_iteratorINSA_10device_ptrItEEEEPS6_SG_NS0_5tupleIJNSA_16discard_iteratorINSA_11use_defaultEEESF_EEENSH_IJSG_SG_EEES6_PlJ7is_evenItEEEE10hipError_tPvRmT3_T4_T5_T6_T7_T9_mT8_P12ihipStream_tbDpT10_ENKUlT_T0_E_clISt17integral_constantIbLb0EES18_IbLb1EEEEDaS14_S15_EUlS14_E_NS1_11comp_targetILNS1_3genE8ELNS1_11target_archE1030ELNS1_3gpuE2ELNS1_3repE0EEENS1_30default_config_static_selectorELNS0_4arch9wavefront6targetE1EEEvT1_.kd
    .uniform_work_group_size: 1
    .uses_dynamic_stack: false
    .vgpr_count:     0
    .vgpr_spill_count: 0
    .wavefront_size: 64
  - .agpr_count:     0
    .args:
      - .offset:         0
        .size:           136
        .value_kind:     by_value
    .group_segment_fixed_size: 0
    .kernarg_segment_align: 8
    .kernarg_segment_size: 136
    .language:       OpenCL C
    .language_version:
      - 2
      - 0
    .max_flat_workgroup_size: 128
    .name:           _ZN7rocprim17ROCPRIM_400000_NS6detail17trampoline_kernelINS0_14default_configENS1_25partition_config_selectorILNS1_17partition_subalgoE0ExNS0_10empty_typeEbEEZZNS1_14partition_implILS5_0ELb0ES3_jN6thrust23THRUST_200600_302600_NS6detail15normal_iteratorINSA_10device_ptrIxEEEEPS6_SG_NS0_5tupleIJNSA_16discard_iteratorINSA_11use_defaultEEESK_EEENSH_IJSG_SG_EEES6_PlJ7is_evenIxEEEE10hipError_tPvRmT3_T4_T5_T6_T7_T9_mT8_P12ihipStream_tbDpT10_ENKUlT_T0_E_clISt17integral_constantIbLb0EES19_EEDaS14_S15_EUlS14_E_NS1_11comp_targetILNS1_3genE0ELNS1_11target_archE4294967295ELNS1_3gpuE0ELNS1_3repE0EEENS1_30default_config_static_selectorELNS0_4arch9wavefront6targetE1EEEvT1_
    .private_segment_fixed_size: 0
    .sgpr_count:     6
    .sgpr_spill_count: 0
    .symbol:         _ZN7rocprim17ROCPRIM_400000_NS6detail17trampoline_kernelINS0_14default_configENS1_25partition_config_selectorILNS1_17partition_subalgoE0ExNS0_10empty_typeEbEEZZNS1_14partition_implILS5_0ELb0ES3_jN6thrust23THRUST_200600_302600_NS6detail15normal_iteratorINSA_10device_ptrIxEEEEPS6_SG_NS0_5tupleIJNSA_16discard_iteratorINSA_11use_defaultEEESK_EEENSH_IJSG_SG_EEES6_PlJ7is_evenIxEEEE10hipError_tPvRmT3_T4_T5_T6_T7_T9_mT8_P12ihipStream_tbDpT10_ENKUlT_T0_E_clISt17integral_constantIbLb0EES19_EEDaS14_S15_EUlS14_E_NS1_11comp_targetILNS1_3genE0ELNS1_11target_archE4294967295ELNS1_3gpuE0ELNS1_3repE0EEENS1_30default_config_static_selectorELNS0_4arch9wavefront6targetE1EEEvT1_.kd
    .uniform_work_group_size: 1
    .uses_dynamic_stack: false
    .vgpr_count:     0
    .vgpr_spill_count: 0
    .wavefront_size: 64
  - .agpr_count:     0
    .args:
      - .offset:         0
        .size:           136
        .value_kind:     by_value
    .group_segment_fixed_size: 28680
    .kernarg_segment_align: 8
    .kernarg_segment_size: 136
    .language:       OpenCL C
    .language_version:
      - 2
      - 0
    .max_flat_workgroup_size: 512
    .name:           _ZN7rocprim17ROCPRIM_400000_NS6detail17trampoline_kernelINS0_14default_configENS1_25partition_config_selectorILNS1_17partition_subalgoE0ExNS0_10empty_typeEbEEZZNS1_14partition_implILS5_0ELb0ES3_jN6thrust23THRUST_200600_302600_NS6detail15normal_iteratorINSA_10device_ptrIxEEEEPS6_SG_NS0_5tupleIJNSA_16discard_iteratorINSA_11use_defaultEEESK_EEENSH_IJSG_SG_EEES6_PlJ7is_evenIxEEEE10hipError_tPvRmT3_T4_T5_T6_T7_T9_mT8_P12ihipStream_tbDpT10_ENKUlT_T0_E_clISt17integral_constantIbLb0EES19_EEDaS14_S15_EUlS14_E_NS1_11comp_targetILNS1_3genE5ELNS1_11target_archE942ELNS1_3gpuE9ELNS1_3repE0EEENS1_30default_config_static_selectorELNS0_4arch9wavefront6targetE1EEEvT1_
    .private_segment_fixed_size: 0
    .sgpr_count:     42
    .sgpr_spill_count: 0
    .symbol:         _ZN7rocprim17ROCPRIM_400000_NS6detail17trampoline_kernelINS0_14default_configENS1_25partition_config_selectorILNS1_17partition_subalgoE0ExNS0_10empty_typeEbEEZZNS1_14partition_implILS5_0ELb0ES3_jN6thrust23THRUST_200600_302600_NS6detail15normal_iteratorINSA_10device_ptrIxEEEEPS6_SG_NS0_5tupleIJNSA_16discard_iteratorINSA_11use_defaultEEESK_EEENSH_IJSG_SG_EEES6_PlJ7is_evenIxEEEE10hipError_tPvRmT3_T4_T5_T6_T7_T9_mT8_P12ihipStream_tbDpT10_ENKUlT_T0_E_clISt17integral_constantIbLb0EES19_EEDaS14_S15_EUlS14_E_NS1_11comp_targetILNS1_3genE5ELNS1_11target_archE942ELNS1_3gpuE9ELNS1_3repE0EEENS1_30default_config_static_selectorELNS0_4arch9wavefront6targetE1EEEvT1_.kd
    .uniform_work_group_size: 1
    .uses_dynamic_stack: false
    .vgpr_count:     56
    .vgpr_spill_count: 0
    .wavefront_size: 64
  - .agpr_count:     0
    .args:
      - .offset:         0
        .size:           136
        .value_kind:     by_value
    .group_segment_fixed_size: 0
    .kernarg_segment_align: 8
    .kernarg_segment_size: 136
    .language:       OpenCL C
    .language_version:
      - 2
      - 0
    .max_flat_workgroup_size: 192
    .name:           _ZN7rocprim17ROCPRIM_400000_NS6detail17trampoline_kernelINS0_14default_configENS1_25partition_config_selectorILNS1_17partition_subalgoE0ExNS0_10empty_typeEbEEZZNS1_14partition_implILS5_0ELb0ES3_jN6thrust23THRUST_200600_302600_NS6detail15normal_iteratorINSA_10device_ptrIxEEEEPS6_SG_NS0_5tupleIJNSA_16discard_iteratorINSA_11use_defaultEEESK_EEENSH_IJSG_SG_EEES6_PlJ7is_evenIxEEEE10hipError_tPvRmT3_T4_T5_T6_T7_T9_mT8_P12ihipStream_tbDpT10_ENKUlT_T0_E_clISt17integral_constantIbLb0EES19_EEDaS14_S15_EUlS14_E_NS1_11comp_targetILNS1_3genE4ELNS1_11target_archE910ELNS1_3gpuE8ELNS1_3repE0EEENS1_30default_config_static_selectorELNS0_4arch9wavefront6targetE1EEEvT1_
    .private_segment_fixed_size: 0
    .sgpr_count:     6
    .sgpr_spill_count: 0
    .symbol:         _ZN7rocprim17ROCPRIM_400000_NS6detail17trampoline_kernelINS0_14default_configENS1_25partition_config_selectorILNS1_17partition_subalgoE0ExNS0_10empty_typeEbEEZZNS1_14partition_implILS5_0ELb0ES3_jN6thrust23THRUST_200600_302600_NS6detail15normal_iteratorINSA_10device_ptrIxEEEEPS6_SG_NS0_5tupleIJNSA_16discard_iteratorINSA_11use_defaultEEESK_EEENSH_IJSG_SG_EEES6_PlJ7is_evenIxEEEE10hipError_tPvRmT3_T4_T5_T6_T7_T9_mT8_P12ihipStream_tbDpT10_ENKUlT_T0_E_clISt17integral_constantIbLb0EES19_EEDaS14_S15_EUlS14_E_NS1_11comp_targetILNS1_3genE4ELNS1_11target_archE910ELNS1_3gpuE8ELNS1_3repE0EEENS1_30default_config_static_selectorELNS0_4arch9wavefront6targetE1EEEvT1_.kd
    .uniform_work_group_size: 1
    .uses_dynamic_stack: false
    .vgpr_count:     0
    .vgpr_spill_count: 0
    .wavefront_size: 64
  - .agpr_count:     0
    .args:
      - .offset:         0
        .size:           136
        .value_kind:     by_value
    .group_segment_fixed_size: 0
    .kernarg_segment_align: 8
    .kernarg_segment_size: 136
    .language:       OpenCL C
    .language_version:
      - 2
      - 0
    .max_flat_workgroup_size: 128
    .name:           _ZN7rocprim17ROCPRIM_400000_NS6detail17trampoline_kernelINS0_14default_configENS1_25partition_config_selectorILNS1_17partition_subalgoE0ExNS0_10empty_typeEbEEZZNS1_14partition_implILS5_0ELb0ES3_jN6thrust23THRUST_200600_302600_NS6detail15normal_iteratorINSA_10device_ptrIxEEEEPS6_SG_NS0_5tupleIJNSA_16discard_iteratorINSA_11use_defaultEEESK_EEENSH_IJSG_SG_EEES6_PlJ7is_evenIxEEEE10hipError_tPvRmT3_T4_T5_T6_T7_T9_mT8_P12ihipStream_tbDpT10_ENKUlT_T0_E_clISt17integral_constantIbLb0EES19_EEDaS14_S15_EUlS14_E_NS1_11comp_targetILNS1_3genE3ELNS1_11target_archE908ELNS1_3gpuE7ELNS1_3repE0EEENS1_30default_config_static_selectorELNS0_4arch9wavefront6targetE1EEEvT1_
    .private_segment_fixed_size: 0
    .sgpr_count:     6
    .sgpr_spill_count: 0
    .symbol:         _ZN7rocprim17ROCPRIM_400000_NS6detail17trampoline_kernelINS0_14default_configENS1_25partition_config_selectorILNS1_17partition_subalgoE0ExNS0_10empty_typeEbEEZZNS1_14partition_implILS5_0ELb0ES3_jN6thrust23THRUST_200600_302600_NS6detail15normal_iteratorINSA_10device_ptrIxEEEEPS6_SG_NS0_5tupleIJNSA_16discard_iteratorINSA_11use_defaultEEESK_EEENSH_IJSG_SG_EEES6_PlJ7is_evenIxEEEE10hipError_tPvRmT3_T4_T5_T6_T7_T9_mT8_P12ihipStream_tbDpT10_ENKUlT_T0_E_clISt17integral_constantIbLb0EES19_EEDaS14_S15_EUlS14_E_NS1_11comp_targetILNS1_3genE3ELNS1_11target_archE908ELNS1_3gpuE7ELNS1_3repE0EEENS1_30default_config_static_selectorELNS0_4arch9wavefront6targetE1EEEvT1_.kd
    .uniform_work_group_size: 1
    .uses_dynamic_stack: false
    .vgpr_count:     0
    .vgpr_spill_count: 0
    .wavefront_size: 64
  - .agpr_count:     0
    .args:
      - .offset:         0
        .size:           136
        .value_kind:     by_value
    .group_segment_fixed_size: 0
    .kernarg_segment_align: 8
    .kernarg_segment_size: 136
    .language:       OpenCL C
    .language_version:
      - 2
      - 0
    .max_flat_workgroup_size: 256
    .name:           _ZN7rocprim17ROCPRIM_400000_NS6detail17trampoline_kernelINS0_14default_configENS1_25partition_config_selectorILNS1_17partition_subalgoE0ExNS0_10empty_typeEbEEZZNS1_14partition_implILS5_0ELb0ES3_jN6thrust23THRUST_200600_302600_NS6detail15normal_iteratorINSA_10device_ptrIxEEEEPS6_SG_NS0_5tupleIJNSA_16discard_iteratorINSA_11use_defaultEEESK_EEENSH_IJSG_SG_EEES6_PlJ7is_evenIxEEEE10hipError_tPvRmT3_T4_T5_T6_T7_T9_mT8_P12ihipStream_tbDpT10_ENKUlT_T0_E_clISt17integral_constantIbLb0EES19_EEDaS14_S15_EUlS14_E_NS1_11comp_targetILNS1_3genE2ELNS1_11target_archE906ELNS1_3gpuE6ELNS1_3repE0EEENS1_30default_config_static_selectorELNS0_4arch9wavefront6targetE1EEEvT1_
    .private_segment_fixed_size: 0
    .sgpr_count:     6
    .sgpr_spill_count: 0
    .symbol:         _ZN7rocprim17ROCPRIM_400000_NS6detail17trampoline_kernelINS0_14default_configENS1_25partition_config_selectorILNS1_17partition_subalgoE0ExNS0_10empty_typeEbEEZZNS1_14partition_implILS5_0ELb0ES3_jN6thrust23THRUST_200600_302600_NS6detail15normal_iteratorINSA_10device_ptrIxEEEEPS6_SG_NS0_5tupleIJNSA_16discard_iteratorINSA_11use_defaultEEESK_EEENSH_IJSG_SG_EEES6_PlJ7is_evenIxEEEE10hipError_tPvRmT3_T4_T5_T6_T7_T9_mT8_P12ihipStream_tbDpT10_ENKUlT_T0_E_clISt17integral_constantIbLb0EES19_EEDaS14_S15_EUlS14_E_NS1_11comp_targetILNS1_3genE2ELNS1_11target_archE906ELNS1_3gpuE6ELNS1_3repE0EEENS1_30default_config_static_selectorELNS0_4arch9wavefront6targetE1EEEvT1_.kd
    .uniform_work_group_size: 1
    .uses_dynamic_stack: false
    .vgpr_count:     0
    .vgpr_spill_count: 0
    .wavefront_size: 64
  - .agpr_count:     0
    .args:
      - .offset:         0
        .size:           136
        .value_kind:     by_value
    .group_segment_fixed_size: 0
    .kernarg_segment_align: 8
    .kernarg_segment_size: 136
    .language:       OpenCL C
    .language_version:
      - 2
      - 0
    .max_flat_workgroup_size: 512
    .name:           _ZN7rocprim17ROCPRIM_400000_NS6detail17trampoline_kernelINS0_14default_configENS1_25partition_config_selectorILNS1_17partition_subalgoE0ExNS0_10empty_typeEbEEZZNS1_14partition_implILS5_0ELb0ES3_jN6thrust23THRUST_200600_302600_NS6detail15normal_iteratorINSA_10device_ptrIxEEEEPS6_SG_NS0_5tupleIJNSA_16discard_iteratorINSA_11use_defaultEEESK_EEENSH_IJSG_SG_EEES6_PlJ7is_evenIxEEEE10hipError_tPvRmT3_T4_T5_T6_T7_T9_mT8_P12ihipStream_tbDpT10_ENKUlT_T0_E_clISt17integral_constantIbLb0EES19_EEDaS14_S15_EUlS14_E_NS1_11comp_targetILNS1_3genE10ELNS1_11target_archE1200ELNS1_3gpuE4ELNS1_3repE0EEENS1_30default_config_static_selectorELNS0_4arch9wavefront6targetE1EEEvT1_
    .private_segment_fixed_size: 0
    .sgpr_count:     6
    .sgpr_spill_count: 0
    .symbol:         _ZN7rocprim17ROCPRIM_400000_NS6detail17trampoline_kernelINS0_14default_configENS1_25partition_config_selectorILNS1_17partition_subalgoE0ExNS0_10empty_typeEbEEZZNS1_14partition_implILS5_0ELb0ES3_jN6thrust23THRUST_200600_302600_NS6detail15normal_iteratorINSA_10device_ptrIxEEEEPS6_SG_NS0_5tupleIJNSA_16discard_iteratorINSA_11use_defaultEEESK_EEENSH_IJSG_SG_EEES6_PlJ7is_evenIxEEEE10hipError_tPvRmT3_T4_T5_T6_T7_T9_mT8_P12ihipStream_tbDpT10_ENKUlT_T0_E_clISt17integral_constantIbLb0EES19_EEDaS14_S15_EUlS14_E_NS1_11comp_targetILNS1_3genE10ELNS1_11target_archE1200ELNS1_3gpuE4ELNS1_3repE0EEENS1_30default_config_static_selectorELNS0_4arch9wavefront6targetE1EEEvT1_.kd
    .uniform_work_group_size: 1
    .uses_dynamic_stack: false
    .vgpr_count:     0
    .vgpr_spill_count: 0
    .wavefront_size: 64
  - .agpr_count:     0
    .args:
      - .offset:         0
        .size:           136
        .value_kind:     by_value
    .group_segment_fixed_size: 0
    .kernarg_segment_align: 8
    .kernarg_segment_size: 136
    .language:       OpenCL C
    .language_version:
      - 2
      - 0
    .max_flat_workgroup_size: 512
    .name:           _ZN7rocprim17ROCPRIM_400000_NS6detail17trampoline_kernelINS0_14default_configENS1_25partition_config_selectorILNS1_17partition_subalgoE0ExNS0_10empty_typeEbEEZZNS1_14partition_implILS5_0ELb0ES3_jN6thrust23THRUST_200600_302600_NS6detail15normal_iteratorINSA_10device_ptrIxEEEEPS6_SG_NS0_5tupleIJNSA_16discard_iteratorINSA_11use_defaultEEESK_EEENSH_IJSG_SG_EEES6_PlJ7is_evenIxEEEE10hipError_tPvRmT3_T4_T5_T6_T7_T9_mT8_P12ihipStream_tbDpT10_ENKUlT_T0_E_clISt17integral_constantIbLb0EES19_EEDaS14_S15_EUlS14_E_NS1_11comp_targetILNS1_3genE9ELNS1_11target_archE1100ELNS1_3gpuE3ELNS1_3repE0EEENS1_30default_config_static_selectorELNS0_4arch9wavefront6targetE1EEEvT1_
    .private_segment_fixed_size: 0
    .sgpr_count:     6
    .sgpr_spill_count: 0
    .symbol:         _ZN7rocprim17ROCPRIM_400000_NS6detail17trampoline_kernelINS0_14default_configENS1_25partition_config_selectorILNS1_17partition_subalgoE0ExNS0_10empty_typeEbEEZZNS1_14partition_implILS5_0ELb0ES3_jN6thrust23THRUST_200600_302600_NS6detail15normal_iteratorINSA_10device_ptrIxEEEEPS6_SG_NS0_5tupleIJNSA_16discard_iteratorINSA_11use_defaultEEESK_EEENSH_IJSG_SG_EEES6_PlJ7is_evenIxEEEE10hipError_tPvRmT3_T4_T5_T6_T7_T9_mT8_P12ihipStream_tbDpT10_ENKUlT_T0_E_clISt17integral_constantIbLb0EES19_EEDaS14_S15_EUlS14_E_NS1_11comp_targetILNS1_3genE9ELNS1_11target_archE1100ELNS1_3gpuE3ELNS1_3repE0EEENS1_30default_config_static_selectorELNS0_4arch9wavefront6targetE1EEEvT1_.kd
    .uniform_work_group_size: 1
    .uses_dynamic_stack: false
    .vgpr_count:     0
    .vgpr_spill_count: 0
    .wavefront_size: 64
  - .agpr_count:     0
    .args:
      - .offset:         0
        .size:           136
        .value_kind:     by_value
    .group_segment_fixed_size: 0
    .kernarg_segment_align: 8
    .kernarg_segment_size: 136
    .language:       OpenCL C
    .language_version:
      - 2
      - 0
    .max_flat_workgroup_size: 512
    .name:           _ZN7rocprim17ROCPRIM_400000_NS6detail17trampoline_kernelINS0_14default_configENS1_25partition_config_selectorILNS1_17partition_subalgoE0ExNS0_10empty_typeEbEEZZNS1_14partition_implILS5_0ELb0ES3_jN6thrust23THRUST_200600_302600_NS6detail15normal_iteratorINSA_10device_ptrIxEEEEPS6_SG_NS0_5tupleIJNSA_16discard_iteratorINSA_11use_defaultEEESK_EEENSH_IJSG_SG_EEES6_PlJ7is_evenIxEEEE10hipError_tPvRmT3_T4_T5_T6_T7_T9_mT8_P12ihipStream_tbDpT10_ENKUlT_T0_E_clISt17integral_constantIbLb0EES19_EEDaS14_S15_EUlS14_E_NS1_11comp_targetILNS1_3genE8ELNS1_11target_archE1030ELNS1_3gpuE2ELNS1_3repE0EEENS1_30default_config_static_selectorELNS0_4arch9wavefront6targetE1EEEvT1_
    .private_segment_fixed_size: 0
    .sgpr_count:     6
    .sgpr_spill_count: 0
    .symbol:         _ZN7rocprim17ROCPRIM_400000_NS6detail17trampoline_kernelINS0_14default_configENS1_25partition_config_selectorILNS1_17partition_subalgoE0ExNS0_10empty_typeEbEEZZNS1_14partition_implILS5_0ELb0ES3_jN6thrust23THRUST_200600_302600_NS6detail15normal_iteratorINSA_10device_ptrIxEEEEPS6_SG_NS0_5tupleIJNSA_16discard_iteratorINSA_11use_defaultEEESK_EEENSH_IJSG_SG_EEES6_PlJ7is_evenIxEEEE10hipError_tPvRmT3_T4_T5_T6_T7_T9_mT8_P12ihipStream_tbDpT10_ENKUlT_T0_E_clISt17integral_constantIbLb0EES19_EEDaS14_S15_EUlS14_E_NS1_11comp_targetILNS1_3genE8ELNS1_11target_archE1030ELNS1_3gpuE2ELNS1_3repE0EEENS1_30default_config_static_selectorELNS0_4arch9wavefront6targetE1EEEvT1_.kd
    .uniform_work_group_size: 1
    .uses_dynamic_stack: false
    .vgpr_count:     0
    .vgpr_spill_count: 0
    .wavefront_size: 64
  - .agpr_count:     0
    .args:
      - .offset:         0
        .size:           152
        .value_kind:     by_value
    .group_segment_fixed_size: 0
    .kernarg_segment_align: 8
    .kernarg_segment_size: 152
    .language:       OpenCL C
    .language_version:
      - 2
      - 0
    .max_flat_workgroup_size: 128
    .name:           _ZN7rocprim17ROCPRIM_400000_NS6detail17trampoline_kernelINS0_14default_configENS1_25partition_config_selectorILNS1_17partition_subalgoE0ExNS0_10empty_typeEbEEZZNS1_14partition_implILS5_0ELb0ES3_jN6thrust23THRUST_200600_302600_NS6detail15normal_iteratorINSA_10device_ptrIxEEEEPS6_SG_NS0_5tupleIJNSA_16discard_iteratorINSA_11use_defaultEEESK_EEENSH_IJSG_SG_EEES6_PlJ7is_evenIxEEEE10hipError_tPvRmT3_T4_T5_T6_T7_T9_mT8_P12ihipStream_tbDpT10_ENKUlT_T0_E_clISt17integral_constantIbLb1EES19_EEDaS14_S15_EUlS14_E_NS1_11comp_targetILNS1_3genE0ELNS1_11target_archE4294967295ELNS1_3gpuE0ELNS1_3repE0EEENS1_30default_config_static_selectorELNS0_4arch9wavefront6targetE1EEEvT1_
    .private_segment_fixed_size: 0
    .sgpr_count:     6
    .sgpr_spill_count: 0
    .symbol:         _ZN7rocprim17ROCPRIM_400000_NS6detail17trampoline_kernelINS0_14default_configENS1_25partition_config_selectorILNS1_17partition_subalgoE0ExNS0_10empty_typeEbEEZZNS1_14partition_implILS5_0ELb0ES3_jN6thrust23THRUST_200600_302600_NS6detail15normal_iteratorINSA_10device_ptrIxEEEEPS6_SG_NS0_5tupleIJNSA_16discard_iteratorINSA_11use_defaultEEESK_EEENSH_IJSG_SG_EEES6_PlJ7is_evenIxEEEE10hipError_tPvRmT3_T4_T5_T6_T7_T9_mT8_P12ihipStream_tbDpT10_ENKUlT_T0_E_clISt17integral_constantIbLb1EES19_EEDaS14_S15_EUlS14_E_NS1_11comp_targetILNS1_3genE0ELNS1_11target_archE4294967295ELNS1_3gpuE0ELNS1_3repE0EEENS1_30default_config_static_selectorELNS0_4arch9wavefront6targetE1EEEvT1_.kd
    .uniform_work_group_size: 1
    .uses_dynamic_stack: false
    .vgpr_count:     0
    .vgpr_spill_count: 0
    .wavefront_size: 64
  - .agpr_count:     0
    .args:
      - .offset:         0
        .size:           152
        .value_kind:     by_value
    .group_segment_fixed_size: 28680
    .kernarg_segment_align: 8
    .kernarg_segment_size: 152
    .language:       OpenCL C
    .language_version:
      - 2
      - 0
    .max_flat_workgroup_size: 512
    .name:           _ZN7rocprim17ROCPRIM_400000_NS6detail17trampoline_kernelINS0_14default_configENS1_25partition_config_selectorILNS1_17partition_subalgoE0ExNS0_10empty_typeEbEEZZNS1_14partition_implILS5_0ELb0ES3_jN6thrust23THRUST_200600_302600_NS6detail15normal_iteratorINSA_10device_ptrIxEEEEPS6_SG_NS0_5tupleIJNSA_16discard_iteratorINSA_11use_defaultEEESK_EEENSH_IJSG_SG_EEES6_PlJ7is_evenIxEEEE10hipError_tPvRmT3_T4_T5_T6_T7_T9_mT8_P12ihipStream_tbDpT10_ENKUlT_T0_E_clISt17integral_constantIbLb1EES19_EEDaS14_S15_EUlS14_E_NS1_11comp_targetILNS1_3genE5ELNS1_11target_archE942ELNS1_3gpuE9ELNS1_3repE0EEENS1_30default_config_static_selectorELNS0_4arch9wavefront6targetE1EEEvT1_
    .private_segment_fixed_size: 0
    .sgpr_count:     42
    .sgpr_spill_count: 0
    .symbol:         _ZN7rocprim17ROCPRIM_400000_NS6detail17trampoline_kernelINS0_14default_configENS1_25partition_config_selectorILNS1_17partition_subalgoE0ExNS0_10empty_typeEbEEZZNS1_14partition_implILS5_0ELb0ES3_jN6thrust23THRUST_200600_302600_NS6detail15normal_iteratorINSA_10device_ptrIxEEEEPS6_SG_NS0_5tupleIJNSA_16discard_iteratorINSA_11use_defaultEEESK_EEENSH_IJSG_SG_EEES6_PlJ7is_evenIxEEEE10hipError_tPvRmT3_T4_T5_T6_T7_T9_mT8_P12ihipStream_tbDpT10_ENKUlT_T0_E_clISt17integral_constantIbLb1EES19_EEDaS14_S15_EUlS14_E_NS1_11comp_targetILNS1_3genE5ELNS1_11target_archE942ELNS1_3gpuE9ELNS1_3repE0EEENS1_30default_config_static_selectorELNS0_4arch9wavefront6targetE1EEEvT1_.kd
    .uniform_work_group_size: 1
    .uses_dynamic_stack: false
    .vgpr_count:     58
    .vgpr_spill_count: 0
    .wavefront_size: 64
  - .agpr_count:     0
    .args:
      - .offset:         0
        .size:           152
        .value_kind:     by_value
    .group_segment_fixed_size: 0
    .kernarg_segment_align: 8
    .kernarg_segment_size: 152
    .language:       OpenCL C
    .language_version:
      - 2
      - 0
    .max_flat_workgroup_size: 192
    .name:           _ZN7rocprim17ROCPRIM_400000_NS6detail17trampoline_kernelINS0_14default_configENS1_25partition_config_selectorILNS1_17partition_subalgoE0ExNS0_10empty_typeEbEEZZNS1_14partition_implILS5_0ELb0ES3_jN6thrust23THRUST_200600_302600_NS6detail15normal_iteratorINSA_10device_ptrIxEEEEPS6_SG_NS0_5tupleIJNSA_16discard_iteratorINSA_11use_defaultEEESK_EEENSH_IJSG_SG_EEES6_PlJ7is_evenIxEEEE10hipError_tPvRmT3_T4_T5_T6_T7_T9_mT8_P12ihipStream_tbDpT10_ENKUlT_T0_E_clISt17integral_constantIbLb1EES19_EEDaS14_S15_EUlS14_E_NS1_11comp_targetILNS1_3genE4ELNS1_11target_archE910ELNS1_3gpuE8ELNS1_3repE0EEENS1_30default_config_static_selectorELNS0_4arch9wavefront6targetE1EEEvT1_
    .private_segment_fixed_size: 0
    .sgpr_count:     6
    .sgpr_spill_count: 0
    .symbol:         _ZN7rocprim17ROCPRIM_400000_NS6detail17trampoline_kernelINS0_14default_configENS1_25partition_config_selectorILNS1_17partition_subalgoE0ExNS0_10empty_typeEbEEZZNS1_14partition_implILS5_0ELb0ES3_jN6thrust23THRUST_200600_302600_NS6detail15normal_iteratorINSA_10device_ptrIxEEEEPS6_SG_NS0_5tupleIJNSA_16discard_iteratorINSA_11use_defaultEEESK_EEENSH_IJSG_SG_EEES6_PlJ7is_evenIxEEEE10hipError_tPvRmT3_T4_T5_T6_T7_T9_mT8_P12ihipStream_tbDpT10_ENKUlT_T0_E_clISt17integral_constantIbLb1EES19_EEDaS14_S15_EUlS14_E_NS1_11comp_targetILNS1_3genE4ELNS1_11target_archE910ELNS1_3gpuE8ELNS1_3repE0EEENS1_30default_config_static_selectorELNS0_4arch9wavefront6targetE1EEEvT1_.kd
    .uniform_work_group_size: 1
    .uses_dynamic_stack: false
    .vgpr_count:     0
    .vgpr_spill_count: 0
    .wavefront_size: 64
  - .agpr_count:     0
    .args:
      - .offset:         0
        .size:           152
        .value_kind:     by_value
    .group_segment_fixed_size: 0
    .kernarg_segment_align: 8
    .kernarg_segment_size: 152
    .language:       OpenCL C
    .language_version:
      - 2
      - 0
    .max_flat_workgroup_size: 128
    .name:           _ZN7rocprim17ROCPRIM_400000_NS6detail17trampoline_kernelINS0_14default_configENS1_25partition_config_selectorILNS1_17partition_subalgoE0ExNS0_10empty_typeEbEEZZNS1_14partition_implILS5_0ELb0ES3_jN6thrust23THRUST_200600_302600_NS6detail15normal_iteratorINSA_10device_ptrIxEEEEPS6_SG_NS0_5tupleIJNSA_16discard_iteratorINSA_11use_defaultEEESK_EEENSH_IJSG_SG_EEES6_PlJ7is_evenIxEEEE10hipError_tPvRmT3_T4_T5_T6_T7_T9_mT8_P12ihipStream_tbDpT10_ENKUlT_T0_E_clISt17integral_constantIbLb1EES19_EEDaS14_S15_EUlS14_E_NS1_11comp_targetILNS1_3genE3ELNS1_11target_archE908ELNS1_3gpuE7ELNS1_3repE0EEENS1_30default_config_static_selectorELNS0_4arch9wavefront6targetE1EEEvT1_
    .private_segment_fixed_size: 0
    .sgpr_count:     6
    .sgpr_spill_count: 0
    .symbol:         _ZN7rocprim17ROCPRIM_400000_NS6detail17trampoline_kernelINS0_14default_configENS1_25partition_config_selectorILNS1_17partition_subalgoE0ExNS0_10empty_typeEbEEZZNS1_14partition_implILS5_0ELb0ES3_jN6thrust23THRUST_200600_302600_NS6detail15normal_iteratorINSA_10device_ptrIxEEEEPS6_SG_NS0_5tupleIJNSA_16discard_iteratorINSA_11use_defaultEEESK_EEENSH_IJSG_SG_EEES6_PlJ7is_evenIxEEEE10hipError_tPvRmT3_T4_T5_T6_T7_T9_mT8_P12ihipStream_tbDpT10_ENKUlT_T0_E_clISt17integral_constantIbLb1EES19_EEDaS14_S15_EUlS14_E_NS1_11comp_targetILNS1_3genE3ELNS1_11target_archE908ELNS1_3gpuE7ELNS1_3repE0EEENS1_30default_config_static_selectorELNS0_4arch9wavefront6targetE1EEEvT1_.kd
    .uniform_work_group_size: 1
    .uses_dynamic_stack: false
    .vgpr_count:     0
    .vgpr_spill_count: 0
    .wavefront_size: 64
  - .agpr_count:     0
    .args:
      - .offset:         0
        .size:           152
        .value_kind:     by_value
    .group_segment_fixed_size: 0
    .kernarg_segment_align: 8
    .kernarg_segment_size: 152
    .language:       OpenCL C
    .language_version:
      - 2
      - 0
    .max_flat_workgroup_size: 256
    .name:           _ZN7rocprim17ROCPRIM_400000_NS6detail17trampoline_kernelINS0_14default_configENS1_25partition_config_selectorILNS1_17partition_subalgoE0ExNS0_10empty_typeEbEEZZNS1_14partition_implILS5_0ELb0ES3_jN6thrust23THRUST_200600_302600_NS6detail15normal_iteratorINSA_10device_ptrIxEEEEPS6_SG_NS0_5tupleIJNSA_16discard_iteratorINSA_11use_defaultEEESK_EEENSH_IJSG_SG_EEES6_PlJ7is_evenIxEEEE10hipError_tPvRmT3_T4_T5_T6_T7_T9_mT8_P12ihipStream_tbDpT10_ENKUlT_T0_E_clISt17integral_constantIbLb1EES19_EEDaS14_S15_EUlS14_E_NS1_11comp_targetILNS1_3genE2ELNS1_11target_archE906ELNS1_3gpuE6ELNS1_3repE0EEENS1_30default_config_static_selectorELNS0_4arch9wavefront6targetE1EEEvT1_
    .private_segment_fixed_size: 0
    .sgpr_count:     6
    .sgpr_spill_count: 0
    .symbol:         _ZN7rocprim17ROCPRIM_400000_NS6detail17trampoline_kernelINS0_14default_configENS1_25partition_config_selectorILNS1_17partition_subalgoE0ExNS0_10empty_typeEbEEZZNS1_14partition_implILS5_0ELb0ES3_jN6thrust23THRUST_200600_302600_NS6detail15normal_iteratorINSA_10device_ptrIxEEEEPS6_SG_NS0_5tupleIJNSA_16discard_iteratorINSA_11use_defaultEEESK_EEENSH_IJSG_SG_EEES6_PlJ7is_evenIxEEEE10hipError_tPvRmT3_T4_T5_T6_T7_T9_mT8_P12ihipStream_tbDpT10_ENKUlT_T0_E_clISt17integral_constantIbLb1EES19_EEDaS14_S15_EUlS14_E_NS1_11comp_targetILNS1_3genE2ELNS1_11target_archE906ELNS1_3gpuE6ELNS1_3repE0EEENS1_30default_config_static_selectorELNS0_4arch9wavefront6targetE1EEEvT1_.kd
    .uniform_work_group_size: 1
    .uses_dynamic_stack: false
    .vgpr_count:     0
    .vgpr_spill_count: 0
    .wavefront_size: 64
  - .agpr_count:     0
    .args:
      - .offset:         0
        .size:           152
        .value_kind:     by_value
    .group_segment_fixed_size: 0
    .kernarg_segment_align: 8
    .kernarg_segment_size: 152
    .language:       OpenCL C
    .language_version:
      - 2
      - 0
    .max_flat_workgroup_size: 512
    .name:           _ZN7rocprim17ROCPRIM_400000_NS6detail17trampoline_kernelINS0_14default_configENS1_25partition_config_selectorILNS1_17partition_subalgoE0ExNS0_10empty_typeEbEEZZNS1_14partition_implILS5_0ELb0ES3_jN6thrust23THRUST_200600_302600_NS6detail15normal_iteratorINSA_10device_ptrIxEEEEPS6_SG_NS0_5tupleIJNSA_16discard_iteratorINSA_11use_defaultEEESK_EEENSH_IJSG_SG_EEES6_PlJ7is_evenIxEEEE10hipError_tPvRmT3_T4_T5_T6_T7_T9_mT8_P12ihipStream_tbDpT10_ENKUlT_T0_E_clISt17integral_constantIbLb1EES19_EEDaS14_S15_EUlS14_E_NS1_11comp_targetILNS1_3genE10ELNS1_11target_archE1200ELNS1_3gpuE4ELNS1_3repE0EEENS1_30default_config_static_selectorELNS0_4arch9wavefront6targetE1EEEvT1_
    .private_segment_fixed_size: 0
    .sgpr_count:     6
    .sgpr_spill_count: 0
    .symbol:         _ZN7rocprim17ROCPRIM_400000_NS6detail17trampoline_kernelINS0_14default_configENS1_25partition_config_selectorILNS1_17partition_subalgoE0ExNS0_10empty_typeEbEEZZNS1_14partition_implILS5_0ELb0ES3_jN6thrust23THRUST_200600_302600_NS6detail15normal_iteratorINSA_10device_ptrIxEEEEPS6_SG_NS0_5tupleIJNSA_16discard_iteratorINSA_11use_defaultEEESK_EEENSH_IJSG_SG_EEES6_PlJ7is_evenIxEEEE10hipError_tPvRmT3_T4_T5_T6_T7_T9_mT8_P12ihipStream_tbDpT10_ENKUlT_T0_E_clISt17integral_constantIbLb1EES19_EEDaS14_S15_EUlS14_E_NS1_11comp_targetILNS1_3genE10ELNS1_11target_archE1200ELNS1_3gpuE4ELNS1_3repE0EEENS1_30default_config_static_selectorELNS0_4arch9wavefront6targetE1EEEvT1_.kd
    .uniform_work_group_size: 1
    .uses_dynamic_stack: false
    .vgpr_count:     0
    .vgpr_spill_count: 0
    .wavefront_size: 64
  - .agpr_count:     0
    .args:
      - .offset:         0
        .size:           152
        .value_kind:     by_value
    .group_segment_fixed_size: 0
    .kernarg_segment_align: 8
    .kernarg_segment_size: 152
    .language:       OpenCL C
    .language_version:
      - 2
      - 0
    .max_flat_workgroup_size: 512
    .name:           _ZN7rocprim17ROCPRIM_400000_NS6detail17trampoline_kernelINS0_14default_configENS1_25partition_config_selectorILNS1_17partition_subalgoE0ExNS0_10empty_typeEbEEZZNS1_14partition_implILS5_0ELb0ES3_jN6thrust23THRUST_200600_302600_NS6detail15normal_iteratorINSA_10device_ptrIxEEEEPS6_SG_NS0_5tupleIJNSA_16discard_iteratorINSA_11use_defaultEEESK_EEENSH_IJSG_SG_EEES6_PlJ7is_evenIxEEEE10hipError_tPvRmT3_T4_T5_T6_T7_T9_mT8_P12ihipStream_tbDpT10_ENKUlT_T0_E_clISt17integral_constantIbLb1EES19_EEDaS14_S15_EUlS14_E_NS1_11comp_targetILNS1_3genE9ELNS1_11target_archE1100ELNS1_3gpuE3ELNS1_3repE0EEENS1_30default_config_static_selectorELNS0_4arch9wavefront6targetE1EEEvT1_
    .private_segment_fixed_size: 0
    .sgpr_count:     6
    .sgpr_spill_count: 0
    .symbol:         _ZN7rocprim17ROCPRIM_400000_NS6detail17trampoline_kernelINS0_14default_configENS1_25partition_config_selectorILNS1_17partition_subalgoE0ExNS0_10empty_typeEbEEZZNS1_14partition_implILS5_0ELb0ES3_jN6thrust23THRUST_200600_302600_NS6detail15normal_iteratorINSA_10device_ptrIxEEEEPS6_SG_NS0_5tupleIJNSA_16discard_iteratorINSA_11use_defaultEEESK_EEENSH_IJSG_SG_EEES6_PlJ7is_evenIxEEEE10hipError_tPvRmT3_T4_T5_T6_T7_T9_mT8_P12ihipStream_tbDpT10_ENKUlT_T0_E_clISt17integral_constantIbLb1EES19_EEDaS14_S15_EUlS14_E_NS1_11comp_targetILNS1_3genE9ELNS1_11target_archE1100ELNS1_3gpuE3ELNS1_3repE0EEENS1_30default_config_static_selectorELNS0_4arch9wavefront6targetE1EEEvT1_.kd
    .uniform_work_group_size: 1
    .uses_dynamic_stack: false
    .vgpr_count:     0
    .vgpr_spill_count: 0
    .wavefront_size: 64
  - .agpr_count:     0
    .args:
      - .offset:         0
        .size:           152
        .value_kind:     by_value
    .group_segment_fixed_size: 0
    .kernarg_segment_align: 8
    .kernarg_segment_size: 152
    .language:       OpenCL C
    .language_version:
      - 2
      - 0
    .max_flat_workgroup_size: 512
    .name:           _ZN7rocprim17ROCPRIM_400000_NS6detail17trampoline_kernelINS0_14default_configENS1_25partition_config_selectorILNS1_17partition_subalgoE0ExNS0_10empty_typeEbEEZZNS1_14partition_implILS5_0ELb0ES3_jN6thrust23THRUST_200600_302600_NS6detail15normal_iteratorINSA_10device_ptrIxEEEEPS6_SG_NS0_5tupleIJNSA_16discard_iteratorINSA_11use_defaultEEESK_EEENSH_IJSG_SG_EEES6_PlJ7is_evenIxEEEE10hipError_tPvRmT3_T4_T5_T6_T7_T9_mT8_P12ihipStream_tbDpT10_ENKUlT_T0_E_clISt17integral_constantIbLb1EES19_EEDaS14_S15_EUlS14_E_NS1_11comp_targetILNS1_3genE8ELNS1_11target_archE1030ELNS1_3gpuE2ELNS1_3repE0EEENS1_30default_config_static_selectorELNS0_4arch9wavefront6targetE1EEEvT1_
    .private_segment_fixed_size: 0
    .sgpr_count:     6
    .sgpr_spill_count: 0
    .symbol:         _ZN7rocprim17ROCPRIM_400000_NS6detail17trampoline_kernelINS0_14default_configENS1_25partition_config_selectorILNS1_17partition_subalgoE0ExNS0_10empty_typeEbEEZZNS1_14partition_implILS5_0ELb0ES3_jN6thrust23THRUST_200600_302600_NS6detail15normal_iteratorINSA_10device_ptrIxEEEEPS6_SG_NS0_5tupleIJNSA_16discard_iteratorINSA_11use_defaultEEESK_EEENSH_IJSG_SG_EEES6_PlJ7is_evenIxEEEE10hipError_tPvRmT3_T4_T5_T6_T7_T9_mT8_P12ihipStream_tbDpT10_ENKUlT_T0_E_clISt17integral_constantIbLb1EES19_EEDaS14_S15_EUlS14_E_NS1_11comp_targetILNS1_3genE8ELNS1_11target_archE1030ELNS1_3gpuE2ELNS1_3repE0EEENS1_30default_config_static_selectorELNS0_4arch9wavefront6targetE1EEEvT1_.kd
    .uniform_work_group_size: 1
    .uses_dynamic_stack: false
    .vgpr_count:     0
    .vgpr_spill_count: 0
    .wavefront_size: 64
  - .agpr_count:     0
    .args:
      - .offset:         0
        .size:           136
        .value_kind:     by_value
    .group_segment_fixed_size: 0
    .kernarg_segment_align: 8
    .kernarg_segment_size: 136
    .language:       OpenCL C
    .language_version:
      - 2
      - 0
    .max_flat_workgroup_size: 128
    .name:           _ZN7rocprim17ROCPRIM_400000_NS6detail17trampoline_kernelINS0_14default_configENS1_25partition_config_selectorILNS1_17partition_subalgoE0ExNS0_10empty_typeEbEEZZNS1_14partition_implILS5_0ELb0ES3_jN6thrust23THRUST_200600_302600_NS6detail15normal_iteratorINSA_10device_ptrIxEEEEPS6_SG_NS0_5tupleIJNSA_16discard_iteratorINSA_11use_defaultEEESK_EEENSH_IJSG_SG_EEES6_PlJ7is_evenIxEEEE10hipError_tPvRmT3_T4_T5_T6_T7_T9_mT8_P12ihipStream_tbDpT10_ENKUlT_T0_E_clISt17integral_constantIbLb1EES18_IbLb0EEEEDaS14_S15_EUlS14_E_NS1_11comp_targetILNS1_3genE0ELNS1_11target_archE4294967295ELNS1_3gpuE0ELNS1_3repE0EEENS1_30default_config_static_selectorELNS0_4arch9wavefront6targetE1EEEvT1_
    .private_segment_fixed_size: 0
    .sgpr_count:     6
    .sgpr_spill_count: 0
    .symbol:         _ZN7rocprim17ROCPRIM_400000_NS6detail17trampoline_kernelINS0_14default_configENS1_25partition_config_selectorILNS1_17partition_subalgoE0ExNS0_10empty_typeEbEEZZNS1_14partition_implILS5_0ELb0ES3_jN6thrust23THRUST_200600_302600_NS6detail15normal_iteratorINSA_10device_ptrIxEEEEPS6_SG_NS0_5tupleIJNSA_16discard_iteratorINSA_11use_defaultEEESK_EEENSH_IJSG_SG_EEES6_PlJ7is_evenIxEEEE10hipError_tPvRmT3_T4_T5_T6_T7_T9_mT8_P12ihipStream_tbDpT10_ENKUlT_T0_E_clISt17integral_constantIbLb1EES18_IbLb0EEEEDaS14_S15_EUlS14_E_NS1_11comp_targetILNS1_3genE0ELNS1_11target_archE4294967295ELNS1_3gpuE0ELNS1_3repE0EEENS1_30default_config_static_selectorELNS0_4arch9wavefront6targetE1EEEvT1_.kd
    .uniform_work_group_size: 1
    .uses_dynamic_stack: false
    .vgpr_count:     0
    .vgpr_spill_count: 0
    .wavefront_size: 64
  - .agpr_count:     0
    .args:
      - .offset:         0
        .size:           136
        .value_kind:     by_value
    .group_segment_fixed_size: 28680
    .kernarg_segment_align: 8
    .kernarg_segment_size: 136
    .language:       OpenCL C
    .language_version:
      - 2
      - 0
    .max_flat_workgroup_size: 512
    .name:           _ZN7rocprim17ROCPRIM_400000_NS6detail17trampoline_kernelINS0_14default_configENS1_25partition_config_selectorILNS1_17partition_subalgoE0ExNS0_10empty_typeEbEEZZNS1_14partition_implILS5_0ELb0ES3_jN6thrust23THRUST_200600_302600_NS6detail15normal_iteratorINSA_10device_ptrIxEEEEPS6_SG_NS0_5tupleIJNSA_16discard_iteratorINSA_11use_defaultEEESK_EEENSH_IJSG_SG_EEES6_PlJ7is_evenIxEEEE10hipError_tPvRmT3_T4_T5_T6_T7_T9_mT8_P12ihipStream_tbDpT10_ENKUlT_T0_E_clISt17integral_constantIbLb1EES18_IbLb0EEEEDaS14_S15_EUlS14_E_NS1_11comp_targetILNS1_3genE5ELNS1_11target_archE942ELNS1_3gpuE9ELNS1_3repE0EEENS1_30default_config_static_selectorELNS0_4arch9wavefront6targetE1EEEvT1_
    .private_segment_fixed_size: 0
    .sgpr_count:     42
    .sgpr_spill_count: 0
    .symbol:         _ZN7rocprim17ROCPRIM_400000_NS6detail17trampoline_kernelINS0_14default_configENS1_25partition_config_selectorILNS1_17partition_subalgoE0ExNS0_10empty_typeEbEEZZNS1_14partition_implILS5_0ELb0ES3_jN6thrust23THRUST_200600_302600_NS6detail15normal_iteratorINSA_10device_ptrIxEEEEPS6_SG_NS0_5tupleIJNSA_16discard_iteratorINSA_11use_defaultEEESK_EEENSH_IJSG_SG_EEES6_PlJ7is_evenIxEEEE10hipError_tPvRmT3_T4_T5_T6_T7_T9_mT8_P12ihipStream_tbDpT10_ENKUlT_T0_E_clISt17integral_constantIbLb1EES18_IbLb0EEEEDaS14_S15_EUlS14_E_NS1_11comp_targetILNS1_3genE5ELNS1_11target_archE942ELNS1_3gpuE9ELNS1_3repE0EEENS1_30default_config_static_selectorELNS0_4arch9wavefront6targetE1EEEvT1_.kd
    .uniform_work_group_size: 1
    .uses_dynamic_stack: false
    .vgpr_count:     56
    .vgpr_spill_count: 0
    .wavefront_size: 64
  - .agpr_count:     0
    .args:
      - .offset:         0
        .size:           136
        .value_kind:     by_value
    .group_segment_fixed_size: 0
    .kernarg_segment_align: 8
    .kernarg_segment_size: 136
    .language:       OpenCL C
    .language_version:
      - 2
      - 0
    .max_flat_workgroup_size: 192
    .name:           _ZN7rocprim17ROCPRIM_400000_NS6detail17trampoline_kernelINS0_14default_configENS1_25partition_config_selectorILNS1_17partition_subalgoE0ExNS0_10empty_typeEbEEZZNS1_14partition_implILS5_0ELb0ES3_jN6thrust23THRUST_200600_302600_NS6detail15normal_iteratorINSA_10device_ptrIxEEEEPS6_SG_NS0_5tupleIJNSA_16discard_iteratorINSA_11use_defaultEEESK_EEENSH_IJSG_SG_EEES6_PlJ7is_evenIxEEEE10hipError_tPvRmT3_T4_T5_T6_T7_T9_mT8_P12ihipStream_tbDpT10_ENKUlT_T0_E_clISt17integral_constantIbLb1EES18_IbLb0EEEEDaS14_S15_EUlS14_E_NS1_11comp_targetILNS1_3genE4ELNS1_11target_archE910ELNS1_3gpuE8ELNS1_3repE0EEENS1_30default_config_static_selectorELNS0_4arch9wavefront6targetE1EEEvT1_
    .private_segment_fixed_size: 0
    .sgpr_count:     6
    .sgpr_spill_count: 0
    .symbol:         _ZN7rocprim17ROCPRIM_400000_NS6detail17trampoline_kernelINS0_14default_configENS1_25partition_config_selectorILNS1_17partition_subalgoE0ExNS0_10empty_typeEbEEZZNS1_14partition_implILS5_0ELb0ES3_jN6thrust23THRUST_200600_302600_NS6detail15normal_iteratorINSA_10device_ptrIxEEEEPS6_SG_NS0_5tupleIJNSA_16discard_iteratorINSA_11use_defaultEEESK_EEENSH_IJSG_SG_EEES6_PlJ7is_evenIxEEEE10hipError_tPvRmT3_T4_T5_T6_T7_T9_mT8_P12ihipStream_tbDpT10_ENKUlT_T0_E_clISt17integral_constantIbLb1EES18_IbLb0EEEEDaS14_S15_EUlS14_E_NS1_11comp_targetILNS1_3genE4ELNS1_11target_archE910ELNS1_3gpuE8ELNS1_3repE0EEENS1_30default_config_static_selectorELNS0_4arch9wavefront6targetE1EEEvT1_.kd
    .uniform_work_group_size: 1
    .uses_dynamic_stack: false
    .vgpr_count:     0
    .vgpr_spill_count: 0
    .wavefront_size: 64
  - .agpr_count:     0
    .args:
      - .offset:         0
        .size:           136
        .value_kind:     by_value
    .group_segment_fixed_size: 0
    .kernarg_segment_align: 8
    .kernarg_segment_size: 136
    .language:       OpenCL C
    .language_version:
      - 2
      - 0
    .max_flat_workgroup_size: 128
    .name:           _ZN7rocprim17ROCPRIM_400000_NS6detail17trampoline_kernelINS0_14default_configENS1_25partition_config_selectorILNS1_17partition_subalgoE0ExNS0_10empty_typeEbEEZZNS1_14partition_implILS5_0ELb0ES3_jN6thrust23THRUST_200600_302600_NS6detail15normal_iteratorINSA_10device_ptrIxEEEEPS6_SG_NS0_5tupleIJNSA_16discard_iteratorINSA_11use_defaultEEESK_EEENSH_IJSG_SG_EEES6_PlJ7is_evenIxEEEE10hipError_tPvRmT3_T4_T5_T6_T7_T9_mT8_P12ihipStream_tbDpT10_ENKUlT_T0_E_clISt17integral_constantIbLb1EES18_IbLb0EEEEDaS14_S15_EUlS14_E_NS1_11comp_targetILNS1_3genE3ELNS1_11target_archE908ELNS1_3gpuE7ELNS1_3repE0EEENS1_30default_config_static_selectorELNS0_4arch9wavefront6targetE1EEEvT1_
    .private_segment_fixed_size: 0
    .sgpr_count:     6
    .sgpr_spill_count: 0
    .symbol:         _ZN7rocprim17ROCPRIM_400000_NS6detail17trampoline_kernelINS0_14default_configENS1_25partition_config_selectorILNS1_17partition_subalgoE0ExNS0_10empty_typeEbEEZZNS1_14partition_implILS5_0ELb0ES3_jN6thrust23THRUST_200600_302600_NS6detail15normal_iteratorINSA_10device_ptrIxEEEEPS6_SG_NS0_5tupleIJNSA_16discard_iteratorINSA_11use_defaultEEESK_EEENSH_IJSG_SG_EEES6_PlJ7is_evenIxEEEE10hipError_tPvRmT3_T4_T5_T6_T7_T9_mT8_P12ihipStream_tbDpT10_ENKUlT_T0_E_clISt17integral_constantIbLb1EES18_IbLb0EEEEDaS14_S15_EUlS14_E_NS1_11comp_targetILNS1_3genE3ELNS1_11target_archE908ELNS1_3gpuE7ELNS1_3repE0EEENS1_30default_config_static_selectorELNS0_4arch9wavefront6targetE1EEEvT1_.kd
    .uniform_work_group_size: 1
    .uses_dynamic_stack: false
    .vgpr_count:     0
    .vgpr_spill_count: 0
    .wavefront_size: 64
  - .agpr_count:     0
    .args:
      - .offset:         0
        .size:           136
        .value_kind:     by_value
    .group_segment_fixed_size: 0
    .kernarg_segment_align: 8
    .kernarg_segment_size: 136
    .language:       OpenCL C
    .language_version:
      - 2
      - 0
    .max_flat_workgroup_size: 256
    .name:           _ZN7rocprim17ROCPRIM_400000_NS6detail17trampoline_kernelINS0_14default_configENS1_25partition_config_selectorILNS1_17partition_subalgoE0ExNS0_10empty_typeEbEEZZNS1_14partition_implILS5_0ELb0ES3_jN6thrust23THRUST_200600_302600_NS6detail15normal_iteratorINSA_10device_ptrIxEEEEPS6_SG_NS0_5tupleIJNSA_16discard_iteratorINSA_11use_defaultEEESK_EEENSH_IJSG_SG_EEES6_PlJ7is_evenIxEEEE10hipError_tPvRmT3_T4_T5_T6_T7_T9_mT8_P12ihipStream_tbDpT10_ENKUlT_T0_E_clISt17integral_constantIbLb1EES18_IbLb0EEEEDaS14_S15_EUlS14_E_NS1_11comp_targetILNS1_3genE2ELNS1_11target_archE906ELNS1_3gpuE6ELNS1_3repE0EEENS1_30default_config_static_selectorELNS0_4arch9wavefront6targetE1EEEvT1_
    .private_segment_fixed_size: 0
    .sgpr_count:     6
    .sgpr_spill_count: 0
    .symbol:         _ZN7rocprim17ROCPRIM_400000_NS6detail17trampoline_kernelINS0_14default_configENS1_25partition_config_selectorILNS1_17partition_subalgoE0ExNS0_10empty_typeEbEEZZNS1_14partition_implILS5_0ELb0ES3_jN6thrust23THRUST_200600_302600_NS6detail15normal_iteratorINSA_10device_ptrIxEEEEPS6_SG_NS0_5tupleIJNSA_16discard_iteratorINSA_11use_defaultEEESK_EEENSH_IJSG_SG_EEES6_PlJ7is_evenIxEEEE10hipError_tPvRmT3_T4_T5_T6_T7_T9_mT8_P12ihipStream_tbDpT10_ENKUlT_T0_E_clISt17integral_constantIbLb1EES18_IbLb0EEEEDaS14_S15_EUlS14_E_NS1_11comp_targetILNS1_3genE2ELNS1_11target_archE906ELNS1_3gpuE6ELNS1_3repE0EEENS1_30default_config_static_selectorELNS0_4arch9wavefront6targetE1EEEvT1_.kd
    .uniform_work_group_size: 1
    .uses_dynamic_stack: false
    .vgpr_count:     0
    .vgpr_spill_count: 0
    .wavefront_size: 64
  - .agpr_count:     0
    .args:
      - .offset:         0
        .size:           136
        .value_kind:     by_value
    .group_segment_fixed_size: 0
    .kernarg_segment_align: 8
    .kernarg_segment_size: 136
    .language:       OpenCL C
    .language_version:
      - 2
      - 0
    .max_flat_workgroup_size: 512
    .name:           _ZN7rocprim17ROCPRIM_400000_NS6detail17trampoline_kernelINS0_14default_configENS1_25partition_config_selectorILNS1_17partition_subalgoE0ExNS0_10empty_typeEbEEZZNS1_14partition_implILS5_0ELb0ES3_jN6thrust23THRUST_200600_302600_NS6detail15normal_iteratorINSA_10device_ptrIxEEEEPS6_SG_NS0_5tupleIJNSA_16discard_iteratorINSA_11use_defaultEEESK_EEENSH_IJSG_SG_EEES6_PlJ7is_evenIxEEEE10hipError_tPvRmT3_T4_T5_T6_T7_T9_mT8_P12ihipStream_tbDpT10_ENKUlT_T0_E_clISt17integral_constantIbLb1EES18_IbLb0EEEEDaS14_S15_EUlS14_E_NS1_11comp_targetILNS1_3genE10ELNS1_11target_archE1200ELNS1_3gpuE4ELNS1_3repE0EEENS1_30default_config_static_selectorELNS0_4arch9wavefront6targetE1EEEvT1_
    .private_segment_fixed_size: 0
    .sgpr_count:     6
    .sgpr_spill_count: 0
    .symbol:         _ZN7rocprim17ROCPRIM_400000_NS6detail17trampoline_kernelINS0_14default_configENS1_25partition_config_selectorILNS1_17partition_subalgoE0ExNS0_10empty_typeEbEEZZNS1_14partition_implILS5_0ELb0ES3_jN6thrust23THRUST_200600_302600_NS6detail15normal_iteratorINSA_10device_ptrIxEEEEPS6_SG_NS0_5tupleIJNSA_16discard_iteratorINSA_11use_defaultEEESK_EEENSH_IJSG_SG_EEES6_PlJ7is_evenIxEEEE10hipError_tPvRmT3_T4_T5_T6_T7_T9_mT8_P12ihipStream_tbDpT10_ENKUlT_T0_E_clISt17integral_constantIbLb1EES18_IbLb0EEEEDaS14_S15_EUlS14_E_NS1_11comp_targetILNS1_3genE10ELNS1_11target_archE1200ELNS1_3gpuE4ELNS1_3repE0EEENS1_30default_config_static_selectorELNS0_4arch9wavefront6targetE1EEEvT1_.kd
    .uniform_work_group_size: 1
    .uses_dynamic_stack: false
    .vgpr_count:     0
    .vgpr_spill_count: 0
    .wavefront_size: 64
  - .agpr_count:     0
    .args:
      - .offset:         0
        .size:           136
        .value_kind:     by_value
    .group_segment_fixed_size: 0
    .kernarg_segment_align: 8
    .kernarg_segment_size: 136
    .language:       OpenCL C
    .language_version:
      - 2
      - 0
    .max_flat_workgroup_size: 512
    .name:           _ZN7rocprim17ROCPRIM_400000_NS6detail17trampoline_kernelINS0_14default_configENS1_25partition_config_selectorILNS1_17partition_subalgoE0ExNS0_10empty_typeEbEEZZNS1_14partition_implILS5_0ELb0ES3_jN6thrust23THRUST_200600_302600_NS6detail15normal_iteratorINSA_10device_ptrIxEEEEPS6_SG_NS0_5tupleIJNSA_16discard_iteratorINSA_11use_defaultEEESK_EEENSH_IJSG_SG_EEES6_PlJ7is_evenIxEEEE10hipError_tPvRmT3_T4_T5_T6_T7_T9_mT8_P12ihipStream_tbDpT10_ENKUlT_T0_E_clISt17integral_constantIbLb1EES18_IbLb0EEEEDaS14_S15_EUlS14_E_NS1_11comp_targetILNS1_3genE9ELNS1_11target_archE1100ELNS1_3gpuE3ELNS1_3repE0EEENS1_30default_config_static_selectorELNS0_4arch9wavefront6targetE1EEEvT1_
    .private_segment_fixed_size: 0
    .sgpr_count:     6
    .sgpr_spill_count: 0
    .symbol:         _ZN7rocprim17ROCPRIM_400000_NS6detail17trampoline_kernelINS0_14default_configENS1_25partition_config_selectorILNS1_17partition_subalgoE0ExNS0_10empty_typeEbEEZZNS1_14partition_implILS5_0ELb0ES3_jN6thrust23THRUST_200600_302600_NS6detail15normal_iteratorINSA_10device_ptrIxEEEEPS6_SG_NS0_5tupleIJNSA_16discard_iteratorINSA_11use_defaultEEESK_EEENSH_IJSG_SG_EEES6_PlJ7is_evenIxEEEE10hipError_tPvRmT3_T4_T5_T6_T7_T9_mT8_P12ihipStream_tbDpT10_ENKUlT_T0_E_clISt17integral_constantIbLb1EES18_IbLb0EEEEDaS14_S15_EUlS14_E_NS1_11comp_targetILNS1_3genE9ELNS1_11target_archE1100ELNS1_3gpuE3ELNS1_3repE0EEENS1_30default_config_static_selectorELNS0_4arch9wavefront6targetE1EEEvT1_.kd
    .uniform_work_group_size: 1
    .uses_dynamic_stack: false
    .vgpr_count:     0
    .vgpr_spill_count: 0
    .wavefront_size: 64
  - .agpr_count:     0
    .args:
      - .offset:         0
        .size:           136
        .value_kind:     by_value
    .group_segment_fixed_size: 0
    .kernarg_segment_align: 8
    .kernarg_segment_size: 136
    .language:       OpenCL C
    .language_version:
      - 2
      - 0
    .max_flat_workgroup_size: 512
    .name:           _ZN7rocprim17ROCPRIM_400000_NS6detail17trampoline_kernelINS0_14default_configENS1_25partition_config_selectorILNS1_17partition_subalgoE0ExNS0_10empty_typeEbEEZZNS1_14partition_implILS5_0ELb0ES3_jN6thrust23THRUST_200600_302600_NS6detail15normal_iteratorINSA_10device_ptrIxEEEEPS6_SG_NS0_5tupleIJNSA_16discard_iteratorINSA_11use_defaultEEESK_EEENSH_IJSG_SG_EEES6_PlJ7is_evenIxEEEE10hipError_tPvRmT3_T4_T5_T6_T7_T9_mT8_P12ihipStream_tbDpT10_ENKUlT_T0_E_clISt17integral_constantIbLb1EES18_IbLb0EEEEDaS14_S15_EUlS14_E_NS1_11comp_targetILNS1_3genE8ELNS1_11target_archE1030ELNS1_3gpuE2ELNS1_3repE0EEENS1_30default_config_static_selectorELNS0_4arch9wavefront6targetE1EEEvT1_
    .private_segment_fixed_size: 0
    .sgpr_count:     6
    .sgpr_spill_count: 0
    .symbol:         _ZN7rocprim17ROCPRIM_400000_NS6detail17trampoline_kernelINS0_14default_configENS1_25partition_config_selectorILNS1_17partition_subalgoE0ExNS0_10empty_typeEbEEZZNS1_14partition_implILS5_0ELb0ES3_jN6thrust23THRUST_200600_302600_NS6detail15normal_iteratorINSA_10device_ptrIxEEEEPS6_SG_NS0_5tupleIJNSA_16discard_iteratorINSA_11use_defaultEEESK_EEENSH_IJSG_SG_EEES6_PlJ7is_evenIxEEEE10hipError_tPvRmT3_T4_T5_T6_T7_T9_mT8_P12ihipStream_tbDpT10_ENKUlT_T0_E_clISt17integral_constantIbLb1EES18_IbLb0EEEEDaS14_S15_EUlS14_E_NS1_11comp_targetILNS1_3genE8ELNS1_11target_archE1030ELNS1_3gpuE2ELNS1_3repE0EEENS1_30default_config_static_selectorELNS0_4arch9wavefront6targetE1EEEvT1_.kd
    .uniform_work_group_size: 1
    .uses_dynamic_stack: false
    .vgpr_count:     0
    .vgpr_spill_count: 0
    .wavefront_size: 64
  - .agpr_count:     0
    .args:
      - .offset:         0
        .size:           152
        .value_kind:     by_value
    .group_segment_fixed_size: 0
    .kernarg_segment_align: 8
    .kernarg_segment_size: 152
    .language:       OpenCL C
    .language_version:
      - 2
      - 0
    .max_flat_workgroup_size: 128
    .name:           _ZN7rocprim17ROCPRIM_400000_NS6detail17trampoline_kernelINS0_14default_configENS1_25partition_config_selectorILNS1_17partition_subalgoE0ExNS0_10empty_typeEbEEZZNS1_14partition_implILS5_0ELb0ES3_jN6thrust23THRUST_200600_302600_NS6detail15normal_iteratorINSA_10device_ptrIxEEEEPS6_SG_NS0_5tupleIJNSA_16discard_iteratorINSA_11use_defaultEEESK_EEENSH_IJSG_SG_EEES6_PlJ7is_evenIxEEEE10hipError_tPvRmT3_T4_T5_T6_T7_T9_mT8_P12ihipStream_tbDpT10_ENKUlT_T0_E_clISt17integral_constantIbLb0EES18_IbLb1EEEEDaS14_S15_EUlS14_E_NS1_11comp_targetILNS1_3genE0ELNS1_11target_archE4294967295ELNS1_3gpuE0ELNS1_3repE0EEENS1_30default_config_static_selectorELNS0_4arch9wavefront6targetE1EEEvT1_
    .private_segment_fixed_size: 0
    .sgpr_count:     6
    .sgpr_spill_count: 0
    .symbol:         _ZN7rocprim17ROCPRIM_400000_NS6detail17trampoline_kernelINS0_14default_configENS1_25partition_config_selectorILNS1_17partition_subalgoE0ExNS0_10empty_typeEbEEZZNS1_14partition_implILS5_0ELb0ES3_jN6thrust23THRUST_200600_302600_NS6detail15normal_iteratorINSA_10device_ptrIxEEEEPS6_SG_NS0_5tupleIJNSA_16discard_iteratorINSA_11use_defaultEEESK_EEENSH_IJSG_SG_EEES6_PlJ7is_evenIxEEEE10hipError_tPvRmT3_T4_T5_T6_T7_T9_mT8_P12ihipStream_tbDpT10_ENKUlT_T0_E_clISt17integral_constantIbLb0EES18_IbLb1EEEEDaS14_S15_EUlS14_E_NS1_11comp_targetILNS1_3genE0ELNS1_11target_archE4294967295ELNS1_3gpuE0ELNS1_3repE0EEENS1_30default_config_static_selectorELNS0_4arch9wavefront6targetE1EEEvT1_.kd
    .uniform_work_group_size: 1
    .uses_dynamic_stack: false
    .vgpr_count:     0
    .vgpr_spill_count: 0
    .wavefront_size: 64
  - .agpr_count:     0
    .args:
      - .offset:         0
        .size:           152
        .value_kind:     by_value
    .group_segment_fixed_size: 28680
    .kernarg_segment_align: 8
    .kernarg_segment_size: 152
    .language:       OpenCL C
    .language_version:
      - 2
      - 0
    .max_flat_workgroup_size: 512
    .name:           _ZN7rocprim17ROCPRIM_400000_NS6detail17trampoline_kernelINS0_14default_configENS1_25partition_config_selectorILNS1_17partition_subalgoE0ExNS0_10empty_typeEbEEZZNS1_14partition_implILS5_0ELb0ES3_jN6thrust23THRUST_200600_302600_NS6detail15normal_iteratorINSA_10device_ptrIxEEEEPS6_SG_NS0_5tupleIJNSA_16discard_iteratorINSA_11use_defaultEEESK_EEENSH_IJSG_SG_EEES6_PlJ7is_evenIxEEEE10hipError_tPvRmT3_T4_T5_T6_T7_T9_mT8_P12ihipStream_tbDpT10_ENKUlT_T0_E_clISt17integral_constantIbLb0EES18_IbLb1EEEEDaS14_S15_EUlS14_E_NS1_11comp_targetILNS1_3genE5ELNS1_11target_archE942ELNS1_3gpuE9ELNS1_3repE0EEENS1_30default_config_static_selectorELNS0_4arch9wavefront6targetE1EEEvT1_
    .private_segment_fixed_size: 0
    .sgpr_count:     42
    .sgpr_spill_count: 0
    .symbol:         _ZN7rocprim17ROCPRIM_400000_NS6detail17trampoline_kernelINS0_14default_configENS1_25partition_config_selectorILNS1_17partition_subalgoE0ExNS0_10empty_typeEbEEZZNS1_14partition_implILS5_0ELb0ES3_jN6thrust23THRUST_200600_302600_NS6detail15normal_iteratorINSA_10device_ptrIxEEEEPS6_SG_NS0_5tupleIJNSA_16discard_iteratorINSA_11use_defaultEEESK_EEENSH_IJSG_SG_EEES6_PlJ7is_evenIxEEEE10hipError_tPvRmT3_T4_T5_T6_T7_T9_mT8_P12ihipStream_tbDpT10_ENKUlT_T0_E_clISt17integral_constantIbLb0EES18_IbLb1EEEEDaS14_S15_EUlS14_E_NS1_11comp_targetILNS1_3genE5ELNS1_11target_archE942ELNS1_3gpuE9ELNS1_3repE0EEENS1_30default_config_static_selectorELNS0_4arch9wavefront6targetE1EEEvT1_.kd
    .uniform_work_group_size: 1
    .uses_dynamic_stack: false
    .vgpr_count:     58
    .vgpr_spill_count: 0
    .wavefront_size: 64
  - .agpr_count:     0
    .args:
      - .offset:         0
        .size:           152
        .value_kind:     by_value
    .group_segment_fixed_size: 0
    .kernarg_segment_align: 8
    .kernarg_segment_size: 152
    .language:       OpenCL C
    .language_version:
      - 2
      - 0
    .max_flat_workgroup_size: 192
    .name:           _ZN7rocprim17ROCPRIM_400000_NS6detail17trampoline_kernelINS0_14default_configENS1_25partition_config_selectorILNS1_17partition_subalgoE0ExNS0_10empty_typeEbEEZZNS1_14partition_implILS5_0ELb0ES3_jN6thrust23THRUST_200600_302600_NS6detail15normal_iteratorINSA_10device_ptrIxEEEEPS6_SG_NS0_5tupleIJNSA_16discard_iteratorINSA_11use_defaultEEESK_EEENSH_IJSG_SG_EEES6_PlJ7is_evenIxEEEE10hipError_tPvRmT3_T4_T5_T6_T7_T9_mT8_P12ihipStream_tbDpT10_ENKUlT_T0_E_clISt17integral_constantIbLb0EES18_IbLb1EEEEDaS14_S15_EUlS14_E_NS1_11comp_targetILNS1_3genE4ELNS1_11target_archE910ELNS1_3gpuE8ELNS1_3repE0EEENS1_30default_config_static_selectorELNS0_4arch9wavefront6targetE1EEEvT1_
    .private_segment_fixed_size: 0
    .sgpr_count:     6
    .sgpr_spill_count: 0
    .symbol:         _ZN7rocprim17ROCPRIM_400000_NS6detail17trampoline_kernelINS0_14default_configENS1_25partition_config_selectorILNS1_17partition_subalgoE0ExNS0_10empty_typeEbEEZZNS1_14partition_implILS5_0ELb0ES3_jN6thrust23THRUST_200600_302600_NS6detail15normal_iteratorINSA_10device_ptrIxEEEEPS6_SG_NS0_5tupleIJNSA_16discard_iteratorINSA_11use_defaultEEESK_EEENSH_IJSG_SG_EEES6_PlJ7is_evenIxEEEE10hipError_tPvRmT3_T4_T5_T6_T7_T9_mT8_P12ihipStream_tbDpT10_ENKUlT_T0_E_clISt17integral_constantIbLb0EES18_IbLb1EEEEDaS14_S15_EUlS14_E_NS1_11comp_targetILNS1_3genE4ELNS1_11target_archE910ELNS1_3gpuE8ELNS1_3repE0EEENS1_30default_config_static_selectorELNS0_4arch9wavefront6targetE1EEEvT1_.kd
    .uniform_work_group_size: 1
    .uses_dynamic_stack: false
    .vgpr_count:     0
    .vgpr_spill_count: 0
    .wavefront_size: 64
  - .agpr_count:     0
    .args:
      - .offset:         0
        .size:           152
        .value_kind:     by_value
    .group_segment_fixed_size: 0
    .kernarg_segment_align: 8
    .kernarg_segment_size: 152
    .language:       OpenCL C
    .language_version:
      - 2
      - 0
    .max_flat_workgroup_size: 128
    .name:           _ZN7rocprim17ROCPRIM_400000_NS6detail17trampoline_kernelINS0_14default_configENS1_25partition_config_selectorILNS1_17partition_subalgoE0ExNS0_10empty_typeEbEEZZNS1_14partition_implILS5_0ELb0ES3_jN6thrust23THRUST_200600_302600_NS6detail15normal_iteratorINSA_10device_ptrIxEEEEPS6_SG_NS0_5tupleIJNSA_16discard_iteratorINSA_11use_defaultEEESK_EEENSH_IJSG_SG_EEES6_PlJ7is_evenIxEEEE10hipError_tPvRmT3_T4_T5_T6_T7_T9_mT8_P12ihipStream_tbDpT10_ENKUlT_T0_E_clISt17integral_constantIbLb0EES18_IbLb1EEEEDaS14_S15_EUlS14_E_NS1_11comp_targetILNS1_3genE3ELNS1_11target_archE908ELNS1_3gpuE7ELNS1_3repE0EEENS1_30default_config_static_selectorELNS0_4arch9wavefront6targetE1EEEvT1_
    .private_segment_fixed_size: 0
    .sgpr_count:     6
    .sgpr_spill_count: 0
    .symbol:         _ZN7rocprim17ROCPRIM_400000_NS6detail17trampoline_kernelINS0_14default_configENS1_25partition_config_selectorILNS1_17partition_subalgoE0ExNS0_10empty_typeEbEEZZNS1_14partition_implILS5_0ELb0ES3_jN6thrust23THRUST_200600_302600_NS6detail15normal_iteratorINSA_10device_ptrIxEEEEPS6_SG_NS0_5tupleIJNSA_16discard_iteratorINSA_11use_defaultEEESK_EEENSH_IJSG_SG_EEES6_PlJ7is_evenIxEEEE10hipError_tPvRmT3_T4_T5_T6_T7_T9_mT8_P12ihipStream_tbDpT10_ENKUlT_T0_E_clISt17integral_constantIbLb0EES18_IbLb1EEEEDaS14_S15_EUlS14_E_NS1_11comp_targetILNS1_3genE3ELNS1_11target_archE908ELNS1_3gpuE7ELNS1_3repE0EEENS1_30default_config_static_selectorELNS0_4arch9wavefront6targetE1EEEvT1_.kd
    .uniform_work_group_size: 1
    .uses_dynamic_stack: false
    .vgpr_count:     0
    .vgpr_spill_count: 0
    .wavefront_size: 64
  - .agpr_count:     0
    .args:
      - .offset:         0
        .size:           152
        .value_kind:     by_value
    .group_segment_fixed_size: 0
    .kernarg_segment_align: 8
    .kernarg_segment_size: 152
    .language:       OpenCL C
    .language_version:
      - 2
      - 0
    .max_flat_workgroup_size: 256
    .name:           _ZN7rocprim17ROCPRIM_400000_NS6detail17trampoline_kernelINS0_14default_configENS1_25partition_config_selectorILNS1_17partition_subalgoE0ExNS0_10empty_typeEbEEZZNS1_14partition_implILS5_0ELb0ES3_jN6thrust23THRUST_200600_302600_NS6detail15normal_iteratorINSA_10device_ptrIxEEEEPS6_SG_NS0_5tupleIJNSA_16discard_iteratorINSA_11use_defaultEEESK_EEENSH_IJSG_SG_EEES6_PlJ7is_evenIxEEEE10hipError_tPvRmT3_T4_T5_T6_T7_T9_mT8_P12ihipStream_tbDpT10_ENKUlT_T0_E_clISt17integral_constantIbLb0EES18_IbLb1EEEEDaS14_S15_EUlS14_E_NS1_11comp_targetILNS1_3genE2ELNS1_11target_archE906ELNS1_3gpuE6ELNS1_3repE0EEENS1_30default_config_static_selectorELNS0_4arch9wavefront6targetE1EEEvT1_
    .private_segment_fixed_size: 0
    .sgpr_count:     6
    .sgpr_spill_count: 0
    .symbol:         _ZN7rocprim17ROCPRIM_400000_NS6detail17trampoline_kernelINS0_14default_configENS1_25partition_config_selectorILNS1_17partition_subalgoE0ExNS0_10empty_typeEbEEZZNS1_14partition_implILS5_0ELb0ES3_jN6thrust23THRUST_200600_302600_NS6detail15normal_iteratorINSA_10device_ptrIxEEEEPS6_SG_NS0_5tupleIJNSA_16discard_iteratorINSA_11use_defaultEEESK_EEENSH_IJSG_SG_EEES6_PlJ7is_evenIxEEEE10hipError_tPvRmT3_T4_T5_T6_T7_T9_mT8_P12ihipStream_tbDpT10_ENKUlT_T0_E_clISt17integral_constantIbLb0EES18_IbLb1EEEEDaS14_S15_EUlS14_E_NS1_11comp_targetILNS1_3genE2ELNS1_11target_archE906ELNS1_3gpuE6ELNS1_3repE0EEENS1_30default_config_static_selectorELNS0_4arch9wavefront6targetE1EEEvT1_.kd
    .uniform_work_group_size: 1
    .uses_dynamic_stack: false
    .vgpr_count:     0
    .vgpr_spill_count: 0
    .wavefront_size: 64
  - .agpr_count:     0
    .args:
      - .offset:         0
        .size:           152
        .value_kind:     by_value
    .group_segment_fixed_size: 0
    .kernarg_segment_align: 8
    .kernarg_segment_size: 152
    .language:       OpenCL C
    .language_version:
      - 2
      - 0
    .max_flat_workgroup_size: 512
    .name:           _ZN7rocprim17ROCPRIM_400000_NS6detail17trampoline_kernelINS0_14default_configENS1_25partition_config_selectorILNS1_17partition_subalgoE0ExNS0_10empty_typeEbEEZZNS1_14partition_implILS5_0ELb0ES3_jN6thrust23THRUST_200600_302600_NS6detail15normal_iteratorINSA_10device_ptrIxEEEEPS6_SG_NS0_5tupleIJNSA_16discard_iteratorINSA_11use_defaultEEESK_EEENSH_IJSG_SG_EEES6_PlJ7is_evenIxEEEE10hipError_tPvRmT3_T4_T5_T6_T7_T9_mT8_P12ihipStream_tbDpT10_ENKUlT_T0_E_clISt17integral_constantIbLb0EES18_IbLb1EEEEDaS14_S15_EUlS14_E_NS1_11comp_targetILNS1_3genE10ELNS1_11target_archE1200ELNS1_3gpuE4ELNS1_3repE0EEENS1_30default_config_static_selectorELNS0_4arch9wavefront6targetE1EEEvT1_
    .private_segment_fixed_size: 0
    .sgpr_count:     6
    .sgpr_spill_count: 0
    .symbol:         _ZN7rocprim17ROCPRIM_400000_NS6detail17trampoline_kernelINS0_14default_configENS1_25partition_config_selectorILNS1_17partition_subalgoE0ExNS0_10empty_typeEbEEZZNS1_14partition_implILS5_0ELb0ES3_jN6thrust23THRUST_200600_302600_NS6detail15normal_iteratorINSA_10device_ptrIxEEEEPS6_SG_NS0_5tupleIJNSA_16discard_iteratorINSA_11use_defaultEEESK_EEENSH_IJSG_SG_EEES6_PlJ7is_evenIxEEEE10hipError_tPvRmT3_T4_T5_T6_T7_T9_mT8_P12ihipStream_tbDpT10_ENKUlT_T0_E_clISt17integral_constantIbLb0EES18_IbLb1EEEEDaS14_S15_EUlS14_E_NS1_11comp_targetILNS1_3genE10ELNS1_11target_archE1200ELNS1_3gpuE4ELNS1_3repE0EEENS1_30default_config_static_selectorELNS0_4arch9wavefront6targetE1EEEvT1_.kd
    .uniform_work_group_size: 1
    .uses_dynamic_stack: false
    .vgpr_count:     0
    .vgpr_spill_count: 0
    .wavefront_size: 64
  - .agpr_count:     0
    .args:
      - .offset:         0
        .size:           152
        .value_kind:     by_value
    .group_segment_fixed_size: 0
    .kernarg_segment_align: 8
    .kernarg_segment_size: 152
    .language:       OpenCL C
    .language_version:
      - 2
      - 0
    .max_flat_workgroup_size: 512
    .name:           _ZN7rocprim17ROCPRIM_400000_NS6detail17trampoline_kernelINS0_14default_configENS1_25partition_config_selectorILNS1_17partition_subalgoE0ExNS0_10empty_typeEbEEZZNS1_14partition_implILS5_0ELb0ES3_jN6thrust23THRUST_200600_302600_NS6detail15normal_iteratorINSA_10device_ptrIxEEEEPS6_SG_NS0_5tupleIJNSA_16discard_iteratorINSA_11use_defaultEEESK_EEENSH_IJSG_SG_EEES6_PlJ7is_evenIxEEEE10hipError_tPvRmT3_T4_T5_T6_T7_T9_mT8_P12ihipStream_tbDpT10_ENKUlT_T0_E_clISt17integral_constantIbLb0EES18_IbLb1EEEEDaS14_S15_EUlS14_E_NS1_11comp_targetILNS1_3genE9ELNS1_11target_archE1100ELNS1_3gpuE3ELNS1_3repE0EEENS1_30default_config_static_selectorELNS0_4arch9wavefront6targetE1EEEvT1_
    .private_segment_fixed_size: 0
    .sgpr_count:     6
    .sgpr_spill_count: 0
    .symbol:         _ZN7rocprim17ROCPRIM_400000_NS6detail17trampoline_kernelINS0_14default_configENS1_25partition_config_selectorILNS1_17partition_subalgoE0ExNS0_10empty_typeEbEEZZNS1_14partition_implILS5_0ELb0ES3_jN6thrust23THRUST_200600_302600_NS6detail15normal_iteratorINSA_10device_ptrIxEEEEPS6_SG_NS0_5tupleIJNSA_16discard_iteratorINSA_11use_defaultEEESK_EEENSH_IJSG_SG_EEES6_PlJ7is_evenIxEEEE10hipError_tPvRmT3_T4_T5_T6_T7_T9_mT8_P12ihipStream_tbDpT10_ENKUlT_T0_E_clISt17integral_constantIbLb0EES18_IbLb1EEEEDaS14_S15_EUlS14_E_NS1_11comp_targetILNS1_3genE9ELNS1_11target_archE1100ELNS1_3gpuE3ELNS1_3repE0EEENS1_30default_config_static_selectorELNS0_4arch9wavefront6targetE1EEEvT1_.kd
    .uniform_work_group_size: 1
    .uses_dynamic_stack: false
    .vgpr_count:     0
    .vgpr_spill_count: 0
    .wavefront_size: 64
  - .agpr_count:     0
    .args:
      - .offset:         0
        .size:           152
        .value_kind:     by_value
    .group_segment_fixed_size: 0
    .kernarg_segment_align: 8
    .kernarg_segment_size: 152
    .language:       OpenCL C
    .language_version:
      - 2
      - 0
    .max_flat_workgroup_size: 512
    .name:           _ZN7rocprim17ROCPRIM_400000_NS6detail17trampoline_kernelINS0_14default_configENS1_25partition_config_selectorILNS1_17partition_subalgoE0ExNS0_10empty_typeEbEEZZNS1_14partition_implILS5_0ELb0ES3_jN6thrust23THRUST_200600_302600_NS6detail15normal_iteratorINSA_10device_ptrIxEEEEPS6_SG_NS0_5tupleIJNSA_16discard_iteratorINSA_11use_defaultEEESK_EEENSH_IJSG_SG_EEES6_PlJ7is_evenIxEEEE10hipError_tPvRmT3_T4_T5_T6_T7_T9_mT8_P12ihipStream_tbDpT10_ENKUlT_T0_E_clISt17integral_constantIbLb0EES18_IbLb1EEEEDaS14_S15_EUlS14_E_NS1_11comp_targetILNS1_3genE8ELNS1_11target_archE1030ELNS1_3gpuE2ELNS1_3repE0EEENS1_30default_config_static_selectorELNS0_4arch9wavefront6targetE1EEEvT1_
    .private_segment_fixed_size: 0
    .sgpr_count:     6
    .sgpr_spill_count: 0
    .symbol:         _ZN7rocprim17ROCPRIM_400000_NS6detail17trampoline_kernelINS0_14default_configENS1_25partition_config_selectorILNS1_17partition_subalgoE0ExNS0_10empty_typeEbEEZZNS1_14partition_implILS5_0ELb0ES3_jN6thrust23THRUST_200600_302600_NS6detail15normal_iteratorINSA_10device_ptrIxEEEEPS6_SG_NS0_5tupleIJNSA_16discard_iteratorINSA_11use_defaultEEESK_EEENSH_IJSG_SG_EEES6_PlJ7is_evenIxEEEE10hipError_tPvRmT3_T4_T5_T6_T7_T9_mT8_P12ihipStream_tbDpT10_ENKUlT_T0_E_clISt17integral_constantIbLb0EES18_IbLb1EEEEDaS14_S15_EUlS14_E_NS1_11comp_targetILNS1_3genE8ELNS1_11target_archE1030ELNS1_3gpuE2ELNS1_3repE0EEENS1_30default_config_static_selectorELNS0_4arch9wavefront6targetE1EEEvT1_.kd
    .uniform_work_group_size: 1
    .uses_dynamic_stack: false
    .vgpr_count:     0
    .vgpr_spill_count: 0
    .wavefront_size: 64
  - .agpr_count:     0
    .args:
      - .offset:         0
        .size:           128
        .value_kind:     by_value
    .group_segment_fixed_size: 0
    .kernarg_segment_align: 8
    .kernarg_segment_size: 128
    .language:       OpenCL C
    .language_version:
      - 2
      - 0
    .max_flat_workgroup_size: 128
    .name:           _ZN7rocprim17ROCPRIM_400000_NS6detail17trampoline_kernelINS0_14default_configENS1_25partition_config_selectorILNS1_17partition_subalgoE0ExNS0_10empty_typeEbEEZZNS1_14partition_implILS5_0ELb0ES3_jN6thrust23THRUST_200600_302600_NS6detail15normal_iteratorINSA_10device_ptrIxEEEEPS6_SG_NS0_5tupleIJSF_NSA_16discard_iteratorINSA_11use_defaultEEEEEENSH_IJSG_SG_EEES6_PlJ7is_evenIxEEEE10hipError_tPvRmT3_T4_T5_T6_T7_T9_mT8_P12ihipStream_tbDpT10_ENKUlT_T0_E_clISt17integral_constantIbLb0EES19_EEDaS14_S15_EUlS14_E_NS1_11comp_targetILNS1_3genE0ELNS1_11target_archE4294967295ELNS1_3gpuE0ELNS1_3repE0EEENS1_30default_config_static_selectorELNS0_4arch9wavefront6targetE1EEEvT1_
    .private_segment_fixed_size: 0
    .sgpr_count:     6
    .sgpr_spill_count: 0
    .symbol:         _ZN7rocprim17ROCPRIM_400000_NS6detail17trampoline_kernelINS0_14default_configENS1_25partition_config_selectorILNS1_17partition_subalgoE0ExNS0_10empty_typeEbEEZZNS1_14partition_implILS5_0ELb0ES3_jN6thrust23THRUST_200600_302600_NS6detail15normal_iteratorINSA_10device_ptrIxEEEEPS6_SG_NS0_5tupleIJSF_NSA_16discard_iteratorINSA_11use_defaultEEEEEENSH_IJSG_SG_EEES6_PlJ7is_evenIxEEEE10hipError_tPvRmT3_T4_T5_T6_T7_T9_mT8_P12ihipStream_tbDpT10_ENKUlT_T0_E_clISt17integral_constantIbLb0EES19_EEDaS14_S15_EUlS14_E_NS1_11comp_targetILNS1_3genE0ELNS1_11target_archE4294967295ELNS1_3gpuE0ELNS1_3repE0EEENS1_30default_config_static_selectorELNS0_4arch9wavefront6targetE1EEEvT1_.kd
    .uniform_work_group_size: 1
    .uses_dynamic_stack: false
    .vgpr_count:     0
    .vgpr_spill_count: 0
    .wavefront_size: 64
  - .agpr_count:     0
    .args:
      - .offset:         0
        .size:           128
        .value_kind:     by_value
    .group_segment_fixed_size: 28680
    .kernarg_segment_align: 8
    .kernarg_segment_size: 128
    .language:       OpenCL C
    .language_version:
      - 2
      - 0
    .max_flat_workgroup_size: 512
    .name:           _ZN7rocprim17ROCPRIM_400000_NS6detail17trampoline_kernelINS0_14default_configENS1_25partition_config_selectorILNS1_17partition_subalgoE0ExNS0_10empty_typeEbEEZZNS1_14partition_implILS5_0ELb0ES3_jN6thrust23THRUST_200600_302600_NS6detail15normal_iteratorINSA_10device_ptrIxEEEEPS6_SG_NS0_5tupleIJSF_NSA_16discard_iteratorINSA_11use_defaultEEEEEENSH_IJSG_SG_EEES6_PlJ7is_evenIxEEEE10hipError_tPvRmT3_T4_T5_T6_T7_T9_mT8_P12ihipStream_tbDpT10_ENKUlT_T0_E_clISt17integral_constantIbLb0EES19_EEDaS14_S15_EUlS14_E_NS1_11comp_targetILNS1_3genE5ELNS1_11target_archE942ELNS1_3gpuE9ELNS1_3repE0EEENS1_30default_config_static_selectorELNS0_4arch9wavefront6targetE1EEEvT1_
    .private_segment_fixed_size: 0
    .sgpr_count:     46
    .sgpr_spill_count: 0
    .symbol:         _ZN7rocprim17ROCPRIM_400000_NS6detail17trampoline_kernelINS0_14default_configENS1_25partition_config_selectorILNS1_17partition_subalgoE0ExNS0_10empty_typeEbEEZZNS1_14partition_implILS5_0ELb0ES3_jN6thrust23THRUST_200600_302600_NS6detail15normal_iteratorINSA_10device_ptrIxEEEEPS6_SG_NS0_5tupleIJSF_NSA_16discard_iteratorINSA_11use_defaultEEEEEENSH_IJSG_SG_EEES6_PlJ7is_evenIxEEEE10hipError_tPvRmT3_T4_T5_T6_T7_T9_mT8_P12ihipStream_tbDpT10_ENKUlT_T0_E_clISt17integral_constantIbLb0EES19_EEDaS14_S15_EUlS14_E_NS1_11comp_targetILNS1_3genE5ELNS1_11target_archE942ELNS1_3gpuE9ELNS1_3repE0EEENS1_30default_config_static_selectorELNS0_4arch9wavefront6targetE1EEEvT1_.kd
    .uniform_work_group_size: 1
    .uses_dynamic_stack: false
    .vgpr_count:     57
    .vgpr_spill_count: 0
    .wavefront_size: 64
  - .agpr_count:     0
    .args:
      - .offset:         0
        .size:           128
        .value_kind:     by_value
    .group_segment_fixed_size: 0
    .kernarg_segment_align: 8
    .kernarg_segment_size: 128
    .language:       OpenCL C
    .language_version:
      - 2
      - 0
    .max_flat_workgroup_size: 192
    .name:           _ZN7rocprim17ROCPRIM_400000_NS6detail17trampoline_kernelINS0_14default_configENS1_25partition_config_selectorILNS1_17partition_subalgoE0ExNS0_10empty_typeEbEEZZNS1_14partition_implILS5_0ELb0ES3_jN6thrust23THRUST_200600_302600_NS6detail15normal_iteratorINSA_10device_ptrIxEEEEPS6_SG_NS0_5tupleIJSF_NSA_16discard_iteratorINSA_11use_defaultEEEEEENSH_IJSG_SG_EEES6_PlJ7is_evenIxEEEE10hipError_tPvRmT3_T4_T5_T6_T7_T9_mT8_P12ihipStream_tbDpT10_ENKUlT_T0_E_clISt17integral_constantIbLb0EES19_EEDaS14_S15_EUlS14_E_NS1_11comp_targetILNS1_3genE4ELNS1_11target_archE910ELNS1_3gpuE8ELNS1_3repE0EEENS1_30default_config_static_selectorELNS0_4arch9wavefront6targetE1EEEvT1_
    .private_segment_fixed_size: 0
    .sgpr_count:     6
    .sgpr_spill_count: 0
    .symbol:         _ZN7rocprim17ROCPRIM_400000_NS6detail17trampoline_kernelINS0_14default_configENS1_25partition_config_selectorILNS1_17partition_subalgoE0ExNS0_10empty_typeEbEEZZNS1_14partition_implILS5_0ELb0ES3_jN6thrust23THRUST_200600_302600_NS6detail15normal_iteratorINSA_10device_ptrIxEEEEPS6_SG_NS0_5tupleIJSF_NSA_16discard_iteratorINSA_11use_defaultEEEEEENSH_IJSG_SG_EEES6_PlJ7is_evenIxEEEE10hipError_tPvRmT3_T4_T5_T6_T7_T9_mT8_P12ihipStream_tbDpT10_ENKUlT_T0_E_clISt17integral_constantIbLb0EES19_EEDaS14_S15_EUlS14_E_NS1_11comp_targetILNS1_3genE4ELNS1_11target_archE910ELNS1_3gpuE8ELNS1_3repE0EEENS1_30default_config_static_selectorELNS0_4arch9wavefront6targetE1EEEvT1_.kd
    .uniform_work_group_size: 1
    .uses_dynamic_stack: false
    .vgpr_count:     0
    .vgpr_spill_count: 0
    .wavefront_size: 64
  - .agpr_count:     0
    .args:
      - .offset:         0
        .size:           128
        .value_kind:     by_value
    .group_segment_fixed_size: 0
    .kernarg_segment_align: 8
    .kernarg_segment_size: 128
    .language:       OpenCL C
    .language_version:
      - 2
      - 0
    .max_flat_workgroup_size: 128
    .name:           _ZN7rocprim17ROCPRIM_400000_NS6detail17trampoline_kernelINS0_14default_configENS1_25partition_config_selectorILNS1_17partition_subalgoE0ExNS0_10empty_typeEbEEZZNS1_14partition_implILS5_0ELb0ES3_jN6thrust23THRUST_200600_302600_NS6detail15normal_iteratorINSA_10device_ptrIxEEEEPS6_SG_NS0_5tupleIJSF_NSA_16discard_iteratorINSA_11use_defaultEEEEEENSH_IJSG_SG_EEES6_PlJ7is_evenIxEEEE10hipError_tPvRmT3_T4_T5_T6_T7_T9_mT8_P12ihipStream_tbDpT10_ENKUlT_T0_E_clISt17integral_constantIbLb0EES19_EEDaS14_S15_EUlS14_E_NS1_11comp_targetILNS1_3genE3ELNS1_11target_archE908ELNS1_3gpuE7ELNS1_3repE0EEENS1_30default_config_static_selectorELNS0_4arch9wavefront6targetE1EEEvT1_
    .private_segment_fixed_size: 0
    .sgpr_count:     6
    .sgpr_spill_count: 0
    .symbol:         _ZN7rocprim17ROCPRIM_400000_NS6detail17trampoline_kernelINS0_14default_configENS1_25partition_config_selectorILNS1_17partition_subalgoE0ExNS0_10empty_typeEbEEZZNS1_14partition_implILS5_0ELb0ES3_jN6thrust23THRUST_200600_302600_NS6detail15normal_iteratorINSA_10device_ptrIxEEEEPS6_SG_NS0_5tupleIJSF_NSA_16discard_iteratorINSA_11use_defaultEEEEEENSH_IJSG_SG_EEES6_PlJ7is_evenIxEEEE10hipError_tPvRmT3_T4_T5_T6_T7_T9_mT8_P12ihipStream_tbDpT10_ENKUlT_T0_E_clISt17integral_constantIbLb0EES19_EEDaS14_S15_EUlS14_E_NS1_11comp_targetILNS1_3genE3ELNS1_11target_archE908ELNS1_3gpuE7ELNS1_3repE0EEENS1_30default_config_static_selectorELNS0_4arch9wavefront6targetE1EEEvT1_.kd
    .uniform_work_group_size: 1
    .uses_dynamic_stack: false
    .vgpr_count:     0
    .vgpr_spill_count: 0
    .wavefront_size: 64
  - .agpr_count:     0
    .args:
      - .offset:         0
        .size:           128
        .value_kind:     by_value
    .group_segment_fixed_size: 0
    .kernarg_segment_align: 8
    .kernarg_segment_size: 128
    .language:       OpenCL C
    .language_version:
      - 2
      - 0
    .max_flat_workgroup_size: 256
    .name:           _ZN7rocprim17ROCPRIM_400000_NS6detail17trampoline_kernelINS0_14default_configENS1_25partition_config_selectorILNS1_17partition_subalgoE0ExNS0_10empty_typeEbEEZZNS1_14partition_implILS5_0ELb0ES3_jN6thrust23THRUST_200600_302600_NS6detail15normal_iteratorINSA_10device_ptrIxEEEEPS6_SG_NS0_5tupleIJSF_NSA_16discard_iteratorINSA_11use_defaultEEEEEENSH_IJSG_SG_EEES6_PlJ7is_evenIxEEEE10hipError_tPvRmT3_T4_T5_T6_T7_T9_mT8_P12ihipStream_tbDpT10_ENKUlT_T0_E_clISt17integral_constantIbLb0EES19_EEDaS14_S15_EUlS14_E_NS1_11comp_targetILNS1_3genE2ELNS1_11target_archE906ELNS1_3gpuE6ELNS1_3repE0EEENS1_30default_config_static_selectorELNS0_4arch9wavefront6targetE1EEEvT1_
    .private_segment_fixed_size: 0
    .sgpr_count:     6
    .sgpr_spill_count: 0
    .symbol:         _ZN7rocprim17ROCPRIM_400000_NS6detail17trampoline_kernelINS0_14default_configENS1_25partition_config_selectorILNS1_17partition_subalgoE0ExNS0_10empty_typeEbEEZZNS1_14partition_implILS5_0ELb0ES3_jN6thrust23THRUST_200600_302600_NS6detail15normal_iteratorINSA_10device_ptrIxEEEEPS6_SG_NS0_5tupleIJSF_NSA_16discard_iteratorINSA_11use_defaultEEEEEENSH_IJSG_SG_EEES6_PlJ7is_evenIxEEEE10hipError_tPvRmT3_T4_T5_T6_T7_T9_mT8_P12ihipStream_tbDpT10_ENKUlT_T0_E_clISt17integral_constantIbLb0EES19_EEDaS14_S15_EUlS14_E_NS1_11comp_targetILNS1_3genE2ELNS1_11target_archE906ELNS1_3gpuE6ELNS1_3repE0EEENS1_30default_config_static_selectorELNS0_4arch9wavefront6targetE1EEEvT1_.kd
    .uniform_work_group_size: 1
    .uses_dynamic_stack: false
    .vgpr_count:     0
    .vgpr_spill_count: 0
    .wavefront_size: 64
  - .agpr_count:     0
    .args:
      - .offset:         0
        .size:           128
        .value_kind:     by_value
    .group_segment_fixed_size: 0
    .kernarg_segment_align: 8
    .kernarg_segment_size: 128
    .language:       OpenCL C
    .language_version:
      - 2
      - 0
    .max_flat_workgroup_size: 512
    .name:           _ZN7rocprim17ROCPRIM_400000_NS6detail17trampoline_kernelINS0_14default_configENS1_25partition_config_selectorILNS1_17partition_subalgoE0ExNS0_10empty_typeEbEEZZNS1_14partition_implILS5_0ELb0ES3_jN6thrust23THRUST_200600_302600_NS6detail15normal_iteratorINSA_10device_ptrIxEEEEPS6_SG_NS0_5tupleIJSF_NSA_16discard_iteratorINSA_11use_defaultEEEEEENSH_IJSG_SG_EEES6_PlJ7is_evenIxEEEE10hipError_tPvRmT3_T4_T5_T6_T7_T9_mT8_P12ihipStream_tbDpT10_ENKUlT_T0_E_clISt17integral_constantIbLb0EES19_EEDaS14_S15_EUlS14_E_NS1_11comp_targetILNS1_3genE10ELNS1_11target_archE1200ELNS1_3gpuE4ELNS1_3repE0EEENS1_30default_config_static_selectorELNS0_4arch9wavefront6targetE1EEEvT1_
    .private_segment_fixed_size: 0
    .sgpr_count:     6
    .sgpr_spill_count: 0
    .symbol:         _ZN7rocprim17ROCPRIM_400000_NS6detail17trampoline_kernelINS0_14default_configENS1_25partition_config_selectorILNS1_17partition_subalgoE0ExNS0_10empty_typeEbEEZZNS1_14partition_implILS5_0ELb0ES3_jN6thrust23THRUST_200600_302600_NS6detail15normal_iteratorINSA_10device_ptrIxEEEEPS6_SG_NS0_5tupleIJSF_NSA_16discard_iteratorINSA_11use_defaultEEEEEENSH_IJSG_SG_EEES6_PlJ7is_evenIxEEEE10hipError_tPvRmT3_T4_T5_T6_T7_T9_mT8_P12ihipStream_tbDpT10_ENKUlT_T0_E_clISt17integral_constantIbLb0EES19_EEDaS14_S15_EUlS14_E_NS1_11comp_targetILNS1_3genE10ELNS1_11target_archE1200ELNS1_3gpuE4ELNS1_3repE0EEENS1_30default_config_static_selectorELNS0_4arch9wavefront6targetE1EEEvT1_.kd
    .uniform_work_group_size: 1
    .uses_dynamic_stack: false
    .vgpr_count:     0
    .vgpr_spill_count: 0
    .wavefront_size: 64
  - .agpr_count:     0
    .args:
      - .offset:         0
        .size:           128
        .value_kind:     by_value
    .group_segment_fixed_size: 0
    .kernarg_segment_align: 8
    .kernarg_segment_size: 128
    .language:       OpenCL C
    .language_version:
      - 2
      - 0
    .max_flat_workgroup_size: 512
    .name:           _ZN7rocprim17ROCPRIM_400000_NS6detail17trampoline_kernelINS0_14default_configENS1_25partition_config_selectorILNS1_17partition_subalgoE0ExNS0_10empty_typeEbEEZZNS1_14partition_implILS5_0ELb0ES3_jN6thrust23THRUST_200600_302600_NS6detail15normal_iteratorINSA_10device_ptrIxEEEEPS6_SG_NS0_5tupleIJSF_NSA_16discard_iteratorINSA_11use_defaultEEEEEENSH_IJSG_SG_EEES6_PlJ7is_evenIxEEEE10hipError_tPvRmT3_T4_T5_T6_T7_T9_mT8_P12ihipStream_tbDpT10_ENKUlT_T0_E_clISt17integral_constantIbLb0EES19_EEDaS14_S15_EUlS14_E_NS1_11comp_targetILNS1_3genE9ELNS1_11target_archE1100ELNS1_3gpuE3ELNS1_3repE0EEENS1_30default_config_static_selectorELNS0_4arch9wavefront6targetE1EEEvT1_
    .private_segment_fixed_size: 0
    .sgpr_count:     6
    .sgpr_spill_count: 0
    .symbol:         _ZN7rocprim17ROCPRIM_400000_NS6detail17trampoline_kernelINS0_14default_configENS1_25partition_config_selectorILNS1_17partition_subalgoE0ExNS0_10empty_typeEbEEZZNS1_14partition_implILS5_0ELb0ES3_jN6thrust23THRUST_200600_302600_NS6detail15normal_iteratorINSA_10device_ptrIxEEEEPS6_SG_NS0_5tupleIJSF_NSA_16discard_iteratorINSA_11use_defaultEEEEEENSH_IJSG_SG_EEES6_PlJ7is_evenIxEEEE10hipError_tPvRmT3_T4_T5_T6_T7_T9_mT8_P12ihipStream_tbDpT10_ENKUlT_T0_E_clISt17integral_constantIbLb0EES19_EEDaS14_S15_EUlS14_E_NS1_11comp_targetILNS1_3genE9ELNS1_11target_archE1100ELNS1_3gpuE3ELNS1_3repE0EEENS1_30default_config_static_selectorELNS0_4arch9wavefront6targetE1EEEvT1_.kd
    .uniform_work_group_size: 1
    .uses_dynamic_stack: false
    .vgpr_count:     0
    .vgpr_spill_count: 0
    .wavefront_size: 64
  - .agpr_count:     0
    .args:
      - .offset:         0
        .size:           128
        .value_kind:     by_value
    .group_segment_fixed_size: 0
    .kernarg_segment_align: 8
    .kernarg_segment_size: 128
    .language:       OpenCL C
    .language_version:
      - 2
      - 0
    .max_flat_workgroup_size: 512
    .name:           _ZN7rocprim17ROCPRIM_400000_NS6detail17trampoline_kernelINS0_14default_configENS1_25partition_config_selectorILNS1_17partition_subalgoE0ExNS0_10empty_typeEbEEZZNS1_14partition_implILS5_0ELb0ES3_jN6thrust23THRUST_200600_302600_NS6detail15normal_iteratorINSA_10device_ptrIxEEEEPS6_SG_NS0_5tupleIJSF_NSA_16discard_iteratorINSA_11use_defaultEEEEEENSH_IJSG_SG_EEES6_PlJ7is_evenIxEEEE10hipError_tPvRmT3_T4_T5_T6_T7_T9_mT8_P12ihipStream_tbDpT10_ENKUlT_T0_E_clISt17integral_constantIbLb0EES19_EEDaS14_S15_EUlS14_E_NS1_11comp_targetILNS1_3genE8ELNS1_11target_archE1030ELNS1_3gpuE2ELNS1_3repE0EEENS1_30default_config_static_selectorELNS0_4arch9wavefront6targetE1EEEvT1_
    .private_segment_fixed_size: 0
    .sgpr_count:     6
    .sgpr_spill_count: 0
    .symbol:         _ZN7rocprim17ROCPRIM_400000_NS6detail17trampoline_kernelINS0_14default_configENS1_25partition_config_selectorILNS1_17partition_subalgoE0ExNS0_10empty_typeEbEEZZNS1_14partition_implILS5_0ELb0ES3_jN6thrust23THRUST_200600_302600_NS6detail15normal_iteratorINSA_10device_ptrIxEEEEPS6_SG_NS0_5tupleIJSF_NSA_16discard_iteratorINSA_11use_defaultEEEEEENSH_IJSG_SG_EEES6_PlJ7is_evenIxEEEE10hipError_tPvRmT3_T4_T5_T6_T7_T9_mT8_P12ihipStream_tbDpT10_ENKUlT_T0_E_clISt17integral_constantIbLb0EES19_EEDaS14_S15_EUlS14_E_NS1_11comp_targetILNS1_3genE8ELNS1_11target_archE1030ELNS1_3gpuE2ELNS1_3repE0EEENS1_30default_config_static_selectorELNS0_4arch9wavefront6targetE1EEEvT1_.kd
    .uniform_work_group_size: 1
    .uses_dynamic_stack: false
    .vgpr_count:     0
    .vgpr_spill_count: 0
    .wavefront_size: 64
  - .agpr_count:     0
    .args:
      - .offset:         0
        .size:           144
        .value_kind:     by_value
    .group_segment_fixed_size: 0
    .kernarg_segment_align: 8
    .kernarg_segment_size: 144
    .language:       OpenCL C
    .language_version:
      - 2
      - 0
    .max_flat_workgroup_size: 128
    .name:           _ZN7rocprim17ROCPRIM_400000_NS6detail17trampoline_kernelINS0_14default_configENS1_25partition_config_selectorILNS1_17partition_subalgoE0ExNS0_10empty_typeEbEEZZNS1_14partition_implILS5_0ELb0ES3_jN6thrust23THRUST_200600_302600_NS6detail15normal_iteratorINSA_10device_ptrIxEEEEPS6_SG_NS0_5tupleIJSF_NSA_16discard_iteratorINSA_11use_defaultEEEEEENSH_IJSG_SG_EEES6_PlJ7is_evenIxEEEE10hipError_tPvRmT3_T4_T5_T6_T7_T9_mT8_P12ihipStream_tbDpT10_ENKUlT_T0_E_clISt17integral_constantIbLb1EES19_EEDaS14_S15_EUlS14_E_NS1_11comp_targetILNS1_3genE0ELNS1_11target_archE4294967295ELNS1_3gpuE0ELNS1_3repE0EEENS1_30default_config_static_selectorELNS0_4arch9wavefront6targetE1EEEvT1_
    .private_segment_fixed_size: 0
    .sgpr_count:     6
    .sgpr_spill_count: 0
    .symbol:         _ZN7rocprim17ROCPRIM_400000_NS6detail17trampoline_kernelINS0_14default_configENS1_25partition_config_selectorILNS1_17partition_subalgoE0ExNS0_10empty_typeEbEEZZNS1_14partition_implILS5_0ELb0ES3_jN6thrust23THRUST_200600_302600_NS6detail15normal_iteratorINSA_10device_ptrIxEEEEPS6_SG_NS0_5tupleIJSF_NSA_16discard_iteratorINSA_11use_defaultEEEEEENSH_IJSG_SG_EEES6_PlJ7is_evenIxEEEE10hipError_tPvRmT3_T4_T5_T6_T7_T9_mT8_P12ihipStream_tbDpT10_ENKUlT_T0_E_clISt17integral_constantIbLb1EES19_EEDaS14_S15_EUlS14_E_NS1_11comp_targetILNS1_3genE0ELNS1_11target_archE4294967295ELNS1_3gpuE0ELNS1_3repE0EEENS1_30default_config_static_selectorELNS0_4arch9wavefront6targetE1EEEvT1_.kd
    .uniform_work_group_size: 1
    .uses_dynamic_stack: false
    .vgpr_count:     0
    .vgpr_spill_count: 0
    .wavefront_size: 64
  - .agpr_count:     0
    .args:
      - .offset:         0
        .size:           144
        .value_kind:     by_value
    .group_segment_fixed_size: 28680
    .kernarg_segment_align: 8
    .kernarg_segment_size: 144
    .language:       OpenCL C
    .language_version:
      - 2
      - 0
    .max_flat_workgroup_size: 512
    .name:           _ZN7rocprim17ROCPRIM_400000_NS6detail17trampoline_kernelINS0_14default_configENS1_25partition_config_selectorILNS1_17partition_subalgoE0ExNS0_10empty_typeEbEEZZNS1_14partition_implILS5_0ELb0ES3_jN6thrust23THRUST_200600_302600_NS6detail15normal_iteratorINSA_10device_ptrIxEEEEPS6_SG_NS0_5tupleIJSF_NSA_16discard_iteratorINSA_11use_defaultEEEEEENSH_IJSG_SG_EEES6_PlJ7is_evenIxEEEE10hipError_tPvRmT3_T4_T5_T6_T7_T9_mT8_P12ihipStream_tbDpT10_ENKUlT_T0_E_clISt17integral_constantIbLb1EES19_EEDaS14_S15_EUlS14_E_NS1_11comp_targetILNS1_3genE5ELNS1_11target_archE942ELNS1_3gpuE9ELNS1_3repE0EEENS1_30default_config_static_selectorELNS0_4arch9wavefront6targetE1EEEvT1_
    .private_segment_fixed_size: 0
    .sgpr_count:     46
    .sgpr_spill_count: 0
    .symbol:         _ZN7rocprim17ROCPRIM_400000_NS6detail17trampoline_kernelINS0_14default_configENS1_25partition_config_selectorILNS1_17partition_subalgoE0ExNS0_10empty_typeEbEEZZNS1_14partition_implILS5_0ELb0ES3_jN6thrust23THRUST_200600_302600_NS6detail15normal_iteratorINSA_10device_ptrIxEEEEPS6_SG_NS0_5tupleIJSF_NSA_16discard_iteratorINSA_11use_defaultEEEEEENSH_IJSG_SG_EEES6_PlJ7is_evenIxEEEE10hipError_tPvRmT3_T4_T5_T6_T7_T9_mT8_P12ihipStream_tbDpT10_ENKUlT_T0_E_clISt17integral_constantIbLb1EES19_EEDaS14_S15_EUlS14_E_NS1_11comp_targetILNS1_3genE5ELNS1_11target_archE942ELNS1_3gpuE9ELNS1_3repE0EEENS1_30default_config_static_selectorELNS0_4arch9wavefront6targetE1EEEvT1_.kd
    .uniform_work_group_size: 1
    .uses_dynamic_stack: false
    .vgpr_count:     59
    .vgpr_spill_count: 0
    .wavefront_size: 64
  - .agpr_count:     0
    .args:
      - .offset:         0
        .size:           144
        .value_kind:     by_value
    .group_segment_fixed_size: 0
    .kernarg_segment_align: 8
    .kernarg_segment_size: 144
    .language:       OpenCL C
    .language_version:
      - 2
      - 0
    .max_flat_workgroup_size: 192
    .name:           _ZN7rocprim17ROCPRIM_400000_NS6detail17trampoline_kernelINS0_14default_configENS1_25partition_config_selectorILNS1_17partition_subalgoE0ExNS0_10empty_typeEbEEZZNS1_14partition_implILS5_0ELb0ES3_jN6thrust23THRUST_200600_302600_NS6detail15normal_iteratorINSA_10device_ptrIxEEEEPS6_SG_NS0_5tupleIJSF_NSA_16discard_iteratorINSA_11use_defaultEEEEEENSH_IJSG_SG_EEES6_PlJ7is_evenIxEEEE10hipError_tPvRmT3_T4_T5_T6_T7_T9_mT8_P12ihipStream_tbDpT10_ENKUlT_T0_E_clISt17integral_constantIbLb1EES19_EEDaS14_S15_EUlS14_E_NS1_11comp_targetILNS1_3genE4ELNS1_11target_archE910ELNS1_3gpuE8ELNS1_3repE0EEENS1_30default_config_static_selectorELNS0_4arch9wavefront6targetE1EEEvT1_
    .private_segment_fixed_size: 0
    .sgpr_count:     6
    .sgpr_spill_count: 0
    .symbol:         _ZN7rocprim17ROCPRIM_400000_NS6detail17trampoline_kernelINS0_14default_configENS1_25partition_config_selectorILNS1_17partition_subalgoE0ExNS0_10empty_typeEbEEZZNS1_14partition_implILS5_0ELb0ES3_jN6thrust23THRUST_200600_302600_NS6detail15normal_iteratorINSA_10device_ptrIxEEEEPS6_SG_NS0_5tupleIJSF_NSA_16discard_iteratorINSA_11use_defaultEEEEEENSH_IJSG_SG_EEES6_PlJ7is_evenIxEEEE10hipError_tPvRmT3_T4_T5_T6_T7_T9_mT8_P12ihipStream_tbDpT10_ENKUlT_T0_E_clISt17integral_constantIbLb1EES19_EEDaS14_S15_EUlS14_E_NS1_11comp_targetILNS1_3genE4ELNS1_11target_archE910ELNS1_3gpuE8ELNS1_3repE0EEENS1_30default_config_static_selectorELNS0_4arch9wavefront6targetE1EEEvT1_.kd
    .uniform_work_group_size: 1
    .uses_dynamic_stack: false
    .vgpr_count:     0
    .vgpr_spill_count: 0
    .wavefront_size: 64
  - .agpr_count:     0
    .args:
      - .offset:         0
        .size:           144
        .value_kind:     by_value
    .group_segment_fixed_size: 0
    .kernarg_segment_align: 8
    .kernarg_segment_size: 144
    .language:       OpenCL C
    .language_version:
      - 2
      - 0
    .max_flat_workgroup_size: 128
    .name:           _ZN7rocprim17ROCPRIM_400000_NS6detail17trampoline_kernelINS0_14default_configENS1_25partition_config_selectorILNS1_17partition_subalgoE0ExNS0_10empty_typeEbEEZZNS1_14partition_implILS5_0ELb0ES3_jN6thrust23THRUST_200600_302600_NS6detail15normal_iteratorINSA_10device_ptrIxEEEEPS6_SG_NS0_5tupleIJSF_NSA_16discard_iteratorINSA_11use_defaultEEEEEENSH_IJSG_SG_EEES6_PlJ7is_evenIxEEEE10hipError_tPvRmT3_T4_T5_T6_T7_T9_mT8_P12ihipStream_tbDpT10_ENKUlT_T0_E_clISt17integral_constantIbLb1EES19_EEDaS14_S15_EUlS14_E_NS1_11comp_targetILNS1_3genE3ELNS1_11target_archE908ELNS1_3gpuE7ELNS1_3repE0EEENS1_30default_config_static_selectorELNS0_4arch9wavefront6targetE1EEEvT1_
    .private_segment_fixed_size: 0
    .sgpr_count:     6
    .sgpr_spill_count: 0
    .symbol:         _ZN7rocprim17ROCPRIM_400000_NS6detail17trampoline_kernelINS0_14default_configENS1_25partition_config_selectorILNS1_17partition_subalgoE0ExNS0_10empty_typeEbEEZZNS1_14partition_implILS5_0ELb0ES3_jN6thrust23THRUST_200600_302600_NS6detail15normal_iteratorINSA_10device_ptrIxEEEEPS6_SG_NS0_5tupleIJSF_NSA_16discard_iteratorINSA_11use_defaultEEEEEENSH_IJSG_SG_EEES6_PlJ7is_evenIxEEEE10hipError_tPvRmT3_T4_T5_T6_T7_T9_mT8_P12ihipStream_tbDpT10_ENKUlT_T0_E_clISt17integral_constantIbLb1EES19_EEDaS14_S15_EUlS14_E_NS1_11comp_targetILNS1_3genE3ELNS1_11target_archE908ELNS1_3gpuE7ELNS1_3repE0EEENS1_30default_config_static_selectorELNS0_4arch9wavefront6targetE1EEEvT1_.kd
    .uniform_work_group_size: 1
    .uses_dynamic_stack: false
    .vgpr_count:     0
    .vgpr_spill_count: 0
    .wavefront_size: 64
  - .agpr_count:     0
    .args:
      - .offset:         0
        .size:           144
        .value_kind:     by_value
    .group_segment_fixed_size: 0
    .kernarg_segment_align: 8
    .kernarg_segment_size: 144
    .language:       OpenCL C
    .language_version:
      - 2
      - 0
    .max_flat_workgroup_size: 256
    .name:           _ZN7rocprim17ROCPRIM_400000_NS6detail17trampoline_kernelINS0_14default_configENS1_25partition_config_selectorILNS1_17partition_subalgoE0ExNS0_10empty_typeEbEEZZNS1_14partition_implILS5_0ELb0ES3_jN6thrust23THRUST_200600_302600_NS6detail15normal_iteratorINSA_10device_ptrIxEEEEPS6_SG_NS0_5tupleIJSF_NSA_16discard_iteratorINSA_11use_defaultEEEEEENSH_IJSG_SG_EEES6_PlJ7is_evenIxEEEE10hipError_tPvRmT3_T4_T5_T6_T7_T9_mT8_P12ihipStream_tbDpT10_ENKUlT_T0_E_clISt17integral_constantIbLb1EES19_EEDaS14_S15_EUlS14_E_NS1_11comp_targetILNS1_3genE2ELNS1_11target_archE906ELNS1_3gpuE6ELNS1_3repE0EEENS1_30default_config_static_selectorELNS0_4arch9wavefront6targetE1EEEvT1_
    .private_segment_fixed_size: 0
    .sgpr_count:     6
    .sgpr_spill_count: 0
    .symbol:         _ZN7rocprim17ROCPRIM_400000_NS6detail17trampoline_kernelINS0_14default_configENS1_25partition_config_selectorILNS1_17partition_subalgoE0ExNS0_10empty_typeEbEEZZNS1_14partition_implILS5_0ELb0ES3_jN6thrust23THRUST_200600_302600_NS6detail15normal_iteratorINSA_10device_ptrIxEEEEPS6_SG_NS0_5tupleIJSF_NSA_16discard_iteratorINSA_11use_defaultEEEEEENSH_IJSG_SG_EEES6_PlJ7is_evenIxEEEE10hipError_tPvRmT3_T4_T5_T6_T7_T9_mT8_P12ihipStream_tbDpT10_ENKUlT_T0_E_clISt17integral_constantIbLb1EES19_EEDaS14_S15_EUlS14_E_NS1_11comp_targetILNS1_3genE2ELNS1_11target_archE906ELNS1_3gpuE6ELNS1_3repE0EEENS1_30default_config_static_selectorELNS0_4arch9wavefront6targetE1EEEvT1_.kd
    .uniform_work_group_size: 1
    .uses_dynamic_stack: false
    .vgpr_count:     0
    .vgpr_spill_count: 0
    .wavefront_size: 64
  - .agpr_count:     0
    .args:
      - .offset:         0
        .size:           144
        .value_kind:     by_value
    .group_segment_fixed_size: 0
    .kernarg_segment_align: 8
    .kernarg_segment_size: 144
    .language:       OpenCL C
    .language_version:
      - 2
      - 0
    .max_flat_workgroup_size: 512
    .name:           _ZN7rocprim17ROCPRIM_400000_NS6detail17trampoline_kernelINS0_14default_configENS1_25partition_config_selectorILNS1_17partition_subalgoE0ExNS0_10empty_typeEbEEZZNS1_14partition_implILS5_0ELb0ES3_jN6thrust23THRUST_200600_302600_NS6detail15normal_iteratorINSA_10device_ptrIxEEEEPS6_SG_NS0_5tupleIJSF_NSA_16discard_iteratorINSA_11use_defaultEEEEEENSH_IJSG_SG_EEES6_PlJ7is_evenIxEEEE10hipError_tPvRmT3_T4_T5_T6_T7_T9_mT8_P12ihipStream_tbDpT10_ENKUlT_T0_E_clISt17integral_constantIbLb1EES19_EEDaS14_S15_EUlS14_E_NS1_11comp_targetILNS1_3genE10ELNS1_11target_archE1200ELNS1_3gpuE4ELNS1_3repE0EEENS1_30default_config_static_selectorELNS0_4arch9wavefront6targetE1EEEvT1_
    .private_segment_fixed_size: 0
    .sgpr_count:     6
    .sgpr_spill_count: 0
    .symbol:         _ZN7rocprim17ROCPRIM_400000_NS6detail17trampoline_kernelINS0_14default_configENS1_25partition_config_selectorILNS1_17partition_subalgoE0ExNS0_10empty_typeEbEEZZNS1_14partition_implILS5_0ELb0ES3_jN6thrust23THRUST_200600_302600_NS6detail15normal_iteratorINSA_10device_ptrIxEEEEPS6_SG_NS0_5tupleIJSF_NSA_16discard_iteratorINSA_11use_defaultEEEEEENSH_IJSG_SG_EEES6_PlJ7is_evenIxEEEE10hipError_tPvRmT3_T4_T5_T6_T7_T9_mT8_P12ihipStream_tbDpT10_ENKUlT_T0_E_clISt17integral_constantIbLb1EES19_EEDaS14_S15_EUlS14_E_NS1_11comp_targetILNS1_3genE10ELNS1_11target_archE1200ELNS1_3gpuE4ELNS1_3repE0EEENS1_30default_config_static_selectorELNS0_4arch9wavefront6targetE1EEEvT1_.kd
    .uniform_work_group_size: 1
    .uses_dynamic_stack: false
    .vgpr_count:     0
    .vgpr_spill_count: 0
    .wavefront_size: 64
  - .agpr_count:     0
    .args:
      - .offset:         0
        .size:           144
        .value_kind:     by_value
    .group_segment_fixed_size: 0
    .kernarg_segment_align: 8
    .kernarg_segment_size: 144
    .language:       OpenCL C
    .language_version:
      - 2
      - 0
    .max_flat_workgroup_size: 512
    .name:           _ZN7rocprim17ROCPRIM_400000_NS6detail17trampoline_kernelINS0_14default_configENS1_25partition_config_selectorILNS1_17partition_subalgoE0ExNS0_10empty_typeEbEEZZNS1_14partition_implILS5_0ELb0ES3_jN6thrust23THRUST_200600_302600_NS6detail15normal_iteratorINSA_10device_ptrIxEEEEPS6_SG_NS0_5tupleIJSF_NSA_16discard_iteratorINSA_11use_defaultEEEEEENSH_IJSG_SG_EEES6_PlJ7is_evenIxEEEE10hipError_tPvRmT3_T4_T5_T6_T7_T9_mT8_P12ihipStream_tbDpT10_ENKUlT_T0_E_clISt17integral_constantIbLb1EES19_EEDaS14_S15_EUlS14_E_NS1_11comp_targetILNS1_3genE9ELNS1_11target_archE1100ELNS1_3gpuE3ELNS1_3repE0EEENS1_30default_config_static_selectorELNS0_4arch9wavefront6targetE1EEEvT1_
    .private_segment_fixed_size: 0
    .sgpr_count:     6
    .sgpr_spill_count: 0
    .symbol:         _ZN7rocprim17ROCPRIM_400000_NS6detail17trampoline_kernelINS0_14default_configENS1_25partition_config_selectorILNS1_17partition_subalgoE0ExNS0_10empty_typeEbEEZZNS1_14partition_implILS5_0ELb0ES3_jN6thrust23THRUST_200600_302600_NS6detail15normal_iteratorINSA_10device_ptrIxEEEEPS6_SG_NS0_5tupleIJSF_NSA_16discard_iteratorINSA_11use_defaultEEEEEENSH_IJSG_SG_EEES6_PlJ7is_evenIxEEEE10hipError_tPvRmT3_T4_T5_T6_T7_T9_mT8_P12ihipStream_tbDpT10_ENKUlT_T0_E_clISt17integral_constantIbLb1EES19_EEDaS14_S15_EUlS14_E_NS1_11comp_targetILNS1_3genE9ELNS1_11target_archE1100ELNS1_3gpuE3ELNS1_3repE0EEENS1_30default_config_static_selectorELNS0_4arch9wavefront6targetE1EEEvT1_.kd
    .uniform_work_group_size: 1
    .uses_dynamic_stack: false
    .vgpr_count:     0
    .vgpr_spill_count: 0
    .wavefront_size: 64
  - .agpr_count:     0
    .args:
      - .offset:         0
        .size:           144
        .value_kind:     by_value
    .group_segment_fixed_size: 0
    .kernarg_segment_align: 8
    .kernarg_segment_size: 144
    .language:       OpenCL C
    .language_version:
      - 2
      - 0
    .max_flat_workgroup_size: 512
    .name:           _ZN7rocprim17ROCPRIM_400000_NS6detail17trampoline_kernelINS0_14default_configENS1_25partition_config_selectorILNS1_17partition_subalgoE0ExNS0_10empty_typeEbEEZZNS1_14partition_implILS5_0ELb0ES3_jN6thrust23THRUST_200600_302600_NS6detail15normal_iteratorINSA_10device_ptrIxEEEEPS6_SG_NS0_5tupleIJSF_NSA_16discard_iteratorINSA_11use_defaultEEEEEENSH_IJSG_SG_EEES6_PlJ7is_evenIxEEEE10hipError_tPvRmT3_T4_T5_T6_T7_T9_mT8_P12ihipStream_tbDpT10_ENKUlT_T0_E_clISt17integral_constantIbLb1EES19_EEDaS14_S15_EUlS14_E_NS1_11comp_targetILNS1_3genE8ELNS1_11target_archE1030ELNS1_3gpuE2ELNS1_3repE0EEENS1_30default_config_static_selectorELNS0_4arch9wavefront6targetE1EEEvT1_
    .private_segment_fixed_size: 0
    .sgpr_count:     6
    .sgpr_spill_count: 0
    .symbol:         _ZN7rocprim17ROCPRIM_400000_NS6detail17trampoline_kernelINS0_14default_configENS1_25partition_config_selectorILNS1_17partition_subalgoE0ExNS0_10empty_typeEbEEZZNS1_14partition_implILS5_0ELb0ES3_jN6thrust23THRUST_200600_302600_NS6detail15normal_iteratorINSA_10device_ptrIxEEEEPS6_SG_NS0_5tupleIJSF_NSA_16discard_iteratorINSA_11use_defaultEEEEEENSH_IJSG_SG_EEES6_PlJ7is_evenIxEEEE10hipError_tPvRmT3_T4_T5_T6_T7_T9_mT8_P12ihipStream_tbDpT10_ENKUlT_T0_E_clISt17integral_constantIbLb1EES19_EEDaS14_S15_EUlS14_E_NS1_11comp_targetILNS1_3genE8ELNS1_11target_archE1030ELNS1_3gpuE2ELNS1_3repE0EEENS1_30default_config_static_selectorELNS0_4arch9wavefront6targetE1EEEvT1_.kd
    .uniform_work_group_size: 1
    .uses_dynamic_stack: false
    .vgpr_count:     0
    .vgpr_spill_count: 0
    .wavefront_size: 64
  - .agpr_count:     0
    .args:
      - .offset:         0
        .size:           128
        .value_kind:     by_value
    .group_segment_fixed_size: 0
    .kernarg_segment_align: 8
    .kernarg_segment_size: 128
    .language:       OpenCL C
    .language_version:
      - 2
      - 0
    .max_flat_workgroup_size: 128
    .name:           _ZN7rocprim17ROCPRIM_400000_NS6detail17trampoline_kernelINS0_14default_configENS1_25partition_config_selectorILNS1_17partition_subalgoE0ExNS0_10empty_typeEbEEZZNS1_14partition_implILS5_0ELb0ES3_jN6thrust23THRUST_200600_302600_NS6detail15normal_iteratorINSA_10device_ptrIxEEEEPS6_SG_NS0_5tupleIJSF_NSA_16discard_iteratorINSA_11use_defaultEEEEEENSH_IJSG_SG_EEES6_PlJ7is_evenIxEEEE10hipError_tPvRmT3_T4_T5_T6_T7_T9_mT8_P12ihipStream_tbDpT10_ENKUlT_T0_E_clISt17integral_constantIbLb1EES18_IbLb0EEEEDaS14_S15_EUlS14_E_NS1_11comp_targetILNS1_3genE0ELNS1_11target_archE4294967295ELNS1_3gpuE0ELNS1_3repE0EEENS1_30default_config_static_selectorELNS0_4arch9wavefront6targetE1EEEvT1_
    .private_segment_fixed_size: 0
    .sgpr_count:     6
    .sgpr_spill_count: 0
    .symbol:         _ZN7rocprim17ROCPRIM_400000_NS6detail17trampoline_kernelINS0_14default_configENS1_25partition_config_selectorILNS1_17partition_subalgoE0ExNS0_10empty_typeEbEEZZNS1_14partition_implILS5_0ELb0ES3_jN6thrust23THRUST_200600_302600_NS6detail15normal_iteratorINSA_10device_ptrIxEEEEPS6_SG_NS0_5tupleIJSF_NSA_16discard_iteratorINSA_11use_defaultEEEEEENSH_IJSG_SG_EEES6_PlJ7is_evenIxEEEE10hipError_tPvRmT3_T4_T5_T6_T7_T9_mT8_P12ihipStream_tbDpT10_ENKUlT_T0_E_clISt17integral_constantIbLb1EES18_IbLb0EEEEDaS14_S15_EUlS14_E_NS1_11comp_targetILNS1_3genE0ELNS1_11target_archE4294967295ELNS1_3gpuE0ELNS1_3repE0EEENS1_30default_config_static_selectorELNS0_4arch9wavefront6targetE1EEEvT1_.kd
    .uniform_work_group_size: 1
    .uses_dynamic_stack: false
    .vgpr_count:     0
    .vgpr_spill_count: 0
    .wavefront_size: 64
  - .agpr_count:     0
    .args:
      - .offset:         0
        .size:           128
        .value_kind:     by_value
    .group_segment_fixed_size: 28680
    .kernarg_segment_align: 8
    .kernarg_segment_size: 128
    .language:       OpenCL C
    .language_version:
      - 2
      - 0
    .max_flat_workgroup_size: 512
    .name:           _ZN7rocprim17ROCPRIM_400000_NS6detail17trampoline_kernelINS0_14default_configENS1_25partition_config_selectorILNS1_17partition_subalgoE0ExNS0_10empty_typeEbEEZZNS1_14partition_implILS5_0ELb0ES3_jN6thrust23THRUST_200600_302600_NS6detail15normal_iteratorINSA_10device_ptrIxEEEEPS6_SG_NS0_5tupleIJSF_NSA_16discard_iteratorINSA_11use_defaultEEEEEENSH_IJSG_SG_EEES6_PlJ7is_evenIxEEEE10hipError_tPvRmT3_T4_T5_T6_T7_T9_mT8_P12ihipStream_tbDpT10_ENKUlT_T0_E_clISt17integral_constantIbLb1EES18_IbLb0EEEEDaS14_S15_EUlS14_E_NS1_11comp_targetILNS1_3genE5ELNS1_11target_archE942ELNS1_3gpuE9ELNS1_3repE0EEENS1_30default_config_static_selectorELNS0_4arch9wavefront6targetE1EEEvT1_
    .private_segment_fixed_size: 0
    .sgpr_count:     46
    .sgpr_spill_count: 0
    .symbol:         _ZN7rocprim17ROCPRIM_400000_NS6detail17trampoline_kernelINS0_14default_configENS1_25partition_config_selectorILNS1_17partition_subalgoE0ExNS0_10empty_typeEbEEZZNS1_14partition_implILS5_0ELb0ES3_jN6thrust23THRUST_200600_302600_NS6detail15normal_iteratorINSA_10device_ptrIxEEEEPS6_SG_NS0_5tupleIJSF_NSA_16discard_iteratorINSA_11use_defaultEEEEEENSH_IJSG_SG_EEES6_PlJ7is_evenIxEEEE10hipError_tPvRmT3_T4_T5_T6_T7_T9_mT8_P12ihipStream_tbDpT10_ENKUlT_T0_E_clISt17integral_constantIbLb1EES18_IbLb0EEEEDaS14_S15_EUlS14_E_NS1_11comp_targetILNS1_3genE5ELNS1_11target_archE942ELNS1_3gpuE9ELNS1_3repE0EEENS1_30default_config_static_selectorELNS0_4arch9wavefront6targetE1EEEvT1_.kd
    .uniform_work_group_size: 1
    .uses_dynamic_stack: false
    .vgpr_count:     57
    .vgpr_spill_count: 0
    .wavefront_size: 64
  - .agpr_count:     0
    .args:
      - .offset:         0
        .size:           128
        .value_kind:     by_value
    .group_segment_fixed_size: 0
    .kernarg_segment_align: 8
    .kernarg_segment_size: 128
    .language:       OpenCL C
    .language_version:
      - 2
      - 0
    .max_flat_workgroup_size: 192
    .name:           _ZN7rocprim17ROCPRIM_400000_NS6detail17trampoline_kernelINS0_14default_configENS1_25partition_config_selectorILNS1_17partition_subalgoE0ExNS0_10empty_typeEbEEZZNS1_14partition_implILS5_0ELb0ES3_jN6thrust23THRUST_200600_302600_NS6detail15normal_iteratorINSA_10device_ptrIxEEEEPS6_SG_NS0_5tupleIJSF_NSA_16discard_iteratorINSA_11use_defaultEEEEEENSH_IJSG_SG_EEES6_PlJ7is_evenIxEEEE10hipError_tPvRmT3_T4_T5_T6_T7_T9_mT8_P12ihipStream_tbDpT10_ENKUlT_T0_E_clISt17integral_constantIbLb1EES18_IbLb0EEEEDaS14_S15_EUlS14_E_NS1_11comp_targetILNS1_3genE4ELNS1_11target_archE910ELNS1_3gpuE8ELNS1_3repE0EEENS1_30default_config_static_selectorELNS0_4arch9wavefront6targetE1EEEvT1_
    .private_segment_fixed_size: 0
    .sgpr_count:     6
    .sgpr_spill_count: 0
    .symbol:         _ZN7rocprim17ROCPRIM_400000_NS6detail17trampoline_kernelINS0_14default_configENS1_25partition_config_selectorILNS1_17partition_subalgoE0ExNS0_10empty_typeEbEEZZNS1_14partition_implILS5_0ELb0ES3_jN6thrust23THRUST_200600_302600_NS6detail15normal_iteratorINSA_10device_ptrIxEEEEPS6_SG_NS0_5tupleIJSF_NSA_16discard_iteratorINSA_11use_defaultEEEEEENSH_IJSG_SG_EEES6_PlJ7is_evenIxEEEE10hipError_tPvRmT3_T4_T5_T6_T7_T9_mT8_P12ihipStream_tbDpT10_ENKUlT_T0_E_clISt17integral_constantIbLb1EES18_IbLb0EEEEDaS14_S15_EUlS14_E_NS1_11comp_targetILNS1_3genE4ELNS1_11target_archE910ELNS1_3gpuE8ELNS1_3repE0EEENS1_30default_config_static_selectorELNS0_4arch9wavefront6targetE1EEEvT1_.kd
    .uniform_work_group_size: 1
    .uses_dynamic_stack: false
    .vgpr_count:     0
    .vgpr_spill_count: 0
    .wavefront_size: 64
  - .agpr_count:     0
    .args:
      - .offset:         0
        .size:           128
        .value_kind:     by_value
    .group_segment_fixed_size: 0
    .kernarg_segment_align: 8
    .kernarg_segment_size: 128
    .language:       OpenCL C
    .language_version:
      - 2
      - 0
    .max_flat_workgroup_size: 128
    .name:           _ZN7rocprim17ROCPRIM_400000_NS6detail17trampoline_kernelINS0_14default_configENS1_25partition_config_selectorILNS1_17partition_subalgoE0ExNS0_10empty_typeEbEEZZNS1_14partition_implILS5_0ELb0ES3_jN6thrust23THRUST_200600_302600_NS6detail15normal_iteratorINSA_10device_ptrIxEEEEPS6_SG_NS0_5tupleIJSF_NSA_16discard_iteratorINSA_11use_defaultEEEEEENSH_IJSG_SG_EEES6_PlJ7is_evenIxEEEE10hipError_tPvRmT3_T4_T5_T6_T7_T9_mT8_P12ihipStream_tbDpT10_ENKUlT_T0_E_clISt17integral_constantIbLb1EES18_IbLb0EEEEDaS14_S15_EUlS14_E_NS1_11comp_targetILNS1_3genE3ELNS1_11target_archE908ELNS1_3gpuE7ELNS1_3repE0EEENS1_30default_config_static_selectorELNS0_4arch9wavefront6targetE1EEEvT1_
    .private_segment_fixed_size: 0
    .sgpr_count:     6
    .sgpr_spill_count: 0
    .symbol:         _ZN7rocprim17ROCPRIM_400000_NS6detail17trampoline_kernelINS0_14default_configENS1_25partition_config_selectorILNS1_17partition_subalgoE0ExNS0_10empty_typeEbEEZZNS1_14partition_implILS5_0ELb0ES3_jN6thrust23THRUST_200600_302600_NS6detail15normal_iteratorINSA_10device_ptrIxEEEEPS6_SG_NS0_5tupleIJSF_NSA_16discard_iteratorINSA_11use_defaultEEEEEENSH_IJSG_SG_EEES6_PlJ7is_evenIxEEEE10hipError_tPvRmT3_T4_T5_T6_T7_T9_mT8_P12ihipStream_tbDpT10_ENKUlT_T0_E_clISt17integral_constantIbLb1EES18_IbLb0EEEEDaS14_S15_EUlS14_E_NS1_11comp_targetILNS1_3genE3ELNS1_11target_archE908ELNS1_3gpuE7ELNS1_3repE0EEENS1_30default_config_static_selectorELNS0_4arch9wavefront6targetE1EEEvT1_.kd
    .uniform_work_group_size: 1
    .uses_dynamic_stack: false
    .vgpr_count:     0
    .vgpr_spill_count: 0
    .wavefront_size: 64
  - .agpr_count:     0
    .args:
      - .offset:         0
        .size:           128
        .value_kind:     by_value
    .group_segment_fixed_size: 0
    .kernarg_segment_align: 8
    .kernarg_segment_size: 128
    .language:       OpenCL C
    .language_version:
      - 2
      - 0
    .max_flat_workgroup_size: 256
    .name:           _ZN7rocprim17ROCPRIM_400000_NS6detail17trampoline_kernelINS0_14default_configENS1_25partition_config_selectorILNS1_17partition_subalgoE0ExNS0_10empty_typeEbEEZZNS1_14partition_implILS5_0ELb0ES3_jN6thrust23THRUST_200600_302600_NS6detail15normal_iteratorINSA_10device_ptrIxEEEEPS6_SG_NS0_5tupleIJSF_NSA_16discard_iteratorINSA_11use_defaultEEEEEENSH_IJSG_SG_EEES6_PlJ7is_evenIxEEEE10hipError_tPvRmT3_T4_T5_T6_T7_T9_mT8_P12ihipStream_tbDpT10_ENKUlT_T0_E_clISt17integral_constantIbLb1EES18_IbLb0EEEEDaS14_S15_EUlS14_E_NS1_11comp_targetILNS1_3genE2ELNS1_11target_archE906ELNS1_3gpuE6ELNS1_3repE0EEENS1_30default_config_static_selectorELNS0_4arch9wavefront6targetE1EEEvT1_
    .private_segment_fixed_size: 0
    .sgpr_count:     6
    .sgpr_spill_count: 0
    .symbol:         _ZN7rocprim17ROCPRIM_400000_NS6detail17trampoline_kernelINS0_14default_configENS1_25partition_config_selectorILNS1_17partition_subalgoE0ExNS0_10empty_typeEbEEZZNS1_14partition_implILS5_0ELb0ES3_jN6thrust23THRUST_200600_302600_NS6detail15normal_iteratorINSA_10device_ptrIxEEEEPS6_SG_NS0_5tupleIJSF_NSA_16discard_iteratorINSA_11use_defaultEEEEEENSH_IJSG_SG_EEES6_PlJ7is_evenIxEEEE10hipError_tPvRmT3_T4_T5_T6_T7_T9_mT8_P12ihipStream_tbDpT10_ENKUlT_T0_E_clISt17integral_constantIbLb1EES18_IbLb0EEEEDaS14_S15_EUlS14_E_NS1_11comp_targetILNS1_3genE2ELNS1_11target_archE906ELNS1_3gpuE6ELNS1_3repE0EEENS1_30default_config_static_selectorELNS0_4arch9wavefront6targetE1EEEvT1_.kd
    .uniform_work_group_size: 1
    .uses_dynamic_stack: false
    .vgpr_count:     0
    .vgpr_spill_count: 0
    .wavefront_size: 64
  - .agpr_count:     0
    .args:
      - .offset:         0
        .size:           128
        .value_kind:     by_value
    .group_segment_fixed_size: 0
    .kernarg_segment_align: 8
    .kernarg_segment_size: 128
    .language:       OpenCL C
    .language_version:
      - 2
      - 0
    .max_flat_workgroup_size: 512
    .name:           _ZN7rocprim17ROCPRIM_400000_NS6detail17trampoline_kernelINS0_14default_configENS1_25partition_config_selectorILNS1_17partition_subalgoE0ExNS0_10empty_typeEbEEZZNS1_14partition_implILS5_0ELb0ES3_jN6thrust23THRUST_200600_302600_NS6detail15normal_iteratorINSA_10device_ptrIxEEEEPS6_SG_NS0_5tupleIJSF_NSA_16discard_iteratorINSA_11use_defaultEEEEEENSH_IJSG_SG_EEES6_PlJ7is_evenIxEEEE10hipError_tPvRmT3_T4_T5_T6_T7_T9_mT8_P12ihipStream_tbDpT10_ENKUlT_T0_E_clISt17integral_constantIbLb1EES18_IbLb0EEEEDaS14_S15_EUlS14_E_NS1_11comp_targetILNS1_3genE10ELNS1_11target_archE1200ELNS1_3gpuE4ELNS1_3repE0EEENS1_30default_config_static_selectorELNS0_4arch9wavefront6targetE1EEEvT1_
    .private_segment_fixed_size: 0
    .sgpr_count:     6
    .sgpr_spill_count: 0
    .symbol:         _ZN7rocprim17ROCPRIM_400000_NS6detail17trampoline_kernelINS0_14default_configENS1_25partition_config_selectorILNS1_17partition_subalgoE0ExNS0_10empty_typeEbEEZZNS1_14partition_implILS5_0ELb0ES3_jN6thrust23THRUST_200600_302600_NS6detail15normal_iteratorINSA_10device_ptrIxEEEEPS6_SG_NS0_5tupleIJSF_NSA_16discard_iteratorINSA_11use_defaultEEEEEENSH_IJSG_SG_EEES6_PlJ7is_evenIxEEEE10hipError_tPvRmT3_T4_T5_T6_T7_T9_mT8_P12ihipStream_tbDpT10_ENKUlT_T0_E_clISt17integral_constantIbLb1EES18_IbLb0EEEEDaS14_S15_EUlS14_E_NS1_11comp_targetILNS1_3genE10ELNS1_11target_archE1200ELNS1_3gpuE4ELNS1_3repE0EEENS1_30default_config_static_selectorELNS0_4arch9wavefront6targetE1EEEvT1_.kd
    .uniform_work_group_size: 1
    .uses_dynamic_stack: false
    .vgpr_count:     0
    .vgpr_spill_count: 0
    .wavefront_size: 64
  - .agpr_count:     0
    .args:
      - .offset:         0
        .size:           128
        .value_kind:     by_value
    .group_segment_fixed_size: 0
    .kernarg_segment_align: 8
    .kernarg_segment_size: 128
    .language:       OpenCL C
    .language_version:
      - 2
      - 0
    .max_flat_workgroup_size: 512
    .name:           _ZN7rocprim17ROCPRIM_400000_NS6detail17trampoline_kernelINS0_14default_configENS1_25partition_config_selectorILNS1_17partition_subalgoE0ExNS0_10empty_typeEbEEZZNS1_14partition_implILS5_0ELb0ES3_jN6thrust23THRUST_200600_302600_NS6detail15normal_iteratorINSA_10device_ptrIxEEEEPS6_SG_NS0_5tupleIJSF_NSA_16discard_iteratorINSA_11use_defaultEEEEEENSH_IJSG_SG_EEES6_PlJ7is_evenIxEEEE10hipError_tPvRmT3_T4_T5_T6_T7_T9_mT8_P12ihipStream_tbDpT10_ENKUlT_T0_E_clISt17integral_constantIbLb1EES18_IbLb0EEEEDaS14_S15_EUlS14_E_NS1_11comp_targetILNS1_3genE9ELNS1_11target_archE1100ELNS1_3gpuE3ELNS1_3repE0EEENS1_30default_config_static_selectorELNS0_4arch9wavefront6targetE1EEEvT1_
    .private_segment_fixed_size: 0
    .sgpr_count:     6
    .sgpr_spill_count: 0
    .symbol:         _ZN7rocprim17ROCPRIM_400000_NS6detail17trampoline_kernelINS0_14default_configENS1_25partition_config_selectorILNS1_17partition_subalgoE0ExNS0_10empty_typeEbEEZZNS1_14partition_implILS5_0ELb0ES3_jN6thrust23THRUST_200600_302600_NS6detail15normal_iteratorINSA_10device_ptrIxEEEEPS6_SG_NS0_5tupleIJSF_NSA_16discard_iteratorINSA_11use_defaultEEEEEENSH_IJSG_SG_EEES6_PlJ7is_evenIxEEEE10hipError_tPvRmT3_T4_T5_T6_T7_T9_mT8_P12ihipStream_tbDpT10_ENKUlT_T0_E_clISt17integral_constantIbLb1EES18_IbLb0EEEEDaS14_S15_EUlS14_E_NS1_11comp_targetILNS1_3genE9ELNS1_11target_archE1100ELNS1_3gpuE3ELNS1_3repE0EEENS1_30default_config_static_selectorELNS0_4arch9wavefront6targetE1EEEvT1_.kd
    .uniform_work_group_size: 1
    .uses_dynamic_stack: false
    .vgpr_count:     0
    .vgpr_spill_count: 0
    .wavefront_size: 64
  - .agpr_count:     0
    .args:
      - .offset:         0
        .size:           128
        .value_kind:     by_value
    .group_segment_fixed_size: 0
    .kernarg_segment_align: 8
    .kernarg_segment_size: 128
    .language:       OpenCL C
    .language_version:
      - 2
      - 0
    .max_flat_workgroup_size: 512
    .name:           _ZN7rocprim17ROCPRIM_400000_NS6detail17trampoline_kernelINS0_14default_configENS1_25partition_config_selectorILNS1_17partition_subalgoE0ExNS0_10empty_typeEbEEZZNS1_14partition_implILS5_0ELb0ES3_jN6thrust23THRUST_200600_302600_NS6detail15normal_iteratorINSA_10device_ptrIxEEEEPS6_SG_NS0_5tupleIJSF_NSA_16discard_iteratorINSA_11use_defaultEEEEEENSH_IJSG_SG_EEES6_PlJ7is_evenIxEEEE10hipError_tPvRmT3_T4_T5_T6_T7_T9_mT8_P12ihipStream_tbDpT10_ENKUlT_T0_E_clISt17integral_constantIbLb1EES18_IbLb0EEEEDaS14_S15_EUlS14_E_NS1_11comp_targetILNS1_3genE8ELNS1_11target_archE1030ELNS1_3gpuE2ELNS1_3repE0EEENS1_30default_config_static_selectorELNS0_4arch9wavefront6targetE1EEEvT1_
    .private_segment_fixed_size: 0
    .sgpr_count:     6
    .sgpr_spill_count: 0
    .symbol:         _ZN7rocprim17ROCPRIM_400000_NS6detail17trampoline_kernelINS0_14default_configENS1_25partition_config_selectorILNS1_17partition_subalgoE0ExNS0_10empty_typeEbEEZZNS1_14partition_implILS5_0ELb0ES3_jN6thrust23THRUST_200600_302600_NS6detail15normal_iteratorINSA_10device_ptrIxEEEEPS6_SG_NS0_5tupleIJSF_NSA_16discard_iteratorINSA_11use_defaultEEEEEENSH_IJSG_SG_EEES6_PlJ7is_evenIxEEEE10hipError_tPvRmT3_T4_T5_T6_T7_T9_mT8_P12ihipStream_tbDpT10_ENKUlT_T0_E_clISt17integral_constantIbLb1EES18_IbLb0EEEEDaS14_S15_EUlS14_E_NS1_11comp_targetILNS1_3genE8ELNS1_11target_archE1030ELNS1_3gpuE2ELNS1_3repE0EEENS1_30default_config_static_selectorELNS0_4arch9wavefront6targetE1EEEvT1_.kd
    .uniform_work_group_size: 1
    .uses_dynamic_stack: false
    .vgpr_count:     0
    .vgpr_spill_count: 0
    .wavefront_size: 64
  - .agpr_count:     0
    .args:
      - .offset:         0
        .size:           144
        .value_kind:     by_value
    .group_segment_fixed_size: 0
    .kernarg_segment_align: 8
    .kernarg_segment_size: 144
    .language:       OpenCL C
    .language_version:
      - 2
      - 0
    .max_flat_workgroup_size: 128
    .name:           _ZN7rocprim17ROCPRIM_400000_NS6detail17trampoline_kernelINS0_14default_configENS1_25partition_config_selectorILNS1_17partition_subalgoE0ExNS0_10empty_typeEbEEZZNS1_14partition_implILS5_0ELb0ES3_jN6thrust23THRUST_200600_302600_NS6detail15normal_iteratorINSA_10device_ptrIxEEEEPS6_SG_NS0_5tupleIJSF_NSA_16discard_iteratorINSA_11use_defaultEEEEEENSH_IJSG_SG_EEES6_PlJ7is_evenIxEEEE10hipError_tPvRmT3_T4_T5_T6_T7_T9_mT8_P12ihipStream_tbDpT10_ENKUlT_T0_E_clISt17integral_constantIbLb0EES18_IbLb1EEEEDaS14_S15_EUlS14_E_NS1_11comp_targetILNS1_3genE0ELNS1_11target_archE4294967295ELNS1_3gpuE0ELNS1_3repE0EEENS1_30default_config_static_selectorELNS0_4arch9wavefront6targetE1EEEvT1_
    .private_segment_fixed_size: 0
    .sgpr_count:     6
    .sgpr_spill_count: 0
    .symbol:         _ZN7rocprim17ROCPRIM_400000_NS6detail17trampoline_kernelINS0_14default_configENS1_25partition_config_selectorILNS1_17partition_subalgoE0ExNS0_10empty_typeEbEEZZNS1_14partition_implILS5_0ELb0ES3_jN6thrust23THRUST_200600_302600_NS6detail15normal_iteratorINSA_10device_ptrIxEEEEPS6_SG_NS0_5tupleIJSF_NSA_16discard_iteratorINSA_11use_defaultEEEEEENSH_IJSG_SG_EEES6_PlJ7is_evenIxEEEE10hipError_tPvRmT3_T4_T5_T6_T7_T9_mT8_P12ihipStream_tbDpT10_ENKUlT_T0_E_clISt17integral_constantIbLb0EES18_IbLb1EEEEDaS14_S15_EUlS14_E_NS1_11comp_targetILNS1_3genE0ELNS1_11target_archE4294967295ELNS1_3gpuE0ELNS1_3repE0EEENS1_30default_config_static_selectorELNS0_4arch9wavefront6targetE1EEEvT1_.kd
    .uniform_work_group_size: 1
    .uses_dynamic_stack: false
    .vgpr_count:     0
    .vgpr_spill_count: 0
    .wavefront_size: 64
  - .agpr_count:     0
    .args:
      - .offset:         0
        .size:           144
        .value_kind:     by_value
    .group_segment_fixed_size: 28680
    .kernarg_segment_align: 8
    .kernarg_segment_size: 144
    .language:       OpenCL C
    .language_version:
      - 2
      - 0
    .max_flat_workgroup_size: 512
    .name:           _ZN7rocprim17ROCPRIM_400000_NS6detail17trampoline_kernelINS0_14default_configENS1_25partition_config_selectorILNS1_17partition_subalgoE0ExNS0_10empty_typeEbEEZZNS1_14partition_implILS5_0ELb0ES3_jN6thrust23THRUST_200600_302600_NS6detail15normal_iteratorINSA_10device_ptrIxEEEEPS6_SG_NS0_5tupleIJSF_NSA_16discard_iteratorINSA_11use_defaultEEEEEENSH_IJSG_SG_EEES6_PlJ7is_evenIxEEEE10hipError_tPvRmT3_T4_T5_T6_T7_T9_mT8_P12ihipStream_tbDpT10_ENKUlT_T0_E_clISt17integral_constantIbLb0EES18_IbLb1EEEEDaS14_S15_EUlS14_E_NS1_11comp_targetILNS1_3genE5ELNS1_11target_archE942ELNS1_3gpuE9ELNS1_3repE0EEENS1_30default_config_static_selectorELNS0_4arch9wavefront6targetE1EEEvT1_
    .private_segment_fixed_size: 0
    .sgpr_count:     46
    .sgpr_spill_count: 0
    .symbol:         _ZN7rocprim17ROCPRIM_400000_NS6detail17trampoline_kernelINS0_14default_configENS1_25partition_config_selectorILNS1_17partition_subalgoE0ExNS0_10empty_typeEbEEZZNS1_14partition_implILS5_0ELb0ES3_jN6thrust23THRUST_200600_302600_NS6detail15normal_iteratorINSA_10device_ptrIxEEEEPS6_SG_NS0_5tupleIJSF_NSA_16discard_iteratorINSA_11use_defaultEEEEEENSH_IJSG_SG_EEES6_PlJ7is_evenIxEEEE10hipError_tPvRmT3_T4_T5_T6_T7_T9_mT8_P12ihipStream_tbDpT10_ENKUlT_T0_E_clISt17integral_constantIbLb0EES18_IbLb1EEEEDaS14_S15_EUlS14_E_NS1_11comp_targetILNS1_3genE5ELNS1_11target_archE942ELNS1_3gpuE9ELNS1_3repE0EEENS1_30default_config_static_selectorELNS0_4arch9wavefront6targetE1EEEvT1_.kd
    .uniform_work_group_size: 1
    .uses_dynamic_stack: false
    .vgpr_count:     59
    .vgpr_spill_count: 0
    .wavefront_size: 64
  - .agpr_count:     0
    .args:
      - .offset:         0
        .size:           144
        .value_kind:     by_value
    .group_segment_fixed_size: 0
    .kernarg_segment_align: 8
    .kernarg_segment_size: 144
    .language:       OpenCL C
    .language_version:
      - 2
      - 0
    .max_flat_workgroup_size: 192
    .name:           _ZN7rocprim17ROCPRIM_400000_NS6detail17trampoline_kernelINS0_14default_configENS1_25partition_config_selectorILNS1_17partition_subalgoE0ExNS0_10empty_typeEbEEZZNS1_14partition_implILS5_0ELb0ES3_jN6thrust23THRUST_200600_302600_NS6detail15normal_iteratorINSA_10device_ptrIxEEEEPS6_SG_NS0_5tupleIJSF_NSA_16discard_iteratorINSA_11use_defaultEEEEEENSH_IJSG_SG_EEES6_PlJ7is_evenIxEEEE10hipError_tPvRmT3_T4_T5_T6_T7_T9_mT8_P12ihipStream_tbDpT10_ENKUlT_T0_E_clISt17integral_constantIbLb0EES18_IbLb1EEEEDaS14_S15_EUlS14_E_NS1_11comp_targetILNS1_3genE4ELNS1_11target_archE910ELNS1_3gpuE8ELNS1_3repE0EEENS1_30default_config_static_selectorELNS0_4arch9wavefront6targetE1EEEvT1_
    .private_segment_fixed_size: 0
    .sgpr_count:     6
    .sgpr_spill_count: 0
    .symbol:         _ZN7rocprim17ROCPRIM_400000_NS6detail17trampoline_kernelINS0_14default_configENS1_25partition_config_selectorILNS1_17partition_subalgoE0ExNS0_10empty_typeEbEEZZNS1_14partition_implILS5_0ELb0ES3_jN6thrust23THRUST_200600_302600_NS6detail15normal_iteratorINSA_10device_ptrIxEEEEPS6_SG_NS0_5tupleIJSF_NSA_16discard_iteratorINSA_11use_defaultEEEEEENSH_IJSG_SG_EEES6_PlJ7is_evenIxEEEE10hipError_tPvRmT3_T4_T5_T6_T7_T9_mT8_P12ihipStream_tbDpT10_ENKUlT_T0_E_clISt17integral_constantIbLb0EES18_IbLb1EEEEDaS14_S15_EUlS14_E_NS1_11comp_targetILNS1_3genE4ELNS1_11target_archE910ELNS1_3gpuE8ELNS1_3repE0EEENS1_30default_config_static_selectorELNS0_4arch9wavefront6targetE1EEEvT1_.kd
    .uniform_work_group_size: 1
    .uses_dynamic_stack: false
    .vgpr_count:     0
    .vgpr_spill_count: 0
    .wavefront_size: 64
  - .agpr_count:     0
    .args:
      - .offset:         0
        .size:           144
        .value_kind:     by_value
    .group_segment_fixed_size: 0
    .kernarg_segment_align: 8
    .kernarg_segment_size: 144
    .language:       OpenCL C
    .language_version:
      - 2
      - 0
    .max_flat_workgroup_size: 128
    .name:           _ZN7rocprim17ROCPRIM_400000_NS6detail17trampoline_kernelINS0_14default_configENS1_25partition_config_selectorILNS1_17partition_subalgoE0ExNS0_10empty_typeEbEEZZNS1_14partition_implILS5_0ELb0ES3_jN6thrust23THRUST_200600_302600_NS6detail15normal_iteratorINSA_10device_ptrIxEEEEPS6_SG_NS0_5tupleIJSF_NSA_16discard_iteratorINSA_11use_defaultEEEEEENSH_IJSG_SG_EEES6_PlJ7is_evenIxEEEE10hipError_tPvRmT3_T4_T5_T6_T7_T9_mT8_P12ihipStream_tbDpT10_ENKUlT_T0_E_clISt17integral_constantIbLb0EES18_IbLb1EEEEDaS14_S15_EUlS14_E_NS1_11comp_targetILNS1_3genE3ELNS1_11target_archE908ELNS1_3gpuE7ELNS1_3repE0EEENS1_30default_config_static_selectorELNS0_4arch9wavefront6targetE1EEEvT1_
    .private_segment_fixed_size: 0
    .sgpr_count:     6
    .sgpr_spill_count: 0
    .symbol:         _ZN7rocprim17ROCPRIM_400000_NS6detail17trampoline_kernelINS0_14default_configENS1_25partition_config_selectorILNS1_17partition_subalgoE0ExNS0_10empty_typeEbEEZZNS1_14partition_implILS5_0ELb0ES3_jN6thrust23THRUST_200600_302600_NS6detail15normal_iteratorINSA_10device_ptrIxEEEEPS6_SG_NS0_5tupleIJSF_NSA_16discard_iteratorINSA_11use_defaultEEEEEENSH_IJSG_SG_EEES6_PlJ7is_evenIxEEEE10hipError_tPvRmT3_T4_T5_T6_T7_T9_mT8_P12ihipStream_tbDpT10_ENKUlT_T0_E_clISt17integral_constantIbLb0EES18_IbLb1EEEEDaS14_S15_EUlS14_E_NS1_11comp_targetILNS1_3genE3ELNS1_11target_archE908ELNS1_3gpuE7ELNS1_3repE0EEENS1_30default_config_static_selectorELNS0_4arch9wavefront6targetE1EEEvT1_.kd
    .uniform_work_group_size: 1
    .uses_dynamic_stack: false
    .vgpr_count:     0
    .vgpr_spill_count: 0
    .wavefront_size: 64
  - .agpr_count:     0
    .args:
      - .offset:         0
        .size:           144
        .value_kind:     by_value
    .group_segment_fixed_size: 0
    .kernarg_segment_align: 8
    .kernarg_segment_size: 144
    .language:       OpenCL C
    .language_version:
      - 2
      - 0
    .max_flat_workgroup_size: 256
    .name:           _ZN7rocprim17ROCPRIM_400000_NS6detail17trampoline_kernelINS0_14default_configENS1_25partition_config_selectorILNS1_17partition_subalgoE0ExNS0_10empty_typeEbEEZZNS1_14partition_implILS5_0ELb0ES3_jN6thrust23THRUST_200600_302600_NS6detail15normal_iteratorINSA_10device_ptrIxEEEEPS6_SG_NS0_5tupleIJSF_NSA_16discard_iteratorINSA_11use_defaultEEEEEENSH_IJSG_SG_EEES6_PlJ7is_evenIxEEEE10hipError_tPvRmT3_T4_T5_T6_T7_T9_mT8_P12ihipStream_tbDpT10_ENKUlT_T0_E_clISt17integral_constantIbLb0EES18_IbLb1EEEEDaS14_S15_EUlS14_E_NS1_11comp_targetILNS1_3genE2ELNS1_11target_archE906ELNS1_3gpuE6ELNS1_3repE0EEENS1_30default_config_static_selectorELNS0_4arch9wavefront6targetE1EEEvT1_
    .private_segment_fixed_size: 0
    .sgpr_count:     6
    .sgpr_spill_count: 0
    .symbol:         _ZN7rocprim17ROCPRIM_400000_NS6detail17trampoline_kernelINS0_14default_configENS1_25partition_config_selectorILNS1_17partition_subalgoE0ExNS0_10empty_typeEbEEZZNS1_14partition_implILS5_0ELb0ES3_jN6thrust23THRUST_200600_302600_NS6detail15normal_iteratorINSA_10device_ptrIxEEEEPS6_SG_NS0_5tupleIJSF_NSA_16discard_iteratorINSA_11use_defaultEEEEEENSH_IJSG_SG_EEES6_PlJ7is_evenIxEEEE10hipError_tPvRmT3_T4_T5_T6_T7_T9_mT8_P12ihipStream_tbDpT10_ENKUlT_T0_E_clISt17integral_constantIbLb0EES18_IbLb1EEEEDaS14_S15_EUlS14_E_NS1_11comp_targetILNS1_3genE2ELNS1_11target_archE906ELNS1_3gpuE6ELNS1_3repE0EEENS1_30default_config_static_selectorELNS0_4arch9wavefront6targetE1EEEvT1_.kd
    .uniform_work_group_size: 1
    .uses_dynamic_stack: false
    .vgpr_count:     0
    .vgpr_spill_count: 0
    .wavefront_size: 64
  - .agpr_count:     0
    .args:
      - .offset:         0
        .size:           144
        .value_kind:     by_value
    .group_segment_fixed_size: 0
    .kernarg_segment_align: 8
    .kernarg_segment_size: 144
    .language:       OpenCL C
    .language_version:
      - 2
      - 0
    .max_flat_workgroup_size: 512
    .name:           _ZN7rocprim17ROCPRIM_400000_NS6detail17trampoline_kernelINS0_14default_configENS1_25partition_config_selectorILNS1_17partition_subalgoE0ExNS0_10empty_typeEbEEZZNS1_14partition_implILS5_0ELb0ES3_jN6thrust23THRUST_200600_302600_NS6detail15normal_iteratorINSA_10device_ptrIxEEEEPS6_SG_NS0_5tupleIJSF_NSA_16discard_iteratorINSA_11use_defaultEEEEEENSH_IJSG_SG_EEES6_PlJ7is_evenIxEEEE10hipError_tPvRmT3_T4_T5_T6_T7_T9_mT8_P12ihipStream_tbDpT10_ENKUlT_T0_E_clISt17integral_constantIbLb0EES18_IbLb1EEEEDaS14_S15_EUlS14_E_NS1_11comp_targetILNS1_3genE10ELNS1_11target_archE1200ELNS1_3gpuE4ELNS1_3repE0EEENS1_30default_config_static_selectorELNS0_4arch9wavefront6targetE1EEEvT1_
    .private_segment_fixed_size: 0
    .sgpr_count:     6
    .sgpr_spill_count: 0
    .symbol:         _ZN7rocprim17ROCPRIM_400000_NS6detail17trampoline_kernelINS0_14default_configENS1_25partition_config_selectorILNS1_17partition_subalgoE0ExNS0_10empty_typeEbEEZZNS1_14partition_implILS5_0ELb0ES3_jN6thrust23THRUST_200600_302600_NS6detail15normal_iteratorINSA_10device_ptrIxEEEEPS6_SG_NS0_5tupleIJSF_NSA_16discard_iteratorINSA_11use_defaultEEEEEENSH_IJSG_SG_EEES6_PlJ7is_evenIxEEEE10hipError_tPvRmT3_T4_T5_T6_T7_T9_mT8_P12ihipStream_tbDpT10_ENKUlT_T0_E_clISt17integral_constantIbLb0EES18_IbLb1EEEEDaS14_S15_EUlS14_E_NS1_11comp_targetILNS1_3genE10ELNS1_11target_archE1200ELNS1_3gpuE4ELNS1_3repE0EEENS1_30default_config_static_selectorELNS0_4arch9wavefront6targetE1EEEvT1_.kd
    .uniform_work_group_size: 1
    .uses_dynamic_stack: false
    .vgpr_count:     0
    .vgpr_spill_count: 0
    .wavefront_size: 64
  - .agpr_count:     0
    .args:
      - .offset:         0
        .size:           144
        .value_kind:     by_value
    .group_segment_fixed_size: 0
    .kernarg_segment_align: 8
    .kernarg_segment_size: 144
    .language:       OpenCL C
    .language_version:
      - 2
      - 0
    .max_flat_workgroup_size: 512
    .name:           _ZN7rocprim17ROCPRIM_400000_NS6detail17trampoline_kernelINS0_14default_configENS1_25partition_config_selectorILNS1_17partition_subalgoE0ExNS0_10empty_typeEbEEZZNS1_14partition_implILS5_0ELb0ES3_jN6thrust23THRUST_200600_302600_NS6detail15normal_iteratorINSA_10device_ptrIxEEEEPS6_SG_NS0_5tupleIJSF_NSA_16discard_iteratorINSA_11use_defaultEEEEEENSH_IJSG_SG_EEES6_PlJ7is_evenIxEEEE10hipError_tPvRmT3_T4_T5_T6_T7_T9_mT8_P12ihipStream_tbDpT10_ENKUlT_T0_E_clISt17integral_constantIbLb0EES18_IbLb1EEEEDaS14_S15_EUlS14_E_NS1_11comp_targetILNS1_3genE9ELNS1_11target_archE1100ELNS1_3gpuE3ELNS1_3repE0EEENS1_30default_config_static_selectorELNS0_4arch9wavefront6targetE1EEEvT1_
    .private_segment_fixed_size: 0
    .sgpr_count:     6
    .sgpr_spill_count: 0
    .symbol:         _ZN7rocprim17ROCPRIM_400000_NS6detail17trampoline_kernelINS0_14default_configENS1_25partition_config_selectorILNS1_17partition_subalgoE0ExNS0_10empty_typeEbEEZZNS1_14partition_implILS5_0ELb0ES3_jN6thrust23THRUST_200600_302600_NS6detail15normal_iteratorINSA_10device_ptrIxEEEEPS6_SG_NS0_5tupleIJSF_NSA_16discard_iteratorINSA_11use_defaultEEEEEENSH_IJSG_SG_EEES6_PlJ7is_evenIxEEEE10hipError_tPvRmT3_T4_T5_T6_T7_T9_mT8_P12ihipStream_tbDpT10_ENKUlT_T0_E_clISt17integral_constantIbLb0EES18_IbLb1EEEEDaS14_S15_EUlS14_E_NS1_11comp_targetILNS1_3genE9ELNS1_11target_archE1100ELNS1_3gpuE3ELNS1_3repE0EEENS1_30default_config_static_selectorELNS0_4arch9wavefront6targetE1EEEvT1_.kd
    .uniform_work_group_size: 1
    .uses_dynamic_stack: false
    .vgpr_count:     0
    .vgpr_spill_count: 0
    .wavefront_size: 64
  - .agpr_count:     0
    .args:
      - .offset:         0
        .size:           144
        .value_kind:     by_value
    .group_segment_fixed_size: 0
    .kernarg_segment_align: 8
    .kernarg_segment_size: 144
    .language:       OpenCL C
    .language_version:
      - 2
      - 0
    .max_flat_workgroup_size: 512
    .name:           _ZN7rocprim17ROCPRIM_400000_NS6detail17trampoline_kernelINS0_14default_configENS1_25partition_config_selectorILNS1_17partition_subalgoE0ExNS0_10empty_typeEbEEZZNS1_14partition_implILS5_0ELb0ES3_jN6thrust23THRUST_200600_302600_NS6detail15normal_iteratorINSA_10device_ptrIxEEEEPS6_SG_NS0_5tupleIJSF_NSA_16discard_iteratorINSA_11use_defaultEEEEEENSH_IJSG_SG_EEES6_PlJ7is_evenIxEEEE10hipError_tPvRmT3_T4_T5_T6_T7_T9_mT8_P12ihipStream_tbDpT10_ENKUlT_T0_E_clISt17integral_constantIbLb0EES18_IbLb1EEEEDaS14_S15_EUlS14_E_NS1_11comp_targetILNS1_3genE8ELNS1_11target_archE1030ELNS1_3gpuE2ELNS1_3repE0EEENS1_30default_config_static_selectorELNS0_4arch9wavefront6targetE1EEEvT1_
    .private_segment_fixed_size: 0
    .sgpr_count:     6
    .sgpr_spill_count: 0
    .symbol:         _ZN7rocprim17ROCPRIM_400000_NS6detail17trampoline_kernelINS0_14default_configENS1_25partition_config_selectorILNS1_17partition_subalgoE0ExNS0_10empty_typeEbEEZZNS1_14partition_implILS5_0ELb0ES3_jN6thrust23THRUST_200600_302600_NS6detail15normal_iteratorINSA_10device_ptrIxEEEEPS6_SG_NS0_5tupleIJSF_NSA_16discard_iteratorINSA_11use_defaultEEEEEENSH_IJSG_SG_EEES6_PlJ7is_evenIxEEEE10hipError_tPvRmT3_T4_T5_T6_T7_T9_mT8_P12ihipStream_tbDpT10_ENKUlT_T0_E_clISt17integral_constantIbLb0EES18_IbLb1EEEEDaS14_S15_EUlS14_E_NS1_11comp_targetILNS1_3genE8ELNS1_11target_archE1030ELNS1_3gpuE2ELNS1_3repE0EEENS1_30default_config_static_selectorELNS0_4arch9wavefront6targetE1EEEvT1_.kd
    .uniform_work_group_size: 1
    .uses_dynamic_stack: false
    .vgpr_count:     0
    .vgpr_spill_count: 0
    .wavefront_size: 64
  - .agpr_count:     0
    .args:
      - .offset:         0
        .size:           128
        .value_kind:     by_value
    .group_segment_fixed_size: 0
    .kernarg_segment_align: 8
    .kernarg_segment_size: 128
    .language:       OpenCL C
    .language_version:
      - 2
      - 0
    .max_flat_workgroup_size: 128
    .name:           _ZN7rocprim17ROCPRIM_400000_NS6detail17trampoline_kernelINS0_14default_configENS1_25partition_config_selectorILNS1_17partition_subalgoE0ExNS0_10empty_typeEbEEZZNS1_14partition_implILS5_0ELb0ES3_jN6thrust23THRUST_200600_302600_NS6detail15normal_iteratorINSA_10device_ptrIxEEEEPS6_SG_NS0_5tupleIJNSA_16discard_iteratorINSA_11use_defaultEEESF_EEENSH_IJSG_SG_EEES6_PlJ7is_evenIxEEEE10hipError_tPvRmT3_T4_T5_T6_T7_T9_mT8_P12ihipStream_tbDpT10_ENKUlT_T0_E_clISt17integral_constantIbLb0EES19_EEDaS14_S15_EUlS14_E_NS1_11comp_targetILNS1_3genE0ELNS1_11target_archE4294967295ELNS1_3gpuE0ELNS1_3repE0EEENS1_30default_config_static_selectorELNS0_4arch9wavefront6targetE1EEEvT1_
    .private_segment_fixed_size: 0
    .sgpr_count:     6
    .sgpr_spill_count: 0
    .symbol:         _ZN7rocprim17ROCPRIM_400000_NS6detail17trampoline_kernelINS0_14default_configENS1_25partition_config_selectorILNS1_17partition_subalgoE0ExNS0_10empty_typeEbEEZZNS1_14partition_implILS5_0ELb0ES3_jN6thrust23THRUST_200600_302600_NS6detail15normal_iteratorINSA_10device_ptrIxEEEEPS6_SG_NS0_5tupleIJNSA_16discard_iteratorINSA_11use_defaultEEESF_EEENSH_IJSG_SG_EEES6_PlJ7is_evenIxEEEE10hipError_tPvRmT3_T4_T5_T6_T7_T9_mT8_P12ihipStream_tbDpT10_ENKUlT_T0_E_clISt17integral_constantIbLb0EES19_EEDaS14_S15_EUlS14_E_NS1_11comp_targetILNS1_3genE0ELNS1_11target_archE4294967295ELNS1_3gpuE0ELNS1_3repE0EEENS1_30default_config_static_selectorELNS0_4arch9wavefront6targetE1EEEvT1_.kd
    .uniform_work_group_size: 1
    .uses_dynamic_stack: false
    .vgpr_count:     0
    .vgpr_spill_count: 0
    .wavefront_size: 64
  - .agpr_count:     0
    .args:
      - .offset:         0
        .size:           128
        .value_kind:     by_value
    .group_segment_fixed_size: 28680
    .kernarg_segment_align: 8
    .kernarg_segment_size: 128
    .language:       OpenCL C
    .language_version:
      - 2
      - 0
    .max_flat_workgroup_size: 512
    .name:           _ZN7rocprim17ROCPRIM_400000_NS6detail17trampoline_kernelINS0_14default_configENS1_25partition_config_selectorILNS1_17partition_subalgoE0ExNS0_10empty_typeEbEEZZNS1_14partition_implILS5_0ELb0ES3_jN6thrust23THRUST_200600_302600_NS6detail15normal_iteratorINSA_10device_ptrIxEEEEPS6_SG_NS0_5tupleIJNSA_16discard_iteratorINSA_11use_defaultEEESF_EEENSH_IJSG_SG_EEES6_PlJ7is_evenIxEEEE10hipError_tPvRmT3_T4_T5_T6_T7_T9_mT8_P12ihipStream_tbDpT10_ENKUlT_T0_E_clISt17integral_constantIbLb0EES19_EEDaS14_S15_EUlS14_E_NS1_11comp_targetILNS1_3genE5ELNS1_11target_archE942ELNS1_3gpuE9ELNS1_3repE0EEENS1_30default_config_static_selectorELNS0_4arch9wavefront6targetE1EEEvT1_
    .private_segment_fixed_size: 0
    .sgpr_count:     50
    .sgpr_spill_count: 0
    .symbol:         _ZN7rocprim17ROCPRIM_400000_NS6detail17trampoline_kernelINS0_14default_configENS1_25partition_config_selectorILNS1_17partition_subalgoE0ExNS0_10empty_typeEbEEZZNS1_14partition_implILS5_0ELb0ES3_jN6thrust23THRUST_200600_302600_NS6detail15normal_iteratorINSA_10device_ptrIxEEEEPS6_SG_NS0_5tupleIJNSA_16discard_iteratorINSA_11use_defaultEEESF_EEENSH_IJSG_SG_EEES6_PlJ7is_evenIxEEEE10hipError_tPvRmT3_T4_T5_T6_T7_T9_mT8_P12ihipStream_tbDpT10_ENKUlT_T0_E_clISt17integral_constantIbLb0EES19_EEDaS14_S15_EUlS14_E_NS1_11comp_targetILNS1_3genE5ELNS1_11target_archE942ELNS1_3gpuE9ELNS1_3repE0EEENS1_30default_config_static_selectorELNS0_4arch9wavefront6targetE1EEEvT1_.kd
    .uniform_work_group_size: 1
    .uses_dynamic_stack: false
    .vgpr_count:     57
    .vgpr_spill_count: 0
    .wavefront_size: 64
  - .agpr_count:     0
    .args:
      - .offset:         0
        .size:           128
        .value_kind:     by_value
    .group_segment_fixed_size: 0
    .kernarg_segment_align: 8
    .kernarg_segment_size: 128
    .language:       OpenCL C
    .language_version:
      - 2
      - 0
    .max_flat_workgroup_size: 192
    .name:           _ZN7rocprim17ROCPRIM_400000_NS6detail17trampoline_kernelINS0_14default_configENS1_25partition_config_selectorILNS1_17partition_subalgoE0ExNS0_10empty_typeEbEEZZNS1_14partition_implILS5_0ELb0ES3_jN6thrust23THRUST_200600_302600_NS6detail15normal_iteratorINSA_10device_ptrIxEEEEPS6_SG_NS0_5tupleIJNSA_16discard_iteratorINSA_11use_defaultEEESF_EEENSH_IJSG_SG_EEES6_PlJ7is_evenIxEEEE10hipError_tPvRmT3_T4_T5_T6_T7_T9_mT8_P12ihipStream_tbDpT10_ENKUlT_T0_E_clISt17integral_constantIbLb0EES19_EEDaS14_S15_EUlS14_E_NS1_11comp_targetILNS1_3genE4ELNS1_11target_archE910ELNS1_3gpuE8ELNS1_3repE0EEENS1_30default_config_static_selectorELNS0_4arch9wavefront6targetE1EEEvT1_
    .private_segment_fixed_size: 0
    .sgpr_count:     6
    .sgpr_spill_count: 0
    .symbol:         _ZN7rocprim17ROCPRIM_400000_NS6detail17trampoline_kernelINS0_14default_configENS1_25partition_config_selectorILNS1_17partition_subalgoE0ExNS0_10empty_typeEbEEZZNS1_14partition_implILS5_0ELb0ES3_jN6thrust23THRUST_200600_302600_NS6detail15normal_iteratorINSA_10device_ptrIxEEEEPS6_SG_NS0_5tupleIJNSA_16discard_iteratorINSA_11use_defaultEEESF_EEENSH_IJSG_SG_EEES6_PlJ7is_evenIxEEEE10hipError_tPvRmT3_T4_T5_T6_T7_T9_mT8_P12ihipStream_tbDpT10_ENKUlT_T0_E_clISt17integral_constantIbLb0EES19_EEDaS14_S15_EUlS14_E_NS1_11comp_targetILNS1_3genE4ELNS1_11target_archE910ELNS1_3gpuE8ELNS1_3repE0EEENS1_30default_config_static_selectorELNS0_4arch9wavefront6targetE1EEEvT1_.kd
    .uniform_work_group_size: 1
    .uses_dynamic_stack: false
    .vgpr_count:     0
    .vgpr_spill_count: 0
    .wavefront_size: 64
  - .agpr_count:     0
    .args:
      - .offset:         0
        .size:           128
        .value_kind:     by_value
    .group_segment_fixed_size: 0
    .kernarg_segment_align: 8
    .kernarg_segment_size: 128
    .language:       OpenCL C
    .language_version:
      - 2
      - 0
    .max_flat_workgroup_size: 128
    .name:           _ZN7rocprim17ROCPRIM_400000_NS6detail17trampoline_kernelINS0_14default_configENS1_25partition_config_selectorILNS1_17partition_subalgoE0ExNS0_10empty_typeEbEEZZNS1_14partition_implILS5_0ELb0ES3_jN6thrust23THRUST_200600_302600_NS6detail15normal_iteratorINSA_10device_ptrIxEEEEPS6_SG_NS0_5tupleIJNSA_16discard_iteratorINSA_11use_defaultEEESF_EEENSH_IJSG_SG_EEES6_PlJ7is_evenIxEEEE10hipError_tPvRmT3_T4_T5_T6_T7_T9_mT8_P12ihipStream_tbDpT10_ENKUlT_T0_E_clISt17integral_constantIbLb0EES19_EEDaS14_S15_EUlS14_E_NS1_11comp_targetILNS1_3genE3ELNS1_11target_archE908ELNS1_3gpuE7ELNS1_3repE0EEENS1_30default_config_static_selectorELNS0_4arch9wavefront6targetE1EEEvT1_
    .private_segment_fixed_size: 0
    .sgpr_count:     6
    .sgpr_spill_count: 0
    .symbol:         _ZN7rocprim17ROCPRIM_400000_NS6detail17trampoline_kernelINS0_14default_configENS1_25partition_config_selectorILNS1_17partition_subalgoE0ExNS0_10empty_typeEbEEZZNS1_14partition_implILS5_0ELb0ES3_jN6thrust23THRUST_200600_302600_NS6detail15normal_iteratorINSA_10device_ptrIxEEEEPS6_SG_NS0_5tupleIJNSA_16discard_iteratorINSA_11use_defaultEEESF_EEENSH_IJSG_SG_EEES6_PlJ7is_evenIxEEEE10hipError_tPvRmT3_T4_T5_T6_T7_T9_mT8_P12ihipStream_tbDpT10_ENKUlT_T0_E_clISt17integral_constantIbLb0EES19_EEDaS14_S15_EUlS14_E_NS1_11comp_targetILNS1_3genE3ELNS1_11target_archE908ELNS1_3gpuE7ELNS1_3repE0EEENS1_30default_config_static_selectorELNS0_4arch9wavefront6targetE1EEEvT1_.kd
    .uniform_work_group_size: 1
    .uses_dynamic_stack: false
    .vgpr_count:     0
    .vgpr_spill_count: 0
    .wavefront_size: 64
  - .agpr_count:     0
    .args:
      - .offset:         0
        .size:           128
        .value_kind:     by_value
    .group_segment_fixed_size: 0
    .kernarg_segment_align: 8
    .kernarg_segment_size: 128
    .language:       OpenCL C
    .language_version:
      - 2
      - 0
    .max_flat_workgroup_size: 256
    .name:           _ZN7rocprim17ROCPRIM_400000_NS6detail17trampoline_kernelINS0_14default_configENS1_25partition_config_selectorILNS1_17partition_subalgoE0ExNS0_10empty_typeEbEEZZNS1_14partition_implILS5_0ELb0ES3_jN6thrust23THRUST_200600_302600_NS6detail15normal_iteratorINSA_10device_ptrIxEEEEPS6_SG_NS0_5tupleIJNSA_16discard_iteratorINSA_11use_defaultEEESF_EEENSH_IJSG_SG_EEES6_PlJ7is_evenIxEEEE10hipError_tPvRmT3_T4_T5_T6_T7_T9_mT8_P12ihipStream_tbDpT10_ENKUlT_T0_E_clISt17integral_constantIbLb0EES19_EEDaS14_S15_EUlS14_E_NS1_11comp_targetILNS1_3genE2ELNS1_11target_archE906ELNS1_3gpuE6ELNS1_3repE0EEENS1_30default_config_static_selectorELNS0_4arch9wavefront6targetE1EEEvT1_
    .private_segment_fixed_size: 0
    .sgpr_count:     6
    .sgpr_spill_count: 0
    .symbol:         _ZN7rocprim17ROCPRIM_400000_NS6detail17trampoline_kernelINS0_14default_configENS1_25partition_config_selectorILNS1_17partition_subalgoE0ExNS0_10empty_typeEbEEZZNS1_14partition_implILS5_0ELb0ES3_jN6thrust23THRUST_200600_302600_NS6detail15normal_iteratorINSA_10device_ptrIxEEEEPS6_SG_NS0_5tupleIJNSA_16discard_iteratorINSA_11use_defaultEEESF_EEENSH_IJSG_SG_EEES6_PlJ7is_evenIxEEEE10hipError_tPvRmT3_T4_T5_T6_T7_T9_mT8_P12ihipStream_tbDpT10_ENKUlT_T0_E_clISt17integral_constantIbLb0EES19_EEDaS14_S15_EUlS14_E_NS1_11comp_targetILNS1_3genE2ELNS1_11target_archE906ELNS1_3gpuE6ELNS1_3repE0EEENS1_30default_config_static_selectorELNS0_4arch9wavefront6targetE1EEEvT1_.kd
    .uniform_work_group_size: 1
    .uses_dynamic_stack: false
    .vgpr_count:     0
    .vgpr_spill_count: 0
    .wavefront_size: 64
  - .agpr_count:     0
    .args:
      - .offset:         0
        .size:           128
        .value_kind:     by_value
    .group_segment_fixed_size: 0
    .kernarg_segment_align: 8
    .kernarg_segment_size: 128
    .language:       OpenCL C
    .language_version:
      - 2
      - 0
    .max_flat_workgroup_size: 512
    .name:           _ZN7rocprim17ROCPRIM_400000_NS6detail17trampoline_kernelINS0_14default_configENS1_25partition_config_selectorILNS1_17partition_subalgoE0ExNS0_10empty_typeEbEEZZNS1_14partition_implILS5_0ELb0ES3_jN6thrust23THRUST_200600_302600_NS6detail15normal_iteratorINSA_10device_ptrIxEEEEPS6_SG_NS0_5tupleIJNSA_16discard_iteratorINSA_11use_defaultEEESF_EEENSH_IJSG_SG_EEES6_PlJ7is_evenIxEEEE10hipError_tPvRmT3_T4_T5_T6_T7_T9_mT8_P12ihipStream_tbDpT10_ENKUlT_T0_E_clISt17integral_constantIbLb0EES19_EEDaS14_S15_EUlS14_E_NS1_11comp_targetILNS1_3genE10ELNS1_11target_archE1200ELNS1_3gpuE4ELNS1_3repE0EEENS1_30default_config_static_selectorELNS0_4arch9wavefront6targetE1EEEvT1_
    .private_segment_fixed_size: 0
    .sgpr_count:     6
    .sgpr_spill_count: 0
    .symbol:         _ZN7rocprim17ROCPRIM_400000_NS6detail17trampoline_kernelINS0_14default_configENS1_25partition_config_selectorILNS1_17partition_subalgoE0ExNS0_10empty_typeEbEEZZNS1_14partition_implILS5_0ELb0ES3_jN6thrust23THRUST_200600_302600_NS6detail15normal_iteratorINSA_10device_ptrIxEEEEPS6_SG_NS0_5tupleIJNSA_16discard_iteratorINSA_11use_defaultEEESF_EEENSH_IJSG_SG_EEES6_PlJ7is_evenIxEEEE10hipError_tPvRmT3_T4_T5_T6_T7_T9_mT8_P12ihipStream_tbDpT10_ENKUlT_T0_E_clISt17integral_constantIbLb0EES19_EEDaS14_S15_EUlS14_E_NS1_11comp_targetILNS1_3genE10ELNS1_11target_archE1200ELNS1_3gpuE4ELNS1_3repE0EEENS1_30default_config_static_selectorELNS0_4arch9wavefront6targetE1EEEvT1_.kd
    .uniform_work_group_size: 1
    .uses_dynamic_stack: false
    .vgpr_count:     0
    .vgpr_spill_count: 0
    .wavefront_size: 64
  - .agpr_count:     0
    .args:
      - .offset:         0
        .size:           128
        .value_kind:     by_value
    .group_segment_fixed_size: 0
    .kernarg_segment_align: 8
    .kernarg_segment_size: 128
    .language:       OpenCL C
    .language_version:
      - 2
      - 0
    .max_flat_workgroup_size: 512
    .name:           _ZN7rocprim17ROCPRIM_400000_NS6detail17trampoline_kernelINS0_14default_configENS1_25partition_config_selectorILNS1_17partition_subalgoE0ExNS0_10empty_typeEbEEZZNS1_14partition_implILS5_0ELb0ES3_jN6thrust23THRUST_200600_302600_NS6detail15normal_iteratorINSA_10device_ptrIxEEEEPS6_SG_NS0_5tupleIJNSA_16discard_iteratorINSA_11use_defaultEEESF_EEENSH_IJSG_SG_EEES6_PlJ7is_evenIxEEEE10hipError_tPvRmT3_T4_T5_T6_T7_T9_mT8_P12ihipStream_tbDpT10_ENKUlT_T0_E_clISt17integral_constantIbLb0EES19_EEDaS14_S15_EUlS14_E_NS1_11comp_targetILNS1_3genE9ELNS1_11target_archE1100ELNS1_3gpuE3ELNS1_3repE0EEENS1_30default_config_static_selectorELNS0_4arch9wavefront6targetE1EEEvT1_
    .private_segment_fixed_size: 0
    .sgpr_count:     6
    .sgpr_spill_count: 0
    .symbol:         _ZN7rocprim17ROCPRIM_400000_NS6detail17trampoline_kernelINS0_14default_configENS1_25partition_config_selectorILNS1_17partition_subalgoE0ExNS0_10empty_typeEbEEZZNS1_14partition_implILS5_0ELb0ES3_jN6thrust23THRUST_200600_302600_NS6detail15normal_iteratorINSA_10device_ptrIxEEEEPS6_SG_NS0_5tupleIJNSA_16discard_iteratorINSA_11use_defaultEEESF_EEENSH_IJSG_SG_EEES6_PlJ7is_evenIxEEEE10hipError_tPvRmT3_T4_T5_T6_T7_T9_mT8_P12ihipStream_tbDpT10_ENKUlT_T0_E_clISt17integral_constantIbLb0EES19_EEDaS14_S15_EUlS14_E_NS1_11comp_targetILNS1_3genE9ELNS1_11target_archE1100ELNS1_3gpuE3ELNS1_3repE0EEENS1_30default_config_static_selectorELNS0_4arch9wavefront6targetE1EEEvT1_.kd
    .uniform_work_group_size: 1
    .uses_dynamic_stack: false
    .vgpr_count:     0
    .vgpr_spill_count: 0
    .wavefront_size: 64
  - .agpr_count:     0
    .args:
      - .offset:         0
        .size:           128
        .value_kind:     by_value
    .group_segment_fixed_size: 0
    .kernarg_segment_align: 8
    .kernarg_segment_size: 128
    .language:       OpenCL C
    .language_version:
      - 2
      - 0
    .max_flat_workgroup_size: 512
    .name:           _ZN7rocprim17ROCPRIM_400000_NS6detail17trampoline_kernelINS0_14default_configENS1_25partition_config_selectorILNS1_17partition_subalgoE0ExNS0_10empty_typeEbEEZZNS1_14partition_implILS5_0ELb0ES3_jN6thrust23THRUST_200600_302600_NS6detail15normal_iteratorINSA_10device_ptrIxEEEEPS6_SG_NS0_5tupleIJNSA_16discard_iteratorINSA_11use_defaultEEESF_EEENSH_IJSG_SG_EEES6_PlJ7is_evenIxEEEE10hipError_tPvRmT3_T4_T5_T6_T7_T9_mT8_P12ihipStream_tbDpT10_ENKUlT_T0_E_clISt17integral_constantIbLb0EES19_EEDaS14_S15_EUlS14_E_NS1_11comp_targetILNS1_3genE8ELNS1_11target_archE1030ELNS1_3gpuE2ELNS1_3repE0EEENS1_30default_config_static_selectorELNS0_4arch9wavefront6targetE1EEEvT1_
    .private_segment_fixed_size: 0
    .sgpr_count:     6
    .sgpr_spill_count: 0
    .symbol:         _ZN7rocprim17ROCPRIM_400000_NS6detail17trampoline_kernelINS0_14default_configENS1_25partition_config_selectorILNS1_17partition_subalgoE0ExNS0_10empty_typeEbEEZZNS1_14partition_implILS5_0ELb0ES3_jN6thrust23THRUST_200600_302600_NS6detail15normal_iteratorINSA_10device_ptrIxEEEEPS6_SG_NS0_5tupleIJNSA_16discard_iteratorINSA_11use_defaultEEESF_EEENSH_IJSG_SG_EEES6_PlJ7is_evenIxEEEE10hipError_tPvRmT3_T4_T5_T6_T7_T9_mT8_P12ihipStream_tbDpT10_ENKUlT_T0_E_clISt17integral_constantIbLb0EES19_EEDaS14_S15_EUlS14_E_NS1_11comp_targetILNS1_3genE8ELNS1_11target_archE1030ELNS1_3gpuE2ELNS1_3repE0EEENS1_30default_config_static_selectorELNS0_4arch9wavefront6targetE1EEEvT1_.kd
    .uniform_work_group_size: 1
    .uses_dynamic_stack: false
    .vgpr_count:     0
    .vgpr_spill_count: 0
    .wavefront_size: 64
  - .agpr_count:     0
    .args:
      - .offset:         0
        .size:           144
        .value_kind:     by_value
    .group_segment_fixed_size: 0
    .kernarg_segment_align: 8
    .kernarg_segment_size: 144
    .language:       OpenCL C
    .language_version:
      - 2
      - 0
    .max_flat_workgroup_size: 128
    .name:           _ZN7rocprim17ROCPRIM_400000_NS6detail17trampoline_kernelINS0_14default_configENS1_25partition_config_selectorILNS1_17partition_subalgoE0ExNS0_10empty_typeEbEEZZNS1_14partition_implILS5_0ELb0ES3_jN6thrust23THRUST_200600_302600_NS6detail15normal_iteratorINSA_10device_ptrIxEEEEPS6_SG_NS0_5tupleIJNSA_16discard_iteratorINSA_11use_defaultEEESF_EEENSH_IJSG_SG_EEES6_PlJ7is_evenIxEEEE10hipError_tPvRmT3_T4_T5_T6_T7_T9_mT8_P12ihipStream_tbDpT10_ENKUlT_T0_E_clISt17integral_constantIbLb1EES19_EEDaS14_S15_EUlS14_E_NS1_11comp_targetILNS1_3genE0ELNS1_11target_archE4294967295ELNS1_3gpuE0ELNS1_3repE0EEENS1_30default_config_static_selectorELNS0_4arch9wavefront6targetE1EEEvT1_
    .private_segment_fixed_size: 0
    .sgpr_count:     6
    .sgpr_spill_count: 0
    .symbol:         _ZN7rocprim17ROCPRIM_400000_NS6detail17trampoline_kernelINS0_14default_configENS1_25partition_config_selectorILNS1_17partition_subalgoE0ExNS0_10empty_typeEbEEZZNS1_14partition_implILS5_0ELb0ES3_jN6thrust23THRUST_200600_302600_NS6detail15normal_iteratorINSA_10device_ptrIxEEEEPS6_SG_NS0_5tupleIJNSA_16discard_iteratorINSA_11use_defaultEEESF_EEENSH_IJSG_SG_EEES6_PlJ7is_evenIxEEEE10hipError_tPvRmT3_T4_T5_T6_T7_T9_mT8_P12ihipStream_tbDpT10_ENKUlT_T0_E_clISt17integral_constantIbLb1EES19_EEDaS14_S15_EUlS14_E_NS1_11comp_targetILNS1_3genE0ELNS1_11target_archE4294967295ELNS1_3gpuE0ELNS1_3repE0EEENS1_30default_config_static_selectorELNS0_4arch9wavefront6targetE1EEEvT1_.kd
    .uniform_work_group_size: 1
    .uses_dynamic_stack: false
    .vgpr_count:     0
    .vgpr_spill_count: 0
    .wavefront_size: 64
  - .agpr_count:     0
    .args:
      - .offset:         0
        .size:           144
        .value_kind:     by_value
    .group_segment_fixed_size: 28680
    .kernarg_segment_align: 8
    .kernarg_segment_size: 144
    .language:       OpenCL C
    .language_version:
      - 2
      - 0
    .max_flat_workgroup_size: 512
    .name:           _ZN7rocprim17ROCPRIM_400000_NS6detail17trampoline_kernelINS0_14default_configENS1_25partition_config_selectorILNS1_17partition_subalgoE0ExNS0_10empty_typeEbEEZZNS1_14partition_implILS5_0ELb0ES3_jN6thrust23THRUST_200600_302600_NS6detail15normal_iteratorINSA_10device_ptrIxEEEEPS6_SG_NS0_5tupleIJNSA_16discard_iteratorINSA_11use_defaultEEESF_EEENSH_IJSG_SG_EEES6_PlJ7is_evenIxEEEE10hipError_tPvRmT3_T4_T5_T6_T7_T9_mT8_P12ihipStream_tbDpT10_ENKUlT_T0_E_clISt17integral_constantIbLb1EES19_EEDaS14_S15_EUlS14_E_NS1_11comp_targetILNS1_3genE5ELNS1_11target_archE942ELNS1_3gpuE9ELNS1_3repE0EEENS1_30default_config_static_selectorELNS0_4arch9wavefront6targetE1EEEvT1_
    .private_segment_fixed_size: 0
    .sgpr_count:     48
    .sgpr_spill_count: 0
    .symbol:         _ZN7rocprim17ROCPRIM_400000_NS6detail17trampoline_kernelINS0_14default_configENS1_25partition_config_selectorILNS1_17partition_subalgoE0ExNS0_10empty_typeEbEEZZNS1_14partition_implILS5_0ELb0ES3_jN6thrust23THRUST_200600_302600_NS6detail15normal_iteratorINSA_10device_ptrIxEEEEPS6_SG_NS0_5tupleIJNSA_16discard_iteratorINSA_11use_defaultEEESF_EEENSH_IJSG_SG_EEES6_PlJ7is_evenIxEEEE10hipError_tPvRmT3_T4_T5_T6_T7_T9_mT8_P12ihipStream_tbDpT10_ENKUlT_T0_E_clISt17integral_constantIbLb1EES19_EEDaS14_S15_EUlS14_E_NS1_11comp_targetILNS1_3genE5ELNS1_11target_archE942ELNS1_3gpuE9ELNS1_3repE0EEENS1_30default_config_static_selectorELNS0_4arch9wavefront6targetE1EEEvT1_.kd
    .uniform_work_group_size: 1
    .uses_dynamic_stack: false
    .vgpr_count:     61
    .vgpr_spill_count: 0
    .wavefront_size: 64
  - .agpr_count:     0
    .args:
      - .offset:         0
        .size:           144
        .value_kind:     by_value
    .group_segment_fixed_size: 0
    .kernarg_segment_align: 8
    .kernarg_segment_size: 144
    .language:       OpenCL C
    .language_version:
      - 2
      - 0
    .max_flat_workgroup_size: 192
    .name:           _ZN7rocprim17ROCPRIM_400000_NS6detail17trampoline_kernelINS0_14default_configENS1_25partition_config_selectorILNS1_17partition_subalgoE0ExNS0_10empty_typeEbEEZZNS1_14partition_implILS5_0ELb0ES3_jN6thrust23THRUST_200600_302600_NS6detail15normal_iteratorINSA_10device_ptrIxEEEEPS6_SG_NS0_5tupleIJNSA_16discard_iteratorINSA_11use_defaultEEESF_EEENSH_IJSG_SG_EEES6_PlJ7is_evenIxEEEE10hipError_tPvRmT3_T4_T5_T6_T7_T9_mT8_P12ihipStream_tbDpT10_ENKUlT_T0_E_clISt17integral_constantIbLb1EES19_EEDaS14_S15_EUlS14_E_NS1_11comp_targetILNS1_3genE4ELNS1_11target_archE910ELNS1_3gpuE8ELNS1_3repE0EEENS1_30default_config_static_selectorELNS0_4arch9wavefront6targetE1EEEvT1_
    .private_segment_fixed_size: 0
    .sgpr_count:     6
    .sgpr_spill_count: 0
    .symbol:         _ZN7rocprim17ROCPRIM_400000_NS6detail17trampoline_kernelINS0_14default_configENS1_25partition_config_selectorILNS1_17partition_subalgoE0ExNS0_10empty_typeEbEEZZNS1_14partition_implILS5_0ELb0ES3_jN6thrust23THRUST_200600_302600_NS6detail15normal_iteratorINSA_10device_ptrIxEEEEPS6_SG_NS0_5tupleIJNSA_16discard_iteratorINSA_11use_defaultEEESF_EEENSH_IJSG_SG_EEES6_PlJ7is_evenIxEEEE10hipError_tPvRmT3_T4_T5_T6_T7_T9_mT8_P12ihipStream_tbDpT10_ENKUlT_T0_E_clISt17integral_constantIbLb1EES19_EEDaS14_S15_EUlS14_E_NS1_11comp_targetILNS1_3genE4ELNS1_11target_archE910ELNS1_3gpuE8ELNS1_3repE0EEENS1_30default_config_static_selectorELNS0_4arch9wavefront6targetE1EEEvT1_.kd
    .uniform_work_group_size: 1
    .uses_dynamic_stack: false
    .vgpr_count:     0
    .vgpr_spill_count: 0
    .wavefront_size: 64
  - .agpr_count:     0
    .args:
      - .offset:         0
        .size:           144
        .value_kind:     by_value
    .group_segment_fixed_size: 0
    .kernarg_segment_align: 8
    .kernarg_segment_size: 144
    .language:       OpenCL C
    .language_version:
      - 2
      - 0
    .max_flat_workgroup_size: 128
    .name:           _ZN7rocprim17ROCPRIM_400000_NS6detail17trampoline_kernelINS0_14default_configENS1_25partition_config_selectorILNS1_17partition_subalgoE0ExNS0_10empty_typeEbEEZZNS1_14partition_implILS5_0ELb0ES3_jN6thrust23THRUST_200600_302600_NS6detail15normal_iteratorINSA_10device_ptrIxEEEEPS6_SG_NS0_5tupleIJNSA_16discard_iteratorINSA_11use_defaultEEESF_EEENSH_IJSG_SG_EEES6_PlJ7is_evenIxEEEE10hipError_tPvRmT3_T4_T5_T6_T7_T9_mT8_P12ihipStream_tbDpT10_ENKUlT_T0_E_clISt17integral_constantIbLb1EES19_EEDaS14_S15_EUlS14_E_NS1_11comp_targetILNS1_3genE3ELNS1_11target_archE908ELNS1_3gpuE7ELNS1_3repE0EEENS1_30default_config_static_selectorELNS0_4arch9wavefront6targetE1EEEvT1_
    .private_segment_fixed_size: 0
    .sgpr_count:     6
    .sgpr_spill_count: 0
    .symbol:         _ZN7rocprim17ROCPRIM_400000_NS6detail17trampoline_kernelINS0_14default_configENS1_25partition_config_selectorILNS1_17partition_subalgoE0ExNS0_10empty_typeEbEEZZNS1_14partition_implILS5_0ELb0ES3_jN6thrust23THRUST_200600_302600_NS6detail15normal_iteratorINSA_10device_ptrIxEEEEPS6_SG_NS0_5tupleIJNSA_16discard_iteratorINSA_11use_defaultEEESF_EEENSH_IJSG_SG_EEES6_PlJ7is_evenIxEEEE10hipError_tPvRmT3_T4_T5_T6_T7_T9_mT8_P12ihipStream_tbDpT10_ENKUlT_T0_E_clISt17integral_constantIbLb1EES19_EEDaS14_S15_EUlS14_E_NS1_11comp_targetILNS1_3genE3ELNS1_11target_archE908ELNS1_3gpuE7ELNS1_3repE0EEENS1_30default_config_static_selectorELNS0_4arch9wavefront6targetE1EEEvT1_.kd
    .uniform_work_group_size: 1
    .uses_dynamic_stack: false
    .vgpr_count:     0
    .vgpr_spill_count: 0
    .wavefront_size: 64
  - .agpr_count:     0
    .args:
      - .offset:         0
        .size:           144
        .value_kind:     by_value
    .group_segment_fixed_size: 0
    .kernarg_segment_align: 8
    .kernarg_segment_size: 144
    .language:       OpenCL C
    .language_version:
      - 2
      - 0
    .max_flat_workgroup_size: 256
    .name:           _ZN7rocprim17ROCPRIM_400000_NS6detail17trampoline_kernelINS0_14default_configENS1_25partition_config_selectorILNS1_17partition_subalgoE0ExNS0_10empty_typeEbEEZZNS1_14partition_implILS5_0ELb0ES3_jN6thrust23THRUST_200600_302600_NS6detail15normal_iteratorINSA_10device_ptrIxEEEEPS6_SG_NS0_5tupleIJNSA_16discard_iteratorINSA_11use_defaultEEESF_EEENSH_IJSG_SG_EEES6_PlJ7is_evenIxEEEE10hipError_tPvRmT3_T4_T5_T6_T7_T9_mT8_P12ihipStream_tbDpT10_ENKUlT_T0_E_clISt17integral_constantIbLb1EES19_EEDaS14_S15_EUlS14_E_NS1_11comp_targetILNS1_3genE2ELNS1_11target_archE906ELNS1_3gpuE6ELNS1_3repE0EEENS1_30default_config_static_selectorELNS0_4arch9wavefront6targetE1EEEvT1_
    .private_segment_fixed_size: 0
    .sgpr_count:     6
    .sgpr_spill_count: 0
    .symbol:         _ZN7rocprim17ROCPRIM_400000_NS6detail17trampoline_kernelINS0_14default_configENS1_25partition_config_selectorILNS1_17partition_subalgoE0ExNS0_10empty_typeEbEEZZNS1_14partition_implILS5_0ELb0ES3_jN6thrust23THRUST_200600_302600_NS6detail15normal_iteratorINSA_10device_ptrIxEEEEPS6_SG_NS0_5tupleIJNSA_16discard_iteratorINSA_11use_defaultEEESF_EEENSH_IJSG_SG_EEES6_PlJ7is_evenIxEEEE10hipError_tPvRmT3_T4_T5_T6_T7_T9_mT8_P12ihipStream_tbDpT10_ENKUlT_T0_E_clISt17integral_constantIbLb1EES19_EEDaS14_S15_EUlS14_E_NS1_11comp_targetILNS1_3genE2ELNS1_11target_archE906ELNS1_3gpuE6ELNS1_3repE0EEENS1_30default_config_static_selectorELNS0_4arch9wavefront6targetE1EEEvT1_.kd
    .uniform_work_group_size: 1
    .uses_dynamic_stack: false
    .vgpr_count:     0
    .vgpr_spill_count: 0
    .wavefront_size: 64
  - .agpr_count:     0
    .args:
      - .offset:         0
        .size:           144
        .value_kind:     by_value
    .group_segment_fixed_size: 0
    .kernarg_segment_align: 8
    .kernarg_segment_size: 144
    .language:       OpenCL C
    .language_version:
      - 2
      - 0
    .max_flat_workgroup_size: 512
    .name:           _ZN7rocprim17ROCPRIM_400000_NS6detail17trampoline_kernelINS0_14default_configENS1_25partition_config_selectorILNS1_17partition_subalgoE0ExNS0_10empty_typeEbEEZZNS1_14partition_implILS5_0ELb0ES3_jN6thrust23THRUST_200600_302600_NS6detail15normal_iteratorINSA_10device_ptrIxEEEEPS6_SG_NS0_5tupleIJNSA_16discard_iteratorINSA_11use_defaultEEESF_EEENSH_IJSG_SG_EEES6_PlJ7is_evenIxEEEE10hipError_tPvRmT3_T4_T5_T6_T7_T9_mT8_P12ihipStream_tbDpT10_ENKUlT_T0_E_clISt17integral_constantIbLb1EES19_EEDaS14_S15_EUlS14_E_NS1_11comp_targetILNS1_3genE10ELNS1_11target_archE1200ELNS1_3gpuE4ELNS1_3repE0EEENS1_30default_config_static_selectorELNS0_4arch9wavefront6targetE1EEEvT1_
    .private_segment_fixed_size: 0
    .sgpr_count:     6
    .sgpr_spill_count: 0
    .symbol:         _ZN7rocprim17ROCPRIM_400000_NS6detail17trampoline_kernelINS0_14default_configENS1_25partition_config_selectorILNS1_17partition_subalgoE0ExNS0_10empty_typeEbEEZZNS1_14partition_implILS5_0ELb0ES3_jN6thrust23THRUST_200600_302600_NS6detail15normal_iteratorINSA_10device_ptrIxEEEEPS6_SG_NS0_5tupleIJNSA_16discard_iteratorINSA_11use_defaultEEESF_EEENSH_IJSG_SG_EEES6_PlJ7is_evenIxEEEE10hipError_tPvRmT3_T4_T5_T6_T7_T9_mT8_P12ihipStream_tbDpT10_ENKUlT_T0_E_clISt17integral_constantIbLb1EES19_EEDaS14_S15_EUlS14_E_NS1_11comp_targetILNS1_3genE10ELNS1_11target_archE1200ELNS1_3gpuE4ELNS1_3repE0EEENS1_30default_config_static_selectorELNS0_4arch9wavefront6targetE1EEEvT1_.kd
    .uniform_work_group_size: 1
    .uses_dynamic_stack: false
    .vgpr_count:     0
    .vgpr_spill_count: 0
    .wavefront_size: 64
  - .agpr_count:     0
    .args:
      - .offset:         0
        .size:           144
        .value_kind:     by_value
    .group_segment_fixed_size: 0
    .kernarg_segment_align: 8
    .kernarg_segment_size: 144
    .language:       OpenCL C
    .language_version:
      - 2
      - 0
    .max_flat_workgroup_size: 512
    .name:           _ZN7rocprim17ROCPRIM_400000_NS6detail17trampoline_kernelINS0_14default_configENS1_25partition_config_selectorILNS1_17partition_subalgoE0ExNS0_10empty_typeEbEEZZNS1_14partition_implILS5_0ELb0ES3_jN6thrust23THRUST_200600_302600_NS6detail15normal_iteratorINSA_10device_ptrIxEEEEPS6_SG_NS0_5tupleIJNSA_16discard_iteratorINSA_11use_defaultEEESF_EEENSH_IJSG_SG_EEES6_PlJ7is_evenIxEEEE10hipError_tPvRmT3_T4_T5_T6_T7_T9_mT8_P12ihipStream_tbDpT10_ENKUlT_T0_E_clISt17integral_constantIbLb1EES19_EEDaS14_S15_EUlS14_E_NS1_11comp_targetILNS1_3genE9ELNS1_11target_archE1100ELNS1_3gpuE3ELNS1_3repE0EEENS1_30default_config_static_selectorELNS0_4arch9wavefront6targetE1EEEvT1_
    .private_segment_fixed_size: 0
    .sgpr_count:     6
    .sgpr_spill_count: 0
    .symbol:         _ZN7rocprim17ROCPRIM_400000_NS6detail17trampoline_kernelINS0_14default_configENS1_25partition_config_selectorILNS1_17partition_subalgoE0ExNS0_10empty_typeEbEEZZNS1_14partition_implILS5_0ELb0ES3_jN6thrust23THRUST_200600_302600_NS6detail15normal_iteratorINSA_10device_ptrIxEEEEPS6_SG_NS0_5tupleIJNSA_16discard_iteratorINSA_11use_defaultEEESF_EEENSH_IJSG_SG_EEES6_PlJ7is_evenIxEEEE10hipError_tPvRmT3_T4_T5_T6_T7_T9_mT8_P12ihipStream_tbDpT10_ENKUlT_T0_E_clISt17integral_constantIbLb1EES19_EEDaS14_S15_EUlS14_E_NS1_11comp_targetILNS1_3genE9ELNS1_11target_archE1100ELNS1_3gpuE3ELNS1_3repE0EEENS1_30default_config_static_selectorELNS0_4arch9wavefront6targetE1EEEvT1_.kd
    .uniform_work_group_size: 1
    .uses_dynamic_stack: false
    .vgpr_count:     0
    .vgpr_spill_count: 0
    .wavefront_size: 64
  - .agpr_count:     0
    .args:
      - .offset:         0
        .size:           144
        .value_kind:     by_value
    .group_segment_fixed_size: 0
    .kernarg_segment_align: 8
    .kernarg_segment_size: 144
    .language:       OpenCL C
    .language_version:
      - 2
      - 0
    .max_flat_workgroup_size: 512
    .name:           _ZN7rocprim17ROCPRIM_400000_NS6detail17trampoline_kernelINS0_14default_configENS1_25partition_config_selectorILNS1_17partition_subalgoE0ExNS0_10empty_typeEbEEZZNS1_14partition_implILS5_0ELb0ES3_jN6thrust23THRUST_200600_302600_NS6detail15normal_iteratorINSA_10device_ptrIxEEEEPS6_SG_NS0_5tupleIJNSA_16discard_iteratorINSA_11use_defaultEEESF_EEENSH_IJSG_SG_EEES6_PlJ7is_evenIxEEEE10hipError_tPvRmT3_T4_T5_T6_T7_T9_mT8_P12ihipStream_tbDpT10_ENKUlT_T0_E_clISt17integral_constantIbLb1EES19_EEDaS14_S15_EUlS14_E_NS1_11comp_targetILNS1_3genE8ELNS1_11target_archE1030ELNS1_3gpuE2ELNS1_3repE0EEENS1_30default_config_static_selectorELNS0_4arch9wavefront6targetE1EEEvT1_
    .private_segment_fixed_size: 0
    .sgpr_count:     6
    .sgpr_spill_count: 0
    .symbol:         _ZN7rocprim17ROCPRIM_400000_NS6detail17trampoline_kernelINS0_14default_configENS1_25partition_config_selectorILNS1_17partition_subalgoE0ExNS0_10empty_typeEbEEZZNS1_14partition_implILS5_0ELb0ES3_jN6thrust23THRUST_200600_302600_NS6detail15normal_iteratorINSA_10device_ptrIxEEEEPS6_SG_NS0_5tupleIJNSA_16discard_iteratorINSA_11use_defaultEEESF_EEENSH_IJSG_SG_EEES6_PlJ7is_evenIxEEEE10hipError_tPvRmT3_T4_T5_T6_T7_T9_mT8_P12ihipStream_tbDpT10_ENKUlT_T0_E_clISt17integral_constantIbLb1EES19_EEDaS14_S15_EUlS14_E_NS1_11comp_targetILNS1_3genE8ELNS1_11target_archE1030ELNS1_3gpuE2ELNS1_3repE0EEENS1_30default_config_static_selectorELNS0_4arch9wavefront6targetE1EEEvT1_.kd
    .uniform_work_group_size: 1
    .uses_dynamic_stack: false
    .vgpr_count:     0
    .vgpr_spill_count: 0
    .wavefront_size: 64
  - .agpr_count:     0
    .args:
      - .offset:         0
        .size:           128
        .value_kind:     by_value
    .group_segment_fixed_size: 0
    .kernarg_segment_align: 8
    .kernarg_segment_size: 128
    .language:       OpenCL C
    .language_version:
      - 2
      - 0
    .max_flat_workgroup_size: 128
    .name:           _ZN7rocprim17ROCPRIM_400000_NS6detail17trampoline_kernelINS0_14default_configENS1_25partition_config_selectorILNS1_17partition_subalgoE0ExNS0_10empty_typeEbEEZZNS1_14partition_implILS5_0ELb0ES3_jN6thrust23THRUST_200600_302600_NS6detail15normal_iteratorINSA_10device_ptrIxEEEEPS6_SG_NS0_5tupleIJNSA_16discard_iteratorINSA_11use_defaultEEESF_EEENSH_IJSG_SG_EEES6_PlJ7is_evenIxEEEE10hipError_tPvRmT3_T4_T5_T6_T7_T9_mT8_P12ihipStream_tbDpT10_ENKUlT_T0_E_clISt17integral_constantIbLb1EES18_IbLb0EEEEDaS14_S15_EUlS14_E_NS1_11comp_targetILNS1_3genE0ELNS1_11target_archE4294967295ELNS1_3gpuE0ELNS1_3repE0EEENS1_30default_config_static_selectorELNS0_4arch9wavefront6targetE1EEEvT1_
    .private_segment_fixed_size: 0
    .sgpr_count:     6
    .sgpr_spill_count: 0
    .symbol:         _ZN7rocprim17ROCPRIM_400000_NS6detail17trampoline_kernelINS0_14default_configENS1_25partition_config_selectorILNS1_17partition_subalgoE0ExNS0_10empty_typeEbEEZZNS1_14partition_implILS5_0ELb0ES3_jN6thrust23THRUST_200600_302600_NS6detail15normal_iteratorINSA_10device_ptrIxEEEEPS6_SG_NS0_5tupleIJNSA_16discard_iteratorINSA_11use_defaultEEESF_EEENSH_IJSG_SG_EEES6_PlJ7is_evenIxEEEE10hipError_tPvRmT3_T4_T5_T6_T7_T9_mT8_P12ihipStream_tbDpT10_ENKUlT_T0_E_clISt17integral_constantIbLb1EES18_IbLb0EEEEDaS14_S15_EUlS14_E_NS1_11comp_targetILNS1_3genE0ELNS1_11target_archE4294967295ELNS1_3gpuE0ELNS1_3repE0EEENS1_30default_config_static_selectorELNS0_4arch9wavefront6targetE1EEEvT1_.kd
    .uniform_work_group_size: 1
    .uses_dynamic_stack: false
    .vgpr_count:     0
    .vgpr_spill_count: 0
    .wavefront_size: 64
  - .agpr_count:     0
    .args:
      - .offset:         0
        .size:           128
        .value_kind:     by_value
    .group_segment_fixed_size: 28680
    .kernarg_segment_align: 8
    .kernarg_segment_size: 128
    .language:       OpenCL C
    .language_version:
      - 2
      - 0
    .max_flat_workgroup_size: 512
    .name:           _ZN7rocprim17ROCPRIM_400000_NS6detail17trampoline_kernelINS0_14default_configENS1_25partition_config_selectorILNS1_17partition_subalgoE0ExNS0_10empty_typeEbEEZZNS1_14partition_implILS5_0ELb0ES3_jN6thrust23THRUST_200600_302600_NS6detail15normal_iteratorINSA_10device_ptrIxEEEEPS6_SG_NS0_5tupleIJNSA_16discard_iteratorINSA_11use_defaultEEESF_EEENSH_IJSG_SG_EEES6_PlJ7is_evenIxEEEE10hipError_tPvRmT3_T4_T5_T6_T7_T9_mT8_P12ihipStream_tbDpT10_ENKUlT_T0_E_clISt17integral_constantIbLb1EES18_IbLb0EEEEDaS14_S15_EUlS14_E_NS1_11comp_targetILNS1_3genE5ELNS1_11target_archE942ELNS1_3gpuE9ELNS1_3repE0EEENS1_30default_config_static_selectorELNS0_4arch9wavefront6targetE1EEEvT1_
    .private_segment_fixed_size: 0
    .sgpr_count:     50
    .sgpr_spill_count: 0
    .symbol:         _ZN7rocprim17ROCPRIM_400000_NS6detail17trampoline_kernelINS0_14default_configENS1_25partition_config_selectorILNS1_17partition_subalgoE0ExNS0_10empty_typeEbEEZZNS1_14partition_implILS5_0ELb0ES3_jN6thrust23THRUST_200600_302600_NS6detail15normal_iteratorINSA_10device_ptrIxEEEEPS6_SG_NS0_5tupleIJNSA_16discard_iteratorINSA_11use_defaultEEESF_EEENSH_IJSG_SG_EEES6_PlJ7is_evenIxEEEE10hipError_tPvRmT3_T4_T5_T6_T7_T9_mT8_P12ihipStream_tbDpT10_ENKUlT_T0_E_clISt17integral_constantIbLb1EES18_IbLb0EEEEDaS14_S15_EUlS14_E_NS1_11comp_targetILNS1_3genE5ELNS1_11target_archE942ELNS1_3gpuE9ELNS1_3repE0EEENS1_30default_config_static_selectorELNS0_4arch9wavefront6targetE1EEEvT1_.kd
    .uniform_work_group_size: 1
    .uses_dynamic_stack: false
    .vgpr_count:     57
    .vgpr_spill_count: 0
    .wavefront_size: 64
  - .agpr_count:     0
    .args:
      - .offset:         0
        .size:           128
        .value_kind:     by_value
    .group_segment_fixed_size: 0
    .kernarg_segment_align: 8
    .kernarg_segment_size: 128
    .language:       OpenCL C
    .language_version:
      - 2
      - 0
    .max_flat_workgroup_size: 192
    .name:           _ZN7rocprim17ROCPRIM_400000_NS6detail17trampoline_kernelINS0_14default_configENS1_25partition_config_selectorILNS1_17partition_subalgoE0ExNS0_10empty_typeEbEEZZNS1_14partition_implILS5_0ELb0ES3_jN6thrust23THRUST_200600_302600_NS6detail15normal_iteratorINSA_10device_ptrIxEEEEPS6_SG_NS0_5tupleIJNSA_16discard_iteratorINSA_11use_defaultEEESF_EEENSH_IJSG_SG_EEES6_PlJ7is_evenIxEEEE10hipError_tPvRmT3_T4_T5_T6_T7_T9_mT8_P12ihipStream_tbDpT10_ENKUlT_T0_E_clISt17integral_constantIbLb1EES18_IbLb0EEEEDaS14_S15_EUlS14_E_NS1_11comp_targetILNS1_3genE4ELNS1_11target_archE910ELNS1_3gpuE8ELNS1_3repE0EEENS1_30default_config_static_selectorELNS0_4arch9wavefront6targetE1EEEvT1_
    .private_segment_fixed_size: 0
    .sgpr_count:     6
    .sgpr_spill_count: 0
    .symbol:         _ZN7rocprim17ROCPRIM_400000_NS6detail17trampoline_kernelINS0_14default_configENS1_25partition_config_selectorILNS1_17partition_subalgoE0ExNS0_10empty_typeEbEEZZNS1_14partition_implILS5_0ELb0ES3_jN6thrust23THRUST_200600_302600_NS6detail15normal_iteratorINSA_10device_ptrIxEEEEPS6_SG_NS0_5tupleIJNSA_16discard_iteratorINSA_11use_defaultEEESF_EEENSH_IJSG_SG_EEES6_PlJ7is_evenIxEEEE10hipError_tPvRmT3_T4_T5_T6_T7_T9_mT8_P12ihipStream_tbDpT10_ENKUlT_T0_E_clISt17integral_constantIbLb1EES18_IbLb0EEEEDaS14_S15_EUlS14_E_NS1_11comp_targetILNS1_3genE4ELNS1_11target_archE910ELNS1_3gpuE8ELNS1_3repE0EEENS1_30default_config_static_selectorELNS0_4arch9wavefront6targetE1EEEvT1_.kd
    .uniform_work_group_size: 1
    .uses_dynamic_stack: false
    .vgpr_count:     0
    .vgpr_spill_count: 0
    .wavefront_size: 64
  - .agpr_count:     0
    .args:
      - .offset:         0
        .size:           128
        .value_kind:     by_value
    .group_segment_fixed_size: 0
    .kernarg_segment_align: 8
    .kernarg_segment_size: 128
    .language:       OpenCL C
    .language_version:
      - 2
      - 0
    .max_flat_workgroup_size: 128
    .name:           _ZN7rocprim17ROCPRIM_400000_NS6detail17trampoline_kernelINS0_14default_configENS1_25partition_config_selectorILNS1_17partition_subalgoE0ExNS0_10empty_typeEbEEZZNS1_14partition_implILS5_0ELb0ES3_jN6thrust23THRUST_200600_302600_NS6detail15normal_iteratorINSA_10device_ptrIxEEEEPS6_SG_NS0_5tupleIJNSA_16discard_iteratorINSA_11use_defaultEEESF_EEENSH_IJSG_SG_EEES6_PlJ7is_evenIxEEEE10hipError_tPvRmT3_T4_T5_T6_T7_T9_mT8_P12ihipStream_tbDpT10_ENKUlT_T0_E_clISt17integral_constantIbLb1EES18_IbLb0EEEEDaS14_S15_EUlS14_E_NS1_11comp_targetILNS1_3genE3ELNS1_11target_archE908ELNS1_3gpuE7ELNS1_3repE0EEENS1_30default_config_static_selectorELNS0_4arch9wavefront6targetE1EEEvT1_
    .private_segment_fixed_size: 0
    .sgpr_count:     6
    .sgpr_spill_count: 0
    .symbol:         _ZN7rocprim17ROCPRIM_400000_NS6detail17trampoline_kernelINS0_14default_configENS1_25partition_config_selectorILNS1_17partition_subalgoE0ExNS0_10empty_typeEbEEZZNS1_14partition_implILS5_0ELb0ES3_jN6thrust23THRUST_200600_302600_NS6detail15normal_iteratorINSA_10device_ptrIxEEEEPS6_SG_NS0_5tupleIJNSA_16discard_iteratorINSA_11use_defaultEEESF_EEENSH_IJSG_SG_EEES6_PlJ7is_evenIxEEEE10hipError_tPvRmT3_T4_T5_T6_T7_T9_mT8_P12ihipStream_tbDpT10_ENKUlT_T0_E_clISt17integral_constantIbLb1EES18_IbLb0EEEEDaS14_S15_EUlS14_E_NS1_11comp_targetILNS1_3genE3ELNS1_11target_archE908ELNS1_3gpuE7ELNS1_3repE0EEENS1_30default_config_static_selectorELNS0_4arch9wavefront6targetE1EEEvT1_.kd
    .uniform_work_group_size: 1
    .uses_dynamic_stack: false
    .vgpr_count:     0
    .vgpr_spill_count: 0
    .wavefront_size: 64
  - .agpr_count:     0
    .args:
      - .offset:         0
        .size:           128
        .value_kind:     by_value
    .group_segment_fixed_size: 0
    .kernarg_segment_align: 8
    .kernarg_segment_size: 128
    .language:       OpenCL C
    .language_version:
      - 2
      - 0
    .max_flat_workgroup_size: 256
    .name:           _ZN7rocprim17ROCPRIM_400000_NS6detail17trampoline_kernelINS0_14default_configENS1_25partition_config_selectorILNS1_17partition_subalgoE0ExNS0_10empty_typeEbEEZZNS1_14partition_implILS5_0ELb0ES3_jN6thrust23THRUST_200600_302600_NS6detail15normal_iteratorINSA_10device_ptrIxEEEEPS6_SG_NS0_5tupleIJNSA_16discard_iteratorINSA_11use_defaultEEESF_EEENSH_IJSG_SG_EEES6_PlJ7is_evenIxEEEE10hipError_tPvRmT3_T4_T5_T6_T7_T9_mT8_P12ihipStream_tbDpT10_ENKUlT_T0_E_clISt17integral_constantIbLb1EES18_IbLb0EEEEDaS14_S15_EUlS14_E_NS1_11comp_targetILNS1_3genE2ELNS1_11target_archE906ELNS1_3gpuE6ELNS1_3repE0EEENS1_30default_config_static_selectorELNS0_4arch9wavefront6targetE1EEEvT1_
    .private_segment_fixed_size: 0
    .sgpr_count:     6
    .sgpr_spill_count: 0
    .symbol:         _ZN7rocprim17ROCPRIM_400000_NS6detail17trampoline_kernelINS0_14default_configENS1_25partition_config_selectorILNS1_17partition_subalgoE0ExNS0_10empty_typeEbEEZZNS1_14partition_implILS5_0ELb0ES3_jN6thrust23THRUST_200600_302600_NS6detail15normal_iteratorINSA_10device_ptrIxEEEEPS6_SG_NS0_5tupleIJNSA_16discard_iteratorINSA_11use_defaultEEESF_EEENSH_IJSG_SG_EEES6_PlJ7is_evenIxEEEE10hipError_tPvRmT3_T4_T5_T6_T7_T9_mT8_P12ihipStream_tbDpT10_ENKUlT_T0_E_clISt17integral_constantIbLb1EES18_IbLb0EEEEDaS14_S15_EUlS14_E_NS1_11comp_targetILNS1_3genE2ELNS1_11target_archE906ELNS1_3gpuE6ELNS1_3repE0EEENS1_30default_config_static_selectorELNS0_4arch9wavefront6targetE1EEEvT1_.kd
    .uniform_work_group_size: 1
    .uses_dynamic_stack: false
    .vgpr_count:     0
    .vgpr_spill_count: 0
    .wavefront_size: 64
  - .agpr_count:     0
    .args:
      - .offset:         0
        .size:           128
        .value_kind:     by_value
    .group_segment_fixed_size: 0
    .kernarg_segment_align: 8
    .kernarg_segment_size: 128
    .language:       OpenCL C
    .language_version:
      - 2
      - 0
    .max_flat_workgroup_size: 512
    .name:           _ZN7rocprim17ROCPRIM_400000_NS6detail17trampoline_kernelINS0_14default_configENS1_25partition_config_selectorILNS1_17partition_subalgoE0ExNS0_10empty_typeEbEEZZNS1_14partition_implILS5_0ELb0ES3_jN6thrust23THRUST_200600_302600_NS6detail15normal_iteratorINSA_10device_ptrIxEEEEPS6_SG_NS0_5tupleIJNSA_16discard_iteratorINSA_11use_defaultEEESF_EEENSH_IJSG_SG_EEES6_PlJ7is_evenIxEEEE10hipError_tPvRmT3_T4_T5_T6_T7_T9_mT8_P12ihipStream_tbDpT10_ENKUlT_T0_E_clISt17integral_constantIbLb1EES18_IbLb0EEEEDaS14_S15_EUlS14_E_NS1_11comp_targetILNS1_3genE10ELNS1_11target_archE1200ELNS1_3gpuE4ELNS1_3repE0EEENS1_30default_config_static_selectorELNS0_4arch9wavefront6targetE1EEEvT1_
    .private_segment_fixed_size: 0
    .sgpr_count:     6
    .sgpr_spill_count: 0
    .symbol:         _ZN7rocprim17ROCPRIM_400000_NS6detail17trampoline_kernelINS0_14default_configENS1_25partition_config_selectorILNS1_17partition_subalgoE0ExNS0_10empty_typeEbEEZZNS1_14partition_implILS5_0ELb0ES3_jN6thrust23THRUST_200600_302600_NS6detail15normal_iteratorINSA_10device_ptrIxEEEEPS6_SG_NS0_5tupleIJNSA_16discard_iteratorINSA_11use_defaultEEESF_EEENSH_IJSG_SG_EEES6_PlJ7is_evenIxEEEE10hipError_tPvRmT3_T4_T5_T6_T7_T9_mT8_P12ihipStream_tbDpT10_ENKUlT_T0_E_clISt17integral_constantIbLb1EES18_IbLb0EEEEDaS14_S15_EUlS14_E_NS1_11comp_targetILNS1_3genE10ELNS1_11target_archE1200ELNS1_3gpuE4ELNS1_3repE0EEENS1_30default_config_static_selectorELNS0_4arch9wavefront6targetE1EEEvT1_.kd
    .uniform_work_group_size: 1
    .uses_dynamic_stack: false
    .vgpr_count:     0
    .vgpr_spill_count: 0
    .wavefront_size: 64
  - .agpr_count:     0
    .args:
      - .offset:         0
        .size:           128
        .value_kind:     by_value
    .group_segment_fixed_size: 0
    .kernarg_segment_align: 8
    .kernarg_segment_size: 128
    .language:       OpenCL C
    .language_version:
      - 2
      - 0
    .max_flat_workgroup_size: 512
    .name:           _ZN7rocprim17ROCPRIM_400000_NS6detail17trampoline_kernelINS0_14default_configENS1_25partition_config_selectorILNS1_17partition_subalgoE0ExNS0_10empty_typeEbEEZZNS1_14partition_implILS5_0ELb0ES3_jN6thrust23THRUST_200600_302600_NS6detail15normal_iteratorINSA_10device_ptrIxEEEEPS6_SG_NS0_5tupleIJNSA_16discard_iteratorINSA_11use_defaultEEESF_EEENSH_IJSG_SG_EEES6_PlJ7is_evenIxEEEE10hipError_tPvRmT3_T4_T5_T6_T7_T9_mT8_P12ihipStream_tbDpT10_ENKUlT_T0_E_clISt17integral_constantIbLb1EES18_IbLb0EEEEDaS14_S15_EUlS14_E_NS1_11comp_targetILNS1_3genE9ELNS1_11target_archE1100ELNS1_3gpuE3ELNS1_3repE0EEENS1_30default_config_static_selectorELNS0_4arch9wavefront6targetE1EEEvT1_
    .private_segment_fixed_size: 0
    .sgpr_count:     6
    .sgpr_spill_count: 0
    .symbol:         _ZN7rocprim17ROCPRIM_400000_NS6detail17trampoline_kernelINS0_14default_configENS1_25partition_config_selectorILNS1_17partition_subalgoE0ExNS0_10empty_typeEbEEZZNS1_14partition_implILS5_0ELb0ES3_jN6thrust23THRUST_200600_302600_NS6detail15normal_iteratorINSA_10device_ptrIxEEEEPS6_SG_NS0_5tupleIJNSA_16discard_iteratorINSA_11use_defaultEEESF_EEENSH_IJSG_SG_EEES6_PlJ7is_evenIxEEEE10hipError_tPvRmT3_T4_T5_T6_T7_T9_mT8_P12ihipStream_tbDpT10_ENKUlT_T0_E_clISt17integral_constantIbLb1EES18_IbLb0EEEEDaS14_S15_EUlS14_E_NS1_11comp_targetILNS1_3genE9ELNS1_11target_archE1100ELNS1_3gpuE3ELNS1_3repE0EEENS1_30default_config_static_selectorELNS0_4arch9wavefront6targetE1EEEvT1_.kd
    .uniform_work_group_size: 1
    .uses_dynamic_stack: false
    .vgpr_count:     0
    .vgpr_spill_count: 0
    .wavefront_size: 64
  - .agpr_count:     0
    .args:
      - .offset:         0
        .size:           128
        .value_kind:     by_value
    .group_segment_fixed_size: 0
    .kernarg_segment_align: 8
    .kernarg_segment_size: 128
    .language:       OpenCL C
    .language_version:
      - 2
      - 0
    .max_flat_workgroup_size: 512
    .name:           _ZN7rocprim17ROCPRIM_400000_NS6detail17trampoline_kernelINS0_14default_configENS1_25partition_config_selectorILNS1_17partition_subalgoE0ExNS0_10empty_typeEbEEZZNS1_14partition_implILS5_0ELb0ES3_jN6thrust23THRUST_200600_302600_NS6detail15normal_iteratorINSA_10device_ptrIxEEEEPS6_SG_NS0_5tupleIJNSA_16discard_iteratorINSA_11use_defaultEEESF_EEENSH_IJSG_SG_EEES6_PlJ7is_evenIxEEEE10hipError_tPvRmT3_T4_T5_T6_T7_T9_mT8_P12ihipStream_tbDpT10_ENKUlT_T0_E_clISt17integral_constantIbLb1EES18_IbLb0EEEEDaS14_S15_EUlS14_E_NS1_11comp_targetILNS1_3genE8ELNS1_11target_archE1030ELNS1_3gpuE2ELNS1_3repE0EEENS1_30default_config_static_selectorELNS0_4arch9wavefront6targetE1EEEvT1_
    .private_segment_fixed_size: 0
    .sgpr_count:     6
    .sgpr_spill_count: 0
    .symbol:         _ZN7rocprim17ROCPRIM_400000_NS6detail17trampoline_kernelINS0_14default_configENS1_25partition_config_selectorILNS1_17partition_subalgoE0ExNS0_10empty_typeEbEEZZNS1_14partition_implILS5_0ELb0ES3_jN6thrust23THRUST_200600_302600_NS6detail15normal_iteratorINSA_10device_ptrIxEEEEPS6_SG_NS0_5tupleIJNSA_16discard_iteratorINSA_11use_defaultEEESF_EEENSH_IJSG_SG_EEES6_PlJ7is_evenIxEEEE10hipError_tPvRmT3_T4_T5_T6_T7_T9_mT8_P12ihipStream_tbDpT10_ENKUlT_T0_E_clISt17integral_constantIbLb1EES18_IbLb0EEEEDaS14_S15_EUlS14_E_NS1_11comp_targetILNS1_3genE8ELNS1_11target_archE1030ELNS1_3gpuE2ELNS1_3repE0EEENS1_30default_config_static_selectorELNS0_4arch9wavefront6targetE1EEEvT1_.kd
    .uniform_work_group_size: 1
    .uses_dynamic_stack: false
    .vgpr_count:     0
    .vgpr_spill_count: 0
    .wavefront_size: 64
  - .agpr_count:     0
    .args:
      - .offset:         0
        .size:           144
        .value_kind:     by_value
    .group_segment_fixed_size: 0
    .kernarg_segment_align: 8
    .kernarg_segment_size: 144
    .language:       OpenCL C
    .language_version:
      - 2
      - 0
    .max_flat_workgroup_size: 128
    .name:           _ZN7rocprim17ROCPRIM_400000_NS6detail17trampoline_kernelINS0_14default_configENS1_25partition_config_selectorILNS1_17partition_subalgoE0ExNS0_10empty_typeEbEEZZNS1_14partition_implILS5_0ELb0ES3_jN6thrust23THRUST_200600_302600_NS6detail15normal_iteratorINSA_10device_ptrIxEEEEPS6_SG_NS0_5tupleIJNSA_16discard_iteratorINSA_11use_defaultEEESF_EEENSH_IJSG_SG_EEES6_PlJ7is_evenIxEEEE10hipError_tPvRmT3_T4_T5_T6_T7_T9_mT8_P12ihipStream_tbDpT10_ENKUlT_T0_E_clISt17integral_constantIbLb0EES18_IbLb1EEEEDaS14_S15_EUlS14_E_NS1_11comp_targetILNS1_3genE0ELNS1_11target_archE4294967295ELNS1_3gpuE0ELNS1_3repE0EEENS1_30default_config_static_selectorELNS0_4arch9wavefront6targetE1EEEvT1_
    .private_segment_fixed_size: 0
    .sgpr_count:     6
    .sgpr_spill_count: 0
    .symbol:         _ZN7rocprim17ROCPRIM_400000_NS6detail17trampoline_kernelINS0_14default_configENS1_25partition_config_selectorILNS1_17partition_subalgoE0ExNS0_10empty_typeEbEEZZNS1_14partition_implILS5_0ELb0ES3_jN6thrust23THRUST_200600_302600_NS6detail15normal_iteratorINSA_10device_ptrIxEEEEPS6_SG_NS0_5tupleIJNSA_16discard_iteratorINSA_11use_defaultEEESF_EEENSH_IJSG_SG_EEES6_PlJ7is_evenIxEEEE10hipError_tPvRmT3_T4_T5_T6_T7_T9_mT8_P12ihipStream_tbDpT10_ENKUlT_T0_E_clISt17integral_constantIbLb0EES18_IbLb1EEEEDaS14_S15_EUlS14_E_NS1_11comp_targetILNS1_3genE0ELNS1_11target_archE4294967295ELNS1_3gpuE0ELNS1_3repE0EEENS1_30default_config_static_selectorELNS0_4arch9wavefront6targetE1EEEvT1_.kd
    .uniform_work_group_size: 1
    .uses_dynamic_stack: false
    .vgpr_count:     0
    .vgpr_spill_count: 0
    .wavefront_size: 64
  - .agpr_count:     0
    .args:
      - .offset:         0
        .size:           144
        .value_kind:     by_value
    .group_segment_fixed_size: 28680
    .kernarg_segment_align: 8
    .kernarg_segment_size: 144
    .language:       OpenCL C
    .language_version:
      - 2
      - 0
    .max_flat_workgroup_size: 512
    .name:           _ZN7rocprim17ROCPRIM_400000_NS6detail17trampoline_kernelINS0_14default_configENS1_25partition_config_selectorILNS1_17partition_subalgoE0ExNS0_10empty_typeEbEEZZNS1_14partition_implILS5_0ELb0ES3_jN6thrust23THRUST_200600_302600_NS6detail15normal_iteratorINSA_10device_ptrIxEEEEPS6_SG_NS0_5tupleIJNSA_16discard_iteratorINSA_11use_defaultEEESF_EEENSH_IJSG_SG_EEES6_PlJ7is_evenIxEEEE10hipError_tPvRmT3_T4_T5_T6_T7_T9_mT8_P12ihipStream_tbDpT10_ENKUlT_T0_E_clISt17integral_constantIbLb0EES18_IbLb1EEEEDaS14_S15_EUlS14_E_NS1_11comp_targetILNS1_3genE5ELNS1_11target_archE942ELNS1_3gpuE9ELNS1_3repE0EEENS1_30default_config_static_selectorELNS0_4arch9wavefront6targetE1EEEvT1_
    .private_segment_fixed_size: 0
    .sgpr_count:     48
    .sgpr_spill_count: 0
    .symbol:         _ZN7rocprim17ROCPRIM_400000_NS6detail17trampoline_kernelINS0_14default_configENS1_25partition_config_selectorILNS1_17partition_subalgoE0ExNS0_10empty_typeEbEEZZNS1_14partition_implILS5_0ELb0ES3_jN6thrust23THRUST_200600_302600_NS6detail15normal_iteratorINSA_10device_ptrIxEEEEPS6_SG_NS0_5tupleIJNSA_16discard_iteratorINSA_11use_defaultEEESF_EEENSH_IJSG_SG_EEES6_PlJ7is_evenIxEEEE10hipError_tPvRmT3_T4_T5_T6_T7_T9_mT8_P12ihipStream_tbDpT10_ENKUlT_T0_E_clISt17integral_constantIbLb0EES18_IbLb1EEEEDaS14_S15_EUlS14_E_NS1_11comp_targetILNS1_3genE5ELNS1_11target_archE942ELNS1_3gpuE9ELNS1_3repE0EEENS1_30default_config_static_selectorELNS0_4arch9wavefront6targetE1EEEvT1_.kd
    .uniform_work_group_size: 1
    .uses_dynamic_stack: false
    .vgpr_count:     61
    .vgpr_spill_count: 0
    .wavefront_size: 64
  - .agpr_count:     0
    .args:
      - .offset:         0
        .size:           144
        .value_kind:     by_value
    .group_segment_fixed_size: 0
    .kernarg_segment_align: 8
    .kernarg_segment_size: 144
    .language:       OpenCL C
    .language_version:
      - 2
      - 0
    .max_flat_workgroup_size: 192
    .name:           _ZN7rocprim17ROCPRIM_400000_NS6detail17trampoline_kernelINS0_14default_configENS1_25partition_config_selectorILNS1_17partition_subalgoE0ExNS0_10empty_typeEbEEZZNS1_14partition_implILS5_0ELb0ES3_jN6thrust23THRUST_200600_302600_NS6detail15normal_iteratorINSA_10device_ptrIxEEEEPS6_SG_NS0_5tupleIJNSA_16discard_iteratorINSA_11use_defaultEEESF_EEENSH_IJSG_SG_EEES6_PlJ7is_evenIxEEEE10hipError_tPvRmT3_T4_T5_T6_T7_T9_mT8_P12ihipStream_tbDpT10_ENKUlT_T0_E_clISt17integral_constantIbLb0EES18_IbLb1EEEEDaS14_S15_EUlS14_E_NS1_11comp_targetILNS1_3genE4ELNS1_11target_archE910ELNS1_3gpuE8ELNS1_3repE0EEENS1_30default_config_static_selectorELNS0_4arch9wavefront6targetE1EEEvT1_
    .private_segment_fixed_size: 0
    .sgpr_count:     6
    .sgpr_spill_count: 0
    .symbol:         _ZN7rocprim17ROCPRIM_400000_NS6detail17trampoline_kernelINS0_14default_configENS1_25partition_config_selectorILNS1_17partition_subalgoE0ExNS0_10empty_typeEbEEZZNS1_14partition_implILS5_0ELb0ES3_jN6thrust23THRUST_200600_302600_NS6detail15normal_iteratorINSA_10device_ptrIxEEEEPS6_SG_NS0_5tupleIJNSA_16discard_iteratorINSA_11use_defaultEEESF_EEENSH_IJSG_SG_EEES6_PlJ7is_evenIxEEEE10hipError_tPvRmT3_T4_T5_T6_T7_T9_mT8_P12ihipStream_tbDpT10_ENKUlT_T0_E_clISt17integral_constantIbLb0EES18_IbLb1EEEEDaS14_S15_EUlS14_E_NS1_11comp_targetILNS1_3genE4ELNS1_11target_archE910ELNS1_3gpuE8ELNS1_3repE0EEENS1_30default_config_static_selectorELNS0_4arch9wavefront6targetE1EEEvT1_.kd
    .uniform_work_group_size: 1
    .uses_dynamic_stack: false
    .vgpr_count:     0
    .vgpr_spill_count: 0
    .wavefront_size: 64
  - .agpr_count:     0
    .args:
      - .offset:         0
        .size:           144
        .value_kind:     by_value
    .group_segment_fixed_size: 0
    .kernarg_segment_align: 8
    .kernarg_segment_size: 144
    .language:       OpenCL C
    .language_version:
      - 2
      - 0
    .max_flat_workgroup_size: 128
    .name:           _ZN7rocprim17ROCPRIM_400000_NS6detail17trampoline_kernelINS0_14default_configENS1_25partition_config_selectorILNS1_17partition_subalgoE0ExNS0_10empty_typeEbEEZZNS1_14partition_implILS5_0ELb0ES3_jN6thrust23THRUST_200600_302600_NS6detail15normal_iteratorINSA_10device_ptrIxEEEEPS6_SG_NS0_5tupleIJNSA_16discard_iteratorINSA_11use_defaultEEESF_EEENSH_IJSG_SG_EEES6_PlJ7is_evenIxEEEE10hipError_tPvRmT3_T4_T5_T6_T7_T9_mT8_P12ihipStream_tbDpT10_ENKUlT_T0_E_clISt17integral_constantIbLb0EES18_IbLb1EEEEDaS14_S15_EUlS14_E_NS1_11comp_targetILNS1_3genE3ELNS1_11target_archE908ELNS1_3gpuE7ELNS1_3repE0EEENS1_30default_config_static_selectorELNS0_4arch9wavefront6targetE1EEEvT1_
    .private_segment_fixed_size: 0
    .sgpr_count:     6
    .sgpr_spill_count: 0
    .symbol:         _ZN7rocprim17ROCPRIM_400000_NS6detail17trampoline_kernelINS0_14default_configENS1_25partition_config_selectorILNS1_17partition_subalgoE0ExNS0_10empty_typeEbEEZZNS1_14partition_implILS5_0ELb0ES3_jN6thrust23THRUST_200600_302600_NS6detail15normal_iteratorINSA_10device_ptrIxEEEEPS6_SG_NS0_5tupleIJNSA_16discard_iteratorINSA_11use_defaultEEESF_EEENSH_IJSG_SG_EEES6_PlJ7is_evenIxEEEE10hipError_tPvRmT3_T4_T5_T6_T7_T9_mT8_P12ihipStream_tbDpT10_ENKUlT_T0_E_clISt17integral_constantIbLb0EES18_IbLb1EEEEDaS14_S15_EUlS14_E_NS1_11comp_targetILNS1_3genE3ELNS1_11target_archE908ELNS1_3gpuE7ELNS1_3repE0EEENS1_30default_config_static_selectorELNS0_4arch9wavefront6targetE1EEEvT1_.kd
    .uniform_work_group_size: 1
    .uses_dynamic_stack: false
    .vgpr_count:     0
    .vgpr_spill_count: 0
    .wavefront_size: 64
  - .agpr_count:     0
    .args:
      - .offset:         0
        .size:           144
        .value_kind:     by_value
    .group_segment_fixed_size: 0
    .kernarg_segment_align: 8
    .kernarg_segment_size: 144
    .language:       OpenCL C
    .language_version:
      - 2
      - 0
    .max_flat_workgroup_size: 256
    .name:           _ZN7rocprim17ROCPRIM_400000_NS6detail17trampoline_kernelINS0_14default_configENS1_25partition_config_selectorILNS1_17partition_subalgoE0ExNS0_10empty_typeEbEEZZNS1_14partition_implILS5_0ELb0ES3_jN6thrust23THRUST_200600_302600_NS6detail15normal_iteratorINSA_10device_ptrIxEEEEPS6_SG_NS0_5tupleIJNSA_16discard_iteratorINSA_11use_defaultEEESF_EEENSH_IJSG_SG_EEES6_PlJ7is_evenIxEEEE10hipError_tPvRmT3_T4_T5_T6_T7_T9_mT8_P12ihipStream_tbDpT10_ENKUlT_T0_E_clISt17integral_constantIbLb0EES18_IbLb1EEEEDaS14_S15_EUlS14_E_NS1_11comp_targetILNS1_3genE2ELNS1_11target_archE906ELNS1_3gpuE6ELNS1_3repE0EEENS1_30default_config_static_selectorELNS0_4arch9wavefront6targetE1EEEvT1_
    .private_segment_fixed_size: 0
    .sgpr_count:     6
    .sgpr_spill_count: 0
    .symbol:         _ZN7rocprim17ROCPRIM_400000_NS6detail17trampoline_kernelINS0_14default_configENS1_25partition_config_selectorILNS1_17partition_subalgoE0ExNS0_10empty_typeEbEEZZNS1_14partition_implILS5_0ELb0ES3_jN6thrust23THRUST_200600_302600_NS6detail15normal_iteratorINSA_10device_ptrIxEEEEPS6_SG_NS0_5tupleIJNSA_16discard_iteratorINSA_11use_defaultEEESF_EEENSH_IJSG_SG_EEES6_PlJ7is_evenIxEEEE10hipError_tPvRmT3_T4_T5_T6_T7_T9_mT8_P12ihipStream_tbDpT10_ENKUlT_T0_E_clISt17integral_constantIbLb0EES18_IbLb1EEEEDaS14_S15_EUlS14_E_NS1_11comp_targetILNS1_3genE2ELNS1_11target_archE906ELNS1_3gpuE6ELNS1_3repE0EEENS1_30default_config_static_selectorELNS0_4arch9wavefront6targetE1EEEvT1_.kd
    .uniform_work_group_size: 1
    .uses_dynamic_stack: false
    .vgpr_count:     0
    .vgpr_spill_count: 0
    .wavefront_size: 64
  - .agpr_count:     0
    .args:
      - .offset:         0
        .size:           144
        .value_kind:     by_value
    .group_segment_fixed_size: 0
    .kernarg_segment_align: 8
    .kernarg_segment_size: 144
    .language:       OpenCL C
    .language_version:
      - 2
      - 0
    .max_flat_workgroup_size: 512
    .name:           _ZN7rocprim17ROCPRIM_400000_NS6detail17trampoline_kernelINS0_14default_configENS1_25partition_config_selectorILNS1_17partition_subalgoE0ExNS0_10empty_typeEbEEZZNS1_14partition_implILS5_0ELb0ES3_jN6thrust23THRUST_200600_302600_NS6detail15normal_iteratorINSA_10device_ptrIxEEEEPS6_SG_NS0_5tupleIJNSA_16discard_iteratorINSA_11use_defaultEEESF_EEENSH_IJSG_SG_EEES6_PlJ7is_evenIxEEEE10hipError_tPvRmT3_T4_T5_T6_T7_T9_mT8_P12ihipStream_tbDpT10_ENKUlT_T0_E_clISt17integral_constantIbLb0EES18_IbLb1EEEEDaS14_S15_EUlS14_E_NS1_11comp_targetILNS1_3genE10ELNS1_11target_archE1200ELNS1_3gpuE4ELNS1_3repE0EEENS1_30default_config_static_selectorELNS0_4arch9wavefront6targetE1EEEvT1_
    .private_segment_fixed_size: 0
    .sgpr_count:     6
    .sgpr_spill_count: 0
    .symbol:         _ZN7rocprim17ROCPRIM_400000_NS6detail17trampoline_kernelINS0_14default_configENS1_25partition_config_selectorILNS1_17partition_subalgoE0ExNS0_10empty_typeEbEEZZNS1_14partition_implILS5_0ELb0ES3_jN6thrust23THRUST_200600_302600_NS6detail15normal_iteratorINSA_10device_ptrIxEEEEPS6_SG_NS0_5tupleIJNSA_16discard_iteratorINSA_11use_defaultEEESF_EEENSH_IJSG_SG_EEES6_PlJ7is_evenIxEEEE10hipError_tPvRmT3_T4_T5_T6_T7_T9_mT8_P12ihipStream_tbDpT10_ENKUlT_T0_E_clISt17integral_constantIbLb0EES18_IbLb1EEEEDaS14_S15_EUlS14_E_NS1_11comp_targetILNS1_3genE10ELNS1_11target_archE1200ELNS1_3gpuE4ELNS1_3repE0EEENS1_30default_config_static_selectorELNS0_4arch9wavefront6targetE1EEEvT1_.kd
    .uniform_work_group_size: 1
    .uses_dynamic_stack: false
    .vgpr_count:     0
    .vgpr_spill_count: 0
    .wavefront_size: 64
  - .agpr_count:     0
    .args:
      - .offset:         0
        .size:           144
        .value_kind:     by_value
    .group_segment_fixed_size: 0
    .kernarg_segment_align: 8
    .kernarg_segment_size: 144
    .language:       OpenCL C
    .language_version:
      - 2
      - 0
    .max_flat_workgroup_size: 512
    .name:           _ZN7rocprim17ROCPRIM_400000_NS6detail17trampoline_kernelINS0_14default_configENS1_25partition_config_selectorILNS1_17partition_subalgoE0ExNS0_10empty_typeEbEEZZNS1_14partition_implILS5_0ELb0ES3_jN6thrust23THRUST_200600_302600_NS6detail15normal_iteratorINSA_10device_ptrIxEEEEPS6_SG_NS0_5tupleIJNSA_16discard_iteratorINSA_11use_defaultEEESF_EEENSH_IJSG_SG_EEES6_PlJ7is_evenIxEEEE10hipError_tPvRmT3_T4_T5_T6_T7_T9_mT8_P12ihipStream_tbDpT10_ENKUlT_T0_E_clISt17integral_constantIbLb0EES18_IbLb1EEEEDaS14_S15_EUlS14_E_NS1_11comp_targetILNS1_3genE9ELNS1_11target_archE1100ELNS1_3gpuE3ELNS1_3repE0EEENS1_30default_config_static_selectorELNS0_4arch9wavefront6targetE1EEEvT1_
    .private_segment_fixed_size: 0
    .sgpr_count:     6
    .sgpr_spill_count: 0
    .symbol:         _ZN7rocprim17ROCPRIM_400000_NS6detail17trampoline_kernelINS0_14default_configENS1_25partition_config_selectorILNS1_17partition_subalgoE0ExNS0_10empty_typeEbEEZZNS1_14partition_implILS5_0ELb0ES3_jN6thrust23THRUST_200600_302600_NS6detail15normal_iteratorINSA_10device_ptrIxEEEEPS6_SG_NS0_5tupleIJNSA_16discard_iteratorINSA_11use_defaultEEESF_EEENSH_IJSG_SG_EEES6_PlJ7is_evenIxEEEE10hipError_tPvRmT3_T4_T5_T6_T7_T9_mT8_P12ihipStream_tbDpT10_ENKUlT_T0_E_clISt17integral_constantIbLb0EES18_IbLb1EEEEDaS14_S15_EUlS14_E_NS1_11comp_targetILNS1_3genE9ELNS1_11target_archE1100ELNS1_3gpuE3ELNS1_3repE0EEENS1_30default_config_static_selectorELNS0_4arch9wavefront6targetE1EEEvT1_.kd
    .uniform_work_group_size: 1
    .uses_dynamic_stack: false
    .vgpr_count:     0
    .vgpr_spill_count: 0
    .wavefront_size: 64
  - .agpr_count:     0
    .args:
      - .offset:         0
        .size:           144
        .value_kind:     by_value
    .group_segment_fixed_size: 0
    .kernarg_segment_align: 8
    .kernarg_segment_size: 144
    .language:       OpenCL C
    .language_version:
      - 2
      - 0
    .max_flat_workgroup_size: 512
    .name:           _ZN7rocprim17ROCPRIM_400000_NS6detail17trampoline_kernelINS0_14default_configENS1_25partition_config_selectorILNS1_17partition_subalgoE0ExNS0_10empty_typeEbEEZZNS1_14partition_implILS5_0ELb0ES3_jN6thrust23THRUST_200600_302600_NS6detail15normal_iteratorINSA_10device_ptrIxEEEEPS6_SG_NS0_5tupleIJNSA_16discard_iteratorINSA_11use_defaultEEESF_EEENSH_IJSG_SG_EEES6_PlJ7is_evenIxEEEE10hipError_tPvRmT3_T4_T5_T6_T7_T9_mT8_P12ihipStream_tbDpT10_ENKUlT_T0_E_clISt17integral_constantIbLb0EES18_IbLb1EEEEDaS14_S15_EUlS14_E_NS1_11comp_targetILNS1_3genE8ELNS1_11target_archE1030ELNS1_3gpuE2ELNS1_3repE0EEENS1_30default_config_static_selectorELNS0_4arch9wavefront6targetE1EEEvT1_
    .private_segment_fixed_size: 0
    .sgpr_count:     6
    .sgpr_spill_count: 0
    .symbol:         _ZN7rocprim17ROCPRIM_400000_NS6detail17trampoline_kernelINS0_14default_configENS1_25partition_config_selectorILNS1_17partition_subalgoE0ExNS0_10empty_typeEbEEZZNS1_14partition_implILS5_0ELb0ES3_jN6thrust23THRUST_200600_302600_NS6detail15normal_iteratorINSA_10device_ptrIxEEEEPS6_SG_NS0_5tupleIJNSA_16discard_iteratorINSA_11use_defaultEEESF_EEENSH_IJSG_SG_EEES6_PlJ7is_evenIxEEEE10hipError_tPvRmT3_T4_T5_T6_T7_T9_mT8_P12ihipStream_tbDpT10_ENKUlT_T0_E_clISt17integral_constantIbLb0EES18_IbLb1EEEEDaS14_S15_EUlS14_E_NS1_11comp_targetILNS1_3genE8ELNS1_11target_archE1030ELNS1_3gpuE2ELNS1_3repE0EEENS1_30default_config_static_selectorELNS0_4arch9wavefront6targetE1EEEvT1_.kd
    .uniform_work_group_size: 1
    .uses_dynamic_stack: false
    .vgpr_count:     0
    .vgpr_spill_count: 0
    .wavefront_size: 64
  - .agpr_count:     0
    .args:
      - .offset:         0
        .size:           136
        .value_kind:     by_value
    .group_segment_fixed_size: 0
    .kernarg_segment_align: 8
    .kernarg_segment_size: 136
    .language:       OpenCL C
    .language_version:
      - 2
      - 0
    .max_flat_workgroup_size: 256
    .name:           _ZN7rocprim17ROCPRIM_400000_NS6detail17trampoline_kernelINS0_14default_configENS1_25partition_config_selectorILNS1_17partition_subalgoE0EiNS0_10empty_typeEbEEZZNS1_14partition_implILS5_0ELb0ES3_jN6thrust23THRUST_200600_302600_NS6detail15normal_iteratorINSA_10device_ptrIiEEEEPS6_SG_NS0_5tupleIJNSA_16discard_iteratorINSA_11use_defaultEEESK_EEENSH_IJSG_SG_EEES6_PlJ7is_evenIiEEEE10hipError_tPvRmT3_T4_T5_T6_T7_T9_mT8_P12ihipStream_tbDpT10_ENKUlT_T0_E_clISt17integral_constantIbLb0EES19_EEDaS14_S15_EUlS14_E_NS1_11comp_targetILNS1_3genE0ELNS1_11target_archE4294967295ELNS1_3gpuE0ELNS1_3repE0EEENS1_30default_config_static_selectorELNS0_4arch9wavefront6targetE1EEEvT1_
    .private_segment_fixed_size: 0
    .sgpr_count:     6
    .sgpr_spill_count: 0
    .symbol:         _ZN7rocprim17ROCPRIM_400000_NS6detail17trampoline_kernelINS0_14default_configENS1_25partition_config_selectorILNS1_17partition_subalgoE0EiNS0_10empty_typeEbEEZZNS1_14partition_implILS5_0ELb0ES3_jN6thrust23THRUST_200600_302600_NS6detail15normal_iteratorINSA_10device_ptrIiEEEEPS6_SG_NS0_5tupleIJNSA_16discard_iteratorINSA_11use_defaultEEESK_EEENSH_IJSG_SG_EEES6_PlJ7is_evenIiEEEE10hipError_tPvRmT3_T4_T5_T6_T7_T9_mT8_P12ihipStream_tbDpT10_ENKUlT_T0_E_clISt17integral_constantIbLb0EES19_EEDaS14_S15_EUlS14_E_NS1_11comp_targetILNS1_3genE0ELNS1_11target_archE4294967295ELNS1_3gpuE0ELNS1_3repE0EEENS1_30default_config_static_selectorELNS0_4arch9wavefront6targetE1EEEvT1_.kd
    .uniform_work_group_size: 1
    .uses_dynamic_stack: false
    .vgpr_count:     0
    .vgpr_spill_count: 0
    .wavefront_size: 64
  - .agpr_count:     0
    .args:
      - .offset:         0
        .size:           136
        .value_kind:     by_value
    .group_segment_fixed_size: 30728
    .kernarg_segment_align: 8
    .kernarg_segment_size: 136
    .language:       OpenCL C
    .language_version:
      - 2
      - 0
    .max_flat_workgroup_size: 512
    .name:           _ZN7rocprim17ROCPRIM_400000_NS6detail17trampoline_kernelINS0_14default_configENS1_25partition_config_selectorILNS1_17partition_subalgoE0EiNS0_10empty_typeEbEEZZNS1_14partition_implILS5_0ELb0ES3_jN6thrust23THRUST_200600_302600_NS6detail15normal_iteratorINSA_10device_ptrIiEEEEPS6_SG_NS0_5tupleIJNSA_16discard_iteratorINSA_11use_defaultEEESK_EEENSH_IJSG_SG_EEES6_PlJ7is_evenIiEEEE10hipError_tPvRmT3_T4_T5_T6_T7_T9_mT8_P12ihipStream_tbDpT10_ENKUlT_T0_E_clISt17integral_constantIbLb0EES19_EEDaS14_S15_EUlS14_E_NS1_11comp_targetILNS1_3genE5ELNS1_11target_archE942ELNS1_3gpuE9ELNS1_3repE0EEENS1_30default_config_static_selectorELNS0_4arch9wavefront6targetE1EEEvT1_
    .private_segment_fixed_size: 0
    .sgpr_count:     42
    .sgpr_spill_count: 0
    .symbol:         _ZN7rocprim17ROCPRIM_400000_NS6detail17trampoline_kernelINS0_14default_configENS1_25partition_config_selectorILNS1_17partition_subalgoE0EiNS0_10empty_typeEbEEZZNS1_14partition_implILS5_0ELb0ES3_jN6thrust23THRUST_200600_302600_NS6detail15normal_iteratorINSA_10device_ptrIiEEEEPS6_SG_NS0_5tupleIJNSA_16discard_iteratorINSA_11use_defaultEEESK_EEENSH_IJSG_SG_EEES6_PlJ7is_evenIiEEEE10hipError_tPvRmT3_T4_T5_T6_T7_T9_mT8_P12ihipStream_tbDpT10_ENKUlT_T0_E_clISt17integral_constantIbLb0EES19_EEDaS14_S15_EUlS14_E_NS1_11comp_targetILNS1_3genE5ELNS1_11target_archE942ELNS1_3gpuE9ELNS1_3repE0EEENS1_30default_config_static_selectorELNS0_4arch9wavefront6targetE1EEEvT1_.kd
    .uniform_work_group_size: 1
    .uses_dynamic_stack: false
    .vgpr_count:     75
    .vgpr_spill_count: 0
    .wavefront_size: 64
  - .agpr_count:     0
    .args:
      - .offset:         0
        .size:           136
        .value_kind:     by_value
    .group_segment_fixed_size: 0
    .kernarg_segment_align: 8
    .kernarg_segment_size: 136
    .language:       OpenCL C
    .language_version:
      - 2
      - 0
    .max_flat_workgroup_size: 256
    .name:           _ZN7rocprim17ROCPRIM_400000_NS6detail17trampoline_kernelINS0_14default_configENS1_25partition_config_selectorILNS1_17partition_subalgoE0EiNS0_10empty_typeEbEEZZNS1_14partition_implILS5_0ELb0ES3_jN6thrust23THRUST_200600_302600_NS6detail15normal_iteratorINSA_10device_ptrIiEEEEPS6_SG_NS0_5tupleIJNSA_16discard_iteratorINSA_11use_defaultEEESK_EEENSH_IJSG_SG_EEES6_PlJ7is_evenIiEEEE10hipError_tPvRmT3_T4_T5_T6_T7_T9_mT8_P12ihipStream_tbDpT10_ENKUlT_T0_E_clISt17integral_constantIbLb0EES19_EEDaS14_S15_EUlS14_E_NS1_11comp_targetILNS1_3genE4ELNS1_11target_archE910ELNS1_3gpuE8ELNS1_3repE0EEENS1_30default_config_static_selectorELNS0_4arch9wavefront6targetE1EEEvT1_
    .private_segment_fixed_size: 0
    .sgpr_count:     6
    .sgpr_spill_count: 0
    .symbol:         _ZN7rocprim17ROCPRIM_400000_NS6detail17trampoline_kernelINS0_14default_configENS1_25partition_config_selectorILNS1_17partition_subalgoE0EiNS0_10empty_typeEbEEZZNS1_14partition_implILS5_0ELb0ES3_jN6thrust23THRUST_200600_302600_NS6detail15normal_iteratorINSA_10device_ptrIiEEEEPS6_SG_NS0_5tupleIJNSA_16discard_iteratorINSA_11use_defaultEEESK_EEENSH_IJSG_SG_EEES6_PlJ7is_evenIiEEEE10hipError_tPvRmT3_T4_T5_T6_T7_T9_mT8_P12ihipStream_tbDpT10_ENKUlT_T0_E_clISt17integral_constantIbLb0EES19_EEDaS14_S15_EUlS14_E_NS1_11comp_targetILNS1_3genE4ELNS1_11target_archE910ELNS1_3gpuE8ELNS1_3repE0EEENS1_30default_config_static_selectorELNS0_4arch9wavefront6targetE1EEEvT1_.kd
    .uniform_work_group_size: 1
    .uses_dynamic_stack: false
    .vgpr_count:     0
    .vgpr_spill_count: 0
    .wavefront_size: 64
  - .agpr_count:     0
    .args:
      - .offset:         0
        .size:           136
        .value_kind:     by_value
    .group_segment_fixed_size: 0
    .kernarg_segment_align: 8
    .kernarg_segment_size: 136
    .language:       OpenCL C
    .language_version:
      - 2
      - 0
    .max_flat_workgroup_size: 256
    .name:           _ZN7rocprim17ROCPRIM_400000_NS6detail17trampoline_kernelINS0_14default_configENS1_25partition_config_selectorILNS1_17partition_subalgoE0EiNS0_10empty_typeEbEEZZNS1_14partition_implILS5_0ELb0ES3_jN6thrust23THRUST_200600_302600_NS6detail15normal_iteratorINSA_10device_ptrIiEEEEPS6_SG_NS0_5tupleIJNSA_16discard_iteratorINSA_11use_defaultEEESK_EEENSH_IJSG_SG_EEES6_PlJ7is_evenIiEEEE10hipError_tPvRmT3_T4_T5_T6_T7_T9_mT8_P12ihipStream_tbDpT10_ENKUlT_T0_E_clISt17integral_constantIbLb0EES19_EEDaS14_S15_EUlS14_E_NS1_11comp_targetILNS1_3genE3ELNS1_11target_archE908ELNS1_3gpuE7ELNS1_3repE0EEENS1_30default_config_static_selectorELNS0_4arch9wavefront6targetE1EEEvT1_
    .private_segment_fixed_size: 0
    .sgpr_count:     6
    .sgpr_spill_count: 0
    .symbol:         _ZN7rocprim17ROCPRIM_400000_NS6detail17trampoline_kernelINS0_14default_configENS1_25partition_config_selectorILNS1_17partition_subalgoE0EiNS0_10empty_typeEbEEZZNS1_14partition_implILS5_0ELb0ES3_jN6thrust23THRUST_200600_302600_NS6detail15normal_iteratorINSA_10device_ptrIiEEEEPS6_SG_NS0_5tupleIJNSA_16discard_iteratorINSA_11use_defaultEEESK_EEENSH_IJSG_SG_EEES6_PlJ7is_evenIiEEEE10hipError_tPvRmT3_T4_T5_T6_T7_T9_mT8_P12ihipStream_tbDpT10_ENKUlT_T0_E_clISt17integral_constantIbLb0EES19_EEDaS14_S15_EUlS14_E_NS1_11comp_targetILNS1_3genE3ELNS1_11target_archE908ELNS1_3gpuE7ELNS1_3repE0EEENS1_30default_config_static_selectorELNS0_4arch9wavefront6targetE1EEEvT1_.kd
    .uniform_work_group_size: 1
    .uses_dynamic_stack: false
    .vgpr_count:     0
    .vgpr_spill_count: 0
    .wavefront_size: 64
  - .agpr_count:     0
    .args:
      - .offset:         0
        .size:           136
        .value_kind:     by_value
    .group_segment_fixed_size: 0
    .kernarg_segment_align: 8
    .kernarg_segment_size: 136
    .language:       OpenCL C
    .language_version:
      - 2
      - 0
    .max_flat_workgroup_size: 192
    .name:           _ZN7rocprim17ROCPRIM_400000_NS6detail17trampoline_kernelINS0_14default_configENS1_25partition_config_selectorILNS1_17partition_subalgoE0EiNS0_10empty_typeEbEEZZNS1_14partition_implILS5_0ELb0ES3_jN6thrust23THRUST_200600_302600_NS6detail15normal_iteratorINSA_10device_ptrIiEEEEPS6_SG_NS0_5tupleIJNSA_16discard_iteratorINSA_11use_defaultEEESK_EEENSH_IJSG_SG_EEES6_PlJ7is_evenIiEEEE10hipError_tPvRmT3_T4_T5_T6_T7_T9_mT8_P12ihipStream_tbDpT10_ENKUlT_T0_E_clISt17integral_constantIbLb0EES19_EEDaS14_S15_EUlS14_E_NS1_11comp_targetILNS1_3genE2ELNS1_11target_archE906ELNS1_3gpuE6ELNS1_3repE0EEENS1_30default_config_static_selectorELNS0_4arch9wavefront6targetE1EEEvT1_
    .private_segment_fixed_size: 0
    .sgpr_count:     6
    .sgpr_spill_count: 0
    .symbol:         _ZN7rocprim17ROCPRIM_400000_NS6detail17trampoline_kernelINS0_14default_configENS1_25partition_config_selectorILNS1_17partition_subalgoE0EiNS0_10empty_typeEbEEZZNS1_14partition_implILS5_0ELb0ES3_jN6thrust23THRUST_200600_302600_NS6detail15normal_iteratorINSA_10device_ptrIiEEEEPS6_SG_NS0_5tupleIJNSA_16discard_iteratorINSA_11use_defaultEEESK_EEENSH_IJSG_SG_EEES6_PlJ7is_evenIiEEEE10hipError_tPvRmT3_T4_T5_T6_T7_T9_mT8_P12ihipStream_tbDpT10_ENKUlT_T0_E_clISt17integral_constantIbLb0EES19_EEDaS14_S15_EUlS14_E_NS1_11comp_targetILNS1_3genE2ELNS1_11target_archE906ELNS1_3gpuE6ELNS1_3repE0EEENS1_30default_config_static_selectorELNS0_4arch9wavefront6targetE1EEEvT1_.kd
    .uniform_work_group_size: 1
    .uses_dynamic_stack: false
    .vgpr_count:     0
    .vgpr_spill_count: 0
    .wavefront_size: 64
  - .agpr_count:     0
    .args:
      - .offset:         0
        .size:           136
        .value_kind:     by_value
    .group_segment_fixed_size: 0
    .kernarg_segment_align: 8
    .kernarg_segment_size: 136
    .language:       OpenCL C
    .language_version:
      - 2
      - 0
    .max_flat_workgroup_size: 512
    .name:           _ZN7rocprim17ROCPRIM_400000_NS6detail17trampoline_kernelINS0_14default_configENS1_25partition_config_selectorILNS1_17partition_subalgoE0EiNS0_10empty_typeEbEEZZNS1_14partition_implILS5_0ELb0ES3_jN6thrust23THRUST_200600_302600_NS6detail15normal_iteratorINSA_10device_ptrIiEEEEPS6_SG_NS0_5tupleIJNSA_16discard_iteratorINSA_11use_defaultEEESK_EEENSH_IJSG_SG_EEES6_PlJ7is_evenIiEEEE10hipError_tPvRmT3_T4_T5_T6_T7_T9_mT8_P12ihipStream_tbDpT10_ENKUlT_T0_E_clISt17integral_constantIbLb0EES19_EEDaS14_S15_EUlS14_E_NS1_11comp_targetILNS1_3genE10ELNS1_11target_archE1200ELNS1_3gpuE4ELNS1_3repE0EEENS1_30default_config_static_selectorELNS0_4arch9wavefront6targetE1EEEvT1_
    .private_segment_fixed_size: 0
    .sgpr_count:     6
    .sgpr_spill_count: 0
    .symbol:         _ZN7rocprim17ROCPRIM_400000_NS6detail17trampoline_kernelINS0_14default_configENS1_25partition_config_selectorILNS1_17partition_subalgoE0EiNS0_10empty_typeEbEEZZNS1_14partition_implILS5_0ELb0ES3_jN6thrust23THRUST_200600_302600_NS6detail15normal_iteratorINSA_10device_ptrIiEEEEPS6_SG_NS0_5tupleIJNSA_16discard_iteratorINSA_11use_defaultEEESK_EEENSH_IJSG_SG_EEES6_PlJ7is_evenIiEEEE10hipError_tPvRmT3_T4_T5_T6_T7_T9_mT8_P12ihipStream_tbDpT10_ENKUlT_T0_E_clISt17integral_constantIbLb0EES19_EEDaS14_S15_EUlS14_E_NS1_11comp_targetILNS1_3genE10ELNS1_11target_archE1200ELNS1_3gpuE4ELNS1_3repE0EEENS1_30default_config_static_selectorELNS0_4arch9wavefront6targetE1EEEvT1_.kd
    .uniform_work_group_size: 1
    .uses_dynamic_stack: false
    .vgpr_count:     0
    .vgpr_spill_count: 0
    .wavefront_size: 64
  - .agpr_count:     0
    .args:
      - .offset:         0
        .size:           136
        .value_kind:     by_value
    .group_segment_fixed_size: 0
    .kernarg_segment_align: 8
    .kernarg_segment_size: 136
    .language:       OpenCL C
    .language_version:
      - 2
      - 0
    .max_flat_workgroup_size: 128
    .name:           _ZN7rocprim17ROCPRIM_400000_NS6detail17trampoline_kernelINS0_14default_configENS1_25partition_config_selectorILNS1_17partition_subalgoE0EiNS0_10empty_typeEbEEZZNS1_14partition_implILS5_0ELb0ES3_jN6thrust23THRUST_200600_302600_NS6detail15normal_iteratorINSA_10device_ptrIiEEEEPS6_SG_NS0_5tupleIJNSA_16discard_iteratorINSA_11use_defaultEEESK_EEENSH_IJSG_SG_EEES6_PlJ7is_evenIiEEEE10hipError_tPvRmT3_T4_T5_T6_T7_T9_mT8_P12ihipStream_tbDpT10_ENKUlT_T0_E_clISt17integral_constantIbLb0EES19_EEDaS14_S15_EUlS14_E_NS1_11comp_targetILNS1_3genE9ELNS1_11target_archE1100ELNS1_3gpuE3ELNS1_3repE0EEENS1_30default_config_static_selectorELNS0_4arch9wavefront6targetE1EEEvT1_
    .private_segment_fixed_size: 0
    .sgpr_count:     6
    .sgpr_spill_count: 0
    .symbol:         _ZN7rocprim17ROCPRIM_400000_NS6detail17trampoline_kernelINS0_14default_configENS1_25partition_config_selectorILNS1_17partition_subalgoE0EiNS0_10empty_typeEbEEZZNS1_14partition_implILS5_0ELb0ES3_jN6thrust23THRUST_200600_302600_NS6detail15normal_iteratorINSA_10device_ptrIiEEEEPS6_SG_NS0_5tupleIJNSA_16discard_iteratorINSA_11use_defaultEEESK_EEENSH_IJSG_SG_EEES6_PlJ7is_evenIiEEEE10hipError_tPvRmT3_T4_T5_T6_T7_T9_mT8_P12ihipStream_tbDpT10_ENKUlT_T0_E_clISt17integral_constantIbLb0EES19_EEDaS14_S15_EUlS14_E_NS1_11comp_targetILNS1_3genE9ELNS1_11target_archE1100ELNS1_3gpuE3ELNS1_3repE0EEENS1_30default_config_static_selectorELNS0_4arch9wavefront6targetE1EEEvT1_.kd
    .uniform_work_group_size: 1
    .uses_dynamic_stack: false
    .vgpr_count:     0
    .vgpr_spill_count: 0
    .wavefront_size: 64
  - .agpr_count:     0
    .args:
      - .offset:         0
        .size:           136
        .value_kind:     by_value
    .group_segment_fixed_size: 0
    .kernarg_segment_align: 8
    .kernarg_segment_size: 136
    .language:       OpenCL C
    .language_version:
      - 2
      - 0
    .max_flat_workgroup_size: 512
    .name:           _ZN7rocprim17ROCPRIM_400000_NS6detail17trampoline_kernelINS0_14default_configENS1_25partition_config_selectorILNS1_17partition_subalgoE0EiNS0_10empty_typeEbEEZZNS1_14partition_implILS5_0ELb0ES3_jN6thrust23THRUST_200600_302600_NS6detail15normal_iteratorINSA_10device_ptrIiEEEEPS6_SG_NS0_5tupleIJNSA_16discard_iteratorINSA_11use_defaultEEESK_EEENSH_IJSG_SG_EEES6_PlJ7is_evenIiEEEE10hipError_tPvRmT3_T4_T5_T6_T7_T9_mT8_P12ihipStream_tbDpT10_ENKUlT_T0_E_clISt17integral_constantIbLb0EES19_EEDaS14_S15_EUlS14_E_NS1_11comp_targetILNS1_3genE8ELNS1_11target_archE1030ELNS1_3gpuE2ELNS1_3repE0EEENS1_30default_config_static_selectorELNS0_4arch9wavefront6targetE1EEEvT1_
    .private_segment_fixed_size: 0
    .sgpr_count:     6
    .sgpr_spill_count: 0
    .symbol:         _ZN7rocprim17ROCPRIM_400000_NS6detail17trampoline_kernelINS0_14default_configENS1_25partition_config_selectorILNS1_17partition_subalgoE0EiNS0_10empty_typeEbEEZZNS1_14partition_implILS5_0ELb0ES3_jN6thrust23THRUST_200600_302600_NS6detail15normal_iteratorINSA_10device_ptrIiEEEEPS6_SG_NS0_5tupleIJNSA_16discard_iteratorINSA_11use_defaultEEESK_EEENSH_IJSG_SG_EEES6_PlJ7is_evenIiEEEE10hipError_tPvRmT3_T4_T5_T6_T7_T9_mT8_P12ihipStream_tbDpT10_ENKUlT_T0_E_clISt17integral_constantIbLb0EES19_EEDaS14_S15_EUlS14_E_NS1_11comp_targetILNS1_3genE8ELNS1_11target_archE1030ELNS1_3gpuE2ELNS1_3repE0EEENS1_30default_config_static_selectorELNS0_4arch9wavefront6targetE1EEEvT1_.kd
    .uniform_work_group_size: 1
    .uses_dynamic_stack: false
    .vgpr_count:     0
    .vgpr_spill_count: 0
    .wavefront_size: 64
  - .agpr_count:     0
    .args:
      - .offset:         0
        .size:           152
        .value_kind:     by_value
    .group_segment_fixed_size: 0
    .kernarg_segment_align: 8
    .kernarg_segment_size: 152
    .language:       OpenCL C
    .language_version:
      - 2
      - 0
    .max_flat_workgroup_size: 256
    .name:           _ZN7rocprim17ROCPRIM_400000_NS6detail17trampoline_kernelINS0_14default_configENS1_25partition_config_selectorILNS1_17partition_subalgoE0EiNS0_10empty_typeEbEEZZNS1_14partition_implILS5_0ELb0ES3_jN6thrust23THRUST_200600_302600_NS6detail15normal_iteratorINSA_10device_ptrIiEEEEPS6_SG_NS0_5tupleIJNSA_16discard_iteratorINSA_11use_defaultEEESK_EEENSH_IJSG_SG_EEES6_PlJ7is_evenIiEEEE10hipError_tPvRmT3_T4_T5_T6_T7_T9_mT8_P12ihipStream_tbDpT10_ENKUlT_T0_E_clISt17integral_constantIbLb1EES19_EEDaS14_S15_EUlS14_E_NS1_11comp_targetILNS1_3genE0ELNS1_11target_archE4294967295ELNS1_3gpuE0ELNS1_3repE0EEENS1_30default_config_static_selectorELNS0_4arch9wavefront6targetE1EEEvT1_
    .private_segment_fixed_size: 0
    .sgpr_count:     6
    .sgpr_spill_count: 0
    .symbol:         _ZN7rocprim17ROCPRIM_400000_NS6detail17trampoline_kernelINS0_14default_configENS1_25partition_config_selectorILNS1_17partition_subalgoE0EiNS0_10empty_typeEbEEZZNS1_14partition_implILS5_0ELb0ES3_jN6thrust23THRUST_200600_302600_NS6detail15normal_iteratorINSA_10device_ptrIiEEEEPS6_SG_NS0_5tupleIJNSA_16discard_iteratorINSA_11use_defaultEEESK_EEENSH_IJSG_SG_EEES6_PlJ7is_evenIiEEEE10hipError_tPvRmT3_T4_T5_T6_T7_T9_mT8_P12ihipStream_tbDpT10_ENKUlT_T0_E_clISt17integral_constantIbLb1EES19_EEDaS14_S15_EUlS14_E_NS1_11comp_targetILNS1_3genE0ELNS1_11target_archE4294967295ELNS1_3gpuE0ELNS1_3repE0EEENS1_30default_config_static_selectorELNS0_4arch9wavefront6targetE1EEEvT1_.kd
    .uniform_work_group_size: 1
    .uses_dynamic_stack: false
    .vgpr_count:     0
    .vgpr_spill_count: 0
    .wavefront_size: 64
  - .agpr_count:     0
    .args:
      - .offset:         0
        .size:           152
        .value_kind:     by_value
    .group_segment_fixed_size: 30728
    .kernarg_segment_align: 8
    .kernarg_segment_size: 152
    .language:       OpenCL C
    .language_version:
      - 2
      - 0
    .max_flat_workgroup_size: 512
    .name:           _ZN7rocprim17ROCPRIM_400000_NS6detail17trampoline_kernelINS0_14default_configENS1_25partition_config_selectorILNS1_17partition_subalgoE0EiNS0_10empty_typeEbEEZZNS1_14partition_implILS5_0ELb0ES3_jN6thrust23THRUST_200600_302600_NS6detail15normal_iteratorINSA_10device_ptrIiEEEEPS6_SG_NS0_5tupleIJNSA_16discard_iteratorINSA_11use_defaultEEESK_EEENSH_IJSG_SG_EEES6_PlJ7is_evenIiEEEE10hipError_tPvRmT3_T4_T5_T6_T7_T9_mT8_P12ihipStream_tbDpT10_ENKUlT_T0_E_clISt17integral_constantIbLb1EES19_EEDaS14_S15_EUlS14_E_NS1_11comp_targetILNS1_3genE5ELNS1_11target_archE942ELNS1_3gpuE9ELNS1_3repE0EEENS1_30default_config_static_selectorELNS0_4arch9wavefront6targetE1EEEvT1_
    .private_segment_fixed_size: 0
    .sgpr_count:     42
    .sgpr_spill_count: 0
    .symbol:         _ZN7rocprim17ROCPRIM_400000_NS6detail17trampoline_kernelINS0_14default_configENS1_25partition_config_selectorILNS1_17partition_subalgoE0EiNS0_10empty_typeEbEEZZNS1_14partition_implILS5_0ELb0ES3_jN6thrust23THRUST_200600_302600_NS6detail15normal_iteratorINSA_10device_ptrIiEEEEPS6_SG_NS0_5tupleIJNSA_16discard_iteratorINSA_11use_defaultEEESK_EEENSH_IJSG_SG_EEES6_PlJ7is_evenIiEEEE10hipError_tPvRmT3_T4_T5_T6_T7_T9_mT8_P12ihipStream_tbDpT10_ENKUlT_T0_E_clISt17integral_constantIbLb1EES19_EEDaS14_S15_EUlS14_E_NS1_11comp_targetILNS1_3genE5ELNS1_11target_archE942ELNS1_3gpuE9ELNS1_3repE0EEENS1_30default_config_static_selectorELNS0_4arch9wavefront6targetE1EEEvT1_.kd
    .uniform_work_group_size: 1
    .uses_dynamic_stack: false
    .vgpr_count:     77
    .vgpr_spill_count: 0
    .wavefront_size: 64
  - .agpr_count:     0
    .args:
      - .offset:         0
        .size:           152
        .value_kind:     by_value
    .group_segment_fixed_size: 0
    .kernarg_segment_align: 8
    .kernarg_segment_size: 152
    .language:       OpenCL C
    .language_version:
      - 2
      - 0
    .max_flat_workgroup_size: 256
    .name:           _ZN7rocprim17ROCPRIM_400000_NS6detail17trampoline_kernelINS0_14default_configENS1_25partition_config_selectorILNS1_17partition_subalgoE0EiNS0_10empty_typeEbEEZZNS1_14partition_implILS5_0ELb0ES3_jN6thrust23THRUST_200600_302600_NS6detail15normal_iteratorINSA_10device_ptrIiEEEEPS6_SG_NS0_5tupleIJNSA_16discard_iteratorINSA_11use_defaultEEESK_EEENSH_IJSG_SG_EEES6_PlJ7is_evenIiEEEE10hipError_tPvRmT3_T4_T5_T6_T7_T9_mT8_P12ihipStream_tbDpT10_ENKUlT_T0_E_clISt17integral_constantIbLb1EES19_EEDaS14_S15_EUlS14_E_NS1_11comp_targetILNS1_3genE4ELNS1_11target_archE910ELNS1_3gpuE8ELNS1_3repE0EEENS1_30default_config_static_selectorELNS0_4arch9wavefront6targetE1EEEvT1_
    .private_segment_fixed_size: 0
    .sgpr_count:     6
    .sgpr_spill_count: 0
    .symbol:         _ZN7rocprim17ROCPRIM_400000_NS6detail17trampoline_kernelINS0_14default_configENS1_25partition_config_selectorILNS1_17partition_subalgoE0EiNS0_10empty_typeEbEEZZNS1_14partition_implILS5_0ELb0ES3_jN6thrust23THRUST_200600_302600_NS6detail15normal_iteratorINSA_10device_ptrIiEEEEPS6_SG_NS0_5tupleIJNSA_16discard_iteratorINSA_11use_defaultEEESK_EEENSH_IJSG_SG_EEES6_PlJ7is_evenIiEEEE10hipError_tPvRmT3_T4_T5_T6_T7_T9_mT8_P12ihipStream_tbDpT10_ENKUlT_T0_E_clISt17integral_constantIbLb1EES19_EEDaS14_S15_EUlS14_E_NS1_11comp_targetILNS1_3genE4ELNS1_11target_archE910ELNS1_3gpuE8ELNS1_3repE0EEENS1_30default_config_static_selectorELNS0_4arch9wavefront6targetE1EEEvT1_.kd
    .uniform_work_group_size: 1
    .uses_dynamic_stack: false
    .vgpr_count:     0
    .vgpr_spill_count: 0
    .wavefront_size: 64
  - .agpr_count:     0
    .args:
      - .offset:         0
        .size:           152
        .value_kind:     by_value
    .group_segment_fixed_size: 0
    .kernarg_segment_align: 8
    .kernarg_segment_size: 152
    .language:       OpenCL C
    .language_version:
      - 2
      - 0
    .max_flat_workgroup_size: 256
    .name:           _ZN7rocprim17ROCPRIM_400000_NS6detail17trampoline_kernelINS0_14default_configENS1_25partition_config_selectorILNS1_17partition_subalgoE0EiNS0_10empty_typeEbEEZZNS1_14partition_implILS5_0ELb0ES3_jN6thrust23THRUST_200600_302600_NS6detail15normal_iteratorINSA_10device_ptrIiEEEEPS6_SG_NS0_5tupleIJNSA_16discard_iteratorINSA_11use_defaultEEESK_EEENSH_IJSG_SG_EEES6_PlJ7is_evenIiEEEE10hipError_tPvRmT3_T4_T5_T6_T7_T9_mT8_P12ihipStream_tbDpT10_ENKUlT_T0_E_clISt17integral_constantIbLb1EES19_EEDaS14_S15_EUlS14_E_NS1_11comp_targetILNS1_3genE3ELNS1_11target_archE908ELNS1_3gpuE7ELNS1_3repE0EEENS1_30default_config_static_selectorELNS0_4arch9wavefront6targetE1EEEvT1_
    .private_segment_fixed_size: 0
    .sgpr_count:     6
    .sgpr_spill_count: 0
    .symbol:         _ZN7rocprim17ROCPRIM_400000_NS6detail17trampoline_kernelINS0_14default_configENS1_25partition_config_selectorILNS1_17partition_subalgoE0EiNS0_10empty_typeEbEEZZNS1_14partition_implILS5_0ELb0ES3_jN6thrust23THRUST_200600_302600_NS6detail15normal_iteratorINSA_10device_ptrIiEEEEPS6_SG_NS0_5tupleIJNSA_16discard_iteratorINSA_11use_defaultEEESK_EEENSH_IJSG_SG_EEES6_PlJ7is_evenIiEEEE10hipError_tPvRmT3_T4_T5_T6_T7_T9_mT8_P12ihipStream_tbDpT10_ENKUlT_T0_E_clISt17integral_constantIbLb1EES19_EEDaS14_S15_EUlS14_E_NS1_11comp_targetILNS1_3genE3ELNS1_11target_archE908ELNS1_3gpuE7ELNS1_3repE0EEENS1_30default_config_static_selectorELNS0_4arch9wavefront6targetE1EEEvT1_.kd
    .uniform_work_group_size: 1
    .uses_dynamic_stack: false
    .vgpr_count:     0
    .vgpr_spill_count: 0
    .wavefront_size: 64
  - .agpr_count:     0
    .args:
      - .offset:         0
        .size:           152
        .value_kind:     by_value
    .group_segment_fixed_size: 0
    .kernarg_segment_align: 8
    .kernarg_segment_size: 152
    .language:       OpenCL C
    .language_version:
      - 2
      - 0
    .max_flat_workgroup_size: 192
    .name:           _ZN7rocprim17ROCPRIM_400000_NS6detail17trampoline_kernelINS0_14default_configENS1_25partition_config_selectorILNS1_17partition_subalgoE0EiNS0_10empty_typeEbEEZZNS1_14partition_implILS5_0ELb0ES3_jN6thrust23THRUST_200600_302600_NS6detail15normal_iteratorINSA_10device_ptrIiEEEEPS6_SG_NS0_5tupleIJNSA_16discard_iteratorINSA_11use_defaultEEESK_EEENSH_IJSG_SG_EEES6_PlJ7is_evenIiEEEE10hipError_tPvRmT3_T4_T5_T6_T7_T9_mT8_P12ihipStream_tbDpT10_ENKUlT_T0_E_clISt17integral_constantIbLb1EES19_EEDaS14_S15_EUlS14_E_NS1_11comp_targetILNS1_3genE2ELNS1_11target_archE906ELNS1_3gpuE6ELNS1_3repE0EEENS1_30default_config_static_selectorELNS0_4arch9wavefront6targetE1EEEvT1_
    .private_segment_fixed_size: 0
    .sgpr_count:     6
    .sgpr_spill_count: 0
    .symbol:         _ZN7rocprim17ROCPRIM_400000_NS6detail17trampoline_kernelINS0_14default_configENS1_25partition_config_selectorILNS1_17partition_subalgoE0EiNS0_10empty_typeEbEEZZNS1_14partition_implILS5_0ELb0ES3_jN6thrust23THRUST_200600_302600_NS6detail15normal_iteratorINSA_10device_ptrIiEEEEPS6_SG_NS0_5tupleIJNSA_16discard_iteratorINSA_11use_defaultEEESK_EEENSH_IJSG_SG_EEES6_PlJ7is_evenIiEEEE10hipError_tPvRmT3_T4_T5_T6_T7_T9_mT8_P12ihipStream_tbDpT10_ENKUlT_T0_E_clISt17integral_constantIbLb1EES19_EEDaS14_S15_EUlS14_E_NS1_11comp_targetILNS1_3genE2ELNS1_11target_archE906ELNS1_3gpuE6ELNS1_3repE0EEENS1_30default_config_static_selectorELNS0_4arch9wavefront6targetE1EEEvT1_.kd
    .uniform_work_group_size: 1
    .uses_dynamic_stack: false
    .vgpr_count:     0
    .vgpr_spill_count: 0
    .wavefront_size: 64
  - .agpr_count:     0
    .args:
      - .offset:         0
        .size:           152
        .value_kind:     by_value
    .group_segment_fixed_size: 0
    .kernarg_segment_align: 8
    .kernarg_segment_size: 152
    .language:       OpenCL C
    .language_version:
      - 2
      - 0
    .max_flat_workgroup_size: 512
    .name:           _ZN7rocprim17ROCPRIM_400000_NS6detail17trampoline_kernelINS0_14default_configENS1_25partition_config_selectorILNS1_17partition_subalgoE0EiNS0_10empty_typeEbEEZZNS1_14partition_implILS5_0ELb0ES3_jN6thrust23THRUST_200600_302600_NS6detail15normal_iteratorINSA_10device_ptrIiEEEEPS6_SG_NS0_5tupleIJNSA_16discard_iteratorINSA_11use_defaultEEESK_EEENSH_IJSG_SG_EEES6_PlJ7is_evenIiEEEE10hipError_tPvRmT3_T4_T5_T6_T7_T9_mT8_P12ihipStream_tbDpT10_ENKUlT_T0_E_clISt17integral_constantIbLb1EES19_EEDaS14_S15_EUlS14_E_NS1_11comp_targetILNS1_3genE10ELNS1_11target_archE1200ELNS1_3gpuE4ELNS1_3repE0EEENS1_30default_config_static_selectorELNS0_4arch9wavefront6targetE1EEEvT1_
    .private_segment_fixed_size: 0
    .sgpr_count:     6
    .sgpr_spill_count: 0
    .symbol:         _ZN7rocprim17ROCPRIM_400000_NS6detail17trampoline_kernelINS0_14default_configENS1_25partition_config_selectorILNS1_17partition_subalgoE0EiNS0_10empty_typeEbEEZZNS1_14partition_implILS5_0ELb0ES3_jN6thrust23THRUST_200600_302600_NS6detail15normal_iteratorINSA_10device_ptrIiEEEEPS6_SG_NS0_5tupleIJNSA_16discard_iteratorINSA_11use_defaultEEESK_EEENSH_IJSG_SG_EEES6_PlJ7is_evenIiEEEE10hipError_tPvRmT3_T4_T5_T6_T7_T9_mT8_P12ihipStream_tbDpT10_ENKUlT_T0_E_clISt17integral_constantIbLb1EES19_EEDaS14_S15_EUlS14_E_NS1_11comp_targetILNS1_3genE10ELNS1_11target_archE1200ELNS1_3gpuE4ELNS1_3repE0EEENS1_30default_config_static_selectorELNS0_4arch9wavefront6targetE1EEEvT1_.kd
    .uniform_work_group_size: 1
    .uses_dynamic_stack: false
    .vgpr_count:     0
    .vgpr_spill_count: 0
    .wavefront_size: 64
  - .agpr_count:     0
    .args:
      - .offset:         0
        .size:           152
        .value_kind:     by_value
    .group_segment_fixed_size: 0
    .kernarg_segment_align: 8
    .kernarg_segment_size: 152
    .language:       OpenCL C
    .language_version:
      - 2
      - 0
    .max_flat_workgroup_size: 128
    .name:           _ZN7rocprim17ROCPRIM_400000_NS6detail17trampoline_kernelINS0_14default_configENS1_25partition_config_selectorILNS1_17partition_subalgoE0EiNS0_10empty_typeEbEEZZNS1_14partition_implILS5_0ELb0ES3_jN6thrust23THRUST_200600_302600_NS6detail15normal_iteratorINSA_10device_ptrIiEEEEPS6_SG_NS0_5tupleIJNSA_16discard_iteratorINSA_11use_defaultEEESK_EEENSH_IJSG_SG_EEES6_PlJ7is_evenIiEEEE10hipError_tPvRmT3_T4_T5_T6_T7_T9_mT8_P12ihipStream_tbDpT10_ENKUlT_T0_E_clISt17integral_constantIbLb1EES19_EEDaS14_S15_EUlS14_E_NS1_11comp_targetILNS1_3genE9ELNS1_11target_archE1100ELNS1_3gpuE3ELNS1_3repE0EEENS1_30default_config_static_selectorELNS0_4arch9wavefront6targetE1EEEvT1_
    .private_segment_fixed_size: 0
    .sgpr_count:     6
    .sgpr_spill_count: 0
    .symbol:         _ZN7rocprim17ROCPRIM_400000_NS6detail17trampoline_kernelINS0_14default_configENS1_25partition_config_selectorILNS1_17partition_subalgoE0EiNS0_10empty_typeEbEEZZNS1_14partition_implILS5_0ELb0ES3_jN6thrust23THRUST_200600_302600_NS6detail15normal_iteratorINSA_10device_ptrIiEEEEPS6_SG_NS0_5tupleIJNSA_16discard_iteratorINSA_11use_defaultEEESK_EEENSH_IJSG_SG_EEES6_PlJ7is_evenIiEEEE10hipError_tPvRmT3_T4_T5_T6_T7_T9_mT8_P12ihipStream_tbDpT10_ENKUlT_T0_E_clISt17integral_constantIbLb1EES19_EEDaS14_S15_EUlS14_E_NS1_11comp_targetILNS1_3genE9ELNS1_11target_archE1100ELNS1_3gpuE3ELNS1_3repE0EEENS1_30default_config_static_selectorELNS0_4arch9wavefront6targetE1EEEvT1_.kd
    .uniform_work_group_size: 1
    .uses_dynamic_stack: false
    .vgpr_count:     0
    .vgpr_spill_count: 0
    .wavefront_size: 64
  - .agpr_count:     0
    .args:
      - .offset:         0
        .size:           152
        .value_kind:     by_value
    .group_segment_fixed_size: 0
    .kernarg_segment_align: 8
    .kernarg_segment_size: 152
    .language:       OpenCL C
    .language_version:
      - 2
      - 0
    .max_flat_workgroup_size: 512
    .name:           _ZN7rocprim17ROCPRIM_400000_NS6detail17trampoline_kernelINS0_14default_configENS1_25partition_config_selectorILNS1_17partition_subalgoE0EiNS0_10empty_typeEbEEZZNS1_14partition_implILS5_0ELb0ES3_jN6thrust23THRUST_200600_302600_NS6detail15normal_iteratorINSA_10device_ptrIiEEEEPS6_SG_NS0_5tupleIJNSA_16discard_iteratorINSA_11use_defaultEEESK_EEENSH_IJSG_SG_EEES6_PlJ7is_evenIiEEEE10hipError_tPvRmT3_T4_T5_T6_T7_T9_mT8_P12ihipStream_tbDpT10_ENKUlT_T0_E_clISt17integral_constantIbLb1EES19_EEDaS14_S15_EUlS14_E_NS1_11comp_targetILNS1_3genE8ELNS1_11target_archE1030ELNS1_3gpuE2ELNS1_3repE0EEENS1_30default_config_static_selectorELNS0_4arch9wavefront6targetE1EEEvT1_
    .private_segment_fixed_size: 0
    .sgpr_count:     6
    .sgpr_spill_count: 0
    .symbol:         _ZN7rocprim17ROCPRIM_400000_NS6detail17trampoline_kernelINS0_14default_configENS1_25partition_config_selectorILNS1_17partition_subalgoE0EiNS0_10empty_typeEbEEZZNS1_14partition_implILS5_0ELb0ES3_jN6thrust23THRUST_200600_302600_NS6detail15normal_iteratorINSA_10device_ptrIiEEEEPS6_SG_NS0_5tupleIJNSA_16discard_iteratorINSA_11use_defaultEEESK_EEENSH_IJSG_SG_EEES6_PlJ7is_evenIiEEEE10hipError_tPvRmT3_T4_T5_T6_T7_T9_mT8_P12ihipStream_tbDpT10_ENKUlT_T0_E_clISt17integral_constantIbLb1EES19_EEDaS14_S15_EUlS14_E_NS1_11comp_targetILNS1_3genE8ELNS1_11target_archE1030ELNS1_3gpuE2ELNS1_3repE0EEENS1_30default_config_static_selectorELNS0_4arch9wavefront6targetE1EEEvT1_.kd
    .uniform_work_group_size: 1
    .uses_dynamic_stack: false
    .vgpr_count:     0
    .vgpr_spill_count: 0
    .wavefront_size: 64
  - .agpr_count:     0
    .args:
      - .offset:         0
        .size:           136
        .value_kind:     by_value
    .group_segment_fixed_size: 0
    .kernarg_segment_align: 8
    .kernarg_segment_size: 136
    .language:       OpenCL C
    .language_version:
      - 2
      - 0
    .max_flat_workgroup_size: 256
    .name:           _ZN7rocprim17ROCPRIM_400000_NS6detail17trampoline_kernelINS0_14default_configENS1_25partition_config_selectorILNS1_17partition_subalgoE0EiNS0_10empty_typeEbEEZZNS1_14partition_implILS5_0ELb0ES3_jN6thrust23THRUST_200600_302600_NS6detail15normal_iteratorINSA_10device_ptrIiEEEEPS6_SG_NS0_5tupleIJNSA_16discard_iteratorINSA_11use_defaultEEESK_EEENSH_IJSG_SG_EEES6_PlJ7is_evenIiEEEE10hipError_tPvRmT3_T4_T5_T6_T7_T9_mT8_P12ihipStream_tbDpT10_ENKUlT_T0_E_clISt17integral_constantIbLb1EES18_IbLb0EEEEDaS14_S15_EUlS14_E_NS1_11comp_targetILNS1_3genE0ELNS1_11target_archE4294967295ELNS1_3gpuE0ELNS1_3repE0EEENS1_30default_config_static_selectorELNS0_4arch9wavefront6targetE1EEEvT1_
    .private_segment_fixed_size: 0
    .sgpr_count:     6
    .sgpr_spill_count: 0
    .symbol:         _ZN7rocprim17ROCPRIM_400000_NS6detail17trampoline_kernelINS0_14default_configENS1_25partition_config_selectorILNS1_17partition_subalgoE0EiNS0_10empty_typeEbEEZZNS1_14partition_implILS5_0ELb0ES3_jN6thrust23THRUST_200600_302600_NS6detail15normal_iteratorINSA_10device_ptrIiEEEEPS6_SG_NS0_5tupleIJNSA_16discard_iteratorINSA_11use_defaultEEESK_EEENSH_IJSG_SG_EEES6_PlJ7is_evenIiEEEE10hipError_tPvRmT3_T4_T5_T6_T7_T9_mT8_P12ihipStream_tbDpT10_ENKUlT_T0_E_clISt17integral_constantIbLb1EES18_IbLb0EEEEDaS14_S15_EUlS14_E_NS1_11comp_targetILNS1_3genE0ELNS1_11target_archE4294967295ELNS1_3gpuE0ELNS1_3repE0EEENS1_30default_config_static_selectorELNS0_4arch9wavefront6targetE1EEEvT1_.kd
    .uniform_work_group_size: 1
    .uses_dynamic_stack: false
    .vgpr_count:     0
    .vgpr_spill_count: 0
    .wavefront_size: 64
  - .agpr_count:     0
    .args:
      - .offset:         0
        .size:           136
        .value_kind:     by_value
    .group_segment_fixed_size: 30728
    .kernarg_segment_align: 8
    .kernarg_segment_size: 136
    .language:       OpenCL C
    .language_version:
      - 2
      - 0
    .max_flat_workgroup_size: 512
    .name:           _ZN7rocprim17ROCPRIM_400000_NS6detail17trampoline_kernelINS0_14default_configENS1_25partition_config_selectorILNS1_17partition_subalgoE0EiNS0_10empty_typeEbEEZZNS1_14partition_implILS5_0ELb0ES3_jN6thrust23THRUST_200600_302600_NS6detail15normal_iteratorINSA_10device_ptrIiEEEEPS6_SG_NS0_5tupleIJNSA_16discard_iteratorINSA_11use_defaultEEESK_EEENSH_IJSG_SG_EEES6_PlJ7is_evenIiEEEE10hipError_tPvRmT3_T4_T5_T6_T7_T9_mT8_P12ihipStream_tbDpT10_ENKUlT_T0_E_clISt17integral_constantIbLb1EES18_IbLb0EEEEDaS14_S15_EUlS14_E_NS1_11comp_targetILNS1_3genE5ELNS1_11target_archE942ELNS1_3gpuE9ELNS1_3repE0EEENS1_30default_config_static_selectorELNS0_4arch9wavefront6targetE1EEEvT1_
    .private_segment_fixed_size: 0
    .sgpr_count:     42
    .sgpr_spill_count: 0
    .symbol:         _ZN7rocprim17ROCPRIM_400000_NS6detail17trampoline_kernelINS0_14default_configENS1_25partition_config_selectorILNS1_17partition_subalgoE0EiNS0_10empty_typeEbEEZZNS1_14partition_implILS5_0ELb0ES3_jN6thrust23THRUST_200600_302600_NS6detail15normal_iteratorINSA_10device_ptrIiEEEEPS6_SG_NS0_5tupleIJNSA_16discard_iteratorINSA_11use_defaultEEESK_EEENSH_IJSG_SG_EEES6_PlJ7is_evenIiEEEE10hipError_tPvRmT3_T4_T5_T6_T7_T9_mT8_P12ihipStream_tbDpT10_ENKUlT_T0_E_clISt17integral_constantIbLb1EES18_IbLb0EEEEDaS14_S15_EUlS14_E_NS1_11comp_targetILNS1_3genE5ELNS1_11target_archE942ELNS1_3gpuE9ELNS1_3repE0EEENS1_30default_config_static_selectorELNS0_4arch9wavefront6targetE1EEEvT1_.kd
    .uniform_work_group_size: 1
    .uses_dynamic_stack: false
    .vgpr_count:     75
    .vgpr_spill_count: 0
    .wavefront_size: 64
  - .agpr_count:     0
    .args:
      - .offset:         0
        .size:           136
        .value_kind:     by_value
    .group_segment_fixed_size: 0
    .kernarg_segment_align: 8
    .kernarg_segment_size: 136
    .language:       OpenCL C
    .language_version:
      - 2
      - 0
    .max_flat_workgroup_size: 256
    .name:           _ZN7rocprim17ROCPRIM_400000_NS6detail17trampoline_kernelINS0_14default_configENS1_25partition_config_selectorILNS1_17partition_subalgoE0EiNS0_10empty_typeEbEEZZNS1_14partition_implILS5_0ELb0ES3_jN6thrust23THRUST_200600_302600_NS6detail15normal_iteratorINSA_10device_ptrIiEEEEPS6_SG_NS0_5tupleIJNSA_16discard_iteratorINSA_11use_defaultEEESK_EEENSH_IJSG_SG_EEES6_PlJ7is_evenIiEEEE10hipError_tPvRmT3_T4_T5_T6_T7_T9_mT8_P12ihipStream_tbDpT10_ENKUlT_T0_E_clISt17integral_constantIbLb1EES18_IbLb0EEEEDaS14_S15_EUlS14_E_NS1_11comp_targetILNS1_3genE4ELNS1_11target_archE910ELNS1_3gpuE8ELNS1_3repE0EEENS1_30default_config_static_selectorELNS0_4arch9wavefront6targetE1EEEvT1_
    .private_segment_fixed_size: 0
    .sgpr_count:     6
    .sgpr_spill_count: 0
    .symbol:         _ZN7rocprim17ROCPRIM_400000_NS6detail17trampoline_kernelINS0_14default_configENS1_25partition_config_selectorILNS1_17partition_subalgoE0EiNS0_10empty_typeEbEEZZNS1_14partition_implILS5_0ELb0ES3_jN6thrust23THRUST_200600_302600_NS6detail15normal_iteratorINSA_10device_ptrIiEEEEPS6_SG_NS0_5tupleIJNSA_16discard_iteratorINSA_11use_defaultEEESK_EEENSH_IJSG_SG_EEES6_PlJ7is_evenIiEEEE10hipError_tPvRmT3_T4_T5_T6_T7_T9_mT8_P12ihipStream_tbDpT10_ENKUlT_T0_E_clISt17integral_constantIbLb1EES18_IbLb0EEEEDaS14_S15_EUlS14_E_NS1_11comp_targetILNS1_3genE4ELNS1_11target_archE910ELNS1_3gpuE8ELNS1_3repE0EEENS1_30default_config_static_selectorELNS0_4arch9wavefront6targetE1EEEvT1_.kd
    .uniform_work_group_size: 1
    .uses_dynamic_stack: false
    .vgpr_count:     0
    .vgpr_spill_count: 0
    .wavefront_size: 64
  - .agpr_count:     0
    .args:
      - .offset:         0
        .size:           136
        .value_kind:     by_value
    .group_segment_fixed_size: 0
    .kernarg_segment_align: 8
    .kernarg_segment_size: 136
    .language:       OpenCL C
    .language_version:
      - 2
      - 0
    .max_flat_workgroup_size: 256
    .name:           _ZN7rocprim17ROCPRIM_400000_NS6detail17trampoline_kernelINS0_14default_configENS1_25partition_config_selectorILNS1_17partition_subalgoE0EiNS0_10empty_typeEbEEZZNS1_14partition_implILS5_0ELb0ES3_jN6thrust23THRUST_200600_302600_NS6detail15normal_iteratorINSA_10device_ptrIiEEEEPS6_SG_NS0_5tupleIJNSA_16discard_iteratorINSA_11use_defaultEEESK_EEENSH_IJSG_SG_EEES6_PlJ7is_evenIiEEEE10hipError_tPvRmT3_T4_T5_T6_T7_T9_mT8_P12ihipStream_tbDpT10_ENKUlT_T0_E_clISt17integral_constantIbLb1EES18_IbLb0EEEEDaS14_S15_EUlS14_E_NS1_11comp_targetILNS1_3genE3ELNS1_11target_archE908ELNS1_3gpuE7ELNS1_3repE0EEENS1_30default_config_static_selectorELNS0_4arch9wavefront6targetE1EEEvT1_
    .private_segment_fixed_size: 0
    .sgpr_count:     6
    .sgpr_spill_count: 0
    .symbol:         _ZN7rocprim17ROCPRIM_400000_NS6detail17trampoline_kernelINS0_14default_configENS1_25partition_config_selectorILNS1_17partition_subalgoE0EiNS0_10empty_typeEbEEZZNS1_14partition_implILS5_0ELb0ES3_jN6thrust23THRUST_200600_302600_NS6detail15normal_iteratorINSA_10device_ptrIiEEEEPS6_SG_NS0_5tupleIJNSA_16discard_iteratorINSA_11use_defaultEEESK_EEENSH_IJSG_SG_EEES6_PlJ7is_evenIiEEEE10hipError_tPvRmT3_T4_T5_T6_T7_T9_mT8_P12ihipStream_tbDpT10_ENKUlT_T0_E_clISt17integral_constantIbLb1EES18_IbLb0EEEEDaS14_S15_EUlS14_E_NS1_11comp_targetILNS1_3genE3ELNS1_11target_archE908ELNS1_3gpuE7ELNS1_3repE0EEENS1_30default_config_static_selectorELNS0_4arch9wavefront6targetE1EEEvT1_.kd
    .uniform_work_group_size: 1
    .uses_dynamic_stack: false
    .vgpr_count:     0
    .vgpr_spill_count: 0
    .wavefront_size: 64
  - .agpr_count:     0
    .args:
      - .offset:         0
        .size:           136
        .value_kind:     by_value
    .group_segment_fixed_size: 0
    .kernarg_segment_align: 8
    .kernarg_segment_size: 136
    .language:       OpenCL C
    .language_version:
      - 2
      - 0
    .max_flat_workgroup_size: 192
    .name:           _ZN7rocprim17ROCPRIM_400000_NS6detail17trampoline_kernelINS0_14default_configENS1_25partition_config_selectorILNS1_17partition_subalgoE0EiNS0_10empty_typeEbEEZZNS1_14partition_implILS5_0ELb0ES3_jN6thrust23THRUST_200600_302600_NS6detail15normal_iteratorINSA_10device_ptrIiEEEEPS6_SG_NS0_5tupleIJNSA_16discard_iteratorINSA_11use_defaultEEESK_EEENSH_IJSG_SG_EEES6_PlJ7is_evenIiEEEE10hipError_tPvRmT3_T4_T5_T6_T7_T9_mT8_P12ihipStream_tbDpT10_ENKUlT_T0_E_clISt17integral_constantIbLb1EES18_IbLb0EEEEDaS14_S15_EUlS14_E_NS1_11comp_targetILNS1_3genE2ELNS1_11target_archE906ELNS1_3gpuE6ELNS1_3repE0EEENS1_30default_config_static_selectorELNS0_4arch9wavefront6targetE1EEEvT1_
    .private_segment_fixed_size: 0
    .sgpr_count:     6
    .sgpr_spill_count: 0
    .symbol:         _ZN7rocprim17ROCPRIM_400000_NS6detail17trampoline_kernelINS0_14default_configENS1_25partition_config_selectorILNS1_17partition_subalgoE0EiNS0_10empty_typeEbEEZZNS1_14partition_implILS5_0ELb0ES3_jN6thrust23THRUST_200600_302600_NS6detail15normal_iteratorINSA_10device_ptrIiEEEEPS6_SG_NS0_5tupleIJNSA_16discard_iteratorINSA_11use_defaultEEESK_EEENSH_IJSG_SG_EEES6_PlJ7is_evenIiEEEE10hipError_tPvRmT3_T4_T5_T6_T7_T9_mT8_P12ihipStream_tbDpT10_ENKUlT_T0_E_clISt17integral_constantIbLb1EES18_IbLb0EEEEDaS14_S15_EUlS14_E_NS1_11comp_targetILNS1_3genE2ELNS1_11target_archE906ELNS1_3gpuE6ELNS1_3repE0EEENS1_30default_config_static_selectorELNS0_4arch9wavefront6targetE1EEEvT1_.kd
    .uniform_work_group_size: 1
    .uses_dynamic_stack: false
    .vgpr_count:     0
    .vgpr_spill_count: 0
    .wavefront_size: 64
  - .agpr_count:     0
    .args:
      - .offset:         0
        .size:           136
        .value_kind:     by_value
    .group_segment_fixed_size: 0
    .kernarg_segment_align: 8
    .kernarg_segment_size: 136
    .language:       OpenCL C
    .language_version:
      - 2
      - 0
    .max_flat_workgroup_size: 512
    .name:           _ZN7rocprim17ROCPRIM_400000_NS6detail17trampoline_kernelINS0_14default_configENS1_25partition_config_selectorILNS1_17partition_subalgoE0EiNS0_10empty_typeEbEEZZNS1_14partition_implILS5_0ELb0ES3_jN6thrust23THRUST_200600_302600_NS6detail15normal_iteratorINSA_10device_ptrIiEEEEPS6_SG_NS0_5tupleIJNSA_16discard_iteratorINSA_11use_defaultEEESK_EEENSH_IJSG_SG_EEES6_PlJ7is_evenIiEEEE10hipError_tPvRmT3_T4_T5_T6_T7_T9_mT8_P12ihipStream_tbDpT10_ENKUlT_T0_E_clISt17integral_constantIbLb1EES18_IbLb0EEEEDaS14_S15_EUlS14_E_NS1_11comp_targetILNS1_3genE10ELNS1_11target_archE1200ELNS1_3gpuE4ELNS1_3repE0EEENS1_30default_config_static_selectorELNS0_4arch9wavefront6targetE1EEEvT1_
    .private_segment_fixed_size: 0
    .sgpr_count:     6
    .sgpr_spill_count: 0
    .symbol:         _ZN7rocprim17ROCPRIM_400000_NS6detail17trampoline_kernelINS0_14default_configENS1_25partition_config_selectorILNS1_17partition_subalgoE0EiNS0_10empty_typeEbEEZZNS1_14partition_implILS5_0ELb0ES3_jN6thrust23THRUST_200600_302600_NS6detail15normal_iteratorINSA_10device_ptrIiEEEEPS6_SG_NS0_5tupleIJNSA_16discard_iteratorINSA_11use_defaultEEESK_EEENSH_IJSG_SG_EEES6_PlJ7is_evenIiEEEE10hipError_tPvRmT3_T4_T5_T6_T7_T9_mT8_P12ihipStream_tbDpT10_ENKUlT_T0_E_clISt17integral_constantIbLb1EES18_IbLb0EEEEDaS14_S15_EUlS14_E_NS1_11comp_targetILNS1_3genE10ELNS1_11target_archE1200ELNS1_3gpuE4ELNS1_3repE0EEENS1_30default_config_static_selectorELNS0_4arch9wavefront6targetE1EEEvT1_.kd
    .uniform_work_group_size: 1
    .uses_dynamic_stack: false
    .vgpr_count:     0
    .vgpr_spill_count: 0
    .wavefront_size: 64
  - .agpr_count:     0
    .args:
      - .offset:         0
        .size:           136
        .value_kind:     by_value
    .group_segment_fixed_size: 0
    .kernarg_segment_align: 8
    .kernarg_segment_size: 136
    .language:       OpenCL C
    .language_version:
      - 2
      - 0
    .max_flat_workgroup_size: 128
    .name:           _ZN7rocprim17ROCPRIM_400000_NS6detail17trampoline_kernelINS0_14default_configENS1_25partition_config_selectorILNS1_17partition_subalgoE0EiNS0_10empty_typeEbEEZZNS1_14partition_implILS5_0ELb0ES3_jN6thrust23THRUST_200600_302600_NS6detail15normal_iteratorINSA_10device_ptrIiEEEEPS6_SG_NS0_5tupleIJNSA_16discard_iteratorINSA_11use_defaultEEESK_EEENSH_IJSG_SG_EEES6_PlJ7is_evenIiEEEE10hipError_tPvRmT3_T4_T5_T6_T7_T9_mT8_P12ihipStream_tbDpT10_ENKUlT_T0_E_clISt17integral_constantIbLb1EES18_IbLb0EEEEDaS14_S15_EUlS14_E_NS1_11comp_targetILNS1_3genE9ELNS1_11target_archE1100ELNS1_3gpuE3ELNS1_3repE0EEENS1_30default_config_static_selectorELNS0_4arch9wavefront6targetE1EEEvT1_
    .private_segment_fixed_size: 0
    .sgpr_count:     6
    .sgpr_spill_count: 0
    .symbol:         _ZN7rocprim17ROCPRIM_400000_NS6detail17trampoline_kernelINS0_14default_configENS1_25partition_config_selectorILNS1_17partition_subalgoE0EiNS0_10empty_typeEbEEZZNS1_14partition_implILS5_0ELb0ES3_jN6thrust23THRUST_200600_302600_NS6detail15normal_iteratorINSA_10device_ptrIiEEEEPS6_SG_NS0_5tupleIJNSA_16discard_iteratorINSA_11use_defaultEEESK_EEENSH_IJSG_SG_EEES6_PlJ7is_evenIiEEEE10hipError_tPvRmT3_T4_T5_T6_T7_T9_mT8_P12ihipStream_tbDpT10_ENKUlT_T0_E_clISt17integral_constantIbLb1EES18_IbLb0EEEEDaS14_S15_EUlS14_E_NS1_11comp_targetILNS1_3genE9ELNS1_11target_archE1100ELNS1_3gpuE3ELNS1_3repE0EEENS1_30default_config_static_selectorELNS0_4arch9wavefront6targetE1EEEvT1_.kd
    .uniform_work_group_size: 1
    .uses_dynamic_stack: false
    .vgpr_count:     0
    .vgpr_spill_count: 0
    .wavefront_size: 64
  - .agpr_count:     0
    .args:
      - .offset:         0
        .size:           136
        .value_kind:     by_value
    .group_segment_fixed_size: 0
    .kernarg_segment_align: 8
    .kernarg_segment_size: 136
    .language:       OpenCL C
    .language_version:
      - 2
      - 0
    .max_flat_workgroup_size: 512
    .name:           _ZN7rocprim17ROCPRIM_400000_NS6detail17trampoline_kernelINS0_14default_configENS1_25partition_config_selectorILNS1_17partition_subalgoE0EiNS0_10empty_typeEbEEZZNS1_14partition_implILS5_0ELb0ES3_jN6thrust23THRUST_200600_302600_NS6detail15normal_iteratorINSA_10device_ptrIiEEEEPS6_SG_NS0_5tupleIJNSA_16discard_iteratorINSA_11use_defaultEEESK_EEENSH_IJSG_SG_EEES6_PlJ7is_evenIiEEEE10hipError_tPvRmT3_T4_T5_T6_T7_T9_mT8_P12ihipStream_tbDpT10_ENKUlT_T0_E_clISt17integral_constantIbLb1EES18_IbLb0EEEEDaS14_S15_EUlS14_E_NS1_11comp_targetILNS1_3genE8ELNS1_11target_archE1030ELNS1_3gpuE2ELNS1_3repE0EEENS1_30default_config_static_selectorELNS0_4arch9wavefront6targetE1EEEvT1_
    .private_segment_fixed_size: 0
    .sgpr_count:     6
    .sgpr_spill_count: 0
    .symbol:         _ZN7rocprim17ROCPRIM_400000_NS6detail17trampoline_kernelINS0_14default_configENS1_25partition_config_selectorILNS1_17partition_subalgoE0EiNS0_10empty_typeEbEEZZNS1_14partition_implILS5_0ELb0ES3_jN6thrust23THRUST_200600_302600_NS6detail15normal_iteratorINSA_10device_ptrIiEEEEPS6_SG_NS0_5tupleIJNSA_16discard_iteratorINSA_11use_defaultEEESK_EEENSH_IJSG_SG_EEES6_PlJ7is_evenIiEEEE10hipError_tPvRmT3_T4_T5_T6_T7_T9_mT8_P12ihipStream_tbDpT10_ENKUlT_T0_E_clISt17integral_constantIbLb1EES18_IbLb0EEEEDaS14_S15_EUlS14_E_NS1_11comp_targetILNS1_3genE8ELNS1_11target_archE1030ELNS1_3gpuE2ELNS1_3repE0EEENS1_30default_config_static_selectorELNS0_4arch9wavefront6targetE1EEEvT1_.kd
    .uniform_work_group_size: 1
    .uses_dynamic_stack: false
    .vgpr_count:     0
    .vgpr_spill_count: 0
    .wavefront_size: 64
  - .agpr_count:     0
    .args:
      - .offset:         0
        .size:           152
        .value_kind:     by_value
    .group_segment_fixed_size: 0
    .kernarg_segment_align: 8
    .kernarg_segment_size: 152
    .language:       OpenCL C
    .language_version:
      - 2
      - 0
    .max_flat_workgroup_size: 256
    .name:           _ZN7rocprim17ROCPRIM_400000_NS6detail17trampoline_kernelINS0_14default_configENS1_25partition_config_selectorILNS1_17partition_subalgoE0EiNS0_10empty_typeEbEEZZNS1_14partition_implILS5_0ELb0ES3_jN6thrust23THRUST_200600_302600_NS6detail15normal_iteratorINSA_10device_ptrIiEEEEPS6_SG_NS0_5tupleIJNSA_16discard_iteratorINSA_11use_defaultEEESK_EEENSH_IJSG_SG_EEES6_PlJ7is_evenIiEEEE10hipError_tPvRmT3_T4_T5_T6_T7_T9_mT8_P12ihipStream_tbDpT10_ENKUlT_T0_E_clISt17integral_constantIbLb0EES18_IbLb1EEEEDaS14_S15_EUlS14_E_NS1_11comp_targetILNS1_3genE0ELNS1_11target_archE4294967295ELNS1_3gpuE0ELNS1_3repE0EEENS1_30default_config_static_selectorELNS0_4arch9wavefront6targetE1EEEvT1_
    .private_segment_fixed_size: 0
    .sgpr_count:     6
    .sgpr_spill_count: 0
    .symbol:         _ZN7rocprim17ROCPRIM_400000_NS6detail17trampoline_kernelINS0_14default_configENS1_25partition_config_selectorILNS1_17partition_subalgoE0EiNS0_10empty_typeEbEEZZNS1_14partition_implILS5_0ELb0ES3_jN6thrust23THRUST_200600_302600_NS6detail15normal_iteratorINSA_10device_ptrIiEEEEPS6_SG_NS0_5tupleIJNSA_16discard_iteratorINSA_11use_defaultEEESK_EEENSH_IJSG_SG_EEES6_PlJ7is_evenIiEEEE10hipError_tPvRmT3_T4_T5_T6_T7_T9_mT8_P12ihipStream_tbDpT10_ENKUlT_T0_E_clISt17integral_constantIbLb0EES18_IbLb1EEEEDaS14_S15_EUlS14_E_NS1_11comp_targetILNS1_3genE0ELNS1_11target_archE4294967295ELNS1_3gpuE0ELNS1_3repE0EEENS1_30default_config_static_selectorELNS0_4arch9wavefront6targetE1EEEvT1_.kd
    .uniform_work_group_size: 1
    .uses_dynamic_stack: false
    .vgpr_count:     0
    .vgpr_spill_count: 0
    .wavefront_size: 64
  - .agpr_count:     0
    .args:
      - .offset:         0
        .size:           152
        .value_kind:     by_value
    .group_segment_fixed_size: 30728
    .kernarg_segment_align: 8
    .kernarg_segment_size: 152
    .language:       OpenCL C
    .language_version:
      - 2
      - 0
    .max_flat_workgroup_size: 512
    .name:           _ZN7rocprim17ROCPRIM_400000_NS6detail17trampoline_kernelINS0_14default_configENS1_25partition_config_selectorILNS1_17partition_subalgoE0EiNS0_10empty_typeEbEEZZNS1_14partition_implILS5_0ELb0ES3_jN6thrust23THRUST_200600_302600_NS6detail15normal_iteratorINSA_10device_ptrIiEEEEPS6_SG_NS0_5tupleIJNSA_16discard_iteratorINSA_11use_defaultEEESK_EEENSH_IJSG_SG_EEES6_PlJ7is_evenIiEEEE10hipError_tPvRmT3_T4_T5_T6_T7_T9_mT8_P12ihipStream_tbDpT10_ENKUlT_T0_E_clISt17integral_constantIbLb0EES18_IbLb1EEEEDaS14_S15_EUlS14_E_NS1_11comp_targetILNS1_3genE5ELNS1_11target_archE942ELNS1_3gpuE9ELNS1_3repE0EEENS1_30default_config_static_selectorELNS0_4arch9wavefront6targetE1EEEvT1_
    .private_segment_fixed_size: 0
    .sgpr_count:     42
    .sgpr_spill_count: 0
    .symbol:         _ZN7rocprim17ROCPRIM_400000_NS6detail17trampoline_kernelINS0_14default_configENS1_25partition_config_selectorILNS1_17partition_subalgoE0EiNS0_10empty_typeEbEEZZNS1_14partition_implILS5_0ELb0ES3_jN6thrust23THRUST_200600_302600_NS6detail15normal_iteratorINSA_10device_ptrIiEEEEPS6_SG_NS0_5tupleIJNSA_16discard_iteratorINSA_11use_defaultEEESK_EEENSH_IJSG_SG_EEES6_PlJ7is_evenIiEEEE10hipError_tPvRmT3_T4_T5_T6_T7_T9_mT8_P12ihipStream_tbDpT10_ENKUlT_T0_E_clISt17integral_constantIbLb0EES18_IbLb1EEEEDaS14_S15_EUlS14_E_NS1_11comp_targetILNS1_3genE5ELNS1_11target_archE942ELNS1_3gpuE9ELNS1_3repE0EEENS1_30default_config_static_selectorELNS0_4arch9wavefront6targetE1EEEvT1_.kd
    .uniform_work_group_size: 1
    .uses_dynamic_stack: false
    .vgpr_count:     77
    .vgpr_spill_count: 0
    .wavefront_size: 64
  - .agpr_count:     0
    .args:
      - .offset:         0
        .size:           152
        .value_kind:     by_value
    .group_segment_fixed_size: 0
    .kernarg_segment_align: 8
    .kernarg_segment_size: 152
    .language:       OpenCL C
    .language_version:
      - 2
      - 0
    .max_flat_workgroup_size: 256
    .name:           _ZN7rocprim17ROCPRIM_400000_NS6detail17trampoline_kernelINS0_14default_configENS1_25partition_config_selectorILNS1_17partition_subalgoE0EiNS0_10empty_typeEbEEZZNS1_14partition_implILS5_0ELb0ES3_jN6thrust23THRUST_200600_302600_NS6detail15normal_iteratorINSA_10device_ptrIiEEEEPS6_SG_NS0_5tupleIJNSA_16discard_iteratorINSA_11use_defaultEEESK_EEENSH_IJSG_SG_EEES6_PlJ7is_evenIiEEEE10hipError_tPvRmT3_T4_T5_T6_T7_T9_mT8_P12ihipStream_tbDpT10_ENKUlT_T0_E_clISt17integral_constantIbLb0EES18_IbLb1EEEEDaS14_S15_EUlS14_E_NS1_11comp_targetILNS1_3genE4ELNS1_11target_archE910ELNS1_3gpuE8ELNS1_3repE0EEENS1_30default_config_static_selectorELNS0_4arch9wavefront6targetE1EEEvT1_
    .private_segment_fixed_size: 0
    .sgpr_count:     6
    .sgpr_spill_count: 0
    .symbol:         _ZN7rocprim17ROCPRIM_400000_NS6detail17trampoline_kernelINS0_14default_configENS1_25partition_config_selectorILNS1_17partition_subalgoE0EiNS0_10empty_typeEbEEZZNS1_14partition_implILS5_0ELb0ES3_jN6thrust23THRUST_200600_302600_NS6detail15normal_iteratorINSA_10device_ptrIiEEEEPS6_SG_NS0_5tupleIJNSA_16discard_iteratorINSA_11use_defaultEEESK_EEENSH_IJSG_SG_EEES6_PlJ7is_evenIiEEEE10hipError_tPvRmT3_T4_T5_T6_T7_T9_mT8_P12ihipStream_tbDpT10_ENKUlT_T0_E_clISt17integral_constantIbLb0EES18_IbLb1EEEEDaS14_S15_EUlS14_E_NS1_11comp_targetILNS1_3genE4ELNS1_11target_archE910ELNS1_3gpuE8ELNS1_3repE0EEENS1_30default_config_static_selectorELNS0_4arch9wavefront6targetE1EEEvT1_.kd
    .uniform_work_group_size: 1
    .uses_dynamic_stack: false
    .vgpr_count:     0
    .vgpr_spill_count: 0
    .wavefront_size: 64
  - .agpr_count:     0
    .args:
      - .offset:         0
        .size:           152
        .value_kind:     by_value
    .group_segment_fixed_size: 0
    .kernarg_segment_align: 8
    .kernarg_segment_size: 152
    .language:       OpenCL C
    .language_version:
      - 2
      - 0
    .max_flat_workgroup_size: 256
    .name:           _ZN7rocprim17ROCPRIM_400000_NS6detail17trampoline_kernelINS0_14default_configENS1_25partition_config_selectorILNS1_17partition_subalgoE0EiNS0_10empty_typeEbEEZZNS1_14partition_implILS5_0ELb0ES3_jN6thrust23THRUST_200600_302600_NS6detail15normal_iteratorINSA_10device_ptrIiEEEEPS6_SG_NS0_5tupleIJNSA_16discard_iteratorINSA_11use_defaultEEESK_EEENSH_IJSG_SG_EEES6_PlJ7is_evenIiEEEE10hipError_tPvRmT3_T4_T5_T6_T7_T9_mT8_P12ihipStream_tbDpT10_ENKUlT_T0_E_clISt17integral_constantIbLb0EES18_IbLb1EEEEDaS14_S15_EUlS14_E_NS1_11comp_targetILNS1_3genE3ELNS1_11target_archE908ELNS1_3gpuE7ELNS1_3repE0EEENS1_30default_config_static_selectorELNS0_4arch9wavefront6targetE1EEEvT1_
    .private_segment_fixed_size: 0
    .sgpr_count:     6
    .sgpr_spill_count: 0
    .symbol:         _ZN7rocprim17ROCPRIM_400000_NS6detail17trampoline_kernelINS0_14default_configENS1_25partition_config_selectorILNS1_17partition_subalgoE0EiNS0_10empty_typeEbEEZZNS1_14partition_implILS5_0ELb0ES3_jN6thrust23THRUST_200600_302600_NS6detail15normal_iteratorINSA_10device_ptrIiEEEEPS6_SG_NS0_5tupleIJNSA_16discard_iteratorINSA_11use_defaultEEESK_EEENSH_IJSG_SG_EEES6_PlJ7is_evenIiEEEE10hipError_tPvRmT3_T4_T5_T6_T7_T9_mT8_P12ihipStream_tbDpT10_ENKUlT_T0_E_clISt17integral_constantIbLb0EES18_IbLb1EEEEDaS14_S15_EUlS14_E_NS1_11comp_targetILNS1_3genE3ELNS1_11target_archE908ELNS1_3gpuE7ELNS1_3repE0EEENS1_30default_config_static_selectorELNS0_4arch9wavefront6targetE1EEEvT1_.kd
    .uniform_work_group_size: 1
    .uses_dynamic_stack: false
    .vgpr_count:     0
    .vgpr_spill_count: 0
    .wavefront_size: 64
  - .agpr_count:     0
    .args:
      - .offset:         0
        .size:           152
        .value_kind:     by_value
    .group_segment_fixed_size: 0
    .kernarg_segment_align: 8
    .kernarg_segment_size: 152
    .language:       OpenCL C
    .language_version:
      - 2
      - 0
    .max_flat_workgroup_size: 192
    .name:           _ZN7rocprim17ROCPRIM_400000_NS6detail17trampoline_kernelINS0_14default_configENS1_25partition_config_selectorILNS1_17partition_subalgoE0EiNS0_10empty_typeEbEEZZNS1_14partition_implILS5_0ELb0ES3_jN6thrust23THRUST_200600_302600_NS6detail15normal_iteratorINSA_10device_ptrIiEEEEPS6_SG_NS0_5tupleIJNSA_16discard_iteratorINSA_11use_defaultEEESK_EEENSH_IJSG_SG_EEES6_PlJ7is_evenIiEEEE10hipError_tPvRmT3_T4_T5_T6_T7_T9_mT8_P12ihipStream_tbDpT10_ENKUlT_T0_E_clISt17integral_constantIbLb0EES18_IbLb1EEEEDaS14_S15_EUlS14_E_NS1_11comp_targetILNS1_3genE2ELNS1_11target_archE906ELNS1_3gpuE6ELNS1_3repE0EEENS1_30default_config_static_selectorELNS0_4arch9wavefront6targetE1EEEvT1_
    .private_segment_fixed_size: 0
    .sgpr_count:     6
    .sgpr_spill_count: 0
    .symbol:         _ZN7rocprim17ROCPRIM_400000_NS6detail17trampoline_kernelINS0_14default_configENS1_25partition_config_selectorILNS1_17partition_subalgoE0EiNS0_10empty_typeEbEEZZNS1_14partition_implILS5_0ELb0ES3_jN6thrust23THRUST_200600_302600_NS6detail15normal_iteratorINSA_10device_ptrIiEEEEPS6_SG_NS0_5tupleIJNSA_16discard_iteratorINSA_11use_defaultEEESK_EEENSH_IJSG_SG_EEES6_PlJ7is_evenIiEEEE10hipError_tPvRmT3_T4_T5_T6_T7_T9_mT8_P12ihipStream_tbDpT10_ENKUlT_T0_E_clISt17integral_constantIbLb0EES18_IbLb1EEEEDaS14_S15_EUlS14_E_NS1_11comp_targetILNS1_3genE2ELNS1_11target_archE906ELNS1_3gpuE6ELNS1_3repE0EEENS1_30default_config_static_selectorELNS0_4arch9wavefront6targetE1EEEvT1_.kd
    .uniform_work_group_size: 1
    .uses_dynamic_stack: false
    .vgpr_count:     0
    .vgpr_spill_count: 0
    .wavefront_size: 64
  - .agpr_count:     0
    .args:
      - .offset:         0
        .size:           152
        .value_kind:     by_value
    .group_segment_fixed_size: 0
    .kernarg_segment_align: 8
    .kernarg_segment_size: 152
    .language:       OpenCL C
    .language_version:
      - 2
      - 0
    .max_flat_workgroup_size: 512
    .name:           _ZN7rocprim17ROCPRIM_400000_NS6detail17trampoline_kernelINS0_14default_configENS1_25partition_config_selectorILNS1_17partition_subalgoE0EiNS0_10empty_typeEbEEZZNS1_14partition_implILS5_0ELb0ES3_jN6thrust23THRUST_200600_302600_NS6detail15normal_iteratorINSA_10device_ptrIiEEEEPS6_SG_NS0_5tupleIJNSA_16discard_iteratorINSA_11use_defaultEEESK_EEENSH_IJSG_SG_EEES6_PlJ7is_evenIiEEEE10hipError_tPvRmT3_T4_T5_T6_T7_T9_mT8_P12ihipStream_tbDpT10_ENKUlT_T0_E_clISt17integral_constantIbLb0EES18_IbLb1EEEEDaS14_S15_EUlS14_E_NS1_11comp_targetILNS1_3genE10ELNS1_11target_archE1200ELNS1_3gpuE4ELNS1_3repE0EEENS1_30default_config_static_selectorELNS0_4arch9wavefront6targetE1EEEvT1_
    .private_segment_fixed_size: 0
    .sgpr_count:     6
    .sgpr_spill_count: 0
    .symbol:         _ZN7rocprim17ROCPRIM_400000_NS6detail17trampoline_kernelINS0_14default_configENS1_25partition_config_selectorILNS1_17partition_subalgoE0EiNS0_10empty_typeEbEEZZNS1_14partition_implILS5_0ELb0ES3_jN6thrust23THRUST_200600_302600_NS6detail15normal_iteratorINSA_10device_ptrIiEEEEPS6_SG_NS0_5tupleIJNSA_16discard_iteratorINSA_11use_defaultEEESK_EEENSH_IJSG_SG_EEES6_PlJ7is_evenIiEEEE10hipError_tPvRmT3_T4_T5_T6_T7_T9_mT8_P12ihipStream_tbDpT10_ENKUlT_T0_E_clISt17integral_constantIbLb0EES18_IbLb1EEEEDaS14_S15_EUlS14_E_NS1_11comp_targetILNS1_3genE10ELNS1_11target_archE1200ELNS1_3gpuE4ELNS1_3repE0EEENS1_30default_config_static_selectorELNS0_4arch9wavefront6targetE1EEEvT1_.kd
    .uniform_work_group_size: 1
    .uses_dynamic_stack: false
    .vgpr_count:     0
    .vgpr_spill_count: 0
    .wavefront_size: 64
  - .agpr_count:     0
    .args:
      - .offset:         0
        .size:           152
        .value_kind:     by_value
    .group_segment_fixed_size: 0
    .kernarg_segment_align: 8
    .kernarg_segment_size: 152
    .language:       OpenCL C
    .language_version:
      - 2
      - 0
    .max_flat_workgroup_size: 128
    .name:           _ZN7rocprim17ROCPRIM_400000_NS6detail17trampoline_kernelINS0_14default_configENS1_25partition_config_selectorILNS1_17partition_subalgoE0EiNS0_10empty_typeEbEEZZNS1_14partition_implILS5_0ELb0ES3_jN6thrust23THRUST_200600_302600_NS6detail15normal_iteratorINSA_10device_ptrIiEEEEPS6_SG_NS0_5tupleIJNSA_16discard_iteratorINSA_11use_defaultEEESK_EEENSH_IJSG_SG_EEES6_PlJ7is_evenIiEEEE10hipError_tPvRmT3_T4_T5_T6_T7_T9_mT8_P12ihipStream_tbDpT10_ENKUlT_T0_E_clISt17integral_constantIbLb0EES18_IbLb1EEEEDaS14_S15_EUlS14_E_NS1_11comp_targetILNS1_3genE9ELNS1_11target_archE1100ELNS1_3gpuE3ELNS1_3repE0EEENS1_30default_config_static_selectorELNS0_4arch9wavefront6targetE1EEEvT1_
    .private_segment_fixed_size: 0
    .sgpr_count:     6
    .sgpr_spill_count: 0
    .symbol:         _ZN7rocprim17ROCPRIM_400000_NS6detail17trampoline_kernelINS0_14default_configENS1_25partition_config_selectorILNS1_17partition_subalgoE0EiNS0_10empty_typeEbEEZZNS1_14partition_implILS5_0ELb0ES3_jN6thrust23THRUST_200600_302600_NS6detail15normal_iteratorINSA_10device_ptrIiEEEEPS6_SG_NS0_5tupleIJNSA_16discard_iteratorINSA_11use_defaultEEESK_EEENSH_IJSG_SG_EEES6_PlJ7is_evenIiEEEE10hipError_tPvRmT3_T4_T5_T6_T7_T9_mT8_P12ihipStream_tbDpT10_ENKUlT_T0_E_clISt17integral_constantIbLb0EES18_IbLb1EEEEDaS14_S15_EUlS14_E_NS1_11comp_targetILNS1_3genE9ELNS1_11target_archE1100ELNS1_3gpuE3ELNS1_3repE0EEENS1_30default_config_static_selectorELNS0_4arch9wavefront6targetE1EEEvT1_.kd
    .uniform_work_group_size: 1
    .uses_dynamic_stack: false
    .vgpr_count:     0
    .vgpr_spill_count: 0
    .wavefront_size: 64
  - .agpr_count:     0
    .args:
      - .offset:         0
        .size:           152
        .value_kind:     by_value
    .group_segment_fixed_size: 0
    .kernarg_segment_align: 8
    .kernarg_segment_size: 152
    .language:       OpenCL C
    .language_version:
      - 2
      - 0
    .max_flat_workgroup_size: 512
    .name:           _ZN7rocprim17ROCPRIM_400000_NS6detail17trampoline_kernelINS0_14default_configENS1_25partition_config_selectorILNS1_17partition_subalgoE0EiNS0_10empty_typeEbEEZZNS1_14partition_implILS5_0ELb0ES3_jN6thrust23THRUST_200600_302600_NS6detail15normal_iteratorINSA_10device_ptrIiEEEEPS6_SG_NS0_5tupleIJNSA_16discard_iteratorINSA_11use_defaultEEESK_EEENSH_IJSG_SG_EEES6_PlJ7is_evenIiEEEE10hipError_tPvRmT3_T4_T5_T6_T7_T9_mT8_P12ihipStream_tbDpT10_ENKUlT_T0_E_clISt17integral_constantIbLb0EES18_IbLb1EEEEDaS14_S15_EUlS14_E_NS1_11comp_targetILNS1_3genE8ELNS1_11target_archE1030ELNS1_3gpuE2ELNS1_3repE0EEENS1_30default_config_static_selectorELNS0_4arch9wavefront6targetE1EEEvT1_
    .private_segment_fixed_size: 0
    .sgpr_count:     6
    .sgpr_spill_count: 0
    .symbol:         _ZN7rocprim17ROCPRIM_400000_NS6detail17trampoline_kernelINS0_14default_configENS1_25partition_config_selectorILNS1_17partition_subalgoE0EiNS0_10empty_typeEbEEZZNS1_14partition_implILS5_0ELb0ES3_jN6thrust23THRUST_200600_302600_NS6detail15normal_iteratorINSA_10device_ptrIiEEEEPS6_SG_NS0_5tupleIJNSA_16discard_iteratorINSA_11use_defaultEEESK_EEENSH_IJSG_SG_EEES6_PlJ7is_evenIiEEEE10hipError_tPvRmT3_T4_T5_T6_T7_T9_mT8_P12ihipStream_tbDpT10_ENKUlT_T0_E_clISt17integral_constantIbLb0EES18_IbLb1EEEEDaS14_S15_EUlS14_E_NS1_11comp_targetILNS1_3genE8ELNS1_11target_archE1030ELNS1_3gpuE2ELNS1_3repE0EEENS1_30default_config_static_selectorELNS0_4arch9wavefront6targetE1EEEvT1_.kd
    .uniform_work_group_size: 1
    .uses_dynamic_stack: false
    .vgpr_count:     0
    .vgpr_spill_count: 0
    .wavefront_size: 64
  - .agpr_count:     0
    .args:
      - .offset:         0
        .size:           128
        .value_kind:     by_value
    .group_segment_fixed_size: 0
    .kernarg_segment_align: 8
    .kernarg_segment_size: 128
    .language:       OpenCL C
    .language_version:
      - 2
      - 0
    .max_flat_workgroup_size: 256
    .name:           _ZN7rocprim17ROCPRIM_400000_NS6detail17trampoline_kernelINS0_14default_configENS1_25partition_config_selectorILNS1_17partition_subalgoE0EiNS0_10empty_typeEbEEZZNS1_14partition_implILS5_0ELb0ES3_jN6thrust23THRUST_200600_302600_NS6detail15normal_iteratorINSA_10device_ptrIiEEEEPS6_SG_NS0_5tupleIJSF_NSA_16discard_iteratorINSA_11use_defaultEEEEEENSH_IJSG_SG_EEES6_PlJ7is_evenIiEEEE10hipError_tPvRmT3_T4_T5_T6_T7_T9_mT8_P12ihipStream_tbDpT10_ENKUlT_T0_E_clISt17integral_constantIbLb0EES19_EEDaS14_S15_EUlS14_E_NS1_11comp_targetILNS1_3genE0ELNS1_11target_archE4294967295ELNS1_3gpuE0ELNS1_3repE0EEENS1_30default_config_static_selectorELNS0_4arch9wavefront6targetE1EEEvT1_
    .private_segment_fixed_size: 0
    .sgpr_count:     6
    .sgpr_spill_count: 0
    .symbol:         _ZN7rocprim17ROCPRIM_400000_NS6detail17trampoline_kernelINS0_14default_configENS1_25partition_config_selectorILNS1_17partition_subalgoE0EiNS0_10empty_typeEbEEZZNS1_14partition_implILS5_0ELb0ES3_jN6thrust23THRUST_200600_302600_NS6detail15normal_iteratorINSA_10device_ptrIiEEEEPS6_SG_NS0_5tupleIJSF_NSA_16discard_iteratorINSA_11use_defaultEEEEEENSH_IJSG_SG_EEES6_PlJ7is_evenIiEEEE10hipError_tPvRmT3_T4_T5_T6_T7_T9_mT8_P12ihipStream_tbDpT10_ENKUlT_T0_E_clISt17integral_constantIbLb0EES19_EEDaS14_S15_EUlS14_E_NS1_11comp_targetILNS1_3genE0ELNS1_11target_archE4294967295ELNS1_3gpuE0ELNS1_3repE0EEENS1_30default_config_static_selectorELNS0_4arch9wavefront6targetE1EEEvT1_.kd
    .uniform_work_group_size: 1
    .uses_dynamic_stack: false
    .vgpr_count:     0
    .vgpr_spill_count: 0
    .wavefront_size: 64
  - .agpr_count:     0
    .args:
      - .offset:         0
        .size:           128
        .value_kind:     by_value
    .group_segment_fixed_size: 30728
    .kernarg_segment_align: 8
    .kernarg_segment_size: 128
    .language:       OpenCL C
    .language_version:
      - 2
      - 0
    .max_flat_workgroup_size: 512
    .name:           _ZN7rocprim17ROCPRIM_400000_NS6detail17trampoline_kernelINS0_14default_configENS1_25partition_config_selectorILNS1_17partition_subalgoE0EiNS0_10empty_typeEbEEZZNS1_14partition_implILS5_0ELb0ES3_jN6thrust23THRUST_200600_302600_NS6detail15normal_iteratorINSA_10device_ptrIiEEEEPS6_SG_NS0_5tupleIJSF_NSA_16discard_iteratorINSA_11use_defaultEEEEEENSH_IJSG_SG_EEES6_PlJ7is_evenIiEEEE10hipError_tPvRmT3_T4_T5_T6_T7_T9_mT8_P12ihipStream_tbDpT10_ENKUlT_T0_E_clISt17integral_constantIbLb0EES19_EEDaS14_S15_EUlS14_E_NS1_11comp_targetILNS1_3genE5ELNS1_11target_archE942ELNS1_3gpuE9ELNS1_3repE0EEENS1_30default_config_static_selectorELNS0_4arch9wavefront6targetE1EEEvT1_
    .private_segment_fixed_size: 0
    .sgpr_count:     46
    .sgpr_spill_count: 0
    .symbol:         _ZN7rocprim17ROCPRIM_400000_NS6detail17trampoline_kernelINS0_14default_configENS1_25partition_config_selectorILNS1_17partition_subalgoE0EiNS0_10empty_typeEbEEZZNS1_14partition_implILS5_0ELb0ES3_jN6thrust23THRUST_200600_302600_NS6detail15normal_iteratorINSA_10device_ptrIiEEEEPS6_SG_NS0_5tupleIJSF_NSA_16discard_iteratorINSA_11use_defaultEEEEEENSH_IJSG_SG_EEES6_PlJ7is_evenIiEEEE10hipError_tPvRmT3_T4_T5_T6_T7_T9_mT8_P12ihipStream_tbDpT10_ENKUlT_T0_E_clISt17integral_constantIbLb0EES19_EEDaS14_S15_EUlS14_E_NS1_11comp_targetILNS1_3genE5ELNS1_11target_archE942ELNS1_3gpuE9ELNS1_3repE0EEENS1_30default_config_static_selectorELNS0_4arch9wavefront6targetE1EEEvT1_.kd
    .uniform_work_group_size: 1
    .uses_dynamic_stack: false
    .vgpr_count:     76
    .vgpr_spill_count: 0
    .wavefront_size: 64
  - .agpr_count:     0
    .args:
      - .offset:         0
        .size:           128
        .value_kind:     by_value
    .group_segment_fixed_size: 0
    .kernarg_segment_align: 8
    .kernarg_segment_size: 128
    .language:       OpenCL C
    .language_version:
      - 2
      - 0
    .max_flat_workgroup_size: 256
    .name:           _ZN7rocprim17ROCPRIM_400000_NS6detail17trampoline_kernelINS0_14default_configENS1_25partition_config_selectorILNS1_17partition_subalgoE0EiNS0_10empty_typeEbEEZZNS1_14partition_implILS5_0ELb0ES3_jN6thrust23THRUST_200600_302600_NS6detail15normal_iteratorINSA_10device_ptrIiEEEEPS6_SG_NS0_5tupleIJSF_NSA_16discard_iteratorINSA_11use_defaultEEEEEENSH_IJSG_SG_EEES6_PlJ7is_evenIiEEEE10hipError_tPvRmT3_T4_T5_T6_T7_T9_mT8_P12ihipStream_tbDpT10_ENKUlT_T0_E_clISt17integral_constantIbLb0EES19_EEDaS14_S15_EUlS14_E_NS1_11comp_targetILNS1_3genE4ELNS1_11target_archE910ELNS1_3gpuE8ELNS1_3repE0EEENS1_30default_config_static_selectorELNS0_4arch9wavefront6targetE1EEEvT1_
    .private_segment_fixed_size: 0
    .sgpr_count:     6
    .sgpr_spill_count: 0
    .symbol:         _ZN7rocprim17ROCPRIM_400000_NS6detail17trampoline_kernelINS0_14default_configENS1_25partition_config_selectorILNS1_17partition_subalgoE0EiNS0_10empty_typeEbEEZZNS1_14partition_implILS5_0ELb0ES3_jN6thrust23THRUST_200600_302600_NS6detail15normal_iteratorINSA_10device_ptrIiEEEEPS6_SG_NS0_5tupleIJSF_NSA_16discard_iteratorINSA_11use_defaultEEEEEENSH_IJSG_SG_EEES6_PlJ7is_evenIiEEEE10hipError_tPvRmT3_T4_T5_T6_T7_T9_mT8_P12ihipStream_tbDpT10_ENKUlT_T0_E_clISt17integral_constantIbLb0EES19_EEDaS14_S15_EUlS14_E_NS1_11comp_targetILNS1_3genE4ELNS1_11target_archE910ELNS1_3gpuE8ELNS1_3repE0EEENS1_30default_config_static_selectorELNS0_4arch9wavefront6targetE1EEEvT1_.kd
    .uniform_work_group_size: 1
    .uses_dynamic_stack: false
    .vgpr_count:     0
    .vgpr_spill_count: 0
    .wavefront_size: 64
  - .agpr_count:     0
    .args:
      - .offset:         0
        .size:           128
        .value_kind:     by_value
    .group_segment_fixed_size: 0
    .kernarg_segment_align: 8
    .kernarg_segment_size: 128
    .language:       OpenCL C
    .language_version:
      - 2
      - 0
    .max_flat_workgroup_size: 256
    .name:           _ZN7rocprim17ROCPRIM_400000_NS6detail17trampoline_kernelINS0_14default_configENS1_25partition_config_selectorILNS1_17partition_subalgoE0EiNS0_10empty_typeEbEEZZNS1_14partition_implILS5_0ELb0ES3_jN6thrust23THRUST_200600_302600_NS6detail15normal_iteratorINSA_10device_ptrIiEEEEPS6_SG_NS0_5tupleIJSF_NSA_16discard_iteratorINSA_11use_defaultEEEEEENSH_IJSG_SG_EEES6_PlJ7is_evenIiEEEE10hipError_tPvRmT3_T4_T5_T6_T7_T9_mT8_P12ihipStream_tbDpT10_ENKUlT_T0_E_clISt17integral_constantIbLb0EES19_EEDaS14_S15_EUlS14_E_NS1_11comp_targetILNS1_3genE3ELNS1_11target_archE908ELNS1_3gpuE7ELNS1_3repE0EEENS1_30default_config_static_selectorELNS0_4arch9wavefront6targetE1EEEvT1_
    .private_segment_fixed_size: 0
    .sgpr_count:     6
    .sgpr_spill_count: 0
    .symbol:         _ZN7rocprim17ROCPRIM_400000_NS6detail17trampoline_kernelINS0_14default_configENS1_25partition_config_selectorILNS1_17partition_subalgoE0EiNS0_10empty_typeEbEEZZNS1_14partition_implILS5_0ELb0ES3_jN6thrust23THRUST_200600_302600_NS6detail15normal_iteratorINSA_10device_ptrIiEEEEPS6_SG_NS0_5tupleIJSF_NSA_16discard_iteratorINSA_11use_defaultEEEEEENSH_IJSG_SG_EEES6_PlJ7is_evenIiEEEE10hipError_tPvRmT3_T4_T5_T6_T7_T9_mT8_P12ihipStream_tbDpT10_ENKUlT_T0_E_clISt17integral_constantIbLb0EES19_EEDaS14_S15_EUlS14_E_NS1_11comp_targetILNS1_3genE3ELNS1_11target_archE908ELNS1_3gpuE7ELNS1_3repE0EEENS1_30default_config_static_selectorELNS0_4arch9wavefront6targetE1EEEvT1_.kd
    .uniform_work_group_size: 1
    .uses_dynamic_stack: false
    .vgpr_count:     0
    .vgpr_spill_count: 0
    .wavefront_size: 64
  - .agpr_count:     0
    .args:
      - .offset:         0
        .size:           128
        .value_kind:     by_value
    .group_segment_fixed_size: 0
    .kernarg_segment_align: 8
    .kernarg_segment_size: 128
    .language:       OpenCL C
    .language_version:
      - 2
      - 0
    .max_flat_workgroup_size: 192
    .name:           _ZN7rocprim17ROCPRIM_400000_NS6detail17trampoline_kernelINS0_14default_configENS1_25partition_config_selectorILNS1_17partition_subalgoE0EiNS0_10empty_typeEbEEZZNS1_14partition_implILS5_0ELb0ES3_jN6thrust23THRUST_200600_302600_NS6detail15normal_iteratorINSA_10device_ptrIiEEEEPS6_SG_NS0_5tupleIJSF_NSA_16discard_iteratorINSA_11use_defaultEEEEEENSH_IJSG_SG_EEES6_PlJ7is_evenIiEEEE10hipError_tPvRmT3_T4_T5_T6_T7_T9_mT8_P12ihipStream_tbDpT10_ENKUlT_T0_E_clISt17integral_constantIbLb0EES19_EEDaS14_S15_EUlS14_E_NS1_11comp_targetILNS1_3genE2ELNS1_11target_archE906ELNS1_3gpuE6ELNS1_3repE0EEENS1_30default_config_static_selectorELNS0_4arch9wavefront6targetE1EEEvT1_
    .private_segment_fixed_size: 0
    .sgpr_count:     6
    .sgpr_spill_count: 0
    .symbol:         _ZN7rocprim17ROCPRIM_400000_NS6detail17trampoline_kernelINS0_14default_configENS1_25partition_config_selectorILNS1_17partition_subalgoE0EiNS0_10empty_typeEbEEZZNS1_14partition_implILS5_0ELb0ES3_jN6thrust23THRUST_200600_302600_NS6detail15normal_iteratorINSA_10device_ptrIiEEEEPS6_SG_NS0_5tupleIJSF_NSA_16discard_iteratorINSA_11use_defaultEEEEEENSH_IJSG_SG_EEES6_PlJ7is_evenIiEEEE10hipError_tPvRmT3_T4_T5_T6_T7_T9_mT8_P12ihipStream_tbDpT10_ENKUlT_T0_E_clISt17integral_constantIbLb0EES19_EEDaS14_S15_EUlS14_E_NS1_11comp_targetILNS1_3genE2ELNS1_11target_archE906ELNS1_3gpuE6ELNS1_3repE0EEENS1_30default_config_static_selectorELNS0_4arch9wavefront6targetE1EEEvT1_.kd
    .uniform_work_group_size: 1
    .uses_dynamic_stack: false
    .vgpr_count:     0
    .vgpr_spill_count: 0
    .wavefront_size: 64
  - .agpr_count:     0
    .args:
      - .offset:         0
        .size:           128
        .value_kind:     by_value
    .group_segment_fixed_size: 0
    .kernarg_segment_align: 8
    .kernarg_segment_size: 128
    .language:       OpenCL C
    .language_version:
      - 2
      - 0
    .max_flat_workgroup_size: 512
    .name:           _ZN7rocprim17ROCPRIM_400000_NS6detail17trampoline_kernelINS0_14default_configENS1_25partition_config_selectorILNS1_17partition_subalgoE0EiNS0_10empty_typeEbEEZZNS1_14partition_implILS5_0ELb0ES3_jN6thrust23THRUST_200600_302600_NS6detail15normal_iteratorINSA_10device_ptrIiEEEEPS6_SG_NS0_5tupleIJSF_NSA_16discard_iteratorINSA_11use_defaultEEEEEENSH_IJSG_SG_EEES6_PlJ7is_evenIiEEEE10hipError_tPvRmT3_T4_T5_T6_T7_T9_mT8_P12ihipStream_tbDpT10_ENKUlT_T0_E_clISt17integral_constantIbLb0EES19_EEDaS14_S15_EUlS14_E_NS1_11comp_targetILNS1_3genE10ELNS1_11target_archE1200ELNS1_3gpuE4ELNS1_3repE0EEENS1_30default_config_static_selectorELNS0_4arch9wavefront6targetE1EEEvT1_
    .private_segment_fixed_size: 0
    .sgpr_count:     6
    .sgpr_spill_count: 0
    .symbol:         _ZN7rocprim17ROCPRIM_400000_NS6detail17trampoline_kernelINS0_14default_configENS1_25partition_config_selectorILNS1_17partition_subalgoE0EiNS0_10empty_typeEbEEZZNS1_14partition_implILS5_0ELb0ES3_jN6thrust23THRUST_200600_302600_NS6detail15normal_iteratorINSA_10device_ptrIiEEEEPS6_SG_NS0_5tupleIJSF_NSA_16discard_iteratorINSA_11use_defaultEEEEEENSH_IJSG_SG_EEES6_PlJ7is_evenIiEEEE10hipError_tPvRmT3_T4_T5_T6_T7_T9_mT8_P12ihipStream_tbDpT10_ENKUlT_T0_E_clISt17integral_constantIbLb0EES19_EEDaS14_S15_EUlS14_E_NS1_11comp_targetILNS1_3genE10ELNS1_11target_archE1200ELNS1_3gpuE4ELNS1_3repE0EEENS1_30default_config_static_selectorELNS0_4arch9wavefront6targetE1EEEvT1_.kd
    .uniform_work_group_size: 1
    .uses_dynamic_stack: false
    .vgpr_count:     0
    .vgpr_spill_count: 0
    .wavefront_size: 64
  - .agpr_count:     0
    .args:
      - .offset:         0
        .size:           128
        .value_kind:     by_value
    .group_segment_fixed_size: 0
    .kernarg_segment_align: 8
    .kernarg_segment_size: 128
    .language:       OpenCL C
    .language_version:
      - 2
      - 0
    .max_flat_workgroup_size: 128
    .name:           _ZN7rocprim17ROCPRIM_400000_NS6detail17trampoline_kernelINS0_14default_configENS1_25partition_config_selectorILNS1_17partition_subalgoE0EiNS0_10empty_typeEbEEZZNS1_14partition_implILS5_0ELb0ES3_jN6thrust23THRUST_200600_302600_NS6detail15normal_iteratorINSA_10device_ptrIiEEEEPS6_SG_NS0_5tupleIJSF_NSA_16discard_iteratorINSA_11use_defaultEEEEEENSH_IJSG_SG_EEES6_PlJ7is_evenIiEEEE10hipError_tPvRmT3_T4_T5_T6_T7_T9_mT8_P12ihipStream_tbDpT10_ENKUlT_T0_E_clISt17integral_constantIbLb0EES19_EEDaS14_S15_EUlS14_E_NS1_11comp_targetILNS1_3genE9ELNS1_11target_archE1100ELNS1_3gpuE3ELNS1_3repE0EEENS1_30default_config_static_selectorELNS0_4arch9wavefront6targetE1EEEvT1_
    .private_segment_fixed_size: 0
    .sgpr_count:     6
    .sgpr_spill_count: 0
    .symbol:         _ZN7rocprim17ROCPRIM_400000_NS6detail17trampoline_kernelINS0_14default_configENS1_25partition_config_selectorILNS1_17partition_subalgoE0EiNS0_10empty_typeEbEEZZNS1_14partition_implILS5_0ELb0ES3_jN6thrust23THRUST_200600_302600_NS6detail15normal_iteratorINSA_10device_ptrIiEEEEPS6_SG_NS0_5tupleIJSF_NSA_16discard_iteratorINSA_11use_defaultEEEEEENSH_IJSG_SG_EEES6_PlJ7is_evenIiEEEE10hipError_tPvRmT3_T4_T5_T6_T7_T9_mT8_P12ihipStream_tbDpT10_ENKUlT_T0_E_clISt17integral_constantIbLb0EES19_EEDaS14_S15_EUlS14_E_NS1_11comp_targetILNS1_3genE9ELNS1_11target_archE1100ELNS1_3gpuE3ELNS1_3repE0EEENS1_30default_config_static_selectorELNS0_4arch9wavefront6targetE1EEEvT1_.kd
    .uniform_work_group_size: 1
    .uses_dynamic_stack: false
    .vgpr_count:     0
    .vgpr_spill_count: 0
    .wavefront_size: 64
  - .agpr_count:     0
    .args:
      - .offset:         0
        .size:           128
        .value_kind:     by_value
    .group_segment_fixed_size: 0
    .kernarg_segment_align: 8
    .kernarg_segment_size: 128
    .language:       OpenCL C
    .language_version:
      - 2
      - 0
    .max_flat_workgroup_size: 512
    .name:           _ZN7rocprim17ROCPRIM_400000_NS6detail17trampoline_kernelINS0_14default_configENS1_25partition_config_selectorILNS1_17partition_subalgoE0EiNS0_10empty_typeEbEEZZNS1_14partition_implILS5_0ELb0ES3_jN6thrust23THRUST_200600_302600_NS6detail15normal_iteratorINSA_10device_ptrIiEEEEPS6_SG_NS0_5tupleIJSF_NSA_16discard_iteratorINSA_11use_defaultEEEEEENSH_IJSG_SG_EEES6_PlJ7is_evenIiEEEE10hipError_tPvRmT3_T4_T5_T6_T7_T9_mT8_P12ihipStream_tbDpT10_ENKUlT_T0_E_clISt17integral_constantIbLb0EES19_EEDaS14_S15_EUlS14_E_NS1_11comp_targetILNS1_3genE8ELNS1_11target_archE1030ELNS1_3gpuE2ELNS1_3repE0EEENS1_30default_config_static_selectorELNS0_4arch9wavefront6targetE1EEEvT1_
    .private_segment_fixed_size: 0
    .sgpr_count:     6
    .sgpr_spill_count: 0
    .symbol:         _ZN7rocprim17ROCPRIM_400000_NS6detail17trampoline_kernelINS0_14default_configENS1_25partition_config_selectorILNS1_17partition_subalgoE0EiNS0_10empty_typeEbEEZZNS1_14partition_implILS5_0ELb0ES3_jN6thrust23THRUST_200600_302600_NS6detail15normal_iteratorINSA_10device_ptrIiEEEEPS6_SG_NS0_5tupleIJSF_NSA_16discard_iteratorINSA_11use_defaultEEEEEENSH_IJSG_SG_EEES6_PlJ7is_evenIiEEEE10hipError_tPvRmT3_T4_T5_T6_T7_T9_mT8_P12ihipStream_tbDpT10_ENKUlT_T0_E_clISt17integral_constantIbLb0EES19_EEDaS14_S15_EUlS14_E_NS1_11comp_targetILNS1_3genE8ELNS1_11target_archE1030ELNS1_3gpuE2ELNS1_3repE0EEENS1_30default_config_static_selectorELNS0_4arch9wavefront6targetE1EEEvT1_.kd
    .uniform_work_group_size: 1
    .uses_dynamic_stack: false
    .vgpr_count:     0
    .vgpr_spill_count: 0
    .wavefront_size: 64
  - .agpr_count:     0
    .args:
      - .offset:         0
        .size:           144
        .value_kind:     by_value
    .group_segment_fixed_size: 0
    .kernarg_segment_align: 8
    .kernarg_segment_size: 144
    .language:       OpenCL C
    .language_version:
      - 2
      - 0
    .max_flat_workgroup_size: 256
    .name:           _ZN7rocprim17ROCPRIM_400000_NS6detail17trampoline_kernelINS0_14default_configENS1_25partition_config_selectorILNS1_17partition_subalgoE0EiNS0_10empty_typeEbEEZZNS1_14partition_implILS5_0ELb0ES3_jN6thrust23THRUST_200600_302600_NS6detail15normal_iteratorINSA_10device_ptrIiEEEEPS6_SG_NS0_5tupleIJSF_NSA_16discard_iteratorINSA_11use_defaultEEEEEENSH_IJSG_SG_EEES6_PlJ7is_evenIiEEEE10hipError_tPvRmT3_T4_T5_T6_T7_T9_mT8_P12ihipStream_tbDpT10_ENKUlT_T0_E_clISt17integral_constantIbLb1EES19_EEDaS14_S15_EUlS14_E_NS1_11comp_targetILNS1_3genE0ELNS1_11target_archE4294967295ELNS1_3gpuE0ELNS1_3repE0EEENS1_30default_config_static_selectorELNS0_4arch9wavefront6targetE1EEEvT1_
    .private_segment_fixed_size: 0
    .sgpr_count:     6
    .sgpr_spill_count: 0
    .symbol:         _ZN7rocprim17ROCPRIM_400000_NS6detail17trampoline_kernelINS0_14default_configENS1_25partition_config_selectorILNS1_17partition_subalgoE0EiNS0_10empty_typeEbEEZZNS1_14partition_implILS5_0ELb0ES3_jN6thrust23THRUST_200600_302600_NS6detail15normal_iteratorINSA_10device_ptrIiEEEEPS6_SG_NS0_5tupleIJSF_NSA_16discard_iteratorINSA_11use_defaultEEEEEENSH_IJSG_SG_EEES6_PlJ7is_evenIiEEEE10hipError_tPvRmT3_T4_T5_T6_T7_T9_mT8_P12ihipStream_tbDpT10_ENKUlT_T0_E_clISt17integral_constantIbLb1EES19_EEDaS14_S15_EUlS14_E_NS1_11comp_targetILNS1_3genE0ELNS1_11target_archE4294967295ELNS1_3gpuE0ELNS1_3repE0EEENS1_30default_config_static_selectorELNS0_4arch9wavefront6targetE1EEEvT1_.kd
    .uniform_work_group_size: 1
    .uses_dynamic_stack: false
    .vgpr_count:     0
    .vgpr_spill_count: 0
    .wavefront_size: 64
  - .agpr_count:     0
    .args:
      - .offset:         0
        .size:           144
        .value_kind:     by_value
    .group_segment_fixed_size: 30728
    .kernarg_segment_align: 8
    .kernarg_segment_size: 144
    .language:       OpenCL C
    .language_version:
      - 2
      - 0
    .max_flat_workgroup_size: 512
    .name:           _ZN7rocprim17ROCPRIM_400000_NS6detail17trampoline_kernelINS0_14default_configENS1_25partition_config_selectorILNS1_17partition_subalgoE0EiNS0_10empty_typeEbEEZZNS1_14partition_implILS5_0ELb0ES3_jN6thrust23THRUST_200600_302600_NS6detail15normal_iteratorINSA_10device_ptrIiEEEEPS6_SG_NS0_5tupleIJSF_NSA_16discard_iteratorINSA_11use_defaultEEEEEENSH_IJSG_SG_EEES6_PlJ7is_evenIiEEEE10hipError_tPvRmT3_T4_T5_T6_T7_T9_mT8_P12ihipStream_tbDpT10_ENKUlT_T0_E_clISt17integral_constantIbLb1EES19_EEDaS14_S15_EUlS14_E_NS1_11comp_targetILNS1_3genE5ELNS1_11target_archE942ELNS1_3gpuE9ELNS1_3repE0EEENS1_30default_config_static_selectorELNS0_4arch9wavefront6targetE1EEEvT1_
    .private_segment_fixed_size: 0
    .sgpr_count:     46
    .sgpr_spill_count: 0
    .symbol:         _ZN7rocprim17ROCPRIM_400000_NS6detail17trampoline_kernelINS0_14default_configENS1_25partition_config_selectorILNS1_17partition_subalgoE0EiNS0_10empty_typeEbEEZZNS1_14partition_implILS5_0ELb0ES3_jN6thrust23THRUST_200600_302600_NS6detail15normal_iteratorINSA_10device_ptrIiEEEEPS6_SG_NS0_5tupleIJSF_NSA_16discard_iteratorINSA_11use_defaultEEEEEENSH_IJSG_SG_EEES6_PlJ7is_evenIiEEEE10hipError_tPvRmT3_T4_T5_T6_T7_T9_mT8_P12ihipStream_tbDpT10_ENKUlT_T0_E_clISt17integral_constantIbLb1EES19_EEDaS14_S15_EUlS14_E_NS1_11comp_targetILNS1_3genE5ELNS1_11target_archE942ELNS1_3gpuE9ELNS1_3repE0EEENS1_30default_config_static_selectorELNS0_4arch9wavefront6targetE1EEEvT1_.kd
    .uniform_work_group_size: 1
    .uses_dynamic_stack: false
    .vgpr_count:     78
    .vgpr_spill_count: 0
    .wavefront_size: 64
  - .agpr_count:     0
    .args:
      - .offset:         0
        .size:           144
        .value_kind:     by_value
    .group_segment_fixed_size: 0
    .kernarg_segment_align: 8
    .kernarg_segment_size: 144
    .language:       OpenCL C
    .language_version:
      - 2
      - 0
    .max_flat_workgroup_size: 256
    .name:           _ZN7rocprim17ROCPRIM_400000_NS6detail17trampoline_kernelINS0_14default_configENS1_25partition_config_selectorILNS1_17partition_subalgoE0EiNS0_10empty_typeEbEEZZNS1_14partition_implILS5_0ELb0ES3_jN6thrust23THRUST_200600_302600_NS6detail15normal_iteratorINSA_10device_ptrIiEEEEPS6_SG_NS0_5tupleIJSF_NSA_16discard_iteratorINSA_11use_defaultEEEEEENSH_IJSG_SG_EEES6_PlJ7is_evenIiEEEE10hipError_tPvRmT3_T4_T5_T6_T7_T9_mT8_P12ihipStream_tbDpT10_ENKUlT_T0_E_clISt17integral_constantIbLb1EES19_EEDaS14_S15_EUlS14_E_NS1_11comp_targetILNS1_3genE4ELNS1_11target_archE910ELNS1_3gpuE8ELNS1_3repE0EEENS1_30default_config_static_selectorELNS0_4arch9wavefront6targetE1EEEvT1_
    .private_segment_fixed_size: 0
    .sgpr_count:     6
    .sgpr_spill_count: 0
    .symbol:         _ZN7rocprim17ROCPRIM_400000_NS6detail17trampoline_kernelINS0_14default_configENS1_25partition_config_selectorILNS1_17partition_subalgoE0EiNS0_10empty_typeEbEEZZNS1_14partition_implILS5_0ELb0ES3_jN6thrust23THRUST_200600_302600_NS6detail15normal_iteratorINSA_10device_ptrIiEEEEPS6_SG_NS0_5tupleIJSF_NSA_16discard_iteratorINSA_11use_defaultEEEEEENSH_IJSG_SG_EEES6_PlJ7is_evenIiEEEE10hipError_tPvRmT3_T4_T5_T6_T7_T9_mT8_P12ihipStream_tbDpT10_ENKUlT_T0_E_clISt17integral_constantIbLb1EES19_EEDaS14_S15_EUlS14_E_NS1_11comp_targetILNS1_3genE4ELNS1_11target_archE910ELNS1_3gpuE8ELNS1_3repE0EEENS1_30default_config_static_selectorELNS0_4arch9wavefront6targetE1EEEvT1_.kd
    .uniform_work_group_size: 1
    .uses_dynamic_stack: false
    .vgpr_count:     0
    .vgpr_spill_count: 0
    .wavefront_size: 64
  - .agpr_count:     0
    .args:
      - .offset:         0
        .size:           144
        .value_kind:     by_value
    .group_segment_fixed_size: 0
    .kernarg_segment_align: 8
    .kernarg_segment_size: 144
    .language:       OpenCL C
    .language_version:
      - 2
      - 0
    .max_flat_workgroup_size: 256
    .name:           _ZN7rocprim17ROCPRIM_400000_NS6detail17trampoline_kernelINS0_14default_configENS1_25partition_config_selectorILNS1_17partition_subalgoE0EiNS0_10empty_typeEbEEZZNS1_14partition_implILS5_0ELb0ES3_jN6thrust23THRUST_200600_302600_NS6detail15normal_iteratorINSA_10device_ptrIiEEEEPS6_SG_NS0_5tupleIJSF_NSA_16discard_iteratorINSA_11use_defaultEEEEEENSH_IJSG_SG_EEES6_PlJ7is_evenIiEEEE10hipError_tPvRmT3_T4_T5_T6_T7_T9_mT8_P12ihipStream_tbDpT10_ENKUlT_T0_E_clISt17integral_constantIbLb1EES19_EEDaS14_S15_EUlS14_E_NS1_11comp_targetILNS1_3genE3ELNS1_11target_archE908ELNS1_3gpuE7ELNS1_3repE0EEENS1_30default_config_static_selectorELNS0_4arch9wavefront6targetE1EEEvT1_
    .private_segment_fixed_size: 0
    .sgpr_count:     6
    .sgpr_spill_count: 0
    .symbol:         _ZN7rocprim17ROCPRIM_400000_NS6detail17trampoline_kernelINS0_14default_configENS1_25partition_config_selectorILNS1_17partition_subalgoE0EiNS0_10empty_typeEbEEZZNS1_14partition_implILS5_0ELb0ES3_jN6thrust23THRUST_200600_302600_NS6detail15normal_iteratorINSA_10device_ptrIiEEEEPS6_SG_NS0_5tupleIJSF_NSA_16discard_iteratorINSA_11use_defaultEEEEEENSH_IJSG_SG_EEES6_PlJ7is_evenIiEEEE10hipError_tPvRmT3_T4_T5_T6_T7_T9_mT8_P12ihipStream_tbDpT10_ENKUlT_T0_E_clISt17integral_constantIbLb1EES19_EEDaS14_S15_EUlS14_E_NS1_11comp_targetILNS1_3genE3ELNS1_11target_archE908ELNS1_3gpuE7ELNS1_3repE0EEENS1_30default_config_static_selectorELNS0_4arch9wavefront6targetE1EEEvT1_.kd
    .uniform_work_group_size: 1
    .uses_dynamic_stack: false
    .vgpr_count:     0
    .vgpr_spill_count: 0
    .wavefront_size: 64
  - .agpr_count:     0
    .args:
      - .offset:         0
        .size:           144
        .value_kind:     by_value
    .group_segment_fixed_size: 0
    .kernarg_segment_align: 8
    .kernarg_segment_size: 144
    .language:       OpenCL C
    .language_version:
      - 2
      - 0
    .max_flat_workgroup_size: 192
    .name:           _ZN7rocprim17ROCPRIM_400000_NS6detail17trampoline_kernelINS0_14default_configENS1_25partition_config_selectorILNS1_17partition_subalgoE0EiNS0_10empty_typeEbEEZZNS1_14partition_implILS5_0ELb0ES3_jN6thrust23THRUST_200600_302600_NS6detail15normal_iteratorINSA_10device_ptrIiEEEEPS6_SG_NS0_5tupleIJSF_NSA_16discard_iteratorINSA_11use_defaultEEEEEENSH_IJSG_SG_EEES6_PlJ7is_evenIiEEEE10hipError_tPvRmT3_T4_T5_T6_T7_T9_mT8_P12ihipStream_tbDpT10_ENKUlT_T0_E_clISt17integral_constantIbLb1EES19_EEDaS14_S15_EUlS14_E_NS1_11comp_targetILNS1_3genE2ELNS1_11target_archE906ELNS1_3gpuE6ELNS1_3repE0EEENS1_30default_config_static_selectorELNS0_4arch9wavefront6targetE1EEEvT1_
    .private_segment_fixed_size: 0
    .sgpr_count:     6
    .sgpr_spill_count: 0
    .symbol:         _ZN7rocprim17ROCPRIM_400000_NS6detail17trampoline_kernelINS0_14default_configENS1_25partition_config_selectorILNS1_17partition_subalgoE0EiNS0_10empty_typeEbEEZZNS1_14partition_implILS5_0ELb0ES3_jN6thrust23THRUST_200600_302600_NS6detail15normal_iteratorINSA_10device_ptrIiEEEEPS6_SG_NS0_5tupleIJSF_NSA_16discard_iteratorINSA_11use_defaultEEEEEENSH_IJSG_SG_EEES6_PlJ7is_evenIiEEEE10hipError_tPvRmT3_T4_T5_T6_T7_T9_mT8_P12ihipStream_tbDpT10_ENKUlT_T0_E_clISt17integral_constantIbLb1EES19_EEDaS14_S15_EUlS14_E_NS1_11comp_targetILNS1_3genE2ELNS1_11target_archE906ELNS1_3gpuE6ELNS1_3repE0EEENS1_30default_config_static_selectorELNS0_4arch9wavefront6targetE1EEEvT1_.kd
    .uniform_work_group_size: 1
    .uses_dynamic_stack: false
    .vgpr_count:     0
    .vgpr_spill_count: 0
    .wavefront_size: 64
  - .agpr_count:     0
    .args:
      - .offset:         0
        .size:           144
        .value_kind:     by_value
    .group_segment_fixed_size: 0
    .kernarg_segment_align: 8
    .kernarg_segment_size: 144
    .language:       OpenCL C
    .language_version:
      - 2
      - 0
    .max_flat_workgroup_size: 512
    .name:           _ZN7rocprim17ROCPRIM_400000_NS6detail17trampoline_kernelINS0_14default_configENS1_25partition_config_selectorILNS1_17partition_subalgoE0EiNS0_10empty_typeEbEEZZNS1_14partition_implILS5_0ELb0ES3_jN6thrust23THRUST_200600_302600_NS6detail15normal_iteratorINSA_10device_ptrIiEEEEPS6_SG_NS0_5tupleIJSF_NSA_16discard_iteratorINSA_11use_defaultEEEEEENSH_IJSG_SG_EEES6_PlJ7is_evenIiEEEE10hipError_tPvRmT3_T4_T5_T6_T7_T9_mT8_P12ihipStream_tbDpT10_ENKUlT_T0_E_clISt17integral_constantIbLb1EES19_EEDaS14_S15_EUlS14_E_NS1_11comp_targetILNS1_3genE10ELNS1_11target_archE1200ELNS1_3gpuE4ELNS1_3repE0EEENS1_30default_config_static_selectorELNS0_4arch9wavefront6targetE1EEEvT1_
    .private_segment_fixed_size: 0
    .sgpr_count:     6
    .sgpr_spill_count: 0
    .symbol:         _ZN7rocprim17ROCPRIM_400000_NS6detail17trampoline_kernelINS0_14default_configENS1_25partition_config_selectorILNS1_17partition_subalgoE0EiNS0_10empty_typeEbEEZZNS1_14partition_implILS5_0ELb0ES3_jN6thrust23THRUST_200600_302600_NS6detail15normal_iteratorINSA_10device_ptrIiEEEEPS6_SG_NS0_5tupleIJSF_NSA_16discard_iteratorINSA_11use_defaultEEEEEENSH_IJSG_SG_EEES6_PlJ7is_evenIiEEEE10hipError_tPvRmT3_T4_T5_T6_T7_T9_mT8_P12ihipStream_tbDpT10_ENKUlT_T0_E_clISt17integral_constantIbLb1EES19_EEDaS14_S15_EUlS14_E_NS1_11comp_targetILNS1_3genE10ELNS1_11target_archE1200ELNS1_3gpuE4ELNS1_3repE0EEENS1_30default_config_static_selectorELNS0_4arch9wavefront6targetE1EEEvT1_.kd
    .uniform_work_group_size: 1
    .uses_dynamic_stack: false
    .vgpr_count:     0
    .vgpr_spill_count: 0
    .wavefront_size: 64
  - .agpr_count:     0
    .args:
      - .offset:         0
        .size:           144
        .value_kind:     by_value
    .group_segment_fixed_size: 0
    .kernarg_segment_align: 8
    .kernarg_segment_size: 144
    .language:       OpenCL C
    .language_version:
      - 2
      - 0
    .max_flat_workgroup_size: 128
    .name:           _ZN7rocprim17ROCPRIM_400000_NS6detail17trampoline_kernelINS0_14default_configENS1_25partition_config_selectorILNS1_17partition_subalgoE0EiNS0_10empty_typeEbEEZZNS1_14partition_implILS5_0ELb0ES3_jN6thrust23THRUST_200600_302600_NS6detail15normal_iteratorINSA_10device_ptrIiEEEEPS6_SG_NS0_5tupleIJSF_NSA_16discard_iteratorINSA_11use_defaultEEEEEENSH_IJSG_SG_EEES6_PlJ7is_evenIiEEEE10hipError_tPvRmT3_T4_T5_T6_T7_T9_mT8_P12ihipStream_tbDpT10_ENKUlT_T0_E_clISt17integral_constantIbLb1EES19_EEDaS14_S15_EUlS14_E_NS1_11comp_targetILNS1_3genE9ELNS1_11target_archE1100ELNS1_3gpuE3ELNS1_3repE0EEENS1_30default_config_static_selectorELNS0_4arch9wavefront6targetE1EEEvT1_
    .private_segment_fixed_size: 0
    .sgpr_count:     6
    .sgpr_spill_count: 0
    .symbol:         _ZN7rocprim17ROCPRIM_400000_NS6detail17trampoline_kernelINS0_14default_configENS1_25partition_config_selectorILNS1_17partition_subalgoE0EiNS0_10empty_typeEbEEZZNS1_14partition_implILS5_0ELb0ES3_jN6thrust23THRUST_200600_302600_NS6detail15normal_iteratorINSA_10device_ptrIiEEEEPS6_SG_NS0_5tupleIJSF_NSA_16discard_iteratorINSA_11use_defaultEEEEEENSH_IJSG_SG_EEES6_PlJ7is_evenIiEEEE10hipError_tPvRmT3_T4_T5_T6_T7_T9_mT8_P12ihipStream_tbDpT10_ENKUlT_T0_E_clISt17integral_constantIbLb1EES19_EEDaS14_S15_EUlS14_E_NS1_11comp_targetILNS1_3genE9ELNS1_11target_archE1100ELNS1_3gpuE3ELNS1_3repE0EEENS1_30default_config_static_selectorELNS0_4arch9wavefront6targetE1EEEvT1_.kd
    .uniform_work_group_size: 1
    .uses_dynamic_stack: false
    .vgpr_count:     0
    .vgpr_spill_count: 0
    .wavefront_size: 64
  - .agpr_count:     0
    .args:
      - .offset:         0
        .size:           144
        .value_kind:     by_value
    .group_segment_fixed_size: 0
    .kernarg_segment_align: 8
    .kernarg_segment_size: 144
    .language:       OpenCL C
    .language_version:
      - 2
      - 0
    .max_flat_workgroup_size: 512
    .name:           _ZN7rocprim17ROCPRIM_400000_NS6detail17trampoline_kernelINS0_14default_configENS1_25partition_config_selectorILNS1_17partition_subalgoE0EiNS0_10empty_typeEbEEZZNS1_14partition_implILS5_0ELb0ES3_jN6thrust23THRUST_200600_302600_NS6detail15normal_iteratorINSA_10device_ptrIiEEEEPS6_SG_NS0_5tupleIJSF_NSA_16discard_iteratorINSA_11use_defaultEEEEEENSH_IJSG_SG_EEES6_PlJ7is_evenIiEEEE10hipError_tPvRmT3_T4_T5_T6_T7_T9_mT8_P12ihipStream_tbDpT10_ENKUlT_T0_E_clISt17integral_constantIbLb1EES19_EEDaS14_S15_EUlS14_E_NS1_11comp_targetILNS1_3genE8ELNS1_11target_archE1030ELNS1_3gpuE2ELNS1_3repE0EEENS1_30default_config_static_selectorELNS0_4arch9wavefront6targetE1EEEvT1_
    .private_segment_fixed_size: 0
    .sgpr_count:     6
    .sgpr_spill_count: 0
    .symbol:         _ZN7rocprim17ROCPRIM_400000_NS6detail17trampoline_kernelINS0_14default_configENS1_25partition_config_selectorILNS1_17partition_subalgoE0EiNS0_10empty_typeEbEEZZNS1_14partition_implILS5_0ELb0ES3_jN6thrust23THRUST_200600_302600_NS6detail15normal_iteratorINSA_10device_ptrIiEEEEPS6_SG_NS0_5tupleIJSF_NSA_16discard_iteratorINSA_11use_defaultEEEEEENSH_IJSG_SG_EEES6_PlJ7is_evenIiEEEE10hipError_tPvRmT3_T4_T5_T6_T7_T9_mT8_P12ihipStream_tbDpT10_ENKUlT_T0_E_clISt17integral_constantIbLb1EES19_EEDaS14_S15_EUlS14_E_NS1_11comp_targetILNS1_3genE8ELNS1_11target_archE1030ELNS1_3gpuE2ELNS1_3repE0EEENS1_30default_config_static_selectorELNS0_4arch9wavefront6targetE1EEEvT1_.kd
    .uniform_work_group_size: 1
    .uses_dynamic_stack: false
    .vgpr_count:     0
    .vgpr_spill_count: 0
    .wavefront_size: 64
  - .agpr_count:     0
    .args:
      - .offset:         0
        .size:           128
        .value_kind:     by_value
    .group_segment_fixed_size: 0
    .kernarg_segment_align: 8
    .kernarg_segment_size: 128
    .language:       OpenCL C
    .language_version:
      - 2
      - 0
    .max_flat_workgroup_size: 256
    .name:           _ZN7rocprim17ROCPRIM_400000_NS6detail17trampoline_kernelINS0_14default_configENS1_25partition_config_selectorILNS1_17partition_subalgoE0EiNS0_10empty_typeEbEEZZNS1_14partition_implILS5_0ELb0ES3_jN6thrust23THRUST_200600_302600_NS6detail15normal_iteratorINSA_10device_ptrIiEEEEPS6_SG_NS0_5tupleIJSF_NSA_16discard_iteratorINSA_11use_defaultEEEEEENSH_IJSG_SG_EEES6_PlJ7is_evenIiEEEE10hipError_tPvRmT3_T4_T5_T6_T7_T9_mT8_P12ihipStream_tbDpT10_ENKUlT_T0_E_clISt17integral_constantIbLb1EES18_IbLb0EEEEDaS14_S15_EUlS14_E_NS1_11comp_targetILNS1_3genE0ELNS1_11target_archE4294967295ELNS1_3gpuE0ELNS1_3repE0EEENS1_30default_config_static_selectorELNS0_4arch9wavefront6targetE1EEEvT1_
    .private_segment_fixed_size: 0
    .sgpr_count:     6
    .sgpr_spill_count: 0
    .symbol:         _ZN7rocprim17ROCPRIM_400000_NS6detail17trampoline_kernelINS0_14default_configENS1_25partition_config_selectorILNS1_17partition_subalgoE0EiNS0_10empty_typeEbEEZZNS1_14partition_implILS5_0ELb0ES3_jN6thrust23THRUST_200600_302600_NS6detail15normal_iteratorINSA_10device_ptrIiEEEEPS6_SG_NS0_5tupleIJSF_NSA_16discard_iteratorINSA_11use_defaultEEEEEENSH_IJSG_SG_EEES6_PlJ7is_evenIiEEEE10hipError_tPvRmT3_T4_T5_T6_T7_T9_mT8_P12ihipStream_tbDpT10_ENKUlT_T0_E_clISt17integral_constantIbLb1EES18_IbLb0EEEEDaS14_S15_EUlS14_E_NS1_11comp_targetILNS1_3genE0ELNS1_11target_archE4294967295ELNS1_3gpuE0ELNS1_3repE0EEENS1_30default_config_static_selectorELNS0_4arch9wavefront6targetE1EEEvT1_.kd
    .uniform_work_group_size: 1
    .uses_dynamic_stack: false
    .vgpr_count:     0
    .vgpr_spill_count: 0
    .wavefront_size: 64
  - .agpr_count:     0
    .args:
      - .offset:         0
        .size:           128
        .value_kind:     by_value
    .group_segment_fixed_size: 30728
    .kernarg_segment_align: 8
    .kernarg_segment_size: 128
    .language:       OpenCL C
    .language_version:
      - 2
      - 0
    .max_flat_workgroup_size: 512
    .name:           _ZN7rocprim17ROCPRIM_400000_NS6detail17trampoline_kernelINS0_14default_configENS1_25partition_config_selectorILNS1_17partition_subalgoE0EiNS0_10empty_typeEbEEZZNS1_14partition_implILS5_0ELb0ES3_jN6thrust23THRUST_200600_302600_NS6detail15normal_iteratorINSA_10device_ptrIiEEEEPS6_SG_NS0_5tupleIJSF_NSA_16discard_iteratorINSA_11use_defaultEEEEEENSH_IJSG_SG_EEES6_PlJ7is_evenIiEEEE10hipError_tPvRmT3_T4_T5_T6_T7_T9_mT8_P12ihipStream_tbDpT10_ENKUlT_T0_E_clISt17integral_constantIbLb1EES18_IbLb0EEEEDaS14_S15_EUlS14_E_NS1_11comp_targetILNS1_3genE5ELNS1_11target_archE942ELNS1_3gpuE9ELNS1_3repE0EEENS1_30default_config_static_selectorELNS0_4arch9wavefront6targetE1EEEvT1_
    .private_segment_fixed_size: 0
    .sgpr_count:     46
    .sgpr_spill_count: 0
    .symbol:         _ZN7rocprim17ROCPRIM_400000_NS6detail17trampoline_kernelINS0_14default_configENS1_25partition_config_selectorILNS1_17partition_subalgoE0EiNS0_10empty_typeEbEEZZNS1_14partition_implILS5_0ELb0ES3_jN6thrust23THRUST_200600_302600_NS6detail15normal_iteratorINSA_10device_ptrIiEEEEPS6_SG_NS0_5tupleIJSF_NSA_16discard_iteratorINSA_11use_defaultEEEEEENSH_IJSG_SG_EEES6_PlJ7is_evenIiEEEE10hipError_tPvRmT3_T4_T5_T6_T7_T9_mT8_P12ihipStream_tbDpT10_ENKUlT_T0_E_clISt17integral_constantIbLb1EES18_IbLb0EEEEDaS14_S15_EUlS14_E_NS1_11comp_targetILNS1_3genE5ELNS1_11target_archE942ELNS1_3gpuE9ELNS1_3repE0EEENS1_30default_config_static_selectorELNS0_4arch9wavefront6targetE1EEEvT1_.kd
    .uniform_work_group_size: 1
    .uses_dynamic_stack: false
    .vgpr_count:     76
    .vgpr_spill_count: 0
    .wavefront_size: 64
  - .agpr_count:     0
    .args:
      - .offset:         0
        .size:           128
        .value_kind:     by_value
    .group_segment_fixed_size: 0
    .kernarg_segment_align: 8
    .kernarg_segment_size: 128
    .language:       OpenCL C
    .language_version:
      - 2
      - 0
    .max_flat_workgroup_size: 256
    .name:           _ZN7rocprim17ROCPRIM_400000_NS6detail17trampoline_kernelINS0_14default_configENS1_25partition_config_selectorILNS1_17partition_subalgoE0EiNS0_10empty_typeEbEEZZNS1_14partition_implILS5_0ELb0ES3_jN6thrust23THRUST_200600_302600_NS6detail15normal_iteratorINSA_10device_ptrIiEEEEPS6_SG_NS0_5tupleIJSF_NSA_16discard_iteratorINSA_11use_defaultEEEEEENSH_IJSG_SG_EEES6_PlJ7is_evenIiEEEE10hipError_tPvRmT3_T4_T5_T6_T7_T9_mT8_P12ihipStream_tbDpT10_ENKUlT_T0_E_clISt17integral_constantIbLb1EES18_IbLb0EEEEDaS14_S15_EUlS14_E_NS1_11comp_targetILNS1_3genE4ELNS1_11target_archE910ELNS1_3gpuE8ELNS1_3repE0EEENS1_30default_config_static_selectorELNS0_4arch9wavefront6targetE1EEEvT1_
    .private_segment_fixed_size: 0
    .sgpr_count:     6
    .sgpr_spill_count: 0
    .symbol:         _ZN7rocprim17ROCPRIM_400000_NS6detail17trampoline_kernelINS0_14default_configENS1_25partition_config_selectorILNS1_17partition_subalgoE0EiNS0_10empty_typeEbEEZZNS1_14partition_implILS5_0ELb0ES3_jN6thrust23THRUST_200600_302600_NS6detail15normal_iteratorINSA_10device_ptrIiEEEEPS6_SG_NS0_5tupleIJSF_NSA_16discard_iteratorINSA_11use_defaultEEEEEENSH_IJSG_SG_EEES6_PlJ7is_evenIiEEEE10hipError_tPvRmT3_T4_T5_T6_T7_T9_mT8_P12ihipStream_tbDpT10_ENKUlT_T0_E_clISt17integral_constantIbLb1EES18_IbLb0EEEEDaS14_S15_EUlS14_E_NS1_11comp_targetILNS1_3genE4ELNS1_11target_archE910ELNS1_3gpuE8ELNS1_3repE0EEENS1_30default_config_static_selectorELNS0_4arch9wavefront6targetE1EEEvT1_.kd
    .uniform_work_group_size: 1
    .uses_dynamic_stack: false
    .vgpr_count:     0
    .vgpr_spill_count: 0
    .wavefront_size: 64
  - .agpr_count:     0
    .args:
      - .offset:         0
        .size:           128
        .value_kind:     by_value
    .group_segment_fixed_size: 0
    .kernarg_segment_align: 8
    .kernarg_segment_size: 128
    .language:       OpenCL C
    .language_version:
      - 2
      - 0
    .max_flat_workgroup_size: 256
    .name:           _ZN7rocprim17ROCPRIM_400000_NS6detail17trampoline_kernelINS0_14default_configENS1_25partition_config_selectorILNS1_17partition_subalgoE0EiNS0_10empty_typeEbEEZZNS1_14partition_implILS5_0ELb0ES3_jN6thrust23THRUST_200600_302600_NS6detail15normal_iteratorINSA_10device_ptrIiEEEEPS6_SG_NS0_5tupleIJSF_NSA_16discard_iteratorINSA_11use_defaultEEEEEENSH_IJSG_SG_EEES6_PlJ7is_evenIiEEEE10hipError_tPvRmT3_T4_T5_T6_T7_T9_mT8_P12ihipStream_tbDpT10_ENKUlT_T0_E_clISt17integral_constantIbLb1EES18_IbLb0EEEEDaS14_S15_EUlS14_E_NS1_11comp_targetILNS1_3genE3ELNS1_11target_archE908ELNS1_3gpuE7ELNS1_3repE0EEENS1_30default_config_static_selectorELNS0_4arch9wavefront6targetE1EEEvT1_
    .private_segment_fixed_size: 0
    .sgpr_count:     6
    .sgpr_spill_count: 0
    .symbol:         _ZN7rocprim17ROCPRIM_400000_NS6detail17trampoline_kernelINS0_14default_configENS1_25partition_config_selectorILNS1_17partition_subalgoE0EiNS0_10empty_typeEbEEZZNS1_14partition_implILS5_0ELb0ES3_jN6thrust23THRUST_200600_302600_NS6detail15normal_iteratorINSA_10device_ptrIiEEEEPS6_SG_NS0_5tupleIJSF_NSA_16discard_iteratorINSA_11use_defaultEEEEEENSH_IJSG_SG_EEES6_PlJ7is_evenIiEEEE10hipError_tPvRmT3_T4_T5_T6_T7_T9_mT8_P12ihipStream_tbDpT10_ENKUlT_T0_E_clISt17integral_constantIbLb1EES18_IbLb0EEEEDaS14_S15_EUlS14_E_NS1_11comp_targetILNS1_3genE3ELNS1_11target_archE908ELNS1_3gpuE7ELNS1_3repE0EEENS1_30default_config_static_selectorELNS0_4arch9wavefront6targetE1EEEvT1_.kd
    .uniform_work_group_size: 1
    .uses_dynamic_stack: false
    .vgpr_count:     0
    .vgpr_spill_count: 0
    .wavefront_size: 64
  - .agpr_count:     0
    .args:
      - .offset:         0
        .size:           128
        .value_kind:     by_value
    .group_segment_fixed_size: 0
    .kernarg_segment_align: 8
    .kernarg_segment_size: 128
    .language:       OpenCL C
    .language_version:
      - 2
      - 0
    .max_flat_workgroup_size: 192
    .name:           _ZN7rocprim17ROCPRIM_400000_NS6detail17trampoline_kernelINS0_14default_configENS1_25partition_config_selectorILNS1_17partition_subalgoE0EiNS0_10empty_typeEbEEZZNS1_14partition_implILS5_0ELb0ES3_jN6thrust23THRUST_200600_302600_NS6detail15normal_iteratorINSA_10device_ptrIiEEEEPS6_SG_NS0_5tupleIJSF_NSA_16discard_iteratorINSA_11use_defaultEEEEEENSH_IJSG_SG_EEES6_PlJ7is_evenIiEEEE10hipError_tPvRmT3_T4_T5_T6_T7_T9_mT8_P12ihipStream_tbDpT10_ENKUlT_T0_E_clISt17integral_constantIbLb1EES18_IbLb0EEEEDaS14_S15_EUlS14_E_NS1_11comp_targetILNS1_3genE2ELNS1_11target_archE906ELNS1_3gpuE6ELNS1_3repE0EEENS1_30default_config_static_selectorELNS0_4arch9wavefront6targetE1EEEvT1_
    .private_segment_fixed_size: 0
    .sgpr_count:     6
    .sgpr_spill_count: 0
    .symbol:         _ZN7rocprim17ROCPRIM_400000_NS6detail17trampoline_kernelINS0_14default_configENS1_25partition_config_selectorILNS1_17partition_subalgoE0EiNS0_10empty_typeEbEEZZNS1_14partition_implILS5_0ELb0ES3_jN6thrust23THRUST_200600_302600_NS6detail15normal_iteratorINSA_10device_ptrIiEEEEPS6_SG_NS0_5tupleIJSF_NSA_16discard_iteratorINSA_11use_defaultEEEEEENSH_IJSG_SG_EEES6_PlJ7is_evenIiEEEE10hipError_tPvRmT3_T4_T5_T6_T7_T9_mT8_P12ihipStream_tbDpT10_ENKUlT_T0_E_clISt17integral_constantIbLb1EES18_IbLb0EEEEDaS14_S15_EUlS14_E_NS1_11comp_targetILNS1_3genE2ELNS1_11target_archE906ELNS1_3gpuE6ELNS1_3repE0EEENS1_30default_config_static_selectorELNS0_4arch9wavefront6targetE1EEEvT1_.kd
    .uniform_work_group_size: 1
    .uses_dynamic_stack: false
    .vgpr_count:     0
    .vgpr_spill_count: 0
    .wavefront_size: 64
  - .agpr_count:     0
    .args:
      - .offset:         0
        .size:           128
        .value_kind:     by_value
    .group_segment_fixed_size: 0
    .kernarg_segment_align: 8
    .kernarg_segment_size: 128
    .language:       OpenCL C
    .language_version:
      - 2
      - 0
    .max_flat_workgroup_size: 512
    .name:           _ZN7rocprim17ROCPRIM_400000_NS6detail17trampoline_kernelINS0_14default_configENS1_25partition_config_selectorILNS1_17partition_subalgoE0EiNS0_10empty_typeEbEEZZNS1_14partition_implILS5_0ELb0ES3_jN6thrust23THRUST_200600_302600_NS6detail15normal_iteratorINSA_10device_ptrIiEEEEPS6_SG_NS0_5tupleIJSF_NSA_16discard_iteratorINSA_11use_defaultEEEEEENSH_IJSG_SG_EEES6_PlJ7is_evenIiEEEE10hipError_tPvRmT3_T4_T5_T6_T7_T9_mT8_P12ihipStream_tbDpT10_ENKUlT_T0_E_clISt17integral_constantIbLb1EES18_IbLb0EEEEDaS14_S15_EUlS14_E_NS1_11comp_targetILNS1_3genE10ELNS1_11target_archE1200ELNS1_3gpuE4ELNS1_3repE0EEENS1_30default_config_static_selectorELNS0_4arch9wavefront6targetE1EEEvT1_
    .private_segment_fixed_size: 0
    .sgpr_count:     6
    .sgpr_spill_count: 0
    .symbol:         _ZN7rocprim17ROCPRIM_400000_NS6detail17trampoline_kernelINS0_14default_configENS1_25partition_config_selectorILNS1_17partition_subalgoE0EiNS0_10empty_typeEbEEZZNS1_14partition_implILS5_0ELb0ES3_jN6thrust23THRUST_200600_302600_NS6detail15normal_iteratorINSA_10device_ptrIiEEEEPS6_SG_NS0_5tupleIJSF_NSA_16discard_iteratorINSA_11use_defaultEEEEEENSH_IJSG_SG_EEES6_PlJ7is_evenIiEEEE10hipError_tPvRmT3_T4_T5_T6_T7_T9_mT8_P12ihipStream_tbDpT10_ENKUlT_T0_E_clISt17integral_constantIbLb1EES18_IbLb0EEEEDaS14_S15_EUlS14_E_NS1_11comp_targetILNS1_3genE10ELNS1_11target_archE1200ELNS1_3gpuE4ELNS1_3repE0EEENS1_30default_config_static_selectorELNS0_4arch9wavefront6targetE1EEEvT1_.kd
    .uniform_work_group_size: 1
    .uses_dynamic_stack: false
    .vgpr_count:     0
    .vgpr_spill_count: 0
    .wavefront_size: 64
  - .agpr_count:     0
    .args:
      - .offset:         0
        .size:           128
        .value_kind:     by_value
    .group_segment_fixed_size: 0
    .kernarg_segment_align: 8
    .kernarg_segment_size: 128
    .language:       OpenCL C
    .language_version:
      - 2
      - 0
    .max_flat_workgroup_size: 128
    .name:           _ZN7rocprim17ROCPRIM_400000_NS6detail17trampoline_kernelINS0_14default_configENS1_25partition_config_selectorILNS1_17partition_subalgoE0EiNS0_10empty_typeEbEEZZNS1_14partition_implILS5_0ELb0ES3_jN6thrust23THRUST_200600_302600_NS6detail15normal_iteratorINSA_10device_ptrIiEEEEPS6_SG_NS0_5tupleIJSF_NSA_16discard_iteratorINSA_11use_defaultEEEEEENSH_IJSG_SG_EEES6_PlJ7is_evenIiEEEE10hipError_tPvRmT3_T4_T5_T6_T7_T9_mT8_P12ihipStream_tbDpT10_ENKUlT_T0_E_clISt17integral_constantIbLb1EES18_IbLb0EEEEDaS14_S15_EUlS14_E_NS1_11comp_targetILNS1_3genE9ELNS1_11target_archE1100ELNS1_3gpuE3ELNS1_3repE0EEENS1_30default_config_static_selectorELNS0_4arch9wavefront6targetE1EEEvT1_
    .private_segment_fixed_size: 0
    .sgpr_count:     6
    .sgpr_spill_count: 0
    .symbol:         _ZN7rocprim17ROCPRIM_400000_NS6detail17trampoline_kernelINS0_14default_configENS1_25partition_config_selectorILNS1_17partition_subalgoE0EiNS0_10empty_typeEbEEZZNS1_14partition_implILS5_0ELb0ES3_jN6thrust23THRUST_200600_302600_NS6detail15normal_iteratorINSA_10device_ptrIiEEEEPS6_SG_NS0_5tupleIJSF_NSA_16discard_iteratorINSA_11use_defaultEEEEEENSH_IJSG_SG_EEES6_PlJ7is_evenIiEEEE10hipError_tPvRmT3_T4_T5_T6_T7_T9_mT8_P12ihipStream_tbDpT10_ENKUlT_T0_E_clISt17integral_constantIbLb1EES18_IbLb0EEEEDaS14_S15_EUlS14_E_NS1_11comp_targetILNS1_3genE9ELNS1_11target_archE1100ELNS1_3gpuE3ELNS1_3repE0EEENS1_30default_config_static_selectorELNS0_4arch9wavefront6targetE1EEEvT1_.kd
    .uniform_work_group_size: 1
    .uses_dynamic_stack: false
    .vgpr_count:     0
    .vgpr_spill_count: 0
    .wavefront_size: 64
  - .agpr_count:     0
    .args:
      - .offset:         0
        .size:           128
        .value_kind:     by_value
    .group_segment_fixed_size: 0
    .kernarg_segment_align: 8
    .kernarg_segment_size: 128
    .language:       OpenCL C
    .language_version:
      - 2
      - 0
    .max_flat_workgroup_size: 512
    .name:           _ZN7rocprim17ROCPRIM_400000_NS6detail17trampoline_kernelINS0_14default_configENS1_25partition_config_selectorILNS1_17partition_subalgoE0EiNS0_10empty_typeEbEEZZNS1_14partition_implILS5_0ELb0ES3_jN6thrust23THRUST_200600_302600_NS6detail15normal_iteratorINSA_10device_ptrIiEEEEPS6_SG_NS0_5tupleIJSF_NSA_16discard_iteratorINSA_11use_defaultEEEEEENSH_IJSG_SG_EEES6_PlJ7is_evenIiEEEE10hipError_tPvRmT3_T4_T5_T6_T7_T9_mT8_P12ihipStream_tbDpT10_ENKUlT_T0_E_clISt17integral_constantIbLb1EES18_IbLb0EEEEDaS14_S15_EUlS14_E_NS1_11comp_targetILNS1_3genE8ELNS1_11target_archE1030ELNS1_3gpuE2ELNS1_3repE0EEENS1_30default_config_static_selectorELNS0_4arch9wavefront6targetE1EEEvT1_
    .private_segment_fixed_size: 0
    .sgpr_count:     6
    .sgpr_spill_count: 0
    .symbol:         _ZN7rocprim17ROCPRIM_400000_NS6detail17trampoline_kernelINS0_14default_configENS1_25partition_config_selectorILNS1_17partition_subalgoE0EiNS0_10empty_typeEbEEZZNS1_14partition_implILS5_0ELb0ES3_jN6thrust23THRUST_200600_302600_NS6detail15normal_iteratorINSA_10device_ptrIiEEEEPS6_SG_NS0_5tupleIJSF_NSA_16discard_iteratorINSA_11use_defaultEEEEEENSH_IJSG_SG_EEES6_PlJ7is_evenIiEEEE10hipError_tPvRmT3_T4_T5_T6_T7_T9_mT8_P12ihipStream_tbDpT10_ENKUlT_T0_E_clISt17integral_constantIbLb1EES18_IbLb0EEEEDaS14_S15_EUlS14_E_NS1_11comp_targetILNS1_3genE8ELNS1_11target_archE1030ELNS1_3gpuE2ELNS1_3repE0EEENS1_30default_config_static_selectorELNS0_4arch9wavefront6targetE1EEEvT1_.kd
    .uniform_work_group_size: 1
    .uses_dynamic_stack: false
    .vgpr_count:     0
    .vgpr_spill_count: 0
    .wavefront_size: 64
  - .agpr_count:     0
    .args:
      - .offset:         0
        .size:           144
        .value_kind:     by_value
    .group_segment_fixed_size: 0
    .kernarg_segment_align: 8
    .kernarg_segment_size: 144
    .language:       OpenCL C
    .language_version:
      - 2
      - 0
    .max_flat_workgroup_size: 256
    .name:           _ZN7rocprim17ROCPRIM_400000_NS6detail17trampoline_kernelINS0_14default_configENS1_25partition_config_selectorILNS1_17partition_subalgoE0EiNS0_10empty_typeEbEEZZNS1_14partition_implILS5_0ELb0ES3_jN6thrust23THRUST_200600_302600_NS6detail15normal_iteratorINSA_10device_ptrIiEEEEPS6_SG_NS0_5tupleIJSF_NSA_16discard_iteratorINSA_11use_defaultEEEEEENSH_IJSG_SG_EEES6_PlJ7is_evenIiEEEE10hipError_tPvRmT3_T4_T5_T6_T7_T9_mT8_P12ihipStream_tbDpT10_ENKUlT_T0_E_clISt17integral_constantIbLb0EES18_IbLb1EEEEDaS14_S15_EUlS14_E_NS1_11comp_targetILNS1_3genE0ELNS1_11target_archE4294967295ELNS1_3gpuE0ELNS1_3repE0EEENS1_30default_config_static_selectorELNS0_4arch9wavefront6targetE1EEEvT1_
    .private_segment_fixed_size: 0
    .sgpr_count:     6
    .sgpr_spill_count: 0
    .symbol:         _ZN7rocprim17ROCPRIM_400000_NS6detail17trampoline_kernelINS0_14default_configENS1_25partition_config_selectorILNS1_17partition_subalgoE0EiNS0_10empty_typeEbEEZZNS1_14partition_implILS5_0ELb0ES3_jN6thrust23THRUST_200600_302600_NS6detail15normal_iteratorINSA_10device_ptrIiEEEEPS6_SG_NS0_5tupleIJSF_NSA_16discard_iteratorINSA_11use_defaultEEEEEENSH_IJSG_SG_EEES6_PlJ7is_evenIiEEEE10hipError_tPvRmT3_T4_T5_T6_T7_T9_mT8_P12ihipStream_tbDpT10_ENKUlT_T0_E_clISt17integral_constantIbLb0EES18_IbLb1EEEEDaS14_S15_EUlS14_E_NS1_11comp_targetILNS1_3genE0ELNS1_11target_archE4294967295ELNS1_3gpuE0ELNS1_3repE0EEENS1_30default_config_static_selectorELNS0_4arch9wavefront6targetE1EEEvT1_.kd
    .uniform_work_group_size: 1
    .uses_dynamic_stack: false
    .vgpr_count:     0
    .vgpr_spill_count: 0
    .wavefront_size: 64
  - .agpr_count:     0
    .args:
      - .offset:         0
        .size:           144
        .value_kind:     by_value
    .group_segment_fixed_size: 30728
    .kernarg_segment_align: 8
    .kernarg_segment_size: 144
    .language:       OpenCL C
    .language_version:
      - 2
      - 0
    .max_flat_workgroup_size: 512
    .name:           _ZN7rocprim17ROCPRIM_400000_NS6detail17trampoline_kernelINS0_14default_configENS1_25partition_config_selectorILNS1_17partition_subalgoE0EiNS0_10empty_typeEbEEZZNS1_14partition_implILS5_0ELb0ES3_jN6thrust23THRUST_200600_302600_NS6detail15normal_iteratorINSA_10device_ptrIiEEEEPS6_SG_NS0_5tupleIJSF_NSA_16discard_iteratorINSA_11use_defaultEEEEEENSH_IJSG_SG_EEES6_PlJ7is_evenIiEEEE10hipError_tPvRmT3_T4_T5_T6_T7_T9_mT8_P12ihipStream_tbDpT10_ENKUlT_T0_E_clISt17integral_constantIbLb0EES18_IbLb1EEEEDaS14_S15_EUlS14_E_NS1_11comp_targetILNS1_3genE5ELNS1_11target_archE942ELNS1_3gpuE9ELNS1_3repE0EEENS1_30default_config_static_selectorELNS0_4arch9wavefront6targetE1EEEvT1_
    .private_segment_fixed_size: 0
    .sgpr_count:     46
    .sgpr_spill_count: 0
    .symbol:         _ZN7rocprim17ROCPRIM_400000_NS6detail17trampoline_kernelINS0_14default_configENS1_25partition_config_selectorILNS1_17partition_subalgoE0EiNS0_10empty_typeEbEEZZNS1_14partition_implILS5_0ELb0ES3_jN6thrust23THRUST_200600_302600_NS6detail15normal_iteratorINSA_10device_ptrIiEEEEPS6_SG_NS0_5tupleIJSF_NSA_16discard_iteratorINSA_11use_defaultEEEEEENSH_IJSG_SG_EEES6_PlJ7is_evenIiEEEE10hipError_tPvRmT3_T4_T5_T6_T7_T9_mT8_P12ihipStream_tbDpT10_ENKUlT_T0_E_clISt17integral_constantIbLb0EES18_IbLb1EEEEDaS14_S15_EUlS14_E_NS1_11comp_targetILNS1_3genE5ELNS1_11target_archE942ELNS1_3gpuE9ELNS1_3repE0EEENS1_30default_config_static_selectorELNS0_4arch9wavefront6targetE1EEEvT1_.kd
    .uniform_work_group_size: 1
    .uses_dynamic_stack: false
    .vgpr_count:     78
    .vgpr_spill_count: 0
    .wavefront_size: 64
  - .agpr_count:     0
    .args:
      - .offset:         0
        .size:           144
        .value_kind:     by_value
    .group_segment_fixed_size: 0
    .kernarg_segment_align: 8
    .kernarg_segment_size: 144
    .language:       OpenCL C
    .language_version:
      - 2
      - 0
    .max_flat_workgroup_size: 256
    .name:           _ZN7rocprim17ROCPRIM_400000_NS6detail17trampoline_kernelINS0_14default_configENS1_25partition_config_selectorILNS1_17partition_subalgoE0EiNS0_10empty_typeEbEEZZNS1_14partition_implILS5_0ELb0ES3_jN6thrust23THRUST_200600_302600_NS6detail15normal_iteratorINSA_10device_ptrIiEEEEPS6_SG_NS0_5tupleIJSF_NSA_16discard_iteratorINSA_11use_defaultEEEEEENSH_IJSG_SG_EEES6_PlJ7is_evenIiEEEE10hipError_tPvRmT3_T4_T5_T6_T7_T9_mT8_P12ihipStream_tbDpT10_ENKUlT_T0_E_clISt17integral_constantIbLb0EES18_IbLb1EEEEDaS14_S15_EUlS14_E_NS1_11comp_targetILNS1_3genE4ELNS1_11target_archE910ELNS1_3gpuE8ELNS1_3repE0EEENS1_30default_config_static_selectorELNS0_4arch9wavefront6targetE1EEEvT1_
    .private_segment_fixed_size: 0
    .sgpr_count:     6
    .sgpr_spill_count: 0
    .symbol:         _ZN7rocprim17ROCPRIM_400000_NS6detail17trampoline_kernelINS0_14default_configENS1_25partition_config_selectorILNS1_17partition_subalgoE0EiNS0_10empty_typeEbEEZZNS1_14partition_implILS5_0ELb0ES3_jN6thrust23THRUST_200600_302600_NS6detail15normal_iteratorINSA_10device_ptrIiEEEEPS6_SG_NS0_5tupleIJSF_NSA_16discard_iteratorINSA_11use_defaultEEEEEENSH_IJSG_SG_EEES6_PlJ7is_evenIiEEEE10hipError_tPvRmT3_T4_T5_T6_T7_T9_mT8_P12ihipStream_tbDpT10_ENKUlT_T0_E_clISt17integral_constantIbLb0EES18_IbLb1EEEEDaS14_S15_EUlS14_E_NS1_11comp_targetILNS1_3genE4ELNS1_11target_archE910ELNS1_3gpuE8ELNS1_3repE0EEENS1_30default_config_static_selectorELNS0_4arch9wavefront6targetE1EEEvT1_.kd
    .uniform_work_group_size: 1
    .uses_dynamic_stack: false
    .vgpr_count:     0
    .vgpr_spill_count: 0
    .wavefront_size: 64
  - .agpr_count:     0
    .args:
      - .offset:         0
        .size:           144
        .value_kind:     by_value
    .group_segment_fixed_size: 0
    .kernarg_segment_align: 8
    .kernarg_segment_size: 144
    .language:       OpenCL C
    .language_version:
      - 2
      - 0
    .max_flat_workgroup_size: 256
    .name:           _ZN7rocprim17ROCPRIM_400000_NS6detail17trampoline_kernelINS0_14default_configENS1_25partition_config_selectorILNS1_17partition_subalgoE0EiNS0_10empty_typeEbEEZZNS1_14partition_implILS5_0ELb0ES3_jN6thrust23THRUST_200600_302600_NS6detail15normal_iteratorINSA_10device_ptrIiEEEEPS6_SG_NS0_5tupleIJSF_NSA_16discard_iteratorINSA_11use_defaultEEEEEENSH_IJSG_SG_EEES6_PlJ7is_evenIiEEEE10hipError_tPvRmT3_T4_T5_T6_T7_T9_mT8_P12ihipStream_tbDpT10_ENKUlT_T0_E_clISt17integral_constantIbLb0EES18_IbLb1EEEEDaS14_S15_EUlS14_E_NS1_11comp_targetILNS1_3genE3ELNS1_11target_archE908ELNS1_3gpuE7ELNS1_3repE0EEENS1_30default_config_static_selectorELNS0_4arch9wavefront6targetE1EEEvT1_
    .private_segment_fixed_size: 0
    .sgpr_count:     6
    .sgpr_spill_count: 0
    .symbol:         _ZN7rocprim17ROCPRIM_400000_NS6detail17trampoline_kernelINS0_14default_configENS1_25partition_config_selectorILNS1_17partition_subalgoE0EiNS0_10empty_typeEbEEZZNS1_14partition_implILS5_0ELb0ES3_jN6thrust23THRUST_200600_302600_NS6detail15normal_iteratorINSA_10device_ptrIiEEEEPS6_SG_NS0_5tupleIJSF_NSA_16discard_iteratorINSA_11use_defaultEEEEEENSH_IJSG_SG_EEES6_PlJ7is_evenIiEEEE10hipError_tPvRmT3_T4_T5_T6_T7_T9_mT8_P12ihipStream_tbDpT10_ENKUlT_T0_E_clISt17integral_constantIbLb0EES18_IbLb1EEEEDaS14_S15_EUlS14_E_NS1_11comp_targetILNS1_3genE3ELNS1_11target_archE908ELNS1_3gpuE7ELNS1_3repE0EEENS1_30default_config_static_selectorELNS0_4arch9wavefront6targetE1EEEvT1_.kd
    .uniform_work_group_size: 1
    .uses_dynamic_stack: false
    .vgpr_count:     0
    .vgpr_spill_count: 0
    .wavefront_size: 64
  - .agpr_count:     0
    .args:
      - .offset:         0
        .size:           144
        .value_kind:     by_value
    .group_segment_fixed_size: 0
    .kernarg_segment_align: 8
    .kernarg_segment_size: 144
    .language:       OpenCL C
    .language_version:
      - 2
      - 0
    .max_flat_workgroup_size: 192
    .name:           _ZN7rocprim17ROCPRIM_400000_NS6detail17trampoline_kernelINS0_14default_configENS1_25partition_config_selectorILNS1_17partition_subalgoE0EiNS0_10empty_typeEbEEZZNS1_14partition_implILS5_0ELb0ES3_jN6thrust23THRUST_200600_302600_NS6detail15normal_iteratorINSA_10device_ptrIiEEEEPS6_SG_NS0_5tupleIJSF_NSA_16discard_iteratorINSA_11use_defaultEEEEEENSH_IJSG_SG_EEES6_PlJ7is_evenIiEEEE10hipError_tPvRmT3_T4_T5_T6_T7_T9_mT8_P12ihipStream_tbDpT10_ENKUlT_T0_E_clISt17integral_constantIbLb0EES18_IbLb1EEEEDaS14_S15_EUlS14_E_NS1_11comp_targetILNS1_3genE2ELNS1_11target_archE906ELNS1_3gpuE6ELNS1_3repE0EEENS1_30default_config_static_selectorELNS0_4arch9wavefront6targetE1EEEvT1_
    .private_segment_fixed_size: 0
    .sgpr_count:     6
    .sgpr_spill_count: 0
    .symbol:         _ZN7rocprim17ROCPRIM_400000_NS6detail17trampoline_kernelINS0_14default_configENS1_25partition_config_selectorILNS1_17partition_subalgoE0EiNS0_10empty_typeEbEEZZNS1_14partition_implILS5_0ELb0ES3_jN6thrust23THRUST_200600_302600_NS6detail15normal_iteratorINSA_10device_ptrIiEEEEPS6_SG_NS0_5tupleIJSF_NSA_16discard_iteratorINSA_11use_defaultEEEEEENSH_IJSG_SG_EEES6_PlJ7is_evenIiEEEE10hipError_tPvRmT3_T4_T5_T6_T7_T9_mT8_P12ihipStream_tbDpT10_ENKUlT_T0_E_clISt17integral_constantIbLb0EES18_IbLb1EEEEDaS14_S15_EUlS14_E_NS1_11comp_targetILNS1_3genE2ELNS1_11target_archE906ELNS1_3gpuE6ELNS1_3repE0EEENS1_30default_config_static_selectorELNS0_4arch9wavefront6targetE1EEEvT1_.kd
    .uniform_work_group_size: 1
    .uses_dynamic_stack: false
    .vgpr_count:     0
    .vgpr_spill_count: 0
    .wavefront_size: 64
  - .agpr_count:     0
    .args:
      - .offset:         0
        .size:           144
        .value_kind:     by_value
    .group_segment_fixed_size: 0
    .kernarg_segment_align: 8
    .kernarg_segment_size: 144
    .language:       OpenCL C
    .language_version:
      - 2
      - 0
    .max_flat_workgroup_size: 512
    .name:           _ZN7rocprim17ROCPRIM_400000_NS6detail17trampoline_kernelINS0_14default_configENS1_25partition_config_selectorILNS1_17partition_subalgoE0EiNS0_10empty_typeEbEEZZNS1_14partition_implILS5_0ELb0ES3_jN6thrust23THRUST_200600_302600_NS6detail15normal_iteratorINSA_10device_ptrIiEEEEPS6_SG_NS0_5tupleIJSF_NSA_16discard_iteratorINSA_11use_defaultEEEEEENSH_IJSG_SG_EEES6_PlJ7is_evenIiEEEE10hipError_tPvRmT3_T4_T5_T6_T7_T9_mT8_P12ihipStream_tbDpT10_ENKUlT_T0_E_clISt17integral_constantIbLb0EES18_IbLb1EEEEDaS14_S15_EUlS14_E_NS1_11comp_targetILNS1_3genE10ELNS1_11target_archE1200ELNS1_3gpuE4ELNS1_3repE0EEENS1_30default_config_static_selectorELNS0_4arch9wavefront6targetE1EEEvT1_
    .private_segment_fixed_size: 0
    .sgpr_count:     6
    .sgpr_spill_count: 0
    .symbol:         _ZN7rocprim17ROCPRIM_400000_NS6detail17trampoline_kernelINS0_14default_configENS1_25partition_config_selectorILNS1_17partition_subalgoE0EiNS0_10empty_typeEbEEZZNS1_14partition_implILS5_0ELb0ES3_jN6thrust23THRUST_200600_302600_NS6detail15normal_iteratorINSA_10device_ptrIiEEEEPS6_SG_NS0_5tupleIJSF_NSA_16discard_iteratorINSA_11use_defaultEEEEEENSH_IJSG_SG_EEES6_PlJ7is_evenIiEEEE10hipError_tPvRmT3_T4_T5_T6_T7_T9_mT8_P12ihipStream_tbDpT10_ENKUlT_T0_E_clISt17integral_constantIbLb0EES18_IbLb1EEEEDaS14_S15_EUlS14_E_NS1_11comp_targetILNS1_3genE10ELNS1_11target_archE1200ELNS1_3gpuE4ELNS1_3repE0EEENS1_30default_config_static_selectorELNS0_4arch9wavefront6targetE1EEEvT1_.kd
    .uniform_work_group_size: 1
    .uses_dynamic_stack: false
    .vgpr_count:     0
    .vgpr_spill_count: 0
    .wavefront_size: 64
  - .agpr_count:     0
    .args:
      - .offset:         0
        .size:           144
        .value_kind:     by_value
    .group_segment_fixed_size: 0
    .kernarg_segment_align: 8
    .kernarg_segment_size: 144
    .language:       OpenCL C
    .language_version:
      - 2
      - 0
    .max_flat_workgroup_size: 128
    .name:           _ZN7rocprim17ROCPRIM_400000_NS6detail17trampoline_kernelINS0_14default_configENS1_25partition_config_selectorILNS1_17partition_subalgoE0EiNS0_10empty_typeEbEEZZNS1_14partition_implILS5_0ELb0ES3_jN6thrust23THRUST_200600_302600_NS6detail15normal_iteratorINSA_10device_ptrIiEEEEPS6_SG_NS0_5tupleIJSF_NSA_16discard_iteratorINSA_11use_defaultEEEEEENSH_IJSG_SG_EEES6_PlJ7is_evenIiEEEE10hipError_tPvRmT3_T4_T5_T6_T7_T9_mT8_P12ihipStream_tbDpT10_ENKUlT_T0_E_clISt17integral_constantIbLb0EES18_IbLb1EEEEDaS14_S15_EUlS14_E_NS1_11comp_targetILNS1_3genE9ELNS1_11target_archE1100ELNS1_3gpuE3ELNS1_3repE0EEENS1_30default_config_static_selectorELNS0_4arch9wavefront6targetE1EEEvT1_
    .private_segment_fixed_size: 0
    .sgpr_count:     6
    .sgpr_spill_count: 0
    .symbol:         _ZN7rocprim17ROCPRIM_400000_NS6detail17trampoline_kernelINS0_14default_configENS1_25partition_config_selectorILNS1_17partition_subalgoE0EiNS0_10empty_typeEbEEZZNS1_14partition_implILS5_0ELb0ES3_jN6thrust23THRUST_200600_302600_NS6detail15normal_iteratorINSA_10device_ptrIiEEEEPS6_SG_NS0_5tupleIJSF_NSA_16discard_iteratorINSA_11use_defaultEEEEEENSH_IJSG_SG_EEES6_PlJ7is_evenIiEEEE10hipError_tPvRmT3_T4_T5_T6_T7_T9_mT8_P12ihipStream_tbDpT10_ENKUlT_T0_E_clISt17integral_constantIbLb0EES18_IbLb1EEEEDaS14_S15_EUlS14_E_NS1_11comp_targetILNS1_3genE9ELNS1_11target_archE1100ELNS1_3gpuE3ELNS1_3repE0EEENS1_30default_config_static_selectorELNS0_4arch9wavefront6targetE1EEEvT1_.kd
    .uniform_work_group_size: 1
    .uses_dynamic_stack: false
    .vgpr_count:     0
    .vgpr_spill_count: 0
    .wavefront_size: 64
  - .agpr_count:     0
    .args:
      - .offset:         0
        .size:           144
        .value_kind:     by_value
    .group_segment_fixed_size: 0
    .kernarg_segment_align: 8
    .kernarg_segment_size: 144
    .language:       OpenCL C
    .language_version:
      - 2
      - 0
    .max_flat_workgroup_size: 512
    .name:           _ZN7rocprim17ROCPRIM_400000_NS6detail17trampoline_kernelINS0_14default_configENS1_25partition_config_selectorILNS1_17partition_subalgoE0EiNS0_10empty_typeEbEEZZNS1_14partition_implILS5_0ELb0ES3_jN6thrust23THRUST_200600_302600_NS6detail15normal_iteratorINSA_10device_ptrIiEEEEPS6_SG_NS0_5tupleIJSF_NSA_16discard_iteratorINSA_11use_defaultEEEEEENSH_IJSG_SG_EEES6_PlJ7is_evenIiEEEE10hipError_tPvRmT3_T4_T5_T6_T7_T9_mT8_P12ihipStream_tbDpT10_ENKUlT_T0_E_clISt17integral_constantIbLb0EES18_IbLb1EEEEDaS14_S15_EUlS14_E_NS1_11comp_targetILNS1_3genE8ELNS1_11target_archE1030ELNS1_3gpuE2ELNS1_3repE0EEENS1_30default_config_static_selectorELNS0_4arch9wavefront6targetE1EEEvT1_
    .private_segment_fixed_size: 0
    .sgpr_count:     6
    .sgpr_spill_count: 0
    .symbol:         _ZN7rocprim17ROCPRIM_400000_NS6detail17trampoline_kernelINS0_14default_configENS1_25partition_config_selectorILNS1_17partition_subalgoE0EiNS0_10empty_typeEbEEZZNS1_14partition_implILS5_0ELb0ES3_jN6thrust23THRUST_200600_302600_NS6detail15normal_iteratorINSA_10device_ptrIiEEEEPS6_SG_NS0_5tupleIJSF_NSA_16discard_iteratorINSA_11use_defaultEEEEEENSH_IJSG_SG_EEES6_PlJ7is_evenIiEEEE10hipError_tPvRmT3_T4_T5_T6_T7_T9_mT8_P12ihipStream_tbDpT10_ENKUlT_T0_E_clISt17integral_constantIbLb0EES18_IbLb1EEEEDaS14_S15_EUlS14_E_NS1_11comp_targetILNS1_3genE8ELNS1_11target_archE1030ELNS1_3gpuE2ELNS1_3repE0EEENS1_30default_config_static_selectorELNS0_4arch9wavefront6targetE1EEEvT1_.kd
    .uniform_work_group_size: 1
    .uses_dynamic_stack: false
    .vgpr_count:     0
    .vgpr_spill_count: 0
    .wavefront_size: 64
  - .agpr_count:     0
    .args:
      - .offset:         0
        .size:           128
        .value_kind:     by_value
    .group_segment_fixed_size: 0
    .kernarg_segment_align: 8
    .kernarg_segment_size: 128
    .language:       OpenCL C
    .language_version:
      - 2
      - 0
    .max_flat_workgroup_size: 256
    .name:           _ZN7rocprim17ROCPRIM_400000_NS6detail17trampoline_kernelINS0_14default_configENS1_25partition_config_selectorILNS1_17partition_subalgoE0EiNS0_10empty_typeEbEEZZNS1_14partition_implILS5_0ELb0ES3_jN6thrust23THRUST_200600_302600_NS6detail15normal_iteratorINSA_10device_ptrIiEEEEPS6_SG_NS0_5tupleIJNSA_16discard_iteratorINSA_11use_defaultEEESF_EEENSH_IJSG_SG_EEES6_PlJ7is_evenIiEEEE10hipError_tPvRmT3_T4_T5_T6_T7_T9_mT8_P12ihipStream_tbDpT10_ENKUlT_T0_E_clISt17integral_constantIbLb0EES19_EEDaS14_S15_EUlS14_E_NS1_11comp_targetILNS1_3genE0ELNS1_11target_archE4294967295ELNS1_3gpuE0ELNS1_3repE0EEENS1_30default_config_static_selectorELNS0_4arch9wavefront6targetE1EEEvT1_
    .private_segment_fixed_size: 0
    .sgpr_count:     6
    .sgpr_spill_count: 0
    .symbol:         _ZN7rocprim17ROCPRIM_400000_NS6detail17trampoline_kernelINS0_14default_configENS1_25partition_config_selectorILNS1_17partition_subalgoE0EiNS0_10empty_typeEbEEZZNS1_14partition_implILS5_0ELb0ES3_jN6thrust23THRUST_200600_302600_NS6detail15normal_iteratorINSA_10device_ptrIiEEEEPS6_SG_NS0_5tupleIJNSA_16discard_iteratorINSA_11use_defaultEEESF_EEENSH_IJSG_SG_EEES6_PlJ7is_evenIiEEEE10hipError_tPvRmT3_T4_T5_T6_T7_T9_mT8_P12ihipStream_tbDpT10_ENKUlT_T0_E_clISt17integral_constantIbLb0EES19_EEDaS14_S15_EUlS14_E_NS1_11comp_targetILNS1_3genE0ELNS1_11target_archE4294967295ELNS1_3gpuE0ELNS1_3repE0EEENS1_30default_config_static_selectorELNS0_4arch9wavefront6targetE1EEEvT1_.kd
    .uniform_work_group_size: 1
    .uses_dynamic_stack: false
    .vgpr_count:     0
    .vgpr_spill_count: 0
    .wavefront_size: 64
  - .agpr_count:     0
    .args:
      - .offset:         0
        .size:           128
        .value_kind:     by_value
    .group_segment_fixed_size: 30728
    .kernarg_segment_align: 8
    .kernarg_segment_size: 128
    .language:       OpenCL C
    .language_version:
      - 2
      - 0
    .max_flat_workgroup_size: 512
    .name:           _ZN7rocprim17ROCPRIM_400000_NS6detail17trampoline_kernelINS0_14default_configENS1_25partition_config_selectorILNS1_17partition_subalgoE0EiNS0_10empty_typeEbEEZZNS1_14partition_implILS5_0ELb0ES3_jN6thrust23THRUST_200600_302600_NS6detail15normal_iteratorINSA_10device_ptrIiEEEEPS6_SG_NS0_5tupleIJNSA_16discard_iteratorINSA_11use_defaultEEESF_EEENSH_IJSG_SG_EEES6_PlJ7is_evenIiEEEE10hipError_tPvRmT3_T4_T5_T6_T7_T9_mT8_P12ihipStream_tbDpT10_ENKUlT_T0_E_clISt17integral_constantIbLb0EES19_EEDaS14_S15_EUlS14_E_NS1_11comp_targetILNS1_3genE5ELNS1_11target_archE942ELNS1_3gpuE9ELNS1_3repE0EEENS1_30default_config_static_selectorELNS0_4arch9wavefront6targetE1EEEvT1_
    .private_segment_fixed_size: 0
    .sgpr_count:     50
    .sgpr_spill_count: 0
    .symbol:         _ZN7rocprim17ROCPRIM_400000_NS6detail17trampoline_kernelINS0_14default_configENS1_25partition_config_selectorILNS1_17partition_subalgoE0EiNS0_10empty_typeEbEEZZNS1_14partition_implILS5_0ELb0ES3_jN6thrust23THRUST_200600_302600_NS6detail15normal_iteratorINSA_10device_ptrIiEEEEPS6_SG_NS0_5tupleIJNSA_16discard_iteratorINSA_11use_defaultEEESF_EEENSH_IJSG_SG_EEES6_PlJ7is_evenIiEEEE10hipError_tPvRmT3_T4_T5_T6_T7_T9_mT8_P12ihipStream_tbDpT10_ENKUlT_T0_E_clISt17integral_constantIbLb0EES19_EEDaS14_S15_EUlS14_E_NS1_11comp_targetILNS1_3genE5ELNS1_11target_archE942ELNS1_3gpuE9ELNS1_3repE0EEENS1_30default_config_static_selectorELNS0_4arch9wavefront6targetE1EEEvT1_.kd
    .uniform_work_group_size: 1
    .uses_dynamic_stack: false
    .vgpr_count:     76
    .vgpr_spill_count: 0
    .wavefront_size: 64
  - .agpr_count:     0
    .args:
      - .offset:         0
        .size:           128
        .value_kind:     by_value
    .group_segment_fixed_size: 0
    .kernarg_segment_align: 8
    .kernarg_segment_size: 128
    .language:       OpenCL C
    .language_version:
      - 2
      - 0
    .max_flat_workgroup_size: 256
    .name:           _ZN7rocprim17ROCPRIM_400000_NS6detail17trampoline_kernelINS0_14default_configENS1_25partition_config_selectorILNS1_17partition_subalgoE0EiNS0_10empty_typeEbEEZZNS1_14partition_implILS5_0ELb0ES3_jN6thrust23THRUST_200600_302600_NS6detail15normal_iteratorINSA_10device_ptrIiEEEEPS6_SG_NS0_5tupleIJNSA_16discard_iteratorINSA_11use_defaultEEESF_EEENSH_IJSG_SG_EEES6_PlJ7is_evenIiEEEE10hipError_tPvRmT3_T4_T5_T6_T7_T9_mT8_P12ihipStream_tbDpT10_ENKUlT_T0_E_clISt17integral_constantIbLb0EES19_EEDaS14_S15_EUlS14_E_NS1_11comp_targetILNS1_3genE4ELNS1_11target_archE910ELNS1_3gpuE8ELNS1_3repE0EEENS1_30default_config_static_selectorELNS0_4arch9wavefront6targetE1EEEvT1_
    .private_segment_fixed_size: 0
    .sgpr_count:     6
    .sgpr_spill_count: 0
    .symbol:         _ZN7rocprim17ROCPRIM_400000_NS6detail17trampoline_kernelINS0_14default_configENS1_25partition_config_selectorILNS1_17partition_subalgoE0EiNS0_10empty_typeEbEEZZNS1_14partition_implILS5_0ELb0ES3_jN6thrust23THRUST_200600_302600_NS6detail15normal_iteratorINSA_10device_ptrIiEEEEPS6_SG_NS0_5tupleIJNSA_16discard_iteratorINSA_11use_defaultEEESF_EEENSH_IJSG_SG_EEES6_PlJ7is_evenIiEEEE10hipError_tPvRmT3_T4_T5_T6_T7_T9_mT8_P12ihipStream_tbDpT10_ENKUlT_T0_E_clISt17integral_constantIbLb0EES19_EEDaS14_S15_EUlS14_E_NS1_11comp_targetILNS1_3genE4ELNS1_11target_archE910ELNS1_3gpuE8ELNS1_3repE0EEENS1_30default_config_static_selectorELNS0_4arch9wavefront6targetE1EEEvT1_.kd
    .uniform_work_group_size: 1
    .uses_dynamic_stack: false
    .vgpr_count:     0
    .vgpr_spill_count: 0
    .wavefront_size: 64
  - .agpr_count:     0
    .args:
      - .offset:         0
        .size:           128
        .value_kind:     by_value
    .group_segment_fixed_size: 0
    .kernarg_segment_align: 8
    .kernarg_segment_size: 128
    .language:       OpenCL C
    .language_version:
      - 2
      - 0
    .max_flat_workgroup_size: 256
    .name:           _ZN7rocprim17ROCPRIM_400000_NS6detail17trampoline_kernelINS0_14default_configENS1_25partition_config_selectorILNS1_17partition_subalgoE0EiNS0_10empty_typeEbEEZZNS1_14partition_implILS5_0ELb0ES3_jN6thrust23THRUST_200600_302600_NS6detail15normal_iteratorINSA_10device_ptrIiEEEEPS6_SG_NS0_5tupleIJNSA_16discard_iteratorINSA_11use_defaultEEESF_EEENSH_IJSG_SG_EEES6_PlJ7is_evenIiEEEE10hipError_tPvRmT3_T4_T5_T6_T7_T9_mT8_P12ihipStream_tbDpT10_ENKUlT_T0_E_clISt17integral_constantIbLb0EES19_EEDaS14_S15_EUlS14_E_NS1_11comp_targetILNS1_3genE3ELNS1_11target_archE908ELNS1_3gpuE7ELNS1_3repE0EEENS1_30default_config_static_selectorELNS0_4arch9wavefront6targetE1EEEvT1_
    .private_segment_fixed_size: 0
    .sgpr_count:     6
    .sgpr_spill_count: 0
    .symbol:         _ZN7rocprim17ROCPRIM_400000_NS6detail17trampoline_kernelINS0_14default_configENS1_25partition_config_selectorILNS1_17partition_subalgoE0EiNS0_10empty_typeEbEEZZNS1_14partition_implILS5_0ELb0ES3_jN6thrust23THRUST_200600_302600_NS6detail15normal_iteratorINSA_10device_ptrIiEEEEPS6_SG_NS0_5tupleIJNSA_16discard_iteratorINSA_11use_defaultEEESF_EEENSH_IJSG_SG_EEES6_PlJ7is_evenIiEEEE10hipError_tPvRmT3_T4_T5_T6_T7_T9_mT8_P12ihipStream_tbDpT10_ENKUlT_T0_E_clISt17integral_constantIbLb0EES19_EEDaS14_S15_EUlS14_E_NS1_11comp_targetILNS1_3genE3ELNS1_11target_archE908ELNS1_3gpuE7ELNS1_3repE0EEENS1_30default_config_static_selectorELNS0_4arch9wavefront6targetE1EEEvT1_.kd
    .uniform_work_group_size: 1
    .uses_dynamic_stack: false
    .vgpr_count:     0
    .vgpr_spill_count: 0
    .wavefront_size: 64
  - .agpr_count:     0
    .args:
      - .offset:         0
        .size:           128
        .value_kind:     by_value
    .group_segment_fixed_size: 0
    .kernarg_segment_align: 8
    .kernarg_segment_size: 128
    .language:       OpenCL C
    .language_version:
      - 2
      - 0
    .max_flat_workgroup_size: 192
    .name:           _ZN7rocprim17ROCPRIM_400000_NS6detail17trampoline_kernelINS0_14default_configENS1_25partition_config_selectorILNS1_17partition_subalgoE0EiNS0_10empty_typeEbEEZZNS1_14partition_implILS5_0ELb0ES3_jN6thrust23THRUST_200600_302600_NS6detail15normal_iteratorINSA_10device_ptrIiEEEEPS6_SG_NS0_5tupleIJNSA_16discard_iteratorINSA_11use_defaultEEESF_EEENSH_IJSG_SG_EEES6_PlJ7is_evenIiEEEE10hipError_tPvRmT3_T4_T5_T6_T7_T9_mT8_P12ihipStream_tbDpT10_ENKUlT_T0_E_clISt17integral_constantIbLb0EES19_EEDaS14_S15_EUlS14_E_NS1_11comp_targetILNS1_3genE2ELNS1_11target_archE906ELNS1_3gpuE6ELNS1_3repE0EEENS1_30default_config_static_selectorELNS0_4arch9wavefront6targetE1EEEvT1_
    .private_segment_fixed_size: 0
    .sgpr_count:     6
    .sgpr_spill_count: 0
    .symbol:         _ZN7rocprim17ROCPRIM_400000_NS6detail17trampoline_kernelINS0_14default_configENS1_25partition_config_selectorILNS1_17partition_subalgoE0EiNS0_10empty_typeEbEEZZNS1_14partition_implILS5_0ELb0ES3_jN6thrust23THRUST_200600_302600_NS6detail15normal_iteratorINSA_10device_ptrIiEEEEPS6_SG_NS0_5tupleIJNSA_16discard_iteratorINSA_11use_defaultEEESF_EEENSH_IJSG_SG_EEES6_PlJ7is_evenIiEEEE10hipError_tPvRmT3_T4_T5_T6_T7_T9_mT8_P12ihipStream_tbDpT10_ENKUlT_T0_E_clISt17integral_constantIbLb0EES19_EEDaS14_S15_EUlS14_E_NS1_11comp_targetILNS1_3genE2ELNS1_11target_archE906ELNS1_3gpuE6ELNS1_3repE0EEENS1_30default_config_static_selectorELNS0_4arch9wavefront6targetE1EEEvT1_.kd
    .uniform_work_group_size: 1
    .uses_dynamic_stack: false
    .vgpr_count:     0
    .vgpr_spill_count: 0
    .wavefront_size: 64
  - .agpr_count:     0
    .args:
      - .offset:         0
        .size:           128
        .value_kind:     by_value
    .group_segment_fixed_size: 0
    .kernarg_segment_align: 8
    .kernarg_segment_size: 128
    .language:       OpenCL C
    .language_version:
      - 2
      - 0
    .max_flat_workgroup_size: 512
    .name:           _ZN7rocprim17ROCPRIM_400000_NS6detail17trampoline_kernelINS0_14default_configENS1_25partition_config_selectorILNS1_17partition_subalgoE0EiNS0_10empty_typeEbEEZZNS1_14partition_implILS5_0ELb0ES3_jN6thrust23THRUST_200600_302600_NS6detail15normal_iteratorINSA_10device_ptrIiEEEEPS6_SG_NS0_5tupleIJNSA_16discard_iteratorINSA_11use_defaultEEESF_EEENSH_IJSG_SG_EEES6_PlJ7is_evenIiEEEE10hipError_tPvRmT3_T4_T5_T6_T7_T9_mT8_P12ihipStream_tbDpT10_ENKUlT_T0_E_clISt17integral_constantIbLb0EES19_EEDaS14_S15_EUlS14_E_NS1_11comp_targetILNS1_3genE10ELNS1_11target_archE1200ELNS1_3gpuE4ELNS1_3repE0EEENS1_30default_config_static_selectorELNS0_4arch9wavefront6targetE1EEEvT1_
    .private_segment_fixed_size: 0
    .sgpr_count:     6
    .sgpr_spill_count: 0
    .symbol:         _ZN7rocprim17ROCPRIM_400000_NS6detail17trampoline_kernelINS0_14default_configENS1_25partition_config_selectorILNS1_17partition_subalgoE0EiNS0_10empty_typeEbEEZZNS1_14partition_implILS5_0ELb0ES3_jN6thrust23THRUST_200600_302600_NS6detail15normal_iteratorINSA_10device_ptrIiEEEEPS6_SG_NS0_5tupleIJNSA_16discard_iteratorINSA_11use_defaultEEESF_EEENSH_IJSG_SG_EEES6_PlJ7is_evenIiEEEE10hipError_tPvRmT3_T4_T5_T6_T7_T9_mT8_P12ihipStream_tbDpT10_ENKUlT_T0_E_clISt17integral_constantIbLb0EES19_EEDaS14_S15_EUlS14_E_NS1_11comp_targetILNS1_3genE10ELNS1_11target_archE1200ELNS1_3gpuE4ELNS1_3repE0EEENS1_30default_config_static_selectorELNS0_4arch9wavefront6targetE1EEEvT1_.kd
    .uniform_work_group_size: 1
    .uses_dynamic_stack: false
    .vgpr_count:     0
    .vgpr_spill_count: 0
    .wavefront_size: 64
  - .agpr_count:     0
    .args:
      - .offset:         0
        .size:           128
        .value_kind:     by_value
    .group_segment_fixed_size: 0
    .kernarg_segment_align: 8
    .kernarg_segment_size: 128
    .language:       OpenCL C
    .language_version:
      - 2
      - 0
    .max_flat_workgroup_size: 128
    .name:           _ZN7rocprim17ROCPRIM_400000_NS6detail17trampoline_kernelINS0_14default_configENS1_25partition_config_selectorILNS1_17partition_subalgoE0EiNS0_10empty_typeEbEEZZNS1_14partition_implILS5_0ELb0ES3_jN6thrust23THRUST_200600_302600_NS6detail15normal_iteratorINSA_10device_ptrIiEEEEPS6_SG_NS0_5tupleIJNSA_16discard_iteratorINSA_11use_defaultEEESF_EEENSH_IJSG_SG_EEES6_PlJ7is_evenIiEEEE10hipError_tPvRmT3_T4_T5_T6_T7_T9_mT8_P12ihipStream_tbDpT10_ENKUlT_T0_E_clISt17integral_constantIbLb0EES19_EEDaS14_S15_EUlS14_E_NS1_11comp_targetILNS1_3genE9ELNS1_11target_archE1100ELNS1_3gpuE3ELNS1_3repE0EEENS1_30default_config_static_selectorELNS0_4arch9wavefront6targetE1EEEvT1_
    .private_segment_fixed_size: 0
    .sgpr_count:     6
    .sgpr_spill_count: 0
    .symbol:         _ZN7rocprim17ROCPRIM_400000_NS6detail17trampoline_kernelINS0_14default_configENS1_25partition_config_selectorILNS1_17partition_subalgoE0EiNS0_10empty_typeEbEEZZNS1_14partition_implILS5_0ELb0ES3_jN6thrust23THRUST_200600_302600_NS6detail15normal_iteratorINSA_10device_ptrIiEEEEPS6_SG_NS0_5tupleIJNSA_16discard_iteratorINSA_11use_defaultEEESF_EEENSH_IJSG_SG_EEES6_PlJ7is_evenIiEEEE10hipError_tPvRmT3_T4_T5_T6_T7_T9_mT8_P12ihipStream_tbDpT10_ENKUlT_T0_E_clISt17integral_constantIbLb0EES19_EEDaS14_S15_EUlS14_E_NS1_11comp_targetILNS1_3genE9ELNS1_11target_archE1100ELNS1_3gpuE3ELNS1_3repE0EEENS1_30default_config_static_selectorELNS0_4arch9wavefront6targetE1EEEvT1_.kd
    .uniform_work_group_size: 1
    .uses_dynamic_stack: false
    .vgpr_count:     0
    .vgpr_spill_count: 0
    .wavefront_size: 64
  - .agpr_count:     0
    .args:
      - .offset:         0
        .size:           128
        .value_kind:     by_value
    .group_segment_fixed_size: 0
    .kernarg_segment_align: 8
    .kernarg_segment_size: 128
    .language:       OpenCL C
    .language_version:
      - 2
      - 0
    .max_flat_workgroup_size: 512
    .name:           _ZN7rocprim17ROCPRIM_400000_NS6detail17trampoline_kernelINS0_14default_configENS1_25partition_config_selectorILNS1_17partition_subalgoE0EiNS0_10empty_typeEbEEZZNS1_14partition_implILS5_0ELb0ES3_jN6thrust23THRUST_200600_302600_NS6detail15normal_iteratorINSA_10device_ptrIiEEEEPS6_SG_NS0_5tupleIJNSA_16discard_iteratorINSA_11use_defaultEEESF_EEENSH_IJSG_SG_EEES6_PlJ7is_evenIiEEEE10hipError_tPvRmT3_T4_T5_T6_T7_T9_mT8_P12ihipStream_tbDpT10_ENKUlT_T0_E_clISt17integral_constantIbLb0EES19_EEDaS14_S15_EUlS14_E_NS1_11comp_targetILNS1_3genE8ELNS1_11target_archE1030ELNS1_3gpuE2ELNS1_3repE0EEENS1_30default_config_static_selectorELNS0_4arch9wavefront6targetE1EEEvT1_
    .private_segment_fixed_size: 0
    .sgpr_count:     6
    .sgpr_spill_count: 0
    .symbol:         _ZN7rocprim17ROCPRIM_400000_NS6detail17trampoline_kernelINS0_14default_configENS1_25partition_config_selectorILNS1_17partition_subalgoE0EiNS0_10empty_typeEbEEZZNS1_14partition_implILS5_0ELb0ES3_jN6thrust23THRUST_200600_302600_NS6detail15normal_iteratorINSA_10device_ptrIiEEEEPS6_SG_NS0_5tupleIJNSA_16discard_iteratorINSA_11use_defaultEEESF_EEENSH_IJSG_SG_EEES6_PlJ7is_evenIiEEEE10hipError_tPvRmT3_T4_T5_T6_T7_T9_mT8_P12ihipStream_tbDpT10_ENKUlT_T0_E_clISt17integral_constantIbLb0EES19_EEDaS14_S15_EUlS14_E_NS1_11comp_targetILNS1_3genE8ELNS1_11target_archE1030ELNS1_3gpuE2ELNS1_3repE0EEENS1_30default_config_static_selectorELNS0_4arch9wavefront6targetE1EEEvT1_.kd
    .uniform_work_group_size: 1
    .uses_dynamic_stack: false
    .vgpr_count:     0
    .vgpr_spill_count: 0
    .wavefront_size: 64
  - .agpr_count:     0
    .args:
      - .offset:         0
        .size:           144
        .value_kind:     by_value
    .group_segment_fixed_size: 0
    .kernarg_segment_align: 8
    .kernarg_segment_size: 144
    .language:       OpenCL C
    .language_version:
      - 2
      - 0
    .max_flat_workgroup_size: 256
    .name:           _ZN7rocprim17ROCPRIM_400000_NS6detail17trampoline_kernelINS0_14default_configENS1_25partition_config_selectorILNS1_17partition_subalgoE0EiNS0_10empty_typeEbEEZZNS1_14partition_implILS5_0ELb0ES3_jN6thrust23THRUST_200600_302600_NS6detail15normal_iteratorINSA_10device_ptrIiEEEEPS6_SG_NS0_5tupleIJNSA_16discard_iteratorINSA_11use_defaultEEESF_EEENSH_IJSG_SG_EEES6_PlJ7is_evenIiEEEE10hipError_tPvRmT3_T4_T5_T6_T7_T9_mT8_P12ihipStream_tbDpT10_ENKUlT_T0_E_clISt17integral_constantIbLb1EES19_EEDaS14_S15_EUlS14_E_NS1_11comp_targetILNS1_3genE0ELNS1_11target_archE4294967295ELNS1_3gpuE0ELNS1_3repE0EEENS1_30default_config_static_selectorELNS0_4arch9wavefront6targetE1EEEvT1_
    .private_segment_fixed_size: 0
    .sgpr_count:     6
    .sgpr_spill_count: 0
    .symbol:         _ZN7rocprim17ROCPRIM_400000_NS6detail17trampoline_kernelINS0_14default_configENS1_25partition_config_selectorILNS1_17partition_subalgoE0EiNS0_10empty_typeEbEEZZNS1_14partition_implILS5_0ELb0ES3_jN6thrust23THRUST_200600_302600_NS6detail15normal_iteratorINSA_10device_ptrIiEEEEPS6_SG_NS0_5tupleIJNSA_16discard_iteratorINSA_11use_defaultEEESF_EEENSH_IJSG_SG_EEES6_PlJ7is_evenIiEEEE10hipError_tPvRmT3_T4_T5_T6_T7_T9_mT8_P12ihipStream_tbDpT10_ENKUlT_T0_E_clISt17integral_constantIbLb1EES19_EEDaS14_S15_EUlS14_E_NS1_11comp_targetILNS1_3genE0ELNS1_11target_archE4294967295ELNS1_3gpuE0ELNS1_3repE0EEENS1_30default_config_static_selectorELNS0_4arch9wavefront6targetE1EEEvT1_.kd
    .uniform_work_group_size: 1
    .uses_dynamic_stack: false
    .vgpr_count:     0
    .vgpr_spill_count: 0
    .wavefront_size: 64
  - .agpr_count:     0
    .args:
      - .offset:         0
        .size:           144
        .value_kind:     by_value
    .group_segment_fixed_size: 30728
    .kernarg_segment_align: 8
    .kernarg_segment_size: 144
    .language:       OpenCL C
    .language_version:
      - 2
      - 0
    .max_flat_workgroup_size: 512
    .name:           _ZN7rocprim17ROCPRIM_400000_NS6detail17trampoline_kernelINS0_14default_configENS1_25partition_config_selectorILNS1_17partition_subalgoE0EiNS0_10empty_typeEbEEZZNS1_14partition_implILS5_0ELb0ES3_jN6thrust23THRUST_200600_302600_NS6detail15normal_iteratorINSA_10device_ptrIiEEEEPS6_SG_NS0_5tupleIJNSA_16discard_iteratorINSA_11use_defaultEEESF_EEENSH_IJSG_SG_EEES6_PlJ7is_evenIiEEEE10hipError_tPvRmT3_T4_T5_T6_T7_T9_mT8_P12ihipStream_tbDpT10_ENKUlT_T0_E_clISt17integral_constantIbLb1EES19_EEDaS14_S15_EUlS14_E_NS1_11comp_targetILNS1_3genE5ELNS1_11target_archE942ELNS1_3gpuE9ELNS1_3repE0EEENS1_30default_config_static_selectorELNS0_4arch9wavefront6targetE1EEEvT1_
    .private_segment_fixed_size: 0
    .sgpr_count:     48
    .sgpr_spill_count: 0
    .symbol:         _ZN7rocprim17ROCPRIM_400000_NS6detail17trampoline_kernelINS0_14default_configENS1_25partition_config_selectorILNS1_17partition_subalgoE0EiNS0_10empty_typeEbEEZZNS1_14partition_implILS5_0ELb0ES3_jN6thrust23THRUST_200600_302600_NS6detail15normal_iteratorINSA_10device_ptrIiEEEEPS6_SG_NS0_5tupleIJNSA_16discard_iteratorINSA_11use_defaultEEESF_EEENSH_IJSG_SG_EEES6_PlJ7is_evenIiEEEE10hipError_tPvRmT3_T4_T5_T6_T7_T9_mT8_P12ihipStream_tbDpT10_ENKUlT_T0_E_clISt17integral_constantIbLb1EES19_EEDaS14_S15_EUlS14_E_NS1_11comp_targetILNS1_3genE5ELNS1_11target_archE942ELNS1_3gpuE9ELNS1_3repE0EEENS1_30default_config_static_selectorELNS0_4arch9wavefront6targetE1EEEvT1_.kd
    .uniform_work_group_size: 1
    .uses_dynamic_stack: false
    .vgpr_count:     80
    .vgpr_spill_count: 0
    .wavefront_size: 64
  - .agpr_count:     0
    .args:
      - .offset:         0
        .size:           144
        .value_kind:     by_value
    .group_segment_fixed_size: 0
    .kernarg_segment_align: 8
    .kernarg_segment_size: 144
    .language:       OpenCL C
    .language_version:
      - 2
      - 0
    .max_flat_workgroup_size: 256
    .name:           _ZN7rocprim17ROCPRIM_400000_NS6detail17trampoline_kernelINS0_14default_configENS1_25partition_config_selectorILNS1_17partition_subalgoE0EiNS0_10empty_typeEbEEZZNS1_14partition_implILS5_0ELb0ES3_jN6thrust23THRUST_200600_302600_NS6detail15normal_iteratorINSA_10device_ptrIiEEEEPS6_SG_NS0_5tupleIJNSA_16discard_iteratorINSA_11use_defaultEEESF_EEENSH_IJSG_SG_EEES6_PlJ7is_evenIiEEEE10hipError_tPvRmT3_T4_T5_T6_T7_T9_mT8_P12ihipStream_tbDpT10_ENKUlT_T0_E_clISt17integral_constantIbLb1EES19_EEDaS14_S15_EUlS14_E_NS1_11comp_targetILNS1_3genE4ELNS1_11target_archE910ELNS1_3gpuE8ELNS1_3repE0EEENS1_30default_config_static_selectorELNS0_4arch9wavefront6targetE1EEEvT1_
    .private_segment_fixed_size: 0
    .sgpr_count:     6
    .sgpr_spill_count: 0
    .symbol:         _ZN7rocprim17ROCPRIM_400000_NS6detail17trampoline_kernelINS0_14default_configENS1_25partition_config_selectorILNS1_17partition_subalgoE0EiNS0_10empty_typeEbEEZZNS1_14partition_implILS5_0ELb0ES3_jN6thrust23THRUST_200600_302600_NS6detail15normal_iteratorINSA_10device_ptrIiEEEEPS6_SG_NS0_5tupleIJNSA_16discard_iteratorINSA_11use_defaultEEESF_EEENSH_IJSG_SG_EEES6_PlJ7is_evenIiEEEE10hipError_tPvRmT3_T4_T5_T6_T7_T9_mT8_P12ihipStream_tbDpT10_ENKUlT_T0_E_clISt17integral_constantIbLb1EES19_EEDaS14_S15_EUlS14_E_NS1_11comp_targetILNS1_3genE4ELNS1_11target_archE910ELNS1_3gpuE8ELNS1_3repE0EEENS1_30default_config_static_selectorELNS0_4arch9wavefront6targetE1EEEvT1_.kd
    .uniform_work_group_size: 1
    .uses_dynamic_stack: false
    .vgpr_count:     0
    .vgpr_spill_count: 0
    .wavefront_size: 64
  - .agpr_count:     0
    .args:
      - .offset:         0
        .size:           144
        .value_kind:     by_value
    .group_segment_fixed_size: 0
    .kernarg_segment_align: 8
    .kernarg_segment_size: 144
    .language:       OpenCL C
    .language_version:
      - 2
      - 0
    .max_flat_workgroup_size: 256
    .name:           _ZN7rocprim17ROCPRIM_400000_NS6detail17trampoline_kernelINS0_14default_configENS1_25partition_config_selectorILNS1_17partition_subalgoE0EiNS0_10empty_typeEbEEZZNS1_14partition_implILS5_0ELb0ES3_jN6thrust23THRUST_200600_302600_NS6detail15normal_iteratorINSA_10device_ptrIiEEEEPS6_SG_NS0_5tupleIJNSA_16discard_iteratorINSA_11use_defaultEEESF_EEENSH_IJSG_SG_EEES6_PlJ7is_evenIiEEEE10hipError_tPvRmT3_T4_T5_T6_T7_T9_mT8_P12ihipStream_tbDpT10_ENKUlT_T0_E_clISt17integral_constantIbLb1EES19_EEDaS14_S15_EUlS14_E_NS1_11comp_targetILNS1_3genE3ELNS1_11target_archE908ELNS1_3gpuE7ELNS1_3repE0EEENS1_30default_config_static_selectorELNS0_4arch9wavefront6targetE1EEEvT1_
    .private_segment_fixed_size: 0
    .sgpr_count:     6
    .sgpr_spill_count: 0
    .symbol:         _ZN7rocprim17ROCPRIM_400000_NS6detail17trampoline_kernelINS0_14default_configENS1_25partition_config_selectorILNS1_17partition_subalgoE0EiNS0_10empty_typeEbEEZZNS1_14partition_implILS5_0ELb0ES3_jN6thrust23THRUST_200600_302600_NS6detail15normal_iteratorINSA_10device_ptrIiEEEEPS6_SG_NS0_5tupleIJNSA_16discard_iteratorINSA_11use_defaultEEESF_EEENSH_IJSG_SG_EEES6_PlJ7is_evenIiEEEE10hipError_tPvRmT3_T4_T5_T6_T7_T9_mT8_P12ihipStream_tbDpT10_ENKUlT_T0_E_clISt17integral_constantIbLb1EES19_EEDaS14_S15_EUlS14_E_NS1_11comp_targetILNS1_3genE3ELNS1_11target_archE908ELNS1_3gpuE7ELNS1_3repE0EEENS1_30default_config_static_selectorELNS0_4arch9wavefront6targetE1EEEvT1_.kd
    .uniform_work_group_size: 1
    .uses_dynamic_stack: false
    .vgpr_count:     0
    .vgpr_spill_count: 0
    .wavefront_size: 64
  - .agpr_count:     0
    .args:
      - .offset:         0
        .size:           144
        .value_kind:     by_value
    .group_segment_fixed_size: 0
    .kernarg_segment_align: 8
    .kernarg_segment_size: 144
    .language:       OpenCL C
    .language_version:
      - 2
      - 0
    .max_flat_workgroup_size: 192
    .name:           _ZN7rocprim17ROCPRIM_400000_NS6detail17trampoline_kernelINS0_14default_configENS1_25partition_config_selectorILNS1_17partition_subalgoE0EiNS0_10empty_typeEbEEZZNS1_14partition_implILS5_0ELb0ES3_jN6thrust23THRUST_200600_302600_NS6detail15normal_iteratorINSA_10device_ptrIiEEEEPS6_SG_NS0_5tupleIJNSA_16discard_iteratorINSA_11use_defaultEEESF_EEENSH_IJSG_SG_EEES6_PlJ7is_evenIiEEEE10hipError_tPvRmT3_T4_T5_T6_T7_T9_mT8_P12ihipStream_tbDpT10_ENKUlT_T0_E_clISt17integral_constantIbLb1EES19_EEDaS14_S15_EUlS14_E_NS1_11comp_targetILNS1_3genE2ELNS1_11target_archE906ELNS1_3gpuE6ELNS1_3repE0EEENS1_30default_config_static_selectorELNS0_4arch9wavefront6targetE1EEEvT1_
    .private_segment_fixed_size: 0
    .sgpr_count:     6
    .sgpr_spill_count: 0
    .symbol:         _ZN7rocprim17ROCPRIM_400000_NS6detail17trampoline_kernelINS0_14default_configENS1_25partition_config_selectorILNS1_17partition_subalgoE0EiNS0_10empty_typeEbEEZZNS1_14partition_implILS5_0ELb0ES3_jN6thrust23THRUST_200600_302600_NS6detail15normal_iteratorINSA_10device_ptrIiEEEEPS6_SG_NS0_5tupleIJNSA_16discard_iteratorINSA_11use_defaultEEESF_EEENSH_IJSG_SG_EEES6_PlJ7is_evenIiEEEE10hipError_tPvRmT3_T4_T5_T6_T7_T9_mT8_P12ihipStream_tbDpT10_ENKUlT_T0_E_clISt17integral_constantIbLb1EES19_EEDaS14_S15_EUlS14_E_NS1_11comp_targetILNS1_3genE2ELNS1_11target_archE906ELNS1_3gpuE6ELNS1_3repE0EEENS1_30default_config_static_selectorELNS0_4arch9wavefront6targetE1EEEvT1_.kd
    .uniform_work_group_size: 1
    .uses_dynamic_stack: false
    .vgpr_count:     0
    .vgpr_spill_count: 0
    .wavefront_size: 64
  - .agpr_count:     0
    .args:
      - .offset:         0
        .size:           144
        .value_kind:     by_value
    .group_segment_fixed_size: 0
    .kernarg_segment_align: 8
    .kernarg_segment_size: 144
    .language:       OpenCL C
    .language_version:
      - 2
      - 0
    .max_flat_workgroup_size: 512
    .name:           _ZN7rocprim17ROCPRIM_400000_NS6detail17trampoline_kernelINS0_14default_configENS1_25partition_config_selectorILNS1_17partition_subalgoE0EiNS0_10empty_typeEbEEZZNS1_14partition_implILS5_0ELb0ES3_jN6thrust23THRUST_200600_302600_NS6detail15normal_iteratorINSA_10device_ptrIiEEEEPS6_SG_NS0_5tupleIJNSA_16discard_iteratorINSA_11use_defaultEEESF_EEENSH_IJSG_SG_EEES6_PlJ7is_evenIiEEEE10hipError_tPvRmT3_T4_T5_T6_T7_T9_mT8_P12ihipStream_tbDpT10_ENKUlT_T0_E_clISt17integral_constantIbLb1EES19_EEDaS14_S15_EUlS14_E_NS1_11comp_targetILNS1_3genE10ELNS1_11target_archE1200ELNS1_3gpuE4ELNS1_3repE0EEENS1_30default_config_static_selectorELNS0_4arch9wavefront6targetE1EEEvT1_
    .private_segment_fixed_size: 0
    .sgpr_count:     6
    .sgpr_spill_count: 0
    .symbol:         _ZN7rocprim17ROCPRIM_400000_NS6detail17trampoline_kernelINS0_14default_configENS1_25partition_config_selectorILNS1_17partition_subalgoE0EiNS0_10empty_typeEbEEZZNS1_14partition_implILS5_0ELb0ES3_jN6thrust23THRUST_200600_302600_NS6detail15normal_iteratorINSA_10device_ptrIiEEEEPS6_SG_NS0_5tupleIJNSA_16discard_iteratorINSA_11use_defaultEEESF_EEENSH_IJSG_SG_EEES6_PlJ7is_evenIiEEEE10hipError_tPvRmT3_T4_T5_T6_T7_T9_mT8_P12ihipStream_tbDpT10_ENKUlT_T0_E_clISt17integral_constantIbLb1EES19_EEDaS14_S15_EUlS14_E_NS1_11comp_targetILNS1_3genE10ELNS1_11target_archE1200ELNS1_3gpuE4ELNS1_3repE0EEENS1_30default_config_static_selectorELNS0_4arch9wavefront6targetE1EEEvT1_.kd
    .uniform_work_group_size: 1
    .uses_dynamic_stack: false
    .vgpr_count:     0
    .vgpr_spill_count: 0
    .wavefront_size: 64
  - .agpr_count:     0
    .args:
      - .offset:         0
        .size:           144
        .value_kind:     by_value
    .group_segment_fixed_size: 0
    .kernarg_segment_align: 8
    .kernarg_segment_size: 144
    .language:       OpenCL C
    .language_version:
      - 2
      - 0
    .max_flat_workgroup_size: 128
    .name:           _ZN7rocprim17ROCPRIM_400000_NS6detail17trampoline_kernelINS0_14default_configENS1_25partition_config_selectorILNS1_17partition_subalgoE0EiNS0_10empty_typeEbEEZZNS1_14partition_implILS5_0ELb0ES3_jN6thrust23THRUST_200600_302600_NS6detail15normal_iteratorINSA_10device_ptrIiEEEEPS6_SG_NS0_5tupleIJNSA_16discard_iteratorINSA_11use_defaultEEESF_EEENSH_IJSG_SG_EEES6_PlJ7is_evenIiEEEE10hipError_tPvRmT3_T4_T5_T6_T7_T9_mT8_P12ihipStream_tbDpT10_ENKUlT_T0_E_clISt17integral_constantIbLb1EES19_EEDaS14_S15_EUlS14_E_NS1_11comp_targetILNS1_3genE9ELNS1_11target_archE1100ELNS1_3gpuE3ELNS1_3repE0EEENS1_30default_config_static_selectorELNS0_4arch9wavefront6targetE1EEEvT1_
    .private_segment_fixed_size: 0
    .sgpr_count:     6
    .sgpr_spill_count: 0
    .symbol:         _ZN7rocprim17ROCPRIM_400000_NS6detail17trampoline_kernelINS0_14default_configENS1_25partition_config_selectorILNS1_17partition_subalgoE0EiNS0_10empty_typeEbEEZZNS1_14partition_implILS5_0ELb0ES3_jN6thrust23THRUST_200600_302600_NS6detail15normal_iteratorINSA_10device_ptrIiEEEEPS6_SG_NS0_5tupleIJNSA_16discard_iteratorINSA_11use_defaultEEESF_EEENSH_IJSG_SG_EEES6_PlJ7is_evenIiEEEE10hipError_tPvRmT3_T4_T5_T6_T7_T9_mT8_P12ihipStream_tbDpT10_ENKUlT_T0_E_clISt17integral_constantIbLb1EES19_EEDaS14_S15_EUlS14_E_NS1_11comp_targetILNS1_3genE9ELNS1_11target_archE1100ELNS1_3gpuE3ELNS1_3repE0EEENS1_30default_config_static_selectorELNS0_4arch9wavefront6targetE1EEEvT1_.kd
    .uniform_work_group_size: 1
    .uses_dynamic_stack: false
    .vgpr_count:     0
    .vgpr_spill_count: 0
    .wavefront_size: 64
  - .agpr_count:     0
    .args:
      - .offset:         0
        .size:           144
        .value_kind:     by_value
    .group_segment_fixed_size: 0
    .kernarg_segment_align: 8
    .kernarg_segment_size: 144
    .language:       OpenCL C
    .language_version:
      - 2
      - 0
    .max_flat_workgroup_size: 512
    .name:           _ZN7rocprim17ROCPRIM_400000_NS6detail17trampoline_kernelINS0_14default_configENS1_25partition_config_selectorILNS1_17partition_subalgoE0EiNS0_10empty_typeEbEEZZNS1_14partition_implILS5_0ELb0ES3_jN6thrust23THRUST_200600_302600_NS6detail15normal_iteratorINSA_10device_ptrIiEEEEPS6_SG_NS0_5tupleIJNSA_16discard_iteratorINSA_11use_defaultEEESF_EEENSH_IJSG_SG_EEES6_PlJ7is_evenIiEEEE10hipError_tPvRmT3_T4_T5_T6_T7_T9_mT8_P12ihipStream_tbDpT10_ENKUlT_T0_E_clISt17integral_constantIbLb1EES19_EEDaS14_S15_EUlS14_E_NS1_11comp_targetILNS1_3genE8ELNS1_11target_archE1030ELNS1_3gpuE2ELNS1_3repE0EEENS1_30default_config_static_selectorELNS0_4arch9wavefront6targetE1EEEvT1_
    .private_segment_fixed_size: 0
    .sgpr_count:     6
    .sgpr_spill_count: 0
    .symbol:         _ZN7rocprim17ROCPRIM_400000_NS6detail17trampoline_kernelINS0_14default_configENS1_25partition_config_selectorILNS1_17partition_subalgoE0EiNS0_10empty_typeEbEEZZNS1_14partition_implILS5_0ELb0ES3_jN6thrust23THRUST_200600_302600_NS6detail15normal_iteratorINSA_10device_ptrIiEEEEPS6_SG_NS0_5tupleIJNSA_16discard_iteratorINSA_11use_defaultEEESF_EEENSH_IJSG_SG_EEES6_PlJ7is_evenIiEEEE10hipError_tPvRmT3_T4_T5_T6_T7_T9_mT8_P12ihipStream_tbDpT10_ENKUlT_T0_E_clISt17integral_constantIbLb1EES19_EEDaS14_S15_EUlS14_E_NS1_11comp_targetILNS1_3genE8ELNS1_11target_archE1030ELNS1_3gpuE2ELNS1_3repE0EEENS1_30default_config_static_selectorELNS0_4arch9wavefront6targetE1EEEvT1_.kd
    .uniform_work_group_size: 1
    .uses_dynamic_stack: false
    .vgpr_count:     0
    .vgpr_spill_count: 0
    .wavefront_size: 64
  - .agpr_count:     0
    .args:
      - .offset:         0
        .size:           128
        .value_kind:     by_value
    .group_segment_fixed_size: 0
    .kernarg_segment_align: 8
    .kernarg_segment_size: 128
    .language:       OpenCL C
    .language_version:
      - 2
      - 0
    .max_flat_workgroup_size: 256
    .name:           _ZN7rocprim17ROCPRIM_400000_NS6detail17trampoline_kernelINS0_14default_configENS1_25partition_config_selectorILNS1_17partition_subalgoE0EiNS0_10empty_typeEbEEZZNS1_14partition_implILS5_0ELb0ES3_jN6thrust23THRUST_200600_302600_NS6detail15normal_iteratorINSA_10device_ptrIiEEEEPS6_SG_NS0_5tupleIJNSA_16discard_iteratorINSA_11use_defaultEEESF_EEENSH_IJSG_SG_EEES6_PlJ7is_evenIiEEEE10hipError_tPvRmT3_T4_T5_T6_T7_T9_mT8_P12ihipStream_tbDpT10_ENKUlT_T0_E_clISt17integral_constantIbLb1EES18_IbLb0EEEEDaS14_S15_EUlS14_E_NS1_11comp_targetILNS1_3genE0ELNS1_11target_archE4294967295ELNS1_3gpuE0ELNS1_3repE0EEENS1_30default_config_static_selectorELNS0_4arch9wavefront6targetE1EEEvT1_
    .private_segment_fixed_size: 0
    .sgpr_count:     6
    .sgpr_spill_count: 0
    .symbol:         _ZN7rocprim17ROCPRIM_400000_NS6detail17trampoline_kernelINS0_14default_configENS1_25partition_config_selectorILNS1_17partition_subalgoE0EiNS0_10empty_typeEbEEZZNS1_14partition_implILS5_0ELb0ES3_jN6thrust23THRUST_200600_302600_NS6detail15normal_iteratorINSA_10device_ptrIiEEEEPS6_SG_NS0_5tupleIJNSA_16discard_iteratorINSA_11use_defaultEEESF_EEENSH_IJSG_SG_EEES6_PlJ7is_evenIiEEEE10hipError_tPvRmT3_T4_T5_T6_T7_T9_mT8_P12ihipStream_tbDpT10_ENKUlT_T0_E_clISt17integral_constantIbLb1EES18_IbLb0EEEEDaS14_S15_EUlS14_E_NS1_11comp_targetILNS1_3genE0ELNS1_11target_archE4294967295ELNS1_3gpuE0ELNS1_3repE0EEENS1_30default_config_static_selectorELNS0_4arch9wavefront6targetE1EEEvT1_.kd
    .uniform_work_group_size: 1
    .uses_dynamic_stack: false
    .vgpr_count:     0
    .vgpr_spill_count: 0
    .wavefront_size: 64
  - .agpr_count:     0
    .args:
      - .offset:         0
        .size:           128
        .value_kind:     by_value
    .group_segment_fixed_size: 30728
    .kernarg_segment_align: 8
    .kernarg_segment_size: 128
    .language:       OpenCL C
    .language_version:
      - 2
      - 0
    .max_flat_workgroup_size: 512
    .name:           _ZN7rocprim17ROCPRIM_400000_NS6detail17trampoline_kernelINS0_14default_configENS1_25partition_config_selectorILNS1_17partition_subalgoE0EiNS0_10empty_typeEbEEZZNS1_14partition_implILS5_0ELb0ES3_jN6thrust23THRUST_200600_302600_NS6detail15normal_iteratorINSA_10device_ptrIiEEEEPS6_SG_NS0_5tupleIJNSA_16discard_iteratorINSA_11use_defaultEEESF_EEENSH_IJSG_SG_EEES6_PlJ7is_evenIiEEEE10hipError_tPvRmT3_T4_T5_T6_T7_T9_mT8_P12ihipStream_tbDpT10_ENKUlT_T0_E_clISt17integral_constantIbLb1EES18_IbLb0EEEEDaS14_S15_EUlS14_E_NS1_11comp_targetILNS1_3genE5ELNS1_11target_archE942ELNS1_3gpuE9ELNS1_3repE0EEENS1_30default_config_static_selectorELNS0_4arch9wavefront6targetE1EEEvT1_
    .private_segment_fixed_size: 0
    .sgpr_count:     50
    .sgpr_spill_count: 0
    .symbol:         _ZN7rocprim17ROCPRIM_400000_NS6detail17trampoline_kernelINS0_14default_configENS1_25partition_config_selectorILNS1_17partition_subalgoE0EiNS0_10empty_typeEbEEZZNS1_14partition_implILS5_0ELb0ES3_jN6thrust23THRUST_200600_302600_NS6detail15normal_iteratorINSA_10device_ptrIiEEEEPS6_SG_NS0_5tupleIJNSA_16discard_iteratorINSA_11use_defaultEEESF_EEENSH_IJSG_SG_EEES6_PlJ7is_evenIiEEEE10hipError_tPvRmT3_T4_T5_T6_T7_T9_mT8_P12ihipStream_tbDpT10_ENKUlT_T0_E_clISt17integral_constantIbLb1EES18_IbLb0EEEEDaS14_S15_EUlS14_E_NS1_11comp_targetILNS1_3genE5ELNS1_11target_archE942ELNS1_3gpuE9ELNS1_3repE0EEENS1_30default_config_static_selectorELNS0_4arch9wavefront6targetE1EEEvT1_.kd
    .uniform_work_group_size: 1
    .uses_dynamic_stack: false
    .vgpr_count:     76
    .vgpr_spill_count: 0
    .wavefront_size: 64
  - .agpr_count:     0
    .args:
      - .offset:         0
        .size:           128
        .value_kind:     by_value
    .group_segment_fixed_size: 0
    .kernarg_segment_align: 8
    .kernarg_segment_size: 128
    .language:       OpenCL C
    .language_version:
      - 2
      - 0
    .max_flat_workgroup_size: 256
    .name:           _ZN7rocprim17ROCPRIM_400000_NS6detail17trampoline_kernelINS0_14default_configENS1_25partition_config_selectorILNS1_17partition_subalgoE0EiNS0_10empty_typeEbEEZZNS1_14partition_implILS5_0ELb0ES3_jN6thrust23THRUST_200600_302600_NS6detail15normal_iteratorINSA_10device_ptrIiEEEEPS6_SG_NS0_5tupleIJNSA_16discard_iteratorINSA_11use_defaultEEESF_EEENSH_IJSG_SG_EEES6_PlJ7is_evenIiEEEE10hipError_tPvRmT3_T4_T5_T6_T7_T9_mT8_P12ihipStream_tbDpT10_ENKUlT_T0_E_clISt17integral_constantIbLb1EES18_IbLb0EEEEDaS14_S15_EUlS14_E_NS1_11comp_targetILNS1_3genE4ELNS1_11target_archE910ELNS1_3gpuE8ELNS1_3repE0EEENS1_30default_config_static_selectorELNS0_4arch9wavefront6targetE1EEEvT1_
    .private_segment_fixed_size: 0
    .sgpr_count:     6
    .sgpr_spill_count: 0
    .symbol:         _ZN7rocprim17ROCPRIM_400000_NS6detail17trampoline_kernelINS0_14default_configENS1_25partition_config_selectorILNS1_17partition_subalgoE0EiNS0_10empty_typeEbEEZZNS1_14partition_implILS5_0ELb0ES3_jN6thrust23THRUST_200600_302600_NS6detail15normal_iteratorINSA_10device_ptrIiEEEEPS6_SG_NS0_5tupleIJNSA_16discard_iteratorINSA_11use_defaultEEESF_EEENSH_IJSG_SG_EEES6_PlJ7is_evenIiEEEE10hipError_tPvRmT3_T4_T5_T6_T7_T9_mT8_P12ihipStream_tbDpT10_ENKUlT_T0_E_clISt17integral_constantIbLb1EES18_IbLb0EEEEDaS14_S15_EUlS14_E_NS1_11comp_targetILNS1_3genE4ELNS1_11target_archE910ELNS1_3gpuE8ELNS1_3repE0EEENS1_30default_config_static_selectorELNS0_4arch9wavefront6targetE1EEEvT1_.kd
    .uniform_work_group_size: 1
    .uses_dynamic_stack: false
    .vgpr_count:     0
    .vgpr_spill_count: 0
    .wavefront_size: 64
  - .agpr_count:     0
    .args:
      - .offset:         0
        .size:           128
        .value_kind:     by_value
    .group_segment_fixed_size: 0
    .kernarg_segment_align: 8
    .kernarg_segment_size: 128
    .language:       OpenCL C
    .language_version:
      - 2
      - 0
    .max_flat_workgroup_size: 256
    .name:           _ZN7rocprim17ROCPRIM_400000_NS6detail17trampoline_kernelINS0_14default_configENS1_25partition_config_selectorILNS1_17partition_subalgoE0EiNS0_10empty_typeEbEEZZNS1_14partition_implILS5_0ELb0ES3_jN6thrust23THRUST_200600_302600_NS6detail15normal_iteratorINSA_10device_ptrIiEEEEPS6_SG_NS0_5tupleIJNSA_16discard_iteratorINSA_11use_defaultEEESF_EEENSH_IJSG_SG_EEES6_PlJ7is_evenIiEEEE10hipError_tPvRmT3_T4_T5_T6_T7_T9_mT8_P12ihipStream_tbDpT10_ENKUlT_T0_E_clISt17integral_constantIbLb1EES18_IbLb0EEEEDaS14_S15_EUlS14_E_NS1_11comp_targetILNS1_3genE3ELNS1_11target_archE908ELNS1_3gpuE7ELNS1_3repE0EEENS1_30default_config_static_selectorELNS0_4arch9wavefront6targetE1EEEvT1_
    .private_segment_fixed_size: 0
    .sgpr_count:     6
    .sgpr_spill_count: 0
    .symbol:         _ZN7rocprim17ROCPRIM_400000_NS6detail17trampoline_kernelINS0_14default_configENS1_25partition_config_selectorILNS1_17partition_subalgoE0EiNS0_10empty_typeEbEEZZNS1_14partition_implILS5_0ELb0ES3_jN6thrust23THRUST_200600_302600_NS6detail15normal_iteratorINSA_10device_ptrIiEEEEPS6_SG_NS0_5tupleIJNSA_16discard_iteratorINSA_11use_defaultEEESF_EEENSH_IJSG_SG_EEES6_PlJ7is_evenIiEEEE10hipError_tPvRmT3_T4_T5_T6_T7_T9_mT8_P12ihipStream_tbDpT10_ENKUlT_T0_E_clISt17integral_constantIbLb1EES18_IbLb0EEEEDaS14_S15_EUlS14_E_NS1_11comp_targetILNS1_3genE3ELNS1_11target_archE908ELNS1_3gpuE7ELNS1_3repE0EEENS1_30default_config_static_selectorELNS0_4arch9wavefront6targetE1EEEvT1_.kd
    .uniform_work_group_size: 1
    .uses_dynamic_stack: false
    .vgpr_count:     0
    .vgpr_spill_count: 0
    .wavefront_size: 64
  - .agpr_count:     0
    .args:
      - .offset:         0
        .size:           128
        .value_kind:     by_value
    .group_segment_fixed_size: 0
    .kernarg_segment_align: 8
    .kernarg_segment_size: 128
    .language:       OpenCL C
    .language_version:
      - 2
      - 0
    .max_flat_workgroup_size: 192
    .name:           _ZN7rocprim17ROCPRIM_400000_NS6detail17trampoline_kernelINS0_14default_configENS1_25partition_config_selectorILNS1_17partition_subalgoE0EiNS0_10empty_typeEbEEZZNS1_14partition_implILS5_0ELb0ES3_jN6thrust23THRUST_200600_302600_NS6detail15normal_iteratorINSA_10device_ptrIiEEEEPS6_SG_NS0_5tupleIJNSA_16discard_iteratorINSA_11use_defaultEEESF_EEENSH_IJSG_SG_EEES6_PlJ7is_evenIiEEEE10hipError_tPvRmT3_T4_T5_T6_T7_T9_mT8_P12ihipStream_tbDpT10_ENKUlT_T0_E_clISt17integral_constantIbLb1EES18_IbLb0EEEEDaS14_S15_EUlS14_E_NS1_11comp_targetILNS1_3genE2ELNS1_11target_archE906ELNS1_3gpuE6ELNS1_3repE0EEENS1_30default_config_static_selectorELNS0_4arch9wavefront6targetE1EEEvT1_
    .private_segment_fixed_size: 0
    .sgpr_count:     6
    .sgpr_spill_count: 0
    .symbol:         _ZN7rocprim17ROCPRIM_400000_NS6detail17trampoline_kernelINS0_14default_configENS1_25partition_config_selectorILNS1_17partition_subalgoE0EiNS0_10empty_typeEbEEZZNS1_14partition_implILS5_0ELb0ES3_jN6thrust23THRUST_200600_302600_NS6detail15normal_iteratorINSA_10device_ptrIiEEEEPS6_SG_NS0_5tupleIJNSA_16discard_iteratorINSA_11use_defaultEEESF_EEENSH_IJSG_SG_EEES6_PlJ7is_evenIiEEEE10hipError_tPvRmT3_T4_T5_T6_T7_T9_mT8_P12ihipStream_tbDpT10_ENKUlT_T0_E_clISt17integral_constantIbLb1EES18_IbLb0EEEEDaS14_S15_EUlS14_E_NS1_11comp_targetILNS1_3genE2ELNS1_11target_archE906ELNS1_3gpuE6ELNS1_3repE0EEENS1_30default_config_static_selectorELNS0_4arch9wavefront6targetE1EEEvT1_.kd
    .uniform_work_group_size: 1
    .uses_dynamic_stack: false
    .vgpr_count:     0
    .vgpr_spill_count: 0
    .wavefront_size: 64
  - .agpr_count:     0
    .args:
      - .offset:         0
        .size:           128
        .value_kind:     by_value
    .group_segment_fixed_size: 0
    .kernarg_segment_align: 8
    .kernarg_segment_size: 128
    .language:       OpenCL C
    .language_version:
      - 2
      - 0
    .max_flat_workgroup_size: 512
    .name:           _ZN7rocprim17ROCPRIM_400000_NS6detail17trampoline_kernelINS0_14default_configENS1_25partition_config_selectorILNS1_17partition_subalgoE0EiNS0_10empty_typeEbEEZZNS1_14partition_implILS5_0ELb0ES3_jN6thrust23THRUST_200600_302600_NS6detail15normal_iteratorINSA_10device_ptrIiEEEEPS6_SG_NS0_5tupleIJNSA_16discard_iteratorINSA_11use_defaultEEESF_EEENSH_IJSG_SG_EEES6_PlJ7is_evenIiEEEE10hipError_tPvRmT3_T4_T5_T6_T7_T9_mT8_P12ihipStream_tbDpT10_ENKUlT_T0_E_clISt17integral_constantIbLb1EES18_IbLb0EEEEDaS14_S15_EUlS14_E_NS1_11comp_targetILNS1_3genE10ELNS1_11target_archE1200ELNS1_3gpuE4ELNS1_3repE0EEENS1_30default_config_static_selectorELNS0_4arch9wavefront6targetE1EEEvT1_
    .private_segment_fixed_size: 0
    .sgpr_count:     6
    .sgpr_spill_count: 0
    .symbol:         _ZN7rocprim17ROCPRIM_400000_NS6detail17trampoline_kernelINS0_14default_configENS1_25partition_config_selectorILNS1_17partition_subalgoE0EiNS0_10empty_typeEbEEZZNS1_14partition_implILS5_0ELb0ES3_jN6thrust23THRUST_200600_302600_NS6detail15normal_iteratorINSA_10device_ptrIiEEEEPS6_SG_NS0_5tupleIJNSA_16discard_iteratorINSA_11use_defaultEEESF_EEENSH_IJSG_SG_EEES6_PlJ7is_evenIiEEEE10hipError_tPvRmT3_T4_T5_T6_T7_T9_mT8_P12ihipStream_tbDpT10_ENKUlT_T0_E_clISt17integral_constantIbLb1EES18_IbLb0EEEEDaS14_S15_EUlS14_E_NS1_11comp_targetILNS1_3genE10ELNS1_11target_archE1200ELNS1_3gpuE4ELNS1_3repE0EEENS1_30default_config_static_selectorELNS0_4arch9wavefront6targetE1EEEvT1_.kd
    .uniform_work_group_size: 1
    .uses_dynamic_stack: false
    .vgpr_count:     0
    .vgpr_spill_count: 0
    .wavefront_size: 64
  - .agpr_count:     0
    .args:
      - .offset:         0
        .size:           128
        .value_kind:     by_value
    .group_segment_fixed_size: 0
    .kernarg_segment_align: 8
    .kernarg_segment_size: 128
    .language:       OpenCL C
    .language_version:
      - 2
      - 0
    .max_flat_workgroup_size: 128
    .name:           _ZN7rocprim17ROCPRIM_400000_NS6detail17trampoline_kernelINS0_14default_configENS1_25partition_config_selectorILNS1_17partition_subalgoE0EiNS0_10empty_typeEbEEZZNS1_14partition_implILS5_0ELb0ES3_jN6thrust23THRUST_200600_302600_NS6detail15normal_iteratorINSA_10device_ptrIiEEEEPS6_SG_NS0_5tupleIJNSA_16discard_iteratorINSA_11use_defaultEEESF_EEENSH_IJSG_SG_EEES6_PlJ7is_evenIiEEEE10hipError_tPvRmT3_T4_T5_T6_T7_T9_mT8_P12ihipStream_tbDpT10_ENKUlT_T0_E_clISt17integral_constantIbLb1EES18_IbLb0EEEEDaS14_S15_EUlS14_E_NS1_11comp_targetILNS1_3genE9ELNS1_11target_archE1100ELNS1_3gpuE3ELNS1_3repE0EEENS1_30default_config_static_selectorELNS0_4arch9wavefront6targetE1EEEvT1_
    .private_segment_fixed_size: 0
    .sgpr_count:     6
    .sgpr_spill_count: 0
    .symbol:         _ZN7rocprim17ROCPRIM_400000_NS6detail17trampoline_kernelINS0_14default_configENS1_25partition_config_selectorILNS1_17partition_subalgoE0EiNS0_10empty_typeEbEEZZNS1_14partition_implILS5_0ELb0ES3_jN6thrust23THRUST_200600_302600_NS6detail15normal_iteratorINSA_10device_ptrIiEEEEPS6_SG_NS0_5tupleIJNSA_16discard_iteratorINSA_11use_defaultEEESF_EEENSH_IJSG_SG_EEES6_PlJ7is_evenIiEEEE10hipError_tPvRmT3_T4_T5_T6_T7_T9_mT8_P12ihipStream_tbDpT10_ENKUlT_T0_E_clISt17integral_constantIbLb1EES18_IbLb0EEEEDaS14_S15_EUlS14_E_NS1_11comp_targetILNS1_3genE9ELNS1_11target_archE1100ELNS1_3gpuE3ELNS1_3repE0EEENS1_30default_config_static_selectorELNS0_4arch9wavefront6targetE1EEEvT1_.kd
    .uniform_work_group_size: 1
    .uses_dynamic_stack: false
    .vgpr_count:     0
    .vgpr_spill_count: 0
    .wavefront_size: 64
  - .agpr_count:     0
    .args:
      - .offset:         0
        .size:           128
        .value_kind:     by_value
    .group_segment_fixed_size: 0
    .kernarg_segment_align: 8
    .kernarg_segment_size: 128
    .language:       OpenCL C
    .language_version:
      - 2
      - 0
    .max_flat_workgroup_size: 512
    .name:           _ZN7rocprim17ROCPRIM_400000_NS6detail17trampoline_kernelINS0_14default_configENS1_25partition_config_selectorILNS1_17partition_subalgoE0EiNS0_10empty_typeEbEEZZNS1_14partition_implILS5_0ELb0ES3_jN6thrust23THRUST_200600_302600_NS6detail15normal_iteratorINSA_10device_ptrIiEEEEPS6_SG_NS0_5tupleIJNSA_16discard_iteratorINSA_11use_defaultEEESF_EEENSH_IJSG_SG_EEES6_PlJ7is_evenIiEEEE10hipError_tPvRmT3_T4_T5_T6_T7_T9_mT8_P12ihipStream_tbDpT10_ENKUlT_T0_E_clISt17integral_constantIbLb1EES18_IbLb0EEEEDaS14_S15_EUlS14_E_NS1_11comp_targetILNS1_3genE8ELNS1_11target_archE1030ELNS1_3gpuE2ELNS1_3repE0EEENS1_30default_config_static_selectorELNS0_4arch9wavefront6targetE1EEEvT1_
    .private_segment_fixed_size: 0
    .sgpr_count:     6
    .sgpr_spill_count: 0
    .symbol:         _ZN7rocprim17ROCPRIM_400000_NS6detail17trampoline_kernelINS0_14default_configENS1_25partition_config_selectorILNS1_17partition_subalgoE0EiNS0_10empty_typeEbEEZZNS1_14partition_implILS5_0ELb0ES3_jN6thrust23THRUST_200600_302600_NS6detail15normal_iteratorINSA_10device_ptrIiEEEEPS6_SG_NS0_5tupleIJNSA_16discard_iteratorINSA_11use_defaultEEESF_EEENSH_IJSG_SG_EEES6_PlJ7is_evenIiEEEE10hipError_tPvRmT3_T4_T5_T6_T7_T9_mT8_P12ihipStream_tbDpT10_ENKUlT_T0_E_clISt17integral_constantIbLb1EES18_IbLb0EEEEDaS14_S15_EUlS14_E_NS1_11comp_targetILNS1_3genE8ELNS1_11target_archE1030ELNS1_3gpuE2ELNS1_3repE0EEENS1_30default_config_static_selectorELNS0_4arch9wavefront6targetE1EEEvT1_.kd
    .uniform_work_group_size: 1
    .uses_dynamic_stack: false
    .vgpr_count:     0
    .vgpr_spill_count: 0
    .wavefront_size: 64
  - .agpr_count:     0
    .args:
      - .offset:         0
        .size:           144
        .value_kind:     by_value
    .group_segment_fixed_size: 0
    .kernarg_segment_align: 8
    .kernarg_segment_size: 144
    .language:       OpenCL C
    .language_version:
      - 2
      - 0
    .max_flat_workgroup_size: 256
    .name:           _ZN7rocprim17ROCPRIM_400000_NS6detail17trampoline_kernelINS0_14default_configENS1_25partition_config_selectorILNS1_17partition_subalgoE0EiNS0_10empty_typeEbEEZZNS1_14partition_implILS5_0ELb0ES3_jN6thrust23THRUST_200600_302600_NS6detail15normal_iteratorINSA_10device_ptrIiEEEEPS6_SG_NS0_5tupleIJNSA_16discard_iteratorINSA_11use_defaultEEESF_EEENSH_IJSG_SG_EEES6_PlJ7is_evenIiEEEE10hipError_tPvRmT3_T4_T5_T6_T7_T9_mT8_P12ihipStream_tbDpT10_ENKUlT_T0_E_clISt17integral_constantIbLb0EES18_IbLb1EEEEDaS14_S15_EUlS14_E_NS1_11comp_targetILNS1_3genE0ELNS1_11target_archE4294967295ELNS1_3gpuE0ELNS1_3repE0EEENS1_30default_config_static_selectorELNS0_4arch9wavefront6targetE1EEEvT1_
    .private_segment_fixed_size: 0
    .sgpr_count:     6
    .sgpr_spill_count: 0
    .symbol:         _ZN7rocprim17ROCPRIM_400000_NS6detail17trampoline_kernelINS0_14default_configENS1_25partition_config_selectorILNS1_17partition_subalgoE0EiNS0_10empty_typeEbEEZZNS1_14partition_implILS5_0ELb0ES3_jN6thrust23THRUST_200600_302600_NS6detail15normal_iteratorINSA_10device_ptrIiEEEEPS6_SG_NS0_5tupleIJNSA_16discard_iteratorINSA_11use_defaultEEESF_EEENSH_IJSG_SG_EEES6_PlJ7is_evenIiEEEE10hipError_tPvRmT3_T4_T5_T6_T7_T9_mT8_P12ihipStream_tbDpT10_ENKUlT_T0_E_clISt17integral_constantIbLb0EES18_IbLb1EEEEDaS14_S15_EUlS14_E_NS1_11comp_targetILNS1_3genE0ELNS1_11target_archE4294967295ELNS1_3gpuE0ELNS1_3repE0EEENS1_30default_config_static_selectorELNS0_4arch9wavefront6targetE1EEEvT1_.kd
    .uniform_work_group_size: 1
    .uses_dynamic_stack: false
    .vgpr_count:     0
    .vgpr_spill_count: 0
    .wavefront_size: 64
  - .agpr_count:     0
    .args:
      - .offset:         0
        .size:           144
        .value_kind:     by_value
    .group_segment_fixed_size: 30728
    .kernarg_segment_align: 8
    .kernarg_segment_size: 144
    .language:       OpenCL C
    .language_version:
      - 2
      - 0
    .max_flat_workgroup_size: 512
    .name:           _ZN7rocprim17ROCPRIM_400000_NS6detail17trampoline_kernelINS0_14default_configENS1_25partition_config_selectorILNS1_17partition_subalgoE0EiNS0_10empty_typeEbEEZZNS1_14partition_implILS5_0ELb0ES3_jN6thrust23THRUST_200600_302600_NS6detail15normal_iteratorINSA_10device_ptrIiEEEEPS6_SG_NS0_5tupleIJNSA_16discard_iteratorINSA_11use_defaultEEESF_EEENSH_IJSG_SG_EEES6_PlJ7is_evenIiEEEE10hipError_tPvRmT3_T4_T5_T6_T7_T9_mT8_P12ihipStream_tbDpT10_ENKUlT_T0_E_clISt17integral_constantIbLb0EES18_IbLb1EEEEDaS14_S15_EUlS14_E_NS1_11comp_targetILNS1_3genE5ELNS1_11target_archE942ELNS1_3gpuE9ELNS1_3repE0EEENS1_30default_config_static_selectorELNS0_4arch9wavefront6targetE1EEEvT1_
    .private_segment_fixed_size: 0
    .sgpr_count:     48
    .sgpr_spill_count: 0
    .symbol:         _ZN7rocprim17ROCPRIM_400000_NS6detail17trampoline_kernelINS0_14default_configENS1_25partition_config_selectorILNS1_17partition_subalgoE0EiNS0_10empty_typeEbEEZZNS1_14partition_implILS5_0ELb0ES3_jN6thrust23THRUST_200600_302600_NS6detail15normal_iteratorINSA_10device_ptrIiEEEEPS6_SG_NS0_5tupleIJNSA_16discard_iteratorINSA_11use_defaultEEESF_EEENSH_IJSG_SG_EEES6_PlJ7is_evenIiEEEE10hipError_tPvRmT3_T4_T5_T6_T7_T9_mT8_P12ihipStream_tbDpT10_ENKUlT_T0_E_clISt17integral_constantIbLb0EES18_IbLb1EEEEDaS14_S15_EUlS14_E_NS1_11comp_targetILNS1_3genE5ELNS1_11target_archE942ELNS1_3gpuE9ELNS1_3repE0EEENS1_30default_config_static_selectorELNS0_4arch9wavefront6targetE1EEEvT1_.kd
    .uniform_work_group_size: 1
    .uses_dynamic_stack: false
    .vgpr_count:     80
    .vgpr_spill_count: 0
    .wavefront_size: 64
  - .agpr_count:     0
    .args:
      - .offset:         0
        .size:           144
        .value_kind:     by_value
    .group_segment_fixed_size: 0
    .kernarg_segment_align: 8
    .kernarg_segment_size: 144
    .language:       OpenCL C
    .language_version:
      - 2
      - 0
    .max_flat_workgroup_size: 256
    .name:           _ZN7rocprim17ROCPRIM_400000_NS6detail17trampoline_kernelINS0_14default_configENS1_25partition_config_selectorILNS1_17partition_subalgoE0EiNS0_10empty_typeEbEEZZNS1_14partition_implILS5_0ELb0ES3_jN6thrust23THRUST_200600_302600_NS6detail15normal_iteratorINSA_10device_ptrIiEEEEPS6_SG_NS0_5tupleIJNSA_16discard_iteratorINSA_11use_defaultEEESF_EEENSH_IJSG_SG_EEES6_PlJ7is_evenIiEEEE10hipError_tPvRmT3_T4_T5_T6_T7_T9_mT8_P12ihipStream_tbDpT10_ENKUlT_T0_E_clISt17integral_constantIbLb0EES18_IbLb1EEEEDaS14_S15_EUlS14_E_NS1_11comp_targetILNS1_3genE4ELNS1_11target_archE910ELNS1_3gpuE8ELNS1_3repE0EEENS1_30default_config_static_selectorELNS0_4arch9wavefront6targetE1EEEvT1_
    .private_segment_fixed_size: 0
    .sgpr_count:     6
    .sgpr_spill_count: 0
    .symbol:         _ZN7rocprim17ROCPRIM_400000_NS6detail17trampoline_kernelINS0_14default_configENS1_25partition_config_selectorILNS1_17partition_subalgoE0EiNS0_10empty_typeEbEEZZNS1_14partition_implILS5_0ELb0ES3_jN6thrust23THRUST_200600_302600_NS6detail15normal_iteratorINSA_10device_ptrIiEEEEPS6_SG_NS0_5tupleIJNSA_16discard_iteratorINSA_11use_defaultEEESF_EEENSH_IJSG_SG_EEES6_PlJ7is_evenIiEEEE10hipError_tPvRmT3_T4_T5_T6_T7_T9_mT8_P12ihipStream_tbDpT10_ENKUlT_T0_E_clISt17integral_constantIbLb0EES18_IbLb1EEEEDaS14_S15_EUlS14_E_NS1_11comp_targetILNS1_3genE4ELNS1_11target_archE910ELNS1_3gpuE8ELNS1_3repE0EEENS1_30default_config_static_selectorELNS0_4arch9wavefront6targetE1EEEvT1_.kd
    .uniform_work_group_size: 1
    .uses_dynamic_stack: false
    .vgpr_count:     0
    .vgpr_spill_count: 0
    .wavefront_size: 64
  - .agpr_count:     0
    .args:
      - .offset:         0
        .size:           144
        .value_kind:     by_value
    .group_segment_fixed_size: 0
    .kernarg_segment_align: 8
    .kernarg_segment_size: 144
    .language:       OpenCL C
    .language_version:
      - 2
      - 0
    .max_flat_workgroup_size: 256
    .name:           _ZN7rocprim17ROCPRIM_400000_NS6detail17trampoline_kernelINS0_14default_configENS1_25partition_config_selectorILNS1_17partition_subalgoE0EiNS0_10empty_typeEbEEZZNS1_14partition_implILS5_0ELb0ES3_jN6thrust23THRUST_200600_302600_NS6detail15normal_iteratorINSA_10device_ptrIiEEEEPS6_SG_NS0_5tupleIJNSA_16discard_iteratorINSA_11use_defaultEEESF_EEENSH_IJSG_SG_EEES6_PlJ7is_evenIiEEEE10hipError_tPvRmT3_T4_T5_T6_T7_T9_mT8_P12ihipStream_tbDpT10_ENKUlT_T0_E_clISt17integral_constantIbLb0EES18_IbLb1EEEEDaS14_S15_EUlS14_E_NS1_11comp_targetILNS1_3genE3ELNS1_11target_archE908ELNS1_3gpuE7ELNS1_3repE0EEENS1_30default_config_static_selectorELNS0_4arch9wavefront6targetE1EEEvT1_
    .private_segment_fixed_size: 0
    .sgpr_count:     6
    .sgpr_spill_count: 0
    .symbol:         _ZN7rocprim17ROCPRIM_400000_NS6detail17trampoline_kernelINS0_14default_configENS1_25partition_config_selectorILNS1_17partition_subalgoE0EiNS0_10empty_typeEbEEZZNS1_14partition_implILS5_0ELb0ES3_jN6thrust23THRUST_200600_302600_NS6detail15normal_iteratorINSA_10device_ptrIiEEEEPS6_SG_NS0_5tupleIJNSA_16discard_iteratorINSA_11use_defaultEEESF_EEENSH_IJSG_SG_EEES6_PlJ7is_evenIiEEEE10hipError_tPvRmT3_T4_T5_T6_T7_T9_mT8_P12ihipStream_tbDpT10_ENKUlT_T0_E_clISt17integral_constantIbLb0EES18_IbLb1EEEEDaS14_S15_EUlS14_E_NS1_11comp_targetILNS1_3genE3ELNS1_11target_archE908ELNS1_3gpuE7ELNS1_3repE0EEENS1_30default_config_static_selectorELNS0_4arch9wavefront6targetE1EEEvT1_.kd
    .uniform_work_group_size: 1
    .uses_dynamic_stack: false
    .vgpr_count:     0
    .vgpr_spill_count: 0
    .wavefront_size: 64
  - .agpr_count:     0
    .args:
      - .offset:         0
        .size:           144
        .value_kind:     by_value
    .group_segment_fixed_size: 0
    .kernarg_segment_align: 8
    .kernarg_segment_size: 144
    .language:       OpenCL C
    .language_version:
      - 2
      - 0
    .max_flat_workgroup_size: 192
    .name:           _ZN7rocprim17ROCPRIM_400000_NS6detail17trampoline_kernelINS0_14default_configENS1_25partition_config_selectorILNS1_17partition_subalgoE0EiNS0_10empty_typeEbEEZZNS1_14partition_implILS5_0ELb0ES3_jN6thrust23THRUST_200600_302600_NS6detail15normal_iteratorINSA_10device_ptrIiEEEEPS6_SG_NS0_5tupleIJNSA_16discard_iteratorINSA_11use_defaultEEESF_EEENSH_IJSG_SG_EEES6_PlJ7is_evenIiEEEE10hipError_tPvRmT3_T4_T5_T6_T7_T9_mT8_P12ihipStream_tbDpT10_ENKUlT_T0_E_clISt17integral_constantIbLb0EES18_IbLb1EEEEDaS14_S15_EUlS14_E_NS1_11comp_targetILNS1_3genE2ELNS1_11target_archE906ELNS1_3gpuE6ELNS1_3repE0EEENS1_30default_config_static_selectorELNS0_4arch9wavefront6targetE1EEEvT1_
    .private_segment_fixed_size: 0
    .sgpr_count:     6
    .sgpr_spill_count: 0
    .symbol:         _ZN7rocprim17ROCPRIM_400000_NS6detail17trampoline_kernelINS0_14default_configENS1_25partition_config_selectorILNS1_17partition_subalgoE0EiNS0_10empty_typeEbEEZZNS1_14partition_implILS5_0ELb0ES3_jN6thrust23THRUST_200600_302600_NS6detail15normal_iteratorINSA_10device_ptrIiEEEEPS6_SG_NS0_5tupleIJNSA_16discard_iteratorINSA_11use_defaultEEESF_EEENSH_IJSG_SG_EEES6_PlJ7is_evenIiEEEE10hipError_tPvRmT3_T4_T5_T6_T7_T9_mT8_P12ihipStream_tbDpT10_ENKUlT_T0_E_clISt17integral_constantIbLb0EES18_IbLb1EEEEDaS14_S15_EUlS14_E_NS1_11comp_targetILNS1_3genE2ELNS1_11target_archE906ELNS1_3gpuE6ELNS1_3repE0EEENS1_30default_config_static_selectorELNS0_4arch9wavefront6targetE1EEEvT1_.kd
    .uniform_work_group_size: 1
    .uses_dynamic_stack: false
    .vgpr_count:     0
    .vgpr_spill_count: 0
    .wavefront_size: 64
  - .agpr_count:     0
    .args:
      - .offset:         0
        .size:           144
        .value_kind:     by_value
    .group_segment_fixed_size: 0
    .kernarg_segment_align: 8
    .kernarg_segment_size: 144
    .language:       OpenCL C
    .language_version:
      - 2
      - 0
    .max_flat_workgroup_size: 512
    .name:           _ZN7rocprim17ROCPRIM_400000_NS6detail17trampoline_kernelINS0_14default_configENS1_25partition_config_selectorILNS1_17partition_subalgoE0EiNS0_10empty_typeEbEEZZNS1_14partition_implILS5_0ELb0ES3_jN6thrust23THRUST_200600_302600_NS6detail15normal_iteratorINSA_10device_ptrIiEEEEPS6_SG_NS0_5tupleIJNSA_16discard_iteratorINSA_11use_defaultEEESF_EEENSH_IJSG_SG_EEES6_PlJ7is_evenIiEEEE10hipError_tPvRmT3_T4_T5_T6_T7_T9_mT8_P12ihipStream_tbDpT10_ENKUlT_T0_E_clISt17integral_constantIbLb0EES18_IbLb1EEEEDaS14_S15_EUlS14_E_NS1_11comp_targetILNS1_3genE10ELNS1_11target_archE1200ELNS1_3gpuE4ELNS1_3repE0EEENS1_30default_config_static_selectorELNS0_4arch9wavefront6targetE1EEEvT1_
    .private_segment_fixed_size: 0
    .sgpr_count:     6
    .sgpr_spill_count: 0
    .symbol:         _ZN7rocprim17ROCPRIM_400000_NS6detail17trampoline_kernelINS0_14default_configENS1_25partition_config_selectorILNS1_17partition_subalgoE0EiNS0_10empty_typeEbEEZZNS1_14partition_implILS5_0ELb0ES3_jN6thrust23THRUST_200600_302600_NS6detail15normal_iteratorINSA_10device_ptrIiEEEEPS6_SG_NS0_5tupleIJNSA_16discard_iteratorINSA_11use_defaultEEESF_EEENSH_IJSG_SG_EEES6_PlJ7is_evenIiEEEE10hipError_tPvRmT3_T4_T5_T6_T7_T9_mT8_P12ihipStream_tbDpT10_ENKUlT_T0_E_clISt17integral_constantIbLb0EES18_IbLb1EEEEDaS14_S15_EUlS14_E_NS1_11comp_targetILNS1_3genE10ELNS1_11target_archE1200ELNS1_3gpuE4ELNS1_3repE0EEENS1_30default_config_static_selectorELNS0_4arch9wavefront6targetE1EEEvT1_.kd
    .uniform_work_group_size: 1
    .uses_dynamic_stack: false
    .vgpr_count:     0
    .vgpr_spill_count: 0
    .wavefront_size: 64
  - .agpr_count:     0
    .args:
      - .offset:         0
        .size:           144
        .value_kind:     by_value
    .group_segment_fixed_size: 0
    .kernarg_segment_align: 8
    .kernarg_segment_size: 144
    .language:       OpenCL C
    .language_version:
      - 2
      - 0
    .max_flat_workgroup_size: 128
    .name:           _ZN7rocprim17ROCPRIM_400000_NS6detail17trampoline_kernelINS0_14default_configENS1_25partition_config_selectorILNS1_17partition_subalgoE0EiNS0_10empty_typeEbEEZZNS1_14partition_implILS5_0ELb0ES3_jN6thrust23THRUST_200600_302600_NS6detail15normal_iteratorINSA_10device_ptrIiEEEEPS6_SG_NS0_5tupleIJNSA_16discard_iteratorINSA_11use_defaultEEESF_EEENSH_IJSG_SG_EEES6_PlJ7is_evenIiEEEE10hipError_tPvRmT3_T4_T5_T6_T7_T9_mT8_P12ihipStream_tbDpT10_ENKUlT_T0_E_clISt17integral_constantIbLb0EES18_IbLb1EEEEDaS14_S15_EUlS14_E_NS1_11comp_targetILNS1_3genE9ELNS1_11target_archE1100ELNS1_3gpuE3ELNS1_3repE0EEENS1_30default_config_static_selectorELNS0_4arch9wavefront6targetE1EEEvT1_
    .private_segment_fixed_size: 0
    .sgpr_count:     6
    .sgpr_spill_count: 0
    .symbol:         _ZN7rocprim17ROCPRIM_400000_NS6detail17trampoline_kernelINS0_14default_configENS1_25partition_config_selectorILNS1_17partition_subalgoE0EiNS0_10empty_typeEbEEZZNS1_14partition_implILS5_0ELb0ES3_jN6thrust23THRUST_200600_302600_NS6detail15normal_iteratorINSA_10device_ptrIiEEEEPS6_SG_NS0_5tupleIJNSA_16discard_iteratorINSA_11use_defaultEEESF_EEENSH_IJSG_SG_EEES6_PlJ7is_evenIiEEEE10hipError_tPvRmT3_T4_T5_T6_T7_T9_mT8_P12ihipStream_tbDpT10_ENKUlT_T0_E_clISt17integral_constantIbLb0EES18_IbLb1EEEEDaS14_S15_EUlS14_E_NS1_11comp_targetILNS1_3genE9ELNS1_11target_archE1100ELNS1_3gpuE3ELNS1_3repE0EEENS1_30default_config_static_selectorELNS0_4arch9wavefront6targetE1EEEvT1_.kd
    .uniform_work_group_size: 1
    .uses_dynamic_stack: false
    .vgpr_count:     0
    .vgpr_spill_count: 0
    .wavefront_size: 64
  - .agpr_count:     0
    .args:
      - .offset:         0
        .size:           144
        .value_kind:     by_value
    .group_segment_fixed_size: 0
    .kernarg_segment_align: 8
    .kernarg_segment_size: 144
    .language:       OpenCL C
    .language_version:
      - 2
      - 0
    .max_flat_workgroup_size: 512
    .name:           _ZN7rocprim17ROCPRIM_400000_NS6detail17trampoline_kernelINS0_14default_configENS1_25partition_config_selectorILNS1_17partition_subalgoE0EiNS0_10empty_typeEbEEZZNS1_14partition_implILS5_0ELb0ES3_jN6thrust23THRUST_200600_302600_NS6detail15normal_iteratorINSA_10device_ptrIiEEEEPS6_SG_NS0_5tupleIJNSA_16discard_iteratorINSA_11use_defaultEEESF_EEENSH_IJSG_SG_EEES6_PlJ7is_evenIiEEEE10hipError_tPvRmT3_T4_T5_T6_T7_T9_mT8_P12ihipStream_tbDpT10_ENKUlT_T0_E_clISt17integral_constantIbLb0EES18_IbLb1EEEEDaS14_S15_EUlS14_E_NS1_11comp_targetILNS1_3genE8ELNS1_11target_archE1030ELNS1_3gpuE2ELNS1_3repE0EEENS1_30default_config_static_selectorELNS0_4arch9wavefront6targetE1EEEvT1_
    .private_segment_fixed_size: 0
    .sgpr_count:     6
    .sgpr_spill_count: 0
    .symbol:         _ZN7rocprim17ROCPRIM_400000_NS6detail17trampoline_kernelINS0_14default_configENS1_25partition_config_selectorILNS1_17partition_subalgoE0EiNS0_10empty_typeEbEEZZNS1_14partition_implILS5_0ELb0ES3_jN6thrust23THRUST_200600_302600_NS6detail15normal_iteratorINSA_10device_ptrIiEEEEPS6_SG_NS0_5tupleIJNSA_16discard_iteratorINSA_11use_defaultEEESF_EEENSH_IJSG_SG_EEES6_PlJ7is_evenIiEEEE10hipError_tPvRmT3_T4_T5_T6_T7_T9_mT8_P12ihipStream_tbDpT10_ENKUlT_T0_E_clISt17integral_constantIbLb0EES18_IbLb1EEEEDaS14_S15_EUlS14_E_NS1_11comp_targetILNS1_3genE8ELNS1_11target_archE1030ELNS1_3gpuE2ELNS1_3repE0EEENS1_30default_config_static_selectorELNS0_4arch9wavefront6targetE1EEEvT1_.kd
    .uniform_work_group_size: 1
    .uses_dynamic_stack: false
    .vgpr_count:     0
    .vgpr_spill_count: 0
    .wavefront_size: 64
  - .agpr_count:     0
    .args:
      - .offset:         0
        .size:           136
        .value_kind:     by_value
    .group_segment_fixed_size: 0
    .kernarg_segment_align: 8
    .kernarg_segment_size: 136
    .language:       OpenCL C
    .language_version:
      - 2
      - 0
    .max_flat_workgroup_size: 256
    .name:           _ZN7rocprim17ROCPRIM_400000_NS6detail17trampoline_kernelINS0_14default_configENS1_25partition_config_selectorILNS1_17partition_subalgoE0EsNS0_10empty_typeEbEEZZNS1_14partition_implILS5_0ELb0ES3_jN6thrust23THRUST_200600_302600_NS6detail15normal_iteratorINSA_10device_ptrIsEEEEPS6_SG_NS0_5tupleIJNSA_16discard_iteratorINSA_11use_defaultEEESK_EEENSH_IJSG_SG_EEES6_PlJ7is_evenIsEEEE10hipError_tPvRmT3_T4_T5_T6_T7_T9_mT8_P12ihipStream_tbDpT10_ENKUlT_T0_E_clISt17integral_constantIbLb0EES19_EEDaS14_S15_EUlS14_E_NS1_11comp_targetILNS1_3genE0ELNS1_11target_archE4294967295ELNS1_3gpuE0ELNS1_3repE0EEENS1_30default_config_static_selectorELNS0_4arch9wavefront6targetE1EEEvT1_
    .private_segment_fixed_size: 0
    .sgpr_count:     6
    .sgpr_spill_count: 0
    .symbol:         _ZN7rocprim17ROCPRIM_400000_NS6detail17trampoline_kernelINS0_14default_configENS1_25partition_config_selectorILNS1_17partition_subalgoE0EsNS0_10empty_typeEbEEZZNS1_14partition_implILS5_0ELb0ES3_jN6thrust23THRUST_200600_302600_NS6detail15normal_iteratorINSA_10device_ptrIsEEEEPS6_SG_NS0_5tupleIJNSA_16discard_iteratorINSA_11use_defaultEEESK_EEENSH_IJSG_SG_EEES6_PlJ7is_evenIsEEEE10hipError_tPvRmT3_T4_T5_T6_T7_T9_mT8_P12ihipStream_tbDpT10_ENKUlT_T0_E_clISt17integral_constantIbLb0EES19_EEDaS14_S15_EUlS14_E_NS1_11comp_targetILNS1_3genE0ELNS1_11target_archE4294967295ELNS1_3gpuE0ELNS1_3repE0EEENS1_30default_config_static_selectorELNS0_4arch9wavefront6targetE1EEEvT1_.kd
    .uniform_work_group_size: 1
    .uses_dynamic_stack: false
    .vgpr_count:     0
    .vgpr_spill_count: 0
    .wavefront_size: 64
  - .agpr_count:     0
    .args:
      - .offset:         0
        .size:           136
        .value_kind:     by_value
    .group_segment_fixed_size: 30728
    .kernarg_segment_align: 8
    .kernarg_segment_size: 136
    .language:       OpenCL C
    .language_version:
      - 2
      - 0
    .max_flat_workgroup_size: 512
    .name:           _ZN7rocprim17ROCPRIM_400000_NS6detail17trampoline_kernelINS0_14default_configENS1_25partition_config_selectorILNS1_17partition_subalgoE0EsNS0_10empty_typeEbEEZZNS1_14partition_implILS5_0ELb0ES3_jN6thrust23THRUST_200600_302600_NS6detail15normal_iteratorINSA_10device_ptrIsEEEEPS6_SG_NS0_5tupleIJNSA_16discard_iteratorINSA_11use_defaultEEESK_EEENSH_IJSG_SG_EEES6_PlJ7is_evenIsEEEE10hipError_tPvRmT3_T4_T5_T6_T7_T9_mT8_P12ihipStream_tbDpT10_ENKUlT_T0_E_clISt17integral_constantIbLb0EES19_EEDaS14_S15_EUlS14_E_NS1_11comp_targetILNS1_3genE5ELNS1_11target_archE942ELNS1_3gpuE9ELNS1_3repE0EEENS1_30default_config_static_selectorELNS0_4arch9wavefront6targetE1EEEvT1_
    .private_segment_fixed_size: 0
    .sgpr_count:     42
    .sgpr_spill_count: 0
    .symbol:         _ZN7rocprim17ROCPRIM_400000_NS6detail17trampoline_kernelINS0_14default_configENS1_25partition_config_selectorILNS1_17partition_subalgoE0EsNS0_10empty_typeEbEEZZNS1_14partition_implILS5_0ELb0ES3_jN6thrust23THRUST_200600_302600_NS6detail15normal_iteratorINSA_10device_ptrIsEEEEPS6_SG_NS0_5tupleIJNSA_16discard_iteratorINSA_11use_defaultEEESK_EEENSH_IJSG_SG_EEES6_PlJ7is_evenIsEEEE10hipError_tPvRmT3_T4_T5_T6_T7_T9_mT8_P12ihipStream_tbDpT10_ENKUlT_T0_E_clISt17integral_constantIbLb0EES19_EEDaS14_S15_EUlS14_E_NS1_11comp_targetILNS1_3genE5ELNS1_11target_archE942ELNS1_3gpuE9ELNS1_3repE0EEENS1_30default_config_static_selectorELNS0_4arch9wavefront6targetE1EEEvT1_.kd
    .uniform_work_group_size: 1
    .uses_dynamic_stack: false
    .vgpr_count:     119
    .vgpr_spill_count: 0
    .wavefront_size: 64
  - .agpr_count:     0
    .args:
      - .offset:         0
        .size:           136
        .value_kind:     by_value
    .group_segment_fixed_size: 0
    .kernarg_segment_align: 8
    .kernarg_segment_size: 136
    .language:       OpenCL C
    .language_version:
      - 2
      - 0
    .max_flat_workgroup_size: 256
    .name:           _ZN7rocprim17ROCPRIM_400000_NS6detail17trampoline_kernelINS0_14default_configENS1_25partition_config_selectorILNS1_17partition_subalgoE0EsNS0_10empty_typeEbEEZZNS1_14partition_implILS5_0ELb0ES3_jN6thrust23THRUST_200600_302600_NS6detail15normal_iteratorINSA_10device_ptrIsEEEEPS6_SG_NS0_5tupleIJNSA_16discard_iteratorINSA_11use_defaultEEESK_EEENSH_IJSG_SG_EEES6_PlJ7is_evenIsEEEE10hipError_tPvRmT3_T4_T5_T6_T7_T9_mT8_P12ihipStream_tbDpT10_ENKUlT_T0_E_clISt17integral_constantIbLb0EES19_EEDaS14_S15_EUlS14_E_NS1_11comp_targetILNS1_3genE4ELNS1_11target_archE910ELNS1_3gpuE8ELNS1_3repE0EEENS1_30default_config_static_selectorELNS0_4arch9wavefront6targetE1EEEvT1_
    .private_segment_fixed_size: 0
    .sgpr_count:     6
    .sgpr_spill_count: 0
    .symbol:         _ZN7rocprim17ROCPRIM_400000_NS6detail17trampoline_kernelINS0_14default_configENS1_25partition_config_selectorILNS1_17partition_subalgoE0EsNS0_10empty_typeEbEEZZNS1_14partition_implILS5_0ELb0ES3_jN6thrust23THRUST_200600_302600_NS6detail15normal_iteratorINSA_10device_ptrIsEEEEPS6_SG_NS0_5tupleIJNSA_16discard_iteratorINSA_11use_defaultEEESK_EEENSH_IJSG_SG_EEES6_PlJ7is_evenIsEEEE10hipError_tPvRmT3_T4_T5_T6_T7_T9_mT8_P12ihipStream_tbDpT10_ENKUlT_T0_E_clISt17integral_constantIbLb0EES19_EEDaS14_S15_EUlS14_E_NS1_11comp_targetILNS1_3genE4ELNS1_11target_archE910ELNS1_3gpuE8ELNS1_3repE0EEENS1_30default_config_static_selectorELNS0_4arch9wavefront6targetE1EEEvT1_.kd
    .uniform_work_group_size: 1
    .uses_dynamic_stack: false
    .vgpr_count:     0
    .vgpr_spill_count: 0
    .wavefront_size: 64
  - .agpr_count:     0
    .args:
      - .offset:         0
        .size:           136
        .value_kind:     by_value
    .group_segment_fixed_size: 0
    .kernarg_segment_align: 8
    .kernarg_segment_size: 136
    .language:       OpenCL C
    .language_version:
      - 2
      - 0
    .max_flat_workgroup_size: 256
    .name:           _ZN7rocprim17ROCPRIM_400000_NS6detail17trampoline_kernelINS0_14default_configENS1_25partition_config_selectorILNS1_17partition_subalgoE0EsNS0_10empty_typeEbEEZZNS1_14partition_implILS5_0ELb0ES3_jN6thrust23THRUST_200600_302600_NS6detail15normal_iteratorINSA_10device_ptrIsEEEEPS6_SG_NS0_5tupleIJNSA_16discard_iteratorINSA_11use_defaultEEESK_EEENSH_IJSG_SG_EEES6_PlJ7is_evenIsEEEE10hipError_tPvRmT3_T4_T5_T6_T7_T9_mT8_P12ihipStream_tbDpT10_ENKUlT_T0_E_clISt17integral_constantIbLb0EES19_EEDaS14_S15_EUlS14_E_NS1_11comp_targetILNS1_3genE3ELNS1_11target_archE908ELNS1_3gpuE7ELNS1_3repE0EEENS1_30default_config_static_selectorELNS0_4arch9wavefront6targetE1EEEvT1_
    .private_segment_fixed_size: 0
    .sgpr_count:     6
    .sgpr_spill_count: 0
    .symbol:         _ZN7rocprim17ROCPRIM_400000_NS6detail17trampoline_kernelINS0_14default_configENS1_25partition_config_selectorILNS1_17partition_subalgoE0EsNS0_10empty_typeEbEEZZNS1_14partition_implILS5_0ELb0ES3_jN6thrust23THRUST_200600_302600_NS6detail15normal_iteratorINSA_10device_ptrIsEEEEPS6_SG_NS0_5tupleIJNSA_16discard_iteratorINSA_11use_defaultEEESK_EEENSH_IJSG_SG_EEES6_PlJ7is_evenIsEEEE10hipError_tPvRmT3_T4_T5_T6_T7_T9_mT8_P12ihipStream_tbDpT10_ENKUlT_T0_E_clISt17integral_constantIbLb0EES19_EEDaS14_S15_EUlS14_E_NS1_11comp_targetILNS1_3genE3ELNS1_11target_archE908ELNS1_3gpuE7ELNS1_3repE0EEENS1_30default_config_static_selectorELNS0_4arch9wavefront6targetE1EEEvT1_.kd
    .uniform_work_group_size: 1
    .uses_dynamic_stack: false
    .vgpr_count:     0
    .vgpr_spill_count: 0
    .wavefront_size: 64
  - .agpr_count:     0
    .args:
      - .offset:         0
        .size:           136
        .value_kind:     by_value
    .group_segment_fixed_size: 0
    .kernarg_segment_align: 8
    .kernarg_segment_size: 136
    .language:       OpenCL C
    .language_version:
      - 2
      - 0
    .max_flat_workgroup_size: 256
    .name:           _ZN7rocprim17ROCPRIM_400000_NS6detail17trampoline_kernelINS0_14default_configENS1_25partition_config_selectorILNS1_17partition_subalgoE0EsNS0_10empty_typeEbEEZZNS1_14partition_implILS5_0ELb0ES3_jN6thrust23THRUST_200600_302600_NS6detail15normal_iteratorINSA_10device_ptrIsEEEEPS6_SG_NS0_5tupleIJNSA_16discard_iteratorINSA_11use_defaultEEESK_EEENSH_IJSG_SG_EEES6_PlJ7is_evenIsEEEE10hipError_tPvRmT3_T4_T5_T6_T7_T9_mT8_P12ihipStream_tbDpT10_ENKUlT_T0_E_clISt17integral_constantIbLb0EES19_EEDaS14_S15_EUlS14_E_NS1_11comp_targetILNS1_3genE2ELNS1_11target_archE906ELNS1_3gpuE6ELNS1_3repE0EEENS1_30default_config_static_selectorELNS0_4arch9wavefront6targetE1EEEvT1_
    .private_segment_fixed_size: 0
    .sgpr_count:     6
    .sgpr_spill_count: 0
    .symbol:         _ZN7rocprim17ROCPRIM_400000_NS6detail17trampoline_kernelINS0_14default_configENS1_25partition_config_selectorILNS1_17partition_subalgoE0EsNS0_10empty_typeEbEEZZNS1_14partition_implILS5_0ELb0ES3_jN6thrust23THRUST_200600_302600_NS6detail15normal_iteratorINSA_10device_ptrIsEEEEPS6_SG_NS0_5tupleIJNSA_16discard_iteratorINSA_11use_defaultEEESK_EEENSH_IJSG_SG_EEES6_PlJ7is_evenIsEEEE10hipError_tPvRmT3_T4_T5_T6_T7_T9_mT8_P12ihipStream_tbDpT10_ENKUlT_T0_E_clISt17integral_constantIbLb0EES19_EEDaS14_S15_EUlS14_E_NS1_11comp_targetILNS1_3genE2ELNS1_11target_archE906ELNS1_3gpuE6ELNS1_3repE0EEENS1_30default_config_static_selectorELNS0_4arch9wavefront6targetE1EEEvT1_.kd
    .uniform_work_group_size: 1
    .uses_dynamic_stack: false
    .vgpr_count:     0
    .vgpr_spill_count: 0
    .wavefront_size: 64
  - .agpr_count:     0
    .args:
      - .offset:         0
        .size:           136
        .value_kind:     by_value
    .group_segment_fixed_size: 0
    .kernarg_segment_align: 8
    .kernarg_segment_size: 136
    .language:       OpenCL C
    .language_version:
      - 2
      - 0
    .max_flat_workgroup_size: 384
    .name:           _ZN7rocprim17ROCPRIM_400000_NS6detail17trampoline_kernelINS0_14default_configENS1_25partition_config_selectorILNS1_17partition_subalgoE0EsNS0_10empty_typeEbEEZZNS1_14partition_implILS5_0ELb0ES3_jN6thrust23THRUST_200600_302600_NS6detail15normal_iteratorINSA_10device_ptrIsEEEEPS6_SG_NS0_5tupleIJNSA_16discard_iteratorINSA_11use_defaultEEESK_EEENSH_IJSG_SG_EEES6_PlJ7is_evenIsEEEE10hipError_tPvRmT3_T4_T5_T6_T7_T9_mT8_P12ihipStream_tbDpT10_ENKUlT_T0_E_clISt17integral_constantIbLb0EES19_EEDaS14_S15_EUlS14_E_NS1_11comp_targetILNS1_3genE10ELNS1_11target_archE1200ELNS1_3gpuE4ELNS1_3repE0EEENS1_30default_config_static_selectorELNS0_4arch9wavefront6targetE1EEEvT1_
    .private_segment_fixed_size: 0
    .sgpr_count:     6
    .sgpr_spill_count: 0
    .symbol:         _ZN7rocprim17ROCPRIM_400000_NS6detail17trampoline_kernelINS0_14default_configENS1_25partition_config_selectorILNS1_17partition_subalgoE0EsNS0_10empty_typeEbEEZZNS1_14partition_implILS5_0ELb0ES3_jN6thrust23THRUST_200600_302600_NS6detail15normal_iteratorINSA_10device_ptrIsEEEEPS6_SG_NS0_5tupleIJNSA_16discard_iteratorINSA_11use_defaultEEESK_EEENSH_IJSG_SG_EEES6_PlJ7is_evenIsEEEE10hipError_tPvRmT3_T4_T5_T6_T7_T9_mT8_P12ihipStream_tbDpT10_ENKUlT_T0_E_clISt17integral_constantIbLb0EES19_EEDaS14_S15_EUlS14_E_NS1_11comp_targetILNS1_3genE10ELNS1_11target_archE1200ELNS1_3gpuE4ELNS1_3repE0EEENS1_30default_config_static_selectorELNS0_4arch9wavefront6targetE1EEEvT1_.kd
    .uniform_work_group_size: 1
    .uses_dynamic_stack: false
    .vgpr_count:     0
    .vgpr_spill_count: 0
    .wavefront_size: 64
  - .agpr_count:     0
    .args:
      - .offset:         0
        .size:           136
        .value_kind:     by_value
    .group_segment_fixed_size: 0
    .kernarg_segment_align: 8
    .kernarg_segment_size: 136
    .language:       OpenCL C
    .language_version:
      - 2
      - 0
    .max_flat_workgroup_size: 128
    .name:           _ZN7rocprim17ROCPRIM_400000_NS6detail17trampoline_kernelINS0_14default_configENS1_25partition_config_selectorILNS1_17partition_subalgoE0EsNS0_10empty_typeEbEEZZNS1_14partition_implILS5_0ELb0ES3_jN6thrust23THRUST_200600_302600_NS6detail15normal_iteratorINSA_10device_ptrIsEEEEPS6_SG_NS0_5tupleIJNSA_16discard_iteratorINSA_11use_defaultEEESK_EEENSH_IJSG_SG_EEES6_PlJ7is_evenIsEEEE10hipError_tPvRmT3_T4_T5_T6_T7_T9_mT8_P12ihipStream_tbDpT10_ENKUlT_T0_E_clISt17integral_constantIbLb0EES19_EEDaS14_S15_EUlS14_E_NS1_11comp_targetILNS1_3genE9ELNS1_11target_archE1100ELNS1_3gpuE3ELNS1_3repE0EEENS1_30default_config_static_selectorELNS0_4arch9wavefront6targetE1EEEvT1_
    .private_segment_fixed_size: 0
    .sgpr_count:     6
    .sgpr_spill_count: 0
    .symbol:         _ZN7rocprim17ROCPRIM_400000_NS6detail17trampoline_kernelINS0_14default_configENS1_25partition_config_selectorILNS1_17partition_subalgoE0EsNS0_10empty_typeEbEEZZNS1_14partition_implILS5_0ELb0ES3_jN6thrust23THRUST_200600_302600_NS6detail15normal_iteratorINSA_10device_ptrIsEEEEPS6_SG_NS0_5tupleIJNSA_16discard_iteratorINSA_11use_defaultEEESK_EEENSH_IJSG_SG_EEES6_PlJ7is_evenIsEEEE10hipError_tPvRmT3_T4_T5_T6_T7_T9_mT8_P12ihipStream_tbDpT10_ENKUlT_T0_E_clISt17integral_constantIbLb0EES19_EEDaS14_S15_EUlS14_E_NS1_11comp_targetILNS1_3genE9ELNS1_11target_archE1100ELNS1_3gpuE3ELNS1_3repE0EEENS1_30default_config_static_selectorELNS0_4arch9wavefront6targetE1EEEvT1_.kd
    .uniform_work_group_size: 1
    .uses_dynamic_stack: false
    .vgpr_count:     0
    .vgpr_spill_count: 0
    .wavefront_size: 64
  - .agpr_count:     0
    .args:
      - .offset:         0
        .size:           136
        .value_kind:     by_value
    .group_segment_fixed_size: 0
    .kernarg_segment_align: 8
    .kernarg_segment_size: 136
    .language:       OpenCL C
    .language_version:
      - 2
      - 0
    .max_flat_workgroup_size: 128
    .name:           _ZN7rocprim17ROCPRIM_400000_NS6detail17trampoline_kernelINS0_14default_configENS1_25partition_config_selectorILNS1_17partition_subalgoE0EsNS0_10empty_typeEbEEZZNS1_14partition_implILS5_0ELb0ES3_jN6thrust23THRUST_200600_302600_NS6detail15normal_iteratorINSA_10device_ptrIsEEEEPS6_SG_NS0_5tupleIJNSA_16discard_iteratorINSA_11use_defaultEEESK_EEENSH_IJSG_SG_EEES6_PlJ7is_evenIsEEEE10hipError_tPvRmT3_T4_T5_T6_T7_T9_mT8_P12ihipStream_tbDpT10_ENKUlT_T0_E_clISt17integral_constantIbLb0EES19_EEDaS14_S15_EUlS14_E_NS1_11comp_targetILNS1_3genE8ELNS1_11target_archE1030ELNS1_3gpuE2ELNS1_3repE0EEENS1_30default_config_static_selectorELNS0_4arch9wavefront6targetE1EEEvT1_
    .private_segment_fixed_size: 0
    .sgpr_count:     6
    .sgpr_spill_count: 0
    .symbol:         _ZN7rocprim17ROCPRIM_400000_NS6detail17trampoline_kernelINS0_14default_configENS1_25partition_config_selectorILNS1_17partition_subalgoE0EsNS0_10empty_typeEbEEZZNS1_14partition_implILS5_0ELb0ES3_jN6thrust23THRUST_200600_302600_NS6detail15normal_iteratorINSA_10device_ptrIsEEEEPS6_SG_NS0_5tupleIJNSA_16discard_iteratorINSA_11use_defaultEEESK_EEENSH_IJSG_SG_EEES6_PlJ7is_evenIsEEEE10hipError_tPvRmT3_T4_T5_T6_T7_T9_mT8_P12ihipStream_tbDpT10_ENKUlT_T0_E_clISt17integral_constantIbLb0EES19_EEDaS14_S15_EUlS14_E_NS1_11comp_targetILNS1_3genE8ELNS1_11target_archE1030ELNS1_3gpuE2ELNS1_3repE0EEENS1_30default_config_static_selectorELNS0_4arch9wavefront6targetE1EEEvT1_.kd
    .uniform_work_group_size: 1
    .uses_dynamic_stack: false
    .vgpr_count:     0
    .vgpr_spill_count: 0
    .wavefront_size: 64
  - .agpr_count:     0
    .args:
      - .offset:         0
        .size:           152
        .value_kind:     by_value
    .group_segment_fixed_size: 0
    .kernarg_segment_align: 8
    .kernarg_segment_size: 152
    .language:       OpenCL C
    .language_version:
      - 2
      - 0
    .max_flat_workgroup_size: 256
    .name:           _ZN7rocprim17ROCPRIM_400000_NS6detail17trampoline_kernelINS0_14default_configENS1_25partition_config_selectorILNS1_17partition_subalgoE0EsNS0_10empty_typeEbEEZZNS1_14partition_implILS5_0ELb0ES3_jN6thrust23THRUST_200600_302600_NS6detail15normal_iteratorINSA_10device_ptrIsEEEEPS6_SG_NS0_5tupleIJNSA_16discard_iteratorINSA_11use_defaultEEESK_EEENSH_IJSG_SG_EEES6_PlJ7is_evenIsEEEE10hipError_tPvRmT3_T4_T5_T6_T7_T9_mT8_P12ihipStream_tbDpT10_ENKUlT_T0_E_clISt17integral_constantIbLb1EES19_EEDaS14_S15_EUlS14_E_NS1_11comp_targetILNS1_3genE0ELNS1_11target_archE4294967295ELNS1_3gpuE0ELNS1_3repE0EEENS1_30default_config_static_selectorELNS0_4arch9wavefront6targetE1EEEvT1_
    .private_segment_fixed_size: 0
    .sgpr_count:     6
    .sgpr_spill_count: 0
    .symbol:         _ZN7rocprim17ROCPRIM_400000_NS6detail17trampoline_kernelINS0_14default_configENS1_25partition_config_selectorILNS1_17partition_subalgoE0EsNS0_10empty_typeEbEEZZNS1_14partition_implILS5_0ELb0ES3_jN6thrust23THRUST_200600_302600_NS6detail15normal_iteratorINSA_10device_ptrIsEEEEPS6_SG_NS0_5tupleIJNSA_16discard_iteratorINSA_11use_defaultEEESK_EEENSH_IJSG_SG_EEES6_PlJ7is_evenIsEEEE10hipError_tPvRmT3_T4_T5_T6_T7_T9_mT8_P12ihipStream_tbDpT10_ENKUlT_T0_E_clISt17integral_constantIbLb1EES19_EEDaS14_S15_EUlS14_E_NS1_11comp_targetILNS1_3genE0ELNS1_11target_archE4294967295ELNS1_3gpuE0ELNS1_3repE0EEENS1_30default_config_static_selectorELNS0_4arch9wavefront6targetE1EEEvT1_.kd
    .uniform_work_group_size: 1
    .uses_dynamic_stack: false
    .vgpr_count:     0
    .vgpr_spill_count: 0
    .wavefront_size: 64
  - .agpr_count:     0
    .args:
      - .offset:         0
        .size:           152
        .value_kind:     by_value
    .group_segment_fixed_size: 30728
    .kernarg_segment_align: 8
    .kernarg_segment_size: 152
    .language:       OpenCL C
    .language_version:
      - 2
      - 0
    .max_flat_workgroup_size: 512
    .name:           _ZN7rocprim17ROCPRIM_400000_NS6detail17trampoline_kernelINS0_14default_configENS1_25partition_config_selectorILNS1_17partition_subalgoE0EsNS0_10empty_typeEbEEZZNS1_14partition_implILS5_0ELb0ES3_jN6thrust23THRUST_200600_302600_NS6detail15normal_iteratorINSA_10device_ptrIsEEEEPS6_SG_NS0_5tupleIJNSA_16discard_iteratorINSA_11use_defaultEEESK_EEENSH_IJSG_SG_EEES6_PlJ7is_evenIsEEEE10hipError_tPvRmT3_T4_T5_T6_T7_T9_mT8_P12ihipStream_tbDpT10_ENKUlT_T0_E_clISt17integral_constantIbLb1EES19_EEDaS14_S15_EUlS14_E_NS1_11comp_targetILNS1_3genE5ELNS1_11target_archE942ELNS1_3gpuE9ELNS1_3repE0EEENS1_30default_config_static_selectorELNS0_4arch9wavefront6targetE1EEEvT1_
    .private_segment_fixed_size: 0
    .sgpr_count:     42
    .sgpr_spill_count: 0
    .symbol:         _ZN7rocprim17ROCPRIM_400000_NS6detail17trampoline_kernelINS0_14default_configENS1_25partition_config_selectorILNS1_17partition_subalgoE0EsNS0_10empty_typeEbEEZZNS1_14partition_implILS5_0ELb0ES3_jN6thrust23THRUST_200600_302600_NS6detail15normal_iteratorINSA_10device_ptrIsEEEEPS6_SG_NS0_5tupleIJNSA_16discard_iteratorINSA_11use_defaultEEESK_EEENSH_IJSG_SG_EEES6_PlJ7is_evenIsEEEE10hipError_tPvRmT3_T4_T5_T6_T7_T9_mT8_P12ihipStream_tbDpT10_ENKUlT_T0_E_clISt17integral_constantIbLb1EES19_EEDaS14_S15_EUlS14_E_NS1_11comp_targetILNS1_3genE5ELNS1_11target_archE942ELNS1_3gpuE9ELNS1_3repE0EEENS1_30default_config_static_selectorELNS0_4arch9wavefront6targetE1EEEvT1_.kd
    .uniform_work_group_size: 1
    .uses_dynamic_stack: false
    .vgpr_count:     121
    .vgpr_spill_count: 0
    .wavefront_size: 64
  - .agpr_count:     0
    .args:
      - .offset:         0
        .size:           152
        .value_kind:     by_value
    .group_segment_fixed_size: 0
    .kernarg_segment_align: 8
    .kernarg_segment_size: 152
    .language:       OpenCL C
    .language_version:
      - 2
      - 0
    .max_flat_workgroup_size: 256
    .name:           _ZN7rocprim17ROCPRIM_400000_NS6detail17trampoline_kernelINS0_14default_configENS1_25partition_config_selectorILNS1_17partition_subalgoE0EsNS0_10empty_typeEbEEZZNS1_14partition_implILS5_0ELb0ES3_jN6thrust23THRUST_200600_302600_NS6detail15normal_iteratorINSA_10device_ptrIsEEEEPS6_SG_NS0_5tupleIJNSA_16discard_iteratorINSA_11use_defaultEEESK_EEENSH_IJSG_SG_EEES6_PlJ7is_evenIsEEEE10hipError_tPvRmT3_T4_T5_T6_T7_T9_mT8_P12ihipStream_tbDpT10_ENKUlT_T0_E_clISt17integral_constantIbLb1EES19_EEDaS14_S15_EUlS14_E_NS1_11comp_targetILNS1_3genE4ELNS1_11target_archE910ELNS1_3gpuE8ELNS1_3repE0EEENS1_30default_config_static_selectorELNS0_4arch9wavefront6targetE1EEEvT1_
    .private_segment_fixed_size: 0
    .sgpr_count:     6
    .sgpr_spill_count: 0
    .symbol:         _ZN7rocprim17ROCPRIM_400000_NS6detail17trampoline_kernelINS0_14default_configENS1_25partition_config_selectorILNS1_17partition_subalgoE0EsNS0_10empty_typeEbEEZZNS1_14partition_implILS5_0ELb0ES3_jN6thrust23THRUST_200600_302600_NS6detail15normal_iteratorINSA_10device_ptrIsEEEEPS6_SG_NS0_5tupleIJNSA_16discard_iteratorINSA_11use_defaultEEESK_EEENSH_IJSG_SG_EEES6_PlJ7is_evenIsEEEE10hipError_tPvRmT3_T4_T5_T6_T7_T9_mT8_P12ihipStream_tbDpT10_ENKUlT_T0_E_clISt17integral_constantIbLb1EES19_EEDaS14_S15_EUlS14_E_NS1_11comp_targetILNS1_3genE4ELNS1_11target_archE910ELNS1_3gpuE8ELNS1_3repE0EEENS1_30default_config_static_selectorELNS0_4arch9wavefront6targetE1EEEvT1_.kd
    .uniform_work_group_size: 1
    .uses_dynamic_stack: false
    .vgpr_count:     0
    .vgpr_spill_count: 0
    .wavefront_size: 64
  - .agpr_count:     0
    .args:
      - .offset:         0
        .size:           152
        .value_kind:     by_value
    .group_segment_fixed_size: 0
    .kernarg_segment_align: 8
    .kernarg_segment_size: 152
    .language:       OpenCL C
    .language_version:
      - 2
      - 0
    .max_flat_workgroup_size: 256
    .name:           _ZN7rocprim17ROCPRIM_400000_NS6detail17trampoline_kernelINS0_14default_configENS1_25partition_config_selectorILNS1_17partition_subalgoE0EsNS0_10empty_typeEbEEZZNS1_14partition_implILS5_0ELb0ES3_jN6thrust23THRUST_200600_302600_NS6detail15normal_iteratorINSA_10device_ptrIsEEEEPS6_SG_NS0_5tupleIJNSA_16discard_iteratorINSA_11use_defaultEEESK_EEENSH_IJSG_SG_EEES6_PlJ7is_evenIsEEEE10hipError_tPvRmT3_T4_T5_T6_T7_T9_mT8_P12ihipStream_tbDpT10_ENKUlT_T0_E_clISt17integral_constantIbLb1EES19_EEDaS14_S15_EUlS14_E_NS1_11comp_targetILNS1_3genE3ELNS1_11target_archE908ELNS1_3gpuE7ELNS1_3repE0EEENS1_30default_config_static_selectorELNS0_4arch9wavefront6targetE1EEEvT1_
    .private_segment_fixed_size: 0
    .sgpr_count:     6
    .sgpr_spill_count: 0
    .symbol:         _ZN7rocprim17ROCPRIM_400000_NS6detail17trampoline_kernelINS0_14default_configENS1_25partition_config_selectorILNS1_17partition_subalgoE0EsNS0_10empty_typeEbEEZZNS1_14partition_implILS5_0ELb0ES3_jN6thrust23THRUST_200600_302600_NS6detail15normal_iteratorINSA_10device_ptrIsEEEEPS6_SG_NS0_5tupleIJNSA_16discard_iteratorINSA_11use_defaultEEESK_EEENSH_IJSG_SG_EEES6_PlJ7is_evenIsEEEE10hipError_tPvRmT3_T4_T5_T6_T7_T9_mT8_P12ihipStream_tbDpT10_ENKUlT_T0_E_clISt17integral_constantIbLb1EES19_EEDaS14_S15_EUlS14_E_NS1_11comp_targetILNS1_3genE3ELNS1_11target_archE908ELNS1_3gpuE7ELNS1_3repE0EEENS1_30default_config_static_selectorELNS0_4arch9wavefront6targetE1EEEvT1_.kd
    .uniform_work_group_size: 1
    .uses_dynamic_stack: false
    .vgpr_count:     0
    .vgpr_spill_count: 0
    .wavefront_size: 64
  - .agpr_count:     0
    .args:
      - .offset:         0
        .size:           152
        .value_kind:     by_value
    .group_segment_fixed_size: 0
    .kernarg_segment_align: 8
    .kernarg_segment_size: 152
    .language:       OpenCL C
    .language_version:
      - 2
      - 0
    .max_flat_workgroup_size: 256
    .name:           _ZN7rocprim17ROCPRIM_400000_NS6detail17trampoline_kernelINS0_14default_configENS1_25partition_config_selectorILNS1_17partition_subalgoE0EsNS0_10empty_typeEbEEZZNS1_14partition_implILS5_0ELb0ES3_jN6thrust23THRUST_200600_302600_NS6detail15normal_iteratorINSA_10device_ptrIsEEEEPS6_SG_NS0_5tupleIJNSA_16discard_iteratorINSA_11use_defaultEEESK_EEENSH_IJSG_SG_EEES6_PlJ7is_evenIsEEEE10hipError_tPvRmT3_T4_T5_T6_T7_T9_mT8_P12ihipStream_tbDpT10_ENKUlT_T0_E_clISt17integral_constantIbLb1EES19_EEDaS14_S15_EUlS14_E_NS1_11comp_targetILNS1_3genE2ELNS1_11target_archE906ELNS1_3gpuE6ELNS1_3repE0EEENS1_30default_config_static_selectorELNS0_4arch9wavefront6targetE1EEEvT1_
    .private_segment_fixed_size: 0
    .sgpr_count:     6
    .sgpr_spill_count: 0
    .symbol:         _ZN7rocprim17ROCPRIM_400000_NS6detail17trampoline_kernelINS0_14default_configENS1_25partition_config_selectorILNS1_17partition_subalgoE0EsNS0_10empty_typeEbEEZZNS1_14partition_implILS5_0ELb0ES3_jN6thrust23THRUST_200600_302600_NS6detail15normal_iteratorINSA_10device_ptrIsEEEEPS6_SG_NS0_5tupleIJNSA_16discard_iteratorINSA_11use_defaultEEESK_EEENSH_IJSG_SG_EEES6_PlJ7is_evenIsEEEE10hipError_tPvRmT3_T4_T5_T6_T7_T9_mT8_P12ihipStream_tbDpT10_ENKUlT_T0_E_clISt17integral_constantIbLb1EES19_EEDaS14_S15_EUlS14_E_NS1_11comp_targetILNS1_3genE2ELNS1_11target_archE906ELNS1_3gpuE6ELNS1_3repE0EEENS1_30default_config_static_selectorELNS0_4arch9wavefront6targetE1EEEvT1_.kd
    .uniform_work_group_size: 1
    .uses_dynamic_stack: false
    .vgpr_count:     0
    .vgpr_spill_count: 0
    .wavefront_size: 64
  - .agpr_count:     0
    .args:
      - .offset:         0
        .size:           152
        .value_kind:     by_value
    .group_segment_fixed_size: 0
    .kernarg_segment_align: 8
    .kernarg_segment_size: 152
    .language:       OpenCL C
    .language_version:
      - 2
      - 0
    .max_flat_workgroup_size: 384
    .name:           _ZN7rocprim17ROCPRIM_400000_NS6detail17trampoline_kernelINS0_14default_configENS1_25partition_config_selectorILNS1_17partition_subalgoE0EsNS0_10empty_typeEbEEZZNS1_14partition_implILS5_0ELb0ES3_jN6thrust23THRUST_200600_302600_NS6detail15normal_iteratorINSA_10device_ptrIsEEEEPS6_SG_NS0_5tupleIJNSA_16discard_iteratorINSA_11use_defaultEEESK_EEENSH_IJSG_SG_EEES6_PlJ7is_evenIsEEEE10hipError_tPvRmT3_T4_T5_T6_T7_T9_mT8_P12ihipStream_tbDpT10_ENKUlT_T0_E_clISt17integral_constantIbLb1EES19_EEDaS14_S15_EUlS14_E_NS1_11comp_targetILNS1_3genE10ELNS1_11target_archE1200ELNS1_3gpuE4ELNS1_3repE0EEENS1_30default_config_static_selectorELNS0_4arch9wavefront6targetE1EEEvT1_
    .private_segment_fixed_size: 0
    .sgpr_count:     6
    .sgpr_spill_count: 0
    .symbol:         _ZN7rocprim17ROCPRIM_400000_NS6detail17trampoline_kernelINS0_14default_configENS1_25partition_config_selectorILNS1_17partition_subalgoE0EsNS0_10empty_typeEbEEZZNS1_14partition_implILS5_0ELb0ES3_jN6thrust23THRUST_200600_302600_NS6detail15normal_iteratorINSA_10device_ptrIsEEEEPS6_SG_NS0_5tupleIJNSA_16discard_iteratorINSA_11use_defaultEEESK_EEENSH_IJSG_SG_EEES6_PlJ7is_evenIsEEEE10hipError_tPvRmT3_T4_T5_T6_T7_T9_mT8_P12ihipStream_tbDpT10_ENKUlT_T0_E_clISt17integral_constantIbLb1EES19_EEDaS14_S15_EUlS14_E_NS1_11comp_targetILNS1_3genE10ELNS1_11target_archE1200ELNS1_3gpuE4ELNS1_3repE0EEENS1_30default_config_static_selectorELNS0_4arch9wavefront6targetE1EEEvT1_.kd
    .uniform_work_group_size: 1
    .uses_dynamic_stack: false
    .vgpr_count:     0
    .vgpr_spill_count: 0
    .wavefront_size: 64
  - .agpr_count:     0
    .args:
      - .offset:         0
        .size:           152
        .value_kind:     by_value
    .group_segment_fixed_size: 0
    .kernarg_segment_align: 8
    .kernarg_segment_size: 152
    .language:       OpenCL C
    .language_version:
      - 2
      - 0
    .max_flat_workgroup_size: 128
    .name:           _ZN7rocprim17ROCPRIM_400000_NS6detail17trampoline_kernelINS0_14default_configENS1_25partition_config_selectorILNS1_17partition_subalgoE0EsNS0_10empty_typeEbEEZZNS1_14partition_implILS5_0ELb0ES3_jN6thrust23THRUST_200600_302600_NS6detail15normal_iteratorINSA_10device_ptrIsEEEEPS6_SG_NS0_5tupleIJNSA_16discard_iteratorINSA_11use_defaultEEESK_EEENSH_IJSG_SG_EEES6_PlJ7is_evenIsEEEE10hipError_tPvRmT3_T4_T5_T6_T7_T9_mT8_P12ihipStream_tbDpT10_ENKUlT_T0_E_clISt17integral_constantIbLb1EES19_EEDaS14_S15_EUlS14_E_NS1_11comp_targetILNS1_3genE9ELNS1_11target_archE1100ELNS1_3gpuE3ELNS1_3repE0EEENS1_30default_config_static_selectorELNS0_4arch9wavefront6targetE1EEEvT1_
    .private_segment_fixed_size: 0
    .sgpr_count:     6
    .sgpr_spill_count: 0
    .symbol:         _ZN7rocprim17ROCPRIM_400000_NS6detail17trampoline_kernelINS0_14default_configENS1_25partition_config_selectorILNS1_17partition_subalgoE0EsNS0_10empty_typeEbEEZZNS1_14partition_implILS5_0ELb0ES3_jN6thrust23THRUST_200600_302600_NS6detail15normal_iteratorINSA_10device_ptrIsEEEEPS6_SG_NS0_5tupleIJNSA_16discard_iteratorINSA_11use_defaultEEESK_EEENSH_IJSG_SG_EEES6_PlJ7is_evenIsEEEE10hipError_tPvRmT3_T4_T5_T6_T7_T9_mT8_P12ihipStream_tbDpT10_ENKUlT_T0_E_clISt17integral_constantIbLb1EES19_EEDaS14_S15_EUlS14_E_NS1_11comp_targetILNS1_3genE9ELNS1_11target_archE1100ELNS1_3gpuE3ELNS1_3repE0EEENS1_30default_config_static_selectorELNS0_4arch9wavefront6targetE1EEEvT1_.kd
    .uniform_work_group_size: 1
    .uses_dynamic_stack: false
    .vgpr_count:     0
    .vgpr_spill_count: 0
    .wavefront_size: 64
  - .agpr_count:     0
    .args:
      - .offset:         0
        .size:           152
        .value_kind:     by_value
    .group_segment_fixed_size: 0
    .kernarg_segment_align: 8
    .kernarg_segment_size: 152
    .language:       OpenCL C
    .language_version:
      - 2
      - 0
    .max_flat_workgroup_size: 128
    .name:           _ZN7rocprim17ROCPRIM_400000_NS6detail17trampoline_kernelINS0_14default_configENS1_25partition_config_selectorILNS1_17partition_subalgoE0EsNS0_10empty_typeEbEEZZNS1_14partition_implILS5_0ELb0ES3_jN6thrust23THRUST_200600_302600_NS6detail15normal_iteratorINSA_10device_ptrIsEEEEPS6_SG_NS0_5tupleIJNSA_16discard_iteratorINSA_11use_defaultEEESK_EEENSH_IJSG_SG_EEES6_PlJ7is_evenIsEEEE10hipError_tPvRmT3_T4_T5_T6_T7_T9_mT8_P12ihipStream_tbDpT10_ENKUlT_T0_E_clISt17integral_constantIbLb1EES19_EEDaS14_S15_EUlS14_E_NS1_11comp_targetILNS1_3genE8ELNS1_11target_archE1030ELNS1_3gpuE2ELNS1_3repE0EEENS1_30default_config_static_selectorELNS0_4arch9wavefront6targetE1EEEvT1_
    .private_segment_fixed_size: 0
    .sgpr_count:     6
    .sgpr_spill_count: 0
    .symbol:         _ZN7rocprim17ROCPRIM_400000_NS6detail17trampoline_kernelINS0_14default_configENS1_25partition_config_selectorILNS1_17partition_subalgoE0EsNS0_10empty_typeEbEEZZNS1_14partition_implILS5_0ELb0ES3_jN6thrust23THRUST_200600_302600_NS6detail15normal_iteratorINSA_10device_ptrIsEEEEPS6_SG_NS0_5tupleIJNSA_16discard_iteratorINSA_11use_defaultEEESK_EEENSH_IJSG_SG_EEES6_PlJ7is_evenIsEEEE10hipError_tPvRmT3_T4_T5_T6_T7_T9_mT8_P12ihipStream_tbDpT10_ENKUlT_T0_E_clISt17integral_constantIbLb1EES19_EEDaS14_S15_EUlS14_E_NS1_11comp_targetILNS1_3genE8ELNS1_11target_archE1030ELNS1_3gpuE2ELNS1_3repE0EEENS1_30default_config_static_selectorELNS0_4arch9wavefront6targetE1EEEvT1_.kd
    .uniform_work_group_size: 1
    .uses_dynamic_stack: false
    .vgpr_count:     0
    .vgpr_spill_count: 0
    .wavefront_size: 64
  - .agpr_count:     0
    .args:
      - .offset:         0
        .size:           136
        .value_kind:     by_value
    .group_segment_fixed_size: 0
    .kernarg_segment_align: 8
    .kernarg_segment_size: 136
    .language:       OpenCL C
    .language_version:
      - 2
      - 0
    .max_flat_workgroup_size: 256
    .name:           _ZN7rocprim17ROCPRIM_400000_NS6detail17trampoline_kernelINS0_14default_configENS1_25partition_config_selectorILNS1_17partition_subalgoE0EsNS0_10empty_typeEbEEZZNS1_14partition_implILS5_0ELb0ES3_jN6thrust23THRUST_200600_302600_NS6detail15normal_iteratorINSA_10device_ptrIsEEEEPS6_SG_NS0_5tupleIJNSA_16discard_iteratorINSA_11use_defaultEEESK_EEENSH_IJSG_SG_EEES6_PlJ7is_evenIsEEEE10hipError_tPvRmT3_T4_T5_T6_T7_T9_mT8_P12ihipStream_tbDpT10_ENKUlT_T0_E_clISt17integral_constantIbLb1EES18_IbLb0EEEEDaS14_S15_EUlS14_E_NS1_11comp_targetILNS1_3genE0ELNS1_11target_archE4294967295ELNS1_3gpuE0ELNS1_3repE0EEENS1_30default_config_static_selectorELNS0_4arch9wavefront6targetE1EEEvT1_
    .private_segment_fixed_size: 0
    .sgpr_count:     6
    .sgpr_spill_count: 0
    .symbol:         _ZN7rocprim17ROCPRIM_400000_NS6detail17trampoline_kernelINS0_14default_configENS1_25partition_config_selectorILNS1_17partition_subalgoE0EsNS0_10empty_typeEbEEZZNS1_14partition_implILS5_0ELb0ES3_jN6thrust23THRUST_200600_302600_NS6detail15normal_iteratorINSA_10device_ptrIsEEEEPS6_SG_NS0_5tupleIJNSA_16discard_iteratorINSA_11use_defaultEEESK_EEENSH_IJSG_SG_EEES6_PlJ7is_evenIsEEEE10hipError_tPvRmT3_T4_T5_T6_T7_T9_mT8_P12ihipStream_tbDpT10_ENKUlT_T0_E_clISt17integral_constantIbLb1EES18_IbLb0EEEEDaS14_S15_EUlS14_E_NS1_11comp_targetILNS1_3genE0ELNS1_11target_archE4294967295ELNS1_3gpuE0ELNS1_3repE0EEENS1_30default_config_static_selectorELNS0_4arch9wavefront6targetE1EEEvT1_.kd
    .uniform_work_group_size: 1
    .uses_dynamic_stack: false
    .vgpr_count:     0
    .vgpr_spill_count: 0
    .wavefront_size: 64
  - .agpr_count:     0
    .args:
      - .offset:         0
        .size:           136
        .value_kind:     by_value
    .group_segment_fixed_size: 30728
    .kernarg_segment_align: 8
    .kernarg_segment_size: 136
    .language:       OpenCL C
    .language_version:
      - 2
      - 0
    .max_flat_workgroup_size: 512
    .name:           _ZN7rocprim17ROCPRIM_400000_NS6detail17trampoline_kernelINS0_14default_configENS1_25partition_config_selectorILNS1_17partition_subalgoE0EsNS0_10empty_typeEbEEZZNS1_14partition_implILS5_0ELb0ES3_jN6thrust23THRUST_200600_302600_NS6detail15normal_iteratorINSA_10device_ptrIsEEEEPS6_SG_NS0_5tupleIJNSA_16discard_iteratorINSA_11use_defaultEEESK_EEENSH_IJSG_SG_EEES6_PlJ7is_evenIsEEEE10hipError_tPvRmT3_T4_T5_T6_T7_T9_mT8_P12ihipStream_tbDpT10_ENKUlT_T0_E_clISt17integral_constantIbLb1EES18_IbLb0EEEEDaS14_S15_EUlS14_E_NS1_11comp_targetILNS1_3genE5ELNS1_11target_archE942ELNS1_3gpuE9ELNS1_3repE0EEENS1_30default_config_static_selectorELNS0_4arch9wavefront6targetE1EEEvT1_
    .private_segment_fixed_size: 0
    .sgpr_count:     42
    .sgpr_spill_count: 0
    .symbol:         _ZN7rocprim17ROCPRIM_400000_NS6detail17trampoline_kernelINS0_14default_configENS1_25partition_config_selectorILNS1_17partition_subalgoE0EsNS0_10empty_typeEbEEZZNS1_14partition_implILS5_0ELb0ES3_jN6thrust23THRUST_200600_302600_NS6detail15normal_iteratorINSA_10device_ptrIsEEEEPS6_SG_NS0_5tupleIJNSA_16discard_iteratorINSA_11use_defaultEEESK_EEENSH_IJSG_SG_EEES6_PlJ7is_evenIsEEEE10hipError_tPvRmT3_T4_T5_T6_T7_T9_mT8_P12ihipStream_tbDpT10_ENKUlT_T0_E_clISt17integral_constantIbLb1EES18_IbLb0EEEEDaS14_S15_EUlS14_E_NS1_11comp_targetILNS1_3genE5ELNS1_11target_archE942ELNS1_3gpuE9ELNS1_3repE0EEENS1_30default_config_static_selectorELNS0_4arch9wavefront6targetE1EEEvT1_.kd
    .uniform_work_group_size: 1
    .uses_dynamic_stack: false
    .vgpr_count:     119
    .vgpr_spill_count: 0
    .wavefront_size: 64
  - .agpr_count:     0
    .args:
      - .offset:         0
        .size:           136
        .value_kind:     by_value
    .group_segment_fixed_size: 0
    .kernarg_segment_align: 8
    .kernarg_segment_size: 136
    .language:       OpenCL C
    .language_version:
      - 2
      - 0
    .max_flat_workgroup_size: 256
    .name:           _ZN7rocprim17ROCPRIM_400000_NS6detail17trampoline_kernelINS0_14default_configENS1_25partition_config_selectorILNS1_17partition_subalgoE0EsNS0_10empty_typeEbEEZZNS1_14partition_implILS5_0ELb0ES3_jN6thrust23THRUST_200600_302600_NS6detail15normal_iteratorINSA_10device_ptrIsEEEEPS6_SG_NS0_5tupleIJNSA_16discard_iteratorINSA_11use_defaultEEESK_EEENSH_IJSG_SG_EEES6_PlJ7is_evenIsEEEE10hipError_tPvRmT3_T4_T5_T6_T7_T9_mT8_P12ihipStream_tbDpT10_ENKUlT_T0_E_clISt17integral_constantIbLb1EES18_IbLb0EEEEDaS14_S15_EUlS14_E_NS1_11comp_targetILNS1_3genE4ELNS1_11target_archE910ELNS1_3gpuE8ELNS1_3repE0EEENS1_30default_config_static_selectorELNS0_4arch9wavefront6targetE1EEEvT1_
    .private_segment_fixed_size: 0
    .sgpr_count:     6
    .sgpr_spill_count: 0
    .symbol:         _ZN7rocprim17ROCPRIM_400000_NS6detail17trampoline_kernelINS0_14default_configENS1_25partition_config_selectorILNS1_17partition_subalgoE0EsNS0_10empty_typeEbEEZZNS1_14partition_implILS5_0ELb0ES3_jN6thrust23THRUST_200600_302600_NS6detail15normal_iteratorINSA_10device_ptrIsEEEEPS6_SG_NS0_5tupleIJNSA_16discard_iteratorINSA_11use_defaultEEESK_EEENSH_IJSG_SG_EEES6_PlJ7is_evenIsEEEE10hipError_tPvRmT3_T4_T5_T6_T7_T9_mT8_P12ihipStream_tbDpT10_ENKUlT_T0_E_clISt17integral_constantIbLb1EES18_IbLb0EEEEDaS14_S15_EUlS14_E_NS1_11comp_targetILNS1_3genE4ELNS1_11target_archE910ELNS1_3gpuE8ELNS1_3repE0EEENS1_30default_config_static_selectorELNS0_4arch9wavefront6targetE1EEEvT1_.kd
    .uniform_work_group_size: 1
    .uses_dynamic_stack: false
    .vgpr_count:     0
    .vgpr_spill_count: 0
    .wavefront_size: 64
  - .agpr_count:     0
    .args:
      - .offset:         0
        .size:           136
        .value_kind:     by_value
    .group_segment_fixed_size: 0
    .kernarg_segment_align: 8
    .kernarg_segment_size: 136
    .language:       OpenCL C
    .language_version:
      - 2
      - 0
    .max_flat_workgroup_size: 256
    .name:           _ZN7rocprim17ROCPRIM_400000_NS6detail17trampoline_kernelINS0_14default_configENS1_25partition_config_selectorILNS1_17partition_subalgoE0EsNS0_10empty_typeEbEEZZNS1_14partition_implILS5_0ELb0ES3_jN6thrust23THRUST_200600_302600_NS6detail15normal_iteratorINSA_10device_ptrIsEEEEPS6_SG_NS0_5tupleIJNSA_16discard_iteratorINSA_11use_defaultEEESK_EEENSH_IJSG_SG_EEES6_PlJ7is_evenIsEEEE10hipError_tPvRmT3_T4_T5_T6_T7_T9_mT8_P12ihipStream_tbDpT10_ENKUlT_T0_E_clISt17integral_constantIbLb1EES18_IbLb0EEEEDaS14_S15_EUlS14_E_NS1_11comp_targetILNS1_3genE3ELNS1_11target_archE908ELNS1_3gpuE7ELNS1_3repE0EEENS1_30default_config_static_selectorELNS0_4arch9wavefront6targetE1EEEvT1_
    .private_segment_fixed_size: 0
    .sgpr_count:     6
    .sgpr_spill_count: 0
    .symbol:         _ZN7rocprim17ROCPRIM_400000_NS6detail17trampoline_kernelINS0_14default_configENS1_25partition_config_selectorILNS1_17partition_subalgoE0EsNS0_10empty_typeEbEEZZNS1_14partition_implILS5_0ELb0ES3_jN6thrust23THRUST_200600_302600_NS6detail15normal_iteratorINSA_10device_ptrIsEEEEPS6_SG_NS0_5tupleIJNSA_16discard_iteratorINSA_11use_defaultEEESK_EEENSH_IJSG_SG_EEES6_PlJ7is_evenIsEEEE10hipError_tPvRmT3_T4_T5_T6_T7_T9_mT8_P12ihipStream_tbDpT10_ENKUlT_T0_E_clISt17integral_constantIbLb1EES18_IbLb0EEEEDaS14_S15_EUlS14_E_NS1_11comp_targetILNS1_3genE3ELNS1_11target_archE908ELNS1_3gpuE7ELNS1_3repE0EEENS1_30default_config_static_selectorELNS0_4arch9wavefront6targetE1EEEvT1_.kd
    .uniform_work_group_size: 1
    .uses_dynamic_stack: false
    .vgpr_count:     0
    .vgpr_spill_count: 0
    .wavefront_size: 64
  - .agpr_count:     0
    .args:
      - .offset:         0
        .size:           136
        .value_kind:     by_value
    .group_segment_fixed_size: 0
    .kernarg_segment_align: 8
    .kernarg_segment_size: 136
    .language:       OpenCL C
    .language_version:
      - 2
      - 0
    .max_flat_workgroup_size: 256
    .name:           _ZN7rocprim17ROCPRIM_400000_NS6detail17trampoline_kernelINS0_14default_configENS1_25partition_config_selectorILNS1_17partition_subalgoE0EsNS0_10empty_typeEbEEZZNS1_14partition_implILS5_0ELb0ES3_jN6thrust23THRUST_200600_302600_NS6detail15normal_iteratorINSA_10device_ptrIsEEEEPS6_SG_NS0_5tupleIJNSA_16discard_iteratorINSA_11use_defaultEEESK_EEENSH_IJSG_SG_EEES6_PlJ7is_evenIsEEEE10hipError_tPvRmT3_T4_T5_T6_T7_T9_mT8_P12ihipStream_tbDpT10_ENKUlT_T0_E_clISt17integral_constantIbLb1EES18_IbLb0EEEEDaS14_S15_EUlS14_E_NS1_11comp_targetILNS1_3genE2ELNS1_11target_archE906ELNS1_3gpuE6ELNS1_3repE0EEENS1_30default_config_static_selectorELNS0_4arch9wavefront6targetE1EEEvT1_
    .private_segment_fixed_size: 0
    .sgpr_count:     6
    .sgpr_spill_count: 0
    .symbol:         _ZN7rocprim17ROCPRIM_400000_NS6detail17trampoline_kernelINS0_14default_configENS1_25partition_config_selectorILNS1_17partition_subalgoE0EsNS0_10empty_typeEbEEZZNS1_14partition_implILS5_0ELb0ES3_jN6thrust23THRUST_200600_302600_NS6detail15normal_iteratorINSA_10device_ptrIsEEEEPS6_SG_NS0_5tupleIJNSA_16discard_iteratorINSA_11use_defaultEEESK_EEENSH_IJSG_SG_EEES6_PlJ7is_evenIsEEEE10hipError_tPvRmT3_T4_T5_T6_T7_T9_mT8_P12ihipStream_tbDpT10_ENKUlT_T0_E_clISt17integral_constantIbLb1EES18_IbLb0EEEEDaS14_S15_EUlS14_E_NS1_11comp_targetILNS1_3genE2ELNS1_11target_archE906ELNS1_3gpuE6ELNS1_3repE0EEENS1_30default_config_static_selectorELNS0_4arch9wavefront6targetE1EEEvT1_.kd
    .uniform_work_group_size: 1
    .uses_dynamic_stack: false
    .vgpr_count:     0
    .vgpr_spill_count: 0
    .wavefront_size: 64
  - .agpr_count:     0
    .args:
      - .offset:         0
        .size:           136
        .value_kind:     by_value
    .group_segment_fixed_size: 0
    .kernarg_segment_align: 8
    .kernarg_segment_size: 136
    .language:       OpenCL C
    .language_version:
      - 2
      - 0
    .max_flat_workgroup_size: 384
    .name:           _ZN7rocprim17ROCPRIM_400000_NS6detail17trampoline_kernelINS0_14default_configENS1_25partition_config_selectorILNS1_17partition_subalgoE0EsNS0_10empty_typeEbEEZZNS1_14partition_implILS5_0ELb0ES3_jN6thrust23THRUST_200600_302600_NS6detail15normal_iteratorINSA_10device_ptrIsEEEEPS6_SG_NS0_5tupleIJNSA_16discard_iteratorINSA_11use_defaultEEESK_EEENSH_IJSG_SG_EEES6_PlJ7is_evenIsEEEE10hipError_tPvRmT3_T4_T5_T6_T7_T9_mT8_P12ihipStream_tbDpT10_ENKUlT_T0_E_clISt17integral_constantIbLb1EES18_IbLb0EEEEDaS14_S15_EUlS14_E_NS1_11comp_targetILNS1_3genE10ELNS1_11target_archE1200ELNS1_3gpuE4ELNS1_3repE0EEENS1_30default_config_static_selectorELNS0_4arch9wavefront6targetE1EEEvT1_
    .private_segment_fixed_size: 0
    .sgpr_count:     6
    .sgpr_spill_count: 0
    .symbol:         _ZN7rocprim17ROCPRIM_400000_NS6detail17trampoline_kernelINS0_14default_configENS1_25partition_config_selectorILNS1_17partition_subalgoE0EsNS0_10empty_typeEbEEZZNS1_14partition_implILS5_0ELb0ES3_jN6thrust23THRUST_200600_302600_NS6detail15normal_iteratorINSA_10device_ptrIsEEEEPS6_SG_NS0_5tupleIJNSA_16discard_iteratorINSA_11use_defaultEEESK_EEENSH_IJSG_SG_EEES6_PlJ7is_evenIsEEEE10hipError_tPvRmT3_T4_T5_T6_T7_T9_mT8_P12ihipStream_tbDpT10_ENKUlT_T0_E_clISt17integral_constantIbLb1EES18_IbLb0EEEEDaS14_S15_EUlS14_E_NS1_11comp_targetILNS1_3genE10ELNS1_11target_archE1200ELNS1_3gpuE4ELNS1_3repE0EEENS1_30default_config_static_selectorELNS0_4arch9wavefront6targetE1EEEvT1_.kd
    .uniform_work_group_size: 1
    .uses_dynamic_stack: false
    .vgpr_count:     0
    .vgpr_spill_count: 0
    .wavefront_size: 64
  - .agpr_count:     0
    .args:
      - .offset:         0
        .size:           136
        .value_kind:     by_value
    .group_segment_fixed_size: 0
    .kernarg_segment_align: 8
    .kernarg_segment_size: 136
    .language:       OpenCL C
    .language_version:
      - 2
      - 0
    .max_flat_workgroup_size: 128
    .name:           _ZN7rocprim17ROCPRIM_400000_NS6detail17trampoline_kernelINS0_14default_configENS1_25partition_config_selectorILNS1_17partition_subalgoE0EsNS0_10empty_typeEbEEZZNS1_14partition_implILS5_0ELb0ES3_jN6thrust23THRUST_200600_302600_NS6detail15normal_iteratorINSA_10device_ptrIsEEEEPS6_SG_NS0_5tupleIJNSA_16discard_iteratorINSA_11use_defaultEEESK_EEENSH_IJSG_SG_EEES6_PlJ7is_evenIsEEEE10hipError_tPvRmT3_T4_T5_T6_T7_T9_mT8_P12ihipStream_tbDpT10_ENKUlT_T0_E_clISt17integral_constantIbLb1EES18_IbLb0EEEEDaS14_S15_EUlS14_E_NS1_11comp_targetILNS1_3genE9ELNS1_11target_archE1100ELNS1_3gpuE3ELNS1_3repE0EEENS1_30default_config_static_selectorELNS0_4arch9wavefront6targetE1EEEvT1_
    .private_segment_fixed_size: 0
    .sgpr_count:     6
    .sgpr_spill_count: 0
    .symbol:         _ZN7rocprim17ROCPRIM_400000_NS6detail17trampoline_kernelINS0_14default_configENS1_25partition_config_selectorILNS1_17partition_subalgoE0EsNS0_10empty_typeEbEEZZNS1_14partition_implILS5_0ELb0ES3_jN6thrust23THRUST_200600_302600_NS6detail15normal_iteratorINSA_10device_ptrIsEEEEPS6_SG_NS0_5tupleIJNSA_16discard_iteratorINSA_11use_defaultEEESK_EEENSH_IJSG_SG_EEES6_PlJ7is_evenIsEEEE10hipError_tPvRmT3_T4_T5_T6_T7_T9_mT8_P12ihipStream_tbDpT10_ENKUlT_T0_E_clISt17integral_constantIbLb1EES18_IbLb0EEEEDaS14_S15_EUlS14_E_NS1_11comp_targetILNS1_3genE9ELNS1_11target_archE1100ELNS1_3gpuE3ELNS1_3repE0EEENS1_30default_config_static_selectorELNS0_4arch9wavefront6targetE1EEEvT1_.kd
    .uniform_work_group_size: 1
    .uses_dynamic_stack: false
    .vgpr_count:     0
    .vgpr_spill_count: 0
    .wavefront_size: 64
  - .agpr_count:     0
    .args:
      - .offset:         0
        .size:           136
        .value_kind:     by_value
    .group_segment_fixed_size: 0
    .kernarg_segment_align: 8
    .kernarg_segment_size: 136
    .language:       OpenCL C
    .language_version:
      - 2
      - 0
    .max_flat_workgroup_size: 128
    .name:           _ZN7rocprim17ROCPRIM_400000_NS6detail17trampoline_kernelINS0_14default_configENS1_25partition_config_selectorILNS1_17partition_subalgoE0EsNS0_10empty_typeEbEEZZNS1_14partition_implILS5_0ELb0ES3_jN6thrust23THRUST_200600_302600_NS6detail15normal_iteratorINSA_10device_ptrIsEEEEPS6_SG_NS0_5tupleIJNSA_16discard_iteratorINSA_11use_defaultEEESK_EEENSH_IJSG_SG_EEES6_PlJ7is_evenIsEEEE10hipError_tPvRmT3_T4_T5_T6_T7_T9_mT8_P12ihipStream_tbDpT10_ENKUlT_T0_E_clISt17integral_constantIbLb1EES18_IbLb0EEEEDaS14_S15_EUlS14_E_NS1_11comp_targetILNS1_3genE8ELNS1_11target_archE1030ELNS1_3gpuE2ELNS1_3repE0EEENS1_30default_config_static_selectorELNS0_4arch9wavefront6targetE1EEEvT1_
    .private_segment_fixed_size: 0
    .sgpr_count:     6
    .sgpr_spill_count: 0
    .symbol:         _ZN7rocprim17ROCPRIM_400000_NS6detail17trampoline_kernelINS0_14default_configENS1_25partition_config_selectorILNS1_17partition_subalgoE0EsNS0_10empty_typeEbEEZZNS1_14partition_implILS5_0ELb0ES3_jN6thrust23THRUST_200600_302600_NS6detail15normal_iteratorINSA_10device_ptrIsEEEEPS6_SG_NS0_5tupleIJNSA_16discard_iteratorINSA_11use_defaultEEESK_EEENSH_IJSG_SG_EEES6_PlJ7is_evenIsEEEE10hipError_tPvRmT3_T4_T5_T6_T7_T9_mT8_P12ihipStream_tbDpT10_ENKUlT_T0_E_clISt17integral_constantIbLb1EES18_IbLb0EEEEDaS14_S15_EUlS14_E_NS1_11comp_targetILNS1_3genE8ELNS1_11target_archE1030ELNS1_3gpuE2ELNS1_3repE0EEENS1_30default_config_static_selectorELNS0_4arch9wavefront6targetE1EEEvT1_.kd
    .uniform_work_group_size: 1
    .uses_dynamic_stack: false
    .vgpr_count:     0
    .vgpr_spill_count: 0
    .wavefront_size: 64
  - .agpr_count:     0
    .args:
      - .offset:         0
        .size:           152
        .value_kind:     by_value
    .group_segment_fixed_size: 0
    .kernarg_segment_align: 8
    .kernarg_segment_size: 152
    .language:       OpenCL C
    .language_version:
      - 2
      - 0
    .max_flat_workgroup_size: 256
    .name:           _ZN7rocprim17ROCPRIM_400000_NS6detail17trampoline_kernelINS0_14default_configENS1_25partition_config_selectorILNS1_17partition_subalgoE0EsNS0_10empty_typeEbEEZZNS1_14partition_implILS5_0ELb0ES3_jN6thrust23THRUST_200600_302600_NS6detail15normal_iteratorINSA_10device_ptrIsEEEEPS6_SG_NS0_5tupleIJNSA_16discard_iteratorINSA_11use_defaultEEESK_EEENSH_IJSG_SG_EEES6_PlJ7is_evenIsEEEE10hipError_tPvRmT3_T4_T5_T6_T7_T9_mT8_P12ihipStream_tbDpT10_ENKUlT_T0_E_clISt17integral_constantIbLb0EES18_IbLb1EEEEDaS14_S15_EUlS14_E_NS1_11comp_targetILNS1_3genE0ELNS1_11target_archE4294967295ELNS1_3gpuE0ELNS1_3repE0EEENS1_30default_config_static_selectorELNS0_4arch9wavefront6targetE1EEEvT1_
    .private_segment_fixed_size: 0
    .sgpr_count:     6
    .sgpr_spill_count: 0
    .symbol:         _ZN7rocprim17ROCPRIM_400000_NS6detail17trampoline_kernelINS0_14default_configENS1_25partition_config_selectorILNS1_17partition_subalgoE0EsNS0_10empty_typeEbEEZZNS1_14partition_implILS5_0ELb0ES3_jN6thrust23THRUST_200600_302600_NS6detail15normal_iteratorINSA_10device_ptrIsEEEEPS6_SG_NS0_5tupleIJNSA_16discard_iteratorINSA_11use_defaultEEESK_EEENSH_IJSG_SG_EEES6_PlJ7is_evenIsEEEE10hipError_tPvRmT3_T4_T5_T6_T7_T9_mT8_P12ihipStream_tbDpT10_ENKUlT_T0_E_clISt17integral_constantIbLb0EES18_IbLb1EEEEDaS14_S15_EUlS14_E_NS1_11comp_targetILNS1_3genE0ELNS1_11target_archE4294967295ELNS1_3gpuE0ELNS1_3repE0EEENS1_30default_config_static_selectorELNS0_4arch9wavefront6targetE1EEEvT1_.kd
    .uniform_work_group_size: 1
    .uses_dynamic_stack: false
    .vgpr_count:     0
    .vgpr_spill_count: 0
    .wavefront_size: 64
  - .agpr_count:     0
    .args:
      - .offset:         0
        .size:           152
        .value_kind:     by_value
    .group_segment_fixed_size: 30728
    .kernarg_segment_align: 8
    .kernarg_segment_size: 152
    .language:       OpenCL C
    .language_version:
      - 2
      - 0
    .max_flat_workgroup_size: 512
    .name:           _ZN7rocprim17ROCPRIM_400000_NS6detail17trampoline_kernelINS0_14default_configENS1_25partition_config_selectorILNS1_17partition_subalgoE0EsNS0_10empty_typeEbEEZZNS1_14partition_implILS5_0ELb0ES3_jN6thrust23THRUST_200600_302600_NS6detail15normal_iteratorINSA_10device_ptrIsEEEEPS6_SG_NS0_5tupleIJNSA_16discard_iteratorINSA_11use_defaultEEESK_EEENSH_IJSG_SG_EEES6_PlJ7is_evenIsEEEE10hipError_tPvRmT3_T4_T5_T6_T7_T9_mT8_P12ihipStream_tbDpT10_ENKUlT_T0_E_clISt17integral_constantIbLb0EES18_IbLb1EEEEDaS14_S15_EUlS14_E_NS1_11comp_targetILNS1_3genE5ELNS1_11target_archE942ELNS1_3gpuE9ELNS1_3repE0EEENS1_30default_config_static_selectorELNS0_4arch9wavefront6targetE1EEEvT1_
    .private_segment_fixed_size: 0
    .sgpr_count:     42
    .sgpr_spill_count: 0
    .symbol:         _ZN7rocprim17ROCPRIM_400000_NS6detail17trampoline_kernelINS0_14default_configENS1_25partition_config_selectorILNS1_17partition_subalgoE0EsNS0_10empty_typeEbEEZZNS1_14partition_implILS5_0ELb0ES3_jN6thrust23THRUST_200600_302600_NS6detail15normal_iteratorINSA_10device_ptrIsEEEEPS6_SG_NS0_5tupleIJNSA_16discard_iteratorINSA_11use_defaultEEESK_EEENSH_IJSG_SG_EEES6_PlJ7is_evenIsEEEE10hipError_tPvRmT3_T4_T5_T6_T7_T9_mT8_P12ihipStream_tbDpT10_ENKUlT_T0_E_clISt17integral_constantIbLb0EES18_IbLb1EEEEDaS14_S15_EUlS14_E_NS1_11comp_targetILNS1_3genE5ELNS1_11target_archE942ELNS1_3gpuE9ELNS1_3repE0EEENS1_30default_config_static_selectorELNS0_4arch9wavefront6targetE1EEEvT1_.kd
    .uniform_work_group_size: 1
    .uses_dynamic_stack: false
    .vgpr_count:     121
    .vgpr_spill_count: 0
    .wavefront_size: 64
  - .agpr_count:     0
    .args:
      - .offset:         0
        .size:           152
        .value_kind:     by_value
    .group_segment_fixed_size: 0
    .kernarg_segment_align: 8
    .kernarg_segment_size: 152
    .language:       OpenCL C
    .language_version:
      - 2
      - 0
    .max_flat_workgroup_size: 256
    .name:           _ZN7rocprim17ROCPRIM_400000_NS6detail17trampoline_kernelINS0_14default_configENS1_25partition_config_selectorILNS1_17partition_subalgoE0EsNS0_10empty_typeEbEEZZNS1_14partition_implILS5_0ELb0ES3_jN6thrust23THRUST_200600_302600_NS6detail15normal_iteratorINSA_10device_ptrIsEEEEPS6_SG_NS0_5tupleIJNSA_16discard_iteratorINSA_11use_defaultEEESK_EEENSH_IJSG_SG_EEES6_PlJ7is_evenIsEEEE10hipError_tPvRmT3_T4_T5_T6_T7_T9_mT8_P12ihipStream_tbDpT10_ENKUlT_T0_E_clISt17integral_constantIbLb0EES18_IbLb1EEEEDaS14_S15_EUlS14_E_NS1_11comp_targetILNS1_3genE4ELNS1_11target_archE910ELNS1_3gpuE8ELNS1_3repE0EEENS1_30default_config_static_selectorELNS0_4arch9wavefront6targetE1EEEvT1_
    .private_segment_fixed_size: 0
    .sgpr_count:     6
    .sgpr_spill_count: 0
    .symbol:         _ZN7rocprim17ROCPRIM_400000_NS6detail17trampoline_kernelINS0_14default_configENS1_25partition_config_selectorILNS1_17partition_subalgoE0EsNS0_10empty_typeEbEEZZNS1_14partition_implILS5_0ELb0ES3_jN6thrust23THRUST_200600_302600_NS6detail15normal_iteratorINSA_10device_ptrIsEEEEPS6_SG_NS0_5tupleIJNSA_16discard_iteratorINSA_11use_defaultEEESK_EEENSH_IJSG_SG_EEES6_PlJ7is_evenIsEEEE10hipError_tPvRmT3_T4_T5_T6_T7_T9_mT8_P12ihipStream_tbDpT10_ENKUlT_T0_E_clISt17integral_constantIbLb0EES18_IbLb1EEEEDaS14_S15_EUlS14_E_NS1_11comp_targetILNS1_3genE4ELNS1_11target_archE910ELNS1_3gpuE8ELNS1_3repE0EEENS1_30default_config_static_selectorELNS0_4arch9wavefront6targetE1EEEvT1_.kd
    .uniform_work_group_size: 1
    .uses_dynamic_stack: false
    .vgpr_count:     0
    .vgpr_spill_count: 0
    .wavefront_size: 64
  - .agpr_count:     0
    .args:
      - .offset:         0
        .size:           152
        .value_kind:     by_value
    .group_segment_fixed_size: 0
    .kernarg_segment_align: 8
    .kernarg_segment_size: 152
    .language:       OpenCL C
    .language_version:
      - 2
      - 0
    .max_flat_workgroup_size: 256
    .name:           _ZN7rocprim17ROCPRIM_400000_NS6detail17trampoline_kernelINS0_14default_configENS1_25partition_config_selectorILNS1_17partition_subalgoE0EsNS0_10empty_typeEbEEZZNS1_14partition_implILS5_0ELb0ES3_jN6thrust23THRUST_200600_302600_NS6detail15normal_iteratorINSA_10device_ptrIsEEEEPS6_SG_NS0_5tupleIJNSA_16discard_iteratorINSA_11use_defaultEEESK_EEENSH_IJSG_SG_EEES6_PlJ7is_evenIsEEEE10hipError_tPvRmT3_T4_T5_T6_T7_T9_mT8_P12ihipStream_tbDpT10_ENKUlT_T0_E_clISt17integral_constantIbLb0EES18_IbLb1EEEEDaS14_S15_EUlS14_E_NS1_11comp_targetILNS1_3genE3ELNS1_11target_archE908ELNS1_3gpuE7ELNS1_3repE0EEENS1_30default_config_static_selectorELNS0_4arch9wavefront6targetE1EEEvT1_
    .private_segment_fixed_size: 0
    .sgpr_count:     6
    .sgpr_spill_count: 0
    .symbol:         _ZN7rocprim17ROCPRIM_400000_NS6detail17trampoline_kernelINS0_14default_configENS1_25partition_config_selectorILNS1_17partition_subalgoE0EsNS0_10empty_typeEbEEZZNS1_14partition_implILS5_0ELb0ES3_jN6thrust23THRUST_200600_302600_NS6detail15normal_iteratorINSA_10device_ptrIsEEEEPS6_SG_NS0_5tupleIJNSA_16discard_iteratorINSA_11use_defaultEEESK_EEENSH_IJSG_SG_EEES6_PlJ7is_evenIsEEEE10hipError_tPvRmT3_T4_T5_T6_T7_T9_mT8_P12ihipStream_tbDpT10_ENKUlT_T0_E_clISt17integral_constantIbLb0EES18_IbLb1EEEEDaS14_S15_EUlS14_E_NS1_11comp_targetILNS1_3genE3ELNS1_11target_archE908ELNS1_3gpuE7ELNS1_3repE0EEENS1_30default_config_static_selectorELNS0_4arch9wavefront6targetE1EEEvT1_.kd
    .uniform_work_group_size: 1
    .uses_dynamic_stack: false
    .vgpr_count:     0
    .vgpr_spill_count: 0
    .wavefront_size: 64
  - .agpr_count:     0
    .args:
      - .offset:         0
        .size:           152
        .value_kind:     by_value
    .group_segment_fixed_size: 0
    .kernarg_segment_align: 8
    .kernarg_segment_size: 152
    .language:       OpenCL C
    .language_version:
      - 2
      - 0
    .max_flat_workgroup_size: 256
    .name:           _ZN7rocprim17ROCPRIM_400000_NS6detail17trampoline_kernelINS0_14default_configENS1_25partition_config_selectorILNS1_17partition_subalgoE0EsNS0_10empty_typeEbEEZZNS1_14partition_implILS5_0ELb0ES3_jN6thrust23THRUST_200600_302600_NS6detail15normal_iteratorINSA_10device_ptrIsEEEEPS6_SG_NS0_5tupleIJNSA_16discard_iteratorINSA_11use_defaultEEESK_EEENSH_IJSG_SG_EEES6_PlJ7is_evenIsEEEE10hipError_tPvRmT3_T4_T5_T6_T7_T9_mT8_P12ihipStream_tbDpT10_ENKUlT_T0_E_clISt17integral_constantIbLb0EES18_IbLb1EEEEDaS14_S15_EUlS14_E_NS1_11comp_targetILNS1_3genE2ELNS1_11target_archE906ELNS1_3gpuE6ELNS1_3repE0EEENS1_30default_config_static_selectorELNS0_4arch9wavefront6targetE1EEEvT1_
    .private_segment_fixed_size: 0
    .sgpr_count:     6
    .sgpr_spill_count: 0
    .symbol:         _ZN7rocprim17ROCPRIM_400000_NS6detail17trampoline_kernelINS0_14default_configENS1_25partition_config_selectorILNS1_17partition_subalgoE0EsNS0_10empty_typeEbEEZZNS1_14partition_implILS5_0ELb0ES3_jN6thrust23THRUST_200600_302600_NS6detail15normal_iteratorINSA_10device_ptrIsEEEEPS6_SG_NS0_5tupleIJNSA_16discard_iteratorINSA_11use_defaultEEESK_EEENSH_IJSG_SG_EEES6_PlJ7is_evenIsEEEE10hipError_tPvRmT3_T4_T5_T6_T7_T9_mT8_P12ihipStream_tbDpT10_ENKUlT_T0_E_clISt17integral_constantIbLb0EES18_IbLb1EEEEDaS14_S15_EUlS14_E_NS1_11comp_targetILNS1_3genE2ELNS1_11target_archE906ELNS1_3gpuE6ELNS1_3repE0EEENS1_30default_config_static_selectorELNS0_4arch9wavefront6targetE1EEEvT1_.kd
    .uniform_work_group_size: 1
    .uses_dynamic_stack: false
    .vgpr_count:     0
    .vgpr_spill_count: 0
    .wavefront_size: 64
  - .agpr_count:     0
    .args:
      - .offset:         0
        .size:           152
        .value_kind:     by_value
    .group_segment_fixed_size: 0
    .kernarg_segment_align: 8
    .kernarg_segment_size: 152
    .language:       OpenCL C
    .language_version:
      - 2
      - 0
    .max_flat_workgroup_size: 384
    .name:           _ZN7rocprim17ROCPRIM_400000_NS6detail17trampoline_kernelINS0_14default_configENS1_25partition_config_selectorILNS1_17partition_subalgoE0EsNS0_10empty_typeEbEEZZNS1_14partition_implILS5_0ELb0ES3_jN6thrust23THRUST_200600_302600_NS6detail15normal_iteratorINSA_10device_ptrIsEEEEPS6_SG_NS0_5tupleIJNSA_16discard_iteratorINSA_11use_defaultEEESK_EEENSH_IJSG_SG_EEES6_PlJ7is_evenIsEEEE10hipError_tPvRmT3_T4_T5_T6_T7_T9_mT8_P12ihipStream_tbDpT10_ENKUlT_T0_E_clISt17integral_constantIbLb0EES18_IbLb1EEEEDaS14_S15_EUlS14_E_NS1_11comp_targetILNS1_3genE10ELNS1_11target_archE1200ELNS1_3gpuE4ELNS1_3repE0EEENS1_30default_config_static_selectorELNS0_4arch9wavefront6targetE1EEEvT1_
    .private_segment_fixed_size: 0
    .sgpr_count:     6
    .sgpr_spill_count: 0
    .symbol:         _ZN7rocprim17ROCPRIM_400000_NS6detail17trampoline_kernelINS0_14default_configENS1_25partition_config_selectorILNS1_17partition_subalgoE0EsNS0_10empty_typeEbEEZZNS1_14partition_implILS5_0ELb0ES3_jN6thrust23THRUST_200600_302600_NS6detail15normal_iteratorINSA_10device_ptrIsEEEEPS6_SG_NS0_5tupleIJNSA_16discard_iteratorINSA_11use_defaultEEESK_EEENSH_IJSG_SG_EEES6_PlJ7is_evenIsEEEE10hipError_tPvRmT3_T4_T5_T6_T7_T9_mT8_P12ihipStream_tbDpT10_ENKUlT_T0_E_clISt17integral_constantIbLb0EES18_IbLb1EEEEDaS14_S15_EUlS14_E_NS1_11comp_targetILNS1_3genE10ELNS1_11target_archE1200ELNS1_3gpuE4ELNS1_3repE0EEENS1_30default_config_static_selectorELNS0_4arch9wavefront6targetE1EEEvT1_.kd
    .uniform_work_group_size: 1
    .uses_dynamic_stack: false
    .vgpr_count:     0
    .vgpr_spill_count: 0
    .wavefront_size: 64
  - .agpr_count:     0
    .args:
      - .offset:         0
        .size:           152
        .value_kind:     by_value
    .group_segment_fixed_size: 0
    .kernarg_segment_align: 8
    .kernarg_segment_size: 152
    .language:       OpenCL C
    .language_version:
      - 2
      - 0
    .max_flat_workgroup_size: 128
    .name:           _ZN7rocprim17ROCPRIM_400000_NS6detail17trampoline_kernelINS0_14default_configENS1_25partition_config_selectorILNS1_17partition_subalgoE0EsNS0_10empty_typeEbEEZZNS1_14partition_implILS5_0ELb0ES3_jN6thrust23THRUST_200600_302600_NS6detail15normal_iteratorINSA_10device_ptrIsEEEEPS6_SG_NS0_5tupleIJNSA_16discard_iteratorINSA_11use_defaultEEESK_EEENSH_IJSG_SG_EEES6_PlJ7is_evenIsEEEE10hipError_tPvRmT3_T4_T5_T6_T7_T9_mT8_P12ihipStream_tbDpT10_ENKUlT_T0_E_clISt17integral_constantIbLb0EES18_IbLb1EEEEDaS14_S15_EUlS14_E_NS1_11comp_targetILNS1_3genE9ELNS1_11target_archE1100ELNS1_3gpuE3ELNS1_3repE0EEENS1_30default_config_static_selectorELNS0_4arch9wavefront6targetE1EEEvT1_
    .private_segment_fixed_size: 0
    .sgpr_count:     6
    .sgpr_spill_count: 0
    .symbol:         _ZN7rocprim17ROCPRIM_400000_NS6detail17trampoline_kernelINS0_14default_configENS1_25partition_config_selectorILNS1_17partition_subalgoE0EsNS0_10empty_typeEbEEZZNS1_14partition_implILS5_0ELb0ES3_jN6thrust23THRUST_200600_302600_NS6detail15normal_iteratorINSA_10device_ptrIsEEEEPS6_SG_NS0_5tupleIJNSA_16discard_iteratorINSA_11use_defaultEEESK_EEENSH_IJSG_SG_EEES6_PlJ7is_evenIsEEEE10hipError_tPvRmT3_T4_T5_T6_T7_T9_mT8_P12ihipStream_tbDpT10_ENKUlT_T0_E_clISt17integral_constantIbLb0EES18_IbLb1EEEEDaS14_S15_EUlS14_E_NS1_11comp_targetILNS1_3genE9ELNS1_11target_archE1100ELNS1_3gpuE3ELNS1_3repE0EEENS1_30default_config_static_selectorELNS0_4arch9wavefront6targetE1EEEvT1_.kd
    .uniform_work_group_size: 1
    .uses_dynamic_stack: false
    .vgpr_count:     0
    .vgpr_spill_count: 0
    .wavefront_size: 64
  - .agpr_count:     0
    .args:
      - .offset:         0
        .size:           152
        .value_kind:     by_value
    .group_segment_fixed_size: 0
    .kernarg_segment_align: 8
    .kernarg_segment_size: 152
    .language:       OpenCL C
    .language_version:
      - 2
      - 0
    .max_flat_workgroup_size: 128
    .name:           _ZN7rocprim17ROCPRIM_400000_NS6detail17trampoline_kernelINS0_14default_configENS1_25partition_config_selectorILNS1_17partition_subalgoE0EsNS0_10empty_typeEbEEZZNS1_14partition_implILS5_0ELb0ES3_jN6thrust23THRUST_200600_302600_NS6detail15normal_iteratorINSA_10device_ptrIsEEEEPS6_SG_NS0_5tupleIJNSA_16discard_iteratorINSA_11use_defaultEEESK_EEENSH_IJSG_SG_EEES6_PlJ7is_evenIsEEEE10hipError_tPvRmT3_T4_T5_T6_T7_T9_mT8_P12ihipStream_tbDpT10_ENKUlT_T0_E_clISt17integral_constantIbLb0EES18_IbLb1EEEEDaS14_S15_EUlS14_E_NS1_11comp_targetILNS1_3genE8ELNS1_11target_archE1030ELNS1_3gpuE2ELNS1_3repE0EEENS1_30default_config_static_selectorELNS0_4arch9wavefront6targetE1EEEvT1_
    .private_segment_fixed_size: 0
    .sgpr_count:     6
    .sgpr_spill_count: 0
    .symbol:         _ZN7rocprim17ROCPRIM_400000_NS6detail17trampoline_kernelINS0_14default_configENS1_25partition_config_selectorILNS1_17partition_subalgoE0EsNS0_10empty_typeEbEEZZNS1_14partition_implILS5_0ELb0ES3_jN6thrust23THRUST_200600_302600_NS6detail15normal_iteratorINSA_10device_ptrIsEEEEPS6_SG_NS0_5tupleIJNSA_16discard_iteratorINSA_11use_defaultEEESK_EEENSH_IJSG_SG_EEES6_PlJ7is_evenIsEEEE10hipError_tPvRmT3_T4_T5_T6_T7_T9_mT8_P12ihipStream_tbDpT10_ENKUlT_T0_E_clISt17integral_constantIbLb0EES18_IbLb1EEEEDaS14_S15_EUlS14_E_NS1_11comp_targetILNS1_3genE8ELNS1_11target_archE1030ELNS1_3gpuE2ELNS1_3repE0EEENS1_30default_config_static_selectorELNS0_4arch9wavefront6targetE1EEEvT1_.kd
    .uniform_work_group_size: 1
    .uses_dynamic_stack: false
    .vgpr_count:     0
    .vgpr_spill_count: 0
    .wavefront_size: 64
  - .agpr_count:     0
    .args:
      - .offset:         0
        .size:           128
        .value_kind:     by_value
    .group_segment_fixed_size: 0
    .kernarg_segment_align: 8
    .kernarg_segment_size: 128
    .language:       OpenCL C
    .language_version:
      - 2
      - 0
    .max_flat_workgroup_size: 256
    .name:           _ZN7rocprim17ROCPRIM_400000_NS6detail17trampoline_kernelINS0_14default_configENS1_25partition_config_selectorILNS1_17partition_subalgoE0EsNS0_10empty_typeEbEEZZNS1_14partition_implILS5_0ELb0ES3_jN6thrust23THRUST_200600_302600_NS6detail15normal_iteratorINSA_10device_ptrIsEEEEPS6_SG_NS0_5tupleIJSF_NSA_16discard_iteratorINSA_11use_defaultEEEEEENSH_IJSG_SG_EEES6_PlJ7is_evenIsEEEE10hipError_tPvRmT3_T4_T5_T6_T7_T9_mT8_P12ihipStream_tbDpT10_ENKUlT_T0_E_clISt17integral_constantIbLb0EES19_EEDaS14_S15_EUlS14_E_NS1_11comp_targetILNS1_3genE0ELNS1_11target_archE4294967295ELNS1_3gpuE0ELNS1_3repE0EEENS1_30default_config_static_selectorELNS0_4arch9wavefront6targetE1EEEvT1_
    .private_segment_fixed_size: 0
    .sgpr_count:     6
    .sgpr_spill_count: 0
    .symbol:         _ZN7rocprim17ROCPRIM_400000_NS6detail17trampoline_kernelINS0_14default_configENS1_25partition_config_selectorILNS1_17partition_subalgoE0EsNS0_10empty_typeEbEEZZNS1_14partition_implILS5_0ELb0ES3_jN6thrust23THRUST_200600_302600_NS6detail15normal_iteratorINSA_10device_ptrIsEEEEPS6_SG_NS0_5tupleIJSF_NSA_16discard_iteratorINSA_11use_defaultEEEEEENSH_IJSG_SG_EEES6_PlJ7is_evenIsEEEE10hipError_tPvRmT3_T4_T5_T6_T7_T9_mT8_P12ihipStream_tbDpT10_ENKUlT_T0_E_clISt17integral_constantIbLb0EES19_EEDaS14_S15_EUlS14_E_NS1_11comp_targetILNS1_3genE0ELNS1_11target_archE4294967295ELNS1_3gpuE0ELNS1_3repE0EEENS1_30default_config_static_selectorELNS0_4arch9wavefront6targetE1EEEvT1_.kd
    .uniform_work_group_size: 1
    .uses_dynamic_stack: false
    .vgpr_count:     0
    .vgpr_spill_count: 0
    .wavefront_size: 64
  - .agpr_count:     0
    .args:
      - .offset:         0
        .size:           128
        .value_kind:     by_value
    .group_segment_fixed_size: 30728
    .kernarg_segment_align: 8
    .kernarg_segment_size: 128
    .language:       OpenCL C
    .language_version:
      - 2
      - 0
    .max_flat_workgroup_size: 512
    .name:           _ZN7rocprim17ROCPRIM_400000_NS6detail17trampoline_kernelINS0_14default_configENS1_25partition_config_selectorILNS1_17partition_subalgoE0EsNS0_10empty_typeEbEEZZNS1_14partition_implILS5_0ELb0ES3_jN6thrust23THRUST_200600_302600_NS6detail15normal_iteratorINSA_10device_ptrIsEEEEPS6_SG_NS0_5tupleIJSF_NSA_16discard_iteratorINSA_11use_defaultEEEEEENSH_IJSG_SG_EEES6_PlJ7is_evenIsEEEE10hipError_tPvRmT3_T4_T5_T6_T7_T9_mT8_P12ihipStream_tbDpT10_ENKUlT_T0_E_clISt17integral_constantIbLb0EES19_EEDaS14_S15_EUlS14_E_NS1_11comp_targetILNS1_3genE5ELNS1_11target_archE942ELNS1_3gpuE9ELNS1_3repE0EEENS1_30default_config_static_selectorELNS0_4arch9wavefront6targetE1EEEvT1_
    .private_segment_fixed_size: 0
    .sgpr_count:     46
    .sgpr_spill_count: 0
    .symbol:         _ZN7rocprim17ROCPRIM_400000_NS6detail17trampoline_kernelINS0_14default_configENS1_25partition_config_selectorILNS1_17partition_subalgoE0EsNS0_10empty_typeEbEEZZNS1_14partition_implILS5_0ELb0ES3_jN6thrust23THRUST_200600_302600_NS6detail15normal_iteratorINSA_10device_ptrIsEEEEPS6_SG_NS0_5tupleIJSF_NSA_16discard_iteratorINSA_11use_defaultEEEEEENSH_IJSG_SG_EEES6_PlJ7is_evenIsEEEE10hipError_tPvRmT3_T4_T5_T6_T7_T9_mT8_P12ihipStream_tbDpT10_ENKUlT_T0_E_clISt17integral_constantIbLb0EES19_EEDaS14_S15_EUlS14_E_NS1_11comp_targetILNS1_3genE5ELNS1_11target_archE942ELNS1_3gpuE9ELNS1_3repE0EEENS1_30default_config_static_selectorELNS0_4arch9wavefront6targetE1EEEvT1_.kd
    .uniform_work_group_size: 1
    .uses_dynamic_stack: false
    .vgpr_count:     120
    .vgpr_spill_count: 0
    .wavefront_size: 64
  - .agpr_count:     0
    .args:
      - .offset:         0
        .size:           128
        .value_kind:     by_value
    .group_segment_fixed_size: 0
    .kernarg_segment_align: 8
    .kernarg_segment_size: 128
    .language:       OpenCL C
    .language_version:
      - 2
      - 0
    .max_flat_workgroup_size: 256
    .name:           _ZN7rocprim17ROCPRIM_400000_NS6detail17trampoline_kernelINS0_14default_configENS1_25partition_config_selectorILNS1_17partition_subalgoE0EsNS0_10empty_typeEbEEZZNS1_14partition_implILS5_0ELb0ES3_jN6thrust23THRUST_200600_302600_NS6detail15normal_iteratorINSA_10device_ptrIsEEEEPS6_SG_NS0_5tupleIJSF_NSA_16discard_iteratorINSA_11use_defaultEEEEEENSH_IJSG_SG_EEES6_PlJ7is_evenIsEEEE10hipError_tPvRmT3_T4_T5_T6_T7_T9_mT8_P12ihipStream_tbDpT10_ENKUlT_T0_E_clISt17integral_constantIbLb0EES19_EEDaS14_S15_EUlS14_E_NS1_11comp_targetILNS1_3genE4ELNS1_11target_archE910ELNS1_3gpuE8ELNS1_3repE0EEENS1_30default_config_static_selectorELNS0_4arch9wavefront6targetE1EEEvT1_
    .private_segment_fixed_size: 0
    .sgpr_count:     6
    .sgpr_spill_count: 0
    .symbol:         _ZN7rocprim17ROCPRIM_400000_NS6detail17trampoline_kernelINS0_14default_configENS1_25partition_config_selectorILNS1_17partition_subalgoE0EsNS0_10empty_typeEbEEZZNS1_14partition_implILS5_0ELb0ES3_jN6thrust23THRUST_200600_302600_NS6detail15normal_iteratorINSA_10device_ptrIsEEEEPS6_SG_NS0_5tupleIJSF_NSA_16discard_iteratorINSA_11use_defaultEEEEEENSH_IJSG_SG_EEES6_PlJ7is_evenIsEEEE10hipError_tPvRmT3_T4_T5_T6_T7_T9_mT8_P12ihipStream_tbDpT10_ENKUlT_T0_E_clISt17integral_constantIbLb0EES19_EEDaS14_S15_EUlS14_E_NS1_11comp_targetILNS1_3genE4ELNS1_11target_archE910ELNS1_3gpuE8ELNS1_3repE0EEENS1_30default_config_static_selectorELNS0_4arch9wavefront6targetE1EEEvT1_.kd
    .uniform_work_group_size: 1
    .uses_dynamic_stack: false
    .vgpr_count:     0
    .vgpr_spill_count: 0
    .wavefront_size: 64
  - .agpr_count:     0
    .args:
      - .offset:         0
        .size:           128
        .value_kind:     by_value
    .group_segment_fixed_size: 0
    .kernarg_segment_align: 8
    .kernarg_segment_size: 128
    .language:       OpenCL C
    .language_version:
      - 2
      - 0
    .max_flat_workgroup_size: 256
    .name:           _ZN7rocprim17ROCPRIM_400000_NS6detail17trampoline_kernelINS0_14default_configENS1_25partition_config_selectorILNS1_17partition_subalgoE0EsNS0_10empty_typeEbEEZZNS1_14partition_implILS5_0ELb0ES3_jN6thrust23THRUST_200600_302600_NS6detail15normal_iteratorINSA_10device_ptrIsEEEEPS6_SG_NS0_5tupleIJSF_NSA_16discard_iteratorINSA_11use_defaultEEEEEENSH_IJSG_SG_EEES6_PlJ7is_evenIsEEEE10hipError_tPvRmT3_T4_T5_T6_T7_T9_mT8_P12ihipStream_tbDpT10_ENKUlT_T0_E_clISt17integral_constantIbLb0EES19_EEDaS14_S15_EUlS14_E_NS1_11comp_targetILNS1_3genE3ELNS1_11target_archE908ELNS1_3gpuE7ELNS1_3repE0EEENS1_30default_config_static_selectorELNS0_4arch9wavefront6targetE1EEEvT1_
    .private_segment_fixed_size: 0
    .sgpr_count:     6
    .sgpr_spill_count: 0
    .symbol:         _ZN7rocprim17ROCPRIM_400000_NS6detail17trampoline_kernelINS0_14default_configENS1_25partition_config_selectorILNS1_17partition_subalgoE0EsNS0_10empty_typeEbEEZZNS1_14partition_implILS5_0ELb0ES3_jN6thrust23THRUST_200600_302600_NS6detail15normal_iteratorINSA_10device_ptrIsEEEEPS6_SG_NS0_5tupleIJSF_NSA_16discard_iteratorINSA_11use_defaultEEEEEENSH_IJSG_SG_EEES6_PlJ7is_evenIsEEEE10hipError_tPvRmT3_T4_T5_T6_T7_T9_mT8_P12ihipStream_tbDpT10_ENKUlT_T0_E_clISt17integral_constantIbLb0EES19_EEDaS14_S15_EUlS14_E_NS1_11comp_targetILNS1_3genE3ELNS1_11target_archE908ELNS1_3gpuE7ELNS1_3repE0EEENS1_30default_config_static_selectorELNS0_4arch9wavefront6targetE1EEEvT1_.kd
    .uniform_work_group_size: 1
    .uses_dynamic_stack: false
    .vgpr_count:     0
    .vgpr_spill_count: 0
    .wavefront_size: 64
  - .agpr_count:     0
    .args:
      - .offset:         0
        .size:           128
        .value_kind:     by_value
    .group_segment_fixed_size: 0
    .kernarg_segment_align: 8
    .kernarg_segment_size: 128
    .language:       OpenCL C
    .language_version:
      - 2
      - 0
    .max_flat_workgroup_size: 256
    .name:           _ZN7rocprim17ROCPRIM_400000_NS6detail17trampoline_kernelINS0_14default_configENS1_25partition_config_selectorILNS1_17partition_subalgoE0EsNS0_10empty_typeEbEEZZNS1_14partition_implILS5_0ELb0ES3_jN6thrust23THRUST_200600_302600_NS6detail15normal_iteratorINSA_10device_ptrIsEEEEPS6_SG_NS0_5tupleIJSF_NSA_16discard_iteratorINSA_11use_defaultEEEEEENSH_IJSG_SG_EEES6_PlJ7is_evenIsEEEE10hipError_tPvRmT3_T4_T5_T6_T7_T9_mT8_P12ihipStream_tbDpT10_ENKUlT_T0_E_clISt17integral_constantIbLb0EES19_EEDaS14_S15_EUlS14_E_NS1_11comp_targetILNS1_3genE2ELNS1_11target_archE906ELNS1_3gpuE6ELNS1_3repE0EEENS1_30default_config_static_selectorELNS0_4arch9wavefront6targetE1EEEvT1_
    .private_segment_fixed_size: 0
    .sgpr_count:     6
    .sgpr_spill_count: 0
    .symbol:         _ZN7rocprim17ROCPRIM_400000_NS6detail17trampoline_kernelINS0_14default_configENS1_25partition_config_selectorILNS1_17partition_subalgoE0EsNS0_10empty_typeEbEEZZNS1_14partition_implILS5_0ELb0ES3_jN6thrust23THRUST_200600_302600_NS6detail15normal_iteratorINSA_10device_ptrIsEEEEPS6_SG_NS0_5tupleIJSF_NSA_16discard_iteratorINSA_11use_defaultEEEEEENSH_IJSG_SG_EEES6_PlJ7is_evenIsEEEE10hipError_tPvRmT3_T4_T5_T6_T7_T9_mT8_P12ihipStream_tbDpT10_ENKUlT_T0_E_clISt17integral_constantIbLb0EES19_EEDaS14_S15_EUlS14_E_NS1_11comp_targetILNS1_3genE2ELNS1_11target_archE906ELNS1_3gpuE6ELNS1_3repE0EEENS1_30default_config_static_selectorELNS0_4arch9wavefront6targetE1EEEvT1_.kd
    .uniform_work_group_size: 1
    .uses_dynamic_stack: false
    .vgpr_count:     0
    .vgpr_spill_count: 0
    .wavefront_size: 64
  - .agpr_count:     0
    .args:
      - .offset:         0
        .size:           128
        .value_kind:     by_value
    .group_segment_fixed_size: 0
    .kernarg_segment_align: 8
    .kernarg_segment_size: 128
    .language:       OpenCL C
    .language_version:
      - 2
      - 0
    .max_flat_workgroup_size: 384
    .name:           _ZN7rocprim17ROCPRIM_400000_NS6detail17trampoline_kernelINS0_14default_configENS1_25partition_config_selectorILNS1_17partition_subalgoE0EsNS0_10empty_typeEbEEZZNS1_14partition_implILS5_0ELb0ES3_jN6thrust23THRUST_200600_302600_NS6detail15normal_iteratorINSA_10device_ptrIsEEEEPS6_SG_NS0_5tupleIJSF_NSA_16discard_iteratorINSA_11use_defaultEEEEEENSH_IJSG_SG_EEES6_PlJ7is_evenIsEEEE10hipError_tPvRmT3_T4_T5_T6_T7_T9_mT8_P12ihipStream_tbDpT10_ENKUlT_T0_E_clISt17integral_constantIbLb0EES19_EEDaS14_S15_EUlS14_E_NS1_11comp_targetILNS1_3genE10ELNS1_11target_archE1200ELNS1_3gpuE4ELNS1_3repE0EEENS1_30default_config_static_selectorELNS0_4arch9wavefront6targetE1EEEvT1_
    .private_segment_fixed_size: 0
    .sgpr_count:     6
    .sgpr_spill_count: 0
    .symbol:         _ZN7rocprim17ROCPRIM_400000_NS6detail17trampoline_kernelINS0_14default_configENS1_25partition_config_selectorILNS1_17partition_subalgoE0EsNS0_10empty_typeEbEEZZNS1_14partition_implILS5_0ELb0ES3_jN6thrust23THRUST_200600_302600_NS6detail15normal_iteratorINSA_10device_ptrIsEEEEPS6_SG_NS0_5tupleIJSF_NSA_16discard_iteratorINSA_11use_defaultEEEEEENSH_IJSG_SG_EEES6_PlJ7is_evenIsEEEE10hipError_tPvRmT3_T4_T5_T6_T7_T9_mT8_P12ihipStream_tbDpT10_ENKUlT_T0_E_clISt17integral_constantIbLb0EES19_EEDaS14_S15_EUlS14_E_NS1_11comp_targetILNS1_3genE10ELNS1_11target_archE1200ELNS1_3gpuE4ELNS1_3repE0EEENS1_30default_config_static_selectorELNS0_4arch9wavefront6targetE1EEEvT1_.kd
    .uniform_work_group_size: 1
    .uses_dynamic_stack: false
    .vgpr_count:     0
    .vgpr_spill_count: 0
    .wavefront_size: 64
  - .agpr_count:     0
    .args:
      - .offset:         0
        .size:           128
        .value_kind:     by_value
    .group_segment_fixed_size: 0
    .kernarg_segment_align: 8
    .kernarg_segment_size: 128
    .language:       OpenCL C
    .language_version:
      - 2
      - 0
    .max_flat_workgroup_size: 128
    .name:           _ZN7rocprim17ROCPRIM_400000_NS6detail17trampoline_kernelINS0_14default_configENS1_25partition_config_selectorILNS1_17partition_subalgoE0EsNS0_10empty_typeEbEEZZNS1_14partition_implILS5_0ELb0ES3_jN6thrust23THRUST_200600_302600_NS6detail15normal_iteratorINSA_10device_ptrIsEEEEPS6_SG_NS0_5tupleIJSF_NSA_16discard_iteratorINSA_11use_defaultEEEEEENSH_IJSG_SG_EEES6_PlJ7is_evenIsEEEE10hipError_tPvRmT3_T4_T5_T6_T7_T9_mT8_P12ihipStream_tbDpT10_ENKUlT_T0_E_clISt17integral_constantIbLb0EES19_EEDaS14_S15_EUlS14_E_NS1_11comp_targetILNS1_3genE9ELNS1_11target_archE1100ELNS1_3gpuE3ELNS1_3repE0EEENS1_30default_config_static_selectorELNS0_4arch9wavefront6targetE1EEEvT1_
    .private_segment_fixed_size: 0
    .sgpr_count:     6
    .sgpr_spill_count: 0
    .symbol:         _ZN7rocprim17ROCPRIM_400000_NS6detail17trampoline_kernelINS0_14default_configENS1_25partition_config_selectorILNS1_17partition_subalgoE0EsNS0_10empty_typeEbEEZZNS1_14partition_implILS5_0ELb0ES3_jN6thrust23THRUST_200600_302600_NS6detail15normal_iteratorINSA_10device_ptrIsEEEEPS6_SG_NS0_5tupleIJSF_NSA_16discard_iteratorINSA_11use_defaultEEEEEENSH_IJSG_SG_EEES6_PlJ7is_evenIsEEEE10hipError_tPvRmT3_T4_T5_T6_T7_T9_mT8_P12ihipStream_tbDpT10_ENKUlT_T0_E_clISt17integral_constantIbLb0EES19_EEDaS14_S15_EUlS14_E_NS1_11comp_targetILNS1_3genE9ELNS1_11target_archE1100ELNS1_3gpuE3ELNS1_3repE0EEENS1_30default_config_static_selectorELNS0_4arch9wavefront6targetE1EEEvT1_.kd
    .uniform_work_group_size: 1
    .uses_dynamic_stack: false
    .vgpr_count:     0
    .vgpr_spill_count: 0
    .wavefront_size: 64
  - .agpr_count:     0
    .args:
      - .offset:         0
        .size:           128
        .value_kind:     by_value
    .group_segment_fixed_size: 0
    .kernarg_segment_align: 8
    .kernarg_segment_size: 128
    .language:       OpenCL C
    .language_version:
      - 2
      - 0
    .max_flat_workgroup_size: 128
    .name:           _ZN7rocprim17ROCPRIM_400000_NS6detail17trampoline_kernelINS0_14default_configENS1_25partition_config_selectorILNS1_17partition_subalgoE0EsNS0_10empty_typeEbEEZZNS1_14partition_implILS5_0ELb0ES3_jN6thrust23THRUST_200600_302600_NS6detail15normal_iteratorINSA_10device_ptrIsEEEEPS6_SG_NS0_5tupleIJSF_NSA_16discard_iteratorINSA_11use_defaultEEEEEENSH_IJSG_SG_EEES6_PlJ7is_evenIsEEEE10hipError_tPvRmT3_T4_T5_T6_T7_T9_mT8_P12ihipStream_tbDpT10_ENKUlT_T0_E_clISt17integral_constantIbLb0EES19_EEDaS14_S15_EUlS14_E_NS1_11comp_targetILNS1_3genE8ELNS1_11target_archE1030ELNS1_3gpuE2ELNS1_3repE0EEENS1_30default_config_static_selectorELNS0_4arch9wavefront6targetE1EEEvT1_
    .private_segment_fixed_size: 0
    .sgpr_count:     6
    .sgpr_spill_count: 0
    .symbol:         _ZN7rocprim17ROCPRIM_400000_NS6detail17trampoline_kernelINS0_14default_configENS1_25partition_config_selectorILNS1_17partition_subalgoE0EsNS0_10empty_typeEbEEZZNS1_14partition_implILS5_0ELb0ES3_jN6thrust23THRUST_200600_302600_NS6detail15normal_iteratorINSA_10device_ptrIsEEEEPS6_SG_NS0_5tupleIJSF_NSA_16discard_iteratorINSA_11use_defaultEEEEEENSH_IJSG_SG_EEES6_PlJ7is_evenIsEEEE10hipError_tPvRmT3_T4_T5_T6_T7_T9_mT8_P12ihipStream_tbDpT10_ENKUlT_T0_E_clISt17integral_constantIbLb0EES19_EEDaS14_S15_EUlS14_E_NS1_11comp_targetILNS1_3genE8ELNS1_11target_archE1030ELNS1_3gpuE2ELNS1_3repE0EEENS1_30default_config_static_selectorELNS0_4arch9wavefront6targetE1EEEvT1_.kd
    .uniform_work_group_size: 1
    .uses_dynamic_stack: false
    .vgpr_count:     0
    .vgpr_spill_count: 0
    .wavefront_size: 64
  - .agpr_count:     0
    .args:
      - .offset:         0
        .size:           144
        .value_kind:     by_value
    .group_segment_fixed_size: 0
    .kernarg_segment_align: 8
    .kernarg_segment_size: 144
    .language:       OpenCL C
    .language_version:
      - 2
      - 0
    .max_flat_workgroup_size: 256
    .name:           _ZN7rocprim17ROCPRIM_400000_NS6detail17trampoline_kernelINS0_14default_configENS1_25partition_config_selectorILNS1_17partition_subalgoE0EsNS0_10empty_typeEbEEZZNS1_14partition_implILS5_0ELb0ES3_jN6thrust23THRUST_200600_302600_NS6detail15normal_iteratorINSA_10device_ptrIsEEEEPS6_SG_NS0_5tupleIJSF_NSA_16discard_iteratorINSA_11use_defaultEEEEEENSH_IJSG_SG_EEES6_PlJ7is_evenIsEEEE10hipError_tPvRmT3_T4_T5_T6_T7_T9_mT8_P12ihipStream_tbDpT10_ENKUlT_T0_E_clISt17integral_constantIbLb1EES19_EEDaS14_S15_EUlS14_E_NS1_11comp_targetILNS1_3genE0ELNS1_11target_archE4294967295ELNS1_3gpuE0ELNS1_3repE0EEENS1_30default_config_static_selectorELNS0_4arch9wavefront6targetE1EEEvT1_
    .private_segment_fixed_size: 0
    .sgpr_count:     6
    .sgpr_spill_count: 0
    .symbol:         _ZN7rocprim17ROCPRIM_400000_NS6detail17trampoline_kernelINS0_14default_configENS1_25partition_config_selectorILNS1_17partition_subalgoE0EsNS0_10empty_typeEbEEZZNS1_14partition_implILS5_0ELb0ES3_jN6thrust23THRUST_200600_302600_NS6detail15normal_iteratorINSA_10device_ptrIsEEEEPS6_SG_NS0_5tupleIJSF_NSA_16discard_iteratorINSA_11use_defaultEEEEEENSH_IJSG_SG_EEES6_PlJ7is_evenIsEEEE10hipError_tPvRmT3_T4_T5_T6_T7_T9_mT8_P12ihipStream_tbDpT10_ENKUlT_T0_E_clISt17integral_constantIbLb1EES19_EEDaS14_S15_EUlS14_E_NS1_11comp_targetILNS1_3genE0ELNS1_11target_archE4294967295ELNS1_3gpuE0ELNS1_3repE0EEENS1_30default_config_static_selectorELNS0_4arch9wavefront6targetE1EEEvT1_.kd
    .uniform_work_group_size: 1
    .uses_dynamic_stack: false
    .vgpr_count:     0
    .vgpr_spill_count: 0
    .wavefront_size: 64
  - .agpr_count:     0
    .args:
      - .offset:         0
        .size:           144
        .value_kind:     by_value
    .group_segment_fixed_size: 30728
    .kernarg_segment_align: 8
    .kernarg_segment_size: 144
    .language:       OpenCL C
    .language_version:
      - 2
      - 0
    .max_flat_workgroup_size: 512
    .name:           _ZN7rocprim17ROCPRIM_400000_NS6detail17trampoline_kernelINS0_14default_configENS1_25partition_config_selectorILNS1_17partition_subalgoE0EsNS0_10empty_typeEbEEZZNS1_14partition_implILS5_0ELb0ES3_jN6thrust23THRUST_200600_302600_NS6detail15normal_iteratorINSA_10device_ptrIsEEEEPS6_SG_NS0_5tupleIJSF_NSA_16discard_iteratorINSA_11use_defaultEEEEEENSH_IJSG_SG_EEES6_PlJ7is_evenIsEEEE10hipError_tPvRmT3_T4_T5_T6_T7_T9_mT8_P12ihipStream_tbDpT10_ENKUlT_T0_E_clISt17integral_constantIbLb1EES19_EEDaS14_S15_EUlS14_E_NS1_11comp_targetILNS1_3genE5ELNS1_11target_archE942ELNS1_3gpuE9ELNS1_3repE0EEENS1_30default_config_static_selectorELNS0_4arch9wavefront6targetE1EEEvT1_
    .private_segment_fixed_size: 0
    .sgpr_count:     46
    .sgpr_spill_count: 0
    .symbol:         _ZN7rocprim17ROCPRIM_400000_NS6detail17trampoline_kernelINS0_14default_configENS1_25partition_config_selectorILNS1_17partition_subalgoE0EsNS0_10empty_typeEbEEZZNS1_14partition_implILS5_0ELb0ES3_jN6thrust23THRUST_200600_302600_NS6detail15normal_iteratorINSA_10device_ptrIsEEEEPS6_SG_NS0_5tupleIJSF_NSA_16discard_iteratorINSA_11use_defaultEEEEEENSH_IJSG_SG_EEES6_PlJ7is_evenIsEEEE10hipError_tPvRmT3_T4_T5_T6_T7_T9_mT8_P12ihipStream_tbDpT10_ENKUlT_T0_E_clISt17integral_constantIbLb1EES19_EEDaS14_S15_EUlS14_E_NS1_11comp_targetILNS1_3genE5ELNS1_11target_archE942ELNS1_3gpuE9ELNS1_3repE0EEENS1_30default_config_static_selectorELNS0_4arch9wavefront6targetE1EEEvT1_.kd
    .uniform_work_group_size: 1
    .uses_dynamic_stack: false
    .vgpr_count:     122
    .vgpr_spill_count: 0
    .wavefront_size: 64
  - .agpr_count:     0
    .args:
      - .offset:         0
        .size:           144
        .value_kind:     by_value
    .group_segment_fixed_size: 0
    .kernarg_segment_align: 8
    .kernarg_segment_size: 144
    .language:       OpenCL C
    .language_version:
      - 2
      - 0
    .max_flat_workgroup_size: 256
    .name:           _ZN7rocprim17ROCPRIM_400000_NS6detail17trampoline_kernelINS0_14default_configENS1_25partition_config_selectorILNS1_17partition_subalgoE0EsNS0_10empty_typeEbEEZZNS1_14partition_implILS5_0ELb0ES3_jN6thrust23THRUST_200600_302600_NS6detail15normal_iteratorINSA_10device_ptrIsEEEEPS6_SG_NS0_5tupleIJSF_NSA_16discard_iteratorINSA_11use_defaultEEEEEENSH_IJSG_SG_EEES6_PlJ7is_evenIsEEEE10hipError_tPvRmT3_T4_T5_T6_T7_T9_mT8_P12ihipStream_tbDpT10_ENKUlT_T0_E_clISt17integral_constantIbLb1EES19_EEDaS14_S15_EUlS14_E_NS1_11comp_targetILNS1_3genE4ELNS1_11target_archE910ELNS1_3gpuE8ELNS1_3repE0EEENS1_30default_config_static_selectorELNS0_4arch9wavefront6targetE1EEEvT1_
    .private_segment_fixed_size: 0
    .sgpr_count:     6
    .sgpr_spill_count: 0
    .symbol:         _ZN7rocprim17ROCPRIM_400000_NS6detail17trampoline_kernelINS0_14default_configENS1_25partition_config_selectorILNS1_17partition_subalgoE0EsNS0_10empty_typeEbEEZZNS1_14partition_implILS5_0ELb0ES3_jN6thrust23THRUST_200600_302600_NS6detail15normal_iteratorINSA_10device_ptrIsEEEEPS6_SG_NS0_5tupleIJSF_NSA_16discard_iteratorINSA_11use_defaultEEEEEENSH_IJSG_SG_EEES6_PlJ7is_evenIsEEEE10hipError_tPvRmT3_T4_T5_T6_T7_T9_mT8_P12ihipStream_tbDpT10_ENKUlT_T0_E_clISt17integral_constantIbLb1EES19_EEDaS14_S15_EUlS14_E_NS1_11comp_targetILNS1_3genE4ELNS1_11target_archE910ELNS1_3gpuE8ELNS1_3repE0EEENS1_30default_config_static_selectorELNS0_4arch9wavefront6targetE1EEEvT1_.kd
    .uniform_work_group_size: 1
    .uses_dynamic_stack: false
    .vgpr_count:     0
    .vgpr_spill_count: 0
    .wavefront_size: 64
  - .agpr_count:     0
    .args:
      - .offset:         0
        .size:           144
        .value_kind:     by_value
    .group_segment_fixed_size: 0
    .kernarg_segment_align: 8
    .kernarg_segment_size: 144
    .language:       OpenCL C
    .language_version:
      - 2
      - 0
    .max_flat_workgroup_size: 256
    .name:           _ZN7rocprim17ROCPRIM_400000_NS6detail17trampoline_kernelINS0_14default_configENS1_25partition_config_selectorILNS1_17partition_subalgoE0EsNS0_10empty_typeEbEEZZNS1_14partition_implILS5_0ELb0ES3_jN6thrust23THRUST_200600_302600_NS6detail15normal_iteratorINSA_10device_ptrIsEEEEPS6_SG_NS0_5tupleIJSF_NSA_16discard_iteratorINSA_11use_defaultEEEEEENSH_IJSG_SG_EEES6_PlJ7is_evenIsEEEE10hipError_tPvRmT3_T4_T5_T6_T7_T9_mT8_P12ihipStream_tbDpT10_ENKUlT_T0_E_clISt17integral_constantIbLb1EES19_EEDaS14_S15_EUlS14_E_NS1_11comp_targetILNS1_3genE3ELNS1_11target_archE908ELNS1_3gpuE7ELNS1_3repE0EEENS1_30default_config_static_selectorELNS0_4arch9wavefront6targetE1EEEvT1_
    .private_segment_fixed_size: 0
    .sgpr_count:     6
    .sgpr_spill_count: 0
    .symbol:         _ZN7rocprim17ROCPRIM_400000_NS6detail17trampoline_kernelINS0_14default_configENS1_25partition_config_selectorILNS1_17partition_subalgoE0EsNS0_10empty_typeEbEEZZNS1_14partition_implILS5_0ELb0ES3_jN6thrust23THRUST_200600_302600_NS6detail15normal_iteratorINSA_10device_ptrIsEEEEPS6_SG_NS0_5tupleIJSF_NSA_16discard_iteratorINSA_11use_defaultEEEEEENSH_IJSG_SG_EEES6_PlJ7is_evenIsEEEE10hipError_tPvRmT3_T4_T5_T6_T7_T9_mT8_P12ihipStream_tbDpT10_ENKUlT_T0_E_clISt17integral_constantIbLb1EES19_EEDaS14_S15_EUlS14_E_NS1_11comp_targetILNS1_3genE3ELNS1_11target_archE908ELNS1_3gpuE7ELNS1_3repE0EEENS1_30default_config_static_selectorELNS0_4arch9wavefront6targetE1EEEvT1_.kd
    .uniform_work_group_size: 1
    .uses_dynamic_stack: false
    .vgpr_count:     0
    .vgpr_spill_count: 0
    .wavefront_size: 64
  - .agpr_count:     0
    .args:
      - .offset:         0
        .size:           144
        .value_kind:     by_value
    .group_segment_fixed_size: 0
    .kernarg_segment_align: 8
    .kernarg_segment_size: 144
    .language:       OpenCL C
    .language_version:
      - 2
      - 0
    .max_flat_workgroup_size: 256
    .name:           _ZN7rocprim17ROCPRIM_400000_NS6detail17trampoline_kernelINS0_14default_configENS1_25partition_config_selectorILNS1_17partition_subalgoE0EsNS0_10empty_typeEbEEZZNS1_14partition_implILS5_0ELb0ES3_jN6thrust23THRUST_200600_302600_NS6detail15normal_iteratorINSA_10device_ptrIsEEEEPS6_SG_NS0_5tupleIJSF_NSA_16discard_iteratorINSA_11use_defaultEEEEEENSH_IJSG_SG_EEES6_PlJ7is_evenIsEEEE10hipError_tPvRmT3_T4_T5_T6_T7_T9_mT8_P12ihipStream_tbDpT10_ENKUlT_T0_E_clISt17integral_constantIbLb1EES19_EEDaS14_S15_EUlS14_E_NS1_11comp_targetILNS1_3genE2ELNS1_11target_archE906ELNS1_3gpuE6ELNS1_3repE0EEENS1_30default_config_static_selectorELNS0_4arch9wavefront6targetE1EEEvT1_
    .private_segment_fixed_size: 0
    .sgpr_count:     6
    .sgpr_spill_count: 0
    .symbol:         _ZN7rocprim17ROCPRIM_400000_NS6detail17trampoline_kernelINS0_14default_configENS1_25partition_config_selectorILNS1_17partition_subalgoE0EsNS0_10empty_typeEbEEZZNS1_14partition_implILS5_0ELb0ES3_jN6thrust23THRUST_200600_302600_NS6detail15normal_iteratorINSA_10device_ptrIsEEEEPS6_SG_NS0_5tupleIJSF_NSA_16discard_iteratorINSA_11use_defaultEEEEEENSH_IJSG_SG_EEES6_PlJ7is_evenIsEEEE10hipError_tPvRmT3_T4_T5_T6_T7_T9_mT8_P12ihipStream_tbDpT10_ENKUlT_T0_E_clISt17integral_constantIbLb1EES19_EEDaS14_S15_EUlS14_E_NS1_11comp_targetILNS1_3genE2ELNS1_11target_archE906ELNS1_3gpuE6ELNS1_3repE0EEENS1_30default_config_static_selectorELNS0_4arch9wavefront6targetE1EEEvT1_.kd
    .uniform_work_group_size: 1
    .uses_dynamic_stack: false
    .vgpr_count:     0
    .vgpr_spill_count: 0
    .wavefront_size: 64
  - .agpr_count:     0
    .args:
      - .offset:         0
        .size:           144
        .value_kind:     by_value
    .group_segment_fixed_size: 0
    .kernarg_segment_align: 8
    .kernarg_segment_size: 144
    .language:       OpenCL C
    .language_version:
      - 2
      - 0
    .max_flat_workgroup_size: 384
    .name:           _ZN7rocprim17ROCPRIM_400000_NS6detail17trampoline_kernelINS0_14default_configENS1_25partition_config_selectorILNS1_17partition_subalgoE0EsNS0_10empty_typeEbEEZZNS1_14partition_implILS5_0ELb0ES3_jN6thrust23THRUST_200600_302600_NS6detail15normal_iteratorINSA_10device_ptrIsEEEEPS6_SG_NS0_5tupleIJSF_NSA_16discard_iteratorINSA_11use_defaultEEEEEENSH_IJSG_SG_EEES6_PlJ7is_evenIsEEEE10hipError_tPvRmT3_T4_T5_T6_T7_T9_mT8_P12ihipStream_tbDpT10_ENKUlT_T0_E_clISt17integral_constantIbLb1EES19_EEDaS14_S15_EUlS14_E_NS1_11comp_targetILNS1_3genE10ELNS1_11target_archE1200ELNS1_3gpuE4ELNS1_3repE0EEENS1_30default_config_static_selectorELNS0_4arch9wavefront6targetE1EEEvT1_
    .private_segment_fixed_size: 0
    .sgpr_count:     6
    .sgpr_spill_count: 0
    .symbol:         _ZN7rocprim17ROCPRIM_400000_NS6detail17trampoline_kernelINS0_14default_configENS1_25partition_config_selectorILNS1_17partition_subalgoE0EsNS0_10empty_typeEbEEZZNS1_14partition_implILS5_0ELb0ES3_jN6thrust23THRUST_200600_302600_NS6detail15normal_iteratorINSA_10device_ptrIsEEEEPS6_SG_NS0_5tupleIJSF_NSA_16discard_iteratorINSA_11use_defaultEEEEEENSH_IJSG_SG_EEES6_PlJ7is_evenIsEEEE10hipError_tPvRmT3_T4_T5_T6_T7_T9_mT8_P12ihipStream_tbDpT10_ENKUlT_T0_E_clISt17integral_constantIbLb1EES19_EEDaS14_S15_EUlS14_E_NS1_11comp_targetILNS1_3genE10ELNS1_11target_archE1200ELNS1_3gpuE4ELNS1_3repE0EEENS1_30default_config_static_selectorELNS0_4arch9wavefront6targetE1EEEvT1_.kd
    .uniform_work_group_size: 1
    .uses_dynamic_stack: false
    .vgpr_count:     0
    .vgpr_spill_count: 0
    .wavefront_size: 64
  - .agpr_count:     0
    .args:
      - .offset:         0
        .size:           144
        .value_kind:     by_value
    .group_segment_fixed_size: 0
    .kernarg_segment_align: 8
    .kernarg_segment_size: 144
    .language:       OpenCL C
    .language_version:
      - 2
      - 0
    .max_flat_workgroup_size: 128
    .name:           _ZN7rocprim17ROCPRIM_400000_NS6detail17trampoline_kernelINS0_14default_configENS1_25partition_config_selectorILNS1_17partition_subalgoE0EsNS0_10empty_typeEbEEZZNS1_14partition_implILS5_0ELb0ES3_jN6thrust23THRUST_200600_302600_NS6detail15normal_iteratorINSA_10device_ptrIsEEEEPS6_SG_NS0_5tupleIJSF_NSA_16discard_iteratorINSA_11use_defaultEEEEEENSH_IJSG_SG_EEES6_PlJ7is_evenIsEEEE10hipError_tPvRmT3_T4_T5_T6_T7_T9_mT8_P12ihipStream_tbDpT10_ENKUlT_T0_E_clISt17integral_constantIbLb1EES19_EEDaS14_S15_EUlS14_E_NS1_11comp_targetILNS1_3genE9ELNS1_11target_archE1100ELNS1_3gpuE3ELNS1_3repE0EEENS1_30default_config_static_selectorELNS0_4arch9wavefront6targetE1EEEvT1_
    .private_segment_fixed_size: 0
    .sgpr_count:     6
    .sgpr_spill_count: 0
    .symbol:         _ZN7rocprim17ROCPRIM_400000_NS6detail17trampoline_kernelINS0_14default_configENS1_25partition_config_selectorILNS1_17partition_subalgoE0EsNS0_10empty_typeEbEEZZNS1_14partition_implILS5_0ELb0ES3_jN6thrust23THRUST_200600_302600_NS6detail15normal_iteratorINSA_10device_ptrIsEEEEPS6_SG_NS0_5tupleIJSF_NSA_16discard_iteratorINSA_11use_defaultEEEEEENSH_IJSG_SG_EEES6_PlJ7is_evenIsEEEE10hipError_tPvRmT3_T4_T5_T6_T7_T9_mT8_P12ihipStream_tbDpT10_ENKUlT_T0_E_clISt17integral_constantIbLb1EES19_EEDaS14_S15_EUlS14_E_NS1_11comp_targetILNS1_3genE9ELNS1_11target_archE1100ELNS1_3gpuE3ELNS1_3repE0EEENS1_30default_config_static_selectorELNS0_4arch9wavefront6targetE1EEEvT1_.kd
    .uniform_work_group_size: 1
    .uses_dynamic_stack: false
    .vgpr_count:     0
    .vgpr_spill_count: 0
    .wavefront_size: 64
  - .agpr_count:     0
    .args:
      - .offset:         0
        .size:           144
        .value_kind:     by_value
    .group_segment_fixed_size: 0
    .kernarg_segment_align: 8
    .kernarg_segment_size: 144
    .language:       OpenCL C
    .language_version:
      - 2
      - 0
    .max_flat_workgroup_size: 128
    .name:           _ZN7rocprim17ROCPRIM_400000_NS6detail17trampoline_kernelINS0_14default_configENS1_25partition_config_selectorILNS1_17partition_subalgoE0EsNS0_10empty_typeEbEEZZNS1_14partition_implILS5_0ELb0ES3_jN6thrust23THRUST_200600_302600_NS6detail15normal_iteratorINSA_10device_ptrIsEEEEPS6_SG_NS0_5tupleIJSF_NSA_16discard_iteratorINSA_11use_defaultEEEEEENSH_IJSG_SG_EEES6_PlJ7is_evenIsEEEE10hipError_tPvRmT3_T4_T5_T6_T7_T9_mT8_P12ihipStream_tbDpT10_ENKUlT_T0_E_clISt17integral_constantIbLb1EES19_EEDaS14_S15_EUlS14_E_NS1_11comp_targetILNS1_3genE8ELNS1_11target_archE1030ELNS1_3gpuE2ELNS1_3repE0EEENS1_30default_config_static_selectorELNS0_4arch9wavefront6targetE1EEEvT1_
    .private_segment_fixed_size: 0
    .sgpr_count:     6
    .sgpr_spill_count: 0
    .symbol:         _ZN7rocprim17ROCPRIM_400000_NS6detail17trampoline_kernelINS0_14default_configENS1_25partition_config_selectorILNS1_17partition_subalgoE0EsNS0_10empty_typeEbEEZZNS1_14partition_implILS5_0ELb0ES3_jN6thrust23THRUST_200600_302600_NS6detail15normal_iteratorINSA_10device_ptrIsEEEEPS6_SG_NS0_5tupleIJSF_NSA_16discard_iteratorINSA_11use_defaultEEEEEENSH_IJSG_SG_EEES6_PlJ7is_evenIsEEEE10hipError_tPvRmT3_T4_T5_T6_T7_T9_mT8_P12ihipStream_tbDpT10_ENKUlT_T0_E_clISt17integral_constantIbLb1EES19_EEDaS14_S15_EUlS14_E_NS1_11comp_targetILNS1_3genE8ELNS1_11target_archE1030ELNS1_3gpuE2ELNS1_3repE0EEENS1_30default_config_static_selectorELNS0_4arch9wavefront6targetE1EEEvT1_.kd
    .uniform_work_group_size: 1
    .uses_dynamic_stack: false
    .vgpr_count:     0
    .vgpr_spill_count: 0
    .wavefront_size: 64
  - .agpr_count:     0
    .args:
      - .offset:         0
        .size:           128
        .value_kind:     by_value
    .group_segment_fixed_size: 0
    .kernarg_segment_align: 8
    .kernarg_segment_size: 128
    .language:       OpenCL C
    .language_version:
      - 2
      - 0
    .max_flat_workgroup_size: 256
    .name:           _ZN7rocprim17ROCPRIM_400000_NS6detail17trampoline_kernelINS0_14default_configENS1_25partition_config_selectorILNS1_17partition_subalgoE0EsNS0_10empty_typeEbEEZZNS1_14partition_implILS5_0ELb0ES3_jN6thrust23THRUST_200600_302600_NS6detail15normal_iteratorINSA_10device_ptrIsEEEEPS6_SG_NS0_5tupleIJSF_NSA_16discard_iteratorINSA_11use_defaultEEEEEENSH_IJSG_SG_EEES6_PlJ7is_evenIsEEEE10hipError_tPvRmT3_T4_T5_T6_T7_T9_mT8_P12ihipStream_tbDpT10_ENKUlT_T0_E_clISt17integral_constantIbLb1EES18_IbLb0EEEEDaS14_S15_EUlS14_E_NS1_11comp_targetILNS1_3genE0ELNS1_11target_archE4294967295ELNS1_3gpuE0ELNS1_3repE0EEENS1_30default_config_static_selectorELNS0_4arch9wavefront6targetE1EEEvT1_
    .private_segment_fixed_size: 0
    .sgpr_count:     6
    .sgpr_spill_count: 0
    .symbol:         _ZN7rocprim17ROCPRIM_400000_NS6detail17trampoline_kernelINS0_14default_configENS1_25partition_config_selectorILNS1_17partition_subalgoE0EsNS0_10empty_typeEbEEZZNS1_14partition_implILS5_0ELb0ES3_jN6thrust23THRUST_200600_302600_NS6detail15normal_iteratorINSA_10device_ptrIsEEEEPS6_SG_NS0_5tupleIJSF_NSA_16discard_iteratorINSA_11use_defaultEEEEEENSH_IJSG_SG_EEES6_PlJ7is_evenIsEEEE10hipError_tPvRmT3_T4_T5_T6_T7_T9_mT8_P12ihipStream_tbDpT10_ENKUlT_T0_E_clISt17integral_constantIbLb1EES18_IbLb0EEEEDaS14_S15_EUlS14_E_NS1_11comp_targetILNS1_3genE0ELNS1_11target_archE4294967295ELNS1_3gpuE0ELNS1_3repE0EEENS1_30default_config_static_selectorELNS0_4arch9wavefront6targetE1EEEvT1_.kd
    .uniform_work_group_size: 1
    .uses_dynamic_stack: false
    .vgpr_count:     0
    .vgpr_spill_count: 0
    .wavefront_size: 64
  - .agpr_count:     0
    .args:
      - .offset:         0
        .size:           128
        .value_kind:     by_value
    .group_segment_fixed_size: 30728
    .kernarg_segment_align: 8
    .kernarg_segment_size: 128
    .language:       OpenCL C
    .language_version:
      - 2
      - 0
    .max_flat_workgroup_size: 512
    .name:           _ZN7rocprim17ROCPRIM_400000_NS6detail17trampoline_kernelINS0_14default_configENS1_25partition_config_selectorILNS1_17partition_subalgoE0EsNS0_10empty_typeEbEEZZNS1_14partition_implILS5_0ELb0ES3_jN6thrust23THRUST_200600_302600_NS6detail15normal_iteratorINSA_10device_ptrIsEEEEPS6_SG_NS0_5tupleIJSF_NSA_16discard_iteratorINSA_11use_defaultEEEEEENSH_IJSG_SG_EEES6_PlJ7is_evenIsEEEE10hipError_tPvRmT3_T4_T5_T6_T7_T9_mT8_P12ihipStream_tbDpT10_ENKUlT_T0_E_clISt17integral_constantIbLb1EES18_IbLb0EEEEDaS14_S15_EUlS14_E_NS1_11comp_targetILNS1_3genE5ELNS1_11target_archE942ELNS1_3gpuE9ELNS1_3repE0EEENS1_30default_config_static_selectorELNS0_4arch9wavefront6targetE1EEEvT1_
    .private_segment_fixed_size: 0
    .sgpr_count:     46
    .sgpr_spill_count: 0
    .symbol:         _ZN7rocprim17ROCPRIM_400000_NS6detail17trampoline_kernelINS0_14default_configENS1_25partition_config_selectorILNS1_17partition_subalgoE0EsNS0_10empty_typeEbEEZZNS1_14partition_implILS5_0ELb0ES3_jN6thrust23THRUST_200600_302600_NS6detail15normal_iteratorINSA_10device_ptrIsEEEEPS6_SG_NS0_5tupleIJSF_NSA_16discard_iteratorINSA_11use_defaultEEEEEENSH_IJSG_SG_EEES6_PlJ7is_evenIsEEEE10hipError_tPvRmT3_T4_T5_T6_T7_T9_mT8_P12ihipStream_tbDpT10_ENKUlT_T0_E_clISt17integral_constantIbLb1EES18_IbLb0EEEEDaS14_S15_EUlS14_E_NS1_11comp_targetILNS1_3genE5ELNS1_11target_archE942ELNS1_3gpuE9ELNS1_3repE0EEENS1_30default_config_static_selectorELNS0_4arch9wavefront6targetE1EEEvT1_.kd
    .uniform_work_group_size: 1
    .uses_dynamic_stack: false
    .vgpr_count:     120
    .vgpr_spill_count: 0
    .wavefront_size: 64
  - .agpr_count:     0
    .args:
      - .offset:         0
        .size:           128
        .value_kind:     by_value
    .group_segment_fixed_size: 0
    .kernarg_segment_align: 8
    .kernarg_segment_size: 128
    .language:       OpenCL C
    .language_version:
      - 2
      - 0
    .max_flat_workgroup_size: 256
    .name:           _ZN7rocprim17ROCPRIM_400000_NS6detail17trampoline_kernelINS0_14default_configENS1_25partition_config_selectorILNS1_17partition_subalgoE0EsNS0_10empty_typeEbEEZZNS1_14partition_implILS5_0ELb0ES3_jN6thrust23THRUST_200600_302600_NS6detail15normal_iteratorINSA_10device_ptrIsEEEEPS6_SG_NS0_5tupleIJSF_NSA_16discard_iteratorINSA_11use_defaultEEEEEENSH_IJSG_SG_EEES6_PlJ7is_evenIsEEEE10hipError_tPvRmT3_T4_T5_T6_T7_T9_mT8_P12ihipStream_tbDpT10_ENKUlT_T0_E_clISt17integral_constantIbLb1EES18_IbLb0EEEEDaS14_S15_EUlS14_E_NS1_11comp_targetILNS1_3genE4ELNS1_11target_archE910ELNS1_3gpuE8ELNS1_3repE0EEENS1_30default_config_static_selectorELNS0_4arch9wavefront6targetE1EEEvT1_
    .private_segment_fixed_size: 0
    .sgpr_count:     6
    .sgpr_spill_count: 0
    .symbol:         _ZN7rocprim17ROCPRIM_400000_NS6detail17trampoline_kernelINS0_14default_configENS1_25partition_config_selectorILNS1_17partition_subalgoE0EsNS0_10empty_typeEbEEZZNS1_14partition_implILS5_0ELb0ES3_jN6thrust23THRUST_200600_302600_NS6detail15normal_iteratorINSA_10device_ptrIsEEEEPS6_SG_NS0_5tupleIJSF_NSA_16discard_iteratorINSA_11use_defaultEEEEEENSH_IJSG_SG_EEES6_PlJ7is_evenIsEEEE10hipError_tPvRmT3_T4_T5_T6_T7_T9_mT8_P12ihipStream_tbDpT10_ENKUlT_T0_E_clISt17integral_constantIbLb1EES18_IbLb0EEEEDaS14_S15_EUlS14_E_NS1_11comp_targetILNS1_3genE4ELNS1_11target_archE910ELNS1_3gpuE8ELNS1_3repE0EEENS1_30default_config_static_selectorELNS0_4arch9wavefront6targetE1EEEvT1_.kd
    .uniform_work_group_size: 1
    .uses_dynamic_stack: false
    .vgpr_count:     0
    .vgpr_spill_count: 0
    .wavefront_size: 64
  - .agpr_count:     0
    .args:
      - .offset:         0
        .size:           128
        .value_kind:     by_value
    .group_segment_fixed_size: 0
    .kernarg_segment_align: 8
    .kernarg_segment_size: 128
    .language:       OpenCL C
    .language_version:
      - 2
      - 0
    .max_flat_workgroup_size: 256
    .name:           _ZN7rocprim17ROCPRIM_400000_NS6detail17trampoline_kernelINS0_14default_configENS1_25partition_config_selectorILNS1_17partition_subalgoE0EsNS0_10empty_typeEbEEZZNS1_14partition_implILS5_0ELb0ES3_jN6thrust23THRUST_200600_302600_NS6detail15normal_iteratorINSA_10device_ptrIsEEEEPS6_SG_NS0_5tupleIJSF_NSA_16discard_iteratorINSA_11use_defaultEEEEEENSH_IJSG_SG_EEES6_PlJ7is_evenIsEEEE10hipError_tPvRmT3_T4_T5_T6_T7_T9_mT8_P12ihipStream_tbDpT10_ENKUlT_T0_E_clISt17integral_constantIbLb1EES18_IbLb0EEEEDaS14_S15_EUlS14_E_NS1_11comp_targetILNS1_3genE3ELNS1_11target_archE908ELNS1_3gpuE7ELNS1_3repE0EEENS1_30default_config_static_selectorELNS0_4arch9wavefront6targetE1EEEvT1_
    .private_segment_fixed_size: 0
    .sgpr_count:     6
    .sgpr_spill_count: 0
    .symbol:         _ZN7rocprim17ROCPRIM_400000_NS6detail17trampoline_kernelINS0_14default_configENS1_25partition_config_selectorILNS1_17partition_subalgoE0EsNS0_10empty_typeEbEEZZNS1_14partition_implILS5_0ELb0ES3_jN6thrust23THRUST_200600_302600_NS6detail15normal_iteratorINSA_10device_ptrIsEEEEPS6_SG_NS0_5tupleIJSF_NSA_16discard_iteratorINSA_11use_defaultEEEEEENSH_IJSG_SG_EEES6_PlJ7is_evenIsEEEE10hipError_tPvRmT3_T4_T5_T6_T7_T9_mT8_P12ihipStream_tbDpT10_ENKUlT_T0_E_clISt17integral_constantIbLb1EES18_IbLb0EEEEDaS14_S15_EUlS14_E_NS1_11comp_targetILNS1_3genE3ELNS1_11target_archE908ELNS1_3gpuE7ELNS1_3repE0EEENS1_30default_config_static_selectorELNS0_4arch9wavefront6targetE1EEEvT1_.kd
    .uniform_work_group_size: 1
    .uses_dynamic_stack: false
    .vgpr_count:     0
    .vgpr_spill_count: 0
    .wavefront_size: 64
  - .agpr_count:     0
    .args:
      - .offset:         0
        .size:           128
        .value_kind:     by_value
    .group_segment_fixed_size: 0
    .kernarg_segment_align: 8
    .kernarg_segment_size: 128
    .language:       OpenCL C
    .language_version:
      - 2
      - 0
    .max_flat_workgroup_size: 256
    .name:           _ZN7rocprim17ROCPRIM_400000_NS6detail17trampoline_kernelINS0_14default_configENS1_25partition_config_selectorILNS1_17partition_subalgoE0EsNS0_10empty_typeEbEEZZNS1_14partition_implILS5_0ELb0ES3_jN6thrust23THRUST_200600_302600_NS6detail15normal_iteratorINSA_10device_ptrIsEEEEPS6_SG_NS0_5tupleIJSF_NSA_16discard_iteratorINSA_11use_defaultEEEEEENSH_IJSG_SG_EEES6_PlJ7is_evenIsEEEE10hipError_tPvRmT3_T4_T5_T6_T7_T9_mT8_P12ihipStream_tbDpT10_ENKUlT_T0_E_clISt17integral_constantIbLb1EES18_IbLb0EEEEDaS14_S15_EUlS14_E_NS1_11comp_targetILNS1_3genE2ELNS1_11target_archE906ELNS1_3gpuE6ELNS1_3repE0EEENS1_30default_config_static_selectorELNS0_4arch9wavefront6targetE1EEEvT1_
    .private_segment_fixed_size: 0
    .sgpr_count:     6
    .sgpr_spill_count: 0
    .symbol:         _ZN7rocprim17ROCPRIM_400000_NS6detail17trampoline_kernelINS0_14default_configENS1_25partition_config_selectorILNS1_17partition_subalgoE0EsNS0_10empty_typeEbEEZZNS1_14partition_implILS5_0ELb0ES3_jN6thrust23THRUST_200600_302600_NS6detail15normal_iteratorINSA_10device_ptrIsEEEEPS6_SG_NS0_5tupleIJSF_NSA_16discard_iteratorINSA_11use_defaultEEEEEENSH_IJSG_SG_EEES6_PlJ7is_evenIsEEEE10hipError_tPvRmT3_T4_T5_T6_T7_T9_mT8_P12ihipStream_tbDpT10_ENKUlT_T0_E_clISt17integral_constantIbLb1EES18_IbLb0EEEEDaS14_S15_EUlS14_E_NS1_11comp_targetILNS1_3genE2ELNS1_11target_archE906ELNS1_3gpuE6ELNS1_3repE0EEENS1_30default_config_static_selectorELNS0_4arch9wavefront6targetE1EEEvT1_.kd
    .uniform_work_group_size: 1
    .uses_dynamic_stack: false
    .vgpr_count:     0
    .vgpr_spill_count: 0
    .wavefront_size: 64
  - .agpr_count:     0
    .args:
      - .offset:         0
        .size:           128
        .value_kind:     by_value
    .group_segment_fixed_size: 0
    .kernarg_segment_align: 8
    .kernarg_segment_size: 128
    .language:       OpenCL C
    .language_version:
      - 2
      - 0
    .max_flat_workgroup_size: 384
    .name:           _ZN7rocprim17ROCPRIM_400000_NS6detail17trampoline_kernelINS0_14default_configENS1_25partition_config_selectorILNS1_17partition_subalgoE0EsNS0_10empty_typeEbEEZZNS1_14partition_implILS5_0ELb0ES3_jN6thrust23THRUST_200600_302600_NS6detail15normal_iteratorINSA_10device_ptrIsEEEEPS6_SG_NS0_5tupleIJSF_NSA_16discard_iteratorINSA_11use_defaultEEEEEENSH_IJSG_SG_EEES6_PlJ7is_evenIsEEEE10hipError_tPvRmT3_T4_T5_T6_T7_T9_mT8_P12ihipStream_tbDpT10_ENKUlT_T0_E_clISt17integral_constantIbLb1EES18_IbLb0EEEEDaS14_S15_EUlS14_E_NS1_11comp_targetILNS1_3genE10ELNS1_11target_archE1200ELNS1_3gpuE4ELNS1_3repE0EEENS1_30default_config_static_selectorELNS0_4arch9wavefront6targetE1EEEvT1_
    .private_segment_fixed_size: 0
    .sgpr_count:     6
    .sgpr_spill_count: 0
    .symbol:         _ZN7rocprim17ROCPRIM_400000_NS6detail17trampoline_kernelINS0_14default_configENS1_25partition_config_selectorILNS1_17partition_subalgoE0EsNS0_10empty_typeEbEEZZNS1_14partition_implILS5_0ELb0ES3_jN6thrust23THRUST_200600_302600_NS6detail15normal_iteratorINSA_10device_ptrIsEEEEPS6_SG_NS0_5tupleIJSF_NSA_16discard_iteratorINSA_11use_defaultEEEEEENSH_IJSG_SG_EEES6_PlJ7is_evenIsEEEE10hipError_tPvRmT3_T4_T5_T6_T7_T9_mT8_P12ihipStream_tbDpT10_ENKUlT_T0_E_clISt17integral_constantIbLb1EES18_IbLb0EEEEDaS14_S15_EUlS14_E_NS1_11comp_targetILNS1_3genE10ELNS1_11target_archE1200ELNS1_3gpuE4ELNS1_3repE0EEENS1_30default_config_static_selectorELNS0_4arch9wavefront6targetE1EEEvT1_.kd
    .uniform_work_group_size: 1
    .uses_dynamic_stack: false
    .vgpr_count:     0
    .vgpr_spill_count: 0
    .wavefront_size: 64
  - .agpr_count:     0
    .args:
      - .offset:         0
        .size:           128
        .value_kind:     by_value
    .group_segment_fixed_size: 0
    .kernarg_segment_align: 8
    .kernarg_segment_size: 128
    .language:       OpenCL C
    .language_version:
      - 2
      - 0
    .max_flat_workgroup_size: 128
    .name:           _ZN7rocprim17ROCPRIM_400000_NS6detail17trampoline_kernelINS0_14default_configENS1_25partition_config_selectorILNS1_17partition_subalgoE0EsNS0_10empty_typeEbEEZZNS1_14partition_implILS5_0ELb0ES3_jN6thrust23THRUST_200600_302600_NS6detail15normal_iteratorINSA_10device_ptrIsEEEEPS6_SG_NS0_5tupleIJSF_NSA_16discard_iteratorINSA_11use_defaultEEEEEENSH_IJSG_SG_EEES6_PlJ7is_evenIsEEEE10hipError_tPvRmT3_T4_T5_T6_T7_T9_mT8_P12ihipStream_tbDpT10_ENKUlT_T0_E_clISt17integral_constantIbLb1EES18_IbLb0EEEEDaS14_S15_EUlS14_E_NS1_11comp_targetILNS1_3genE9ELNS1_11target_archE1100ELNS1_3gpuE3ELNS1_3repE0EEENS1_30default_config_static_selectorELNS0_4arch9wavefront6targetE1EEEvT1_
    .private_segment_fixed_size: 0
    .sgpr_count:     6
    .sgpr_spill_count: 0
    .symbol:         _ZN7rocprim17ROCPRIM_400000_NS6detail17trampoline_kernelINS0_14default_configENS1_25partition_config_selectorILNS1_17partition_subalgoE0EsNS0_10empty_typeEbEEZZNS1_14partition_implILS5_0ELb0ES3_jN6thrust23THRUST_200600_302600_NS6detail15normal_iteratorINSA_10device_ptrIsEEEEPS6_SG_NS0_5tupleIJSF_NSA_16discard_iteratorINSA_11use_defaultEEEEEENSH_IJSG_SG_EEES6_PlJ7is_evenIsEEEE10hipError_tPvRmT3_T4_T5_T6_T7_T9_mT8_P12ihipStream_tbDpT10_ENKUlT_T0_E_clISt17integral_constantIbLb1EES18_IbLb0EEEEDaS14_S15_EUlS14_E_NS1_11comp_targetILNS1_3genE9ELNS1_11target_archE1100ELNS1_3gpuE3ELNS1_3repE0EEENS1_30default_config_static_selectorELNS0_4arch9wavefront6targetE1EEEvT1_.kd
    .uniform_work_group_size: 1
    .uses_dynamic_stack: false
    .vgpr_count:     0
    .vgpr_spill_count: 0
    .wavefront_size: 64
  - .agpr_count:     0
    .args:
      - .offset:         0
        .size:           128
        .value_kind:     by_value
    .group_segment_fixed_size: 0
    .kernarg_segment_align: 8
    .kernarg_segment_size: 128
    .language:       OpenCL C
    .language_version:
      - 2
      - 0
    .max_flat_workgroup_size: 128
    .name:           _ZN7rocprim17ROCPRIM_400000_NS6detail17trampoline_kernelINS0_14default_configENS1_25partition_config_selectorILNS1_17partition_subalgoE0EsNS0_10empty_typeEbEEZZNS1_14partition_implILS5_0ELb0ES3_jN6thrust23THRUST_200600_302600_NS6detail15normal_iteratorINSA_10device_ptrIsEEEEPS6_SG_NS0_5tupleIJSF_NSA_16discard_iteratorINSA_11use_defaultEEEEEENSH_IJSG_SG_EEES6_PlJ7is_evenIsEEEE10hipError_tPvRmT3_T4_T5_T6_T7_T9_mT8_P12ihipStream_tbDpT10_ENKUlT_T0_E_clISt17integral_constantIbLb1EES18_IbLb0EEEEDaS14_S15_EUlS14_E_NS1_11comp_targetILNS1_3genE8ELNS1_11target_archE1030ELNS1_3gpuE2ELNS1_3repE0EEENS1_30default_config_static_selectorELNS0_4arch9wavefront6targetE1EEEvT1_
    .private_segment_fixed_size: 0
    .sgpr_count:     6
    .sgpr_spill_count: 0
    .symbol:         _ZN7rocprim17ROCPRIM_400000_NS6detail17trampoline_kernelINS0_14default_configENS1_25partition_config_selectorILNS1_17partition_subalgoE0EsNS0_10empty_typeEbEEZZNS1_14partition_implILS5_0ELb0ES3_jN6thrust23THRUST_200600_302600_NS6detail15normal_iteratorINSA_10device_ptrIsEEEEPS6_SG_NS0_5tupleIJSF_NSA_16discard_iteratorINSA_11use_defaultEEEEEENSH_IJSG_SG_EEES6_PlJ7is_evenIsEEEE10hipError_tPvRmT3_T4_T5_T6_T7_T9_mT8_P12ihipStream_tbDpT10_ENKUlT_T0_E_clISt17integral_constantIbLb1EES18_IbLb0EEEEDaS14_S15_EUlS14_E_NS1_11comp_targetILNS1_3genE8ELNS1_11target_archE1030ELNS1_3gpuE2ELNS1_3repE0EEENS1_30default_config_static_selectorELNS0_4arch9wavefront6targetE1EEEvT1_.kd
    .uniform_work_group_size: 1
    .uses_dynamic_stack: false
    .vgpr_count:     0
    .vgpr_spill_count: 0
    .wavefront_size: 64
  - .agpr_count:     0
    .args:
      - .offset:         0
        .size:           144
        .value_kind:     by_value
    .group_segment_fixed_size: 0
    .kernarg_segment_align: 8
    .kernarg_segment_size: 144
    .language:       OpenCL C
    .language_version:
      - 2
      - 0
    .max_flat_workgroup_size: 256
    .name:           _ZN7rocprim17ROCPRIM_400000_NS6detail17trampoline_kernelINS0_14default_configENS1_25partition_config_selectorILNS1_17partition_subalgoE0EsNS0_10empty_typeEbEEZZNS1_14partition_implILS5_0ELb0ES3_jN6thrust23THRUST_200600_302600_NS6detail15normal_iteratorINSA_10device_ptrIsEEEEPS6_SG_NS0_5tupleIJSF_NSA_16discard_iteratorINSA_11use_defaultEEEEEENSH_IJSG_SG_EEES6_PlJ7is_evenIsEEEE10hipError_tPvRmT3_T4_T5_T6_T7_T9_mT8_P12ihipStream_tbDpT10_ENKUlT_T0_E_clISt17integral_constantIbLb0EES18_IbLb1EEEEDaS14_S15_EUlS14_E_NS1_11comp_targetILNS1_3genE0ELNS1_11target_archE4294967295ELNS1_3gpuE0ELNS1_3repE0EEENS1_30default_config_static_selectorELNS0_4arch9wavefront6targetE1EEEvT1_
    .private_segment_fixed_size: 0
    .sgpr_count:     6
    .sgpr_spill_count: 0
    .symbol:         _ZN7rocprim17ROCPRIM_400000_NS6detail17trampoline_kernelINS0_14default_configENS1_25partition_config_selectorILNS1_17partition_subalgoE0EsNS0_10empty_typeEbEEZZNS1_14partition_implILS5_0ELb0ES3_jN6thrust23THRUST_200600_302600_NS6detail15normal_iteratorINSA_10device_ptrIsEEEEPS6_SG_NS0_5tupleIJSF_NSA_16discard_iteratorINSA_11use_defaultEEEEEENSH_IJSG_SG_EEES6_PlJ7is_evenIsEEEE10hipError_tPvRmT3_T4_T5_T6_T7_T9_mT8_P12ihipStream_tbDpT10_ENKUlT_T0_E_clISt17integral_constantIbLb0EES18_IbLb1EEEEDaS14_S15_EUlS14_E_NS1_11comp_targetILNS1_3genE0ELNS1_11target_archE4294967295ELNS1_3gpuE0ELNS1_3repE0EEENS1_30default_config_static_selectorELNS0_4arch9wavefront6targetE1EEEvT1_.kd
    .uniform_work_group_size: 1
    .uses_dynamic_stack: false
    .vgpr_count:     0
    .vgpr_spill_count: 0
    .wavefront_size: 64
  - .agpr_count:     0
    .args:
      - .offset:         0
        .size:           144
        .value_kind:     by_value
    .group_segment_fixed_size: 30728
    .kernarg_segment_align: 8
    .kernarg_segment_size: 144
    .language:       OpenCL C
    .language_version:
      - 2
      - 0
    .max_flat_workgroup_size: 512
    .name:           _ZN7rocprim17ROCPRIM_400000_NS6detail17trampoline_kernelINS0_14default_configENS1_25partition_config_selectorILNS1_17partition_subalgoE0EsNS0_10empty_typeEbEEZZNS1_14partition_implILS5_0ELb0ES3_jN6thrust23THRUST_200600_302600_NS6detail15normal_iteratorINSA_10device_ptrIsEEEEPS6_SG_NS0_5tupleIJSF_NSA_16discard_iteratorINSA_11use_defaultEEEEEENSH_IJSG_SG_EEES6_PlJ7is_evenIsEEEE10hipError_tPvRmT3_T4_T5_T6_T7_T9_mT8_P12ihipStream_tbDpT10_ENKUlT_T0_E_clISt17integral_constantIbLb0EES18_IbLb1EEEEDaS14_S15_EUlS14_E_NS1_11comp_targetILNS1_3genE5ELNS1_11target_archE942ELNS1_3gpuE9ELNS1_3repE0EEENS1_30default_config_static_selectorELNS0_4arch9wavefront6targetE1EEEvT1_
    .private_segment_fixed_size: 0
    .sgpr_count:     46
    .sgpr_spill_count: 0
    .symbol:         _ZN7rocprim17ROCPRIM_400000_NS6detail17trampoline_kernelINS0_14default_configENS1_25partition_config_selectorILNS1_17partition_subalgoE0EsNS0_10empty_typeEbEEZZNS1_14partition_implILS5_0ELb0ES3_jN6thrust23THRUST_200600_302600_NS6detail15normal_iteratorINSA_10device_ptrIsEEEEPS6_SG_NS0_5tupleIJSF_NSA_16discard_iteratorINSA_11use_defaultEEEEEENSH_IJSG_SG_EEES6_PlJ7is_evenIsEEEE10hipError_tPvRmT3_T4_T5_T6_T7_T9_mT8_P12ihipStream_tbDpT10_ENKUlT_T0_E_clISt17integral_constantIbLb0EES18_IbLb1EEEEDaS14_S15_EUlS14_E_NS1_11comp_targetILNS1_3genE5ELNS1_11target_archE942ELNS1_3gpuE9ELNS1_3repE0EEENS1_30default_config_static_selectorELNS0_4arch9wavefront6targetE1EEEvT1_.kd
    .uniform_work_group_size: 1
    .uses_dynamic_stack: false
    .vgpr_count:     122
    .vgpr_spill_count: 0
    .wavefront_size: 64
  - .agpr_count:     0
    .args:
      - .offset:         0
        .size:           144
        .value_kind:     by_value
    .group_segment_fixed_size: 0
    .kernarg_segment_align: 8
    .kernarg_segment_size: 144
    .language:       OpenCL C
    .language_version:
      - 2
      - 0
    .max_flat_workgroup_size: 256
    .name:           _ZN7rocprim17ROCPRIM_400000_NS6detail17trampoline_kernelINS0_14default_configENS1_25partition_config_selectorILNS1_17partition_subalgoE0EsNS0_10empty_typeEbEEZZNS1_14partition_implILS5_0ELb0ES3_jN6thrust23THRUST_200600_302600_NS6detail15normal_iteratorINSA_10device_ptrIsEEEEPS6_SG_NS0_5tupleIJSF_NSA_16discard_iteratorINSA_11use_defaultEEEEEENSH_IJSG_SG_EEES6_PlJ7is_evenIsEEEE10hipError_tPvRmT3_T4_T5_T6_T7_T9_mT8_P12ihipStream_tbDpT10_ENKUlT_T0_E_clISt17integral_constantIbLb0EES18_IbLb1EEEEDaS14_S15_EUlS14_E_NS1_11comp_targetILNS1_3genE4ELNS1_11target_archE910ELNS1_3gpuE8ELNS1_3repE0EEENS1_30default_config_static_selectorELNS0_4arch9wavefront6targetE1EEEvT1_
    .private_segment_fixed_size: 0
    .sgpr_count:     6
    .sgpr_spill_count: 0
    .symbol:         _ZN7rocprim17ROCPRIM_400000_NS6detail17trampoline_kernelINS0_14default_configENS1_25partition_config_selectorILNS1_17partition_subalgoE0EsNS0_10empty_typeEbEEZZNS1_14partition_implILS5_0ELb0ES3_jN6thrust23THRUST_200600_302600_NS6detail15normal_iteratorINSA_10device_ptrIsEEEEPS6_SG_NS0_5tupleIJSF_NSA_16discard_iteratorINSA_11use_defaultEEEEEENSH_IJSG_SG_EEES6_PlJ7is_evenIsEEEE10hipError_tPvRmT3_T4_T5_T6_T7_T9_mT8_P12ihipStream_tbDpT10_ENKUlT_T0_E_clISt17integral_constantIbLb0EES18_IbLb1EEEEDaS14_S15_EUlS14_E_NS1_11comp_targetILNS1_3genE4ELNS1_11target_archE910ELNS1_3gpuE8ELNS1_3repE0EEENS1_30default_config_static_selectorELNS0_4arch9wavefront6targetE1EEEvT1_.kd
    .uniform_work_group_size: 1
    .uses_dynamic_stack: false
    .vgpr_count:     0
    .vgpr_spill_count: 0
    .wavefront_size: 64
  - .agpr_count:     0
    .args:
      - .offset:         0
        .size:           144
        .value_kind:     by_value
    .group_segment_fixed_size: 0
    .kernarg_segment_align: 8
    .kernarg_segment_size: 144
    .language:       OpenCL C
    .language_version:
      - 2
      - 0
    .max_flat_workgroup_size: 256
    .name:           _ZN7rocprim17ROCPRIM_400000_NS6detail17trampoline_kernelINS0_14default_configENS1_25partition_config_selectorILNS1_17partition_subalgoE0EsNS0_10empty_typeEbEEZZNS1_14partition_implILS5_0ELb0ES3_jN6thrust23THRUST_200600_302600_NS6detail15normal_iteratorINSA_10device_ptrIsEEEEPS6_SG_NS0_5tupleIJSF_NSA_16discard_iteratorINSA_11use_defaultEEEEEENSH_IJSG_SG_EEES6_PlJ7is_evenIsEEEE10hipError_tPvRmT3_T4_T5_T6_T7_T9_mT8_P12ihipStream_tbDpT10_ENKUlT_T0_E_clISt17integral_constantIbLb0EES18_IbLb1EEEEDaS14_S15_EUlS14_E_NS1_11comp_targetILNS1_3genE3ELNS1_11target_archE908ELNS1_3gpuE7ELNS1_3repE0EEENS1_30default_config_static_selectorELNS0_4arch9wavefront6targetE1EEEvT1_
    .private_segment_fixed_size: 0
    .sgpr_count:     6
    .sgpr_spill_count: 0
    .symbol:         _ZN7rocprim17ROCPRIM_400000_NS6detail17trampoline_kernelINS0_14default_configENS1_25partition_config_selectorILNS1_17partition_subalgoE0EsNS0_10empty_typeEbEEZZNS1_14partition_implILS5_0ELb0ES3_jN6thrust23THRUST_200600_302600_NS6detail15normal_iteratorINSA_10device_ptrIsEEEEPS6_SG_NS0_5tupleIJSF_NSA_16discard_iteratorINSA_11use_defaultEEEEEENSH_IJSG_SG_EEES6_PlJ7is_evenIsEEEE10hipError_tPvRmT3_T4_T5_T6_T7_T9_mT8_P12ihipStream_tbDpT10_ENKUlT_T0_E_clISt17integral_constantIbLb0EES18_IbLb1EEEEDaS14_S15_EUlS14_E_NS1_11comp_targetILNS1_3genE3ELNS1_11target_archE908ELNS1_3gpuE7ELNS1_3repE0EEENS1_30default_config_static_selectorELNS0_4arch9wavefront6targetE1EEEvT1_.kd
    .uniform_work_group_size: 1
    .uses_dynamic_stack: false
    .vgpr_count:     0
    .vgpr_spill_count: 0
    .wavefront_size: 64
  - .agpr_count:     0
    .args:
      - .offset:         0
        .size:           144
        .value_kind:     by_value
    .group_segment_fixed_size: 0
    .kernarg_segment_align: 8
    .kernarg_segment_size: 144
    .language:       OpenCL C
    .language_version:
      - 2
      - 0
    .max_flat_workgroup_size: 256
    .name:           _ZN7rocprim17ROCPRIM_400000_NS6detail17trampoline_kernelINS0_14default_configENS1_25partition_config_selectorILNS1_17partition_subalgoE0EsNS0_10empty_typeEbEEZZNS1_14partition_implILS5_0ELb0ES3_jN6thrust23THRUST_200600_302600_NS6detail15normal_iteratorINSA_10device_ptrIsEEEEPS6_SG_NS0_5tupleIJSF_NSA_16discard_iteratorINSA_11use_defaultEEEEEENSH_IJSG_SG_EEES6_PlJ7is_evenIsEEEE10hipError_tPvRmT3_T4_T5_T6_T7_T9_mT8_P12ihipStream_tbDpT10_ENKUlT_T0_E_clISt17integral_constantIbLb0EES18_IbLb1EEEEDaS14_S15_EUlS14_E_NS1_11comp_targetILNS1_3genE2ELNS1_11target_archE906ELNS1_3gpuE6ELNS1_3repE0EEENS1_30default_config_static_selectorELNS0_4arch9wavefront6targetE1EEEvT1_
    .private_segment_fixed_size: 0
    .sgpr_count:     6
    .sgpr_spill_count: 0
    .symbol:         _ZN7rocprim17ROCPRIM_400000_NS6detail17trampoline_kernelINS0_14default_configENS1_25partition_config_selectorILNS1_17partition_subalgoE0EsNS0_10empty_typeEbEEZZNS1_14partition_implILS5_0ELb0ES3_jN6thrust23THRUST_200600_302600_NS6detail15normal_iteratorINSA_10device_ptrIsEEEEPS6_SG_NS0_5tupleIJSF_NSA_16discard_iteratorINSA_11use_defaultEEEEEENSH_IJSG_SG_EEES6_PlJ7is_evenIsEEEE10hipError_tPvRmT3_T4_T5_T6_T7_T9_mT8_P12ihipStream_tbDpT10_ENKUlT_T0_E_clISt17integral_constantIbLb0EES18_IbLb1EEEEDaS14_S15_EUlS14_E_NS1_11comp_targetILNS1_3genE2ELNS1_11target_archE906ELNS1_3gpuE6ELNS1_3repE0EEENS1_30default_config_static_selectorELNS0_4arch9wavefront6targetE1EEEvT1_.kd
    .uniform_work_group_size: 1
    .uses_dynamic_stack: false
    .vgpr_count:     0
    .vgpr_spill_count: 0
    .wavefront_size: 64
  - .agpr_count:     0
    .args:
      - .offset:         0
        .size:           144
        .value_kind:     by_value
    .group_segment_fixed_size: 0
    .kernarg_segment_align: 8
    .kernarg_segment_size: 144
    .language:       OpenCL C
    .language_version:
      - 2
      - 0
    .max_flat_workgroup_size: 384
    .name:           _ZN7rocprim17ROCPRIM_400000_NS6detail17trampoline_kernelINS0_14default_configENS1_25partition_config_selectorILNS1_17partition_subalgoE0EsNS0_10empty_typeEbEEZZNS1_14partition_implILS5_0ELb0ES3_jN6thrust23THRUST_200600_302600_NS6detail15normal_iteratorINSA_10device_ptrIsEEEEPS6_SG_NS0_5tupleIJSF_NSA_16discard_iteratorINSA_11use_defaultEEEEEENSH_IJSG_SG_EEES6_PlJ7is_evenIsEEEE10hipError_tPvRmT3_T4_T5_T6_T7_T9_mT8_P12ihipStream_tbDpT10_ENKUlT_T0_E_clISt17integral_constantIbLb0EES18_IbLb1EEEEDaS14_S15_EUlS14_E_NS1_11comp_targetILNS1_3genE10ELNS1_11target_archE1200ELNS1_3gpuE4ELNS1_3repE0EEENS1_30default_config_static_selectorELNS0_4arch9wavefront6targetE1EEEvT1_
    .private_segment_fixed_size: 0
    .sgpr_count:     6
    .sgpr_spill_count: 0
    .symbol:         _ZN7rocprim17ROCPRIM_400000_NS6detail17trampoline_kernelINS0_14default_configENS1_25partition_config_selectorILNS1_17partition_subalgoE0EsNS0_10empty_typeEbEEZZNS1_14partition_implILS5_0ELb0ES3_jN6thrust23THRUST_200600_302600_NS6detail15normal_iteratorINSA_10device_ptrIsEEEEPS6_SG_NS0_5tupleIJSF_NSA_16discard_iteratorINSA_11use_defaultEEEEEENSH_IJSG_SG_EEES6_PlJ7is_evenIsEEEE10hipError_tPvRmT3_T4_T5_T6_T7_T9_mT8_P12ihipStream_tbDpT10_ENKUlT_T0_E_clISt17integral_constantIbLb0EES18_IbLb1EEEEDaS14_S15_EUlS14_E_NS1_11comp_targetILNS1_3genE10ELNS1_11target_archE1200ELNS1_3gpuE4ELNS1_3repE0EEENS1_30default_config_static_selectorELNS0_4arch9wavefront6targetE1EEEvT1_.kd
    .uniform_work_group_size: 1
    .uses_dynamic_stack: false
    .vgpr_count:     0
    .vgpr_spill_count: 0
    .wavefront_size: 64
  - .agpr_count:     0
    .args:
      - .offset:         0
        .size:           144
        .value_kind:     by_value
    .group_segment_fixed_size: 0
    .kernarg_segment_align: 8
    .kernarg_segment_size: 144
    .language:       OpenCL C
    .language_version:
      - 2
      - 0
    .max_flat_workgroup_size: 128
    .name:           _ZN7rocprim17ROCPRIM_400000_NS6detail17trampoline_kernelINS0_14default_configENS1_25partition_config_selectorILNS1_17partition_subalgoE0EsNS0_10empty_typeEbEEZZNS1_14partition_implILS5_0ELb0ES3_jN6thrust23THRUST_200600_302600_NS6detail15normal_iteratorINSA_10device_ptrIsEEEEPS6_SG_NS0_5tupleIJSF_NSA_16discard_iteratorINSA_11use_defaultEEEEEENSH_IJSG_SG_EEES6_PlJ7is_evenIsEEEE10hipError_tPvRmT3_T4_T5_T6_T7_T9_mT8_P12ihipStream_tbDpT10_ENKUlT_T0_E_clISt17integral_constantIbLb0EES18_IbLb1EEEEDaS14_S15_EUlS14_E_NS1_11comp_targetILNS1_3genE9ELNS1_11target_archE1100ELNS1_3gpuE3ELNS1_3repE0EEENS1_30default_config_static_selectorELNS0_4arch9wavefront6targetE1EEEvT1_
    .private_segment_fixed_size: 0
    .sgpr_count:     6
    .sgpr_spill_count: 0
    .symbol:         _ZN7rocprim17ROCPRIM_400000_NS6detail17trampoline_kernelINS0_14default_configENS1_25partition_config_selectorILNS1_17partition_subalgoE0EsNS0_10empty_typeEbEEZZNS1_14partition_implILS5_0ELb0ES3_jN6thrust23THRUST_200600_302600_NS6detail15normal_iteratorINSA_10device_ptrIsEEEEPS6_SG_NS0_5tupleIJSF_NSA_16discard_iteratorINSA_11use_defaultEEEEEENSH_IJSG_SG_EEES6_PlJ7is_evenIsEEEE10hipError_tPvRmT3_T4_T5_T6_T7_T9_mT8_P12ihipStream_tbDpT10_ENKUlT_T0_E_clISt17integral_constantIbLb0EES18_IbLb1EEEEDaS14_S15_EUlS14_E_NS1_11comp_targetILNS1_3genE9ELNS1_11target_archE1100ELNS1_3gpuE3ELNS1_3repE0EEENS1_30default_config_static_selectorELNS0_4arch9wavefront6targetE1EEEvT1_.kd
    .uniform_work_group_size: 1
    .uses_dynamic_stack: false
    .vgpr_count:     0
    .vgpr_spill_count: 0
    .wavefront_size: 64
  - .agpr_count:     0
    .args:
      - .offset:         0
        .size:           144
        .value_kind:     by_value
    .group_segment_fixed_size: 0
    .kernarg_segment_align: 8
    .kernarg_segment_size: 144
    .language:       OpenCL C
    .language_version:
      - 2
      - 0
    .max_flat_workgroup_size: 128
    .name:           _ZN7rocprim17ROCPRIM_400000_NS6detail17trampoline_kernelINS0_14default_configENS1_25partition_config_selectorILNS1_17partition_subalgoE0EsNS0_10empty_typeEbEEZZNS1_14partition_implILS5_0ELb0ES3_jN6thrust23THRUST_200600_302600_NS6detail15normal_iteratorINSA_10device_ptrIsEEEEPS6_SG_NS0_5tupleIJSF_NSA_16discard_iteratorINSA_11use_defaultEEEEEENSH_IJSG_SG_EEES6_PlJ7is_evenIsEEEE10hipError_tPvRmT3_T4_T5_T6_T7_T9_mT8_P12ihipStream_tbDpT10_ENKUlT_T0_E_clISt17integral_constantIbLb0EES18_IbLb1EEEEDaS14_S15_EUlS14_E_NS1_11comp_targetILNS1_3genE8ELNS1_11target_archE1030ELNS1_3gpuE2ELNS1_3repE0EEENS1_30default_config_static_selectorELNS0_4arch9wavefront6targetE1EEEvT1_
    .private_segment_fixed_size: 0
    .sgpr_count:     6
    .sgpr_spill_count: 0
    .symbol:         _ZN7rocprim17ROCPRIM_400000_NS6detail17trampoline_kernelINS0_14default_configENS1_25partition_config_selectorILNS1_17partition_subalgoE0EsNS0_10empty_typeEbEEZZNS1_14partition_implILS5_0ELb0ES3_jN6thrust23THRUST_200600_302600_NS6detail15normal_iteratorINSA_10device_ptrIsEEEEPS6_SG_NS0_5tupleIJSF_NSA_16discard_iteratorINSA_11use_defaultEEEEEENSH_IJSG_SG_EEES6_PlJ7is_evenIsEEEE10hipError_tPvRmT3_T4_T5_T6_T7_T9_mT8_P12ihipStream_tbDpT10_ENKUlT_T0_E_clISt17integral_constantIbLb0EES18_IbLb1EEEEDaS14_S15_EUlS14_E_NS1_11comp_targetILNS1_3genE8ELNS1_11target_archE1030ELNS1_3gpuE2ELNS1_3repE0EEENS1_30default_config_static_selectorELNS0_4arch9wavefront6targetE1EEEvT1_.kd
    .uniform_work_group_size: 1
    .uses_dynamic_stack: false
    .vgpr_count:     0
    .vgpr_spill_count: 0
    .wavefront_size: 64
  - .agpr_count:     0
    .args:
      - .offset:         0
        .size:           128
        .value_kind:     by_value
    .group_segment_fixed_size: 0
    .kernarg_segment_align: 8
    .kernarg_segment_size: 128
    .language:       OpenCL C
    .language_version:
      - 2
      - 0
    .max_flat_workgroup_size: 256
    .name:           _ZN7rocprim17ROCPRIM_400000_NS6detail17trampoline_kernelINS0_14default_configENS1_25partition_config_selectorILNS1_17partition_subalgoE0EsNS0_10empty_typeEbEEZZNS1_14partition_implILS5_0ELb0ES3_jN6thrust23THRUST_200600_302600_NS6detail15normal_iteratorINSA_10device_ptrIsEEEEPS6_SG_NS0_5tupleIJNSA_16discard_iteratorINSA_11use_defaultEEESF_EEENSH_IJSG_SG_EEES6_PlJ7is_evenIsEEEE10hipError_tPvRmT3_T4_T5_T6_T7_T9_mT8_P12ihipStream_tbDpT10_ENKUlT_T0_E_clISt17integral_constantIbLb0EES19_EEDaS14_S15_EUlS14_E_NS1_11comp_targetILNS1_3genE0ELNS1_11target_archE4294967295ELNS1_3gpuE0ELNS1_3repE0EEENS1_30default_config_static_selectorELNS0_4arch9wavefront6targetE1EEEvT1_
    .private_segment_fixed_size: 0
    .sgpr_count:     6
    .sgpr_spill_count: 0
    .symbol:         _ZN7rocprim17ROCPRIM_400000_NS6detail17trampoline_kernelINS0_14default_configENS1_25partition_config_selectorILNS1_17partition_subalgoE0EsNS0_10empty_typeEbEEZZNS1_14partition_implILS5_0ELb0ES3_jN6thrust23THRUST_200600_302600_NS6detail15normal_iteratorINSA_10device_ptrIsEEEEPS6_SG_NS0_5tupleIJNSA_16discard_iteratorINSA_11use_defaultEEESF_EEENSH_IJSG_SG_EEES6_PlJ7is_evenIsEEEE10hipError_tPvRmT3_T4_T5_T6_T7_T9_mT8_P12ihipStream_tbDpT10_ENKUlT_T0_E_clISt17integral_constantIbLb0EES19_EEDaS14_S15_EUlS14_E_NS1_11comp_targetILNS1_3genE0ELNS1_11target_archE4294967295ELNS1_3gpuE0ELNS1_3repE0EEENS1_30default_config_static_selectorELNS0_4arch9wavefront6targetE1EEEvT1_.kd
    .uniform_work_group_size: 1
    .uses_dynamic_stack: false
    .vgpr_count:     0
    .vgpr_spill_count: 0
    .wavefront_size: 64
  - .agpr_count:     0
    .args:
      - .offset:         0
        .size:           128
        .value_kind:     by_value
    .group_segment_fixed_size: 30728
    .kernarg_segment_align: 8
    .kernarg_segment_size: 128
    .language:       OpenCL C
    .language_version:
      - 2
      - 0
    .max_flat_workgroup_size: 512
    .name:           _ZN7rocprim17ROCPRIM_400000_NS6detail17trampoline_kernelINS0_14default_configENS1_25partition_config_selectorILNS1_17partition_subalgoE0EsNS0_10empty_typeEbEEZZNS1_14partition_implILS5_0ELb0ES3_jN6thrust23THRUST_200600_302600_NS6detail15normal_iteratorINSA_10device_ptrIsEEEEPS6_SG_NS0_5tupleIJNSA_16discard_iteratorINSA_11use_defaultEEESF_EEENSH_IJSG_SG_EEES6_PlJ7is_evenIsEEEE10hipError_tPvRmT3_T4_T5_T6_T7_T9_mT8_P12ihipStream_tbDpT10_ENKUlT_T0_E_clISt17integral_constantIbLb0EES19_EEDaS14_S15_EUlS14_E_NS1_11comp_targetILNS1_3genE5ELNS1_11target_archE942ELNS1_3gpuE9ELNS1_3repE0EEENS1_30default_config_static_selectorELNS0_4arch9wavefront6targetE1EEEvT1_
    .private_segment_fixed_size: 0
    .sgpr_count:     50
    .sgpr_spill_count: 0
    .symbol:         _ZN7rocprim17ROCPRIM_400000_NS6detail17trampoline_kernelINS0_14default_configENS1_25partition_config_selectorILNS1_17partition_subalgoE0EsNS0_10empty_typeEbEEZZNS1_14partition_implILS5_0ELb0ES3_jN6thrust23THRUST_200600_302600_NS6detail15normal_iteratorINSA_10device_ptrIsEEEEPS6_SG_NS0_5tupleIJNSA_16discard_iteratorINSA_11use_defaultEEESF_EEENSH_IJSG_SG_EEES6_PlJ7is_evenIsEEEE10hipError_tPvRmT3_T4_T5_T6_T7_T9_mT8_P12ihipStream_tbDpT10_ENKUlT_T0_E_clISt17integral_constantIbLb0EES19_EEDaS14_S15_EUlS14_E_NS1_11comp_targetILNS1_3genE5ELNS1_11target_archE942ELNS1_3gpuE9ELNS1_3repE0EEENS1_30default_config_static_selectorELNS0_4arch9wavefront6targetE1EEEvT1_.kd
    .uniform_work_group_size: 1
    .uses_dynamic_stack: false
    .vgpr_count:     120
    .vgpr_spill_count: 0
    .wavefront_size: 64
  - .agpr_count:     0
    .args:
      - .offset:         0
        .size:           128
        .value_kind:     by_value
    .group_segment_fixed_size: 0
    .kernarg_segment_align: 8
    .kernarg_segment_size: 128
    .language:       OpenCL C
    .language_version:
      - 2
      - 0
    .max_flat_workgroup_size: 256
    .name:           _ZN7rocprim17ROCPRIM_400000_NS6detail17trampoline_kernelINS0_14default_configENS1_25partition_config_selectorILNS1_17partition_subalgoE0EsNS0_10empty_typeEbEEZZNS1_14partition_implILS5_0ELb0ES3_jN6thrust23THRUST_200600_302600_NS6detail15normal_iteratorINSA_10device_ptrIsEEEEPS6_SG_NS0_5tupleIJNSA_16discard_iteratorINSA_11use_defaultEEESF_EEENSH_IJSG_SG_EEES6_PlJ7is_evenIsEEEE10hipError_tPvRmT3_T4_T5_T6_T7_T9_mT8_P12ihipStream_tbDpT10_ENKUlT_T0_E_clISt17integral_constantIbLb0EES19_EEDaS14_S15_EUlS14_E_NS1_11comp_targetILNS1_3genE4ELNS1_11target_archE910ELNS1_3gpuE8ELNS1_3repE0EEENS1_30default_config_static_selectorELNS0_4arch9wavefront6targetE1EEEvT1_
    .private_segment_fixed_size: 0
    .sgpr_count:     6
    .sgpr_spill_count: 0
    .symbol:         _ZN7rocprim17ROCPRIM_400000_NS6detail17trampoline_kernelINS0_14default_configENS1_25partition_config_selectorILNS1_17partition_subalgoE0EsNS0_10empty_typeEbEEZZNS1_14partition_implILS5_0ELb0ES3_jN6thrust23THRUST_200600_302600_NS6detail15normal_iteratorINSA_10device_ptrIsEEEEPS6_SG_NS0_5tupleIJNSA_16discard_iteratorINSA_11use_defaultEEESF_EEENSH_IJSG_SG_EEES6_PlJ7is_evenIsEEEE10hipError_tPvRmT3_T4_T5_T6_T7_T9_mT8_P12ihipStream_tbDpT10_ENKUlT_T0_E_clISt17integral_constantIbLb0EES19_EEDaS14_S15_EUlS14_E_NS1_11comp_targetILNS1_3genE4ELNS1_11target_archE910ELNS1_3gpuE8ELNS1_3repE0EEENS1_30default_config_static_selectorELNS0_4arch9wavefront6targetE1EEEvT1_.kd
    .uniform_work_group_size: 1
    .uses_dynamic_stack: false
    .vgpr_count:     0
    .vgpr_spill_count: 0
    .wavefront_size: 64
  - .agpr_count:     0
    .args:
      - .offset:         0
        .size:           128
        .value_kind:     by_value
    .group_segment_fixed_size: 0
    .kernarg_segment_align: 8
    .kernarg_segment_size: 128
    .language:       OpenCL C
    .language_version:
      - 2
      - 0
    .max_flat_workgroup_size: 256
    .name:           _ZN7rocprim17ROCPRIM_400000_NS6detail17trampoline_kernelINS0_14default_configENS1_25partition_config_selectorILNS1_17partition_subalgoE0EsNS0_10empty_typeEbEEZZNS1_14partition_implILS5_0ELb0ES3_jN6thrust23THRUST_200600_302600_NS6detail15normal_iteratorINSA_10device_ptrIsEEEEPS6_SG_NS0_5tupleIJNSA_16discard_iteratorINSA_11use_defaultEEESF_EEENSH_IJSG_SG_EEES6_PlJ7is_evenIsEEEE10hipError_tPvRmT3_T4_T5_T6_T7_T9_mT8_P12ihipStream_tbDpT10_ENKUlT_T0_E_clISt17integral_constantIbLb0EES19_EEDaS14_S15_EUlS14_E_NS1_11comp_targetILNS1_3genE3ELNS1_11target_archE908ELNS1_3gpuE7ELNS1_3repE0EEENS1_30default_config_static_selectorELNS0_4arch9wavefront6targetE1EEEvT1_
    .private_segment_fixed_size: 0
    .sgpr_count:     6
    .sgpr_spill_count: 0
    .symbol:         _ZN7rocprim17ROCPRIM_400000_NS6detail17trampoline_kernelINS0_14default_configENS1_25partition_config_selectorILNS1_17partition_subalgoE0EsNS0_10empty_typeEbEEZZNS1_14partition_implILS5_0ELb0ES3_jN6thrust23THRUST_200600_302600_NS6detail15normal_iteratorINSA_10device_ptrIsEEEEPS6_SG_NS0_5tupleIJNSA_16discard_iteratorINSA_11use_defaultEEESF_EEENSH_IJSG_SG_EEES6_PlJ7is_evenIsEEEE10hipError_tPvRmT3_T4_T5_T6_T7_T9_mT8_P12ihipStream_tbDpT10_ENKUlT_T0_E_clISt17integral_constantIbLb0EES19_EEDaS14_S15_EUlS14_E_NS1_11comp_targetILNS1_3genE3ELNS1_11target_archE908ELNS1_3gpuE7ELNS1_3repE0EEENS1_30default_config_static_selectorELNS0_4arch9wavefront6targetE1EEEvT1_.kd
    .uniform_work_group_size: 1
    .uses_dynamic_stack: false
    .vgpr_count:     0
    .vgpr_spill_count: 0
    .wavefront_size: 64
  - .agpr_count:     0
    .args:
      - .offset:         0
        .size:           128
        .value_kind:     by_value
    .group_segment_fixed_size: 0
    .kernarg_segment_align: 8
    .kernarg_segment_size: 128
    .language:       OpenCL C
    .language_version:
      - 2
      - 0
    .max_flat_workgroup_size: 256
    .name:           _ZN7rocprim17ROCPRIM_400000_NS6detail17trampoline_kernelINS0_14default_configENS1_25partition_config_selectorILNS1_17partition_subalgoE0EsNS0_10empty_typeEbEEZZNS1_14partition_implILS5_0ELb0ES3_jN6thrust23THRUST_200600_302600_NS6detail15normal_iteratorINSA_10device_ptrIsEEEEPS6_SG_NS0_5tupleIJNSA_16discard_iteratorINSA_11use_defaultEEESF_EEENSH_IJSG_SG_EEES6_PlJ7is_evenIsEEEE10hipError_tPvRmT3_T4_T5_T6_T7_T9_mT8_P12ihipStream_tbDpT10_ENKUlT_T0_E_clISt17integral_constantIbLb0EES19_EEDaS14_S15_EUlS14_E_NS1_11comp_targetILNS1_3genE2ELNS1_11target_archE906ELNS1_3gpuE6ELNS1_3repE0EEENS1_30default_config_static_selectorELNS0_4arch9wavefront6targetE1EEEvT1_
    .private_segment_fixed_size: 0
    .sgpr_count:     6
    .sgpr_spill_count: 0
    .symbol:         _ZN7rocprim17ROCPRIM_400000_NS6detail17trampoline_kernelINS0_14default_configENS1_25partition_config_selectorILNS1_17partition_subalgoE0EsNS0_10empty_typeEbEEZZNS1_14partition_implILS5_0ELb0ES3_jN6thrust23THRUST_200600_302600_NS6detail15normal_iteratorINSA_10device_ptrIsEEEEPS6_SG_NS0_5tupleIJNSA_16discard_iteratorINSA_11use_defaultEEESF_EEENSH_IJSG_SG_EEES6_PlJ7is_evenIsEEEE10hipError_tPvRmT3_T4_T5_T6_T7_T9_mT8_P12ihipStream_tbDpT10_ENKUlT_T0_E_clISt17integral_constantIbLb0EES19_EEDaS14_S15_EUlS14_E_NS1_11comp_targetILNS1_3genE2ELNS1_11target_archE906ELNS1_3gpuE6ELNS1_3repE0EEENS1_30default_config_static_selectorELNS0_4arch9wavefront6targetE1EEEvT1_.kd
    .uniform_work_group_size: 1
    .uses_dynamic_stack: false
    .vgpr_count:     0
    .vgpr_spill_count: 0
    .wavefront_size: 64
  - .agpr_count:     0
    .args:
      - .offset:         0
        .size:           128
        .value_kind:     by_value
    .group_segment_fixed_size: 0
    .kernarg_segment_align: 8
    .kernarg_segment_size: 128
    .language:       OpenCL C
    .language_version:
      - 2
      - 0
    .max_flat_workgroup_size: 384
    .name:           _ZN7rocprim17ROCPRIM_400000_NS6detail17trampoline_kernelINS0_14default_configENS1_25partition_config_selectorILNS1_17partition_subalgoE0EsNS0_10empty_typeEbEEZZNS1_14partition_implILS5_0ELb0ES3_jN6thrust23THRUST_200600_302600_NS6detail15normal_iteratorINSA_10device_ptrIsEEEEPS6_SG_NS0_5tupleIJNSA_16discard_iteratorINSA_11use_defaultEEESF_EEENSH_IJSG_SG_EEES6_PlJ7is_evenIsEEEE10hipError_tPvRmT3_T4_T5_T6_T7_T9_mT8_P12ihipStream_tbDpT10_ENKUlT_T0_E_clISt17integral_constantIbLb0EES19_EEDaS14_S15_EUlS14_E_NS1_11comp_targetILNS1_3genE10ELNS1_11target_archE1200ELNS1_3gpuE4ELNS1_3repE0EEENS1_30default_config_static_selectorELNS0_4arch9wavefront6targetE1EEEvT1_
    .private_segment_fixed_size: 0
    .sgpr_count:     6
    .sgpr_spill_count: 0
    .symbol:         _ZN7rocprim17ROCPRIM_400000_NS6detail17trampoline_kernelINS0_14default_configENS1_25partition_config_selectorILNS1_17partition_subalgoE0EsNS0_10empty_typeEbEEZZNS1_14partition_implILS5_0ELb0ES3_jN6thrust23THRUST_200600_302600_NS6detail15normal_iteratorINSA_10device_ptrIsEEEEPS6_SG_NS0_5tupleIJNSA_16discard_iteratorINSA_11use_defaultEEESF_EEENSH_IJSG_SG_EEES6_PlJ7is_evenIsEEEE10hipError_tPvRmT3_T4_T5_T6_T7_T9_mT8_P12ihipStream_tbDpT10_ENKUlT_T0_E_clISt17integral_constantIbLb0EES19_EEDaS14_S15_EUlS14_E_NS1_11comp_targetILNS1_3genE10ELNS1_11target_archE1200ELNS1_3gpuE4ELNS1_3repE0EEENS1_30default_config_static_selectorELNS0_4arch9wavefront6targetE1EEEvT1_.kd
    .uniform_work_group_size: 1
    .uses_dynamic_stack: false
    .vgpr_count:     0
    .vgpr_spill_count: 0
    .wavefront_size: 64
  - .agpr_count:     0
    .args:
      - .offset:         0
        .size:           128
        .value_kind:     by_value
    .group_segment_fixed_size: 0
    .kernarg_segment_align: 8
    .kernarg_segment_size: 128
    .language:       OpenCL C
    .language_version:
      - 2
      - 0
    .max_flat_workgroup_size: 128
    .name:           _ZN7rocprim17ROCPRIM_400000_NS6detail17trampoline_kernelINS0_14default_configENS1_25partition_config_selectorILNS1_17partition_subalgoE0EsNS0_10empty_typeEbEEZZNS1_14partition_implILS5_0ELb0ES3_jN6thrust23THRUST_200600_302600_NS6detail15normal_iteratorINSA_10device_ptrIsEEEEPS6_SG_NS0_5tupleIJNSA_16discard_iteratorINSA_11use_defaultEEESF_EEENSH_IJSG_SG_EEES6_PlJ7is_evenIsEEEE10hipError_tPvRmT3_T4_T5_T6_T7_T9_mT8_P12ihipStream_tbDpT10_ENKUlT_T0_E_clISt17integral_constantIbLb0EES19_EEDaS14_S15_EUlS14_E_NS1_11comp_targetILNS1_3genE9ELNS1_11target_archE1100ELNS1_3gpuE3ELNS1_3repE0EEENS1_30default_config_static_selectorELNS0_4arch9wavefront6targetE1EEEvT1_
    .private_segment_fixed_size: 0
    .sgpr_count:     6
    .sgpr_spill_count: 0
    .symbol:         _ZN7rocprim17ROCPRIM_400000_NS6detail17trampoline_kernelINS0_14default_configENS1_25partition_config_selectorILNS1_17partition_subalgoE0EsNS0_10empty_typeEbEEZZNS1_14partition_implILS5_0ELb0ES3_jN6thrust23THRUST_200600_302600_NS6detail15normal_iteratorINSA_10device_ptrIsEEEEPS6_SG_NS0_5tupleIJNSA_16discard_iteratorINSA_11use_defaultEEESF_EEENSH_IJSG_SG_EEES6_PlJ7is_evenIsEEEE10hipError_tPvRmT3_T4_T5_T6_T7_T9_mT8_P12ihipStream_tbDpT10_ENKUlT_T0_E_clISt17integral_constantIbLb0EES19_EEDaS14_S15_EUlS14_E_NS1_11comp_targetILNS1_3genE9ELNS1_11target_archE1100ELNS1_3gpuE3ELNS1_3repE0EEENS1_30default_config_static_selectorELNS0_4arch9wavefront6targetE1EEEvT1_.kd
    .uniform_work_group_size: 1
    .uses_dynamic_stack: false
    .vgpr_count:     0
    .vgpr_spill_count: 0
    .wavefront_size: 64
  - .agpr_count:     0
    .args:
      - .offset:         0
        .size:           128
        .value_kind:     by_value
    .group_segment_fixed_size: 0
    .kernarg_segment_align: 8
    .kernarg_segment_size: 128
    .language:       OpenCL C
    .language_version:
      - 2
      - 0
    .max_flat_workgroup_size: 128
    .name:           _ZN7rocprim17ROCPRIM_400000_NS6detail17trampoline_kernelINS0_14default_configENS1_25partition_config_selectorILNS1_17partition_subalgoE0EsNS0_10empty_typeEbEEZZNS1_14partition_implILS5_0ELb0ES3_jN6thrust23THRUST_200600_302600_NS6detail15normal_iteratorINSA_10device_ptrIsEEEEPS6_SG_NS0_5tupleIJNSA_16discard_iteratorINSA_11use_defaultEEESF_EEENSH_IJSG_SG_EEES6_PlJ7is_evenIsEEEE10hipError_tPvRmT3_T4_T5_T6_T7_T9_mT8_P12ihipStream_tbDpT10_ENKUlT_T0_E_clISt17integral_constantIbLb0EES19_EEDaS14_S15_EUlS14_E_NS1_11comp_targetILNS1_3genE8ELNS1_11target_archE1030ELNS1_3gpuE2ELNS1_3repE0EEENS1_30default_config_static_selectorELNS0_4arch9wavefront6targetE1EEEvT1_
    .private_segment_fixed_size: 0
    .sgpr_count:     6
    .sgpr_spill_count: 0
    .symbol:         _ZN7rocprim17ROCPRIM_400000_NS6detail17trampoline_kernelINS0_14default_configENS1_25partition_config_selectorILNS1_17partition_subalgoE0EsNS0_10empty_typeEbEEZZNS1_14partition_implILS5_0ELb0ES3_jN6thrust23THRUST_200600_302600_NS6detail15normal_iteratorINSA_10device_ptrIsEEEEPS6_SG_NS0_5tupleIJNSA_16discard_iteratorINSA_11use_defaultEEESF_EEENSH_IJSG_SG_EEES6_PlJ7is_evenIsEEEE10hipError_tPvRmT3_T4_T5_T6_T7_T9_mT8_P12ihipStream_tbDpT10_ENKUlT_T0_E_clISt17integral_constantIbLb0EES19_EEDaS14_S15_EUlS14_E_NS1_11comp_targetILNS1_3genE8ELNS1_11target_archE1030ELNS1_3gpuE2ELNS1_3repE0EEENS1_30default_config_static_selectorELNS0_4arch9wavefront6targetE1EEEvT1_.kd
    .uniform_work_group_size: 1
    .uses_dynamic_stack: false
    .vgpr_count:     0
    .vgpr_spill_count: 0
    .wavefront_size: 64
  - .agpr_count:     0
    .args:
      - .offset:         0
        .size:           144
        .value_kind:     by_value
    .group_segment_fixed_size: 0
    .kernarg_segment_align: 8
    .kernarg_segment_size: 144
    .language:       OpenCL C
    .language_version:
      - 2
      - 0
    .max_flat_workgroup_size: 256
    .name:           _ZN7rocprim17ROCPRIM_400000_NS6detail17trampoline_kernelINS0_14default_configENS1_25partition_config_selectorILNS1_17partition_subalgoE0EsNS0_10empty_typeEbEEZZNS1_14partition_implILS5_0ELb0ES3_jN6thrust23THRUST_200600_302600_NS6detail15normal_iteratorINSA_10device_ptrIsEEEEPS6_SG_NS0_5tupleIJNSA_16discard_iteratorINSA_11use_defaultEEESF_EEENSH_IJSG_SG_EEES6_PlJ7is_evenIsEEEE10hipError_tPvRmT3_T4_T5_T6_T7_T9_mT8_P12ihipStream_tbDpT10_ENKUlT_T0_E_clISt17integral_constantIbLb1EES19_EEDaS14_S15_EUlS14_E_NS1_11comp_targetILNS1_3genE0ELNS1_11target_archE4294967295ELNS1_3gpuE0ELNS1_3repE0EEENS1_30default_config_static_selectorELNS0_4arch9wavefront6targetE1EEEvT1_
    .private_segment_fixed_size: 0
    .sgpr_count:     6
    .sgpr_spill_count: 0
    .symbol:         _ZN7rocprim17ROCPRIM_400000_NS6detail17trampoline_kernelINS0_14default_configENS1_25partition_config_selectorILNS1_17partition_subalgoE0EsNS0_10empty_typeEbEEZZNS1_14partition_implILS5_0ELb0ES3_jN6thrust23THRUST_200600_302600_NS6detail15normal_iteratorINSA_10device_ptrIsEEEEPS6_SG_NS0_5tupleIJNSA_16discard_iteratorINSA_11use_defaultEEESF_EEENSH_IJSG_SG_EEES6_PlJ7is_evenIsEEEE10hipError_tPvRmT3_T4_T5_T6_T7_T9_mT8_P12ihipStream_tbDpT10_ENKUlT_T0_E_clISt17integral_constantIbLb1EES19_EEDaS14_S15_EUlS14_E_NS1_11comp_targetILNS1_3genE0ELNS1_11target_archE4294967295ELNS1_3gpuE0ELNS1_3repE0EEENS1_30default_config_static_selectorELNS0_4arch9wavefront6targetE1EEEvT1_.kd
    .uniform_work_group_size: 1
    .uses_dynamic_stack: false
    .vgpr_count:     0
    .vgpr_spill_count: 0
    .wavefront_size: 64
  - .agpr_count:     0
    .args:
      - .offset:         0
        .size:           144
        .value_kind:     by_value
    .group_segment_fixed_size: 30728
    .kernarg_segment_align: 8
    .kernarg_segment_size: 144
    .language:       OpenCL C
    .language_version:
      - 2
      - 0
    .max_flat_workgroup_size: 512
    .name:           _ZN7rocprim17ROCPRIM_400000_NS6detail17trampoline_kernelINS0_14default_configENS1_25partition_config_selectorILNS1_17partition_subalgoE0EsNS0_10empty_typeEbEEZZNS1_14partition_implILS5_0ELb0ES3_jN6thrust23THRUST_200600_302600_NS6detail15normal_iteratorINSA_10device_ptrIsEEEEPS6_SG_NS0_5tupleIJNSA_16discard_iteratorINSA_11use_defaultEEESF_EEENSH_IJSG_SG_EEES6_PlJ7is_evenIsEEEE10hipError_tPvRmT3_T4_T5_T6_T7_T9_mT8_P12ihipStream_tbDpT10_ENKUlT_T0_E_clISt17integral_constantIbLb1EES19_EEDaS14_S15_EUlS14_E_NS1_11comp_targetILNS1_3genE5ELNS1_11target_archE942ELNS1_3gpuE9ELNS1_3repE0EEENS1_30default_config_static_selectorELNS0_4arch9wavefront6targetE1EEEvT1_
    .private_segment_fixed_size: 0
    .sgpr_count:     48
    .sgpr_spill_count: 0
    .symbol:         _ZN7rocprim17ROCPRIM_400000_NS6detail17trampoline_kernelINS0_14default_configENS1_25partition_config_selectorILNS1_17partition_subalgoE0EsNS0_10empty_typeEbEEZZNS1_14partition_implILS5_0ELb0ES3_jN6thrust23THRUST_200600_302600_NS6detail15normal_iteratorINSA_10device_ptrIsEEEEPS6_SG_NS0_5tupleIJNSA_16discard_iteratorINSA_11use_defaultEEESF_EEENSH_IJSG_SG_EEES6_PlJ7is_evenIsEEEE10hipError_tPvRmT3_T4_T5_T6_T7_T9_mT8_P12ihipStream_tbDpT10_ENKUlT_T0_E_clISt17integral_constantIbLb1EES19_EEDaS14_S15_EUlS14_E_NS1_11comp_targetILNS1_3genE5ELNS1_11target_archE942ELNS1_3gpuE9ELNS1_3repE0EEENS1_30default_config_static_selectorELNS0_4arch9wavefront6targetE1EEEvT1_.kd
    .uniform_work_group_size: 1
    .uses_dynamic_stack: false
    .vgpr_count:     124
    .vgpr_spill_count: 0
    .wavefront_size: 64
  - .agpr_count:     0
    .args:
      - .offset:         0
        .size:           144
        .value_kind:     by_value
    .group_segment_fixed_size: 0
    .kernarg_segment_align: 8
    .kernarg_segment_size: 144
    .language:       OpenCL C
    .language_version:
      - 2
      - 0
    .max_flat_workgroup_size: 256
    .name:           _ZN7rocprim17ROCPRIM_400000_NS6detail17trampoline_kernelINS0_14default_configENS1_25partition_config_selectorILNS1_17partition_subalgoE0EsNS0_10empty_typeEbEEZZNS1_14partition_implILS5_0ELb0ES3_jN6thrust23THRUST_200600_302600_NS6detail15normal_iteratorINSA_10device_ptrIsEEEEPS6_SG_NS0_5tupleIJNSA_16discard_iteratorINSA_11use_defaultEEESF_EEENSH_IJSG_SG_EEES6_PlJ7is_evenIsEEEE10hipError_tPvRmT3_T4_T5_T6_T7_T9_mT8_P12ihipStream_tbDpT10_ENKUlT_T0_E_clISt17integral_constantIbLb1EES19_EEDaS14_S15_EUlS14_E_NS1_11comp_targetILNS1_3genE4ELNS1_11target_archE910ELNS1_3gpuE8ELNS1_3repE0EEENS1_30default_config_static_selectorELNS0_4arch9wavefront6targetE1EEEvT1_
    .private_segment_fixed_size: 0
    .sgpr_count:     6
    .sgpr_spill_count: 0
    .symbol:         _ZN7rocprim17ROCPRIM_400000_NS6detail17trampoline_kernelINS0_14default_configENS1_25partition_config_selectorILNS1_17partition_subalgoE0EsNS0_10empty_typeEbEEZZNS1_14partition_implILS5_0ELb0ES3_jN6thrust23THRUST_200600_302600_NS6detail15normal_iteratorINSA_10device_ptrIsEEEEPS6_SG_NS0_5tupleIJNSA_16discard_iteratorINSA_11use_defaultEEESF_EEENSH_IJSG_SG_EEES6_PlJ7is_evenIsEEEE10hipError_tPvRmT3_T4_T5_T6_T7_T9_mT8_P12ihipStream_tbDpT10_ENKUlT_T0_E_clISt17integral_constantIbLb1EES19_EEDaS14_S15_EUlS14_E_NS1_11comp_targetILNS1_3genE4ELNS1_11target_archE910ELNS1_3gpuE8ELNS1_3repE0EEENS1_30default_config_static_selectorELNS0_4arch9wavefront6targetE1EEEvT1_.kd
    .uniform_work_group_size: 1
    .uses_dynamic_stack: false
    .vgpr_count:     0
    .vgpr_spill_count: 0
    .wavefront_size: 64
  - .agpr_count:     0
    .args:
      - .offset:         0
        .size:           144
        .value_kind:     by_value
    .group_segment_fixed_size: 0
    .kernarg_segment_align: 8
    .kernarg_segment_size: 144
    .language:       OpenCL C
    .language_version:
      - 2
      - 0
    .max_flat_workgroup_size: 256
    .name:           _ZN7rocprim17ROCPRIM_400000_NS6detail17trampoline_kernelINS0_14default_configENS1_25partition_config_selectorILNS1_17partition_subalgoE0EsNS0_10empty_typeEbEEZZNS1_14partition_implILS5_0ELb0ES3_jN6thrust23THRUST_200600_302600_NS6detail15normal_iteratorINSA_10device_ptrIsEEEEPS6_SG_NS0_5tupleIJNSA_16discard_iteratorINSA_11use_defaultEEESF_EEENSH_IJSG_SG_EEES6_PlJ7is_evenIsEEEE10hipError_tPvRmT3_T4_T5_T6_T7_T9_mT8_P12ihipStream_tbDpT10_ENKUlT_T0_E_clISt17integral_constantIbLb1EES19_EEDaS14_S15_EUlS14_E_NS1_11comp_targetILNS1_3genE3ELNS1_11target_archE908ELNS1_3gpuE7ELNS1_3repE0EEENS1_30default_config_static_selectorELNS0_4arch9wavefront6targetE1EEEvT1_
    .private_segment_fixed_size: 0
    .sgpr_count:     6
    .sgpr_spill_count: 0
    .symbol:         _ZN7rocprim17ROCPRIM_400000_NS6detail17trampoline_kernelINS0_14default_configENS1_25partition_config_selectorILNS1_17partition_subalgoE0EsNS0_10empty_typeEbEEZZNS1_14partition_implILS5_0ELb0ES3_jN6thrust23THRUST_200600_302600_NS6detail15normal_iteratorINSA_10device_ptrIsEEEEPS6_SG_NS0_5tupleIJNSA_16discard_iteratorINSA_11use_defaultEEESF_EEENSH_IJSG_SG_EEES6_PlJ7is_evenIsEEEE10hipError_tPvRmT3_T4_T5_T6_T7_T9_mT8_P12ihipStream_tbDpT10_ENKUlT_T0_E_clISt17integral_constantIbLb1EES19_EEDaS14_S15_EUlS14_E_NS1_11comp_targetILNS1_3genE3ELNS1_11target_archE908ELNS1_3gpuE7ELNS1_3repE0EEENS1_30default_config_static_selectorELNS0_4arch9wavefront6targetE1EEEvT1_.kd
    .uniform_work_group_size: 1
    .uses_dynamic_stack: false
    .vgpr_count:     0
    .vgpr_spill_count: 0
    .wavefront_size: 64
  - .agpr_count:     0
    .args:
      - .offset:         0
        .size:           144
        .value_kind:     by_value
    .group_segment_fixed_size: 0
    .kernarg_segment_align: 8
    .kernarg_segment_size: 144
    .language:       OpenCL C
    .language_version:
      - 2
      - 0
    .max_flat_workgroup_size: 256
    .name:           _ZN7rocprim17ROCPRIM_400000_NS6detail17trampoline_kernelINS0_14default_configENS1_25partition_config_selectorILNS1_17partition_subalgoE0EsNS0_10empty_typeEbEEZZNS1_14partition_implILS5_0ELb0ES3_jN6thrust23THRUST_200600_302600_NS6detail15normal_iteratorINSA_10device_ptrIsEEEEPS6_SG_NS0_5tupleIJNSA_16discard_iteratorINSA_11use_defaultEEESF_EEENSH_IJSG_SG_EEES6_PlJ7is_evenIsEEEE10hipError_tPvRmT3_T4_T5_T6_T7_T9_mT8_P12ihipStream_tbDpT10_ENKUlT_T0_E_clISt17integral_constantIbLb1EES19_EEDaS14_S15_EUlS14_E_NS1_11comp_targetILNS1_3genE2ELNS1_11target_archE906ELNS1_3gpuE6ELNS1_3repE0EEENS1_30default_config_static_selectorELNS0_4arch9wavefront6targetE1EEEvT1_
    .private_segment_fixed_size: 0
    .sgpr_count:     6
    .sgpr_spill_count: 0
    .symbol:         _ZN7rocprim17ROCPRIM_400000_NS6detail17trampoline_kernelINS0_14default_configENS1_25partition_config_selectorILNS1_17partition_subalgoE0EsNS0_10empty_typeEbEEZZNS1_14partition_implILS5_0ELb0ES3_jN6thrust23THRUST_200600_302600_NS6detail15normal_iteratorINSA_10device_ptrIsEEEEPS6_SG_NS0_5tupleIJNSA_16discard_iteratorINSA_11use_defaultEEESF_EEENSH_IJSG_SG_EEES6_PlJ7is_evenIsEEEE10hipError_tPvRmT3_T4_T5_T6_T7_T9_mT8_P12ihipStream_tbDpT10_ENKUlT_T0_E_clISt17integral_constantIbLb1EES19_EEDaS14_S15_EUlS14_E_NS1_11comp_targetILNS1_3genE2ELNS1_11target_archE906ELNS1_3gpuE6ELNS1_3repE0EEENS1_30default_config_static_selectorELNS0_4arch9wavefront6targetE1EEEvT1_.kd
    .uniform_work_group_size: 1
    .uses_dynamic_stack: false
    .vgpr_count:     0
    .vgpr_spill_count: 0
    .wavefront_size: 64
  - .agpr_count:     0
    .args:
      - .offset:         0
        .size:           144
        .value_kind:     by_value
    .group_segment_fixed_size: 0
    .kernarg_segment_align: 8
    .kernarg_segment_size: 144
    .language:       OpenCL C
    .language_version:
      - 2
      - 0
    .max_flat_workgroup_size: 384
    .name:           _ZN7rocprim17ROCPRIM_400000_NS6detail17trampoline_kernelINS0_14default_configENS1_25partition_config_selectorILNS1_17partition_subalgoE0EsNS0_10empty_typeEbEEZZNS1_14partition_implILS5_0ELb0ES3_jN6thrust23THRUST_200600_302600_NS6detail15normal_iteratorINSA_10device_ptrIsEEEEPS6_SG_NS0_5tupleIJNSA_16discard_iteratorINSA_11use_defaultEEESF_EEENSH_IJSG_SG_EEES6_PlJ7is_evenIsEEEE10hipError_tPvRmT3_T4_T5_T6_T7_T9_mT8_P12ihipStream_tbDpT10_ENKUlT_T0_E_clISt17integral_constantIbLb1EES19_EEDaS14_S15_EUlS14_E_NS1_11comp_targetILNS1_3genE10ELNS1_11target_archE1200ELNS1_3gpuE4ELNS1_3repE0EEENS1_30default_config_static_selectorELNS0_4arch9wavefront6targetE1EEEvT1_
    .private_segment_fixed_size: 0
    .sgpr_count:     6
    .sgpr_spill_count: 0
    .symbol:         _ZN7rocprim17ROCPRIM_400000_NS6detail17trampoline_kernelINS0_14default_configENS1_25partition_config_selectorILNS1_17partition_subalgoE0EsNS0_10empty_typeEbEEZZNS1_14partition_implILS5_0ELb0ES3_jN6thrust23THRUST_200600_302600_NS6detail15normal_iteratorINSA_10device_ptrIsEEEEPS6_SG_NS0_5tupleIJNSA_16discard_iteratorINSA_11use_defaultEEESF_EEENSH_IJSG_SG_EEES6_PlJ7is_evenIsEEEE10hipError_tPvRmT3_T4_T5_T6_T7_T9_mT8_P12ihipStream_tbDpT10_ENKUlT_T0_E_clISt17integral_constantIbLb1EES19_EEDaS14_S15_EUlS14_E_NS1_11comp_targetILNS1_3genE10ELNS1_11target_archE1200ELNS1_3gpuE4ELNS1_3repE0EEENS1_30default_config_static_selectorELNS0_4arch9wavefront6targetE1EEEvT1_.kd
    .uniform_work_group_size: 1
    .uses_dynamic_stack: false
    .vgpr_count:     0
    .vgpr_spill_count: 0
    .wavefront_size: 64
  - .agpr_count:     0
    .args:
      - .offset:         0
        .size:           144
        .value_kind:     by_value
    .group_segment_fixed_size: 0
    .kernarg_segment_align: 8
    .kernarg_segment_size: 144
    .language:       OpenCL C
    .language_version:
      - 2
      - 0
    .max_flat_workgroup_size: 128
    .name:           _ZN7rocprim17ROCPRIM_400000_NS6detail17trampoline_kernelINS0_14default_configENS1_25partition_config_selectorILNS1_17partition_subalgoE0EsNS0_10empty_typeEbEEZZNS1_14partition_implILS5_0ELb0ES3_jN6thrust23THRUST_200600_302600_NS6detail15normal_iteratorINSA_10device_ptrIsEEEEPS6_SG_NS0_5tupleIJNSA_16discard_iteratorINSA_11use_defaultEEESF_EEENSH_IJSG_SG_EEES6_PlJ7is_evenIsEEEE10hipError_tPvRmT3_T4_T5_T6_T7_T9_mT8_P12ihipStream_tbDpT10_ENKUlT_T0_E_clISt17integral_constantIbLb1EES19_EEDaS14_S15_EUlS14_E_NS1_11comp_targetILNS1_3genE9ELNS1_11target_archE1100ELNS1_3gpuE3ELNS1_3repE0EEENS1_30default_config_static_selectorELNS0_4arch9wavefront6targetE1EEEvT1_
    .private_segment_fixed_size: 0
    .sgpr_count:     6
    .sgpr_spill_count: 0
    .symbol:         _ZN7rocprim17ROCPRIM_400000_NS6detail17trampoline_kernelINS0_14default_configENS1_25partition_config_selectorILNS1_17partition_subalgoE0EsNS0_10empty_typeEbEEZZNS1_14partition_implILS5_0ELb0ES3_jN6thrust23THRUST_200600_302600_NS6detail15normal_iteratorINSA_10device_ptrIsEEEEPS6_SG_NS0_5tupleIJNSA_16discard_iteratorINSA_11use_defaultEEESF_EEENSH_IJSG_SG_EEES6_PlJ7is_evenIsEEEE10hipError_tPvRmT3_T4_T5_T6_T7_T9_mT8_P12ihipStream_tbDpT10_ENKUlT_T0_E_clISt17integral_constantIbLb1EES19_EEDaS14_S15_EUlS14_E_NS1_11comp_targetILNS1_3genE9ELNS1_11target_archE1100ELNS1_3gpuE3ELNS1_3repE0EEENS1_30default_config_static_selectorELNS0_4arch9wavefront6targetE1EEEvT1_.kd
    .uniform_work_group_size: 1
    .uses_dynamic_stack: false
    .vgpr_count:     0
    .vgpr_spill_count: 0
    .wavefront_size: 64
  - .agpr_count:     0
    .args:
      - .offset:         0
        .size:           144
        .value_kind:     by_value
    .group_segment_fixed_size: 0
    .kernarg_segment_align: 8
    .kernarg_segment_size: 144
    .language:       OpenCL C
    .language_version:
      - 2
      - 0
    .max_flat_workgroup_size: 128
    .name:           _ZN7rocprim17ROCPRIM_400000_NS6detail17trampoline_kernelINS0_14default_configENS1_25partition_config_selectorILNS1_17partition_subalgoE0EsNS0_10empty_typeEbEEZZNS1_14partition_implILS5_0ELb0ES3_jN6thrust23THRUST_200600_302600_NS6detail15normal_iteratorINSA_10device_ptrIsEEEEPS6_SG_NS0_5tupleIJNSA_16discard_iteratorINSA_11use_defaultEEESF_EEENSH_IJSG_SG_EEES6_PlJ7is_evenIsEEEE10hipError_tPvRmT3_T4_T5_T6_T7_T9_mT8_P12ihipStream_tbDpT10_ENKUlT_T0_E_clISt17integral_constantIbLb1EES19_EEDaS14_S15_EUlS14_E_NS1_11comp_targetILNS1_3genE8ELNS1_11target_archE1030ELNS1_3gpuE2ELNS1_3repE0EEENS1_30default_config_static_selectorELNS0_4arch9wavefront6targetE1EEEvT1_
    .private_segment_fixed_size: 0
    .sgpr_count:     6
    .sgpr_spill_count: 0
    .symbol:         _ZN7rocprim17ROCPRIM_400000_NS6detail17trampoline_kernelINS0_14default_configENS1_25partition_config_selectorILNS1_17partition_subalgoE0EsNS0_10empty_typeEbEEZZNS1_14partition_implILS5_0ELb0ES3_jN6thrust23THRUST_200600_302600_NS6detail15normal_iteratorINSA_10device_ptrIsEEEEPS6_SG_NS0_5tupleIJNSA_16discard_iteratorINSA_11use_defaultEEESF_EEENSH_IJSG_SG_EEES6_PlJ7is_evenIsEEEE10hipError_tPvRmT3_T4_T5_T6_T7_T9_mT8_P12ihipStream_tbDpT10_ENKUlT_T0_E_clISt17integral_constantIbLb1EES19_EEDaS14_S15_EUlS14_E_NS1_11comp_targetILNS1_3genE8ELNS1_11target_archE1030ELNS1_3gpuE2ELNS1_3repE0EEENS1_30default_config_static_selectorELNS0_4arch9wavefront6targetE1EEEvT1_.kd
    .uniform_work_group_size: 1
    .uses_dynamic_stack: false
    .vgpr_count:     0
    .vgpr_spill_count: 0
    .wavefront_size: 64
  - .agpr_count:     0
    .args:
      - .offset:         0
        .size:           128
        .value_kind:     by_value
    .group_segment_fixed_size: 0
    .kernarg_segment_align: 8
    .kernarg_segment_size: 128
    .language:       OpenCL C
    .language_version:
      - 2
      - 0
    .max_flat_workgroup_size: 256
    .name:           _ZN7rocprim17ROCPRIM_400000_NS6detail17trampoline_kernelINS0_14default_configENS1_25partition_config_selectorILNS1_17partition_subalgoE0EsNS0_10empty_typeEbEEZZNS1_14partition_implILS5_0ELb0ES3_jN6thrust23THRUST_200600_302600_NS6detail15normal_iteratorINSA_10device_ptrIsEEEEPS6_SG_NS0_5tupleIJNSA_16discard_iteratorINSA_11use_defaultEEESF_EEENSH_IJSG_SG_EEES6_PlJ7is_evenIsEEEE10hipError_tPvRmT3_T4_T5_T6_T7_T9_mT8_P12ihipStream_tbDpT10_ENKUlT_T0_E_clISt17integral_constantIbLb1EES18_IbLb0EEEEDaS14_S15_EUlS14_E_NS1_11comp_targetILNS1_3genE0ELNS1_11target_archE4294967295ELNS1_3gpuE0ELNS1_3repE0EEENS1_30default_config_static_selectorELNS0_4arch9wavefront6targetE1EEEvT1_
    .private_segment_fixed_size: 0
    .sgpr_count:     6
    .sgpr_spill_count: 0
    .symbol:         _ZN7rocprim17ROCPRIM_400000_NS6detail17trampoline_kernelINS0_14default_configENS1_25partition_config_selectorILNS1_17partition_subalgoE0EsNS0_10empty_typeEbEEZZNS1_14partition_implILS5_0ELb0ES3_jN6thrust23THRUST_200600_302600_NS6detail15normal_iteratorINSA_10device_ptrIsEEEEPS6_SG_NS0_5tupleIJNSA_16discard_iteratorINSA_11use_defaultEEESF_EEENSH_IJSG_SG_EEES6_PlJ7is_evenIsEEEE10hipError_tPvRmT3_T4_T5_T6_T7_T9_mT8_P12ihipStream_tbDpT10_ENKUlT_T0_E_clISt17integral_constantIbLb1EES18_IbLb0EEEEDaS14_S15_EUlS14_E_NS1_11comp_targetILNS1_3genE0ELNS1_11target_archE4294967295ELNS1_3gpuE0ELNS1_3repE0EEENS1_30default_config_static_selectorELNS0_4arch9wavefront6targetE1EEEvT1_.kd
    .uniform_work_group_size: 1
    .uses_dynamic_stack: false
    .vgpr_count:     0
    .vgpr_spill_count: 0
    .wavefront_size: 64
  - .agpr_count:     0
    .args:
      - .offset:         0
        .size:           128
        .value_kind:     by_value
    .group_segment_fixed_size: 30728
    .kernarg_segment_align: 8
    .kernarg_segment_size: 128
    .language:       OpenCL C
    .language_version:
      - 2
      - 0
    .max_flat_workgroup_size: 512
    .name:           _ZN7rocprim17ROCPRIM_400000_NS6detail17trampoline_kernelINS0_14default_configENS1_25partition_config_selectorILNS1_17partition_subalgoE0EsNS0_10empty_typeEbEEZZNS1_14partition_implILS5_0ELb0ES3_jN6thrust23THRUST_200600_302600_NS6detail15normal_iteratorINSA_10device_ptrIsEEEEPS6_SG_NS0_5tupleIJNSA_16discard_iteratorINSA_11use_defaultEEESF_EEENSH_IJSG_SG_EEES6_PlJ7is_evenIsEEEE10hipError_tPvRmT3_T4_T5_T6_T7_T9_mT8_P12ihipStream_tbDpT10_ENKUlT_T0_E_clISt17integral_constantIbLb1EES18_IbLb0EEEEDaS14_S15_EUlS14_E_NS1_11comp_targetILNS1_3genE5ELNS1_11target_archE942ELNS1_3gpuE9ELNS1_3repE0EEENS1_30default_config_static_selectorELNS0_4arch9wavefront6targetE1EEEvT1_
    .private_segment_fixed_size: 0
    .sgpr_count:     50
    .sgpr_spill_count: 0
    .symbol:         _ZN7rocprim17ROCPRIM_400000_NS6detail17trampoline_kernelINS0_14default_configENS1_25partition_config_selectorILNS1_17partition_subalgoE0EsNS0_10empty_typeEbEEZZNS1_14partition_implILS5_0ELb0ES3_jN6thrust23THRUST_200600_302600_NS6detail15normal_iteratorINSA_10device_ptrIsEEEEPS6_SG_NS0_5tupleIJNSA_16discard_iteratorINSA_11use_defaultEEESF_EEENSH_IJSG_SG_EEES6_PlJ7is_evenIsEEEE10hipError_tPvRmT3_T4_T5_T6_T7_T9_mT8_P12ihipStream_tbDpT10_ENKUlT_T0_E_clISt17integral_constantIbLb1EES18_IbLb0EEEEDaS14_S15_EUlS14_E_NS1_11comp_targetILNS1_3genE5ELNS1_11target_archE942ELNS1_3gpuE9ELNS1_3repE0EEENS1_30default_config_static_selectorELNS0_4arch9wavefront6targetE1EEEvT1_.kd
    .uniform_work_group_size: 1
    .uses_dynamic_stack: false
    .vgpr_count:     120
    .vgpr_spill_count: 0
    .wavefront_size: 64
  - .agpr_count:     0
    .args:
      - .offset:         0
        .size:           128
        .value_kind:     by_value
    .group_segment_fixed_size: 0
    .kernarg_segment_align: 8
    .kernarg_segment_size: 128
    .language:       OpenCL C
    .language_version:
      - 2
      - 0
    .max_flat_workgroup_size: 256
    .name:           _ZN7rocprim17ROCPRIM_400000_NS6detail17trampoline_kernelINS0_14default_configENS1_25partition_config_selectorILNS1_17partition_subalgoE0EsNS0_10empty_typeEbEEZZNS1_14partition_implILS5_0ELb0ES3_jN6thrust23THRUST_200600_302600_NS6detail15normal_iteratorINSA_10device_ptrIsEEEEPS6_SG_NS0_5tupleIJNSA_16discard_iteratorINSA_11use_defaultEEESF_EEENSH_IJSG_SG_EEES6_PlJ7is_evenIsEEEE10hipError_tPvRmT3_T4_T5_T6_T7_T9_mT8_P12ihipStream_tbDpT10_ENKUlT_T0_E_clISt17integral_constantIbLb1EES18_IbLb0EEEEDaS14_S15_EUlS14_E_NS1_11comp_targetILNS1_3genE4ELNS1_11target_archE910ELNS1_3gpuE8ELNS1_3repE0EEENS1_30default_config_static_selectorELNS0_4arch9wavefront6targetE1EEEvT1_
    .private_segment_fixed_size: 0
    .sgpr_count:     6
    .sgpr_spill_count: 0
    .symbol:         _ZN7rocprim17ROCPRIM_400000_NS6detail17trampoline_kernelINS0_14default_configENS1_25partition_config_selectorILNS1_17partition_subalgoE0EsNS0_10empty_typeEbEEZZNS1_14partition_implILS5_0ELb0ES3_jN6thrust23THRUST_200600_302600_NS6detail15normal_iteratorINSA_10device_ptrIsEEEEPS6_SG_NS0_5tupleIJNSA_16discard_iteratorINSA_11use_defaultEEESF_EEENSH_IJSG_SG_EEES6_PlJ7is_evenIsEEEE10hipError_tPvRmT3_T4_T5_T6_T7_T9_mT8_P12ihipStream_tbDpT10_ENKUlT_T0_E_clISt17integral_constantIbLb1EES18_IbLb0EEEEDaS14_S15_EUlS14_E_NS1_11comp_targetILNS1_3genE4ELNS1_11target_archE910ELNS1_3gpuE8ELNS1_3repE0EEENS1_30default_config_static_selectorELNS0_4arch9wavefront6targetE1EEEvT1_.kd
    .uniform_work_group_size: 1
    .uses_dynamic_stack: false
    .vgpr_count:     0
    .vgpr_spill_count: 0
    .wavefront_size: 64
  - .agpr_count:     0
    .args:
      - .offset:         0
        .size:           128
        .value_kind:     by_value
    .group_segment_fixed_size: 0
    .kernarg_segment_align: 8
    .kernarg_segment_size: 128
    .language:       OpenCL C
    .language_version:
      - 2
      - 0
    .max_flat_workgroup_size: 256
    .name:           _ZN7rocprim17ROCPRIM_400000_NS6detail17trampoline_kernelINS0_14default_configENS1_25partition_config_selectorILNS1_17partition_subalgoE0EsNS0_10empty_typeEbEEZZNS1_14partition_implILS5_0ELb0ES3_jN6thrust23THRUST_200600_302600_NS6detail15normal_iteratorINSA_10device_ptrIsEEEEPS6_SG_NS0_5tupleIJNSA_16discard_iteratorINSA_11use_defaultEEESF_EEENSH_IJSG_SG_EEES6_PlJ7is_evenIsEEEE10hipError_tPvRmT3_T4_T5_T6_T7_T9_mT8_P12ihipStream_tbDpT10_ENKUlT_T0_E_clISt17integral_constantIbLb1EES18_IbLb0EEEEDaS14_S15_EUlS14_E_NS1_11comp_targetILNS1_3genE3ELNS1_11target_archE908ELNS1_3gpuE7ELNS1_3repE0EEENS1_30default_config_static_selectorELNS0_4arch9wavefront6targetE1EEEvT1_
    .private_segment_fixed_size: 0
    .sgpr_count:     6
    .sgpr_spill_count: 0
    .symbol:         _ZN7rocprim17ROCPRIM_400000_NS6detail17trampoline_kernelINS0_14default_configENS1_25partition_config_selectorILNS1_17partition_subalgoE0EsNS0_10empty_typeEbEEZZNS1_14partition_implILS5_0ELb0ES3_jN6thrust23THRUST_200600_302600_NS6detail15normal_iteratorINSA_10device_ptrIsEEEEPS6_SG_NS0_5tupleIJNSA_16discard_iteratorINSA_11use_defaultEEESF_EEENSH_IJSG_SG_EEES6_PlJ7is_evenIsEEEE10hipError_tPvRmT3_T4_T5_T6_T7_T9_mT8_P12ihipStream_tbDpT10_ENKUlT_T0_E_clISt17integral_constantIbLb1EES18_IbLb0EEEEDaS14_S15_EUlS14_E_NS1_11comp_targetILNS1_3genE3ELNS1_11target_archE908ELNS1_3gpuE7ELNS1_3repE0EEENS1_30default_config_static_selectorELNS0_4arch9wavefront6targetE1EEEvT1_.kd
    .uniform_work_group_size: 1
    .uses_dynamic_stack: false
    .vgpr_count:     0
    .vgpr_spill_count: 0
    .wavefront_size: 64
  - .agpr_count:     0
    .args:
      - .offset:         0
        .size:           128
        .value_kind:     by_value
    .group_segment_fixed_size: 0
    .kernarg_segment_align: 8
    .kernarg_segment_size: 128
    .language:       OpenCL C
    .language_version:
      - 2
      - 0
    .max_flat_workgroup_size: 256
    .name:           _ZN7rocprim17ROCPRIM_400000_NS6detail17trampoline_kernelINS0_14default_configENS1_25partition_config_selectorILNS1_17partition_subalgoE0EsNS0_10empty_typeEbEEZZNS1_14partition_implILS5_0ELb0ES3_jN6thrust23THRUST_200600_302600_NS6detail15normal_iteratorINSA_10device_ptrIsEEEEPS6_SG_NS0_5tupleIJNSA_16discard_iteratorINSA_11use_defaultEEESF_EEENSH_IJSG_SG_EEES6_PlJ7is_evenIsEEEE10hipError_tPvRmT3_T4_T5_T6_T7_T9_mT8_P12ihipStream_tbDpT10_ENKUlT_T0_E_clISt17integral_constantIbLb1EES18_IbLb0EEEEDaS14_S15_EUlS14_E_NS1_11comp_targetILNS1_3genE2ELNS1_11target_archE906ELNS1_3gpuE6ELNS1_3repE0EEENS1_30default_config_static_selectorELNS0_4arch9wavefront6targetE1EEEvT1_
    .private_segment_fixed_size: 0
    .sgpr_count:     6
    .sgpr_spill_count: 0
    .symbol:         _ZN7rocprim17ROCPRIM_400000_NS6detail17trampoline_kernelINS0_14default_configENS1_25partition_config_selectorILNS1_17partition_subalgoE0EsNS0_10empty_typeEbEEZZNS1_14partition_implILS5_0ELb0ES3_jN6thrust23THRUST_200600_302600_NS6detail15normal_iteratorINSA_10device_ptrIsEEEEPS6_SG_NS0_5tupleIJNSA_16discard_iteratorINSA_11use_defaultEEESF_EEENSH_IJSG_SG_EEES6_PlJ7is_evenIsEEEE10hipError_tPvRmT3_T4_T5_T6_T7_T9_mT8_P12ihipStream_tbDpT10_ENKUlT_T0_E_clISt17integral_constantIbLb1EES18_IbLb0EEEEDaS14_S15_EUlS14_E_NS1_11comp_targetILNS1_3genE2ELNS1_11target_archE906ELNS1_3gpuE6ELNS1_3repE0EEENS1_30default_config_static_selectorELNS0_4arch9wavefront6targetE1EEEvT1_.kd
    .uniform_work_group_size: 1
    .uses_dynamic_stack: false
    .vgpr_count:     0
    .vgpr_spill_count: 0
    .wavefront_size: 64
  - .agpr_count:     0
    .args:
      - .offset:         0
        .size:           128
        .value_kind:     by_value
    .group_segment_fixed_size: 0
    .kernarg_segment_align: 8
    .kernarg_segment_size: 128
    .language:       OpenCL C
    .language_version:
      - 2
      - 0
    .max_flat_workgroup_size: 384
    .name:           _ZN7rocprim17ROCPRIM_400000_NS6detail17trampoline_kernelINS0_14default_configENS1_25partition_config_selectorILNS1_17partition_subalgoE0EsNS0_10empty_typeEbEEZZNS1_14partition_implILS5_0ELb0ES3_jN6thrust23THRUST_200600_302600_NS6detail15normal_iteratorINSA_10device_ptrIsEEEEPS6_SG_NS0_5tupleIJNSA_16discard_iteratorINSA_11use_defaultEEESF_EEENSH_IJSG_SG_EEES6_PlJ7is_evenIsEEEE10hipError_tPvRmT3_T4_T5_T6_T7_T9_mT8_P12ihipStream_tbDpT10_ENKUlT_T0_E_clISt17integral_constantIbLb1EES18_IbLb0EEEEDaS14_S15_EUlS14_E_NS1_11comp_targetILNS1_3genE10ELNS1_11target_archE1200ELNS1_3gpuE4ELNS1_3repE0EEENS1_30default_config_static_selectorELNS0_4arch9wavefront6targetE1EEEvT1_
    .private_segment_fixed_size: 0
    .sgpr_count:     6
    .sgpr_spill_count: 0
    .symbol:         _ZN7rocprim17ROCPRIM_400000_NS6detail17trampoline_kernelINS0_14default_configENS1_25partition_config_selectorILNS1_17partition_subalgoE0EsNS0_10empty_typeEbEEZZNS1_14partition_implILS5_0ELb0ES3_jN6thrust23THRUST_200600_302600_NS6detail15normal_iteratorINSA_10device_ptrIsEEEEPS6_SG_NS0_5tupleIJNSA_16discard_iteratorINSA_11use_defaultEEESF_EEENSH_IJSG_SG_EEES6_PlJ7is_evenIsEEEE10hipError_tPvRmT3_T4_T5_T6_T7_T9_mT8_P12ihipStream_tbDpT10_ENKUlT_T0_E_clISt17integral_constantIbLb1EES18_IbLb0EEEEDaS14_S15_EUlS14_E_NS1_11comp_targetILNS1_3genE10ELNS1_11target_archE1200ELNS1_3gpuE4ELNS1_3repE0EEENS1_30default_config_static_selectorELNS0_4arch9wavefront6targetE1EEEvT1_.kd
    .uniform_work_group_size: 1
    .uses_dynamic_stack: false
    .vgpr_count:     0
    .vgpr_spill_count: 0
    .wavefront_size: 64
  - .agpr_count:     0
    .args:
      - .offset:         0
        .size:           128
        .value_kind:     by_value
    .group_segment_fixed_size: 0
    .kernarg_segment_align: 8
    .kernarg_segment_size: 128
    .language:       OpenCL C
    .language_version:
      - 2
      - 0
    .max_flat_workgroup_size: 128
    .name:           _ZN7rocprim17ROCPRIM_400000_NS6detail17trampoline_kernelINS0_14default_configENS1_25partition_config_selectorILNS1_17partition_subalgoE0EsNS0_10empty_typeEbEEZZNS1_14partition_implILS5_0ELb0ES3_jN6thrust23THRUST_200600_302600_NS6detail15normal_iteratorINSA_10device_ptrIsEEEEPS6_SG_NS0_5tupleIJNSA_16discard_iteratorINSA_11use_defaultEEESF_EEENSH_IJSG_SG_EEES6_PlJ7is_evenIsEEEE10hipError_tPvRmT3_T4_T5_T6_T7_T9_mT8_P12ihipStream_tbDpT10_ENKUlT_T0_E_clISt17integral_constantIbLb1EES18_IbLb0EEEEDaS14_S15_EUlS14_E_NS1_11comp_targetILNS1_3genE9ELNS1_11target_archE1100ELNS1_3gpuE3ELNS1_3repE0EEENS1_30default_config_static_selectorELNS0_4arch9wavefront6targetE1EEEvT1_
    .private_segment_fixed_size: 0
    .sgpr_count:     6
    .sgpr_spill_count: 0
    .symbol:         _ZN7rocprim17ROCPRIM_400000_NS6detail17trampoline_kernelINS0_14default_configENS1_25partition_config_selectorILNS1_17partition_subalgoE0EsNS0_10empty_typeEbEEZZNS1_14partition_implILS5_0ELb0ES3_jN6thrust23THRUST_200600_302600_NS6detail15normal_iteratorINSA_10device_ptrIsEEEEPS6_SG_NS0_5tupleIJNSA_16discard_iteratorINSA_11use_defaultEEESF_EEENSH_IJSG_SG_EEES6_PlJ7is_evenIsEEEE10hipError_tPvRmT3_T4_T5_T6_T7_T9_mT8_P12ihipStream_tbDpT10_ENKUlT_T0_E_clISt17integral_constantIbLb1EES18_IbLb0EEEEDaS14_S15_EUlS14_E_NS1_11comp_targetILNS1_3genE9ELNS1_11target_archE1100ELNS1_3gpuE3ELNS1_3repE0EEENS1_30default_config_static_selectorELNS0_4arch9wavefront6targetE1EEEvT1_.kd
    .uniform_work_group_size: 1
    .uses_dynamic_stack: false
    .vgpr_count:     0
    .vgpr_spill_count: 0
    .wavefront_size: 64
  - .agpr_count:     0
    .args:
      - .offset:         0
        .size:           128
        .value_kind:     by_value
    .group_segment_fixed_size: 0
    .kernarg_segment_align: 8
    .kernarg_segment_size: 128
    .language:       OpenCL C
    .language_version:
      - 2
      - 0
    .max_flat_workgroup_size: 128
    .name:           _ZN7rocprim17ROCPRIM_400000_NS6detail17trampoline_kernelINS0_14default_configENS1_25partition_config_selectorILNS1_17partition_subalgoE0EsNS0_10empty_typeEbEEZZNS1_14partition_implILS5_0ELb0ES3_jN6thrust23THRUST_200600_302600_NS6detail15normal_iteratorINSA_10device_ptrIsEEEEPS6_SG_NS0_5tupleIJNSA_16discard_iteratorINSA_11use_defaultEEESF_EEENSH_IJSG_SG_EEES6_PlJ7is_evenIsEEEE10hipError_tPvRmT3_T4_T5_T6_T7_T9_mT8_P12ihipStream_tbDpT10_ENKUlT_T0_E_clISt17integral_constantIbLb1EES18_IbLb0EEEEDaS14_S15_EUlS14_E_NS1_11comp_targetILNS1_3genE8ELNS1_11target_archE1030ELNS1_3gpuE2ELNS1_3repE0EEENS1_30default_config_static_selectorELNS0_4arch9wavefront6targetE1EEEvT1_
    .private_segment_fixed_size: 0
    .sgpr_count:     6
    .sgpr_spill_count: 0
    .symbol:         _ZN7rocprim17ROCPRIM_400000_NS6detail17trampoline_kernelINS0_14default_configENS1_25partition_config_selectorILNS1_17partition_subalgoE0EsNS0_10empty_typeEbEEZZNS1_14partition_implILS5_0ELb0ES3_jN6thrust23THRUST_200600_302600_NS6detail15normal_iteratorINSA_10device_ptrIsEEEEPS6_SG_NS0_5tupleIJNSA_16discard_iteratorINSA_11use_defaultEEESF_EEENSH_IJSG_SG_EEES6_PlJ7is_evenIsEEEE10hipError_tPvRmT3_T4_T5_T6_T7_T9_mT8_P12ihipStream_tbDpT10_ENKUlT_T0_E_clISt17integral_constantIbLb1EES18_IbLb0EEEEDaS14_S15_EUlS14_E_NS1_11comp_targetILNS1_3genE8ELNS1_11target_archE1030ELNS1_3gpuE2ELNS1_3repE0EEENS1_30default_config_static_selectorELNS0_4arch9wavefront6targetE1EEEvT1_.kd
    .uniform_work_group_size: 1
    .uses_dynamic_stack: false
    .vgpr_count:     0
    .vgpr_spill_count: 0
    .wavefront_size: 64
  - .agpr_count:     0
    .args:
      - .offset:         0
        .size:           144
        .value_kind:     by_value
    .group_segment_fixed_size: 0
    .kernarg_segment_align: 8
    .kernarg_segment_size: 144
    .language:       OpenCL C
    .language_version:
      - 2
      - 0
    .max_flat_workgroup_size: 256
    .name:           _ZN7rocprim17ROCPRIM_400000_NS6detail17trampoline_kernelINS0_14default_configENS1_25partition_config_selectorILNS1_17partition_subalgoE0EsNS0_10empty_typeEbEEZZNS1_14partition_implILS5_0ELb0ES3_jN6thrust23THRUST_200600_302600_NS6detail15normal_iteratorINSA_10device_ptrIsEEEEPS6_SG_NS0_5tupleIJNSA_16discard_iteratorINSA_11use_defaultEEESF_EEENSH_IJSG_SG_EEES6_PlJ7is_evenIsEEEE10hipError_tPvRmT3_T4_T5_T6_T7_T9_mT8_P12ihipStream_tbDpT10_ENKUlT_T0_E_clISt17integral_constantIbLb0EES18_IbLb1EEEEDaS14_S15_EUlS14_E_NS1_11comp_targetILNS1_3genE0ELNS1_11target_archE4294967295ELNS1_3gpuE0ELNS1_3repE0EEENS1_30default_config_static_selectorELNS0_4arch9wavefront6targetE1EEEvT1_
    .private_segment_fixed_size: 0
    .sgpr_count:     6
    .sgpr_spill_count: 0
    .symbol:         _ZN7rocprim17ROCPRIM_400000_NS6detail17trampoline_kernelINS0_14default_configENS1_25partition_config_selectorILNS1_17partition_subalgoE0EsNS0_10empty_typeEbEEZZNS1_14partition_implILS5_0ELb0ES3_jN6thrust23THRUST_200600_302600_NS6detail15normal_iteratorINSA_10device_ptrIsEEEEPS6_SG_NS0_5tupleIJNSA_16discard_iteratorINSA_11use_defaultEEESF_EEENSH_IJSG_SG_EEES6_PlJ7is_evenIsEEEE10hipError_tPvRmT3_T4_T5_T6_T7_T9_mT8_P12ihipStream_tbDpT10_ENKUlT_T0_E_clISt17integral_constantIbLb0EES18_IbLb1EEEEDaS14_S15_EUlS14_E_NS1_11comp_targetILNS1_3genE0ELNS1_11target_archE4294967295ELNS1_3gpuE0ELNS1_3repE0EEENS1_30default_config_static_selectorELNS0_4arch9wavefront6targetE1EEEvT1_.kd
    .uniform_work_group_size: 1
    .uses_dynamic_stack: false
    .vgpr_count:     0
    .vgpr_spill_count: 0
    .wavefront_size: 64
  - .agpr_count:     0
    .args:
      - .offset:         0
        .size:           144
        .value_kind:     by_value
    .group_segment_fixed_size: 30728
    .kernarg_segment_align: 8
    .kernarg_segment_size: 144
    .language:       OpenCL C
    .language_version:
      - 2
      - 0
    .max_flat_workgroup_size: 512
    .name:           _ZN7rocprim17ROCPRIM_400000_NS6detail17trampoline_kernelINS0_14default_configENS1_25partition_config_selectorILNS1_17partition_subalgoE0EsNS0_10empty_typeEbEEZZNS1_14partition_implILS5_0ELb0ES3_jN6thrust23THRUST_200600_302600_NS6detail15normal_iteratorINSA_10device_ptrIsEEEEPS6_SG_NS0_5tupleIJNSA_16discard_iteratorINSA_11use_defaultEEESF_EEENSH_IJSG_SG_EEES6_PlJ7is_evenIsEEEE10hipError_tPvRmT3_T4_T5_T6_T7_T9_mT8_P12ihipStream_tbDpT10_ENKUlT_T0_E_clISt17integral_constantIbLb0EES18_IbLb1EEEEDaS14_S15_EUlS14_E_NS1_11comp_targetILNS1_3genE5ELNS1_11target_archE942ELNS1_3gpuE9ELNS1_3repE0EEENS1_30default_config_static_selectorELNS0_4arch9wavefront6targetE1EEEvT1_
    .private_segment_fixed_size: 0
    .sgpr_count:     48
    .sgpr_spill_count: 0
    .symbol:         _ZN7rocprim17ROCPRIM_400000_NS6detail17trampoline_kernelINS0_14default_configENS1_25partition_config_selectorILNS1_17partition_subalgoE0EsNS0_10empty_typeEbEEZZNS1_14partition_implILS5_0ELb0ES3_jN6thrust23THRUST_200600_302600_NS6detail15normal_iteratorINSA_10device_ptrIsEEEEPS6_SG_NS0_5tupleIJNSA_16discard_iteratorINSA_11use_defaultEEESF_EEENSH_IJSG_SG_EEES6_PlJ7is_evenIsEEEE10hipError_tPvRmT3_T4_T5_T6_T7_T9_mT8_P12ihipStream_tbDpT10_ENKUlT_T0_E_clISt17integral_constantIbLb0EES18_IbLb1EEEEDaS14_S15_EUlS14_E_NS1_11comp_targetILNS1_3genE5ELNS1_11target_archE942ELNS1_3gpuE9ELNS1_3repE0EEENS1_30default_config_static_selectorELNS0_4arch9wavefront6targetE1EEEvT1_.kd
    .uniform_work_group_size: 1
    .uses_dynamic_stack: false
    .vgpr_count:     124
    .vgpr_spill_count: 0
    .wavefront_size: 64
  - .agpr_count:     0
    .args:
      - .offset:         0
        .size:           144
        .value_kind:     by_value
    .group_segment_fixed_size: 0
    .kernarg_segment_align: 8
    .kernarg_segment_size: 144
    .language:       OpenCL C
    .language_version:
      - 2
      - 0
    .max_flat_workgroup_size: 256
    .name:           _ZN7rocprim17ROCPRIM_400000_NS6detail17trampoline_kernelINS0_14default_configENS1_25partition_config_selectorILNS1_17partition_subalgoE0EsNS0_10empty_typeEbEEZZNS1_14partition_implILS5_0ELb0ES3_jN6thrust23THRUST_200600_302600_NS6detail15normal_iteratorINSA_10device_ptrIsEEEEPS6_SG_NS0_5tupleIJNSA_16discard_iteratorINSA_11use_defaultEEESF_EEENSH_IJSG_SG_EEES6_PlJ7is_evenIsEEEE10hipError_tPvRmT3_T4_T5_T6_T7_T9_mT8_P12ihipStream_tbDpT10_ENKUlT_T0_E_clISt17integral_constantIbLb0EES18_IbLb1EEEEDaS14_S15_EUlS14_E_NS1_11comp_targetILNS1_3genE4ELNS1_11target_archE910ELNS1_3gpuE8ELNS1_3repE0EEENS1_30default_config_static_selectorELNS0_4arch9wavefront6targetE1EEEvT1_
    .private_segment_fixed_size: 0
    .sgpr_count:     6
    .sgpr_spill_count: 0
    .symbol:         _ZN7rocprim17ROCPRIM_400000_NS6detail17trampoline_kernelINS0_14default_configENS1_25partition_config_selectorILNS1_17partition_subalgoE0EsNS0_10empty_typeEbEEZZNS1_14partition_implILS5_0ELb0ES3_jN6thrust23THRUST_200600_302600_NS6detail15normal_iteratorINSA_10device_ptrIsEEEEPS6_SG_NS0_5tupleIJNSA_16discard_iteratorINSA_11use_defaultEEESF_EEENSH_IJSG_SG_EEES6_PlJ7is_evenIsEEEE10hipError_tPvRmT3_T4_T5_T6_T7_T9_mT8_P12ihipStream_tbDpT10_ENKUlT_T0_E_clISt17integral_constantIbLb0EES18_IbLb1EEEEDaS14_S15_EUlS14_E_NS1_11comp_targetILNS1_3genE4ELNS1_11target_archE910ELNS1_3gpuE8ELNS1_3repE0EEENS1_30default_config_static_selectorELNS0_4arch9wavefront6targetE1EEEvT1_.kd
    .uniform_work_group_size: 1
    .uses_dynamic_stack: false
    .vgpr_count:     0
    .vgpr_spill_count: 0
    .wavefront_size: 64
  - .agpr_count:     0
    .args:
      - .offset:         0
        .size:           144
        .value_kind:     by_value
    .group_segment_fixed_size: 0
    .kernarg_segment_align: 8
    .kernarg_segment_size: 144
    .language:       OpenCL C
    .language_version:
      - 2
      - 0
    .max_flat_workgroup_size: 256
    .name:           _ZN7rocprim17ROCPRIM_400000_NS6detail17trampoline_kernelINS0_14default_configENS1_25partition_config_selectorILNS1_17partition_subalgoE0EsNS0_10empty_typeEbEEZZNS1_14partition_implILS5_0ELb0ES3_jN6thrust23THRUST_200600_302600_NS6detail15normal_iteratorINSA_10device_ptrIsEEEEPS6_SG_NS0_5tupleIJNSA_16discard_iteratorINSA_11use_defaultEEESF_EEENSH_IJSG_SG_EEES6_PlJ7is_evenIsEEEE10hipError_tPvRmT3_T4_T5_T6_T7_T9_mT8_P12ihipStream_tbDpT10_ENKUlT_T0_E_clISt17integral_constantIbLb0EES18_IbLb1EEEEDaS14_S15_EUlS14_E_NS1_11comp_targetILNS1_3genE3ELNS1_11target_archE908ELNS1_3gpuE7ELNS1_3repE0EEENS1_30default_config_static_selectorELNS0_4arch9wavefront6targetE1EEEvT1_
    .private_segment_fixed_size: 0
    .sgpr_count:     6
    .sgpr_spill_count: 0
    .symbol:         _ZN7rocprim17ROCPRIM_400000_NS6detail17trampoline_kernelINS0_14default_configENS1_25partition_config_selectorILNS1_17partition_subalgoE0EsNS0_10empty_typeEbEEZZNS1_14partition_implILS5_0ELb0ES3_jN6thrust23THRUST_200600_302600_NS6detail15normal_iteratorINSA_10device_ptrIsEEEEPS6_SG_NS0_5tupleIJNSA_16discard_iteratorINSA_11use_defaultEEESF_EEENSH_IJSG_SG_EEES6_PlJ7is_evenIsEEEE10hipError_tPvRmT3_T4_T5_T6_T7_T9_mT8_P12ihipStream_tbDpT10_ENKUlT_T0_E_clISt17integral_constantIbLb0EES18_IbLb1EEEEDaS14_S15_EUlS14_E_NS1_11comp_targetILNS1_3genE3ELNS1_11target_archE908ELNS1_3gpuE7ELNS1_3repE0EEENS1_30default_config_static_selectorELNS0_4arch9wavefront6targetE1EEEvT1_.kd
    .uniform_work_group_size: 1
    .uses_dynamic_stack: false
    .vgpr_count:     0
    .vgpr_spill_count: 0
    .wavefront_size: 64
  - .agpr_count:     0
    .args:
      - .offset:         0
        .size:           144
        .value_kind:     by_value
    .group_segment_fixed_size: 0
    .kernarg_segment_align: 8
    .kernarg_segment_size: 144
    .language:       OpenCL C
    .language_version:
      - 2
      - 0
    .max_flat_workgroup_size: 256
    .name:           _ZN7rocprim17ROCPRIM_400000_NS6detail17trampoline_kernelINS0_14default_configENS1_25partition_config_selectorILNS1_17partition_subalgoE0EsNS0_10empty_typeEbEEZZNS1_14partition_implILS5_0ELb0ES3_jN6thrust23THRUST_200600_302600_NS6detail15normal_iteratorINSA_10device_ptrIsEEEEPS6_SG_NS0_5tupleIJNSA_16discard_iteratorINSA_11use_defaultEEESF_EEENSH_IJSG_SG_EEES6_PlJ7is_evenIsEEEE10hipError_tPvRmT3_T4_T5_T6_T7_T9_mT8_P12ihipStream_tbDpT10_ENKUlT_T0_E_clISt17integral_constantIbLb0EES18_IbLb1EEEEDaS14_S15_EUlS14_E_NS1_11comp_targetILNS1_3genE2ELNS1_11target_archE906ELNS1_3gpuE6ELNS1_3repE0EEENS1_30default_config_static_selectorELNS0_4arch9wavefront6targetE1EEEvT1_
    .private_segment_fixed_size: 0
    .sgpr_count:     6
    .sgpr_spill_count: 0
    .symbol:         _ZN7rocprim17ROCPRIM_400000_NS6detail17trampoline_kernelINS0_14default_configENS1_25partition_config_selectorILNS1_17partition_subalgoE0EsNS0_10empty_typeEbEEZZNS1_14partition_implILS5_0ELb0ES3_jN6thrust23THRUST_200600_302600_NS6detail15normal_iteratorINSA_10device_ptrIsEEEEPS6_SG_NS0_5tupleIJNSA_16discard_iteratorINSA_11use_defaultEEESF_EEENSH_IJSG_SG_EEES6_PlJ7is_evenIsEEEE10hipError_tPvRmT3_T4_T5_T6_T7_T9_mT8_P12ihipStream_tbDpT10_ENKUlT_T0_E_clISt17integral_constantIbLb0EES18_IbLb1EEEEDaS14_S15_EUlS14_E_NS1_11comp_targetILNS1_3genE2ELNS1_11target_archE906ELNS1_3gpuE6ELNS1_3repE0EEENS1_30default_config_static_selectorELNS0_4arch9wavefront6targetE1EEEvT1_.kd
    .uniform_work_group_size: 1
    .uses_dynamic_stack: false
    .vgpr_count:     0
    .vgpr_spill_count: 0
    .wavefront_size: 64
  - .agpr_count:     0
    .args:
      - .offset:         0
        .size:           144
        .value_kind:     by_value
    .group_segment_fixed_size: 0
    .kernarg_segment_align: 8
    .kernarg_segment_size: 144
    .language:       OpenCL C
    .language_version:
      - 2
      - 0
    .max_flat_workgroup_size: 384
    .name:           _ZN7rocprim17ROCPRIM_400000_NS6detail17trampoline_kernelINS0_14default_configENS1_25partition_config_selectorILNS1_17partition_subalgoE0EsNS0_10empty_typeEbEEZZNS1_14partition_implILS5_0ELb0ES3_jN6thrust23THRUST_200600_302600_NS6detail15normal_iteratorINSA_10device_ptrIsEEEEPS6_SG_NS0_5tupleIJNSA_16discard_iteratorINSA_11use_defaultEEESF_EEENSH_IJSG_SG_EEES6_PlJ7is_evenIsEEEE10hipError_tPvRmT3_T4_T5_T6_T7_T9_mT8_P12ihipStream_tbDpT10_ENKUlT_T0_E_clISt17integral_constantIbLb0EES18_IbLb1EEEEDaS14_S15_EUlS14_E_NS1_11comp_targetILNS1_3genE10ELNS1_11target_archE1200ELNS1_3gpuE4ELNS1_3repE0EEENS1_30default_config_static_selectorELNS0_4arch9wavefront6targetE1EEEvT1_
    .private_segment_fixed_size: 0
    .sgpr_count:     6
    .sgpr_spill_count: 0
    .symbol:         _ZN7rocprim17ROCPRIM_400000_NS6detail17trampoline_kernelINS0_14default_configENS1_25partition_config_selectorILNS1_17partition_subalgoE0EsNS0_10empty_typeEbEEZZNS1_14partition_implILS5_0ELb0ES3_jN6thrust23THRUST_200600_302600_NS6detail15normal_iteratorINSA_10device_ptrIsEEEEPS6_SG_NS0_5tupleIJNSA_16discard_iteratorINSA_11use_defaultEEESF_EEENSH_IJSG_SG_EEES6_PlJ7is_evenIsEEEE10hipError_tPvRmT3_T4_T5_T6_T7_T9_mT8_P12ihipStream_tbDpT10_ENKUlT_T0_E_clISt17integral_constantIbLb0EES18_IbLb1EEEEDaS14_S15_EUlS14_E_NS1_11comp_targetILNS1_3genE10ELNS1_11target_archE1200ELNS1_3gpuE4ELNS1_3repE0EEENS1_30default_config_static_selectorELNS0_4arch9wavefront6targetE1EEEvT1_.kd
    .uniform_work_group_size: 1
    .uses_dynamic_stack: false
    .vgpr_count:     0
    .vgpr_spill_count: 0
    .wavefront_size: 64
  - .agpr_count:     0
    .args:
      - .offset:         0
        .size:           144
        .value_kind:     by_value
    .group_segment_fixed_size: 0
    .kernarg_segment_align: 8
    .kernarg_segment_size: 144
    .language:       OpenCL C
    .language_version:
      - 2
      - 0
    .max_flat_workgroup_size: 128
    .name:           _ZN7rocprim17ROCPRIM_400000_NS6detail17trampoline_kernelINS0_14default_configENS1_25partition_config_selectorILNS1_17partition_subalgoE0EsNS0_10empty_typeEbEEZZNS1_14partition_implILS5_0ELb0ES3_jN6thrust23THRUST_200600_302600_NS6detail15normal_iteratorINSA_10device_ptrIsEEEEPS6_SG_NS0_5tupleIJNSA_16discard_iteratorINSA_11use_defaultEEESF_EEENSH_IJSG_SG_EEES6_PlJ7is_evenIsEEEE10hipError_tPvRmT3_T4_T5_T6_T7_T9_mT8_P12ihipStream_tbDpT10_ENKUlT_T0_E_clISt17integral_constantIbLb0EES18_IbLb1EEEEDaS14_S15_EUlS14_E_NS1_11comp_targetILNS1_3genE9ELNS1_11target_archE1100ELNS1_3gpuE3ELNS1_3repE0EEENS1_30default_config_static_selectorELNS0_4arch9wavefront6targetE1EEEvT1_
    .private_segment_fixed_size: 0
    .sgpr_count:     6
    .sgpr_spill_count: 0
    .symbol:         _ZN7rocprim17ROCPRIM_400000_NS6detail17trampoline_kernelINS0_14default_configENS1_25partition_config_selectorILNS1_17partition_subalgoE0EsNS0_10empty_typeEbEEZZNS1_14partition_implILS5_0ELb0ES3_jN6thrust23THRUST_200600_302600_NS6detail15normal_iteratorINSA_10device_ptrIsEEEEPS6_SG_NS0_5tupleIJNSA_16discard_iteratorINSA_11use_defaultEEESF_EEENSH_IJSG_SG_EEES6_PlJ7is_evenIsEEEE10hipError_tPvRmT3_T4_T5_T6_T7_T9_mT8_P12ihipStream_tbDpT10_ENKUlT_T0_E_clISt17integral_constantIbLb0EES18_IbLb1EEEEDaS14_S15_EUlS14_E_NS1_11comp_targetILNS1_3genE9ELNS1_11target_archE1100ELNS1_3gpuE3ELNS1_3repE0EEENS1_30default_config_static_selectorELNS0_4arch9wavefront6targetE1EEEvT1_.kd
    .uniform_work_group_size: 1
    .uses_dynamic_stack: false
    .vgpr_count:     0
    .vgpr_spill_count: 0
    .wavefront_size: 64
  - .agpr_count:     0
    .args:
      - .offset:         0
        .size:           144
        .value_kind:     by_value
    .group_segment_fixed_size: 0
    .kernarg_segment_align: 8
    .kernarg_segment_size: 144
    .language:       OpenCL C
    .language_version:
      - 2
      - 0
    .max_flat_workgroup_size: 128
    .name:           _ZN7rocprim17ROCPRIM_400000_NS6detail17trampoline_kernelINS0_14default_configENS1_25partition_config_selectorILNS1_17partition_subalgoE0EsNS0_10empty_typeEbEEZZNS1_14partition_implILS5_0ELb0ES3_jN6thrust23THRUST_200600_302600_NS6detail15normal_iteratorINSA_10device_ptrIsEEEEPS6_SG_NS0_5tupleIJNSA_16discard_iteratorINSA_11use_defaultEEESF_EEENSH_IJSG_SG_EEES6_PlJ7is_evenIsEEEE10hipError_tPvRmT3_T4_T5_T6_T7_T9_mT8_P12ihipStream_tbDpT10_ENKUlT_T0_E_clISt17integral_constantIbLb0EES18_IbLb1EEEEDaS14_S15_EUlS14_E_NS1_11comp_targetILNS1_3genE8ELNS1_11target_archE1030ELNS1_3gpuE2ELNS1_3repE0EEENS1_30default_config_static_selectorELNS0_4arch9wavefront6targetE1EEEvT1_
    .private_segment_fixed_size: 0
    .sgpr_count:     6
    .sgpr_spill_count: 0
    .symbol:         _ZN7rocprim17ROCPRIM_400000_NS6detail17trampoline_kernelINS0_14default_configENS1_25partition_config_selectorILNS1_17partition_subalgoE0EsNS0_10empty_typeEbEEZZNS1_14partition_implILS5_0ELb0ES3_jN6thrust23THRUST_200600_302600_NS6detail15normal_iteratorINSA_10device_ptrIsEEEEPS6_SG_NS0_5tupleIJNSA_16discard_iteratorINSA_11use_defaultEEESF_EEENSH_IJSG_SG_EEES6_PlJ7is_evenIsEEEE10hipError_tPvRmT3_T4_T5_T6_T7_T9_mT8_P12ihipStream_tbDpT10_ENKUlT_T0_E_clISt17integral_constantIbLb0EES18_IbLb1EEEEDaS14_S15_EUlS14_E_NS1_11comp_targetILNS1_3genE8ELNS1_11target_archE1030ELNS1_3gpuE2ELNS1_3repE0EEENS1_30default_config_static_selectorELNS0_4arch9wavefront6targetE1EEEvT1_.kd
    .uniform_work_group_size: 1
    .uses_dynamic_stack: false
    .vgpr_count:     0
    .vgpr_spill_count: 0
    .wavefront_size: 64
  - .agpr_count:     0
    .args:
      - .offset:         0
        .size:           144
        .value_kind:     by_value
    .group_segment_fixed_size: 0
    .kernarg_segment_align: 8
    .kernarg_segment_size: 144
    .language:       OpenCL C
    .language_version:
      - 2
      - 0
    .max_flat_workgroup_size: 128
    .name:           _ZN7rocprim17ROCPRIM_400000_NS6detail17trampoline_kernelINS0_14default_configENS1_25partition_config_selectorILNS1_17partition_subalgoE1EyNS0_10empty_typeEbEEZZNS1_14partition_implILS5_1ELb0ES3_jN6thrust23THRUST_200600_302600_NS6detail15normal_iteratorINSA_10device_ptrIyEEEEPS6_NSA_18transform_iteratorI7is_evenIyESF_NSA_11use_defaultESK_EENS0_5tupleIJNSA_16discard_iteratorISK_EESO_EEENSM_IJSG_SG_EEES6_PlJS6_EEE10hipError_tPvRmT3_T4_T5_T6_T7_T9_mT8_P12ihipStream_tbDpT10_ENKUlT_T0_E_clISt17integral_constantIbLb0EES1B_EEDaS16_S17_EUlS16_E_NS1_11comp_targetILNS1_3genE0ELNS1_11target_archE4294967295ELNS1_3gpuE0ELNS1_3repE0EEENS1_30default_config_static_selectorELNS0_4arch9wavefront6targetE1EEEvT1_
    .private_segment_fixed_size: 0
    .sgpr_count:     6
    .sgpr_spill_count: 0
    .symbol:         _ZN7rocprim17ROCPRIM_400000_NS6detail17trampoline_kernelINS0_14default_configENS1_25partition_config_selectorILNS1_17partition_subalgoE1EyNS0_10empty_typeEbEEZZNS1_14partition_implILS5_1ELb0ES3_jN6thrust23THRUST_200600_302600_NS6detail15normal_iteratorINSA_10device_ptrIyEEEEPS6_NSA_18transform_iteratorI7is_evenIyESF_NSA_11use_defaultESK_EENS0_5tupleIJNSA_16discard_iteratorISK_EESO_EEENSM_IJSG_SG_EEES6_PlJS6_EEE10hipError_tPvRmT3_T4_T5_T6_T7_T9_mT8_P12ihipStream_tbDpT10_ENKUlT_T0_E_clISt17integral_constantIbLb0EES1B_EEDaS16_S17_EUlS16_E_NS1_11comp_targetILNS1_3genE0ELNS1_11target_archE4294967295ELNS1_3gpuE0ELNS1_3repE0EEENS1_30default_config_static_selectorELNS0_4arch9wavefront6targetE1EEEvT1_.kd
    .uniform_work_group_size: 1
    .uses_dynamic_stack: false
    .vgpr_count:     0
    .vgpr_spill_count: 0
    .wavefront_size: 64
  - .agpr_count:     0
    .args:
      - .offset:         0
        .size:           144
        .value_kind:     by_value
    .group_segment_fixed_size: 28680
    .kernarg_segment_align: 8
    .kernarg_segment_size: 144
    .language:       OpenCL C
    .language_version:
      - 2
      - 0
    .max_flat_workgroup_size: 512
    .name:           _ZN7rocprim17ROCPRIM_400000_NS6detail17trampoline_kernelINS0_14default_configENS1_25partition_config_selectorILNS1_17partition_subalgoE1EyNS0_10empty_typeEbEEZZNS1_14partition_implILS5_1ELb0ES3_jN6thrust23THRUST_200600_302600_NS6detail15normal_iteratorINSA_10device_ptrIyEEEEPS6_NSA_18transform_iteratorI7is_evenIyESF_NSA_11use_defaultESK_EENS0_5tupleIJNSA_16discard_iteratorISK_EESO_EEENSM_IJSG_SG_EEES6_PlJS6_EEE10hipError_tPvRmT3_T4_T5_T6_T7_T9_mT8_P12ihipStream_tbDpT10_ENKUlT_T0_E_clISt17integral_constantIbLb0EES1B_EEDaS16_S17_EUlS16_E_NS1_11comp_targetILNS1_3genE5ELNS1_11target_archE942ELNS1_3gpuE9ELNS1_3repE0EEENS1_30default_config_static_selectorELNS0_4arch9wavefront6targetE1EEEvT1_
    .private_segment_fixed_size: 0
    .sgpr_count:     42
    .sgpr_spill_count: 0
    .symbol:         _ZN7rocprim17ROCPRIM_400000_NS6detail17trampoline_kernelINS0_14default_configENS1_25partition_config_selectorILNS1_17partition_subalgoE1EyNS0_10empty_typeEbEEZZNS1_14partition_implILS5_1ELb0ES3_jN6thrust23THRUST_200600_302600_NS6detail15normal_iteratorINSA_10device_ptrIyEEEEPS6_NSA_18transform_iteratorI7is_evenIyESF_NSA_11use_defaultESK_EENS0_5tupleIJNSA_16discard_iteratorISK_EESO_EEENSM_IJSG_SG_EEES6_PlJS6_EEE10hipError_tPvRmT3_T4_T5_T6_T7_T9_mT8_P12ihipStream_tbDpT10_ENKUlT_T0_E_clISt17integral_constantIbLb0EES1B_EEDaS16_S17_EUlS16_E_NS1_11comp_targetILNS1_3genE5ELNS1_11target_archE942ELNS1_3gpuE9ELNS1_3repE0EEENS1_30default_config_static_selectorELNS0_4arch9wavefront6targetE1EEEvT1_.kd
    .uniform_work_group_size: 1
    .uses_dynamic_stack: false
    .vgpr_count:     53
    .vgpr_spill_count: 0
    .wavefront_size: 64
  - .agpr_count:     0
    .args:
      - .offset:         0
        .size:           144
        .value_kind:     by_value
    .group_segment_fixed_size: 0
    .kernarg_segment_align: 8
    .kernarg_segment_size: 144
    .language:       OpenCL C
    .language_version:
      - 2
      - 0
    .max_flat_workgroup_size: 192
    .name:           _ZN7rocprim17ROCPRIM_400000_NS6detail17trampoline_kernelINS0_14default_configENS1_25partition_config_selectorILNS1_17partition_subalgoE1EyNS0_10empty_typeEbEEZZNS1_14partition_implILS5_1ELb0ES3_jN6thrust23THRUST_200600_302600_NS6detail15normal_iteratorINSA_10device_ptrIyEEEEPS6_NSA_18transform_iteratorI7is_evenIyESF_NSA_11use_defaultESK_EENS0_5tupleIJNSA_16discard_iteratorISK_EESO_EEENSM_IJSG_SG_EEES6_PlJS6_EEE10hipError_tPvRmT3_T4_T5_T6_T7_T9_mT8_P12ihipStream_tbDpT10_ENKUlT_T0_E_clISt17integral_constantIbLb0EES1B_EEDaS16_S17_EUlS16_E_NS1_11comp_targetILNS1_3genE4ELNS1_11target_archE910ELNS1_3gpuE8ELNS1_3repE0EEENS1_30default_config_static_selectorELNS0_4arch9wavefront6targetE1EEEvT1_
    .private_segment_fixed_size: 0
    .sgpr_count:     6
    .sgpr_spill_count: 0
    .symbol:         _ZN7rocprim17ROCPRIM_400000_NS6detail17trampoline_kernelINS0_14default_configENS1_25partition_config_selectorILNS1_17partition_subalgoE1EyNS0_10empty_typeEbEEZZNS1_14partition_implILS5_1ELb0ES3_jN6thrust23THRUST_200600_302600_NS6detail15normal_iteratorINSA_10device_ptrIyEEEEPS6_NSA_18transform_iteratorI7is_evenIyESF_NSA_11use_defaultESK_EENS0_5tupleIJNSA_16discard_iteratorISK_EESO_EEENSM_IJSG_SG_EEES6_PlJS6_EEE10hipError_tPvRmT3_T4_T5_T6_T7_T9_mT8_P12ihipStream_tbDpT10_ENKUlT_T0_E_clISt17integral_constantIbLb0EES1B_EEDaS16_S17_EUlS16_E_NS1_11comp_targetILNS1_3genE4ELNS1_11target_archE910ELNS1_3gpuE8ELNS1_3repE0EEENS1_30default_config_static_selectorELNS0_4arch9wavefront6targetE1EEEvT1_.kd
    .uniform_work_group_size: 1
    .uses_dynamic_stack: false
    .vgpr_count:     0
    .vgpr_spill_count: 0
    .wavefront_size: 64
  - .agpr_count:     0
    .args:
      - .offset:         0
        .size:           144
        .value_kind:     by_value
    .group_segment_fixed_size: 0
    .kernarg_segment_align: 8
    .kernarg_segment_size: 144
    .language:       OpenCL C
    .language_version:
      - 2
      - 0
    .max_flat_workgroup_size: 128
    .name:           _ZN7rocprim17ROCPRIM_400000_NS6detail17trampoline_kernelINS0_14default_configENS1_25partition_config_selectorILNS1_17partition_subalgoE1EyNS0_10empty_typeEbEEZZNS1_14partition_implILS5_1ELb0ES3_jN6thrust23THRUST_200600_302600_NS6detail15normal_iteratorINSA_10device_ptrIyEEEEPS6_NSA_18transform_iteratorI7is_evenIyESF_NSA_11use_defaultESK_EENS0_5tupleIJNSA_16discard_iteratorISK_EESO_EEENSM_IJSG_SG_EEES6_PlJS6_EEE10hipError_tPvRmT3_T4_T5_T6_T7_T9_mT8_P12ihipStream_tbDpT10_ENKUlT_T0_E_clISt17integral_constantIbLb0EES1B_EEDaS16_S17_EUlS16_E_NS1_11comp_targetILNS1_3genE3ELNS1_11target_archE908ELNS1_3gpuE7ELNS1_3repE0EEENS1_30default_config_static_selectorELNS0_4arch9wavefront6targetE1EEEvT1_
    .private_segment_fixed_size: 0
    .sgpr_count:     6
    .sgpr_spill_count: 0
    .symbol:         _ZN7rocprim17ROCPRIM_400000_NS6detail17trampoline_kernelINS0_14default_configENS1_25partition_config_selectorILNS1_17partition_subalgoE1EyNS0_10empty_typeEbEEZZNS1_14partition_implILS5_1ELb0ES3_jN6thrust23THRUST_200600_302600_NS6detail15normal_iteratorINSA_10device_ptrIyEEEEPS6_NSA_18transform_iteratorI7is_evenIyESF_NSA_11use_defaultESK_EENS0_5tupleIJNSA_16discard_iteratorISK_EESO_EEENSM_IJSG_SG_EEES6_PlJS6_EEE10hipError_tPvRmT3_T4_T5_T6_T7_T9_mT8_P12ihipStream_tbDpT10_ENKUlT_T0_E_clISt17integral_constantIbLb0EES1B_EEDaS16_S17_EUlS16_E_NS1_11comp_targetILNS1_3genE3ELNS1_11target_archE908ELNS1_3gpuE7ELNS1_3repE0EEENS1_30default_config_static_selectorELNS0_4arch9wavefront6targetE1EEEvT1_.kd
    .uniform_work_group_size: 1
    .uses_dynamic_stack: false
    .vgpr_count:     0
    .vgpr_spill_count: 0
    .wavefront_size: 64
  - .agpr_count:     0
    .args:
      - .offset:         0
        .size:           144
        .value_kind:     by_value
    .group_segment_fixed_size: 0
    .kernarg_segment_align: 8
    .kernarg_segment_size: 144
    .language:       OpenCL C
    .language_version:
      - 2
      - 0
    .max_flat_workgroup_size: 256
    .name:           _ZN7rocprim17ROCPRIM_400000_NS6detail17trampoline_kernelINS0_14default_configENS1_25partition_config_selectorILNS1_17partition_subalgoE1EyNS0_10empty_typeEbEEZZNS1_14partition_implILS5_1ELb0ES3_jN6thrust23THRUST_200600_302600_NS6detail15normal_iteratorINSA_10device_ptrIyEEEEPS6_NSA_18transform_iteratorI7is_evenIyESF_NSA_11use_defaultESK_EENS0_5tupleIJNSA_16discard_iteratorISK_EESO_EEENSM_IJSG_SG_EEES6_PlJS6_EEE10hipError_tPvRmT3_T4_T5_T6_T7_T9_mT8_P12ihipStream_tbDpT10_ENKUlT_T0_E_clISt17integral_constantIbLb0EES1B_EEDaS16_S17_EUlS16_E_NS1_11comp_targetILNS1_3genE2ELNS1_11target_archE906ELNS1_3gpuE6ELNS1_3repE0EEENS1_30default_config_static_selectorELNS0_4arch9wavefront6targetE1EEEvT1_
    .private_segment_fixed_size: 0
    .sgpr_count:     6
    .sgpr_spill_count: 0
    .symbol:         _ZN7rocprim17ROCPRIM_400000_NS6detail17trampoline_kernelINS0_14default_configENS1_25partition_config_selectorILNS1_17partition_subalgoE1EyNS0_10empty_typeEbEEZZNS1_14partition_implILS5_1ELb0ES3_jN6thrust23THRUST_200600_302600_NS6detail15normal_iteratorINSA_10device_ptrIyEEEEPS6_NSA_18transform_iteratorI7is_evenIyESF_NSA_11use_defaultESK_EENS0_5tupleIJNSA_16discard_iteratorISK_EESO_EEENSM_IJSG_SG_EEES6_PlJS6_EEE10hipError_tPvRmT3_T4_T5_T6_T7_T9_mT8_P12ihipStream_tbDpT10_ENKUlT_T0_E_clISt17integral_constantIbLb0EES1B_EEDaS16_S17_EUlS16_E_NS1_11comp_targetILNS1_3genE2ELNS1_11target_archE906ELNS1_3gpuE6ELNS1_3repE0EEENS1_30default_config_static_selectorELNS0_4arch9wavefront6targetE1EEEvT1_.kd
    .uniform_work_group_size: 1
    .uses_dynamic_stack: false
    .vgpr_count:     0
    .vgpr_spill_count: 0
    .wavefront_size: 64
  - .agpr_count:     0
    .args:
      - .offset:         0
        .size:           144
        .value_kind:     by_value
    .group_segment_fixed_size: 0
    .kernarg_segment_align: 8
    .kernarg_segment_size: 144
    .language:       OpenCL C
    .language_version:
      - 2
      - 0
    .max_flat_workgroup_size: 256
    .name:           _ZN7rocprim17ROCPRIM_400000_NS6detail17trampoline_kernelINS0_14default_configENS1_25partition_config_selectorILNS1_17partition_subalgoE1EyNS0_10empty_typeEbEEZZNS1_14partition_implILS5_1ELb0ES3_jN6thrust23THRUST_200600_302600_NS6detail15normal_iteratorINSA_10device_ptrIyEEEEPS6_NSA_18transform_iteratorI7is_evenIyESF_NSA_11use_defaultESK_EENS0_5tupleIJNSA_16discard_iteratorISK_EESO_EEENSM_IJSG_SG_EEES6_PlJS6_EEE10hipError_tPvRmT3_T4_T5_T6_T7_T9_mT8_P12ihipStream_tbDpT10_ENKUlT_T0_E_clISt17integral_constantIbLb0EES1B_EEDaS16_S17_EUlS16_E_NS1_11comp_targetILNS1_3genE10ELNS1_11target_archE1200ELNS1_3gpuE4ELNS1_3repE0EEENS1_30default_config_static_selectorELNS0_4arch9wavefront6targetE1EEEvT1_
    .private_segment_fixed_size: 0
    .sgpr_count:     6
    .sgpr_spill_count: 0
    .symbol:         _ZN7rocprim17ROCPRIM_400000_NS6detail17trampoline_kernelINS0_14default_configENS1_25partition_config_selectorILNS1_17partition_subalgoE1EyNS0_10empty_typeEbEEZZNS1_14partition_implILS5_1ELb0ES3_jN6thrust23THRUST_200600_302600_NS6detail15normal_iteratorINSA_10device_ptrIyEEEEPS6_NSA_18transform_iteratorI7is_evenIyESF_NSA_11use_defaultESK_EENS0_5tupleIJNSA_16discard_iteratorISK_EESO_EEENSM_IJSG_SG_EEES6_PlJS6_EEE10hipError_tPvRmT3_T4_T5_T6_T7_T9_mT8_P12ihipStream_tbDpT10_ENKUlT_T0_E_clISt17integral_constantIbLb0EES1B_EEDaS16_S17_EUlS16_E_NS1_11comp_targetILNS1_3genE10ELNS1_11target_archE1200ELNS1_3gpuE4ELNS1_3repE0EEENS1_30default_config_static_selectorELNS0_4arch9wavefront6targetE1EEEvT1_.kd
    .uniform_work_group_size: 1
    .uses_dynamic_stack: false
    .vgpr_count:     0
    .vgpr_spill_count: 0
    .wavefront_size: 64
  - .agpr_count:     0
    .args:
      - .offset:         0
        .size:           144
        .value_kind:     by_value
    .group_segment_fixed_size: 0
    .kernarg_segment_align: 8
    .kernarg_segment_size: 144
    .language:       OpenCL C
    .language_version:
      - 2
      - 0
    .max_flat_workgroup_size: 128
    .name:           _ZN7rocprim17ROCPRIM_400000_NS6detail17trampoline_kernelINS0_14default_configENS1_25partition_config_selectorILNS1_17partition_subalgoE1EyNS0_10empty_typeEbEEZZNS1_14partition_implILS5_1ELb0ES3_jN6thrust23THRUST_200600_302600_NS6detail15normal_iteratorINSA_10device_ptrIyEEEEPS6_NSA_18transform_iteratorI7is_evenIyESF_NSA_11use_defaultESK_EENS0_5tupleIJNSA_16discard_iteratorISK_EESO_EEENSM_IJSG_SG_EEES6_PlJS6_EEE10hipError_tPvRmT3_T4_T5_T6_T7_T9_mT8_P12ihipStream_tbDpT10_ENKUlT_T0_E_clISt17integral_constantIbLb0EES1B_EEDaS16_S17_EUlS16_E_NS1_11comp_targetILNS1_3genE9ELNS1_11target_archE1100ELNS1_3gpuE3ELNS1_3repE0EEENS1_30default_config_static_selectorELNS0_4arch9wavefront6targetE1EEEvT1_
    .private_segment_fixed_size: 0
    .sgpr_count:     6
    .sgpr_spill_count: 0
    .symbol:         _ZN7rocprim17ROCPRIM_400000_NS6detail17trampoline_kernelINS0_14default_configENS1_25partition_config_selectorILNS1_17partition_subalgoE1EyNS0_10empty_typeEbEEZZNS1_14partition_implILS5_1ELb0ES3_jN6thrust23THRUST_200600_302600_NS6detail15normal_iteratorINSA_10device_ptrIyEEEEPS6_NSA_18transform_iteratorI7is_evenIyESF_NSA_11use_defaultESK_EENS0_5tupleIJNSA_16discard_iteratorISK_EESO_EEENSM_IJSG_SG_EEES6_PlJS6_EEE10hipError_tPvRmT3_T4_T5_T6_T7_T9_mT8_P12ihipStream_tbDpT10_ENKUlT_T0_E_clISt17integral_constantIbLb0EES1B_EEDaS16_S17_EUlS16_E_NS1_11comp_targetILNS1_3genE9ELNS1_11target_archE1100ELNS1_3gpuE3ELNS1_3repE0EEENS1_30default_config_static_selectorELNS0_4arch9wavefront6targetE1EEEvT1_.kd
    .uniform_work_group_size: 1
    .uses_dynamic_stack: false
    .vgpr_count:     0
    .vgpr_spill_count: 0
    .wavefront_size: 64
  - .agpr_count:     0
    .args:
      - .offset:         0
        .size:           144
        .value_kind:     by_value
    .group_segment_fixed_size: 0
    .kernarg_segment_align: 8
    .kernarg_segment_size: 144
    .language:       OpenCL C
    .language_version:
      - 2
      - 0
    .max_flat_workgroup_size: 512
    .name:           _ZN7rocprim17ROCPRIM_400000_NS6detail17trampoline_kernelINS0_14default_configENS1_25partition_config_selectorILNS1_17partition_subalgoE1EyNS0_10empty_typeEbEEZZNS1_14partition_implILS5_1ELb0ES3_jN6thrust23THRUST_200600_302600_NS6detail15normal_iteratorINSA_10device_ptrIyEEEEPS6_NSA_18transform_iteratorI7is_evenIyESF_NSA_11use_defaultESK_EENS0_5tupleIJNSA_16discard_iteratorISK_EESO_EEENSM_IJSG_SG_EEES6_PlJS6_EEE10hipError_tPvRmT3_T4_T5_T6_T7_T9_mT8_P12ihipStream_tbDpT10_ENKUlT_T0_E_clISt17integral_constantIbLb0EES1B_EEDaS16_S17_EUlS16_E_NS1_11comp_targetILNS1_3genE8ELNS1_11target_archE1030ELNS1_3gpuE2ELNS1_3repE0EEENS1_30default_config_static_selectorELNS0_4arch9wavefront6targetE1EEEvT1_
    .private_segment_fixed_size: 0
    .sgpr_count:     6
    .sgpr_spill_count: 0
    .symbol:         _ZN7rocprim17ROCPRIM_400000_NS6detail17trampoline_kernelINS0_14default_configENS1_25partition_config_selectorILNS1_17partition_subalgoE1EyNS0_10empty_typeEbEEZZNS1_14partition_implILS5_1ELb0ES3_jN6thrust23THRUST_200600_302600_NS6detail15normal_iteratorINSA_10device_ptrIyEEEEPS6_NSA_18transform_iteratorI7is_evenIyESF_NSA_11use_defaultESK_EENS0_5tupleIJNSA_16discard_iteratorISK_EESO_EEENSM_IJSG_SG_EEES6_PlJS6_EEE10hipError_tPvRmT3_T4_T5_T6_T7_T9_mT8_P12ihipStream_tbDpT10_ENKUlT_T0_E_clISt17integral_constantIbLb0EES1B_EEDaS16_S17_EUlS16_E_NS1_11comp_targetILNS1_3genE8ELNS1_11target_archE1030ELNS1_3gpuE2ELNS1_3repE0EEENS1_30default_config_static_selectorELNS0_4arch9wavefront6targetE1EEEvT1_.kd
    .uniform_work_group_size: 1
    .uses_dynamic_stack: false
    .vgpr_count:     0
    .vgpr_spill_count: 0
    .wavefront_size: 64
  - .agpr_count:     0
    .args:
      - .offset:         0
        .size:           160
        .value_kind:     by_value
    .group_segment_fixed_size: 0
    .kernarg_segment_align: 8
    .kernarg_segment_size: 160
    .language:       OpenCL C
    .language_version:
      - 2
      - 0
    .max_flat_workgroup_size: 128
    .name:           _ZN7rocprim17ROCPRIM_400000_NS6detail17trampoline_kernelINS0_14default_configENS1_25partition_config_selectorILNS1_17partition_subalgoE1EyNS0_10empty_typeEbEEZZNS1_14partition_implILS5_1ELb0ES3_jN6thrust23THRUST_200600_302600_NS6detail15normal_iteratorINSA_10device_ptrIyEEEEPS6_NSA_18transform_iteratorI7is_evenIyESF_NSA_11use_defaultESK_EENS0_5tupleIJNSA_16discard_iteratorISK_EESO_EEENSM_IJSG_SG_EEES6_PlJS6_EEE10hipError_tPvRmT3_T4_T5_T6_T7_T9_mT8_P12ihipStream_tbDpT10_ENKUlT_T0_E_clISt17integral_constantIbLb1EES1B_EEDaS16_S17_EUlS16_E_NS1_11comp_targetILNS1_3genE0ELNS1_11target_archE4294967295ELNS1_3gpuE0ELNS1_3repE0EEENS1_30default_config_static_selectorELNS0_4arch9wavefront6targetE1EEEvT1_
    .private_segment_fixed_size: 0
    .sgpr_count:     6
    .sgpr_spill_count: 0
    .symbol:         _ZN7rocprim17ROCPRIM_400000_NS6detail17trampoline_kernelINS0_14default_configENS1_25partition_config_selectorILNS1_17partition_subalgoE1EyNS0_10empty_typeEbEEZZNS1_14partition_implILS5_1ELb0ES3_jN6thrust23THRUST_200600_302600_NS6detail15normal_iteratorINSA_10device_ptrIyEEEEPS6_NSA_18transform_iteratorI7is_evenIyESF_NSA_11use_defaultESK_EENS0_5tupleIJNSA_16discard_iteratorISK_EESO_EEENSM_IJSG_SG_EEES6_PlJS6_EEE10hipError_tPvRmT3_T4_T5_T6_T7_T9_mT8_P12ihipStream_tbDpT10_ENKUlT_T0_E_clISt17integral_constantIbLb1EES1B_EEDaS16_S17_EUlS16_E_NS1_11comp_targetILNS1_3genE0ELNS1_11target_archE4294967295ELNS1_3gpuE0ELNS1_3repE0EEENS1_30default_config_static_selectorELNS0_4arch9wavefront6targetE1EEEvT1_.kd
    .uniform_work_group_size: 1
    .uses_dynamic_stack: false
    .vgpr_count:     0
    .vgpr_spill_count: 0
    .wavefront_size: 64
  - .agpr_count:     0
    .args:
      - .offset:         0
        .size:           160
        .value_kind:     by_value
    .group_segment_fixed_size: 28680
    .kernarg_segment_align: 8
    .kernarg_segment_size: 160
    .language:       OpenCL C
    .language_version:
      - 2
      - 0
    .max_flat_workgroup_size: 512
    .name:           _ZN7rocprim17ROCPRIM_400000_NS6detail17trampoline_kernelINS0_14default_configENS1_25partition_config_selectorILNS1_17partition_subalgoE1EyNS0_10empty_typeEbEEZZNS1_14partition_implILS5_1ELb0ES3_jN6thrust23THRUST_200600_302600_NS6detail15normal_iteratorINSA_10device_ptrIyEEEEPS6_NSA_18transform_iteratorI7is_evenIyESF_NSA_11use_defaultESK_EENS0_5tupleIJNSA_16discard_iteratorISK_EESO_EEENSM_IJSG_SG_EEES6_PlJS6_EEE10hipError_tPvRmT3_T4_T5_T6_T7_T9_mT8_P12ihipStream_tbDpT10_ENKUlT_T0_E_clISt17integral_constantIbLb1EES1B_EEDaS16_S17_EUlS16_E_NS1_11comp_targetILNS1_3genE5ELNS1_11target_archE942ELNS1_3gpuE9ELNS1_3repE0EEENS1_30default_config_static_selectorELNS0_4arch9wavefront6targetE1EEEvT1_
    .private_segment_fixed_size: 0
    .sgpr_count:     42
    .sgpr_spill_count: 0
    .symbol:         _ZN7rocprim17ROCPRIM_400000_NS6detail17trampoline_kernelINS0_14default_configENS1_25partition_config_selectorILNS1_17partition_subalgoE1EyNS0_10empty_typeEbEEZZNS1_14partition_implILS5_1ELb0ES3_jN6thrust23THRUST_200600_302600_NS6detail15normal_iteratorINSA_10device_ptrIyEEEEPS6_NSA_18transform_iteratorI7is_evenIyESF_NSA_11use_defaultESK_EENS0_5tupleIJNSA_16discard_iteratorISK_EESO_EEENSM_IJSG_SG_EEES6_PlJS6_EEE10hipError_tPvRmT3_T4_T5_T6_T7_T9_mT8_P12ihipStream_tbDpT10_ENKUlT_T0_E_clISt17integral_constantIbLb1EES1B_EEDaS16_S17_EUlS16_E_NS1_11comp_targetILNS1_3genE5ELNS1_11target_archE942ELNS1_3gpuE9ELNS1_3repE0EEENS1_30default_config_static_selectorELNS0_4arch9wavefront6targetE1EEEvT1_.kd
    .uniform_work_group_size: 1
    .uses_dynamic_stack: false
    .vgpr_count:     55
    .vgpr_spill_count: 0
    .wavefront_size: 64
  - .agpr_count:     0
    .args:
      - .offset:         0
        .size:           160
        .value_kind:     by_value
    .group_segment_fixed_size: 0
    .kernarg_segment_align: 8
    .kernarg_segment_size: 160
    .language:       OpenCL C
    .language_version:
      - 2
      - 0
    .max_flat_workgroup_size: 192
    .name:           _ZN7rocprim17ROCPRIM_400000_NS6detail17trampoline_kernelINS0_14default_configENS1_25partition_config_selectorILNS1_17partition_subalgoE1EyNS0_10empty_typeEbEEZZNS1_14partition_implILS5_1ELb0ES3_jN6thrust23THRUST_200600_302600_NS6detail15normal_iteratorINSA_10device_ptrIyEEEEPS6_NSA_18transform_iteratorI7is_evenIyESF_NSA_11use_defaultESK_EENS0_5tupleIJNSA_16discard_iteratorISK_EESO_EEENSM_IJSG_SG_EEES6_PlJS6_EEE10hipError_tPvRmT3_T4_T5_T6_T7_T9_mT8_P12ihipStream_tbDpT10_ENKUlT_T0_E_clISt17integral_constantIbLb1EES1B_EEDaS16_S17_EUlS16_E_NS1_11comp_targetILNS1_3genE4ELNS1_11target_archE910ELNS1_3gpuE8ELNS1_3repE0EEENS1_30default_config_static_selectorELNS0_4arch9wavefront6targetE1EEEvT1_
    .private_segment_fixed_size: 0
    .sgpr_count:     6
    .sgpr_spill_count: 0
    .symbol:         _ZN7rocprim17ROCPRIM_400000_NS6detail17trampoline_kernelINS0_14default_configENS1_25partition_config_selectorILNS1_17partition_subalgoE1EyNS0_10empty_typeEbEEZZNS1_14partition_implILS5_1ELb0ES3_jN6thrust23THRUST_200600_302600_NS6detail15normal_iteratorINSA_10device_ptrIyEEEEPS6_NSA_18transform_iteratorI7is_evenIyESF_NSA_11use_defaultESK_EENS0_5tupleIJNSA_16discard_iteratorISK_EESO_EEENSM_IJSG_SG_EEES6_PlJS6_EEE10hipError_tPvRmT3_T4_T5_T6_T7_T9_mT8_P12ihipStream_tbDpT10_ENKUlT_T0_E_clISt17integral_constantIbLb1EES1B_EEDaS16_S17_EUlS16_E_NS1_11comp_targetILNS1_3genE4ELNS1_11target_archE910ELNS1_3gpuE8ELNS1_3repE0EEENS1_30default_config_static_selectorELNS0_4arch9wavefront6targetE1EEEvT1_.kd
    .uniform_work_group_size: 1
    .uses_dynamic_stack: false
    .vgpr_count:     0
    .vgpr_spill_count: 0
    .wavefront_size: 64
  - .agpr_count:     0
    .args:
      - .offset:         0
        .size:           160
        .value_kind:     by_value
    .group_segment_fixed_size: 0
    .kernarg_segment_align: 8
    .kernarg_segment_size: 160
    .language:       OpenCL C
    .language_version:
      - 2
      - 0
    .max_flat_workgroup_size: 128
    .name:           _ZN7rocprim17ROCPRIM_400000_NS6detail17trampoline_kernelINS0_14default_configENS1_25partition_config_selectorILNS1_17partition_subalgoE1EyNS0_10empty_typeEbEEZZNS1_14partition_implILS5_1ELb0ES3_jN6thrust23THRUST_200600_302600_NS6detail15normal_iteratorINSA_10device_ptrIyEEEEPS6_NSA_18transform_iteratorI7is_evenIyESF_NSA_11use_defaultESK_EENS0_5tupleIJNSA_16discard_iteratorISK_EESO_EEENSM_IJSG_SG_EEES6_PlJS6_EEE10hipError_tPvRmT3_T4_T5_T6_T7_T9_mT8_P12ihipStream_tbDpT10_ENKUlT_T0_E_clISt17integral_constantIbLb1EES1B_EEDaS16_S17_EUlS16_E_NS1_11comp_targetILNS1_3genE3ELNS1_11target_archE908ELNS1_3gpuE7ELNS1_3repE0EEENS1_30default_config_static_selectorELNS0_4arch9wavefront6targetE1EEEvT1_
    .private_segment_fixed_size: 0
    .sgpr_count:     6
    .sgpr_spill_count: 0
    .symbol:         _ZN7rocprim17ROCPRIM_400000_NS6detail17trampoline_kernelINS0_14default_configENS1_25partition_config_selectorILNS1_17partition_subalgoE1EyNS0_10empty_typeEbEEZZNS1_14partition_implILS5_1ELb0ES3_jN6thrust23THRUST_200600_302600_NS6detail15normal_iteratorINSA_10device_ptrIyEEEEPS6_NSA_18transform_iteratorI7is_evenIyESF_NSA_11use_defaultESK_EENS0_5tupleIJNSA_16discard_iteratorISK_EESO_EEENSM_IJSG_SG_EEES6_PlJS6_EEE10hipError_tPvRmT3_T4_T5_T6_T7_T9_mT8_P12ihipStream_tbDpT10_ENKUlT_T0_E_clISt17integral_constantIbLb1EES1B_EEDaS16_S17_EUlS16_E_NS1_11comp_targetILNS1_3genE3ELNS1_11target_archE908ELNS1_3gpuE7ELNS1_3repE0EEENS1_30default_config_static_selectorELNS0_4arch9wavefront6targetE1EEEvT1_.kd
    .uniform_work_group_size: 1
    .uses_dynamic_stack: false
    .vgpr_count:     0
    .vgpr_spill_count: 0
    .wavefront_size: 64
  - .agpr_count:     0
    .args:
      - .offset:         0
        .size:           160
        .value_kind:     by_value
    .group_segment_fixed_size: 0
    .kernarg_segment_align: 8
    .kernarg_segment_size: 160
    .language:       OpenCL C
    .language_version:
      - 2
      - 0
    .max_flat_workgroup_size: 256
    .name:           _ZN7rocprim17ROCPRIM_400000_NS6detail17trampoline_kernelINS0_14default_configENS1_25partition_config_selectorILNS1_17partition_subalgoE1EyNS0_10empty_typeEbEEZZNS1_14partition_implILS5_1ELb0ES3_jN6thrust23THRUST_200600_302600_NS6detail15normal_iteratorINSA_10device_ptrIyEEEEPS6_NSA_18transform_iteratorI7is_evenIyESF_NSA_11use_defaultESK_EENS0_5tupleIJNSA_16discard_iteratorISK_EESO_EEENSM_IJSG_SG_EEES6_PlJS6_EEE10hipError_tPvRmT3_T4_T5_T6_T7_T9_mT8_P12ihipStream_tbDpT10_ENKUlT_T0_E_clISt17integral_constantIbLb1EES1B_EEDaS16_S17_EUlS16_E_NS1_11comp_targetILNS1_3genE2ELNS1_11target_archE906ELNS1_3gpuE6ELNS1_3repE0EEENS1_30default_config_static_selectorELNS0_4arch9wavefront6targetE1EEEvT1_
    .private_segment_fixed_size: 0
    .sgpr_count:     6
    .sgpr_spill_count: 0
    .symbol:         _ZN7rocprim17ROCPRIM_400000_NS6detail17trampoline_kernelINS0_14default_configENS1_25partition_config_selectorILNS1_17partition_subalgoE1EyNS0_10empty_typeEbEEZZNS1_14partition_implILS5_1ELb0ES3_jN6thrust23THRUST_200600_302600_NS6detail15normal_iteratorINSA_10device_ptrIyEEEEPS6_NSA_18transform_iteratorI7is_evenIyESF_NSA_11use_defaultESK_EENS0_5tupleIJNSA_16discard_iteratorISK_EESO_EEENSM_IJSG_SG_EEES6_PlJS6_EEE10hipError_tPvRmT3_T4_T5_T6_T7_T9_mT8_P12ihipStream_tbDpT10_ENKUlT_T0_E_clISt17integral_constantIbLb1EES1B_EEDaS16_S17_EUlS16_E_NS1_11comp_targetILNS1_3genE2ELNS1_11target_archE906ELNS1_3gpuE6ELNS1_3repE0EEENS1_30default_config_static_selectorELNS0_4arch9wavefront6targetE1EEEvT1_.kd
    .uniform_work_group_size: 1
    .uses_dynamic_stack: false
    .vgpr_count:     0
    .vgpr_spill_count: 0
    .wavefront_size: 64
  - .agpr_count:     0
    .args:
      - .offset:         0
        .size:           160
        .value_kind:     by_value
    .group_segment_fixed_size: 0
    .kernarg_segment_align: 8
    .kernarg_segment_size: 160
    .language:       OpenCL C
    .language_version:
      - 2
      - 0
    .max_flat_workgroup_size: 256
    .name:           _ZN7rocprim17ROCPRIM_400000_NS6detail17trampoline_kernelINS0_14default_configENS1_25partition_config_selectorILNS1_17partition_subalgoE1EyNS0_10empty_typeEbEEZZNS1_14partition_implILS5_1ELb0ES3_jN6thrust23THRUST_200600_302600_NS6detail15normal_iteratorINSA_10device_ptrIyEEEEPS6_NSA_18transform_iteratorI7is_evenIyESF_NSA_11use_defaultESK_EENS0_5tupleIJNSA_16discard_iteratorISK_EESO_EEENSM_IJSG_SG_EEES6_PlJS6_EEE10hipError_tPvRmT3_T4_T5_T6_T7_T9_mT8_P12ihipStream_tbDpT10_ENKUlT_T0_E_clISt17integral_constantIbLb1EES1B_EEDaS16_S17_EUlS16_E_NS1_11comp_targetILNS1_3genE10ELNS1_11target_archE1200ELNS1_3gpuE4ELNS1_3repE0EEENS1_30default_config_static_selectorELNS0_4arch9wavefront6targetE1EEEvT1_
    .private_segment_fixed_size: 0
    .sgpr_count:     6
    .sgpr_spill_count: 0
    .symbol:         _ZN7rocprim17ROCPRIM_400000_NS6detail17trampoline_kernelINS0_14default_configENS1_25partition_config_selectorILNS1_17partition_subalgoE1EyNS0_10empty_typeEbEEZZNS1_14partition_implILS5_1ELb0ES3_jN6thrust23THRUST_200600_302600_NS6detail15normal_iteratorINSA_10device_ptrIyEEEEPS6_NSA_18transform_iteratorI7is_evenIyESF_NSA_11use_defaultESK_EENS0_5tupleIJNSA_16discard_iteratorISK_EESO_EEENSM_IJSG_SG_EEES6_PlJS6_EEE10hipError_tPvRmT3_T4_T5_T6_T7_T9_mT8_P12ihipStream_tbDpT10_ENKUlT_T0_E_clISt17integral_constantIbLb1EES1B_EEDaS16_S17_EUlS16_E_NS1_11comp_targetILNS1_3genE10ELNS1_11target_archE1200ELNS1_3gpuE4ELNS1_3repE0EEENS1_30default_config_static_selectorELNS0_4arch9wavefront6targetE1EEEvT1_.kd
    .uniform_work_group_size: 1
    .uses_dynamic_stack: false
    .vgpr_count:     0
    .vgpr_spill_count: 0
    .wavefront_size: 64
  - .agpr_count:     0
    .args:
      - .offset:         0
        .size:           160
        .value_kind:     by_value
    .group_segment_fixed_size: 0
    .kernarg_segment_align: 8
    .kernarg_segment_size: 160
    .language:       OpenCL C
    .language_version:
      - 2
      - 0
    .max_flat_workgroup_size: 128
    .name:           _ZN7rocprim17ROCPRIM_400000_NS6detail17trampoline_kernelINS0_14default_configENS1_25partition_config_selectorILNS1_17partition_subalgoE1EyNS0_10empty_typeEbEEZZNS1_14partition_implILS5_1ELb0ES3_jN6thrust23THRUST_200600_302600_NS6detail15normal_iteratorINSA_10device_ptrIyEEEEPS6_NSA_18transform_iteratorI7is_evenIyESF_NSA_11use_defaultESK_EENS0_5tupleIJNSA_16discard_iteratorISK_EESO_EEENSM_IJSG_SG_EEES6_PlJS6_EEE10hipError_tPvRmT3_T4_T5_T6_T7_T9_mT8_P12ihipStream_tbDpT10_ENKUlT_T0_E_clISt17integral_constantIbLb1EES1B_EEDaS16_S17_EUlS16_E_NS1_11comp_targetILNS1_3genE9ELNS1_11target_archE1100ELNS1_3gpuE3ELNS1_3repE0EEENS1_30default_config_static_selectorELNS0_4arch9wavefront6targetE1EEEvT1_
    .private_segment_fixed_size: 0
    .sgpr_count:     6
    .sgpr_spill_count: 0
    .symbol:         _ZN7rocprim17ROCPRIM_400000_NS6detail17trampoline_kernelINS0_14default_configENS1_25partition_config_selectorILNS1_17partition_subalgoE1EyNS0_10empty_typeEbEEZZNS1_14partition_implILS5_1ELb0ES3_jN6thrust23THRUST_200600_302600_NS6detail15normal_iteratorINSA_10device_ptrIyEEEEPS6_NSA_18transform_iteratorI7is_evenIyESF_NSA_11use_defaultESK_EENS0_5tupleIJNSA_16discard_iteratorISK_EESO_EEENSM_IJSG_SG_EEES6_PlJS6_EEE10hipError_tPvRmT3_T4_T5_T6_T7_T9_mT8_P12ihipStream_tbDpT10_ENKUlT_T0_E_clISt17integral_constantIbLb1EES1B_EEDaS16_S17_EUlS16_E_NS1_11comp_targetILNS1_3genE9ELNS1_11target_archE1100ELNS1_3gpuE3ELNS1_3repE0EEENS1_30default_config_static_selectorELNS0_4arch9wavefront6targetE1EEEvT1_.kd
    .uniform_work_group_size: 1
    .uses_dynamic_stack: false
    .vgpr_count:     0
    .vgpr_spill_count: 0
    .wavefront_size: 64
  - .agpr_count:     0
    .args:
      - .offset:         0
        .size:           160
        .value_kind:     by_value
    .group_segment_fixed_size: 0
    .kernarg_segment_align: 8
    .kernarg_segment_size: 160
    .language:       OpenCL C
    .language_version:
      - 2
      - 0
    .max_flat_workgroup_size: 512
    .name:           _ZN7rocprim17ROCPRIM_400000_NS6detail17trampoline_kernelINS0_14default_configENS1_25partition_config_selectorILNS1_17partition_subalgoE1EyNS0_10empty_typeEbEEZZNS1_14partition_implILS5_1ELb0ES3_jN6thrust23THRUST_200600_302600_NS6detail15normal_iteratorINSA_10device_ptrIyEEEEPS6_NSA_18transform_iteratorI7is_evenIyESF_NSA_11use_defaultESK_EENS0_5tupleIJNSA_16discard_iteratorISK_EESO_EEENSM_IJSG_SG_EEES6_PlJS6_EEE10hipError_tPvRmT3_T4_T5_T6_T7_T9_mT8_P12ihipStream_tbDpT10_ENKUlT_T0_E_clISt17integral_constantIbLb1EES1B_EEDaS16_S17_EUlS16_E_NS1_11comp_targetILNS1_3genE8ELNS1_11target_archE1030ELNS1_3gpuE2ELNS1_3repE0EEENS1_30default_config_static_selectorELNS0_4arch9wavefront6targetE1EEEvT1_
    .private_segment_fixed_size: 0
    .sgpr_count:     6
    .sgpr_spill_count: 0
    .symbol:         _ZN7rocprim17ROCPRIM_400000_NS6detail17trampoline_kernelINS0_14default_configENS1_25partition_config_selectorILNS1_17partition_subalgoE1EyNS0_10empty_typeEbEEZZNS1_14partition_implILS5_1ELb0ES3_jN6thrust23THRUST_200600_302600_NS6detail15normal_iteratorINSA_10device_ptrIyEEEEPS6_NSA_18transform_iteratorI7is_evenIyESF_NSA_11use_defaultESK_EENS0_5tupleIJNSA_16discard_iteratorISK_EESO_EEENSM_IJSG_SG_EEES6_PlJS6_EEE10hipError_tPvRmT3_T4_T5_T6_T7_T9_mT8_P12ihipStream_tbDpT10_ENKUlT_T0_E_clISt17integral_constantIbLb1EES1B_EEDaS16_S17_EUlS16_E_NS1_11comp_targetILNS1_3genE8ELNS1_11target_archE1030ELNS1_3gpuE2ELNS1_3repE0EEENS1_30default_config_static_selectorELNS0_4arch9wavefront6targetE1EEEvT1_.kd
    .uniform_work_group_size: 1
    .uses_dynamic_stack: false
    .vgpr_count:     0
    .vgpr_spill_count: 0
    .wavefront_size: 64
  - .agpr_count:     0
    .args:
      - .offset:         0
        .size:           144
        .value_kind:     by_value
    .group_segment_fixed_size: 0
    .kernarg_segment_align: 8
    .kernarg_segment_size: 144
    .language:       OpenCL C
    .language_version:
      - 2
      - 0
    .max_flat_workgroup_size: 128
    .name:           _ZN7rocprim17ROCPRIM_400000_NS6detail17trampoline_kernelINS0_14default_configENS1_25partition_config_selectorILNS1_17partition_subalgoE1EyNS0_10empty_typeEbEEZZNS1_14partition_implILS5_1ELb0ES3_jN6thrust23THRUST_200600_302600_NS6detail15normal_iteratorINSA_10device_ptrIyEEEEPS6_NSA_18transform_iteratorI7is_evenIyESF_NSA_11use_defaultESK_EENS0_5tupleIJNSA_16discard_iteratorISK_EESO_EEENSM_IJSG_SG_EEES6_PlJS6_EEE10hipError_tPvRmT3_T4_T5_T6_T7_T9_mT8_P12ihipStream_tbDpT10_ENKUlT_T0_E_clISt17integral_constantIbLb1EES1A_IbLb0EEEEDaS16_S17_EUlS16_E_NS1_11comp_targetILNS1_3genE0ELNS1_11target_archE4294967295ELNS1_3gpuE0ELNS1_3repE0EEENS1_30default_config_static_selectorELNS0_4arch9wavefront6targetE1EEEvT1_
    .private_segment_fixed_size: 0
    .sgpr_count:     6
    .sgpr_spill_count: 0
    .symbol:         _ZN7rocprim17ROCPRIM_400000_NS6detail17trampoline_kernelINS0_14default_configENS1_25partition_config_selectorILNS1_17partition_subalgoE1EyNS0_10empty_typeEbEEZZNS1_14partition_implILS5_1ELb0ES3_jN6thrust23THRUST_200600_302600_NS6detail15normal_iteratorINSA_10device_ptrIyEEEEPS6_NSA_18transform_iteratorI7is_evenIyESF_NSA_11use_defaultESK_EENS0_5tupleIJNSA_16discard_iteratorISK_EESO_EEENSM_IJSG_SG_EEES6_PlJS6_EEE10hipError_tPvRmT3_T4_T5_T6_T7_T9_mT8_P12ihipStream_tbDpT10_ENKUlT_T0_E_clISt17integral_constantIbLb1EES1A_IbLb0EEEEDaS16_S17_EUlS16_E_NS1_11comp_targetILNS1_3genE0ELNS1_11target_archE4294967295ELNS1_3gpuE0ELNS1_3repE0EEENS1_30default_config_static_selectorELNS0_4arch9wavefront6targetE1EEEvT1_.kd
    .uniform_work_group_size: 1
    .uses_dynamic_stack: false
    .vgpr_count:     0
    .vgpr_spill_count: 0
    .wavefront_size: 64
  - .agpr_count:     0
    .args:
      - .offset:         0
        .size:           144
        .value_kind:     by_value
    .group_segment_fixed_size: 28680
    .kernarg_segment_align: 8
    .kernarg_segment_size: 144
    .language:       OpenCL C
    .language_version:
      - 2
      - 0
    .max_flat_workgroup_size: 512
    .name:           _ZN7rocprim17ROCPRIM_400000_NS6detail17trampoline_kernelINS0_14default_configENS1_25partition_config_selectorILNS1_17partition_subalgoE1EyNS0_10empty_typeEbEEZZNS1_14partition_implILS5_1ELb0ES3_jN6thrust23THRUST_200600_302600_NS6detail15normal_iteratorINSA_10device_ptrIyEEEEPS6_NSA_18transform_iteratorI7is_evenIyESF_NSA_11use_defaultESK_EENS0_5tupleIJNSA_16discard_iteratorISK_EESO_EEENSM_IJSG_SG_EEES6_PlJS6_EEE10hipError_tPvRmT3_T4_T5_T6_T7_T9_mT8_P12ihipStream_tbDpT10_ENKUlT_T0_E_clISt17integral_constantIbLb1EES1A_IbLb0EEEEDaS16_S17_EUlS16_E_NS1_11comp_targetILNS1_3genE5ELNS1_11target_archE942ELNS1_3gpuE9ELNS1_3repE0EEENS1_30default_config_static_selectorELNS0_4arch9wavefront6targetE1EEEvT1_
    .private_segment_fixed_size: 0
    .sgpr_count:     42
    .sgpr_spill_count: 0
    .symbol:         _ZN7rocprim17ROCPRIM_400000_NS6detail17trampoline_kernelINS0_14default_configENS1_25partition_config_selectorILNS1_17partition_subalgoE1EyNS0_10empty_typeEbEEZZNS1_14partition_implILS5_1ELb0ES3_jN6thrust23THRUST_200600_302600_NS6detail15normal_iteratorINSA_10device_ptrIyEEEEPS6_NSA_18transform_iteratorI7is_evenIyESF_NSA_11use_defaultESK_EENS0_5tupleIJNSA_16discard_iteratorISK_EESO_EEENSM_IJSG_SG_EEES6_PlJS6_EEE10hipError_tPvRmT3_T4_T5_T6_T7_T9_mT8_P12ihipStream_tbDpT10_ENKUlT_T0_E_clISt17integral_constantIbLb1EES1A_IbLb0EEEEDaS16_S17_EUlS16_E_NS1_11comp_targetILNS1_3genE5ELNS1_11target_archE942ELNS1_3gpuE9ELNS1_3repE0EEENS1_30default_config_static_selectorELNS0_4arch9wavefront6targetE1EEEvT1_.kd
    .uniform_work_group_size: 1
    .uses_dynamic_stack: false
    .vgpr_count:     53
    .vgpr_spill_count: 0
    .wavefront_size: 64
  - .agpr_count:     0
    .args:
      - .offset:         0
        .size:           144
        .value_kind:     by_value
    .group_segment_fixed_size: 0
    .kernarg_segment_align: 8
    .kernarg_segment_size: 144
    .language:       OpenCL C
    .language_version:
      - 2
      - 0
    .max_flat_workgroup_size: 192
    .name:           _ZN7rocprim17ROCPRIM_400000_NS6detail17trampoline_kernelINS0_14default_configENS1_25partition_config_selectorILNS1_17partition_subalgoE1EyNS0_10empty_typeEbEEZZNS1_14partition_implILS5_1ELb0ES3_jN6thrust23THRUST_200600_302600_NS6detail15normal_iteratorINSA_10device_ptrIyEEEEPS6_NSA_18transform_iteratorI7is_evenIyESF_NSA_11use_defaultESK_EENS0_5tupleIJNSA_16discard_iteratorISK_EESO_EEENSM_IJSG_SG_EEES6_PlJS6_EEE10hipError_tPvRmT3_T4_T5_T6_T7_T9_mT8_P12ihipStream_tbDpT10_ENKUlT_T0_E_clISt17integral_constantIbLb1EES1A_IbLb0EEEEDaS16_S17_EUlS16_E_NS1_11comp_targetILNS1_3genE4ELNS1_11target_archE910ELNS1_3gpuE8ELNS1_3repE0EEENS1_30default_config_static_selectorELNS0_4arch9wavefront6targetE1EEEvT1_
    .private_segment_fixed_size: 0
    .sgpr_count:     6
    .sgpr_spill_count: 0
    .symbol:         _ZN7rocprim17ROCPRIM_400000_NS6detail17trampoline_kernelINS0_14default_configENS1_25partition_config_selectorILNS1_17partition_subalgoE1EyNS0_10empty_typeEbEEZZNS1_14partition_implILS5_1ELb0ES3_jN6thrust23THRUST_200600_302600_NS6detail15normal_iteratorINSA_10device_ptrIyEEEEPS6_NSA_18transform_iteratorI7is_evenIyESF_NSA_11use_defaultESK_EENS0_5tupleIJNSA_16discard_iteratorISK_EESO_EEENSM_IJSG_SG_EEES6_PlJS6_EEE10hipError_tPvRmT3_T4_T5_T6_T7_T9_mT8_P12ihipStream_tbDpT10_ENKUlT_T0_E_clISt17integral_constantIbLb1EES1A_IbLb0EEEEDaS16_S17_EUlS16_E_NS1_11comp_targetILNS1_3genE4ELNS1_11target_archE910ELNS1_3gpuE8ELNS1_3repE0EEENS1_30default_config_static_selectorELNS0_4arch9wavefront6targetE1EEEvT1_.kd
    .uniform_work_group_size: 1
    .uses_dynamic_stack: false
    .vgpr_count:     0
    .vgpr_spill_count: 0
    .wavefront_size: 64
  - .agpr_count:     0
    .args:
      - .offset:         0
        .size:           144
        .value_kind:     by_value
    .group_segment_fixed_size: 0
    .kernarg_segment_align: 8
    .kernarg_segment_size: 144
    .language:       OpenCL C
    .language_version:
      - 2
      - 0
    .max_flat_workgroup_size: 128
    .name:           _ZN7rocprim17ROCPRIM_400000_NS6detail17trampoline_kernelINS0_14default_configENS1_25partition_config_selectorILNS1_17partition_subalgoE1EyNS0_10empty_typeEbEEZZNS1_14partition_implILS5_1ELb0ES3_jN6thrust23THRUST_200600_302600_NS6detail15normal_iteratorINSA_10device_ptrIyEEEEPS6_NSA_18transform_iteratorI7is_evenIyESF_NSA_11use_defaultESK_EENS0_5tupleIJNSA_16discard_iteratorISK_EESO_EEENSM_IJSG_SG_EEES6_PlJS6_EEE10hipError_tPvRmT3_T4_T5_T6_T7_T9_mT8_P12ihipStream_tbDpT10_ENKUlT_T0_E_clISt17integral_constantIbLb1EES1A_IbLb0EEEEDaS16_S17_EUlS16_E_NS1_11comp_targetILNS1_3genE3ELNS1_11target_archE908ELNS1_3gpuE7ELNS1_3repE0EEENS1_30default_config_static_selectorELNS0_4arch9wavefront6targetE1EEEvT1_
    .private_segment_fixed_size: 0
    .sgpr_count:     6
    .sgpr_spill_count: 0
    .symbol:         _ZN7rocprim17ROCPRIM_400000_NS6detail17trampoline_kernelINS0_14default_configENS1_25partition_config_selectorILNS1_17partition_subalgoE1EyNS0_10empty_typeEbEEZZNS1_14partition_implILS5_1ELb0ES3_jN6thrust23THRUST_200600_302600_NS6detail15normal_iteratorINSA_10device_ptrIyEEEEPS6_NSA_18transform_iteratorI7is_evenIyESF_NSA_11use_defaultESK_EENS0_5tupleIJNSA_16discard_iteratorISK_EESO_EEENSM_IJSG_SG_EEES6_PlJS6_EEE10hipError_tPvRmT3_T4_T5_T6_T7_T9_mT8_P12ihipStream_tbDpT10_ENKUlT_T0_E_clISt17integral_constantIbLb1EES1A_IbLb0EEEEDaS16_S17_EUlS16_E_NS1_11comp_targetILNS1_3genE3ELNS1_11target_archE908ELNS1_3gpuE7ELNS1_3repE0EEENS1_30default_config_static_selectorELNS0_4arch9wavefront6targetE1EEEvT1_.kd
    .uniform_work_group_size: 1
    .uses_dynamic_stack: false
    .vgpr_count:     0
    .vgpr_spill_count: 0
    .wavefront_size: 64
  - .agpr_count:     0
    .args:
      - .offset:         0
        .size:           144
        .value_kind:     by_value
    .group_segment_fixed_size: 0
    .kernarg_segment_align: 8
    .kernarg_segment_size: 144
    .language:       OpenCL C
    .language_version:
      - 2
      - 0
    .max_flat_workgroup_size: 256
    .name:           _ZN7rocprim17ROCPRIM_400000_NS6detail17trampoline_kernelINS0_14default_configENS1_25partition_config_selectorILNS1_17partition_subalgoE1EyNS0_10empty_typeEbEEZZNS1_14partition_implILS5_1ELb0ES3_jN6thrust23THRUST_200600_302600_NS6detail15normal_iteratorINSA_10device_ptrIyEEEEPS6_NSA_18transform_iteratorI7is_evenIyESF_NSA_11use_defaultESK_EENS0_5tupleIJNSA_16discard_iteratorISK_EESO_EEENSM_IJSG_SG_EEES6_PlJS6_EEE10hipError_tPvRmT3_T4_T5_T6_T7_T9_mT8_P12ihipStream_tbDpT10_ENKUlT_T0_E_clISt17integral_constantIbLb1EES1A_IbLb0EEEEDaS16_S17_EUlS16_E_NS1_11comp_targetILNS1_3genE2ELNS1_11target_archE906ELNS1_3gpuE6ELNS1_3repE0EEENS1_30default_config_static_selectorELNS0_4arch9wavefront6targetE1EEEvT1_
    .private_segment_fixed_size: 0
    .sgpr_count:     6
    .sgpr_spill_count: 0
    .symbol:         _ZN7rocprim17ROCPRIM_400000_NS6detail17trampoline_kernelINS0_14default_configENS1_25partition_config_selectorILNS1_17partition_subalgoE1EyNS0_10empty_typeEbEEZZNS1_14partition_implILS5_1ELb0ES3_jN6thrust23THRUST_200600_302600_NS6detail15normal_iteratorINSA_10device_ptrIyEEEEPS6_NSA_18transform_iteratorI7is_evenIyESF_NSA_11use_defaultESK_EENS0_5tupleIJNSA_16discard_iteratorISK_EESO_EEENSM_IJSG_SG_EEES6_PlJS6_EEE10hipError_tPvRmT3_T4_T5_T6_T7_T9_mT8_P12ihipStream_tbDpT10_ENKUlT_T0_E_clISt17integral_constantIbLb1EES1A_IbLb0EEEEDaS16_S17_EUlS16_E_NS1_11comp_targetILNS1_3genE2ELNS1_11target_archE906ELNS1_3gpuE6ELNS1_3repE0EEENS1_30default_config_static_selectorELNS0_4arch9wavefront6targetE1EEEvT1_.kd
    .uniform_work_group_size: 1
    .uses_dynamic_stack: false
    .vgpr_count:     0
    .vgpr_spill_count: 0
    .wavefront_size: 64
  - .agpr_count:     0
    .args:
      - .offset:         0
        .size:           144
        .value_kind:     by_value
    .group_segment_fixed_size: 0
    .kernarg_segment_align: 8
    .kernarg_segment_size: 144
    .language:       OpenCL C
    .language_version:
      - 2
      - 0
    .max_flat_workgroup_size: 256
    .name:           _ZN7rocprim17ROCPRIM_400000_NS6detail17trampoline_kernelINS0_14default_configENS1_25partition_config_selectorILNS1_17partition_subalgoE1EyNS0_10empty_typeEbEEZZNS1_14partition_implILS5_1ELb0ES3_jN6thrust23THRUST_200600_302600_NS6detail15normal_iteratorINSA_10device_ptrIyEEEEPS6_NSA_18transform_iteratorI7is_evenIyESF_NSA_11use_defaultESK_EENS0_5tupleIJNSA_16discard_iteratorISK_EESO_EEENSM_IJSG_SG_EEES6_PlJS6_EEE10hipError_tPvRmT3_T4_T5_T6_T7_T9_mT8_P12ihipStream_tbDpT10_ENKUlT_T0_E_clISt17integral_constantIbLb1EES1A_IbLb0EEEEDaS16_S17_EUlS16_E_NS1_11comp_targetILNS1_3genE10ELNS1_11target_archE1200ELNS1_3gpuE4ELNS1_3repE0EEENS1_30default_config_static_selectorELNS0_4arch9wavefront6targetE1EEEvT1_
    .private_segment_fixed_size: 0
    .sgpr_count:     6
    .sgpr_spill_count: 0
    .symbol:         _ZN7rocprim17ROCPRIM_400000_NS6detail17trampoline_kernelINS0_14default_configENS1_25partition_config_selectorILNS1_17partition_subalgoE1EyNS0_10empty_typeEbEEZZNS1_14partition_implILS5_1ELb0ES3_jN6thrust23THRUST_200600_302600_NS6detail15normal_iteratorINSA_10device_ptrIyEEEEPS6_NSA_18transform_iteratorI7is_evenIyESF_NSA_11use_defaultESK_EENS0_5tupleIJNSA_16discard_iteratorISK_EESO_EEENSM_IJSG_SG_EEES6_PlJS6_EEE10hipError_tPvRmT3_T4_T5_T6_T7_T9_mT8_P12ihipStream_tbDpT10_ENKUlT_T0_E_clISt17integral_constantIbLb1EES1A_IbLb0EEEEDaS16_S17_EUlS16_E_NS1_11comp_targetILNS1_3genE10ELNS1_11target_archE1200ELNS1_3gpuE4ELNS1_3repE0EEENS1_30default_config_static_selectorELNS0_4arch9wavefront6targetE1EEEvT1_.kd
    .uniform_work_group_size: 1
    .uses_dynamic_stack: false
    .vgpr_count:     0
    .vgpr_spill_count: 0
    .wavefront_size: 64
  - .agpr_count:     0
    .args:
      - .offset:         0
        .size:           144
        .value_kind:     by_value
    .group_segment_fixed_size: 0
    .kernarg_segment_align: 8
    .kernarg_segment_size: 144
    .language:       OpenCL C
    .language_version:
      - 2
      - 0
    .max_flat_workgroup_size: 128
    .name:           _ZN7rocprim17ROCPRIM_400000_NS6detail17trampoline_kernelINS0_14default_configENS1_25partition_config_selectorILNS1_17partition_subalgoE1EyNS0_10empty_typeEbEEZZNS1_14partition_implILS5_1ELb0ES3_jN6thrust23THRUST_200600_302600_NS6detail15normal_iteratorINSA_10device_ptrIyEEEEPS6_NSA_18transform_iteratorI7is_evenIyESF_NSA_11use_defaultESK_EENS0_5tupleIJNSA_16discard_iteratorISK_EESO_EEENSM_IJSG_SG_EEES6_PlJS6_EEE10hipError_tPvRmT3_T4_T5_T6_T7_T9_mT8_P12ihipStream_tbDpT10_ENKUlT_T0_E_clISt17integral_constantIbLb1EES1A_IbLb0EEEEDaS16_S17_EUlS16_E_NS1_11comp_targetILNS1_3genE9ELNS1_11target_archE1100ELNS1_3gpuE3ELNS1_3repE0EEENS1_30default_config_static_selectorELNS0_4arch9wavefront6targetE1EEEvT1_
    .private_segment_fixed_size: 0
    .sgpr_count:     6
    .sgpr_spill_count: 0
    .symbol:         _ZN7rocprim17ROCPRIM_400000_NS6detail17trampoline_kernelINS0_14default_configENS1_25partition_config_selectorILNS1_17partition_subalgoE1EyNS0_10empty_typeEbEEZZNS1_14partition_implILS5_1ELb0ES3_jN6thrust23THRUST_200600_302600_NS6detail15normal_iteratorINSA_10device_ptrIyEEEEPS6_NSA_18transform_iteratorI7is_evenIyESF_NSA_11use_defaultESK_EENS0_5tupleIJNSA_16discard_iteratorISK_EESO_EEENSM_IJSG_SG_EEES6_PlJS6_EEE10hipError_tPvRmT3_T4_T5_T6_T7_T9_mT8_P12ihipStream_tbDpT10_ENKUlT_T0_E_clISt17integral_constantIbLb1EES1A_IbLb0EEEEDaS16_S17_EUlS16_E_NS1_11comp_targetILNS1_3genE9ELNS1_11target_archE1100ELNS1_3gpuE3ELNS1_3repE0EEENS1_30default_config_static_selectorELNS0_4arch9wavefront6targetE1EEEvT1_.kd
    .uniform_work_group_size: 1
    .uses_dynamic_stack: false
    .vgpr_count:     0
    .vgpr_spill_count: 0
    .wavefront_size: 64
  - .agpr_count:     0
    .args:
      - .offset:         0
        .size:           144
        .value_kind:     by_value
    .group_segment_fixed_size: 0
    .kernarg_segment_align: 8
    .kernarg_segment_size: 144
    .language:       OpenCL C
    .language_version:
      - 2
      - 0
    .max_flat_workgroup_size: 512
    .name:           _ZN7rocprim17ROCPRIM_400000_NS6detail17trampoline_kernelINS0_14default_configENS1_25partition_config_selectorILNS1_17partition_subalgoE1EyNS0_10empty_typeEbEEZZNS1_14partition_implILS5_1ELb0ES3_jN6thrust23THRUST_200600_302600_NS6detail15normal_iteratorINSA_10device_ptrIyEEEEPS6_NSA_18transform_iteratorI7is_evenIyESF_NSA_11use_defaultESK_EENS0_5tupleIJNSA_16discard_iteratorISK_EESO_EEENSM_IJSG_SG_EEES6_PlJS6_EEE10hipError_tPvRmT3_T4_T5_T6_T7_T9_mT8_P12ihipStream_tbDpT10_ENKUlT_T0_E_clISt17integral_constantIbLb1EES1A_IbLb0EEEEDaS16_S17_EUlS16_E_NS1_11comp_targetILNS1_3genE8ELNS1_11target_archE1030ELNS1_3gpuE2ELNS1_3repE0EEENS1_30default_config_static_selectorELNS0_4arch9wavefront6targetE1EEEvT1_
    .private_segment_fixed_size: 0
    .sgpr_count:     6
    .sgpr_spill_count: 0
    .symbol:         _ZN7rocprim17ROCPRIM_400000_NS6detail17trampoline_kernelINS0_14default_configENS1_25partition_config_selectorILNS1_17partition_subalgoE1EyNS0_10empty_typeEbEEZZNS1_14partition_implILS5_1ELb0ES3_jN6thrust23THRUST_200600_302600_NS6detail15normal_iteratorINSA_10device_ptrIyEEEEPS6_NSA_18transform_iteratorI7is_evenIyESF_NSA_11use_defaultESK_EENS0_5tupleIJNSA_16discard_iteratorISK_EESO_EEENSM_IJSG_SG_EEES6_PlJS6_EEE10hipError_tPvRmT3_T4_T5_T6_T7_T9_mT8_P12ihipStream_tbDpT10_ENKUlT_T0_E_clISt17integral_constantIbLb1EES1A_IbLb0EEEEDaS16_S17_EUlS16_E_NS1_11comp_targetILNS1_3genE8ELNS1_11target_archE1030ELNS1_3gpuE2ELNS1_3repE0EEENS1_30default_config_static_selectorELNS0_4arch9wavefront6targetE1EEEvT1_.kd
    .uniform_work_group_size: 1
    .uses_dynamic_stack: false
    .vgpr_count:     0
    .vgpr_spill_count: 0
    .wavefront_size: 64
  - .agpr_count:     0
    .args:
      - .offset:         0
        .size:           160
        .value_kind:     by_value
    .group_segment_fixed_size: 0
    .kernarg_segment_align: 8
    .kernarg_segment_size: 160
    .language:       OpenCL C
    .language_version:
      - 2
      - 0
    .max_flat_workgroup_size: 128
    .name:           _ZN7rocprim17ROCPRIM_400000_NS6detail17trampoline_kernelINS0_14default_configENS1_25partition_config_selectorILNS1_17partition_subalgoE1EyNS0_10empty_typeEbEEZZNS1_14partition_implILS5_1ELb0ES3_jN6thrust23THRUST_200600_302600_NS6detail15normal_iteratorINSA_10device_ptrIyEEEEPS6_NSA_18transform_iteratorI7is_evenIyESF_NSA_11use_defaultESK_EENS0_5tupleIJNSA_16discard_iteratorISK_EESO_EEENSM_IJSG_SG_EEES6_PlJS6_EEE10hipError_tPvRmT3_T4_T5_T6_T7_T9_mT8_P12ihipStream_tbDpT10_ENKUlT_T0_E_clISt17integral_constantIbLb0EES1A_IbLb1EEEEDaS16_S17_EUlS16_E_NS1_11comp_targetILNS1_3genE0ELNS1_11target_archE4294967295ELNS1_3gpuE0ELNS1_3repE0EEENS1_30default_config_static_selectorELNS0_4arch9wavefront6targetE1EEEvT1_
    .private_segment_fixed_size: 0
    .sgpr_count:     6
    .sgpr_spill_count: 0
    .symbol:         _ZN7rocprim17ROCPRIM_400000_NS6detail17trampoline_kernelINS0_14default_configENS1_25partition_config_selectorILNS1_17partition_subalgoE1EyNS0_10empty_typeEbEEZZNS1_14partition_implILS5_1ELb0ES3_jN6thrust23THRUST_200600_302600_NS6detail15normal_iteratorINSA_10device_ptrIyEEEEPS6_NSA_18transform_iteratorI7is_evenIyESF_NSA_11use_defaultESK_EENS0_5tupleIJNSA_16discard_iteratorISK_EESO_EEENSM_IJSG_SG_EEES6_PlJS6_EEE10hipError_tPvRmT3_T4_T5_T6_T7_T9_mT8_P12ihipStream_tbDpT10_ENKUlT_T0_E_clISt17integral_constantIbLb0EES1A_IbLb1EEEEDaS16_S17_EUlS16_E_NS1_11comp_targetILNS1_3genE0ELNS1_11target_archE4294967295ELNS1_3gpuE0ELNS1_3repE0EEENS1_30default_config_static_selectorELNS0_4arch9wavefront6targetE1EEEvT1_.kd
    .uniform_work_group_size: 1
    .uses_dynamic_stack: false
    .vgpr_count:     0
    .vgpr_spill_count: 0
    .wavefront_size: 64
  - .agpr_count:     0
    .args:
      - .offset:         0
        .size:           160
        .value_kind:     by_value
    .group_segment_fixed_size: 28680
    .kernarg_segment_align: 8
    .kernarg_segment_size: 160
    .language:       OpenCL C
    .language_version:
      - 2
      - 0
    .max_flat_workgroup_size: 512
    .name:           _ZN7rocprim17ROCPRIM_400000_NS6detail17trampoline_kernelINS0_14default_configENS1_25partition_config_selectorILNS1_17partition_subalgoE1EyNS0_10empty_typeEbEEZZNS1_14partition_implILS5_1ELb0ES3_jN6thrust23THRUST_200600_302600_NS6detail15normal_iteratorINSA_10device_ptrIyEEEEPS6_NSA_18transform_iteratorI7is_evenIyESF_NSA_11use_defaultESK_EENS0_5tupleIJNSA_16discard_iteratorISK_EESO_EEENSM_IJSG_SG_EEES6_PlJS6_EEE10hipError_tPvRmT3_T4_T5_T6_T7_T9_mT8_P12ihipStream_tbDpT10_ENKUlT_T0_E_clISt17integral_constantIbLb0EES1A_IbLb1EEEEDaS16_S17_EUlS16_E_NS1_11comp_targetILNS1_3genE5ELNS1_11target_archE942ELNS1_3gpuE9ELNS1_3repE0EEENS1_30default_config_static_selectorELNS0_4arch9wavefront6targetE1EEEvT1_
    .private_segment_fixed_size: 0
    .sgpr_count:     42
    .sgpr_spill_count: 0
    .symbol:         _ZN7rocprim17ROCPRIM_400000_NS6detail17trampoline_kernelINS0_14default_configENS1_25partition_config_selectorILNS1_17partition_subalgoE1EyNS0_10empty_typeEbEEZZNS1_14partition_implILS5_1ELb0ES3_jN6thrust23THRUST_200600_302600_NS6detail15normal_iteratorINSA_10device_ptrIyEEEEPS6_NSA_18transform_iteratorI7is_evenIyESF_NSA_11use_defaultESK_EENS0_5tupleIJNSA_16discard_iteratorISK_EESO_EEENSM_IJSG_SG_EEES6_PlJS6_EEE10hipError_tPvRmT3_T4_T5_T6_T7_T9_mT8_P12ihipStream_tbDpT10_ENKUlT_T0_E_clISt17integral_constantIbLb0EES1A_IbLb1EEEEDaS16_S17_EUlS16_E_NS1_11comp_targetILNS1_3genE5ELNS1_11target_archE942ELNS1_3gpuE9ELNS1_3repE0EEENS1_30default_config_static_selectorELNS0_4arch9wavefront6targetE1EEEvT1_.kd
    .uniform_work_group_size: 1
    .uses_dynamic_stack: false
    .vgpr_count:     55
    .vgpr_spill_count: 0
    .wavefront_size: 64
  - .agpr_count:     0
    .args:
      - .offset:         0
        .size:           160
        .value_kind:     by_value
    .group_segment_fixed_size: 0
    .kernarg_segment_align: 8
    .kernarg_segment_size: 160
    .language:       OpenCL C
    .language_version:
      - 2
      - 0
    .max_flat_workgroup_size: 192
    .name:           _ZN7rocprim17ROCPRIM_400000_NS6detail17trampoline_kernelINS0_14default_configENS1_25partition_config_selectorILNS1_17partition_subalgoE1EyNS0_10empty_typeEbEEZZNS1_14partition_implILS5_1ELb0ES3_jN6thrust23THRUST_200600_302600_NS6detail15normal_iteratorINSA_10device_ptrIyEEEEPS6_NSA_18transform_iteratorI7is_evenIyESF_NSA_11use_defaultESK_EENS0_5tupleIJNSA_16discard_iteratorISK_EESO_EEENSM_IJSG_SG_EEES6_PlJS6_EEE10hipError_tPvRmT3_T4_T5_T6_T7_T9_mT8_P12ihipStream_tbDpT10_ENKUlT_T0_E_clISt17integral_constantIbLb0EES1A_IbLb1EEEEDaS16_S17_EUlS16_E_NS1_11comp_targetILNS1_3genE4ELNS1_11target_archE910ELNS1_3gpuE8ELNS1_3repE0EEENS1_30default_config_static_selectorELNS0_4arch9wavefront6targetE1EEEvT1_
    .private_segment_fixed_size: 0
    .sgpr_count:     6
    .sgpr_spill_count: 0
    .symbol:         _ZN7rocprim17ROCPRIM_400000_NS6detail17trampoline_kernelINS0_14default_configENS1_25partition_config_selectorILNS1_17partition_subalgoE1EyNS0_10empty_typeEbEEZZNS1_14partition_implILS5_1ELb0ES3_jN6thrust23THRUST_200600_302600_NS6detail15normal_iteratorINSA_10device_ptrIyEEEEPS6_NSA_18transform_iteratorI7is_evenIyESF_NSA_11use_defaultESK_EENS0_5tupleIJNSA_16discard_iteratorISK_EESO_EEENSM_IJSG_SG_EEES6_PlJS6_EEE10hipError_tPvRmT3_T4_T5_T6_T7_T9_mT8_P12ihipStream_tbDpT10_ENKUlT_T0_E_clISt17integral_constantIbLb0EES1A_IbLb1EEEEDaS16_S17_EUlS16_E_NS1_11comp_targetILNS1_3genE4ELNS1_11target_archE910ELNS1_3gpuE8ELNS1_3repE0EEENS1_30default_config_static_selectorELNS0_4arch9wavefront6targetE1EEEvT1_.kd
    .uniform_work_group_size: 1
    .uses_dynamic_stack: false
    .vgpr_count:     0
    .vgpr_spill_count: 0
    .wavefront_size: 64
  - .agpr_count:     0
    .args:
      - .offset:         0
        .size:           160
        .value_kind:     by_value
    .group_segment_fixed_size: 0
    .kernarg_segment_align: 8
    .kernarg_segment_size: 160
    .language:       OpenCL C
    .language_version:
      - 2
      - 0
    .max_flat_workgroup_size: 128
    .name:           _ZN7rocprim17ROCPRIM_400000_NS6detail17trampoline_kernelINS0_14default_configENS1_25partition_config_selectorILNS1_17partition_subalgoE1EyNS0_10empty_typeEbEEZZNS1_14partition_implILS5_1ELb0ES3_jN6thrust23THRUST_200600_302600_NS6detail15normal_iteratorINSA_10device_ptrIyEEEEPS6_NSA_18transform_iteratorI7is_evenIyESF_NSA_11use_defaultESK_EENS0_5tupleIJNSA_16discard_iteratorISK_EESO_EEENSM_IJSG_SG_EEES6_PlJS6_EEE10hipError_tPvRmT3_T4_T5_T6_T7_T9_mT8_P12ihipStream_tbDpT10_ENKUlT_T0_E_clISt17integral_constantIbLb0EES1A_IbLb1EEEEDaS16_S17_EUlS16_E_NS1_11comp_targetILNS1_3genE3ELNS1_11target_archE908ELNS1_3gpuE7ELNS1_3repE0EEENS1_30default_config_static_selectorELNS0_4arch9wavefront6targetE1EEEvT1_
    .private_segment_fixed_size: 0
    .sgpr_count:     6
    .sgpr_spill_count: 0
    .symbol:         _ZN7rocprim17ROCPRIM_400000_NS6detail17trampoline_kernelINS0_14default_configENS1_25partition_config_selectorILNS1_17partition_subalgoE1EyNS0_10empty_typeEbEEZZNS1_14partition_implILS5_1ELb0ES3_jN6thrust23THRUST_200600_302600_NS6detail15normal_iteratorINSA_10device_ptrIyEEEEPS6_NSA_18transform_iteratorI7is_evenIyESF_NSA_11use_defaultESK_EENS0_5tupleIJNSA_16discard_iteratorISK_EESO_EEENSM_IJSG_SG_EEES6_PlJS6_EEE10hipError_tPvRmT3_T4_T5_T6_T7_T9_mT8_P12ihipStream_tbDpT10_ENKUlT_T0_E_clISt17integral_constantIbLb0EES1A_IbLb1EEEEDaS16_S17_EUlS16_E_NS1_11comp_targetILNS1_3genE3ELNS1_11target_archE908ELNS1_3gpuE7ELNS1_3repE0EEENS1_30default_config_static_selectorELNS0_4arch9wavefront6targetE1EEEvT1_.kd
    .uniform_work_group_size: 1
    .uses_dynamic_stack: false
    .vgpr_count:     0
    .vgpr_spill_count: 0
    .wavefront_size: 64
  - .agpr_count:     0
    .args:
      - .offset:         0
        .size:           160
        .value_kind:     by_value
    .group_segment_fixed_size: 0
    .kernarg_segment_align: 8
    .kernarg_segment_size: 160
    .language:       OpenCL C
    .language_version:
      - 2
      - 0
    .max_flat_workgroup_size: 256
    .name:           _ZN7rocprim17ROCPRIM_400000_NS6detail17trampoline_kernelINS0_14default_configENS1_25partition_config_selectorILNS1_17partition_subalgoE1EyNS0_10empty_typeEbEEZZNS1_14partition_implILS5_1ELb0ES3_jN6thrust23THRUST_200600_302600_NS6detail15normal_iteratorINSA_10device_ptrIyEEEEPS6_NSA_18transform_iteratorI7is_evenIyESF_NSA_11use_defaultESK_EENS0_5tupleIJNSA_16discard_iteratorISK_EESO_EEENSM_IJSG_SG_EEES6_PlJS6_EEE10hipError_tPvRmT3_T4_T5_T6_T7_T9_mT8_P12ihipStream_tbDpT10_ENKUlT_T0_E_clISt17integral_constantIbLb0EES1A_IbLb1EEEEDaS16_S17_EUlS16_E_NS1_11comp_targetILNS1_3genE2ELNS1_11target_archE906ELNS1_3gpuE6ELNS1_3repE0EEENS1_30default_config_static_selectorELNS0_4arch9wavefront6targetE1EEEvT1_
    .private_segment_fixed_size: 0
    .sgpr_count:     6
    .sgpr_spill_count: 0
    .symbol:         _ZN7rocprim17ROCPRIM_400000_NS6detail17trampoline_kernelINS0_14default_configENS1_25partition_config_selectorILNS1_17partition_subalgoE1EyNS0_10empty_typeEbEEZZNS1_14partition_implILS5_1ELb0ES3_jN6thrust23THRUST_200600_302600_NS6detail15normal_iteratorINSA_10device_ptrIyEEEEPS6_NSA_18transform_iteratorI7is_evenIyESF_NSA_11use_defaultESK_EENS0_5tupleIJNSA_16discard_iteratorISK_EESO_EEENSM_IJSG_SG_EEES6_PlJS6_EEE10hipError_tPvRmT3_T4_T5_T6_T7_T9_mT8_P12ihipStream_tbDpT10_ENKUlT_T0_E_clISt17integral_constantIbLb0EES1A_IbLb1EEEEDaS16_S17_EUlS16_E_NS1_11comp_targetILNS1_3genE2ELNS1_11target_archE906ELNS1_3gpuE6ELNS1_3repE0EEENS1_30default_config_static_selectorELNS0_4arch9wavefront6targetE1EEEvT1_.kd
    .uniform_work_group_size: 1
    .uses_dynamic_stack: false
    .vgpr_count:     0
    .vgpr_spill_count: 0
    .wavefront_size: 64
  - .agpr_count:     0
    .args:
      - .offset:         0
        .size:           160
        .value_kind:     by_value
    .group_segment_fixed_size: 0
    .kernarg_segment_align: 8
    .kernarg_segment_size: 160
    .language:       OpenCL C
    .language_version:
      - 2
      - 0
    .max_flat_workgroup_size: 256
    .name:           _ZN7rocprim17ROCPRIM_400000_NS6detail17trampoline_kernelINS0_14default_configENS1_25partition_config_selectorILNS1_17partition_subalgoE1EyNS0_10empty_typeEbEEZZNS1_14partition_implILS5_1ELb0ES3_jN6thrust23THRUST_200600_302600_NS6detail15normal_iteratorINSA_10device_ptrIyEEEEPS6_NSA_18transform_iteratorI7is_evenIyESF_NSA_11use_defaultESK_EENS0_5tupleIJNSA_16discard_iteratorISK_EESO_EEENSM_IJSG_SG_EEES6_PlJS6_EEE10hipError_tPvRmT3_T4_T5_T6_T7_T9_mT8_P12ihipStream_tbDpT10_ENKUlT_T0_E_clISt17integral_constantIbLb0EES1A_IbLb1EEEEDaS16_S17_EUlS16_E_NS1_11comp_targetILNS1_3genE10ELNS1_11target_archE1200ELNS1_3gpuE4ELNS1_3repE0EEENS1_30default_config_static_selectorELNS0_4arch9wavefront6targetE1EEEvT1_
    .private_segment_fixed_size: 0
    .sgpr_count:     6
    .sgpr_spill_count: 0
    .symbol:         _ZN7rocprim17ROCPRIM_400000_NS6detail17trampoline_kernelINS0_14default_configENS1_25partition_config_selectorILNS1_17partition_subalgoE1EyNS0_10empty_typeEbEEZZNS1_14partition_implILS5_1ELb0ES3_jN6thrust23THRUST_200600_302600_NS6detail15normal_iteratorINSA_10device_ptrIyEEEEPS6_NSA_18transform_iteratorI7is_evenIyESF_NSA_11use_defaultESK_EENS0_5tupleIJNSA_16discard_iteratorISK_EESO_EEENSM_IJSG_SG_EEES6_PlJS6_EEE10hipError_tPvRmT3_T4_T5_T6_T7_T9_mT8_P12ihipStream_tbDpT10_ENKUlT_T0_E_clISt17integral_constantIbLb0EES1A_IbLb1EEEEDaS16_S17_EUlS16_E_NS1_11comp_targetILNS1_3genE10ELNS1_11target_archE1200ELNS1_3gpuE4ELNS1_3repE0EEENS1_30default_config_static_selectorELNS0_4arch9wavefront6targetE1EEEvT1_.kd
    .uniform_work_group_size: 1
    .uses_dynamic_stack: false
    .vgpr_count:     0
    .vgpr_spill_count: 0
    .wavefront_size: 64
  - .agpr_count:     0
    .args:
      - .offset:         0
        .size:           160
        .value_kind:     by_value
    .group_segment_fixed_size: 0
    .kernarg_segment_align: 8
    .kernarg_segment_size: 160
    .language:       OpenCL C
    .language_version:
      - 2
      - 0
    .max_flat_workgroup_size: 128
    .name:           _ZN7rocprim17ROCPRIM_400000_NS6detail17trampoline_kernelINS0_14default_configENS1_25partition_config_selectorILNS1_17partition_subalgoE1EyNS0_10empty_typeEbEEZZNS1_14partition_implILS5_1ELb0ES3_jN6thrust23THRUST_200600_302600_NS6detail15normal_iteratorINSA_10device_ptrIyEEEEPS6_NSA_18transform_iteratorI7is_evenIyESF_NSA_11use_defaultESK_EENS0_5tupleIJNSA_16discard_iteratorISK_EESO_EEENSM_IJSG_SG_EEES6_PlJS6_EEE10hipError_tPvRmT3_T4_T5_T6_T7_T9_mT8_P12ihipStream_tbDpT10_ENKUlT_T0_E_clISt17integral_constantIbLb0EES1A_IbLb1EEEEDaS16_S17_EUlS16_E_NS1_11comp_targetILNS1_3genE9ELNS1_11target_archE1100ELNS1_3gpuE3ELNS1_3repE0EEENS1_30default_config_static_selectorELNS0_4arch9wavefront6targetE1EEEvT1_
    .private_segment_fixed_size: 0
    .sgpr_count:     6
    .sgpr_spill_count: 0
    .symbol:         _ZN7rocprim17ROCPRIM_400000_NS6detail17trampoline_kernelINS0_14default_configENS1_25partition_config_selectorILNS1_17partition_subalgoE1EyNS0_10empty_typeEbEEZZNS1_14partition_implILS5_1ELb0ES3_jN6thrust23THRUST_200600_302600_NS6detail15normal_iteratorINSA_10device_ptrIyEEEEPS6_NSA_18transform_iteratorI7is_evenIyESF_NSA_11use_defaultESK_EENS0_5tupleIJNSA_16discard_iteratorISK_EESO_EEENSM_IJSG_SG_EEES6_PlJS6_EEE10hipError_tPvRmT3_T4_T5_T6_T7_T9_mT8_P12ihipStream_tbDpT10_ENKUlT_T0_E_clISt17integral_constantIbLb0EES1A_IbLb1EEEEDaS16_S17_EUlS16_E_NS1_11comp_targetILNS1_3genE9ELNS1_11target_archE1100ELNS1_3gpuE3ELNS1_3repE0EEENS1_30default_config_static_selectorELNS0_4arch9wavefront6targetE1EEEvT1_.kd
    .uniform_work_group_size: 1
    .uses_dynamic_stack: false
    .vgpr_count:     0
    .vgpr_spill_count: 0
    .wavefront_size: 64
  - .agpr_count:     0
    .args:
      - .offset:         0
        .size:           160
        .value_kind:     by_value
    .group_segment_fixed_size: 0
    .kernarg_segment_align: 8
    .kernarg_segment_size: 160
    .language:       OpenCL C
    .language_version:
      - 2
      - 0
    .max_flat_workgroup_size: 512
    .name:           _ZN7rocprim17ROCPRIM_400000_NS6detail17trampoline_kernelINS0_14default_configENS1_25partition_config_selectorILNS1_17partition_subalgoE1EyNS0_10empty_typeEbEEZZNS1_14partition_implILS5_1ELb0ES3_jN6thrust23THRUST_200600_302600_NS6detail15normal_iteratorINSA_10device_ptrIyEEEEPS6_NSA_18transform_iteratorI7is_evenIyESF_NSA_11use_defaultESK_EENS0_5tupleIJNSA_16discard_iteratorISK_EESO_EEENSM_IJSG_SG_EEES6_PlJS6_EEE10hipError_tPvRmT3_T4_T5_T6_T7_T9_mT8_P12ihipStream_tbDpT10_ENKUlT_T0_E_clISt17integral_constantIbLb0EES1A_IbLb1EEEEDaS16_S17_EUlS16_E_NS1_11comp_targetILNS1_3genE8ELNS1_11target_archE1030ELNS1_3gpuE2ELNS1_3repE0EEENS1_30default_config_static_selectorELNS0_4arch9wavefront6targetE1EEEvT1_
    .private_segment_fixed_size: 0
    .sgpr_count:     6
    .sgpr_spill_count: 0
    .symbol:         _ZN7rocprim17ROCPRIM_400000_NS6detail17trampoline_kernelINS0_14default_configENS1_25partition_config_selectorILNS1_17partition_subalgoE1EyNS0_10empty_typeEbEEZZNS1_14partition_implILS5_1ELb0ES3_jN6thrust23THRUST_200600_302600_NS6detail15normal_iteratorINSA_10device_ptrIyEEEEPS6_NSA_18transform_iteratorI7is_evenIyESF_NSA_11use_defaultESK_EENS0_5tupleIJNSA_16discard_iteratorISK_EESO_EEENSM_IJSG_SG_EEES6_PlJS6_EEE10hipError_tPvRmT3_T4_T5_T6_T7_T9_mT8_P12ihipStream_tbDpT10_ENKUlT_T0_E_clISt17integral_constantIbLb0EES1A_IbLb1EEEEDaS16_S17_EUlS16_E_NS1_11comp_targetILNS1_3genE8ELNS1_11target_archE1030ELNS1_3gpuE2ELNS1_3repE0EEENS1_30default_config_static_selectorELNS0_4arch9wavefront6targetE1EEEvT1_.kd
    .uniform_work_group_size: 1
    .uses_dynamic_stack: false
    .vgpr_count:     0
    .vgpr_spill_count: 0
    .wavefront_size: 64
  - .agpr_count:     0
    .args:
      - .offset:         0
        .size:           136
        .value_kind:     by_value
    .group_segment_fixed_size: 0
    .kernarg_segment_align: 8
    .kernarg_segment_size: 136
    .language:       OpenCL C
    .language_version:
      - 2
      - 0
    .max_flat_workgroup_size: 128
    .name:           _ZN7rocprim17ROCPRIM_400000_NS6detail17trampoline_kernelINS0_14default_configENS1_25partition_config_selectorILNS1_17partition_subalgoE1EyNS0_10empty_typeEbEEZZNS1_14partition_implILS5_1ELb0ES3_jN6thrust23THRUST_200600_302600_NS6detail15normal_iteratorINSA_10device_ptrIyEEEEPS6_NSA_18transform_iteratorI7is_evenIyESF_NSA_11use_defaultESK_EENS0_5tupleIJSF_NSA_16discard_iteratorISK_EEEEENSM_IJSG_SG_EEES6_PlJS6_EEE10hipError_tPvRmT3_T4_T5_T6_T7_T9_mT8_P12ihipStream_tbDpT10_ENKUlT_T0_E_clISt17integral_constantIbLb0EES1B_EEDaS16_S17_EUlS16_E_NS1_11comp_targetILNS1_3genE0ELNS1_11target_archE4294967295ELNS1_3gpuE0ELNS1_3repE0EEENS1_30default_config_static_selectorELNS0_4arch9wavefront6targetE1EEEvT1_
    .private_segment_fixed_size: 0
    .sgpr_count:     6
    .sgpr_spill_count: 0
    .symbol:         _ZN7rocprim17ROCPRIM_400000_NS6detail17trampoline_kernelINS0_14default_configENS1_25partition_config_selectorILNS1_17partition_subalgoE1EyNS0_10empty_typeEbEEZZNS1_14partition_implILS5_1ELb0ES3_jN6thrust23THRUST_200600_302600_NS6detail15normal_iteratorINSA_10device_ptrIyEEEEPS6_NSA_18transform_iteratorI7is_evenIyESF_NSA_11use_defaultESK_EENS0_5tupleIJSF_NSA_16discard_iteratorISK_EEEEENSM_IJSG_SG_EEES6_PlJS6_EEE10hipError_tPvRmT3_T4_T5_T6_T7_T9_mT8_P12ihipStream_tbDpT10_ENKUlT_T0_E_clISt17integral_constantIbLb0EES1B_EEDaS16_S17_EUlS16_E_NS1_11comp_targetILNS1_3genE0ELNS1_11target_archE4294967295ELNS1_3gpuE0ELNS1_3repE0EEENS1_30default_config_static_selectorELNS0_4arch9wavefront6targetE1EEEvT1_.kd
    .uniform_work_group_size: 1
    .uses_dynamic_stack: false
    .vgpr_count:     0
    .vgpr_spill_count: 0
    .wavefront_size: 64
  - .agpr_count:     0
    .args:
      - .offset:         0
        .size:           136
        .value_kind:     by_value
    .group_segment_fixed_size: 28680
    .kernarg_segment_align: 8
    .kernarg_segment_size: 136
    .language:       OpenCL C
    .language_version:
      - 2
      - 0
    .max_flat_workgroup_size: 512
    .name:           _ZN7rocprim17ROCPRIM_400000_NS6detail17trampoline_kernelINS0_14default_configENS1_25partition_config_selectorILNS1_17partition_subalgoE1EyNS0_10empty_typeEbEEZZNS1_14partition_implILS5_1ELb0ES3_jN6thrust23THRUST_200600_302600_NS6detail15normal_iteratorINSA_10device_ptrIyEEEEPS6_NSA_18transform_iteratorI7is_evenIyESF_NSA_11use_defaultESK_EENS0_5tupleIJSF_NSA_16discard_iteratorISK_EEEEENSM_IJSG_SG_EEES6_PlJS6_EEE10hipError_tPvRmT3_T4_T5_T6_T7_T9_mT8_P12ihipStream_tbDpT10_ENKUlT_T0_E_clISt17integral_constantIbLb0EES1B_EEDaS16_S17_EUlS16_E_NS1_11comp_targetILNS1_3genE5ELNS1_11target_archE942ELNS1_3gpuE9ELNS1_3repE0EEENS1_30default_config_static_selectorELNS0_4arch9wavefront6targetE1EEEvT1_
    .private_segment_fixed_size: 0
    .sgpr_count:     46
    .sgpr_spill_count: 0
    .symbol:         _ZN7rocprim17ROCPRIM_400000_NS6detail17trampoline_kernelINS0_14default_configENS1_25partition_config_selectorILNS1_17partition_subalgoE1EyNS0_10empty_typeEbEEZZNS1_14partition_implILS5_1ELb0ES3_jN6thrust23THRUST_200600_302600_NS6detail15normal_iteratorINSA_10device_ptrIyEEEEPS6_NSA_18transform_iteratorI7is_evenIyESF_NSA_11use_defaultESK_EENS0_5tupleIJSF_NSA_16discard_iteratorISK_EEEEENSM_IJSG_SG_EEES6_PlJS6_EEE10hipError_tPvRmT3_T4_T5_T6_T7_T9_mT8_P12ihipStream_tbDpT10_ENKUlT_T0_E_clISt17integral_constantIbLb0EES1B_EEDaS16_S17_EUlS16_E_NS1_11comp_targetILNS1_3genE5ELNS1_11target_archE942ELNS1_3gpuE9ELNS1_3repE0EEENS1_30default_config_static_selectorELNS0_4arch9wavefront6targetE1EEEvT1_.kd
    .uniform_work_group_size: 1
    .uses_dynamic_stack: false
    .vgpr_count:     54
    .vgpr_spill_count: 0
    .wavefront_size: 64
  - .agpr_count:     0
    .args:
      - .offset:         0
        .size:           136
        .value_kind:     by_value
    .group_segment_fixed_size: 0
    .kernarg_segment_align: 8
    .kernarg_segment_size: 136
    .language:       OpenCL C
    .language_version:
      - 2
      - 0
    .max_flat_workgroup_size: 192
    .name:           _ZN7rocprim17ROCPRIM_400000_NS6detail17trampoline_kernelINS0_14default_configENS1_25partition_config_selectorILNS1_17partition_subalgoE1EyNS0_10empty_typeEbEEZZNS1_14partition_implILS5_1ELb0ES3_jN6thrust23THRUST_200600_302600_NS6detail15normal_iteratorINSA_10device_ptrIyEEEEPS6_NSA_18transform_iteratorI7is_evenIyESF_NSA_11use_defaultESK_EENS0_5tupleIJSF_NSA_16discard_iteratorISK_EEEEENSM_IJSG_SG_EEES6_PlJS6_EEE10hipError_tPvRmT3_T4_T5_T6_T7_T9_mT8_P12ihipStream_tbDpT10_ENKUlT_T0_E_clISt17integral_constantIbLb0EES1B_EEDaS16_S17_EUlS16_E_NS1_11comp_targetILNS1_3genE4ELNS1_11target_archE910ELNS1_3gpuE8ELNS1_3repE0EEENS1_30default_config_static_selectorELNS0_4arch9wavefront6targetE1EEEvT1_
    .private_segment_fixed_size: 0
    .sgpr_count:     6
    .sgpr_spill_count: 0
    .symbol:         _ZN7rocprim17ROCPRIM_400000_NS6detail17trampoline_kernelINS0_14default_configENS1_25partition_config_selectorILNS1_17partition_subalgoE1EyNS0_10empty_typeEbEEZZNS1_14partition_implILS5_1ELb0ES3_jN6thrust23THRUST_200600_302600_NS6detail15normal_iteratorINSA_10device_ptrIyEEEEPS6_NSA_18transform_iteratorI7is_evenIyESF_NSA_11use_defaultESK_EENS0_5tupleIJSF_NSA_16discard_iteratorISK_EEEEENSM_IJSG_SG_EEES6_PlJS6_EEE10hipError_tPvRmT3_T4_T5_T6_T7_T9_mT8_P12ihipStream_tbDpT10_ENKUlT_T0_E_clISt17integral_constantIbLb0EES1B_EEDaS16_S17_EUlS16_E_NS1_11comp_targetILNS1_3genE4ELNS1_11target_archE910ELNS1_3gpuE8ELNS1_3repE0EEENS1_30default_config_static_selectorELNS0_4arch9wavefront6targetE1EEEvT1_.kd
    .uniform_work_group_size: 1
    .uses_dynamic_stack: false
    .vgpr_count:     0
    .vgpr_spill_count: 0
    .wavefront_size: 64
  - .agpr_count:     0
    .args:
      - .offset:         0
        .size:           136
        .value_kind:     by_value
    .group_segment_fixed_size: 0
    .kernarg_segment_align: 8
    .kernarg_segment_size: 136
    .language:       OpenCL C
    .language_version:
      - 2
      - 0
    .max_flat_workgroup_size: 128
    .name:           _ZN7rocprim17ROCPRIM_400000_NS6detail17trampoline_kernelINS0_14default_configENS1_25partition_config_selectorILNS1_17partition_subalgoE1EyNS0_10empty_typeEbEEZZNS1_14partition_implILS5_1ELb0ES3_jN6thrust23THRUST_200600_302600_NS6detail15normal_iteratorINSA_10device_ptrIyEEEEPS6_NSA_18transform_iteratorI7is_evenIyESF_NSA_11use_defaultESK_EENS0_5tupleIJSF_NSA_16discard_iteratorISK_EEEEENSM_IJSG_SG_EEES6_PlJS6_EEE10hipError_tPvRmT3_T4_T5_T6_T7_T9_mT8_P12ihipStream_tbDpT10_ENKUlT_T0_E_clISt17integral_constantIbLb0EES1B_EEDaS16_S17_EUlS16_E_NS1_11comp_targetILNS1_3genE3ELNS1_11target_archE908ELNS1_3gpuE7ELNS1_3repE0EEENS1_30default_config_static_selectorELNS0_4arch9wavefront6targetE1EEEvT1_
    .private_segment_fixed_size: 0
    .sgpr_count:     6
    .sgpr_spill_count: 0
    .symbol:         _ZN7rocprim17ROCPRIM_400000_NS6detail17trampoline_kernelINS0_14default_configENS1_25partition_config_selectorILNS1_17partition_subalgoE1EyNS0_10empty_typeEbEEZZNS1_14partition_implILS5_1ELb0ES3_jN6thrust23THRUST_200600_302600_NS6detail15normal_iteratorINSA_10device_ptrIyEEEEPS6_NSA_18transform_iteratorI7is_evenIyESF_NSA_11use_defaultESK_EENS0_5tupleIJSF_NSA_16discard_iteratorISK_EEEEENSM_IJSG_SG_EEES6_PlJS6_EEE10hipError_tPvRmT3_T4_T5_T6_T7_T9_mT8_P12ihipStream_tbDpT10_ENKUlT_T0_E_clISt17integral_constantIbLb0EES1B_EEDaS16_S17_EUlS16_E_NS1_11comp_targetILNS1_3genE3ELNS1_11target_archE908ELNS1_3gpuE7ELNS1_3repE0EEENS1_30default_config_static_selectorELNS0_4arch9wavefront6targetE1EEEvT1_.kd
    .uniform_work_group_size: 1
    .uses_dynamic_stack: false
    .vgpr_count:     0
    .vgpr_spill_count: 0
    .wavefront_size: 64
  - .agpr_count:     0
    .args:
      - .offset:         0
        .size:           136
        .value_kind:     by_value
    .group_segment_fixed_size: 0
    .kernarg_segment_align: 8
    .kernarg_segment_size: 136
    .language:       OpenCL C
    .language_version:
      - 2
      - 0
    .max_flat_workgroup_size: 256
    .name:           _ZN7rocprim17ROCPRIM_400000_NS6detail17trampoline_kernelINS0_14default_configENS1_25partition_config_selectorILNS1_17partition_subalgoE1EyNS0_10empty_typeEbEEZZNS1_14partition_implILS5_1ELb0ES3_jN6thrust23THRUST_200600_302600_NS6detail15normal_iteratorINSA_10device_ptrIyEEEEPS6_NSA_18transform_iteratorI7is_evenIyESF_NSA_11use_defaultESK_EENS0_5tupleIJSF_NSA_16discard_iteratorISK_EEEEENSM_IJSG_SG_EEES6_PlJS6_EEE10hipError_tPvRmT3_T4_T5_T6_T7_T9_mT8_P12ihipStream_tbDpT10_ENKUlT_T0_E_clISt17integral_constantIbLb0EES1B_EEDaS16_S17_EUlS16_E_NS1_11comp_targetILNS1_3genE2ELNS1_11target_archE906ELNS1_3gpuE6ELNS1_3repE0EEENS1_30default_config_static_selectorELNS0_4arch9wavefront6targetE1EEEvT1_
    .private_segment_fixed_size: 0
    .sgpr_count:     6
    .sgpr_spill_count: 0
    .symbol:         _ZN7rocprim17ROCPRIM_400000_NS6detail17trampoline_kernelINS0_14default_configENS1_25partition_config_selectorILNS1_17partition_subalgoE1EyNS0_10empty_typeEbEEZZNS1_14partition_implILS5_1ELb0ES3_jN6thrust23THRUST_200600_302600_NS6detail15normal_iteratorINSA_10device_ptrIyEEEEPS6_NSA_18transform_iteratorI7is_evenIyESF_NSA_11use_defaultESK_EENS0_5tupleIJSF_NSA_16discard_iteratorISK_EEEEENSM_IJSG_SG_EEES6_PlJS6_EEE10hipError_tPvRmT3_T4_T5_T6_T7_T9_mT8_P12ihipStream_tbDpT10_ENKUlT_T0_E_clISt17integral_constantIbLb0EES1B_EEDaS16_S17_EUlS16_E_NS1_11comp_targetILNS1_3genE2ELNS1_11target_archE906ELNS1_3gpuE6ELNS1_3repE0EEENS1_30default_config_static_selectorELNS0_4arch9wavefront6targetE1EEEvT1_.kd
    .uniform_work_group_size: 1
    .uses_dynamic_stack: false
    .vgpr_count:     0
    .vgpr_spill_count: 0
    .wavefront_size: 64
  - .agpr_count:     0
    .args:
      - .offset:         0
        .size:           136
        .value_kind:     by_value
    .group_segment_fixed_size: 0
    .kernarg_segment_align: 8
    .kernarg_segment_size: 136
    .language:       OpenCL C
    .language_version:
      - 2
      - 0
    .max_flat_workgroup_size: 256
    .name:           _ZN7rocprim17ROCPRIM_400000_NS6detail17trampoline_kernelINS0_14default_configENS1_25partition_config_selectorILNS1_17partition_subalgoE1EyNS0_10empty_typeEbEEZZNS1_14partition_implILS5_1ELb0ES3_jN6thrust23THRUST_200600_302600_NS6detail15normal_iteratorINSA_10device_ptrIyEEEEPS6_NSA_18transform_iteratorI7is_evenIyESF_NSA_11use_defaultESK_EENS0_5tupleIJSF_NSA_16discard_iteratorISK_EEEEENSM_IJSG_SG_EEES6_PlJS6_EEE10hipError_tPvRmT3_T4_T5_T6_T7_T9_mT8_P12ihipStream_tbDpT10_ENKUlT_T0_E_clISt17integral_constantIbLb0EES1B_EEDaS16_S17_EUlS16_E_NS1_11comp_targetILNS1_3genE10ELNS1_11target_archE1200ELNS1_3gpuE4ELNS1_3repE0EEENS1_30default_config_static_selectorELNS0_4arch9wavefront6targetE1EEEvT1_
    .private_segment_fixed_size: 0
    .sgpr_count:     6
    .sgpr_spill_count: 0
    .symbol:         _ZN7rocprim17ROCPRIM_400000_NS6detail17trampoline_kernelINS0_14default_configENS1_25partition_config_selectorILNS1_17partition_subalgoE1EyNS0_10empty_typeEbEEZZNS1_14partition_implILS5_1ELb0ES3_jN6thrust23THRUST_200600_302600_NS6detail15normal_iteratorINSA_10device_ptrIyEEEEPS6_NSA_18transform_iteratorI7is_evenIyESF_NSA_11use_defaultESK_EENS0_5tupleIJSF_NSA_16discard_iteratorISK_EEEEENSM_IJSG_SG_EEES6_PlJS6_EEE10hipError_tPvRmT3_T4_T5_T6_T7_T9_mT8_P12ihipStream_tbDpT10_ENKUlT_T0_E_clISt17integral_constantIbLb0EES1B_EEDaS16_S17_EUlS16_E_NS1_11comp_targetILNS1_3genE10ELNS1_11target_archE1200ELNS1_3gpuE4ELNS1_3repE0EEENS1_30default_config_static_selectorELNS0_4arch9wavefront6targetE1EEEvT1_.kd
    .uniform_work_group_size: 1
    .uses_dynamic_stack: false
    .vgpr_count:     0
    .vgpr_spill_count: 0
    .wavefront_size: 64
  - .agpr_count:     0
    .args:
      - .offset:         0
        .size:           136
        .value_kind:     by_value
    .group_segment_fixed_size: 0
    .kernarg_segment_align: 8
    .kernarg_segment_size: 136
    .language:       OpenCL C
    .language_version:
      - 2
      - 0
    .max_flat_workgroup_size: 128
    .name:           _ZN7rocprim17ROCPRIM_400000_NS6detail17trampoline_kernelINS0_14default_configENS1_25partition_config_selectorILNS1_17partition_subalgoE1EyNS0_10empty_typeEbEEZZNS1_14partition_implILS5_1ELb0ES3_jN6thrust23THRUST_200600_302600_NS6detail15normal_iteratorINSA_10device_ptrIyEEEEPS6_NSA_18transform_iteratorI7is_evenIyESF_NSA_11use_defaultESK_EENS0_5tupleIJSF_NSA_16discard_iteratorISK_EEEEENSM_IJSG_SG_EEES6_PlJS6_EEE10hipError_tPvRmT3_T4_T5_T6_T7_T9_mT8_P12ihipStream_tbDpT10_ENKUlT_T0_E_clISt17integral_constantIbLb0EES1B_EEDaS16_S17_EUlS16_E_NS1_11comp_targetILNS1_3genE9ELNS1_11target_archE1100ELNS1_3gpuE3ELNS1_3repE0EEENS1_30default_config_static_selectorELNS0_4arch9wavefront6targetE1EEEvT1_
    .private_segment_fixed_size: 0
    .sgpr_count:     6
    .sgpr_spill_count: 0
    .symbol:         _ZN7rocprim17ROCPRIM_400000_NS6detail17trampoline_kernelINS0_14default_configENS1_25partition_config_selectorILNS1_17partition_subalgoE1EyNS0_10empty_typeEbEEZZNS1_14partition_implILS5_1ELb0ES3_jN6thrust23THRUST_200600_302600_NS6detail15normal_iteratorINSA_10device_ptrIyEEEEPS6_NSA_18transform_iteratorI7is_evenIyESF_NSA_11use_defaultESK_EENS0_5tupleIJSF_NSA_16discard_iteratorISK_EEEEENSM_IJSG_SG_EEES6_PlJS6_EEE10hipError_tPvRmT3_T4_T5_T6_T7_T9_mT8_P12ihipStream_tbDpT10_ENKUlT_T0_E_clISt17integral_constantIbLb0EES1B_EEDaS16_S17_EUlS16_E_NS1_11comp_targetILNS1_3genE9ELNS1_11target_archE1100ELNS1_3gpuE3ELNS1_3repE0EEENS1_30default_config_static_selectorELNS0_4arch9wavefront6targetE1EEEvT1_.kd
    .uniform_work_group_size: 1
    .uses_dynamic_stack: false
    .vgpr_count:     0
    .vgpr_spill_count: 0
    .wavefront_size: 64
  - .agpr_count:     0
    .args:
      - .offset:         0
        .size:           136
        .value_kind:     by_value
    .group_segment_fixed_size: 0
    .kernarg_segment_align: 8
    .kernarg_segment_size: 136
    .language:       OpenCL C
    .language_version:
      - 2
      - 0
    .max_flat_workgroup_size: 512
    .name:           _ZN7rocprim17ROCPRIM_400000_NS6detail17trampoline_kernelINS0_14default_configENS1_25partition_config_selectorILNS1_17partition_subalgoE1EyNS0_10empty_typeEbEEZZNS1_14partition_implILS5_1ELb0ES3_jN6thrust23THRUST_200600_302600_NS6detail15normal_iteratorINSA_10device_ptrIyEEEEPS6_NSA_18transform_iteratorI7is_evenIyESF_NSA_11use_defaultESK_EENS0_5tupleIJSF_NSA_16discard_iteratorISK_EEEEENSM_IJSG_SG_EEES6_PlJS6_EEE10hipError_tPvRmT3_T4_T5_T6_T7_T9_mT8_P12ihipStream_tbDpT10_ENKUlT_T0_E_clISt17integral_constantIbLb0EES1B_EEDaS16_S17_EUlS16_E_NS1_11comp_targetILNS1_3genE8ELNS1_11target_archE1030ELNS1_3gpuE2ELNS1_3repE0EEENS1_30default_config_static_selectorELNS0_4arch9wavefront6targetE1EEEvT1_
    .private_segment_fixed_size: 0
    .sgpr_count:     6
    .sgpr_spill_count: 0
    .symbol:         _ZN7rocprim17ROCPRIM_400000_NS6detail17trampoline_kernelINS0_14default_configENS1_25partition_config_selectorILNS1_17partition_subalgoE1EyNS0_10empty_typeEbEEZZNS1_14partition_implILS5_1ELb0ES3_jN6thrust23THRUST_200600_302600_NS6detail15normal_iteratorINSA_10device_ptrIyEEEEPS6_NSA_18transform_iteratorI7is_evenIyESF_NSA_11use_defaultESK_EENS0_5tupleIJSF_NSA_16discard_iteratorISK_EEEEENSM_IJSG_SG_EEES6_PlJS6_EEE10hipError_tPvRmT3_T4_T5_T6_T7_T9_mT8_P12ihipStream_tbDpT10_ENKUlT_T0_E_clISt17integral_constantIbLb0EES1B_EEDaS16_S17_EUlS16_E_NS1_11comp_targetILNS1_3genE8ELNS1_11target_archE1030ELNS1_3gpuE2ELNS1_3repE0EEENS1_30default_config_static_selectorELNS0_4arch9wavefront6targetE1EEEvT1_.kd
    .uniform_work_group_size: 1
    .uses_dynamic_stack: false
    .vgpr_count:     0
    .vgpr_spill_count: 0
    .wavefront_size: 64
  - .agpr_count:     0
    .args:
      - .offset:         0
        .size:           152
        .value_kind:     by_value
    .group_segment_fixed_size: 0
    .kernarg_segment_align: 8
    .kernarg_segment_size: 152
    .language:       OpenCL C
    .language_version:
      - 2
      - 0
    .max_flat_workgroup_size: 128
    .name:           _ZN7rocprim17ROCPRIM_400000_NS6detail17trampoline_kernelINS0_14default_configENS1_25partition_config_selectorILNS1_17partition_subalgoE1EyNS0_10empty_typeEbEEZZNS1_14partition_implILS5_1ELb0ES3_jN6thrust23THRUST_200600_302600_NS6detail15normal_iteratorINSA_10device_ptrIyEEEEPS6_NSA_18transform_iteratorI7is_evenIyESF_NSA_11use_defaultESK_EENS0_5tupleIJSF_NSA_16discard_iteratorISK_EEEEENSM_IJSG_SG_EEES6_PlJS6_EEE10hipError_tPvRmT3_T4_T5_T6_T7_T9_mT8_P12ihipStream_tbDpT10_ENKUlT_T0_E_clISt17integral_constantIbLb1EES1B_EEDaS16_S17_EUlS16_E_NS1_11comp_targetILNS1_3genE0ELNS1_11target_archE4294967295ELNS1_3gpuE0ELNS1_3repE0EEENS1_30default_config_static_selectorELNS0_4arch9wavefront6targetE1EEEvT1_
    .private_segment_fixed_size: 0
    .sgpr_count:     6
    .sgpr_spill_count: 0
    .symbol:         _ZN7rocprim17ROCPRIM_400000_NS6detail17trampoline_kernelINS0_14default_configENS1_25partition_config_selectorILNS1_17partition_subalgoE1EyNS0_10empty_typeEbEEZZNS1_14partition_implILS5_1ELb0ES3_jN6thrust23THRUST_200600_302600_NS6detail15normal_iteratorINSA_10device_ptrIyEEEEPS6_NSA_18transform_iteratorI7is_evenIyESF_NSA_11use_defaultESK_EENS0_5tupleIJSF_NSA_16discard_iteratorISK_EEEEENSM_IJSG_SG_EEES6_PlJS6_EEE10hipError_tPvRmT3_T4_T5_T6_T7_T9_mT8_P12ihipStream_tbDpT10_ENKUlT_T0_E_clISt17integral_constantIbLb1EES1B_EEDaS16_S17_EUlS16_E_NS1_11comp_targetILNS1_3genE0ELNS1_11target_archE4294967295ELNS1_3gpuE0ELNS1_3repE0EEENS1_30default_config_static_selectorELNS0_4arch9wavefront6targetE1EEEvT1_.kd
    .uniform_work_group_size: 1
    .uses_dynamic_stack: false
    .vgpr_count:     0
    .vgpr_spill_count: 0
    .wavefront_size: 64
  - .agpr_count:     0
    .args:
      - .offset:         0
        .size:           152
        .value_kind:     by_value
    .group_segment_fixed_size: 28680
    .kernarg_segment_align: 8
    .kernarg_segment_size: 152
    .language:       OpenCL C
    .language_version:
      - 2
      - 0
    .max_flat_workgroup_size: 512
    .name:           _ZN7rocprim17ROCPRIM_400000_NS6detail17trampoline_kernelINS0_14default_configENS1_25partition_config_selectorILNS1_17partition_subalgoE1EyNS0_10empty_typeEbEEZZNS1_14partition_implILS5_1ELb0ES3_jN6thrust23THRUST_200600_302600_NS6detail15normal_iteratorINSA_10device_ptrIyEEEEPS6_NSA_18transform_iteratorI7is_evenIyESF_NSA_11use_defaultESK_EENS0_5tupleIJSF_NSA_16discard_iteratorISK_EEEEENSM_IJSG_SG_EEES6_PlJS6_EEE10hipError_tPvRmT3_T4_T5_T6_T7_T9_mT8_P12ihipStream_tbDpT10_ENKUlT_T0_E_clISt17integral_constantIbLb1EES1B_EEDaS16_S17_EUlS16_E_NS1_11comp_targetILNS1_3genE5ELNS1_11target_archE942ELNS1_3gpuE9ELNS1_3repE0EEENS1_30default_config_static_selectorELNS0_4arch9wavefront6targetE1EEEvT1_
    .private_segment_fixed_size: 0
    .sgpr_count:     46
    .sgpr_spill_count: 0
    .symbol:         _ZN7rocprim17ROCPRIM_400000_NS6detail17trampoline_kernelINS0_14default_configENS1_25partition_config_selectorILNS1_17partition_subalgoE1EyNS0_10empty_typeEbEEZZNS1_14partition_implILS5_1ELb0ES3_jN6thrust23THRUST_200600_302600_NS6detail15normal_iteratorINSA_10device_ptrIyEEEEPS6_NSA_18transform_iteratorI7is_evenIyESF_NSA_11use_defaultESK_EENS0_5tupleIJSF_NSA_16discard_iteratorISK_EEEEENSM_IJSG_SG_EEES6_PlJS6_EEE10hipError_tPvRmT3_T4_T5_T6_T7_T9_mT8_P12ihipStream_tbDpT10_ENKUlT_T0_E_clISt17integral_constantIbLb1EES1B_EEDaS16_S17_EUlS16_E_NS1_11comp_targetILNS1_3genE5ELNS1_11target_archE942ELNS1_3gpuE9ELNS1_3repE0EEENS1_30default_config_static_selectorELNS0_4arch9wavefront6targetE1EEEvT1_.kd
    .uniform_work_group_size: 1
    .uses_dynamic_stack: false
    .vgpr_count:     56
    .vgpr_spill_count: 0
    .wavefront_size: 64
  - .agpr_count:     0
    .args:
      - .offset:         0
        .size:           152
        .value_kind:     by_value
    .group_segment_fixed_size: 0
    .kernarg_segment_align: 8
    .kernarg_segment_size: 152
    .language:       OpenCL C
    .language_version:
      - 2
      - 0
    .max_flat_workgroup_size: 192
    .name:           _ZN7rocprim17ROCPRIM_400000_NS6detail17trampoline_kernelINS0_14default_configENS1_25partition_config_selectorILNS1_17partition_subalgoE1EyNS0_10empty_typeEbEEZZNS1_14partition_implILS5_1ELb0ES3_jN6thrust23THRUST_200600_302600_NS6detail15normal_iteratorINSA_10device_ptrIyEEEEPS6_NSA_18transform_iteratorI7is_evenIyESF_NSA_11use_defaultESK_EENS0_5tupleIJSF_NSA_16discard_iteratorISK_EEEEENSM_IJSG_SG_EEES6_PlJS6_EEE10hipError_tPvRmT3_T4_T5_T6_T7_T9_mT8_P12ihipStream_tbDpT10_ENKUlT_T0_E_clISt17integral_constantIbLb1EES1B_EEDaS16_S17_EUlS16_E_NS1_11comp_targetILNS1_3genE4ELNS1_11target_archE910ELNS1_3gpuE8ELNS1_3repE0EEENS1_30default_config_static_selectorELNS0_4arch9wavefront6targetE1EEEvT1_
    .private_segment_fixed_size: 0
    .sgpr_count:     6
    .sgpr_spill_count: 0
    .symbol:         _ZN7rocprim17ROCPRIM_400000_NS6detail17trampoline_kernelINS0_14default_configENS1_25partition_config_selectorILNS1_17partition_subalgoE1EyNS0_10empty_typeEbEEZZNS1_14partition_implILS5_1ELb0ES3_jN6thrust23THRUST_200600_302600_NS6detail15normal_iteratorINSA_10device_ptrIyEEEEPS6_NSA_18transform_iteratorI7is_evenIyESF_NSA_11use_defaultESK_EENS0_5tupleIJSF_NSA_16discard_iteratorISK_EEEEENSM_IJSG_SG_EEES6_PlJS6_EEE10hipError_tPvRmT3_T4_T5_T6_T7_T9_mT8_P12ihipStream_tbDpT10_ENKUlT_T0_E_clISt17integral_constantIbLb1EES1B_EEDaS16_S17_EUlS16_E_NS1_11comp_targetILNS1_3genE4ELNS1_11target_archE910ELNS1_3gpuE8ELNS1_3repE0EEENS1_30default_config_static_selectorELNS0_4arch9wavefront6targetE1EEEvT1_.kd
    .uniform_work_group_size: 1
    .uses_dynamic_stack: false
    .vgpr_count:     0
    .vgpr_spill_count: 0
    .wavefront_size: 64
  - .agpr_count:     0
    .args:
      - .offset:         0
        .size:           152
        .value_kind:     by_value
    .group_segment_fixed_size: 0
    .kernarg_segment_align: 8
    .kernarg_segment_size: 152
    .language:       OpenCL C
    .language_version:
      - 2
      - 0
    .max_flat_workgroup_size: 128
    .name:           _ZN7rocprim17ROCPRIM_400000_NS6detail17trampoline_kernelINS0_14default_configENS1_25partition_config_selectorILNS1_17partition_subalgoE1EyNS0_10empty_typeEbEEZZNS1_14partition_implILS5_1ELb0ES3_jN6thrust23THRUST_200600_302600_NS6detail15normal_iteratorINSA_10device_ptrIyEEEEPS6_NSA_18transform_iteratorI7is_evenIyESF_NSA_11use_defaultESK_EENS0_5tupleIJSF_NSA_16discard_iteratorISK_EEEEENSM_IJSG_SG_EEES6_PlJS6_EEE10hipError_tPvRmT3_T4_T5_T6_T7_T9_mT8_P12ihipStream_tbDpT10_ENKUlT_T0_E_clISt17integral_constantIbLb1EES1B_EEDaS16_S17_EUlS16_E_NS1_11comp_targetILNS1_3genE3ELNS1_11target_archE908ELNS1_3gpuE7ELNS1_3repE0EEENS1_30default_config_static_selectorELNS0_4arch9wavefront6targetE1EEEvT1_
    .private_segment_fixed_size: 0
    .sgpr_count:     6
    .sgpr_spill_count: 0
    .symbol:         _ZN7rocprim17ROCPRIM_400000_NS6detail17trampoline_kernelINS0_14default_configENS1_25partition_config_selectorILNS1_17partition_subalgoE1EyNS0_10empty_typeEbEEZZNS1_14partition_implILS5_1ELb0ES3_jN6thrust23THRUST_200600_302600_NS6detail15normal_iteratorINSA_10device_ptrIyEEEEPS6_NSA_18transform_iteratorI7is_evenIyESF_NSA_11use_defaultESK_EENS0_5tupleIJSF_NSA_16discard_iteratorISK_EEEEENSM_IJSG_SG_EEES6_PlJS6_EEE10hipError_tPvRmT3_T4_T5_T6_T7_T9_mT8_P12ihipStream_tbDpT10_ENKUlT_T0_E_clISt17integral_constantIbLb1EES1B_EEDaS16_S17_EUlS16_E_NS1_11comp_targetILNS1_3genE3ELNS1_11target_archE908ELNS1_3gpuE7ELNS1_3repE0EEENS1_30default_config_static_selectorELNS0_4arch9wavefront6targetE1EEEvT1_.kd
    .uniform_work_group_size: 1
    .uses_dynamic_stack: false
    .vgpr_count:     0
    .vgpr_spill_count: 0
    .wavefront_size: 64
  - .agpr_count:     0
    .args:
      - .offset:         0
        .size:           152
        .value_kind:     by_value
    .group_segment_fixed_size: 0
    .kernarg_segment_align: 8
    .kernarg_segment_size: 152
    .language:       OpenCL C
    .language_version:
      - 2
      - 0
    .max_flat_workgroup_size: 256
    .name:           _ZN7rocprim17ROCPRIM_400000_NS6detail17trampoline_kernelINS0_14default_configENS1_25partition_config_selectorILNS1_17partition_subalgoE1EyNS0_10empty_typeEbEEZZNS1_14partition_implILS5_1ELb0ES3_jN6thrust23THRUST_200600_302600_NS6detail15normal_iteratorINSA_10device_ptrIyEEEEPS6_NSA_18transform_iteratorI7is_evenIyESF_NSA_11use_defaultESK_EENS0_5tupleIJSF_NSA_16discard_iteratorISK_EEEEENSM_IJSG_SG_EEES6_PlJS6_EEE10hipError_tPvRmT3_T4_T5_T6_T7_T9_mT8_P12ihipStream_tbDpT10_ENKUlT_T0_E_clISt17integral_constantIbLb1EES1B_EEDaS16_S17_EUlS16_E_NS1_11comp_targetILNS1_3genE2ELNS1_11target_archE906ELNS1_3gpuE6ELNS1_3repE0EEENS1_30default_config_static_selectorELNS0_4arch9wavefront6targetE1EEEvT1_
    .private_segment_fixed_size: 0
    .sgpr_count:     6
    .sgpr_spill_count: 0
    .symbol:         _ZN7rocprim17ROCPRIM_400000_NS6detail17trampoline_kernelINS0_14default_configENS1_25partition_config_selectorILNS1_17partition_subalgoE1EyNS0_10empty_typeEbEEZZNS1_14partition_implILS5_1ELb0ES3_jN6thrust23THRUST_200600_302600_NS6detail15normal_iteratorINSA_10device_ptrIyEEEEPS6_NSA_18transform_iteratorI7is_evenIyESF_NSA_11use_defaultESK_EENS0_5tupleIJSF_NSA_16discard_iteratorISK_EEEEENSM_IJSG_SG_EEES6_PlJS6_EEE10hipError_tPvRmT3_T4_T5_T6_T7_T9_mT8_P12ihipStream_tbDpT10_ENKUlT_T0_E_clISt17integral_constantIbLb1EES1B_EEDaS16_S17_EUlS16_E_NS1_11comp_targetILNS1_3genE2ELNS1_11target_archE906ELNS1_3gpuE6ELNS1_3repE0EEENS1_30default_config_static_selectorELNS0_4arch9wavefront6targetE1EEEvT1_.kd
    .uniform_work_group_size: 1
    .uses_dynamic_stack: false
    .vgpr_count:     0
    .vgpr_spill_count: 0
    .wavefront_size: 64
  - .agpr_count:     0
    .args:
      - .offset:         0
        .size:           152
        .value_kind:     by_value
    .group_segment_fixed_size: 0
    .kernarg_segment_align: 8
    .kernarg_segment_size: 152
    .language:       OpenCL C
    .language_version:
      - 2
      - 0
    .max_flat_workgroup_size: 256
    .name:           _ZN7rocprim17ROCPRIM_400000_NS6detail17trampoline_kernelINS0_14default_configENS1_25partition_config_selectorILNS1_17partition_subalgoE1EyNS0_10empty_typeEbEEZZNS1_14partition_implILS5_1ELb0ES3_jN6thrust23THRUST_200600_302600_NS6detail15normal_iteratorINSA_10device_ptrIyEEEEPS6_NSA_18transform_iteratorI7is_evenIyESF_NSA_11use_defaultESK_EENS0_5tupleIJSF_NSA_16discard_iteratorISK_EEEEENSM_IJSG_SG_EEES6_PlJS6_EEE10hipError_tPvRmT3_T4_T5_T6_T7_T9_mT8_P12ihipStream_tbDpT10_ENKUlT_T0_E_clISt17integral_constantIbLb1EES1B_EEDaS16_S17_EUlS16_E_NS1_11comp_targetILNS1_3genE10ELNS1_11target_archE1200ELNS1_3gpuE4ELNS1_3repE0EEENS1_30default_config_static_selectorELNS0_4arch9wavefront6targetE1EEEvT1_
    .private_segment_fixed_size: 0
    .sgpr_count:     6
    .sgpr_spill_count: 0
    .symbol:         _ZN7rocprim17ROCPRIM_400000_NS6detail17trampoline_kernelINS0_14default_configENS1_25partition_config_selectorILNS1_17partition_subalgoE1EyNS0_10empty_typeEbEEZZNS1_14partition_implILS5_1ELb0ES3_jN6thrust23THRUST_200600_302600_NS6detail15normal_iteratorINSA_10device_ptrIyEEEEPS6_NSA_18transform_iteratorI7is_evenIyESF_NSA_11use_defaultESK_EENS0_5tupleIJSF_NSA_16discard_iteratorISK_EEEEENSM_IJSG_SG_EEES6_PlJS6_EEE10hipError_tPvRmT3_T4_T5_T6_T7_T9_mT8_P12ihipStream_tbDpT10_ENKUlT_T0_E_clISt17integral_constantIbLb1EES1B_EEDaS16_S17_EUlS16_E_NS1_11comp_targetILNS1_3genE10ELNS1_11target_archE1200ELNS1_3gpuE4ELNS1_3repE0EEENS1_30default_config_static_selectorELNS0_4arch9wavefront6targetE1EEEvT1_.kd
    .uniform_work_group_size: 1
    .uses_dynamic_stack: false
    .vgpr_count:     0
    .vgpr_spill_count: 0
    .wavefront_size: 64
  - .agpr_count:     0
    .args:
      - .offset:         0
        .size:           152
        .value_kind:     by_value
    .group_segment_fixed_size: 0
    .kernarg_segment_align: 8
    .kernarg_segment_size: 152
    .language:       OpenCL C
    .language_version:
      - 2
      - 0
    .max_flat_workgroup_size: 128
    .name:           _ZN7rocprim17ROCPRIM_400000_NS6detail17trampoline_kernelINS0_14default_configENS1_25partition_config_selectorILNS1_17partition_subalgoE1EyNS0_10empty_typeEbEEZZNS1_14partition_implILS5_1ELb0ES3_jN6thrust23THRUST_200600_302600_NS6detail15normal_iteratorINSA_10device_ptrIyEEEEPS6_NSA_18transform_iteratorI7is_evenIyESF_NSA_11use_defaultESK_EENS0_5tupleIJSF_NSA_16discard_iteratorISK_EEEEENSM_IJSG_SG_EEES6_PlJS6_EEE10hipError_tPvRmT3_T4_T5_T6_T7_T9_mT8_P12ihipStream_tbDpT10_ENKUlT_T0_E_clISt17integral_constantIbLb1EES1B_EEDaS16_S17_EUlS16_E_NS1_11comp_targetILNS1_3genE9ELNS1_11target_archE1100ELNS1_3gpuE3ELNS1_3repE0EEENS1_30default_config_static_selectorELNS0_4arch9wavefront6targetE1EEEvT1_
    .private_segment_fixed_size: 0
    .sgpr_count:     6
    .sgpr_spill_count: 0
    .symbol:         _ZN7rocprim17ROCPRIM_400000_NS6detail17trampoline_kernelINS0_14default_configENS1_25partition_config_selectorILNS1_17partition_subalgoE1EyNS0_10empty_typeEbEEZZNS1_14partition_implILS5_1ELb0ES3_jN6thrust23THRUST_200600_302600_NS6detail15normal_iteratorINSA_10device_ptrIyEEEEPS6_NSA_18transform_iteratorI7is_evenIyESF_NSA_11use_defaultESK_EENS0_5tupleIJSF_NSA_16discard_iteratorISK_EEEEENSM_IJSG_SG_EEES6_PlJS6_EEE10hipError_tPvRmT3_T4_T5_T6_T7_T9_mT8_P12ihipStream_tbDpT10_ENKUlT_T0_E_clISt17integral_constantIbLb1EES1B_EEDaS16_S17_EUlS16_E_NS1_11comp_targetILNS1_3genE9ELNS1_11target_archE1100ELNS1_3gpuE3ELNS1_3repE0EEENS1_30default_config_static_selectorELNS0_4arch9wavefront6targetE1EEEvT1_.kd
    .uniform_work_group_size: 1
    .uses_dynamic_stack: false
    .vgpr_count:     0
    .vgpr_spill_count: 0
    .wavefront_size: 64
  - .agpr_count:     0
    .args:
      - .offset:         0
        .size:           152
        .value_kind:     by_value
    .group_segment_fixed_size: 0
    .kernarg_segment_align: 8
    .kernarg_segment_size: 152
    .language:       OpenCL C
    .language_version:
      - 2
      - 0
    .max_flat_workgroup_size: 512
    .name:           _ZN7rocprim17ROCPRIM_400000_NS6detail17trampoline_kernelINS0_14default_configENS1_25partition_config_selectorILNS1_17partition_subalgoE1EyNS0_10empty_typeEbEEZZNS1_14partition_implILS5_1ELb0ES3_jN6thrust23THRUST_200600_302600_NS6detail15normal_iteratorINSA_10device_ptrIyEEEEPS6_NSA_18transform_iteratorI7is_evenIyESF_NSA_11use_defaultESK_EENS0_5tupleIJSF_NSA_16discard_iteratorISK_EEEEENSM_IJSG_SG_EEES6_PlJS6_EEE10hipError_tPvRmT3_T4_T5_T6_T7_T9_mT8_P12ihipStream_tbDpT10_ENKUlT_T0_E_clISt17integral_constantIbLb1EES1B_EEDaS16_S17_EUlS16_E_NS1_11comp_targetILNS1_3genE8ELNS1_11target_archE1030ELNS1_3gpuE2ELNS1_3repE0EEENS1_30default_config_static_selectorELNS0_4arch9wavefront6targetE1EEEvT1_
    .private_segment_fixed_size: 0
    .sgpr_count:     6
    .sgpr_spill_count: 0
    .symbol:         _ZN7rocprim17ROCPRIM_400000_NS6detail17trampoline_kernelINS0_14default_configENS1_25partition_config_selectorILNS1_17partition_subalgoE1EyNS0_10empty_typeEbEEZZNS1_14partition_implILS5_1ELb0ES3_jN6thrust23THRUST_200600_302600_NS6detail15normal_iteratorINSA_10device_ptrIyEEEEPS6_NSA_18transform_iteratorI7is_evenIyESF_NSA_11use_defaultESK_EENS0_5tupleIJSF_NSA_16discard_iteratorISK_EEEEENSM_IJSG_SG_EEES6_PlJS6_EEE10hipError_tPvRmT3_T4_T5_T6_T7_T9_mT8_P12ihipStream_tbDpT10_ENKUlT_T0_E_clISt17integral_constantIbLb1EES1B_EEDaS16_S17_EUlS16_E_NS1_11comp_targetILNS1_3genE8ELNS1_11target_archE1030ELNS1_3gpuE2ELNS1_3repE0EEENS1_30default_config_static_selectorELNS0_4arch9wavefront6targetE1EEEvT1_.kd
    .uniform_work_group_size: 1
    .uses_dynamic_stack: false
    .vgpr_count:     0
    .vgpr_spill_count: 0
    .wavefront_size: 64
  - .agpr_count:     0
    .args:
      - .offset:         0
        .size:           136
        .value_kind:     by_value
    .group_segment_fixed_size: 0
    .kernarg_segment_align: 8
    .kernarg_segment_size: 136
    .language:       OpenCL C
    .language_version:
      - 2
      - 0
    .max_flat_workgroup_size: 128
    .name:           _ZN7rocprim17ROCPRIM_400000_NS6detail17trampoline_kernelINS0_14default_configENS1_25partition_config_selectorILNS1_17partition_subalgoE1EyNS0_10empty_typeEbEEZZNS1_14partition_implILS5_1ELb0ES3_jN6thrust23THRUST_200600_302600_NS6detail15normal_iteratorINSA_10device_ptrIyEEEEPS6_NSA_18transform_iteratorI7is_evenIyESF_NSA_11use_defaultESK_EENS0_5tupleIJSF_NSA_16discard_iteratorISK_EEEEENSM_IJSG_SG_EEES6_PlJS6_EEE10hipError_tPvRmT3_T4_T5_T6_T7_T9_mT8_P12ihipStream_tbDpT10_ENKUlT_T0_E_clISt17integral_constantIbLb1EES1A_IbLb0EEEEDaS16_S17_EUlS16_E_NS1_11comp_targetILNS1_3genE0ELNS1_11target_archE4294967295ELNS1_3gpuE0ELNS1_3repE0EEENS1_30default_config_static_selectorELNS0_4arch9wavefront6targetE1EEEvT1_
    .private_segment_fixed_size: 0
    .sgpr_count:     6
    .sgpr_spill_count: 0
    .symbol:         _ZN7rocprim17ROCPRIM_400000_NS6detail17trampoline_kernelINS0_14default_configENS1_25partition_config_selectorILNS1_17partition_subalgoE1EyNS0_10empty_typeEbEEZZNS1_14partition_implILS5_1ELb0ES3_jN6thrust23THRUST_200600_302600_NS6detail15normal_iteratorINSA_10device_ptrIyEEEEPS6_NSA_18transform_iteratorI7is_evenIyESF_NSA_11use_defaultESK_EENS0_5tupleIJSF_NSA_16discard_iteratorISK_EEEEENSM_IJSG_SG_EEES6_PlJS6_EEE10hipError_tPvRmT3_T4_T5_T6_T7_T9_mT8_P12ihipStream_tbDpT10_ENKUlT_T0_E_clISt17integral_constantIbLb1EES1A_IbLb0EEEEDaS16_S17_EUlS16_E_NS1_11comp_targetILNS1_3genE0ELNS1_11target_archE4294967295ELNS1_3gpuE0ELNS1_3repE0EEENS1_30default_config_static_selectorELNS0_4arch9wavefront6targetE1EEEvT1_.kd
    .uniform_work_group_size: 1
    .uses_dynamic_stack: false
    .vgpr_count:     0
    .vgpr_spill_count: 0
    .wavefront_size: 64
  - .agpr_count:     0
    .args:
      - .offset:         0
        .size:           136
        .value_kind:     by_value
    .group_segment_fixed_size: 28680
    .kernarg_segment_align: 8
    .kernarg_segment_size: 136
    .language:       OpenCL C
    .language_version:
      - 2
      - 0
    .max_flat_workgroup_size: 512
    .name:           _ZN7rocprim17ROCPRIM_400000_NS6detail17trampoline_kernelINS0_14default_configENS1_25partition_config_selectorILNS1_17partition_subalgoE1EyNS0_10empty_typeEbEEZZNS1_14partition_implILS5_1ELb0ES3_jN6thrust23THRUST_200600_302600_NS6detail15normal_iteratorINSA_10device_ptrIyEEEEPS6_NSA_18transform_iteratorI7is_evenIyESF_NSA_11use_defaultESK_EENS0_5tupleIJSF_NSA_16discard_iteratorISK_EEEEENSM_IJSG_SG_EEES6_PlJS6_EEE10hipError_tPvRmT3_T4_T5_T6_T7_T9_mT8_P12ihipStream_tbDpT10_ENKUlT_T0_E_clISt17integral_constantIbLb1EES1A_IbLb0EEEEDaS16_S17_EUlS16_E_NS1_11comp_targetILNS1_3genE5ELNS1_11target_archE942ELNS1_3gpuE9ELNS1_3repE0EEENS1_30default_config_static_selectorELNS0_4arch9wavefront6targetE1EEEvT1_
    .private_segment_fixed_size: 0
    .sgpr_count:     46
    .sgpr_spill_count: 0
    .symbol:         _ZN7rocprim17ROCPRIM_400000_NS6detail17trampoline_kernelINS0_14default_configENS1_25partition_config_selectorILNS1_17partition_subalgoE1EyNS0_10empty_typeEbEEZZNS1_14partition_implILS5_1ELb0ES3_jN6thrust23THRUST_200600_302600_NS6detail15normal_iteratorINSA_10device_ptrIyEEEEPS6_NSA_18transform_iteratorI7is_evenIyESF_NSA_11use_defaultESK_EENS0_5tupleIJSF_NSA_16discard_iteratorISK_EEEEENSM_IJSG_SG_EEES6_PlJS6_EEE10hipError_tPvRmT3_T4_T5_T6_T7_T9_mT8_P12ihipStream_tbDpT10_ENKUlT_T0_E_clISt17integral_constantIbLb1EES1A_IbLb0EEEEDaS16_S17_EUlS16_E_NS1_11comp_targetILNS1_3genE5ELNS1_11target_archE942ELNS1_3gpuE9ELNS1_3repE0EEENS1_30default_config_static_selectorELNS0_4arch9wavefront6targetE1EEEvT1_.kd
    .uniform_work_group_size: 1
    .uses_dynamic_stack: false
    .vgpr_count:     54
    .vgpr_spill_count: 0
    .wavefront_size: 64
  - .agpr_count:     0
    .args:
      - .offset:         0
        .size:           136
        .value_kind:     by_value
    .group_segment_fixed_size: 0
    .kernarg_segment_align: 8
    .kernarg_segment_size: 136
    .language:       OpenCL C
    .language_version:
      - 2
      - 0
    .max_flat_workgroup_size: 192
    .name:           _ZN7rocprim17ROCPRIM_400000_NS6detail17trampoline_kernelINS0_14default_configENS1_25partition_config_selectorILNS1_17partition_subalgoE1EyNS0_10empty_typeEbEEZZNS1_14partition_implILS5_1ELb0ES3_jN6thrust23THRUST_200600_302600_NS6detail15normal_iteratorINSA_10device_ptrIyEEEEPS6_NSA_18transform_iteratorI7is_evenIyESF_NSA_11use_defaultESK_EENS0_5tupleIJSF_NSA_16discard_iteratorISK_EEEEENSM_IJSG_SG_EEES6_PlJS6_EEE10hipError_tPvRmT3_T4_T5_T6_T7_T9_mT8_P12ihipStream_tbDpT10_ENKUlT_T0_E_clISt17integral_constantIbLb1EES1A_IbLb0EEEEDaS16_S17_EUlS16_E_NS1_11comp_targetILNS1_3genE4ELNS1_11target_archE910ELNS1_3gpuE8ELNS1_3repE0EEENS1_30default_config_static_selectorELNS0_4arch9wavefront6targetE1EEEvT1_
    .private_segment_fixed_size: 0
    .sgpr_count:     6
    .sgpr_spill_count: 0
    .symbol:         _ZN7rocprim17ROCPRIM_400000_NS6detail17trampoline_kernelINS0_14default_configENS1_25partition_config_selectorILNS1_17partition_subalgoE1EyNS0_10empty_typeEbEEZZNS1_14partition_implILS5_1ELb0ES3_jN6thrust23THRUST_200600_302600_NS6detail15normal_iteratorINSA_10device_ptrIyEEEEPS6_NSA_18transform_iteratorI7is_evenIyESF_NSA_11use_defaultESK_EENS0_5tupleIJSF_NSA_16discard_iteratorISK_EEEEENSM_IJSG_SG_EEES6_PlJS6_EEE10hipError_tPvRmT3_T4_T5_T6_T7_T9_mT8_P12ihipStream_tbDpT10_ENKUlT_T0_E_clISt17integral_constantIbLb1EES1A_IbLb0EEEEDaS16_S17_EUlS16_E_NS1_11comp_targetILNS1_3genE4ELNS1_11target_archE910ELNS1_3gpuE8ELNS1_3repE0EEENS1_30default_config_static_selectorELNS0_4arch9wavefront6targetE1EEEvT1_.kd
    .uniform_work_group_size: 1
    .uses_dynamic_stack: false
    .vgpr_count:     0
    .vgpr_spill_count: 0
    .wavefront_size: 64
  - .agpr_count:     0
    .args:
      - .offset:         0
        .size:           136
        .value_kind:     by_value
    .group_segment_fixed_size: 0
    .kernarg_segment_align: 8
    .kernarg_segment_size: 136
    .language:       OpenCL C
    .language_version:
      - 2
      - 0
    .max_flat_workgroup_size: 128
    .name:           _ZN7rocprim17ROCPRIM_400000_NS6detail17trampoline_kernelINS0_14default_configENS1_25partition_config_selectorILNS1_17partition_subalgoE1EyNS0_10empty_typeEbEEZZNS1_14partition_implILS5_1ELb0ES3_jN6thrust23THRUST_200600_302600_NS6detail15normal_iteratorINSA_10device_ptrIyEEEEPS6_NSA_18transform_iteratorI7is_evenIyESF_NSA_11use_defaultESK_EENS0_5tupleIJSF_NSA_16discard_iteratorISK_EEEEENSM_IJSG_SG_EEES6_PlJS6_EEE10hipError_tPvRmT3_T4_T5_T6_T7_T9_mT8_P12ihipStream_tbDpT10_ENKUlT_T0_E_clISt17integral_constantIbLb1EES1A_IbLb0EEEEDaS16_S17_EUlS16_E_NS1_11comp_targetILNS1_3genE3ELNS1_11target_archE908ELNS1_3gpuE7ELNS1_3repE0EEENS1_30default_config_static_selectorELNS0_4arch9wavefront6targetE1EEEvT1_
    .private_segment_fixed_size: 0
    .sgpr_count:     6
    .sgpr_spill_count: 0
    .symbol:         _ZN7rocprim17ROCPRIM_400000_NS6detail17trampoline_kernelINS0_14default_configENS1_25partition_config_selectorILNS1_17partition_subalgoE1EyNS0_10empty_typeEbEEZZNS1_14partition_implILS5_1ELb0ES3_jN6thrust23THRUST_200600_302600_NS6detail15normal_iteratorINSA_10device_ptrIyEEEEPS6_NSA_18transform_iteratorI7is_evenIyESF_NSA_11use_defaultESK_EENS0_5tupleIJSF_NSA_16discard_iteratorISK_EEEEENSM_IJSG_SG_EEES6_PlJS6_EEE10hipError_tPvRmT3_T4_T5_T6_T7_T9_mT8_P12ihipStream_tbDpT10_ENKUlT_T0_E_clISt17integral_constantIbLb1EES1A_IbLb0EEEEDaS16_S17_EUlS16_E_NS1_11comp_targetILNS1_3genE3ELNS1_11target_archE908ELNS1_3gpuE7ELNS1_3repE0EEENS1_30default_config_static_selectorELNS0_4arch9wavefront6targetE1EEEvT1_.kd
    .uniform_work_group_size: 1
    .uses_dynamic_stack: false
    .vgpr_count:     0
    .vgpr_spill_count: 0
    .wavefront_size: 64
  - .agpr_count:     0
    .args:
      - .offset:         0
        .size:           136
        .value_kind:     by_value
    .group_segment_fixed_size: 0
    .kernarg_segment_align: 8
    .kernarg_segment_size: 136
    .language:       OpenCL C
    .language_version:
      - 2
      - 0
    .max_flat_workgroup_size: 256
    .name:           _ZN7rocprim17ROCPRIM_400000_NS6detail17trampoline_kernelINS0_14default_configENS1_25partition_config_selectorILNS1_17partition_subalgoE1EyNS0_10empty_typeEbEEZZNS1_14partition_implILS5_1ELb0ES3_jN6thrust23THRUST_200600_302600_NS6detail15normal_iteratorINSA_10device_ptrIyEEEEPS6_NSA_18transform_iteratorI7is_evenIyESF_NSA_11use_defaultESK_EENS0_5tupleIJSF_NSA_16discard_iteratorISK_EEEEENSM_IJSG_SG_EEES6_PlJS6_EEE10hipError_tPvRmT3_T4_T5_T6_T7_T9_mT8_P12ihipStream_tbDpT10_ENKUlT_T0_E_clISt17integral_constantIbLb1EES1A_IbLb0EEEEDaS16_S17_EUlS16_E_NS1_11comp_targetILNS1_3genE2ELNS1_11target_archE906ELNS1_3gpuE6ELNS1_3repE0EEENS1_30default_config_static_selectorELNS0_4arch9wavefront6targetE1EEEvT1_
    .private_segment_fixed_size: 0
    .sgpr_count:     6
    .sgpr_spill_count: 0
    .symbol:         _ZN7rocprim17ROCPRIM_400000_NS6detail17trampoline_kernelINS0_14default_configENS1_25partition_config_selectorILNS1_17partition_subalgoE1EyNS0_10empty_typeEbEEZZNS1_14partition_implILS5_1ELb0ES3_jN6thrust23THRUST_200600_302600_NS6detail15normal_iteratorINSA_10device_ptrIyEEEEPS6_NSA_18transform_iteratorI7is_evenIyESF_NSA_11use_defaultESK_EENS0_5tupleIJSF_NSA_16discard_iteratorISK_EEEEENSM_IJSG_SG_EEES6_PlJS6_EEE10hipError_tPvRmT3_T4_T5_T6_T7_T9_mT8_P12ihipStream_tbDpT10_ENKUlT_T0_E_clISt17integral_constantIbLb1EES1A_IbLb0EEEEDaS16_S17_EUlS16_E_NS1_11comp_targetILNS1_3genE2ELNS1_11target_archE906ELNS1_3gpuE6ELNS1_3repE0EEENS1_30default_config_static_selectorELNS0_4arch9wavefront6targetE1EEEvT1_.kd
    .uniform_work_group_size: 1
    .uses_dynamic_stack: false
    .vgpr_count:     0
    .vgpr_spill_count: 0
    .wavefront_size: 64
  - .agpr_count:     0
    .args:
      - .offset:         0
        .size:           136
        .value_kind:     by_value
    .group_segment_fixed_size: 0
    .kernarg_segment_align: 8
    .kernarg_segment_size: 136
    .language:       OpenCL C
    .language_version:
      - 2
      - 0
    .max_flat_workgroup_size: 256
    .name:           _ZN7rocprim17ROCPRIM_400000_NS6detail17trampoline_kernelINS0_14default_configENS1_25partition_config_selectorILNS1_17partition_subalgoE1EyNS0_10empty_typeEbEEZZNS1_14partition_implILS5_1ELb0ES3_jN6thrust23THRUST_200600_302600_NS6detail15normal_iteratorINSA_10device_ptrIyEEEEPS6_NSA_18transform_iteratorI7is_evenIyESF_NSA_11use_defaultESK_EENS0_5tupleIJSF_NSA_16discard_iteratorISK_EEEEENSM_IJSG_SG_EEES6_PlJS6_EEE10hipError_tPvRmT3_T4_T5_T6_T7_T9_mT8_P12ihipStream_tbDpT10_ENKUlT_T0_E_clISt17integral_constantIbLb1EES1A_IbLb0EEEEDaS16_S17_EUlS16_E_NS1_11comp_targetILNS1_3genE10ELNS1_11target_archE1200ELNS1_3gpuE4ELNS1_3repE0EEENS1_30default_config_static_selectorELNS0_4arch9wavefront6targetE1EEEvT1_
    .private_segment_fixed_size: 0
    .sgpr_count:     6
    .sgpr_spill_count: 0
    .symbol:         _ZN7rocprim17ROCPRIM_400000_NS6detail17trampoline_kernelINS0_14default_configENS1_25partition_config_selectorILNS1_17partition_subalgoE1EyNS0_10empty_typeEbEEZZNS1_14partition_implILS5_1ELb0ES3_jN6thrust23THRUST_200600_302600_NS6detail15normal_iteratorINSA_10device_ptrIyEEEEPS6_NSA_18transform_iteratorI7is_evenIyESF_NSA_11use_defaultESK_EENS0_5tupleIJSF_NSA_16discard_iteratorISK_EEEEENSM_IJSG_SG_EEES6_PlJS6_EEE10hipError_tPvRmT3_T4_T5_T6_T7_T9_mT8_P12ihipStream_tbDpT10_ENKUlT_T0_E_clISt17integral_constantIbLb1EES1A_IbLb0EEEEDaS16_S17_EUlS16_E_NS1_11comp_targetILNS1_3genE10ELNS1_11target_archE1200ELNS1_3gpuE4ELNS1_3repE0EEENS1_30default_config_static_selectorELNS0_4arch9wavefront6targetE1EEEvT1_.kd
    .uniform_work_group_size: 1
    .uses_dynamic_stack: false
    .vgpr_count:     0
    .vgpr_spill_count: 0
    .wavefront_size: 64
  - .agpr_count:     0
    .args:
      - .offset:         0
        .size:           136
        .value_kind:     by_value
    .group_segment_fixed_size: 0
    .kernarg_segment_align: 8
    .kernarg_segment_size: 136
    .language:       OpenCL C
    .language_version:
      - 2
      - 0
    .max_flat_workgroup_size: 128
    .name:           _ZN7rocprim17ROCPRIM_400000_NS6detail17trampoline_kernelINS0_14default_configENS1_25partition_config_selectorILNS1_17partition_subalgoE1EyNS0_10empty_typeEbEEZZNS1_14partition_implILS5_1ELb0ES3_jN6thrust23THRUST_200600_302600_NS6detail15normal_iteratorINSA_10device_ptrIyEEEEPS6_NSA_18transform_iteratorI7is_evenIyESF_NSA_11use_defaultESK_EENS0_5tupleIJSF_NSA_16discard_iteratorISK_EEEEENSM_IJSG_SG_EEES6_PlJS6_EEE10hipError_tPvRmT3_T4_T5_T6_T7_T9_mT8_P12ihipStream_tbDpT10_ENKUlT_T0_E_clISt17integral_constantIbLb1EES1A_IbLb0EEEEDaS16_S17_EUlS16_E_NS1_11comp_targetILNS1_3genE9ELNS1_11target_archE1100ELNS1_3gpuE3ELNS1_3repE0EEENS1_30default_config_static_selectorELNS0_4arch9wavefront6targetE1EEEvT1_
    .private_segment_fixed_size: 0
    .sgpr_count:     6
    .sgpr_spill_count: 0
    .symbol:         _ZN7rocprim17ROCPRIM_400000_NS6detail17trampoline_kernelINS0_14default_configENS1_25partition_config_selectorILNS1_17partition_subalgoE1EyNS0_10empty_typeEbEEZZNS1_14partition_implILS5_1ELb0ES3_jN6thrust23THRUST_200600_302600_NS6detail15normal_iteratorINSA_10device_ptrIyEEEEPS6_NSA_18transform_iteratorI7is_evenIyESF_NSA_11use_defaultESK_EENS0_5tupleIJSF_NSA_16discard_iteratorISK_EEEEENSM_IJSG_SG_EEES6_PlJS6_EEE10hipError_tPvRmT3_T4_T5_T6_T7_T9_mT8_P12ihipStream_tbDpT10_ENKUlT_T0_E_clISt17integral_constantIbLb1EES1A_IbLb0EEEEDaS16_S17_EUlS16_E_NS1_11comp_targetILNS1_3genE9ELNS1_11target_archE1100ELNS1_3gpuE3ELNS1_3repE0EEENS1_30default_config_static_selectorELNS0_4arch9wavefront6targetE1EEEvT1_.kd
    .uniform_work_group_size: 1
    .uses_dynamic_stack: false
    .vgpr_count:     0
    .vgpr_spill_count: 0
    .wavefront_size: 64
  - .agpr_count:     0
    .args:
      - .offset:         0
        .size:           136
        .value_kind:     by_value
    .group_segment_fixed_size: 0
    .kernarg_segment_align: 8
    .kernarg_segment_size: 136
    .language:       OpenCL C
    .language_version:
      - 2
      - 0
    .max_flat_workgroup_size: 512
    .name:           _ZN7rocprim17ROCPRIM_400000_NS6detail17trampoline_kernelINS0_14default_configENS1_25partition_config_selectorILNS1_17partition_subalgoE1EyNS0_10empty_typeEbEEZZNS1_14partition_implILS5_1ELb0ES3_jN6thrust23THRUST_200600_302600_NS6detail15normal_iteratorINSA_10device_ptrIyEEEEPS6_NSA_18transform_iteratorI7is_evenIyESF_NSA_11use_defaultESK_EENS0_5tupleIJSF_NSA_16discard_iteratorISK_EEEEENSM_IJSG_SG_EEES6_PlJS6_EEE10hipError_tPvRmT3_T4_T5_T6_T7_T9_mT8_P12ihipStream_tbDpT10_ENKUlT_T0_E_clISt17integral_constantIbLb1EES1A_IbLb0EEEEDaS16_S17_EUlS16_E_NS1_11comp_targetILNS1_3genE8ELNS1_11target_archE1030ELNS1_3gpuE2ELNS1_3repE0EEENS1_30default_config_static_selectorELNS0_4arch9wavefront6targetE1EEEvT1_
    .private_segment_fixed_size: 0
    .sgpr_count:     6
    .sgpr_spill_count: 0
    .symbol:         _ZN7rocprim17ROCPRIM_400000_NS6detail17trampoline_kernelINS0_14default_configENS1_25partition_config_selectorILNS1_17partition_subalgoE1EyNS0_10empty_typeEbEEZZNS1_14partition_implILS5_1ELb0ES3_jN6thrust23THRUST_200600_302600_NS6detail15normal_iteratorINSA_10device_ptrIyEEEEPS6_NSA_18transform_iteratorI7is_evenIyESF_NSA_11use_defaultESK_EENS0_5tupleIJSF_NSA_16discard_iteratorISK_EEEEENSM_IJSG_SG_EEES6_PlJS6_EEE10hipError_tPvRmT3_T4_T5_T6_T7_T9_mT8_P12ihipStream_tbDpT10_ENKUlT_T0_E_clISt17integral_constantIbLb1EES1A_IbLb0EEEEDaS16_S17_EUlS16_E_NS1_11comp_targetILNS1_3genE8ELNS1_11target_archE1030ELNS1_3gpuE2ELNS1_3repE0EEENS1_30default_config_static_selectorELNS0_4arch9wavefront6targetE1EEEvT1_.kd
    .uniform_work_group_size: 1
    .uses_dynamic_stack: false
    .vgpr_count:     0
    .vgpr_spill_count: 0
    .wavefront_size: 64
  - .agpr_count:     0
    .args:
      - .offset:         0
        .size:           152
        .value_kind:     by_value
    .group_segment_fixed_size: 0
    .kernarg_segment_align: 8
    .kernarg_segment_size: 152
    .language:       OpenCL C
    .language_version:
      - 2
      - 0
    .max_flat_workgroup_size: 128
    .name:           _ZN7rocprim17ROCPRIM_400000_NS6detail17trampoline_kernelINS0_14default_configENS1_25partition_config_selectorILNS1_17partition_subalgoE1EyNS0_10empty_typeEbEEZZNS1_14partition_implILS5_1ELb0ES3_jN6thrust23THRUST_200600_302600_NS6detail15normal_iteratorINSA_10device_ptrIyEEEEPS6_NSA_18transform_iteratorI7is_evenIyESF_NSA_11use_defaultESK_EENS0_5tupleIJSF_NSA_16discard_iteratorISK_EEEEENSM_IJSG_SG_EEES6_PlJS6_EEE10hipError_tPvRmT3_T4_T5_T6_T7_T9_mT8_P12ihipStream_tbDpT10_ENKUlT_T0_E_clISt17integral_constantIbLb0EES1A_IbLb1EEEEDaS16_S17_EUlS16_E_NS1_11comp_targetILNS1_3genE0ELNS1_11target_archE4294967295ELNS1_3gpuE0ELNS1_3repE0EEENS1_30default_config_static_selectorELNS0_4arch9wavefront6targetE1EEEvT1_
    .private_segment_fixed_size: 0
    .sgpr_count:     6
    .sgpr_spill_count: 0
    .symbol:         _ZN7rocprim17ROCPRIM_400000_NS6detail17trampoline_kernelINS0_14default_configENS1_25partition_config_selectorILNS1_17partition_subalgoE1EyNS0_10empty_typeEbEEZZNS1_14partition_implILS5_1ELb0ES3_jN6thrust23THRUST_200600_302600_NS6detail15normal_iteratorINSA_10device_ptrIyEEEEPS6_NSA_18transform_iteratorI7is_evenIyESF_NSA_11use_defaultESK_EENS0_5tupleIJSF_NSA_16discard_iteratorISK_EEEEENSM_IJSG_SG_EEES6_PlJS6_EEE10hipError_tPvRmT3_T4_T5_T6_T7_T9_mT8_P12ihipStream_tbDpT10_ENKUlT_T0_E_clISt17integral_constantIbLb0EES1A_IbLb1EEEEDaS16_S17_EUlS16_E_NS1_11comp_targetILNS1_3genE0ELNS1_11target_archE4294967295ELNS1_3gpuE0ELNS1_3repE0EEENS1_30default_config_static_selectorELNS0_4arch9wavefront6targetE1EEEvT1_.kd
    .uniform_work_group_size: 1
    .uses_dynamic_stack: false
    .vgpr_count:     0
    .vgpr_spill_count: 0
    .wavefront_size: 64
  - .agpr_count:     0
    .args:
      - .offset:         0
        .size:           152
        .value_kind:     by_value
    .group_segment_fixed_size: 28680
    .kernarg_segment_align: 8
    .kernarg_segment_size: 152
    .language:       OpenCL C
    .language_version:
      - 2
      - 0
    .max_flat_workgroup_size: 512
    .name:           _ZN7rocprim17ROCPRIM_400000_NS6detail17trampoline_kernelINS0_14default_configENS1_25partition_config_selectorILNS1_17partition_subalgoE1EyNS0_10empty_typeEbEEZZNS1_14partition_implILS5_1ELb0ES3_jN6thrust23THRUST_200600_302600_NS6detail15normal_iteratorINSA_10device_ptrIyEEEEPS6_NSA_18transform_iteratorI7is_evenIyESF_NSA_11use_defaultESK_EENS0_5tupleIJSF_NSA_16discard_iteratorISK_EEEEENSM_IJSG_SG_EEES6_PlJS6_EEE10hipError_tPvRmT3_T4_T5_T6_T7_T9_mT8_P12ihipStream_tbDpT10_ENKUlT_T0_E_clISt17integral_constantIbLb0EES1A_IbLb1EEEEDaS16_S17_EUlS16_E_NS1_11comp_targetILNS1_3genE5ELNS1_11target_archE942ELNS1_3gpuE9ELNS1_3repE0EEENS1_30default_config_static_selectorELNS0_4arch9wavefront6targetE1EEEvT1_
    .private_segment_fixed_size: 0
    .sgpr_count:     46
    .sgpr_spill_count: 0
    .symbol:         _ZN7rocprim17ROCPRIM_400000_NS6detail17trampoline_kernelINS0_14default_configENS1_25partition_config_selectorILNS1_17partition_subalgoE1EyNS0_10empty_typeEbEEZZNS1_14partition_implILS5_1ELb0ES3_jN6thrust23THRUST_200600_302600_NS6detail15normal_iteratorINSA_10device_ptrIyEEEEPS6_NSA_18transform_iteratorI7is_evenIyESF_NSA_11use_defaultESK_EENS0_5tupleIJSF_NSA_16discard_iteratorISK_EEEEENSM_IJSG_SG_EEES6_PlJS6_EEE10hipError_tPvRmT3_T4_T5_T6_T7_T9_mT8_P12ihipStream_tbDpT10_ENKUlT_T0_E_clISt17integral_constantIbLb0EES1A_IbLb1EEEEDaS16_S17_EUlS16_E_NS1_11comp_targetILNS1_3genE5ELNS1_11target_archE942ELNS1_3gpuE9ELNS1_3repE0EEENS1_30default_config_static_selectorELNS0_4arch9wavefront6targetE1EEEvT1_.kd
    .uniform_work_group_size: 1
    .uses_dynamic_stack: false
    .vgpr_count:     56
    .vgpr_spill_count: 0
    .wavefront_size: 64
  - .agpr_count:     0
    .args:
      - .offset:         0
        .size:           152
        .value_kind:     by_value
    .group_segment_fixed_size: 0
    .kernarg_segment_align: 8
    .kernarg_segment_size: 152
    .language:       OpenCL C
    .language_version:
      - 2
      - 0
    .max_flat_workgroup_size: 192
    .name:           _ZN7rocprim17ROCPRIM_400000_NS6detail17trampoline_kernelINS0_14default_configENS1_25partition_config_selectorILNS1_17partition_subalgoE1EyNS0_10empty_typeEbEEZZNS1_14partition_implILS5_1ELb0ES3_jN6thrust23THRUST_200600_302600_NS6detail15normal_iteratorINSA_10device_ptrIyEEEEPS6_NSA_18transform_iteratorI7is_evenIyESF_NSA_11use_defaultESK_EENS0_5tupleIJSF_NSA_16discard_iteratorISK_EEEEENSM_IJSG_SG_EEES6_PlJS6_EEE10hipError_tPvRmT3_T4_T5_T6_T7_T9_mT8_P12ihipStream_tbDpT10_ENKUlT_T0_E_clISt17integral_constantIbLb0EES1A_IbLb1EEEEDaS16_S17_EUlS16_E_NS1_11comp_targetILNS1_3genE4ELNS1_11target_archE910ELNS1_3gpuE8ELNS1_3repE0EEENS1_30default_config_static_selectorELNS0_4arch9wavefront6targetE1EEEvT1_
    .private_segment_fixed_size: 0
    .sgpr_count:     6
    .sgpr_spill_count: 0
    .symbol:         _ZN7rocprim17ROCPRIM_400000_NS6detail17trampoline_kernelINS0_14default_configENS1_25partition_config_selectorILNS1_17partition_subalgoE1EyNS0_10empty_typeEbEEZZNS1_14partition_implILS5_1ELb0ES3_jN6thrust23THRUST_200600_302600_NS6detail15normal_iteratorINSA_10device_ptrIyEEEEPS6_NSA_18transform_iteratorI7is_evenIyESF_NSA_11use_defaultESK_EENS0_5tupleIJSF_NSA_16discard_iteratorISK_EEEEENSM_IJSG_SG_EEES6_PlJS6_EEE10hipError_tPvRmT3_T4_T5_T6_T7_T9_mT8_P12ihipStream_tbDpT10_ENKUlT_T0_E_clISt17integral_constantIbLb0EES1A_IbLb1EEEEDaS16_S17_EUlS16_E_NS1_11comp_targetILNS1_3genE4ELNS1_11target_archE910ELNS1_3gpuE8ELNS1_3repE0EEENS1_30default_config_static_selectorELNS0_4arch9wavefront6targetE1EEEvT1_.kd
    .uniform_work_group_size: 1
    .uses_dynamic_stack: false
    .vgpr_count:     0
    .vgpr_spill_count: 0
    .wavefront_size: 64
  - .agpr_count:     0
    .args:
      - .offset:         0
        .size:           152
        .value_kind:     by_value
    .group_segment_fixed_size: 0
    .kernarg_segment_align: 8
    .kernarg_segment_size: 152
    .language:       OpenCL C
    .language_version:
      - 2
      - 0
    .max_flat_workgroup_size: 128
    .name:           _ZN7rocprim17ROCPRIM_400000_NS6detail17trampoline_kernelINS0_14default_configENS1_25partition_config_selectorILNS1_17partition_subalgoE1EyNS0_10empty_typeEbEEZZNS1_14partition_implILS5_1ELb0ES3_jN6thrust23THRUST_200600_302600_NS6detail15normal_iteratorINSA_10device_ptrIyEEEEPS6_NSA_18transform_iteratorI7is_evenIyESF_NSA_11use_defaultESK_EENS0_5tupleIJSF_NSA_16discard_iteratorISK_EEEEENSM_IJSG_SG_EEES6_PlJS6_EEE10hipError_tPvRmT3_T4_T5_T6_T7_T9_mT8_P12ihipStream_tbDpT10_ENKUlT_T0_E_clISt17integral_constantIbLb0EES1A_IbLb1EEEEDaS16_S17_EUlS16_E_NS1_11comp_targetILNS1_3genE3ELNS1_11target_archE908ELNS1_3gpuE7ELNS1_3repE0EEENS1_30default_config_static_selectorELNS0_4arch9wavefront6targetE1EEEvT1_
    .private_segment_fixed_size: 0
    .sgpr_count:     6
    .sgpr_spill_count: 0
    .symbol:         _ZN7rocprim17ROCPRIM_400000_NS6detail17trampoline_kernelINS0_14default_configENS1_25partition_config_selectorILNS1_17partition_subalgoE1EyNS0_10empty_typeEbEEZZNS1_14partition_implILS5_1ELb0ES3_jN6thrust23THRUST_200600_302600_NS6detail15normal_iteratorINSA_10device_ptrIyEEEEPS6_NSA_18transform_iteratorI7is_evenIyESF_NSA_11use_defaultESK_EENS0_5tupleIJSF_NSA_16discard_iteratorISK_EEEEENSM_IJSG_SG_EEES6_PlJS6_EEE10hipError_tPvRmT3_T4_T5_T6_T7_T9_mT8_P12ihipStream_tbDpT10_ENKUlT_T0_E_clISt17integral_constantIbLb0EES1A_IbLb1EEEEDaS16_S17_EUlS16_E_NS1_11comp_targetILNS1_3genE3ELNS1_11target_archE908ELNS1_3gpuE7ELNS1_3repE0EEENS1_30default_config_static_selectorELNS0_4arch9wavefront6targetE1EEEvT1_.kd
    .uniform_work_group_size: 1
    .uses_dynamic_stack: false
    .vgpr_count:     0
    .vgpr_spill_count: 0
    .wavefront_size: 64
  - .agpr_count:     0
    .args:
      - .offset:         0
        .size:           152
        .value_kind:     by_value
    .group_segment_fixed_size: 0
    .kernarg_segment_align: 8
    .kernarg_segment_size: 152
    .language:       OpenCL C
    .language_version:
      - 2
      - 0
    .max_flat_workgroup_size: 256
    .name:           _ZN7rocprim17ROCPRIM_400000_NS6detail17trampoline_kernelINS0_14default_configENS1_25partition_config_selectorILNS1_17partition_subalgoE1EyNS0_10empty_typeEbEEZZNS1_14partition_implILS5_1ELb0ES3_jN6thrust23THRUST_200600_302600_NS6detail15normal_iteratorINSA_10device_ptrIyEEEEPS6_NSA_18transform_iteratorI7is_evenIyESF_NSA_11use_defaultESK_EENS0_5tupleIJSF_NSA_16discard_iteratorISK_EEEEENSM_IJSG_SG_EEES6_PlJS6_EEE10hipError_tPvRmT3_T4_T5_T6_T7_T9_mT8_P12ihipStream_tbDpT10_ENKUlT_T0_E_clISt17integral_constantIbLb0EES1A_IbLb1EEEEDaS16_S17_EUlS16_E_NS1_11comp_targetILNS1_3genE2ELNS1_11target_archE906ELNS1_3gpuE6ELNS1_3repE0EEENS1_30default_config_static_selectorELNS0_4arch9wavefront6targetE1EEEvT1_
    .private_segment_fixed_size: 0
    .sgpr_count:     6
    .sgpr_spill_count: 0
    .symbol:         _ZN7rocprim17ROCPRIM_400000_NS6detail17trampoline_kernelINS0_14default_configENS1_25partition_config_selectorILNS1_17partition_subalgoE1EyNS0_10empty_typeEbEEZZNS1_14partition_implILS5_1ELb0ES3_jN6thrust23THRUST_200600_302600_NS6detail15normal_iteratorINSA_10device_ptrIyEEEEPS6_NSA_18transform_iteratorI7is_evenIyESF_NSA_11use_defaultESK_EENS0_5tupleIJSF_NSA_16discard_iteratorISK_EEEEENSM_IJSG_SG_EEES6_PlJS6_EEE10hipError_tPvRmT3_T4_T5_T6_T7_T9_mT8_P12ihipStream_tbDpT10_ENKUlT_T0_E_clISt17integral_constantIbLb0EES1A_IbLb1EEEEDaS16_S17_EUlS16_E_NS1_11comp_targetILNS1_3genE2ELNS1_11target_archE906ELNS1_3gpuE6ELNS1_3repE0EEENS1_30default_config_static_selectorELNS0_4arch9wavefront6targetE1EEEvT1_.kd
    .uniform_work_group_size: 1
    .uses_dynamic_stack: false
    .vgpr_count:     0
    .vgpr_spill_count: 0
    .wavefront_size: 64
  - .agpr_count:     0
    .args:
      - .offset:         0
        .size:           152
        .value_kind:     by_value
    .group_segment_fixed_size: 0
    .kernarg_segment_align: 8
    .kernarg_segment_size: 152
    .language:       OpenCL C
    .language_version:
      - 2
      - 0
    .max_flat_workgroup_size: 256
    .name:           _ZN7rocprim17ROCPRIM_400000_NS6detail17trampoline_kernelINS0_14default_configENS1_25partition_config_selectorILNS1_17partition_subalgoE1EyNS0_10empty_typeEbEEZZNS1_14partition_implILS5_1ELb0ES3_jN6thrust23THRUST_200600_302600_NS6detail15normal_iteratorINSA_10device_ptrIyEEEEPS6_NSA_18transform_iteratorI7is_evenIyESF_NSA_11use_defaultESK_EENS0_5tupleIJSF_NSA_16discard_iteratorISK_EEEEENSM_IJSG_SG_EEES6_PlJS6_EEE10hipError_tPvRmT3_T4_T5_T6_T7_T9_mT8_P12ihipStream_tbDpT10_ENKUlT_T0_E_clISt17integral_constantIbLb0EES1A_IbLb1EEEEDaS16_S17_EUlS16_E_NS1_11comp_targetILNS1_3genE10ELNS1_11target_archE1200ELNS1_3gpuE4ELNS1_3repE0EEENS1_30default_config_static_selectorELNS0_4arch9wavefront6targetE1EEEvT1_
    .private_segment_fixed_size: 0
    .sgpr_count:     6
    .sgpr_spill_count: 0
    .symbol:         _ZN7rocprim17ROCPRIM_400000_NS6detail17trampoline_kernelINS0_14default_configENS1_25partition_config_selectorILNS1_17partition_subalgoE1EyNS0_10empty_typeEbEEZZNS1_14partition_implILS5_1ELb0ES3_jN6thrust23THRUST_200600_302600_NS6detail15normal_iteratorINSA_10device_ptrIyEEEEPS6_NSA_18transform_iteratorI7is_evenIyESF_NSA_11use_defaultESK_EENS0_5tupleIJSF_NSA_16discard_iteratorISK_EEEEENSM_IJSG_SG_EEES6_PlJS6_EEE10hipError_tPvRmT3_T4_T5_T6_T7_T9_mT8_P12ihipStream_tbDpT10_ENKUlT_T0_E_clISt17integral_constantIbLb0EES1A_IbLb1EEEEDaS16_S17_EUlS16_E_NS1_11comp_targetILNS1_3genE10ELNS1_11target_archE1200ELNS1_3gpuE4ELNS1_3repE0EEENS1_30default_config_static_selectorELNS0_4arch9wavefront6targetE1EEEvT1_.kd
    .uniform_work_group_size: 1
    .uses_dynamic_stack: false
    .vgpr_count:     0
    .vgpr_spill_count: 0
    .wavefront_size: 64
  - .agpr_count:     0
    .args:
      - .offset:         0
        .size:           152
        .value_kind:     by_value
    .group_segment_fixed_size: 0
    .kernarg_segment_align: 8
    .kernarg_segment_size: 152
    .language:       OpenCL C
    .language_version:
      - 2
      - 0
    .max_flat_workgroup_size: 128
    .name:           _ZN7rocprim17ROCPRIM_400000_NS6detail17trampoline_kernelINS0_14default_configENS1_25partition_config_selectorILNS1_17partition_subalgoE1EyNS0_10empty_typeEbEEZZNS1_14partition_implILS5_1ELb0ES3_jN6thrust23THRUST_200600_302600_NS6detail15normal_iteratorINSA_10device_ptrIyEEEEPS6_NSA_18transform_iteratorI7is_evenIyESF_NSA_11use_defaultESK_EENS0_5tupleIJSF_NSA_16discard_iteratorISK_EEEEENSM_IJSG_SG_EEES6_PlJS6_EEE10hipError_tPvRmT3_T4_T5_T6_T7_T9_mT8_P12ihipStream_tbDpT10_ENKUlT_T0_E_clISt17integral_constantIbLb0EES1A_IbLb1EEEEDaS16_S17_EUlS16_E_NS1_11comp_targetILNS1_3genE9ELNS1_11target_archE1100ELNS1_3gpuE3ELNS1_3repE0EEENS1_30default_config_static_selectorELNS0_4arch9wavefront6targetE1EEEvT1_
    .private_segment_fixed_size: 0
    .sgpr_count:     6
    .sgpr_spill_count: 0
    .symbol:         _ZN7rocprim17ROCPRIM_400000_NS6detail17trampoline_kernelINS0_14default_configENS1_25partition_config_selectorILNS1_17partition_subalgoE1EyNS0_10empty_typeEbEEZZNS1_14partition_implILS5_1ELb0ES3_jN6thrust23THRUST_200600_302600_NS6detail15normal_iteratorINSA_10device_ptrIyEEEEPS6_NSA_18transform_iteratorI7is_evenIyESF_NSA_11use_defaultESK_EENS0_5tupleIJSF_NSA_16discard_iteratorISK_EEEEENSM_IJSG_SG_EEES6_PlJS6_EEE10hipError_tPvRmT3_T4_T5_T6_T7_T9_mT8_P12ihipStream_tbDpT10_ENKUlT_T0_E_clISt17integral_constantIbLb0EES1A_IbLb1EEEEDaS16_S17_EUlS16_E_NS1_11comp_targetILNS1_3genE9ELNS1_11target_archE1100ELNS1_3gpuE3ELNS1_3repE0EEENS1_30default_config_static_selectorELNS0_4arch9wavefront6targetE1EEEvT1_.kd
    .uniform_work_group_size: 1
    .uses_dynamic_stack: false
    .vgpr_count:     0
    .vgpr_spill_count: 0
    .wavefront_size: 64
  - .agpr_count:     0
    .args:
      - .offset:         0
        .size:           152
        .value_kind:     by_value
    .group_segment_fixed_size: 0
    .kernarg_segment_align: 8
    .kernarg_segment_size: 152
    .language:       OpenCL C
    .language_version:
      - 2
      - 0
    .max_flat_workgroup_size: 512
    .name:           _ZN7rocprim17ROCPRIM_400000_NS6detail17trampoline_kernelINS0_14default_configENS1_25partition_config_selectorILNS1_17partition_subalgoE1EyNS0_10empty_typeEbEEZZNS1_14partition_implILS5_1ELb0ES3_jN6thrust23THRUST_200600_302600_NS6detail15normal_iteratorINSA_10device_ptrIyEEEEPS6_NSA_18transform_iteratorI7is_evenIyESF_NSA_11use_defaultESK_EENS0_5tupleIJSF_NSA_16discard_iteratorISK_EEEEENSM_IJSG_SG_EEES6_PlJS6_EEE10hipError_tPvRmT3_T4_T5_T6_T7_T9_mT8_P12ihipStream_tbDpT10_ENKUlT_T0_E_clISt17integral_constantIbLb0EES1A_IbLb1EEEEDaS16_S17_EUlS16_E_NS1_11comp_targetILNS1_3genE8ELNS1_11target_archE1030ELNS1_3gpuE2ELNS1_3repE0EEENS1_30default_config_static_selectorELNS0_4arch9wavefront6targetE1EEEvT1_
    .private_segment_fixed_size: 0
    .sgpr_count:     6
    .sgpr_spill_count: 0
    .symbol:         _ZN7rocprim17ROCPRIM_400000_NS6detail17trampoline_kernelINS0_14default_configENS1_25partition_config_selectorILNS1_17partition_subalgoE1EyNS0_10empty_typeEbEEZZNS1_14partition_implILS5_1ELb0ES3_jN6thrust23THRUST_200600_302600_NS6detail15normal_iteratorINSA_10device_ptrIyEEEEPS6_NSA_18transform_iteratorI7is_evenIyESF_NSA_11use_defaultESK_EENS0_5tupleIJSF_NSA_16discard_iteratorISK_EEEEENSM_IJSG_SG_EEES6_PlJS6_EEE10hipError_tPvRmT3_T4_T5_T6_T7_T9_mT8_P12ihipStream_tbDpT10_ENKUlT_T0_E_clISt17integral_constantIbLb0EES1A_IbLb1EEEEDaS16_S17_EUlS16_E_NS1_11comp_targetILNS1_3genE8ELNS1_11target_archE1030ELNS1_3gpuE2ELNS1_3repE0EEENS1_30default_config_static_selectorELNS0_4arch9wavefront6targetE1EEEvT1_.kd
    .uniform_work_group_size: 1
    .uses_dynamic_stack: false
    .vgpr_count:     0
    .vgpr_spill_count: 0
    .wavefront_size: 64
  - .agpr_count:     0
    .args:
      - .offset:         0
        .size:           136
        .value_kind:     by_value
    .group_segment_fixed_size: 0
    .kernarg_segment_align: 8
    .kernarg_segment_size: 136
    .language:       OpenCL C
    .language_version:
      - 2
      - 0
    .max_flat_workgroup_size: 128
    .name:           _ZN7rocprim17ROCPRIM_400000_NS6detail17trampoline_kernelINS0_14default_configENS1_25partition_config_selectorILNS1_17partition_subalgoE1EyNS0_10empty_typeEbEEZZNS1_14partition_implILS5_1ELb0ES3_jN6thrust23THRUST_200600_302600_NS6detail15normal_iteratorINSA_10device_ptrIyEEEEPS6_NSA_18transform_iteratorI7is_evenIyESF_NSA_11use_defaultESK_EENS0_5tupleIJNSA_16discard_iteratorISK_EESF_EEENSM_IJSG_SG_EEES6_PlJS6_EEE10hipError_tPvRmT3_T4_T5_T6_T7_T9_mT8_P12ihipStream_tbDpT10_ENKUlT_T0_E_clISt17integral_constantIbLb0EES1B_EEDaS16_S17_EUlS16_E_NS1_11comp_targetILNS1_3genE0ELNS1_11target_archE4294967295ELNS1_3gpuE0ELNS1_3repE0EEENS1_30default_config_static_selectorELNS0_4arch9wavefront6targetE1EEEvT1_
    .private_segment_fixed_size: 0
    .sgpr_count:     6
    .sgpr_spill_count: 0
    .symbol:         _ZN7rocprim17ROCPRIM_400000_NS6detail17trampoline_kernelINS0_14default_configENS1_25partition_config_selectorILNS1_17partition_subalgoE1EyNS0_10empty_typeEbEEZZNS1_14partition_implILS5_1ELb0ES3_jN6thrust23THRUST_200600_302600_NS6detail15normal_iteratorINSA_10device_ptrIyEEEEPS6_NSA_18transform_iteratorI7is_evenIyESF_NSA_11use_defaultESK_EENS0_5tupleIJNSA_16discard_iteratorISK_EESF_EEENSM_IJSG_SG_EEES6_PlJS6_EEE10hipError_tPvRmT3_T4_T5_T6_T7_T9_mT8_P12ihipStream_tbDpT10_ENKUlT_T0_E_clISt17integral_constantIbLb0EES1B_EEDaS16_S17_EUlS16_E_NS1_11comp_targetILNS1_3genE0ELNS1_11target_archE4294967295ELNS1_3gpuE0ELNS1_3repE0EEENS1_30default_config_static_selectorELNS0_4arch9wavefront6targetE1EEEvT1_.kd
    .uniform_work_group_size: 1
    .uses_dynamic_stack: false
    .vgpr_count:     0
    .vgpr_spill_count: 0
    .wavefront_size: 64
  - .agpr_count:     0
    .args:
      - .offset:         0
        .size:           136
        .value_kind:     by_value
    .group_segment_fixed_size: 28680
    .kernarg_segment_align: 8
    .kernarg_segment_size: 136
    .language:       OpenCL C
    .language_version:
      - 2
      - 0
    .max_flat_workgroup_size: 512
    .name:           _ZN7rocprim17ROCPRIM_400000_NS6detail17trampoline_kernelINS0_14default_configENS1_25partition_config_selectorILNS1_17partition_subalgoE1EyNS0_10empty_typeEbEEZZNS1_14partition_implILS5_1ELb0ES3_jN6thrust23THRUST_200600_302600_NS6detail15normal_iteratorINSA_10device_ptrIyEEEEPS6_NSA_18transform_iteratorI7is_evenIyESF_NSA_11use_defaultESK_EENS0_5tupleIJNSA_16discard_iteratorISK_EESF_EEENSM_IJSG_SG_EEES6_PlJS6_EEE10hipError_tPvRmT3_T4_T5_T6_T7_T9_mT8_P12ihipStream_tbDpT10_ENKUlT_T0_E_clISt17integral_constantIbLb0EES1B_EEDaS16_S17_EUlS16_E_NS1_11comp_targetILNS1_3genE5ELNS1_11target_archE942ELNS1_3gpuE9ELNS1_3repE0EEENS1_30default_config_static_selectorELNS0_4arch9wavefront6targetE1EEEvT1_
    .private_segment_fixed_size: 0
    .sgpr_count:     50
    .sgpr_spill_count: 0
    .symbol:         _ZN7rocprim17ROCPRIM_400000_NS6detail17trampoline_kernelINS0_14default_configENS1_25partition_config_selectorILNS1_17partition_subalgoE1EyNS0_10empty_typeEbEEZZNS1_14partition_implILS5_1ELb0ES3_jN6thrust23THRUST_200600_302600_NS6detail15normal_iteratorINSA_10device_ptrIyEEEEPS6_NSA_18transform_iteratorI7is_evenIyESF_NSA_11use_defaultESK_EENS0_5tupleIJNSA_16discard_iteratorISK_EESF_EEENSM_IJSG_SG_EEES6_PlJS6_EEE10hipError_tPvRmT3_T4_T5_T6_T7_T9_mT8_P12ihipStream_tbDpT10_ENKUlT_T0_E_clISt17integral_constantIbLb0EES1B_EEDaS16_S17_EUlS16_E_NS1_11comp_targetILNS1_3genE5ELNS1_11target_archE942ELNS1_3gpuE9ELNS1_3repE0EEENS1_30default_config_static_selectorELNS0_4arch9wavefront6targetE1EEEvT1_.kd
    .uniform_work_group_size: 1
    .uses_dynamic_stack: false
    .vgpr_count:     54
    .vgpr_spill_count: 0
    .wavefront_size: 64
  - .agpr_count:     0
    .args:
      - .offset:         0
        .size:           136
        .value_kind:     by_value
    .group_segment_fixed_size: 0
    .kernarg_segment_align: 8
    .kernarg_segment_size: 136
    .language:       OpenCL C
    .language_version:
      - 2
      - 0
    .max_flat_workgroup_size: 192
    .name:           _ZN7rocprim17ROCPRIM_400000_NS6detail17trampoline_kernelINS0_14default_configENS1_25partition_config_selectorILNS1_17partition_subalgoE1EyNS0_10empty_typeEbEEZZNS1_14partition_implILS5_1ELb0ES3_jN6thrust23THRUST_200600_302600_NS6detail15normal_iteratorINSA_10device_ptrIyEEEEPS6_NSA_18transform_iteratorI7is_evenIyESF_NSA_11use_defaultESK_EENS0_5tupleIJNSA_16discard_iteratorISK_EESF_EEENSM_IJSG_SG_EEES6_PlJS6_EEE10hipError_tPvRmT3_T4_T5_T6_T7_T9_mT8_P12ihipStream_tbDpT10_ENKUlT_T0_E_clISt17integral_constantIbLb0EES1B_EEDaS16_S17_EUlS16_E_NS1_11comp_targetILNS1_3genE4ELNS1_11target_archE910ELNS1_3gpuE8ELNS1_3repE0EEENS1_30default_config_static_selectorELNS0_4arch9wavefront6targetE1EEEvT1_
    .private_segment_fixed_size: 0
    .sgpr_count:     6
    .sgpr_spill_count: 0
    .symbol:         _ZN7rocprim17ROCPRIM_400000_NS6detail17trampoline_kernelINS0_14default_configENS1_25partition_config_selectorILNS1_17partition_subalgoE1EyNS0_10empty_typeEbEEZZNS1_14partition_implILS5_1ELb0ES3_jN6thrust23THRUST_200600_302600_NS6detail15normal_iteratorINSA_10device_ptrIyEEEEPS6_NSA_18transform_iteratorI7is_evenIyESF_NSA_11use_defaultESK_EENS0_5tupleIJNSA_16discard_iteratorISK_EESF_EEENSM_IJSG_SG_EEES6_PlJS6_EEE10hipError_tPvRmT3_T4_T5_T6_T7_T9_mT8_P12ihipStream_tbDpT10_ENKUlT_T0_E_clISt17integral_constantIbLb0EES1B_EEDaS16_S17_EUlS16_E_NS1_11comp_targetILNS1_3genE4ELNS1_11target_archE910ELNS1_3gpuE8ELNS1_3repE0EEENS1_30default_config_static_selectorELNS0_4arch9wavefront6targetE1EEEvT1_.kd
    .uniform_work_group_size: 1
    .uses_dynamic_stack: false
    .vgpr_count:     0
    .vgpr_spill_count: 0
    .wavefront_size: 64
  - .agpr_count:     0
    .args:
      - .offset:         0
        .size:           136
        .value_kind:     by_value
    .group_segment_fixed_size: 0
    .kernarg_segment_align: 8
    .kernarg_segment_size: 136
    .language:       OpenCL C
    .language_version:
      - 2
      - 0
    .max_flat_workgroup_size: 128
    .name:           _ZN7rocprim17ROCPRIM_400000_NS6detail17trampoline_kernelINS0_14default_configENS1_25partition_config_selectorILNS1_17partition_subalgoE1EyNS0_10empty_typeEbEEZZNS1_14partition_implILS5_1ELb0ES3_jN6thrust23THRUST_200600_302600_NS6detail15normal_iteratorINSA_10device_ptrIyEEEEPS6_NSA_18transform_iteratorI7is_evenIyESF_NSA_11use_defaultESK_EENS0_5tupleIJNSA_16discard_iteratorISK_EESF_EEENSM_IJSG_SG_EEES6_PlJS6_EEE10hipError_tPvRmT3_T4_T5_T6_T7_T9_mT8_P12ihipStream_tbDpT10_ENKUlT_T0_E_clISt17integral_constantIbLb0EES1B_EEDaS16_S17_EUlS16_E_NS1_11comp_targetILNS1_3genE3ELNS1_11target_archE908ELNS1_3gpuE7ELNS1_3repE0EEENS1_30default_config_static_selectorELNS0_4arch9wavefront6targetE1EEEvT1_
    .private_segment_fixed_size: 0
    .sgpr_count:     6
    .sgpr_spill_count: 0
    .symbol:         _ZN7rocprim17ROCPRIM_400000_NS6detail17trampoline_kernelINS0_14default_configENS1_25partition_config_selectorILNS1_17partition_subalgoE1EyNS0_10empty_typeEbEEZZNS1_14partition_implILS5_1ELb0ES3_jN6thrust23THRUST_200600_302600_NS6detail15normal_iteratorINSA_10device_ptrIyEEEEPS6_NSA_18transform_iteratorI7is_evenIyESF_NSA_11use_defaultESK_EENS0_5tupleIJNSA_16discard_iteratorISK_EESF_EEENSM_IJSG_SG_EEES6_PlJS6_EEE10hipError_tPvRmT3_T4_T5_T6_T7_T9_mT8_P12ihipStream_tbDpT10_ENKUlT_T0_E_clISt17integral_constantIbLb0EES1B_EEDaS16_S17_EUlS16_E_NS1_11comp_targetILNS1_3genE3ELNS1_11target_archE908ELNS1_3gpuE7ELNS1_3repE0EEENS1_30default_config_static_selectorELNS0_4arch9wavefront6targetE1EEEvT1_.kd
    .uniform_work_group_size: 1
    .uses_dynamic_stack: false
    .vgpr_count:     0
    .vgpr_spill_count: 0
    .wavefront_size: 64
  - .agpr_count:     0
    .args:
      - .offset:         0
        .size:           136
        .value_kind:     by_value
    .group_segment_fixed_size: 0
    .kernarg_segment_align: 8
    .kernarg_segment_size: 136
    .language:       OpenCL C
    .language_version:
      - 2
      - 0
    .max_flat_workgroup_size: 256
    .name:           _ZN7rocprim17ROCPRIM_400000_NS6detail17trampoline_kernelINS0_14default_configENS1_25partition_config_selectorILNS1_17partition_subalgoE1EyNS0_10empty_typeEbEEZZNS1_14partition_implILS5_1ELb0ES3_jN6thrust23THRUST_200600_302600_NS6detail15normal_iteratorINSA_10device_ptrIyEEEEPS6_NSA_18transform_iteratorI7is_evenIyESF_NSA_11use_defaultESK_EENS0_5tupleIJNSA_16discard_iteratorISK_EESF_EEENSM_IJSG_SG_EEES6_PlJS6_EEE10hipError_tPvRmT3_T4_T5_T6_T7_T9_mT8_P12ihipStream_tbDpT10_ENKUlT_T0_E_clISt17integral_constantIbLb0EES1B_EEDaS16_S17_EUlS16_E_NS1_11comp_targetILNS1_3genE2ELNS1_11target_archE906ELNS1_3gpuE6ELNS1_3repE0EEENS1_30default_config_static_selectorELNS0_4arch9wavefront6targetE1EEEvT1_
    .private_segment_fixed_size: 0
    .sgpr_count:     6
    .sgpr_spill_count: 0
    .symbol:         _ZN7rocprim17ROCPRIM_400000_NS6detail17trampoline_kernelINS0_14default_configENS1_25partition_config_selectorILNS1_17partition_subalgoE1EyNS0_10empty_typeEbEEZZNS1_14partition_implILS5_1ELb0ES3_jN6thrust23THRUST_200600_302600_NS6detail15normal_iteratorINSA_10device_ptrIyEEEEPS6_NSA_18transform_iteratorI7is_evenIyESF_NSA_11use_defaultESK_EENS0_5tupleIJNSA_16discard_iteratorISK_EESF_EEENSM_IJSG_SG_EEES6_PlJS6_EEE10hipError_tPvRmT3_T4_T5_T6_T7_T9_mT8_P12ihipStream_tbDpT10_ENKUlT_T0_E_clISt17integral_constantIbLb0EES1B_EEDaS16_S17_EUlS16_E_NS1_11comp_targetILNS1_3genE2ELNS1_11target_archE906ELNS1_3gpuE6ELNS1_3repE0EEENS1_30default_config_static_selectorELNS0_4arch9wavefront6targetE1EEEvT1_.kd
    .uniform_work_group_size: 1
    .uses_dynamic_stack: false
    .vgpr_count:     0
    .vgpr_spill_count: 0
    .wavefront_size: 64
  - .agpr_count:     0
    .args:
      - .offset:         0
        .size:           136
        .value_kind:     by_value
    .group_segment_fixed_size: 0
    .kernarg_segment_align: 8
    .kernarg_segment_size: 136
    .language:       OpenCL C
    .language_version:
      - 2
      - 0
    .max_flat_workgroup_size: 256
    .name:           _ZN7rocprim17ROCPRIM_400000_NS6detail17trampoline_kernelINS0_14default_configENS1_25partition_config_selectorILNS1_17partition_subalgoE1EyNS0_10empty_typeEbEEZZNS1_14partition_implILS5_1ELb0ES3_jN6thrust23THRUST_200600_302600_NS6detail15normal_iteratorINSA_10device_ptrIyEEEEPS6_NSA_18transform_iteratorI7is_evenIyESF_NSA_11use_defaultESK_EENS0_5tupleIJNSA_16discard_iteratorISK_EESF_EEENSM_IJSG_SG_EEES6_PlJS6_EEE10hipError_tPvRmT3_T4_T5_T6_T7_T9_mT8_P12ihipStream_tbDpT10_ENKUlT_T0_E_clISt17integral_constantIbLb0EES1B_EEDaS16_S17_EUlS16_E_NS1_11comp_targetILNS1_3genE10ELNS1_11target_archE1200ELNS1_3gpuE4ELNS1_3repE0EEENS1_30default_config_static_selectorELNS0_4arch9wavefront6targetE1EEEvT1_
    .private_segment_fixed_size: 0
    .sgpr_count:     6
    .sgpr_spill_count: 0
    .symbol:         _ZN7rocprim17ROCPRIM_400000_NS6detail17trampoline_kernelINS0_14default_configENS1_25partition_config_selectorILNS1_17partition_subalgoE1EyNS0_10empty_typeEbEEZZNS1_14partition_implILS5_1ELb0ES3_jN6thrust23THRUST_200600_302600_NS6detail15normal_iteratorINSA_10device_ptrIyEEEEPS6_NSA_18transform_iteratorI7is_evenIyESF_NSA_11use_defaultESK_EENS0_5tupleIJNSA_16discard_iteratorISK_EESF_EEENSM_IJSG_SG_EEES6_PlJS6_EEE10hipError_tPvRmT3_T4_T5_T6_T7_T9_mT8_P12ihipStream_tbDpT10_ENKUlT_T0_E_clISt17integral_constantIbLb0EES1B_EEDaS16_S17_EUlS16_E_NS1_11comp_targetILNS1_3genE10ELNS1_11target_archE1200ELNS1_3gpuE4ELNS1_3repE0EEENS1_30default_config_static_selectorELNS0_4arch9wavefront6targetE1EEEvT1_.kd
    .uniform_work_group_size: 1
    .uses_dynamic_stack: false
    .vgpr_count:     0
    .vgpr_spill_count: 0
    .wavefront_size: 64
  - .agpr_count:     0
    .args:
      - .offset:         0
        .size:           136
        .value_kind:     by_value
    .group_segment_fixed_size: 0
    .kernarg_segment_align: 8
    .kernarg_segment_size: 136
    .language:       OpenCL C
    .language_version:
      - 2
      - 0
    .max_flat_workgroup_size: 128
    .name:           _ZN7rocprim17ROCPRIM_400000_NS6detail17trampoline_kernelINS0_14default_configENS1_25partition_config_selectorILNS1_17partition_subalgoE1EyNS0_10empty_typeEbEEZZNS1_14partition_implILS5_1ELb0ES3_jN6thrust23THRUST_200600_302600_NS6detail15normal_iteratorINSA_10device_ptrIyEEEEPS6_NSA_18transform_iteratorI7is_evenIyESF_NSA_11use_defaultESK_EENS0_5tupleIJNSA_16discard_iteratorISK_EESF_EEENSM_IJSG_SG_EEES6_PlJS6_EEE10hipError_tPvRmT3_T4_T5_T6_T7_T9_mT8_P12ihipStream_tbDpT10_ENKUlT_T0_E_clISt17integral_constantIbLb0EES1B_EEDaS16_S17_EUlS16_E_NS1_11comp_targetILNS1_3genE9ELNS1_11target_archE1100ELNS1_3gpuE3ELNS1_3repE0EEENS1_30default_config_static_selectorELNS0_4arch9wavefront6targetE1EEEvT1_
    .private_segment_fixed_size: 0
    .sgpr_count:     6
    .sgpr_spill_count: 0
    .symbol:         _ZN7rocprim17ROCPRIM_400000_NS6detail17trampoline_kernelINS0_14default_configENS1_25partition_config_selectorILNS1_17partition_subalgoE1EyNS0_10empty_typeEbEEZZNS1_14partition_implILS5_1ELb0ES3_jN6thrust23THRUST_200600_302600_NS6detail15normal_iteratorINSA_10device_ptrIyEEEEPS6_NSA_18transform_iteratorI7is_evenIyESF_NSA_11use_defaultESK_EENS0_5tupleIJNSA_16discard_iteratorISK_EESF_EEENSM_IJSG_SG_EEES6_PlJS6_EEE10hipError_tPvRmT3_T4_T5_T6_T7_T9_mT8_P12ihipStream_tbDpT10_ENKUlT_T0_E_clISt17integral_constantIbLb0EES1B_EEDaS16_S17_EUlS16_E_NS1_11comp_targetILNS1_3genE9ELNS1_11target_archE1100ELNS1_3gpuE3ELNS1_3repE0EEENS1_30default_config_static_selectorELNS0_4arch9wavefront6targetE1EEEvT1_.kd
    .uniform_work_group_size: 1
    .uses_dynamic_stack: false
    .vgpr_count:     0
    .vgpr_spill_count: 0
    .wavefront_size: 64
  - .agpr_count:     0
    .args:
      - .offset:         0
        .size:           136
        .value_kind:     by_value
    .group_segment_fixed_size: 0
    .kernarg_segment_align: 8
    .kernarg_segment_size: 136
    .language:       OpenCL C
    .language_version:
      - 2
      - 0
    .max_flat_workgroup_size: 512
    .name:           _ZN7rocprim17ROCPRIM_400000_NS6detail17trampoline_kernelINS0_14default_configENS1_25partition_config_selectorILNS1_17partition_subalgoE1EyNS0_10empty_typeEbEEZZNS1_14partition_implILS5_1ELb0ES3_jN6thrust23THRUST_200600_302600_NS6detail15normal_iteratorINSA_10device_ptrIyEEEEPS6_NSA_18transform_iteratorI7is_evenIyESF_NSA_11use_defaultESK_EENS0_5tupleIJNSA_16discard_iteratorISK_EESF_EEENSM_IJSG_SG_EEES6_PlJS6_EEE10hipError_tPvRmT3_T4_T5_T6_T7_T9_mT8_P12ihipStream_tbDpT10_ENKUlT_T0_E_clISt17integral_constantIbLb0EES1B_EEDaS16_S17_EUlS16_E_NS1_11comp_targetILNS1_3genE8ELNS1_11target_archE1030ELNS1_3gpuE2ELNS1_3repE0EEENS1_30default_config_static_selectorELNS0_4arch9wavefront6targetE1EEEvT1_
    .private_segment_fixed_size: 0
    .sgpr_count:     6
    .sgpr_spill_count: 0
    .symbol:         _ZN7rocprim17ROCPRIM_400000_NS6detail17trampoline_kernelINS0_14default_configENS1_25partition_config_selectorILNS1_17partition_subalgoE1EyNS0_10empty_typeEbEEZZNS1_14partition_implILS5_1ELb0ES3_jN6thrust23THRUST_200600_302600_NS6detail15normal_iteratorINSA_10device_ptrIyEEEEPS6_NSA_18transform_iteratorI7is_evenIyESF_NSA_11use_defaultESK_EENS0_5tupleIJNSA_16discard_iteratorISK_EESF_EEENSM_IJSG_SG_EEES6_PlJS6_EEE10hipError_tPvRmT3_T4_T5_T6_T7_T9_mT8_P12ihipStream_tbDpT10_ENKUlT_T0_E_clISt17integral_constantIbLb0EES1B_EEDaS16_S17_EUlS16_E_NS1_11comp_targetILNS1_3genE8ELNS1_11target_archE1030ELNS1_3gpuE2ELNS1_3repE0EEENS1_30default_config_static_selectorELNS0_4arch9wavefront6targetE1EEEvT1_.kd
    .uniform_work_group_size: 1
    .uses_dynamic_stack: false
    .vgpr_count:     0
    .vgpr_spill_count: 0
    .wavefront_size: 64
  - .agpr_count:     0
    .args:
      - .offset:         0
        .size:           152
        .value_kind:     by_value
    .group_segment_fixed_size: 0
    .kernarg_segment_align: 8
    .kernarg_segment_size: 152
    .language:       OpenCL C
    .language_version:
      - 2
      - 0
    .max_flat_workgroup_size: 128
    .name:           _ZN7rocprim17ROCPRIM_400000_NS6detail17trampoline_kernelINS0_14default_configENS1_25partition_config_selectorILNS1_17partition_subalgoE1EyNS0_10empty_typeEbEEZZNS1_14partition_implILS5_1ELb0ES3_jN6thrust23THRUST_200600_302600_NS6detail15normal_iteratorINSA_10device_ptrIyEEEEPS6_NSA_18transform_iteratorI7is_evenIyESF_NSA_11use_defaultESK_EENS0_5tupleIJNSA_16discard_iteratorISK_EESF_EEENSM_IJSG_SG_EEES6_PlJS6_EEE10hipError_tPvRmT3_T4_T5_T6_T7_T9_mT8_P12ihipStream_tbDpT10_ENKUlT_T0_E_clISt17integral_constantIbLb1EES1B_EEDaS16_S17_EUlS16_E_NS1_11comp_targetILNS1_3genE0ELNS1_11target_archE4294967295ELNS1_3gpuE0ELNS1_3repE0EEENS1_30default_config_static_selectorELNS0_4arch9wavefront6targetE1EEEvT1_
    .private_segment_fixed_size: 0
    .sgpr_count:     6
    .sgpr_spill_count: 0
    .symbol:         _ZN7rocprim17ROCPRIM_400000_NS6detail17trampoline_kernelINS0_14default_configENS1_25partition_config_selectorILNS1_17partition_subalgoE1EyNS0_10empty_typeEbEEZZNS1_14partition_implILS5_1ELb0ES3_jN6thrust23THRUST_200600_302600_NS6detail15normal_iteratorINSA_10device_ptrIyEEEEPS6_NSA_18transform_iteratorI7is_evenIyESF_NSA_11use_defaultESK_EENS0_5tupleIJNSA_16discard_iteratorISK_EESF_EEENSM_IJSG_SG_EEES6_PlJS6_EEE10hipError_tPvRmT3_T4_T5_T6_T7_T9_mT8_P12ihipStream_tbDpT10_ENKUlT_T0_E_clISt17integral_constantIbLb1EES1B_EEDaS16_S17_EUlS16_E_NS1_11comp_targetILNS1_3genE0ELNS1_11target_archE4294967295ELNS1_3gpuE0ELNS1_3repE0EEENS1_30default_config_static_selectorELNS0_4arch9wavefront6targetE1EEEvT1_.kd
    .uniform_work_group_size: 1
    .uses_dynamic_stack: false
    .vgpr_count:     0
    .vgpr_spill_count: 0
    .wavefront_size: 64
  - .agpr_count:     0
    .args:
      - .offset:         0
        .size:           152
        .value_kind:     by_value
    .group_segment_fixed_size: 28680
    .kernarg_segment_align: 8
    .kernarg_segment_size: 152
    .language:       OpenCL C
    .language_version:
      - 2
      - 0
    .max_flat_workgroup_size: 512
    .name:           _ZN7rocprim17ROCPRIM_400000_NS6detail17trampoline_kernelINS0_14default_configENS1_25partition_config_selectorILNS1_17partition_subalgoE1EyNS0_10empty_typeEbEEZZNS1_14partition_implILS5_1ELb0ES3_jN6thrust23THRUST_200600_302600_NS6detail15normal_iteratorINSA_10device_ptrIyEEEEPS6_NSA_18transform_iteratorI7is_evenIyESF_NSA_11use_defaultESK_EENS0_5tupleIJNSA_16discard_iteratorISK_EESF_EEENSM_IJSG_SG_EEES6_PlJS6_EEE10hipError_tPvRmT3_T4_T5_T6_T7_T9_mT8_P12ihipStream_tbDpT10_ENKUlT_T0_E_clISt17integral_constantIbLb1EES1B_EEDaS16_S17_EUlS16_E_NS1_11comp_targetILNS1_3genE5ELNS1_11target_archE942ELNS1_3gpuE9ELNS1_3repE0EEENS1_30default_config_static_selectorELNS0_4arch9wavefront6targetE1EEEvT1_
    .private_segment_fixed_size: 0
    .sgpr_count:     48
    .sgpr_spill_count: 0
    .symbol:         _ZN7rocprim17ROCPRIM_400000_NS6detail17trampoline_kernelINS0_14default_configENS1_25partition_config_selectorILNS1_17partition_subalgoE1EyNS0_10empty_typeEbEEZZNS1_14partition_implILS5_1ELb0ES3_jN6thrust23THRUST_200600_302600_NS6detail15normal_iteratorINSA_10device_ptrIyEEEEPS6_NSA_18transform_iteratorI7is_evenIyESF_NSA_11use_defaultESK_EENS0_5tupleIJNSA_16discard_iteratorISK_EESF_EEENSM_IJSG_SG_EEES6_PlJS6_EEE10hipError_tPvRmT3_T4_T5_T6_T7_T9_mT8_P12ihipStream_tbDpT10_ENKUlT_T0_E_clISt17integral_constantIbLb1EES1B_EEDaS16_S17_EUlS16_E_NS1_11comp_targetILNS1_3genE5ELNS1_11target_archE942ELNS1_3gpuE9ELNS1_3repE0EEENS1_30default_config_static_selectorELNS0_4arch9wavefront6targetE1EEEvT1_.kd
    .uniform_work_group_size: 1
    .uses_dynamic_stack: false
    .vgpr_count:     58
    .vgpr_spill_count: 0
    .wavefront_size: 64
  - .agpr_count:     0
    .args:
      - .offset:         0
        .size:           152
        .value_kind:     by_value
    .group_segment_fixed_size: 0
    .kernarg_segment_align: 8
    .kernarg_segment_size: 152
    .language:       OpenCL C
    .language_version:
      - 2
      - 0
    .max_flat_workgroup_size: 192
    .name:           _ZN7rocprim17ROCPRIM_400000_NS6detail17trampoline_kernelINS0_14default_configENS1_25partition_config_selectorILNS1_17partition_subalgoE1EyNS0_10empty_typeEbEEZZNS1_14partition_implILS5_1ELb0ES3_jN6thrust23THRUST_200600_302600_NS6detail15normal_iteratorINSA_10device_ptrIyEEEEPS6_NSA_18transform_iteratorI7is_evenIyESF_NSA_11use_defaultESK_EENS0_5tupleIJNSA_16discard_iteratorISK_EESF_EEENSM_IJSG_SG_EEES6_PlJS6_EEE10hipError_tPvRmT3_T4_T5_T6_T7_T9_mT8_P12ihipStream_tbDpT10_ENKUlT_T0_E_clISt17integral_constantIbLb1EES1B_EEDaS16_S17_EUlS16_E_NS1_11comp_targetILNS1_3genE4ELNS1_11target_archE910ELNS1_3gpuE8ELNS1_3repE0EEENS1_30default_config_static_selectorELNS0_4arch9wavefront6targetE1EEEvT1_
    .private_segment_fixed_size: 0
    .sgpr_count:     6
    .sgpr_spill_count: 0
    .symbol:         _ZN7rocprim17ROCPRIM_400000_NS6detail17trampoline_kernelINS0_14default_configENS1_25partition_config_selectorILNS1_17partition_subalgoE1EyNS0_10empty_typeEbEEZZNS1_14partition_implILS5_1ELb0ES3_jN6thrust23THRUST_200600_302600_NS6detail15normal_iteratorINSA_10device_ptrIyEEEEPS6_NSA_18transform_iteratorI7is_evenIyESF_NSA_11use_defaultESK_EENS0_5tupleIJNSA_16discard_iteratorISK_EESF_EEENSM_IJSG_SG_EEES6_PlJS6_EEE10hipError_tPvRmT3_T4_T5_T6_T7_T9_mT8_P12ihipStream_tbDpT10_ENKUlT_T0_E_clISt17integral_constantIbLb1EES1B_EEDaS16_S17_EUlS16_E_NS1_11comp_targetILNS1_3genE4ELNS1_11target_archE910ELNS1_3gpuE8ELNS1_3repE0EEENS1_30default_config_static_selectorELNS0_4arch9wavefront6targetE1EEEvT1_.kd
    .uniform_work_group_size: 1
    .uses_dynamic_stack: false
    .vgpr_count:     0
    .vgpr_spill_count: 0
    .wavefront_size: 64
  - .agpr_count:     0
    .args:
      - .offset:         0
        .size:           152
        .value_kind:     by_value
    .group_segment_fixed_size: 0
    .kernarg_segment_align: 8
    .kernarg_segment_size: 152
    .language:       OpenCL C
    .language_version:
      - 2
      - 0
    .max_flat_workgroup_size: 128
    .name:           _ZN7rocprim17ROCPRIM_400000_NS6detail17trampoline_kernelINS0_14default_configENS1_25partition_config_selectorILNS1_17partition_subalgoE1EyNS0_10empty_typeEbEEZZNS1_14partition_implILS5_1ELb0ES3_jN6thrust23THRUST_200600_302600_NS6detail15normal_iteratorINSA_10device_ptrIyEEEEPS6_NSA_18transform_iteratorI7is_evenIyESF_NSA_11use_defaultESK_EENS0_5tupleIJNSA_16discard_iteratorISK_EESF_EEENSM_IJSG_SG_EEES6_PlJS6_EEE10hipError_tPvRmT3_T4_T5_T6_T7_T9_mT8_P12ihipStream_tbDpT10_ENKUlT_T0_E_clISt17integral_constantIbLb1EES1B_EEDaS16_S17_EUlS16_E_NS1_11comp_targetILNS1_3genE3ELNS1_11target_archE908ELNS1_3gpuE7ELNS1_3repE0EEENS1_30default_config_static_selectorELNS0_4arch9wavefront6targetE1EEEvT1_
    .private_segment_fixed_size: 0
    .sgpr_count:     6
    .sgpr_spill_count: 0
    .symbol:         _ZN7rocprim17ROCPRIM_400000_NS6detail17trampoline_kernelINS0_14default_configENS1_25partition_config_selectorILNS1_17partition_subalgoE1EyNS0_10empty_typeEbEEZZNS1_14partition_implILS5_1ELb0ES3_jN6thrust23THRUST_200600_302600_NS6detail15normal_iteratorINSA_10device_ptrIyEEEEPS6_NSA_18transform_iteratorI7is_evenIyESF_NSA_11use_defaultESK_EENS0_5tupleIJNSA_16discard_iteratorISK_EESF_EEENSM_IJSG_SG_EEES6_PlJS6_EEE10hipError_tPvRmT3_T4_T5_T6_T7_T9_mT8_P12ihipStream_tbDpT10_ENKUlT_T0_E_clISt17integral_constantIbLb1EES1B_EEDaS16_S17_EUlS16_E_NS1_11comp_targetILNS1_3genE3ELNS1_11target_archE908ELNS1_3gpuE7ELNS1_3repE0EEENS1_30default_config_static_selectorELNS0_4arch9wavefront6targetE1EEEvT1_.kd
    .uniform_work_group_size: 1
    .uses_dynamic_stack: false
    .vgpr_count:     0
    .vgpr_spill_count: 0
    .wavefront_size: 64
  - .agpr_count:     0
    .args:
      - .offset:         0
        .size:           152
        .value_kind:     by_value
    .group_segment_fixed_size: 0
    .kernarg_segment_align: 8
    .kernarg_segment_size: 152
    .language:       OpenCL C
    .language_version:
      - 2
      - 0
    .max_flat_workgroup_size: 256
    .name:           _ZN7rocprim17ROCPRIM_400000_NS6detail17trampoline_kernelINS0_14default_configENS1_25partition_config_selectorILNS1_17partition_subalgoE1EyNS0_10empty_typeEbEEZZNS1_14partition_implILS5_1ELb0ES3_jN6thrust23THRUST_200600_302600_NS6detail15normal_iteratorINSA_10device_ptrIyEEEEPS6_NSA_18transform_iteratorI7is_evenIyESF_NSA_11use_defaultESK_EENS0_5tupleIJNSA_16discard_iteratorISK_EESF_EEENSM_IJSG_SG_EEES6_PlJS6_EEE10hipError_tPvRmT3_T4_T5_T6_T7_T9_mT8_P12ihipStream_tbDpT10_ENKUlT_T0_E_clISt17integral_constantIbLb1EES1B_EEDaS16_S17_EUlS16_E_NS1_11comp_targetILNS1_3genE2ELNS1_11target_archE906ELNS1_3gpuE6ELNS1_3repE0EEENS1_30default_config_static_selectorELNS0_4arch9wavefront6targetE1EEEvT1_
    .private_segment_fixed_size: 0
    .sgpr_count:     6
    .sgpr_spill_count: 0
    .symbol:         _ZN7rocprim17ROCPRIM_400000_NS6detail17trampoline_kernelINS0_14default_configENS1_25partition_config_selectorILNS1_17partition_subalgoE1EyNS0_10empty_typeEbEEZZNS1_14partition_implILS5_1ELb0ES3_jN6thrust23THRUST_200600_302600_NS6detail15normal_iteratorINSA_10device_ptrIyEEEEPS6_NSA_18transform_iteratorI7is_evenIyESF_NSA_11use_defaultESK_EENS0_5tupleIJNSA_16discard_iteratorISK_EESF_EEENSM_IJSG_SG_EEES6_PlJS6_EEE10hipError_tPvRmT3_T4_T5_T6_T7_T9_mT8_P12ihipStream_tbDpT10_ENKUlT_T0_E_clISt17integral_constantIbLb1EES1B_EEDaS16_S17_EUlS16_E_NS1_11comp_targetILNS1_3genE2ELNS1_11target_archE906ELNS1_3gpuE6ELNS1_3repE0EEENS1_30default_config_static_selectorELNS0_4arch9wavefront6targetE1EEEvT1_.kd
    .uniform_work_group_size: 1
    .uses_dynamic_stack: false
    .vgpr_count:     0
    .vgpr_spill_count: 0
    .wavefront_size: 64
  - .agpr_count:     0
    .args:
      - .offset:         0
        .size:           152
        .value_kind:     by_value
    .group_segment_fixed_size: 0
    .kernarg_segment_align: 8
    .kernarg_segment_size: 152
    .language:       OpenCL C
    .language_version:
      - 2
      - 0
    .max_flat_workgroup_size: 256
    .name:           _ZN7rocprim17ROCPRIM_400000_NS6detail17trampoline_kernelINS0_14default_configENS1_25partition_config_selectorILNS1_17partition_subalgoE1EyNS0_10empty_typeEbEEZZNS1_14partition_implILS5_1ELb0ES3_jN6thrust23THRUST_200600_302600_NS6detail15normal_iteratorINSA_10device_ptrIyEEEEPS6_NSA_18transform_iteratorI7is_evenIyESF_NSA_11use_defaultESK_EENS0_5tupleIJNSA_16discard_iteratorISK_EESF_EEENSM_IJSG_SG_EEES6_PlJS6_EEE10hipError_tPvRmT3_T4_T5_T6_T7_T9_mT8_P12ihipStream_tbDpT10_ENKUlT_T0_E_clISt17integral_constantIbLb1EES1B_EEDaS16_S17_EUlS16_E_NS1_11comp_targetILNS1_3genE10ELNS1_11target_archE1200ELNS1_3gpuE4ELNS1_3repE0EEENS1_30default_config_static_selectorELNS0_4arch9wavefront6targetE1EEEvT1_
    .private_segment_fixed_size: 0
    .sgpr_count:     6
    .sgpr_spill_count: 0
    .symbol:         _ZN7rocprim17ROCPRIM_400000_NS6detail17trampoline_kernelINS0_14default_configENS1_25partition_config_selectorILNS1_17partition_subalgoE1EyNS0_10empty_typeEbEEZZNS1_14partition_implILS5_1ELb0ES3_jN6thrust23THRUST_200600_302600_NS6detail15normal_iteratorINSA_10device_ptrIyEEEEPS6_NSA_18transform_iteratorI7is_evenIyESF_NSA_11use_defaultESK_EENS0_5tupleIJNSA_16discard_iteratorISK_EESF_EEENSM_IJSG_SG_EEES6_PlJS6_EEE10hipError_tPvRmT3_T4_T5_T6_T7_T9_mT8_P12ihipStream_tbDpT10_ENKUlT_T0_E_clISt17integral_constantIbLb1EES1B_EEDaS16_S17_EUlS16_E_NS1_11comp_targetILNS1_3genE10ELNS1_11target_archE1200ELNS1_3gpuE4ELNS1_3repE0EEENS1_30default_config_static_selectorELNS0_4arch9wavefront6targetE1EEEvT1_.kd
    .uniform_work_group_size: 1
    .uses_dynamic_stack: false
    .vgpr_count:     0
    .vgpr_spill_count: 0
    .wavefront_size: 64
  - .agpr_count:     0
    .args:
      - .offset:         0
        .size:           152
        .value_kind:     by_value
    .group_segment_fixed_size: 0
    .kernarg_segment_align: 8
    .kernarg_segment_size: 152
    .language:       OpenCL C
    .language_version:
      - 2
      - 0
    .max_flat_workgroup_size: 128
    .name:           _ZN7rocprim17ROCPRIM_400000_NS6detail17trampoline_kernelINS0_14default_configENS1_25partition_config_selectorILNS1_17partition_subalgoE1EyNS0_10empty_typeEbEEZZNS1_14partition_implILS5_1ELb0ES3_jN6thrust23THRUST_200600_302600_NS6detail15normal_iteratorINSA_10device_ptrIyEEEEPS6_NSA_18transform_iteratorI7is_evenIyESF_NSA_11use_defaultESK_EENS0_5tupleIJNSA_16discard_iteratorISK_EESF_EEENSM_IJSG_SG_EEES6_PlJS6_EEE10hipError_tPvRmT3_T4_T5_T6_T7_T9_mT8_P12ihipStream_tbDpT10_ENKUlT_T0_E_clISt17integral_constantIbLb1EES1B_EEDaS16_S17_EUlS16_E_NS1_11comp_targetILNS1_3genE9ELNS1_11target_archE1100ELNS1_3gpuE3ELNS1_3repE0EEENS1_30default_config_static_selectorELNS0_4arch9wavefront6targetE1EEEvT1_
    .private_segment_fixed_size: 0
    .sgpr_count:     6
    .sgpr_spill_count: 0
    .symbol:         _ZN7rocprim17ROCPRIM_400000_NS6detail17trampoline_kernelINS0_14default_configENS1_25partition_config_selectorILNS1_17partition_subalgoE1EyNS0_10empty_typeEbEEZZNS1_14partition_implILS5_1ELb0ES3_jN6thrust23THRUST_200600_302600_NS6detail15normal_iteratorINSA_10device_ptrIyEEEEPS6_NSA_18transform_iteratorI7is_evenIyESF_NSA_11use_defaultESK_EENS0_5tupleIJNSA_16discard_iteratorISK_EESF_EEENSM_IJSG_SG_EEES6_PlJS6_EEE10hipError_tPvRmT3_T4_T5_T6_T7_T9_mT8_P12ihipStream_tbDpT10_ENKUlT_T0_E_clISt17integral_constantIbLb1EES1B_EEDaS16_S17_EUlS16_E_NS1_11comp_targetILNS1_3genE9ELNS1_11target_archE1100ELNS1_3gpuE3ELNS1_3repE0EEENS1_30default_config_static_selectorELNS0_4arch9wavefront6targetE1EEEvT1_.kd
    .uniform_work_group_size: 1
    .uses_dynamic_stack: false
    .vgpr_count:     0
    .vgpr_spill_count: 0
    .wavefront_size: 64
  - .agpr_count:     0
    .args:
      - .offset:         0
        .size:           152
        .value_kind:     by_value
    .group_segment_fixed_size: 0
    .kernarg_segment_align: 8
    .kernarg_segment_size: 152
    .language:       OpenCL C
    .language_version:
      - 2
      - 0
    .max_flat_workgroup_size: 512
    .name:           _ZN7rocprim17ROCPRIM_400000_NS6detail17trampoline_kernelINS0_14default_configENS1_25partition_config_selectorILNS1_17partition_subalgoE1EyNS0_10empty_typeEbEEZZNS1_14partition_implILS5_1ELb0ES3_jN6thrust23THRUST_200600_302600_NS6detail15normal_iteratorINSA_10device_ptrIyEEEEPS6_NSA_18transform_iteratorI7is_evenIyESF_NSA_11use_defaultESK_EENS0_5tupleIJNSA_16discard_iteratorISK_EESF_EEENSM_IJSG_SG_EEES6_PlJS6_EEE10hipError_tPvRmT3_T4_T5_T6_T7_T9_mT8_P12ihipStream_tbDpT10_ENKUlT_T0_E_clISt17integral_constantIbLb1EES1B_EEDaS16_S17_EUlS16_E_NS1_11comp_targetILNS1_3genE8ELNS1_11target_archE1030ELNS1_3gpuE2ELNS1_3repE0EEENS1_30default_config_static_selectorELNS0_4arch9wavefront6targetE1EEEvT1_
    .private_segment_fixed_size: 0
    .sgpr_count:     6
    .sgpr_spill_count: 0
    .symbol:         _ZN7rocprim17ROCPRIM_400000_NS6detail17trampoline_kernelINS0_14default_configENS1_25partition_config_selectorILNS1_17partition_subalgoE1EyNS0_10empty_typeEbEEZZNS1_14partition_implILS5_1ELb0ES3_jN6thrust23THRUST_200600_302600_NS6detail15normal_iteratorINSA_10device_ptrIyEEEEPS6_NSA_18transform_iteratorI7is_evenIyESF_NSA_11use_defaultESK_EENS0_5tupleIJNSA_16discard_iteratorISK_EESF_EEENSM_IJSG_SG_EEES6_PlJS6_EEE10hipError_tPvRmT3_T4_T5_T6_T7_T9_mT8_P12ihipStream_tbDpT10_ENKUlT_T0_E_clISt17integral_constantIbLb1EES1B_EEDaS16_S17_EUlS16_E_NS1_11comp_targetILNS1_3genE8ELNS1_11target_archE1030ELNS1_3gpuE2ELNS1_3repE0EEENS1_30default_config_static_selectorELNS0_4arch9wavefront6targetE1EEEvT1_.kd
    .uniform_work_group_size: 1
    .uses_dynamic_stack: false
    .vgpr_count:     0
    .vgpr_spill_count: 0
    .wavefront_size: 64
  - .agpr_count:     0
    .args:
      - .offset:         0
        .size:           136
        .value_kind:     by_value
    .group_segment_fixed_size: 0
    .kernarg_segment_align: 8
    .kernarg_segment_size: 136
    .language:       OpenCL C
    .language_version:
      - 2
      - 0
    .max_flat_workgroup_size: 128
    .name:           _ZN7rocprim17ROCPRIM_400000_NS6detail17trampoline_kernelINS0_14default_configENS1_25partition_config_selectorILNS1_17partition_subalgoE1EyNS0_10empty_typeEbEEZZNS1_14partition_implILS5_1ELb0ES3_jN6thrust23THRUST_200600_302600_NS6detail15normal_iteratorINSA_10device_ptrIyEEEEPS6_NSA_18transform_iteratorI7is_evenIyESF_NSA_11use_defaultESK_EENS0_5tupleIJNSA_16discard_iteratorISK_EESF_EEENSM_IJSG_SG_EEES6_PlJS6_EEE10hipError_tPvRmT3_T4_T5_T6_T7_T9_mT8_P12ihipStream_tbDpT10_ENKUlT_T0_E_clISt17integral_constantIbLb1EES1A_IbLb0EEEEDaS16_S17_EUlS16_E_NS1_11comp_targetILNS1_3genE0ELNS1_11target_archE4294967295ELNS1_3gpuE0ELNS1_3repE0EEENS1_30default_config_static_selectorELNS0_4arch9wavefront6targetE1EEEvT1_
    .private_segment_fixed_size: 0
    .sgpr_count:     6
    .sgpr_spill_count: 0
    .symbol:         _ZN7rocprim17ROCPRIM_400000_NS6detail17trampoline_kernelINS0_14default_configENS1_25partition_config_selectorILNS1_17partition_subalgoE1EyNS0_10empty_typeEbEEZZNS1_14partition_implILS5_1ELb0ES3_jN6thrust23THRUST_200600_302600_NS6detail15normal_iteratorINSA_10device_ptrIyEEEEPS6_NSA_18transform_iteratorI7is_evenIyESF_NSA_11use_defaultESK_EENS0_5tupleIJNSA_16discard_iteratorISK_EESF_EEENSM_IJSG_SG_EEES6_PlJS6_EEE10hipError_tPvRmT3_T4_T5_T6_T7_T9_mT8_P12ihipStream_tbDpT10_ENKUlT_T0_E_clISt17integral_constantIbLb1EES1A_IbLb0EEEEDaS16_S17_EUlS16_E_NS1_11comp_targetILNS1_3genE0ELNS1_11target_archE4294967295ELNS1_3gpuE0ELNS1_3repE0EEENS1_30default_config_static_selectorELNS0_4arch9wavefront6targetE1EEEvT1_.kd
    .uniform_work_group_size: 1
    .uses_dynamic_stack: false
    .vgpr_count:     0
    .vgpr_spill_count: 0
    .wavefront_size: 64
  - .agpr_count:     0
    .args:
      - .offset:         0
        .size:           136
        .value_kind:     by_value
    .group_segment_fixed_size: 28680
    .kernarg_segment_align: 8
    .kernarg_segment_size: 136
    .language:       OpenCL C
    .language_version:
      - 2
      - 0
    .max_flat_workgroup_size: 512
    .name:           _ZN7rocprim17ROCPRIM_400000_NS6detail17trampoline_kernelINS0_14default_configENS1_25partition_config_selectorILNS1_17partition_subalgoE1EyNS0_10empty_typeEbEEZZNS1_14partition_implILS5_1ELb0ES3_jN6thrust23THRUST_200600_302600_NS6detail15normal_iteratorINSA_10device_ptrIyEEEEPS6_NSA_18transform_iteratorI7is_evenIyESF_NSA_11use_defaultESK_EENS0_5tupleIJNSA_16discard_iteratorISK_EESF_EEENSM_IJSG_SG_EEES6_PlJS6_EEE10hipError_tPvRmT3_T4_T5_T6_T7_T9_mT8_P12ihipStream_tbDpT10_ENKUlT_T0_E_clISt17integral_constantIbLb1EES1A_IbLb0EEEEDaS16_S17_EUlS16_E_NS1_11comp_targetILNS1_3genE5ELNS1_11target_archE942ELNS1_3gpuE9ELNS1_3repE0EEENS1_30default_config_static_selectorELNS0_4arch9wavefront6targetE1EEEvT1_
    .private_segment_fixed_size: 0
    .sgpr_count:     50
    .sgpr_spill_count: 0
    .symbol:         _ZN7rocprim17ROCPRIM_400000_NS6detail17trampoline_kernelINS0_14default_configENS1_25partition_config_selectorILNS1_17partition_subalgoE1EyNS0_10empty_typeEbEEZZNS1_14partition_implILS5_1ELb0ES3_jN6thrust23THRUST_200600_302600_NS6detail15normal_iteratorINSA_10device_ptrIyEEEEPS6_NSA_18transform_iteratorI7is_evenIyESF_NSA_11use_defaultESK_EENS0_5tupleIJNSA_16discard_iteratorISK_EESF_EEENSM_IJSG_SG_EEES6_PlJS6_EEE10hipError_tPvRmT3_T4_T5_T6_T7_T9_mT8_P12ihipStream_tbDpT10_ENKUlT_T0_E_clISt17integral_constantIbLb1EES1A_IbLb0EEEEDaS16_S17_EUlS16_E_NS1_11comp_targetILNS1_3genE5ELNS1_11target_archE942ELNS1_3gpuE9ELNS1_3repE0EEENS1_30default_config_static_selectorELNS0_4arch9wavefront6targetE1EEEvT1_.kd
    .uniform_work_group_size: 1
    .uses_dynamic_stack: false
    .vgpr_count:     54
    .vgpr_spill_count: 0
    .wavefront_size: 64
  - .agpr_count:     0
    .args:
      - .offset:         0
        .size:           136
        .value_kind:     by_value
    .group_segment_fixed_size: 0
    .kernarg_segment_align: 8
    .kernarg_segment_size: 136
    .language:       OpenCL C
    .language_version:
      - 2
      - 0
    .max_flat_workgroup_size: 192
    .name:           _ZN7rocprim17ROCPRIM_400000_NS6detail17trampoline_kernelINS0_14default_configENS1_25partition_config_selectorILNS1_17partition_subalgoE1EyNS0_10empty_typeEbEEZZNS1_14partition_implILS5_1ELb0ES3_jN6thrust23THRUST_200600_302600_NS6detail15normal_iteratorINSA_10device_ptrIyEEEEPS6_NSA_18transform_iteratorI7is_evenIyESF_NSA_11use_defaultESK_EENS0_5tupleIJNSA_16discard_iteratorISK_EESF_EEENSM_IJSG_SG_EEES6_PlJS6_EEE10hipError_tPvRmT3_T4_T5_T6_T7_T9_mT8_P12ihipStream_tbDpT10_ENKUlT_T0_E_clISt17integral_constantIbLb1EES1A_IbLb0EEEEDaS16_S17_EUlS16_E_NS1_11comp_targetILNS1_3genE4ELNS1_11target_archE910ELNS1_3gpuE8ELNS1_3repE0EEENS1_30default_config_static_selectorELNS0_4arch9wavefront6targetE1EEEvT1_
    .private_segment_fixed_size: 0
    .sgpr_count:     6
    .sgpr_spill_count: 0
    .symbol:         _ZN7rocprim17ROCPRIM_400000_NS6detail17trampoline_kernelINS0_14default_configENS1_25partition_config_selectorILNS1_17partition_subalgoE1EyNS0_10empty_typeEbEEZZNS1_14partition_implILS5_1ELb0ES3_jN6thrust23THRUST_200600_302600_NS6detail15normal_iteratorINSA_10device_ptrIyEEEEPS6_NSA_18transform_iteratorI7is_evenIyESF_NSA_11use_defaultESK_EENS0_5tupleIJNSA_16discard_iteratorISK_EESF_EEENSM_IJSG_SG_EEES6_PlJS6_EEE10hipError_tPvRmT3_T4_T5_T6_T7_T9_mT8_P12ihipStream_tbDpT10_ENKUlT_T0_E_clISt17integral_constantIbLb1EES1A_IbLb0EEEEDaS16_S17_EUlS16_E_NS1_11comp_targetILNS1_3genE4ELNS1_11target_archE910ELNS1_3gpuE8ELNS1_3repE0EEENS1_30default_config_static_selectorELNS0_4arch9wavefront6targetE1EEEvT1_.kd
    .uniform_work_group_size: 1
    .uses_dynamic_stack: false
    .vgpr_count:     0
    .vgpr_spill_count: 0
    .wavefront_size: 64
  - .agpr_count:     0
    .args:
      - .offset:         0
        .size:           136
        .value_kind:     by_value
    .group_segment_fixed_size: 0
    .kernarg_segment_align: 8
    .kernarg_segment_size: 136
    .language:       OpenCL C
    .language_version:
      - 2
      - 0
    .max_flat_workgroup_size: 128
    .name:           _ZN7rocprim17ROCPRIM_400000_NS6detail17trampoline_kernelINS0_14default_configENS1_25partition_config_selectorILNS1_17partition_subalgoE1EyNS0_10empty_typeEbEEZZNS1_14partition_implILS5_1ELb0ES3_jN6thrust23THRUST_200600_302600_NS6detail15normal_iteratorINSA_10device_ptrIyEEEEPS6_NSA_18transform_iteratorI7is_evenIyESF_NSA_11use_defaultESK_EENS0_5tupleIJNSA_16discard_iteratorISK_EESF_EEENSM_IJSG_SG_EEES6_PlJS6_EEE10hipError_tPvRmT3_T4_T5_T6_T7_T9_mT8_P12ihipStream_tbDpT10_ENKUlT_T0_E_clISt17integral_constantIbLb1EES1A_IbLb0EEEEDaS16_S17_EUlS16_E_NS1_11comp_targetILNS1_3genE3ELNS1_11target_archE908ELNS1_3gpuE7ELNS1_3repE0EEENS1_30default_config_static_selectorELNS0_4arch9wavefront6targetE1EEEvT1_
    .private_segment_fixed_size: 0
    .sgpr_count:     6
    .sgpr_spill_count: 0
    .symbol:         _ZN7rocprim17ROCPRIM_400000_NS6detail17trampoline_kernelINS0_14default_configENS1_25partition_config_selectorILNS1_17partition_subalgoE1EyNS0_10empty_typeEbEEZZNS1_14partition_implILS5_1ELb0ES3_jN6thrust23THRUST_200600_302600_NS6detail15normal_iteratorINSA_10device_ptrIyEEEEPS6_NSA_18transform_iteratorI7is_evenIyESF_NSA_11use_defaultESK_EENS0_5tupleIJNSA_16discard_iteratorISK_EESF_EEENSM_IJSG_SG_EEES6_PlJS6_EEE10hipError_tPvRmT3_T4_T5_T6_T7_T9_mT8_P12ihipStream_tbDpT10_ENKUlT_T0_E_clISt17integral_constantIbLb1EES1A_IbLb0EEEEDaS16_S17_EUlS16_E_NS1_11comp_targetILNS1_3genE3ELNS1_11target_archE908ELNS1_3gpuE7ELNS1_3repE0EEENS1_30default_config_static_selectorELNS0_4arch9wavefront6targetE1EEEvT1_.kd
    .uniform_work_group_size: 1
    .uses_dynamic_stack: false
    .vgpr_count:     0
    .vgpr_spill_count: 0
    .wavefront_size: 64
  - .agpr_count:     0
    .args:
      - .offset:         0
        .size:           136
        .value_kind:     by_value
    .group_segment_fixed_size: 0
    .kernarg_segment_align: 8
    .kernarg_segment_size: 136
    .language:       OpenCL C
    .language_version:
      - 2
      - 0
    .max_flat_workgroup_size: 256
    .name:           _ZN7rocprim17ROCPRIM_400000_NS6detail17trampoline_kernelINS0_14default_configENS1_25partition_config_selectorILNS1_17partition_subalgoE1EyNS0_10empty_typeEbEEZZNS1_14partition_implILS5_1ELb0ES3_jN6thrust23THRUST_200600_302600_NS6detail15normal_iteratorINSA_10device_ptrIyEEEEPS6_NSA_18transform_iteratorI7is_evenIyESF_NSA_11use_defaultESK_EENS0_5tupleIJNSA_16discard_iteratorISK_EESF_EEENSM_IJSG_SG_EEES6_PlJS6_EEE10hipError_tPvRmT3_T4_T5_T6_T7_T9_mT8_P12ihipStream_tbDpT10_ENKUlT_T0_E_clISt17integral_constantIbLb1EES1A_IbLb0EEEEDaS16_S17_EUlS16_E_NS1_11comp_targetILNS1_3genE2ELNS1_11target_archE906ELNS1_3gpuE6ELNS1_3repE0EEENS1_30default_config_static_selectorELNS0_4arch9wavefront6targetE1EEEvT1_
    .private_segment_fixed_size: 0
    .sgpr_count:     6
    .sgpr_spill_count: 0
    .symbol:         _ZN7rocprim17ROCPRIM_400000_NS6detail17trampoline_kernelINS0_14default_configENS1_25partition_config_selectorILNS1_17partition_subalgoE1EyNS0_10empty_typeEbEEZZNS1_14partition_implILS5_1ELb0ES3_jN6thrust23THRUST_200600_302600_NS6detail15normal_iteratorINSA_10device_ptrIyEEEEPS6_NSA_18transform_iteratorI7is_evenIyESF_NSA_11use_defaultESK_EENS0_5tupleIJNSA_16discard_iteratorISK_EESF_EEENSM_IJSG_SG_EEES6_PlJS6_EEE10hipError_tPvRmT3_T4_T5_T6_T7_T9_mT8_P12ihipStream_tbDpT10_ENKUlT_T0_E_clISt17integral_constantIbLb1EES1A_IbLb0EEEEDaS16_S17_EUlS16_E_NS1_11comp_targetILNS1_3genE2ELNS1_11target_archE906ELNS1_3gpuE6ELNS1_3repE0EEENS1_30default_config_static_selectorELNS0_4arch9wavefront6targetE1EEEvT1_.kd
    .uniform_work_group_size: 1
    .uses_dynamic_stack: false
    .vgpr_count:     0
    .vgpr_spill_count: 0
    .wavefront_size: 64
  - .agpr_count:     0
    .args:
      - .offset:         0
        .size:           136
        .value_kind:     by_value
    .group_segment_fixed_size: 0
    .kernarg_segment_align: 8
    .kernarg_segment_size: 136
    .language:       OpenCL C
    .language_version:
      - 2
      - 0
    .max_flat_workgroup_size: 256
    .name:           _ZN7rocprim17ROCPRIM_400000_NS6detail17trampoline_kernelINS0_14default_configENS1_25partition_config_selectorILNS1_17partition_subalgoE1EyNS0_10empty_typeEbEEZZNS1_14partition_implILS5_1ELb0ES3_jN6thrust23THRUST_200600_302600_NS6detail15normal_iteratorINSA_10device_ptrIyEEEEPS6_NSA_18transform_iteratorI7is_evenIyESF_NSA_11use_defaultESK_EENS0_5tupleIJNSA_16discard_iteratorISK_EESF_EEENSM_IJSG_SG_EEES6_PlJS6_EEE10hipError_tPvRmT3_T4_T5_T6_T7_T9_mT8_P12ihipStream_tbDpT10_ENKUlT_T0_E_clISt17integral_constantIbLb1EES1A_IbLb0EEEEDaS16_S17_EUlS16_E_NS1_11comp_targetILNS1_3genE10ELNS1_11target_archE1200ELNS1_3gpuE4ELNS1_3repE0EEENS1_30default_config_static_selectorELNS0_4arch9wavefront6targetE1EEEvT1_
    .private_segment_fixed_size: 0
    .sgpr_count:     6
    .sgpr_spill_count: 0
    .symbol:         _ZN7rocprim17ROCPRIM_400000_NS6detail17trampoline_kernelINS0_14default_configENS1_25partition_config_selectorILNS1_17partition_subalgoE1EyNS0_10empty_typeEbEEZZNS1_14partition_implILS5_1ELb0ES3_jN6thrust23THRUST_200600_302600_NS6detail15normal_iteratorINSA_10device_ptrIyEEEEPS6_NSA_18transform_iteratorI7is_evenIyESF_NSA_11use_defaultESK_EENS0_5tupleIJNSA_16discard_iteratorISK_EESF_EEENSM_IJSG_SG_EEES6_PlJS6_EEE10hipError_tPvRmT3_T4_T5_T6_T7_T9_mT8_P12ihipStream_tbDpT10_ENKUlT_T0_E_clISt17integral_constantIbLb1EES1A_IbLb0EEEEDaS16_S17_EUlS16_E_NS1_11comp_targetILNS1_3genE10ELNS1_11target_archE1200ELNS1_3gpuE4ELNS1_3repE0EEENS1_30default_config_static_selectorELNS0_4arch9wavefront6targetE1EEEvT1_.kd
    .uniform_work_group_size: 1
    .uses_dynamic_stack: false
    .vgpr_count:     0
    .vgpr_spill_count: 0
    .wavefront_size: 64
  - .agpr_count:     0
    .args:
      - .offset:         0
        .size:           136
        .value_kind:     by_value
    .group_segment_fixed_size: 0
    .kernarg_segment_align: 8
    .kernarg_segment_size: 136
    .language:       OpenCL C
    .language_version:
      - 2
      - 0
    .max_flat_workgroup_size: 128
    .name:           _ZN7rocprim17ROCPRIM_400000_NS6detail17trampoline_kernelINS0_14default_configENS1_25partition_config_selectorILNS1_17partition_subalgoE1EyNS0_10empty_typeEbEEZZNS1_14partition_implILS5_1ELb0ES3_jN6thrust23THRUST_200600_302600_NS6detail15normal_iteratorINSA_10device_ptrIyEEEEPS6_NSA_18transform_iteratorI7is_evenIyESF_NSA_11use_defaultESK_EENS0_5tupleIJNSA_16discard_iteratorISK_EESF_EEENSM_IJSG_SG_EEES6_PlJS6_EEE10hipError_tPvRmT3_T4_T5_T6_T7_T9_mT8_P12ihipStream_tbDpT10_ENKUlT_T0_E_clISt17integral_constantIbLb1EES1A_IbLb0EEEEDaS16_S17_EUlS16_E_NS1_11comp_targetILNS1_3genE9ELNS1_11target_archE1100ELNS1_3gpuE3ELNS1_3repE0EEENS1_30default_config_static_selectorELNS0_4arch9wavefront6targetE1EEEvT1_
    .private_segment_fixed_size: 0
    .sgpr_count:     6
    .sgpr_spill_count: 0
    .symbol:         _ZN7rocprim17ROCPRIM_400000_NS6detail17trampoline_kernelINS0_14default_configENS1_25partition_config_selectorILNS1_17partition_subalgoE1EyNS0_10empty_typeEbEEZZNS1_14partition_implILS5_1ELb0ES3_jN6thrust23THRUST_200600_302600_NS6detail15normal_iteratorINSA_10device_ptrIyEEEEPS6_NSA_18transform_iteratorI7is_evenIyESF_NSA_11use_defaultESK_EENS0_5tupleIJNSA_16discard_iteratorISK_EESF_EEENSM_IJSG_SG_EEES6_PlJS6_EEE10hipError_tPvRmT3_T4_T5_T6_T7_T9_mT8_P12ihipStream_tbDpT10_ENKUlT_T0_E_clISt17integral_constantIbLb1EES1A_IbLb0EEEEDaS16_S17_EUlS16_E_NS1_11comp_targetILNS1_3genE9ELNS1_11target_archE1100ELNS1_3gpuE3ELNS1_3repE0EEENS1_30default_config_static_selectorELNS0_4arch9wavefront6targetE1EEEvT1_.kd
    .uniform_work_group_size: 1
    .uses_dynamic_stack: false
    .vgpr_count:     0
    .vgpr_spill_count: 0
    .wavefront_size: 64
  - .agpr_count:     0
    .args:
      - .offset:         0
        .size:           136
        .value_kind:     by_value
    .group_segment_fixed_size: 0
    .kernarg_segment_align: 8
    .kernarg_segment_size: 136
    .language:       OpenCL C
    .language_version:
      - 2
      - 0
    .max_flat_workgroup_size: 512
    .name:           _ZN7rocprim17ROCPRIM_400000_NS6detail17trampoline_kernelINS0_14default_configENS1_25partition_config_selectorILNS1_17partition_subalgoE1EyNS0_10empty_typeEbEEZZNS1_14partition_implILS5_1ELb0ES3_jN6thrust23THRUST_200600_302600_NS6detail15normal_iteratorINSA_10device_ptrIyEEEEPS6_NSA_18transform_iteratorI7is_evenIyESF_NSA_11use_defaultESK_EENS0_5tupleIJNSA_16discard_iteratorISK_EESF_EEENSM_IJSG_SG_EEES6_PlJS6_EEE10hipError_tPvRmT3_T4_T5_T6_T7_T9_mT8_P12ihipStream_tbDpT10_ENKUlT_T0_E_clISt17integral_constantIbLb1EES1A_IbLb0EEEEDaS16_S17_EUlS16_E_NS1_11comp_targetILNS1_3genE8ELNS1_11target_archE1030ELNS1_3gpuE2ELNS1_3repE0EEENS1_30default_config_static_selectorELNS0_4arch9wavefront6targetE1EEEvT1_
    .private_segment_fixed_size: 0
    .sgpr_count:     6
    .sgpr_spill_count: 0
    .symbol:         _ZN7rocprim17ROCPRIM_400000_NS6detail17trampoline_kernelINS0_14default_configENS1_25partition_config_selectorILNS1_17partition_subalgoE1EyNS0_10empty_typeEbEEZZNS1_14partition_implILS5_1ELb0ES3_jN6thrust23THRUST_200600_302600_NS6detail15normal_iteratorINSA_10device_ptrIyEEEEPS6_NSA_18transform_iteratorI7is_evenIyESF_NSA_11use_defaultESK_EENS0_5tupleIJNSA_16discard_iteratorISK_EESF_EEENSM_IJSG_SG_EEES6_PlJS6_EEE10hipError_tPvRmT3_T4_T5_T6_T7_T9_mT8_P12ihipStream_tbDpT10_ENKUlT_T0_E_clISt17integral_constantIbLb1EES1A_IbLb0EEEEDaS16_S17_EUlS16_E_NS1_11comp_targetILNS1_3genE8ELNS1_11target_archE1030ELNS1_3gpuE2ELNS1_3repE0EEENS1_30default_config_static_selectorELNS0_4arch9wavefront6targetE1EEEvT1_.kd
    .uniform_work_group_size: 1
    .uses_dynamic_stack: false
    .vgpr_count:     0
    .vgpr_spill_count: 0
    .wavefront_size: 64
  - .agpr_count:     0
    .args:
      - .offset:         0
        .size:           152
        .value_kind:     by_value
    .group_segment_fixed_size: 0
    .kernarg_segment_align: 8
    .kernarg_segment_size: 152
    .language:       OpenCL C
    .language_version:
      - 2
      - 0
    .max_flat_workgroup_size: 128
    .name:           _ZN7rocprim17ROCPRIM_400000_NS6detail17trampoline_kernelINS0_14default_configENS1_25partition_config_selectorILNS1_17partition_subalgoE1EyNS0_10empty_typeEbEEZZNS1_14partition_implILS5_1ELb0ES3_jN6thrust23THRUST_200600_302600_NS6detail15normal_iteratorINSA_10device_ptrIyEEEEPS6_NSA_18transform_iteratorI7is_evenIyESF_NSA_11use_defaultESK_EENS0_5tupleIJNSA_16discard_iteratorISK_EESF_EEENSM_IJSG_SG_EEES6_PlJS6_EEE10hipError_tPvRmT3_T4_T5_T6_T7_T9_mT8_P12ihipStream_tbDpT10_ENKUlT_T0_E_clISt17integral_constantIbLb0EES1A_IbLb1EEEEDaS16_S17_EUlS16_E_NS1_11comp_targetILNS1_3genE0ELNS1_11target_archE4294967295ELNS1_3gpuE0ELNS1_3repE0EEENS1_30default_config_static_selectorELNS0_4arch9wavefront6targetE1EEEvT1_
    .private_segment_fixed_size: 0
    .sgpr_count:     6
    .sgpr_spill_count: 0
    .symbol:         _ZN7rocprim17ROCPRIM_400000_NS6detail17trampoline_kernelINS0_14default_configENS1_25partition_config_selectorILNS1_17partition_subalgoE1EyNS0_10empty_typeEbEEZZNS1_14partition_implILS5_1ELb0ES3_jN6thrust23THRUST_200600_302600_NS6detail15normal_iteratorINSA_10device_ptrIyEEEEPS6_NSA_18transform_iteratorI7is_evenIyESF_NSA_11use_defaultESK_EENS0_5tupleIJNSA_16discard_iteratorISK_EESF_EEENSM_IJSG_SG_EEES6_PlJS6_EEE10hipError_tPvRmT3_T4_T5_T6_T7_T9_mT8_P12ihipStream_tbDpT10_ENKUlT_T0_E_clISt17integral_constantIbLb0EES1A_IbLb1EEEEDaS16_S17_EUlS16_E_NS1_11comp_targetILNS1_3genE0ELNS1_11target_archE4294967295ELNS1_3gpuE0ELNS1_3repE0EEENS1_30default_config_static_selectorELNS0_4arch9wavefront6targetE1EEEvT1_.kd
    .uniform_work_group_size: 1
    .uses_dynamic_stack: false
    .vgpr_count:     0
    .vgpr_spill_count: 0
    .wavefront_size: 64
  - .agpr_count:     0
    .args:
      - .offset:         0
        .size:           152
        .value_kind:     by_value
    .group_segment_fixed_size: 28680
    .kernarg_segment_align: 8
    .kernarg_segment_size: 152
    .language:       OpenCL C
    .language_version:
      - 2
      - 0
    .max_flat_workgroup_size: 512
    .name:           _ZN7rocprim17ROCPRIM_400000_NS6detail17trampoline_kernelINS0_14default_configENS1_25partition_config_selectorILNS1_17partition_subalgoE1EyNS0_10empty_typeEbEEZZNS1_14partition_implILS5_1ELb0ES3_jN6thrust23THRUST_200600_302600_NS6detail15normal_iteratorINSA_10device_ptrIyEEEEPS6_NSA_18transform_iteratorI7is_evenIyESF_NSA_11use_defaultESK_EENS0_5tupleIJNSA_16discard_iteratorISK_EESF_EEENSM_IJSG_SG_EEES6_PlJS6_EEE10hipError_tPvRmT3_T4_T5_T6_T7_T9_mT8_P12ihipStream_tbDpT10_ENKUlT_T0_E_clISt17integral_constantIbLb0EES1A_IbLb1EEEEDaS16_S17_EUlS16_E_NS1_11comp_targetILNS1_3genE5ELNS1_11target_archE942ELNS1_3gpuE9ELNS1_3repE0EEENS1_30default_config_static_selectorELNS0_4arch9wavefront6targetE1EEEvT1_
    .private_segment_fixed_size: 0
    .sgpr_count:     48
    .sgpr_spill_count: 0
    .symbol:         _ZN7rocprim17ROCPRIM_400000_NS6detail17trampoline_kernelINS0_14default_configENS1_25partition_config_selectorILNS1_17partition_subalgoE1EyNS0_10empty_typeEbEEZZNS1_14partition_implILS5_1ELb0ES3_jN6thrust23THRUST_200600_302600_NS6detail15normal_iteratorINSA_10device_ptrIyEEEEPS6_NSA_18transform_iteratorI7is_evenIyESF_NSA_11use_defaultESK_EENS0_5tupleIJNSA_16discard_iteratorISK_EESF_EEENSM_IJSG_SG_EEES6_PlJS6_EEE10hipError_tPvRmT3_T4_T5_T6_T7_T9_mT8_P12ihipStream_tbDpT10_ENKUlT_T0_E_clISt17integral_constantIbLb0EES1A_IbLb1EEEEDaS16_S17_EUlS16_E_NS1_11comp_targetILNS1_3genE5ELNS1_11target_archE942ELNS1_3gpuE9ELNS1_3repE0EEENS1_30default_config_static_selectorELNS0_4arch9wavefront6targetE1EEEvT1_.kd
    .uniform_work_group_size: 1
    .uses_dynamic_stack: false
    .vgpr_count:     58
    .vgpr_spill_count: 0
    .wavefront_size: 64
  - .agpr_count:     0
    .args:
      - .offset:         0
        .size:           152
        .value_kind:     by_value
    .group_segment_fixed_size: 0
    .kernarg_segment_align: 8
    .kernarg_segment_size: 152
    .language:       OpenCL C
    .language_version:
      - 2
      - 0
    .max_flat_workgroup_size: 192
    .name:           _ZN7rocprim17ROCPRIM_400000_NS6detail17trampoline_kernelINS0_14default_configENS1_25partition_config_selectorILNS1_17partition_subalgoE1EyNS0_10empty_typeEbEEZZNS1_14partition_implILS5_1ELb0ES3_jN6thrust23THRUST_200600_302600_NS6detail15normal_iteratorINSA_10device_ptrIyEEEEPS6_NSA_18transform_iteratorI7is_evenIyESF_NSA_11use_defaultESK_EENS0_5tupleIJNSA_16discard_iteratorISK_EESF_EEENSM_IJSG_SG_EEES6_PlJS6_EEE10hipError_tPvRmT3_T4_T5_T6_T7_T9_mT8_P12ihipStream_tbDpT10_ENKUlT_T0_E_clISt17integral_constantIbLb0EES1A_IbLb1EEEEDaS16_S17_EUlS16_E_NS1_11comp_targetILNS1_3genE4ELNS1_11target_archE910ELNS1_3gpuE8ELNS1_3repE0EEENS1_30default_config_static_selectorELNS0_4arch9wavefront6targetE1EEEvT1_
    .private_segment_fixed_size: 0
    .sgpr_count:     6
    .sgpr_spill_count: 0
    .symbol:         _ZN7rocprim17ROCPRIM_400000_NS6detail17trampoline_kernelINS0_14default_configENS1_25partition_config_selectorILNS1_17partition_subalgoE1EyNS0_10empty_typeEbEEZZNS1_14partition_implILS5_1ELb0ES3_jN6thrust23THRUST_200600_302600_NS6detail15normal_iteratorINSA_10device_ptrIyEEEEPS6_NSA_18transform_iteratorI7is_evenIyESF_NSA_11use_defaultESK_EENS0_5tupleIJNSA_16discard_iteratorISK_EESF_EEENSM_IJSG_SG_EEES6_PlJS6_EEE10hipError_tPvRmT3_T4_T5_T6_T7_T9_mT8_P12ihipStream_tbDpT10_ENKUlT_T0_E_clISt17integral_constantIbLb0EES1A_IbLb1EEEEDaS16_S17_EUlS16_E_NS1_11comp_targetILNS1_3genE4ELNS1_11target_archE910ELNS1_3gpuE8ELNS1_3repE0EEENS1_30default_config_static_selectorELNS0_4arch9wavefront6targetE1EEEvT1_.kd
    .uniform_work_group_size: 1
    .uses_dynamic_stack: false
    .vgpr_count:     0
    .vgpr_spill_count: 0
    .wavefront_size: 64
  - .agpr_count:     0
    .args:
      - .offset:         0
        .size:           152
        .value_kind:     by_value
    .group_segment_fixed_size: 0
    .kernarg_segment_align: 8
    .kernarg_segment_size: 152
    .language:       OpenCL C
    .language_version:
      - 2
      - 0
    .max_flat_workgroup_size: 128
    .name:           _ZN7rocprim17ROCPRIM_400000_NS6detail17trampoline_kernelINS0_14default_configENS1_25partition_config_selectorILNS1_17partition_subalgoE1EyNS0_10empty_typeEbEEZZNS1_14partition_implILS5_1ELb0ES3_jN6thrust23THRUST_200600_302600_NS6detail15normal_iteratorINSA_10device_ptrIyEEEEPS6_NSA_18transform_iteratorI7is_evenIyESF_NSA_11use_defaultESK_EENS0_5tupleIJNSA_16discard_iteratorISK_EESF_EEENSM_IJSG_SG_EEES6_PlJS6_EEE10hipError_tPvRmT3_T4_T5_T6_T7_T9_mT8_P12ihipStream_tbDpT10_ENKUlT_T0_E_clISt17integral_constantIbLb0EES1A_IbLb1EEEEDaS16_S17_EUlS16_E_NS1_11comp_targetILNS1_3genE3ELNS1_11target_archE908ELNS1_3gpuE7ELNS1_3repE0EEENS1_30default_config_static_selectorELNS0_4arch9wavefront6targetE1EEEvT1_
    .private_segment_fixed_size: 0
    .sgpr_count:     6
    .sgpr_spill_count: 0
    .symbol:         _ZN7rocprim17ROCPRIM_400000_NS6detail17trampoline_kernelINS0_14default_configENS1_25partition_config_selectorILNS1_17partition_subalgoE1EyNS0_10empty_typeEbEEZZNS1_14partition_implILS5_1ELb0ES3_jN6thrust23THRUST_200600_302600_NS6detail15normal_iteratorINSA_10device_ptrIyEEEEPS6_NSA_18transform_iteratorI7is_evenIyESF_NSA_11use_defaultESK_EENS0_5tupleIJNSA_16discard_iteratorISK_EESF_EEENSM_IJSG_SG_EEES6_PlJS6_EEE10hipError_tPvRmT3_T4_T5_T6_T7_T9_mT8_P12ihipStream_tbDpT10_ENKUlT_T0_E_clISt17integral_constantIbLb0EES1A_IbLb1EEEEDaS16_S17_EUlS16_E_NS1_11comp_targetILNS1_3genE3ELNS1_11target_archE908ELNS1_3gpuE7ELNS1_3repE0EEENS1_30default_config_static_selectorELNS0_4arch9wavefront6targetE1EEEvT1_.kd
    .uniform_work_group_size: 1
    .uses_dynamic_stack: false
    .vgpr_count:     0
    .vgpr_spill_count: 0
    .wavefront_size: 64
  - .agpr_count:     0
    .args:
      - .offset:         0
        .size:           152
        .value_kind:     by_value
    .group_segment_fixed_size: 0
    .kernarg_segment_align: 8
    .kernarg_segment_size: 152
    .language:       OpenCL C
    .language_version:
      - 2
      - 0
    .max_flat_workgroup_size: 256
    .name:           _ZN7rocprim17ROCPRIM_400000_NS6detail17trampoline_kernelINS0_14default_configENS1_25partition_config_selectorILNS1_17partition_subalgoE1EyNS0_10empty_typeEbEEZZNS1_14partition_implILS5_1ELb0ES3_jN6thrust23THRUST_200600_302600_NS6detail15normal_iteratorINSA_10device_ptrIyEEEEPS6_NSA_18transform_iteratorI7is_evenIyESF_NSA_11use_defaultESK_EENS0_5tupleIJNSA_16discard_iteratorISK_EESF_EEENSM_IJSG_SG_EEES6_PlJS6_EEE10hipError_tPvRmT3_T4_T5_T6_T7_T9_mT8_P12ihipStream_tbDpT10_ENKUlT_T0_E_clISt17integral_constantIbLb0EES1A_IbLb1EEEEDaS16_S17_EUlS16_E_NS1_11comp_targetILNS1_3genE2ELNS1_11target_archE906ELNS1_3gpuE6ELNS1_3repE0EEENS1_30default_config_static_selectorELNS0_4arch9wavefront6targetE1EEEvT1_
    .private_segment_fixed_size: 0
    .sgpr_count:     6
    .sgpr_spill_count: 0
    .symbol:         _ZN7rocprim17ROCPRIM_400000_NS6detail17trampoline_kernelINS0_14default_configENS1_25partition_config_selectorILNS1_17partition_subalgoE1EyNS0_10empty_typeEbEEZZNS1_14partition_implILS5_1ELb0ES3_jN6thrust23THRUST_200600_302600_NS6detail15normal_iteratorINSA_10device_ptrIyEEEEPS6_NSA_18transform_iteratorI7is_evenIyESF_NSA_11use_defaultESK_EENS0_5tupleIJNSA_16discard_iteratorISK_EESF_EEENSM_IJSG_SG_EEES6_PlJS6_EEE10hipError_tPvRmT3_T4_T5_T6_T7_T9_mT8_P12ihipStream_tbDpT10_ENKUlT_T0_E_clISt17integral_constantIbLb0EES1A_IbLb1EEEEDaS16_S17_EUlS16_E_NS1_11comp_targetILNS1_3genE2ELNS1_11target_archE906ELNS1_3gpuE6ELNS1_3repE0EEENS1_30default_config_static_selectorELNS0_4arch9wavefront6targetE1EEEvT1_.kd
    .uniform_work_group_size: 1
    .uses_dynamic_stack: false
    .vgpr_count:     0
    .vgpr_spill_count: 0
    .wavefront_size: 64
  - .agpr_count:     0
    .args:
      - .offset:         0
        .size:           152
        .value_kind:     by_value
    .group_segment_fixed_size: 0
    .kernarg_segment_align: 8
    .kernarg_segment_size: 152
    .language:       OpenCL C
    .language_version:
      - 2
      - 0
    .max_flat_workgroup_size: 256
    .name:           _ZN7rocprim17ROCPRIM_400000_NS6detail17trampoline_kernelINS0_14default_configENS1_25partition_config_selectorILNS1_17partition_subalgoE1EyNS0_10empty_typeEbEEZZNS1_14partition_implILS5_1ELb0ES3_jN6thrust23THRUST_200600_302600_NS6detail15normal_iteratorINSA_10device_ptrIyEEEEPS6_NSA_18transform_iteratorI7is_evenIyESF_NSA_11use_defaultESK_EENS0_5tupleIJNSA_16discard_iteratorISK_EESF_EEENSM_IJSG_SG_EEES6_PlJS6_EEE10hipError_tPvRmT3_T4_T5_T6_T7_T9_mT8_P12ihipStream_tbDpT10_ENKUlT_T0_E_clISt17integral_constantIbLb0EES1A_IbLb1EEEEDaS16_S17_EUlS16_E_NS1_11comp_targetILNS1_3genE10ELNS1_11target_archE1200ELNS1_3gpuE4ELNS1_3repE0EEENS1_30default_config_static_selectorELNS0_4arch9wavefront6targetE1EEEvT1_
    .private_segment_fixed_size: 0
    .sgpr_count:     6
    .sgpr_spill_count: 0
    .symbol:         _ZN7rocprim17ROCPRIM_400000_NS6detail17trampoline_kernelINS0_14default_configENS1_25partition_config_selectorILNS1_17partition_subalgoE1EyNS0_10empty_typeEbEEZZNS1_14partition_implILS5_1ELb0ES3_jN6thrust23THRUST_200600_302600_NS6detail15normal_iteratorINSA_10device_ptrIyEEEEPS6_NSA_18transform_iteratorI7is_evenIyESF_NSA_11use_defaultESK_EENS0_5tupleIJNSA_16discard_iteratorISK_EESF_EEENSM_IJSG_SG_EEES6_PlJS6_EEE10hipError_tPvRmT3_T4_T5_T6_T7_T9_mT8_P12ihipStream_tbDpT10_ENKUlT_T0_E_clISt17integral_constantIbLb0EES1A_IbLb1EEEEDaS16_S17_EUlS16_E_NS1_11comp_targetILNS1_3genE10ELNS1_11target_archE1200ELNS1_3gpuE4ELNS1_3repE0EEENS1_30default_config_static_selectorELNS0_4arch9wavefront6targetE1EEEvT1_.kd
    .uniform_work_group_size: 1
    .uses_dynamic_stack: false
    .vgpr_count:     0
    .vgpr_spill_count: 0
    .wavefront_size: 64
  - .agpr_count:     0
    .args:
      - .offset:         0
        .size:           152
        .value_kind:     by_value
    .group_segment_fixed_size: 0
    .kernarg_segment_align: 8
    .kernarg_segment_size: 152
    .language:       OpenCL C
    .language_version:
      - 2
      - 0
    .max_flat_workgroup_size: 128
    .name:           _ZN7rocprim17ROCPRIM_400000_NS6detail17trampoline_kernelINS0_14default_configENS1_25partition_config_selectorILNS1_17partition_subalgoE1EyNS0_10empty_typeEbEEZZNS1_14partition_implILS5_1ELb0ES3_jN6thrust23THRUST_200600_302600_NS6detail15normal_iteratorINSA_10device_ptrIyEEEEPS6_NSA_18transform_iteratorI7is_evenIyESF_NSA_11use_defaultESK_EENS0_5tupleIJNSA_16discard_iteratorISK_EESF_EEENSM_IJSG_SG_EEES6_PlJS6_EEE10hipError_tPvRmT3_T4_T5_T6_T7_T9_mT8_P12ihipStream_tbDpT10_ENKUlT_T0_E_clISt17integral_constantIbLb0EES1A_IbLb1EEEEDaS16_S17_EUlS16_E_NS1_11comp_targetILNS1_3genE9ELNS1_11target_archE1100ELNS1_3gpuE3ELNS1_3repE0EEENS1_30default_config_static_selectorELNS0_4arch9wavefront6targetE1EEEvT1_
    .private_segment_fixed_size: 0
    .sgpr_count:     6
    .sgpr_spill_count: 0
    .symbol:         _ZN7rocprim17ROCPRIM_400000_NS6detail17trampoline_kernelINS0_14default_configENS1_25partition_config_selectorILNS1_17partition_subalgoE1EyNS0_10empty_typeEbEEZZNS1_14partition_implILS5_1ELb0ES3_jN6thrust23THRUST_200600_302600_NS6detail15normal_iteratorINSA_10device_ptrIyEEEEPS6_NSA_18transform_iteratorI7is_evenIyESF_NSA_11use_defaultESK_EENS0_5tupleIJNSA_16discard_iteratorISK_EESF_EEENSM_IJSG_SG_EEES6_PlJS6_EEE10hipError_tPvRmT3_T4_T5_T6_T7_T9_mT8_P12ihipStream_tbDpT10_ENKUlT_T0_E_clISt17integral_constantIbLb0EES1A_IbLb1EEEEDaS16_S17_EUlS16_E_NS1_11comp_targetILNS1_3genE9ELNS1_11target_archE1100ELNS1_3gpuE3ELNS1_3repE0EEENS1_30default_config_static_selectorELNS0_4arch9wavefront6targetE1EEEvT1_.kd
    .uniform_work_group_size: 1
    .uses_dynamic_stack: false
    .vgpr_count:     0
    .vgpr_spill_count: 0
    .wavefront_size: 64
  - .agpr_count:     0
    .args:
      - .offset:         0
        .size:           152
        .value_kind:     by_value
    .group_segment_fixed_size: 0
    .kernarg_segment_align: 8
    .kernarg_segment_size: 152
    .language:       OpenCL C
    .language_version:
      - 2
      - 0
    .max_flat_workgroup_size: 512
    .name:           _ZN7rocprim17ROCPRIM_400000_NS6detail17trampoline_kernelINS0_14default_configENS1_25partition_config_selectorILNS1_17partition_subalgoE1EyNS0_10empty_typeEbEEZZNS1_14partition_implILS5_1ELb0ES3_jN6thrust23THRUST_200600_302600_NS6detail15normal_iteratorINSA_10device_ptrIyEEEEPS6_NSA_18transform_iteratorI7is_evenIyESF_NSA_11use_defaultESK_EENS0_5tupleIJNSA_16discard_iteratorISK_EESF_EEENSM_IJSG_SG_EEES6_PlJS6_EEE10hipError_tPvRmT3_T4_T5_T6_T7_T9_mT8_P12ihipStream_tbDpT10_ENKUlT_T0_E_clISt17integral_constantIbLb0EES1A_IbLb1EEEEDaS16_S17_EUlS16_E_NS1_11comp_targetILNS1_3genE8ELNS1_11target_archE1030ELNS1_3gpuE2ELNS1_3repE0EEENS1_30default_config_static_selectorELNS0_4arch9wavefront6targetE1EEEvT1_
    .private_segment_fixed_size: 0
    .sgpr_count:     6
    .sgpr_spill_count: 0
    .symbol:         _ZN7rocprim17ROCPRIM_400000_NS6detail17trampoline_kernelINS0_14default_configENS1_25partition_config_selectorILNS1_17partition_subalgoE1EyNS0_10empty_typeEbEEZZNS1_14partition_implILS5_1ELb0ES3_jN6thrust23THRUST_200600_302600_NS6detail15normal_iteratorINSA_10device_ptrIyEEEEPS6_NSA_18transform_iteratorI7is_evenIyESF_NSA_11use_defaultESK_EENS0_5tupleIJNSA_16discard_iteratorISK_EESF_EEENSM_IJSG_SG_EEES6_PlJS6_EEE10hipError_tPvRmT3_T4_T5_T6_T7_T9_mT8_P12ihipStream_tbDpT10_ENKUlT_T0_E_clISt17integral_constantIbLb0EES1A_IbLb1EEEEDaS16_S17_EUlS16_E_NS1_11comp_targetILNS1_3genE8ELNS1_11target_archE1030ELNS1_3gpuE2ELNS1_3repE0EEENS1_30default_config_static_selectorELNS0_4arch9wavefront6targetE1EEEvT1_.kd
    .uniform_work_group_size: 1
    .uses_dynamic_stack: false
    .vgpr_count:     0
    .vgpr_spill_count: 0
    .wavefront_size: 64
  - .agpr_count:     0
    .args:
      - .offset:         0
        .size:           144
        .value_kind:     by_value
    .group_segment_fixed_size: 0
    .kernarg_segment_align: 8
    .kernarg_segment_size: 144
    .language:       OpenCL C
    .language_version:
      - 2
      - 0
    .max_flat_workgroup_size: 256
    .name:           _ZN7rocprim17ROCPRIM_400000_NS6detail17trampoline_kernelINS0_14default_configENS1_25partition_config_selectorILNS1_17partition_subalgoE1EjNS0_10empty_typeEbEEZZNS1_14partition_implILS5_1ELb0ES3_jN6thrust23THRUST_200600_302600_NS6detail15normal_iteratorINSA_10device_ptrIjEEEEPS6_NSA_18transform_iteratorI7is_evenIjESF_NSA_11use_defaultESK_EENS0_5tupleIJNSA_16discard_iteratorISK_EESO_EEENSM_IJSG_SG_EEES6_PlJS6_EEE10hipError_tPvRmT3_T4_T5_T6_T7_T9_mT8_P12ihipStream_tbDpT10_ENKUlT_T0_E_clISt17integral_constantIbLb0EES1B_EEDaS16_S17_EUlS16_E_NS1_11comp_targetILNS1_3genE0ELNS1_11target_archE4294967295ELNS1_3gpuE0ELNS1_3repE0EEENS1_30default_config_static_selectorELNS0_4arch9wavefront6targetE1EEEvT1_
    .private_segment_fixed_size: 0
    .sgpr_count:     6
    .sgpr_spill_count: 0
    .symbol:         _ZN7rocprim17ROCPRIM_400000_NS6detail17trampoline_kernelINS0_14default_configENS1_25partition_config_selectorILNS1_17partition_subalgoE1EjNS0_10empty_typeEbEEZZNS1_14partition_implILS5_1ELb0ES3_jN6thrust23THRUST_200600_302600_NS6detail15normal_iteratorINSA_10device_ptrIjEEEEPS6_NSA_18transform_iteratorI7is_evenIjESF_NSA_11use_defaultESK_EENS0_5tupleIJNSA_16discard_iteratorISK_EESO_EEENSM_IJSG_SG_EEES6_PlJS6_EEE10hipError_tPvRmT3_T4_T5_T6_T7_T9_mT8_P12ihipStream_tbDpT10_ENKUlT_T0_E_clISt17integral_constantIbLb0EES1B_EEDaS16_S17_EUlS16_E_NS1_11comp_targetILNS1_3genE0ELNS1_11target_archE4294967295ELNS1_3gpuE0ELNS1_3repE0EEENS1_30default_config_static_selectorELNS0_4arch9wavefront6targetE1EEEvT1_.kd
    .uniform_work_group_size: 1
    .uses_dynamic_stack: false
    .vgpr_count:     0
    .vgpr_spill_count: 0
    .wavefront_size: 64
  - .agpr_count:     0
    .args:
      - .offset:         0
        .size:           144
        .value_kind:     by_value
    .group_segment_fixed_size: 30728
    .kernarg_segment_align: 8
    .kernarg_segment_size: 144
    .language:       OpenCL C
    .language_version:
      - 2
      - 0
    .max_flat_workgroup_size: 512
    .name:           _ZN7rocprim17ROCPRIM_400000_NS6detail17trampoline_kernelINS0_14default_configENS1_25partition_config_selectorILNS1_17partition_subalgoE1EjNS0_10empty_typeEbEEZZNS1_14partition_implILS5_1ELb0ES3_jN6thrust23THRUST_200600_302600_NS6detail15normal_iteratorINSA_10device_ptrIjEEEEPS6_NSA_18transform_iteratorI7is_evenIjESF_NSA_11use_defaultESK_EENS0_5tupleIJNSA_16discard_iteratorISK_EESO_EEENSM_IJSG_SG_EEES6_PlJS6_EEE10hipError_tPvRmT3_T4_T5_T6_T7_T9_mT8_P12ihipStream_tbDpT10_ENKUlT_T0_E_clISt17integral_constantIbLb0EES1B_EEDaS16_S17_EUlS16_E_NS1_11comp_targetILNS1_3genE5ELNS1_11target_archE942ELNS1_3gpuE9ELNS1_3repE0EEENS1_30default_config_static_selectorELNS0_4arch9wavefront6targetE1EEEvT1_
    .private_segment_fixed_size: 0
    .sgpr_count:     42
    .sgpr_spill_count: 0
    .symbol:         _ZN7rocprim17ROCPRIM_400000_NS6detail17trampoline_kernelINS0_14default_configENS1_25partition_config_selectorILNS1_17partition_subalgoE1EjNS0_10empty_typeEbEEZZNS1_14partition_implILS5_1ELb0ES3_jN6thrust23THRUST_200600_302600_NS6detail15normal_iteratorINSA_10device_ptrIjEEEEPS6_NSA_18transform_iteratorI7is_evenIjESF_NSA_11use_defaultESK_EENS0_5tupleIJNSA_16discard_iteratorISK_EESO_EEENSM_IJSG_SG_EEES6_PlJS6_EEE10hipError_tPvRmT3_T4_T5_T6_T7_T9_mT8_P12ihipStream_tbDpT10_ENKUlT_T0_E_clISt17integral_constantIbLb0EES1B_EEDaS16_S17_EUlS16_E_NS1_11comp_targetILNS1_3genE5ELNS1_11target_archE942ELNS1_3gpuE9ELNS1_3repE0EEENS1_30default_config_static_selectorELNS0_4arch9wavefront6targetE1EEEvT1_.kd
    .uniform_work_group_size: 1
    .uses_dynamic_stack: false
    .vgpr_count:     64
    .vgpr_spill_count: 0
    .wavefront_size: 64
  - .agpr_count:     0
    .args:
      - .offset:         0
        .size:           144
        .value_kind:     by_value
    .group_segment_fixed_size: 0
    .kernarg_segment_align: 8
    .kernarg_segment_size: 144
    .language:       OpenCL C
    .language_version:
      - 2
      - 0
    .max_flat_workgroup_size: 256
    .name:           _ZN7rocprim17ROCPRIM_400000_NS6detail17trampoline_kernelINS0_14default_configENS1_25partition_config_selectorILNS1_17partition_subalgoE1EjNS0_10empty_typeEbEEZZNS1_14partition_implILS5_1ELb0ES3_jN6thrust23THRUST_200600_302600_NS6detail15normal_iteratorINSA_10device_ptrIjEEEEPS6_NSA_18transform_iteratorI7is_evenIjESF_NSA_11use_defaultESK_EENS0_5tupleIJNSA_16discard_iteratorISK_EESO_EEENSM_IJSG_SG_EEES6_PlJS6_EEE10hipError_tPvRmT3_T4_T5_T6_T7_T9_mT8_P12ihipStream_tbDpT10_ENKUlT_T0_E_clISt17integral_constantIbLb0EES1B_EEDaS16_S17_EUlS16_E_NS1_11comp_targetILNS1_3genE4ELNS1_11target_archE910ELNS1_3gpuE8ELNS1_3repE0EEENS1_30default_config_static_selectorELNS0_4arch9wavefront6targetE1EEEvT1_
    .private_segment_fixed_size: 0
    .sgpr_count:     6
    .sgpr_spill_count: 0
    .symbol:         _ZN7rocprim17ROCPRIM_400000_NS6detail17trampoline_kernelINS0_14default_configENS1_25partition_config_selectorILNS1_17partition_subalgoE1EjNS0_10empty_typeEbEEZZNS1_14partition_implILS5_1ELb0ES3_jN6thrust23THRUST_200600_302600_NS6detail15normal_iteratorINSA_10device_ptrIjEEEEPS6_NSA_18transform_iteratorI7is_evenIjESF_NSA_11use_defaultESK_EENS0_5tupleIJNSA_16discard_iteratorISK_EESO_EEENSM_IJSG_SG_EEES6_PlJS6_EEE10hipError_tPvRmT3_T4_T5_T6_T7_T9_mT8_P12ihipStream_tbDpT10_ENKUlT_T0_E_clISt17integral_constantIbLb0EES1B_EEDaS16_S17_EUlS16_E_NS1_11comp_targetILNS1_3genE4ELNS1_11target_archE910ELNS1_3gpuE8ELNS1_3repE0EEENS1_30default_config_static_selectorELNS0_4arch9wavefront6targetE1EEEvT1_.kd
    .uniform_work_group_size: 1
    .uses_dynamic_stack: false
    .vgpr_count:     0
    .vgpr_spill_count: 0
    .wavefront_size: 64
  - .agpr_count:     0
    .args:
      - .offset:         0
        .size:           144
        .value_kind:     by_value
    .group_segment_fixed_size: 0
    .kernarg_segment_align: 8
    .kernarg_segment_size: 144
    .language:       OpenCL C
    .language_version:
      - 2
      - 0
    .max_flat_workgroup_size: 256
    .name:           _ZN7rocprim17ROCPRIM_400000_NS6detail17trampoline_kernelINS0_14default_configENS1_25partition_config_selectorILNS1_17partition_subalgoE1EjNS0_10empty_typeEbEEZZNS1_14partition_implILS5_1ELb0ES3_jN6thrust23THRUST_200600_302600_NS6detail15normal_iteratorINSA_10device_ptrIjEEEEPS6_NSA_18transform_iteratorI7is_evenIjESF_NSA_11use_defaultESK_EENS0_5tupleIJNSA_16discard_iteratorISK_EESO_EEENSM_IJSG_SG_EEES6_PlJS6_EEE10hipError_tPvRmT3_T4_T5_T6_T7_T9_mT8_P12ihipStream_tbDpT10_ENKUlT_T0_E_clISt17integral_constantIbLb0EES1B_EEDaS16_S17_EUlS16_E_NS1_11comp_targetILNS1_3genE3ELNS1_11target_archE908ELNS1_3gpuE7ELNS1_3repE0EEENS1_30default_config_static_selectorELNS0_4arch9wavefront6targetE1EEEvT1_
    .private_segment_fixed_size: 0
    .sgpr_count:     6
    .sgpr_spill_count: 0
    .symbol:         _ZN7rocprim17ROCPRIM_400000_NS6detail17trampoline_kernelINS0_14default_configENS1_25partition_config_selectorILNS1_17partition_subalgoE1EjNS0_10empty_typeEbEEZZNS1_14partition_implILS5_1ELb0ES3_jN6thrust23THRUST_200600_302600_NS6detail15normal_iteratorINSA_10device_ptrIjEEEEPS6_NSA_18transform_iteratorI7is_evenIjESF_NSA_11use_defaultESK_EENS0_5tupleIJNSA_16discard_iteratorISK_EESO_EEENSM_IJSG_SG_EEES6_PlJS6_EEE10hipError_tPvRmT3_T4_T5_T6_T7_T9_mT8_P12ihipStream_tbDpT10_ENKUlT_T0_E_clISt17integral_constantIbLb0EES1B_EEDaS16_S17_EUlS16_E_NS1_11comp_targetILNS1_3genE3ELNS1_11target_archE908ELNS1_3gpuE7ELNS1_3repE0EEENS1_30default_config_static_selectorELNS0_4arch9wavefront6targetE1EEEvT1_.kd
    .uniform_work_group_size: 1
    .uses_dynamic_stack: false
    .vgpr_count:     0
    .vgpr_spill_count: 0
    .wavefront_size: 64
  - .agpr_count:     0
    .args:
      - .offset:         0
        .size:           144
        .value_kind:     by_value
    .group_segment_fixed_size: 0
    .kernarg_segment_align: 8
    .kernarg_segment_size: 144
    .language:       OpenCL C
    .language_version:
      - 2
      - 0
    .max_flat_workgroup_size: 256
    .name:           _ZN7rocprim17ROCPRIM_400000_NS6detail17trampoline_kernelINS0_14default_configENS1_25partition_config_selectorILNS1_17partition_subalgoE1EjNS0_10empty_typeEbEEZZNS1_14partition_implILS5_1ELb0ES3_jN6thrust23THRUST_200600_302600_NS6detail15normal_iteratorINSA_10device_ptrIjEEEEPS6_NSA_18transform_iteratorI7is_evenIjESF_NSA_11use_defaultESK_EENS0_5tupleIJNSA_16discard_iteratorISK_EESO_EEENSM_IJSG_SG_EEES6_PlJS6_EEE10hipError_tPvRmT3_T4_T5_T6_T7_T9_mT8_P12ihipStream_tbDpT10_ENKUlT_T0_E_clISt17integral_constantIbLb0EES1B_EEDaS16_S17_EUlS16_E_NS1_11comp_targetILNS1_3genE2ELNS1_11target_archE906ELNS1_3gpuE6ELNS1_3repE0EEENS1_30default_config_static_selectorELNS0_4arch9wavefront6targetE1EEEvT1_
    .private_segment_fixed_size: 0
    .sgpr_count:     6
    .sgpr_spill_count: 0
    .symbol:         _ZN7rocprim17ROCPRIM_400000_NS6detail17trampoline_kernelINS0_14default_configENS1_25partition_config_selectorILNS1_17partition_subalgoE1EjNS0_10empty_typeEbEEZZNS1_14partition_implILS5_1ELb0ES3_jN6thrust23THRUST_200600_302600_NS6detail15normal_iteratorINSA_10device_ptrIjEEEEPS6_NSA_18transform_iteratorI7is_evenIjESF_NSA_11use_defaultESK_EENS0_5tupleIJNSA_16discard_iteratorISK_EESO_EEENSM_IJSG_SG_EEES6_PlJS6_EEE10hipError_tPvRmT3_T4_T5_T6_T7_T9_mT8_P12ihipStream_tbDpT10_ENKUlT_T0_E_clISt17integral_constantIbLb0EES1B_EEDaS16_S17_EUlS16_E_NS1_11comp_targetILNS1_3genE2ELNS1_11target_archE906ELNS1_3gpuE6ELNS1_3repE0EEENS1_30default_config_static_selectorELNS0_4arch9wavefront6targetE1EEEvT1_.kd
    .uniform_work_group_size: 1
    .uses_dynamic_stack: false
    .vgpr_count:     0
    .vgpr_spill_count: 0
    .wavefront_size: 64
  - .agpr_count:     0
    .args:
      - .offset:         0
        .size:           144
        .value_kind:     by_value
    .group_segment_fixed_size: 0
    .kernarg_segment_align: 8
    .kernarg_segment_size: 144
    .language:       OpenCL C
    .language_version:
      - 2
      - 0
    .max_flat_workgroup_size: 256
    .name:           _ZN7rocprim17ROCPRIM_400000_NS6detail17trampoline_kernelINS0_14default_configENS1_25partition_config_selectorILNS1_17partition_subalgoE1EjNS0_10empty_typeEbEEZZNS1_14partition_implILS5_1ELb0ES3_jN6thrust23THRUST_200600_302600_NS6detail15normal_iteratorINSA_10device_ptrIjEEEEPS6_NSA_18transform_iteratorI7is_evenIjESF_NSA_11use_defaultESK_EENS0_5tupleIJNSA_16discard_iteratorISK_EESO_EEENSM_IJSG_SG_EEES6_PlJS6_EEE10hipError_tPvRmT3_T4_T5_T6_T7_T9_mT8_P12ihipStream_tbDpT10_ENKUlT_T0_E_clISt17integral_constantIbLb0EES1B_EEDaS16_S17_EUlS16_E_NS1_11comp_targetILNS1_3genE10ELNS1_11target_archE1200ELNS1_3gpuE4ELNS1_3repE0EEENS1_30default_config_static_selectorELNS0_4arch9wavefront6targetE1EEEvT1_
    .private_segment_fixed_size: 0
    .sgpr_count:     6
    .sgpr_spill_count: 0
    .symbol:         _ZN7rocprim17ROCPRIM_400000_NS6detail17trampoline_kernelINS0_14default_configENS1_25partition_config_selectorILNS1_17partition_subalgoE1EjNS0_10empty_typeEbEEZZNS1_14partition_implILS5_1ELb0ES3_jN6thrust23THRUST_200600_302600_NS6detail15normal_iteratorINSA_10device_ptrIjEEEEPS6_NSA_18transform_iteratorI7is_evenIjESF_NSA_11use_defaultESK_EENS0_5tupleIJNSA_16discard_iteratorISK_EESO_EEENSM_IJSG_SG_EEES6_PlJS6_EEE10hipError_tPvRmT3_T4_T5_T6_T7_T9_mT8_P12ihipStream_tbDpT10_ENKUlT_T0_E_clISt17integral_constantIbLb0EES1B_EEDaS16_S17_EUlS16_E_NS1_11comp_targetILNS1_3genE10ELNS1_11target_archE1200ELNS1_3gpuE4ELNS1_3repE0EEENS1_30default_config_static_selectorELNS0_4arch9wavefront6targetE1EEEvT1_.kd
    .uniform_work_group_size: 1
    .uses_dynamic_stack: false
    .vgpr_count:     0
    .vgpr_spill_count: 0
    .wavefront_size: 64
  - .agpr_count:     0
    .args:
      - .offset:         0
        .size:           144
        .value_kind:     by_value
    .group_segment_fixed_size: 0
    .kernarg_segment_align: 8
    .kernarg_segment_size: 144
    .language:       OpenCL C
    .language_version:
      - 2
      - 0
    .max_flat_workgroup_size: 128
    .name:           _ZN7rocprim17ROCPRIM_400000_NS6detail17trampoline_kernelINS0_14default_configENS1_25partition_config_selectorILNS1_17partition_subalgoE1EjNS0_10empty_typeEbEEZZNS1_14partition_implILS5_1ELb0ES3_jN6thrust23THRUST_200600_302600_NS6detail15normal_iteratorINSA_10device_ptrIjEEEEPS6_NSA_18transform_iteratorI7is_evenIjESF_NSA_11use_defaultESK_EENS0_5tupleIJNSA_16discard_iteratorISK_EESO_EEENSM_IJSG_SG_EEES6_PlJS6_EEE10hipError_tPvRmT3_T4_T5_T6_T7_T9_mT8_P12ihipStream_tbDpT10_ENKUlT_T0_E_clISt17integral_constantIbLb0EES1B_EEDaS16_S17_EUlS16_E_NS1_11comp_targetILNS1_3genE9ELNS1_11target_archE1100ELNS1_3gpuE3ELNS1_3repE0EEENS1_30default_config_static_selectorELNS0_4arch9wavefront6targetE1EEEvT1_
    .private_segment_fixed_size: 0
    .sgpr_count:     6
    .sgpr_spill_count: 0
    .symbol:         _ZN7rocprim17ROCPRIM_400000_NS6detail17trampoline_kernelINS0_14default_configENS1_25partition_config_selectorILNS1_17partition_subalgoE1EjNS0_10empty_typeEbEEZZNS1_14partition_implILS5_1ELb0ES3_jN6thrust23THRUST_200600_302600_NS6detail15normal_iteratorINSA_10device_ptrIjEEEEPS6_NSA_18transform_iteratorI7is_evenIjESF_NSA_11use_defaultESK_EENS0_5tupleIJNSA_16discard_iteratorISK_EESO_EEENSM_IJSG_SG_EEES6_PlJS6_EEE10hipError_tPvRmT3_T4_T5_T6_T7_T9_mT8_P12ihipStream_tbDpT10_ENKUlT_T0_E_clISt17integral_constantIbLb0EES1B_EEDaS16_S17_EUlS16_E_NS1_11comp_targetILNS1_3genE9ELNS1_11target_archE1100ELNS1_3gpuE3ELNS1_3repE0EEENS1_30default_config_static_selectorELNS0_4arch9wavefront6targetE1EEEvT1_.kd
    .uniform_work_group_size: 1
    .uses_dynamic_stack: false
    .vgpr_count:     0
    .vgpr_spill_count: 0
    .wavefront_size: 64
  - .agpr_count:     0
    .args:
      - .offset:         0
        .size:           144
        .value_kind:     by_value
    .group_segment_fixed_size: 0
    .kernarg_segment_align: 8
    .kernarg_segment_size: 144
    .language:       OpenCL C
    .language_version:
      - 2
      - 0
    .max_flat_workgroup_size: 512
    .name:           _ZN7rocprim17ROCPRIM_400000_NS6detail17trampoline_kernelINS0_14default_configENS1_25partition_config_selectorILNS1_17partition_subalgoE1EjNS0_10empty_typeEbEEZZNS1_14partition_implILS5_1ELb0ES3_jN6thrust23THRUST_200600_302600_NS6detail15normal_iteratorINSA_10device_ptrIjEEEEPS6_NSA_18transform_iteratorI7is_evenIjESF_NSA_11use_defaultESK_EENS0_5tupleIJNSA_16discard_iteratorISK_EESO_EEENSM_IJSG_SG_EEES6_PlJS6_EEE10hipError_tPvRmT3_T4_T5_T6_T7_T9_mT8_P12ihipStream_tbDpT10_ENKUlT_T0_E_clISt17integral_constantIbLb0EES1B_EEDaS16_S17_EUlS16_E_NS1_11comp_targetILNS1_3genE8ELNS1_11target_archE1030ELNS1_3gpuE2ELNS1_3repE0EEENS1_30default_config_static_selectorELNS0_4arch9wavefront6targetE1EEEvT1_
    .private_segment_fixed_size: 0
    .sgpr_count:     6
    .sgpr_spill_count: 0
    .symbol:         _ZN7rocprim17ROCPRIM_400000_NS6detail17trampoline_kernelINS0_14default_configENS1_25partition_config_selectorILNS1_17partition_subalgoE1EjNS0_10empty_typeEbEEZZNS1_14partition_implILS5_1ELb0ES3_jN6thrust23THRUST_200600_302600_NS6detail15normal_iteratorINSA_10device_ptrIjEEEEPS6_NSA_18transform_iteratorI7is_evenIjESF_NSA_11use_defaultESK_EENS0_5tupleIJNSA_16discard_iteratorISK_EESO_EEENSM_IJSG_SG_EEES6_PlJS6_EEE10hipError_tPvRmT3_T4_T5_T6_T7_T9_mT8_P12ihipStream_tbDpT10_ENKUlT_T0_E_clISt17integral_constantIbLb0EES1B_EEDaS16_S17_EUlS16_E_NS1_11comp_targetILNS1_3genE8ELNS1_11target_archE1030ELNS1_3gpuE2ELNS1_3repE0EEENS1_30default_config_static_selectorELNS0_4arch9wavefront6targetE1EEEvT1_.kd
    .uniform_work_group_size: 1
    .uses_dynamic_stack: false
    .vgpr_count:     0
    .vgpr_spill_count: 0
    .wavefront_size: 64
  - .agpr_count:     0
    .args:
      - .offset:         0
        .size:           160
        .value_kind:     by_value
    .group_segment_fixed_size: 0
    .kernarg_segment_align: 8
    .kernarg_segment_size: 160
    .language:       OpenCL C
    .language_version:
      - 2
      - 0
    .max_flat_workgroup_size: 256
    .name:           _ZN7rocprim17ROCPRIM_400000_NS6detail17trampoline_kernelINS0_14default_configENS1_25partition_config_selectorILNS1_17partition_subalgoE1EjNS0_10empty_typeEbEEZZNS1_14partition_implILS5_1ELb0ES3_jN6thrust23THRUST_200600_302600_NS6detail15normal_iteratorINSA_10device_ptrIjEEEEPS6_NSA_18transform_iteratorI7is_evenIjESF_NSA_11use_defaultESK_EENS0_5tupleIJNSA_16discard_iteratorISK_EESO_EEENSM_IJSG_SG_EEES6_PlJS6_EEE10hipError_tPvRmT3_T4_T5_T6_T7_T9_mT8_P12ihipStream_tbDpT10_ENKUlT_T0_E_clISt17integral_constantIbLb1EES1B_EEDaS16_S17_EUlS16_E_NS1_11comp_targetILNS1_3genE0ELNS1_11target_archE4294967295ELNS1_3gpuE0ELNS1_3repE0EEENS1_30default_config_static_selectorELNS0_4arch9wavefront6targetE1EEEvT1_
    .private_segment_fixed_size: 0
    .sgpr_count:     6
    .sgpr_spill_count: 0
    .symbol:         _ZN7rocprim17ROCPRIM_400000_NS6detail17trampoline_kernelINS0_14default_configENS1_25partition_config_selectorILNS1_17partition_subalgoE1EjNS0_10empty_typeEbEEZZNS1_14partition_implILS5_1ELb0ES3_jN6thrust23THRUST_200600_302600_NS6detail15normal_iteratorINSA_10device_ptrIjEEEEPS6_NSA_18transform_iteratorI7is_evenIjESF_NSA_11use_defaultESK_EENS0_5tupleIJNSA_16discard_iteratorISK_EESO_EEENSM_IJSG_SG_EEES6_PlJS6_EEE10hipError_tPvRmT3_T4_T5_T6_T7_T9_mT8_P12ihipStream_tbDpT10_ENKUlT_T0_E_clISt17integral_constantIbLb1EES1B_EEDaS16_S17_EUlS16_E_NS1_11comp_targetILNS1_3genE0ELNS1_11target_archE4294967295ELNS1_3gpuE0ELNS1_3repE0EEENS1_30default_config_static_selectorELNS0_4arch9wavefront6targetE1EEEvT1_.kd
    .uniform_work_group_size: 1
    .uses_dynamic_stack: false
    .vgpr_count:     0
    .vgpr_spill_count: 0
    .wavefront_size: 64
  - .agpr_count:     0
    .args:
      - .offset:         0
        .size:           160
        .value_kind:     by_value
    .group_segment_fixed_size: 30728
    .kernarg_segment_align: 8
    .kernarg_segment_size: 160
    .language:       OpenCL C
    .language_version:
      - 2
      - 0
    .max_flat_workgroup_size: 512
    .name:           _ZN7rocprim17ROCPRIM_400000_NS6detail17trampoline_kernelINS0_14default_configENS1_25partition_config_selectorILNS1_17partition_subalgoE1EjNS0_10empty_typeEbEEZZNS1_14partition_implILS5_1ELb0ES3_jN6thrust23THRUST_200600_302600_NS6detail15normal_iteratorINSA_10device_ptrIjEEEEPS6_NSA_18transform_iteratorI7is_evenIjESF_NSA_11use_defaultESK_EENS0_5tupleIJNSA_16discard_iteratorISK_EESO_EEENSM_IJSG_SG_EEES6_PlJS6_EEE10hipError_tPvRmT3_T4_T5_T6_T7_T9_mT8_P12ihipStream_tbDpT10_ENKUlT_T0_E_clISt17integral_constantIbLb1EES1B_EEDaS16_S17_EUlS16_E_NS1_11comp_targetILNS1_3genE5ELNS1_11target_archE942ELNS1_3gpuE9ELNS1_3repE0EEENS1_30default_config_static_selectorELNS0_4arch9wavefront6targetE1EEEvT1_
    .private_segment_fixed_size: 0
    .sgpr_count:     42
    .sgpr_spill_count: 0
    .symbol:         _ZN7rocprim17ROCPRIM_400000_NS6detail17trampoline_kernelINS0_14default_configENS1_25partition_config_selectorILNS1_17partition_subalgoE1EjNS0_10empty_typeEbEEZZNS1_14partition_implILS5_1ELb0ES3_jN6thrust23THRUST_200600_302600_NS6detail15normal_iteratorINSA_10device_ptrIjEEEEPS6_NSA_18transform_iteratorI7is_evenIjESF_NSA_11use_defaultESK_EENS0_5tupleIJNSA_16discard_iteratorISK_EESO_EEENSM_IJSG_SG_EEES6_PlJS6_EEE10hipError_tPvRmT3_T4_T5_T6_T7_T9_mT8_P12ihipStream_tbDpT10_ENKUlT_T0_E_clISt17integral_constantIbLb1EES1B_EEDaS16_S17_EUlS16_E_NS1_11comp_targetILNS1_3genE5ELNS1_11target_archE942ELNS1_3gpuE9ELNS1_3repE0EEENS1_30default_config_static_selectorELNS0_4arch9wavefront6targetE1EEEvT1_.kd
    .uniform_work_group_size: 1
    .uses_dynamic_stack: false
    .vgpr_count:     66
    .vgpr_spill_count: 0
    .wavefront_size: 64
  - .agpr_count:     0
    .args:
      - .offset:         0
        .size:           160
        .value_kind:     by_value
    .group_segment_fixed_size: 0
    .kernarg_segment_align: 8
    .kernarg_segment_size: 160
    .language:       OpenCL C
    .language_version:
      - 2
      - 0
    .max_flat_workgroup_size: 256
    .name:           _ZN7rocprim17ROCPRIM_400000_NS6detail17trampoline_kernelINS0_14default_configENS1_25partition_config_selectorILNS1_17partition_subalgoE1EjNS0_10empty_typeEbEEZZNS1_14partition_implILS5_1ELb0ES3_jN6thrust23THRUST_200600_302600_NS6detail15normal_iteratorINSA_10device_ptrIjEEEEPS6_NSA_18transform_iteratorI7is_evenIjESF_NSA_11use_defaultESK_EENS0_5tupleIJNSA_16discard_iteratorISK_EESO_EEENSM_IJSG_SG_EEES6_PlJS6_EEE10hipError_tPvRmT3_T4_T5_T6_T7_T9_mT8_P12ihipStream_tbDpT10_ENKUlT_T0_E_clISt17integral_constantIbLb1EES1B_EEDaS16_S17_EUlS16_E_NS1_11comp_targetILNS1_3genE4ELNS1_11target_archE910ELNS1_3gpuE8ELNS1_3repE0EEENS1_30default_config_static_selectorELNS0_4arch9wavefront6targetE1EEEvT1_
    .private_segment_fixed_size: 0
    .sgpr_count:     6
    .sgpr_spill_count: 0
    .symbol:         _ZN7rocprim17ROCPRIM_400000_NS6detail17trampoline_kernelINS0_14default_configENS1_25partition_config_selectorILNS1_17partition_subalgoE1EjNS0_10empty_typeEbEEZZNS1_14partition_implILS5_1ELb0ES3_jN6thrust23THRUST_200600_302600_NS6detail15normal_iteratorINSA_10device_ptrIjEEEEPS6_NSA_18transform_iteratorI7is_evenIjESF_NSA_11use_defaultESK_EENS0_5tupleIJNSA_16discard_iteratorISK_EESO_EEENSM_IJSG_SG_EEES6_PlJS6_EEE10hipError_tPvRmT3_T4_T5_T6_T7_T9_mT8_P12ihipStream_tbDpT10_ENKUlT_T0_E_clISt17integral_constantIbLb1EES1B_EEDaS16_S17_EUlS16_E_NS1_11comp_targetILNS1_3genE4ELNS1_11target_archE910ELNS1_3gpuE8ELNS1_3repE0EEENS1_30default_config_static_selectorELNS0_4arch9wavefront6targetE1EEEvT1_.kd
    .uniform_work_group_size: 1
    .uses_dynamic_stack: false
    .vgpr_count:     0
    .vgpr_spill_count: 0
    .wavefront_size: 64
  - .agpr_count:     0
    .args:
      - .offset:         0
        .size:           160
        .value_kind:     by_value
    .group_segment_fixed_size: 0
    .kernarg_segment_align: 8
    .kernarg_segment_size: 160
    .language:       OpenCL C
    .language_version:
      - 2
      - 0
    .max_flat_workgroup_size: 256
    .name:           _ZN7rocprim17ROCPRIM_400000_NS6detail17trampoline_kernelINS0_14default_configENS1_25partition_config_selectorILNS1_17partition_subalgoE1EjNS0_10empty_typeEbEEZZNS1_14partition_implILS5_1ELb0ES3_jN6thrust23THRUST_200600_302600_NS6detail15normal_iteratorINSA_10device_ptrIjEEEEPS6_NSA_18transform_iteratorI7is_evenIjESF_NSA_11use_defaultESK_EENS0_5tupleIJNSA_16discard_iteratorISK_EESO_EEENSM_IJSG_SG_EEES6_PlJS6_EEE10hipError_tPvRmT3_T4_T5_T6_T7_T9_mT8_P12ihipStream_tbDpT10_ENKUlT_T0_E_clISt17integral_constantIbLb1EES1B_EEDaS16_S17_EUlS16_E_NS1_11comp_targetILNS1_3genE3ELNS1_11target_archE908ELNS1_3gpuE7ELNS1_3repE0EEENS1_30default_config_static_selectorELNS0_4arch9wavefront6targetE1EEEvT1_
    .private_segment_fixed_size: 0
    .sgpr_count:     6
    .sgpr_spill_count: 0
    .symbol:         _ZN7rocprim17ROCPRIM_400000_NS6detail17trampoline_kernelINS0_14default_configENS1_25partition_config_selectorILNS1_17partition_subalgoE1EjNS0_10empty_typeEbEEZZNS1_14partition_implILS5_1ELb0ES3_jN6thrust23THRUST_200600_302600_NS6detail15normal_iteratorINSA_10device_ptrIjEEEEPS6_NSA_18transform_iteratorI7is_evenIjESF_NSA_11use_defaultESK_EENS0_5tupleIJNSA_16discard_iteratorISK_EESO_EEENSM_IJSG_SG_EEES6_PlJS6_EEE10hipError_tPvRmT3_T4_T5_T6_T7_T9_mT8_P12ihipStream_tbDpT10_ENKUlT_T0_E_clISt17integral_constantIbLb1EES1B_EEDaS16_S17_EUlS16_E_NS1_11comp_targetILNS1_3genE3ELNS1_11target_archE908ELNS1_3gpuE7ELNS1_3repE0EEENS1_30default_config_static_selectorELNS0_4arch9wavefront6targetE1EEEvT1_.kd
    .uniform_work_group_size: 1
    .uses_dynamic_stack: false
    .vgpr_count:     0
    .vgpr_spill_count: 0
    .wavefront_size: 64
  - .agpr_count:     0
    .args:
      - .offset:         0
        .size:           160
        .value_kind:     by_value
    .group_segment_fixed_size: 0
    .kernarg_segment_align: 8
    .kernarg_segment_size: 160
    .language:       OpenCL C
    .language_version:
      - 2
      - 0
    .max_flat_workgroup_size: 256
    .name:           _ZN7rocprim17ROCPRIM_400000_NS6detail17trampoline_kernelINS0_14default_configENS1_25partition_config_selectorILNS1_17partition_subalgoE1EjNS0_10empty_typeEbEEZZNS1_14partition_implILS5_1ELb0ES3_jN6thrust23THRUST_200600_302600_NS6detail15normal_iteratorINSA_10device_ptrIjEEEEPS6_NSA_18transform_iteratorI7is_evenIjESF_NSA_11use_defaultESK_EENS0_5tupleIJNSA_16discard_iteratorISK_EESO_EEENSM_IJSG_SG_EEES6_PlJS6_EEE10hipError_tPvRmT3_T4_T5_T6_T7_T9_mT8_P12ihipStream_tbDpT10_ENKUlT_T0_E_clISt17integral_constantIbLb1EES1B_EEDaS16_S17_EUlS16_E_NS1_11comp_targetILNS1_3genE2ELNS1_11target_archE906ELNS1_3gpuE6ELNS1_3repE0EEENS1_30default_config_static_selectorELNS0_4arch9wavefront6targetE1EEEvT1_
    .private_segment_fixed_size: 0
    .sgpr_count:     6
    .sgpr_spill_count: 0
    .symbol:         _ZN7rocprim17ROCPRIM_400000_NS6detail17trampoline_kernelINS0_14default_configENS1_25partition_config_selectorILNS1_17partition_subalgoE1EjNS0_10empty_typeEbEEZZNS1_14partition_implILS5_1ELb0ES3_jN6thrust23THRUST_200600_302600_NS6detail15normal_iteratorINSA_10device_ptrIjEEEEPS6_NSA_18transform_iteratorI7is_evenIjESF_NSA_11use_defaultESK_EENS0_5tupleIJNSA_16discard_iteratorISK_EESO_EEENSM_IJSG_SG_EEES6_PlJS6_EEE10hipError_tPvRmT3_T4_T5_T6_T7_T9_mT8_P12ihipStream_tbDpT10_ENKUlT_T0_E_clISt17integral_constantIbLb1EES1B_EEDaS16_S17_EUlS16_E_NS1_11comp_targetILNS1_3genE2ELNS1_11target_archE906ELNS1_3gpuE6ELNS1_3repE0EEENS1_30default_config_static_selectorELNS0_4arch9wavefront6targetE1EEEvT1_.kd
    .uniform_work_group_size: 1
    .uses_dynamic_stack: false
    .vgpr_count:     0
    .vgpr_spill_count: 0
    .wavefront_size: 64
  - .agpr_count:     0
    .args:
      - .offset:         0
        .size:           160
        .value_kind:     by_value
    .group_segment_fixed_size: 0
    .kernarg_segment_align: 8
    .kernarg_segment_size: 160
    .language:       OpenCL C
    .language_version:
      - 2
      - 0
    .max_flat_workgroup_size: 256
    .name:           _ZN7rocprim17ROCPRIM_400000_NS6detail17trampoline_kernelINS0_14default_configENS1_25partition_config_selectorILNS1_17partition_subalgoE1EjNS0_10empty_typeEbEEZZNS1_14partition_implILS5_1ELb0ES3_jN6thrust23THRUST_200600_302600_NS6detail15normal_iteratorINSA_10device_ptrIjEEEEPS6_NSA_18transform_iteratorI7is_evenIjESF_NSA_11use_defaultESK_EENS0_5tupleIJNSA_16discard_iteratorISK_EESO_EEENSM_IJSG_SG_EEES6_PlJS6_EEE10hipError_tPvRmT3_T4_T5_T6_T7_T9_mT8_P12ihipStream_tbDpT10_ENKUlT_T0_E_clISt17integral_constantIbLb1EES1B_EEDaS16_S17_EUlS16_E_NS1_11comp_targetILNS1_3genE10ELNS1_11target_archE1200ELNS1_3gpuE4ELNS1_3repE0EEENS1_30default_config_static_selectorELNS0_4arch9wavefront6targetE1EEEvT1_
    .private_segment_fixed_size: 0
    .sgpr_count:     6
    .sgpr_spill_count: 0
    .symbol:         _ZN7rocprim17ROCPRIM_400000_NS6detail17trampoline_kernelINS0_14default_configENS1_25partition_config_selectorILNS1_17partition_subalgoE1EjNS0_10empty_typeEbEEZZNS1_14partition_implILS5_1ELb0ES3_jN6thrust23THRUST_200600_302600_NS6detail15normal_iteratorINSA_10device_ptrIjEEEEPS6_NSA_18transform_iteratorI7is_evenIjESF_NSA_11use_defaultESK_EENS0_5tupleIJNSA_16discard_iteratorISK_EESO_EEENSM_IJSG_SG_EEES6_PlJS6_EEE10hipError_tPvRmT3_T4_T5_T6_T7_T9_mT8_P12ihipStream_tbDpT10_ENKUlT_T0_E_clISt17integral_constantIbLb1EES1B_EEDaS16_S17_EUlS16_E_NS1_11comp_targetILNS1_3genE10ELNS1_11target_archE1200ELNS1_3gpuE4ELNS1_3repE0EEENS1_30default_config_static_selectorELNS0_4arch9wavefront6targetE1EEEvT1_.kd
    .uniform_work_group_size: 1
    .uses_dynamic_stack: false
    .vgpr_count:     0
    .vgpr_spill_count: 0
    .wavefront_size: 64
  - .agpr_count:     0
    .args:
      - .offset:         0
        .size:           160
        .value_kind:     by_value
    .group_segment_fixed_size: 0
    .kernarg_segment_align: 8
    .kernarg_segment_size: 160
    .language:       OpenCL C
    .language_version:
      - 2
      - 0
    .max_flat_workgroup_size: 128
    .name:           _ZN7rocprim17ROCPRIM_400000_NS6detail17trampoline_kernelINS0_14default_configENS1_25partition_config_selectorILNS1_17partition_subalgoE1EjNS0_10empty_typeEbEEZZNS1_14partition_implILS5_1ELb0ES3_jN6thrust23THRUST_200600_302600_NS6detail15normal_iteratorINSA_10device_ptrIjEEEEPS6_NSA_18transform_iteratorI7is_evenIjESF_NSA_11use_defaultESK_EENS0_5tupleIJNSA_16discard_iteratorISK_EESO_EEENSM_IJSG_SG_EEES6_PlJS6_EEE10hipError_tPvRmT3_T4_T5_T6_T7_T9_mT8_P12ihipStream_tbDpT10_ENKUlT_T0_E_clISt17integral_constantIbLb1EES1B_EEDaS16_S17_EUlS16_E_NS1_11comp_targetILNS1_3genE9ELNS1_11target_archE1100ELNS1_3gpuE3ELNS1_3repE0EEENS1_30default_config_static_selectorELNS0_4arch9wavefront6targetE1EEEvT1_
    .private_segment_fixed_size: 0
    .sgpr_count:     6
    .sgpr_spill_count: 0
    .symbol:         _ZN7rocprim17ROCPRIM_400000_NS6detail17trampoline_kernelINS0_14default_configENS1_25partition_config_selectorILNS1_17partition_subalgoE1EjNS0_10empty_typeEbEEZZNS1_14partition_implILS5_1ELb0ES3_jN6thrust23THRUST_200600_302600_NS6detail15normal_iteratorINSA_10device_ptrIjEEEEPS6_NSA_18transform_iteratorI7is_evenIjESF_NSA_11use_defaultESK_EENS0_5tupleIJNSA_16discard_iteratorISK_EESO_EEENSM_IJSG_SG_EEES6_PlJS6_EEE10hipError_tPvRmT3_T4_T5_T6_T7_T9_mT8_P12ihipStream_tbDpT10_ENKUlT_T0_E_clISt17integral_constantIbLb1EES1B_EEDaS16_S17_EUlS16_E_NS1_11comp_targetILNS1_3genE9ELNS1_11target_archE1100ELNS1_3gpuE3ELNS1_3repE0EEENS1_30default_config_static_selectorELNS0_4arch9wavefront6targetE1EEEvT1_.kd
    .uniform_work_group_size: 1
    .uses_dynamic_stack: false
    .vgpr_count:     0
    .vgpr_spill_count: 0
    .wavefront_size: 64
  - .agpr_count:     0
    .args:
      - .offset:         0
        .size:           160
        .value_kind:     by_value
    .group_segment_fixed_size: 0
    .kernarg_segment_align: 8
    .kernarg_segment_size: 160
    .language:       OpenCL C
    .language_version:
      - 2
      - 0
    .max_flat_workgroup_size: 512
    .name:           _ZN7rocprim17ROCPRIM_400000_NS6detail17trampoline_kernelINS0_14default_configENS1_25partition_config_selectorILNS1_17partition_subalgoE1EjNS0_10empty_typeEbEEZZNS1_14partition_implILS5_1ELb0ES3_jN6thrust23THRUST_200600_302600_NS6detail15normal_iteratorINSA_10device_ptrIjEEEEPS6_NSA_18transform_iteratorI7is_evenIjESF_NSA_11use_defaultESK_EENS0_5tupleIJNSA_16discard_iteratorISK_EESO_EEENSM_IJSG_SG_EEES6_PlJS6_EEE10hipError_tPvRmT3_T4_T5_T6_T7_T9_mT8_P12ihipStream_tbDpT10_ENKUlT_T0_E_clISt17integral_constantIbLb1EES1B_EEDaS16_S17_EUlS16_E_NS1_11comp_targetILNS1_3genE8ELNS1_11target_archE1030ELNS1_3gpuE2ELNS1_3repE0EEENS1_30default_config_static_selectorELNS0_4arch9wavefront6targetE1EEEvT1_
    .private_segment_fixed_size: 0
    .sgpr_count:     6
    .sgpr_spill_count: 0
    .symbol:         _ZN7rocprim17ROCPRIM_400000_NS6detail17trampoline_kernelINS0_14default_configENS1_25partition_config_selectorILNS1_17partition_subalgoE1EjNS0_10empty_typeEbEEZZNS1_14partition_implILS5_1ELb0ES3_jN6thrust23THRUST_200600_302600_NS6detail15normal_iteratorINSA_10device_ptrIjEEEEPS6_NSA_18transform_iteratorI7is_evenIjESF_NSA_11use_defaultESK_EENS0_5tupleIJNSA_16discard_iteratorISK_EESO_EEENSM_IJSG_SG_EEES6_PlJS6_EEE10hipError_tPvRmT3_T4_T5_T6_T7_T9_mT8_P12ihipStream_tbDpT10_ENKUlT_T0_E_clISt17integral_constantIbLb1EES1B_EEDaS16_S17_EUlS16_E_NS1_11comp_targetILNS1_3genE8ELNS1_11target_archE1030ELNS1_3gpuE2ELNS1_3repE0EEENS1_30default_config_static_selectorELNS0_4arch9wavefront6targetE1EEEvT1_.kd
    .uniform_work_group_size: 1
    .uses_dynamic_stack: false
    .vgpr_count:     0
    .vgpr_spill_count: 0
    .wavefront_size: 64
  - .agpr_count:     0
    .args:
      - .offset:         0
        .size:           144
        .value_kind:     by_value
    .group_segment_fixed_size: 0
    .kernarg_segment_align: 8
    .kernarg_segment_size: 144
    .language:       OpenCL C
    .language_version:
      - 2
      - 0
    .max_flat_workgroup_size: 256
    .name:           _ZN7rocprim17ROCPRIM_400000_NS6detail17trampoline_kernelINS0_14default_configENS1_25partition_config_selectorILNS1_17partition_subalgoE1EjNS0_10empty_typeEbEEZZNS1_14partition_implILS5_1ELb0ES3_jN6thrust23THRUST_200600_302600_NS6detail15normal_iteratorINSA_10device_ptrIjEEEEPS6_NSA_18transform_iteratorI7is_evenIjESF_NSA_11use_defaultESK_EENS0_5tupleIJNSA_16discard_iteratorISK_EESO_EEENSM_IJSG_SG_EEES6_PlJS6_EEE10hipError_tPvRmT3_T4_T5_T6_T7_T9_mT8_P12ihipStream_tbDpT10_ENKUlT_T0_E_clISt17integral_constantIbLb1EES1A_IbLb0EEEEDaS16_S17_EUlS16_E_NS1_11comp_targetILNS1_3genE0ELNS1_11target_archE4294967295ELNS1_3gpuE0ELNS1_3repE0EEENS1_30default_config_static_selectorELNS0_4arch9wavefront6targetE1EEEvT1_
    .private_segment_fixed_size: 0
    .sgpr_count:     6
    .sgpr_spill_count: 0
    .symbol:         _ZN7rocprim17ROCPRIM_400000_NS6detail17trampoline_kernelINS0_14default_configENS1_25partition_config_selectorILNS1_17partition_subalgoE1EjNS0_10empty_typeEbEEZZNS1_14partition_implILS5_1ELb0ES3_jN6thrust23THRUST_200600_302600_NS6detail15normal_iteratorINSA_10device_ptrIjEEEEPS6_NSA_18transform_iteratorI7is_evenIjESF_NSA_11use_defaultESK_EENS0_5tupleIJNSA_16discard_iteratorISK_EESO_EEENSM_IJSG_SG_EEES6_PlJS6_EEE10hipError_tPvRmT3_T4_T5_T6_T7_T9_mT8_P12ihipStream_tbDpT10_ENKUlT_T0_E_clISt17integral_constantIbLb1EES1A_IbLb0EEEEDaS16_S17_EUlS16_E_NS1_11comp_targetILNS1_3genE0ELNS1_11target_archE4294967295ELNS1_3gpuE0ELNS1_3repE0EEENS1_30default_config_static_selectorELNS0_4arch9wavefront6targetE1EEEvT1_.kd
    .uniform_work_group_size: 1
    .uses_dynamic_stack: false
    .vgpr_count:     0
    .vgpr_spill_count: 0
    .wavefront_size: 64
  - .agpr_count:     0
    .args:
      - .offset:         0
        .size:           144
        .value_kind:     by_value
    .group_segment_fixed_size: 30728
    .kernarg_segment_align: 8
    .kernarg_segment_size: 144
    .language:       OpenCL C
    .language_version:
      - 2
      - 0
    .max_flat_workgroup_size: 512
    .name:           _ZN7rocprim17ROCPRIM_400000_NS6detail17trampoline_kernelINS0_14default_configENS1_25partition_config_selectorILNS1_17partition_subalgoE1EjNS0_10empty_typeEbEEZZNS1_14partition_implILS5_1ELb0ES3_jN6thrust23THRUST_200600_302600_NS6detail15normal_iteratorINSA_10device_ptrIjEEEEPS6_NSA_18transform_iteratorI7is_evenIjESF_NSA_11use_defaultESK_EENS0_5tupleIJNSA_16discard_iteratorISK_EESO_EEENSM_IJSG_SG_EEES6_PlJS6_EEE10hipError_tPvRmT3_T4_T5_T6_T7_T9_mT8_P12ihipStream_tbDpT10_ENKUlT_T0_E_clISt17integral_constantIbLb1EES1A_IbLb0EEEEDaS16_S17_EUlS16_E_NS1_11comp_targetILNS1_3genE5ELNS1_11target_archE942ELNS1_3gpuE9ELNS1_3repE0EEENS1_30default_config_static_selectorELNS0_4arch9wavefront6targetE1EEEvT1_
    .private_segment_fixed_size: 0
    .sgpr_count:     42
    .sgpr_spill_count: 0
    .symbol:         _ZN7rocprim17ROCPRIM_400000_NS6detail17trampoline_kernelINS0_14default_configENS1_25partition_config_selectorILNS1_17partition_subalgoE1EjNS0_10empty_typeEbEEZZNS1_14partition_implILS5_1ELb0ES3_jN6thrust23THRUST_200600_302600_NS6detail15normal_iteratorINSA_10device_ptrIjEEEEPS6_NSA_18transform_iteratorI7is_evenIjESF_NSA_11use_defaultESK_EENS0_5tupleIJNSA_16discard_iteratorISK_EESO_EEENSM_IJSG_SG_EEES6_PlJS6_EEE10hipError_tPvRmT3_T4_T5_T6_T7_T9_mT8_P12ihipStream_tbDpT10_ENKUlT_T0_E_clISt17integral_constantIbLb1EES1A_IbLb0EEEEDaS16_S17_EUlS16_E_NS1_11comp_targetILNS1_3genE5ELNS1_11target_archE942ELNS1_3gpuE9ELNS1_3repE0EEENS1_30default_config_static_selectorELNS0_4arch9wavefront6targetE1EEEvT1_.kd
    .uniform_work_group_size: 1
    .uses_dynamic_stack: false
    .vgpr_count:     64
    .vgpr_spill_count: 0
    .wavefront_size: 64
  - .agpr_count:     0
    .args:
      - .offset:         0
        .size:           144
        .value_kind:     by_value
    .group_segment_fixed_size: 0
    .kernarg_segment_align: 8
    .kernarg_segment_size: 144
    .language:       OpenCL C
    .language_version:
      - 2
      - 0
    .max_flat_workgroup_size: 256
    .name:           _ZN7rocprim17ROCPRIM_400000_NS6detail17trampoline_kernelINS0_14default_configENS1_25partition_config_selectorILNS1_17partition_subalgoE1EjNS0_10empty_typeEbEEZZNS1_14partition_implILS5_1ELb0ES3_jN6thrust23THRUST_200600_302600_NS6detail15normal_iteratorINSA_10device_ptrIjEEEEPS6_NSA_18transform_iteratorI7is_evenIjESF_NSA_11use_defaultESK_EENS0_5tupleIJNSA_16discard_iteratorISK_EESO_EEENSM_IJSG_SG_EEES6_PlJS6_EEE10hipError_tPvRmT3_T4_T5_T6_T7_T9_mT8_P12ihipStream_tbDpT10_ENKUlT_T0_E_clISt17integral_constantIbLb1EES1A_IbLb0EEEEDaS16_S17_EUlS16_E_NS1_11comp_targetILNS1_3genE4ELNS1_11target_archE910ELNS1_3gpuE8ELNS1_3repE0EEENS1_30default_config_static_selectorELNS0_4arch9wavefront6targetE1EEEvT1_
    .private_segment_fixed_size: 0
    .sgpr_count:     6
    .sgpr_spill_count: 0
    .symbol:         _ZN7rocprim17ROCPRIM_400000_NS6detail17trampoline_kernelINS0_14default_configENS1_25partition_config_selectorILNS1_17partition_subalgoE1EjNS0_10empty_typeEbEEZZNS1_14partition_implILS5_1ELb0ES3_jN6thrust23THRUST_200600_302600_NS6detail15normal_iteratorINSA_10device_ptrIjEEEEPS6_NSA_18transform_iteratorI7is_evenIjESF_NSA_11use_defaultESK_EENS0_5tupleIJNSA_16discard_iteratorISK_EESO_EEENSM_IJSG_SG_EEES6_PlJS6_EEE10hipError_tPvRmT3_T4_T5_T6_T7_T9_mT8_P12ihipStream_tbDpT10_ENKUlT_T0_E_clISt17integral_constantIbLb1EES1A_IbLb0EEEEDaS16_S17_EUlS16_E_NS1_11comp_targetILNS1_3genE4ELNS1_11target_archE910ELNS1_3gpuE8ELNS1_3repE0EEENS1_30default_config_static_selectorELNS0_4arch9wavefront6targetE1EEEvT1_.kd
    .uniform_work_group_size: 1
    .uses_dynamic_stack: false
    .vgpr_count:     0
    .vgpr_spill_count: 0
    .wavefront_size: 64
  - .agpr_count:     0
    .args:
      - .offset:         0
        .size:           144
        .value_kind:     by_value
    .group_segment_fixed_size: 0
    .kernarg_segment_align: 8
    .kernarg_segment_size: 144
    .language:       OpenCL C
    .language_version:
      - 2
      - 0
    .max_flat_workgroup_size: 256
    .name:           _ZN7rocprim17ROCPRIM_400000_NS6detail17trampoline_kernelINS0_14default_configENS1_25partition_config_selectorILNS1_17partition_subalgoE1EjNS0_10empty_typeEbEEZZNS1_14partition_implILS5_1ELb0ES3_jN6thrust23THRUST_200600_302600_NS6detail15normal_iteratorINSA_10device_ptrIjEEEEPS6_NSA_18transform_iteratorI7is_evenIjESF_NSA_11use_defaultESK_EENS0_5tupleIJNSA_16discard_iteratorISK_EESO_EEENSM_IJSG_SG_EEES6_PlJS6_EEE10hipError_tPvRmT3_T4_T5_T6_T7_T9_mT8_P12ihipStream_tbDpT10_ENKUlT_T0_E_clISt17integral_constantIbLb1EES1A_IbLb0EEEEDaS16_S17_EUlS16_E_NS1_11comp_targetILNS1_3genE3ELNS1_11target_archE908ELNS1_3gpuE7ELNS1_3repE0EEENS1_30default_config_static_selectorELNS0_4arch9wavefront6targetE1EEEvT1_
    .private_segment_fixed_size: 0
    .sgpr_count:     6
    .sgpr_spill_count: 0
    .symbol:         _ZN7rocprim17ROCPRIM_400000_NS6detail17trampoline_kernelINS0_14default_configENS1_25partition_config_selectorILNS1_17partition_subalgoE1EjNS0_10empty_typeEbEEZZNS1_14partition_implILS5_1ELb0ES3_jN6thrust23THRUST_200600_302600_NS6detail15normal_iteratorINSA_10device_ptrIjEEEEPS6_NSA_18transform_iteratorI7is_evenIjESF_NSA_11use_defaultESK_EENS0_5tupleIJNSA_16discard_iteratorISK_EESO_EEENSM_IJSG_SG_EEES6_PlJS6_EEE10hipError_tPvRmT3_T4_T5_T6_T7_T9_mT8_P12ihipStream_tbDpT10_ENKUlT_T0_E_clISt17integral_constantIbLb1EES1A_IbLb0EEEEDaS16_S17_EUlS16_E_NS1_11comp_targetILNS1_3genE3ELNS1_11target_archE908ELNS1_3gpuE7ELNS1_3repE0EEENS1_30default_config_static_selectorELNS0_4arch9wavefront6targetE1EEEvT1_.kd
    .uniform_work_group_size: 1
    .uses_dynamic_stack: false
    .vgpr_count:     0
    .vgpr_spill_count: 0
    .wavefront_size: 64
  - .agpr_count:     0
    .args:
      - .offset:         0
        .size:           144
        .value_kind:     by_value
    .group_segment_fixed_size: 0
    .kernarg_segment_align: 8
    .kernarg_segment_size: 144
    .language:       OpenCL C
    .language_version:
      - 2
      - 0
    .max_flat_workgroup_size: 256
    .name:           _ZN7rocprim17ROCPRIM_400000_NS6detail17trampoline_kernelINS0_14default_configENS1_25partition_config_selectorILNS1_17partition_subalgoE1EjNS0_10empty_typeEbEEZZNS1_14partition_implILS5_1ELb0ES3_jN6thrust23THRUST_200600_302600_NS6detail15normal_iteratorINSA_10device_ptrIjEEEEPS6_NSA_18transform_iteratorI7is_evenIjESF_NSA_11use_defaultESK_EENS0_5tupleIJNSA_16discard_iteratorISK_EESO_EEENSM_IJSG_SG_EEES6_PlJS6_EEE10hipError_tPvRmT3_T4_T5_T6_T7_T9_mT8_P12ihipStream_tbDpT10_ENKUlT_T0_E_clISt17integral_constantIbLb1EES1A_IbLb0EEEEDaS16_S17_EUlS16_E_NS1_11comp_targetILNS1_3genE2ELNS1_11target_archE906ELNS1_3gpuE6ELNS1_3repE0EEENS1_30default_config_static_selectorELNS0_4arch9wavefront6targetE1EEEvT1_
    .private_segment_fixed_size: 0
    .sgpr_count:     6
    .sgpr_spill_count: 0
    .symbol:         _ZN7rocprim17ROCPRIM_400000_NS6detail17trampoline_kernelINS0_14default_configENS1_25partition_config_selectorILNS1_17partition_subalgoE1EjNS0_10empty_typeEbEEZZNS1_14partition_implILS5_1ELb0ES3_jN6thrust23THRUST_200600_302600_NS6detail15normal_iteratorINSA_10device_ptrIjEEEEPS6_NSA_18transform_iteratorI7is_evenIjESF_NSA_11use_defaultESK_EENS0_5tupleIJNSA_16discard_iteratorISK_EESO_EEENSM_IJSG_SG_EEES6_PlJS6_EEE10hipError_tPvRmT3_T4_T5_T6_T7_T9_mT8_P12ihipStream_tbDpT10_ENKUlT_T0_E_clISt17integral_constantIbLb1EES1A_IbLb0EEEEDaS16_S17_EUlS16_E_NS1_11comp_targetILNS1_3genE2ELNS1_11target_archE906ELNS1_3gpuE6ELNS1_3repE0EEENS1_30default_config_static_selectorELNS0_4arch9wavefront6targetE1EEEvT1_.kd
    .uniform_work_group_size: 1
    .uses_dynamic_stack: false
    .vgpr_count:     0
    .vgpr_spill_count: 0
    .wavefront_size: 64
  - .agpr_count:     0
    .args:
      - .offset:         0
        .size:           144
        .value_kind:     by_value
    .group_segment_fixed_size: 0
    .kernarg_segment_align: 8
    .kernarg_segment_size: 144
    .language:       OpenCL C
    .language_version:
      - 2
      - 0
    .max_flat_workgroup_size: 256
    .name:           _ZN7rocprim17ROCPRIM_400000_NS6detail17trampoline_kernelINS0_14default_configENS1_25partition_config_selectorILNS1_17partition_subalgoE1EjNS0_10empty_typeEbEEZZNS1_14partition_implILS5_1ELb0ES3_jN6thrust23THRUST_200600_302600_NS6detail15normal_iteratorINSA_10device_ptrIjEEEEPS6_NSA_18transform_iteratorI7is_evenIjESF_NSA_11use_defaultESK_EENS0_5tupleIJNSA_16discard_iteratorISK_EESO_EEENSM_IJSG_SG_EEES6_PlJS6_EEE10hipError_tPvRmT3_T4_T5_T6_T7_T9_mT8_P12ihipStream_tbDpT10_ENKUlT_T0_E_clISt17integral_constantIbLb1EES1A_IbLb0EEEEDaS16_S17_EUlS16_E_NS1_11comp_targetILNS1_3genE10ELNS1_11target_archE1200ELNS1_3gpuE4ELNS1_3repE0EEENS1_30default_config_static_selectorELNS0_4arch9wavefront6targetE1EEEvT1_
    .private_segment_fixed_size: 0
    .sgpr_count:     6
    .sgpr_spill_count: 0
    .symbol:         _ZN7rocprim17ROCPRIM_400000_NS6detail17trampoline_kernelINS0_14default_configENS1_25partition_config_selectorILNS1_17partition_subalgoE1EjNS0_10empty_typeEbEEZZNS1_14partition_implILS5_1ELb0ES3_jN6thrust23THRUST_200600_302600_NS6detail15normal_iteratorINSA_10device_ptrIjEEEEPS6_NSA_18transform_iteratorI7is_evenIjESF_NSA_11use_defaultESK_EENS0_5tupleIJNSA_16discard_iteratorISK_EESO_EEENSM_IJSG_SG_EEES6_PlJS6_EEE10hipError_tPvRmT3_T4_T5_T6_T7_T9_mT8_P12ihipStream_tbDpT10_ENKUlT_T0_E_clISt17integral_constantIbLb1EES1A_IbLb0EEEEDaS16_S17_EUlS16_E_NS1_11comp_targetILNS1_3genE10ELNS1_11target_archE1200ELNS1_3gpuE4ELNS1_3repE0EEENS1_30default_config_static_selectorELNS0_4arch9wavefront6targetE1EEEvT1_.kd
    .uniform_work_group_size: 1
    .uses_dynamic_stack: false
    .vgpr_count:     0
    .vgpr_spill_count: 0
    .wavefront_size: 64
  - .agpr_count:     0
    .args:
      - .offset:         0
        .size:           144
        .value_kind:     by_value
    .group_segment_fixed_size: 0
    .kernarg_segment_align: 8
    .kernarg_segment_size: 144
    .language:       OpenCL C
    .language_version:
      - 2
      - 0
    .max_flat_workgroup_size: 128
    .name:           _ZN7rocprim17ROCPRIM_400000_NS6detail17trampoline_kernelINS0_14default_configENS1_25partition_config_selectorILNS1_17partition_subalgoE1EjNS0_10empty_typeEbEEZZNS1_14partition_implILS5_1ELb0ES3_jN6thrust23THRUST_200600_302600_NS6detail15normal_iteratorINSA_10device_ptrIjEEEEPS6_NSA_18transform_iteratorI7is_evenIjESF_NSA_11use_defaultESK_EENS0_5tupleIJNSA_16discard_iteratorISK_EESO_EEENSM_IJSG_SG_EEES6_PlJS6_EEE10hipError_tPvRmT3_T4_T5_T6_T7_T9_mT8_P12ihipStream_tbDpT10_ENKUlT_T0_E_clISt17integral_constantIbLb1EES1A_IbLb0EEEEDaS16_S17_EUlS16_E_NS1_11comp_targetILNS1_3genE9ELNS1_11target_archE1100ELNS1_3gpuE3ELNS1_3repE0EEENS1_30default_config_static_selectorELNS0_4arch9wavefront6targetE1EEEvT1_
    .private_segment_fixed_size: 0
    .sgpr_count:     6
    .sgpr_spill_count: 0
    .symbol:         _ZN7rocprim17ROCPRIM_400000_NS6detail17trampoline_kernelINS0_14default_configENS1_25partition_config_selectorILNS1_17partition_subalgoE1EjNS0_10empty_typeEbEEZZNS1_14partition_implILS5_1ELb0ES3_jN6thrust23THRUST_200600_302600_NS6detail15normal_iteratorINSA_10device_ptrIjEEEEPS6_NSA_18transform_iteratorI7is_evenIjESF_NSA_11use_defaultESK_EENS0_5tupleIJNSA_16discard_iteratorISK_EESO_EEENSM_IJSG_SG_EEES6_PlJS6_EEE10hipError_tPvRmT3_T4_T5_T6_T7_T9_mT8_P12ihipStream_tbDpT10_ENKUlT_T0_E_clISt17integral_constantIbLb1EES1A_IbLb0EEEEDaS16_S17_EUlS16_E_NS1_11comp_targetILNS1_3genE9ELNS1_11target_archE1100ELNS1_3gpuE3ELNS1_3repE0EEENS1_30default_config_static_selectorELNS0_4arch9wavefront6targetE1EEEvT1_.kd
    .uniform_work_group_size: 1
    .uses_dynamic_stack: false
    .vgpr_count:     0
    .vgpr_spill_count: 0
    .wavefront_size: 64
  - .agpr_count:     0
    .args:
      - .offset:         0
        .size:           144
        .value_kind:     by_value
    .group_segment_fixed_size: 0
    .kernarg_segment_align: 8
    .kernarg_segment_size: 144
    .language:       OpenCL C
    .language_version:
      - 2
      - 0
    .max_flat_workgroup_size: 512
    .name:           _ZN7rocprim17ROCPRIM_400000_NS6detail17trampoline_kernelINS0_14default_configENS1_25partition_config_selectorILNS1_17partition_subalgoE1EjNS0_10empty_typeEbEEZZNS1_14partition_implILS5_1ELb0ES3_jN6thrust23THRUST_200600_302600_NS6detail15normal_iteratorINSA_10device_ptrIjEEEEPS6_NSA_18transform_iteratorI7is_evenIjESF_NSA_11use_defaultESK_EENS0_5tupleIJNSA_16discard_iteratorISK_EESO_EEENSM_IJSG_SG_EEES6_PlJS6_EEE10hipError_tPvRmT3_T4_T5_T6_T7_T9_mT8_P12ihipStream_tbDpT10_ENKUlT_T0_E_clISt17integral_constantIbLb1EES1A_IbLb0EEEEDaS16_S17_EUlS16_E_NS1_11comp_targetILNS1_3genE8ELNS1_11target_archE1030ELNS1_3gpuE2ELNS1_3repE0EEENS1_30default_config_static_selectorELNS0_4arch9wavefront6targetE1EEEvT1_
    .private_segment_fixed_size: 0
    .sgpr_count:     6
    .sgpr_spill_count: 0
    .symbol:         _ZN7rocprim17ROCPRIM_400000_NS6detail17trampoline_kernelINS0_14default_configENS1_25partition_config_selectorILNS1_17partition_subalgoE1EjNS0_10empty_typeEbEEZZNS1_14partition_implILS5_1ELb0ES3_jN6thrust23THRUST_200600_302600_NS6detail15normal_iteratorINSA_10device_ptrIjEEEEPS6_NSA_18transform_iteratorI7is_evenIjESF_NSA_11use_defaultESK_EENS0_5tupleIJNSA_16discard_iteratorISK_EESO_EEENSM_IJSG_SG_EEES6_PlJS6_EEE10hipError_tPvRmT3_T4_T5_T6_T7_T9_mT8_P12ihipStream_tbDpT10_ENKUlT_T0_E_clISt17integral_constantIbLb1EES1A_IbLb0EEEEDaS16_S17_EUlS16_E_NS1_11comp_targetILNS1_3genE8ELNS1_11target_archE1030ELNS1_3gpuE2ELNS1_3repE0EEENS1_30default_config_static_selectorELNS0_4arch9wavefront6targetE1EEEvT1_.kd
    .uniform_work_group_size: 1
    .uses_dynamic_stack: false
    .vgpr_count:     0
    .vgpr_spill_count: 0
    .wavefront_size: 64
  - .agpr_count:     0
    .args:
      - .offset:         0
        .size:           160
        .value_kind:     by_value
    .group_segment_fixed_size: 0
    .kernarg_segment_align: 8
    .kernarg_segment_size: 160
    .language:       OpenCL C
    .language_version:
      - 2
      - 0
    .max_flat_workgroup_size: 256
    .name:           _ZN7rocprim17ROCPRIM_400000_NS6detail17trampoline_kernelINS0_14default_configENS1_25partition_config_selectorILNS1_17partition_subalgoE1EjNS0_10empty_typeEbEEZZNS1_14partition_implILS5_1ELb0ES3_jN6thrust23THRUST_200600_302600_NS6detail15normal_iteratorINSA_10device_ptrIjEEEEPS6_NSA_18transform_iteratorI7is_evenIjESF_NSA_11use_defaultESK_EENS0_5tupleIJNSA_16discard_iteratorISK_EESO_EEENSM_IJSG_SG_EEES6_PlJS6_EEE10hipError_tPvRmT3_T4_T5_T6_T7_T9_mT8_P12ihipStream_tbDpT10_ENKUlT_T0_E_clISt17integral_constantIbLb0EES1A_IbLb1EEEEDaS16_S17_EUlS16_E_NS1_11comp_targetILNS1_3genE0ELNS1_11target_archE4294967295ELNS1_3gpuE0ELNS1_3repE0EEENS1_30default_config_static_selectorELNS0_4arch9wavefront6targetE1EEEvT1_
    .private_segment_fixed_size: 0
    .sgpr_count:     6
    .sgpr_spill_count: 0
    .symbol:         _ZN7rocprim17ROCPRIM_400000_NS6detail17trampoline_kernelINS0_14default_configENS1_25partition_config_selectorILNS1_17partition_subalgoE1EjNS0_10empty_typeEbEEZZNS1_14partition_implILS5_1ELb0ES3_jN6thrust23THRUST_200600_302600_NS6detail15normal_iteratorINSA_10device_ptrIjEEEEPS6_NSA_18transform_iteratorI7is_evenIjESF_NSA_11use_defaultESK_EENS0_5tupleIJNSA_16discard_iteratorISK_EESO_EEENSM_IJSG_SG_EEES6_PlJS6_EEE10hipError_tPvRmT3_T4_T5_T6_T7_T9_mT8_P12ihipStream_tbDpT10_ENKUlT_T0_E_clISt17integral_constantIbLb0EES1A_IbLb1EEEEDaS16_S17_EUlS16_E_NS1_11comp_targetILNS1_3genE0ELNS1_11target_archE4294967295ELNS1_3gpuE0ELNS1_3repE0EEENS1_30default_config_static_selectorELNS0_4arch9wavefront6targetE1EEEvT1_.kd
    .uniform_work_group_size: 1
    .uses_dynamic_stack: false
    .vgpr_count:     0
    .vgpr_spill_count: 0
    .wavefront_size: 64
  - .agpr_count:     0
    .args:
      - .offset:         0
        .size:           160
        .value_kind:     by_value
    .group_segment_fixed_size: 30728
    .kernarg_segment_align: 8
    .kernarg_segment_size: 160
    .language:       OpenCL C
    .language_version:
      - 2
      - 0
    .max_flat_workgroup_size: 512
    .name:           _ZN7rocprim17ROCPRIM_400000_NS6detail17trampoline_kernelINS0_14default_configENS1_25partition_config_selectorILNS1_17partition_subalgoE1EjNS0_10empty_typeEbEEZZNS1_14partition_implILS5_1ELb0ES3_jN6thrust23THRUST_200600_302600_NS6detail15normal_iteratorINSA_10device_ptrIjEEEEPS6_NSA_18transform_iteratorI7is_evenIjESF_NSA_11use_defaultESK_EENS0_5tupleIJNSA_16discard_iteratorISK_EESO_EEENSM_IJSG_SG_EEES6_PlJS6_EEE10hipError_tPvRmT3_T4_T5_T6_T7_T9_mT8_P12ihipStream_tbDpT10_ENKUlT_T0_E_clISt17integral_constantIbLb0EES1A_IbLb1EEEEDaS16_S17_EUlS16_E_NS1_11comp_targetILNS1_3genE5ELNS1_11target_archE942ELNS1_3gpuE9ELNS1_3repE0EEENS1_30default_config_static_selectorELNS0_4arch9wavefront6targetE1EEEvT1_
    .private_segment_fixed_size: 0
    .sgpr_count:     42
    .sgpr_spill_count: 0
    .symbol:         _ZN7rocprim17ROCPRIM_400000_NS6detail17trampoline_kernelINS0_14default_configENS1_25partition_config_selectorILNS1_17partition_subalgoE1EjNS0_10empty_typeEbEEZZNS1_14partition_implILS5_1ELb0ES3_jN6thrust23THRUST_200600_302600_NS6detail15normal_iteratorINSA_10device_ptrIjEEEEPS6_NSA_18transform_iteratorI7is_evenIjESF_NSA_11use_defaultESK_EENS0_5tupleIJNSA_16discard_iteratorISK_EESO_EEENSM_IJSG_SG_EEES6_PlJS6_EEE10hipError_tPvRmT3_T4_T5_T6_T7_T9_mT8_P12ihipStream_tbDpT10_ENKUlT_T0_E_clISt17integral_constantIbLb0EES1A_IbLb1EEEEDaS16_S17_EUlS16_E_NS1_11comp_targetILNS1_3genE5ELNS1_11target_archE942ELNS1_3gpuE9ELNS1_3repE0EEENS1_30default_config_static_selectorELNS0_4arch9wavefront6targetE1EEEvT1_.kd
    .uniform_work_group_size: 1
    .uses_dynamic_stack: false
    .vgpr_count:     66
    .vgpr_spill_count: 0
    .wavefront_size: 64
  - .agpr_count:     0
    .args:
      - .offset:         0
        .size:           160
        .value_kind:     by_value
    .group_segment_fixed_size: 0
    .kernarg_segment_align: 8
    .kernarg_segment_size: 160
    .language:       OpenCL C
    .language_version:
      - 2
      - 0
    .max_flat_workgroup_size: 256
    .name:           _ZN7rocprim17ROCPRIM_400000_NS6detail17trampoline_kernelINS0_14default_configENS1_25partition_config_selectorILNS1_17partition_subalgoE1EjNS0_10empty_typeEbEEZZNS1_14partition_implILS5_1ELb0ES3_jN6thrust23THRUST_200600_302600_NS6detail15normal_iteratorINSA_10device_ptrIjEEEEPS6_NSA_18transform_iteratorI7is_evenIjESF_NSA_11use_defaultESK_EENS0_5tupleIJNSA_16discard_iteratorISK_EESO_EEENSM_IJSG_SG_EEES6_PlJS6_EEE10hipError_tPvRmT3_T4_T5_T6_T7_T9_mT8_P12ihipStream_tbDpT10_ENKUlT_T0_E_clISt17integral_constantIbLb0EES1A_IbLb1EEEEDaS16_S17_EUlS16_E_NS1_11comp_targetILNS1_3genE4ELNS1_11target_archE910ELNS1_3gpuE8ELNS1_3repE0EEENS1_30default_config_static_selectorELNS0_4arch9wavefront6targetE1EEEvT1_
    .private_segment_fixed_size: 0
    .sgpr_count:     6
    .sgpr_spill_count: 0
    .symbol:         _ZN7rocprim17ROCPRIM_400000_NS6detail17trampoline_kernelINS0_14default_configENS1_25partition_config_selectorILNS1_17partition_subalgoE1EjNS0_10empty_typeEbEEZZNS1_14partition_implILS5_1ELb0ES3_jN6thrust23THRUST_200600_302600_NS6detail15normal_iteratorINSA_10device_ptrIjEEEEPS6_NSA_18transform_iteratorI7is_evenIjESF_NSA_11use_defaultESK_EENS0_5tupleIJNSA_16discard_iteratorISK_EESO_EEENSM_IJSG_SG_EEES6_PlJS6_EEE10hipError_tPvRmT3_T4_T5_T6_T7_T9_mT8_P12ihipStream_tbDpT10_ENKUlT_T0_E_clISt17integral_constantIbLb0EES1A_IbLb1EEEEDaS16_S17_EUlS16_E_NS1_11comp_targetILNS1_3genE4ELNS1_11target_archE910ELNS1_3gpuE8ELNS1_3repE0EEENS1_30default_config_static_selectorELNS0_4arch9wavefront6targetE1EEEvT1_.kd
    .uniform_work_group_size: 1
    .uses_dynamic_stack: false
    .vgpr_count:     0
    .vgpr_spill_count: 0
    .wavefront_size: 64
  - .agpr_count:     0
    .args:
      - .offset:         0
        .size:           160
        .value_kind:     by_value
    .group_segment_fixed_size: 0
    .kernarg_segment_align: 8
    .kernarg_segment_size: 160
    .language:       OpenCL C
    .language_version:
      - 2
      - 0
    .max_flat_workgroup_size: 256
    .name:           _ZN7rocprim17ROCPRIM_400000_NS6detail17trampoline_kernelINS0_14default_configENS1_25partition_config_selectorILNS1_17partition_subalgoE1EjNS0_10empty_typeEbEEZZNS1_14partition_implILS5_1ELb0ES3_jN6thrust23THRUST_200600_302600_NS6detail15normal_iteratorINSA_10device_ptrIjEEEEPS6_NSA_18transform_iteratorI7is_evenIjESF_NSA_11use_defaultESK_EENS0_5tupleIJNSA_16discard_iteratorISK_EESO_EEENSM_IJSG_SG_EEES6_PlJS6_EEE10hipError_tPvRmT3_T4_T5_T6_T7_T9_mT8_P12ihipStream_tbDpT10_ENKUlT_T0_E_clISt17integral_constantIbLb0EES1A_IbLb1EEEEDaS16_S17_EUlS16_E_NS1_11comp_targetILNS1_3genE3ELNS1_11target_archE908ELNS1_3gpuE7ELNS1_3repE0EEENS1_30default_config_static_selectorELNS0_4arch9wavefront6targetE1EEEvT1_
    .private_segment_fixed_size: 0
    .sgpr_count:     6
    .sgpr_spill_count: 0
    .symbol:         _ZN7rocprim17ROCPRIM_400000_NS6detail17trampoline_kernelINS0_14default_configENS1_25partition_config_selectorILNS1_17partition_subalgoE1EjNS0_10empty_typeEbEEZZNS1_14partition_implILS5_1ELb0ES3_jN6thrust23THRUST_200600_302600_NS6detail15normal_iteratorINSA_10device_ptrIjEEEEPS6_NSA_18transform_iteratorI7is_evenIjESF_NSA_11use_defaultESK_EENS0_5tupleIJNSA_16discard_iteratorISK_EESO_EEENSM_IJSG_SG_EEES6_PlJS6_EEE10hipError_tPvRmT3_T4_T5_T6_T7_T9_mT8_P12ihipStream_tbDpT10_ENKUlT_T0_E_clISt17integral_constantIbLb0EES1A_IbLb1EEEEDaS16_S17_EUlS16_E_NS1_11comp_targetILNS1_3genE3ELNS1_11target_archE908ELNS1_3gpuE7ELNS1_3repE0EEENS1_30default_config_static_selectorELNS0_4arch9wavefront6targetE1EEEvT1_.kd
    .uniform_work_group_size: 1
    .uses_dynamic_stack: false
    .vgpr_count:     0
    .vgpr_spill_count: 0
    .wavefront_size: 64
  - .agpr_count:     0
    .args:
      - .offset:         0
        .size:           160
        .value_kind:     by_value
    .group_segment_fixed_size: 0
    .kernarg_segment_align: 8
    .kernarg_segment_size: 160
    .language:       OpenCL C
    .language_version:
      - 2
      - 0
    .max_flat_workgroup_size: 256
    .name:           _ZN7rocprim17ROCPRIM_400000_NS6detail17trampoline_kernelINS0_14default_configENS1_25partition_config_selectorILNS1_17partition_subalgoE1EjNS0_10empty_typeEbEEZZNS1_14partition_implILS5_1ELb0ES3_jN6thrust23THRUST_200600_302600_NS6detail15normal_iteratorINSA_10device_ptrIjEEEEPS6_NSA_18transform_iteratorI7is_evenIjESF_NSA_11use_defaultESK_EENS0_5tupleIJNSA_16discard_iteratorISK_EESO_EEENSM_IJSG_SG_EEES6_PlJS6_EEE10hipError_tPvRmT3_T4_T5_T6_T7_T9_mT8_P12ihipStream_tbDpT10_ENKUlT_T0_E_clISt17integral_constantIbLb0EES1A_IbLb1EEEEDaS16_S17_EUlS16_E_NS1_11comp_targetILNS1_3genE2ELNS1_11target_archE906ELNS1_3gpuE6ELNS1_3repE0EEENS1_30default_config_static_selectorELNS0_4arch9wavefront6targetE1EEEvT1_
    .private_segment_fixed_size: 0
    .sgpr_count:     6
    .sgpr_spill_count: 0
    .symbol:         _ZN7rocprim17ROCPRIM_400000_NS6detail17trampoline_kernelINS0_14default_configENS1_25partition_config_selectorILNS1_17partition_subalgoE1EjNS0_10empty_typeEbEEZZNS1_14partition_implILS5_1ELb0ES3_jN6thrust23THRUST_200600_302600_NS6detail15normal_iteratorINSA_10device_ptrIjEEEEPS6_NSA_18transform_iteratorI7is_evenIjESF_NSA_11use_defaultESK_EENS0_5tupleIJNSA_16discard_iteratorISK_EESO_EEENSM_IJSG_SG_EEES6_PlJS6_EEE10hipError_tPvRmT3_T4_T5_T6_T7_T9_mT8_P12ihipStream_tbDpT10_ENKUlT_T0_E_clISt17integral_constantIbLb0EES1A_IbLb1EEEEDaS16_S17_EUlS16_E_NS1_11comp_targetILNS1_3genE2ELNS1_11target_archE906ELNS1_3gpuE6ELNS1_3repE0EEENS1_30default_config_static_selectorELNS0_4arch9wavefront6targetE1EEEvT1_.kd
    .uniform_work_group_size: 1
    .uses_dynamic_stack: false
    .vgpr_count:     0
    .vgpr_spill_count: 0
    .wavefront_size: 64
  - .agpr_count:     0
    .args:
      - .offset:         0
        .size:           160
        .value_kind:     by_value
    .group_segment_fixed_size: 0
    .kernarg_segment_align: 8
    .kernarg_segment_size: 160
    .language:       OpenCL C
    .language_version:
      - 2
      - 0
    .max_flat_workgroup_size: 256
    .name:           _ZN7rocprim17ROCPRIM_400000_NS6detail17trampoline_kernelINS0_14default_configENS1_25partition_config_selectorILNS1_17partition_subalgoE1EjNS0_10empty_typeEbEEZZNS1_14partition_implILS5_1ELb0ES3_jN6thrust23THRUST_200600_302600_NS6detail15normal_iteratorINSA_10device_ptrIjEEEEPS6_NSA_18transform_iteratorI7is_evenIjESF_NSA_11use_defaultESK_EENS0_5tupleIJNSA_16discard_iteratorISK_EESO_EEENSM_IJSG_SG_EEES6_PlJS6_EEE10hipError_tPvRmT3_T4_T5_T6_T7_T9_mT8_P12ihipStream_tbDpT10_ENKUlT_T0_E_clISt17integral_constantIbLb0EES1A_IbLb1EEEEDaS16_S17_EUlS16_E_NS1_11comp_targetILNS1_3genE10ELNS1_11target_archE1200ELNS1_3gpuE4ELNS1_3repE0EEENS1_30default_config_static_selectorELNS0_4arch9wavefront6targetE1EEEvT1_
    .private_segment_fixed_size: 0
    .sgpr_count:     6
    .sgpr_spill_count: 0
    .symbol:         _ZN7rocprim17ROCPRIM_400000_NS6detail17trampoline_kernelINS0_14default_configENS1_25partition_config_selectorILNS1_17partition_subalgoE1EjNS0_10empty_typeEbEEZZNS1_14partition_implILS5_1ELb0ES3_jN6thrust23THRUST_200600_302600_NS6detail15normal_iteratorINSA_10device_ptrIjEEEEPS6_NSA_18transform_iteratorI7is_evenIjESF_NSA_11use_defaultESK_EENS0_5tupleIJNSA_16discard_iteratorISK_EESO_EEENSM_IJSG_SG_EEES6_PlJS6_EEE10hipError_tPvRmT3_T4_T5_T6_T7_T9_mT8_P12ihipStream_tbDpT10_ENKUlT_T0_E_clISt17integral_constantIbLb0EES1A_IbLb1EEEEDaS16_S17_EUlS16_E_NS1_11comp_targetILNS1_3genE10ELNS1_11target_archE1200ELNS1_3gpuE4ELNS1_3repE0EEENS1_30default_config_static_selectorELNS0_4arch9wavefront6targetE1EEEvT1_.kd
    .uniform_work_group_size: 1
    .uses_dynamic_stack: false
    .vgpr_count:     0
    .vgpr_spill_count: 0
    .wavefront_size: 64
  - .agpr_count:     0
    .args:
      - .offset:         0
        .size:           160
        .value_kind:     by_value
    .group_segment_fixed_size: 0
    .kernarg_segment_align: 8
    .kernarg_segment_size: 160
    .language:       OpenCL C
    .language_version:
      - 2
      - 0
    .max_flat_workgroup_size: 128
    .name:           _ZN7rocprim17ROCPRIM_400000_NS6detail17trampoline_kernelINS0_14default_configENS1_25partition_config_selectorILNS1_17partition_subalgoE1EjNS0_10empty_typeEbEEZZNS1_14partition_implILS5_1ELb0ES3_jN6thrust23THRUST_200600_302600_NS6detail15normal_iteratorINSA_10device_ptrIjEEEEPS6_NSA_18transform_iteratorI7is_evenIjESF_NSA_11use_defaultESK_EENS0_5tupleIJNSA_16discard_iteratorISK_EESO_EEENSM_IJSG_SG_EEES6_PlJS6_EEE10hipError_tPvRmT3_T4_T5_T6_T7_T9_mT8_P12ihipStream_tbDpT10_ENKUlT_T0_E_clISt17integral_constantIbLb0EES1A_IbLb1EEEEDaS16_S17_EUlS16_E_NS1_11comp_targetILNS1_3genE9ELNS1_11target_archE1100ELNS1_3gpuE3ELNS1_3repE0EEENS1_30default_config_static_selectorELNS0_4arch9wavefront6targetE1EEEvT1_
    .private_segment_fixed_size: 0
    .sgpr_count:     6
    .sgpr_spill_count: 0
    .symbol:         _ZN7rocprim17ROCPRIM_400000_NS6detail17trampoline_kernelINS0_14default_configENS1_25partition_config_selectorILNS1_17partition_subalgoE1EjNS0_10empty_typeEbEEZZNS1_14partition_implILS5_1ELb0ES3_jN6thrust23THRUST_200600_302600_NS6detail15normal_iteratorINSA_10device_ptrIjEEEEPS6_NSA_18transform_iteratorI7is_evenIjESF_NSA_11use_defaultESK_EENS0_5tupleIJNSA_16discard_iteratorISK_EESO_EEENSM_IJSG_SG_EEES6_PlJS6_EEE10hipError_tPvRmT3_T4_T5_T6_T7_T9_mT8_P12ihipStream_tbDpT10_ENKUlT_T0_E_clISt17integral_constantIbLb0EES1A_IbLb1EEEEDaS16_S17_EUlS16_E_NS1_11comp_targetILNS1_3genE9ELNS1_11target_archE1100ELNS1_3gpuE3ELNS1_3repE0EEENS1_30default_config_static_selectorELNS0_4arch9wavefront6targetE1EEEvT1_.kd
    .uniform_work_group_size: 1
    .uses_dynamic_stack: false
    .vgpr_count:     0
    .vgpr_spill_count: 0
    .wavefront_size: 64
  - .agpr_count:     0
    .args:
      - .offset:         0
        .size:           160
        .value_kind:     by_value
    .group_segment_fixed_size: 0
    .kernarg_segment_align: 8
    .kernarg_segment_size: 160
    .language:       OpenCL C
    .language_version:
      - 2
      - 0
    .max_flat_workgroup_size: 512
    .name:           _ZN7rocprim17ROCPRIM_400000_NS6detail17trampoline_kernelINS0_14default_configENS1_25partition_config_selectorILNS1_17partition_subalgoE1EjNS0_10empty_typeEbEEZZNS1_14partition_implILS5_1ELb0ES3_jN6thrust23THRUST_200600_302600_NS6detail15normal_iteratorINSA_10device_ptrIjEEEEPS6_NSA_18transform_iteratorI7is_evenIjESF_NSA_11use_defaultESK_EENS0_5tupleIJNSA_16discard_iteratorISK_EESO_EEENSM_IJSG_SG_EEES6_PlJS6_EEE10hipError_tPvRmT3_T4_T5_T6_T7_T9_mT8_P12ihipStream_tbDpT10_ENKUlT_T0_E_clISt17integral_constantIbLb0EES1A_IbLb1EEEEDaS16_S17_EUlS16_E_NS1_11comp_targetILNS1_3genE8ELNS1_11target_archE1030ELNS1_3gpuE2ELNS1_3repE0EEENS1_30default_config_static_selectorELNS0_4arch9wavefront6targetE1EEEvT1_
    .private_segment_fixed_size: 0
    .sgpr_count:     6
    .sgpr_spill_count: 0
    .symbol:         _ZN7rocprim17ROCPRIM_400000_NS6detail17trampoline_kernelINS0_14default_configENS1_25partition_config_selectorILNS1_17partition_subalgoE1EjNS0_10empty_typeEbEEZZNS1_14partition_implILS5_1ELb0ES3_jN6thrust23THRUST_200600_302600_NS6detail15normal_iteratorINSA_10device_ptrIjEEEEPS6_NSA_18transform_iteratorI7is_evenIjESF_NSA_11use_defaultESK_EENS0_5tupleIJNSA_16discard_iteratorISK_EESO_EEENSM_IJSG_SG_EEES6_PlJS6_EEE10hipError_tPvRmT3_T4_T5_T6_T7_T9_mT8_P12ihipStream_tbDpT10_ENKUlT_T0_E_clISt17integral_constantIbLb0EES1A_IbLb1EEEEDaS16_S17_EUlS16_E_NS1_11comp_targetILNS1_3genE8ELNS1_11target_archE1030ELNS1_3gpuE2ELNS1_3repE0EEENS1_30default_config_static_selectorELNS0_4arch9wavefront6targetE1EEEvT1_.kd
    .uniform_work_group_size: 1
    .uses_dynamic_stack: false
    .vgpr_count:     0
    .vgpr_spill_count: 0
    .wavefront_size: 64
  - .agpr_count:     0
    .args:
      - .offset:         0
        .size:           136
        .value_kind:     by_value
    .group_segment_fixed_size: 0
    .kernarg_segment_align: 8
    .kernarg_segment_size: 136
    .language:       OpenCL C
    .language_version:
      - 2
      - 0
    .max_flat_workgroup_size: 256
    .name:           _ZN7rocprim17ROCPRIM_400000_NS6detail17trampoline_kernelINS0_14default_configENS1_25partition_config_selectorILNS1_17partition_subalgoE1EjNS0_10empty_typeEbEEZZNS1_14partition_implILS5_1ELb0ES3_jN6thrust23THRUST_200600_302600_NS6detail15normal_iteratorINSA_10device_ptrIjEEEEPS6_NSA_18transform_iteratorI7is_evenIjESF_NSA_11use_defaultESK_EENS0_5tupleIJSF_NSA_16discard_iteratorISK_EEEEENSM_IJSG_SG_EEES6_PlJS6_EEE10hipError_tPvRmT3_T4_T5_T6_T7_T9_mT8_P12ihipStream_tbDpT10_ENKUlT_T0_E_clISt17integral_constantIbLb0EES1B_EEDaS16_S17_EUlS16_E_NS1_11comp_targetILNS1_3genE0ELNS1_11target_archE4294967295ELNS1_3gpuE0ELNS1_3repE0EEENS1_30default_config_static_selectorELNS0_4arch9wavefront6targetE1EEEvT1_
    .private_segment_fixed_size: 0
    .sgpr_count:     6
    .sgpr_spill_count: 0
    .symbol:         _ZN7rocprim17ROCPRIM_400000_NS6detail17trampoline_kernelINS0_14default_configENS1_25partition_config_selectorILNS1_17partition_subalgoE1EjNS0_10empty_typeEbEEZZNS1_14partition_implILS5_1ELb0ES3_jN6thrust23THRUST_200600_302600_NS6detail15normal_iteratorINSA_10device_ptrIjEEEEPS6_NSA_18transform_iteratorI7is_evenIjESF_NSA_11use_defaultESK_EENS0_5tupleIJSF_NSA_16discard_iteratorISK_EEEEENSM_IJSG_SG_EEES6_PlJS6_EEE10hipError_tPvRmT3_T4_T5_T6_T7_T9_mT8_P12ihipStream_tbDpT10_ENKUlT_T0_E_clISt17integral_constantIbLb0EES1B_EEDaS16_S17_EUlS16_E_NS1_11comp_targetILNS1_3genE0ELNS1_11target_archE4294967295ELNS1_3gpuE0ELNS1_3repE0EEENS1_30default_config_static_selectorELNS0_4arch9wavefront6targetE1EEEvT1_.kd
    .uniform_work_group_size: 1
    .uses_dynamic_stack: false
    .vgpr_count:     0
    .vgpr_spill_count: 0
    .wavefront_size: 64
  - .agpr_count:     0
    .args:
      - .offset:         0
        .size:           136
        .value_kind:     by_value
    .group_segment_fixed_size: 30728
    .kernarg_segment_align: 8
    .kernarg_segment_size: 136
    .language:       OpenCL C
    .language_version:
      - 2
      - 0
    .max_flat_workgroup_size: 512
    .name:           _ZN7rocprim17ROCPRIM_400000_NS6detail17trampoline_kernelINS0_14default_configENS1_25partition_config_selectorILNS1_17partition_subalgoE1EjNS0_10empty_typeEbEEZZNS1_14partition_implILS5_1ELb0ES3_jN6thrust23THRUST_200600_302600_NS6detail15normal_iteratorINSA_10device_ptrIjEEEEPS6_NSA_18transform_iteratorI7is_evenIjESF_NSA_11use_defaultESK_EENS0_5tupleIJSF_NSA_16discard_iteratorISK_EEEEENSM_IJSG_SG_EEES6_PlJS6_EEE10hipError_tPvRmT3_T4_T5_T6_T7_T9_mT8_P12ihipStream_tbDpT10_ENKUlT_T0_E_clISt17integral_constantIbLb0EES1B_EEDaS16_S17_EUlS16_E_NS1_11comp_targetILNS1_3genE5ELNS1_11target_archE942ELNS1_3gpuE9ELNS1_3repE0EEENS1_30default_config_static_selectorELNS0_4arch9wavefront6targetE1EEEvT1_
    .private_segment_fixed_size: 0
    .sgpr_count:     46
    .sgpr_spill_count: 0
    .symbol:         _ZN7rocprim17ROCPRIM_400000_NS6detail17trampoline_kernelINS0_14default_configENS1_25partition_config_selectorILNS1_17partition_subalgoE1EjNS0_10empty_typeEbEEZZNS1_14partition_implILS5_1ELb0ES3_jN6thrust23THRUST_200600_302600_NS6detail15normal_iteratorINSA_10device_ptrIjEEEEPS6_NSA_18transform_iteratorI7is_evenIjESF_NSA_11use_defaultESK_EENS0_5tupleIJSF_NSA_16discard_iteratorISK_EEEEENSM_IJSG_SG_EEES6_PlJS6_EEE10hipError_tPvRmT3_T4_T5_T6_T7_T9_mT8_P12ihipStream_tbDpT10_ENKUlT_T0_E_clISt17integral_constantIbLb0EES1B_EEDaS16_S17_EUlS16_E_NS1_11comp_targetILNS1_3genE5ELNS1_11target_archE942ELNS1_3gpuE9ELNS1_3repE0EEENS1_30default_config_static_selectorELNS0_4arch9wavefront6targetE1EEEvT1_.kd
    .uniform_work_group_size: 1
    .uses_dynamic_stack: false
    .vgpr_count:     65
    .vgpr_spill_count: 0
    .wavefront_size: 64
  - .agpr_count:     0
    .args:
      - .offset:         0
        .size:           136
        .value_kind:     by_value
    .group_segment_fixed_size: 0
    .kernarg_segment_align: 8
    .kernarg_segment_size: 136
    .language:       OpenCL C
    .language_version:
      - 2
      - 0
    .max_flat_workgroup_size: 256
    .name:           _ZN7rocprim17ROCPRIM_400000_NS6detail17trampoline_kernelINS0_14default_configENS1_25partition_config_selectorILNS1_17partition_subalgoE1EjNS0_10empty_typeEbEEZZNS1_14partition_implILS5_1ELb0ES3_jN6thrust23THRUST_200600_302600_NS6detail15normal_iteratorINSA_10device_ptrIjEEEEPS6_NSA_18transform_iteratorI7is_evenIjESF_NSA_11use_defaultESK_EENS0_5tupleIJSF_NSA_16discard_iteratorISK_EEEEENSM_IJSG_SG_EEES6_PlJS6_EEE10hipError_tPvRmT3_T4_T5_T6_T7_T9_mT8_P12ihipStream_tbDpT10_ENKUlT_T0_E_clISt17integral_constantIbLb0EES1B_EEDaS16_S17_EUlS16_E_NS1_11comp_targetILNS1_3genE4ELNS1_11target_archE910ELNS1_3gpuE8ELNS1_3repE0EEENS1_30default_config_static_selectorELNS0_4arch9wavefront6targetE1EEEvT1_
    .private_segment_fixed_size: 0
    .sgpr_count:     6
    .sgpr_spill_count: 0
    .symbol:         _ZN7rocprim17ROCPRIM_400000_NS6detail17trampoline_kernelINS0_14default_configENS1_25partition_config_selectorILNS1_17partition_subalgoE1EjNS0_10empty_typeEbEEZZNS1_14partition_implILS5_1ELb0ES3_jN6thrust23THRUST_200600_302600_NS6detail15normal_iteratorINSA_10device_ptrIjEEEEPS6_NSA_18transform_iteratorI7is_evenIjESF_NSA_11use_defaultESK_EENS0_5tupleIJSF_NSA_16discard_iteratorISK_EEEEENSM_IJSG_SG_EEES6_PlJS6_EEE10hipError_tPvRmT3_T4_T5_T6_T7_T9_mT8_P12ihipStream_tbDpT10_ENKUlT_T0_E_clISt17integral_constantIbLb0EES1B_EEDaS16_S17_EUlS16_E_NS1_11comp_targetILNS1_3genE4ELNS1_11target_archE910ELNS1_3gpuE8ELNS1_3repE0EEENS1_30default_config_static_selectorELNS0_4arch9wavefront6targetE1EEEvT1_.kd
    .uniform_work_group_size: 1
    .uses_dynamic_stack: false
    .vgpr_count:     0
    .vgpr_spill_count: 0
    .wavefront_size: 64
  - .agpr_count:     0
    .args:
      - .offset:         0
        .size:           136
        .value_kind:     by_value
    .group_segment_fixed_size: 0
    .kernarg_segment_align: 8
    .kernarg_segment_size: 136
    .language:       OpenCL C
    .language_version:
      - 2
      - 0
    .max_flat_workgroup_size: 256
    .name:           _ZN7rocprim17ROCPRIM_400000_NS6detail17trampoline_kernelINS0_14default_configENS1_25partition_config_selectorILNS1_17partition_subalgoE1EjNS0_10empty_typeEbEEZZNS1_14partition_implILS5_1ELb0ES3_jN6thrust23THRUST_200600_302600_NS6detail15normal_iteratorINSA_10device_ptrIjEEEEPS6_NSA_18transform_iteratorI7is_evenIjESF_NSA_11use_defaultESK_EENS0_5tupleIJSF_NSA_16discard_iteratorISK_EEEEENSM_IJSG_SG_EEES6_PlJS6_EEE10hipError_tPvRmT3_T4_T5_T6_T7_T9_mT8_P12ihipStream_tbDpT10_ENKUlT_T0_E_clISt17integral_constantIbLb0EES1B_EEDaS16_S17_EUlS16_E_NS1_11comp_targetILNS1_3genE3ELNS1_11target_archE908ELNS1_3gpuE7ELNS1_3repE0EEENS1_30default_config_static_selectorELNS0_4arch9wavefront6targetE1EEEvT1_
    .private_segment_fixed_size: 0
    .sgpr_count:     6
    .sgpr_spill_count: 0
    .symbol:         _ZN7rocprim17ROCPRIM_400000_NS6detail17trampoline_kernelINS0_14default_configENS1_25partition_config_selectorILNS1_17partition_subalgoE1EjNS0_10empty_typeEbEEZZNS1_14partition_implILS5_1ELb0ES3_jN6thrust23THRUST_200600_302600_NS6detail15normal_iteratorINSA_10device_ptrIjEEEEPS6_NSA_18transform_iteratorI7is_evenIjESF_NSA_11use_defaultESK_EENS0_5tupleIJSF_NSA_16discard_iteratorISK_EEEEENSM_IJSG_SG_EEES6_PlJS6_EEE10hipError_tPvRmT3_T4_T5_T6_T7_T9_mT8_P12ihipStream_tbDpT10_ENKUlT_T0_E_clISt17integral_constantIbLb0EES1B_EEDaS16_S17_EUlS16_E_NS1_11comp_targetILNS1_3genE3ELNS1_11target_archE908ELNS1_3gpuE7ELNS1_3repE0EEENS1_30default_config_static_selectorELNS0_4arch9wavefront6targetE1EEEvT1_.kd
    .uniform_work_group_size: 1
    .uses_dynamic_stack: false
    .vgpr_count:     0
    .vgpr_spill_count: 0
    .wavefront_size: 64
  - .agpr_count:     0
    .args:
      - .offset:         0
        .size:           136
        .value_kind:     by_value
    .group_segment_fixed_size: 0
    .kernarg_segment_align: 8
    .kernarg_segment_size: 136
    .language:       OpenCL C
    .language_version:
      - 2
      - 0
    .max_flat_workgroup_size: 256
    .name:           _ZN7rocprim17ROCPRIM_400000_NS6detail17trampoline_kernelINS0_14default_configENS1_25partition_config_selectorILNS1_17partition_subalgoE1EjNS0_10empty_typeEbEEZZNS1_14partition_implILS5_1ELb0ES3_jN6thrust23THRUST_200600_302600_NS6detail15normal_iteratorINSA_10device_ptrIjEEEEPS6_NSA_18transform_iteratorI7is_evenIjESF_NSA_11use_defaultESK_EENS0_5tupleIJSF_NSA_16discard_iteratorISK_EEEEENSM_IJSG_SG_EEES6_PlJS6_EEE10hipError_tPvRmT3_T4_T5_T6_T7_T9_mT8_P12ihipStream_tbDpT10_ENKUlT_T0_E_clISt17integral_constantIbLb0EES1B_EEDaS16_S17_EUlS16_E_NS1_11comp_targetILNS1_3genE2ELNS1_11target_archE906ELNS1_3gpuE6ELNS1_3repE0EEENS1_30default_config_static_selectorELNS0_4arch9wavefront6targetE1EEEvT1_
    .private_segment_fixed_size: 0
    .sgpr_count:     6
    .sgpr_spill_count: 0
    .symbol:         _ZN7rocprim17ROCPRIM_400000_NS6detail17trampoline_kernelINS0_14default_configENS1_25partition_config_selectorILNS1_17partition_subalgoE1EjNS0_10empty_typeEbEEZZNS1_14partition_implILS5_1ELb0ES3_jN6thrust23THRUST_200600_302600_NS6detail15normal_iteratorINSA_10device_ptrIjEEEEPS6_NSA_18transform_iteratorI7is_evenIjESF_NSA_11use_defaultESK_EENS0_5tupleIJSF_NSA_16discard_iteratorISK_EEEEENSM_IJSG_SG_EEES6_PlJS6_EEE10hipError_tPvRmT3_T4_T5_T6_T7_T9_mT8_P12ihipStream_tbDpT10_ENKUlT_T0_E_clISt17integral_constantIbLb0EES1B_EEDaS16_S17_EUlS16_E_NS1_11comp_targetILNS1_3genE2ELNS1_11target_archE906ELNS1_3gpuE6ELNS1_3repE0EEENS1_30default_config_static_selectorELNS0_4arch9wavefront6targetE1EEEvT1_.kd
    .uniform_work_group_size: 1
    .uses_dynamic_stack: false
    .vgpr_count:     0
    .vgpr_spill_count: 0
    .wavefront_size: 64
  - .agpr_count:     0
    .args:
      - .offset:         0
        .size:           136
        .value_kind:     by_value
    .group_segment_fixed_size: 0
    .kernarg_segment_align: 8
    .kernarg_segment_size: 136
    .language:       OpenCL C
    .language_version:
      - 2
      - 0
    .max_flat_workgroup_size: 256
    .name:           _ZN7rocprim17ROCPRIM_400000_NS6detail17trampoline_kernelINS0_14default_configENS1_25partition_config_selectorILNS1_17partition_subalgoE1EjNS0_10empty_typeEbEEZZNS1_14partition_implILS5_1ELb0ES3_jN6thrust23THRUST_200600_302600_NS6detail15normal_iteratorINSA_10device_ptrIjEEEEPS6_NSA_18transform_iteratorI7is_evenIjESF_NSA_11use_defaultESK_EENS0_5tupleIJSF_NSA_16discard_iteratorISK_EEEEENSM_IJSG_SG_EEES6_PlJS6_EEE10hipError_tPvRmT3_T4_T5_T6_T7_T9_mT8_P12ihipStream_tbDpT10_ENKUlT_T0_E_clISt17integral_constantIbLb0EES1B_EEDaS16_S17_EUlS16_E_NS1_11comp_targetILNS1_3genE10ELNS1_11target_archE1200ELNS1_3gpuE4ELNS1_3repE0EEENS1_30default_config_static_selectorELNS0_4arch9wavefront6targetE1EEEvT1_
    .private_segment_fixed_size: 0
    .sgpr_count:     6
    .sgpr_spill_count: 0
    .symbol:         _ZN7rocprim17ROCPRIM_400000_NS6detail17trampoline_kernelINS0_14default_configENS1_25partition_config_selectorILNS1_17partition_subalgoE1EjNS0_10empty_typeEbEEZZNS1_14partition_implILS5_1ELb0ES3_jN6thrust23THRUST_200600_302600_NS6detail15normal_iteratorINSA_10device_ptrIjEEEEPS6_NSA_18transform_iteratorI7is_evenIjESF_NSA_11use_defaultESK_EENS0_5tupleIJSF_NSA_16discard_iteratorISK_EEEEENSM_IJSG_SG_EEES6_PlJS6_EEE10hipError_tPvRmT3_T4_T5_T6_T7_T9_mT8_P12ihipStream_tbDpT10_ENKUlT_T0_E_clISt17integral_constantIbLb0EES1B_EEDaS16_S17_EUlS16_E_NS1_11comp_targetILNS1_3genE10ELNS1_11target_archE1200ELNS1_3gpuE4ELNS1_3repE0EEENS1_30default_config_static_selectorELNS0_4arch9wavefront6targetE1EEEvT1_.kd
    .uniform_work_group_size: 1
    .uses_dynamic_stack: false
    .vgpr_count:     0
    .vgpr_spill_count: 0
    .wavefront_size: 64
  - .agpr_count:     0
    .args:
      - .offset:         0
        .size:           136
        .value_kind:     by_value
    .group_segment_fixed_size: 0
    .kernarg_segment_align: 8
    .kernarg_segment_size: 136
    .language:       OpenCL C
    .language_version:
      - 2
      - 0
    .max_flat_workgroup_size: 128
    .name:           _ZN7rocprim17ROCPRIM_400000_NS6detail17trampoline_kernelINS0_14default_configENS1_25partition_config_selectorILNS1_17partition_subalgoE1EjNS0_10empty_typeEbEEZZNS1_14partition_implILS5_1ELb0ES3_jN6thrust23THRUST_200600_302600_NS6detail15normal_iteratorINSA_10device_ptrIjEEEEPS6_NSA_18transform_iteratorI7is_evenIjESF_NSA_11use_defaultESK_EENS0_5tupleIJSF_NSA_16discard_iteratorISK_EEEEENSM_IJSG_SG_EEES6_PlJS6_EEE10hipError_tPvRmT3_T4_T5_T6_T7_T9_mT8_P12ihipStream_tbDpT10_ENKUlT_T0_E_clISt17integral_constantIbLb0EES1B_EEDaS16_S17_EUlS16_E_NS1_11comp_targetILNS1_3genE9ELNS1_11target_archE1100ELNS1_3gpuE3ELNS1_3repE0EEENS1_30default_config_static_selectorELNS0_4arch9wavefront6targetE1EEEvT1_
    .private_segment_fixed_size: 0
    .sgpr_count:     6
    .sgpr_spill_count: 0
    .symbol:         _ZN7rocprim17ROCPRIM_400000_NS6detail17trampoline_kernelINS0_14default_configENS1_25partition_config_selectorILNS1_17partition_subalgoE1EjNS0_10empty_typeEbEEZZNS1_14partition_implILS5_1ELb0ES3_jN6thrust23THRUST_200600_302600_NS6detail15normal_iteratorINSA_10device_ptrIjEEEEPS6_NSA_18transform_iteratorI7is_evenIjESF_NSA_11use_defaultESK_EENS0_5tupleIJSF_NSA_16discard_iteratorISK_EEEEENSM_IJSG_SG_EEES6_PlJS6_EEE10hipError_tPvRmT3_T4_T5_T6_T7_T9_mT8_P12ihipStream_tbDpT10_ENKUlT_T0_E_clISt17integral_constantIbLb0EES1B_EEDaS16_S17_EUlS16_E_NS1_11comp_targetILNS1_3genE9ELNS1_11target_archE1100ELNS1_3gpuE3ELNS1_3repE0EEENS1_30default_config_static_selectorELNS0_4arch9wavefront6targetE1EEEvT1_.kd
    .uniform_work_group_size: 1
    .uses_dynamic_stack: false
    .vgpr_count:     0
    .vgpr_spill_count: 0
    .wavefront_size: 64
  - .agpr_count:     0
    .args:
      - .offset:         0
        .size:           136
        .value_kind:     by_value
    .group_segment_fixed_size: 0
    .kernarg_segment_align: 8
    .kernarg_segment_size: 136
    .language:       OpenCL C
    .language_version:
      - 2
      - 0
    .max_flat_workgroup_size: 512
    .name:           _ZN7rocprim17ROCPRIM_400000_NS6detail17trampoline_kernelINS0_14default_configENS1_25partition_config_selectorILNS1_17partition_subalgoE1EjNS0_10empty_typeEbEEZZNS1_14partition_implILS5_1ELb0ES3_jN6thrust23THRUST_200600_302600_NS6detail15normal_iteratorINSA_10device_ptrIjEEEEPS6_NSA_18transform_iteratorI7is_evenIjESF_NSA_11use_defaultESK_EENS0_5tupleIJSF_NSA_16discard_iteratorISK_EEEEENSM_IJSG_SG_EEES6_PlJS6_EEE10hipError_tPvRmT3_T4_T5_T6_T7_T9_mT8_P12ihipStream_tbDpT10_ENKUlT_T0_E_clISt17integral_constantIbLb0EES1B_EEDaS16_S17_EUlS16_E_NS1_11comp_targetILNS1_3genE8ELNS1_11target_archE1030ELNS1_3gpuE2ELNS1_3repE0EEENS1_30default_config_static_selectorELNS0_4arch9wavefront6targetE1EEEvT1_
    .private_segment_fixed_size: 0
    .sgpr_count:     6
    .sgpr_spill_count: 0
    .symbol:         _ZN7rocprim17ROCPRIM_400000_NS6detail17trampoline_kernelINS0_14default_configENS1_25partition_config_selectorILNS1_17partition_subalgoE1EjNS0_10empty_typeEbEEZZNS1_14partition_implILS5_1ELb0ES3_jN6thrust23THRUST_200600_302600_NS6detail15normal_iteratorINSA_10device_ptrIjEEEEPS6_NSA_18transform_iteratorI7is_evenIjESF_NSA_11use_defaultESK_EENS0_5tupleIJSF_NSA_16discard_iteratorISK_EEEEENSM_IJSG_SG_EEES6_PlJS6_EEE10hipError_tPvRmT3_T4_T5_T6_T7_T9_mT8_P12ihipStream_tbDpT10_ENKUlT_T0_E_clISt17integral_constantIbLb0EES1B_EEDaS16_S17_EUlS16_E_NS1_11comp_targetILNS1_3genE8ELNS1_11target_archE1030ELNS1_3gpuE2ELNS1_3repE0EEENS1_30default_config_static_selectorELNS0_4arch9wavefront6targetE1EEEvT1_.kd
    .uniform_work_group_size: 1
    .uses_dynamic_stack: false
    .vgpr_count:     0
    .vgpr_spill_count: 0
    .wavefront_size: 64
  - .agpr_count:     0
    .args:
      - .offset:         0
        .size:           152
        .value_kind:     by_value
    .group_segment_fixed_size: 0
    .kernarg_segment_align: 8
    .kernarg_segment_size: 152
    .language:       OpenCL C
    .language_version:
      - 2
      - 0
    .max_flat_workgroup_size: 256
    .name:           _ZN7rocprim17ROCPRIM_400000_NS6detail17trampoline_kernelINS0_14default_configENS1_25partition_config_selectorILNS1_17partition_subalgoE1EjNS0_10empty_typeEbEEZZNS1_14partition_implILS5_1ELb0ES3_jN6thrust23THRUST_200600_302600_NS6detail15normal_iteratorINSA_10device_ptrIjEEEEPS6_NSA_18transform_iteratorI7is_evenIjESF_NSA_11use_defaultESK_EENS0_5tupleIJSF_NSA_16discard_iteratorISK_EEEEENSM_IJSG_SG_EEES6_PlJS6_EEE10hipError_tPvRmT3_T4_T5_T6_T7_T9_mT8_P12ihipStream_tbDpT10_ENKUlT_T0_E_clISt17integral_constantIbLb1EES1B_EEDaS16_S17_EUlS16_E_NS1_11comp_targetILNS1_3genE0ELNS1_11target_archE4294967295ELNS1_3gpuE0ELNS1_3repE0EEENS1_30default_config_static_selectorELNS0_4arch9wavefront6targetE1EEEvT1_
    .private_segment_fixed_size: 0
    .sgpr_count:     6
    .sgpr_spill_count: 0
    .symbol:         _ZN7rocprim17ROCPRIM_400000_NS6detail17trampoline_kernelINS0_14default_configENS1_25partition_config_selectorILNS1_17partition_subalgoE1EjNS0_10empty_typeEbEEZZNS1_14partition_implILS5_1ELb0ES3_jN6thrust23THRUST_200600_302600_NS6detail15normal_iteratorINSA_10device_ptrIjEEEEPS6_NSA_18transform_iteratorI7is_evenIjESF_NSA_11use_defaultESK_EENS0_5tupleIJSF_NSA_16discard_iteratorISK_EEEEENSM_IJSG_SG_EEES6_PlJS6_EEE10hipError_tPvRmT3_T4_T5_T6_T7_T9_mT8_P12ihipStream_tbDpT10_ENKUlT_T0_E_clISt17integral_constantIbLb1EES1B_EEDaS16_S17_EUlS16_E_NS1_11comp_targetILNS1_3genE0ELNS1_11target_archE4294967295ELNS1_3gpuE0ELNS1_3repE0EEENS1_30default_config_static_selectorELNS0_4arch9wavefront6targetE1EEEvT1_.kd
    .uniform_work_group_size: 1
    .uses_dynamic_stack: false
    .vgpr_count:     0
    .vgpr_spill_count: 0
    .wavefront_size: 64
  - .agpr_count:     0
    .args:
      - .offset:         0
        .size:           152
        .value_kind:     by_value
    .group_segment_fixed_size: 30728
    .kernarg_segment_align: 8
    .kernarg_segment_size: 152
    .language:       OpenCL C
    .language_version:
      - 2
      - 0
    .max_flat_workgroup_size: 512
    .name:           _ZN7rocprim17ROCPRIM_400000_NS6detail17trampoline_kernelINS0_14default_configENS1_25partition_config_selectorILNS1_17partition_subalgoE1EjNS0_10empty_typeEbEEZZNS1_14partition_implILS5_1ELb0ES3_jN6thrust23THRUST_200600_302600_NS6detail15normal_iteratorINSA_10device_ptrIjEEEEPS6_NSA_18transform_iteratorI7is_evenIjESF_NSA_11use_defaultESK_EENS0_5tupleIJSF_NSA_16discard_iteratorISK_EEEEENSM_IJSG_SG_EEES6_PlJS6_EEE10hipError_tPvRmT3_T4_T5_T6_T7_T9_mT8_P12ihipStream_tbDpT10_ENKUlT_T0_E_clISt17integral_constantIbLb1EES1B_EEDaS16_S17_EUlS16_E_NS1_11comp_targetILNS1_3genE5ELNS1_11target_archE942ELNS1_3gpuE9ELNS1_3repE0EEENS1_30default_config_static_selectorELNS0_4arch9wavefront6targetE1EEEvT1_
    .private_segment_fixed_size: 0
    .sgpr_count:     46
    .sgpr_spill_count: 0
    .symbol:         _ZN7rocprim17ROCPRIM_400000_NS6detail17trampoline_kernelINS0_14default_configENS1_25partition_config_selectorILNS1_17partition_subalgoE1EjNS0_10empty_typeEbEEZZNS1_14partition_implILS5_1ELb0ES3_jN6thrust23THRUST_200600_302600_NS6detail15normal_iteratorINSA_10device_ptrIjEEEEPS6_NSA_18transform_iteratorI7is_evenIjESF_NSA_11use_defaultESK_EENS0_5tupleIJSF_NSA_16discard_iteratorISK_EEEEENSM_IJSG_SG_EEES6_PlJS6_EEE10hipError_tPvRmT3_T4_T5_T6_T7_T9_mT8_P12ihipStream_tbDpT10_ENKUlT_T0_E_clISt17integral_constantIbLb1EES1B_EEDaS16_S17_EUlS16_E_NS1_11comp_targetILNS1_3genE5ELNS1_11target_archE942ELNS1_3gpuE9ELNS1_3repE0EEENS1_30default_config_static_selectorELNS0_4arch9wavefront6targetE1EEEvT1_.kd
    .uniform_work_group_size: 1
    .uses_dynamic_stack: false
    .vgpr_count:     67
    .vgpr_spill_count: 0
    .wavefront_size: 64
  - .agpr_count:     0
    .args:
      - .offset:         0
        .size:           152
        .value_kind:     by_value
    .group_segment_fixed_size: 0
    .kernarg_segment_align: 8
    .kernarg_segment_size: 152
    .language:       OpenCL C
    .language_version:
      - 2
      - 0
    .max_flat_workgroup_size: 256
    .name:           _ZN7rocprim17ROCPRIM_400000_NS6detail17trampoline_kernelINS0_14default_configENS1_25partition_config_selectorILNS1_17partition_subalgoE1EjNS0_10empty_typeEbEEZZNS1_14partition_implILS5_1ELb0ES3_jN6thrust23THRUST_200600_302600_NS6detail15normal_iteratorINSA_10device_ptrIjEEEEPS6_NSA_18transform_iteratorI7is_evenIjESF_NSA_11use_defaultESK_EENS0_5tupleIJSF_NSA_16discard_iteratorISK_EEEEENSM_IJSG_SG_EEES6_PlJS6_EEE10hipError_tPvRmT3_T4_T5_T6_T7_T9_mT8_P12ihipStream_tbDpT10_ENKUlT_T0_E_clISt17integral_constantIbLb1EES1B_EEDaS16_S17_EUlS16_E_NS1_11comp_targetILNS1_3genE4ELNS1_11target_archE910ELNS1_3gpuE8ELNS1_3repE0EEENS1_30default_config_static_selectorELNS0_4arch9wavefront6targetE1EEEvT1_
    .private_segment_fixed_size: 0
    .sgpr_count:     6
    .sgpr_spill_count: 0
    .symbol:         _ZN7rocprim17ROCPRIM_400000_NS6detail17trampoline_kernelINS0_14default_configENS1_25partition_config_selectorILNS1_17partition_subalgoE1EjNS0_10empty_typeEbEEZZNS1_14partition_implILS5_1ELb0ES3_jN6thrust23THRUST_200600_302600_NS6detail15normal_iteratorINSA_10device_ptrIjEEEEPS6_NSA_18transform_iteratorI7is_evenIjESF_NSA_11use_defaultESK_EENS0_5tupleIJSF_NSA_16discard_iteratorISK_EEEEENSM_IJSG_SG_EEES6_PlJS6_EEE10hipError_tPvRmT3_T4_T5_T6_T7_T9_mT8_P12ihipStream_tbDpT10_ENKUlT_T0_E_clISt17integral_constantIbLb1EES1B_EEDaS16_S17_EUlS16_E_NS1_11comp_targetILNS1_3genE4ELNS1_11target_archE910ELNS1_3gpuE8ELNS1_3repE0EEENS1_30default_config_static_selectorELNS0_4arch9wavefront6targetE1EEEvT1_.kd
    .uniform_work_group_size: 1
    .uses_dynamic_stack: false
    .vgpr_count:     0
    .vgpr_spill_count: 0
    .wavefront_size: 64
  - .agpr_count:     0
    .args:
      - .offset:         0
        .size:           152
        .value_kind:     by_value
    .group_segment_fixed_size: 0
    .kernarg_segment_align: 8
    .kernarg_segment_size: 152
    .language:       OpenCL C
    .language_version:
      - 2
      - 0
    .max_flat_workgroup_size: 256
    .name:           _ZN7rocprim17ROCPRIM_400000_NS6detail17trampoline_kernelINS0_14default_configENS1_25partition_config_selectorILNS1_17partition_subalgoE1EjNS0_10empty_typeEbEEZZNS1_14partition_implILS5_1ELb0ES3_jN6thrust23THRUST_200600_302600_NS6detail15normal_iteratorINSA_10device_ptrIjEEEEPS6_NSA_18transform_iteratorI7is_evenIjESF_NSA_11use_defaultESK_EENS0_5tupleIJSF_NSA_16discard_iteratorISK_EEEEENSM_IJSG_SG_EEES6_PlJS6_EEE10hipError_tPvRmT3_T4_T5_T6_T7_T9_mT8_P12ihipStream_tbDpT10_ENKUlT_T0_E_clISt17integral_constantIbLb1EES1B_EEDaS16_S17_EUlS16_E_NS1_11comp_targetILNS1_3genE3ELNS1_11target_archE908ELNS1_3gpuE7ELNS1_3repE0EEENS1_30default_config_static_selectorELNS0_4arch9wavefront6targetE1EEEvT1_
    .private_segment_fixed_size: 0
    .sgpr_count:     6
    .sgpr_spill_count: 0
    .symbol:         _ZN7rocprim17ROCPRIM_400000_NS6detail17trampoline_kernelINS0_14default_configENS1_25partition_config_selectorILNS1_17partition_subalgoE1EjNS0_10empty_typeEbEEZZNS1_14partition_implILS5_1ELb0ES3_jN6thrust23THRUST_200600_302600_NS6detail15normal_iteratorINSA_10device_ptrIjEEEEPS6_NSA_18transform_iteratorI7is_evenIjESF_NSA_11use_defaultESK_EENS0_5tupleIJSF_NSA_16discard_iteratorISK_EEEEENSM_IJSG_SG_EEES6_PlJS6_EEE10hipError_tPvRmT3_T4_T5_T6_T7_T9_mT8_P12ihipStream_tbDpT10_ENKUlT_T0_E_clISt17integral_constantIbLb1EES1B_EEDaS16_S17_EUlS16_E_NS1_11comp_targetILNS1_3genE3ELNS1_11target_archE908ELNS1_3gpuE7ELNS1_3repE0EEENS1_30default_config_static_selectorELNS0_4arch9wavefront6targetE1EEEvT1_.kd
    .uniform_work_group_size: 1
    .uses_dynamic_stack: false
    .vgpr_count:     0
    .vgpr_spill_count: 0
    .wavefront_size: 64
  - .agpr_count:     0
    .args:
      - .offset:         0
        .size:           152
        .value_kind:     by_value
    .group_segment_fixed_size: 0
    .kernarg_segment_align: 8
    .kernarg_segment_size: 152
    .language:       OpenCL C
    .language_version:
      - 2
      - 0
    .max_flat_workgroup_size: 256
    .name:           _ZN7rocprim17ROCPRIM_400000_NS6detail17trampoline_kernelINS0_14default_configENS1_25partition_config_selectorILNS1_17partition_subalgoE1EjNS0_10empty_typeEbEEZZNS1_14partition_implILS5_1ELb0ES3_jN6thrust23THRUST_200600_302600_NS6detail15normal_iteratorINSA_10device_ptrIjEEEEPS6_NSA_18transform_iteratorI7is_evenIjESF_NSA_11use_defaultESK_EENS0_5tupleIJSF_NSA_16discard_iteratorISK_EEEEENSM_IJSG_SG_EEES6_PlJS6_EEE10hipError_tPvRmT3_T4_T5_T6_T7_T9_mT8_P12ihipStream_tbDpT10_ENKUlT_T0_E_clISt17integral_constantIbLb1EES1B_EEDaS16_S17_EUlS16_E_NS1_11comp_targetILNS1_3genE2ELNS1_11target_archE906ELNS1_3gpuE6ELNS1_3repE0EEENS1_30default_config_static_selectorELNS0_4arch9wavefront6targetE1EEEvT1_
    .private_segment_fixed_size: 0
    .sgpr_count:     6
    .sgpr_spill_count: 0
    .symbol:         _ZN7rocprim17ROCPRIM_400000_NS6detail17trampoline_kernelINS0_14default_configENS1_25partition_config_selectorILNS1_17partition_subalgoE1EjNS0_10empty_typeEbEEZZNS1_14partition_implILS5_1ELb0ES3_jN6thrust23THRUST_200600_302600_NS6detail15normal_iteratorINSA_10device_ptrIjEEEEPS6_NSA_18transform_iteratorI7is_evenIjESF_NSA_11use_defaultESK_EENS0_5tupleIJSF_NSA_16discard_iteratorISK_EEEEENSM_IJSG_SG_EEES6_PlJS6_EEE10hipError_tPvRmT3_T4_T5_T6_T7_T9_mT8_P12ihipStream_tbDpT10_ENKUlT_T0_E_clISt17integral_constantIbLb1EES1B_EEDaS16_S17_EUlS16_E_NS1_11comp_targetILNS1_3genE2ELNS1_11target_archE906ELNS1_3gpuE6ELNS1_3repE0EEENS1_30default_config_static_selectorELNS0_4arch9wavefront6targetE1EEEvT1_.kd
    .uniform_work_group_size: 1
    .uses_dynamic_stack: false
    .vgpr_count:     0
    .vgpr_spill_count: 0
    .wavefront_size: 64
  - .agpr_count:     0
    .args:
      - .offset:         0
        .size:           152
        .value_kind:     by_value
    .group_segment_fixed_size: 0
    .kernarg_segment_align: 8
    .kernarg_segment_size: 152
    .language:       OpenCL C
    .language_version:
      - 2
      - 0
    .max_flat_workgroup_size: 256
    .name:           _ZN7rocprim17ROCPRIM_400000_NS6detail17trampoline_kernelINS0_14default_configENS1_25partition_config_selectorILNS1_17partition_subalgoE1EjNS0_10empty_typeEbEEZZNS1_14partition_implILS5_1ELb0ES3_jN6thrust23THRUST_200600_302600_NS6detail15normal_iteratorINSA_10device_ptrIjEEEEPS6_NSA_18transform_iteratorI7is_evenIjESF_NSA_11use_defaultESK_EENS0_5tupleIJSF_NSA_16discard_iteratorISK_EEEEENSM_IJSG_SG_EEES6_PlJS6_EEE10hipError_tPvRmT3_T4_T5_T6_T7_T9_mT8_P12ihipStream_tbDpT10_ENKUlT_T0_E_clISt17integral_constantIbLb1EES1B_EEDaS16_S17_EUlS16_E_NS1_11comp_targetILNS1_3genE10ELNS1_11target_archE1200ELNS1_3gpuE4ELNS1_3repE0EEENS1_30default_config_static_selectorELNS0_4arch9wavefront6targetE1EEEvT1_
    .private_segment_fixed_size: 0
    .sgpr_count:     6
    .sgpr_spill_count: 0
    .symbol:         _ZN7rocprim17ROCPRIM_400000_NS6detail17trampoline_kernelINS0_14default_configENS1_25partition_config_selectorILNS1_17partition_subalgoE1EjNS0_10empty_typeEbEEZZNS1_14partition_implILS5_1ELb0ES3_jN6thrust23THRUST_200600_302600_NS6detail15normal_iteratorINSA_10device_ptrIjEEEEPS6_NSA_18transform_iteratorI7is_evenIjESF_NSA_11use_defaultESK_EENS0_5tupleIJSF_NSA_16discard_iteratorISK_EEEEENSM_IJSG_SG_EEES6_PlJS6_EEE10hipError_tPvRmT3_T4_T5_T6_T7_T9_mT8_P12ihipStream_tbDpT10_ENKUlT_T0_E_clISt17integral_constantIbLb1EES1B_EEDaS16_S17_EUlS16_E_NS1_11comp_targetILNS1_3genE10ELNS1_11target_archE1200ELNS1_3gpuE4ELNS1_3repE0EEENS1_30default_config_static_selectorELNS0_4arch9wavefront6targetE1EEEvT1_.kd
    .uniform_work_group_size: 1
    .uses_dynamic_stack: false
    .vgpr_count:     0
    .vgpr_spill_count: 0
    .wavefront_size: 64
  - .agpr_count:     0
    .args:
      - .offset:         0
        .size:           152
        .value_kind:     by_value
    .group_segment_fixed_size: 0
    .kernarg_segment_align: 8
    .kernarg_segment_size: 152
    .language:       OpenCL C
    .language_version:
      - 2
      - 0
    .max_flat_workgroup_size: 128
    .name:           _ZN7rocprim17ROCPRIM_400000_NS6detail17trampoline_kernelINS0_14default_configENS1_25partition_config_selectorILNS1_17partition_subalgoE1EjNS0_10empty_typeEbEEZZNS1_14partition_implILS5_1ELb0ES3_jN6thrust23THRUST_200600_302600_NS6detail15normal_iteratorINSA_10device_ptrIjEEEEPS6_NSA_18transform_iteratorI7is_evenIjESF_NSA_11use_defaultESK_EENS0_5tupleIJSF_NSA_16discard_iteratorISK_EEEEENSM_IJSG_SG_EEES6_PlJS6_EEE10hipError_tPvRmT3_T4_T5_T6_T7_T9_mT8_P12ihipStream_tbDpT10_ENKUlT_T0_E_clISt17integral_constantIbLb1EES1B_EEDaS16_S17_EUlS16_E_NS1_11comp_targetILNS1_3genE9ELNS1_11target_archE1100ELNS1_3gpuE3ELNS1_3repE0EEENS1_30default_config_static_selectorELNS0_4arch9wavefront6targetE1EEEvT1_
    .private_segment_fixed_size: 0
    .sgpr_count:     6
    .sgpr_spill_count: 0
    .symbol:         _ZN7rocprim17ROCPRIM_400000_NS6detail17trampoline_kernelINS0_14default_configENS1_25partition_config_selectorILNS1_17partition_subalgoE1EjNS0_10empty_typeEbEEZZNS1_14partition_implILS5_1ELb0ES3_jN6thrust23THRUST_200600_302600_NS6detail15normal_iteratorINSA_10device_ptrIjEEEEPS6_NSA_18transform_iteratorI7is_evenIjESF_NSA_11use_defaultESK_EENS0_5tupleIJSF_NSA_16discard_iteratorISK_EEEEENSM_IJSG_SG_EEES6_PlJS6_EEE10hipError_tPvRmT3_T4_T5_T6_T7_T9_mT8_P12ihipStream_tbDpT10_ENKUlT_T0_E_clISt17integral_constantIbLb1EES1B_EEDaS16_S17_EUlS16_E_NS1_11comp_targetILNS1_3genE9ELNS1_11target_archE1100ELNS1_3gpuE3ELNS1_3repE0EEENS1_30default_config_static_selectorELNS0_4arch9wavefront6targetE1EEEvT1_.kd
    .uniform_work_group_size: 1
    .uses_dynamic_stack: false
    .vgpr_count:     0
    .vgpr_spill_count: 0
    .wavefront_size: 64
  - .agpr_count:     0
    .args:
      - .offset:         0
        .size:           152
        .value_kind:     by_value
    .group_segment_fixed_size: 0
    .kernarg_segment_align: 8
    .kernarg_segment_size: 152
    .language:       OpenCL C
    .language_version:
      - 2
      - 0
    .max_flat_workgroup_size: 512
    .name:           _ZN7rocprim17ROCPRIM_400000_NS6detail17trampoline_kernelINS0_14default_configENS1_25partition_config_selectorILNS1_17partition_subalgoE1EjNS0_10empty_typeEbEEZZNS1_14partition_implILS5_1ELb0ES3_jN6thrust23THRUST_200600_302600_NS6detail15normal_iteratorINSA_10device_ptrIjEEEEPS6_NSA_18transform_iteratorI7is_evenIjESF_NSA_11use_defaultESK_EENS0_5tupleIJSF_NSA_16discard_iteratorISK_EEEEENSM_IJSG_SG_EEES6_PlJS6_EEE10hipError_tPvRmT3_T4_T5_T6_T7_T9_mT8_P12ihipStream_tbDpT10_ENKUlT_T0_E_clISt17integral_constantIbLb1EES1B_EEDaS16_S17_EUlS16_E_NS1_11comp_targetILNS1_3genE8ELNS1_11target_archE1030ELNS1_3gpuE2ELNS1_3repE0EEENS1_30default_config_static_selectorELNS0_4arch9wavefront6targetE1EEEvT1_
    .private_segment_fixed_size: 0
    .sgpr_count:     6
    .sgpr_spill_count: 0
    .symbol:         _ZN7rocprim17ROCPRIM_400000_NS6detail17trampoline_kernelINS0_14default_configENS1_25partition_config_selectorILNS1_17partition_subalgoE1EjNS0_10empty_typeEbEEZZNS1_14partition_implILS5_1ELb0ES3_jN6thrust23THRUST_200600_302600_NS6detail15normal_iteratorINSA_10device_ptrIjEEEEPS6_NSA_18transform_iteratorI7is_evenIjESF_NSA_11use_defaultESK_EENS0_5tupleIJSF_NSA_16discard_iteratorISK_EEEEENSM_IJSG_SG_EEES6_PlJS6_EEE10hipError_tPvRmT3_T4_T5_T6_T7_T9_mT8_P12ihipStream_tbDpT10_ENKUlT_T0_E_clISt17integral_constantIbLb1EES1B_EEDaS16_S17_EUlS16_E_NS1_11comp_targetILNS1_3genE8ELNS1_11target_archE1030ELNS1_3gpuE2ELNS1_3repE0EEENS1_30default_config_static_selectorELNS0_4arch9wavefront6targetE1EEEvT1_.kd
    .uniform_work_group_size: 1
    .uses_dynamic_stack: false
    .vgpr_count:     0
    .vgpr_spill_count: 0
    .wavefront_size: 64
  - .agpr_count:     0
    .args:
      - .offset:         0
        .size:           136
        .value_kind:     by_value
    .group_segment_fixed_size: 0
    .kernarg_segment_align: 8
    .kernarg_segment_size: 136
    .language:       OpenCL C
    .language_version:
      - 2
      - 0
    .max_flat_workgroup_size: 256
    .name:           _ZN7rocprim17ROCPRIM_400000_NS6detail17trampoline_kernelINS0_14default_configENS1_25partition_config_selectorILNS1_17partition_subalgoE1EjNS0_10empty_typeEbEEZZNS1_14partition_implILS5_1ELb0ES3_jN6thrust23THRUST_200600_302600_NS6detail15normal_iteratorINSA_10device_ptrIjEEEEPS6_NSA_18transform_iteratorI7is_evenIjESF_NSA_11use_defaultESK_EENS0_5tupleIJSF_NSA_16discard_iteratorISK_EEEEENSM_IJSG_SG_EEES6_PlJS6_EEE10hipError_tPvRmT3_T4_T5_T6_T7_T9_mT8_P12ihipStream_tbDpT10_ENKUlT_T0_E_clISt17integral_constantIbLb1EES1A_IbLb0EEEEDaS16_S17_EUlS16_E_NS1_11comp_targetILNS1_3genE0ELNS1_11target_archE4294967295ELNS1_3gpuE0ELNS1_3repE0EEENS1_30default_config_static_selectorELNS0_4arch9wavefront6targetE1EEEvT1_
    .private_segment_fixed_size: 0
    .sgpr_count:     6
    .sgpr_spill_count: 0
    .symbol:         _ZN7rocprim17ROCPRIM_400000_NS6detail17trampoline_kernelINS0_14default_configENS1_25partition_config_selectorILNS1_17partition_subalgoE1EjNS0_10empty_typeEbEEZZNS1_14partition_implILS5_1ELb0ES3_jN6thrust23THRUST_200600_302600_NS6detail15normal_iteratorINSA_10device_ptrIjEEEEPS6_NSA_18transform_iteratorI7is_evenIjESF_NSA_11use_defaultESK_EENS0_5tupleIJSF_NSA_16discard_iteratorISK_EEEEENSM_IJSG_SG_EEES6_PlJS6_EEE10hipError_tPvRmT3_T4_T5_T6_T7_T9_mT8_P12ihipStream_tbDpT10_ENKUlT_T0_E_clISt17integral_constantIbLb1EES1A_IbLb0EEEEDaS16_S17_EUlS16_E_NS1_11comp_targetILNS1_3genE0ELNS1_11target_archE4294967295ELNS1_3gpuE0ELNS1_3repE0EEENS1_30default_config_static_selectorELNS0_4arch9wavefront6targetE1EEEvT1_.kd
    .uniform_work_group_size: 1
    .uses_dynamic_stack: false
    .vgpr_count:     0
    .vgpr_spill_count: 0
    .wavefront_size: 64
  - .agpr_count:     0
    .args:
      - .offset:         0
        .size:           136
        .value_kind:     by_value
    .group_segment_fixed_size: 30728
    .kernarg_segment_align: 8
    .kernarg_segment_size: 136
    .language:       OpenCL C
    .language_version:
      - 2
      - 0
    .max_flat_workgroup_size: 512
    .name:           _ZN7rocprim17ROCPRIM_400000_NS6detail17trampoline_kernelINS0_14default_configENS1_25partition_config_selectorILNS1_17partition_subalgoE1EjNS0_10empty_typeEbEEZZNS1_14partition_implILS5_1ELb0ES3_jN6thrust23THRUST_200600_302600_NS6detail15normal_iteratorINSA_10device_ptrIjEEEEPS6_NSA_18transform_iteratorI7is_evenIjESF_NSA_11use_defaultESK_EENS0_5tupleIJSF_NSA_16discard_iteratorISK_EEEEENSM_IJSG_SG_EEES6_PlJS6_EEE10hipError_tPvRmT3_T4_T5_T6_T7_T9_mT8_P12ihipStream_tbDpT10_ENKUlT_T0_E_clISt17integral_constantIbLb1EES1A_IbLb0EEEEDaS16_S17_EUlS16_E_NS1_11comp_targetILNS1_3genE5ELNS1_11target_archE942ELNS1_3gpuE9ELNS1_3repE0EEENS1_30default_config_static_selectorELNS0_4arch9wavefront6targetE1EEEvT1_
    .private_segment_fixed_size: 0
    .sgpr_count:     46
    .sgpr_spill_count: 0
    .symbol:         _ZN7rocprim17ROCPRIM_400000_NS6detail17trampoline_kernelINS0_14default_configENS1_25partition_config_selectorILNS1_17partition_subalgoE1EjNS0_10empty_typeEbEEZZNS1_14partition_implILS5_1ELb0ES3_jN6thrust23THRUST_200600_302600_NS6detail15normal_iteratorINSA_10device_ptrIjEEEEPS6_NSA_18transform_iteratorI7is_evenIjESF_NSA_11use_defaultESK_EENS0_5tupleIJSF_NSA_16discard_iteratorISK_EEEEENSM_IJSG_SG_EEES6_PlJS6_EEE10hipError_tPvRmT3_T4_T5_T6_T7_T9_mT8_P12ihipStream_tbDpT10_ENKUlT_T0_E_clISt17integral_constantIbLb1EES1A_IbLb0EEEEDaS16_S17_EUlS16_E_NS1_11comp_targetILNS1_3genE5ELNS1_11target_archE942ELNS1_3gpuE9ELNS1_3repE0EEENS1_30default_config_static_selectorELNS0_4arch9wavefront6targetE1EEEvT1_.kd
    .uniform_work_group_size: 1
    .uses_dynamic_stack: false
    .vgpr_count:     65
    .vgpr_spill_count: 0
    .wavefront_size: 64
  - .agpr_count:     0
    .args:
      - .offset:         0
        .size:           136
        .value_kind:     by_value
    .group_segment_fixed_size: 0
    .kernarg_segment_align: 8
    .kernarg_segment_size: 136
    .language:       OpenCL C
    .language_version:
      - 2
      - 0
    .max_flat_workgroup_size: 256
    .name:           _ZN7rocprim17ROCPRIM_400000_NS6detail17trampoline_kernelINS0_14default_configENS1_25partition_config_selectorILNS1_17partition_subalgoE1EjNS0_10empty_typeEbEEZZNS1_14partition_implILS5_1ELb0ES3_jN6thrust23THRUST_200600_302600_NS6detail15normal_iteratorINSA_10device_ptrIjEEEEPS6_NSA_18transform_iteratorI7is_evenIjESF_NSA_11use_defaultESK_EENS0_5tupleIJSF_NSA_16discard_iteratorISK_EEEEENSM_IJSG_SG_EEES6_PlJS6_EEE10hipError_tPvRmT3_T4_T5_T6_T7_T9_mT8_P12ihipStream_tbDpT10_ENKUlT_T0_E_clISt17integral_constantIbLb1EES1A_IbLb0EEEEDaS16_S17_EUlS16_E_NS1_11comp_targetILNS1_3genE4ELNS1_11target_archE910ELNS1_3gpuE8ELNS1_3repE0EEENS1_30default_config_static_selectorELNS0_4arch9wavefront6targetE1EEEvT1_
    .private_segment_fixed_size: 0
    .sgpr_count:     6
    .sgpr_spill_count: 0
    .symbol:         _ZN7rocprim17ROCPRIM_400000_NS6detail17trampoline_kernelINS0_14default_configENS1_25partition_config_selectorILNS1_17partition_subalgoE1EjNS0_10empty_typeEbEEZZNS1_14partition_implILS5_1ELb0ES3_jN6thrust23THRUST_200600_302600_NS6detail15normal_iteratorINSA_10device_ptrIjEEEEPS6_NSA_18transform_iteratorI7is_evenIjESF_NSA_11use_defaultESK_EENS0_5tupleIJSF_NSA_16discard_iteratorISK_EEEEENSM_IJSG_SG_EEES6_PlJS6_EEE10hipError_tPvRmT3_T4_T5_T6_T7_T9_mT8_P12ihipStream_tbDpT10_ENKUlT_T0_E_clISt17integral_constantIbLb1EES1A_IbLb0EEEEDaS16_S17_EUlS16_E_NS1_11comp_targetILNS1_3genE4ELNS1_11target_archE910ELNS1_3gpuE8ELNS1_3repE0EEENS1_30default_config_static_selectorELNS0_4arch9wavefront6targetE1EEEvT1_.kd
    .uniform_work_group_size: 1
    .uses_dynamic_stack: false
    .vgpr_count:     0
    .vgpr_spill_count: 0
    .wavefront_size: 64
  - .agpr_count:     0
    .args:
      - .offset:         0
        .size:           136
        .value_kind:     by_value
    .group_segment_fixed_size: 0
    .kernarg_segment_align: 8
    .kernarg_segment_size: 136
    .language:       OpenCL C
    .language_version:
      - 2
      - 0
    .max_flat_workgroup_size: 256
    .name:           _ZN7rocprim17ROCPRIM_400000_NS6detail17trampoline_kernelINS0_14default_configENS1_25partition_config_selectorILNS1_17partition_subalgoE1EjNS0_10empty_typeEbEEZZNS1_14partition_implILS5_1ELb0ES3_jN6thrust23THRUST_200600_302600_NS6detail15normal_iteratorINSA_10device_ptrIjEEEEPS6_NSA_18transform_iteratorI7is_evenIjESF_NSA_11use_defaultESK_EENS0_5tupleIJSF_NSA_16discard_iteratorISK_EEEEENSM_IJSG_SG_EEES6_PlJS6_EEE10hipError_tPvRmT3_T4_T5_T6_T7_T9_mT8_P12ihipStream_tbDpT10_ENKUlT_T0_E_clISt17integral_constantIbLb1EES1A_IbLb0EEEEDaS16_S17_EUlS16_E_NS1_11comp_targetILNS1_3genE3ELNS1_11target_archE908ELNS1_3gpuE7ELNS1_3repE0EEENS1_30default_config_static_selectorELNS0_4arch9wavefront6targetE1EEEvT1_
    .private_segment_fixed_size: 0
    .sgpr_count:     6
    .sgpr_spill_count: 0
    .symbol:         _ZN7rocprim17ROCPRIM_400000_NS6detail17trampoline_kernelINS0_14default_configENS1_25partition_config_selectorILNS1_17partition_subalgoE1EjNS0_10empty_typeEbEEZZNS1_14partition_implILS5_1ELb0ES3_jN6thrust23THRUST_200600_302600_NS6detail15normal_iteratorINSA_10device_ptrIjEEEEPS6_NSA_18transform_iteratorI7is_evenIjESF_NSA_11use_defaultESK_EENS0_5tupleIJSF_NSA_16discard_iteratorISK_EEEEENSM_IJSG_SG_EEES6_PlJS6_EEE10hipError_tPvRmT3_T4_T5_T6_T7_T9_mT8_P12ihipStream_tbDpT10_ENKUlT_T0_E_clISt17integral_constantIbLb1EES1A_IbLb0EEEEDaS16_S17_EUlS16_E_NS1_11comp_targetILNS1_3genE3ELNS1_11target_archE908ELNS1_3gpuE7ELNS1_3repE0EEENS1_30default_config_static_selectorELNS0_4arch9wavefront6targetE1EEEvT1_.kd
    .uniform_work_group_size: 1
    .uses_dynamic_stack: false
    .vgpr_count:     0
    .vgpr_spill_count: 0
    .wavefront_size: 64
  - .agpr_count:     0
    .args:
      - .offset:         0
        .size:           136
        .value_kind:     by_value
    .group_segment_fixed_size: 0
    .kernarg_segment_align: 8
    .kernarg_segment_size: 136
    .language:       OpenCL C
    .language_version:
      - 2
      - 0
    .max_flat_workgroup_size: 256
    .name:           _ZN7rocprim17ROCPRIM_400000_NS6detail17trampoline_kernelINS0_14default_configENS1_25partition_config_selectorILNS1_17partition_subalgoE1EjNS0_10empty_typeEbEEZZNS1_14partition_implILS5_1ELb0ES3_jN6thrust23THRUST_200600_302600_NS6detail15normal_iteratorINSA_10device_ptrIjEEEEPS6_NSA_18transform_iteratorI7is_evenIjESF_NSA_11use_defaultESK_EENS0_5tupleIJSF_NSA_16discard_iteratorISK_EEEEENSM_IJSG_SG_EEES6_PlJS6_EEE10hipError_tPvRmT3_T4_T5_T6_T7_T9_mT8_P12ihipStream_tbDpT10_ENKUlT_T0_E_clISt17integral_constantIbLb1EES1A_IbLb0EEEEDaS16_S17_EUlS16_E_NS1_11comp_targetILNS1_3genE2ELNS1_11target_archE906ELNS1_3gpuE6ELNS1_3repE0EEENS1_30default_config_static_selectorELNS0_4arch9wavefront6targetE1EEEvT1_
    .private_segment_fixed_size: 0
    .sgpr_count:     6
    .sgpr_spill_count: 0
    .symbol:         _ZN7rocprim17ROCPRIM_400000_NS6detail17trampoline_kernelINS0_14default_configENS1_25partition_config_selectorILNS1_17partition_subalgoE1EjNS0_10empty_typeEbEEZZNS1_14partition_implILS5_1ELb0ES3_jN6thrust23THRUST_200600_302600_NS6detail15normal_iteratorINSA_10device_ptrIjEEEEPS6_NSA_18transform_iteratorI7is_evenIjESF_NSA_11use_defaultESK_EENS0_5tupleIJSF_NSA_16discard_iteratorISK_EEEEENSM_IJSG_SG_EEES6_PlJS6_EEE10hipError_tPvRmT3_T4_T5_T6_T7_T9_mT8_P12ihipStream_tbDpT10_ENKUlT_T0_E_clISt17integral_constantIbLb1EES1A_IbLb0EEEEDaS16_S17_EUlS16_E_NS1_11comp_targetILNS1_3genE2ELNS1_11target_archE906ELNS1_3gpuE6ELNS1_3repE0EEENS1_30default_config_static_selectorELNS0_4arch9wavefront6targetE1EEEvT1_.kd
    .uniform_work_group_size: 1
    .uses_dynamic_stack: false
    .vgpr_count:     0
    .vgpr_spill_count: 0
    .wavefront_size: 64
  - .agpr_count:     0
    .args:
      - .offset:         0
        .size:           136
        .value_kind:     by_value
    .group_segment_fixed_size: 0
    .kernarg_segment_align: 8
    .kernarg_segment_size: 136
    .language:       OpenCL C
    .language_version:
      - 2
      - 0
    .max_flat_workgroup_size: 256
    .name:           _ZN7rocprim17ROCPRIM_400000_NS6detail17trampoline_kernelINS0_14default_configENS1_25partition_config_selectorILNS1_17partition_subalgoE1EjNS0_10empty_typeEbEEZZNS1_14partition_implILS5_1ELb0ES3_jN6thrust23THRUST_200600_302600_NS6detail15normal_iteratorINSA_10device_ptrIjEEEEPS6_NSA_18transform_iteratorI7is_evenIjESF_NSA_11use_defaultESK_EENS0_5tupleIJSF_NSA_16discard_iteratorISK_EEEEENSM_IJSG_SG_EEES6_PlJS6_EEE10hipError_tPvRmT3_T4_T5_T6_T7_T9_mT8_P12ihipStream_tbDpT10_ENKUlT_T0_E_clISt17integral_constantIbLb1EES1A_IbLb0EEEEDaS16_S17_EUlS16_E_NS1_11comp_targetILNS1_3genE10ELNS1_11target_archE1200ELNS1_3gpuE4ELNS1_3repE0EEENS1_30default_config_static_selectorELNS0_4arch9wavefront6targetE1EEEvT1_
    .private_segment_fixed_size: 0
    .sgpr_count:     6
    .sgpr_spill_count: 0
    .symbol:         _ZN7rocprim17ROCPRIM_400000_NS6detail17trampoline_kernelINS0_14default_configENS1_25partition_config_selectorILNS1_17partition_subalgoE1EjNS0_10empty_typeEbEEZZNS1_14partition_implILS5_1ELb0ES3_jN6thrust23THRUST_200600_302600_NS6detail15normal_iteratorINSA_10device_ptrIjEEEEPS6_NSA_18transform_iteratorI7is_evenIjESF_NSA_11use_defaultESK_EENS0_5tupleIJSF_NSA_16discard_iteratorISK_EEEEENSM_IJSG_SG_EEES6_PlJS6_EEE10hipError_tPvRmT3_T4_T5_T6_T7_T9_mT8_P12ihipStream_tbDpT10_ENKUlT_T0_E_clISt17integral_constantIbLb1EES1A_IbLb0EEEEDaS16_S17_EUlS16_E_NS1_11comp_targetILNS1_3genE10ELNS1_11target_archE1200ELNS1_3gpuE4ELNS1_3repE0EEENS1_30default_config_static_selectorELNS0_4arch9wavefront6targetE1EEEvT1_.kd
    .uniform_work_group_size: 1
    .uses_dynamic_stack: false
    .vgpr_count:     0
    .vgpr_spill_count: 0
    .wavefront_size: 64
  - .agpr_count:     0
    .args:
      - .offset:         0
        .size:           136
        .value_kind:     by_value
    .group_segment_fixed_size: 0
    .kernarg_segment_align: 8
    .kernarg_segment_size: 136
    .language:       OpenCL C
    .language_version:
      - 2
      - 0
    .max_flat_workgroup_size: 128
    .name:           _ZN7rocprim17ROCPRIM_400000_NS6detail17trampoline_kernelINS0_14default_configENS1_25partition_config_selectorILNS1_17partition_subalgoE1EjNS0_10empty_typeEbEEZZNS1_14partition_implILS5_1ELb0ES3_jN6thrust23THRUST_200600_302600_NS6detail15normal_iteratorINSA_10device_ptrIjEEEEPS6_NSA_18transform_iteratorI7is_evenIjESF_NSA_11use_defaultESK_EENS0_5tupleIJSF_NSA_16discard_iteratorISK_EEEEENSM_IJSG_SG_EEES6_PlJS6_EEE10hipError_tPvRmT3_T4_T5_T6_T7_T9_mT8_P12ihipStream_tbDpT10_ENKUlT_T0_E_clISt17integral_constantIbLb1EES1A_IbLb0EEEEDaS16_S17_EUlS16_E_NS1_11comp_targetILNS1_3genE9ELNS1_11target_archE1100ELNS1_3gpuE3ELNS1_3repE0EEENS1_30default_config_static_selectorELNS0_4arch9wavefront6targetE1EEEvT1_
    .private_segment_fixed_size: 0
    .sgpr_count:     6
    .sgpr_spill_count: 0
    .symbol:         _ZN7rocprim17ROCPRIM_400000_NS6detail17trampoline_kernelINS0_14default_configENS1_25partition_config_selectorILNS1_17partition_subalgoE1EjNS0_10empty_typeEbEEZZNS1_14partition_implILS5_1ELb0ES3_jN6thrust23THRUST_200600_302600_NS6detail15normal_iteratorINSA_10device_ptrIjEEEEPS6_NSA_18transform_iteratorI7is_evenIjESF_NSA_11use_defaultESK_EENS0_5tupleIJSF_NSA_16discard_iteratorISK_EEEEENSM_IJSG_SG_EEES6_PlJS6_EEE10hipError_tPvRmT3_T4_T5_T6_T7_T9_mT8_P12ihipStream_tbDpT10_ENKUlT_T0_E_clISt17integral_constantIbLb1EES1A_IbLb0EEEEDaS16_S17_EUlS16_E_NS1_11comp_targetILNS1_3genE9ELNS1_11target_archE1100ELNS1_3gpuE3ELNS1_3repE0EEENS1_30default_config_static_selectorELNS0_4arch9wavefront6targetE1EEEvT1_.kd
    .uniform_work_group_size: 1
    .uses_dynamic_stack: false
    .vgpr_count:     0
    .vgpr_spill_count: 0
    .wavefront_size: 64
  - .agpr_count:     0
    .args:
      - .offset:         0
        .size:           136
        .value_kind:     by_value
    .group_segment_fixed_size: 0
    .kernarg_segment_align: 8
    .kernarg_segment_size: 136
    .language:       OpenCL C
    .language_version:
      - 2
      - 0
    .max_flat_workgroup_size: 512
    .name:           _ZN7rocprim17ROCPRIM_400000_NS6detail17trampoline_kernelINS0_14default_configENS1_25partition_config_selectorILNS1_17partition_subalgoE1EjNS0_10empty_typeEbEEZZNS1_14partition_implILS5_1ELb0ES3_jN6thrust23THRUST_200600_302600_NS6detail15normal_iteratorINSA_10device_ptrIjEEEEPS6_NSA_18transform_iteratorI7is_evenIjESF_NSA_11use_defaultESK_EENS0_5tupleIJSF_NSA_16discard_iteratorISK_EEEEENSM_IJSG_SG_EEES6_PlJS6_EEE10hipError_tPvRmT3_T4_T5_T6_T7_T9_mT8_P12ihipStream_tbDpT10_ENKUlT_T0_E_clISt17integral_constantIbLb1EES1A_IbLb0EEEEDaS16_S17_EUlS16_E_NS1_11comp_targetILNS1_3genE8ELNS1_11target_archE1030ELNS1_3gpuE2ELNS1_3repE0EEENS1_30default_config_static_selectorELNS0_4arch9wavefront6targetE1EEEvT1_
    .private_segment_fixed_size: 0
    .sgpr_count:     6
    .sgpr_spill_count: 0
    .symbol:         _ZN7rocprim17ROCPRIM_400000_NS6detail17trampoline_kernelINS0_14default_configENS1_25partition_config_selectorILNS1_17partition_subalgoE1EjNS0_10empty_typeEbEEZZNS1_14partition_implILS5_1ELb0ES3_jN6thrust23THRUST_200600_302600_NS6detail15normal_iteratorINSA_10device_ptrIjEEEEPS6_NSA_18transform_iteratorI7is_evenIjESF_NSA_11use_defaultESK_EENS0_5tupleIJSF_NSA_16discard_iteratorISK_EEEEENSM_IJSG_SG_EEES6_PlJS6_EEE10hipError_tPvRmT3_T4_T5_T6_T7_T9_mT8_P12ihipStream_tbDpT10_ENKUlT_T0_E_clISt17integral_constantIbLb1EES1A_IbLb0EEEEDaS16_S17_EUlS16_E_NS1_11comp_targetILNS1_3genE8ELNS1_11target_archE1030ELNS1_3gpuE2ELNS1_3repE0EEENS1_30default_config_static_selectorELNS0_4arch9wavefront6targetE1EEEvT1_.kd
    .uniform_work_group_size: 1
    .uses_dynamic_stack: false
    .vgpr_count:     0
    .vgpr_spill_count: 0
    .wavefront_size: 64
  - .agpr_count:     0
    .args:
      - .offset:         0
        .size:           152
        .value_kind:     by_value
    .group_segment_fixed_size: 0
    .kernarg_segment_align: 8
    .kernarg_segment_size: 152
    .language:       OpenCL C
    .language_version:
      - 2
      - 0
    .max_flat_workgroup_size: 256
    .name:           _ZN7rocprim17ROCPRIM_400000_NS6detail17trampoline_kernelINS0_14default_configENS1_25partition_config_selectorILNS1_17partition_subalgoE1EjNS0_10empty_typeEbEEZZNS1_14partition_implILS5_1ELb0ES3_jN6thrust23THRUST_200600_302600_NS6detail15normal_iteratorINSA_10device_ptrIjEEEEPS6_NSA_18transform_iteratorI7is_evenIjESF_NSA_11use_defaultESK_EENS0_5tupleIJSF_NSA_16discard_iteratorISK_EEEEENSM_IJSG_SG_EEES6_PlJS6_EEE10hipError_tPvRmT3_T4_T5_T6_T7_T9_mT8_P12ihipStream_tbDpT10_ENKUlT_T0_E_clISt17integral_constantIbLb0EES1A_IbLb1EEEEDaS16_S17_EUlS16_E_NS1_11comp_targetILNS1_3genE0ELNS1_11target_archE4294967295ELNS1_3gpuE0ELNS1_3repE0EEENS1_30default_config_static_selectorELNS0_4arch9wavefront6targetE1EEEvT1_
    .private_segment_fixed_size: 0
    .sgpr_count:     6
    .sgpr_spill_count: 0
    .symbol:         _ZN7rocprim17ROCPRIM_400000_NS6detail17trampoline_kernelINS0_14default_configENS1_25partition_config_selectorILNS1_17partition_subalgoE1EjNS0_10empty_typeEbEEZZNS1_14partition_implILS5_1ELb0ES3_jN6thrust23THRUST_200600_302600_NS6detail15normal_iteratorINSA_10device_ptrIjEEEEPS6_NSA_18transform_iteratorI7is_evenIjESF_NSA_11use_defaultESK_EENS0_5tupleIJSF_NSA_16discard_iteratorISK_EEEEENSM_IJSG_SG_EEES6_PlJS6_EEE10hipError_tPvRmT3_T4_T5_T6_T7_T9_mT8_P12ihipStream_tbDpT10_ENKUlT_T0_E_clISt17integral_constantIbLb0EES1A_IbLb1EEEEDaS16_S17_EUlS16_E_NS1_11comp_targetILNS1_3genE0ELNS1_11target_archE4294967295ELNS1_3gpuE0ELNS1_3repE0EEENS1_30default_config_static_selectorELNS0_4arch9wavefront6targetE1EEEvT1_.kd
    .uniform_work_group_size: 1
    .uses_dynamic_stack: false
    .vgpr_count:     0
    .vgpr_spill_count: 0
    .wavefront_size: 64
  - .agpr_count:     0
    .args:
      - .offset:         0
        .size:           152
        .value_kind:     by_value
    .group_segment_fixed_size: 30728
    .kernarg_segment_align: 8
    .kernarg_segment_size: 152
    .language:       OpenCL C
    .language_version:
      - 2
      - 0
    .max_flat_workgroup_size: 512
    .name:           _ZN7rocprim17ROCPRIM_400000_NS6detail17trampoline_kernelINS0_14default_configENS1_25partition_config_selectorILNS1_17partition_subalgoE1EjNS0_10empty_typeEbEEZZNS1_14partition_implILS5_1ELb0ES3_jN6thrust23THRUST_200600_302600_NS6detail15normal_iteratorINSA_10device_ptrIjEEEEPS6_NSA_18transform_iteratorI7is_evenIjESF_NSA_11use_defaultESK_EENS0_5tupleIJSF_NSA_16discard_iteratorISK_EEEEENSM_IJSG_SG_EEES6_PlJS6_EEE10hipError_tPvRmT3_T4_T5_T6_T7_T9_mT8_P12ihipStream_tbDpT10_ENKUlT_T0_E_clISt17integral_constantIbLb0EES1A_IbLb1EEEEDaS16_S17_EUlS16_E_NS1_11comp_targetILNS1_3genE5ELNS1_11target_archE942ELNS1_3gpuE9ELNS1_3repE0EEENS1_30default_config_static_selectorELNS0_4arch9wavefront6targetE1EEEvT1_
    .private_segment_fixed_size: 0
    .sgpr_count:     46
    .sgpr_spill_count: 0
    .symbol:         _ZN7rocprim17ROCPRIM_400000_NS6detail17trampoline_kernelINS0_14default_configENS1_25partition_config_selectorILNS1_17partition_subalgoE1EjNS0_10empty_typeEbEEZZNS1_14partition_implILS5_1ELb0ES3_jN6thrust23THRUST_200600_302600_NS6detail15normal_iteratorINSA_10device_ptrIjEEEEPS6_NSA_18transform_iteratorI7is_evenIjESF_NSA_11use_defaultESK_EENS0_5tupleIJSF_NSA_16discard_iteratorISK_EEEEENSM_IJSG_SG_EEES6_PlJS6_EEE10hipError_tPvRmT3_T4_T5_T6_T7_T9_mT8_P12ihipStream_tbDpT10_ENKUlT_T0_E_clISt17integral_constantIbLb0EES1A_IbLb1EEEEDaS16_S17_EUlS16_E_NS1_11comp_targetILNS1_3genE5ELNS1_11target_archE942ELNS1_3gpuE9ELNS1_3repE0EEENS1_30default_config_static_selectorELNS0_4arch9wavefront6targetE1EEEvT1_.kd
    .uniform_work_group_size: 1
    .uses_dynamic_stack: false
    .vgpr_count:     67
    .vgpr_spill_count: 0
    .wavefront_size: 64
  - .agpr_count:     0
    .args:
      - .offset:         0
        .size:           152
        .value_kind:     by_value
    .group_segment_fixed_size: 0
    .kernarg_segment_align: 8
    .kernarg_segment_size: 152
    .language:       OpenCL C
    .language_version:
      - 2
      - 0
    .max_flat_workgroup_size: 256
    .name:           _ZN7rocprim17ROCPRIM_400000_NS6detail17trampoline_kernelINS0_14default_configENS1_25partition_config_selectorILNS1_17partition_subalgoE1EjNS0_10empty_typeEbEEZZNS1_14partition_implILS5_1ELb0ES3_jN6thrust23THRUST_200600_302600_NS6detail15normal_iteratorINSA_10device_ptrIjEEEEPS6_NSA_18transform_iteratorI7is_evenIjESF_NSA_11use_defaultESK_EENS0_5tupleIJSF_NSA_16discard_iteratorISK_EEEEENSM_IJSG_SG_EEES6_PlJS6_EEE10hipError_tPvRmT3_T4_T5_T6_T7_T9_mT8_P12ihipStream_tbDpT10_ENKUlT_T0_E_clISt17integral_constantIbLb0EES1A_IbLb1EEEEDaS16_S17_EUlS16_E_NS1_11comp_targetILNS1_3genE4ELNS1_11target_archE910ELNS1_3gpuE8ELNS1_3repE0EEENS1_30default_config_static_selectorELNS0_4arch9wavefront6targetE1EEEvT1_
    .private_segment_fixed_size: 0
    .sgpr_count:     6
    .sgpr_spill_count: 0
    .symbol:         _ZN7rocprim17ROCPRIM_400000_NS6detail17trampoline_kernelINS0_14default_configENS1_25partition_config_selectorILNS1_17partition_subalgoE1EjNS0_10empty_typeEbEEZZNS1_14partition_implILS5_1ELb0ES3_jN6thrust23THRUST_200600_302600_NS6detail15normal_iteratorINSA_10device_ptrIjEEEEPS6_NSA_18transform_iteratorI7is_evenIjESF_NSA_11use_defaultESK_EENS0_5tupleIJSF_NSA_16discard_iteratorISK_EEEEENSM_IJSG_SG_EEES6_PlJS6_EEE10hipError_tPvRmT3_T4_T5_T6_T7_T9_mT8_P12ihipStream_tbDpT10_ENKUlT_T0_E_clISt17integral_constantIbLb0EES1A_IbLb1EEEEDaS16_S17_EUlS16_E_NS1_11comp_targetILNS1_3genE4ELNS1_11target_archE910ELNS1_3gpuE8ELNS1_3repE0EEENS1_30default_config_static_selectorELNS0_4arch9wavefront6targetE1EEEvT1_.kd
    .uniform_work_group_size: 1
    .uses_dynamic_stack: false
    .vgpr_count:     0
    .vgpr_spill_count: 0
    .wavefront_size: 64
  - .agpr_count:     0
    .args:
      - .offset:         0
        .size:           152
        .value_kind:     by_value
    .group_segment_fixed_size: 0
    .kernarg_segment_align: 8
    .kernarg_segment_size: 152
    .language:       OpenCL C
    .language_version:
      - 2
      - 0
    .max_flat_workgroup_size: 256
    .name:           _ZN7rocprim17ROCPRIM_400000_NS6detail17trampoline_kernelINS0_14default_configENS1_25partition_config_selectorILNS1_17partition_subalgoE1EjNS0_10empty_typeEbEEZZNS1_14partition_implILS5_1ELb0ES3_jN6thrust23THRUST_200600_302600_NS6detail15normal_iteratorINSA_10device_ptrIjEEEEPS6_NSA_18transform_iteratorI7is_evenIjESF_NSA_11use_defaultESK_EENS0_5tupleIJSF_NSA_16discard_iteratorISK_EEEEENSM_IJSG_SG_EEES6_PlJS6_EEE10hipError_tPvRmT3_T4_T5_T6_T7_T9_mT8_P12ihipStream_tbDpT10_ENKUlT_T0_E_clISt17integral_constantIbLb0EES1A_IbLb1EEEEDaS16_S17_EUlS16_E_NS1_11comp_targetILNS1_3genE3ELNS1_11target_archE908ELNS1_3gpuE7ELNS1_3repE0EEENS1_30default_config_static_selectorELNS0_4arch9wavefront6targetE1EEEvT1_
    .private_segment_fixed_size: 0
    .sgpr_count:     6
    .sgpr_spill_count: 0
    .symbol:         _ZN7rocprim17ROCPRIM_400000_NS6detail17trampoline_kernelINS0_14default_configENS1_25partition_config_selectorILNS1_17partition_subalgoE1EjNS0_10empty_typeEbEEZZNS1_14partition_implILS5_1ELb0ES3_jN6thrust23THRUST_200600_302600_NS6detail15normal_iteratorINSA_10device_ptrIjEEEEPS6_NSA_18transform_iteratorI7is_evenIjESF_NSA_11use_defaultESK_EENS0_5tupleIJSF_NSA_16discard_iteratorISK_EEEEENSM_IJSG_SG_EEES6_PlJS6_EEE10hipError_tPvRmT3_T4_T5_T6_T7_T9_mT8_P12ihipStream_tbDpT10_ENKUlT_T0_E_clISt17integral_constantIbLb0EES1A_IbLb1EEEEDaS16_S17_EUlS16_E_NS1_11comp_targetILNS1_3genE3ELNS1_11target_archE908ELNS1_3gpuE7ELNS1_3repE0EEENS1_30default_config_static_selectorELNS0_4arch9wavefront6targetE1EEEvT1_.kd
    .uniform_work_group_size: 1
    .uses_dynamic_stack: false
    .vgpr_count:     0
    .vgpr_spill_count: 0
    .wavefront_size: 64
  - .agpr_count:     0
    .args:
      - .offset:         0
        .size:           152
        .value_kind:     by_value
    .group_segment_fixed_size: 0
    .kernarg_segment_align: 8
    .kernarg_segment_size: 152
    .language:       OpenCL C
    .language_version:
      - 2
      - 0
    .max_flat_workgroup_size: 256
    .name:           _ZN7rocprim17ROCPRIM_400000_NS6detail17trampoline_kernelINS0_14default_configENS1_25partition_config_selectorILNS1_17partition_subalgoE1EjNS0_10empty_typeEbEEZZNS1_14partition_implILS5_1ELb0ES3_jN6thrust23THRUST_200600_302600_NS6detail15normal_iteratorINSA_10device_ptrIjEEEEPS6_NSA_18transform_iteratorI7is_evenIjESF_NSA_11use_defaultESK_EENS0_5tupleIJSF_NSA_16discard_iteratorISK_EEEEENSM_IJSG_SG_EEES6_PlJS6_EEE10hipError_tPvRmT3_T4_T5_T6_T7_T9_mT8_P12ihipStream_tbDpT10_ENKUlT_T0_E_clISt17integral_constantIbLb0EES1A_IbLb1EEEEDaS16_S17_EUlS16_E_NS1_11comp_targetILNS1_3genE2ELNS1_11target_archE906ELNS1_3gpuE6ELNS1_3repE0EEENS1_30default_config_static_selectorELNS0_4arch9wavefront6targetE1EEEvT1_
    .private_segment_fixed_size: 0
    .sgpr_count:     6
    .sgpr_spill_count: 0
    .symbol:         _ZN7rocprim17ROCPRIM_400000_NS6detail17trampoline_kernelINS0_14default_configENS1_25partition_config_selectorILNS1_17partition_subalgoE1EjNS0_10empty_typeEbEEZZNS1_14partition_implILS5_1ELb0ES3_jN6thrust23THRUST_200600_302600_NS6detail15normal_iteratorINSA_10device_ptrIjEEEEPS6_NSA_18transform_iteratorI7is_evenIjESF_NSA_11use_defaultESK_EENS0_5tupleIJSF_NSA_16discard_iteratorISK_EEEEENSM_IJSG_SG_EEES6_PlJS6_EEE10hipError_tPvRmT3_T4_T5_T6_T7_T9_mT8_P12ihipStream_tbDpT10_ENKUlT_T0_E_clISt17integral_constantIbLb0EES1A_IbLb1EEEEDaS16_S17_EUlS16_E_NS1_11comp_targetILNS1_3genE2ELNS1_11target_archE906ELNS1_3gpuE6ELNS1_3repE0EEENS1_30default_config_static_selectorELNS0_4arch9wavefront6targetE1EEEvT1_.kd
    .uniform_work_group_size: 1
    .uses_dynamic_stack: false
    .vgpr_count:     0
    .vgpr_spill_count: 0
    .wavefront_size: 64
  - .agpr_count:     0
    .args:
      - .offset:         0
        .size:           152
        .value_kind:     by_value
    .group_segment_fixed_size: 0
    .kernarg_segment_align: 8
    .kernarg_segment_size: 152
    .language:       OpenCL C
    .language_version:
      - 2
      - 0
    .max_flat_workgroup_size: 256
    .name:           _ZN7rocprim17ROCPRIM_400000_NS6detail17trampoline_kernelINS0_14default_configENS1_25partition_config_selectorILNS1_17partition_subalgoE1EjNS0_10empty_typeEbEEZZNS1_14partition_implILS5_1ELb0ES3_jN6thrust23THRUST_200600_302600_NS6detail15normal_iteratorINSA_10device_ptrIjEEEEPS6_NSA_18transform_iteratorI7is_evenIjESF_NSA_11use_defaultESK_EENS0_5tupleIJSF_NSA_16discard_iteratorISK_EEEEENSM_IJSG_SG_EEES6_PlJS6_EEE10hipError_tPvRmT3_T4_T5_T6_T7_T9_mT8_P12ihipStream_tbDpT10_ENKUlT_T0_E_clISt17integral_constantIbLb0EES1A_IbLb1EEEEDaS16_S17_EUlS16_E_NS1_11comp_targetILNS1_3genE10ELNS1_11target_archE1200ELNS1_3gpuE4ELNS1_3repE0EEENS1_30default_config_static_selectorELNS0_4arch9wavefront6targetE1EEEvT1_
    .private_segment_fixed_size: 0
    .sgpr_count:     6
    .sgpr_spill_count: 0
    .symbol:         _ZN7rocprim17ROCPRIM_400000_NS6detail17trampoline_kernelINS0_14default_configENS1_25partition_config_selectorILNS1_17partition_subalgoE1EjNS0_10empty_typeEbEEZZNS1_14partition_implILS5_1ELb0ES3_jN6thrust23THRUST_200600_302600_NS6detail15normal_iteratorINSA_10device_ptrIjEEEEPS6_NSA_18transform_iteratorI7is_evenIjESF_NSA_11use_defaultESK_EENS0_5tupleIJSF_NSA_16discard_iteratorISK_EEEEENSM_IJSG_SG_EEES6_PlJS6_EEE10hipError_tPvRmT3_T4_T5_T6_T7_T9_mT8_P12ihipStream_tbDpT10_ENKUlT_T0_E_clISt17integral_constantIbLb0EES1A_IbLb1EEEEDaS16_S17_EUlS16_E_NS1_11comp_targetILNS1_3genE10ELNS1_11target_archE1200ELNS1_3gpuE4ELNS1_3repE0EEENS1_30default_config_static_selectorELNS0_4arch9wavefront6targetE1EEEvT1_.kd
    .uniform_work_group_size: 1
    .uses_dynamic_stack: false
    .vgpr_count:     0
    .vgpr_spill_count: 0
    .wavefront_size: 64
  - .agpr_count:     0
    .args:
      - .offset:         0
        .size:           152
        .value_kind:     by_value
    .group_segment_fixed_size: 0
    .kernarg_segment_align: 8
    .kernarg_segment_size: 152
    .language:       OpenCL C
    .language_version:
      - 2
      - 0
    .max_flat_workgroup_size: 128
    .name:           _ZN7rocprim17ROCPRIM_400000_NS6detail17trampoline_kernelINS0_14default_configENS1_25partition_config_selectorILNS1_17partition_subalgoE1EjNS0_10empty_typeEbEEZZNS1_14partition_implILS5_1ELb0ES3_jN6thrust23THRUST_200600_302600_NS6detail15normal_iteratorINSA_10device_ptrIjEEEEPS6_NSA_18transform_iteratorI7is_evenIjESF_NSA_11use_defaultESK_EENS0_5tupleIJSF_NSA_16discard_iteratorISK_EEEEENSM_IJSG_SG_EEES6_PlJS6_EEE10hipError_tPvRmT3_T4_T5_T6_T7_T9_mT8_P12ihipStream_tbDpT10_ENKUlT_T0_E_clISt17integral_constantIbLb0EES1A_IbLb1EEEEDaS16_S17_EUlS16_E_NS1_11comp_targetILNS1_3genE9ELNS1_11target_archE1100ELNS1_3gpuE3ELNS1_3repE0EEENS1_30default_config_static_selectorELNS0_4arch9wavefront6targetE1EEEvT1_
    .private_segment_fixed_size: 0
    .sgpr_count:     6
    .sgpr_spill_count: 0
    .symbol:         _ZN7rocprim17ROCPRIM_400000_NS6detail17trampoline_kernelINS0_14default_configENS1_25partition_config_selectorILNS1_17partition_subalgoE1EjNS0_10empty_typeEbEEZZNS1_14partition_implILS5_1ELb0ES3_jN6thrust23THRUST_200600_302600_NS6detail15normal_iteratorINSA_10device_ptrIjEEEEPS6_NSA_18transform_iteratorI7is_evenIjESF_NSA_11use_defaultESK_EENS0_5tupleIJSF_NSA_16discard_iteratorISK_EEEEENSM_IJSG_SG_EEES6_PlJS6_EEE10hipError_tPvRmT3_T4_T5_T6_T7_T9_mT8_P12ihipStream_tbDpT10_ENKUlT_T0_E_clISt17integral_constantIbLb0EES1A_IbLb1EEEEDaS16_S17_EUlS16_E_NS1_11comp_targetILNS1_3genE9ELNS1_11target_archE1100ELNS1_3gpuE3ELNS1_3repE0EEENS1_30default_config_static_selectorELNS0_4arch9wavefront6targetE1EEEvT1_.kd
    .uniform_work_group_size: 1
    .uses_dynamic_stack: false
    .vgpr_count:     0
    .vgpr_spill_count: 0
    .wavefront_size: 64
  - .agpr_count:     0
    .args:
      - .offset:         0
        .size:           152
        .value_kind:     by_value
    .group_segment_fixed_size: 0
    .kernarg_segment_align: 8
    .kernarg_segment_size: 152
    .language:       OpenCL C
    .language_version:
      - 2
      - 0
    .max_flat_workgroup_size: 512
    .name:           _ZN7rocprim17ROCPRIM_400000_NS6detail17trampoline_kernelINS0_14default_configENS1_25partition_config_selectorILNS1_17partition_subalgoE1EjNS0_10empty_typeEbEEZZNS1_14partition_implILS5_1ELb0ES3_jN6thrust23THRUST_200600_302600_NS6detail15normal_iteratorINSA_10device_ptrIjEEEEPS6_NSA_18transform_iteratorI7is_evenIjESF_NSA_11use_defaultESK_EENS0_5tupleIJSF_NSA_16discard_iteratorISK_EEEEENSM_IJSG_SG_EEES6_PlJS6_EEE10hipError_tPvRmT3_T4_T5_T6_T7_T9_mT8_P12ihipStream_tbDpT10_ENKUlT_T0_E_clISt17integral_constantIbLb0EES1A_IbLb1EEEEDaS16_S17_EUlS16_E_NS1_11comp_targetILNS1_3genE8ELNS1_11target_archE1030ELNS1_3gpuE2ELNS1_3repE0EEENS1_30default_config_static_selectorELNS0_4arch9wavefront6targetE1EEEvT1_
    .private_segment_fixed_size: 0
    .sgpr_count:     6
    .sgpr_spill_count: 0
    .symbol:         _ZN7rocprim17ROCPRIM_400000_NS6detail17trampoline_kernelINS0_14default_configENS1_25partition_config_selectorILNS1_17partition_subalgoE1EjNS0_10empty_typeEbEEZZNS1_14partition_implILS5_1ELb0ES3_jN6thrust23THRUST_200600_302600_NS6detail15normal_iteratorINSA_10device_ptrIjEEEEPS6_NSA_18transform_iteratorI7is_evenIjESF_NSA_11use_defaultESK_EENS0_5tupleIJSF_NSA_16discard_iteratorISK_EEEEENSM_IJSG_SG_EEES6_PlJS6_EEE10hipError_tPvRmT3_T4_T5_T6_T7_T9_mT8_P12ihipStream_tbDpT10_ENKUlT_T0_E_clISt17integral_constantIbLb0EES1A_IbLb1EEEEDaS16_S17_EUlS16_E_NS1_11comp_targetILNS1_3genE8ELNS1_11target_archE1030ELNS1_3gpuE2ELNS1_3repE0EEENS1_30default_config_static_selectorELNS0_4arch9wavefront6targetE1EEEvT1_.kd
    .uniform_work_group_size: 1
    .uses_dynamic_stack: false
    .vgpr_count:     0
    .vgpr_spill_count: 0
    .wavefront_size: 64
  - .agpr_count:     0
    .args:
      - .offset:         0
        .size:           136
        .value_kind:     by_value
    .group_segment_fixed_size: 0
    .kernarg_segment_align: 8
    .kernarg_segment_size: 136
    .language:       OpenCL C
    .language_version:
      - 2
      - 0
    .max_flat_workgroup_size: 256
    .name:           _ZN7rocprim17ROCPRIM_400000_NS6detail17trampoline_kernelINS0_14default_configENS1_25partition_config_selectorILNS1_17partition_subalgoE1EjNS0_10empty_typeEbEEZZNS1_14partition_implILS5_1ELb0ES3_jN6thrust23THRUST_200600_302600_NS6detail15normal_iteratorINSA_10device_ptrIjEEEEPS6_NSA_18transform_iteratorI7is_evenIjESF_NSA_11use_defaultESK_EENS0_5tupleIJNSA_16discard_iteratorISK_EESF_EEENSM_IJSG_SG_EEES6_PlJS6_EEE10hipError_tPvRmT3_T4_T5_T6_T7_T9_mT8_P12ihipStream_tbDpT10_ENKUlT_T0_E_clISt17integral_constantIbLb0EES1B_EEDaS16_S17_EUlS16_E_NS1_11comp_targetILNS1_3genE0ELNS1_11target_archE4294967295ELNS1_3gpuE0ELNS1_3repE0EEENS1_30default_config_static_selectorELNS0_4arch9wavefront6targetE1EEEvT1_
    .private_segment_fixed_size: 0
    .sgpr_count:     6
    .sgpr_spill_count: 0
    .symbol:         _ZN7rocprim17ROCPRIM_400000_NS6detail17trampoline_kernelINS0_14default_configENS1_25partition_config_selectorILNS1_17partition_subalgoE1EjNS0_10empty_typeEbEEZZNS1_14partition_implILS5_1ELb0ES3_jN6thrust23THRUST_200600_302600_NS6detail15normal_iteratorINSA_10device_ptrIjEEEEPS6_NSA_18transform_iteratorI7is_evenIjESF_NSA_11use_defaultESK_EENS0_5tupleIJNSA_16discard_iteratorISK_EESF_EEENSM_IJSG_SG_EEES6_PlJS6_EEE10hipError_tPvRmT3_T4_T5_T6_T7_T9_mT8_P12ihipStream_tbDpT10_ENKUlT_T0_E_clISt17integral_constantIbLb0EES1B_EEDaS16_S17_EUlS16_E_NS1_11comp_targetILNS1_3genE0ELNS1_11target_archE4294967295ELNS1_3gpuE0ELNS1_3repE0EEENS1_30default_config_static_selectorELNS0_4arch9wavefront6targetE1EEEvT1_.kd
    .uniform_work_group_size: 1
    .uses_dynamic_stack: false
    .vgpr_count:     0
    .vgpr_spill_count: 0
    .wavefront_size: 64
  - .agpr_count:     0
    .args:
      - .offset:         0
        .size:           136
        .value_kind:     by_value
    .group_segment_fixed_size: 30728
    .kernarg_segment_align: 8
    .kernarg_segment_size: 136
    .language:       OpenCL C
    .language_version:
      - 2
      - 0
    .max_flat_workgroup_size: 512
    .name:           _ZN7rocprim17ROCPRIM_400000_NS6detail17trampoline_kernelINS0_14default_configENS1_25partition_config_selectorILNS1_17partition_subalgoE1EjNS0_10empty_typeEbEEZZNS1_14partition_implILS5_1ELb0ES3_jN6thrust23THRUST_200600_302600_NS6detail15normal_iteratorINSA_10device_ptrIjEEEEPS6_NSA_18transform_iteratorI7is_evenIjESF_NSA_11use_defaultESK_EENS0_5tupleIJNSA_16discard_iteratorISK_EESF_EEENSM_IJSG_SG_EEES6_PlJS6_EEE10hipError_tPvRmT3_T4_T5_T6_T7_T9_mT8_P12ihipStream_tbDpT10_ENKUlT_T0_E_clISt17integral_constantIbLb0EES1B_EEDaS16_S17_EUlS16_E_NS1_11comp_targetILNS1_3genE5ELNS1_11target_archE942ELNS1_3gpuE9ELNS1_3repE0EEENS1_30default_config_static_selectorELNS0_4arch9wavefront6targetE1EEEvT1_
    .private_segment_fixed_size: 0
    .sgpr_count:     50
    .sgpr_spill_count: 0
    .symbol:         _ZN7rocprim17ROCPRIM_400000_NS6detail17trampoline_kernelINS0_14default_configENS1_25partition_config_selectorILNS1_17partition_subalgoE1EjNS0_10empty_typeEbEEZZNS1_14partition_implILS5_1ELb0ES3_jN6thrust23THRUST_200600_302600_NS6detail15normal_iteratorINSA_10device_ptrIjEEEEPS6_NSA_18transform_iteratorI7is_evenIjESF_NSA_11use_defaultESK_EENS0_5tupleIJNSA_16discard_iteratorISK_EESF_EEENSM_IJSG_SG_EEES6_PlJS6_EEE10hipError_tPvRmT3_T4_T5_T6_T7_T9_mT8_P12ihipStream_tbDpT10_ENKUlT_T0_E_clISt17integral_constantIbLb0EES1B_EEDaS16_S17_EUlS16_E_NS1_11comp_targetILNS1_3genE5ELNS1_11target_archE942ELNS1_3gpuE9ELNS1_3repE0EEENS1_30default_config_static_selectorELNS0_4arch9wavefront6targetE1EEEvT1_.kd
    .uniform_work_group_size: 1
    .uses_dynamic_stack: false
    .vgpr_count:     65
    .vgpr_spill_count: 0
    .wavefront_size: 64
  - .agpr_count:     0
    .args:
      - .offset:         0
        .size:           136
        .value_kind:     by_value
    .group_segment_fixed_size: 0
    .kernarg_segment_align: 8
    .kernarg_segment_size: 136
    .language:       OpenCL C
    .language_version:
      - 2
      - 0
    .max_flat_workgroup_size: 256
    .name:           _ZN7rocprim17ROCPRIM_400000_NS6detail17trampoline_kernelINS0_14default_configENS1_25partition_config_selectorILNS1_17partition_subalgoE1EjNS0_10empty_typeEbEEZZNS1_14partition_implILS5_1ELb0ES3_jN6thrust23THRUST_200600_302600_NS6detail15normal_iteratorINSA_10device_ptrIjEEEEPS6_NSA_18transform_iteratorI7is_evenIjESF_NSA_11use_defaultESK_EENS0_5tupleIJNSA_16discard_iteratorISK_EESF_EEENSM_IJSG_SG_EEES6_PlJS6_EEE10hipError_tPvRmT3_T4_T5_T6_T7_T9_mT8_P12ihipStream_tbDpT10_ENKUlT_T0_E_clISt17integral_constantIbLb0EES1B_EEDaS16_S17_EUlS16_E_NS1_11comp_targetILNS1_3genE4ELNS1_11target_archE910ELNS1_3gpuE8ELNS1_3repE0EEENS1_30default_config_static_selectorELNS0_4arch9wavefront6targetE1EEEvT1_
    .private_segment_fixed_size: 0
    .sgpr_count:     6
    .sgpr_spill_count: 0
    .symbol:         _ZN7rocprim17ROCPRIM_400000_NS6detail17trampoline_kernelINS0_14default_configENS1_25partition_config_selectorILNS1_17partition_subalgoE1EjNS0_10empty_typeEbEEZZNS1_14partition_implILS5_1ELb0ES3_jN6thrust23THRUST_200600_302600_NS6detail15normal_iteratorINSA_10device_ptrIjEEEEPS6_NSA_18transform_iteratorI7is_evenIjESF_NSA_11use_defaultESK_EENS0_5tupleIJNSA_16discard_iteratorISK_EESF_EEENSM_IJSG_SG_EEES6_PlJS6_EEE10hipError_tPvRmT3_T4_T5_T6_T7_T9_mT8_P12ihipStream_tbDpT10_ENKUlT_T0_E_clISt17integral_constantIbLb0EES1B_EEDaS16_S17_EUlS16_E_NS1_11comp_targetILNS1_3genE4ELNS1_11target_archE910ELNS1_3gpuE8ELNS1_3repE0EEENS1_30default_config_static_selectorELNS0_4arch9wavefront6targetE1EEEvT1_.kd
    .uniform_work_group_size: 1
    .uses_dynamic_stack: false
    .vgpr_count:     0
    .vgpr_spill_count: 0
    .wavefront_size: 64
  - .agpr_count:     0
    .args:
      - .offset:         0
        .size:           136
        .value_kind:     by_value
    .group_segment_fixed_size: 0
    .kernarg_segment_align: 8
    .kernarg_segment_size: 136
    .language:       OpenCL C
    .language_version:
      - 2
      - 0
    .max_flat_workgroup_size: 256
    .name:           _ZN7rocprim17ROCPRIM_400000_NS6detail17trampoline_kernelINS0_14default_configENS1_25partition_config_selectorILNS1_17partition_subalgoE1EjNS0_10empty_typeEbEEZZNS1_14partition_implILS5_1ELb0ES3_jN6thrust23THRUST_200600_302600_NS6detail15normal_iteratorINSA_10device_ptrIjEEEEPS6_NSA_18transform_iteratorI7is_evenIjESF_NSA_11use_defaultESK_EENS0_5tupleIJNSA_16discard_iteratorISK_EESF_EEENSM_IJSG_SG_EEES6_PlJS6_EEE10hipError_tPvRmT3_T4_T5_T6_T7_T9_mT8_P12ihipStream_tbDpT10_ENKUlT_T0_E_clISt17integral_constantIbLb0EES1B_EEDaS16_S17_EUlS16_E_NS1_11comp_targetILNS1_3genE3ELNS1_11target_archE908ELNS1_3gpuE7ELNS1_3repE0EEENS1_30default_config_static_selectorELNS0_4arch9wavefront6targetE1EEEvT1_
    .private_segment_fixed_size: 0
    .sgpr_count:     6
    .sgpr_spill_count: 0
    .symbol:         _ZN7rocprim17ROCPRIM_400000_NS6detail17trampoline_kernelINS0_14default_configENS1_25partition_config_selectorILNS1_17partition_subalgoE1EjNS0_10empty_typeEbEEZZNS1_14partition_implILS5_1ELb0ES3_jN6thrust23THRUST_200600_302600_NS6detail15normal_iteratorINSA_10device_ptrIjEEEEPS6_NSA_18transform_iteratorI7is_evenIjESF_NSA_11use_defaultESK_EENS0_5tupleIJNSA_16discard_iteratorISK_EESF_EEENSM_IJSG_SG_EEES6_PlJS6_EEE10hipError_tPvRmT3_T4_T5_T6_T7_T9_mT8_P12ihipStream_tbDpT10_ENKUlT_T0_E_clISt17integral_constantIbLb0EES1B_EEDaS16_S17_EUlS16_E_NS1_11comp_targetILNS1_3genE3ELNS1_11target_archE908ELNS1_3gpuE7ELNS1_3repE0EEENS1_30default_config_static_selectorELNS0_4arch9wavefront6targetE1EEEvT1_.kd
    .uniform_work_group_size: 1
    .uses_dynamic_stack: false
    .vgpr_count:     0
    .vgpr_spill_count: 0
    .wavefront_size: 64
  - .agpr_count:     0
    .args:
      - .offset:         0
        .size:           136
        .value_kind:     by_value
    .group_segment_fixed_size: 0
    .kernarg_segment_align: 8
    .kernarg_segment_size: 136
    .language:       OpenCL C
    .language_version:
      - 2
      - 0
    .max_flat_workgroup_size: 256
    .name:           _ZN7rocprim17ROCPRIM_400000_NS6detail17trampoline_kernelINS0_14default_configENS1_25partition_config_selectorILNS1_17partition_subalgoE1EjNS0_10empty_typeEbEEZZNS1_14partition_implILS5_1ELb0ES3_jN6thrust23THRUST_200600_302600_NS6detail15normal_iteratorINSA_10device_ptrIjEEEEPS6_NSA_18transform_iteratorI7is_evenIjESF_NSA_11use_defaultESK_EENS0_5tupleIJNSA_16discard_iteratorISK_EESF_EEENSM_IJSG_SG_EEES6_PlJS6_EEE10hipError_tPvRmT3_T4_T5_T6_T7_T9_mT8_P12ihipStream_tbDpT10_ENKUlT_T0_E_clISt17integral_constantIbLb0EES1B_EEDaS16_S17_EUlS16_E_NS1_11comp_targetILNS1_3genE2ELNS1_11target_archE906ELNS1_3gpuE6ELNS1_3repE0EEENS1_30default_config_static_selectorELNS0_4arch9wavefront6targetE1EEEvT1_
    .private_segment_fixed_size: 0
    .sgpr_count:     6
    .sgpr_spill_count: 0
    .symbol:         _ZN7rocprim17ROCPRIM_400000_NS6detail17trampoline_kernelINS0_14default_configENS1_25partition_config_selectorILNS1_17partition_subalgoE1EjNS0_10empty_typeEbEEZZNS1_14partition_implILS5_1ELb0ES3_jN6thrust23THRUST_200600_302600_NS6detail15normal_iteratorINSA_10device_ptrIjEEEEPS6_NSA_18transform_iteratorI7is_evenIjESF_NSA_11use_defaultESK_EENS0_5tupleIJNSA_16discard_iteratorISK_EESF_EEENSM_IJSG_SG_EEES6_PlJS6_EEE10hipError_tPvRmT3_T4_T5_T6_T7_T9_mT8_P12ihipStream_tbDpT10_ENKUlT_T0_E_clISt17integral_constantIbLb0EES1B_EEDaS16_S17_EUlS16_E_NS1_11comp_targetILNS1_3genE2ELNS1_11target_archE906ELNS1_3gpuE6ELNS1_3repE0EEENS1_30default_config_static_selectorELNS0_4arch9wavefront6targetE1EEEvT1_.kd
    .uniform_work_group_size: 1
    .uses_dynamic_stack: false
    .vgpr_count:     0
    .vgpr_spill_count: 0
    .wavefront_size: 64
  - .agpr_count:     0
    .args:
      - .offset:         0
        .size:           136
        .value_kind:     by_value
    .group_segment_fixed_size: 0
    .kernarg_segment_align: 8
    .kernarg_segment_size: 136
    .language:       OpenCL C
    .language_version:
      - 2
      - 0
    .max_flat_workgroup_size: 256
    .name:           _ZN7rocprim17ROCPRIM_400000_NS6detail17trampoline_kernelINS0_14default_configENS1_25partition_config_selectorILNS1_17partition_subalgoE1EjNS0_10empty_typeEbEEZZNS1_14partition_implILS5_1ELb0ES3_jN6thrust23THRUST_200600_302600_NS6detail15normal_iteratorINSA_10device_ptrIjEEEEPS6_NSA_18transform_iteratorI7is_evenIjESF_NSA_11use_defaultESK_EENS0_5tupleIJNSA_16discard_iteratorISK_EESF_EEENSM_IJSG_SG_EEES6_PlJS6_EEE10hipError_tPvRmT3_T4_T5_T6_T7_T9_mT8_P12ihipStream_tbDpT10_ENKUlT_T0_E_clISt17integral_constantIbLb0EES1B_EEDaS16_S17_EUlS16_E_NS1_11comp_targetILNS1_3genE10ELNS1_11target_archE1200ELNS1_3gpuE4ELNS1_3repE0EEENS1_30default_config_static_selectorELNS0_4arch9wavefront6targetE1EEEvT1_
    .private_segment_fixed_size: 0
    .sgpr_count:     6
    .sgpr_spill_count: 0
    .symbol:         _ZN7rocprim17ROCPRIM_400000_NS6detail17trampoline_kernelINS0_14default_configENS1_25partition_config_selectorILNS1_17partition_subalgoE1EjNS0_10empty_typeEbEEZZNS1_14partition_implILS5_1ELb0ES3_jN6thrust23THRUST_200600_302600_NS6detail15normal_iteratorINSA_10device_ptrIjEEEEPS6_NSA_18transform_iteratorI7is_evenIjESF_NSA_11use_defaultESK_EENS0_5tupleIJNSA_16discard_iteratorISK_EESF_EEENSM_IJSG_SG_EEES6_PlJS6_EEE10hipError_tPvRmT3_T4_T5_T6_T7_T9_mT8_P12ihipStream_tbDpT10_ENKUlT_T0_E_clISt17integral_constantIbLb0EES1B_EEDaS16_S17_EUlS16_E_NS1_11comp_targetILNS1_3genE10ELNS1_11target_archE1200ELNS1_3gpuE4ELNS1_3repE0EEENS1_30default_config_static_selectorELNS0_4arch9wavefront6targetE1EEEvT1_.kd
    .uniform_work_group_size: 1
    .uses_dynamic_stack: false
    .vgpr_count:     0
    .vgpr_spill_count: 0
    .wavefront_size: 64
  - .agpr_count:     0
    .args:
      - .offset:         0
        .size:           136
        .value_kind:     by_value
    .group_segment_fixed_size: 0
    .kernarg_segment_align: 8
    .kernarg_segment_size: 136
    .language:       OpenCL C
    .language_version:
      - 2
      - 0
    .max_flat_workgroup_size: 128
    .name:           _ZN7rocprim17ROCPRIM_400000_NS6detail17trampoline_kernelINS0_14default_configENS1_25partition_config_selectorILNS1_17partition_subalgoE1EjNS0_10empty_typeEbEEZZNS1_14partition_implILS5_1ELb0ES3_jN6thrust23THRUST_200600_302600_NS6detail15normal_iteratorINSA_10device_ptrIjEEEEPS6_NSA_18transform_iteratorI7is_evenIjESF_NSA_11use_defaultESK_EENS0_5tupleIJNSA_16discard_iteratorISK_EESF_EEENSM_IJSG_SG_EEES6_PlJS6_EEE10hipError_tPvRmT3_T4_T5_T6_T7_T9_mT8_P12ihipStream_tbDpT10_ENKUlT_T0_E_clISt17integral_constantIbLb0EES1B_EEDaS16_S17_EUlS16_E_NS1_11comp_targetILNS1_3genE9ELNS1_11target_archE1100ELNS1_3gpuE3ELNS1_3repE0EEENS1_30default_config_static_selectorELNS0_4arch9wavefront6targetE1EEEvT1_
    .private_segment_fixed_size: 0
    .sgpr_count:     6
    .sgpr_spill_count: 0
    .symbol:         _ZN7rocprim17ROCPRIM_400000_NS6detail17trampoline_kernelINS0_14default_configENS1_25partition_config_selectorILNS1_17partition_subalgoE1EjNS0_10empty_typeEbEEZZNS1_14partition_implILS5_1ELb0ES3_jN6thrust23THRUST_200600_302600_NS6detail15normal_iteratorINSA_10device_ptrIjEEEEPS6_NSA_18transform_iteratorI7is_evenIjESF_NSA_11use_defaultESK_EENS0_5tupleIJNSA_16discard_iteratorISK_EESF_EEENSM_IJSG_SG_EEES6_PlJS6_EEE10hipError_tPvRmT3_T4_T5_T6_T7_T9_mT8_P12ihipStream_tbDpT10_ENKUlT_T0_E_clISt17integral_constantIbLb0EES1B_EEDaS16_S17_EUlS16_E_NS1_11comp_targetILNS1_3genE9ELNS1_11target_archE1100ELNS1_3gpuE3ELNS1_3repE0EEENS1_30default_config_static_selectorELNS0_4arch9wavefront6targetE1EEEvT1_.kd
    .uniform_work_group_size: 1
    .uses_dynamic_stack: false
    .vgpr_count:     0
    .vgpr_spill_count: 0
    .wavefront_size: 64
  - .agpr_count:     0
    .args:
      - .offset:         0
        .size:           136
        .value_kind:     by_value
    .group_segment_fixed_size: 0
    .kernarg_segment_align: 8
    .kernarg_segment_size: 136
    .language:       OpenCL C
    .language_version:
      - 2
      - 0
    .max_flat_workgroup_size: 512
    .name:           _ZN7rocprim17ROCPRIM_400000_NS6detail17trampoline_kernelINS0_14default_configENS1_25partition_config_selectorILNS1_17partition_subalgoE1EjNS0_10empty_typeEbEEZZNS1_14partition_implILS5_1ELb0ES3_jN6thrust23THRUST_200600_302600_NS6detail15normal_iteratorINSA_10device_ptrIjEEEEPS6_NSA_18transform_iteratorI7is_evenIjESF_NSA_11use_defaultESK_EENS0_5tupleIJNSA_16discard_iteratorISK_EESF_EEENSM_IJSG_SG_EEES6_PlJS6_EEE10hipError_tPvRmT3_T4_T5_T6_T7_T9_mT8_P12ihipStream_tbDpT10_ENKUlT_T0_E_clISt17integral_constantIbLb0EES1B_EEDaS16_S17_EUlS16_E_NS1_11comp_targetILNS1_3genE8ELNS1_11target_archE1030ELNS1_3gpuE2ELNS1_3repE0EEENS1_30default_config_static_selectorELNS0_4arch9wavefront6targetE1EEEvT1_
    .private_segment_fixed_size: 0
    .sgpr_count:     6
    .sgpr_spill_count: 0
    .symbol:         _ZN7rocprim17ROCPRIM_400000_NS6detail17trampoline_kernelINS0_14default_configENS1_25partition_config_selectorILNS1_17partition_subalgoE1EjNS0_10empty_typeEbEEZZNS1_14partition_implILS5_1ELb0ES3_jN6thrust23THRUST_200600_302600_NS6detail15normal_iteratorINSA_10device_ptrIjEEEEPS6_NSA_18transform_iteratorI7is_evenIjESF_NSA_11use_defaultESK_EENS0_5tupleIJNSA_16discard_iteratorISK_EESF_EEENSM_IJSG_SG_EEES6_PlJS6_EEE10hipError_tPvRmT3_T4_T5_T6_T7_T9_mT8_P12ihipStream_tbDpT10_ENKUlT_T0_E_clISt17integral_constantIbLb0EES1B_EEDaS16_S17_EUlS16_E_NS1_11comp_targetILNS1_3genE8ELNS1_11target_archE1030ELNS1_3gpuE2ELNS1_3repE0EEENS1_30default_config_static_selectorELNS0_4arch9wavefront6targetE1EEEvT1_.kd
    .uniform_work_group_size: 1
    .uses_dynamic_stack: false
    .vgpr_count:     0
    .vgpr_spill_count: 0
    .wavefront_size: 64
  - .agpr_count:     0
    .args:
      - .offset:         0
        .size:           152
        .value_kind:     by_value
    .group_segment_fixed_size: 0
    .kernarg_segment_align: 8
    .kernarg_segment_size: 152
    .language:       OpenCL C
    .language_version:
      - 2
      - 0
    .max_flat_workgroup_size: 256
    .name:           _ZN7rocprim17ROCPRIM_400000_NS6detail17trampoline_kernelINS0_14default_configENS1_25partition_config_selectorILNS1_17partition_subalgoE1EjNS0_10empty_typeEbEEZZNS1_14partition_implILS5_1ELb0ES3_jN6thrust23THRUST_200600_302600_NS6detail15normal_iteratorINSA_10device_ptrIjEEEEPS6_NSA_18transform_iteratorI7is_evenIjESF_NSA_11use_defaultESK_EENS0_5tupleIJNSA_16discard_iteratorISK_EESF_EEENSM_IJSG_SG_EEES6_PlJS6_EEE10hipError_tPvRmT3_T4_T5_T6_T7_T9_mT8_P12ihipStream_tbDpT10_ENKUlT_T0_E_clISt17integral_constantIbLb1EES1B_EEDaS16_S17_EUlS16_E_NS1_11comp_targetILNS1_3genE0ELNS1_11target_archE4294967295ELNS1_3gpuE0ELNS1_3repE0EEENS1_30default_config_static_selectorELNS0_4arch9wavefront6targetE1EEEvT1_
    .private_segment_fixed_size: 0
    .sgpr_count:     6
    .sgpr_spill_count: 0
    .symbol:         _ZN7rocprim17ROCPRIM_400000_NS6detail17trampoline_kernelINS0_14default_configENS1_25partition_config_selectorILNS1_17partition_subalgoE1EjNS0_10empty_typeEbEEZZNS1_14partition_implILS5_1ELb0ES3_jN6thrust23THRUST_200600_302600_NS6detail15normal_iteratorINSA_10device_ptrIjEEEEPS6_NSA_18transform_iteratorI7is_evenIjESF_NSA_11use_defaultESK_EENS0_5tupleIJNSA_16discard_iteratorISK_EESF_EEENSM_IJSG_SG_EEES6_PlJS6_EEE10hipError_tPvRmT3_T4_T5_T6_T7_T9_mT8_P12ihipStream_tbDpT10_ENKUlT_T0_E_clISt17integral_constantIbLb1EES1B_EEDaS16_S17_EUlS16_E_NS1_11comp_targetILNS1_3genE0ELNS1_11target_archE4294967295ELNS1_3gpuE0ELNS1_3repE0EEENS1_30default_config_static_selectorELNS0_4arch9wavefront6targetE1EEEvT1_.kd
    .uniform_work_group_size: 1
    .uses_dynamic_stack: false
    .vgpr_count:     0
    .vgpr_spill_count: 0
    .wavefront_size: 64
  - .agpr_count:     0
    .args:
      - .offset:         0
        .size:           152
        .value_kind:     by_value
    .group_segment_fixed_size: 30728
    .kernarg_segment_align: 8
    .kernarg_segment_size: 152
    .language:       OpenCL C
    .language_version:
      - 2
      - 0
    .max_flat_workgroup_size: 512
    .name:           _ZN7rocprim17ROCPRIM_400000_NS6detail17trampoline_kernelINS0_14default_configENS1_25partition_config_selectorILNS1_17partition_subalgoE1EjNS0_10empty_typeEbEEZZNS1_14partition_implILS5_1ELb0ES3_jN6thrust23THRUST_200600_302600_NS6detail15normal_iteratorINSA_10device_ptrIjEEEEPS6_NSA_18transform_iteratorI7is_evenIjESF_NSA_11use_defaultESK_EENS0_5tupleIJNSA_16discard_iteratorISK_EESF_EEENSM_IJSG_SG_EEES6_PlJS6_EEE10hipError_tPvRmT3_T4_T5_T6_T7_T9_mT8_P12ihipStream_tbDpT10_ENKUlT_T0_E_clISt17integral_constantIbLb1EES1B_EEDaS16_S17_EUlS16_E_NS1_11comp_targetILNS1_3genE5ELNS1_11target_archE942ELNS1_3gpuE9ELNS1_3repE0EEENS1_30default_config_static_selectorELNS0_4arch9wavefront6targetE1EEEvT1_
    .private_segment_fixed_size: 0
    .sgpr_count:     48
    .sgpr_spill_count: 0
    .symbol:         _ZN7rocprim17ROCPRIM_400000_NS6detail17trampoline_kernelINS0_14default_configENS1_25partition_config_selectorILNS1_17partition_subalgoE1EjNS0_10empty_typeEbEEZZNS1_14partition_implILS5_1ELb0ES3_jN6thrust23THRUST_200600_302600_NS6detail15normal_iteratorINSA_10device_ptrIjEEEEPS6_NSA_18transform_iteratorI7is_evenIjESF_NSA_11use_defaultESK_EENS0_5tupleIJNSA_16discard_iteratorISK_EESF_EEENSM_IJSG_SG_EEES6_PlJS6_EEE10hipError_tPvRmT3_T4_T5_T6_T7_T9_mT8_P12ihipStream_tbDpT10_ENKUlT_T0_E_clISt17integral_constantIbLb1EES1B_EEDaS16_S17_EUlS16_E_NS1_11comp_targetILNS1_3genE5ELNS1_11target_archE942ELNS1_3gpuE9ELNS1_3repE0EEENS1_30default_config_static_selectorELNS0_4arch9wavefront6targetE1EEEvT1_.kd
    .uniform_work_group_size: 1
    .uses_dynamic_stack: false
    .vgpr_count:     69
    .vgpr_spill_count: 0
    .wavefront_size: 64
  - .agpr_count:     0
    .args:
      - .offset:         0
        .size:           152
        .value_kind:     by_value
    .group_segment_fixed_size: 0
    .kernarg_segment_align: 8
    .kernarg_segment_size: 152
    .language:       OpenCL C
    .language_version:
      - 2
      - 0
    .max_flat_workgroup_size: 256
    .name:           _ZN7rocprim17ROCPRIM_400000_NS6detail17trampoline_kernelINS0_14default_configENS1_25partition_config_selectorILNS1_17partition_subalgoE1EjNS0_10empty_typeEbEEZZNS1_14partition_implILS5_1ELb0ES3_jN6thrust23THRUST_200600_302600_NS6detail15normal_iteratorINSA_10device_ptrIjEEEEPS6_NSA_18transform_iteratorI7is_evenIjESF_NSA_11use_defaultESK_EENS0_5tupleIJNSA_16discard_iteratorISK_EESF_EEENSM_IJSG_SG_EEES6_PlJS6_EEE10hipError_tPvRmT3_T4_T5_T6_T7_T9_mT8_P12ihipStream_tbDpT10_ENKUlT_T0_E_clISt17integral_constantIbLb1EES1B_EEDaS16_S17_EUlS16_E_NS1_11comp_targetILNS1_3genE4ELNS1_11target_archE910ELNS1_3gpuE8ELNS1_3repE0EEENS1_30default_config_static_selectorELNS0_4arch9wavefront6targetE1EEEvT1_
    .private_segment_fixed_size: 0
    .sgpr_count:     6
    .sgpr_spill_count: 0
    .symbol:         _ZN7rocprim17ROCPRIM_400000_NS6detail17trampoline_kernelINS0_14default_configENS1_25partition_config_selectorILNS1_17partition_subalgoE1EjNS0_10empty_typeEbEEZZNS1_14partition_implILS5_1ELb0ES3_jN6thrust23THRUST_200600_302600_NS6detail15normal_iteratorINSA_10device_ptrIjEEEEPS6_NSA_18transform_iteratorI7is_evenIjESF_NSA_11use_defaultESK_EENS0_5tupleIJNSA_16discard_iteratorISK_EESF_EEENSM_IJSG_SG_EEES6_PlJS6_EEE10hipError_tPvRmT3_T4_T5_T6_T7_T9_mT8_P12ihipStream_tbDpT10_ENKUlT_T0_E_clISt17integral_constantIbLb1EES1B_EEDaS16_S17_EUlS16_E_NS1_11comp_targetILNS1_3genE4ELNS1_11target_archE910ELNS1_3gpuE8ELNS1_3repE0EEENS1_30default_config_static_selectorELNS0_4arch9wavefront6targetE1EEEvT1_.kd
    .uniform_work_group_size: 1
    .uses_dynamic_stack: false
    .vgpr_count:     0
    .vgpr_spill_count: 0
    .wavefront_size: 64
  - .agpr_count:     0
    .args:
      - .offset:         0
        .size:           152
        .value_kind:     by_value
    .group_segment_fixed_size: 0
    .kernarg_segment_align: 8
    .kernarg_segment_size: 152
    .language:       OpenCL C
    .language_version:
      - 2
      - 0
    .max_flat_workgroup_size: 256
    .name:           _ZN7rocprim17ROCPRIM_400000_NS6detail17trampoline_kernelINS0_14default_configENS1_25partition_config_selectorILNS1_17partition_subalgoE1EjNS0_10empty_typeEbEEZZNS1_14partition_implILS5_1ELb0ES3_jN6thrust23THRUST_200600_302600_NS6detail15normal_iteratorINSA_10device_ptrIjEEEEPS6_NSA_18transform_iteratorI7is_evenIjESF_NSA_11use_defaultESK_EENS0_5tupleIJNSA_16discard_iteratorISK_EESF_EEENSM_IJSG_SG_EEES6_PlJS6_EEE10hipError_tPvRmT3_T4_T5_T6_T7_T9_mT8_P12ihipStream_tbDpT10_ENKUlT_T0_E_clISt17integral_constantIbLb1EES1B_EEDaS16_S17_EUlS16_E_NS1_11comp_targetILNS1_3genE3ELNS1_11target_archE908ELNS1_3gpuE7ELNS1_3repE0EEENS1_30default_config_static_selectorELNS0_4arch9wavefront6targetE1EEEvT1_
    .private_segment_fixed_size: 0
    .sgpr_count:     6
    .sgpr_spill_count: 0
    .symbol:         _ZN7rocprim17ROCPRIM_400000_NS6detail17trampoline_kernelINS0_14default_configENS1_25partition_config_selectorILNS1_17partition_subalgoE1EjNS0_10empty_typeEbEEZZNS1_14partition_implILS5_1ELb0ES3_jN6thrust23THRUST_200600_302600_NS6detail15normal_iteratorINSA_10device_ptrIjEEEEPS6_NSA_18transform_iteratorI7is_evenIjESF_NSA_11use_defaultESK_EENS0_5tupleIJNSA_16discard_iteratorISK_EESF_EEENSM_IJSG_SG_EEES6_PlJS6_EEE10hipError_tPvRmT3_T4_T5_T6_T7_T9_mT8_P12ihipStream_tbDpT10_ENKUlT_T0_E_clISt17integral_constantIbLb1EES1B_EEDaS16_S17_EUlS16_E_NS1_11comp_targetILNS1_3genE3ELNS1_11target_archE908ELNS1_3gpuE7ELNS1_3repE0EEENS1_30default_config_static_selectorELNS0_4arch9wavefront6targetE1EEEvT1_.kd
    .uniform_work_group_size: 1
    .uses_dynamic_stack: false
    .vgpr_count:     0
    .vgpr_spill_count: 0
    .wavefront_size: 64
  - .agpr_count:     0
    .args:
      - .offset:         0
        .size:           152
        .value_kind:     by_value
    .group_segment_fixed_size: 0
    .kernarg_segment_align: 8
    .kernarg_segment_size: 152
    .language:       OpenCL C
    .language_version:
      - 2
      - 0
    .max_flat_workgroup_size: 256
    .name:           _ZN7rocprim17ROCPRIM_400000_NS6detail17trampoline_kernelINS0_14default_configENS1_25partition_config_selectorILNS1_17partition_subalgoE1EjNS0_10empty_typeEbEEZZNS1_14partition_implILS5_1ELb0ES3_jN6thrust23THRUST_200600_302600_NS6detail15normal_iteratorINSA_10device_ptrIjEEEEPS6_NSA_18transform_iteratorI7is_evenIjESF_NSA_11use_defaultESK_EENS0_5tupleIJNSA_16discard_iteratorISK_EESF_EEENSM_IJSG_SG_EEES6_PlJS6_EEE10hipError_tPvRmT3_T4_T5_T6_T7_T9_mT8_P12ihipStream_tbDpT10_ENKUlT_T0_E_clISt17integral_constantIbLb1EES1B_EEDaS16_S17_EUlS16_E_NS1_11comp_targetILNS1_3genE2ELNS1_11target_archE906ELNS1_3gpuE6ELNS1_3repE0EEENS1_30default_config_static_selectorELNS0_4arch9wavefront6targetE1EEEvT1_
    .private_segment_fixed_size: 0
    .sgpr_count:     6
    .sgpr_spill_count: 0
    .symbol:         _ZN7rocprim17ROCPRIM_400000_NS6detail17trampoline_kernelINS0_14default_configENS1_25partition_config_selectorILNS1_17partition_subalgoE1EjNS0_10empty_typeEbEEZZNS1_14partition_implILS5_1ELb0ES3_jN6thrust23THRUST_200600_302600_NS6detail15normal_iteratorINSA_10device_ptrIjEEEEPS6_NSA_18transform_iteratorI7is_evenIjESF_NSA_11use_defaultESK_EENS0_5tupleIJNSA_16discard_iteratorISK_EESF_EEENSM_IJSG_SG_EEES6_PlJS6_EEE10hipError_tPvRmT3_T4_T5_T6_T7_T9_mT8_P12ihipStream_tbDpT10_ENKUlT_T0_E_clISt17integral_constantIbLb1EES1B_EEDaS16_S17_EUlS16_E_NS1_11comp_targetILNS1_3genE2ELNS1_11target_archE906ELNS1_3gpuE6ELNS1_3repE0EEENS1_30default_config_static_selectorELNS0_4arch9wavefront6targetE1EEEvT1_.kd
    .uniform_work_group_size: 1
    .uses_dynamic_stack: false
    .vgpr_count:     0
    .vgpr_spill_count: 0
    .wavefront_size: 64
  - .agpr_count:     0
    .args:
      - .offset:         0
        .size:           152
        .value_kind:     by_value
    .group_segment_fixed_size: 0
    .kernarg_segment_align: 8
    .kernarg_segment_size: 152
    .language:       OpenCL C
    .language_version:
      - 2
      - 0
    .max_flat_workgroup_size: 256
    .name:           _ZN7rocprim17ROCPRIM_400000_NS6detail17trampoline_kernelINS0_14default_configENS1_25partition_config_selectorILNS1_17partition_subalgoE1EjNS0_10empty_typeEbEEZZNS1_14partition_implILS5_1ELb0ES3_jN6thrust23THRUST_200600_302600_NS6detail15normal_iteratorINSA_10device_ptrIjEEEEPS6_NSA_18transform_iteratorI7is_evenIjESF_NSA_11use_defaultESK_EENS0_5tupleIJNSA_16discard_iteratorISK_EESF_EEENSM_IJSG_SG_EEES6_PlJS6_EEE10hipError_tPvRmT3_T4_T5_T6_T7_T9_mT8_P12ihipStream_tbDpT10_ENKUlT_T0_E_clISt17integral_constantIbLb1EES1B_EEDaS16_S17_EUlS16_E_NS1_11comp_targetILNS1_3genE10ELNS1_11target_archE1200ELNS1_3gpuE4ELNS1_3repE0EEENS1_30default_config_static_selectorELNS0_4arch9wavefront6targetE1EEEvT1_
    .private_segment_fixed_size: 0
    .sgpr_count:     6
    .sgpr_spill_count: 0
    .symbol:         _ZN7rocprim17ROCPRIM_400000_NS6detail17trampoline_kernelINS0_14default_configENS1_25partition_config_selectorILNS1_17partition_subalgoE1EjNS0_10empty_typeEbEEZZNS1_14partition_implILS5_1ELb0ES3_jN6thrust23THRUST_200600_302600_NS6detail15normal_iteratorINSA_10device_ptrIjEEEEPS6_NSA_18transform_iteratorI7is_evenIjESF_NSA_11use_defaultESK_EENS0_5tupleIJNSA_16discard_iteratorISK_EESF_EEENSM_IJSG_SG_EEES6_PlJS6_EEE10hipError_tPvRmT3_T4_T5_T6_T7_T9_mT8_P12ihipStream_tbDpT10_ENKUlT_T0_E_clISt17integral_constantIbLb1EES1B_EEDaS16_S17_EUlS16_E_NS1_11comp_targetILNS1_3genE10ELNS1_11target_archE1200ELNS1_3gpuE4ELNS1_3repE0EEENS1_30default_config_static_selectorELNS0_4arch9wavefront6targetE1EEEvT1_.kd
    .uniform_work_group_size: 1
    .uses_dynamic_stack: false
    .vgpr_count:     0
    .vgpr_spill_count: 0
    .wavefront_size: 64
  - .agpr_count:     0
    .args:
      - .offset:         0
        .size:           152
        .value_kind:     by_value
    .group_segment_fixed_size: 0
    .kernarg_segment_align: 8
    .kernarg_segment_size: 152
    .language:       OpenCL C
    .language_version:
      - 2
      - 0
    .max_flat_workgroup_size: 128
    .name:           _ZN7rocprim17ROCPRIM_400000_NS6detail17trampoline_kernelINS0_14default_configENS1_25partition_config_selectorILNS1_17partition_subalgoE1EjNS0_10empty_typeEbEEZZNS1_14partition_implILS5_1ELb0ES3_jN6thrust23THRUST_200600_302600_NS6detail15normal_iteratorINSA_10device_ptrIjEEEEPS6_NSA_18transform_iteratorI7is_evenIjESF_NSA_11use_defaultESK_EENS0_5tupleIJNSA_16discard_iteratorISK_EESF_EEENSM_IJSG_SG_EEES6_PlJS6_EEE10hipError_tPvRmT3_T4_T5_T6_T7_T9_mT8_P12ihipStream_tbDpT10_ENKUlT_T0_E_clISt17integral_constantIbLb1EES1B_EEDaS16_S17_EUlS16_E_NS1_11comp_targetILNS1_3genE9ELNS1_11target_archE1100ELNS1_3gpuE3ELNS1_3repE0EEENS1_30default_config_static_selectorELNS0_4arch9wavefront6targetE1EEEvT1_
    .private_segment_fixed_size: 0
    .sgpr_count:     6
    .sgpr_spill_count: 0
    .symbol:         _ZN7rocprim17ROCPRIM_400000_NS6detail17trampoline_kernelINS0_14default_configENS1_25partition_config_selectorILNS1_17partition_subalgoE1EjNS0_10empty_typeEbEEZZNS1_14partition_implILS5_1ELb0ES3_jN6thrust23THRUST_200600_302600_NS6detail15normal_iteratorINSA_10device_ptrIjEEEEPS6_NSA_18transform_iteratorI7is_evenIjESF_NSA_11use_defaultESK_EENS0_5tupleIJNSA_16discard_iteratorISK_EESF_EEENSM_IJSG_SG_EEES6_PlJS6_EEE10hipError_tPvRmT3_T4_T5_T6_T7_T9_mT8_P12ihipStream_tbDpT10_ENKUlT_T0_E_clISt17integral_constantIbLb1EES1B_EEDaS16_S17_EUlS16_E_NS1_11comp_targetILNS1_3genE9ELNS1_11target_archE1100ELNS1_3gpuE3ELNS1_3repE0EEENS1_30default_config_static_selectorELNS0_4arch9wavefront6targetE1EEEvT1_.kd
    .uniform_work_group_size: 1
    .uses_dynamic_stack: false
    .vgpr_count:     0
    .vgpr_spill_count: 0
    .wavefront_size: 64
  - .agpr_count:     0
    .args:
      - .offset:         0
        .size:           152
        .value_kind:     by_value
    .group_segment_fixed_size: 0
    .kernarg_segment_align: 8
    .kernarg_segment_size: 152
    .language:       OpenCL C
    .language_version:
      - 2
      - 0
    .max_flat_workgroup_size: 512
    .name:           _ZN7rocprim17ROCPRIM_400000_NS6detail17trampoline_kernelINS0_14default_configENS1_25partition_config_selectorILNS1_17partition_subalgoE1EjNS0_10empty_typeEbEEZZNS1_14partition_implILS5_1ELb0ES3_jN6thrust23THRUST_200600_302600_NS6detail15normal_iteratorINSA_10device_ptrIjEEEEPS6_NSA_18transform_iteratorI7is_evenIjESF_NSA_11use_defaultESK_EENS0_5tupleIJNSA_16discard_iteratorISK_EESF_EEENSM_IJSG_SG_EEES6_PlJS6_EEE10hipError_tPvRmT3_T4_T5_T6_T7_T9_mT8_P12ihipStream_tbDpT10_ENKUlT_T0_E_clISt17integral_constantIbLb1EES1B_EEDaS16_S17_EUlS16_E_NS1_11comp_targetILNS1_3genE8ELNS1_11target_archE1030ELNS1_3gpuE2ELNS1_3repE0EEENS1_30default_config_static_selectorELNS0_4arch9wavefront6targetE1EEEvT1_
    .private_segment_fixed_size: 0
    .sgpr_count:     6
    .sgpr_spill_count: 0
    .symbol:         _ZN7rocprim17ROCPRIM_400000_NS6detail17trampoline_kernelINS0_14default_configENS1_25partition_config_selectorILNS1_17partition_subalgoE1EjNS0_10empty_typeEbEEZZNS1_14partition_implILS5_1ELb0ES3_jN6thrust23THRUST_200600_302600_NS6detail15normal_iteratorINSA_10device_ptrIjEEEEPS6_NSA_18transform_iteratorI7is_evenIjESF_NSA_11use_defaultESK_EENS0_5tupleIJNSA_16discard_iteratorISK_EESF_EEENSM_IJSG_SG_EEES6_PlJS6_EEE10hipError_tPvRmT3_T4_T5_T6_T7_T9_mT8_P12ihipStream_tbDpT10_ENKUlT_T0_E_clISt17integral_constantIbLb1EES1B_EEDaS16_S17_EUlS16_E_NS1_11comp_targetILNS1_3genE8ELNS1_11target_archE1030ELNS1_3gpuE2ELNS1_3repE0EEENS1_30default_config_static_selectorELNS0_4arch9wavefront6targetE1EEEvT1_.kd
    .uniform_work_group_size: 1
    .uses_dynamic_stack: false
    .vgpr_count:     0
    .vgpr_spill_count: 0
    .wavefront_size: 64
  - .agpr_count:     0
    .args:
      - .offset:         0
        .size:           136
        .value_kind:     by_value
    .group_segment_fixed_size: 0
    .kernarg_segment_align: 8
    .kernarg_segment_size: 136
    .language:       OpenCL C
    .language_version:
      - 2
      - 0
    .max_flat_workgroup_size: 256
    .name:           _ZN7rocprim17ROCPRIM_400000_NS6detail17trampoline_kernelINS0_14default_configENS1_25partition_config_selectorILNS1_17partition_subalgoE1EjNS0_10empty_typeEbEEZZNS1_14partition_implILS5_1ELb0ES3_jN6thrust23THRUST_200600_302600_NS6detail15normal_iteratorINSA_10device_ptrIjEEEEPS6_NSA_18transform_iteratorI7is_evenIjESF_NSA_11use_defaultESK_EENS0_5tupleIJNSA_16discard_iteratorISK_EESF_EEENSM_IJSG_SG_EEES6_PlJS6_EEE10hipError_tPvRmT3_T4_T5_T6_T7_T9_mT8_P12ihipStream_tbDpT10_ENKUlT_T0_E_clISt17integral_constantIbLb1EES1A_IbLb0EEEEDaS16_S17_EUlS16_E_NS1_11comp_targetILNS1_3genE0ELNS1_11target_archE4294967295ELNS1_3gpuE0ELNS1_3repE0EEENS1_30default_config_static_selectorELNS0_4arch9wavefront6targetE1EEEvT1_
    .private_segment_fixed_size: 0
    .sgpr_count:     6
    .sgpr_spill_count: 0
    .symbol:         _ZN7rocprim17ROCPRIM_400000_NS6detail17trampoline_kernelINS0_14default_configENS1_25partition_config_selectorILNS1_17partition_subalgoE1EjNS0_10empty_typeEbEEZZNS1_14partition_implILS5_1ELb0ES3_jN6thrust23THRUST_200600_302600_NS6detail15normal_iteratorINSA_10device_ptrIjEEEEPS6_NSA_18transform_iteratorI7is_evenIjESF_NSA_11use_defaultESK_EENS0_5tupleIJNSA_16discard_iteratorISK_EESF_EEENSM_IJSG_SG_EEES6_PlJS6_EEE10hipError_tPvRmT3_T4_T5_T6_T7_T9_mT8_P12ihipStream_tbDpT10_ENKUlT_T0_E_clISt17integral_constantIbLb1EES1A_IbLb0EEEEDaS16_S17_EUlS16_E_NS1_11comp_targetILNS1_3genE0ELNS1_11target_archE4294967295ELNS1_3gpuE0ELNS1_3repE0EEENS1_30default_config_static_selectorELNS0_4arch9wavefront6targetE1EEEvT1_.kd
    .uniform_work_group_size: 1
    .uses_dynamic_stack: false
    .vgpr_count:     0
    .vgpr_spill_count: 0
    .wavefront_size: 64
  - .agpr_count:     0
    .args:
      - .offset:         0
        .size:           136
        .value_kind:     by_value
    .group_segment_fixed_size: 30728
    .kernarg_segment_align: 8
    .kernarg_segment_size: 136
    .language:       OpenCL C
    .language_version:
      - 2
      - 0
    .max_flat_workgroup_size: 512
    .name:           _ZN7rocprim17ROCPRIM_400000_NS6detail17trampoline_kernelINS0_14default_configENS1_25partition_config_selectorILNS1_17partition_subalgoE1EjNS0_10empty_typeEbEEZZNS1_14partition_implILS5_1ELb0ES3_jN6thrust23THRUST_200600_302600_NS6detail15normal_iteratorINSA_10device_ptrIjEEEEPS6_NSA_18transform_iteratorI7is_evenIjESF_NSA_11use_defaultESK_EENS0_5tupleIJNSA_16discard_iteratorISK_EESF_EEENSM_IJSG_SG_EEES6_PlJS6_EEE10hipError_tPvRmT3_T4_T5_T6_T7_T9_mT8_P12ihipStream_tbDpT10_ENKUlT_T0_E_clISt17integral_constantIbLb1EES1A_IbLb0EEEEDaS16_S17_EUlS16_E_NS1_11comp_targetILNS1_3genE5ELNS1_11target_archE942ELNS1_3gpuE9ELNS1_3repE0EEENS1_30default_config_static_selectorELNS0_4arch9wavefront6targetE1EEEvT1_
    .private_segment_fixed_size: 0
    .sgpr_count:     50
    .sgpr_spill_count: 0
    .symbol:         _ZN7rocprim17ROCPRIM_400000_NS6detail17trampoline_kernelINS0_14default_configENS1_25partition_config_selectorILNS1_17partition_subalgoE1EjNS0_10empty_typeEbEEZZNS1_14partition_implILS5_1ELb0ES3_jN6thrust23THRUST_200600_302600_NS6detail15normal_iteratorINSA_10device_ptrIjEEEEPS6_NSA_18transform_iteratorI7is_evenIjESF_NSA_11use_defaultESK_EENS0_5tupleIJNSA_16discard_iteratorISK_EESF_EEENSM_IJSG_SG_EEES6_PlJS6_EEE10hipError_tPvRmT3_T4_T5_T6_T7_T9_mT8_P12ihipStream_tbDpT10_ENKUlT_T0_E_clISt17integral_constantIbLb1EES1A_IbLb0EEEEDaS16_S17_EUlS16_E_NS1_11comp_targetILNS1_3genE5ELNS1_11target_archE942ELNS1_3gpuE9ELNS1_3repE0EEENS1_30default_config_static_selectorELNS0_4arch9wavefront6targetE1EEEvT1_.kd
    .uniform_work_group_size: 1
    .uses_dynamic_stack: false
    .vgpr_count:     65
    .vgpr_spill_count: 0
    .wavefront_size: 64
  - .agpr_count:     0
    .args:
      - .offset:         0
        .size:           136
        .value_kind:     by_value
    .group_segment_fixed_size: 0
    .kernarg_segment_align: 8
    .kernarg_segment_size: 136
    .language:       OpenCL C
    .language_version:
      - 2
      - 0
    .max_flat_workgroup_size: 256
    .name:           _ZN7rocprim17ROCPRIM_400000_NS6detail17trampoline_kernelINS0_14default_configENS1_25partition_config_selectorILNS1_17partition_subalgoE1EjNS0_10empty_typeEbEEZZNS1_14partition_implILS5_1ELb0ES3_jN6thrust23THRUST_200600_302600_NS6detail15normal_iteratorINSA_10device_ptrIjEEEEPS6_NSA_18transform_iteratorI7is_evenIjESF_NSA_11use_defaultESK_EENS0_5tupleIJNSA_16discard_iteratorISK_EESF_EEENSM_IJSG_SG_EEES6_PlJS6_EEE10hipError_tPvRmT3_T4_T5_T6_T7_T9_mT8_P12ihipStream_tbDpT10_ENKUlT_T0_E_clISt17integral_constantIbLb1EES1A_IbLb0EEEEDaS16_S17_EUlS16_E_NS1_11comp_targetILNS1_3genE4ELNS1_11target_archE910ELNS1_3gpuE8ELNS1_3repE0EEENS1_30default_config_static_selectorELNS0_4arch9wavefront6targetE1EEEvT1_
    .private_segment_fixed_size: 0
    .sgpr_count:     6
    .sgpr_spill_count: 0
    .symbol:         _ZN7rocprim17ROCPRIM_400000_NS6detail17trampoline_kernelINS0_14default_configENS1_25partition_config_selectorILNS1_17partition_subalgoE1EjNS0_10empty_typeEbEEZZNS1_14partition_implILS5_1ELb0ES3_jN6thrust23THRUST_200600_302600_NS6detail15normal_iteratorINSA_10device_ptrIjEEEEPS6_NSA_18transform_iteratorI7is_evenIjESF_NSA_11use_defaultESK_EENS0_5tupleIJNSA_16discard_iteratorISK_EESF_EEENSM_IJSG_SG_EEES6_PlJS6_EEE10hipError_tPvRmT3_T4_T5_T6_T7_T9_mT8_P12ihipStream_tbDpT10_ENKUlT_T0_E_clISt17integral_constantIbLb1EES1A_IbLb0EEEEDaS16_S17_EUlS16_E_NS1_11comp_targetILNS1_3genE4ELNS1_11target_archE910ELNS1_3gpuE8ELNS1_3repE0EEENS1_30default_config_static_selectorELNS0_4arch9wavefront6targetE1EEEvT1_.kd
    .uniform_work_group_size: 1
    .uses_dynamic_stack: false
    .vgpr_count:     0
    .vgpr_spill_count: 0
    .wavefront_size: 64
  - .agpr_count:     0
    .args:
      - .offset:         0
        .size:           136
        .value_kind:     by_value
    .group_segment_fixed_size: 0
    .kernarg_segment_align: 8
    .kernarg_segment_size: 136
    .language:       OpenCL C
    .language_version:
      - 2
      - 0
    .max_flat_workgroup_size: 256
    .name:           _ZN7rocprim17ROCPRIM_400000_NS6detail17trampoline_kernelINS0_14default_configENS1_25partition_config_selectorILNS1_17partition_subalgoE1EjNS0_10empty_typeEbEEZZNS1_14partition_implILS5_1ELb0ES3_jN6thrust23THRUST_200600_302600_NS6detail15normal_iteratorINSA_10device_ptrIjEEEEPS6_NSA_18transform_iteratorI7is_evenIjESF_NSA_11use_defaultESK_EENS0_5tupleIJNSA_16discard_iteratorISK_EESF_EEENSM_IJSG_SG_EEES6_PlJS6_EEE10hipError_tPvRmT3_T4_T5_T6_T7_T9_mT8_P12ihipStream_tbDpT10_ENKUlT_T0_E_clISt17integral_constantIbLb1EES1A_IbLb0EEEEDaS16_S17_EUlS16_E_NS1_11comp_targetILNS1_3genE3ELNS1_11target_archE908ELNS1_3gpuE7ELNS1_3repE0EEENS1_30default_config_static_selectorELNS0_4arch9wavefront6targetE1EEEvT1_
    .private_segment_fixed_size: 0
    .sgpr_count:     6
    .sgpr_spill_count: 0
    .symbol:         _ZN7rocprim17ROCPRIM_400000_NS6detail17trampoline_kernelINS0_14default_configENS1_25partition_config_selectorILNS1_17partition_subalgoE1EjNS0_10empty_typeEbEEZZNS1_14partition_implILS5_1ELb0ES3_jN6thrust23THRUST_200600_302600_NS6detail15normal_iteratorINSA_10device_ptrIjEEEEPS6_NSA_18transform_iteratorI7is_evenIjESF_NSA_11use_defaultESK_EENS0_5tupleIJNSA_16discard_iteratorISK_EESF_EEENSM_IJSG_SG_EEES6_PlJS6_EEE10hipError_tPvRmT3_T4_T5_T6_T7_T9_mT8_P12ihipStream_tbDpT10_ENKUlT_T0_E_clISt17integral_constantIbLb1EES1A_IbLb0EEEEDaS16_S17_EUlS16_E_NS1_11comp_targetILNS1_3genE3ELNS1_11target_archE908ELNS1_3gpuE7ELNS1_3repE0EEENS1_30default_config_static_selectorELNS0_4arch9wavefront6targetE1EEEvT1_.kd
    .uniform_work_group_size: 1
    .uses_dynamic_stack: false
    .vgpr_count:     0
    .vgpr_spill_count: 0
    .wavefront_size: 64
  - .agpr_count:     0
    .args:
      - .offset:         0
        .size:           136
        .value_kind:     by_value
    .group_segment_fixed_size: 0
    .kernarg_segment_align: 8
    .kernarg_segment_size: 136
    .language:       OpenCL C
    .language_version:
      - 2
      - 0
    .max_flat_workgroup_size: 256
    .name:           _ZN7rocprim17ROCPRIM_400000_NS6detail17trampoline_kernelINS0_14default_configENS1_25partition_config_selectorILNS1_17partition_subalgoE1EjNS0_10empty_typeEbEEZZNS1_14partition_implILS5_1ELb0ES3_jN6thrust23THRUST_200600_302600_NS6detail15normal_iteratorINSA_10device_ptrIjEEEEPS6_NSA_18transform_iteratorI7is_evenIjESF_NSA_11use_defaultESK_EENS0_5tupleIJNSA_16discard_iteratorISK_EESF_EEENSM_IJSG_SG_EEES6_PlJS6_EEE10hipError_tPvRmT3_T4_T5_T6_T7_T9_mT8_P12ihipStream_tbDpT10_ENKUlT_T0_E_clISt17integral_constantIbLb1EES1A_IbLb0EEEEDaS16_S17_EUlS16_E_NS1_11comp_targetILNS1_3genE2ELNS1_11target_archE906ELNS1_3gpuE6ELNS1_3repE0EEENS1_30default_config_static_selectorELNS0_4arch9wavefront6targetE1EEEvT1_
    .private_segment_fixed_size: 0
    .sgpr_count:     6
    .sgpr_spill_count: 0
    .symbol:         _ZN7rocprim17ROCPRIM_400000_NS6detail17trampoline_kernelINS0_14default_configENS1_25partition_config_selectorILNS1_17partition_subalgoE1EjNS0_10empty_typeEbEEZZNS1_14partition_implILS5_1ELb0ES3_jN6thrust23THRUST_200600_302600_NS6detail15normal_iteratorINSA_10device_ptrIjEEEEPS6_NSA_18transform_iteratorI7is_evenIjESF_NSA_11use_defaultESK_EENS0_5tupleIJNSA_16discard_iteratorISK_EESF_EEENSM_IJSG_SG_EEES6_PlJS6_EEE10hipError_tPvRmT3_T4_T5_T6_T7_T9_mT8_P12ihipStream_tbDpT10_ENKUlT_T0_E_clISt17integral_constantIbLb1EES1A_IbLb0EEEEDaS16_S17_EUlS16_E_NS1_11comp_targetILNS1_3genE2ELNS1_11target_archE906ELNS1_3gpuE6ELNS1_3repE0EEENS1_30default_config_static_selectorELNS0_4arch9wavefront6targetE1EEEvT1_.kd
    .uniform_work_group_size: 1
    .uses_dynamic_stack: false
    .vgpr_count:     0
    .vgpr_spill_count: 0
    .wavefront_size: 64
  - .agpr_count:     0
    .args:
      - .offset:         0
        .size:           136
        .value_kind:     by_value
    .group_segment_fixed_size: 0
    .kernarg_segment_align: 8
    .kernarg_segment_size: 136
    .language:       OpenCL C
    .language_version:
      - 2
      - 0
    .max_flat_workgroup_size: 256
    .name:           _ZN7rocprim17ROCPRIM_400000_NS6detail17trampoline_kernelINS0_14default_configENS1_25partition_config_selectorILNS1_17partition_subalgoE1EjNS0_10empty_typeEbEEZZNS1_14partition_implILS5_1ELb0ES3_jN6thrust23THRUST_200600_302600_NS6detail15normal_iteratorINSA_10device_ptrIjEEEEPS6_NSA_18transform_iteratorI7is_evenIjESF_NSA_11use_defaultESK_EENS0_5tupleIJNSA_16discard_iteratorISK_EESF_EEENSM_IJSG_SG_EEES6_PlJS6_EEE10hipError_tPvRmT3_T4_T5_T6_T7_T9_mT8_P12ihipStream_tbDpT10_ENKUlT_T0_E_clISt17integral_constantIbLb1EES1A_IbLb0EEEEDaS16_S17_EUlS16_E_NS1_11comp_targetILNS1_3genE10ELNS1_11target_archE1200ELNS1_3gpuE4ELNS1_3repE0EEENS1_30default_config_static_selectorELNS0_4arch9wavefront6targetE1EEEvT1_
    .private_segment_fixed_size: 0
    .sgpr_count:     6
    .sgpr_spill_count: 0
    .symbol:         _ZN7rocprim17ROCPRIM_400000_NS6detail17trampoline_kernelINS0_14default_configENS1_25partition_config_selectorILNS1_17partition_subalgoE1EjNS0_10empty_typeEbEEZZNS1_14partition_implILS5_1ELb0ES3_jN6thrust23THRUST_200600_302600_NS6detail15normal_iteratorINSA_10device_ptrIjEEEEPS6_NSA_18transform_iteratorI7is_evenIjESF_NSA_11use_defaultESK_EENS0_5tupleIJNSA_16discard_iteratorISK_EESF_EEENSM_IJSG_SG_EEES6_PlJS6_EEE10hipError_tPvRmT3_T4_T5_T6_T7_T9_mT8_P12ihipStream_tbDpT10_ENKUlT_T0_E_clISt17integral_constantIbLb1EES1A_IbLb0EEEEDaS16_S17_EUlS16_E_NS1_11comp_targetILNS1_3genE10ELNS1_11target_archE1200ELNS1_3gpuE4ELNS1_3repE0EEENS1_30default_config_static_selectorELNS0_4arch9wavefront6targetE1EEEvT1_.kd
    .uniform_work_group_size: 1
    .uses_dynamic_stack: false
    .vgpr_count:     0
    .vgpr_spill_count: 0
    .wavefront_size: 64
  - .agpr_count:     0
    .args:
      - .offset:         0
        .size:           136
        .value_kind:     by_value
    .group_segment_fixed_size: 0
    .kernarg_segment_align: 8
    .kernarg_segment_size: 136
    .language:       OpenCL C
    .language_version:
      - 2
      - 0
    .max_flat_workgroup_size: 128
    .name:           _ZN7rocprim17ROCPRIM_400000_NS6detail17trampoline_kernelINS0_14default_configENS1_25partition_config_selectorILNS1_17partition_subalgoE1EjNS0_10empty_typeEbEEZZNS1_14partition_implILS5_1ELb0ES3_jN6thrust23THRUST_200600_302600_NS6detail15normal_iteratorINSA_10device_ptrIjEEEEPS6_NSA_18transform_iteratorI7is_evenIjESF_NSA_11use_defaultESK_EENS0_5tupleIJNSA_16discard_iteratorISK_EESF_EEENSM_IJSG_SG_EEES6_PlJS6_EEE10hipError_tPvRmT3_T4_T5_T6_T7_T9_mT8_P12ihipStream_tbDpT10_ENKUlT_T0_E_clISt17integral_constantIbLb1EES1A_IbLb0EEEEDaS16_S17_EUlS16_E_NS1_11comp_targetILNS1_3genE9ELNS1_11target_archE1100ELNS1_3gpuE3ELNS1_3repE0EEENS1_30default_config_static_selectorELNS0_4arch9wavefront6targetE1EEEvT1_
    .private_segment_fixed_size: 0
    .sgpr_count:     6
    .sgpr_spill_count: 0
    .symbol:         _ZN7rocprim17ROCPRIM_400000_NS6detail17trampoline_kernelINS0_14default_configENS1_25partition_config_selectorILNS1_17partition_subalgoE1EjNS0_10empty_typeEbEEZZNS1_14partition_implILS5_1ELb0ES3_jN6thrust23THRUST_200600_302600_NS6detail15normal_iteratorINSA_10device_ptrIjEEEEPS6_NSA_18transform_iteratorI7is_evenIjESF_NSA_11use_defaultESK_EENS0_5tupleIJNSA_16discard_iteratorISK_EESF_EEENSM_IJSG_SG_EEES6_PlJS6_EEE10hipError_tPvRmT3_T4_T5_T6_T7_T9_mT8_P12ihipStream_tbDpT10_ENKUlT_T0_E_clISt17integral_constantIbLb1EES1A_IbLb0EEEEDaS16_S17_EUlS16_E_NS1_11comp_targetILNS1_3genE9ELNS1_11target_archE1100ELNS1_3gpuE3ELNS1_3repE0EEENS1_30default_config_static_selectorELNS0_4arch9wavefront6targetE1EEEvT1_.kd
    .uniform_work_group_size: 1
    .uses_dynamic_stack: false
    .vgpr_count:     0
    .vgpr_spill_count: 0
    .wavefront_size: 64
  - .agpr_count:     0
    .args:
      - .offset:         0
        .size:           136
        .value_kind:     by_value
    .group_segment_fixed_size: 0
    .kernarg_segment_align: 8
    .kernarg_segment_size: 136
    .language:       OpenCL C
    .language_version:
      - 2
      - 0
    .max_flat_workgroup_size: 512
    .name:           _ZN7rocprim17ROCPRIM_400000_NS6detail17trampoline_kernelINS0_14default_configENS1_25partition_config_selectorILNS1_17partition_subalgoE1EjNS0_10empty_typeEbEEZZNS1_14partition_implILS5_1ELb0ES3_jN6thrust23THRUST_200600_302600_NS6detail15normal_iteratorINSA_10device_ptrIjEEEEPS6_NSA_18transform_iteratorI7is_evenIjESF_NSA_11use_defaultESK_EENS0_5tupleIJNSA_16discard_iteratorISK_EESF_EEENSM_IJSG_SG_EEES6_PlJS6_EEE10hipError_tPvRmT3_T4_T5_T6_T7_T9_mT8_P12ihipStream_tbDpT10_ENKUlT_T0_E_clISt17integral_constantIbLb1EES1A_IbLb0EEEEDaS16_S17_EUlS16_E_NS1_11comp_targetILNS1_3genE8ELNS1_11target_archE1030ELNS1_3gpuE2ELNS1_3repE0EEENS1_30default_config_static_selectorELNS0_4arch9wavefront6targetE1EEEvT1_
    .private_segment_fixed_size: 0
    .sgpr_count:     6
    .sgpr_spill_count: 0
    .symbol:         _ZN7rocprim17ROCPRIM_400000_NS6detail17trampoline_kernelINS0_14default_configENS1_25partition_config_selectorILNS1_17partition_subalgoE1EjNS0_10empty_typeEbEEZZNS1_14partition_implILS5_1ELb0ES3_jN6thrust23THRUST_200600_302600_NS6detail15normal_iteratorINSA_10device_ptrIjEEEEPS6_NSA_18transform_iteratorI7is_evenIjESF_NSA_11use_defaultESK_EENS0_5tupleIJNSA_16discard_iteratorISK_EESF_EEENSM_IJSG_SG_EEES6_PlJS6_EEE10hipError_tPvRmT3_T4_T5_T6_T7_T9_mT8_P12ihipStream_tbDpT10_ENKUlT_T0_E_clISt17integral_constantIbLb1EES1A_IbLb0EEEEDaS16_S17_EUlS16_E_NS1_11comp_targetILNS1_3genE8ELNS1_11target_archE1030ELNS1_3gpuE2ELNS1_3repE0EEENS1_30default_config_static_selectorELNS0_4arch9wavefront6targetE1EEEvT1_.kd
    .uniform_work_group_size: 1
    .uses_dynamic_stack: false
    .vgpr_count:     0
    .vgpr_spill_count: 0
    .wavefront_size: 64
  - .agpr_count:     0
    .args:
      - .offset:         0
        .size:           152
        .value_kind:     by_value
    .group_segment_fixed_size: 0
    .kernarg_segment_align: 8
    .kernarg_segment_size: 152
    .language:       OpenCL C
    .language_version:
      - 2
      - 0
    .max_flat_workgroup_size: 256
    .name:           _ZN7rocprim17ROCPRIM_400000_NS6detail17trampoline_kernelINS0_14default_configENS1_25partition_config_selectorILNS1_17partition_subalgoE1EjNS0_10empty_typeEbEEZZNS1_14partition_implILS5_1ELb0ES3_jN6thrust23THRUST_200600_302600_NS6detail15normal_iteratorINSA_10device_ptrIjEEEEPS6_NSA_18transform_iteratorI7is_evenIjESF_NSA_11use_defaultESK_EENS0_5tupleIJNSA_16discard_iteratorISK_EESF_EEENSM_IJSG_SG_EEES6_PlJS6_EEE10hipError_tPvRmT3_T4_T5_T6_T7_T9_mT8_P12ihipStream_tbDpT10_ENKUlT_T0_E_clISt17integral_constantIbLb0EES1A_IbLb1EEEEDaS16_S17_EUlS16_E_NS1_11comp_targetILNS1_3genE0ELNS1_11target_archE4294967295ELNS1_3gpuE0ELNS1_3repE0EEENS1_30default_config_static_selectorELNS0_4arch9wavefront6targetE1EEEvT1_
    .private_segment_fixed_size: 0
    .sgpr_count:     6
    .sgpr_spill_count: 0
    .symbol:         _ZN7rocprim17ROCPRIM_400000_NS6detail17trampoline_kernelINS0_14default_configENS1_25partition_config_selectorILNS1_17partition_subalgoE1EjNS0_10empty_typeEbEEZZNS1_14partition_implILS5_1ELb0ES3_jN6thrust23THRUST_200600_302600_NS6detail15normal_iteratorINSA_10device_ptrIjEEEEPS6_NSA_18transform_iteratorI7is_evenIjESF_NSA_11use_defaultESK_EENS0_5tupleIJNSA_16discard_iteratorISK_EESF_EEENSM_IJSG_SG_EEES6_PlJS6_EEE10hipError_tPvRmT3_T4_T5_T6_T7_T9_mT8_P12ihipStream_tbDpT10_ENKUlT_T0_E_clISt17integral_constantIbLb0EES1A_IbLb1EEEEDaS16_S17_EUlS16_E_NS1_11comp_targetILNS1_3genE0ELNS1_11target_archE4294967295ELNS1_3gpuE0ELNS1_3repE0EEENS1_30default_config_static_selectorELNS0_4arch9wavefront6targetE1EEEvT1_.kd
    .uniform_work_group_size: 1
    .uses_dynamic_stack: false
    .vgpr_count:     0
    .vgpr_spill_count: 0
    .wavefront_size: 64
  - .agpr_count:     0
    .args:
      - .offset:         0
        .size:           152
        .value_kind:     by_value
    .group_segment_fixed_size: 30728
    .kernarg_segment_align: 8
    .kernarg_segment_size: 152
    .language:       OpenCL C
    .language_version:
      - 2
      - 0
    .max_flat_workgroup_size: 512
    .name:           _ZN7rocprim17ROCPRIM_400000_NS6detail17trampoline_kernelINS0_14default_configENS1_25partition_config_selectorILNS1_17partition_subalgoE1EjNS0_10empty_typeEbEEZZNS1_14partition_implILS5_1ELb0ES3_jN6thrust23THRUST_200600_302600_NS6detail15normal_iteratorINSA_10device_ptrIjEEEEPS6_NSA_18transform_iteratorI7is_evenIjESF_NSA_11use_defaultESK_EENS0_5tupleIJNSA_16discard_iteratorISK_EESF_EEENSM_IJSG_SG_EEES6_PlJS6_EEE10hipError_tPvRmT3_T4_T5_T6_T7_T9_mT8_P12ihipStream_tbDpT10_ENKUlT_T0_E_clISt17integral_constantIbLb0EES1A_IbLb1EEEEDaS16_S17_EUlS16_E_NS1_11comp_targetILNS1_3genE5ELNS1_11target_archE942ELNS1_3gpuE9ELNS1_3repE0EEENS1_30default_config_static_selectorELNS0_4arch9wavefront6targetE1EEEvT1_
    .private_segment_fixed_size: 0
    .sgpr_count:     48
    .sgpr_spill_count: 0
    .symbol:         _ZN7rocprim17ROCPRIM_400000_NS6detail17trampoline_kernelINS0_14default_configENS1_25partition_config_selectorILNS1_17partition_subalgoE1EjNS0_10empty_typeEbEEZZNS1_14partition_implILS5_1ELb0ES3_jN6thrust23THRUST_200600_302600_NS6detail15normal_iteratorINSA_10device_ptrIjEEEEPS6_NSA_18transform_iteratorI7is_evenIjESF_NSA_11use_defaultESK_EENS0_5tupleIJNSA_16discard_iteratorISK_EESF_EEENSM_IJSG_SG_EEES6_PlJS6_EEE10hipError_tPvRmT3_T4_T5_T6_T7_T9_mT8_P12ihipStream_tbDpT10_ENKUlT_T0_E_clISt17integral_constantIbLb0EES1A_IbLb1EEEEDaS16_S17_EUlS16_E_NS1_11comp_targetILNS1_3genE5ELNS1_11target_archE942ELNS1_3gpuE9ELNS1_3repE0EEENS1_30default_config_static_selectorELNS0_4arch9wavefront6targetE1EEEvT1_.kd
    .uniform_work_group_size: 1
    .uses_dynamic_stack: false
    .vgpr_count:     69
    .vgpr_spill_count: 0
    .wavefront_size: 64
  - .agpr_count:     0
    .args:
      - .offset:         0
        .size:           152
        .value_kind:     by_value
    .group_segment_fixed_size: 0
    .kernarg_segment_align: 8
    .kernarg_segment_size: 152
    .language:       OpenCL C
    .language_version:
      - 2
      - 0
    .max_flat_workgroup_size: 256
    .name:           _ZN7rocprim17ROCPRIM_400000_NS6detail17trampoline_kernelINS0_14default_configENS1_25partition_config_selectorILNS1_17partition_subalgoE1EjNS0_10empty_typeEbEEZZNS1_14partition_implILS5_1ELb0ES3_jN6thrust23THRUST_200600_302600_NS6detail15normal_iteratorINSA_10device_ptrIjEEEEPS6_NSA_18transform_iteratorI7is_evenIjESF_NSA_11use_defaultESK_EENS0_5tupleIJNSA_16discard_iteratorISK_EESF_EEENSM_IJSG_SG_EEES6_PlJS6_EEE10hipError_tPvRmT3_T4_T5_T6_T7_T9_mT8_P12ihipStream_tbDpT10_ENKUlT_T0_E_clISt17integral_constantIbLb0EES1A_IbLb1EEEEDaS16_S17_EUlS16_E_NS1_11comp_targetILNS1_3genE4ELNS1_11target_archE910ELNS1_3gpuE8ELNS1_3repE0EEENS1_30default_config_static_selectorELNS0_4arch9wavefront6targetE1EEEvT1_
    .private_segment_fixed_size: 0
    .sgpr_count:     6
    .sgpr_spill_count: 0
    .symbol:         _ZN7rocprim17ROCPRIM_400000_NS6detail17trampoline_kernelINS0_14default_configENS1_25partition_config_selectorILNS1_17partition_subalgoE1EjNS0_10empty_typeEbEEZZNS1_14partition_implILS5_1ELb0ES3_jN6thrust23THRUST_200600_302600_NS6detail15normal_iteratorINSA_10device_ptrIjEEEEPS6_NSA_18transform_iteratorI7is_evenIjESF_NSA_11use_defaultESK_EENS0_5tupleIJNSA_16discard_iteratorISK_EESF_EEENSM_IJSG_SG_EEES6_PlJS6_EEE10hipError_tPvRmT3_T4_T5_T6_T7_T9_mT8_P12ihipStream_tbDpT10_ENKUlT_T0_E_clISt17integral_constantIbLb0EES1A_IbLb1EEEEDaS16_S17_EUlS16_E_NS1_11comp_targetILNS1_3genE4ELNS1_11target_archE910ELNS1_3gpuE8ELNS1_3repE0EEENS1_30default_config_static_selectorELNS0_4arch9wavefront6targetE1EEEvT1_.kd
    .uniform_work_group_size: 1
    .uses_dynamic_stack: false
    .vgpr_count:     0
    .vgpr_spill_count: 0
    .wavefront_size: 64
  - .agpr_count:     0
    .args:
      - .offset:         0
        .size:           152
        .value_kind:     by_value
    .group_segment_fixed_size: 0
    .kernarg_segment_align: 8
    .kernarg_segment_size: 152
    .language:       OpenCL C
    .language_version:
      - 2
      - 0
    .max_flat_workgroup_size: 256
    .name:           _ZN7rocprim17ROCPRIM_400000_NS6detail17trampoline_kernelINS0_14default_configENS1_25partition_config_selectorILNS1_17partition_subalgoE1EjNS0_10empty_typeEbEEZZNS1_14partition_implILS5_1ELb0ES3_jN6thrust23THRUST_200600_302600_NS6detail15normal_iteratorINSA_10device_ptrIjEEEEPS6_NSA_18transform_iteratorI7is_evenIjESF_NSA_11use_defaultESK_EENS0_5tupleIJNSA_16discard_iteratorISK_EESF_EEENSM_IJSG_SG_EEES6_PlJS6_EEE10hipError_tPvRmT3_T4_T5_T6_T7_T9_mT8_P12ihipStream_tbDpT10_ENKUlT_T0_E_clISt17integral_constantIbLb0EES1A_IbLb1EEEEDaS16_S17_EUlS16_E_NS1_11comp_targetILNS1_3genE3ELNS1_11target_archE908ELNS1_3gpuE7ELNS1_3repE0EEENS1_30default_config_static_selectorELNS0_4arch9wavefront6targetE1EEEvT1_
    .private_segment_fixed_size: 0
    .sgpr_count:     6
    .sgpr_spill_count: 0
    .symbol:         _ZN7rocprim17ROCPRIM_400000_NS6detail17trampoline_kernelINS0_14default_configENS1_25partition_config_selectorILNS1_17partition_subalgoE1EjNS0_10empty_typeEbEEZZNS1_14partition_implILS5_1ELb0ES3_jN6thrust23THRUST_200600_302600_NS6detail15normal_iteratorINSA_10device_ptrIjEEEEPS6_NSA_18transform_iteratorI7is_evenIjESF_NSA_11use_defaultESK_EENS0_5tupleIJNSA_16discard_iteratorISK_EESF_EEENSM_IJSG_SG_EEES6_PlJS6_EEE10hipError_tPvRmT3_T4_T5_T6_T7_T9_mT8_P12ihipStream_tbDpT10_ENKUlT_T0_E_clISt17integral_constantIbLb0EES1A_IbLb1EEEEDaS16_S17_EUlS16_E_NS1_11comp_targetILNS1_3genE3ELNS1_11target_archE908ELNS1_3gpuE7ELNS1_3repE0EEENS1_30default_config_static_selectorELNS0_4arch9wavefront6targetE1EEEvT1_.kd
    .uniform_work_group_size: 1
    .uses_dynamic_stack: false
    .vgpr_count:     0
    .vgpr_spill_count: 0
    .wavefront_size: 64
  - .agpr_count:     0
    .args:
      - .offset:         0
        .size:           152
        .value_kind:     by_value
    .group_segment_fixed_size: 0
    .kernarg_segment_align: 8
    .kernarg_segment_size: 152
    .language:       OpenCL C
    .language_version:
      - 2
      - 0
    .max_flat_workgroup_size: 256
    .name:           _ZN7rocprim17ROCPRIM_400000_NS6detail17trampoline_kernelINS0_14default_configENS1_25partition_config_selectorILNS1_17partition_subalgoE1EjNS0_10empty_typeEbEEZZNS1_14partition_implILS5_1ELb0ES3_jN6thrust23THRUST_200600_302600_NS6detail15normal_iteratorINSA_10device_ptrIjEEEEPS6_NSA_18transform_iteratorI7is_evenIjESF_NSA_11use_defaultESK_EENS0_5tupleIJNSA_16discard_iteratorISK_EESF_EEENSM_IJSG_SG_EEES6_PlJS6_EEE10hipError_tPvRmT3_T4_T5_T6_T7_T9_mT8_P12ihipStream_tbDpT10_ENKUlT_T0_E_clISt17integral_constantIbLb0EES1A_IbLb1EEEEDaS16_S17_EUlS16_E_NS1_11comp_targetILNS1_3genE2ELNS1_11target_archE906ELNS1_3gpuE6ELNS1_3repE0EEENS1_30default_config_static_selectorELNS0_4arch9wavefront6targetE1EEEvT1_
    .private_segment_fixed_size: 0
    .sgpr_count:     6
    .sgpr_spill_count: 0
    .symbol:         _ZN7rocprim17ROCPRIM_400000_NS6detail17trampoline_kernelINS0_14default_configENS1_25partition_config_selectorILNS1_17partition_subalgoE1EjNS0_10empty_typeEbEEZZNS1_14partition_implILS5_1ELb0ES3_jN6thrust23THRUST_200600_302600_NS6detail15normal_iteratorINSA_10device_ptrIjEEEEPS6_NSA_18transform_iteratorI7is_evenIjESF_NSA_11use_defaultESK_EENS0_5tupleIJNSA_16discard_iteratorISK_EESF_EEENSM_IJSG_SG_EEES6_PlJS6_EEE10hipError_tPvRmT3_T4_T5_T6_T7_T9_mT8_P12ihipStream_tbDpT10_ENKUlT_T0_E_clISt17integral_constantIbLb0EES1A_IbLb1EEEEDaS16_S17_EUlS16_E_NS1_11comp_targetILNS1_3genE2ELNS1_11target_archE906ELNS1_3gpuE6ELNS1_3repE0EEENS1_30default_config_static_selectorELNS0_4arch9wavefront6targetE1EEEvT1_.kd
    .uniform_work_group_size: 1
    .uses_dynamic_stack: false
    .vgpr_count:     0
    .vgpr_spill_count: 0
    .wavefront_size: 64
  - .agpr_count:     0
    .args:
      - .offset:         0
        .size:           152
        .value_kind:     by_value
    .group_segment_fixed_size: 0
    .kernarg_segment_align: 8
    .kernarg_segment_size: 152
    .language:       OpenCL C
    .language_version:
      - 2
      - 0
    .max_flat_workgroup_size: 256
    .name:           _ZN7rocprim17ROCPRIM_400000_NS6detail17trampoline_kernelINS0_14default_configENS1_25partition_config_selectorILNS1_17partition_subalgoE1EjNS0_10empty_typeEbEEZZNS1_14partition_implILS5_1ELb0ES3_jN6thrust23THRUST_200600_302600_NS6detail15normal_iteratorINSA_10device_ptrIjEEEEPS6_NSA_18transform_iteratorI7is_evenIjESF_NSA_11use_defaultESK_EENS0_5tupleIJNSA_16discard_iteratorISK_EESF_EEENSM_IJSG_SG_EEES6_PlJS6_EEE10hipError_tPvRmT3_T4_T5_T6_T7_T9_mT8_P12ihipStream_tbDpT10_ENKUlT_T0_E_clISt17integral_constantIbLb0EES1A_IbLb1EEEEDaS16_S17_EUlS16_E_NS1_11comp_targetILNS1_3genE10ELNS1_11target_archE1200ELNS1_3gpuE4ELNS1_3repE0EEENS1_30default_config_static_selectorELNS0_4arch9wavefront6targetE1EEEvT1_
    .private_segment_fixed_size: 0
    .sgpr_count:     6
    .sgpr_spill_count: 0
    .symbol:         _ZN7rocprim17ROCPRIM_400000_NS6detail17trampoline_kernelINS0_14default_configENS1_25partition_config_selectorILNS1_17partition_subalgoE1EjNS0_10empty_typeEbEEZZNS1_14partition_implILS5_1ELb0ES3_jN6thrust23THRUST_200600_302600_NS6detail15normal_iteratorINSA_10device_ptrIjEEEEPS6_NSA_18transform_iteratorI7is_evenIjESF_NSA_11use_defaultESK_EENS0_5tupleIJNSA_16discard_iteratorISK_EESF_EEENSM_IJSG_SG_EEES6_PlJS6_EEE10hipError_tPvRmT3_T4_T5_T6_T7_T9_mT8_P12ihipStream_tbDpT10_ENKUlT_T0_E_clISt17integral_constantIbLb0EES1A_IbLb1EEEEDaS16_S17_EUlS16_E_NS1_11comp_targetILNS1_3genE10ELNS1_11target_archE1200ELNS1_3gpuE4ELNS1_3repE0EEENS1_30default_config_static_selectorELNS0_4arch9wavefront6targetE1EEEvT1_.kd
    .uniform_work_group_size: 1
    .uses_dynamic_stack: false
    .vgpr_count:     0
    .vgpr_spill_count: 0
    .wavefront_size: 64
  - .agpr_count:     0
    .args:
      - .offset:         0
        .size:           152
        .value_kind:     by_value
    .group_segment_fixed_size: 0
    .kernarg_segment_align: 8
    .kernarg_segment_size: 152
    .language:       OpenCL C
    .language_version:
      - 2
      - 0
    .max_flat_workgroup_size: 128
    .name:           _ZN7rocprim17ROCPRIM_400000_NS6detail17trampoline_kernelINS0_14default_configENS1_25partition_config_selectorILNS1_17partition_subalgoE1EjNS0_10empty_typeEbEEZZNS1_14partition_implILS5_1ELb0ES3_jN6thrust23THRUST_200600_302600_NS6detail15normal_iteratorINSA_10device_ptrIjEEEEPS6_NSA_18transform_iteratorI7is_evenIjESF_NSA_11use_defaultESK_EENS0_5tupleIJNSA_16discard_iteratorISK_EESF_EEENSM_IJSG_SG_EEES6_PlJS6_EEE10hipError_tPvRmT3_T4_T5_T6_T7_T9_mT8_P12ihipStream_tbDpT10_ENKUlT_T0_E_clISt17integral_constantIbLb0EES1A_IbLb1EEEEDaS16_S17_EUlS16_E_NS1_11comp_targetILNS1_3genE9ELNS1_11target_archE1100ELNS1_3gpuE3ELNS1_3repE0EEENS1_30default_config_static_selectorELNS0_4arch9wavefront6targetE1EEEvT1_
    .private_segment_fixed_size: 0
    .sgpr_count:     6
    .sgpr_spill_count: 0
    .symbol:         _ZN7rocprim17ROCPRIM_400000_NS6detail17trampoline_kernelINS0_14default_configENS1_25partition_config_selectorILNS1_17partition_subalgoE1EjNS0_10empty_typeEbEEZZNS1_14partition_implILS5_1ELb0ES3_jN6thrust23THRUST_200600_302600_NS6detail15normal_iteratorINSA_10device_ptrIjEEEEPS6_NSA_18transform_iteratorI7is_evenIjESF_NSA_11use_defaultESK_EENS0_5tupleIJNSA_16discard_iteratorISK_EESF_EEENSM_IJSG_SG_EEES6_PlJS6_EEE10hipError_tPvRmT3_T4_T5_T6_T7_T9_mT8_P12ihipStream_tbDpT10_ENKUlT_T0_E_clISt17integral_constantIbLb0EES1A_IbLb1EEEEDaS16_S17_EUlS16_E_NS1_11comp_targetILNS1_3genE9ELNS1_11target_archE1100ELNS1_3gpuE3ELNS1_3repE0EEENS1_30default_config_static_selectorELNS0_4arch9wavefront6targetE1EEEvT1_.kd
    .uniform_work_group_size: 1
    .uses_dynamic_stack: false
    .vgpr_count:     0
    .vgpr_spill_count: 0
    .wavefront_size: 64
  - .agpr_count:     0
    .args:
      - .offset:         0
        .size:           152
        .value_kind:     by_value
    .group_segment_fixed_size: 0
    .kernarg_segment_align: 8
    .kernarg_segment_size: 152
    .language:       OpenCL C
    .language_version:
      - 2
      - 0
    .max_flat_workgroup_size: 512
    .name:           _ZN7rocprim17ROCPRIM_400000_NS6detail17trampoline_kernelINS0_14default_configENS1_25partition_config_selectorILNS1_17partition_subalgoE1EjNS0_10empty_typeEbEEZZNS1_14partition_implILS5_1ELb0ES3_jN6thrust23THRUST_200600_302600_NS6detail15normal_iteratorINSA_10device_ptrIjEEEEPS6_NSA_18transform_iteratorI7is_evenIjESF_NSA_11use_defaultESK_EENS0_5tupleIJNSA_16discard_iteratorISK_EESF_EEENSM_IJSG_SG_EEES6_PlJS6_EEE10hipError_tPvRmT3_T4_T5_T6_T7_T9_mT8_P12ihipStream_tbDpT10_ENKUlT_T0_E_clISt17integral_constantIbLb0EES1A_IbLb1EEEEDaS16_S17_EUlS16_E_NS1_11comp_targetILNS1_3genE8ELNS1_11target_archE1030ELNS1_3gpuE2ELNS1_3repE0EEENS1_30default_config_static_selectorELNS0_4arch9wavefront6targetE1EEEvT1_
    .private_segment_fixed_size: 0
    .sgpr_count:     6
    .sgpr_spill_count: 0
    .symbol:         _ZN7rocprim17ROCPRIM_400000_NS6detail17trampoline_kernelINS0_14default_configENS1_25partition_config_selectorILNS1_17partition_subalgoE1EjNS0_10empty_typeEbEEZZNS1_14partition_implILS5_1ELb0ES3_jN6thrust23THRUST_200600_302600_NS6detail15normal_iteratorINSA_10device_ptrIjEEEEPS6_NSA_18transform_iteratorI7is_evenIjESF_NSA_11use_defaultESK_EENS0_5tupleIJNSA_16discard_iteratorISK_EESF_EEENSM_IJSG_SG_EEES6_PlJS6_EEE10hipError_tPvRmT3_T4_T5_T6_T7_T9_mT8_P12ihipStream_tbDpT10_ENKUlT_T0_E_clISt17integral_constantIbLb0EES1A_IbLb1EEEEDaS16_S17_EUlS16_E_NS1_11comp_targetILNS1_3genE8ELNS1_11target_archE1030ELNS1_3gpuE2ELNS1_3repE0EEENS1_30default_config_static_selectorELNS0_4arch9wavefront6targetE1EEEvT1_.kd
    .uniform_work_group_size: 1
    .uses_dynamic_stack: false
    .vgpr_count:     0
    .vgpr_spill_count: 0
    .wavefront_size: 64
  - .agpr_count:     0
    .args:
      - .offset:         0
        .size:           144
        .value_kind:     by_value
    .group_segment_fixed_size: 0
    .kernarg_segment_align: 8
    .kernarg_segment_size: 144
    .language:       OpenCL C
    .language_version:
      - 2
      - 0
    .max_flat_workgroup_size: 256
    .name:           _ZN7rocprim17ROCPRIM_400000_NS6detail17trampoline_kernelINS0_14default_configENS1_25partition_config_selectorILNS1_17partition_subalgoE1EtNS0_10empty_typeEbEEZZNS1_14partition_implILS5_1ELb0ES3_jN6thrust23THRUST_200600_302600_NS6detail15normal_iteratorINSA_10device_ptrItEEEEPS6_NSA_18transform_iteratorI7is_evenItESF_NSA_11use_defaultESK_EENS0_5tupleIJNSA_16discard_iteratorISK_EESO_EEENSM_IJSG_SG_EEES6_PlJS6_EEE10hipError_tPvRmT3_T4_T5_T6_T7_T9_mT8_P12ihipStream_tbDpT10_ENKUlT_T0_E_clISt17integral_constantIbLb0EES1B_EEDaS16_S17_EUlS16_E_NS1_11comp_targetILNS1_3genE0ELNS1_11target_archE4294967295ELNS1_3gpuE0ELNS1_3repE0EEENS1_30default_config_static_selectorELNS0_4arch9wavefront6targetE1EEEvT1_
    .private_segment_fixed_size: 0
    .sgpr_count:     6
    .sgpr_spill_count: 0
    .symbol:         _ZN7rocprim17ROCPRIM_400000_NS6detail17trampoline_kernelINS0_14default_configENS1_25partition_config_selectorILNS1_17partition_subalgoE1EtNS0_10empty_typeEbEEZZNS1_14partition_implILS5_1ELb0ES3_jN6thrust23THRUST_200600_302600_NS6detail15normal_iteratorINSA_10device_ptrItEEEEPS6_NSA_18transform_iteratorI7is_evenItESF_NSA_11use_defaultESK_EENS0_5tupleIJNSA_16discard_iteratorISK_EESO_EEENSM_IJSG_SG_EEES6_PlJS6_EEE10hipError_tPvRmT3_T4_T5_T6_T7_T9_mT8_P12ihipStream_tbDpT10_ENKUlT_T0_E_clISt17integral_constantIbLb0EES1B_EEDaS16_S17_EUlS16_E_NS1_11comp_targetILNS1_3genE0ELNS1_11target_archE4294967295ELNS1_3gpuE0ELNS1_3repE0EEENS1_30default_config_static_selectorELNS0_4arch9wavefront6targetE1EEEvT1_.kd
    .uniform_work_group_size: 1
    .uses_dynamic_stack: false
    .vgpr_count:     0
    .vgpr_spill_count: 0
    .wavefront_size: 64
  - .agpr_count:     0
    .args:
      - .offset:         0
        .size:           144
        .value_kind:     by_value
    .group_segment_fixed_size: 28680
    .kernarg_segment_align: 8
    .kernarg_segment_size: 144
    .language:       OpenCL C
    .language_version:
      - 2
      - 0
    .max_flat_workgroup_size: 512
    .name:           _ZN7rocprim17ROCPRIM_400000_NS6detail17trampoline_kernelINS0_14default_configENS1_25partition_config_selectorILNS1_17partition_subalgoE1EtNS0_10empty_typeEbEEZZNS1_14partition_implILS5_1ELb0ES3_jN6thrust23THRUST_200600_302600_NS6detail15normal_iteratorINSA_10device_ptrItEEEEPS6_NSA_18transform_iteratorI7is_evenItESF_NSA_11use_defaultESK_EENS0_5tupleIJNSA_16discard_iteratorISK_EESO_EEENSM_IJSG_SG_EEES6_PlJS6_EEE10hipError_tPvRmT3_T4_T5_T6_T7_T9_mT8_P12ihipStream_tbDpT10_ENKUlT_T0_E_clISt17integral_constantIbLb0EES1B_EEDaS16_S17_EUlS16_E_NS1_11comp_targetILNS1_3genE5ELNS1_11target_archE942ELNS1_3gpuE9ELNS1_3repE0EEENS1_30default_config_static_selectorELNS0_4arch9wavefront6targetE1EEEvT1_
    .private_segment_fixed_size: 0
    .sgpr_count:     42
    .sgpr_spill_count: 0
    .symbol:         _ZN7rocprim17ROCPRIM_400000_NS6detail17trampoline_kernelINS0_14default_configENS1_25partition_config_selectorILNS1_17partition_subalgoE1EtNS0_10empty_typeEbEEZZNS1_14partition_implILS5_1ELb0ES3_jN6thrust23THRUST_200600_302600_NS6detail15normal_iteratorINSA_10device_ptrItEEEEPS6_NSA_18transform_iteratorI7is_evenItESF_NSA_11use_defaultESK_EENS0_5tupleIJNSA_16discard_iteratorISK_EESO_EEENSM_IJSG_SG_EEES6_PlJS6_EEE10hipError_tPvRmT3_T4_T5_T6_T7_T9_mT8_P12ihipStream_tbDpT10_ENKUlT_T0_E_clISt17integral_constantIbLb0EES1B_EEDaS16_S17_EUlS16_E_NS1_11comp_targetILNS1_3genE5ELNS1_11target_archE942ELNS1_3gpuE9ELNS1_3repE0EEENS1_30default_config_static_selectorELNS0_4arch9wavefront6targetE1EEEvT1_.kd
    .uniform_work_group_size: 1
    .uses_dynamic_stack: false
    .vgpr_count:     78
    .vgpr_spill_count: 0
    .wavefront_size: 64
  - .agpr_count:     0
    .args:
      - .offset:         0
        .size:           144
        .value_kind:     by_value
    .group_segment_fixed_size: 0
    .kernarg_segment_align: 8
    .kernarg_segment_size: 144
    .language:       OpenCL C
    .language_version:
      - 2
      - 0
    .max_flat_workgroup_size: 256
    .name:           _ZN7rocprim17ROCPRIM_400000_NS6detail17trampoline_kernelINS0_14default_configENS1_25partition_config_selectorILNS1_17partition_subalgoE1EtNS0_10empty_typeEbEEZZNS1_14partition_implILS5_1ELb0ES3_jN6thrust23THRUST_200600_302600_NS6detail15normal_iteratorINSA_10device_ptrItEEEEPS6_NSA_18transform_iteratorI7is_evenItESF_NSA_11use_defaultESK_EENS0_5tupleIJNSA_16discard_iteratorISK_EESO_EEENSM_IJSG_SG_EEES6_PlJS6_EEE10hipError_tPvRmT3_T4_T5_T6_T7_T9_mT8_P12ihipStream_tbDpT10_ENKUlT_T0_E_clISt17integral_constantIbLb0EES1B_EEDaS16_S17_EUlS16_E_NS1_11comp_targetILNS1_3genE4ELNS1_11target_archE910ELNS1_3gpuE8ELNS1_3repE0EEENS1_30default_config_static_selectorELNS0_4arch9wavefront6targetE1EEEvT1_
    .private_segment_fixed_size: 0
    .sgpr_count:     6
    .sgpr_spill_count: 0
    .symbol:         _ZN7rocprim17ROCPRIM_400000_NS6detail17trampoline_kernelINS0_14default_configENS1_25partition_config_selectorILNS1_17partition_subalgoE1EtNS0_10empty_typeEbEEZZNS1_14partition_implILS5_1ELb0ES3_jN6thrust23THRUST_200600_302600_NS6detail15normal_iteratorINSA_10device_ptrItEEEEPS6_NSA_18transform_iteratorI7is_evenItESF_NSA_11use_defaultESK_EENS0_5tupleIJNSA_16discard_iteratorISK_EESO_EEENSM_IJSG_SG_EEES6_PlJS6_EEE10hipError_tPvRmT3_T4_T5_T6_T7_T9_mT8_P12ihipStream_tbDpT10_ENKUlT_T0_E_clISt17integral_constantIbLb0EES1B_EEDaS16_S17_EUlS16_E_NS1_11comp_targetILNS1_3genE4ELNS1_11target_archE910ELNS1_3gpuE8ELNS1_3repE0EEENS1_30default_config_static_selectorELNS0_4arch9wavefront6targetE1EEEvT1_.kd
    .uniform_work_group_size: 1
    .uses_dynamic_stack: false
    .vgpr_count:     0
    .vgpr_spill_count: 0
    .wavefront_size: 64
  - .agpr_count:     0
    .args:
      - .offset:         0
        .size:           144
        .value_kind:     by_value
    .group_segment_fixed_size: 0
    .kernarg_segment_align: 8
    .kernarg_segment_size: 144
    .language:       OpenCL C
    .language_version:
      - 2
      - 0
    .max_flat_workgroup_size: 256
    .name:           _ZN7rocprim17ROCPRIM_400000_NS6detail17trampoline_kernelINS0_14default_configENS1_25partition_config_selectorILNS1_17partition_subalgoE1EtNS0_10empty_typeEbEEZZNS1_14partition_implILS5_1ELb0ES3_jN6thrust23THRUST_200600_302600_NS6detail15normal_iteratorINSA_10device_ptrItEEEEPS6_NSA_18transform_iteratorI7is_evenItESF_NSA_11use_defaultESK_EENS0_5tupleIJNSA_16discard_iteratorISK_EESO_EEENSM_IJSG_SG_EEES6_PlJS6_EEE10hipError_tPvRmT3_T4_T5_T6_T7_T9_mT8_P12ihipStream_tbDpT10_ENKUlT_T0_E_clISt17integral_constantIbLb0EES1B_EEDaS16_S17_EUlS16_E_NS1_11comp_targetILNS1_3genE3ELNS1_11target_archE908ELNS1_3gpuE7ELNS1_3repE0EEENS1_30default_config_static_selectorELNS0_4arch9wavefront6targetE1EEEvT1_
    .private_segment_fixed_size: 0
    .sgpr_count:     6
    .sgpr_spill_count: 0
    .symbol:         _ZN7rocprim17ROCPRIM_400000_NS6detail17trampoline_kernelINS0_14default_configENS1_25partition_config_selectorILNS1_17partition_subalgoE1EtNS0_10empty_typeEbEEZZNS1_14partition_implILS5_1ELb0ES3_jN6thrust23THRUST_200600_302600_NS6detail15normal_iteratorINSA_10device_ptrItEEEEPS6_NSA_18transform_iteratorI7is_evenItESF_NSA_11use_defaultESK_EENS0_5tupleIJNSA_16discard_iteratorISK_EESO_EEENSM_IJSG_SG_EEES6_PlJS6_EEE10hipError_tPvRmT3_T4_T5_T6_T7_T9_mT8_P12ihipStream_tbDpT10_ENKUlT_T0_E_clISt17integral_constantIbLb0EES1B_EEDaS16_S17_EUlS16_E_NS1_11comp_targetILNS1_3genE3ELNS1_11target_archE908ELNS1_3gpuE7ELNS1_3repE0EEENS1_30default_config_static_selectorELNS0_4arch9wavefront6targetE1EEEvT1_.kd
    .uniform_work_group_size: 1
    .uses_dynamic_stack: false
    .vgpr_count:     0
    .vgpr_spill_count: 0
    .wavefront_size: 64
  - .agpr_count:     0
    .args:
      - .offset:         0
        .size:           144
        .value_kind:     by_value
    .group_segment_fixed_size: 0
    .kernarg_segment_align: 8
    .kernarg_segment_size: 144
    .language:       OpenCL C
    .language_version:
      - 2
      - 0
    .max_flat_workgroup_size: 256
    .name:           _ZN7rocprim17ROCPRIM_400000_NS6detail17trampoline_kernelINS0_14default_configENS1_25partition_config_selectorILNS1_17partition_subalgoE1EtNS0_10empty_typeEbEEZZNS1_14partition_implILS5_1ELb0ES3_jN6thrust23THRUST_200600_302600_NS6detail15normal_iteratorINSA_10device_ptrItEEEEPS6_NSA_18transform_iteratorI7is_evenItESF_NSA_11use_defaultESK_EENS0_5tupleIJNSA_16discard_iteratorISK_EESO_EEENSM_IJSG_SG_EEES6_PlJS6_EEE10hipError_tPvRmT3_T4_T5_T6_T7_T9_mT8_P12ihipStream_tbDpT10_ENKUlT_T0_E_clISt17integral_constantIbLb0EES1B_EEDaS16_S17_EUlS16_E_NS1_11comp_targetILNS1_3genE2ELNS1_11target_archE906ELNS1_3gpuE6ELNS1_3repE0EEENS1_30default_config_static_selectorELNS0_4arch9wavefront6targetE1EEEvT1_
    .private_segment_fixed_size: 0
    .sgpr_count:     6
    .sgpr_spill_count: 0
    .symbol:         _ZN7rocprim17ROCPRIM_400000_NS6detail17trampoline_kernelINS0_14default_configENS1_25partition_config_selectorILNS1_17partition_subalgoE1EtNS0_10empty_typeEbEEZZNS1_14partition_implILS5_1ELb0ES3_jN6thrust23THRUST_200600_302600_NS6detail15normal_iteratorINSA_10device_ptrItEEEEPS6_NSA_18transform_iteratorI7is_evenItESF_NSA_11use_defaultESK_EENS0_5tupleIJNSA_16discard_iteratorISK_EESO_EEENSM_IJSG_SG_EEES6_PlJS6_EEE10hipError_tPvRmT3_T4_T5_T6_T7_T9_mT8_P12ihipStream_tbDpT10_ENKUlT_T0_E_clISt17integral_constantIbLb0EES1B_EEDaS16_S17_EUlS16_E_NS1_11comp_targetILNS1_3genE2ELNS1_11target_archE906ELNS1_3gpuE6ELNS1_3repE0EEENS1_30default_config_static_selectorELNS0_4arch9wavefront6targetE1EEEvT1_.kd
    .uniform_work_group_size: 1
    .uses_dynamic_stack: false
    .vgpr_count:     0
    .vgpr_spill_count: 0
    .wavefront_size: 64
  - .agpr_count:     0
    .args:
      - .offset:         0
        .size:           144
        .value_kind:     by_value
    .group_segment_fixed_size: 0
    .kernarg_segment_align: 8
    .kernarg_segment_size: 144
    .language:       OpenCL C
    .language_version:
      - 2
      - 0
    .max_flat_workgroup_size: 384
    .name:           _ZN7rocprim17ROCPRIM_400000_NS6detail17trampoline_kernelINS0_14default_configENS1_25partition_config_selectorILNS1_17partition_subalgoE1EtNS0_10empty_typeEbEEZZNS1_14partition_implILS5_1ELb0ES3_jN6thrust23THRUST_200600_302600_NS6detail15normal_iteratorINSA_10device_ptrItEEEEPS6_NSA_18transform_iteratorI7is_evenItESF_NSA_11use_defaultESK_EENS0_5tupleIJNSA_16discard_iteratorISK_EESO_EEENSM_IJSG_SG_EEES6_PlJS6_EEE10hipError_tPvRmT3_T4_T5_T6_T7_T9_mT8_P12ihipStream_tbDpT10_ENKUlT_T0_E_clISt17integral_constantIbLb0EES1B_EEDaS16_S17_EUlS16_E_NS1_11comp_targetILNS1_3genE10ELNS1_11target_archE1200ELNS1_3gpuE4ELNS1_3repE0EEENS1_30default_config_static_selectorELNS0_4arch9wavefront6targetE1EEEvT1_
    .private_segment_fixed_size: 0
    .sgpr_count:     6
    .sgpr_spill_count: 0
    .symbol:         _ZN7rocprim17ROCPRIM_400000_NS6detail17trampoline_kernelINS0_14default_configENS1_25partition_config_selectorILNS1_17partition_subalgoE1EtNS0_10empty_typeEbEEZZNS1_14partition_implILS5_1ELb0ES3_jN6thrust23THRUST_200600_302600_NS6detail15normal_iteratorINSA_10device_ptrItEEEEPS6_NSA_18transform_iteratorI7is_evenItESF_NSA_11use_defaultESK_EENS0_5tupleIJNSA_16discard_iteratorISK_EESO_EEENSM_IJSG_SG_EEES6_PlJS6_EEE10hipError_tPvRmT3_T4_T5_T6_T7_T9_mT8_P12ihipStream_tbDpT10_ENKUlT_T0_E_clISt17integral_constantIbLb0EES1B_EEDaS16_S17_EUlS16_E_NS1_11comp_targetILNS1_3genE10ELNS1_11target_archE1200ELNS1_3gpuE4ELNS1_3repE0EEENS1_30default_config_static_selectorELNS0_4arch9wavefront6targetE1EEEvT1_.kd
    .uniform_work_group_size: 1
    .uses_dynamic_stack: false
    .vgpr_count:     0
    .vgpr_spill_count: 0
    .wavefront_size: 64
  - .agpr_count:     0
    .args:
      - .offset:         0
        .size:           144
        .value_kind:     by_value
    .group_segment_fixed_size: 0
    .kernarg_segment_align: 8
    .kernarg_segment_size: 144
    .language:       OpenCL C
    .language_version:
      - 2
      - 0
    .max_flat_workgroup_size: 128
    .name:           _ZN7rocprim17ROCPRIM_400000_NS6detail17trampoline_kernelINS0_14default_configENS1_25partition_config_selectorILNS1_17partition_subalgoE1EtNS0_10empty_typeEbEEZZNS1_14partition_implILS5_1ELb0ES3_jN6thrust23THRUST_200600_302600_NS6detail15normal_iteratorINSA_10device_ptrItEEEEPS6_NSA_18transform_iteratorI7is_evenItESF_NSA_11use_defaultESK_EENS0_5tupleIJNSA_16discard_iteratorISK_EESO_EEENSM_IJSG_SG_EEES6_PlJS6_EEE10hipError_tPvRmT3_T4_T5_T6_T7_T9_mT8_P12ihipStream_tbDpT10_ENKUlT_T0_E_clISt17integral_constantIbLb0EES1B_EEDaS16_S17_EUlS16_E_NS1_11comp_targetILNS1_3genE9ELNS1_11target_archE1100ELNS1_3gpuE3ELNS1_3repE0EEENS1_30default_config_static_selectorELNS0_4arch9wavefront6targetE1EEEvT1_
    .private_segment_fixed_size: 0
    .sgpr_count:     6
    .sgpr_spill_count: 0
    .symbol:         _ZN7rocprim17ROCPRIM_400000_NS6detail17trampoline_kernelINS0_14default_configENS1_25partition_config_selectorILNS1_17partition_subalgoE1EtNS0_10empty_typeEbEEZZNS1_14partition_implILS5_1ELb0ES3_jN6thrust23THRUST_200600_302600_NS6detail15normal_iteratorINSA_10device_ptrItEEEEPS6_NSA_18transform_iteratorI7is_evenItESF_NSA_11use_defaultESK_EENS0_5tupleIJNSA_16discard_iteratorISK_EESO_EEENSM_IJSG_SG_EEES6_PlJS6_EEE10hipError_tPvRmT3_T4_T5_T6_T7_T9_mT8_P12ihipStream_tbDpT10_ENKUlT_T0_E_clISt17integral_constantIbLb0EES1B_EEDaS16_S17_EUlS16_E_NS1_11comp_targetILNS1_3genE9ELNS1_11target_archE1100ELNS1_3gpuE3ELNS1_3repE0EEENS1_30default_config_static_selectorELNS0_4arch9wavefront6targetE1EEEvT1_.kd
    .uniform_work_group_size: 1
    .uses_dynamic_stack: false
    .vgpr_count:     0
    .vgpr_spill_count: 0
    .wavefront_size: 64
  - .agpr_count:     0
    .args:
      - .offset:         0
        .size:           144
        .value_kind:     by_value
    .group_segment_fixed_size: 0
    .kernarg_segment_align: 8
    .kernarg_segment_size: 144
    .language:       OpenCL C
    .language_version:
      - 2
      - 0
    .max_flat_workgroup_size: 512
    .name:           _ZN7rocprim17ROCPRIM_400000_NS6detail17trampoline_kernelINS0_14default_configENS1_25partition_config_selectorILNS1_17partition_subalgoE1EtNS0_10empty_typeEbEEZZNS1_14partition_implILS5_1ELb0ES3_jN6thrust23THRUST_200600_302600_NS6detail15normal_iteratorINSA_10device_ptrItEEEEPS6_NSA_18transform_iteratorI7is_evenItESF_NSA_11use_defaultESK_EENS0_5tupleIJNSA_16discard_iteratorISK_EESO_EEENSM_IJSG_SG_EEES6_PlJS6_EEE10hipError_tPvRmT3_T4_T5_T6_T7_T9_mT8_P12ihipStream_tbDpT10_ENKUlT_T0_E_clISt17integral_constantIbLb0EES1B_EEDaS16_S17_EUlS16_E_NS1_11comp_targetILNS1_3genE8ELNS1_11target_archE1030ELNS1_3gpuE2ELNS1_3repE0EEENS1_30default_config_static_selectorELNS0_4arch9wavefront6targetE1EEEvT1_
    .private_segment_fixed_size: 0
    .sgpr_count:     6
    .sgpr_spill_count: 0
    .symbol:         _ZN7rocprim17ROCPRIM_400000_NS6detail17trampoline_kernelINS0_14default_configENS1_25partition_config_selectorILNS1_17partition_subalgoE1EtNS0_10empty_typeEbEEZZNS1_14partition_implILS5_1ELb0ES3_jN6thrust23THRUST_200600_302600_NS6detail15normal_iteratorINSA_10device_ptrItEEEEPS6_NSA_18transform_iteratorI7is_evenItESF_NSA_11use_defaultESK_EENS0_5tupleIJNSA_16discard_iteratorISK_EESO_EEENSM_IJSG_SG_EEES6_PlJS6_EEE10hipError_tPvRmT3_T4_T5_T6_T7_T9_mT8_P12ihipStream_tbDpT10_ENKUlT_T0_E_clISt17integral_constantIbLb0EES1B_EEDaS16_S17_EUlS16_E_NS1_11comp_targetILNS1_3genE8ELNS1_11target_archE1030ELNS1_3gpuE2ELNS1_3repE0EEENS1_30default_config_static_selectorELNS0_4arch9wavefront6targetE1EEEvT1_.kd
    .uniform_work_group_size: 1
    .uses_dynamic_stack: false
    .vgpr_count:     0
    .vgpr_spill_count: 0
    .wavefront_size: 64
  - .agpr_count:     0
    .args:
      - .offset:         0
        .size:           160
        .value_kind:     by_value
    .group_segment_fixed_size: 0
    .kernarg_segment_align: 8
    .kernarg_segment_size: 160
    .language:       OpenCL C
    .language_version:
      - 2
      - 0
    .max_flat_workgroup_size: 256
    .name:           _ZN7rocprim17ROCPRIM_400000_NS6detail17trampoline_kernelINS0_14default_configENS1_25partition_config_selectorILNS1_17partition_subalgoE1EtNS0_10empty_typeEbEEZZNS1_14partition_implILS5_1ELb0ES3_jN6thrust23THRUST_200600_302600_NS6detail15normal_iteratorINSA_10device_ptrItEEEEPS6_NSA_18transform_iteratorI7is_evenItESF_NSA_11use_defaultESK_EENS0_5tupleIJNSA_16discard_iteratorISK_EESO_EEENSM_IJSG_SG_EEES6_PlJS6_EEE10hipError_tPvRmT3_T4_T5_T6_T7_T9_mT8_P12ihipStream_tbDpT10_ENKUlT_T0_E_clISt17integral_constantIbLb1EES1B_EEDaS16_S17_EUlS16_E_NS1_11comp_targetILNS1_3genE0ELNS1_11target_archE4294967295ELNS1_3gpuE0ELNS1_3repE0EEENS1_30default_config_static_selectorELNS0_4arch9wavefront6targetE1EEEvT1_
    .private_segment_fixed_size: 0
    .sgpr_count:     6
    .sgpr_spill_count: 0
    .symbol:         _ZN7rocprim17ROCPRIM_400000_NS6detail17trampoline_kernelINS0_14default_configENS1_25partition_config_selectorILNS1_17partition_subalgoE1EtNS0_10empty_typeEbEEZZNS1_14partition_implILS5_1ELb0ES3_jN6thrust23THRUST_200600_302600_NS6detail15normal_iteratorINSA_10device_ptrItEEEEPS6_NSA_18transform_iteratorI7is_evenItESF_NSA_11use_defaultESK_EENS0_5tupleIJNSA_16discard_iteratorISK_EESO_EEENSM_IJSG_SG_EEES6_PlJS6_EEE10hipError_tPvRmT3_T4_T5_T6_T7_T9_mT8_P12ihipStream_tbDpT10_ENKUlT_T0_E_clISt17integral_constantIbLb1EES1B_EEDaS16_S17_EUlS16_E_NS1_11comp_targetILNS1_3genE0ELNS1_11target_archE4294967295ELNS1_3gpuE0ELNS1_3repE0EEENS1_30default_config_static_selectorELNS0_4arch9wavefront6targetE1EEEvT1_.kd
    .uniform_work_group_size: 1
    .uses_dynamic_stack: false
    .vgpr_count:     0
    .vgpr_spill_count: 0
    .wavefront_size: 64
  - .agpr_count:     0
    .args:
      - .offset:         0
        .size:           160
        .value_kind:     by_value
    .group_segment_fixed_size: 28680
    .kernarg_segment_align: 8
    .kernarg_segment_size: 160
    .language:       OpenCL C
    .language_version:
      - 2
      - 0
    .max_flat_workgroup_size: 512
    .name:           _ZN7rocprim17ROCPRIM_400000_NS6detail17trampoline_kernelINS0_14default_configENS1_25partition_config_selectorILNS1_17partition_subalgoE1EtNS0_10empty_typeEbEEZZNS1_14partition_implILS5_1ELb0ES3_jN6thrust23THRUST_200600_302600_NS6detail15normal_iteratorINSA_10device_ptrItEEEEPS6_NSA_18transform_iteratorI7is_evenItESF_NSA_11use_defaultESK_EENS0_5tupleIJNSA_16discard_iteratorISK_EESO_EEENSM_IJSG_SG_EEES6_PlJS6_EEE10hipError_tPvRmT3_T4_T5_T6_T7_T9_mT8_P12ihipStream_tbDpT10_ENKUlT_T0_E_clISt17integral_constantIbLb1EES1B_EEDaS16_S17_EUlS16_E_NS1_11comp_targetILNS1_3genE5ELNS1_11target_archE942ELNS1_3gpuE9ELNS1_3repE0EEENS1_30default_config_static_selectorELNS0_4arch9wavefront6targetE1EEEvT1_
    .private_segment_fixed_size: 0
    .sgpr_count:     42
    .sgpr_spill_count: 0
    .symbol:         _ZN7rocprim17ROCPRIM_400000_NS6detail17trampoline_kernelINS0_14default_configENS1_25partition_config_selectorILNS1_17partition_subalgoE1EtNS0_10empty_typeEbEEZZNS1_14partition_implILS5_1ELb0ES3_jN6thrust23THRUST_200600_302600_NS6detail15normal_iteratorINSA_10device_ptrItEEEEPS6_NSA_18transform_iteratorI7is_evenItESF_NSA_11use_defaultESK_EENS0_5tupleIJNSA_16discard_iteratorISK_EESO_EEENSM_IJSG_SG_EEES6_PlJS6_EEE10hipError_tPvRmT3_T4_T5_T6_T7_T9_mT8_P12ihipStream_tbDpT10_ENKUlT_T0_E_clISt17integral_constantIbLb1EES1B_EEDaS16_S17_EUlS16_E_NS1_11comp_targetILNS1_3genE5ELNS1_11target_archE942ELNS1_3gpuE9ELNS1_3repE0EEENS1_30default_config_static_selectorELNS0_4arch9wavefront6targetE1EEEvT1_.kd
    .uniform_work_group_size: 1
    .uses_dynamic_stack: false
    .vgpr_count:     80
    .vgpr_spill_count: 0
    .wavefront_size: 64
  - .agpr_count:     0
    .args:
      - .offset:         0
        .size:           160
        .value_kind:     by_value
    .group_segment_fixed_size: 0
    .kernarg_segment_align: 8
    .kernarg_segment_size: 160
    .language:       OpenCL C
    .language_version:
      - 2
      - 0
    .max_flat_workgroup_size: 256
    .name:           _ZN7rocprim17ROCPRIM_400000_NS6detail17trampoline_kernelINS0_14default_configENS1_25partition_config_selectorILNS1_17partition_subalgoE1EtNS0_10empty_typeEbEEZZNS1_14partition_implILS5_1ELb0ES3_jN6thrust23THRUST_200600_302600_NS6detail15normal_iteratorINSA_10device_ptrItEEEEPS6_NSA_18transform_iteratorI7is_evenItESF_NSA_11use_defaultESK_EENS0_5tupleIJNSA_16discard_iteratorISK_EESO_EEENSM_IJSG_SG_EEES6_PlJS6_EEE10hipError_tPvRmT3_T4_T5_T6_T7_T9_mT8_P12ihipStream_tbDpT10_ENKUlT_T0_E_clISt17integral_constantIbLb1EES1B_EEDaS16_S17_EUlS16_E_NS1_11comp_targetILNS1_3genE4ELNS1_11target_archE910ELNS1_3gpuE8ELNS1_3repE0EEENS1_30default_config_static_selectorELNS0_4arch9wavefront6targetE1EEEvT1_
    .private_segment_fixed_size: 0
    .sgpr_count:     6
    .sgpr_spill_count: 0
    .symbol:         _ZN7rocprim17ROCPRIM_400000_NS6detail17trampoline_kernelINS0_14default_configENS1_25partition_config_selectorILNS1_17partition_subalgoE1EtNS0_10empty_typeEbEEZZNS1_14partition_implILS5_1ELb0ES3_jN6thrust23THRUST_200600_302600_NS6detail15normal_iteratorINSA_10device_ptrItEEEEPS6_NSA_18transform_iteratorI7is_evenItESF_NSA_11use_defaultESK_EENS0_5tupleIJNSA_16discard_iteratorISK_EESO_EEENSM_IJSG_SG_EEES6_PlJS6_EEE10hipError_tPvRmT3_T4_T5_T6_T7_T9_mT8_P12ihipStream_tbDpT10_ENKUlT_T0_E_clISt17integral_constantIbLb1EES1B_EEDaS16_S17_EUlS16_E_NS1_11comp_targetILNS1_3genE4ELNS1_11target_archE910ELNS1_3gpuE8ELNS1_3repE0EEENS1_30default_config_static_selectorELNS0_4arch9wavefront6targetE1EEEvT1_.kd
    .uniform_work_group_size: 1
    .uses_dynamic_stack: false
    .vgpr_count:     0
    .vgpr_spill_count: 0
    .wavefront_size: 64
  - .agpr_count:     0
    .args:
      - .offset:         0
        .size:           160
        .value_kind:     by_value
    .group_segment_fixed_size: 0
    .kernarg_segment_align: 8
    .kernarg_segment_size: 160
    .language:       OpenCL C
    .language_version:
      - 2
      - 0
    .max_flat_workgroup_size: 256
    .name:           _ZN7rocprim17ROCPRIM_400000_NS6detail17trampoline_kernelINS0_14default_configENS1_25partition_config_selectorILNS1_17partition_subalgoE1EtNS0_10empty_typeEbEEZZNS1_14partition_implILS5_1ELb0ES3_jN6thrust23THRUST_200600_302600_NS6detail15normal_iteratorINSA_10device_ptrItEEEEPS6_NSA_18transform_iteratorI7is_evenItESF_NSA_11use_defaultESK_EENS0_5tupleIJNSA_16discard_iteratorISK_EESO_EEENSM_IJSG_SG_EEES6_PlJS6_EEE10hipError_tPvRmT3_T4_T5_T6_T7_T9_mT8_P12ihipStream_tbDpT10_ENKUlT_T0_E_clISt17integral_constantIbLb1EES1B_EEDaS16_S17_EUlS16_E_NS1_11comp_targetILNS1_3genE3ELNS1_11target_archE908ELNS1_3gpuE7ELNS1_3repE0EEENS1_30default_config_static_selectorELNS0_4arch9wavefront6targetE1EEEvT1_
    .private_segment_fixed_size: 0
    .sgpr_count:     6
    .sgpr_spill_count: 0
    .symbol:         _ZN7rocprim17ROCPRIM_400000_NS6detail17trampoline_kernelINS0_14default_configENS1_25partition_config_selectorILNS1_17partition_subalgoE1EtNS0_10empty_typeEbEEZZNS1_14partition_implILS5_1ELb0ES3_jN6thrust23THRUST_200600_302600_NS6detail15normal_iteratorINSA_10device_ptrItEEEEPS6_NSA_18transform_iteratorI7is_evenItESF_NSA_11use_defaultESK_EENS0_5tupleIJNSA_16discard_iteratorISK_EESO_EEENSM_IJSG_SG_EEES6_PlJS6_EEE10hipError_tPvRmT3_T4_T5_T6_T7_T9_mT8_P12ihipStream_tbDpT10_ENKUlT_T0_E_clISt17integral_constantIbLb1EES1B_EEDaS16_S17_EUlS16_E_NS1_11comp_targetILNS1_3genE3ELNS1_11target_archE908ELNS1_3gpuE7ELNS1_3repE0EEENS1_30default_config_static_selectorELNS0_4arch9wavefront6targetE1EEEvT1_.kd
    .uniform_work_group_size: 1
    .uses_dynamic_stack: false
    .vgpr_count:     0
    .vgpr_spill_count: 0
    .wavefront_size: 64
  - .agpr_count:     0
    .args:
      - .offset:         0
        .size:           160
        .value_kind:     by_value
    .group_segment_fixed_size: 0
    .kernarg_segment_align: 8
    .kernarg_segment_size: 160
    .language:       OpenCL C
    .language_version:
      - 2
      - 0
    .max_flat_workgroup_size: 256
    .name:           _ZN7rocprim17ROCPRIM_400000_NS6detail17trampoline_kernelINS0_14default_configENS1_25partition_config_selectorILNS1_17partition_subalgoE1EtNS0_10empty_typeEbEEZZNS1_14partition_implILS5_1ELb0ES3_jN6thrust23THRUST_200600_302600_NS6detail15normal_iteratorINSA_10device_ptrItEEEEPS6_NSA_18transform_iteratorI7is_evenItESF_NSA_11use_defaultESK_EENS0_5tupleIJNSA_16discard_iteratorISK_EESO_EEENSM_IJSG_SG_EEES6_PlJS6_EEE10hipError_tPvRmT3_T4_T5_T6_T7_T9_mT8_P12ihipStream_tbDpT10_ENKUlT_T0_E_clISt17integral_constantIbLb1EES1B_EEDaS16_S17_EUlS16_E_NS1_11comp_targetILNS1_3genE2ELNS1_11target_archE906ELNS1_3gpuE6ELNS1_3repE0EEENS1_30default_config_static_selectorELNS0_4arch9wavefront6targetE1EEEvT1_
    .private_segment_fixed_size: 0
    .sgpr_count:     6
    .sgpr_spill_count: 0
    .symbol:         _ZN7rocprim17ROCPRIM_400000_NS6detail17trampoline_kernelINS0_14default_configENS1_25partition_config_selectorILNS1_17partition_subalgoE1EtNS0_10empty_typeEbEEZZNS1_14partition_implILS5_1ELb0ES3_jN6thrust23THRUST_200600_302600_NS6detail15normal_iteratorINSA_10device_ptrItEEEEPS6_NSA_18transform_iteratorI7is_evenItESF_NSA_11use_defaultESK_EENS0_5tupleIJNSA_16discard_iteratorISK_EESO_EEENSM_IJSG_SG_EEES6_PlJS6_EEE10hipError_tPvRmT3_T4_T5_T6_T7_T9_mT8_P12ihipStream_tbDpT10_ENKUlT_T0_E_clISt17integral_constantIbLb1EES1B_EEDaS16_S17_EUlS16_E_NS1_11comp_targetILNS1_3genE2ELNS1_11target_archE906ELNS1_3gpuE6ELNS1_3repE0EEENS1_30default_config_static_selectorELNS0_4arch9wavefront6targetE1EEEvT1_.kd
    .uniform_work_group_size: 1
    .uses_dynamic_stack: false
    .vgpr_count:     0
    .vgpr_spill_count: 0
    .wavefront_size: 64
  - .agpr_count:     0
    .args:
      - .offset:         0
        .size:           160
        .value_kind:     by_value
    .group_segment_fixed_size: 0
    .kernarg_segment_align: 8
    .kernarg_segment_size: 160
    .language:       OpenCL C
    .language_version:
      - 2
      - 0
    .max_flat_workgroup_size: 384
    .name:           _ZN7rocprim17ROCPRIM_400000_NS6detail17trampoline_kernelINS0_14default_configENS1_25partition_config_selectorILNS1_17partition_subalgoE1EtNS0_10empty_typeEbEEZZNS1_14partition_implILS5_1ELb0ES3_jN6thrust23THRUST_200600_302600_NS6detail15normal_iteratorINSA_10device_ptrItEEEEPS6_NSA_18transform_iteratorI7is_evenItESF_NSA_11use_defaultESK_EENS0_5tupleIJNSA_16discard_iteratorISK_EESO_EEENSM_IJSG_SG_EEES6_PlJS6_EEE10hipError_tPvRmT3_T4_T5_T6_T7_T9_mT8_P12ihipStream_tbDpT10_ENKUlT_T0_E_clISt17integral_constantIbLb1EES1B_EEDaS16_S17_EUlS16_E_NS1_11comp_targetILNS1_3genE10ELNS1_11target_archE1200ELNS1_3gpuE4ELNS1_3repE0EEENS1_30default_config_static_selectorELNS0_4arch9wavefront6targetE1EEEvT1_
    .private_segment_fixed_size: 0
    .sgpr_count:     6
    .sgpr_spill_count: 0
    .symbol:         _ZN7rocprim17ROCPRIM_400000_NS6detail17trampoline_kernelINS0_14default_configENS1_25partition_config_selectorILNS1_17partition_subalgoE1EtNS0_10empty_typeEbEEZZNS1_14partition_implILS5_1ELb0ES3_jN6thrust23THRUST_200600_302600_NS6detail15normal_iteratorINSA_10device_ptrItEEEEPS6_NSA_18transform_iteratorI7is_evenItESF_NSA_11use_defaultESK_EENS0_5tupleIJNSA_16discard_iteratorISK_EESO_EEENSM_IJSG_SG_EEES6_PlJS6_EEE10hipError_tPvRmT3_T4_T5_T6_T7_T9_mT8_P12ihipStream_tbDpT10_ENKUlT_T0_E_clISt17integral_constantIbLb1EES1B_EEDaS16_S17_EUlS16_E_NS1_11comp_targetILNS1_3genE10ELNS1_11target_archE1200ELNS1_3gpuE4ELNS1_3repE0EEENS1_30default_config_static_selectorELNS0_4arch9wavefront6targetE1EEEvT1_.kd
    .uniform_work_group_size: 1
    .uses_dynamic_stack: false
    .vgpr_count:     0
    .vgpr_spill_count: 0
    .wavefront_size: 64
  - .agpr_count:     0
    .args:
      - .offset:         0
        .size:           160
        .value_kind:     by_value
    .group_segment_fixed_size: 0
    .kernarg_segment_align: 8
    .kernarg_segment_size: 160
    .language:       OpenCL C
    .language_version:
      - 2
      - 0
    .max_flat_workgroup_size: 128
    .name:           _ZN7rocprim17ROCPRIM_400000_NS6detail17trampoline_kernelINS0_14default_configENS1_25partition_config_selectorILNS1_17partition_subalgoE1EtNS0_10empty_typeEbEEZZNS1_14partition_implILS5_1ELb0ES3_jN6thrust23THRUST_200600_302600_NS6detail15normal_iteratorINSA_10device_ptrItEEEEPS6_NSA_18transform_iteratorI7is_evenItESF_NSA_11use_defaultESK_EENS0_5tupleIJNSA_16discard_iteratorISK_EESO_EEENSM_IJSG_SG_EEES6_PlJS6_EEE10hipError_tPvRmT3_T4_T5_T6_T7_T9_mT8_P12ihipStream_tbDpT10_ENKUlT_T0_E_clISt17integral_constantIbLb1EES1B_EEDaS16_S17_EUlS16_E_NS1_11comp_targetILNS1_3genE9ELNS1_11target_archE1100ELNS1_3gpuE3ELNS1_3repE0EEENS1_30default_config_static_selectorELNS0_4arch9wavefront6targetE1EEEvT1_
    .private_segment_fixed_size: 0
    .sgpr_count:     6
    .sgpr_spill_count: 0
    .symbol:         _ZN7rocprim17ROCPRIM_400000_NS6detail17trampoline_kernelINS0_14default_configENS1_25partition_config_selectorILNS1_17partition_subalgoE1EtNS0_10empty_typeEbEEZZNS1_14partition_implILS5_1ELb0ES3_jN6thrust23THRUST_200600_302600_NS6detail15normal_iteratorINSA_10device_ptrItEEEEPS6_NSA_18transform_iteratorI7is_evenItESF_NSA_11use_defaultESK_EENS0_5tupleIJNSA_16discard_iteratorISK_EESO_EEENSM_IJSG_SG_EEES6_PlJS6_EEE10hipError_tPvRmT3_T4_T5_T6_T7_T9_mT8_P12ihipStream_tbDpT10_ENKUlT_T0_E_clISt17integral_constantIbLb1EES1B_EEDaS16_S17_EUlS16_E_NS1_11comp_targetILNS1_3genE9ELNS1_11target_archE1100ELNS1_3gpuE3ELNS1_3repE0EEENS1_30default_config_static_selectorELNS0_4arch9wavefront6targetE1EEEvT1_.kd
    .uniform_work_group_size: 1
    .uses_dynamic_stack: false
    .vgpr_count:     0
    .vgpr_spill_count: 0
    .wavefront_size: 64
  - .agpr_count:     0
    .args:
      - .offset:         0
        .size:           160
        .value_kind:     by_value
    .group_segment_fixed_size: 0
    .kernarg_segment_align: 8
    .kernarg_segment_size: 160
    .language:       OpenCL C
    .language_version:
      - 2
      - 0
    .max_flat_workgroup_size: 512
    .name:           _ZN7rocprim17ROCPRIM_400000_NS6detail17trampoline_kernelINS0_14default_configENS1_25partition_config_selectorILNS1_17partition_subalgoE1EtNS0_10empty_typeEbEEZZNS1_14partition_implILS5_1ELb0ES3_jN6thrust23THRUST_200600_302600_NS6detail15normal_iteratorINSA_10device_ptrItEEEEPS6_NSA_18transform_iteratorI7is_evenItESF_NSA_11use_defaultESK_EENS0_5tupleIJNSA_16discard_iteratorISK_EESO_EEENSM_IJSG_SG_EEES6_PlJS6_EEE10hipError_tPvRmT3_T4_T5_T6_T7_T9_mT8_P12ihipStream_tbDpT10_ENKUlT_T0_E_clISt17integral_constantIbLb1EES1B_EEDaS16_S17_EUlS16_E_NS1_11comp_targetILNS1_3genE8ELNS1_11target_archE1030ELNS1_3gpuE2ELNS1_3repE0EEENS1_30default_config_static_selectorELNS0_4arch9wavefront6targetE1EEEvT1_
    .private_segment_fixed_size: 0
    .sgpr_count:     6
    .sgpr_spill_count: 0
    .symbol:         _ZN7rocprim17ROCPRIM_400000_NS6detail17trampoline_kernelINS0_14default_configENS1_25partition_config_selectorILNS1_17partition_subalgoE1EtNS0_10empty_typeEbEEZZNS1_14partition_implILS5_1ELb0ES3_jN6thrust23THRUST_200600_302600_NS6detail15normal_iteratorINSA_10device_ptrItEEEEPS6_NSA_18transform_iteratorI7is_evenItESF_NSA_11use_defaultESK_EENS0_5tupleIJNSA_16discard_iteratorISK_EESO_EEENSM_IJSG_SG_EEES6_PlJS6_EEE10hipError_tPvRmT3_T4_T5_T6_T7_T9_mT8_P12ihipStream_tbDpT10_ENKUlT_T0_E_clISt17integral_constantIbLb1EES1B_EEDaS16_S17_EUlS16_E_NS1_11comp_targetILNS1_3genE8ELNS1_11target_archE1030ELNS1_3gpuE2ELNS1_3repE0EEENS1_30default_config_static_selectorELNS0_4arch9wavefront6targetE1EEEvT1_.kd
    .uniform_work_group_size: 1
    .uses_dynamic_stack: false
    .vgpr_count:     0
    .vgpr_spill_count: 0
    .wavefront_size: 64
  - .agpr_count:     0
    .args:
      - .offset:         0
        .size:           144
        .value_kind:     by_value
    .group_segment_fixed_size: 0
    .kernarg_segment_align: 8
    .kernarg_segment_size: 144
    .language:       OpenCL C
    .language_version:
      - 2
      - 0
    .max_flat_workgroup_size: 256
    .name:           _ZN7rocprim17ROCPRIM_400000_NS6detail17trampoline_kernelINS0_14default_configENS1_25partition_config_selectorILNS1_17partition_subalgoE1EtNS0_10empty_typeEbEEZZNS1_14partition_implILS5_1ELb0ES3_jN6thrust23THRUST_200600_302600_NS6detail15normal_iteratorINSA_10device_ptrItEEEEPS6_NSA_18transform_iteratorI7is_evenItESF_NSA_11use_defaultESK_EENS0_5tupleIJNSA_16discard_iteratorISK_EESO_EEENSM_IJSG_SG_EEES6_PlJS6_EEE10hipError_tPvRmT3_T4_T5_T6_T7_T9_mT8_P12ihipStream_tbDpT10_ENKUlT_T0_E_clISt17integral_constantIbLb1EES1A_IbLb0EEEEDaS16_S17_EUlS16_E_NS1_11comp_targetILNS1_3genE0ELNS1_11target_archE4294967295ELNS1_3gpuE0ELNS1_3repE0EEENS1_30default_config_static_selectorELNS0_4arch9wavefront6targetE1EEEvT1_
    .private_segment_fixed_size: 0
    .sgpr_count:     6
    .sgpr_spill_count: 0
    .symbol:         _ZN7rocprim17ROCPRIM_400000_NS6detail17trampoline_kernelINS0_14default_configENS1_25partition_config_selectorILNS1_17partition_subalgoE1EtNS0_10empty_typeEbEEZZNS1_14partition_implILS5_1ELb0ES3_jN6thrust23THRUST_200600_302600_NS6detail15normal_iteratorINSA_10device_ptrItEEEEPS6_NSA_18transform_iteratorI7is_evenItESF_NSA_11use_defaultESK_EENS0_5tupleIJNSA_16discard_iteratorISK_EESO_EEENSM_IJSG_SG_EEES6_PlJS6_EEE10hipError_tPvRmT3_T4_T5_T6_T7_T9_mT8_P12ihipStream_tbDpT10_ENKUlT_T0_E_clISt17integral_constantIbLb1EES1A_IbLb0EEEEDaS16_S17_EUlS16_E_NS1_11comp_targetILNS1_3genE0ELNS1_11target_archE4294967295ELNS1_3gpuE0ELNS1_3repE0EEENS1_30default_config_static_selectorELNS0_4arch9wavefront6targetE1EEEvT1_.kd
    .uniform_work_group_size: 1
    .uses_dynamic_stack: false
    .vgpr_count:     0
    .vgpr_spill_count: 0
    .wavefront_size: 64
  - .agpr_count:     0
    .args:
      - .offset:         0
        .size:           144
        .value_kind:     by_value
    .group_segment_fixed_size: 28680
    .kernarg_segment_align: 8
    .kernarg_segment_size: 144
    .language:       OpenCL C
    .language_version:
      - 2
      - 0
    .max_flat_workgroup_size: 512
    .name:           _ZN7rocprim17ROCPRIM_400000_NS6detail17trampoline_kernelINS0_14default_configENS1_25partition_config_selectorILNS1_17partition_subalgoE1EtNS0_10empty_typeEbEEZZNS1_14partition_implILS5_1ELb0ES3_jN6thrust23THRUST_200600_302600_NS6detail15normal_iteratorINSA_10device_ptrItEEEEPS6_NSA_18transform_iteratorI7is_evenItESF_NSA_11use_defaultESK_EENS0_5tupleIJNSA_16discard_iteratorISK_EESO_EEENSM_IJSG_SG_EEES6_PlJS6_EEE10hipError_tPvRmT3_T4_T5_T6_T7_T9_mT8_P12ihipStream_tbDpT10_ENKUlT_T0_E_clISt17integral_constantIbLb1EES1A_IbLb0EEEEDaS16_S17_EUlS16_E_NS1_11comp_targetILNS1_3genE5ELNS1_11target_archE942ELNS1_3gpuE9ELNS1_3repE0EEENS1_30default_config_static_selectorELNS0_4arch9wavefront6targetE1EEEvT1_
    .private_segment_fixed_size: 0
    .sgpr_count:     42
    .sgpr_spill_count: 0
    .symbol:         _ZN7rocprim17ROCPRIM_400000_NS6detail17trampoline_kernelINS0_14default_configENS1_25partition_config_selectorILNS1_17partition_subalgoE1EtNS0_10empty_typeEbEEZZNS1_14partition_implILS5_1ELb0ES3_jN6thrust23THRUST_200600_302600_NS6detail15normal_iteratorINSA_10device_ptrItEEEEPS6_NSA_18transform_iteratorI7is_evenItESF_NSA_11use_defaultESK_EENS0_5tupleIJNSA_16discard_iteratorISK_EESO_EEENSM_IJSG_SG_EEES6_PlJS6_EEE10hipError_tPvRmT3_T4_T5_T6_T7_T9_mT8_P12ihipStream_tbDpT10_ENKUlT_T0_E_clISt17integral_constantIbLb1EES1A_IbLb0EEEEDaS16_S17_EUlS16_E_NS1_11comp_targetILNS1_3genE5ELNS1_11target_archE942ELNS1_3gpuE9ELNS1_3repE0EEENS1_30default_config_static_selectorELNS0_4arch9wavefront6targetE1EEEvT1_.kd
    .uniform_work_group_size: 1
    .uses_dynamic_stack: false
    .vgpr_count:     78
    .vgpr_spill_count: 0
    .wavefront_size: 64
  - .agpr_count:     0
    .args:
      - .offset:         0
        .size:           144
        .value_kind:     by_value
    .group_segment_fixed_size: 0
    .kernarg_segment_align: 8
    .kernarg_segment_size: 144
    .language:       OpenCL C
    .language_version:
      - 2
      - 0
    .max_flat_workgroup_size: 256
    .name:           _ZN7rocprim17ROCPRIM_400000_NS6detail17trampoline_kernelINS0_14default_configENS1_25partition_config_selectorILNS1_17partition_subalgoE1EtNS0_10empty_typeEbEEZZNS1_14partition_implILS5_1ELb0ES3_jN6thrust23THRUST_200600_302600_NS6detail15normal_iteratorINSA_10device_ptrItEEEEPS6_NSA_18transform_iteratorI7is_evenItESF_NSA_11use_defaultESK_EENS0_5tupleIJNSA_16discard_iteratorISK_EESO_EEENSM_IJSG_SG_EEES6_PlJS6_EEE10hipError_tPvRmT3_T4_T5_T6_T7_T9_mT8_P12ihipStream_tbDpT10_ENKUlT_T0_E_clISt17integral_constantIbLb1EES1A_IbLb0EEEEDaS16_S17_EUlS16_E_NS1_11comp_targetILNS1_3genE4ELNS1_11target_archE910ELNS1_3gpuE8ELNS1_3repE0EEENS1_30default_config_static_selectorELNS0_4arch9wavefront6targetE1EEEvT1_
    .private_segment_fixed_size: 0
    .sgpr_count:     6
    .sgpr_spill_count: 0
    .symbol:         _ZN7rocprim17ROCPRIM_400000_NS6detail17trampoline_kernelINS0_14default_configENS1_25partition_config_selectorILNS1_17partition_subalgoE1EtNS0_10empty_typeEbEEZZNS1_14partition_implILS5_1ELb0ES3_jN6thrust23THRUST_200600_302600_NS6detail15normal_iteratorINSA_10device_ptrItEEEEPS6_NSA_18transform_iteratorI7is_evenItESF_NSA_11use_defaultESK_EENS0_5tupleIJNSA_16discard_iteratorISK_EESO_EEENSM_IJSG_SG_EEES6_PlJS6_EEE10hipError_tPvRmT3_T4_T5_T6_T7_T9_mT8_P12ihipStream_tbDpT10_ENKUlT_T0_E_clISt17integral_constantIbLb1EES1A_IbLb0EEEEDaS16_S17_EUlS16_E_NS1_11comp_targetILNS1_3genE4ELNS1_11target_archE910ELNS1_3gpuE8ELNS1_3repE0EEENS1_30default_config_static_selectorELNS0_4arch9wavefront6targetE1EEEvT1_.kd
    .uniform_work_group_size: 1
    .uses_dynamic_stack: false
    .vgpr_count:     0
    .vgpr_spill_count: 0
    .wavefront_size: 64
  - .agpr_count:     0
    .args:
      - .offset:         0
        .size:           144
        .value_kind:     by_value
    .group_segment_fixed_size: 0
    .kernarg_segment_align: 8
    .kernarg_segment_size: 144
    .language:       OpenCL C
    .language_version:
      - 2
      - 0
    .max_flat_workgroup_size: 256
    .name:           _ZN7rocprim17ROCPRIM_400000_NS6detail17trampoline_kernelINS0_14default_configENS1_25partition_config_selectorILNS1_17partition_subalgoE1EtNS0_10empty_typeEbEEZZNS1_14partition_implILS5_1ELb0ES3_jN6thrust23THRUST_200600_302600_NS6detail15normal_iteratorINSA_10device_ptrItEEEEPS6_NSA_18transform_iteratorI7is_evenItESF_NSA_11use_defaultESK_EENS0_5tupleIJNSA_16discard_iteratorISK_EESO_EEENSM_IJSG_SG_EEES6_PlJS6_EEE10hipError_tPvRmT3_T4_T5_T6_T7_T9_mT8_P12ihipStream_tbDpT10_ENKUlT_T0_E_clISt17integral_constantIbLb1EES1A_IbLb0EEEEDaS16_S17_EUlS16_E_NS1_11comp_targetILNS1_3genE3ELNS1_11target_archE908ELNS1_3gpuE7ELNS1_3repE0EEENS1_30default_config_static_selectorELNS0_4arch9wavefront6targetE1EEEvT1_
    .private_segment_fixed_size: 0
    .sgpr_count:     6
    .sgpr_spill_count: 0
    .symbol:         _ZN7rocprim17ROCPRIM_400000_NS6detail17trampoline_kernelINS0_14default_configENS1_25partition_config_selectorILNS1_17partition_subalgoE1EtNS0_10empty_typeEbEEZZNS1_14partition_implILS5_1ELb0ES3_jN6thrust23THRUST_200600_302600_NS6detail15normal_iteratorINSA_10device_ptrItEEEEPS6_NSA_18transform_iteratorI7is_evenItESF_NSA_11use_defaultESK_EENS0_5tupleIJNSA_16discard_iteratorISK_EESO_EEENSM_IJSG_SG_EEES6_PlJS6_EEE10hipError_tPvRmT3_T4_T5_T6_T7_T9_mT8_P12ihipStream_tbDpT10_ENKUlT_T0_E_clISt17integral_constantIbLb1EES1A_IbLb0EEEEDaS16_S17_EUlS16_E_NS1_11comp_targetILNS1_3genE3ELNS1_11target_archE908ELNS1_3gpuE7ELNS1_3repE0EEENS1_30default_config_static_selectorELNS0_4arch9wavefront6targetE1EEEvT1_.kd
    .uniform_work_group_size: 1
    .uses_dynamic_stack: false
    .vgpr_count:     0
    .vgpr_spill_count: 0
    .wavefront_size: 64
  - .agpr_count:     0
    .args:
      - .offset:         0
        .size:           144
        .value_kind:     by_value
    .group_segment_fixed_size: 0
    .kernarg_segment_align: 8
    .kernarg_segment_size: 144
    .language:       OpenCL C
    .language_version:
      - 2
      - 0
    .max_flat_workgroup_size: 256
    .name:           _ZN7rocprim17ROCPRIM_400000_NS6detail17trampoline_kernelINS0_14default_configENS1_25partition_config_selectorILNS1_17partition_subalgoE1EtNS0_10empty_typeEbEEZZNS1_14partition_implILS5_1ELb0ES3_jN6thrust23THRUST_200600_302600_NS6detail15normal_iteratorINSA_10device_ptrItEEEEPS6_NSA_18transform_iteratorI7is_evenItESF_NSA_11use_defaultESK_EENS0_5tupleIJNSA_16discard_iteratorISK_EESO_EEENSM_IJSG_SG_EEES6_PlJS6_EEE10hipError_tPvRmT3_T4_T5_T6_T7_T9_mT8_P12ihipStream_tbDpT10_ENKUlT_T0_E_clISt17integral_constantIbLb1EES1A_IbLb0EEEEDaS16_S17_EUlS16_E_NS1_11comp_targetILNS1_3genE2ELNS1_11target_archE906ELNS1_3gpuE6ELNS1_3repE0EEENS1_30default_config_static_selectorELNS0_4arch9wavefront6targetE1EEEvT1_
    .private_segment_fixed_size: 0
    .sgpr_count:     6
    .sgpr_spill_count: 0
    .symbol:         _ZN7rocprim17ROCPRIM_400000_NS6detail17trampoline_kernelINS0_14default_configENS1_25partition_config_selectorILNS1_17partition_subalgoE1EtNS0_10empty_typeEbEEZZNS1_14partition_implILS5_1ELb0ES3_jN6thrust23THRUST_200600_302600_NS6detail15normal_iteratorINSA_10device_ptrItEEEEPS6_NSA_18transform_iteratorI7is_evenItESF_NSA_11use_defaultESK_EENS0_5tupleIJNSA_16discard_iteratorISK_EESO_EEENSM_IJSG_SG_EEES6_PlJS6_EEE10hipError_tPvRmT3_T4_T5_T6_T7_T9_mT8_P12ihipStream_tbDpT10_ENKUlT_T0_E_clISt17integral_constantIbLb1EES1A_IbLb0EEEEDaS16_S17_EUlS16_E_NS1_11comp_targetILNS1_3genE2ELNS1_11target_archE906ELNS1_3gpuE6ELNS1_3repE0EEENS1_30default_config_static_selectorELNS0_4arch9wavefront6targetE1EEEvT1_.kd
    .uniform_work_group_size: 1
    .uses_dynamic_stack: false
    .vgpr_count:     0
    .vgpr_spill_count: 0
    .wavefront_size: 64
  - .agpr_count:     0
    .args:
      - .offset:         0
        .size:           144
        .value_kind:     by_value
    .group_segment_fixed_size: 0
    .kernarg_segment_align: 8
    .kernarg_segment_size: 144
    .language:       OpenCL C
    .language_version:
      - 2
      - 0
    .max_flat_workgroup_size: 384
    .name:           _ZN7rocprim17ROCPRIM_400000_NS6detail17trampoline_kernelINS0_14default_configENS1_25partition_config_selectorILNS1_17partition_subalgoE1EtNS0_10empty_typeEbEEZZNS1_14partition_implILS5_1ELb0ES3_jN6thrust23THRUST_200600_302600_NS6detail15normal_iteratorINSA_10device_ptrItEEEEPS6_NSA_18transform_iteratorI7is_evenItESF_NSA_11use_defaultESK_EENS0_5tupleIJNSA_16discard_iteratorISK_EESO_EEENSM_IJSG_SG_EEES6_PlJS6_EEE10hipError_tPvRmT3_T4_T5_T6_T7_T9_mT8_P12ihipStream_tbDpT10_ENKUlT_T0_E_clISt17integral_constantIbLb1EES1A_IbLb0EEEEDaS16_S17_EUlS16_E_NS1_11comp_targetILNS1_3genE10ELNS1_11target_archE1200ELNS1_3gpuE4ELNS1_3repE0EEENS1_30default_config_static_selectorELNS0_4arch9wavefront6targetE1EEEvT1_
    .private_segment_fixed_size: 0
    .sgpr_count:     6
    .sgpr_spill_count: 0
    .symbol:         _ZN7rocprim17ROCPRIM_400000_NS6detail17trampoline_kernelINS0_14default_configENS1_25partition_config_selectorILNS1_17partition_subalgoE1EtNS0_10empty_typeEbEEZZNS1_14partition_implILS5_1ELb0ES3_jN6thrust23THRUST_200600_302600_NS6detail15normal_iteratorINSA_10device_ptrItEEEEPS6_NSA_18transform_iteratorI7is_evenItESF_NSA_11use_defaultESK_EENS0_5tupleIJNSA_16discard_iteratorISK_EESO_EEENSM_IJSG_SG_EEES6_PlJS6_EEE10hipError_tPvRmT3_T4_T5_T6_T7_T9_mT8_P12ihipStream_tbDpT10_ENKUlT_T0_E_clISt17integral_constantIbLb1EES1A_IbLb0EEEEDaS16_S17_EUlS16_E_NS1_11comp_targetILNS1_3genE10ELNS1_11target_archE1200ELNS1_3gpuE4ELNS1_3repE0EEENS1_30default_config_static_selectorELNS0_4arch9wavefront6targetE1EEEvT1_.kd
    .uniform_work_group_size: 1
    .uses_dynamic_stack: false
    .vgpr_count:     0
    .vgpr_spill_count: 0
    .wavefront_size: 64
  - .agpr_count:     0
    .args:
      - .offset:         0
        .size:           144
        .value_kind:     by_value
    .group_segment_fixed_size: 0
    .kernarg_segment_align: 8
    .kernarg_segment_size: 144
    .language:       OpenCL C
    .language_version:
      - 2
      - 0
    .max_flat_workgroup_size: 128
    .name:           _ZN7rocprim17ROCPRIM_400000_NS6detail17trampoline_kernelINS0_14default_configENS1_25partition_config_selectorILNS1_17partition_subalgoE1EtNS0_10empty_typeEbEEZZNS1_14partition_implILS5_1ELb0ES3_jN6thrust23THRUST_200600_302600_NS6detail15normal_iteratorINSA_10device_ptrItEEEEPS6_NSA_18transform_iteratorI7is_evenItESF_NSA_11use_defaultESK_EENS0_5tupleIJNSA_16discard_iteratorISK_EESO_EEENSM_IJSG_SG_EEES6_PlJS6_EEE10hipError_tPvRmT3_T4_T5_T6_T7_T9_mT8_P12ihipStream_tbDpT10_ENKUlT_T0_E_clISt17integral_constantIbLb1EES1A_IbLb0EEEEDaS16_S17_EUlS16_E_NS1_11comp_targetILNS1_3genE9ELNS1_11target_archE1100ELNS1_3gpuE3ELNS1_3repE0EEENS1_30default_config_static_selectorELNS0_4arch9wavefront6targetE1EEEvT1_
    .private_segment_fixed_size: 0
    .sgpr_count:     6
    .sgpr_spill_count: 0
    .symbol:         _ZN7rocprim17ROCPRIM_400000_NS6detail17trampoline_kernelINS0_14default_configENS1_25partition_config_selectorILNS1_17partition_subalgoE1EtNS0_10empty_typeEbEEZZNS1_14partition_implILS5_1ELb0ES3_jN6thrust23THRUST_200600_302600_NS6detail15normal_iteratorINSA_10device_ptrItEEEEPS6_NSA_18transform_iteratorI7is_evenItESF_NSA_11use_defaultESK_EENS0_5tupleIJNSA_16discard_iteratorISK_EESO_EEENSM_IJSG_SG_EEES6_PlJS6_EEE10hipError_tPvRmT3_T4_T5_T6_T7_T9_mT8_P12ihipStream_tbDpT10_ENKUlT_T0_E_clISt17integral_constantIbLb1EES1A_IbLb0EEEEDaS16_S17_EUlS16_E_NS1_11comp_targetILNS1_3genE9ELNS1_11target_archE1100ELNS1_3gpuE3ELNS1_3repE0EEENS1_30default_config_static_selectorELNS0_4arch9wavefront6targetE1EEEvT1_.kd
    .uniform_work_group_size: 1
    .uses_dynamic_stack: false
    .vgpr_count:     0
    .vgpr_spill_count: 0
    .wavefront_size: 64
  - .agpr_count:     0
    .args:
      - .offset:         0
        .size:           144
        .value_kind:     by_value
    .group_segment_fixed_size: 0
    .kernarg_segment_align: 8
    .kernarg_segment_size: 144
    .language:       OpenCL C
    .language_version:
      - 2
      - 0
    .max_flat_workgroup_size: 512
    .name:           _ZN7rocprim17ROCPRIM_400000_NS6detail17trampoline_kernelINS0_14default_configENS1_25partition_config_selectorILNS1_17partition_subalgoE1EtNS0_10empty_typeEbEEZZNS1_14partition_implILS5_1ELb0ES3_jN6thrust23THRUST_200600_302600_NS6detail15normal_iteratorINSA_10device_ptrItEEEEPS6_NSA_18transform_iteratorI7is_evenItESF_NSA_11use_defaultESK_EENS0_5tupleIJNSA_16discard_iteratorISK_EESO_EEENSM_IJSG_SG_EEES6_PlJS6_EEE10hipError_tPvRmT3_T4_T5_T6_T7_T9_mT8_P12ihipStream_tbDpT10_ENKUlT_T0_E_clISt17integral_constantIbLb1EES1A_IbLb0EEEEDaS16_S17_EUlS16_E_NS1_11comp_targetILNS1_3genE8ELNS1_11target_archE1030ELNS1_3gpuE2ELNS1_3repE0EEENS1_30default_config_static_selectorELNS0_4arch9wavefront6targetE1EEEvT1_
    .private_segment_fixed_size: 0
    .sgpr_count:     6
    .sgpr_spill_count: 0
    .symbol:         _ZN7rocprim17ROCPRIM_400000_NS6detail17trampoline_kernelINS0_14default_configENS1_25partition_config_selectorILNS1_17partition_subalgoE1EtNS0_10empty_typeEbEEZZNS1_14partition_implILS5_1ELb0ES3_jN6thrust23THRUST_200600_302600_NS6detail15normal_iteratorINSA_10device_ptrItEEEEPS6_NSA_18transform_iteratorI7is_evenItESF_NSA_11use_defaultESK_EENS0_5tupleIJNSA_16discard_iteratorISK_EESO_EEENSM_IJSG_SG_EEES6_PlJS6_EEE10hipError_tPvRmT3_T4_T5_T6_T7_T9_mT8_P12ihipStream_tbDpT10_ENKUlT_T0_E_clISt17integral_constantIbLb1EES1A_IbLb0EEEEDaS16_S17_EUlS16_E_NS1_11comp_targetILNS1_3genE8ELNS1_11target_archE1030ELNS1_3gpuE2ELNS1_3repE0EEENS1_30default_config_static_selectorELNS0_4arch9wavefront6targetE1EEEvT1_.kd
    .uniform_work_group_size: 1
    .uses_dynamic_stack: false
    .vgpr_count:     0
    .vgpr_spill_count: 0
    .wavefront_size: 64
  - .agpr_count:     0
    .args:
      - .offset:         0
        .size:           160
        .value_kind:     by_value
    .group_segment_fixed_size: 0
    .kernarg_segment_align: 8
    .kernarg_segment_size: 160
    .language:       OpenCL C
    .language_version:
      - 2
      - 0
    .max_flat_workgroup_size: 256
    .name:           _ZN7rocprim17ROCPRIM_400000_NS6detail17trampoline_kernelINS0_14default_configENS1_25partition_config_selectorILNS1_17partition_subalgoE1EtNS0_10empty_typeEbEEZZNS1_14partition_implILS5_1ELb0ES3_jN6thrust23THRUST_200600_302600_NS6detail15normal_iteratorINSA_10device_ptrItEEEEPS6_NSA_18transform_iteratorI7is_evenItESF_NSA_11use_defaultESK_EENS0_5tupleIJNSA_16discard_iteratorISK_EESO_EEENSM_IJSG_SG_EEES6_PlJS6_EEE10hipError_tPvRmT3_T4_T5_T6_T7_T9_mT8_P12ihipStream_tbDpT10_ENKUlT_T0_E_clISt17integral_constantIbLb0EES1A_IbLb1EEEEDaS16_S17_EUlS16_E_NS1_11comp_targetILNS1_3genE0ELNS1_11target_archE4294967295ELNS1_3gpuE0ELNS1_3repE0EEENS1_30default_config_static_selectorELNS0_4arch9wavefront6targetE1EEEvT1_
    .private_segment_fixed_size: 0
    .sgpr_count:     6
    .sgpr_spill_count: 0
    .symbol:         _ZN7rocprim17ROCPRIM_400000_NS6detail17trampoline_kernelINS0_14default_configENS1_25partition_config_selectorILNS1_17partition_subalgoE1EtNS0_10empty_typeEbEEZZNS1_14partition_implILS5_1ELb0ES3_jN6thrust23THRUST_200600_302600_NS6detail15normal_iteratorINSA_10device_ptrItEEEEPS6_NSA_18transform_iteratorI7is_evenItESF_NSA_11use_defaultESK_EENS0_5tupleIJNSA_16discard_iteratorISK_EESO_EEENSM_IJSG_SG_EEES6_PlJS6_EEE10hipError_tPvRmT3_T4_T5_T6_T7_T9_mT8_P12ihipStream_tbDpT10_ENKUlT_T0_E_clISt17integral_constantIbLb0EES1A_IbLb1EEEEDaS16_S17_EUlS16_E_NS1_11comp_targetILNS1_3genE0ELNS1_11target_archE4294967295ELNS1_3gpuE0ELNS1_3repE0EEENS1_30default_config_static_selectorELNS0_4arch9wavefront6targetE1EEEvT1_.kd
    .uniform_work_group_size: 1
    .uses_dynamic_stack: false
    .vgpr_count:     0
    .vgpr_spill_count: 0
    .wavefront_size: 64
  - .agpr_count:     0
    .args:
      - .offset:         0
        .size:           160
        .value_kind:     by_value
    .group_segment_fixed_size: 28680
    .kernarg_segment_align: 8
    .kernarg_segment_size: 160
    .language:       OpenCL C
    .language_version:
      - 2
      - 0
    .max_flat_workgroup_size: 512
    .name:           _ZN7rocprim17ROCPRIM_400000_NS6detail17trampoline_kernelINS0_14default_configENS1_25partition_config_selectorILNS1_17partition_subalgoE1EtNS0_10empty_typeEbEEZZNS1_14partition_implILS5_1ELb0ES3_jN6thrust23THRUST_200600_302600_NS6detail15normal_iteratorINSA_10device_ptrItEEEEPS6_NSA_18transform_iteratorI7is_evenItESF_NSA_11use_defaultESK_EENS0_5tupleIJNSA_16discard_iteratorISK_EESO_EEENSM_IJSG_SG_EEES6_PlJS6_EEE10hipError_tPvRmT3_T4_T5_T6_T7_T9_mT8_P12ihipStream_tbDpT10_ENKUlT_T0_E_clISt17integral_constantIbLb0EES1A_IbLb1EEEEDaS16_S17_EUlS16_E_NS1_11comp_targetILNS1_3genE5ELNS1_11target_archE942ELNS1_3gpuE9ELNS1_3repE0EEENS1_30default_config_static_selectorELNS0_4arch9wavefront6targetE1EEEvT1_
    .private_segment_fixed_size: 0
    .sgpr_count:     42
    .sgpr_spill_count: 0
    .symbol:         _ZN7rocprim17ROCPRIM_400000_NS6detail17trampoline_kernelINS0_14default_configENS1_25partition_config_selectorILNS1_17partition_subalgoE1EtNS0_10empty_typeEbEEZZNS1_14partition_implILS5_1ELb0ES3_jN6thrust23THRUST_200600_302600_NS6detail15normal_iteratorINSA_10device_ptrItEEEEPS6_NSA_18transform_iteratorI7is_evenItESF_NSA_11use_defaultESK_EENS0_5tupleIJNSA_16discard_iteratorISK_EESO_EEENSM_IJSG_SG_EEES6_PlJS6_EEE10hipError_tPvRmT3_T4_T5_T6_T7_T9_mT8_P12ihipStream_tbDpT10_ENKUlT_T0_E_clISt17integral_constantIbLb0EES1A_IbLb1EEEEDaS16_S17_EUlS16_E_NS1_11comp_targetILNS1_3genE5ELNS1_11target_archE942ELNS1_3gpuE9ELNS1_3repE0EEENS1_30default_config_static_selectorELNS0_4arch9wavefront6targetE1EEEvT1_.kd
    .uniform_work_group_size: 1
    .uses_dynamic_stack: false
    .vgpr_count:     80
    .vgpr_spill_count: 0
    .wavefront_size: 64
  - .agpr_count:     0
    .args:
      - .offset:         0
        .size:           160
        .value_kind:     by_value
    .group_segment_fixed_size: 0
    .kernarg_segment_align: 8
    .kernarg_segment_size: 160
    .language:       OpenCL C
    .language_version:
      - 2
      - 0
    .max_flat_workgroup_size: 256
    .name:           _ZN7rocprim17ROCPRIM_400000_NS6detail17trampoline_kernelINS0_14default_configENS1_25partition_config_selectorILNS1_17partition_subalgoE1EtNS0_10empty_typeEbEEZZNS1_14partition_implILS5_1ELb0ES3_jN6thrust23THRUST_200600_302600_NS6detail15normal_iteratorINSA_10device_ptrItEEEEPS6_NSA_18transform_iteratorI7is_evenItESF_NSA_11use_defaultESK_EENS0_5tupleIJNSA_16discard_iteratorISK_EESO_EEENSM_IJSG_SG_EEES6_PlJS6_EEE10hipError_tPvRmT3_T4_T5_T6_T7_T9_mT8_P12ihipStream_tbDpT10_ENKUlT_T0_E_clISt17integral_constantIbLb0EES1A_IbLb1EEEEDaS16_S17_EUlS16_E_NS1_11comp_targetILNS1_3genE4ELNS1_11target_archE910ELNS1_3gpuE8ELNS1_3repE0EEENS1_30default_config_static_selectorELNS0_4arch9wavefront6targetE1EEEvT1_
    .private_segment_fixed_size: 0
    .sgpr_count:     6
    .sgpr_spill_count: 0
    .symbol:         _ZN7rocprim17ROCPRIM_400000_NS6detail17trampoline_kernelINS0_14default_configENS1_25partition_config_selectorILNS1_17partition_subalgoE1EtNS0_10empty_typeEbEEZZNS1_14partition_implILS5_1ELb0ES3_jN6thrust23THRUST_200600_302600_NS6detail15normal_iteratorINSA_10device_ptrItEEEEPS6_NSA_18transform_iteratorI7is_evenItESF_NSA_11use_defaultESK_EENS0_5tupleIJNSA_16discard_iteratorISK_EESO_EEENSM_IJSG_SG_EEES6_PlJS6_EEE10hipError_tPvRmT3_T4_T5_T6_T7_T9_mT8_P12ihipStream_tbDpT10_ENKUlT_T0_E_clISt17integral_constantIbLb0EES1A_IbLb1EEEEDaS16_S17_EUlS16_E_NS1_11comp_targetILNS1_3genE4ELNS1_11target_archE910ELNS1_3gpuE8ELNS1_3repE0EEENS1_30default_config_static_selectorELNS0_4arch9wavefront6targetE1EEEvT1_.kd
    .uniform_work_group_size: 1
    .uses_dynamic_stack: false
    .vgpr_count:     0
    .vgpr_spill_count: 0
    .wavefront_size: 64
  - .agpr_count:     0
    .args:
      - .offset:         0
        .size:           160
        .value_kind:     by_value
    .group_segment_fixed_size: 0
    .kernarg_segment_align: 8
    .kernarg_segment_size: 160
    .language:       OpenCL C
    .language_version:
      - 2
      - 0
    .max_flat_workgroup_size: 256
    .name:           _ZN7rocprim17ROCPRIM_400000_NS6detail17trampoline_kernelINS0_14default_configENS1_25partition_config_selectorILNS1_17partition_subalgoE1EtNS0_10empty_typeEbEEZZNS1_14partition_implILS5_1ELb0ES3_jN6thrust23THRUST_200600_302600_NS6detail15normal_iteratorINSA_10device_ptrItEEEEPS6_NSA_18transform_iteratorI7is_evenItESF_NSA_11use_defaultESK_EENS0_5tupleIJNSA_16discard_iteratorISK_EESO_EEENSM_IJSG_SG_EEES6_PlJS6_EEE10hipError_tPvRmT3_T4_T5_T6_T7_T9_mT8_P12ihipStream_tbDpT10_ENKUlT_T0_E_clISt17integral_constantIbLb0EES1A_IbLb1EEEEDaS16_S17_EUlS16_E_NS1_11comp_targetILNS1_3genE3ELNS1_11target_archE908ELNS1_3gpuE7ELNS1_3repE0EEENS1_30default_config_static_selectorELNS0_4arch9wavefront6targetE1EEEvT1_
    .private_segment_fixed_size: 0
    .sgpr_count:     6
    .sgpr_spill_count: 0
    .symbol:         _ZN7rocprim17ROCPRIM_400000_NS6detail17trampoline_kernelINS0_14default_configENS1_25partition_config_selectorILNS1_17partition_subalgoE1EtNS0_10empty_typeEbEEZZNS1_14partition_implILS5_1ELb0ES3_jN6thrust23THRUST_200600_302600_NS6detail15normal_iteratorINSA_10device_ptrItEEEEPS6_NSA_18transform_iteratorI7is_evenItESF_NSA_11use_defaultESK_EENS0_5tupleIJNSA_16discard_iteratorISK_EESO_EEENSM_IJSG_SG_EEES6_PlJS6_EEE10hipError_tPvRmT3_T4_T5_T6_T7_T9_mT8_P12ihipStream_tbDpT10_ENKUlT_T0_E_clISt17integral_constantIbLb0EES1A_IbLb1EEEEDaS16_S17_EUlS16_E_NS1_11comp_targetILNS1_3genE3ELNS1_11target_archE908ELNS1_3gpuE7ELNS1_3repE0EEENS1_30default_config_static_selectorELNS0_4arch9wavefront6targetE1EEEvT1_.kd
    .uniform_work_group_size: 1
    .uses_dynamic_stack: false
    .vgpr_count:     0
    .vgpr_spill_count: 0
    .wavefront_size: 64
  - .agpr_count:     0
    .args:
      - .offset:         0
        .size:           160
        .value_kind:     by_value
    .group_segment_fixed_size: 0
    .kernarg_segment_align: 8
    .kernarg_segment_size: 160
    .language:       OpenCL C
    .language_version:
      - 2
      - 0
    .max_flat_workgroup_size: 256
    .name:           _ZN7rocprim17ROCPRIM_400000_NS6detail17trampoline_kernelINS0_14default_configENS1_25partition_config_selectorILNS1_17partition_subalgoE1EtNS0_10empty_typeEbEEZZNS1_14partition_implILS5_1ELb0ES3_jN6thrust23THRUST_200600_302600_NS6detail15normal_iteratorINSA_10device_ptrItEEEEPS6_NSA_18transform_iteratorI7is_evenItESF_NSA_11use_defaultESK_EENS0_5tupleIJNSA_16discard_iteratorISK_EESO_EEENSM_IJSG_SG_EEES6_PlJS6_EEE10hipError_tPvRmT3_T4_T5_T6_T7_T9_mT8_P12ihipStream_tbDpT10_ENKUlT_T0_E_clISt17integral_constantIbLb0EES1A_IbLb1EEEEDaS16_S17_EUlS16_E_NS1_11comp_targetILNS1_3genE2ELNS1_11target_archE906ELNS1_3gpuE6ELNS1_3repE0EEENS1_30default_config_static_selectorELNS0_4arch9wavefront6targetE1EEEvT1_
    .private_segment_fixed_size: 0
    .sgpr_count:     6
    .sgpr_spill_count: 0
    .symbol:         _ZN7rocprim17ROCPRIM_400000_NS6detail17trampoline_kernelINS0_14default_configENS1_25partition_config_selectorILNS1_17partition_subalgoE1EtNS0_10empty_typeEbEEZZNS1_14partition_implILS5_1ELb0ES3_jN6thrust23THRUST_200600_302600_NS6detail15normal_iteratorINSA_10device_ptrItEEEEPS6_NSA_18transform_iteratorI7is_evenItESF_NSA_11use_defaultESK_EENS0_5tupleIJNSA_16discard_iteratorISK_EESO_EEENSM_IJSG_SG_EEES6_PlJS6_EEE10hipError_tPvRmT3_T4_T5_T6_T7_T9_mT8_P12ihipStream_tbDpT10_ENKUlT_T0_E_clISt17integral_constantIbLb0EES1A_IbLb1EEEEDaS16_S17_EUlS16_E_NS1_11comp_targetILNS1_3genE2ELNS1_11target_archE906ELNS1_3gpuE6ELNS1_3repE0EEENS1_30default_config_static_selectorELNS0_4arch9wavefront6targetE1EEEvT1_.kd
    .uniform_work_group_size: 1
    .uses_dynamic_stack: false
    .vgpr_count:     0
    .vgpr_spill_count: 0
    .wavefront_size: 64
  - .agpr_count:     0
    .args:
      - .offset:         0
        .size:           160
        .value_kind:     by_value
    .group_segment_fixed_size: 0
    .kernarg_segment_align: 8
    .kernarg_segment_size: 160
    .language:       OpenCL C
    .language_version:
      - 2
      - 0
    .max_flat_workgroup_size: 384
    .name:           _ZN7rocprim17ROCPRIM_400000_NS6detail17trampoline_kernelINS0_14default_configENS1_25partition_config_selectorILNS1_17partition_subalgoE1EtNS0_10empty_typeEbEEZZNS1_14partition_implILS5_1ELb0ES3_jN6thrust23THRUST_200600_302600_NS6detail15normal_iteratorINSA_10device_ptrItEEEEPS6_NSA_18transform_iteratorI7is_evenItESF_NSA_11use_defaultESK_EENS0_5tupleIJNSA_16discard_iteratorISK_EESO_EEENSM_IJSG_SG_EEES6_PlJS6_EEE10hipError_tPvRmT3_T4_T5_T6_T7_T9_mT8_P12ihipStream_tbDpT10_ENKUlT_T0_E_clISt17integral_constantIbLb0EES1A_IbLb1EEEEDaS16_S17_EUlS16_E_NS1_11comp_targetILNS1_3genE10ELNS1_11target_archE1200ELNS1_3gpuE4ELNS1_3repE0EEENS1_30default_config_static_selectorELNS0_4arch9wavefront6targetE1EEEvT1_
    .private_segment_fixed_size: 0
    .sgpr_count:     6
    .sgpr_spill_count: 0
    .symbol:         _ZN7rocprim17ROCPRIM_400000_NS6detail17trampoline_kernelINS0_14default_configENS1_25partition_config_selectorILNS1_17partition_subalgoE1EtNS0_10empty_typeEbEEZZNS1_14partition_implILS5_1ELb0ES3_jN6thrust23THRUST_200600_302600_NS6detail15normal_iteratorINSA_10device_ptrItEEEEPS6_NSA_18transform_iteratorI7is_evenItESF_NSA_11use_defaultESK_EENS0_5tupleIJNSA_16discard_iteratorISK_EESO_EEENSM_IJSG_SG_EEES6_PlJS6_EEE10hipError_tPvRmT3_T4_T5_T6_T7_T9_mT8_P12ihipStream_tbDpT10_ENKUlT_T0_E_clISt17integral_constantIbLb0EES1A_IbLb1EEEEDaS16_S17_EUlS16_E_NS1_11comp_targetILNS1_3genE10ELNS1_11target_archE1200ELNS1_3gpuE4ELNS1_3repE0EEENS1_30default_config_static_selectorELNS0_4arch9wavefront6targetE1EEEvT1_.kd
    .uniform_work_group_size: 1
    .uses_dynamic_stack: false
    .vgpr_count:     0
    .vgpr_spill_count: 0
    .wavefront_size: 64
  - .agpr_count:     0
    .args:
      - .offset:         0
        .size:           160
        .value_kind:     by_value
    .group_segment_fixed_size: 0
    .kernarg_segment_align: 8
    .kernarg_segment_size: 160
    .language:       OpenCL C
    .language_version:
      - 2
      - 0
    .max_flat_workgroup_size: 128
    .name:           _ZN7rocprim17ROCPRIM_400000_NS6detail17trampoline_kernelINS0_14default_configENS1_25partition_config_selectorILNS1_17partition_subalgoE1EtNS0_10empty_typeEbEEZZNS1_14partition_implILS5_1ELb0ES3_jN6thrust23THRUST_200600_302600_NS6detail15normal_iteratorINSA_10device_ptrItEEEEPS6_NSA_18transform_iteratorI7is_evenItESF_NSA_11use_defaultESK_EENS0_5tupleIJNSA_16discard_iteratorISK_EESO_EEENSM_IJSG_SG_EEES6_PlJS6_EEE10hipError_tPvRmT3_T4_T5_T6_T7_T9_mT8_P12ihipStream_tbDpT10_ENKUlT_T0_E_clISt17integral_constantIbLb0EES1A_IbLb1EEEEDaS16_S17_EUlS16_E_NS1_11comp_targetILNS1_3genE9ELNS1_11target_archE1100ELNS1_3gpuE3ELNS1_3repE0EEENS1_30default_config_static_selectorELNS0_4arch9wavefront6targetE1EEEvT1_
    .private_segment_fixed_size: 0
    .sgpr_count:     6
    .sgpr_spill_count: 0
    .symbol:         _ZN7rocprim17ROCPRIM_400000_NS6detail17trampoline_kernelINS0_14default_configENS1_25partition_config_selectorILNS1_17partition_subalgoE1EtNS0_10empty_typeEbEEZZNS1_14partition_implILS5_1ELb0ES3_jN6thrust23THRUST_200600_302600_NS6detail15normal_iteratorINSA_10device_ptrItEEEEPS6_NSA_18transform_iteratorI7is_evenItESF_NSA_11use_defaultESK_EENS0_5tupleIJNSA_16discard_iteratorISK_EESO_EEENSM_IJSG_SG_EEES6_PlJS6_EEE10hipError_tPvRmT3_T4_T5_T6_T7_T9_mT8_P12ihipStream_tbDpT10_ENKUlT_T0_E_clISt17integral_constantIbLb0EES1A_IbLb1EEEEDaS16_S17_EUlS16_E_NS1_11comp_targetILNS1_3genE9ELNS1_11target_archE1100ELNS1_3gpuE3ELNS1_3repE0EEENS1_30default_config_static_selectorELNS0_4arch9wavefront6targetE1EEEvT1_.kd
    .uniform_work_group_size: 1
    .uses_dynamic_stack: false
    .vgpr_count:     0
    .vgpr_spill_count: 0
    .wavefront_size: 64
  - .agpr_count:     0
    .args:
      - .offset:         0
        .size:           160
        .value_kind:     by_value
    .group_segment_fixed_size: 0
    .kernarg_segment_align: 8
    .kernarg_segment_size: 160
    .language:       OpenCL C
    .language_version:
      - 2
      - 0
    .max_flat_workgroup_size: 512
    .name:           _ZN7rocprim17ROCPRIM_400000_NS6detail17trampoline_kernelINS0_14default_configENS1_25partition_config_selectorILNS1_17partition_subalgoE1EtNS0_10empty_typeEbEEZZNS1_14partition_implILS5_1ELb0ES3_jN6thrust23THRUST_200600_302600_NS6detail15normal_iteratorINSA_10device_ptrItEEEEPS6_NSA_18transform_iteratorI7is_evenItESF_NSA_11use_defaultESK_EENS0_5tupleIJNSA_16discard_iteratorISK_EESO_EEENSM_IJSG_SG_EEES6_PlJS6_EEE10hipError_tPvRmT3_T4_T5_T6_T7_T9_mT8_P12ihipStream_tbDpT10_ENKUlT_T0_E_clISt17integral_constantIbLb0EES1A_IbLb1EEEEDaS16_S17_EUlS16_E_NS1_11comp_targetILNS1_3genE8ELNS1_11target_archE1030ELNS1_3gpuE2ELNS1_3repE0EEENS1_30default_config_static_selectorELNS0_4arch9wavefront6targetE1EEEvT1_
    .private_segment_fixed_size: 0
    .sgpr_count:     6
    .sgpr_spill_count: 0
    .symbol:         _ZN7rocprim17ROCPRIM_400000_NS6detail17trampoline_kernelINS0_14default_configENS1_25partition_config_selectorILNS1_17partition_subalgoE1EtNS0_10empty_typeEbEEZZNS1_14partition_implILS5_1ELb0ES3_jN6thrust23THRUST_200600_302600_NS6detail15normal_iteratorINSA_10device_ptrItEEEEPS6_NSA_18transform_iteratorI7is_evenItESF_NSA_11use_defaultESK_EENS0_5tupleIJNSA_16discard_iteratorISK_EESO_EEENSM_IJSG_SG_EEES6_PlJS6_EEE10hipError_tPvRmT3_T4_T5_T6_T7_T9_mT8_P12ihipStream_tbDpT10_ENKUlT_T0_E_clISt17integral_constantIbLb0EES1A_IbLb1EEEEDaS16_S17_EUlS16_E_NS1_11comp_targetILNS1_3genE8ELNS1_11target_archE1030ELNS1_3gpuE2ELNS1_3repE0EEENS1_30default_config_static_selectorELNS0_4arch9wavefront6targetE1EEEvT1_.kd
    .uniform_work_group_size: 1
    .uses_dynamic_stack: false
    .vgpr_count:     0
    .vgpr_spill_count: 0
    .wavefront_size: 64
  - .agpr_count:     0
    .args:
      - .offset:         0
        .size:           136
        .value_kind:     by_value
    .group_segment_fixed_size: 0
    .kernarg_segment_align: 8
    .kernarg_segment_size: 136
    .language:       OpenCL C
    .language_version:
      - 2
      - 0
    .max_flat_workgroup_size: 256
    .name:           _ZN7rocprim17ROCPRIM_400000_NS6detail17trampoline_kernelINS0_14default_configENS1_25partition_config_selectorILNS1_17partition_subalgoE1EtNS0_10empty_typeEbEEZZNS1_14partition_implILS5_1ELb0ES3_jN6thrust23THRUST_200600_302600_NS6detail15normal_iteratorINSA_10device_ptrItEEEEPS6_NSA_18transform_iteratorI7is_evenItESF_NSA_11use_defaultESK_EENS0_5tupleIJSF_NSA_16discard_iteratorISK_EEEEENSM_IJSG_SG_EEES6_PlJS6_EEE10hipError_tPvRmT3_T4_T5_T6_T7_T9_mT8_P12ihipStream_tbDpT10_ENKUlT_T0_E_clISt17integral_constantIbLb0EES1B_EEDaS16_S17_EUlS16_E_NS1_11comp_targetILNS1_3genE0ELNS1_11target_archE4294967295ELNS1_3gpuE0ELNS1_3repE0EEENS1_30default_config_static_selectorELNS0_4arch9wavefront6targetE1EEEvT1_
    .private_segment_fixed_size: 0
    .sgpr_count:     6
    .sgpr_spill_count: 0
    .symbol:         _ZN7rocprim17ROCPRIM_400000_NS6detail17trampoline_kernelINS0_14default_configENS1_25partition_config_selectorILNS1_17partition_subalgoE1EtNS0_10empty_typeEbEEZZNS1_14partition_implILS5_1ELb0ES3_jN6thrust23THRUST_200600_302600_NS6detail15normal_iteratorINSA_10device_ptrItEEEEPS6_NSA_18transform_iteratorI7is_evenItESF_NSA_11use_defaultESK_EENS0_5tupleIJSF_NSA_16discard_iteratorISK_EEEEENSM_IJSG_SG_EEES6_PlJS6_EEE10hipError_tPvRmT3_T4_T5_T6_T7_T9_mT8_P12ihipStream_tbDpT10_ENKUlT_T0_E_clISt17integral_constantIbLb0EES1B_EEDaS16_S17_EUlS16_E_NS1_11comp_targetILNS1_3genE0ELNS1_11target_archE4294967295ELNS1_3gpuE0ELNS1_3repE0EEENS1_30default_config_static_selectorELNS0_4arch9wavefront6targetE1EEEvT1_.kd
    .uniform_work_group_size: 1
    .uses_dynamic_stack: false
    .vgpr_count:     0
    .vgpr_spill_count: 0
    .wavefront_size: 64
  - .agpr_count:     0
    .args:
      - .offset:         0
        .size:           136
        .value_kind:     by_value
    .group_segment_fixed_size: 28680
    .kernarg_segment_align: 8
    .kernarg_segment_size: 136
    .language:       OpenCL C
    .language_version:
      - 2
      - 0
    .max_flat_workgroup_size: 512
    .name:           _ZN7rocprim17ROCPRIM_400000_NS6detail17trampoline_kernelINS0_14default_configENS1_25partition_config_selectorILNS1_17partition_subalgoE1EtNS0_10empty_typeEbEEZZNS1_14partition_implILS5_1ELb0ES3_jN6thrust23THRUST_200600_302600_NS6detail15normal_iteratorINSA_10device_ptrItEEEEPS6_NSA_18transform_iteratorI7is_evenItESF_NSA_11use_defaultESK_EENS0_5tupleIJSF_NSA_16discard_iteratorISK_EEEEENSM_IJSG_SG_EEES6_PlJS6_EEE10hipError_tPvRmT3_T4_T5_T6_T7_T9_mT8_P12ihipStream_tbDpT10_ENKUlT_T0_E_clISt17integral_constantIbLb0EES1B_EEDaS16_S17_EUlS16_E_NS1_11comp_targetILNS1_3genE5ELNS1_11target_archE942ELNS1_3gpuE9ELNS1_3repE0EEENS1_30default_config_static_selectorELNS0_4arch9wavefront6targetE1EEEvT1_
    .private_segment_fixed_size: 0
    .sgpr_count:     46
    .sgpr_spill_count: 0
    .symbol:         _ZN7rocprim17ROCPRIM_400000_NS6detail17trampoline_kernelINS0_14default_configENS1_25partition_config_selectorILNS1_17partition_subalgoE1EtNS0_10empty_typeEbEEZZNS1_14partition_implILS5_1ELb0ES3_jN6thrust23THRUST_200600_302600_NS6detail15normal_iteratorINSA_10device_ptrItEEEEPS6_NSA_18transform_iteratorI7is_evenItESF_NSA_11use_defaultESK_EENS0_5tupleIJSF_NSA_16discard_iteratorISK_EEEEENSM_IJSG_SG_EEES6_PlJS6_EEE10hipError_tPvRmT3_T4_T5_T6_T7_T9_mT8_P12ihipStream_tbDpT10_ENKUlT_T0_E_clISt17integral_constantIbLb0EES1B_EEDaS16_S17_EUlS16_E_NS1_11comp_targetILNS1_3genE5ELNS1_11target_archE942ELNS1_3gpuE9ELNS1_3repE0EEENS1_30default_config_static_selectorELNS0_4arch9wavefront6targetE1EEEvT1_.kd
    .uniform_work_group_size: 1
    .uses_dynamic_stack: false
    .vgpr_count:     79
    .vgpr_spill_count: 0
    .wavefront_size: 64
  - .agpr_count:     0
    .args:
      - .offset:         0
        .size:           136
        .value_kind:     by_value
    .group_segment_fixed_size: 0
    .kernarg_segment_align: 8
    .kernarg_segment_size: 136
    .language:       OpenCL C
    .language_version:
      - 2
      - 0
    .max_flat_workgroup_size: 256
    .name:           _ZN7rocprim17ROCPRIM_400000_NS6detail17trampoline_kernelINS0_14default_configENS1_25partition_config_selectorILNS1_17partition_subalgoE1EtNS0_10empty_typeEbEEZZNS1_14partition_implILS5_1ELb0ES3_jN6thrust23THRUST_200600_302600_NS6detail15normal_iteratorINSA_10device_ptrItEEEEPS6_NSA_18transform_iteratorI7is_evenItESF_NSA_11use_defaultESK_EENS0_5tupleIJSF_NSA_16discard_iteratorISK_EEEEENSM_IJSG_SG_EEES6_PlJS6_EEE10hipError_tPvRmT3_T4_T5_T6_T7_T9_mT8_P12ihipStream_tbDpT10_ENKUlT_T0_E_clISt17integral_constantIbLb0EES1B_EEDaS16_S17_EUlS16_E_NS1_11comp_targetILNS1_3genE4ELNS1_11target_archE910ELNS1_3gpuE8ELNS1_3repE0EEENS1_30default_config_static_selectorELNS0_4arch9wavefront6targetE1EEEvT1_
    .private_segment_fixed_size: 0
    .sgpr_count:     6
    .sgpr_spill_count: 0
    .symbol:         _ZN7rocprim17ROCPRIM_400000_NS6detail17trampoline_kernelINS0_14default_configENS1_25partition_config_selectorILNS1_17partition_subalgoE1EtNS0_10empty_typeEbEEZZNS1_14partition_implILS5_1ELb0ES3_jN6thrust23THRUST_200600_302600_NS6detail15normal_iteratorINSA_10device_ptrItEEEEPS6_NSA_18transform_iteratorI7is_evenItESF_NSA_11use_defaultESK_EENS0_5tupleIJSF_NSA_16discard_iteratorISK_EEEEENSM_IJSG_SG_EEES6_PlJS6_EEE10hipError_tPvRmT3_T4_T5_T6_T7_T9_mT8_P12ihipStream_tbDpT10_ENKUlT_T0_E_clISt17integral_constantIbLb0EES1B_EEDaS16_S17_EUlS16_E_NS1_11comp_targetILNS1_3genE4ELNS1_11target_archE910ELNS1_3gpuE8ELNS1_3repE0EEENS1_30default_config_static_selectorELNS0_4arch9wavefront6targetE1EEEvT1_.kd
    .uniform_work_group_size: 1
    .uses_dynamic_stack: false
    .vgpr_count:     0
    .vgpr_spill_count: 0
    .wavefront_size: 64
  - .agpr_count:     0
    .args:
      - .offset:         0
        .size:           136
        .value_kind:     by_value
    .group_segment_fixed_size: 0
    .kernarg_segment_align: 8
    .kernarg_segment_size: 136
    .language:       OpenCL C
    .language_version:
      - 2
      - 0
    .max_flat_workgroup_size: 256
    .name:           _ZN7rocprim17ROCPRIM_400000_NS6detail17trampoline_kernelINS0_14default_configENS1_25partition_config_selectorILNS1_17partition_subalgoE1EtNS0_10empty_typeEbEEZZNS1_14partition_implILS5_1ELb0ES3_jN6thrust23THRUST_200600_302600_NS6detail15normal_iteratorINSA_10device_ptrItEEEEPS6_NSA_18transform_iteratorI7is_evenItESF_NSA_11use_defaultESK_EENS0_5tupleIJSF_NSA_16discard_iteratorISK_EEEEENSM_IJSG_SG_EEES6_PlJS6_EEE10hipError_tPvRmT3_T4_T5_T6_T7_T9_mT8_P12ihipStream_tbDpT10_ENKUlT_T0_E_clISt17integral_constantIbLb0EES1B_EEDaS16_S17_EUlS16_E_NS1_11comp_targetILNS1_3genE3ELNS1_11target_archE908ELNS1_3gpuE7ELNS1_3repE0EEENS1_30default_config_static_selectorELNS0_4arch9wavefront6targetE1EEEvT1_
    .private_segment_fixed_size: 0
    .sgpr_count:     6
    .sgpr_spill_count: 0
    .symbol:         _ZN7rocprim17ROCPRIM_400000_NS6detail17trampoline_kernelINS0_14default_configENS1_25partition_config_selectorILNS1_17partition_subalgoE1EtNS0_10empty_typeEbEEZZNS1_14partition_implILS5_1ELb0ES3_jN6thrust23THRUST_200600_302600_NS6detail15normal_iteratorINSA_10device_ptrItEEEEPS6_NSA_18transform_iteratorI7is_evenItESF_NSA_11use_defaultESK_EENS0_5tupleIJSF_NSA_16discard_iteratorISK_EEEEENSM_IJSG_SG_EEES6_PlJS6_EEE10hipError_tPvRmT3_T4_T5_T6_T7_T9_mT8_P12ihipStream_tbDpT10_ENKUlT_T0_E_clISt17integral_constantIbLb0EES1B_EEDaS16_S17_EUlS16_E_NS1_11comp_targetILNS1_3genE3ELNS1_11target_archE908ELNS1_3gpuE7ELNS1_3repE0EEENS1_30default_config_static_selectorELNS0_4arch9wavefront6targetE1EEEvT1_.kd
    .uniform_work_group_size: 1
    .uses_dynamic_stack: false
    .vgpr_count:     0
    .vgpr_spill_count: 0
    .wavefront_size: 64
  - .agpr_count:     0
    .args:
      - .offset:         0
        .size:           136
        .value_kind:     by_value
    .group_segment_fixed_size: 0
    .kernarg_segment_align: 8
    .kernarg_segment_size: 136
    .language:       OpenCL C
    .language_version:
      - 2
      - 0
    .max_flat_workgroup_size: 256
    .name:           _ZN7rocprim17ROCPRIM_400000_NS6detail17trampoline_kernelINS0_14default_configENS1_25partition_config_selectorILNS1_17partition_subalgoE1EtNS0_10empty_typeEbEEZZNS1_14partition_implILS5_1ELb0ES3_jN6thrust23THRUST_200600_302600_NS6detail15normal_iteratorINSA_10device_ptrItEEEEPS6_NSA_18transform_iteratorI7is_evenItESF_NSA_11use_defaultESK_EENS0_5tupleIJSF_NSA_16discard_iteratorISK_EEEEENSM_IJSG_SG_EEES6_PlJS6_EEE10hipError_tPvRmT3_T4_T5_T6_T7_T9_mT8_P12ihipStream_tbDpT10_ENKUlT_T0_E_clISt17integral_constantIbLb0EES1B_EEDaS16_S17_EUlS16_E_NS1_11comp_targetILNS1_3genE2ELNS1_11target_archE906ELNS1_3gpuE6ELNS1_3repE0EEENS1_30default_config_static_selectorELNS0_4arch9wavefront6targetE1EEEvT1_
    .private_segment_fixed_size: 0
    .sgpr_count:     6
    .sgpr_spill_count: 0
    .symbol:         _ZN7rocprim17ROCPRIM_400000_NS6detail17trampoline_kernelINS0_14default_configENS1_25partition_config_selectorILNS1_17partition_subalgoE1EtNS0_10empty_typeEbEEZZNS1_14partition_implILS5_1ELb0ES3_jN6thrust23THRUST_200600_302600_NS6detail15normal_iteratorINSA_10device_ptrItEEEEPS6_NSA_18transform_iteratorI7is_evenItESF_NSA_11use_defaultESK_EENS0_5tupleIJSF_NSA_16discard_iteratorISK_EEEEENSM_IJSG_SG_EEES6_PlJS6_EEE10hipError_tPvRmT3_T4_T5_T6_T7_T9_mT8_P12ihipStream_tbDpT10_ENKUlT_T0_E_clISt17integral_constantIbLb0EES1B_EEDaS16_S17_EUlS16_E_NS1_11comp_targetILNS1_3genE2ELNS1_11target_archE906ELNS1_3gpuE6ELNS1_3repE0EEENS1_30default_config_static_selectorELNS0_4arch9wavefront6targetE1EEEvT1_.kd
    .uniform_work_group_size: 1
    .uses_dynamic_stack: false
    .vgpr_count:     0
    .vgpr_spill_count: 0
    .wavefront_size: 64
  - .agpr_count:     0
    .args:
      - .offset:         0
        .size:           136
        .value_kind:     by_value
    .group_segment_fixed_size: 0
    .kernarg_segment_align: 8
    .kernarg_segment_size: 136
    .language:       OpenCL C
    .language_version:
      - 2
      - 0
    .max_flat_workgroup_size: 384
    .name:           _ZN7rocprim17ROCPRIM_400000_NS6detail17trampoline_kernelINS0_14default_configENS1_25partition_config_selectorILNS1_17partition_subalgoE1EtNS0_10empty_typeEbEEZZNS1_14partition_implILS5_1ELb0ES3_jN6thrust23THRUST_200600_302600_NS6detail15normal_iteratorINSA_10device_ptrItEEEEPS6_NSA_18transform_iteratorI7is_evenItESF_NSA_11use_defaultESK_EENS0_5tupleIJSF_NSA_16discard_iteratorISK_EEEEENSM_IJSG_SG_EEES6_PlJS6_EEE10hipError_tPvRmT3_T4_T5_T6_T7_T9_mT8_P12ihipStream_tbDpT10_ENKUlT_T0_E_clISt17integral_constantIbLb0EES1B_EEDaS16_S17_EUlS16_E_NS1_11comp_targetILNS1_3genE10ELNS1_11target_archE1200ELNS1_3gpuE4ELNS1_3repE0EEENS1_30default_config_static_selectorELNS0_4arch9wavefront6targetE1EEEvT1_
    .private_segment_fixed_size: 0
    .sgpr_count:     6
    .sgpr_spill_count: 0
    .symbol:         _ZN7rocprim17ROCPRIM_400000_NS6detail17trampoline_kernelINS0_14default_configENS1_25partition_config_selectorILNS1_17partition_subalgoE1EtNS0_10empty_typeEbEEZZNS1_14partition_implILS5_1ELb0ES3_jN6thrust23THRUST_200600_302600_NS6detail15normal_iteratorINSA_10device_ptrItEEEEPS6_NSA_18transform_iteratorI7is_evenItESF_NSA_11use_defaultESK_EENS0_5tupleIJSF_NSA_16discard_iteratorISK_EEEEENSM_IJSG_SG_EEES6_PlJS6_EEE10hipError_tPvRmT3_T4_T5_T6_T7_T9_mT8_P12ihipStream_tbDpT10_ENKUlT_T0_E_clISt17integral_constantIbLb0EES1B_EEDaS16_S17_EUlS16_E_NS1_11comp_targetILNS1_3genE10ELNS1_11target_archE1200ELNS1_3gpuE4ELNS1_3repE0EEENS1_30default_config_static_selectorELNS0_4arch9wavefront6targetE1EEEvT1_.kd
    .uniform_work_group_size: 1
    .uses_dynamic_stack: false
    .vgpr_count:     0
    .vgpr_spill_count: 0
    .wavefront_size: 64
  - .agpr_count:     0
    .args:
      - .offset:         0
        .size:           136
        .value_kind:     by_value
    .group_segment_fixed_size: 0
    .kernarg_segment_align: 8
    .kernarg_segment_size: 136
    .language:       OpenCL C
    .language_version:
      - 2
      - 0
    .max_flat_workgroup_size: 128
    .name:           _ZN7rocprim17ROCPRIM_400000_NS6detail17trampoline_kernelINS0_14default_configENS1_25partition_config_selectorILNS1_17partition_subalgoE1EtNS0_10empty_typeEbEEZZNS1_14partition_implILS5_1ELb0ES3_jN6thrust23THRUST_200600_302600_NS6detail15normal_iteratorINSA_10device_ptrItEEEEPS6_NSA_18transform_iteratorI7is_evenItESF_NSA_11use_defaultESK_EENS0_5tupleIJSF_NSA_16discard_iteratorISK_EEEEENSM_IJSG_SG_EEES6_PlJS6_EEE10hipError_tPvRmT3_T4_T5_T6_T7_T9_mT8_P12ihipStream_tbDpT10_ENKUlT_T0_E_clISt17integral_constantIbLb0EES1B_EEDaS16_S17_EUlS16_E_NS1_11comp_targetILNS1_3genE9ELNS1_11target_archE1100ELNS1_3gpuE3ELNS1_3repE0EEENS1_30default_config_static_selectorELNS0_4arch9wavefront6targetE1EEEvT1_
    .private_segment_fixed_size: 0
    .sgpr_count:     6
    .sgpr_spill_count: 0
    .symbol:         _ZN7rocprim17ROCPRIM_400000_NS6detail17trampoline_kernelINS0_14default_configENS1_25partition_config_selectorILNS1_17partition_subalgoE1EtNS0_10empty_typeEbEEZZNS1_14partition_implILS5_1ELb0ES3_jN6thrust23THRUST_200600_302600_NS6detail15normal_iteratorINSA_10device_ptrItEEEEPS6_NSA_18transform_iteratorI7is_evenItESF_NSA_11use_defaultESK_EENS0_5tupleIJSF_NSA_16discard_iteratorISK_EEEEENSM_IJSG_SG_EEES6_PlJS6_EEE10hipError_tPvRmT3_T4_T5_T6_T7_T9_mT8_P12ihipStream_tbDpT10_ENKUlT_T0_E_clISt17integral_constantIbLb0EES1B_EEDaS16_S17_EUlS16_E_NS1_11comp_targetILNS1_3genE9ELNS1_11target_archE1100ELNS1_3gpuE3ELNS1_3repE0EEENS1_30default_config_static_selectorELNS0_4arch9wavefront6targetE1EEEvT1_.kd
    .uniform_work_group_size: 1
    .uses_dynamic_stack: false
    .vgpr_count:     0
    .vgpr_spill_count: 0
    .wavefront_size: 64
  - .agpr_count:     0
    .args:
      - .offset:         0
        .size:           136
        .value_kind:     by_value
    .group_segment_fixed_size: 0
    .kernarg_segment_align: 8
    .kernarg_segment_size: 136
    .language:       OpenCL C
    .language_version:
      - 2
      - 0
    .max_flat_workgroup_size: 512
    .name:           _ZN7rocprim17ROCPRIM_400000_NS6detail17trampoline_kernelINS0_14default_configENS1_25partition_config_selectorILNS1_17partition_subalgoE1EtNS0_10empty_typeEbEEZZNS1_14partition_implILS5_1ELb0ES3_jN6thrust23THRUST_200600_302600_NS6detail15normal_iteratorINSA_10device_ptrItEEEEPS6_NSA_18transform_iteratorI7is_evenItESF_NSA_11use_defaultESK_EENS0_5tupleIJSF_NSA_16discard_iteratorISK_EEEEENSM_IJSG_SG_EEES6_PlJS6_EEE10hipError_tPvRmT3_T4_T5_T6_T7_T9_mT8_P12ihipStream_tbDpT10_ENKUlT_T0_E_clISt17integral_constantIbLb0EES1B_EEDaS16_S17_EUlS16_E_NS1_11comp_targetILNS1_3genE8ELNS1_11target_archE1030ELNS1_3gpuE2ELNS1_3repE0EEENS1_30default_config_static_selectorELNS0_4arch9wavefront6targetE1EEEvT1_
    .private_segment_fixed_size: 0
    .sgpr_count:     6
    .sgpr_spill_count: 0
    .symbol:         _ZN7rocprim17ROCPRIM_400000_NS6detail17trampoline_kernelINS0_14default_configENS1_25partition_config_selectorILNS1_17partition_subalgoE1EtNS0_10empty_typeEbEEZZNS1_14partition_implILS5_1ELb0ES3_jN6thrust23THRUST_200600_302600_NS6detail15normal_iteratorINSA_10device_ptrItEEEEPS6_NSA_18transform_iteratorI7is_evenItESF_NSA_11use_defaultESK_EENS0_5tupleIJSF_NSA_16discard_iteratorISK_EEEEENSM_IJSG_SG_EEES6_PlJS6_EEE10hipError_tPvRmT3_T4_T5_T6_T7_T9_mT8_P12ihipStream_tbDpT10_ENKUlT_T0_E_clISt17integral_constantIbLb0EES1B_EEDaS16_S17_EUlS16_E_NS1_11comp_targetILNS1_3genE8ELNS1_11target_archE1030ELNS1_3gpuE2ELNS1_3repE0EEENS1_30default_config_static_selectorELNS0_4arch9wavefront6targetE1EEEvT1_.kd
    .uniform_work_group_size: 1
    .uses_dynamic_stack: false
    .vgpr_count:     0
    .vgpr_spill_count: 0
    .wavefront_size: 64
  - .agpr_count:     0
    .args:
      - .offset:         0
        .size:           152
        .value_kind:     by_value
    .group_segment_fixed_size: 0
    .kernarg_segment_align: 8
    .kernarg_segment_size: 152
    .language:       OpenCL C
    .language_version:
      - 2
      - 0
    .max_flat_workgroup_size: 256
    .name:           _ZN7rocprim17ROCPRIM_400000_NS6detail17trampoline_kernelINS0_14default_configENS1_25partition_config_selectorILNS1_17partition_subalgoE1EtNS0_10empty_typeEbEEZZNS1_14partition_implILS5_1ELb0ES3_jN6thrust23THRUST_200600_302600_NS6detail15normal_iteratorINSA_10device_ptrItEEEEPS6_NSA_18transform_iteratorI7is_evenItESF_NSA_11use_defaultESK_EENS0_5tupleIJSF_NSA_16discard_iteratorISK_EEEEENSM_IJSG_SG_EEES6_PlJS6_EEE10hipError_tPvRmT3_T4_T5_T6_T7_T9_mT8_P12ihipStream_tbDpT10_ENKUlT_T0_E_clISt17integral_constantIbLb1EES1B_EEDaS16_S17_EUlS16_E_NS1_11comp_targetILNS1_3genE0ELNS1_11target_archE4294967295ELNS1_3gpuE0ELNS1_3repE0EEENS1_30default_config_static_selectorELNS0_4arch9wavefront6targetE1EEEvT1_
    .private_segment_fixed_size: 0
    .sgpr_count:     6
    .sgpr_spill_count: 0
    .symbol:         _ZN7rocprim17ROCPRIM_400000_NS6detail17trampoline_kernelINS0_14default_configENS1_25partition_config_selectorILNS1_17partition_subalgoE1EtNS0_10empty_typeEbEEZZNS1_14partition_implILS5_1ELb0ES3_jN6thrust23THRUST_200600_302600_NS6detail15normal_iteratorINSA_10device_ptrItEEEEPS6_NSA_18transform_iteratorI7is_evenItESF_NSA_11use_defaultESK_EENS0_5tupleIJSF_NSA_16discard_iteratorISK_EEEEENSM_IJSG_SG_EEES6_PlJS6_EEE10hipError_tPvRmT3_T4_T5_T6_T7_T9_mT8_P12ihipStream_tbDpT10_ENKUlT_T0_E_clISt17integral_constantIbLb1EES1B_EEDaS16_S17_EUlS16_E_NS1_11comp_targetILNS1_3genE0ELNS1_11target_archE4294967295ELNS1_3gpuE0ELNS1_3repE0EEENS1_30default_config_static_selectorELNS0_4arch9wavefront6targetE1EEEvT1_.kd
    .uniform_work_group_size: 1
    .uses_dynamic_stack: false
    .vgpr_count:     0
    .vgpr_spill_count: 0
    .wavefront_size: 64
  - .agpr_count:     0
    .args:
      - .offset:         0
        .size:           152
        .value_kind:     by_value
    .group_segment_fixed_size: 28680
    .kernarg_segment_align: 8
    .kernarg_segment_size: 152
    .language:       OpenCL C
    .language_version:
      - 2
      - 0
    .max_flat_workgroup_size: 512
    .name:           _ZN7rocprim17ROCPRIM_400000_NS6detail17trampoline_kernelINS0_14default_configENS1_25partition_config_selectorILNS1_17partition_subalgoE1EtNS0_10empty_typeEbEEZZNS1_14partition_implILS5_1ELb0ES3_jN6thrust23THRUST_200600_302600_NS6detail15normal_iteratorINSA_10device_ptrItEEEEPS6_NSA_18transform_iteratorI7is_evenItESF_NSA_11use_defaultESK_EENS0_5tupleIJSF_NSA_16discard_iteratorISK_EEEEENSM_IJSG_SG_EEES6_PlJS6_EEE10hipError_tPvRmT3_T4_T5_T6_T7_T9_mT8_P12ihipStream_tbDpT10_ENKUlT_T0_E_clISt17integral_constantIbLb1EES1B_EEDaS16_S17_EUlS16_E_NS1_11comp_targetILNS1_3genE5ELNS1_11target_archE942ELNS1_3gpuE9ELNS1_3repE0EEENS1_30default_config_static_selectorELNS0_4arch9wavefront6targetE1EEEvT1_
    .private_segment_fixed_size: 0
    .sgpr_count:     46
    .sgpr_spill_count: 0
    .symbol:         _ZN7rocprim17ROCPRIM_400000_NS6detail17trampoline_kernelINS0_14default_configENS1_25partition_config_selectorILNS1_17partition_subalgoE1EtNS0_10empty_typeEbEEZZNS1_14partition_implILS5_1ELb0ES3_jN6thrust23THRUST_200600_302600_NS6detail15normal_iteratorINSA_10device_ptrItEEEEPS6_NSA_18transform_iteratorI7is_evenItESF_NSA_11use_defaultESK_EENS0_5tupleIJSF_NSA_16discard_iteratorISK_EEEEENSM_IJSG_SG_EEES6_PlJS6_EEE10hipError_tPvRmT3_T4_T5_T6_T7_T9_mT8_P12ihipStream_tbDpT10_ENKUlT_T0_E_clISt17integral_constantIbLb1EES1B_EEDaS16_S17_EUlS16_E_NS1_11comp_targetILNS1_3genE5ELNS1_11target_archE942ELNS1_3gpuE9ELNS1_3repE0EEENS1_30default_config_static_selectorELNS0_4arch9wavefront6targetE1EEEvT1_.kd
    .uniform_work_group_size: 1
    .uses_dynamic_stack: false
    .vgpr_count:     81
    .vgpr_spill_count: 0
    .wavefront_size: 64
  - .agpr_count:     0
    .args:
      - .offset:         0
        .size:           152
        .value_kind:     by_value
    .group_segment_fixed_size: 0
    .kernarg_segment_align: 8
    .kernarg_segment_size: 152
    .language:       OpenCL C
    .language_version:
      - 2
      - 0
    .max_flat_workgroup_size: 256
    .name:           _ZN7rocprim17ROCPRIM_400000_NS6detail17trampoline_kernelINS0_14default_configENS1_25partition_config_selectorILNS1_17partition_subalgoE1EtNS0_10empty_typeEbEEZZNS1_14partition_implILS5_1ELb0ES3_jN6thrust23THRUST_200600_302600_NS6detail15normal_iteratorINSA_10device_ptrItEEEEPS6_NSA_18transform_iteratorI7is_evenItESF_NSA_11use_defaultESK_EENS0_5tupleIJSF_NSA_16discard_iteratorISK_EEEEENSM_IJSG_SG_EEES6_PlJS6_EEE10hipError_tPvRmT3_T4_T5_T6_T7_T9_mT8_P12ihipStream_tbDpT10_ENKUlT_T0_E_clISt17integral_constantIbLb1EES1B_EEDaS16_S17_EUlS16_E_NS1_11comp_targetILNS1_3genE4ELNS1_11target_archE910ELNS1_3gpuE8ELNS1_3repE0EEENS1_30default_config_static_selectorELNS0_4arch9wavefront6targetE1EEEvT1_
    .private_segment_fixed_size: 0
    .sgpr_count:     6
    .sgpr_spill_count: 0
    .symbol:         _ZN7rocprim17ROCPRIM_400000_NS6detail17trampoline_kernelINS0_14default_configENS1_25partition_config_selectorILNS1_17partition_subalgoE1EtNS0_10empty_typeEbEEZZNS1_14partition_implILS5_1ELb0ES3_jN6thrust23THRUST_200600_302600_NS6detail15normal_iteratorINSA_10device_ptrItEEEEPS6_NSA_18transform_iteratorI7is_evenItESF_NSA_11use_defaultESK_EENS0_5tupleIJSF_NSA_16discard_iteratorISK_EEEEENSM_IJSG_SG_EEES6_PlJS6_EEE10hipError_tPvRmT3_T4_T5_T6_T7_T9_mT8_P12ihipStream_tbDpT10_ENKUlT_T0_E_clISt17integral_constantIbLb1EES1B_EEDaS16_S17_EUlS16_E_NS1_11comp_targetILNS1_3genE4ELNS1_11target_archE910ELNS1_3gpuE8ELNS1_3repE0EEENS1_30default_config_static_selectorELNS0_4arch9wavefront6targetE1EEEvT1_.kd
    .uniform_work_group_size: 1
    .uses_dynamic_stack: false
    .vgpr_count:     0
    .vgpr_spill_count: 0
    .wavefront_size: 64
  - .agpr_count:     0
    .args:
      - .offset:         0
        .size:           152
        .value_kind:     by_value
    .group_segment_fixed_size: 0
    .kernarg_segment_align: 8
    .kernarg_segment_size: 152
    .language:       OpenCL C
    .language_version:
      - 2
      - 0
    .max_flat_workgroup_size: 256
    .name:           _ZN7rocprim17ROCPRIM_400000_NS6detail17trampoline_kernelINS0_14default_configENS1_25partition_config_selectorILNS1_17partition_subalgoE1EtNS0_10empty_typeEbEEZZNS1_14partition_implILS5_1ELb0ES3_jN6thrust23THRUST_200600_302600_NS6detail15normal_iteratorINSA_10device_ptrItEEEEPS6_NSA_18transform_iteratorI7is_evenItESF_NSA_11use_defaultESK_EENS0_5tupleIJSF_NSA_16discard_iteratorISK_EEEEENSM_IJSG_SG_EEES6_PlJS6_EEE10hipError_tPvRmT3_T4_T5_T6_T7_T9_mT8_P12ihipStream_tbDpT10_ENKUlT_T0_E_clISt17integral_constantIbLb1EES1B_EEDaS16_S17_EUlS16_E_NS1_11comp_targetILNS1_3genE3ELNS1_11target_archE908ELNS1_3gpuE7ELNS1_3repE0EEENS1_30default_config_static_selectorELNS0_4arch9wavefront6targetE1EEEvT1_
    .private_segment_fixed_size: 0
    .sgpr_count:     6
    .sgpr_spill_count: 0
    .symbol:         _ZN7rocprim17ROCPRIM_400000_NS6detail17trampoline_kernelINS0_14default_configENS1_25partition_config_selectorILNS1_17partition_subalgoE1EtNS0_10empty_typeEbEEZZNS1_14partition_implILS5_1ELb0ES3_jN6thrust23THRUST_200600_302600_NS6detail15normal_iteratorINSA_10device_ptrItEEEEPS6_NSA_18transform_iteratorI7is_evenItESF_NSA_11use_defaultESK_EENS0_5tupleIJSF_NSA_16discard_iteratorISK_EEEEENSM_IJSG_SG_EEES6_PlJS6_EEE10hipError_tPvRmT3_T4_T5_T6_T7_T9_mT8_P12ihipStream_tbDpT10_ENKUlT_T0_E_clISt17integral_constantIbLb1EES1B_EEDaS16_S17_EUlS16_E_NS1_11comp_targetILNS1_3genE3ELNS1_11target_archE908ELNS1_3gpuE7ELNS1_3repE0EEENS1_30default_config_static_selectorELNS0_4arch9wavefront6targetE1EEEvT1_.kd
    .uniform_work_group_size: 1
    .uses_dynamic_stack: false
    .vgpr_count:     0
    .vgpr_spill_count: 0
    .wavefront_size: 64
  - .agpr_count:     0
    .args:
      - .offset:         0
        .size:           152
        .value_kind:     by_value
    .group_segment_fixed_size: 0
    .kernarg_segment_align: 8
    .kernarg_segment_size: 152
    .language:       OpenCL C
    .language_version:
      - 2
      - 0
    .max_flat_workgroup_size: 256
    .name:           _ZN7rocprim17ROCPRIM_400000_NS6detail17trampoline_kernelINS0_14default_configENS1_25partition_config_selectorILNS1_17partition_subalgoE1EtNS0_10empty_typeEbEEZZNS1_14partition_implILS5_1ELb0ES3_jN6thrust23THRUST_200600_302600_NS6detail15normal_iteratorINSA_10device_ptrItEEEEPS6_NSA_18transform_iteratorI7is_evenItESF_NSA_11use_defaultESK_EENS0_5tupleIJSF_NSA_16discard_iteratorISK_EEEEENSM_IJSG_SG_EEES6_PlJS6_EEE10hipError_tPvRmT3_T4_T5_T6_T7_T9_mT8_P12ihipStream_tbDpT10_ENKUlT_T0_E_clISt17integral_constantIbLb1EES1B_EEDaS16_S17_EUlS16_E_NS1_11comp_targetILNS1_3genE2ELNS1_11target_archE906ELNS1_3gpuE6ELNS1_3repE0EEENS1_30default_config_static_selectorELNS0_4arch9wavefront6targetE1EEEvT1_
    .private_segment_fixed_size: 0
    .sgpr_count:     6
    .sgpr_spill_count: 0
    .symbol:         _ZN7rocprim17ROCPRIM_400000_NS6detail17trampoline_kernelINS0_14default_configENS1_25partition_config_selectorILNS1_17partition_subalgoE1EtNS0_10empty_typeEbEEZZNS1_14partition_implILS5_1ELb0ES3_jN6thrust23THRUST_200600_302600_NS6detail15normal_iteratorINSA_10device_ptrItEEEEPS6_NSA_18transform_iteratorI7is_evenItESF_NSA_11use_defaultESK_EENS0_5tupleIJSF_NSA_16discard_iteratorISK_EEEEENSM_IJSG_SG_EEES6_PlJS6_EEE10hipError_tPvRmT3_T4_T5_T6_T7_T9_mT8_P12ihipStream_tbDpT10_ENKUlT_T0_E_clISt17integral_constantIbLb1EES1B_EEDaS16_S17_EUlS16_E_NS1_11comp_targetILNS1_3genE2ELNS1_11target_archE906ELNS1_3gpuE6ELNS1_3repE0EEENS1_30default_config_static_selectorELNS0_4arch9wavefront6targetE1EEEvT1_.kd
    .uniform_work_group_size: 1
    .uses_dynamic_stack: false
    .vgpr_count:     0
    .vgpr_spill_count: 0
    .wavefront_size: 64
  - .agpr_count:     0
    .args:
      - .offset:         0
        .size:           152
        .value_kind:     by_value
    .group_segment_fixed_size: 0
    .kernarg_segment_align: 8
    .kernarg_segment_size: 152
    .language:       OpenCL C
    .language_version:
      - 2
      - 0
    .max_flat_workgroup_size: 384
    .name:           _ZN7rocprim17ROCPRIM_400000_NS6detail17trampoline_kernelINS0_14default_configENS1_25partition_config_selectorILNS1_17partition_subalgoE1EtNS0_10empty_typeEbEEZZNS1_14partition_implILS5_1ELb0ES3_jN6thrust23THRUST_200600_302600_NS6detail15normal_iteratorINSA_10device_ptrItEEEEPS6_NSA_18transform_iteratorI7is_evenItESF_NSA_11use_defaultESK_EENS0_5tupleIJSF_NSA_16discard_iteratorISK_EEEEENSM_IJSG_SG_EEES6_PlJS6_EEE10hipError_tPvRmT3_T4_T5_T6_T7_T9_mT8_P12ihipStream_tbDpT10_ENKUlT_T0_E_clISt17integral_constantIbLb1EES1B_EEDaS16_S17_EUlS16_E_NS1_11comp_targetILNS1_3genE10ELNS1_11target_archE1200ELNS1_3gpuE4ELNS1_3repE0EEENS1_30default_config_static_selectorELNS0_4arch9wavefront6targetE1EEEvT1_
    .private_segment_fixed_size: 0
    .sgpr_count:     6
    .sgpr_spill_count: 0
    .symbol:         _ZN7rocprim17ROCPRIM_400000_NS6detail17trampoline_kernelINS0_14default_configENS1_25partition_config_selectorILNS1_17partition_subalgoE1EtNS0_10empty_typeEbEEZZNS1_14partition_implILS5_1ELb0ES3_jN6thrust23THRUST_200600_302600_NS6detail15normal_iteratorINSA_10device_ptrItEEEEPS6_NSA_18transform_iteratorI7is_evenItESF_NSA_11use_defaultESK_EENS0_5tupleIJSF_NSA_16discard_iteratorISK_EEEEENSM_IJSG_SG_EEES6_PlJS6_EEE10hipError_tPvRmT3_T4_T5_T6_T7_T9_mT8_P12ihipStream_tbDpT10_ENKUlT_T0_E_clISt17integral_constantIbLb1EES1B_EEDaS16_S17_EUlS16_E_NS1_11comp_targetILNS1_3genE10ELNS1_11target_archE1200ELNS1_3gpuE4ELNS1_3repE0EEENS1_30default_config_static_selectorELNS0_4arch9wavefront6targetE1EEEvT1_.kd
    .uniform_work_group_size: 1
    .uses_dynamic_stack: false
    .vgpr_count:     0
    .vgpr_spill_count: 0
    .wavefront_size: 64
  - .agpr_count:     0
    .args:
      - .offset:         0
        .size:           152
        .value_kind:     by_value
    .group_segment_fixed_size: 0
    .kernarg_segment_align: 8
    .kernarg_segment_size: 152
    .language:       OpenCL C
    .language_version:
      - 2
      - 0
    .max_flat_workgroup_size: 128
    .name:           _ZN7rocprim17ROCPRIM_400000_NS6detail17trampoline_kernelINS0_14default_configENS1_25partition_config_selectorILNS1_17partition_subalgoE1EtNS0_10empty_typeEbEEZZNS1_14partition_implILS5_1ELb0ES3_jN6thrust23THRUST_200600_302600_NS6detail15normal_iteratorINSA_10device_ptrItEEEEPS6_NSA_18transform_iteratorI7is_evenItESF_NSA_11use_defaultESK_EENS0_5tupleIJSF_NSA_16discard_iteratorISK_EEEEENSM_IJSG_SG_EEES6_PlJS6_EEE10hipError_tPvRmT3_T4_T5_T6_T7_T9_mT8_P12ihipStream_tbDpT10_ENKUlT_T0_E_clISt17integral_constantIbLb1EES1B_EEDaS16_S17_EUlS16_E_NS1_11comp_targetILNS1_3genE9ELNS1_11target_archE1100ELNS1_3gpuE3ELNS1_3repE0EEENS1_30default_config_static_selectorELNS0_4arch9wavefront6targetE1EEEvT1_
    .private_segment_fixed_size: 0
    .sgpr_count:     6
    .sgpr_spill_count: 0
    .symbol:         _ZN7rocprim17ROCPRIM_400000_NS6detail17trampoline_kernelINS0_14default_configENS1_25partition_config_selectorILNS1_17partition_subalgoE1EtNS0_10empty_typeEbEEZZNS1_14partition_implILS5_1ELb0ES3_jN6thrust23THRUST_200600_302600_NS6detail15normal_iteratorINSA_10device_ptrItEEEEPS6_NSA_18transform_iteratorI7is_evenItESF_NSA_11use_defaultESK_EENS0_5tupleIJSF_NSA_16discard_iteratorISK_EEEEENSM_IJSG_SG_EEES6_PlJS6_EEE10hipError_tPvRmT3_T4_T5_T6_T7_T9_mT8_P12ihipStream_tbDpT10_ENKUlT_T0_E_clISt17integral_constantIbLb1EES1B_EEDaS16_S17_EUlS16_E_NS1_11comp_targetILNS1_3genE9ELNS1_11target_archE1100ELNS1_3gpuE3ELNS1_3repE0EEENS1_30default_config_static_selectorELNS0_4arch9wavefront6targetE1EEEvT1_.kd
    .uniform_work_group_size: 1
    .uses_dynamic_stack: false
    .vgpr_count:     0
    .vgpr_spill_count: 0
    .wavefront_size: 64
  - .agpr_count:     0
    .args:
      - .offset:         0
        .size:           152
        .value_kind:     by_value
    .group_segment_fixed_size: 0
    .kernarg_segment_align: 8
    .kernarg_segment_size: 152
    .language:       OpenCL C
    .language_version:
      - 2
      - 0
    .max_flat_workgroup_size: 512
    .name:           _ZN7rocprim17ROCPRIM_400000_NS6detail17trampoline_kernelINS0_14default_configENS1_25partition_config_selectorILNS1_17partition_subalgoE1EtNS0_10empty_typeEbEEZZNS1_14partition_implILS5_1ELb0ES3_jN6thrust23THRUST_200600_302600_NS6detail15normal_iteratorINSA_10device_ptrItEEEEPS6_NSA_18transform_iteratorI7is_evenItESF_NSA_11use_defaultESK_EENS0_5tupleIJSF_NSA_16discard_iteratorISK_EEEEENSM_IJSG_SG_EEES6_PlJS6_EEE10hipError_tPvRmT3_T4_T5_T6_T7_T9_mT8_P12ihipStream_tbDpT10_ENKUlT_T0_E_clISt17integral_constantIbLb1EES1B_EEDaS16_S17_EUlS16_E_NS1_11comp_targetILNS1_3genE8ELNS1_11target_archE1030ELNS1_3gpuE2ELNS1_3repE0EEENS1_30default_config_static_selectorELNS0_4arch9wavefront6targetE1EEEvT1_
    .private_segment_fixed_size: 0
    .sgpr_count:     6
    .sgpr_spill_count: 0
    .symbol:         _ZN7rocprim17ROCPRIM_400000_NS6detail17trampoline_kernelINS0_14default_configENS1_25partition_config_selectorILNS1_17partition_subalgoE1EtNS0_10empty_typeEbEEZZNS1_14partition_implILS5_1ELb0ES3_jN6thrust23THRUST_200600_302600_NS6detail15normal_iteratorINSA_10device_ptrItEEEEPS6_NSA_18transform_iteratorI7is_evenItESF_NSA_11use_defaultESK_EENS0_5tupleIJSF_NSA_16discard_iteratorISK_EEEEENSM_IJSG_SG_EEES6_PlJS6_EEE10hipError_tPvRmT3_T4_T5_T6_T7_T9_mT8_P12ihipStream_tbDpT10_ENKUlT_T0_E_clISt17integral_constantIbLb1EES1B_EEDaS16_S17_EUlS16_E_NS1_11comp_targetILNS1_3genE8ELNS1_11target_archE1030ELNS1_3gpuE2ELNS1_3repE0EEENS1_30default_config_static_selectorELNS0_4arch9wavefront6targetE1EEEvT1_.kd
    .uniform_work_group_size: 1
    .uses_dynamic_stack: false
    .vgpr_count:     0
    .vgpr_spill_count: 0
    .wavefront_size: 64
  - .agpr_count:     0
    .args:
      - .offset:         0
        .size:           136
        .value_kind:     by_value
    .group_segment_fixed_size: 0
    .kernarg_segment_align: 8
    .kernarg_segment_size: 136
    .language:       OpenCL C
    .language_version:
      - 2
      - 0
    .max_flat_workgroup_size: 256
    .name:           _ZN7rocprim17ROCPRIM_400000_NS6detail17trampoline_kernelINS0_14default_configENS1_25partition_config_selectorILNS1_17partition_subalgoE1EtNS0_10empty_typeEbEEZZNS1_14partition_implILS5_1ELb0ES3_jN6thrust23THRUST_200600_302600_NS6detail15normal_iteratorINSA_10device_ptrItEEEEPS6_NSA_18transform_iteratorI7is_evenItESF_NSA_11use_defaultESK_EENS0_5tupleIJSF_NSA_16discard_iteratorISK_EEEEENSM_IJSG_SG_EEES6_PlJS6_EEE10hipError_tPvRmT3_T4_T5_T6_T7_T9_mT8_P12ihipStream_tbDpT10_ENKUlT_T0_E_clISt17integral_constantIbLb1EES1A_IbLb0EEEEDaS16_S17_EUlS16_E_NS1_11comp_targetILNS1_3genE0ELNS1_11target_archE4294967295ELNS1_3gpuE0ELNS1_3repE0EEENS1_30default_config_static_selectorELNS0_4arch9wavefront6targetE1EEEvT1_
    .private_segment_fixed_size: 0
    .sgpr_count:     6
    .sgpr_spill_count: 0
    .symbol:         _ZN7rocprim17ROCPRIM_400000_NS6detail17trampoline_kernelINS0_14default_configENS1_25partition_config_selectorILNS1_17partition_subalgoE1EtNS0_10empty_typeEbEEZZNS1_14partition_implILS5_1ELb0ES3_jN6thrust23THRUST_200600_302600_NS6detail15normal_iteratorINSA_10device_ptrItEEEEPS6_NSA_18transform_iteratorI7is_evenItESF_NSA_11use_defaultESK_EENS0_5tupleIJSF_NSA_16discard_iteratorISK_EEEEENSM_IJSG_SG_EEES6_PlJS6_EEE10hipError_tPvRmT3_T4_T5_T6_T7_T9_mT8_P12ihipStream_tbDpT10_ENKUlT_T0_E_clISt17integral_constantIbLb1EES1A_IbLb0EEEEDaS16_S17_EUlS16_E_NS1_11comp_targetILNS1_3genE0ELNS1_11target_archE4294967295ELNS1_3gpuE0ELNS1_3repE0EEENS1_30default_config_static_selectorELNS0_4arch9wavefront6targetE1EEEvT1_.kd
    .uniform_work_group_size: 1
    .uses_dynamic_stack: false
    .vgpr_count:     0
    .vgpr_spill_count: 0
    .wavefront_size: 64
  - .agpr_count:     0
    .args:
      - .offset:         0
        .size:           136
        .value_kind:     by_value
    .group_segment_fixed_size: 28680
    .kernarg_segment_align: 8
    .kernarg_segment_size: 136
    .language:       OpenCL C
    .language_version:
      - 2
      - 0
    .max_flat_workgroup_size: 512
    .name:           _ZN7rocprim17ROCPRIM_400000_NS6detail17trampoline_kernelINS0_14default_configENS1_25partition_config_selectorILNS1_17partition_subalgoE1EtNS0_10empty_typeEbEEZZNS1_14partition_implILS5_1ELb0ES3_jN6thrust23THRUST_200600_302600_NS6detail15normal_iteratorINSA_10device_ptrItEEEEPS6_NSA_18transform_iteratorI7is_evenItESF_NSA_11use_defaultESK_EENS0_5tupleIJSF_NSA_16discard_iteratorISK_EEEEENSM_IJSG_SG_EEES6_PlJS6_EEE10hipError_tPvRmT3_T4_T5_T6_T7_T9_mT8_P12ihipStream_tbDpT10_ENKUlT_T0_E_clISt17integral_constantIbLb1EES1A_IbLb0EEEEDaS16_S17_EUlS16_E_NS1_11comp_targetILNS1_3genE5ELNS1_11target_archE942ELNS1_3gpuE9ELNS1_3repE0EEENS1_30default_config_static_selectorELNS0_4arch9wavefront6targetE1EEEvT1_
    .private_segment_fixed_size: 0
    .sgpr_count:     46
    .sgpr_spill_count: 0
    .symbol:         _ZN7rocprim17ROCPRIM_400000_NS6detail17trampoline_kernelINS0_14default_configENS1_25partition_config_selectorILNS1_17partition_subalgoE1EtNS0_10empty_typeEbEEZZNS1_14partition_implILS5_1ELb0ES3_jN6thrust23THRUST_200600_302600_NS6detail15normal_iteratorINSA_10device_ptrItEEEEPS6_NSA_18transform_iteratorI7is_evenItESF_NSA_11use_defaultESK_EENS0_5tupleIJSF_NSA_16discard_iteratorISK_EEEEENSM_IJSG_SG_EEES6_PlJS6_EEE10hipError_tPvRmT3_T4_T5_T6_T7_T9_mT8_P12ihipStream_tbDpT10_ENKUlT_T0_E_clISt17integral_constantIbLb1EES1A_IbLb0EEEEDaS16_S17_EUlS16_E_NS1_11comp_targetILNS1_3genE5ELNS1_11target_archE942ELNS1_3gpuE9ELNS1_3repE0EEENS1_30default_config_static_selectorELNS0_4arch9wavefront6targetE1EEEvT1_.kd
    .uniform_work_group_size: 1
    .uses_dynamic_stack: false
    .vgpr_count:     79
    .vgpr_spill_count: 0
    .wavefront_size: 64
  - .agpr_count:     0
    .args:
      - .offset:         0
        .size:           136
        .value_kind:     by_value
    .group_segment_fixed_size: 0
    .kernarg_segment_align: 8
    .kernarg_segment_size: 136
    .language:       OpenCL C
    .language_version:
      - 2
      - 0
    .max_flat_workgroup_size: 256
    .name:           _ZN7rocprim17ROCPRIM_400000_NS6detail17trampoline_kernelINS0_14default_configENS1_25partition_config_selectorILNS1_17partition_subalgoE1EtNS0_10empty_typeEbEEZZNS1_14partition_implILS5_1ELb0ES3_jN6thrust23THRUST_200600_302600_NS6detail15normal_iteratorINSA_10device_ptrItEEEEPS6_NSA_18transform_iteratorI7is_evenItESF_NSA_11use_defaultESK_EENS0_5tupleIJSF_NSA_16discard_iteratorISK_EEEEENSM_IJSG_SG_EEES6_PlJS6_EEE10hipError_tPvRmT3_T4_T5_T6_T7_T9_mT8_P12ihipStream_tbDpT10_ENKUlT_T0_E_clISt17integral_constantIbLb1EES1A_IbLb0EEEEDaS16_S17_EUlS16_E_NS1_11comp_targetILNS1_3genE4ELNS1_11target_archE910ELNS1_3gpuE8ELNS1_3repE0EEENS1_30default_config_static_selectorELNS0_4arch9wavefront6targetE1EEEvT1_
    .private_segment_fixed_size: 0
    .sgpr_count:     6
    .sgpr_spill_count: 0
    .symbol:         _ZN7rocprim17ROCPRIM_400000_NS6detail17trampoline_kernelINS0_14default_configENS1_25partition_config_selectorILNS1_17partition_subalgoE1EtNS0_10empty_typeEbEEZZNS1_14partition_implILS5_1ELb0ES3_jN6thrust23THRUST_200600_302600_NS6detail15normal_iteratorINSA_10device_ptrItEEEEPS6_NSA_18transform_iteratorI7is_evenItESF_NSA_11use_defaultESK_EENS0_5tupleIJSF_NSA_16discard_iteratorISK_EEEEENSM_IJSG_SG_EEES6_PlJS6_EEE10hipError_tPvRmT3_T4_T5_T6_T7_T9_mT8_P12ihipStream_tbDpT10_ENKUlT_T0_E_clISt17integral_constantIbLb1EES1A_IbLb0EEEEDaS16_S17_EUlS16_E_NS1_11comp_targetILNS1_3genE4ELNS1_11target_archE910ELNS1_3gpuE8ELNS1_3repE0EEENS1_30default_config_static_selectorELNS0_4arch9wavefront6targetE1EEEvT1_.kd
    .uniform_work_group_size: 1
    .uses_dynamic_stack: false
    .vgpr_count:     0
    .vgpr_spill_count: 0
    .wavefront_size: 64
  - .agpr_count:     0
    .args:
      - .offset:         0
        .size:           136
        .value_kind:     by_value
    .group_segment_fixed_size: 0
    .kernarg_segment_align: 8
    .kernarg_segment_size: 136
    .language:       OpenCL C
    .language_version:
      - 2
      - 0
    .max_flat_workgroup_size: 256
    .name:           _ZN7rocprim17ROCPRIM_400000_NS6detail17trampoline_kernelINS0_14default_configENS1_25partition_config_selectorILNS1_17partition_subalgoE1EtNS0_10empty_typeEbEEZZNS1_14partition_implILS5_1ELb0ES3_jN6thrust23THRUST_200600_302600_NS6detail15normal_iteratorINSA_10device_ptrItEEEEPS6_NSA_18transform_iteratorI7is_evenItESF_NSA_11use_defaultESK_EENS0_5tupleIJSF_NSA_16discard_iteratorISK_EEEEENSM_IJSG_SG_EEES6_PlJS6_EEE10hipError_tPvRmT3_T4_T5_T6_T7_T9_mT8_P12ihipStream_tbDpT10_ENKUlT_T0_E_clISt17integral_constantIbLb1EES1A_IbLb0EEEEDaS16_S17_EUlS16_E_NS1_11comp_targetILNS1_3genE3ELNS1_11target_archE908ELNS1_3gpuE7ELNS1_3repE0EEENS1_30default_config_static_selectorELNS0_4arch9wavefront6targetE1EEEvT1_
    .private_segment_fixed_size: 0
    .sgpr_count:     6
    .sgpr_spill_count: 0
    .symbol:         _ZN7rocprim17ROCPRIM_400000_NS6detail17trampoline_kernelINS0_14default_configENS1_25partition_config_selectorILNS1_17partition_subalgoE1EtNS0_10empty_typeEbEEZZNS1_14partition_implILS5_1ELb0ES3_jN6thrust23THRUST_200600_302600_NS6detail15normal_iteratorINSA_10device_ptrItEEEEPS6_NSA_18transform_iteratorI7is_evenItESF_NSA_11use_defaultESK_EENS0_5tupleIJSF_NSA_16discard_iteratorISK_EEEEENSM_IJSG_SG_EEES6_PlJS6_EEE10hipError_tPvRmT3_T4_T5_T6_T7_T9_mT8_P12ihipStream_tbDpT10_ENKUlT_T0_E_clISt17integral_constantIbLb1EES1A_IbLb0EEEEDaS16_S17_EUlS16_E_NS1_11comp_targetILNS1_3genE3ELNS1_11target_archE908ELNS1_3gpuE7ELNS1_3repE0EEENS1_30default_config_static_selectorELNS0_4arch9wavefront6targetE1EEEvT1_.kd
    .uniform_work_group_size: 1
    .uses_dynamic_stack: false
    .vgpr_count:     0
    .vgpr_spill_count: 0
    .wavefront_size: 64
  - .agpr_count:     0
    .args:
      - .offset:         0
        .size:           136
        .value_kind:     by_value
    .group_segment_fixed_size: 0
    .kernarg_segment_align: 8
    .kernarg_segment_size: 136
    .language:       OpenCL C
    .language_version:
      - 2
      - 0
    .max_flat_workgroup_size: 256
    .name:           _ZN7rocprim17ROCPRIM_400000_NS6detail17trampoline_kernelINS0_14default_configENS1_25partition_config_selectorILNS1_17partition_subalgoE1EtNS0_10empty_typeEbEEZZNS1_14partition_implILS5_1ELb0ES3_jN6thrust23THRUST_200600_302600_NS6detail15normal_iteratorINSA_10device_ptrItEEEEPS6_NSA_18transform_iteratorI7is_evenItESF_NSA_11use_defaultESK_EENS0_5tupleIJSF_NSA_16discard_iteratorISK_EEEEENSM_IJSG_SG_EEES6_PlJS6_EEE10hipError_tPvRmT3_T4_T5_T6_T7_T9_mT8_P12ihipStream_tbDpT10_ENKUlT_T0_E_clISt17integral_constantIbLb1EES1A_IbLb0EEEEDaS16_S17_EUlS16_E_NS1_11comp_targetILNS1_3genE2ELNS1_11target_archE906ELNS1_3gpuE6ELNS1_3repE0EEENS1_30default_config_static_selectorELNS0_4arch9wavefront6targetE1EEEvT1_
    .private_segment_fixed_size: 0
    .sgpr_count:     6
    .sgpr_spill_count: 0
    .symbol:         _ZN7rocprim17ROCPRIM_400000_NS6detail17trampoline_kernelINS0_14default_configENS1_25partition_config_selectorILNS1_17partition_subalgoE1EtNS0_10empty_typeEbEEZZNS1_14partition_implILS5_1ELb0ES3_jN6thrust23THRUST_200600_302600_NS6detail15normal_iteratorINSA_10device_ptrItEEEEPS6_NSA_18transform_iteratorI7is_evenItESF_NSA_11use_defaultESK_EENS0_5tupleIJSF_NSA_16discard_iteratorISK_EEEEENSM_IJSG_SG_EEES6_PlJS6_EEE10hipError_tPvRmT3_T4_T5_T6_T7_T9_mT8_P12ihipStream_tbDpT10_ENKUlT_T0_E_clISt17integral_constantIbLb1EES1A_IbLb0EEEEDaS16_S17_EUlS16_E_NS1_11comp_targetILNS1_3genE2ELNS1_11target_archE906ELNS1_3gpuE6ELNS1_3repE0EEENS1_30default_config_static_selectorELNS0_4arch9wavefront6targetE1EEEvT1_.kd
    .uniform_work_group_size: 1
    .uses_dynamic_stack: false
    .vgpr_count:     0
    .vgpr_spill_count: 0
    .wavefront_size: 64
  - .agpr_count:     0
    .args:
      - .offset:         0
        .size:           136
        .value_kind:     by_value
    .group_segment_fixed_size: 0
    .kernarg_segment_align: 8
    .kernarg_segment_size: 136
    .language:       OpenCL C
    .language_version:
      - 2
      - 0
    .max_flat_workgroup_size: 384
    .name:           _ZN7rocprim17ROCPRIM_400000_NS6detail17trampoline_kernelINS0_14default_configENS1_25partition_config_selectorILNS1_17partition_subalgoE1EtNS0_10empty_typeEbEEZZNS1_14partition_implILS5_1ELb0ES3_jN6thrust23THRUST_200600_302600_NS6detail15normal_iteratorINSA_10device_ptrItEEEEPS6_NSA_18transform_iteratorI7is_evenItESF_NSA_11use_defaultESK_EENS0_5tupleIJSF_NSA_16discard_iteratorISK_EEEEENSM_IJSG_SG_EEES6_PlJS6_EEE10hipError_tPvRmT3_T4_T5_T6_T7_T9_mT8_P12ihipStream_tbDpT10_ENKUlT_T0_E_clISt17integral_constantIbLb1EES1A_IbLb0EEEEDaS16_S17_EUlS16_E_NS1_11comp_targetILNS1_3genE10ELNS1_11target_archE1200ELNS1_3gpuE4ELNS1_3repE0EEENS1_30default_config_static_selectorELNS0_4arch9wavefront6targetE1EEEvT1_
    .private_segment_fixed_size: 0
    .sgpr_count:     6
    .sgpr_spill_count: 0
    .symbol:         _ZN7rocprim17ROCPRIM_400000_NS6detail17trampoline_kernelINS0_14default_configENS1_25partition_config_selectorILNS1_17partition_subalgoE1EtNS0_10empty_typeEbEEZZNS1_14partition_implILS5_1ELb0ES3_jN6thrust23THRUST_200600_302600_NS6detail15normal_iteratorINSA_10device_ptrItEEEEPS6_NSA_18transform_iteratorI7is_evenItESF_NSA_11use_defaultESK_EENS0_5tupleIJSF_NSA_16discard_iteratorISK_EEEEENSM_IJSG_SG_EEES6_PlJS6_EEE10hipError_tPvRmT3_T4_T5_T6_T7_T9_mT8_P12ihipStream_tbDpT10_ENKUlT_T0_E_clISt17integral_constantIbLb1EES1A_IbLb0EEEEDaS16_S17_EUlS16_E_NS1_11comp_targetILNS1_3genE10ELNS1_11target_archE1200ELNS1_3gpuE4ELNS1_3repE0EEENS1_30default_config_static_selectorELNS0_4arch9wavefront6targetE1EEEvT1_.kd
    .uniform_work_group_size: 1
    .uses_dynamic_stack: false
    .vgpr_count:     0
    .vgpr_spill_count: 0
    .wavefront_size: 64
  - .agpr_count:     0
    .args:
      - .offset:         0
        .size:           136
        .value_kind:     by_value
    .group_segment_fixed_size: 0
    .kernarg_segment_align: 8
    .kernarg_segment_size: 136
    .language:       OpenCL C
    .language_version:
      - 2
      - 0
    .max_flat_workgroup_size: 128
    .name:           _ZN7rocprim17ROCPRIM_400000_NS6detail17trampoline_kernelINS0_14default_configENS1_25partition_config_selectorILNS1_17partition_subalgoE1EtNS0_10empty_typeEbEEZZNS1_14partition_implILS5_1ELb0ES3_jN6thrust23THRUST_200600_302600_NS6detail15normal_iteratorINSA_10device_ptrItEEEEPS6_NSA_18transform_iteratorI7is_evenItESF_NSA_11use_defaultESK_EENS0_5tupleIJSF_NSA_16discard_iteratorISK_EEEEENSM_IJSG_SG_EEES6_PlJS6_EEE10hipError_tPvRmT3_T4_T5_T6_T7_T9_mT8_P12ihipStream_tbDpT10_ENKUlT_T0_E_clISt17integral_constantIbLb1EES1A_IbLb0EEEEDaS16_S17_EUlS16_E_NS1_11comp_targetILNS1_3genE9ELNS1_11target_archE1100ELNS1_3gpuE3ELNS1_3repE0EEENS1_30default_config_static_selectorELNS0_4arch9wavefront6targetE1EEEvT1_
    .private_segment_fixed_size: 0
    .sgpr_count:     6
    .sgpr_spill_count: 0
    .symbol:         _ZN7rocprim17ROCPRIM_400000_NS6detail17trampoline_kernelINS0_14default_configENS1_25partition_config_selectorILNS1_17partition_subalgoE1EtNS0_10empty_typeEbEEZZNS1_14partition_implILS5_1ELb0ES3_jN6thrust23THRUST_200600_302600_NS6detail15normal_iteratorINSA_10device_ptrItEEEEPS6_NSA_18transform_iteratorI7is_evenItESF_NSA_11use_defaultESK_EENS0_5tupleIJSF_NSA_16discard_iteratorISK_EEEEENSM_IJSG_SG_EEES6_PlJS6_EEE10hipError_tPvRmT3_T4_T5_T6_T7_T9_mT8_P12ihipStream_tbDpT10_ENKUlT_T0_E_clISt17integral_constantIbLb1EES1A_IbLb0EEEEDaS16_S17_EUlS16_E_NS1_11comp_targetILNS1_3genE9ELNS1_11target_archE1100ELNS1_3gpuE3ELNS1_3repE0EEENS1_30default_config_static_selectorELNS0_4arch9wavefront6targetE1EEEvT1_.kd
    .uniform_work_group_size: 1
    .uses_dynamic_stack: false
    .vgpr_count:     0
    .vgpr_spill_count: 0
    .wavefront_size: 64
  - .agpr_count:     0
    .args:
      - .offset:         0
        .size:           136
        .value_kind:     by_value
    .group_segment_fixed_size: 0
    .kernarg_segment_align: 8
    .kernarg_segment_size: 136
    .language:       OpenCL C
    .language_version:
      - 2
      - 0
    .max_flat_workgroup_size: 512
    .name:           _ZN7rocprim17ROCPRIM_400000_NS6detail17trampoline_kernelINS0_14default_configENS1_25partition_config_selectorILNS1_17partition_subalgoE1EtNS0_10empty_typeEbEEZZNS1_14partition_implILS5_1ELb0ES3_jN6thrust23THRUST_200600_302600_NS6detail15normal_iteratorINSA_10device_ptrItEEEEPS6_NSA_18transform_iteratorI7is_evenItESF_NSA_11use_defaultESK_EENS0_5tupleIJSF_NSA_16discard_iteratorISK_EEEEENSM_IJSG_SG_EEES6_PlJS6_EEE10hipError_tPvRmT3_T4_T5_T6_T7_T9_mT8_P12ihipStream_tbDpT10_ENKUlT_T0_E_clISt17integral_constantIbLb1EES1A_IbLb0EEEEDaS16_S17_EUlS16_E_NS1_11comp_targetILNS1_3genE8ELNS1_11target_archE1030ELNS1_3gpuE2ELNS1_3repE0EEENS1_30default_config_static_selectorELNS0_4arch9wavefront6targetE1EEEvT1_
    .private_segment_fixed_size: 0
    .sgpr_count:     6
    .sgpr_spill_count: 0
    .symbol:         _ZN7rocprim17ROCPRIM_400000_NS6detail17trampoline_kernelINS0_14default_configENS1_25partition_config_selectorILNS1_17partition_subalgoE1EtNS0_10empty_typeEbEEZZNS1_14partition_implILS5_1ELb0ES3_jN6thrust23THRUST_200600_302600_NS6detail15normal_iteratorINSA_10device_ptrItEEEEPS6_NSA_18transform_iteratorI7is_evenItESF_NSA_11use_defaultESK_EENS0_5tupleIJSF_NSA_16discard_iteratorISK_EEEEENSM_IJSG_SG_EEES6_PlJS6_EEE10hipError_tPvRmT3_T4_T5_T6_T7_T9_mT8_P12ihipStream_tbDpT10_ENKUlT_T0_E_clISt17integral_constantIbLb1EES1A_IbLb0EEEEDaS16_S17_EUlS16_E_NS1_11comp_targetILNS1_3genE8ELNS1_11target_archE1030ELNS1_3gpuE2ELNS1_3repE0EEENS1_30default_config_static_selectorELNS0_4arch9wavefront6targetE1EEEvT1_.kd
    .uniform_work_group_size: 1
    .uses_dynamic_stack: false
    .vgpr_count:     0
    .vgpr_spill_count: 0
    .wavefront_size: 64
  - .agpr_count:     0
    .args:
      - .offset:         0
        .size:           152
        .value_kind:     by_value
    .group_segment_fixed_size: 0
    .kernarg_segment_align: 8
    .kernarg_segment_size: 152
    .language:       OpenCL C
    .language_version:
      - 2
      - 0
    .max_flat_workgroup_size: 256
    .name:           _ZN7rocprim17ROCPRIM_400000_NS6detail17trampoline_kernelINS0_14default_configENS1_25partition_config_selectorILNS1_17partition_subalgoE1EtNS0_10empty_typeEbEEZZNS1_14partition_implILS5_1ELb0ES3_jN6thrust23THRUST_200600_302600_NS6detail15normal_iteratorINSA_10device_ptrItEEEEPS6_NSA_18transform_iteratorI7is_evenItESF_NSA_11use_defaultESK_EENS0_5tupleIJSF_NSA_16discard_iteratorISK_EEEEENSM_IJSG_SG_EEES6_PlJS6_EEE10hipError_tPvRmT3_T4_T5_T6_T7_T9_mT8_P12ihipStream_tbDpT10_ENKUlT_T0_E_clISt17integral_constantIbLb0EES1A_IbLb1EEEEDaS16_S17_EUlS16_E_NS1_11comp_targetILNS1_3genE0ELNS1_11target_archE4294967295ELNS1_3gpuE0ELNS1_3repE0EEENS1_30default_config_static_selectorELNS0_4arch9wavefront6targetE1EEEvT1_
    .private_segment_fixed_size: 0
    .sgpr_count:     6
    .sgpr_spill_count: 0
    .symbol:         _ZN7rocprim17ROCPRIM_400000_NS6detail17trampoline_kernelINS0_14default_configENS1_25partition_config_selectorILNS1_17partition_subalgoE1EtNS0_10empty_typeEbEEZZNS1_14partition_implILS5_1ELb0ES3_jN6thrust23THRUST_200600_302600_NS6detail15normal_iteratorINSA_10device_ptrItEEEEPS6_NSA_18transform_iteratorI7is_evenItESF_NSA_11use_defaultESK_EENS0_5tupleIJSF_NSA_16discard_iteratorISK_EEEEENSM_IJSG_SG_EEES6_PlJS6_EEE10hipError_tPvRmT3_T4_T5_T6_T7_T9_mT8_P12ihipStream_tbDpT10_ENKUlT_T0_E_clISt17integral_constantIbLb0EES1A_IbLb1EEEEDaS16_S17_EUlS16_E_NS1_11comp_targetILNS1_3genE0ELNS1_11target_archE4294967295ELNS1_3gpuE0ELNS1_3repE0EEENS1_30default_config_static_selectorELNS0_4arch9wavefront6targetE1EEEvT1_.kd
    .uniform_work_group_size: 1
    .uses_dynamic_stack: false
    .vgpr_count:     0
    .vgpr_spill_count: 0
    .wavefront_size: 64
  - .agpr_count:     0
    .args:
      - .offset:         0
        .size:           152
        .value_kind:     by_value
    .group_segment_fixed_size: 28680
    .kernarg_segment_align: 8
    .kernarg_segment_size: 152
    .language:       OpenCL C
    .language_version:
      - 2
      - 0
    .max_flat_workgroup_size: 512
    .name:           _ZN7rocprim17ROCPRIM_400000_NS6detail17trampoline_kernelINS0_14default_configENS1_25partition_config_selectorILNS1_17partition_subalgoE1EtNS0_10empty_typeEbEEZZNS1_14partition_implILS5_1ELb0ES3_jN6thrust23THRUST_200600_302600_NS6detail15normal_iteratorINSA_10device_ptrItEEEEPS6_NSA_18transform_iteratorI7is_evenItESF_NSA_11use_defaultESK_EENS0_5tupleIJSF_NSA_16discard_iteratorISK_EEEEENSM_IJSG_SG_EEES6_PlJS6_EEE10hipError_tPvRmT3_T4_T5_T6_T7_T9_mT8_P12ihipStream_tbDpT10_ENKUlT_T0_E_clISt17integral_constantIbLb0EES1A_IbLb1EEEEDaS16_S17_EUlS16_E_NS1_11comp_targetILNS1_3genE5ELNS1_11target_archE942ELNS1_3gpuE9ELNS1_3repE0EEENS1_30default_config_static_selectorELNS0_4arch9wavefront6targetE1EEEvT1_
    .private_segment_fixed_size: 0
    .sgpr_count:     46
    .sgpr_spill_count: 0
    .symbol:         _ZN7rocprim17ROCPRIM_400000_NS6detail17trampoline_kernelINS0_14default_configENS1_25partition_config_selectorILNS1_17partition_subalgoE1EtNS0_10empty_typeEbEEZZNS1_14partition_implILS5_1ELb0ES3_jN6thrust23THRUST_200600_302600_NS6detail15normal_iteratorINSA_10device_ptrItEEEEPS6_NSA_18transform_iteratorI7is_evenItESF_NSA_11use_defaultESK_EENS0_5tupleIJSF_NSA_16discard_iteratorISK_EEEEENSM_IJSG_SG_EEES6_PlJS6_EEE10hipError_tPvRmT3_T4_T5_T6_T7_T9_mT8_P12ihipStream_tbDpT10_ENKUlT_T0_E_clISt17integral_constantIbLb0EES1A_IbLb1EEEEDaS16_S17_EUlS16_E_NS1_11comp_targetILNS1_3genE5ELNS1_11target_archE942ELNS1_3gpuE9ELNS1_3repE0EEENS1_30default_config_static_selectorELNS0_4arch9wavefront6targetE1EEEvT1_.kd
    .uniform_work_group_size: 1
    .uses_dynamic_stack: false
    .vgpr_count:     81
    .vgpr_spill_count: 0
    .wavefront_size: 64
  - .agpr_count:     0
    .args:
      - .offset:         0
        .size:           152
        .value_kind:     by_value
    .group_segment_fixed_size: 0
    .kernarg_segment_align: 8
    .kernarg_segment_size: 152
    .language:       OpenCL C
    .language_version:
      - 2
      - 0
    .max_flat_workgroup_size: 256
    .name:           _ZN7rocprim17ROCPRIM_400000_NS6detail17trampoline_kernelINS0_14default_configENS1_25partition_config_selectorILNS1_17partition_subalgoE1EtNS0_10empty_typeEbEEZZNS1_14partition_implILS5_1ELb0ES3_jN6thrust23THRUST_200600_302600_NS6detail15normal_iteratorINSA_10device_ptrItEEEEPS6_NSA_18transform_iteratorI7is_evenItESF_NSA_11use_defaultESK_EENS0_5tupleIJSF_NSA_16discard_iteratorISK_EEEEENSM_IJSG_SG_EEES6_PlJS6_EEE10hipError_tPvRmT3_T4_T5_T6_T7_T9_mT8_P12ihipStream_tbDpT10_ENKUlT_T0_E_clISt17integral_constantIbLb0EES1A_IbLb1EEEEDaS16_S17_EUlS16_E_NS1_11comp_targetILNS1_3genE4ELNS1_11target_archE910ELNS1_3gpuE8ELNS1_3repE0EEENS1_30default_config_static_selectorELNS0_4arch9wavefront6targetE1EEEvT1_
    .private_segment_fixed_size: 0
    .sgpr_count:     6
    .sgpr_spill_count: 0
    .symbol:         _ZN7rocprim17ROCPRIM_400000_NS6detail17trampoline_kernelINS0_14default_configENS1_25partition_config_selectorILNS1_17partition_subalgoE1EtNS0_10empty_typeEbEEZZNS1_14partition_implILS5_1ELb0ES3_jN6thrust23THRUST_200600_302600_NS6detail15normal_iteratorINSA_10device_ptrItEEEEPS6_NSA_18transform_iteratorI7is_evenItESF_NSA_11use_defaultESK_EENS0_5tupleIJSF_NSA_16discard_iteratorISK_EEEEENSM_IJSG_SG_EEES6_PlJS6_EEE10hipError_tPvRmT3_T4_T5_T6_T7_T9_mT8_P12ihipStream_tbDpT10_ENKUlT_T0_E_clISt17integral_constantIbLb0EES1A_IbLb1EEEEDaS16_S17_EUlS16_E_NS1_11comp_targetILNS1_3genE4ELNS1_11target_archE910ELNS1_3gpuE8ELNS1_3repE0EEENS1_30default_config_static_selectorELNS0_4arch9wavefront6targetE1EEEvT1_.kd
    .uniform_work_group_size: 1
    .uses_dynamic_stack: false
    .vgpr_count:     0
    .vgpr_spill_count: 0
    .wavefront_size: 64
  - .agpr_count:     0
    .args:
      - .offset:         0
        .size:           152
        .value_kind:     by_value
    .group_segment_fixed_size: 0
    .kernarg_segment_align: 8
    .kernarg_segment_size: 152
    .language:       OpenCL C
    .language_version:
      - 2
      - 0
    .max_flat_workgroup_size: 256
    .name:           _ZN7rocprim17ROCPRIM_400000_NS6detail17trampoline_kernelINS0_14default_configENS1_25partition_config_selectorILNS1_17partition_subalgoE1EtNS0_10empty_typeEbEEZZNS1_14partition_implILS5_1ELb0ES3_jN6thrust23THRUST_200600_302600_NS6detail15normal_iteratorINSA_10device_ptrItEEEEPS6_NSA_18transform_iteratorI7is_evenItESF_NSA_11use_defaultESK_EENS0_5tupleIJSF_NSA_16discard_iteratorISK_EEEEENSM_IJSG_SG_EEES6_PlJS6_EEE10hipError_tPvRmT3_T4_T5_T6_T7_T9_mT8_P12ihipStream_tbDpT10_ENKUlT_T0_E_clISt17integral_constantIbLb0EES1A_IbLb1EEEEDaS16_S17_EUlS16_E_NS1_11comp_targetILNS1_3genE3ELNS1_11target_archE908ELNS1_3gpuE7ELNS1_3repE0EEENS1_30default_config_static_selectorELNS0_4arch9wavefront6targetE1EEEvT1_
    .private_segment_fixed_size: 0
    .sgpr_count:     6
    .sgpr_spill_count: 0
    .symbol:         _ZN7rocprim17ROCPRIM_400000_NS6detail17trampoline_kernelINS0_14default_configENS1_25partition_config_selectorILNS1_17partition_subalgoE1EtNS0_10empty_typeEbEEZZNS1_14partition_implILS5_1ELb0ES3_jN6thrust23THRUST_200600_302600_NS6detail15normal_iteratorINSA_10device_ptrItEEEEPS6_NSA_18transform_iteratorI7is_evenItESF_NSA_11use_defaultESK_EENS0_5tupleIJSF_NSA_16discard_iteratorISK_EEEEENSM_IJSG_SG_EEES6_PlJS6_EEE10hipError_tPvRmT3_T4_T5_T6_T7_T9_mT8_P12ihipStream_tbDpT10_ENKUlT_T0_E_clISt17integral_constantIbLb0EES1A_IbLb1EEEEDaS16_S17_EUlS16_E_NS1_11comp_targetILNS1_3genE3ELNS1_11target_archE908ELNS1_3gpuE7ELNS1_3repE0EEENS1_30default_config_static_selectorELNS0_4arch9wavefront6targetE1EEEvT1_.kd
    .uniform_work_group_size: 1
    .uses_dynamic_stack: false
    .vgpr_count:     0
    .vgpr_spill_count: 0
    .wavefront_size: 64
  - .agpr_count:     0
    .args:
      - .offset:         0
        .size:           152
        .value_kind:     by_value
    .group_segment_fixed_size: 0
    .kernarg_segment_align: 8
    .kernarg_segment_size: 152
    .language:       OpenCL C
    .language_version:
      - 2
      - 0
    .max_flat_workgroup_size: 256
    .name:           _ZN7rocprim17ROCPRIM_400000_NS6detail17trampoline_kernelINS0_14default_configENS1_25partition_config_selectorILNS1_17partition_subalgoE1EtNS0_10empty_typeEbEEZZNS1_14partition_implILS5_1ELb0ES3_jN6thrust23THRUST_200600_302600_NS6detail15normal_iteratorINSA_10device_ptrItEEEEPS6_NSA_18transform_iteratorI7is_evenItESF_NSA_11use_defaultESK_EENS0_5tupleIJSF_NSA_16discard_iteratorISK_EEEEENSM_IJSG_SG_EEES6_PlJS6_EEE10hipError_tPvRmT3_T4_T5_T6_T7_T9_mT8_P12ihipStream_tbDpT10_ENKUlT_T0_E_clISt17integral_constantIbLb0EES1A_IbLb1EEEEDaS16_S17_EUlS16_E_NS1_11comp_targetILNS1_3genE2ELNS1_11target_archE906ELNS1_3gpuE6ELNS1_3repE0EEENS1_30default_config_static_selectorELNS0_4arch9wavefront6targetE1EEEvT1_
    .private_segment_fixed_size: 0
    .sgpr_count:     6
    .sgpr_spill_count: 0
    .symbol:         _ZN7rocprim17ROCPRIM_400000_NS6detail17trampoline_kernelINS0_14default_configENS1_25partition_config_selectorILNS1_17partition_subalgoE1EtNS0_10empty_typeEbEEZZNS1_14partition_implILS5_1ELb0ES3_jN6thrust23THRUST_200600_302600_NS6detail15normal_iteratorINSA_10device_ptrItEEEEPS6_NSA_18transform_iteratorI7is_evenItESF_NSA_11use_defaultESK_EENS0_5tupleIJSF_NSA_16discard_iteratorISK_EEEEENSM_IJSG_SG_EEES6_PlJS6_EEE10hipError_tPvRmT3_T4_T5_T6_T7_T9_mT8_P12ihipStream_tbDpT10_ENKUlT_T0_E_clISt17integral_constantIbLb0EES1A_IbLb1EEEEDaS16_S17_EUlS16_E_NS1_11comp_targetILNS1_3genE2ELNS1_11target_archE906ELNS1_3gpuE6ELNS1_3repE0EEENS1_30default_config_static_selectorELNS0_4arch9wavefront6targetE1EEEvT1_.kd
    .uniform_work_group_size: 1
    .uses_dynamic_stack: false
    .vgpr_count:     0
    .vgpr_spill_count: 0
    .wavefront_size: 64
  - .agpr_count:     0
    .args:
      - .offset:         0
        .size:           152
        .value_kind:     by_value
    .group_segment_fixed_size: 0
    .kernarg_segment_align: 8
    .kernarg_segment_size: 152
    .language:       OpenCL C
    .language_version:
      - 2
      - 0
    .max_flat_workgroup_size: 384
    .name:           _ZN7rocprim17ROCPRIM_400000_NS6detail17trampoline_kernelINS0_14default_configENS1_25partition_config_selectorILNS1_17partition_subalgoE1EtNS0_10empty_typeEbEEZZNS1_14partition_implILS5_1ELb0ES3_jN6thrust23THRUST_200600_302600_NS6detail15normal_iteratorINSA_10device_ptrItEEEEPS6_NSA_18transform_iteratorI7is_evenItESF_NSA_11use_defaultESK_EENS0_5tupleIJSF_NSA_16discard_iteratorISK_EEEEENSM_IJSG_SG_EEES6_PlJS6_EEE10hipError_tPvRmT3_T4_T5_T6_T7_T9_mT8_P12ihipStream_tbDpT10_ENKUlT_T0_E_clISt17integral_constantIbLb0EES1A_IbLb1EEEEDaS16_S17_EUlS16_E_NS1_11comp_targetILNS1_3genE10ELNS1_11target_archE1200ELNS1_3gpuE4ELNS1_3repE0EEENS1_30default_config_static_selectorELNS0_4arch9wavefront6targetE1EEEvT1_
    .private_segment_fixed_size: 0
    .sgpr_count:     6
    .sgpr_spill_count: 0
    .symbol:         _ZN7rocprim17ROCPRIM_400000_NS6detail17trampoline_kernelINS0_14default_configENS1_25partition_config_selectorILNS1_17partition_subalgoE1EtNS0_10empty_typeEbEEZZNS1_14partition_implILS5_1ELb0ES3_jN6thrust23THRUST_200600_302600_NS6detail15normal_iteratorINSA_10device_ptrItEEEEPS6_NSA_18transform_iteratorI7is_evenItESF_NSA_11use_defaultESK_EENS0_5tupleIJSF_NSA_16discard_iteratorISK_EEEEENSM_IJSG_SG_EEES6_PlJS6_EEE10hipError_tPvRmT3_T4_T5_T6_T7_T9_mT8_P12ihipStream_tbDpT10_ENKUlT_T0_E_clISt17integral_constantIbLb0EES1A_IbLb1EEEEDaS16_S17_EUlS16_E_NS1_11comp_targetILNS1_3genE10ELNS1_11target_archE1200ELNS1_3gpuE4ELNS1_3repE0EEENS1_30default_config_static_selectorELNS0_4arch9wavefront6targetE1EEEvT1_.kd
    .uniform_work_group_size: 1
    .uses_dynamic_stack: false
    .vgpr_count:     0
    .vgpr_spill_count: 0
    .wavefront_size: 64
  - .agpr_count:     0
    .args:
      - .offset:         0
        .size:           152
        .value_kind:     by_value
    .group_segment_fixed_size: 0
    .kernarg_segment_align: 8
    .kernarg_segment_size: 152
    .language:       OpenCL C
    .language_version:
      - 2
      - 0
    .max_flat_workgroup_size: 128
    .name:           _ZN7rocprim17ROCPRIM_400000_NS6detail17trampoline_kernelINS0_14default_configENS1_25partition_config_selectorILNS1_17partition_subalgoE1EtNS0_10empty_typeEbEEZZNS1_14partition_implILS5_1ELb0ES3_jN6thrust23THRUST_200600_302600_NS6detail15normal_iteratorINSA_10device_ptrItEEEEPS6_NSA_18transform_iteratorI7is_evenItESF_NSA_11use_defaultESK_EENS0_5tupleIJSF_NSA_16discard_iteratorISK_EEEEENSM_IJSG_SG_EEES6_PlJS6_EEE10hipError_tPvRmT3_T4_T5_T6_T7_T9_mT8_P12ihipStream_tbDpT10_ENKUlT_T0_E_clISt17integral_constantIbLb0EES1A_IbLb1EEEEDaS16_S17_EUlS16_E_NS1_11comp_targetILNS1_3genE9ELNS1_11target_archE1100ELNS1_3gpuE3ELNS1_3repE0EEENS1_30default_config_static_selectorELNS0_4arch9wavefront6targetE1EEEvT1_
    .private_segment_fixed_size: 0
    .sgpr_count:     6
    .sgpr_spill_count: 0
    .symbol:         _ZN7rocprim17ROCPRIM_400000_NS6detail17trampoline_kernelINS0_14default_configENS1_25partition_config_selectorILNS1_17partition_subalgoE1EtNS0_10empty_typeEbEEZZNS1_14partition_implILS5_1ELb0ES3_jN6thrust23THRUST_200600_302600_NS6detail15normal_iteratorINSA_10device_ptrItEEEEPS6_NSA_18transform_iteratorI7is_evenItESF_NSA_11use_defaultESK_EENS0_5tupleIJSF_NSA_16discard_iteratorISK_EEEEENSM_IJSG_SG_EEES6_PlJS6_EEE10hipError_tPvRmT3_T4_T5_T6_T7_T9_mT8_P12ihipStream_tbDpT10_ENKUlT_T0_E_clISt17integral_constantIbLb0EES1A_IbLb1EEEEDaS16_S17_EUlS16_E_NS1_11comp_targetILNS1_3genE9ELNS1_11target_archE1100ELNS1_3gpuE3ELNS1_3repE0EEENS1_30default_config_static_selectorELNS0_4arch9wavefront6targetE1EEEvT1_.kd
    .uniform_work_group_size: 1
    .uses_dynamic_stack: false
    .vgpr_count:     0
    .vgpr_spill_count: 0
    .wavefront_size: 64
  - .agpr_count:     0
    .args:
      - .offset:         0
        .size:           152
        .value_kind:     by_value
    .group_segment_fixed_size: 0
    .kernarg_segment_align: 8
    .kernarg_segment_size: 152
    .language:       OpenCL C
    .language_version:
      - 2
      - 0
    .max_flat_workgroup_size: 512
    .name:           _ZN7rocprim17ROCPRIM_400000_NS6detail17trampoline_kernelINS0_14default_configENS1_25partition_config_selectorILNS1_17partition_subalgoE1EtNS0_10empty_typeEbEEZZNS1_14partition_implILS5_1ELb0ES3_jN6thrust23THRUST_200600_302600_NS6detail15normal_iteratorINSA_10device_ptrItEEEEPS6_NSA_18transform_iteratorI7is_evenItESF_NSA_11use_defaultESK_EENS0_5tupleIJSF_NSA_16discard_iteratorISK_EEEEENSM_IJSG_SG_EEES6_PlJS6_EEE10hipError_tPvRmT3_T4_T5_T6_T7_T9_mT8_P12ihipStream_tbDpT10_ENKUlT_T0_E_clISt17integral_constantIbLb0EES1A_IbLb1EEEEDaS16_S17_EUlS16_E_NS1_11comp_targetILNS1_3genE8ELNS1_11target_archE1030ELNS1_3gpuE2ELNS1_3repE0EEENS1_30default_config_static_selectorELNS0_4arch9wavefront6targetE1EEEvT1_
    .private_segment_fixed_size: 0
    .sgpr_count:     6
    .sgpr_spill_count: 0
    .symbol:         _ZN7rocprim17ROCPRIM_400000_NS6detail17trampoline_kernelINS0_14default_configENS1_25partition_config_selectorILNS1_17partition_subalgoE1EtNS0_10empty_typeEbEEZZNS1_14partition_implILS5_1ELb0ES3_jN6thrust23THRUST_200600_302600_NS6detail15normal_iteratorINSA_10device_ptrItEEEEPS6_NSA_18transform_iteratorI7is_evenItESF_NSA_11use_defaultESK_EENS0_5tupleIJSF_NSA_16discard_iteratorISK_EEEEENSM_IJSG_SG_EEES6_PlJS6_EEE10hipError_tPvRmT3_T4_T5_T6_T7_T9_mT8_P12ihipStream_tbDpT10_ENKUlT_T0_E_clISt17integral_constantIbLb0EES1A_IbLb1EEEEDaS16_S17_EUlS16_E_NS1_11comp_targetILNS1_3genE8ELNS1_11target_archE1030ELNS1_3gpuE2ELNS1_3repE0EEENS1_30default_config_static_selectorELNS0_4arch9wavefront6targetE1EEEvT1_.kd
    .uniform_work_group_size: 1
    .uses_dynamic_stack: false
    .vgpr_count:     0
    .vgpr_spill_count: 0
    .wavefront_size: 64
  - .agpr_count:     0
    .args:
      - .offset:         0
        .size:           136
        .value_kind:     by_value
    .group_segment_fixed_size: 0
    .kernarg_segment_align: 8
    .kernarg_segment_size: 136
    .language:       OpenCL C
    .language_version:
      - 2
      - 0
    .max_flat_workgroup_size: 256
    .name:           _ZN7rocprim17ROCPRIM_400000_NS6detail17trampoline_kernelINS0_14default_configENS1_25partition_config_selectorILNS1_17partition_subalgoE1EtNS0_10empty_typeEbEEZZNS1_14partition_implILS5_1ELb0ES3_jN6thrust23THRUST_200600_302600_NS6detail15normal_iteratorINSA_10device_ptrItEEEEPS6_NSA_18transform_iteratorI7is_evenItESF_NSA_11use_defaultESK_EENS0_5tupleIJNSA_16discard_iteratorISK_EESF_EEENSM_IJSG_SG_EEES6_PlJS6_EEE10hipError_tPvRmT3_T4_T5_T6_T7_T9_mT8_P12ihipStream_tbDpT10_ENKUlT_T0_E_clISt17integral_constantIbLb0EES1B_EEDaS16_S17_EUlS16_E_NS1_11comp_targetILNS1_3genE0ELNS1_11target_archE4294967295ELNS1_3gpuE0ELNS1_3repE0EEENS1_30default_config_static_selectorELNS0_4arch9wavefront6targetE1EEEvT1_
    .private_segment_fixed_size: 0
    .sgpr_count:     6
    .sgpr_spill_count: 0
    .symbol:         _ZN7rocprim17ROCPRIM_400000_NS6detail17trampoline_kernelINS0_14default_configENS1_25partition_config_selectorILNS1_17partition_subalgoE1EtNS0_10empty_typeEbEEZZNS1_14partition_implILS5_1ELb0ES3_jN6thrust23THRUST_200600_302600_NS6detail15normal_iteratorINSA_10device_ptrItEEEEPS6_NSA_18transform_iteratorI7is_evenItESF_NSA_11use_defaultESK_EENS0_5tupleIJNSA_16discard_iteratorISK_EESF_EEENSM_IJSG_SG_EEES6_PlJS6_EEE10hipError_tPvRmT3_T4_T5_T6_T7_T9_mT8_P12ihipStream_tbDpT10_ENKUlT_T0_E_clISt17integral_constantIbLb0EES1B_EEDaS16_S17_EUlS16_E_NS1_11comp_targetILNS1_3genE0ELNS1_11target_archE4294967295ELNS1_3gpuE0ELNS1_3repE0EEENS1_30default_config_static_selectorELNS0_4arch9wavefront6targetE1EEEvT1_.kd
    .uniform_work_group_size: 1
    .uses_dynamic_stack: false
    .vgpr_count:     0
    .vgpr_spill_count: 0
    .wavefront_size: 64
  - .agpr_count:     0
    .args:
      - .offset:         0
        .size:           136
        .value_kind:     by_value
    .group_segment_fixed_size: 28680
    .kernarg_segment_align: 8
    .kernarg_segment_size: 136
    .language:       OpenCL C
    .language_version:
      - 2
      - 0
    .max_flat_workgroup_size: 512
    .name:           _ZN7rocprim17ROCPRIM_400000_NS6detail17trampoline_kernelINS0_14default_configENS1_25partition_config_selectorILNS1_17partition_subalgoE1EtNS0_10empty_typeEbEEZZNS1_14partition_implILS5_1ELb0ES3_jN6thrust23THRUST_200600_302600_NS6detail15normal_iteratorINSA_10device_ptrItEEEEPS6_NSA_18transform_iteratorI7is_evenItESF_NSA_11use_defaultESK_EENS0_5tupleIJNSA_16discard_iteratorISK_EESF_EEENSM_IJSG_SG_EEES6_PlJS6_EEE10hipError_tPvRmT3_T4_T5_T6_T7_T9_mT8_P12ihipStream_tbDpT10_ENKUlT_T0_E_clISt17integral_constantIbLb0EES1B_EEDaS16_S17_EUlS16_E_NS1_11comp_targetILNS1_3genE5ELNS1_11target_archE942ELNS1_3gpuE9ELNS1_3repE0EEENS1_30default_config_static_selectorELNS0_4arch9wavefront6targetE1EEEvT1_
    .private_segment_fixed_size: 0
    .sgpr_count:     50
    .sgpr_spill_count: 0
    .symbol:         _ZN7rocprim17ROCPRIM_400000_NS6detail17trampoline_kernelINS0_14default_configENS1_25partition_config_selectorILNS1_17partition_subalgoE1EtNS0_10empty_typeEbEEZZNS1_14partition_implILS5_1ELb0ES3_jN6thrust23THRUST_200600_302600_NS6detail15normal_iteratorINSA_10device_ptrItEEEEPS6_NSA_18transform_iteratorI7is_evenItESF_NSA_11use_defaultESK_EENS0_5tupleIJNSA_16discard_iteratorISK_EESF_EEENSM_IJSG_SG_EEES6_PlJS6_EEE10hipError_tPvRmT3_T4_T5_T6_T7_T9_mT8_P12ihipStream_tbDpT10_ENKUlT_T0_E_clISt17integral_constantIbLb0EES1B_EEDaS16_S17_EUlS16_E_NS1_11comp_targetILNS1_3genE5ELNS1_11target_archE942ELNS1_3gpuE9ELNS1_3repE0EEENS1_30default_config_static_selectorELNS0_4arch9wavefront6targetE1EEEvT1_.kd
    .uniform_work_group_size: 1
    .uses_dynamic_stack: false
    .vgpr_count:     79
    .vgpr_spill_count: 0
    .wavefront_size: 64
  - .agpr_count:     0
    .args:
      - .offset:         0
        .size:           136
        .value_kind:     by_value
    .group_segment_fixed_size: 0
    .kernarg_segment_align: 8
    .kernarg_segment_size: 136
    .language:       OpenCL C
    .language_version:
      - 2
      - 0
    .max_flat_workgroup_size: 256
    .name:           _ZN7rocprim17ROCPRIM_400000_NS6detail17trampoline_kernelINS0_14default_configENS1_25partition_config_selectorILNS1_17partition_subalgoE1EtNS0_10empty_typeEbEEZZNS1_14partition_implILS5_1ELb0ES3_jN6thrust23THRUST_200600_302600_NS6detail15normal_iteratorINSA_10device_ptrItEEEEPS6_NSA_18transform_iteratorI7is_evenItESF_NSA_11use_defaultESK_EENS0_5tupleIJNSA_16discard_iteratorISK_EESF_EEENSM_IJSG_SG_EEES6_PlJS6_EEE10hipError_tPvRmT3_T4_T5_T6_T7_T9_mT8_P12ihipStream_tbDpT10_ENKUlT_T0_E_clISt17integral_constantIbLb0EES1B_EEDaS16_S17_EUlS16_E_NS1_11comp_targetILNS1_3genE4ELNS1_11target_archE910ELNS1_3gpuE8ELNS1_3repE0EEENS1_30default_config_static_selectorELNS0_4arch9wavefront6targetE1EEEvT1_
    .private_segment_fixed_size: 0
    .sgpr_count:     6
    .sgpr_spill_count: 0
    .symbol:         _ZN7rocprim17ROCPRIM_400000_NS6detail17trampoline_kernelINS0_14default_configENS1_25partition_config_selectorILNS1_17partition_subalgoE1EtNS0_10empty_typeEbEEZZNS1_14partition_implILS5_1ELb0ES3_jN6thrust23THRUST_200600_302600_NS6detail15normal_iteratorINSA_10device_ptrItEEEEPS6_NSA_18transform_iteratorI7is_evenItESF_NSA_11use_defaultESK_EENS0_5tupleIJNSA_16discard_iteratorISK_EESF_EEENSM_IJSG_SG_EEES6_PlJS6_EEE10hipError_tPvRmT3_T4_T5_T6_T7_T9_mT8_P12ihipStream_tbDpT10_ENKUlT_T0_E_clISt17integral_constantIbLb0EES1B_EEDaS16_S17_EUlS16_E_NS1_11comp_targetILNS1_3genE4ELNS1_11target_archE910ELNS1_3gpuE8ELNS1_3repE0EEENS1_30default_config_static_selectorELNS0_4arch9wavefront6targetE1EEEvT1_.kd
    .uniform_work_group_size: 1
    .uses_dynamic_stack: false
    .vgpr_count:     0
    .vgpr_spill_count: 0
    .wavefront_size: 64
  - .agpr_count:     0
    .args:
      - .offset:         0
        .size:           136
        .value_kind:     by_value
    .group_segment_fixed_size: 0
    .kernarg_segment_align: 8
    .kernarg_segment_size: 136
    .language:       OpenCL C
    .language_version:
      - 2
      - 0
    .max_flat_workgroup_size: 256
    .name:           _ZN7rocprim17ROCPRIM_400000_NS6detail17trampoline_kernelINS0_14default_configENS1_25partition_config_selectorILNS1_17partition_subalgoE1EtNS0_10empty_typeEbEEZZNS1_14partition_implILS5_1ELb0ES3_jN6thrust23THRUST_200600_302600_NS6detail15normal_iteratorINSA_10device_ptrItEEEEPS6_NSA_18transform_iteratorI7is_evenItESF_NSA_11use_defaultESK_EENS0_5tupleIJNSA_16discard_iteratorISK_EESF_EEENSM_IJSG_SG_EEES6_PlJS6_EEE10hipError_tPvRmT3_T4_T5_T6_T7_T9_mT8_P12ihipStream_tbDpT10_ENKUlT_T0_E_clISt17integral_constantIbLb0EES1B_EEDaS16_S17_EUlS16_E_NS1_11comp_targetILNS1_3genE3ELNS1_11target_archE908ELNS1_3gpuE7ELNS1_3repE0EEENS1_30default_config_static_selectorELNS0_4arch9wavefront6targetE1EEEvT1_
    .private_segment_fixed_size: 0
    .sgpr_count:     6
    .sgpr_spill_count: 0
    .symbol:         _ZN7rocprim17ROCPRIM_400000_NS6detail17trampoline_kernelINS0_14default_configENS1_25partition_config_selectorILNS1_17partition_subalgoE1EtNS0_10empty_typeEbEEZZNS1_14partition_implILS5_1ELb0ES3_jN6thrust23THRUST_200600_302600_NS6detail15normal_iteratorINSA_10device_ptrItEEEEPS6_NSA_18transform_iteratorI7is_evenItESF_NSA_11use_defaultESK_EENS0_5tupleIJNSA_16discard_iteratorISK_EESF_EEENSM_IJSG_SG_EEES6_PlJS6_EEE10hipError_tPvRmT3_T4_T5_T6_T7_T9_mT8_P12ihipStream_tbDpT10_ENKUlT_T0_E_clISt17integral_constantIbLb0EES1B_EEDaS16_S17_EUlS16_E_NS1_11comp_targetILNS1_3genE3ELNS1_11target_archE908ELNS1_3gpuE7ELNS1_3repE0EEENS1_30default_config_static_selectorELNS0_4arch9wavefront6targetE1EEEvT1_.kd
    .uniform_work_group_size: 1
    .uses_dynamic_stack: false
    .vgpr_count:     0
    .vgpr_spill_count: 0
    .wavefront_size: 64
  - .agpr_count:     0
    .args:
      - .offset:         0
        .size:           136
        .value_kind:     by_value
    .group_segment_fixed_size: 0
    .kernarg_segment_align: 8
    .kernarg_segment_size: 136
    .language:       OpenCL C
    .language_version:
      - 2
      - 0
    .max_flat_workgroup_size: 256
    .name:           _ZN7rocprim17ROCPRIM_400000_NS6detail17trampoline_kernelINS0_14default_configENS1_25partition_config_selectorILNS1_17partition_subalgoE1EtNS0_10empty_typeEbEEZZNS1_14partition_implILS5_1ELb0ES3_jN6thrust23THRUST_200600_302600_NS6detail15normal_iteratorINSA_10device_ptrItEEEEPS6_NSA_18transform_iteratorI7is_evenItESF_NSA_11use_defaultESK_EENS0_5tupleIJNSA_16discard_iteratorISK_EESF_EEENSM_IJSG_SG_EEES6_PlJS6_EEE10hipError_tPvRmT3_T4_T5_T6_T7_T9_mT8_P12ihipStream_tbDpT10_ENKUlT_T0_E_clISt17integral_constantIbLb0EES1B_EEDaS16_S17_EUlS16_E_NS1_11comp_targetILNS1_3genE2ELNS1_11target_archE906ELNS1_3gpuE6ELNS1_3repE0EEENS1_30default_config_static_selectorELNS0_4arch9wavefront6targetE1EEEvT1_
    .private_segment_fixed_size: 0
    .sgpr_count:     6
    .sgpr_spill_count: 0
    .symbol:         _ZN7rocprim17ROCPRIM_400000_NS6detail17trampoline_kernelINS0_14default_configENS1_25partition_config_selectorILNS1_17partition_subalgoE1EtNS0_10empty_typeEbEEZZNS1_14partition_implILS5_1ELb0ES3_jN6thrust23THRUST_200600_302600_NS6detail15normal_iteratorINSA_10device_ptrItEEEEPS6_NSA_18transform_iteratorI7is_evenItESF_NSA_11use_defaultESK_EENS0_5tupleIJNSA_16discard_iteratorISK_EESF_EEENSM_IJSG_SG_EEES6_PlJS6_EEE10hipError_tPvRmT3_T4_T5_T6_T7_T9_mT8_P12ihipStream_tbDpT10_ENKUlT_T0_E_clISt17integral_constantIbLb0EES1B_EEDaS16_S17_EUlS16_E_NS1_11comp_targetILNS1_3genE2ELNS1_11target_archE906ELNS1_3gpuE6ELNS1_3repE0EEENS1_30default_config_static_selectorELNS0_4arch9wavefront6targetE1EEEvT1_.kd
    .uniform_work_group_size: 1
    .uses_dynamic_stack: false
    .vgpr_count:     0
    .vgpr_spill_count: 0
    .wavefront_size: 64
  - .agpr_count:     0
    .args:
      - .offset:         0
        .size:           136
        .value_kind:     by_value
    .group_segment_fixed_size: 0
    .kernarg_segment_align: 8
    .kernarg_segment_size: 136
    .language:       OpenCL C
    .language_version:
      - 2
      - 0
    .max_flat_workgroup_size: 384
    .name:           _ZN7rocprim17ROCPRIM_400000_NS6detail17trampoline_kernelINS0_14default_configENS1_25partition_config_selectorILNS1_17partition_subalgoE1EtNS0_10empty_typeEbEEZZNS1_14partition_implILS5_1ELb0ES3_jN6thrust23THRUST_200600_302600_NS6detail15normal_iteratorINSA_10device_ptrItEEEEPS6_NSA_18transform_iteratorI7is_evenItESF_NSA_11use_defaultESK_EENS0_5tupleIJNSA_16discard_iteratorISK_EESF_EEENSM_IJSG_SG_EEES6_PlJS6_EEE10hipError_tPvRmT3_T4_T5_T6_T7_T9_mT8_P12ihipStream_tbDpT10_ENKUlT_T0_E_clISt17integral_constantIbLb0EES1B_EEDaS16_S17_EUlS16_E_NS1_11comp_targetILNS1_3genE10ELNS1_11target_archE1200ELNS1_3gpuE4ELNS1_3repE0EEENS1_30default_config_static_selectorELNS0_4arch9wavefront6targetE1EEEvT1_
    .private_segment_fixed_size: 0
    .sgpr_count:     6
    .sgpr_spill_count: 0
    .symbol:         _ZN7rocprim17ROCPRIM_400000_NS6detail17trampoline_kernelINS0_14default_configENS1_25partition_config_selectorILNS1_17partition_subalgoE1EtNS0_10empty_typeEbEEZZNS1_14partition_implILS5_1ELb0ES3_jN6thrust23THRUST_200600_302600_NS6detail15normal_iteratorINSA_10device_ptrItEEEEPS6_NSA_18transform_iteratorI7is_evenItESF_NSA_11use_defaultESK_EENS0_5tupleIJNSA_16discard_iteratorISK_EESF_EEENSM_IJSG_SG_EEES6_PlJS6_EEE10hipError_tPvRmT3_T4_T5_T6_T7_T9_mT8_P12ihipStream_tbDpT10_ENKUlT_T0_E_clISt17integral_constantIbLb0EES1B_EEDaS16_S17_EUlS16_E_NS1_11comp_targetILNS1_3genE10ELNS1_11target_archE1200ELNS1_3gpuE4ELNS1_3repE0EEENS1_30default_config_static_selectorELNS0_4arch9wavefront6targetE1EEEvT1_.kd
    .uniform_work_group_size: 1
    .uses_dynamic_stack: false
    .vgpr_count:     0
    .vgpr_spill_count: 0
    .wavefront_size: 64
  - .agpr_count:     0
    .args:
      - .offset:         0
        .size:           136
        .value_kind:     by_value
    .group_segment_fixed_size: 0
    .kernarg_segment_align: 8
    .kernarg_segment_size: 136
    .language:       OpenCL C
    .language_version:
      - 2
      - 0
    .max_flat_workgroup_size: 128
    .name:           _ZN7rocprim17ROCPRIM_400000_NS6detail17trampoline_kernelINS0_14default_configENS1_25partition_config_selectorILNS1_17partition_subalgoE1EtNS0_10empty_typeEbEEZZNS1_14partition_implILS5_1ELb0ES3_jN6thrust23THRUST_200600_302600_NS6detail15normal_iteratorINSA_10device_ptrItEEEEPS6_NSA_18transform_iteratorI7is_evenItESF_NSA_11use_defaultESK_EENS0_5tupleIJNSA_16discard_iteratorISK_EESF_EEENSM_IJSG_SG_EEES6_PlJS6_EEE10hipError_tPvRmT3_T4_T5_T6_T7_T9_mT8_P12ihipStream_tbDpT10_ENKUlT_T0_E_clISt17integral_constantIbLb0EES1B_EEDaS16_S17_EUlS16_E_NS1_11comp_targetILNS1_3genE9ELNS1_11target_archE1100ELNS1_3gpuE3ELNS1_3repE0EEENS1_30default_config_static_selectorELNS0_4arch9wavefront6targetE1EEEvT1_
    .private_segment_fixed_size: 0
    .sgpr_count:     6
    .sgpr_spill_count: 0
    .symbol:         _ZN7rocprim17ROCPRIM_400000_NS6detail17trampoline_kernelINS0_14default_configENS1_25partition_config_selectorILNS1_17partition_subalgoE1EtNS0_10empty_typeEbEEZZNS1_14partition_implILS5_1ELb0ES3_jN6thrust23THRUST_200600_302600_NS6detail15normal_iteratorINSA_10device_ptrItEEEEPS6_NSA_18transform_iteratorI7is_evenItESF_NSA_11use_defaultESK_EENS0_5tupleIJNSA_16discard_iteratorISK_EESF_EEENSM_IJSG_SG_EEES6_PlJS6_EEE10hipError_tPvRmT3_T4_T5_T6_T7_T9_mT8_P12ihipStream_tbDpT10_ENKUlT_T0_E_clISt17integral_constantIbLb0EES1B_EEDaS16_S17_EUlS16_E_NS1_11comp_targetILNS1_3genE9ELNS1_11target_archE1100ELNS1_3gpuE3ELNS1_3repE0EEENS1_30default_config_static_selectorELNS0_4arch9wavefront6targetE1EEEvT1_.kd
    .uniform_work_group_size: 1
    .uses_dynamic_stack: false
    .vgpr_count:     0
    .vgpr_spill_count: 0
    .wavefront_size: 64
  - .agpr_count:     0
    .args:
      - .offset:         0
        .size:           136
        .value_kind:     by_value
    .group_segment_fixed_size: 0
    .kernarg_segment_align: 8
    .kernarg_segment_size: 136
    .language:       OpenCL C
    .language_version:
      - 2
      - 0
    .max_flat_workgroup_size: 512
    .name:           _ZN7rocprim17ROCPRIM_400000_NS6detail17trampoline_kernelINS0_14default_configENS1_25partition_config_selectorILNS1_17partition_subalgoE1EtNS0_10empty_typeEbEEZZNS1_14partition_implILS5_1ELb0ES3_jN6thrust23THRUST_200600_302600_NS6detail15normal_iteratorINSA_10device_ptrItEEEEPS6_NSA_18transform_iteratorI7is_evenItESF_NSA_11use_defaultESK_EENS0_5tupleIJNSA_16discard_iteratorISK_EESF_EEENSM_IJSG_SG_EEES6_PlJS6_EEE10hipError_tPvRmT3_T4_T5_T6_T7_T9_mT8_P12ihipStream_tbDpT10_ENKUlT_T0_E_clISt17integral_constantIbLb0EES1B_EEDaS16_S17_EUlS16_E_NS1_11comp_targetILNS1_3genE8ELNS1_11target_archE1030ELNS1_3gpuE2ELNS1_3repE0EEENS1_30default_config_static_selectorELNS0_4arch9wavefront6targetE1EEEvT1_
    .private_segment_fixed_size: 0
    .sgpr_count:     6
    .sgpr_spill_count: 0
    .symbol:         _ZN7rocprim17ROCPRIM_400000_NS6detail17trampoline_kernelINS0_14default_configENS1_25partition_config_selectorILNS1_17partition_subalgoE1EtNS0_10empty_typeEbEEZZNS1_14partition_implILS5_1ELb0ES3_jN6thrust23THRUST_200600_302600_NS6detail15normal_iteratorINSA_10device_ptrItEEEEPS6_NSA_18transform_iteratorI7is_evenItESF_NSA_11use_defaultESK_EENS0_5tupleIJNSA_16discard_iteratorISK_EESF_EEENSM_IJSG_SG_EEES6_PlJS6_EEE10hipError_tPvRmT3_T4_T5_T6_T7_T9_mT8_P12ihipStream_tbDpT10_ENKUlT_T0_E_clISt17integral_constantIbLb0EES1B_EEDaS16_S17_EUlS16_E_NS1_11comp_targetILNS1_3genE8ELNS1_11target_archE1030ELNS1_3gpuE2ELNS1_3repE0EEENS1_30default_config_static_selectorELNS0_4arch9wavefront6targetE1EEEvT1_.kd
    .uniform_work_group_size: 1
    .uses_dynamic_stack: false
    .vgpr_count:     0
    .vgpr_spill_count: 0
    .wavefront_size: 64
  - .agpr_count:     0
    .args:
      - .offset:         0
        .size:           152
        .value_kind:     by_value
    .group_segment_fixed_size: 0
    .kernarg_segment_align: 8
    .kernarg_segment_size: 152
    .language:       OpenCL C
    .language_version:
      - 2
      - 0
    .max_flat_workgroup_size: 256
    .name:           _ZN7rocprim17ROCPRIM_400000_NS6detail17trampoline_kernelINS0_14default_configENS1_25partition_config_selectorILNS1_17partition_subalgoE1EtNS0_10empty_typeEbEEZZNS1_14partition_implILS5_1ELb0ES3_jN6thrust23THRUST_200600_302600_NS6detail15normal_iteratorINSA_10device_ptrItEEEEPS6_NSA_18transform_iteratorI7is_evenItESF_NSA_11use_defaultESK_EENS0_5tupleIJNSA_16discard_iteratorISK_EESF_EEENSM_IJSG_SG_EEES6_PlJS6_EEE10hipError_tPvRmT3_T4_T5_T6_T7_T9_mT8_P12ihipStream_tbDpT10_ENKUlT_T0_E_clISt17integral_constantIbLb1EES1B_EEDaS16_S17_EUlS16_E_NS1_11comp_targetILNS1_3genE0ELNS1_11target_archE4294967295ELNS1_3gpuE0ELNS1_3repE0EEENS1_30default_config_static_selectorELNS0_4arch9wavefront6targetE1EEEvT1_
    .private_segment_fixed_size: 0
    .sgpr_count:     6
    .sgpr_spill_count: 0
    .symbol:         _ZN7rocprim17ROCPRIM_400000_NS6detail17trampoline_kernelINS0_14default_configENS1_25partition_config_selectorILNS1_17partition_subalgoE1EtNS0_10empty_typeEbEEZZNS1_14partition_implILS5_1ELb0ES3_jN6thrust23THRUST_200600_302600_NS6detail15normal_iteratorINSA_10device_ptrItEEEEPS6_NSA_18transform_iteratorI7is_evenItESF_NSA_11use_defaultESK_EENS0_5tupleIJNSA_16discard_iteratorISK_EESF_EEENSM_IJSG_SG_EEES6_PlJS6_EEE10hipError_tPvRmT3_T4_T5_T6_T7_T9_mT8_P12ihipStream_tbDpT10_ENKUlT_T0_E_clISt17integral_constantIbLb1EES1B_EEDaS16_S17_EUlS16_E_NS1_11comp_targetILNS1_3genE0ELNS1_11target_archE4294967295ELNS1_3gpuE0ELNS1_3repE0EEENS1_30default_config_static_selectorELNS0_4arch9wavefront6targetE1EEEvT1_.kd
    .uniform_work_group_size: 1
    .uses_dynamic_stack: false
    .vgpr_count:     0
    .vgpr_spill_count: 0
    .wavefront_size: 64
  - .agpr_count:     0
    .args:
      - .offset:         0
        .size:           152
        .value_kind:     by_value
    .group_segment_fixed_size: 28680
    .kernarg_segment_align: 8
    .kernarg_segment_size: 152
    .language:       OpenCL C
    .language_version:
      - 2
      - 0
    .max_flat_workgroup_size: 512
    .name:           _ZN7rocprim17ROCPRIM_400000_NS6detail17trampoline_kernelINS0_14default_configENS1_25partition_config_selectorILNS1_17partition_subalgoE1EtNS0_10empty_typeEbEEZZNS1_14partition_implILS5_1ELb0ES3_jN6thrust23THRUST_200600_302600_NS6detail15normal_iteratorINSA_10device_ptrItEEEEPS6_NSA_18transform_iteratorI7is_evenItESF_NSA_11use_defaultESK_EENS0_5tupleIJNSA_16discard_iteratorISK_EESF_EEENSM_IJSG_SG_EEES6_PlJS6_EEE10hipError_tPvRmT3_T4_T5_T6_T7_T9_mT8_P12ihipStream_tbDpT10_ENKUlT_T0_E_clISt17integral_constantIbLb1EES1B_EEDaS16_S17_EUlS16_E_NS1_11comp_targetILNS1_3genE5ELNS1_11target_archE942ELNS1_3gpuE9ELNS1_3repE0EEENS1_30default_config_static_selectorELNS0_4arch9wavefront6targetE1EEEvT1_
    .private_segment_fixed_size: 0
    .sgpr_count:     48
    .sgpr_spill_count: 0
    .symbol:         _ZN7rocprim17ROCPRIM_400000_NS6detail17trampoline_kernelINS0_14default_configENS1_25partition_config_selectorILNS1_17partition_subalgoE1EtNS0_10empty_typeEbEEZZNS1_14partition_implILS5_1ELb0ES3_jN6thrust23THRUST_200600_302600_NS6detail15normal_iteratorINSA_10device_ptrItEEEEPS6_NSA_18transform_iteratorI7is_evenItESF_NSA_11use_defaultESK_EENS0_5tupleIJNSA_16discard_iteratorISK_EESF_EEENSM_IJSG_SG_EEES6_PlJS6_EEE10hipError_tPvRmT3_T4_T5_T6_T7_T9_mT8_P12ihipStream_tbDpT10_ENKUlT_T0_E_clISt17integral_constantIbLb1EES1B_EEDaS16_S17_EUlS16_E_NS1_11comp_targetILNS1_3genE5ELNS1_11target_archE942ELNS1_3gpuE9ELNS1_3repE0EEENS1_30default_config_static_selectorELNS0_4arch9wavefront6targetE1EEEvT1_.kd
    .uniform_work_group_size: 1
    .uses_dynamic_stack: false
    .vgpr_count:     83
    .vgpr_spill_count: 0
    .wavefront_size: 64
  - .agpr_count:     0
    .args:
      - .offset:         0
        .size:           152
        .value_kind:     by_value
    .group_segment_fixed_size: 0
    .kernarg_segment_align: 8
    .kernarg_segment_size: 152
    .language:       OpenCL C
    .language_version:
      - 2
      - 0
    .max_flat_workgroup_size: 256
    .name:           _ZN7rocprim17ROCPRIM_400000_NS6detail17trampoline_kernelINS0_14default_configENS1_25partition_config_selectorILNS1_17partition_subalgoE1EtNS0_10empty_typeEbEEZZNS1_14partition_implILS5_1ELb0ES3_jN6thrust23THRUST_200600_302600_NS6detail15normal_iteratorINSA_10device_ptrItEEEEPS6_NSA_18transform_iteratorI7is_evenItESF_NSA_11use_defaultESK_EENS0_5tupleIJNSA_16discard_iteratorISK_EESF_EEENSM_IJSG_SG_EEES6_PlJS6_EEE10hipError_tPvRmT3_T4_T5_T6_T7_T9_mT8_P12ihipStream_tbDpT10_ENKUlT_T0_E_clISt17integral_constantIbLb1EES1B_EEDaS16_S17_EUlS16_E_NS1_11comp_targetILNS1_3genE4ELNS1_11target_archE910ELNS1_3gpuE8ELNS1_3repE0EEENS1_30default_config_static_selectorELNS0_4arch9wavefront6targetE1EEEvT1_
    .private_segment_fixed_size: 0
    .sgpr_count:     6
    .sgpr_spill_count: 0
    .symbol:         _ZN7rocprim17ROCPRIM_400000_NS6detail17trampoline_kernelINS0_14default_configENS1_25partition_config_selectorILNS1_17partition_subalgoE1EtNS0_10empty_typeEbEEZZNS1_14partition_implILS5_1ELb0ES3_jN6thrust23THRUST_200600_302600_NS6detail15normal_iteratorINSA_10device_ptrItEEEEPS6_NSA_18transform_iteratorI7is_evenItESF_NSA_11use_defaultESK_EENS0_5tupleIJNSA_16discard_iteratorISK_EESF_EEENSM_IJSG_SG_EEES6_PlJS6_EEE10hipError_tPvRmT3_T4_T5_T6_T7_T9_mT8_P12ihipStream_tbDpT10_ENKUlT_T0_E_clISt17integral_constantIbLb1EES1B_EEDaS16_S17_EUlS16_E_NS1_11comp_targetILNS1_3genE4ELNS1_11target_archE910ELNS1_3gpuE8ELNS1_3repE0EEENS1_30default_config_static_selectorELNS0_4arch9wavefront6targetE1EEEvT1_.kd
    .uniform_work_group_size: 1
    .uses_dynamic_stack: false
    .vgpr_count:     0
    .vgpr_spill_count: 0
    .wavefront_size: 64
  - .agpr_count:     0
    .args:
      - .offset:         0
        .size:           152
        .value_kind:     by_value
    .group_segment_fixed_size: 0
    .kernarg_segment_align: 8
    .kernarg_segment_size: 152
    .language:       OpenCL C
    .language_version:
      - 2
      - 0
    .max_flat_workgroup_size: 256
    .name:           _ZN7rocprim17ROCPRIM_400000_NS6detail17trampoline_kernelINS0_14default_configENS1_25partition_config_selectorILNS1_17partition_subalgoE1EtNS0_10empty_typeEbEEZZNS1_14partition_implILS5_1ELb0ES3_jN6thrust23THRUST_200600_302600_NS6detail15normal_iteratorINSA_10device_ptrItEEEEPS6_NSA_18transform_iteratorI7is_evenItESF_NSA_11use_defaultESK_EENS0_5tupleIJNSA_16discard_iteratorISK_EESF_EEENSM_IJSG_SG_EEES6_PlJS6_EEE10hipError_tPvRmT3_T4_T5_T6_T7_T9_mT8_P12ihipStream_tbDpT10_ENKUlT_T0_E_clISt17integral_constantIbLb1EES1B_EEDaS16_S17_EUlS16_E_NS1_11comp_targetILNS1_3genE3ELNS1_11target_archE908ELNS1_3gpuE7ELNS1_3repE0EEENS1_30default_config_static_selectorELNS0_4arch9wavefront6targetE1EEEvT1_
    .private_segment_fixed_size: 0
    .sgpr_count:     6
    .sgpr_spill_count: 0
    .symbol:         _ZN7rocprim17ROCPRIM_400000_NS6detail17trampoline_kernelINS0_14default_configENS1_25partition_config_selectorILNS1_17partition_subalgoE1EtNS0_10empty_typeEbEEZZNS1_14partition_implILS5_1ELb0ES3_jN6thrust23THRUST_200600_302600_NS6detail15normal_iteratorINSA_10device_ptrItEEEEPS6_NSA_18transform_iteratorI7is_evenItESF_NSA_11use_defaultESK_EENS0_5tupleIJNSA_16discard_iteratorISK_EESF_EEENSM_IJSG_SG_EEES6_PlJS6_EEE10hipError_tPvRmT3_T4_T5_T6_T7_T9_mT8_P12ihipStream_tbDpT10_ENKUlT_T0_E_clISt17integral_constantIbLb1EES1B_EEDaS16_S17_EUlS16_E_NS1_11comp_targetILNS1_3genE3ELNS1_11target_archE908ELNS1_3gpuE7ELNS1_3repE0EEENS1_30default_config_static_selectorELNS0_4arch9wavefront6targetE1EEEvT1_.kd
    .uniform_work_group_size: 1
    .uses_dynamic_stack: false
    .vgpr_count:     0
    .vgpr_spill_count: 0
    .wavefront_size: 64
  - .agpr_count:     0
    .args:
      - .offset:         0
        .size:           152
        .value_kind:     by_value
    .group_segment_fixed_size: 0
    .kernarg_segment_align: 8
    .kernarg_segment_size: 152
    .language:       OpenCL C
    .language_version:
      - 2
      - 0
    .max_flat_workgroup_size: 256
    .name:           _ZN7rocprim17ROCPRIM_400000_NS6detail17trampoline_kernelINS0_14default_configENS1_25partition_config_selectorILNS1_17partition_subalgoE1EtNS0_10empty_typeEbEEZZNS1_14partition_implILS5_1ELb0ES3_jN6thrust23THRUST_200600_302600_NS6detail15normal_iteratorINSA_10device_ptrItEEEEPS6_NSA_18transform_iteratorI7is_evenItESF_NSA_11use_defaultESK_EENS0_5tupleIJNSA_16discard_iteratorISK_EESF_EEENSM_IJSG_SG_EEES6_PlJS6_EEE10hipError_tPvRmT3_T4_T5_T6_T7_T9_mT8_P12ihipStream_tbDpT10_ENKUlT_T0_E_clISt17integral_constantIbLb1EES1B_EEDaS16_S17_EUlS16_E_NS1_11comp_targetILNS1_3genE2ELNS1_11target_archE906ELNS1_3gpuE6ELNS1_3repE0EEENS1_30default_config_static_selectorELNS0_4arch9wavefront6targetE1EEEvT1_
    .private_segment_fixed_size: 0
    .sgpr_count:     6
    .sgpr_spill_count: 0
    .symbol:         _ZN7rocprim17ROCPRIM_400000_NS6detail17trampoline_kernelINS0_14default_configENS1_25partition_config_selectorILNS1_17partition_subalgoE1EtNS0_10empty_typeEbEEZZNS1_14partition_implILS5_1ELb0ES3_jN6thrust23THRUST_200600_302600_NS6detail15normal_iteratorINSA_10device_ptrItEEEEPS6_NSA_18transform_iteratorI7is_evenItESF_NSA_11use_defaultESK_EENS0_5tupleIJNSA_16discard_iteratorISK_EESF_EEENSM_IJSG_SG_EEES6_PlJS6_EEE10hipError_tPvRmT3_T4_T5_T6_T7_T9_mT8_P12ihipStream_tbDpT10_ENKUlT_T0_E_clISt17integral_constantIbLb1EES1B_EEDaS16_S17_EUlS16_E_NS1_11comp_targetILNS1_3genE2ELNS1_11target_archE906ELNS1_3gpuE6ELNS1_3repE0EEENS1_30default_config_static_selectorELNS0_4arch9wavefront6targetE1EEEvT1_.kd
    .uniform_work_group_size: 1
    .uses_dynamic_stack: false
    .vgpr_count:     0
    .vgpr_spill_count: 0
    .wavefront_size: 64
  - .agpr_count:     0
    .args:
      - .offset:         0
        .size:           152
        .value_kind:     by_value
    .group_segment_fixed_size: 0
    .kernarg_segment_align: 8
    .kernarg_segment_size: 152
    .language:       OpenCL C
    .language_version:
      - 2
      - 0
    .max_flat_workgroup_size: 384
    .name:           _ZN7rocprim17ROCPRIM_400000_NS6detail17trampoline_kernelINS0_14default_configENS1_25partition_config_selectorILNS1_17partition_subalgoE1EtNS0_10empty_typeEbEEZZNS1_14partition_implILS5_1ELb0ES3_jN6thrust23THRUST_200600_302600_NS6detail15normal_iteratorINSA_10device_ptrItEEEEPS6_NSA_18transform_iteratorI7is_evenItESF_NSA_11use_defaultESK_EENS0_5tupleIJNSA_16discard_iteratorISK_EESF_EEENSM_IJSG_SG_EEES6_PlJS6_EEE10hipError_tPvRmT3_T4_T5_T6_T7_T9_mT8_P12ihipStream_tbDpT10_ENKUlT_T0_E_clISt17integral_constantIbLb1EES1B_EEDaS16_S17_EUlS16_E_NS1_11comp_targetILNS1_3genE10ELNS1_11target_archE1200ELNS1_3gpuE4ELNS1_3repE0EEENS1_30default_config_static_selectorELNS0_4arch9wavefront6targetE1EEEvT1_
    .private_segment_fixed_size: 0
    .sgpr_count:     6
    .sgpr_spill_count: 0
    .symbol:         _ZN7rocprim17ROCPRIM_400000_NS6detail17trampoline_kernelINS0_14default_configENS1_25partition_config_selectorILNS1_17partition_subalgoE1EtNS0_10empty_typeEbEEZZNS1_14partition_implILS5_1ELb0ES3_jN6thrust23THRUST_200600_302600_NS6detail15normal_iteratorINSA_10device_ptrItEEEEPS6_NSA_18transform_iteratorI7is_evenItESF_NSA_11use_defaultESK_EENS0_5tupleIJNSA_16discard_iteratorISK_EESF_EEENSM_IJSG_SG_EEES6_PlJS6_EEE10hipError_tPvRmT3_T4_T5_T6_T7_T9_mT8_P12ihipStream_tbDpT10_ENKUlT_T0_E_clISt17integral_constantIbLb1EES1B_EEDaS16_S17_EUlS16_E_NS1_11comp_targetILNS1_3genE10ELNS1_11target_archE1200ELNS1_3gpuE4ELNS1_3repE0EEENS1_30default_config_static_selectorELNS0_4arch9wavefront6targetE1EEEvT1_.kd
    .uniform_work_group_size: 1
    .uses_dynamic_stack: false
    .vgpr_count:     0
    .vgpr_spill_count: 0
    .wavefront_size: 64
  - .agpr_count:     0
    .args:
      - .offset:         0
        .size:           152
        .value_kind:     by_value
    .group_segment_fixed_size: 0
    .kernarg_segment_align: 8
    .kernarg_segment_size: 152
    .language:       OpenCL C
    .language_version:
      - 2
      - 0
    .max_flat_workgroup_size: 128
    .name:           _ZN7rocprim17ROCPRIM_400000_NS6detail17trampoline_kernelINS0_14default_configENS1_25partition_config_selectorILNS1_17partition_subalgoE1EtNS0_10empty_typeEbEEZZNS1_14partition_implILS5_1ELb0ES3_jN6thrust23THRUST_200600_302600_NS6detail15normal_iteratorINSA_10device_ptrItEEEEPS6_NSA_18transform_iteratorI7is_evenItESF_NSA_11use_defaultESK_EENS0_5tupleIJNSA_16discard_iteratorISK_EESF_EEENSM_IJSG_SG_EEES6_PlJS6_EEE10hipError_tPvRmT3_T4_T5_T6_T7_T9_mT8_P12ihipStream_tbDpT10_ENKUlT_T0_E_clISt17integral_constantIbLb1EES1B_EEDaS16_S17_EUlS16_E_NS1_11comp_targetILNS1_3genE9ELNS1_11target_archE1100ELNS1_3gpuE3ELNS1_3repE0EEENS1_30default_config_static_selectorELNS0_4arch9wavefront6targetE1EEEvT1_
    .private_segment_fixed_size: 0
    .sgpr_count:     6
    .sgpr_spill_count: 0
    .symbol:         _ZN7rocprim17ROCPRIM_400000_NS6detail17trampoline_kernelINS0_14default_configENS1_25partition_config_selectorILNS1_17partition_subalgoE1EtNS0_10empty_typeEbEEZZNS1_14partition_implILS5_1ELb0ES3_jN6thrust23THRUST_200600_302600_NS6detail15normal_iteratorINSA_10device_ptrItEEEEPS6_NSA_18transform_iteratorI7is_evenItESF_NSA_11use_defaultESK_EENS0_5tupleIJNSA_16discard_iteratorISK_EESF_EEENSM_IJSG_SG_EEES6_PlJS6_EEE10hipError_tPvRmT3_T4_T5_T6_T7_T9_mT8_P12ihipStream_tbDpT10_ENKUlT_T0_E_clISt17integral_constantIbLb1EES1B_EEDaS16_S17_EUlS16_E_NS1_11comp_targetILNS1_3genE9ELNS1_11target_archE1100ELNS1_3gpuE3ELNS1_3repE0EEENS1_30default_config_static_selectorELNS0_4arch9wavefront6targetE1EEEvT1_.kd
    .uniform_work_group_size: 1
    .uses_dynamic_stack: false
    .vgpr_count:     0
    .vgpr_spill_count: 0
    .wavefront_size: 64
  - .agpr_count:     0
    .args:
      - .offset:         0
        .size:           152
        .value_kind:     by_value
    .group_segment_fixed_size: 0
    .kernarg_segment_align: 8
    .kernarg_segment_size: 152
    .language:       OpenCL C
    .language_version:
      - 2
      - 0
    .max_flat_workgroup_size: 512
    .name:           _ZN7rocprim17ROCPRIM_400000_NS6detail17trampoline_kernelINS0_14default_configENS1_25partition_config_selectorILNS1_17partition_subalgoE1EtNS0_10empty_typeEbEEZZNS1_14partition_implILS5_1ELb0ES3_jN6thrust23THRUST_200600_302600_NS6detail15normal_iteratorINSA_10device_ptrItEEEEPS6_NSA_18transform_iteratorI7is_evenItESF_NSA_11use_defaultESK_EENS0_5tupleIJNSA_16discard_iteratorISK_EESF_EEENSM_IJSG_SG_EEES6_PlJS6_EEE10hipError_tPvRmT3_T4_T5_T6_T7_T9_mT8_P12ihipStream_tbDpT10_ENKUlT_T0_E_clISt17integral_constantIbLb1EES1B_EEDaS16_S17_EUlS16_E_NS1_11comp_targetILNS1_3genE8ELNS1_11target_archE1030ELNS1_3gpuE2ELNS1_3repE0EEENS1_30default_config_static_selectorELNS0_4arch9wavefront6targetE1EEEvT1_
    .private_segment_fixed_size: 0
    .sgpr_count:     6
    .sgpr_spill_count: 0
    .symbol:         _ZN7rocprim17ROCPRIM_400000_NS6detail17trampoline_kernelINS0_14default_configENS1_25partition_config_selectorILNS1_17partition_subalgoE1EtNS0_10empty_typeEbEEZZNS1_14partition_implILS5_1ELb0ES3_jN6thrust23THRUST_200600_302600_NS6detail15normal_iteratorINSA_10device_ptrItEEEEPS6_NSA_18transform_iteratorI7is_evenItESF_NSA_11use_defaultESK_EENS0_5tupleIJNSA_16discard_iteratorISK_EESF_EEENSM_IJSG_SG_EEES6_PlJS6_EEE10hipError_tPvRmT3_T4_T5_T6_T7_T9_mT8_P12ihipStream_tbDpT10_ENKUlT_T0_E_clISt17integral_constantIbLb1EES1B_EEDaS16_S17_EUlS16_E_NS1_11comp_targetILNS1_3genE8ELNS1_11target_archE1030ELNS1_3gpuE2ELNS1_3repE0EEENS1_30default_config_static_selectorELNS0_4arch9wavefront6targetE1EEEvT1_.kd
    .uniform_work_group_size: 1
    .uses_dynamic_stack: false
    .vgpr_count:     0
    .vgpr_spill_count: 0
    .wavefront_size: 64
  - .agpr_count:     0
    .args:
      - .offset:         0
        .size:           136
        .value_kind:     by_value
    .group_segment_fixed_size: 0
    .kernarg_segment_align: 8
    .kernarg_segment_size: 136
    .language:       OpenCL C
    .language_version:
      - 2
      - 0
    .max_flat_workgroup_size: 256
    .name:           _ZN7rocprim17ROCPRIM_400000_NS6detail17trampoline_kernelINS0_14default_configENS1_25partition_config_selectorILNS1_17partition_subalgoE1EtNS0_10empty_typeEbEEZZNS1_14partition_implILS5_1ELb0ES3_jN6thrust23THRUST_200600_302600_NS6detail15normal_iteratorINSA_10device_ptrItEEEEPS6_NSA_18transform_iteratorI7is_evenItESF_NSA_11use_defaultESK_EENS0_5tupleIJNSA_16discard_iteratorISK_EESF_EEENSM_IJSG_SG_EEES6_PlJS6_EEE10hipError_tPvRmT3_T4_T5_T6_T7_T9_mT8_P12ihipStream_tbDpT10_ENKUlT_T0_E_clISt17integral_constantIbLb1EES1A_IbLb0EEEEDaS16_S17_EUlS16_E_NS1_11comp_targetILNS1_3genE0ELNS1_11target_archE4294967295ELNS1_3gpuE0ELNS1_3repE0EEENS1_30default_config_static_selectorELNS0_4arch9wavefront6targetE1EEEvT1_
    .private_segment_fixed_size: 0
    .sgpr_count:     6
    .sgpr_spill_count: 0
    .symbol:         _ZN7rocprim17ROCPRIM_400000_NS6detail17trampoline_kernelINS0_14default_configENS1_25partition_config_selectorILNS1_17partition_subalgoE1EtNS0_10empty_typeEbEEZZNS1_14partition_implILS5_1ELb0ES3_jN6thrust23THRUST_200600_302600_NS6detail15normal_iteratorINSA_10device_ptrItEEEEPS6_NSA_18transform_iteratorI7is_evenItESF_NSA_11use_defaultESK_EENS0_5tupleIJNSA_16discard_iteratorISK_EESF_EEENSM_IJSG_SG_EEES6_PlJS6_EEE10hipError_tPvRmT3_T4_T5_T6_T7_T9_mT8_P12ihipStream_tbDpT10_ENKUlT_T0_E_clISt17integral_constantIbLb1EES1A_IbLb0EEEEDaS16_S17_EUlS16_E_NS1_11comp_targetILNS1_3genE0ELNS1_11target_archE4294967295ELNS1_3gpuE0ELNS1_3repE0EEENS1_30default_config_static_selectorELNS0_4arch9wavefront6targetE1EEEvT1_.kd
    .uniform_work_group_size: 1
    .uses_dynamic_stack: false
    .vgpr_count:     0
    .vgpr_spill_count: 0
    .wavefront_size: 64
  - .agpr_count:     0
    .args:
      - .offset:         0
        .size:           136
        .value_kind:     by_value
    .group_segment_fixed_size: 28680
    .kernarg_segment_align: 8
    .kernarg_segment_size: 136
    .language:       OpenCL C
    .language_version:
      - 2
      - 0
    .max_flat_workgroup_size: 512
    .name:           _ZN7rocprim17ROCPRIM_400000_NS6detail17trampoline_kernelINS0_14default_configENS1_25partition_config_selectorILNS1_17partition_subalgoE1EtNS0_10empty_typeEbEEZZNS1_14partition_implILS5_1ELb0ES3_jN6thrust23THRUST_200600_302600_NS6detail15normal_iteratorINSA_10device_ptrItEEEEPS6_NSA_18transform_iteratorI7is_evenItESF_NSA_11use_defaultESK_EENS0_5tupleIJNSA_16discard_iteratorISK_EESF_EEENSM_IJSG_SG_EEES6_PlJS6_EEE10hipError_tPvRmT3_T4_T5_T6_T7_T9_mT8_P12ihipStream_tbDpT10_ENKUlT_T0_E_clISt17integral_constantIbLb1EES1A_IbLb0EEEEDaS16_S17_EUlS16_E_NS1_11comp_targetILNS1_3genE5ELNS1_11target_archE942ELNS1_3gpuE9ELNS1_3repE0EEENS1_30default_config_static_selectorELNS0_4arch9wavefront6targetE1EEEvT1_
    .private_segment_fixed_size: 0
    .sgpr_count:     50
    .sgpr_spill_count: 0
    .symbol:         _ZN7rocprim17ROCPRIM_400000_NS6detail17trampoline_kernelINS0_14default_configENS1_25partition_config_selectorILNS1_17partition_subalgoE1EtNS0_10empty_typeEbEEZZNS1_14partition_implILS5_1ELb0ES3_jN6thrust23THRUST_200600_302600_NS6detail15normal_iteratorINSA_10device_ptrItEEEEPS6_NSA_18transform_iteratorI7is_evenItESF_NSA_11use_defaultESK_EENS0_5tupleIJNSA_16discard_iteratorISK_EESF_EEENSM_IJSG_SG_EEES6_PlJS6_EEE10hipError_tPvRmT3_T4_T5_T6_T7_T9_mT8_P12ihipStream_tbDpT10_ENKUlT_T0_E_clISt17integral_constantIbLb1EES1A_IbLb0EEEEDaS16_S17_EUlS16_E_NS1_11comp_targetILNS1_3genE5ELNS1_11target_archE942ELNS1_3gpuE9ELNS1_3repE0EEENS1_30default_config_static_selectorELNS0_4arch9wavefront6targetE1EEEvT1_.kd
    .uniform_work_group_size: 1
    .uses_dynamic_stack: false
    .vgpr_count:     79
    .vgpr_spill_count: 0
    .wavefront_size: 64
  - .agpr_count:     0
    .args:
      - .offset:         0
        .size:           136
        .value_kind:     by_value
    .group_segment_fixed_size: 0
    .kernarg_segment_align: 8
    .kernarg_segment_size: 136
    .language:       OpenCL C
    .language_version:
      - 2
      - 0
    .max_flat_workgroup_size: 256
    .name:           _ZN7rocprim17ROCPRIM_400000_NS6detail17trampoline_kernelINS0_14default_configENS1_25partition_config_selectorILNS1_17partition_subalgoE1EtNS0_10empty_typeEbEEZZNS1_14partition_implILS5_1ELb0ES3_jN6thrust23THRUST_200600_302600_NS6detail15normal_iteratorINSA_10device_ptrItEEEEPS6_NSA_18transform_iteratorI7is_evenItESF_NSA_11use_defaultESK_EENS0_5tupleIJNSA_16discard_iteratorISK_EESF_EEENSM_IJSG_SG_EEES6_PlJS6_EEE10hipError_tPvRmT3_T4_T5_T6_T7_T9_mT8_P12ihipStream_tbDpT10_ENKUlT_T0_E_clISt17integral_constantIbLb1EES1A_IbLb0EEEEDaS16_S17_EUlS16_E_NS1_11comp_targetILNS1_3genE4ELNS1_11target_archE910ELNS1_3gpuE8ELNS1_3repE0EEENS1_30default_config_static_selectorELNS0_4arch9wavefront6targetE1EEEvT1_
    .private_segment_fixed_size: 0
    .sgpr_count:     6
    .sgpr_spill_count: 0
    .symbol:         _ZN7rocprim17ROCPRIM_400000_NS6detail17trampoline_kernelINS0_14default_configENS1_25partition_config_selectorILNS1_17partition_subalgoE1EtNS0_10empty_typeEbEEZZNS1_14partition_implILS5_1ELb0ES3_jN6thrust23THRUST_200600_302600_NS6detail15normal_iteratorINSA_10device_ptrItEEEEPS6_NSA_18transform_iteratorI7is_evenItESF_NSA_11use_defaultESK_EENS0_5tupleIJNSA_16discard_iteratorISK_EESF_EEENSM_IJSG_SG_EEES6_PlJS6_EEE10hipError_tPvRmT3_T4_T5_T6_T7_T9_mT8_P12ihipStream_tbDpT10_ENKUlT_T0_E_clISt17integral_constantIbLb1EES1A_IbLb0EEEEDaS16_S17_EUlS16_E_NS1_11comp_targetILNS1_3genE4ELNS1_11target_archE910ELNS1_3gpuE8ELNS1_3repE0EEENS1_30default_config_static_selectorELNS0_4arch9wavefront6targetE1EEEvT1_.kd
    .uniform_work_group_size: 1
    .uses_dynamic_stack: false
    .vgpr_count:     0
    .vgpr_spill_count: 0
    .wavefront_size: 64
  - .agpr_count:     0
    .args:
      - .offset:         0
        .size:           136
        .value_kind:     by_value
    .group_segment_fixed_size: 0
    .kernarg_segment_align: 8
    .kernarg_segment_size: 136
    .language:       OpenCL C
    .language_version:
      - 2
      - 0
    .max_flat_workgroup_size: 256
    .name:           _ZN7rocprim17ROCPRIM_400000_NS6detail17trampoline_kernelINS0_14default_configENS1_25partition_config_selectorILNS1_17partition_subalgoE1EtNS0_10empty_typeEbEEZZNS1_14partition_implILS5_1ELb0ES3_jN6thrust23THRUST_200600_302600_NS6detail15normal_iteratorINSA_10device_ptrItEEEEPS6_NSA_18transform_iteratorI7is_evenItESF_NSA_11use_defaultESK_EENS0_5tupleIJNSA_16discard_iteratorISK_EESF_EEENSM_IJSG_SG_EEES6_PlJS6_EEE10hipError_tPvRmT3_T4_T5_T6_T7_T9_mT8_P12ihipStream_tbDpT10_ENKUlT_T0_E_clISt17integral_constantIbLb1EES1A_IbLb0EEEEDaS16_S17_EUlS16_E_NS1_11comp_targetILNS1_3genE3ELNS1_11target_archE908ELNS1_3gpuE7ELNS1_3repE0EEENS1_30default_config_static_selectorELNS0_4arch9wavefront6targetE1EEEvT1_
    .private_segment_fixed_size: 0
    .sgpr_count:     6
    .sgpr_spill_count: 0
    .symbol:         _ZN7rocprim17ROCPRIM_400000_NS6detail17trampoline_kernelINS0_14default_configENS1_25partition_config_selectorILNS1_17partition_subalgoE1EtNS0_10empty_typeEbEEZZNS1_14partition_implILS5_1ELb0ES3_jN6thrust23THRUST_200600_302600_NS6detail15normal_iteratorINSA_10device_ptrItEEEEPS6_NSA_18transform_iteratorI7is_evenItESF_NSA_11use_defaultESK_EENS0_5tupleIJNSA_16discard_iteratorISK_EESF_EEENSM_IJSG_SG_EEES6_PlJS6_EEE10hipError_tPvRmT3_T4_T5_T6_T7_T9_mT8_P12ihipStream_tbDpT10_ENKUlT_T0_E_clISt17integral_constantIbLb1EES1A_IbLb0EEEEDaS16_S17_EUlS16_E_NS1_11comp_targetILNS1_3genE3ELNS1_11target_archE908ELNS1_3gpuE7ELNS1_3repE0EEENS1_30default_config_static_selectorELNS0_4arch9wavefront6targetE1EEEvT1_.kd
    .uniform_work_group_size: 1
    .uses_dynamic_stack: false
    .vgpr_count:     0
    .vgpr_spill_count: 0
    .wavefront_size: 64
  - .agpr_count:     0
    .args:
      - .offset:         0
        .size:           136
        .value_kind:     by_value
    .group_segment_fixed_size: 0
    .kernarg_segment_align: 8
    .kernarg_segment_size: 136
    .language:       OpenCL C
    .language_version:
      - 2
      - 0
    .max_flat_workgroup_size: 256
    .name:           _ZN7rocprim17ROCPRIM_400000_NS6detail17trampoline_kernelINS0_14default_configENS1_25partition_config_selectorILNS1_17partition_subalgoE1EtNS0_10empty_typeEbEEZZNS1_14partition_implILS5_1ELb0ES3_jN6thrust23THRUST_200600_302600_NS6detail15normal_iteratorINSA_10device_ptrItEEEEPS6_NSA_18transform_iteratorI7is_evenItESF_NSA_11use_defaultESK_EENS0_5tupleIJNSA_16discard_iteratorISK_EESF_EEENSM_IJSG_SG_EEES6_PlJS6_EEE10hipError_tPvRmT3_T4_T5_T6_T7_T9_mT8_P12ihipStream_tbDpT10_ENKUlT_T0_E_clISt17integral_constantIbLb1EES1A_IbLb0EEEEDaS16_S17_EUlS16_E_NS1_11comp_targetILNS1_3genE2ELNS1_11target_archE906ELNS1_3gpuE6ELNS1_3repE0EEENS1_30default_config_static_selectorELNS0_4arch9wavefront6targetE1EEEvT1_
    .private_segment_fixed_size: 0
    .sgpr_count:     6
    .sgpr_spill_count: 0
    .symbol:         _ZN7rocprim17ROCPRIM_400000_NS6detail17trampoline_kernelINS0_14default_configENS1_25partition_config_selectorILNS1_17partition_subalgoE1EtNS0_10empty_typeEbEEZZNS1_14partition_implILS5_1ELb0ES3_jN6thrust23THRUST_200600_302600_NS6detail15normal_iteratorINSA_10device_ptrItEEEEPS6_NSA_18transform_iteratorI7is_evenItESF_NSA_11use_defaultESK_EENS0_5tupleIJNSA_16discard_iteratorISK_EESF_EEENSM_IJSG_SG_EEES6_PlJS6_EEE10hipError_tPvRmT3_T4_T5_T6_T7_T9_mT8_P12ihipStream_tbDpT10_ENKUlT_T0_E_clISt17integral_constantIbLb1EES1A_IbLb0EEEEDaS16_S17_EUlS16_E_NS1_11comp_targetILNS1_3genE2ELNS1_11target_archE906ELNS1_3gpuE6ELNS1_3repE0EEENS1_30default_config_static_selectorELNS0_4arch9wavefront6targetE1EEEvT1_.kd
    .uniform_work_group_size: 1
    .uses_dynamic_stack: false
    .vgpr_count:     0
    .vgpr_spill_count: 0
    .wavefront_size: 64
  - .agpr_count:     0
    .args:
      - .offset:         0
        .size:           136
        .value_kind:     by_value
    .group_segment_fixed_size: 0
    .kernarg_segment_align: 8
    .kernarg_segment_size: 136
    .language:       OpenCL C
    .language_version:
      - 2
      - 0
    .max_flat_workgroup_size: 384
    .name:           _ZN7rocprim17ROCPRIM_400000_NS6detail17trampoline_kernelINS0_14default_configENS1_25partition_config_selectorILNS1_17partition_subalgoE1EtNS0_10empty_typeEbEEZZNS1_14partition_implILS5_1ELb0ES3_jN6thrust23THRUST_200600_302600_NS6detail15normal_iteratorINSA_10device_ptrItEEEEPS6_NSA_18transform_iteratorI7is_evenItESF_NSA_11use_defaultESK_EENS0_5tupleIJNSA_16discard_iteratorISK_EESF_EEENSM_IJSG_SG_EEES6_PlJS6_EEE10hipError_tPvRmT3_T4_T5_T6_T7_T9_mT8_P12ihipStream_tbDpT10_ENKUlT_T0_E_clISt17integral_constantIbLb1EES1A_IbLb0EEEEDaS16_S17_EUlS16_E_NS1_11comp_targetILNS1_3genE10ELNS1_11target_archE1200ELNS1_3gpuE4ELNS1_3repE0EEENS1_30default_config_static_selectorELNS0_4arch9wavefront6targetE1EEEvT1_
    .private_segment_fixed_size: 0
    .sgpr_count:     6
    .sgpr_spill_count: 0
    .symbol:         _ZN7rocprim17ROCPRIM_400000_NS6detail17trampoline_kernelINS0_14default_configENS1_25partition_config_selectorILNS1_17partition_subalgoE1EtNS0_10empty_typeEbEEZZNS1_14partition_implILS5_1ELb0ES3_jN6thrust23THRUST_200600_302600_NS6detail15normal_iteratorINSA_10device_ptrItEEEEPS6_NSA_18transform_iteratorI7is_evenItESF_NSA_11use_defaultESK_EENS0_5tupleIJNSA_16discard_iteratorISK_EESF_EEENSM_IJSG_SG_EEES6_PlJS6_EEE10hipError_tPvRmT3_T4_T5_T6_T7_T9_mT8_P12ihipStream_tbDpT10_ENKUlT_T0_E_clISt17integral_constantIbLb1EES1A_IbLb0EEEEDaS16_S17_EUlS16_E_NS1_11comp_targetILNS1_3genE10ELNS1_11target_archE1200ELNS1_3gpuE4ELNS1_3repE0EEENS1_30default_config_static_selectorELNS0_4arch9wavefront6targetE1EEEvT1_.kd
    .uniform_work_group_size: 1
    .uses_dynamic_stack: false
    .vgpr_count:     0
    .vgpr_spill_count: 0
    .wavefront_size: 64
  - .agpr_count:     0
    .args:
      - .offset:         0
        .size:           136
        .value_kind:     by_value
    .group_segment_fixed_size: 0
    .kernarg_segment_align: 8
    .kernarg_segment_size: 136
    .language:       OpenCL C
    .language_version:
      - 2
      - 0
    .max_flat_workgroup_size: 128
    .name:           _ZN7rocprim17ROCPRIM_400000_NS6detail17trampoline_kernelINS0_14default_configENS1_25partition_config_selectorILNS1_17partition_subalgoE1EtNS0_10empty_typeEbEEZZNS1_14partition_implILS5_1ELb0ES3_jN6thrust23THRUST_200600_302600_NS6detail15normal_iteratorINSA_10device_ptrItEEEEPS6_NSA_18transform_iteratorI7is_evenItESF_NSA_11use_defaultESK_EENS0_5tupleIJNSA_16discard_iteratorISK_EESF_EEENSM_IJSG_SG_EEES6_PlJS6_EEE10hipError_tPvRmT3_T4_T5_T6_T7_T9_mT8_P12ihipStream_tbDpT10_ENKUlT_T0_E_clISt17integral_constantIbLb1EES1A_IbLb0EEEEDaS16_S17_EUlS16_E_NS1_11comp_targetILNS1_3genE9ELNS1_11target_archE1100ELNS1_3gpuE3ELNS1_3repE0EEENS1_30default_config_static_selectorELNS0_4arch9wavefront6targetE1EEEvT1_
    .private_segment_fixed_size: 0
    .sgpr_count:     6
    .sgpr_spill_count: 0
    .symbol:         _ZN7rocprim17ROCPRIM_400000_NS6detail17trampoline_kernelINS0_14default_configENS1_25partition_config_selectorILNS1_17partition_subalgoE1EtNS0_10empty_typeEbEEZZNS1_14partition_implILS5_1ELb0ES3_jN6thrust23THRUST_200600_302600_NS6detail15normal_iteratorINSA_10device_ptrItEEEEPS6_NSA_18transform_iteratorI7is_evenItESF_NSA_11use_defaultESK_EENS0_5tupleIJNSA_16discard_iteratorISK_EESF_EEENSM_IJSG_SG_EEES6_PlJS6_EEE10hipError_tPvRmT3_T4_T5_T6_T7_T9_mT8_P12ihipStream_tbDpT10_ENKUlT_T0_E_clISt17integral_constantIbLb1EES1A_IbLb0EEEEDaS16_S17_EUlS16_E_NS1_11comp_targetILNS1_3genE9ELNS1_11target_archE1100ELNS1_3gpuE3ELNS1_3repE0EEENS1_30default_config_static_selectorELNS0_4arch9wavefront6targetE1EEEvT1_.kd
    .uniform_work_group_size: 1
    .uses_dynamic_stack: false
    .vgpr_count:     0
    .vgpr_spill_count: 0
    .wavefront_size: 64
  - .agpr_count:     0
    .args:
      - .offset:         0
        .size:           136
        .value_kind:     by_value
    .group_segment_fixed_size: 0
    .kernarg_segment_align: 8
    .kernarg_segment_size: 136
    .language:       OpenCL C
    .language_version:
      - 2
      - 0
    .max_flat_workgroup_size: 512
    .name:           _ZN7rocprim17ROCPRIM_400000_NS6detail17trampoline_kernelINS0_14default_configENS1_25partition_config_selectorILNS1_17partition_subalgoE1EtNS0_10empty_typeEbEEZZNS1_14partition_implILS5_1ELb0ES3_jN6thrust23THRUST_200600_302600_NS6detail15normal_iteratorINSA_10device_ptrItEEEEPS6_NSA_18transform_iteratorI7is_evenItESF_NSA_11use_defaultESK_EENS0_5tupleIJNSA_16discard_iteratorISK_EESF_EEENSM_IJSG_SG_EEES6_PlJS6_EEE10hipError_tPvRmT3_T4_T5_T6_T7_T9_mT8_P12ihipStream_tbDpT10_ENKUlT_T0_E_clISt17integral_constantIbLb1EES1A_IbLb0EEEEDaS16_S17_EUlS16_E_NS1_11comp_targetILNS1_3genE8ELNS1_11target_archE1030ELNS1_3gpuE2ELNS1_3repE0EEENS1_30default_config_static_selectorELNS0_4arch9wavefront6targetE1EEEvT1_
    .private_segment_fixed_size: 0
    .sgpr_count:     6
    .sgpr_spill_count: 0
    .symbol:         _ZN7rocprim17ROCPRIM_400000_NS6detail17trampoline_kernelINS0_14default_configENS1_25partition_config_selectorILNS1_17partition_subalgoE1EtNS0_10empty_typeEbEEZZNS1_14partition_implILS5_1ELb0ES3_jN6thrust23THRUST_200600_302600_NS6detail15normal_iteratorINSA_10device_ptrItEEEEPS6_NSA_18transform_iteratorI7is_evenItESF_NSA_11use_defaultESK_EENS0_5tupleIJNSA_16discard_iteratorISK_EESF_EEENSM_IJSG_SG_EEES6_PlJS6_EEE10hipError_tPvRmT3_T4_T5_T6_T7_T9_mT8_P12ihipStream_tbDpT10_ENKUlT_T0_E_clISt17integral_constantIbLb1EES1A_IbLb0EEEEDaS16_S17_EUlS16_E_NS1_11comp_targetILNS1_3genE8ELNS1_11target_archE1030ELNS1_3gpuE2ELNS1_3repE0EEENS1_30default_config_static_selectorELNS0_4arch9wavefront6targetE1EEEvT1_.kd
    .uniform_work_group_size: 1
    .uses_dynamic_stack: false
    .vgpr_count:     0
    .vgpr_spill_count: 0
    .wavefront_size: 64
  - .agpr_count:     0
    .args:
      - .offset:         0
        .size:           152
        .value_kind:     by_value
    .group_segment_fixed_size: 0
    .kernarg_segment_align: 8
    .kernarg_segment_size: 152
    .language:       OpenCL C
    .language_version:
      - 2
      - 0
    .max_flat_workgroup_size: 256
    .name:           _ZN7rocprim17ROCPRIM_400000_NS6detail17trampoline_kernelINS0_14default_configENS1_25partition_config_selectorILNS1_17partition_subalgoE1EtNS0_10empty_typeEbEEZZNS1_14partition_implILS5_1ELb0ES3_jN6thrust23THRUST_200600_302600_NS6detail15normal_iteratorINSA_10device_ptrItEEEEPS6_NSA_18transform_iteratorI7is_evenItESF_NSA_11use_defaultESK_EENS0_5tupleIJNSA_16discard_iteratorISK_EESF_EEENSM_IJSG_SG_EEES6_PlJS6_EEE10hipError_tPvRmT3_T4_T5_T6_T7_T9_mT8_P12ihipStream_tbDpT10_ENKUlT_T0_E_clISt17integral_constantIbLb0EES1A_IbLb1EEEEDaS16_S17_EUlS16_E_NS1_11comp_targetILNS1_3genE0ELNS1_11target_archE4294967295ELNS1_3gpuE0ELNS1_3repE0EEENS1_30default_config_static_selectorELNS0_4arch9wavefront6targetE1EEEvT1_
    .private_segment_fixed_size: 0
    .sgpr_count:     6
    .sgpr_spill_count: 0
    .symbol:         _ZN7rocprim17ROCPRIM_400000_NS6detail17trampoline_kernelINS0_14default_configENS1_25partition_config_selectorILNS1_17partition_subalgoE1EtNS0_10empty_typeEbEEZZNS1_14partition_implILS5_1ELb0ES3_jN6thrust23THRUST_200600_302600_NS6detail15normal_iteratorINSA_10device_ptrItEEEEPS6_NSA_18transform_iteratorI7is_evenItESF_NSA_11use_defaultESK_EENS0_5tupleIJNSA_16discard_iteratorISK_EESF_EEENSM_IJSG_SG_EEES6_PlJS6_EEE10hipError_tPvRmT3_T4_T5_T6_T7_T9_mT8_P12ihipStream_tbDpT10_ENKUlT_T0_E_clISt17integral_constantIbLb0EES1A_IbLb1EEEEDaS16_S17_EUlS16_E_NS1_11comp_targetILNS1_3genE0ELNS1_11target_archE4294967295ELNS1_3gpuE0ELNS1_3repE0EEENS1_30default_config_static_selectorELNS0_4arch9wavefront6targetE1EEEvT1_.kd
    .uniform_work_group_size: 1
    .uses_dynamic_stack: false
    .vgpr_count:     0
    .vgpr_spill_count: 0
    .wavefront_size: 64
  - .agpr_count:     0
    .args:
      - .offset:         0
        .size:           152
        .value_kind:     by_value
    .group_segment_fixed_size: 28680
    .kernarg_segment_align: 8
    .kernarg_segment_size: 152
    .language:       OpenCL C
    .language_version:
      - 2
      - 0
    .max_flat_workgroup_size: 512
    .name:           _ZN7rocprim17ROCPRIM_400000_NS6detail17trampoline_kernelINS0_14default_configENS1_25partition_config_selectorILNS1_17partition_subalgoE1EtNS0_10empty_typeEbEEZZNS1_14partition_implILS5_1ELb0ES3_jN6thrust23THRUST_200600_302600_NS6detail15normal_iteratorINSA_10device_ptrItEEEEPS6_NSA_18transform_iteratorI7is_evenItESF_NSA_11use_defaultESK_EENS0_5tupleIJNSA_16discard_iteratorISK_EESF_EEENSM_IJSG_SG_EEES6_PlJS6_EEE10hipError_tPvRmT3_T4_T5_T6_T7_T9_mT8_P12ihipStream_tbDpT10_ENKUlT_T0_E_clISt17integral_constantIbLb0EES1A_IbLb1EEEEDaS16_S17_EUlS16_E_NS1_11comp_targetILNS1_3genE5ELNS1_11target_archE942ELNS1_3gpuE9ELNS1_3repE0EEENS1_30default_config_static_selectorELNS0_4arch9wavefront6targetE1EEEvT1_
    .private_segment_fixed_size: 0
    .sgpr_count:     48
    .sgpr_spill_count: 0
    .symbol:         _ZN7rocprim17ROCPRIM_400000_NS6detail17trampoline_kernelINS0_14default_configENS1_25partition_config_selectorILNS1_17partition_subalgoE1EtNS0_10empty_typeEbEEZZNS1_14partition_implILS5_1ELb0ES3_jN6thrust23THRUST_200600_302600_NS6detail15normal_iteratorINSA_10device_ptrItEEEEPS6_NSA_18transform_iteratorI7is_evenItESF_NSA_11use_defaultESK_EENS0_5tupleIJNSA_16discard_iteratorISK_EESF_EEENSM_IJSG_SG_EEES6_PlJS6_EEE10hipError_tPvRmT3_T4_T5_T6_T7_T9_mT8_P12ihipStream_tbDpT10_ENKUlT_T0_E_clISt17integral_constantIbLb0EES1A_IbLb1EEEEDaS16_S17_EUlS16_E_NS1_11comp_targetILNS1_3genE5ELNS1_11target_archE942ELNS1_3gpuE9ELNS1_3repE0EEENS1_30default_config_static_selectorELNS0_4arch9wavefront6targetE1EEEvT1_.kd
    .uniform_work_group_size: 1
    .uses_dynamic_stack: false
    .vgpr_count:     83
    .vgpr_spill_count: 0
    .wavefront_size: 64
  - .agpr_count:     0
    .args:
      - .offset:         0
        .size:           152
        .value_kind:     by_value
    .group_segment_fixed_size: 0
    .kernarg_segment_align: 8
    .kernarg_segment_size: 152
    .language:       OpenCL C
    .language_version:
      - 2
      - 0
    .max_flat_workgroup_size: 256
    .name:           _ZN7rocprim17ROCPRIM_400000_NS6detail17trampoline_kernelINS0_14default_configENS1_25partition_config_selectorILNS1_17partition_subalgoE1EtNS0_10empty_typeEbEEZZNS1_14partition_implILS5_1ELb0ES3_jN6thrust23THRUST_200600_302600_NS6detail15normal_iteratorINSA_10device_ptrItEEEEPS6_NSA_18transform_iteratorI7is_evenItESF_NSA_11use_defaultESK_EENS0_5tupleIJNSA_16discard_iteratorISK_EESF_EEENSM_IJSG_SG_EEES6_PlJS6_EEE10hipError_tPvRmT3_T4_T5_T6_T7_T9_mT8_P12ihipStream_tbDpT10_ENKUlT_T0_E_clISt17integral_constantIbLb0EES1A_IbLb1EEEEDaS16_S17_EUlS16_E_NS1_11comp_targetILNS1_3genE4ELNS1_11target_archE910ELNS1_3gpuE8ELNS1_3repE0EEENS1_30default_config_static_selectorELNS0_4arch9wavefront6targetE1EEEvT1_
    .private_segment_fixed_size: 0
    .sgpr_count:     6
    .sgpr_spill_count: 0
    .symbol:         _ZN7rocprim17ROCPRIM_400000_NS6detail17trampoline_kernelINS0_14default_configENS1_25partition_config_selectorILNS1_17partition_subalgoE1EtNS0_10empty_typeEbEEZZNS1_14partition_implILS5_1ELb0ES3_jN6thrust23THRUST_200600_302600_NS6detail15normal_iteratorINSA_10device_ptrItEEEEPS6_NSA_18transform_iteratorI7is_evenItESF_NSA_11use_defaultESK_EENS0_5tupleIJNSA_16discard_iteratorISK_EESF_EEENSM_IJSG_SG_EEES6_PlJS6_EEE10hipError_tPvRmT3_T4_T5_T6_T7_T9_mT8_P12ihipStream_tbDpT10_ENKUlT_T0_E_clISt17integral_constantIbLb0EES1A_IbLb1EEEEDaS16_S17_EUlS16_E_NS1_11comp_targetILNS1_3genE4ELNS1_11target_archE910ELNS1_3gpuE8ELNS1_3repE0EEENS1_30default_config_static_selectorELNS0_4arch9wavefront6targetE1EEEvT1_.kd
    .uniform_work_group_size: 1
    .uses_dynamic_stack: false
    .vgpr_count:     0
    .vgpr_spill_count: 0
    .wavefront_size: 64
  - .agpr_count:     0
    .args:
      - .offset:         0
        .size:           152
        .value_kind:     by_value
    .group_segment_fixed_size: 0
    .kernarg_segment_align: 8
    .kernarg_segment_size: 152
    .language:       OpenCL C
    .language_version:
      - 2
      - 0
    .max_flat_workgroup_size: 256
    .name:           _ZN7rocprim17ROCPRIM_400000_NS6detail17trampoline_kernelINS0_14default_configENS1_25partition_config_selectorILNS1_17partition_subalgoE1EtNS0_10empty_typeEbEEZZNS1_14partition_implILS5_1ELb0ES3_jN6thrust23THRUST_200600_302600_NS6detail15normal_iteratorINSA_10device_ptrItEEEEPS6_NSA_18transform_iteratorI7is_evenItESF_NSA_11use_defaultESK_EENS0_5tupleIJNSA_16discard_iteratorISK_EESF_EEENSM_IJSG_SG_EEES6_PlJS6_EEE10hipError_tPvRmT3_T4_T5_T6_T7_T9_mT8_P12ihipStream_tbDpT10_ENKUlT_T0_E_clISt17integral_constantIbLb0EES1A_IbLb1EEEEDaS16_S17_EUlS16_E_NS1_11comp_targetILNS1_3genE3ELNS1_11target_archE908ELNS1_3gpuE7ELNS1_3repE0EEENS1_30default_config_static_selectorELNS0_4arch9wavefront6targetE1EEEvT1_
    .private_segment_fixed_size: 0
    .sgpr_count:     6
    .sgpr_spill_count: 0
    .symbol:         _ZN7rocprim17ROCPRIM_400000_NS6detail17trampoline_kernelINS0_14default_configENS1_25partition_config_selectorILNS1_17partition_subalgoE1EtNS0_10empty_typeEbEEZZNS1_14partition_implILS5_1ELb0ES3_jN6thrust23THRUST_200600_302600_NS6detail15normal_iteratorINSA_10device_ptrItEEEEPS6_NSA_18transform_iteratorI7is_evenItESF_NSA_11use_defaultESK_EENS0_5tupleIJNSA_16discard_iteratorISK_EESF_EEENSM_IJSG_SG_EEES6_PlJS6_EEE10hipError_tPvRmT3_T4_T5_T6_T7_T9_mT8_P12ihipStream_tbDpT10_ENKUlT_T0_E_clISt17integral_constantIbLb0EES1A_IbLb1EEEEDaS16_S17_EUlS16_E_NS1_11comp_targetILNS1_3genE3ELNS1_11target_archE908ELNS1_3gpuE7ELNS1_3repE0EEENS1_30default_config_static_selectorELNS0_4arch9wavefront6targetE1EEEvT1_.kd
    .uniform_work_group_size: 1
    .uses_dynamic_stack: false
    .vgpr_count:     0
    .vgpr_spill_count: 0
    .wavefront_size: 64
  - .agpr_count:     0
    .args:
      - .offset:         0
        .size:           152
        .value_kind:     by_value
    .group_segment_fixed_size: 0
    .kernarg_segment_align: 8
    .kernarg_segment_size: 152
    .language:       OpenCL C
    .language_version:
      - 2
      - 0
    .max_flat_workgroup_size: 256
    .name:           _ZN7rocprim17ROCPRIM_400000_NS6detail17trampoline_kernelINS0_14default_configENS1_25partition_config_selectorILNS1_17partition_subalgoE1EtNS0_10empty_typeEbEEZZNS1_14partition_implILS5_1ELb0ES3_jN6thrust23THRUST_200600_302600_NS6detail15normal_iteratorINSA_10device_ptrItEEEEPS6_NSA_18transform_iteratorI7is_evenItESF_NSA_11use_defaultESK_EENS0_5tupleIJNSA_16discard_iteratorISK_EESF_EEENSM_IJSG_SG_EEES6_PlJS6_EEE10hipError_tPvRmT3_T4_T5_T6_T7_T9_mT8_P12ihipStream_tbDpT10_ENKUlT_T0_E_clISt17integral_constantIbLb0EES1A_IbLb1EEEEDaS16_S17_EUlS16_E_NS1_11comp_targetILNS1_3genE2ELNS1_11target_archE906ELNS1_3gpuE6ELNS1_3repE0EEENS1_30default_config_static_selectorELNS0_4arch9wavefront6targetE1EEEvT1_
    .private_segment_fixed_size: 0
    .sgpr_count:     6
    .sgpr_spill_count: 0
    .symbol:         _ZN7rocprim17ROCPRIM_400000_NS6detail17trampoline_kernelINS0_14default_configENS1_25partition_config_selectorILNS1_17partition_subalgoE1EtNS0_10empty_typeEbEEZZNS1_14partition_implILS5_1ELb0ES3_jN6thrust23THRUST_200600_302600_NS6detail15normal_iteratorINSA_10device_ptrItEEEEPS6_NSA_18transform_iteratorI7is_evenItESF_NSA_11use_defaultESK_EENS0_5tupleIJNSA_16discard_iteratorISK_EESF_EEENSM_IJSG_SG_EEES6_PlJS6_EEE10hipError_tPvRmT3_T4_T5_T6_T7_T9_mT8_P12ihipStream_tbDpT10_ENKUlT_T0_E_clISt17integral_constantIbLb0EES1A_IbLb1EEEEDaS16_S17_EUlS16_E_NS1_11comp_targetILNS1_3genE2ELNS1_11target_archE906ELNS1_3gpuE6ELNS1_3repE0EEENS1_30default_config_static_selectorELNS0_4arch9wavefront6targetE1EEEvT1_.kd
    .uniform_work_group_size: 1
    .uses_dynamic_stack: false
    .vgpr_count:     0
    .vgpr_spill_count: 0
    .wavefront_size: 64
  - .agpr_count:     0
    .args:
      - .offset:         0
        .size:           152
        .value_kind:     by_value
    .group_segment_fixed_size: 0
    .kernarg_segment_align: 8
    .kernarg_segment_size: 152
    .language:       OpenCL C
    .language_version:
      - 2
      - 0
    .max_flat_workgroup_size: 384
    .name:           _ZN7rocprim17ROCPRIM_400000_NS6detail17trampoline_kernelINS0_14default_configENS1_25partition_config_selectorILNS1_17partition_subalgoE1EtNS0_10empty_typeEbEEZZNS1_14partition_implILS5_1ELb0ES3_jN6thrust23THRUST_200600_302600_NS6detail15normal_iteratorINSA_10device_ptrItEEEEPS6_NSA_18transform_iteratorI7is_evenItESF_NSA_11use_defaultESK_EENS0_5tupleIJNSA_16discard_iteratorISK_EESF_EEENSM_IJSG_SG_EEES6_PlJS6_EEE10hipError_tPvRmT3_T4_T5_T6_T7_T9_mT8_P12ihipStream_tbDpT10_ENKUlT_T0_E_clISt17integral_constantIbLb0EES1A_IbLb1EEEEDaS16_S17_EUlS16_E_NS1_11comp_targetILNS1_3genE10ELNS1_11target_archE1200ELNS1_3gpuE4ELNS1_3repE0EEENS1_30default_config_static_selectorELNS0_4arch9wavefront6targetE1EEEvT1_
    .private_segment_fixed_size: 0
    .sgpr_count:     6
    .sgpr_spill_count: 0
    .symbol:         _ZN7rocprim17ROCPRIM_400000_NS6detail17trampoline_kernelINS0_14default_configENS1_25partition_config_selectorILNS1_17partition_subalgoE1EtNS0_10empty_typeEbEEZZNS1_14partition_implILS5_1ELb0ES3_jN6thrust23THRUST_200600_302600_NS6detail15normal_iteratorINSA_10device_ptrItEEEEPS6_NSA_18transform_iteratorI7is_evenItESF_NSA_11use_defaultESK_EENS0_5tupleIJNSA_16discard_iteratorISK_EESF_EEENSM_IJSG_SG_EEES6_PlJS6_EEE10hipError_tPvRmT3_T4_T5_T6_T7_T9_mT8_P12ihipStream_tbDpT10_ENKUlT_T0_E_clISt17integral_constantIbLb0EES1A_IbLb1EEEEDaS16_S17_EUlS16_E_NS1_11comp_targetILNS1_3genE10ELNS1_11target_archE1200ELNS1_3gpuE4ELNS1_3repE0EEENS1_30default_config_static_selectorELNS0_4arch9wavefront6targetE1EEEvT1_.kd
    .uniform_work_group_size: 1
    .uses_dynamic_stack: false
    .vgpr_count:     0
    .vgpr_spill_count: 0
    .wavefront_size: 64
  - .agpr_count:     0
    .args:
      - .offset:         0
        .size:           152
        .value_kind:     by_value
    .group_segment_fixed_size: 0
    .kernarg_segment_align: 8
    .kernarg_segment_size: 152
    .language:       OpenCL C
    .language_version:
      - 2
      - 0
    .max_flat_workgroup_size: 128
    .name:           _ZN7rocprim17ROCPRIM_400000_NS6detail17trampoline_kernelINS0_14default_configENS1_25partition_config_selectorILNS1_17partition_subalgoE1EtNS0_10empty_typeEbEEZZNS1_14partition_implILS5_1ELb0ES3_jN6thrust23THRUST_200600_302600_NS6detail15normal_iteratorINSA_10device_ptrItEEEEPS6_NSA_18transform_iteratorI7is_evenItESF_NSA_11use_defaultESK_EENS0_5tupleIJNSA_16discard_iteratorISK_EESF_EEENSM_IJSG_SG_EEES6_PlJS6_EEE10hipError_tPvRmT3_T4_T5_T6_T7_T9_mT8_P12ihipStream_tbDpT10_ENKUlT_T0_E_clISt17integral_constantIbLb0EES1A_IbLb1EEEEDaS16_S17_EUlS16_E_NS1_11comp_targetILNS1_3genE9ELNS1_11target_archE1100ELNS1_3gpuE3ELNS1_3repE0EEENS1_30default_config_static_selectorELNS0_4arch9wavefront6targetE1EEEvT1_
    .private_segment_fixed_size: 0
    .sgpr_count:     6
    .sgpr_spill_count: 0
    .symbol:         _ZN7rocprim17ROCPRIM_400000_NS6detail17trampoline_kernelINS0_14default_configENS1_25partition_config_selectorILNS1_17partition_subalgoE1EtNS0_10empty_typeEbEEZZNS1_14partition_implILS5_1ELb0ES3_jN6thrust23THRUST_200600_302600_NS6detail15normal_iteratorINSA_10device_ptrItEEEEPS6_NSA_18transform_iteratorI7is_evenItESF_NSA_11use_defaultESK_EENS0_5tupleIJNSA_16discard_iteratorISK_EESF_EEENSM_IJSG_SG_EEES6_PlJS6_EEE10hipError_tPvRmT3_T4_T5_T6_T7_T9_mT8_P12ihipStream_tbDpT10_ENKUlT_T0_E_clISt17integral_constantIbLb0EES1A_IbLb1EEEEDaS16_S17_EUlS16_E_NS1_11comp_targetILNS1_3genE9ELNS1_11target_archE1100ELNS1_3gpuE3ELNS1_3repE0EEENS1_30default_config_static_selectorELNS0_4arch9wavefront6targetE1EEEvT1_.kd
    .uniform_work_group_size: 1
    .uses_dynamic_stack: false
    .vgpr_count:     0
    .vgpr_spill_count: 0
    .wavefront_size: 64
  - .agpr_count:     0
    .args:
      - .offset:         0
        .size:           152
        .value_kind:     by_value
    .group_segment_fixed_size: 0
    .kernarg_segment_align: 8
    .kernarg_segment_size: 152
    .language:       OpenCL C
    .language_version:
      - 2
      - 0
    .max_flat_workgroup_size: 512
    .name:           _ZN7rocprim17ROCPRIM_400000_NS6detail17trampoline_kernelINS0_14default_configENS1_25partition_config_selectorILNS1_17partition_subalgoE1EtNS0_10empty_typeEbEEZZNS1_14partition_implILS5_1ELb0ES3_jN6thrust23THRUST_200600_302600_NS6detail15normal_iteratorINSA_10device_ptrItEEEEPS6_NSA_18transform_iteratorI7is_evenItESF_NSA_11use_defaultESK_EENS0_5tupleIJNSA_16discard_iteratorISK_EESF_EEENSM_IJSG_SG_EEES6_PlJS6_EEE10hipError_tPvRmT3_T4_T5_T6_T7_T9_mT8_P12ihipStream_tbDpT10_ENKUlT_T0_E_clISt17integral_constantIbLb0EES1A_IbLb1EEEEDaS16_S17_EUlS16_E_NS1_11comp_targetILNS1_3genE8ELNS1_11target_archE1030ELNS1_3gpuE2ELNS1_3repE0EEENS1_30default_config_static_selectorELNS0_4arch9wavefront6targetE1EEEvT1_
    .private_segment_fixed_size: 0
    .sgpr_count:     6
    .sgpr_spill_count: 0
    .symbol:         _ZN7rocprim17ROCPRIM_400000_NS6detail17trampoline_kernelINS0_14default_configENS1_25partition_config_selectorILNS1_17partition_subalgoE1EtNS0_10empty_typeEbEEZZNS1_14partition_implILS5_1ELb0ES3_jN6thrust23THRUST_200600_302600_NS6detail15normal_iteratorINSA_10device_ptrItEEEEPS6_NSA_18transform_iteratorI7is_evenItESF_NSA_11use_defaultESK_EENS0_5tupleIJNSA_16discard_iteratorISK_EESF_EEENSM_IJSG_SG_EEES6_PlJS6_EEE10hipError_tPvRmT3_T4_T5_T6_T7_T9_mT8_P12ihipStream_tbDpT10_ENKUlT_T0_E_clISt17integral_constantIbLb0EES1A_IbLb1EEEEDaS16_S17_EUlS16_E_NS1_11comp_targetILNS1_3genE8ELNS1_11target_archE1030ELNS1_3gpuE2ELNS1_3repE0EEENS1_30default_config_static_selectorELNS0_4arch9wavefront6targetE1EEEvT1_.kd
    .uniform_work_group_size: 1
    .uses_dynamic_stack: false
    .vgpr_count:     0
    .vgpr_spill_count: 0
    .wavefront_size: 64
  - .agpr_count:     0
    .args:
      - .offset:         0
        .size:           144
        .value_kind:     by_value
    .group_segment_fixed_size: 0
    .kernarg_segment_align: 8
    .kernarg_segment_size: 144
    .language:       OpenCL C
    .language_version:
      - 2
      - 0
    .max_flat_workgroup_size: 128
    .name:           _ZN7rocprim17ROCPRIM_400000_NS6detail17trampoline_kernelINS0_14default_configENS1_25partition_config_selectorILNS1_17partition_subalgoE1ExNS0_10empty_typeEbEEZZNS1_14partition_implILS5_1ELb0ES3_jN6thrust23THRUST_200600_302600_NS6detail15normal_iteratorINSA_10device_ptrIxEEEEPS6_NSA_18transform_iteratorI7is_evenIxESF_NSA_11use_defaultESK_EENS0_5tupleIJNSA_16discard_iteratorISK_EESO_EEENSM_IJSG_SG_EEES6_PlJS6_EEE10hipError_tPvRmT3_T4_T5_T6_T7_T9_mT8_P12ihipStream_tbDpT10_ENKUlT_T0_E_clISt17integral_constantIbLb0EES1B_EEDaS16_S17_EUlS16_E_NS1_11comp_targetILNS1_3genE0ELNS1_11target_archE4294967295ELNS1_3gpuE0ELNS1_3repE0EEENS1_30default_config_static_selectorELNS0_4arch9wavefront6targetE1EEEvT1_
    .private_segment_fixed_size: 0
    .sgpr_count:     6
    .sgpr_spill_count: 0
    .symbol:         _ZN7rocprim17ROCPRIM_400000_NS6detail17trampoline_kernelINS0_14default_configENS1_25partition_config_selectorILNS1_17partition_subalgoE1ExNS0_10empty_typeEbEEZZNS1_14partition_implILS5_1ELb0ES3_jN6thrust23THRUST_200600_302600_NS6detail15normal_iteratorINSA_10device_ptrIxEEEEPS6_NSA_18transform_iteratorI7is_evenIxESF_NSA_11use_defaultESK_EENS0_5tupleIJNSA_16discard_iteratorISK_EESO_EEENSM_IJSG_SG_EEES6_PlJS6_EEE10hipError_tPvRmT3_T4_T5_T6_T7_T9_mT8_P12ihipStream_tbDpT10_ENKUlT_T0_E_clISt17integral_constantIbLb0EES1B_EEDaS16_S17_EUlS16_E_NS1_11comp_targetILNS1_3genE0ELNS1_11target_archE4294967295ELNS1_3gpuE0ELNS1_3repE0EEENS1_30default_config_static_selectorELNS0_4arch9wavefront6targetE1EEEvT1_.kd
    .uniform_work_group_size: 1
    .uses_dynamic_stack: false
    .vgpr_count:     0
    .vgpr_spill_count: 0
    .wavefront_size: 64
  - .agpr_count:     0
    .args:
      - .offset:         0
        .size:           144
        .value_kind:     by_value
    .group_segment_fixed_size: 28680
    .kernarg_segment_align: 8
    .kernarg_segment_size: 144
    .language:       OpenCL C
    .language_version:
      - 2
      - 0
    .max_flat_workgroup_size: 512
    .name:           _ZN7rocprim17ROCPRIM_400000_NS6detail17trampoline_kernelINS0_14default_configENS1_25partition_config_selectorILNS1_17partition_subalgoE1ExNS0_10empty_typeEbEEZZNS1_14partition_implILS5_1ELb0ES3_jN6thrust23THRUST_200600_302600_NS6detail15normal_iteratorINSA_10device_ptrIxEEEEPS6_NSA_18transform_iteratorI7is_evenIxESF_NSA_11use_defaultESK_EENS0_5tupleIJNSA_16discard_iteratorISK_EESO_EEENSM_IJSG_SG_EEES6_PlJS6_EEE10hipError_tPvRmT3_T4_T5_T6_T7_T9_mT8_P12ihipStream_tbDpT10_ENKUlT_T0_E_clISt17integral_constantIbLb0EES1B_EEDaS16_S17_EUlS16_E_NS1_11comp_targetILNS1_3genE5ELNS1_11target_archE942ELNS1_3gpuE9ELNS1_3repE0EEENS1_30default_config_static_selectorELNS0_4arch9wavefront6targetE1EEEvT1_
    .private_segment_fixed_size: 0
    .sgpr_count:     42
    .sgpr_spill_count: 0
    .symbol:         _ZN7rocprim17ROCPRIM_400000_NS6detail17trampoline_kernelINS0_14default_configENS1_25partition_config_selectorILNS1_17partition_subalgoE1ExNS0_10empty_typeEbEEZZNS1_14partition_implILS5_1ELb0ES3_jN6thrust23THRUST_200600_302600_NS6detail15normal_iteratorINSA_10device_ptrIxEEEEPS6_NSA_18transform_iteratorI7is_evenIxESF_NSA_11use_defaultESK_EENS0_5tupleIJNSA_16discard_iteratorISK_EESO_EEENSM_IJSG_SG_EEES6_PlJS6_EEE10hipError_tPvRmT3_T4_T5_T6_T7_T9_mT8_P12ihipStream_tbDpT10_ENKUlT_T0_E_clISt17integral_constantIbLb0EES1B_EEDaS16_S17_EUlS16_E_NS1_11comp_targetILNS1_3genE5ELNS1_11target_archE942ELNS1_3gpuE9ELNS1_3repE0EEENS1_30default_config_static_selectorELNS0_4arch9wavefront6targetE1EEEvT1_.kd
    .uniform_work_group_size: 1
    .uses_dynamic_stack: false
    .vgpr_count:     53
    .vgpr_spill_count: 0
    .wavefront_size: 64
  - .agpr_count:     0
    .args:
      - .offset:         0
        .size:           144
        .value_kind:     by_value
    .group_segment_fixed_size: 0
    .kernarg_segment_align: 8
    .kernarg_segment_size: 144
    .language:       OpenCL C
    .language_version:
      - 2
      - 0
    .max_flat_workgroup_size: 192
    .name:           _ZN7rocprim17ROCPRIM_400000_NS6detail17trampoline_kernelINS0_14default_configENS1_25partition_config_selectorILNS1_17partition_subalgoE1ExNS0_10empty_typeEbEEZZNS1_14partition_implILS5_1ELb0ES3_jN6thrust23THRUST_200600_302600_NS6detail15normal_iteratorINSA_10device_ptrIxEEEEPS6_NSA_18transform_iteratorI7is_evenIxESF_NSA_11use_defaultESK_EENS0_5tupleIJNSA_16discard_iteratorISK_EESO_EEENSM_IJSG_SG_EEES6_PlJS6_EEE10hipError_tPvRmT3_T4_T5_T6_T7_T9_mT8_P12ihipStream_tbDpT10_ENKUlT_T0_E_clISt17integral_constantIbLb0EES1B_EEDaS16_S17_EUlS16_E_NS1_11comp_targetILNS1_3genE4ELNS1_11target_archE910ELNS1_3gpuE8ELNS1_3repE0EEENS1_30default_config_static_selectorELNS0_4arch9wavefront6targetE1EEEvT1_
    .private_segment_fixed_size: 0
    .sgpr_count:     6
    .sgpr_spill_count: 0
    .symbol:         _ZN7rocprim17ROCPRIM_400000_NS6detail17trampoline_kernelINS0_14default_configENS1_25partition_config_selectorILNS1_17partition_subalgoE1ExNS0_10empty_typeEbEEZZNS1_14partition_implILS5_1ELb0ES3_jN6thrust23THRUST_200600_302600_NS6detail15normal_iteratorINSA_10device_ptrIxEEEEPS6_NSA_18transform_iteratorI7is_evenIxESF_NSA_11use_defaultESK_EENS0_5tupleIJNSA_16discard_iteratorISK_EESO_EEENSM_IJSG_SG_EEES6_PlJS6_EEE10hipError_tPvRmT3_T4_T5_T6_T7_T9_mT8_P12ihipStream_tbDpT10_ENKUlT_T0_E_clISt17integral_constantIbLb0EES1B_EEDaS16_S17_EUlS16_E_NS1_11comp_targetILNS1_3genE4ELNS1_11target_archE910ELNS1_3gpuE8ELNS1_3repE0EEENS1_30default_config_static_selectorELNS0_4arch9wavefront6targetE1EEEvT1_.kd
    .uniform_work_group_size: 1
    .uses_dynamic_stack: false
    .vgpr_count:     0
    .vgpr_spill_count: 0
    .wavefront_size: 64
  - .agpr_count:     0
    .args:
      - .offset:         0
        .size:           144
        .value_kind:     by_value
    .group_segment_fixed_size: 0
    .kernarg_segment_align: 8
    .kernarg_segment_size: 144
    .language:       OpenCL C
    .language_version:
      - 2
      - 0
    .max_flat_workgroup_size: 128
    .name:           _ZN7rocprim17ROCPRIM_400000_NS6detail17trampoline_kernelINS0_14default_configENS1_25partition_config_selectorILNS1_17partition_subalgoE1ExNS0_10empty_typeEbEEZZNS1_14partition_implILS5_1ELb0ES3_jN6thrust23THRUST_200600_302600_NS6detail15normal_iteratorINSA_10device_ptrIxEEEEPS6_NSA_18transform_iteratorI7is_evenIxESF_NSA_11use_defaultESK_EENS0_5tupleIJNSA_16discard_iteratorISK_EESO_EEENSM_IJSG_SG_EEES6_PlJS6_EEE10hipError_tPvRmT3_T4_T5_T6_T7_T9_mT8_P12ihipStream_tbDpT10_ENKUlT_T0_E_clISt17integral_constantIbLb0EES1B_EEDaS16_S17_EUlS16_E_NS1_11comp_targetILNS1_3genE3ELNS1_11target_archE908ELNS1_3gpuE7ELNS1_3repE0EEENS1_30default_config_static_selectorELNS0_4arch9wavefront6targetE1EEEvT1_
    .private_segment_fixed_size: 0
    .sgpr_count:     6
    .sgpr_spill_count: 0
    .symbol:         _ZN7rocprim17ROCPRIM_400000_NS6detail17trampoline_kernelINS0_14default_configENS1_25partition_config_selectorILNS1_17partition_subalgoE1ExNS0_10empty_typeEbEEZZNS1_14partition_implILS5_1ELb0ES3_jN6thrust23THRUST_200600_302600_NS6detail15normal_iteratorINSA_10device_ptrIxEEEEPS6_NSA_18transform_iteratorI7is_evenIxESF_NSA_11use_defaultESK_EENS0_5tupleIJNSA_16discard_iteratorISK_EESO_EEENSM_IJSG_SG_EEES6_PlJS6_EEE10hipError_tPvRmT3_T4_T5_T6_T7_T9_mT8_P12ihipStream_tbDpT10_ENKUlT_T0_E_clISt17integral_constantIbLb0EES1B_EEDaS16_S17_EUlS16_E_NS1_11comp_targetILNS1_3genE3ELNS1_11target_archE908ELNS1_3gpuE7ELNS1_3repE0EEENS1_30default_config_static_selectorELNS0_4arch9wavefront6targetE1EEEvT1_.kd
    .uniform_work_group_size: 1
    .uses_dynamic_stack: false
    .vgpr_count:     0
    .vgpr_spill_count: 0
    .wavefront_size: 64
  - .agpr_count:     0
    .args:
      - .offset:         0
        .size:           144
        .value_kind:     by_value
    .group_segment_fixed_size: 0
    .kernarg_segment_align: 8
    .kernarg_segment_size: 144
    .language:       OpenCL C
    .language_version:
      - 2
      - 0
    .max_flat_workgroup_size: 256
    .name:           _ZN7rocprim17ROCPRIM_400000_NS6detail17trampoline_kernelINS0_14default_configENS1_25partition_config_selectorILNS1_17partition_subalgoE1ExNS0_10empty_typeEbEEZZNS1_14partition_implILS5_1ELb0ES3_jN6thrust23THRUST_200600_302600_NS6detail15normal_iteratorINSA_10device_ptrIxEEEEPS6_NSA_18transform_iteratorI7is_evenIxESF_NSA_11use_defaultESK_EENS0_5tupleIJNSA_16discard_iteratorISK_EESO_EEENSM_IJSG_SG_EEES6_PlJS6_EEE10hipError_tPvRmT3_T4_T5_T6_T7_T9_mT8_P12ihipStream_tbDpT10_ENKUlT_T0_E_clISt17integral_constantIbLb0EES1B_EEDaS16_S17_EUlS16_E_NS1_11comp_targetILNS1_3genE2ELNS1_11target_archE906ELNS1_3gpuE6ELNS1_3repE0EEENS1_30default_config_static_selectorELNS0_4arch9wavefront6targetE1EEEvT1_
    .private_segment_fixed_size: 0
    .sgpr_count:     6
    .sgpr_spill_count: 0
    .symbol:         _ZN7rocprim17ROCPRIM_400000_NS6detail17trampoline_kernelINS0_14default_configENS1_25partition_config_selectorILNS1_17partition_subalgoE1ExNS0_10empty_typeEbEEZZNS1_14partition_implILS5_1ELb0ES3_jN6thrust23THRUST_200600_302600_NS6detail15normal_iteratorINSA_10device_ptrIxEEEEPS6_NSA_18transform_iteratorI7is_evenIxESF_NSA_11use_defaultESK_EENS0_5tupleIJNSA_16discard_iteratorISK_EESO_EEENSM_IJSG_SG_EEES6_PlJS6_EEE10hipError_tPvRmT3_T4_T5_T6_T7_T9_mT8_P12ihipStream_tbDpT10_ENKUlT_T0_E_clISt17integral_constantIbLb0EES1B_EEDaS16_S17_EUlS16_E_NS1_11comp_targetILNS1_3genE2ELNS1_11target_archE906ELNS1_3gpuE6ELNS1_3repE0EEENS1_30default_config_static_selectorELNS0_4arch9wavefront6targetE1EEEvT1_.kd
    .uniform_work_group_size: 1
    .uses_dynamic_stack: false
    .vgpr_count:     0
    .vgpr_spill_count: 0
    .wavefront_size: 64
  - .agpr_count:     0
    .args:
      - .offset:         0
        .size:           144
        .value_kind:     by_value
    .group_segment_fixed_size: 0
    .kernarg_segment_align: 8
    .kernarg_segment_size: 144
    .language:       OpenCL C
    .language_version:
      - 2
      - 0
    .max_flat_workgroup_size: 256
    .name:           _ZN7rocprim17ROCPRIM_400000_NS6detail17trampoline_kernelINS0_14default_configENS1_25partition_config_selectorILNS1_17partition_subalgoE1ExNS0_10empty_typeEbEEZZNS1_14partition_implILS5_1ELb0ES3_jN6thrust23THRUST_200600_302600_NS6detail15normal_iteratorINSA_10device_ptrIxEEEEPS6_NSA_18transform_iteratorI7is_evenIxESF_NSA_11use_defaultESK_EENS0_5tupleIJNSA_16discard_iteratorISK_EESO_EEENSM_IJSG_SG_EEES6_PlJS6_EEE10hipError_tPvRmT3_T4_T5_T6_T7_T9_mT8_P12ihipStream_tbDpT10_ENKUlT_T0_E_clISt17integral_constantIbLb0EES1B_EEDaS16_S17_EUlS16_E_NS1_11comp_targetILNS1_3genE10ELNS1_11target_archE1200ELNS1_3gpuE4ELNS1_3repE0EEENS1_30default_config_static_selectorELNS0_4arch9wavefront6targetE1EEEvT1_
    .private_segment_fixed_size: 0
    .sgpr_count:     6
    .sgpr_spill_count: 0
    .symbol:         _ZN7rocprim17ROCPRIM_400000_NS6detail17trampoline_kernelINS0_14default_configENS1_25partition_config_selectorILNS1_17partition_subalgoE1ExNS0_10empty_typeEbEEZZNS1_14partition_implILS5_1ELb0ES3_jN6thrust23THRUST_200600_302600_NS6detail15normal_iteratorINSA_10device_ptrIxEEEEPS6_NSA_18transform_iteratorI7is_evenIxESF_NSA_11use_defaultESK_EENS0_5tupleIJNSA_16discard_iteratorISK_EESO_EEENSM_IJSG_SG_EEES6_PlJS6_EEE10hipError_tPvRmT3_T4_T5_T6_T7_T9_mT8_P12ihipStream_tbDpT10_ENKUlT_T0_E_clISt17integral_constantIbLb0EES1B_EEDaS16_S17_EUlS16_E_NS1_11comp_targetILNS1_3genE10ELNS1_11target_archE1200ELNS1_3gpuE4ELNS1_3repE0EEENS1_30default_config_static_selectorELNS0_4arch9wavefront6targetE1EEEvT1_.kd
    .uniform_work_group_size: 1
    .uses_dynamic_stack: false
    .vgpr_count:     0
    .vgpr_spill_count: 0
    .wavefront_size: 64
  - .agpr_count:     0
    .args:
      - .offset:         0
        .size:           144
        .value_kind:     by_value
    .group_segment_fixed_size: 0
    .kernarg_segment_align: 8
    .kernarg_segment_size: 144
    .language:       OpenCL C
    .language_version:
      - 2
      - 0
    .max_flat_workgroup_size: 128
    .name:           _ZN7rocprim17ROCPRIM_400000_NS6detail17trampoline_kernelINS0_14default_configENS1_25partition_config_selectorILNS1_17partition_subalgoE1ExNS0_10empty_typeEbEEZZNS1_14partition_implILS5_1ELb0ES3_jN6thrust23THRUST_200600_302600_NS6detail15normal_iteratorINSA_10device_ptrIxEEEEPS6_NSA_18transform_iteratorI7is_evenIxESF_NSA_11use_defaultESK_EENS0_5tupleIJNSA_16discard_iteratorISK_EESO_EEENSM_IJSG_SG_EEES6_PlJS6_EEE10hipError_tPvRmT3_T4_T5_T6_T7_T9_mT8_P12ihipStream_tbDpT10_ENKUlT_T0_E_clISt17integral_constantIbLb0EES1B_EEDaS16_S17_EUlS16_E_NS1_11comp_targetILNS1_3genE9ELNS1_11target_archE1100ELNS1_3gpuE3ELNS1_3repE0EEENS1_30default_config_static_selectorELNS0_4arch9wavefront6targetE1EEEvT1_
    .private_segment_fixed_size: 0
    .sgpr_count:     6
    .sgpr_spill_count: 0
    .symbol:         _ZN7rocprim17ROCPRIM_400000_NS6detail17trampoline_kernelINS0_14default_configENS1_25partition_config_selectorILNS1_17partition_subalgoE1ExNS0_10empty_typeEbEEZZNS1_14partition_implILS5_1ELb0ES3_jN6thrust23THRUST_200600_302600_NS6detail15normal_iteratorINSA_10device_ptrIxEEEEPS6_NSA_18transform_iteratorI7is_evenIxESF_NSA_11use_defaultESK_EENS0_5tupleIJNSA_16discard_iteratorISK_EESO_EEENSM_IJSG_SG_EEES6_PlJS6_EEE10hipError_tPvRmT3_T4_T5_T6_T7_T9_mT8_P12ihipStream_tbDpT10_ENKUlT_T0_E_clISt17integral_constantIbLb0EES1B_EEDaS16_S17_EUlS16_E_NS1_11comp_targetILNS1_3genE9ELNS1_11target_archE1100ELNS1_3gpuE3ELNS1_3repE0EEENS1_30default_config_static_selectorELNS0_4arch9wavefront6targetE1EEEvT1_.kd
    .uniform_work_group_size: 1
    .uses_dynamic_stack: false
    .vgpr_count:     0
    .vgpr_spill_count: 0
    .wavefront_size: 64
  - .agpr_count:     0
    .args:
      - .offset:         0
        .size:           144
        .value_kind:     by_value
    .group_segment_fixed_size: 0
    .kernarg_segment_align: 8
    .kernarg_segment_size: 144
    .language:       OpenCL C
    .language_version:
      - 2
      - 0
    .max_flat_workgroup_size: 512
    .name:           _ZN7rocprim17ROCPRIM_400000_NS6detail17trampoline_kernelINS0_14default_configENS1_25partition_config_selectorILNS1_17partition_subalgoE1ExNS0_10empty_typeEbEEZZNS1_14partition_implILS5_1ELb0ES3_jN6thrust23THRUST_200600_302600_NS6detail15normal_iteratorINSA_10device_ptrIxEEEEPS6_NSA_18transform_iteratorI7is_evenIxESF_NSA_11use_defaultESK_EENS0_5tupleIJNSA_16discard_iteratorISK_EESO_EEENSM_IJSG_SG_EEES6_PlJS6_EEE10hipError_tPvRmT3_T4_T5_T6_T7_T9_mT8_P12ihipStream_tbDpT10_ENKUlT_T0_E_clISt17integral_constantIbLb0EES1B_EEDaS16_S17_EUlS16_E_NS1_11comp_targetILNS1_3genE8ELNS1_11target_archE1030ELNS1_3gpuE2ELNS1_3repE0EEENS1_30default_config_static_selectorELNS0_4arch9wavefront6targetE1EEEvT1_
    .private_segment_fixed_size: 0
    .sgpr_count:     6
    .sgpr_spill_count: 0
    .symbol:         _ZN7rocprim17ROCPRIM_400000_NS6detail17trampoline_kernelINS0_14default_configENS1_25partition_config_selectorILNS1_17partition_subalgoE1ExNS0_10empty_typeEbEEZZNS1_14partition_implILS5_1ELb0ES3_jN6thrust23THRUST_200600_302600_NS6detail15normal_iteratorINSA_10device_ptrIxEEEEPS6_NSA_18transform_iteratorI7is_evenIxESF_NSA_11use_defaultESK_EENS0_5tupleIJNSA_16discard_iteratorISK_EESO_EEENSM_IJSG_SG_EEES6_PlJS6_EEE10hipError_tPvRmT3_T4_T5_T6_T7_T9_mT8_P12ihipStream_tbDpT10_ENKUlT_T0_E_clISt17integral_constantIbLb0EES1B_EEDaS16_S17_EUlS16_E_NS1_11comp_targetILNS1_3genE8ELNS1_11target_archE1030ELNS1_3gpuE2ELNS1_3repE0EEENS1_30default_config_static_selectorELNS0_4arch9wavefront6targetE1EEEvT1_.kd
    .uniform_work_group_size: 1
    .uses_dynamic_stack: false
    .vgpr_count:     0
    .vgpr_spill_count: 0
    .wavefront_size: 64
  - .agpr_count:     0
    .args:
      - .offset:         0
        .size:           160
        .value_kind:     by_value
    .group_segment_fixed_size: 0
    .kernarg_segment_align: 8
    .kernarg_segment_size: 160
    .language:       OpenCL C
    .language_version:
      - 2
      - 0
    .max_flat_workgroup_size: 128
    .name:           _ZN7rocprim17ROCPRIM_400000_NS6detail17trampoline_kernelINS0_14default_configENS1_25partition_config_selectorILNS1_17partition_subalgoE1ExNS0_10empty_typeEbEEZZNS1_14partition_implILS5_1ELb0ES3_jN6thrust23THRUST_200600_302600_NS6detail15normal_iteratorINSA_10device_ptrIxEEEEPS6_NSA_18transform_iteratorI7is_evenIxESF_NSA_11use_defaultESK_EENS0_5tupleIJNSA_16discard_iteratorISK_EESO_EEENSM_IJSG_SG_EEES6_PlJS6_EEE10hipError_tPvRmT3_T4_T5_T6_T7_T9_mT8_P12ihipStream_tbDpT10_ENKUlT_T0_E_clISt17integral_constantIbLb1EES1B_EEDaS16_S17_EUlS16_E_NS1_11comp_targetILNS1_3genE0ELNS1_11target_archE4294967295ELNS1_3gpuE0ELNS1_3repE0EEENS1_30default_config_static_selectorELNS0_4arch9wavefront6targetE1EEEvT1_
    .private_segment_fixed_size: 0
    .sgpr_count:     6
    .sgpr_spill_count: 0
    .symbol:         _ZN7rocprim17ROCPRIM_400000_NS6detail17trampoline_kernelINS0_14default_configENS1_25partition_config_selectorILNS1_17partition_subalgoE1ExNS0_10empty_typeEbEEZZNS1_14partition_implILS5_1ELb0ES3_jN6thrust23THRUST_200600_302600_NS6detail15normal_iteratorINSA_10device_ptrIxEEEEPS6_NSA_18transform_iteratorI7is_evenIxESF_NSA_11use_defaultESK_EENS0_5tupleIJNSA_16discard_iteratorISK_EESO_EEENSM_IJSG_SG_EEES6_PlJS6_EEE10hipError_tPvRmT3_T4_T5_T6_T7_T9_mT8_P12ihipStream_tbDpT10_ENKUlT_T0_E_clISt17integral_constantIbLb1EES1B_EEDaS16_S17_EUlS16_E_NS1_11comp_targetILNS1_3genE0ELNS1_11target_archE4294967295ELNS1_3gpuE0ELNS1_3repE0EEENS1_30default_config_static_selectorELNS0_4arch9wavefront6targetE1EEEvT1_.kd
    .uniform_work_group_size: 1
    .uses_dynamic_stack: false
    .vgpr_count:     0
    .vgpr_spill_count: 0
    .wavefront_size: 64
  - .agpr_count:     0
    .args:
      - .offset:         0
        .size:           160
        .value_kind:     by_value
    .group_segment_fixed_size: 28680
    .kernarg_segment_align: 8
    .kernarg_segment_size: 160
    .language:       OpenCL C
    .language_version:
      - 2
      - 0
    .max_flat_workgroup_size: 512
    .name:           _ZN7rocprim17ROCPRIM_400000_NS6detail17trampoline_kernelINS0_14default_configENS1_25partition_config_selectorILNS1_17partition_subalgoE1ExNS0_10empty_typeEbEEZZNS1_14partition_implILS5_1ELb0ES3_jN6thrust23THRUST_200600_302600_NS6detail15normal_iteratorINSA_10device_ptrIxEEEEPS6_NSA_18transform_iteratorI7is_evenIxESF_NSA_11use_defaultESK_EENS0_5tupleIJNSA_16discard_iteratorISK_EESO_EEENSM_IJSG_SG_EEES6_PlJS6_EEE10hipError_tPvRmT3_T4_T5_T6_T7_T9_mT8_P12ihipStream_tbDpT10_ENKUlT_T0_E_clISt17integral_constantIbLb1EES1B_EEDaS16_S17_EUlS16_E_NS1_11comp_targetILNS1_3genE5ELNS1_11target_archE942ELNS1_3gpuE9ELNS1_3repE0EEENS1_30default_config_static_selectorELNS0_4arch9wavefront6targetE1EEEvT1_
    .private_segment_fixed_size: 0
    .sgpr_count:     42
    .sgpr_spill_count: 0
    .symbol:         _ZN7rocprim17ROCPRIM_400000_NS6detail17trampoline_kernelINS0_14default_configENS1_25partition_config_selectorILNS1_17partition_subalgoE1ExNS0_10empty_typeEbEEZZNS1_14partition_implILS5_1ELb0ES3_jN6thrust23THRUST_200600_302600_NS6detail15normal_iteratorINSA_10device_ptrIxEEEEPS6_NSA_18transform_iteratorI7is_evenIxESF_NSA_11use_defaultESK_EENS0_5tupleIJNSA_16discard_iteratorISK_EESO_EEENSM_IJSG_SG_EEES6_PlJS6_EEE10hipError_tPvRmT3_T4_T5_T6_T7_T9_mT8_P12ihipStream_tbDpT10_ENKUlT_T0_E_clISt17integral_constantIbLb1EES1B_EEDaS16_S17_EUlS16_E_NS1_11comp_targetILNS1_3genE5ELNS1_11target_archE942ELNS1_3gpuE9ELNS1_3repE0EEENS1_30default_config_static_selectorELNS0_4arch9wavefront6targetE1EEEvT1_.kd
    .uniform_work_group_size: 1
    .uses_dynamic_stack: false
    .vgpr_count:     55
    .vgpr_spill_count: 0
    .wavefront_size: 64
  - .agpr_count:     0
    .args:
      - .offset:         0
        .size:           160
        .value_kind:     by_value
    .group_segment_fixed_size: 0
    .kernarg_segment_align: 8
    .kernarg_segment_size: 160
    .language:       OpenCL C
    .language_version:
      - 2
      - 0
    .max_flat_workgroup_size: 192
    .name:           _ZN7rocprim17ROCPRIM_400000_NS6detail17trampoline_kernelINS0_14default_configENS1_25partition_config_selectorILNS1_17partition_subalgoE1ExNS0_10empty_typeEbEEZZNS1_14partition_implILS5_1ELb0ES3_jN6thrust23THRUST_200600_302600_NS6detail15normal_iteratorINSA_10device_ptrIxEEEEPS6_NSA_18transform_iteratorI7is_evenIxESF_NSA_11use_defaultESK_EENS0_5tupleIJNSA_16discard_iteratorISK_EESO_EEENSM_IJSG_SG_EEES6_PlJS6_EEE10hipError_tPvRmT3_T4_T5_T6_T7_T9_mT8_P12ihipStream_tbDpT10_ENKUlT_T0_E_clISt17integral_constantIbLb1EES1B_EEDaS16_S17_EUlS16_E_NS1_11comp_targetILNS1_3genE4ELNS1_11target_archE910ELNS1_3gpuE8ELNS1_3repE0EEENS1_30default_config_static_selectorELNS0_4arch9wavefront6targetE1EEEvT1_
    .private_segment_fixed_size: 0
    .sgpr_count:     6
    .sgpr_spill_count: 0
    .symbol:         _ZN7rocprim17ROCPRIM_400000_NS6detail17trampoline_kernelINS0_14default_configENS1_25partition_config_selectorILNS1_17partition_subalgoE1ExNS0_10empty_typeEbEEZZNS1_14partition_implILS5_1ELb0ES3_jN6thrust23THRUST_200600_302600_NS6detail15normal_iteratorINSA_10device_ptrIxEEEEPS6_NSA_18transform_iteratorI7is_evenIxESF_NSA_11use_defaultESK_EENS0_5tupleIJNSA_16discard_iteratorISK_EESO_EEENSM_IJSG_SG_EEES6_PlJS6_EEE10hipError_tPvRmT3_T4_T5_T6_T7_T9_mT8_P12ihipStream_tbDpT10_ENKUlT_T0_E_clISt17integral_constantIbLb1EES1B_EEDaS16_S17_EUlS16_E_NS1_11comp_targetILNS1_3genE4ELNS1_11target_archE910ELNS1_3gpuE8ELNS1_3repE0EEENS1_30default_config_static_selectorELNS0_4arch9wavefront6targetE1EEEvT1_.kd
    .uniform_work_group_size: 1
    .uses_dynamic_stack: false
    .vgpr_count:     0
    .vgpr_spill_count: 0
    .wavefront_size: 64
  - .agpr_count:     0
    .args:
      - .offset:         0
        .size:           160
        .value_kind:     by_value
    .group_segment_fixed_size: 0
    .kernarg_segment_align: 8
    .kernarg_segment_size: 160
    .language:       OpenCL C
    .language_version:
      - 2
      - 0
    .max_flat_workgroup_size: 128
    .name:           _ZN7rocprim17ROCPRIM_400000_NS6detail17trampoline_kernelINS0_14default_configENS1_25partition_config_selectorILNS1_17partition_subalgoE1ExNS0_10empty_typeEbEEZZNS1_14partition_implILS5_1ELb0ES3_jN6thrust23THRUST_200600_302600_NS6detail15normal_iteratorINSA_10device_ptrIxEEEEPS6_NSA_18transform_iteratorI7is_evenIxESF_NSA_11use_defaultESK_EENS0_5tupleIJNSA_16discard_iteratorISK_EESO_EEENSM_IJSG_SG_EEES6_PlJS6_EEE10hipError_tPvRmT3_T4_T5_T6_T7_T9_mT8_P12ihipStream_tbDpT10_ENKUlT_T0_E_clISt17integral_constantIbLb1EES1B_EEDaS16_S17_EUlS16_E_NS1_11comp_targetILNS1_3genE3ELNS1_11target_archE908ELNS1_3gpuE7ELNS1_3repE0EEENS1_30default_config_static_selectorELNS0_4arch9wavefront6targetE1EEEvT1_
    .private_segment_fixed_size: 0
    .sgpr_count:     6
    .sgpr_spill_count: 0
    .symbol:         _ZN7rocprim17ROCPRIM_400000_NS6detail17trampoline_kernelINS0_14default_configENS1_25partition_config_selectorILNS1_17partition_subalgoE1ExNS0_10empty_typeEbEEZZNS1_14partition_implILS5_1ELb0ES3_jN6thrust23THRUST_200600_302600_NS6detail15normal_iteratorINSA_10device_ptrIxEEEEPS6_NSA_18transform_iteratorI7is_evenIxESF_NSA_11use_defaultESK_EENS0_5tupleIJNSA_16discard_iteratorISK_EESO_EEENSM_IJSG_SG_EEES6_PlJS6_EEE10hipError_tPvRmT3_T4_T5_T6_T7_T9_mT8_P12ihipStream_tbDpT10_ENKUlT_T0_E_clISt17integral_constantIbLb1EES1B_EEDaS16_S17_EUlS16_E_NS1_11comp_targetILNS1_3genE3ELNS1_11target_archE908ELNS1_3gpuE7ELNS1_3repE0EEENS1_30default_config_static_selectorELNS0_4arch9wavefront6targetE1EEEvT1_.kd
    .uniform_work_group_size: 1
    .uses_dynamic_stack: false
    .vgpr_count:     0
    .vgpr_spill_count: 0
    .wavefront_size: 64
  - .agpr_count:     0
    .args:
      - .offset:         0
        .size:           160
        .value_kind:     by_value
    .group_segment_fixed_size: 0
    .kernarg_segment_align: 8
    .kernarg_segment_size: 160
    .language:       OpenCL C
    .language_version:
      - 2
      - 0
    .max_flat_workgroup_size: 256
    .name:           _ZN7rocprim17ROCPRIM_400000_NS6detail17trampoline_kernelINS0_14default_configENS1_25partition_config_selectorILNS1_17partition_subalgoE1ExNS0_10empty_typeEbEEZZNS1_14partition_implILS5_1ELb0ES3_jN6thrust23THRUST_200600_302600_NS6detail15normal_iteratorINSA_10device_ptrIxEEEEPS6_NSA_18transform_iteratorI7is_evenIxESF_NSA_11use_defaultESK_EENS0_5tupleIJNSA_16discard_iteratorISK_EESO_EEENSM_IJSG_SG_EEES6_PlJS6_EEE10hipError_tPvRmT3_T4_T5_T6_T7_T9_mT8_P12ihipStream_tbDpT10_ENKUlT_T0_E_clISt17integral_constantIbLb1EES1B_EEDaS16_S17_EUlS16_E_NS1_11comp_targetILNS1_3genE2ELNS1_11target_archE906ELNS1_3gpuE6ELNS1_3repE0EEENS1_30default_config_static_selectorELNS0_4arch9wavefront6targetE1EEEvT1_
    .private_segment_fixed_size: 0
    .sgpr_count:     6
    .sgpr_spill_count: 0
    .symbol:         _ZN7rocprim17ROCPRIM_400000_NS6detail17trampoline_kernelINS0_14default_configENS1_25partition_config_selectorILNS1_17partition_subalgoE1ExNS0_10empty_typeEbEEZZNS1_14partition_implILS5_1ELb0ES3_jN6thrust23THRUST_200600_302600_NS6detail15normal_iteratorINSA_10device_ptrIxEEEEPS6_NSA_18transform_iteratorI7is_evenIxESF_NSA_11use_defaultESK_EENS0_5tupleIJNSA_16discard_iteratorISK_EESO_EEENSM_IJSG_SG_EEES6_PlJS6_EEE10hipError_tPvRmT3_T4_T5_T6_T7_T9_mT8_P12ihipStream_tbDpT10_ENKUlT_T0_E_clISt17integral_constantIbLb1EES1B_EEDaS16_S17_EUlS16_E_NS1_11comp_targetILNS1_3genE2ELNS1_11target_archE906ELNS1_3gpuE6ELNS1_3repE0EEENS1_30default_config_static_selectorELNS0_4arch9wavefront6targetE1EEEvT1_.kd
    .uniform_work_group_size: 1
    .uses_dynamic_stack: false
    .vgpr_count:     0
    .vgpr_spill_count: 0
    .wavefront_size: 64
  - .agpr_count:     0
    .args:
      - .offset:         0
        .size:           160
        .value_kind:     by_value
    .group_segment_fixed_size: 0
    .kernarg_segment_align: 8
    .kernarg_segment_size: 160
    .language:       OpenCL C
    .language_version:
      - 2
      - 0
    .max_flat_workgroup_size: 256
    .name:           _ZN7rocprim17ROCPRIM_400000_NS6detail17trampoline_kernelINS0_14default_configENS1_25partition_config_selectorILNS1_17partition_subalgoE1ExNS0_10empty_typeEbEEZZNS1_14partition_implILS5_1ELb0ES3_jN6thrust23THRUST_200600_302600_NS6detail15normal_iteratorINSA_10device_ptrIxEEEEPS6_NSA_18transform_iteratorI7is_evenIxESF_NSA_11use_defaultESK_EENS0_5tupleIJNSA_16discard_iteratorISK_EESO_EEENSM_IJSG_SG_EEES6_PlJS6_EEE10hipError_tPvRmT3_T4_T5_T6_T7_T9_mT8_P12ihipStream_tbDpT10_ENKUlT_T0_E_clISt17integral_constantIbLb1EES1B_EEDaS16_S17_EUlS16_E_NS1_11comp_targetILNS1_3genE10ELNS1_11target_archE1200ELNS1_3gpuE4ELNS1_3repE0EEENS1_30default_config_static_selectorELNS0_4arch9wavefront6targetE1EEEvT1_
    .private_segment_fixed_size: 0
    .sgpr_count:     6
    .sgpr_spill_count: 0
    .symbol:         _ZN7rocprim17ROCPRIM_400000_NS6detail17trampoline_kernelINS0_14default_configENS1_25partition_config_selectorILNS1_17partition_subalgoE1ExNS0_10empty_typeEbEEZZNS1_14partition_implILS5_1ELb0ES3_jN6thrust23THRUST_200600_302600_NS6detail15normal_iteratorINSA_10device_ptrIxEEEEPS6_NSA_18transform_iteratorI7is_evenIxESF_NSA_11use_defaultESK_EENS0_5tupleIJNSA_16discard_iteratorISK_EESO_EEENSM_IJSG_SG_EEES6_PlJS6_EEE10hipError_tPvRmT3_T4_T5_T6_T7_T9_mT8_P12ihipStream_tbDpT10_ENKUlT_T0_E_clISt17integral_constantIbLb1EES1B_EEDaS16_S17_EUlS16_E_NS1_11comp_targetILNS1_3genE10ELNS1_11target_archE1200ELNS1_3gpuE4ELNS1_3repE0EEENS1_30default_config_static_selectorELNS0_4arch9wavefront6targetE1EEEvT1_.kd
    .uniform_work_group_size: 1
    .uses_dynamic_stack: false
    .vgpr_count:     0
    .vgpr_spill_count: 0
    .wavefront_size: 64
  - .agpr_count:     0
    .args:
      - .offset:         0
        .size:           160
        .value_kind:     by_value
    .group_segment_fixed_size: 0
    .kernarg_segment_align: 8
    .kernarg_segment_size: 160
    .language:       OpenCL C
    .language_version:
      - 2
      - 0
    .max_flat_workgroup_size: 128
    .name:           _ZN7rocprim17ROCPRIM_400000_NS6detail17trampoline_kernelINS0_14default_configENS1_25partition_config_selectorILNS1_17partition_subalgoE1ExNS0_10empty_typeEbEEZZNS1_14partition_implILS5_1ELb0ES3_jN6thrust23THRUST_200600_302600_NS6detail15normal_iteratorINSA_10device_ptrIxEEEEPS6_NSA_18transform_iteratorI7is_evenIxESF_NSA_11use_defaultESK_EENS0_5tupleIJNSA_16discard_iteratorISK_EESO_EEENSM_IJSG_SG_EEES6_PlJS6_EEE10hipError_tPvRmT3_T4_T5_T6_T7_T9_mT8_P12ihipStream_tbDpT10_ENKUlT_T0_E_clISt17integral_constantIbLb1EES1B_EEDaS16_S17_EUlS16_E_NS1_11comp_targetILNS1_3genE9ELNS1_11target_archE1100ELNS1_3gpuE3ELNS1_3repE0EEENS1_30default_config_static_selectorELNS0_4arch9wavefront6targetE1EEEvT1_
    .private_segment_fixed_size: 0
    .sgpr_count:     6
    .sgpr_spill_count: 0
    .symbol:         _ZN7rocprim17ROCPRIM_400000_NS6detail17trampoline_kernelINS0_14default_configENS1_25partition_config_selectorILNS1_17partition_subalgoE1ExNS0_10empty_typeEbEEZZNS1_14partition_implILS5_1ELb0ES3_jN6thrust23THRUST_200600_302600_NS6detail15normal_iteratorINSA_10device_ptrIxEEEEPS6_NSA_18transform_iteratorI7is_evenIxESF_NSA_11use_defaultESK_EENS0_5tupleIJNSA_16discard_iteratorISK_EESO_EEENSM_IJSG_SG_EEES6_PlJS6_EEE10hipError_tPvRmT3_T4_T5_T6_T7_T9_mT8_P12ihipStream_tbDpT10_ENKUlT_T0_E_clISt17integral_constantIbLb1EES1B_EEDaS16_S17_EUlS16_E_NS1_11comp_targetILNS1_3genE9ELNS1_11target_archE1100ELNS1_3gpuE3ELNS1_3repE0EEENS1_30default_config_static_selectorELNS0_4arch9wavefront6targetE1EEEvT1_.kd
    .uniform_work_group_size: 1
    .uses_dynamic_stack: false
    .vgpr_count:     0
    .vgpr_spill_count: 0
    .wavefront_size: 64
  - .agpr_count:     0
    .args:
      - .offset:         0
        .size:           160
        .value_kind:     by_value
    .group_segment_fixed_size: 0
    .kernarg_segment_align: 8
    .kernarg_segment_size: 160
    .language:       OpenCL C
    .language_version:
      - 2
      - 0
    .max_flat_workgroup_size: 512
    .name:           _ZN7rocprim17ROCPRIM_400000_NS6detail17trampoline_kernelINS0_14default_configENS1_25partition_config_selectorILNS1_17partition_subalgoE1ExNS0_10empty_typeEbEEZZNS1_14partition_implILS5_1ELb0ES3_jN6thrust23THRUST_200600_302600_NS6detail15normal_iteratorINSA_10device_ptrIxEEEEPS6_NSA_18transform_iteratorI7is_evenIxESF_NSA_11use_defaultESK_EENS0_5tupleIJNSA_16discard_iteratorISK_EESO_EEENSM_IJSG_SG_EEES6_PlJS6_EEE10hipError_tPvRmT3_T4_T5_T6_T7_T9_mT8_P12ihipStream_tbDpT10_ENKUlT_T0_E_clISt17integral_constantIbLb1EES1B_EEDaS16_S17_EUlS16_E_NS1_11comp_targetILNS1_3genE8ELNS1_11target_archE1030ELNS1_3gpuE2ELNS1_3repE0EEENS1_30default_config_static_selectorELNS0_4arch9wavefront6targetE1EEEvT1_
    .private_segment_fixed_size: 0
    .sgpr_count:     6
    .sgpr_spill_count: 0
    .symbol:         _ZN7rocprim17ROCPRIM_400000_NS6detail17trampoline_kernelINS0_14default_configENS1_25partition_config_selectorILNS1_17partition_subalgoE1ExNS0_10empty_typeEbEEZZNS1_14partition_implILS5_1ELb0ES3_jN6thrust23THRUST_200600_302600_NS6detail15normal_iteratorINSA_10device_ptrIxEEEEPS6_NSA_18transform_iteratorI7is_evenIxESF_NSA_11use_defaultESK_EENS0_5tupleIJNSA_16discard_iteratorISK_EESO_EEENSM_IJSG_SG_EEES6_PlJS6_EEE10hipError_tPvRmT3_T4_T5_T6_T7_T9_mT8_P12ihipStream_tbDpT10_ENKUlT_T0_E_clISt17integral_constantIbLb1EES1B_EEDaS16_S17_EUlS16_E_NS1_11comp_targetILNS1_3genE8ELNS1_11target_archE1030ELNS1_3gpuE2ELNS1_3repE0EEENS1_30default_config_static_selectorELNS0_4arch9wavefront6targetE1EEEvT1_.kd
    .uniform_work_group_size: 1
    .uses_dynamic_stack: false
    .vgpr_count:     0
    .vgpr_spill_count: 0
    .wavefront_size: 64
  - .agpr_count:     0
    .args:
      - .offset:         0
        .size:           144
        .value_kind:     by_value
    .group_segment_fixed_size: 0
    .kernarg_segment_align: 8
    .kernarg_segment_size: 144
    .language:       OpenCL C
    .language_version:
      - 2
      - 0
    .max_flat_workgroup_size: 128
    .name:           _ZN7rocprim17ROCPRIM_400000_NS6detail17trampoline_kernelINS0_14default_configENS1_25partition_config_selectorILNS1_17partition_subalgoE1ExNS0_10empty_typeEbEEZZNS1_14partition_implILS5_1ELb0ES3_jN6thrust23THRUST_200600_302600_NS6detail15normal_iteratorINSA_10device_ptrIxEEEEPS6_NSA_18transform_iteratorI7is_evenIxESF_NSA_11use_defaultESK_EENS0_5tupleIJNSA_16discard_iteratorISK_EESO_EEENSM_IJSG_SG_EEES6_PlJS6_EEE10hipError_tPvRmT3_T4_T5_T6_T7_T9_mT8_P12ihipStream_tbDpT10_ENKUlT_T0_E_clISt17integral_constantIbLb1EES1A_IbLb0EEEEDaS16_S17_EUlS16_E_NS1_11comp_targetILNS1_3genE0ELNS1_11target_archE4294967295ELNS1_3gpuE0ELNS1_3repE0EEENS1_30default_config_static_selectorELNS0_4arch9wavefront6targetE1EEEvT1_
    .private_segment_fixed_size: 0
    .sgpr_count:     6
    .sgpr_spill_count: 0
    .symbol:         _ZN7rocprim17ROCPRIM_400000_NS6detail17trampoline_kernelINS0_14default_configENS1_25partition_config_selectorILNS1_17partition_subalgoE1ExNS0_10empty_typeEbEEZZNS1_14partition_implILS5_1ELb0ES3_jN6thrust23THRUST_200600_302600_NS6detail15normal_iteratorINSA_10device_ptrIxEEEEPS6_NSA_18transform_iteratorI7is_evenIxESF_NSA_11use_defaultESK_EENS0_5tupleIJNSA_16discard_iteratorISK_EESO_EEENSM_IJSG_SG_EEES6_PlJS6_EEE10hipError_tPvRmT3_T4_T5_T6_T7_T9_mT8_P12ihipStream_tbDpT10_ENKUlT_T0_E_clISt17integral_constantIbLb1EES1A_IbLb0EEEEDaS16_S17_EUlS16_E_NS1_11comp_targetILNS1_3genE0ELNS1_11target_archE4294967295ELNS1_3gpuE0ELNS1_3repE0EEENS1_30default_config_static_selectorELNS0_4arch9wavefront6targetE1EEEvT1_.kd
    .uniform_work_group_size: 1
    .uses_dynamic_stack: false
    .vgpr_count:     0
    .vgpr_spill_count: 0
    .wavefront_size: 64
  - .agpr_count:     0
    .args:
      - .offset:         0
        .size:           144
        .value_kind:     by_value
    .group_segment_fixed_size: 28680
    .kernarg_segment_align: 8
    .kernarg_segment_size: 144
    .language:       OpenCL C
    .language_version:
      - 2
      - 0
    .max_flat_workgroup_size: 512
    .name:           _ZN7rocprim17ROCPRIM_400000_NS6detail17trampoline_kernelINS0_14default_configENS1_25partition_config_selectorILNS1_17partition_subalgoE1ExNS0_10empty_typeEbEEZZNS1_14partition_implILS5_1ELb0ES3_jN6thrust23THRUST_200600_302600_NS6detail15normal_iteratorINSA_10device_ptrIxEEEEPS6_NSA_18transform_iteratorI7is_evenIxESF_NSA_11use_defaultESK_EENS0_5tupleIJNSA_16discard_iteratorISK_EESO_EEENSM_IJSG_SG_EEES6_PlJS6_EEE10hipError_tPvRmT3_T4_T5_T6_T7_T9_mT8_P12ihipStream_tbDpT10_ENKUlT_T0_E_clISt17integral_constantIbLb1EES1A_IbLb0EEEEDaS16_S17_EUlS16_E_NS1_11comp_targetILNS1_3genE5ELNS1_11target_archE942ELNS1_3gpuE9ELNS1_3repE0EEENS1_30default_config_static_selectorELNS0_4arch9wavefront6targetE1EEEvT1_
    .private_segment_fixed_size: 0
    .sgpr_count:     42
    .sgpr_spill_count: 0
    .symbol:         _ZN7rocprim17ROCPRIM_400000_NS6detail17trampoline_kernelINS0_14default_configENS1_25partition_config_selectorILNS1_17partition_subalgoE1ExNS0_10empty_typeEbEEZZNS1_14partition_implILS5_1ELb0ES3_jN6thrust23THRUST_200600_302600_NS6detail15normal_iteratorINSA_10device_ptrIxEEEEPS6_NSA_18transform_iteratorI7is_evenIxESF_NSA_11use_defaultESK_EENS0_5tupleIJNSA_16discard_iteratorISK_EESO_EEENSM_IJSG_SG_EEES6_PlJS6_EEE10hipError_tPvRmT3_T4_T5_T6_T7_T9_mT8_P12ihipStream_tbDpT10_ENKUlT_T0_E_clISt17integral_constantIbLb1EES1A_IbLb0EEEEDaS16_S17_EUlS16_E_NS1_11comp_targetILNS1_3genE5ELNS1_11target_archE942ELNS1_3gpuE9ELNS1_3repE0EEENS1_30default_config_static_selectorELNS0_4arch9wavefront6targetE1EEEvT1_.kd
    .uniform_work_group_size: 1
    .uses_dynamic_stack: false
    .vgpr_count:     53
    .vgpr_spill_count: 0
    .wavefront_size: 64
  - .agpr_count:     0
    .args:
      - .offset:         0
        .size:           144
        .value_kind:     by_value
    .group_segment_fixed_size: 0
    .kernarg_segment_align: 8
    .kernarg_segment_size: 144
    .language:       OpenCL C
    .language_version:
      - 2
      - 0
    .max_flat_workgroup_size: 192
    .name:           _ZN7rocprim17ROCPRIM_400000_NS6detail17trampoline_kernelINS0_14default_configENS1_25partition_config_selectorILNS1_17partition_subalgoE1ExNS0_10empty_typeEbEEZZNS1_14partition_implILS5_1ELb0ES3_jN6thrust23THRUST_200600_302600_NS6detail15normal_iteratorINSA_10device_ptrIxEEEEPS6_NSA_18transform_iteratorI7is_evenIxESF_NSA_11use_defaultESK_EENS0_5tupleIJNSA_16discard_iteratorISK_EESO_EEENSM_IJSG_SG_EEES6_PlJS6_EEE10hipError_tPvRmT3_T4_T5_T6_T7_T9_mT8_P12ihipStream_tbDpT10_ENKUlT_T0_E_clISt17integral_constantIbLb1EES1A_IbLb0EEEEDaS16_S17_EUlS16_E_NS1_11comp_targetILNS1_3genE4ELNS1_11target_archE910ELNS1_3gpuE8ELNS1_3repE0EEENS1_30default_config_static_selectorELNS0_4arch9wavefront6targetE1EEEvT1_
    .private_segment_fixed_size: 0
    .sgpr_count:     6
    .sgpr_spill_count: 0
    .symbol:         _ZN7rocprim17ROCPRIM_400000_NS6detail17trampoline_kernelINS0_14default_configENS1_25partition_config_selectorILNS1_17partition_subalgoE1ExNS0_10empty_typeEbEEZZNS1_14partition_implILS5_1ELb0ES3_jN6thrust23THRUST_200600_302600_NS6detail15normal_iteratorINSA_10device_ptrIxEEEEPS6_NSA_18transform_iteratorI7is_evenIxESF_NSA_11use_defaultESK_EENS0_5tupleIJNSA_16discard_iteratorISK_EESO_EEENSM_IJSG_SG_EEES6_PlJS6_EEE10hipError_tPvRmT3_T4_T5_T6_T7_T9_mT8_P12ihipStream_tbDpT10_ENKUlT_T0_E_clISt17integral_constantIbLb1EES1A_IbLb0EEEEDaS16_S17_EUlS16_E_NS1_11comp_targetILNS1_3genE4ELNS1_11target_archE910ELNS1_3gpuE8ELNS1_3repE0EEENS1_30default_config_static_selectorELNS0_4arch9wavefront6targetE1EEEvT1_.kd
    .uniform_work_group_size: 1
    .uses_dynamic_stack: false
    .vgpr_count:     0
    .vgpr_spill_count: 0
    .wavefront_size: 64
  - .agpr_count:     0
    .args:
      - .offset:         0
        .size:           144
        .value_kind:     by_value
    .group_segment_fixed_size: 0
    .kernarg_segment_align: 8
    .kernarg_segment_size: 144
    .language:       OpenCL C
    .language_version:
      - 2
      - 0
    .max_flat_workgroup_size: 128
    .name:           _ZN7rocprim17ROCPRIM_400000_NS6detail17trampoline_kernelINS0_14default_configENS1_25partition_config_selectorILNS1_17partition_subalgoE1ExNS0_10empty_typeEbEEZZNS1_14partition_implILS5_1ELb0ES3_jN6thrust23THRUST_200600_302600_NS6detail15normal_iteratorINSA_10device_ptrIxEEEEPS6_NSA_18transform_iteratorI7is_evenIxESF_NSA_11use_defaultESK_EENS0_5tupleIJNSA_16discard_iteratorISK_EESO_EEENSM_IJSG_SG_EEES6_PlJS6_EEE10hipError_tPvRmT3_T4_T5_T6_T7_T9_mT8_P12ihipStream_tbDpT10_ENKUlT_T0_E_clISt17integral_constantIbLb1EES1A_IbLb0EEEEDaS16_S17_EUlS16_E_NS1_11comp_targetILNS1_3genE3ELNS1_11target_archE908ELNS1_3gpuE7ELNS1_3repE0EEENS1_30default_config_static_selectorELNS0_4arch9wavefront6targetE1EEEvT1_
    .private_segment_fixed_size: 0
    .sgpr_count:     6
    .sgpr_spill_count: 0
    .symbol:         _ZN7rocprim17ROCPRIM_400000_NS6detail17trampoline_kernelINS0_14default_configENS1_25partition_config_selectorILNS1_17partition_subalgoE1ExNS0_10empty_typeEbEEZZNS1_14partition_implILS5_1ELb0ES3_jN6thrust23THRUST_200600_302600_NS6detail15normal_iteratorINSA_10device_ptrIxEEEEPS6_NSA_18transform_iteratorI7is_evenIxESF_NSA_11use_defaultESK_EENS0_5tupleIJNSA_16discard_iteratorISK_EESO_EEENSM_IJSG_SG_EEES6_PlJS6_EEE10hipError_tPvRmT3_T4_T5_T6_T7_T9_mT8_P12ihipStream_tbDpT10_ENKUlT_T0_E_clISt17integral_constantIbLb1EES1A_IbLb0EEEEDaS16_S17_EUlS16_E_NS1_11comp_targetILNS1_3genE3ELNS1_11target_archE908ELNS1_3gpuE7ELNS1_3repE0EEENS1_30default_config_static_selectorELNS0_4arch9wavefront6targetE1EEEvT1_.kd
    .uniform_work_group_size: 1
    .uses_dynamic_stack: false
    .vgpr_count:     0
    .vgpr_spill_count: 0
    .wavefront_size: 64
  - .agpr_count:     0
    .args:
      - .offset:         0
        .size:           144
        .value_kind:     by_value
    .group_segment_fixed_size: 0
    .kernarg_segment_align: 8
    .kernarg_segment_size: 144
    .language:       OpenCL C
    .language_version:
      - 2
      - 0
    .max_flat_workgroup_size: 256
    .name:           _ZN7rocprim17ROCPRIM_400000_NS6detail17trampoline_kernelINS0_14default_configENS1_25partition_config_selectorILNS1_17partition_subalgoE1ExNS0_10empty_typeEbEEZZNS1_14partition_implILS5_1ELb0ES3_jN6thrust23THRUST_200600_302600_NS6detail15normal_iteratorINSA_10device_ptrIxEEEEPS6_NSA_18transform_iteratorI7is_evenIxESF_NSA_11use_defaultESK_EENS0_5tupleIJNSA_16discard_iteratorISK_EESO_EEENSM_IJSG_SG_EEES6_PlJS6_EEE10hipError_tPvRmT3_T4_T5_T6_T7_T9_mT8_P12ihipStream_tbDpT10_ENKUlT_T0_E_clISt17integral_constantIbLb1EES1A_IbLb0EEEEDaS16_S17_EUlS16_E_NS1_11comp_targetILNS1_3genE2ELNS1_11target_archE906ELNS1_3gpuE6ELNS1_3repE0EEENS1_30default_config_static_selectorELNS0_4arch9wavefront6targetE1EEEvT1_
    .private_segment_fixed_size: 0
    .sgpr_count:     6
    .sgpr_spill_count: 0
    .symbol:         _ZN7rocprim17ROCPRIM_400000_NS6detail17trampoline_kernelINS0_14default_configENS1_25partition_config_selectorILNS1_17partition_subalgoE1ExNS0_10empty_typeEbEEZZNS1_14partition_implILS5_1ELb0ES3_jN6thrust23THRUST_200600_302600_NS6detail15normal_iteratorINSA_10device_ptrIxEEEEPS6_NSA_18transform_iteratorI7is_evenIxESF_NSA_11use_defaultESK_EENS0_5tupleIJNSA_16discard_iteratorISK_EESO_EEENSM_IJSG_SG_EEES6_PlJS6_EEE10hipError_tPvRmT3_T4_T5_T6_T7_T9_mT8_P12ihipStream_tbDpT10_ENKUlT_T0_E_clISt17integral_constantIbLb1EES1A_IbLb0EEEEDaS16_S17_EUlS16_E_NS1_11comp_targetILNS1_3genE2ELNS1_11target_archE906ELNS1_3gpuE6ELNS1_3repE0EEENS1_30default_config_static_selectorELNS0_4arch9wavefront6targetE1EEEvT1_.kd
    .uniform_work_group_size: 1
    .uses_dynamic_stack: false
    .vgpr_count:     0
    .vgpr_spill_count: 0
    .wavefront_size: 64
  - .agpr_count:     0
    .args:
      - .offset:         0
        .size:           144
        .value_kind:     by_value
    .group_segment_fixed_size: 0
    .kernarg_segment_align: 8
    .kernarg_segment_size: 144
    .language:       OpenCL C
    .language_version:
      - 2
      - 0
    .max_flat_workgroup_size: 256
    .name:           _ZN7rocprim17ROCPRIM_400000_NS6detail17trampoline_kernelINS0_14default_configENS1_25partition_config_selectorILNS1_17partition_subalgoE1ExNS0_10empty_typeEbEEZZNS1_14partition_implILS5_1ELb0ES3_jN6thrust23THRUST_200600_302600_NS6detail15normal_iteratorINSA_10device_ptrIxEEEEPS6_NSA_18transform_iteratorI7is_evenIxESF_NSA_11use_defaultESK_EENS0_5tupleIJNSA_16discard_iteratorISK_EESO_EEENSM_IJSG_SG_EEES6_PlJS6_EEE10hipError_tPvRmT3_T4_T5_T6_T7_T9_mT8_P12ihipStream_tbDpT10_ENKUlT_T0_E_clISt17integral_constantIbLb1EES1A_IbLb0EEEEDaS16_S17_EUlS16_E_NS1_11comp_targetILNS1_3genE10ELNS1_11target_archE1200ELNS1_3gpuE4ELNS1_3repE0EEENS1_30default_config_static_selectorELNS0_4arch9wavefront6targetE1EEEvT1_
    .private_segment_fixed_size: 0
    .sgpr_count:     6
    .sgpr_spill_count: 0
    .symbol:         _ZN7rocprim17ROCPRIM_400000_NS6detail17trampoline_kernelINS0_14default_configENS1_25partition_config_selectorILNS1_17partition_subalgoE1ExNS0_10empty_typeEbEEZZNS1_14partition_implILS5_1ELb0ES3_jN6thrust23THRUST_200600_302600_NS6detail15normal_iteratorINSA_10device_ptrIxEEEEPS6_NSA_18transform_iteratorI7is_evenIxESF_NSA_11use_defaultESK_EENS0_5tupleIJNSA_16discard_iteratorISK_EESO_EEENSM_IJSG_SG_EEES6_PlJS6_EEE10hipError_tPvRmT3_T4_T5_T6_T7_T9_mT8_P12ihipStream_tbDpT10_ENKUlT_T0_E_clISt17integral_constantIbLb1EES1A_IbLb0EEEEDaS16_S17_EUlS16_E_NS1_11comp_targetILNS1_3genE10ELNS1_11target_archE1200ELNS1_3gpuE4ELNS1_3repE0EEENS1_30default_config_static_selectorELNS0_4arch9wavefront6targetE1EEEvT1_.kd
    .uniform_work_group_size: 1
    .uses_dynamic_stack: false
    .vgpr_count:     0
    .vgpr_spill_count: 0
    .wavefront_size: 64
  - .agpr_count:     0
    .args:
      - .offset:         0
        .size:           144
        .value_kind:     by_value
    .group_segment_fixed_size: 0
    .kernarg_segment_align: 8
    .kernarg_segment_size: 144
    .language:       OpenCL C
    .language_version:
      - 2
      - 0
    .max_flat_workgroup_size: 128
    .name:           _ZN7rocprim17ROCPRIM_400000_NS6detail17trampoline_kernelINS0_14default_configENS1_25partition_config_selectorILNS1_17partition_subalgoE1ExNS0_10empty_typeEbEEZZNS1_14partition_implILS5_1ELb0ES3_jN6thrust23THRUST_200600_302600_NS6detail15normal_iteratorINSA_10device_ptrIxEEEEPS6_NSA_18transform_iteratorI7is_evenIxESF_NSA_11use_defaultESK_EENS0_5tupleIJNSA_16discard_iteratorISK_EESO_EEENSM_IJSG_SG_EEES6_PlJS6_EEE10hipError_tPvRmT3_T4_T5_T6_T7_T9_mT8_P12ihipStream_tbDpT10_ENKUlT_T0_E_clISt17integral_constantIbLb1EES1A_IbLb0EEEEDaS16_S17_EUlS16_E_NS1_11comp_targetILNS1_3genE9ELNS1_11target_archE1100ELNS1_3gpuE3ELNS1_3repE0EEENS1_30default_config_static_selectorELNS0_4arch9wavefront6targetE1EEEvT1_
    .private_segment_fixed_size: 0
    .sgpr_count:     6
    .sgpr_spill_count: 0
    .symbol:         _ZN7rocprim17ROCPRIM_400000_NS6detail17trampoline_kernelINS0_14default_configENS1_25partition_config_selectorILNS1_17partition_subalgoE1ExNS0_10empty_typeEbEEZZNS1_14partition_implILS5_1ELb0ES3_jN6thrust23THRUST_200600_302600_NS6detail15normal_iteratorINSA_10device_ptrIxEEEEPS6_NSA_18transform_iteratorI7is_evenIxESF_NSA_11use_defaultESK_EENS0_5tupleIJNSA_16discard_iteratorISK_EESO_EEENSM_IJSG_SG_EEES6_PlJS6_EEE10hipError_tPvRmT3_T4_T5_T6_T7_T9_mT8_P12ihipStream_tbDpT10_ENKUlT_T0_E_clISt17integral_constantIbLb1EES1A_IbLb0EEEEDaS16_S17_EUlS16_E_NS1_11comp_targetILNS1_3genE9ELNS1_11target_archE1100ELNS1_3gpuE3ELNS1_3repE0EEENS1_30default_config_static_selectorELNS0_4arch9wavefront6targetE1EEEvT1_.kd
    .uniform_work_group_size: 1
    .uses_dynamic_stack: false
    .vgpr_count:     0
    .vgpr_spill_count: 0
    .wavefront_size: 64
  - .agpr_count:     0
    .args:
      - .offset:         0
        .size:           144
        .value_kind:     by_value
    .group_segment_fixed_size: 0
    .kernarg_segment_align: 8
    .kernarg_segment_size: 144
    .language:       OpenCL C
    .language_version:
      - 2
      - 0
    .max_flat_workgroup_size: 512
    .name:           _ZN7rocprim17ROCPRIM_400000_NS6detail17trampoline_kernelINS0_14default_configENS1_25partition_config_selectorILNS1_17partition_subalgoE1ExNS0_10empty_typeEbEEZZNS1_14partition_implILS5_1ELb0ES3_jN6thrust23THRUST_200600_302600_NS6detail15normal_iteratorINSA_10device_ptrIxEEEEPS6_NSA_18transform_iteratorI7is_evenIxESF_NSA_11use_defaultESK_EENS0_5tupleIJNSA_16discard_iteratorISK_EESO_EEENSM_IJSG_SG_EEES6_PlJS6_EEE10hipError_tPvRmT3_T4_T5_T6_T7_T9_mT8_P12ihipStream_tbDpT10_ENKUlT_T0_E_clISt17integral_constantIbLb1EES1A_IbLb0EEEEDaS16_S17_EUlS16_E_NS1_11comp_targetILNS1_3genE8ELNS1_11target_archE1030ELNS1_3gpuE2ELNS1_3repE0EEENS1_30default_config_static_selectorELNS0_4arch9wavefront6targetE1EEEvT1_
    .private_segment_fixed_size: 0
    .sgpr_count:     6
    .sgpr_spill_count: 0
    .symbol:         _ZN7rocprim17ROCPRIM_400000_NS6detail17trampoline_kernelINS0_14default_configENS1_25partition_config_selectorILNS1_17partition_subalgoE1ExNS0_10empty_typeEbEEZZNS1_14partition_implILS5_1ELb0ES3_jN6thrust23THRUST_200600_302600_NS6detail15normal_iteratorINSA_10device_ptrIxEEEEPS6_NSA_18transform_iteratorI7is_evenIxESF_NSA_11use_defaultESK_EENS0_5tupleIJNSA_16discard_iteratorISK_EESO_EEENSM_IJSG_SG_EEES6_PlJS6_EEE10hipError_tPvRmT3_T4_T5_T6_T7_T9_mT8_P12ihipStream_tbDpT10_ENKUlT_T0_E_clISt17integral_constantIbLb1EES1A_IbLb0EEEEDaS16_S17_EUlS16_E_NS1_11comp_targetILNS1_3genE8ELNS1_11target_archE1030ELNS1_3gpuE2ELNS1_3repE0EEENS1_30default_config_static_selectorELNS0_4arch9wavefront6targetE1EEEvT1_.kd
    .uniform_work_group_size: 1
    .uses_dynamic_stack: false
    .vgpr_count:     0
    .vgpr_spill_count: 0
    .wavefront_size: 64
  - .agpr_count:     0
    .args:
      - .offset:         0
        .size:           160
        .value_kind:     by_value
    .group_segment_fixed_size: 0
    .kernarg_segment_align: 8
    .kernarg_segment_size: 160
    .language:       OpenCL C
    .language_version:
      - 2
      - 0
    .max_flat_workgroup_size: 128
    .name:           _ZN7rocprim17ROCPRIM_400000_NS6detail17trampoline_kernelINS0_14default_configENS1_25partition_config_selectorILNS1_17partition_subalgoE1ExNS0_10empty_typeEbEEZZNS1_14partition_implILS5_1ELb0ES3_jN6thrust23THRUST_200600_302600_NS6detail15normal_iteratorINSA_10device_ptrIxEEEEPS6_NSA_18transform_iteratorI7is_evenIxESF_NSA_11use_defaultESK_EENS0_5tupleIJNSA_16discard_iteratorISK_EESO_EEENSM_IJSG_SG_EEES6_PlJS6_EEE10hipError_tPvRmT3_T4_T5_T6_T7_T9_mT8_P12ihipStream_tbDpT10_ENKUlT_T0_E_clISt17integral_constantIbLb0EES1A_IbLb1EEEEDaS16_S17_EUlS16_E_NS1_11comp_targetILNS1_3genE0ELNS1_11target_archE4294967295ELNS1_3gpuE0ELNS1_3repE0EEENS1_30default_config_static_selectorELNS0_4arch9wavefront6targetE1EEEvT1_
    .private_segment_fixed_size: 0
    .sgpr_count:     6
    .sgpr_spill_count: 0
    .symbol:         _ZN7rocprim17ROCPRIM_400000_NS6detail17trampoline_kernelINS0_14default_configENS1_25partition_config_selectorILNS1_17partition_subalgoE1ExNS0_10empty_typeEbEEZZNS1_14partition_implILS5_1ELb0ES3_jN6thrust23THRUST_200600_302600_NS6detail15normal_iteratorINSA_10device_ptrIxEEEEPS6_NSA_18transform_iteratorI7is_evenIxESF_NSA_11use_defaultESK_EENS0_5tupleIJNSA_16discard_iteratorISK_EESO_EEENSM_IJSG_SG_EEES6_PlJS6_EEE10hipError_tPvRmT3_T4_T5_T6_T7_T9_mT8_P12ihipStream_tbDpT10_ENKUlT_T0_E_clISt17integral_constantIbLb0EES1A_IbLb1EEEEDaS16_S17_EUlS16_E_NS1_11comp_targetILNS1_3genE0ELNS1_11target_archE4294967295ELNS1_3gpuE0ELNS1_3repE0EEENS1_30default_config_static_selectorELNS0_4arch9wavefront6targetE1EEEvT1_.kd
    .uniform_work_group_size: 1
    .uses_dynamic_stack: false
    .vgpr_count:     0
    .vgpr_spill_count: 0
    .wavefront_size: 64
  - .agpr_count:     0
    .args:
      - .offset:         0
        .size:           160
        .value_kind:     by_value
    .group_segment_fixed_size: 28680
    .kernarg_segment_align: 8
    .kernarg_segment_size: 160
    .language:       OpenCL C
    .language_version:
      - 2
      - 0
    .max_flat_workgroup_size: 512
    .name:           _ZN7rocprim17ROCPRIM_400000_NS6detail17trampoline_kernelINS0_14default_configENS1_25partition_config_selectorILNS1_17partition_subalgoE1ExNS0_10empty_typeEbEEZZNS1_14partition_implILS5_1ELb0ES3_jN6thrust23THRUST_200600_302600_NS6detail15normal_iteratorINSA_10device_ptrIxEEEEPS6_NSA_18transform_iteratorI7is_evenIxESF_NSA_11use_defaultESK_EENS0_5tupleIJNSA_16discard_iteratorISK_EESO_EEENSM_IJSG_SG_EEES6_PlJS6_EEE10hipError_tPvRmT3_T4_T5_T6_T7_T9_mT8_P12ihipStream_tbDpT10_ENKUlT_T0_E_clISt17integral_constantIbLb0EES1A_IbLb1EEEEDaS16_S17_EUlS16_E_NS1_11comp_targetILNS1_3genE5ELNS1_11target_archE942ELNS1_3gpuE9ELNS1_3repE0EEENS1_30default_config_static_selectorELNS0_4arch9wavefront6targetE1EEEvT1_
    .private_segment_fixed_size: 0
    .sgpr_count:     42
    .sgpr_spill_count: 0
    .symbol:         _ZN7rocprim17ROCPRIM_400000_NS6detail17trampoline_kernelINS0_14default_configENS1_25partition_config_selectorILNS1_17partition_subalgoE1ExNS0_10empty_typeEbEEZZNS1_14partition_implILS5_1ELb0ES3_jN6thrust23THRUST_200600_302600_NS6detail15normal_iteratorINSA_10device_ptrIxEEEEPS6_NSA_18transform_iteratorI7is_evenIxESF_NSA_11use_defaultESK_EENS0_5tupleIJNSA_16discard_iteratorISK_EESO_EEENSM_IJSG_SG_EEES6_PlJS6_EEE10hipError_tPvRmT3_T4_T5_T6_T7_T9_mT8_P12ihipStream_tbDpT10_ENKUlT_T0_E_clISt17integral_constantIbLb0EES1A_IbLb1EEEEDaS16_S17_EUlS16_E_NS1_11comp_targetILNS1_3genE5ELNS1_11target_archE942ELNS1_3gpuE9ELNS1_3repE0EEENS1_30default_config_static_selectorELNS0_4arch9wavefront6targetE1EEEvT1_.kd
    .uniform_work_group_size: 1
    .uses_dynamic_stack: false
    .vgpr_count:     55
    .vgpr_spill_count: 0
    .wavefront_size: 64
  - .agpr_count:     0
    .args:
      - .offset:         0
        .size:           160
        .value_kind:     by_value
    .group_segment_fixed_size: 0
    .kernarg_segment_align: 8
    .kernarg_segment_size: 160
    .language:       OpenCL C
    .language_version:
      - 2
      - 0
    .max_flat_workgroup_size: 192
    .name:           _ZN7rocprim17ROCPRIM_400000_NS6detail17trampoline_kernelINS0_14default_configENS1_25partition_config_selectorILNS1_17partition_subalgoE1ExNS0_10empty_typeEbEEZZNS1_14partition_implILS5_1ELb0ES3_jN6thrust23THRUST_200600_302600_NS6detail15normal_iteratorINSA_10device_ptrIxEEEEPS6_NSA_18transform_iteratorI7is_evenIxESF_NSA_11use_defaultESK_EENS0_5tupleIJNSA_16discard_iteratorISK_EESO_EEENSM_IJSG_SG_EEES6_PlJS6_EEE10hipError_tPvRmT3_T4_T5_T6_T7_T9_mT8_P12ihipStream_tbDpT10_ENKUlT_T0_E_clISt17integral_constantIbLb0EES1A_IbLb1EEEEDaS16_S17_EUlS16_E_NS1_11comp_targetILNS1_3genE4ELNS1_11target_archE910ELNS1_3gpuE8ELNS1_3repE0EEENS1_30default_config_static_selectorELNS0_4arch9wavefront6targetE1EEEvT1_
    .private_segment_fixed_size: 0
    .sgpr_count:     6
    .sgpr_spill_count: 0
    .symbol:         _ZN7rocprim17ROCPRIM_400000_NS6detail17trampoline_kernelINS0_14default_configENS1_25partition_config_selectorILNS1_17partition_subalgoE1ExNS0_10empty_typeEbEEZZNS1_14partition_implILS5_1ELb0ES3_jN6thrust23THRUST_200600_302600_NS6detail15normal_iteratorINSA_10device_ptrIxEEEEPS6_NSA_18transform_iteratorI7is_evenIxESF_NSA_11use_defaultESK_EENS0_5tupleIJNSA_16discard_iteratorISK_EESO_EEENSM_IJSG_SG_EEES6_PlJS6_EEE10hipError_tPvRmT3_T4_T5_T6_T7_T9_mT8_P12ihipStream_tbDpT10_ENKUlT_T0_E_clISt17integral_constantIbLb0EES1A_IbLb1EEEEDaS16_S17_EUlS16_E_NS1_11comp_targetILNS1_3genE4ELNS1_11target_archE910ELNS1_3gpuE8ELNS1_3repE0EEENS1_30default_config_static_selectorELNS0_4arch9wavefront6targetE1EEEvT1_.kd
    .uniform_work_group_size: 1
    .uses_dynamic_stack: false
    .vgpr_count:     0
    .vgpr_spill_count: 0
    .wavefront_size: 64
  - .agpr_count:     0
    .args:
      - .offset:         0
        .size:           160
        .value_kind:     by_value
    .group_segment_fixed_size: 0
    .kernarg_segment_align: 8
    .kernarg_segment_size: 160
    .language:       OpenCL C
    .language_version:
      - 2
      - 0
    .max_flat_workgroup_size: 128
    .name:           _ZN7rocprim17ROCPRIM_400000_NS6detail17trampoline_kernelINS0_14default_configENS1_25partition_config_selectorILNS1_17partition_subalgoE1ExNS0_10empty_typeEbEEZZNS1_14partition_implILS5_1ELb0ES3_jN6thrust23THRUST_200600_302600_NS6detail15normal_iteratorINSA_10device_ptrIxEEEEPS6_NSA_18transform_iteratorI7is_evenIxESF_NSA_11use_defaultESK_EENS0_5tupleIJNSA_16discard_iteratorISK_EESO_EEENSM_IJSG_SG_EEES6_PlJS6_EEE10hipError_tPvRmT3_T4_T5_T6_T7_T9_mT8_P12ihipStream_tbDpT10_ENKUlT_T0_E_clISt17integral_constantIbLb0EES1A_IbLb1EEEEDaS16_S17_EUlS16_E_NS1_11comp_targetILNS1_3genE3ELNS1_11target_archE908ELNS1_3gpuE7ELNS1_3repE0EEENS1_30default_config_static_selectorELNS0_4arch9wavefront6targetE1EEEvT1_
    .private_segment_fixed_size: 0
    .sgpr_count:     6
    .sgpr_spill_count: 0
    .symbol:         _ZN7rocprim17ROCPRIM_400000_NS6detail17trampoline_kernelINS0_14default_configENS1_25partition_config_selectorILNS1_17partition_subalgoE1ExNS0_10empty_typeEbEEZZNS1_14partition_implILS5_1ELb0ES3_jN6thrust23THRUST_200600_302600_NS6detail15normal_iteratorINSA_10device_ptrIxEEEEPS6_NSA_18transform_iteratorI7is_evenIxESF_NSA_11use_defaultESK_EENS0_5tupleIJNSA_16discard_iteratorISK_EESO_EEENSM_IJSG_SG_EEES6_PlJS6_EEE10hipError_tPvRmT3_T4_T5_T6_T7_T9_mT8_P12ihipStream_tbDpT10_ENKUlT_T0_E_clISt17integral_constantIbLb0EES1A_IbLb1EEEEDaS16_S17_EUlS16_E_NS1_11comp_targetILNS1_3genE3ELNS1_11target_archE908ELNS1_3gpuE7ELNS1_3repE0EEENS1_30default_config_static_selectorELNS0_4arch9wavefront6targetE1EEEvT1_.kd
    .uniform_work_group_size: 1
    .uses_dynamic_stack: false
    .vgpr_count:     0
    .vgpr_spill_count: 0
    .wavefront_size: 64
  - .agpr_count:     0
    .args:
      - .offset:         0
        .size:           160
        .value_kind:     by_value
    .group_segment_fixed_size: 0
    .kernarg_segment_align: 8
    .kernarg_segment_size: 160
    .language:       OpenCL C
    .language_version:
      - 2
      - 0
    .max_flat_workgroup_size: 256
    .name:           _ZN7rocprim17ROCPRIM_400000_NS6detail17trampoline_kernelINS0_14default_configENS1_25partition_config_selectorILNS1_17partition_subalgoE1ExNS0_10empty_typeEbEEZZNS1_14partition_implILS5_1ELb0ES3_jN6thrust23THRUST_200600_302600_NS6detail15normal_iteratorINSA_10device_ptrIxEEEEPS6_NSA_18transform_iteratorI7is_evenIxESF_NSA_11use_defaultESK_EENS0_5tupleIJNSA_16discard_iteratorISK_EESO_EEENSM_IJSG_SG_EEES6_PlJS6_EEE10hipError_tPvRmT3_T4_T5_T6_T7_T9_mT8_P12ihipStream_tbDpT10_ENKUlT_T0_E_clISt17integral_constantIbLb0EES1A_IbLb1EEEEDaS16_S17_EUlS16_E_NS1_11comp_targetILNS1_3genE2ELNS1_11target_archE906ELNS1_3gpuE6ELNS1_3repE0EEENS1_30default_config_static_selectorELNS0_4arch9wavefront6targetE1EEEvT1_
    .private_segment_fixed_size: 0
    .sgpr_count:     6
    .sgpr_spill_count: 0
    .symbol:         _ZN7rocprim17ROCPRIM_400000_NS6detail17trampoline_kernelINS0_14default_configENS1_25partition_config_selectorILNS1_17partition_subalgoE1ExNS0_10empty_typeEbEEZZNS1_14partition_implILS5_1ELb0ES3_jN6thrust23THRUST_200600_302600_NS6detail15normal_iteratorINSA_10device_ptrIxEEEEPS6_NSA_18transform_iteratorI7is_evenIxESF_NSA_11use_defaultESK_EENS0_5tupleIJNSA_16discard_iteratorISK_EESO_EEENSM_IJSG_SG_EEES6_PlJS6_EEE10hipError_tPvRmT3_T4_T5_T6_T7_T9_mT8_P12ihipStream_tbDpT10_ENKUlT_T0_E_clISt17integral_constantIbLb0EES1A_IbLb1EEEEDaS16_S17_EUlS16_E_NS1_11comp_targetILNS1_3genE2ELNS1_11target_archE906ELNS1_3gpuE6ELNS1_3repE0EEENS1_30default_config_static_selectorELNS0_4arch9wavefront6targetE1EEEvT1_.kd
    .uniform_work_group_size: 1
    .uses_dynamic_stack: false
    .vgpr_count:     0
    .vgpr_spill_count: 0
    .wavefront_size: 64
  - .agpr_count:     0
    .args:
      - .offset:         0
        .size:           160
        .value_kind:     by_value
    .group_segment_fixed_size: 0
    .kernarg_segment_align: 8
    .kernarg_segment_size: 160
    .language:       OpenCL C
    .language_version:
      - 2
      - 0
    .max_flat_workgroup_size: 256
    .name:           _ZN7rocprim17ROCPRIM_400000_NS6detail17trampoline_kernelINS0_14default_configENS1_25partition_config_selectorILNS1_17partition_subalgoE1ExNS0_10empty_typeEbEEZZNS1_14partition_implILS5_1ELb0ES3_jN6thrust23THRUST_200600_302600_NS6detail15normal_iteratorINSA_10device_ptrIxEEEEPS6_NSA_18transform_iteratorI7is_evenIxESF_NSA_11use_defaultESK_EENS0_5tupleIJNSA_16discard_iteratorISK_EESO_EEENSM_IJSG_SG_EEES6_PlJS6_EEE10hipError_tPvRmT3_T4_T5_T6_T7_T9_mT8_P12ihipStream_tbDpT10_ENKUlT_T0_E_clISt17integral_constantIbLb0EES1A_IbLb1EEEEDaS16_S17_EUlS16_E_NS1_11comp_targetILNS1_3genE10ELNS1_11target_archE1200ELNS1_3gpuE4ELNS1_3repE0EEENS1_30default_config_static_selectorELNS0_4arch9wavefront6targetE1EEEvT1_
    .private_segment_fixed_size: 0
    .sgpr_count:     6
    .sgpr_spill_count: 0
    .symbol:         _ZN7rocprim17ROCPRIM_400000_NS6detail17trampoline_kernelINS0_14default_configENS1_25partition_config_selectorILNS1_17partition_subalgoE1ExNS0_10empty_typeEbEEZZNS1_14partition_implILS5_1ELb0ES3_jN6thrust23THRUST_200600_302600_NS6detail15normal_iteratorINSA_10device_ptrIxEEEEPS6_NSA_18transform_iteratorI7is_evenIxESF_NSA_11use_defaultESK_EENS0_5tupleIJNSA_16discard_iteratorISK_EESO_EEENSM_IJSG_SG_EEES6_PlJS6_EEE10hipError_tPvRmT3_T4_T5_T6_T7_T9_mT8_P12ihipStream_tbDpT10_ENKUlT_T0_E_clISt17integral_constantIbLb0EES1A_IbLb1EEEEDaS16_S17_EUlS16_E_NS1_11comp_targetILNS1_3genE10ELNS1_11target_archE1200ELNS1_3gpuE4ELNS1_3repE0EEENS1_30default_config_static_selectorELNS0_4arch9wavefront6targetE1EEEvT1_.kd
    .uniform_work_group_size: 1
    .uses_dynamic_stack: false
    .vgpr_count:     0
    .vgpr_spill_count: 0
    .wavefront_size: 64
  - .agpr_count:     0
    .args:
      - .offset:         0
        .size:           160
        .value_kind:     by_value
    .group_segment_fixed_size: 0
    .kernarg_segment_align: 8
    .kernarg_segment_size: 160
    .language:       OpenCL C
    .language_version:
      - 2
      - 0
    .max_flat_workgroup_size: 128
    .name:           _ZN7rocprim17ROCPRIM_400000_NS6detail17trampoline_kernelINS0_14default_configENS1_25partition_config_selectorILNS1_17partition_subalgoE1ExNS0_10empty_typeEbEEZZNS1_14partition_implILS5_1ELb0ES3_jN6thrust23THRUST_200600_302600_NS6detail15normal_iteratorINSA_10device_ptrIxEEEEPS6_NSA_18transform_iteratorI7is_evenIxESF_NSA_11use_defaultESK_EENS0_5tupleIJNSA_16discard_iteratorISK_EESO_EEENSM_IJSG_SG_EEES6_PlJS6_EEE10hipError_tPvRmT3_T4_T5_T6_T7_T9_mT8_P12ihipStream_tbDpT10_ENKUlT_T0_E_clISt17integral_constantIbLb0EES1A_IbLb1EEEEDaS16_S17_EUlS16_E_NS1_11comp_targetILNS1_3genE9ELNS1_11target_archE1100ELNS1_3gpuE3ELNS1_3repE0EEENS1_30default_config_static_selectorELNS0_4arch9wavefront6targetE1EEEvT1_
    .private_segment_fixed_size: 0
    .sgpr_count:     6
    .sgpr_spill_count: 0
    .symbol:         _ZN7rocprim17ROCPRIM_400000_NS6detail17trampoline_kernelINS0_14default_configENS1_25partition_config_selectorILNS1_17partition_subalgoE1ExNS0_10empty_typeEbEEZZNS1_14partition_implILS5_1ELb0ES3_jN6thrust23THRUST_200600_302600_NS6detail15normal_iteratorINSA_10device_ptrIxEEEEPS6_NSA_18transform_iteratorI7is_evenIxESF_NSA_11use_defaultESK_EENS0_5tupleIJNSA_16discard_iteratorISK_EESO_EEENSM_IJSG_SG_EEES6_PlJS6_EEE10hipError_tPvRmT3_T4_T5_T6_T7_T9_mT8_P12ihipStream_tbDpT10_ENKUlT_T0_E_clISt17integral_constantIbLb0EES1A_IbLb1EEEEDaS16_S17_EUlS16_E_NS1_11comp_targetILNS1_3genE9ELNS1_11target_archE1100ELNS1_3gpuE3ELNS1_3repE0EEENS1_30default_config_static_selectorELNS0_4arch9wavefront6targetE1EEEvT1_.kd
    .uniform_work_group_size: 1
    .uses_dynamic_stack: false
    .vgpr_count:     0
    .vgpr_spill_count: 0
    .wavefront_size: 64
  - .agpr_count:     0
    .args:
      - .offset:         0
        .size:           160
        .value_kind:     by_value
    .group_segment_fixed_size: 0
    .kernarg_segment_align: 8
    .kernarg_segment_size: 160
    .language:       OpenCL C
    .language_version:
      - 2
      - 0
    .max_flat_workgroup_size: 512
    .name:           _ZN7rocprim17ROCPRIM_400000_NS6detail17trampoline_kernelINS0_14default_configENS1_25partition_config_selectorILNS1_17partition_subalgoE1ExNS0_10empty_typeEbEEZZNS1_14partition_implILS5_1ELb0ES3_jN6thrust23THRUST_200600_302600_NS6detail15normal_iteratorINSA_10device_ptrIxEEEEPS6_NSA_18transform_iteratorI7is_evenIxESF_NSA_11use_defaultESK_EENS0_5tupleIJNSA_16discard_iteratorISK_EESO_EEENSM_IJSG_SG_EEES6_PlJS6_EEE10hipError_tPvRmT3_T4_T5_T6_T7_T9_mT8_P12ihipStream_tbDpT10_ENKUlT_T0_E_clISt17integral_constantIbLb0EES1A_IbLb1EEEEDaS16_S17_EUlS16_E_NS1_11comp_targetILNS1_3genE8ELNS1_11target_archE1030ELNS1_3gpuE2ELNS1_3repE0EEENS1_30default_config_static_selectorELNS0_4arch9wavefront6targetE1EEEvT1_
    .private_segment_fixed_size: 0
    .sgpr_count:     6
    .sgpr_spill_count: 0
    .symbol:         _ZN7rocprim17ROCPRIM_400000_NS6detail17trampoline_kernelINS0_14default_configENS1_25partition_config_selectorILNS1_17partition_subalgoE1ExNS0_10empty_typeEbEEZZNS1_14partition_implILS5_1ELb0ES3_jN6thrust23THRUST_200600_302600_NS6detail15normal_iteratorINSA_10device_ptrIxEEEEPS6_NSA_18transform_iteratorI7is_evenIxESF_NSA_11use_defaultESK_EENS0_5tupleIJNSA_16discard_iteratorISK_EESO_EEENSM_IJSG_SG_EEES6_PlJS6_EEE10hipError_tPvRmT3_T4_T5_T6_T7_T9_mT8_P12ihipStream_tbDpT10_ENKUlT_T0_E_clISt17integral_constantIbLb0EES1A_IbLb1EEEEDaS16_S17_EUlS16_E_NS1_11comp_targetILNS1_3genE8ELNS1_11target_archE1030ELNS1_3gpuE2ELNS1_3repE0EEENS1_30default_config_static_selectorELNS0_4arch9wavefront6targetE1EEEvT1_.kd
    .uniform_work_group_size: 1
    .uses_dynamic_stack: false
    .vgpr_count:     0
    .vgpr_spill_count: 0
    .wavefront_size: 64
  - .agpr_count:     0
    .args:
      - .offset:         0
        .size:           136
        .value_kind:     by_value
    .group_segment_fixed_size: 0
    .kernarg_segment_align: 8
    .kernarg_segment_size: 136
    .language:       OpenCL C
    .language_version:
      - 2
      - 0
    .max_flat_workgroup_size: 128
    .name:           _ZN7rocprim17ROCPRIM_400000_NS6detail17trampoline_kernelINS0_14default_configENS1_25partition_config_selectorILNS1_17partition_subalgoE1ExNS0_10empty_typeEbEEZZNS1_14partition_implILS5_1ELb0ES3_jN6thrust23THRUST_200600_302600_NS6detail15normal_iteratorINSA_10device_ptrIxEEEEPS6_NSA_18transform_iteratorI7is_evenIxESF_NSA_11use_defaultESK_EENS0_5tupleIJSF_NSA_16discard_iteratorISK_EEEEENSM_IJSG_SG_EEES6_PlJS6_EEE10hipError_tPvRmT3_T4_T5_T6_T7_T9_mT8_P12ihipStream_tbDpT10_ENKUlT_T0_E_clISt17integral_constantIbLb0EES1B_EEDaS16_S17_EUlS16_E_NS1_11comp_targetILNS1_3genE0ELNS1_11target_archE4294967295ELNS1_3gpuE0ELNS1_3repE0EEENS1_30default_config_static_selectorELNS0_4arch9wavefront6targetE1EEEvT1_
    .private_segment_fixed_size: 0
    .sgpr_count:     6
    .sgpr_spill_count: 0
    .symbol:         _ZN7rocprim17ROCPRIM_400000_NS6detail17trampoline_kernelINS0_14default_configENS1_25partition_config_selectorILNS1_17partition_subalgoE1ExNS0_10empty_typeEbEEZZNS1_14partition_implILS5_1ELb0ES3_jN6thrust23THRUST_200600_302600_NS6detail15normal_iteratorINSA_10device_ptrIxEEEEPS6_NSA_18transform_iteratorI7is_evenIxESF_NSA_11use_defaultESK_EENS0_5tupleIJSF_NSA_16discard_iteratorISK_EEEEENSM_IJSG_SG_EEES6_PlJS6_EEE10hipError_tPvRmT3_T4_T5_T6_T7_T9_mT8_P12ihipStream_tbDpT10_ENKUlT_T0_E_clISt17integral_constantIbLb0EES1B_EEDaS16_S17_EUlS16_E_NS1_11comp_targetILNS1_3genE0ELNS1_11target_archE4294967295ELNS1_3gpuE0ELNS1_3repE0EEENS1_30default_config_static_selectorELNS0_4arch9wavefront6targetE1EEEvT1_.kd
    .uniform_work_group_size: 1
    .uses_dynamic_stack: false
    .vgpr_count:     0
    .vgpr_spill_count: 0
    .wavefront_size: 64
  - .agpr_count:     0
    .args:
      - .offset:         0
        .size:           136
        .value_kind:     by_value
    .group_segment_fixed_size: 28680
    .kernarg_segment_align: 8
    .kernarg_segment_size: 136
    .language:       OpenCL C
    .language_version:
      - 2
      - 0
    .max_flat_workgroup_size: 512
    .name:           _ZN7rocprim17ROCPRIM_400000_NS6detail17trampoline_kernelINS0_14default_configENS1_25partition_config_selectorILNS1_17partition_subalgoE1ExNS0_10empty_typeEbEEZZNS1_14partition_implILS5_1ELb0ES3_jN6thrust23THRUST_200600_302600_NS6detail15normal_iteratorINSA_10device_ptrIxEEEEPS6_NSA_18transform_iteratorI7is_evenIxESF_NSA_11use_defaultESK_EENS0_5tupleIJSF_NSA_16discard_iteratorISK_EEEEENSM_IJSG_SG_EEES6_PlJS6_EEE10hipError_tPvRmT3_T4_T5_T6_T7_T9_mT8_P12ihipStream_tbDpT10_ENKUlT_T0_E_clISt17integral_constantIbLb0EES1B_EEDaS16_S17_EUlS16_E_NS1_11comp_targetILNS1_3genE5ELNS1_11target_archE942ELNS1_3gpuE9ELNS1_3repE0EEENS1_30default_config_static_selectorELNS0_4arch9wavefront6targetE1EEEvT1_
    .private_segment_fixed_size: 0
    .sgpr_count:     46
    .sgpr_spill_count: 0
    .symbol:         _ZN7rocprim17ROCPRIM_400000_NS6detail17trampoline_kernelINS0_14default_configENS1_25partition_config_selectorILNS1_17partition_subalgoE1ExNS0_10empty_typeEbEEZZNS1_14partition_implILS5_1ELb0ES3_jN6thrust23THRUST_200600_302600_NS6detail15normal_iteratorINSA_10device_ptrIxEEEEPS6_NSA_18transform_iteratorI7is_evenIxESF_NSA_11use_defaultESK_EENS0_5tupleIJSF_NSA_16discard_iteratorISK_EEEEENSM_IJSG_SG_EEES6_PlJS6_EEE10hipError_tPvRmT3_T4_T5_T6_T7_T9_mT8_P12ihipStream_tbDpT10_ENKUlT_T0_E_clISt17integral_constantIbLb0EES1B_EEDaS16_S17_EUlS16_E_NS1_11comp_targetILNS1_3genE5ELNS1_11target_archE942ELNS1_3gpuE9ELNS1_3repE0EEENS1_30default_config_static_selectorELNS0_4arch9wavefront6targetE1EEEvT1_.kd
    .uniform_work_group_size: 1
    .uses_dynamic_stack: false
    .vgpr_count:     54
    .vgpr_spill_count: 0
    .wavefront_size: 64
  - .agpr_count:     0
    .args:
      - .offset:         0
        .size:           136
        .value_kind:     by_value
    .group_segment_fixed_size: 0
    .kernarg_segment_align: 8
    .kernarg_segment_size: 136
    .language:       OpenCL C
    .language_version:
      - 2
      - 0
    .max_flat_workgroup_size: 192
    .name:           _ZN7rocprim17ROCPRIM_400000_NS6detail17trampoline_kernelINS0_14default_configENS1_25partition_config_selectorILNS1_17partition_subalgoE1ExNS0_10empty_typeEbEEZZNS1_14partition_implILS5_1ELb0ES3_jN6thrust23THRUST_200600_302600_NS6detail15normal_iteratorINSA_10device_ptrIxEEEEPS6_NSA_18transform_iteratorI7is_evenIxESF_NSA_11use_defaultESK_EENS0_5tupleIJSF_NSA_16discard_iteratorISK_EEEEENSM_IJSG_SG_EEES6_PlJS6_EEE10hipError_tPvRmT3_T4_T5_T6_T7_T9_mT8_P12ihipStream_tbDpT10_ENKUlT_T0_E_clISt17integral_constantIbLb0EES1B_EEDaS16_S17_EUlS16_E_NS1_11comp_targetILNS1_3genE4ELNS1_11target_archE910ELNS1_3gpuE8ELNS1_3repE0EEENS1_30default_config_static_selectorELNS0_4arch9wavefront6targetE1EEEvT1_
    .private_segment_fixed_size: 0
    .sgpr_count:     6
    .sgpr_spill_count: 0
    .symbol:         _ZN7rocprim17ROCPRIM_400000_NS6detail17trampoline_kernelINS0_14default_configENS1_25partition_config_selectorILNS1_17partition_subalgoE1ExNS0_10empty_typeEbEEZZNS1_14partition_implILS5_1ELb0ES3_jN6thrust23THRUST_200600_302600_NS6detail15normal_iteratorINSA_10device_ptrIxEEEEPS6_NSA_18transform_iteratorI7is_evenIxESF_NSA_11use_defaultESK_EENS0_5tupleIJSF_NSA_16discard_iteratorISK_EEEEENSM_IJSG_SG_EEES6_PlJS6_EEE10hipError_tPvRmT3_T4_T5_T6_T7_T9_mT8_P12ihipStream_tbDpT10_ENKUlT_T0_E_clISt17integral_constantIbLb0EES1B_EEDaS16_S17_EUlS16_E_NS1_11comp_targetILNS1_3genE4ELNS1_11target_archE910ELNS1_3gpuE8ELNS1_3repE0EEENS1_30default_config_static_selectorELNS0_4arch9wavefront6targetE1EEEvT1_.kd
    .uniform_work_group_size: 1
    .uses_dynamic_stack: false
    .vgpr_count:     0
    .vgpr_spill_count: 0
    .wavefront_size: 64
  - .agpr_count:     0
    .args:
      - .offset:         0
        .size:           136
        .value_kind:     by_value
    .group_segment_fixed_size: 0
    .kernarg_segment_align: 8
    .kernarg_segment_size: 136
    .language:       OpenCL C
    .language_version:
      - 2
      - 0
    .max_flat_workgroup_size: 128
    .name:           _ZN7rocprim17ROCPRIM_400000_NS6detail17trampoline_kernelINS0_14default_configENS1_25partition_config_selectorILNS1_17partition_subalgoE1ExNS0_10empty_typeEbEEZZNS1_14partition_implILS5_1ELb0ES3_jN6thrust23THRUST_200600_302600_NS6detail15normal_iteratorINSA_10device_ptrIxEEEEPS6_NSA_18transform_iteratorI7is_evenIxESF_NSA_11use_defaultESK_EENS0_5tupleIJSF_NSA_16discard_iteratorISK_EEEEENSM_IJSG_SG_EEES6_PlJS6_EEE10hipError_tPvRmT3_T4_T5_T6_T7_T9_mT8_P12ihipStream_tbDpT10_ENKUlT_T0_E_clISt17integral_constantIbLb0EES1B_EEDaS16_S17_EUlS16_E_NS1_11comp_targetILNS1_3genE3ELNS1_11target_archE908ELNS1_3gpuE7ELNS1_3repE0EEENS1_30default_config_static_selectorELNS0_4arch9wavefront6targetE1EEEvT1_
    .private_segment_fixed_size: 0
    .sgpr_count:     6
    .sgpr_spill_count: 0
    .symbol:         _ZN7rocprim17ROCPRIM_400000_NS6detail17trampoline_kernelINS0_14default_configENS1_25partition_config_selectorILNS1_17partition_subalgoE1ExNS0_10empty_typeEbEEZZNS1_14partition_implILS5_1ELb0ES3_jN6thrust23THRUST_200600_302600_NS6detail15normal_iteratorINSA_10device_ptrIxEEEEPS6_NSA_18transform_iteratorI7is_evenIxESF_NSA_11use_defaultESK_EENS0_5tupleIJSF_NSA_16discard_iteratorISK_EEEEENSM_IJSG_SG_EEES6_PlJS6_EEE10hipError_tPvRmT3_T4_T5_T6_T7_T9_mT8_P12ihipStream_tbDpT10_ENKUlT_T0_E_clISt17integral_constantIbLb0EES1B_EEDaS16_S17_EUlS16_E_NS1_11comp_targetILNS1_3genE3ELNS1_11target_archE908ELNS1_3gpuE7ELNS1_3repE0EEENS1_30default_config_static_selectorELNS0_4arch9wavefront6targetE1EEEvT1_.kd
    .uniform_work_group_size: 1
    .uses_dynamic_stack: false
    .vgpr_count:     0
    .vgpr_spill_count: 0
    .wavefront_size: 64
  - .agpr_count:     0
    .args:
      - .offset:         0
        .size:           136
        .value_kind:     by_value
    .group_segment_fixed_size: 0
    .kernarg_segment_align: 8
    .kernarg_segment_size: 136
    .language:       OpenCL C
    .language_version:
      - 2
      - 0
    .max_flat_workgroup_size: 256
    .name:           _ZN7rocprim17ROCPRIM_400000_NS6detail17trampoline_kernelINS0_14default_configENS1_25partition_config_selectorILNS1_17partition_subalgoE1ExNS0_10empty_typeEbEEZZNS1_14partition_implILS5_1ELb0ES3_jN6thrust23THRUST_200600_302600_NS6detail15normal_iteratorINSA_10device_ptrIxEEEEPS6_NSA_18transform_iteratorI7is_evenIxESF_NSA_11use_defaultESK_EENS0_5tupleIJSF_NSA_16discard_iteratorISK_EEEEENSM_IJSG_SG_EEES6_PlJS6_EEE10hipError_tPvRmT3_T4_T5_T6_T7_T9_mT8_P12ihipStream_tbDpT10_ENKUlT_T0_E_clISt17integral_constantIbLb0EES1B_EEDaS16_S17_EUlS16_E_NS1_11comp_targetILNS1_3genE2ELNS1_11target_archE906ELNS1_3gpuE6ELNS1_3repE0EEENS1_30default_config_static_selectorELNS0_4arch9wavefront6targetE1EEEvT1_
    .private_segment_fixed_size: 0
    .sgpr_count:     6
    .sgpr_spill_count: 0
    .symbol:         _ZN7rocprim17ROCPRIM_400000_NS6detail17trampoline_kernelINS0_14default_configENS1_25partition_config_selectorILNS1_17partition_subalgoE1ExNS0_10empty_typeEbEEZZNS1_14partition_implILS5_1ELb0ES3_jN6thrust23THRUST_200600_302600_NS6detail15normal_iteratorINSA_10device_ptrIxEEEEPS6_NSA_18transform_iteratorI7is_evenIxESF_NSA_11use_defaultESK_EENS0_5tupleIJSF_NSA_16discard_iteratorISK_EEEEENSM_IJSG_SG_EEES6_PlJS6_EEE10hipError_tPvRmT3_T4_T5_T6_T7_T9_mT8_P12ihipStream_tbDpT10_ENKUlT_T0_E_clISt17integral_constantIbLb0EES1B_EEDaS16_S17_EUlS16_E_NS1_11comp_targetILNS1_3genE2ELNS1_11target_archE906ELNS1_3gpuE6ELNS1_3repE0EEENS1_30default_config_static_selectorELNS0_4arch9wavefront6targetE1EEEvT1_.kd
    .uniform_work_group_size: 1
    .uses_dynamic_stack: false
    .vgpr_count:     0
    .vgpr_spill_count: 0
    .wavefront_size: 64
  - .agpr_count:     0
    .args:
      - .offset:         0
        .size:           136
        .value_kind:     by_value
    .group_segment_fixed_size: 0
    .kernarg_segment_align: 8
    .kernarg_segment_size: 136
    .language:       OpenCL C
    .language_version:
      - 2
      - 0
    .max_flat_workgroup_size: 256
    .name:           _ZN7rocprim17ROCPRIM_400000_NS6detail17trampoline_kernelINS0_14default_configENS1_25partition_config_selectorILNS1_17partition_subalgoE1ExNS0_10empty_typeEbEEZZNS1_14partition_implILS5_1ELb0ES3_jN6thrust23THRUST_200600_302600_NS6detail15normal_iteratorINSA_10device_ptrIxEEEEPS6_NSA_18transform_iteratorI7is_evenIxESF_NSA_11use_defaultESK_EENS0_5tupleIJSF_NSA_16discard_iteratorISK_EEEEENSM_IJSG_SG_EEES6_PlJS6_EEE10hipError_tPvRmT3_T4_T5_T6_T7_T9_mT8_P12ihipStream_tbDpT10_ENKUlT_T0_E_clISt17integral_constantIbLb0EES1B_EEDaS16_S17_EUlS16_E_NS1_11comp_targetILNS1_3genE10ELNS1_11target_archE1200ELNS1_3gpuE4ELNS1_3repE0EEENS1_30default_config_static_selectorELNS0_4arch9wavefront6targetE1EEEvT1_
    .private_segment_fixed_size: 0
    .sgpr_count:     6
    .sgpr_spill_count: 0
    .symbol:         _ZN7rocprim17ROCPRIM_400000_NS6detail17trampoline_kernelINS0_14default_configENS1_25partition_config_selectorILNS1_17partition_subalgoE1ExNS0_10empty_typeEbEEZZNS1_14partition_implILS5_1ELb0ES3_jN6thrust23THRUST_200600_302600_NS6detail15normal_iteratorINSA_10device_ptrIxEEEEPS6_NSA_18transform_iteratorI7is_evenIxESF_NSA_11use_defaultESK_EENS0_5tupleIJSF_NSA_16discard_iteratorISK_EEEEENSM_IJSG_SG_EEES6_PlJS6_EEE10hipError_tPvRmT3_T4_T5_T6_T7_T9_mT8_P12ihipStream_tbDpT10_ENKUlT_T0_E_clISt17integral_constantIbLb0EES1B_EEDaS16_S17_EUlS16_E_NS1_11comp_targetILNS1_3genE10ELNS1_11target_archE1200ELNS1_3gpuE4ELNS1_3repE0EEENS1_30default_config_static_selectorELNS0_4arch9wavefront6targetE1EEEvT1_.kd
    .uniform_work_group_size: 1
    .uses_dynamic_stack: false
    .vgpr_count:     0
    .vgpr_spill_count: 0
    .wavefront_size: 64
  - .agpr_count:     0
    .args:
      - .offset:         0
        .size:           136
        .value_kind:     by_value
    .group_segment_fixed_size: 0
    .kernarg_segment_align: 8
    .kernarg_segment_size: 136
    .language:       OpenCL C
    .language_version:
      - 2
      - 0
    .max_flat_workgroup_size: 128
    .name:           _ZN7rocprim17ROCPRIM_400000_NS6detail17trampoline_kernelINS0_14default_configENS1_25partition_config_selectorILNS1_17partition_subalgoE1ExNS0_10empty_typeEbEEZZNS1_14partition_implILS5_1ELb0ES3_jN6thrust23THRUST_200600_302600_NS6detail15normal_iteratorINSA_10device_ptrIxEEEEPS6_NSA_18transform_iteratorI7is_evenIxESF_NSA_11use_defaultESK_EENS0_5tupleIJSF_NSA_16discard_iteratorISK_EEEEENSM_IJSG_SG_EEES6_PlJS6_EEE10hipError_tPvRmT3_T4_T5_T6_T7_T9_mT8_P12ihipStream_tbDpT10_ENKUlT_T0_E_clISt17integral_constantIbLb0EES1B_EEDaS16_S17_EUlS16_E_NS1_11comp_targetILNS1_3genE9ELNS1_11target_archE1100ELNS1_3gpuE3ELNS1_3repE0EEENS1_30default_config_static_selectorELNS0_4arch9wavefront6targetE1EEEvT1_
    .private_segment_fixed_size: 0
    .sgpr_count:     6
    .sgpr_spill_count: 0
    .symbol:         _ZN7rocprim17ROCPRIM_400000_NS6detail17trampoline_kernelINS0_14default_configENS1_25partition_config_selectorILNS1_17partition_subalgoE1ExNS0_10empty_typeEbEEZZNS1_14partition_implILS5_1ELb0ES3_jN6thrust23THRUST_200600_302600_NS6detail15normal_iteratorINSA_10device_ptrIxEEEEPS6_NSA_18transform_iteratorI7is_evenIxESF_NSA_11use_defaultESK_EENS0_5tupleIJSF_NSA_16discard_iteratorISK_EEEEENSM_IJSG_SG_EEES6_PlJS6_EEE10hipError_tPvRmT3_T4_T5_T6_T7_T9_mT8_P12ihipStream_tbDpT10_ENKUlT_T0_E_clISt17integral_constantIbLb0EES1B_EEDaS16_S17_EUlS16_E_NS1_11comp_targetILNS1_3genE9ELNS1_11target_archE1100ELNS1_3gpuE3ELNS1_3repE0EEENS1_30default_config_static_selectorELNS0_4arch9wavefront6targetE1EEEvT1_.kd
    .uniform_work_group_size: 1
    .uses_dynamic_stack: false
    .vgpr_count:     0
    .vgpr_spill_count: 0
    .wavefront_size: 64
  - .agpr_count:     0
    .args:
      - .offset:         0
        .size:           136
        .value_kind:     by_value
    .group_segment_fixed_size: 0
    .kernarg_segment_align: 8
    .kernarg_segment_size: 136
    .language:       OpenCL C
    .language_version:
      - 2
      - 0
    .max_flat_workgroup_size: 512
    .name:           _ZN7rocprim17ROCPRIM_400000_NS6detail17trampoline_kernelINS0_14default_configENS1_25partition_config_selectorILNS1_17partition_subalgoE1ExNS0_10empty_typeEbEEZZNS1_14partition_implILS5_1ELb0ES3_jN6thrust23THRUST_200600_302600_NS6detail15normal_iteratorINSA_10device_ptrIxEEEEPS6_NSA_18transform_iteratorI7is_evenIxESF_NSA_11use_defaultESK_EENS0_5tupleIJSF_NSA_16discard_iteratorISK_EEEEENSM_IJSG_SG_EEES6_PlJS6_EEE10hipError_tPvRmT3_T4_T5_T6_T7_T9_mT8_P12ihipStream_tbDpT10_ENKUlT_T0_E_clISt17integral_constantIbLb0EES1B_EEDaS16_S17_EUlS16_E_NS1_11comp_targetILNS1_3genE8ELNS1_11target_archE1030ELNS1_3gpuE2ELNS1_3repE0EEENS1_30default_config_static_selectorELNS0_4arch9wavefront6targetE1EEEvT1_
    .private_segment_fixed_size: 0
    .sgpr_count:     6
    .sgpr_spill_count: 0
    .symbol:         _ZN7rocprim17ROCPRIM_400000_NS6detail17trampoline_kernelINS0_14default_configENS1_25partition_config_selectorILNS1_17partition_subalgoE1ExNS0_10empty_typeEbEEZZNS1_14partition_implILS5_1ELb0ES3_jN6thrust23THRUST_200600_302600_NS6detail15normal_iteratorINSA_10device_ptrIxEEEEPS6_NSA_18transform_iteratorI7is_evenIxESF_NSA_11use_defaultESK_EENS0_5tupleIJSF_NSA_16discard_iteratorISK_EEEEENSM_IJSG_SG_EEES6_PlJS6_EEE10hipError_tPvRmT3_T4_T5_T6_T7_T9_mT8_P12ihipStream_tbDpT10_ENKUlT_T0_E_clISt17integral_constantIbLb0EES1B_EEDaS16_S17_EUlS16_E_NS1_11comp_targetILNS1_3genE8ELNS1_11target_archE1030ELNS1_3gpuE2ELNS1_3repE0EEENS1_30default_config_static_selectorELNS0_4arch9wavefront6targetE1EEEvT1_.kd
    .uniform_work_group_size: 1
    .uses_dynamic_stack: false
    .vgpr_count:     0
    .vgpr_spill_count: 0
    .wavefront_size: 64
  - .agpr_count:     0
    .args:
      - .offset:         0
        .size:           152
        .value_kind:     by_value
    .group_segment_fixed_size: 0
    .kernarg_segment_align: 8
    .kernarg_segment_size: 152
    .language:       OpenCL C
    .language_version:
      - 2
      - 0
    .max_flat_workgroup_size: 128
    .name:           _ZN7rocprim17ROCPRIM_400000_NS6detail17trampoline_kernelINS0_14default_configENS1_25partition_config_selectorILNS1_17partition_subalgoE1ExNS0_10empty_typeEbEEZZNS1_14partition_implILS5_1ELb0ES3_jN6thrust23THRUST_200600_302600_NS6detail15normal_iteratorINSA_10device_ptrIxEEEEPS6_NSA_18transform_iteratorI7is_evenIxESF_NSA_11use_defaultESK_EENS0_5tupleIJSF_NSA_16discard_iteratorISK_EEEEENSM_IJSG_SG_EEES6_PlJS6_EEE10hipError_tPvRmT3_T4_T5_T6_T7_T9_mT8_P12ihipStream_tbDpT10_ENKUlT_T0_E_clISt17integral_constantIbLb1EES1B_EEDaS16_S17_EUlS16_E_NS1_11comp_targetILNS1_3genE0ELNS1_11target_archE4294967295ELNS1_3gpuE0ELNS1_3repE0EEENS1_30default_config_static_selectorELNS0_4arch9wavefront6targetE1EEEvT1_
    .private_segment_fixed_size: 0
    .sgpr_count:     6
    .sgpr_spill_count: 0
    .symbol:         _ZN7rocprim17ROCPRIM_400000_NS6detail17trampoline_kernelINS0_14default_configENS1_25partition_config_selectorILNS1_17partition_subalgoE1ExNS0_10empty_typeEbEEZZNS1_14partition_implILS5_1ELb0ES3_jN6thrust23THRUST_200600_302600_NS6detail15normal_iteratorINSA_10device_ptrIxEEEEPS6_NSA_18transform_iteratorI7is_evenIxESF_NSA_11use_defaultESK_EENS0_5tupleIJSF_NSA_16discard_iteratorISK_EEEEENSM_IJSG_SG_EEES6_PlJS6_EEE10hipError_tPvRmT3_T4_T5_T6_T7_T9_mT8_P12ihipStream_tbDpT10_ENKUlT_T0_E_clISt17integral_constantIbLb1EES1B_EEDaS16_S17_EUlS16_E_NS1_11comp_targetILNS1_3genE0ELNS1_11target_archE4294967295ELNS1_3gpuE0ELNS1_3repE0EEENS1_30default_config_static_selectorELNS0_4arch9wavefront6targetE1EEEvT1_.kd
    .uniform_work_group_size: 1
    .uses_dynamic_stack: false
    .vgpr_count:     0
    .vgpr_spill_count: 0
    .wavefront_size: 64
  - .agpr_count:     0
    .args:
      - .offset:         0
        .size:           152
        .value_kind:     by_value
    .group_segment_fixed_size: 28680
    .kernarg_segment_align: 8
    .kernarg_segment_size: 152
    .language:       OpenCL C
    .language_version:
      - 2
      - 0
    .max_flat_workgroup_size: 512
    .name:           _ZN7rocprim17ROCPRIM_400000_NS6detail17trampoline_kernelINS0_14default_configENS1_25partition_config_selectorILNS1_17partition_subalgoE1ExNS0_10empty_typeEbEEZZNS1_14partition_implILS5_1ELb0ES3_jN6thrust23THRUST_200600_302600_NS6detail15normal_iteratorINSA_10device_ptrIxEEEEPS6_NSA_18transform_iteratorI7is_evenIxESF_NSA_11use_defaultESK_EENS0_5tupleIJSF_NSA_16discard_iteratorISK_EEEEENSM_IJSG_SG_EEES6_PlJS6_EEE10hipError_tPvRmT3_T4_T5_T6_T7_T9_mT8_P12ihipStream_tbDpT10_ENKUlT_T0_E_clISt17integral_constantIbLb1EES1B_EEDaS16_S17_EUlS16_E_NS1_11comp_targetILNS1_3genE5ELNS1_11target_archE942ELNS1_3gpuE9ELNS1_3repE0EEENS1_30default_config_static_selectorELNS0_4arch9wavefront6targetE1EEEvT1_
    .private_segment_fixed_size: 0
    .sgpr_count:     46
    .sgpr_spill_count: 0
    .symbol:         _ZN7rocprim17ROCPRIM_400000_NS6detail17trampoline_kernelINS0_14default_configENS1_25partition_config_selectorILNS1_17partition_subalgoE1ExNS0_10empty_typeEbEEZZNS1_14partition_implILS5_1ELb0ES3_jN6thrust23THRUST_200600_302600_NS6detail15normal_iteratorINSA_10device_ptrIxEEEEPS6_NSA_18transform_iteratorI7is_evenIxESF_NSA_11use_defaultESK_EENS0_5tupleIJSF_NSA_16discard_iteratorISK_EEEEENSM_IJSG_SG_EEES6_PlJS6_EEE10hipError_tPvRmT3_T4_T5_T6_T7_T9_mT8_P12ihipStream_tbDpT10_ENKUlT_T0_E_clISt17integral_constantIbLb1EES1B_EEDaS16_S17_EUlS16_E_NS1_11comp_targetILNS1_3genE5ELNS1_11target_archE942ELNS1_3gpuE9ELNS1_3repE0EEENS1_30default_config_static_selectorELNS0_4arch9wavefront6targetE1EEEvT1_.kd
    .uniform_work_group_size: 1
    .uses_dynamic_stack: false
    .vgpr_count:     56
    .vgpr_spill_count: 0
    .wavefront_size: 64
  - .agpr_count:     0
    .args:
      - .offset:         0
        .size:           152
        .value_kind:     by_value
    .group_segment_fixed_size: 0
    .kernarg_segment_align: 8
    .kernarg_segment_size: 152
    .language:       OpenCL C
    .language_version:
      - 2
      - 0
    .max_flat_workgroup_size: 192
    .name:           _ZN7rocprim17ROCPRIM_400000_NS6detail17trampoline_kernelINS0_14default_configENS1_25partition_config_selectorILNS1_17partition_subalgoE1ExNS0_10empty_typeEbEEZZNS1_14partition_implILS5_1ELb0ES3_jN6thrust23THRUST_200600_302600_NS6detail15normal_iteratorINSA_10device_ptrIxEEEEPS6_NSA_18transform_iteratorI7is_evenIxESF_NSA_11use_defaultESK_EENS0_5tupleIJSF_NSA_16discard_iteratorISK_EEEEENSM_IJSG_SG_EEES6_PlJS6_EEE10hipError_tPvRmT3_T4_T5_T6_T7_T9_mT8_P12ihipStream_tbDpT10_ENKUlT_T0_E_clISt17integral_constantIbLb1EES1B_EEDaS16_S17_EUlS16_E_NS1_11comp_targetILNS1_3genE4ELNS1_11target_archE910ELNS1_3gpuE8ELNS1_3repE0EEENS1_30default_config_static_selectorELNS0_4arch9wavefront6targetE1EEEvT1_
    .private_segment_fixed_size: 0
    .sgpr_count:     6
    .sgpr_spill_count: 0
    .symbol:         _ZN7rocprim17ROCPRIM_400000_NS6detail17trampoline_kernelINS0_14default_configENS1_25partition_config_selectorILNS1_17partition_subalgoE1ExNS0_10empty_typeEbEEZZNS1_14partition_implILS5_1ELb0ES3_jN6thrust23THRUST_200600_302600_NS6detail15normal_iteratorINSA_10device_ptrIxEEEEPS6_NSA_18transform_iteratorI7is_evenIxESF_NSA_11use_defaultESK_EENS0_5tupleIJSF_NSA_16discard_iteratorISK_EEEEENSM_IJSG_SG_EEES6_PlJS6_EEE10hipError_tPvRmT3_T4_T5_T6_T7_T9_mT8_P12ihipStream_tbDpT10_ENKUlT_T0_E_clISt17integral_constantIbLb1EES1B_EEDaS16_S17_EUlS16_E_NS1_11comp_targetILNS1_3genE4ELNS1_11target_archE910ELNS1_3gpuE8ELNS1_3repE0EEENS1_30default_config_static_selectorELNS0_4arch9wavefront6targetE1EEEvT1_.kd
    .uniform_work_group_size: 1
    .uses_dynamic_stack: false
    .vgpr_count:     0
    .vgpr_spill_count: 0
    .wavefront_size: 64
  - .agpr_count:     0
    .args:
      - .offset:         0
        .size:           152
        .value_kind:     by_value
    .group_segment_fixed_size: 0
    .kernarg_segment_align: 8
    .kernarg_segment_size: 152
    .language:       OpenCL C
    .language_version:
      - 2
      - 0
    .max_flat_workgroup_size: 128
    .name:           _ZN7rocprim17ROCPRIM_400000_NS6detail17trampoline_kernelINS0_14default_configENS1_25partition_config_selectorILNS1_17partition_subalgoE1ExNS0_10empty_typeEbEEZZNS1_14partition_implILS5_1ELb0ES3_jN6thrust23THRUST_200600_302600_NS6detail15normal_iteratorINSA_10device_ptrIxEEEEPS6_NSA_18transform_iteratorI7is_evenIxESF_NSA_11use_defaultESK_EENS0_5tupleIJSF_NSA_16discard_iteratorISK_EEEEENSM_IJSG_SG_EEES6_PlJS6_EEE10hipError_tPvRmT3_T4_T5_T6_T7_T9_mT8_P12ihipStream_tbDpT10_ENKUlT_T0_E_clISt17integral_constantIbLb1EES1B_EEDaS16_S17_EUlS16_E_NS1_11comp_targetILNS1_3genE3ELNS1_11target_archE908ELNS1_3gpuE7ELNS1_3repE0EEENS1_30default_config_static_selectorELNS0_4arch9wavefront6targetE1EEEvT1_
    .private_segment_fixed_size: 0
    .sgpr_count:     6
    .sgpr_spill_count: 0
    .symbol:         _ZN7rocprim17ROCPRIM_400000_NS6detail17trampoline_kernelINS0_14default_configENS1_25partition_config_selectorILNS1_17partition_subalgoE1ExNS0_10empty_typeEbEEZZNS1_14partition_implILS5_1ELb0ES3_jN6thrust23THRUST_200600_302600_NS6detail15normal_iteratorINSA_10device_ptrIxEEEEPS6_NSA_18transform_iteratorI7is_evenIxESF_NSA_11use_defaultESK_EENS0_5tupleIJSF_NSA_16discard_iteratorISK_EEEEENSM_IJSG_SG_EEES6_PlJS6_EEE10hipError_tPvRmT3_T4_T5_T6_T7_T9_mT8_P12ihipStream_tbDpT10_ENKUlT_T0_E_clISt17integral_constantIbLb1EES1B_EEDaS16_S17_EUlS16_E_NS1_11comp_targetILNS1_3genE3ELNS1_11target_archE908ELNS1_3gpuE7ELNS1_3repE0EEENS1_30default_config_static_selectorELNS0_4arch9wavefront6targetE1EEEvT1_.kd
    .uniform_work_group_size: 1
    .uses_dynamic_stack: false
    .vgpr_count:     0
    .vgpr_spill_count: 0
    .wavefront_size: 64
  - .agpr_count:     0
    .args:
      - .offset:         0
        .size:           152
        .value_kind:     by_value
    .group_segment_fixed_size: 0
    .kernarg_segment_align: 8
    .kernarg_segment_size: 152
    .language:       OpenCL C
    .language_version:
      - 2
      - 0
    .max_flat_workgroup_size: 256
    .name:           _ZN7rocprim17ROCPRIM_400000_NS6detail17trampoline_kernelINS0_14default_configENS1_25partition_config_selectorILNS1_17partition_subalgoE1ExNS0_10empty_typeEbEEZZNS1_14partition_implILS5_1ELb0ES3_jN6thrust23THRUST_200600_302600_NS6detail15normal_iteratorINSA_10device_ptrIxEEEEPS6_NSA_18transform_iteratorI7is_evenIxESF_NSA_11use_defaultESK_EENS0_5tupleIJSF_NSA_16discard_iteratorISK_EEEEENSM_IJSG_SG_EEES6_PlJS6_EEE10hipError_tPvRmT3_T4_T5_T6_T7_T9_mT8_P12ihipStream_tbDpT10_ENKUlT_T0_E_clISt17integral_constantIbLb1EES1B_EEDaS16_S17_EUlS16_E_NS1_11comp_targetILNS1_3genE2ELNS1_11target_archE906ELNS1_3gpuE6ELNS1_3repE0EEENS1_30default_config_static_selectorELNS0_4arch9wavefront6targetE1EEEvT1_
    .private_segment_fixed_size: 0
    .sgpr_count:     6
    .sgpr_spill_count: 0
    .symbol:         _ZN7rocprim17ROCPRIM_400000_NS6detail17trampoline_kernelINS0_14default_configENS1_25partition_config_selectorILNS1_17partition_subalgoE1ExNS0_10empty_typeEbEEZZNS1_14partition_implILS5_1ELb0ES3_jN6thrust23THRUST_200600_302600_NS6detail15normal_iteratorINSA_10device_ptrIxEEEEPS6_NSA_18transform_iteratorI7is_evenIxESF_NSA_11use_defaultESK_EENS0_5tupleIJSF_NSA_16discard_iteratorISK_EEEEENSM_IJSG_SG_EEES6_PlJS6_EEE10hipError_tPvRmT3_T4_T5_T6_T7_T9_mT8_P12ihipStream_tbDpT10_ENKUlT_T0_E_clISt17integral_constantIbLb1EES1B_EEDaS16_S17_EUlS16_E_NS1_11comp_targetILNS1_3genE2ELNS1_11target_archE906ELNS1_3gpuE6ELNS1_3repE0EEENS1_30default_config_static_selectorELNS0_4arch9wavefront6targetE1EEEvT1_.kd
    .uniform_work_group_size: 1
    .uses_dynamic_stack: false
    .vgpr_count:     0
    .vgpr_spill_count: 0
    .wavefront_size: 64
  - .agpr_count:     0
    .args:
      - .offset:         0
        .size:           152
        .value_kind:     by_value
    .group_segment_fixed_size: 0
    .kernarg_segment_align: 8
    .kernarg_segment_size: 152
    .language:       OpenCL C
    .language_version:
      - 2
      - 0
    .max_flat_workgroup_size: 256
    .name:           _ZN7rocprim17ROCPRIM_400000_NS6detail17trampoline_kernelINS0_14default_configENS1_25partition_config_selectorILNS1_17partition_subalgoE1ExNS0_10empty_typeEbEEZZNS1_14partition_implILS5_1ELb0ES3_jN6thrust23THRUST_200600_302600_NS6detail15normal_iteratorINSA_10device_ptrIxEEEEPS6_NSA_18transform_iteratorI7is_evenIxESF_NSA_11use_defaultESK_EENS0_5tupleIJSF_NSA_16discard_iteratorISK_EEEEENSM_IJSG_SG_EEES6_PlJS6_EEE10hipError_tPvRmT3_T4_T5_T6_T7_T9_mT8_P12ihipStream_tbDpT10_ENKUlT_T0_E_clISt17integral_constantIbLb1EES1B_EEDaS16_S17_EUlS16_E_NS1_11comp_targetILNS1_3genE10ELNS1_11target_archE1200ELNS1_3gpuE4ELNS1_3repE0EEENS1_30default_config_static_selectorELNS0_4arch9wavefront6targetE1EEEvT1_
    .private_segment_fixed_size: 0
    .sgpr_count:     6
    .sgpr_spill_count: 0
    .symbol:         _ZN7rocprim17ROCPRIM_400000_NS6detail17trampoline_kernelINS0_14default_configENS1_25partition_config_selectorILNS1_17partition_subalgoE1ExNS0_10empty_typeEbEEZZNS1_14partition_implILS5_1ELb0ES3_jN6thrust23THRUST_200600_302600_NS6detail15normal_iteratorINSA_10device_ptrIxEEEEPS6_NSA_18transform_iteratorI7is_evenIxESF_NSA_11use_defaultESK_EENS0_5tupleIJSF_NSA_16discard_iteratorISK_EEEEENSM_IJSG_SG_EEES6_PlJS6_EEE10hipError_tPvRmT3_T4_T5_T6_T7_T9_mT8_P12ihipStream_tbDpT10_ENKUlT_T0_E_clISt17integral_constantIbLb1EES1B_EEDaS16_S17_EUlS16_E_NS1_11comp_targetILNS1_3genE10ELNS1_11target_archE1200ELNS1_3gpuE4ELNS1_3repE0EEENS1_30default_config_static_selectorELNS0_4arch9wavefront6targetE1EEEvT1_.kd
    .uniform_work_group_size: 1
    .uses_dynamic_stack: false
    .vgpr_count:     0
    .vgpr_spill_count: 0
    .wavefront_size: 64
  - .agpr_count:     0
    .args:
      - .offset:         0
        .size:           152
        .value_kind:     by_value
    .group_segment_fixed_size: 0
    .kernarg_segment_align: 8
    .kernarg_segment_size: 152
    .language:       OpenCL C
    .language_version:
      - 2
      - 0
    .max_flat_workgroup_size: 128
    .name:           _ZN7rocprim17ROCPRIM_400000_NS6detail17trampoline_kernelINS0_14default_configENS1_25partition_config_selectorILNS1_17partition_subalgoE1ExNS0_10empty_typeEbEEZZNS1_14partition_implILS5_1ELb0ES3_jN6thrust23THRUST_200600_302600_NS6detail15normal_iteratorINSA_10device_ptrIxEEEEPS6_NSA_18transform_iteratorI7is_evenIxESF_NSA_11use_defaultESK_EENS0_5tupleIJSF_NSA_16discard_iteratorISK_EEEEENSM_IJSG_SG_EEES6_PlJS6_EEE10hipError_tPvRmT3_T4_T5_T6_T7_T9_mT8_P12ihipStream_tbDpT10_ENKUlT_T0_E_clISt17integral_constantIbLb1EES1B_EEDaS16_S17_EUlS16_E_NS1_11comp_targetILNS1_3genE9ELNS1_11target_archE1100ELNS1_3gpuE3ELNS1_3repE0EEENS1_30default_config_static_selectorELNS0_4arch9wavefront6targetE1EEEvT1_
    .private_segment_fixed_size: 0
    .sgpr_count:     6
    .sgpr_spill_count: 0
    .symbol:         _ZN7rocprim17ROCPRIM_400000_NS6detail17trampoline_kernelINS0_14default_configENS1_25partition_config_selectorILNS1_17partition_subalgoE1ExNS0_10empty_typeEbEEZZNS1_14partition_implILS5_1ELb0ES3_jN6thrust23THRUST_200600_302600_NS6detail15normal_iteratorINSA_10device_ptrIxEEEEPS6_NSA_18transform_iteratorI7is_evenIxESF_NSA_11use_defaultESK_EENS0_5tupleIJSF_NSA_16discard_iteratorISK_EEEEENSM_IJSG_SG_EEES6_PlJS6_EEE10hipError_tPvRmT3_T4_T5_T6_T7_T9_mT8_P12ihipStream_tbDpT10_ENKUlT_T0_E_clISt17integral_constantIbLb1EES1B_EEDaS16_S17_EUlS16_E_NS1_11comp_targetILNS1_3genE9ELNS1_11target_archE1100ELNS1_3gpuE3ELNS1_3repE0EEENS1_30default_config_static_selectorELNS0_4arch9wavefront6targetE1EEEvT1_.kd
    .uniform_work_group_size: 1
    .uses_dynamic_stack: false
    .vgpr_count:     0
    .vgpr_spill_count: 0
    .wavefront_size: 64
  - .agpr_count:     0
    .args:
      - .offset:         0
        .size:           152
        .value_kind:     by_value
    .group_segment_fixed_size: 0
    .kernarg_segment_align: 8
    .kernarg_segment_size: 152
    .language:       OpenCL C
    .language_version:
      - 2
      - 0
    .max_flat_workgroup_size: 512
    .name:           _ZN7rocprim17ROCPRIM_400000_NS6detail17trampoline_kernelINS0_14default_configENS1_25partition_config_selectorILNS1_17partition_subalgoE1ExNS0_10empty_typeEbEEZZNS1_14partition_implILS5_1ELb0ES3_jN6thrust23THRUST_200600_302600_NS6detail15normal_iteratorINSA_10device_ptrIxEEEEPS6_NSA_18transform_iteratorI7is_evenIxESF_NSA_11use_defaultESK_EENS0_5tupleIJSF_NSA_16discard_iteratorISK_EEEEENSM_IJSG_SG_EEES6_PlJS6_EEE10hipError_tPvRmT3_T4_T5_T6_T7_T9_mT8_P12ihipStream_tbDpT10_ENKUlT_T0_E_clISt17integral_constantIbLb1EES1B_EEDaS16_S17_EUlS16_E_NS1_11comp_targetILNS1_3genE8ELNS1_11target_archE1030ELNS1_3gpuE2ELNS1_3repE0EEENS1_30default_config_static_selectorELNS0_4arch9wavefront6targetE1EEEvT1_
    .private_segment_fixed_size: 0
    .sgpr_count:     6
    .sgpr_spill_count: 0
    .symbol:         _ZN7rocprim17ROCPRIM_400000_NS6detail17trampoline_kernelINS0_14default_configENS1_25partition_config_selectorILNS1_17partition_subalgoE1ExNS0_10empty_typeEbEEZZNS1_14partition_implILS5_1ELb0ES3_jN6thrust23THRUST_200600_302600_NS6detail15normal_iteratorINSA_10device_ptrIxEEEEPS6_NSA_18transform_iteratorI7is_evenIxESF_NSA_11use_defaultESK_EENS0_5tupleIJSF_NSA_16discard_iteratorISK_EEEEENSM_IJSG_SG_EEES6_PlJS6_EEE10hipError_tPvRmT3_T4_T5_T6_T7_T9_mT8_P12ihipStream_tbDpT10_ENKUlT_T0_E_clISt17integral_constantIbLb1EES1B_EEDaS16_S17_EUlS16_E_NS1_11comp_targetILNS1_3genE8ELNS1_11target_archE1030ELNS1_3gpuE2ELNS1_3repE0EEENS1_30default_config_static_selectorELNS0_4arch9wavefront6targetE1EEEvT1_.kd
    .uniform_work_group_size: 1
    .uses_dynamic_stack: false
    .vgpr_count:     0
    .vgpr_spill_count: 0
    .wavefront_size: 64
  - .agpr_count:     0
    .args:
      - .offset:         0
        .size:           136
        .value_kind:     by_value
    .group_segment_fixed_size: 0
    .kernarg_segment_align: 8
    .kernarg_segment_size: 136
    .language:       OpenCL C
    .language_version:
      - 2
      - 0
    .max_flat_workgroup_size: 128
    .name:           _ZN7rocprim17ROCPRIM_400000_NS6detail17trampoline_kernelINS0_14default_configENS1_25partition_config_selectorILNS1_17partition_subalgoE1ExNS0_10empty_typeEbEEZZNS1_14partition_implILS5_1ELb0ES3_jN6thrust23THRUST_200600_302600_NS6detail15normal_iteratorINSA_10device_ptrIxEEEEPS6_NSA_18transform_iteratorI7is_evenIxESF_NSA_11use_defaultESK_EENS0_5tupleIJSF_NSA_16discard_iteratorISK_EEEEENSM_IJSG_SG_EEES6_PlJS6_EEE10hipError_tPvRmT3_T4_T5_T6_T7_T9_mT8_P12ihipStream_tbDpT10_ENKUlT_T0_E_clISt17integral_constantIbLb1EES1A_IbLb0EEEEDaS16_S17_EUlS16_E_NS1_11comp_targetILNS1_3genE0ELNS1_11target_archE4294967295ELNS1_3gpuE0ELNS1_3repE0EEENS1_30default_config_static_selectorELNS0_4arch9wavefront6targetE1EEEvT1_
    .private_segment_fixed_size: 0
    .sgpr_count:     6
    .sgpr_spill_count: 0
    .symbol:         _ZN7rocprim17ROCPRIM_400000_NS6detail17trampoline_kernelINS0_14default_configENS1_25partition_config_selectorILNS1_17partition_subalgoE1ExNS0_10empty_typeEbEEZZNS1_14partition_implILS5_1ELb0ES3_jN6thrust23THRUST_200600_302600_NS6detail15normal_iteratorINSA_10device_ptrIxEEEEPS6_NSA_18transform_iteratorI7is_evenIxESF_NSA_11use_defaultESK_EENS0_5tupleIJSF_NSA_16discard_iteratorISK_EEEEENSM_IJSG_SG_EEES6_PlJS6_EEE10hipError_tPvRmT3_T4_T5_T6_T7_T9_mT8_P12ihipStream_tbDpT10_ENKUlT_T0_E_clISt17integral_constantIbLb1EES1A_IbLb0EEEEDaS16_S17_EUlS16_E_NS1_11comp_targetILNS1_3genE0ELNS1_11target_archE4294967295ELNS1_3gpuE0ELNS1_3repE0EEENS1_30default_config_static_selectorELNS0_4arch9wavefront6targetE1EEEvT1_.kd
    .uniform_work_group_size: 1
    .uses_dynamic_stack: false
    .vgpr_count:     0
    .vgpr_spill_count: 0
    .wavefront_size: 64
  - .agpr_count:     0
    .args:
      - .offset:         0
        .size:           136
        .value_kind:     by_value
    .group_segment_fixed_size: 28680
    .kernarg_segment_align: 8
    .kernarg_segment_size: 136
    .language:       OpenCL C
    .language_version:
      - 2
      - 0
    .max_flat_workgroup_size: 512
    .name:           _ZN7rocprim17ROCPRIM_400000_NS6detail17trampoline_kernelINS0_14default_configENS1_25partition_config_selectorILNS1_17partition_subalgoE1ExNS0_10empty_typeEbEEZZNS1_14partition_implILS5_1ELb0ES3_jN6thrust23THRUST_200600_302600_NS6detail15normal_iteratorINSA_10device_ptrIxEEEEPS6_NSA_18transform_iteratorI7is_evenIxESF_NSA_11use_defaultESK_EENS0_5tupleIJSF_NSA_16discard_iteratorISK_EEEEENSM_IJSG_SG_EEES6_PlJS6_EEE10hipError_tPvRmT3_T4_T5_T6_T7_T9_mT8_P12ihipStream_tbDpT10_ENKUlT_T0_E_clISt17integral_constantIbLb1EES1A_IbLb0EEEEDaS16_S17_EUlS16_E_NS1_11comp_targetILNS1_3genE5ELNS1_11target_archE942ELNS1_3gpuE9ELNS1_3repE0EEENS1_30default_config_static_selectorELNS0_4arch9wavefront6targetE1EEEvT1_
    .private_segment_fixed_size: 0
    .sgpr_count:     46
    .sgpr_spill_count: 0
    .symbol:         _ZN7rocprim17ROCPRIM_400000_NS6detail17trampoline_kernelINS0_14default_configENS1_25partition_config_selectorILNS1_17partition_subalgoE1ExNS0_10empty_typeEbEEZZNS1_14partition_implILS5_1ELb0ES3_jN6thrust23THRUST_200600_302600_NS6detail15normal_iteratorINSA_10device_ptrIxEEEEPS6_NSA_18transform_iteratorI7is_evenIxESF_NSA_11use_defaultESK_EENS0_5tupleIJSF_NSA_16discard_iteratorISK_EEEEENSM_IJSG_SG_EEES6_PlJS6_EEE10hipError_tPvRmT3_T4_T5_T6_T7_T9_mT8_P12ihipStream_tbDpT10_ENKUlT_T0_E_clISt17integral_constantIbLb1EES1A_IbLb0EEEEDaS16_S17_EUlS16_E_NS1_11comp_targetILNS1_3genE5ELNS1_11target_archE942ELNS1_3gpuE9ELNS1_3repE0EEENS1_30default_config_static_selectorELNS0_4arch9wavefront6targetE1EEEvT1_.kd
    .uniform_work_group_size: 1
    .uses_dynamic_stack: false
    .vgpr_count:     54
    .vgpr_spill_count: 0
    .wavefront_size: 64
  - .agpr_count:     0
    .args:
      - .offset:         0
        .size:           136
        .value_kind:     by_value
    .group_segment_fixed_size: 0
    .kernarg_segment_align: 8
    .kernarg_segment_size: 136
    .language:       OpenCL C
    .language_version:
      - 2
      - 0
    .max_flat_workgroup_size: 192
    .name:           _ZN7rocprim17ROCPRIM_400000_NS6detail17trampoline_kernelINS0_14default_configENS1_25partition_config_selectorILNS1_17partition_subalgoE1ExNS0_10empty_typeEbEEZZNS1_14partition_implILS5_1ELb0ES3_jN6thrust23THRUST_200600_302600_NS6detail15normal_iteratorINSA_10device_ptrIxEEEEPS6_NSA_18transform_iteratorI7is_evenIxESF_NSA_11use_defaultESK_EENS0_5tupleIJSF_NSA_16discard_iteratorISK_EEEEENSM_IJSG_SG_EEES6_PlJS6_EEE10hipError_tPvRmT3_T4_T5_T6_T7_T9_mT8_P12ihipStream_tbDpT10_ENKUlT_T0_E_clISt17integral_constantIbLb1EES1A_IbLb0EEEEDaS16_S17_EUlS16_E_NS1_11comp_targetILNS1_3genE4ELNS1_11target_archE910ELNS1_3gpuE8ELNS1_3repE0EEENS1_30default_config_static_selectorELNS0_4arch9wavefront6targetE1EEEvT1_
    .private_segment_fixed_size: 0
    .sgpr_count:     6
    .sgpr_spill_count: 0
    .symbol:         _ZN7rocprim17ROCPRIM_400000_NS6detail17trampoline_kernelINS0_14default_configENS1_25partition_config_selectorILNS1_17partition_subalgoE1ExNS0_10empty_typeEbEEZZNS1_14partition_implILS5_1ELb0ES3_jN6thrust23THRUST_200600_302600_NS6detail15normal_iteratorINSA_10device_ptrIxEEEEPS6_NSA_18transform_iteratorI7is_evenIxESF_NSA_11use_defaultESK_EENS0_5tupleIJSF_NSA_16discard_iteratorISK_EEEEENSM_IJSG_SG_EEES6_PlJS6_EEE10hipError_tPvRmT3_T4_T5_T6_T7_T9_mT8_P12ihipStream_tbDpT10_ENKUlT_T0_E_clISt17integral_constantIbLb1EES1A_IbLb0EEEEDaS16_S17_EUlS16_E_NS1_11comp_targetILNS1_3genE4ELNS1_11target_archE910ELNS1_3gpuE8ELNS1_3repE0EEENS1_30default_config_static_selectorELNS0_4arch9wavefront6targetE1EEEvT1_.kd
    .uniform_work_group_size: 1
    .uses_dynamic_stack: false
    .vgpr_count:     0
    .vgpr_spill_count: 0
    .wavefront_size: 64
  - .agpr_count:     0
    .args:
      - .offset:         0
        .size:           136
        .value_kind:     by_value
    .group_segment_fixed_size: 0
    .kernarg_segment_align: 8
    .kernarg_segment_size: 136
    .language:       OpenCL C
    .language_version:
      - 2
      - 0
    .max_flat_workgroup_size: 128
    .name:           _ZN7rocprim17ROCPRIM_400000_NS6detail17trampoline_kernelINS0_14default_configENS1_25partition_config_selectorILNS1_17partition_subalgoE1ExNS0_10empty_typeEbEEZZNS1_14partition_implILS5_1ELb0ES3_jN6thrust23THRUST_200600_302600_NS6detail15normal_iteratorINSA_10device_ptrIxEEEEPS6_NSA_18transform_iteratorI7is_evenIxESF_NSA_11use_defaultESK_EENS0_5tupleIJSF_NSA_16discard_iteratorISK_EEEEENSM_IJSG_SG_EEES6_PlJS6_EEE10hipError_tPvRmT3_T4_T5_T6_T7_T9_mT8_P12ihipStream_tbDpT10_ENKUlT_T0_E_clISt17integral_constantIbLb1EES1A_IbLb0EEEEDaS16_S17_EUlS16_E_NS1_11comp_targetILNS1_3genE3ELNS1_11target_archE908ELNS1_3gpuE7ELNS1_3repE0EEENS1_30default_config_static_selectorELNS0_4arch9wavefront6targetE1EEEvT1_
    .private_segment_fixed_size: 0
    .sgpr_count:     6
    .sgpr_spill_count: 0
    .symbol:         _ZN7rocprim17ROCPRIM_400000_NS6detail17trampoline_kernelINS0_14default_configENS1_25partition_config_selectorILNS1_17partition_subalgoE1ExNS0_10empty_typeEbEEZZNS1_14partition_implILS5_1ELb0ES3_jN6thrust23THRUST_200600_302600_NS6detail15normal_iteratorINSA_10device_ptrIxEEEEPS6_NSA_18transform_iteratorI7is_evenIxESF_NSA_11use_defaultESK_EENS0_5tupleIJSF_NSA_16discard_iteratorISK_EEEEENSM_IJSG_SG_EEES6_PlJS6_EEE10hipError_tPvRmT3_T4_T5_T6_T7_T9_mT8_P12ihipStream_tbDpT10_ENKUlT_T0_E_clISt17integral_constantIbLb1EES1A_IbLb0EEEEDaS16_S17_EUlS16_E_NS1_11comp_targetILNS1_3genE3ELNS1_11target_archE908ELNS1_3gpuE7ELNS1_3repE0EEENS1_30default_config_static_selectorELNS0_4arch9wavefront6targetE1EEEvT1_.kd
    .uniform_work_group_size: 1
    .uses_dynamic_stack: false
    .vgpr_count:     0
    .vgpr_spill_count: 0
    .wavefront_size: 64
  - .agpr_count:     0
    .args:
      - .offset:         0
        .size:           136
        .value_kind:     by_value
    .group_segment_fixed_size: 0
    .kernarg_segment_align: 8
    .kernarg_segment_size: 136
    .language:       OpenCL C
    .language_version:
      - 2
      - 0
    .max_flat_workgroup_size: 256
    .name:           _ZN7rocprim17ROCPRIM_400000_NS6detail17trampoline_kernelINS0_14default_configENS1_25partition_config_selectorILNS1_17partition_subalgoE1ExNS0_10empty_typeEbEEZZNS1_14partition_implILS5_1ELb0ES3_jN6thrust23THRUST_200600_302600_NS6detail15normal_iteratorINSA_10device_ptrIxEEEEPS6_NSA_18transform_iteratorI7is_evenIxESF_NSA_11use_defaultESK_EENS0_5tupleIJSF_NSA_16discard_iteratorISK_EEEEENSM_IJSG_SG_EEES6_PlJS6_EEE10hipError_tPvRmT3_T4_T5_T6_T7_T9_mT8_P12ihipStream_tbDpT10_ENKUlT_T0_E_clISt17integral_constantIbLb1EES1A_IbLb0EEEEDaS16_S17_EUlS16_E_NS1_11comp_targetILNS1_3genE2ELNS1_11target_archE906ELNS1_3gpuE6ELNS1_3repE0EEENS1_30default_config_static_selectorELNS0_4arch9wavefront6targetE1EEEvT1_
    .private_segment_fixed_size: 0
    .sgpr_count:     6
    .sgpr_spill_count: 0
    .symbol:         _ZN7rocprim17ROCPRIM_400000_NS6detail17trampoline_kernelINS0_14default_configENS1_25partition_config_selectorILNS1_17partition_subalgoE1ExNS0_10empty_typeEbEEZZNS1_14partition_implILS5_1ELb0ES3_jN6thrust23THRUST_200600_302600_NS6detail15normal_iteratorINSA_10device_ptrIxEEEEPS6_NSA_18transform_iteratorI7is_evenIxESF_NSA_11use_defaultESK_EENS0_5tupleIJSF_NSA_16discard_iteratorISK_EEEEENSM_IJSG_SG_EEES6_PlJS6_EEE10hipError_tPvRmT3_T4_T5_T6_T7_T9_mT8_P12ihipStream_tbDpT10_ENKUlT_T0_E_clISt17integral_constantIbLb1EES1A_IbLb0EEEEDaS16_S17_EUlS16_E_NS1_11comp_targetILNS1_3genE2ELNS1_11target_archE906ELNS1_3gpuE6ELNS1_3repE0EEENS1_30default_config_static_selectorELNS0_4arch9wavefront6targetE1EEEvT1_.kd
    .uniform_work_group_size: 1
    .uses_dynamic_stack: false
    .vgpr_count:     0
    .vgpr_spill_count: 0
    .wavefront_size: 64
  - .agpr_count:     0
    .args:
      - .offset:         0
        .size:           136
        .value_kind:     by_value
    .group_segment_fixed_size: 0
    .kernarg_segment_align: 8
    .kernarg_segment_size: 136
    .language:       OpenCL C
    .language_version:
      - 2
      - 0
    .max_flat_workgroup_size: 256
    .name:           _ZN7rocprim17ROCPRIM_400000_NS6detail17trampoline_kernelINS0_14default_configENS1_25partition_config_selectorILNS1_17partition_subalgoE1ExNS0_10empty_typeEbEEZZNS1_14partition_implILS5_1ELb0ES3_jN6thrust23THRUST_200600_302600_NS6detail15normal_iteratorINSA_10device_ptrIxEEEEPS6_NSA_18transform_iteratorI7is_evenIxESF_NSA_11use_defaultESK_EENS0_5tupleIJSF_NSA_16discard_iteratorISK_EEEEENSM_IJSG_SG_EEES6_PlJS6_EEE10hipError_tPvRmT3_T4_T5_T6_T7_T9_mT8_P12ihipStream_tbDpT10_ENKUlT_T0_E_clISt17integral_constantIbLb1EES1A_IbLb0EEEEDaS16_S17_EUlS16_E_NS1_11comp_targetILNS1_3genE10ELNS1_11target_archE1200ELNS1_3gpuE4ELNS1_3repE0EEENS1_30default_config_static_selectorELNS0_4arch9wavefront6targetE1EEEvT1_
    .private_segment_fixed_size: 0
    .sgpr_count:     6
    .sgpr_spill_count: 0
    .symbol:         _ZN7rocprim17ROCPRIM_400000_NS6detail17trampoline_kernelINS0_14default_configENS1_25partition_config_selectorILNS1_17partition_subalgoE1ExNS0_10empty_typeEbEEZZNS1_14partition_implILS5_1ELb0ES3_jN6thrust23THRUST_200600_302600_NS6detail15normal_iteratorINSA_10device_ptrIxEEEEPS6_NSA_18transform_iteratorI7is_evenIxESF_NSA_11use_defaultESK_EENS0_5tupleIJSF_NSA_16discard_iteratorISK_EEEEENSM_IJSG_SG_EEES6_PlJS6_EEE10hipError_tPvRmT3_T4_T5_T6_T7_T9_mT8_P12ihipStream_tbDpT10_ENKUlT_T0_E_clISt17integral_constantIbLb1EES1A_IbLb0EEEEDaS16_S17_EUlS16_E_NS1_11comp_targetILNS1_3genE10ELNS1_11target_archE1200ELNS1_3gpuE4ELNS1_3repE0EEENS1_30default_config_static_selectorELNS0_4arch9wavefront6targetE1EEEvT1_.kd
    .uniform_work_group_size: 1
    .uses_dynamic_stack: false
    .vgpr_count:     0
    .vgpr_spill_count: 0
    .wavefront_size: 64
  - .agpr_count:     0
    .args:
      - .offset:         0
        .size:           136
        .value_kind:     by_value
    .group_segment_fixed_size: 0
    .kernarg_segment_align: 8
    .kernarg_segment_size: 136
    .language:       OpenCL C
    .language_version:
      - 2
      - 0
    .max_flat_workgroup_size: 128
    .name:           _ZN7rocprim17ROCPRIM_400000_NS6detail17trampoline_kernelINS0_14default_configENS1_25partition_config_selectorILNS1_17partition_subalgoE1ExNS0_10empty_typeEbEEZZNS1_14partition_implILS5_1ELb0ES3_jN6thrust23THRUST_200600_302600_NS6detail15normal_iteratorINSA_10device_ptrIxEEEEPS6_NSA_18transform_iteratorI7is_evenIxESF_NSA_11use_defaultESK_EENS0_5tupleIJSF_NSA_16discard_iteratorISK_EEEEENSM_IJSG_SG_EEES6_PlJS6_EEE10hipError_tPvRmT3_T4_T5_T6_T7_T9_mT8_P12ihipStream_tbDpT10_ENKUlT_T0_E_clISt17integral_constantIbLb1EES1A_IbLb0EEEEDaS16_S17_EUlS16_E_NS1_11comp_targetILNS1_3genE9ELNS1_11target_archE1100ELNS1_3gpuE3ELNS1_3repE0EEENS1_30default_config_static_selectorELNS0_4arch9wavefront6targetE1EEEvT1_
    .private_segment_fixed_size: 0
    .sgpr_count:     6
    .sgpr_spill_count: 0
    .symbol:         _ZN7rocprim17ROCPRIM_400000_NS6detail17trampoline_kernelINS0_14default_configENS1_25partition_config_selectorILNS1_17partition_subalgoE1ExNS0_10empty_typeEbEEZZNS1_14partition_implILS5_1ELb0ES3_jN6thrust23THRUST_200600_302600_NS6detail15normal_iteratorINSA_10device_ptrIxEEEEPS6_NSA_18transform_iteratorI7is_evenIxESF_NSA_11use_defaultESK_EENS0_5tupleIJSF_NSA_16discard_iteratorISK_EEEEENSM_IJSG_SG_EEES6_PlJS6_EEE10hipError_tPvRmT3_T4_T5_T6_T7_T9_mT8_P12ihipStream_tbDpT10_ENKUlT_T0_E_clISt17integral_constantIbLb1EES1A_IbLb0EEEEDaS16_S17_EUlS16_E_NS1_11comp_targetILNS1_3genE9ELNS1_11target_archE1100ELNS1_3gpuE3ELNS1_3repE0EEENS1_30default_config_static_selectorELNS0_4arch9wavefront6targetE1EEEvT1_.kd
    .uniform_work_group_size: 1
    .uses_dynamic_stack: false
    .vgpr_count:     0
    .vgpr_spill_count: 0
    .wavefront_size: 64
  - .agpr_count:     0
    .args:
      - .offset:         0
        .size:           136
        .value_kind:     by_value
    .group_segment_fixed_size: 0
    .kernarg_segment_align: 8
    .kernarg_segment_size: 136
    .language:       OpenCL C
    .language_version:
      - 2
      - 0
    .max_flat_workgroup_size: 512
    .name:           _ZN7rocprim17ROCPRIM_400000_NS6detail17trampoline_kernelINS0_14default_configENS1_25partition_config_selectorILNS1_17partition_subalgoE1ExNS0_10empty_typeEbEEZZNS1_14partition_implILS5_1ELb0ES3_jN6thrust23THRUST_200600_302600_NS6detail15normal_iteratorINSA_10device_ptrIxEEEEPS6_NSA_18transform_iteratorI7is_evenIxESF_NSA_11use_defaultESK_EENS0_5tupleIJSF_NSA_16discard_iteratorISK_EEEEENSM_IJSG_SG_EEES6_PlJS6_EEE10hipError_tPvRmT3_T4_T5_T6_T7_T9_mT8_P12ihipStream_tbDpT10_ENKUlT_T0_E_clISt17integral_constantIbLb1EES1A_IbLb0EEEEDaS16_S17_EUlS16_E_NS1_11comp_targetILNS1_3genE8ELNS1_11target_archE1030ELNS1_3gpuE2ELNS1_3repE0EEENS1_30default_config_static_selectorELNS0_4arch9wavefront6targetE1EEEvT1_
    .private_segment_fixed_size: 0
    .sgpr_count:     6
    .sgpr_spill_count: 0
    .symbol:         _ZN7rocprim17ROCPRIM_400000_NS6detail17trampoline_kernelINS0_14default_configENS1_25partition_config_selectorILNS1_17partition_subalgoE1ExNS0_10empty_typeEbEEZZNS1_14partition_implILS5_1ELb0ES3_jN6thrust23THRUST_200600_302600_NS6detail15normal_iteratorINSA_10device_ptrIxEEEEPS6_NSA_18transform_iteratorI7is_evenIxESF_NSA_11use_defaultESK_EENS0_5tupleIJSF_NSA_16discard_iteratorISK_EEEEENSM_IJSG_SG_EEES6_PlJS6_EEE10hipError_tPvRmT3_T4_T5_T6_T7_T9_mT8_P12ihipStream_tbDpT10_ENKUlT_T0_E_clISt17integral_constantIbLb1EES1A_IbLb0EEEEDaS16_S17_EUlS16_E_NS1_11comp_targetILNS1_3genE8ELNS1_11target_archE1030ELNS1_3gpuE2ELNS1_3repE0EEENS1_30default_config_static_selectorELNS0_4arch9wavefront6targetE1EEEvT1_.kd
    .uniform_work_group_size: 1
    .uses_dynamic_stack: false
    .vgpr_count:     0
    .vgpr_spill_count: 0
    .wavefront_size: 64
  - .agpr_count:     0
    .args:
      - .offset:         0
        .size:           152
        .value_kind:     by_value
    .group_segment_fixed_size: 0
    .kernarg_segment_align: 8
    .kernarg_segment_size: 152
    .language:       OpenCL C
    .language_version:
      - 2
      - 0
    .max_flat_workgroup_size: 128
    .name:           _ZN7rocprim17ROCPRIM_400000_NS6detail17trampoline_kernelINS0_14default_configENS1_25partition_config_selectorILNS1_17partition_subalgoE1ExNS0_10empty_typeEbEEZZNS1_14partition_implILS5_1ELb0ES3_jN6thrust23THRUST_200600_302600_NS6detail15normal_iteratorINSA_10device_ptrIxEEEEPS6_NSA_18transform_iteratorI7is_evenIxESF_NSA_11use_defaultESK_EENS0_5tupleIJSF_NSA_16discard_iteratorISK_EEEEENSM_IJSG_SG_EEES6_PlJS6_EEE10hipError_tPvRmT3_T4_T5_T6_T7_T9_mT8_P12ihipStream_tbDpT10_ENKUlT_T0_E_clISt17integral_constantIbLb0EES1A_IbLb1EEEEDaS16_S17_EUlS16_E_NS1_11comp_targetILNS1_3genE0ELNS1_11target_archE4294967295ELNS1_3gpuE0ELNS1_3repE0EEENS1_30default_config_static_selectorELNS0_4arch9wavefront6targetE1EEEvT1_
    .private_segment_fixed_size: 0
    .sgpr_count:     6
    .sgpr_spill_count: 0
    .symbol:         _ZN7rocprim17ROCPRIM_400000_NS6detail17trampoline_kernelINS0_14default_configENS1_25partition_config_selectorILNS1_17partition_subalgoE1ExNS0_10empty_typeEbEEZZNS1_14partition_implILS5_1ELb0ES3_jN6thrust23THRUST_200600_302600_NS6detail15normal_iteratorINSA_10device_ptrIxEEEEPS6_NSA_18transform_iteratorI7is_evenIxESF_NSA_11use_defaultESK_EENS0_5tupleIJSF_NSA_16discard_iteratorISK_EEEEENSM_IJSG_SG_EEES6_PlJS6_EEE10hipError_tPvRmT3_T4_T5_T6_T7_T9_mT8_P12ihipStream_tbDpT10_ENKUlT_T0_E_clISt17integral_constantIbLb0EES1A_IbLb1EEEEDaS16_S17_EUlS16_E_NS1_11comp_targetILNS1_3genE0ELNS1_11target_archE4294967295ELNS1_3gpuE0ELNS1_3repE0EEENS1_30default_config_static_selectorELNS0_4arch9wavefront6targetE1EEEvT1_.kd
    .uniform_work_group_size: 1
    .uses_dynamic_stack: false
    .vgpr_count:     0
    .vgpr_spill_count: 0
    .wavefront_size: 64
  - .agpr_count:     0
    .args:
      - .offset:         0
        .size:           152
        .value_kind:     by_value
    .group_segment_fixed_size: 28680
    .kernarg_segment_align: 8
    .kernarg_segment_size: 152
    .language:       OpenCL C
    .language_version:
      - 2
      - 0
    .max_flat_workgroup_size: 512
    .name:           _ZN7rocprim17ROCPRIM_400000_NS6detail17trampoline_kernelINS0_14default_configENS1_25partition_config_selectorILNS1_17partition_subalgoE1ExNS0_10empty_typeEbEEZZNS1_14partition_implILS5_1ELb0ES3_jN6thrust23THRUST_200600_302600_NS6detail15normal_iteratorINSA_10device_ptrIxEEEEPS6_NSA_18transform_iteratorI7is_evenIxESF_NSA_11use_defaultESK_EENS0_5tupleIJSF_NSA_16discard_iteratorISK_EEEEENSM_IJSG_SG_EEES6_PlJS6_EEE10hipError_tPvRmT3_T4_T5_T6_T7_T9_mT8_P12ihipStream_tbDpT10_ENKUlT_T0_E_clISt17integral_constantIbLb0EES1A_IbLb1EEEEDaS16_S17_EUlS16_E_NS1_11comp_targetILNS1_3genE5ELNS1_11target_archE942ELNS1_3gpuE9ELNS1_3repE0EEENS1_30default_config_static_selectorELNS0_4arch9wavefront6targetE1EEEvT1_
    .private_segment_fixed_size: 0
    .sgpr_count:     46
    .sgpr_spill_count: 0
    .symbol:         _ZN7rocprim17ROCPRIM_400000_NS6detail17trampoline_kernelINS0_14default_configENS1_25partition_config_selectorILNS1_17partition_subalgoE1ExNS0_10empty_typeEbEEZZNS1_14partition_implILS5_1ELb0ES3_jN6thrust23THRUST_200600_302600_NS6detail15normal_iteratorINSA_10device_ptrIxEEEEPS6_NSA_18transform_iteratorI7is_evenIxESF_NSA_11use_defaultESK_EENS0_5tupleIJSF_NSA_16discard_iteratorISK_EEEEENSM_IJSG_SG_EEES6_PlJS6_EEE10hipError_tPvRmT3_T4_T5_T6_T7_T9_mT8_P12ihipStream_tbDpT10_ENKUlT_T0_E_clISt17integral_constantIbLb0EES1A_IbLb1EEEEDaS16_S17_EUlS16_E_NS1_11comp_targetILNS1_3genE5ELNS1_11target_archE942ELNS1_3gpuE9ELNS1_3repE0EEENS1_30default_config_static_selectorELNS0_4arch9wavefront6targetE1EEEvT1_.kd
    .uniform_work_group_size: 1
    .uses_dynamic_stack: false
    .vgpr_count:     56
    .vgpr_spill_count: 0
    .wavefront_size: 64
  - .agpr_count:     0
    .args:
      - .offset:         0
        .size:           152
        .value_kind:     by_value
    .group_segment_fixed_size: 0
    .kernarg_segment_align: 8
    .kernarg_segment_size: 152
    .language:       OpenCL C
    .language_version:
      - 2
      - 0
    .max_flat_workgroup_size: 192
    .name:           _ZN7rocprim17ROCPRIM_400000_NS6detail17trampoline_kernelINS0_14default_configENS1_25partition_config_selectorILNS1_17partition_subalgoE1ExNS0_10empty_typeEbEEZZNS1_14partition_implILS5_1ELb0ES3_jN6thrust23THRUST_200600_302600_NS6detail15normal_iteratorINSA_10device_ptrIxEEEEPS6_NSA_18transform_iteratorI7is_evenIxESF_NSA_11use_defaultESK_EENS0_5tupleIJSF_NSA_16discard_iteratorISK_EEEEENSM_IJSG_SG_EEES6_PlJS6_EEE10hipError_tPvRmT3_T4_T5_T6_T7_T9_mT8_P12ihipStream_tbDpT10_ENKUlT_T0_E_clISt17integral_constantIbLb0EES1A_IbLb1EEEEDaS16_S17_EUlS16_E_NS1_11comp_targetILNS1_3genE4ELNS1_11target_archE910ELNS1_3gpuE8ELNS1_3repE0EEENS1_30default_config_static_selectorELNS0_4arch9wavefront6targetE1EEEvT1_
    .private_segment_fixed_size: 0
    .sgpr_count:     6
    .sgpr_spill_count: 0
    .symbol:         _ZN7rocprim17ROCPRIM_400000_NS6detail17trampoline_kernelINS0_14default_configENS1_25partition_config_selectorILNS1_17partition_subalgoE1ExNS0_10empty_typeEbEEZZNS1_14partition_implILS5_1ELb0ES3_jN6thrust23THRUST_200600_302600_NS6detail15normal_iteratorINSA_10device_ptrIxEEEEPS6_NSA_18transform_iteratorI7is_evenIxESF_NSA_11use_defaultESK_EENS0_5tupleIJSF_NSA_16discard_iteratorISK_EEEEENSM_IJSG_SG_EEES6_PlJS6_EEE10hipError_tPvRmT3_T4_T5_T6_T7_T9_mT8_P12ihipStream_tbDpT10_ENKUlT_T0_E_clISt17integral_constantIbLb0EES1A_IbLb1EEEEDaS16_S17_EUlS16_E_NS1_11comp_targetILNS1_3genE4ELNS1_11target_archE910ELNS1_3gpuE8ELNS1_3repE0EEENS1_30default_config_static_selectorELNS0_4arch9wavefront6targetE1EEEvT1_.kd
    .uniform_work_group_size: 1
    .uses_dynamic_stack: false
    .vgpr_count:     0
    .vgpr_spill_count: 0
    .wavefront_size: 64
  - .agpr_count:     0
    .args:
      - .offset:         0
        .size:           152
        .value_kind:     by_value
    .group_segment_fixed_size: 0
    .kernarg_segment_align: 8
    .kernarg_segment_size: 152
    .language:       OpenCL C
    .language_version:
      - 2
      - 0
    .max_flat_workgroup_size: 128
    .name:           _ZN7rocprim17ROCPRIM_400000_NS6detail17trampoline_kernelINS0_14default_configENS1_25partition_config_selectorILNS1_17partition_subalgoE1ExNS0_10empty_typeEbEEZZNS1_14partition_implILS5_1ELb0ES3_jN6thrust23THRUST_200600_302600_NS6detail15normal_iteratorINSA_10device_ptrIxEEEEPS6_NSA_18transform_iteratorI7is_evenIxESF_NSA_11use_defaultESK_EENS0_5tupleIJSF_NSA_16discard_iteratorISK_EEEEENSM_IJSG_SG_EEES6_PlJS6_EEE10hipError_tPvRmT3_T4_T5_T6_T7_T9_mT8_P12ihipStream_tbDpT10_ENKUlT_T0_E_clISt17integral_constantIbLb0EES1A_IbLb1EEEEDaS16_S17_EUlS16_E_NS1_11comp_targetILNS1_3genE3ELNS1_11target_archE908ELNS1_3gpuE7ELNS1_3repE0EEENS1_30default_config_static_selectorELNS0_4arch9wavefront6targetE1EEEvT1_
    .private_segment_fixed_size: 0
    .sgpr_count:     6
    .sgpr_spill_count: 0
    .symbol:         _ZN7rocprim17ROCPRIM_400000_NS6detail17trampoline_kernelINS0_14default_configENS1_25partition_config_selectorILNS1_17partition_subalgoE1ExNS0_10empty_typeEbEEZZNS1_14partition_implILS5_1ELb0ES3_jN6thrust23THRUST_200600_302600_NS6detail15normal_iteratorINSA_10device_ptrIxEEEEPS6_NSA_18transform_iteratorI7is_evenIxESF_NSA_11use_defaultESK_EENS0_5tupleIJSF_NSA_16discard_iteratorISK_EEEEENSM_IJSG_SG_EEES6_PlJS6_EEE10hipError_tPvRmT3_T4_T5_T6_T7_T9_mT8_P12ihipStream_tbDpT10_ENKUlT_T0_E_clISt17integral_constantIbLb0EES1A_IbLb1EEEEDaS16_S17_EUlS16_E_NS1_11comp_targetILNS1_3genE3ELNS1_11target_archE908ELNS1_3gpuE7ELNS1_3repE0EEENS1_30default_config_static_selectorELNS0_4arch9wavefront6targetE1EEEvT1_.kd
    .uniform_work_group_size: 1
    .uses_dynamic_stack: false
    .vgpr_count:     0
    .vgpr_spill_count: 0
    .wavefront_size: 64
  - .agpr_count:     0
    .args:
      - .offset:         0
        .size:           152
        .value_kind:     by_value
    .group_segment_fixed_size: 0
    .kernarg_segment_align: 8
    .kernarg_segment_size: 152
    .language:       OpenCL C
    .language_version:
      - 2
      - 0
    .max_flat_workgroup_size: 256
    .name:           _ZN7rocprim17ROCPRIM_400000_NS6detail17trampoline_kernelINS0_14default_configENS1_25partition_config_selectorILNS1_17partition_subalgoE1ExNS0_10empty_typeEbEEZZNS1_14partition_implILS5_1ELb0ES3_jN6thrust23THRUST_200600_302600_NS6detail15normal_iteratorINSA_10device_ptrIxEEEEPS6_NSA_18transform_iteratorI7is_evenIxESF_NSA_11use_defaultESK_EENS0_5tupleIJSF_NSA_16discard_iteratorISK_EEEEENSM_IJSG_SG_EEES6_PlJS6_EEE10hipError_tPvRmT3_T4_T5_T6_T7_T9_mT8_P12ihipStream_tbDpT10_ENKUlT_T0_E_clISt17integral_constantIbLb0EES1A_IbLb1EEEEDaS16_S17_EUlS16_E_NS1_11comp_targetILNS1_3genE2ELNS1_11target_archE906ELNS1_3gpuE6ELNS1_3repE0EEENS1_30default_config_static_selectorELNS0_4arch9wavefront6targetE1EEEvT1_
    .private_segment_fixed_size: 0
    .sgpr_count:     6
    .sgpr_spill_count: 0
    .symbol:         _ZN7rocprim17ROCPRIM_400000_NS6detail17trampoline_kernelINS0_14default_configENS1_25partition_config_selectorILNS1_17partition_subalgoE1ExNS0_10empty_typeEbEEZZNS1_14partition_implILS5_1ELb0ES3_jN6thrust23THRUST_200600_302600_NS6detail15normal_iteratorINSA_10device_ptrIxEEEEPS6_NSA_18transform_iteratorI7is_evenIxESF_NSA_11use_defaultESK_EENS0_5tupleIJSF_NSA_16discard_iteratorISK_EEEEENSM_IJSG_SG_EEES6_PlJS6_EEE10hipError_tPvRmT3_T4_T5_T6_T7_T9_mT8_P12ihipStream_tbDpT10_ENKUlT_T0_E_clISt17integral_constantIbLb0EES1A_IbLb1EEEEDaS16_S17_EUlS16_E_NS1_11comp_targetILNS1_3genE2ELNS1_11target_archE906ELNS1_3gpuE6ELNS1_3repE0EEENS1_30default_config_static_selectorELNS0_4arch9wavefront6targetE1EEEvT1_.kd
    .uniform_work_group_size: 1
    .uses_dynamic_stack: false
    .vgpr_count:     0
    .vgpr_spill_count: 0
    .wavefront_size: 64
  - .agpr_count:     0
    .args:
      - .offset:         0
        .size:           152
        .value_kind:     by_value
    .group_segment_fixed_size: 0
    .kernarg_segment_align: 8
    .kernarg_segment_size: 152
    .language:       OpenCL C
    .language_version:
      - 2
      - 0
    .max_flat_workgroup_size: 256
    .name:           _ZN7rocprim17ROCPRIM_400000_NS6detail17trampoline_kernelINS0_14default_configENS1_25partition_config_selectorILNS1_17partition_subalgoE1ExNS0_10empty_typeEbEEZZNS1_14partition_implILS5_1ELb0ES3_jN6thrust23THRUST_200600_302600_NS6detail15normal_iteratorINSA_10device_ptrIxEEEEPS6_NSA_18transform_iteratorI7is_evenIxESF_NSA_11use_defaultESK_EENS0_5tupleIJSF_NSA_16discard_iteratorISK_EEEEENSM_IJSG_SG_EEES6_PlJS6_EEE10hipError_tPvRmT3_T4_T5_T6_T7_T9_mT8_P12ihipStream_tbDpT10_ENKUlT_T0_E_clISt17integral_constantIbLb0EES1A_IbLb1EEEEDaS16_S17_EUlS16_E_NS1_11comp_targetILNS1_3genE10ELNS1_11target_archE1200ELNS1_3gpuE4ELNS1_3repE0EEENS1_30default_config_static_selectorELNS0_4arch9wavefront6targetE1EEEvT1_
    .private_segment_fixed_size: 0
    .sgpr_count:     6
    .sgpr_spill_count: 0
    .symbol:         _ZN7rocprim17ROCPRIM_400000_NS6detail17trampoline_kernelINS0_14default_configENS1_25partition_config_selectorILNS1_17partition_subalgoE1ExNS0_10empty_typeEbEEZZNS1_14partition_implILS5_1ELb0ES3_jN6thrust23THRUST_200600_302600_NS6detail15normal_iteratorINSA_10device_ptrIxEEEEPS6_NSA_18transform_iteratorI7is_evenIxESF_NSA_11use_defaultESK_EENS0_5tupleIJSF_NSA_16discard_iteratorISK_EEEEENSM_IJSG_SG_EEES6_PlJS6_EEE10hipError_tPvRmT3_T4_T5_T6_T7_T9_mT8_P12ihipStream_tbDpT10_ENKUlT_T0_E_clISt17integral_constantIbLb0EES1A_IbLb1EEEEDaS16_S17_EUlS16_E_NS1_11comp_targetILNS1_3genE10ELNS1_11target_archE1200ELNS1_3gpuE4ELNS1_3repE0EEENS1_30default_config_static_selectorELNS0_4arch9wavefront6targetE1EEEvT1_.kd
    .uniform_work_group_size: 1
    .uses_dynamic_stack: false
    .vgpr_count:     0
    .vgpr_spill_count: 0
    .wavefront_size: 64
  - .agpr_count:     0
    .args:
      - .offset:         0
        .size:           152
        .value_kind:     by_value
    .group_segment_fixed_size: 0
    .kernarg_segment_align: 8
    .kernarg_segment_size: 152
    .language:       OpenCL C
    .language_version:
      - 2
      - 0
    .max_flat_workgroup_size: 128
    .name:           _ZN7rocprim17ROCPRIM_400000_NS6detail17trampoline_kernelINS0_14default_configENS1_25partition_config_selectorILNS1_17partition_subalgoE1ExNS0_10empty_typeEbEEZZNS1_14partition_implILS5_1ELb0ES3_jN6thrust23THRUST_200600_302600_NS6detail15normal_iteratorINSA_10device_ptrIxEEEEPS6_NSA_18transform_iteratorI7is_evenIxESF_NSA_11use_defaultESK_EENS0_5tupleIJSF_NSA_16discard_iteratorISK_EEEEENSM_IJSG_SG_EEES6_PlJS6_EEE10hipError_tPvRmT3_T4_T5_T6_T7_T9_mT8_P12ihipStream_tbDpT10_ENKUlT_T0_E_clISt17integral_constantIbLb0EES1A_IbLb1EEEEDaS16_S17_EUlS16_E_NS1_11comp_targetILNS1_3genE9ELNS1_11target_archE1100ELNS1_3gpuE3ELNS1_3repE0EEENS1_30default_config_static_selectorELNS0_4arch9wavefront6targetE1EEEvT1_
    .private_segment_fixed_size: 0
    .sgpr_count:     6
    .sgpr_spill_count: 0
    .symbol:         _ZN7rocprim17ROCPRIM_400000_NS6detail17trampoline_kernelINS0_14default_configENS1_25partition_config_selectorILNS1_17partition_subalgoE1ExNS0_10empty_typeEbEEZZNS1_14partition_implILS5_1ELb0ES3_jN6thrust23THRUST_200600_302600_NS6detail15normal_iteratorINSA_10device_ptrIxEEEEPS6_NSA_18transform_iteratorI7is_evenIxESF_NSA_11use_defaultESK_EENS0_5tupleIJSF_NSA_16discard_iteratorISK_EEEEENSM_IJSG_SG_EEES6_PlJS6_EEE10hipError_tPvRmT3_T4_T5_T6_T7_T9_mT8_P12ihipStream_tbDpT10_ENKUlT_T0_E_clISt17integral_constantIbLb0EES1A_IbLb1EEEEDaS16_S17_EUlS16_E_NS1_11comp_targetILNS1_3genE9ELNS1_11target_archE1100ELNS1_3gpuE3ELNS1_3repE0EEENS1_30default_config_static_selectorELNS0_4arch9wavefront6targetE1EEEvT1_.kd
    .uniform_work_group_size: 1
    .uses_dynamic_stack: false
    .vgpr_count:     0
    .vgpr_spill_count: 0
    .wavefront_size: 64
  - .agpr_count:     0
    .args:
      - .offset:         0
        .size:           152
        .value_kind:     by_value
    .group_segment_fixed_size: 0
    .kernarg_segment_align: 8
    .kernarg_segment_size: 152
    .language:       OpenCL C
    .language_version:
      - 2
      - 0
    .max_flat_workgroup_size: 512
    .name:           _ZN7rocprim17ROCPRIM_400000_NS6detail17trampoline_kernelINS0_14default_configENS1_25partition_config_selectorILNS1_17partition_subalgoE1ExNS0_10empty_typeEbEEZZNS1_14partition_implILS5_1ELb0ES3_jN6thrust23THRUST_200600_302600_NS6detail15normal_iteratorINSA_10device_ptrIxEEEEPS6_NSA_18transform_iteratorI7is_evenIxESF_NSA_11use_defaultESK_EENS0_5tupleIJSF_NSA_16discard_iteratorISK_EEEEENSM_IJSG_SG_EEES6_PlJS6_EEE10hipError_tPvRmT3_T4_T5_T6_T7_T9_mT8_P12ihipStream_tbDpT10_ENKUlT_T0_E_clISt17integral_constantIbLb0EES1A_IbLb1EEEEDaS16_S17_EUlS16_E_NS1_11comp_targetILNS1_3genE8ELNS1_11target_archE1030ELNS1_3gpuE2ELNS1_3repE0EEENS1_30default_config_static_selectorELNS0_4arch9wavefront6targetE1EEEvT1_
    .private_segment_fixed_size: 0
    .sgpr_count:     6
    .sgpr_spill_count: 0
    .symbol:         _ZN7rocprim17ROCPRIM_400000_NS6detail17trampoline_kernelINS0_14default_configENS1_25partition_config_selectorILNS1_17partition_subalgoE1ExNS0_10empty_typeEbEEZZNS1_14partition_implILS5_1ELb0ES3_jN6thrust23THRUST_200600_302600_NS6detail15normal_iteratorINSA_10device_ptrIxEEEEPS6_NSA_18transform_iteratorI7is_evenIxESF_NSA_11use_defaultESK_EENS0_5tupleIJSF_NSA_16discard_iteratorISK_EEEEENSM_IJSG_SG_EEES6_PlJS6_EEE10hipError_tPvRmT3_T4_T5_T6_T7_T9_mT8_P12ihipStream_tbDpT10_ENKUlT_T0_E_clISt17integral_constantIbLb0EES1A_IbLb1EEEEDaS16_S17_EUlS16_E_NS1_11comp_targetILNS1_3genE8ELNS1_11target_archE1030ELNS1_3gpuE2ELNS1_3repE0EEENS1_30default_config_static_selectorELNS0_4arch9wavefront6targetE1EEEvT1_.kd
    .uniform_work_group_size: 1
    .uses_dynamic_stack: false
    .vgpr_count:     0
    .vgpr_spill_count: 0
    .wavefront_size: 64
  - .agpr_count:     0
    .args:
      - .offset:         0
        .size:           136
        .value_kind:     by_value
    .group_segment_fixed_size: 0
    .kernarg_segment_align: 8
    .kernarg_segment_size: 136
    .language:       OpenCL C
    .language_version:
      - 2
      - 0
    .max_flat_workgroup_size: 128
    .name:           _ZN7rocprim17ROCPRIM_400000_NS6detail17trampoline_kernelINS0_14default_configENS1_25partition_config_selectorILNS1_17partition_subalgoE1ExNS0_10empty_typeEbEEZZNS1_14partition_implILS5_1ELb0ES3_jN6thrust23THRUST_200600_302600_NS6detail15normal_iteratorINSA_10device_ptrIxEEEEPS6_NSA_18transform_iteratorI7is_evenIxESF_NSA_11use_defaultESK_EENS0_5tupleIJNSA_16discard_iteratorISK_EESF_EEENSM_IJSG_SG_EEES6_PlJS6_EEE10hipError_tPvRmT3_T4_T5_T6_T7_T9_mT8_P12ihipStream_tbDpT10_ENKUlT_T0_E_clISt17integral_constantIbLb0EES1B_EEDaS16_S17_EUlS16_E_NS1_11comp_targetILNS1_3genE0ELNS1_11target_archE4294967295ELNS1_3gpuE0ELNS1_3repE0EEENS1_30default_config_static_selectorELNS0_4arch9wavefront6targetE1EEEvT1_
    .private_segment_fixed_size: 0
    .sgpr_count:     6
    .sgpr_spill_count: 0
    .symbol:         _ZN7rocprim17ROCPRIM_400000_NS6detail17trampoline_kernelINS0_14default_configENS1_25partition_config_selectorILNS1_17partition_subalgoE1ExNS0_10empty_typeEbEEZZNS1_14partition_implILS5_1ELb0ES3_jN6thrust23THRUST_200600_302600_NS6detail15normal_iteratorINSA_10device_ptrIxEEEEPS6_NSA_18transform_iteratorI7is_evenIxESF_NSA_11use_defaultESK_EENS0_5tupleIJNSA_16discard_iteratorISK_EESF_EEENSM_IJSG_SG_EEES6_PlJS6_EEE10hipError_tPvRmT3_T4_T5_T6_T7_T9_mT8_P12ihipStream_tbDpT10_ENKUlT_T0_E_clISt17integral_constantIbLb0EES1B_EEDaS16_S17_EUlS16_E_NS1_11comp_targetILNS1_3genE0ELNS1_11target_archE4294967295ELNS1_3gpuE0ELNS1_3repE0EEENS1_30default_config_static_selectorELNS0_4arch9wavefront6targetE1EEEvT1_.kd
    .uniform_work_group_size: 1
    .uses_dynamic_stack: false
    .vgpr_count:     0
    .vgpr_spill_count: 0
    .wavefront_size: 64
  - .agpr_count:     0
    .args:
      - .offset:         0
        .size:           136
        .value_kind:     by_value
    .group_segment_fixed_size: 28680
    .kernarg_segment_align: 8
    .kernarg_segment_size: 136
    .language:       OpenCL C
    .language_version:
      - 2
      - 0
    .max_flat_workgroup_size: 512
    .name:           _ZN7rocprim17ROCPRIM_400000_NS6detail17trampoline_kernelINS0_14default_configENS1_25partition_config_selectorILNS1_17partition_subalgoE1ExNS0_10empty_typeEbEEZZNS1_14partition_implILS5_1ELb0ES3_jN6thrust23THRUST_200600_302600_NS6detail15normal_iteratorINSA_10device_ptrIxEEEEPS6_NSA_18transform_iteratorI7is_evenIxESF_NSA_11use_defaultESK_EENS0_5tupleIJNSA_16discard_iteratorISK_EESF_EEENSM_IJSG_SG_EEES6_PlJS6_EEE10hipError_tPvRmT3_T4_T5_T6_T7_T9_mT8_P12ihipStream_tbDpT10_ENKUlT_T0_E_clISt17integral_constantIbLb0EES1B_EEDaS16_S17_EUlS16_E_NS1_11comp_targetILNS1_3genE5ELNS1_11target_archE942ELNS1_3gpuE9ELNS1_3repE0EEENS1_30default_config_static_selectorELNS0_4arch9wavefront6targetE1EEEvT1_
    .private_segment_fixed_size: 0
    .sgpr_count:     50
    .sgpr_spill_count: 0
    .symbol:         _ZN7rocprim17ROCPRIM_400000_NS6detail17trampoline_kernelINS0_14default_configENS1_25partition_config_selectorILNS1_17partition_subalgoE1ExNS0_10empty_typeEbEEZZNS1_14partition_implILS5_1ELb0ES3_jN6thrust23THRUST_200600_302600_NS6detail15normal_iteratorINSA_10device_ptrIxEEEEPS6_NSA_18transform_iteratorI7is_evenIxESF_NSA_11use_defaultESK_EENS0_5tupleIJNSA_16discard_iteratorISK_EESF_EEENSM_IJSG_SG_EEES6_PlJS6_EEE10hipError_tPvRmT3_T4_T5_T6_T7_T9_mT8_P12ihipStream_tbDpT10_ENKUlT_T0_E_clISt17integral_constantIbLb0EES1B_EEDaS16_S17_EUlS16_E_NS1_11comp_targetILNS1_3genE5ELNS1_11target_archE942ELNS1_3gpuE9ELNS1_3repE0EEENS1_30default_config_static_selectorELNS0_4arch9wavefront6targetE1EEEvT1_.kd
    .uniform_work_group_size: 1
    .uses_dynamic_stack: false
    .vgpr_count:     54
    .vgpr_spill_count: 0
    .wavefront_size: 64
  - .agpr_count:     0
    .args:
      - .offset:         0
        .size:           136
        .value_kind:     by_value
    .group_segment_fixed_size: 0
    .kernarg_segment_align: 8
    .kernarg_segment_size: 136
    .language:       OpenCL C
    .language_version:
      - 2
      - 0
    .max_flat_workgroup_size: 192
    .name:           _ZN7rocprim17ROCPRIM_400000_NS6detail17trampoline_kernelINS0_14default_configENS1_25partition_config_selectorILNS1_17partition_subalgoE1ExNS0_10empty_typeEbEEZZNS1_14partition_implILS5_1ELb0ES3_jN6thrust23THRUST_200600_302600_NS6detail15normal_iteratorINSA_10device_ptrIxEEEEPS6_NSA_18transform_iteratorI7is_evenIxESF_NSA_11use_defaultESK_EENS0_5tupleIJNSA_16discard_iteratorISK_EESF_EEENSM_IJSG_SG_EEES6_PlJS6_EEE10hipError_tPvRmT3_T4_T5_T6_T7_T9_mT8_P12ihipStream_tbDpT10_ENKUlT_T0_E_clISt17integral_constantIbLb0EES1B_EEDaS16_S17_EUlS16_E_NS1_11comp_targetILNS1_3genE4ELNS1_11target_archE910ELNS1_3gpuE8ELNS1_3repE0EEENS1_30default_config_static_selectorELNS0_4arch9wavefront6targetE1EEEvT1_
    .private_segment_fixed_size: 0
    .sgpr_count:     6
    .sgpr_spill_count: 0
    .symbol:         _ZN7rocprim17ROCPRIM_400000_NS6detail17trampoline_kernelINS0_14default_configENS1_25partition_config_selectorILNS1_17partition_subalgoE1ExNS0_10empty_typeEbEEZZNS1_14partition_implILS5_1ELb0ES3_jN6thrust23THRUST_200600_302600_NS6detail15normal_iteratorINSA_10device_ptrIxEEEEPS6_NSA_18transform_iteratorI7is_evenIxESF_NSA_11use_defaultESK_EENS0_5tupleIJNSA_16discard_iteratorISK_EESF_EEENSM_IJSG_SG_EEES6_PlJS6_EEE10hipError_tPvRmT3_T4_T5_T6_T7_T9_mT8_P12ihipStream_tbDpT10_ENKUlT_T0_E_clISt17integral_constantIbLb0EES1B_EEDaS16_S17_EUlS16_E_NS1_11comp_targetILNS1_3genE4ELNS1_11target_archE910ELNS1_3gpuE8ELNS1_3repE0EEENS1_30default_config_static_selectorELNS0_4arch9wavefront6targetE1EEEvT1_.kd
    .uniform_work_group_size: 1
    .uses_dynamic_stack: false
    .vgpr_count:     0
    .vgpr_spill_count: 0
    .wavefront_size: 64
  - .agpr_count:     0
    .args:
      - .offset:         0
        .size:           136
        .value_kind:     by_value
    .group_segment_fixed_size: 0
    .kernarg_segment_align: 8
    .kernarg_segment_size: 136
    .language:       OpenCL C
    .language_version:
      - 2
      - 0
    .max_flat_workgroup_size: 128
    .name:           _ZN7rocprim17ROCPRIM_400000_NS6detail17trampoline_kernelINS0_14default_configENS1_25partition_config_selectorILNS1_17partition_subalgoE1ExNS0_10empty_typeEbEEZZNS1_14partition_implILS5_1ELb0ES3_jN6thrust23THRUST_200600_302600_NS6detail15normal_iteratorINSA_10device_ptrIxEEEEPS6_NSA_18transform_iteratorI7is_evenIxESF_NSA_11use_defaultESK_EENS0_5tupleIJNSA_16discard_iteratorISK_EESF_EEENSM_IJSG_SG_EEES6_PlJS6_EEE10hipError_tPvRmT3_T4_T5_T6_T7_T9_mT8_P12ihipStream_tbDpT10_ENKUlT_T0_E_clISt17integral_constantIbLb0EES1B_EEDaS16_S17_EUlS16_E_NS1_11comp_targetILNS1_3genE3ELNS1_11target_archE908ELNS1_3gpuE7ELNS1_3repE0EEENS1_30default_config_static_selectorELNS0_4arch9wavefront6targetE1EEEvT1_
    .private_segment_fixed_size: 0
    .sgpr_count:     6
    .sgpr_spill_count: 0
    .symbol:         _ZN7rocprim17ROCPRIM_400000_NS6detail17trampoline_kernelINS0_14default_configENS1_25partition_config_selectorILNS1_17partition_subalgoE1ExNS0_10empty_typeEbEEZZNS1_14partition_implILS5_1ELb0ES3_jN6thrust23THRUST_200600_302600_NS6detail15normal_iteratorINSA_10device_ptrIxEEEEPS6_NSA_18transform_iteratorI7is_evenIxESF_NSA_11use_defaultESK_EENS0_5tupleIJNSA_16discard_iteratorISK_EESF_EEENSM_IJSG_SG_EEES6_PlJS6_EEE10hipError_tPvRmT3_T4_T5_T6_T7_T9_mT8_P12ihipStream_tbDpT10_ENKUlT_T0_E_clISt17integral_constantIbLb0EES1B_EEDaS16_S17_EUlS16_E_NS1_11comp_targetILNS1_3genE3ELNS1_11target_archE908ELNS1_3gpuE7ELNS1_3repE0EEENS1_30default_config_static_selectorELNS0_4arch9wavefront6targetE1EEEvT1_.kd
    .uniform_work_group_size: 1
    .uses_dynamic_stack: false
    .vgpr_count:     0
    .vgpr_spill_count: 0
    .wavefront_size: 64
  - .agpr_count:     0
    .args:
      - .offset:         0
        .size:           136
        .value_kind:     by_value
    .group_segment_fixed_size: 0
    .kernarg_segment_align: 8
    .kernarg_segment_size: 136
    .language:       OpenCL C
    .language_version:
      - 2
      - 0
    .max_flat_workgroup_size: 256
    .name:           _ZN7rocprim17ROCPRIM_400000_NS6detail17trampoline_kernelINS0_14default_configENS1_25partition_config_selectorILNS1_17partition_subalgoE1ExNS0_10empty_typeEbEEZZNS1_14partition_implILS5_1ELb0ES3_jN6thrust23THRUST_200600_302600_NS6detail15normal_iteratorINSA_10device_ptrIxEEEEPS6_NSA_18transform_iteratorI7is_evenIxESF_NSA_11use_defaultESK_EENS0_5tupleIJNSA_16discard_iteratorISK_EESF_EEENSM_IJSG_SG_EEES6_PlJS6_EEE10hipError_tPvRmT3_T4_T5_T6_T7_T9_mT8_P12ihipStream_tbDpT10_ENKUlT_T0_E_clISt17integral_constantIbLb0EES1B_EEDaS16_S17_EUlS16_E_NS1_11comp_targetILNS1_3genE2ELNS1_11target_archE906ELNS1_3gpuE6ELNS1_3repE0EEENS1_30default_config_static_selectorELNS0_4arch9wavefront6targetE1EEEvT1_
    .private_segment_fixed_size: 0
    .sgpr_count:     6
    .sgpr_spill_count: 0
    .symbol:         _ZN7rocprim17ROCPRIM_400000_NS6detail17trampoline_kernelINS0_14default_configENS1_25partition_config_selectorILNS1_17partition_subalgoE1ExNS0_10empty_typeEbEEZZNS1_14partition_implILS5_1ELb0ES3_jN6thrust23THRUST_200600_302600_NS6detail15normal_iteratorINSA_10device_ptrIxEEEEPS6_NSA_18transform_iteratorI7is_evenIxESF_NSA_11use_defaultESK_EENS0_5tupleIJNSA_16discard_iteratorISK_EESF_EEENSM_IJSG_SG_EEES6_PlJS6_EEE10hipError_tPvRmT3_T4_T5_T6_T7_T9_mT8_P12ihipStream_tbDpT10_ENKUlT_T0_E_clISt17integral_constantIbLb0EES1B_EEDaS16_S17_EUlS16_E_NS1_11comp_targetILNS1_3genE2ELNS1_11target_archE906ELNS1_3gpuE6ELNS1_3repE0EEENS1_30default_config_static_selectorELNS0_4arch9wavefront6targetE1EEEvT1_.kd
    .uniform_work_group_size: 1
    .uses_dynamic_stack: false
    .vgpr_count:     0
    .vgpr_spill_count: 0
    .wavefront_size: 64
  - .agpr_count:     0
    .args:
      - .offset:         0
        .size:           136
        .value_kind:     by_value
    .group_segment_fixed_size: 0
    .kernarg_segment_align: 8
    .kernarg_segment_size: 136
    .language:       OpenCL C
    .language_version:
      - 2
      - 0
    .max_flat_workgroup_size: 256
    .name:           _ZN7rocprim17ROCPRIM_400000_NS6detail17trampoline_kernelINS0_14default_configENS1_25partition_config_selectorILNS1_17partition_subalgoE1ExNS0_10empty_typeEbEEZZNS1_14partition_implILS5_1ELb0ES3_jN6thrust23THRUST_200600_302600_NS6detail15normal_iteratorINSA_10device_ptrIxEEEEPS6_NSA_18transform_iteratorI7is_evenIxESF_NSA_11use_defaultESK_EENS0_5tupleIJNSA_16discard_iteratorISK_EESF_EEENSM_IJSG_SG_EEES6_PlJS6_EEE10hipError_tPvRmT3_T4_T5_T6_T7_T9_mT8_P12ihipStream_tbDpT10_ENKUlT_T0_E_clISt17integral_constantIbLb0EES1B_EEDaS16_S17_EUlS16_E_NS1_11comp_targetILNS1_3genE10ELNS1_11target_archE1200ELNS1_3gpuE4ELNS1_3repE0EEENS1_30default_config_static_selectorELNS0_4arch9wavefront6targetE1EEEvT1_
    .private_segment_fixed_size: 0
    .sgpr_count:     6
    .sgpr_spill_count: 0
    .symbol:         _ZN7rocprim17ROCPRIM_400000_NS6detail17trampoline_kernelINS0_14default_configENS1_25partition_config_selectorILNS1_17partition_subalgoE1ExNS0_10empty_typeEbEEZZNS1_14partition_implILS5_1ELb0ES3_jN6thrust23THRUST_200600_302600_NS6detail15normal_iteratorINSA_10device_ptrIxEEEEPS6_NSA_18transform_iteratorI7is_evenIxESF_NSA_11use_defaultESK_EENS0_5tupleIJNSA_16discard_iteratorISK_EESF_EEENSM_IJSG_SG_EEES6_PlJS6_EEE10hipError_tPvRmT3_T4_T5_T6_T7_T9_mT8_P12ihipStream_tbDpT10_ENKUlT_T0_E_clISt17integral_constantIbLb0EES1B_EEDaS16_S17_EUlS16_E_NS1_11comp_targetILNS1_3genE10ELNS1_11target_archE1200ELNS1_3gpuE4ELNS1_3repE0EEENS1_30default_config_static_selectorELNS0_4arch9wavefront6targetE1EEEvT1_.kd
    .uniform_work_group_size: 1
    .uses_dynamic_stack: false
    .vgpr_count:     0
    .vgpr_spill_count: 0
    .wavefront_size: 64
  - .agpr_count:     0
    .args:
      - .offset:         0
        .size:           136
        .value_kind:     by_value
    .group_segment_fixed_size: 0
    .kernarg_segment_align: 8
    .kernarg_segment_size: 136
    .language:       OpenCL C
    .language_version:
      - 2
      - 0
    .max_flat_workgroup_size: 128
    .name:           _ZN7rocprim17ROCPRIM_400000_NS6detail17trampoline_kernelINS0_14default_configENS1_25partition_config_selectorILNS1_17partition_subalgoE1ExNS0_10empty_typeEbEEZZNS1_14partition_implILS5_1ELb0ES3_jN6thrust23THRUST_200600_302600_NS6detail15normal_iteratorINSA_10device_ptrIxEEEEPS6_NSA_18transform_iteratorI7is_evenIxESF_NSA_11use_defaultESK_EENS0_5tupleIJNSA_16discard_iteratorISK_EESF_EEENSM_IJSG_SG_EEES6_PlJS6_EEE10hipError_tPvRmT3_T4_T5_T6_T7_T9_mT8_P12ihipStream_tbDpT10_ENKUlT_T0_E_clISt17integral_constantIbLb0EES1B_EEDaS16_S17_EUlS16_E_NS1_11comp_targetILNS1_3genE9ELNS1_11target_archE1100ELNS1_3gpuE3ELNS1_3repE0EEENS1_30default_config_static_selectorELNS0_4arch9wavefront6targetE1EEEvT1_
    .private_segment_fixed_size: 0
    .sgpr_count:     6
    .sgpr_spill_count: 0
    .symbol:         _ZN7rocprim17ROCPRIM_400000_NS6detail17trampoline_kernelINS0_14default_configENS1_25partition_config_selectorILNS1_17partition_subalgoE1ExNS0_10empty_typeEbEEZZNS1_14partition_implILS5_1ELb0ES3_jN6thrust23THRUST_200600_302600_NS6detail15normal_iteratorINSA_10device_ptrIxEEEEPS6_NSA_18transform_iteratorI7is_evenIxESF_NSA_11use_defaultESK_EENS0_5tupleIJNSA_16discard_iteratorISK_EESF_EEENSM_IJSG_SG_EEES6_PlJS6_EEE10hipError_tPvRmT3_T4_T5_T6_T7_T9_mT8_P12ihipStream_tbDpT10_ENKUlT_T0_E_clISt17integral_constantIbLb0EES1B_EEDaS16_S17_EUlS16_E_NS1_11comp_targetILNS1_3genE9ELNS1_11target_archE1100ELNS1_3gpuE3ELNS1_3repE0EEENS1_30default_config_static_selectorELNS0_4arch9wavefront6targetE1EEEvT1_.kd
    .uniform_work_group_size: 1
    .uses_dynamic_stack: false
    .vgpr_count:     0
    .vgpr_spill_count: 0
    .wavefront_size: 64
  - .agpr_count:     0
    .args:
      - .offset:         0
        .size:           136
        .value_kind:     by_value
    .group_segment_fixed_size: 0
    .kernarg_segment_align: 8
    .kernarg_segment_size: 136
    .language:       OpenCL C
    .language_version:
      - 2
      - 0
    .max_flat_workgroup_size: 512
    .name:           _ZN7rocprim17ROCPRIM_400000_NS6detail17trampoline_kernelINS0_14default_configENS1_25partition_config_selectorILNS1_17partition_subalgoE1ExNS0_10empty_typeEbEEZZNS1_14partition_implILS5_1ELb0ES3_jN6thrust23THRUST_200600_302600_NS6detail15normal_iteratorINSA_10device_ptrIxEEEEPS6_NSA_18transform_iteratorI7is_evenIxESF_NSA_11use_defaultESK_EENS0_5tupleIJNSA_16discard_iteratorISK_EESF_EEENSM_IJSG_SG_EEES6_PlJS6_EEE10hipError_tPvRmT3_T4_T5_T6_T7_T9_mT8_P12ihipStream_tbDpT10_ENKUlT_T0_E_clISt17integral_constantIbLb0EES1B_EEDaS16_S17_EUlS16_E_NS1_11comp_targetILNS1_3genE8ELNS1_11target_archE1030ELNS1_3gpuE2ELNS1_3repE0EEENS1_30default_config_static_selectorELNS0_4arch9wavefront6targetE1EEEvT1_
    .private_segment_fixed_size: 0
    .sgpr_count:     6
    .sgpr_spill_count: 0
    .symbol:         _ZN7rocprim17ROCPRIM_400000_NS6detail17trampoline_kernelINS0_14default_configENS1_25partition_config_selectorILNS1_17partition_subalgoE1ExNS0_10empty_typeEbEEZZNS1_14partition_implILS5_1ELb0ES3_jN6thrust23THRUST_200600_302600_NS6detail15normal_iteratorINSA_10device_ptrIxEEEEPS6_NSA_18transform_iteratorI7is_evenIxESF_NSA_11use_defaultESK_EENS0_5tupleIJNSA_16discard_iteratorISK_EESF_EEENSM_IJSG_SG_EEES6_PlJS6_EEE10hipError_tPvRmT3_T4_T5_T6_T7_T9_mT8_P12ihipStream_tbDpT10_ENKUlT_T0_E_clISt17integral_constantIbLb0EES1B_EEDaS16_S17_EUlS16_E_NS1_11comp_targetILNS1_3genE8ELNS1_11target_archE1030ELNS1_3gpuE2ELNS1_3repE0EEENS1_30default_config_static_selectorELNS0_4arch9wavefront6targetE1EEEvT1_.kd
    .uniform_work_group_size: 1
    .uses_dynamic_stack: false
    .vgpr_count:     0
    .vgpr_spill_count: 0
    .wavefront_size: 64
  - .agpr_count:     0
    .args:
      - .offset:         0
        .size:           152
        .value_kind:     by_value
    .group_segment_fixed_size: 0
    .kernarg_segment_align: 8
    .kernarg_segment_size: 152
    .language:       OpenCL C
    .language_version:
      - 2
      - 0
    .max_flat_workgroup_size: 128
    .name:           _ZN7rocprim17ROCPRIM_400000_NS6detail17trampoline_kernelINS0_14default_configENS1_25partition_config_selectorILNS1_17partition_subalgoE1ExNS0_10empty_typeEbEEZZNS1_14partition_implILS5_1ELb0ES3_jN6thrust23THRUST_200600_302600_NS6detail15normal_iteratorINSA_10device_ptrIxEEEEPS6_NSA_18transform_iteratorI7is_evenIxESF_NSA_11use_defaultESK_EENS0_5tupleIJNSA_16discard_iteratorISK_EESF_EEENSM_IJSG_SG_EEES6_PlJS6_EEE10hipError_tPvRmT3_T4_T5_T6_T7_T9_mT8_P12ihipStream_tbDpT10_ENKUlT_T0_E_clISt17integral_constantIbLb1EES1B_EEDaS16_S17_EUlS16_E_NS1_11comp_targetILNS1_3genE0ELNS1_11target_archE4294967295ELNS1_3gpuE0ELNS1_3repE0EEENS1_30default_config_static_selectorELNS0_4arch9wavefront6targetE1EEEvT1_
    .private_segment_fixed_size: 0
    .sgpr_count:     6
    .sgpr_spill_count: 0
    .symbol:         _ZN7rocprim17ROCPRIM_400000_NS6detail17trampoline_kernelINS0_14default_configENS1_25partition_config_selectorILNS1_17partition_subalgoE1ExNS0_10empty_typeEbEEZZNS1_14partition_implILS5_1ELb0ES3_jN6thrust23THRUST_200600_302600_NS6detail15normal_iteratorINSA_10device_ptrIxEEEEPS6_NSA_18transform_iteratorI7is_evenIxESF_NSA_11use_defaultESK_EENS0_5tupleIJNSA_16discard_iteratorISK_EESF_EEENSM_IJSG_SG_EEES6_PlJS6_EEE10hipError_tPvRmT3_T4_T5_T6_T7_T9_mT8_P12ihipStream_tbDpT10_ENKUlT_T0_E_clISt17integral_constantIbLb1EES1B_EEDaS16_S17_EUlS16_E_NS1_11comp_targetILNS1_3genE0ELNS1_11target_archE4294967295ELNS1_3gpuE0ELNS1_3repE0EEENS1_30default_config_static_selectorELNS0_4arch9wavefront6targetE1EEEvT1_.kd
    .uniform_work_group_size: 1
    .uses_dynamic_stack: false
    .vgpr_count:     0
    .vgpr_spill_count: 0
    .wavefront_size: 64
  - .agpr_count:     0
    .args:
      - .offset:         0
        .size:           152
        .value_kind:     by_value
    .group_segment_fixed_size: 28680
    .kernarg_segment_align: 8
    .kernarg_segment_size: 152
    .language:       OpenCL C
    .language_version:
      - 2
      - 0
    .max_flat_workgroup_size: 512
    .name:           _ZN7rocprim17ROCPRIM_400000_NS6detail17trampoline_kernelINS0_14default_configENS1_25partition_config_selectorILNS1_17partition_subalgoE1ExNS0_10empty_typeEbEEZZNS1_14partition_implILS5_1ELb0ES3_jN6thrust23THRUST_200600_302600_NS6detail15normal_iteratorINSA_10device_ptrIxEEEEPS6_NSA_18transform_iteratorI7is_evenIxESF_NSA_11use_defaultESK_EENS0_5tupleIJNSA_16discard_iteratorISK_EESF_EEENSM_IJSG_SG_EEES6_PlJS6_EEE10hipError_tPvRmT3_T4_T5_T6_T7_T9_mT8_P12ihipStream_tbDpT10_ENKUlT_T0_E_clISt17integral_constantIbLb1EES1B_EEDaS16_S17_EUlS16_E_NS1_11comp_targetILNS1_3genE5ELNS1_11target_archE942ELNS1_3gpuE9ELNS1_3repE0EEENS1_30default_config_static_selectorELNS0_4arch9wavefront6targetE1EEEvT1_
    .private_segment_fixed_size: 0
    .sgpr_count:     48
    .sgpr_spill_count: 0
    .symbol:         _ZN7rocprim17ROCPRIM_400000_NS6detail17trampoline_kernelINS0_14default_configENS1_25partition_config_selectorILNS1_17partition_subalgoE1ExNS0_10empty_typeEbEEZZNS1_14partition_implILS5_1ELb0ES3_jN6thrust23THRUST_200600_302600_NS6detail15normal_iteratorINSA_10device_ptrIxEEEEPS6_NSA_18transform_iteratorI7is_evenIxESF_NSA_11use_defaultESK_EENS0_5tupleIJNSA_16discard_iteratorISK_EESF_EEENSM_IJSG_SG_EEES6_PlJS6_EEE10hipError_tPvRmT3_T4_T5_T6_T7_T9_mT8_P12ihipStream_tbDpT10_ENKUlT_T0_E_clISt17integral_constantIbLb1EES1B_EEDaS16_S17_EUlS16_E_NS1_11comp_targetILNS1_3genE5ELNS1_11target_archE942ELNS1_3gpuE9ELNS1_3repE0EEENS1_30default_config_static_selectorELNS0_4arch9wavefront6targetE1EEEvT1_.kd
    .uniform_work_group_size: 1
    .uses_dynamic_stack: false
    .vgpr_count:     58
    .vgpr_spill_count: 0
    .wavefront_size: 64
  - .agpr_count:     0
    .args:
      - .offset:         0
        .size:           152
        .value_kind:     by_value
    .group_segment_fixed_size: 0
    .kernarg_segment_align: 8
    .kernarg_segment_size: 152
    .language:       OpenCL C
    .language_version:
      - 2
      - 0
    .max_flat_workgroup_size: 192
    .name:           _ZN7rocprim17ROCPRIM_400000_NS6detail17trampoline_kernelINS0_14default_configENS1_25partition_config_selectorILNS1_17partition_subalgoE1ExNS0_10empty_typeEbEEZZNS1_14partition_implILS5_1ELb0ES3_jN6thrust23THRUST_200600_302600_NS6detail15normal_iteratorINSA_10device_ptrIxEEEEPS6_NSA_18transform_iteratorI7is_evenIxESF_NSA_11use_defaultESK_EENS0_5tupleIJNSA_16discard_iteratorISK_EESF_EEENSM_IJSG_SG_EEES6_PlJS6_EEE10hipError_tPvRmT3_T4_T5_T6_T7_T9_mT8_P12ihipStream_tbDpT10_ENKUlT_T0_E_clISt17integral_constantIbLb1EES1B_EEDaS16_S17_EUlS16_E_NS1_11comp_targetILNS1_3genE4ELNS1_11target_archE910ELNS1_3gpuE8ELNS1_3repE0EEENS1_30default_config_static_selectorELNS0_4arch9wavefront6targetE1EEEvT1_
    .private_segment_fixed_size: 0
    .sgpr_count:     6
    .sgpr_spill_count: 0
    .symbol:         _ZN7rocprim17ROCPRIM_400000_NS6detail17trampoline_kernelINS0_14default_configENS1_25partition_config_selectorILNS1_17partition_subalgoE1ExNS0_10empty_typeEbEEZZNS1_14partition_implILS5_1ELb0ES3_jN6thrust23THRUST_200600_302600_NS6detail15normal_iteratorINSA_10device_ptrIxEEEEPS6_NSA_18transform_iteratorI7is_evenIxESF_NSA_11use_defaultESK_EENS0_5tupleIJNSA_16discard_iteratorISK_EESF_EEENSM_IJSG_SG_EEES6_PlJS6_EEE10hipError_tPvRmT3_T4_T5_T6_T7_T9_mT8_P12ihipStream_tbDpT10_ENKUlT_T0_E_clISt17integral_constantIbLb1EES1B_EEDaS16_S17_EUlS16_E_NS1_11comp_targetILNS1_3genE4ELNS1_11target_archE910ELNS1_3gpuE8ELNS1_3repE0EEENS1_30default_config_static_selectorELNS0_4arch9wavefront6targetE1EEEvT1_.kd
    .uniform_work_group_size: 1
    .uses_dynamic_stack: false
    .vgpr_count:     0
    .vgpr_spill_count: 0
    .wavefront_size: 64
  - .agpr_count:     0
    .args:
      - .offset:         0
        .size:           152
        .value_kind:     by_value
    .group_segment_fixed_size: 0
    .kernarg_segment_align: 8
    .kernarg_segment_size: 152
    .language:       OpenCL C
    .language_version:
      - 2
      - 0
    .max_flat_workgroup_size: 128
    .name:           _ZN7rocprim17ROCPRIM_400000_NS6detail17trampoline_kernelINS0_14default_configENS1_25partition_config_selectorILNS1_17partition_subalgoE1ExNS0_10empty_typeEbEEZZNS1_14partition_implILS5_1ELb0ES3_jN6thrust23THRUST_200600_302600_NS6detail15normal_iteratorINSA_10device_ptrIxEEEEPS6_NSA_18transform_iteratorI7is_evenIxESF_NSA_11use_defaultESK_EENS0_5tupleIJNSA_16discard_iteratorISK_EESF_EEENSM_IJSG_SG_EEES6_PlJS6_EEE10hipError_tPvRmT3_T4_T5_T6_T7_T9_mT8_P12ihipStream_tbDpT10_ENKUlT_T0_E_clISt17integral_constantIbLb1EES1B_EEDaS16_S17_EUlS16_E_NS1_11comp_targetILNS1_3genE3ELNS1_11target_archE908ELNS1_3gpuE7ELNS1_3repE0EEENS1_30default_config_static_selectorELNS0_4arch9wavefront6targetE1EEEvT1_
    .private_segment_fixed_size: 0
    .sgpr_count:     6
    .sgpr_spill_count: 0
    .symbol:         _ZN7rocprim17ROCPRIM_400000_NS6detail17trampoline_kernelINS0_14default_configENS1_25partition_config_selectorILNS1_17partition_subalgoE1ExNS0_10empty_typeEbEEZZNS1_14partition_implILS5_1ELb0ES3_jN6thrust23THRUST_200600_302600_NS6detail15normal_iteratorINSA_10device_ptrIxEEEEPS6_NSA_18transform_iteratorI7is_evenIxESF_NSA_11use_defaultESK_EENS0_5tupleIJNSA_16discard_iteratorISK_EESF_EEENSM_IJSG_SG_EEES6_PlJS6_EEE10hipError_tPvRmT3_T4_T5_T6_T7_T9_mT8_P12ihipStream_tbDpT10_ENKUlT_T0_E_clISt17integral_constantIbLb1EES1B_EEDaS16_S17_EUlS16_E_NS1_11comp_targetILNS1_3genE3ELNS1_11target_archE908ELNS1_3gpuE7ELNS1_3repE0EEENS1_30default_config_static_selectorELNS0_4arch9wavefront6targetE1EEEvT1_.kd
    .uniform_work_group_size: 1
    .uses_dynamic_stack: false
    .vgpr_count:     0
    .vgpr_spill_count: 0
    .wavefront_size: 64
  - .agpr_count:     0
    .args:
      - .offset:         0
        .size:           152
        .value_kind:     by_value
    .group_segment_fixed_size: 0
    .kernarg_segment_align: 8
    .kernarg_segment_size: 152
    .language:       OpenCL C
    .language_version:
      - 2
      - 0
    .max_flat_workgroup_size: 256
    .name:           _ZN7rocprim17ROCPRIM_400000_NS6detail17trampoline_kernelINS0_14default_configENS1_25partition_config_selectorILNS1_17partition_subalgoE1ExNS0_10empty_typeEbEEZZNS1_14partition_implILS5_1ELb0ES3_jN6thrust23THRUST_200600_302600_NS6detail15normal_iteratorINSA_10device_ptrIxEEEEPS6_NSA_18transform_iteratorI7is_evenIxESF_NSA_11use_defaultESK_EENS0_5tupleIJNSA_16discard_iteratorISK_EESF_EEENSM_IJSG_SG_EEES6_PlJS6_EEE10hipError_tPvRmT3_T4_T5_T6_T7_T9_mT8_P12ihipStream_tbDpT10_ENKUlT_T0_E_clISt17integral_constantIbLb1EES1B_EEDaS16_S17_EUlS16_E_NS1_11comp_targetILNS1_3genE2ELNS1_11target_archE906ELNS1_3gpuE6ELNS1_3repE0EEENS1_30default_config_static_selectorELNS0_4arch9wavefront6targetE1EEEvT1_
    .private_segment_fixed_size: 0
    .sgpr_count:     6
    .sgpr_spill_count: 0
    .symbol:         _ZN7rocprim17ROCPRIM_400000_NS6detail17trampoline_kernelINS0_14default_configENS1_25partition_config_selectorILNS1_17partition_subalgoE1ExNS0_10empty_typeEbEEZZNS1_14partition_implILS5_1ELb0ES3_jN6thrust23THRUST_200600_302600_NS6detail15normal_iteratorINSA_10device_ptrIxEEEEPS6_NSA_18transform_iteratorI7is_evenIxESF_NSA_11use_defaultESK_EENS0_5tupleIJNSA_16discard_iteratorISK_EESF_EEENSM_IJSG_SG_EEES6_PlJS6_EEE10hipError_tPvRmT3_T4_T5_T6_T7_T9_mT8_P12ihipStream_tbDpT10_ENKUlT_T0_E_clISt17integral_constantIbLb1EES1B_EEDaS16_S17_EUlS16_E_NS1_11comp_targetILNS1_3genE2ELNS1_11target_archE906ELNS1_3gpuE6ELNS1_3repE0EEENS1_30default_config_static_selectorELNS0_4arch9wavefront6targetE1EEEvT1_.kd
    .uniform_work_group_size: 1
    .uses_dynamic_stack: false
    .vgpr_count:     0
    .vgpr_spill_count: 0
    .wavefront_size: 64
  - .agpr_count:     0
    .args:
      - .offset:         0
        .size:           152
        .value_kind:     by_value
    .group_segment_fixed_size: 0
    .kernarg_segment_align: 8
    .kernarg_segment_size: 152
    .language:       OpenCL C
    .language_version:
      - 2
      - 0
    .max_flat_workgroup_size: 256
    .name:           _ZN7rocprim17ROCPRIM_400000_NS6detail17trampoline_kernelINS0_14default_configENS1_25partition_config_selectorILNS1_17partition_subalgoE1ExNS0_10empty_typeEbEEZZNS1_14partition_implILS5_1ELb0ES3_jN6thrust23THRUST_200600_302600_NS6detail15normal_iteratorINSA_10device_ptrIxEEEEPS6_NSA_18transform_iteratorI7is_evenIxESF_NSA_11use_defaultESK_EENS0_5tupleIJNSA_16discard_iteratorISK_EESF_EEENSM_IJSG_SG_EEES6_PlJS6_EEE10hipError_tPvRmT3_T4_T5_T6_T7_T9_mT8_P12ihipStream_tbDpT10_ENKUlT_T0_E_clISt17integral_constantIbLb1EES1B_EEDaS16_S17_EUlS16_E_NS1_11comp_targetILNS1_3genE10ELNS1_11target_archE1200ELNS1_3gpuE4ELNS1_3repE0EEENS1_30default_config_static_selectorELNS0_4arch9wavefront6targetE1EEEvT1_
    .private_segment_fixed_size: 0
    .sgpr_count:     6
    .sgpr_spill_count: 0
    .symbol:         _ZN7rocprim17ROCPRIM_400000_NS6detail17trampoline_kernelINS0_14default_configENS1_25partition_config_selectorILNS1_17partition_subalgoE1ExNS0_10empty_typeEbEEZZNS1_14partition_implILS5_1ELb0ES3_jN6thrust23THRUST_200600_302600_NS6detail15normal_iteratorINSA_10device_ptrIxEEEEPS6_NSA_18transform_iteratorI7is_evenIxESF_NSA_11use_defaultESK_EENS0_5tupleIJNSA_16discard_iteratorISK_EESF_EEENSM_IJSG_SG_EEES6_PlJS6_EEE10hipError_tPvRmT3_T4_T5_T6_T7_T9_mT8_P12ihipStream_tbDpT10_ENKUlT_T0_E_clISt17integral_constantIbLb1EES1B_EEDaS16_S17_EUlS16_E_NS1_11comp_targetILNS1_3genE10ELNS1_11target_archE1200ELNS1_3gpuE4ELNS1_3repE0EEENS1_30default_config_static_selectorELNS0_4arch9wavefront6targetE1EEEvT1_.kd
    .uniform_work_group_size: 1
    .uses_dynamic_stack: false
    .vgpr_count:     0
    .vgpr_spill_count: 0
    .wavefront_size: 64
  - .agpr_count:     0
    .args:
      - .offset:         0
        .size:           152
        .value_kind:     by_value
    .group_segment_fixed_size: 0
    .kernarg_segment_align: 8
    .kernarg_segment_size: 152
    .language:       OpenCL C
    .language_version:
      - 2
      - 0
    .max_flat_workgroup_size: 128
    .name:           _ZN7rocprim17ROCPRIM_400000_NS6detail17trampoline_kernelINS0_14default_configENS1_25partition_config_selectorILNS1_17partition_subalgoE1ExNS0_10empty_typeEbEEZZNS1_14partition_implILS5_1ELb0ES3_jN6thrust23THRUST_200600_302600_NS6detail15normal_iteratorINSA_10device_ptrIxEEEEPS6_NSA_18transform_iteratorI7is_evenIxESF_NSA_11use_defaultESK_EENS0_5tupleIJNSA_16discard_iteratorISK_EESF_EEENSM_IJSG_SG_EEES6_PlJS6_EEE10hipError_tPvRmT3_T4_T5_T6_T7_T9_mT8_P12ihipStream_tbDpT10_ENKUlT_T0_E_clISt17integral_constantIbLb1EES1B_EEDaS16_S17_EUlS16_E_NS1_11comp_targetILNS1_3genE9ELNS1_11target_archE1100ELNS1_3gpuE3ELNS1_3repE0EEENS1_30default_config_static_selectorELNS0_4arch9wavefront6targetE1EEEvT1_
    .private_segment_fixed_size: 0
    .sgpr_count:     6
    .sgpr_spill_count: 0
    .symbol:         _ZN7rocprim17ROCPRIM_400000_NS6detail17trampoline_kernelINS0_14default_configENS1_25partition_config_selectorILNS1_17partition_subalgoE1ExNS0_10empty_typeEbEEZZNS1_14partition_implILS5_1ELb0ES3_jN6thrust23THRUST_200600_302600_NS6detail15normal_iteratorINSA_10device_ptrIxEEEEPS6_NSA_18transform_iteratorI7is_evenIxESF_NSA_11use_defaultESK_EENS0_5tupleIJNSA_16discard_iteratorISK_EESF_EEENSM_IJSG_SG_EEES6_PlJS6_EEE10hipError_tPvRmT3_T4_T5_T6_T7_T9_mT8_P12ihipStream_tbDpT10_ENKUlT_T0_E_clISt17integral_constantIbLb1EES1B_EEDaS16_S17_EUlS16_E_NS1_11comp_targetILNS1_3genE9ELNS1_11target_archE1100ELNS1_3gpuE3ELNS1_3repE0EEENS1_30default_config_static_selectorELNS0_4arch9wavefront6targetE1EEEvT1_.kd
    .uniform_work_group_size: 1
    .uses_dynamic_stack: false
    .vgpr_count:     0
    .vgpr_spill_count: 0
    .wavefront_size: 64
  - .agpr_count:     0
    .args:
      - .offset:         0
        .size:           152
        .value_kind:     by_value
    .group_segment_fixed_size: 0
    .kernarg_segment_align: 8
    .kernarg_segment_size: 152
    .language:       OpenCL C
    .language_version:
      - 2
      - 0
    .max_flat_workgroup_size: 512
    .name:           _ZN7rocprim17ROCPRIM_400000_NS6detail17trampoline_kernelINS0_14default_configENS1_25partition_config_selectorILNS1_17partition_subalgoE1ExNS0_10empty_typeEbEEZZNS1_14partition_implILS5_1ELb0ES3_jN6thrust23THRUST_200600_302600_NS6detail15normal_iteratorINSA_10device_ptrIxEEEEPS6_NSA_18transform_iteratorI7is_evenIxESF_NSA_11use_defaultESK_EENS0_5tupleIJNSA_16discard_iteratorISK_EESF_EEENSM_IJSG_SG_EEES6_PlJS6_EEE10hipError_tPvRmT3_T4_T5_T6_T7_T9_mT8_P12ihipStream_tbDpT10_ENKUlT_T0_E_clISt17integral_constantIbLb1EES1B_EEDaS16_S17_EUlS16_E_NS1_11comp_targetILNS1_3genE8ELNS1_11target_archE1030ELNS1_3gpuE2ELNS1_3repE0EEENS1_30default_config_static_selectorELNS0_4arch9wavefront6targetE1EEEvT1_
    .private_segment_fixed_size: 0
    .sgpr_count:     6
    .sgpr_spill_count: 0
    .symbol:         _ZN7rocprim17ROCPRIM_400000_NS6detail17trampoline_kernelINS0_14default_configENS1_25partition_config_selectorILNS1_17partition_subalgoE1ExNS0_10empty_typeEbEEZZNS1_14partition_implILS5_1ELb0ES3_jN6thrust23THRUST_200600_302600_NS6detail15normal_iteratorINSA_10device_ptrIxEEEEPS6_NSA_18transform_iteratorI7is_evenIxESF_NSA_11use_defaultESK_EENS0_5tupleIJNSA_16discard_iteratorISK_EESF_EEENSM_IJSG_SG_EEES6_PlJS6_EEE10hipError_tPvRmT3_T4_T5_T6_T7_T9_mT8_P12ihipStream_tbDpT10_ENKUlT_T0_E_clISt17integral_constantIbLb1EES1B_EEDaS16_S17_EUlS16_E_NS1_11comp_targetILNS1_3genE8ELNS1_11target_archE1030ELNS1_3gpuE2ELNS1_3repE0EEENS1_30default_config_static_selectorELNS0_4arch9wavefront6targetE1EEEvT1_.kd
    .uniform_work_group_size: 1
    .uses_dynamic_stack: false
    .vgpr_count:     0
    .vgpr_spill_count: 0
    .wavefront_size: 64
  - .agpr_count:     0
    .args:
      - .offset:         0
        .size:           136
        .value_kind:     by_value
    .group_segment_fixed_size: 0
    .kernarg_segment_align: 8
    .kernarg_segment_size: 136
    .language:       OpenCL C
    .language_version:
      - 2
      - 0
    .max_flat_workgroup_size: 128
    .name:           _ZN7rocprim17ROCPRIM_400000_NS6detail17trampoline_kernelINS0_14default_configENS1_25partition_config_selectorILNS1_17partition_subalgoE1ExNS0_10empty_typeEbEEZZNS1_14partition_implILS5_1ELb0ES3_jN6thrust23THRUST_200600_302600_NS6detail15normal_iteratorINSA_10device_ptrIxEEEEPS6_NSA_18transform_iteratorI7is_evenIxESF_NSA_11use_defaultESK_EENS0_5tupleIJNSA_16discard_iteratorISK_EESF_EEENSM_IJSG_SG_EEES6_PlJS6_EEE10hipError_tPvRmT3_T4_T5_T6_T7_T9_mT8_P12ihipStream_tbDpT10_ENKUlT_T0_E_clISt17integral_constantIbLb1EES1A_IbLb0EEEEDaS16_S17_EUlS16_E_NS1_11comp_targetILNS1_3genE0ELNS1_11target_archE4294967295ELNS1_3gpuE0ELNS1_3repE0EEENS1_30default_config_static_selectorELNS0_4arch9wavefront6targetE1EEEvT1_
    .private_segment_fixed_size: 0
    .sgpr_count:     6
    .sgpr_spill_count: 0
    .symbol:         _ZN7rocprim17ROCPRIM_400000_NS6detail17trampoline_kernelINS0_14default_configENS1_25partition_config_selectorILNS1_17partition_subalgoE1ExNS0_10empty_typeEbEEZZNS1_14partition_implILS5_1ELb0ES3_jN6thrust23THRUST_200600_302600_NS6detail15normal_iteratorINSA_10device_ptrIxEEEEPS6_NSA_18transform_iteratorI7is_evenIxESF_NSA_11use_defaultESK_EENS0_5tupleIJNSA_16discard_iteratorISK_EESF_EEENSM_IJSG_SG_EEES6_PlJS6_EEE10hipError_tPvRmT3_T4_T5_T6_T7_T9_mT8_P12ihipStream_tbDpT10_ENKUlT_T0_E_clISt17integral_constantIbLb1EES1A_IbLb0EEEEDaS16_S17_EUlS16_E_NS1_11comp_targetILNS1_3genE0ELNS1_11target_archE4294967295ELNS1_3gpuE0ELNS1_3repE0EEENS1_30default_config_static_selectorELNS0_4arch9wavefront6targetE1EEEvT1_.kd
    .uniform_work_group_size: 1
    .uses_dynamic_stack: false
    .vgpr_count:     0
    .vgpr_spill_count: 0
    .wavefront_size: 64
  - .agpr_count:     0
    .args:
      - .offset:         0
        .size:           136
        .value_kind:     by_value
    .group_segment_fixed_size: 28680
    .kernarg_segment_align: 8
    .kernarg_segment_size: 136
    .language:       OpenCL C
    .language_version:
      - 2
      - 0
    .max_flat_workgroup_size: 512
    .name:           _ZN7rocprim17ROCPRIM_400000_NS6detail17trampoline_kernelINS0_14default_configENS1_25partition_config_selectorILNS1_17partition_subalgoE1ExNS0_10empty_typeEbEEZZNS1_14partition_implILS5_1ELb0ES3_jN6thrust23THRUST_200600_302600_NS6detail15normal_iteratorINSA_10device_ptrIxEEEEPS6_NSA_18transform_iteratorI7is_evenIxESF_NSA_11use_defaultESK_EENS0_5tupleIJNSA_16discard_iteratorISK_EESF_EEENSM_IJSG_SG_EEES6_PlJS6_EEE10hipError_tPvRmT3_T4_T5_T6_T7_T9_mT8_P12ihipStream_tbDpT10_ENKUlT_T0_E_clISt17integral_constantIbLb1EES1A_IbLb0EEEEDaS16_S17_EUlS16_E_NS1_11comp_targetILNS1_3genE5ELNS1_11target_archE942ELNS1_3gpuE9ELNS1_3repE0EEENS1_30default_config_static_selectorELNS0_4arch9wavefront6targetE1EEEvT1_
    .private_segment_fixed_size: 0
    .sgpr_count:     50
    .sgpr_spill_count: 0
    .symbol:         _ZN7rocprim17ROCPRIM_400000_NS6detail17trampoline_kernelINS0_14default_configENS1_25partition_config_selectorILNS1_17partition_subalgoE1ExNS0_10empty_typeEbEEZZNS1_14partition_implILS5_1ELb0ES3_jN6thrust23THRUST_200600_302600_NS6detail15normal_iteratorINSA_10device_ptrIxEEEEPS6_NSA_18transform_iteratorI7is_evenIxESF_NSA_11use_defaultESK_EENS0_5tupleIJNSA_16discard_iteratorISK_EESF_EEENSM_IJSG_SG_EEES6_PlJS6_EEE10hipError_tPvRmT3_T4_T5_T6_T7_T9_mT8_P12ihipStream_tbDpT10_ENKUlT_T0_E_clISt17integral_constantIbLb1EES1A_IbLb0EEEEDaS16_S17_EUlS16_E_NS1_11comp_targetILNS1_3genE5ELNS1_11target_archE942ELNS1_3gpuE9ELNS1_3repE0EEENS1_30default_config_static_selectorELNS0_4arch9wavefront6targetE1EEEvT1_.kd
    .uniform_work_group_size: 1
    .uses_dynamic_stack: false
    .vgpr_count:     54
    .vgpr_spill_count: 0
    .wavefront_size: 64
  - .agpr_count:     0
    .args:
      - .offset:         0
        .size:           136
        .value_kind:     by_value
    .group_segment_fixed_size: 0
    .kernarg_segment_align: 8
    .kernarg_segment_size: 136
    .language:       OpenCL C
    .language_version:
      - 2
      - 0
    .max_flat_workgroup_size: 192
    .name:           _ZN7rocprim17ROCPRIM_400000_NS6detail17trampoline_kernelINS0_14default_configENS1_25partition_config_selectorILNS1_17partition_subalgoE1ExNS0_10empty_typeEbEEZZNS1_14partition_implILS5_1ELb0ES3_jN6thrust23THRUST_200600_302600_NS6detail15normal_iteratorINSA_10device_ptrIxEEEEPS6_NSA_18transform_iteratorI7is_evenIxESF_NSA_11use_defaultESK_EENS0_5tupleIJNSA_16discard_iteratorISK_EESF_EEENSM_IJSG_SG_EEES6_PlJS6_EEE10hipError_tPvRmT3_T4_T5_T6_T7_T9_mT8_P12ihipStream_tbDpT10_ENKUlT_T0_E_clISt17integral_constantIbLb1EES1A_IbLb0EEEEDaS16_S17_EUlS16_E_NS1_11comp_targetILNS1_3genE4ELNS1_11target_archE910ELNS1_3gpuE8ELNS1_3repE0EEENS1_30default_config_static_selectorELNS0_4arch9wavefront6targetE1EEEvT1_
    .private_segment_fixed_size: 0
    .sgpr_count:     6
    .sgpr_spill_count: 0
    .symbol:         _ZN7rocprim17ROCPRIM_400000_NS6detail17trampoline_kernelINS0_14default_configENS1_25partition_config_selectorILNS1_17partition_subalgoE1ExNS0_10empty_typeEbEEZZNS1_14partition_implILS5_1ELb0ES3_jN6thrust23THRUST_200600_302600_NS6detail15normal_iteratorINSA_10device_ptrIxEEEEPS6_NSA_18transform_iteratorI7is_evenIxESF_NSA_11use_defaultESK_EENS0_5tupleIJNSA_16discard_iteratorISK_EESF_EEENSM_IJSG_SG_EEES6_PlJS6_EEE10hipError_tPvRmT3_T4_T5_T6_T7_T9_mT8_P12ihipStream_tbDpT10_ENKUlT_T0_E_clISt17integral_constantIbLb1EES1A_IbLb0EEEEDaS16_S17_EUlS16_E_NS1_11comp_targetILNS1_3genE4ELNS1_11target_archE910ELNS1_3gpuE8ELNS1_3repE0EEENS1_30default_config_static_selectorELNS0_4arch9wavefront6targetE1EEEvT1_.kd
    .uniform_work_group_size: 1
    .uses_dynamic_stack: false
    .vgpr_count:     0
    .vgpr_spill_count: 0
    .wavefront_size: 64
  - .agpr_count:     0
    .args:
      - .offset:         0
        .size:           136
        .value_kind:     by_value
    .group_segment_fixed_size: 0
    .kernarg_segment_align: 8
    .kernarg_segment_size: 136
    .language:       OpenCL C
    .language_version:
      - 2
      - 0
    .max_flat_workgroup_size: 128
    .name:           _ZN7rocprim17ROCPRIM_400000_NS6detail17trampoline_kernelINS0_14default_configENS1_25partition_config_selectorILNS1_17partition_subalgoE1ExNS0_10empty_typeEbEEZZNS1_14partition_implILS5_1ELb0ES3_jN6thrust23THRUST_200600_302600_NS6detail15normal_iteratorINSA_10device_ptrIxEEEEPS6_NSA_18transform_iteratorI7is_evenIxESF_NSA_11use_defaultESK_EENS0_5tupleIJNSA_16discard_iteratorISK_EESF_EEENSM_IJSG_SG_EEES6_PlJS6_EEE10hipError_tPvRmT3_T4_T5_T6_T7_T9_mT8_P12ihipStream_tbDpT10_ENKUlT_T0_E_clISt17integral_constantIbLb1EES1A_IbLb0EEEEDaS16_S17_EUlS16_E_NS1_11comp_targetILNS1_3genE3ELNS1_11target_archE908ELNS1_3gpuE7ELNS1_3repE0EEENS1_30default_config_static_selectorELNS0_4arch9wavefront6targetE1EEEvT1_
    .private_segment_fixed_size: 0
    .sgpr_count:     6
    .sgpr_spill_count: 0
    .symbol:         _ZN7rocprim17ROCPRIM_400000_NS6detail17trampoline_kernelINS0_14default_configENS1_25partition_config_selectorILNS1_17partition_subalgoE1ExNS0_10empty_typeEbEEZZNS1_14partition_implILS5_1ELb0ES3_jN6thrust23THRUST_200600_302600_NS6detail15normal_iteratorINSA_10device_ptrIxEEEEPS6_NSA_18transform_iteratorI7is_evenIxESF_NSA_11use_defaultESK_EENS0_5tupleIJNSA_16discard_iteratorISK_EESF_EEENSM_IJSG_SG_EEES6_PlJS6_EEE10hipError_tPvRmT3_T4_T5_T6_T7_T9_mT8_P12ihipStream_tbDpT10_ENKUlT_T0_E_clISt17integral_constantIbLb1EES1A_IbLb0EEEEDaS16_S17_EUlS16_E_NS1_11comp_targetILNS1_3genE3ELNS1_11target_archE908ELNS1_3gpuE7ELNS1_3repE0EEENS1_30default_config_static_selectorELNS0_4arch9wavefront6targetE1EEEvT1_.kd
    .uniform_work_group_size: 1
    .uses_dynamic_stack: false
    .vgpr_count:     0
    .vgpr_spill_count: 0
    .wavefront_size: 64
  - .agpr_count:     0
    .args:
      - .offset:         0
        .size:           136
        .value_kind:     by_value
    .group_segment_fixed_size: 0
    .kernarg_segment_align: 8
    .kernarg_segment_size: 136
    .language:       OpenCL C
    .language_version:
      - 2
      - 0
    .max_flat_workgroup_size: 256
    .name:           _ZN7rocprim17ROCPRIM_400000_NS6detail17trampoline_kernelINS0_14default_configENS1_25partition_config_selectorILNS1_17partition_subalgoE1ExNS0_10empty_typeEbEEZZNS1_14partition_implILS5_1ELb0ES3_jN6thrust23THRUST_200600_302600_NS6detail15normal_iteratorINSA_10device_ptrIxEEEEPS6_NSA_18transform_iteratorI7is_evenIxESF_NSA_11use_defaultESK_EENS0_5tupleIJNSA_16discard_iteratorISK_EESF_EEENSM_IJSG_SG_EEES6_PlJS6_EEE10hipError_tPvRmT3_T4_T5_T6_T7_T9_mT8_P12ihipStream_tbDpT10_ENKUlT_T0_E_clISt17integral_constantIbLb1EES1A_IbLb0EEEEDaS16_S17_EUlS16_E_NS1_11comp_targetILNS1_3genE2ELNS1_11target_archE906ELNS1_3gpuE6ELNS1_3repE0EEENS1_30default_config_static_selectorELNS0_4arch9wavefront6targetE1EEEvT1_
    .private_segment_fixed_size: 0
    .sgpr_count:     6
    .sgpr_spill_count: 0
    .symbol:         _ZN7rocprim17ROCPRIM_400000_NS6detail17trampoline_kernelINS0_14default_configENS1_25partition_config_selectorILNS1_17partition_subalgoE1ExNS0_10empty_typeEbEEZZNS1_14partition_implILS5_1ELb0ES3_jN6thrust23THRUST_200600_302600_NS6detail15normal_iteratorINSA_10device_ptrIxEEEEPS6_NSA_18transform_iteratorI7is_evenIxESF_NSA_11use_defaultESK_EENS0_5tupleIJNSA_16discard_iteratorISK_EESF_EEENSM_IJSG_SG_EEES6_PlJS6_EEE10hipError_tPvRmT3_T4_T5_T6_T7_T9_mT8_P12ihipStream_tbDpT10_ENKUlT_T0_E_clISt17integral_constantIbLb1EES1A_IbLb0EEEEDaS16_S17_EUlS16_E_NS1_11comp_targetILNS1_3genE2ELNS1_11target_archE906ELNS1_3gpuE6ELNS1_3repE0EEENS1_30default_config_static_selectorELNS0_4arch9wavefront6targetE1EEEvT1_.kd
    .uniform_work_group_size: 1
    .uses_dynamic_stack: false
    .vgpr_count:     0
    .vgpr_spill_count: 0
    .wavefront_size: 64
  - .agpr_count:     0
    .args:
      - .offset:         0
        .size:           136
        .value_kind:     by_value
    .group_segment_fixed_size: 0
    .kernarg_segment_align: 8
    .kernarg_segment_size: 136
    .language:       OpenCL C
    .language_version:
      - 2
      - 0
    .max_flat_workgroup_size: 256
    .name:           _ZN7rocprim17ROCPRIM_400000_NS6detail17trampoline_kernelINS0_14default_configENS1_25partition_config_selectorILNS1_17partition_subalgoE1ExNS0_10empty_typeEbEEZZNS1_14partition_implILS5_1ELb0ES3_jN6thrust23THRUST_200600_302600_NS6detail15normal_iteratorINSA_10device_ptrIxEEEEPS6_NSA_18transform_iteratorI7is_evenIxESF_NSA_11use_defaultESK_EENS0_5tupleIJNSA_16discard_iteratorISK_EESF_EEENSM_IJSG_SG_EEES6_PlJS6_EEE10hipError_tPvRmT3_T4_T5_T6_T7_T9_mT8_P12ihipStream_tbDpT10_ENKUlT_T0_E_clISt17integral_constantIbLb1EES1A_IbLb0EEEEDaS16_S17_EUlS16_E_NS1_11comp_targetILNS1_3genE10ELNS1_11target_archE1200ELNS1_3gpuE4ELNS1_3repE0EEENS1_30default_config_static_selectorELNS0_4arch9wavefront6targetE1EEEvT1_
    .private_segment_fixed_size: 0
    .sgpr_count:     6
    .sgpr_spill_count: 0
    .symbol:         _ZN7rocprim17ROCPRIM_400000_NS6detail17trampoline_kernelINS0_14default_configENS1_25partition_config_selectorILNS1_17partition_subalgoE1ExNS0_10empty_typeEbEEZZNS1_14partition_implILS5_1ELb0ES3_jN6thrust23THRUST_200600_302600_NS6detail15normal_iteratorINSA_10device_ptrIxEEEEPS6_NSA_18transform_iteratorI7is_evenIxESF_NSA_11use_defaultESK_EENS0_5tupleIJNSA_16discard_iteratorISK_EESF_EEENSM_IJSG_SG_EEES6_PlJS6_EEE10hipError_tPvRmT3_T4_T5_T6_T7_T9_mT8_P12ihipStream_tbDpT10_ENKUlT_T0_E_clISt17integral_constantIbLb1EES1A_IbLb0EEEEDaS16_S17_EUlS16_E_NS1_11comp_targetILNS1_3genE10ELNS1_11target_archE1200ELNS1_3gpuE4ELNS1_3repE0EEENS1_30default_config_static_selectorELNS0_4arch9wavefront6targetE1EEEvT1_.kd
    .uniform_work_group_size: 1
    .uses_dynamic_stack: false
    .vgpr_count:     0
    .vgpr_spill_count: 0
    .wavefront_size: 64
  - .agpr_count:     0
    .args:
      - .offset:         0
        .size:           136
        .value_kind:     by_value
    .group_segment_fixed_size: 0
    .kernarg_segment_align: 8
    .kernarg_segment_size: 136
    .language:       OpenCL C
    .language_version:
      - 2
      - 0
    .max_flat_workgroup_size: 128
    .name:           _ZN7rocprim17ROCPRIM_400000_NS6detail17trampoline_kernelINS0_14default_configENS1_25partition_config_selectorILNS1_17partition_subalgoE1ExNS0_10empty_typeEbEEZZNS1_14partition_implILS5_1ELb0ES3_jN6thrust23THRUST_200600_302600_NS6detail15normal_iteratorINSA_10device_ptrIxEEEEPS6_NSA_18transform_iteratorI7is_evenIxESF_NSA_11use_defaultESK_EENS0_5tupleIJNSA_16discard_iteratorISK_EESF_EEENSM_IJSG_SG_EEES6_PlJS6_EEE10hipError_tPvRmT3_T4_T5_T6_T7_T9_mT8_P12ihipStream_tbDpT10_ENKUlT_T0_E_clISt17integral_constantIbLb1EES1A_IbLb0EEEEDaS16_S17_EUlS16_E_NS1_11comp_targetILNS1_3genE9ELNS1_11target_archE1100ELNS1_3gpuE3ELNS1_3repE0EEENS1_30default_config_static_selectorELNS0_4arch9wavefront6targetE1EEEvT1_
    .private_segment_fixed_size: 0
    .sgpr_count:     6
    .sgpr_spill_count: 0
    .symbol:         _ZN7rocprim17ROCPRIM_400000_NS6detail17trampoline_kernelINS0_14default_configENS1_25partition_config_selectorILNS1_17partition_subalgoE1ExNS0_10empty_typeEbEEZZNS1_14partition_implILS5_1ELb0ES3_jN6thrust23THRUST_200600_302600_NS6detail15normal_iteratorINSA_10device_ptrIxEEEEPS6_NSA_18transform_iteratorI7is_evenIxESF_NSA_11use_defaultESK_EENS0_5tupleIJNSA_16discard_iteratorISK_EESF_EEENSM_IJSG_SG_EEES6_PlJS6_EEE10hipError_tPvRmT3_T4_T5_T6_T7_T9_mT8_P12ihipStream_tbDpT10_ENKUlT_T0_E_clISt17integral_constantIbLb1EES1A_IbLb0EEEEDaS16_S17_EUlS16_E_NS1_11comp_targetILNS1_3genE9ELNS1_11target_archE1100ELNS1_3gpuE3ELNS1_3repE0EEENS1_30default_config_static_selectorELNS0_4arch9wavefront6targetE1EEEvT1_.kd
    .uniform_work_group_size: 1
    .uses_dynamic_stack: false
    .vgpr_count:     0
    .vgpr_spill_count: 0
    .wavefront_size: 64
  - .agpr_count:     0
    .args:
      - .offset:         0
        .size:           136
        .value_kind:     by_value
    .group_segment_fixed_size: 0
    .kernarg_segment_align: 8
    .kernarg_segment_size: 136
    .language:       OpenCL C
    .language_version:
      - 2
      - 0
    .max_flat_workgroup_size: 512
    .name:           _ZN7rocprim17ROCPRIM_400000_NS6detail17trampoline_kernelINS0_14default_configENS1_25partition_config_selectorILNS1_17partition_subalgoE1ExNS0_10empty_typeEbEEZZNS1_14partition_implILS5_1ELb0ES3_jN6thrust23THRUST_200600_302600_NS6detail15normal_iteratorINSA_10device_ptrIxEEEEPS6_NSA_18transform_iteratorI7is_evenIxESF_NSA_11use_defaultESK_EENS0_5tupleIJNSA_16discard_iteratorISK_EESF_EEENSM_IJSG_SG_EEES6_PlJS6_EEE10hipError_tPvRmT3_T4_T5_T6_T7_T9_mT8_P12ihipStream_tbDpT10_ENKUlT_T0_E_clISt17integral_constantIbLb1EES1A_IbLb0EEEEDaS16_S17_EUlS16_E_NS1_11comp_targetILNS1_3genE8ELNS1_11target_archE1030ELNS1_3gpuE2ELNS1_3repE0EEENS1_30default_config_static_selectorELNS0_4arch9wavefront6targetE1EEEvT1_
    .private_segment_fixed_size: 0
    .sgpr_count:     6
    .sgpr_spill_count: 0
    .symbol:         _ZN7rocprim17ROCPRIM_400000_NS6detail17trampoline_kernelINS0_14default_configENS1_25partition_config_selectorILNS1_17partition_subalgoE1ExNS0_10empty_typeEbEEZZNS1_14partition_implILS5_1ELb0ES3_jN6thrust23THRUST_200600_302600_NS6detail15normal_iteratorINSA_10device_ptrIxEEEEPS6_NSA_18transform_iteratorI7is_evenIxESF_NSA_11use_defaultESK_EENS0_5tupleIJNSA_16discard_iteratorISK_EESF_EEENSM_IJSG_SG_EEES6_PlJS6_EEE10hipError_tPvRmT3_T4_T5_T6_T7_T9_mT8_P12ihipStream_tbDpT10_ENKUlT_T0_E_clISt17integral_constantIbLb1EES1A_IbLb0EEEEDaS16_S17_EUlS16_E_NS1_11comp_targetILNS1_3genE8ELNS1_11target_archE1030ELNS1_3gpuE2ELNS1_3repE0EEENS1_30default_config_static_selectorELNS0_4arch9wavefront6targetE1EEEvT1_.kd
    .uniform_work_group_size: 1
    .uses_dynamic_stack: false
    .vgpr_count:     0
    .vgpr_spill_count: 0
    .wavefront_size: 64
  - .agpr_count:     0
    .args:
      - .offset:         0
        .size:           152
        .value_kind:     by_value
    .group_segment_fixed_size: 0
    .kernarg_segment_align: 8
    .kernarg_segment_size: 152
    .language:       OpenCL C
    .language_version:
      - 2
      - 0
    .max_flat_workgroup_size: 128
    .name:           _ZN7rocprim17ROCPRIM_400000_NS6detail17trampoline_kernelINS0_14default_configENS1_25partition_config_selectorILNS1_17partition_subalgoE1ExNS0_10empty_typeEbEEZZNS1_14partition_implILS5_1ELb0ES3_jN6thrust23THRUST_200600_302600_NS6detail15normal_iteratorINSA_10device_ptrIxEEEEPS6_NSA_18transform_iteratorI7is_evenIxESF_NSA_11use_defaultESK_EENS0_5tupleIJNSA_16discard_iteratorISK_EESF_EEENSM_IJSG_SG_EEES6_PlJS6_EEE10hipError_tPvRmT3_T4_T5_T6_T7_T9_mT8_P12ihipStream_tbDpT10_ENKUlT_T0_E_clISt17integral_constantIbLb0EES1A_IbLb1EEEEDaS16_S17_EUlS16_E_NS1_11comp_targetILNS1_3genE0ELNS1_11target_archE4294967295ELNS1_3gpuE0ELNS1_3repE0EEENS1_30default_config_static_selectorELNS0_4arch9wavefront6targetE1EEEvT1_
    .private_segment_fixed_size: 0
    .sgpr_count:     6
    .sgpr_spill_count: 0
    .symbol:         _ZN7rocprim17ROCPRIM_400000_NS6detail17trampoline_kernelINS0_14default_configENS1_25partition_config_selectorILNS1_17partition_subalgoE1ExNS0_10empty_typeEbEEZZNS1_14partition_implILS5_1ELb0ES3_jN6thrust23THRUST_200600_302600_NS6detail15normal_iteratorINSA_10device_ptrIxEEEEPS6_NSA_18transform_iteratorI7is_evenIxESF_NSA_11use_defaultESK_EENS0_5tupleIJNSA_16discard_iteratorISK_EESF_EEENSM_IJSG_SG_EEES6_PlJS6_EEE10hipError_tPvRmT3_T4_T5_T6_T7_T9_mT8_P12ihipStream_tbDpT10_ENKUlT_T0_E_clISt17integral_constantIbLb0EES1A_IbLb1EEEEDaS16_S17_EUlS16_E_NS1_11comp_targetILNS1_3genE0ELNS1_11target_archE4294967295ELNS1_3gpuE0ELNS1_3repE0EEENS1_30default_config_static_selectorELNS0_4arch9wavefront6targetE1EEEvT1_.kd
    .uniform_work_group_size: 1
    .uses_dynamic_stack: false
    .vgpr_count:     0
    .vgpr_spill_count: 0
    .wavefront_size: 64
  - .agpr_count:     0
    .args:
      - .offset:         0
        .size:           152
        .value_kind:     by_value
    .group_segment_fixed_size: 28680
    .kernarg_segment_align: 8
    .kernarg_segment_size: 152
    .language:       OpenCL C
    .language_version:
      - 2
      - 0
    .max_flat_workgroup_size: 512
    .name:           _ZN7rocprim17ROCPRIM_400000_NS6detail17trampoline_kernelINS0_14default_configENS1_25partition_config_selectorILNS1_17partition_subalgoE1ExNS0_10empty_typeEbEEZZNS1_14partition_implILS5_1ELb0ES3_jN6thrust23THRUST_200600_302600_NS6detail15normal_iteratorINSA_10device_ptrIxEEEEPS6_NSA_18transform_iteratorI7is_evenIxESF_NSA_11use_defaultESK_EENS0_5tupleIJNSA_16discard_iteratorISK_EESF_EEENSM_IJSG_SG_EEES6_PlJS6_EEE10hipError_tPvRmT3_T4_T5_T6_T7_T9_mT8_P12ihipStream_tbDpT10_ENKUlT_T0_E_clISt17integral_constantIbLb0EES1A_IbLb1EEEEDaS16_S17_EUlS16_E_NS1_11comp_targetILNS1_3genE5ELNS1_11target_archE942ELNS1_3gpuE9ELNS1_3repE0EEENS1_30default_config_static_selectorELNS0_4arch9wavefront6targetE1EEEvT1_
    .private_segment_fixed_size: 0
    .sgpr_count:     48
    .sgpr_spill_count: 0
    .symbol:         _ZN7rocprim17ROCPRIM_400000_NS6detail17trampoline_kernelINS0_14default_configENS1_25partition_config_selectorILNS1_17partition_subalgoE1ExNS0_10empty_typeEbEEZZNS1_14partition_implILS5_1ELb0ES3_jN6thrust23THRUST_200600_302600_NS6detail15normal_iteratorINSA_10device_ptrIxEEEEPS6_NSA_18transform_iteratorI7is_evenIxESF_NSA_11use_defaultESK_EENS0_5tupleIJNSA_16discard_iteratorISK_EESF_EEENSM_IJSG_SG_EEES6_PlJS6_EEE10hipError_tPvRmT3_T4_T5_T6_T7_T9_mT8_P12ihipStream_tbDpT10_ENKUlT_T0_E_clISt17integral_constantIbLb0EES1A_IbLb1EEEEDaS16_S17_EUlS16_E_NS1_11comp_targetILNS1_3genE5ELNS1_11target_archE942ELNS1_3gpuE9ELNS1_3repE0EEENS1_30default_config_static_selectorELNS0_4arch9wavefront6targetE1EEEvT1_.kd
    .uniform_work_group_size: 1
    .uses_dynamic_stack: false
    .vgpr_count:     58
    .vgpr_spill_count: 0
    .wavefront_size: 64
  - .agpr_count:     0
    .args:
      - .offset:         0
        .size:           152
        .value_kind:     by_value
    .group_segment_fixed_size: 0
    .kernarg_segment_align: 8
    .kernarg_segment_size: 152
    .language:       OpenCL C
    .language_version:
      - 2
      - 0
    .max_flat_workgroup_size: 192
    .name:           _ZN7rocprim17ROCPRIM_400000_NS6detail17trampoline_kernelINS0_14default_configENS1_25partition_config_selectorILNS1_17partition_subalgoE1ExNS0_10empty_typeEbEEZZNS1_14partition_implILS5_1ELb0ES3_jN6thrust23THRUST_200600_302600_NS6detail15normal_iteratorINSA_10device_ptrIxEEEEPS6_NSA_18transform_iteratorI7is_evenIxESF_NSA_11use_defaultESK_EENS0_5tupleIJNSA_16discard_iteratorISK_EESF_EEENSM_IJSG_SG_EEES6_PlJS6_EEE10hipError_tPvRmT3_T4_T5_T6_T7_T9_mT8_P12ihipStream_tbDpT10_ENKUlT_T0_E_clISt17integral_constantIbLb0EES1A_IbLb1EEEEDaS16_S17_EUlS16_E_NS1_11comp_targetILNS1_3genE4ELNS1_11target_archE910ELNS1_3gpuE8ELNS1_3repE0EEENS1_30default_config_static_selectorELNS0_4arch9wavefront6targetE1EEEvT1_
    .private_segment_fixed_size: 0
    .sgpr_count:     6
    .sgpr_spill_count: 0
    .symbol:         _ZN7rocprim17ROCPRIM_400000_NS6detail17trampoline_kernelINS0_14default_configENS1_25partition_config_selectorILNS1_17partition_subalgoE1ExNS0_10empty_typeEbEEZZNS1_14partition_implILS5_1ELb0ES3_jN6thrust23THRUST_200600_302600_NS6detail15normal_iteratorINSA_10device_ptrIxEEEEPS6_NSA_18transform_iteratorI7is_evenIxESF_NSA_11use_defaultESK_EENS0_5tupleIJNSA_16discard_iteratorISK_EESF_EEENSM_IJSG_SG_EEES6_PlJS6_EEE10hipError_tPvRmT3_T4_T5_T6_T7_T9_mT8_P12ihipStream_tbDpT10_ENKUlT_T0_E_clISt17integral_constantIbLb0EES1A_IbLb1EEEEDaS16_S17_EUlS16_E_NS1_11comp_targetILNS1_3genE4ELNS1_11target_archE910ELNS1_3gpuE8ELNS1_3repE0EEENS1_30default_config_static_selectorELNS0_4arch9wavefront6targetE1EEEvT1_.kd
    .uniform_work_group_size: 1
    .uses_dynamic_stack: false
    .vgpr_count:     0
    .vgpr_spill_count: 0
    .wavefront_size: 64
  - .agpr_count:     0
    .args:
      - .offset:         0
        .size:           152
        .value_kind:     by_value
    .group_segment_fixed_size: 0
    .kernarg_segment_align: 8
    .kernarg_segment_size: 152
    .language:       OpenCL C
    .language_version:
      - 2
      - 0
    .max_flat_workgroup_size: 128
    .name:           _ZN7rocprim17ROCPRIM_400000_NS6detail17trampoline_kernelINS0_14default_configENS1_25partition_config_selectorILNS1_17partition_subalgoE1ExNS0_10empty_typeEbEEZZNS1_14partition_implILS5_1ELb0ES3_jN6thrust23THRUST_200600_302600_NS6detail15normal_iteratorINSA_10device_ptrIxEEEEPS6_NSA_18transform_iteratorI7is_evenIxESF_NSA_11use_defaultESK_EENS0_5tupleIJNSA_16discard_iteratorISK_EESF_EEENSM_IJSG_SG_EEES6_PlJS6_EEE10hipError_tPvRmT3_T4_T5_T6_T7_T9_mT8_P12ihipStream_tbDpT10_ENKUlT_T0_E_clISt17integral_constantIbLb0EES1A_IbLb1EEEEDaS16_S17_EUlS16_E_NS1_11comp_targetILNS1_3genE3ELNS1_11target_archE908ELNS1_3gpuE7ELNS1_3repE0EEENS1_30default_config_static_selectorELNS0_4arch9wavefront6targetE1EEEvT1_
    .private_segment_fixed_size: 0
    .sgpr_count:     6
    .sgpr_spill_count: 0
    .symbol:         _ZN7rocprim17ROCPRIM_400000_NS6detail17trampoline_kernelINS0_14default_configENS1_25partition_config_selectorILNS1_17partition_subalgoE1ExNS0_10empty_typeEbEEZZNS1_14partition_implILS5_1ELb0ES3_jN6thrust23THRUST_200600_302600_NS6detail15normal_iteratorINSA_10device_ptrIxEEEEPS6_NSA_18transform_iteratorI7is_evenIxESF_NSA_11use_defaultESK_EENS0_5tupleIJNSA_16discard_iteratorISK_EESF_EEENSM_IJSG_SG_EEES6_PlJS6_EEE10hipError_tPvRmT3_T4_T5_T6_T7_T9_mT8_P12ihipStream_tbDpT10_ENKUlT_T0_E_clISt17integral_constantIbLb0EES1A_IbLb1EEEEDaS16_S17_EUlS16_E_NS1_11comp_targetILNS1_3genE3ELNS1_11target_archE908ELNS1_3gpuE7ELNS1_3repE0EEENS1_30default_config_static_selectorELNS0_4arch9wavefront6targetE1EEEvT1_.kd
    .uniform_work_group_size: 1
    .uses_dynamic_stack: false
    .vgpr_count:     0
    .vgpr_spill_count: 0
    .wavefront_size: 64
  - .agpr_count:     0
    .args:
      - .offset:         0
        .size:           152
        .value_kind:     by_value
    .group_segment_fixed_size: 0
    .kernarg_segment_align: 8
    .kernarg_segment_size: 152
    .language:       OpenCL C
    .language_version:
      - 2
      - 0
    .max_flat_workgroup_size: 256
    .name:           _ZN7rocprim17ROCPRIM_400000_NS6detail17trampoline_kernelINS0_14default_configENS1_25partition_config_selectorILNS1_17partition_subalgoE1ExNS0_10empty_typeEbEEZZNS1_14partition_implILS5_1ELb0ES3_jN6thrust23THRUST_200600_302600_NS6detail15normal_iteratorINSA_10device_ptrIxEEEEPS6_NSA_18transform_iteratorI7is_evenIxESF_NSA_11use_defaultESK_EENS0_5tupleIJNSA_16discard_iteratorISK_EESF_EEENSM_IJSG_SG_EEES6_PlJS6_EEE10hipError_tPvRmT3_T4_T5_T6_T7_T9_mT8_P12ihipStream_tbDpT10_ENKUlT_T0_E_clISt17integral_constantIbLb0EES1A_IbLb1EEEEDaS16_S17_EUlS16_E_NS1_11comp_targetILNS1_3genE2ELNS1_11target_archE906ELNS1_3gpuE6ELNS1_3repE0EEENS1_30default_config_static_selectorELNS0_4arch9wavefront6targetE1EEEvT1_
    .private_segment_fixed_size: 0
    .sgpr_count:     6
    .sgpr_spill_count: 0
    .symbol:         _ZN7rocprim17ROCPRIM_400000_NS6detail17trampoline_kernelINS0_14default_configENS1_25partition_config_selectorILNS1_17partition_subalgoE1ExNS0_10empty_typeEbEEZZNS1_14partition_implILS5_1ELb0ES3_jN6thrust23THRUST_200600_302600_NS6detail15normal_iteratorINSA_10device_ptrIxEEEEPS6_NSA_18transform_iteratorI7is_evenIxESF_NSA_11use_defaultESK_EENS0_5tupleIJNSA_16discard_iteratorISK_EESF_EEENSM_IJSG_SG_EEES6_PlJS6_EEE10hipError_tPvRmT3_T4_T5_T6_T7_T9_mT8_P12ihipStream_tbDpT10_ENKUlT_T0_E_clISt17integral_constantIbLb0EES1A_IbLb1EEEEDaS16_S17_EUlS16_E_NS1_11comp_targetILNS1_3genE2ELNS1_11target_archE906ELNS1_3gpuE6ELNS1_3repE0EEENS1_30default_config_static_selectorELNS0_4arch9wavefront6targetE1EEEvT1_.kd
    .uniform_work_group_size: 1
    .uses_dynamic_stack: false
    .vgpr_count:     0
    .vgpr_spill_count: 0
    .wavefront_size: 64
  - .agpr_count:     0
    .args:
      - .offset:         0
        .size:           152
        .value_kind:     by_value
    .group_segment_fixed_size: 0
    .kernarg_segment_align: 8
    .kernarg_segment_size: 152
    .language:       OpenCL C
    .language_version:
      - 2
      - 0
    .max_flat_workgroup_size: 256
    .name:           _ZN7rocprim17ROCPRIM_400000_NS6detail17trampoline_kernelINS0_14default_configENS1_25partition_config_selectorILNS1_17partition_subalgoE1ExNS0_10empty_typeEbEEZZNS1_14partition_implILS5_1ELb0ES3_jN6thrust23THRUST_200600_302600_NS6detail15normal_iteratorINSA_10device_ptrIxEEEEPS6_NSA_18transform_iteratorI7is_evenIxESF_NSA_11use_defaultESK_EENS0_5tupleIJNSA_16discard_iteratorISK_EESF_EEENSM_IJSG_SG_EEES6_PlJS6_EEE10hipError_tPvRmT3_T4_T5_T6_T7_T9_mT8_P12ihipStream_tbDpT10_ENKUlT_T0_E_clISt17integral_constantIbLb0EES1A_IbLb1EEEEDaS16_S17_EUlS16_E_NS1_11comp_targetILNS1_3genE10ELNS1_11target_archE1200ELNS1_3gpuE4ELNS1_3repE0EEENS1_30default_config_static_selectorELNS0_4arch9wavefront6targetE1EEEvT1_
    .private_segment_fixed_size: 0
    .sgpr_count:     6
    .sgpr_spill_count: 0
    .symbol:         _ZN7rocprim17ROCPRIM_400000_NS6detail17trampoline_kernelINS0_14default_configENS1_25partition_config_selectorILNS1_17partition_subalgoE1ExNS0_10empty_typeEbEEZZNS1_14partition_implILS5_1ELb0ES3_jN6thrust23THRUST_200600_302600_NS6detail15normal_iteratorINSA_10device_ptrIxEEEEPS6_NSA_18transform_iteratorI7is_evenIxESF_NSA_11use_defaultESK_EENS0_5tupleIJNSA_16discard_iteratorISK_EESF_EEENSM_IJSG_SG_EEES6_PlJS6_EEE10hipError_tPvRmT3_T4_T5_T6_T7_T9_mT8_P12ihipStream_tbDpT10_ENKUlT_T0_E_clISt17integral_constantIbLb0EES1A_IbLb1EEEEDaS16_S17_EUlS16_E_NS1_11comp_targetILNS1_3genE10ELNS1_11target_archE1200ELNS1_3gpuE4ELNS1_3repE0EEENS1_30default_config_static_selectorELNS0_4arch9wavefront6targetE1EEEvT1_.kd
    .uniform_work_group_size: 1
    .uses_dynamic_stack: false
    .vgpr_count:     0
    .vgpr_spill_count: 0
    .wavefront_size: 64
  - .agpr_count:     0
    .args:
      - .offset:         0
        .size:           152
        .value_kind:     by_value
    .group_segment_fixed_size: 0
    .kernarg_segment_align: 8
    .kernarg_segment_size: 152
    .language:       OpenCL C
    .language_version:
      - 2
      - 0
    .max_flat_workgroup_size: 128
    .name:           _ZN7rocprim17ROCPRIM_400000_NS6detail17trampoline_kernelINS0_14default_configENS1_25partition_config_selectorILNS1_17partition_subalgoE1ExNS0_10empty_typeEbEEZZNS1_14partition_implILS5_1ELb0ES3_jN6thrust23THRUST_200600_302600_NS6detail15normal_iteratorINSA_10device_ptrIxEEEEPS6_NSA_18transform_iteratorI7is_evenIxESF_NSA_11use_defaultESK_EENS0_5tupleIJNSA_16discard_iteratorISK_EESF_EEENSM_IJSG_SG_EEES6_PlJS6_EEE10hipError_tPvRmT3_T4_T5_T6_T7_T9_mT8_P12ihipStream_tbDpT10_ENKUlT_T0_E_clISt17integral_constantIbLb0EES1A_IbLb1EEEEDaS16_S17_EUlS16_E_NS1_11comp_targetILNS1_3genE9ELNS1_11target_archE1100ELNS1_3gpuE3ELNS1_3repE0EEENS1_30default_config_static_selectorELNS0_4arch9wavefront6targetE1EEEvT1_
    .private_segment_fixed_size: 0
    .sgpr_count:     6
    .sgpr_spill_count: 0
    .symbol:         _ZN7rocprim17ROCPRIM_400000_NS6detail17trampoline_kernelINS0_14default_configENS1_25partition_config_selectorILNS1_17partition_subalgoE1ExNS0_10empty_typeEbEEZZNS1_14partition_implILS5_1ELb0ES3_jN6thrust23THRUST_200600_302600_NS6detail15normal_iteratorINSA_10device_ptrIxEEEEPS6_NSA_18transform_iteratorI7is_evenIxESF_NSA_11use_defaultESK_EENS0_5tupleIJNSA_16discard_iteratorISK_EESF_EEENSM_IJSG_SG_EEES6_PlJS6_EEE10hipError_tPvRmT3_T4_T5_T6_T7_T9_mT8_P12ihipStream_tbDpT10_ENKUlT_T0_E_clISt17integral_constantIbLb0EES1A_IbLb1EEEEDaS16_S17_EUlS16_E_NS1_11comp_targetILNS1_3genE9ELNS1_11target_archE1100ELNS1_3gpuE3ELNS1_3repE0EEENS1_30default_config_static_selectorELNS0_4arch9wavefront6targetE1EEEvT1_.kd
    .uniform_work_group_size: 1
    .uses_dynamic_stack: false
    .vgpr_count:     0
    .vgpr_spill_count: 0
    .wavefront_size: 64
  - .agpr_count:     0
    .args:
      - .offset:         0
        .size:           152
        .value_kind:     by_value
    .group_segment_fixed_size: 0
    .kernarg_segment_align: 8
    .kernarg_segment_size: 152
    .language:       OpenCL C
    .language_version:
      - 2
      - 0
    .max_flat_workgroup_size: 512
    .name:           _ZN7rocprim17ROCPRIM_400000_NS6detail17trampoline_kernelINS0_14default_configENS1_25partition_config_selectorILNS1_17partition_subalgoE1ExNS0_10empty_typeEbEEZZNS1_14partition_implILS5_1ELb0ES3_jN6thrust23THRUST_200600_302600_NS6detail15normal_iteratorINSA_10device_ptrIxEEEEPS6_NSA_18transform_iteratorI7is_evenIxESF_NSA_11use_defaultESK_EENS0_5tupleIJNSA_16discard_iteratorISK_EESF_EEENSM_IJSG_SG_EEES6_PlJS6_EEE10hipError_tPvRmT3_T4_T5_T6_T7_T9_mT8_P12ihipStream_tbDpT10_ENKUlT_T0_E_clISt17integral_constantIbLb0EES1A_IbLb1EEEEDaS16_S17_EUlS16_E_NS1_11comp_targetILNS1_3genE8ELNS1_11target_archE1030ELNS1_3gpuE2ELNS1_3repE0EEENS1_30default_config_static_selectorELNS0_4arch9wavefront6targetE1EEEvT1_
    .private_segment_fixed_size: 0
    .sgpr_count:     6
    .sgpr_spill_count: 0
    .symbol:         _ZN7rocprim17ROCPRIM_400000_NS6detail17trampoline_kernelINS0_14default_configENS1_25partition_config_selectorILNS1_17partition_subalgoE1ExNS0_10empty_typeEbEEZZNS1_14partition_implILS5_1ELb0ES3_jN6thrust23THRUST_200600_302600_NS6detail15normal_iteratorINSA_10device_ptrIxEEEEPS6_NSA_18transform_iteratorI7is_evenIxESF_NSA_11use_defaultESK_EENS0_5tupleIJNSA_16discard_iteratorISK_EESF_EEENSM_IJSG_SG_EEES6_PlJS6_EEE10hipError_tPvRmT3_T4_T5_T6_T7_T9_mT8_P12ihipStream_tbDpT10_ENKUlT_T0_E_clISt17integral_constantIbLb0EES1A_IbLb1EEEEDaS16_S17_EUlS16_E_NS1_11comp_targetILNS1_3genE8ELNS1_11target_archE1030ELNS1_3gpuE2ELNS1_3repE0EEENS1_30default_config_static_selectorELNS0_4arch9wavefront6targetE1EEEvT1_.kd
    .uniform_work_group_size: 1
    .uses_dynamic_stack: false
    .vgpr_count:     0
    .vgpr_spill_count: 0
    .wavefront_size: 64
  - .agpr_count:     0
    .args:
      - .offset:         0
        .size:           144
        .value_kind:     by_value
    .group_segment_fixed_size: 0
    .kernarg_segment_align: 8
    .kernarg_segment_size: 144
    .language:       OpenCL C
    .language_version:
      - 2
      - 0
    .max_flat_workgroup_size: 256
    .name:           _ZN7rocprim17ROCPRIM_400000_NS6detail17trampoline_kernelINS0_14default_configENS1_25partition_config_selectorILNS1_17partition_subalgoE1EiNS0_10empty_typeEbEEZZNS1_14partition_implILS5_1ELb0ES3_jN6thrust23THRUST_200600_302600_NS6detail15normal_iteratorINSA_10device_ptrIiEEEEPS6_NSA_18transform_iteratorI7is_evenIiESF_NSA_11use_defaultESK_EENS0_5tupleIJNSA_16discard_iteratorISK_EESO_EEENSM_IJSG_SG_EEES6_PlJS6_EEE10hipError_tPvRmT3_T4_T5_T6_T7_T9_mT8_P12ihipStream_tbDpT10_ENKUlT_T0_E_clISt17integral_constantIbLb0EES1B_EEDaS16_S17_EUlS16_E_NS1_11comp_targetILNS1_3genE0ELNS1_11target_archE4294967295ELNS1_3gpuE0ELNS1_3repE0EEENS1_30default_config_static_selectorELNS0_4arch9wavefront6targetE1EEEvT1_
    .private_segment_fixed_size: 0
    .sgpr_count:     6
    .sgpr_spill_count: 0
    .symbol:         _ZN7rocprim17ROCPRIM_400000_NS6detail17trampoline_kernelINS0_14default_configENS1_25partition_config_selectorILNS1_17partition_subalgoE1EiNS0_10empty_typeEbEEZZNS1_14partition_implILS5_1ELb0ES3_jN6thrust23THRUST_200600_302600_NS6detail15normal_iteratorINSA_10device_ptrIiEEEEPS6_NSA_18transform_iteratorI7is_evenIiESF_NSA_11use_defaultESK_EENS0_5tupleIJNSA_16discard_iteratorISK_EESO_EEENSM_IJSG_SG_EEES6_PlJS6_EEE10hipError_tPvRmT3_T4_T5_T6_T7_T9_mT8_P12ihipStream_tbDpT10_ENKUlT_T0_E_clISt17integral_constantIbLb0EES1B_EEDaS16_S17_EUlS16_E_NS1_11comp_targetILNS1_3genE0ELNS1_11target_archE4294967295ELNS1_3gpuE0ELNS1_3repE0EEENS1_30default_config_static_selectorELNS0_4arch9wavefront6targetE1EEEvT1_.kd
    .uniform_work_group_size: 1
    .uses_dynamic_stack: false
    .vgpr_count:     0
    .vgpr_spill_count: 0
    .wavefront_size: 64
  - .agpr_count:     0
    .args:
      - .offset:         0
        .size:           144
        .value_kind:     by_value
    .group_segment_fixed_size: 30728
    .kernarg_segment_align: 8
    .kernarg_segment_size: 144
    .language:       OpenCL C
    .language_version:
      - 2
      - 0
    .max_flat_workgroup_size: 512
    .name:           _ZN7rocprim17ROCPRIM_400000_NS6detail17trampoline_kernelINS0_14default_configENS1_25partition_config_selectorILNS1_17partition_subalgoE1EiNS0_10empty_typeEbEEZZNS1_14partition_implILS5_1ELb0ES3_jN6thrust23THRUST_200600_302600_NS6detail15normal_iteratorINSA_10device_ptrIiEEEEPS6_NSA_18transform_iteratorI7is_evenIiESF_NSA_11use_defaultESK_EENS0_5tupleIJNSA_16discard_iteratorISK_EESO_EEENSM_IJSG_SG_EEES6_PlJS6_EEE10hipError_tPvRmT3_T4_T5_T6_T7_T9_mT8_P12ihipStream_tbDpT10_ENKUlT_T0_E_clISt17integral_constantIbLb0EES1B_EEDaS16_S17_EUlS16_E_NS1_11comp_targetILNS1_3genE5ELNS1_11target_archE942ELNS1_3gpuE9ELNS1_3repE0EEENS1_30default_config_static_selectorELNS0_4arch9wavefront6targetE1EEEvT1_
    .private_segment_fixed_size: 0
    .sgpr_count:     42
    .sgpr_spill_count: 0
    .symbol:         _ZN7rocprim17ROCPRIM_400000_NS6detail17trampoline_kernelINS0_14default_configENS1_25partition_config_selectorILNS1_17partition_subalgoE1EiNS0_10empty_typeEbEEZZNS1_14partition_implILS5_1ELb0ES3_jN6thrust23THRUST_200600_302600_NS6detail15normal_iteratorINSA_10device_ptrIiEEEEPS6_NSA_18transform_iteratorI7is_evenIiESF_NSA_11use_defaultESK_EENS0_5tupleIJNSA_16discard_iteratorISK_EESO_EEENSM_IJSG_SG_EEES6_PlJS6_EEE10hipError_tPvRmT3_T4_T5_T6_T7_T9_mT8_P12ihipStream_tbDpT10_ENKUlT_T0_E_clISt17integral_constantIbLb0EES1B_EEDaS16_S17_EUlS16_E_NS1_11comp_targetILNS1_3genE5ELNS1_11target_archE942ELNS1_3gpuE9ELNS1_3repE0EEENS1_30default_config_static_selectorELNS0_4arch9wavefront6targetE1EEEvT1_.kd
    .uniform_work_group_size: 1
    .uses_dynamic_stack: false
    .vgpr_count:     64
    .vgpr_spill_count: 0
    .wavefront_size: 64
  - .agpr_count:     0
    .args:
      - .offset:         0
        .size:           144
        .value_kind:     by_value
    .group_segment_fixed_size: 0
    .kernarg_segment_align: 8
    .kernarg_segment_size: 144
    .language:       OpenCL C
    .language_version:
      - 2
      - 0
    .max_flat_workgroup_size: 256
    .name:           _ZN7rocprim17ROCPRIM_400000_NS6detail17trampoline_kernelINS0_14default_configENS1_25partition_config_selectorILNS1_17partition_subalgoE1EiNS0_10empty_typeEbEEZZNS1_14partition_implILS5_1ELb0ES3_jN6thrust23THRUST_200600_302600_NS6detail15normal_iteratorINSA_10device_ptrIiEEEEPS6_NSA_18transform_iteratorI7is_evenIiESF_NSA_11use_defaultESK_EENS0_5tupleIJNSA_16discard_iteratorISK_EESO_EEENSM_IJSG_SG_EEES6_PlJS6_EEE10hipError_tPvRmT3_T4_T5_T6_T7_T9_mT8_P12ihipStream_tbDpT10_ENKUlT_T0_E_clISt17integral_constantIbLb0EES1B_EEDaS16_S17_EUlS16_E_NS1_11comp_targetILNS1_3genE4ELNS1_11target_archE910ELNS1_3gpuE8ELNS1_3repE0EEENS1_30default_config_static_selectorELNS0_4arch9wavefront6targetE1EEEvT1_
    .private_segment_fixed_size: 0
    .sgpr_count:     6
    .sgpr_spill_count: 0
    .symbol:         _ZN7rocprim17ROCPRIM_400000_NS6detail17trampoline_kernelINS0_14default_configENS1_25partition_config_selectorILNS1_17partition_subalgoE1EiNS0_10empty_typeEbEEZZNS1_14partition_implILS5_1ELb0ES3_jN6thrust23THRUST_200600_302600_NS6detail15normal_iteratorINSA_10device_ptrIiEEEEPS6_NSA_18transform_iteratorI7is_evenIiESF_NSA_11use_defaultESK_EENS0_5tupleIJNSA_16discard_iteratorISK_EESO_EEENSM_IJSG_SG_EEES6_PlJS6_EEE10hipError_tPvRmT3_T4_T5_T6_T7_T9_mT8_P12ihipStream_tbDpT10_ENKUlT_T0_E_clISt17integral_constantIbLb0EES1B_EEDaS16_S17_EUlS16_E_NS1_11comp_targetILNS1_3genE4ELNS1_11target_archE910ELNS1_3gpuE8ELNS1_3repE0EEENS1_30default_config_static_selectorELNS0_4arch9wavefront6targetE1EEEvT1_.kd
    .uniform_work_group_size: 1
    .uses_dynamic_stack: false
    .vgpr_count:     0
    .vgpr_spill_count: 0
    .wavefront_size: 64
  - .agpr_count:     0
    .args:
      - .offset:         0
        .size:           144
        .value_kind:     by_value
    .group_segment_fixed_size: 0
    .kernarg_segment_align: 8
    .kernarg_segment_size: 144
    .language:       OpenCL C
    .language_version:
      - 2
      - 0
    .max_flat_workgroup_size: 256
    .name:           _ZN7rocprim17ROCPRIM_400000_NS6detail17trampoline_kernelINS0_14default_configENS1_25partition_config_selectorILNS1_17partition_subalgoE1EiNS0_10empty_typeEbEEZZNS1_14partition_implILS5_1ELb0ES3_jN6thrust23THRUST_200600_302600_NS6detail15normal_iteratorINSA_10device_ptrIiEEEEPS6_NSA_18transform_iteratorI7is_evenIiESF_NSA_11use_defaultESK_EENS0_5tupleIJNSA_16discard_iteratorISK_EESO_EEENSM_IJSG_SG_EEES6_PlJS6_EEE10hipError_tPvRmT3_T4_T5_T6_T7_T9_mT8_P12ihipStream_tbDpT10_ENKUlT_T0_E_clISt17integral_constantIbLb0EES1B_EEDaS16_S17_EUlS16_E_NS1_11comp_targetILNS1_3genE3ELNS1_11target_archE908ELNS1_3gpuE7ELNS1_3repE0EEENS1_30default_config_static_selectorELNS0_4arch9wavefront6targetE1EEEvT1_
    .private_segment_fixed_size: 0
    .sgpr_count:     6
    .sgpr_spill_count: 0
    .symbol:         _ZN7rocprim17ROCPRIM_400000_NS6detail17trampoline_kernelINS0_14default_configENS1_25partition_config_selectorILNS1_17partition_subalgoE1EiNS0_10empty_typeEbEEZZNS1_14partition_implILS5_1ELb0ES3_jN6thrust23THRUST_200600_302600_NS6detail15normal_iteratorINSA_10device_ptrIiEEEEPS6_NSA_18transform_iteratorI7is_evenIiESF_NSA_11use_defaultESK_EENS0_5tupleIJNSA_16discard_iteratorISK_EESO_EEENSM_IJSG_SG_EEES6_PlJS6_EEE10hipError_tPvRmT3_T4_T5_T6_T7_T9_mT8_P12ihipStream_tbDpT10_ENKUlT_T0_E_clISt17integral_constantIbLb0EES1B_EEDaS16_S17_EUlS16_E_NS1_11comp_targetILNS1_3genE3ELNS1_11target_archE908ELNS1_3gpuE7ELNS1_3repE0EEENS1_30default_config_static_selectorELNS0_4arch9wavefront6targetE1EEEvT1_.kd
    .uniform_work_group_size: 1
    .uses_dynamic_stack: false
    .vgpr_count:     0
    .vgpr_spill_count: 0
    .wavefront_size: 64
  - .agpr_count:     0
    .args:
      - .offset:         0
        .size:           144
        .value_kind:     by_value
    .group_segment_fixed_size: 0
    .kernarg_segment_align: 8
    .kernarg_segment_size: 144
    .language:       OpenCL C
    .language_version:
      - 2
      - 0
    .max_flat_workgroup_size: 256
    .name:           _ZN7rocprim17ROCPRIM_400000_NS6detail17trampoline_kernelINS0_14default_configENS1_25partition_config_selectorILNS1_17partition_subalgoE1EiNS0_10empty_typeEbEEZZNS1_14partition_implILS5_1ELb0ES3_jN6thrust23THRUST_200600_302600_NS6detail15normal_iteratorINSA_10device_ptrIiEEEEPS6_NSA_18transform_iteratorI7is_evenIiESF_NSA_11use_defaultESK_EENS0_5tupleIJNSA_16discard_iteratorISK_EESO_EEENSM_IJSG_SG_EEES6_PlJS6_EEE10hipError_tPvRmT3_T4_T5_T6_T7_T9_mT8_P12ihipStream_tbDpT10_ENKUlT_T0_E_clISt17integral_constantIbLb0EES1B_EEDaS16_S17_EUlS16_E_NS1_11comp_targetILNS1_3genE2ELNS1_11target_archE906ELNS1_3gpuE6ELNS1_3repE0EEENS1_30default_config_static_selectorELNS0_4arch9wavefront6targetE1EEEvT1_
    .private_segment_fixed_size: 0
    .sgpr_count:     6
    .sgpr_spill_count: 0
    .symbol:         _ZN7rocprim17ROCPRIM_400000_NS6detail17trampoline_kernelINS0_14default_configENS1_25partition_config_selectorILNS1_17partition_subalgoE1EiNS0_10empty_typeEbEEZZNS1_14partition_implILS5_1ELb0ES3_jN6thrust23THRUST_200600_302600_NS6detail15normal_iteratorINSA_10device_ptrIiEEEEPS6_NSA_18transform_iteratorI7is_evenIiESF_NSA_11use_defaultESK_EENS0_5tupleIJNSA_16discard_iteratorISK_EESO_EEENSM_IJSG_SG_EEES6_PlJS6_EEE10hipError_tPvRmT3_T4_T5_T6_T7_T9_mT8_P12ihipStream_tbDpT10_ENKUlT_T0_E_clISt17integral_constantIbLb0EES1B_EEDaS16_S17_EUlS16_E_NS1_11comp_targetILNS1_3genE2ELNS1_11target_archE906ELNS1_3gpuE6ELNS1_3repE0EEENS1_30default_config_static_selectorELNS0_4arch9wavefront6targetE1EEEvT1_.kd
    .uniform_work_group_size: 1
    .uses_dynamic_stack: false
    .vgpr_count:     0
    .vgpr_spill_count: 0
    .wavefront_size: 64
  - .agpr_count:     0
    .args:
      - .offset:         0
        .size:           144
        .value_kind:     by_value
    .group_segment_fixed_size: 0
    .kernarg_segment_align: 8
    .kernarg_segment_size: 144
    .language:       OpenCL C
    .language_version:
      - 2
      - 0
    .max_flat_workgroup_size: 256
    .name:           _ZN7rocprim17ROCPRIM_400000_NS6detail17trampoline_kernelINS0_14default_configENS1_25partition_config_selectorILNS1_17partition_subalgoE1EiNS0_10empty_typeEbEEZZNS1_14partition_implILS5_1ELb0ES3_jN6thrust23THRUST_200600_302600_NS6detail15normal_iteratorINSA_10device_ptrIiEEEEPS6_NSA_18transform_iteratorI7is_evenIiESF_NSA_11use_defaultESK_EENS0_5tupleIJNSA_16discard_iteratorISK_EESO_EEENSM_IJSG_SG_EEES6_PlJS6_EEE10hipError_tPvRmT3_T4_T5_T6_T7_T9_mT8_P12ihipStream_tbDpT10_ENKUlT_T0_E_clISt17integral_constantIbLb0EES1B_EEDaS16_S17_EUlS16_E_NS1_11comp_targetILNS1_3genE10ELNS1_11target_archE1200ELNS1_3gpuE4ELNS1_3repE0EEENS1_30default_config_static_selectorELNS0_4arch9wavefront6targetE1EEEvT1_
    .private_segment_fixed_size: 0
    .sgpr_count:     6
    .sgpr_spill_count: 0
    .symbol:         _ZN7rocprim17ROCPRIM_400000_NS6detail17trampoline_kernelINS0_14default_configENS1_25partition_config_selectorILNS1_17partition_subalgoE1EiNS0_10empty_typeEbEEZZNS1_14partition_implILS5_1ELb0ES3_jN6thrust23THRUST_200600_302600_NS6detail15normal_iteratorINSA_10device_ptrIiEEEEPS6_NSA_18transform_iteratorI7is_evenIiESF_NSA_11use_defaultESK_EENS0_5tupleIJNSA_16discard_iteratorISK_EESO_EEENSM_IJSG_SG_EEES6_PlJS6_EEE10hipError_tPvRmT3_T4_T5_T6_T7_T9_mT8_P12ihipStream_tbDpT10_ENKUlT_T0_E_clISt17integral_constantIbLb0EES1B_EEDaS16_S17_EUlS16_E_NS1_11comp_targetILNS1_3genE10ELNS1_11target_archE1200ELNS1_3gpuE4ELNS1_3repE0EEENS1_30default_config_static_selectorELNS0_4arch9wavefront6targetE1EEEvT1_.kd
    .uniform_work_group_size: 1
    .uses_dynamic_stack: false
    .vgpr_count:     0
    .vgpr_spill_count: 0
    .wavefront_size: 64
  - .agpr_count:     0
    .args:
      - .offset:         0
        .size:           144
        .value_kind:     by_value
    .group_segment_fixed_size: 0
    .kernarg_segment_align: 8
    .kernarg_segment_size: 144
    .language:       OpenCL C
    .language_version:
      - 2
      - 0
    .max_flat_workgroup_size: 128
    .name:           _ZN7rocprim17ROCPRIM_400000_NS6detail17trampoline_kernelINS0_14default_configENS1_25partition_config_selectorILNS1_17partition_subalgoE1EiNS0_10empty_typeEbEEZZNS1_14partition_implILS5_1ELb0ES3_jN6thrust23THRUST_200600_302600_NS6detail15normal_iteratorINSA_10device_ptrIiEEEEPS6_NSA_18transform_iteratorI7is_evenIiESF_NSA_11use_defaultESK_EENS0_5tupleIJNSA_16discard_iteratorISK_EESO_EEENSM_IJSG_SG_EEES6_PlJS6_EEE10hipError_tPvRmT3_T4_T5_T6_T7_T9_mT8_P12ihipStream_tbDpT10_ENKUlT_T0_E_clISt17integral_constantIbLb0EES1B_EEDaS16_S17_EUlS16_E_NS1_11comp_targetILNS1_3genE9ELNS1_11target_archE1100ELNS1_3gpuE3ELNS1_3repE0EEENS1_30default_config_static_selectorELNS0_4arch9wavefront6targetE1EEEvT1_
    .private_segment_fixed_size: 0
    .sgpr_count:     6
    .sgpr_spill_count: 0
    .symbol:         _ZN7rocprim17ROCPRIM_400000_NS6detail17trampoline_kernelINS0_14default_configENS1_25partition_config_selectorILNS1_17partition_subalgoE1EiNS0_10empty_typeEbEEZZNS1_14partition_implILS5_1ELb0ES3_jN6thrust23THRUST_200600_302600_NS6detail15normal_iteratorINSA_10device_ptrIiEEEEPS6_NSA_18transform_iteratorI7is_evenIiESF_NSA_11use_defaultESK_EENS0_5tupleIJNSA_16discard_iteratorISK_EESO_EEENSM_IJSG_SG_EEES6_PlJS6_EEE10hipError_tPvRmT3_T4_T5_T6_T7_T9_mT8_P12ihipStream_tbDpT10_ENKUlT_T0_E_clISt17integral_constantIbLb0EES1B_EEDaS16_S17_EUlS16_E_NS1_11comp_targetILNS1_3genE9ELNS1_11target_archE1100ELNS1_3gpuE3ELNS1_3repE0EEENS1_30default_config_static_selectorELNS0_4arch9wavefront6targetE1EEEvT1_.kd
    .uniform_work_group_size: 1
    .uses_dynamic_stack: false
    .vgpr_count:     0
    .vgpr_spill_count: 0
    .wavefront_size: 64
  - .agpr_count:     0
    .args:
      - .offset:         0
        .size:           144
        .value_kind:     by_value
    .group_segment_fixed_size: 0
    .kernarg_segment_align: 8
    .kernarg_segment_size: 144
    .language:       OpenCL C
    .language_version:
      - 2
      - 0
    .max_flat_workgroup_size: 512
    .name:           _ZN7rocprim17ROCPRIM_400000_NS6detail17trampoline_kernelINS0_14default_configENS1_25partition_config_selectorILNS1_17partition_subalgoE1EiNS0_10empty_typeEbEEZZNS1_14partition_implILS5_1ELb0ES3_jN6thrust23THRUST_200600_302600_NS6detail15normal_iteratorINSA_10device_ptrIiEEEEPS6_NSA_18transform_iteratorI7is_evenIiESF_NSA_11use_defaultESK_EENS0_5tupleIJNSA_16discard_iteratorISK_EESO_EEENSM_IJSG_SG_EEES6_PlJS6_EEE10hipError_tPvRmT3_T4_T5_T6_T7_T9_mT8_P12ihipStream_tbDpT10_ENKUlT_T0_E_clISt17integral_constantIbLb0EES1B_EEDaS16_S17_EUlS16_E_NS1_11comp_targetILNS1_3genE8ELNS1_11target_archE1030ELNS1_3gpuE2ELNS1_3repE0EEENS1_30default_config_static_selectorELNS0_4arch9wavefront6targetE1EEEvT1_
    .private_segment_fixed_size: 0
    .sgpr_count:     6
    .sgpr_spill_count: 0
    .symbol:         _ZN7rocprim17ROCPRIM_400000_NS6detail17trampoline_kernelINS0_14default_configENS1_25partition_config_selectorILNS1_17partition_subalgoE1EiNS0_10empty_typeEbEEZZNS1_14partition_implILS5_1ELb0ES3_jN6thrust23THRUST_200600_302600_NS6detail15normal_iteratorINSA_10device_ptrIiEEEEPS6_NSA_18transform_iteratorI7is_evenIiESF_NSA_11use_defaultESK_EENS0_5tupleIJNSA_16discard_iteratorISK_EESO_EEENSM_IJSG_SG_EEES6_PlJS6_EEE10hipError_tPvRmT3_T4_T5_T6_T7_T9_mT8_P12ihipStream_tbDpT10_ENKUlT_T0_E_clISt17integral_constantIbLb0EES1B_EEDaS16_S17_EUlS16_E_NS1_11comp_targetILNS1_3genE8ELNS1_11target_archE1030ELNS1_3gpuE2ELNS1_3repE0EEENS1_30default_config_static_selectorELNS0_4arch9wavefront6targetE1EEEvT1_.kd
    .uniform_work_group_size: 1
    .uses_dynamic_stack: false
    .vgpr_count:     0
    .vgpr_spill_count: 0
    .wavefront_size: 64
  - .agpr_count:     0
    .args:
      - .offset:         0
        .size:           160
        .value_kind:     by_value
    .group_segment_fixed_size: 0
    .kernarg_segment_align: 8
    .kernarg_segment_size: 160
    .language:       OpenCL C
    .language_version:
      - 2
      - 0
    .max_flat_workgroup_size: 256
    .name:           _ZN7rocprim17ROCPRIM_400000_NS6detail17trampoline_kernelINS0_14default_configENS1_25partition_config_selectorILNS1_17partition_subalgoE1EiNS0_10empty_typeEbEEZZNS1_14partition_implILS5_1ELb0ES3_jN6thrust23THRUST_200600_302600_NS6detail15normal_iteratorINSA_10device_ptrIiEEEEPS6_NSA_18transform_iteratorI7is_evenIiESF_NSA_11use_defaultESK_EENS0_5tupleIJNSA_16discard_iteratorISK_EESO_EEENSM_IJSG_SG_EEES6_PlJS6_EEE10hipError_tPvRmT3_T4_T5_T6_T7_T9_mT8_P12ihipStream_tbDpT10_ENKUlT_T0_E_clISt17integral_constantIbLb1EES1B_EEDaS16_S17_EUlS16_E_NS1_11comp_targetILNS1_3genE0ELNS1_11target_archE4294967295ELNS1_3gpuE0ELNS1_3repE0EEENS1_30default_config_static_selectorELNS0_4arch9wavefront6targetE1EEEvT1_
    .private_segment_fixed_size: 0
    .sgpr_count:     6
    .sgpr_spill_count: 0
    .symbol:         _ZN7rocprim17ROCPRIM_400000_NS6detail17trampoline_kernelINS0_14default_configENS1_25partition_config_selectorILNS1_17partition_subalgoE1EiNS0_10empty_typeEbEEZZNS1_14partition_implILS5_1ELb0ES3_jN6thrust23THRUST_200600_302600_NS6detail15normal_iteratorINSA_10device_ptrIiEEEEPS6_NSA_18transform_iteratorI7is_evenIiESF_NSA_11use_defaultESK_EENS0_5tupleIJNSA_16discard_iteratorISK_EESO_EEENSM_IJSG_SG_EEES6_PlJS6_EEE10hipError_tPvRmT3_T4_T5_T6_T7_T9_mT8_P12ihipStream_tbDpT10_ENKUlT_T0_E_clISt17integral_constantIbLb1EES1B_EEDaS16_S17_EUlS16_E_NS1_11comp_targetILNS1_3genE0ELNS1_11target_archE4294967295ELNS1_3gpuE0ELNS1_3repE0EEENS1_30default_config_static_selectorELNS0_4arch9wavefront6targetE1EEEvT1_.kd
    .uniform_work_group_size: 1
    .uses_dynamic_stack: false
    .vgpr_count:     0
    .vgpr_spill_count: 0
    .wavefront_size: 64
  - .agpr_count:     0
    .args:
      - .offset:         0
        .size:           160
        .value_kind:     by_value
    .group_segment_fixed_size: 30728
    .kernarg_segment_align: 8
    .kernarg_segment_size: 160
    .language:       OpenCL C
    .language_version:
      - 2
      - 0
    .max_flat_workgroup_size: 512
    .name:           _ZN7rocprim17ROCPRIM_400000_NS6detail17trampoline_kernelINS0_14default_configENS1_25partition_config_selectorILNS1_17partition_subalgoE1EiNS0_10empty_typeEbEEZZNS1_14partition_implILS5_1ELb0ES3_jN6thrust23THRUST_200600_302600_NS6detail15normal_iteratorINSA_10device_ptrIiEEEEPS6_NSA_18transform_iteratorI7is_evenIiESF_NSA_11use_defaultESK_EENS0_5tupleIJNSA_16discard_iteratorISK_EESO_EEENSM_IJSG_SG_EEES6_PlJS6_EEE10hipError_tPvRmT3_T4_T5_T6_T7_T9_mT8_P12ihipStream_tbDpT10_ENKUlT_T0_E_clISt17integral_constantIbLb1EES1B_EEDaS16_S17_EUlS16_E_NS1_11comp_targetILNS1_3genE5ELNS1_11target_archE942ELNS1_3gpuE9ELNS1_3repE0EEENS1_30default_config_static_selectorELNS0_4arch9wavefront6targetE1EEEvT1_
    .private_segment_fixed_size: 0
    .sgpr_count:     42
    .sgpr_spill_count: 0
    .symbol:         _ZN7rocprim17ROCPRIM_400000_NS6detail17trampoline_kernelINS0_14default_configENS1_25partition_config_selectorILNS1_17partition_subalgoE1EiNS0_10empty_typeEbEEZZNS1_14partition_implILS5_1ELb0ES3_jN6thrust23THRUST_200600_302600_NS6detail15normal_iteratorINSA_10device_ptrIiEEEEPS6_NSA_18transform_iteratorI7is_evenIiESF_NSA_11use_defaultESK_EENS0_5tupleIJNSA_16discard_iteratorISK_EESO_EEENSM_IJSG_SG_EEES6_PlJS6_EEE10hipError_tPvRmT3_T4_T5_T6_T7_T9_mT8_P12ihipStream_tbDpT10_ENKUlT_T0_E_clISt17integral_constantIbLb1EES1B_EEDaS16_S17_EUlS16_E_NS1_11comp_targetILNS1_3genE5ELNS1_11target_archE942ELNS1_3gpuE9ELNS1_3repE0EEENS1_30default_config_static_selectorELNS0_4arch9wavefront6targetE1EEEvT1_.kd
    .uniform_work_group_size: 1
    .uses_dynamic_stack: false
    .vgpr_count:     66
    .vgpr_spill_count: 0
    .wavefront_size: 64
  - .agpr_count:     0
    .args:
      - .offset:         0
        .size:           160
        .value_kind:     by_value
    .group_segment_fixed_size: 0
    .kernarg_segment_align: 8
    .kernarg_segment_size: 160
    .language:       OpenCL C
    .language_version:
      - 2
      - 0
    .max_flat_workgroup_size: 256
    .name:           _ZN7rocprim17ROCPRIM_400000_NS6detail17trampoline_kernelINS0_14default_configENS1_25partition_config_selectorILNS1_17partition_subalgoE1EiNS0_10empty_typeEbEEZZNS1_14partition_implILS5_1ELb0ES3_jN6thrust23THRUST_200600_302600_NS6detail15normal_iteratorINSA_10device_ptrIiEEEEPS6_NSA_18transform_iteratorI7is_evenIiESF_NSA_11use_defaultESK_EENS0_5tupleIJNSA_16discard_iteratorISK_EESO_EEENSM_IJSG_SG_EEES6_PlJS6_EEE10hipError_tPvRmT3_T4_T5_T6_T7_T9_mT8_P12ihipStream_tbDpT10_ENKUlT_T0_E_clISt17integral_constantIbLb1EES1B_EEDaS16_S17_EUlS16_E_NS1_11comp_targetILNS1_3genE4ELNS1_11target_archE910ELNS1_3gpuE8ELNS1_3repE0EEENS1_30default_config_static_selectorELNS0_4arch9wavefront6targetE1EEEvT1_
    .private_segment_fixed_size: 0
    .sgpr_count:     6
    .sgpr_spill_count: 0
    .symbol:         _ZN7rocprim17ROCPRIM_400000_NS6detail17trampoline_kernelINS0_14default_configENS1_25partition_config_selectorILNS1_17partition_subalgoE1EiNS0_10empty_typeEbEEZZNS1_14partition_implILS5_1ELb0ES3_jN6thrust23THRUST_200600_302600_NS6detail15normal_iteratorINSA_10device_ptrIiEEEEPS6_NSA_18transform_iteratorI7is_evenIiESF_NSA_11use_defaultESK_EENS0_5tupleIJNSA_16discard_iteratorISK_EESO_EEENSM_IJSG_SG_EEES6_PlJS6_EEE10hipError_tPvRmT3_T4_T5_T6_T7_T9_mT8_P12ihipStream_tbDpT10_ENKUlT_T0_E_clISt17integral_constantIbLb1EES1B_EEDaS16_S17_EUlS16_E_NS1_11comp_targetILNS1_3genE4ELNS1_11target_archE910ELNS1_3gpuE8ELNS1_3repE0EEENS1_30default_config_static_selectorELNS0_4arch9wavefront6targetE1EEEvT1_.kd
    .uniform_work_group_size: 1
    .uses_dynamic_stack: false
    .vgpr_count:     0
    .vgpr_spill_count: 0
    .wavefront_size: 64
  - .agpr_count:     0
    .args:
      - .offset:         0
        .size:           160
        .value_kind:     by_value
    .group_segment_fixed_size: 0
    .kernarg_segment_align: 8
    .kernarg_segment_size: 160
    .language:       OpenCL C
    .language_version:
      - 2
      - 0
    .max_flat_workgroup_size: 256
    .name:           _ZN7rocprim17ROCPRIM_400000_NS6detail17trampoline_kernelINS0_14default_configENS1_25partition_config_selectorILNS1_17partition_subalgoE1EiNS0_10empty_typeEbEEZZNS1_14partition_implILS5_1ELb0ES3_jN6thrust23THRUST_200600_302600_NS6detail15normal_iteratorINSA_10device_ptrIiEEEEPS6_NSA_18transform_iteratorI7is_evenIiESF_NSA_11use_defaultESK_EENS0_5tupleIJNSA_16discard_iteratorISK_EESO_EEENSM_IJSG_SG_EEES6_PlJS6_EEE10hipError_tPvRmT3_T4_T5_T6_T7_T9_mT8_P12ihipStream_tbDpT10_ENKUlT_T0_E_clISt17integral_constantIbLb1EES1B_EEDaS16_S17_EUlS16_E_NS1_11comp_targetILNS1_3genE3ELNS1_11target_archE908ELNS1_3gpuE7ELNS1_3repE0EEENS1_30default_config_static_selectorELNS0_4arch9wavefront6targetE1EEEvT1_
    .private_segment_fixed_size: 0
    .sgpr_count:     6
    .sgpr_spill_count: 0
    .symbol:         _ZN7rocprim17ROCPRIM_400000_NS6detail17trampoline_kernelINS0_14default_configENS1_25partition_config_selectorILNS1_17partition_subalgoE1EiNS0_10empty_typeEbEEZZNS1_14partition_implILS5_1ELb0ES3_jN6thrust23THRUST_200600_302600_NS6detail15normal_iteratorINSA_10device_ptrIiEEEEPS6_NSA_18transform_iteratorI7is_evenIiESF_NSA_11use_defaultESK_EENS0_5tupleIJNSA_16discard_iteratorISK_EESO_EEENSM_IJSG_SG_EEES6_PlJS6_EEE10hipError_tPvRmT3_T4_T5_T6_T7_T9_mT8_P12ihipStream_tbDpT10_ENKUlT_T0_E_clISt17integral_constantIbLb1EES1B_EEDaS16_S17_EUlS16_E_NS1_11comp_targetILNS1_3genE3ELNS1_11target_archE908ELNS1_3gpuE7ELNS1_3repE0EEENS1_30default_config_static_selectorELNS0_4arch9wavefront6targetE1EEEvT1_.kd
    .uniform_work_group_size: 1
    .uses_dynamic_stack: false
    .vgpr_count:     0
    .vgpr_spill_count: 0
    .wavefront_size: 64
  - .agpr_count:     0
    .args:
      - .offset:         0
        .size:           160
        .value_kind:     by_value
    .group_segment_fixed_size: 0
    .kernarg_segment_align: 8
    .kernarg_segment_size: 160
    .language:       OpenCL C
    .language_version:
      - 2
      - 0
    .max_flat_workgroup_size: 256
    .name:           _ZN7rocprim17ROCPRIM_400000_NS6detail17trampoline_kernelINS0_14default_configENS1_25partition_config_selectorILNS1_17partition_subalgoE1EiNS0_10empty_typeEbEEZZNS1_14partition_implILS5_1ELb0ES3_jN6thrust23THRUST_200600_302600_NS6detail15normal_iteratorINSA_10device_ptrIiEEEEPS6_NSA_18transform_iteratorI7is_evenIiESF_NSA_11use_defaultESK_EENS0_5tupleIJNSA_16discard_iteratorISK_EESO_EEENSM_IJSG_SG_EEES6_PlJS6_EEE10hipError_tPvRmT3_T4_T5_T6_T7_T9_mT8_P12ihipStream_tbDpT10_ENKUlT_T0_E_clISt17integral_constantIbLb1EES1B_EEDaS16_S17_EUlS16_E_NS1_11comp_targetILNS1_3genE2ELNS1_11target_archE906ELNS1_3gpuE6ELNS1_3repE0EEENS1_30default_config_static_selectorELNS0_4arch9wavefront6targetE1EEEvT1_
    .private_segment_fixed_size: 0
    .sgpr_count:     6
    .sgpr_spill_count: 0
    .symbol:         _ZN7rocprim17ROCPRIM_400000_NS6detail17trampoline_kernelINS0_14default_configENS1_25partition_config_selectorILNS1_17partition_subalgoE1EiNS0_10empty_typeEbEEZZNS1_14partition_implILS5_1ELb0ES3_jN6thrust23THRUST_200600_302600_NS6detail15normal_iteratorINSA_10device_ptrIiEEEEPS6_NSA_18transform_iteratorI7is_evenIiESF_NSA_11use_defaultESK_EENS0_5tupleIJNSA_16discard_iteratorISK_EESO_EEENSM_IJSG_SG_EEES6_PlJS6_EEE10hipError_tPvRmT3_T4_T5_T6_T7_T9_mT8_P12ihipStream_tbDpT10_ENKUlT_T0_E_clISt17integral_constantIbLb1EES1B_EEDaS16_S17_EUlS16_E_NS1_11comp_targetILNS1_3genE2ELNS1_11target_archE906ELNS1_3gpuE6ELNS1_3repE0EEENS1_30default_config_static_selectorELNS0_4arch9wavefront6targetE1EEEvT1_.kd
    .uniform_work_group_size: 1
    .uses_dynamic_stack: false
    .vgpr_count:     0
    .vgpr_spill_count: 0
    .wavefront_size: 64
  - .agpr_count:     0
    .args:
      - .offset:         0
        .size:           160
        .value_kind:     by_value
    .group_segment_fixed_size: 0
    .kernarg_segment_align: 8
    .kernarg_segment_size: 160
    .language:       OpenCL C
    .language_version:
      - 2
      - 0
    .max_flat_workgroup_size: 256
    .name:           _ZN7rocprim17ROCPRIM_400000_NS6detail17trampoline_kernelINS0_14default_configENS1_25partition_config_selectorILNS1_17partition_subalgoE1EiNS0_10empty_typeEbEEZZNS1_14partition_implILS5_1ELb0ES3_jN6thrust23THRUST_200600_302600_NS6detail15normal_iteratorINSA_10device_ptrIiEEEEPS6_NSA_18transform_iteratorI7is_evenIiESF_NSA_11use_defaultESK_EENS0_5tupleIJNSA_16discard_iteratorISK_EESO_EEENSM_IJSG_SG_EEES6_PlJS6_EEE10hipError_tPvRmT3_T4_T5_T6_T7_T9_mT8_P12ihipStream_tbDpT10_ENKUlT_T0_E_clISt17integral_constantIbLb1EES1B_EEDaS16_S17_EUlS16_E_NS1_11comp_targetILNS1_3genE10ELNS1_11target_archE1200ELNS1_3gpuE4ELNS1_3repE0EEENS1_30default_config_static_selectorELNS0_4arch9wavefront6targetE1EEEvT1_
    .private_segment_fixed_size: 0
    .sgpr_count:     6
    .sgpr_spill_count: 0
    .symbol:         _ZN7rocprim17ROCPRIM_400000_NS6detail17trampoline_kernelINS0_14default_configENS1_25partition_config_selectorILNS1_17partition_subalgoE1EiNS0_10empty_typeEbEEZZNS1_14partition_implILS5_1ELb0ES3_jN6thrust23THRUST_200600_302600_NS6detail15normal_iteratorINSA_10device_ptrIiEEEEPS6_NSA_18transform_iteratorI7is_evenIiESF_NSA_11use_defaultESK_EENS0_5tupleIJNSA_16discard_iteratorISK_EESO_EEENSM_IJSG_SG_EEES6_PlJS6_EEE10hipError_tPvRmT3_T4_T5_T6_T7_T9_mT8_P12ihipStream_tbDpT10_ENKUlT_T0_E_clISt17integral_constantIbLb1EES1B_EEDaS16_S17_EUlS16_E_NS1_11comp_targetILNS1_3genE10ELNS1_11target_archE1200ELNS1_3gpuE4ELNS1_3repE0EEENS1_30default_config_static_selectorELNS0_4arch9wavefront6targetE1EEEvT1_.kd
    .uniform_work_group_size: 1
    .uses_dynamic_stack: false
    .vgpr_count:     0
    .vgpr_spill_count: 0
    .wavefront_size: 64
  - .agpr_count:     0
    .args:
      - .offset:         0
        .size:           160
        .value_kind:     by_value
    .group_segment_fixed_size: 0
    .kernarg_segment_align: 8
    .kernarg_segment_size: 160
    .language:       OpenCL C
    .language_version:
      - 2
      - 0
    .max_flat_workgroup_size: 128
    .name:           _ZN7rocprim17ROCPRIM_400000_NS6detail17trampoline_kernelINS0_14default_configENS1_25partition_config_selectorILNS1_17partition_subalgoE1EiNS0_10empty_typeEbEEZZNS1_14partition_implILS5_1ELb0ES3_jN6thrust23THRUST_200600_302600_NS6detail15normal_iteratorINSA_10device_ptrIiEEEEPS6_NSA_18transform_iteratorI7is_evenIiESF_NSA_11use_defaultESK_EENS0_5tupleIJNSA_16discard_iteratorISK_EESO_EEENSM_IJSG_SG_EEES6_PlJS6_EEE10hipError_tPvRmT3_T4_T5_T6_T7_T9_mT8_P12ihipStream_tbDpT10_ENKUlT_T0_E_clISt17integral_constantIbLb1EES1B_EEDaS16_S17_EUlS16_E_NS1_11comp_targetILNS1_3genE9ELNS1_11target_archE1100ELNS1_3gpuE3ELNS1_3repE0EEENS1_30default_config_static_selectorELNS0_4arch9wavefront6targetE1EEEvT1_
    .private_segment_fixed_size: 0
    .sgpr_count:     6
    .sgpr_spill_count: 0
    .symbol:         _ZN7rocprim17ROCPRIM_400000_NS6detail17trampoline_kernelINS0_14default_configENS1_25partition_config_selectorILNS1_17partition_subalgoE1EiNS0_10empty_typeEbEEZZNS1_14partition_implILS5_1ELb0ES3_jN6thrust23THRUST_200600_302600_NS6detail15normal_iteratorINSA_10device_ptrIiEEEEPS6_NSA_18transform_iteratorI7is_evenIiESF_NSA_11use_defaultESK_EENS0_5tupleIJNSA_16discard_iteratorISK_EESO_EEENSM_IJSG_SG_EEES6_PlJS6_EEE10hipError_tPvRmT3_T4_T5_T6_T7_T9_mT8_P12ihipStream_tbDpT10_ENKUlT_T0_E_clISt17integral_constantIbLb1EES1B_EEDaS16_S17_EUlS16_E_NS1_11comp_targetILNS1_3genE9ELNS1_11target_archE1100ELNS1_3gpuE3ELNS1_3repE0EEENS1_30default_config_static_selectorELNS0_4arch9wavefront6targetE1EEEvT1_.kd
    .uniform_work_group_size: 1
    .uses_dynamic_stack: false
    .vgpr_count:     0
    .vgpr_spill_count: 0
    .wavefront_size: 64
  - .agpr_count:     0
    .args:
      - .offset:         0
        .size:           160
        .value_kind:     by_value
    .group_segment_fixed_size: 0
    .kernarg_segment_align: 8
    .kernarg_segment_size: 160
    .language:       OpenCL C
    .language_version:
      - 2
      - 0
    .max_flat_workgroup_size: 512
    .name:           _ZN7rocprim17ROCPRIM_400000_NS6detail17trampoline_kernelINS0_14default_configENS1_25partition_config_selectorILNS1_17partition_subalgoE1EiNS0_10empty_typeEbEEZZNS1_14partition_implILS5_1ELb0ES3_jN6thrust23THRUST_200600_302600_NS6detail15normal_iteratorINSA_10device_ptrIiEEEEPS6_NSA_18transform_iteratorI7is_evenIiESF_NSA_11use_defaultESK_EENS0_5tupleIJNSA_16discard_iteratorISK_EESO_EEENSM_IJSG_SG_EEES6_PlJS6_EEE10hipError_tPvRmT3_T4_T5_T6_T7_T9_mT8_P12ihipStream_tbDpT10_ENKUlT_T0_E_clISt17integral_constantIbLb1EES1B_EEDaS16_S17_EUlS16_E_NS1_11comp_targetILNS1_3genE8ELNS1_11target_archE1030ELNS1_3gpuE2ELNS1_3repE0EEENS1_30default_config_static_selectorELNS0_4arch9wavefront6targetE1EEEvT1_
    .private_segment_fixed_size: 0
    .sgpr_count:     6
    .sgpr_spill_count: 0
    .symbol:         _ZN7rocprim17ROCPRIM_400000_NS6detail17trampoline_kernelINS0_14default_configENS1_25partition_config_selectorILNS1_17partition_subalgoE1EiNS0_10empty_typeEbEEZZNS1_14partition_implILS5_1ELb0ES3_jN6thrust23THRUST_200600_302600_NS6detail15normal_iteratorINSA_10device_ptrIiEEEEPS6_NSA_18transform_iteratorI7is_evenIiESF_NSA_11use_defaultESK_EENS0_5tupleIJNSA_16discard_iteratorISK_EESO_EEENSM_IJSG_SG_EEES6_PlJS6_EEE10hipError_tPvRmT3_T4_T5_T6_T7_T9_mT8_P12ihipStream_tbDpT10_ENKUlT_T0_E_clISt17integral_constantIbLb1EES1B_EEDaS16_S17_EUlS16_E_NS1_11comp_targetILNS1_3genE8ELNS1_11target_archE1030ELNS1_3gpuE2ELNS1_3repE0EEENS1_30default_config_static_selectorELNS0_4arch9wavefront6targetE1EEEvT1_.kd
    .uniform_work_group_size: 1
    .uses_dynamic_stack: false
    .vgpr_count:     0
    .vgpr_spill_count: 0
    .wavefront_size: 64
  - .agpr_count:     0
    .args:
      - .offset:         0
        .size:           144
        .value_kind:     by_value
    .group_segment_fixed_size: 0
    .kernarg_segment_align: 8
    .kernarg_segment_size: 144
    .language:       OpenCL C
    .language_version:
      - 2
      - 0
    .max_flat_workgroup_size: 256
    .name:           _ZN7rocprim17ROCPRIM_400000_NS6detail17trampoline_kernelINS0_14default_configENS1_25partition_config_selectorILNS1_17partition_subalgoE1EiNS0_10empty_typeEbEEZZNS1_14partition_implILS5_1ELb0ES3_jN6thrust23THRUST_200600_302600_NS6detail15normal_iteratorINSA_10device_ptrIiEEEEPS6_NSA_18transform_iteratorI7is_evenIiESF_NSA_11use_defaultESK_EENS0_5tupleIJNSA_16discard_iteratorISK_EESO_EEENSM_IJSG_SG_EEES6_PlJS6_EEE10hipError_tPvRmT3_T4_T5_T6_T7_T9_mT8_P12ihipStream_tbDpT10_ENKUlT_T0_E_clISt17integral_constantIbLb1EES1A_IbLb0EEEEDaS16_S17_EUlS16_E_NS1_11comp_targetILNS1_3genE0ELNS1_11target_archE4294967295ELNS1_3gpuE0ELNS1_3repE0EEENS1_30default_config_static_selectorELNS0_4arch9wavefront6targetE1EEEvT1_
    .private_segment_fixed_size: 0
    .sgpr_count:     6
    .sgpr_spill_count: 0
    .symbol:         _ZN7rocprim17ROCPRIM_400000_NS6detail17trampoline_kernelINS0_14default_configENS1_25partition_config_selectorILNS1_17partition_subalgoE1EiNS0_10empty_typeEbEEZZNS1_14partition_implILS5_1ELb0ES3_jN6thrust23THRUST_200600_302600_NS6detail15normal_iteratorINSA_10device_ptrIiEEEEPS6_NSA_18transform_iteratorI7is_evenIiESF_NSA_11use_defaultESK_EENS0_5tupleIJNSA_16discard_iteratorISK_EESO_EEENSM_IJSG_SG_EEES6_PlJS6_EEE10hipError_tPvRmT3_T4_T5_T6_T7_T9_mT8_P12ihipStream_tbDpT10_ENKUlT_T0_E_clISt17integral_constantIbLb1EES1A_IbLb0EEEEDaS16_S17_EUlS16_E_NS1_11comp_targetILNS1_3genE0ELNS1_11target_archE4294967295ELNS1_3gpuE0ELNS1_3repE0EEENS1_30default_config_static_selectorELNS0_4arch9wavefront6targetE1EEEvT1_.kd
    .uniform_work_group_size: 1
    .uses_dynamic_stack: false
    .vgpr_count:     0
    .vgpr_spill_count: 0
    .wavefront_size: 64
  - .agpr_count:     0
    .args:
      - .offset:         0
        .size:           144
        .value_kind:     by_value
    .group_segment_fixed_size: 30728
    .kernarg_segment_align: 8
    .kernarg_segment_size: 144
    .language:       OpenCL C
    .language_version:
      - 2
      - 0
    .max_flat_workgroup_size: 512
    .name:           _ZN7rocprim17ROCPRIM_400000_NS6detail17trampoline_kernelINS0_14default_configENS1_25partition_config_selectorILNS1_17partition_subalgoE1EiNS0_10empty_typeEbEEZZNS1_14partition_implILS5_1ELb0ES3_jN6thrust23THRUST_200600_302600_NS6detail15normal_iteratorINSA_10device_ptrIiEEEEPS6_NSA_18transform_iteratorI7is_evenIiESF_NSA_11use_defaultESK_EENS0_5tupleIJNSA_16discard_iteratorISK_EESO_EEENSM_IJSG_SG_EEES6_PlJS6_EEE10hipError_tPvRmT3_T4_T5_T6_T7_T9_mT8_P12ihipStream_tbDpT10_ENKUlT_T0_E_clISt17integral_constantIbLb1EES1A_IbLb0EEEEDaS16_S17_EUlS16_E_NS1_11comp_targetILNS1_3genE5ELNS1_11target_archE942ELNS1_3gpuE9ELNS1_3repE0EEENS1_30default_config_static_selectorELNS0_4arch9wavefront6targetE1EEEvT1_
    .private_segment_fixed_size: 0
    .sgpr_count:     42
    .sgpr_spill_count: 0
    .symbol:         _ZN7rocprim17ROCPRIM_400000_NS6detail17trampoline_kernelINS0_14default_configENS1_25partition_config_selectorILNS1_17partition_subalgoE1EiNS0_10empty_typeEbEEZZNS1_14partition_implILS5_1ELb0ES3_jN6thrust23THRUST_200600_302600_NS6detail15normal_iteratorINSA_10device_ptrIiEEEEPS6_NSA_18transform_iteratorI7is_evenIiESF_NSA_11use_defaultESK_EENS0_5tupleIJNSA_16discard_iteratorISK_EESO_EEENSM_IJSG_SG_EEES6_PlJS6_EEE10hipError_tPvRmT3_T4_T5_T6_T7_T9_mT8_P12ihipStream_tbDpT10_ENKUlT_T0_E_clISt17integral_constantIbLb1EES1A_IbLb0EEEEDaS16_S17_EUlS16_E_NS1_11comp_targetILNS1_3genE5ELNS1_11target_archE942ELNS1_3gpuE9ELNS1_3repE0EEENS1_30default_config_static_selectorELNS0_4arch9wavefront6targetE1EEEvT1_.kd
    .uniform_work_group_size: 1
    .uses_dynamic_stack: false
    .vgpr_count:     64
    .vgpr_spill_count: 0
    .wavefront_size: 64
  - .agpr_count:     0
    .args:
      - .offset:         0
        .size:           144
        .value_kind:     by_value
    .group_segment_fixed_size: 0
    .kernarg_segment_align: 8
    .kernarg_segment_size: 144
    .language:       OpenCL C
    .language_version:
      - 2
      - 0
    .max_flat_workgroup_size: 256
    .name:           _ZN7rocprim17ROCPRIM_400000_NS6detail17trampoline_kernelINS0_14default_configENS1_25partition_config_selectorILNS1_17partition_subalgoE1EiNS0_10empty_typeEbEEZZNS1_14partition_implILS5_1ELb0ES3_jN6thrust23THRUST_200600_302600_NS6detail15normal_iteratorINSA_10device_ptrIiEEEEPS6_NSA_18transform_iteratorI7is_evenIiESF_NSA_11use_defaultESK_EENS0_5tupleIJNSA_16discard_iteratorISK_EESO_EEENSM_IJSG_SG_EEES6_PlJS6_EEE10hipError_tPvRmT3_T4_T5_T6_T7_T9_mT8_P12ihipStream_tbDpT10_ENKUlT_T0_E_clISt17integral_constantIbLb1EES1A_IbLb0EEEEDaS16_S17_EUlS16_E_NS1_11comp_targetILNS1_3genE4ELNS1_11target_archE910ELNS1_3gpuE8ELNS1_3repE0EEENS1_30default_config_static_selectorELNS0_4arch9wavefront6targetE1EEEvT1_
    .private_segment_fixed_size: 0
    .sgpr_count:     6
    .sgpr_spill_count: 0
    .symbol:         _ZN7rocprim17ROCPRIM_400000_NS6detail17trampoline_kernelINS0_14default_configENS1_25partition_config_selectorILNS1_17partition_subalgoE1EiNS0_10empty_typeEbEEZZNS1_14partition_implILS5_1ELb0ES3_jN6thrust23THRUST_200600_302600_NS6detail15normal_iteratorINSA_10device_ptrIiEEEEPS6_NSA_18transform_iteratorI7is_evenIiESF_NSA_11use_defaultESK_EENS0_5tupleIJNSA_16discard_iteratorISK_EESO_EEENSM_IJSG_SG_EEES6_PlJS6_EEE10hipError_tPvRmT3_T4_T5_T6_T7_T9_mT8_P12ihipStream_tbDpT10_ENKUlT_T0_E_clISt17integral_constantIbLb1EES1A_IbLb0EEEEDaS16_S17_EUlS16_E_NS1_11comp_targetILNS1_3genE4ELNS1_11target_archE910ELNS1_3gpuE8ELNS1_3repE0EEENS1_30default_config_static_selectorELNS0_4arch9wavefront6targetE1EEEvT1_.kd
    .uniform_work_group_size: 1
    .uses_dynamic_stack: false
    .vgpr_count:     0
    .vgpr_spill_count: 0
    .wavefront_size: 64
  - .agpr_count:     0
    .args:
      - .offset:         0
        .size:           144
        .value_kind:     by_value
    .group_segment_fixed_size: 0
    .kernarg_segment_align: 8
    .kernarg_segment_size: 144
    .language:       OpenCL C
    .language_version:
      - 2
      - 0
    .max_flat_workgroup_size: 256
    .name:           _ZN7rocprim17ROCPRIM_400000_NS6detail17trampoline_kernelINS0_14default_configENS1_25partition_config_selectorILNS1_17partition_subalgoE1EiNS0_10empty_typeEbEEZZNS1_14partition_implILS5_1ELb0ES3_jN6thrust23THRUST_200600_302600_NS6detail15normal_iteratorINSA_10device_ptrIiEEEEPS6_NSA_18transform_iteratorI7is_evenIiESF_NSA_11use_defaultESK_EENS0_5tupleIJNSA_16discard_iteratorISK_EESO_EEENSM_IJSG_SG_EEES6_PlJS6_EEE10hipError_tPvRmT3_T4_T5_T6_T7_T9_mT8_P12ihipStream_tbDpT10_ENKUlT_T0_E_clISt17integral_constantIbLb1EES1A_IbLb0EEEEDaS16_S17_EUlS16_E_NS1_11comp_targetILNS1_3genE3ELNS1_11target_archE908ELNS1_3gpuE7ELNS1_3repE0EEENS1_30default_config_static_selectorELNS0_4arch9wavefront6targetE1EEEvT1_
    .private_segment_fixed_size: 0
    .sgpr_count:     6
    .sgpr_spill_count: 0
    .symbol:         _ZN7rocprim17ROCPRIM_400000_NS6detail17trampoline_kernelINS0_14default_configENS1_25partition_config_selectorILNS1_17partition_subalgoE1EiNS0_10empty_typeEbEEZZNS1_14partition_implILS5_1ELb0ES3_jN6thrust23THRUST_200600_302600_NS6detail15normal_iteratorINSA_10device_ptrIiEEEEPS6_NSA_18transform_iteratorI7is_evenIiESF_NSA_11use_defaultESK_EENS0_5tupleIJNSA_16discard_iteratorISK_EESO_EEENSM_IJSG_SG_EEES6_PlJS6_EEE10hipError_tPvRmT3_T4_T5_T6_T7_T9_mT8_P12ihipStream_tbDpT10_ENKUlT_T0_E_clISt17integral_constantIbLb1EES1A_IbLb0EEEEDaS16_S17_EUlS16_E_NS1_11comp_targetILNS1_3genE3ELNS1_11target_archE908ELNS1_3gpuE7ELNS1_3repE0EEENS1_30default_config_static_selectorELNS0_4arch9wavefront6targetE1EEEvT1_.kd
    .uniform_work_group_size: 1
    .uses_dynamic_stack: false
    .vgpr_count:     0
    .vgpr_spill_count: 0
    .wavefront_size: 64
  - .agpr_count:     0
    .args:
      - .offset:         0
        .size:           144
        .value_kind:     by_value
    .group_segment_fixed_size: 0
    .kernarg_segment_align: 8
    .kernarg_segment_size: 144
    .language:       OpenCL C
    .language_version:
      - 2
      - 0
    .max_flat_workgroup_size: 256
    .name:           _ZN7rocprim17ROCPRIM_400000_NS6detail17trampoline_kernelINS0_14default_configENS1_25partition_config_selectorILNS1_17partition_subalgoE1EiNS0_10empty_typeEbEEZZNS1_14partition_implILS5_1ELb0ES3_jN6thrust23THRUST_200600_302600_NS6detail15normal_iteratorINSA_10device_ptrIiEEEEPS6_NSA_18transform_iteratorI7is_evenIiESF_NSA_11use_defaultESK_EENS0_5tupleIJNSA_16discard_iteratorISK_EESO_EEENSM_IJSG_SG_EEES6_PlJS6_EEE10hipError_tPvRmT3_T4_T5_T6_T7_T9_mT8_P12ihipStream_tbDpT10_ENKUlT_T0_E_clISt17integral_constantIbLb1EES1A_IbLb0EEEEDaS16_S17_EUlS16_E_NS1_11comp_targetILNS1_3genE2ELNS1_11target_archE906ELNS1_3gpuE6ELNS1_3repE0EEENS1_30default_config_static_selectorELNS0_4arch9wavefront6targetE1EEEvT1_
    .private_segment_fixed_size: 0
    .sgpr_count:     6
    .sgpr_spill_count: 0
    .symbol:         _ZN7rocprim17ROCPRIM_400000_NS6detail17trampoline_kernelINS0_14default_configENS1_25partition_config_selectorILNS1_17partition_subalgoE1EiNS0_10empty_typeEbEEZZNS1_14partition_implILS5_1ELb0ES3_jN6thrust23THRUST_200600_302600_NS6detail15normal_iteratorINSA_10device_ptrIiEEEEPS6_NSA_18transform_iteratorI7is_evenIiESF_NSA_11use_defaultESK_EENS0_5tupleIJNSA_16discard_iteratorISK_EESO_EEENSM_IJSG_SG_EEES6_PlJS6_EEE10hipError_tPvRmT3_T4_T5_T6_T7_T9_mT8_P12ihipStream_tbDpT10_ENKUlT_T0_E_clISt17integral_constantIbLb1EES1A_IbLb0EEEEDaS16_S17_EUlS16_E_NS1_11comp_targetILNS1_3genE2ELNS1_11target_archE906ELNS1_3gpuE6ELNS1_3repE0EEENS1_30default_config_static_selectorELNS0_4arch9wavefront6targetE1EEEvT1_.kd
    .uniform_work_group_size: 1
    .uses_dynamic_stack: false
    .vgpr_count:     0
    .vgpr_spill_count: 0
    .wavefront_size: 64
  - .agpr_count:     0
    .args:
      - .offset:         0
        .size:           144
        .value_kind:     by_value
    .group_segment_fixed_size: 0
    .kernarg_segment_align: 8
    .kernarg_segment_size: 144
    .language:       OpenCL C
    .language_version:
      - 2
      - 0
    .max_flat_workgroup_size: 256
    .name:           _ZN7rocprim17ROCPRIM_400000_NS6detail17trampoline_kernelINS0_14default_configENS1_25partition_config_selectorILNS1_17partition_subalgoE1EiNS0_10empty_typeEbEEZZNS1_14partition_implILS5_1ELb0ES3_jN6thrust23THRUST_200600_302600_NS6detail15normal_iteratorINSA_10device_ptrIiEEEEPS6_NSA_18transform_iteratorI7is_evenIiESF_NSA_11use_defaultESK_EENS0_5tupleIJNSA_16discard_iteratorISK_EESO_EEENSM_IJSG_SG_EEES6_PlJS6_EEE10hipError_tPvRmT3_T4_T5_T6_T7_T9_mT8_P12ihipStream_tbDpT10_ENKUlT_T0_E_clISt17integral_constantIbLb1EES1A_IbLb0EEEEDaS16_S17_EUlS16_E_NS1_11comp_targetILNS1_3genE10ELNS1_11target_archE1200ELNS1_3gpuE4ELNS1_3repE0EEENS1_30default_config_static_selectorELNS0_4arch9wavefront6targetE1EEEvT1_
    .private_segment_fixed_size: 0
    .sgpr_count:     6
    .sgpr_spill_count: 0
    .symbol:         _ZN7rocprim17ROCPRIM_400000_NS6detail17trampoline_kernelINS0_14default_configENS1_25partition_config_selectorILNS1_17partition_subalgoE1EiNS0_10empty_typeEbEEZZNS1_14partition_implILS5_1ELb0ES3_jN6thrust23THRUST_200600_302600_NS6detail15normal_iteratorINSA_10device_ptrIiEEEEPS6_NSA_18transform_iteratorI7is_evenIiESF_NSA_11use_defaultESK_EENS0_5tupleIJNSA_16discard_iteratorISK_EESO_EEENSM_IJSG_SG_EEES6_PlJS6_EEE10hipError_tPvRmT3_T4_T5_T6_T7_T9_mT8_P12ihipStream_tbDpT10_ENKUlT_T0_E_clISt17integral_constantIbLb1EES1A_IbLb0EEEEDaS16_S17_EUlS16_E_NS1_11comp_targetILNS1_3genE10ELNS1_11target_archE1200ELNS1_3gpuE4ELNS1_3repE0EEENS1_30default_config_static_selectorELNS0_4arch9wavefront6targetE1EEEvT1_.kd
    .uniform_work_group_size: 1
    .uses_dynamic_stack: false
    .vgpr_count:     0
    .vgpr_spill_count: 0
    .wavefront_size: 64
  - .agpr_count:     0
    .args:
      - .offset:         0
        .size:           144
        .value_kind:     by_value
    .group_segment_fixed_size: 0
    .kernarg_segment_align: 8
    .kernarg_segment_size: 144
    .language:       OpenCL C
    .language_version:
      - 2
      - 0
    .max_flat_workgroup_size: 128
    .name:           _ZN7rocprim17ROCPRIM_400000_NS6detail17trampoline_kernelINS0_14default_configENS1_25partition_config_selectorILNS1_17partition_subalgoE1EiNS0_10empty_typeEbEEZZNS1_14partition_implILS5_1ELb0ES3_jN6thrust23THRUST_200600_302600_NS6detail15normal_iteratorINSA_10device_ptrIiEEEEPS6_NSA_18transform_iteratorI7is_evenIiESF_NSA_11use_defaultESK_EENS0_5tupleIJNSA_16discard_iteratorISK_EESO_EEENSM_IJSG_SG_EEES6_PlJS6_EEE10hipError_tPvRmT3_T4_T5_T6_T7_T9_mT8_P12ihipStream_tbDpT10_ENKUlT_T0_E_clISt17integral_constantIbLb1EES1A_IbLb0EEEEDaS16_S17_EUlS16_E_NS1_11comp_targetILNS1_3genE9ELNS1_11target_archE1100ELNS1_3gpuE3ELNS1_3repE0EEENS1_30default_config_static_selectorELNS0_4arch9wavefront6targetE1EEEvT1_
    .private_segment_fixed_size: 0
    .sgpr_count:     6
    .sgpr_spill_count: 0
    .symbol:         _ZN7rocprim17ROCPRIM_400000_NS6detail17trampoline_kernelINS0_14default_configENS1_25partition_config_selectorILNS1_17partition_subalgoE1EiNS0_10empty_typeEbEEZZNS1_14partition_implILS5_1ELb0ES3_jN6thrust23THRUST_200600_302600_NS6detail15normal_iteratorINSA_10device_ptrIiEEEEPS6_NSA_18transform_iteratorI7is_evenIiESF_NSA_11use_defaultESK_EENS0_5tupleIJNSA_16discard_iteratorISK_EESO_EEENSM_IJSG_SG_EEES6_PlJS6_EEE10hipError_tPvRmT3_T4_T5_T6_T7_T9_mT8_P12ihipStream_tbDpT10_ENKUlT_T0_E_clISt17integral_constantIbLb1EES1A_IbLb0EEEEDaS16_S17_EUlS16_E_NS1_11comp_targetILNS1_3genE9ELNS1_11target_archE1100ELNS1_3gpuE3ELNS1_3repE0EEENS1_30default_config_static_selectorELNS0_4arch9wavefront6targetE1EEEvT1_.kd
    .uniform_work_group_size: 1
    .uses_dynamic_stack: false
    .vgpr_count:     0
    .vgpr_spill_count: 0
    .wavefront_size: 64
  - .agpr_count:     0
    .args:
      - .offset:         0
        .size:           144
        .value_kind:     by_value
    .group_segment_fixed_size: 0
    .kernarg_segment_align: 8
    .kernarg_segment_size: 144
    .language:       OpenCL C
    .language_version:
      - 2
      - 0
    .max_flat_workgroup_size: 512
    .name:           _ZN7rocprim17ROCPRIM_400000_NS6detail17trampoline_kernelINS0_14default_configENS1_25partition_config_selectorILNS1_17partition_subalgoE1EiNS0_10empty_typeEbEEZZNS1_14partition_implILS5_1ELb0ES3_jN6thrust23THRUST_200600_302600_NS6detail15normal_iteratorINSA_10device_ptrIiEEEEPS6_NSA_18transform_iteratorI7is_evenIiESF_NSA_11use_defaultESK_EENS0_5tupleIJNSA_16discard_iteratorISK_EESO_EEENSM_IJSG_SG_EEES6_PlJS6_EEE10hipError_tPvRmT3_T4_T5_T6_T7_T9_mT8_P12ihipStream_tbDpT10_ENKUlT_T0_E_clISt17integral_constantIbLb1EES1A_IbLb0EEEEDaS16_S17_EUlS16_E_NS1_11comp_targetILNS1_3genE8ELNS1_11target_archE1030ELNS1_3gpuE2ELNS1_3repE0EEENS1_30default_config_static_selectorELNS0_4arch9wavefront6targetE1EEEvT1_
    .private_segment_fixed_size: 0
    .sgpr_count:     6
    .sgpr_spill_count: 0
    .symbol:         _ZN7rocprim17ROCPRIM_400000_NS6detail17trampoline_kernelINS0_14default_configENS1_25partition_config_selectorILNS1_17partition_subalgoE1EiNS0_10empty_typeEbEEZZNS1_14partition_implILS5_1ELb0ES3_jN6thrust23THRUST_200600_302600_NS6detail15normal_iteratorINSA_10device_ptrIiEEEEPS6_NSA_18transform_iteratorI7is_evenIiESF_NSA_11use_defaultESK_EENS0_5tupleIJNSA_16discard_iteratorISK_EESO_EEENSM_IJSG_SG_EEES6_PlJS6_EEE10hipError_tPvRmT3_T4_T5_T6_T7_T9_mT8_P12ihipStream_tbDpT10_ENKUlT_T0_E_clISt17integral_constantIbLb1EES1A_IbLb0EEEEDaS16_S17_EUlS16_E_NS1_11comp_targetILNS1_3genE8ELNS1_11target_archE1030ELNS1_3gpuE2ELNS1_3repE0EEENS1_30default_config_static_selectorELNS0_4arch9wavefront6targetE1EEEvT1_.kd
    .uniform_work_group_size: 1
    .uses_dynamic_stack: false
    .vgpr_count:     0
    .vgpr_spill_count: 0
    .wavefront_size: 64
  - .agpr_count:     0
    .args:
      - .offset:         0
        .size:           160
        .value_kind:     by_value
    .group_segment_fixed_size: 0
    .kernarg_segment_align: 8
    .kernarg_segment_size: 160
    .language:       OpenCL C
    .language_version:
      - 2
      - 0
    .max_flat_workgroup_size: 256
    .name:           _ZN7rocprim17ROCPRIM_400000_NS6detail17trampoline_kernelINS0_14default_configENS1_25partition_config_selectorILNS1_17partition_subalgoE1EiNS0_10empty_typeEbEEZZNS1_14partition_implILS5_1ELb0ES3_jN6thrust23THRUST_200600_302600_NS6detail15normal_iteratorINSA_10device_ptrIiEEEEPS6_NSA_18transform_iteratorI7is_evenIiESF_NSA_11use_defaultESK_EENS0_5tupleIJNSA_16discard_iteratorISK_EESO_EEENSM_IJSG_SG_EEES6_PlJS6_EEE10hipError_tPvRmT3_T4_T5_T6_T7_T9_mT8_P12ihipStream_tbDpT10_ENKUlT_T0_E_clISt17integral_constantIbLb0EES1A_IbLb1EEEEDaS16_S17_EUlS16_E_NS1_11comp_targetILNS1_3genE0ELNS1_11target_archE4294967295ELNS1_3gpuE0ELNS1_3repE0EEENS1_30default_config_static_selectorELNS0_4arch9wavefront6targetE1EEEvT1_
    .private_segment_fixed_size: 0
    .sgpr_count:     6
    .sgpr_spill_count: 0
    .symbol:         _ZN7rocprim17ROCPRIM_400000_NS6detail17trampoline_kernelINS0_14default_configENS1_25partition_config_selectorILNS1_17partition_subalgoE1EiNS0_10empty_typeEbEEZZNS1_14partition_implILS5_1ELb0ES3_jN6thrust23THRUST_200600_302600_NS6detail15normal_iteratorINSA_10device_ptrIiEEEEPS6_NSA_18transform_iteratorI7is_evenIiESF_NSA_11use_defaultESK_EENS0_5tupleIJNSA_16discard_iteratorISK_EESO_EEENSM_IJSG_SG_EEES6_PlJS6_EEE10hipError_tPvRmT3_T4_T5_T6_T7_T9_mT8_P12ihipStream_tbDpT10_ENKUlT_T0_E_clISt17integral_constantIbLb0EES1A_IbLb1EEEEDaS16_S17_EUlS16_E_NS1_11comp_targetILNS1_3genE0ELNS1_11target_archE4294967295ELNS1_3gpuE0ELNS1_3repE0EEENS1_30default_config_static_selectorELNS0_4arch9wavefront6targetE1EEEvT1_.kd
    .uniform_work_group_size: 1
    .uses_dynamic_stack: false
    .vgpr_count:     0
    .vgpr_spill_count: 0
    .wavefront_size: 64
  - .agpr_count:     0
    .args:
      - .offset:         0
        .size:           160
        .value_kind:     by_value
    .group_segment_fixed_size: 30728
    .kernarg_segment_align: 8
    .kernarg_segment_size: 160
    .language:       OpenCL C
    .language_version:
      - 2
      - 0
    .max_flat_workgroup_size: 512
    .name:           _ZN7rocprim17ROCPRIM_400000_NS6detail17trampoline_kernelINS0_14default_configENS1_25partition_config_selectorILNS1_17partition_subalgoE1EiNS0_10empty_typeEbEEZZNS1_14partition_implILS5_1ELb0ES3_jN6thrust23THRUST_200600_302600_NS6detail15normal_iteratorINSA_10device_ptrIiEEEEPS6_NSA_18transform_iteratorI7is_evenIiESF_NSA_11use_defaultESK_EENS0_5tupleIJNSA_16discard_iteratorISK_EESO_EEENSM_IJSG_SG_EEES6_PlJS6_EEE10hipError_tPvRmT3_T4_T5_T6_T7_T9_mT8_P12ihipStream_tbDpT10_ENKUlT_T0_E_clISt17integral_constantIbLb0EES1A_IbLb1EEEEDaS16_S17_EUlS16_E_NS1_11comp_targetILNS1_3genE5ELNS1_11target_archE942ELNS1_3gpuE9ELNS1_3repE0EEENS1_30default_config_static_selectorELNS0_4arch9wavefront6targetE1EEEvT1_
    .private_segment_fixed_size: 0
    .sgpr_count:     42
    .sgpr_spill_count: 0
    .symbol:         _ZN7rocprim17ROCPRIM_400000_NS6detail17trampoline_kernelINS0_14default_configENS1_25partition_config_selectorILNS1_17partition_subalgoE1EiNS0_10empty_typeEbEEZZNS1_14partition_implILS5_1ELb0ES3_jN6thrust23THRUST_200600_302600_NS6detail15normal_iteratorINSA_10device_ptrIiEEEEPS6_NSA_18transform_iteratorI7is_evenIiESF_NSA_11use_defaultESK_EENS0_5tupleIJNSA_16discard_iteratorISK_EESO_EEENSM_IJSG_SG_EEES6_PlJS6_EEE10hipError_tPvRmT3_T4_T5_T6_T7_T9_mT8_P12ihipStream_tbDpT10_ENKUlT_T0_E_clISt17integral_constantIbLb0EES1A_IbLb1EEEEDaS16_S17_EUlS16_E_NS1_11comp_targetILNS1_3genE5ELNS1_11target_archE942ELNS1_3gpuE9ELNS1_3repE0EEENS1_30default_config_static_selectorELNS0_4arch9wavefront6targetE1EEEvT1_.kd
    .uniform_work_group_size: 1
    .uses_dynamic_stack: false
    .vgpr_count:     66
    .vgpr_spill_count: 0
    .wavefront_size: 64
  - .agpr_count:     0
    .args:
      - .offset:         0
        .size:           160
        .value_kind:     by_value
    .group_segment_fixed_size: 0
    .kernarg_segment_align: 8
    .kernarg_segment_size: 160
    .language:       OpenCL C
    .language_version:
      - 2
      - 0
    .max_flat_workgroup_size: 256
    .name:           _ZN7rocprim17ROCPRIM_400000_NS6detail17trampoline_kernelINS0_14default_configENS1_25partition_config_selectorILNS1_17partition_subalgoE1EiNS0_10empty_typeEbEEZZNS1_14partition_implILS5_1ELb0ES3_jN6thrust23THRUST_200600_302600_NS6detail15normal_iteratorINSA_10device_ptrIiEEEEPS6_NSA_18transform_iteratorI7is_evenIiESF_NSA_11use_defaultESK_EENS0_5tupleIJNSA_16discard_iteratorISK_EESO_EEENSM_IJSG_SG_EEES6_PlJS6_EEE10hipError_tPvRmT3_T4_T5_T6_T7_T9_mT8_P12ihipStream_tbDpT10_ENKUlT_T0_E_clISt17integral_constantIbLb0EES1A_IbLb1EEEEDaS16_S17_EUlS16_E_NS1_11comp_targetILNS1_3genE4ELNS1_11target_archE910ELNS1_3gpuE8ELNS1_3repE0EEENS1_30default_config_static_selectorELNS0_4arch9wavefront6targetE1EEEvT1_
    .private_segment_fixed_size: 0
    .sgpr_count:     6
    .sgpr_spill_count: 0
    .symbol:         _ZN7rocprim17ROCPRIM_400000_NS6detail17trampoline_kernelINS0_14default_configENS1_25partition_config_selectorILNS1_17partition_subalgoE1EiNS0_10empty_typeEbEEZZNS1_14partition_implILS5_1ELb0ES3_jN6thrust23THRUST_200600_302600_NS6detail15normal_iteratorINSA_10device_ptrIiEEEEPS6_NSA_18transform_iteratorI7is_evenIiESF_NSA_11use_defaultESK_EENS0_5tupleIJNSA_16discard_iteratorISK_EESO_EEENSM_IJSG_SG_EEES6_PlJS6_EEE10hipError_tPvRmT3_T4_T5_T6_T7_T9_mT8_P12ihipStream_tbDpT10_ENKUlT_T0_E_clISt17integral_constantIbLb0EES1A_IbLb1EEEEDaS16_S17_EUlS16_E_NS1_11comp_targetILNS1_3genE4ELNS1_11target_archE910ELNS1_3gpuE8ELNS1_3repE0EEENS1_30default_config_static_selectorELNS0_4arch9wavefront6targetE1EEEvT1_.kd
    .uniform_work_group_size: 1
    .uses_dynamic_stack: false
    .vgpr_count:     0
    .vgpr_spill_count: 0
    .wavefront_size: 64
  - .agpr_count:     0
    .args:
      - .offset:         0
        .size:           160
        .value_kind:     by_value
    .group_segment_fixed_size: 0
    .kernarg_segment_align: 8
    .kernarg_segment_size: 160
    .language:       OpenCL C
    .language_version:
      - 2
      - 0
    .max_flat_workgroup_size: 256
    .name:           _ZN7rocprim17ROCPRIM_400000_NS6detail17trampoline_kernelINS0_14default_configENS1_25partition_config_selectorILNS1_17partition_subalgoE1EiNS0_10empty_typeEbEEZZNS1_14partition_implILS5_1ELb0ES3_jN6thrust23THRUST_200600_302600_NS6detail15normal_iteratorINSA_10device_ptrIiEEEEPS6_NSA_18transform_iteratorI7is_evenIiESF_NSA_11use_defaultESK_EENS0_5tupleIJNSA_16discard_iteratorISK_EESO_EEENSM_IJSG_SG_EEES6_PlJS6_EEE10hipError_tPvRmT3_T4_T5_T6_T7_T9_mT8_P12ihipStream_tbDpT10_ENKUlT_T0_E_clISt17integral_constantIbLb0EES1A_IbLb1EEEEDaS16_S17_EUlS16_E_NS1_11comp_targetILNS1_3genE3ELNS1_11target_archE908ELNS1_3gpuE7ELNS1_3repE0EEENS1_30default_config_static_selectorELNS0_4arch9wavefront6targetE1EEEvT1_
    .private_segment_fixed_size: 0
    .sgpr_count:     6
    .sgpr_spill_count: 0
    .symbol:         _ZN7rocprim17ROCPRIM_400000_NS6detail17trampoline_kernelINS0_14default_configENS1_25partition_config_selectorILNS1_17partition_subalgoE1EiNS0_10empty_typeEbEEZZNS1_14partition_implILS5_1ELb0ES3_jN6thrust23THRUST_200600_302600_NS6detail15normal_iteratorINSA_10device_ptrIiEEEEPS6_NSA_18transform_iteratorI7is_evenIiESF_NSA_11use_defaultESK_EENS0_5tupleIJNSA_16discard_iteratorISK_EESO_EEENSM_IJSG_SG_EEES6_PlJS6_EEE10hipError_tPvRmT3_T4_T5_T6_T7_T9_mT8_P12ihipStream_tbDpT10_ENKUlT_T0_E_clISt17integral_constantIbLb0EES1A_IbLb1EEEEDaS16_S17_EUlS16_E_NS1_11comp_targetILNS1_3genE3ELNS1_11target_archE908ELNS1_3gpuE7ELNS1_3repE0EEENS1_30default_config_static_selectorELNS0_4arch9wavefront6targetE1EEEvT1_.kd
    .uniform_work_group_size: 1
    .uses_dynamic_stack: false
    .vgpr_count:     0
    .vgpr_spill_count: 0
    .wavefront_size: 64
  - .agpr_count:     0
    .args:
      - .offset:         0
        .size:           160
        .value_kind:     by_value
    .group_segment_fixed_size: 0
    .kernarg_segment_align: 8
    .kernarg_segment_size: 160
    .language:       OpenCL C
    .language_version:
      - 2
      - 0
    .max_flat_workgroup_size: 256
    .name:           _ZN7rocprim17ROCPRIM_400000_NS6detail17trampoline_kernelINS0_14default_configENS1_25partition_config_selectorILNS1_17partition_subalgoE1EiNS0_10empty_typeEbEEZZNS1_14partition_implILS5_1ELb0ES3_jN6thrust23THRUST_200600_302600_NS6detail15normal_iteratorINSA_10device_ptrIiEEEEPS6_NSA_18transform_iteratorI7is_evenIiESF_NSA_11use_defaultESK_EENS0_5tupleIJNSA_16discard_iteratorISK_EESO_EEENSM_IJSG_SG_EEES6_PlJS6_EEE10hipError_tPvRmT3_T4_T5_T6_T7_T9_mT8_P12ihipStream_tbDpT10_ENKUlT_T0_E_clISt17integral_constantIbLb0EES1A_IbLb1EEEEDaS16_S17_EUlS16_E_NS1_11comp_targetILNS1_3genE2ELNS1_11target_archE906ELNS1_3gpuE6ELNS1_3repE0EEENS1_30default_config_static_selectorELNS0_4arch9wavefront6targetE1EEEvT1_
    .private_segment_fixed_size: 0
    .sgpr_count:     6
    .sgpr_spill_count: 0
    .symbol:         _ZN7rocprim17ROCPRIM_400000_NS6detail17trampoline_kernelINS0_14default_configENS1_25partition_config_selectorILNS1_17partition_subalgoE1EiNS0_10empty_typeEbEEZZNS1_14partition_implILS5_1ELb0ES3_jN6thrust23THRUST_200600_302600_NS6detail15normal_iteratorINSA_10device_ptrIiEEEEPS6_NSA_18transform_iteratorI7is_evenIiESF_NSA_11use_defaultESK_EENS0_5tupleIJNSA_16discard_iteratorISK_EESO_EEENSM_IJSG_SG_EEES6_PlJS6_EEE10hipError_tPvRmT3_T4_T5_T6_T7_T9_mT8_P12ihipStream_tbDpT10_ENKUlT_T0_E_clISt17integral_constantIbLb0EES1A_IbLb1EEEEDaS16_S17_EUlS16_E_NS1_11comp_targetILNS1_3genE2ELNS1_11target_archE906ELNS1_3gpuE6ELNS1_3repE0EEENS1_30default_config_static_selectorELNS0_4arch9wavefront6targetE1EEEvT1_.kd
    .uniform_work_group_size: 1
    .uses_dynamic_stack: false
    .vgpr_count:     0
    .vgpr_spill_count: 0
    .wavefront_size: 64
  - .agpr_count:     0
    .args:
      - .offset:         0
        .size:           160
        .value_kind:     by_value
    .group_segment_fixed_size: 0
    .kernarg_segment_align: 8
    .kernarg_segment_size: 160
    .language:       OpenCL C
    .language_version:
      - 2
      - 0
    .max_flat_workgroup_size: 256
    .name:           _ZN7rocprim17ROCPRIM_400000_NS6detail17trampoline_kernelINS0_14default_configENS1_25partition_config_selectorILNS1_17partition_subalgoE1EiNS0_10empty_typeEbEEZZNS1_14partition_implILS5_1ELb0ES3_jN6thrust23THRUST_200600_302600_NS6detail15normal_iteratorINSA_10device_ptrIiEEEEPS6_NSA_18transform_iteratorI7is_evenIiESF_NSA_11use_defaultESK_EENS0_5tupleIJNSA_16discard_iteratorISK_EESO_EEENSM_IJSG_SG_EEES6_PlJS6_EEE10hipError_tPvRmT3_T4_T5_T6_T7_T9_mT8_P12ihipStream_tbDpT10_ENKUlT_T0_E_clISt17integral_constantIbLb0EES1A_IbLb1EEEEDaS16_S17_EUlS16_E_NS1_11comp_targetILNS1_3genE10ELNS1_11target_archE1200ELNS1_3gpuE4ELNS1_3repE0EEENS1_30default_config_static_selectorELNS0_4arch9wavefront6targetE1EEEvT1_
    .private_segment_fixed_size: 0
    .sgpr_count:     6
    .sgpr_spill_count: 0
    .symbol:         _ZN7rocprim17ROCPRIM_400000_NS6detail17trampoline_kernelINS0_14default_configENS1_25partition_config_selectorILNS1_17partition_subalgoE1EiNS0_10empty_typeEbEEZZNS1_14partition_implILS5_1ELb0ES3_jN6thrust23THRUST_200600_302600_NS6detail15normal_iteratorINSA_10device_ptrIiEEEEPS6_NSA_18transform_iteratorI7is_evenIiESF_NSA_11use_defaultESK_EENS0_5tupleIJNSA_16discard_iteratorISK_EESO_EEENSM_IJSG_SG_EEES6_PlJS6_EEE10hipError_tPvRmT3_T4_T5_T6_T7_T9_mT8_P12ihipStream_tbDpT10_ENKUlT_T0_E_clISt17integral_constantIbLb0EES1A_IbLb1EEEEDaS16_S17_EUlS16_E_NS1_11comp_targetILNS1_3genE10ELNS1_11target_archE1200ELNS1_3gpuE4ELNS1_3repE0EEENS1_30default_config_static_selectorELNS0_4arch9wavefront6targetE1EEEvT1_.kd
    .uniform_work_group_size: 1
    .uses_dynamic_stack: false
    .vgpr_count:     0
    .vgpr_spill_count: 0
    .wavefront_size: 64
  - .agpr_count:     0
    .args:
      - .offset:         0
        .size:           160
        .value_kind:     by_value
    .group_segment_fixed_size: 0
    .kernarg_segment_align: 8
    .kernarg_segment_size: 160
    .language:       OpenCL C
    .language_version:
      - 2
      - 0
    .max_flat_workgroup_size: 128
    .name:           _ZN7rocprim17ROCPRIM_400000_NS6detail17trampoline_kernelINS0_14default_configENS1_25partition_config_selectorILNS1_17partition_subalgoE1EiNS0_10empty_typeEbEEZZNS1_14partition_implILS5_1ELb0ES3_jN6thrust23THRUST_200600_302600_NS6detail15normal_iteratorINSA_10device_ptrIiEEEEPS6_NSA_18transform_iteratorI7is_evenIiESF_NSA_11use_defaultESK_EENS0_5tupleIJNSA_16discard_iteratorISK_EESO_EEENSM_IJSG_SG_EEES6_PlJS6_EEE10hipError_tPvRmT3_T4_T5_T6_T7_T9_mT8_P12ihipStream_tbDpT10_ENKUlT_T0_E_clISt17integral_constantIbLb0EES1A_IbLb1EEEEDaS16_S17_EUlS16_E_NS1_11comp_targetILNS1_3genE9ELNS1_11target_archE1100ELNS1_3gpuE3ELNS1_3repE0EEENS1_30default_config_static_selectorELNS0_4arch9wavefront6targetE1EEEvT1_
    .private_segment_fixed_size: 0
    .sgpr_count:     6
    .sgpr_spill_count: 0
    .symbol:         _ZN7rocprim17ROCPRIM_400000_NS6detail17trampoline_kernelINS0_14default_configENS1_25partition_config_selectorILNS1_17partition_subalgoE1EiNS0_10empty_typeEbEEZZNS1_14partition_implILS5_1ELb0ES3_jN6thrust23THRUST_200600_302600_NS6detail15normal_iteratorINSA_10device_ptrIiEEEEPS6_NSA_18transform_iteratorI7is_evenIiESF_NSA_11use_defaultESK_EENS0_5tupleIJNSA_16discard_iteratorISK_EESO_EEENSM_IJSG_SG_EEES6_PlJS6_EEE10hipError_tPvRmT3_T4_T5_T6_T7_T9_mT8_P12ihipStream_tbDpT10_ENKUlT_T0_E_clISt17integral_constantIbLb0EES1A_IbLb1EEEEDaS16_S17_EUlS16_E_NS1_11comp_targetILNS1_3genE9ELNS1_11target_archE1100ELNS1_3gpuE3ELNS1_3repE0EEENS1_30default_config_static_selectorELNS0_4arch9wavefront6targetE1EEEvT1_.kd
    .uniform_work_group_size: 1
    .uses_dynamic_stack: false
    .vgpr_count:     0
    .vgpr_spill_count: 0
    .wavefront_size: 64
  - .agpr_count:     0
    .args:
      - .offset:         0
        .size:           160
        .value_kind:     by_value
    .group_segment_fixed_size: 0
    .kernarg_segment_align: 8
    .kernarg_segment_size: 160
    .language:       OpenCL C
    .language_version:
      - 2
      - 0
    .max_flat_workgroup_size: 512
    .name:           _ZN7rocprim17ROCPRIM_400000_NS6detail17trampoline_kernelINS0_14default_configENS1_25partition_config_selectorILNS1_17partition_subalgoE1EiNS0_10empty_typeEbEEZZNS1_14partition_implILS5_1ELb0ES3_jN6thrust23THRUST_200600_302600_NS6detail15normal_iteratorINSA_10device_ptrIiEEEEPS6_NSA_18transform_iteratorI7is_evenIiESF_NSA_11use_defaultESK_EENS0_5tupleIJNSA_16discard_iteratorISK_EESO_EEENSM_IJSG_SG_EEES6_PlJS6_EEE10hipError_tPvRmT3_T4_T5_T6_T7_T9_mT8_P12ihipStream_tbDpT10_ENKUlT_T0_E_clISt17integral_constantIbLb0EES1A_IbLb1EEEEDaS16_S17_EUlS16_E_NS1_11comp_targetILNS1_3genE8ELNS1_11target_archE1030ELNS1_3gpuE2ELNS1_3repE0EEENS1_30default_config_static_selectorELNS0_4arch9wavefront6targetE1EEEvT1_
    .private_segment_fixed_size: 0
    .sgpr_count:     6
    .sgpr_spill_count: 0
    .symbol:         _ZN7rocprim17ROCPRIM_400000_NS6detail17trampoline_kernelINS0_14default_configENS1_25partition_config_selectorILNS1_17partition_subalgoE1EiNS0_10empty_typeEbEEZZNS1_14partition_implILS5_1ELb0ES3_jN6thrust23THRUST_200600_302600_NS6detail15normal_iteratorINSA_10device_ptrIiEEEEPS6_NSA_18transform_iteratorI7is_evenIiESF_NSA_11use_defaultESK_EENS0_5tupleIJNSA_16discard_iteratorISK_EESO_EEENSM_IJSG_SG_EEES6_PlJS6_EEE10hipError_tPvRmT3_T4_T5_T6_T7_T9_mT8_P12ihipStream_tbDpT10_ENKUlT_T0_E_clISt17integral_constantIbLb0EES1A_IbLb1EEEEDaS16_S17_EUlS16_E_NS1_11comp_targetILNS1_3genE8ELNS1_11target_archE1030ELNS1_3gpuE2ELNS1_3repE0EEENS1_30default_config_static_selectorELNS0_4arch9wavefront6targetE1EEEvT1_.kd
    .uniform_work_group_size: 1
    .uses_dynamic_stack: false
    .vgpr_count:     0
    .vgpr_spill_count: 0
    .wavefront_size: 64
  - .agpr_count:     0
    .args:
      - .offset:         0
        .size:           136
        .value_kind:     by_value
    .group_segment_fixed_size: 0
    .kernarg_segment_align: 8
    .kernarg_segment_size: 136
    .language:       OpenCL C
    .language_version:
      - 2
      - 0
    .max_flat_workgroup_size: 256
    .name:           _ZN7rocprim17ROCPRIM_400000_NS6detail17trampoline_kernelINS0_14default_configENS1_25partition_config_selectorILNS1_17partition_subalgoE1EiNS0_10empty_typeEbEEZZNS1_14partition_implILS5_1ELb0ES3_jN6thrust23THRUST_200600_302600_NS6detail15normal_iteratorINSA_10device_ptrIiEEEEPS6_NSA_18transform_iteratorI7is_evenIiESF_NSA_11use_defaultESK_EENS0_5tupleIJSF_NSA_16discard_iteratorISK_EEEEENSM_IJSG_SG_EEES6_PlJS6_EEE10hipError_tPvRmT3_T4_T5_T6_T7_T9_mT8_P12ihipStream_tbDpT10_ENKUlT_T0_E_clISt17integral_constantIbLb0EES1B_EEDaS16_S17_EUlS16_E_NS1_11comp_targetILNS1_3genE0ELNS1_11target_archE4294967295ELNS1_3gpuE0ELNS1_3repE0EEENS1_30default_config_static_selectorELNS0_4arch9wavefront6targetE1EEEvT1_
    .private_segment_fixed_size: 0
    .sgpr_count:     6
    .sgpr_spill_count: 0
    .symbol:         _ZN7rocprim17ROCPRIM_400000_NS6detail17trampoline_kernelINS0_14default_configENS1_25partition_config_selectorILNS1_17partition_subalgoE1EiNS0_10empty_typeEbEEZZNS1_14partition_implILS5_1ELb0ES3_jN6thrust23THRUST_200600_302600_NS6detail15normal_iteratorINSA_10device_ptrIiEEEEPS6_NSA_18transform_iteratorI7is_evenIiESF_NSA_11use_defaultESK_EENS0_5tupleIJSF_NSA_16discard_iteratorISK_EEEEENSM_IJSG_SG_EEES6_PlJS6_EEE10hipError_tPvRmT3_T4_T5_T6_T7_T9_mT8_P12ihipStream_tbDpT10_ENKUlT_T0_E_clISt17integral_constantIbLb0EES1B_EEDaS16_S17_EUlS16_E_NS1_11comp_targetILNS1_3genE0ELNS1_11target_archE4294967295ELNS1_3gpuE0ELNS1_3repE0EEENS1_30default_config_static_selectorELNS0_4arch9wavefront6targetE1EEEvT1_.kd
    .uniform_work_group_size: 1
    .uses_dynamic_stack: false
    .vgpr_count:     0
    .vgpr_spill_count: 0
    .wavefront_size: 64
  - .agpr_count:     0
    .args:
      - .offset:         0
        .size:           136
        .value_kind:     by_value
    .group_segment_fixed_size: 30728
    .kernarg_segment_align: 8
    .kernarg_segment_size: 136
    .language:       OpenCL C
    .language_version:
      - 2
      - 0
    .max_flat_workgroup_size: 512
    .name:           _ZN7rocprim17ROCPRIM_400000_NS6detail17trampoline_kernelINS0_14default_configENS1_25partition_config_selectorILNS1_17partition_subalgoE1EiNS0_10empty_typeEbEEZZNS1_14partition_implILS5_1ELb0ES3_jN6thrust23THRUST_200600_302600_NS6detail15normal_iteratorINSA_10device_ptrIiEEEEPS6_NSA_18transform_iteratorI7is_evenIiESF_NSA_11use_defaultESK_EENS0_5tupleIJSF_NSA_16discard_iteratorISK_EEEEENSM_IJSG_SG_EEES6_PlJS6_EEE10hipError_tPvRmT3_T4_T5_T6_T7_T9_mT8_P12ihipStream_tbDpT10_ENKUlT_T0_E_clISt17integral_constantIbLb0EES1B_EEDaS16_S17_EUlS16_E_NS1_11comp_targetILNS1_3genE5ELNS1_11target_archE942ELNS1_3gpuE9ELNS1_3repE0EEENS1_30default_config_static_selectorELNS0_4arch9wavefront6targetE1EEEvT1_
    .private_segment_fixed_size: 0
    .sgpr_count:     46
    .sgpr_spill_count: 0
    .symbol:         _ZN7rocprim17ROCPRIM_400000_NS6detail17trampoline_kernelINS0_14default_configENS1_25partition_config_selectorILNS1_17partition_subalgoE1EiNS0_10empty_typeEbEEZZNS1_14partition_implILS5_1ELb0ES3_jN6thrust23THRUST_200600_302600_NS6detail15normal_iteratorINSA_10device_ptrIiEEEEPS6_NSA_18transform_iteratorI7is_evenIiESF_NSA_11use_defaultESK_EENS0_5tupleIJSF_NSA_16discard_iteratorISK_EEEEENSM_IJSG_SG_EEES6_PlJS6_EEE10hipError_tPvRmT3_T4_T5_T6_T7_T9_mT8_P12ihipStream_tbDpT10_ENKUlT_T0_E_clISt17integral_constantIbLb0EES1B_EEDaS16_S17_EUlS16_E_NS1_11comp_targetILNS1_3genE5ELNS1_11target_archE942ELNS1_3gpuE9ELNS1_3repE0EEENS1_30default_config_static_selectorELNS0_4arch9wavefront6targetE1EEEvT1_.kd
    .uniform_work_group_size: 1
    .uses_dynamic_stack: false
    .vgpr_count:     65
    .vgpr_spill_count: 0
    .wavefront_size: 64
  - .agpr_count:     0
    .args:
      - .offset:         0
        .size:           136
        .value_kind:     by_value
    .group_segment_fixed_size: 0
    .kernarg_segment_align: 8
    .kernarg_segment_size: 136
    .language:       OpenCL C
    .language_version:
      - 2
      - 0
    .max_flat_workgroup_size: 256
    .name:           _ZN7rocprim17ROCPRIM_400000_NS6detail17trampoline_kernelINS0_14default_configENS1_25partition_config_selectorILNS1_17partition_subalgoE1EiNS0_10empty_typeEbEEZZNS1_14partition_implILS5_1ELb0ES3_jN6thrust23THRUST_200600_302600_NS6detail15normal_iteratorINSA_10device_ptrIiEEEEPS6_NSA_18transform_iteratorI7is_evenIiESF_NSA_11use_defaultESK_EENS0_5tupleIJSF_NSA_16discard_iteratorISK_EEEEENSM_IJSG_SG_EEES6_PlJS6_EEE10hipError_tPvRmT3_T4_T5_T6_T7_T9_mT8_P12ihipStream_tbDpT10_ENKUlT_T0_E_clISt17integral_constantIbLb0EES1B_EEDaS16_S17_EUlS16_E_NS1_11comp_targetILNS1_3genE4ELNS1_11target_archE910ELNS1_3gpuE8ELNS1_3repE0EEENS1_30default_config_static_selectorELNS0_4arch9wavefront6targetE1EEEvT1_
    .private_segment_fixed_size: 0
    .sgpr_count:     6
    .sgpr_spill_count: 0
    .symbol:         _ZN7rocprim17ROCPRIM_400000_NS6detail17trampoline_kernelINS0_14default_configENS1_25partition_config_selectorILNS1_17partition_subalgoE1EiNS0_10empty_typeEbEEZZNS1_14partition_implILS5_1ELb0ES3_jN6thrust23THRUST_200600_302600_NS6detail15normal_iteratorINSA_10device_ptrIiEEEEPS6_NSA_18transform_iteratorI7is_evenIiESF_NSA_11use_defaultESK_EENS0_5tupleIJSF_NSA_16discard_iteratorISK_EEEEENSM_IJSG_SG_EEES6_PlJS6_EEE10hipError_tPvRmT3_T4_T5_T6_T7_T9_mT8_P12ihipStream_tbDpT10_ENKUlT_T0_E_clISt17integral_constantIbLb0EES1B_EEDaS16_S17_EUlS16_E_NS1_11comp_targetILNS1_3genE4ELNS1_11target_archE910ELNS1_3gpuE8ELNS1_3repE0EEENS1_30default_config_static_selectorELNS0_4arch9wavefront6targetE1EEEvT1_.kd
    .uniform_work_group_size: 1
    .uses_dynamic_stack: false
    .vgpr_count:     0
    .vgpr_spill_count: 0
    .wavefront_size: 64
  - .agpr_count:     0
    .args:
      - .offset:         0
        .size:           136
        .value_kind:     by_value
    .group_segment_fixed_size: 0
    .kernarg_segment_align: 8
    .kernarg_segment_size: 136
    .language:       OpenCL C
    .language_version:
      - 2
      - 0
    .max_flat_workgroup_size: 256
    .name:           _ZN7rocprim17ROCPRIM_400000_NS6detail17trampoline_kernelINS0_14default_configENS1_25partition_config_selectorILNS1_17partition_subalgoE1EiNS0_10empty_typeEbEEZZNS1_14partition_implILS5_1ELb0ES3_jN6thrust23THRUST_200600_302600_NS6detail15normal_iteratorINSA_10device_ptrIiEEEEPS6_NSA_18transform_iteratorI7is_evenIiESF_NSA_11use_defaultESK_EENS0_5tupleIJSF_NSA_16discard_iteratorISK_EEEEENSM_IJSG_SG_EEES6_PlJS6_EEE10hipError_tPvRmT3_T4_T5_T6_T7_T9_mT8_P12ihipStream_tbDpT10_ENKUlT_T0_E_clISt17integral_constantIbLb0EES1B_EEDaS16_S17_EUlS16_E_NS1_11comp_targetILNS1_3genE3ELNS1_11target_archE908ELNS1_3gpuE7ELNS1_3repE0EEENS1_30default_config_static_selectorELNS0_4arch9wavefront6targetE1EEEvT1_
    .private_segment_fixed_size: 0
    .sgpr_count:     6
    .sgpr_spill_count: 0
    .symbol:         _ZN7rocprim17ROCPRIM_400000_NS6detail17trampoline_kernelINS0_14default_configENS1_25partition_config_selectorILNS1_17partition_subalgoE1EiNS0_10empty_typeEbEEZZNS1_14partition_implILS5_1ELb0ES3_jN6thrust23THRUST_200600_302600_NS6detail15normal_iteratorINSA_10device_ptrIiEEEEPS6_NSA_18transform_iteratorI7is_evenIiESF_NSA_11use_defaultESK_EENS0_5tupleIJSF_NSA_16discard_iteratorISK_EEEEENSM_IJSG_SG_EEES6_PlJS6_EEE10hipError_tPvRmT3_T4_T5_T6_T7_T9_mT8_P12ihipStream_tbDpT10_ENKUlT_T0_E_clISt17integral_constantIbLb0EES1B_EEDaS16_S17_EUlS16_E_NS1_11comp_targetILNS1_3genE3ELNS1_11target_archE908ELNS1_3gpuE7ELNS1_3repE0EEENS1_30default_config_static_selectorELNS0_4arch9wavefront6targetE1EEEvT1_.kd
    .uniform_work_group_size: 1
    .uses_dynamic_stack: false
    .vgpr_count:     0
    .vgpr_spill_count: 0
    .wavefront_size: 64
  - .agpr_count:     0
    .args:
      - .offset:         0
        .size:           136
        .value_kind:     by_value
    .group_segment_fixed_size: 0
    .kernarg_segment_align: 8
    .kernarg_segment_size: 136
    .language:       OpenCL C
    .language_version:
      - 2
      - 0
    .max_flat_workgroup_size: 256
    .name:           _ZN7rocprim17ROCPRIM_400000_NS6detail17trampoline_kernelINS0_14default_configENS1_25partition_config_selectorILNS1_17partition_subalgoE1EiNS0_10empty_typeEbEEZZNS1_14partition_implILS5_1ELb0ES3_jN6thrust23THRUST_200600_302600_NS6detail15normal_iteratorINSA_10device_ptrIiEEEEPS6_NSA_18transform_iteratorI7is_evenIiESF_NSA_11use_defaultESK_EENS0_5tupleIJSF_NSA_16discard_iteratorISK_EEEEENSM_IJSG_SG_EEES6_PlJS6_EEE10hipError_tPvRmT3_T4_T5_T6_T7_T9_mT8_P12ihipStream_tbDpT10_ENKUlT_T0_E_clISt17integral_constantIbLb0EES1B_EEDaS16_S17_EUlS16_E_NS1_11comp_targetILNS1_3genE2ELNS1_11target_archE906ELNS1_3gpuE6ELNS1_3repE0EEENS1_30default_config_static_selectorELNS0_4arch9wavefront6targetE1EEEvT1_
    .private_segment_fixed_size: 0
    .sgpr_count:     6
    .sgpr_spill_count: 0
    .symbol:         _ZN7rocprim17ROCPRIM_400000_NS6detail17trampoline_kernelINS0_14default_configENS1_25partition_config_selectorILNS1_17partition_subalgoE1EiNS0_10empty_typeEbEEZZNS1_14partition_implILS5_1ELb0ES3_jN6thrust23THRUST_200600_302600_NS6detail15normal_iteratorINSA_10device_ptrIiEEEEPS6_NSA_18transform_iteratorI7is_evenIiESF_NSA_11use_defaultESK_EENS0_5tupleIJSF_NSA_16discard_iteratorISK_EEEEENSM_IJSG_SG_EEES6_PlJS6_EEE10hipError_tPvRmT3_T4_T5_T6_T7_T9_mT8_P12ihipStream_tbDpT10_ENKUlT_T0_E_clISt17integral_constantIbLb0EES1B_EEDaS16_S17_EUlS16_E_NS1_11comp_targetILNS1_3genE2ELNS1_11target_archE906ELNS1_3gpuE6ELNS1_3repE0EEENS1_30default_config_static_selectorELNS0_4arch9wavefront6targetE1EEEvT1_.kd
    .uniform_work_group_size: 1
    .uses_dynamic_stack: false
    .vgpr_count:     0
    .vgpr_spill_count: 0
    .wavefront_size: 64
  - .agpr_count:     0
    .args:
      - .offset:         0
        .size:           136
        .value_kind:     by_value
    .group_segment_fixed_size: 0
    .kernarg_segment_align: 8
    .kernarg_segment_size: 136
    .language:       OpenCL C
    .language_version:
      - 2
      - 0
    .max_flat_workgroup_size: 256
    .name:           _ZN7rocprim17ROCPRIM_400000_NS6detail17trampoline_kernelINS0_14default_configENS1_25partition_config_selectorILNS1_17partition_subalgoE1EiNS0_10empty_typeEbEEZZNS1_14partition_implILS5_1ELb0ES3_jN6thrust23THRUST_200600_302600_NS6detail15normal_iteratorINSA_10device_ptrIiEEEEPS6_NSA_18transform_iteratorI7is_evenIiESF_NSA_11use_defaultESK_EENS0_5tupleIJSF_NSA_16discard_iteratorISK_EEEEENSM_IJSG_SG_EEES6_PlJS6_EEE10hipError_tPvRmT3_T4_T5_T6_T7_T9_mT8_P12ihipStream_tbDpT10_ENKUlT_T0_E_clISt17integral_constantIbLb0EES1B_EEDaS16_S17_EUlS16_E_NS1_11comp_targetILNS1_3genE10ELNS1_11target_archE1200ELNS1_3gpuE4ELNS1_3repE0EEENS1_30default_config_static_selectorELNS0_4arch9wavefront6targetE1EEEvT1_
    .private_segment_fixed_size: 0
    .sgpr_count:     6
    .sgpr_spill_count: 0
    .symbol:         _ZN7rocprim17ROCPRIM_400000_NS6detail17trampoline_kernelINS0_14default_configENS1_25partition_config_selectorILNS1_17partition_subalgoE1EiNS0_10empty_typeEbEEZZNS1_14partition_implILS5_1ELb0ES3_jN6thrust23THRUST_200600_302600_NS6detail15normal_iteratorINSA_10device_ptrIiEEEEPS6_NSA_18transform_iteratorI7is_evenIiESF_NSA_11use_defaultESK_EENS0_5tupleIJSF_NSA_16discard_iteratorISK_EEEEENSM_IJSG_SG_EEES6_PlJS6_EEE10hipError_tPvRmT3_T4_T5_T6_T7_T9_mT8_P12ihipStream_tbDpT10_ENKUlT_T0_E_clISt17integral_constantIbLb0EES1B_EEDaS16_S17_EUlS16_E_NS1_11comp_targetILNS1_3genE10ELNS1_11target_archE1200ELNS1_3gpuE4ELNS1_3repE0EEENS1_30default_config_static_selectorELNS0_4arch9wavefront6targetE1EEEvT1_.kd
    .uniform_work_group_size: 1
    .uses_dynamic_stack: false
    .vgpr_count:     0
    .vgpr_spill_count: 0
    .wavefront_size: 64
  - .agpr_count:     0
    .args:
      - .offset:         0
        .size:           136
        .value_kind:     by_value
    .group_segment_fixed_size: 0
    .kernarg_segment_align: 8
    .kernarg_segment_size: 136
    .language:       OpenCL C
    .language_version:
      - 2
      - 0
    .max_flat_workgroup_size: 128
    .name:           _ZN7rocprim17ROCPRIM_400000_NS6detail17trampoline_kernelINS0_14default_configENS1_25partition_config_selectorILNS1_17partition_subalgoE1EiNS0_10empty_typeEbEEZZNS1_14partition_implILS5_1ELb0ES3_jN6thrust23THRUST_200600_302600_NS6detail15normal_iteratorINSA_10device_ptrIiEEEEPS6_NSA_18transform_iteratorI7is_evenIiESF_NSA_11use_defaultESK_EENS0_5tupleIJSF_NSA_16discard_iteratorISK_EEEEENSM_IJSG_SG_EEES6_PlJS6_EEE10hipError_tPvRmT3_T4_T5_T6_T7_T9_mT8_P12ihipStream_tbDpT10_ENKUlT_T0_E_clISt17integral_constantIbLb0EES1B_EEDaS16_S17_EUlS16_E_NS1_11comp_targetILNS1_3genE9ELNS1_11target_archE1100ELNS1_3gpuE3ELNS1_3repE0EEENS1_30default_config_static_selectorELNS0_4arch9wavefront6targetE1EEEvT1_
    .private_segment_fixed_size: 0
    .sgpr_count:     6
    .sgpr_spill_count: 0
    .symbol:         _ZN7rocprim17ROCPRIM_400000_NS6detail17trampoline_kernelINS0_14default_configENS1_25partition_config_selectorILNS1_17partition_subalgoE1EiNS0_10empty_typeEbEEZZNS1_14partition_implILS5_1ELb0ES3_jN6thrust23THRUST_200600_302600_NS6detail15normal_iteratorINSA_10device_ptrIiEEEEPS6_NSA_18transform_iteratorI7is_evenIiESF_NSA_11use_defaultESK_EENS0_5tupleIJSF_NSA_16discard_iteratorISK_EEEEENSM_IJSG_SG_EEES6_PlJS6_EEE10hipError_tPvRmT3_T4_T5_T6_T7_T9_mT8_P12ihipStream_tbDpT10_ENKUlT_T0_E_clISt17integral_constantIbLb0EES1B_EEDaS16_S17_EUlS16_E_NS1_11comp_targetILNS1_3genE9ELNS1_11target_archE1100ELNS1_3gpuE3ELNS1_3repE0EEENS1_30default_config_static_selectorELNS0_4arch9wavefront6targetE1EEEvT1_.kd
    .uniform_work_group_size: 1
    .uses_dynamic_stack: false
    .vgpr_count:     0
    .vgpr_spill_count: 0
    .wavefront_size: 64
  - .agpr_count:     0
    .args:
      - .offset:         0
        .size:           136
        .value_kind:     by_value
    .group_segment_fixed_size: 0
    .kernarg_segment_align: 8
    .kernarg_segment_size: 136
    .language:       OpenCL C
    .language_version:
      - 2
      - 0
    .max_flat_workgroup_size: 512
    .name:           _ZN7rocprim17ROCPRIM_400000_NS6detail17trampoline_kernelINS0_14default_configENS1_25partition_config_selectorILNS1_17partition_subalgoE1EiNS0_10empty_typeEbEEZZNS1_14partition_implILS5_1ELb0ES3_jN6thrust23THRUST_200600_302600_NS6detail15normal_iteratorINSA_10device_ptrIiEEEEPS6_NSA_18transform_iteratorI7is_evenIiESF_NSA_11use_defaultESK_EENS0_5tupleIJSF_NSA_16discard_iteratorISK_EEEEENSM_IJSG_SG_EEES6_PlJS6_EEE10hipError_tPvRmT3_T4_T5_T6_T7_T9_mT8_P12ihipStream_tbDpT10_ENKUlT_T0_E_clISt17integral_constantIbLb0EES1B_EEDaS16_S17_EUlS16_E_NS1_11comp_targetILNS1_3genE8ELNS1_11target_archE1030ELNS1_3gpuE2ELNS1_3repE0EEENS1_30default_config_static_selectorELNS0_4arch9wavefront6targetE1EEEvT1_
    .private_segment_fixed_size: 0
    .sgpr_count:     6
    .sgpr_spill_count: 0
    .symbol:         _ZN7rocprim17ROCPRIM_400000_NS6detail17trampoline_kernelINS0_14default_configENS1_25partition_config_selectorILNS1_17partition_subalgoE1EiNS0_10empty_typeEbEEZZNS1_14partition_implILS5_1ELb0ES3_jN6thrust23THRUST_200600_302600_NS6detail15normal_iteratorINSA_10device_ptrIiEEEEPS6_NSA_18transform_iteratorI7is_evenIiESF_NSA_11use_defaultESK_EENS0_5tupleIJSF_NSA_16discard_iteratorISK_EEEEENSM_IJSG_SG_EEES6_PlJS6_EEE10hipError_tPvRmT3_T4_T5_T6_T7_T9_mT8_P12ihipStream_tbDpT10_ENKUlT_T0_E_clISt17integral_constantIbLb0EES1B_EEDaS16_S17_EUlS16_E_NS1_11comp_targetILNS1_3genE8ELNS1_11target_archE1030ELNS1_3gpuE2ELNS1_3repE0EEENS1_30default_config_static_selectorELNS0_4arch9wavefront6targetE1EEEvT1_.kd
    .uniform_work_group_size: 1
    .uses_dynamic_stack: false
    .vgpr_count:     0
    .vgpr_spill_count: 0
    .wavefront_size: 64
  - .agpr_count:     0
    .args:
      - .offset:         0
        .size:           152
        .value_kind:     by_value
    .group_segment_fixed_size: 0
    .kernarg_segment_align: 8
    .kernarg_segment_size: 152
    .language:       OpenCL C
    .language_version:
      - 2
      - 0
    .max_flat_workgroup_size: 256
    .name:           _ZN7rocprim17ROCPRIM_400000_NS6detail17trampoline_kernelINS0_14default_configENS1_25partition_config_selectorILNS1_17partition_subalgoE1EiNS0_10empty_typeEbEEZZNS1_14partition_implILS5_1ELb0ES3_jN6thrust23THRUST_200600_302600_NS6detail15normal_iteratorINSA_10device_ptrIiEEEEPS6_NSA_18transform_iteratorI7is_evenIiESF_NSA_11use_defaultESK_EENS0_5tupleIJSF_NSA_16discard_iteratorISK_EEEEENSM_IJSG_SG_EEES6_PlJS6_EEE10hipError_tPvRmT3_T4_T5_T6_T7_T9_mT8_P12ihipStream_tbDpT10_ENKUlT_T0_E_clISt17integral_constantIbLb1EES1B_EEDaS16_S17_EUlS16_E_NS1_11comp_targetILNS1_3genE0ELNS1_11target_archE4294967295ELNS1_3gpuE0ELNS1_3repE0EEENS1_30default_config_static_selectorELNS0_4arch9wavefront6targetE1EEEvT1_
    .private_segment_fixed_size: 0
    .sgpr_count:     6
    .sgpr_spill_count: 0
    .symbol:         _ZN7rocprim17ROCPRIM_400000_NS6detail17trampoline_kernelINS0_14default_configENS1_25partition_config_selectorILNS1_17partition_subalgoE1EiNS0_10empty_typeEbEEZZNS1_14partition_implILS5_1ELb0ES3_jN6thrust23THRUST_200600_302600_NS6detail15normal_iteratorINSA_10device_ptrIiEEEEPS6_NSA_18transform_iteratorI7is_evenIiESF_NSA_11use_defaultESK_EENS0_5tupleIJSF_NSA_16discard_iteratorISK_EEEEENSM_IJSG_SG_EEES6_PlJS6_EEE10hipError_tPvRmT3_T4_T5_T6_T7_T9_mT8_P12ihipStream_tbDpT10_ENKUlT_T0_E_clISt17integral_constantIbLb1EES1B_EEDaS16_S17_EUlS16_E_NS1_11comp_targetILNS1_3genE0ELNS1_11target_archE4294967295ELNS1_3gpuE0ELNS1_3repE0EEENS1_30default_config_static_selectorELNS0_4arch9wavefront6targetE1EEEvT1_.kd
    .uniform_work_group_size: 1
    .uses_dynamic_stack: false
    .vgpr_count:     0
    .vgpr_spill_count: 0
    .wavefront_size: 64
  - .agpr_count:     0
    .args:
      - .offset:         0
        .size:           152
        .value_kind:     by_value
    .group_segment_fixed_size: 30728
    .kernarg_segment_align: 8
    .kernarg_segment_size: 152
    .language:       OpenCL C
    .language_version:
      - 2
      - 0
    .max_flat_workgroup_size: 512
    .name:           _ZN7rocprim17ROCPRIM_400000_NS6detail17trampoline_kernelINS0_14default_configENS1_25partition_config_selectorILNS1_17partition_subalgoE1EiNS0_10empty_typeEbEEZZNS1_14partition_implILS5_1ELb0ES3_jN6thrust23THRUST_200600_302600_NS6detail15normal_iteratorINSA_10device_ptrIiEEEEPS6_NSA_18transform_iteratorI7is_evenIiESF_NSA_11use_defaultESK_EENS0_5tupleIJSF_NSA_16discard_iteratorISK_EEEEENSM_IJSG_SG_EEES6_PlJS6_EEE10hipError_tPvRmT3_T4_T5_T6_T7_T9_mT8_P12ihipStream_tbDpT10_ENKUlT_T0_E_clISt17integral_constantIbLb1EES1B_EEDaS16_S17_EUlS16_E_NS1_11comp_targetILNS1_3genE5ELNS1_11target_archE942ELNS1_3gpuE9ELNS1_3repE0EEENS1_30default_config_static_selectorELNS0_4arch9wavefront6targetE1EEEvT1_
    .private_segment_fixed_size: 0
    .sgpr_count:     46
    .sgpr_spill_count: 0
    .symbol:         _ZN7rocprim17ROCPRIM_400000_NS6detail17trampoline_kernelINS0_14default_configENS1_25partition_config_selectorILNS1_17partition_subalgoE1EiNS0_10empty_typeEbEEZZNS1_14partition_implILS5_1ELb0ES3_jN6thrust23THRUST_200600_302600_NS6detail15normal_iteratorINSA_10device_ptrIiEEEEPS6_NSA_18transform_iteratorI7is_evenIiESF_NSA_11use_defaultESK_EENS0_5tupleIJSF_NSA_16discard_iteratorISK_EEEEENSM_IJSG_SG_EEES6_PlJS6_EEE10hipError_tPvRmT3_T4_T5_T6_T7_T9_mT8_P12ihipStream_tbDpT10_ENKUlT_T0_E_clISt17integral_constantIbLb1EES1B_EEDaS16_S17_EUlS16_E_NS1_11comp_targetILNS1_3genE5ELNS1_11target_archE942ELNS1_3gpuE9ELNS1_3repE0EEENS1_30default_config_static_selectorELNS0_4arch9wavefront6targetE1EEEvT1_.kd
    .uniform_work_group_size: 1
    .uses_dynamic_stack: false
    .vgpr_count:     67
    .vgpr_spill_count: 0
    .wavefront_size: 64
  - .agpr_count:     0
    .args:
      - .offset:         0
        .size:           152
        .value_kind:     by_value
    .group_segment_fixed_size: 0
    .kernarg_segment_align: 8
    .kernarg_segment_size: 152
    .language:       OpenCL C
    .language_version:
      - 2
      - 0
    .max_flat_workgroup_size: 256
    .name:           _ZN7rocprim17ROCPRIM_400000_NS6detail17trampoline_kernelINS0_14default_configENS1_25partition_config_selectorILNS1_17partition_subalgoE1EiNS0_10empty_typeEbEEZZNS1_14partition_implILS5_1ELb0ES3_jN6thrust23THRUST_200600_302600_NS6detail15normal_iteratorINSA_10device_ptrIiEEEEPS6_NSA_18transform_iteratorI7is_evenIiESF_NSA_11use_defaultESK_EENS0_5tupleIJSF_NSA_16discard_iteratorISK_EEEEENSM_IJSG_SG_EEES6_PlJS6_EEE10hipError_tPvRmT3_T4_T5_T6_T7_T9_mT8_P12ihipStream_tbDpT10_ENKUlT_T0_E_clISt17integral_constantIbLb1EES1B_EEDaS16_S17_EUlS16_E_NS1_11comp_targetILNS1_3genE4ELNS1_11target_archE910ELNS1_3gpuE8ELNS1_3repE0EEENS1_30default_config_static_selectorELNS0_4arch9wavefront6targetE1EEEvT1_
    .private_segment_fixed_size: 0
    .sgpr_count:     6
    .sgpr_spill_count: 0
    .symbol:         _ZN7rocprim17ROCPRIM_400000_NS6detail17trampoline_kernelINS0_14default_configENS1_25partition_config_selectorILNS1_17partition_subalgoE1EiNS0_10empty_typeEbEEZZNS1_14partition_implILS5_1ELb0ES3_jN6thrust23THRUST_200600_302600_NS6detail15normal_iteratorINSA_10device_ptrIiEEEEPS6_NSA_18transform_iteratorI7is_evenIiESF_NSA_11use_defaultESK_EENS0_5tupleIJSF_NSA_16discard_iteratorISK_EEEEENSM_IJSG_SG_EEES6_PlJS6_EEE10hipError_tPvRmT3_T4_T5_T6_T7_T9_mT8_P12ihipStream_tbDpT10_ENKUlT_T0_E_clISt17integral_constantIbLb1EES1B_EEDaS16_S17_EUlS16_E_NS1_11comp_targetILNS1_3genE4ELNS1_11target_archE910ELNS1_3gpuE8ELNS1_3repE0EEENS1_30default_config_static_selectorELNS0_4arch9wavefront6targetE1EEEvT1_.kd
    .uniform_work_group_size: 1
    .uses_dynamic_stack: false
    .vgpr_count:     0
    .vgpr_spill_count: 0
    .wavefront_size: 64
  - .agpr_count:     0
    .args:
      - .offset:         0
        .size:           152
        .value_kind:     by_value
    .group_segment_fixed_size: 0
    .kernarg_segment_align: 8
    .kernarg_segment_size: 152
    .language:       OpenCL C
    .language_version:
      - 2
      - 0
    .max_flat_workgroup_size: 256
    .name:           _ZN7rocprim17ROCPRIM_400000_NS6detail17trampoline_kernelINS0_14default_configENS1_25partition_config_selectorILNS1_17partition_subalgoE1EiNS0_10empty_typeEbEEZZNS1_14partition_implILS5_1ELb0ES3_jN6thrust23THRUST_200600_302600_NS6detail15normal_iteratorINSA_10device_ptrIiEEEEPS6_NSA_18transform_iteratorI7is_evenIiESF_NSA_11use_defaultESK_EENS0_5tupleIJSF_NSA_16discard_iteratorISK_EEEEENSM_IJSG_SG_EEES6_PlJS6_EEE10hipError_tPvRmT3_T4_T5_T6_T7_T9_mT8_P12ihipStream_tbDpT10_ENKUlT_T0_E_clISt17integral_constantIbLb1EES1B_EEDaS16_S17_EUlS16_E_NS1_11comp_targetILNS1_3genE3ELNS1_11target_archE908ELNS1_3gpuE7ELNS1_3repE0EEENS1_30default_config_static_selectorELNS0_4arch9wavefront6targetE1EEEvT1_
    .private_segment_fixed_size: 0
    .sgpr_count:     6
    .sgpr_spill_count: 0
    .symbol:         _ZN7rocprim17ROCPRIM_400000_NS6detail17trampoline_kernelINS0_14default_configENS1_25partition_config_selectorILNS1_17partition_subalgoE1EiNS0_10empty_typeEbEEZZNS1_14partition_implILS5_1ELb0ES3_jN6thrust23THRUST_200600_302600_NS6detail15normal_iteratorINSA_10device_ptrIiEEEEPS6_NSA_18transform_iteratorI7is_evenIiESF_NSA_11use_defaultESK_EENS0_5tupleIJSF_NSA_16discard_iteratorISK_EEEEENSM_IJSG_SG_EEES6_PlJS6_EEE10hipError_tPvRmT3_T4_T5_T6_T7_T9_mT8_P12ihipStream_tbDpT10_ENKUlT_T0_E_clISt17integral_constantIbLb1EES1B_EEDaS16_S17_EUlS16_E_NS1_11comp_targetILNS1_3genE3ELNS1_11target_archE908ELNS1_3gpuE7ELNS1_3repE0EEENS1_30default_config_static_selectorELNS0_4arch9wavefront6targetE1EEEvT1_.kd
    .uniform_work_group_size: 1
    .uses_dynamic_stack: false
    .vgpr_count:     0
    .vgpr_spill_count: 0
    .wavefront_size: 64
  - .agpr_count:     0
    .args:
      - .offset:         0
        .size:           152
        .value_kind:     by_value
    .group_segment_fixed_size: 0
    .kernarg_segment_align: 8
    .kernarg_segment_size: 152
    .language:       OpenCL C
    .language_version:
      - 2
      - 0
    .max_flat_workgroup_size: 256
    .name:           _ZN7rocprim17ROCPRIM_400000_NS6detail17trampoline_kernelINS0_14default_configENS1_25partition_config_selectorILNS1_17partition_subalgoE1EiNS0_10empty_typeEbEEZZNS1_14partition_implILS5_1ELb0ES3_jN6thrust23THRUST_200600_302600_NS6detail15normal_iteratorINSA_10device_ptrIiEEEEPS6_NSA_18transform_iteratorI7is_evenIiESF_NSA_11use_defaultESK_EENS0_5tupleIJSF_NSA_16discard_iteratorISK_EEEEENSM_IJSG_SG_EEES6_PlJS6_EEE10hipError_tPvRmT3_T4_T5_T6_T7_T9_mT8_P12ihipStream_tbDpT10_ENKUlT_T0_E_clISt17integral_constantIbLb1EES1B_EEDaS16_S17_EUlS16_E_NS1_11comp_targetILNS1_3genE2ELNS1_11target_archE906ELNS1_3gpuE6ELNS1_3repE0EEENS1_30default_config_static_selectorELNS0_4arch9wavefront6targetE1EEEvT1_
    .private_segment_fixed_size: 0
    .sgpr_count:     6
    .sgpr_spill_count: 0
    .symbol:         _ZN7rocprim17ROCPRIM_400000_NS6detail17trampoline_kernelINS0_14default_configENS1_25partition_config_selectorILNS1_17partition_subalgoE1EiNS0_10empty_typeEbEEZZNS1_14partition_implILS5_1ELb0ES3_jN6thrust23THRUST_200600_302600_NS6detail15normal_iteratorINSA_10device_ptrIiEEEEPS6_NSA_18transform_iteratorI7is_evenIiESF_NSA_11use_defaultESK_EENS0_5tupleIJSF_NSA_16discard_iteratorISK_EEEEENSM_IJSG_SG_EEES6_PlJS6_EEE10hipError_tPvRmT3_T4_T5_T6_T7_T9_mT8_P12ihipStream_tbDpT10_ENKUlT_T0_E_clISt17integral_constantIbLb1EES1B_EEDaS16_S17_EUlS16_E_NS1_11comp_targetILNS1_3genE2ELNS1_11target_archE906ELNS1_3gpuE6ELNS1_3repE0EEENS1_30default_config_static_selectorELNS0_4arch9wavefront6targetE1EEEvT1_.kd
    .uniform_work_group_size: 1
    .uses_dynamic_stack: false
    .vgpr_count:     0
    .vgpr_spill_count: 0
    .wavefront_size: 64
  - .agpr_count:     0
    .args:
      - .offset:         0
        .size:           152
        .value_kind:     by_value
    .group_segment_fixed_size: 0
    .kernarg_segment_align: 8
    .kernarg_segment_size: 152
    .language:       OpenCL C
    .language_version:
      - 2
      - 0
    .max_flat_workgroup_size: 256
    .name:           _ZN7rocprim17ROCPRIM_400000_NS6detail17trampoline_kernelINS0_14default_configENS1_25partition_config_selectorILNS1_17partition_subalgoE1EiNS0_10empty_typeEbEEZZNS1_14partition_implILS5_1ELb0ES3_jN6thrust23THRUST_200600_302600_NS6detail15normal_iteratorINSA_10device_ptrIiEEEEPS6_NSA_18transform_iteratorI7is_evenIiESF_NSA_11use_defaultESK_EENS0_5tupleIJSF_NSA_16discard_iteratorISK_EEEEENSM_IJSG_SG_EEES6_PlJS6_EEE10hipError_tPvRmT3_T4_T5_T6_T7_T9_mT8_P12ihipStream_tbDpT10_ENKUlT_T0_E_clISt17integral_constantIbLb1EES1B_EEDaS16_S17_EUlS16_E_NS1_11comp_targetILNS1_3genE10ELNS1_11target_archE1200ELNS1_3gpuE4ELNS1_3repE0EEENS1_30default_config_static_selectorELNS0_4arch9wavefront6targetE1EEEvT1_
    .private_segment_fixed_size: 0
    .sgpr_count:     6
    .sgpr_spill_count: 0
    .symbol:         _ZN7rocprim17ROCPRIM_400000_NS6detail17trampoline_kernelINS0_14default_configENS1_25partition_config_selectorILNS1_17partition_subalgoE1EiNS0_10empty_typeEbEEZZNS1_14partition_implILS5_1ELb0ES3_jN6thrust23THRUST_200600_302600_NS6detail15normal_iteratorINSA_10device_ptrIiEEEEPS6_NSA_18transform_iteratorI7is_evenIiESF_NSA_11use_defaultESK_EENS0_5tupleIJSF_NSA_16discard_iteratorISK_EEEEENSM_IJSG_SG_EEES6_PlJS6_EEE10hipError_tPvRmT3_T4_T5_T6_T7_T9_mT8_P12ihipStream_tbDpT10_ENKUlT_T0_E_clISt17integral_constantIbLb1EES1B_EEDaS16_S17_EUlS16_E_NS1_11comp_targetILNS1_3genE10ELNS1_11target_archE1200ELNS1_3gpuE4ELNS1_3repE0EEENS1_30default_config_static_selectorELNS0_4arch9wavefront6targetE1EEEvT1_.kd
    .uniform_work_group_size: 1
    .uses_dynamic_stack: false
    .vgpr_count:     0
    .vgpr_spill_count: 0
    .wavefront_size: 64
  - .agpr_count:     0
    .args:
      - .offset:         0
        .size:           152
        .value_kind:     by_value
    .group_segment_fixed_size: 0
    .kernarg_segment_align: 8
    .kernarg_segment_size: 152
    .language:       OpenCL C
    .language_version:
      - 2
      - 0
    .max_flat_workgroup_size: 128
    .name:           _ZN7rocprim17ROCPRIM_400000_NS6detail17trampoline_kernelINS0_14default_configENS1_25partition_config_selectorILNS1_17partition_subalgoE1EiNS0_10empty_typeEbEEZZNS1_14partition_implILS5_1ELb0ES3_jN6thrust23THRUST_200600_302600_NS6detail15normal_iteratorINSA_10device_ptrIiEEEEPS6_NSA_18transform_iteratorI7is_evenIiESF_NSA_11use_defaultESK_EENS0_5tupleIJSF_NSA_16discard_iteratorISK_EEEEENSM_IJSG_SG_EEES6_PlJS6_EEE10hipError_tPvRmT3_T4_T5_T6_T7_T9_mT8_P12ihipStream_tbDpT10_ENKUlT_T0_E_clISt17integral_constantIbLb1EES1B_EEDaS16_S17_EUlS16_E_NS1_11comp_targetILNS1_3genE9ELNS1_11target_archE1100ELNS1_3gpuE3ELNS1_3repE0EEENS1_30default_config_static_selectorELNS0_4arch9wavefront6targetE1EEEvT1_
    .private_segment_fixed_size: 0
    .sgpr_count:     6
    .sgpr_spill_count: 0
    .symbol:         _ZN7rocprim17ROCPRIM_400000_NS6detail17trampoline_kernelINS0_14default_configENS1_25partition_config_selectorILNS1_17partition_subalgoE1EiNS0_10empty_typeEbEEZZNS1_14partition_implILS5_1ELb0ES3_jN6thrust23THRUST_200600_302600_NS6detail15normal_iteratorINSA_10device_ptrIiEEEEPS6_NSA_18transform_iteratorI7is_evenIiESF_NSA_11use_defaultESK_EENS0_5tupleIJSF_NSA_16discard_iteratorISK_EEEEENSM_IJSG_SG_EEES6_PlJS6_EEE10hipError_tPvRmT3_T4_T5_T6_T7_T9_mT8_P12ihipStream_tbDpT10_ENKUlT_T0_E_clISt17integral_constantIbLb1EES1B_EEDaS16_S17_EUlS16_E_NS1_11comp_targetILNS1_3genE9ELNS1_11target_archE1100ELNS1_3gpuE3ELNS1_3repE0EEENS1_30default_config_static_selectorELNS0_4arch9wavefront6targetE1EEEvT1_.kd
    .uniform_work_group_size: 1
    .uses_dynamic_stack: false
    .vgpr_count:     0
    .vgpr_spill_count: 0
    .wavefront_size: 64
  - .agpr_count:     0
    .args:
      - .offset:         0
        .size:           152
        .value_kind:     by_value
    .group_segment_fixed_size: 0
    .kernarg_segment_align: 8
    .kernarg_segment_size: 152
    .language:       OpenCL C
    .language_version:
      - 2
      - 0
    .max_flat_workgroup_size: 512
    .name:           _ZN7rocprim17ROCPRIM_400000_NS6detail17trampoline_kernelINS0_14default_configENS1_25partition_config_selectorILNS1_17partition_subalgoE1EiNS0_10empty_typeEbEEZZNS1_14partition_implILS5_1ELb0ES3_jN6thrust23THRUST_200600_302600_NS6detail15normal_iteratorINSA_10device_ptrIiEEEEPS6_NSA_18transform_iteratorI7is_evenIiESF_NSA_11use_defaultESK_EENS0_5tupleIJSF_NSA_16discard_iteratorISK_EEEEENSM_IJSG_SG_EEES6_PlJS6_EEE10hipError_tPvRmT3_T4_T5_T6_T7_T9_mT8_P12ihipStream_tbDpT10_ENKUlT_T0_E_clISt17integral_constantIbLb1EES1B_EEDaS16_S17_EUlS16_E_NS1_11comp_targetILNS1_3genE8ELNS1_11target_archE1030ELNS1_3gpuE2ELNS1_3repE0EEENS1_30default_config_static_selectorELNS0_4arch9wavefront6targetE1EEEvT1_
    .private_segment_fixed_size: 0
    .sgpr_count:     6
    .sgpr_spill_count: 0
    .symbol:         _ZN7rocprim17ROCPRIM_400000_NS6detail17trampoline_kernelINS0_14default_configENS1_25partition_config_selectorILNS1_17partition_subalgoE1EiNS0_10empty_typeEbEEZZNS1_14partition_implILS5_1ELb0ES3_jN6thrust23THRUST_200600_302600_NS6detail15normal_iteratorINSA_10device_ptrIiEEEEPS6_NSA_18transform_iteratorI7is_evenIiESF_NSA_11use_defaultESK_EENS0_5tupleIJSF_NSA_16discard_iteratorISK_EEEEENSM_IJSG_SG_EEES6_PlJS6_EEE10hipError_tPvRmT3_T4_T5_T6_T7_T9_mT8_P12ihipStream_tbDpT10_ENKUlT_T0_E_clISt17integral_constantIbLb1EES1B_EEDaS16_S17_EUlS16_E_NS1_11comp_targetILNS1_3genE8ELNS1_11target_archE1030ELNS1_3gpuE2ELNS1_3repE0EEENS1_30default_config_static_selectorELNS0_4arch9wavefront6targetE1EEEvT1_.kd
    .uniform_work_group_size: 1
    .uses_dynamic_stack: false
    .vgpr_count:     0
    .vgpr_spill_count: 0
    .wavefront_size: 64
  - .agpr_count:     0
    .args:
      - .offset:         0
        .size:           136
        .value_kind:     by_value
    .group_segment_fixed_size: 0
    .kernarg_segment_align: 8
    .kernarg_segment_size: 136
    .language:       OpenCL C
    .language_version:
      - 2
      - 0
    .max_flat_workgroup_size: 256
    .name:           _ZN7rocprim17ROCPRIM_400000_NS6detail17trampoline_kernelINS0_14default_configENS1_25partition_config_selectorILNS1_17partition_subalgoE1EiNS0_10empty_typeEbEEZZNS1_14partition_implILS5_1ELb0ES3_jN6thrust23THRUST_200600_302600_NS6detail15normal_iteratorINSA_10device_ptrIiEEEEPS6_NSA_18transform_iteratorI7is_evenIiESF_NSA_11use_defaultESK_EENS0_5tupleIJSF_NSA_16discard_iteratorISK_EEEEENSM_IJSG_SG_EEES6_PlJS6_EEE10hipError_tPvRmT3_T4_T5_T6_T7_T9_mT8_P12ihipStream_tbDpT10_ENKUlT_T0_E_clISt17integral_constantIbLb1EES1A_IbLb0EEEEDaS16_S17_EUlS16_E_NS1_11comp_targetILNS1_3genE0ELNS1_11target_archE4294967295ELNS1_3gpuE0ELNS1_3repE0EEENS1_30default_config_static_selectorELNS0_4arch9wavefront6targetE1EEEvT1_
    .private_segment_fixed_size: 0
    .sgpr_count:     6
    .sgpr_spill_count: 0
    .symbol:         _ZN7rocprim17ROCPRIM_400000_NS6detail17trampoline_kernelINS0_14default_configENS1_25partition_config_selectorILNS1_17partition_subalgoE1EiNS0_10empty_typeEbEEZZNS1_14partition_implILS5_1ELb0ES3_jN6thrust23THRUST_200600_302600_NS6detail15normal_iteratorINSA_10device_ptrIiEEEEPS6_NSA_18transform_iteratorI7is_evenIiESF_NSA_11use_defaultESK_EENS0_5tupleIJSF_NSA_16discard_iteratorISK_EEEEENSM_IJSG_SG_EEES6_PlJS6_EEE10hipError_tPvRmT3_T4_T5_T6_T7_T9_mT8_P12ihipStream_tbDpT10_ENKUlT_T0_E_clISt17integral_constantIbLb1EES1A_IbLb0EEEEDaS16_S17_EUlS16_E_NS1_11comp_targetILNS1_3genE0ELNS1_11target_archE4294967295ELNS1_3gpuE0ELNS1_3repE0EEENS1_30default_config_static_selectorELNS0_4arch9wavefront6targetE1EEEvT1_.kd
    .uniform_work_group_size: 1
    .uses_dynamic_stack: false
    .vgpr_count:     0
    .vgpr_spill_count: 0
    .wavefront_size: 64
  - .agpr_count:     0
    .args:
      - .offset:         0
        .size:           136
        .value_kind:     by_value
    .group_segment_fixed_size: 30728
    .kernarg_segment_align: 8
    .kernarg_segment_size: 136
    .language:       OpenCL C
    .language_version:
      - 2
      - 0
    .max_flat_workgroup_size: 512
    .name:           _ZN7rocprim17ROCPRIM_400000_NS6detail17trampoline_kernelINS0_14default_configENS1_25partition_config_selectorILNS1_17partition_subalgoE1EiNS0_10empty_typeEbEEZZNS1_14partition_implILS5_1ELb0ES3_jN6thrust23THRUST_200600_302600_NS6detail15normal_iteratorINSA_10device_ptrIiEEEEPS6_NSA_18transform_iteratorI7is_evenIiESF_NSA_11use_defaultESK_EENS0_5tupleIJSF_NSA_16discard_iteratorISK_EEEEENSM_IJSG_SG_EEES6_PlJS6_EEE10hipError_tPvRmT3_T4_T5_T6_T7_T9_mT8_P12ihipStream_tbDpT10_ENKUlT_T0_E_clISt17integral_constantIbLb1EES1A_IbLb0EEEEDaS16_S17_EUlS16_E_NS1_11comp_targetILNS1_3genE5ELNS1_11target_archE942ELNS1_3gpuE9ELNS1_3repE0EEENS1_30default_config_static_selectorELNS0_4arch9wavefront6targetE1EEEvT1_
    .private_segment_fixed_size: 0
    .sgpr_count:     46
    .sgpr_spill_count: 0
    .symbol:         _ZN7rocprim17ROCPRIM_400000_NS6detail17trampoline_kernelINS0_14default_configENS1_25partition_config_selectorILNS1_17partition_subalgoE1EiNS0_10empty_typeEbEEZZNS1_14partition_implILS5_1ELb0ES3_jN6thrust23THRUST_200600_302600_NS6detail15normal_iteratorINSA_10device_ptrIiEEEEPS6_NSA_18transform_iteratorI7is_evenIiESF_NSA_11use_defaultESK_EENS0_5tupleIJSF_NSA_16discard_iteratorISK_EEEEENSM_IJSG_SG_EEES6_PlJS6_EEE10hipError_tPvRmT3_T4_T5_T6_T7_T9_mT8_P12ihipStream_tbDpT10_ENKUlT_T0_E_clISt17integral_constantIbLb1EES1A_IbLb0EEEEDaS16_S17_EUlS16_E_NS1_11comp_targetILNS1_3genE5ELNS1_11target_archE942ELNS1_3gpuE9ELNS1_3repE0EEENS1_30default_config_static_selectorELNS0_4arch9wavefront6targetE1EEEvT1_.kd
    .uniform_work_group_size: 1
    .uses_dynamic_stack: false
    .vgpr_count:     65
    .vgpr_spill_count: 0
    .wavefront_size: 64
  - .agpr_count:     0
    .args:
      - .offset:         0
        .size:           136
        .value_kind:     by_value
    .group_segment_fixed_size: 0
    .kernarg_segment_align: 8
    .kernarg_segment_size: 136
    .language:       OpenCL C
    .language_version:
      - 2
      - 0
    .max_flat_workgroup_size: 256
    .name:           _ZN7rocprim17ROCPRIM_400000_NS6detail17trampoline_kernelINS0_14default_configENS1_25partition_config_selectorILNS1_17partition_subalgoE1EiNS0_10empty_typeEbEEZZNS1_14partition_implILS5_1ELb0ES3_jN6thrust23THRUST_200600_302600_NS6detail15normal_iteratorINSA_10device_ptrIiEEEEPS6_NSA_18transform_iteratorI7is_evenIiESF_NSA_11use_defaultESK_EENS0_5tupleIJSF_NSA_16discard_iteratorISK_EEEEENSM_IJSG_SG_EEES6_PlJS6_EEE10hipError_tPvRmT3_T4_T5_T6_T7_T9_mT8_P12ihipStream_tbDpT10_ENKUlT_T0_E_clISt17integral_constantIbLb1EES1A_IbLb0EEEEDaS16_S17_EUlS16_E_NS1_11comp_targetILNS1_3genE4ELNS1_11target_archE910ELNS1_3gpuE8ELNS1_3repE0EEENS1_30default_config_static_selectorELNS0_4arch9wavefront6targetE1EEEvT1_
    .private_segment_fixed_size: 0
    .sgpr_count:     6
    .sgpr_spill_count: 0
    .symbol:         _ZN7rocprim17ROCPRIM_400000_NS6detail17trampoline_kernelINS0_14default_configENS1_25partition_config_selectorILNS1_17partition_subalgoE1EiNS0_10empty_typeEbEEZZNS1_14partition_implILS5_1ELb0ES3_jN6thrust23THRUST_200600_302600_NS6detail15normal_iteratorINSA_10device_ptrIiEEEEPS6_NSA_18transform_iteratorI7is_evenIiESF_NSA_11use_defaultESK_EENS0_5tupleIJSF_NSA_16discard_iteratorISK_EEEEENSM_IJSG_SG_EEES6_PlJS6_EEE10hipError_tPvRmT3_T4_T5_T6_T7_T9_mT8_P12ihipStream_tbDpT10_ENKUlT_T0_E_clISt17integral_constantIbLb1EES1A_IbLb0EEEEDaS16_S17_EUlS16_E_NS1_11comp_targetILNS1_3genE4ELNS1_11target_archE910ELNS1_3gpuE8ELNS1_3repE0EEENS1_30default_config_static_selectorELNS0_4arch9wavefront6targetE1EEEvT1_.kd
    .uniform_work_group_size: 1
    .uses_dynamic_stack: false
    .vgpr_count:     0
    .vgpr_spill_count: 0
    .wavefront_size: 64
  - .agpr_count:     0
    .args:
      - .offset:         0
        .size:           136
        .value_kind:     by_value
    .group_segment_fixed_size: 0
    .kernarg_segment_align: 8
    .kernarg_segment_size: 136
    .language:       OpenCL C
    .language_version:
      - 2
      - 0
    .max_flat_workgroup_size: 256
    .name:           _ZN7rocprim17ROCPRIM_400000_NS6detail17trampoline_kernelINS0_14default_configENS1_25partition_config_selectorILNS1_17partition_subalgoE1EiNS0_10empty_typeEbEEZZNS1_14partition_implILS5_1ELb0ES3_jN6thrust23THRUST_200600_302600_NS6detail15normal_iteratorINSA_10device_ptrIiEEEEPS6_NSA_18transform_iteratorI7is_evenIiESF_NSA_11use_defaultESK_EENS0_5tupleIJSF_NSA_16discard_iteratorISK_EEEEENSM_IJSG_SG_EEES6_PlJS6_EEE10hipError_tPvRmT3_T4_T5_T6_T7_T9_mT8_P12ihipStream_tbDpT10_ENKUlT_T0_E_clISt17integral_constantIbLb1EES1A_IbLb0EEEEDaS16_S17_EUlS16_E_NS1_11comp_targetILNS1_3genE3ELNS1_11target_archE908ELNS1_3gpuE7ELNS1_3repE0EEENS1_30default_config_static_selectorELNS0_4arch9wavefront6targetE1EEEvT1_
    .private_segment_fixed_size: 0
    .sgpr_count:     6
    .sgpr_spill_count: 0
    .symbol:         _ZN7rocprim17ROCPRIM_400000_NS6detail17trampoline_kernelINS0_14default_configENS1_25partition_config_selectorILNS1_17partition_subalgoE1EiNS0_10empty_typeEbEEZZNS1_14partition_implILS5_1ELb0ES3_jN6thrust23THRUST_200600_302600_NS6detail15normal_iteratorINSA_10device_ptrIiEEEEPS6_NSA_18transform_iteratorI7is_evenIiESF_NSA_11use_defaultESK_EENS0_5tupleIJSF_NSA_16discard_iteratorISK_EEEEENSM_IJSG_SG_EEES6_PlJS6_EEE10hipError_tPvRmT3_T4_T5_T6_T7_T9_mT8_P12ihipStream_tbDpT10_ENKUlT_T0_E_clISt17integral_constantIbLb1EES1A_IbLb0EEEEDaS16_S17_EUlS16_E_NS1_11comp_targetILNS1_3genE3ELNS1_11target_archE908ELNS1_3gpuE7ELNS1_3repE0EEENS1_30default_config_static_selectorELNS0_4arch9wavefront6targetE1EEEvT1_.kd
    .uniform_work_group_size: 1
    .uses_dynamic_stack: false
    .vgpr_count:     0
    .vgpr_spill_count: 0
    .wavefront_size: 64
  - .agpr_count:     0
    .args:
      - .offset:         0
        .size:           136
        .value_kind:     by_value
    .group_segment_fixed_size: 0
    .kernarg_segment_align: 8
    .kernarg_segment_size: 136
    .language:       OpenCL C
    .language_version:
      - 2
      - 0
    .max_flat_workgroup_size: 256
    .name:           _ZN7rocprim17ROCPRIM_400000_NS6detail17trampoline_kernelINS0_14default_configENS1_25partition_config_selectorILNS1_17partition_subalgoE1EiNS0_10empty_typeEbEEZZNS1_14partition_implILS5_1ELb0ES3_jN6thrust23THRUST_200600_302600_NS6detail15normal_iteratorINSA_10device_ptrIiEEEEPS6_NSA_18transform_iteratorI7is_evenIiESF_NSA_11use_defaultESK_EENS0_5tupleIJSF_NSA_16discard_iteratorISK_EEEEENSM_IJSG_SG_EEES6_PlJS6_EEE10hipError_tPvRmT3_T4_T5_T6_T7_T9_mT8_P12ihipStream_tbDpT10_ENKUlT_T0_E_clISt17integral_constantIbLb1EES1A_IbLb0EEEEDaS16_S17_EUlS16_E_NS1_11comp_targetILNS1_3genE2ELNS1_11target_archE906ELNS1_3gpuE6ELNS1_3repE0EEENS1_30default_config_static_selectorELNS0_4arch9wavefront6targetE1EEEvT1_
    .private_segment_fixed_size: 0
    .sgpr_count:     6
    .sgpr_spill_count: 0
    .symbol:         _ZN7rocprim17ROCPRIM_400000_NS6detail17trampoline_kernelINS0_14default_configENS1_25partition_config_selectorILNS1_17partition_subalgoE1EiNS0_10empty_typeEbEEZZNS1_14partition_implILS5_1ELb0ES3_jN6thrust23THRUST_200600_302600_NS6detail15normal_iteratorINSA_10device_ptrIiEEEEPS6_NSA_18transform_iteratorI7is_evenIiESF_NSA_11use_defaultESK_EENS0_5tupleIJSF_NSA_16discard_iteratorISK_EEEEENSM_IJSG_SG_EEES6_PlJS6_EEE10hipError_tPvRmT3_T4_T5_T6_T7_T9_mT8_P12ihipStream_tbDpT10_ENKUlT_T0_E_clISt17integral_constantIbLb1EES1A_IbLb0EEEEDaS16_S17_EUlS16_E_NS1_11comp_targetILNS1_3genE2ELNS1_11target_archE906ELNS1_3gpuE6ELNS1_3repE0EEENS1_30default_config_static_selectorELNS0_4arch9wavefront6targetE1EEEvT1_.kd
    .uniform_work_group_size: 1
    .uses_dynamic_stack: false
    .vgpr_count:     0
    .vgpr_spill_count: 0
    .wavefront_size: 64
  - .agpr_count:     0
    .args:
      - .offset:         0
        .size:           136
        .value_kind:     by_value
    .group_segment_fixed_size: 0
    .kernarg_segment_align: 8
    .kernarg_segment_size: 136
    .language:       OpenCL C
    .language_version:
      - 2
      - 0
    .max_flat_workgroup_size: 256
    .name:           _ZN7rocprim17ROCPRIM_400000_NS6detail17trampoline_kernelINS0_14default_configENS1_25partition_config_selectorILNS1_17partition_subalgoE1EiNS0_10empty_typeEbEEZZNS1_14partition_implILS5_1ELb0ES3_jN6thrust23THRUST_200600_302600_NS6detail15normal_iteratorINSA_10device_ptrIiEEEEPS6_NSA_18transform_iteratorI7is_evenIiESF_NSA_11use_defaultESK_EENS0_5tupleIJSF_NSA_16discard_iteratorISK_EEEEENSM_IJSG_SG_EEES6_PlJS6_EEE10hipError_tPvRmT3_T4_T5_T6_T7_T9_mT8_P12ihipStream_tbDpT10_ENKUlT_T0_E_clISt17integral_constantIbLb1EES1A_IbLb0EEEEDaS16_S17_EUlS16_E_NS1_11comp_targetILNS1_3genE10ELNS1_11target_archE1200ELNS1_3gpuE4ELNS1_3repE0EEENS1_30default_config_static_selectorELNS0_4arch9wavefront6targetE1EEEvT1_
    .private_segment_fixed_size: 0
    .sgpr_count:     6
    .sgpr_spill_count: 0
    .symbol:         _ZN7rocprim17ROCPRIM_400000_NS6detail17trampoline_kernelINS0_14default_configENS1_25partition_config_selectorILNS1_17partition_subalgoE1EiNS0_10empty_typeEbEEZZNS1_14partition_implILS5_1ELb0ES3_jN6thrust23THRUST_200600_302600_NS6detail15normal_iteratorINSA_10device_ptrIiEEEEPS6_NSA_18transform_iteratorI7is_evenIiESF_NSA_11use_defaultESK_EENS0_5tupleIJSF_NSA_16discard_iteratorISK_EEEEENSM_IJSG_SG_EEES6_PlJS6_EEE10hipError_tPvRmT3_T4_T5_T6_T7_T9_mT8_P12ihipStream_tbDpT10_ENKUlT_T0_E_clISt17integral_constantIbLb1EES1A_IbLb0EEEEDaS16_S17_EUlS16_E_NS1_11comp_targetILNS1_3genE10ELNS1_11target_archE1200ELNS1_3gpuE4ELNS1_3repE0EEENS1_30default_config_static_selectorELNS0_4arch9wavefront6targetE1EEEvT1_.kd
    .uniform_work_group_size: 1
    .uses_dynamic_stack: false
    .vgpr_count:     0
    .vgpr_spill_count: 0
    .wavefront_size: 64
  - .agpr_count:     0
    .args:
      - .offset:         0
        .size:           136
        .value_kind:     by_value
    .group_segment_fixed_size: 0
    .kernarg_segment_align: 8
    .kernarg_segment_size: 136
    .language:       OpenCL C
    .language_version:
      - 2
      - 0
    .max_flat_workgroup_size: 128
    .name:           _ZN7rocprim17ROCPRIM_400000_NS6detail17trampoline_kernelINS0_14default_configENS1_25partition_config_selectorILNS1_17partition_subalgoE1EiNS0_10empty_typeEbEEZZNS1_14partition_implILS5_1ELb0ES3_jN6thrust23THRUST_200600_302600_NS6detail15normal_iteratorINSA_10device_ptrIiEEEEPS6_NSA_18transform_iteratorI7is_evenIiESF_NSA_11use_defaultESK_EENS0_5tupleIJSF_NSA_16discard_iteratorISK_EEEEENSM_IJSG_SG_EEES6_PlJS6_EEE10hipError_tPvRmT3_T4_T5_T6_T7_T9_mT8_P12ihipStream_tbDpT10_ENKUlT_T0_E_clISt17integral_constantIbLb1EES1A_IbLb0EEEEDaS16_S17_EUlS16_E_NS1_11comp_targetILNS1_3genE9ELNS1_11target_archE1100ELNS1_3gpuE3ELNS1_3repE0EEENS1_30default_config_static_selectorELNS0_4arch9wavefront6targetE1EEEvT1_
    .private_segment_fixed_size: 0
    .sgpr_count:     6
    .sgpr_spill_count: 0
    .symbol:         _ZN7rocprim17ROCPRIM_400000_NS6detail17trampoline_kernelINS0_14default_configENS1_25partition_config_selectorILNS1_17partition_subalgoE1EiNS0_10empty_typeEbEEZZNS1_14partition_implILS5_1ELb0ES3_jN6thrust23THRUST_200600_302600_NS6detail15normal_iteratorINSA_10device_ptrIiEEEEPS6_NSA_18transform_iteratorI7is_evenIiESF_NSA_11use_defaultESK_EENS0_5tupleIJSF_NSA_16discard_iteratorISK_EEEEENSM_IJSG_SG_EEES6_PlJS6_EEE10hipError_tPvRmT3_T4_T5_T6_T7_T9_mT8_P12ihipStream_tbDpT10_ENKUlT_T0_E_clISt17integral_constantIbLb1EES1A_IbLb0EEEEDaS16_S17_EUlS16_E_NS1_11comp_targetILNS1_3genE9ELNS1_11target_archE1100ELNS1_3gpuE3ELNS1_3repE0EEENS1_30default_config_static_selectorELNS0_4arch9wavefront6targetE1EEEvT1_.kd
    .uniform_work_group_size: 1
    .uses_dynamic_stack: false
    .vgpr_count:     0
    .vgpr_spill_count: 0
    .wavefront_size: 64
  - .agpr_count:     0
    .args:
      - .offset:         0
        .size:           136
        .value_kind:     by_value
    .group_segment_fixed_size: 0
    .kernarg_segment_align: 8
    .kernarg_segment_size: 136
    .language:       OpenCL C
    .language_version:
      - 2
      - 0
    .max_flat_workgroup_size: 512
    .name:           _ZN7rocprim17ROCPRIM_400000_NS6detail17trampoline_kernelINS0_14default_configENS1_25partition_config_selectorILNS1_17partition_subalgoE1EiNS0_10empty_typeEbEEZZNS1_14partition_implILS5_1ELb0ES3_jN6thrust23THRUST_200600_302600_NS6detail15normal_iteratorINSA_10device_ptrIiEEEEPS6_NSA_18transform_iteratorI7is_evenIiESF_NSA_11use_defaultESK_EENS0_5tupleIJSF_NSA_16discard_iteratorISK_EEEEENSM_IJSG_SG_EEES6_PlJS6_EEE10hipError_tPvRmT3_T4_T5_T6_T7_T9_mT8_P12ihipStream_tbDpT10_ENKUlT_T0_E_clISt17integral_constantIbLb1EES1A_IbLb0EEEEDaS16_S17_EUlS16_E_NS1_11comp_targetILNS1_3genE8ELNS1_11target_archE1030ELNS1_3gpuE2ELNS1_3repE0EEENS1_30default_config_static_selectorELNS0_4arch9wavefront6targetE1EEEvT1_
    .private_segment_fixed_size: 0
    .sgpr_count:     6
    .sgpr_spill_count: 0
    .symbol:         _ZN7rocprim17ROCPRIM_400000_NS6detail17trampoline_kernelINS0_14default_configENS1_25partition_config_selectorILNS1_17partition_subalgoE1EiNS0_10empty_typeEbEEZZNS1_14partition_implILS5_1ELb0ES3_jN6thrust23THRUST_200600_302600_NS6detail15normal_iteratorINSA_10device_ptrIiEEEEPS6_NSA_18transform_iteratorI7is_evenIiESF_NSA_11use_defaultESK_EENS0_5tupleIJSF_NSA_16discard_iteratorISK_EEEEENSM_IJSG_SG_EEES6_PlJS6_EEE10hipError_tPvRmT3_T4_T5_T6_T7_T9_mT8_P12ihipStream_tbDpT10_ENKUlT_T0_E_clISt17integral_constantIbLb1EES1A_IbLb0EEEEDaS16_S17_EUlS16_E_NS1_11comp_targetILNS1_3genE8ELNS1_11target_archE1030ELNS1_3gpuE2ELNS1_3repE0EEENS1_30default_config_static_selectorELNS0_4arch9wavefront6targetE1EEEvT1_.kd
    .uniform_work_group_size: 1
    .uses_dynamic_stack: false
    .vgpr_count:     0
    .vgpr_spill_count: 0
    .wavefront_size: 64
  - .agpr_count:     0
    .args:
      - .offset:         0
        .size:           152
        .value_kind:     by_value
    .group_segment_fixed_size: 0
    .kernarg_segment_align: 8
    .kernarg_segment_size: 152
    .language:       OpenCL C
    .language_version:
      - 2
      - 0
    .max_flat_workgroup_size: 256
    .name:           _ZN7rocprim17ROCPRIM_400000_NS6detail17trampoline_kernelINS0_14default_configENS1_25partition_config_selectorILNS1_17partition_subalgoE1EiNS0_10empty_typeEbEEZZNS1_14partition_implILS5_1ELb0ES3_jN6thrust23THRUST_200600_302600_NS6detail15normal_iteratorINSA_10device_ptrIiEEEEPS6_NSA_18transform_iteratorI7is_evenIiESF_NSA_11use_defaultESK_EENS0_5tupleIJSF_NSA_16discard_iteratorISK_EEEEENSM_IJSG_SG_EEES6_PlJS6_EEE10hipError_tPvRmT3_T4_T5_T6_T7_T9_mT8_P12ihipStream_tbDpT10_ENKUlT_T0_E_clISt17integral_constantIbLb0EES1A_IbLb1EEEEDaS16_S17_EUlS16_E_NS1_11comp_targetILNS1_3genE0ELNS1_11target_archE4294967295ELNS1_3gpuE0ELNS1_3repE0EEENS1_30default_config_static_selectorELNS0_4arch9wavefront6targetE1EEEvT1_
    .private_segment_fixed_size: 0
    .sgpr_count:     6
    .sgpr_spill_count: 0
    .symbol:         _ZN7rocprim17ROCPRIM_400000_NS6detail17trampoline_kernelINS0_14default_configENS1_25partition_config_selectorILNS1_17partition_subalgoE1EiNS0_10empty_typeEbEEZZNS1_14partition_implILS5_1ELb0ES3_jN6thrust23THRUST_200600_302600_NS6detail15normal_iteratorINSA_10device_ptrIiEEEEPS6_NSA_18transform_iteratorI7is_evenIiESF_NSA_11use_defaultESK_EENS0_5tupleIJSF_NSA_16discard_iteratorISK_EEEEENSM_IJSG_SG_EEES6_PlJS6_EEE10hipError_tPvRmT3_T4_T5_T6_T7_T9_mT8_P12ihipStream_tbDpT10_ENKUlT_T0_E_clISt17integral_constantIbLb0EES1A_IbLb1EEEEDaS16_S17_EUlS16_E_NS1_11comp_targetILNS1_3genE0ELNS1_11target_archE4294967295ELNS1_3gpuE0ELNS1_3repE0EEENS1_30default_config_static_selectorELNS0_4arch9wavefront6targetE1EEEvT1_.kd
    .uniform_work_group_size: 1
    .uses_dynamic_stack: false
    .vgpr_count:     0
    .vgpr_spill_count: 0
    .wavefront_size: 64
  - .agpr_count:     0
    .args:
      - .offset:         0
        .size:           152
        .value_kind:     by_value
    .group_segment_fixed_size: 30728
    .kernarg_segment_align: 8
    .kernarg_segment_size: 152
    .language:       OpenCL C
    .language_version:
      - 2
      - 0
    .max_flat_workgroup_size: 512
    .name:           _ZN7rocprim17ROCPRIM_400000_NS6detail17trampoline_kernelINS0_14default_configENS1_25partition_config_selectorILNS1_17partition_subalgoE1EiNS0_10empty_typeEbEEZZNS1_14partition_implILS5_1ELb0ES3_jN6thrust23THRUST_200600_302600_NS6detail15normal_iteratorINSA_10device_ptrIiEEEEPS6_NSA_18transform_iteratorI7is_evenIiESF_NSA_11use_defaultESK_EENS0_5tupleIJSF_NSA_16discard_iteratorISK_EEEEENSM_IJSG_SG_EEES6_PlJS6_EEE10hipError_tPvRmT3_T4_T5_T6_T7_T9_mT8_P12ihipStream_tbDpT10_ENKUlT_T0_E_clISt17integral_constantIbLb0EES1A_IbLb1EEEEDaS16_S17_EUlS16_E_NS1_11comp_targetILNS1_3genE5ELNS1_11target_archE942ELNS1_3gpuE9ELNS1_3repE0EEENS1_30default_config_static_selectorELNS0_4arch9wavefront6targetE1EEEvT1_
    .private_segment_fixed_size: 0
    .sgpr_count:     46
    .sgpr_spill_count: 0
    .symbol:         _ZN7rocprim17ROCPRIM_400000_NS6detail17trampoline_kernelINS0_14default_configENS1_25partition_config_selectorILNS1_17partition_subalgoE1EiNS0_10empty_typeEbEEZZNS1_14partition_implILS5_1ELb0ES3_jN6thrust23THRUST_200600_302600_NS6detail15normal_iteratorINSA_10device_ptrIiEEEEPS6_NSA_18transform_iteratorI7is_evenIiESF_NSA_11use_defaultESK_EENS0_5tupleIJSF_NSA_16discard_iteratorISK_EEEEENSM_IJSG_SG_EEES6_PlJS6_EEE10hipError_tPvRmT3_T4_T5_T6_T7_T9_mT8_P12ihipStream_tbDpT10_ENKUlT_T0_E_clISt17integral_constantIbLb0EES1A_IbLb1EEEEDaS16_S17_EUlS16_E_NS1_11comp_targetILNS1_3genE5ELNS1_11target_archE942ELNS1_3gpuE9ELNS1_3repE0EEENS1_30default_config_static_selectorELNS0_4arch9wavefront6targetE1EEEvT1_.kd
    .uniform_work_group_size: 1
    .uses_dynamic_stack: false
    .vgpr_count:     67
    .vgpr_spill_count: 0
    .wavefront_size: 64
  - .agpr_count:     0
    .args:
      - .offset:         0
        .size:           152
        .value_kind:     by_value
    .group_segment_fixed_size: 0
    .kernarg_segment_align: 8
    .kernarg_segment_size: 152
    .language:       OpenCL C
    .language_version:
      - 2
      - 0
    .max_flat_workgroup_size: 256
    .name:           _ZN7rocprim17ROCPRIM_400000_NS6detail17trampoline_kernelINS0_14default_configENS1_25partition_config_selectorILNS1_17partition_subalgoE1EiNS0_10empty_typeEbEEZZNS1_14partition_implILS5_1ELb0ES3_jN6thrust23THRUST_200600_302600_NS6detail15normal_iteratorINSA_10device_ptrIiEEEEPS6_NSA_18transform_iteratorI7is_evenIiESF_NSA_11use_defaultESK_EENS0_5tupleIJSF_NSA_16discard_iteratorISK_EEEEENSM_IJSG_SG_EEES6_PlJS6_EEE10hipError_tPvRmT3_T4_T5_T6_T7_T9_mT8_P12ihipStream_tbDpT10_ENKUlT_T0_E_clISt17integral_constantIbLb0EES1A_IbLb1EEEEDaS16_S17_EUlS16_E_NS1_11comp_targetILNS1_3genE4ELNS1_11target_archE910ELNS1_3gpuE8ELNS1_3repE0EEENS1_30default_config_static_selectorELNS0_4arch9wavefront6targetE1EEEvT1_
    .private_segment_fixed_size: 0
    .sgpr_count:     6
    .sgpr_spill_count: 0
    .symbol:         _ZN7rocprim17ROCPRIM_400000_NS6detail17trampoline_kernelINS0_14default_configENS1_25partition_config_selectorILNS1_17partition_subalgoE1EiNS0_10empty_typeEbEEZZNS1_14partition_implILS5_1ELb0ES3_jN6thrust23THRUST_200600_302600_NS6detail15normal_iteratorINSA_10device_ptrIiEEEEPS6_NSA_18transform_iteratorI7is_evenIiESF_NSA_11use_defaultESK_EENS0_5tupleIJSF_NSA_16discard_iteratorISK_EEEEENSM_IJSG_SG_EEES6_PlJS6_EEE10hipError_tPvRmT3_T4_T5_T6_T7_T9_mT8_P12ihipStream_tbDpT10_ENKUlT_T0_E_clISt17integral_constantIbLb0EES1A_IbLb1EEEEDaS16_S17_EUlS16_E_NS1_11comp_targetILNS1_3genE4ELNS1_11target_archE910ELNS1_3gpuE8ELNS1_3repE0EEENS1_30default_config_static_selectorELNS0_4arch9wavefront6targetE1EEEvT1_.kd
    .uniform_work_group_size: 1
    .uses_dynamic_stack: false
    .vgpr_count:     0
    .vgpr_spill_count: 0
    .wavefront_size: 64
  - .agpr_count:     0
    .args:
      - .offset:         0
        .size:           152
        .value_kind:     by_value
    .group_segment_fixed_size: 0
    .kernarg_segment_align: 8
    .kernarg_segment_size: 152
    .language:       OpenCL C
    .language_version:
      - 2
      - 0
    .max_flat_workgroup_size: 256
    .name:           _ZN7rocprim17ROCPRIM_400000_NS6detail17trampoline_kernelINS0_14default_configENS1_25partition_config_selectorILNS1_17partition_subalgoE1EiNS0_10empty_typeEbEEZZNS1_14partition_implILS5_1ELb0ES3_jN6thrust23THRUST_200600_302600_NS6detail15normal_iteratorINSA_10device_ptrIiEEEEPS6_NSA_18transform_iteratorI7is_evenIiESF_NSA_11use_defaultESK_EENS0_5tupleIJSF_NSA_16discard_iteratorISK_EEEEENSM_IJSG_SG_EEES6_PlJS6_EEE10hipError_tPvRmT3_T4_T5_T6_T7_T9_mT8_P12ihipStream_tbDpT10_ENKUlT_T0_E_clISt17integral_constantIbLb0EES1A_IbLb1EEEEDaS16_S17_EUlS16_E_NS1_11comp_targetILNS1_3genE3ELNS1_11target_archE908ELNS1_3gpuE7ELNS1_3repE0EEENS1_30default_config_static_selectorELNS0_4arch9wavefront6targetE1EEEvT1_
    .private_segment_fixed_size: 0
    .sgpr_count:     6
    .sgpr_spill_count: 0
    .symbol:         _ZN7rocprim17ROCPRIM_400000_NS6detail17trampoline_kernelINS0_14default_configENS1_25partition_config_selectorILNS1_17partition_subalgoE1EiNS0_10empty_typeEbEEZZNS1_14partition_implILS5_1ELb0ES3_jN6thrust23THRUST_200600_302600_NS6detail15normal_iteratorINSA_10device_ptrIiEEEEPS6_NSA_18transform_iteratorI7is_evenIiESF_NSA_11use_defaultESK_EENS0_5tupleIJSF_NSA_16discard_iteratorISK_EEEEENSM_IJSG_SG_EEES6_PlJS6_EEE10hipError_tPvRmT3_T4_T5_T6_T7_T9_mT8_P12ihipStream_tbDpT10_ENKUlT_T0_E_clISt17integral_constantIbLb0EES1A_IbLb1EEEEDaS16_S17_EUlS16_E_NS1_11comp_targetILNS1_3genE3ELNS1_11target_archE908ELNS1_3gpuE7ELNS1_3repE0EEENS1_30default_config_static_selectorELNS0_4arch9wavefront6targetE1EEEvT1_.kd
    .uniform_work_group_size: 1
    .uses_dynamic_stack: false
    .vgpr_count:     0
    .vgpr_spill_count: 0
    .wavefront_size: 64
  - .agpr_count:     0
    .args:
      - .offset:         0
        .size:           152
        .value_kind:     by_value
    .group_segment_fixed_size: 0
    .kernarg_segment_align: 8
    .kernarg_segment_size: 152
    .language:       OpenCL C
    .language_version:
      - 2
      - 0
    .max_flat_workgroup_size: 256
    .name:           _ZN7rocprim17ROCPRIM_400000_NS6detail17trampoline_kernelINS0_14default_configENS1_25partition_config_selectorILNS1_17partition_subalgoE1EiNS0_10empty_typeEbEEZZNS1_14partition_implILS5_1ELb0ES3_jN6thrust23THRUST_200600_302600_NS6detail15normal_iteratorINSA_10device_ptrIiEEEEPS6_NSA_18transform_iteratorI7is_evenIiESF_NSA_11use_defaultESK_EENS0_5tupleIJSF_NSA_16discard_iteratorISK_EEEEENSM_IJSG_SG_EEES6_PlJS6_EEE10hipError_tPvRmT3_T4_T5_T6_T7_T9_mT8_P12ihipStream_tbDpT10_ENKUlT_T0_E_clISt17integral_constantIbLb0EES1A_IbLb1EEEEDaS16_S17_EUlS16_E_NS1_11comp_targetILNS1_3genE2ELNS1_11target_archE906ELNS1_3gpuE6ELNS1_3repE0EEENS1_30default_config_static_selectorELNS0_4arch9wavefront6targetE1EEEvT1_
    .private_segment_fixed_size: 0
    .sgpr_count:     6
    .sgpr_spill_count: 0
    .symbol:         _ZN7rocprim17ROCPRIM_400000_NS6detail17trampoline_kernelINS0_14default_configENS1_25partition_config_selectorILNS1_17partition_subalgoE1EiNS0_10empty_typeEbEEZZNS1_14partition_implILS5_1ELb0ES3_jN6thrust23THRUST_200600_302600_NS6detail15normal_iteratorINSA_10device_ptrIiEEEEPS6_NSA_18transform_iteratorI7is_evenIiESF_NSA_11use_defaultESK_EENS0_5tupleIJSF_NSA_16discard_iteratorISK_EEEEENSM_IJSG_SG_EEES6_PlJS6_EEE10hipError_tPvRmT3_T4_T5_T6_T7_T9_mT8_P12ihipStream_tbDpT10_ENKUlT_T0_E_clISt17integral_constantIbLb0EES1A_IbLb1EEEEDaS16_S17_EUlS16_E_NS1_11comp_targetILNS1_3genE2ELNS1_11target_archE906ELNS1_3gpuE6ELNS1_3repE0EEENS1_30default_config_static_selectorELNS0_4arch9wavefront6targetE1EEEvT1_.kd
    .uniform_work_group_size: 1
    .uses_dynamic_stack: false
    .vgpr_count:     0
    .vgpr_spill_count: 0
    .wavefront_size: 64
  - .agpr_count:     0
    .args:
      - .offset:         0
        .size:           152
        .value_kind:     by_value
    .group_segment_fixed_size: 0
    .kernarg_segment_align: 8
    .kernarg_segment_size: 152
    .language:       OpenCL C
    .language_version:
      - 2
      - 0
    .max_flat_workgroup_size: 256
    .name:           _ZN7rocprim17ROCPRIM_400000_NS6detail17trampoline_kernelINS0_14default_configENS1_25partition_config_selectorILNS1_17partition_subalgoE1EiNS0_10empty_typeEbEEZZNS1_14partition_implILS5_1ELb0ES3_jN6thrust23THRUST_200600_302600_NS6detail15normal_iteratorINSA_10device_ptrIiEEEEPS6_NSA_18transform_iteratorI7is_evenIiESF_NSA_11use_defaultESK_EENS0_5tupleIJSF_NSA_16discard_iteratorISK_EEEEENSM_IJSG_SG_EEES6_PlJS6_EEE10hipError_tPvRmT3_T4_T5_T6_T7_T9_mT8_P12ihipStream_tbDpT10_ENKUlT_T0_E_clISt17integral_constantIbLb0EES1A_IbLb1EEEEDaS16_S17_EUlS16_E_NS1_11comp_targetILNS1_3genE10ELNS1_11target_archE1200ELNS1_3gpuE4ELNS1_3repE0EEENS1_30default_config_static_selectorELNS0_4arch9wavefront6targetE1EEEvT1_
    .private_segment_fixed_size: 0
    .sgpr_count:     6
    .sgpr_spill_count: 0
    .symbol:         _ZN7rocprim17ROCPRIM_400000_NS6detail17trampoline_kernelINS0_14default_configENS1_25partition_config_selectorILNS1_17partition_subalgoE1EiNS0_10empty_typeEbEEZZNS1_14partition_implILS5_1ELb0ES3_jN6thrust23THRUST_200600_302600_NS6detail15normal_iteratorINSA_10device_ptrIiEEEEPS6_NSA_18transform_iteratorI7is_evenIiESF_NSA_11use_defaultESK_EENS0_5tupleIJSF_NSA_16discard_iteratorISK_EEEEENSM_IJSG_SG_EEES6_PlJS6_EEE10hipError_tPvRmT3_T4_T5_T6_T7_T9_mT8_P12ihipStream_tbDpT10_ENKUlT_T0_E_clISt17integral_constantIbLb0EES1A_IbLb1EEEEDaS16_S17_EUlS16_E_NS1_11comp_targetILNS1_3genE10ELNS1_11target_archE1200ELNS1_3gpuE4ELNS1_3repE0EEENS1_30default_config_static_selectorELNS0_4arch9wavefront6targetE1EEEvT1_.kd
    .uniform_work_group_size: 1
    .uses_dynamic_stack: false
    .vgpr_count:     0
    .vgpr_spill_count: 0
    .wavefront_size: 64
  - .agpr_count:     0
    .args:
      - .offset:         0
        .size:           152
        .value_kind:     by_value
    .group_segment_fixed_size: 0
    .kernarg_segment_align: 8
    .kernarg_segment_size: 152
    .language:       OpenCL C
    .language_version:
      - 2
      - 0
    .max_flat_workgroup_size: 128
    .name:           _ZN7rocprim17ROCPRIM_400000_NS6detail17trampoline_kernelINS0_14default_configENS1_25partition_config_selectorILNS1_17partition_subalgoE1EiNS0_10empty_typeEbEEZZNS1_14partition_implILS5_1ELb0ES3_jN6thrust23THRUST_200600_302600_NS6detail15normal_iteratorINSA_10device_ptrIiEEEEPS6_NSA_18transform_iteratorI7is_evenIiESF_NSA_11use_defaultESK_EENS0_5tupleIJSF_NSA_16discard_iteratorISK_EEEEENSM_IJSG_SG_EEES6_PlJS6_EEE10hipError_tPvRmT3_T4_T5_T6_T7_T9_mT8_P12ihipStream_tbDpT10_ENKUlT_T0_E_clISt17integral_constantIbLb0EES1A_IbLb1EEEEDaS16_S17_EUlS16_E_NS1_11comp_targetILNS1_3genE9ELNS1_11target_archE1100ELNS1_3gpuE3ELNS1_3repE0EEENS1_30default_config_static_selectorELNS0_4arch9wavefront6targetE1EEEvT1_
    .private_segment_fixed_size: 0
    .sgpr_count:     6
    .sgpr_spill_count: 0
    .symbol:         _ZN7rocprim17ROCPRIM_400000_NS6detail17trampoline_kernelINS0_14default_configENS1_25partition_config_selectorILNS1_17partition_subalgoE1EiNS0_10empty_typeEbEEZZNS1_14partition_implILS5_1ELb0ES3_jN6thrust23THRUST_200600_302600_NS6detail15normal_iteratorINSA_10device_ptrIiEEEEPS6_NSA_18transform_iteratorI7is_evenIiESF_NSA_11use_defaultESK_EENS0_5tupleIJSF_NSA_16discard_iteratorISK_EEEEENSM_IJSG_SG_EEES6_PlJS6_EEE10hipError_tPvRmT3_T4_T5_T6_T7_T9_mT8_P12ihipStream_tbDpT10_ENKUlT_T0_E_clISt17integral_constantIbLb0EES1A_IbLb1EEEEDaS16_S17_EUlS16_E_NS1_11comp_targetILNS1_3genE9ELNS1_11target_archE1100ELNS1_3gpuE3ELNS1_3repE0EEENS1_30default_config_static_selectorELNS0_4arch9wavefront6targetE1EEEvT1_.kd
    .uniform_work_group_size: 1
    .uses_dynamic_stack: false
    .vgpr_count:     0
    .vgpr_spill_count: 0
    .wavefront_size: 64
  - .agpr_count:     0
    .args:
      - .offset:         0
        .size:           152
        .value_kind:     by_value
    .group_segment_fixed_size: 0
    .kernarg_segment_align: 8
    .kernarg_segment_size: 152
    .language:       OpenCL C
    .language_version:
      - 2
      - 0
    .max_flat_workgroup_size: 512
    .name:           _ZN7rocprim17ROCPRIM_400000_NS6detail17trampoline_kernelINS0_14default_configENS1_25partition_config_selectorILNS1_17partition_subalgoE1EiNS0_10empty_typeEbEEZZNS1_14partition_implILS5_1ELb0ES3_jN6thrust23THRUST_200600_302600_NS6detail15normal_iteratorINSA_10device_ptrIiEEEEPS6_NSA_18transform_iteratorI7is_evenIiESF_NSA_11use_defaultESK_EENS0_5tupleIJSF_NSA_16discard_iteratorISK_EEEEENSM_IJSG_SG_EEES6_PlJS6_EEE10hipError_tPvRmT3_T4_T5_T6_T7_T9_mT8_P12ihipStream_tbDpT10_ENKUlT_T0_E_clISt17integral_constantIbLb0EES1A_IbLb1EEEEDaS16_S17_EUlS16_E_NS1_11comp_targetILNS1_3genE8ELNS1_11target_archE1030ELNS1_3gpuE2ELNS1_3repE0EEENS1_30default_config_static_selectorELNS0_4arch9wavefront6targetE1EEEvT1_
    .private_segment_fixed_size: 0
    .sgpr_count:     6
    .sgpr_spill_count: 0
    .symbol:         _ZN7rocprim17ROCPRIM_400000_NS6detail17trampoline_kernelINS0_14default_configENS1_25partition_config_selectorILNS1_17partition_subalgoE1EiNS0_10empty_typeEbEEZZNS1_14partition_implILS5_1ELb0ES3_jN6thrust23THRUST_200600_302600_NS6detail15normal_iteratorINSA_10device_ptrIiEEEEPS6_NSA_18transform_iteratorI7is_evenIiESF_NSA_11use_defaultESK_EENS0_5tupleIJSF_NSA_16discard_iteratorISK_EEEEENSM_IJSG_SG_EEES6_PlJS6_EEE10hipError_tPvRmT3_T4_T5_T6_T7_T9_mT8_P12ihipStream_tbDpT10_ENKUlT_T0_E_clISt17integral_constantIbLb0EES1A_IbLb1EEEEDaS16_S17_EUlS16_E_NS1_11comp_targetILNS1_3genE8ELNS1_11target_archE1030ELNS1_3gpuE2ELNS1_3repE0EEENS1_30default_config_static_selectorELNS0_4arch9wavefront6targetE1EEEvT1_.kd
    .uniform_work_group_size: 1
    .uses_dynamic_stack: false
    .vgpr_count:     0
    .vgpr_spill_count: 0
    .wavefront_size: 64
  - .agpr_count:     0
    .args:
      - .offset:         0
        .size:           136
        .value_kind:     by_value
    .group_segment_fixed_size: 0
    .kernarg_segment_align: 8
    .kernarg_segment_size: 136
    .language:       OpenCL C
    .language_version:
      - 2
      - 0
    .max_flat_workgroup_size: 256
    .name:           _ZN7rocprim17ROCPRIM_400000_NS6detail17trampoline_kernelINS0_14default_configENS1_25partition_config_selectorILNS1_17partition_subalgoE1EiNS0_10empty_typeEbEEZZNS1_14partition_implILS5_1ELb0ES3_jN6thrust23THRUST_200600_302600_NS6detail15normal_iteratorINSA_10device_ptrIiEEEEPS6_NSA_18transform_iteratorI7is_evenIiESF_NSA_11use_defaultESK_EENS0_5tupleIJNSA_16discard_iteratorISK_EESF_EEENSM_IJSG_SG_EEES6_PlJS6_EEE10hipError_tPvRmT3_T4_T5_T6_T7_T9_mT8_P12ihipStream_tbDpT10_ENKUlT_T0_E_clISt17integral_constantIbLb0EES1B_EEDaS16_S17_EUlS16_E_NS1_11comp_targetILNS1_3genE0ELNS1_11target_archE4294967295ELNS1_3gpuE0ELNS1_3repE0EEENS1_30default_config_static_selectorELNS0_4arch9wavefront6targetE1EEEvT1_
    .private_segment_fixed_size: 0
    .sgpr_count:     6
    .sgpr_spill_count: 0
    .symbol:         _ZN7rocprim17ROCPRIM_400000_NS6detail17trampoline_kernelINS0_14default_configENS1_25partition_config_selectorILNS1_17partition_subalgoE1EiNS0_10empty_typeEbEEZZNS1_14partition_implILS5_1ELb0ES3_jN6thrust23THRUST_200600_302600_NS6detail15normal_iteratorINSA_10device_ptrIiEEEEPS6_NSA_18transform_iteratorI7is_evenIiESF_NSA_11use_defaultESK_EENS0_5tupleIJNSA_16discard_iteratorISK_EESF_EEENSM_IJSG_SG_EEES6_PlJS6_EEE10hipError_tPvRmT3_T4_T5_T6_T7_T9_mT8_P12ihipStream_tbDpT10_ENKUlT_T0_E_clISt17integral_constantIbLb0EES1B_EEDaS16_S17_EUlS16_E_NS1_11comp_targetILNS1_3genE0ELNS1_11target_archE4294967295ELNS1_3gpuE0ELNS1_3repE0EEENS1_30default_config_static_selectorELNS0_4arch9wavefront6targetE1EEEvT1_.kd
    .uniform_work_group_size: 1
    .uses_dynamic_stack: false
    .vgpr_count:     0
    .vgpr_spill_count: 0
    .wavefront_size: 64
  - .agpr_count:     0
    .args:
      - .offset:         0
        .size:           136
        .value_kind:     by_value
    .group_segment_fixed_size: 30728
    .kernarg_segment_align: 8
    .kernarg_segment_size: 136
    .language:       OpenCL C
    .language_version:
      - 2
      - 0
    .max_flat_workgroup_size: 512
    .name:           _ZN7rocprim17ROCPRIM_400000_NS6detail17trampoline_kernelINS0_14default_configENS1_25partition_config_selectorILNS1_17partition_subalgoE1EiNS0_10empty_typeEbEEZZNS1_14partition_implILS5_1ELb0ES3_jN6thrust23THRUST_200600_302600_NS6detail15normal_iteratorINSA_10device_ptrIiEEEEPS6_NSA_18transform_iteratorI7is_evenIiESF_NSA_11use_defaultESK_EENS0_5tupleIJNSA_16discard_iteratorISK_EESF_EEENSM_IJSG_SG_EEES6_PlJS6_EEE10hipError_tPvRmT3_T4_T5_T6_T7_T9_mT8_P12ihipStream_tbDpT10_ENKUlT_T0_E_clISt17integral_constantIbLb0EES1B_EEDaS16_S17_EUlS16_E_NS1_11comp_targetILNS1_3genE5ELNS1_11target_archE942ELNS1_3gpuE9ELNS1_3repE0EEENS1_30default_config_static_selectorELNS0_4arch9wavefront6targetE1EEEvT1_
    .private_segment_fixed_size: 0
    .sgpr_count:     50
    .sgpr_spill_count: 0
    .symbol:         _ZN7rocprim17ROCPRIM_400000_NS6detail17trampoline_kernelINS0_14default_configENS1_25partition_config_selectorILNS1_17partition_subalgoE1EiNS0_10empty_typeEbEEZZNS1_14partition_implILS5_1ELb0ES3_jN6thrust23THRUST_200600_302600_NS6detail15normal_iteratorINSA_10device_ptrIiEEEEPS6_NSA_18transform_iteratorI7is_evenIiESF_NSA_11use_defaultESK_EENS0_5tupleIJNSA_16discard_iteratorISK_EESF_EEENSM_IJSG_SG_EEES6_PlJS6_EEE10hipError_tPvRmT3_T4_T5_T6_T7_T9_mT8_P12ihipStream_tbDpT10_ENKUlT_T0_E_clISt17integral_constantIbLb0EES1B_EEDaS16_S17_EUlS16_E_NS1_11comp_targetILNS1_3genE5ELNS1_11target_archE942ELNS1_3gpuE9ELNS1_3repE0EEENS1_30default_config_static_selectorELNS0_4arch9wavefront6targetE1EEEvT1_.kd
    .uniform_work_group_size: 1
    .uses_dynamic_stack: false
    .vgpr_count:     65
    .vgpr_spill_count: 0
    .wavefront_size: 64
  - .agpr_count:     0
    .args:
      - .offset:         0
        .size:           136
        .value_kind:     by_value
    .group_segment_fixed_size: 0
    .kernarg_segment_align: 8
    .kernarg_segment_size: 136
    .language:       OpenCL C
    .language_version:
      - 2
      - 0
    .max_flat_workgroup_size: 256
    .name:           _ZN7rocprim17ROCPRIM_400000_NS6detail17trampoline_kernelINS0_14default_configENS1_25partition_config_selectorILNS1_17partition_subalgoE1EiNS0_10empty_typeEbEEZZNS1_14partition_implILS5_1ELb0ES3_jN6thrust23THRUST_200600_302600_NS6detail15normal_iteratorINSA_10device_ptrIiEEEEPS6_NSA_18transform_iteratorI7is_evenIiESF_NSA_11use_defaultESK_EENS0_5tupleIJNSA_16discard_iteratorISK_EESF_EEENSM_IJSG_SG_EEES6_PlJS6_EEE10hipError_tPvRmT3_T4_T5_T6_T7_T9_mT8_P12ihipStream_tbDpT10_ENKUlT_T0_E_clISt17integral_constantIbLb0EES1B_EEDaS16_S17_EUlS16_E_NS1_11comp_targetILNS1_3genE4ELNS1_11target_archE910ELNS1_3gpuE8ELNS1_3repE0EEENS1_30default_config_static_selectorELNS0_4arch9wavefront6targetE1EEEvT1_
    .private_segment_fixed_size: 0
    .sgpr_count:     6
    .sgpr_spill_count: 0
    .symbol:         _ZN7rocprim17ROCPRIM_400000_NS6detail17trampoline_kernelINS0_14default_configENS1_25partition_config_selectorILNS1_17partition_subalgoE1EiNS0_10empty_typeEbEEZZNS1_14partition_implILS5_1ELb0ES3_jN6thrust23THRUST_200600_302600_NS6detail15normal_iteratorINSA_10device_ptrIiEEEEPS6_NSA_18transform_iteratorI7is_evenIiESF_NSA_11use_defaultESK_EENS0_5tupleIJNSA_16discard_iteratorISK_EESF_EEENSM_IJSG_SG_EEES6_PlJS6_EEE10hipError_tPvRmT3_T4_T5_T6_T7_T9_mT8_P12ihipStream_tbDpT10_ENKUlT_T0_E_clISt17integral_constantIbLb0EES1B_EEDaS16_S17_EUlS16_E_NS1_11comp_targetILNS1_3genE4ELNS1_11target_archE910ELNS1_3gpuE8ELNS1_3repE0EEENS1_30default_config_static_selectorELNS0_4arch9wavefront6targetE1EEEvT1_.kd
    .uniform_work_group_size: 1
    .uses_dynamic_stack: false
    .vgpr_count:     0
    .vgpr_spill_count: 0
    .wavefront_size: 64
  - .agpr_count:     0
    .args:
      - .offset:         0
        .size:           136
        .value_kind:     by_value
    .group_segment_fixed_size: 0
    .kernarg_segment_align: 8
    .kernarg_segment_size: 136
    .language:       OpenCL C
    .language_version:
      - 2
      - 0
    .max_flat_workgroup_size: 256
    .name:           _ZN7rocprim17ROCPRIM_400000_NS6detail17trampoline_kernelINS0_14default_configENS1_25partition_config_selectorILNS1_17partition_subalgoE1EiNS0_10empty_typeEbEEZZNS1_14partition_implILS5_1ELb0ES3_jN6thrust23THRUST_200600_302600_NS6detail15normal_iteratorINSA_10device_ptrIiEEEEPS6_NSA_18transform_iteratorI7is_evenIiESF_NSA_11use_defaultESK_EENS0_5tupleIJNSA_16discard_iteratorISK_EESF_EEENSM_IJSG_SG_EEES6_PlJS6_EEE10hipError_tPvRmT3_T4_T5_T6_T7_T9_mT8_P12ihipStream_tbDpT10_ENKUlT_T0_E_clISt17integral_constantIbLb0EES1B_EEDaS16_S17_EUlS16_E_NS1_11comp_targetILNS1_3genE3ELNS1_11target_archE908ELNS1_3gpuE7ELNS1_3repE0EEENS1_30default_config_static_selectorELNS0_4arch9wavefront6targetE1EEEvT1_
    .private_segment_fixed_size: 0
    .sgpr_count:     6
    .sgpr_spill_count: 0
    .symbol:         _ZN7rocprim17ROCPRIM_400000_NS6detail17trampoline_kernelINS0_14default_configENS1_25partition_config_selectorILNS1_17partition_subalgoE1EiNS0_10empty_typeEbEEZZNS1_14partition_implILS5_1ELb0ES3_jN6thrust23THRUST_200600_302600_NS6detail15normal_iteratorINSA_10device_ptrIiEEEEPS6_NSA_18transform_iteratorI7is_evenIiESF_NSA_11use_defaultESK_EENS0_5tupleIJNSA_16discard_iteratorISK_EESF_EEENSM_IJSG_SG_EEES6_PlJS6_EEE10hipError_tPvRmT3_T4_T5_T6_T7_T9_mT8_P12ihipStream_tbDpT10_ENKUlT_T0_E_clISt17integral_constantIbLb0EES1B_EEDaS16_S17_EUlS16_E_NS1_11comp_targetILNS1_3genE3ELNS1_11target_archE908ELNS1_3gpuE7ELNS1_3repE0EEENS1_30default_config_static_selectorELNS0_4arch9wavefront6targetE1EEEvT1_.kd
    .uniform_work_group_size: 1
    .uses_dynamic_stack: false
    .vgpr_count:     0
    .vgpr_spill_count: 0
    .wavefront_size: 64
  - .agpr_count:     0
    .args:
      - .offset:         0
        .size:           136
        .value_kind:     by_value
    .group_segment_fixed_size: 0
    .kernarg_segment_align: 8
    .kernarg_segment_size: 136
    .language:       OpenCL C
    .language_version:
      - 2
      - 0
    .max_flat_workgroup_size: 256
    .name:           _ZN7rocprim17ROCPRIM_400000_NS6detail17trampoline_kernelINS0_14default_configENS1_25partition_config_selectorILNS1_17partition_subalgoE1EiNS0_10empty_typeEbEEZZNS1_14partition_implILS5_1ELb0ES3_jN6thrust23THRUST_200600_302600_NS6detail15normal_iteratorINSA_10device_ptrIiEEEEPS6_NSA_18transform_iteratorI7is_evenIiESF_NSA_11use_defaultESK_EENS0_5tupleIJNSA_16discard_iteratorISK_EESF_EEENSM_IJSG_SG_EEES6_PlJS6_EEE10hipError_tPvRmT3_T4_T5_T6_T7_T9_mT8_P12ihipStream_tbDpT10_ENKUlT_T0_E_clISt17integral_constantIbLb0EES1B_EEDaS16_S17_EUlS16_E_NS1_11comp_targetILNS1_3genE2ELNS1_11target_archE906ELNS1_3gpuE6ELNS1_3repE0EEENS1_30default_config_static_selectorELNS0_4arch9wavefront6targetE1EEEvT1_
    .private_segment_fixed_size: 0
    .sgpr_count:     6
    .sgpr_spill_count: 0
    .symbol:         _ZN7rocprim17ROCPRIM_400000_NS6detail17trampoline_kernelINS0_14default_configENS1_25partition_config_selectorILNS1_17partition_subalgoE1EiNS0_10empty_typeEbEEZZNS1_14partition_implILS5_1ELb0ES3_jN6thrust23THRUST_200600_302600_NS6detail15normal_iteratorINSA_10device_ptrIiEEEEPS6_NSA_18transform_iteratorI7is_evenIiESF_NSA_11use_defaultESK_EENS0_5tupleIJNSA_16discard_iteratorISK_EESF_EEENSM_IJSG_SG_EEES6_PlJS6_EEE10hipError_tPvRmT3_T4_T5_T6_T7_T9_mT8_P12ihipStream_tbDpT10_ENKUlT_T0_E_clISt17integral_constantIbLb0EES1B_EEDaS16_S17_EUlS16_E_NS1_11comp_targetILNS1_3genE2ELNS1_11target_archE906ELNS1_3gpuE6ELNS1_3repE0EEENS1_30default_config_static_selectorELNS0_4arch9wavefront6targetE1EEEvT1_.kd
    .uniform_work_group_size: 1
    .uses_dynamic_stack: false
    .vgpr_count:     0
    .vgpr_spill_count: 0
    .wavefront_size: 64
  - .agpr_count:     0
    .args:
      - .offset:         0
        .size:           136
        .value_kind:     by_value
    .group_segment_fixed_size: 0
    .kernarg_segment_align: 8
    .kernarg_segment_size: 136
    .language:       OpenCL C
    .language_version:
      - 2
      - 0
    .max_flat_workgroup_size: 256
    .name:           _ZN7rocprim17ROCPRIM_400000_NS6detail17trampoline_kernelINS0_14default_configENS1_25partition_config_selectorILNS1_17partition_subalgoE1EiNS0_10empty_typeEbEEZZNS1_14partition_implILS5_1ELb0ES3_jN6thrust23THRUST_200600_302600_NS6detail15normal_iteratorINSA_10device_ptrIiEEEEPS6_NSA_18transform_iteratorI7is_evenIiESF_NSA_11use_defaultESK_EENS0_5tupleIJNSA_16discard_iteratorISK_EESF_EEENSM_IJSG_SG_EEES6_PlJS6_EEE10hipError_tPvRmT3_T4_T5_T6_T7_T9_mT8_P12ihipStream_tbDpT10_ENKUlT_T0_E_clISt17integral_constantIbLb0EES1B_EEDaS16_S17_EUlS16_E_NS1_11comp_targetILNS1_3genE10ELNS1_11target_archE1200ELNS1_3gpuE4ELNS1_3repE0EEENS1_30default_config_static_selectorELNS0_4arch9wavefront6targetE1EEEvT1_
    .private_segment_fixed_size: 0
    .sgpr_count:     6
    .sgpr_spill_count: 0
    .symbol:         _ZN7rocprim17ROCPRIM_400000_NS6detail17trampoline_kernelINS0_14default_configENS1_25partition_config_selectorILNS1_17partition_subalgoE1EiNS0_10empty_typeEbEEZZNS1_14partition_implILS5_1ELb0ES3_jN6thrust23THRUST_200600_302600_NS6detail15normal_iteratorINSA_10device_ptrIiEEEEPS6_NSA_18transform_iteratorI7is_evenIiESF_NSA_11use_defaultESK_EENS0_5tupleIJNSA_16discard_iteratorISK_EESF_EEENSM_IJSG_SG_EEES6_PlJS6_EEE10hipError_tPvRmT3_T4_T5_T6_T7_T9_mT8_P12ihipStream_tbDpT10_ENKUlT_T0_E_clISt17integral_constantIbLb0EES1B_EEDaS16_S17_EUlS16_E_NS1_11comp_targetILNS1_3genE10ELNS1_11target_archE1200ELNS1_3gpuE4ELNS1_3repE0EEENS1_30default_config_static_selectorELNS0_4arch9wavefront6targetE1EEEvT1_.kd
    .uniform_work_group_size: 1
    .uses_dynamic_stack: false
    .vgpr_count:     0
    .vgpr_spill_count: 0
    .wavefront_size: 64
  - .agpr_count:     0
    .args:
      - .offset:         0
        .size:           136
        .value_kind:     by_value
    .group_segment_fixed_size: 0
    .kernarg_segment_align: 8
    .kernarg_segment_size: 136
    .language:       OpenCL C
    .language_version:
      - 2
      - 0
    .max_flat_workgroup_size: 128
    .name:           _ZN7rocprim17ROCPRIM_400000_NS6detail17trampoline_kernelINS0_14default_configENS1_25partition_config_selectorILNS1_17partition_subalgoE1EiNS0_10empty_typeEbEEZZNS1_14partition_implILS5_1ELb0ES3_jN6thrust23THRUST_200600_302600_NS6detail15normal_iteratorINSA_10device_ptrIiEEEEPS6_NSA_18transform_iteratorI7is_evenIiESF_NSA_11use_defaultESK_EENS0_5tupleIJNSA_16discard_iteratorISK_EESF_EEENSM_IJSG_SG_EEES6_PlJS6_EEE10hipError_tPvRmT3_T4_T5_T6_T7_T9_mT8_P12ihipStream_tbDpT10_ENKUlT_T0_E_clISt17integral_constantIbLb0EES1B_EEDaS16_S17_EUlS16_E_NS1_11comp_targetILNS1_3genE9ELNS1_11target_archE1100ELNS1_3gpuE3ELNS1_3repE0EEENS1_30default_config_static_selectorELNS0_4arch9wavefront6targetE1EEEvT1_
    .private_segment_fixed_size: 0
    .sgpr_count:     6
    .sgpr_spill_count: 0
    .symbol:         _ZN7rocprim17ROCPRIM_400000_NS6detail17trampoline_kernelINS0_14default_configENS1_25partition_config_selectorILNS1_17partition_subalgoE1EiNS0_10empty_typeEbEEZZNS1_14partition_implILS5_1ELb0ES3_jN6thrust23THRUST_200600_302600_NS6detail15normal_iteratorINSA_10device_ptrIiEEEEPS6_NSA_18transform_iteratorI7is_evenIiESF_NSA_11use_defaultESK_EENS0_5tupleIJNSA_16discard_iteratorISK_EESF_EEENSM_IJSG_SG_EEES6_PlJS6_EEE10hipError_tPvRmT3_T4_T5_T6_T7_T9_mT8_P12ihipStream_tbDpT10_ENKUlT_T0_E_clISt17integral_constantIbLb0EES1B_EEDaS16_S17_EUlS16_E_NS1_11comp_targetILNS1_3genE9ELNS1_11target_archE1100ELNS1_3gpuE3ELNS1_3repE0EEENS1_30default_config_static_selectorELNS0_4arch9wavefront6targetE1EEEvT1_.kd
    .uniform_work_group_size: 1
    .uses_dynamic_stack: false
    .vgpr_count:     0
    .vgpr_spill_count: 0
    .wavefront_size: 64
  - .agpr_count:     0
    .args:
      - .offset:         0
        .size:           136
        .value_kind:     by_value
    .group_segment_fixed_size: 0
    .kernarg_segment_align: 8
    .kernarg_segment_size: 136
    .language:       OpenCL C
    .language_version:
      - 2
      - 0
    .max_flat_workgroup_size: 512
    .name:           _ZN7rocprim17ROCPRIM_400000_NS6detail17trampoline_kernelINS0_14default_configENS1_25partition_config_selectorILNS1_17partition_subalgoE1EiNS0_10empty_typeEbEEZZNS1_14partition_implILS5_1ELb0ES3_jN6thrust23THRUST_200600_302600_NS6detail15normal_iteratorINSA_10device_ptrIiEEEEPS6_NSA_18transform_iteratorI7is_evenIiESF_NSA_11use_defaultESK_EENS0_5tupleIJNSA_16discard_iteratorISK_EESF_EEENSM_IJSG_SG_EEES6_PlJS6_EEE10hipError_tPvRmT3_T4_T5_T6_T7_T9_mT8_P12ihipStream_tbDpT10_ENKUlT_T0_E_clISt17integral_constantIbLb0EES1B_EEDaS16_S17_EUlS16_E_NS1_11comp_targetILNS1_3genE8ELNS1_11target_archE1030ELNS1_3gpuE2ELNS1_3repE0EEENS1_30default_config_static_selectorELNS0_4arch9wavefront6targetE1EEEvT1_
    .private_segment_fixed_size: 0
    .sgpr_count:     6
    .sgpr_spill_count: 0
    .symbol:         _ZN7rocprim17ROCPRIM_400000_NS6detail17trampoline_kernelINS0_14default_configENS1_25partition_config_selectorILNS1_17partition_subalgoE1EiNS0_10empty_typeEbEEZZNS1_14partition_implILS5_1ELb0ES3_jN6thrust23THRUST_200600_302600_NS6detail15normal_iteratorINSA_10device_ptrIiEEEEPS6_NSA_18transform_iteratorI7is_evenIiESF_NSA_11use_defaultESK_EENS0_5tupleIJNSA_16discard_iteratorISK_EESF_EEENSM_IJSG_SG_EEES6_PlJS6_EEE10hipError_tPvRmT3_T4_T5_T6_T7_T9_mT8_P12ihipStream_tbDpT10_ENKUlT_T0_E_clISt17integral_constantIbLb0EES1B_EEDaS16_S17_EUlS16_E_NS1_11comp_targetILNS1_3genE8ELNS1_11target_archE1030ELNS1_3gpuE2ELNS1_3repE0EEENS1_30default_config_static_selectorELNS0_4arch9wavefront6targetE1EEEvT1_.kd
    .uniform_work_group_size: 1
    .uses_dynamic_stack: false
    .vgpr_count:     0
    .vgpr_spill_count: 0
    .wavefront_size: 64
  - .agpr_count:     0
    .args:
      - .offset:         0
        .size:           152
        .value_kind:     by_value
    .group_segment_fixed_size: 0
    .kernarg_segment_align: 8
    .kernarg_segment_size: 152
    .language:       OpenCL C
    .language_version:
      - 2
      - 0
    .max_flat_workgroup_size: 256
    .name:           _ZN7rocprim17ROCPRIM_400000_NS6detail17trampoline_kernelINS0_14default_configENS1_25partition_config_selectorILNS1_17partition_subalgoE1EiNS0_10empty_typeEbEEZZNS1_14partition_implILS5_1ELb0ES3_jN6thrust23THRUST_200600_302600_NS6detail15normal_iteratorINSA_10device_ptrIiEEEEPS6_NSA_18transform_iteratorI7is_evenIiESF_NSA_11use_defaultESK_EENS0_5tupleIJNSA_16discard_iteratorISK_EESF_EEENSM_IJSG_SG_EEES6_PlJS6_EEE10hipError_tPvRmT3_T4_T5_T6_T7_T9_mT8_P12ihipStream_tbDpT10_ENKUlT_T0_E_clISt17integral_constantIbLb1EES1B_EEDaS16_S17_EUlS16_E_NS1_11comp_targetILNS1_3genE0ELNS1_11target_archE4294967295ELNS1_3gpuE0ELNS1_3repE0EEENS1_30default_config_static_selectorELNS0_4arch9wavefront6targetE1EEEvT1_
    .private_segment_fixed_size: 0
    .sgpr_count:     6
    .sgpr_spill_count: 0
    .symbol:         _ZN7rocprim17ROCPRIM_400000_NS6detail17trampoline_kernelINS0_14default_configENS1_25partition_config_selectorILNS1_17partition_subalgoE1EiNS0_10empty_typeEbEEZZNS1_14partition_implILS5_1ELb0ES3_jN6thrust23THRUST_200600_302600_NS6detail15normal_iteratorINSA_10device_ptrIiEEEEPS6_NSA_18transform_iteratorI7is_evenIiESF_NSA_11use_defaultESK_EENS0_5tupleIJNSA_16discard_iteratorISK_EESF_EEENSM_IJSG_SG_EEES6_PlJS6_EEE10hipError_tPvRmT3_T4_T5_T6_T7_T9_mT8_P12ihipStream_tbDpT10_ENKUlT_T0_E_clISt17integral_constantIbLb1EES1B_EEDaS16_S17_EUlS16_E_NS1_11comp_targetILNS1_3genE0ELNS1_11target_archE4294967295ELNS1_3gpuE0ELNS1_3repE0EEENS1_30default_config_static_selectorELNS0_4arch9wavefront6targetE1EEEvT1_.kd
    .uniform_work_group_size: 1
    .uses_dynamic_stack: false
    .vgpr_count:     0
    .vgpr_spill_count: 0
    .wavefront_size: 64
  - .agpr_count:     0
    .args:
      - .offset:         0
        .size:           152
        .value_kind:     by_value
    .group_segment_fixed_size: 30728
    .kernarg_segment_align: 8
    .kernarg_segment_size: 152
    .language:       OpenCL C
    .language_version:
      - 2
      - 0
    .max_flat_workgroup_size: 512
    .name:           _ZN7rocprim17ROCPRIM_400000_NS6detail17trampoline_kernelINS0_14default_configENS1_25partition_config_selectorILNS1_17partition_subalgoE1EiNS0_10empty_typeEbEEZZNS1_14partition_implILS5_1ELb0ES3_jN6thrust23THRUST_200600_302600_NS6detail15normal_iteratorINSA_10device_ptrIiEEEEPS6_NSA_18transform_iteratorI7is_evenIiESF_NSA_11use_defaultESK_EENS0_5tupleIJNSA_16discard_iteratorISK_EESF_EEENSM_IJSG_SG_EEES6_PlJS6_EEE10hipError_tPvRmT3_T4_T5_T6_T7_T9_mT8_P12ihipStream_tbDpT10_ENKUlT_T0_E_clISt17integral_constantIbLb1EES1B_EEDaS16_S17_EUlS16_E_NS1_11comp_targetILNS1_3genE5ELNS1_11target_archE942ELNS1_3gpuE9ELNS1_3repE0EEENS1_30default_config_static_selectorELNS0_4arch9wavefront6targetE1EEEvT1_
    .private_segment_fixed_size: 0
    .sgpr_count:     48
    .sgpr_spill_count: 0
    .symbol:         _ZN7rocprim17ROCPRIM_400000_NS6detail17trampoline_kernelINS0_14default_configENS1_25partition_config_selectorILNS1_17partition_subalgoE1EiNS0_10empty_typeEbEEZZNS1_14partition_implILS5_1ELb0ES3_jN6thrust23THRUST_200600_302600_NS6detail15normal_iteratorINSA_10device_ptrIiEEEEPS6_NSA_18transform_iteratorI7is_evenIiESF_NSA_11use_defaultESK_EENS0_5tupleIJNSA_16discard_iteratorISK_EESF_EEENSM_IJSG_SG_EEES6_PlJS6_EEE10hipError_tPvRmT3_T4_T5_T6_T7_T9_mT8_P12ihipStream_tbDpT10_ENKUlT_T0_E_clISt17integral_constantIbLb1EES1B_EEDaS16_S17_EUlS16_E_NS1_11comp_targetILNS1_3genE5ELNS1_11target_archE942ELNS1_3gpuE9ELNS1_3repE0EEENS1_30default_config_static_selectorELNS0_4arch9wavefront6targetE1EEEvT1_.kd
    .uniform_work_group_size: 1
    .uses_dynamic_stack: false
    .vgpr_count:     69
    .vgpr_spill_count: 0
    .wavefront_size: 64
  - .agpr_count:     0
    .args:
      - .offset:         0
        .size:           152
        .value_kind:     by_value
    .group_segment_fixed_size: 0
    .kernarg_segment_align: 8
    .kernarg_segment_size: 152
    .language:       OpenCL C
    .language_version:
      - 2
      - 0
    .max_flat_workgroup_size: 256
    .name:           _ZN7rocprim17ROCPRIM_400000_NS6detail17trampoline_kernelINS0_14default_configENS1_25partition_config_selectorILNS1_17partition_subalgoE1EiNS0_10empty_typeEbEEZZNS1_14partition_implILS5_1ELb0ES3_jN6thrust23THRUST_200600_302600_NS6detail15normal_iteratorINSA_10device_ptrIiEEEEPS6_NSA_18transform_iteratorI7is_evenIiESF_NSA_11use_defaultESK_EENS0_5tupleIJNSA_16discard_iteratorISK_EESF_EEENSM_IJSG_SG_EEES6_PlJS6_EEE10hipError_tPvRmT3_T4_T5_T6_T7_T9_mT8_P12ihipStream_tbDpT10_ENKUlT_T0_E_clISt17integral_constantIbLb1EES1B_EEDaS16_S17_EUlS16_E_NS1_11comp_targetILNS1_3genE4ELNS1_11target_archE910ELNS1_3gpuE8ELNS1_3repE0EEENS1_30default_config_static_selectorELNS0_4arch9wavefront6targetE1EEEvT1_
    .private_segment_fixed_size: 0
    .sgpr_count:     6
    .sgpr_spill_count: 0
    .symbol:         _ZN7rocprim17ROCPRIM_400000_NS6detail17trampoline_kernelINS0_14default_configENS1_25partition_config_selectorILNS1_17partition_subalgoE1EiNS0_10empty_typeEbEEZZNS1_14partition_implILS5_1ELb0ES3_jN6thrust23THRUST_200600_302600_NS6detail15normal_iteratorINSA_10device_ptrIiEEEEPS6_NSA_18transform_iteratorI7is_evenIiESF_NSA_11use_defaultESK_EENS0_5tupleIJNSA_16discard_iteratorISK_EESF_EEENSM_IJSG_SG_EEES6_PlJS6_EEE10hipError_tPvRmT3_T4_T5_T6_T7_T9_mT8_P12ihipStream_tbDpT10_ENKUlT_T0_E_clISt17integral_constantIbLb1EES1B_EEDaS16_S17_EUlS16_E_NS1_11comp_targetILNS1_3genE4ELNS1_11target_archE910ELNS1_3gpuE8ELNS1_3repE0EEENS1_30default_config_static_selectorELNS0_4arch9wavefront6targetE1EEEvT1_.kd
    .uniform_work_group_size: 1
    .uses_dynamic_stack: false
    .vgpr_count:     0
    .vgpr_spill_count: 0
    .wavefront_size: 64
  - .agpr_count:     0
    .args:
      - .offset:         0
        .size:           152
        .value_kind:     by_value
    .group_segment_fixed_size: 0
    .kernarg_segment_align: 8
    .kernarg_segment_size: 152
    .language:       OpenCL C
    .language_version:
      - 2
      - 0
    .max_flat_workgroup_size: 256
    .name:           _ZN7rocprim17ROCPRIM_400000_NS6detail17trampoline_kernelINS0_14default_configENS1_25partition_config_selectorILNS1_17partition_subalgoE1EiNS0_10empty_typeEbEEZZNS1_14partition_implILS5_1ELb0ES3_jN6thrust23THRUST_200600_302600_NS6detail15normal_iteratorINSA_10device_ptrIiEEEEPS6_NSA_18transform_iteratorI7is_evenIiESF_NSA_11use_defaultESK_EENS0_5tupleIJNSA_16discard_iteratorISK_EESF_EEENSM_IJSG_SG_EEES6_PlJS6_EEE10hipError_tPvRmT3_T4_T5_T6_T7_T9_mT8_P12ihipStream_tbDpT10_ENKUlT_T0_E_clISt17integral_constantIbLb1EES1B_EEDaS16_S17_EUlS16_E_NS1_11comp_targetILNS1_3genE3ELNS1_11target_archE908ELNS1_3gpuE7ELNS1_3repE0EEENS1_30default_config_static_selectorELNS0_4arch9wavefront6targetE1EEEvT1_
    .private_segment_fixed_size: 0
    .sgpr_count:     6
    .sgpr_spill_count: 0
    .symbol:         _ZN7rocprim17ROCPRIM_400000_NS6detail17trampoline_kernelINS0_14default_configENS1_25partition_config_selectorILNS1_17partition_subalgoE1EiNS0_10empty_typeEbEEZZNS1_14partition_implILS5_1ELb0ES3_jN6thrust23THRUST_200600_302600_NS6detail15normal_iteratorINSA_10device_ptrIiEEEEPS6_NSA_18transform_iteratorI7is_evenIiESF_NSA_11use_defaultESK_EENS0_5tupleIJNSA_16discard_iteratorISK_EESF_EEENSM_IJSG_SG_EEES6_PlJS6_EEE10hipError_tPvRmT3_T4_T5_T6_T7_T9_mT8_P12ihipStream_tbDpT10_ENKUlT_T0_E_clISt17integral_constantIbLb1EES1B_EEDaS16_S17_EUlS16_E_NS1_11comp_targetILNS1_3genE3ELNS1_11target_archE908ELNS1_3gpuE7ELNS1_3repE0EEENS1_30default_config_static_selectorELNS0_4arch9wavefront6targetE1EEEvT1_.kd
    .uniform_work_group_size: 1
    .uses_dynamic_stack: false
    .vgpr_count:     0
    .vgpr_spill_count: 0
    .wavefront_size: 64
  - .agpr_count:     0
    .args:
      - .offset:         0
        .size:           152
        .value_kind:     by_value
    .group_segment_fixed_size: 0
    .kernarg_segment_align: 8
    .kernarg_segment_size: 152
    .language:       OpenCL C
    .language_version:
      - 2
      - 0
    .max_flat_workgroup_size: 256
    .name:           _ZN7rocprim17ROCPRIM_400000_NS6detail17trampoline_kernelINS0_14default_configENS1_25partition_config_selectorILNS1_17partition_subalgoE1EiNS0_10empty_typeEbEEZZNS1_14partition_implILS5_1ELb0ES3_jN6thrust23THRUST_200600_302600_NS6detail15normal_iteratorINSA_10device_ptrIiEEEEPS6_NSA_18transform_iteratorI7is_evenIiESF_NSA_11use_defaultESK_EENS0_5tupleIJNSA_16discard_iteratorISK_EESF_EEENSM_IJSG_SG_EEES6_PlJS6_EEE10hipError_tPvRmT3_T4_T5_T6_T7_T9_mT8_P12ihipStream_tbDpT10_ENKUlT_T0_E_clISt17integral_constantIbLb1EES1B_EEDaS16_S17_EUlS16_E_NS1_11comp_targetILNS1_3genE2ELNS1_11target_archE906ELNS1_3gpuE6ELNS1_3repE0EEENS1_30default_config_static_selectorELNS0_4arch9wavefront6targetE1EEEvT1_
    .private_segment_fixed_size: 0
    .sgpr_count:     6
    .sgpr_spill_count: 0
    .symbol:         _ZN7rocprim17ROCPRIM_400000_NS6detail17trampoline_kernelINS0_14default_configENS1_25partition_config_selectorILNS1_17partition_subalgoE1EiNS0_10empty_typeEbEEZZNS1_14partition_implILS5_1ELb0ES3_jN6thrust23THRUST_200600_302600_NS6detail15normal_iteratorINSA_10device_ptrIiEEEEPS6_NSA_18transform_iteratorI7is_evenIiESF_NSA_11use_defaultESK_EENS0_5tupleIJNSA_16discard_iteratorISK_EESF_EEENSM_IJSG_SG_EEES6_PlJS6_EEE10hipError_tPvRmT3_T4_T5_T6_T7_T9_mT8_P12ihipStream_tbDpT10_ENKUlT_T0_E_clISt17integral_constantIbLb1EES1B_EEDaS16_S17_EUlS16_E_NS1_11comp_targetILNS1_3genE2ELNS1_11target_archE906ELNS1_3gpuE6ELNS1_3repE0EEENS1_30default_config_static_selectorELNS0_4arch9wavefront6targetE1EEEvT1_.kd
    .uniform_work_group_size: 1
    .uses_dynamic_stack: false
    .vgpr_count:     0
    .vgpr_spill_count: 0
    .wavefront_size: 64
  - .agpr_count:     0
    .args:
      - .offset:         0
        .size:           152
        .value_kind:     by_value
    .group_segment_fixed_size: 0
    .kernarg_segment_align: 8
    .kernarg_segment_size: 152
    .language:       OpenCL C
    .language_version:
      - 2
      - 0
    .max_flat_workgroup_size: 256
    .name:           _ZN7rocprim17ROCPRIM_400000_NS6detail17trampoline_kernelINS0_14default_configENS1_25partition_config_selectorILNS1_17partition_subalgoE1EiNS0_10empty_typeEbEEZZNS1_14partition_implILS5_1ELb0ES3_jN6thrust23THRUST_200600_302600_NS6detail15normal_iteratorINSA_10device_ptrIiEEEEPS6_NSA_18transform_iteratorI7is_evenIiESF_NSA_11use_defaultESK_EENS0_5tupleIJNSA_16discard_iteratorISK_EESF_EEENSM_IJSG_SG_EEES6_PlJS6_EEE10hipError_tPvRmT3_T4_T5_T6_T7_T9_mT8_P12ihipStream_tbDpT10_ENKUlT_T0_E_clISt17integral_constantIbLb1EES1B_EEDaS16_S17_EUlS16_E_NS1_11comp_targetILNS1_3genE10ELNS1_11target_archE1200ELNS1_3gpuE4ELNS1_3repE0EEENS1_30default_config_static_selectorELNS0_4arch9wavefront6targetE1EEEvT1_
    .private_segment_fixed_size: 0
    .sgpr_count:     6
    .sgpr_spill_count: 0
    .symbol:         _ZN7rocprim17ROCPRIM_400000_NS6detail17trampoline_kernelINS0_14default_configENS1_25partition_config_selectorILNS1_17partition_subalgoE1EiNS0_10empty_typeEbEEZZNS1_14partition_implILS5_1ELb0ES3_jN6thrust23THRUST_200600_302600_NS6detail15normal_iteratorINSA_10device_ptrIiEEEEPS6_NSA_18transform_iteratorI7is_evenIiESF_NSA_11use_defaultESK_EENS0_5tupleIJNSA_16discard_iteratorISK_EESF_EEENSM_IJSG_SG_EEES6_PlJS6_EEE10hipError_tPvRmT3_T4_T5_T6_T7_T9_mT8_P12ihipStream_tbDpT10_ENKUlT_T0_E_clISt17integral_constantIbLb1EES1B_EEDaS16_S17_EUlS16_E_NS1_11comp_targetILNS1_3genE10ELNS1_11target_archE1200ELNS1_3gpuE4ELNS1_3repE0EEENS1_30default_config_static_selectorELNS0_4arch9wavefront6targetE1EEEvT1_.kd
    .uniform_work_group_size: 1
    .uses_dynamic_stack: false
    .vgpr_count:     0
    .vgpr_spill_count: 0
    .wavefront_size: 64
  - .agpr_count:     0
    .args:
      - .offset:         0
        .size:           152
        .value_kind:     by_value
    .group_segment_fixed_size: 0
    .kernarg_segment_align: 8
    .kernarg_segment_size: 152
    .language:       OpenCL C
    .language_version:
      - 2
      - 0
    .max_flat_workgroup_size: 128
    .name:           _ZN7rocprim17ROCPRIM_400000_NS6detail17trampoline_kernelINS0_14default_configENS1_25partition_config_selectorILNS1_17partition_subalgoE1EiNS0_10empty_typeEbEEZZNS1_14partition_implILS5_1ELb0ES3_jN6thrust23THRUST_200600_302600_NS6detail15normal_iteratorINSA_10device_ptrIiEEEEPS6_NSA_18transform_iteratorI7is_evenIiESF_NSA_11use_defaultESK_EENS0_5tupleIJNSA_16discard_iteratorISK_EESF_EEENSM_IJSG_SG_EEES6_PlJS6_EEE10hipError_tPvRmT3_T4_T5_T6_T7_T9_mT8_P12ihipStream_tbDpT10_ENKUlT_T0_E_clISt17integral_constantIbLb1EES1B_EEDaS16_S17_EUlS16_E_NS1_11comp_targetILNS1_3genE9ELNS1_11target_archE1100ELNS1_3gpuE3ELNS1_3repE0EEENS1_30default_config_static_selectorELNS0_4arch9wavefront6targetE1EEEvT1_
    .private_segment_fixed_size: 0
    .sgpr_count:     6
    .sgpr_spill_count: 0
    .symbol:         _ZN7rocprim17ROCPRIM_400000_NS6detail17trampoline_kernelINS0_14default_configENS1_25partition_config_selectorILNS1_17partition_subalgoE1EiNS0_10empty_typeEbEEZZNS1_14partition_implILS5_1ELb0ES3_jN6thrust23THRUST_200600_302600_NS6detail15normal_iteratorINSA_10device_ptrIiEEEEPS6_NSA_18transform_iteratorI7is_evenIiESF_NSA_11use_defaultESK_EENS0_5tupleIJNSA_16discard_iteratorISK_EESF_EEENSM_IJSG_SG_EEES6_PlJS6_EEE10hipError_tPvRmT3_T4_T5_T6_T7_T9_mT8_P12ihipStream_tbDpT10_ENKUlT_T0_E_clISt17integral_constantIbLb1EES1B_EEDaS16_S17_EUlS16_E_NS1_11comp_targetILNS1_3genE9ELNS1_11target_archE1100ELNS1_3gpuE3ELNS1_3repE0EEENS1_30default_config_static_selectorELNS0_4arch9wavefront6targetE1EEEvT1_.kd
    .uniform_work_group_size: 1
    .uses_dynamic_stack: false
    .vgpr_count:     0
    .vgpr_spill_count: 0
    .wavefront_size: 64
  - .agpr_count:     0
    .args:
      - .offset:         0
        .size:           152
        .value_kind:     by_value
    .group_segment_fixed_size: 0
    .kernarg_segment_align: 8
    .kernarg_segment_size: 152
    .language:       OpenCL C
    .language_version:
      - 2
      - 0
    .max_flat_workgroup_size: 512
    .name:           _ZN7rocprim17ROCPRIM_400000_NS6detail17trampoline_kernelINS0_14default_configENS1_25partition_config_selectorILNS1_17partition_subalgoE1EiNS0_10empty_typeEbEEZZNS1_14partition_implILS5_1ELb0ES3_jN6thrust23THRUST_200600_302600_NS6detail15normal_iteratorINSA_10device_ptrIiEEEEPS6_NSA_18transform_iteratorI7is_evenIiESF_NSA_11use_defaultESK_EENS0_5tupleIJNSA_16discard_iteratorISK_EESF_EEENSM_IJSG_SG_EEES6_PlJS6_EEE10hipError_tPvRmT3_T4_T5_T6_T7_T9_mT8_P12ihipStream_tbDpT10_ENKUlT_T0_E_clISt17integral_constantIbLb1EES1B_EEDaS16_S17_EUlS16_E_NS1_11comp_targetILNS1_3genE8ELNS1_11target_archE1030ELNS1_3gpuE2ELNS1_3repE0EEENS1_30default_config_static_selectorELNS0_4arch9wavefront6targetE1EEEvT1_
    .private_segment_fixed_size: 0
    .sgpr_count:     6
    .sgpr_spill_count: 0
    .symbol:         _ZN7rocprim17ROCPRIM_400000_NS6detail17trampoline_kernelINS0_14default_configENS1_25partition_config_selectorILNS1_17partition_subalgoE1EiNS0_10empty_typeEbEEZZNS1_14partition_implILS5_1ELb0ES3_jN6thrust23THRUST_200600_302600_NS6detail15normal_iteratorINSA_10device_ptrIiEEEEPS6_NSA_18transform_iteratorI7is_evenIiESF_NSA_11use_defaultESK_EENS0_5tupleIJNSA_16discard_iteratorISK_EESF_EEENSM_IJSG_SG_EEES6_PlJS6_EEE10hipError_tPvRmT3_T4_T5_T6_T7_T9_mT8_P12ihipStream_tbDpT10_ENKUlT_T0_E_clISt17integral_constantIbLb1EES1B_EEDaS16_S17_EUlS16_E_NS1_11comp_targetILNS1_3genE8ELNS1_11target_archE1030ELNS1_3gpuE2ELNS1_3repE0EEENS1_30default_config_static_selectorELNS0_4arch9wavefront6targetE1EEEvT1_.kd
    .uniform_work_group_size: 1
    .uses_dynamic_stack: false
    .vgpr_count:     0
    .vgpr_spill_count: 0
    .wavefront_size: 64
  - .agpr_count:     0
    .args:
      - .offset:         0
        .size:           136
        .value_kind:     by_value
    .group_segment_fixed_size: 0
    .kernarg_segment_align: 8
    .kernarg_segment_size: 136
    .language:       OpenCL C
    .language_version:
      - 2
      - 0
    .max_flat_workgroup_size: 256
    .name:           _ZN7rocprim17ROCPRIM_400000_NS6detail17trampoline_kernelINS0_14default_configENS1_25partition_config_selectorILNS1_17partition_subalgoE1EiNS0_10empty_typeEbEEZZNS1_14partition_implILS5_1ELb0ES3_jN6thrust23THRUST_200600_302600_NS6detail15normal_iteratorINSA_10device_ptrIiEEEEPS6_NSA_18transform_iteratorI7is_evenIiESF_NSA_11use_defaultESK_EENS0_5tupleIJNSA_16discard_iteratorISK_EESF_EEENSM_IJSG_SG_EEES6_PlJS6_EEE10hipError_tPvRmT3_T4_T5_T6_T7_T9_mT8_P12ihipStream_tbDpT10_ENKUlT_T0_E_clISt17integral_constantIbLb1EES1A_IbLb0EEEEDaS16_S17_EUlS16_E_NS1_11comp_targetILNS1_3genE0ELNS1_11target_archE4294967295ELNS1_3gpuE0ELNS1_3repE0EEENS1_30default_config_static_selectorELNS0_4arch9wavefront6targetE1EEEvT1_
    .private_segment_fixed_size: 0
    .sgpr_count:     6
    .sgpr_spill_count: 0
    .symbol:         _ZN7rocprim17ROCPRIM_400000_NS6detail17trampoline_kernelINS0_14default_configENS1_25partition_config_selectorILNS1_17partition_subalgoE1EiNS0_10empty_typeEbEEZZNS1_14partition_implILS5_1ELb0ES3_jN6thrust23THRUST_200600_302600_NS6detail15normal_iteratorINSA_10device_ptrIiEEEEPS6_NSA_18transform_iteratorI7is_evenIiESF_NSA_11use_defaultESK_EENS0_5tupleIJNSA_16discard_iteratorISK_EESF_EEENSM_IJSG_SG_EEES6_PlJS6_EEE10hipError_tPvRmT3_T4_T5_T6_T7_T9_mT8_P12ihipStream_tbDpT10_ENKUlT_T0_E_clISt17integral_constantIbLb1EES1A_IbLb0EEEEDaS16_S17_EUlS16_E_NS1_11comp_targetILNS1_3genE0ELNS1_11target_archE4294967295ELNS1_3gpuE0ELNS1_3repE0EEENS1_30default_config_static_selectorELNS0_4arch9wavefront6targetE1EEEvT1_.kd
    .uniform_work_group_size: 1
    .uses_dynamic_stack: false
    .vgpr_count:     0
    .vgpr_spill_count: 0
    .wavefront_size: 64
  - .agpr_count:     0
    .args:
      - .offset:         0
        .size:           136
        .value_kind:     by_value
    .group_segment_fixed_size: 30728
    .kernarg_segment_align: 8
    .kernarg_segment_size: 136
    .language:       OpenCL C
    .language_version:
      - 2
      - 0
    .max_flat_workgroup_size: 512
    .name:           _ZN7rocprim17ROCPRIM_400000_NS6detail17trampoline_kernelINS0_14default_configENS1_25partition_config_selectorILNS1_17partition_subalgoE1EiNS0_10empty_typeEbEEZZNS1_14partition_implILS5_1ELb0ES3_jN6thrust23THRUST_200600_302600_NS6detail15normal_iteratorINSA_10device_ptrIiEEEEPS6_NSA_18transform_iteratorI7is_evenIiESF_NSA_11use_defaultESK_EENS0_5tupleIJNSA_16discard_iteratorISK_EESF_EEENSM_IJSG_SG_EEES6_PlJS6_EEE10hipError_tPvRmT3_T4_T5_T6_T7_T9_mT8_P12ihipStream_tbDpT10_ENKUlT_T0_E_clISt17integral_constantIbLb1EES1A_IbLb0EEEEDaS16_S17_EUlS16_E_NS1_11comp_targetILNS1_3genE5ELNS1_11target_archE942ELNS1_3gpuE9ELNS1_3repE0EEENS1_30default_config_static_selectorELNS0_4arch9wavefront6targetE1EEEvT1_
    .private_segment_fixed_size: 0
    .sgpr_count:     50
    .sgpr_spill_count: 0
    .symbol:         _ZN7rocprim17ROCPRIM_400000_NS6detail17trampoline_kernelINS0_14default_configENS1_25partition_config_selectorILNS1_17partition_subalgoE1EiNS0_10empty_typeEbEEZZNS1_14partition_implILS5_1ELb0ES3_jN6thrust23THRUST_200600_302600_NS6detail15normal_iteratorINSA_10device_ptrIiEEEEPS6_NSA_18transform_iteratorI7is_evenIiESF_NSA_11use_defaultESK_EENS0_5tupleIJNSA_16discard_iteratorISK_EESF_EEENSM_IJSG_SG_EEES6_PlJS6_EEE10hipError_tPvRmT3_T4_T5_T6_T7_T9_mT8_P12ihipStream_tbDpT10_ENKUlT_T0_E_clISt17integral_constantIbLb1EES1A_IbLb0EEEEDaS16_S17_EUlS16_E_NS1_11comp_targetILNS1_3genE5ELNS1_11target_archE942ELNS1_3gpuE9ELNS1_3repE0EEENS1_30default_config_static_selectorELNS0_4arch9wavefront6targetE1EEEvT1_.kd
    .uniform_work_group_size: 1
    .uses_dynamic_stack: false
    .vgpr_count:     65
    .vgpr_spill_count: 0
    .wavefront_size: 64
  - .agpr_count:     0
    .args:
      - .offset:         0
        .size:           136
        .value_kind:     by_value
    .group_segment_fixed_size: 0
    .kernarg_segment_align: 8
    .kernarg_segment_size: 136
    .language:       OpenCL C
    .language_version:
      - 2
      - 0
    .max_flat_workgroup_size: 256
    .name:           _ZN7rocprim17ROCPRIM_400000_NS6detail17trampoline_kernelINS0_14default_configENS1_25partition_config_selectorILNS1_17partition_subalgoE1EiNS0_10empty_typeEbEEZZNS1_14partition_implILS5_1ELb0ES3_jN6thrust23THRUST_200600_302600_NS6detail15normal_iteratorINSA_10device_ptrIiEEEEPS6_NSA_18transform_iteratorI7is_evenIiESF_NSA_11use_defaultESK_EENS0_5tupleIJNSA_16discard_iteratorISK_EESF_EEENSM_IJSG_SG_EEES6_PlJS6_EEE10hipError_tPvRmT3_T4_T5_T6_T7_T9_mT8_P12ihipStream_tbDpT10_ENKUlT_T0_E_clISt17integral_constantIbLb1EES1A_IbLb0EEEEDaS16_S17_EUlS16_E_NS1_11comp_targetILNS1_3genE4ELNS1_11target_archE910ELNS1_3gpuE8ELNS1_3repE0EEENS1_30default_config_static_selectorELNS0_4arch9wavefront6targetE1EEEvT1_
    .private_segment_fixed_size: 0
    .sgpr_count:     6
    .sgpr_spill_count: 0
    .symbol:         _ZN7rocprim17ROCPRIM_400000_NS6detail17trampoline_kernelINS0_14default_configENS1_25partition_config_selectorILNS1_17partition_subalgoE1EiNS0_10empty_typeEbEEZZNS1_14partition_implILS5_1ELb0ES3_jN6thrust23THRUST_200600_302600_NS6detail15normal_iteratorINSA_10device_ptrIiEEEEPS6_NSA_18transform_iteratorI7is_evenIiESF_NSA_11use_defaultESK_EENS0_5tupleIJNSA_16discard_iteratorISK_EESF_EEENSM_IJSG_SG_EEES6_PlJS6_EEE10hipError_tPvRmT3_T4_T5_T6_T7_T9_mT8_P12ihipStream_tbDpT10_ENKUlT_T0_E_clISt17integral_constantIbLb1EES1A_IbLb0EEEEDaS16_S17_EUlS16_E_NS1_11comp_targetILNS1_3genE4ELNS1_11target_archE910ELNS1_3gpuE8ELNS1_3repE0EEENS1_30default_config_static_selectorELNS0_4arch9wavefront6targetE1EEEvT1_.kd
    .uniform_work_group_size: 1
    .uses_dynamic_stack: false
    .vgpr_count:     0
    .vgpr_spill_count: 0
    .wavefront_size: 64
  - .agpr_count:     0
    .args:
      - .offset:         0
        .size:           136
        .value_kind:     by_value
    .group_segment_fixed_size: 0
    .kernarg_segment_align: 8
    .kernarg_segment_size: 136
    .language:       OpenCL C
    .language_version:
      - 2
      - 0
    .max_flat_workgroup_size: 256
    .name:           _ZN7rocprim17ROCPRIM_400000_NS6detail17trampoline_kernelINS0_14default_configENS1_25partition_config_selectorILNS1_17partition_subalgoE1EiNS0_10empty_typeEbEEZZNS1_14partition_implILS5_1ELb0ES3_jN6thrust23THRUST_200600_302600_NS6detail15normal_iteratorINSA_10device_ptrIiEEEEPS6_NSA_18transform_iteratorI7is_evenIiESF_NSA_11use_defaultESK_EENS0_5tupleIJNSA_16discard_iteratorISK_EESF_EEENSM_IJSG_SG_EEES6_PlJS6_EEE10hipError_tPvRmT3_T4_T5_T6_T7_T9_mT8_P12ihipStream_tbDpT10_ENKUlT_T0_E_clISt17integral_constantIbLb1EES1A_IbLb0EEEEDaS16_S17_EUlS16_E_NS1_11comp_targetILNS1_3genE3ELNS1_11target_archE908ELNS1_3gpuE7ELNS1_3repE0EEENS1_30default_config_static_selectorELNS0_4arch9wavefront6targetE1EEEvT1_
    .private_segment_fixed_size: 0
    .sgpr_count:     6
    .sgpr_spill_count: 0
    .symbol:         _ZN7rocprim17ROCPRIM_400000_NS6detail17trampoline_kernelINS0_14default_configENS1_25partition_config_selectorILNS1_17partition_subalgoE1EiNS0_10empty_typeEbEEZZNS1_14partition_implILS5_1ELb0ES3_jN6thrust23THRUST_200600_302600_NS6detail15normal_iteratorINSA_10device_ptrIiEEEEPS6_NSA_18transform_iteratorI7is_evenIiESF_NSA_11use_defaultESK_EENS0_5tupleIJNSA_16discard_iteratorISK_EESF_EEENSM_IJSG_SG_EEES6_PlJS6_EEE10hipError_tPvRmT3_T4_T5_T6_T7_T9_mT8_P12ihipStream_tbDpT10_ENKUlT_T0_E_clISt17integral_constantIbLb1EES1A_IbLb0EEEEDaS16_S17_EUlS16_E_NS1_11comp_targetILNS1_3genE3ELNS1_11target_archE908ELNS1_3gpuE7ELNS1_3repE0EEENS1_30default_config_static_selectorELNS0_4arch9wavefront6targetE1EEEvT1_.kd
    .uniform_work_group_size: 1
    .uses_dynamic_stack: false
    .vgpr_count:     0
    .vgpr_spill_count: 0
    .wavefront_size: 64
  - .agpr_count:     0
    .args:
      - .offset:         0
        .size:           136
        .value_kind:     by_value
    .group_segment_fixed_size: 0
    .kernarg_segment_align: 8
    .kernarg_segment_size: 136
    .language:       OpenCL C
    .language_version:
      - 2
      - 0
    .max_flat_workgroup_size: 256
    .name:           _ZN7rocprim17ROCPRIM_400000_NS6detail17trampoline_kernelINS0_14default_configENS1_25partition_config_selectorILNS1_17partition_subalgoE1EiNS0_10empty_typeEbEEZZNS1_14partition_implILS5_1ELb0ES3_jN6thrust23THRUST_200600_302600_NS6detail15normal_iteratorINSA_10device_ptrIiEEEEPS6_NSA_18transform_iteratorI7is_evenIiESF_NSA_11use_defaultESK_EENS0_5tupleIJNSA_16discard_iteratorISK_EESF_EEENSM_IJSG_SG_EEES6_PlJS6_EEE10hipError_tPvRmT3_T4_T5_T6_T7_T9_mT8_P12ihipStream_tbDpT10_ENKUlT_T0_E_clISt17integral_constantIbLb1EES1A_IbLb0EEEEDaS16_S17_EUlS16_E_NS1_11comp_targetILNS1_3genE2ELNS1_11target_archE906ELNS1_3gpuE6ELNS1_3repE0EEENS1_30default_config_static_selectorELNS0_4arch9wavefront6targetE1EEEvT1_
    .private_segment_fixed_size: 0
    .sgpr_count:     6
    .sgpr_spill_count: 0
    .symbol:         _ZN7rocprim17ROCPRIM_400000_NS6detail17trampoline_kernelINS0_14default_configENS1_25partition_config_selectorILNS1_17partition_subalgoE1EiNS0_10empty_typeEbEEZZNS1_14partition_implILS5_1ELb0ES3_jN6thrust23THRUST_200600_302600_NS6detail15normal_iteratorINSA_10device_ptrIiEEEEPS6_NSA_18transform_iteratorI7is_evenIiESF_NSA_11use_defaultESK_EENS0_5tupleIJNSA_16discard_iteratorISK_EESF_EEENSM_IJSG_SG_EEES6_PlJS6_EEE10hipError_tPvRmT3_T4_T5_T6_T7_T9_mT8_P12ihipStream_tbDpT10_ENKUlT_T0_E_clISt17integral_constantIbLb1EES1A_IbLb0EEEEDaS16_S17_EUlS16_E_NS1_11comp_targetILNS1_3genE2ELNS1_11target_archE906ELNS1_3gpuE6ELNS1_3repE0EEENS1_30default_config_static_selectorELNS0_4arch9wavefront6targetE1EEEvT1_.kd
    .uniform_work_group_size: 1
    .uses_dynamic_stack: false
    .vgpr_count:     0
    .vgpr_spill_count: 0
    .wavefront_size: 64
  - .agpr_count:     0
    .args:
      - .offset:         0
        .size:           136
        .value_kind:     by_value
    .group_segment_fixed_size: 0
    .kernarg_segment_align: 8
    .kernarg_segment_size: 136
    .language:       OpenCL C
    .language_version:
      - 2
      - 0
    .max_flat_workgroup_size: 256
    .name:           _ZN7rocprim17ROCPRIM_400000_NS6detail17trampoline_kernelINS0_14default_configENS1_25partition_config_selectorILNS1_17partition_subalgoE1EiNS0_10empty_typeEbEEZZNS1_14partition_implILS5_1ELb0ES3_jN6thrust23THRUST_200600_302600_NS6detail15normal_iteratorINSA_10device_ptrIiEEEEPS6_NSA_18transform_iteratorI7is_evenIiESF_NSA_11use_defaultESK_EENS0_5tupleIJNSA_16discard_iteratorISK_EESF_EEENSM_IJSG_SG_EEES6_PlJS6_EEE10hipError_tPvRmT3_T4_T5_T6_T7_T9_mT8_P12ihipStream_tbDpT10_ENKUlT_T0_E_clISt17integral_constantIbLb1EES1A_IbLb0EEEEDaS16_S17_EUlS16_E_NS1_11comp_targetILNS1_3genE10ELNS1_11target_archE1200ELNS1_3gpuE4ELNS1_3repE0EEENS1_30default_config_static_selectorELNS0_4arch9wavefront6targetE1EEEvT1_
    .private_segment_fixed_size: 0
    .sgpr_count:     6
    .sgpr_spill_count: 0
    .symbol:         _ZN7rocprim17ROCPRIM_400000_NS6detail17trampoline_kernelINS0_14default_configENS1_25partition_config_selectorILNS1_17partition_subalgoE1EiNS0_10empty_typeEbEEZZNS1_14partition_implILS5_1ELb0ES3_jN6thrust23THRUST_200600_302600_NS6detail15normal_iteratorINSA_10device_ptrIiEEEEPS6_NSA_18transform_iteratorI7is_evenIiESF_NSA_11use_defaultESK_EENS0_5tupleIJNSA_16discard_iteratorISK_EESF_EEENSM_IJSG_SG_EEES6_PlJS6_EEE10hipError_tPvRmT3_T4_T5_T6_T7_T9_mT8_P12ihipStream_tbDpT10_ENKUlT_T0_E_clISt17integral_constantIbLb1EES1A_IbLb0EEEEDaS16_S17_EUlS16_E_NS1_11comp_targetILNS1_3genE10ELNS1_11target_archE1200ELNS1_3gpuE4ELNS1_3repE0EEENS1_30default_config_static_selectorELNS0_4arch9wavefront6targetE1EEEvT1_.kd
    .uniform_work_group_size: 1
    .uses_dynamic_stack: false
    .vgpr_count:     0
    .vgpr_spill_count: 0
    .wavefront_size: 64
  - .agpr_count:     0
    .args:
      - .offset:         0
        .size:           136
        .value_kind:     by_value
    .group_segment_fixed_size: 0
    .kernarg_segment_align: 8
    .kernarg_segment_size: 136
    .language:       OpenCL C
    .language_version:
      - 2
      - 0
    .max_flat_workgroup_size: 128
    .name:           _ZN7rocprim17ROCPRIM_400000_NS6detail17trampoline_kernelINS0_14default_configENS1_25partition_config_selectorILNS1_17partition_subalgoE1EiNS0_10empty_typeEbEEZZNS1_14partition_implILS5_1ELb0ES3_jN6thrust23THRUST_200600_302600_NS6detail15normal_iteratorINSA_10device_ptrIiEEEEPS6_NSA_18transform_iteratorI7is_evenIiESF_NSA_11use_defaultESK_EENS0_5tupleIJNSA_16discard_iteratorISK_EESF_EEENSM_IJSG_SG_EEES6_PlJS6_EEE10hipError_tPvRmT3_T4_T5_T6_T7_T9_mT8_P12ihipStream_tbDpT10_ENKUlT_T0_E_clISt17integral_constantIbLb1EES1A_IbLb0EEEEDaS16_S17_EUlS16_E_NS1_11comp_targetILNS1_3genE9ELNS1_11target_archE1100ELNS1_3gpuE3ELNS1_3repE0EEENS1_30default_config_static_selectorELNS0_4arch9wavefront6targetE1EEEvT1_
    .private_segment_fixed_size: 0
    .sgpr_count:     6
    .sgpr_spill_count: 0
    .symbol:         _ZN7rocprim17ROCPRIM_400000_NS6detail17trampoline_kernelINS0_14default_configENS1_25partition_config_selectorILNS1_17partition_subalgoE1EiNS0_10empty_typeEbEEZZNS1_14partition_implILS5_1ELb0ES3_jN6thrust23THRUST_200600_302600_NS6detail15normal_iteratorINSA_10device_ptrIiEEEEPS6_NSA_18transform_iteratorI7is_evenIiESF_NSA_11use_defaultESK_EENS0_5tupleIJNSA_16discard_iteratorISK_EESF_EEENSM_IJSG_SG_EEES6_PlJS6_EEE10hipError_tPvRmT3_T4_T5_T6_T7_T9_mT8_P12ihipStream_tbDpT10_ENKUlT_T0_E_clISt17integral_constantIbLb1EES1A_IbLb0EEEEDaS16_S17_EUlS16_E_NS1_11comp_targetILNS1_3genE9ELNS1_11target_archE1100ELNS1_3gpuE3ELNS1_3repE0EEENS1_30default_config_static_selectorELNS0_4arch9wavefront6targetE1EEEvT1_.kd
    .uniform_work_group_size: 1
    .uses_dynamic_stack: false
    .vgpr_count:     0
    .vgpr_spill_count: 0
    .wavefront_size: 64
  - .agpr_count:     0
    .args:
      - .offset:         0
        .size:           136
        .value_kind:     by_value
    .group_segment_fixed_size: 0
    .kernarg_segment_align: 8
    .kernarg_segment_size: 136
    .language:       OpenCL C
    .language_version:
      - 2
      - 0
    .max_flat_workgroup_size: 512
    .name:           _ZN7rocprim17ROCPRIM_400000_NS6detail17trampoline_kernelINS0_14default_configENS1_25partition_config_selectorILNS1_17partition_subalgoE1EiNS0_10empty_typeEbEEZZNS1_14partition_implILS5_1ELb0ES3_jN6thrust23THRUST_200600_302600_NS6detail15normal_iteratorINSA_10device_ptrIiEEEEPS6_NSA_18transform_iteratorI7is_evenIiESF_NSA_11use_defaultESK_EENS0_5tupleIJNSA_16discard_iteratorISK_EESF_EEENSM_IJSG_SG_EEES6_PlJS6_EEE10hipError_tPvRmT3_T4_T5_T6_T7_T9_mT8_P12ihipStream_tbDpT10_ENKUlT_T0_E_clISt17integral_constantIbLb1EES1A_IbLb0EEEEDaS16_S17_EUlS16_E_NS1_11comp_targetILNS1_3genE8ELNS1_11target_archE1030ELNS1_3gpuE2ELNS1_3repE0EEENS1_30default_config_static_selectorELNS0_4arch9wavefront6targetE1EEEvT1_
    .private_segment_fixed_size: 0
    .sgpr_count:     6
    .sgpr_spill_count: 0
    .symbol:         _ZN7rocprim17ROCPRIM_400000_NS6detail17trampoline_kernelINS0_14default_configENS1_25partition_config_selectorILNS1_17partition_subalgoE1EiNS0_10empty_typeEbEEZZNS1_14partition_implILS5_1ELb0ES3_jN6thrust23THRUST_200600_302600_NS6detail15normal_iteratorINSA_10device_ptrIiEEEEPS6_NSA_18transform_iteratorI7is_evenIiESF_NSA_11use_defaultESK_EENS0_5tupleIJNSA_16discard_iteratorISK_EESF_EEENSM_IJSG_SG_EEES6_PlJS6_EEE10hipError_tPvRmT3_T4_T5_T6_T7_T9_mT8_P12ihipStream_tbDpT10_ENKUlT_T0_E_clISt17integral_constantIbLb1EES1A_IbLb0EEEEDaS16_S17_EUlS16_E_NS1_11comp_targetILNS1_3genE8ELNS1_11target_archE1030ELNS1_3gpuE2ELNS1_3repE0EEENS1_30default_config_static_selectorELNS0_4arch9wavefront6targetE1EEEvT1_.kd
    .uniform_work_group_size: 1
    .uses_dynamic_stack: false
    .vgpr_count:     0
    .vgpr_spill_count: 0
    .wavefront_size: 64
  - .agpr_count:     0
    .args:
      - .offset:         0
        .size:           152
        .value_kind:     by_value
    .group_segment_fixed_size: 0
    .kernarg_segment_align: 8
    .kernarg_segment_size: 152
    .language:       OpenCL C
    .language_version:
      - 2
      - 0
    .max_flat_workgroup_size: 256
    .name:           _ZN7rocprim17ROCPRIM_400000_NS6detail17trampoline_kernelINS0_14default_configENS1_25partition_config_selectorILNS1_17partition_subalgoE1EiNS0_10empty_typeEbEEZZNS1_14partition_implILS5_1ELb0ES3_jN6thrust23THRUST_200600_302600_NS6detail15normal_iteratorINSA_10device_ptrIiEEEEPS6_NSA_18transform_iteratorI7is_evenIiESF_NSA_11use_defaultESK_EENS0_5tupleIJNSA_16discard_iteratorISK_EESF_EEENSM_IJSG_SG_EEES6_PlJS6_EEE10hipError_tPvRmT3_T4_T5_T6_T7_T9_mT8_P12ihipStream_tbDpT10_ENKUlT_T0_E_clISt17integral_constantIbLb0EES1A_IbLb1EEEEDaS16_S17_EUlS16_E_NS1_11comp_targetILNS1_3genE0ELNS1_11target_archE4294967295ELNS1_3gpuE0ELNS1_3repE0EEENS1_30default_config_static_selectorELNS0_4arch9wavefront6targetE1EEEvT1_
    .private_segment_fixed_size: 0
    .sgpr_count:     6
    .sgpr_spill_count: 0
    .symbol:         _ZN7rocprim17ROCPRIM_400000_NS6detail17trampoline_kernelINS0_14default_configENS1_25partition_config_selectorILNS1_17partition_subalgoE1EiNS0_10empty_typeEbEEZZNS1_14partition_implILS5_1ELb0ES3_jN6thrust23THRUST_200600_302600_NS6detail15normal_iteratorINSA_10device_ptrIiEEEEPS6_NSA_18transform_iteratorI7is_evenIiESF_NSA_11use_defaultESK_EENS0_5tupleIJNSA_16discard_iteratorISK_EESF_EEENSM_IJSG_SG_EEES6_PlJS6_EEE10hipError_tPvRmT3_T4_T5_T6_T7_T9_mT8_P12ihipStream_tbDpT10_ENKUlT_T0_E_clISt17integral_constantIbLb0EES1A_IbLb1EEEEDaS16_S17_EUlS16_E_NS1_11comp_targetILNS1_3genE0ELNS1_11target_archE4294967295ELNS1_3gpuE0ELNS1_3repE0EEENS1_30default_config_static_selectorELNS0_4arch9wavefront6targetE1EEEvT1_.kd
    .uniform_work_group_size: 1
    .uses_dynamic_stack: false
    .vgpr_count:     0
    .vgpr_spill_count: 0
    .wavefront_size: 64
  - .agpr_count:     0
    .args:
      - .offset:         0
        .size:           152
        .value_kind:     by_value
    .group_segment_fixed_size: 30728
    .kernarg_segment_align: 8
    .kernarg_segment_size: 152
    .language:       OpenCL C
    .language_version:
      - 2
      - 0
    .max_flat_workgroup_size: 512
    .name:           _ZN7rocprim17ROCPRIM_400000_NS6detail17trampoline_kernelINS0_14default_configENS1_25partition_config_selectorILNS1_17partition_subalgoE1EiNS0_10empty_typeEbEEZZNS1_14partition_implILS5_1ELb0ES3_jN6thrust23THRUST_200600_302600_NS6detail15normal_iteratorINSA_10device_ptrIiEEEEPS6_NSA_18transform_iteratorI7is_evenIiESF_NSA_11use_defaultESK_EENS0_5tupleIJNSA_16discard_iteratorISK_EESF_EEENSM_IJSG_SG_EEES6_PlJS6_EEE10hipError_tPvRmT3_T4_T5_T6_T7_T9_mT8_P12ihipStream_tbDpT10_ENKUlT_T0_E_clISt17integral_constantIbLb0EES1A_IbLb1EEEEDaS16_S17_EUlS16_E_NS1_11comp_targetILNS1_3genE5ELNS1_11target_archE942ELNS1_3gpuE9ELNS1_3repE0EEENS1_30default_config_static_selectorELNS0_4arch9wavefront6targetE1EEEvT1_
    .private_segment_fixed_size: 0
    .sgpr_count:     48
    .sgpr_spill_count: 0
    .symbol:         _ZN7rocprim17ROCPRIM_400000_NS6detail17trampoline_kernelINS0_14default_configENS1_25partition_config_selectorILNS1_17partition_subalgoE1EiNS0_10empty_typeEbEEZZNS1_14partition_implILS5_1ELb0ES3_jN6thrust23THRUST_200600_302600_NS6detail15normal_iteratorINSA_10device_ptrIiEEEEPS6_NSA_18transform_iteratorI7is_evenIiESF_NSA_11use_defaultESK_EENS0_5tupleIJNSA_16discard_iteratorISK_EESF_EEENSM_IJSG_SG_EEES6_PlJS6_EEE10hipError_tPvRmT3_T4_T5_T6_T7_T9_mT8_P12ihipStream_tbDpT10_ENKUlT_T0_E_clISt17integral_constantIbLb0EES1A_IbLb1EEEEDaS16_S17_EUlS16_E_NS1_11comp_targetILNS1_3genE5ELNS1_11target_archE942ELNS1_3gpuE9ELNS1_3repE0EEENS1_30default_config_static_selectorELNS0_4arch9wavefront6targetE1EEEvT1_.kd
    .uniform_work_group_size: 1
    .uses_dynamic_stack: false
    .vgpr_count:     69
    .vgpr_spill_count: 0
    .wavefront_size: 64
  - .agpr_count:     0
    .args:
      - .offset:         0
        .size:           152
        .value_kind:     by_value
    .group_segment_fixed_size: 0
    .kernarg_segment_align: 8
    .kernarg_segment_size: 152
    .language:       OpenCL C
    .language_version:
      - 2
      - 0
    .max_flat_workgroup_size: 256
    .name:           _ZN7rocprim17ROCPRIM_400000_NS6detail17trampoline_kernelINS0_14default_configENS1_25partition_config_selectorILNS1_17partition_subalgoE1EiNS0_10empty_typeEbEEZZNS1_14partition_implILS5_1ELb0ES3_jN6thrust23THRUST_200600_302600_NS6detail15normal_iteratorINSA_10device_ptrIiEEEEPS6_NSA_18transform_iteratorI7is_evenIiESF_NSA_11use_defaultESK_EENS0_5tupleIJNSA_16discard_iteratorISK_EESF_EEENSM_IJSG_SG_EEES6_PlJS6_EEE10hipError_tPvRmT3_T4_T5_T6_T7_T9_mT8_P12ihipStream_tbDpT10_ENKUlT_T0_E_clISt17integral_constantIbLb0EES1A_IbLb1EEEEDaS16_S17_EUlS16_E_NS1_11comp_targetILNS1_3genE4ELNS1_11target_archE910ELNS1_3gpuE8ELNS1_3repE0EEENS1_30default_config_static_selectorELNS0_4arch9wavefront6targetE1EEEvT1_
    .private_segment_fixed_size: 0
    .sgpr_count:     6
    .sgpr_spill_count: 0
    .symbol:         _ZN7rocprim17ROCPRIM_400000_NS6detail17trampoline_kernelINS0_14default_configENS1_25partition_config_selectorILNS1_17partition_subalgoE1EiNS0_10empty_typeEbEEZZNS1_14partition_implILS5_1ELb0ES3_jN6thrust23THRUST_200600_302600_NS6detail15normal_iteratorINSA_10device_ptrIiEEEEPS6_NSA_18transform_iteratorI7is_evenIiESF_NSA_11use_defaultESK_EENS0_5tupleIJNSA_16discard_iteratorISK_EESF_EEENSM_IJSG_SG_EEES6_PlJS6_EEE10hipError_tPvRmT3_T4_T5_T6_T7_T9_mT8_P12ihipStream_tbDpT10_ENKUlT_T0_E_clISt17integral_constantIbLb0EES1A_IbLb1EEEEDaS16_S17_EUlS16_E_NS1_11comp_targetILNS1_3genE4ELNS1_11target_archE910ELNS1_3gpuE8ELNS1_3repE0EEENS1_30default_config_static_selectorELNS0_4arch9wavefront6targetE1EEEvT1_.kd
    .uniform_work_group_size: 1
    .uses_dynamic_stack: false
    .vgpr_count:     0
    .vgpr_spill_count: 0
    .wavefront_size: 64
  - .agpr_count:     0
    .args:
      - .offset:         0
        .size:           152
        .value_kind:     by_value
    .group_segment_fixed_size: 0
    .kernarg_segment_align: 8
    .kernarg_segment_size: 152
    .language:       OpenCL C
    .language_version:
      - 2
      - 0
    .max_flat_workgroup_size: 256
    .name:           _ZN7rocprim17ROCPRIM_400000_NS6detail17trampoline_kernelINS0_14default_configENS1_25partition_config_selectorILNS1_17partition_subalgoE1EiNS0_10empty_typeEbEEZZNS1_14partition_implILS5_1ELb0ES3_jN6thrust23THRUST_200600_302600_NS6detail15normal_iteratorINSA_10device_ptrIiEEEEPS6_NSA_18transform_iteratorI7is_evenIiESF_NSA_11use_defaultESK_EENS0_5tupleIJNSA_16discard_iteratorISK_EESF_EEENSM_IJSG_SG_EEES6_PlJS6_EEE10hipError_tPvRmT3_T4_T5_T6_T7_T9_mT8_P12ihipStream_tbDpT10_ENKUlT_T0_E_clISt17integral_constantIbLb0EES1A_IbLb1EEEEDaS16_S17_EUlS16_E_NS1_11comp_targetILNS1_3genE3ELNS1_11target_archE908ELNS1_3gpuE7ELNS1_3repE0EEENS1_30default_config_static_selectorELNS0_4arch9wavefront6targetE1EEEvT1_
    .private_segment_fixed_size: 0
    .sgpr_count:     6
    .sgpr_spill_count: 0
    .symbol:         _ZN7rocprim17ROCPRIM_400000_NS6detail17trampoline_kernelINS0_14default_configENS1_25partition_config_selectorILNS1_17partition_subalgoE1EiNS0_10empty_typeEbEEZZNS1_14partition_implILS5_1ELb0ES3_jN6thrust23THRUST_200600_302600_NS6detail15normal_iteratorINSA_10device_ptrIiEEEEPS6_NSA_18transform_iteratorI7is_evenIiESF_NSA_11use_defaultESK_EENS0_5tupleIJNSA_16discard_iteratorISK_EESF_EEENSM_IJSG_SG_EEES6_PlJS6_EEE10hipError_tPvRmT3_T4_T5_T6_T7_T9_mT8_P12ihipStream_tbDpT10_ENKUlT_T0_E_clISt17integral_constantIbLb0EES1A_IbLb1EEEEDaS16_S17_EUlS16_E_NS1_11comp_targetILNS1_3genE3ELNS1_11target_archE908ELNS1_3gpuE7ELNS1_3repE0EEENS1_30default_config_static_selectorELNS0_4arch9wavefront6targetE1EEEvT1_.kd
    .uniform_work_group_size: 1
    .uses_dynamic_stack: false
    .vgpr_count:     0
    .vgpr_spill_count: 0
    .wavefront_size: 64
  - .agpr_count:     0
    .args:
      - .offset:         0
        .size:           152
        .value_kind:     by_value
    .group_segment_fixed_size: 0
    .kernarg_segment_align: 8
    .kernarg_segment_size: 152
    .language:       OpenCL C
    .language_version:
      - 2
      - 0
    .max_flat_workgroup_size: 256
    .name:           _ZN7rocprim17ROCPRIM_400000_NS6detail17trampoline_kernelINS0_14default_configENS1_25partition_config_selectorILNS1_17partition_subalgoE1EiNS0_10empty_typeEbEEZZNS1_14partition_implILS5_1ELb0ES3_jN6thrust23THRUST_200600_302600_NS6detail15normal_iteratorINSA_10device_ptrIiEEEEPS6_NSA_18transform_iteratorI7is_evenIiESF_NSA_11use_defaultESK_EENS0_5tupleIJNSA_16discard_iteratorISK_EESF_EEENSM_IJSG_SG_EEES6_PlJS6_EEE10hipError_tPvRmT3_T4_T5_T6_T7_T9_mT8_P12ihipStream_tbDpT10_ENKUlT_T0_E_clISt17integral_constantIbLb0EES1A_IbLb1EEEEDaS16_S17_EUlS16_E_NS1_11comp_targetILNS1_3genE2ELNS1_11target_archE906ELNS1_3gpuE6ELNS1_3repE0EEENS1_30default_config_static_selectorELNS0_4arch9wavefront6targetE1EEEvT1_
    .private_segment_fixed_size: 0
    .sgpr_count:     6
    .sgpr_spill_count: 0
    .symbol:         _ZN7rocprim17ROCPRIM_400000_NS6detail17trampoline_kernelINS0_14default_configENS1_25partition_config_selectorILNS1_17partition_subalgoE1EiNS0_10empty_typeEbEEZZNS1_14partition_implILS5_1ELb0ES3_jN6thrust23THRUST_200600_302600_NS6detail15normal_iteratorINSA_10device_ptrIiEEEEPS6_NSA_18transform_iteratorI7is_evenIiESF_NSA_11use_defaultESK_EENS0_5tupleIJNSA_16discard_iteratorISK_EESF_EEENSM_IJSG_SG_EEES6_PlJS6_EEE10hipError_tPvRmT3_T4_T5_T6_T7_T9_mT8_P12ihipStream_tbDpT10_ENKUlT_T0_E_clISt17integral_constantIbLb0EES1A_IbLb1EEEEDaS16_S17_EUlS16_E_NS1_11comp_targetILNS1_3genE2ELNS1_11target_archE906ELNS1_3gpuE6ELNS1_3repE0EEENS1_30default_config_static_selectorELNS0_4arch9wavefront6targetE1EEEvT1_.kd
    .uniform_work_group_size: 1
    .uses_dynamic_stack: false
    .vgpr_count:     0
    .vgpr_spill_count: 0
    .wavefront_size: 64
  - .agpr_count:     0
    .args:
      - .offset:         0
        .size:           152
        .value_kind:     by_value
    .group_segment_fixed_size: 0
    .kernarg_segment_align: 8
    .kernarg_segment_size: 152
    .language:       OpenCL C
    .language_version:
      - 2
      - 0
    .max_flat_workgroup_size: 256
    .name:           _ZN7rocprim17ROCPRIM_400000_NS6detail17trampoline_kernelINS0_14default_configENS1_25partition_config_selectorILNS1_17partition_subalgoE1EiNS0_10empty_typeEbEEZZNS1_14partition_implILS5_1ELb0ES3_jN6thrust23THRUST_200600_302600_NS6detail15normal_iteratorINSA_10device_ptrIiEEEEPS6_NSA_18transform_iteratorI7is_evenIiESF_NSA_11use_defaultESK_EENS0_5tupleIJNSA_16discard_iteratorISK_EESF_EEENSM_IJSG_SG_EEES6_PlJS6_EEE10hipError_tPvRmT3_T4_T5_T6_T7_T9_mT8_P12ihipStream_tbDpT10_ENKUlT_T0_E_clISt17integral_constantIbLb0EES1A_IbLb1EEEEDaS16_S17_EUlS16_E_NS1_11comp_targetILNS1_3genE10ELNS1_11target_archE1200ELNS1_3gpuE4ELNS1_3repE0EEENS1_30default_config_static_selectorELNS0_4arch9wavefront6targetE1EEEvT1_
    .private_segment_fixed_size: 0
    .sgpr_count:     6
    .sgpr_spill_count: 0
    .symbol:         _ZN7rocprim17ROCPRIM_400000_NS6detail17trampoline_kernelINS0_14default_configENS1_25partition_config_selectorILNS1_17partition_subalgoE1EiNS0_10empty_typeEbEEZZNS1_14partition_implILS5_1ELb0ES3_jN6thrust23THRUST_200600_302600_NS6detail15normal_iteratorINSA_10device_ptrIiEEEEPS6_NSA_18transform_iteratorI7is_evenIiESF_NSA_11use_defaultESK_EENS0_5tupleIJNSA_16discard_iteratorISK_EESF_EEENSM_IJSG_SG_EEES6_PlJS6_EEE10hipError_tPvRmT3_T4_T5_T6_T7_T9_mT8_P12ihipStream_tbDpT10_ENKUlT_T0_E_clISt17integral_constantIbLb0EES1A_IbLb1EEEEDaS16_S17_EUlS16_E_NS1_11comp_targetILNS1_3genE10ELNS1_11target_archE1200ELNS1_3gpuE4ELNS1_3repE0EEENS1_30default_config_static_selectorELNS0_4arch9wavefront6targetE1EEEvT1_.kd
    .uniform_work_group_size: 1
    .uses_dynamic_stack: false
    .vgpr_count:     0
    .vgpr_spill_count: 0
    .wavefront_size: 64
  - .agpr_count:     0
    .args:
      - .offset:         0
        .size:           152
        .value_kind:     by_value
    .group_segment_fixed_size: 0
    .kernarg_segment_align: 8
    .kernarg_segment_size: 152
    .language:       OpenCL C
    .language_version:
      - 2
      - 0
    .max_flat_workgroup_size: 128
    .name:           _ZN7rocprim17ROCPRIM_400000_NS6detail17trampoline_kernelINS0_14default_configENS1_25partition_config_selectorILNS1_17partition_subalgoE1EiNS0_10empty_typeEbEEZZNS1_14partition_implILS5_1ELb0ES3_jN6thrust23THRUST_200600_302600_NS6detail15normal_iteratorINSA_10device_ptrIiEEEEPS6_NSA_18transform_iteratorI7is_evenIiESF_NSA_11use_defaultESK_EENS0_5tupleIJNSA_16discard_iteratorISK_EESF_EEENSM_IJSG_SG_EEES6_PlJS6_EEE10hipError_tPvRmT3_T4_T5_T6_T7_T9_mT8_P12ihipStream_tbDpT10_ENKUlT_T0_E_clISt17integral_constantIbLb0EES1A_IbLb1EEEEDaS16_S17_EUlS16_E_NS1_11comp_targetILNS1_3genE9ELNS1_11target_archE1100ELNS1_3gpuE3ELNS1_3repE0EEENS1_30default_config_static_selectorELNS0_4arch9wavefront6targetE1EEEvT1_
    .private_segment_fixed_size: 0
    .sgpr_count:     6
    .sgpr_spill_count: 0
    .symbol:         _ZN7rocprim17ROCPRIM_400000_NS6detail17trampoline_kernelINS0_14default_configENS1_25partition_config_selectorILNS1_17partition_subalgoE1EiNS0_10empty_typeEbEEZZNS1_14partition_implILS5_1ELb0ES3_jN6thrust23THRUST_200600_302600_NS6detail15normal_iteratorINSA_10device_ptrIiEEEEPS6_NSA_18transform_iteratorI7is_evenIiESF_NSA_11use_defaultESK_EENS0_5tupleIJNSA_16discard_iteratorISK_EESF_EEENSM_IJSG_SG_EEES6_PlJS6_EEE10hipError_tPvRmT3_T4_T5_T6_T7_T9_mT8_P12ihipStream_tbDpT10_ENKUlT_T0_E_clISt17integral_constantIbLb0EES1A_IbLb1EEEEDaS16_S17_EUlS16_E_NS1_11comp_targetILNS1_3genE9ELNS1_11target_archE1100ELNS1_3gpuE3ELNS1_3repE0EEENS1_30default_config_static_selectorELNS0_4arch9wavefront6targetE1EEEvT1_.kd
    .uniform_work_group_size: 1
    .uses_dynamic_stack: false
    .vgpr_count:     0
    .vgpr_spill_count: 0
    .wavefront_size: 64
  - .agpr_count:     0
    .args:
      - .offset:         0
        .size:           152
        .value_kind:     by_value
    .group_segment_fixed_size: 0
    .kernarg_segment_align: 8
    .kernarg_segment_size: 152
    .language:       OpenCL C
    .language_version:
      - 2
      - 0
    .max_flat_workgroup_size: 512
    .name:           _ZN7rocprim17ROCPRIM_400000_NS6detail17trampoline_kernelINS0_14default_configENS1_25partition_config_selectorILNS1_17partition_subalgoE1EiNS0_10empty_typeEbEEZZNS1_14partition_implILS5_1ELb0ES3_jN6thrust23THRUST_200600_302600_NS6detail15normal_iteratorINSA_10device_ptrIiEEEEPS6_NSA_18transform_iteratorI7is_evenIiESF_NSA_11use_defaultESK_EENS0_5tupleIJNSA_16discard_iteratorISK_EESF_EEENSM_IJSG_SG_EEES6_PlJS6_EEE10hipError_tPvRmT3_T4_T5_T6_T7_T9_mT8_P12ihipStream_tbDpT10_ENKUlT_T0_E_clISt17integral_constantIbLb0EES1A_IbLb1EEEEDaS16_S17_EUlS16_E_NS1_11comp_targetILNS1_3genE8ELNS1_11target_archE1030ELNS1_3gpuE2ELNS1_3repE0EEENS1_30default_config_static_selectorELNS0_4arch9wavefront6targetE1EEEvT1_
    .private_segment_fixed_size: 0
    .sgpr_count:     6
    .sgpr_spill_count: 0
    .symbol:         _ZN7rocprim17ROCPRIM_400000_NS6detail17trampoline_kernelINS0_14default_configENS1_25partition_config_selectorILNS1_17partition_subalgoE1EiNS0_10empty_typeEbEEZZNS1_14partition_implILS5_1ELb0ES3_jN6thrust23THRUST_200600_302600_NS6detail15normal_iteratorINSA_10device_ptrIiEEEEPS6_NSA_18transform_iteratorI7is_evenIiESF_NSA_11use_defaultESK_EENS0_5tupleIJNSA_16discard_iteratorISK_EESF_EEENSM_IJSG_SG_EEES6_PlJS6_EEE10hipError_tPvRmT3_T4_T5_T6_T7_T9_mT8_P12ihipStream_tbDpT10_ENKUlT_T0_E_clISt17integral_constantIbLb0EES1A_IbLb1EEEEDaS16_S17_EUlS16_E_NS1_11comp_targetILNS1_3genE8ELNS1_11target_archE1030ELNS1_3gpuE2ELNS1_3repE0EEENS1_30default_config_static_selectorELNS0_4arch9wavefront6targetE1EEEvT1_.kd
    .uniform_work_group_size: 1
    .uses_dynamic_stack: false
    .vgpr_count:     0
    .vgpr_spill_count: 0
    .wavefront_size: 64
  - .agpr_count:     0
    .args:
      - .offset:         0
        .size:           144
        .value_kind:     by_value
    .group_segment_fixed_size: 0
    .kernarg_segment_align: 8
    .kernarg_segment_size: 144
    .language:       OpenCL C
    .language_version:
      - 2
      - 0
    .max_flat_workgroup_size: 256
    .name:           _ZN7rocprim17ROCPRIM_400000_NS6detail17trampoline_kernelINS0_14default_configENS1_25partition_config_selectorILNS1_17partition_subalgoE1EsNS0_10empty_typeEbEEZZNS1_14partition_implILS5_1ELb0ES3_jN6thrust23THRUST_200600_302600_NS6detail15normal_iteratorINSA_10device_ptrIsEEEEPS6_NSA_18transform_iteratorI7is_evenIsESF_NSA_11use_defaultESK_EENS0_5tupleIJNSA_16discard_iteratorISK_EESO_EEENSM_IJSG_SG_EEES6_PlJS6_EEE10hipError_tPvRmT3_T4_T5_T6_T7_T9_mT8_P12ihipStream_tbDpT10_ENKUlT_T0_E_clISt17integral_constantIbLb0EES1B_EEDaS16_S17_EUlS16_E_NS1_11comp_targetILNS1_3genE0ELNS1_11target_archE4294967295ELNS1_3gpuE0ELNS1_3repE0EEENS1_30default_config_static_selectorELNS0_4arch9wavefront6targetE1EEEvT1_
    .private_segment_fixed_size: 0
    .sgpr_count:     6
    .sgpr_spill_count: 0
    .symbol:         _ZN7rocprim17ROCPRIM_400000_NS6detail17trampoline_kernelINS0_14default_configENS1_25partition_config_selectorILNS1_17partition_subalgoE1EsNS0_10empty_typeEbEEZZNS1_14partition_implILS5_1ELb0ES3_jN6thrust23THRUST_200600_302600_NS6detail15normal_iteratorINSA_10device_ptrIsEEEEPS6_NSA_18transform_iteratorI7is_evenIsESF_NSA_11use_defaultESK_EENS0_5tupleIJNSA_16discard_iteratorISK_EESO_EEENSM_IJSG_SG_EEES6_PlJS6_EEE10hipError_tPvRmT3_T4_T5_T6_T7_T9_mT8_P12ihipStream_tbDpT10_ENKUlT_T0_E_clISt17integral_constantIbLb0EES1B_EEDaS16_S17_EUlS16_E_NS1_11comp_targetILNS1_3genE0ELNS1_11target_archE4294967295ELNS1_3gpuE0ELNS1_3repE0EEENS1_30default_config_static_selectorELNS0_4arch9wavefront6targetE1EEEvT1_.kd
    .uniform_work_group_size: 1
    .uses_dynamic_stack: false
    .vgpr_count:     0
    .vgpr_spill_count: 0
    .wavefront_size: 64
  - .agpr_count:     0
    .args:
      - .offset:         0
        .size:           144
        .value_kind:     by_value
    .group_segment_fixed_size: 28680
    .kernarg_segment_align: 8
    .kernarg_segment_size: 144
    .language:       OpenCL C
    .language_version:
      - 2
      - 0
    .max_flat_workgroup_size: 512
    .name:           _ZN7rocprim17ROCPRIM_400000_NS6detail17trampoline_kernelINS0_14default_configENS1_25partition_config_selectorILNS1_17partition_subalgoE1EsNS0_10empty_typeEbEEZZNS1_14partition_implILS5_1ELb0ES3_jN6thrust23THRUST_200600_302600_NS6detail15normal_iteratorINSA_10device_ptrIsEEEEPS6_NSA_18transform_iteratorI7is_evenIsESF_NSA_11use_defaultESK_EENS0_5tupleIJNSA_16discard_iteratorISK_EESO_EEENSM_IJSG_SG_EEES6_PlJS6_EEE10hipError_tPvRmT3_T4_T5_T6_T7_T9_mT8_P12ihipStream_tbDpT10_ENKUlT_T0_E_clISt17integral_constantIbLb0EES1B_EEDaS16_S17_EUlS16_E_NS1_11comp_targetILNS1_3genE5ELNS1_11target_archE942ELNS1_3gpuE9ELNS1_3repE0EEENS1_30default_config_static_selectorELNS0_4arch9wavefront6targetE1EEEvT1_
    .private_segment_fixed_size: 0
    .sgpr_count:     42
    .sgpr_spill_count: 0
    .symbol:         _ZN7rocprim17ROCPRIM_400000_NS6detail17trampoline_kernelINS0_14default_configENS1_25partition_config_selectorILNS1_17partition_subalgoE1EsNS0_10empty_typeEbEEZZNS1_14partition_implILS5_1ELb0ES3_jN6thrust23THRUST_200600_302600_NS6detail15normal_iteratorINSA_10device_ptrIsEEEEPS6_NSA_18transform_iteratorI7is_evenIsESF_NSA_11use_defaultESK_EENS0_5tupleIJNSA_16discard_iteratorISK_EESO_EEENSM_IJSG_SG_EEES6_PlJS6_EEE10hipError_tPvRmT3_T4_T5_T6_T7_T9_mT8_P12ihipStream_tbDpT10_ENKUlT_T0_E_clISt17integral_constantIbLb0EES1B_EEDaS16_S17_EUlS16_E_NS1_11comp_targetILNS1_3genE5ELNS1_11target_archE942ELNS1_3gpuE9ELNS1_3repE0EEENS1_30default_config_static_selectorELNS0_4arch9wavefront6targetE1EEEvT1_.kd
    .uniform_work_group_size: 1
    .uses_dynamic_stack: false
    .vgpr_count:     78
    .vgpr_spill_count: 0
    .wavefront_size: 64
  - .agpr_count:     0
    .args:
      - .offset:         0
        .size:           144
        .value_kind:     by_value
    .group_segment_fixed_size: 0
    .kernarg_segment_align: 8
    .kernarg_segment_size: 144
    .language:       OpenCL C
    .language_version:
      - 2
      - 0
    .max_flat_workgroup_size: 256
    .name:           _ZN7rocprim17ROCPRIM_400000_NS6detail17trampoline_kernelINS0_14default_configENS1_25partition_config_selectorILNS1_17partition_subalgoE1EsNS0_10empty_typeEbEEZZNS1_14partition_implILS5_1ELb0ES3_jN6thrust23THRUST_200600_302600_NS6detail15normal_iteratorINSA_10device_ptrIsEEEEPS6_NSA_18transform_iteratorI7is_evenIsESF_NSA_11use_defaultESK_EENS0_5tupleIJNSA_16discard_iteratorISK_EESO_EEENSM_IJSG_SG_EEES6_PlJS6_EEE10hipError_tPvRmT3_T4_T5_T6_T7_T9_mT8_P12ihipStream_tbDpT10_ENKUlT_T0_E_clISt17integral_constantIbLb0EES1B_EEDaS16_S17_EUlS16_E_NS1_11comp_targetILNS1_3genE4ELNS1_11target_archE910ELNS1_3gpuE8ELNS1_3repE0EEENS1_30default_config_static_selectorELNS0_4arch9wavefront6targetE1EEEvT1_
    .private_segment_fixed_size: 0
    .sgpr_count:     6
    .sgpr_spill_count: 0
    .symbol:         _ZN7rocprim17ROCPRIM_400000_NS6detail17trampoline_kernelINS0_14default_configENS1_25partition_config_selectorILNS1_17partition_subalgoE1EsNS0_10empty_typeEbEEZZNS1_14partition_implILS5_1ELb0ES3_jN6thrust23THRUST_200600_302600_NS6detail15normal_iteratorINSA_10device_ptrIsEEEEPS6_NSA_18transform_iteratorI7is_evenIsESF_NSA_11use_defaultESK_EENS0_5tupleIJNSA_16discard_iteratorISK_EESO_EEENSM_IJSG_SG_EEES6_PlJS6_EEE10hipError_tPvRmT3_T4_T5_T6_T7_T9_mT8_P12ihipStream_tbDpT10_ENKUlT_T0_E_clISt17integral_constantIbLb0EES1B_EEDaS16_S17_EUlS16_E_NS1_11comp_targetILNS1_3genE4ELNS1_11target_archE910ELNS1_3gpuE8ELNS1_3repE0EEENS1_30default_config_static_selectorELNS0_4arch9wavefront6targetE1EEEvT1_.kd
    .uniform_work_group_size: 1
    .uses_dynamic_stack: false
    .vgpr_count:     0
    .vgpr_spill_count: 0
    .wavefront_size: 64
  - .agpr_count:     0
    .args:
      - .offset:         0
        .size:           144
        .value_kind:     by_value
    .group_segment_fixed_size: 0
    .kernarg_segment_align: 8
    .kernarg_segment_size: 144
    .language:       OpenCL C
    .language_version:
      - 2
      - 0
    .max_flat_workgroup_size: 256
    .name:           _ZN7rocprim17ROCPRIM_400000_NS6detail17trampoline_kernelINS0_14default_configENS1_25partition_config_selectorILNS1_17partition_subalgoE1EsNS0_10empty_typeEbEEZZNS1_14partition_implILS5_1ELb0ES3_jN6thrust23THRUST_200600_302600_NS6detail15normal_iteratorINSA_10device_ptrIsEEEEPS6_NSA_18transform_iteratorI7is_evenIsESF_NSA_11use_defaultESK_EENS0_5tupleIJNSA_16discard_iteratorISK_EESO_EEENSM_IJSG_SG_EEES6_PlJS6_EEE10hipError_tPvRmT3_T4_T5_T6_T7_T9_mT8_P12ihipStream_tbDpT10_ENKUlT_T0_E_clISt17integral_constantIbLb0EES1B_EEDaS16_S17_EUlS16_E_NS1_11comp_targetILNS1_3genE3ELNS1_11target_archE908ELNS1_3gpuE7ELNS1_3repE0EEENS1_30default_config_static_selectorELNS0_4arch9wavefront6targetE1EEEvT1_
    .private_segment_fixed_size: 0
    .sgpr_count:     6
    .sgpr_spill_count: 0
    .symbol:         _ZN7rocprim17ROCPRIM_400000_NS6detail17trampoline_kernelINS0_14default_configENS1_25partition_config_selectorILNS1_17partition_subalgoE1EsNS0_10empty_typeEbEEZZNS1_14partition_implILS5_1ELb0ES3_jN6thrust23THRUST_200600_302600_NS6detail15normal_iteratorINSA_10device_ptrIsEEEEPS6_NSA_18transform_iteratorI7is_evenIsESF_NSA_11use_defaultESK_EENS0_5tupleIJNSA_16discard_iteratorISK_EESO_EEENSM_IJSG_SG_EEES6_PlJS6_EEE10hipError_tPvRmT3_T4_T5_T6_T7_T9_mT8_P12ihipStream_tbDpT10_ENKUlT_T0_E_clISt17integral_constantIbLb0EES1B_EEDaS16_S17_EUlS16_E_NS1_11comp_targetILNS1_3genE3ELNS1_11target_archE908ELNS1_3gpuE7ELNS1_3repE0EEENS1_30default_config_static_selectorELNS0_4arch9wavefront6targetE1EEEvT1_.kd
    .uniform_work_group_size: 1
    .uses_dynamic_stack: false
    .vgpr_count:     0
    .vgpr_spill_count: 0
    .wavefront_size: 64
  - .agpr_count:     0
    .args:
      - .offset:         0
        .size:           144
        .value_kind:     by_value
    .group_segment_fixed_size: 0
    .kernarg_segment_align: 8
    .kernarg_segment_size: 144
    .language:       OpenCL C
    .language_version:
      - 2
      - 0
    .max_flat_workgroup_size: 256
    .name:           _ZN7rocprim17ROCPRIM_400000_NS6detail17trampoline_kernelINS0_14default_configENS1_25partition_config_selectorILNS1_17partition_subalgoE1EsNS0_10empty_typeEbEEZZNS1_14partition_implILS5_1ELb0ES3_jN6thrust23THRUST_200600_302600_NS6detail15normal_iteratorINSA_10device_ptrIsEEEEPS6_NSA_18transform_iteratorI7is_evenIsESF_NSA_11use_defaultESK_EENS0_5tupleIJNSA_16discard_iteratorISK_EESO_EEENSM_IJSG_SG_EEES6_PlJS6_EEE10hipError_tPvRmT3_T4_T5_T6_T7_T9_mT8_P12ihipStream_tbDpT10_ENKUlT_T0_E_clISt17integral_constantIbLb0EES1B_EEDaS16_S17_EUlS16_E_NS1_11comp_targetILNS1_3genE2ELNS1_11target_archE906ELNS1_3gpuE6ELNS1_3repE0EEENS1_30default_config_static_selectorELNS0_4arch9wavefront6targetE1EEEvT1_
    .private_segment_fixed_size: 0
    .sgpr_count:     6
    .sgpr_spill_count: 0
    .symbol:         _ZN7rocprim17ROCPRIM_400000_NS6detail17trampoline_kernelINS0_14default_configENS1_25partition_config_selectorILNS1_17partition_subalgoE1EsNS0_10empty_typeEbEEZZNS1_14partition_implILS5_1ELb0ES3_jN6thrust23THRUST_200600_302600_NS6detail15normal_iteratorINSA_10device_ptrIsEEEEPS6_NSA_18transform_iteratorI7is_evenIsESF_NSA_11use_defaultESK_EENS0_5tupleIJNSA_16discard_iteratorISK_EESO_EEENSM_IJSG_SG_EEES6_PlJS6_EEE10hipError_tPvRmT3_T4_T5_T6_T7_T9_mT8_P12ihipStream_tbDpT10_ENKUlT_T0_E_clISt17integral_constantIbLb0EES1B_EEDaS16_S17_EUlS16_E_NS1_11comp_targetILNS1_3genE2ELNS1_11target_archE906ELNS1_3gpuE6ELNS1_3repE0EEENS1_30default_config_static_selectorELNS0_4arch9wavefront6targetE1EEEvT1_.kd
    .uniform_work_group_size: 1
    .uses_dynamic_stack: false
    .vgpr_count:     0
    .vgpr_spill_count: 0
    .wavefront_size: 64
  - .agpr_count:     0
    .args:
      - .offset:         0
        .size:           144
        .value_kind:     by_value
    .group_segment_fixed_size: 0
    .kernarg_segment_align: 8
    .kernarg_segment_size: 144
    .language:       OpenCL C
    .language_version:
      - 2
      - 0
    .max_flat_workgroup_size: 384
    .name:           _ZN7rocprim17ROCPRIM_400000_NS6detail17trampoline_kernelINS0_14default_configENS1_25partition_config_selectorILNS1_17partition_subalgoE1EsNS0_10empty_typeEbEEZZNS1_14partition_implILS5_1ELb0ES3_jN6thrust23THRUST_200600_302600_NS6detail15normal_iteratorINSA_10device_ptrIsEEEEPS6_NSA_18transform_iteratorI7is_evenIsESF_NSA_11use_defaultESK_EENS0_5tupleIJNSA_16discard_iteratorISK_EESO_EEENSM_IJSG_SG_EEES6_PlJS6_EEE10hipError_tPvRmT3_T4_T5_T6_T7_T9_mT8_P12ihipStream_tbDpT10_ENKUlT_T0_E_clISt17integral_constantIbLb0EES1B_EEDaS16_S17_EUlS16_E_NS1_11comp_targetILNS1_3genE10ELNS1_11target_archE1200ELNS1_3gpuE4ELNS1_3repE0EEENS1_30default_config_static_selectorELNS0_4arch9wavefront6targetE1EEEvT1_
    .private_segment_fixed_size: 0
    .sgpr_count:     6
    .sgpr_spill_count: 0
    .symbol:         _ZN7rocprim17ROCPRIM_400000_NS6detail17trampoline_kernelINS0_14default_configENS1_25partition_config_selectorILNS1_17partition_subalgoE1EsNS0_10empty_typeEbEEZZNS1_14partition_implILS5_1ELb0ES3_jN6thrust23THRUST_200600_302600_NS6detail15normal_iteratorINSA_10device_ptrIsEEEEPS6_NSA_18transform_iteratorI7is_evenIsESF_NSA_11use_defaultESK_EENS0_5tupleIJNSA_16discard_iteratorISK_EESO_EEENSM_IJSG_SG_EEES6_PlJS6_EEE10hipError_tPvRmT3_T4_T5_T6_T7_T9_mT8_P12ihipStream_tbDpT10_ENKUlT_T0_E_clISt17integral_constantIbLb0EES1B_EEDaS16_S17_EUlS16_E_NS1_11comp_targetILNS1_3genE10ELNS1_11target_archE1200ELNS1_3gpuE4ELNS1_3repE0EEENS1_30default_config_static_selectorELNS0_4arch9wavefront6targetE1EEEvT1_.kd
    .uniform_work_group_size: 1
    .uses_dynamic_stack: false
    .vgpr_count:     0
    .vgpr_spill_count: 0
    .wavefront_size: 64
  - .agpr_count:     0
    .args:
      - .offset:         0
        .size:           144
        .value_kind:     by_value
    .group_segment_fixed_size: 0
    .kernarg_segment_align: 8
    .kernarg_segment_size: 144
    .language:       OpenCL C
    .language_version:
      - 2
      - 0
    .max_flat_workgroup_size: 128
    .name:           _ZN7rocprim17ROCPRIM_400000_NS6detail17trampoline_kernelINS0_14default_configENS1_25partition_config_selectorILNS1_17partition_subalgoE1EsNS0_10empty_typeEbEEZZNS1_14partition_implILS5_1ELb0ES3_jN6thrust23THRUST_200600_302600_NS6detail15normal_iteratorINSA_10device_ptrIsEEEEPS6_NSA_18transform_iteratorI7is_evenIsESF_NSA_11use_defaultESK_EENS0_5tupleIJNSA_16discard_iteratorISK_EESO_EEENSM_IJSG_SG_EEES6_PlJS6_EEE10hipError_tPvRmT3_T4_T5_T6_T7_T9_mT8_P12ihipStream_tbDpT10_ENKUlT_T0_E_clISt17integral_constantIbLb0EES1B_EEDaS16_S17_EUlS16_E_NS1_11comp_targetILNS1_3genE9ELNS1_11target_archE1100ELNS1_3gpuE3ELNS1_3repE0EEENS1_30default_config_static_selectorELNS0_4arch9wavefront6targetE1EEEvT1_
    .private_segment_fixed_size: 0
    .sgpr_count:     6
    .sgpr_spill_count: 0
    .symbol:         _ZN7rocprim17ROCPRIM_400000_NS6detail17trampoline_kernelINS0_14default_configENS1_25partition_config_selectorILNS1_17partition_subalgoE1EsNS0_10empty_typeEbEEZZNS1_14partition_implILS5_1ELb0ES3_jN6thrust23THRUST_200600_302600_NS6detail15normal_iteratorINSA_10device_ptrIsEEEEPS6_NSA_18transform_iteratorI7is_evenIsESF_NSA_11use_defaultESK_EENS0_5tupleIJNSA_16discard_iteratorISK_EESO_EEENSM_IJSG_SG_EEES6_PlJS6_EEE10hipError_tPvRmT3_T4_T5_T6_T7_T9_mT8_P12ihipStream_tbDpT10_ENKUlT_T0_E_clISt17integral_constantIbLb0EES1B_EEDaS16_S17_EUlS16_E_NS1_11comp_targetILNS1_3genE9ELNS1_11target_archE1100ELNS1_3gpuE3ELNS1_3repE0EEENS1_30default_config_static_selectorELNS0_4arch9wavefront6targetE1EEEvT1_.kd
    .uniform_work_group_size: 1
    .uses_dynamic_stack: false
    .vgpr_count:     0
    .vgpr_spill_count: 0
    .wavefront_size: 64
  - .agpr_count:     0
    .args:
      - .offset:         0
        .size:           144
        .value_kind:     by_value
    .group_segment_fixed_size: 0
    .kernarg_segment_align: 8
    .kernarg_segment_size: 144
    .language:       OpenCL C
    .language_version:
      - 2
      - 0
    .max_flat_workgroup_size: 512
    .name:           _ZN7rocprim17ROCPRIM_400000_NS6detail17trampoline_kernelINS0_14default_configENS1_25partition_config_selectorILNS1_17partition_subalgoE1EsNS0_10empty_typeEbEEZZNS1_14partition_implILS5_1ELb0ES3_jN6thrust23THRUST_200600_302600_NS6detail15normal_iteratorINSA_10device_ptrIsEEEEPS6_NSA_18transform_iteratorI7is_evenIsESF_NSA_11use_defaultESK_EENS0_5tupleIJNSA_16discard_iteratorISK_EESO_EEENSM_IJSG_SG_EEES6_PlJS6_EEE10hipError_tPvRmT3_T4_T5_T6_T7_T9_mT8_P12ihipStream_tbDpT10_ENKUlT_T0_E_clISt17integral_constantIbLb0EES1B_EEDaS16_S17_EUlS16_E_NS1_11comp_targetILNS1_3genE8ELNS1_11target_archE1030ELNS1_3gpuE2ELNS1_3repE0EEENS1_30default_config_static_selectorELNS0_4arch9wavefront6targetE1EEEvT1_
    .private_segment_fixed_size: 0
    .sgpr_count:     6
    .sgpr_spill_count: 0
    .symbol:         _ZN7rocprim17ROCPRIM_400000_NS6detail17trampoline_kernelINS0_14default_configENS1_25partition_config_selectorILNS1_17partition_subalgoE1EsNS0_10empty_typeEbEEZZNS1_14partition_implILS5_1ELb0ES3_jN6thrust23THRUST_200600_302600_NS6detail15normal_iteratorINSA_10device_ptrIsEEEEPS6_NSA_18transform_iteratorI7is_evenIsESF_NSA_11use_defaultESK_EENS0_5tupleIJNSA_16discard_iteratorISK_EESO_EEENSM_IJSG_SG_EEES6_PlJS6_EEE10hipError_tPvRmT3_T4_T5_T6_T7_T9_mT8_P12ihipStream_tbDpT10_ENKUlT_T0_E_clISt17integral_constantIbLb0EES1B_EEDaS16_S17_EUlS16_E_NS1_11comp_targetILNS1_3genE8ELNS1_11target_archE1030ELNS1_3gpuE2ELNS1_3repE0EEENS1_30default_config_static_selectorELNS0_4arch9wavefront6targetE1EEEvT1_.kd
    .uniform_work_group_size: 1
    .uses_dynamic_stack: false
    .vgpr_count:     0
    .vgpr_spill_count: 0
    .wavefront_size: 64
  - .agpr_count:     0
    .args:
      - .offset:         0
        .size:           160
        .value_kind:     by_value
    .group_segment_fixed_size: 0
    .kernarg_segment_align: 8
    .kernarg_segment_size: 160
    .language:       OpenCL C
    .language_version:
      - 2
      - 0
    .max_flat_workgroup_size: 256
    .name:           _ZN7rocprim17ROCPRIM_400000_NS6detail17trampoline_kernelINS0_14default_configENS1_25partition_config_selectorILNS1_17partition_subalgoE1EsNS0_10empty_typeEbEEZZNS1_14partition_implILS5_1ELb0ES3_jN6thrust23THRUST_200600_302600_NS6detail15normal_iteratorINSA_10device_ptrIsEEEEPS6_NSA_18transform_iteratorI7is_evenIsESF_NSA_11use_defaultESK_EENS0_5tupleIJNSA_16discard_iteratorISK_EESO_EEENSM_IJSG_SG_EEES6_PlJS6_EEE10hipError_tPvRmT3_T4_T5_T6_T7_T9_mT8_P12ihipStream_tbDpT10_ENKUlT_T0_E_clISt17integral_constantIbLb1EES1B_EEDaS16_S17_EUlS16_E_NS1_11comp_targetILNS1_3genE0ELNS1_11target_archE4294967295ELNS1_3gpuE0ELNS1_3repE0EEENS1_30default_config_static_selectorELNS0_4arch9wavefront6targetE1EEEvT1_
    .private_segment_fixed_size: 0
    .sgpr_count:     6
    .sgpr_spill_count: 0
    .symbol:         _ZN7rocprim17ROCPRIM_400000_NS6detail17trampoline_kernelINS0_14default_configENS1_25partition_config_selectorILNS1_17partition_subalgoE1EsNS0_10empty_typeEbEEZZNS1_14partition_implILS5_1ELb0ES3_jN6thrust23THRUST_200600_302600_NS6detail15normal_iteratorINSA_10device_ptrIsEEEEPS6_NSA_18transform_iteratorI7is_evenIsESF_NSA_11use_defaultESK_EENS0_5tupleIJNSA_16discard_iteratorISK_EESO_EEENSM_IJSG_SG_EEES6_PlJS6_EEE10hipError_tPvRmT3_T4_T5_T6_T7_T9_mT8_P12ihipStream_tbDpT10_ENKUlT_T0_E_clISt17integral_constantIbLb1EES1B_EEDaS16_S17_EUlS16_E_NS1_11comp_targetILNS1_3genE0ELNS1_11target_archE4294967295ELNS1_3gpuE0ELNS1_3repE0EEENS1_30default_config_static_selectorELNS0_4arch9wavefront6targetE1EEEvT1_.kd
    .uniform_work_group_size: 1
    .uses_dynamic_stack: false
    .vgpr_count:     0
    .vgpr_spill_count: 0
    .wavefront_size: 64
  - .agpr_count:     0
    .args:
      - .offset:         0
        .size:           160
        .value_kind:     by_value
    .group_segment_fixed_size: 28680
    .kernarg_segment_align: 8
    .kernarg_segment_size: 160
    .language:       OpenCL C
    .language_version:
      - 2
      - 0
    .max_flat_workgroup_size: 512
    .name:           _ZN7rocprim17ROCPRIM_400000_NS6detail17trampoline_kernelINS0_14default_configENS1_25partition_config_selectorILNS1_17partition_subalgoE1EsNS0_10empty_typeEbEEZZNS1_14partition_implILS5_1ELb0ES3_jN6thrust23THRUST_200600_302600_NS6detail15normal_iteratorINSA_10device_ptrIsEEEEPS6_NSA_18transform_iteratorI7is_evenIsESF_NSA_11use_defaultESK_EENS0_5tupleIJNSA_16discard_iteratorISK_EESO_EEENSM_IJSG_SG_EEES6_PlJS6_EEE10hipError_tPvRmT3_T4_T5_T6_T7_T9_mT8_P12ihipStream_tbDpT10_ENKUlT_T0_E_clISt17integral_constantIbLb1EES1B_EEDaS16_S17_EUlS16_E_NS1_11comp_targetILNS1_3genE5ELNS1_11target_archE942ELNS1_3gpuE9ELNS1_3repE0EEENS1_30default_config_static_selectorELNS0_4arch9wavefront6targetE1EEEvT1_
    .private_segment_fixed_size: 0
    .sgpr_count:     42
    .sgpr_spill_count: 0
    .symbol:         _ZN7rocprim17ROCPRIM_400000_NS6detail17trampoline_kernelINS0_14default_configENS1_25partition_config_selectorILNS1_17partition_subalgoE1EsNS0_10empty_typeEbEEZZNS1_14partition_implILS5_1ELb0ES3_jN6thrust23THRUST_200600_302600_NS6detail15normal_iteratorINSA_10device_ptrIsEEEEPS6_NSA_18transform_iteratorI7is_evenIsESF_NSA_11use_defaultESK_EENS0_5tupleIJNSA_16discard_iteratorISK_EESO_EEENSM_IJSG_SG_EEES6_PlJS6_EEE10hipError_tPvRmT3_T4_T5_T6_T7_T9_mT8_P12ihipStream_tbDpT10_ENKUlT_T0_E_clISt17integral_constantIbLb1EES1B_EEDaS16_S17_EUlS16_E_NS1_11comp_targetILNS1_3genE5ELNS1_11target_archE942ELNS1_3gpuE9ELNS1_3repE0EEENS1_30default_config_static_selectorELNS0_4arch9wavefront6targetE1EEEvT1_.kd
    .uniform_work_group_size: 1
    .uses_dynamic_stack: false
    .vgpr_count:     80
    .vgpr_spill_count: 0
    .wavefront_size: 64
  - .agpr_count:     0
    .args:
      - .offset:         0
        .size:           160
        .value_kind:     by_value
    .group_segment_fixed_size: 0
    .kernarg_segment_align: 8
    .kernarg_segment_size: 160
    .language:       OpenCL C
    .language_version:
      - 2
      - 0
    .max_flat_workgroup_size: 256
    .name:           _ZN7rocprim17ROCPRIM_400000_NS6detail17trampoline_kernelINS0_14default_configENS1_25partition_config_selectorILNS1_17partition_subalgoE1EsNS0_10empty_typeEbEEZZNS1_14partition_implILS5_1ELb0ES3_jN6thrust23THRUST_200600_302600_NS6detail15normal_iteratorINSA_10device_ptrIsEEEEPS6_NSA_18transform_iteratorI7is_evenIsESF_NSA_11use_defaultESK_EENS0_5tupleIJNSA_16discard_iteratorISK_EESO_EEENSM_IJSG_SG_EEES6_PlJS6_EEE10hipError_tPvRmT3_T4_T5_T6_T7_T9_mT8_P12ihipStream_tbDpT10_ENKUlT_T0_E_clISt17integral_constantIbLb1EES1B_EEDaS16_S17_EUlS16_E_NS1_11comp_targetILNS1_3genE4ELNS1_11target_archE910ELNS1_3gpuE8ELNS1_3repE0EEENS1_30default_config_static_selectorELNS0_4arch9wavefront6targetE1EEEvT1_
    .private_segment_fixed_size: 0
    .sgpr_count:     6
    .sgpr_spill_count: 0
    .symbol:         _ZN7rocprim17ROCPRIM_400000_NS6detail17trampoline_kernelINS0_14default_configENS1_25partition_config_selectorILNS1_17partition_subalgoE1EsNS0_10empty_typeEbEEZZNS1_14partition_implILS5_1ELb0ES3_jN6thrust23THRUST_200600_302600_NS6detail15normal_iteratorINSA_10device_ptrIsEEEEPS6_NSA_18transform_iteratorI7is_evenIsESF_NSA_11use_defaultESK_EENS0_5tupleIJNSA_16discard_iteratorISK_EESO_EEENSM_IJSG_SG_EEES6_PlJS6_EEE10hipError_tPvRmT3_T4_T5_T6_T7_T9_mT8_P12ihipStream_tbDpT10_ENKUlT_T0_E_clISt17integral_constantIbLb1EES1B_EEDaS16_S17_EUlS16_E_NS1_11comp_targetILNS1_3genE4ELNS1_11target_archE910ELNS1_3gpuE8ELNS1_3repE0EEENS1_30default_config_static_selectorELNS0_4arch9wavefront6targetE1EEEvT1_.kd
    .uniform_work_group_size: 1
    .uses_dynamic_stack: false
    .vgpr_count:     0
    .vgpr_spill_count: 0
    .wavefront_size: 64
  - .agpr_count:     0
    .args:
      - .offset:         0
        .size:           160
        .value_kind:     by_value
    .group_segment_fixed_size: 0
    .kernarg_segment_align: 8
    .kernarg_segment_size: 160
    .language:       OpenCL C
    .language_version:
      - 2
      - 0
    .max_flat_workgroup_size: 256
    .name:           _ZN7rocprim17ROCPRIM_400000_NS6detail17trampoline_kernelINS0_14default_configENS1_25partition_config_selectorILNS1_17partition_subalgoE1EsNS0_10empty_typeEbEEZZNS1_14partition_implILS5_1ELb0ES3_jN6thrust23THRUST_200600_302600_NS6detail15normal_iteratorINSA_10device_ptrIsEEEEPS6_NSA_18transform_iteratorI7is_evenIsESF_NSA_11use_defaultESK_EENS0_5tupleIJNSA_16discard_iteratorISK_EESO_EEENSM_IJSG_SG_EEES6_PlJS6_EEE10hipError_tPvRmT3_T4_T5_T6_T7_T9_mT8_P12ihipStream_tbDpT10_ENKUlT_T0_E_clISt17integral_constantIbLb1EES1B_EEDaS16_S17_EUlS16_E_NS1_11comp_targetILNS1_3genE3ELNS1_11target_archE908ELNS1_3gpuE7ELNS1_3repE0EEENS1_30default_config_static_selectorELNS0_4arch9wavefront6targetE1EEEvT1_
    .private_segment_fixed_size: 0
    .sgpr_count:     6
    .sgpr_spill_count: 0
    .symbol:         _ZN7rocprim17ROCPRIM_400000_NS6detail17trampoline_kernelINS0_14default_configENS1_25partition_config_selectorILNS1_17partition_subalgoE1EsNS0_10empty_typeEbEEZZNS1_14partition_implILS5_1ELb0ES3_jN6thrust23THRUST_200600_302600_NS6detail15normal_iteratorINSA_10device_ptrIsEEEEPS6_NSA_18transform_iteratorI7is_evenIsESF_NSA_11use_defaultESK_EENS0_5tupleIJNSA_16discard_iteratorISK_EESO_EEENSM_IJSG_SG_EEES6_PlJS6_EEE10hipError_tPvRmT3_T4_T5_T6_T7_T9_mT8_P12ihipStream_tbDpT10_ENKUlT_T0_E_clISt17integral_constantIbLb1EES1B_EEDaS16_S17_EUlS16_E_NS1_11comp_targetILNS1_3genE3ELNS1_11target_archE908ELNS1_3gpuE7ELNS1_3repE0EEENS1_30default_config_static_selectorELNS0_4arch9wavefront6targetE1EEEvT1_.kd
    .uniform_work_group_size: 1
    .uses_dynamic_stack: false
    .vgpr_count:     0
    .vgpr_spill_count: 0
    .wavefront_size: 64
  - .agpr_count:     0
    .args:
      - .offset:         0
        .size:           160
        .value_kind:     by_value
    .group_segment_fixed_size: 0
    .kernarg_segment_align: 8
    .kernarg_segment_size: 160
    .language:       OpenCL C
    .language_version:
      - 2
      - 0
    .max_flat_workgroup_size: 256
    .name:           _ZN7rocprim17ROCPRIM_400000_NS6detail17trampoline_kernelINS0_14default_configENS1_25partition_config_selectorILNS1_17partition_subalgoE1EsNS0_10empty_typeEbEEZZNS1_14partition_implILS5_1ELb0ES3_jN6thrust23THRUST_200600_302600_NS6detail15normal_iteratorINSA_10device_ptrIsEEEEPS6_NSA_18transform_iteratorI7is_evenIsESF_NSA_11use_defaultESK_EENS0_5tupleIJNSA_16discard_iteratorISK_EESO_EEENSM_IJSG_SG_EEES6_PlJS6_EEE10hipError_tPvRmT3_T4_T5_T6_T7_T9_mT8_P12ihipStream_tbDpT10_ENKUlT_T0_E_clISt17integral_constantIbLb1EES1B_EEDaS16_S17_EUlS16_E_NS1_11comp_targetILNS1_3genE2ELNS1_11target_archE906ELNS1_3gpuE6ELNS1_3repE0EEENS1_30default_config_static_selectorELNS0_4arch9wavefront6targetE1EEEvT1_
    .private_segment_fixed_size: 0
    .sgpr_count:     6
    .sgpr_spill_count: 0
    .symbol:         _ZN7rocprim17ROCPRIM_400000_NS6detail17trampoline_kernelINS0_14default_configENS1_25partition_config_selectorILNS1_17partition_subalgoE1EsNS0_10empty_typeEbEEZZNS1_14partition_implILS5_1ELb0ES3_jN6thrust23THRUST_200600_302600_NS6detail15normal_iteratorINSA_10device_ptrIsEEEEPS6_NSA_18transform_iteratorI7is_evenIsESF_NSA_11use_defaultESK_EENS0_5tupleIJNSA_16discard_iteratorISK_EESO_EEENSM_IJSG_SG_EEES6_PlJS6_EEE10hipError_tPvRmT3_T4_T5_T6_T7_T9_mT8_P12ihipStream_tbDpT10_ENKUlT_T0_E_clISt17integral_constantIbLb1EES1B_EEDaS16_S17_EUlS16_E_NS1_11comp_targetILNS1_3genE2ELNS1_11target_archE906ELNS1_3gpuE6ELNS1_3repE0EEENS1_30default_config_static_selectorELNS0_4arch9wavefront6targetE1EEEvT1_.kd
    .uniform_work_group_size: 1
    .uses_dynamic_stack: false
    .vgpr_count:     0
    .vgpr_spill_count: 0
    .wavefront_size: 64
  - .agpr_count:     0
    .args:
      - .offset:         0
        .size:           160
        .value_kind:     by_value
    .group_segment_fixed_size: 0
    .kernarg_segment_align: 8
    .kernarg_segment_size: 160
    .language:       OpenCL C
    .language_version:
      - 2
      - 0
    .max_flat_workgroup_size: 384
    .name:           _ZN7rocprim17ROCPRIM_400000_NS6detail17trampoline_kernelINS0_14default_configENS1_25partition_config_selectorILNS1_17partition_subalgoE1EsNS0_10empty_typeEbEEZZNS1_14partition_implILS5_1ELb0ES3_jN6thrust23THRUST_200600_302600_NS6detail15normal_iteratorINSA_10device_ptrIsEEEEPS6_NSA_18transform_iteratorI7is_evenIsESF_NSA_11use_defaultESK_EENS0_5tupleIJNSA_16discard_iteratorISK_EESO_EEENSM_IJSG_SG_EEES6_PlJS6_EEE10hipError_tPvRmT3_T4_T5_T6_T7_T9_mT8_P12ihipStream_tbDpT10_ENKUlT_T0_E_clISt17integral_constantIbLb1EES1B_EEDaS16_S17_EUlS16_E_NS1_11comp_targetILNS1_3genE10ELNS1_11target_archE1200ELNS1_3gpuE4ELNS1_3repE0EEENS1_30default_config_static_selectorELNS0_4arch9wavefront6targetE1EEEvT1_
    .private_segment_fixed_size: 0
    .sgpr_count:     6
    .sgpr_spill_count: 0
    .symbol:         _ZN7rocprim17ROCPRIM_400000_NS6detail17trampoline_kernelINS0_14default_configENS1_25partition_config_selectorILNS1_17partition_subalgoE1EsNS0_10empty_typeEbEEZZNS1_14partition_implILS5_1ELb0ES3_jN6thrust23THRUST_200600_302600_NS6detail15normal_iteratorINSA_10device_ptrIsEEEEPS6_NSA_18transform_iteratorI7is_evenIsESF_NSA_11use_defaultESK_EENS0_5tupleIJNSA_16discard_iteratorISK_EESO_EEENSM_IJSG_SG_EEES6_PlJS6_EEE10hipError_tPvRmT3_T4_T5_T6_T7_T9_mT8_P12ihipStream_tbDpT10_ENKUlT_T0_E_clISt17integral_constantIbLb1EES1B_EEDaS16_S17_EUlS16_E_NS1_11comp_targetILNS1_3genE10ELNS1_11target_archE1200ELNS1_3gpuE4ELNS1_3repE0EEENS1_30default_config_static_selectorELNS0_4arch9wavefront6targetE1EEEvT1_.kd
    .uniform_work_group_size: 1
    .uses_dynamic_stack: false
    .vgpr_count:     0
    .vgpr_spill_count: 0
    .wavefront_size: 64
  - .agpr_count:     0
    .args:
      - .offset:         0
        .size:           160
        .value_kind:     by_value
    .group_segment_fixed_size: 0
    .kernarg_segment_align: 8
    .kernarg_segment_size: 160
    .language:       OpenCL C
    .language_version:
      - 2
      - 0
    .max_flat_workgroup_size: 128
    .name:           _ZN7rocprim17ROCPRIM_400000_NS6detail17trampoline_kernelINS0_14default_configENS1_25partition_config_selectorILNS1_17partition_subalgoE1EsNS0_10empty_typeEbEEZZNS1_14partition_implILS5_1ELb0ES3_jN6thrust23THRUST_200600_302600_NS6detail15normal_iteratorINSA_10device_ptrIsEEEEPS6_NSA_18transform_iteratorI7is_evenIsESF_NSA_11use_defaultESK_EENS0_5tupleIJNSA_16discard_iteratorISK_EESO_EEENSM_IJSG_SG_EEES6_PlJS6_EEE10hipError_tPvRmT3_T4_T5_T6_T7_T9_mT8_P12ihipStream_tbDpT10_ENKUlT_T0_E_clISt17integral_constantIbLb1EES1B_EEDaS16_S17_EUlS16_E_NS1_11comp_targetILNS1_3genE9ELNS1_11target_archE1100ELNS1_3gpuE3ELNS1_3repE0EEENS1_30default_config_static_selectorELNS0_4arch9wavefront6targetE1EEEvT1_
    .private_segment_fixed_size: 0
    .sgpr_count:     6
    .sgpr_spill_count: 0
    .symbol:         _ZN7rocprim17ROCPRIM_400000_NS6detail17trampoline_kernelINS0_14default_configENS1_25partition_config_selectorILNS1_17partition_subalgoE1EsNS0_10empty_typeEbEEZZNS1_14partition_implILS5_1ELb0ES3_jN6thrust23THRUST_200600_302600_NS6detail15normal_iteratorINSA_10device_ptrIsEEEEPS6_NSA_18transform_iteratorI7is_evenIsESF_NSA_11use_defaultESK_EENS0_5tupleIJNSA_16discard_iteratorISK_EESO_EEENSM_IJSG_SG_EEES6_PlJS6_EEE10hipError_tPvRmT3_T4_T5_T6_T7_T9_mT8_P12ihipStream_tbDpT10_ENKUlT_T0_E_clISt17integral_constantIbLb1EES1B_EEDaS16_S17_EUlS16_E_NS1_11comp_targetILNS1_3genE9ELNS1_11target_archE1100ELNS1_3gpuE3ELNS1_3repE0EEENS1_30default_config_static_selectorELNS0_4arch9wavefront6targetE1EEEvT1_.kd
    .uniform_work_group_size: 1
    .uses_dynamic_stack: false
    .vgpr_count:     0
    .vgpr_spill_count: 0
    .wavefront_size: 64
  - .agpr_count:     0
    .args:
      - .offset:         0
        .size:           160
        .value_kind:     by_value
    .group_segment_fixed_size: 0
    .kernarg_segment_align: 8
    .kernarg_segment_size: 160
    .language:       OpenCL C
    .language_version:
      - 2
      - 0
    .max_flat_workgroup_size: 512
    .name:           _ZN7rocprim17ROCPRIM_400000_NS6detail17trampoline_kernelINS0_14default_configENS1_25partition_config_selectorILNS1_17partition_subalgoE1EsNS0_10empty_typeEbEEZZNS1_14partition_implILS5_1ELb0ES3_jN6thrust23THRUST_200600_302600_NS6detail15normal_iteratorINSA_10device_ptrIsEEEEPS6_NSA_18transform_iteratorI7is_evenIsESF_NSA_11use_defaultESK_EENS0_5tupleIJNSA_16discard_iteratorISK_EESO_EEENSM_IJSG_SG_EEES6_PlJS6_EEE10hipError_tPvRmT3_T4_T5_T6_T7_T9_mT8_P12ihipStream_tbDpT10_ENKUlT_T0_E_clISt17integral_constantIbLb1EES1B_EEDaS16_S17_EUlS16_E_NS1_11comp_targetILNS1_3genE8ELNS1_11target_archE1030ELNS1_3gpuE2ELNS1_3repE0EEENS1_30default_config_static_selectorELNS0_4arch9wavefront6targetE1EEEvT1_
    .private_segment_fixed_size: 0
    .sgpr_count:     6
    .sgpr_spill_count: 0
    .symbol:         _ZN7rocprim17ROCPRIM_400000_NS6detail17trampoline_kernelINS0_14default_configENS1_25partition_config_selectorILNS1_17partition_subalgoE1EsNS0_10empty_typeEbEEZZNS1_14partition_implILS5_1ELb0ES3_jN6thrust23THRUST_200600_302600_NS6detail15normal_iteratorINSA_10device_ptrIsEEEEPS6_NSA_18transform_iteratorI7is_evenIsESF_NSA_11use_defaultESK_EENS0_5tupleIJNSA_16discard_iteratorISK_EESO_EEENSM_IJSG_SG_EEES6_PlJS6_EEE10hipError_tPvRmT3_T4_T5_T6_T7_T9_mT8_P12ihipStream_tbDpT10_ENKUlT_T0_E_clISt17integral_constantIbLb1EES1B_EEDaS16_S17_EUlS16_E_NS1_11comp_targetILNS1_3genE8ELNS1_11target_archE1030ELNS1_3gpuE2ELNS1_3repE0EEENS1_30default_config_static_selectorELNS0_4arch9wavefront6targetE1EEEvT1_.kd
    .uniform_work_group_size: 1
    .uses_dynamic_stack: false
    .vgpr_count:     0
    .vgpr_spill_count: 0
    .wavefront_size: 64
  - .agpr_count:     0
    .args:
      - .offset:         0
        .size:           144
        .value_kind:     by_value
    .group_segment_fixed_size: 0
    .kernarg_segment_align: 8
    .kernarg_segment_size: 144
    .language:       OpenCL C
    .language_version:
      - 2
      - 0
    .max_flat_workgroup_size: 256
    .name:           _ZN7rocprim17ROCPRIM_400000_NS6detail17trampoline_kernelINS0_14default_configENS1_25partition_config_selectorILNS1_17partition_subalgoE1EsNS0_10empty_typeEbEEZZNS1_14partition_implILS5_1ELb0ES3_jN6thrust23THRUST_200600_302600_NS6detail15normal_iteratorINSA_10device_ptrIsEEEEPS6_NSA_18transform_iteratorI7is_evenIsESF_NSA_11use_defaultESK_EENS0_5tupleIJNSA_16discard_iteratorISK_EESO_EEENSM_IJSG_SG_EEES6_PlJS6_EEE10hipError_tPvRmT3_T4_T5_T6_T7_T9_mT8_P12ihipStream_tbDpT10_ENKUlT_T0_E_clISt17integral_constantIbLb1EES1A_IbLb0EEEEDaS16_S17_EUlS16_E_NS1_11comp_targetILNS1_3genE0ELNS1_11target_archE4294967295ELNS1_3gpuE0ELNS1_3repE0EEENS1_30default_config_static_selectorELNS0_4arch9wavefront6targetE1EEEvT1_
    .private_segment_fixed_size: 0
    .sgpr_count:     6
    .sgpr_spill_count: 0
    .symbol:         _ZN7rocprim17ROCPRIM_400000_NS6detail17trampoline_kernelINS0_14default_configENS1_25partition_config_selectorILNS1_17partition_subalgoE1EsNS0_10empty_typeEbEEZZNS1_14partition_implILS5_1ELb0ES3_jN6thrust23THRUST_200600_302600_NS6detail15normal_iteratorINSA_10device_ptrIsEEEEPS6_NSA_18transform_iteratorI7is_evenIsESF_NSA_11use_defaultESK_EENS0_5tupleIJNSA_16discard_iteratorISK_EESO_EEENSM_IJSG_SG_EEES6_PlJS6_EEE10hipError_tPvRmT3_T4_T5_T6_T7_T9_mT8_P12ihipStream_tbDpT10_ENKUlT_T0_E_clISt17integral_constantIbLb1EES1A_IbLb0EEEEDaS16_S17_EUlS16_E_NS1_11comp_targetILNS1_3genE0ELNS1_11target_archE4294967295ELNS1_3gpuE0ELNS1_3repE0EEENS1_30default_config_static_selectorELNS0_4arch9wavefront6targetE1EEEvT1_.kd
    .uniform_work_group_size: 1
    .uses_dynamic_stack: false
    .vgpr_count:     0
    .vgpr_spill_count: 0
    .wavefront_size: 64
  - .agpr_count:     0
    .args:
      - .offset:         0
        .size:           144
        .value_kind:     by_value
    .group_segment_fixed_size: 28680
    .kernarg_segment_align: 8
    .kernarg_segment_size: 144
    .language:       OpenCL C
    .language_version:
      - 2
      - 0
    .max_flat_workgroup_size: 512
    .name:           _ZN7rocprim17ROCPRIM_400000_NS6detail17trampoline_kernelINS0_14default_configENS1_25partition_config_selectorILNS1_17partition_subalgoE1EsNS0_10empty_typeEbEEZZNS1_14partition_implILS5_1ELb0ES3_jN6thrust23THRUST_200600_302600_NS6detail15normal_iteratorINSA_10device_ptrIsEEEEPS6_NSA_18transform_iteratorI7is_evenIsESF_NSA_11use_defaultESK_EENS0_5tupleIJNSA_16discard_iteratorISK_EESO_EEENSM_IJSG_SG_EEES6_PlJS6_EEE10hipError_tPvRmT3_T4_T5_T6_T7_T9_mT8_P12ihipStream_tbDpT10_ENKUlT_T0_E_clISt17integral_constantIbLb1EES1A_IbLb0EEEEDaS16_S17_EUlS16_E_NS1_11comp_targetILNS1_3genE5ELNS1_11target_archE942ELNS1_3gpuE9ELNS1_3repE0EEENS1_30default_config_static_selectorELNS0_4arch9wavefront6targetE1EEEvT1_
    .private_segment_fixed_size: 0
    .sgpr_count:     42
    .sgpr_spill_count: 0
    .symbol:         _ZN7rocprim17ROCPRIM_400000_NS6detail17trampoline_kernelINS0_14default_configENS1_25partition_config_selectorILNS1_17partition_subalgoE1EsNS0_10empty_typeEbEEZZNS1_14partition_implILS5_1ELb0ES3_jN6thrust23THRUST_200600_302600_NS6detail15normal_iteratorINSA_10device_ptrIsEEEEPS6_NSA_18transform_iteratorI7is_evenIsESF_NSA_11use_defaultESK_EENS0_5tupleIJNSA_16discard_iteratorISK_EESO_EEENSM_IJSG_SG_EEES6_PlJS6_EEE10hipError_tPvRmT3_T4_T5_T6_T7_T9_mT8_P12ihipStream_tbDpT10_ENKUlT_T0_E_clISt17integral_constantIbLb1EES1A_IbLb0EEEEDaS16_S17_EUlS16_E_NS1_11comp_targetILNS1_3genE5ELNS1_11target_archE942ELNS1_3gpuE9ELNS1_3repE0EEENS1_30default_config_static_selectorELNS0_4arch9wavefront6targetE1EEEvT1_.kd
    .uniform_work_group_size: 1
    .uses_dynamic_stack: false
    .vgpr_count:     78
    .vgpr_spill_count: 0
    .wavefront_size: 64
  - .agpr_count:     0
    .args:
      - .offset:         0
        .size:           144
        .value_kind:     by_value
    .group_segment_fixed_size: 0
    .kernarg_segment_align: 8
    .kernarg_segment_size: 144
    .language:       OpenCL C
    .language_version:
      - 2
      - 0
    .max_flat_workgroup_size: 256
    .name:           _ZN7rocprim17ROCPRIM_400000_NS6detail17trampoline_kernelINS0_14default_configENS1_25partition_config_selectorILNS1_17partition_subalgoE1EsNS0_10empty_typeEbEEZZNS1_14partition_implILS5_1ELb0ES3_jN6thrust23THRUST_200600_302600_NS6detail15normal_iteratorINSA_10device_ptrIsEEEEPS6_NSA_18transform_iteratorI7is_evenIsESF_NSA_11use_defaultESK_EENS0_5tupleIJNSA_16discard_iteratorISK_EESO_EEENSM_IJSG_SG_EEES6_PlJS6_EEE10hipError_tPvRmT3_T4_T5_T6_T7_T9_mT8_P12ihipStream_tbDpT10_ENKUlT_T0_E_clISt17integral_constantIbLb1EES1A_IbLb0EEEEDaS16_S17_EUlS16_E_NS1_11comp_targetILNS1_3genE4ELNS1_11target_archE910ELNS1_3gpuE8ELNS1_3repE0EEENS1_30default_config_static_selectorELNS0_4arch9wavefront6targetE1EEEvT1_
    .private_segment_fixed_size: 0
    .sgpr_count:     6
    .sgpr_spill_count: 0
    .symbol:         _ZN7rocprim17ROCPRIM_400000_NS6detail17trampoline_kernelINS0_14default_configENS1_25partition_config_selectorILNS1_17partition_subalgoE1EsNS0_10empty_typeEbEEZZNS1_14partition_implILS5_1ELb0ES3_jN6thrust23THRUST_200600_302600_NS6detail15normal_iteratorINSA_10device_ptrIsEEEEPS6_NSA_18transform_iteratorI7is_evenIsESF_NSA_11use_defaultESK_EENS0_5tupleIJNSA_16discard_iteratorISK_EESO_EEENSM_IJSG_SG_EEES6_PlJS6_EEE10hipError_tPvRmT3_T4_T5_T6_T7_T9_mT8_P12ihipStream_tbDpT10_ENKUlT_T0_E_clISt17integral_constantIbLb1EES1A_IbLb0EEEEDaS16_S17_EUlS16_E_NS1_11comp_targetILNS1_3genE4ELNS1_11target_archE910ELNS1_3gpuE8ELNS1_3repE0EEENS1_30default_config_static_selectorELNS0_4arch9wavefront6targetE1EEEvT1_.kd
    .uniform_work_group_size: 1
    .uses_dynamic_stack: false
    .vgpr_count:     0
    .vgpr_spill_count: 0
    .wavefront_size: 64
  - .agpr_count:     0
    .args:
      - .offset:         0
        .size:           144
        .value_kind:     by_value
    .group_segment_fixed_size: 0
    .kernarg_segment_align: 8
    .kernarg_segment_size: 144
    .language:       OpenCL C
    .language_version:
      - 2
      - 0
    .max_flat_workgroup_size: 256
    .name:           _ZN7rocprim17ROCPRIM_400000_NS6detail17trampoline_kernelINS0_14default_configENS1_25partition_config_selectorILNS1_17partition_subalgoE1EsNS0_10empty_typeEbEEZZNS1_14partition_implILS5_1ELb0ES3_jN6thrust23THRUST_200600_302600_NS6detail15normal_iteratorINSA_10device_ptrIsEEEEPS6_NSA_18transform_iteratorI7is_evenIsESF_NSA_11use_defaultESK_EENS0_5tupleIJNSA_16discard_iteratorISK_EESO_EEENSM_IJSG_SG_EEES6_PlJS6_EEE10hipError_tPvRmT3_T4_T5_T6_T7_T9_mT8_P12ihipStream_tbDpT10_ENKUlT_T0_E_clISt17integral_constantIbLb1EES1A_IbLb0EEEEDaS16_S17_EUlS16_E_NS1_11comp_targetILNS1_3genE3ELNS1_11target_archE908ELNS1_3gpuE7ELNS1_3repE0EEENS1_30default_config_static_selectorELNS0_4arch9wavefront6targetE1EEEvT1_
    .private_segment_fixed_size: 0
    .sgpr_count:     6
    .sgpr_spill_count: 0
    .symbol:         _ZN7rocprim17ROCPRIM_400000_NS6detail17trampoline_kernelINS0_14default_configENS1_25partition_config_selectorILNS1_17partition_subalgoE1EsNS0_10empty_typeEbEEZZNS1_14partition_implILS5_1ELb0ES3_jN6thrust23THRUST_200600_302600_NS6detail15normal_iteratorINSA_10device_ptrIsEEEEPS6_NSA_18transform_iteratorI7is_evenIsESF_NSA_11use_defaultESK_EENS0_5tupleIJNSA_16discard_iteratorISK_EESO_EEENSM_IJSG_SG_EEES6_PlJS6_EEE10hipError_tPvRmT3_T4_T5_T6_T7_T9_mT8_P12ihipStream_tbDpT10_ENKUlT_T0_E_clISt17integral_constantIbLb1EES1A_IbLb0EEEEDaS16_S17_EUlS16_E_NS1_11comp_targetILNS1_3genE3ELNS1_11target_archE908ELNS1_3gpuE7ELNS1_3repE0EEENS1_30default_config_static_selectorELNS0_4arch9wavefront6targetE1EEEvT1_.kd
    .uniform_work_group_size: 1
    .uses_dynamic_stack: false
    .vgpr_count:     0
    .vgpr_spill_count: 0
    .wavefront_size: 64
  - .agpr_count:     0
    .args:
      - .offset:         0
        .size:           144
        .value_kind:     by_value
    .group_segment_fixed_size: 0
    .kernarg_segment_align: 8
    .kernarg_segment_size: 144
    .language:       OpenCL C
    .language_version:
      - 2
      - 0
    .max_flat_workgroup_size: 256
    .name:           _ZN7rocprim17ROCPRIM_400000_NS6detail17trampoline_kernelINS0_14default_configENS1_25partition_config_selectorILNS1_17partition_subalgoE1EsNS0_10empty_typeEbEEZZNS1_14partition_implILS5_1ELb0ES3_jN6thrust23THRUST_200600_302600_NS6detail15normal_iteratorINSA_10device_ptrIsEEEEPS6_NSA_18transform_iteratorI7is_evenIsESF_NSA_11use_defaultESK_EENS0_5tupleIJNSA_16discard_iteratorISK_EESO_EEENSM_IJSG_SG_EEES6_PlJS6_EEE10hipError_tPvRmT3_T4_T5_T6_T7_T9_mT8_P12ihipStream_tbDpT10_ENKUlT_T0_E_clISt17integral_constantIbLb1EES1A_IbLb0EEEEDaS16_S17_EUlS16_E_NS1_11comp_targetILNS1_3genE2ELNS1_11target_archE906ELNS1_3gpuE6ELNS1_3repE0EEENS1_30default_config_static_selectorELNS0_4arch9wavefront6targetE1EEEvT1_
    .private_segment_fixed_size: 0
    .sgpr_count:     6
    .sgpr_spill_count: 0
    .symbol:         _ZN7rocprim17ROCPRIM_400000_NS6detail17trampoline_kernelINS0_14default_configENS1_25partition_config_selectorILNS1_17partition_subalgoE1EsNS0_10empty_typeEbEEZZNS1_14partition_implILS5_1ELb0ES3_jN6thrust23THRUST_200600_302600_NS6detail15normal_iteratorINSA_10device_ptrIsEEEEPS6_NSA_18transform_iteratorI7is_evenIsESF_NSA_11use_defaultESK_EENS0_5tupleIJNSA_16discard_iteratorISK_EESO_EEENSM_IJSG_SG_EEES6_PlJS6_EEE10hipError_tPvRmT3_T4_T5_T6_T7_T9_mT8_P12ihipStream_tbDpT10_ENKUlT_T0_E_clISt17integral_constantIbLb1EES1A_IbLb0EEEEDaS16_S17_EUlS16_E_NS1_11comp_targetILNS1_3genE2ELNS1_11target_archE906ELNS1_3gpuE6ELNS1_3repE0EEENS1_30default_config_static_selectorELNS0_4arch9wavefront6targetE1EEEvT1_.kd
    .uniform_work_group_size: 1
    .uses_dynamic_stack: false
    .vgpr_count:     0
    .vgpr_spill_count: 0
    .wavefront_size: 64
  - .agpr_count:     0
    .args:
      - .offset:         0
        .size:           144
        .value_kind:     by_value
    .group_segment_fixed_size: 0
    .kernarg_segment_align: 8
    .kernarg_segment_size: 144
    .language:       OpenCL C
    .language_version:
      - 2
      - 0
    .max_flat_workgroup_size: 384
    .name:           _ZN7rocprim17ROCPRIM_400000_NS6detail17trampoline_kernelINS0_14default_configENS1_25partition_config_selectorILNS1_17partition_subalgoE1EsNS0_10empty_typeEbEEZZNS1_14partition_implILS5_1ELb0ES3_jN6thrust23THRUST_200600_302600_NS6detail15normal_iteratorINSA_10device_ptrIsEEEEPS6_NSA_18transform_iteratorI7is_evenIsESF_NSA_11use_defaultESK_EENS0_5tupleIJNSA_16discard_iteratorISK_EESO_EEENSM_IJSG_SG_EEES6_PlJS6_EEE10hipError_tPvRmT3_T4_T5_T6_T7_T9_mT8_P12ihipStream_tbDpT10_ENKUlT_T0_E_clISt17integral_constantIbLb1EES1A_IbLb0EEEEDaS16_S17_EUlS16_E_NS1_11comp_targetILNS1_3genE10ELNS1_11target_archE1200ELNS1_3gpuE4ELNS1_3repE0EEENS1_30default_config_static_selectorELNS0_4arch9wavefront6targetE1EEEvT1_
    .private_segment_fixed_size: 0
    .sgpr_count:     6
    .sgpr_spill_count: 0
    .symbol:         _ZN7rocprim17ROCPRIM_400000_NS6detail17trampoline_kernelINS0_14default_configENS1_25partition_config_selectorILNS1_17partition_subalgoE1EsNS0_10empty_typeEbEEZZNS1_14partition_implILS5_1ELb0ES3_jN6thrust23THRUST_200600_302600_NS6detail15normal_iteratorINSA_10device_ptrIsEEEEPS6_NSA_18transform_iteratorI7is_evenIsESF_NSA_11use_defaultESK_EENS0_5tupleIJNSA_16discard_iteratorISK_EESO_EEENSM_IJSG_SG_EEES6_PlJS6_EEE10hipError_tPvRmT3_T4_T5_T6_T7_T9_mT8_P12ihipStream_tbDpT10_ENKUlT_T0_E_clISt17integral_constantIbLb1EES1A_IbLb0EEEEDaS16_S17_EUlS16_E_NS1_11comp_targetILNS1_3genE10ELNS1_11target_archE1200ELNS1_3gpuE4ELNS1_3repE0EEENS1_30default_config_static_selectorELNS0_4arch9wavefront6targetE1EEEvT1_.kd
    .uniform_work_group_size: 1
    .uses_dynamic_stack: false
    .vgpr_count:     0
    .vgpr_spill_count: 0
    .wavefront_size: 64
  - .agpr_count:     0
    .args:
      - .offset:         0
        .size:           144
        .value_kind:     by_value
    .group_segment_fixed_size: 0
    .kernarg_segment_align: 8
    .kernarg_segment_size: 144
    .language:       OpenCL C
    .language_version:
      - 2
      - 0
    .max_flat_workgroup_size: 128
    .name:           _ZN7rocprim17ROCPRIM_400000_NS6detail17trampoline_kernelINS0_14default_configENS1_25partition_config_selectorILNS1_17partition_subalgoE1EsNS0_10empty_typeEbEEZZNS1_14partition_implILS5_1ELb0ES3_jN6thrust23THRUST_200600_302600_NS6detail15normal_iteratorINSA_10device_ptrIsEEEEPS6_NSA_18transform_iteratorI7is_evenIsESF_NSA_11use_defaultESK_EENS0_5tupleIJNSA_16discard_iteratorISK_EESO_EEENSM_IJSG_SG_EEES6_PlJS6_EEE10hipError_tPvRmT3_T4_T5_T6_T7_T9_mT8_P12ihipStream_tbDpT10_ENKUlT_T0_E_clISt17integral_constantIbLb1EES1A_IbLb0EEEEDaS16_S17_EUlS16_E_NS1_11comp_targetILNS1_3genE9ELNS1_11target_archE1100ELNS1_3gpuE3ELNS1_3repE0EEENS1_30default_config_static_selectorELNS0_4arch9wavefront6targetE1EEEvT1_
    .private_segment_fixed_size: 0
    .sgpr_count:     6
    .sgpr_spill_count: 0
    .symbol:         _ZN7rocprim17ROCPRIM_400000_NS6detail17trampoline_kernelINS0_14default_configENS1_25partition_config_selectorILNS1_17partition_subalgoE1EsNS0_10empty_typeEbEEZZNS1_14partition_implILS5_1ELb0ES3_jN6thrust23THRUST_200600_302600_NS6detail15normal_iteratorINSA_10device_ptrIsEEEEPS6_NSA_18transform_iteratorI7is_evenIsESF_NSA_11use_defaultESK_EENS0_5tupleIJNSA_16discard_iteratorISK_EESO_EEENSM_IJSG_SG_EEES6_PlJS6_EEE10hipError_tPvRmT3_T4_T5_T6_T7_T9_mT8_P12ihipStream_tbDpT10_ENKUlT_T0_E_clISt17integral_constantIbLb1EES1A_IbLb0EEEEDaS16_S17_EUlS16_E_NS1_11comp_targetILNS1_3genE9ELNS1_11target_archE1100ELNS1_3gpuE3ELNS1_3repE0EEENS1_30default_config_static_selectorELNS0_4arch9wavefront6targetE1EEEvT1_.kd
    .uniform_work_group_size: 1
    .uses_dynamic_stack: false
    .vgpr_count:     0
    .vgpr_spill_count: 0
    .wavefront_size: 64
  - .agpr_count:     0
    .args:
      - .offset:         0
        .size:           144
        .value_kind:     by_value
    .group_segment_fixed_size: 0
    .kernarg_segment_align: 8
    .kernarg_segment_size: 144
    .language:       OpenCL C
    .language_version:
      - 2
      - 0
    .max_flat_workgroup_size: 512
    .name:           _ZN7rocprim17ROCPRIM_400000_NS6detail17trampoline_kernelINS0_14default_configENS1_25partition_config_selectorILNS1_17partition_subalgoE1EsNS0_10empty_typeEbEEZZNS1_14partition_implILS5_1ELb0ES3_jN6thrust23THRUST_200600_302600_NS6detail15normal_iteratorINSA_10device_ptrIsEEEEPS6_NSA_18transform_iteratorI7is_evenIsESF_NSA_11use_defaultESK_EENS0_5tupleIJNSA_16discard_iteratorISK_EESO_EEENSM_IJSG_SG_EEES6_PlJS6_EEE10hipError_tPvRmT3_T4_T5_T6_T7_T9_mT8_P12ihipStream_tbDpT10_ENKUlT_T0_E_clISt17integral_constantIbLb1EES1A_IbLb0EEEEDaS16_S17_EUlS16_E_NS1_11comp_targetILNS1_3genE8ELNS1_11target_archE1030ELNS1_3gpuE2ELNS1_3repE0EEENS1_30default_config_static_selectorELNS0_4arch9wavefront6targetE1EEEvT1_
    .private_segment_fixed_size: 0
    .sgpr_count:     6
    .sgpr_spill_count: 0
    .symbol:         _ZN7rocprim17ROCPRIM_400000_NS6detail17trampoline_kernelINS0_14default_configENS1_25partition_config_selectorILNS1_17partition_subalgoE1EsNS0_10empty_typeEbEEZZNS1_14partition_implILS5_1ELb0ES3_jN6thrust23THRUST_200600_302600_NS6detail15normal_iteratorINSA_10device_ptrIsEEEEPS6_NSA_18transform_iteratorI7is_evenIsESF_NSA_11use_defaultESK_EENS0_5tupleIJNSA_16discard_iteratorISK_EESO_EEENSM_IJSG_SG_EEES6_PlJS6_EEE10hipError_tPvRmT3_T4_T5_T6_T7_T9_mT8_P12ihipStream_tbDpT10_ENKUlT_T0_E_clISt17integral_constantIbLb1EES1A_IbLb0EEEEDaS16_S17_EUlS16_E_NS1_11comp_targetILNS1_3genE8ELNS1_11target_archE1030ELNS1_3gpuE2ELNS1_3repE0EEENS1_30default_config_static_selectorELNS0_4arch9wavefront6targetE1EEEvT1_.kd
    .uniform_work_group_size: 1
    .uses_dynamic_stack: false
    .vgpr_count:     0
    .vgpr_spill_count: 0
    .wavefront_size: 64
  - .agpr_count:     0
    .args:
      - .offset:         0
        .size:           160
        .value_kind:     by_value
    .group_segment_fixed_size: 0
    .kernarg_segment_align: 8
    .kernarg_segment_size: 160
    .language:       OpenCL C
    .language_version:
      - 2
      - 0
    .max_flat_workgroup_size: 256
    .name:           _ZN7rocprim17ROCPRIM_400000_NS6detail17trampoline_kernelINS0_14default_configENS1_25partition_config_selectorILNS1_17partition_subalgoE1EsNS0_10empty_typeEbEEZZNS1_14partition_implILS5_1ELb0ES3_jN6thrust23THRUST_200600_302600_NS6detail15normal_iteratorINSA_10device_ptrIsEEEEPS6_NSA_18transform_iteratorI7is_evenIsESF_NSA_11use_defaultESK_EENS0_5tupleIJNSA_16discard_iteratorISK_EESO_EEENSM_IJSG_SG_EEES6_PlJS6_EEE10hipError_tPvRmT3_T4_T5_T6_T7_T9_mT8_P12ihipStream_tbDpT10_ENKUlT_T0_E_clISt17integral_constantIbLb0EES1A_IbLb1EEEEDaS16_S17_EUlS16_E_NS1_11comp_targetILNS1_3genE0ELNS1_11target_archE4294967295ELNS1_3gpuE0ELNS1_3repE0EEENS1_30default_config_static_selectorELNS0_4arch9wavefront6targetE1EEEvT1_
    .private_segment_fixed_size: 0
    .sgpr_count:     6
    .sgpr_spill_count: 0
    .symbol:         _ZN7rocprim17ROCPRIM_400000_NS6detail17trampoline_kernelINS0_14default_configENS1_25partition_config_selectorILNS1_17partition_subalgoE1EsNS0_10empty_typeEbEEZZNS1_14partition_implILS5_1ELb0ES3_jN6thrust23THRUST_200600_302600_NS6detail15normal_iteratorINSA_10device_ptrIsEEEEPS6_NSA_18transform_iteratorI7is_evenIsESF_NSA_11use_defaultESK_EENS0_5tupleIJNSA_16discard_iteratorISK_EESO_EEENSM_IJSG_SG_EEES6_PlJS6_EEE10hipError_tPvRmT3_T4_T5_T6_T7_T9_mT8_P12ihipStream_tbDpT10_ENKUlT_T0_E_clISt17integral_constantIbLb0EES1A_IbLb1EEEEDaS16_S17_EUlS16_E_NS1_11comp_targetILNS1_3genE0ELNS1_11target_archE4294967295ELNS1_3gpuE0ELNS1_3repE0EEENS1_30default_config_static_selectorELNS0_4arch9wavefront6targetE1EEEvT1_.kd
    .uniform_work_group_size: 1
    .uses_dynamic_stack: false
    .vgpr_count:     0
    .vgpr_spill_count: 0
    .wavefront_size: 64
  - .agpr_count:     0
    .args:
      - .offset:         0
        .size:           160
        .value_kind:     by_value
    .group_segment_fixed_size: 28680
    .kernarg_segment_align: 8
    .kernarg_segment_size: 160
    .language:       OpenCL C
    .language_version:
      - 2
      - 0
    .max_flat_workgroup_size: 512
    .name:           _ZN7rocprim17ROCPRIM_400000_NS6detail17trampoline_kernelINS0_14default_configENS1_25partition_config_selectorILNS1_17partition_subalgoE1EsNS0_10empty_typeEbEEZZNS1_14partition_implILS5_1ELb0ES3_jN6thrust23THRUST_200600_302600_NS6detail15normal_iteratorINSA_10device_ptrIsEEEEPS6_NSA_18transform_iteratorI7is_evenIsESF_NSA_11use_defaultESK_EENS0_5tupleIJNSA_16discard_iteratorISK_EESO_EEENSM_IJSG_SG_EEES6_PlJS6_EEE10hipError_tPvRmT3_T4_T5_T6_T7_T9_mT8_P12ihipStream_tbDpT10_ENKUlT_T0_E_clISt17integral_constantIbLb0EES1A_IbLb1EEEEDaS16_S17_EUlS16_E_NS1_11comp_targetILNS1_3genE5ELNS1_11target_archE942ELNS1_3gpuE9ELNS1_3repE0EEENS1_30default_config_static_selectorELNS0_4arch9wavefront6targetE1EEEvT1_
    .private_segment_fixed_size: 0
    .sgpr_count:     42
    .sgpr_spill_count: 0
    .symbol:         _ZN7rocprim17ROCPRIM_400000_NS6detail17trampoline_kernelINS0_14default_configENS1_25partition_config_selectorILNS1_17partition_subalgoE1EsNS0_10empty_typeEbEEZZNS1_14partition_implILS5_1ELb0ES3_jN6thrust23THRUST_200600_302600_NS6detail15normal_iteratorINSA_10device_ptrIsEEEEPS6_NSA_18transform_iteratorI7is_evenIsESF_NSA_11use_defaultESK_EENS0_5tupleIJNSA_16discard_iteratorISK_EESO_EEENSM_IJSG_SG_EEES6_PlJS6_EEE10hipError_tPvRmT3_T4_T5_T6_T7_T9_mT8_P12ihipStream_tbDpT10_ENKUlT_T0_E_clISt17integral_constantIbLb0EES1A_IbLb1EEEEDaS16_S17_EUlS16_E_NS1_11comp_targetILNS1_3genE5ELNS1_11target_archE942ELNS1_3gpuE9ELNS1_3repE0EEENS1_30default_config_static_selectorELNS0_4arch9wavefront6targetE1EEEvT1_.kd
    .uniform_work_group_size: 1
    .uses_dynamic_stack: false
    .vgpr_count:     80
    .vgpr_spill_count: 0
    .wavefront_size: 64
  - .agpr_count:     0
    .args:
      - .offset:         0
        .size:           160
        .value_kind:     by_value
    .group_segment_fixed_size: 0
    .kernarg_segment_align: 8
    .kernarg_segment_size: 160
    .language:       OpenCL C
    .language_version:
      - 2
      - 0
    .max_flat_workgroup_size: 256
    .name:           _ZN7rocprim17ROCPRIM_400000_NS6detail17trampoline_kernelINS0_14default_configENS1_25partition_config_selectorILNS1_17partition_subalgoE1EsNS0_10empty_typeEbEEZZNS1_14partition_implILS5_1ELb0ES3_jN6thrust23THRUST_200600_302600_NS6detail15normal_iteratorINSA_10device_ptrIsEEEEPS6_NSA_18transform_iteratorI7is_evenIsESF_NSA_11use_defaultESK_EENS0_5tupleIJNSA_16discard_iteratorISK_EESO_EEENSM_IJSG_SG_EEES6_PlJS6_EEE10hipError_tPvRmT3_T4_T5_T6_T7_T9_mT8_P12ihipStream_tbDpT10_ENKUlT_T0_E_clISt17integral_constantIbLb0EES1A_IbLb1EEEEDaS16_S17_EUlS16_E_NS1_11comp_targetILNS1_3genE4ELNS1_11target_archE910ELNS1_3gpuE8ELNS1_3repE0EEENS1_30default_config_static_selectorELNS0_4arch9wavefront6targetE1EEEvT1_
    .private_segment_fixed_size: 0
    .sgpr_count:     6
    .sgpr_spill_count: 0
    .symbol:         _ZN7rocprim17ROCPRIM_400000_NS6detail17trampoline_kernelINS0_14default_configENS1_25partition_config_selectorILNS1_17partition_subalgoE1EsNS0_10empty_typeEbEEZZNS1_14partition_implILS5_1ELb0ES3_jN6thrust23THRUST_200600_302600_NS6detail15normal_iteratorINSA_10device_ptrIsEEEEPS6_NSA_18transform_iteratorI7is_evenIsESF_NSA_11use_defaultESK_EENS0_5tupleIJNSA_16discard_iteratorISK_EESO_EEENSM_IJSG_SG_EEES6_PlJS6_EEE10hipError_tPvRmT3_T4_T5_T6_T7_T9_mT8_P12ihipStream_tbDpT10_ENKUlT_T0_E_clISt17integral_constantIbLb0EES1A_IbLb1EEEEDaS16_S17_EUlS16_E_NS1_11comp_targetILNS1_3genE4ELNS1_11target_archE910ELNS1_3gpuE8ELNS1_3repE0EEENS1_30default_config_static_selectorELNS0_4arch9wavefront6targetE1EEEvT1_.kd
    .uniform_work_group_size: 1
    .uses_dynamic_stack: false
    .vgpr_count:     0
    .vgpr_spill_count: 0
    .wavefront_size: 64
  - .agpr_count:     0
    .args:
      - .offset:         0
        .size:           160
        .value_kind:     by_value
    .group_segment_fixed_size: 0
    .kernarg_segment_align: 8
    .kernarg_segment_size: 160
    .language:       OpenCL C
    .language_version:
      - 2
      - 0
    .max_flat_workgroup_size: 256
    .name:           _ZN7rocprim17ROCPRIM_400000_NS6detail17trampoline_kernelINS0_14default_configENS1_25partition_config_selectorILNS1_17partition_subalgoE1EsNS0_10empty_typeEbEEZZNS1_14partition_implILS5_1ELb0ES3_jN6thrust23THRUST_200600_302600_NS6detail15normal_iteratorINSA_10device_ptrIsEEEEPS6_NSA_18transform_iteratorI7is_evenIsESF_NSA_11use_defaultESK_EENS0_5tupleIJNSA_16discard_iteratorISK_EESO_EEENSM_IJSG_SG_EEES6_PlJS6_EEE10hipError_tPvRmT3_T4_T5_T6_T7_T9_mT8_P12ihipStream_tbDpT10_ENKUlT_T0_E_clISt17integral_constantIbLb0EES1A_IbLb1EEEEDaS16_S17_EUlS16_E_NS1_11comp_targetILNS1_3genE3ELNS1_11target_archE908ELNS1_3gpuE7ELNS1_3repE0EEENS1_30default_config_static_selectorELNS0_4arch9wavefront6targetE1EEEvT1_
    .private_segment_fixed_size: 0
    .sgpr_count:     6
    .sgpr_spill_count: 0
    .symbol:         _ZN7rocprim17ROCPRIM_400000_NS6detail17trampoline_kernelINS0_14default_configENS1_25partition_config_selectorILNS1_17partition_subalgoE1EsNS0_10empty_typeEbEEZZNS1_14partition_implILS5_1ELb0ES3_jN6thrust23THRUST_200600_302600_NS6detail15normal_iteratorINSA_10device_ptrIsEEEEPS6_NSA_18transform_iteratorI7is_evenIsESF_NSA_11use_defaultESK_EENS0_5tupleIJNSA_16discard_iteratorISK_EESO_EEENSM_IJSG_SG_EEES6_PlJS6_EEE10hipError_tPvRmT3_T4_T5_T6_T7_T9_mT8_P12ihipStream_tbDpT10_ENKUlT_T0_E_clISt17integral_constantIbLb0EES1A_IbLb1EEEEDaS16_S17_EUlS16_E_NS1_11comp_targetILNS1_3genE3ELNS1_11target_archE908ELNS1_3gpuE7ELNS1_3repE0EEENS1_30default_config_static_selectorELNS0_4arch9wavefront6targetE1EEEvT1_.kd
    .uniform_work_group_size: 1
    .uses_dynamic_stack: false
    .vgpr_count:     0
    .vgpr_spill_count: 0
    .wavefront_size: 64
  - .agpr_count:     0
    .args:
      - .offset:         0
        .size:           160
        .value_kind:     by_value
    .group_segment_fixed_size: 0
    .kernarg_segment_align: 8
    .kernarg_segment_size: 160
    .language:       OpenCL C
    .language_version:
      - 2
      - 0
    .max_flat_workgroup_size: 256
    .name:           _ZN7rocprim17ROCPRIM_400000_NS6detail17trampoline_kernelINS0_14default_configENS1_25partition_config_selectorILNS1_17partition_subalgoE1EsNS0_10empty_typeEbEEZZNS1_14partition_implILS5_1ELb0ES3_jN6thrust23THRUST_200600_302600_NS6detail15normal_iteratorINSA_10device_ptrIsEEEEPS6_NSA_18transform_iteratorI7is_evenIsESF_NSA_11use_defaultESK_EENS0_5tupleIJNSA_16discard_iteratorISK_EESO_EEENSM_IJSG_SG_EEES6_PlJS6_EEE10hipError_tPvRmT3_T4_T5_T6_T7_T9_mT8_P12ihipStream_tbDpT10_ENKUlT_T0_E_clISt17integral_constantIbLb0EES1A_IbLb1EEEEDaS16_S17_EUlS16_E_NS1_11comp_targetILNS1_3genE2ELNS1_11target_archE906ELNS1_3gpuE6ELNS1_3repE0EEENS1_30default_config_static_selectorELNS0_4arch9wavefront6targetE1EEEvT1_
    .private_segment_fixed_size: 0
    .sgpr_count:     6
    .sgpr_spill_count: 0
    .symbol:         _ZN7rocprim17ROCPRIM_400000_NS6detail17trampoline_kernelINS0_14default_configENS1_25partition_config_selectorILNS1_17partition_subalgoE1EsNS0_10empty_typeEbEEZZNS1_14partition_implILS5_1ELb0ES3_jN6thrust23THRUST_200600_302600_NS6detail15normal_iteratorINSA_10device_ptrIsEEEEPS6_NSA_18transform_iteratorI7is_evenIsESF_NSA_11use_defaultESK_EENS0_5tupleIJNSA_16discard_iteratorISK_EESO_EEENSM_IJSG_SG_EEES6_PlJS6_EEE10hipError_tPvRmT3_T4_T5_T6_T7_T9_mT8_P12ihipStream_tbDpT10_ENKUlT_T0_E_clISt17integral_constantIbLb0EES1A_IbLb1EEEEDaS16_S17_EUlS16_E_NS1_11comp_targetILNS1_3genE2ELNS1_11target_archE906ELNS1_3gpuE6ELNS1_3repE0EEENS1_30default_config_static_selectorELNS0_4arch9wavefront6targetE1EEEvT1_.kd
    .uniform_work_group_size: 1
    .uses_dynamic_stack: false
    .vgpr_count:     0
    .vgpr_spill_count: 0
    .wavefront_size: 64
  - .agpr_count:     0
    .args:
      - .offset:         0
        .size:           160
        .value_kind:     by_value
    .group_segment_fixed_size: 0
    .kernarg_segment_align: 8
    .kernarg_segment_size: 160
    .language:       OpenCL C
    .language_version:
      - 2
      - 0
    .max_flat_workgroup_size: 384
    .name:           _ZN7rocprim17ROCPRIM_400000_NS6detail17trampoline_kernelINS0_14default_configENS1_25partition_config_selectorILNS1_17partition_subalgoE1EsNS0_10empty_typeEbEEZZNS1_14partition_implILS5_1ELb0ES3_jN6thrust23THRUST_200600_302600_NS6detail15normal_iteratorINSA_10device_ptrIsEEEEPS6_NSA_18transform_iteratorI7is_evenIsESF_NSA_11use_defaultESK_EENS0_5tupleIJNSA_16discard_iteratorISK_EESO_EEENSM_IJSG_SG_EEES6_PlJS6_EEE10hipError_tPvRmT3_T4_T5_T6_T7_T9_mT8_P12ihipStream_tbDpT10_ENKUlT_T0_E_clISt17integral_constantIbLb0EES1A_IbLb1EEEEDaS16_S17_EUlS16_E_NS1_11comp_targetILNS1_3genE10ELNS1_11target_archE1200ELNS1_3gpuE4ELNS1_3repE0EEENS1_30default_config_static_selectorELNS0_4arch9wavefront6targetE1EEEvT1_
    .private_segment_fixed_size: 0
    .sgpr_count:     6
    .sgpr_spill_count: 0
    .symbol:         _ZN7rocprim17ROCPRIM_400000_NS6detail17trampoline_kernelINS0_14default_configENS1_25partition_config_selectorILNS1_17partition_subalgoE1EsNS0_10empty_typeEbEEZZNS1_14partition_implILS5_1ELb0ES3_jN6thrust23THRUST_200600_302600_NS6detail15normal_iteratorINSA_10device_ptrIsEEEEPS6_NSA_18transform_iteratorI7is_evenIsESF_NSA_11use_defaultESK_EENS0_5tupleIJNSA_16discard_iteratorISK_EESO_EEENSM_IJSG_SG_EEES6_PlJS6_EEE10hipError_tPvRmT3_T4_T5_T6_T7_T9_mT8_P12ihipStream_tbDpT10_ENKUlT_T0_E_clISt17integral_constantIbLb0EES1A_IbLb1EEEEDaS16_S17_EUlS16_E_NS1_11comp_targetILNS1_3genE10ELNS1_11target_archE1200ELNS1_3gpuE4ELNS1_3repE0EEENS1_30default_config_static_selectorELNS0_4arch9wavefront6targetE1EEEvT1_.kd
    .uniform_work_group_size: 1
    .uses_dynamic_stack: false
    .vgpr_count:     0
    .vgpr_spill_count: 0
    .wavefront_size: 64
  - .agpr_count:     0
    .args:
      - .offset:         0
        .size:           160
        .value_kind:     by_value
    .group_segment_fixed_size: 0
    .kernarg_segment_align: 8
    .kernarg_segment_size: 160
    .language:       OpenCL C
    .language_version:
      - 2
      - 0
    .max_flat_workgroup_size: 128
    .name:           _ZN7rocprim17ROCPRIM_400000_NS6detail17trampoline_kernelINS0_14default_configENS1_25partition_config_selectorILNS1_17partition_subalgoE1EsNS0_10empty_typeEbEEZZNS1_14partition_implILS5_1ELb0ES3_jN6thrust23THRUST_200600_302600_NS6detail15normal_iteratorINSA_10device_ptrIsEEEEPS6_NSA_18transform_iteratorI7is_evenIsESF_NSA_11use_defaultESK_EENS0_5tupleIJNSA_16discard_iteratorISK_EESO_EEENSM_IJSG_SG_EEES6_PlJS6_EEE10hipError_tPvRmT3_T4_T5_T6_T7_T9_mT8_P12ihipStream_tbDpT10_ENKUlT_T0_E_clISt17integral_constantIbLb0EES1A_IbLb1EEEEDaS16_S17_EUlS16_E_NS1_11comp_targetILNS1_3genE9ELNS1_11target_archE1100ELNS1_3gpuE3ELNS1_3repE0EEENS1_30default_config_static_selectorELNS0_4arch9wavefront6targetE1EEEvT1_
    .private_segment_fixed_size: 0
    .sgpr_count:     6
    .sgpr_spill_count: 0
    .symbol:         _ZN7rocprim17ROCPRIM_400000_NS6detail17trampoline_kernelINS0_14default_configENS1_25partition_config_selectorILNS1_17partition_subalgoE1EsNS0_10empty_typeEbEEZZNS1_14partition_implILS5_1ELb0ES3_jN6thrust23THRUST_200600_302600_NS6detail15normal_iteratorINSA_10device_ptrIsEEEEPS6_NSA_18transform_iteratorI7is_evenIsESF_NSA_11use_defaultESK_EENS0_5tupleIJNSA_16discard_iteratorISK_EESO_EEENSM_IJSG_SG_EEES6_PlJS6_EEE10hipError_tPvRmT3_T4_T5_T6_T7_T9_mT8_P12ihipStream_tbDpT10_ENKUlT_T0_E_clISt17integral_constantIbLb0EES1A_IbLb1EEEEDaS16_S17_EUlS16_E_NS1_11comp_targetILNS1_3genE9ELNS1_11target_archE1100ELNS1_3gpuE3ELNS1_3repE0EEENS1_30default_config_static_selectorELNS0_4arch9wavefront6targetE1EEEvT1_.kd
    .uniform_work_group_size: 1
    .uses_dynamic_stack: false
    .vgpr_count:     0
    .vgpr_spill_count: 0
    .wavefront_size: 64
  - .agpr_count:     0
    .args:
      - .offset:         0
        .size:           160
        .value_kind:     by_value
    .group_segment_fixed_size: 0
    .kernarg_segment_align: 8
    .kernarg_segment_size: 160
    .language:       OpenCL C
    .language_version:
      - 2
      - 0
    .max_flat_workgroup_size: 512
    .name:           _ZN7rocprim17ROCPRIM_400000_NS6detail17trampoline_kernelINS0_14default_configENS1_25partition_config_selectorILNS1_17partition_subalgoE1EsNS0_10empty_typeEbEEZZNS1_14partition_implILS5_1ELb0ES3_jN6thrust23THRUST_200600_302600_NS6detail15normal_iteratorINSA_10device_ptrIsEEEEPS6_NSA_18transform_iteratorI7is_evenIsESF_NSA_11use_defaultESK_EENS0_5tupleIJNSA_16discard_iteratorISK_EESO_EEENSM_IJSG_SG_EEES6_PlJS6_EEE10hipError_tPvRmT3_T4_T5_T6_T7_T9_mT8_P12ihipStream_tbDpT10_ENKUlT_T0_E_clISt17integral_constantIbLb0EES1A_IbLb1EEEEDaS16_S17_EUlS16_E_NS1_11comp_targetILNS1_3genE8ELNS1_11target_archE1030ELNS1_3gpuE2ELNS1_3repE0EEENS1_30default_config_static_selectorELNS0_4arch9wavefront6targetE1EEEvT1_
    .private_segment_fixed_size: 0
    .sgpr_count:     6
    .sgpr_spill_count: 0
    .symbol:         _ZN7rocprim17ROCPRIM_400000_NS6detail17trampoline_kernelINS0_14default_configENS1_25partition_config_selectorILNS1_17partition_subalgoE1EsNS0_10empty_typeEbEEZZNS1_14partition_implILS5_1ELb0ES3_jN6thrust23THRUST_200600_302600_NS6detail15normal_iteratorINSA_10device_ptrIsEEEEPS6_NSA_18transform_iteratorI7is_evenIsESF_NSA_11use_defaultESK_EENS0_5tupleIJNSA_16discard_iteratorISK_EESO_EEENSM_IJSG_SG_EEES6_PlJS6_EEE10hipError_tPvRmT3_T4_T5_T6_T7_T9_mT8_P12ihipStream_tbDpT10_ENKUlT_T0_E_clISt17integral_constantIbLb0EES1A_IbLb1EEEEDaS16_S17_EUlS16_E_NS1_11comp_targetILNS1_3genE8ELNS1_11target_archE1030ELNS1_3gpuE2ELNS1_3repE0EEENS1_30default_config_static_selectorELNS0_4arch9wavefront6targetE1EEEvT1_.kd
    .uniform_work_group_size: 1
    .uses_dynamic_stack: false
    .vgpr_count:     0
    .vgpr_spill_count: 0
    .wavefront_size: 64
  - .agpr_count:     0
    .args:
      - .offset:         0
        .size:           136
        .value_kind:     by_value
    .group_segment_fixed_size: 0
    .kernarg_segment_align: 8
    .kernarg_segment_size: 136
    .language:       OpenCL C
    .language_version:
      - 2
      - 0
    .max_flat_workgroup_size: 256
    .name:           _ZN7rocprim17ROCPRIM_400000_NS6detail17trampoline_kernelINS0_14default_configENS1_25partition_config_selectorILNS1_17partition_subalgoE1EsNS0_10empty_typeEbEEZZNS1_14partition_implILS5_1ELb0ES3_jN6thrust23THRUST_200600_302600_NS6detail15normal_iteratorINSA_10device_ptrIsEEEEPS6_NSA_18transform_iteratorI7is_evenIsESF_NSA_11use_defaultESK_EENS0_5tupleIJSF_NSA_16discard_iteratorISK_EEEEENSM_IJSG_SG_EEES6_PlJS6_EEE10hipError_tPvRmT3_T4_T5_T6_T7_T9_mT8_P12ihipStream_tbDpT10_ENKUlT_T0_E_clISt17integral_constantIbLb0EES1B_EEDaS16_S17_EUlS16_E_NS1_11comp_targetILNS1_3genE0ELNS1_11target_archE4294967295ELNS1_3gpuE0ELNS1_3repE0EEENS1_30default_config_static_selectorELNS0_4arch9wavefront6targetE1EEEvT1_
    .private_segment_fixed_size: 0
    .sgpr_count:     6
    .sgpr_spill_count: 0
    .symbol:         _ZN7rocprim17ROCPRIM_400000_NS6detail17trampoline_kernelINS0_14default_configENS1_25partition_config_selectorILNS1_17partition_subalgoE1EsNS0_10empty_typeEbEEZZNS1_14partition_implILS5_1ELb0ES3_jN6thrust23THRUST_200600_302600_NS6detail15normal_iteratorINSA_10device_ptrIsEEEEPS6_NSA_18transform_iteratorI7is_evenIsESF_NSA_11use_defaultESK_EENS0_5tupleIJSF_NSA_16discard_iteratorISK_EEEEENSM_IJSG_SG_EEES6_PlJS6_EEE10hipError_tPvRmT3_T4_T5_T6_T7_T9_mT8_P12ihipStream_tbDpT10_ENKUlT_T0_E_clISt17integral_constantIbLb0EES1B_EEDaS16_S17_EUlS16_E_NS1_11comp_targetILNS1_3genE0ELNS1_11target_archE4294967295ELNS1_3gpuE0ELNS1_3repE0EEENS1_30default_config_static_selectorELNS0_4arch9wavefront6targetE1EEEvT1_.kd
    .uniform_work_group_size: 1
    .uses_dynamic_stack: false
    .vgpr_count:     0
    .vgpr_spill_count: 0
    .wavefront_size: 64
  - .agpr_count:     0
    .args:
      - .offset:         0
        .size:           136
        .value_kind:     by_value
    .group_segment_fixed_size: 28680
    .kernarg_segment_align: 8
    .kernarg_segment_size: 136
    .language:       OpenCL C
    .language_version:
      - 2
      - 0
    .max_flat_workgroup_size: 512
    .name:           _ZN7rocprim17ROCPRIM_400000_NS6detail17trampoline_kernelINS0_14default_configENS1_25partition_config_selectorILNS1_17partition_subalgoE1EsNS0_10empty_typeEbEEZZNS1_14partition_implILS5_1ELb0ES3_jN6thrust23THRUST_200600_302600_NS6detail15normal_iteratorINSA_10device_ptrIsEEEEPS6_NSA_18transform_iteratorI7is_evenIsESF_NSA_11use_defaultESK_EENS0_5tupleIJSF_NSA_16discard_iteratorISK_EEEEENSM_IJSG_SG_EEES6_PlJS6_EEE10hipError_tPvRmT3_T4_T5_T6_T7_T9_mT8_P12ihipStream_tbDpT10_ENKUlT_T0_E_clISt17integral_constantIbLb0EES1B_EEDaS16_S17_EUlS16_E_NS1_11comp_targetILNS1_3genE5ELNS1_11target_archE942ELNS1_3gpuE9ELNS1_3repE0EEENS1_30default_config_static_selectorELNS0_4arch9wavefront6targetE1EEEvT1_
    .private_segment_fixed_size: 0
    .sgpr_count:     46
    .sgpr_spill_count: 0
    .symbol:         _ZN7rocprim17ROCPRIM_400000_NS6detail17trampoline_kernelINS0_14default_configENS1_25partition_config_selectorILNS1_17partition_subalgoE1EsNS0_10empty_typeEbEEZZNS1_14partition_implILS5_1ELb0ES3_jN6thrust23THRUST_200600_302600_NS6detail15normal_iteratorINSA_10device_ptrIsEEEEPS6_NSA_18transform_iteratorI7is_evenIsESF_NSA_11use_defaultESK_EENS0_5tupleIJSF_NSA_16discard_iteratorISK_EEEEENSM_IJSG_SG_EEES6_PlJS6_EEE10hipError_tPvRmT3_T4_T5_T6_T7_T9_mT8_P12ihipStream_tbDpT10_ENKUlT_T0_E_clISt17integral_constantIbLb0EES1B_EEDaS16_S17_EUlS16_E_NS1_11comp_targetILNS1_3genE5ELNS1_11target_archE942ELNS1_3gpuE9ELNS1_3repE0EEENS1_30default_config_static_selectorELNS0_4arch9wavefront6targetE1EEEvT1_.kd
    .uniform_work_group_size: 1
    .uses_dynamic_stack: false
    .vgpr_count:     79
    .vgpr_spill_count: 0
    .wavefront_size: 64
  - .agpr_count:     0
    .args:
      - .offset:         0
        .size:           136
        .value_kind:     by_value
    .group_segment_fixed_size: 0
    .kernarg_segment_align: 8
    .kernarg_segment_size: 136
    .language:       OpenCL C
    .language_version:
      - 2
      - 0
    .max_flat_workgroup_size: 256
    .name:           _ZN7rocprim17ROCPRIM_400000_NS6detail17trampoline_kernelINS0_14default_configENS1_25partition_config_selectorILNS1_17partition_subalgoE1EsNS0_10empty_typeEbEEZZNS1_14partition_implILS5_1ELb0ES3_jN6thrust23THRUST_200600_302600_NS6detail15normal_iteratorINSA_10device_ptrIsEEEEPS6_NSA_18transform_iteratorI7is_evenIsESF_NSA_11use_defaultESK_EENS0_5tupleIJSF_NSA_16discard_iteratorISK_EEEEENSM_IJSG_SG_EEES6_PlJS6_EEE10hipError_tPvRmT3_T4_T5_T6_T7_T9_mT8_P12ihipStream_tbDpT10_ENKUlT_T0_E_clISt17integral_constantIbLb0EES1B_EEDaS16_S17_EUlS16_E_NS1_11comp_targetILNS1_3genE4ELNS1_11target_archE910ELNS1_3gpuE8ELNS1_3repE0EEENS1_30default_config_static_selectorELNS0_4arch9wavefront6targetE1EEEvT1_
    .private_segment_fixed_size: 0
    .sgpr_count:     6
    .sgpr_spill_count: 0
    .symbol:         _ZN7rocprim17ROCPRIM_400000_NS6detail17trampoline_kernelINS0_14default_configENS1_25partition_config_selectorILNS1_17partition_subalgoE1EsNS0_10empty_typeEbEEZZNS1_14partition_implILS5_1ELb0ES3_jN6thrust23THRUST_200600_302600_NS6detail15normal_iteratorINSA_10device_ptrIsEEEEPS6_NSA_18transform_iteratorI7is_evenIsESF_NSA_11use_defaultESK_EENS0_5tupleIJSF_NSA_16discard_iteratorISK_EEEEENSM_IJSG_SG_EEES6_PlJS6_EEE10hipError_tPvRmT3_T4_T5_T6_T7_T9_mT8_P12ihipStream_tbDpT10_ENKUlT_T0_E_clISt17integral_constantIbLb0EES1B_EEDaS16_S17_EUlS16_E_NS1_11comp_targetILNS1_3genE4ELNS1_11target_archE910ELNS1_3gpuE8ELNS1_3repE0EEENS1_30default_config_static_selectorELNS0_4arch9wavefront6targetE1EEEvT1_.kd
    .uniform_work_group_size: 1
    .uses_dynamic_stack: false
    .vgpr_count:     0
    .vgpr_spill_count: 0
    .wavefront_size: 64
  - .agpr_count:     0
    .args:
      - .offset:         0
        .size:           136
        .value_kind:     by_value
    .group_segment_fixed_size: 0
    .kernarg_segment_align: 8
    .kernarg_segment_size: 136
    .language:       OpenCL C
    .language_version:
      - 2
      - 0
    .max_flat_workgroup_size: 256
    .name:           _ZN7rocprim17ROCPRIM_400000_NS6detail17trampoline_kernelINS0_14default_configENS1_25partition_config_selectorILNS1_17partition_subalgoE1EsNS0_10empty_typeEbEEZZNS1_14partition_implILS5_1ELb0ES3_jN6thrust23THRUST_200600_302600_NS6detail15normal_iteratorINSA_10device_ptrIsEEEEPS6_NSA_18transform_iteratorI7is_evenIsESF_NSA_11use_defaultESK_EENS0_5tupleIJSF_NSA_16discard_iteratorISK_EEEEENSM_IJSG_SG_EEES6_PlJS6_EEE10hipError_tPvRmT3_T4_T5_T6_T7_T9_mT8_P12ihipStream_tbDpT10_ENKUlT_T0_E_clISt17integral_constantIbLb0EES1B_EEDaS16_S17_EUlS16_E_NS1_11comp_targetILNS1_3genE3ELNS1_11target_archE908ELNS1_3gpuE7ELNS1_3repE0EEENS1_30default_config_static_selectorELNS0_4arch9wavefront6targetE1EEEvT1_
    .private_segment_fixed_size: 0
    .sgpr_count:     6
    .sgpr_spill_count: 0
    .symbol:         _ZN7rocprim17ROCPRIM_400000_NS6detail17trampoline_kernelINS0_14default_configENS1_25partition_config_selectorILNS1_17partition_subalgoE1EsNS0_10empty_typeEbEEZZNS1_14partition_implILS5_1ELb0ES3_jN6thrust23THRUST_200600_302600_NS6detail15normal_iteratorINSA_10device_ptrIsEEEEPS6_NSA_18transform_iteratorI7is_evenIsESF_NSA_11use_defaultESK_EENS0_5tupleIJSF_NSA_16discard_iteratorISK_EEEEENSM_IJSG_SG_EEES6_PlJS6_EEE10hipError_tPvRmT3_T4_T5_T6_T7_T9_mT8_P12ihipStream_tbDpT10_ENKUlT_T0_E_clISt17integral_constantIbLb0EES1B_EEDaS16_S17_EUlS16_E_NS1_11comp_targetILNS1_3genE3ELNS1_11target_archE908ELNS1_3gpuE7ELNS1_3repE0EEENS1_30default_config_static_selectorELNS0_4arch9wavefront6targetE1EEEvT1_.kd
    .uniform_work_group_size: 1
    .uses_dynamic_stack: false
    .vgpr_count:     0
    .vgpr_spill_count: 0
    .wavefront_size: 64
  - .agpr_count:     0
    .args:
      - .offset:         0
        .size:           136
        .value_kind:     by_value
    .group_segment_fixed_size: 0
    .kernarg_segment_align: 8
    .kernarg_segment_size: 136
    .language:       OpenCL C
    .language_version:
      - 2
      - 0
    .max_flat_workgroup_size: 256
    .name:           _ZN7rocprim17ROCPRIM_400000_NS6detail17trampoline_kernelINS0_14default_configENS1_25partition_config_selectorILNS1_17partition_subalgoE1EsNS0_10empty_typeEbEEZZNS1_14partition_implILS5_1ELb0ES3_jN6thrust23THRUST_200600_302600_NS6detail15normal_iteratorINSA_10device_ptrIsEEEEPS6_NSA_18transform_iteratorI7is_evenIsESF_NSA_11use_defaultESK_EENS0_5tupleIJSF_NSA_16discard_iteratorISK_EEEEENSM_IJSG_SG_EEES6_PlJS6_EEE10hipError_tPvRmT3_T4_T5_T6_T7_T9_mT8_P12ihipStream_tbDpT10_ENKUlT_T0_E_clISt17integral_constantIbLb0EES1B_EEDaS16_S17_EUlS16_E_NS1_11comp_targetILNS1_3genE2ELNS1_11target_archE906ELNS1_3gpuE6ELNS1_3repE0EEENS1_30default_config_static_selectorELNS0_4arch9wavefront6targetE1EEEvT1_
    .private_segment_fixed_size: 0
    .sgpr_count:     6
    .sgpr_spill_count: 0
    .symbol:         _ZN7rocprim17ROCPRIM_400000_NS6detail17trampoline_kernelINS0_14default_configENS1_25partition_config_selectorILNS1_17partition_subalgoE1EsNS0_10empty_typeEbEEZZNS1_14partition_implILS5_1ELb0ES3_jN6thrust23THRUST_200600_302600_NS6detail15normal_iteratorINSA_10device_ptrIsEEEEPS6_NSA_18transform_iteratorI7is_evenIsESF_NSA_11use_defaultESK_EENS0_5tupleIJSF_NSA_16discard_iteratorISK_EEEEENSM_IJSG_SG_EEES6_PlJS6_EEE10hipError_tPvRmT3_T4_T5_T6_T7_T9_mT8_P12ihipStream_tbDpT10_ENKUlT_T0_E_clISt17integral_constantIbLb0EES1B_EEDaS16_S17_EUlS16_E_NS1_11comp_targetILNS1_3genE2ELNS1_11target_archE906ELNS1_3gpuE6ELNS1_3repE0EEENS1_30default_config_static_selectorELNS0_4arch9wavefront6targetE1EEEvT1_.kd
    .uniform_work_group_size: 1
    .uses_dynamic_stack: false
    .vgpr_count:     0
    .vgpr_spill_count: 0
    .wavefront_size: 64
  - .agpr_count:     0
    .args:
      - .offset:         0
        .size:           136
        .value_kind:     by_value
    .group_segment_fixed_size: 0
    .kernarg_segment_align: 8
    .kernarg_segment_size: 136
    .language:       OpenCL C
    .language_version:
      - 2
      - 0
    .max_flat_workgroup_size: 384
    .name:           _ZN7rocprim17ROCPRIM_400000_NS6detail17trampoline_kernelINS0_14default_configENS1_25partition_config_selectorILNS1_17partition_subalgoE1EsNS0_10empty_typeEbEEZZNS1_14partition_implILS5_1ELb0ES3_jN6thrust23THRUST_200600_302600_NS6detail15normal_iteratorINSA_10device_ptrIsEEEEPS6_NSA_18transform_iteratorI7is_evenIsESF_NSA_11use_defaultESK_EENS0_5tupleIJSF_NSA_16discard_iteratorISK_EEEEENSM_IJSG_SG_EEES6_PlJS6_EEE10hipError_tPvRmT3_T4_T5_T6_T7_T9_mT8_P12ihipStream_tbDpT10_ENKUlT_T0_E_clISt17integral_constantIbLb0EES1B_EEDaS16_S17_EUlS16_E_NS1_11comp_targetILNS1_3genE10ELNS1_11target_archE1200ELNS1_3gpuE4ELNS1_3repE0EEENS1_30default_config_static_selectorELNS0_4arch9wavefront6targetE1EEEvT1_
    .private_segment_fixed_size: 0
    .sgpr_count:     6
    .sgpr_spill_count: 0
    .symbol:         _ZN7rocprim17ROCPRIM_400000_NS6detail17trampoline_kernelINS0_14default_configENS1_25partition_config_selectorILNS1_17partition_subalgoE1EsNS0_10empty_typeEbEEZZNS1_14partition_implILS5_1ELb0ES3_jN6thrust23THRUST_200600_302600_NS6detail15normal_iteratorINSA_10device_ptrIsEEEEPS6_NSA_18transform_iteratorI7is_evenIsESF_NSA_11use_defaultESK_EENS0_5tupleIJSF_NSA_16discard_iteratorISK_EEEEENSM_IJSG_SG_EEES6_PlJS6_EEE10hipError_tPvRmT3_T4_T5_T6_T7_T9_mT8_P12ihipStream_tbDpT10_ENKUlT_T0_E_clISt17integral_constantIbLb0EES1B_EEDaS16_S17_EUlS16_E_NS1_11comp_targetILNS1_3genE10ELNS1_11target_archE1200ELNS1_3gpuE4ELNS1_3repE0EEENS1_30default_config_static_selectorELNS0_4arch9wavefront6targetE1EEEvT1_.kd
    .uniform_work_group_size: 1
    .uses_dynamic_stack: false
    .vgpr_count:     0
    .vgpr_spill_count: 0
    .wavefront_size: 64
  - .agpr_count:     0
    .args:
      - .offset:         0
        .size:           136
        .value_kind:     by_value
    .group_segment_fixed_size: 0
    .kernarg_segment_align: 8
    .kernarg_segment_size: 136
    .language:       OpenCL C
    .language_version:
      - 2
      - 0
    .max_flat_workgroup_size: 128
    .name:           _ZN7rocprim17ROCPRIM_400000_NS6detail17trampoline_kernelINS0_14default_configENS1_25partition_config_selectorILNS1_17partition_subalgoE1EsNS0_10empty_typeEbEEZZNS1_14partition_implILS5_1ELb0ES3_jN6thrust23THRUST_200600_302600_NS6detail15normal_iteratorINSA_10device_ptrIsEEEEPS6_NSA_18transform_iteratorI7is_evenIsESF_NSA_11use_defaultESK_EENS0_5tupleIJSF_NSA_16discard_iteratorISK_EEEEENSM_IJSG_SG_EEES6_PlJS6_EEE10hipError_tPvRmT3_T4_T5_T6_T7_T9_mT8_P12ihipStream_tbDpT10_ENKUlT_T0_E_clISt17integral_constantIbLb0EES1B_EEDaS16_S17_EUlS16_E_NS1_11comp_targetILNS1_3genE9ELNS1_11target_archE1100ELNS1_3gpuE3ELNS1_3repE0EEENS1_30default_config_static_selectorELNS0_4arch9wavefront6targetE1EEEvT1_
    .private_segment_fixed_size: 0
    .sgpr_count:     6
    .sgpr_spill_count: 0
    .symbol:         _ZN7rocprim17ROCPRIM_400000_NS6detail17trampoline_kernelINS0_14default_configENS1_25partition_config_selectorILNS1_17partition_subalgoE1EsNS0_10empty_typeEbEEZZNS1_14partition_implILS5_1ELb0ES3_jN6thrust23THRUST_200600_302600_NS6detail15normal_iteratorINSA_10device_ptrIsEEEEPS6_NSA_18transform_iteratorI7is_evenIsESF_NSA_11use_defaultESK_EENS0_5tupleIJSF_NSA_16discard_iteratorISK_EEEEENSM_IJSG_SG_EEES6_PlJS6_EEE10hipError_tPvRmT3_T4_T5_T6_T7_T9_mT8_P12ihipStream_tbDpT10_ENKUlT_T0_E_clISt17integral_constantIbLb0EES1B_EEDaS16_S17_EUlS16_E_NS1_11comp_targetILNS1_3genE9ELNS1_11target_archE1100ELNS1_3gpuE3ELNS1_3repE0EEENS1_30default_config_static_selectorELNS0_4arch9wavefront6targetE1EEEvT1_.kd
    .uniform_work_group_size: 1
    .uses_dynamic_stack: false
    .vgpr_count:     0
    .vgpr_spill_count: 0
    .wavefront_size: 64
  - .agpr_count:     0
    .args:
      - .offset:         0
        .size:           136
        .value_kind:     by_value
    .group_segment_fixed_size: 0
    .kernarg_segment_align: 8
    .kernarg_segment_size: 136
    .language:       OpenCL C
    .language_version:
      - 2
      - 0
    .max_flat_workgroup_size: 512
    .name:           _ZN7rocprim17ROCPRIM_400000_NS6detail17trampoline_kernelINS0_14default_configENS1_25partition_config_selectorILNS1_17partition_subalgoE1EsNS0_10empty_typeEbEEZZNS1_14partition_implILS5_1ELb0ES3_jN6thrust23THRUST_200600_302600_NS6detail15normal_iteratorINSA_10device_ptrIsEEEEPS6_NSA_18transform_iteratorI7is_evenIsESF_NSA_11use_defaultESK_EENS0_5tupleIJSF_NSA_16discard_iteratorISK_EEEEENSM_IJSG_SG_EEES6_PlJS6_EEE10hipError_tPvRmT3_T4_T5_T6_T7_T9_mT8_P12ihipStream_tbDpT10_ENKUlT_T0_E_clISt17integral_constantIbLb0EES1B_EEDaS16_S17_EUlS16_E_NS1_11comp_targetILNS1_3genE8ELNS1_11target_archE1030ELNS1_3gpuE2ELNS1_3repE0EEENS1_30default_config_static_selectorELNS0_4arch9wavefront6targetE1EEEvT1_
    .private_segment_fixed_size: 0
    .sgpr_count:     6
    .sgpr_spill_count: 0
    .symbol:         _ZN7rocprim17ROCPRIM_400000_NS6detail17trampoline_kernelINS0_14default_configENS1_25partition_config_selectorILNS1_17partition_subalgoE1EsNS0_10empty_typeEbEEZZNS1_14partition_implILS5_1ELb0ES3_jN6thrust23THRUST_200600_302600_NS6detail15normal_iteratorINSA_10device_ptrIsEEEEPS6_NSA_18transform_iteratorI7is_evenIsESF_NSA_11use_defaultESK_EENS0_5tupleIJSF_NSA_16discard_iteratorISK_EEEEENSM_IJSG_SG_EEES6_PlJS6_EEE10hipError_tPvRmT3_T4_T5_T6_T7_T9_mT8_P12ihipStream_tbDpT10_ENKUlT_T0_E_clISt17integral_constantIbLb0EES1B_EEDaS16_S17_EUlS16_E_NS1_11comp_targetILNS1_3genE8ELNS1_11target_archE1030ELNS1_3gpuE2ELNS1_3repE0EEENS1_30default_config_static_selectorELNS0_4arch9wavefront6targetE1EEEvT1_.kd
    .uniform_work_group_size: 1
    .uses_dynamic_stack: false
    .vgpr_count:     0
    .vgpr_spill_count: 0
    .wavefront_size: 64
  - .agpr_count:     0
    .args:
      - .offset:         0
        .size:           152
        .value_kind:     by_value
    .group_segment_fixed_size: 0
    .kernarg_segment_align: 8
    .kernarg_segment_size: 152
    .language:       OpenCL C
    .language_version:
      - 2
      - 0
    .max_flat_workgroup_size: 256
    .name:           _ZN7rocprim17ROCPRIM_400000_NS6detail17trampoline_kernelINS0_14default_configENS1_25partition_config_selectorILNS1_17partition_subalgoE1EsNS0_10empty_typeEbEEZZNS1_14partition_implILS5_1ELb0ES3_jN6thrust23THRUST_200600_302600_NS6detail15normal_iteratorINSA_10device_ptrIsEEEEPS6_NSA_18transform_iteratorI7is_evenIsESF_NSA_11use_defaultESK_EENS0_5tupleIJSF_NSA_16discard_iteratorISK_EEEEENSM_IJSG_SG_EEES6_PlJS6_EEE10hipError_tPvRmT3_T4_T5_T6_T7_T9_mT8_P12ihipStream_tbDpT10_ENKUlT_T0_E_clISt17integral_constantIbLb1EES1B_EEDaS16_S17_EUlS16_E_NS1_11comp_targetILNS1_3genE0ELNS1_11target_archE4294967295ELNS1_3gpuE0ELNS1_3repE0EEENS1_30default_config_static_selectorELNS0_4arch9wavefront6targetE1EEEvT1_
    .private_segment_fixed_size: 0
    .sgpr_count:     6
    .sgpr_spill_count: 0
    .symbol:         _ZN7rocprim17ROCPRIM_400000_NS6detail17trampoline_kernelINS0_14default_configENS1_25partition_config_selectorILNS1_17partition_subalgoE1EsNS0_10empty_typeEbEEZZNS1_14partition_implILS5_1ELb0ES3_jN6thrust23THRUST_200600_302600_NS6detail15normal_iteratorINSA_10device_ptrIsEEEEPS6_NSA_18transform_iteratorI7is_evenIsESF_NSA_11use_defaultESK_EENS0_5tupleIJSF_NSA_16discard_iteratorISK_EEEEENSM_IJSG_SG_EEES6_PlJS6_EEE10hipError_tPvRmT3_T4_T5_T6_T7_T9_mT8_P12ihipStream_tbDpT10_ENKUlT_T0_E_clISt17integral_constantIbLb1EES1B_EEDaS16_S17_EUlS16_E_NS1_11comp_targetILNS1_3genE0ELNS1_11target_archE4294967295ELNS1_3gpuE0ELNS1_3repE0EEENS1_30default_config_static_selectorELNS0_4arch9wavefront6targetE1EEEvT1_.kd
    .uniform_work_group_size: 1
    .uses_dynamic_stack: false
    .vgpr_count:     0
    .vgpr_spill_count: 0
    .wavefront_size: 64
  - .agpr_count:     0
    .args:
      - .offset:         0
        .size:           152
        .value_kind:     by_value
    .group_segment_fixed_size: 28680
    .kernarg_segment_align: 8
    .kernarg_segment_size: 152
    .language:       OpenCL C
    .language_version:
      - 2
      - 0
    .max_flat_workgroup_size: 512
    .name:           _ZN7rocprim17ROCPRIM_400000_NS6detail17trampoline_kernelINS0_14default_configENS1_25partition_config_selectorILNS1_17partition_subalgoE1EsNS0_10empty_typeEbEEZZNS1_14partition_implILS5_1ELb0ES3_jN6thrust23THRUST_200600_302600_NS6detail15normal_iteratorINSA_10device_ptrIsEEEEPS6_NSA_18transform_iteratorI7is_evenIsESF_NSA_11use_defaultESK_EENS0_5tupleIJSF_NSA_16discard_iteratorISK_EEEEENSM_IJSG_SG_EEES6_PlJS6_EEE10hipError_tPvRmT3_T4_T5_T6_T7_T9_mT8_P12ihipStream_tbDpT10_ENKUlT_T0_E_clISt17integral_constantIbLb1EES1B_EEDaS16_S17_EUlS16_E_NS1_11comp_targetILNS1_3genE5ELNS1_11target_archE942ELNS1_3gpuE9ELNS1_3repE0EEENS1_30default_config_static_selectorELNS0_4arch9wavefront6targetE1EEEvT1_
    .private_segment_fixed_size: 0
    .sgpr_count:     46
    .sgpr_spill_count: 0
    .symbol:         _ZN7rocprim17ROCPRIM_400000_NS6detail17trampoline_kernelINS0_14default_configENS1_25partition_config_selectorILNS1_17partition_subalgoE1EsNS0_10empty_typeEbEEZZNS1_14partition_implILS5_1ELb0ES3_jN6thrust23THRUST_200600_302600_NS6detail15normal_iteratorINSA_10device_ptrIsEEEEPS6_NSA_18transform_iteratorI7is_evenIsESF_NSA_11use_defaultESK_EENS0_5tupleIJSF_NSA_16discard_iteratorISK_EEEEENSM_IJSG_SG_EEES6_PlJS6_EEE10hipError_tPvRmT3_T4_T5_T6_T7_T9_mT8_P12ihipStream_tbDpT10_ENKUlT_T0_E_clISt17integral_constantIbLb1EES1B_EEDaS16_S17_EUlS16_E_NS1_11comp_targetILNS1_3genE5ELNS1_11target_archE942ELNS1_3gpuE9ELNS1_3repE0EEENS1_30default_config_static_selectorELNS0_4arch9wavefront6targetE1EEEvT1_.kd
    .uniform_work_group_size: 1
    .uses_dynamic_stack: false
    .vgpr_count:     81
    .vgpr_spill_count: 0
    .wavefront_size: 64
  - .agpr_count:     0
    .args:
      - .offset:         0
        .size:           152
        .value_kind:     by_value
    .group_segment_fixed_size: 0
    .kernarg_segment_align: 8
    .kernarg_segment_size: 152
    .language:       OpenCL C
    .language_version:
      - 2
      - 0
    .max_flat_workgroup_size: 256
    .name:           _ZN7rocprim17ROCPRIM_400000_NS6detail17trampoline_kernelINS0_14default_configENS1_25partition_config_selectorILNS1_17partition_subalgoE1EsNS0_10empty_typeEbEEZZNS1_14partition_implILS5_1ELb0ES3_jN6thrust23THRUST_200600_302600_NS6detail15normal_iteratorINSA_10device_ptrIsEEEEPS6_NSA_18transform_iteratorI7is_evenIsESF_NSA_11use_defaultESK_EENS0_5tupleIJSF_NSA_16discard_iteratorISK_EEEEENSM_IJSG_SG_EEES6_PlJS6_EEE10hipError_tPvRmT3_T4_T5_T6_T7_T9_mT8_P12ihipStream_tbDpT10_ENKUlT_T0_E_clISt17integral_constantIbLb1EES1B_EEDaS16_S17_EUlS16_E_NS1_11comp_targetILNS1_3genE4ELNS1_11target_archE910ELNS1_3gpuE8ELNS1_3repE0EEENS1_30default_config_static_selectorELNS0_4arch9wavefront6targetE1EEEvT1_
    .private_segment_fixed_size: 0
    .sgpr_count:     6
    .sgpr_spill_count: 0
    .symbol:         _ZN7rocprim17ROCPRIM_400000_NS6detail17trampoline_kernelINS0_14default_configENS1_25partition_config_selectorILNS1_17partition_subalgoE1EsNS0_10empty_typeEbEEZZNS1_14partition_implILS5_1ELb0ES3_jN6thrust23THRUST_200600_302600_NS6detail15normal_iteratorINSA_10device_ptrIsEEEEPS6_NSA_18transform_iteratorI7is_evenIsESF_NSA_11use_defaultESK_EENS0_5tupleIJSF_NSA_16discard_iteratorISK_EEEEENSM_IJSG_SG_EEES6_PlJS6_EEE10hipError_tPvRmT3_T4_T5_T6_T7_T9_mT8_P12ihipStream_tbDpT10_ENKUlT_T0_E_clISt17integral_constantIbLb1EES1B_EEDaS16_S17_EUlS16_E_NS1_11comp_targetILNS1_3genE4ELNS1_11target_archE910ELNS1_3gpuE8ELNS1_3repE0EEENS1_30default_config_static_selectorELNS0_4arch9wavefront6targetE1EEEvT1_.kd
    .uniform_work_group_size: 1
    .uses_dynamic_stack: false
    .vgpr_count:     0
    .vgpr_spill_count: 0
    .wavefront_size: 64
  - .agpr_count:     0
    .args:
      - .offset:         0
        .size:           152
        .value_kind:     by_value
    .group_segment_fixed_size: 0
    .kernarg_segment_align: 8
    .kernarg_segment_size: 152
    .language:       OpenCL C
    .language_version:
      - 2
      - 0
    .max_flat_workgroup_size: 256
    .name:           _ZN7rocprim17ROCPRIM_400000_NS6detail17trampoline_kernelINS0_14default_configENS1_25partition_config_selectorILNS1_17partition_subalgoE1EsNS0_10empty_typeEbEEZZNS1_14partition_implILS5_1ELb0ES3_jN6thrust23THRUST_200600_302600_NS6detail15normal_iteratorINSA_10device_ptrIsEEEEPS6_NSA_18transform_iteratorI7is_evenIsESF_NSA_11use_defaultESK_EENS0_5tupleIJSF_NSA_16discard_iteratorISK_EEEEENSM_IJSG_SG_EEES6_PlJS6_EEE10hipError_tPvRmT3_T4_T5_T6_T7_T9_mT8_P12ihipStream_tbDpT10_ENKUlT_T0_E_clISt17integral_constantIbLb1EES1B_EEDaS16_S17_EUlS16_E_NS1_11comp_targetILNS1_3genE3ELNS1_11target_archE908ELNS1_3gpuE7ELNS1_3repE0EEENS1_30default_config_static_selectorELNS0_4arch9wavefront6targetE1EEEvT1_
    .private_segment_fixed_size: 0
    .sgpr_count:     6
    .sgpr_spill_count: 0
    .symbol:         _ZN7rocprim17ROCPRIM_400000_NS6detail17trampoline_kernelINS0_14default_configENS1_25partition_config_selectorILNS1_17partition_subalgoE1EsNS0_10empty_typeEbEEZZNS1_14partition_implILS5_1ELb0ES3_jN6thrust23THRUST_200600_302600_NS6detail15normal_iteratorINSA_10device_ptrIsEEEEPS6_NSA_18transform_iteratorI7is_evenIsESF_NSA_11use_defaultESK_EENS0_5tupleIJSF_NSA_16discard_iteratorISK_EEEEENSM_IJSG_SG_EEES6_PlJS6_EEE10hipError_tPvRmT3_T4_T5_T6_T7_T9_mT8_P12ihipStream_tbDpT10_ENKUlT_T0_E_clISt17integral_constantIbLb1EES1B_EEDaS16_S17_EUlS16_E_NS1_11comp_targetILNS1_3genE3ELNS1_11target_archE908ELNS1_3gpuE7ELNS1_3repE0EEENS1_30default_config_static_selectorELNS0_4arch9wavefront6targetE1EEEvT1_.kd
    .uniform_work_group_size: 1
    .uses_dynamic_stack: false
    .vgpr_count:     0
    .vgpr_spill_count: 0
    .wavefront_size: 64
  - .agpr_count:     0
    .args:
      - .offset:         0
        .size:           152
        .value_kind:     by_value
    .group_segment_fixed_size: 0
    .kernarg_segment_align: 8
    .kernarg_segment_size: 152
    .language:       OpenCL C
    .language_version:
      - 2
      - 0
    .max_flat_workgroup_size: 256
    .name:           _ZN7rocprim17ROCPRIM_400000_NS6detail17trampoline_kernelINS0_14default_configENS1_25partition_config_selectorILNS1_17partition_subalgoE1EsNS0_10empty_typeEbEEZZNS1_14partition_implILS5_1ELb0ES3_jN6thrust23THRUST_200600_302600_NS6detail15normal_iteratorINSA_10device_ptrIsEEEEPS6_NSA_18transform_iteratorI7is_evenIsESF_NSA_11use_defaultESK_EENS0_5tupleIJSF_NSA_16discard_iteratorISK_EEEEENSM_IJSG_SG_EEES6_PlJS6_EEE10hipError_tPvRmT3_T4_T5_T6_T7_T9_mT8_P12ihipStream_tbDpT10_ENKUlT_T0_E_clISt17integral_constantIbLb1EES1B_EEDaS16_S17_EUlS16_E_NS1_11comp_targetILNS1_3genE2ELNS1_11target_archE906ELNS1_3gpuE6ELNS1_3repE0EEENS1_30default_config_static_selectorELNS0_4arch9wavefront6targetE1EEEvT1_
    .private_segment_fixed_size: 0
    .sgpr_count:     6
    .sgpr_spill_count: 0
    .symbol:         _ZN7rocprim17ROCPRIM_400000_NS6detail17trampoline_kernelINS0_14default_configENS1_25partition_config_selectorILNS1_17partition_subalgoE1EsNS0_10empty_typeEbEEZZNS1_14partition_implILS5_1ELb0ES3_jN6thrust23THRUST_200600_302600_NS6detail15normal_iteratorINSA_10device_ptrIsEEEEPS6_NSA_18transform_iteratorI7is_evenIsESF_NSA_11use_defaultESK_EENS0_5tupleIJSF_NSA_16discard_iteratorISK_EEEEENSM_IJSG_SG_EEES6_PlJS6_EEE10hipError_tPvRmT3_T4_T5_T6_T7_T9_mT8_P12ihipStream_tbDpT10_ENKUlT_T0_E_clISt17integral_constantIbLb1EES1B_EEDaS16_S17_EUlS16_E_NS1_11comp_targetILNS1_3genE2ELNS1_11target_archE906ELNS1_3gpuE6ELNS1_3repE0EEENS1_30default_config_static_selectorELNS0_4arch9wavefront6targetE1EEEvT1_.kd
    .uniform_work_group_size: 1
    .uses_dynamic_stack: false
    .vgpr_count:     0
    .vgpr_spill_count: 0
    .wavefront_size: 64
  - .agpr_count:     0
    .args:
      - .offset:         0
        .size:           152
        .value_kind:     by_value
    .group_segment_fixed_size: 0
    .kernarg_segment_align: 8
    .kernarg_segment_size: 152
    .language:       OpenCL C
    .language_version:
      - 2
      - 0
    .max_flat_workgroup_size: 384
    .name:           _ZN7rocprim17ROCPRIM_400000_NS6detail17trampoline_kernelINS0_14default_configENS1_25partition_config_selectorILNS1_17partition_subalgoE1EsNS0_10empty_typeEbEEZZNS1_14partition_implILS5_1ELb0ES3_jN6thrust23THRUST_200600_302600_NS6detail15normal_iteratorINSA_10device_ptrIsEEEEPS6_NSA_18transform_iteratorI7is_evenIsESF_NSA_11use_defaultESK_EENS0_5tupleIJSF_NSA_16discard_iteratorISK_EEEEENSM_IJSG_SG_EEES6_PlJS6_EEE10hipError_tPvRmT3_T4_T5_T6_T7_T9_mT8_P12ihipStream_tbDpT10_ENKUlT_T0_E_clISt17integral_constantIbLb1EES1B_EEDaS16_S17_EUlS16_E_NS1_11comp_targetILNS1_3genE10ELNS1_11target_archE1200ELNS1_3gpuE4ELNS1_3repE0EEENS1_30default_config_static_selectorELNS0_4arch9wavefront6targetE1EEEvT1_
    .private_segment_fixed_size: 0
    .sgpr_count:     6
    .sgpr_spill_count: 0
    .symbol:         _ZN7rocprim17ROCPRIM_400000_NS6detail17trampoline_kernelINS0_14default_configENS1_25partition_config_selectorILNS1_17partition_subalgoE1EsNS0_10empty_typeEbEEZZNS1_14partition_implILS5_1ELb0ES3_jN6thrust23THRUST_200600_302600_NS6detail15normal_iteratorINSA_10device_ptrIsEEEEPS6_NSA_18transform_iteratorI7is_evenIsESF_NSA_11use_defaultESK_EENS0_5tupleIJSF_NSA_16discard_iteratorISK_EEEEENSM_IJSG_SG_EEES6_PlJS6_EEE10hipError_tPvRmT3_T4_T5_T6_T7_T9_mT8_P12ihipStream_tbDpT10_ENKUlT_T0_E_clISt17integral_constantIbLb1EES1B_EEDaS16_S17_EUlS16_E_NS1_11comp_targetILNS1_3genE10ELNS1_11target_archE1200ELNS1_3gpuE4ELNS1_3repE0EEENS1_30default_config_static_selectorELNS0_4arch9wavefront6targetE1EEEvT1_.kd
    .uniform_work_group_size: 1
    .uses_dynamic_stack: false
    .vgpr_count:     0
    .vgpr_spill_count: 0
    .wavefront_size: 64
  - .agpr_count:     0
    .args:
      - .offset:         0
        .size:           152
        .value_kind:     by_value
    .group_segment_fixed_size: 0
    .kernarg_segment_align: 8
    .kernarg_segment_size: 152
    .language:       OpenCL C
    .language_version:
      - 2
      - 0
    .max_flat_workgroup_size: 128
    .name:           _ZN7rocprim17ROCPRIM_400000_NS6detail17trampoline_kernelINS0_14default_configENS1_25partition_config_selectorILNS1_17partition_subalgoE1EsNS0_10empty_typeEbEEZZNS1_14partition_implILS5_1ELb0ES3_jN6thrust23THRUST_200600_302600_NS6detail15normal_iteratorINSA_10device_ptrIsEEEEPS6_NSA_18transform_iteratorI7is_evenIsESF_NSA_11use_defaultESK_EENS0_5tupleIJSF_NSA_16discard_iteratorISK_EEEEENSM_IJSG_SG_EEES6_PlJS6_EEE10hipError_tPvRmT3_T4_T5_T6_T7_T9_mT8_P12ihipStream_tbDpT10_ENKUlT_T0_E_clISt17integral_constantIbLb1EES1B_EEDaS16_S17_EUlS16_E_NS1_11comp_targetILNS1_3genE9ELNS1_11target_archE1100ELNS1_3gpuE3ELNS1_3repE0EEENS1_30default_config_static_selectorELNS0_4arch9wavefront6targetE1EEEvT1_
    .private_segment_fixed_size: 0
    .sgpr_count:     6
    .sgpr_spill_count: 0
    .symbol:         _ZN7rocprim17ROCPRIM_400000_NS6detail17trampoline_kernelINS0_14default_configENS1_25partition_config_selectorILNS1_17partition_subalgoE1EsNS0_10empty_typeEbEEZZNS1_14partition_implILS5_1ELb0ES3_jN6thrust23THRUST_200600_302600_NS6detail15normal_iteratorINSA_10device_ptrIsEEEEPS6_NSA_18transform_iteratorI7is_evenIsESF_NSA_11use_defaultESK_EENS0_5tupleIJSF_NSA_16discard_iteratorISK_EEEEENSM_IJSG_SG_EEES6_PlJS6_EEE10hipError_tPvRmT3_T4_T5_T6_T7_T9_mT8_P12ihipStream_tbDpT10_ENKUlT_T0_E_clISt17integral_constantIbLb1EES1B_EEDaS16_S17_EUlS16_E_NS1_11comp_targetILNS1_3genE9ELNS1_11target_archE1100ELNS1_3gpuE3ELNS1_3repE0EEENS1_30default_config_static_selectorELNS0_4arch9wavefront6targetE1EEEvT1_.kd
    .uniform_work_group_size: 1
    .uses_dynamic_stack: false
    .vgpr_count:     0
    .vgpr_spill_count: 0
    .wavefront_size: 64
  - .agpr_count:     0
    .args:
      - .offset:         0
        .size:           152
        .value_kind:     by_value
    .group_segment_fixed_size: 0
    .kernarg_segment_align: 8
    .kernarg_segment_size: 152
    .language:       OpenCL C
    .language_version:
      - 2
      - 0
    .max_flat_workgroup_size: 512
    .name:           _ZN7rocprim17ROCPRIM_400000_NS6detail17trampoline_kernelINS0_14default_configENS1_25partition_config_selectorILNS1_17partition_subalgoE1EsNS0_10empty_typeEbEEZZNS1_14partition_implILS5_1ELb0ES3_jN6thrust23THRUST_200600_302600_NS6detail15normal_iteratorINSA_10device_ptrIsEEEEPS6_NSA_18transform_iteratorI7is_evenIsESF_NSA_11use_defaultESK_EENS0_5tupleIJSF_NSA_16discard_iteratorISK_EEEEENSM_IJSG_SG_EEES6_PlJS6_EEE10hipError_tPvRmT3_T4_T5_T6_T7_T9_mT8_P12ihipStream_tbDpT10_ENKUlT_T0_E_clISt17integral_constantIbLb1EES1B_EEDaS16_S17_EUlS16_E_NS1_11comp_targetILNS1_3genE8ELNS1_11target_archE1030ELNS1_3gpuE2ELNS1_3repE0EEENS1_30default_config_static_selectorELNS0_4arch9wavefront6targetE1EEEvT1_
    .private_segment_fixed_size: 0
    .sgpr_count:     6
    .sgpr_spill_count: 0
    .symbol:         _ZN7rocprim17ROCPRIM_400000_NS6detail17trampoline_kernelINS0_14default_configENS1_25partition_config_selectorILNS1_17partition_subalgoE1EsNS0_10empty_typeEbEEZZNS1_14partition_implILS5_1ELb0ES3_jN6thrust23THRUST_200600_302600_NS6detail15normal_iteratorINSA_10device_ptrIsEEEEPS6_NSA_18transform_iteratorI7is_evenIsESF_NSA_11use_defaultESK_EENS0_5tupleIJSF_NSA_16discard_iteratorISK_EEEEENSM_IJSG_SG_EEES6_PlJS6_EEE10hipError_tPvRmT3_T4_T5_T6_T7_T9_mT8_P12ihipStream_tbDpT10_ENKUlT_T0_E_clISt17integral_constantIbLb1EES1B_EEDaS16_S17_EUlS16_E_NS1_11comp_targetILNS1_3genE8ELNS1_11target_archE1030ELNS1_3gpuE2ELNS1_3repE0EEENS1_30default_config_static_selectorELNS0_4arch9wavefront6targetE1EEEvT1_.kd
    .uniform_work_group_size: 1
    .uses_dynamic_stack: false
    .vgpr_count:     0
    .vgpr_spill_count: 0
    .wavefront_size: 64
  - .agpr_count:     0
    .args:
      - .offset:         0
        .size:           136
        .value_kind:     by_value
    .group_segment_fixed_size: 0
    .kernarg_segment_align: 8
    .kernarg_segment_size: 136
    .language:       OpenCL C
    .language_version:
      - 2
      - 0
    .max_flat_workgroup_size: 256
    .name:           _ZN7rocprim17ROCPRIM_400000_NS6detail17trampoline_kernelINS0_14default_configENS1_25partition_config_selectorILNS1_17partition_subalgoE1EsNS0_10empty_typeEbEEZZNS1_14partition_implILS5_1ELb0ES3_jN6thrust23THRUST_200600_302600_NS6detail15normal_iteratorINSA_10device_ptrIsEEEEPS6_NSA_18transform_iteratorI7is_evenIsESF_NSA_11use_defaultESK_EENS0_5tupleIJSF_NSA_16discard_iteratorISK_EEEEENSM_IJSG_SG_EEES6_PlJS6_EEE10hipError_tPvRmT3_T4_T5_T6_T7_T9_mT8_P12ihipStream_tbDpT10_ENKUlT_T0_E_clISt17integral_constantIbLb1EES1A_IbLb0EEEEDaS16_S17_EUlS16_E_NS1_11comp_targetILNS1_3genE0ELNS1_11target_archE4294967295ELNS1_3gpuE0ELNS1_3repE0EEENS1_30default_config_static_selectorELNS0_4arch9wavefront6targetE1EEEvT1_
    .private_segment_fixed_size: 0
    .sgpr_count:     6
    .sgpr_spill_count: 0
    .symbol:         _ZN7rocprim17ROCPRIM_400000_NS6detail17trampoline_kernelINS0_14default_configENS1_25partition_config_selectorILNS1_17partition_subalgoE1EsNS0_10empty_typeEbEEZZNS1_14partition_implILS5_1ELb0ES3_jN6thrust23THRUST_200600_302600_NS6detail15normal_iteratorINSA_10device_ptrIsEEEEPS6_NSA_18transform_iteratorI7is_evenIsESF_NSA_11use_defaultESK_EENS0_5tupleIJSF_NSA_16discard_iteratorISK_EEEEENSM_IJSG_SG_EEES6_PlJS6_EEE10hipError_tPvRmT3_T4_T5_T6_T7_T9_mT8_P12ihipStream_tbDpT10_ENKUlT_T0_E_clISt17integral_constantIbLb1EES1A_IbLb0EEEEDaS16_S17_EUlS16_E_NS1_11comp_targetILNS1_3genE0ELNS1_11target_archE4294967295ELNS1_3gpuE0ELNS1_3repE0EEENS1_30default_config_static_selectorELNS0_4arch9wavefront6targetE1EEEvT1_.kd
    .uniform_work_group_size: 1
    .uses_dynamic_stack: false
    .vgpr_count:     0
    .vgpr_spill_count: 0
    .wavefront_size: 64
  - .agpr_count:     0
    .args:
      - .offset:         0
        .size:           136
        .value_kind:     by_value
    .group_segment_fixed_size: 28680
    .kernarg_segment_align: 8
    .kernarg_segment_size: 136
    .language:       OpenCL C
    .language_version:
      - 2
      - 0
    .max_flat_workgroup_size: 512
    .name:           _ZN7rocprim17ROCPRIM_400000_NS6detail17trampoline_kernelINS0_14default_configENS1_25partition_config_selectorILNS1_17partition_subalgoE1EsNS0_10empty_typeEbEEZZNS1_14partition_implILS5_1ELb0ES3_jN6thrust23THRUST_200600_302600_NS6detail15normal_iteratorINSA_10device_ptrIsEEEEPS6_NSA_18transform_iteratorI7is_evenIsESF_NSA_11use_defaultESK_EENS0_5tupleIJSF_NSA_16discard_iteratorISK_EEEEENSM_IJSG_SG_EEES6_PlJS6_EEE10hipError_tPvRmT3_T4_T5_T6_T7_T9_mT8_P12ihipStream_tbDpT10_ENKUlT_T0_E_clISt17integral_constantIbLb1EES1A_IbLb0EEEEDaS16_S17_EUlS16_E_NS1_11comp_targetILNS1_3genE5ELNS1_11target_archE942ELNS1_3gpuE9ELNS1_3repE0EEENS1_30default_config_static_selectorELNS0_4arch9wavefront6targetE1EEEvT1_
    .private_segment_fixed_size: 0
    .sgpr_count:     46
    .sgpr_spill_count: 0
    .symbol:         _ZN7rocprim17ROCPRIM_400000_NS6detail17trampoline_kernelINS0_14default_configENS1_25partition_config_selectorILNS1_17partition_subalgoE1EsNS0_10empty_typeEbEEZZNS1_14partition_implILS5_1ELb0ES3_jN6thrust23THRUST_200600_302600_NS6detail15normal_iteratorINSA_10device_ptrIsEEEEPS6_NSA_18transform_iteratorI7is_evenIsESF_NSA_11use_defaultESK_EENS0_5tupleIJSF_NSA_16discard_iteratorISK_EEEEENSM_IJSG_SG_EEES6_PlJS6_EEE10hipError_tPvRmT3_T4_T5_T6_T7_T9_mT8_P12ihipStream_tbDpT10_ENKUlT_T0_E_clISt17integral_constantIbLb1EES1A_IbLb0EEEEDaS16_S17_EUlS16_E_NS1_11comp_targetILNS1_3genE5ELNS1_11target_archE942ELNS1_3gpuE9ELNS1_3repE0EEENS1_30default_config_static_selectorELNS0_4arch9wavefront6targetE1EEEvT1_.kd
    .uniform_work_group_size: 1
    .uses_dynamic_stack: false
    .vgpr_count:     79
    .vgpr_spill_count: 0
    .wavefront_size: 64
  - .agpr_count:     0
    .args:
      - .offset:         0
        .size:           136
        .value_kind:     by_value
    .group_segment_fixed_size: 0
    .kernarg_segment_align: 8
    .kernarg_segment_size: 136
    .language:       OpenCL C
    .language_version:
      - 2
      - 0
    .max_flat_workgroup_size: 256
    .name:           _ZN7rocprim17ROCPRIM_400000_NS6detail17trampoline_kernelINS0_14default_configENS1_25partition_config_selectorILNS1_17partition_subalgoE1EsNS0_10empty_typeEbEEZZNS1_14partition_implILS5_1ELb0ES3_jN6thrust23THRUST_200600_302600_NS6detail15normal_iteratorINSA_10device_ptrIsEEEEPS6_NSA_18transform_iteratorI7is_evenIsESF_NSA_11use_defaultESK_EENS0_5tupleIJSF_NSA_16discard_iteratorISK_EEEEENSM_IJSG_SG_EEES6_PlJS6_EEE10hipError_tPvRmT3_T4_T5_T6_T7_T9_mT8_P12ihipStream_tbDpT10_ENKUlT_T0_E_clISt17integral_constantIbLb1EES1A_IbLb0EEEEDaS16_S17_EUlS16_E_NS1_11comp_targetILNS1_3genE4ELNS1_11target_archE910ELNS1_3gpuE8ELNS1_3repE0EEENS1_30default_config_static_selectorELNS0_4arch9wavefront6targetE1EEEvT1_
    .private_segment_fixed_size: 0
    .sgpr_count:     6
    .sgpr_spill_count: 0
    .symbol:         _ZN7rocprim17ROCPRIM_400000_NS6detail17trampoline_kernelINS0_14default_configENS1_25partition_config_selectorILNS1_17partition_subalgoE1EsNS0_10empty_typeEbEEZZNS1_14partition_implILS5_1ELb0ES3_jN6thrust23THRUST_200600_302600_NS6detail15normal_iteratorINSA_10device_ptrIsEEEEPS6_NSA_18transform_iteratorI7is_evenIsESF_NSA_11use_defaultESK_EENS0_5tupleIJSF_NSA_16discard_iteratorISK_EEEEENSM_IJSG_SG_EEES6_PlJS6_EEE10hipError_tPvRmT3_T4_T5_T6_T7_T9_mT8_P12ihipStream_tbDpT10_ENKUlT_T0_E_clISt17integral_constantIbLb1EES1A_IbLb0EEEEDaS16_S17_EUlS16_E_NS1_11comp_targetILNS1_3genE4ELNS1_11target_archE910ELNS1_3gpuE8ELNS1_3repE0EEENS1_30default_config_static_selectorELNS0_4arch9wavefront6targetE1EEEvT1_.kd
    .uniform_work_group_size: 1
    .uses_dynamic_stack: false
    .vgpr_count:     0
    .vgpr_spill_count: 0
    .wavefront_size: 64
  - .agpr_count:     0
    .args:
      - .offset:         0
        .size:           136
        .value_kind:     by_value
    .group_segment_fixed_size: 0
    .kernarg_segment_align: 8
    .kernarg_segment_size: 136
    .language:       OpenCL C
    .language_version:
      - 2
      - 0
    .max_flat_workgroup_size: 256
    .name:           _ZN7rocprim17ROCPRIM_400000_NS6detail17trampoline_kernelINS0_14default_configENS1_25partition_config_selectorILNS1_17partition_subalgoE1EsNS0_10empty_typeEbEEZZNS1_14partition_implILS5_1ELb0ES3_jN6thrust23THRUST_200600_302600_NS6detail15normal_iteratorINSA_10device_ptrIsEEEEPS6_NSA_18transform_iteratorI7is_evenIsESF_NSA_11use_defaultESK_EENS0_5tupleIJSF_NSA_16discard_iteratorISK_EEEEENSM_IJSG_SG_EEES6_PlJS6_EEE10hipError_tPvRmT3_T4_T5_T6_T7_T9_mT8_P12ihipStream_tbDpT10_ENKUlT_T0_E_clISt17integral_constantIbLb1EES1A_IbLb0EEEEDaS16_S17_EUlS16_E_NS1_11comp_targetILNS1_3genE3ELNS1_11target_archE908ELNS1_3gpuE7ELNS1_3repE0EEENS1_30default_config_static_selectorELNS0_4arch9wavefront6targetE1EEEvT1_
    .private_segment_fixed_size: 0
    .sgpr_count:     6
    .sgpr_spill_count: 0
    .symbol:         _ZN7rocprim17ROCPRIM_400000_NS6detail17trampoline_kernelINS0_14default_configENS1_25partition_config_selectorILNS1_17partition_subalgoE1EsNS0_10empty_typeEbEEZZNS1_14partition_implILS5_1ELb0ES3_jN6thrust23THRUST_200600_302600_NS6detail15normal_iteratorINSA_10device_ptrIsEEEEPS6_NSA_18transform_iteratorI7is_evenIsESF_NSA_11use_defaultESK_EENS0_5tupleIJSF_NSA_16discard_iteratorISK_EEEEENSM_IJSG_SG_EEES6_PlJS6_EEE10hipError_tPvRmT3_T4_T5_T6_T7_T9_mT8_P12ihipStream_tbDpT10_ENKUlT_T0_E_clISt17integral_constantIbLb1EES1A_IbLb0EEEEDaS16_S17_EUlS16_E_NS1_11comp_targetILNS1_3genE3ELNS1_11target_archE908ELNS1_3gpuE7ELNS1_3repE0EEENS1_30default_config_static_selectorELNS0_4arch9wavefront6targetE1EEEvT1_.kd
    .uniform_work_group_size: 1
    .uses_dynamic_stack: false
    .vgpr_count:     0
    .vgpr_spill_count: 0
    .wavefront_size: 64
  - .agpr_count:     0
    .args:
      - .offset:         0
        .size:           136
        .value_kind:     by_value
    .group_segment_fixed_size: 0
    .kernarg_segment_align: 8
    .kernarg_segment_size: 136
    .language:       OpenCL C
    .language_version:
      - 2
      - 0
    .max_flat_workgroup_size: 256
    .name:           _ZN7rocprim17ROCPRIM_400000_NS6detail17trampoline_kernelINS0_14default_configENS1_25partition_config_selectorILNS1_17partition_subalgoE1EsNS0_10empty_typeEbEEZZNS1_14partition_implILS5_1ELb0ES3_jN6thrust23THRUST_200600_302600_NS6detail15normal_iteratorINSA_10device_ptrIsEEEEPS6_NSA_18transform_iteratorI7is_evenIsESF_NSA_11use_defaultESK_EENS0_5tupleIJSF_NSA_16discard_iteratorISK_EEEEENSM_IJSG_SG_EEES6_PlJS6_EEE10hipError_tPvRmT3_T4_T5_T6_T7_T9_mT8_P12ihipStream_tbDpT10_ENKUlT_T0_E_clISt17integral_constantIbLb1EES1A_IbLb0EEEEDaS16_S17_EUlS16_E_NS1_11comp_targetILNS1_3genE2ELNS1_11target_archE906ELNS1_3gpuE6ELNS1_3repE0EEENS1_30default_config_static_selectorELNS0_4arch9wavefront6targetE1EEEvT1_
    .private_segment_fixed_size: 0
    .sgpr_count:     6
    .sgpr_spill_count: 0
    .symbol:         _ZN7rocprim17ROCPRIM_400000_NS6detail17trampoline_kernelINS0_14default_configENS1_25partition_config_selectorILNS1_17partition_subalgoE1EsNS0_10empty_typeEbEEZZNS1_14partition_implILS5_1ELb0ES3_jN6thrust23THRUST_200600_302600_NS6detail15normal_iteratorINSA_10device_ptrIsEEEEPS6_NSA_18transform_iteratorI7is_evenIsESF_NSA_11use_defaultESK_EENS0_5tupleIJSF_NSA_16discard_iteratorISK_EEEEENSM_IJSG_SG_EEES6_PlJS6_EEE10hipError_tPvRmT3_T4_T5_T6_T7_T9_mT8_P12ihipStream_tbDpT10_ENKUlT_T0_E_clISt17integral_constantIbLb1EES1A_IbLb0EEEEDaS16_S17_EUlS16_E_NS1_11comp_targetILNS1_3genE2ELNS1_11target_archE906ELNS1_3gpuE6ELNS1_3repE0EEENS1_30default_config_static_selectorELNS0_4arch9wavefront6targetE1EEEvT1_.kd
    .uniform_work_group_size: 1
    .uses_dynamic_stack: false
    .vgpr_count:     0
    .vgpr_spill_count: 0
    .wavefront_size: 64
  - .agpr_count:     0
    .args:
      - .offset:         0
        .size:           136
        .value_kind:     by_value
    .group_segment_fixed_size: 0
    .kernarg_segment_align: 8
    .kernarg_segment_size: 136
    .language:       OpenCL C
    .language_version:
      - 2
      - 0
    .max_flat_workgroup_size: 384
    .name:           _ZN7rocprim17ROCPRIM_400000_NS6detail17trampoline_kernelINS0_14default_configENS1_25partition_config_selectorILNS1_17partition_subalgoE1EsNS0_10empty_typeEbEEZZNS1_14partition_implILS5_1ELb0ES3_jN6thrust23THRUST_200600_302600_NS6detail15normal_iteratorINSA_10device_ptrIsEEEEPS6_NSA_18transform_iteratorI7is_evenIsESF_NSA_11use_defaultESK_EENS0_5tupleIJSF_NSA_16discard_iteratorISK_EEEEENSM_IJSG_SG_EEES6_PlJS6_EEE10hipError_tPvRmT3_T4_T5_T6_T7_T9_mT8_P12ihipStream_tbDpT10_ENKUlT_T0_E_clISt17integral_constantIbLb1EES1A_IbLb0EEEEDaS16_S17_EUlS16_E_NS1_11comp_targetILNS1_3genE10ELNS1_11target_archE1200ELNS1_3gpuE4ELNS1_3repE0EEENS1_30default_config_static_selectorELNS0_4arch9wavefront6targetE1EEEvT1_
    .private_segment_fixed_size: 0
    .sgpr_count:     6
    .sgpr_spill_count: 0
    .symbol:         _ZN7rocprim17ROCPRIM_400000_NS6detail17trampoline_kernelINS0_14default_configENS1_25partition_config_selectorILNS1_17partition_subalgoE1EsNS0_10empty_typeEbEEZZNS1_14partition_implILS5_1ELb0ES3_jN6thrust23THRUST_200600_302600_NS6detail15normal_iteratorINSA_10device_ptrIsEEEEPS6_NSA_18transform_iteratorI7is_evenIsESF_NSA_11use_defaultESK_EENS0_5tupleIJSF_NSA_16discard_iteratorISK_EEEEENSM_IJSG_SG_EEES6_PlJS6_EEE10hipError_tPvRmT3_T4_T5_T6_T7_T9_mT8_P12ihipStream_tbDpT10_ENKUlT_T0_E_clISt17integral_constantIbLb1EES1A_IbLb0EEEEDaS16_S17_EUlS16_E_NS1_11comp_targetILNS1_3genE10ELNS1_11target_archE1200ELNS1_3gpuE4ELNS1_3repE0EEENS1_30default_config_static_selectorELNS0_4arch9wavefront6targetE1EEEvT1_.kd
    .uniform_work_group_size: 1
    .uses_dynamic_stack: false
    .vgpr_count:     0
    .vgpr_spill_count: 0
    .wavefront_size: 64
  - .agpr_count:     0
    .args:
      - .offset:         0
        .size:           136
        .value_kind:     by_value
    .group_segment_fixed_size: 0
    .kernarg_segment_align: 8
    .kernarg_segment_size: 136
    .language:       OpenCL C
    .language_version:
      - 2
      - 0
    .max_flat_workgroup_size: 128
    .name:           _ZN7rocprim17ROCPRIM_400000_NS6detail17trampoline_kernelINS0_14default_configENS1_25partition_config_selectorILNS1_17partition_subalgoE1EsNS0_10empty_typeEbEEZZNS1_14partition_implILS5_1ELb0ES3_jN6thrust23THRUST_200600_302600_NS6detail15normal_iteratorINSA_10device_ptrIsEEEEPS6_NSA_18transform_iteratorI7is_evenIsESF_NSA_11use_defaultESK_EENS0_5tupleIJSF_NSA_16discard_iteratorISK_EEEEENSM_IJSG_SG_EEES6_PlJS6_EEE10hipError_tPvRmT3_T4_T5_T6_T7_T9_mT8_P12ihipStream_tbDpT10_ENKUlT_T0_E_clISt17integral_constantIbLb1EES1A_IbLb0EEEEDaS16_S17_EUlS16_E_NS1_11comp_targetILNS1_3genE9ELNS1_11target_archE1100ELNS1_3gpuE3ELNS1_3repE0EEENS1_30default_config_static_selectorELNS0_4arch9wavefront6targetE1EEEvT1_
    .private_segment_fixed_size: 0
    .sgpr_count:     6
    .sgpr_spill_count: 0
    .symbol:         _ZN7rocprim17ROCPRIM_400000_NS6detail17trampoline_kernelINS0_14default_configENS1_25partition_config_selectorILNS1_17partition_subalgoE1EsNS0_10empty_typeEbEEZZNS1_14partition_implILS5_1ELb0ES3_jN6thrust23THRUST_200600_302600_NS6detail15normal_iteratorINSA_10device_ptrIsEEEEPS6_NSA_18transform_iteratorI7is_evenIsESF_NSA_11use_defaultESK_EENS0_5tupleIJSF_NSA_16discard_iteratorISK_EEEEENSM_IJSG_SG_EEES6_PlJS6_EEE10hipError_tPvRmT3_T4_T5_T6_T7_T9_mT8_P12ihipStream_tbDpT10_ENKUlT_T0_E_clISt17integral_constantIbLb1EES1A_IbLb0EEEEDaS16_S17_EUlS16_E_NS1_11comp_targetILNS1_3genE9ELNS1_11target_archE1100ELNS1_3gpuE3ELNS1_3repE0EEENS1_30default_config_static_selectorELNS0_4arch9wavefront6targetE1EEEvT1_.kd
    .uniform_work_group_size: 1
    .uses_dynamic_stack: false
    .vgpr_count:     0
    .vgpr_spill_count: 0
    .wavefront_size: 64
  - .agpr_count:     0
    .args:
      - .offset:         0
        .size:           136
        .value_kind:     by_value
    .group_segment_fixed_size: 0
    .kernarg_segment_align: 8
    .kernarg_segment_size: 136
    .language:       OpenCL C
    .language_version:
      - 2
      - 0
    .max_flat_workgroup_size: 512
    .name:           _ZN7rocprim17ROCPRIM_400000_NS6detail17trampoline_kernelINS0_14default_configENS1_25partition_config_selectorILNS1_17partition_subalgoE1EsNS0_10empty_typeEbEEZZNS1_14partition_implILS5_1ELb0ES3_jN6thrust23THRUST_200600_302600_NS6detail15normal_iteratorINSA_10device_ptrIsEEEEPS6_NSA_18transform_iteratorI7is_evenIsESF_NSA_11use_defaultESK_EENS0_5tupleIJSF_NSA_16discard_iteratorISK_EEEEENSM_IJSG_SG_EEES6_PlJS6_EEE10hipError_tPvRmT3_T4_T5_T6_T7_T9_mT8_P12ihipStream_tbDpT10_ENKUlT_T0_E_clISt17integral_constantIbLb1EES1A_IbLb0EEEEDaS16_S17_EUlS16_E_NS1_11comp_targetILNS1_3genE8ELNS1_11target_archE1030ELNS1_3gpuE2ELNS1_3repE0EEENS1_30default_config_static_selectorELNS0_4arch9wavefront6targetE1EEEvT1_
    .private_segment_fixed_size: 0
    .sgpr_count:     6
    .sgpr_spill_count: 0
    .symbol:         _ZN7rocprim17ROCPRIM_400000_NS6detail17trampoline_kernelINS0_14default_configENS1_25partition_config_selectorILNS1_17partition_subalgoE1EsNS0_10empty_typeEbEEZZNS1_14partition_implILS5_1ELb0ES3_jN6thrust23THRUST_200600_302600_NS6detail15normal_iteratorINSA_10device_ptrIsEEEEPS6_NSA_18transform_iteratorI7is_evenIsESF_NSA_11use_defaultESK_EENS0_5tupleIJSF_NSA_16discard_iteratorISK_EEEEENSM_IJSG_SG_EEES6_PlJS6_EEE10hipError_tPvRmT3_T4_T5_T6_T7_T9_mT8_P12ihipStream_tbDpT10_ENKUlT_T0_E_clISt17integral_constantIbLb1EES1A_IbLb0EEEEDaS16_S17_EUlS16_E_NS1_11comp_targetILNS1_3genE8ELNS1_11target_archE1030ELNS1_3gpuE2ELNS1_3repE0EEENS1_30default_config_static_selectorELNS0_4arch9wavefront6targetE1EEEvT1_.kd
    .uniform_work_group_size: 1
    .uses_dynamic_stack: false
    .vgpr_count:     0
    .vgpr_spill_count: 0
    .wavefront_size: 64
  - .agpr_count:     0
    .args:
      - .offset:         0
        .size:           152
        .value_kind:     by_value
    .group_segment_fixed_size: 0
    .kernarg_segment_align: 8
    .kernarg_segment_size: 152
    .language:       OpenCL C
    .language_version:
      - 2
      - 0
    .max_flat_workgroup_size: 256
    .name:           _ZN7rocprim17ROCPRIM_400000_NS6detail17trampoline_kernelINS0_14default_configENS1_25partition_config_selectorILNS1_17partition_subalgoE1EsNS0_10empty_typeEbEEZZNS1_14partition_implILS5_1ELb0ES3_jN6thrust23THRUST_200600_302600_NS6detail15normal_iteratorINSA_10device_ptrIsEEEEPS6_NSA_18transform_iteratorI7is_evenIsESF_NSA_11use_defaultESK_EENS0_5tupleIJSF_NSA_16discard_iteratorISK_EEEEENSM_IJSG_SG_EEES6_PlJS6_EEE10hipError_tPvRmT3_T4_T5_T6_T7_T9_mT8_P12ihipStream_tbDpT10_ENKUlT_T0_E_clISt17integral_constantIbLb0EES1A_IbLb1EEEEDaS16_S17_EUlS16_E_NS1_11comp_targetILNS1_3genE0ELNS1_11target_archE4294967295ELNS1_3gpuE0ELNS1_3repE0EEENS1_30default_config_static_selectorELNS0_4arch9wavefront6targetE1EEEvT1_
    .private_segment_fixed_size: 0
    .sgpr_count:     6
    .sgpr_spill_count: 0
    .symbol:         _ZN7rocprim17ROCPRIM_400000_NS6detail17trampoline_kernelINS0_14default_configENS1_25partition_config_selectorILNS1_17partition_subalgoE1EsNS0_10empty_typeEbEEZZNS1_14partition_implILS5_1ELb0ES3_jN6thrust23THRUST_200600_302600_NS6detail15normal_iteratorINSA_10device_ptrIsEEEEPS6_NSA_18transform_iteratorI7is_evenIsESF_NSA_11use_defaultESK_EENS0_5tupleIJSF_NSA_16discard_iteratorISK_EEEEENSM_IJSG_SG_EEES6_PlJS6_EEE10hipError_tPvRmT3_T4_T5_T6_T7_T9_mT8_P12ihipStream_tbDpT10_ENKUlT_T0_E_clISt17integral_constantIbLb0EES1A_IbLb1EEEEDaS16_S17_EUlS16_E_NS1_11comp_targetILNS1_3genE0ELNS1_11target_archE4294967295ELNS1_3gpuE0ELNS1_3repE0EEENS1_30default_config_static_selectorELNS0_4arch9wavefront6targetE1EEEvT1_.kd
    .uniform_work_group_size: 1
    .uses_dynamic_stack: false
    .vgpr_count:     0
    .vgpr_spill_count: 0
    .wavefront_size: 64
  - .agpr_count:     0
    .args:
      - .offset:         0
        .size:           152
        .value_kind:     by_value
    .group_segment_fixed_size: 28680
    .kernarg_segment_align: 8
    .kernarg_segment_size: 152
    .language:       OpenCL C
    .language_version:
      - 2
      - 0
    .max_flat_workgroup_size: 512
    .name:           _ZN7rocprim17ROCPRIM_400000_NS6detail17trampoline_kernelINS0_14default_configENS1_25partition_config_selectorILNS1_17partition_subalgoE1EsNS0_10empty_typeEbEEZZNS1_14partition_implILS5_1ELb0ES3_jN6thrust23THRUST_200600_302600_NS6detail15normal_iteratorINSA_10device_ptrIsEEEEPS6_NSA_18transform_iteratorI7is_evenIsESF_NSA_11use_defaultESK_EENS0_5tupleIJSF_NSA_16discard_iteratorISK_EEEEENSM_IJSG_SG_EEES6_PlJS6_EEE10hipError_tPvRmT3_T4_T5_T6_T7_T9_mT8_P12ihipStream_tbDpT10_ENKUlT_T0_E_clISt17integral_constantIbLb0EES1A_IbLb1EEEEDaS16_S17_EUlS16_E_NS1_11comp_targetILNS1_3genE5ELNS1_11target_archE942ELNS1_3gpuE9ELNS1_3repE0EEENS1_30default_config_static_selectorELNS0_4arch9wavefront6targetE1EEEvT1_
    .private_segment_fixed_size: 0
    .sgpr_count:     46
    .sgpr_spill_count: 0
    .symbol:         _ZN7rocprim17ROCPRIM_400000_NS6detail17trampoline_kernelINS0_14default_configENS1_25partition_config_selectorILNS1_17partition_subalgoE1EsNS0_10empty_typeEbEEZZNS1_14partition_implILS5_1ELb0ES3_jN6thrust23THRUST_200600_302600_NS6detail15normal_iteratorINSA_10device_ptrIsEEEEPS6_NSA_18transform_iteratorI7is_evenIsESF_NSA_11use_defaultESK_EENS0_5tupleIJSF_NSA_16discard_iteratorISK_EEEEENSM_IJSG_SG_EEES6_PlJS6_EEE10hipError_tPvRmT3_T4_T5_T6_T7_T9_mT8_P12ihipStream_tbDpT10_ENKUlT_T0_E_clISt17integral_constantIbLb0EES1A_IbLb1EEEEDaS16_S17_EUlS16_E_NS1_11comp_targetILNS1_3genE5ELNS1_11target_archE942ELNS1_3gpuE9ELNS1_3repE0EEENS1_30default_config_static_selectorELNS0_4arch9wavefront6targetE1EEEvT1_.kd
    .uniform_work_group_size: 1
    .uses_dynamic_stack: false
    .vgpr_count:     81
    .vgpr_spill_count: 0
    .wavefront_size: 64
  - .agpr_count:     0
    .args:
      - .offset:         0
        .size:           152
        .value_kind:     by_value
    .group_segment_fixed_size: 0
    .kernarg_segment_align: 8
    .kernarg_segment_size: 152
    .language:       OpenCL C
    .language_version:
      - 2
      - 0
    .max_flat_workgroup_size: 256
    .name:           _ZN7rocprim17ROCPRIM_400000_NS6detail17trampoline_kernelINS0_14default_configENS1_25partition_config_selectorILNS1_17partition_subalgoE1EsNS0_10empty_typeEbEEZZNS1_14partition_implILS5_1ELb0ES3_jN6thrust23THRUST_200600_302600_NS6detail15normal_iteratorINSA_10device_ptrIsEEEEPS6_NSA_18transform_iteratorI7is_evenIsESF_NSA_11use_defaultESK_EENS0_5tupleIJSF_NSA_16discard_iteratorISK_EEEEENSM_IJSG_SG_EEES6_PlJS6_EEE10hipError_tPvRmT3_T4_T5_T6_T7_T9_mT8_P12ihipStream_tbDpT10_ENKUlT_T0_E_clISt17integral_constantIbLb0EES1A_IbLb1EEEEDaS16_S17_EUlS16_E_NS1_11comp_targetILNS1_3genE4ELNS1_11target_archE910ELNS1_3gpuE8ELNS1_3repE0EEENS1_30default_config_static_selectorELNS0_4arch9wavefront6targetE1EEEvT1_
    .private_segment_fixed_size: 0
    .sgpr_count:     6
    .sgpr_spill_count: 0
    .symbol:         _ZN7rocprim17ROCPRIM_400000_NS6detail17trampoline_kernelINS0_14default_configENS1_25partition_config_selectorILNS1_17partition_subalgoE1EsNS0_10empty_typeEbEEZZNS1_14partition_implILS5_1ELb0ES3_jN6thrust23THRUST_200600_302600_NS6detail15normal_iteratorINSA_10device_ptrIsEEEEPS6_NSA_18transform_iteratorI7is_evenIsESF_NSA_11use_defaultESK_EENS0_5tupleIJSF_NSA_16discard_iteratorISK_EEEEENSM_IJSG_SG_EEES6_PlJS6_EEE10hipError_tPvRmT3_T4_T5_T6_T7_T9_mT8_P12ihipStream_tbDpT10_ENKUlT_T0_E_clISt17integral_constantIbLb0EES1A_IbLb1EEEEDaS16_S17_EUlS16_E_NS1_11comp_targetILNS1_3genE4ELNS1_11target_archE910ELNS1_3gpuE8ELNS1_3repE0EEENS1_30default_config_static_selectorELNS0_4arch9wavefront6targetE1EEEvT1_.kd
    .uniform_work_group_size: 1
    .uses_dynamic_stack: false
    .vgpr_count:     0
    .vgpr_spill_count: 0
    .wavefront_size: 64
  - .agpr_count:     0
    .args:
      - .offset:         0
        .size:           152
        .value_kind:     by_value
    .group_segment_fixed_size: 0
    .kernarg_segment_align: 8
    .kernarg_segment_size: 152
    .language:       OpenCL C
    .language_version:
      - 2
      - 0
    .max_flat_workgroup_size: 256
    .name:           _ZN7rocprim17ROCPRIM_400000_NS6detail17trampoline_kernelINS0_14default_configENS1_25partition_config_selectorILNS1_17partition_subalgoE1EsNS0_10empty_typeEbEEZZNS1_14partition_implILS5_1ELb0ES3_jN6thrust23THRUST_200600_302600_NS6detail15normal_iteratorINSA_10device_ptrIsEEEEPS6_NSA_18transform_iteratorI7is_evenIsESF_NSA_11use_defaultESK_EENS0_5tupleIJSF_NSA_16discard_iteratorISK_EEEEENSM_IJSG_SG_EEES6_PlJS6_EEE10hipError_tPvRmT3_T4_T5_T6_T7_T9_mT8_P12ihipStream_tbDpT10_ENKUlT_T0_E_clISt17integral_constantIbLb0EES1A_IbLb1EEEEDaS16_S17_EUlS16_E_NS1_11comp_targetILNS1_3genE3ELNS1_11target_archE908ELNS1_3gpuE7ELNS1_3repE0EEENS1_30default_config_static_selectorELNS0_4arch9wavefront6targetE1EEEvT1_
    .private_segment_fixed_size: 0
    .sgpr_count:     6
    .sgpr_spill_count: 0
    .symbol:         _ZN7rocprim17ROCPRIM_400000_NS6detail17trampoline_kernelINS0_14default_configENS1_25partition_config_selectorILNS1_17partition_subalgoE1EsNS0_10empty_typeEbEEZZNS1_14partition_implILS5_1ELb0ES3_jN6thrust23THRUST_200600_302600_NS6detail15normal_iteratorINSA_10device_ptrIsEEEEPS6_NSA_18transform_iteratorI7is_evenIsESF_NSA_11use_defaultESK_EENS0_5tupleIJSF_NSA_16discard_iteratorISK_EEEEENSM_IJSG_SG_EEES6_PlJS6_EEE10hipError_tPvRmT3_T4_T5_T6_T7_T9_mT8_P12ihipStream_tbDpT10_ENKUlT_T0_E_clISt17integral_constantIbLb0EES1A_IbLb1EEEEDaS16_S17_EUlS16_E_NS1_11comp_targetILNS1_3genE3ELNS1_11target_archE908ELNS1_3gpuE7ELNS1_3repE0EEENS1_30default_config_static_selectorELNS0_4arch9wavefront6targetE1EEEvT1_.kd
    .uniform_work_group_size: 1
    .uses_dynamic_stack: false
    .vgpr_count:     0
    .vgpr_spill_count: 0
    .wavefront_size: 64
  - .agpr_count:     0
    .args:
      - .offset:         0
        .size:           152
        .value_kind:     by_value
    .group_segment_fixed_size: 0
    .kernarg_segment_align: 8
    .kernarg_segment_size: 152
    .language:       OpenCL C
    .language_version:
      - 2
      - 0
    .max_flat_workgroup_size: 256
    .name:           _ZN7rocprim17ROCPRIM_400000_NS6detail17trampoline_kernelINS0_14default_configENS1_25partition_config_selectorILNS1_17partition_subalgoE1EsNS0_10empty_typeEbEEZZNS1_14partition_implILS5_1ELb0ES3_jN6thrust23THRUST_200600_302600_NS6detail15normal_iteratorINSA_10device_ptrIsEEEEPS6_NSA_18transform_iteratorI7is_evenIsESF_NSA_11use_defaultESK_EENS0_5tupleIJSF_NSA_16discard_iteratorISK_EEEEENSM_IJSG_SG_EEES6_PlJS6_EEE10hipError_tPvRmT3_T4_T5_T6_T7_T9_mT8_P12ihipStream_tbDpT10_ENKUlT_T0_E_clISt17integral_constantIbLb0EES1A_IbLb1EEEEDaS16_S17_EUlS16_E_NS1_11comp_targetILNS1_3genE2ELNS1_11target_archE906ELNS1_3gpuE6ELNS1_3repE0EEENS1_30default_config_static_selectorELNS0_4arch9wavefront6targetE1EEEvT1_
    .private_segment_fixed_size: 0
    .sgpr_count:     6
    .sgpr_spill_count: 0
    .symbol:         _ZN7rocprim17ROCPRIM_400000_NS6detail17trampoline_kernelINS0_14default_configENS1_25partition_config_selectorILNS1_17partition_subalgoE1EsNS0_10empty_typeEbEEZZNS1_14partition_implILS5_1ELb0ES3_jN6thrust23THRUST_200600_302600_NS6detail15normal_iteratorINSA_10device_ptrIsEEEEPS6_NSA_18transform_iteratorI7is_evenIsESF_NSA_11use_defaultESK_EENS0_5tupleIJSF_NSA_16discard_iteratorISK_EEEEENSM_IJSG_SG_EEES6_PlJS6_EEE10hipError_tPvRmT3_T4_T5_T6_T7_T9_mT8_P12ihipStream_tbDpT10_ENKUlT_T0_E_clISt17integral_constantIbLb0EES1A_IbLb1EEEEDaS16_S17_EUlS16_E_NS1_11comp_targetILNS1_3genE2ELNS1_11target_archE906ELNS1_3gpuE6ELNS1_3repE0EEENS1_30default_config_static_selectorELNS0_4arch9wavefront6targetE1EEEvT1_.kd
    .uniform_work_group_size: 1
    .uses_dynamic_stack: false
    .vgpr_count:     0
    .vgpr_spill_count: 0
    .wavefront_size: 64
  - .agpr_count:     0
    .args:
      - .offset:         0
        .size:           152
        .value_kind:     by_value
    .group_segment_fixed_size: 0
    .kernarg_segment_align: 8
    .kernarg_segment_size: 152
    .language:       OpenCL C
    .language_version:
      - 2
      - 0
    .max_flat_workgroup_size: 384
    .name:           _ZN7rocprim17ROCPRIM_400000_NS6detail17trampoline_kernelINS0_14default_configENS1_25partition_config_selectorILNS1_17partition_subalgoE1EsNS0_10empty_typeEbEEZZNS1_14partition_implILS5_1ELb0ES3_jN6thrust23THRUST_200600_302600_NS6detail15normal_iteratorINSA_10device_ptrIsEEEEPS6_NSA_18transform_iteratorI7is_evenIsESF_NSA_11use_defaultESK_EENS0_5tupleIJSF_NSA_16discard_iteratorISK_EEEEENSM_IJSG_SG_EEES6_PlJS6_EEE10hipError_tPvRmT3_T4_T5_T6_T7_T9_mT8_P12ihipStream_tbDpT10_ENKUlT_T0_E_clISt17integral_constantIbLb0EES1A_IbLb1EEEEDaS16_S17_EUlS16_E_NS1_11comp_targetILNS1_3genE10ELNS1_11target_archE1200ELNS1_3gpuE4ELNS1_3repE0EEENS1_30default_config_static_selectorELNS0_4arch9wavefront6targetE1EEEvT1_
    .private_segment_fixed_size: 0
    .sgpr_count:     6
    .sgpr_spill_count: 0
    .symbol:         _ZN7rocprim17ROCPRIM_400000_NS6detail17trampoline_kernelINS0_14default_configENS1_25partition_config_selectorILNS1_17partition_subalgoE1EsNS0_10empty_typeEbEEZZNS1_14partition_implILS5_1ELb0ES3_jN6thrust23THRUST_200600_302600_NS6detail15normal_iteratorINSA_10device_ptrIsEEEEPS6_NSA_18transform_iteratorI7is_evenIsESF_NSA_11use_defaultESK_EENS0_5tupleIJSF_NSA_16discard_iteratorISK_EEEEENSM_IJSG_SG_EEES6_PlJS6_EEE10hipError_tPvRmT3_T4_T5_T6_T7_T9_mT8_P12ihipStream_tbDpT10_ENKUlT_T0_E_clISt17integral_constantIbLb0EES1A_IbLb1EEEEDaS16_S17_EUlS16_E_NS1_11comp_targetILNS1_3genE10ELNS1_11target_archE1200ELNS1_3gpuE4ELNS1_3repE0EEENS1_30default_config_static_selectorELNS0_4arch9wavefront6targetE1EEEvT1_.kd
    .uniform_work_group_size: 1
    .uses_dynamic_stack: false
    .vgpr_count:     0
    .vgpr_spill_count: 0
    .wavefront_size: 64
  - .agpr_count:     0
    .args:
      - .offset:         0
        .size:           152
        .value_kind:     by_value
    .group_segment_fixed_size: 0
    .kernarg_segment_align: 8
    .kernarg_segment_size: 152
    .language:       OpenCL C
    .language_version:
      - 2
      - 0
    .max_flat_workgroup_size: 128
    .name:           _ZN7rocprim17ROCPRIM_400000_NS6detail17trampoline_kernelINS0_14default_configENS1_25partition_config_selectorILNS1_17partition_subalgoE1EsNS0_10empty_typeEbEEZZNS1_14partition_implILS5_1ELb0ES3_jN6thrust23THRUST_200600_302600_NS6detail15normal_iteratorINSA_10device_ptrIsEEEEPS6_NSA_18transform_iteratorI7is_evenIsESF_NSA_11use_defaultESK_EENS0_5tupleIJSF_NSA_16discard_iteratorISK_EEEEENSM_IJSG_SG_EEES6_PlJS6_EEE10hipError_tPvRmT3_T4_T5_T6_T7_T9_mT8_P12ihipStream_tbDpT10_ENKUlT_T0_E_clISt17integral_constantIbLb0EES1A_IbLb1EEEEDaS16_S17_EUlS16_E_NS1_11comp_targetILNS1_3genE9ELNS1_11target_archE1100ELNS1_3gpuE3ELNS1_3repE0EEENS1_30default_config_static_selectorELNS0_4arch9wavefront6targetE1EEEvT1_
    .private_segment_fixed_size: 0
    .sgpr_count:     6
    .sgpr_spill_count: 0
    .symbol:         _ZN7rocprim17ROCPRIM_400000_NS6detail17trampoline_kernelINS0_14default_configENS1_25partition_config_selectorILNS1_17partition_subalgoE1EsNS0_10empty_typeEbEEZZNS1_14partition_implILS5_1ELb0ES3_jN6thrust23THRUST_200600_302600_NS6detail15normal_iteratorINSA_10device_ptrIsEEEEPS6_NSA_18transform_iteratorI7is_evenIsESF_NSA_11use_defaultESK_EENS0_5tupleIJSF_NSA_16discard_iteratorISK_EEEEENSM_IJSG_SG_EEES6_PlJS6_EEE10hipError_tPvRmT3_T4_T5_T6_T7_T9_mT8_P12ihipStream_tbDpT10_ENKUlT_T0_E_clISt17integral_constantIbLb0EES1A_IbLb1EEEEDaS16_S17_EUlS16_E_NS1_11comp_targetILNS1_3genE9ELNS1_11target_archE1100ELNS1_3gpuE3ELNS1_3repE0EEENS1_30default_config_static_selectorELNS0_4arch9wavefront6targetE1EEEvT1_.kd
    .uniform_work_group_size: 1
    .uses_dynamic_stack: false
    .vgpr_count:     0
    .vgpr_spill_count: 0
    .wavefront_size: 64
  - .agpr_count:     0
    .args:
      - .offset:         0
        .size:           152
        .value_kind:     by_value
    .group_segment_fixed_size: 0
    .kernarg_segment_align: 8
    .kernarg_segment_size: 152
    .language:       OpenCL C
    .language_version:
      - 2
      - 0
    .max_flat_workgroup_size: 512
    .name:           _ZN7rocprim17ROCPRIM_400000_NS6detail17trampoline_kernelINS0_14default_configENS1_25partition_config_selectorILNS1_17partition_subalgoE1EsNS0_10empty_typeEbEEZZNS1_14partition_implILS5_1ELb0ES3_jN6thrust23THRUST_200600_302600_NS6detail15normal_iteratorINSA_10device_ptrIsEEEEPS6_NSA_18transform_iteratorI7is_evenIsESF_NSA_11use_defaultESK_EENS0_5tupleIJSF_NSA_16discard_iteratorISK_EEEEENSM_IJSG_SG_EEES6_PlJS6_EEE10hipError_tPvRmT3_T4_T5_T6_T7_T9_mT8_P12ihipStream_tbDpT10_ENKUlT_T0_E_clISt17integral_constantIbLb0EES1A_IbLb1EEEEDaS16_S17_EUlS16_E_NS1_11comp_targetILNS1_3genE8ELNS1_11target_archE1030ELNS1_3gpuE2ELNS1_3repE0EEENS1_30default_config_static_selectorELNS0_4arch9wavefront6targetE1EEEvT1_
    .private_segment_fixed_size: 0
    .sgpr_count:     6
    .sgpr_spill_count: 0
    .symbol:         _ZN7rocprim17ROCPRIM_400000_NS6detail17trampoline_kernelINS0_14default_configENS1_25partition_config_selectorILNS1_17partition_subalgoE1EsNS0_10empty_typeEbEEZZNS1_14partition_implILS5_1ELb0ES3_jN6thrust23THRUST_200600_302600_NS6detail15normal_iteratorINSA_10device_ptrIsEEEEPS6_NSA_18transform_iteratorI7is_evenIsESF_NSA_11use_defaultESK_EENS0_5tupleIJSF_NSA_16discard_iteratorISK_EEEEENSM_IJSG_SG_EEES6_PlJS6_EEE10hipError_tPvRmT3_T4_T5_T6_T7_T9_mT8_P12ihipStream_tbDpT10_ENKUlT_T0_E_clISt17integral_constantIbLb0EES1A_IbLb1EEEEDaS16_S17_EUlS16_E_NS1_11comp_targetILNS1_3genE8ELNS1_11target_archE1030ELNS1_3gpuE2ELNS1_3repE0EEENS1_30default_config_static_selectorELNS0_4arch9wavefront6targetE1EEEvT1_.kd
    .uniform_work_group_size: 1
    .uses_dynamic_stack: false
    .vgpr_count:     0
    .vgpr_spill_count: 0
    .wavefront_size: 64
  - .agpr_count:     0
    .args:
      - .offset:         0
        .size:           136
        .value_kind:     by_value
    .group_segment_fixed_size: 0
    .kernarg_segment_align: 8
    .kernarg_segment_size: 136
    .language:       OpenCL C
    .language_version:
      - 2
      - 0
    .max_flat_workgroup_size: 256
    .name:           _ZN7rocprim17ROCPRIM_400000_NS6detail17trampoline_kernelINS0_14default_configENS1_25partition_config_selectorILNS1_17partition_subalgoE1EsNS0_10empty_typeEbEEZZNS1_14partition_implILS5_1ELb0ES3_jN6thrust23THRUST_200600_302600_NS6detail15normal_iteratorINSA_10device_ptrIsEEEEPS6_NSA_18transform_iteratorI7is_evenIsESF_NSA_11use_defaultESK_EENS0_5tupleIJNSA_16discard_iteratorISK_EESF_EEENSM_IJSG_SG_EEES6_PlJS6_EEE10hipError_tPvRmT3_T4_T5_T6_T7_T9_mT8_P12ihipStream_tbDpT10_ENKUlT_T0_E_clISt17integral_constantIbLb0EES1B_EEDaS16_S17_EUlS16_E_NS1_11comp_targetILNS1_3genE0ELNS1_11target_archE4294967295ELNS1_3gpuE0ELNS1_3repE0EEENS1_30default_config_static_selectorELNS0_4arch9wavefront6targetE1EEEvT1_
    .private_segment_fixed_size: 0
    .sgpr_count:     6
    .sgpr_spill_count: 0
    .symbol:         _ZN7rocprim17ROCPRIM_400000_NS6detail17trampoline_kernelINS0_14default_configENS1_25partition_config_selectorILNS1_17partition_subalgoE1EsNS0_10empty_typeEbEEZZNS1_14partition_implILS5_1ELb0ES3_jN6thrust23THRUST_200600_302600_NS6detail15normal_iteratorINSA_10device_ptrIsEEEEPS6_NSA_18transform_iteratorI7is_evenIsESF_NSA_11use_defaultESK_EENS0_5tupleIJNSA_16discard_iteratorISK_EESF_EEENSM_IJSG_SG_EEES6_PlJS6_EEE10hipError_tPvRmT3_T4_T5_T6_T7_T9_mT8_P12ihipStream_tbDpT10_ENKUlT_T0_E_clISt17integral_constantIbLb0EES1B_EEDaS16_S17_EUlS16_E_NS1_11comp_targetILNS1_3genE0ELNS1_11target_archE4294967295ELNS1_3gpuE0ELNS1_3repE0EEENS1_30default_config_static_selectorELNS0_4arch9wavefront6targetE1EEEvT1_.kd
    .uniform_work_group_size: 1
    .uses_dynamic_stack: false
    .vgpr_count:     0
    .vgpr_spill_count: 0
    .wavefront_size: 64
  - .agpr_count:     0
    .args:
      - .offset:         0
        .size:           136
        .value_kind:     by_value
    .group_segment_fixed_size: 28680
    .kernarg_segment_align: 8
    .kernarg_segment_size: 136
    .language:       OpenCL C
    .language_version:
      - 2
      - 0
    .max_flat_workgroup_size: 512
    .name:           _ZN7rocprim17ROCPRIM_400000_NS6detail17trampoline_kernelINS0_14default_configENS1_25partition_config_selectorILNS1_17partition_subalgoE1EsNS0_10empty_typeEbEEZZNS1_14partition_implILS5_1ELb0ES3_jN6thrust23THRUST_200600_302600_NS6detail15normal_iteratorINSA_10device_ptrIsEEEEPS6_NSA_18transform_iteratorI7is_evenIsESF_NSA_11use_defaultESK_EENS0_5tupleIJNSA_16discard_iteratorISK_EESF_EEENSM_IJSG_SG_EEES6_PlJS6_EEE10hipError_tPvRmT3_T4_T5_T6_T7_T9_mT8_P12ihipStream_tbDpT10_ENKUlT_T0_E_clISt17integral_constantIbLb0EES1B_EEDaS16_S17_EUlS16_E_NS1_11comp_targetILNS1_3genE5ELNS1_11target_archE942ELNS1_3gpuE9ELNS1_3repE0EEENS1_30default_config_static_selectorELNS0_4arch9wavefront6targetE1EEEvT1_
    .private_segment_fixed_size: 0
    .sgpr_count:     50
    .sgpr_spill_count: 0
    .symbol:         _ZN7rocprim17ROCPRIM_400000_NS6detail17trampoline_kernelINS0_14default_configENS1_25partition_config_selectorILNS1_17partition_subalgoE1EsNS0_10empty_typeEbEEZZNS1_14partition_implILS5_1ELb0ES3_jN6thrust23THRUST_200600_302600_NS6detail15normal_iteratorINSA_10device_ptrIsEEEEPS6_NSA_18transform_iteratorI7is_evenIsESF_NSA_11use_defaultESK_EENS0_5tupleIJNSA_16discard_iteratorISK_EESF_EEENSM_IJSG_SG_EEES6_PlJS6_EEE10hipError_tPvRmT3_T4_T5_T6_T7_T9_mT8_P12ihipStream_tbDpT10_ENKUlT_T0_E_clISt17integral_constantIbLb0EES1B_EEDaS16_S17_EUlS16_E_NS1_11comp_targetILNS1_3genE5ELNS1_11target_archE942ELNS1_3gpuE9ELNS1_3repE0EEENS1_30default_config_static_selectorELNS0_4arch9wavefront6targetE1EEEvT1_.kd
    .uniform_work_group_size: 1
    .uses_dynamic_stack: false
    .vgpr_count:     79
    .vgpr_spill_count: 0
    .wavefront_size: 64
  - .agpr_count:     0
    .args:
      - .offset:         0
        .size:           136
        .value_kind:     by_value
    .group_segment_fixed_size: 0
    .kernarg_segment_align: 8
    .kernarg_segment_size: 136
    .language:       OpenCL C
    .language_version:
      - 2
      - 0
    .max_flat_workgroup_size: 256
    .name:           _ZN7rocprim17ROCPRIM_400000_NS6detail17trampoline_kernelINS0_14default_configENS1_25partition_config_selectorILNS1_17partition_subalgoE1EsNS0_10empty_typeEbEEZZNS1_14partition_implILS5_1ELb0ES3_jN6thrust23THRUST_200600_302600_NS6detail15normal_iteratorINSA_10device_ptrIsEEEEPS6_NSA_18transform_iteratorI7is_evenIsESF_NSA_11use_defaultESK_EENS0_5tupleIJNSA_16discard_iteratorISK_EESF_EEENSM_IJSG_SG_EEES6_PlJS6_EEE10hipError_tPvRmT3_T4_T5_T6_T7_T9_mT8_P12ihipStream_tbDpT10_ENKUlT_T0_E_clISt17integral_constantIbLb0EES1B_EEDaS16_S17_EUlS16_E_NS1_11comp_targetILNS1_3genE4ELNS1_11target_archE910ELNS1_3gpuE8ELNS1_3repE0EEENS1_30default_config_static_selectorELNS0_4arch9wavefront6targetE1EEEvT1_
    .private_segment_fixed_size: 0
    .sgpr_count:     6
    .sgpr_spill_count: 0
    .symbol:         _ZN7rocprim17ROCPRIM_400000_NS6detail17trampoline_kernelINS0_14default_configENS1_25partition_config_selectorILNS1_17partition_subalgoE1EsNS0_10empty_typeEbEEZZNS1_14partition_implILS5_1ELb0ES3_jN6thrust23THRUST_200600_302600_NS6detail15normal_iteratorINSA_10device_ptrIsEEEEPS6_NSA_18transform_iteratorI7is_evenIsESF_NSA_11use_defaultESK_EENS0_5tupleIJNSA_16discard_iteratorISK_EESF_EEENSM_IJSG_SG_EEES6_PlJS6_EEE10hipError_tPvRmT3_T4_T5_T6_T7_T9_mT8_P12ihipStream_tbDpT10_ENKUlT_T0_E_clISt17integral_constantIbLb0EES1B_EEDaS16_S17_EUlS16_E_NS1_11comp_targetILNS1_3genE4ELNS1_11target_archE910ELNS1_3gpuE8ELNS1_3repE0EEENS1_30default_config_static_selectorELNS0_4arch9wavefront6targetE1EEEvT1_.kd
    .uniform_work_group_size: 1
    .uses_dynamic_stack: false
    .vgpr_count:     0
    .vgpr_spill_count: 0
    .wavefront_size: 64
  - .agpr_count:     0
    .args:
      - .offset:         0
        .size:           136
        .value_kind:     by_value
    .group_segment_fixed_size: 0
    .kernarg_segment_align: 8
    .kernarg_segment_size: 136
    .language:       OpenCL C
    .language_version:
      - 2
      - 0
    .max_flat_workgroup_size: 256
    .name:           _ZN7rocprim17ROCPRIM_400000_NS6detail17trampoline_kernelINS0_14default_configENS1_25partition_config_selectorILNS1_17partition_subalgoE1EsNS0_10empty_typeEbEEZZNS1_14partition_implILS5_1ELb0ES3_jN6thrust23THRUST_200600_302600_NS6detail15normal_iteratorINSA_10device_ptrIsEEEEPS6_NSA_18transform_iteratorI7is_evenIsESF_NSA_11use_defaultESK_EENS0_5tupleIJNSA_16discard_iteratorISK_EESF_EEENSM_IJSG_SG_EEES6_PlJS6_EEE10hipError_tPvRmT3_T4_T5_T6_T7_T9_mT8_P12ihipStream_tbDpT10_ENKUlT_T0_E_clISt17integral_constantIbLb0EES1B_EEDaS16_S17_EUlS16_E_NS1_11comp_targetILNS1_3genE3ELNS1_11target_archE908ELNS1_3gpuE7ELNS1_3repE0EEENS1_30default_config_static_selectorELNS0_4arch9wavefront6targetE1EEEvT1_
    .private_segment_fixed_size: 0
    .sgpr_count:     6
    .sgpr_spill_count: 0
    .symbol:         _ZN7rocprim17ROCPRIM_400000_NS6detail17trampoline_kernelINS0_14default_configENS1_25partition_config_selectorILNS1_17partition_subalgoE1EsNS0_10empty_typeEbEEZZNS1_14partition_implILS5_1ELb0ES3_jN6thrust23THRUST_200600_302600_NS6detail15normal_iteratorINSA_10device_ptrIsEEEEPS6_NSA_18transform_iteratorI7is_evenIsESF_NSA_11use_defaultESK_EENS0_5tupleIJNSA_16discard_iteratorISK_EESF_EEENSM_IJSG_SG_EEES6_PlJS6_EEE10hipError_tPvRmT3_T4_T5_T6_T7_T9_mT8_P12ihipStream_tbDpT10_ENKUlT_T0_E_clISt17integral_constantIbLb0EES1B_EEDaS16_S17_EUlS16_E_NS1_11comp_targetILNS1_3genE3ELNS1_11target_archE908ELNS1_3gpuE7ELNS1_3repE0EEENS1_30default_config_static_selectorELNS0_4arch9wavefront6targetE1EEEvT1_.kd
    .uniform_work_group_size: 1
    .uses_dynamic_stack: false
    .vgpr_count:     0
    .vgpr_spill_count: 0
    .wavefront_size: 64
  - .agpr_count:     0
    .args:
      - .offset:         0
        .size:           136
        .value_kind:     by_value
    .group_segment_fixed_size: 0
    .kernarg_segment_align: 8
    .kernarg_segment_size: 136
    .language:       OpenCL C
    .language_version:
      - 2
      - 0
    .max_flat_workgroup_size: 256
    .name:           _ZN7rocprim17ROCPRIM_400000_NS6detail17trampoline_kernelINS0_14default_configENS1_25partition_config_selectorILNS1_17partition_subalgoE1EsNS0_10empty_typeEbEEZZNS1_14partition_implILS5_1ELb0ES3_jN6thrust23THRUST_200600_302600_NS6detail15normal_iteratorINSA_10device_ptrIsEEEEPS6_NSA_18transform_iteratorI7is_evenIsESF_NSA_11use_defaultESK_EENS0_5tupleIJNSA_16discard_iteratorISK_EESF_EEENSM_IJSG_SG_EEES6_PlJS6_EEE10hipError_tPvRmT3_T4_T5_T6_T7_T9_mT8_P12ihipStream_tbDpT10_ENKUlT_T0_E_clISt17integral_constantIbLb0EES1B_EEDaS16_S17_EUlS16_E_NS1_11comp_targetILNS1_3genE2ELNS1_11target_archE906ELNS1_3gpuE6ELNS1_3repE0EEENS1_30default_config_static_selectorELNS0_4arch9wavefront6targetE1EEEvT1_
    .private_segment_fixed_size: 0
    .sgpr_count:     6
    .sgpr_spill_count: 0
    .symbol:         _ZN7rocprim17ROCPRIM_400000_NS6detail17trampoline_kernelINS0_14default_configENS1_25partition_config_selectorILNS1_17partition_subalgoE1EsNS0_10empty_typeEbEEZZNS1_14partition_implILS5_1ELb0ES3_jN6thrust23THRUST_200600_302600_NS6detail15normal_iteratorINSA_10device_ptrIsEEEEPS6_NSA_18transform_iteratorI7is_evenIsESF_NSA_11use_defaultESK_EENS0_5tupleIJNSA_16discard_iteratorISK_EESF_EEENSM_IJSG_SG_EEES6_PlJS6_EEE10hipError_tPvRmT3_T4_T5_T6_T7_T9_mT8_P12ihipStream_tbDpT10_ENKUlT_T0_E_clISt17integral_constantIbLb0EES1B_EEDaS16_S17_EUlS16_E_NS1_11comp_targetILNS1_3genE2ELNS1_11target_archE906ELNS1_3gpuE6ELNS1_3repE0EEENS1_30default_config_static_selectorELNS0_4arch9wavefront6targetE1EEEvT1_.kd
    .uniform_work_group_size: 1
    .uses_dynamic_stack: false
    .vgpr_count:     0
    .vgpr_spill_count: 0
    .wavefront_size: 64
  - .agpr_count:     0
    .args:
      - .offset:         0
        .size:           136
        .value_kind:     by_value
    .group_segment_fixed_size: 0
    .kernarg_segment_align: 8
    .kernarg_segment_size: 136
    .language:       OpenCL C
    .language_version:
      - 2
      - 0
    .max_flat_workgroup_size: 384
    .name:           _ZN7rocprim17ROCPRIM_400000_NS6detail17trampoline_kernelINS0_14default_configENS1_25partition_config_selectorILNS1_17partition_subalgoE1EsNS0_10empty_typeEbEEZZNS1_14partition_implILS5_1ELb0ES3_jN6thrust23THRUST_200600_302600_NS6detail15normal_iteratorINSA_10device_ptrIsEEEEPS6_NSA_18transform_iteratorI7is_evenIsESF_NSA_11use_defaultESK_EENS0_5tupleIJNSA_16discard_iteratorISK_EESF_EEENSM_IJSG_SG_EEES6_PlJS6_EEE10hipError_tPvRmT3_T4_T5_T6_T7_T9_mT8_P12ihipStream_tbDpT10_ENKUlT_T0_E_clISt17integral_constantIbLb0EES1B_EEDaS16_S17_EUlS16_E_NS1_11comp_targetILNS1_3genE10ELNS1_11target_archE1200ELNS1_3gpuE4ELNS1_3repE0EEENS1_30default_config_static_selectorELNS0_4arch9wavefront6targetE1EEEvT1_
    .private_segment_fixed_size: 0
    .sgpr_count:     6
    .sgpr_spill_count: 0
    .symbol:         _ZN7rocprim17ROCPRIM_400000_NS6detail17trampoline_kernelINS0_14default_configENS1_25partition_config_selectorILNS1_17partition_subalgoE1EsNS0_10empty_typeEbEEZZNS1_14partition_implILS5_1ELb0ES3_jN6thrust23THRUST_200600_302600_NS6detail15normal_iteratorINSA_10device_ptrIsEEEEPS6_NSA_18transform_iteratorI7is_evenIsESF_NSA_11use_defaultESK_EENS0_5tupleIJNSA_16discard_iteratorISK_EESF_EEENSM_IJSG_SG_EEES6_PlJS6_EEE10hipError_tPvRmT3_T4_T5_T6_T7_T9_mT8_P12ihipStream_tbDpT10_ENKUlT_T0_E_clISt17integral_constantIbLb0EES1B_EEDaS16_S17_EUlS16_E_NS1_11comp_targetILNS1_3genE10ELNS1_11target_archE1200ELNS1_3gpuE4ELNS1_3repE0EEENS1_30default_config_static_selectorELNS0_4arch9wavefront6targetE1EEEvT1_.kd
    .uniform_work_group_size: 1
    .uses_dynamic_stack: false
    .vgpr_count:     0
    .vgpr_spill_count: 0
    .wavefront_size: 64
  - .agpr_count:     0
    .args:
      - .offset:         0
        .size:           136
        .value_kind:     by_value
    .group_segment_fixed_size: 0
    .kernarg_segment_align: 8
    .kernarg_segment_size: 136
    .language:       OpenCL C
    .language_version:
      - 2
      - 0
    .max_flat_workgroup_size: 128
    .name:           _ZN7rocprim17ROCPRIM_400000_NS6detail17trampoline_kernelINS0_14default_configENS1_25partition_config_selectorILNS1_17partition_subalgoE1EsNS0_10empty_typeEbEEZZNS1_14partition_implILS5_1ELb0ES3_jN6thrust23THRUST_200600_302600_NS6detail15normal_iteratorINSA_10device_ptrIsEEEEPS6_NSA_18transform_iteratorI7is_evenIsESF_NSA_11use_defaultESK_EENS0_5tupleIJNSA_16discard_iteratorISK_EESF_EEENSM_IJSG_SG_EEES6_PlJS6_EEE10hipError_tPvRmT3_T4_T5_T6_T7_T9_mT8_P12ihipStream_tbDpT10_ENKUlT_T0_E_clISt17integral_constantIbLb0EES1B_EEDaS16_S17_EUlS16_E_NS1_11comp_targetILNS1_3genE9ELNS1_11target_archE1100ELNS1_3gpuE3ELNS1_3repE0EEENS1_30default_config_static_selectorELNS0_4arch9wavefront6targetE1EEEvT1_
    .private_segment_fixed_size: 0
    .sgpr_count:     6
    .sgpr_spill_count: 0
    .symbol:         _ZN7rocprim17ROCPRIM_400000_NS6detail17trampoline_kernelINS0_14default_configENS1_25partition_config_selectorILNS1_17partition_subalgoE1EsNS0_10empty_typeEbEEZZNS1_14partition_implILS5_1ELb0ES3_jN6thrust23THRUST_200600_302600_NS6detail15normal_iteratorINSA_10device_ptrIsEEEEPS6_NSA_18transform_iteratorI7is_evenIsESF_NSA_11use_defaultESK_EENS0_5tupleIJNSA_16discard_iteratorISK_EESF_EEENSM_IJSG_SG_EEES6_PlJS6_EEE10hipError_tPvRmT3_T4_T5_T6_T7_T9_mT8_P12ihipStream_tbDpT10_ENKUlT_T0_E_clISt17integral_constantIbLb0EES1B_EEDaS16_S17_EUlS16_E_NS1_11comp_targetILNS1_3genE9ELNS1_11target_archE1100ELNS1_3gpuE3ELNS1_3repE0EEENS1_30default_config_static_selectorELNS0_4arch9wavefront6targetE1EEEvT1_.kd
    .uniform_work_group_size: 1
    .uses_dynamic_stack: false
    .vgpr_count:     0
    .vgpr_spill_count: 0
    .wavefront_size: 64
  - .agpr_count:     0
    .args:
      - .offset:         0
        .size:           136
        .value_kind:     by_value
    .group_segment_fixed_size: 0
    .kernarg_segment_align: 8
    .kernarg_segment_size: 136
    .language:       OpenCL C
    .language_version:
      - 2
      - 0
    .max_flat_workgroup_size: 512
    .name:           _ZN7rocprim17ROCPRIM_400000_NS6detail17trampoline_kernelINS0_14default_configENS1_25partition_config_selectorILNS1_17partition_subalgoE1EsNS0_10empty_typeEbEEZZNS1_14partition_implILS5_1ELb0ES3_jN6thrust23THRUST_200600_302600_NS6detail15normal_iteratorINSA_10device_ptrIsEEEEPS6_NSA_18transform_iteratorI7is_evenIsESF_NSA_11use_defaultESK_EENS0_5tupleIJNSA_16discard_iteratorISK_EESF_EEENSM_IJSG_SG_EEES6_PlJS6_EEE10hipError_tPvRmT3_T4_T5_T6_T7_T9_mT8_P12ihipStream_tbDpT10_ENKUlT_T0_E_clISt17integral_constantIbLb0EES1B_EEDaS16_S17_EUlS16_E_NS1_11comp_targetILNS1_3genE8ELNS1_11target_archE1030ELNS1_3gpuE2ELNS1_3repE0EEENS1_30default_config_static_selectorELNS0_4arch9wavefront6targetE1EEEvT1_
    .private_segment_fixed_size: 0
    .sgpr_count:     6
    .sgpr_spill_count: 0
    .symbol:         _ZN7rocprim17ROCPRIM_400000_NS6detail17trampoline_kernelINS0_14default_configENS1_25partition_config_selectorILNS1_17partition_subalgoE1EsNS0_10empty_typeEbEEZZNS1_14partition_implILS5_1ELb0ES3_jN6thrust23THRUST_200600_302600_NS6detail15normal_iteratorINSA_10device_ptrIsEEEEPS6_NSA_18transform_iteratorI7is_evenIsESF_NSA_11use_defaultESK_EENS0_5tupleIJNSA_16discard_iteratorISK_EESF_EEENSM_IJSG_SG_EEES6_PlJS6_EEE10hipError_tPvRmT3_T4_T5_T6_T7_T9_mT8_P12ihipStream_tbDpT10_ENKUlT_T0_E_clISt17integral_constantIbLb0EES1B_EEDaS16_S17_EUlS16_E_NS1_11comp_targetILNS1_3genE8ELNS1_11target_archE1030ELNS1_3gpuE2ELNS1_3repE0EEENS1_30default_config_static_selectorELNS0_4arch9wavefront6targetE1EEEvT1_.kd
    .uniform_work_group_size: 1
    .uses_dynamic_stack: false
    .vgpr_count:     0
    .vgpr_spill_count: 0
    .wavefront_size: 64
  - .agpr_count:     0
    .args:
      - .offset:         0
        .size:           152
        .value_kind:     by_value
    .group_segment_fixed_size: 0
    .kernarg_segment_align: 8
    .kernarg_segment_size: 152
    .language:       OpenCL C
    .language_version:
      - 2
      - 0
    .max_flat_workgroup_size: 256
    .name:           _ZN7rocprim17ROCPRIM_400000_NS6detail17trampoline_kernelINS0_14default_configENS1_25partition_config_selectorILNS1_17partition_subalgoE1EsNS0_10empty_typeEbEEZZNS1_14partition_implILS5_1ELb0ES3_jN6thrust23THRUST_200600_302600_NS6detail15normal_iteratorINSA_10device_ptrIsEEEEPS6_NSA_18transform_iteratorI7is_evenIsESF_NSA_11use_defaultESK_EENS0_5tupleIJNSA_16discard_iteratorISK_EESF_EEENSM_IJSG_SG_EEES6_PlJS6_EEE10hipError_tPvRmT3_T4_T5_T6_T7_T9_mT8_P12ihipStream_tbDpT10_ENKUlT_T0_E_clISt17integral_constantIbLb1EES1B_EEDaS16_S17_EUlS16_E_NS1_11comp_targetILNS1_3genE0ELNS1_11target_archE4294967295ELNS1_3gpuE0ELNS1_3repE0EEENS1_30default_config_static_selectorELNS0_4arch9wavefront6targetE1EEEvT1_
    .private_segment_fixed_size: 0
    .sgpr_count:     6
    .sgpr_spill_count: 0
    .symbol:         _ZN7rocprim17ROCPRIM_400000_NS6detail17trampoline_kernelINS0_14default_configENS1_25partition_config_selectorILNS1_17partition_subalgoE1EsNS0_10empty_typeEbEEZZNS1_14partition_implILS5_1ELb0ES3_jN6thrust23THRUST_200600_302600_NS6detail15normal_iteratorINSA_10device_ptrIsEEEEPS6_NSA_18transform_iteratorI7is_evenIsESF_NSA_11use_defaultESK_EENS0_5tupleIJNSA_16discard_iteratorISK_EESF_EEENSM_IJSG_SG_EEES6_PlJS6_EEE10hipError_tPvRmT3_T4_T5_T6_T7_T9_mT8_P12ihipStream_tbDpT10_ENKUlT_T0_E_clISt17integral_constantIbLb1EES1B_EEDaS16_S17_EUlS16_E_NS1_11comp_targetILNS1_3genE0ELNS1_11target_archE4294967295ELNS1_3gpuE0ELNS1_3repE0EEENS1_30default_config_static_selectorELNS0_4arch9wavefront6targetE1EEEvT1_.kd
    .uniform_work_group_size: 1
    .uses_dynamic_stack: false
    .vgpr_count:     0
    .vgpr_spill_count: 0
    .wavefront_size: 64
  - .agpr_count:     0
    .args:
      - .offset:         0
        .size:           152
        .value_kind:     by_value
    .group_segment_fixed_size: 28680
    .kernarg_segment_align: 8
    .kernarg_segment_size: 152
    .language:       OpenCL C
    .language_version:
      - 2
      - 0
    .max_flat_workgroup_size: 512
    .name:           _ZN7rocprim17ROCPRIM_400000_NS6detail17trampoline_kernelINS0_14default_configENS1_25partition_config_selectorILNS1_17partition_subalgoE1EsNS0_10empty_typeEbEEZZNS1_14partition_implILS5_1ELb0ES3_jN6thrust23THRUST_200600_302600_NS6detail15normal_iteratorINSA_10device_ptrIsEEEEPS6_NSA_18transform_iteratorI7is_evenIsESF_NSA_11use_defaultESK_EENS0_5tupleIJNSA_16discard_iteratorISK_EESF_EEENSM_IJSG_SG_EEES6_PlJS6_EEE10hipError_tPvRmT3_T4_T5_T6_T7_T9_mT8_P12ihipStream_tbDpT10_ENKUlT_T0_E_clISt17integral_constantIbLb1EES1B_EEDaS16_S17_EUlS16_E_NS1_11comp_targetILNS1_3genE5ELNS1_11target_archE942ELNS1_3gpuE9ELNS1_3repE0EEENS1_30default_config_static_selectorELNS0_4arch9wavefront6targetE1EEEvT1_
    .private_segment_fixed_size: 0
    .sgpr_count:     48
    .sgpr_spill_count: 0
    .symbol:         _ZN7rocprim17ROCPRIM_400000_NS6detail17trampoline_kernelINS0_14default_configENS1_25partition_config_selectorILNS1_17partition_subalgoE1EsNS0_10empty_typeEbEEZZNS1_14partition_implILS5_1ELb0ES3_jN6thrust23THRUST_200600_302600_NS6detail15normal_iteratorINSA_10device_ptrIsEEEEPS6_NSA_18transform_iteratorI7is_evenIsESF_NSA_11use_defaultESK_EENS0_5tupleIJNSA_16discard_iteratorISK_EESF_EEENSM_IJSG_SG_EEES6_PlJS6_EEE10hipError_tPvRmT3_T4_T5_T6_T7_T9_mT8_P12ihipStream_tbDpT10_ENKUlT_T0_E_clISt17integral_constantIbLb1EES1B_EEDaS16_S17_EUlS16_E_NS1_11comp_targetILNS1_3genE5ELNS1_11target_archE942ELNS1_3gpuE9ELNS1_3repE0EEENS1_30default_config_static_selectorELNS0_4arch9wavefront6targetE1EEEvT1_.kd
    .uniform_work_group_size: 1
    .uses_dynamic_stack: false
    .vgpr_count:     83
    .vgpr_spill_count: 0
    .wavefront_size: 64
  - .agpr_count:     0
    .args:
      - .offset:         0
        .size:           152
        .value_kind:     by_value
    .group_segment_fixed_size: 0
    .kernarg_segment_align: 8
    .kernarg_segment_size: 152
    .language:       OpenCL C
    .language_version:
      - 2
      - 0
    .max_flat_workgroup_size: 256
    .name:           _ZN7rocprim17ROCPRIM_400000_NS6detail17trampoline_kernelINS0_14default_configENS1_25partition_config_selectorILNS1_17partition_subalgoE1EsNS0_10empty_typeEbEEZZNS1_14partition_implILS5_1ELb0ES3_jN6thrust23THRUST_200600_302600_NS6detail15normal_iteratorINSA_10device_ptrIsEEEEPS6_NSA_18transform_iteratorI7is_evenIsESF_NSA_11use_defaultESK_EENS0_5tupleIJNSA_16discard_iteratorISK_EESF_EEENSM_IJSG_SG_EEES6_PlJS6_EEE10hipError_tPvRmT3_T4_T5_T6_T7_T9_mT8_P12ihipStream_tbDpT10_ENKUlT_T0_E_clISt17integral_constantIbLb1EES1B_EEDaS16_S17_EUlS16_E_NS1_11comp_targetILNS1_3genE4ELNS1_11target_archE910ELNS1_3gpuE8ELNS1_3repE0EEENS1_30default_config_static_selectorELNS0_4arch9wavefront6targetE1EEEvT1_
    .private_segment_fixed_size: 0
    .sgpr_count:     6
    .sgpr_spill_count: 0
    .symbol:         _ZN7rocprim17ROCPRIM_400000_NS6detail17trampoline_kernelINS0_14default_configENS1_25partition_config_selectorILNS1_17partition_subalgoE1EsNS0_10empty_typeEbEEZZNS1_14partition_implILS5_1ELb0ES3_jN6thrust23THRUST_200600_302600_NS6detail15normal_iteratorINSA_10device_ptrIsEEEEPS6_NSA_18transform_iteratorI7is_evenIsESF_NSA_11use_defaultESK_EENS0_5tupleIJNSA_16discard_iteratorISK_EESF_EEENSM_IJSG_SG_EEES6_PlJS6_EEE10hipError_tPvRmT3_T4_T5_T6_T7_T9_mT8_P12ihipStream_tbDpT10_ENKUlT_T0_E_clISt17integral_constantIbLb1EES1B_EEDaS16_S17_EUlS16_E_NS1_11comp_targetILNS1_3genE4ELNS1_11target_archE910ELNS1_3gpuE8ELNS1_3repE0EEENS1_30default_config_static_selectorELNS0_4arch9wavefront6targetE1EEEvT1_.kd
    .uniform_work_group_size: 1
    .uses_dynamic_stack: false
    .vgpr_count:     0
    .vgpr_spill_count: 0
    .wavefront_size: 64
  - .agpr_count:     0
    .args:
      - .offset:         0
        .size:           152
        .value_kind:     by_value
    .group_segment_fixed_size: 0
    .kernarg_segment_align: 8
    .kernarg_segment_size: 152
    .language:       OpenCL C
    .language_version:
      - 2
      - 0
    .max_flat_workgroup_size: 256
    .name:           _ZN7rocprim17ROCPRIM_400000_NS6detail17trampoline_kernelINS0_14default_configENS1_25partition_config_selectorILNS1_17partition_subalgoE1EsNS0_10empty_typeEbEEZZNS1_14partition_implILS5_1ELb0ES3_jN6thrust23THRUST_200600_302600_NS6detail15normal_iteratorINSA_10device_ptrIsEEEEPS6_NSA_18transform_iteratorI7is_evenIsESF_NSA_11use_defaultESK_EENS0_5tupleIJNSA_16discard_iteratorISK_EESF_EEENSM_IJSG_SG_EEES6_PlJS6_EEE10hipError_tPvRmT3_T4_T5_T6_T7_T9_mT8_P12ihipStream_tbDpT10_ENKUlT_T0_E_clISt17integral_constantIbLb1EES1B_EEDaS16_S17_EUlS16_E_NS1_11comp_targetILNS1_3genE3ELNS1_11target_archE908ELNS1_3gpuE7ELNS1_3repE0EEENS1_30default_config_static_selectorELNS0_4arch9wavefront6targetE1EEEvT1_
    .private_segment_fixed_size: 0
    .sgpr_count:     6
    .sgpr_spill_count: 0
    .symbol:         _ZN7rocprim17ROCPRIM_400000_NS6detail17trampoline_kernelINS0_14default_configENS1_25partition_config_selectorILNS1_17partition_subalgoE1EsNS0_10empty_typeEbEEZZNS1_14partition_implILS5_1ELb0ES3_jN6thrust23THRUST_200600_302600_NS6detail15normal_iteratorINSA_10device_ptrIsEEEEPS6_NSA_18transform_iteratorI7is_evenIsESF_NSA_11use_defaultESK_EENS0_5tupleIJNSA_16discard_iteratorISK_EESF_EEENSM_IJSG_SG_EEES6_PlJS6_EEE10hipError_tPvRmT3_T4_T5_T6_T7_T9_mT8_P12ihipStream_tbDpT10_ENKUlT_T0_E_clISt17integral_constantIbLb1EES1B_EEDaS16_S17_EUlS16_E_NS1_11comp_targetILNS1_3genE3ELNS1_11target_archE908ELNS1_3gpuE7ELNS1_3repE0EEENS1_30default_config_static_selectorELNS0_4arch9wavefront6targetE1EEEvT1_.kd
    .uniform_work_group_size: 1
    .uses_dynamic_stack: false
    .vgpr_count:     0
    .vgpr_spill_count: 0
    .wavefront_size: 64
  - .agpr_count:     0
    .args:
      - .offset:         0
        .size:           152
        .value_kind:     by_value
    .group_segment_fixed_size: 0
    .kernarg_segment_align: 8
    .kernarg_segment_size: 152
    .language:       OpenCL C
    .language_version:
      - 2
      - 0
    .max_flat_workgroup_size: 256
    .name:           _ZN7rocprim17ROCPRIM_400000_NS6detail17trampoline_kernelINS0_14default_configENS1_25partition_config_selectorILNS1_17partition_subalgoE1EsNS0_10empty_typeEbEEZZNS1_14partition_implILS5_1ELb0ES3_jN6thrust23THRUST_200600_302600_NS6detail15normal_iteratorINSA_10device_ptrIsEEEEPS6_NSA_18transform_iteratorI7is_evenIsESF_NSA_11use_defaultESK_EENS0_5tupleIJNSA_16discard_iteratorISK_EESF_EEENSM_IJSG_SG_EEES6_PlJS6_EEE10hipError_tPvRmT3_T4_T5_T6_T7_T9_mT8_P12ihipStream_tbDpT10_ENKUlT_T0_E_clISt17integral_constantIbLb1EES1B_EEDaS16_S17_EUlS16_E_NS1_11comp_targetILNS1_3genE2ELNS1_11target_archE906ELNS1_3gpuE6ELNS1_3repE0EEENS1_30default_config_static_selectorELNS0_4arch9wavefront6targetE1EEEvT1_
    .private_segment_fixed_size: 0
    .sgpr_count:     6
    .sgpr_spill_count: 0
    .symbol:         _ZN7rocprim17ROCPRIM_400000_NS6detail17trampoline_kernelINS0_14default_configENS1_25partition_config_selectorILNS1_17partition_subalgoE1EsNS0_10empty_typeEbEEZZNS1_14partition_implILS5_1ELb0ES3_jN6thrust23THRUST_200600_302600_NS6detail15normal_iteratorINSA_10device_ptrIsEEEEPS6_NSA_18transform_iteratorI7is_evenIsESF_NSA_11use_defaultESK_EENS0_5tupleIJNSA_16discard_iteratorISK_EESF_EEENSM_IJSG_SG_EEES6_PlJS6_EEE10hipError_tPvRmT3_T4_T5_T6_T7_T9_mT8_P12ihipStream_tbDpT10_ENKUlT_T0_E_clISt17integral_constantIbLb1EES1B_EEDaS16_S17_EUlS16_E_NS1_11comp_targetILNS1_3genE2ELNS1_11target_archE906ELNS1_3gpuE6ELNS1_3repE0EEENS1_30default_config_static_selectorELNS0_4arch9wavefront6targetE1EEEvT1_.kd
    .uniform_work_group_size: 1
    .uses_dynamic_stack: false
    .vgpr_count:     0
    .vgpr_spill_count: 0
    .wavefront_size: 64
  - .agpr_count:     0
    .args:
      - .offset:         0
        .size:           152
        .value_kind:     by_value
    .group_segment_fixed_size: 0
    .kernarg_segment_align: 8
    .kernarg_segment_size: 152
    .language:       OpenCL C
    .language_version:
      - 2
      - 0
    .max_flat_workgroup_size: 384
    .name:           _ZN7rocprim17ROCPRIM_400000_NS6detail17trampoline_kernelINS0_14default_configENS1_25partition_config_selectorILNS1_17partition_subalgoE1EsNS0_10empty_typeEbEEZZNS1_14partition_implILS5_1ELb0ES3_jN6thrust23THRUST_200600_302600_NS6detail15normal_iteratorINSA_10device_ptrIsEEEEPS6_NSA_18transform_iteratorI7is_evenIsESF_NSA_11use_defaultESK_EENS0_5tupleIJNSA_16discard_iteratorISK_EESF_EEENSM_IJSG_SG_EEES6_PlJS6_EEE10hipError_tPvRmT3_T4_T5_T6_T7_T9_mT8_P12ihipStream_tbDpT10_ENKUlT_T0_E_clISt17integral_constantIbLb1EES1B_EEDaS16_S17_EUlS16_E_NS1_11comp_targetILNS1_3genE10ELNS1_11target_archE1200ELNS1_3gpuE4ELNS1_3repE0EEENS1_30default_config_static_selectorELNS0_4arch9wavefront6targetE1EEEvT1_
    .private_segment_fixed_size: 0
    .sgpr_count:     6
    .sgpr_spill_count: 0
    .symbol:         _ZN7rocprim17ROCPRIM_400000_NS6detail17trampoline_kernelINS0_14default_configENS1_25partition_config_selectorILNS1_17partition_subalgoE1EsNS0_10empty_typeEbEEZZNS1_14partition_implILS5_1ELb0ES3_jN6thrust23THRUST_200600_302600_NS6detail15normal_iteratorINSA_10device_ptrIsEEEEPS6_NSA_18transform_iteratorI7is_evenIsESF_NSA_11use_defaultESK_EENS0_5tupleIJNSA_16discard_iteratorISK_EESF_EEENSM_IJSG_SG_EEES6_PlJS6_EEE10hipError_tPvRmT3_T4_T5_T6_T7_T9_mT8_P12ihipStream_tbDpT10_ENKUlT_T0_E_clISt17integral_constantIbLb1EES1B_EEDaS16_S17_EUlS16_E_NS1_11comp_targetILNS1_3genE10ELNS1_11target_archE1200ELNS1_3gpuE4ELNS1_3repE0EEENS1_30default_config_static_selectorELNS0_4arch9wavefront6targetE1EEEvT1_.kd
    .uniform_work_group_size: 1
    .uses_dynamic_stack: false
    .vgpr_count:     0
    .vgpr_spill_count: 0
    .wavefront_size: 64
  - .agpr_count:     0
    .args:
      - .offset:         0
        .size:           152
        .value_kind:     by_value
    .group_segment_fixed_size: 0
    .kernarg_segment_align: 8
    .kernarg_segment_size: 152
    .language:       OpenCL C
    .language_version:
      - 2
      - 0
    .max_flat_workgroup_size: 128
    .name:           _ZN7rocprim17ROCPRIM_400000_NS6detail17trampoline_kernelINS0_14default_configENS1_25partition_config_selectorILNS1_17partition_subalgoE1EsNS0_10empty_typeEbEEZZNS1_14partition_implILS5_1ELb0ES3_jN6thrust23THRUST_200600_302600_NS6detail15normal_iteratorINSA_10device_ptrIsEEEEPS6_NSA_18transform_iteratorI7is_evenIsESF_NSA_11use_defaultESK_EENS0_5tupleIJNSA_16discard_iteratorISK_EESF_EEENSM_IJSG_SG_EEES6_PlJS6_EEE10hipError_tPvRmT3_T4_T5_T6_T7_T9_mT8_P12ihipStream_tbDpT10_ENKUlT_T0_E_clISt17integral_constantIbLb1EES1B_EEDaS16_S17_EUlS16_E_NS1_11comp_targetILNS1_3genE9ELNS1_11target_archE1100ELNS1_3gpuE3ELNS1_3repE0EEENS1_30default_config_static_selectorELNS0_4arch9wavefront6targetE1EEEvT1_
    .private_segment_fixed_size: 0
    .sgpr_count:     6
    .sgpr_spill_count: 0
    .symbol:         _ZN7rocprim17ROCPRIM_400000_NS6detail17trampoline_kernelINS0_14default_configENS1_25partition_config_selectorILNS1_17partition_subalgoE1EsNS0_10empty_typeEbEEZZNS1_14partition_implILS5_1ELb0ES3_jN6thrust23THRUST_200600_302600_NS6detail15normal_iteratorINSA_10device_ptrIsEEEEPS6_NSA_18transform_iteratorI7is_evenIsESF_NSA_11use_defaultESK_EENS0_5tupleIJNSA_16discard_iteratorISK_EESF_EEENSM_IJSG_SG_EEES6_PlJS6_EEE10hipError_tPvRmT3_T4_T5_T6_T7_T9_mT8_P12ihipStream_tbDpT10_ENKUlT_T0_E_clISt17integral_constantIbLb1EES1B_EEDaS16_S17_EUlS16_E_NS1_11comp_targetILNS1_3genE9ELNS1_11target_archE1100ELNS1_3gpuE3ELNS1_3repE0EEENS1_30default_config_static_selectorELNS0_4arch9wavefront6targetE1EEEvT1_.kd
    .uniform_work_group_size: 1
    .uses_dynamic_stack: false
    .vgpr_count:     0
    .vgpr_spill_count: 0
    .wavefront_size: 64
  - .agpr_count:     0
    .args:
      - .offset:         0
        .size:           152
        .value_kind:     by_value
    .group_segment_fixed_size: 0
    .kernarg_segment_align: 8
    .kernarg_segment_size: 152
    .language:       OpenCL C
    .language_version:
      - 2
      - 0
    .max_flat_workgroup_size: 512
    .name:           _ZN7rocprim17ROCPRIM_400000_NS6detail17trampoline_kernelINS0_14default_configENS1_25partition_config_selectorILNS1_17partition_subalgoE1EsNS0_10empty_typeEbEEZZNS1_14partition_implILS5_1ELb0ES3_jN6thrust23THRUST_200600_302600_NS6detail15normal_iteratorINSA_10device_ptrIsEEEEPS6_NSA_18transform_iteratorI7is_evenIsESF_NSA_11use_defaultESK_EENS0_5tupleIJNSA_16discard_iteratorISK_EESF_EEENSM_IJSG_SG_EEES6_PlJS6_EEE10hipError_tPvRmT3_T4_T5_T6_T7_T9_mT8_P12ihipStream_tbDpT10_ENKUlT_T0_E_clISt17integral_constantIbLb1EES1B_EEDaS16_S17_EUlS16_E_NS1_11comp_targetILNS1_3genE8ELNS1_11target_archE1030ELNS1_3gpuE2ELNS1_3repE0EEENS1_30default_config_static_selectorELNS0_4arch9wavefront6targetE1EEEvT1_
    .private_segment_fixed_size: 0
    .sgpr_count:     6
    .sgpr_spill_count: 0
    .symbol:         _ZN7rocprim17ROCPRIM_400000_NS6detail17trampoline_kernelINS0_14default_configENS1_25partition_config_selectorILNS1_17partition_subalgoE1EsNS0_10empty_typeEbEEZZNS1_14partition_implILS5_1ELb0ES3_jN6thrust23THRUST_200600_302600_NS6detail15normal_iteratorINSA_10device_ptrIsEEEEPS6_NSA_18transform_iteratorI7is_evenIsESF_NSA_11use_defaultESK_EENS0_5tupleIJNSA_16discard_iteratorISK_EESF_EEENSM_IJSG_SG_EEES6_PlJS6_EEE10hipError_tPvRmT3_T4_T5_T6_T7_T9_mT8_P12ihipStream_tbDpT10_ENKUlT_T0_E_clISt17integral_constantIbLb1EES1B_EEDaS16_S17_EUlS16_E_NS1_11comp_targetILNS1_3genE8ELNS1_11target_archE1030ELNS1_3gpuE2ELNS1_3repE0EEENS1_30default_config_static_selectorELNS0_4arch9wavefront6targetE1EEEvT1_.kd
    .uniform_work_group_size: 1
    .uses_dynamic_stack: false
    .vgpr_count:     0
    .vgpr_spill_count: 0
    .wavefront_size: 64
  - .agpr_count:     0
    .args:
      - .offset:         0
        .size:           136
        .value_kind:     by_value
    .group_segment_fixed_size: 0
    .kernarg_segment_align: 8
    .kernarg_segment_size: 136
    .language:       OpenCL C
    .language_version:
      - 2
      - 0
    .max_flat_workgroup_size: 256
    .name:           _ZN7rocprim17ROCPRIM_400000_NS6detail17trampoline_kernelINS0_14default_configENS1_25partition_config_selectorILNS1_17partition_subalgoE1EsNS0_10empty_typeEbEEZZNS1_14partition_implILS5_1ELb0ES3_jN6thrust23THRUST_200600_302600_NS6detail15normal_iteratorINSA_10device_ptrIsEEEEPS6_NSA_18transform_iteratorI7is_evenIsESF_NSA_11use_defaultESK_EENS0_5tupleIJNSA_16discard_iteratorISK_EESF_EEENSM_IJSG_SG_EEES6_PlJS6_EEE10hipError_tPvRmT3_T4_T5_T6_T7_T9_mT8_P12ihipStream_tbDpT10_ENKUlT_T0_E_clISt17integral_constantIbLb1EES1A_IbLb0EEEEDaS16_S17_EUlS16_E_NS1_11comp_targetILNS1_3genE0ELNS1_11target_archE4294967295ELNS1_3gpuE0ELNS1_3repE0EEENS1_30default_config_static_selectorELNS0_4arch9wavefront6targetE1EEEvT1_
    .private_segment_fixed_size: 0
    .sgpr_count:     6
    .sgpr_spill_count: 0
    .symbol:         _ZN7rocprim17ROCPRIM_400000_NS6detail17trampoline_kernelINS0_14default_configENS1_25partition_config_selectorILNS1_17partition_subalgoE1EsNS0_10empty_typeEbEEZZNS1_14partition_implILS5_1ELb0ES3_jN6thrust23THRUST_200600_302600_NS6detail15normal_iteratorINSA_10device_ptrIsEEEEPS6_NSA_18transform_iteratorI7is_evenIsESF_NSA_11use_defaultESK_EENS0_5tupleIJNSA_16discard_iteratorISK_EESF_EEENSM_IJSG_SG_EEES6_PlJS6_EEE10hipError_tPvRmT3_T4_T5_T6_T7_T9_mT8_P12ihipStream_tbDpT10_ENKUlT_T0_E_clISt17integral_constantIbLb1EES1A_IbLb0EEEEDaS16_S17_EUlS16_E_NS1_11comp_targetILNS1_3genE0ELNS1_11target_archE4294967295ELNS1_3gpuE0ELNS1_3repE0EEENS1_30default_config_static_selectorELNS0_4arch9wavefront6targetE1EEEvT1_.kd
    .uniform_work_group_size: 1
    .uses_dynamic_stack: false
    .vgpr_count:     0
    .vgpr_spill_count: 0
    .wavefront_size: 64
  - .agpr_count:     0
    .args:
      - .offset:         0
        .size:           136
        .value_kind:     by_value
    .group_segment_fixed_size: 28680
    .kernarg_segment_align: 8
    .kernarg_segment_size: 136
    .language:       OpenCL C
    .language_version:
      - 2
      - 0
    .max_flat_workgroup_size: 512
    .name:           _ZN7rocprim17ROCPRIM_400000_NS6detail17trampoline_kernelINS0_14default_configENS1_25partition_config_selectorILNS1_17partition_subalgoE1EsNS0_10empty_typeEbEEZZNS1_14partition_implILS5_1ELb0ES3_jN6thrust23THRUST_200600_302600_NS6detail15normal_iteratorINSA_10device_ptrIsEEEEPS6_NSA_18transform_iteratorI7is_evenIsESF_NSA_11use_defaultESK_EENS0_5tupleIJNSA_16discard_iteratorISK_EESF_EEENSM_IJSG_SG_EEES6_PlJS6_EEE10hipError_tPvRmT3_T4_T5_T6_T7_T9_mT8_P12ihipStream_tbDpT10_ENKUlT_T0_E_clISt17integral_constantIbLb1EES1A_IbLb0EEEEDaS16_S17_EUlS16_E_NS1_11comp_targetILNS1_3genE5ELNS1_11target_archE942ELNS1_3gpuE9ELNS1_3repE0EEENS1_30default_config_static_selectorELNS0_4arch9wavefront6targetE1EEEvT1_
    .private_segment_fixed_size: 0
    .sgpr_count:     50
    .sgpr_spill_count: 0
    .symbol:         _ZN7rocprim17ROCPRIM_400000_NS6detail17trampoline_kernelINS0_14default_configENS1_25partition_config_selectorILNS1_17partition_subalgoE1EsNS0_10empty_typeEbEEZZNS1_14partition_implILS5_1ELb0ES3_jN6thrust23THRUST_200600_302600_NS6detail15normal_iteratorINSA_10device_ptrIsEEEEPS6_NSA_18transform_iteratorI7is_evenIsESF_NSA_11use_defaultESK_EENS0_5tupleIJNSA_16discard_iteratorISK_EESF_EEENSM_IJSG_SG_EEES6_PlJS6_EEE10hipError_tPvRmT3_T4_T5_T6_T7_T9_mT8_P12ihipStream_tbDpT10_ENKUlT_T0_E_clISt17integral_constantIbLb1EES1A_IbLb0EEEEDaS16_S17_EUlS16_E_NS1_11comp_targetILNS1_3genE5ELNS1_11target_archE942ELNS1_3gpuE9ELNS1_3repE0EEENS1_30default_config_static_selectorELNS0_4arch9wavefront6targetE1EEEvT1_.kd
    .uniform_work_group_size: 1
    .uses_dynamic_stack: false
    .vgpr_count:     79
    .vgpr_spill_count: 0
    .wavefront_size: 64
  - .agpr_count:     0
    .args:
      - .offset:         0
        .size:           136
        .value_kind:     by_value
    .group_segment_fixed_size: 0
    .kernarg_segment_align: 8
    .kernarg_segment_size: 136
    .language:       OpenCL C
    .language_version:
      - 2
      - 0
    .max_flat_workgroup_size: 256
    .name:           _ZN7rocprim17ROCPRIM_400000_NS6detail17trampoline_kernelINS0_14default_configENS1_25partition_config_selectorILNS1_17partition_subalgoE1EsNS0_10empty_typeEbEEZZNS1_14partition_implILS5_1ELb0ES3_jN6thrust23THRUST_200600_302600_NS6detail15normal_iteratorINSA_10device_ptrIsEEEEPS6_NSA_18transform_iteratorI7is_evenIsESF_NSA_11use_defaultESK_EENS0_5tupleIJNSA_16discard_iteratorISK_EESF_EEENSM_IJSG_SG_EEES6_PlJS6_EEE10hipError_tPvRmT3_T4_T5_T6_T7_T9_mT8_P12ihipStream_tbDpT10_ENKUlT_T0_E_clISt17integral_constantIbLb1EES1A_IbLb0EEEEDaS16_S17_EUlS16_E_NS1_11comp_targetILNS1_3genE4ELNS1_11target_archE910ELNS1_3gpuE8ELNS1_3repE0EEENS1_30default_config_static_selectorELNS0_4arch9wavefront6targetE1EEEvT1_
    .private_segment_fixed_size: 0
    .sgpr_count:     6
    .sgpr_spill_count: 0
    .symbol:         _ZN7rocprim17ROCPRIM_400000_NS6detail17trampoline_kernelINS0_14default_configENS1_25partition_config_selectorILNS1_17partition_subalgoE1EsNS0_10empty_typeEbEEZZNS1_14partition_implILS5_1ELb0ES3_jN6thrust23THRUST_200600_302600_NS6detail15normal_iteratorINSA_10device_ptrIsEEEEPS6_NSA_18transform_iteratorI7is_evenIsESF_NSA_11use_defaultESK_EENS0_5tupleIJNSA_16discard_iteratorISK_EESF_EEENSM_IJSG_SG_EEES6_PlJS6_EEE10hipError_tPvRmT3_T4_T5_T6_T7_T9_mT8_P12ihipStream_tbDpT10_ENKUlT_T0_E_clISt17integral_constantIbLb1EES1A_IbLb0EEEEDaS16_S17_EUlS16_E_NS1_11comp_targetILNS1_3genE4ELNS1_11target_archE910ELNS1_3gpuE8ELNS1_3repE0EEENS1_30default_config_static_selectorELNS0_4arch9wavefront6targetE1EEEvT1_.kd
    .uniform_work_group_size: 1
    .uses_dynamic_stack: false
    .vgpr_count:     0
    .vgpr_spill_count: 0
    .wavefront_size: 64
  - .agpr_count:     0
    .args:
      - .offset:         0
        .size:           136
        .value_kind:     by_value
    .group_segment_fixed_size: 0
    .kernarg_segment_align: 8
    .kernarg_segment_size: 136
    .language:       OpenCL C
    .language_version:
      - 2
      - 0
    .max_flat_workgroup_size: 256
    .name:           _ZN7rocprim17ROCPRIM_400000_NS6detail17trampoline_kernelINS0_14default_configENS1_25partition_config_selectorILNS1_17partition_subalgoE1EsNS0_10empty_typeEbEEZZNS1_14partition_implILS5_1ELb0ES3_jN6thrust23THRUST_200600_302600_NS6detail15normal_iteratorINSA_10device_ptrIsEEEEPS6_NSA_18transform_iteratorI7is_evenIsESF_NSA_11use_defaultESK_EENS0_5tupleIJNSA_16discard_iteratorISK_EESF_EEENSM_IJSG_SG_EEES6_PlJS6_EEE10hipError_tPvRmT3_T4_T5_T6_T7_T9_mT8_P12ihipStream_tbDpT10_ENKUlT_T0_E_clISt17integral_constantIbLb1EES1A_IbLb0EEEEDaS16_S17_EUlS16_E_NS1_11comp_targetILNS1_3genE3ELNS1_11target_archE908ELNS1_3gpuE7ELNS1_3repE0EEENS1_30default_config_static_selectorELNS0_4arch9wavefront6targetE1EEEvT1_
    .private_segment_fixed_size: 0
    .sgpr_count:     6
    .sgpr_spill_count: 0
    .symbol:         _ZN7rocprim17ROCPRIM_400000_NS6detail17trampoline_kernelINS0_14default_configENS1_25partition_config_selectorILNS1_17partition_subalgoE1EsNS0_10empty_typeEbEEZZNS1_14partition_implILS5_1ELb0ES3_jN6thrust23THRUST_200600_302600_NS6detail15normal_iteratorINSA_10device_ptrIsEEEEPS6_NSA_18transform_iteratorI7is_evenIsESF_NSA_11use_defaultESK_EENS0_5tupleIJNSA_16discard_iteratorISK_EESF_EEENSM_IJSG_SG_EEES6_PlJS6_EEE10hipError_tPvRmT3_T4_T5_T6_T7_T9_mT8_P12ihipStream_tbDpT10_ENKUlT_T0_E_clISt17integral_constantIbLb1EES1A_IbLb0EEEEDaS16_S17_EUlS16_E_NS1_11comp_targetILNS1_3genE3ELNS1_11target_archE908ELNS1_3gpuE7ELNS1_3repE0EEENS1_30default_config_static_selectorELNS0_4arch9wavefront6targetE1EEEvT1_.kd
    .uniform_work_group_size: 1
    .uses_dynamic_stack: false
    .vgpr_count:     0
    .vgpr_spill_count: 0
    .wavefront_size: 64
  - .agpr_count:     0
    .args:
      - .offset:         0
        .size:           136
        .value_kind:     by_value
    .group_segment_fixed_size: 0
    .kernarg_segment_align: 8
    .kernarg_segment_size: 136
    .language:       OpenCL C
    .language_version:
      - 2
      - 0
    .max_flat_workgroup_size: 256
    .name:           _ZN7rocprim17ROCPRIM_400000_NS6detail17trampoline_kernelINS0_14default_configENS1_25partition_config_selectorILNS1_17partition_subalgoE1EsNS0_10empty_typeEbEEZZNS1_14partition_implILS5_1ELb0ES3_jN6thrust23THRUST_200600_302600_NS6detail15normal_iteratorINSA_10device_ptrIsEEEEPS6_NSA_18transform_iteratorI7is_evenIsESF_NSA_11use_defaultESK_EENS0_5tupleIJNSA_16discard_iteratorISK_EESF_EEENSM_IJSG_SG_EEES6_PlJS6_EEE10hipError_tPvRmT3_T4_T5_T6_T7_T9_mT8_P12ihipStream_tbDpT10_ENKUlT_T0_E_clISt17integral_constantIbLb1EES1A_IbLb0EEEEDaS16_S17_EUlS16_E_NS1_11comp_targetILNS1_3genE2ELNS1_11target_archE906ELNS1_3gpuE6ELNS1_3repE0EEENS1_30default_config_static_selectorELNS0_4arch9wavefront6targetE1EEEvT1_
    .private_segment_fixed_size: 0
    .sgpr_count:     6
    .sgpr_spill_count: 0
    .symbol:         _ZN7rocprim17ROCPRIM_400000_NS6detail17trampoline_kernelINS0_14default_configENS1_25partition_config_selectorILNS1_17partition_subalgoE1EsNS0_10empty_typeEbEEZZNS1_14partition_implILS5_1ELb0ES3_jN6thrust23THRUST_200600_302600_NS6detail15normal_iteratorINSA_10device_ptrIsEEEEPS6_NSA_18transform_iteratorI7is_evenIsESF_NSA_11use_defaultESK_EENS0_5tupleIJNSA_16discard_iteratorISK_EESF_EEENSM_IJSG_SG_EEES6_PlJS6_EEE10hipError_tPvRmT3_T4_T5_T6_T7_T9_mT8_P12ihipStream_tbDpT10_ENKUlT_T0_E_clISt17integral_constantIbLb1EES1A_IbLb0EEEEDaS16_S17_EUlS16_E_NS1_11comp_targetILNS1_3genE2ELNS1_11target_archE906ELNS1_3gpuE6ELNS1_3repE0EEENS1_30default_config_static_selectorELNS0_4arch9wavefront6targetE1EEEvT1_.kd
    .uniform_work_group_size: 1
    .uses_dynamic_stack: false
    .vgpr_count:     0
    .vgpr_spill_count: 0
    .wavefront_size: 64
  - .agpr_count:     0
    .args:
      - .offset:         0
        .size:           136
        .value_kind:     by_value
    .group_segment_fixed_size: 0
    .kernarg_segment_align: 8
    .kernarg_segment_size: 136
    .language:       OpenCL C
    .language_version:
      - 2
      - 0
    .max_flat_workgroup_size: 384
    .name:           _ZN7rocprim17ROCPRIM_400000_NS6detail17trampoline_kernelINS0_14default_configENS1_25partition_config_selectorILNS1_17partition_subalgoE1EsNS0_10empty_typeEbEEZZNS1_14partition_implILS5_1ELb0ES3_jN6thrust23THRUST_200600_302600_NS6detail15normal_iteratorINSA_10device_ptrIsEEEEPS6_NSA_18transform_iteratorI7is_evenIsESF_NSA_11use_defaultESK_EENS0_5tupleIJNSA_16discard_iteratorISK_EESF_EEENSM_IJSG_SG_EEES6_PlJS6_EEE10hipError_tPvRmT3_T4_T5_T6_T7_T9_mT8_P12ihipStream_tbDpT10_ENKUlT_T0_E_clISt17integral_constantIbLb1EES1A_IbLb0EEEEDaS16_S17_EUlS16_E_NS1_11comp_targetILNS1_3genE10ELNS1_11target_archE1200ELNS1_3gpuE4ELNS1_3repE0EEENS1_30default_config_static_selectorELNS0_4arch9wavefront6targetE1EEEvT1_
    .private_segment_fixed_size: 0
    .sgpr_count:     6
    .sgpr_spill_count: 0
    .symbol:         _ZN7rocprim17ROCPRIM_400000_NS6detail17trampoline_kernelINS0_14default_configENS1_25partition_config_selectorILNS1_17partition_subalgoE1EsNS0_10empty_typeEbEEZZNS1_14partition_implILS5_1ELb0ES3_jN6thrust23THRUST_200600_302600_NS6detail15normal_iteratorINSA_10device_ptrIsEEEEPS6_NSA_18transform_iteratorI7is_evenIsESF_NSA_11use_defaultESK_EENS0_5tupleIJNSA_16discard_iteratorISK_EESF_EEENSM_IJSG_SG_EEES6_PlJS6_EEE10hipError_tPvRmT3_T4_T5_T6_T7_T9_mT8_P12ihipStream_tbDpT10_ENKUlT_T0_E_clISt17integral_constantIbLb1EES1A_IbLb0EEEEDaS16_S17_EUlS16_E_NS1_11comp_targetILNS1_3genE10ELNS1_11target_archE1200ELNS1_3gpuE4ELNS1_3repE0EEENS1_30default_config_static_selectorELNS0_4arch9wavefront6targetE1EEEvT1_.kd
    .uniform_work_group_size: 1
    .uses_dynamic_stack: false
    .vgpr_count:     0
    .vgpr_spill_count: 0
    .wavefront_size: 64
  - .agpr_count:     0
    .args:
      - .offset:         0
        .size:           136
        .value_kind:     by_value
    .group_segment_fixed_size: 0
    .kernarg_segment_align: 8
    .kernarg_segment_size: 136
    .language:       OpenCL C
    .language_version:
      - 2
      - 0
    .max_flat_workgroup_size: 128
    .name:           _ZN7rocprim17ROCPRIM_400000_NS6detail17trampoline_kernelINS0_14default_configENS1_25partition_config_selectorILNS1_17partition_subalgoE1EsNS0_10empty_typeEbEEZZNS1_14partition_implILS5_1ELb0ES3_jN6thrust23THRUST_200600_302600_NS6detail15normal_iteratorINSA_10device_ptrIsEEEEPS6_NSA_18transform_iteratorI7is_evenIsESF_NSA_11use_defaultESK_EENS0_5tupleIJNSA_16discard_iteratorISK_EESF_EEENSM_IJSG_SG_EEES6_PlJS6_EEE10hipError_tPvRmT3_T4_T5_T6_T7_T9_mT8_P12ihipStream_tbDpT10_ENKUlT_T0_E_clISt17integral_constantIbLb1EES1A_IbLb0EEEEDaS16_S17_EUlS16_E_NS1_11comp_targetILNS1_3genE9ELNS1_11target_archE1100ELNS1_3gpuE3ELNS1_3repE0EEENS1_30default_config_static_selectorELNS0_4arch9wavefront6targetE1EEEvT1_
    .private_segment_fixed_size: 0
    .sgpr_count:     6
    .sgpr_spill_count: 0
    .symbol:         _ZN7rocprim17ROCPRIM_400000_NS6detail17trampoline_kernelINS0_14default_configENS1_25partition_config_selectorILNS1_17partition_subalgoE1EsNS0_10empty_typeEbEEZZNS1_14partition_implILS5_1ELb0ES3_jN6thrust23THRUST_200600_302600_NS6detail15normal_iteratorINSA_10device_ptrIsEEEEPS6_NSA_18transform_iteratorI7is_evenIsESF_NSA_11use_defaultESK_EENS0_5tupleIJNSA_16discard_iteratorISK_EESF_EEENSM_IJSG_SG_EEES6_PlJS6_EEE10hipError_tPvRmT3_T4_T5_T6_T7_T9_mT8_P12ihipStream_tbDpT10_ENKUlT_T0_E_clISt17integral_constantIbLb1EES1A_IbLb0EEEEDaS16_S17_EUlS16_E_NS1_11comp_targetILNS1_3genE9ELNS1_11target_archE1100ELNS1_3gpuE3ELNS1_3repE0EEENS1_30default_config_static_selectorELNS0_4arch9wavefront6targetE1EEEvT1_.kd
    .uniform_work_group_size: 1
    .uses_dynamic_stack: false
    .vgpr_count:     0
    .vgpr_spill_count: 0
    .wavefront_size: 64
  - .agpr_count:     0
    .args:
      - .offset:         0
        .size:           136
        .value_kind:     by_value
    .group_segment_fixed_size: 0
    .kernarg_segment_align: 8
    .kernarg_segment_size: 136
    .language:       OpenCL C
    .language_version:
      - 2
      - 0
    .max_flat_workgroup_size: 512
    .name:           _ZN7rocprim17ROCPRIM_400000_NS6detail17trampoline_kernelINS0_14default_configENS1_25partition_config_selectorILNS1_17partition_subalgoE1EsNS0_10empty_typeEbEEZZNS1_14partition_implILS5_1ELb0ES3_jN6thrust23THRUST_200600_302600_NS6detail15normal_iteratorINSA_10device_ptrIsEEEEPS6_NSA_18transform_iteratorI7is_evenIsESF_NSA_11use_defaultESK_EENS0_5tupleIJNSA_16discard_iteratorISK_EESF_EEENSM_IJSG_SG_EEES6_PlJS6_EEE10hipError_tPvRmT3_T4_T5_T6_T7_T9_mT8_P12ihipStream_tbDpT10_ENKUlT_T0_E_clISt17integral_constantIbLb1EES1A_IbLb0EEEEDaS16_S17_EUlS16_E_NS1_11comp_targetILNS1_3genE8ELNS1_11target_archE1030ELNS1_3gpuE2ELNS1_3repE0EEENS1_30default_config_static_selectorELNS0_4arch9wavefront6targetE1EEEvT1_
    .private_segment_fixed_size: 0
    .sgpr_count:     6
    .sgpr_spill_count: 0
    .symbol:         _ZN7rocprim17ROCPRIM_400000_NS6detail17trampoline_kernelINS0_14default_configENS1_25partition_config_selectorILNS1_17partition_subalgoE1EsNS0_10empty_typeEbEEZZNS1_14partition_implILS5_1ELb0ES3_jN6thrust23THRUST_200600_302600_NS6detail15normal_iteratorINSA_10device_ptrIsEEEEPS6_NSA_18transform_iteratorI7is_evenIsESF_NSA_11use_defaultESK_EENS0_5tupleIJNSA_16discard_iteratorISK_EESF_EEENSM_IJSG_SG_EEES6_PlJS6_EEE10hipError_tPvRmT3_T4_T5_T6_T7_T9_mT8_P12ihipStream_tbDpT10_ENKUlT_T0_E_clISt17integral_constantIbLb1EES1A_IbLb0EEEEDaS16_S17_EUlS16_E_NS1_11comp_targetILNS1_3genE8ELNS1_11target_archE1030ELNS1_3gpuE2ELNS1_3repE0EEENS1_30default_config_static_selectorELNS0_4arch9wavefront6targetE1EEEvT1_.kd
    .uniform_work_group_size: 1
    .uses_dynamic_stack: false
    .vgpr_count:     0
    .vgpr_spill_count: 0
    .wavefront_size: 64
  - .agpr_count:     0
    .args:
      - .offset:         0
        .size:           152
        .value_kind:     by_value
    .group_segment_fixed_size: 0
    .kernarg_segment_align: 8
    .kernarg_segment_size: 152
    .language:       OpenCL C
    .language_version:
      - 2
      - 0
    .max_flat_workgroup_size: 256
    .name:           _ZN7rocprim17ROCPRIM_400000_NS6detail17trampoline_kernelINS0_14default_configENS1_25partition_config_selectorILNS1_17partition_subalgoE1EsNS0_10empty_typeEbEEZZNS1_14partition_implILS5_1ELb0ES3_jN6thrust23THRUST_200600_302600_NS6detail15normal_iteratorINSA_10device_ptrIsEEEEPS6_NSA_18transform_iteratorI7is_evenIsESF_NSA_11use_defaultESK_EENS0_5tupleIJNSA_16discard_iteratorISK_EESF_EEENSM_IJSG_SG_EEES6_PlJS6_EEE10hipError_tPvRmT3_T4_T5_T6_T7_T9_mT8_P12ihipStream_tbDpT10_ENKUlT_T0_E_clISt17integral_constantIbLb0EES1A_IbLb1EEEEDaS16_S17_EUlS16_E_NS1_11comp_targetILNS1_3genE0ELNS1_11target_archE4294967295ELNS1_3gpuE0ELNS1_3repE0EEENS1_30default_config_static_selectorELNS0_4arch9wavefront6targetE1EEEvT1_
    .private_segment_fixed_size: 0
    .sgpr_count:     6
    .sgpr_spill_count: 0
    .symbol:         _ZN7rocprim17ROCPRIM_400000_NS6detail17trampoline_kernelINS0_14default_configENS1_25partition_config_selectorILNS1_17partition_subalgoE1EsNS0_10empty_typeEbEEZZNS1_14partition_implILS5_1ELb0ES3_jN6thrust23THRUST_200600_302600_NS6detail15normal_iteratorINSA_10device_ptrIsEEEEPS6_NSA_18transform_iteratorI7is_evenIsESF_NSA_11use_defaultESK_EENS0_5tupleIJNSA_16discard_iteratorISK_EESF_EEENSM_IJSG_SG_EEES6_PlJS6_EEE10hipError_tPvRmT3_T4_T5_T6_T7_T9_mT8_P12ihipStream_tbDpT10_ENKUlT_T0_E_clISt17integral_constantIbLb0EES1A_IbLb1EEEEDaS16_S17_EUlS16_E_NS1_11comp_targetILNS1_3genE0ELNS1_11target_archE4294967295ELNS1_3gpuE0ELNS1_3repE0EEENS1_30default_config_static_selectorELNS0_4arch9wavefront6targetE1EEEvT1_.kd
    .uniform_work_group_size: 1
    .uses_dynamic_stack: false
    .vgpr_count:     0
    .vgpr_spill_count: 0
    .wavefront_size: 64
  - .agpr_count:     0
    .args:
      - .offset:         0
        .size:           152
        .value_kind:     by_value
    .group_segment_fixed_size: 28680
    .kernarg_segment_align: 8
    .kernarg_segment_size: 152
    .language:       OpenCL C
    .language_version:
      - 2
      - 0
    .max_flat_workgroup_size: 512
    .name:           _ZN7rocprim17ROCPRIM_400000_NS6detail17trampoline_kernelINS0_14default_configENS1_25partition_config_selectorILNS1_17partition_subalgoE1EsNS0_10empty_typeEbEEZZNS1_14partition_implILS5_1ELb0ES3_jN6thrust23THRUST_200600_302600_NS6detail15normal_iteratorINSA_10device_ptrIsEEEEPS6_NSA_18transform_iteratorI7is_evenIsESF_NSA_11use_defaultESK_EENS0_5tupleIJNSA_16discard_iteratorISK_EESF_EEENSM_IJSG_SG_EEES6_PlJS6_EEE10hipError_tPvRmT3_T4_T5_T6_T7_T9_mT8_P12ihipStream_tbDpT10_ENKUlT_T0_E_clISt17integral_constantIbLb0EES1A_IbLb1EEEEDaS16_S17_EUlS16_E_NS1_11comp_targetILNS1_3genE5ELNS1_11target_archE942ELNS1_3gpuE9ELNS1_3repE0EEENS1_30default_config_static_selectorELNS0_4arch9wavefront6targetE1EEEvT1_
    .private_segment_fixed_size: 0
    .sgpr_count:     48
    .sgpr_spill_count: 0
    .symbol:         _ZN7rocprim17ROCPRIM_400000_NS6detail17trampoline_kernelINS0_14default_configENS1_25partition_config_selectorILNS1_17partition_subalgoE1EsNS0_10empty_typeEbEEZZNS1_14partition_implILS5_1ELb0ES3_jN6thrust23THRUST_200600_302600_NS6detail15normal_iteratorINSA_10device_ptrIsEEEEPS6_NSA_18transform_iteratorI7is_evenIsESF_NSA_11use_defaultESK_EENS0_5tupleIJNSA_16discard_iteratorISK_EESF_EEENSM_IJSG_SG_EEES6_PlJS6_EEE10hipError_tPvRmT3_T4_T5_T6_T7_T9_mT8_P12ihipStream_tbDpT10_ENKUlT_T0_E_clISt17integral_constantIbLb0EES1A_IbLb1EEEEDaS16_S17_EUlS16_E_NS1_11comp_targetILNS1_3genE5ELNS1_11target_archE942ELNS1_3gpuE9ELNS1_3repE0EEENS1_30default_config_static_selectorELNS0_4arch9wavefront6targetE1EEEvT1_.kd
    .uniform_work_group_size: 1
    .uses_dynamic_stack: false
    .vgpr_count:     83
    .vgpr_spill_count: 0
    .wavefront_size: 64
  - .agpr_count:     0
    .args:
      - .offset:         0
        .size:           152
        .value_kind:     by_value
    .group_segment_fixed_size: 0
    .kernarg_segment_align: 8
    .kernarg_segment_size: 152
    .language:       OpenCL C
    .language_version:
      - 2
      - 0
    .max_flat_workgroup_size: 256
    .name:           _ZN7rocprim17ROCPRIM_400000_NS6detail17trampoline_kernelINS0_14default_configENS1_25partition_config_selectorILNS1_17partition_subalgoE1EsNS0_10empty_typeEbEEZZNS1_14partition_implILS5_1ELb0ES3_jN6thrust23THRUST_200600_302600_NS6detail15normal_iteratorINSA_10device_ptrIsEEEEPS6_NSA_18transform_iteratorI7is_evenIsESF_NSA_11use_defaultESK_EENS0_5tupleIJNSA_16discard_iteratorISK_EESF_EEENSM_IJSG_SG_EEES6_PlJS6_EEE10hipError_tPvRmT3_T4_T5_T6_T7_T9_mT8_P12ihipStream_tbDpT10_ENKUlT_T0_E_clISt17integral_constantIbLb0EES1A_IbLb1EEEEDaS16_S17_EUlS16_E_NS1_11comp_targetILNS1_3genE4ELNS1_11target_archE910ELNS1_3gpuE8ELNS1_3repE0EEENS1_30default_config_static_selectorELNS0_4arch9wavefront6targetE1EEEvT1_
    .private_segment_fixed_size: 0
    .sgpr_count:     6
    .sgpr_spill_count: 0
    .symbol:         _ZN7rocprim17ROCPRIM_400000_NS6detail17trampoline_kernelINS0_14default_configENS1_25partition_config_selectorILNS1_17partition_subalgoE1EsNS0_10empty_typeEbEEZZNS1_14partition_implILS5_1ELb0ES3_jN6thrust23THRUST_200600_302600_NS6detail15normal_iteratorINSA_10device_ptrIsEEEEPS6_NSA_18transform_iteratorI7is_evenIsESF_NSA_11use_defaultESK_EENS0_5tupleIJNSA_16discard_iteratorISK_EESF_EEENSM_IJSG_SG_EEES6_PlJS6_EEE10hipError_tPvRmT3_T4_T5_T6_T7_T9_mT8_P12ihipStream_tbDpT10_ENKUlT_T0_E_clISt17integral_constantIbLb0EES1A_IbLb1EEEEDaS16_S17_EUlS16_E_NS1_11comp_targetILNS1_3genE4ELNS1_11target_archE910ELNS1_3gpuE8ELNS1_3repE0EEENS1_30default_config_static_selectorELNS0_4arch9wavefront6targetE1EEEvT1_.kd
    .uniform_work_group_size: 1
    .uses_dynamic_stack: false
    .vgpr_count:     0
    .vgpr_spill_count: 0
    .wavefront_size: 64
  - .agpr_count:     0
    .args:
      - .offset:         0
        .size:           152
        .value_kind:     by_value
    .group_segment_fixed_size: 0
    .kernarg_segment_align: 8
    .kernarg_segment_size: 152
    .language:       OpenCL C
    .language_version:
      - 2
      - 0
    .max_flat_workgroup_size: 256
    .name:           _ZN7rocprim17ROCPRIM_400000_NS6detail17trampoline_kernelINS0_14default_configENS1_25partition_config_selectorILNS1_17partition_subalgoE1EsNS0_10empty_typeEbEEZZNS1_14partition_implILS5_1ELb0ES3_jN6thrust23THRUST_200600_302600_NS6detail15normal_iteratorINSA_10device_ptrIsEEEEPS6_NSA_18transform_iteratorI7is_evenIsESF_NSA_11use_defaultESK_EENS0_5tupleIJNSA_16discard_iteratorISK_EESF_EEENSM_IJSG_SG_EEES6_PlJS6_EEE10hipError_tPvRmT3_T4_T5_T6_T7_T9_mT8_P12ihipStream_tbDpT10_ENKUlT_T0_E_clISt17integral_constantIbLb0EES1A_IbLb1EEEEDaS16_S17_EUlS16_E_NS1_11comp_targetILNS1_3genE3ELNS1_11target_archE908ELNS1_3gpuE7ELNS1_3repE0EEENS1_30default_config_static_selectorELNS0_4arch9wavefront6targetE1EEEvT1_
    .private_segment_fixed_size: 0
    .sgpr_count:     6
    .sgpr_spill_count: 0
    .symbol:         _ZN7rocprim17ROCPRIM_400000_NS6detail17trampoline_kernelINS0_14default_configENS1_25partition_config_selectorILNS1_17partition_subalgoE1EsNS0_10empty_typeEbEEZZNS1_14partition_implILS5_1ELb0ES3_jN6thrust23THRUST_200600_302600_NS6detail15normal_iteratorINSA_10device_ptrIsEEEEPS6_NSA_18transform_iteratorI7is_evenIsESF_NSA_11use_defaultESK_EENS0_5tupleIJNSA_16discard_iteratorISK_EESF_EEENSM_IJSG_SG_EEES6_PlJS6_EEE10hipError_tPvRmT3_T4_T5_T6_T7_T9_mT8_P12ihipStream_tbDpT10_ENKUlT_T0_E_clISt17integral_constantIbLb0EES1A_IbLb1EEEEDaS16_S17_EUlS16_E_NS1_11comp_targetILNS1_3genE3ELNS1_11target_archE908ELNS1_3gpuE7ELNS1_3repE0EEENS1_30default_config_static_selectorELNS0_4arch9wavefront6targetE1EEEvT1_.kd
    .uniform_work_group_size: 1
    .uses_dynamic_stack: false
    .vgpr_count:     0
    .vgpr_spill_count: 0
    .wavefront_size: 64
  - .agpr_count:     0
    .args:
      - .offset:         0
        .size:           152
        .value_kind:     by_value
    .group_segment_fixed_size: 0
    .kernarg_segment_align: 8
    .kernarg_segment_size: 152
    .language:       OpenCL C
    .language_version:
      - 2
      - 0
    .max_flat_workgroup_size: 256
    .name:           _ZN7rocprim17ROCPRIM_400000_NS6detail17trampoline_kernelINS0_14default_configENS1_25partition_config_selectorILNS1_17partition_subalgoE1EsNS0_10empty_typeEbEEZZNS1_14partition_implILS5_1ELb0ES3_jN6thrust23THRUST_200600_302600_NS6detail15normal_iteratorINSA_10device_ptrIsEEEEPS6_NSA_18transform_iteratorI7is_evenIsESF_NSA_11use_defaultESK_EENS0_5tupleIJNSA_16discard_iteratorISK_EESF_EEENSM_IJSG_SG_EEES6_PlJS6_EEE10hipError_tPvRmT3_T4_T5_T6_T7_T9_mT8_P12ihipStream_tbDpT10_ENKUlT_T0_E_clISt17integral_constantIbLb0EES1A_IbLb1EEEEDaS16_S17_EUlS16_E_NS1_11comp_targetILNS1_3genE2ELNS1_11target_archE906ELNS1_3gpuE6ELNS1_3repE0EEENS1_30default_config_static_selectorELNS0_4arch9wavefront6targetE1EEEvT1_
    .private_segment_fixed_size: 0
    .sgpr_count:     6
    .sgpr_spill_count: 0
    .symbol:         _ZN7rocprim17ROCPRIM_400000_NS6detail17trampoline_kernelINS0_14default_configENS1_25partition_config_selectorILNS1_17partition_subalgoE1EsNS0_10empty_typeEbEEZZNS1_14partition_implILS5_1ELb0ES3_jN6thrust23THRUST_200600_302600_NS6detail15normal_iteratorINSA_10device_ptrIsEEEEPS6_NSA_18transform_iteratorI7is_evenIsESF_NSA_11use_defaultESK_EENS0_5tupleIJNSA_16discard_iteratorISK_EESF_EEENSM_IJSG_SG_EEES6_PlJS6_EEE10hipError_tPvRmT3_T4_T5_T6_T7_T9_mT8_P12ihipStream_tbDpT10_ENKUlT_T0_E_clISt17integral_constantIbLb0EES1A_IbLb1EEEEDaS16_S17_EUlS16_E_NS1_11comp_targetILNS1_3genE2ELNS1_11target_archE906ELNS1_3gpuE6ELNS1_3repE0EEENS1_30default_config_static_selectorELNS0_4arch9wavefront6targetE1EEEvT1_.kd
    .uniform_work_group_size: 1
    .uses_dynamic_stack: false
    .vgpr_count:     0
    .vgpr_spill_count: 0
    .wavefront_size: 64
  - .agpr_count:     0
    .args:
      - .offset:         0
        .size:           152
        .value_kind:     by_value
    .group_segment_fixed_size: 0
    .kernarg_segment_align: 8
    .kernarg_segment_size: 152
    .language:       OpenCL C
    .language_version:
      - 2
      - 0
    .max_flat_workgroup_size: 384
    .name:           _ZN7rocprim17ROCPRIM_400000_NS6detail17trampoline_kernelINS0_14default_configENS1_25partition_config_selectorILNS1_17partition_subalgoE1EsNS0_10empty_typeEbEEZZNS1_14partition_implILS5_1ELb0ES3_jN6thrust23THRUST_200600_302600_NS6detail15normal_iteratorINSA_10device_ptrIsEEEEPS6_NSA_18transform_iteratorI7is_evenIsESF_NSA_11use_defaultESK_EENS0_5tupleIJNSA_16discard_iteratorISK_EESF_EEENSM_IJSG_SG_EEES6_PlJS6_EEE10hipError_tPvRmT3_T4_T5_T6_T7_T9_mT8_P12ihipStream_tbDpT10_ENKUlT_T0_E_clISt17integral_constantIbLb0EES1A_IbLb1EEEEDaS16_S17_EUlS16_E_NS1_11comp_targetILNS1_3genE10ELNS1_11target_archE1200ELNS1_3gpuE4ELNS1_3repE0EEENS1_30default_config_static_selectorELNS0_4arch9wavefront6targetE1EEEvT1_
    .private_segment_fixed_size: 0
    .sgpr_count:     6
    .sgpr_spill_count: 0
    .symbol:         _ZN7rocprim17ROCPRIM_400000_NS6detail17trampoline_kernelINS0_14default_configENS1_25partition_config_selectorILNS1_17partition_subalgoE1EsNS0_10empty_typeEbEEZZNS1_14partition_implILS5_1ELb0ES3_jN6thrust23THRUST_200600_302600_NS6detail15normal_iteratorINSA_10device_ptrIsEEEEPS6_NSA_18transform_iteratorI7is_evenIsESF_NSA_11use_defaultESK_EENS0_5tupleIJNSA_16discard_iteratorISK_EESF_EEENSM_IJSG_SG_EEES6_PlJS6_EEE10hipError_tPvRmT3_T4_T5_T6_T7_T9_mT8_P12ihipStream_tbDpT10_ENKUlT_T0_E_clISt17integral_constantIbLb0EES1A_IbLb1EEEEDaS16_S17_EUlS16_E_NS1_11comp_targetILNS1_3genE10ELNS1_11target_archE1200ELNS1_3gpuE4ELNS1_3repE0EEENS1_30default_config_static_selectorELNS0_4arch9wavefront6targetE1EEEvT1_.kd
    .uniform_work_group_size: 1
    .uses_dynamic_stack: false
    .vgpr_count:     0
    .vgpr_spill_count: 0
    .wavefront_size: 64
  - .agpr_count:     0
    .args:
      - .offset:         0
        .size:           152
        .value_kind:     by_value
    .group_segment_fixed_size: 0
    .kernarg_segment_align: 8
    .kernarg_segment_size: 152
    .language:       OpenCL C
    .language_version:
      - 2
      - 0
    .max_flat_workgroup_size: 128
    .name:           _ZN7rocprim17ROCPRIM_400000_NS6detail17trampoline_kernelINS0_14default_configENS1_25partition_config_selectorILNS1_17partition_subalgoE1EsNS0_10empty_typeEbEEZZNS1_14partition_implILS5_1ELb0ES3_jN6thrust23THRUST_200600_302600_NS6detail15normal_iteratorINSA_10device_ptrIsEEEEPS6_NSA_18transform_iteratorI7is_evenIsESF_NSA_11use_defaultESK_EENS0_5tupleIJNSA_16discard_iteratorISK_EESF_EEENSM_IJSG_SG_EEES6_PlJS6_EEE10hipError_tPvRmT3_T4_T5_T6_T7_T9_mT8_P12ihipStream_tbDpT10_ENKUlT_T0_E_clISt17integral_constantIbLb0EES1A_IbLb1EEEEDaS16_S17_EUlS16_E_NS1_11comp_targetILNS1_3genE9ELNS1_11target_archE1100ELNS1_3gpuE3ELNS1_3repE0EEENS1_30default_config_static_selectorELNS0_4arch9wavefront6targetE1EEEvT1_
    .private_segment_fixed_size: 0
    .sgpr_count:     6
    .sgpr_spill_count: 0
    .symbol:         _ZN7rocprim17ROCPRIM_400000_NS6detail17trampoline_kernelINS0_14default_configENS1_25partition_config_selectorILNS1_17partition_subalgoE1EsNS0_10empty_typeEbEEZZNS1_14partition_implILS5_1ELb0ES3_jN6thrust23THRUST_200600_302600_NS6detail15normal_iteratorINSA_10device_ptrIsEEEEPS6_NSA_18transform_iteratorI7is_evenIsESF_NSA_11use_defaultESK_EENS0_5tupleIJNSA_16discard_iteratorISK_EESF_EEENSM_IJSG_SG_EEES6_PlJS6_EEE10hipError_tPvRmT3_T4_T5_T6_T7_T9_mT8_P12ihipStream_tbDpT10_ENKUlT_T0_E_clISt17integral_constantIbLb0EES1A_IbLb1EEEEDaS16_S17_EUlS16_E_NS1_11comp_targetILNS1_3genE9ELNS1_11target_archE1100ELNS1_3gpuE3ELNS1_3repE0EEENS1_30default_config_static_selectorELNS0_4arch9wavefront6targetE1EEEvT1_.kd
    .uniform_work_group_size: 1
    .uses_dynamic_stack: false
    .vgpr_count:     0
    .vgpr_spill_count: 0
    .wavefront_size: 64
  - .agpr_count:     0
    .args:
      - .offset:         0
        .size:           152
        .value_kind:     by_value
    .group_segment_fixed_size: 0
    .kernarg_segment_align: 8
    .kernarg_segment_size: 152
    .language:       OpenCL C
    .language_version:
      - 2
      - 0
    .max_flat_workgroup_size: 512
    .name:           _ZN7rocprim17ROCPRIM_400000_NS6detail17trampoline_kernelINS0_14default_configENS1_25partition_config_selectorILNS1_17partition_subalgoE1EsNS0_10empty_typeEbEEZZNS1_14partition_implILS5_1ELb0ES3_jN6thrust23THRUST_200600_302600_NS6detail15normal_iteratorINSA_10device_ptrIsEEEEPS6_NSA_18transform_iteratorI7is_evenIsESF_NSA_11use_defaultESK_EENS0_5tupleIJNSA_16discard_iteratorISK_EESF_EEENSM_IJSG_SG_EEES6_PlJS6_EEE10hipError_tPvRmT3_T4_T5_T6_T7_T9_mT8_P12ihipStream_tbDpT10_ENKUlT_T0_E_clISt17integral_constantIbLb0EES1A_IbLb1EEEEDaS16_S17_EUlS16_E_NS1_11comp_targetILNS1_3genE8ELNS1_11target_archE1030ELNS1_3gpuE2ELNS1_3repE0EEENS1_30default_config_static_selectorELNS0_4arch9wavefront6targetE1EEEvT1_
    .private_segment_fixed_size: 0
    .sgpr_count:     6
    .sgpr_spill_count: 0
    .symbol:         _ZN7rocprim17ROCPRIM_400000_NS6detail17trampoline_kernelINS0_14default_configENS1_25partition_config_selectorILNS1_17partition_subalgoE1EsNS0_10empty_typeEbEEZZNS1_14partition_implILS5_1ELb0ES3_jN6thrust23THRUST_200600_302600_NS6detail15normal_iteratorINSA_10device_ptrIsEEEEPS6_NSA_18transform_iteratorI7is_evenIsESF_NSA_11use_defaultESK_EENS0_5tupleIJNSA_16discard_iteratorISK_EESF_EEENSM_IJSG_SG_EEES6_PlJS6_EEE10hipError_tPvRmT3_T4_T5_T6_T7_T9_mT8_P12ihipStream_tbDpT10_ENKUlT_T0_E_clISt17integral_constantIbLb0EES1A_IbLb1EEEEDaS16_S17_EUlS16_E_NS1_11comp_targetILNS1_3genE8ELNS1_11target_archE1030ELNS1_3gpuE2ELNS1_3repE0EEENS1_30default_config_static_selectorELNS0_4arch9wavefront6targetE1EEEvT1_.kd
    .uniform_work_group_size: 1
    .uses_dynamic_stack: false
    .vgpr_count:     0
    .vgpr_spill_count: 0
    .wavefront_size: 64
  - .agpr_count:     0
    .args:
      - .offset:         0
        .size:           16
        .value_kind:     by_value
      - .offset:         16
        .size:           8
        .value_kind:     by_value
      - .offset:         24
        .size:           8
        .value_kind:     by_value
    .group_segment_fixed_size: 0
    .kernarg_segment_align: 8
    .kernarg_segment_size: 32
    .language:       OpenCL C
    .language_version:
      - 2
      - 0
    .max_flat_workgroup_size: 256
    .name:           _ZN6thrust23THRUST_200600_302600_NS11hip_rocprim14__parallel_for6kernelILj256ENS1_10for_each_fINS0_7pointerINS0_5tupleIxxNS0_9null_typeES7_S7_S7_S7_S7_S7_S7_EENS1_3tagENS0_11use_defaultESA_EENS0_6detail16wrapped_functionINSC_23allocator_traits_detail24construct1_via_allocatorINSC_18no_throw_allocatorINSC_19temporary_allocatorIS8_S9_EEEEEEvEEEEmLj1EEEvT0_T1_SO_
    .private_segment_fixed_size: 0
    .sgpr_count:     18
    .sgpr_spill_count: 0
    .symbol:         _ZN6thrust23THRUST_200600_302600_NS11hip_rocprim14__parallel_for6kernelILj256ENS1_10for_each_fINS0_7pointerINS0_5tupleIxxNS0_9null_typeES7_S7_S7_S7_S7_S7_S7_EENS1_3tagENS0_11use_defaultESA_EENS0_6detail16wrapped_functionINSC_23allocator_traits_detail24construct1_via_allocatorINSC_18no_throw_allocatorINSC_19temporary_allocatorIS8_S9_EEEEEEvEEEEmLj1EEEvT0_T1_SO_.kd
    .uniform_work_group_size: 1
    .uses_dynamic_stack: false
    .vgpr_count:     8
    .vgpr_spill_count: 0
    .wavefront_size: 64
  - .agpr_count:     0
    .args:
      - .offset:         0
        .size:           16
        .value_kind:     by_value
      - .offset:         16
        .size:           8
        .value_kind:     by_value
      - .offset:         24
        .size:           8
        .value_kind:     by_value
    .group_segment_fixed_size: 0
    .kernarg_segment_align: 8
    .kernarg_segment_size: 32
    .language:       OpenCL C
    .language_version:
      - 2
      - 0
    .max_flat_workgroup_size: 256
    .name:           _ZN6thrust23THRUST_200600_302600_NS11hip_rocprim14__parallel_for6kernelILj256ENS1_10for_each_fINS0_7pointerINS0_5tupleIxxNS0_9null_typeES7_S7_S7_S7_S7_S7_S7_EENS1_3tagENS0_11use_defaultESA_EENS0_6detail16wrapped_functionINSC_23allocator_traits_detail5gozerEvEEEElLj1EEEvT0_T1_SJ_
    .private_segment_fixed_size: 0
    .sgpr_count:     6
    .sgpr_spill_count: 0
    .symbol:         _ZN6thrust23THRUST_200600_302600_NS11hip_rocprim14__parallel_for6kernelILj256ENS1_10for_each_fINS0_7pointerINS0_5tupleIxxNS0_9null_typeES7_S7_S7_S7_S7_S7_S7_EENS1_3tagENS0_11use_defaultESA_EENS0_6detail16wrapped_functionINSC_23allocator_traits_detail5gozerEvEEEElLj1EEEvT0_T1_SJ_.kd
    .uniform_work_group_size: 1
    .uses_dynamic_stack: false
    .vgpr_count:     0
    .vgpr_spill_count: 0
    .wavefront_size: 64
  - .agpr_count:     0
    .args:
      - .offset:         0
        .size:           24
        .value_kind:     by_value
      - .offset:         24
        .size:           8
        .value_kind:     by_value
      - .offset:         32
        .size:           8
        .value_kind:     by_value
    .group_segment_fixed_size: 0
    .kernarg_segment_align: 8
    .kernarg_segment_size: 40
    .language:       OpenCL C
    .language_version:
      - 2
      - 0
    .max_flat_workgroup_size: 256
    .name:           _ZN6thrust23THRUST_200600_302600_NS11hip_rocprim14__parallel_for6kernelILj256ENS1_20__uninitialized_copy7functorINS0_12zip_iteratorINS0_5tupleINS0_6detail15normal_iteratorINS0_10device_ptrIxEEEESC_NS0_9null_typeESD_SD_SD_SD_SD_SD_SD_EEEENS9_INS0_7pointerINS7_IxxSD_SD_SD_SD_SD_SD_SD_SD_EENS1_3tagENS0_11use_defaultESJ_EEEEEElLj1EEEvT0_T1_SO_
    .private_segment_fixed_size: 0
    .sgpr_count:     20
    .sgpr_spill_count: 0
    .symbol:         _ZN6thrust23THRUST_200600_302600_NS11hip_rocprim14__parallel_for6kernelILj256ENS1_20__uninitialized_copy7functorINS0_12zip_iteratorINS0_5tupleINS0_6detail15normal_iteratorINS0_10device_ptrIxEEEESC_NS0_9null_typeESD_SD_SD_SD_SD_SD_SD_EEEENS9_INS0_7pointerINS7_IxxSD_SD_SD_SD_SD_SD_SD_SD_EENS1_3tagENS0_11use_defaultESJ_EEEEEElLj1EEEvT0_T1_SO_.kd
    .uniform_work_group_size: 1
    .uses_dynamic_stack: false
    .vgpr_count:     12
    .vgpr_spill_count: 0
    .wavefront_size: 64
  - .agpr_count:     0
    .args:
      - .offset:         0
        .size:           120
        .value_kind:     by_value
    .group_segment_fixed_size: 0
    .kernarg_segment_align: 8
    .kernarg_segment_size: 120
    .language:       OpenCL C
    .language_version:
      - 2
      - 0
    .max_flat_workgroup_size: 128
    .name:           _ZN7rocprim17ROCPRIM_400000_NS6detail17trampoline_kernelINS0_14default_configENS1_25partition_config_selectorILNS1_17partition_subalgoE3EN6thrust23THRUST_200600_302600_NS5tupleIxxNS7_9null_typeES9_S9_S9_S9_S9_S9_S9_EENS0_10empty_typeEbEEZZNS1_14partition_implILS5_3ELb0ES3_jNS7_6detail15normal_iteratorINS7_7pointerISA_NS7_11hip_rocprim3tagENS7_11use_defaultESJ_EEEEPSB_SM_NS0_5tupleIJPSA_SM_EEENSN_IJSM_SM_EEESB_PlJ10is_orderedEEE10hipError_tPvRmT3_T4_T5_T6_T7_T9_mT8_P12ihipStream_tbDpT10_ENKUlT_T0_E_clISt17integral_constantIbLb0EES1C_EEDaS17_S18_EUlS17_E_NS1_11comp_targetILNS1_3genE0ELNS1_11target_archE4294967295ELNS1_3gpuE0ELNS1_3repE0EEENS1_30default_config_static_selectorELNS0_4arch9wavefront6targetE1EEEvT1_
    .private_segment_fixed_size: 0
    .sgpr_count:     6
    .sgpr_spill_count: 0
    .symbol:         _ZN7rocprim17ROCPRIM_400000_NS6detail17trampoline_kernelINS0_14default_configENS1_25partition_config_selectorILNS1_17partition_subalgoE3EN6thrust23THRUST_200600_302600_NS5tupleIxxNS7_9null_typeES9_S9_S9_S9_S9_S9_S9_EENS0_10empty_typeEbEEZZNS1_14partition_implILS5_3ELb0ES3_jNS7_6detail15normal_iteratorINS7_7pointerISA_NS7_11hip_rocprim3tagENS7_11use_defaultESJ_EEEEPSB_SM_NS0_5tupleIJPSA_SM_EEENSN_IJSM_SM_EEESB_PlJ10is_orderedEEE10hipError_tPvRmT3_T4_T5_T6_T7_T9_mT8_P12ihipStream_tbDpT10_ENKUlT_T0_E_clISt17integral_constantIbLb0EES1C_EEDaS17_S18_EUlS17_E_NS1_11comp_targetILNS1_3genE0ELNS1_11target_archE4294967295ELNS1_3gpuE0ELNS1_3repE0EEENS1_30default_config_static_selectorELNS0_4arch9wavefront6targetE1EEEvT1_.kd
    .uniform_work_group_size: 1
    .uses_dynamic_stack: false
    .vgpr_count:     0
    .vgpr_spill_count: 0
    .wavefront_size: 64
  - .agpr_count:     0
    .args:
      - .offset:         0
        .size:           120
        .value_kind:     by_value
    .group_segment_fixed_size: 25352
    .kernarg_segment_align: 8
    .kernarg_segment_size: 120
    .language:       OpenCL C
    .language_version:
      - 2
      - 0
    .max_flat_workgroup_size: 384
    .name:           _ZN7rocprim17ROCPRIM_400000_NS6detail17trampoline_kernelINS0_14default_configENS1_25partition_config_selectorILNS1_17partition_subalgoE3EN6thrust23THRUST_200600_302600_NS5tupleIxxNS7_9null_typeES9_S9_S9_S9_S9_S9_S9_EENS0_10empty_typeEbEEZZNS1_14partition_implILS5_3ELb0ES3_jNS7_6detail15normal_iteratorINS7_7pointerISA_NS7_11hip_rocprim3tagENS7_11use_defaultESJ_EEEEPSB_SM_NS0_5tupleIJPSA_SM_EEENSN_IJSM_SM_EEESB_PlJ10is_orderedEEE10hipError_tPvRmT3_T4_T5_T6_T7_T9_mT8_P12ihipStream_tbDpT10_ENKUlT_T0_E_clISt17integral_constantIbLb0EES1C_EEDaS17_S18_EUlS17_E_NS1_11comp_targetILNS1_3genE5ELNS1_11target_archE942ELNS1_3gpuE9ELNS1_3repE0EEENS1_30default_config_static_selectorELNS0_4arch9wavefront6targetE1EEEvT1_
    .private_segment_fixed_size: 0
    .sgpr_count:     54
    .sgpr_spill_count: 0
    .symbol:         _ZN7rocprim17ROCPRIM_400000_NS6detail17trampoline_kernelINS0_14default_configENS1_25partition_config_selectorILNS1_17partition_subalgoE3EN6thrust23THRUST_200600_302600_NS5tupleIxxNS7_9null_typeES9_S9_S9_S9_S9_S9_S9_EENS0_10empty_typeEbEEZZNS1_14partition_implILS5_3ELb0ES3_jNS7_6detail15normal_iteratorINS7_7pointerISA_NS7_11hip_rocprim3tagENS7_11use_defaultESJ_EEEEPSB_SM_NS0_5tupleIJPSA_SM_EEENSN_IJSM_SM_EEESB_PlJ10is_orderedEEE10hipError_tPvRmT3_T4_T5_T6_T7_T9_mT8_P12ihipStream_tbDpT10_ENKUlT_T0_E_clISt17integral_constantIbLb0EES1C_EEDaS17_S18_EUlS17_E_NS1_11comp_targetILNS1_3genE5ELNS1_11target_archE942ELNS1_3gpuE9ELNS1_3repE0EEENS1_30default_config_static_selectorELNS0_4arch9wavefront6targetE1EEEvT1_.kd
    .uniform_work_group_size: 1
    .uses_dynamic_stack: false
    .vgpr_count:     51
    .vgpr_spill_count: 0
    .wavefront_size: 64
  - .agpr_count:     0
    .args:
      - .offset:         0
        .size:           16
        .value_kind:     by_value
      - .offset:         16
        .size:           8
        .value_kind:     by_value
      - .offset:         24
        .size:           8
        .value_kind:     by_value
    .group_segment_fixed_size: 0
    .kernarg_segment_align: 8
    .kernarg_segment_size: 32
    .language:       OpenCL C
    .language_version:
      - 2
      - 0
    .max_flat_workgroup_size: 256
    .name:           _ZN6thrust23THRUST_200600_302600_NS11hip_rocprim14__parallel_for6kernelILj256ENS1_20__uninitialized_copy7functorINS0_7pointerINS0_5tupleIxxNS0_9null_typeES8_S8_S8_S8_S8_S8_S8_EENS1_3tagENS0_11use_defaultESB_EESC_EEmLj1EEEvT0_T1_SF_
    .private_segment_fixed_size: 0
    .sgpr_count:     18
    .sgpr_spill_count: 0
    .symbol:         _ZN6thrust23THRUST_200600_302600_NS11hip_rocprim14__parallel_for6kernelILj256ENS1_20__uninitialized_copy7functorINS0_7pointerINS0_5tupleIxxNS0_9null_typeES8_S8_S8_S8_S8_S8_S8_EENS1_3tagENS0_11use_defaultESB_EESC_EEmLj1EEEvT0_T1_SF_.kd
    .uniform_work_group_size: 1
    .uses_dynamic_stack: false
    .vgpr_count:     8
    .vgpr_spill_count: 0
    .wavefront_size: 64
  - .agpr_count:     0
    .args:
      - .offset:         0
        .size:           120
        .value_kind:     by_value
    .group_segment_fixed_size: 0
    .kernarg_segment_align: 8
    .kernarg_segment_size: 120
    .language:       OpenCL C
    .language_version:
      - 2
      - 0
    .max_flat_workgroup_size: 256
    .name:           _ZN7rocprim17ROCPRIM_400000_NS6detail17trampoline_kernelINS0_14default_configENS1_25partition_config_selectorILNS1_17partition_subalgoE3EN6thrust23THRUST_200600_302600_NS5tupleIxxNS7_9null_typeES9_S9_S9_S9_S9_S9_S9_EENS0_10empty_typeEbEEZZNS1_14partition_implILS5_3ELb0ES3_jNS7_6detail15normal_iteratorINS7_7pointerISA_NS7_11hip_rocprim3tagENS7_11use_defaultESJ_EEEEPSB_SM_NS0_5tupleIJPSA_SM_EEENSN_IJSM_SM_EEESB_PlJ10is_orderedEEE10hipError_tPvRmT3_T4_T5_T6_T7_T9_mT8_P12ihipStream_tbDpT10_ENKUlT_T0_E_clISt17integral_constantIbLb0EES1C_EEDaS17_S18_EUlS17_E_NS1_11comp_targetILNS1_3genE4ELNS1_11target_archE910ELNS1_3gpuE8ELNS1_3repE0EEENS1_30default_config_static_selectorELNS0_4arch9wavefront6targetE1EEEvT1_
    .private_segment_fixed_size: 0
    .sgpr_count:     6
    .sgpr_spill_count: 0
    .symbol:         _ZN7rocprim17ROCPRIM_400000_NS6detail17trampoline_kernelINS0_14default_configENS1_25partition_config_selectorILNS1_17partition_subalgoE3EN6thrust23THRUST_200600_302600_NS5tupleIxxNS7_9null_typeES9_S9_S9_S9_S9_S9_S9_EENS0_10empty_typeEbEEZZNS1_14partition_implILS5_3ELb0ES3_jNS7_6detail15normal_iteratorINS7_7pointerISA_NS7_11hip_rocprim3tagENS7_11use_defaultESJ_EEEEPSB_SM_NS0_5tupleIJPSA_SM_EEENSN_IJSM_SM_EEESB_PlJ10is_orderedEEE10hipError_tPvRmT3_T4_T5_T6_T7_T9_mT8_P12ihipStream_tbDpT10_ENKUlT_T0_E_clISt17integral_constantIbLb0EES1C_EEDaS17_S18_EUlS17_E_NS1_11comp_targetILNS1_3genE4ELNS1_11target_archE910ELNS1_3gpuE8ELNS1_3repE0EEENS1_30default_config_static_selectorELNS0_4arch9wavefront6targetE1EEEvT1_.kd
    .uniform_work_group_size: 1
    .uses_dynamic_stack: false
    .vgpr_count:     0
    .vgpr_spill_count: 0
    .wavefront_size: 64
  - .agpr_count:     0
    .args:
      - .offset:         0
        .size:           120
        .value_kind:     by_value
    .group_segment_fixed_size: 0
    .kernarg_segment_align: 8
    .kernarg_segment_size: 120
    .language:       OpenCL C
    .language_version:
      - 2
      - 0
    .max_flat_workgroup_size: 128
    .name:           _ZN7rocprim17ROCPRIM_400000_NS6detail17trampoline_kernelINS0_14default_configENS1_25partition_config_selectorILNS1_17partition_subalgoE3EN6thrust23THRUST_200600_302600_NS5tupleIxxNS7_9null_typeES9_S9_S9_S9_S9_S9_S9_EENS0_10empty_typeEbEEZZNS1_14partition_implILS5_3ELb0ES3_jNS7_6detail15normal_iteratorINS7_7pointerISA_NS7_11hip_rocprim3tagENS7_11use_defaultESJ_EEEEPSB_SM_NS0_5tupleIJPSA_SM_EEENSN_IJSM_SM_EEESB_PlJ10is_orderedEEE10hipError_tPvRmT3_T4_T5_T6_T7_T9_mT8_P12ihipStream_tbDpT10_ENKUlT_T0_E_clISt17integral_constantIbLb0EES1C_EEDaS17_S18_EUlS17_E_NS1_11comp_targetILNS1_3genE3ELNS1_11target_archE908ELNS1_3gpuE7ELNS1_3repE0EEENS1_30default_config_static_selectorELNS0_4arch9wavefront6targetE1EEEvT1_
    .private_segment_fixed_size: 0
    .sgpr_count:     6
    .sgpr_spill_count: 0
    .symbol:         _ZN7rocprim17ROCPRIM_400000_NS6detail17trampoline_kernelINS0_14default_configENS1_25partition_config_selectorILNS1_17partition_subalgoE3EN6thrust23THRUST_200600_302600_NS5tupleIxxNS7_9null_typeES9_S9_S9_S9_S9_S9_S9_EENS0_10empty_typeEbEEZZNS1_14partition_implILS5_3ELb0ES3_jNS7_6detail15normal_iteratorINS7_7pointerISA_NS7_11hip_rocprim3tagENS7_11use_defaultESJ_EEEEPSB_SM_NS0_5tupleIJPSA_SM_EEENSN_IJSM_SM_EEESB_PlJ10is_orderedEEE10hipError_tPvRmT3_T4_T5_T6_T7_T9_mT8_P12ihipStream_tbDpT10_ENKUlT_T0_E_clISt17integral_constantIbLb0EES1C_EEDaS17_S18_EUlS17_E_NS1_11comp_targetILNS1_3genE3ELNS1_11target_archE908ELNS1_3gpuE7ELNS1_3repE0EEENS1_30default_config_static_selectorELNS0_4arch9wavefront6targetE1EEEvT1_.kd
    .uniform_work_group_size: 1
    .uses_dynamic_stack: false
    .vgpr_count:     0
    .vgpr_spill_count: 0
    .wavefront_size: 64
  - .agpr_count:     0
    .args:
      - .offset:         0
        .size:           120
        .value_kind:     by_value
    .group_segment_fixed_size: 0
    .kernarg_segment_align: 8
    .kernarg_segment_size: 120
    .language:       OpenCL C
    .language_version:
      - 2
      - 0
    .max_flat_workgroup_size: 256
    .name:           _ZN7rocprim17ROCPRIM_400000_NS6detail17trampoline_kernelINS0_14default_configENS1_25partition_config_selectorILNS1_17partition_subalgoE3EN6thrust23THRUST_200600_302600_NS5tupleIxxNS7_9null_typeES9_S9_S9_S9_S9_S9_S9_EENS0_10empty_typeEbEEZZNS1_14partition_implILS5_3ELb0ES3_jNS7_6detail15normal_iteratorINS7_7pointerISA_NS7_11hip_rocprim3tagENS7_11use_defaultESJ_EEEEPSB_SM_NS0_5tupleIJPSA_SM_EEENSN_IJSM_SM_EEESB_PlJ10is_orderedEEE10hipError_tPvRmT3_T4_T5_T6_T7_T9_mT8_P12ihipStream_tbDpT10_ENKUlT_T0_E_clISt17integral_constantIbLb0EES1C_EEDaS17_S18_EUlS17_E_NS1_11comp_targetILNS1_3genE2ELNS1_11target_archE906ELNS1_3gpuE6ELNS1_3repE0EEENS1_30default_config_static_selectorELNS0_4arch9wavefront6targetE1EEEvT1_
    .private_segment_fixed_size: 0
    .sgpr_count:     6
    .sgpr_spill_count: 0
    .symbol:         _ZN7rocprim17ROCPRIM_400000_NS6detail17trampoline_kernelINS0_14default_configENS1_25partition_config_selectorILNS1_17partition_subalgoE3EN6thrust23THRUST_200600_302600_NS5tupleIxxNS7_9null_typeES9_S9_S9_S9_S9_S9_S9_EENS0_10empty_typeEbEEZZNS1_14partition_implILS5_3ELb0ES3_jNS7_6detail15normal_iteratorINS7_7pointerISA_NS7_11hip_rocprim3tagENS7_11use_defaultESJ_EEEEPSB_SM_NS0_5tupleIJPSA_SM_EEENSN_IJSM_SM_EEESB_PlJ10is_orderedEEE10hipError_tPvRmT3_T4_T5_T6_T7_T9_mT8_P12ihipStream_tbDpT10_ENKUlT_T0_E_clISt17integral_constantIbLb0EES1C_EEDaS17_S18_EUlS17_E_NS1_11comp_targetILNS1_3genE2ELNS1_11target_archE906ELNS1_3gpuE6ELNS1_3repE0EEENS1_30default_config_static_selectorELNS0_4arch9wavefront6targetE1EEEvT1_.kd
    .uniform_work_group_size: 1
    .uses_dynamic_stack: false
    .vgpr_count:     0
    .vgpr_spill_count: 0
    .wavefront_size: 64
  - .agpr_count:     0
    .args:
      - .offset:         0
        .size:           120
        .value_kind:     by_value
    .group_segment_fixed_size: 0
    .kernarg_segment_align: 8
    .kernarg_segment_size: 120
    .language:       OpenCL C
    .language_version:
      - 2
      - 0
    .max_flat_workgroup_size: 256
    .name:           _ZN7rocprim17ROCPRIM_400000_NS6detail17trampoline_kernelINS0_14default_configENS1_25partition_config_selectorILNS1_17partition_subalgoE3EN6thrust23THRUST_200600_302600_NS5tupleIxxNS7_9null_typeES9_S9_S9_S9_S9_S9_S9_EENS0_10empty_typeEbEEZZNS1_14partition_implILS5_3ELb0ES3_jNS7_6detail15normal_iteratorINS7_7pointerISA_NS7_11hip_rocprim3tagENS7_11use_defaultESJ_EEEEPSB_SM_NS0_5tupleIJPSA_SM_EEENSN_IJSM_SM_EEESB_PlJ10is_orderedEEE10hipError_tPvRmT3_T4_T5_T6_T7_T9_mT8_P12ihipStream_tbDpT10_ENKUlT_T0_E_clISt17integral_constantIbLb0EES1C_EEDaS17_S18_EUlS17_E_NS1_11comp_targetILNS1_3genE10ELNS1_11target_archE1200ELNS1_3gpuE4ELNS1_3repE0EEENS1_30default_config_static_selectorELNS0_4arch9wavefront6targetE1EEEvT1_
    .private_segment_fixed_size: 0
    .sgpr_count:     6
    .sgpr_spill_count: 0
    .symbol:         _ZN7rocprim17ROCPRIM_400000_NS6detail17trampoline_kernelINS0_14default_configENS1_25partition_config_selectorILNS1_17partition_subalgoE3EN6thrust23THRUST_200600_302600_NS5tupleIxxNS7_9null_typeES9_S9_S9_S9_S9_S9_S9_EENS0_10empty_typeEbEEZZNS1_14partition_implILS5_3ELb0ES3_jNS7_6detail15normal_iteratorINS7_7pointerISA_NS7_11hip_rocprim3tagENS7_11use_defaultESJ_EEEEPSB_SM_NS0_5tupleIJPSA_SM_EEENSN_IJSM_SM_EEESB_PlJ10is_orderedEEE10hipError_tPvRmT3_T4_T5_T6_T7_T9_mT8_P12ihipStream_tbDpT10_ENKUlT_T0_E_clISt17integral_constantIbLb0EES1C_EEDaS17_S18_EUlS17_E_NS1_11comp_targetILNS1_3genE10ELNS1_11target_archE1200ELNS1_3gpuE4ELNS1_3repE0EEENS1_30default_config_static_selectorELNS0_4arch9wavefront6targetE1EEEvT1_.kd
    .uniform_work_group_size: 1
    .uses_dynamic_stack: false
    .vgpr_count:     0
    .vgpr_spill_count: 0
    .wavefront_size: 64
  - .agpr_count:     0
    .args:
      - .offset:         0
        .size:           120
        .value_kind:     by_value
    .group_segment_fixed_size: 0
    .kernarg_segment_align: 8
    .kernarg_segment_size: 120
    .language:       OpenCL C
    .language_version:
      - 2
      - 0
    .max_flat_workgroup_size: 512
    .name:           _ZN7rocprim17ROCPRIM_400000_NS6detail17trampoline_kernelINS0_14default_configENS1_25partition_config_selectorILNS1_17partition_subalgoE3EN6thrust23THRUST_200600_302600_NS5tupleIxxNS7_9null_typeES9_S9_S9_S9_S9_S9_S9_EENS0_10empty_typeEbEEZZNS1_14partition_implILS5_3ELb0ES3_jNS7_6detail15normal_iteratorINS7_7pointerISA_NS7_11hip_rocprim3tagENS7_11use_defaultESJ_EEEEPSB_SM_NS0_5tupleIJPSA_SM_EEENSN_IJSM_SM_EEESB_PlJ10is_orderedEEE10hipError_tPvRmT3_T4_T5_T6_T7_T9_mT8_P12ihipStream_tbDpT10_ENKUlT_T0_E_clISt17integral_constantIbLb0EES1C_EEDaS17_S18_EUlS17_E_NS1_11comp_targetILNS1_3genE9ELNS1_11target_archE1100ELNS1_3gpuE3ELNS1_3repE0EEENS1_30default_config_static_selectorELNS0_4arch9wavefront6targetE1EEEvT1_
    .private_segment_fixed_size: 0
    .sgpr_count:     6
    .sgpr_spill_count: 0
    .symbol:         _ZN7rocprim17ROCPRIM_400000_NS6detail17trampoline_kernelINS0_14default_configENS1_25partition_config_selectorILNS1_17partition_subalgoE3EN6thrust23THRUST_200600_302600_NS5tupleIxxNS7_9null_typeES9_S9_S9_S9_S9_S9_S9_EENS0_10empty_typeEbEEZZNS1_14partition_implILS5_3ELb0ES3_jNS7_6detail15normal_iteratorINS7_7pointerISA_NS7_11hip_rocprim3tagENS7_11use_defaultESJ_EEEEPSB_SM_NS0_5tupleIJPSA_SM_EEENSN_IJSM_SM_EEESB_PlJ10is_orderedEEE10hipError_tPvRmT3_T4_T5_T6_T7_T9_mT8_P12ihipStream_tbDpT10_ENKUlT_T0_E_clISt17integral_constantIbLb0EES1C_EEDaS17_S18_EUlS17_E_NS1_11comp_targetILNS1_3genE9ELNS1_11target_archE1100ELNS1_3gpuE3ELNS1_3repE0EEENS1_30default_config_static_selectorELNS0_4arch9wavefront6targetE1EEEvT1_.kd
    .uniform_work_group_size: 1
    .uses_dynamic_stack: false
    .vgpr_count:     0
    .vgpr_spill_count: 0
    .wavefront_size: 64
  - .agpr_count:     0
    .args:
      - .offset:         0
        .size:           120
        .value_kind:     by_value
    .group_segment_fixed_size: 0
    .kernarg_segment_align: 8
    .kernarg_segment_size: 120
    .language:       OpenCL C
    .language_version:
      - 2
      - 0
    .max_flat_workgroup_size: 256
    .name:           _ZN7rocprim17ROCPRIM_400000_NS6detail17trampoline_kernelINS0_14default_configENS1_25partition_config_selectorILNS1_17partition_subalgoE3EN6thrust23THRUST_200600_302600_NS5tupleIxxNS7_9null_typeES9_S9_S9_S9_S9_S9_S9_EENS0_10empty_typeEbEEZZNS1_14partition_implILS5_3ELb0ES3_jNS7_6detail15normal_iteratorINS7_7pointerISA_NS7_11hip_rocprim3tagENS7_11use_defaultESJ_EEEEPSB_SM_NS0_5tupleIJPSA_SM_EEENSN_IJSM_SM_EEESB_PlJ10is_orderedEEE10hipError_tPvRmT3_T4_T5_T6_T7_T9_mT8_P12ihipStream_tbDpT10_ENKUlT_T0_E_clISt17integral_constantIbLb0EES1C_EEDaS17_S18_EUlS17_E_NS1_11comp_targetILNS1_3genE8ELNS1_11target_archE1030ELNS1_3gpuE2ELNS1_3repE0EEENS1_30default_config_static_selectorELNS0_4arch9wavefront6targetE1EEEvT1_
    .private_segment_fixed_size: 0
    .sgpr_count:     6
    .sgpr_spill_count: 0
    .symbol:         _ZN7rocprim17ROCPRIM_400000_NS6detail17trampoline_kernelINS0_14default_configENS1_25partition_config_selectorILNS1_17partition_subalgoE3EN6thrust23THRUST_200600_302600_NS5tupleIxxNS7_9null_typeES9_S9_S9_S9_S9_S9_S9_EENS0_10empty_typeEbEEZZNS1_14partition_implILS5_3ELb0ES3_jNS7_6detail15normal_iteratorINS7_7pointerISA_NS7_11hip_rocprim3tagENS7_11use_defaultESJ_EEEEPSB_SM_NS0_5tupleIJPSA_SM_EEENSN_IJSM_SM_EEESB_PlJ10is_orderedEEE10hipError_tPvRmT3_T4_T5_T6_T7_T9_mT8_P12ihipStream_tbDpT10_ENKUlT_T0_E_clISt17integral_constantIbLb0EES1C_EEDaS17_S18_EUlS17_E_NS1_11comp_targetILNS1_3genE8ELNS1_11target_archE1030ELNS1_3gpuE2ELNS1_3repE0EEENS1_30default_config_static_selectorELNS0_4arch9wavefront6targetE1EEEvT1_.kd
    .uniform_work_group_size: 1
    .uses_dynamic_stack: false
    .vgpr_count:     0
    .vgpr_spill_count: 0
    .wavefront_size: 64
  - .agpr_count:     0
    .args:
      - .offset:         0
        .size:           136
        .value_kind:     by_value
    .group_segment_fixed_size: 0
    .kernarg_segment_align: 8
    .kernarg_segment_size: 136
    .language:       OpenCL C
    .language_version:
      - 2
      - 0
    .max_flat_workgroup_size: 128
    .name:           _ZN7rocprim17ROCPRIM_400000_NS6detail17trampoline_kernelINS0_14default_configENS1_25partition_config_selectorILNS1_17partition_subalgoE3EN6thrust23THRUST_200600_302600_NS5tupleIxxNS7_9null_typeES9_S9_S9_S9_S9_S9_S9_EENS0_10empty_typeEbEEZZNS1_14partition_implILS5_3ELb0ES3_jNS7_6detail15normal_iteratorINS7_7pointerISA_NS7_11hip_rocprim3tagENS7_11use_defaultESJ_EEEEPSB_SM_NS0_5tupleIJPSA_SM_EEENSN_IJSM_SM_EEESB_PlJ10is_orderedEEE10hipError_tPvRmT3_T4_T5_T6_T7_T9_mT8_P12ihipStream_tbDpT10_ENKUlT_T0_E_clISt17integral_constantIbLb1EES1C_EEDaS17_S18_EUlS17_E_NS1_11comp_targetILNS1_3genE0ELNS1_11target_archE4294967295ELNS1_3gpuE0ELNS1_3repE0EEENS1_30default_config_static_selectorELNS0_4arch9wavefront6targetE1EEEvT1_
    .private_segment_fixed_size: 0
    .sgpr_count:     6
    .sgpr_spill_count: 0
    .symbol:         _ZN7rocprim17ROCPRIM_400000_NS6detail17trampoline_kernelINS0_14default_configENS1_25partition_config_selectorILNS1_17partition_subalgoE3EN6thrust23THRUST_200600_302600_NS5tupleIxxNS7_9null_typeES9_S9_S9_S9_S9_S9_S9_EENS0_10empty_typeEbEEZZNS1_14partition_implILS5_3ELb0ES3_jNS7_6detail15normal_iteratorINS7_7pointerISA_NS7_11hip_rocprim3tagENS7_11use_defaultESJ_EEEEPSB_SM_NS0_5tupleIJPSA_SM_EEENSN_IJSM_SM_EEESB_PlJ10is_orderedEEE10hipError_tPvRmT3_T4_T5_T6_T7_T9_mT8_P12ihipStream_tbDpT10_ENKUlT_T0_E_clISt17integral_constantIbLb1EES1C_EEDaS17_S18_EUlS17_E_NS1_11comp_targetILNS1_3genE0ELNS1_11target_archE4294967295ELNS1_3gpuE0ELNS1_3repE0EEENS1_30default_config_static_selectorELNS0_4arch9wavefront6targetE1EEEvT1_.kd
    .uniform_work_group_size: 1
    .uses_dynamic_stack: false
    .vgpr_count:     0
    .vgpr_spill_count: 0
    .wavefront_size: 64
  - .agpr_count:     0
    .args:
      - .offset:         0
        .size:           136
        .value_kind:     by_value
    .group_segment_fixed_size: 25352
    .kernarg_segment_align: 8
    .kernarg_segment_size: 136
    .language:       OpenCL C
    .language_version:
      - 2
      - 0
    .max_flat_workgroup_size: 384
    .name:           _ZN7rocprim17ROCPRIM_400000_NS6detail17trampoline_kernelINS0_14default_configENS1_25partition_config_selectorILNS1_17partition_subalgoE3EN6thrust23THRUST_200600_302600_NS5tupleIxxNS7_9null_typeES9_S9_S9_S9_S9_S9_S9_EENS0_10empty_typeEbEEZZNS1_14partition_implILS5_3ELb0ES3_jNS7_6detail15normal_iteratorINS7_7pointerISA_NS7_11hip_rocprim3tagENS7_11use_defaultESJ_EEEEPSB_SM_NS0_5tupleIJPSA_SM_EEENSN_IJSM_SM_EEESB_PlJ10is_orderedEEE10hipError_tPvRmT3_T4_T5_T6_T7_T9_mT8_P12ihipStream_tbDpT10_ENKUlT_T0_E_clISt17integral_constantIbLb1EES1C_EEDaS17_S18_EUlS17_E_NS1_11comp_targetILNS1_3genE5ELNS1_11target_archE942ELNS1_3gpuE9ELNS1_3repE0EEENS1_30default_config_static_selectorELNS0_4arch9wavefront6targetE1EEEvT1_
    .private_segment_fixed_size: 0
    .sgpr_count:     52
    .sgpr_spill_count: 0
    .symbol:         _ZN7rocprim17ROCPRIM_400000_NS6detail17trampoline_kernelINS0_14default_configENS1_25partition_config_selectorILNS1_17partition_subalgoE3EN6thrust23THRUST_200600_302600_NS5tupleIxxNS7_9null_typeES9_S9_S9_S9_S9_S9_S9_EENS0_10empty_typeEbEEZZNS1_14partition_implILS5_3ELb0ES3_jNS7_6detail15normal_iteratorINS7_7pointerISA_NS7_11hip_rocprim3tagENS7_11use_defaultESJ_EEEEPSB_SM_NS0_5tupleIJPSA_SM_EEENSN_IJSM_SM_EEESB_PlJ10is_orderedEEE10hipError_tPvRmT3_T4_T5_T6_T7_T9_mT8_P12ihipStream_tbDpT10_ENKUlT_T0_E_clISt17integral_constantIbLb1EES1C_EEDaS17_S18_EUlS17_E_NS1_11comp_targetILNS1_3genE5ELNS1_11target_archE942ELNS1_3gpuE9ELNS1_3repE0EEENS1_30default_config_static_selectorELNS0_4arch9wavefront6targetE1EEEvT1_.kd
    .uniform_work_group_size: 1
    .uses_dynamic_stack: false
    .vgpr_count:     55
    .vgpr_spill_count: 0
    .wavefront_size: 64
  - .agpr_count:     0
    .args:
      - .offset:         0
        .size:           136
        .value_kind:     by_value
    .group_segment_fixed_size: 0
    .kernarg_segment_align: 8
    .kernarg_segment_size: 136
    .language:       OpenCL C
    .language_version:
      - 2
      - 0
    .max_flat_workgroup_size: 256
    .name:           _ZN7rocprim17ROCPRIM_400000_NS6detail17trampoline_kernelINS0_14default_configENS1_25partition_config_selectorILNS1_17partition_subalgoE3EN6thrust23THRUST_200600_302600_NS5tupleIxxNS7_9null_typeES9_S9_S9_S9_S9_S9_S9_EENS0_10empty_typeEbEEZZNS1_14partition_implILS5_3ELb0ES3_jNS7_6detail15normal_iteratorINS7_7pointerISA_NS7_11hip_rocprim3tagENS7_11use_defaultESJ_EEEEPSB_SM_NS0_5tupleIJPSA_SM_EEENSN_IJSM_SM_EEESB_PlJ10is_orderedEEE10hipError_tPvRmT3_T4_T5_T6_T7_T9_mT8_P12ihipStream_tbDpT10_ENKUlT_T0_E_clISt17integral_constantIbLb1EES1C_EEDaS17_S18_EUlS17_E_NS1_11comp_targetILNS1_3genE4ELNS1_11target_archE910ELNS1_3gpuE8ELNS1_3repE0EEENS1_30default_config_static_selectorELNS0_4arch9wavefront6targetE1EEEvT1_
    .private_segment_fixed_size: 0
    .sgpr_count:     6
    .sgpr_spill_count: 0
    .symbol:         _ZN7rocprim17ROCPRIM_400000_NS6detail17trampoline_kernelINS0_14default_configENS1_25partition_config_selectorILNS1_17partition_subalgoE3EN6thrust23THRUST_200600_302600_NS5tupleIxxNS7_9null_typeES9_S9_S9_S9_S9_S9_S9_EENS0_10empty_typeEbEEZZNS1_14partition_implILS5_3ELb0ES3_jNS7_6detail15normal_iteratorINS7_7pointerISA_NS7_11hip_rocprim3tagENS7_11use_defaultESJ_EEEEPSB_SM_NS0_5tupleIJPSA_SM_EEENSN_IJSM_SM_EEESB_PlJ10is_orderedEEE10hipError_tPvRmT3_T4_T5_T6_T7_T9_mT8_P12ihipStream_tbDpT10_ENKUlT_T0_E_clISt17integral_constantIbLb1EES1C_EEDaS17_S18_EUlS17_E_NS1_11comp_targetILNS1_3genE4ELNS1_11target_archE910ELNS1_3gpuE8ELNS1_3repE0EEENS1_30default_config_static_selectorELNS0_4arch9wavefront6targetE1EEEvT1_.kd
    .uniform_work_group_size: 1
    .uses_dynamic_stack: false
    .vgpr_count:     0
    .vgpr_spill_count: 0
    .wavefront_size: 64
  - .agpr_count:     0
    .args:
      - .offset:         0
        .size:           136
        .value_kind:     by_value
    .group_segment_fixed_size: 0
    .kernarg_segment_align: 8
    .kernarg_segment_size: 136
    .language:       OpenCL C
    .language_version:
      - 2
      - 0
    .max_flat_workgroup_size: 128
    .name:           _ZN7rocprim17ROCPRIM_400000_NS6detail17trampoline_kernelINS0_14default_configENS1_25partition_config_selectorILNS1_17partition_subalgoE3EN6thrust23THRUST_200600_302600_NS5tupleIxxNS7_9null_typeES9_S9_S9_S9_S9_S9_S9_EENS0_10empty_typeEbEEZZNS1_14partition_implILS5_3ELb0ES3_jNS7_6detail15normal_iteratorINS7_7pointerISA_NS7_11hip_rocprim3tagENS7_11use_defaultESJ_EEEEPSB_SM_NS0_5tupleIJPSA_SM_EEENSN_IJSM_SM_EEESB_PlJ10is_orderedEEE10hipError_tPvRmT3_T4_T5_T6_T7_T9_mT8_P12ihipStream_tbDpT10_ENKUlT_T0_E_clISt17integral_constantIbLb1EES1C_EEDaS17_S18_EUlS17_E_NS1_11comp_targetILNS1_3genE3ELNS1_11target_archE908ELNS1_3gpuE7ELNS1_3repE0EEENS1_30default_config_static_selectorELNS0_4arch9wavefront6targetE1EEEvT1_
    .private_segment_fixed_size: 0
    .sgpr_count:     6
    .sgpr_spill_count: 0
    .symbol:         _ZN7rocprim17ROCPRIM_400000_NS6detail17trampoline_kernelINS0_14default_configENS1_25partition_config_selectorILNS1_17partition_subalgoE3EN6thrust23THRUST_200600_302600_NS5tupleIxxNS7_9null_typeES9_S9_S9_S9_S9_S9_S9_EENS0_10empty_typeEbEEZZNS1_14partition_implILS5_3ELb0ES3_jNS7_6detail15normal_iteratorINS7_7pointerISA_NS7_11hip_rocprim3tagENS7_11use_defaultESJ_EEEEPSB_SM_NS0_5tupleIJPSA_SM_EEENSN_IJSM_SM_EEESB_PlJ10is_orderedEEE10hipError_tPvRmT3_T4_T5_T6_T7_T9_mT8_P12ihipStream_tbDpT10_ENKUlT_T0_E_clISt17integral_constantIbLb1EES1C_EEDaS17_S18_EUlS17_E_NS1_11comp_targetILNS1_3genE3ELNS1_11target_archE908ELNS1_3gpuE7ELNS1_3repE0EEENS1_30default_config_static_selectorELNS0_4arch9wavefront6targetE1EEEvT1_.kd
    .uniform_work_group_size: 1
    .uses_dynamic_stack: false
    .vgpr_count:     0
    .vgpr_spill_count: 0
    .wavefront_size: 64
  - .agpr_count:     0
    .args:
      - .offset:         0
        .size:           136
        .value_kind:     by_value
    .group_segment_fixed_size: 0
    .kernarg_segment_align: 8
    .kernarg_segment_size: 136
    .language:       OpenCL C
    .language_version:
      - 2
      - 0
    .max_flat_workgroup_size: 256
    .name:           _ZN7rocprim17ROCPRIM_400000_NS6detail17trampoline_kernelINS0_14default_configENS1_25partition_config_selectorILNS1_17partition_subalgoE3EN6thrust23THRUST_200600_302600_NS5tupleIxxNS7_9null_typeES9_S9_S9_S9_S9_S9_S9_EENS0_10empty_typeEbEEZZNS1_14partition_implILS5_3ELb0ES3_jNS7_6detail15normal_iteratorINS7_7pointerISA_NS7_11hip_rocprim3tagENS7_11use_defaultESJ_EEEEPSB_SM_NS0_5tupleIJPSA_SM_EEENSN_IJSM_SM_EEESB_PlJ10is_orderedEEE10hipError_tPvRmT3_T4_T5_T6_T7_T9_mT8_P12ihipStream_tbDpT10_ENKUlT_T0_E_clISt17integral_constantIbLb1EES1C_EEDaS17_S18_EUlS17_E_NS1_11comp_targetILNS1_3genE2ELNS1_11target_archE906ELNS1_3gpuE6ELNS1_3repE0EEENS1_30default_config_static_selectorELNS0_4arch9wavefront6targetE1EEEvT1_
    .private_segment_fixed_size: 0
    .sgpr_count:     6
    .sgpr_spill_count: 0
    .symbol:         _ZN7rocprim17ROCPRIM_400000_NS6detail17trampoline_kernelINS0_14default_configENS1_25partition_config_selectorILNS1_17partition_subalgoE3EN6thrust23THRUST_200600_302600_NS5tupleIxxNS7_9null_typeES9_S9_S9_S9_S9_S9_S9_EENS0_10empty_typeEbEEZZNS1_14partition_implILS5_3ELb0ES3_jNS7_6detail15normal_iteratorINS7_7pointerISA_NS7_11hip_rocprim3tagENS7_11use_defaultESJ_EEEEPSB_SM_NS0_5tupleIJPSA_SM_EEENSN_IJSM_SM_EEESB_PlJ10is_orderedEEE10hipError_tPvRmT3_T4_T5_T6_T7_T9_mT8_P12ihipStream_tbDpT10_ENKUlT_T0_E_clISt17integral_constantIbLb1EES1C_EEDaS17_S18_EUlS17_E_NS1_11comp_targetILNS1_3genE2ELNS1_11target_archE906ELNS1_3gpuE6ELNS1_3repE0EEENS1_30default_config_static_selectorELNS0_4arch9wavefront6targetE1EEEvT1_.kd
    .uniform_work_group_size: 1
    .uses_dynamic_stack: false
    .vgpr_count:     0
    .vgpr_spill_count: 0
    .wavefront_size: 64
  - .agpr_count:     0
    .args:
      - .offset:         0
        .size:           136
        .value_kind:     by_value
    .group_segment_fixed_size: 0
    .kernarg_segment_align: 8
    .kernarg_segment_size: 136
    .language:       OpenCL C
    .language_version:
      - 2
      - 0
    .max_flat_workgroup_size: 256
    .name:           _ZN7rocprim17ROCPRIM_400000_NS6detail17trampoline_kernelINS0_14default_configENS1_25partition_config_selectorILNS1_17partition_subalgoE3EN6thrust23THRUST_200600_302600_NS5tupleIxxNS7_9null_typeES9_S9_S9_S9_S9_S9_S9_EENS0_10empty_typeEbEEZZNS1_14partition_implILS5_3ELb0ES3_jNS7_6detail15normal_iteratorINS7_7pointerISA_NS7_11hip_rocprim3tagENS7_11use_defaultESJ_EEEEPSB_SM_NS0_5tupleIJPSA_SM_EEENSN_IJSM_SM_EEESB_PlJ10is_orderedEEE10hipError_tPvRmT3_T4_T5_T6_T7_T9_mT8_P12ihipStream_tbDpT10_ENKUlT_T0_E_clISt17integral_constantIbLb1EES1C_EEDaS17_S18_EUlS17_E_NS1_11comp_targetILNS1_3genE10ELNS1_11target_archE1200ELNS1_3gpuE4ELNS1_3repE0EEENS1_30default_config_static_selectorELNS0_4arch9wavefront6targetE1EEEvT1_
    .private_segment_fixed_size: 0
    .sgpr_count:     6
    .sgpr_spill_count: 0
    .symbol:         _ZN7rocprim17ROCPRIM_400000_NS6detail17trampoline_kernelINS0_14default_configENS1_25partition_config_selectorILNS1_17partition_subalgoE3EN6thrust23THRUST_200600_302600_NS5tupleIxxNS7_9null_typeES9_S9_S9_S9_S9_S9_S9_EENS0_10empty_typeEbEEZZNS1_14partition_implILS5_3ELb0ES3_jNS7_6detail15normal_iteratorINS7_7pointerISA_NS7_11hip_rocprim3tagENS7_11use_defaultESJ_EEEEPSB_SM_NS0_5tupleIJPSA_SM_EEENSN_IJSM_SM_EEESB_PlJ10is_orderedEEE10hipError_tPvRmT3_T4_T5_T6_T7_T9_mT8_P12ihipStream_tbDpT10_ENKUlT_T0_E_clISt17integral_constantIbLb1EES1C_EEDaS17_S18_EUlS17_E_NS1_11comp_targetILNS1_3genE10ELNS1_11target_archE1200ELNS1_3gpuE4ELNS1_3repE0EEENS1_30default_config_static_selectorELNS0_4arch9wavefront6targetE1EEEvT1_.kd
    .uniform_work_group_size: 1
    .uses_dynamic_stack: false
    .vgpr_count:     0
    .vgpr_spill_count: 0
    .wavefront_size: 64
  - .agpr_count:     0
    .args:
      - .offset:         0
        .size:           136
        .value_kind:     by_value
    .group_segment_fixed_size: 0
    .kernarg_segment_align: 8
    .kernarg_segment_size: 136
    .language:       OpenCL C
    .language_version:
      - 2
      - 0
    .max_flat_workgroup_size: 512
    .name:           _ZN7rocprim17ROCPRIM_400000_NS6detail17trampoline_kernelINS0_14default_configENS1_25partition_config_selectorILNS1_17partition_subalgoE3EN6thrust23THRUST_200600_302600_NS5tupleIxxNS7_9null_typeES9_S9_S9_S9_S9_S9_S9_EENS0_10empty_typeEbEEZZNS1_14partition_implILS5_3ELb0ES3_jNS7_6detail15normal_iteratorINS7_7pointerISA_NS7_11hip_rocprim3tagENS7_11use_defaultESJ_EEEEPSB_SM_NS0_5tupleIJPSA_SM_EEENSN_IJSM_SM_EEESB_PlJ10is_orderedEEE10hipError_tPvRmT3_T4_T5_T6_T7_T9_mT8_P12ihipStream_tbDpT10_ENKUlT_T0_E_clISt17integral_constantIbLb1EES1C_EEDaS17_S18_EUlS17_E_NS1_11comp_targetILNS1_3genE9ELNS1_11target_archE1100ELNS1_3gpuE3ELNS1_3repE0EEENS1_30default_config_static_selectorELNS0_4arch9wavefront6targetE1EEEvT1_
    .private_segment_fixed_size: 0
    .sgpr_count:     6
    .sgpr_spill_count: 0
    .symbol:         _ZN7rocprim17ROCPRIM_400000_NS6detail17trampoline_kernelINS0_14default_configENS1_25partition_config_selectorILNS1_17partition_subalgoE3EN6thrust23THRUST_200600_302600_NS5tupleIxxNS7_9null_typeES9_S9_S9_S9_S9_S9_S9_EENS0_10empty_typeEbEEZZNS1_14partition_implILS5_3ELb0ES3_jNS7_6detail15normal_iteratorINS7_7pointerISA_NS7_11hip_rocprim3tagENS7_11use_defaultESJ_EEEEPSB_SM_NS0_5tupleIJPSA_SM_EEENSN_IJSM_SM_EEESB_PlJ10is_orderedEEE10hipError_tPvRmT3_T4_T5_T6_T7_T9_mT8_P12ihipStream_tbDpT10_ENKUlT_T0_E_clISt17integral_constantIbLb1EES1C_EEDaS17_S18_EUlS17_E_NS1_11comp_targetILNS1_3genE9ELNS1_11target_archE1100ELNS1_3gpuE3ELNS1_3repE0EEENS1_30default_config_static_selectorELNS0_4arch9wavefront6targetE1EEEvT1_.kd
    .uniform_work_group_size: 1
    .uses_dynamic_stack: false
    .vgpr_count:     0
    .vgpr_spill_count: 0
    .wavefront_size: 64
  - .agpr_count:     0
    .args:
      - .offset:         0
        .size:           136
        .value_kind:     by_value
    .group_segment_fixed_size: 0
    .kernarg_segment_align: 8
    .kernarg_segment_size: 136
    .language:       OpenCL C
    .language_version:
      - 2
      - 0
    .max_flat_workgroup_size: 256
    .name:           _ZN7rocprim17ROCPRIM_400000_NS6detail17trampoline_kernelINS0_14default_configENS1_25partition_config_selectorILNS1_17partition_subalgoE3EN6thrust23THRUST_200600_302600_NS5tupleIxxNS7_9null_typeES9_S9_S9_S9_S9_S9_S9_EENS0_10empty_typeEbEEZZNS1_14partition_implILS5_3ELb0ES3_jNS7_6detail15normal_iteratorINS7_7pointerISA_NS7_11hip_rocprim3tagENS7_11use_defaultESJ_EEEEPSB_SM_NS0_5tupleIJPSA_SM_EEENSN_IJSM_SM_EEESB_PlJ10is_orderedEEE10hipError_tPvRmT3_T4_T5_T6_T7_T9_mT8_P12ihipStream_tbDpT10_ENKUlT_T0_E_clISt17integral_constantIbLb1EES1C_EEDaS17_S18_EUlS17_E_NS1_11comp_targetILNS1_3genE8ELNS1_11target_archE1030ELNS1_3gpuE2ELNS1_3repE0EEENS1_30default_config_static_selectorELNS0_4arch9wavefront6targetE1EEEvT1_
    .private_segment_fixed_size: 0
    .sgpr_count:     6
    .sgpr_spill_count: 0
    .symbol:         _ZN7rocprim17ROCPRIM_400000_NS6detail17trampoline_kernelINS0_14default_configENS1_25partition_config_selectorILNS1_17partition_subalgoE3EN6thrust23THRUST_200600_302600_NS5tupleIxxNS7_9null_typeES9_S9_S9_S9_S9_S9_S9_EENS0_10empty_typeEbEEZZNS1_14partition_implILS5_3ELb0ES3_jNS7_6detail15normal_iteratorINS7_7pointerISA_NS7_11hip_rocprim3tagENS7_11use_defaultESJ_EEEEPSB_SM_NS0_5tupleIJPSA_SM_EEENSN_IJSM_SM_EEESB_PlJ10is_orderedEEE10hipError_tPvRmT3_T4_T5_T6_T7_T9_mT8_P12ihipStream_tbDpT10_ENKUlT_T0_E_clISt17integral_constantIbLb1EES1C_EEDaS17_S18_EUlS17_E_NS1_11comp_targetILNS1_3genE8ELNS1_11target_archE1030ELNS1_3gpuE2ELNS1_3repE0EEENS1_30default_config_static_selectorELNS0_4arch9wavefront6targetE1EEEvT1_.kd
    .uniform_work_group_size: 1
    .uses_dynamic_stack: false
    .vgpr_count:     0
    .vgpr_spill_count: 0
    .wavefront_size: 64
  - .agpr_count:     0
    .args:
      - .offset:         0
        .size:           120
        .value_kind:     by_value
    .group_segment_fixed_size: 0
    .kernarg_segment_align: 8
    .kernarg_segment_size: 120
    .language:       OpenCL C
    .language_version:
      - 2
      - 0
    .max_flat_workgroup_size: 128
    .name:           _ZN7rocprim17ROCPRIM_400000_NS6detail17trampoline_kernelINS0_14default_configENS1_25partition_config_selectorILNS1_17partition_subalgoE3EN6thrust23THRUST_200600_302600_NS5tupleIxxNS7_9null_typeES9_S9_S9_S9_S9_S9_S9_EENS0_10empty_typeEbEEZZNS1_14partition_implILS5_3ELb0ES3_jNS7_6detail15normal_iteratorINS7_7pointerISA_NS7_11hip_rocprim3tagENS7_11use_defaultESJ_EEEEPSB_SM_NS0_5tupleIJPSA_SM_EEENSN_IJSM_SM_EEESB_PlJ10is_orderedEEE10hipError_tPvRmT3_T4_T5_T6_T7_T9_mT8_P12ihipStream_tbDpT10_ENKUlT_T0_E_clISt17integral_constantIbLb1EES1B_IbLb0EEEEDaS17_S18_EUlS17_E_NS1_11comp_targetILNS1_3genE0ELNS1_11target_archE4294967295ELNS1_3gpuE0ELNS1_3repE0EEENS1_30default_config_static_selectorELNS0_4arch9wavefront6targetE1EEEvT1_
    .private_segment_fixed_size: 0
    .sgpr_count:     6
    .sgpr_spill_count: 0
    .symbol:         _ZN7rocprim17ROCPRIM_400000_NS6detail17trampoline_kernelINS0_14default_configENS1_25partition_config_selectorILNS1_17partition_subalgoE3EN6thrust23THRUST_200600_302600_NS5tupleIxxNS7_9null_typeES9_S9_S9_S9_S9_S9_S9_EENS0_10empty_typeEbEEZZNS1_14partition_implILS5_3ELb0ES3_jNS7_6detail15normal_iteratorINS7_7pointerISA_NS7_11hip_rocprim3tagENS7_11use_defaultESJ_EEEEPSB_SM_NS0_5tupleIJPSA_SM_EEENSN_IJSM_SM_EEESB_PlJ10is_orderedEEE10hipError_tPvRmT3_T4_T5_T6_T7_T9_mT8_P12ihipStream_tbDpT10_ENKUlT_T0_E_clISt17integral_constantIbLb1EES1B_IbLb0EEEEDaS17_S18_EUlS17_E_NS1_11comp_targetILNS1_3genE0ELNS1_11target_archE4294967295ELNS1_3gpuE0ELNS1_3repE0EEENS1_30default_config_static_selectorELNS0_4arch9wavefront6targetE1EEEvT1_.kd
    .uniform_work_group_size: 1
    .uses_dynamic_stack: false
    .vgpr_count:     0
    .vgpr_spill_count: 0
    .wavefront_size: 64
  - .agpr_count:     0
    .args:
      - .offset:         0
        .size:           120
        .value_kind:     by_value
    .group_segment_fixed_size: 25352
    .kernarg_segment_align: 8
    .kernarg_segment_size: 120
    .language:       OpenCL C
    .language_version:
      - 2
      - 0
    .max_flat_workgroup_size: 384
    .name:           _ZN7rocprim17ROCPRIM_400000_NS6detail17trampoline_kernelINS0_14default_configENS1_25partition_config_selectorILNS1_17partition_subalgoE3EN6thrust23THRUST_200600_302600_NS5tupleIxxNS7_9null_typeES9_S9_S9_S9_S9_S9_S9_EENS0_10empty_typeEbEEZZNS1_14partition_implILS5_3ELb0ES3_jNS7_6detail15normal_iteratorINS7_7pointerISA_NS7_11hip_rocprim3tagENS7_11use_defaultESJ_EEEEPSB_SM_NS0_5tupleIJPSA_SM_EEENSN_IJSM_SM_EEESB_PlJ10is_orderedEEE10hipError_tPvRmT3_T4_T5_T6_T7_T9_mT8_P12ihipStream_tbDpT10_ENKUlT_T0_E_clISt17integral_constantIbLb1EES1B_IbLb0EEEEDaS17_S18_EUlS17_E_NS1_11comp_targetILNS1_3genE5ELNS1_11target_archE942ELNS1_3gpuE9ELNS1_3repE0EEENS1_30default_config_static_selectorELNS0_4arch9wavefront6targetE1EEEvT1_
    .private_segment_fixed_size: 0
    .sgpr_count:     54
    .sgpr_spill_count: 0
    .symbol:         _ZN7rocprim17ROCPRIM_400000_NS6detail17trampoline_kernelINS0_14default_configENS1_25partition_config_selectorILNS1_17partition_subalgoE3EN6thrust23THRUST_200600_302600_NS5tupleIxxNS7_9null_typeES9_S9_S9_S9_S9_S9_S9_EENS0_10empty_typeEbEEZZNS1_14partition_implILS5_3ELb0ES3_jNS7_6detail15normal_iteratorINS7_7pointerISA_NS7_11hip_rocprim3tagENS7_11use_defaultESJ_EEEEPSB_SM_NS0_5tupleIJPSA_SM_EEENSN_IJSM_SM_EEESB_PlJ10is_orderedEEE10hipError_tPvRmT3_T4_T5_T6_T7_T9_mT8_P12ihipStream_tbDpT10_ENKUlT_T0_E_clISt17integral_constantIbLb1EES1B_IbLb0EEEEDaS17_S18_EUlS17_E_NS1_11comp_targetILNS1_3genE5ELNS1_11target_archE942ELNS1_3gpuE9ELNS1_3repE0EEENS1_30default_config_static_selectorELNS0_4arch9wavefront6targetE1EEEvT1_.kd
    .uniform_work_group_size: 1
    .uses_dynamic_stack: false
    .vgpr_count:     51
    .vgpr_spill_count: 0
    .wavefront_size: 64
  - .agpr_count:     0
    .args:
      - .offset:         0
        .size:           120
        .value_kind:     by_value
    .group_segment_fixed_size: 0
    .kernarg_segment_align: 8
    .kernarg_segment_size: 120
    .language:       OpenCL C
    .language_version:
      - 2
      - 0
    .max_flat_workgroup_size: 256
    .name:           _ZN7rocprim17ROCPRIM_400000_NS6detail17trampoline_kernelINS0_14default_configENS1_25partition_config_selectorILNS1_17partition_subalgoE3EN6thrust23THRUST_200600_302600_NS5tupleIxxNS7_9null_typeES9_S9_S9_S9_S9_S9_S9_EENS0_10empty_typeEbEEZZNS1_14partition_implILS5_3ELb0ES3_jNS7_6detail15normal_iteratorINS7_7pointerISA_NS7_11hip_rocprim3tagENS7_11use_defaultESJ_EEEEPSB_SM_NS0_5tupleIJPSA_SM_EEENSN_IJSM_SM_EEESB_PlJ10is_orderedEEE10hipError_tPvRmT3_T4_T5_T6_T7_T9_mT8_P12ihipStream_tbDpT10_ENKUlT_T0_E_clISt17integral_constantIbLb1EES1B_IbLb0EEEEDaS17_S18_EUlS17_E_NS1_11comp_targetILNS1_3genE4ELNS1_11target_archE910ELNS1_3gpuE8ELNS1_3repE0EEENS1_30default_config_static_selectorELNS0_4arch9wavefront6targetE1EEEvT1_
    .private_segment_fixed_size: 0
    .sgpr_count:     6
    .sgpr_spill_count: 0
    .symbol:         _ZN7rocprim17ROCPRIM_400000_NS6detail17trampoline_kernelINS0_14default_configENS1_25partition_config_selectorILNS1_17partition_subalgoE3EN6thrust23THRUST_200600_302600_NS5tupleIxxNS7_9null_typeES9_S9_S9_S9_S9_S9_S9_EENS0_10empty_typeEbEEZZNS1_14partition_implILS5_3ELb0ES3_jNS7_6detail15normal_iteratorINS7_7pointerISA_NS7_11hip_rocprim3tagENS7_11use_defaultESJ_EEEEPSB_SM_NS0_5tupleIJPSA_SM_EEENSN_IJSM_SM_EEESB_PlJ10is_orderedEEE10hipError_tPvRmT3_T4_T5_T6_T7_T9_mT8_P12ihipStream_tbDpT10_ENKUlT_T0_E_clISt17integral_constantIbLb1EES1B_IbLb0EEEEDaS17_S18_EUlS17_E_NS1_11comp_targetILNS1_3genE4ELNS1_11target_archE910ELNS1_3gpuE8ELNS1_3repE0EEENS1_30default_config_static_selectorELNS0_4arch9wavefront6targetE1EEEvT1_.kd
    .uniform_work_group_size: 1
    .uses_dynamic_stack: false
    .vgpr_count:     0
    .vgpr_spill_count: 0
    .wavefront_size: 64
  - .agpr_count:     0
    .args:
      - .offset:         0
        .size:           120
        .value_kind:     by_value
    .group_segment_fixed_size: 0
    .kernarg_segment_align: 8
    .kernarg_segment_size: 120
    .language:       OpenCL C
    .language_version:
      - 2
      - 0
    .max_flat_workgroup_size: 128
    .name:           _ZN7rocprim17ROCPRIM_400000_NS6detail17trampoline_kernelINS0_14default_configENS1_25partition_config_selectorILNS1_17partition_subalgoE3EN6thrust23THRUST_200600_302600_NS5tupleIxxNS7_9null_typeES9_S9_S9_S9_S9_S9_S9_EENS0_10empty_typeEbEEZZNS1_14partition_implILS5_3ELb0ES3_jNS7_6detail15normal_iteratorINS7_7pointerISA_NS7_11hip_rocprim3tagENS7_11use_defaultESJ_EEEEPSB_SM_NS0_5tupleIJPSA_SM_EEENSN_IJSM_SM_EEESB_PlJ10is_orderedEEE10hipError_tPvRmT3_T4_T5_T6_T7_T9_mT8_P12ihipStream_tbDpT10_ENKUlT_T0_E_clISt17integral_constantIbLb1EES1B_IbLb0EEEEDaS17_S18_EUlS17_E_NS1_11comp_targetILNS1_3genE3ELNS1_11target_archE908ELNS1_3gpuE7ELNS1_3repE0EEENS1_30default_config_static_selectorELNS0_4arch9wavefront6targetE1EEEvT1_
    .private_segment_fixed_size: 0
    .sgpr_count:     6
    .sgpr_spill_count: 0
    .symbol:         _ZN7rocprim17ROCPRIM_400000_NS6detail17trampoline_kernelINS0_14default_configENS1_25partition_config_selectorILNS1_17partition_subalgoE3EN6thrust23THRUST_200600_302600_NS5tupleIxxNS7_9null_typeES9_S9_S9_S9_S9_S9_S9_EENS0_10empty_typeEbEEZZNS1_14partition_implILS5_3ELb0ES3_jNS7_6detail15normal_iteratorINS7_7pointerISA_NS7_11hip_rocprim3tagENS7_11use_defaultESJ_EEEEPSB_SM_NS0_5tupleIJPSA_SM_EEENSN_IJSM_SM_EEESB_PlJ10is_orderedEEE10hipError_tPvRmT3_T4_T5_T6_T7_T9_mT8_P12ihipStream_tbDpT10_ENKUlT_T0_E_clISt17integral_constantIbLb1EES1B_IbLb0EEEEDaS17_S18_EUlS17_E_NS1_11comp_targetILNS1_3genE3ELNS1_11target_archE908ELNS1_3gpuE7ELNS1_3repE0EEENS1_30default_config_static_selectorELNS0_4arch9wavefront6targetE1EEEvT1_.kd
    .uniform_work_group_size: 1
    .uses_dynamic_stack: false
    .vgpr_count:     0
    .vgpr_spill_count: 0
    .wavefront_size: 64
  - .agpr_count:     0
    .args:
      - .offset:         0
        .size:           120
        .value_kind:     by_value
    .group_segment_fixed_size: 0
    .kernarg_segment_align: 8
    .kernarg_segment_size: 120
    .language:       OpenCL C
    .language_version:
      - 2
      - 0
    .max_flat_workgroup_size: 256
    .name:           _ZN7rocprim17ROCPRIM_400000_NS6detail17trampoline_kernelINS0_14default_configENS1_25partition_config_selectorILNS1_17partition_subalgoE3EN6thrust23THRUST_200600_302600_NS5tupleIxxNS7_9null_typeES9_S9_S9_S9_S9_S9_S9_EENS0_10empty_typeEbEEZZNS1_14partition_implILS5_3ELb0ES3_jNS7_6detail15normal_iteratorINS7_7pointerISA_NS7_11hip_rocprim3tagENS7_11use_defaultESJ_EEEEPSB_SM_NS0_5tupleIJPSA_SM_EEENSN_IJSM_SM_EEESB_PlJ10is_orderedEEE10hipError_tPvRmT3_T4_T5_T6_T7_T9_mT8_P12ihipStream_tbDpT10_ENKUlT_T0_E_clISt17integral_constantIbLb1EES1B_IbLb0EEEEDaS17_S18_EUlS17_E_NS1_11comp_targetILNS1_3genE2ELNS1_11target_archE906ELNS1_3gpuE6ELNS1_3repE0EEENS1_30default_config_static_selectorELNS0_4arch9wavefront6targetE1EEEvT1_
    .private_segment_fixed_size: 0
    .sgpr_count:     6
    .sgpr_spill_count: 0
    .symbol:         _ZN7rocprim17ROCPRIM_400000_NS6detail17trampoline_kernelINS0_14default_configENS1_25partition_config_selectorILNS1_17partition_subalgoE3EN6thrust23THRUST_200600_302600_NS5tupleIxxNS7_9null_typeES9_S9_S9_S9_S9_S9_S9_EENS0_10empty_typeEbEEZZNS1_14partition_implILS5_3ELb0ES3_jNS7_6detail15normal_iteratorINS7_7pointerISA_NS7_11hip_rocprim3tagENS7_11use_defaultESJ_EEEEPSB_SM_NS0_5tupleIJPSA_SM_EEENSN_IJSM_SM_EEESB_PlJ10is_orderedEEE10hipError_tPvRmT3_T4_T5_T6_T7_T9_mT8_P12ihipStream_tbDpT10_ENKUlT_T0_E_clISt17integral_constantIbLb1EES1B_IbLb0EEEEDaS17_S18_EUlS17_E_NS1_11comp_targetILNS1_3genE2ELNS1_11target_archE906ELNS1_3gpuE6ELNS1_3repE0EEENS1_30default_config_static_selectorELNS0_4arch9wavefront6targetE1EEEvT1_.kd
    .uniform_work_group_size: 1
    .uses_dynamic_stack: false
    .vgpr_count:     0
    .vgpr_spill_count: 0
    .wavefront_size: 64
  - .agpr_count:     0
    .args:
      - .offset:         0
        .size:           120
        .value_kind:     by_value
    .group_segment_fixed_size: 0
    .kernarg_segment_align: 8
    .kernarg_segment_size: 120
    .language:       OpenCL C
    .language_version:
      - 2
      - 0
    .max_flat_workgroup_size: 256
    .name:           _ZN7rocprim17ROCPRIM_400000_NS6detail17trampoline_kernelINS0_14default_configENS1_25partition_config_selectorILNS1_17partition_subalgoE3EN6thrust23THRUST_200600_302600_NS5tupleIxxNS7_9null_typeES9_S9_S9_S9_S9_S9_S9_EENS0_10empty_typeEbEEZZNS1_14partition_implILS5_3ELb0ES3_jNS7_6detail15normal_iteratorINS7_7pointerISA_NS7_11hip_rocprim3tagENS7_11use_defaultESJ_EEEEPSB_SM_NS0_5tupleIJPSA_SM_EEENSN_IJSM_SM_EEESB_PlJ10is_orderedEEE10hipError_tPvRmT3_T4_T5_T6_T7_T9_mT8_P12ihipStream_tbDpT10_ENKUlT_T0_E_clISt17integral_constantIbLb1EES1B_IbLb0EEEEDaS17_S18_EUlS17_E_NS1_11comp_targetILNS1_3genE10ELNS1_11target_archE1200ELNS1_3gpuE4ELNS1_3repE0EEENS1_30default_config_static_selectorELNS0_4arch9wavefront6targetE1EEEvT1_
    .private_segment_fixed_size: 0
    .sgpr_count:     6
    .sgpr_spill_count: 0
    .symbol:         _ZN7rocprim17ROCPRIM_400000_NS6detail17trampoline_kernelINS0_14default_configENS1_25partition_config_selectorILNS1_17partition_subalgoE3EN6thrust23THRUST_200600_302600_NS5tupleIxxNS7_9null_typeES9_S9_S9_S9_S9_S9_S9_EENS0_10empty_typeEbEEZZNS1_14partition_implILS5_3ELb0ES3_jNS7_6detail15normal_iteratorINS7_7pointerISA_NS7_11hip_rocprim3tagENS7_11use_defaultESJ_EEEEPSB_SM_NS0_5tupleIJPSA_SM_EEENSN_IJSM_SM_EEESB_PlJ10is_orderedEEE10hipError_tPvRmT3_T4_T5_T6_T7_T9_mT8_P12ihipStream_tbDpT10_ENKUlT_T0_E_clISt17integral_constantIbLb1EES1B_IbLb0EEEEDaS17_S18_EUlS17_E_NS1_11comp_targetILNS1_3genE10ELNS1_11target_archE1200ELNS1_3gpuE4ELNS1_3repE0EEENS1_30default_config_static_selectorELNS0_4arch9wavefront6targetE1EEEvT1_.kd
    .uniform_work_group_size: 1
    .uses_dynamic_stack: false
    .vgpr_count:     0
    .vgpr_spill_count: 0
    .wavefront_size: 64
  - .agpr_count:     0
    .args:
      - .offset:         0
        .size:           120
        .value_kind:     by_value
    .group_segment_fixed_size: 0
    .kernarg_segment_align: 8
    .kernarg_segment_size: 120
    .language:       OpenCL C
    .language_version:
      - 2
      - 0
    .max_flat_workgroup_size: 512
    .name:           _ZN7rocprim17ROCPRIM_400000_NS6detail17trampoline_kernelINS0_14default_configENS1_25partition_config_selectorILNS1_17partition_subalgoE3EN6thrust23THRUST_200600_302600_NS5tupleIxxNS7_9null_typeES9_S9_S9_S9_S9_S9_S9_EENS0_10empty_typeEbEEZZNS1_14partition_implILS5_3ELb0ES3_jNS7_6detail15normal_iteratorINS7_7pointerISA_NS7_11hip_rocprim3tagENS7_11use_defaultESJ_EEEEPSB_SM_NS0_5tupleIJPSA_SM_EEENSN_IJSM_SM_EEESB_PlJ10is_orderedEEE10hipError_tPvRmT3_T4_T5_T6_T7_T9_mT8_P12ihipStream_tbDpT10_ENKUlT_T0_E_clISt17integral_constantIbLb1EES1B_IbLb0EEEEDaS17_S18_EUlS17_E_NS1_11comp_targetILNS1_3genE9ELNS1_11target_archE1100ELNS1_3gpuE3ELNS1_3repE0EEENS1_30default_config_static_selectorELNS0_4arch9wavefront6targetE1EEEvT1_
    .private_segment_fixed_size: 0
    .sgpr_count:     6
    .sgpr_spill_count: 0
    .symbol:         _ZN7rocprim17ROCPRIM_400000_NS6detail17trampoline_kernelINS0_14default_configENS1_25partition_config_selectorILNS1_17partition_subalgoE3EN6thrust23THRUST_200600_302600_NS5tupleIxxNS7_9null_typeES9_S9_S9_S9_S9_S9_S9_EENS0_10empty_typeEbEEZZNS1_14partition_implILS5_3ELb0ES3_jNS7_6detail15normal_iteratorINS7_7pointerISA_NS7_11hip_rocprim3tagENS7_11use_defaultESJ_EEEEPSB_SM_NS0_5tupleIJPSA_SM_EEENSN_IJSM_SM_EEESB_PlJ10is_orderedEEE10hipError_tPvRmT3_T4_T5_T6_T7_T9_mT8_P12ihipStream_tbDpT10_ENKUlT_T0_E_clISt17integral_constantIbLb1EES1B_IbLb0EEEEDaS17_S18_EUlS17_E_NS1_11comp_targetILNS1_3genE9ELNS1_11target_archE1100ELNS1_3gpuE3ELNS1_3repE0EEENS1_30default_config_static_selectorELNS0_4arch9wavefront6targetE1EEEvT1_.kd
    .uniform_work_group_size: 1
    .uses_dynamic_stack: false
    .vgpr_count:     0
    .vgpr_spill_count: 0
    .wavefront_size: 64
  - .agpr_count:     0
    .args:
      - .offset:         0
        .size:           120
        .value_kind:     by_value
    .group_segment_fixed_size: 0
    .kernarg_segment_align: 8
    .kernarg_segment_size: 120
    .language:       OpenCL C
    .language_version:
      - 2
      - 0
    .max_flat_workgroup_size: 256
    .name:           _ZN7rocprim17ROCPRIM_400000_NS6detail17trampoline_kernelINS0_14default_configENS1_25partition_config_selectorILNS1_17partition_subalgoE3EN6thrust23THRUST_200600_302600_NS5tupleIxxNS7_9null_typeES9_S9_S9_S9_S9_S9_S9_EENS0_10empty_typeEbEEZZNS1_14partition_implILS5_3ELb0ES3_jNS7_6detail15normal_iteratorINS7_7pointerISA_NS7_11hip_rocprim3tagENS7_11use_defaultESJ_EEEEPSB_SM_NS0_5tupleIJPSA_SM_EEENSN_IJSM_SM_EEESB_PlJ10is_orderedEEE10hipError_tPvRmT3_T4_T5_T6_T7_T9_mT8_P12ihipStream_tbDpT10_ENKUlT_T0_E_clISt17integral_constantIbLb1EES1B_IbLb0EEEEDaS17_S18_EUlS17_E_NS1_11comp_targetILNS1_3genE8ELNS1_11target_archE1030ELNS1_3gpuE2ELNS1_3repE0EEENS1_30default_config_static_selectorELNS0_4arch9wavefront6targetE1EEEvT1_
    .private_segment_fixed_size: 0
    .sgpr_count:     6
    .sgpr_spill_count: 0
    .symbol:         _ZN7rocprim17ROCPRIM_400000_NS6detail17trampoline_kernelINS0_14default_configENS1_25partition_config_selectorILNS1_17partition_subalgoE3EN6thrust23THRUST_200600_302600_NS5tupleIxxNS7_9null_typeES9_S9_S9_S9_S9_S9_S9_EENS0_10empty_typeEbEEZZNS1_14partition_implILS5_3ELb0ES3_jNS7_6detail15normal_iteratorINS7_7pointerISA_NS7_11hip_rocprim3tagENS7_11use_defaultESJ_EEEEPSB_SM_NS0_5tupleIJPSA_SM_EEENSN_IJSM_SM_EEESB_PlJ10is_orderedEEE10hipError_tPvRmT3_T4_T5_T6_T7_T9_mT8_P12ihipStream_tbDpT10_ENKUlT_T0_E_clISt17integral_constantIbLb1EES1B_IbLb0EEEEDaS17_S18_EUlS17_E_NS1_11comp_targetILNS1_3genE8ELNS1_11target_archE1030ELNS1_3gpuE2ELNS1_3repE0EEENS1_30default_config_static_selectorELNS0_4arch9wavefront6targetE1EEEvT1_.kd
    .uniform_work_group_size: 1
    .uses_dynamic_stack: false
    .vgpr_count:     0
    .vgpr_spill_count: 0
    .wavefront_size: 64
  - .agpr_count:     0
    .args:
      - .offset:         0
        .size:           136
        .value_kind:     by_value
    .group_segment_fixed_size: 0
    .kernarg_segment_align: 8
    .kernarg_segment_size: 136
    .language:       OpenCL C
    .language_version:
      - 2
      - 0
    .max_flat_workgroup_size: 128
    .name:           _ZN7rocprim17ROCPRIM_400000_NS6detail17trampoline_kernelINS0_14default_configENS1_25partition_config_selectorILNS1_17partition_subalgoE3EN6thrust23THRUST_200600_302600_NS5tupleIxxNS7_9null_typeES9_S9_S9_S9_S9_S9_S9_EENS0_10empty_typeEbEEZZNS1_14partition_implILS5_3ELb0ES3_jNS7_6detail15normal_iteratorINS7_7pointerISA_NS7_11hip_rocprim3tagENS7_11use_defaultESJ_EEEEPSB_SM_NS0_5tupleIJPSA_SM_EEENSN_IJSM_SM_EEESB_PlJ10is_orderedEEE10hipError_tPvRmT3_T4_T5_T6_T7_T9_mT8_P12ihipStream_tbDpT10_ENKUlT_T0_E_clISt17integral_constantIbLb0EES1B_IbLb1EEEEDaS17_S18_EUlS17_E_NS1_11comp_targetILNS1_3genE0ELNS1_11target_archE4294967295ELNS1_3gpuE0ELNS1_3repE0EEENS1_30default_config_static_selectorELNS0_4arch9wavefront6targetE1EEEvT1_
    .private_segment_fixed_size: 0
    .sgpr_count:     6
    .sgpr_spill_count: 0
    .symbol:         _ZN7rocprim17ROCPRIM_400000_NS6detail17trampoline_kernelINS0_14default_configENS1_25partition_config_selectorILNS1_17partition_subalgoE3EN6thrust23THRUST_200600_302600_NS5tupleIxxNS7_9null_typeES9_S9_S9_S9_S9_S9_S9_EENS0_10empty_typeEbEEZZNS1_14partition_implILS5_3ELb0ES3_jNS7_6detail15normal_iteratorINS7_7pointerISA_NS7_11hip_rocprim3tagENS7_11use_defaultESJ_EEEEPSB_SM_NS0_5tupleIJPSA_SM_EEENSN_IJSM_SM_EEESB_PlJ10is_orderedEEE10hipError_tPvRmT3_T4_T5_T6_T7_T9_mT8_P12ihipStream_tbDpT10_ENKUlT_T0_E_clISt17integral_constantIbLb0EES1B_IbLb1EEEEDaS17_S18_EUlS17_E_NS1_11comp_targetILNS1_3genE0ELNS1_11target_archE4294967295ELNS1_3gpuE0ELNS1_3repE0EEENS1_30default_config_static_selectorELNS0_4arch9wavefront6targetE1EEEvT1_.kd
    .uniform_work_group_size: 1
    .uses_dynamic_stack: false
    .vgpr_count:     0
    .vgpr_spill_count: 0
    .wavefront_size: 64
  - .agpr_count:     0
    .args:
      - .offset:         0
        .size:           136
        .value_kind:     by_value
    .group_segment_fixed_size: 25352
    .kernarg_segment_align: 8
    .kernarg_segment_size: 136
    .language:       OpenCL C
    .language_version:
      - 2
      - 0
    .max_flat_workgroup_size: 384
    .name:           _ZN7rocprim17ROCPRIM_400000_NS6detail17trampoline_kernelINS0_14default_configENS1_25partition_config_selectorILNS1_17partition_subalgoE3EN6thrust23THRUST_200600_302600_NS5tupleIxxNS7_9null_typeES9_S9_S9_S9_S9_S9_S9_EENS0_10empty_typeEbEEZZNS1_14partition_implILS5_3ELb0ES3_jNS7_6detail15normal_iteratorINS7_7pointerISA_NS7_11hip_rocprim3tagENS7_11use_defaultESJ_EEEEPSB_SM_NS0_5tupleIJPSA_SM_EEENSN_IJSM_SM_EEESB_PlJ10is_orderedEEE10hipError_tPvRmT3_T4_T5_T6_T7_T9_mT8_P12ihipStream_tbDpT10_ENKUlT_T0_E_clISt17integral_constantIbLb0EES1B_IbLb1EEEEDaS17_S18_EUlS17_E_NS1_11comp_targetILNS1_3genE5ELNS1_11target_archE942ELNS1_3gpuE9ELNS1_3repE0EEENS1_30default_config_static_selectorELNS0_4arch9wavefront6targetE1EEEvT1_
    .private_segment_fixed_size: 0
    .sgpr_count:     52
    .sgpr_spill_count: 0
    .symbol:         _ZN7rocprim17ROCPRIM_400000_NS6detail17trampoline_kernelINS0_14default_configENS1_25partition_config_selectorILNS1_17partition_subalgoE3EN6thrust23THRUST_200600_302600_NS5tupleIxxNS7_9null_typeES9_S9_S9_S9_S9_S9_S9_EENS0_10empty_typeEbEEZZNS1_14partition_implILS5_3ELb0ES3_jNS7_6detail15normal_iteratorINS7_7pointerISA_NS7_11hip_rocprim3tagENS7_11use_defaultESJ_EEEEPSB_SM_NS0_5tupleIJPSA_SM_EEENSN_IJSM_SM_EEESB_PlJ10is_orderedEEE10hipError_tPvRmT3_T4_T5_T6_T7_T9_mT8_P12ihipStream_tbDpT10_ENKUlT_T0_E_clISt17integral_constantIbLb0EES1B_IbLb1EEEEDaS17_S18_EUlS17_E_NS1_11comp_targetILNS1_3genE5ELNS1_11target_archE942ELNS1_3gpuE9ELNS1_3repE0EEENS1_30default_config_static_selectorELNS0_4arch9wavefront6targetE1EEEvT1_.kd
    .uniform_work_group_size: 1
    .uses_dynamic_stack: false
    .vgpr_count:     55
    .vgpr_spill_count: 0
    .wavefront_size: 64
  - .agpr_count:     0
    .args:
      - .offset:         0
        .size:           136
        .value_kind:     by_value
    .group_segment_fixed_size: 0
    .kernarg_segment_align: 8
    .kernarg_segment_size: 136
    .language:       OpenCL C
    .language_version:
      - 2
      - 0
    .max_flat_workgroup_size: 256
    .name:           _ZN7rocprim17ROCPRIM_400000_NS6detail17trampoline_kernelINS0_14default_configENS1_25partition_config_selectorILNS1_17partition_subalgoE3EN6thrust23THRUST_200600_302600_NS5tupleIxxNS7_9null_typeES9_S9_S9_S9_S9_S9_S9_EENS0_10empty_typeEbEEZZNS1_14partition_implILS5_3ELb0ES3_jNS7_6detail15normal_iteratorINS7_7pointerISA_NS7_11hip_rocprim3tagENS7_11use_defaultESJ_EEEEPSB_SM_NS0_5tupleIJPSA_SM_EEENSN_IJSM_SM_EEESB_PlJ10is_orderedEEE10hipError_tPvRmT3_T4_T5_T6_T7_T9_mT8_P12ihipStream_tbDpT10_ENKUlT_T0_E_clISt17integral_constantIbLb0EES1B_IbLb1EEEEDaS17_S18_EUlS17_E_NS1_11comp_targetILNS1_3genE4ELNS1_11target_archE910ELNS1_3gpuE8ELNS1_3repE0EEENS1_30default_config_static_selectorELNS0_4arch9wavefront6targetE1EEEvT1_
    .private_segment_fixed_size: 0
    .sgpr_count:     6
    .sgpr_spill_count: 0
    .symbol:         _ZN7rocprim17ROCPRIM_400000_NS6detail17trampoline_kernelINS0_14default_configENS1_25partition_config_selectorILNS1_17partition_subalgoE3EN6thrust23THRUST_200600_302600_NS5tupleIxxNS7_9null_typeES9_S9_S9_S9_S9_S9_S9_EENS0_10empty_typeEbEEZZNS1_14partition_implILS5_3ELb0ES3_jNS7_6detail15normal_iteratorINS7_7pointerISA_NS7_11hip_rocprim3tagENS7_11use_defaultESJ_EEEEPSB_SM_NS0_5tupleIJPSA_SM_EEENSN_IJSM_SM_EEESB_PlJ10is_orderedEEE10hipError_tPvRmT3_T4_T5_T6_T7_T9_mT8_P12ihipStream_tbDpT10_ENKUlT_T0_E_clISt17integral_constantIbLb0EES1B_IbLb1EEEEDaS17_S18_EUlS17_E_NS1_11comp_targetILNS1_3genE4ELNS1_11target_archE910ELNS1_3gpuE8ELNS1_3repE0EEENS1_30default_config_static_selectorELNS0_4arch9wavefront6targetE1EEEvT1_.kd
    .uniform_work_group_size: 1
    .uses_dynamic_stack: false
    .vgpr_count:     0
    .vgpr_spill_count: 0
    .wavefront_size: 64
  - .agpr_count:     0
    .args:
      - .offset:         0
        .size:           136
        .value_kind:     by_value
    .group_segment_fixed_size: 0
    .kernarg_segment_align: 8
    .kernarg_segment_size: 136
    .language:       OpenCL C
    .language_version:
      - 2
      - 0
    .max_flat_workgroup_size: 128
    .name:           _ZN7rocprim17ROCPRIM_400000_NS6detail17trampoline_kernelINS0_14default_configENS1_25partition_config_selectorILNS1_17partition_subalgoE3EN6thrust23THRUST_200600_302600_NS5tupleIxxNS7_9null_typeES9_S9_S9_S9_S9_S9_S9_EENS0_10empty_typeEbEEZZNS1_14partition_implILS5_3ELb0ES3_jNS7_6detail15normal_iteratorINS7_7pointerISA_NS7_11hip_rocprim3tagENS7_11use_defaultESJ_EEEEPSB_SM_NS0_5tupleIJPSA_SM_EEENSN_IJSM_SM_EEESB_PlJ10is_orderedEEE10hipError_tPvRmT3_T4_T5_T6_T7_T9_mT8_P12ihipStream_tbDpT10_ENKUlT_T0_E_clISt17integral_constantIbLb0EES1B_IbLb1EEEEDaS17_S18_EUlS17_E_NS1_11comp_targetILNS1_3genE3ELNS1_11target_archE908ELNS1_3gpuE7ELNS1_3repE0EEENS1_30default_config_static_selectorELNS0_4arch9wavefront6targetE1EEEvT1_
    .private_segment_fixed_size: 0
    .sgpr_count:     6
    .sgpr_spill_count: 0
    .symbol:         _ZN7rocprim17ROCPRIM_400000_NS6detail17trampoline_kernelINS0_14default_configENS1_25partition_config_selectorILNS1_17partition_subalgoE3EN6thrust23THRUST_200600_302600_NS5tupleIxxNS7_9null_typeES9_S9_S9_S9_S9_S9_S9_EENS0_10empty_typeEbEEZZNS1_14partition_implILS5_3ELb0ES3_jNS7_6detail15normal_iteratorINS7_7pointerISA_NS7_11hip_rocprim3tagENS7_11use_defaultESJ_EEEEPSB_SM_NS0_5tupleIJPSA_SM_EEENSN_IJSM_SM_EEESB_PlJ10is_orderedEEE10hipError_tPvRmT3_T4_T5_T6_T7_T9_mT8_P12ihipStream_tbDpT10_ENKUlT_T0_E_clISt17integral_constantIbLb0EES1B_IbLb1EEEEDaS17_S18_EUlS17_E_NS1_11comp_targetILNS1_3genE3ELNS1_11target_archE908ELNS1_3gpuE7ELNS1_3repE0EEENS1_30default_config_static_selectorELNS0_4arch9wavefront6targetE1EEEvT1_.kd
    .uniform_work_group_size: 1
    .uses_dynamic_stack: false
    .vgpr_count:     0
    .vgpr_spill_count: 0
    .wavefront_size: 64
  - .agpr_count:     0
    .args:
      - .offset:         0
        .size:           136
        .value_kind:     by_value
    .group_segment_fixed_size: 0
    .kernarg_segment_align: 8
    .kernarg_segment_size: 136
    .language:       OpenCL C
    .language_version:
      - 2
      - 0
    .max_flat_workgroup_size: 256
    .name:           _ZN7rocprim17ROCPRIM_400000_NS6detail17trampoline_kernelINS0_14default_configENS1_25partition_config_selectorILNS1_17partition_subalgoE3EN6thrust23THRUST_200600_302600_NS5tupleIxxNS7_9null_typeES9_S9_S9_S9_S9_S9_S9_EENS0_10empty_typeEbEEZZNS1_14partition_implILS5_3ELb0ES3_jNS7_6detail15normal_iteratorINS7_7pointerISA_NS7_11hip_rocprim3tagENS7_11use_defaultESJ_EEEEPSB_SM_NS0_5tupleIJPSA_SM_EEENSN_IJSM_SM_EEESB_PlJ10is_orderedEEE10hipError_tPvRmT3_T4_T5_T6_T7_T9_mT8_P12ihipStream_tbDpT10_ENKUlT_T0_E_clISt17integral_constantIbLb0EES1B_IbLb1EEEEDaS17_S18_EUlS17_E_NS1_11comp_targetILNS1_3genE2ELNS1_11target_archE906ELNS1_3gpuE6ELNS1_3repE0EEENS1_30default_config_static_selectorELNS0_4arch9wavefront6targetE1EEEvT1_
    .private_segment_fixed_size: 0
    .sgpr_count:     6
    .sgpr_spill_count: 0
    .symbol:         _ZN7rocprim17ROCPRIM_400000_NS6detail17trampoline_kernelINS0_14default_configENS1_25partition_config_selectorILNS1_17partition_subalgoE3EN6thrust23THRUST_200600_302600_NS5tupleIxxNS7_9null_typeES9_S9_S9_S9_S9_S9_S9_EENS0_10empty_typeEbEEZZNS1_14partition_implILS5_3ELb0ES3_jNS7_6detail15normal_iteratorINS7_7pointerISA_NS7_11hip_rocprim3tagENS7_11use_defaultESJ_EEEEPSB_SM_NS0_5tupleIJPSA_SM_EEENSN_IJSM_SM_EEESB_PlJ10is_orderedEEE10hipError_tPvRmT3_T4_T5_T6_T7_T9_mT8_P12ihipStream_tbDpT10_ENKUlT_T0_E_clISt17integral_constantIbLb0EES1B_IbLb1EEEEDaS17_S18_EUlS17_E_NS1_11comp_targetILNS1_3genE2ELNS1_11target_archE906ELNS1_3gpuE6ELNS1_3repE0EEENS1_30default_config_static_selectorELNS0_4arch9wavefront6targetE1EEEvT1_.kd
    .uniform_work_group_size: 1
    .uses_dynamic_stack: false
    .vgpr_count:     0
    .vgpr_spill_count: 0
    .wavefront_size: 64
  - .agpr_count:     0
    .args:
      - .offset:         0
        .size:           136
        .value_kind:     by_value
    .group_segment_fixed_size: 0
    .kernarg_segment_align: 8
    .kernarg_segment_size: 136
    .language:       OpenCL C
    .language_version:
      - 2
      - 0
    .max_flat_workgroup_size: 256
    .name:           _ZN7rocprim17ROCPRIM_400000_NS6detail17trampoline_kernelINS0_14default_configENS1_25partition_config_selectorILNS1_17partition_subalgoE3EN6thrust23THRUST_200600_302600_NS5tupleIxxNS7_9null_typeES9_S9_S9_S9_S9_S9_S9_EENS0_10empty_typeEbEEZZNS1_14partition_implILS5_3ELb0ES3_jNS7_6detail15normal_iteratorINS7_7pointerISA_NS7_11hip_rocprim3tagENS7_11use_defaultESJ_EEEEPSB_SM_NS0_5tupleIJPSA_SM_EEENSN_IJSM_SM_EEESB_PlJ10is_orderedEEE10hipError_tPvRmT3_T4_T5_T6_T7_T9_mT8_P12ihipStream_tbDpT10_ENKUlT_T0_E_clISt17integral_constantIbLb0EES1B_IbLb1EEEEDaS17_S18_EUlS17_E_NS1_11comp_targetILNS1_3genE10ELNS1_11target_archE1200ELNS1_3gpuE4ELNS1_3repE0EEENS1_30default_config_static_selectorELNS0_4arch9wavefront6targetE1EEEvT1_
    .private_segment_fixed_size: 0
    .sgpr_count:     6
    .sgpr_spill_count: 0
    .symbol:         _ZN7rocprim17ROCPRIM_400000_NS6detail17trampoline_kernelINS0_14default_configENS1_25partition_config_selectorILNS1_17partition_subalgoE3EN6thrust23THRUST_200600_302600_NS5tupleIxxNS7_9null_typeES9_S9_S9_S9_S9_S9_S9_EENS0_10empty_typeEbEEZZNS1_14partition_implILS5_3ELb0ES3_jNS7_6detail15normal_iteratorINS7_7pointerISA_NS7_11hip_rocprim3tagENS7_11use_defaultESJ_EEEEPSB_SM_NS0_5tupleIJPSA_SM_EEENSN_IJSM_SM_EEESB_PlJ10is_orderedEEE10hipError_tPvRmT3_T4_T5_T6_T7_T9_mT8_P12ihipStream_tbDpT10_ENKUlT_T0_E_clISt17integral_constantIbLb0EES1B_IbLb1EEEEDaS17_S18_EUlS17_E_NS1_11comp_targetILNS1_3genE10ELNS1_11target_archE1200ELNS1_3gpuE4ELNS1_3repE0EEENS1_30default_config_static_selectorELNS0_4arch9wavefront6targetE1EEEvT1_.kd
    .uniform_work_group_size: 1
    .uses_dynamic_stack: false
    .vgpr_count:     0
    .vgpr_spill_count: 0
    .wavefront_size: 64
  - .agpr_count:     0
    .args:
      - .offset:         0
        .size:           136
        .value_kind:     by_value
    .group_segment_fixed_size: 0
    .kernarg_segment_align: 8
    .kernarg_segment_size: 136
    .language:       OpenCL C
    .language_version:
      - 2
      - 0
    .max_flat_workgroup_size: 512
    .name:           _ZN7rocprim17ROCPRIM_400000_NS6detail17trampoline_kernelINS0_14default_configENS1_25partition_config_selectorILNS1_17partition_subalgoE3EN6thrust23THRUST_200600_302600_NS5tupleIxxNS7_9null_typeES9_S9_S9_S9_S9_S9_S9_EENS0_10empty_typeEbEEZZNS1_14partition_implILS5_3ELb0ES3_jNS7_6detail15normal_iteratorINS7_7pointerISA_NS7_11hip_rocprim3tagENS7_11use_defaultESJ_EEEEPSB_SM_NS0_5tupleIJPSA_SM_EEENSN_IJSM_SM_EEESB_PlJ10is_orderedEEE10hipError_tPvRmT3_T4_T5_T6_T7_T9_mT8_P12ihipStream_tbDpT10_ENKUlT_T0_E_clISt17integral_constantIbLb0EES1B_IbLb1EEEEDaS17_S18_EUlS17_E_NS1_11comp_targetILNS1_3genE9ELNS1_11target_archE1100ELNS1_3gpuE3ELNS1_3repE0EEENS1_30default_config_static_selectorELNS0_4arch9wavefront6targetE1EEEvT1_
    .private_segment_fixed_size: 0
    .sgpr_count:     6
    .sgpr_spill_count: 0
    .symbol:         _ZN7rocprim17ROCPRIM_400000_NS6detail17trampoline_kernelINS0_14default_configENS1_25partition_config_selectorILNS1_17partition_subalgoE3EN6thrust23THRUST_200600_302600_NS5tupleIxxNS7_9null_typeES9_S9_S9_S9_S9_S9_S9_EENS0_10empty_typeEbEEZZNS1_14partition_implILS5_3ELb0ES3_jNS7_6detail15normal_iteratorINS7_7pointerISA_NS7_11hip_rocprim3tagENS7_11use_defaultESJ_EEEEPSB_SM_NS0_5tupleIJPSA_SM_EEENSN_IJSM_SM_EEESB_PlJ10is_orderedEEE10hipError_tPvRmT3_T4_T5_T6_T7_T9_mT8_P12ihipStream_tbDpT10_ENKUlT_T0_E_clISt17integral_constantIbLb0EES1B_IbLb1EEEEDaS17_S18_EUlS17_E_NS1_11comp_targetILNS1_3genE9ELNS1_11target_archE1100ELNS1_3gpuE3ELNS1_3repE0EEENS1_30default_config_static_selectorELNS0_4arch9wavefront6targetE1EEEvT1_.kd
    .uniform_work_group_size: 1
    .uses_dynamic_stack: false
    .vgpr_count:     0
    .vgpr_spill_count: 0
    .wavefront_size: 64
  - .agpr_count:     0
    .args:
      - .offset:         0
        .size:           136
        .value_kind:     by_value
    .group_segment_fixed_size: 0
    .kernarg_segment_align: 8
    .kernarg_segment_size: 136
    .language:       OpenCL C
    .language_version:
      - 2
      - 0
    .max_flat_workgroup_size: 256
    .name:           _ZN7rocprim17ROCPRIM_400000_NS6detail17trampoline_kernelINS0_14default_configENS1_25partition_config_selectorILNS1_17partition_subalgoE3EN6thrust23THRUST_200600_302600_NS5tupleIxxNS7_9null_typeES9_S9_S9_S9_S9_S9_S9_EENS0_10empty_typeEbEEZZNS1_14partition_implILS5_3ELb0ES3_jNS7_6detail15normal_iteratorINS7_7pointerISA_NS7_11hip_rocprim3tagENS7_11use_defaultESJ_EEEEPSB_SM_NS0_5tupleIJPSA_SM_EEENSN_IJSM_SM_EEESB_PlJ10is_orderedEEE10hipError_tPvRmT3_T4_T5_T6_T7_T9_mT8_P12ihipStream_tbDpT10_ENKUlT_T0_E_clISt17integral_constantIbLb0EES1B_IbLb1EEEEDaS17_S18_EUlS17_E_NS1_11comp_targetILNS1_3genE8ELNS1_11target_archE1030ELNS1_3gpuE2ELNS1_3repE0EEENS1_30default_config_static_selectorELNS0_4arch9wavefront6targetE1EEEvT1_
    .private_segment_fixed_size: 0
    .sgpr_count:     6
    .sgpr_spill_count: 0
    .symbol:         _ZN7rocprim17ROCPRIM_400000_NS6detail17trampoline_kernelINS0_14default_configENS1_25partition_config_selectorILNS1_17partition_subalgoE3EN6thrust23THRUST_200600_302600_NS5tupleIxxNS7_9null_typeES9_S9_S9_S9_S9_S9_S9_EENS0_10empty_typeEbEEZZNS1_14partition_implILS5_3ELb0ES3_jNS7_6detail15normal_iteratorINS7_7pointerISA_NS7_11hip_rocprim3tagENS7_11use_defaultESJ_EEEEPSB_SM_NS0_5tupleIJPSA_SM_EEENSN_IJSM_SM_EEESB_PlJ10is_orderedEEE10hipError_tPvRmT3_T4_T5_T6_T7_T9_mT8_P12ihipStream_tbDpT10_ENKUlT_T0_E_clISt17integral_constantIbLb0EES1B_IbLb1EEEEDaS17_S18_EUlS17_E_NS1_11comp_targetILNS1_3genE8ELNS1_11target_archE1030ELNS1_3gpuE2ELNS1_3repE0EEENS1_30default_config_static_selectorELNS0_4arch9wavefront6targetE1EEEvT1_.kd
    .uniform_work_group_size: 1
    .uses_dynamic_stack: false
    .vgpr_count:     0
    .vgpr_spill_count: 0
    .wavefront_size: 64
  - .agpr_count:     0
    .args:
      - .offset:         0
        .size:           32
        .value_kind:     by_value
      - .offset:         32
        .size:           8
        .value_kind:     by_value
      - .offset:         40
        .size:           8
        .value_kind:     by_value
    .group_segment_fixed_size: 0
    .kernarg_segment_align: 8
    .kernarg_segment_size: 48
    .language:       OpenCL C
    .language_version:
      - 2
      - 0
    .max_flat_workgroup_size: 256
    .name:           _ZN6thrust23THRUST_200600_302600_NS11hip_rocprim14__parallel_for6kernelILj256ENS1_11__transform17unary_transform_fIPNS0_5tupleIxxNS0_9null_typeES7_S7_S7_S7_S7_S7_S7_EENS0_12zip_iteratorINS6_INS0_6detail15normal_iteratorINS0_10device_ptrIxEEEESF_S7_S7_S7_S7_S7_S7_S7_S7_EEEENS4_14no_stencil_tagENS0_8identityIS8_EENS4_21always_true_predicateEEElLj1EEEvT0_T1_SO_
    .private_segment_fixed_size: 0
    .sgpr_count:     16
    .sgpr_spill_count: 0
    .symbol:         _ZN6thrust23THRUST_200600_302600_NS11hip_rocprim14__parallel_for6kernelILj256ENS1_11__transform17unary_transform_fIPNS0_5tupleIxxNS0_9null_typeES7_S7_S7_S7_S7_S7_S7_EENS0_12zip_iteratorINS6_INS0_6detail15normal_iteratorINS0_10device_ptrIxEEEESF_S7_S7_S7_S7_S7_S7_S7_S7_EEEENS4_14no_stencil_tagENS0_8identityIS8_EENS4_21always_true_predicateEEElLj1EEEvT0_T1_SO_.kd
    .uniform_work_group_size: 1
    .uses_dynamic_stack: false
    .vgpr_count:     8
    .vgpr_spill_count: 0
    .wavefront_size: 64
  - .agpr_count:     0
    .args:
      - .offset:         0
        .size:           16
        .value_kind:     by_value
      - .offset:         16
        .size:           8
        .value_kind:     by_value
      - .offset:         24
        .size:           8
        .value_kind:     by_value
    .group_segment_fixed_size: 0
    .kernarg_segment_align: 8
    .kernarg_segment_size: 32
    .language:       OpenCL C
    .language_version:
      - 2
      - 0
    .max_flat_workgroup_size: 256
    .name:           _ZN6thrust23THRUST_200600_302600_NS11hip_rocprim14__parallel_for6kernelILj256ENS1_10for_each_fINS0_7pointerINS0_5tupleIiiNS0_9null_typeES7_S7_S7_S7_S7_S7_S7_EENS1_3tagENS0_11use_defaultESA_EENS0_6detail16wrapped_functionINSC_23allocator_traits_detail24construct1_via_allocatorINSC_18no_throw_allocatorINSC_19temporary_allocatorIS8_S9_EEEEEEvEEEEmLj1EEEvT0_T1_SO_
    .private_segment_fixed_size: 0
    .sgpr_count:     18
    .sgpr_spill_count: 0
    .symbol:         _ZN6thrust23THRUST_200600_302600_NS11hip_rocprim14__parallel_for6kernelILj256ENS1_10for_each_fINS0_7pointerINS0_5tupleIiiNS0_9null_typeES7_S7_S7_S7_S7_S7_S7_EENS1_3tagENS0_11use_defaultESA_EENS0_6detail16wrapped_functionINSC_23allocator_traits_detail24construct1_via_allocatorINSC_18no_throw_allocatorINSC_19temporary_allocatorIS8_S9_EEEEEEvEEEEmLj1EEEvT0_T1_SO_.kd
    .uniform_work_group_size: 1
    .uses_dynamic_stack: false
    .vgpr_count:     4
    .vgpr_spill_count: 0
    .wavefront_size: 64
  - .agpr_count:     0
    .args:
      - .offset:         0
        .size:           16
        .value_kind:     by_value
      - .offset:         16
        .size:           8
        .value_kind:     by_value
      - .offset:         24
        .size:           8
        .value_kind:     by_value
    .group_segment_fixed_size: 0
    .kernarg_segment_align: 8
    .kernarg_segment_size: 32
    .language:       OpenCL C
    .language_version:
      - 2
      - 0
    .max_flat_workgroup_size: 256
    .name:           _ZN6thrust23THRUST_200600_302600_NS11hip_rocprim14__parallel_for6kernelILj256ENS1_10for_each_fINS0_7pointerINS0_5tupleIiiNS0_9null_typeES7_S7_S7_S7_S7_S7_S7_EENS1_3tagENS0_11use_defaultESA_EENS0_6detail16wrapped_functionINSC_23allocator_traits_detail5gozerEvEEEElLj1EEEvT0_T1_SJ_
    .private_segment_fixed_size: 0
    .sgpr_count:     6
    .sgpr_spill_count: 0
    .symbol:         _ZN6thrust23THRUST_200600_302600_NS11hip_rocprim14__parallel_for6kernelILj256ENS1_10for_each_fINS0_7pointerINS0_5tupleIiiNS0_9null_typeES7_S7_S7_S7_S7_S7_S7_EENS1_3tagENS0_11use_defaultESA_EENS0_6detail16wrapped_functionINSC_23allocator_traits_detail5gozerEvEEEElLj1EEEvT0_T1_SJ_.kd
    .uniform_work_group_size: 1
    .uses_dynamic_stack: false
    .vgpr_count:     0
    .vgpr_spill_count: 0
    .wavefront_size: 64
  - .agpr_count:     0
    .args:
      - .offset:         0
        .size:           24
        .value_kind:     by_value
      - .offset:         24
        .size:           8
        .value_kind:     by_value
      - .offset:         32
        .size:           8
        .value_kind:     by_value
    .group_segment_fixed_size: 0
    .kernarg_segment_align: 8
    .kernarg_segment_size: 40
    .language:       OpenCL C
    .language_version:
      - 2
      - 0
    .max_flat_workgroup_size: 256
    .name:           _ZN6thrust23THRUST_200600_302600_NS11hip_rocprim14__parallel_for6kernelILj256ENS1_20__uninitialized_copy7functorINS0_12zip_iteratorINS0_5tupleINS0_6detail15normal_iteratorINS0_10device_ptrIiEEEESC_NS0_9null_typeESD_SD_SD_SD_SD_SD_SD_EEEENS9_INS0_7pointerINS7_IiiSD_SD_SD_SD_SD_SD_SD_SD_EENS1_3tagENS0_11use_defaultESJ_EEEEEElLj1EEEvT0_T1_SO_
    .private_segment_fixed_size: 0
    .sgpr_count:     16
    .sgpr_spill_count: 0
    .symbol:         _ZN6thrust23THRUST_200600_302600_NS11hip_rocprim14__parallel_for6kernelILj256ENS1_20__uninitialized_copy7functorINS0_12zip_iteratorINS0_5tupleINS0_6detail15normal_iteratorINS0_10device_ptrIiEEEESC_NS0_9null_typeESD_SD_SD_SD_SD_SD_SD_EEEENS9_INS0_7pointerINS7_IiiSD_SD_SD_SD_SD_SD_SD_SD_EENS1_3tagENS0_11use_defaultESJ_EEEEEElLj1EEEvT0_T1_SO_.kd
    .uniform_work_group_size: 1
    .uses_dynamic_stack: false
    .vgpr_count:     8
    .vgpr_spill_count: 0
    .wavefront_size: 64
  - .agpr_count:     0
    .args:
      - .offset:         0
        .size:           120
        .value_kind:     by_value
    .group_segment_fixed_size: 0
    .kernarg_segment_align: 8
    .kernarg_segment_size: 120
    .language:       OpenCL C
    .language_version:
      - 2
      - 0
    .max_flat_workgroup_size: 192
    .name:           _ZN7rocprim17ROCPRIM_400000_NS6detail17trampoline_kernelINS0_14default_configENS1_25partition_config_selectorILNS1_17partition_subalgoE3EN6thrust23THRUST_200600_302600_NS5tupleIiiNS7_9null_typeES9_S9_S9_S9_S9_S9_S9_EENS0_10empty_typeEbEEZZNS1_14partition_implILS5_3ELb0ES3_jNS7_6detail15normal_iteratorINS7_7pointerISA_NS7_11hip_rocprim3tagENS7_11use_defaultESJ_EEEEPSB_SM_NS0_5tupleIJPSA_SM_EEENSN_IJSM_SM_EEESB_PlJ10is_orderedEEE10hipError_tPvRmT3_T4_T5_T6_T7_T9_mT8_P12ihipStream_tbDpT10_ENKUlT_T0_E_clISt17integral_constantIbLb0EES1C_EEDaS17_S18_EUlS17_E_NS1_11comp_targetILNS1_3genE0ELNS1_11target_archE4294967295ELNS1_3gpuE0ELNS1_3repE0EEENS1_30default_config_static_selectorELNS0_4arch9wavefront6targetE1EEEvT1_
    .private_segment_fixed_size: 0
    .sgpr_count:     6
    .sgpr_spill_count: 0
    .symbol:         _ZN7rocprim17ROCPRIM_400000_NS6detail17trampoline_kernelINS0_14default_configENS1_25partition_config_selectorILNS1_17partition_subalgoE3EN6thrust23THRUST_200600_302600_NS5tupleIiiNS7_9null_typeES9_S9_S9_S9_S9_S9_S9_EENS0_10empty_typeEbEEZZNS1_14partition_implILS5_3ELb0ES3_jNS7_6detail15normal_iteratorINS7_7pointerISA_NS7_11hip_rocprim3tagENS7_11use_defaultESJ_EEEEPSB_SM_NS0_5tupleIJPSA_SM_EEENSN_IJSM_SM_EEESB_PlJ10is_orderedEEE10hipError_tPvRmT3_T4_T5_T6_T7_T9_mT8_P12ihipStream_tbDpT10_ENKUlT_T0_E_clISt17integral_constantIbLb0EES1C_EEDaS17_S18_EUlS17_E_NS1_11comp_targetILNS1_3genE0ELNS1_11target_archE4294967295ELNS1_3gpuE0ELNS1_3repE0EEENS1_30default_config_static_selectorELNS0_4arch9wavefront6targetE1EEEvT1_.kd
    .uniform_work_group_size: 1
    .uses_dynamic_stack: false
    .vgpr_count:     0
    .vgpr_spill_count: 0
    .wavefront_size: 64
  - .agpr_count:     0
    .args:
      - .offset:         0
        .size:           120
        .value_kind:     by_value
    .group_segment_fixed_size: 28680
    .kernarg_segment_align: 8
    .kernarg_segment_size: 120
    .language:       OpenCL C
    .language_version:
      - 2
      - 0
    .max_flat_workgroup_size: 512
    .name:           _ZN7rocprim17ROCPRIM_400000_NS6detail17trampoline_kernelINS0_14default_configENS1_25partition_config_selectorILNS1_17partition_subalgoE3EN6thrust23THRUST_200600_302600_NS5tupleIiiNS7_9null_typeES9_S9_S9_S9_S9_S9_S9_EENS0_10empty_typeEbEEZZNS1_14partition_implILS5_3ELb0ES3_jNS7_6detail15normal_iteratorINS7_7pointerISA_NS7_11hip_rocprim3tagENS7_11use_defaultESJ_EEEEPSB_SM_NS0_5tupleIJPSA_SM_EEENSN_IJSM_SM_EEESB_PlJ10is_orderedEEE10hipError_tPvRmT3_T4_T5_T6_T7_T9_mT8_P12ihipStream_tbDpT10_ENKUlT_T0_E_clISt17integral_constantIbLb0EES1C_EEDaS17_S18_EUlS17_E_NS1_11comp_targetILNS1_3genE5ELNS1_11target_archE942ELNS1_3gpuE9ELNS1_3repE0EEENS1_30default_config_static_selectorELNS0_4arch9wavefront6targetE1EEEvT1_
    .private_segment_fixed_size: 0
    .sgpr_count:     54
    .sgpr_spill_count: 0
    .symbol:         _ZN7rocprim17ROCPRIM_400000_NS6detail17trampoline_kernelINS0_14default_configENS1_25partition_config_selectorILNS1_17partition_subalgoE3EN6thrust23THRUST_200600_302600_NS5tupleIiiNS7_9null_typeES9_S9_S9_S9_S9_S9_S9_EENS0_10empty_typeEbEEZZNS1_14partition_implILS5_3ELb0ES3_jNS7_6detail15normal_iteratorINS7_7pointerISA_NS7_11hip_rocprim3tagENS7_11use_defaultESJ_EEEEPSB_SM_NS0_5tupleIJPSA_SM_EEENSN_IJSM_SM_EEESB_PlJ10is_orderedEEE10hipError_tPvRmT3_T4_T5_T6_T7_T9_mT8_P12ihipStream_tbDpT10_ENKUlT_T0_E_clISt17integral_constantIbLb0EES1C_EEDaS17_S18_EUlS17_E_NS1_11comp_targetILNS1_3genE5ELNS1_11target_archE942ELNS1_3gpuE9ELNS1_3repE0EEENS1_30default_config_static_selectorELNS0_4arch9wavefront6targetE1EEEvT1_.kd
    .uniform_work_group_size: 1
    .uses_dynamic_stack: false
    .vgpr_count:     56
    .vgpr_spill_count: 0
    .wavefront_size: 64
  - .agpr_count:     0
    .args:
      - .offset:         0
        .size:           16
        .value_kind:     by_value
      - .offset:         16
        .size:           8
        .value_kind:     by_value
      - .offset:         24
        .size:           8
        .value_kind:     by_value
    .group_segment_fixed_size: 0
    .kernarg_segment_align: 8
    .kernarg_segment_size: 32
    .language:       OpenCL C
    .language_version:
      - 2
      - 0
    .max_flat_workgroup_size: 256
    .name:           _ZN6thrust23THRUST_200600_302600_NS11hip_rocprim14__parallel_for6kernelILj256ENS1_20__uninitialized_copy7functorINS0_7pointerINS0_5tupleIiiNS0_9null_typeES8_S8_S8_S8_S8_S8_S8_EENS1_3tagENS0_11use_defaultESB_EESC_EEmLj1EEEvT0_T1_SF_
    .private_segment_fixed_size: 0
    .sgpr_count:     18
    .sgpr_spill_count: 0
    .symbol:         _ZN6thrust23THRUST_200600_302600_NS11hip_rocprim14__parallel_for6kernelILj256ENS1_20__uninitialized_copy7functorINS0_7pointerINS0_5tupleIiiNS0_9null_typeES8_S8_S8_S8_S8_S8_S8_EENS1_3tagENS0_11use_defaultESB_EESC_EEmLj1EEEvT0_T1_SF_.kd
    .uniform_work_group_size: 1
    .uses_dynamic_stack: false
    .vgpr_count:     6
    .vgpr_spill_count: 0
    .wavefront_size: 64
  - .agpr_count:     0
    .args:
      - .offset:         0
        .size:           120
        .value_kind:     by_value
    .group_segment_fixed_size: 0
    .kernarg_segment_align: 8
    .kernarg_segment_size: 120
    .language:       OpenCL C
    .language_version:
      - 2
      - 0
    .max_flat_workgroup_size: 192
    .name:           _ZN7rocprim17ROCPRIM_400000_NS6detail17trampoline_kernelINS0_14default_configENS1_25partition_config_selectorILNS1_17partition_subalgoE3EN6thrust23THRUST_200600_302600_NS5tupleIiiNS7_9null_typeES9_S9_S9_S9_S9_S9_S9_EENS0_10empty_typeEbEEZZNS1_14partition_implILS5_3ELb0ES3_jNS7_6detail15normal_iteratorINS7_7pointerISA_NS7_11hip_rocprim3tagENS7_11use_defaultESJ_EEEEPSB_SM_NS0_5tupleIJPSA_SM_EEENSN_IJSM_SM_EEESB_PlJ10is_orderedEEE10hipError_tPvRmT3_T4_T5_T6_T7_T9_mT8_P12ihipStream_tbDpT10_ENKUlT_T0_E_clISt17integral_constantIbLb0EES1C_EEDaS17_S18_EUlS17_E_NS1_11comp_targetILNS1_3genE4ELNS1_11target_archE910ELNS1_3gpuE8ELNS1_3repE0EEENS1_30default_config_static_selectorELNS0_4arch9wavefront6targetE1EEEvT1_
    .private_segment_fixed_size: 0
    .sgpr_count:     6
    .sgpr_spill_count: 0
    .symbol:         _ZN7rocprim17ROCPRIM_400000_NS6detail17trampoline_kernelINS0_14default_configENS1_25partition_config_selectorILNS1_17partition_subalgoE3EN6thrust23THRUST_200600_302600_NS5tupleIiiNS7_9null_typeES9_S9_S9_S9_S9_S9_S9_EENS0_10empty_typeEbEEZZNS1_14partition_implILS5_3ELb0ES3_jNS7_6detail15normal_iteratorINS7_7pointerISA_NS7_11hip_rocprim3tagENS7_11use_defaultESJ_EEEEPSB_SM_NS0_5tupleIJPSA_SM_EEENSN_IJSM_SM_EEESB_PlJ10is_orderedEEE10hipError_tPvRmT3_T4_T5_T6_T7_T9_mT8_P12ihipStream_tbDpT10_ENKUlT_T0_E_clISt17integral_constantIbLb0EES1C_EEDaS17_S18_EUlS17_E_NS1_11comp_targetILNS1_3genE4ELNS1_11target_archE910ELNS1_3gpuE8ELNS1_3repE0EEENS1_30default_config_static_selectorELNS0_4arch9wavefront6targetE1EEEvT1_.kd
    .uniform_work_group_size: 1
    .uses_dynamic_stack: false
    .vgpr_count:     0
    .vgpr_spill_count: 0
    .wavefront_size: 64
  - .agpr_count:     0
    .args:
      - .offset:         0
        .size:           120
        .value_kind:     by_value
    .group_segment_fixed_size: 0
    .kernarg_segment_align: 8
    .kernarg_segment_size: 120
    .language:       OpenCL C
    .language_version:
      - 2
      - 0
    .max_flat_workgroup_size: 192
    .name:           _ZN7rocprim17ROCPRIM_400000_NS6detail17trampoline_kernelINS0_14default_configENS1_25partition_config_selectorILNS1_17partition_subalgoE3EN6thrust23THRUST_200600_302600_NS5tupleIiiNS7_9null_typeES9_S9_S9_S9_S9_S9_S9_EENS0_10empty_typeEbEEZZNS1_14partition_implILS5_3ELb0ES3_jNS7_6detail15normal_iteratorINS7_7pointerISA_NS7_11hip_rocprim3tagENS7_11use_defaultESJ_EEEEPSB_SM_NS0_5tupleIJPSA_SM_EEENSN_IJSM_SM_EEESB_PlJ10is_orderedEEE10hipError_tPvRmT3_T4_T5_T6_T7_T9_mT8_P12ihipStream_tbDpT10_ENKUlT_T0_E_clISt17integral_constantIbLb0EES1C_EEDaS17_S18_EUlS17_E_NS1_11comp_targetILNS1_3genE3ELNS1_11target_archE908ELNS1_3gpuE7ELNS1_3repE0EEENS1_30default_config_static_selectorELNS0_4arch9wavefront6targetE1EEEvT1_
    .private_segment_fixed_size: 0
    .sgpr_count:     6
    .sgpr_spill_count: 0
    .symbol:         _ZN7rocprim17ROCPRIM_400000_NS6detail17trampoline_kernelINS0_14default_configENS1_25partition_config_selectorILNS1_17partition_subalgoE3EN6thrust23THRUST_200600_302600_NS5tupleIiiNS7_9null_typeES9_S9_S9_S9_S9_S9_S9_EENS0_10empty_typeEbEEZZNS1_14partition_implILS5_3ELb0ES3_jNS7_6detail15normal_iteratorINS7_7pointerISA_NS7_11hip_rocprim3tagENS7_11use_defaultESJ_EEEEPSB_SM_NS0_5tupleIJPSA_SM_EEENSN_IJSM_SM_EEESB_PlJ10is_orderedEEE10hipError_tPvRmT3_T4_T5_T6_T7_T9_mT8_P12ihipStream_tbDpT10_ENKUlT_T0_E_clISt17integral_constantIbLb0EES1C_EEDaS17_S18_EUlS17_E_NS1_11comp_targetILNS1_3genE3ELNS1_11target_archE908ELNS1_3gpuE7ELNS1_3repE0EEENS1_30default_config_static_selectorELNS0_4arch9wavefront6targetE1EEEvT1_.kd
    .uniform_work_group_size: 1
    .uses_dynamic_stack: false
    .vgpr_count:     0
    .vgpr_spill_count: 0
    .wavefront_size: 64
  - .agpr_count:     0
    .args:
      - .offset:         0
        .size:           120
        .value_kind:     by_value
    .group_segment_fixed_size: 0
    .kernarg_segment_align: 8
    .kernarg_segment_size: 120
    .language:       OpenCL C
    .language_version:
      - 2
      - 0
    .max_flat_workgroup_size: 256
    .name:           _ZN7rocprim17ROCPRIM_400000_NS6detail17trampoline_kernelINS0_14default_configENS1_25partition_config_selectorILNS1_17partition_subalgoE3EN6thrust23THRUST_200600_302600_NS5tupleIiiNS7_9null_typeES9_S9_S9_S9_S9_S9_S9_EENS0_10empty_typeEbEEZZNS1_14partition_implILS5_3ELb0ES3_jNS7_6detail15normal_iteratorINS7_7pointerISA_NS7_11hip_rocprim3tagENS7_11use_defaultESJ_EEEEPSB_SM_NS0_5tupleIJPSA_SM_EEENSN_IJSM_SM_EEESB_PlJ10is_orderedEEE10hipError_tPvRmT3_T4_T5_T6_T7_T9_mT8_P12ihipStream_tbDpT10_ENKUlT_T0_E_clISt17integral_constantIbLb0EES1C_EEDaS17_S18_EUlS17_E_NS1_11comp_targetILNS1_3genE2ELNS1_11target_archE906ELNS1_3gpuE6ELNS1_3repE0EEENS1_30default_config_static_selectorELNS0_4arch9wavefront6targetE1EEEvT1_
    .private_segment_fixed_size: 0
    .sgpr_count:     6
    .sgpr_spill_count: 0
    .symbol:         _ZN7rocprim17ROCPRIM_400000_NS6detail17trampoline_kernelINS0_14default_configENS1_25partition_config_selectorILNS1_17partition_subalgoE3EN6thrust23THRUST_200600_302600_NS5tupleIiiNS7_9null_typeES9_S9_S9_S9_S9_S9_S9_EENS0_10empty_typeEbEEZZNS1_14partition_implILS5_3ELb0ES3_jNS7_6detail15normal_iteratorINS7_7pointerISA_NS7_11hip_rocprim3tagENS7_11use_defaultESJ_EEEEPSB_SM_NS0_5tupleIJPSA_SM_EEENSN_IJSM_SM_EEESB_PlJ10is_orderedEEE10hipError_tPvRmT3_T4_T5_T6_T7_T9_mT8_P12ihipStream_tbDpT10_ENKUlT_T0_E_clISt17integral_constantIbLb0EES1C_EEDaS17_S18_EUlS17_E_NS1_11comp_targetILNS1_3genE2ELNS1_11target_archE906ELNS1_3gpuE6ELNS1_3repE0EEENS1_30default_config_static_selectorELNS0_4arch9wavefront6targetE1EEEvT1_.kd
    .uniform_work_group_size: 1
    .uses_dynamic_stack: false
    .vgpr_count:     0
    .vgpr_spill_count: 0
    .wavefront_size: 64
  - .agpr_count:     0
    .args:
      - .offset:         0
        .size:           120
        .value_kind:     by_value
    .group_segment_fixed_size: 0
    .kernarg_segment_align: 8
    .kernarg_segment_size: 120
    .language:       OpenCL C
    .language_version:
      - 2
      - 0
    .max_flat_workgroup_size: 512
    .name:           _ZN7rocprim17ROCPRIM_400000_NS6detail17trampoline_kernelINS0_14default_configENS1_25partition_config_selectorILNS1_17partition_subalgoE3EN6thrust23THRUST_200600_302600_NS5tupleIiiNS7_9null_typeES9_S9_S9_S9_S9_S9_S9_EENS0_10empty_typeEbEEZZNS1_14partition_implILS5_3ELb0ES3_jNS7_6detail15normal_iteratorINS7_7pointerISA_NS7_11hip_rocprim3tagENS7_11use_defaultESJ_EEEEPSB_SM_NS0_5tupleIJPSA_SM_EEENSN_IJSM_SM_EEESB_PlJ10is_orderedEEE10hipError_tPvRmT3_T4_T5_T6_T7_T9_mT8_P12ihipStream_tbDpT10_ENKUlT_T0_E_clISt17integral_constantIbLb0EES1C_EEDaS17_S18_EUlS17_E_NS1_11comp_targetILNS1_3genE10ELNS1_11target_archE1200ELNS1_3gpuE4ELNS1_3repE0EEENS1_30default_config_static_selectorELNS0_4arch9wavefront6targetE1EEEvT1_
    .private_segment_fixed_size: 0
    .sgpr_count:     6
    .sgpr_spill_count: 0
    .symbol:         _ZN7rocprim17ROCPRIM_400000_NS6detail17trampoline_kernelINS0_14default_configENS1_25partition_config_selectorILNS1_17partition_subalgoE3EN6thrust23THRUST_200600_302600_NS5tupleIiiNS7_9null_typeES9_S9_S9_S9_S9_S9_S9_EENS0_10empty_typeEbEEZZNS1_14partition_implILS5_3ELb0ES3_jNS7_6detail15normal_iteratorINS7_7pointerISA_NS7_11hip_rocprim3tagENS7_11use_defaultESJ_EEEEPSB_SM_NS0_5tupleIJPSA_SM_EEENSN_IJSM_SM_EEESB_PlJ10is_orderedEEE10hipError_tPvRmT3_T4_T5_T6_T7_T9_mT8_P12ihipStream_tbDpT10_ENKUlT_T0_E_clISt17integral_constantIbLb0EES1C_EEDaS17_S18_EUlS17_E_NS1_11comp_targetILNS1_3genE10ELNS1_11target_archE1200ELNS1_3gpuE4ELNS1_3repE0EEENS1_30default_config_static_selectorELNS0_4arch9wavefront6targetE1EEEvT1_.kd
    .uniform_work_group_size: 1
    .uses_dynamic_stack: false
    .vgpr_count:     0
    .vgpr_spill_count: 0
    .wavefront_size: 64
  - .agpr_count:     0
    .args:
      - .offset:         0
        .size:           120
        .value_kind:     by_value
    .group_segment_fixed_size: 0
    .kernarg_segment_align: 8
    .kernarg_segment_size: 120
    .language:       OpenCL C
    .language_version:
      - 2
      - 0
    .max_flat_workgroup_size: 512
    .name:           _ZN7rocprim17ROCPRIM_400000_NS6detail17trampoline_kernelINS0_14default_configENS1_25partition_config_selectorILNS1_17partition_subalgoE3EN6thrust23THRUST_200600_302600_NS5tupleIiiNS7_9null_typeES9_S9_S9_S9_S9_S9_S9_EENS0_10empty_typeEbEEZZNS1_14partition_implILS5_3ELb0ES3_jNS7_6detail15normal_iteratorINS7_7pointerISA_NS7_11hip_rocprim3tagENS7_11use_defaultESJ_EEEEPSB_SM_NS0_5tupleIJPSA_SM_EEENSN_IJSM_SM_EEESB_PlJ10is_orderedEEE10hipError_tPvRmT3_T4_T5_T6_T7_T9_mT8_P12ihipStream_tbDpT10_ENKUlT_T0_E_clISt17integral_constantIbLb0EES1C_EEDaS17_S18_EUlS17_E_NS1_11comp_targetILNS1_3genE9ELNS1_11target_archE1100ELNS1_3gpuE3ELNS1_3repE0EEENS1_30default_config_static_selectorELNS0_4arch9wavefront6targetE1EEEvT1_
    .private_segment_fixed_size: 0
    .sgpr_count:     6
    .sgpr_spill_count: 0
    .symbol:         _ZN7rocprim17ROCPRIM_400000_NS6detail17trampoline_kernelINS0_14default_configENS1_25partition_config_selectorILNS1_17partition_subalgoE3EN6thrust23THRUST_200600_302600_NS5tupleIiiNS7_9null_typeES9_S9_S9_S9_S9_S9_S9_EENS0_10empty_typeEbEEZZNS1_14partition_implILS5_3ELb0ES3_jNS7_6detail15normal_iteratorINS7_7pointerISA_NS7_11hip_rocprim3tagENS7_11use_defaultESJ_EEEEPSB_SM_NS0_5tupleIJPSA_SM_EEENSN_IJSM_SM_EEESB_PlJ10is_orderedEEE10hipError_tPvRmT3_T4_T5_T6_T7_T9_mT8_P12ihipStream_tbDpT10_ENKUlT_T0_E_clISt17integral_constantIbLb0EES1C_EEDaS17_S18_EUlS17_E_NS1_11comp_targetILNS1_3genE9ELNS1_11target_archE1100ELNS1_3gpuE3ELNS1_3repE0EEENS1_30default_config_static_selectorELNS0_4arch9wavefront6targetE1EEEvT1_.kd
    .uniform_work_group_size: 1
    .uses_dynamic_stack: false
    .vgpr_count:     0
    .vgpr_spill_count: 0
    .wavefront_size: 64
  - .agpr_count:     0
    .args:
      - .offset:         0
        .size:           120
        .value_kind:     by_value
    .group_segment_fixed_size: 0
    .kernarg_segment_align: 8
    .kernarg_segment_size: 120
    .language:       OpenCL C
    .language_version:
      - 2
      - 0
    .max_flat_workgroup_size: 512
    .name:           _ZN7rocprim17ROCPRIM_400000_NS6detail17trampoline_kernelINS0_14default_configENS1_25partition_config_selectorILNS1_17partition_subalgoE3EN6thrust23THRUST_200600_302600_NS5tupleIiiNS7_9null_typeES9_S9_S9_S9_S9_S9_S9_EENS0_10empty_typeEbEEZZNS1_14partition_implILS5_3ELb0ES3_jNS7_6detail15normal_iteratorINS7_7pointerISA_NS7_11hip_rocprim3tagENS7_11use_defaultESJ_EEEEPSB_SM_NS0_5tupleIJPSA_SM_EEENSN_IJSM_SM_EEESB_PlJ10is_orderedEEE10hipError_tPvRmT3_T4_T5_T6_T7_T9_mT8_P12ihipStream_tbDpT10_ENKUlT_T0_E_clISt17integral_constantIbLb0EES1C_EEDaS17_S18_EUlS17_E_NS1_11comp_targetILNS1_3genE8ELNS1_11target_archE1030ELNS1_3gpuE2ELNS1_3repE0EEENS1_30default_config_static_selectorELNS0_4arch9wavefront6targetE1EEEvT1_
    .private_segment_fixed_size: 0
    .sgpr_count:     6
    .sgpr_spill_count: 0
    .symbol:         _ZN7rocprim17ROCPRIM_400000_NS6detail17trampoline_kernelINS0_14default_configENS1_25partition_config_selectorILNS1_17partition_subalgoE3EN6thrust23THRUST_200600_302600_NS5tupleIiiNS7_9null_typeES9_S9_S9_S9_S9_S9_S9_EENS0_10empty_typeEbEEZZNS1_14partition_implILS5_3ELb0ES3_jNS7_6detail15normal_iteratorINS7_7pointerISA_NS7_11hip_rocprim3tagENS7_11use_defaultESJ_EEEEPSB_SM_NS0_5tupleIJPSA_SM_EEENSN_IJSM_SM_EEESB_PlJ10is_orderedEEE10hipError_tPvRmT3_T4_T5_T6_T7_T9_mT8_P12ihipStream_tbDpT10_ENKUlT_T0_E_clISt17integral_constantIbLb0EES1C_EEDaS17_S18_EUlS17_E_NS1_11comp_targetILNS1_3genE8ELNS1_11target_archE1030ELNS1_3gpuE2ELNS1_3repE0EEENS1_30default_config_static_selectorELNS0_4arch9wavefront6targetE1EEEvT1_.kd
    .uniform_work_group_size: 1
    .uses_dynamic_stack: false
    .vgpr_count:     0
    .vgpr_spill_count: 0
    .wavefront_size: 64
  - .agpr_count:     0
    .args:
      - .offset:         0
        .size:           136
        .value_kind:     by_value
    .group_segment_fixed_size: 0
    .kernarg_segment_align: 8
    .kernarg_segment_size: 136
    .language:       OpenCL C
    .language_version:
      - 2
      - 0
    .max_flat_workgroup_size: 192
    .name:           _ZN7rocprim17ROCPRIM_400000_NS6detail17trampoline_kernelINS0_14default_configENS1_25partition_config_selectorILNS1_17partition_subalgoE3EN6thrust23THRUST_200600_302600_NS5tupleIiiNS7_9null_typeES9_S9_S9_S9_S9_S9_S9_EENS0_10empty_typeEbEEZZNS1_14partition_implILS5_3ELb0ES3_jNS7_6detail15normal_iteratorINS7_7pointerISA_NS7_11hip_rocprim3tagENS7_11use_defaultESJ_EEEEPSB_SM_NS0_5tupleIJPSA_SM_EEENSN_IJSM_SM_EEESB_PlJ10is_orderedEEE10hipError_tPvRmT3_T4_T5_T6_T7_T9_mT8_P12ihipStream_tbDpT10_ENKUlT_T0_E_clISt17integral_constantIbLb1EES1C_EEDaS17_S18_EUlS17_E_NS1_11comp_targetILNS1_3genE0ELNS1_11target_archE4294967295ELNS1_3gpuE0ELNS1_3repE0EEENS1_30default_config_static_selectorELNS0_4arch9wavefront6targetE1EEEvT1_
    .private_segment_fixed_size: 0
    .sgpr_count:     6
    .sgpr_spill_count: 0
    .symbol:         _ZN7rocprim17ROCPRIM_400000_NS6detail17trampoline_kernelINS0_14default_configENS1_25partition_config_selectorILNS1_17partition_subalgoE3EN6thrust23THRUST_200600_302600_NS5tupleIiiNS7_9null_typeES9_S9_S9_S9_S9_S9_S9_EENS0_10empty_typeEbEEZZNS1_14partition_implILS5_3ELb0ES3_jNS7_6detail15normal_iteratorINS7_7pointerISA_NS7_11hip_rocprim3tagENS7_11use_defaultESJ_EEEEPSB_SM_NS0_5tupleIJPSA_SM_EEENSN_IJSM_SM_EEESB_PlJ10is_orderedEEE10hipError_tPvRmT3_T4_T5_T6_T7_T9_mT8_P12ihipStream_tbDpT10_ENKUlT_T0_E_clISt17integral_constantIbLb1EES1C_EEDaS17_S18_EUlS17_E_NS1_11comp_targetILNS1_3genE0ELNS1_11target_archE4294967295ELNS1_3gpuE0ELNS1_3repE0EEENS1_30default_config_static_selectorELNS0_4arch9wavefront6targetE1EEEvT1_.kd
    .uniform_work_group_size: 1
    .uses_dynamic_stack: false
    .vgpr_count:     0
    .vgpr_spill_count: 0
    .wavefront_size: 64
  - .agpr_count:     0
    .args:
      - .offset:         0
        .size:           136
        .value_kind:     by_value
    .group_segment_fixed_size: 28680
    .kernarg_segment_align: 8
    .kernarg_segment_size: 136
    .language:       OpenCL C
    .language_version:
      - 2
      - 0
    .max_flat_workgroup_size: 512
    .name:           _ZN7rocprim17ROCPRIM_400000_NS6detail17trampoline_kernelINS0_14default_configENS1_25partition_config_selectorILNS1_17partition_subalgoE3EN6thrust23THRUST_200600_302600_NS5tupleIiiNS7_9null_typeES9_S9_S9_S9_S9_S9_S9_EENS0_10empty_typeEbEEZZNS1_14partition_implILS5_3ELb0ES3_jNS7_6detail15normal_iteratorINS7_7pointerISA_NS7_11hip_rocprim3tagENS7_11use_defaultESJ_EEEEPSB_SM_NS0_5tupleIJPSA_SM_EEENSN_IJSM_SM_EEESB_PlJ10is_orderedEEE10hipError_tPvRmT3_T4_T5_T6_T7_T9_mT8_P12ihipStream_tbDpT10_ENKUlT_T0_E_clISt17integral_constantIbLb1EES1C_EEDaS17_S18_EUlS17_E_NS1_11comp_targetILNS1_3genE5ELNS1_11target_archE942ELNS1_3gpuE9ELNS1_3repE0EEENS1_30default_config_static_selectorELNS0_4arch9wavefront6targetE1EEEvT1_
    .private_segment_fixed_size: 0
    .sgpr_count:     52
    .sgpr_spill_count: 0
    .symbol:         _ZN7rocprim17ROCPRIM_400000_NS6detail17trampoline_kernelINS0_14default_configENS1_25partition_config_selectorILNS1_17partition_subalgoE3EN6thrust23THRUST_200600_302600_NS5tupleIiiNS7_9null_typeES9_S9_S9_S9_S9_S9_S9_EENS0_10empty_typeEbEEZZNS1_14partition_implILS5_3ELb0ES3_jNS7_6detail15normal_iteratorINS7_7pointerISA_NS7_11hip_rocprim3tagENS7_11use_defaultESJ_EEEEPSB_SM_NS0_5tupleIJPSA_SM_EEENSN_IJSM_SM_EEESB_PlJ10is_orderedEEE10hipError_tPvRmT3_T4_T5_T6_T7_T9_mT8_P12ihipStream_tbDpT10_ENKUlT_T0_E_clISt17integral_constantIbLb1EES1C_EEDaS17_S18_EUlS17_E_NS1_11comp_targetILNS1_3genE5ELNS1_11target_archE942ELNS1_3gpuE9ELNS1_3repE0EEENS1_30default_config_static_selectorELNS0_4arch9wavefront6targetE1EEEvT1_.kd
    .uniform_work_group_size: 1
    .uses_dynamic_stack: false
    .vgpr_count:     60
    .vgpr_spill_count: 0
    .wavefront_size: 64
  - .agpr_count:     0
    .args:
      - .offset:         0
        .size:           136
        .value_kind:     by_value
    .group_segment_fixed_size: 0
    .kernarg_segment_align: 8
    .kernarg_segment_size: 136
    .language:       OpenCL C
    .language_version:
      - 2
      - 0
    .max_flat_workgroup_size: 192
    .name:           _ZN7rocprim17ROCPRIM_400000_NS6detail17trampoline_kernelINS0_14default_configENS1_25partition_config_selectorILNS1_17partition_subalgoE3EN6thrust23THRUST_200600_302600_NS5tupleIiiNS7_9null_typeES9_S9_S9_S9_S9_S9_S9_EENS0_10empty_typeEbEEZZNS1_14partition_implILS5_3ELb0ES3_jNS7_6detail15normal_iteratorINS7_7pointerISA_NS7_11hip_rocprim3tagENS7_11use_defaultESJ_EEEEPSB_SM_NS0_5tupleIJPSA_SM_EEENSN_IJSM_SM_EEESB_PlJ10is_orderedEEE10hipError_tPvRmT3_T4_T5_T6_T7_T9_mT8_P12ihipStream_tbDpT10_ENKUlT_T0_E_clISt17integral_constantIbLb1EES1C_EEDaS17_S18_EUlS17_E_NS1_11comp_targetILNS1_3genE4ELNS1_11target_archE910ELNS1_3gpuE8ELNS1_3repE0EEENS1_30default_config_static_selectorELNS0_4arch9wavefront6targetE1EEEvT1_
    .private_segment_fixed_size: 0
    .sgpr_count:     6
    .sgpr_spill_count: 0
    .symbol:         _ZN7rocprim17ROCPRIM_400000_NS6detail17trampoline_kernelINS0_14default_configENS1_25partition_config_selectorILNS1_17partition_subalgoE3EN6thrust23THRUST_200600_302600_NS5tupleIiiNS7_9null_typeES9_S9_S9_S9_S9_S9_S9_EENS0_10empty_typeEbEEZZNS1_14partition_implILS5_3ELb0ES3_jNS7_6detail15normal_iteratorINS7_7pointerISA_NS7_11hip_rocprim3tagENS7_11use_defaultESJ_EEEEPSB_SM_NS0_5tupleIJPSA_SM_EEENSN_IJSM_SM_EEESB_PlJ10is_orderedEEE10hipError_tPvRmT3_T4_T5_T6_T7_T9_mT8_P12ihipStream_tbDpT10_ENKUlT_T0_E_clISt17integral_constantIbLb1EES1C_EEDaS17_S18_EUlS17_E_NS1_11comp_targetILNS1_3genE4ELNS1_11target_archE910ELNS1_3gpuE8ELNS1_3repE0EEENS1_30default_config_static_selectorELNS0_4arch9wavefront6targetE1EEEvT1_.kd
    .uniform_work_group_size: 1
    .uses_dynamic_stack: false
    .vgpr_count:     0
    .vgpr_spill_count: 0
    .wavefront_size: 64
  - .agpr_count:     0
    .args:
      - .offset:         0
        .size:           136
        .value_kind:     by_value
    .group_segment_fixed_size: 0
    .kernarg_segment_align: 8
    .kernarg_segment_size: 136
    .language:       OpenCL C
    .language_version:
      - 2
      - 0
    .max_flat_workgroup_size: 192
    .name:           _ZN7rocprim17ROCPRIM_400000_NS6detail17trampoline_kernelINS0_14default_configENS1_25partition_config_selectorILNS1_17partition_subalgoE3EN6thrust23THRUST_200600_302600_NS5tupleIiiNS7_9null_typeES9_S9_S9_S9_S9_S9_S9_EENS0_10empty_typeEbEEZZNS1_14partition_implILS5_3ELb0ES3_jNS7_6detail15normal_iteratorINS7_7pointerISA_NS7_11hip_rocprim3tagENS7_11use_defaultESJ_EEEEPSB_SM_NS0_5tupleIJPSA_SM_EEENSN_IJSM_SM_EEESB_PlJ10is_orderedEEE10hipError_tPvRmT3_T4_T5_T6_T7_T9_mT8_P12ihipStream_tbDpT10_ENKUlT_T0_E_clISt17integral_constantIbLb1EES1C_EEDaS17_S18_EUlS17_E_NS1_11comp_targetILNS1_3genE3ELNS1_11target_archE908ELNS1_3gpuE7ELNS1_3repE0EEENS1_30default_config_static_selectorELNS0_4arch9wavefront6targetE1EEEvT1_
    .private_segment_fixed_size: 0
    .sgpr_count:     6
    .sgpr_spill_count: 0
    .symbol:         _ZN7rocprim17ROCPRIM_400000_NS6detail17trampoline_kernelINS0_14default_configENS1_25partition_config_selectorILNS1_17partition_subalgoE3EN6thrust23THRUST_200600_302600_NS5tupleIiiNS7_9null_typeES9_S9_S9_S9_S9_S9_S9_EENS0_10empty_typeEbEEZZNS1_14partition_implILS5_3ELb0ES3_jNS7_6detail15normal_iteratorINS7_7pointerISA_NS7_11hip_rocprim3tagENS7_11use_defaultESJ_EEEEPSB_SM_NS0_5tupleIJPSA_SM_EEENSN_IJSM_SM_EEESB_PlJ10is_orderedEEE10hipError_tPvRmT3_T4_T5_T6_T7_T9_mT8_P12ihipStream_tbDpT10_ENKUlT_T0_E_clISt17integral_constantIbLb1EES1C_EEDaS17_S18_EUlS17_E_NS1_11comp_targetILNS1_3genE3ELNS1_11target_archE908ELNS1_3gpuE7ELNS1_3repE0EEENS1_30default_config_static_selectorELNS0_4arch9wavefront6targetE1EEEvT1_.kd
    .uniform_work_group_size: 1
    .uses_dynamic_stack: false
    .vgpr_count:     0
    .vgpr_spill_count: 0
    .wavefront_size: 64
  - .agpr_count:     0
    .args:
      - .offset:         0
        .size:           136
        .value_kind:     by_value
    .group_segment_fixed_size: 0
    .kernarg_segment_align: 8
    .kernarg_segment_size: 136
    .language:       OpenCL C
    .language_version:
      - 2
      - 0
    .max_flat_workgroup_size: 256
    .name:           _ZN7rocprim17ROCPRIM_400000_NS6detail17trampoline_kernelINS0_14default_configENS1_25partition_config_selectorILNS1_17partition_subalgoE3EN6thrust23THRUST_200600_302600_NS5tupleIiiNS7_9null_typeES9_S9_S9_S9_S9_S9_S9_EENS0_10empty_typeEbEEZZNS1_14partition_implILS5_3ELb0ES3_jNS7_6detail15normal_iteratorINS7_7pointerISA_NS7_11hip_rocprim3tagENS7_11use_defaultESJ_EEEEPSB_SM_NS0_5tupleIJPSA_SM_EEENSN_IJSM_SM_EEESB_PlJ10is_orderedEEE10hipError_tPvRmT3_T4_T5_T6_T7_T9_mT8_P12ihipStream_tbDpT10_ENKUlT_T0_E_clISt17integral_constantIbLb1EES1C_EEDaS17_S18_EUlS17_E_NS1_11comp_targetILNS1_3genE2ELNS1_11target_archE906ELNS1_3gpuE6ELNS1_3repE0EEENS1_30default_config_static_selectorELNS0_4arch9wavefront6targetE1EEEvT1_
    .private_segment_fixed_size: 0
    .sgpr_count:     6
    .sgpr_spill_count: 0
    .symbol:         _ZN7rocprim17ROCPRIM_400000_NS6detail17trampoline_kernelINS0_14default_configENS1_25partition_config_selectorILNS1_17partition_subalgoE3EN6thrust23THRUST_200600_302600_NS5tupleIiiNS7_9null_typeES9_S9_S9_S9_S9_S9_S9_EENS0_10empty_typeEbEEZZNS1_14partition_implILS5_3ELb0ES3_jNS7_6detail15normal_iteratorINS7_7pointerISA_NS7_11hip_rocprim3tagENS7_11use_defaultESJ_EEEEPSB_SM_NS0_5tupleIJPSA_SM_EEENSN_IJSM_SM_EEESB_PlJ10is_orderedEEE10hipError_tPvRmT3_T4_T5_T6_T7_T9_mT8_P12ihipStream_tbDpT10_ENKUlT_T0_E_clISt17integral_constantIbLb1EES1C_EEDaS17_S18_EUlS17_E_NS1_11comp_targetILNS1_3genE2ELNS1_11target_archE906ELNS1_3gpuE6ELNS1_3repE0EEENS1_30default_config_static_selectorELNS0_4arch9wavefront6targetE1EEEvT1_.kd
    .uniform_work_group_size: 1
    .uses_dynamic_stack: false
    .vgpr_count:     0
    .vgpr_spill_count: 0
    .wavefront_size: 64
  - .agpr_count:     0
    .args:
      - .offset:         0
        .size:           136
        .value_kind:     by_value
    .group_segment_fixed_size: 0
    .kernarg_segment_align: 8
    .kernarg_segment_size: 136
    .language:       OpenCL C
    .language_version:
      - 2
      - 0
    .max_flat_workgroup_size: 512
    .name:           _ZN7rocprim17ROCPRIM_400000_NS6detail17trampoline_kernelINS0_14default_configENS1_25partition_config_selectorILNS1_17partition_subalgoE3EN6thrust23THRUST_200600_302600_NS5tupleIiiNS7_9null_typeES9_S9_S9_S9_S9_S9_S9_EENS0_10empty_typeEbEEZZNS1_14partition_implILS5_3ELb0ES3_jNS7_6detail15normal_iteratorINS7_7pointerISA_NS7_11hip_rocprim3tagENS7_11use_defaultESJ_EEEEPSB_SM_NS0_5tupleIJPSA_SM_EEENSN_IJSM_SM_EEESB_PlJ10is_orderedEEE10hipError_tPvRmT3_T4_T5_T6_T7_T9_mT8_P12ihipStream_tbDpT10_ENKUlT_T0_E_clISt17integral_constantIbLb1EES1C_EEDaS17_S18_EUlS17_E_NS1_11comp_targetILNS1_3genE10ELNS1_11target_archE1200ELNS1_3gpuE4ELNS1_3repE0EEENS1_30default_config_static_selectorELNS0_4arch9wavefront6targetE1EEEvT1_
    .private_segment_fixed_size: 0
    .sgpr_count:     6
    .sgpr_spill_count: 0
    .symbol:         _ZN7rocprim17ROCPRIM_400000_NS6detail17trampoline_kernelINS0_14default_configENS1_25partition_config_selectorILNS1_17partition_subalgoE3EN6thrust23THRUST_200600_302600_NS5tupleIiiNS7_9null_typeES9_S9_S9_S9_S9_S9_S9_EENS0_10empty_typeEbEEZZNS1_14partition_implILS5_3ELb0ES3_jNS7_6detail15normal_iteratorINS7_7pointerISA_NS7_11hip_rocprim3tagENS7_11use_defaultESJ_EEEEPSB_SM_NS0_5tupleIJPSA_SM_EEENSN_IJSM_SM_EEESB_PlJ10is_orderedEEE10hipError_tPvRmT3_T4_T5_T6_T7_T9_mT8_P12ihipStream_tbDpT10_ENKUlT_T0_E_clISt17integral_constantIbLb1EES1C_EEDaS17_S18_EUlS17_E_NS1_11comp_targetILNS1_3genE10ELNS1_11target_archE1200ELNS1_3gpuE4ELNS1_3repE0EEENS1_30default_config_static_selectorELNS0_4arch9wavefront6targetE1EEEvT1_.kd
    .uniform_work_group_size: 1
    .uses_dynamic_stack: false
    .vgpr_count:     0
    .vgpr_spill_count: 0
    .wavefront_size: 64
  - .agpr_count:     0
    .args:
      - .offset:         0
        .size:           136
        .value_kind:     by_value
    .group_segment_fixed_size: 0
    .kernarg_segment_align: 8
    .kernarg_segment_size: 136
    .language:       OpenCL C
    .language_version:
      - 2
      - 0
    .max_flat_workgroup_size: 512
    .name:           _ZN7rocprim17ROCPRIM_400000_NS6detail17trampoline_kernelINS0_14default_configENS1_25partition_config_selectorILNS1_17partition_subalgoE3EN6thrust23THRUST_200600_302600_NS5tupleIiiNS7_9null_typeES9_S9_S9_S9_S9_S9_S9_EENS0_10empty_typeEbEEZZNS1_14partition_implILS5_3ELb0ES3_jNS7_6detail15normal_iteratorINS7_7pointerISA_NS7_11hip_rocprim3tagENS7_11use_defaultESJ_EEEEPSB_SM_NS0_5tupleIJPSA_SM_EEENSN_IJSM_SM_EEESB_PlJ10is_orderedEEE10hipError_tPvRmT3_T4_T5_T6_T7_T9_mT8_P12ihipStream_tbDpT10_ENKUlT_T0_E_clISt17integral_constantIbLb1EES1C_EEDaS17_S18_EUlS17_E_NS1_11comp_targetILNS1_3genE9ELNS1_11target_archE1100ELNS1_3gpuE3ELNS1_3repE0EEENS1_30default_config_static_selectorELNS0_4arch9wavefront6targetE1EEEvT1_
    .private_segment_fixed_size: 0
    .sgpr_count:     6
    .sgpr_spill_count: 0
    .symbol:         _ZN7rocprim17ROCPRIM_400000_NS6detail17trampoline_kernelINS0_14default_configENS1_25partition_config_selectorILNS1_17partition_subalgoE3EN6thrust23THRUST_200600_302600_NS5tupleIiiNS7_9null_typeES9_S9_S9_S9_S9_S9_S9_EENS0_10empty_typeEbEEZZNS1_14partition_implILS5_3ELb0ES3_jNS7_6detail15normal_iteratorINS7_7pointerISA_NS7_11hip_rocprim3tagENS7_11use_defaultESJ_EEEEPSB_SM_NS0_5tupleIJPSA_SM_EEENSN_IJSM_SM_EEESB_PlJ10is_orderedEEE10hipError_tPvRmT3_T4_T5_T6_T7_T9_mT8_P12ihipStream_tbDpT10_ENKUlT_T0_E_clISt17integral_constantIbLb1EES1C_EEDaS17_S18_EUlS17_E_NS1_11comp_targetILNS1_3genE9ELNS1_11target_archE1100ELNS1_3gpuE3ELNS1_3repE0EEENS1_30default_config_static_selectorELNS0_4arch9wavefront6targetE1EEEvT1_.kd
    .uniform_work_group_size: 1
    .uses_dynamic_stack: false
    .vgpr_count:     0
    .vgpr_spill_count: 0
    .wavefront_size: 64
  - .agpr_count:     0
    .args:
      - .offset:         0
        .size:           136
        .value_kind:     by_value
    .group_segment_fixed_size: 0
    .kernarg_segment_align: 8
    .kernarg_segment_size: 136
    .language:       OpenCL C
    .language_version:
      - 2
      - 0
    .max_flat_workgroup_size: 512
    .name:           _ZN7rocprim17ROCPRIM_400000_NS6detail17trampoline_kernelINS0_14default_configENS1_25partition_config_selectorILNS1_17partition_subalgoE3EN6thrust23THRUST_200600_302600_NS5tupleIiiNS7_9null_typeES9_S9_S9_S9_S9_S9_S9_EENS0_10empty_typeEbEEZZNS1_14partition_implILS5_3ELb0ES3_jNS7_6detail15normal_iteratorINS7_7pointerISA_NS7_11hip_rocprim3tagENS7_11use_defaultESJ_EEEEPSB_SM_NS0_5tupleIJPSA_SM_EEENSN_IJSM_SM_EEESB_PlJ10is_orderedEEE10hipError_tPvRmT3_T4_T5_T6_T7_T9_mT8_P12ihipStream_tbDpT10_ENKUlT_T0_E_clISt17integral_constantIbLb1EES1C_EEDaS17_S18_EUlS17_E_NS1_11comp_targetILNS1_3genE8ELNS1_11target_archE1030ELNS1_3gpuE2ELNS1_3repE0EEENS1_30default_config_static_selectorELNS0_4arch9wavefront6targetE1EEEvT1_
    .private_segment_fixed_size: 0
    .sgpr_count:     6
    .sgpr_spill_count: 0
    .symbol:         _ZN7rocprim17ROCPRIM_400000_NS6detail17trampoline_kernelINS0_14default_configENS1_25partition_config_selectorILNS1_17partition_subalgoE3EN6thrust23THRUST_200600_302600_NS5tupleIiiNS7_9null_typeES9_S9_S9_S9_S9_S9_S9_EENS0_10empty_typeEbEEZZNS1_14partition_implILS5_3ELb0ES3_jNS7_6detail15normal_iteratorINS7_7pointerISA_NS7_11hip_rocprim3tagENS7_11use_defaultESJ_EEEEPSB_SM_NS0_5tupleIJPSA_SM_EEENSN_IJSM_SM_EEESB_PlJ10is_orderedEEE10hipError_tPvRmT3_T4_T5_T6_T7_T9_mT8_P12ihipStream_tbDpT10_ENKUlT_T0_E_clISt17integral_constantIbLb1EES1C_EEDaS17_S18_EUlS17_E_NS1_11comp_targetILNS1_3genE8ELNS1_11target_archE1030ELNS1_3gpuE2ELNS1_3repE0EEENS1_30default_config_static_selectorELNS0_4arch9wavefront6targetE1EEEvT1_.kd
    .uniform_work_group_size: 1
    .uses_dynamic_stack: false
    .vgpr_count:     0
    .vgpr_spill_count: 0
    .wavefront_size: 64
  - .agpr_count:     0
    .args:
      - .offset:         0
        .size:           120
        .value_kind:     by_value
    .group_segment_fixed_size: 0
    .kernarg_segment_align: 8
    .kernarg_segment_size: 120
    .language:       OpenCL C
    .language_version:
      - 2
      - 0
    .max_flat_workgroup_size: 192
    .name:           _ZN7rocprim17ROCPRIM_400000_NS6detail17trampoline_kernelINS0_14default_configENS1_25partition_config_selectorILNS1_17partition_subalgoE3EN6thrust23THRUST_200600_302600_NS5tupleIiiNS7_9null_typeES9_S9_S9_S9_S9_S9_S9_EENS0_10empty_typeEbEEZZNS1_14partition_implILS5_3ELb0ES3_jNS7_6detail15normal_iteratorINS7_7pointerISA_NS7_11hip_rocprim3tagENS7_11use_defaultESJ_EEEEPSB_SM_NS0_5tupleIJPSA_SM_EEENSN_IJSM_SM_EEESB_PlJ10is_orderedEEE10hipError_tPvRmT3_T4_T5_T6_T7_T9_mT8_P12ihipStream_tbDpT10_ENKUlT_T0_E_clISt17integral_constantIbLb1EES1B_IbLb0EEEEDaS17_S18_EUlS17_E_NS1_11comp_targetILNS1_3genE0ELNS1_11target_archE4294967295ELNS1_3gpuE0ELNS1_3repE0EEENS1_30default_config_static_selectorELNS0_4arch9wavefront6targetE1EEEvT1_
    .private_segment_fixed_size: 0
    .sgpr_count:     6
    .sgpr_spill_count: 0
    .symbol:         _ZN7rocprim17ROCPRIM_400000_NS6detail17trampoline_kernelINS0_14default_configENS1_25partition_config_selectorILNS1_17partition_subalgoE3EN6thrust23THRUST_200600_302600_NS5tupleIiiNS7_9null_typeES9_S9_S9_S9_S9_S9_S9_EENS0_10empty_typeEbEEZZNS1_14partition_implILS5_3ELb0ES3_jNS7_6detail15normal_iteratorINS7_7pointerISA_NS7_11hip_rocprim3tagENS7_11use_defaultESJ_EEEEPSB_SM_NS0_5tupleIJPSA_SM_EEENSN_IJSM_SM_EEESB_PlJ10is_orderedEEE10hipError_tPvRmT3_T4_T5_T6_T7_T9_mT8_P12ihipStream_tbDpT10_ENKUlT_T0_E_clISt17integral_constantIbLb1EES1B_IbLb0EEEEDaS17_S18_EUlS17_E_NS1_11comp_targetILNS1_3genE0ELNS1_11target_archE4294967295ELNS1_3gpuE0ELNS1_3repE0EEENS1_30default_config_static_selectorELNS0_4arch9wavefront6targetE1EEEvT1_.kd
    .uniform_work_group_size: 1
    .uses_dynamic_stack: false
    .vgpr_count:     0
    .vgpr_spill_count: 0
    .wavefront_size: 64
  - .agpr_count:     0
    .args:
      - .offset:         0
        .size:           120
        .value_kind:     by_value
    .group_segment_fixed_size: 28680
    .kernarg_segment_align: 8
    .kernarg_segment_size: 120
    .language:       OpenCL C
    .language_version:
      - 2
      - 0
    .max_flat_workgroup_size: 512
    .name:           _ZN7rocprim17ROCPRIM_400000_NS6detail17trampoline_kernelINS0_14default_configENS1_25partition_config_selectorILNS1_17partition_subalgoE3EN6thrust23THRUST_200600_302600_NS5tupleIiiNS7_9null_typeES9_S9_S9_S9_S9_S9_S9_EENS0_10empty_typeEbEEZZNS1_14partition_implILS5_3ELb0ES3_jNS7_6detail15normal_iteratorINS7_7pointerISA_NS7_11hip_rocprim3tagENS7_11use_defaultESJ_EEEEPSB_SM_NS0_5tupleIJPSA_SM_EEENSN_IJSM_SM_EEESB_PlJ10is_orderedEEE10hipError_tPvRmT3_T4_T5_T6_T7_T9_mT8_P12ihipStream_tbDpT10_ENKUlT_T0_E_clISt17integral_constantIbLb1EES1B_IbLb0EEEEDaS17_S18_EUlS17_E_NS1_11comp_targetILNS1_3genE5ELNS1_11target_archE942ELNS1_3gpuE9ELNS1_3repE0EEENS1_30default_config_static_selectorELNS0_4arch9wavefront6targetE1EEEvT1_
    .private_segment_fixed_size: 0
    .sgpr_count:     54
    .sgpr_spill_count: 0
    .symbol:         _ZN7rocprim17ROCPRIM_400000_NS6detail17trampoline_kernelINS0_14default_configENS1_25partition_config_selectorILNS1_17partition_subalgoE3EN6thrust23THRUST_200600_302600_NS5tupleIiiNS7_9null_typeES9_S9_S9_S9_S9_S9_S9_EENS0_10empty_typeEbEEZZNS1_14partition_implILS5_3ELb0ES3_jNS7_6detail15normal_iteratorINS7_7pointerISA_NS7_11hip_rocprim3tagENS7_11use_defaultESJ_EEEEPSB_SM_NS0_5tupleIJPSA_SM_EEENSN_IJSM_SM_EEESB_PlJ10is_orderedEEE10hipError_tPvRmT3_T4_T5_T6_T7_T9_mT8_P12ihipStream_tbDpT10_ENKUlT_T0_E_clISt17integral_constantIbLb1EES1B_IbLb0EEEEDaS17_S18_EUlS17_E_NS1_11comp_targetILNS1_3genE5ELNS1_11target_archE942ELNS1_3gpuE9ELNS1_3repE0EEENS1_30default_config_static_selectorELNS0_4arch9wavefront6targetE1EEEvT1_.kd
    .uniform_work_group_size: 1
    .uses_dynamic_stack: false
    .vgpr_count:     56
    .vgpr_spill_count: 0
    .wavefront_size: 64
  - .agpr_count:     0
    .args:
      - .offset:         0
        .size:           120
        .value_kind:     by_value
    .group_segment_fixed_size: 0
    .kernarg_segment_align: 8
    .kernarg_segment_size: 120
    .language:       OpenCL C
    .language_version:
      - 2
      - 0
    .max_flat_workgroup_size: 192
    .name:           _ZN7rocprim17ROCPRIM_400000_NS6detail17trampoline_kernelINS0_14default_configENS1_25partition_config_selectorILNS1_17partition_subalgoE3EN6thrust23THRUST_200600_302600_NS5tupleIiiNS7_9null_typeES9_S9_S9_S9_S9_S9_S9_EENS0_10empty_typeEbEEZZNS1_14partition_implILS5_3ELb0ES3_jNS7_6detail15normal_iteratorINS7_7pointerISA_NS7_11hip_rocprim3tagENS7_11use_defaultESJ_EEEEPSB_SM_NS0_5tupleIJPSA_SM_EEENSN_IJSM_SM_EEESB_PlJ10is_orderedEEE10hipError_tPvRmT3_T4_T5_T6_T7_T9_mT8_P12ihipStream_tbDpT10_ENKUlT_T0_E_clISt17integral_constantIbLb1EES1B_IbLb0EEEEDaS17_S18_EUlS17_E_NS1_11comp_targetILNS1_3genE4ELNS1_11target_archE910ELNS1_3gpuE8ELNS1_3repE0EEENS1_30default_config_static_selectorELNS0_4arch9wavefront6targetE1EEEvT1_
    .private_segment_fixed_size: 0
    .sgpr_count:     6
    .sgpr_spill_count: 0
    .symbol:         _ZN7rocprim17ROCPRIM_400000_NS6detail17trampoline_kernelINS0_14default_configENS1_25partition_config_selectorILNS1_17partition_subalgoE3EN6thrust23THRUST_200600_302600_NS5tupleIiiNS7_9null_typeES9_S9_S9_S9_S9_S9_S9_EENS0_10empty_typeEbEEZZNS1_14partition_implILS5_3ELb0ES3_jNS7_6detail15normal_iteratorINS7_7pointerISA_NS7_11hip_rocprim3tagENS7_11use_defaultESJ_EEEEPSB_SM_NS0_5tupleIJPSA_SM_EEENSN_IJSM_SM_EEESB_PlJ10is_orderedEEE10hipError_tPvRmT3_T4_T5_T6_T7_T9_mT8_P12ihipStream_tbDpT10_ENKUlT_T0_E_clISt17integral_constantIbLb1EES1B_IbLb0EEEEDaS17_S18_EUlS17_E_NS1_11comp_targetILNS1_3genE4ELNS1_11target_archE910ELNS1_3gpuE8ELNS1_3repE0EEENS1_30default_config_static_selectorELNS0_4arch9wavefront6targetE1EEEvT1_.kd
    .uniform_work_group_size: 1
    .uses_dynamic_stack: false
    .vgpr_count:     0
    .vgpr_spill_count: 0
    .wavefront_size: 64
  - .agpr_count:     0
    .args:
      - .offset:         0
        .size:           120
        .value_kind:     by_value
    .group_segment_fixed_size: 0
    .kernarg_segment_align: 8
    .kernarg_segment_size: 120
    .language:       OpenCL C
    .language_version:
      - 2
      - 0
    .max_flat_workgroup_size: 192
    .name:           _ZN7rocprim17ROCPRIM_400000_NS6detail17trampoline_kernelINS0_14default_configENS1_25partition_config_selectorILNS1_17partition_subalgoE3EN6thrust23THRUST_200600_302600_NS5tupleIiiNS7_9null_typeES9_S9_S9_S9_S9_S9_S9_EENS0_10empty_typeEbEEZZNS1_14partition_implILS5_3ELb0ES3_jNS7_6detail15normal_iteratorINS7_7pointerISA_NS7_11hip_rocprim3tagENS7_11use_defaultESJ_EEEEPSB_SM_NS0_5tupleIJPSA_SM_EEENSN_IJSM_SM_EEESB_PlJ10is_orderedEEE10hipError_tPvRmT3_T4_T5_T6_T7_T9_mT8_P12ihipStream_tbDpT10_ENKUlT_T0_E_clISt17integral_constantIbLb1EES1B_IbLb0EEEEDaS17_S18_EUlS17_E_NS1_11comp_targetILNS1_3genE3ELNS1_11target_archE908ELNS1_3gpuE7ELNS1_3repE0EEENS1_30default_config_static_selectorELNS0_4arch9wavefront6targetE1EEEvT1_
    .private_segment_fixed_size: 0
    .sgpr_count:     6
    .sgpr_spill_count: 0
    .symbol:         _ZN7rocprim17ROCPRIM_400000_NS6detail17trampoline_kernelINS0_14default_configENS1_25partition_config_selectorILNS1_17partition_subalgoE3EN6thrust23THRUST_200600_302600_NS5tupleIiiNS7_9null_typeES9_S9_S9_S9_S9_S9_S9_EENS0_10empty_typeEbEEZZNS1_14partition_implILS5_3ELb0ES3_jNS7_6detail15normal_iteratorINS7_7pointerISA_NS7_11hip_rocprim3tagENS7_11use_defaultESJ_EEEEPSB_SM_NS0_5tupleIJPSA_SM_EEENSN_IJSM_SM_EEESB_PlJ10is_orderedEEE10hipError_tPvRmT3_T4_T5_T6_T7_T9_mT8_P12ihipStream_tbDpT10_ENKUlT_T0_E_clISt17integral_constantIbLb1EES1B_IbLb0EEEEDaS17_S18_EUlS17_E_NS1_11comp_targetILNS1_3genE3ELNS1_11target_archE908ELNS1_3gpuE7ELNS1_3repE0EEENS1_30default_config_static_selectorELNS0_4arch9wavefront6targetE1EEEvT1_.kd
    .uniform_work_group_size: 1
    .uses_dynamic_stack: false
    .vgpr_count:     0
    .vgpr_spill_count: 0
    .wavefront_size: 64
  - .agpr_count:     0
    .args:
      - .offset:         0
        .size:           120
        .value_kind:     by_value
    .group_segment_fixed_size: 0
    .kernarg_segment_align: 8
    .kernarg_segment_size: 120
    .language:       OpenCL C
    .language_version:
      - 2
      - 0
    .max_flat_workgroup_size: 256
    .name:           _ZN7rocprim17ROCPRIM_400000_NS6detail17trampoline_kernelINS0_14default_configENS1_25partition_config_selectorILNS1_17partition_subalgoE3EN6thrust23THRUST_200600_302600_NS5tupleIiiNS7_9null_typeES9_S9_S9_S9_S9_S9_S9_EENS0_10empty_typeEbEEZZNS1_14partition_implILS5_3ELb0ES3_jNS7_6detail15normal_iteratorINS7_7pointerISA_NS7_11hip_rocprim3tagENS7_11use_defaultESJ_EEEEPSB_SM_NS0_5tupleIJPSA_SM_EEENSN_IJSM_SM_EEESB_PlJ10is_orderedEEE10hipError_tPvRmT3_T4_T5_T6_T7_T9_mT8_P12ihipStream_tbDpT10_ENKUlT_T0_E_clISt17integral_constantIbLb1EES1B_IbLb0EEEEDaS17_S18_EUlS17_E_NS1_11comp_targetILNS1_3genE2ELNS1_11target_archE906ELNS1_3gpuE6ELNS1_3repE0EEENS1_30default_config_static_selectorELNS0_4arch9wavefront6targetE1EEEvT1_
    .private_segment_fixed_size: 0
    .sgpr_count:     6
    .sgpr_spill_count: 0
    .symbol:         _ZN7rocprim17ROCPRIM_400000_NS6detail17trampoline_kernelINS0_14default_configENS1_25partition_config_selectorILNS1_17partition_subalgoE3EN6thrust23THRUST_200600_302600_NS5tupleIiiNS7_9null_typeES9_S9_S9_S9_S9_S9_S9_EENS0_10empty_typeEbEEZZNS1_14partition_implILS5_3ELb0ES3_jNS7_6detail15normal_iteratorINS7_7pointerISA_NS7_11hip_rocprim3tagENS7_11use_defaultESJ_EEEEPSB_SM_NS0_5tupleIJPSA_SM_EEENSN_IJSM_SM_EEESB_PlJ10is_orderedEEE10hipError_tPvRmT3_T4_T5_T6_T7_T9_mT8_P12ihipStream_tbDpT10_ENKUlT_T0_E_clISt17integral_constantIbLb1EES1B_IbLb0EEEEDaS17_S18_EUlS17_E_NS1_11comp_targetILNS1_3genE2ELNS1_11target_archE906ELNS1_3gpuE6ELNS1_3repE0EEENS1_30default_config_static_selectorELNS0_4arch9wavefront6targetE1EEEvT1_.kd
    .uniform_work_group_size: 1
    .uses_dynamic_stack: false
    .vgpr_count:     0
    .vgpr_spill_count: 0
    .wavefront_size: 64
  - .agpr_count:     0
    .args:
      - .offset:         0
        .size:           120
        .value_kind:     by_value
    .group_segment_fixed_size: 0
    .kernarg_segment_align: 8
    .kernarg_segment_size: 120
    .language:       OpenCL C
    .language_version:
      - 2
      - 0
    .max_flat_workgroup_size: 512
    .name:           _ZN7rocprim17ROCPRIM_400000_NS6detail17trampoline_kernelINS0_14default_configENS1_25partition_config_selectorILNS1_17partition_subalgoE3EN6thrust23THRUST_200600_302600_NS5tupleIiiNS7_9null_typeES9_S9_S9_S9_S9_S9_S9_EENS0_10empty_typeEbEEZZNS1_14partition_implILS5_3ELb0ES3_jNS7_6detail15normal_iteratorINS7_7pointerISA_NS7_11hip_rocprim3tagENS7_11use_defaultESJ_EEEEPSB_SM_NS0_5tupleIJPSA_SM_EEENSN_IJSM_SM_EEESB_PlJ10is_orderedEEE10hipError_tPvRmT3_T4_T5_T6_T7_T9_mT8_P12ihipStream_tbDpT10_ENKUlT_T0_E_clISt17integral_constantIbLb1EES1B_IbLb0EEEEDaS17_S18_EUlS17_E_NS1_11comp_targetILNS1_3genE10ELNS1_11target_archE1200ELNS1_3gpuE4ELNS1_3repE0EEENS1_30default_config_static_selectorELNS0_4arch9wavefront6targetE1EEEvT1_
    .private_segment_fixed_size: 0
    .sgpr_count:     6
    .sgpr_spill_count: 0
    .symbol:         _ZN7rocprim17ROCPRIM_400000_NS6detail17trampoline_kernelINS0_14default_configENS1_25partition_config_selectorILNS1_17partition_subalgoE3EN6thrust23THRUST_200600_302600_NS5tupleIiiNS7_9null_typeES9_S9_S9_S9_S9_S9_S9_EENS0_10empty_typeEbEEZZNS1_14partition_implILS5_3ELb0ES3_jNS7_6detail15normal_iteratorINS7_7pointerISA_NS7_11hip_rocprim3tagENS7_11use_defaultESJ_EEEEPSB_SM_NS0_5tupleIJPSA_SM_EEENSN_IJSM_SM_EEESB_PlJ10is_orderedEEE10hipError_tPvRmT3_T4_T5_T6_T7_T9_mT8_P12ihipStream_tbDpT10_ENKUlT_T0_E_clISt17integral_constantIbLb1EES1B_IbLb0EEEEDaS17_S18_EUlS17_E_NS1_11comp_targetILNS1_3genE10ELNS1_11target_archE1200ELNS1_3gpuE4ELNS1_3repE0EEENS1_30default_config_static_selectorELNS0_4arch9wavefront6targetE1EEEvT1_.kd
    .uniform_work_group_size: 1
    .uses_dynamic_stack: false
    .vgpr_count:     0
    .vgpr_spill_count: 0
    .wavefront_size: 64
  - .agpr_count:     0
    .args:
      - .offset:         0
        .size:           120
        .value_kind:     by_value
    .group_segment_fixed_size: 0
    .kernarg_segment_align: 8
    .kernarg_segment_size: 120
    .language:       OpenCL C
    .language_version:
      - 2
      - 0
    .max_flat_workgroup_size: 512
    .name:           _ZN7rocprim17ROCPRIM_400000_NS6detail17trampoline_kernelINS0_14default_configENS1_25partition_config_selectorILNS1_17partition_subalgoE3EN6thrust23THRUST_200600_302600_NS5tupleIiiNS7_9null_typeES9_S9_S9_S9_S9_S9_S9_EENS0_10empty_typeEbEEZZNS1_14partition_implILS5_3ELb0ES3_jNS7_6detail15normal_iteratorINS7_7pointerISA_NS7_11hip_rocprim3tagENS7_11use_defaultESJ_EEEEPSB_SM_NS0_5tupleIJPSA_SM_EEENSN_IJSM_SM_EEESB_PlJ10is_orderedEEE10hipError_tPvRmT3_T4_T5_T6_T7_T9_mT8_P12ihipStream_tbDpT10_ENKUlT_T0_E_clISt17integral_constantIbLb1EES1B_IbLb0EEEEDaS17_S18_EUlS17_E_NS1_11comp_targetILNS1_3genE9ELNS1_11target_archE1100ELNS1_3gpuE3ELNS1_3repE0EEENS1_30default_config_static_selectorELNS0_4arch9wavefront6targetE1EEEvT1_
    .private_segment_fixed_size: 0
    .sgpr_count:     6
    .sgpr_spill_count: 0
    .symbol:         _ZN7rocprim17ROCPRIM_400000_NS6detail17trampoline_kernelINS0_14default_configENS1_25partition_config_selectorILNS1_17partition_subalgoE3EN6thrust23THRUST_200600_302600_NS5tupleIiiNS7_9null_typeES9_S9_S9_S9_S9_S9_S9_EENS0_10empty_typeEbEEZZNS1_14partition_implILS5_3ELb0ES3_jNS7_6detail15normal_iteratorINS7_7pointerISA_NS7_11hip_rocprim3tagENS7_11use_defaultESJ_EEEEPSB_SM_NS0_5tupleIJPSA_SM_EEENSN_IJSM_SM_EEESB_PlJ10is_orderedEEE10hipError_tPvRmT3_T4_T5_T6_T7_T9_mT8_P12ihipStream_tbDpT10_ENKUlT_T0_E_clISt17integral_constantIbLb1EES1B_IbLb0EEEEDaS17_S18_EUlS17_E_NS1_11comp_targetILNS1_3genE9ELNS1_11target_archE1100ELNS1_3gpuE3ELNS1_3repE0EEENS1_30default_config_static_selectorELNS0_4arch9wavefront6targetE1EEEvT1_.kd
    .uniform_work_group_size: 1
    .uses_dynamic_stack: false
    .vgpr_count:     0
    .vgpr_spill_count: 0
    .wavefront_size: 64
  - .agpr_count:     0
    .args:
      - .offset:         0
        .size:           120
        .value_kind:     by_value
    .group_segment_fixed_size: 0
    .kernarg_segment_align: 8
    .kernarg_segment_size: 120
    .language:       OpenCL C
    .language_version:
      - 2
      - 0
    .max_flat_workgroup_size: 512
    .name:           _ZN7rocprim17ROCPRIM_400000_NS6detail17trampoline_kernelINS0_14default_configENS1_25partition_config_selectorILNS1_17partition_subalgoE3EN6thrust23THRUST_200600_302600_NS5tupleIiiNS7_9null_typeES9_S9_S9_S9_S9_S9_S9_EENS0_10empty_typeEbEEZZNS1_14partition_implILS5_3ELb0ES3_jNS7_6detail15normal_iteratorINS7_7pointerISA_NS7_11hip_rocprim3tagENS7_11use_defaultESJ_EEEEPSB_SM_NS0_5tupleIJPSA_SM_EEENSN_IJSM_SM_EEESB_PlJ10is_orderedEEE10hipError_tPvRmT3_T4_T5_T6_T7_T9_mT8_P12ihipStream_tbDpT10_ENKUlT_T0_E_clISt17integral_constantIbLb1EES1B_IbLb0EEEEDaS17_S18_EUlS17_E_NS1_11comp_targetILNS1_3genE8ELNS1_11target_archE1030ELNS1_3gpuE2ELNS1_3repE0EEENS1_30default_config_static_selectorELNS0_4arch9wavefront6targetE1EEEvT1_
    .private_segment_fixed_size: 0
    .sgpr_count:     6
    .sgpr_spill_count: 0
    .symbol:         _ZN7rocprim17ROCPRIM_400000_NS6detail17trampoline_kernelINS0_14default_configENS1_25partition_config_selectorILNS1_17partition_subalgoE3EN6thrust23THRUST_200600_302600_NS5tupleIiiNS7_9null_typeES9_S9_S9_S9_S9_S9_S9_EENS0_10empty_typeEbEEZZNS1_14partition_implILS5_3ELb0ES3_jNS7_6detail15normal_iteratorINS7_7pointerISA_NS7_11hip_rocprim3tagENS7_11use_defaultESJ_EEEEPSB_SM_NS0_5tupleIJPSA_SM_EEENSN_IJSM_SM_EEESB_PlJ10is_orderedEEE10hipError_tPvRmT3_T4_T5_T6_T7_T9_mT8_P12ihipStream_tbDpT10_ENKUlT_T0_E_clISt17integral_constantIbLb1EES1B_IbLb0EEEEDaS17_S18_EUlS17_E_NS1_11comp_targetILNS1_3genE8ELNS1_11target_archE1030ELNS1_3gpuE2ELNS1_3repE0EEENS1_30default_config_static_selectorELNS0_4arch9wavefront6targetE1EEEvT1_.kd
    .uniform_work_group_size: 1
    .uses_dynamic_stack: false
    .vgpr_count:     0
    .vgpr_spill_count: 0
    .wavefront_size: 64
  - .agpr_count:     0
    .args:
      - .offset:         0
        .size:           136
        .value_kind:     by_value
    .group_segment_fixed_size: 0
    .kernarg_segment_align: 8
    .kernarg_segment_size: 136
    .language:       OpenCL C
    .language_version:
      - 2
      - 0
    .max_flat_workgroup_size: 192
    .name:           _ZN7rocprim17ROCPRIM_400000_NS6detail17trampoline_kernelINS0_14default_configENS1_25partition_config_selectorILNS1_17partition_subalgoE3EN6thrust23THRUST_200600_302600_NS5tupleIiiNS7_9null_typeES9_S9_S9_S9_S9_S9_S9_EENS0_10empty_typeEbEEZZNS1_14partition_implILS5_3ELb0ES3_jNS7_6detail15normal_iteratorINS7_7pointerISA_NS7_11hip_rocprim3tagENS7_11use_defaultESJ_EEEEPSB_SM_NS0_5tupleIJPSA_SM_EEENSN_IJSM_SM_EEESB_PlJ10is_orderedEEE10hipError_tPvRmT3_T4_T5_T6_T7_T9_mT8_P12ihipStream_tbDpT10_ENKUlT_T0_E_clISt17integral_constantIbLb0EES1B_IbLb1EEEEDaS17_S18_EUlS17_E_NS1_11comp_targetILNS1_3genE0ELNS1_11target_archE4294967295ELNS1_3gpuE0ELNS1_3repE0EEENS1_30default_config_static_selectorELNS0_4arch9wavefront6targetE1EEEvT1_
    .private_segment_fixed_size: 0
    .sgpr_count:     6
    .sgpr_spill_count: 0
    .symbol:         _ZN7rocprim17ROCPRIM_400000_NS6detail17trampoline_kernelINS0_14default_configENS1_25partition_config_selectorILNS1_17partition_subalgoE3EN6thrust23THRUST_200600_302600_NS5tupleIiiNS7_9null_typeES9_S9_S9_S9_S9_S9_S9_EENS0_10empty_typeEbEEZZNS1_14partition_implILS5_3ELb0ES3_jNS7_6detail15normal_iteratorINS7_7pointerISA_NS7_11hip_rocprim3tagENS7_11use_defaultESJ_EEEEPSB_SM_NS0_5tupleIJPSA_SM_EEENSN_IJSM_SM_EEESB_PlJ10is_orderedEEE10hipError_tPvRmT3_T4_T5_T6_T7_T9_mT8_P12ihipStream_tbDpT10_ENKUlT_T0_E_clISt17integral_constantIbLb0EES1B_IbLb1EEEEDaS17_S18_EUlS17_E_NS1_11comp_targetILNS1_3genE0ELNS1_11target_archE4294967295ELNS1_3gpuE0ELNS1_3repE0EEENS1_30default_config_static_selectorELNS0_4arch9wavefront6targetE1EEEvT1_.kd
    .uniform_work_group_size: 1
    .uses_dynamic_stack: false
    .vgpr_count:     0
    .vgpr_spill_count: 0
    .wavefront_size: 64
  - .agpr_count:     0
    .args:
      - .offset:         0
        .size:           136
        .value_kind:     by_value
    .group_segment_fixed_size: 28680
    .kernarg_segment_align: 8
    .kernarg_segment_size: 136
    .language:       OpenCL C
    .language_version:
      - 2
      - 0
    .max_flat_workgroup_size: 512
    .name:           _ZN7rocprim17ROCPRIM_400000_NS6detail17trampoline_kernelINS0_14default_configENS1_25partition_config_selectorILNS1_17partition_subalgoE3EN6thrust23THRUST_200600_302600_NS5tupleIiiNS7_9null_typeES9_S9_S9_S9_S9_S9_S9_EENS0_10empty_typeEbEEZZNS1_14partition_implILS5_3ELb0ES3_jNS7_6detail15normal_iteratorINS7_7pointerISA_NS7_11hip_rocprim3tagENS7_11use_defaultESJ_EEEEPSB_SM_NS0_5tupleIJPSA_SM_EEENSN_IJSM_SM_EEESB_PlJ10is_orderedEEE10hipError_tPvRmT3_T4_T5_T6_T7_T9_mT8_P12ihipStream_tbDpT10_ENKUlT_T0_E_clISt17integral_constantIbLb0EES1B_IbLb1EEEEDaS17_S18_EUlS17_E_NS1_11comp_targetILNS1_3genE5ELNS1_11target_archE942ELNS1_3gpuE9ELNS1_3repE0EEENS1_30default_config_static_selectorELNS0_4arch9wavefront6targetE1EEEvT1_
    .private_segment_fixed_size: 0
    .sgpr_count:     52
    .sgpr_spill_count: 0
    .symbol:         _ZN7rocprim17ROCPRIM_400000_NS6detail17trampoline_kernelINS0_14default_configENS1_25partition_config_selectorILNS1_17partition_subalgoE3EN6thrust23THRUST_200600_302600_NS5tupleIiiNS7_9null_typeES9_S9_S9_S9_S9_S9_S9_EENS0_10empty_typeEbEEZZNS1_14partition_implILS5_3ELb0ES3_jNS7_6detail15normal_iteratorINS7_7pointerISA_NS7_11hip_rocprim3tagENS7_11use_defaultESJ_EEEEPSB_SM_NS0_5tupleIJPSA_SM_EEENSN_IJSM_SM_EEESB_PlJ10is_orderedEEE10hipError_tPvRmT3_T4_T5_T6_T7_T9_mT8_P12ihipStream_tbDpT10_ENKUlT_T0_E_clISt17integral_constantIbLb0EES1B_IbLb1EEEEDaS17_S18_EUlS17_E_NS1_11comp_targetILNS1_3genE5ELNS1_11target_archE942ELNS1_3gpuE9ELNS1_3repE0EEENS1_30default_config_static_selectorELNS0_4arch9wavefront6targetE1EEEvT1_.kd
    .uniform_work_group_size: 1
    .uses_dynamic_stack: false
    .vgpr_count:     60
    .vgpr_spill_count: 0
    .wavefront_size: 64
  - .agpr_count:     0
    .args:
      - .offset:         0
        .size:           136
        .value_kind:     by_value
    .group_segment_fixed_size: 0
    .kernarg_segment_align: 8
    .kernarg_segment_size: 136
    .language:       OpenCL C
    .language_version:
      - 2
      - 0
    .max_flat_workgroup_size: 192
    .name:           _ZN7rocprim17ROCPRIM_400000_NS6detail17trampoline_kernelINS0_14default_configENS1_25partition_config_selectorILNS1_17partition_subalgoE3EN6thrust23THRUST_200600_302600_NS5tupleIiiNS7_9null_typeES9_S9_S9_S9_S9_S9_S9_EENS0_10empty_typeEbEEZZNS1_14partition_implILS5_3ELb0ES3_jNS7_6detail15normal_iteratorINS7_7pointerISA_NS7_11hip_rocprim3tagENS7_11use_defaultESJ_EEEEPSB_SM_NS0_5tupleIJPSA_SM_EEENSN_IJSM_SM_EEESB_PlJ10is_orderedEEE10hipError_tPvRmT3_T4_T5_T6_T7_T9_mT8_P12ihipStream_tbDpT10_ENKUlT_T0_E_clISt17integral_constantIbLb0EES1B_IbLb1EEEEDaS17_S18_EUlS17_E_NS1_11comp_targetILNS1_3genE4ELNS1_11target_archE910ELNS1_3gpuE8ELNS1_3repE0EEENS1_30default_config_static_selectorELNS0_4arch9wavefront6targetE1EEEvT1_
    .private_segment_fixed_size: 0
    .sgpr_count:     6
    .sgpr_spill_count: 0
    .symbol:         _ZN7rocprim17ROCPRIM_400000_NS6detail17trampoline_kernelINS0_14default_configENS1_25partition_config_selectorILNS1_17partition_subalgoE3EN6thrust23THRUST_200600_302600_NS5tupleIiiNS7_9null_typeES9_S9_S9_S9_S9_S9_S9_EENS0_10empty_typeEbEEZZNS1_14partition_implILS5_3ELb0ES3_jNS7_6detail15normal_iteratorINS7_7pointerISA_NS7_11hip_rocprim3tagENS7_11use_defaultESJ_EEEEPSB_SM_NS0_5tupleIJPSA_SM_EEENSN_IJSM_SM_EEESB_PlJ10is_orderedEEE10hipError_tPvRmT3_T4_T5_T6_T7_T9_mT8_P12ihipStream_tbDpT10_ENKUlT_T0_E_clISt17integral_constantIbLb0EES1B_IbLb1EEEEDaS17_S18_EUlS17_E_NS1_11comp_targetILNS1_3genE4ELNS1_11target_archE910ELNS1_3gpuE8ELNS1_3repE0EEENS1_30default_config_static_selectorELNS0_4arch9wavefront6targetE1EEEvT1_.kd
    .uniform_work_group_size: 1
    .uses_dynamic_stack: false
    .vgpr_count:     0
    .vgpr_spill_count: 0
    .wavefront_size: 64
  - .agpr_count:     0
    .args:
      - .offset:         0
        .size:           136
        .value_kind:     by_value
    .group_segment_fixed_size: 0
    .kernarg_segment_align: 8
    .kernarg_segment_size: 136
    .language:       OpenCL C
    .language_version:
      - 2
      - 0
    .max_flat_workgroup_size: 192
    .name:           _ZN7rocprim17ROCPRIM_400000_NS6detail17trampoline_kernelINS0_14default_configENS1_25partition_config_selectorILNS1_17partition_subalgoE3EN6thrust23THRUST_200600_302600_NS5tupleIiiNS7_9null_typeES9_S9_S9_S9_S9_S9_S9_EENS0_10empty_typeEbEEZZNS1_14partition_implILS5_3ELb0ES3_jNS7_6detail15normal_iteratorINS7_7pointerISA_NS7_11hip_rocprim3tagENS7_11use_defaultESJ_EEEEPSB_SM_NS0_5tupleIJPSA_SM_EEENSN_IJSM_SM_EEESB_PlJ10is_orderedEEE10hipError_tPvRmT3_T4_T5_T6_T7_T9_mT8_P12ihipStream_tbDpT10_ENKUlT_T0_E_clISt17integral_constantIbLb0EES1B_IbLb1EEEEDaS17_S18_EUlS17_E_NS1_11comp_targetILNS1_3genE3ELNS1_11target_archE908ELNS1_3gpuE7ELNS1_3repE0EEENS1_30default_config_static_selectorELNS0_4arch9wavefront6targetE1EEEvT1_
    .private_segment_fixed_size: 0
    .sgpr_count:     6
    .sgpr_spill_count: 0
    .symbol:         _ZN7rocprim17ROCPRIM_400000_NS6detail17trampoline_kernelINS0_14default_configENS1_25partition_config_selectorILNS1_17partition_subalgoE3EN6thrust23THRUST_200600_302600_NS5tupleIiiNS7_9null_typeES9_S9_S9_S9_S9_S9_S9_EENS0_10empty_typeEbEEZZNS1_14partition_implILS5_3ELb0ES3_jNS7_6detail15normal_iteratorINS7_7pointerISA_NS7_11hip_rocprim3tagENS7_11use_defaultESJ_EEEEPSB_SM_NS0_5tupleIJPSA_SM_EEENSN_IJSM_SM_EEESB_PlJ10is_orderedEEE10hipError_tPvRmT3_T4_T5_T6_T7_T9_mT8_P12ihipStream_tbDpT10_ENKUlT_T0_E_clISt17integral_constantIbLb0EES1B_IbLb1EEEEDaS17_S18_EUlS17_E_NS1_11comp_targetILNS1_3genE3ELNS1_11target_archE908ELNS1_3gpuE7ELNS1_3repE0EEENS1_30default_config_static_selectorELNS0_4arch9wavefront6targetE1EEEvT1_.kd
    .uniform_work_group_size: 1
    .uses_dynamic_stack: false
    .vgpr_count:     0
    .vgpr_spill_count: 0
    .wavefront_size: 64
  - .agpr_count:     0
    .args:
      - .offset:         0
        .size:           136
        .value_kind:     by_value
    .group_segment_fixed_size: 0
    .kernarg_segment_align: 8
    .kernarg_segment_size: 136
    .language:       OpenCL C
    .language_version:
      - 2
      - 0
    .max_flat_workgroup_size: 256
    .name:           _ZN7rocprim17ROCPRIM_400000_NS6detail17trampoline_kernelINS0_14default_configENS1_25partition_config_selectorILNS1_17partition_subalgoE3EN6thrust23THRUST_200600_302600_NS5tupleIiiNS7_9null_typeES9_S9_S9_S9_S9_S9_S9_EENS0_10empty_typeEbEEZZNS1_14partition_implILS5_3ELb0ES3_jNS7_6detail15normal_iteratorINS7_7pointerISA_NS7_11hip_rocprim3tagENS7_11use_defaultESJ_EEEEPSB_SM_NS0_5tupleIJPSA_SM_EEENSN_IJSM_SM_EEESB_PlJ10is_orderedEEE10hipError_tPvRmT3_T4_T5_T6_T7_T9_mT8_P12ihipStream_tbDpT10_ENKUlT_T0_E_clISt17integral_constantIbLb0EES1B_IbLb1EEEEDaS17_S18_EUlS17_E_NS1_11comp_targetILNS1_3genE2ELNS1_11target_archE906ELNS1_3gpuE6ELNS1_3repE0EEENS1_30default_config_static_selectorELNS0_4arch9wavefront6targetE1EEEvT1_
    .private_segment_fixed_size: 0
    .sgpr_count:     6
    .sgpr_spill_count: 0
    .symbol:         _ZN7rocprim17ROCPRIM_400000_NS6detail17trampoline_kernelINS0_14default_configENS1_25partition_config_selectorILNS1_17partition_subalgoE3EN6thrust23THRUST_200600_302600_NS5tupleIiiNS7_9null_typeES9_S9_S9_S9_S9_S9_S9_EENS0_10empty_typeEbEEZZNS1_14partition_implILS5_3ELb0ES3_jNS7_6detail15normal_iteratorINS7_7pointerISA_NS7_11hip_rocprim3tagENS7_11use_defaultESJ_EEEEPSB_SM_NS0_5tupleIJPSA_SM_EEENSN_IJSM_SM_EEESB_PlJ10is_orderedEEE10hipError_tPvRmT3_T4_T5_T6_T7_T9_mT8_P12ihipStream_tbDpT10_ENKUlT_T0_E_clISt17integral_constantIbLb0EES1B_IbLb1EEEEDaS17_S18_EUlS17_E_NS1_11comp_targetILNS1_3genE2ELNS1_11target_archE906ELNS1_3gpuE6ELNS1_3repE0EEENS1_30default_config_static_selectorELNS0_4arch9wavefront6targetE1EEEvT1_.kd
    .uniform_work_group_size: 1
    .uses_dynamic_stack: false
    .vgpr_count:     0
    .vgpr_spill_count: 0
    .wavefront_size: 64
  - .agpr_count:     0
    .args:
      - .offset:         0
        .size:           136
        .value_kind:     by_value
    .group_segment_fixed_size: 0
    .kernarg_segment_align: 8
    .kernarg_segment_size: 136
    .language:       OpenCL C
    .language_version:
      - 2
      - 0
    .max_flat_workgroup_size: 512
    .name:           _ZN7rocprim17ROCPRIM_400000_NS6detail17trampoline_kernelINS0_14default_configENS1_25partition_config_selectorILNS1_17partition_subalgoE3EN6thrust23THRUST_200600_302600_NS5tupleIiiNS7_9null_typeES9_S9_S9_S9_S9_S9_S9_EENS0_10empty_typeEbEEZZNS1_14partition_implILS5_3ELb0ES3_jNS7_6detail15normal_iteratorINS7_7pointerISA_NS7_11hip_rocprim3tagENS7_11use_defaultESJ_EEEEPSB_SM_NS0_5tupleIJPSA_SM_EEENSN_IJSM_SM_EEESB_PlJ10is_orderedEEE10hipError_tPvRmT3_T4_T5_T6_T7_T9_mT8_P12ihipStream_tbDpT10_ENKUlT_T0_E_clISt17integral_constantIbLb0EES1B_IbLb1EEEEDaS17_S18_EUlS17_E_NS1_11comp_targetILNS1_3genE10ELNS1_11target_archE1200ELNS1_3gpuE4ELNS1_3repE0EEENS1_30default_config_static_selectorELNS0_4arch9wavefront6targetE1EEEvT1_
    .private_segment_fixed_size: 0
    .sgpr_count:     6
    .sgpr_spill_count: 0
    .symbol:         _ZN7rocprim17ROCPRIM_400000_NS6detail17trampoline_kernelINS0_14default_configENS1_25partition_config_selectorILNS1_17partition_subalgoE3EN6thrust23THRUST_200600_302600_NS5tupleIiiNS7_9null_typeES9_S9_S9_S9_S9_S9_S9_EENS0_10empty_typeEbEEZZNS1_14partition_implILS5_3ELb0ES3_jNS7_6detail15normal_iteratorINS7_7pointerISA_NS7_11hip_rocprim3tagENS7_11use_defaultESJ_EEEEPSB_SM_NS0_5tupleIJPSA_SM_EEENSN_IJSM_SM_EEESB_PlJ10is_orderedEEE10hipError_tPvRmT3_T4_T5_T6_T7_T9_mT8_P12ihipStream_tbDpT10_ENKUlT_T0_E_clISt17integral_constantIbLb0EES1B_IbLb1EEEEDaS17_S18_EUlS17_E_NS1_11comp_targetILNS1_3genE10ELNS1_11target_archE1200ELNS1_3gpuE4ELNS1_3repE0EEENS1_30default_config_static_selectorELNS0_4arch9wavefront6targetE1EEEvT1_.kd
    .uniform_work_group_size: 1
    .uses_dynamic_stack: false
    .vgpr_count:     0
    .vgpr_spill_count: 0
    .wavefront_size: 64
  - .agpr_count:     0
    .args:
      - .offset:         0
        .size:           136
        .value_kind:     by_value
    .group_segment_fixed_size: 0
    .kernarg_segment_align: 8
    .kernarg_segment_size: 136
    .language:       OpenCL C
    .language_version:
      - 2
      - 0
    .max_flat_workgroup_size: 512
    .name:           _ZN7rocprim17ROCPRIM_400000_NS6detail17trampoline_kernelINS0_14default_configENS1_25partition_config_selectorILNS1_17partition_subalgoE3EN6thrust23THRUST_200600_302600_NS5tupleIiiNS7_9null_typeES9_S9_S9_S9_S9_S9_S9_EENS0_10empty_typeEbEEZZNS1_14partition_implILS5_3ELb0ES3_jNS7_6detail15normal_iteratorINS7_7pointerISA_NS7_11hip_rocprim3tagENS7_11use_defaultESJ_EEEEPSB_SM_NS0_5tupleIJPSA_SM_EEENSN_IJSM_SM_EEESB_PlJ10is_orderedEEE10hipError_tPvRmT3_T4_T5_T6_T7_T9_mT8_P12ihipStream_tbDpT10_ENKUlT_T0_E_clISt17integral_constantIbLb0EES1B_IbLb1EEEEDaS17_S18_EUlS17_E_NS1_11comp_targetILNS1_3genE9ELNS1_11target_archE1100ELNS1_3gpuE3ELNS1_3repE0EEENS1_30default_config_static_selectorELNS0_4arch9wavefront6targetE1EEEvT1_
    .private_segment_fixed_size: 0
    .sgpr_count:     6
    .sgpr_spill_count: 0
    .symbol:         _ZN7rocprim17ROCPRIM_400000_NS6detail17trampoline_kernelINS0_14default_configENS1_25partition_config_selectorILNS1_17partition_subalgoE3EN6thrust23THRUST_200600_302600_NS5tupleIiiNS7_9null_typeES9_S9_S9_S9_S9_S9_S9_EENS0_10empty_typeEbEEZZNS1_14partition_implILS5_3ELb0ES3_jNS7_6detail15normal_iteratorINS7_7pointerISA_NS7_11hip_rocprim3tagENS7_11use_defaultESJ_EEEEPSB_SM_NS0_5tupleIJPSA_SM_EEENSN_IJSM_SM_EEESB_PlJ10is_orderedEEE10hipError_tPvRmT3_T4_T5_T6_T7_T9_mT8_P12ihipStream_tbDpT10_ENKUlT_T0_E_clISt17integral_constantIbLb0EES1B_IbLb1EEEEDaS17_S18_EUlS17_E_NS1_11comp_targetILNS1_3genE9ELNS1_11target_archE1100ELNS1_3gpuE3ELNS1_3repE0EEENS1_30default_config_static_selectorELNS0_4arch9wavefront6targetE1EEEvT1_.kd
    .uniform_work_group_size: 1
    .uses_dynamic_stack: false
    .vgpr_count:     0
    .vgpr_spill_count: 0
    .wavefront_size: 64
  - .agpr_count:     0
    .args:
      - .offset:         0
        .size:           136
        .value_kind:     by_value
    .group_segment_fixed_size: 0
    .kernarg_segment_align: 8
    .kernarg_segment_size: 136
    .language:       OpenCL C
    .language_version:
      - 2
      - 0
    .max_flat_workgroup_size: 512
    .name:           _ZN7rocprim17ROCPRIM_400000_NS6detail17trampoline_kernelINS0_14default_configENS1_25partition_config_selectorILNS1_17partition_subalgoE3EN6thrust23THRUST_200600_302600_NS5tupleIiiNS7_9null_typeES9_S9_S9_S9_S9_S9_S9_EENS0_10empty_typeEbEEZZNS1_14partition_implILS5_3ELb0ES3_jNS7_6detail15normal_iteratorINS7_7pointerISA_NS7_11hip_rocprim3tagENS7_11use_defaultESJ_EEEEPSB_SM_NS0_5tupleIJPSA_SM_EEENSN_IJSM_SM_EEESB_PlJ10is_orderedEEE10hipError_tPvRmT3_T4_T5_T6_T7_T9_mT8_P12ihipStream_tbDpT10_ENKUlT_T0_E_clISt17integral_constantIbLb0EES1B_IbLb1EEEEDaS17_S18_EUlS17_E_NS1_11comp_targetILNS1_3genE8ELNS1_11target_archE1030ELNS1_3gpuE2ELNS1_3repE0EEENS1_30default_config_static_selectorELNS0_4arch9wavefront6targetE1EEEvT1_
    .private_segment_fixed_size: 0
    .sgpr_count:     6
    .sgpr_spill_count: 0
    .symbol:         _ZN7rocprim17ROCPRIM_400000_NS6detail17trampoline_kernelINS0_14default_configENS1_25partition_config_selectorILNS1_17partition_subalgoE3EN6thrust23THRUST_200600_302600_NS5tupleIiiNS7_9null_typeES9_S9_S9_S9_S9_S9_S9_EENS0_10empty_typeEbEEZZNS1_14partition_implILS5_3ELb0ES3_jNS7_6detail15normal_iteratorINS7_7pointerISA_NS7_11hip_rocprim3tagENS7_11use_defaultESJ_EEEEPSB_SM_NS0_5tupleIJPSA_SM_EEENSN_IJSM_SM_EEESB_PlJ10is_orderedEEE10hipError_tPvRmT3_T4_T5_T6_T7_T9_mT8_P12ihipStream_tbDpT10_ENKUlT_T0_E_clISt17integral_constantIbLb0EES1B_IbLb1EEEEDaS17_S18_EUlS17_E_NS1_11comp_targetILNS1_3genE8ELNS1_11target_archE1030ELNS1_3gpuE2ELNS1_3repE0EEENS1_30default_config_static_selectorELNS0_4arch9wavefront6targetE1EEEvT1_.kd
    .uniform_work_group_size: 1
    .uses_dynamic_stack: false
    .vgpr_count:     0
    .vgpr_spill_count: 0
    .wavefront_size: 64
  - .agpr_count:     0
    .args:
      - .offset:         0
        .size:           32
        .value_kind:     by_value
      - .offset:         32
        .size:           8
        .value_kind:     by_value
      - .offset:         40
        .size:           8
        .value_kind:     by_value
    .group_segment_fixed_size: 0
    .kernarg_segment_align: 8
    .kernarg_segment_size: 48
    .language:       OpenCL C
    .language_version:
      - 2
      - 0
    .max_flat_workgroup_size: 256
    .name:           _ZN6thrust23THRUST_200600_302600_NS11hip_rocprim14__parallel_for6kernelILj256ENS1_11__transform17unary_transform_fIPNS0_5tupleIiiNS0_9null_typeES7_S7_S7_S7_S7_S7_S7_EENS0_12zip_iteratorINS6_INS0_6detail15normal_iteratorINS0_10device_ptrIiEEEESF_S7_S7_S7_S7_S7_S7_S7_S7_EEEENS4_14no_stencil_tagENS0_8identityIS8_EENS4_21always_true_predicateEEElLj1EEEvT0_T1_SO_
    .private_segment_fixed_size: 0
    .sgpr_count:     16
    .sgpr_spill_count: 0
    .symbol:         _ZN6thrust23THRUST_200600_302600_NS11hip_rocprim14__parallel_for6kernelILj256ENS1_11__transform17unary_transform_fIPNS0_5tupleIiiNS0_9null_typeES7_S7_S7_S7_S7_S7_S7_EENS0_12zip_iteratorINS6_INS0_6detail15normal_iteratorINS0_10device_ptrIiEEEESF_S7_S7_S7_S7_S7_S7_S7_S7_EEEENS4_14no_stencil_tagENS0_8identityIS8_EENS4_21always_true_predicateEEElLj1EEEvT0_T1_SO_.kd
    .uniform_work_group_size: 1
    .uses_dynamic_stack: false
    .vgpr_count:     7
    .vgpr_spill_count: 0
    .wavefront_size: 64
  - .agpr_count:     0
    .args:
      - .offset:         0
        .size:           16
        .value_kind:     by_value
      - .offset:         16
        .size:           8
        .value_kind:     by_value
      - .offset:         24
        .size:           8
        .value_kind:     by_value
    .group_segment_fixed_size: 0
    .kernarg_segment_align: 8
    .kernarg_segment_size: 32
    .language:       OpenCL C
    .language_version:
      - 2
      - 0
    .max_flat_workgroup_size: 256
    .name:           _ZN6thrust23THRUST_200600_302600_NS11hip_rocprim14__parallel_for6kernelILj256ENS1_10for_each_fINS0_7pointerINS0_5tupleIssNS0_9null_typeES7_S7_S7_S7_S7_S7_S7_EENS1_3tagENS0_11use_defaultESA_EENS0_6detail16wrapped_functionINSC_23allocator_traits_detail24construct1_via_allocatorINSC_18no_throw_allocatorINSC_19temporary_allocatorIS8_S9_EEEEEEvEEEEmLj1EEEvT0_T1_SO_
    .private_segment_fixed_size: 0
    .sgpr_count:     18
    .sgpr_spill_count: 0
    .symbol:         _ZN6thrust23THRUST_200600_302600_NS11hip_rocprim14__parallel_for6kernelILj256ENS1_10for_each_fINS0_7pointerINS0_5tupleIssNS0_9null_typeES7_S7_S7_S7_S7_S7_S7_EENS1_3tagENS0_11use_defaultESA_EENS0_6detail16wrapped_functionINSC_23allocator_traits_detail24construct1_via_allocatorINSC_18no_throw_allocatorINSC_19temporary_allocatorIS8_S9_EEEEEEvEEEEmLj1EEEvT0_T1_SO_.kd
    .uniform_work_group_size: 1
    .uses_dynamic_stack: false
    .vgpr_count:     4
    .vgpr_spill_count: 0
    .wavefront_size: 64
  - .agpr_count:     0
    .args:
      - .offset:         0
        .size:           16
        .value_kind:     by_value
      - .offset:         16
        .size:           8
        .value_kind:     by_value
      - .offset:         24
        .size:           8
        .value_kind:     by_value
    .group_segment_fixed_size: 0
    .kernarg_segment_align: 8
    .kernarg_segment_size: 32
    .language:       OpenCL C
    .language_version:
      - 2
      - 0
    .max_flat_workgroup_size: 256
    .name:           _ZN6thrust23THRUST_200600_302600_NS11hip_rocprim14__parallel_for6kernelILj256ENS1_10for_each_fINS0_7pointerINS0_5tupleIssNS0_9null_typeES7_S7_S7_S7_S7_S7_S7_EENS1_3tagENS0_11use_defaultESA_EENS0_6detail16wrapped_functionINSC_23allocator_traits_detail5gozerEvEEEElLj1EEEvT0_T1_SJ_
    .private_segment_fixed_size: 0
    .sgpr_count:     6
    .sgpr_spill_count: 0
    .symbol:         _ZN6thrust23THRUST_200600_302600_NS11hip_rocprim14__parallel_for6kernelILj256ENS1_10for_each_fINS0_7pointerINS0_5tupleIssNS0_9null_typeES7_S7_S7_S7_S7_S7_S7_EENS1_3tagENS0_11use_defaultESA_EENS0_6detail16wrapped_functionINSC_23allocator_traits_detail5gozerEvEEEElLj1EEEvT0_T1_SJ_.kd
    .uniform_work_group_size: 1
    .uses_dynamic_stack: false
    .vgpr_count:     0
    .vgpr_spill_count: 0
    .wavefront_size: 64
  - .agpr_count:     0
    .args:
      - .offset:         0
        .size:           24
        .value_kind:     by_value
      - .offset:         24
        .size:           8
        .value_kind:     by_value
      - .offset:         32
        .size:           8
        .value_kind:     by_value
    .group_segment_fixed_size: 0
    .kernarg_segment_align: 8
    .kernarg_segment_size: 40
    .language:       OpenCL C
    .language_version:
      - 2
      - 0
    .max_flat_workgroup_size: 256
    .name:           _ZN6thrust23THRUST_200600_302600_NS11hip_rocprim14__parallel_for6kernelILj256ENS1_20__uninitialized_copy7functorINS0_12zip_iteratorINS0_5tupleINS0_6detail15normal_iteratorINS0_10device_ptrIsEEEESC_NS0_9null_typeESD_SD_SD_SD_SD_SD_SD_EEEENS9_INS0_7pointerINS7_IssSD_SD_SD_SD_SD_SD_SD_SD_EENS1_3tagENS0_11use_defaultESJ_EEEEEElLj1EEEvT0_T1_SO_
    .private_segment_fixed_size: 0
    .sgpr_count:     16
    .sgpr_spill_count: 0
    .symbol:         _ZN6thrust23THRUST_200600_302600_NS11hip_rocprim14__parallel_for6kernelILj256ENS1_20__uninitialized_copy7functorINS0_12zip_iteratorINS0_5tupleINS0_6detail15normal_iteratorINS0_10device_ptrIsEEEESC_NS0_9null_typeESD_SD_SD_SD_SD_SD_SD_EEEENS9_INS0_7pointerINS7_IssSD_SD_SD_SD_SD_SD_SD_SD_EENS1_3tagENS0_11use_defaultESJ_EEEEEElLj1EEEvT0_T1_SO_.kd
    .uniform_work_group_size: 1
    .uses_dynamic_stack: false
    .vgpr_count:     8
    .vgpr_spill_count: 0
    .wavefront_size: 64
  - .agpr_count:     0
    .args:
      - .offset:         0
        .size:           120
        .value_kind:     by_value
    .group_segment_fixed_size: 0
    .kernarg_segment_align: 8
    .kernarg_segment_size: 120
    .language:       OpenCL C
    .language_version:
      - 2
      - 0
    .max_flat_workgroup_size: 256
    .name:           _ZN7rocprim17ROCPRIM_400000_NS6detail17trampoline_kernelINS0_14default_configENS1_25partition_config_selectorILNS1_17partition_subalgoE3EN6thrust23THRUST_200600_302600_NS5tupleIssNS7_9null_typeES9_S9_S9_S9_S9_S9_S9_EENS0_10empty_typeEbEEZZNS1_14partition_implILS5_3ELb0ES3_jNS7_6detail15normal_iteratorINS7_7pointerISA_NS7_11hip_rocprim3tagENS7_11use_defaultESJ_EEEEPSB_SM_NS0_5tupleIJPSA_SM_EEENSN_IJSM_SM_EEESB_PlJ10is_orderedEEE10hipError_tPvRmT3_T4_T5_T6_T7_T9_mT8_P12ihipStream_tbDpT10_ENKUlT_T0_E_clISt17integral_constantIbLb0EES1C_EEDaS17_S18_EUlS17_E_NS1_11comp_targetILNS1_3genE0ELNS1_11target_archE4294967295ELNS1_3gpuE0ELNS1_3repE0EEENS1_30default_config_static_selectorELNS0_4arch9wavefront6targetE1EEEvT1_
    .private_segment_fixed_size: 0
    .sgpr_count:     6
    .sgpr_spill_count: 0
    .symbol:         _ZN7rocprim17ROCPRIM_400000_NS6detail17trampoline_kernelINS0_14default_configENS1_25partition_config_selectorILNS1_17partition_subalgoE3EN6thrust23THRUST_200600_302600_NS5tupleIssNS7_9null_typeES9_S9_S9_S9_S9_S9_S9_EENS0_10empty_typeEbEEZZNS1_14partition_implILS5_3ELb0ES3_jNS7_6detail15normal_iteratorINS7_7pointerISA_NS7_11hip_rocprim3tagENS7_11use_defaultESJ_EEEEPSB_SM_NS0_5tupleIJPSA_SM_EEENSN_IJSM_SM_EEESB_PlJ10is_orderedEEE10hipError_tPvRmT3_T4_T5_T6_T7_T9_mT8_P12ihipStream_tbDpT10_ENKUlT_T0_E_clISt17integral_constantIbLb0EES1C_EEDaS17_S18_EUlS17_E_NS1_11comp_targetILNS1_3genE0ELNS1_11target_archE4294967295ELNS1_3gpuE0ELNS1_3repE0EEENS1_30default_config_static_selectorELNS0_4arch9wavefront6targetE1EEEvT1_.kd
    .uniform_work_group_size: 1
    .uses_dynamic_stack: false
    .vgpr_count:     0
    .vgpr_spill_count: 0
    .wavefront_size: 64
  - .agpr_count:     0
    .args:
      - .offset:         0
        .size:           120
        .value_kind:     by_value
    .group_segment_fixed_size: 30728
    .kernarg_segment_align: 8
    .kernarg_segment_size: 120
    .language:       OpenCL C
    .language_version:
      - 2
      - 0
    .max_flat_workgroup_size: 512
    .name:           _ZN7rocprim17ROCPRIM_400000_NS6detail17trampoline_kernelINS0_14default_configENS1_25partition_config_selectorILNS1_17partition_subalgoE3EN6thrust23THRUST_200600_302600_NS5tupleIssNS7_9null_typeES9_S9_S9_S9_S9_S9_S9_EENS0_10empty_typeEbEEZZNS1_14partition_implILS5_3ELb0ES3_jNS7_6detail15normal_iteratorINS7_7pointerISA_NS7_11hip_rocprim3tagENS7_11use_defaultESJ_EEEEPSB_SM_NS0_5tupleIJPSA_SM_EEENSN_IJSM_SM_EEESB_PlJ10is_orderedEEE10hipError_tPvRmT3_T4_T5_T6_T7_T9_mT8_P12ihipStream_tbDpT10_ENKUlT_T0_E_clISt17integral_constantIbLb0EES1C_EEDaS17_S18_EUlS17_E_NS1_11comp_targetILNS1_3genE5ELNS1_11target_archE942ELNS1_3gpuE9ELNS1_3repE0EEENS1_30default_config_static_selectorELNS0_4arch9wavefront6targetE1EEEvT1_
    .private_segment_fixed_size: 0
    .sgpr_count:     56
    .sgpr_spill_count: 0
    .symbol:         _ZN7rocprim17ROCPRIM_400000_NS6detail17trampoline_kernelINS0_14default_configENS1_25partition_config_selectorILNS1_17partition_subalgoE3EN6thrust23THRUST_200600_302600_NS5tupleIssNS7_9null_typeES9_S9_S9_S9_S9_S9_S9_EENS0_10empty_typeEbEEZZNS1_14partition_implILS5_3ELb0ES3_jNS7_6detail15normal_iteratorINS7_7pointerISA_NS7_11hip_rocprim3tagENS7_11use_defaultESJ_EEEEPSB_SM_NS0_5tupleIJPSA_SM_EEENSN_IJSM_SM_EEESB_PlJ10is_orderedEEE10hipError_tPvRmT3_T4_T5_T6_T7_T9_mT8_P12ihipStream_tbDpT10_ENKUlT_T0_E_clISt17integral_constantIbLb0EES1C_EEDaS17_S18_EUlS17_E_NS1_11comp_targetILNS1_3genE5ELNS1_11target_archE942ELNS1_3gpuE9ELNS1_3repE0EEENS1_30default_config_static_selectorELNS0_4arch9wavefront6targetE1EEEvT1_.kd
    .uniform_work_group_size: 1
    .uses_dynamic_stack: false
    .vgpr_count:     67
    .vgpr_spill_count: 0
    .wavefront_size: 64
  - .agpr_count:     0
    .args:
      - .offset:         0
        .size:           16
        .value_kind:     by_value
      - .offset:         16
        .size:           8
        .value_kind:     by_value
      - .offset:         24
        .size:           8
        .value_kind:     by_value
    .group_segment_fixed_size: 0
    .kernarg_segment_align: 8
    .kernarg_segment_size: 32
    .language:       OpenCL C
    .language_version:
      - 2
      - 0
    .max_flat_workgroup_size: 256
    .name:           _ZN6thrust23THRUST_200600_302600_NS11hip_rocprim14__parallel_for6kernelILj256ENS1_20__uninitialized_copy7functorINS0_7pointerINS0_5tupleIssNS0_9null_typeES8_S8_S8_S8_S8_S8_S8_EENS1_3tagENS0_11use_defaultESB_EESC_EEmLj1EEEvT0_T1_SF_
    .private_segment_fixed_size: 0
    .sgpr_count:     18
    .sgpr_spill_count: 0
    .symbol:         _ZN6thrust23THRUST_200600_302600_NS11hip_rocprim14__parallel_for6kernelILj256ENS1_20__uninitialized_copy7functorINS0_7pointerINS0_5tupleIssNS0_9null_typeES8_S8_S8_S8_S8_S8_S8_EENS1_3tagENS0_11use_defaultESB_EESC_EEmLj1EEEvT0_T1_SF_.kd
    .uniform_work_group_size: 1
    .uses_dynamic_stack: false
    .vgpr_count:     6
    .vgpr_spill_count: 0
    .wavefront_size: 64
  - .agpr_count:     0
    .args:
      - .offset:         0
        .size:           120
        .value_kind:     by_value
    .group_segment_fixed_size: 0
    .kernarg_segment_align: 8
    .kernarg_segment_size: 120
    .language:       OpenCL C
    .language_version:
      - 2
      - 0
    .max_flat_workgroup_size: 256
    .name:           _ZN7rocprim17ROCPRIM_400000_NS6detail17trampoline_kernelINS0_14default_configENS1_25partition_config_selectorILNS1_17partition_subalgoE3EN6thrust23THRUST_200600_302600_NS5tupleIssNS7_9null_typeES9_S9_S9_S9_S9_S9_S9_EENS0_10empty_typeEbEEZZNS1_14partition_implILS5_3ELb0ES3_jNS7_6detail15normal_iteratorINS7_7pointerISA_NS7_11hip_rocprim3tagENS7_11use_defaultESJ_EEEEPSB_SM_NS0_5tupleIJPSA_SM_EEENSN_IJSM_SM_EEESB_PlJ10is_orderedEEE10hipError_tPvRmT3_T4_T5_T6_T7_T9_mT8_P12ihipStream_tbDpT10_ENKUlT_T0_E_clISt17integral_constantIbLb0EES1C_EEDaS17_S18_EUlS17_E_NS1_11comp_targetILNS1_3genE4ELNS1_11target_archE910ELNS1_3gpuE8ELNS1_3repE0EEENS1_30default_config_static_selectorELNS0_4arch9wavefront6targetE1EEEvT1_
    .private_segment_fixed_size: 0
    .sgpr_count:     6
    .sgpr_spill_count: 0
    .symbol:         _ZN7rocprim17ROCPRIM_400000_NS6detail17trampoline_kernelINS0_14default_configENS1_25partition_config_selectorILNS1_17partition_subalgoE3EN6thrust23THRUST_200600_302600_NS5tupleIssNS7_9null_typeES9_S9_S9_S9_S9_S9_S9_EENS0_10empty_typeEbEEZZNS1_14partition_implILS5_3ELb0ES3_jNS7_6detail15normal_iteratorINS7_7pointerISA_NS7_11hip_rocprim3tagENS7_11use_defaultESJ_EEEEPSB_SM_NS0_5tupleIJPSA_SM_EEENSN_IJSM_SM_EEESB_PlJ10is_orderedEEE10hipError_tPvRmT3_T4_T5_T6_T7_T9_mT8_P12ihipStream_tbDpT10_ENKUlT_T0_E_clISt17integral_constantIbLb0EES1C_EEDaS17_S18_EUlS17_E_NS1_11comp_targetILNS1_3genE4ELNS1_11target_archE910ELNS1_3gpuE8ELNS1_3repE0EEENS1_30default_config_static_selectorELNS0_4arch9wavefront6targetE1EEEvT1_.kd
    .uniform_work_group_size: 1
    .uses_dynamic_stack: false
    .vgpr_count:     0
    .vgpr_spill_count: 0
    .wavefront_size: 64
  - .agpr_count:     0
    .args:
      - .offset:         0
        .size:           120
        .value_kind:     by_value
    .group_segment_fixed_size: 0
    .kernarg_segment_align: 8
    .kernarg_segment_size: 120
    .language:       OpenCL C
    .language_version:
      - 2
      - 0
    .max_flat_workgroup_size: 256
    .name:           _ZN7rocprim17ROCPRIM_400000_NS6detail17trampoline_kernelINS0_14default_configENS1_25partition_config_selectorILNS1_17partition_subalgoE3EN6thrust23THRUST_200600_302600_NS5tupleIssNS7_9null_typeES9_S9_S9_S9_S9_S9_S9_EENS0_10empty_typeEbEEZZNS1_14partition_implILS5_3ELb0ES3_jNS7_6detail15normal_iteratorINS7_7pointerISA_NS7_11hip_rocprim3tagENS7_11use_defaultESJ_EEEEPSB_SM_NS0_5tupleIJPSA_SM_EEENSN_IJSM_SM_EEESB_PlJ10is_orderedEEE10hipError_tPvRmT3_T4_T5_T6_T7_T9_mT8_P12ihipStream_tbDpT10_ENKUlT_T0_E_clISt17integral_constantIbLb0EES1C_EEDaS17_S18_EUlS17_E_NS1_11comp_targetILNS1_3genE3ELNS1_11target_archE908ELNS1_3gpuE7ELNS1_3repE0EEENS1_30default_config_static_selectorELNS0_4arch9wavefront6targetE1EEEvT1_
    .private_segment_fixed_size: 0
    .sgpr_count:     6
    .sgpr_spill_count: 0
    .symbol:         _ZN7rocprim17ROCPRIM_400000_NS6detail17trampoline_kernelINS0_14default_configENS1_25partition_config_selectorILNS1_17partition_subalgoE3EN6thrust23THRUST_200600_302600_NS5tupleIssNS7_9null_typeES9_S9_S9_S9_S9_S9_S9_EENS0_10empty_typeEbEEZZNS1_14partition_implILS5_3ELb0ES3_jNS7_6detail15normal_iteratorINS7_7pointerISA_NS7_11hip_rocprim3tagENS7_11use_defaultESJ_EEEEPSB_SM_NS0_5tupleIJPSA_SM_EEENSN_IJSM_SM_EEESB_PlJ10is_orderedEEE10hipError_tPvRmT3_T4_T5_T6_T7_T9_mT8_P12ihipStream_tbDpT10_ENKUlT_T0_E_clISt17integral_constantIbLb0EES1C_EEDaS17_S18_EUlS17_E_NS1_11comp_targetILNS1_3genE3ELNS1_11target_archE908ELNS1_3gpuE7ELNS1_3repE0EEENS1_30default_config_static_selectorELNS0_4arch9wavefront6targetE1EEEvT1_.kd
    .uniform_work_group_size: 1
    .uses_dynamic_stack: false
    .vgpr_count:     0
    .vgpr_spill_count: 0
    .wavefront_size: 64
  - .agpr_count:     0
    .args:
      - .offset:         0
        .size:           120
        .value_kind:     by_value
    .group_segment_fixed_size: 0
    .kernarg_segment_align: 8
    .kernarg_segment_size: 120
    .language:       OpenCL C
    .language_version:
      - 2
      - 0
    .max_flat_workgroup_size: 192
    .name:           _ZN7rocprim17ROCPRIM_400000_NS6detail17trampoline_kernelINS0_14default_configENS1_25partition_config_selectorILNS1_17partition_subalgoE3EN6thrust23THRUST_200600_302600_NS5tupleIssNS7_9null_typeES9_S9_S9_S9_S9_S9_S9_EENS0_10empty_typeEbEEZZNS1_14partition_implILS5_3ELb0ES3_jNS7_6detail15normal_iteratorINS7_7pointerISA_NS7_11hip_rocprim3tagENS7_11use_defaultESJ_EEEEPSB_SM_NS0_5tupleIJPSA_SM_EEENSN_IJSM_SM_EEESB_PlJ10is_orderedEEE10hipError_tPvRmT3_T4_T5_T6_T7_T9_mT8_P12ihipStream_tbDpT10_ENKUlT_T0_E_clISt17integral_constantIbLb0EES1C_EEDaS17_S18_EUlS17_E_NS1_11comp_targetILNS1_3genE2ELNS1_11target_archE906ELNS1_3gpuE6ELNS1_3repE0EEENS1_30default_config_static_selectorELNS0_4arch9wavefront6targetE1EEEvT1_
    .private_segment_fixed_size: 0
    .sgpr_count:     6
    .sgpr_spill_count: 0
    .symbol:         _ZN7rocprim17ROCPRIM_400000_NS6detail17trampoline_kernelINS0_14default_configENS1_25partition_config_selectorILNS1_17partition_subalgoE3EN6thrust23THRUST_200600_302600_NS5tupleIssNS7_9null_typeES9_S9_S9_S9_S9_S9_S9_EENS0_10empty_typeEbEEZZNS1_14partition_implILS5_3ELb0ES3_jNS7_6detail15normal_iteratorINS7_7pointerISA_NS7_11hip_rocprim3tagENS7_11use_defaultESJ_EEEEPSB_SM_NS0_5tupleIJPSA_SM_EEENSN_IJSM_SM_EEESB_PlJ10is_orderedEEE10hipError_tPvRmT3_T4_T5_T6_T7_T9_mT8_P12ihipStream_tbDpT10_ENKUlT_T0_E_clISt17integral_constantIbLb0EES1C_EEDaS17_S18_EUlS17_E_NS1_11comp_targetILNS1_3genE2ELNS1_11target_archE906ELNS1_3gpuE6ELNS1_3repE0EEENS1_30default_config_static_selectorELNS0_4arch9wavefront6targetE1EEEvT1_.kd
    .uniform_work_group_size: 1
    .uses_dynamic_stack: false
    .vgpr_count:     0
    .vgpr_spill_count: 0
    .wavefront_size: 64
  - .agpr_count:     0
    .args:
      - .offset:         0
        .size:           120
        .value_kind:     by_value
    .group_segment_fixed_size: 0
    .kernarg_segment_align: 8
    .kernarg_segment_size: 120
    .language:       OpenCL C
    .language_version:
      - 2
      - 0
    .max_flat_workgroup_size: 384
    .name:           _ZN7rocprim17ROCPRIM_400000_NS6detail17trampoline_kernelINS0_14default_configENS1_25partition_config_selectorILNS1_17partition_subalgoE3EN6thrust23THRUST_200600_302600_NS5tupleIssNS7_9null_typeES9_S9_S9_S9_S9_S9_S9_EENS0_10empty_typeEbEEZZNS1_14partition_implILS5_3ELb0ES3_jNS7_6detail15normal_iteratorINS7_7pointerISA_NS7_11hip_rocprim3tagENS7_11use_defaultESJ_EEEEPSB_SM_NS0_5tupleIJPSA_SM_EEENSN_IJSM_SM_EEESB_PlJ10is_orderedEEE10hipError_tPvRmT3_T4_T5_T6_T7_T9_mT8_P12ihipStream_tbDpT10_ENKUlT_T0_E_clISt17integral_constantIbLb0EES1C_EEDaS17_S18_EUlS17_E_NS1_11comp_targetILNS1_3genE10ELNS1_11target_archE1200ELNS1_3gpuE4ELNS1_3repE0EEENS1_30default_config_static_selectorELNS0_4arch9wavefront6targetE1EEEvT1_
    .private_segment_fixed_size: 0
    .sgpr_count:     6
    .sgpr_spill_count: 0
    .symbol:         _ZN7rocprim17ROCPRIM_400000_NS6detail17trampoline_kernelINS0_14default_configENS1_25partition_config_selectorILNS1_17partition_subalgoE3EN6thrust23THRUST_200600_302600_NS5tupleIssNS7_9null_typeES9_S9_S9_S9_S9_S9_S9_EENS0_10empty_typeEbEEZZNS1_14partition_implILS5_3ELb0ES3_jNS7_6detail15normal_iteratorINS7_7pointerISA_NS7_11hip_rocprim3tagENS7_11use_defaultESJ_EEEEPSB_SM_NS0_5tupleIJPSA_SM_EEENSN_IJSM_SM_EEESB_PlJ10is_orderedEEE10hipError_tPvRmT3_T4_T5_T6_T7_T9_mT8_P12ihipStream_tbDpT10_ENKUlT_T0_E_clISt17integral_constantIbLb0EES1C_EEDaS17_S18_EUlS17_E_NS1_11comp_targetILNS1_3genE10ELNS1_11target_archE1200ELNS1_3gpuE4ELNS1_3repE0EEENS1_30default_config_static_selectorELNS0_4arch9wavefront6targetE1EEEvT1_.kd
    .uniform_work_group_size: 1
    .uses_dynamic_stack: false
    .vgpr_count:     0
    .vgpr_spill_count: 0
    .wavefront_size: 64
  - .agpr_count:     0
    .args:
      - .offset:         0
        .size:           120
        .value_kind:     by_value
    .group_segment_fixed_size: 0
    .kernarg_segment_align: 8
    .kernarg_segment_size: 120
    .language:       OpenCL C
    .language_version:
      - 2
      - 0
    .max_flat_workgroup_size: 384
    .name:           _ZN7rocprim17ROCPRIM_400000_NS6detail17trampoline_kernelINS0_14default_configENS1_25partition_config_selectorILNS1_17partition_subalgoE3EN6thrust23THRUST_200600_302600_NS5tupleIssNS7_9null_typeES9_S9_S9_S9_S9_S9_S9_EENS0_10empty_typeEbEEZZNS1_14partition_implILS5_3ELb0ES3_jNS7_6detail15normal_iteratorINS7_7pointerISA_NS7_11hip_rocprim3tagENS7_11use_defaultESJ_EEEEPSB_SM_NS0_5tupleIJPSA_SM_EEENSN_IJSM_SM_EEESB_PlJ10is_orderedEEE10hipError_tPvRmT3_T4_T5_T6_T7_T9_mT8_P12ihipStream_tbDpT10_ENKUlT_T0_E_clISt17integral_constantIbLb0EES1C_EEDaS17_S18_EUlS17_E_NS1_11comp_targetILNS1_3genE9ELNS1_11target_archE1100ELNS1_3gpuE3ELNS1_3repE0EEENS1_30default_config_static_selectorELNS0_4arch9wavefront6targetE1EEEvT1_
    .private_segment_fixed_size: 0
    .sgpr_count:     6
    .sgpr_spill_count: 0
    .symbol:         _ZN7rocprim17ROCPRIM_400000_NS6detail17trampoline_kernelINS0_14default_configENS1_25partition_config_selectorILNS1_17partition_subalgoE3EN6thrust23THRUST_200600_302600_NS5tupleIssNS7_9null_typeES9_S9_S9_S9_S9_S9_S9_EENS0_10empty_typeEbEEZZNS1_14partition_implILS5_3ELb0ES3_jNS7_6detail15normal_iteratorINS7_7pointerISA_NS7_11hip_rocprim3tagENS7_11use_defaultESJ_EEEEPSB_SM_NS0_5tupleIJPSA_SM_EEENSN_IJSM_SM_EEESB_PlJ10is_orderedEEE10hipError_tPvRmT3_T4_T5_T6_T7_T9_mT8_P12ihipStream_tbDpT10_ENKUlT_T0_E_clISt17integral_constantIbLb0EES1C_EEDaS17_S18_EUlS17_E_NS1_11comp_targetILNS1_3genE9ELNS1_11target_archE1100ELNS1_3gpuE3ELNS1_3repE0EEENS1_30default_config_static_selectorELNS0_4arch9wavefront6targetE1EEEvT1_.kd
    .uniform_work_group_size: 1
    .uses_dynamic_stack: false
    .vgpr_count:     0
    .vgpr_spill_count: 0
    .wavefront_size: 64
  - .agpr_count:     0
    .args:
      - .offset:         0
        .size:           120
        .value_kind:     by_value
    .group_segment_fixed_size: 0
    .kernarg_segment_align: 8
    .kernarg_segment_size: 120
    .language:       OpenCL C
    .language_version:
      - 2
      - 0
    .max_flat_workgroup_size: 512
    .name:           _ZN7rocprim17ROCPRIM_400000_NS6detail17trampoline_kernelINS0_14default_configENS1_25partition_config_selectorILNS1_17partition_subalgoE3EN6thrust23THRUST_200600_302600_NS5tupleIssNS7_9null_typeES9_S9_S9_S9_S9_S9_S9_EENS0_10empty_typeEbEEZZNS1_14partition_implILS5_3ELb0ES3_jNS7_6detail15normal_iteratorINS7_7pointerISA_NS7_11hip_rocprim3tagENS7_11use_defaultESJ_EEEEPSB_SM_NS0_5tupleIJPSA_SM_EEENSN_IJSM_SM_EEESB_PlJ10is_orderedEEE10hipError_tPvRmT3_T4_T5_T6_T7_T9_mT8_P12ihipStream_tbDpT10_ENKUlT_T0_E_clISt17integral_constantIbLb0EES1C_EEDaS17_S18_EUlS17_E_NS1_11comp_targetILNS1_3genE8ELNS1_11target_archE1030ELNS1_3gpuE2ELNS1_3repE0EEENS1_30default_config_static_selectorELNS0_4arch9wavefront6targetE1EEEvT1_
    .private_segment_fixed_size: 0
    .sgpr_count:     6
    .sgpr_spill_count: 0
    .symbol:         _ZN7rocprim17ROCPRIM_400000_NS6detail17trampoline_kernelINS0_14default_configENS1_25partition_config_selectorILNS1_17partition_subalgoE3EN6thrust23THRUST_200600_302600_NS5tupleIssNS7_9null_typeES9_S9_S9_S9_S9_S9_S9_EENS0_10empty_typeEbEEZZNS1_14partition_implILS5_3ELb0ES3_jNS7_6detail15normal_iteratorINS7_7pointerISA_NS7_11hip_rocprim3tagENS7_11use_defaultESJ_EEEEPSB_SM_NS0_5tupleIJPSA_SM_EEENSN_IJSM_SM_EEESB_PlJ10is_orderedEEE10hipError_tPvRmT3_T4_T5_T6_T7_T9_mT8_P12ihipStream_tbDpT10_ENKUlT_T0_E_clISt17integral_constantIbLb0EES1C_EEDaS17_S18_EUlS17_E_NS1_11comp_targetILNS1_3genE8ELNS1_11target_archE1030ELNS1_3gpuE2ELNS1_3repE0EEENS1_30default_config_static_selectorELNS0_4arch9wavefront6targetE1EEEvT1_.kd
    .uniform_work_group_size: 1
    .uses_dynamic_stack: false
    .vgpr_count:     0
    .vgpr_spill_count: 0
    .wavefront_size: 64
  - .agpr_count:     0
    .args:
      - .offset:         0
        .size:           136
        .value_kind:     by_value
    .group_segment_fixed_size: 0
    .kernarg_segment_align: 8
    .kernarg_segment_size: 136
    .language:       OpenCL C
    .language_version:
      - 2
      - 0
    .max_flat_workgroup_size: 256
    .name:           _ZN7rocprim17ROCPRIM_400000_NS6detail17trampoline_kernelINS0_14default_configENS1_25partition_config_selectorILNS1_17partition_subalgoE3EN6thrust23THRUST_200600_302600_NS5tupleIssNS7_9null_typeES9_S9_S9_S9_S9_S9_S9_EENS0_10empty_typeEbEEZZNS1_14partition_implILS5_3ELb0ES3_jNS7_6detail15normal_iteratorINS7_7pointerISA_NS7_11hip_rocprim3tagENS7_11use_defaultESJ_EEEEPSB_SM_NS0_5tupleIJPSA_SM_EEENSN_IJSM_SM_EEESB_PlJ10is_orderedEEE10hipError_tPvRmT3_T4_T5_T6_T7_T9_mT8_P12ihipStream_tbDpT10_ENKUlT_T0_E_clISt17integral_constantIbLb1EES1C_EEDaS17_S18_EUlS17_E_NS1_11comp_targetILNS1_3genE0ELNS1_11target_archE4294967295ELNS1_3gpuE0ELNS1_3repE0EEENS1_30default_config_static_selectorELNS0_4arch9wavefront6targetE1EEEvT1_
    .private_segment_fixed_size: 0
    .sgpr_count:     6
    .sgpr_spill_count: 0
    .symbol:         _ZN7rocprim17ROCPRIM_400000_NS6detail17trampoline_kernelINS0_14default_configENS1_25partition_config_selectorILNS1_17partition_subalgoE3EN6thrust23THRUST_200600_302600_NS5tupleIssNS7_9null_typeES9_S9_S9_S9_S9_S9_S9_EENS0_10empty_typeEbEEZZNS1_14partition_implILS5_3ELb0ES3_jNS7_6detail15normal_iteratorINS7_7pointerISA_NS7_11hip_rocprim3tagENS7_11use_defaultESJ_EEEEPSB_SM_NS0_5tupleIJPSA_SM_EEENSN_IJSM_SM_EEESB_PlJ10is_orderedEEE10hipError_tPvRmT3_T4_T5_T6_T7_T9_mT8_P12ihipStream_tbDpT10_ENKUlT_T0_E_clISt17integral_constantIbLb1EES1C_EEDaS17_S18_EUlS17_E_NS1_11comp_targetILNS1_3genE0ELNS1_11target_archE4294967295ELNS1_3gpuE0ELNS1_3repE0EEENS1_30default_config_static_selectorELNS0_4arch9wavefront6targetE1EEEvT1_.kd
    .uniform_work_group_size: 1
    .uses_dynamic_stack: false
    .vgpr_count:     0
    .vgpr_spill_count: 0
    .wavefront_size: 64
  - .agpr_count:     0
    .args:
      - .offset:         0
        .size:           136
        .value_kind:     by_value
    .group_segment_fixed_size: 30728
    .kernarg_segment_align: 8
    .kernarg_segment_size: 136
    .language:       OpenCL C
    .language_version:
      - 2
      - 0
    .max_flat_workgroup_size: 512
    .name:           _ZN7rocprim17ROCPRIM_400000_NS6detail17trampoline_kernelINS0_14default_configENS1_25partition_config_selectorILNS1_17partition_subalgoE3EN6thrust23THRUST_200600_302600_NS5tupleIssNS7_9null_typeES9_S9_S9_S9_S9_S9_S9_EENS0_10empty_typeEbEEZZNS1_14partition_implILS5_3ELb0ES3_jNS7_6detail15normal_iteratorINS7_7pointerISA_NS7_11hip_rocprim3tagENS7_11use_defaultESJ_EEEEPSB_SM_NS0_5tupleIJPSA_SM_EEENSN_IJSM_SM_EEESB_PlJ10is_orderedEEE10hipError_tPvRmT3_T4_T5_T6_T7_T9_mT8_P12ihipStream_tbDpT10_ENKUlT_T0_E_clISt17integral_constantIbLb1EES1C_EEDaS17_S18_EUlS17_E_NS1_11comp_targetILNS1_3genE5ELNS1_11target_archE942ELNS1_3gpuE9ELNS1_3repE0EEENS1_30default_config_static_selectorELNS0_4arch9wavefront6targetE1EEEvT1_
    .private_segment_fixed_size: 0
    .sgpr_count:     55
    .sgpr_spill_count: 0
    .symbol:         _ZN7rocprim17ROCPRIM_400000_NS6detail17trampoline_kernelINS0_14default_configENS1_25partition_config_selectorILNS1_17partition_subalgoE3EN6thrust23THRUST_200600_302600_NS5tupleIssNS7_9null_typeES9_S9_S9_S9_S9_S9_S9_EENS0_10empty_typeEbEEZZNS1_14partition_implILS5_3ELb0ES3_jNS7_6detail15normal_iteratorINS7_7pointerISA_NS7_11hip_rocprim3tagENS7_11use_defaultESJ_EEEEPSB_SM_NS0_5tupleIJPSA_SM_EEENSN_IJSM_SM_EEESB_PlJ10is_orderedEEE10hipError_tPvRmT3_T4_T5_T6_T7_T9_mT8_P12ihipStream_tbDpT10_ENKUlT_T0_E_clISt17integral_constantIbLb1EES1C_EEDaS17_S18_EUlS17_E_NS1_11comp_targetILNS1_3genE5ELNS1_11target_archE942ELNS1_3gpuE9ELNS1_3repE0EEENS1_30default_config_static_selectorELNS0_4arch9wavefront6targetE1EEEvT1_.kd
    .uniform_work_group_size: 1
    .uses_dynamic_stack: false
    .vgpr_count:     71
    .vgpr_spill_count: 0
    .wavefront_size: 64
  - .agpr_count:     0
    .args:
      - .offset:         0
        .size:           136
        .value_kind:     by_value
    .group_segment_fixed_size: 0
    .kernarg_segment_align: 8
    .kernarg_segment_size: 136
    .language:       OpenCL C
    .language_version:
      - 2
      - 0
    .max_flat_workgroup_size: 256
    .name:           _ZN7rocprim17ROCPRIM_400000_NS6detail17trampoline_kernelINS0_14default_configENS1_25partition_config_selectorILNS1_17partition_subalgoE3EN6thrust23THRUST_200600_302600_NS5tupleIssNS7_9null_typeES9_S9_S9_S9_S9_S9_S9_EENS0_10empty_typeEbEEZZNS1_14partition_implILS5_3ELb0ES3_jNS7_6detail15normal_iteratorINS7_7pointerISA_NS7_11hip_rocprim3tagENS7_11use_defaultESJ_EEEEPSB_SM_NS0_5tupleIJPSA_SM_EEENSN_IJSM_SM_EEESB_PlJ10is_orderedEEE10hipError_tPvRmT3_T4_T5_T6_T7_T9_mT8_P12ihipStream_tbDpT10_ENKUlT_T0_E_clISt17integral_constantIbLb1EES1C_EEDaS17_S18_EUlS17_E_NS1_11comp_targetILNS1_3genE4ELNS1_11target_archE910ELNS1_3gpuE8ELNS1_3repE0EEENS1_30default_config_static_selectorELNS0_4arch9wavefront6targetE1EEEvT1_
    .private_segment_fixed_size: 0
    .sgpr_count:     6
    .sgpr_spill_count: 0
    .symbol:         _ZN7rocprim17ROCPRIM_400000_NS6detail17trampoline_kernelINS0_14default_configENS1_25partition_config_selectorILNS1_17partition_subalgoE3EN6thrust23THRUST_200600_302600_NS5tupleIssNS7_9null_typeES9_S9_S9_S9_S9_S9_S9_EENS0_10empty_typeEbEEZZNS1_14partition_implILS5_3ELb0ES3_jNS7_6detail15normal_iteratorINS7_7pointerISA_NS7_11hip_rocprim3tagENS7_11use_defaultESJ_EEEEPSB_SM_NS0_5tupleIJPSA_SM_EEENSN_IJSM_SM_EEESB_PlJ10is_orderedEEE10hipError_tPvRmT3_T4_T5_T6_T7_T9_mT8_P12ihipStream_tbDpT10_ENKUlT_T0_E_clISt17integral_constantIbLb1EES1C_EEDaS17_S18_EUlS17_E_NS1_11comp_targetILNS1_3genE4ELNS1_11target_archE910ELNS1_3gpuE8ELNS1_3repE0EEENS1_30default_config_static_selectorELNS0_4arch9wavefront6targetE1EEEvT1_.kd
    .uniform_work_group_size: 1
    .uses_dynamic_stack: false
    .vgpr_count:     0
    .vgpr_spill_count: 0
    .wavefront_size: 64
  - .agpr_count:     0
    .args:
      - .offset:         0
        .size:           136
        .value_kind:     by_value
    .group_segment_fixed_size: 0
    .kernarg_segment_align: 8
    .kernarg_segment_size: 136
    .language:       OpenCL C
    .language_version:
      - 2
      - 0
    .max_flat_workgroup_size: 256
    .name:           _ZN7rocprim17ROCPRIM_400000_NS6detail17trampoline_kernelINS0_14default_configENS1_25partition_config_selectorILNS1_17partition_subalgoE3EN6thrust23THRUST_200600_302600_NS5tupleIssNS7_9null_typeES9_S9_S9_S9_S9_S9_S9_EENS0_10empty_typeEbEEZZNS1_14partition_implILS5_3ELb0ES3_jNS7_6detail15normal_iteratorINS7_7pointerISA_NS7_11hip_rocprim3tagENS7_11use_defaultESJ_EEEEPSB_SM_NS0_5tupleIJPSA_SM_EEENSN_IJSM_SM_EEESB_PlJ10is_orderedEEE10hipError_tPvRmT3_T4_T5_T6_T7_T9_mT8_P12ihipStream_tbDpT10_ENKUlT_T0_E_clISt17integral_constantIbLb1EES1C_EEDaS17_S18_EUlS17_E_NS1_11comp_targetILNS1_3genE3ELNS1_11target_archE908ELNS1_3gpuE7ELNS1_3repE0EEENS1_30default_config_static_selectorELNS0_4arch9wavefront6targetE1EEEvT1_
    .private_segment_fixed_size: 0
    .sgpr_count:     6
    .sgpr_spill_count: 0
    .symbol:         _ZN7rocprim17ROCPRIM_400000_NS6detail17trampoline_kernelINS0_14default_configENS1_25partition_config_selectorILNS1_17partition_subalgoE3EN6thrust23THRUST_200600_302600_NS5tupleIssNS7_9null_typeES9_S9_S9_S9_S9_S9_S9_EENS0_10empty_typeEbEEZZNS1_14partition_implILS5_3ELb0ES3_jNS7_6detail15normal_iteratorINS7_7pointerISA_NS7_11hip_rocprim3tagENS7_11use_defaultESJ_EEEEPSB_SM_NS0_5tupleIJPSA_SM_EEENSN_IJSM_SM_EEESB_PlJ10is_orderedEEE10hipError_tPvRmT3_T4_T5_T6_T7_T9_mT8_P12ihipStream_tbDpT10_ENKUlT_T0_E_clISt17integral_constantIbLb1EES1C_EEDaS17_S18_EUlS17_E_NS1_11comp_targetILNS1_3genE3ELNS1_11target_archE908ELNS1_3gpuE7ELNS1_3repE0EEENS1_30default_config_static_selectorELNS0_4arch9wavefront6targetE1EEEvT1_.kd
    .uniform_work_group_size: 1
    .uses_dynamic_stack: false
    .vgpr_count:     0
    .vgpr_spill_count: 0
    .wavefront_size: 64
  - .agpr_count:     0
    .args:
      - .offset:         0
        .size:           136
        .value_kind:     by_value
    .group_segment_fixed_size: 0
    .kernarg_segment_align: 8
    .kernarg_segment_size: 136
    .language:       OpenCL C
    .language_version:
      - 2
      - 0
    .max_flat_workgroup_size: 192
    .name:           _ZN7rocprim17ROCPRIM_400000_NS6detail17trampoline_kernelINS0_14default_configENS1_25partition_config_selectorILNS1_17partition_subalgoE3EN6thrust23THRUST_200600_302600_NS5tupleIssNS7_9null_typeES9_S9_S9_S9_S9_S9_S9_EENS0_10empty_typeEbEEZZNS1_14partition_implILS5_3ELb0ES3_jNS7_6detail15normal_iteratorINS7_7pointerISA_NS7_11hip_rocprim3tagENS7_11use_defaultESJ_EEEEPSB_SM_NS0_5tupleIJPSA_SM_EEENSN_IJSM_SM_EEESB_PlJ10is_orderedEEE10hipError_tPvRmT3_T4_T5_T6_T7_T9_mT8_P12ihipStream_tbDpT10_ENKUlT_T0_E_clISt17integral_constantIbLb1EES1C_EEDaS17_S18_EUlS17_E_NS1_11comp_targetILNS1_3genE2ELNS1_11target_archE906ELNS1_3gpuE6ELNS1_3repE0EEENS1_30default_config_static_selectorELNS0_4arch9wavefront6targetE1EEEvT1_
    .private_segment_fixed_size: 0
    .sgpr_count:     6
    .sgpr_spill_count: 0
    .symbol:         _ZN7rocprim17ROCPRIM_400000_NS6detail17trampoline_kernelINS0_14default_configENS1_25partition_config_selectorILNS1_17partition_subalgoE3EN6thrust23THRUST_200600_302600_NS5tupleIssNS7_9null_typeES9_S9_S9_S9_S9_S9_S9_EENS0_10empty_typeEbEEZZNS1_14partition_implILS5_3ELb0ES3_jNS7_6detail15normal_iteratorINS7_7pointerISA_NS7_11hip_rocprim3tagENS7_11use_defaultESJ_EEEEPSB_SM_NS0_5tupleIJPSA_SM_EEENSN_IJSM_SM_EEESB_PlJ10is_orderedEEE10hipError_tPvRmT3_T4_T5_T6_T7_T9_mT8_P12ihipStream_tbDpT10_ENKUlT_T0_E_clISt17integral_constantIbLb1EES1C_EEDaS17_S18_EUlS17_E_NS1_11comp_targetILNS1_3genE2ELNS1_11target_archE906ELNS1_3gpuE6ELNS1_3repE0EEENS1_30default_config_static_selectorELNS0_4arch9wavefront6targetE1EEEvT1_.kd
    .uniform_work_group_size: 1
    .uses_dynamic_stack: false
    .vgpr_count:     0
    .vgpr_spill_count: 0
    .wavefront_size: 64
  - .agpr_count:     0
    .args:
      - .offset:         0
        .size:           136
        .value_kind:     by_value
    .group_segment_fixed_size: 0
    .kernarg_segment_align: 8
    .kernarg_segment_size: 136
    .language:       OpenCL C
    .language_version:
      - 2
      - 0
    .max_flat_workgroup_size: 384
    .name:           _ZN7rocprim17ROCPRIM_400000_NS6detail17trampoline_kernelINS0_14default_configENS1_25partition_config_selectorILNS1_17partition_subalgoE3EN6thrust23THRUST_200600_302600_NS5tupleIssNS7_9null_typeES9_S9_S9_S9_S9_S9_S9_EENS0_10empty_typeEbEEZZNS1_14partition_implILS5_3ELb0ES3_jNS7_6detail15normal_iteratorINS7_7pointerISA_NS7_11hip_rocprim3tagENS7_11use_defaultESJ_EEEEPSB_SM_NS0_5tupleIJPSA_SM_EEENSN_IJSM_SM_EEESB_PlJ10is_orderedEEE10hipError_tPvRmT3_T4_T5_T6_T7_T9_mT8_P12ihipStream_tbDpT10_ENKUlT_T0_E_clISt17integral_constantIbLb1EES1C_EEDaS17_S18_EUlS17_E_NS1_11comp_targetILNS1_3genE10ELNS1_11target_archE1200ELNS1_3gpuE4ELNS1_3repE0EEENS1_30default_config_static_selectorELNS0_4arch9wavefront6targetE1EEEvT1_
    .private_segment_fixed_size: 0
    .sgpr_count:     6
    .sgpr_spill_count: 0
    .symbol:         _ZN7rocprim17ROCPRIM_400000_NS6detail17trampoline_kernelINS0_14default_configENS1_25partition_config_selectorILNS1_17partition_subalgoE3EN6thrust23THRUST_200600_302600_NS5tupleIssNS7_9null_typeES9_S9_S9_S9_S9_S9_S9_EENS0_10empty_typeEbEEZZNS1_14partition_implILS5_3ELb0ES3_jNS7_6detail15normal_iteratorINS7_7pointerISA_NS7_11hip_rocprim3tagENS7_11use_defaultESJ_EEEEPSB_SM_NS0_5tupleIJPSA_SM_EEENSN_IJSM_SM_EEESB_PlJ10is_orderedEEE10hipError_tPvRmT3_T4_T5_T6_T7_T9_mT8_P12ihipStream_tbDpT10_ENKUlT_T0_E_clISt17integral_constantIbLb1EES1C_EEDaS17_S18_EUlS17_E_NS1_11comp_targetILNS1_3genE10ELNS1_11target_archE1200ELNS1_3gpuE4ELNS1_3repE0EEENS1_30default_config_static_selectorELNS0_4arch9wavefront6targetE1EEEvT1_.kd
    .uniform_work_group_size: 1
    .uses_dynamic_stack: false
    .vgpr_count:     0
    .vgpr_spill_count: 0
    .wavefront_size: 64
  - .agpr_count:     0
    .args:
      - .offset:         0
        .size:           136
        .value_kind:     by_value
    .group_segment_fixed_size: 0
    .kernarg_segment_align: 8
    .kernarg_segment_size: 136
    .language:       OpenCL C
    .language_version:
      - 2
      - 0
    .max_flat_workgroup_size: 384
    .name:           _ZN7rocprim17ROCPRIM_400000_NS6detail17trampoline_kernelINS0_14default_configENS1_25partition_config_selectorILNS1_17partition_subalgoE3EN6thrust23THRUST_200600_302600_NS5tupleIssNS7_9null_typeES9_S9_S9_S9_S9_S9_S9_EENS0_10empty_typeEbEEZZNS1_14partition_implILS5_3ELb0ES3_jNS7_6detail15normal_iteratorINS7_7pointerISA_NS7_11hip_rocprim3tagENS7_11use_defaultESJ_EEEEPSB_SM_NS0_5tupleIJPSA_SM_EEENSN_IJSM_SM_EEESB_PlJ10is_orderedEEE10hipError_tPvRmT3_T4_T5_T6_T7_T9_mT8_P12ihipStream_tbDpT10_ENKUlT_T0_E_clISt17integral_constantIbLb1EES1C_EEDaS17_S18_EUlS17_E_NS1_11comp_targetILNS1_3genE9ELNS1_11target_archE1100ELNS1_3gpuE3ELNS1_3repE0EEENS1_30default_config_static_selectorELNS0_4arch9wavefront6targetE1EEEvT1_
    .private_segment_fixed_size: 0
    .sgpr_count:     6
    .sgpr_spill_count: 0
    .symbol:         _ZN7rocprim17ROCPRIM_400000_NS6detail17trampoline_kernelINS0_14default_configENS1_25partition_config_selectorILNS1_17partition_subalgoE3EN6thrust23THRUST_200600_302600_NS5tupleIssNS7_9null_typeES9_S9_S9_S9_S9_S9_S9_EENS0_10empty_typeEbEEZZNS1_14partition_implILS5_3ELb0ES3_jNS7_6detail15normal_iteratorINS7_7pointerISA_NS7_11hip_rocprim3tagENS7_11use_defaultESJ_EEEEPSB_SM_NS0_5tupleIJPSA_SM_EEENSN_IJSM_SM_EEESB_PlJ10is_orderedEEE10hipError_tPvRmT3_T4_T5_T6_T7_T9_mT8_P12ihipStream_tbDpT10_ENKUlT_T0_E_clISt17integral_constantIbLb1EES1C_EEDaS17_S18_EUlS17_E_NS1_11comp_targetILNS1_3genE9ELNS1_11target_archE1100ELNS1_3gpuE3ELNS1_3repE0EEENS1_30default_config_static_selectorELNS0_4arch9wavefront6targetE1EEEvT1_.kd
    .uniform_work_group_size: 1
    .uses_dynamic_stack: false
    .vgpr_count:     0
    .vgpr_spill_count: 0
    .wavefront_size: 64
  - .agpr_count:     0
    .args:
      - .offset:         0
        .size:           136
        .value_kind:     by_value
    .group_segment_fixed_size: 0
    .kernarg_segment_align: 8
    .kernarg_segment_size: 136
    .language:       OpenCL C
    .language_version:
      - 2
      - 0
    .max_flat_workgroup_size: 512
    .name:           _ZN7rocprim17ROCPRIM_400000_NS6detail17trampoline_kernelINS0_14default_configENS1_25partition_config_selectorILNS1_17partition_subalgoE3EN6thrust23THRUST_200600_302600_NS5tupleIssNS7_9null_typeES9_S9_S9_S9_S9_S9_S9_EENS0_10empty_typeEbEEZZNS1_14partition_implILS5_3ELb0ES3_jNS7_6detail15normal_iteratorINS7_7pointerISA_NS7_11hip_rocprim3tagENS7_11use_defaultESJ_EEEEPSB_SM_NS0_5tupleIJPSA_SM_EEENSN_IJSM_SM_EEESB_PlJ10is_orderedEEE10hipError_tPvRmT3_T4_T5_T6_T7_T9_mT8_P12ihipStream_tbDpT10_ENKUlT_T0_E_clISt17integral_constantIbLb1EES1C_EEDaS17_S18_EUlS17_E_NS1_11comp_targetILNS1_3genE8ELNS1_11target_archE1030ELNS1_3gpuE2ELNS1_3repE0EEENS1_30default_config_static_selectorELNS0_4arch9wavefront6targetE1EEEvT1_
    .private_segment_fixed_size: 0
    .sgpr_count:     6
    .sgpr_spill_count: 0
    .symbol:         _ZN7rocprim17ROCPRIM_400000_NS6detail17trampoline_kernelINS0_14default_configENS1_25partition_config_selectorILNS1_17partition_subalgoE3EN6thrust23THRUST_200600_302600_NS5tupleIssNS7_9null_typeES9_S9_S9_S9_S9_S9_S9_EENS0_10empty_typeEbEEZZNS1_14partition_implILS5_3ELb0ES3_jNS7_6detail15normal_iteratorINS7_7pointerISA_NS7_11hip_rocprim3tagENS7_11use_defaultESJ_EEEEPSB_SM_NS0_5tupleIJPSA_SM_EEENSN_IJSM_SM_EEESB_PlJ10is_orderedEEE10hipError_tPvRmT3_T4_T5_T6_T7_T9_mT8_P12ihipStream_tbDpT10_ENKUlT_T0_E_clISt17integral_constantIbLb1EES1C_EEDaS17_S18_EUlS17_E_NS1_11comp_targetILNS1_3genE8ELNS1_11target_archE1030ELNS1_3gpuE2ELNS1_3repE0EEENS1_30default_config_static_selectorELNS0_4arch9wavefront6targetE1EEEvT1_.kd
    .uniform_work_group_size: 1
    .uses_dynamic_stack: false
    .vgpr_count:     0
    .vgpr_spill_count: 0
    .wavefront_size: 64
  - .agpr_count:     0
    .args:
      - .offset:         0
        .size:           120
        .value_kind:     by_value
    .group_segment_fixed_size: 0
    .kernarg_segment_align: 8
    .kernarg_segment_size: 120
    .language:       OpenCL C
    .language_version:
      - 2
      - 0
    .max_flat_workgroup_size: 256
    .name:           _ZN7rocprim17ROCPRIM_400000_NS6detail17trampoline_kernelINS0_14default_configENS1_25partition_config_selectorILNS1_17partition_subalgoE3EN6thrust23THRUST_200600_302600_NS5tupleIssNS7_9null_typeES9_S9_S9_S9_S9_S9_S9_EENS0_10empty_typeEbEEZZNS1_14partition_implILS5_3ELb0ES3_jNS7_6detail15normal_iteratorINS7_7pointerISA_NS7_11hip_rocprim3tagENS7_11use_defaultESJ_EEEEPSB_SM_NS0_5tupleIJPSA_SM_EEENSN_IJSM_SM_EEESB_PlJ10is_orderedEEE10hipError_tPvRmT3_T4_T5_T6_T7_T9_mT8_P12ihipStream_tbDpT10_ENKUlT_T0_E_clISt17integral_constantIbLb1EES1B_IbLb0EEEEDaS17_S18_EUlS17_E_NS1_11comp_targetILNS1_3genE0ELNS1_11target_archE4294967295ELNS1_3gpuE0ELNS1_3repE0EEENS1_30default_config_static_selectorELNS0_4arch9wavefront6targetE1EEEvT1_
    .private_segment_fixed_size: 0
    .sgpr_count:     6
    .sgpr_spill_count: 0
    .symbol:         _ZN7rocprim17ROCPRIM_400000_NS6detail17trampoline_kernelINS0_14default_configENS1_25partition_config_selectorILNS1_17partition_subalgoE3EN6thrust23THRUST_200600_302600_NS5tupleIssNS7_9null_typeES9_S9_S9_S9_S9_S9_S9_EENS0_10empty_typeEbEEZZNS1_14partition_implILS5_3ELb0ES3_jNS7_6detail15normal_iteratorINS7_7pointerISA_NS7_11hip_rocprim3tagENS7_11use_defaultESJ_EEEEPSB_SM_NS0_5tupleIJPSA_SM_EEENSN_IJSM_SM_EEESB_PlJ10is_orderedEEE10hipError_tPvRmT3_T4_T5_T6_T7_T9_mT8_P12ihipStream_tbDpT10_ENKUlT_T0_E_clISt17integral_constantIbLb1EES1B_IbLb0EEEEDaS17_S18_EUlS17_E_NS1_11comp_targetILNS1_3genE0ELNS1_11target_archE4294967295ELNS1_3gpuE0ELNS1_3repE0EEENS1_30default_config_static_selectorELNS0_4arch9wavefront6targetE1EEEvT1_.kd
    .uniform_work_group_size: 1
    .uses_dynamic_stack: false
    .vgpr_count:     0
    .vgpr_spill_count: 0
    .wavefront_size: 64
  - .agpr_count:     0
    .args:
      - .offset:         0
        .size:           120
        .value_kind:     by_value
    .group_segment_fixed_size: 30728
    .kernarg_segment_align: 8
    .kernarg_segment_size: 120
    .language:       OpenCL C
    .language_version:
      - 2
      - 0
    .max_flat_workgroup_size: 512
    .name:           _ZN7rocprim17ROCPRIM_400000_NS6detail17trampoline_kernelINS0_14default_configENS1_25partition_config_selectorILNS1_17partition_subalgoE3EN6thrust23THRUST_200600_302600_NS5tupleIssNS7_9null_typeES9_S9_S9_S9_S9_S9_S9_EENS0_10empty_typeEbEEZZNS1_14partition_implILS5_3ELb0ES3_jNS7_6detail15normal_iteratorINS7_7pointerISA_NS7_11hip_rocprim3tagENS7_11use_defaultESJ_EEEEPSB_SM_NS0_5tupleIJPSA_SM_EEENSN_IJSM_SM_EEESB_PlJ10is_orderedEEE10hipError_tPvRmT3_T4_T5_T6_T7_T9_mT8_P12ihipStream_tbDpT10_ENKUlT_T0_E_clISt17integral_constantIbLb1EES1B_IbLb0EEEEDaS17_S18_EUlS17_E_NS1_11comp_targetILNS1_3genE5ELNS1_11target_archE942ELNS1_3gpuE9ELNS1_3repE0EEENS1_30default_config_static_selectorELNS0_4arch9wavefront6targetE1EEEvT1_
    .private_segment_fixed_size: 0
    .sgpr_count:     56
    .sgpr_spill_count: 0
    .symbol:         _ZN7rocprim17ROCPRIM_400000_NS6detail17trampoline_kernelINS0_14default_configENS1_25partition_config_selectorILNS1_17partition_subalgoE3EN6thrust23THRUST_200600_302600_NS5tupleIssNS7_9null_typeES9_S9_S9_S9_S9_S9_S9_EENS0_10empty_typeEbEEZZNS1_14partition_implILS5_3ELb0ES3_jNS7_6detail15normal_iteratorINS7_7pointerISA_NS7_11hip_rocprim3tagENS7_11use_defaultESJ_EEEEPSB_SM_NS0_5tupleIJPSA_SM_EEENSN_IJSM_SM_EEESB_PlJ10is_orderedEEE10hipError_tPvRmT3_T4_T5_T6_T7_T9_mT8_P12ihipStream_tbDpT10_ENKUlT_T0_E_clISt17integral_constantIbLb1EES1B_IbLb0EEEEDaS17_S18_EUlS17_E_NS1_11comp_targetILNS1_3genE5ELNS1_11target_archE942ELNS1_3gpuE9ELNS1_3repE0EEENS1_30default_config_static_selectorELNS0_4arch9wavefront6targetE1EEEvT1_.kd
    .uniform_work_group_size: 1
    .uses_dynamic_stack: false
    .vgpr_count:     67
    .vgpr_spill_count: 0
    .wavefront_size: 64
  - .agpr_count:     0
    .args:
      - .offset:         0
        .size:           120
        .value_kind:     by_value
    .group_segment_fixed_size: 0
    .kernarg_segment_align: 8
    .kernarg_segment_size: 120
    .language:       OpenCL C
    .language_version:
      - 2
      - 0
    .max_flat_workgroup_size: 256
    .name:           _ZN7rocprim17ROCPRIM_400000_NS6detail17trampoline_kernelINS0_14default_configENS1_25partition_config_selectorILNS1_17partition_subalgoE3EN6thrust23THRUST_200600_302600_NS5tupleIssNS7_9null_typeES9_S9_S9_S9_S9_S9_S9_EENS0_10empty_typeEbEEZZNS1_14partition_implILS5_3ELb0ES3_jNS7_6detail15normal_iteratorINS7_7pointerISA_NS7_11hip_rocprim3tagENS7_11use_defaultESJ_EEEEPSB_SM_NS0_5tupleIJPSA_SM_EEENSN_IJSM_SM_EEESB_PlJ10is_orderedEEE10hipError_tPvRmT3_T4_T5_T6_T7_T9_mT8_P12ihipStream_tbDpT10_ENKUlT_T0_E_clISt17integral_constantIbLb1EES1B_IbLb0EEEEDaS17_S18_EUlS17_E_NS1_11comp_targetILNS1_3genE4ELNS1_11target_archE910ELNS1_3gpuE8ELNS1_3repE0EEENS1_30default_config_static_selectorELNS0_4arch9wavefront6targetE1EEEvT1_
    .private_segment_fixed_size: 0
    .sgpr_count:     6
    .sgpr_spill_count: 0
    .symbol:         _ZN7rocprim17ROCPRIM_400000_NS6detail17trampoline_kernelINS0_14default_configENS1_25partition_config_selectorILNS1_17partition_subalgoE3EN6thrust23THRUST_200600_302600_NS5tupleIssNS7_9null_typeES9_S9_S9_S9_S9_S9_S9_EENS0_10empty_typeEbEEZZNS1_14partition_implILS5_3ELb0ES3_jNS7_6detail15normal_iteratorINS7_7pointerISA_NS7_11hip_rocprim3tagENS7_11use_defaultESJ_EEEEPSB_SM_NS0_5tupleIJPSA_SM_EEENSN_IJSM_SM_EEESB_PlJ10is_orderedEEE10hipError_tPvRmT3_T4_T5_T6_T7_T9_mT8_P12ihipStream_tbDpT10_ENKUlT_T0_E_clISt17integral_constantIbLb1EES1B_IbLb0EEEEDaS17_S18_EUlS17_E_NS1_11comp_targetILNS1_3genE4ELNS1_11target_archE910ELNS1_3gpuE8ELNS1_3repE0EEENS1_30default_config_static_selectorELNS0_4arch9wavefront6targetE1EEEvT1_.kd
    .uniform_work_group_size: 1
    .uses_dynamic_stack: false
    .vgpr_count:     0
    .vgpr_spill_count: 0
    .wavefront_size: 64
  - .agpr_count:     0
    .args:
      - .offset:         0
        .size:           120
        .value_kind:     by_value
    .group_segment_fixed_size: 0
    .kernarg_segment_align: 8
    .kernarg_segment_size: 120
    .language:       OpenCL C
    .language_version:
      - 2
      - 0
    .max_flat_workgroup_size: 256
    .name:           _ZN7rocprim17ROCPRIM_400000_NS6detail17trampoline_kernelINS0_14default_configENS1_25partition_config_selectorILNS1_17partition_subalgoE3EN6thrust23THRUST_200600_302600_NS5tupleIssNS7_9null_typeES9_S9_S9_S9_S9_S9_S9_EENS0_10empty_typeEbEEZZNS1_14partition_implILS5_3ELb0ES3_jNS7_6detail15normal_iteratorINS7_7pointerISA_NS7_11hip_rocprim3tagENS7_11use_defaultESJ_EEEEPSB_SM_NS0_5tupleIJPSA_SM_EEENSN_IJSM_SM_EEESB_PlJ10is_orderedEEE10hipError_tPvRmT3_T4_T5_T6_T7_T9_mT8_P12ihipStream_tbDpT10_ENKUlT_T0_E_clISt17integral_constantIbLb1EES1B_IbLb0EEEEDaS17_S18_EUlS17_E_NS1_11comp_targetILNS1_3genE3ELNS1_11target_archE908ELNS1_3gpuE7ELNS1_3repE0EEENS1_30default_config_static_selectorELNS0_4arch9wavefront6targetE1EEEvT1_
    .private_segment_fixed_size: 0
    .sgpr_count:     6
    .sgpr_spill_count: 0
    .symbol:         _ZN7rocprim17ROCPRIM_400000_NS6detail17trampoline_kernelINS0_14default_configENS1_25partition_config_selectorILNS1_17partition_subalgoE3EN6thrust23THRUST_200600_302600_NS5tupleIssNS7_9null_typeES9_S9_S9_S9_S9_S9_S9_EENS0_10empty_typeEbEEZZNS1_14partition_implILS5_3ELb0ES3_jNS7_6detail15normal_iteratorINS7_7pointerISA_NS7_11hip_rocprim3tagENS7_11use_defaultESJ_EEEEPSB_SM_NS0_5tupleIJPSA_SM_EEENSN_IJSM_SM_EEESB_PlJ10is_orderedEEE10hipError_tPvRmT3_T4_T5_T6_T7_T9_mT8_P12ihipStream_tbDpT10_ENKUlT_T0_E_clISt17integral_constantIbLb1EES1B_IbLb0EEEEDaS17_S18_EUlS17_E_NS1_11comp_targetILNS1_3genE3ELNS1_11target_archE908ELNS1_3gpuE7ELNS1_3repE0EEENS1_30default_config_static_selectorELNS0_4arch9wavefront6targetE1EEEvT1_.kd
    .uniform_work_group_size: 1
    .uses_dynamic_stack: false
    .vgpr_count:     0
    .vgpr_spill_count: 0
    .wavefront_size: 64
  - .agpr_count:     0
    .args:
      - .offset:         0
        .size:           120
        .value_kind:     by_value
    .group_segment_fixed_size: 0
    .kernarg_segment_align: 8
    .kernarg_segment_size: 120
    .language:       OpenCL C
    .language_version:
      - 2
      - 0
    .max_flat_workgroup_size: 192
    .name:           _ZN7rocprim17ROCPRIM_400000_NS6detail17trampoline_kernelINS0_14default_configENS1_25partition_config_selectorILNS1_17partition_subalgoE3EN6thrust23THRUST_200600_302600_NS5tupleIssNS7_9null_typeES9_S9_S9_S9_S9_S9_S9_EENS0_10empty_typeEbEEZZNS1_14partition_implILS5_3ELb0ES3_jNS7_6detail15normal_iteratorINS7_7pointerISA_NS7_11hip_rocprim3tagENS7_11use_defaultESJ_EEEEPSB_SM_NS0_5tupleIJPSA_SM_EEENSN_IJSM_SM_EEESB_PlJ10is_orderedEEE10hipError_tPvRmT3_T4_T5_T6_T7_T9_mT8_P12ihipStream_tbDpT10_ENKUlT_T0_E_clISt17integral_constantIbLb1EES1B_IbLb0EEEEDaS17_S18_EUlS17_E_NS1_11comp_targetILNS1_3genE2ELNS1_11target_archE906ELNS1_3gpuE6ELNS1_3repE0EEENS1_30default_config_static_selectorELNS0_4arch9wavefront6targetE1EEEvT1_
    .private_segment_fixed_size: 0
    .sgpr_count:     6
    .sgpr_spill_count: 0
    .symbol:         _ZN7rocprim17ROCPRIM_400000_NS6detail17trampoline_kernelINS0_14default_configENS1_25partition_config_selectorILNS1_17partition_subalgoE3EN6thrust23THRUST_200600_302600_NS5tupleIssNS7_9null_typeES9_S9_S9_S9_S9_S9_S9_EENS0_10empty_typeEbEEZZNS1_14partition_implILS5_3ELb0ES3_jNS7_6detail15normal_iteratorINS7_7pointerISA_NS7_11hip_rocprim3tagENS7_11use_defaultESJ_EEEEPSB_SM_NS0_5tupleIJPSA_SM_EEENSN_IJSM_SM_EEESB_PlJ10is_orderedEEE10hipError_tPvRmT3_T4_T5_T6_T7_T9_mT8_P12ihipStream_tbDpT10_ENKUlT_T0_E_clISt17integral_constantIbLb1EES1B_IbLb0EEEEDaS17_S18_EUlS17_E_NS1_11comp_targetILNS1_3genE2ELNS1_11target_archE906ELNS1_3gpuE6ELNS1_3repE0EEENS1_30default_config_static_selectorELNS0_4arch9wavefront6targetE1EEEvT1_.kd
    .uniform_work_group_size: 1
    .uses_dynamic_stack: false
    .vgpr_count:     0
    .vgpr_spill_count: 0
    .wavefront_size: 64
  - .agpr_count:     0
    .args:
      - .offset:         0
        .size:           120
        .value_kind:     by_value
    .group_segment_fixed_size: 0
    .kernarg_segment_align: 8
    .kernarg_segment_size: 120
    .language:       OpenCL C
    .language_version:
      - 2
      - 0
    .max_flat_workgroup_size: 384
    .name:           _ZN7rocprim17ROCPRIM_400000_NS6detail17trampoline_kernelINS0_14default_configENS1_25partition_config_selectorILNS1_17partition_subalgoE3EN6thrust23THRUST_200600_302600_NS5tupleIssNS7_9null_typeES9_S9_S9_S9_S9_S9_S9_EENS0_10empty_typeEbEEZZNS1_14partition_implILS5_3ELb0ES3_jNS7_6detail15normal_iteratorINS7_7pointerISA_NS7_11hip_rocprim3tagENS7_11use_defaultESJ_EEEEPSB_SM_NS0_5tupleIJPSA_SM_EEENSN_IJSM_SM_EEESB_PlJ10is_orderedEEE10hipError_tPvRmT3_T4_T5_T6_T7_T9_mT8_P12ihipStream_tbDpT10_ENKUlT_T0_E_clISt17integral_constantIbLb1EES1B_IbLb0EEEEDaS17_S18_EUlS17_E_NS1_11comp_targetILNS1_3genE10ELNS1_11target_archE1200ELNS1_3gpuE4ELNS1_3repE0EEENS1_30default_config_static_selectorELNS0_4arch9wavefront6targetE1EEEvT1_
    .private_segment_fixed_size: 0
    .sgpr_count:     6
    .sgpr_spill_count: 0
    .symbol:         _ZN7rocprim17ROCPRIM_400000_NS6detail17trampoline_kernelINS0_14default_configENS1_25partition_config_selectorILNS1_17partition_subalgoE3EN6thrust23THRUST_200600_302600_NS5tupleIssNS7_9null_typeES9_S9_S9_S9_S9_S9_S9_EENS0_10empty_typeEbEEZZNS1_14partition_implILS5_3ELb0ES3_jNS7_6detail15normal_iteratorINS7_7pointerISA_NS7_11hip_rocprim3tagENS7_11use_defaultESJ_EEEEPSB_SM_NS0_5tupleIJPSA_SM_EEENSN_IJSM_SM_EEESB_PlJ10is_orderedEEE10hipError_tPvRmT3_T4_T5_T6_T7_T9_mT8_P12ihipStream_tbDpT10_ENKUlT_T0_E_clISt17integral_constantIbLb1EES1B_IbLb0EEEEDaS17_S18_EUlS17_E_NS1_11comp_targetILNS1_3genE10ELNS1_11target_archE1200ELNS1_3gpuE4ELNS1_3repE0EEENS1_30default_config_static_selectorELNS0_4arch9wavefront6targetE1EEEvT1_.kd
    .uniform_work_group_size: 1
    .uses_dynamic_stack: false
    .vgpr_count:     0
    .vgpr_spill_count: 0
    .wavefront_size: 64
  - .agpr_count:     0
    .args:
      - .offset:         0
        .size:           120
        .value_kind:     by_value
    .group_segment_fixed_size: 0
    .kernarg_segment_align: 8
    .kernarg_segment_size: 120
    .language:       OpenCL C
    .language_version:
      - 2
      - 0
    .max_flat_workgroup_size: 384
    .name:           _ZN7rocprim17ROCPRIM_400000_NS6detail17trampoline_kernelINS0_14default_configENS1_25partition_config_selectorILNS1_17partition_subalgoE3EN6thrust23THRUST_200600_302600_NS5tupleIssNS7_9null_typeES9_S9_S9_S9_S9_S9_S9_EENS0_10empty_typeEbEEZZNS1_14partition_implILS5_3ELb0ES3_jNS7_6detail15normal_iteratorINS7_7pointerISA_NS7_11hip_rocprim3tagENS7_11use_defaultESJ_EEEEPSB_SM_NS0_5tupleIJPSA_SM_EEENSN_IJSM_SM_EEESB_PlJ10is_orderedEEE10hipError_tPvRmT3_T4_T5_T6_T7_T9_mT8_P12ihipStream_tbDpT10_ENKUlT_T0_E_clISt17integral_constantIbLb1EES1B_IbLb0EEEEDaS17_S18_EUlS17_E_NS1_11comp_targetILNS1_3genE9ELNS1_11target_archE1100ELNS1_3gpuE3ELNS1_3repE0EEENS1_30default_config_static_selectorELNS0_4arch9wavefront6targetE1EEEvT1_
    .private_segment_fixed_size: 0
    .sgpr_count:     6
    .sgpr_spill_count: 0
    .symbol:         _ZN7rocprim17ROCPRIM_400000_NS6detail17trampoline_kernelINS0_14default_configENS1_25partition_config_selectorILNS1_17partition_subalgoE3EN6thrust23THRUST_200600_302600_NS5tupleIssNS7_9null_typeES9_S9_S9_S9_S9_S9_S9_EENS0_10empty_typeEbEEZZNS1_14partition_implILS5_3ELb0ES3_jNS7_6detail15normal_iteratorINS7_7pointerISA_NS7_11hip_rocprim3tagENS7_11use_defaultESJ_EEEEPSB_SM_NS0_5tupleIJPSA_SM_EEENSN_IJSM_SM_EEESB_PlJ10is_orderedEEE10hipError_tPvRmT3_T4_T5_T6_T7_T9_mT8_P12ihipStream_tbDpT10_ENKUlT_T0_E_clISt17integral_constantIbLb1EES1B_IbLb0EEEEDaS17_S18_EUlS17_E_NS1_11comp_targetILNS1_3genE9ELNS1_11target_archE1100ELNS1_3gpuE3ELNS1_3repE0EEENS1_30default_config_static_selectorELNS0_4arch9wavefront6targetE1EEEvT1_.kd
    .uniform_work_group_size: 1
    .uses_dynamic_stack: false
    .vgpr_count:     0
    .vgpr_spill_count: 0
    .wavefront_size: 64
  - .agpr_count:     0
    .args:
      - .offset:         0
        .size:           120
        .value_kind:     by_value
    .group_segment_fixed_size: 0
    .kernarg_segment_align: 8
    .kernarg_segment_size: 120
    .language:       OpenCL C
    .language_version:
      - 2
      - 0
    .max_flat_workgroup_size: 512
    .name:           _ZN7rocprim17ROCPRIM_400000_NS6detail17trampoline_kernelINS0_14default_configENS1_25partition_config_selectorILNS1_17partition_subalgoE3EN6thrust23THRUST_200600_302600_NS5tupleIssNS7_9null_typeES9_S9_S9_S9_S9_S9_S9_EENS0_10empty_typeEbEEZZNS1_14partition_implILS5_3ELb0ES3_jNS7_6detail15normal_iteratorINS7_7pointerISA_NS7_11hip_rocprim3tagENS7_11use_defaultESJ_EEEEPSB_SM_NS0_5tupleIJPSA_SM_EEENSN_IJSM_SM_EEESB_PlJ10is_orderedEEE10hipError_tPvRmT3_T4_T5_T6_T7_T9_mT8_P12ihipStream_tbDpT10_ENKUlT_T0_E_clISt17integral_constantIbLb1EES1B_IbLb0EEEEDaS17_S18_EUlS17_E_NS1_11comp_targetILNS1_3genE8ELNS1_11target_archE1030ELNS1_3gpuE2ELNS1_3repE0EEENS1_30default_config_static_selectorELNS0_4arch9wavefront6targetE1EEEvT1_
    .private_segment_fixed_size: 0
    .sgpr_count:     6
    .sgpr_spill_count: 0
    .symbol:         _ZN7rocprim17ROCPRIM_400000_NS6detail17trampoline_kernelINS0_14default_configENS1_25partition_config_selectorILNS1_17partition_subalgoE3EN6thrust23THRUST_200600_302600_NS5tupleIssNS7_9null_typeES9_S9_S9_S9_S9_S9_S9_EENS0_10empty_typeEbEEZZNS1_14partition_implILS5_3ELb0ES3_jNS7_6detail15normal_iteratorINS7_7pointerISA_NS7_11hip_rocprim3tagENS7_11use_defaultESJ_EEEEPSB_SM_NS0_5tupleIJPSA_SM_EEENSN_IJSM_SM_EEESB_PlJ10is_orderedEEE10hipError_tPvRmT3_T4_T5_T6_T7_T9_mT8_P12ihipStream_tbDpT10_ENKUlT_T0_E_clISt17integral_constantIbLb1EES1B_IbLb0EEEEDaS17_S18_EUlS17_E_NS1_11comp_targetILNS1_3genE8ELNS1_11target_archE1030ELNS1_3gpuE2ELNS1_3repE0EEENS1_30default_config_static_selectorELNS0_4arch9wavefront6targetE1EEEvT1_.kd
    .uniform_work_group_size: 1
    .uses_dynamic_stack: false
    .vgpr_count:     0
    .vgpr_spill_count: 0
    .wavefront_size: 64
  - .agpr_count:     0
    .args:
      - .offset:         0
        .size:           136
        .value_kind:     by_value
    .group_segment_fixed_size: 0
    .kernarg_segment_align: 8
    .kernarg_segment_size: 136
    .language:       OpenCL C
    .language_version:
      - 2
      - 0
    .max_flat_workgroup_size: 256
    .name:           _ZN7rocprim17ROCPRIM_400000_NS6detail17trampoline_kernelINS0_14default_configENS1_25partition_config_selectorILNS1_17partition_subalgoE3EN6thrust23THRUST_200600_302600_NS5tupleIssNS7_9null_typeES9_S9_S9_S9_S9_S9_S9_EENS0_10empty_typeEbEEZZNS1_14partition_implILS5_3ELb0ES3_jNS7_6detail15normal_iteratorINS7_7pointerISA_NS7_11hip_rocprim3tagENS7_11use_defaultESJ_EEEEPSB_SM_NS0_5tupleIJPSA_SM_EEENSN_IJSM_SM_EEESB_PlJ10is_orderedEEE10hipError_tPvRmT3_T4_T5_T6_T7_T9_mT8_P12ihipStream_tbDpT10_ENKUlT_T0_E_clISt17integral_constantIbLb0EES1B_IbLb1EEEEDaS17_S18_EUlS17_E_NS1_11comp_targetILNS1_3genE0ELNS1_11target_archE4294967295ELNS1_3gpuE0ELNS1_3repE0EEENS1_30default_config_static_selectorELNS0_4arch9wavefront6targetE1EEEvT1_
    .private_segment_fixed_size: 0
    .sgpr_count:     6
    .sgpr_spill_count: 0
    .symbol:         _ZN7rocprim17ROCPRIM_400000_NS6detail17trampoline_kernelINS0_14default_configENS1_25partition_config_selectorILNS1_17partition_subalgoE3EN6thrust23THRUST_200600_302600_NS5tupleIssNS7_9null_typeES9_S9_S9_S9_S9_S9_S9_EENS0_10empty_typeEbEEZZNS1_14partition_implILS5_3ELb0ES3_jNS7_6detail15normal_iteratorINS7_7pointerISA_NS7_11hip_rocprim3tagENS7_11use_defaultESJ_EEEEPSB_SM_NS0_5tupleIJPSA_SM_EEENSN_IJSM_SM_EEESB_PlJ10is_orderedEEE10hipError_tPvRmT3_T4_T5_T6_T7_T9_mT8_P12ihipStream_tbDpT10_ENKUlT_T0_E_clISt17integral_constantIbLb0EES1B_IbLb1EEEEDaS17_S18_EUlS17_E_NS1_11comp_targetILNS1_3genE0ELNS1_11target_archE4294967295ELNS1_3gpuE0ELNS1_3repE0EEENS1_30default_config_static_selectorELNS0_4arch9wavefront6targetE1EEEvT1_.kd
    .uniform_work_group_size: 1
    .uses_dynamic_stack: false
    .vgpr_count:     0
    .vgpr_spill_count: 0
    .wavefront_size: 64
  - .agpr_count:     0
    .args:
      - .offset:         0
        .size:           136
        .value_kind:     by_value
    .group_segment_fixed_size: 30728
    .kernarg_segment_align: 8
    .kernarg_segment_size: 136
    .language:       OpenCL C
    .language_version:
      - 2
      - 0
    .max_flat_workgroup_size: 512
    .name:           _ZN7rocprim17ROCPRIM_400000_NS6detail17trampoline_kernelINS0_14default_configENS1_25partition_config_selectorILNS1_17partition_subalgoE3EN6thrust23THRUST_200600_302600_NS5tupleIssNS7_9null_typeES9_S9_S9_S9_S9_S9_S9_EENS0_10empty_typeEbEEZZNS1_14partition_implILS5_3ELb0ES3_jNS7_6detail15normal_iteratorINS7_7pointerISA_NS7_11hip_rocprim3tagENS7_11use_defaultESJ_EEEEPSB_SM_NS0_5tupleIJPSA_SM_EEENSN_IJSM_SM_EEESB_PlJ10is_orderedEEE10hipError_tPvRmT3_T4_T5_T6_T7_T9_mT8_P12ihipStream_tbDpT10_ENKUlT_T0_E_clISt17integral_constantIbLb0EES1B_IbLb1EEEEDaS17_S18_EUlS17_E_NS1_11comp_targetILNS1_3genE5ELNS1_11target_archE942ELNS1_3gpuE9ELNS1_3repE0EEENS1_30default_config_static_selectorELNS0_4arch9wavefront6targetE1EEEvT1_
    .private_segment_fixed_size: 0
    .sgpr_count:     55
    .sgpr_spill_count: 0
    .symbol:         _ZN7rocprim17ROCPRIM_400000_NS6detail17trampoline_kernelINS0_14default_configENS1_25partition_config_selectorILNS1_17partition_subalgoE3EN6thrust23THRUST_200600_302600_NS5tupleIssNS7_9null_typeES9_S9_S9_S9_S9_S9_S9_EENS0_10empty_typeEbEEZZNS1_14partition_implILS5_3ELb0ES3_jNS7_6detail15normal_iteratorINS7_7pointerISA_NS7_11hip_rocprim3tagENS7_11use_defaultESJ_EEEEPSB_SM_NS0_5tupleIJPSA_SM_EEENSN_IJSM_SM_EEESB_PlJ10is_orderedEEE10hipError_tPvRmT3_T4_T5_T6_T7_T9_mT8_P12ihipStream_tbDpT10_ENKUlT_T0_E_clISt17integral_constantIbLb0EES1B_IbLb1EEEEDaS17_S18_EUlS17_E_NS1_11comp_targetILNS1_3genE5ELNS1_11target_archE942ELNS1_3gpuE9ELNS1_3repE0EEENS1_30default_config_static_selectorELNS0_4arch9wavefront6targetE1EEEvT1_.kd
    .uniform_work_group_size: 1
    .uses_dynamic_stack: false
    .vgpr_count:     71
    .vgpr_spill_count: 0
    .wavefront_size: 64
  - .agpr_count:     0
    .args:
      - .offset:         0
        .size:           136
        .value_kind:     by_value
    .group_segment_fixed_size: 0
    .kernarg_segment_align: 8
    .kernarg_segment_size: 136
    .language:       OpenCL C
    .language_version:
      - 2
      - 0
    .max_flat_workgroup_size: 256
    .name:           _ZN7rocprim17ROCPRIM_400000_NS6detail17trampoline_kernelINS0_14default_configENS1_25partition_config_selectorILNS1_17partition_subalgoE3EN6thrust23THRUST_200600_302600_NS5tupleIssNS7_9null_typeES9_S9_S9_S9_S9_S9_S9_EENS0_10empty_typeEbEEZZNS1_14partition_implILS5_3ELb0ES3_jNS7_6detail15normal_iteratorINS7_7pointerISA_NS7_11hip_rocprim3tagENS7_11use_defaultESJ_EEEEPSB_SM_NS0_5tupleIJPSA_SM_EEENSN_IJSM_SM_EEESB_PlJ10is_orderedEEE10hipError_tPvRmT3_T4_T5_T6_T7_T9_mT8_P12ihipStream_tbDpT10_ENKUlT_T0_E_clISt17integral_constantIbLb0EES1B_IbLb1EEEEDaS17_S18_EUlS17_E_NS1_11comp_targetILNS1_3genE4ELNS1_11target_archE910ELNS1_3gpuE8ELNS1_3repE0EEENS1_30default_config_static_selectorELNS0_4arch9wavefront6targetE1EEEvT1_
    .private_segment_fixed_size: 0
    .sgpr_count:     6
    .sgpr_spill_count: 0
    .symbol:         _ZN7rocprim17ROCPRIM_400000_NS6detail17trampoline_kernelINS0_14default_configENS1_25partition_config_selectorILNS1_17partition_subalgoE3EN6thrust23THRUST_200600_302600_NS5tupleIssNS7_9null_typeES9_S9_S9_S9_S9_S9_S9_EENS0_10empty_typeEbEEZZNS1_14partition_implILS5_3ELb0ES3_jNS7_6detail15normal_iteratorINS7_7pointerISA_NS7_11hip_rocprim3tagENS7_11use_defaultESJ_EEEEPSB_SM_NS0_5tupleIJPSA_SM_EEENSN_IJSM_SM_EEESB_PlJ10is_orderedEEE10hipError_tPvRmT3_T4_T5_T6_T7_T9_mT8_P12ihipStream_tbDpT10_ENKUlT_T0_E_clISt17integral_constantIbLb0EES1B_IbLb1EEEEDaS17_S18_EUlS17_E_NS1_11comp_targetILNS1_3genE4ELNS1_11target_archE910ELNS1_3gpuE8ELNS1_3repE0EEENS1_30default_config_static_selectorELNS0_4arch9wavefront6targetE1EEEvT1_.kd
    .uniform_work_group_size: 1
    .uses_dynamic_stack: false
    .vgpr_count:     0
    .vgpr_spill_count: 0
    .wavefront_size: 64
  - .agpr_count:     0
    .args:
      - .offset:         0
        .size:           136
        .value_kind:     by_value
    .group_segment_fixed_size: 0
    .kernarg_segment_align: 8
    .kernarg_segment_size: 136
    .language:       OpenCL C
    .language_version:
      - 2
      - 0
    .max_flat_workgroup_size: 256
    .name:           _ZN7rocprim17ROCPRIM_400000_NS6detail17trampoline_kernelINS0_14default_configENS1_25partition_config_selectorILNS1_17partition_subalgoE3EN6thrust23THRUST_200600_302600_NS5tupleIssNS7_9null_typeES9_S9_S9_S9_S9_S9_S9_EENS0_10empty_typeEbEEZZNS1_14partition_implILS5_3ELb0ES3_jNS7_6detail15normal_iteratorINS7_7pointerISA_NS7_11hip_rocprim3tagENS7_11use_defaultESJ_EEEEPSB_SM_NS0_5tupleIJPSA_SM_EEENSN_IJSM_SM_EEESB_PlJ10is_orderedEEE10hipError_tPvRmT3_T4_T5_T6_T7_T9_mT8_P12ihipStream_tbDpT10_ENKUlT_T0_E_clISt17integral_constantIbLb0EES1B_IbLb1EEEEDaS17_S18_EUlS17_E_NS1_11comp_targetILNS1_3genE3ELNS1_11target_archE908ELNS1_3gpuE7ELNS1_3repE0EEENS1_30default_config_static_selectorELNS0_4arch9wavefront6targetE1EEEvT1_
    .private_segment_fixed_size: 0
    .sgpr_count:     6
    .sgpr_spill_count: 0
    .symbol:         _ZN7rocprim17ROCPRIM_400000_NS6detail17trampoline_kernelINS0_14default_configENS1_25partition_config_selectorILNS1_17partition_subalgoE3EN6thrust23THRUST_200600_302600_NS5tupleIssNS7_9null_typeES9_S9_S9_S9_S9_S9_S9_EENS0_10empty_typeEbEEZZNS1_14partition_implILS5_3ELb0ES3_jNS7_6detail15normal_iteratorINS7_7pointerISA_NS7_11hip_rocprim3tagENS7_11use_defaultESJ_EEEEPSB_SM_NS0_5tupleIJPSA_SM_EEENSN_IJSM_SM_EEESB_PlJ10is_orderedEEE10hipError_tPvRmT3_T4_T5_T6_T7_T9_mT8_P12ihipStream_tbDpT10_ENKUlT_T0_E_clISt17integral_constantIbLb0EES1B_IbLb1EEEEDaS17_S18_EUlS17_E_NS1_11comp_targetILNS1_3genE3ELNS1_11target_archE908ELNS1_3gpuE7ELNS1_3repE0EEENS1_30default_config_static_selectorELNS0_4arch9wavefront6targetE1EEEvT1_.kd
    .uniform_work_group_size: 1
    .uses_dynamic_stack: false
    .vgpr_count:     0
    .vgpr_spill_count: 0
    .wavefront_size: 64
  - .agpr_count:     0
    .args:
      - .offset:         0
        .size:           136
        .value_kind:     by_value
    .group_segment_fixed_size: 0
    .kernarg_segment_align: 8
    .kernarg_segment_size: 136
    .language:       OpenCL C
    .language_version:
      - 2
      - 0
    .max_flat_workgroup_size: 192
    .name:           _ZN7rocprim17ROCPRIM_400000_NS6detail17trampoline_kernelINS0_14default_configENS1_25partition_config_selectorILNS1_17partition_subalgoE3EN6thrust23THRUST_200600_302600_NS5tupleIssNS7_9null_typeES9_S9_S9_S9_S9_S9_S9_EENS0_10empty_typeEbEEZZNS1_14partition_implILS5_3ELb0ES3_jNS7_6detail15normal_iteratorINS7_7pointerISA_NS7_11hip_rocprim3tagENS7_11use_defaultESJ_EEEEPSB_SM_NS0_5tupleIJPSA_SM_EEENSN_IJSM_SM_EEESB_PlJ10is_orderedEEE10hipError_tPvRmT3_T4_T5_T6_T7_T9_mT8_P12ihipStream_tbDpT10_ENKUlT_T0_E_clISt17integral_constantIbLb0EES1B_IbLb1EEEEDaS17_S18_EUlS17_E_NS1_11comp_targetILNS1_3genE2ELNS1_11target_archE906ELNS1_3gpuE6ELNS1_3repE0EEENS1_30default_config_static_selectorELNS0_4arch9wavefront6targetE1EEEvT1_
    .private_segment_fixed_size: 0
    .sgpr_count:     6
    .sgpr_spill_count: 0
    .symbol:         _ZN7rocprim17ROCPRIM_400000_NS6detail17trampoline_kernelINS0_14default_configENS1_25partition_config_selectorILNS1_17partition_subalgoE3EN6thrust23THRUST_200600_302600_NS5tupleIssNS7_9null_typeES9_S9_S9_S9_S9_S9_S9_EENS0_10empty_typeEbEEZZNS1_14partition_implILS5_3ELb0ES3_jNS7_6detail15normal_iteratorINS7_7pointerISA_NS7_11hip_rocprim3tagENS7_11use_defaultESJ_EEEEPSB_SM_NS0_5tupleIJPSA_SM_EEENSN_IJSM_SM_EEESB_PlJ10is_orderedEEE10hipError_tPvRmT3_T4_T5_T6_T7_T9_mT8_P12ihipStream_tbDpT10_ENKUlT_T0_E_clISt17integral_constantIbLb0EES1B_IbLb1EEEEDaS17_S18_EUlS17_E_NS1_11comp_targetILNS1_3genE2ELNS1_11target_archE906ELNS1_3gpuE6ELNS1_3repE0EEENS1_30default_config_static_selectorELNS0_4arch9wavefront6targetE1EEEvT1_.kd
    .uniform_work_group_size: 1
    .uses_dynamic_stack: false
    .vgpr_count:     0
    .vgpr_spill_count: 0
    .wavefront_size: 64
  - .agpr_count:     0
    .args:
      - .offset:         0
        .size:           136
        .value_kind:     by_value
    .group_segment_fixed_size: 0
    .kernarg_segment_align: 8
    .kernarg_segment_size: 136
    .language:       OpenCL C
    .language_version:
      - 2
      - 0
    .max_flat_workgroup_size: 384
    .name:           _ZN7rocprim17ROCPRIM_400000_NS6detail17trampoline_kernelINS0_14default_configENS1_25partition_config_selectorILNS1_17partition_subalgoE3EN6thrust23THRUST_200600_302600_NS5tupleIssNS7_9null_typeES9_S9_S9_S9_S9_S9_S9_EENS0_10empty_typeEbEEZZNS1_14partition_implILS5_3ELb0ES3_jNS7_6detail15normal_iteratorINS7_7pointerISA_NS7_11hip_rocprim3tagENS7_11use_defaultESJ_EEEEPSB_SM_NS0_5tupleIJPSA_SM_EEENSN_IJSM_SM_EEESB_PlJ10is_orderedEEE10hipError_tPvRmT3_T4_T5_T6_T7_T9_mT8_P12ihipStream_tbDpT10_ENKUlT_T0_E_clISt17integral_constantIbLb0EES1B_IbLb1EEEEDaS17_S18_EUlS17_E_NS1_11comp_targetILNS1_3genE10ELNS1_11target_archE1200ELNS1_3gpuE4ELNS1_3repE0EEENS1_30default_config_static_selectorELNS0_4arch9wavefront6targetE1EEEvT1_
    .private_segment_fixed_size: 0
    .sgpr_count:     6
    .sgpr_spill_count: 0
    .symbol:         _ZN7rocprim17ROCPRIM_400000_NS6detail17trampoline_kernelINS0_14default_configENS1_25partition_config_selectorILNS1_17partition_subalgoE3EN6thrust23THRUST_200600_302600_NS5tupleIssNS7_9null_typeES9_S9_S9_S9_S9_S9_S9_EENS0_10empty_typeEbEEZZNS1_14partition_implILS5_3ELb0ES3_jNS7_6detail15normal_iteratorINS7_7pointerISA_NS7_11hip_rocprim3tagENS7_11use_defaultESJ_EEEEPSB_SM_NS0_5tupleIJPSA_SM_EEENSN_IJSM_SM_EEESB_PlJ10is_orderedEEE10hipError_tPvRmT3_T4_T5_T6_T7_T9_mT8_P12ihipStream_tbDpT10_ENKUlT_T0_E_clISt17integral_constantIbLb0EES1B_IbLb1EEEEDaS17_S18_EUlS17_E_NS1_11comp_targetILNS1_3genE10ELNS1_11target_archE1200ELNS1_3gpuE4ELNS1_3repE0EEENS1_30default_config_static_selectorELNS0_4arch9wavefront6targetE1EEEvT1_.kd
    .uniform_work_group_size: 1
    .uses_dynamic_stack: false
    .vgpr_count:     0
    .vgpr_spill_count: 0
    .wavefront_size: 64
  - .agpr_count:     0
    .args:
      - .offset:         0
        .size:           136
        .value_kind:     by_value
    .group_segment_fixed_size: 0
    .kernarg_segment_align: 8
    .kernarg_segment_size: 136
    .language:       OpenCL C
    .language_version:
      - 2
      - 0
    .max_flat_workgroup_size: 384
    .name:           _ZN7rocprim17ROCPRIM_400000_NS6detail17trampoline_kernelINS0_14default_configENS1_25partition_config_selectorILNS1_17partition_subalgoE3EN6thrust23THRUST_200600_302600_NS5tupleIssNS7_9null_typeES9_S9_S9_S9_S9_S9_S9_EENS0_10empty_typeEbEEZZNS1_14partition_implILS5_3ELb0ES3_jNS7_6detail15normal_iteratorINS7_7pointerISA_NS7_11hip_rocprim3tagENS7_11use_defaultESJ_EEEEPSB_SM_NS0_5tupleIJPSA_SM_EEENSN_IJSM_SM_EEESB_PlJ10is_orderedEEE10hipError_tPvRmT3_T4_T5_T6_T7_T9_mT8_P12ihipStream_tbDpT10_ENKUlT_T0_E_clISt17integral_constantIbLb0EES1B_IbLb1EEEEDaS17_S18_EUlS17_E_NS1_11comp_targetILNS1_3genE9ELNS1_11target_archE1100ELNS1_3gpuE3ELNS1_3repE0EEENS1_30default_config_static_selectorELNS0_4arch9wavefront6targetE1EEEvT1_
    .private_segment_fixed_size: 0
    .sgpr_count:     6
    .sgpr_spill_count: 0
    .symbol:         _ZN7rocprim17ROCPRIM_400000_NS6detail17trampoline_kernelINS0_14default_configENS1_25partition_config_selectorILNS1_17partition_subalgoE3EN6thrust23THRUST_200600_302600_NS5tupleIssNS7_9null_typeES9_S9_S9_S9_S9_S9_S9_EENS0_10empty_typeEbEEZZNS1_14partition_implILS5_3ELb0ES3_jNS7_6detail15normal_iteratorINS7_7pointerISA_NS7_11hip_rocprim3tagENS7_11use_defaultESJ_EEEEPSB_SM_NS0_5tupleIJPSA_SM_EEENSN_IJSM_SM_EEESB_PlJ10is_orderedEEE10hipError_tPvRmT3_T4_T5_T6_T7_T9_mT8_P12ihipStream_tbDpT10_ENKUlT_T0_E_clISt17integral_constantIbLb0EES1B_IbLb1EEEEDaS17_S18_EUlS17_E_NS1_11comp_targetILNS1_3genE9ELNS1_11target_archE1100ELNS1_3gpuE3ELNS1_3repE0EEENS1_30default_config_static_selectorELNS0_4arch9wavefront6targetE1EEEvT1_.kd
    .uniform_work_group_size: 1
    .uses_dynamic_stack: false
    .vgpr_count:     0
    .vgpr_spill_count: 0
    .wavefront_size: 64
  - .agpr_count:     0
    .args:
      - .offset:         0
        .size:           136
        .value_kind:     by_value
    .group_segment_fixed_size: 0
    .kernarg_segment_align: 8
    .kernarg_segment_size: 136
    .language:       OpenCL C
    .language_version:
      - 2
      - 0
    .max_flat_workgroup_size: 512
    .name:           _ZN7rocprim17ROCPRIM_400000_NS6detail17trampoline_kernelINS0_14default_configENS1_25partition_config_selectorILNS1_17partition_subalgoE3EN6thrust23THRUST_200600_302600_NS5tupleIssNS7_9null_typeES9_S9_S9_S9_S9_S9_S9_EENS0_10empty_typeEbEEZZNS1_14partition_implILS5_3ELb0ES3_jNS7_6detail15normal_iteratorINS7_7pointerISA_NS7_11hip_rocprim3tagENS7_11use_defaultESJ_EEEEPSB_SM_NS0_5tupleIJPSA_SM_EEENSN_IJSM_SM_EEESB_PlJ10is_orderedEEE10hipError_tPvRmT3_T4_T5_T6_T7_T9_mT8_P12ihipStream_tbDpT10_ENKUlT_T0_E_clISt17integral_constantIbLb0EES1B_IbLb1EEEEDaS17_S18_EUlS17_E_NS1_11comp_targetILNS1_3genE8ELNS1_11target_archE1030ELNS1_3gpuE2ELNS1_3repE0EEENS1_30default_config_static_selectorELNS0_4arch9wavefront6targetE1EEEvT1_
    .private_segment_fixed_size: 0
    .sgpr_count:     6
    .sgpr_spill_count: 0
    .symbol:         _ZN7rocprim17ROCPRIM_400000_NS6detail17trampoline_kernelINS0_14default_configENS1_25partition_config_selectorILNS1_17partition_subalgoE3EN6thrust23THRUST_200600_302600_NS5tupleIssNS7_9null_typeES9_S9_S9_S9_S9_S9_S9_EENS0_10empty_typeEbEEZZNS1_14partition_implILS5_3ELb0ES3_jNS7_6detail15normal_iteratorINS7_7pointerISA_NS7_11hip_rocprim3tagENS7_11use_defaultESJ_EEEEPSB_SM_NS0_5tupleIJPSA_SM_EEENSN_IJSM_SM_EEESB_PlJ10is_orderedEEE10hipError_tPvRmT3_T4_T5_T6_T7_T9_mT8_P12ihipStream_tbDpT10_ENKUlT_T0_E_clISt17integral_constantIbLb0EES1B_IbLb1EEEEDaS17_S18_EUlS17_E_NS1_11comp_targetILNS1_3genE8ELNS1_11target_archE1030ELNS1_3gpuE2ELNS1_3repE0EEENS1_30default_config_static_selectorELNS0_4arch9wavefront6targetE1EEEvT1_.kd
    .uniform_work_group_size: 1
    .uses_dynamic_stack: false
    .vgpr_count:     0
    .vgpr_spill_count: 0
    .wavefront_size: 64
  - .agpr_count:     0
    .args:
      - .offset:         0
        .size:           32
        .value_kind:     by_value
      - .offset:         32
        .size:           8
        .value_kind:     by_value
      - .offset:         40
        .size:           8
        .value_kind:     by_value
    .group_segment_fixed_size: 0
    .kernarg_segment_align: 8
    .kernarg_segment_size: 48
    .language:       OpenCL C
    .language_version:
      - 2
      - 0
    .max_flat_workgroup_size: 256
    .name:           _ZN6thrust23THRUST_200600_302600_NS11hip_rocprim14__parallel_for6kernelILj256ENS1_11__transform17unary_transform_fIPNS0_5tupleIssNS0_9null_typeES7_S7_S7_S7_S7_S7_S7_EENS0_12zip_iteratorINS6_INS0_6detail15normal_iteratorINS0_10device_ptrIsEEEESF_S7_S7_S7_S7_S7_S7_S7_S7_EEEENS4_14no_stencil_tagENS0_8identityIS8_EENS4_21always_true_predicateEEElLj1EEEvT0_T1_SO_
    .private_segment_fixed_size: 0
    .sgpr_count:     16
    .sgpr_spill_count: 0
    .symbol:         _ZN6thrust23THRUST_200600_302600_NS11hip_rocprim14__parallel_for6kernelILj256ENS1_11__transform17unary_transform_fIPNS0_5tupleIssNS0_9null_typeES7_S7_S7_S7_S7_S7_S7_EENS0_12zip_iteratorINS6_INS0_6detail15normal_iteratorINS0_10device_ptrIsEEEESF_S7_S7_S7_S7_S7_S7_S7_S7_EEEENS4_14no_stencil_tagENS0_8identityIS8_EENS4_21always_true_predicateEEElLj1EEEvT0_T1_SO_.kd
    .uniform_work_group_size: 1
    .uses_dynamic_stack: false
    .vgpr_count:     7
    .vgpr_spill_count: 0
    .wavefront_size: 64
  - .agpr_count:     0
    .args:
      - .offset:         0
        .size:           136
        .value_kind:     by_value
    .group_segment_fixed_size: 0
    .kernarg_segment_align: 8
    .kernarg_segment_size: 136
    .language:       OpenCL C
    .language_version:
      - 2
      - 0
    .max_flat_workgroup_size: 128
    .name:           _ZN7rocprim17ROCPRIM_400000_NS6detail17trampoline_kernelINS0_14default_configENS1_25partition_config_selectorILNS1_17partition_subalgoE2ExNS0_10empty_typeEbEEZZNS1_14partition_implILS5_2ELb0ES3_jN6thrust23THRUST_200600_302600_NS6detail15normal_iteratorINSA_7pointerIxNSA_11hip_rocprim3tagENSA_11use_defaultESG_EEEEPS6_NSA_18transform_iteratorI10is_orderedNSA_12zip_iteratorINSA_5tupleINSC_INSA_10device_ptrIxEEEESQ_NSA_9null_typeESR_SR_SR_SR_SR_SR_SR_EEEESG_SG_EENS0_5tupleIJPxSJ_EEENSV_IJSJ_SJ_EEES6_PlJS6_EEE10hipError_tPvRmT3_T4_T5_T6_T7_T9_mT8_P12ihipStream_tbDpT10_ENKUlT_T0_E_clISt17integral_constantIbLb0EES1J_EEDaS1E_S1F_EUlS1E_E_NS1_11comp_targetILNS1_3genE0ELNS1_11target_archE4294967295ELNS1_3gpuE0ELNS1_3repE0EEENS1_30default_config_static_selectorELNS0_4arch9wavefront6targetE1EEEvT1_
    .private_segment_fixed_size: 0
    .sgpr_count:     6
    .sgpr_spill_count: 0
    .symbol:         _ZN7rocprim17ROCPRIM_400000_NS6detail17trampoline_kernelINS0_14default_configENS1_25partition_config_selectorILNS1_17partition_subalgoE2ExNS0_10empty_typeEbEEZZNS1_14partition_implILS5_2ELb0ES3_jN6thrust23THRUST_200600_302600_NS6detail15normal_iteratorINSA_7pointerIxNSA_11hip_rocprim3tagENSA_11use_defaultESG_EEEEPS6_NSA_18transform_iteratorI10is_orderedNSA_12zip_iteratorINSA_5tupleINSC_INSA_10device_ptrIxEEEESQ_NSA_9null_typeESR_SR_SR_SR_SR_SR_SR_EEEESG_SG_EENS0_5tupleIJPxSJ_EEENSV_IJSJ_SJ_EEES6_PlJS6_EEE10hipError_tPvRmT3_T4_T5_T6_T7_T9_mT8_P12ihipStream_tbDpT10_ENKUlT_T0_E_clISt17integral_constantIbLb0EES1J_EEDaS1E_S1F_EUlS1E_E_NS1_11comp_targetILNS1_3genE0ELNS1_11target_archE4294967295ELNS1_3gpuE0ELNS1_3repE0EEENS1_30default_config_static_selectorELNS0_4arch9wavefront6targetE1EEEvT1_.kd
    .uniform_work_group_size: 1
    .uses_dynamic_stack: false
    .vgpr_count:     0
    .vgpr_spill_count: 0
    .wavefront_size: 64
  - .agpr_count:     0
    .args:
      - .offset:         0
        .size:           136
        .value_kind:     by_value
    .group_segment_fixed_size: 28680
    .kernarg_segment_align: 8
    .kernarg_segment_size: 136
    .language:       OpenCL C
    .language_version:
      - 2
      - 0
    .max_flat_workgroup_size: 512
    .name:           _ZN7rocprim17ROCPRIM_400000_NS6detail17trampoline_kernelINS0_14default_configENS1_25partition_config_selectorILNS1_17partition_subalgoE2ExNS0_10empty_typeEbEEZZNS1_14partition_implILS5_2ELb0ES3_jN6thrust23THRUST_200600_302600_NS6detail15normal_iteratorINSA_7pointerIxNSA_11hip_rocprim3tagENSA_11use_defaultESG_EEEEPS6_NSA_18transform_iteratorI10is_orderedNSA_12zip_iteratorINSA_5tupleINSC_INSA_10device_ptrIxEEEESQ_NSA_9null_typeESR_SR_SR_SR_SR_SR_SR_EEEESG_SG_EENS0_5tupleIJPxSJ_EEENSV_IJSJ_SJ_EEES6_PlJS6_EEE10hipError_tPvRmT3_T4_T5_T6_T7_T9_mT8_P12ihipStream_tbDpT10_ENKUlT_T0_E_clISt17integral_constantIbLb0EES1J_EEDaS1E_S1F_EUlS1E_E_NS1_11comp_targetILNS1_3genE5ELNS1_11target_archE942ELNS1_3gpuE9ELNS1_3repE0EEENS1_30default_config_static_selectorELNS0_4arch9wavefront6targetE1EEEvT1_
    .private_segment_fixed_size: 0
    .sgpr_count:     52
    .sgpr_spill_count: 0
    .symbol:         _ZN7rocprim17ROCPRIM_400000_NS6detail17trampoline_kernelINS0_14default_configENS1_25partition_config_selectorILNS1_17partition_subalgoE2ExNS0_10empty_typeEbEEZZNS1_14partition_implILS5_2ELb0ES3_jN6thrust23THRUST_200600_302600_NS6detail15normal_iteratorINSA_7pointerIxNSA_11hip_rocprim3tagENSA_11use_defaultESG_EEEEPS6_NSA_18transform_iteratorI10is_orderedNSA_12zip_iteratorINSA_5tupleINSC_INSA_10device_ptrIxEEEESQ_NSA_9null_typeESR_SR_SR_SR_SR_SR_SR_EEEESG_SG_EENS0_5tupleIJPxSJ_EEENSV_IJSJ_SJ_EEES6_PlJS6_EEE10hipError_tPvRmT3_T4_T5_T6_T7_T9_mT8_P12ihipStream_tbDpT10_ENKUlT_T0_E_clISt17integral_constantIbLb0EES1J_EEDaS1E_S1F_EUlS1E_E_NS1_11comp_targetILNS1_3genE5ELNS1_11target_archE942ELNS1_3gpuE9ELNS1_3repE0EEENS1_30default_config_static_selectorELNS0_4arch9wavefront6targetE1EEEvT1_.kd
    .uniform_work_group_size: 1
    .uses_dynamic_stack: false
    .vgpr_count:     54
    .vgpr_spill_count: 0
    .wavefront_size: 64
  - .agpr_count:     0
    .args:
      - .offset:         0
        .size:           136
        .value_kind:     by_value
    .group_segment_fixed_size: 0
    .kernarg_segment_align: 8
    .kernarg_segment_size: 136
    .language:       OpenCL C
    .language_version:
      - 2
      - 0
    .max_flat_workgroup_size: 192
    .name:           _ZN7rocprim17ROCPRIM_400000_NS6detail17trampoline_kernelINS0_14default_configENS1_25partition_config_selectorILNS1_17partition_subalgoE2ExNS0_10empty_typeEbEEZZNS1_14partition_implILS5_2ELb0ES3_jN6thrust23THRUST_200600_302600_NS6detail15normal_iteratorINSA_7pointerIxNSA_11hip_rocprim3tagENSA_11use_defaultESG_EEEEPS6_NSA_18transform_iteratorI10is_orderedNSA_12zip_iteratorINSA_5tupleINSC_INSA_10device_ptrIxEEEESQ_NSA_9null_typeESR_SR_SR_SR_SR_SR_SR_EEEESG_SG_EENS0_5tupleIJPxSJ_EEENSV_IJSJ_SJ_EEES6_PlJS6_EEE10hipError_tPvRmT3_T4_T5_T6_T7_T9_mT8_P12ihipStream_tbDpT10_ENKUlT_T0_E_clISt17integral_constantIbLb0EES1J_EEDaS1E_S1F_EUlS1E_E_NS1_11comp_targetILNS1_3genE4ELNS1_11target_archE910ELNS1_3gpuE8ELNS1_3repE0EEENS1_30default_config_static_selectorELNS0_4arch9wavefront6targetE1EEEvT1_
    .private_segment_fixed_size: 0
    .sgpr_count:     6
    .sgpr_spill_count: 0
    .symbol:         _ZN7rocprim17ROCPRIM_400000_NS6detail17trampoline_kernelINS0_14default_configENS1_25partition_config_selectorILNS1_17partition_subalgoE2ExNS0_10empty_typeEbEEZZNS1_14partition_implILS5_2ELb0ES3_jN6thrust23THRUST_200600_302600_NS6detail15normal_iteratorINSA_7pointerIxNSA_11hip_rocprim3tagENSA_11use_defaultESG_EEEEPS6_NSA_18transform_iteratorI10is_orderedNSA_12zip_iteratorINSA_5tupleINSC_INSA_10device_ptrIxEEEESQ_NSA_9null_typeESR_SR_SR_SR_SR_SR_SR_EEEESG_SG_EENS0_5tupleIJPxSJ_EEENSV_IJSJ_SJ_EEES6_PlJS6_EEE10hipError_tPvRmT3_T4_T5_T6_T7_T9_mT8_P12ihipStream_tbDpT10_ENKUlT_T0_E_clISt17integral_constantIbLb0EES1J_EEDaS1E_S1F_EUlS1E_E_NS1_11comp_targetILNS1_3genE4ELNS1_11target_archE910ELNS1_3gpuE8ELNS1_3repE0EEENS1_30default_config_static_selectorELNS0_4arch9wavefront6targetE1EEEvT1_.kd
    .uniform_work_group_size: 1
    .uses_dynamic_stack: false
    .vgpr_count:     0
    .vgpr_spill_count: 0
    .wavefront_size: 64
  - .agpr_count:     0
    .args:
      - .offset:         0
        .size:           136
        .value_kind:     by_value
    .group_segment_fixed_size: 0
    .kernarg_segment_align: 8
    .kernarg_segment_size: 136
    .language:       OpenCL C
    .language_version:
      - 2
      - 0
    .max_flat_workgroup_size: 128
    .name:           _ZN7rocprim17ROCPRIM_400000_NS6detail17trampoline_kernelINS0_14default_configENS1_25partition_config_selectorILNS1_17partition_subalgoE2ExNS0_10empty_typeEbEEZZNS1_14partition_implILS5_2ELb0ES3_jN6thrust23THRUST_200600_302600_NS6detail15normal_iteratorINSA_7pointerIxNSA_11hip_rocprim3tagENSA_11use_defaultESG_EEEEPS6_NSA_18transform_iteratorI10is_orderedNSA_12zip_iteratorINSA_5tupleINSC_INSA_10device_ptrIxEEEESQ_NSA_9null_typeESR_SR_SR_SR_SR_SR_SR_EEEESG_SG_EENS0_5tupleIJPxSJ_EEENSV_IJSJ_SJ_EEES6_PlJS6_EEE10hipError_tPvRmT3_T4_T5_T6_T7_T9_mT8_P12ihipStream_tbDpT10_ENKUlT_T0_E_clISt17integral_constantIbLb0EES1J_EEDaS1E_S1F_EUlS1E_E_NS1_11comp_targetILNS1_3genE3ELNS1_11target_archE908ELNS1_3gpuE7ELNS1_3repE0EEENS1_30default_config_static_selectorELNS0_4arch9wavefront6targetE1EEEvT1_
    .private_segment_fixed_size: 0
    .sgpr_count:     6
    .sgpr_spill_count: 0
    .symbol:         _ZN7rocprim17ROCPRIM_400000_NS6detail17trampoline_kernelINS0_14default_configENS1_25partition_config_selectorILNS1_17partition_subalgoE2ExNS0_10empty_typeEbEEZZNS1_14partition_implILS5_2ELb0ES3_jN6thrust23THRUST_200600_302600_NS6detail15normal_iteratorINSA_7pointerIxNSA_11hip_rocprim3tagENSA_11use_defaultESG_EEEEPS6_NSA_18transform_iteratorI10is_orderedNSA_12zip_iteratorINSA_5tupleINSC_INSA_10device_ptrIxEEEESQ_NSA_9null_typeESR_SR_SR_SR_SR_SR_SR_EEEESG_SG_EENS0_5tupleIJPxSJ_EEENSV_IJSJ_SJ_EEES6_PlJS6_EEE10hipError_tPvRmT3_T4_T5_T6_T7_T9_mT8_P12ihipStream_tbDpT10_ENKUlT_T0_E_clISt17integral_constantIbLb0EES1J_EEDaS1E_S1F_EUlS1E_E_NS1_11comp_targetILNS1_3genE3ELNS1_11target_archE908ELNS1_3gpuE7ELNS1_3repE0EEENS1_30default_config_static_selectorELNS0_4arch9wavefront6targetE1EEEvT1_.kd
    .uniform_work_group_size: 1
    .uses_dynamic_stack: false
    .vgpr_count:     0
    .vgpr_spill_count: 0
    .wavefront_size: 64
  - .agpr_count:     0
    .args:
      - .offset:         0
        .size:           136
        .value_kind:     by_value
    .group_segment_fixed_size: 0
    .kernarg_segment_align: 8
    .kernarg_segment_size: 136
    .language:       OpenCL C
    .language_version:
      - 2
      - 0
    .max_flat_workgroup_size: 256
    .name:           _ZN7rocprim17ROCPRIM_400000_NS6detail17trampoline_kernelINS0_14default_configENS1_25partition_config_selectorILNS1_17partition_subalgoE2ExNS0_10empty_typeEbEEZZNS1_14partition_implILS5_2ELb0ES3_jN6thrust23THRUST_200600_302600_NS6detail15normal_iteratorINSA_7pointerIxNSA_11hip_rocprim3tagENSA_11use_defaultESG_EEEEPS6_NSA_18transform_iteratorI10is_orderedNSA_12zip_iteratorINSA_5tupleINSC_INSA_10device_ptrIxEEEESQ_NSA_9null_typeESR_SR_SR_SR_SR_SR_SR_EEEESG_SG_EENS0_5tupleIJPxSJ_EEENSV_IJSJ_SJ_EEES6_PlJS6_EEE10hipError_tPvRmT3_T4_T5_T6_T7_T9_mT8_P12ihipStream_tbDpT10_ENKUlT_T0_E_clISt17integral_constantIbLb0EES1J_EEDaS1E_S1F_EUlS1E_E_NS1_11comp_targetILNS1_3genE2ELNS1_11target_archE906ELNS1_3gpuE6ELNS1_3repE0EEENS1_30default_config_static_selectorELNS0_4arch9wavefront6targetE1EEEvT1_
    .private_segment_fixed_size: 0
    .sgpr_count:     6
    .sgpr_spill_count: 0
    .symbol:         _ZN7rocprim17ROCPRIM_400000_NS6detail17trampoline_kernelINS0_14default_configENS1_25partition_config_selectorILNS1_17partition_subalgoE2ExNS0_10empty_typeEbEEZZNS1_14partition_implILS5_2ELb0ES3_jN6thrust23THRUST_200600_302600_NS6detail15normal_iteratorINSA_7pointerIxNSA_11hip_rocprim3tagENSA_11use_defaultESG_EEEEPS6_NSA_18transform_iteratorI10is_orderedNSA_12zip_iteratorINSA_5tupleINSC_INSA_10device_ptrIxEEEESQ_NSA_9null_typeESR_SR_SR_SR_SR_SR_SR_EEEESG_SG_EENS0_5tupleIJPxSJ_EEENSV_IJSJ_SJ_EEES6_PlJS6_EEE10hipError_tPvRmT3_T4_T5_T6_T7_T9_mT8_P12ihipStream_tbDpT10_ENKUlT_T0_E_clISt17integral_constantIbLb0EES1J_EEDaS1E_S1F_EUlS1E_E_NS1_11comp_targetILNS1_3genE2ELNS1_11target_archE906ELNS1_3gpuE6ELNS1_3repE0EEENS1_30default_config_static_selectorELNS0_4arch9wavefront6targetE1EEEvT1_.kd
    .uniform_work_group_size: 1
    .uses_dynamic_stack: false
    .vgpr_count:     0
    .vgpr_spill_count: 0
    .wavefront_size: 64
  - .agpr_count:     0
    .args:
      - .offset:         0
        .size:           136
        .value_kind:     by_value
    .group_segment_fixed_size: 0
    .kernarg_segment_align: 8
    .kernarg_segment_size: 136
    .language:       OpenCL C
    .language_version:
      - 2
      - 0
    .max_flat_workgroup_size: 256
    .name:           _ZN7rocprim17ROCPRIM_400000_NS6detail17trampoline_kernelINS0_14default_configENS1_25partition_config_selectorILNS1_17partition_subalgoE2ExNS0_10empty_typeEbEEZZNS1_14partition_implILS5_2ELb0ES3_jN6thrust23THRUST_200600_302600_NS6detail15normal_iteratorINSA_7pointerIxNSA_11hip_rocprim3tagENSA_11use_defaultESG_EEEEPS6_NSA_18transform_iteratorI10is_orderedNSA_12zip_iteratorINSA_5tupleINSC_INSA_10device_ptrIxEEEESQ_NSA_9null_typeESR_SR_SR_SR_SR_SR_SR_EEEESG_SG_EENS0_5tupleIJPxSJ_EEENSV_IJSJ_SJ_EEES6_PlJS6_EEE10hipError_tPvRmT3_T4_T5_T6_T7_T9_mT8_P12ihipStream_tbDpT10_ENKUlT_T0_E_clISt17integral_constantIbLb0EES1J_EEDaS1E_S1F_EUlS1E_E_NS1_11comp_targetILNS1_3genE10ELNS1_11target_archE1200ELNS1_3gpuE4ELNS1_3repE0EEENS1_30default_config_static_selectorELNS0_4arch9wavefront6targetE1EEEvT1_
    .private_segment_fixed_size: 0
    .sgpr_count:     6
    .sgpr_spill_count: 0
    .symbol:         _ZN7rocprim17ROCPRIM_400000_NS6detail17trampoline_kernelINS0_14default_configENS1_25partition_config_selectorILNS1_17partition_subalgoE2ExNS0_10empty_typeEbEEZZNS1_14partition_implILS5_2ELb0ES3_jN6thrust23THRUST_200600_302600_NS6detail15normal_iteratorINSA_7pointerIxNSA_11hip_rocprim3tagENSA_11use_defaultESG_EEEEPS6_NSA_18transform_iteratorI10is_orderedNSA_12zip_iteratorINSA_5tupleINSC_INSA_10device_ptrIxEEEESQ_NSA_9null_typeESR_SR_SR_SR_SR_SR_SR_EEEESG_SG_EENS0_5tupleIJPxSJ_EEENSV_IJSJ_SJ_EEES6_PlJS6_EEE10hipError_tPvRmT3_T4_T5_T6_T7_T9_mT8_P12ihipStream_tbDpT10_ENKUlT_T0_E_clISt17integral_constantIbLb0EES1J_EEDaS1E_S1F_EUlS1E_E_NS1_11comp_targetILNS1_3genE10ELNS1_11target_archE1200ELNS1_3gpuE4ELNS1_3repE0EEENS1_30default_config_static_selectorELNS0_4arch9wavefront6targetE1EEEvT1_.kd
    .uniform_work_group_size: 1
    .uses_dynamic_stack: false
    .vgpr_count:     0
    .vgpr_spill_count: 0
    .wavefront_size: 64
  - .agpr_count:     0
    .args:
      - .offset:         0
        .size:           136
        .value_kind:     by_value
    .group_segment_fixed_size: 0
    .kernarg_segment_align: 8
    .kernarg_segment_size: 136
    .language:       OpenCL C
    .language_version:
      - 2
      - 0
    .max_flat_workgroup_size: 512
    .name:           _ZN7rocprim17ROCPRIM_400000_NS6detail17trampoline_kernelINS0_14default_configENS1_25partition_config_selectorILNS1_17partition_subalgoE2ExNS0_10empty_typeEbEEZZNS1_14partition_implILS5_2ELb0ES3_jN6thrust23THRUST_200600_302600_NS6detail15normal_iteratorINSA_7pointerIxNSA_11hip_rocprim3tagENSA_11use_defaultESG_EEEEPS6_NSA_18transform_iteratorI10is_orderedNSA_12zip_iteratorINSA_5tupleINSC_INSA_10device_ptrIxEEEESQ_NSA_9null_typeESR_SR_SR_SR_SR_SR_SR_EEEESG_SG_EENS0_5tupleIJPxSJ_EEENSV_IJSJ_SJ_EEES6_PlJS6_EEE10hipError_tPvRmT3_T4_T5_T6_T7_T9_mT8_P12ihipStream_tbDpT10_ENKUlT_T0_E_clISt17integral_constantIbLb0EES1J_EEDaS1E_S1F_EUlS1E_E_NS1_11comp_targetILNS1_3genE9ELNS1_11target_archE1100ELNS1_3gpuE3ELNS1_3repE0EEENS1_30default_config_static_selectorELNS0_4arch9wavefront6targetE1EEEvT1_
    .private_segment_fixed_size: 0
    .sgpr_count:     6
    .sgpr_spill_count: 0
    .symbol:         _ZN7rocprim17ROCPRIM_400000_NS6detail17trampoline_kernelINS0_14default_configENS1_25partition_config_selectorILNS1_17partition_subalgoE2ExNS0_10empty_typeEbEEZZNS1_14partition_implILS5_2ELb0ES3_jN6thrust23THRUST_200600_302600_NS6detail15normal_iteratorINSA_7pointerIxNSA_11hip_rocprim3tagENSA_11use_defaultESG_EEEEPS6_NSA_18transform_iteratorI10is_orderedNSA_12zip_iteratorINSA_5tupleINSC_INSA_10device_ptrIxEEEESQ_NSA_9null_typeESR_SR_SR_SR_SR_SR_SR_EEEESG_SG_EENS0_5tupleIJPxSJ_EEENSV_IJSJ_SJ_EEES6_PlJS6_EEE10hipError_tPvRmT3_T4_T5_T6_T7_T9_mT8_P12ihipStream_tbDpT10_ENKUlT_T0_E_clISt17integral_constantIbLb0EES1J_EEDaS1E_S1F_EUlS1E_E_NS1_11comp_targetILNS1_3genE9ELNS1_11target_archE1100ELNS1_3gpuE3ELNS1_3repE0EEENS1_30default_config_static_selectorELNS0_4arch9wavefront6targetE1EEEvT1_.kd
    .uniform_work_group_size: 1
    .uses_dynamic_stack: false
    .vgpr_count:     0
    .vgpr_spill_count: 0
    .wavefront_size: 64
  - .agpr_count:     0
    .args:
      - .offset:         0
        .size:           136
        .value_kind:     by_value
    .group_segment_fixed_size: 0
    .kernarg_segment_align: 8
    .kernarg_segment_size: 136
    .language:       OpenCL C
    .language_version:
      - 2
      - 0
    .max_flat_workgroup_size: 512
    .name:           _ZN7rocprim17ROCPRIM_400000_NS6detail17trampoline_kernelINS0_14default_configENS1_25partition_config_selectorILNS1_17partition_subalgoE2ExNS0_10empty_typeEbEEZZNS1_14partition_implILS5_2ELb0ES3_jN6thrust23THRUST_200600_302600_NS6detail15normal_iteratorINSA_7pointerIxNSA_11hip_rocprim3tagENSA_11use_defaultESG_EEEEPS6_NSA_18transform_iteratorI10is_orderedNSA_12zip_iteratorINSA_5tupleINSC_INSA_10device_ptrIxEEEESQ_NSA_9null_typeESR_SR_SR_SR_SR_SR_SR_EEEESG_SG_EENS0_5tupleIJPxSJ_EEENSV_IJSJ_SJ_EEES6_PlJS6_EEE10hipError_tPvRmT3_T4_T5_T6_T7_T9_mT8_P12ihipStream_tbDpT10_ENKUlT_T0_E_clISt17integral_constantIbLb0EES1J_EEDaS1E_S1F_EUlS1E_E_NS1_11comp_targetILNS1_3genE8ELNS1_11target_archE1030ELNS1_3gpuE2ELNS1_3repE0EEENS1_30default_config_static_selectorELNS0_4arch9wavefront6targetE1EEEvT1_
    .private_segment_fixed_size: 0
    .sgpr_count:     6
    .sgpr_spill_count: 0
    .symbol:         _ZN7rocprim17ROCPRIM_400000_NS6detail17trampoline_kernelINS0_14default_configENS1_25partition_config_selectorILNS1_17partition_subalgoE2ExNS0_10empty_typeEbEEZZNS1_14partition_implILS5_2ELb0ES3_jN6thrust23THRUST_200600_302600_NS6detail15normal_iteratorINSA_7pointerIxNSA_11hip_rocprim3tagENSA_11use_defaultESG_EEEEPS6_NSA_18transform_iteratorI10is_orderedNSA_12zip_iteratorINSA_5tupleINSC_INSA_10device_ptrIxEEEESQ_NSA_9null_typeESR_SR_SR_SR_SR_SR_SR_EEEESG_SG_EENS0_5tupleIJPxSJ_EEENSV_IJSJ_SJ_EEES6_PlJS6_EEE10hipError_tPvRmT3_T4_T5_T6_T7_T9_mT8_P12ihipStream_tbDpT10_ENKUlT_T0_E_clISt17integral_constantIbLb0EES1J_EEDaS1E_S1F_EUlS1E_E_NS1_11comp_targetILNS1_3genE8ELNS1_11target_archE1030ELNS1_3gpuE2ELNS1_3repE0EEENS1_30default_config_static_selectorELNS0_4arch9wavefront6targetE1EEEvT1_.kd
    .uniform_work_group_size: 1
    .uses_dynamic_stack: false
    .vgpr_count:     0
    .vgpr_spill_count: 0
    .wavefront_size: 64
  - .agpr_count:     0
    .args:
      - .offset:         0
        .size:           152
        .value_kind:     by_value
    .group_segment_fixed_size: 0
    .kernarg_segment_align: 8
    .kernarg_segment_size: 152
    .language:       OpenCL C
    .language_version:
      - 2
      - 0
    .max_flat_workgroup_size: 128
    .name:           _ZN7rocprim17ROCPRIM_400000_NS6detail17trampoline_kernelINS0_14default_configENS1_25partition_config_selectorILNS1_17partition_subalgoE2ExNS0_10empty_typeEbEEZZNS1_14partition_implILS5_2ELb0ES3_jN6thrust23THRUST_200600_302600_NS6detail15normal_iteratorINSA_7pointerIxNSA_11hip_rocprim3tagENSA_11use_defaultESG_EEEEPS6_NSA_18transform_iteratorI10is_orderedNSA_12zip_iteratorINSA_5tupleINSC_INSA_10device_ptrIxEEEESQ_NSA_9null_typeESR_SR_SR_SR_SR_SR_SR_EEEESG_SG_EENS0_5tupleIJPxSJ_EEENSV_IJSJ_SJ_EEES6_PlJS6_EEE10hipError_tPvRmT3_T4_T5_T6_T7_T9_mT8_P12ihipStream_tbDpT10_ENKUlT_T0_E_clISt17integral_constantIbLb1EES1J_EEDaS1E_S1F_EUlS1E_E_NS1_11comp_targetILNS1_3genE0ELNS1_11target_archE4294967295ELNS1_3gpuE0ELNS1_3repE0EEENS1_30default_config_static_selectorELNS0_4arch9wavefront6targetE1EEEvT1_
    .private_segment_fixed_size: 0
    .sgpr_count:     6
    .sgpr_spill_count: 0
    .symbol:         _ZN7rocprim17ROCPRIM_400000_NS6detail17trampoline_kernelINS0_14default_configENS1_25partition_config_selectorILNS1_17partition_subalgoE2ExNS0_10empty_typeEbEEZZNS1_14partition_implILS5_2ELb0ES3_jN6thrust23THRUST_200600_302600_NS6detail15normal_iteratorINSA_7pointerIxNSA_11hip_rocprim3tagENSA_11use_defaultESG_EEEEPS6_NSA_18transform_iteratorI10is_orderedNSA_12zip_iteratorINSA_5tupleINSC_INSA_10device_ptrIxEEEESQ_NSA_9null_typeESR_SR_SR_SR_SR_SR_SR_EEEESG_SG_EENS0_5tupleIJPxSJ_EEENSV_IJSJ_SJ_EEES6_PlJS6_EEE10hipError_tPvRmT3_T4_T5_T6_T7_T9_mT8_P12ihipStream_tbDpT10_ENKUlT_T0_E_clISt17integral_constantIbLb1EES1J_EEDaS1E_S1F_EUlS1E_E_NS1_11comp_targetILNS1_3genE0ELNS1_11target_archE4294967295ELNS1_3gpuE0ELNS1_3repE0EEENS1_30default_config_static_selectorELNS0_4arch9wavefront6targetE1EEEvT1_.kd
    .uniform_work_group_size: 1
    .uses_dynamic_stack: false
    .vgpr_count:     0
    .vgpr_spill_count: 0
    .wavefront_size: 64
  - .agpr_count:     0
    .args:
      - .offset:         0
        .size:           152
        .value_kind:     by_value
    .group_segment_fixed_size: 28680
    .kernarg_segment_align: 8
    .kernarg_segment_size: 152
    .language:       OpenCL C
    .language_version:
      - 2
      - 0
    .max_flat_workgroup_size: 512
    .name:           _ZN7rocprim17ROCPRIM_400000_NS6detail17trampoline_kernelINS0_14default_configENS1_25partition_config_selectorILNS1_17partition_subalgoE2ExNS0_10empty_typeEbEEZZNS1_14partition_implILS5_2ELb0ES3_jN6thrust23THRUST_200600_302600_NS6detail15normal_iteratorINSA_7pointerIxNSA_11hip_rocprim3tagENSA_11use_defaultESG_EEEEPS6_NSA_18transform_iteratorI10is_orderedNSA_12zip_iteratorINSA_5tupleINSC_INSA_10device_ptrIxEEEESQ_NSA_9null_typeESR_SR_SR_SR_SR_SR_SR_EEEESG_SG_EENS0_5tupleIJPxSJ_EEENSV_IJSJ_SJ_EEES6_PlJS6_EEE10hipError_tPvRmT3_T4_T5_T6_T7_T9_mT8_P12ihipStream_tbDpT10_ENKUlT_T0_E_clISt17integral_constantIbLb1EES1J_EEDaS1E_S1F_EUlS1E_E_NS1_11comp_targetILNS1_3genE5ELNS1_11target_archE942ELNS1_3gpuE9ELNS1_3repE0EEENS1_30default_config_static_selectorELNS0_4arch9wavefront6targetE1EEEvT1_
    .private_segment_fixed_size: 0
    .sgpr_count:     52
    .sgpr_spill_count: 0
    .symbol:         _ZN7rocprim17ROCPRIM_400000_NS6detail17trampoline_kernelINS0_14default_configENS1_25partition_config_selectorILNS1_17partition_subalgoE2ExNS0_10empty_typeEbEEZZNS1_14partition_implILS5_2ELb0ES3_jN6thrust23THRUST_200600_302600_NS6detail15normal_iteratorINSA_7pointerIxNSA_11hip_rocprim3tagENSA_11use_defaultESG_EEEEPS6_NSA_18transform_iteratorI10is_orderedNSA_12zip_iteratorINSA_5tupleINSC_INSA_10device_ptrIxEEEESQ_NSA_9null_typeESR_SR_SR_SR_SR_SR_SR_EEEESG_SG_EENS0_5tupleIJPxSJ_EEENSV_IJSJ_SJ_EEES6_PlJS6_EEE10hipError_tPvRmT3_T4_T5_T6_T7_T9_mT8_P12ihipStream_tbDpT10_ENKUlT_T0_E_clISt17integral_constantIbLb1EES1J_EEDaS1E_S1F_EUlS1E_E_NS1_11comp_targetILNS1_3genE5ELNS1_11target_archE942ELNS1_3gpuE9ELNS1_3repE0EEENS1_30default_config_static_selectorELNS0_4arch9wavefront6targetE1EEEvT1_.kd
    .uniform_work_group_size: 1
    .uses_dynamic_stack: false
    .vgpr_count:     56
    .vgpr_spill_count: 0
    .wavefront_size: 64
  - .agpr_count:     0
    .args:
      - .offset:         0
        .size:           152
        .value_kind:     by_value
    .group_segment_fixed_size: 0
    .kernarg_segment_align: 8
    .kernarg_segment_size: 152
    .language:       OpenCL C
    .language_version:
      - 2
      - 0
    .max_flat_workgroup_size: 192
    .name:           _ZN7rocprim17ROCPRIM_400000_NS6detail17trampoline_kernelINS0_14default_configENS1_25partition_config_selectorILNS1_17partition_subalgoE2ExNS0_10empty_typeEbEEZZNS1_14partition_implILS5_2ELb0ES3_jN6thrust23THRUST_200600_302600_NS6detail15normal_iteratorINSA_7pointerIxNSA_11hip_rocprim3tagENSA_11use_defaultESG_EEEEPS6_NSA_18transform_iteratorI10is_orderedNSA_12zip_iteratorINSA_5tupleINSC_INSA_10device_ptrIxEEEESQ_NSA_9null_typeESR_SR_SR_SR_SR_SR_SR_EEEESG_SG_EENS0_5tupleIJPxSJ_EEENSV_IJSJ_SJ_EEES6_PlJS6_EEE10hipError_tPvRmT3_T4_T5_T6_T7_T9_mT8_P12ihipStream_tbDpT10_ENKUlT_T0_E_clISt17integral_constantIbLb1EES1J_EEDaS1E_S1F_EUlS1E_E_NS1_11comp_targetILNS1_3genE4ELNS1_11target_archE910ELNS1_3gpuE8ELNS1_3repE0EEENS1_30default_config_static_selectorELNS0_4arch9wavefront6targetE1EEEvT1_
    .private_segment_fixed_size: 0
    .sgpr_count:     6
    .sgpr_spill_count: 0
    .symbol:         _ZN7rocprim17ROCPRIM_400000_NS6detail17trampoline_kernelINS0_14default_configENS1_25partition_config_selectorILNS1_17partition_subalgoE2ExNS0_10empty_typeEbEEZZNS1_14partition_implILS5_2ELb0ES3_jN6thrust23THRUST_200600_302600_NS6detail15normal_iteratorINSA_7pointerIxNSA_11hip_rocprim3tagENSA_11use_defaultESG_EEEEPS6_NSA_18transform_iteratorI10is_orderedNSA_12zip_iteratorINSA_5tupleINSC_INSA_10device_ptrIxEEEESQ_NSA_9null_typeESR_SR_SR_SR_SR_SR_SR_EEEESG_SG_EENS0_5tupleIJPxSJ_EEENSV_IJSJ_SJ_EEES6_PlJS6_EEE10hipError_tPvRmT3_T4_T5_T6_T7_T9_mT8_P12ihipStream_tbDpT10_ENKUlT_T0_E_clISt17integral_constantIbLb1EES1J_EEDaS1E_S1F_EUlS1E_E_NS1_11comp_targetILNS1_3genE4ELNS1_11target_archE910ELNS1_3gpuE8ELNS1_3repE0EEENS1_30default_config_static_selectorELNS0_4arch9wavefront6targetE1EEEvT1_.kd
    .uniform_work_group_size: 1
    .uses_dynamic_stack: false
    .vgpr_count:     0
    .vgpr_spill_count: 0
    .wavefront_size: 64
  - .agpr_count:     0
    .args:
      - .offset:         0
        .size:           152
        .value_kind:     by_value
    .group_segment_fixed_size: 0
    .kernarg_segment_align: 8
    .kernarg_segment_size: 152
    .language:       OpenCL C
    .language_version:
      - 2
      - 0
    .max_flat_workgroup_size: 128
    .name:           _ZN7rocprim17ROCPRIM_400000_NS6detail17trampoline_kernelINS0_14default_configENS1_25partition_config_selectorILNS1_17partition_subalgoE2ExNS0_10empty_typeEbEEZZNS1_14partition_implILS5_2ELb0ES3_jN6thrust23THRUST_200600_302600_NS6detail15normal_iteratorINSA_7pointerIxNSA_11hip_rocprim3tagENSA_11use_defaultESG_EEEEPS6_NSA_18transform_iteratorI10is_orderedNSA_12zip_iteratorINSA_5tupleINSC_INSA_10device_ptrIxEEEESQ_NSA_9null_typeESR_SR_SR_SR_SR_SR_SR_EEEESG_SG_EENS0_5tupleIJPxSJ_EEENSV_IJSJ_SJ_EEES6_PlJS6_EEE10hipError_tPvRmT3_T4_T5_T6_T7_T9_mT8_P12ihipStream_tbDpT10_ENKUlT_T0_E_clISt17integral_constantIbLb1EES1J_EEDaS1E_S1F_EUlS1E_E_NS1_11comp_targetILNS1_3genE3ELNS1_11target_archE908ELNS1_3gpuE7ELNS1_3repE0EEENS1_30default_config_static_selectorELNS0_4arch9wavefront6targetE1EEEvT1_
    .private_segment_fixed_size: 0
    .sgpr_count:     6
    .sgpr_spill_count: 0
    .symbol:         _ZN7rocprim17ROCPRIM_400000_NS6detail17trampoline_kernelINS0_14default_configENS1_25partition_config_selectorILNS1_17partition_subalgoE2ExNS0_10empty_typeEbEEZZNS1_14partition_implILS5_2ELb0ES3_jN6thrust23THRUST_200600_302600_NS6detail15normal_iteratorINSA_7pointerIxNSA_11hip_rocprim3tagENSA_11use_defaultESG_EEEEPS6_NSA_18transform_iteratorI10is_orderedNSA_12zip_iteratorINSA_5tupleINSC_INSA_10device_ptrIxEEEESQ_NSA_9null_typeESR_SR_SR_SR_SR_SR_SR_EEEESG_SG_EENS0_5tupleIJPxSJ_EEENSV_IJSJ_SJ_EEES6_PlJS6_EEE10hipError_tPvRmT3_T4_T5_T6_T7_T9_mT8_P12ihipStream_tbDpT10_ENKUlT_T0_E_clISt17integral_constantIbLb1EES1J_EEDaS1E_S1F_EUlS1E_E_NS1_11comp_targetILNS1_3genE3ELNS1_11target_archE908ELNS1_3gpuE7ELNS1_3repE0EEENS1_30default_config_static_selectorELNS0_4arch9wavefront6targetE1EEEvT1_.kd
    .uniform_work_group_size: 1
    .uses_dynamic_stack: false
    .vgpr_count:     0
    .vgpr_spill_count: 0
    .wavefront_size: 64
  - .agpr_count:     0
    .args:
      - .offset:         0
        .size:           152
        .value_kind:     by_value
    .group_segment_fixed_size: 0
    .kernarg_segment_align: 8
    .kernarg_segment_size: 152
    .language:       OpenCL C
    .language_version:
      - 2
      - 0
    .max_flat_workgroup_size: 256
    .name:           _ZN7rocprim17ROCPRIM_400000_NS6detail17trampoline_kernelINS0_14default_configENS1_25partition_config_selectorILNS1_17partition_subalgoE2ExNS0_10empty_typeEbEEZZNS1_14partition_implILS5_2ELb0ES3_jN6thrust23THRUST_200600_302600_NS6detail15normal_iteratorINSA_7pointerIxNSA_11hip_rocprim3tagENSA_11use_defaultESG_EEEEPS6_NSA_18transform_iteratorI10is_orderedNSA_12zip_iteratorINSA_5tupleINSC_INSA_10device_ptrIxEEEESQ_NSA_9null_typeESR_SR_SR_SR_SR_SR_SR_EEEESG_SG_EENS0_5tupleIJPxSJ_EEENSV_IJSJ_SJ_EEES6_PlJS6_EEE10hipError_tPvRmT3_T4_T5_T6_T7_T9_mT8_P12ihipStream_tbDpT10_ENKUlT_T0_E_clISt17integral_constantIbLb1EES1J_EEDaS1E_S1F_EUlS1E_E_NS1_11comp_targetILNS1_3genE2ELNS1_11target_archE906ELNS1_3gpuE6ELNS1_3repE0EEENS1_30default_config_static_selectorELNS0_4arch9wavefront6targetE1EEEvT1_
    .private_segment_fixed_size: 0
    .sgpr_count:     6
    .sgpr_spill_count: 0
    .symbol:         _ZN7rocprim17ROCPRIM_400000_NS6detail17trampoline_kernelINS0_14default_configENS1_25partition_config_selectorILNS1_17partition_subalgoE2ExNS0_10empty_typeEbEEZZNS1_14partition_implILS5_2ELb0ES3_jN6thrust23THRUST_200600_302600_NS6detail15normal_iteratorINSA_7pointerIxNSA_11hip_rocprim3tagENSA_11use_defaultESG_EEEEPS6_NSA_18transform_iteratorI10is_orderedNSA_12zip_iteratorINSA_5tupleINSC_INSA_10device_ptrIxEEEESQ_NSA_9null_typeESR_SR_SR_SR_SR_SR_SR_EEEESG_SG_EENS0_5tupleIJPxSJ_EEENSV_IJSJ_SJ_EEES6_PlJS6_EEE10hipError_tPvRmT3_T4_T5_T6_T7_T9_mT8_P12ihipStream_tbDpT10_ENKUlT_T0_E_clISt17integral_constantIbLb1EES1J_EEDaS1E_S1F_EUlS1E_E_NS1_11comp_targetILNS1_3genE2ELNS1_11target_archE906ELNS1_3gpuE6ELNS1_3repE0EEENS1_30default_config_static_selectorELNS0_4arch9wavefront6targetE1EEEvT1_.kd
    .uniform_work_group_size: 1
    .uses_dynamic_stack: false
    .vgpr_count:     0
    .vgpr_spill_count: 0
    .wavefront_size: 64
  - .agpr_count:     0
    .args:
      - .offset:         0
        .size:           152
        .value_kind:     by_value
    .group_segment_fixed_size: 0
    .kernarg_segment_align: 8
    .kernarg_segment_size: 152
    .language:       OpenCL C
    .language_version:
      - 2
      - 0
    .max_flat_workgroup_size: 256
    .name:           _ZN7rocprim17ROCPRIM_400000_NS6detail17trampoline_kernelINS0_14default_configENS1_25partition_config_selectorILNS1_17partition_subalgoE2ExNS0_10empty_typeEbEEZZNS1_14partition_implILS5_2ELb0ES3_jN6thrust23THRUST_200600_302600_NS6detail15normal_iteratorINSA_7pointerIxNSA_11hip_rocprim3tagENSA_11use_defaultESG_EEEEPS6_NSA_18transform_iteratorI10is_orderedNSA_12zip_iteratorINSA_5tupleINSC_INSA_10device_ptrIxEEEESQ_NSA_9null_typeESR_SR_SR_SR_SR_SR_SR_EEEESG_SG_EENS0_5tupleIJPxSJ_EEENSV_IJSJ_SJ_EEES6_PlJS6_EEE10hipError_tPvRmT3_T4_T5_T6_T7_T9_mT8_P12ihipStream_tbDpT10_ENKUlT_T0_E_clISt17integral_constantIbLb1EES1J_EEDaS1E_S1F_EUlS1E_E_NS1_11comp_targetILNS1_3genE10ELNS1_11target_archE1200ELNS1_3gpuE4ELNS1_3repE0EEENS1_30default_config_static_selectorELNS0_4arch9wavefront6targetE1EEEvT1_
    .private_segment_fixed_size: 0
    .sgpr_count:     6
    .sgpr_spill_count: 0
    .symbol:         _ZN7rocprim17ROCPRIM_400000_NS6detail17trampoline_kernelINS0_14default_configENS1_25partition_config_selectorILNS1_17partition_subalgoE2ExNS0_10empty_typeEbEEZZNS1_14partition_implILS5_2ELb0ES3_jN6thrust23THRUST_200600_302600_NS6detail15normal_iteratorINSA_7pointerIxNSA_11hip_rocprim3tagENSA_11use_defaultESG_EEEEPS6_NSA_18transform_iteratorI10is_orderedNSA_12zip_iteratorINSA_5tupleINSC_INSA_10device_ptrIxEEEESQ_NSA_9null_typeESR_SR_SR_SR_SR_SR_SR_EEEESG_SG_EENS0_5tupleIJPxSJ_EEENSV_IJSJ_SJ_EEES6_PlJS6_EEE10hipError_tPvRmT3_T4_T5_T6_T7_T9_mT8_P12ihipStream_tbDpT10_ENKUlT_T0_E_clISt17integral_constantIbLb1EES1J_EEDaS1E_S1F_EUlS1E_E_NS1_11comp_targetILNS1_3genE10ELNS1_11target_archE1200ELNS1_3gpuE4ELNS1_3repE0EEENS1_30default_config_static_selectorELNS0_4arch9wavefront6targetE1EEEvT1_.kd
    .uniform_work_group_size: 1
    .uses_dynamic_stack: false
    .vgpr_count:     0
    .vgpr_spill_count: 0
    .wavefront_size: 64
  - .agpr_count:     0
    .args:
      - .offset:         0
        .size:           152
        .value_kind:     by_value
    .group_segment_fixed_size: 0
    .kernarg_segment_align: 8
    .kernarg_segment_size: 152
    .language:       OpenCL C
    .language_version:
      - 2
      - 0
    .max_flat_workgroup_size: 512
    .name:           _ZN7rocprim17ROCPRIM_400000_NS6detail17trampoline_kernelINS0_14default_configENS1_25partition_config_selectorILNS1_17partition_subalgoE2ExNS0_10empty_typeEbEEZZNS1_14partition_implILS5_2ELb0ES3_jN6thrust23THRUST_200600_302600_NS6detail15normal_iteratorINSA_7pointerIxNSA_11hip_rocprim3tagENSA_11use_defaultESG_EEEEPS6_NSA_18transform_iteratorI10is_orderedNSA_12zip_iteratorINSA_5tupleINSC_INSA_10device_ptrIxEEEESQ_NSA_9null_typeESR_SR_SR_SR_SR_SR_SR_EEEESG_SG_EENS0_5tupleIJPxSJ_EEENSV_IJSJ_SJ_EEES6_PlJS6_EEE10hipError_tPvRmT3_T4_T5_T6_T7_T9_mT8_P12ihipStream_tbDpT10_ENKUlT_T0_E_clISt17integral_constantIbLb1EES1J_EEDaS1E_S1F_EUlS1E_E_NS1_11comp_targetILNS1_3genE9ELNS1_11target_archE1100ELNS1_3gpuE3ELNS1_3repE0EEENS1_30default_config_static_selectorELNS0_4arch9wavefront6targetE1EEEvT1_
    .private_segment_fixed_size: 0
    .sgpr_count:     6
    .sgpr_spill_count: 0
    .symbol:         _ZN7rocprim17ROCPRIM_400000_NS6detail17trampoline_kernelINS0_14default_configENS1_25partition_config_selectorILNS1_17partition_subalgoE2ExNS0_10empty_typeEbEEZZNS1_14partition_implILS5_2ELb0ES3_jN6thrust23THRUST_200600_302600_NS6detail15normal_iteratorINSA_7pointerIxNSA_11hip_rocprim3tagENSA_11use_defaultESG_EEEEPS6_NSA_18transform_iteratorI10is_orderedNSA_12zip_iteratorINSA_5tupleINSC_INSA_10device_ptrIxEEEESQ_NSA_9null_typeESR_SR_SR_SR_SR_SR_SR_EEEESG_SG_EENS0_5tupleIJPxSJ_EEENSV_IJSJ_SJ_EEES6_PlJS6_EEE10hipError_tPvRmT3_T4_T5_T6_T7_T9_mT8_P12ihipStream_tbDpT10_ENKUlT_T0_E_clISt17integral_constantIbLb1EES1J_EEDaS1E_S1F_EUlS1E_E_NS1_11comp_targetILNS1_3genE9ELNS1_11target_archE1100ELNS1_3gpuE3ELNS1_3repE0EEENS1_30default_config_static_selectorELNS0_4arch9wavefront6targetE1EEEvT1_.kd
    .uniform_work_group_size: 1
    .uses_dynamic_stack: false
    .vgpr_count:     0
    .vgpr_spill_count: 0
    .wavefront_size: 64
  - .agpr_count:     0
    .args:
      - .offset:         0
        .size:           152
        .value_kind:     by_value
    .group_segment_fixed_size: 0
    .kernarg_segment_align: 8
    .kernarg_segment_size: 152
    .language:       OpenCL C
    .language_version:
      - 2
      - 0
    .max_flat_workgroup_size: 512
    .name:           _ZN7rocprim17ROCPRIM_400000_NS6detail17trampoline_kernelINS0_14default_configENS1_25partition_config_selectorILNS1_17partition_subalgoE2ExNS0_10empty_typeEbEEZZNS1_14partition_implILS5_2ELb0ES3_jN6thrust23THRUST_200600_302600_NS6detail15normal_iteratorINSA_7pointerIxNSA_11hip_rocprim3tagENSA_11use_defaultESG_EEEEPS6_NSA_18transform_iteratorI10is_orderedNSA_12zip_iteratorINSA_5tupleINSC_INSA_10device_ptrIxEEEESQ_NSA_9null_typeESR_SR_SR_SR_SR_SR_SR_EEEESG_SG_EENS0_5tupleIJPxSJ_EEENSV_IJSJ_SJ_EEES6_PlJS6_EEE10hipError_tPvRmT3_T4_T5_T6_T7_T9_mT8_P12ihipStream_tbDpT10_ENKUlT_T0_E_clISt17integral_constantIbLb1EES1J_EEDaS1E_S1F_EUlS1E_E_NS1_11comp_targetILNS1_3genE8ELNS1_11target_archE1030ELNS1_3gpuE2ELNS1_3repE0EEENS1_30default_config_static_selectorELNS0_4arch9wavefront6targetE1EEEvT1_
    .private_segment_fixed_size: 0
    .sgpr_count:     6
    .sgpr_spill_count: 0
    .symbol:         _ZN7rocprim17ROCPRIM_400000_NS6detail17trampoline_kernelINS0_14default_configENS1_25partition_config_selectorILNS1_17partition_subalgoE2ExNS0_10empty_typeEbEEZZNS1_14partition_implILS5_2ELb0ES3_jN6thrust23THRUST_200600_302600_NS6detail15normal_iteratorINSA_7pointerIxNSA_11hip_rocprim3tagENSA_11use_defaultESG_EEEEPS6_NSA_18transform_iteratorI10is_orderedNSA_12zip_iteratorINSA_5tupleINSC_INSA_10device_ptrIxEEEESQ_NSA_9null_typeESR_SR_SR_SR_SR_SR_SR_EEEESG_SG_EENS0_5tupleIJPxSJ_EEENSV_IJSJ_SJ_EEES6_PlJS6_EEE10hipError_tPvRmT3_T4_T5_T6_T7_T9_mT8_P12ihipStream_tbDpT10_ENKUlT_T0_E_clISt17integral_constantIbLb1EES1J_EEDaS1E_S1F_EUlS1E_E_NS1_11comp_targetILNS1_3genE8ELNS1_11target_archE1030ELNS1_3gpuE2ELNS1_3repE0EEENS1_30default_config_static_selectorELNS0_4arch9wavefront6targetE1EEEvT1_.kd
    .uniform_work_group_size: 1
    .uses_dynamic_stack: false
    .vgpr_count:     0
    .vgpr_spill_count: 0
    .wavefront_size: 64
  - .agpr_count:     0
    .args:
      - .offset:         0
        .size:           136
        .value_kind:     by_value
    .group_segment_fixed_size: 0
    .kernarg_segment_align: 8
    .kernarg_segment_size: 136
    .language:       OpenCL C
    .language_version:
      - 2
      - 0
    .max_flat_workgroup_size: 128
    .name:           _ZN7rocprim17ROCPRIM_400000_NS6detail17trampoline_kernelINS0_14default_configENS1_25partition_config_selectorILNS1_17partition_subalgoE2ExNS0_10empty_typeEbEEZZNS1_14partition_implILS5_2ELb0ES3_jN6thrust23THRUST_200600_302600_NS6detail15normal_iteratorINSA_7pointerIxNSA_11hip_rocprim3tagENSA_11use_defaultESG_EEEEPS6_NSA_18transform_iteratorI10is_orderedNSA_12zip_iteratorINSA_5tupleINSC_INSA_10device_ptrIxEEEESQ_NSA_9null_typeESR_SR_SR_SR_SR_SR_SR_EEEESG_SG_EENS0_5tupleIJPxSJ_EEENSV_IJSJ_SJ_EEES6_PlJS6_EEE10hipError_tPvRmT3_T4_T5_T6_T7_T9_mT8_P12ihipStream_tbDpT10_ENKUlT_T0_E_clISt17integral_constantIbLb1EES1I_IbLb0EEEEDaS1E_S1F_EUlS1E_E_NS1_11comp_targetILNS1_3genE0ELNS1_11target_archE4294967295ELNS1_3gpuE0ELNS1_3repE0EEENS1_30default_config_static_selectorELNS0_4arch9wavefront6targetE1EEEvT1_
    .private_segment_fixed_size: 0
    .sgpr_count:     6
    .sgpr_spill_count: 0
    .symbol:         _ZN7rocprim17ROCPRIM_400000_NS6detail17trampoline_kernelINS0_14default_configENS1_25partition_config_selectorILNS1_17partition_subalgoE2ExNS0_10empty_typeEbEEZZNS1_14partition_implILS5_2ELb0ES3_jN6thrust23THRUST_200600_302600_NS6detail15normal_iteratorINSA_7pointerIxNSA_11hip_rocprim3tagENSA_11use_defaultESG_EEEEPS6_NSA_18transform_iteratorI10is_orderedNSA_12zip_iteratorINSA_5tupleINSC_INSA_10device_ptrIxEEEESQ_NSA_9null_typeESR_SR_SR_SR_SR_SR_SR_EEEESG_SG_EENS0_5tupleIJPxSJ_EEENSV_IJSJ_SJ_EEES6_PlJS6_EEE10hipError_tPvRmT3_T4_T5_T6_T7_T9_mT8_P12ihipStream_tbDpT10_ENKUlT_T0_E_clISt17integral_constantIbLb1EES1I_IbLb0EEEEDaS1E_S1F_EUlS1E_E_NS1_11comp_targetILNS1_3genE0ELNS1_11target_archE4294967295ELNS1_3gpuE0ELNS1_3repE0EEENS1_30default_config_static_selectorELNS0_4arch9wavefront6targetE1EEEvT1_.kd
    .uniform_work_group_size: 1
    .uses_dynamic_stack: false
    .vgpr_count:     0
    .vgpr_spill_count: 0
    .wavefront_size: 64
  - .agpr_count:     0
    .args:
      - .offset:         0
        .size:           136
        .value_kind:     by_value
    .group_segment_fixed_size: 28680
    .kernarg_segment_align: 8
    .kernarg_segment_size: 136
    .language:       OpenCL C
    .language_version:
      - 2
      - 0
    .max_flat_workgroup_size: 512
    .name:           _ZN7rocprim17ROCPRIM_400000_NS6detail17trampoline_kernelINS0_14default_configENS1_25partition_config_selectorILNS1_17partition_subalgoE2ExNS0_10empty_typeEbEEZZNS1_14partition_implILS5_2ELb0ES3_jN6thrust23THRUST_200600_302600_NS6detail15normal_iteratorINSA_7pointerIxNSA_11hip_rocprim3tagENSA_11use_defaultESG_EEEEPS6_NSA_18transform_iteratorI10is_orderedNSA_12zip_iteratorINSA_5tupleINSC_INSA_10device_ptrIxEEEESQ_NSA_9null_typeESR_SR_SR_SR_SR_SR_SR_EEEESG_SG_EENS0_5tupleIJPxSJ_EEENSV_IJSJ_SJ_EEES6_PlJS6_EEE10hipError_tPvRmT3_T4_T5_T6_T7_T9_mT8_P12ihipStream_tbDpT10_ENKUlT_T0_E_clISt17integral_constantIbLb1EES1I_IbLb0EEEEDaS1E_S1F_EUlS1E_E_NS1_11comp_targetILNS1_3genE5ELNS1_11target_archE942ELNS1_3gpuE9ELNS1_3repE0EEENS1_30default_config_static_selectorELNS0_4arch9wavefront6targetE1EEEvT1_
    .private_segment_fixed_size: 0
    .sgpr_count:     52
    .sgpr_spill_count: 0
    .symbol:         _ZN7rocprim17ROCPRIM_400000_NS6detail17trampoline_kernelINS0_14default_configENS1_25partition_config_selectorILNS1_17partition_subalgoE2ExNS0_10empty_typeEbEEZZNS1_14partition_implILS5_2ELb0ES3_jN6thrust23THRUST_200600_302600_NS6detail15normal_iteratorINSA_7pointerIxNSA_11hip_rocprim3tagENSA_11use_defaultESG_EEEEPS6_NSA_18transform_iteratorI10is_orderedNSA_12zip_iteratorINSA_5tupleINSC_INSA_10device_ptrIxEEEESQ_NSA_9null_typeESR_SR_SR_SR_SR_SR_SR_EEEESG_SG_EENS0_5tupleIJPxSJ_EEENSV_IJSJ_SJ_EEES6_PlJS6_EEE10hipError_tPvRmT3_T4_T5_T6_T7_T9_mT8_P12ihipStream_tbDpT10_ENKUlT_T0_E_clISt17integral_constantIbLb1EES1I_IbLb0EEEEDaS1E_S1F_EUlS1E_E_NS1_11comp_targetILNS1_3genE5ELNS1_11target_archE942ELNS1_3gpuE9ELNS1_3repE0EEENS1_30default_config_static_selectorELNS0_4arch9wavefront6targetE1EEEvT1_.kd
    .uniform_work_group_size: 1
    .uses_dynamic_stack: false
    .vgpr_count:     54
    .vgpr_spill_count: 0
    .wavefront_size: 64
  - .agpr_count:     0
    .args:
      - .offset:         0
        .size:           136
        .value_kind:     by_value
    .group_segment_fixed_size: 0
    .kernarg_segment_align: 8
    .kernarg_segment_size: 136
    .language:       OpenCL C
    .language_version:
      - 2
      - 0
    .max_flat_workgroup_size: 192
    .name:           _ZN7rocprim17ROCPRIM_400000_NS6detail17trampoline_kernelINS0_14default_configENS1_25partition_config_selectorILNS1_17partition_subalgoE2ExNS0_10empty_typeEbEEZZNS1_14partition_implILS5_2ELb0ES3_jN6thrust23THRUST_200600_302600_NS6detail15normal_iteratorINSA_7pointerIxNSA_11hip_rocprim3tagENSA_11use_defaultESG_EEEEPS6_NSA_18transform_iteratorI10is_orderedNSA_12zip_iteratorINSA_5tupleINSC_INSA_10device_ptrIxEEEESQ_NSA_9null_typeESR_SR_SR_SR_SR_SR_SR_EEEESG_SG_EENS0_5tupleIJPxSJ_EEENSV_IJSJ_SJ_EEES6_PlJS6_EEE10hipError_tPvRmT3_T4_T5_T6_T7_T9_mT8_P12ihipStream_tbDpT10_ENKUlT_T0_E_clISt17integral_constantIbLb1EES1I_IbLb0EEEEDaS1E_S1F_EUlS1E_E_NS1_11comp_targetILNS1_3genE4ELNS1_11target_archE910ELNS1_3gpuE8ELNS1_3repE0EEENS1_30default_config_static_selectorELNS0_4arch9wavefront6targetE1EEEvT1_
    .private_segment_fixed_size: 0
    .sgpr_count:     6
    .sgpr_spill_count: 0
    .symbol:         _ZN7rocprim17ROCPRIM_400000_NS6detail17trampoline_kernelINS0_14default_configENS1_25partition_config_selectorILNS1_17partition_subalgoE2ExNS0_10empty_typeEbEEZZNS1_14partition_implILS5_2ELb0ES3_jN6thrust23THRUST_200600_302600_NS6detail15normal_iteratorINSA_7pointerIxNSA_11hip_rocprim3tagENSA_11use_defaultESG_EEEEPS6_NSA_18transform_iteratorI10is_orderedNSA_12zip_iteratorINSA_5tupleINSC_INSA_10device_ptrIxEEEESQ_NSA_9null_typeESR_SR_SR_SR_SR_SR_SR_EEEESG_SG_EENS0_5tupleIJPxSJ_EEENSV_IJSJ_SJ_EEES6_PlJS6_EEE10hipError_tPvRmT3_T4_T5_T6_T7_T9_mT8_P12ihipStream_tbDpT10_ENKUlT_T0_E_clISt17integral_constantIbLb1EES1I_IbLb0EEEEDaS1E_S1F_EUlS1E_E_NS1_11comp_targetILNS1_3genE4ELNS1_11target_archE910ELNS1_3gpuE8ELNS1_3repE0EEENS1_30default_config_static_selectorELNS0_4arch9wavefront6targetE1EEEvT1_.kd
    .uniform_work_group_size: 1
    .uses_dynamic_stack: false
    .vgpr_count:     0
    .vgpr_spill_count: 0
    .wavefront_size: 64
  - .agpr_count:     0
    .args:
      - .offset:         0
        .size:           136
        .value_kind:     by_value
    .group_segment_fixed_size: 0
    .kernarg_segment_align: 8
    .kernarg_segment_size: 136
    .language:       OpenCL C
    .language_version:
      - 2
      - 0
    .max_flat_workgroup_size: 128
    .name:           _ZN7rocprim17ROCPRIM_400000_NS6detail17trampoline_kernelINS0_14default_configENS1_25partition_config_selectorILNS1_17partition_subalgoE2ExNS0_10empty_typeEbEEZZNS1_14partition_implILS5_2ELb0ES3_jN6thrust23THRUST_200600_302600_NS6detail15normal_iteratorINSA_7pointerIxNSA_11hip_rocprim3tagENSA_11use_defaultESG_EEEEPS6_NSA_18transform_iteratorI10is_orderedNSA_12zip_iteratorINSA_5tupleINSC_INSA_10device_ptrIxEEEESQ_NSA_9null_typeESR_SR_SR_SR_SR_SR_SR_EEEESG_SG_EENS0_5tupleIJPxSJ_EEENSV_IJSJ_SJ_EEES6_PlJS6_EEE10hipError_tPvRmT3_T4_T5_T6_T7_T9_mT8_P12ihipStream_tbDpT10_ENKUlT_T0_E_clISt17integral_constantIbLb1EES1I_IbLb0EEEEDaS1E_S1F_EUlS1E_E_NS1_11comp_targetILNS1_3genE3ELNS1_11target_archE908ELNS1_3gpuE7ELNS1_3repE0EEENS1_30default_config_static_selectorELNS0_4arch9wavefront6targetE1EEEvT1_
    .private_segment_fixed_size: 0
    .sgpr_count:     6
    .sgpr_spill_count: 0
    .symbol:         _ZN7rocprim17ROCPRIM_400000_NS6detail17trampoline_kernelINS0_14default_configENS1_25partition_config_selectorILNS1_17partition_subalgoE2ExNS0_10empty_typeEbEEZZNS1_14partition_implILS5_2ELb0ES3_jN6thrust23THRUST_200600_302600_NS6detail15normal_iteratorINSA_7pointerIxNSA_11hip_rocprim3tagENSA_11use_defaultESG_EEEEPS6_NSA_18transform_iteratorI10is_orderedNSA_12zip_iteratorINSA_5tupleINSC_INSA_10device_ptrIxEEEESQ_NSA_9null_typeESR_SR_SR_SR_SR_SR_SR_EEEESG_SG_EENS0_5tupleIJPxSJ_EEENSV_IJSJ_SJ_EEES6_PlJS6_EEE10hipError_tPvRmT3_T4_T5_T6_T7_T9_mT8_P12ihipStream_tbDpT10_ENKUlT_T0_E_clISt17integral_constantIbLb1EES1I_IbLb0EEEEDaS1E_S1F_EUlS1E_E_NS1_11comp_targetILNS1_3genE3ELNS1_11target_archE908ELNS1_3gpuE7ELNS1_3repE0EEENS1_30default_config_static_selectorELNS0_4arch9wavefront6targetE1EEEvT1_.kd
    .uniform_work_group_size: 1
    .uses_dynamic_stack: false
    .vgpr_count:     0
    .vgpr_spill_count: 0
    .wavefront_size: 64
  - .agpr_count:     0
    .args:
      - .offset:         0
        .size:           136
        .value_kind:     by_value
    .group_segment_fixed_size: 0
    .kernarg_segment_align: 8
    .kernarg_segment_size: 136
    .language:       OpenCL C
    .language_version:
      - 2
      - 0
    .max_flat_workgroup_size: 256
    .name:           _ZN7rocprim17ROCPRIM_400000_NS6detail17trampoline_kernelINS0_14default_configENS1_25partition_config_selectorILNS1_17partition_subalgoE2ExNS0_10empty_typeEbEEZZNS1_14partition_implILS5_2ELb0ES3_jN6thrust23THRUST_200600_302600_NS6detail15normal_iteratorINSA_7pointerIxNSA_11hip_rocprim3tagENSA_11use_defaultESG_EEEEPS6_NSA_18transform_iteratorI10is_orderedNSA_12zip_iteratorINSA_5tupleINSC_INSA_10device_ptrIxEEEESQ_NSA_9null_typeESR_SR_SR_SR_SR_SR_SR_EEEESG_SG_EENS0_5tupleIJPxSJ_EEENSV_IJSJ_SJ_EEES6_PlJS6_EEE10hipError_tPvRmT3_T4_T5_T6_T7_T9_mT8_P12ihipStream_tbDpT10_ENKUlT_T0_E_clISt17integral_constantIbLb1EES1I_IbLb0EEEEDaS1E_S1F_EUlS1E_E_NS1_11comp_targetILNS1_3genE2ELNS1_11target_archE906ELNS1_3gpuE6ELNS1_3repE0EEENS1_30default_config_static_selectorELNS0_4arch9wavefront6targetE1EEEvT1_
    .private_segment_fixed_size: 0
    .sgpr_count:     6
    .sgpr_spill_count: 0
    .symbol:         _ZN7rocprim17ROCPRIM_400000_NS6detail17trampoline_kernelINS0_14default_configENS1_25partition_config_selectorILNS1_17partition_subalgoE2ExNS0_10empty_typeEbEEZZNS1_14partition_implILS5_2ELb0ES3_jN6thrust23THRUST_200600_302600_NS6detail15normal_iteratorINSA_7pointerIxNSA_11hip_rocprim3tagENSA_11use_defaultESG_EEEEPS6_NSA_18transform_iteratorI10is_orderedNSA_12zip_iteratorINSA_5tupleINSC_INSA_10device_ptrIxEEEESQ_NSA_9null_typeESR_SR_SR_SR_SR_SR_SR_EEEESG_SG_EENS0_5tupleIJPxSJ_EEENSV_IJSJ_SJ_EEES6_PlJS6_EEE10hipError_tPvRmT3_T4_T5_T6_T7_T9_mT8_P12ihipStream_tbDpT10_ENKUlT_T0_E_clISt17integral_constantIbLb1EES1I_IbLb0EEEEDaS1E_S1F_EUlS1E_E_NS1_11comp_targetILNS1_3genE2ELNS1_11target_archE906ELNS1_3gpuE6ELNS1_3repE0EEENS1_30default_config_static_selectorELNS0_4arch9wavefront6targetE1EEEvT1_.kd
    .uniform_work_group_size: 1
    .uses_dynamic_stack: false
    .vgpr_count:     0
    .vgpr_spill_count: 0
    .wavefront_size: 64
  - .agpr_count:     0
    .args:
      - .offset:         0
        .size:           136
        .value_kind:     by_value
    .group_segment_fixed_size: 0
    .kernarg_segment_align: 8
    .kernarg_segment_size: 136
    .language:       OpenCL C
    .language_version:
      - 2
      - 0
    .max_flat_workgroup_size: 256
    .name:           _ZN7rocprim17ROCPRIM_400000_NS6detail17trampoline_kernelINS0_14default_configENS1_25partition_config_selectorILNS1_17partition_subalgoE2ExNS0_10empty_typeEbEEZZNS1_14partition_implILS5_2ELb0ES3_jN6thrust23THRUST_200600_302600_NS6detail15normal_iteratorINSA_7pointerIxNSA_11hip_rocprim3tagENSA_11use_defaultESG_EEEEPS6_NSA_18transform_iteratorI10is_orderedNSA_12zip_iteratorINSA_5tupleINSC_INSA_10device_ptrIxEEEESQ_NSA_9null_typeESR_SR_SR_SR_SR_SR_SR_EEEESG_SG_EENS0_5tupleIJPxSJ_EEENSV_IJSJ_SJ_EEES6_PlJS6_EEE10hipError_tPvRmT3_T4_T5_T6_T7_T9_mT8_P12ihipStream_tbDpT10_ENKUlT_T0_E_clISt17integral_constantIbLb1EES1I_IbLb0EEEEDaS1E_S1F_EUlS1E_E_NS1_11comp_targetILNS1_3genE10ELNS1_11target_archE1200ELNS1_3gpuE4ELNS1_3repE0EEENS1_30default_config_static_selectorELNS0_4arch9wavefront6targetE1EEEvT1_
    .private_segment_fixed_size: 0
    .sgpr_count:     6
    .sgpr_spill_count: 0
    .symbol:         _ZN7rocprim17ROCPRIM_400000_NS6detail17trampoline_kernelINS0_14default_configENS1_25partition_config_selectorILNS1_17partition_subalgoE2ExNS0_10empty_typeEbEEZZNS1_14partition_implILS5_2ELb0ES3_jN6thrust23THRUST_200600_302600_NS6detail15normal_iteratorINSA_7pointerIxNSA_11hip_rocprim3tagENSA_11use_defaultESG_EEEEPS6_NSA_18transform_iteratorI10is_orderedNSA_12zip_iteratorINSA_5tupleINSC_INSA_10device_ptrIxEEEESQ_NSA_9null_typeESR_SR_SR_SR_SR_SR_SR_EEEESG_SG_EENS0_5tupleIJPxSJ_EEENSV_IJSJ_SJ_EEES6_PlJS6_EEE10hipError_tPvRmT3_T4_T5_T6_T7_T9_mT8_P12ihipStream_tbDpT10_ENKUlT_T0_E_clISt17integral_constantIbLb1EES1I_IbLb0EEEEDaS1E_S1F_EUlS1E_E_NS1_11comp_targetILNS1_3genE10ELNS1_11target_archE1200ELNS1_3gpuE4ELNS1_3repE0EEENS1_30default_config_static_selectorELNS0_4arch9wavefront6targetE1EEEvT1_.kd
    .uniform_work_group_size: 1
    .uses_dynamic_stack: false
    .vgpr_count:     0
    .vgpr_spill_count: 0
    .wavefront_size: 64
  - .agpr_count:     0
    .args:
      - .offset:         0
        .size:           136
        .value_kind:     by_value
    .group_segment_fixed_size: 0
    .kernarg_segment_align: 8
    .kernarg_segment_size: 136
    .language:       OpenCL C
    .language_version:
      - 2
      - 0
    .max_flat_workgroup_size: 512
    .name:           _ZN7rocprim17ROCPRIM_400000_NS6detail17trampoline_kernelINS0_14default_configENS1_25partition_config_selectorILNS1_17partition_subalgoE2ExNS0_10empty_typeEbEEZZNS1_14partition_implILS5_2ELb0ES3_jN6thrust23THRUST_200600_302600_NS6detail15normal_iteratorINSA_7pointerIxNSA_11hip_rocprim3tagENSA_11use_defaultESG_EEEEPS6_NSA_18transform_iteratorI10is_orderedNSA_12zip_iteratorINSA_5tupleINSC_INSA_10device_ptrIxEEEESQ_NSA_9null_typeESR_SR_SR_SR_SR_SR_SR_EEEESG_SG_EENS0_5tupleIJPxSJ_EEENSV_IJSJ_SJ_EEES6_PlJS6_EEE10hipError_tPvRmT3_T4_T5_T6_T7_T9_mT8_P12ihipStream_tbDpT10_ENKUlT_T0_E_clISt17integral_constantIbLb1EES1I_IbLb0EEEEDaS1E_S1F_EUlS1E_E_NS1_11comp_targetILNS1_3genE9ELNS1_11target_archE1100ELNS1_3gpuE3ELNS1_3repE0EEENS1_30default_config_static_selectorELNS0_4arch9wavefront6targetE1EEEvT1_
    .private_segment_fixed_size: 0
    .sgpr_count:     6
    .sgpr_spill_count: 0
    .symbol:         _ZN7rocprim17ROCPRIM_400000_NS6detail17trampoline_kernelINS0_14default_configENS1_25partition_config_selectorILNS1_17partition_subalgoE2ExNS0_10empty_typeEbEEZZNS1_14partition_implILS5_2ELb0ES3_jN6thrust23THRUST_200600_302600_NS6detail15normal_iteratorINSA_7pointerIxNSA_11hip_rocprim3tagENSA_11use_defaultESG_EEEEPS6_NSA_18transform_iteratorI10is_orderedNSA_12zip_iteratorINSA_5tupleINSC_INSA_10device_ptrIxEEEESQ_NSA_9null_typeESR_SR_SR_SR_SR_SR_SR_EEEESG_SG_EENS0_5tupleIJPxSJ_EEENSV_IJSJ_SJ_EEES6_PlJS6_EEE10hipError_tPvRmT3_T4_T5_T6_T7_T9_mT8_P12ihipStream_tbDpT10_ENKUlT_T0_E_clISt17integral_constantIbLb1EES1I_IbLb0EEEEDaS1E_S1F_EUlS1E_E_NS1_11comp_targetILNS1_3genE9ELNS1_11target_archE1100ELNS1_3gpuE3ELNS1_3repE0EEENS1_30default_config_static_selectorELNS0_4arch9wavefront6targetE1EEEvT1_.kd
    .uniform_work_group_size: 1
    .uses_dynamic_stack: false
    .vgpr_count:     0
    .vgpr_spill_count: 0
    .wavefront_size: 64
  - .agpr_count:     0
    .args:
      - .offset:         0
        .size:           136
        .value_kind:     by_value
    .group_segment_fixed_size: 0
    .kernarg_segment_align: 8
    .kernarg_segment_size: 136
    .language:       OpenCL C
    .language_version:
      - 2
      - 0
    .max_flat_workgroup_size: 512
    .name:           _ZN7rocprim17ROCPRIM_400000_NS6detail17trampoline_kernelINS0_14default_configENS1_25partition_config_selectorILNS1_17partition_subalgoE2ExNS0_10empty_typeEbEEZZNS1_14partition_implILS5_2ELb0ES3_jN6thrust23THRUST_200600_302600_NS6detail15normal_iteratorINSA_7pointerIxNSA_11hip_rocprim3tagENSA_11use_defaultESG_EEEEPS6_NSA_18transform_iteratorI10is_orderedNSA_12zip_iteratorINSA_5tupleINSC_INSA_10device_ptrIxEEEESQ_NSA_9null_typeESR_SR_SR_SR_SR_SR_SR_EEEESG_SG_EENS0_5tupleIJPxSJ_EEENSV_IJSJ_SJ_EEES6_PlJS6_EEE10hipError_tPvRmT3_T4_T5_T6_T7_T9_mT8_P12ihipStream_tbDpT10_ENKUlT_T0_E_clISt17integral_constantIbLb1EES1I_IbLb0EEEEDaS1E_S1F_EUlS1E_E_NS1_11comp_targetILNS1_3genE8ELNS1_11target_archE1030ELNS1_3gpuE2ELNS1_3repE0EEENS1_30default_config_static_selectorELNS0_4arch9wavefront6targetE1EEEvT1_
    .private_segment_fixed_size: 0
    .sgpr_count:     6
    .sgpr_spill_count: 0
    .symbol:         _ZN7rocprim17ROCPRIM_400000_NS6detail17trampoline_kernelINS0_14default_configENS1_25partition_config_selectorILNS1_17partition_subalgoE2ExNS0_10empty_typeEbEEZZNS1_14partition_implILS5_2ELb0ES3_jN6thrust23THRUST_200600_302600_NS6detail15normal_iteratorINSA_7pointerIxNSA_11hip_rocprim3tagENSA_11use_defaultESG_EEEEPS6_NSA_18transform_iteratorI10is_orderedNSA_12zip_iteratorINSA_5tupleINSC_INSA_10device_ptrIxEEEESQ_NSA_9null_typeESR_SR_SR_SR_SR_SR_SR_EEEESG_SG_EENS0_5tupleIJPxSJ_EEENSV_IJSJ_SJ_EEES6_PlJS6_EEE10hipError_tPvRmT3_T4_T5_T6_T7_T9_mT8_P12ihipStream_tbDpT10_ENKUlT_T0_E_clISt17integral_constantIbLb1EES1I_IbLb0EEEEDaS1E_S1F_EUlS1E_E_NS1_11comp_targetILNS1_3genE8ELNS1_11target_archE1030ELNS1_3gpuE2ELNS1_3repE0EEENS1_30default_config_static_selectorELNS0_4arch9wavefront6targetE1EEEvT1_.kd
    .uniform_work_group_size: 1
    .uses_dynamic_stack: false
    .vgpr_count:     0
    .vgpr_spill_count: 0
    .wavefront_size: 64
  - .agpr_count:     0
    .args:
      - .offset:         0
        .size:           152
        .value_kind:     by_value
    .group_segment_fixed_size: 0
    .kernarg_segment_align: 8
    .kernarg_segment_size: 152
    .language:       OpenCL C
    .language_version:
      - 2
      - 0
    .max_flat_workgroup_size: 128
    .name:           _ZN7rocprim17ROCPRIM_400000_NS6detail17trampoline_kernelINS0_14default_configENS1_25partition_config_selectorILNS1_17partition_subalgoE2ExNS0_10empty_typeEbEEZZNS1_14partition_implILS5_2ELb0ES3_jN6thrust23THRUST_200600_302600_NS6detail15normal_iteratorINSA_7pointerIxNSA_11hip_rocprim3tagENSA_11use_defaultESG_EEEEPS6_NSA_18transform_iteratorI10is_orderedNSA_12zip_iteratorINSA_5tupleINSC_INSA_10device_ptrIxEEEESQ_NSA_9null_typeESR_SR_SR_SR_SR_SR_SR_EEEESG_SG_EENS0_5tupleIJPxSJ_EEENSV_IJSJ_SJ_EEES6_PlJS6_EEE10hipError_tPvRmT3_T4_T5_T6_T7_T9_mT8_P12ihipStream_tbDpT10_ENKUlT_T0_E_clISt17integral_constantIbLb0EES1I_IbLb1EEEEDaS1E_S1F_EUlS1E_E_NS1_11comp_targetILNS1_3genE0ELNS1_11target_archE4294967295ELNS1_3gpuE0ELNS1_3repE0EEENS1_30default_config_static_selectorELNS0_4arch9wavefront6targetE1EEEvT1_
    .private_segment_fixed_size: 0
    .sgpr_count:     6
    .sgpr_spill_count: 0
    .symbol:         _ZN7rocprim17ROCPRIM_400000_NS6detail17trampoline_kernelINS0_14default_configENS1_25partition_config_selectorILNS1_17partition_subalgoE2ExNS0_10empty_typeEbEEZZNS1_14partition_implILS5_2ELb0ES3_jN6thrust23THRUST_200600_302600_NS6detail15normal_iteratorINSA_7pointerIxNSA_11hip_rocprim3tagENSA_11use_defaultESG_EEEEPS6_NSA_18transform_iteratorI10is_orderedNSA_12zip_iteratorINSA_5tupleINSC_INSA_10device_ptrIxEEEESQ_NSA_9null_typeESR_SR_SR_SR_SR_SR_SR_EEEESG_SG_EENS0_5tupleIJPxSJ_EEENSV_IJSJ_SJ_EEES6_PlJS6_EEE10hipError_tPvRmT3_T4_T5_T6_T7_T9_mT8_P12ihipStream_tbDpT10_ENKUlT_T0_E_clISt17integral_constantIbLb0EES1I_IbLb1EEEEDaS1E_S1F_EUlS1E_E_NS1_11comp_targetILNS1_3genE0ELNS1_11target_archE4294967295ELNS1_3gpuE0ELNS1_3repE0EEENS1_30default_config_static_selectorELNS0_4arch9wavefront6targetE1EEEvT1_.kd
    .uniform_work_group_size: 1
    .uses_dynamic_stack: false
    .vgpr_count:     0
    .vgpr_spill_count: 0
    .wavefront_size: 64
  - .agpr_count:     0
    .args:
      - .offset:         0
        .size:           152
        .value_kind:     by_value
    .group_segment_fixed_size: 28680
    .kernarg_segment_align: 8
    .kernarg_segment_size: 152
    .language:       OpenCL C
    .language_version:
      - 2
      - 0
    .max_flat_workgroup_size: 512
    .name:           _ZN7rocprim17ROCPRIM_400000_NS6detail17trampoline_kernelINS0_14default_configENS1_25partition_config_selectorILNS1_17partition_subalgoE2ExNS0_10empty_typeEbEEZZNS1_14partition_implILS5_2ELb0ES3_jN6thrust23THRUST_200600_302600_NS6detail15normal_iteratorINSA_7pointerIxNSA_11hip_rocprim3tagENSA_11use_defaultESG_EEEEPS6_NSA_18transform_iteratorI10is_orderedNSA_12zip_iteratorINSA_5tupleINSC_INSA_10device_ptrIxEEEESQ_NSA_9null_typeESR_SR_SR_SR_SR_SR_SR_EEEESG_SG_EENS0_5tupleIJPxSJ_EEENSV_IJSJ_SJ_EEES6_PlJS6_EEE10hipError_tPvRmT3_T4_T5_T6_T7_T9_mT8_P12ihipStream_tbDpT10_ENKUlT_T0_E_clISt17integral_constantIbLb0EES1I_IbLb1EEEEDaS1E_S1F_EUlS1E_E_NS1_11comp_targetILNS1_3genE5ELNS1_11target_archE942ELNS1_3gpuE9ELNS1_3repE0EEENS1_30default_config_static_selectorELNS0_4arch9wavefront6targetE1EEEvT1_
    .private_segment_fixed_size: 0
    .sgpr_count:     52
    .sgpr_spill_count: 0
    .symbol:         _ZN7rocprim17ROCPRIM_400000_NS6detail17trampoline_kernelINS0_14default_configENS1_25partition_config_selectorILNS1_17partition_subalgoE2ExNS0_10empty_typeEbEEZZNS1_14partition_implILS5_2ELb0ES3_jN6thrust23THRUST_200600_302600_NS6detail15normal_iteratorINSA_7pointerIxNSA_11hip_rocprim3tagENSA_11use_defaultESG_EEEEPS6_NSA_18transform_iteratorI10is_orderedNSA_12zip_iteratorINSA_5tupleINSC_INSA_10device_ptrIxEEEESQ_NSA_9null_typeESR_SR_SR_SR_SR_SR_SR_EEEESG_SG_EENS0_5tupleIJPxSJ_EEENSV_IJSJ_SJ_EEES6_PlJS6_EEE10hipError_tPvRmT3_T4_T5_T6_T7_T9_mT8_P12ihipStream_tbDpT10_ENKUlT_T0_E_clISt17integral_constantIbLb0EES1I_IbLb1EEEEDaS1E_S1F_EUlS1E_E_NS1_11comp_targetILNS1_3genE5ELNS1_11target_archE942ELNS1_3gpuE9ELNS1_3repE0EEENS1_30default_config_static_selectorELNS0_4arch9wavefront6targetE1EEEvT1_.kd
    .uniform_work_group_size: 1
    .uses_dynamic_stack: false
    .vgpr_count:     56
    .vgpr_spill_count: 0
    .wavefront_size: 64
  - .agpr_count:     0
    .args:
      - .offset:         0
        .size:           152
        .value_kind:     by_value
    .group_segment_fixed_size: 0
    .kernarg_segment_align: 8
    .kernarg_segment_size: 152
    .language:       OpenCL C
    .language_version:
      - 2
      - 0
    .max_flat_workgroup_size: 192
    .name:           _ZN7rocprim17ROCPRIM_400000_NS6detail17trampoline_kernelINS0_14default_configENS1_25partition_config_selectorILNS1_17partition_subalgoE2ExNS0_10empty_typeEbEEZZNS1_14partition_implILS5_2ELb0ES3_jN6thrust23THRUST_200600_302600_NS6detail15normal_iteratorINSA_7pointerIxNSA_11hip_rocprim3tagENSA_11use_defaultESG_EEEEPS6_NSA_18transform_iteratorI10is_orderedNSA_12zip_iteratorINSA_5tupleINSC_INSA_10device_ptrIxEEEESQ_NSA_9null_typeESR_SR_SR_SR_SR_SR_SR_EEEESG_SG_EENS0_5tupleIJPxSJ_EEENSV_IJSJ_SJ_EEES6_PlJS6_EEE10hipError_tPvRmT3_T4_T5_T6_T7_T9_mT8_P12ihipStream_tbDpT10_ENKUlT_T0_E_clISt17integral_constantIbLb0EES1I_IbLb1EEEEDaS1E_S1F_EUlS1E_E_NS1_11comp_targetILNS1_3genE4ELNS1_11target_archE910ELNS1_3gpuE8ELNS1_3repE0EEENS1_30default_config_static_selectorELNS0_4arch9wavefront6targetE1EEEvT1_
    .private_segment_fixed_size: 0
    .sgpr_count:     6
    .sgpr_spill_count: 0
    .symbol:         _ZN7rocprim17ROCPRIM_400000_NS6detail17trampoline_kernelINS0_14default_configENS1_25partition_config_selectorILNS1_17partition_subalgoE2ExNS0_10empty_typeEbEEZZNS1_14partition_implILS5_2ELb0ES3_jN6thrust23THRUST_200600_302600_NS6detail15normal_iteratorINSA_7pointerIxNSA_11hip_rocprim3tagENSA_11use_defaultESG_EEEEPS6_NSA_18transform_iteratorI10is_orderedNSA_12zip_iteratorINSA_5tupleINSC_INSA_10device_ptrIxEEEESQ_NSA_9null_typeESR_SR_SR_SR_SR_SR_SR_EEEESG_SG_EENS0_5tupleIJPxSJ_EEENSV_IJSJ_SJ_EEES6_PlJS6_EEE10hipError_tPvRmT3_T4_T5_T6_T7_T9_mT8_P12ihipStream_tbDpT10_ENKUlT_T0_E_clISt17integral_constantIbLb0EES1I_IbLb1EEEEDaS1E_S1F_EUlS1E_E_NS1_11comp_targetILNS1_3genE4ELNS1_11target_archE910ELNS1_3gpuE8ELNS1_3repE0EEENS1_30default_config_static_selectorELNS0_4arch9wavefront6targetE1EEEvT1_.kd
    .uniform_work_group_size: 1
    .uses_dynamic_stack: false
    .vgpr_count:     0
    .vgpr_spill_count: 0
    .wavefront_size: 64
  - .agpr_count:     0
    .args:
      - .offset:         0
        .size:           152
        .value_kind:     by_value
    .group_segment_fixed_size: 0
    .kernarg_segment_align: 8
    .kernarg_segment_size: 152
    .language:       OpenCL C
    .language_version:
      - 2
      - 0
    .max_flat_workgroup_size: 128
    .name:           _ZN7rocprim17ROCPRIM_400000_NS6detail17trampoline_kernelINS0_14default_configENS1_25partition_config_selectorILNS1_17partition_subalgoE2ExNS0_10empty_typeEbEEZZNS1_14partition_implILS5_2ELb0ES3_jN6thrust23THRUST_200600_302600_NS6detail15normal_iteratorINSA_7pointerIxNSA_11hip_rocprim3tagENSA_11use_defaultESG_EEEEPS6_NSA_18transform_iteratorI10is_orderedNSA_12zip_iteratorINSA_5tupleINSC_INSA_10device_ptrIxEEEESQ_NSA_9null_typeESR_SR_SR_SR_SR_SR_SR_EEEESG_SG_EENS0_5tupleIJPxSJ_EEENSV_IJSJ_SJ_EEES6_PlJS6_EEE10hipError_tPvRmT3_T4_T5_T6_T7_T9_mT8_P12ihipStream_tbDpT10_ENKUlT_T0_E_clISt17integral_constantIbLb0EES1I_IbLb1EEEEDaS1E_S1F_EUlS1E_E_NS1_11comp_targetILNS1_3genE3ELNS1_11target_archE908ELNS1_3gpuE7ELNS1_3repE0EEENS1_30default_config_static_selectorELNS0_4arch9wavefront6targetE1EEEvT1_
    .private_segment_fixed_size: 0
    .sgpr_count:     6
    .sgpr_spill_count: 0
    .symbol:         _ZN7rocprim17ROCPRIM_400000_NS6detail17trampoline_kernelINS0_14default_configENS1_25partition_config_selectorILNS1_17partition_subalgoE2ExNS0_10empty_typeEbEEZZNS1_14partition_implILS5_2ELb0ES3_jN6thrust23THRUST_200600_302600_NS6detail15normal_iteratorINSA_7pointerIxNSA_11hip_rocprim3tagENSA_11use_defaultESG_EEEEPS6_NSA_18transform_iteratorI10is_orderedNSA_12zip_iteratorINSA_5tupleINSC_INSA_10device_ptrIxEEEESQ_NSA_9null_typeESR_SR_SR_SR_SR_SR_SR_EEEESG_SG_EENS0_5tupleIJPxSJ_EEENSV_IJSJ_SJ_EEES6_PlJS6_EEE10hipError_tPvRmT3_T4_T5_T6_T7_T9_mT8_P12ihipStream_tbDpT10_ENKUlT_T0_E_clISt17integral_constantIbLb0EES1I_IbLb1EEEEDaS1E_S1F_EUlS1E_E_NS1_11comp_targetILNS1_3genE3ELNS1_11target_archE908ELNS1_3gpuE7ELNS1_3repE0EEENS1_30default_config_static_selectorELNS0_4arch9wavefront6targetE1EEEvT1_.kd
    .uniform_work_group_size: 1
    .uses_dynamic_stack: false
    .vgpr_count:     0
    .vgpr_spill_count: 0
    .wavefront_size: 64
  - .agpr_count:     0
    .args:
      - .offset:         0
        .size:           152
        .value_kind:     by_value
    .group_segment_fixed_size: 0
    .kernarg_segment_align: 8
    .kernarg_segment_size: 152
    .language:       OpenCL C
    .language_version:
      - 2
      - 0
    .max_flat_workgroup_size: 256
    .name:           _ZN7rocprim17ROCPRIM_400000_NS6detail17trampoline_kernelINS0_14default_configENS1_25partition_config_selectorILNS1_17partition_subalgoE2ExNS0_10empty_typeEbEEZZNS1_14partition_implILS5_2ELb0ES3_jN6thrust23THRUST_200600_302600_NS6detail15normal_iteratorINSA_7pointerIxNSA_11hip_rocprim3tagENSA_11use_defaultESG_EEEEPS6_NSA_18transform_iteratorI10is_orderedNSA_12zip_iteratorINSA_5tupleINSC_INSA_10device_ptrIxEEEESQ_NSA_9null_typeESR_SR_SR_SR_SR_SR_SR_EEEESG_SG_EENS0_5tupleIJPxSJ_EEENSV_IJSJ_SJ_EEES6_PlJS6_EEE10hipError_tPvRmT3_T4_T5_T6_T7_T9_mT8_P12ihipStream_tbDpT10_ENKUlT_T0_E_clISt17integral_constantIbLb0EES1I_IbLb1EEEEDaS1E_S1F_EUlS1E_E_NS1_11comp_targetILNS1_3genE2ELNS1_11target_archE906ELNS1_3gpuE6ELNS1_3repE0EEENS1_30default_config_static_selectorELNS0_4arch9wavefront6targetE1EEEvT1_
    .private_segment_fixed_size: 0
    .sgpr_count:     6
    .sgpr_spill_count: 0
    .symbol:         _ZN7rocprim17ROCPRIM_400000_NS6detail17trampoline_kernelINS0_14default_configENS1_25partition_config_selectorILNS1_17partition_subalgoE2ExNS0_10empty_typeEbEEZZNS1_14partition_implILS5_2ELb0ES3_jN6thrust23THRUST_200600_302600_NS6detail15normal_iteratorINSA_7pointerIxNSA_11hip_rocprim3tagENSA_11use_defaultESG_EEEEPS6_NSA_18transform_iteratorI10is_orderedNSA_12zip_iteratorINSA_5tupleINSC_INSA_10device_ptrIxEEEESQ_NSA_9null_typeESR_SR_SR_SR_SR_SR_SR_EEEESG_SG_EENS0_5tupleIJPxSJ_EEENSV_IJSJ_SJ_EEES6_PlJS6_EEE10hipError_tPvRmT3_T4_T5_T6_T7_T9_mT8_P12ihipStream_tbDpT10_ENKUlT_T0_E_clISt17integral_constantIbLb0EES1I_IbLb1EEEEDaS1E_S1F_EUlS1E_E_NS1_11comp_targetILNS1_3genE2ELNS1_11target_archE906ELNS1_3gpuE6ELNS1_3repE0EEENS1_30default_config_static_selectorELNS0_4arch9wavefront6targetE1EEEvT1_.kd
    .uniform_work_group_size: 1
    .uses_dynamic_stack: false
    .vgpr_count:     0
    .vgpr_spill_count: 0
    .wavefront_size: 64
  - .agpr_count:     0
    .args:
      - .offset:         0
        .size:           152
        .value_kind:     by_value
    .group_segment_fixed_size: 0
    .kernarg_segment_align: 8
    .kernarg_segment_size: 152
    .language:       OpenCL C
    .language_version:
      - 2
      - 0
    .max_flat_workgroup_size: 256
    .name:           _ZN7rocprim17ROCPRIM_400000_NS6detail17trampoline_kernelINS0_14default_configENS1_25partition_config_selectorILNS1_17partition_subalgoE2ExNS0_10empty_typeEbEEZZNS1_14partition_implILS5_2ELb0ES3_jN6thrust23THRUST_200600_302600_NS6detail15normal_iteratorINSA_7pointerIxNSA_11hip_rocprim3tagENSA_11use_defaultESG_EEEEPS6_NSA_18transform_iteratorI10is_orderedNSA_12zip_iteratorINSA_5tupleINSC_INSA_10device_ptrIxEEEESQ_NSA_9null_typeESR_SR_SR_SR_SR_SR_SR_EEEESG_SG_EENS0_5tupleIJPxSJ_EEENSV_IJSJ_SJ_EEES6_PlJS6_EEE10hipError_tPvRmT3_T4_T5_T6_T7_T9_mT8_P12ihipStream_tbDpT10_ENKUlT_T0_E_clISt17integral_constantIbLb0EES1I_IbLb1EEEEDaS1E_S1F_EUlS1E_E_NS1_11comp_targetILNS1_3genE10ELNS1_11target_archE1200ELNS1_3gpuE4ELNS1_3repE0EEENS1_30default_config_static_selectorELNS0_4arch9wavefront6targetE1EEEvT1_
    .private_segment_fixed_size: 0
    .sgpr_count:     6
    .sgpr_spill_count: 0
    .symbol:         _ZN7rocprim17ROCPRIM_400000_NS6detail17trampoline_kernelINS0_14default_configENS1_25partition_config_selectorILNS1_17partition_subalgoE2ExNS0_10empty_typeEbEEZZNS1_14partition_implILS5_2ELb0ES3_jN6thrust23THRUST_200600_302600_NS6detail15normal_iteratorINSA_7pointerIxNSA_11hip_rocprim3tagENSA_11use_defaultESG_EEEEPS6_NSA_18transform_iteratorI10is_orderedNSA_12zip_iteratorINSA_5tupleINSC_INSA_10device_ptrIxEEEESQ_NSA_9null_typeESR_SR_SR_SR_SR_SR_SR_EEEESG_SG_EENS0_5tupleIJPxSJ_EEENSV_IJSJ_SJ_EEES6_PlJS6_EEE10hipError_tPvRmT3_T4_T5_T6_T7_T9_mT8_P12ihipStream_tbDpT10_ENKUlT_T0_E_clISt17integral_constantIbLb0EES1I_IbLb1EEEEDaS1E_S1F_EUlS1E_E_NS1_11comp_targetILNS1_3genE10ELNS1_11target_archE1200ELNS1_3gpuE4ELNS1_3repE0EEENS1_30default_config_static_selectorELNS0_4arch9wavefront6targetE1EEEvT1_.kd
    .uniform_work_group_size: 1
    .uses_dynamic_stack: false
    .vgpr_count:     0
    .vgpr_spill_count: 0
    .wavefront_size: 64
  - .agpr_count:     0
    .args:
      - .offset:         0
        .size:           152
        .value_kind:     by_value
    .group_segment_fixed_size: 0
    .kernarg_segment_align: 8
    .kernarg_segment_size: 152
    .language:       OpenCL C
    .language_version:
      - 2
      - 0
    .max_flat_workgroup_size: 512
    .name:           _ZN7rocprim17ROCPRIM_400000_NS6detail17trampoline_kernelINS0_14default_configENS1_25partition_config_selectorILNS1_17partition_subalgoE2ExNS0_10empty_typeEbEEZZNS1_14partition_implILS5_2ELb0ES3_jN6thrust23THRUST_200600_302600_NS6detail15normal_iteratorINSA_7pointerIxNSA_11hip_rocprim3tagENSA_11use_defaultESG_EEEEPS6_NSA_18transform_iteratorI10is_orderedNSA_12zip_iteratorINSA_5tupleINSC_INSA_10device_ptrIxEEEESQ_NSA_9null_typeESR_SR_SR_SR_SR_SR_SR_EEEESG_SG_EENS0_5tupleIJPxSJ_EEENSV_IJSJ_SJ_EEES6_PlJS6_EEE10hipError_tPvRmT3_T4_T5_T6_T7_T9_mT8_P12ihipStream_tbDpT10_ENKUlT_T0_E_clISt17integral_constantIbLb0EES1I_IbLb1EEEEDaS1E_S1F_EUlS1E_E_NS1_11comp_targetILNS1_3genE9ELNS1_11target_archE1100ELNS1_3gpuE3ELNS1_3repE0EEENS1_30default_config_static_selectorELNS0_4arch9wavefront6targetE1EEEvT1_
    .private_segment_fixed_size: 0
    .sgpr_count:     6
    .sgpr_spill_count: 0
    .symbol:         _ZN7rocprim17ROCPRIM_400000_NS6detail17trampoline_kernelINS0_14default_configENS1_25partition_config_selectorILNS1_17partition_subalgoE2ExNS0_10empty_typeEbEEZZNS1_14partition_implILS5_2ELb0ES3_jN6thrust23THRUST_200600_302600_NS6detail15normal_iteratorINSA_7pointerIxNSA_11hip_rocprim3tagENSA_11use_defaultESG_EEEEPS6_NSA_18transform_iteratorI10is_orderedNSA_12zip_iteratorINSA_5tupleINSC_INSA_10device_ptrIxEEEESQ_NSA_9null_typeESR_SR_SR_SR_SR_SR_SR_EEEESG_SG_EENS0_5tupleIJPxSJ_EEENSV_IJSJ_SJ_EEES6_PlJS6_EEE10hipError_tPvRmT3_T4_T5_T6_T7_T9_mT8_P12ihipStream_tbDpT10_ENKUlT_T0_E_clISt17integral_constantIbLb0EES1I_IbLb1EEEEDaS1E_S1F_EUlS1E_E_NS1_11comp_targetILNS1_3genE9ELNS1_11target_archE1100ELNS1_3gpuE3ELNS1_3repE0EEENS1_30default_config_static_selectorELNS0_4arch9wavefront6targetE1EEEvT1_.kd
    .uniform_work_group_size: 1
    .uses_dynamic_stack: false
    .vgpr_count:     0
    .vgpr_spill_count: 0
    .wavefront_size: 64
  - .agpr_count:     0
    .args:
      - .offset:         0
        .size:           152
        .value_kind:     by_value
    .group_segment_fixed_size: 0
    .kernarg_segment_align: 8
    .kernarg_segment_size: 152
    .language:       OpenCL C
    .language_version:
      - 2
      - 0
    .max_flat_workgroup_size: 512
    .name:           _ZN7rocprim17ROCPRIM_400000_NS6detail17trampoline_kernelINS0_14default_configENS1_25partition_config_selectorILNS1_17partition_subalgoE2ExNS0_10empty_typeEbEEZZNS1_14partition_implILS5_2ELb0ES3_jN6thrust23THRUST_200600_302600_NS6detail15normal_iteratorINSA_7pointerIxNSA_11hip_rocprim3tagENSA_11use_defaultESG_EEEEPS6_NSA_18transform_iteratorI10is_orderedNSA_12zip_iteratorINSA_5tupleINSC_INSA_10device_ptrIxEEEESQ_NSA_9null_typeESR_SR_SR_SR_SR_SR_SR_EEEESG_SG_EENS0_5tupleIJPxSJ_EEENSV_IJSJ_SJ_EEES6_PlJS6_EEE10hipError_tPvRmT3_T4_T5_T6_T7_T9_mT8_P12ihipStream_tbDpT10_ENKUlT_T0_E_clISt17integral_constantIbLb0EES1I_IbLb1EEEEDaS1E_S1F_EUlS1E_E_NS1_11comp_targetILNS1_3genE8ELNS1_11target_archE1030ELNS1_3gpuE2ELNS1_3repE0EEENS1_30default_config_static_selectorELNS0_4arch9wavefront6targetE1EEEvT1_
    .private_segment_fixed_size: 0
    .sgpr_count:     6
    .sgpr_spill_count: 0
    .symbol:         _ZN7rocprim17ROCPRIM_400000_NS6detail17trampoline_kernelINS0_14default_configENS1_25partition_config_selectorILNS1_17partition_subalgoE2ExNS0_10empty_typeEbEEZZNS1_14partition_implILS5_2ELb0ES3_jN6thrust23THRUST_200600_302600_NS6detail15normal_iteratorINSA_7pointerIxNSA_11hip_rocprim3tagENSA_11use_defaultESG_EEEEPS6_NSA_18transform_iteratorI10is_orderedNSA_12zip_iteratorINSA_5tupleINSC_INSA_10device_ptrIxEEEESQ_NSA_9null_typeESR_SR_SR_SR_SR_SR_SR_EEEESG_SG_EENS0_5tupleIJPxSJ_EEENSV_IJSJ_SJ_EEES6_PlJS6_EEE10hipError_tPvRmT3_T4_T5_T6_T7_T9_mT8_P12ihipStream_tbDpT10_ENKUlT_T0_E_clISt17integral_constantIbLb0EES1I_IbLb1EEEEDaS1E_S1F_EUlS1E_E_NS1_11comp_targetILNS1_3genE8ELNS1_11target_archE1030ELNS1_3gpuE2ELNS1_3repE0EEENS1_30default_config_static_selectorELNS0_4arch9wavefront6targetE1EEEvT1_.kd
    .uniform_work_group_size: 1
    .uses_dynamic_stack: false
    .vgpr_count:     0
    .vgpr_spill_count: 0
    .wavefront_size: 64
  - .agpr_count:     0
    .args:
      - .offset:         0
        .size:           136
        .value_kind:     by_value
    .group_segment_fixed_size: 0
    .kernarg_segment_align: 8
    .kernarg_segment_size: 136
    .language:       OpenCL C
    .language_version:
      - 2
      - 0
    .max_flat_workgroup_size: 128
    .name:           _ZN7rocprim17ROCPRIM_400000_NS6detail17trampoline_kernelINS0_14default_configENS1_25partition_config_selectorILNS1_17partition_subalgoE2EiNS0_10empty_typeEbEEZZNS1_14partition_implILS5_2ELb0ES3_jN6thrust23THRUST_200600_302600_NS6detail15normal_iteratorINSA_7pointerIiNSA_11hip_rocprim3tagENSA_11use_defaultESG_EEEEPS6_NSA_18transform_iteratorI10is_orderedNSA_12zip_iteratorINSA_5tupleINSC_INSA_10device_ptrIiEEEESQ_NSA_9null_typeESR_SR_SR_SR_SR_SR_SR_EEEESG_SG_EENS0_5tupleIJPiSJ_EEENSV_IJSJ_SJ_EEES6_PlJS6_EEE10hipError_tPvRmT3_T4_T5_T6_T7_T9_mT8_P12ihipStream_tbDpT10_ENKUlT_T0_E_clISt17integral_constantIbLb0EES1J_EEDaS1E_S1F_EUlS1E_E_NS1_11comp_targetILNS1_3genE0ELNS1_11target_archE4294967295ELNS1_3gpuE0ELNS1_3repE0EEENS1_30default_config_static_selectorELNS0_4arch9wavefront6targetE1EEEvT1_
    .private_segment_fixed_size: 0
    .sgpr_count:     6
    .sgpr_spill_count: 0
    .symbol:         _ZN7rocprim17ROCPRIM_400000_NS6detail17trampoline_kernelINS0_14default_configENS1_25partition_config_selectorILNS1_17partition_subalgoE2EiNS0_10empty_typeEbEEZZNS1_14partition_implILS5_2ELb0ES3_jN6thrust23THRUST_200600_302600_NS6detail15normal_iteratorINSA_7pointerIiNSA_11hip_rocprim3tagENSA_11use_defaultESG_EEEEPS6_NSA_18transform_iteratorI10is_orderedNSA_12zip_iteratorINSA_5tupleINSC_INSA_10device_ptrIiEEEESQ_NSA_9null_typeESR_SR_SR_SR_SR_SR_SR_EEEESG_SG_EENS0_5tupleIJPiSJ_EEENSV_IJSJ_SJ_EEES6_PlJS6_EEE10hipError_tPvRmT3_T4_T5_T6_T7_T9_mT8_P12ihipStream_tbDpT10_ENKUlT_T0_E_clISt17integral_constantIbLb0EES1J_EEDaS1E_S1F_EUlS1E_E_NS1_11comp_targetILNS1_3genE0ELNS1_11target_archE4294967295ELNS1_3gpuE0ELNS1_3repE0EEENS1_30default_config_static_selectorELNS0_4arch9wavefront6targetE1EEEvT1_.kd
    .uniform_work_group_size: 1
    .uses_dynamic_stack: false
    .vgpr_count:     0
    .vgpr_spill_count: 0
    .wavefront_size: 64
  - .agpr_count:     0
    .args:
      - .offset:         0
        .size:           136
        .value_kind:     by_value
    .group_segment_fixed_size: 30728
    .kernarg_segment_align: 8
    .kernarg_segment_size: 136
    .language:       OpenCL C
    .language_version:
      - 2
      - 0
    .max_flat_workgroup_size: 512
    .name:           _ZN7rocprim17ROCPRIM_400000_NS6detail17trampoline_kernelINS0_14default_configENS1_25partition_config_selectorILNS1_17partition_subalgoE2EiNS0_10empty_typeEbEEZZNS1_14partition_implILS5_2ELb0ES3_jN6thrust23THRUST_200600_302600_NS6detail15normal_iteratorINSA_7pointerIiNSA_11hip_rocprim3tagENSA_11use_defaultESG_EEEEPS6_NSA_18transform_iteratorI10is_orderedNSA_12zip_iteratorINSA_5tupleINSC_INSA_10device_ptrIiEEEESQ_NSA_9null_typeESR_SR_SR_SR_SR_SR_SR_EEEESG_SG_EENS0_5tupleIJPiSJ_EEENSV_IJSJ_SJ_EEES6_PlJS6_EEE10hipError_tPvRmT3_T4_T5_T6_T7_T9_mT8_P12ihipStream_tbDpT10_ENKUlT_T0_E_clISt17integral_constantIbLb0EES1J_EEDaS1E_S1F_EUlS1E_E_NS1_11comp_targetILNS1_3genE5ELNS1_11target_archE942ELNS1_3gpuE9ELNS1_3repE0EEENS1_30default_config_static_selectorELNS0_4arch9wavefront6targetE1EEEvT1_
    .private_segment_fixed_size: 0
    .sgpr_count:     52
    .sgpr_spill_count: 0
    .symbol:         _ZN7rocprim17ROCPRIM_400000_NS6detail17trampoline_kernelINS0_14default_configENS1_25partition_config_selectorILNS1_17partition_subalgoE2EiNS0_10empty_typeEbEEZZNS1_14partition_implILS5_2ELb0ES3_jN6thrust23THRUST_200600_302600_NS6detail15normal_iteratorINSA_7pointerIiNSA_11hip_rocprim3tagENSA_11use_defaultESG_EEEEPS6_NSA_18transform_iteratorI10is_orderedNSA_12zip_iteratorINSA_5tupleINSC_INSA_10device_ptrIiEEEESQ_NSA_9null_typeESR_SR_SR_SR_SR_SR_SR_EEEESG_SG_EENS0_5tupleIJPiSJ_EEENSV_IJSJ_SJ_EEES6_PlJS6_EEE10hipError_tPvRmT3_T4_T5_T6_T7_T9_mT8_P12ihipStream_tbDpT10_ENKUlT_T0_E_clISt17integral_constantIbLb0EES1J_EEDaS1E_S1F_EUlS1E_E_NS1_11comp_targetILNS1_3genE5ELNS1_11target_archE942ELNS1_3gpuE9ELNS1_3repE0EEENS1_30default_config_static_selectorELNS0_4arch9wavefront6targetE1EEEvT1_.kd
    .uniform_work_group_size: 1
    .uses_dynamic_stack: false
    .vgpr_count:     65
    .vgpr_spill_count: 0
    .wavefront_size: 64
  - .agpr_count:     0
    .args:
      - .offset:         0
        .size:           136
        .value_kind:     by_value
    .group_segment_fixed_size: 0
    .kernarg_segment_align: 8
    .kernarg_segment_size: 136
    .language:       OpenCL C
    .language_version:
      - 2
      - 0
    .max_flat_workgroup_size: 256
    .name:           _ZN7rocprim17ROCPRIM_400000_NS6detail17trampoline_kernelINS0_14default_configENS1_25partition_config_selectorILNS1_17partition_subalgoE2EiNS0_10empty_typeEbEEZZNS1_14partition_implILS5_2ELb0ES3_jN6thrust23THRUST_200600_302600_NS6detail15normal_iteratorINSA_7pointerIiNSA_11hip_rocprim3tagENSA_11use_defaultESG_EEEEPS6_NSA_18transform_iteratorI10is_orderedNSA_12zip_iteratorINSA_5tupleINSC_INSA_10device_ptrIiEEEESQ_NSA_9null_typeESR_SR_SR_SR_SR_SR_SR_EEEESG_SG_EENS0_5tupleIJPiSJ_EEENSV_IJSJ_SJ_EEES6_PlJS6_EEE10hipError_tPvRmT3_T4_T5_T6_T7_T9_mT8_P12ihipStream_tbDpT10_ENKUlT_T0_E_clISt17integral_constantIbLb0EES1J_EEDaS1E_S1F_EUlS1E_E_NS1_11comp_targetILNS1_3genE4ELNS1_11target_archE910ELNS1_3gpuE8ELNS1_3repE0EEENS1_30default_config_static_selectorELNS0_4arch9wavefront6targetE1EEEvT1_
    .private_segment_fixed_size: 0
    .sgpr_count:     6
    .sgpr_spill_count: 0
    .symbol:         _ZN7rocprim17ROCPRIM_400000_NS6detail17trampoline_kernelINS0_14default_configENS1_25partition_config_selectorILNS1_17partition_subalgoE2EiNS0_10empty_typeEbEEZZNS1_14partition_implILS5_2ELb0ES3_jN6thrust23THRUST_200600_302600_NS6detail15normal_iteratorINSA_7pointerIiNSA_11hip_rocprim3tagENSA_11use_defaultESG_EEEEPS6_NSA_18transform_iteratorI10is_orderedNSA_12zip_iteratorINSA_5tupleINSC_INSA_10device_ptrIiEEEESQ_NSA_9null_typeESR_SR_SR_SR_SR_SR_SR_EEEESG_SG_EENS0_5tupleIJPiSJ_EEENSV_IJSJ_SJ_EEES6_PlJS6_EEE10hipError_tPvRmT3_T4_T5_T6_T7_T9_mT8_P12ihipStream_tbDpT10_ENKUlT_T0_E_clISt17integral_constantIbLb0EES1J_EEDaS1E_S1F_EUlS1E_E_NS1_11comp_targetILNS1_3genE4ELNS1_11target_archE910ELNS1_3gpuE8ELNS1_3repE0EEENS1_30default_config_static_selectorELNS0_4arch9wavefront6targetE1EEEvT1_.kd
    .uniform_work_group_size: 1
    .uses_dynamic_stack: false
    .vgpr_count:     0
    .vgpr_spill_count: 0
    .wavefront_size: 64
  - .agpr_count:     0
    .args:
      - .offset:         0
        .size:           136
        .value_kind:     by_value
    .group_segment_fixed_size: 0
    .kernarg_segment_align: 8
    .kernarg_segment_size: 136
    .language:       OpenCL C
    .language_version:
      - 2
      - 0
    .max_flat_workgroup_size: 128
    .name:           _ZN7rocprim17ROCPRIM_400000_NS6detail17trampoline_kernelINS0_14default_configENS1_25partition_config_selectorILNS1_17partition_subalgoE2EiNS0_10empty_typeEbEEZZNS1_14partition_implILS5_2ELb0ES3_jN6thrust23THRUST_200600_302600_NS6detail15normal_iteratorINSA_7pointerIiNSA_11hip_rocprim3tagENSA_11use_defaultESG_EEEEPS6_NSA_18transform_iteratorI10is_orderedNSA_12zip_iteratorINSA_5tupleINSC_INSA_10device_ptrIiEEEESQ_NSA_9null_typeESR_SR_SR_SR_SR_SR_SR_EEEESG_SG_EENS0_5tupleIJPiSJ_EEENSV_IJSJ_SJ_EEES6_PlJS6_EEE10hipError_tPvRmT3_T4_T5_T6_T7_T9_mT8_P12ihipStream_tbDpT10_ENKUlT_T0_E_clISt17integral_constantIbLb0EES1J_EEDaS1E_S1F_EUlS1E_E_NS1_11comp_targetILNS1_3genE3ELNS1_11target_archE908ELNS1_3gpuE7ELNS1_3repE0EEENS1_30default_config_static_selectorELNS0_4arch9wavefront6targetE1EEEvT1_
    .private_segment_fixed_size: 0
    .sgpr_count:     6
    .sgpr_spill_count: 0
    .symbol:         _ZN7rocprim17ROCPRIM_400000_NS6detail17trampoline_kernelINS0_14default_configENS1_25partition_config_selectorILNS1_17partition_subalgoE2EiNS0_10empty_typeEbEEZZNS1_14partition_implILS5_2ELb0ES3_jN6thrust23THRUST_200600_302600_NS6detail15normal_iteratorINSA_7pointerIiNSA_11hip_rocprim3tagENSA_11use_defaultESG_EEEEPS6_NSA_18transform_iteratorI10is_orderedNSA_12zip_iteratorINSA_5tupleINSC_INSA_10device_ptrIiEEEESQ_NSA_9null_typeESR_SR_SR_SR_SR_SR_SR_EEEESG_SG_EENS0_5tupleIJPiSJ_EEENSV_IJSJ_SJ_EEES6_PlJS6_EEE10hipError_tPvRmT3_T4_T5_T6_T7_T9_mT8_P12ihipStream_tbDpT10_ENKUlT_T0_E_clISt17integral_constantIbLb0EES1J_EEDaS1E_S1F_EUlS1E_E_NS1_11comp_targetILNS1_3genE3ELNS1_11target_archE908ELNS1_3gpuE7ELNS1_3repE0EEENS1_30default_config_static_selectorELNS0_4arch9wavefront6targetE1EEEvT1_.kd
    .uniform_work_group_size: 1
    .uses_dynamic_stack: false
    .vgpr_count:     0
    .vgpr_spill_count: 0
    .wavefront_size: 64
  - .agpr_count:     0
    .args:
      - .offset:         0
        .size:           136
        .value_kind:     by_value
    .group_segment_fixed_size: 0
    .kernarg_segment_align: 8
    .kernarg_segment_size: 136
    .language:       OpenCL C
    .language_version:
      - 2
      - 0
    .max_flat_workgroup_size: 256
    .name:           _ZN7rocprim17ROCPRIM_400000_NS6detail17trampoline_kernelINS0_14default_configENS1_25partition_config_selectorILNS1_17partition_subalgoE2EiNS0_10empty_typeEbEEZZNS1_14partition_implILS5_2ELb0ES3_jN6thrust23THRUST_200600_302600_NS6detail15normal_iteratorINSA_7pointerIiNSA_11hip_rocprim3tagENSA_11use_defaultESG_EEEEPS6_NSA_18transform_iteratorI10is_orderedNSA_12zip_iteratorINSA_5tupleINSC_INSA_10device_ptrIiEEEESQ_NSA_9null_typeESR_SR_SR_SR_SR_SR_SR_EEEESG_SG_EENS0_5tupleIJPiSJ_EEENSV_IJSJ_SJ_EEES6_PlJS6_EEE10hipError_tPvRmT3_T4_T5_T6_T7_T9_mT8_P12ihipStream_tbDpT10_ENKUlT_T0_E_clISt17integral_constantIbLb0EES1J_EEDaS1E_S1F_EUlS1E_E_NS1_11comp_targetILNS1_3genE2ELNS1_11target_archE906ELNS1_3gpuE6ELNS1_3repE0EEENS1_30default_config_static_selectorELNS0_4arch9wavefront6targetE1EEEvT1_
    .private_segment_fixed_size: 0
    .sgpr_count:     6
    .sgpr_spill_count: 0
    .symbol:         _ZN7rocprim17ROCPRIM_400000_NS6detail17trampoline_kernelINS0_14default_configENS1_25partition_config_selectorILNS1_17partition_subalgoE2EiNS0_10empty_typeEbEEZZNS1_14partition_implILS5_2ELb0ES3_jN6thrust23THRUST_200600_302600_NS6detail15normal_iteratorINSA_7pointerIiNSA_11hip_rocprim3tagENSA_11use_defaultESG_EEEEPS6_NSA_18transform_iteratorI10is_orderedNSA_12zip_iteratorINSA_5tupleINSC_INSA_10device_ptrIiEEEESQ_NSA_9null_typeESR_SR_SR_SR_SR_SR_SR_EEEESG_SG_EENS0_5tupleIJPiSJ_EEENSV_IJSJ_SJ_EEES6_PlJS6_EEE10hipError_tPvRmT3_T4_T5_T6_T7_T9_mT8_P12ihipStream_tbDpT10_ENKUlT_T0_E_clISt17integral_constantIbLb0EES1J_EEDaS1E_S1F_EUlS1E_E_NS1_11comp_targetILNS1_3genE2ELNS1_11target_archE906ELNS1_3gpuE6ELNS1_3repE0EEENS1_30default_config_static_selectorELNS0_4arch9wavefront6targetE1EEEvT1_.kd
    .uniform_work_group_size: 1
    .uses_dynamic_stack: false
    .vgpr_count:     0
    .vgpr_spill_count: 0
    .wavefront_size: 64
  - .agpr_count:     0
    .args:
      - .offset:         0
        .size:           136
        .value_kind:     by_value
    .group_segment_fixed_size: 0
    .kernarg_segment_align: 8
    .kernarg_segment_size: 136
    .language:       OpenCL C
    .language_version:
      - 2
      - 0
    .max_flat_workgroup_size: 384
    .name:           _ZN7rocprim17ROCPRIM_400000_NS6detail17trampoline_kernelINS0_14default_configENS1_25partition_config_selectorILNS1_17partition_subalgoE2EiNS0_10empty_typeEbEEZZNS1_14partition_implILS5_2ELb0ES3_jN6thrust23THRUST_200600_302600_NS6detail15normal_iteratorINSA_7pointerIiNSA_11hip_rocprim3tagENSA_11use_defaultESG_EEEEPS6_NSA_18transform_iteratorI10is_orderedNSA_12zip_iteratorINSA_5tupleINSC_INSA_10device_ptrIiEEEESQ_NSA_9null_typeESR_SR_SR_SR_SR_SR_SR_EEEESG_SG_EENS0_5tupleIJPiSJ_EEENSV_IJSJ_SJ_EEES6_PlJS6_EEE10hipError_tPvRmT3_T4_T5_T6_T7_T9_mT8_P12ihipStream_tbDpT10_ENKUlT_T0_E_clISt17integral_constantIbLb0EES1J_EEDaS1E_S1F_EUlS1E_E_NS1_11comp_targetILNS1_3genE10ELNS1_11target_archE1200ELNS1_3gpuE4ELNS1_3repE0EEENS1_30default_config_static_selectorELNS0_4arch9wavefront6targetE1EEEvT1_
    .private_segment_fixed_size: 0
    .sgpr_count:     6
    .sgpr_spill_count: 0
    .symbol:         _ZN7rocprim17ROCPRIM_400000_NS6detail17trampoline_kernelINS0_14default_configENS1_25partition_config_selectorILNS1_17partition_subalgoE2EiNS0_10empty_typeEbEEZZNS1_14partition_implILS5_2ELb0ES3_jN6thrust23THRUST_200600_302600_NS6detail15normal_iteratorINSA_7pointerIiNSA_11hip_rocprim3tagENSA_11use_defaultESG_EEEEPS6_NSA_18transform_iteratorI10is_orderedNSA_12zip_iteratorINSA_5tupleINSC_INSA_10device_ptrIiEEEESQ_NSA_9null_typeESR_SR_SR_SR_SR_SR_SR_EEEESG_SG_EENS0_5tupleIJPiSJ_EEENSV_IJSJ_SJ_EEES6_PlJS6_EEE10hipError_tPvRmT3_T4_T5_T6_T7_T9_mT8_P12ihipStream_tbDpT10_ENKUlT_T0_E_clISt17integral_constantIbLb0EES1J_EEDaS1E_S1F_EUlS1E_E_NS1_11comp_targetILNS1_3genE10ELNS1_11target_archE1200ELNS1_3gpuE4ELNS1_3repE0EEENS1_30default_config_static_selectorELNS0_4arch9wavefront6targetE1EEEvT1_.kd
    .uniform_work_group_size: 1
    .uses_dynamic_stack: false
    .vgpr_count:     0
    .vgpr_spill_count: 0
    .wavefront_size: 64
  - .agpr_count:     0
    .args:
      - .offset:         0
        .size:           136
        .value_kind:     by_value
    .group_segment_fixed_size: 0
    .kernarg_segment_align: 8
    .kernarg_segment_size: 136
    .language:       OpenCL C
    .language_version:
      - 2
      - 0
    .max_flat_workgroup_size: 128
    .name:           _ZN7rocprim17ROCPRIM_400000_NS6detail17trampoline_kernelINS0_14default_configENS1_25partition_config_selectorILNS1_17partition_subalgoE2EiNS0_10empty_typeEbEEZZNS1_14partition_implILS5_2ELb0ES3_jN6thrust23THRUST_200600_302600_NS6detail15normal_iteratorINSA_7pointerIiNSA_11hip_rocprim3tagENSA_11use_defaultESG_EEEEPS6_NSA_18transform_iteratorI10is_orderedNSA_12zip_iteratorINSA_5tupleINSC_INSA_10device_ptrIiEEEESQ_NSA_9null_typeESR_SR_SR_SR_SR_SR_SR_EEEESG_SG_EENS0_5tupleIJPiSJ_EEENSV_IJSJ_SJ_EEES6_PlJS6_EEE10hipError_tPvRmT3_T4_T5_T6_T7_T9_mT8_P12ihipStream_tbDpT10_ENKUlT_T0_E_clISt17integral_constantIbLb0EES1J_EEDaS1E_S1F_EUlS1E_E_NS1_11comp_targetILNS1_3genE9ELNS1_11target_archE1100ELNS1_3gpuE3ELNS1_3repE0EEENS1_30default_config_static_selectorELNS0_4arch9wavefront6targetE1EEEvT1_
    .private_segment_fixed_size: 0
    .sgpr_count:     6
    .sgpr_spill_count: 0
    .symbol:         _ZN7rocprim17ROCPRIM_400000_NS6detail17trampoline_kernelINS0_14default_configENS1_25partition_config_selectorILNS1_17partition_subalgoE2EiNS0_10empty_typeEbEEZZNS1_14partition_implILS5_2ELb0ES3_jN6thrust23THRUST_200600_302600_NS6detail15normal_iteratorINSA_7pointerIiNSA_11hip_rocprim3tagENSA_11use_defaultESG_EEEEPS6_NSA_18transform_iteratorI10is_orderedNSA_12zip_iteratorINSA_5tupleINSC_INSA_10device_ptrIiEEEESQ_NSA_9null_typeESR_SR_SR_SR_SR_SR_SR_EEEESG_SG_EENS0_5tupleIJPiSJ_EEENSV_IJSJ_SJ_EEES6_PlJS6_EEE10hipError_tPvRmT3_T4_T5_T6_T7_T9_mT8_P12ihipStream_tbDpT10_ENKUlT_T0_E_clISt17integral_constantIbLb0EES1J_EEDaS1E_S1F_EUlS1E_E_NS1_11comp_targetILNS1_3genE9ELNS1_11target_archE1100ELNS1_3gpuE3ELNS1_3repE0EEENS1_30default_config_static_selectorELNS0_4arch9wavefront6targetE1EEEvT1_.kd
    .uniform_work_group_size: 1
    .uses_dynamic_stack: false
    .vgpr_count:     0
    .vgpr_spill_count: 0
    .wavefront_size: 64
  - .agpr_count:     0
    .args:
      - .offset:         0
        .size:           136
        .value_kind:     by_value
    .group_segment_fixed_size: 0
    .kernarg_segment_align: 8
    .kernarg_segment_size: 136
    .language:       OpenCL C
    .language_version:
      - 2
      - 0
    .max_flat_workgroup_size: 512
    .name:           _ZN7rocprim17ROCPRIM_400000_NS6detail17trampoline_kernelINS0_14default_configENS1_25partition_config_selectorILNS1_17partition_subalgoE2EiNS0_10empty_typeEbEEZZNS1_14partition_implILS5_2ELb0ES3_jN6thrust23THRUST_200600_302600_NS6detail15normal_iteratorINSA_7pointerIiNSA_11hip_rocprim3tagENSA_11use_defaultESG_EEEEPS6_NSA_18transform_iteratorI10is_orderedNSA_12zip_iteratorINSA_5tupleINSC_INSA_10device_ptrIiEEEESQ_NSA_9null_typeESR_SR_SR_SR_SR_SR_SR_EEEESG_SG_EENS0_5tupleIJPiSJ_EEENSV_IJSJ_SJ_EEES6_PlJS6_EEE10hipError_tPvRmT3_T4_T5_T6_T7_T9_mT8_P12ihipStream_tbDpT10_ENKUlT_T0_E_clISt17integral_constantIbLb0EES1J_EEDaS1E_S1F_EUlS1E_E_NS1_11comp_targetILNS1_3genE8ELNS1_11target_archE1030ELNS1_3gpuE2ELNS1_3repE0EEENS1_30default_config_static_selectorELNS0_4arch9wavefront6targetE1EEEvT1_
    .private_segment_fixed_size: 0
    .sgpr_count:     6
    .sgpr_spill_count: 0
    .symbol:         _ZN7rocprim17ROCPRIM_400000_NS6detail17trampoline_kernelINS0_14default_configENS1_25partition_config_selectorILNS1_17partition_subalgoE2EiNS0_10empty_typeEbEEZZNS1_14partition_implILS5_2ELb0ES3_jN6thrust23THRUST_200600_302600_NS6detail15normal_iteratorINSA_7pointerIiNSA_11hip_rocprim3tagENSA_11use_defaultESG_EEEEPS6_NSA_18transform_iteratorI10is_orderedNSA_12zip_iteratorINSA_5tupleINSC_INSA_10device_ptrIiEEEESQ_NSA_9null_typeESR_SR_SR_SR_SR_SR_SR_EEEESG_SG_EENS0_5tupleIJPiSJ_EEENSV_IJSJ_SJ_EEES6_PlJS6_EEE10hipError_tPvRmT3_T4_T5_T6_T7_T9_mT8_P12ihipStream_tbDpT10_ENKUlT_T0_E_clISt17integral_constantIbLb0EES1J_EEDaS1E_S1F_EUlS1E_E_NS1_11comp_targetILNS1_3genE8ELNS1_11target_archE1030ELNS1_3gpuE2ELNS1_3repE0EEENS1_30default_config_static_selectorELNS0_4arch9wavefront6targetE1EEEvT1_.kd
    .uniform_work_group_size: 1
    .uses_dynamic_stack: false
    .vgpr_count:     0
    .vgpr_spill_count: 0
    .wavefront_size: 64
  - .agpr_count:     0
    .args:
      - .offset:         0
        .size:           152
        .value_kind:     by_value
    .group_segment_fixed_size: 0
    .kernarg_segment_align: 8
    .kernarg_segment_size: 152
    .language:       OpenCL C
    .language_version:
      - 2
      - 0
    .max_flat_workgroup_size: 128
    .name:           _ZN7rocprim17ROCPRIM_400000_NS6detail17trampoline_kernelINS0_14default_configENS1_25partition_config_selectorILNS1_17partition_subalgoE2EiNS0_10empty_typeEbEEZZNS1_14partition_implILS5_2ELb0ES3_jN6thrust23THRUST_200600_302600_NS6detail15normal_iteratorINSA_7pointerIiNSA_11hip_rocprim3tagENSA_11use_defaultESG_EEEEPS6_NSA_18transform_iteratorI10is_orderedNSA_12zip_iteratorINSA_5tupleINSC_INSA_10device_ptrIiEEEESQ_NSA_9null_typeESR_SR_SR_SR_SR_SR_SR_EEEESG_SG_EENS0_5tupleIJPiSJ_EEENSV_IJSJ_SJ_EEES6_PlJS6_EEE10hipError_tPvRmT3_T4_T5_T6_T7_T9_mT8_P12ihipStream_tbDpT10_ENKUlT_T0_E_clISt17integral_constantIbLb1EES1J_EEDaS1E_S1F_EUlS1E_E_NS1_11comp_targetILNS1_3genE0ELNS1_11target_archE4294967295ELNS1_3gpuE0ELNS1_3repE0EEENS1_30default_config_static_selectorELNS0_4arch9wavefront6targetE1EEEvT1_
    .private_segment_fixed_size: 0
    .sgpr_count:     6
    .sgpr_spill_count: 0
    .symbol:         _ZN7rocprim17ROCPRIM_400000_NS6detail17trampoline_kernelINS0_14default_configENS1_25partition_config_selectorILNS1_17partition_subalgoE2EiNS0_10empty_typeEbEEZZNS1_14partition_implILS5_2ELb0ES3_jN6thrust23THRUST_200600_302600_NS6detail15normal_iteratorINSA_7pointerIiNSA_11hip_rocprim3tagENSA_11use_defaultESG_EEEEPS6_NSA_18transform_iteratorI10is_orderedNSA_12zip_iteratorINSA_5tupleINSC_INSA_10device_ptrIiEEEESQ_NSA_9null_typeESR_SR_SR_SR_SR_SR_SR_EEEESG_SG_EENS0_5tupleIJPiSJ_EEENSV_IJSJ_SJ_EEES6_PlJS6_EEE10hipError_tPvRmT3_T4_T5_T6_T7_T9_mT8_P12ihipStream_tbDpT10_ENKUlT_T0_E_clISt17integral_constantIbLb1EES1J_EEDaS1E_S1F_EUlS1E_E_NS1_11comp_targetILNS1_3genE0ELNS1_11target_archE4294967295ELNS1_3gpuE0ELNS1_3repE0EEENS1_30default_config_static_selectorELNS0_4arch9wavefront6targetE1EEEvT1_.kd
    .uniform_work_group_size: 1
    .uses_dynamic_stack: false
    .vgpr_count:     0
    .vgpr_spill_count: 0
    .wavefront_size: 64
  - .agpr_count:     0
    .args:
      - .offset:         0
        .size:           152
        .value_kind:     by_value
    .group_segment_fixed_size: 30728
    .kernarg_segment_align: 8
    .kernarg_segment_size: 152
    .language:       OpenCL C
    .language_version:
      - 2
      - 0
    .max_flat_workgroup_size: 512
    .name:           _ZN7rocprim17ROCPRIM_400000_NS6detail17trampoline_kernelINS0_14default_configENS1_25partition_config_selectorILNS1_17partition_subalgoE2EiNS0_10empty_typeEbEEZZNS1_14partition_implILS5_2ELb0ES3_jN6thrust23THRUST_200600_302600_NS6detail15normal_iteratorINSA_7pointerIiNSA_11hip_rocprim3tagENSA_11use_defaultESG_EEEEPS6_NSA_18transform_iteratorI10is_orderedNSA_12zip_iteratorINSA_5tupleINSC_INSA_10device_ptrIiEEEESQ_NSA_9null_typeESR_SR_SR_SR_SR_SR_SR_EEEESG_SG_EENS0_5tupleIJPiSJ_EEENSV_IJSJ_SJ_EEES6_PlJS6_EEE10hipError_tPvRmT3_T4_T5_T6_T7_T9_mT8_P12ihipStream_tbDpT10_ENKUlT_T0_E_clISt17integral_constantIbLb1EES1J_EEDaS1E_S1F_EUlS1E_E_NS1_11comp_targetILNS1_3genE5ELNS1_11target_archE942ELNS1_3gpuE9ELNS1_3repE0EEENS1_30default_config_static_selectorELNS0_4arch9wavefront6targetE1EEEvT1_
    .private_segment_fixed_size: 0
    .sgpr_count:     52
    .sgpr_spill_count: 0
    .symbol:         _ZN7rocprim17ROCPRIM_400000_NS6detail17trampoline_kernelINS0_14default_configENS1_25partition_config_selectorILNS1_17partition_subalgoE2EiNS0_10empty_typeEbEEZZNS1_14partition_implILS5_2ELb0ES3_jN6thrust23THRUST_200600_302600_NS6detail15normal_iteratorINSA_7pointerIiNSA_11hip_rocprim3tagENSA_11use_defaultESG_EEEEPS6_NSA_18transform_iteratorI10is_orderedNSA_12zip_iteratorINSA_5tupleINSC_INSA_10device_ptrIiEEEESQ_NSA_9null_typeESR_SR_SR_SR_SR_SR_SR_EEEESG_SG_EENS0_5tupleIJPiSJ_EEENSV_IJSJ_SJ_EEES6_PlJS6_EEE10hipError_tPvRmT3_T4_T5_T6_T7_T9_mT8_P12ihipStream_tbDpT10_ENKUlT_T0_E_clISt17integral_constantIbLb1EES1J_EEDaS1E_S1F_EUlS1E_E_NS1_11comp_targetILNS1_3genE5ELNS1_11target_archE942ELNS1_3gpuE9ELNS1_3repE0EEENS1_30default_config_static_selectorELNS0_4arch9wavefront6targetE1EEEvT1_.kd
    .uniform_work_group_size: 1
    .uses_dynamic_stack: false
    .vgpr_count:     67
    .vgpr_spill_count: 0
    .wavefront_size: 64
  - .agpr_count:     0
    .args:
      - .offset:         0
        .size:           152
        .value_kind:     by_value
    .group_segment_fixed_size: 0
    .kernarg_segment_align: 8
    .kernarg_segment_size: 152
    .language:       OpenCL C
    .language_version:
      - 2
      - 0
    .max_flat_workgroup_size: 256
    .name:           _ZN7rocprim17ROCPRIM_400000_NS6detail17trampoline_kernelINS0_14default_configENS1_25partition_config_selectorILNS1_17partition_subalgoE2EiNS0_10empty_typeEbEEZZNS1_14partition_implILS5_2ELb0ES3_jN6thrust23THRUST_200600_302600_NS6detail15normal_iteratorINSA_7pointerIiNSA_11hip_rocprim3tagENSA_11use_defaultESG_EEEEPS6_NSA_18transform_iteratorI10is_orderedNSA_12zip_iteratorINSA_5tupleINSC_INSA_10device_ptrIiEEEESQ_NSA_9null_typeESR_SR_SR_SR_SR_SR_SR_EEEESG_SG_EENS0_5tupleIJPiSJ_EEENSV_IJSJ_SJ_EEES6_PlJS6_EEE10hipError_tPvRmT3_T4_T5_T6_T7_T9_mT8_P12ihipStream_tbDpT10_ENKUlT_T0_E_clISt17integral_constantIbLb1EES1J_EEDaS1E_S1F_EUlS1E_E_NS1_11comp_targetILNS1_3genE4ELNS1_11target_archE910ELNS1_3gpuE8ELNS1_3repE0EEENS1_30default_config_static_selectorELNS0_4arch9wavefront6targetE1EEEvT1_
    .private_segment_fixed_size: 0
    .sgpr_count:     6
    .sgpr_spill_count: 0
    .symbol:         _ZN7rocprim17ROCPRIM_400000_NS6detail17trampoline_kernelINS0_14default_configENS1_25partition_config_selectorILNS1_17partition_subalgoE2EiNS0_10empty_typeEbEEZZNS1_14partition_implILS5_2ELb0ES3_jN6thrust23THRUST_200600_302600_NS6detail15normal_iteratorINSA_7pointerIiNSA_11hip_rocprim3tagENSA_11use_defaultESG_EEEEPS6_NSA_18transform_iteratorI10is_orderedNSA_12zip_iteratorINSA_5tupleINSC_INSA_10device_ptrIiEEEESQ_NSA_9null_typeESR_SR_SR_SR_SR_SR_SR_EEEESG_SG_EENS0_5tupleIJPiSJ_EEENSV_IJSJ_SJ_EEES6_PlJS6_EEE10hipError_tPvRmT3_T4_T5_T6_T7_T9_mT8_P12ihipStream_tbDpT10_ENKUlT_T0_E_clISt17integral_constantIbLb1EES1J_EEDaS1E_S1F_EUlS1E_E_NS1_11comp_targetILNS1_3genE4ELNS1_11target_archE910ELNS1_3gpuE8ELNS1_3repE0EEENS1_30default_config_static_selectorELNS0_4arch9wavefront6targetE1EEEvT1_.kd
    .uniform_work_group_size: 1
    .uses_dynamic_stack: false
    .vgpr_count:     0
    .vgpr_spill_count: 0
    .wavefront_size: 64
  - .agpr_count:     0
    .args:
      - .offset:         0
        .size:           152
        .value_kind:     by_value
    .group_segment_fixed_size: 0
    .kernarg_segment_align: 8
    .kernarg_segment_size: 152
    .language:       OpenCL C
    .language_version:
      - 2
      - 0
    .max_flat_workgroup_size: 128
    .name:           _ZN7rocprim17ROCPRIM_400000_NS6detail17trampoline_kernelINS0_14default_configENS1_25partition_config_selectorILNS1_17partition_subalgoE2EiNS0_10empty_typeEbEEZZNS1_14partition_implILS5_2ELb0ES3_jN6thrust23THRUST_200600_302600_NS6detail15normal_iteratorINSA_7pointerIiNSA_11hip_rocprim3tagENSA_11use_defaultESG_EEEEPS6_NSA_18transform_iteratorI10is_orderedNSA_12zip_iteratorINSA_5tupleINSC_INSA_10device_ptrIiEEEESQ_NSA_9null_typeESR_SR_SR_SR_SR_SR_SR_EEEESG_SG_EENS0_5tupleIJPiSJ_EEENSV_IJSJ_SJ_EEES6_PlJS6_EEE10hipError_tPvRmT3_T4_T5_T6_T7_T9_mT8_P12ihipStream_tbDpT10_ENKUlT_T0_E_clISt17integral_constantIbLb1EES1J_EEDaS1E_S1F_EUlS1E_E_NS1_11comp_targetILNS1_3genE3ELNS1_11target_archE908ELNS1_3gpuE7ELNS1_3repE0EEENS1_30default_config_static_selectorELNS0_4arch9wavefront6targetE1EEEvT1_
    .private_segment_fixed_size: 0
    .sgpr_count:     6
    .sgpr_spill_count: 0
    .symbol:         _ZN7rocprim17ROCPRIM_400000_NS6detail17trampoline_kernelINS0_14default_configENS1_25partition_config_selectorILNS1_17partition_subalgoE2EiNS0_10empty_typeEbEEZZNS1_14partition_implILS5_2ELb0ES3_jN6thrust23THRUST_200600_302600_NS6detail15normal_iteratorINSA_7pointerIiNSA_11hip_rocprim3tagENSA_11use_defaultESG_EEEEPS6_NSA_18transform_iteratorI10is_orderedNSA_12zip_iteratorINSA_5tupleINSC_INSA_10device_ptrIiEEEESQ_NSA_9null_typeESR_SR_SR_SR_SR_SR_SR_EEEESG_SG_EENS0_5tupleIJPiSJ_EEENSV_IJSJ_SJ_EEES6_PlJS6_EEE10hipError_tPvRmT3_T4_T5_T6_T7_T9_mT8_P12ihipStream_tbDpT10_ENKUlT_T0_E_clISt17integral_constantIbLb1EES1J_EEDaS1E_S1F_EUlS1E_E_NS1_11comp_targetILNS1_3genE3ELNS1_11target_archE908ELNS1_3gpuE7ELNS1_3repE0EEENS1_30default_config_static_selectorELNS0_4arch9wavefront6targetE1EEEvT1_.kd
    .uniform_work_group_size: 1
    .uses_dynamic_stack: false
    .vgpr_count:     0
    .vgpr_spill_count: 0
    .wavefront_size: 64
  - .agpr_count:     0
    .args:
      - .offset:         0
        .size:           152
        .value_kind:     by_value
    .group_segment_fixed_size: 0
    .kernarg_segment_align: 8
    .kernarg_segment_size: 152
    .language:       OpenCL C
    .language_version:
      - 2
      - 0
    .max_flat_workgroup_size: 256
    .name:           _ZN7rocprim17ROCPRIM_400000_NS6detail17trampoline_kernelINS0_14default_configENS1_25partition_config_selectorILNS1_17partition_subalgoE2EiNS0_10empty_typeEbEEZZNS1_14partition_implILS5_2ELb0ES3_jN6thrust23THRUST_200600_302600_NS6detail15normal_iteratorINSA_7pointerIiNSA_11hip_rocprim3tagENSA_11use_defaultESG_EEEEPS6_NSA_18transform_iteratorI10is_orderedNSA_12zip_iteratorINSA_5tupleINSC_INSA_10device_ptrIiEEEESQ_NSA_9null_typeESR_SR_SR_SR_SR_SR_SR_EEEESG_SG_EENS0_5tupleIJPiSJ_EEENSV_IJSJ_SJ_EEES6_PlJS6_EEE10hipError_tPvRmT3_T4_T5_T6_T7_T9_mT8_P12ihipStream_tbDpT10_ENKUlT_T0_E_clISt17integral_constantIbLb1EES1J_EEDaS1E_S1F_EUlS1E_E_NS1_11comp_targetILNS1_3genE2ELNS1_11target_archE906ELNS1_3gpuE6ELNS1_3repE0EEENS1_30default_config_static_selectorELNS0_4arch9wavefront6targetE1EEEvT1_
    .private_segment_fixed_size: 0
    .sgpr_count:     6
    .sgpr_spill_count: 0
    .symbol:         _ZN7rocprim17ROCPRIM_400000_NS6detail17trampoline_kernelINS0_14default_configENS1_25partition_config_selectorILNS1_17partition_subalgoE2EiNS0_10empty_typeEbEEZZNS1_14partition_implILS5_2ELb0ES3_jN6thrust23THRUST_200600_302600_NS6detail15normal_iteratorINSA_7pointerIiNSA_11hip_rocprim3tagENSA_11use_defaultESG_EEEEPS6_NSA_18transform_iteratorI10is_orderedNSA_12zip_iteratorINSA_5tupleINSC_INSA_10device_ptrIiEEEESQ_NSA_9null_typeESR_SR_SR_SR_SR_SR_SR_EEEESG_SG_EENS0_5tupleIJPiSJ_EEENSV_IJSJ_SJ_EEES6_PlJS6_EEE10hipError_tPvRmT3_T4_T5_T6_T7_T9_mT8_P12ihipStream_tbDpT10_ENKUlT_T0_E_clISt17integral_constantIbLb1EES1J_EEDaS1E_S1F_EUlS1E_E_NS1_11comp_targetILNS1_3genE2ELNS1_11target_archE906ELNS1_3gpuE6ELNS1_3repE0EEENS1_30default_config_static_selectorELNS0_4arch9wavefront6targetE1EEEvT1_.kd
    .uniform_work_group_size: 1
    .uses_dynamic_stack: false
    .vgpr_count:     0
    .vgpr_spill_count: 0
    .wavefront_size: 64
  - .agpr_count:     0
    .args:
      - .offset:         0
        .size:           152
        .value_kind:     by_value
    .group_segment_fixed_size: 0
    .kernarg_segment_align: 8
    .kernarg_segment_size: 152
    .language:       OpenCL C
    .language_version:
      - 2
      - 0
    .max_flat_workgroup_size: 384
    .name:           _ZN7rocprim17ROCPRIM_400000_NS6detail17trampoline_kernelINS0_14default_configENS1_25partition_config_selectorILNS1_17partition_subalgoE2EiNS0_10empty_typeEbEEZZNS1_14partition_implILS5_2ELb0ES3_jN6thrust23THRUST_200600_302600_NS6detail15normal_iteratorINSA_7pointerIiNSA_11hip_rocprim3tagENSA_11use_defaultESG_EEEEPS6_NSA_18transform_iteratorI10is_orderedNSA_12zip_iteratorINSA_5tupleINSC_INSA_10device_ptrIiEEEESQ_NSA_9null_typeESR_SR_SR_SR_SR_SR_SR_EEEESG_SG_EENS0_5tupleIJPiSJ_EEENSV_IJSJ_SJ_EEES6_PlJS6_EEE10hipError_tPvRmT3_T4_T5_T6_T7_T9_mT8_P12ihipStream_tbDpT10_ENKUlT_T0_E_clISt17integral_constantIbLb1EES1J_EEDaS1E_S1F_EUlS1E_E_NS1_11comp_targetILNS1_3genE10ELNS1_11target_archE1200ELNS1_3gpuE4ELNS1_3repE0EEENS1_30default_config_static_selectorELNS0_4arch9wavefront6targetE1EEEvT1_
    .private_segment_fixed_size: 0
    .sgpr_count:     6
    .sgpr_spill_count: 0
    .symbol:         _ZN7rocprim17ROCPRIM_400000_NS6detail17trampoline_kernelINS0_14default_configENS1_25partition_config_selectorILNS1_17partition_subalgoE2EiNS0_10empty_typeEbEEZZNS1_14partition_implILS5_2ELb0ES3_jN6thrust23THRUST_200600_302600_NS6detail15normal_iteratorINSA_7pointerIiNSA_11hip_rocprim3tagENSA_11use_defaultESG_EEEEPS6_NSA_18transform_iteratorI10is_orderedNSA_12zip_iteratorINSA_5tupleINSC_INSA_10device_ptrIiEEEESQ_NSA_9null_typeESR_SR_SR_SR_SR_SR_SR_EEEESG_SG_EENS0_5tupleIJPiSJ_EEENSV_IJSJ_SJ_EEES6_PlJS6_EEE10hipError_tPvRmT3_T4_T5_T6_T7_T9_mT8_P12ihipStream_tbDpT10_ENKUlT_T0_E_clISt17integral_constantIbLb1EES1J_EEDaS1E_S1F_EUlS1E_E_NS1_11comp_targetILNS1_3genE10ELNS1_11target_archE1200ELNS1_3gpuE4ELNS1_3repE0EEENS1_30default_config_static_selectorELNS0_4arch9wavefront6targetE1EEEvT1_.kd
    .uniform_work_group_size: 1
    .uses_dynamic_stack: false
    .vgpr_count:     0
    .vgpr_spill_count: 0
    .wavefront_size: 64
  - .agpr_count:     0
    .args:
      - .offset:         0
        .size:           152
        .value_kind:     by_value
    .group_segment_fixed_size: 0
    .kernarg_segment_align: 8
    .kernarg_segment_size: 152
    .language:       OpenCL C
    .language_version:
      - 2
      - 0
    .max_flat_workgroup_size: 128
    .name:           _ZN7rocprim17ROCPRIM_400000_NS6detail17trampoline_kernelINS0_14default_configENS1_25partition_config_selectorILNS1_17partition_subalgoE2EiNS0_10empty_typeEbEEZZNS1_14partition_implILS5_2ELb0ES3_jN6thrust23THRUST_200600_302600_NS6detail15normal_iteratorINSA_7pointerIiNSA_11hip_rocprim3tagENSA_11use_defaultESG_EEEEPS6_NSA_18transform_iteratorI10is_orderedNSA_12zip_iteratorINSA_5tupleINSC_INSA_10device_ptrIiEEEESQ_NSA_9null_typeESR_SR_SR_SR_SR_SR_SR_EEEESG_SG_EENS0_5tupleIJPiSJ_EEENSV_IJSJ_SJ_EEES6_PlJS6_EEE10hipError_tPvRmT3_T4_T5_T6_T7_T9_mT8_P12ihipStream_tbDpT10_ENKUlT_T0_E_clISt17integral_constantIbLb1EES1J_EEDaS1E_S1F_EUlS1E_E_NS1_11comp_targetILNS1_3genE9ELNS1_11target_archE1100ELNS1_3gpuE3ELNS1_3repE0EEENS1_30default_config_static_selectorELNS0_4arch9wavefront6targetE1EEEvT1_
    .private_segment_fixed_size: 0
    .sgpr_count:     6
    .sgpr_spill_count: 0
    .symbol:         _ZN7rocprim17ROCPRIM_400000_NS6detail17trampoline_kernelINS0_14default_configENS1_25partition_config_selectorILNS1_17partition_subalgoE2EiNS0_10empty_typeEbEEZZNS1_14partition_implILS5_2ELb0ES3_jN6thrust23THRUST_200600_302600_NS6detail15normal_iteratorINSA_7pointerIiNSA_11hip_rocprim3tagENSA_11use_defaultESG_EEEEPS6_NSA_18transform_iteratorI10is_orderedNSA_12zip_iteratorINSA_5tupleINSC_INSA_10device_ptrIiEEEESQ_NSA_9null_typeESR_SR_SR_SR_SR_SR_SR_EEEESG_SG_EENS0_5tupleIJPiSJ_EEENSV_IJSJ_SJ_EEES6_PlJS6_EEE10hipError_tPvRmT3_T4_T5_T6_T7_T9_mT8_P12ihipStream_tbDpT10_ENKUlT_T0_E_clISt17integral_constantIbLb1EES1J_EEDaS1E_S1F_EUlS1E_E_NS1_11comp_targetILNS1_3genE9ELNS1_11target_archE1100ELNS1_3gpuE3ELNS1_3repE0EEENS1_30default_config_static_selectorELNS0_4arch9wavefront6targetE1EEEvT1_.kd
    .uniform_work_group_size: 1
    .uses_dynamic_stack: false
    .vgpr_count:     0
    .vgpr_spill_count: 0
    .wavefront_size: 64
  - .agpr_count:     0
    .args:
      - .offset:         0
        .size:           152
        .value_kind:     by_value
    .group_segment_fixed_size: 0
    .kernarg_segment_align: 8
    .kernarg_segment_size: 152
    .language:       OpenCL C
    .language_version:
      - 2
      - 0
    .max_flat_workgroup_size: 512
    .name:           _ZN7rocprim17ROCPRIM_400000_NS6detail17trampoline_kernelINS0_14default_configENS1_25partition_config_selectorILNS1_17partition_subalgoE2EiNS0_10empty_typeEbEEZZNS1_14partition_implILS5_2ELb0ES3_jN6thrust23THRUST_200600_302600_NS6detail15normal_iteratorINSA_7pointerIiNSA_11hip_rocprim3tagENSA_11use_defaultESG_EEEEPS6_NSA_18transform_iteratorI10is_orderedNSA_12zip_iteratorINSA_5tupleINSC_INSA_10device_ptrIiEEEESQ_NSA_9null_typeESR_SR_SR_SR_SR_SR_SR_EEEESG_SG_EENS0_5tupleIJPiSJ_EEENSV_IJSJ_SJ_EEES6_PlJS6_EEE10hipError_tPvRmT3_T4_T5_T6_T7_T9_mT8_P12ihipStream_tbDpT10_ENKUlT_T0_E_clISt17integral_constantIbLb1EES1J_EEDaS1E_S1F_EUlS1E_E_NS1_11comp_targetILNS1_3genE8ELNS1_11target_archE1030ELNS1_3gpuE2ELNS1_3repE0EEENS1_30default_config_static_selectorELNS0_4arch9wavefront6targetE1EEEvT1_
    .private_segment_fixed_size: 0
    .sgpr_count:     6
    .sgpr_spill_count: 0
    .symbol:         _ZN7rocprim17ROCPRIM_400000_NS6detail17trampoline_kernelINS0_14default_configENS1_25partition_config_selectorILNS1_17partition_subalgoE2EiNS0_10empty_typeEbEEZZNS1_14partition_implILS5_2ELb0ES3_jN6thrust23THRUST_200600_302600_NS6detail15normal_iteratorINSA_7pointerIiNSA_11hip_rocprim3tagENSA_11use_defaultESG_EEEEPS6_NSA_18transform_iteratorI10is_orderedNSA_12zip_iteratorINSA_5tupleINSC_INSA_10device_ptrIiEEEESQ_NSA_9null_typeESR_SR_SR_SR_SR_SR_SR_EEEESG_SG_EENS0_5tupleIJPiSJ_EEENSV_IJSJ_SJ_EEES6_PlJS6_EEE10hipError_tPvRmT3_T4_T5_T6_T7_T9_mT8_P12ihipStream_tbDpT10_ENKUlT_T0_E_clISt17integral_constantIbLb1EES1J_EEDaS1E_S1F_EUlS1E_E_NS1_11comp_targetILNS1_3genE8ELNS1_11target_archE1030ELNS1_3gpuE2ELNS1_3repE0EEENS1_30default_config_static_selectorELNS0_4arch9wavefront6targetE1EEEvT1_.kd
    .uniform_work_group_size: 1
    .uses_dynamic_stack: false
    .vgpr_count:     0
    .vgpr_spill_count: 0
    .wavefront_size: 64
  - .agpr_count:     0
    .args:
      - .offset:         0
        .size:           136
        .value_kind:     by_value
    .group_segment_fixed_size: 0
    .kernarg_segment_align: 8
    .kernarg_segment_size: 136
    .language:       OpenCL C
    .language_version:
      - 2
      - 0
    .max_flat_workgroup_size: 128
    .name:           _ZN7rocprim17ROCPRIM_400000_NS6detail17trampoline_kernelINS0_14default_configENS1_25partition_config_selectorILNS1_17partition_subalgoE2EiNS0_10empty_typeEbEEZZNS1_14partition_implILS5_2ELb0ES3_jN6thrust23THRUST_200600_302600_NS6detail15normal_iteratorINSA_7pointerIiNSA_11hip_rocprim3tagENSA_11use_defaultESG_EEEEPS6_NSA_18transform_iteratorI10is_orderedNSA_12zip_iteratorINSA_5tupleINSC_INSA_10device_ptrIiEEEESQ_NSA_9null_typeESR_SR_SR_SR_SR_SR_SR_EEEESG_SG_EENS0_5tupleIJPiSJ_EEENSV_IJSJ_SJ_EEES6_PlJS6_EEE10hipError_tPvRmT3_T4_T5_T6_T7_T9_mT8_P12ihipStream_tbDpT10_ENKUlT_T0_E_clISt17integral_constantIbLb1EES1I_IbLb0EEEEDaS1E_S1F_EUlS1E_E_NS1_11comp_targetILNS1_3genE0ELNS1_11target_archE4294967295ELNS1_3gpuE0ELNS1_3repE0EEENS1_30default_config_static_selectorELNS0_4arch9wavefront6targetE1EEEvT1_
    .private_segment_fixed_size: 0
    .sgpr_count:     6
    .sgpr_spill_count: 0
    .symbol:         _ZN7rocprim17ROCPRIM_400000_NS6detail17trampoline_kernelINS0_14default_configENS1_25partition_config_selectorILNS1_17partition_subalgoE2EiNS0_10empty_typeEbEEZZNS1_14partition_implILS5_2ELb0ES3_jN6thrust23THRUST_200600_302600_NS6detail15normal_iteratorINSA_7pointerIiNSA_11hip_rocprim3tagENSA_11use_defaultESG_EEEEPS6_NSA_18transform_iteratorI10is_orderedNSA_12zip_iteratorINSA_5tupleINSC_INSA_10device_ptrIiEEEESQ_NSA_9null_typeESR_SR_SR_SR_SR_SR_SR_EEEESG_SG_EENS0_5tupleIJPiSJ_EEENSV_IJSJ_SJ_EEES6_PlJS6_EEE10hipError_tPvRmT3_T4_T5_T6_T7_T9_mT8_P12ihipStream_tbDpT10_ENKUlT_T0_E_clISt17integral_constantIbLb1EES1I_IbLb0EEEEDaS1E_S1F_EUlS1E_E_NS1_11comp_targetILNS1_3genE0ELNS1_11target_archE4294967295ELNS1_3gpuE0ELNS1_3repE0EEENS1_30default_config_static_selectorELNS0_4arch9wavefront6targetE1EEEvT1_.kd
    .uniform_work_group_size: 1
    .uses_dynamic_stack: false
    .vgpr_count:     0
    .vgpr_spill_count: 0
    .wavefront_size: 64
  - .agpr_count:     0
    .args:
      - .offset:         0
        .size:           136
        .value_kind:     by_value
    .group_segment_fixed_size: 30728
    .kernarg_segment_align: 8
    .kernarg_segment_size: 136
    .language:       OpenCL C
    .language_version:
      - 2
      - 0
    .max_flat_workgroup_size: 512
    .name:           _ZN7rocprim17ROCPRIM_400000_NS6detail17trampoline_kernelINS0_14default_configENS1_25partition_config_selectorILNS1_17partition_subalgoE2EiNS0_10empty_typeEbEEZZNS1_14partition_implILS5_2ELb0ES3_jN6thrust23THRUST_200600_302600_NS6detail15normal_iteratorINSA_7pointerIiNSA_11hip_rocprim3tagENSA_11use_defaultESG_EEEEPS6_NSA_18transform_iteratorI10is_orderedNSA_12zip_iteratorINSA_5tupleINSC_INSA_10device_ptrIiEEEESQ_NSA_9null_typeESR_SR_SR_SR_SR_SR_SR_EEEESG_SG_EENS0_5tupleIJPiSJ_EEENSV_IJSJ_SJ_EEES6_PlJS6_EEE10hipError_tPvRmT3_T4_T5_T6_T7_T9_mT8_P12ihipStream_tbDpT10_ENKUlT_T0_E_clISt17integral_constantIbLb1EES1I_IbLb0EEEEDaS1E_S1F_EUlS1E_E_NS1_11comp_targetILNS1_3genE5ELNS1_11target_archE942ELNS1_3gpuE9ELNS1_3repE0EEENS1_30default_config_static_selectorELNS0_4arch9wavefront6targetE1EEEvT1_
    .private_segment_fixed_size: 0
    .sgpr_count:     52
    .sgpr_spill_count: 0
    .symbol:         _ZN7rocprim17ROCPRIM_400000_NS6detail17trampoline_kernelINS0_14default_configENS1_25partition_config_selectorILNS1_17partition_subalgoE2EiNS0_10empty_typeEbEEZZNS1_14partition_implILS5_2ELb0ES3_jN6thrust23THRUST_200600_302600_NS6detail15normal_iteratorINSA_7pointerIiNSA_11hip_rocprim3tagENSA_11use_defaultESG_EEEEPS6_NSA_18transform_iteratorI10is_orderedNSA_12zip_iteratorINSA_5tupleINSC_INSA_10device_ptrIiEEEESQ_NSA_9null_typeESR_SR_SR_SR_SR_SR_SR_EEEESG_SG_EENS0_5tupleIJPiSJ_EEENSV_IJSJ_SJ_EEES6_PlJS6_EEE10hipError_tPvRmT3_T4_T5_T6_T7_T9_mT8_P12ihipStream_tbDpT10_ENKUlT_T0_E_clISt17integral_constantIbLb1EES1I_IbLb0EEEEDaS1E_S1F_EUlS1E_E_NS1_11comp_targetILNS1_3genE5ELNS1_11target_archE942ELNS1_3gpuE9ELNS1_3repE0EEENS1_30default_config_static_selectorELNS0_4arch9wavefront6targetE1EEEvT1_.kd
    .uniform_work_group_size: 1
    .uses_dynamic_stack: false
    .vgpr_count:     65
    .vgpr_spill_count: 0
    .wavefront_size: 64
  - .agpr_count:     0
    .args:
      - .offset:         0
        .size:           136
        .value_kind:     by_value
    .group_segment_fixed_size: 0
    .kernarg_segment_align: 8
    .kernarg_segment_size: 136
    .language:       OpenCL C
    .language_version:
      - 2
      - 0
    .max_flat_workgroup_size: 256
    .name:           _ZN7rocprim17ROCPRIM_400000_NS6detail17trampoline_kernelINS0_14default_configENS1_25partition_config_selectorILNS1_17partition_subalgoE2EiNS0_10empty_typeEbEEZZNS1_14partition_implILS5_2ELb0ES3_jN6thrust23THRUST_200600_302600_NS6detail15normal_iteratorINSA_7pointerIiNSA_11hip_rocprim3tagENSA_11use_defaultESG_EEEEPS6_NSA_18transform_iteratorI10is_orderedNSA_12zip_iteratorINSA_5tupleINSC_INSA_10device_ptrIiEEEESQ_NSA_9null_typeESR_SR_SR_SR_SR_SR_SR_EEEESG_SG_EENS0_5tupleIJPiSJ_EEENSV_IJSJ_SJ_EEES6_PlJS6_EEE10hipError_tPvRmT3_T4_T5_T6_T7_T9_mT8_P12ihipStream_tbDpT10_ENKUlT_T0_E_clISt17integral_constantIbLb1EES1I_IbLb0EEEEDaS1E_S1F_EUlS1E_E_NS1_11comp_targetILNS1_3genE4ELNS1_11target_archE910ELNS1_3gpuE8ELNS1_3repE0EEENS1_30default_config_static_selectorELNS0_4arch9wavefront6targetE1EEEvT1_
    .private_segment_fixed_size: 0
    .sgpr_count:     6
    .sgpr_spill_count: 0
    .symbol:         _ZN7rocprim17ROCPRIM_400000_NS6detail17trampoline_kernelINS0_14default_configENS1_25partition_config_selectorILNS1_17partition_subalgoE2EiNS0_10empty_typeEbEEZZNS1_14partition_implILS5_2ELb0ES3_jN6thrust23THRUST_200600_302600_NS6detail15normal_iteratorINSA_7pointerIiNSA_11hip_rocprim3tagENSA_11use_defaultESG_EEEEPS6_NSA_18transform_iteratorI10is_orderedNSA_12zip_iteratorINSA_5tupleINSC_INSA_10device_ptrIiEEEESQ_NSA_9null_typeESR_SR_SR_SR_SR_SR_SR_EEEESG_SG_EENS0_5tupleIJPiSJ_EEENSV_IJSJ_SJ_EEES6_PlJS6_EEE10hipError_tPvRmT3_T4_T5_T6_T7_T9_mT8_P12ihipStream_tbDpT10_ENKUlT_T0_E_clISt17integral_constantIbLb1EES1I_IbLb0EEEEDaS1E_S1F_EUlS1E_E_NS1_11comp_targetILNS1_3genE4ELNS1_11target_archE910ELNS1_3gpuE8ELNS1_3repE0EEENS1_30default_config_static_selectorELNS0_4arch9wavefront6targetE1EEEvT1_.kd
    .uniform_work_group_size: 1
    .uses_dynamic_stack: false
    .vgpr_count:     0
    .vgpr_spill_count: 0
    .wavefront_size: 64
  - .agpr_count:     0
    .args:
      - .offset:         0
        .size:           136
        .value_kind:     by_value
    .group_segment_fixed_size: 0
    .kernarg_segment_align: 8
    .kernarg_segment_size: 136
    .language:       OpenCL C
    .language_version:
      - 2
      - 0
    .max_flat_workgroup_size: 128
    .name:           _ZN7rocprim17ROCPRIM_400000_NS6detail17trampoline_kernelINS0_14default_configENS1_25partition_config_selectorILNS1_17partition_subalgoE2EiNS0_10empty_typeEbEEZZNS1_14partition_implILS5_2ELb0ES3_jN6thrust23THRUST_200600_302600_NS6detail15normal_iteratorINSA_7pointerIiNSA_11hip_rocprim3tagENSA_11use_defaultESG_EEEEPS6_NSA_18transform_iteratorI10is_orderedNSA_12zip_iteratorINSA_5tupleINSC_INSA_10device_ptrIiEEEESQ_NSA_9null_typeESR_SR_SR_SR_SR_SR_SR_EEEESG_SG_EENS0_5tupleIJPiSJ_EEENSV_IJSJ_SJ_EEES6_PlJS6_EEE10hipError_tPvRmT3_T4_T5_T6_T7_T9_mT8_P12ihipStream_tbDpT10_ENKUlT_T0_E_clISt17integral_constantIbLb1EES1I_IbLb0EEEEDaS1E_S1F_EUlS1E_E_NS1_11comp_targetILNS1_3genE3ELNS1_11target_archE908ELNS1_3gpuE7ELNS1_3repE0EEENS1_30default_config_static_selectorELNS0_4arch9wavefront6targetE1EEEvT1_
    .private_segment_fixed_size: 0
    .sgpr_count:     6
    .sgpr_spill_count: 0
    .symbol:         _ZN7rocprim17ROCPRIM_400000_NS6detail17trampoline_kernelINS0_14default_configENS1_25partition_config_selectorILNS1_17partition_subalgoE2EiNS0_10empty_typeEbEEZZNS1_14partition_implILS5_2ELb0ES3_jN6thrust23THRUST_200600_302600_NS6detail15normal_iteratorINSA_7pointerIiNSA_11hip_rocprim3tagENSA_11use_defaultESG_EEEEPS6_NSA_18transform_iteratorI10is_orderedNSA_12zip_iteratorINSA_5tupleINSC_INSA_10device_ptrIiEEEESQ_NSA_9null_typeESR_SR_SR_SR_SR_SR_SR_EEEESG_SG_EENS0_5tupleIJPiSJ_EEENSV_IJSJ_SJ_EEES6_PlJS6_EEE10hipError_tPvRmT3_T4_T5_T6_T7_T9_mT8_P12ihipStream_tbDpT10_ENKUlT_T0_E_clISt17integral_constantIbLb1EES1I_IbLb0EEEEDaS1E_S1F_EUlS1E_E_NS1_11comp_targetILNS1_3genE3ELNS1_11target_archE908ELNS1_3gpuE7ELNS1_3repE0EEENS1_30default_config_static_selectorELNS0_4arch9wavefront6targetE1EEEvT1_.kd
    .uniform_work_group_size: 1
    .uses_dynamic_stack: false
    .vgpr_count:     0
    .vgpr_spill_count: 0
    .wavefront_size: 64
  - .agpr_count:     0
    .args:
      - .offset:         0
        .size:           136
        .value_kind:     by_value
    .group_segment_fixed_size: 0
    .kernarg_segment_align: 8
    .kernarg_segment_size: 136
    .language:       OpenCL C
    .language_version:
      - 2
      - 0
    .max_flat_workgroup_size: 256
    .name:           _ZN7rocprim17ROCPRIM_400000_NS6detail17trampoline_kernelINS0_14default_configENS1_25partition_config_selectorILNS1_17partition_subalgoE2EiNS0_10empty_typeEbEEZZNS1_14partition_implILS5_2ELb0ES3_jN6thrust23THRUST_200600_302600_NS6detail15normal_iteratorINSA_7pointerIiNSA_11hip_rocprim3tagENSA_11use_defaultESG_EEEEPS6_NSA_18transform_iteratorI10is_orderedNSA_12zip_iteratorINSA_5tupleINSC_INSA_10device_ptrIiEEEESQ_NSA_9null_typeESR_SR_SR_SR_SR_SR_SR_EEEESG_SG_EENS0_5tupleIJPiSJ_EEENSV_IJSJ_SJ_EEES6_PlJS6_EEE10hipError_tPvRmT3_T4_T5_T6_T7_T9_mT8_P12ihipStream_tbDpT10_ENKUlT_T0_E_clISt17integral_constantIbLb1EES1I_IbLb0EEEEDaS1E_S1F_EUlS1E_E_NS1_11comp_targetILNS1_3genE2ELNS1_11target_archE906ELNS1_3gpuE6ELNS1_3repE0EEENS1_30default_config_static_selectorELNS0_4arch9wavefront6targetE1EEEvT1_
    .private_segment_fixed_size: 0
    .sgpr_count:     6
    .sgpr_spill_count: 0
    .symbol:         _ZN7rocprim17ROCPRIM_400000_NS6detail17trampoline_kernelINS0_14default_configENS1_25partition_config_selectorILNS1_17partition_subalgoE2EiNS0_10empty_typeEbEEZZNS1_14partition_implILS5_2ELb0ES3_jN6thrust23THRUST_200600_302600_NS6detail15normal_iteratorINSA_7pointerIiNSA_11hip_rocprim3tagENSA_11use_defaultESG_EEEEPS6_NSA_18transform_iteratorI10is_orderedNSA_12zip_iteratorINSA_5tupleINSC_INSA_10device_ptrIiEEEESQ_NSA_9null_typeESR_SR_SR_SR_SR_SR_SR_EEEESG_SG_EENS0_5tupleIJPiSJ_EEENSV_IJSJ_SJ_EEES6_PlJS6_EEE10hipError_tPvRmT3_T4_T5_T6_T7_T9_mT8_P12ihipStream_tbDpT10_ENKUlT_T0_E_clISt17integral_constantIbLb1EES1I_IbLb0EEEEDaS1E_S1F_EUlS1E_E_NS1_11comp_targetILNS1_3genE2ELNS1_11target_archE906ELNS1_3gpuE6ELNS1_3repE0EEENS1_30default_config_static_selectorELNS0_4arch9wavefront6targetE1EEEvT1_.kd
    .uniform_work_group_size: 1
    .uses_dynamic_stack: false
    .vgpr_count:     0
    .vgpr_spill_count: 0
    .wavefront_size: 64
  - .agpr_count:     0
    .args:
      - .offset:         0
        .size:           136
        .value_kind:     by_value
    .group_segment_fixed_size: 0
    .kernarg_segment_align: 8
    .kernarg_segment_size: 136
    .language:       OpenCL C
    .language_version:
      - 2
      - 0
    .max_flat_workgroup_size: 384
    .name:           _ZN7rocprim17ROCPRIM_400000_NS6detail17trampoline_kernelINS0_14default_configENS1_25partition_config_selectorILNS1_17partition_subalgoE2EiNS0_10empty_typeEbEEZZNS1_14partition_implILS5_2ELb0ES3_jN6thrust23THRUST_200600_302600_NS6detail15normal_iteratorINSA_7pointerIiNSA_11hip_rocprim3tagENSA_11use_defaultESG_EEEEPS6_NSA_18transform_iteratorI10is_orderedNSA_12zip_iteratorINSA_5tupleINSC_INSA_10device_ptrIiEEEESQ_NSA_9null_typeESR_SR_SR_SR_SR_SR_SR_EEEESG_SG_EENS0_5tupleIJPiSJ_EEENSV_IJSJ_SJ_EEES6_PlJS6_EEE10hipError_tPvRmT3_T4_T5_T6_T7_T9_mT8_P12ihipStream_tbDpT10_ENKUlT_T0_E_clISt17integral_constantIbLb1EES1I_IbLb0EEEEDaS1E_S1F_EUlS1E_E_NS1_11comp_targetILNS1_3genE10ELNS1_11target_archE1200ELNS1_3gpuE4ELNS1_3repE0EEENS1_30default_config_static_selectorELNS0_4arch9wavefront6targetE1EEEvT1_
    .private_segment_fixed_size: 0
    .sgpr_count:     6
    .sgpr_spill_count: 0
    .symbol:         _ZN7rocprim17ROCPRIM_400000_NS6detail17trampoline_kernelINS0_14default_configENS1_25partition_config_selectorILNS1_17partition_subalgoE2EiNS0_10empty_typeEbEEZZNS1_14partition_implILS5_2ELb0ES3_jN6thrust23THRUST_200600_302600_NS6detail15normal_iteratorINSA_7pointerIiNSA_11hip_rocprim3tagENSA_11use_defaultESG_EEEEPS6_NSA_18transform_iteratorI10is_orderedNSA_12zip_iteratorINSA_5tupleINSC_INSA_10device_ptrIiEEEESQ_NSA_9null_typeESR_SR_SR_SR_SR_SR_SR_EEEESG_SG_EENS0_5tupleIJPiSJ_EEENSV_IJSJ_SJ_EEES6_PlJS6_EEE10hipError_tPvRmT3_T4_T5_T6_T7_T9_mT8_P12ihipStream_tbDpT10_ENKUlT_T0_E_clISt17integral_constantIbLb1EES1I_IbLb0EEEEDaS1E_S1F_EUlS1E_E_NS1_11comp_targetILNS1_3genE10ELNS1_11target_archE1200ELNS1_3gpuE4ELNS1_3repE0EEENS1_30default_config_static_selectorELNS0_4arch9wavefront6targetE1EEEvT1_.kd
    .uniform_work_group_size: 1
    .uses_dynamic_stack: false
    .vgpr_count:     0
    .vgpr_spill_count: 0
    .wavefront_size: 64
  - .agpr_count:     0
    .args:
      - .offset:         0
        .size:           136
        .value_kind:     by_value
    .group_segment_fixed_size: 0
    .kernarg_segment_align: 8
    .kernarg_segment_size: 136
    .language:       OpenCL C
    .language_version:
      - 2
      - 0
    .max_flat_workgroup_size: 128
    .name:           _ZN7rocprim17ROCPRIM_400000_NS6detail17trampoline_kernelINS0_14default_configENS1_25partition_config_selectorILNS1_17partition_subalgoE2EiNS0_10empty_typeEbEEZZNS1_14partition_implILS5_2ELb0ES3_jN6thrust23THRUST_200600_302600_NS6detail15normal_iteratorINSA_7pointerIiNSA_11hip_rocprim3tagENSA_11use_defaultESG_EEEEPS6_NSA_18transform_iteratorI10is_orderedNSA_12zip_iteratorINSA_5tupleINSC_INSA_10device_ptrIiEEEESQ_NSA_9null_typeESR_SR_SR_SR_SR_SR_SR_EEEESG_SG_EENS0_5tupleIJPiSJ_EEENSV_IJSJ_SJ_EEES6_PlJS6_EEE10hipError_tPvRmT3_T4_T5_T6_T7_T9_mT8_P12ihipStream_tbDpT10_ENKUlT_T0_E_clISt17integral_constantIbLb1EES1I_IbLb0EEEEDaS1E_S1F_EUlS1E_E_NS1_11comp_targetILNS1_3genE9ELNS1_11target_archE1100ELNS1_3gpuE3ELNS1_3repE0EEENS1_30default_config_static_selectorELNS0_4arch9wavefront6targetE1EEEvT1_
    .private_segment_fixed_size: 0
    .sgpr_count:     6
    .sgpr_spill_count: 0
    .symbol:         _ZN7rocprim17ROCPRIM_400000_NS6detail17trampoline_kernelINS0_14default_configENS1_25partition_config_selectorILNS1_17partition_subalgoE2EiNS0_10empty_typeEbEEZZNS1_14partition_implILS5_2ELb0ES3_jN6thrust23THRUST_200600_302600_NS6detail15normal_iteratorINSA_7pointerIiNSA_11hip_rocprim3tagENSA_11use_defaultESG_EEEEPS6_NSA_18transform_iteratorI10is_orderedNSA_12zip_iteratorINSA_5tupleINSC_INSA_10device_ptrIiEEEESQ_NSA_9null_typeESR_SR_SR_SR_SR_SR_SR_EEEESG_SG_EENS0_5tupleIJPiSJ_EEENSV_IJSJ_SJ_EEES6_PlJS6_EEE10hipError_tPvRmT3_T4_T5_T6_T7_T9_mT8_P12ihipStream_tbDpT10_ENKUlT_T0_E_clISt17integral_constantIbLb1EES1I_IbLb0EEEEDaS1E_S1F_EUlS1E_E_NS1_11comp_targetILNS1_3genE9ELNS1_11target_archE1100ELNS1_3gpuE3ELNS1_3repE0EEENS1_30default_config_static_selectorELNS0_4arch9wavefront6targetE1EEEvT1_.kd
    .uniform_work_group_size: 1
    .uses_dynamic_stack: false
    .vgpr_count:     0
    .vgpr_spill_count: 0
    .wavefront_size: 64
  - .agpr_count:     0
    .args:
      - .offset:         0
        .size:           136
        .value_kind:     by_value
    .group_segment_fixed_size: 0
    .kernarg_segment_align: 8
    .kernarg_segment_size: 136
    .language:       OpenCL C
    .language_version:
      - 2
      - 0
    .max_flat_workgroup_size: 512
    .name:           _ZN7rocprim17ROCPRIM_400000_NS6detail17trampoline_kernelINS0_14default_configENS1_25partition_config_selectorILNS1_17partition_subalgoE2EiNS0_10empty_typeEbEEZZNS1_14partition_implILS5_2ELb0ES3_jN6thrust23THRUST_200600_302600_NS6detail15normal_iteratorINSA_7pointerIiNSA_11hip_rocprim3tagENSA_11use_defaultESG_EEEEPS6_NSA_18transform_iteratorI10is_orderedNSA_12zip_iteratorINSA_5tupleINSC_INSA_10device_ptrIiEEEESQ_NSA_9null_typeESR_SR_SR_SR_SR_SR_SR_EEEESG_SG_EENS0_5tupleIJPiSJ_EEENSV_IJSJ_SJ_EEES6_PlJS6_EEE10hipError_tPvRmT3_T4_T5_T6_T7_T9_mT8_P12ihipStream_tbDpT10_ENKUlT_T0_E_clISt17integral_constantIbLb1EES1I_IbLb0EEEEDaS1E_S1F_EUlS1E_E_NS1_11comp_targetILNS1_3genE8ELNS1_11target_archE1030ELNS1_3gpuE2ELNS1_3repE0EEENS1_30default_config_static_selectorELNS0_4arch9wavefront6targetE1EEEvT1_
    .private_segment_fixed_size: 0
    .sgpr_count:     6
    .sgpr_spill_count: 0
    .symbol:         _ZN7rocprim17ROCPRIM_400000_NS6detail17trampoline_kernelINS0_14default_configENS1_25partition_config_selectorILNS1_17partition_subalgoE2EiNS0_10empty_typeEbEEZZNS1_14partition_implILS5_2ELb0ES3_jN6thrust23THRUST_200600_302600_NS6detail15normal_iteratorINSA_7pointerIiNSA_11hip_rocprim3tagENSA_11use_defaultESG_EEEEPS6_NSA_18transform_iteratorI10is_orderedNSA_12zip_iteratorINSA_5tupleINSC_INSA_10device_ptrIiEEEESQ_NSA_9null_typeESR_SR_SR_SR_SR_SR_SR_EEEESG_SG_EENS0_5tupleIJPiSJ_EEENSV_IJSJ_SJ_EEES6_PlJS6_EEE10hipError_tPvRmT3_T4_T5_T6_T7_T9_mT8_P12ihipStream_tbDpT10_ENKUlT_T0_E_clISt17integral_constantIbLb1EES1I_IbLb0EEEEDaS1E_S1F_EUlS1E_E_NS1_11comp_targetILNS1_3genE8ELNS1_11target_archE1030ELNS1_3gpuE2ELNS1_3repE0EEENS1_30default_config_static_selectorELNS0_4arch9wavefront6targetE1EEEvT1_.kd
    .uniform_work_group_size: 1
    .uses_dynamic_stack: false
    .vgpr_count:     0
    .vgpr_spill_count: 0
    .wavefront_size: 64
  - .agpr_count:     0
    .args:
      - .offset:         0
        .size:           152
        .value_kind:     by_value
    .group_segment_fixed_size: 0
    .kernarg_segment_align: 8
    .kernarg_segment_size: 152
    .language:       OpenCL C
    .language_version:
      - 2
      - 0
    .max_flat_workgroup_size: 128
    .name:           _ZN7rocprim17ROCPRIM_400000_NS6detail17trampoline_kernelINS0_14default_configENS1_25partition_config_selectorILNS1_17partition_subalgoE2EiNS0_10empty_typeEbEEZZNS1_14partition_implILS5_2ELb0ES3_jN6thrust23THRUST_200600_302600_NS6detail15normal_iteratorINSA_7pointerIiNSA_11hip_rocprim3tagENSA_11use_defaultESG_EEEEPS6_NSA_18transform_iteratorI10is_orderedNSA_12zip_iteratorINSA_5tupleINSC_INSA_10device_ptrIiEEEESQ_NSA_9null_typeESR_SR_SR_SR_SR_SR_SR_EEEESG_SG_EENS0_5tupleIJPiSJ_EEENSV_IJSJ_SJ_EEES6_PlJS6_EEE10hipError_tPvRmT3_T4_T5_T6_T7_T9_mT8_P12ihipStream_tbDpT10_ENKUlT_T0_E_clISt17integral_constantIbLb0EES1I_IbLb1EEEEDaS1E_S1F_EUlS1E_E_NS1_11comp_targetILNS1_3genE0ELNS1_11target_archE4294967295ELNS1_3gpuE0ELNS1_3repE0EEENS1_30default_config_static_selectorELNS0_4arch9wavefront6targetE1EEEvT1_
    .private_segment_fixed_size: 0
    .sgpr_count:     6
    .sgpr_spill_count: 0
    .symbol:         _ZN7rocprim17ROCPRIM_400000_NS6detail17trampoline_kernelINS0_14default_configENS1_25partition_config_selectorILNS1_17partition_subalgoE2EiNS0_10empty_typeEbEEZZNS1_14partition_implILS5_2ELb0ES3_jN6thrust23THRUST_200600_302600_NS6detail15normal_iteratorINSA_7pointerIiNSA_11hip_rocprim3tagENSA_11use_defaultESG_EEEEPS6_NSA_18transform_iteratorI10is_orderedNSA_12zip_iteratorINSA_5tupleINSC_INSA_10device_ptrIiEEEESQ_NSA_9null_typeESR_SR_SR_SR_SR_SR_SR_EEEESG_SG_EENS0_5tupleIJPiSJ_EEENSV_IJSJ_SJ_EEES6_PlJS6_EEE10hipError_tPvRmT3_T4_T5_T6_T7_T9_mT8_P12ihipStream_tbDpT10_ENKUlT_T0_E_clISt17integral_constantIbLb0EES1I_IbLb1EEEEDaS1E_S1F_EUlS1E_E_NS1_11comp_targetILNS1_3genE0ELNS1_11target_archE4294967295ELNS1_3gpuE0ELNS1_3repE0EEENS1_30default_config_static_selectorELNS0_4arch9wavefront6targetE1EEEvT1_.kd
    .uniform_work_group_size: 1
    .uses_dynamic_stack: false
    .vgpr_count:     0
    .vgpr_spill_count: 0
    .wavefront_size: 64
  - .agpr_count:     0
    .args:
      - .offset:         0
        .size:           152
        .value_kind:     by_value
    .group_segment_fixed_size: 30728
    .kernarg_segment_align: 8
    .kernarg_segment_size: 152
    .language:       OpenCL C
    .language_version:
      - 2
      - 0
    .max_flat_workgroup_size: 512
    .name:           _ZN7rocprim17ROCPRIM_400000_NS6detail17trampoline_kernelINS0_14default_configENS1_25partition_config_selectorILNS1_17partition_subalgoE2EiNS0_10empty_typeEbEEZZNS1_14partition_implILS5_2ELb0ES3_jN6thrust23THRUST_200600_302600_NS6detail15normal_iteratorINSA_7pointerIiNSA_11hip_rocprim3tagENSA_11use_defaultESG_EEEEPS6_NSA_18transform_iteratorI10is_orderedNSA_12zip_iteratorINSA_5tupleINSC_INSA_10device_ptrIiEEEESQ_NSA_9null_typeESR_SR_SR_SR_SR_SR_SR_EEEESG_SG_EENS0_5tupleIJPiSJ_EEENSV_IJSJ_SJ_EEES6_PlJS6_EEE10hipError_tPvRmT3_T4_T5_T6_T7_T9_mT8_P12ihipStream_tbDpT10_ENKUlT_T0_E_clISt17integral_constantIbLb0EES1I_IbLb1EEEEDaS1E_S1F_EUlS1E_E_NS1_11comp_targetILNS1_3genE5ELNS1_11target_archE942ELNS1_3gpuE9ELNS1_3repE0EEENS1_30default_config_static_selectorELNS0_4arch9wavefront6targetE1EEEvT1_
    .private_segment_fixed_size: 0
    .sgpr_count:     52
    .sgpr_spill_count: 0
    .symbol:         _ZN7rocprim17ROCPRIM_400000_NS6detail17trampoline_kernelINS0_14default_configENS1_25partition_config_selectorILNS1_17partition_subalgoE2EiNS0_10empty_typeEbEEZZNS1_14partition_implILS5_2ELb0ES3_jN6thrust23THRUST_200600_302600_NS6detail15normal_iteratorINSA_7pointerIiNSA_11hip_rocprim3tagENSA_11use_defaultESG_EEEEPS6_NSA_18transform_iteratorI10is_orderedNSA_12zip_iteratorINSA_5tupleINSC_INSA_10device_ptrIiEEEESQ_NSA_9null_typeESR_SR_SR_SR_SR_SR_SR_EEEESG_SG_EENS0_5tupleIJPiSJ_EEENSV_IJSJ_SJ_EEES6_PlJS6_EEE10hipError_tPvRmT3_T4_T5_T6_T7_T9_mT8_P12ihipStream_tbDpT10_ENKUlT_T0_E_clISt17integral_constantIbLb0EES1I_IbLb1EEEEDaS1E_S1F_EUlS1E_E_NS1_11comp_targetILNS1_3genE5ELNS1_11target_archE942ELNS1_3gpuE9ELNS1_3repE0EEENS1_30default_config_static_selectorELNS0_4arch9wavefront6targetE1EEEvT1_.kd
    .uniform_work_group_size: 1
    .uses_dynamic_stack: false
    .vgpr_count:     67
    .vgpr_spill_count: 0
    .wavefront_size: 64
  - .agpr_count:     0
    .args:
      - .offset:         0
        .size:           152
        .value_kind:     by_value
    .group_segment_fixed_size: 0
    .kernarg_segment_align: 8
    .kernarg_segment_size: 152
    .language:       OpenCL C
    .language_version:
      - 2
      - 0
    .max_flat_workgroup_size: 256
    .name:           _ZN7rocprim17ROCPRIM_400000_NS6detail17trampoline_kernelINS0_14default_configENS1_25partition_config_selectorILNS1_17partition_subalgoE2EiNS0_10empty_typeEbEEZZNS1_14partition_implILS5_2ELb0ES3_jN6thrust23THRUST_200600_302600_NS6detail15normal_iteratorINSA_7pointerIiNSA_11hip_rocprim3tagENSA_11use_defaultESG_EEEEPS6_NSA_18transform_iteratorI10is_orderedNSA_12zip_iteratorINSA_5tupleINSC_INSA_10device_ptrIiEEEESQ_NSA_9null_typeESR_SR_SR_SR_SR_SR_SR_EEEESG_SG_EENS0_5tupleIJPiSJ_EEENSV_IJSJ_SJ_EEES6_PlJS6_EEE10hipError_tPvRmT3_T4_T5_T6_T7_T9_mT8_P12ihipStream_tbDpT10_ENKUlT_T0_E_clISt17integral_constantIbLb0EES1I_IbLb1EEEEDaS1E_S1F_EUlS1E_E_NS1_11comp_targetILNS1_3genE4ELNS1_11target_archE910ELNS1_3gpuE8ELNS1_3repE0EEENS1_30default_config_static_selectorELNS0_4arch9wavefront6targetE1EEEvT1_
    .private_segment_fixed_size: 0
    .sgpr_count:     6
    .sgpr_spill_count: 0
    .symbol:         _ZN7rocprim17ROCPRIM_400000_NS6detail17trampoline_kernelINS0_14default_configENS1_25partition_config_selectorILNS1_17partition_subalgoE2EiNS0_10empty_typeEbEEZZNS1_14partition_implILS5_2ELb0ES3_jN6thrust23THRUST_200600_302600_NS6detail15normal_iteratorINSA_7pointerIiNSA_11hip_rocprim3tagENSA_11use_defaultESG_EEEEPS6_NSA_18transform_iteratorI10is_orderedNSA_12zip_iteratorINSA_5tupleINSC_INSA_10device_ptrIiEEEESQ_NSA_9null_typeESR_SR_SR_SR_SR_SR_SR_EEEESG_SG_EENS0_5tupleIJPiSJ_EEENSV_IJSJ_SJ_EEES6_PlJS6_EEE10hipError_tPvRmT3_T4_T5_T6_T7_T9_mT8_P12ihipStream_tbDpT10_ENKUlT_T0_E_clISt17integral_constantIbLb0EES1I_IbLb1EEEEDaS1E_S1F_EUlS1E_E_NS1_11comp_targetILNS1_3genE4ELNS1_11target_archE910ELNS1_3gpuE8ELNS1_3repE0EEENS1_30default_config_static_selectorELNS0_4arch9wavefront6targetE1EEEvT1_.kd
    .uniform_work_group_size: 1
    .uses_dynamic_stack: false
    .vgpr_count:     0
    .vgpr_spill_count: 0
    .wavefront_size: 64
  - .agpr_count:     0
    .args:
      - .offset:         0
        .size:           152
        .value_kind:     by_value
    .group_segment_fixed_size: 0
    .kernarg_segment_align: 8
    .kernarg_segment_size: 152
    .language:       OpenCL C
    .language_version:
      - 2
      - 0
    .max_flat_workgroup_size: 128
    .name:           _ZN7rocprim17ROCPRIM_400000_NS6detail17trampoline_kernelINS0_14default_configENS1_25partition_config_selectorILNS1_17partition_subalgoE2EiNS0_10empty_typeEbEEZZNS1_14partition_implILS5_2ELb0ES3_jN6thrust23THRUST_200600_302600_NS6detail15normal_iteratorINSA_7pointerIiNSA_11hip_rocprim3tagENSA_11use_defaultESG_EEEEPS6_NSA_18transform_iteratorI10is_orderedNSA_12zip_iteratorINSA_5tupleINSC_INSA_10device_ptrIiEEEESQ_NSA_9null_typeESR_SR_SR_SR_SR_SR_SR_EEEESG_SG_EENS0_5tupleIJPiSJ_EEENSV_IJSJ_SJ_EEES6_PlJS6_EEE10hipError_tPvRmT3_T4_T5_T6_T7_T9_mT8_P12ihipStream_tbDpT10_ENKUlT_T0_E_clISt17integral_constantIbLb0EES1I_IbLb1EEEEDaS1E_S1F_EUlS1E_E_NS1_11comp_targetILNS1_3genE3ELNS1_11target_archE908ELNS1_3gpuE7ELNS1_3repE0EEENS1_30default_config_static_selectorELNS0_4arch9wavefront6targetE1EEEvT1_
    .private_segment_fixed_size: 0
    .sgpr_count:     6
    .sgpr_spill_count: 0
    .symbol:         _ZN7rocprim17ROCPRIM_400000_NS6detail17trampoline_kernelINS0_14default_configENS1_25partition_config_selectorILNS1_17partition_subalgoE2EiNS0_10empty_typeEbEEZZNS1_14partition_implILS5_2ELb0ES3_jN6thrust23THRUST_200600_302600_NS6detail15normal_iteratorINSA_7pointerIiNSA_11hip_rocprim3tagENSA_11use_defaultESG_EEEEPS6_NSA_18transform_iteratorI10is_orderedNSA_12zip_iteratorINSA_5tupleINSC_INSA_10device_ptrIiEEEESQ_NSA_9null_typeESR_SR_SR_SR_SR_SR_SR_EEEESG_SG_EENS0_5tupleIJPiSJ_EEENSV_IJSJ_SJ_EEES6_PlJS6_EEE10hipError_tPvRmT3_T4_T5_T6_T7_T9_mT8_P12ihipStream_tbDpT10_ENKUlT_T0_E_clISt17integral_constantIbLb0EES1I_IbLb1EEEEDaS1E_S1F_EUlS1E_E_NS1_11comp_targetILNS1_3genE3ELNS1_11target_archE908ELNS1_3gpuE7ELNS1_3repE0EEENS1_30default_config_static_selectorELNS0_4arch9wavefront6targetE1EEEvT1_.kd
    .uniform_work_group_size: 1
    .uses_dynamic_stack: false
    .vgpr_count:     0
    .vgpr_spill_count: 0
    .wavefront_size: 64
  - .agpr_count:     0
    .args:
      - .offset:         0
        .size:           152
        .value_kind:     by_value
    .group_segment_fixed_size: 0
    .kernarg_segment_align: 8
    .kernarg_segment_size: 152
    .language:       OpenCL C
    .language_version:
      - 2
      - 0
    .max_flat_workgroup_size: 256
    .name:           _ZN7rocprim17ROCPRIM_400000_NS6detail17trampoline_kernelINS0_14default_configENS1_25partition_config_selectorILNS1_17partition_subalgoE2EiNS0_10empty_typeEbEEZZNS1_14partition_implILS5_2ELb0ES3_jN6thrust23THRUST_200600_302600_NS6detail15normal_iteratorINSA_7pointerIiNSA_11hip_rocprim3tagENSA_11use_defaultESG_EEEEPS6_NSA_18transform_iteratorI10is_orderedNSA_12zip_iteratorINSA_5tupleINSC_INSA_10device_ptrIiEEEESQ_NSA_9null_typeESR_SR_SR_SR_SR_SR_SR_EEEESG_SG_EENS0_5tupleIJPiSJ_EEENSV_IJSJ_SJ_EEES6_PlJS6_EEE10hipError_tPvRmT3_T4_T5_T6_T7_T9_mT8_P12ihipStream_tbDpT10_ENKUlT_T0_E_clISt17integral_constantIbLb0EES1I_IbLb1EEEEDaS1E_S1F_EUlS1E_E_NS1_11comp_targetILNS1_3genE2ELNS1_11target_archE906ELNS1_3gpuE6ELNS1_3repE0EEENS1_30default_config_static_selectorELNS0_4arch9wavefront6targetE1EEEvT1_
    .private_segment_fixed_size: 0
    .sgpr_count:     6
    .sgpr_spill_count: 0
    .symbol:         _ZN7rocprim17ROCPRIM_400000_NS6detail17trampoline_kernelINS0_14default_configENS1_25partition_config_selectorILNS1_17partition_subalgoE2EiNS0_10empty_typeEbEEZZNS1_14partition_implILS5_2ELb0ES3_jN6thrust23THRUST_200600_302600_NS6detail15normal_iteratorINSA_7pointerIiNSA_11hip_rocprim3tagENSA_11use_defaultESG_EEEEPS6_NSA_18transform_iteratorI10is_orderedNSA_12zip_iteratorINSA_5tupleINSC_INSA_10device_ptrIiEEEESQ_NSA_9null_typeESR_SR_SR_SR_SR_SR_SR_EEEESG_SG_EENS0_5tupleIJPiSJ_EEENSV_IJSJ_SJ_EEES6_PlJS6_EEE10hipError_tPvRmT3_T4_T5_T6_T7_T9_mT8_P12ihipStream_tbDpT10_ENKUlT_T0_E_clISt17integral_constantIbLb0EES1I_IbLb1EEEEDaS1E_S1F_EUlS1E_E_NS1_11comp_targetILNS1_3genE2ELNS1_11target_archE906ELNS1_3gpuE6ELNS1_3repE0EEENS1_30default_config_static_selectorELNS0_4arch9wavefront6targetE1EEEvT1_.kd
    .uniform_work_group_size: 1
    .uses_dynamic_stack: false
    .vgpr_count:     0
    .vgpr_spill_count: 0
    .wavefront_size: 64
  - .agpr_count:     0
    .args:
      - .offset:         0
        .size:           152
        .value_kind:     by_value
    .group_segment_fixed_size: 0
    .kernarg_segment_align: 8
    .kernarg_segment_size: 152
    .language:       OpenCL C
    .language_version:
      - 2
      - 0
    .max_flat_workgroup_size: 384
    .name:           _ZN7rocprim17ROCPRIM_400000_NS6detail17trampoline_kernelINS0_14default_configENS1_25partition_config_selectorILNS1_17partition_subalgoE2EiNS0_10empty_typeEbEEZZNS1_14partition_implILS5_2ELb0ES3_jN6thrust23THRUST_200600_302600_NS6detail15normal_iteratorINSA_7pointerIiNSA_11hip_rocprim3tagENSA_11use_defaultESG_EEEEPS6_NSA_18transform_iteratorI10is_orderedNSA_12zip_iteratorINSA_5tupleINSC_INSA_10device_ptrIiEEEESQ_NSA_9null_typeESR_SR_SR_SR_SR_SR_SR_EEEESG_SG_EENS0_5tupleIJPiSJ_EEENSV_IJSJ_SJ_EEES6_PlJS6_EEE10hipError_tPvRmT3_T4_T5_T6_T7_T9_mT8_P12ihipStream_tbDpT10_ENKUlT_T0_E_clISt17integral_constantIbLb0EES1I_IbLb1EEEEDaS1E_S1F_EUlS1E_E_NS1_11comp_targetILNS1_3genE10ELNS1_11target_archE1200ELNS1_3gpuE4ELNS1_3repE0EEENS1_30default_config_static_selectorELNS0_4arch9wavefront6targetE1EEEvT1_
    .private_segment_fixed_size: 0
    .sgpr_count:     6
    .sgpr_spill_count: 0
    .symbol:         _ZN7rocprim17ROCPRIM_400000_NS6detail17trampoline_kernelINS0_14default_configENS1_25partition_config_selectorILNS1_17partition_subalgoE2EiNS0_10empty_typeEbEEZZNS1_14partition_implILS5_2ELb0ES3_jN6thrust23THRUST_200600_302600_NS6detail15normal_iteratorINSA_7pointerIiNSA_11hip_rocprim3tagENSA_11use_defaultESG_EEEEPS6_NSA_18transform_iteratorI10is_orderedNSA_12zip_iteratorINSA_5tupleINSC_INSA_10device_ptrIiEEEESQ_NSA_9null_typeESR_SR_SR_SR_SR_SR_SR_EEEESG_SG_EENS0_5tupleIJPiSJ_EEENSV_IJSJ_SJ_EEES6_PlJS6_EEE10hipError_tPvRmT3_T4_T5_T6_T7_T9_mT8_P12ihipStream_tbDpT10_ENKUlT_T0_E_clISt17integral_constantIbLb0EES1I_IbLb1EEEEDaS1E_S1F_EUlS1E_E_NS1_11comp_targetILNS1_3genE10ELNS1_11target_archE1200ELNS1_3gpuE4ELNS1_3repE0EEENS1_30default_config_static_selectorELNS0_4arch9wavefront6targetE1EEEvT1_.kd
    .uniform_work_group_size: 1
    .uses_dynamic_stack: false
    .vgpr_count:     0
    .vgpr_spill_count: 0
    .wavefront_size: 64
  - .agpr_count:     0
    .args:
      - .offset:         0
        .size:           152
        .value_kind:     by_value
    .group_segment_fixed_size: 0
    .kernarg_segment_align: 8
    .kernarg_segment_size: 152
    .language:       OpenCL C
    .language_version:
      - 2
      - 0
    .max_flat_workgroup_size: 128
    .name:           _ZN7rocprim17ROCPRIM_400000_NS6detail17trampoline_kernelINS0_14default_configENS1_25partition_config_selectorILNS1_17partition_subalgoE2EiNS0_10empty_typeEbEEZZNS1_14partition_implILS5_2ELb0ES3_jN6thrust23THRUST_200600_302600_NS6detail15normal_iteratorINSA_7pointerIiNSA_11hip_rocprim3tagENSA_11use_defaultESG_EEEEPS6_NSA_18transform_iteratorI10is_orderedNSA_12zip_iteratorINSA_5tupleINSC_INSA_10device_ptrIiEEEESQ_NSA_9null_typeESR_SR_SR_SR_SR_SR_SR_EEEESG_SG_EENS0_5tupleIJPiSJ_EEENSV_IJSJ_SJ_EEES6_PlJS6_EEE10hipError_tPvRmT3_T4_T5_T6_T7_T9_mT8_P12ihipStream_tbDpT10_ENKUlT_T0_E_clISt17integral_constantIbLb0EES1I_IbLb1EEEEDaS1E_S1F_EUlS1E_E_NS1_11comp_targetILNS1_3genE9ELNS1_11target_archE1100ELNS1_3gpuE3ELNS1_3repE0EEENS1_30default_config_static_selectorELNS0_4arch9wavefront6targetE1EEEvT1_
    .private_segment_fixed_size: 0
    .sgpr_count:     6
    .sgpr_spill_count: 0
    .symbol:         _ZN7rocprim17ROCPRIM_400000_NS6detail17trampoline_kernelINS0_14default_configENS1_25partition_config_selectorILNS1_17partition_subalgoE2EiNS0_10empty_typeEbEEZZNS1_14partition_implILS5_2ELb0ES3_jN6thrust23THRUST_200600_302600_NS6detail15normal_iteratorINSA_7pointerIiNSA_11hip_rocprim3tagENSA_11use_defaultESG_EEEEPS6_NSA_18transform_iteratorI10is_orderedNSA_12zip_iteratorINSA_5tupleINSC_INSA_10device_ptrIiEEEESQ_NSA_9null_typeESR_SR_SR_SR_SR_SR_SR_EEEESG_SG_EENS0_5tupleIJPiSJ_EEENSV_IJSJ_SJ_EEES6_PlJS6_EEE10hipError_tPvRmT3_T4_T5_T6_T7_T9_mT8_P12ihipStream_tbDpT10_ENKUlT_T0_E_clISt17integral_constantIbLb0EES1I_IbLb1EEEEDaS1E_S1F_EUlS1E_E_NS1_11comp_targetILNS1_3genE9ELNS1_11target_archE1100ELNS1_3gpuE3ELNS1_3repE0EEENS1_30default_config_static_selectorELNS0_4arch9wavefront6targetE1EEEvT1_.kd
    .uniform_work_group_size: 1
    .uses_dynamic_stack: false
    .vgpr_count:     0
    .vgpr_spill_count: 0
    .wavefront_size: 64
  - .agpr_count:     0
    .args:
      - .offset:         0
        .size:           152
        .value_kind:     by_value
    .group_segment_fixed_size: 0
    .kernarg_segment_align: 8
    .kernarg_segment_size: 152
    .language:       OpenCL C
    .language_version:
      - 2
      - 0
    .max_flat_workgroup_size: 512
    .name:           _ZN7rocprim17ROCPRIM_400000_NS6detail17trampoline_kernelINS0_14default_configENS1_25partition_config_selectorILNS1_17partition_subalgoE2EiNS0_10empty_typeEbEEZZNS1_14partition_implILS5_2ELb0ES3_jN6thrust23THRUST_200600_302600_NS6detail15normal_iteratorINSA_7pointerIiNSA_11hip_rocprim3tagENSA_11use_defaultESG_EEEEPS6_NSA_18transform_iteratorI10is_orderedNSA_12zip_iteratorINSA_5tupleINSC_INSA_10device_ptrIiEEEESQ_NSA_9null_typeESR_SR_SR_SR_SR_SR_SR_EEEESG_SG_EENS0_5tupleIJPiSJ_EEENSV_IJSJ_SJ_EEES6_PlJS6_EEE10hipError_tPvRmT3_T4_T5_T6_T7_T9_mT8_P12ihipStream_tbDpT10_ENKUlT_T0_E_clISt17integral_constantIbLb0EES1I_IbLb1EEEEDaS1E_S1F_EUlS1E_E_NS1_11comp_targetILNS1_3genE8ELNS1_11target_archE1030ELNS1_3gpuE2ELNS1_3repE0EEENS1_30default_config_static_selectorELNS0_4arch9wavefront6targetE1EEEvT1_
    .private_segment_fixed_size: 0
    .sgpr_count:     6
    .sgpr_spill_count: 0
    .symbol:         _ZN7rocprim17ROCPRIM_400000_NS6detail17trampoline_kernelINS0_14default_configENS1_25partition_config_selectorILNS1_17partition_subalgoE2EiNS0_10empty_typeEbEEZZNS1_14partition_implILS5_2ELb0ES3_jN6thrust23THRUST_200600_302600_NS6detail15normal_iteratorINSA_7pointerIiNSA_11hip_rocprim3tagENSA_11use_defaultESG_EEEEPS6_NSA_18transform_iteratorI10is_orderedNSA_12zip_iteratorINSA_5tupleINSC_INSA_10device_ptrIiEEEESQ_NSA_9null_typeESR_SR_SR_SR_SR_SR_SR_EEEESG_SG_EENS0_5tupleIJPiSJ_EEENSV_IJSJ_SJ_EEES6_PlJS6_EEE10hipError_tPvRmT3_T4_T5_T6_T7_T9_mT8_P12ihipStream_tbDpT10_ENKUlT_T0_E_clISt17integral_constantIbLb0EES1I_IbLb1EEEEDaS1E_S1F_EUlS1E_E_NS1_11comp_targetILNS1_3genE8ELNS1_11target_archE1030ELNS1_3gpuE2ELNS1_3repE0EEENS1_30default_config_static_selectorELNS0_4arch9wavefront6targetE1EEEvT1_.kd
    .uniform_work_group_size: 1
    .uses_dynamic_stack: false
    .vgpr_count:     0
    .vgpr_spill_count: 0
    .wavefront_size: 64
  - .agpr_count:     0
    .args:
      - .offset:         0
        .size:           136
        .value_kind:     by_value
    .group_segment_fixed_size: 0
    .kernarg_segment_align: 8
    .kernarg_segment_size: 136
    .language:       OpenCL C
    .language_version:
      - 2
      - 0
    .max_flat_workgroup_size: 256
    .name:           _ZN7rocprim17ROCPRIM_400000_NS6detail17trampoline_kernelINS0_14default_configENS1_25partition_config_selectorILNS1_17partition_subalgoE2EsNS0_10empty_typeEbEEZZNS1_14partition_implILS5_2ELb0ES3_jN6thrust23THRUST_200600_302600_NS6detail15normal_iteratorINSA_7pointerIsNSA_11hip_rocprim3tagENSA_11use_defaultESG_EEEEPS6_NSA_18transform_iteratorI10is_orderedNSA_12zip_iteratorINSA_5tupleINSC_INSA_10device_ptrIsEEEESQ_NSA_9null_typeESR_SR_SR_SR_SR_SR_SR_EEEESG_SG_EENS0_5tupleIJPsSJ_EEENSV_IJSJ_SJ_EEES6_PlJS6_EEE10hipError_tPvRmT3_T4_T5_T6_T7_T9_mT8_P12ihipStream_tbDpT10_ENKUlT_T0_E_clISt17integral_constantIbLb0EES1J_EEDaS1E_S1F_EUlS1E_E_NS1_11comp_targetILNS1_3genE0ELNS1_11target_archE4294967295ELNS1_3gpuE0ELNS1_3repE0EEENS1_30default_config_static_selectorELNS0_4arch9wavefront6targetE1EEEvT1_
    .private_segment_fixed_size: 0
    .sgpr_count:     6
    .sgpr_spill_count: 0
    .symbol:         _ZN7rocprim17ROCPRIM_400000_NS6detail17trampoline_kernelINS0_14default_configENS1_25partition_config_selectorILNS1_17partition_subalgoE2EsNS0_10empty_typeEbEEZZNS1_14partition_implILS5_2ELb0ES3_jN6thrust23THRUST_200600_302600_NS6detail15normal_iteratorINSA_7pointerIsNSA_11hip_rocprim3tagENSA_11use_defaultESG_EEEEPS6_NSA_18transform_iteratorI10is_orderedNSA_12zip_iteratorINSA_5tupleINSC_INSA_10device_ptrIsEEEESQ_NSA_9null_typeESR_SR_SR_SR_SR_SR_SR_EEEESG_SG_EENS0_5tupleIJPsSJ_EEENSV_IJSJ_SJ_EEES6_PlJS6_EEE10hipError_tPvRmT3_T4_T5_T6_T7_T9_mT8_P12ihipStream_tbDpT10_ENKUlT_T0_E_clISt17integral_constantIbLb0EES1J_EEDaS1E_S1F_EUlS1E_E_NS1_11comp_targetILNS1_3genE0ELNS1_11target_archE4294967295ELNS1_3gpuE0ELNS1_3repE0EEENS1_30default_config_static_selectorELNS0_4arch9wavefront6targetE1EEEvT1_.kd
    .uniform_work_group_size: 1
    .uses_dynamic_stack: false
    .vgpr_count:     0
    .vgpr_spill_count: 0
    .wavefront_size: 64
  - .agpr_count:     0
    .args:
      - .offset:         0
        .size:           136
        .value_kind:     by_value
    .group_segment_fixed_size: 30728
    .kernarg_segment_align: 8
    .kernarg_segment_size: 136
    .language:       OpenCL C
    .language_version:
      - 2
      - 0
    .max_flat_workgroup_size: 512
    .name:           _ZN7rocprim17ROCPRIM_400000_NS6detail17trampoline_kernelINS0_14default_configENS1_25partition_config_selectorILNS1_17partition_subalgoE2EsNS0_10empty_typeEbEEZZNS1_14partition_implILS5_2ELb0ES3_jN6thrust23THRUST_200600_302600_NS6detail15normal_iteratorINSA_7pointerIsNSA_11hip_rocprim3tagENSA_11use_defaultESG_EEEEPS6_NSA_18transform_iteratorI10is_orderedNSA_12zip_iteratorINSA_5tupleINSC_INSA_10device_ptrIsEEEESQ_NSA_9null_typeESR_SR_SR_SR_SR_SR_SR_EEEESG_SG_EENS0_5tupleIJPsSJ_EEENSV_IJSJ_SJ_EEES6_PlJS6_EEE10hipError_tPvRmT3_T4_T5_T6_T7_T9_mT8_P12ihipStream_tbDpT10_ENKUlT_T0_E_clISt17integral_constantIbLb0EES1J_EEDaS1E_S1F_EUlS1E_E_NS1_11comp_targetILNS1_3genE5ELNS1_11target_archE942ELNS1_3gpuE9ELNS1_3repE0EEENS1_30default_config_static_selectorELNS0_4arch9wavefront6targetE1EEEvT1_
    .private_segment_fixed_size: 0
    .sgpr_count:     52
    .sgpr_spill_count: 0
    .symbol:         _ZN7rocprim17ROCPRIM_400000_NS6detail17trampoline_kernelINS0_14default_configENS1_25partition_config_selectorILNS1_17partition_subalgoE2EsNS0_10empty_typeEbEEZZNS1_14partition_implILS5_2ELb0ES3_jN6thrust23THRUST_200600_302600_NS6detail15normal_iteratorINSA_7pointerIsNSA_11hip_rocprim3tagENSA_11use_defaultESG_EEEEPS6_NSA_18transform_iteratorI10is_orderedNSA_12zip_iteratorINSA_5tupleINSC_INSA_10device_ptrIsEEEESQ_NSA_9null_typeESR_SR_SR_SR_SR_SR_SR_EEEESG_SG_EENS0_5tupleIJPsSJ_EEENSV_IJSJ_SJ_EEES6_PlJS6_EEE10hipError_tPvRmT3_T4_T5_T6_T7_T9_mT8_P12ihipStream_tbDpT10_ENKUlT_T0_E_clISt17integral_constantIbLb0EES1J_EEDaS1E_S1F_EUlS1E_E_NS1_11comp_targetILNS1_3genE5ELNS1_11target_archE942ELNS1_3gpuE9ELNS1_3repE0EEENS1_30default_config_static_selectorELNS0_4arch9wavefront6targetE1EEEvT1_.kd
    .uniform_work_group_size: 1
    .uses_dynamic_stack: false
    .vgpr_count:     100
    .vgpr_spill_count: 0
    .wavefront_size: 64
  - .agpr_count:     0
    .args:
      - .offset:         0
        .size:           136
        .value_kind:     by_value
    .group_segment_fixed_size: 0
    .kernarg_segment_align: 8
    .kernarg_segment_size: 136
    .language:       OpenCL C
    .language_version:
      - 2
      - 0
    .max_flat_workgroup_size: 256
    .name:           _ZN7rocprim17ROCPRIM_400000_NS6detail17trampoline_kernelINS0_14default_configENS1_25partition_config_selectorILNS1_17partition_subalgoE2EsNS0_10empty_typeEbEEZZNS1_14partition_implILS5_2ELb0ES3_jN6thrust23THRUST_200600_302600_NS6detail15normal_iteratorINSA_7pointerIsNSA_11hip_rocprim3tagENSA_11use_defaultESG_EEEEPS6_NSA_18transform_iteratorI10is_orderedNSA_12zip_iteratorINSA_5tupleINSC_INSA_10device_ptrIsEEEESQ_NSA_9null_typeESR_SR_SR_SR_SR_SR_SR_EEEESG_SG_EENS0_5tupleIJPsSJ_EEENSV_IJSJ_SJ_EEES6_PlJS6_EEE10hipError_tPvRmT3_T4_T5_T6_T7_T9_mT8_P12ihipStream_tbDpT10_ENKUlT_T0_E_clISt17integral_constantIbLb0EES1J_EEDaS1E_S1F_EUlS1E_E_NS1_11comp_targetILNS1_3genE4ELNS1_11target_archE910ELNS1_3gpuE8ELNS1_3repE0EEENS1_30default_config_static_selectorELNS0_4arch9wavefront6targetE1EEEvT1_
    .private_segment_fixed_size: 0
    .sgpr_count:     6
    .sgpr_spill_count: 0
    .symbol:         _ZN7rocprim17ROCPRIM_400000_NS6detail17trampoline_kernelINS0_14default_configENS1_25partition_config_selectorILNS1_17partition_subalgoE2EsNS0_10empty_typeEbEEZZNS1_14partition_implILS5_2ELb0ES3_jN6thrust23THRUST_200600_302600_NS6detail15normal_iteratorINSA_7pointerIsNSA_11hip_rocprim3tagENSA_11use_defaultESG_EEEEPS6_NSA_18transform_iteratorI10is_orderedNSA_12zip_iteratorINSA_5tupleINSC_INSA_10device_ptrIsEEEESQ_NSA_9null_typeESR_SR_SR_SR_SR_SR_SR_EEEESG_SG_EENS0_5tupleIJPsSJ_EEENSV_IJSJ_SJ_EEES6_PlJS6_EEE10hipError_tPvRmT3_T4_T5_T6_T7_T9_mT8_P12ihipStream_tbDpT10_ENKUlT_T0_E_clISt17integral_constantIbLb0EES1J_EEDaS1E_S1F_EUlS1E_E_NS1_11comp_targetILNS1_3genE4ELNS1_11target_archE910ELNS1_3gpuE8ELNS1_3repE0EEENS1_30default_config_static_selectorELNS0_4arch9wavefront6targetE1EEEvT1_.kd
    .uniform_work_group_size: 1
    .uses_dynamic_stack: false
    .vgpr_count:     0
    .vgpr_spill_count: 0
    .wavefront_size: 64
  - .agpr_count:     0
    .args:
      - .offset:         0
        .size:           136
        .value_kind:     by_value
    .group_segment_fixed_size: 0
    .kernarg_segment_align: 8
    .kernarg_segment_size: 136
    .language:       OpenCL C
    .language_version:
      - 2
      - 0
    .max_flat_workgroup_size: 256
    .name:           _ZN7rocprim17ROCPRIM_400000_NS6detail17trampoline_kernelINS0_14default_configENS1_25partition_config_selectorILNS1_17partition_subalgoE2EsNS0_10empty_typeEbEEZZNS1_14partition_implILS5_2ELb0ES3_jN6thrust23THRUST_200600_302600_NS6detail15normal_iteratorINSA_7pointerIsNSA_11hip_rocprim3tagENSA_11use_defaultESG_EEEEPS6_NSA_18transform_iteratorI10is_orderedNSA_12zip_iteratorINSA_5tupleINSC_INSA_10device_ptrIsEEEESQ_NSA_9null_typeESR_SR_SR_SR_SR_SR_SR_EEEESG_SG_EENS0_5tupleIJPsSJ_EEENSV_IJSJ_SJ_EEES6_PlJS6_EEE10hipError_tPvRmT3_T4_T5_T6_T7_T9_mT8_P12ihipStream_tbDpT10_ENKUlT_T0_E_clISt17integral_constantIbLb0EES1J_EEDaS1E_S1F_EUlS1E_E_NS1_11comp_targetILNS1_3genE3ELNS1_11target_archE908ELNS1_3gpuE7ELNS1_3repE0EEENS1_30default_config_static_selectorELNS0_4arch9wavefront6targetE1EEEvT1_
    .private_segment_fixed_size: 0
    .sgpr_count:     6
    .sgpr_spill_count: 0
    .symbol:         _ZN7rocprim17ROCPRIM_400000_NS6detail17trampoline_kernelINS0_14default_configENS1_25partition_config_selectorILNS1_17partition_subalgoE2EsNS0_10empty_typeEbEEZZNS1_14partition_implILS5_2ELb0ES3_jN6thrust23THRUST_200600_302600_NS6detail15normal_iteratorINSA_7pointerIsNSA_11hip_rocprim3tagENSA_11use_defaultESG_EEEEPS6_NSA_18transform_iteratorI10is_orderedNSA_12zip_iteratorINSA_5tupleINSC_INSA_10device_ptrIsEEEESQ_NSA_9null_typeESR_SR_SR_SR_SR_SR_SR_EEEESG_SG_EENS0_5tupleIJPsSJ_EEENSV_IJSJ_SJ_EEES6_PlJS6_EEE10hipError_tPvRmT3_T4_T5_T6_T7_T9_mT8_P12ihipStream_tbDpT10_ENKUlT_T0_E_clISt17integral_constantIbLb0EES1J_EEDaS1E_S1F_EUlS1E_E_NS1_11comp_targetILNS1_3genE3ELNS1_11target_archE908ELNS1_3gpuE7ELNS1_3repE0EEENS1_30default_config_static_selectorELNS0_4arch9wavefront6targetE1EEEvT1_.kd
    .uniform_work_group_size: 1
    .uses_dynamic_stack: false
    .vgpr_count:     0
    .vgpr_spill_count: 0
    .wavefront_size: 64
  - .agpr_count:     0
    .args:
      - .offset:         0
        .size:           136
        .value_kind:     by_value
    .group_segment_fixed_size: 0
    .kernarg_segment_align: 8
    .kernarg_segment_size: 136
    .language:       OpenCL C
    .language_version:
      - 2
      - 0
    .max_flat_workgroup_size: 256
    .name:           _ZN7rocprim17ROCPRIM_400000_NS6detail17trampoline_kernelINS0_14default_configENS1_25partition_config_selectorILNS1_17partition_subalgoE2EsNS0_10empty_typeEbEEZZNS1_14partition_implILS5_2ELb0ES3_jN6thrust23THRUST_200600_302600_NS6detail15normal_iteratorINSA_7pointerIsNSA_11hip_rocprim3tagENSA_11use_defaultESG_EEEEPS6_NSA_18transform_iteratorI10is_orderedNSA_12zip_iteratorINSA_5tupleINSC_INSA_10device_ptrIsEEEESQ_NSA_9null_typeESR_SR_SR_SR_SR_SR_SR_EEEESG_SG_EENS0_5tupleIJPsSJ_EEENSV_IJSJ_SJ_EEES6_PlJS6_EEE10hipError_tPvRmT3_T4_T5_T6_T7_T9_mT8_P12ihipStream_tbDpT10_ENKUlT_T0_E_clISt17integral_constantIbLb0EES1J_EEDaS1E_S1F_EUlS1E_E_NS1_11comp_targetILNS1_3genE2ELNS1_11target_archE906ELNS1_3gpuE6ELNS1_3repE0EEENS1_30default_config_static_selectorELNS0_4arch9wavefront6targetE1EEEvT1_
    .private_segment_fixed_size: 0
    .sgpr_count:     6
    .sgpr_spill_count: 0
    .symbol:         _ZN7rocprim17ROCPRIM_400000_NS6detail17trampoline_kernelINS0_14default_configENS1_25partition_config_selectorILNS1_17partition_subalgoE2EsNS0_10empty_typeEbEEZZNS1_14partition_implILS5_2ELb0ES3_jN6thrust23THRUST_200600_302600_NS6detail15normal_iteratorINSA_7pointerIsNSA_11hip_rocprim3tagENSA_11use_defaultESG_EEEEPS6_NSA_18transform_iteratorI10is_orderedNSA_12zip_iteratorINSA_5tupleINSC_INSA_10device_ptrIsEEEESQ_NSA_9null_typeESR_SR_SR_SR_SR_SR_SR_EEEESG_SG_EENS0_5tupleIJPsSJ_EEENSV_IJSJ_SJ_EEES6_PlJS6_EEE10hipError_tPvRmT3_T4_T5_T6_T7_T9_mT8_P12ihipStream_tbDpT10_ENKUlT_T0_E_clISt17integral_constantIbLb0EES1J_EEDaS1E_S1F_EUlS1E_E_NS1_11comp_targetILNS1_3genE2ELNS1_11target_archE906ELNS1_3gpuE6ELNS1_3repE0EEENS1_30default_config_static_selectorELNS0_4arch9wavefront6targetE1EEEvT1_.kd
    .uniform_work_group_size: 1
    .uses_dynamic_stack: false
    .vgpr_count:     0
    .vgpr_spill_count: 0
    .wavefront_size: 64
  - .agpr_count:     0
    .args:
      - .offset:         0
        .size:           136
        .value_kind:     by_value
    .group_segment_fixed_size: 0
    .kernarg_segment_align: 8
    .kernarg_segment_size: 136
    .language:       OpenCL C
    .language_version:
      - 2
      - 0
    .max_flat_workgroup_size: 256
    .name:           _ZN7rocprim17ROCPRIM_400000_NS6detail17trampoline_kernelINS0_14default_configENS1_25partition_config_selectorILNS1_17partition_subalgoE2EsNS0_10empty_typeEbEEZZNS1_14partition_implILS5_2ELb0ES3_jN6thrust23THRUST_200600_302600_NS6detail15normal_iteratorINSA_7pointerIsNSA_11hip_rocprim3tagENSA_11use_defaultESG_EEEEPS6_NSA_18transform_iteratorI10is_orderedNSA_12zip_iteratorINSA_5tupleINSC_INSA_10device_ptrIsEEEESQ_NSA_9null_typeESR_SR_SR_SR_SR_SR_SR_EEEESG_SG_EENS0_5tupleIJPsSJ_EEENSV_IJSJ_SJ_EEES6_PlJS6_EEE10hipError_tPvRmT3_T4_T5_T6_T7_T9_mT8_P12ihipStream_tbDpT10_ENKUlT_T0_E_clISt17integral_constantIbLb0EES1J_EEDaS1E_S1F_EUlS1E_E_NS1_11comp_targetILNS1_3genE10ELNS1_11target_archE1200ELNS1_3gpuE4ELNS1_3repE0EEENS1_30default_config_static_selectorELNS0_4arch9wavefront6targetE1EEEvT1_
    .private_segment_fixed_size: 0
    .sgpr_count:     6
    .sgpr_spill_count: 0
    .symbol:         _ZN7rocprim17ROCPRIM_400000_NS6detail17trampoline_kernelINS0_14default_configENS1_25partition_config_selectorILNS1_17partition_subalgoE2EsNS0_10empty_typeEbEEZZNS1_14partition_implILS5_2ELb0ES3_jN6thrust23THRUST_200600_302600_NS6detail15normal_iteratorINSA_7pointerIsNSA_11hip_rocprim3tagENSA_11use_defaultESG_EEEEPS6_NSA_18transform_iteratorI10is_orderedNSA_12zip_iteratorINSA_5tupleINSC_INSA_10device_ptrIsEEEESQ_NSA_9null_typeESR_SR_SR_SR_SR_SR_SR_EEEESG_SG_EENS0_5tupleIJPsSJ_EEENSV_IJSJ_SJ_EEES6_PlJS6_EEE10hipError_tPvRmT3_T4_T5_T6_T7_T9_mT8_P12ihipStream_tbDpT10_ENKUlT_T0_E_clISt17integral_constantIbLb0EES1J_EEDaS1E_S1F_EUlS1E_E_NS1_11comp_targetILNS1_3genE10ELNS1_11target_archE1200ELNS1_3gpuE4ELNS1_3repE0EEENS1_30default_config_static_selectorELNS0_4arch9wavefront6targetE1EEEvT1_.kd
    .uniform_work_group_size: 1
    .uses_dynamic_stack: false
    .vgpr_count:     0
    .vgpr_spill_count: 0
    .wavefront_size: 64
  - .agpr_count:     0
    .args:
      - .offset:         0
        .size:           136
        .value_kind:     by_value
    .group_segment_fixed_size: 0
    .kernarg_segment_align: 8
    .kernarg_segment_size: 136
    .language:       OpenCL C
    .language_version:
      - 2
      - 0
    .max_flat_workgroup_size: 128
    .name:           _ZN7rocprim17ROCPRIM_400000_NS6detail17trampoline_kernelINS0_14default_configENS1_25partition_config_selectorILNS1_17partition_subalgoE2EsNS0_10empty_typeEbEEZZNS1_14partition_implILS5_2ELb0ES3_jN6thrust23THRUST_200600_302600_NS6detail15normal_iteratorINSA_7pointerIsNSA_11hip_rocprim3tagENSA_11use_defaultESG_EEEEPS6_NSA_18transform_iteratorI10is_orderedNSA_12zip_iteratorINSA_5tupleINSC_INSA_10device_ptrIsEEEESQ_NSA_9null_typeESR_SR_SR_SR_SR_SR_SR_EEEESG_SG_EENS0_5tupleIJPsSJ_EEENSV_IJSJ_SJ_EEES6_PlJS6_EEE10hipError_tPvRmT3_T4_T5_T6_T7_T9_mT8_P12ihipStream_tbDpT10_ENKUlT_T0_E_clISt17integral_constantIbLb0EES1J_EEDaS1E_S1F_EUlS1E_E_NS1_11comp_targetILNS1_3genE9ELNS1_11target_archE1100ELNS1_3gpuE3ELNS1_3repE0EEENS1_30default_config_static_selectorELNS0_4arch9wavefront6targetE1EEEvT1_
    .private_segment_fixed_size: 0
    .sgpr_count:     6
    .sgpr_spill_count: 0
    .symbol:         _ZN7rocprim17ROCPRIM_400000_NS6detail17trampoline_kernelINS0_14default_configENS1_25partition_config_selectorILNS1_17partition_subalgoE2EsNS0_10empty_typeEbEEZZNS1_14partition_implILS5_2ELb0ES3_jN6thrust23THRUST_200600_302600_NS6detail15normal_iteratorINSA_7pointerIsNSA_11hip_rocprim3tagENSA_11use_defaultESG_EEEEPS6_NSA_18transform_iteratorI10is_orderedNSA_12zip_iteratorINSA_5tupleINSC_INSA_10device_ptrIsEEEESQ_NSA_9null_typeESR_SR_SR_SR_SR_SR_SR_EEEESG_SG_EENS0_5tupleIJPsSJ_EEENSV_IJSJ_SJ_EEES6_PlJS6_EEE10hipError_tPvRmT3_T4_T5_T6_T7_T9_mT8_P12ihipStream_tbDpT10_ENKUlT_T0_E_clISt17integral_constantIbLb0EES1J_EEDaS1E_S1F_EUlS1E_E_NS1_11comp_targetILNS1_3genE9ELNS1_11target_archE1100ELNS1_3gpuE3ELNS1_3repE0EEENS1_30default_config_static_selectorELNS0_4arch9wavefront6targetE1EEEvT1_.kd
    .uniform_work_group_size: 1
    .uses_dynamic_stack: false
    .vgpr_count:     0
    .vgpr_spill_count: 0
    .wavefront_size: 64
  - .agpr_count:     0
    .args:
      - .offset:         0
        .size:           136
        .value_kind:     by_value
    .group_segment_fixed_size: 0
    .kernarg_segment_align: 8
    .kernarg_segment_size: 136
    .language:       OpenCL C
    .language_version:
      - 2
      - 0
    .max_flat_workgroup_size: 512
    .name:           _ZN7rocprim17ROCPRIM_400000_NS6detail17trampoline_kernelINS0_14default_configENS1_25partition_config_selectorILNS1_17partition_subalgoE2EsNS0_10empty_typeEbEEZZNS1_14partition_implILS5_2ELb0ES3_jN6thrust23THRUST_200600_302600_NS6detail15normal_iteratorINSA_7pointerIsNSA_11hip_rocprim3tagENSA_11use_defaultESG_EEEEPS6_NSA_18transform_iteratorI10is_orderedNSA_12zip_iteratorINSA_5tupleINSC_INSA_10device_ptrIsEEEESQ_NSA_9null_typeESR_SR_SR_SR_SR_SR_SR_EEEESG_SG_EENS0_5tupleIJPsSJ_EEENSV_IJSJ_SJ_EEES6_PlJS6_EEE10hipError_tPvRmT3_T4_T5_T6_T7_T9_mT8_P12ihipStream_tbDpT10_ENKUlT_T0_E_clISt17integral_constantIbLb0EES1J_EEDaS1E_S1F_EUlS1E_E_NS1_11comp_targetILNS1_3genE8ELNS1_11target_archE1030ELNS1_3gpuE2ELNS1_3repE0EEENS1_30default_config_static_selectorELNS0_4arch9wavefront6targetE1EEEvT1_
    .private_segment_fixed_size: 0
    .sgpr_count:     6
    .sgpr_spill_count: 0
    .symbol:         _ZN7rocprim17ROCPRIM_400000_NS6detail17trampoline_kernelINS0_14default_configENS1_25partition_config_selectorILNS1_17partition_subalgoE2EsNS0_10empty_typeEbEEZZNS1_14partition_implILS5_2ELb0ES3_jN6thrust23THRUST_200600_302600_NS6detail15normal_iteratorINSA_7pointerIsNSA_11hip_rocprim3tagENSA_11use_defaultESG_EEEEPS6_NSA_18transform_iteratorI10is_orderedNSA_12zip_iteratorINSA_5tupleINSC_INSA_10device_ptrIsEEEESQ_NSA_9null_typeESR_SR_SR_SR_SR_SR_SR_EEEESG_SG_EENS0_5tupleIJPsSJ_EEENSV_IJSJ_SJ_EEES6_PlJS6_EEE10hipError_tPvRmT3_T4_T5_T6_T7_T9_mT8_P12ihipStream_tbDpT10_ENKUlT_T0_E_clISt17integral_constantIbLb0EES1J_EEDaS1E_S1F_EUlS1E_E_NS1_11comp_targetILNS1_3genE8ELNS1_11target_archE1030ELNS1_3gpuE2ELNS1_3repE0EEENS1_30default_config_static_selectorELNS0_4arch9wavefront6targetE1EEEvT1_.kd
    .uniform_work_group_size: 1
    .uses_dynamic_stack: false
    .vgpr_count:     0
    .vgpr_spill_count: 0
    .wavefront_size: 64
  - .agpr_count:     0
    .args:
      - .offset:         0
        .size:           152
        .value_kind:     by_value
    .group_segment_fixed_size: 0
    .kernarg_segment_align: 8
    .kernarg_segment_size: 152
    .language:       OpenCL C
    .language_version:
      - 2
      - 0
    .max_flat_workgroup_size: 256
    .name:           _ZN7rocprim17ROCPRIM_400000_NS6detail17trampoline_kernelINS0_14default_configENS1_25partition_config_selectorILNS1_17partition_subalgoE2EsNS0_10empty_typeEbEEZZNS1_14partition_implILS5_2ELb0ES3_jN6thrust23THRUST_200600_302600_NS6detail15normal_iteratorINSA_7pointerIsNSA_11hip_rocprim3tagENSA_11use_defaultESG_EEEEPS6_NSA_18transform_iteratorI10is_orderedNSA_12zip_iteratorINSA_5tupleINSC_INSA_10device_ptrIsEEEESQ_NSA_9null_typeESR_SR_SR_SR_SR_SR_SR_EEEESG_SG_EENS0_5tupleIJPsSJ_EEENSV_IJSJ_SJ_EEES6_PlJS6_EEE10hipError_tPvRmT3_T4_T5_T6_T7_T9_mT8_P12ihipStream_tbDpT10_ENKUlT_T0_E_clISt17integral_constantIbLb1EES1J_EEDaS1E_S1F_EUlS1E_E_NS1_11comp_targetILNS1_3genE0ELNS1_11target_archE4294967295ELNS1_3gpuE0ELNS1_3repE0EEENS1_30default_config_static_selectorELNS0_4arch9wavefront6targetE1EEEvT1_
    .private_segment_fixed_size: 0
    .sgpr_count:     6
    .sgpr_spill_count: 0
    .symbol:         _ZN7rocprim17ROCPRIM_400000_NS6detail17trampoline_kernelINS0_14default_configENS1_25partition_config_selectorILNS1_17partition_subalgoE2EsNS0_10empty_typeEbEEZZNS1_14partition_implILS5_2ELb0ES3_jN6thrust23THRUST_200600_302600_NS6detail15normal_iteratorINSA_7pointerIsNSA_11hip_rocprim3tagENSA_11use_defaultESG_EEEEPS6_NSA_18transform_iteratorI10is_orderedNSA_12zip_iteratorINSA_5tupleINSC_INSA_10device_ptrIsEEEESQ_NSA_9null_typeESR_SR_SR_SR_SR_SR_SR_EEEESG_SG_EENS0_5tupleIJPsSJ_EEENSV_IJSJ_SJ_EEES6_PlJS6_EEE10hipError_tPvRmT3_T4_T5_T6_T7_T9_mT8_P12ihipStream_tbDpT10_ENKUlT_T0_E_clISt17integral_constantIbLb1EES1J_EEDaS1E_S1F_EUlS1E_E_NS1_11comp_targetILNS1_3genE0ELNS1_11target_archE4294967295ELNS1_3gpuE0ELNS1_3repE0EEENS1_30default_config_static_selectorELNS0_4arch9wavefront6targetE1EEEvT1_.kd
    .uniform_work_group_size: 1
    .uses_dynamic_stack: false
    .vgpr_count:     0
    .vgpr_spill_count: 0
    .wavefront_size: 64
  - .agpr_count:     0
    .args:
      - .offset:         0
        .size:           152
        .value_kind:     by_value
    .group_segment_fixed_size: 30728
    .kernarg_segment_align: 8
    .kernarg_segment_size: 152
    .language:       OpenCL C
    .language_version:
      - 2
      - 0
    .max_flat_workgroup_size: 512
    .name:           _ZN7rocprim17ROCPRIM_400000_NS6detail17trampoline_kernelINS0_14default_configENS1_25partition_config_selectorILNS1_17partition_subalgoE2EsNS0_10empty_typeEbEEZZNS1_14partition_implILS5_2ELb0ES3_jN6thrust23THRUST_200600_302600_NS6detail15normal_iteratorINSA_7pointerIsNSA_11hip_rocprim3tagENSA_11use_defaultESG_EEEEPS6_NSA_18transform_iteratorI10is_orderedNSA_12zip_iteratorINSA_5tupleINSC_INSA_10device_ptrIsEEEESQ_NSA_9null_typeESR_SR_SR_SR_SR_SR_SR_EEEESG_SG_EENS0_5tupleIJPsSJ_EEENSV_IJSJ_SJ_EEES6_PlJS6_EEE10hipError_tPvRmT3_T4_T5_T6_T7_T9_mT8_P12ihipStream_tbDpT10_ENKUlT_T0_E_clISt17integral_constantIbLb1EES1J_EEDaS1E_S1F_EUlS1E_E_NS1_11comp_targetILNS1_3genE5ELNS1_11target_archE942ELNS1_3gpuE9ELNS1_3repE0EEENS1_30default_config_static_selectorELNS0_4arch9wavefront6targetE1EEEvT1_
    .private_segment_fixed_size: 0
    .sgpr_count:     52
    .sgpr_spill_count: 0
    .symbol:         _ZN7rocprim17ROCPRIM_400000_NS6detail17trampoline_kernelINS0_14default_configENS1_25partition_config_selectorILNS1_17partition_subalgoE2EsNS0_10empty_typeEbEEZZNS1_14partition_implILS5_2ELb0ES3_jN6thrust23THRUST_200600_302600_NS6detail15normal_iteratorINSA_7pointerIsNSA_11hip_rocprim3tagENSA_11use_defaultESG_EEEEPS6_NSA_18transform_iteratorI10is_orderedNSA_12zip_iteratorINSA_5tupleINSC_INSA_10device_ptrIsEEEESQ_NSA_9null_typeESR_SR_SR_SR_SR_SR_SR_EEEESG_SG_EENS0_5tupleIJPsSJ_EEENSV_IJSJ_SJ_EEES6_PlJS6_EEE10hipError_tPvRmT3_T4_T5_T6_T7_T9_mT8_P12ihipStream_tbDpT10_ENKUlT_T0_E_clISt17integral_constantIbLb1EES1J_EEDaS1E_S1F_EUlS1E_E_NS1_11comp_targetILNS1_3genE5ELNS1_11target_archE942ELNS1_3gpuE9ELNS1_3repE0EEENS1_30default_config_static_selectorELNS0_4arch9wavefront6targetE1EEEvT1_.kd
    .uniform_work_group_size: 1
    .uses_dynamic_stack: false
    .vgpr_count:     102
    .vgpr_spill_count: 0
    .wavefront_size: 64
  - .agpr_count:     0
    .args:
      - .offset:         0
        .size:           152
        .value_kind:     by_value
    .group_segment_fixed_size: 0
    .kernarg_segment_align: 8
    .kernarg_segment_size: 152
    .language:       OpenCL C
    .language_version:
      - 2
      - 0
    .max_flat_workgroup_size: 256
    .name:           _ZN7rocprim17ROCPRIM_400000_NS6detail17trampoline_kernelINS0_14default_configENS1_25partition_config_selectorILNS1_17partition_subalgoE2EsNS0_10empty_typeEbEEZZNS1_14partition_implILS5_2ELb0ES3_jN6thrust23THRUST_200600_302600_NS6detail15normal_iteratorINSA_7pointerIsNSA_11hip_rocprim3tagENSA_11use_defaultESG_EEEEPS6_NSA_18transform_iteratorI10is_orderedNSA_12zip_iteratorINSA_5tupleINSC_INSA_10device_ptrIsEEEESQ_NSA_9null_typeESR_SR_SR_SR_SR_SR_SR_EEEESG_SG_EENS0_5tupleIJPsSJ_EEENSV_IJSJ_SJ_EEES6_PlJS6_EEE10hipError_tPvRmT3_T4_T5_T6_T7_T9_mT8_P12ihipStream_tbDpT10_ENKUlT_T0_E_clISt17integral_constantIbLb1EES1J_EEDaS1E_S1F_EUlS1E_E_NS1_11comp_targetILNS1_3genE4ELNS1_11target_archE910ELNS1_3gpuE8ELNS1_3repE0EEENS1_30default_config_static_selectorELNS0_4arch9wavefront6targetE1EEEvT1_
    .private_segment_fixed_size: 0
    .sgpr_count:     6
    .sgpr_spill_count: 0
    .symbol:         _ZN7rocprim17ROCPRIM_400000_NS6detail17trampoline_kernelINS0_14default_configENS1_25partition_config_selectorILNS1_17partition_subalgoE2EsNS0_10empty_typeEbEEZZNS1_14partition_implILS5_2ELb0ES3_jN6thrust23THRUST_200600_302600_NS6detail15normal_iteratorINSA_7pointerIsNSA_11hip_rocprim3tagENSA_11use_defaultESG_EEEEPS6_NSA_18transform_iteratorI10is_orderedNSA_12zip_iteratorINSA_5tupleINSC_INSA_10device_ptrIsEEEESQ_NSA_9null_typeESR_SR_SR_SR_SR_SR_SR_EEEESG_SG_EENS0_5tupleIJPsSJ_EEENSV_IJSJ_SJ_EEES6_PlJS6_EEE10hipError_tPvRmT3_T4_T5_T6_T7_T9_mT8_P12ihipStream_tbDpT10_ENKUlT_T0_E_clISt17integral_constantIbLb1EES1J_EEDaS1E_S1F_EUlS1E_E_NS1_11comp_targetILNS1_3genE4ELNS1_11target_archE910ELNS1_3gpuE8ELNS1_3repE0EEENS1_30default_config_static_selectorELNS0_4arch9wavefront6targetE1EEEvT1_.kd
    .uniform_work_group_size: 1
    .uses_dynamic_stack: false
    .vgpr_count:     0
    .vgpr_spill_count: 0
    .wavefront_size: 64
  - .agpr_count:     0
    .args:
      - .offset:         0
        .size:           152
        .value_kind:     by_value
    .group_segment_fixed_size: 0
    .kernarg_segment_align: 8
    .kernarg_segment_size: 152
    .language:       OpenCL C
    .language_version:
      - 2
      - 0
    .max_flat_workgroup_size: 256
    .name:           _ZN7rocprim17ROCPRIM_400000_NS6detail17trampoline_kernelINS0_14default_configENS1_25partition_config_selectorILNS1_17partition_subalgoE2EsNS0_10empty_typeEbEEZZNS1_14partition_implILS5_2ELb0ES3_jN6thrust23THRUST_200600_302600_NS6detail15normal_iteratorINSA_7pointerIsNSA_11hip_rocprim3tagENSA_11use_defaultESG_EEEEPS6_NSA_18transform_iteratorI10is_orderedNSA_12zip_iteratorINSA_5tupleINSC_INSA_10device_ptrIsEEEESQ_NSA_9null_typeESR_SR_SR_SR_SR_SR_SR_EEEESG_SG_EENS0_5tupleIJPsSJ_EEENSV_IJSJ_SJ_EEES6_PlJS6_EEE10hipError_tPvRmT3_T4_T5_T6_T7_T9_mT8_P12ihipStream_tbDpT10_ENKUlT_T0_E_clISt17integral_constantIbLb1EES1J_EEDaS1E_S1F_EUlS1E_E_NS1_11comp_targetILNS1_3genE3ELNS1_11target_archE908ELNS1_3gpuE7ELNS1_3repE0EEENS1_30default_config_static_selectorELNS0_4arch9wavefront6targetE1EEEvT1_
    .private_segment_fixed_size: 0
    .sgpr_count:     6
    .sgpr_spill_count: 0
    .symbol:         _ZN7rocprim17ROCPRIM_400000_NS6detail17trampoline_kernelINS0_14default_configENS1_25partition_config_selectorILNS1_17partition_subalgoE2EsNS0_10empty_typeEbEEZZNS1_14partition_implILS5_2ELb0ES3_jN6thrust23THRUST_200600_302600_NS6detail15normal_iteratorINSA_7pointerIsNSA_11hip_rocprim3tagENSA_11use_defaultESG_EEEEPS6_NSA_18transform_iteratorI10is_orderedNSA_12zip_iteratorINSA_5tupleINSC_INSA_10device_ptrIsEEEESQ_NSA_9null_typeESR_SR_SR_SR_SR_SR_SR_EEEESG_SG_EENS0_5tupleIJPsSJ_EEENSV_IJSJ_SJ_EEES6_PlJS6_EEE10hipError_tPvRmT3_T4_T5_T6_T7_T9_mT8_P12ihipStream_tbDpT10_ENKUlT_T0_E_clISt17integral_constantIbLb1EES1J_EEDaS1E_S1F_EUlS1E_E_NS1_11comp_targetILNS1_3genE3ELNS1_11target_archE908ELNS1_3gpuE7ELNS1_3repE0EEENS1_30default_config_static_selectorELNS0_4arch9wavefront6targetE1EEEvT1_.kd
    .uniform_work_group_size: 1
    .uses_dynamic_stack: false
    .vgpr_count:     0
    .vgpr_spill_count: 0
    .wavefront_size: 64
  - .agpr_count:     0
    .args:
      - .offset:         0
        .size:           152
        .value_kind:     by_value
    .group_segment_fixed_size: 0
    .kernarg_segment_align: 8
    .kernarg_segment_size: 152
    .language:       OpenCL C
    .language_version:
      - 2
      - 0
    .max_flat_workgroup_size: 256
    .name:           _ZN7rocprim17ROCPRIM_400000_NS6detail17trampoline_kernelINS0_14default_configENS1_25partition_config_selectorILNS1_17partition_subalgoE2EsNS0_10empty_typeEbEEZZNS1_14partition_implILS5_2ELb0ES3_jN6thrust23THRUST_200600_302600_NS6detail15normal_iteratorINSA_7pointerIsNSA_11hip_rocprim3tagENSA_11use_defaultESG_EEEEPS6_NSA_18transform_iteratorI10is_orderedNSA_12zip_iteratorINSA_5tupleINSC_INSA_10device_ptrIsEEEESQ_NSA_9null_typeESR_SR_SR_SR_SR_SR_SR_EEEESG_SG_EENS0_5tupleIJPsSJ_EEENSV_IJSJ_SJ_EEES6_PlJS6_EEE10hipError_tPvRmT3_T4_T5_T6_T7_T9_mT8_P12ihipStream_tbDpT10_ENKUlT_T0_E_clISt17integral_constantIbLb1EES1J_EEDaS1E_S1F_EUlS1E_E_NS1_11comp_targetILNS1_3genE2ELNS1_11target_archE906ELNS1_3gpuE6ELNS1_3repE0EEENS1_30default_config_static_selectorELNS0_4arch9wavefront6targetE1EEEvT1_
    .private_segment_fixed_size: 0
    .sgpr_count:     6
    .sgpr_spill_count: 0
    .symbol:         _ZN7rocprim17ROCPRIM_400000_NS6detail17trampoline_kernelINS0_14default_configENS1_25partition_config_selectorILNS1_17partition_subalgoE2EsNS0_10empty_typeEbEEZZNS1_14partition_implILS5_2ELb0ES3_jN6thrust23THRUST_200600_302600_NS6detail15normal_iteratorINSA_7pointerIsNSA_11hip_rocprim3tagENSA_11use_defaultESG_EEEEPS6_NSA_18transform_iteratorI10is_orderedNSA_12zip_iteratorINSA_5tupleINSC_INSA_10device_ptrIsEEEESQ_NSA_9null_typeESR_SR_SR_SR_SR_SR_SR_EEEESG_SG_EENS0_5tupleIJPsSJ_EEENSV_IJSJ_SJ_EEES6_PlJS6_EEE10hipError_tPvRmT3_T4_T5_T6_T7_T9_mT8_P12ihipStream_tbDpT10_ENKUlT_T0_E_clISt17integral_constantIbLb1EES1J_EEDaS1E_S1F_EUlS1E_E_NS1_11comp_targetILNS1_3genE2ELNS1_11target_archE906ELNS1_3gpuE6ELNS1_3repE0EEENS1_30default_config_static_selectorELNS0_4arch9wavefront6targetE1EEEvT1_.kd
    .uniform_work_group_size: 1
    .uses_dynamic_stack: false
    .vgpr_count:     0
    .vgpr_spill_count: 0
    .wavefront_size: 64
  - .agpr_count:     0
    .args:
      - .offset:         0
        .size:           152
        .value_kind:     by_value
    .group_segment_fixed_size: 0
    .kernarg_segment_align: 8
    .kernarg_segment_size: 152
    .language:       OpenCL C
    .language_version:
      - 2
      - 0
    .max_flat_workgroup_size: 256
    .name:           _ZN7rocprim17ROCPRIM_400000_NS6detail17trampoline_kernelINS0_14default_configENS1_25partition_config_selectorILNS1_17partition_subalgoE2EsNS0_10empty_typeEbEEZZNS1_14partition_implILS5_2ELb0ES3_jN6thrust23THRUST_200600_302600_NS6detail15normal_iteratorINSA_7pointerIsNSA_11hip_rocprim3tagENSA_11use_defaultESG_EEEEPS6_NSA_18transform_iteratorI10is_orderedNSA_12zip_iteratorINSA_5tupleINSC_INSA_10device_ptrIsEEEESQ_NSA_9null_typeESR_SR_SR_SR_SR_SR_SR_EEEESG_SG_EENS0_5tupleIJPsSJ_EEENSV_IJSJ_SJ_EEES6_PlJS6_EEE10hipError_tPvRmT3_T4_T5_T6_T7_T9_mT8_P12ihipStream_tbDpT10_ENKUlT_T0_E_clISt17integral_constantIbLb1EES1J_EEDaS1E_S1F_EUlS1E_E_NS1_11comp_targetILNS1_3genE10ELNS1_11target_archE1200ELNS1_3gpuE4ELNS1_3repE0EEENS1_30default_config_static_selectorELNS0_4arch9wavefront6targetE1EEEvT1_
    .private_segment_fixed_size: 0
    .sgpr_count:     6
    .sgpr_spill_count: 0
    .symbol:         _ZN7rocprim17ROCPRIM_400000_NS6detail17trampoline_kernelINS0_14default_configENS1_25partition_config_selectorILNS1_17partition_subalgoE2EsNS0_10empty_typeEbEEZZNS1_14partition_implILS5_2ELb0ES3_jN6thrust23THRUST_200600_302600_NS6detail15normal_iteratorINSA_7pointerIsNSA_11hip_rocprim3tagENSA_11use_defaultESG_EEEEPS6_NSA_18transform_iteratorI10is_orderedNSA_12zip_iteratorINSA_5tupleINSC_INSA_10device_ptrIsEEEESQ_NSA_9null_typeESR_SR_SR_SR_SR_SR_SR_EEEESG_SG_EENS0_5tupleIJPsSJ_EEENSV_IJSJ_SJ_EEES6_PlJS6_EEE10hipError_tPvRmT3_T4_T5_T6_T7_T9_mT8_P12ihipStream_tbDpT10_ENKUlT_T0_E_clISt17integral_constantIbLb1EES1J_EEDaS1E_S1F_EUlS1E_E_NS1_11comp_targetILNS1_3genE10ELNS1_11target_archE1200ELNS1_3gpuE4ELNS1_3repE0EEENS1_30default_config_static_selectorELNS0_4arch9wavefront6targetE1EEEvT1_.kd
    .uniform_work_group_size: 1
    .uses_dynamic_stack: false
    .vgpr_count:     0
    .vgpr_spill_count: 0
    .wavefront_size: 64
  - .agpr_count:     0
    .args:
      - .offset:         0
        .size:           152
        .value_kind:     by_value
    .group_segment_fixed_size: 0
    .kernarg_segment_align: 8
    .kernarg_segment_size: 152
    .language:       OpenCL C
    .language_version:
      - 2
      - 0
    .max_flat_workgroup_size: 128
    .name:           _ZN7rocprim17ROCPRIM_400000_NS6detail17trampoline_kernelINS0_14default_configENS1_25partition_config_selectorILNS1_17partition_subalgoE2EsNS0_10empty_typeEbEEZZNS1_14partition_implILS5_2ELb0ES3_jN6thrust23THRUST_200600_302600_NS6detail15normal_iteratorINSA_7pointerIsNSA_11hip_rocprim3tagENSA_11use_defaultESG_EEEEPS6_NSA_18transform_iteratorI10is_orderedNSA_12zip_iteratorINSA_5tupleINSC_INSA_10device_ptrIsEEEESQ_NSA_9null_typeESR_SR_SR_SR_SR_SR_SR_EEEESG_SG_EENS0_5tupleIJPsSJ_EEENSV_IJSJ_SJ_EEES6_PlJS6_EEE10hipError_tPvRmT3_T4_T5_T6_T7_T9_mT8_P12ihipStream_tbDpT10_ENKUlT_T0_E_clISt17integral_constantIbLb1EES1J_EEDaS1E_S1F_EUlS1E_E_NS1_11comp_targetILNS1_3genE9ELNS1_11target_archE1100ELNS1_3gpuE3ELNS1_3repE0EEENS1_30default_config_static_selectorELNS0_4arch9wavefront6targetE1EEEvT1_
    .private_segment_fixed_size: 0
    .sgpr_count:     6
    .sgpr_spill_count: 0
    .symbol:         _ZN7rocprim17ROCPRIM_400000_NS6detail17trampoline_kernelINS0_14default_configENS1_25partition_config_selectorILNS1_17partition_subalgoE2EsNS0_10empty_typeEbEEZZNS1_14partition_implILS5_2ELb0ES3_jN6thrust23THRUST_200600_302600_NS6detail15normal_iteratorINSA_7pointerIsNSA_11hip_rocprim3tagENSA_11use_defaultESG_EEEEPS6_NSA_18transform_iteratorI10is_orderedNSA_12zip_iteratorINSA_5tupleINSC_INSA_10device_ptrIsEEEESQ_NSA_9null_typeESR_SR_SR_SR_SR_SR_SR_EEEESG_SG_EENS0_5tupleIJPsSJ_EEENSV_IJSJ_SJ_EEES6_PlJS6_EEE10hipError_tPvRmT3_T4_T5_T6_T7_T9_mT8_P12ihipStream_tbDpT10_ENKUlT_T0_E_clISt17integral_constantIbLb1EES1J_EEDaS1E_S1F_EUlS1E_E_NS1_11comp_targetILNS1_3genE9ELNS1_11target_archE1100ELNS1_3gpuE3ELNS1_3repE0EEENS1_30default_config_static_selectorELNS0_4arch9wavefront6targetE1EEEvT1_.kd
    .uniform_work_group_size: 1
    .uses_dynamic_stack: false
    .vgpr_count:     0
    .vgpr_spill_count: 0
    .wavefront_size: 64
  - .agpr_count:     0
    .args:
      - .offset:         0
        .size:           152
        .value_kind:     by_value
    .group_segment_fixed_size: 0
    .kernarg_segment_align: 8
    .kernarg_segment_size: 152
    .language:       OpenCL C
    .language_version:
      - 2
      - 0
    .max_flat_workgroup_size: 512
    .name:           _ZN7rocprim17ROCPRIM_400000_NS6detail17trampoline_kernelINS0_14default_configENS1_25partition_config_selectorILNS1_17partition_subalgoE2EsNS0_10empty_typeEbEEZZNS1_14partition_implILS5_2ELb0ES3_jN6thrust23THRUST_200600_302600_NS6detail15normal_iteratorINSA_7pointerIsNSA_11hip_rocprim3tagENSA_11use_defaultESG_EEEEPS6_NSA_18transform_iteratorI10is_orderedNSA_12zip_iteratorINSA_5tupleINSC_INSA_10device_ptrIsEEEESQ_NSA_9null_typeESR_SR_SR_SR_SR_SR_SR_EEEESG_SG_EENS0_5tupleIJPsSJ_EEENSV_IJSJ_SJ_EEES6_PlJS6_EEE10hipError_tPvRmT3_T4_T5_T6_T7_T9_mT8_P12ihipStream_tbDpT10_ENKUlT_T0_E_clISt17integral_constantIbLb1EES1J_EEDaS1E_S1F_EUlS1E_E_NS1_11comp_targetILNS1_3genE8ELNS1_11target_archE1030ELNS1_3gpuE2ELNS1_3repE0EEENS1_30default_config_static_selectorELNS0_4arch9wavefront6targetE1EEEvT1_
    .private_segment_fixed_size: 0
    .sgpr_count:     6
    .sgpr_spill_count: 0
    .symbol:         _ZN7rocprim17ROCPRIM_400000_NS6detail17trampoline_kernelINS0_14default_configENS1_25partition_config_selectorILNS1_17partition_subalgoE2EsNS0_10empty_typeEbEEZZNS1_14partition_implILS5_2ELb0ES3_jN6thrust23THRUST_200600_302600_NS6detail15normal_iteratorINSA_7pointerIsNSA_11hip_rocprim3tagENSA_11use_defaultESG_EEEEPS6_NSA_18transform_iteratorI10is_orderedNSA_12zip_iteratorINSA_5tupleINSC_INSA_10device_ptrIsEEEESQ_NSA_9null_typeESR_SR_SR_SR_SR_SR_SR_EEEESG_SG_EENS0_5tupleIJPsSJ_EEENSV_IJSJ_SJ_EEES6_PlJS6_EEE10hipError_tPvRmT3_T4_T5_T6_T7_T9_mT8_P12ihipStream_tbDpT10_ENKUlT_T0_E_clISt17integral_constantIbLb1EES1J_EEDaS1E_S1F_EUlS1E_E_NS1_11comp_targetILNS1_3genE8ELNS1_11target_archE1030ELNS1_3gpuE2ELNS1_3repE0EEENS1_30default_config_static_selectorELNS0_4arch9wavefront6targetE1EEEvT1_.kd
    .uniform_work_group_size: 1
    .uses_dynamic_stack: false
    .vgpr_count:     0
    .vgpr_spill_count: 0
    .wavefront_size: 64
  - .agpr_count:     0
    .args:
      - .offset:         0
        .size:           136
        .value_kind:     by_value
    .group_segment_fixed_size: 0
    .kernarg_segment_align: 8
    .kernarg_segment_size: 136
    .language:       OpenCL C
    .language_version:
      - 2
      - 0
    .max_flat_workgroup_size: 256
    .name:           _ZN7rocprim17ROCPRIM_400000_NS6detail17trampoline_kernelINS0_14default_configENS1_25partition_config_selectorILNS1_17partition_subalgoE2EsNS0_10empty_typeEbEEZZNS1_14partition_implILS5_2ELb0ES3_jN6thrust23THRUST_200600_302600_NS6detail15normal_iteratorINSA_7pointerIsNSA_11hip_rocprim3tagENSA_11use_defaultESG_EEEEPS6_NSA_18transform_iteratorI10is_orderedNSA_12zip_iteratorINSA_5tupleINSC_INSA_10device_ptrIsEEEESQ_NSA_9null_typeESR_SR_SR_SR_SR_SR_SR_EEEESG_SG_EENS0_5tupleIJPsSJ_EEENSV_IJSJ_SJ_EEES6_PlJS6_EEE10hipError_tPvRmT3_T4_T5_T6_T7_T9_mT8_P12ihipStream_tbDpT10_ENKUlT_T0_E_clISt17integral_constantIbLb1EES1I_IbLb0EEEEDaS1E_S1F_EUlS1E_E_NS1_11comp_targetILNS1_3genE0ELNS1_11target_archE4294967295ELNS1_3gpuE0ELNS1_3repE0EEENS1_30default_config_static_selectorELNS0_4arch9wavefront6targetE1EEEvT1_
    .private_segment_fixed_size: 0
    .sgpr_count:     6
    .sgpr_spill_count: 0
    .symbol:         _ZN7rocprim17ROCPRIM_400000_NS6detail17trampoline_kernelINS0_14default_configENS1_25partition_config_selectorILNS1_17partition_subalgoE2EsNS0_10empty_typeEbEEZZNS1_14partition_implILS5_2ELb0ES3_jN6thrust23THRUST_200600_302600_NS6detail15normal_iteratorINSA_7pointerIsNSA_11hip_rocprim3tagENSA_11use_defaultESG_EEEEPS6_NSA_18transform_iteratorI10is_orderedNSA_12zip_iteratorINSA_5tupleINSC_INSA_10device_ptrIsEEEESQ_NSA_9null_typeESR_SR_SR_SR_SR_SR_SR_EEEESG_SG_EENS0_5tupleIJPsSJ_EEENSV_IJSJ_SJ_EEES6_PlJS6_EEE10hipError_tPvRmT3_T4_T5_T6_T7_T9_mT8_P12ihipStream_tbDpT10_ENKUlT_T0_E_clISt17integral_constantIbLb1EES1I_IbLb0EEEEDaS1E_S1F_EUlS1E_E_NS1_11comp_targetILNS1_3genE0ELNS1_11target_archE4294967295ELNS1_3gpuE0ELNS1_3repE0EEENS1_30default_config_static_selectorELNS0_4arch9wavefront6targetE1EEEvT1_.kd
    .uniform_work_group_size: 1
    .uses_dynamic_stack: false
    .vgpr_count:     0
    .vgpr_spill_count: 0
    .wavefront_size: 64
  - .agpr_count:     0
    .args:
      - .offset:         0
        .size:           136
        .value_kind:     by_value
    .group_segment_fixed_size: 30728
    .kernarg_segment_align: 8
    .kernarg_segment_size: 136
    .language:       OpenCL C
    .language_version:
      - 2
      - 0
    .max_flat_workgroup_size: 512
    .name:           _ZN7rocprim17ROCPRIM_400000_NS6detail17trampoline_kernelINS0_14default_configENS1_25partition_config_selectorILNS1_17partition_subalgoE2EsNS0_10empty_typeEbEEZZNS1_14partition_implILS5_2ELb0ES3_jN6thrust23THRUST_200600_302600_NS6detail15normal_iteratorINSA_7pointerIsNSA_11hip_rocprim3tagENSA_11use_defaultESG_EEEEPS6_NSA_18transform_iteratorI10is_orderedNSA_12zip_iteratorINSA_5tupleINSC_INSA_10device_ptrIsEEEESQ_NSA_9null_typeESR_SR_SR_SR_SR_SR_SR_EEEESG_SG_EENS0_5tupleIJPsSJ_EEENSV_IJSJ_SJ_EEES6_PlJS6_EEE10hipError_tPvRmT3_T4_T5_T6_T7_T9_mT8_P12ihipStream_tbDpT10_ENKUlT_T0_E_clISt17integral_constantIbLb1EES1I_IbLb0EEEEDaS1E_S1F_EUlS1E_E_NS1_11comp_targetILNS1_3genE5ELNS1_11target_archE942ELNS1_3gpuE9ELNS1_3repE0EEENS1_30default_config_static_selectorELNS0_4arch9wavefront6targetE1EEEvT1_
    .private_segment_fixed_size: 0
    .sgpr_count:     52
    .sgpr_spill_count: 0
    .symbol:         _ZN7rocprim17ROCPRIM_400000_NS6detail17trampoline_kernelINS0_14default_configENS1_25partition_config_selectorILNS1_17partition_subalgoE2EsNS0_10empty_typeEbEEZZNS1_14partition_implILS5_2ELb0ES3_jN6thrust23THRUST_200600_302600_NS6detail15normal_iteratorINSA_7pointerIsNSA_11hip_rocprim3tagENSA_11use_defaultESG_EEEEPS6_NSA_18transform_iteratorI10is_orderedNSA_12zip_iteratorINSA_5tupleINSC_INSA_10device_ptrIsEEEESQ_NSA_9null_typeESR_SR_SR_SR_SR_SR_SR_EEEESG_SG_EENS0_5tupleIJPsSJ_EEENSV_IJSJ_SJ_EEES6_PlJS6_EEE10hipError_tPvRmT3_T4_T5_T6_T7_T9_mT8_P12ihipStream_tbDpT10_ENKUlT_T0_E_clISt17integral_constantIbLb1EES1I_IbLb0EEEEDaS1E_S1F_EUlS1E_E_NS1_11comp_targetILNS1_3genE5ELNS1_11target_archE942ELNS1_3gpuE9ELNS1_3repE0EEENS1_30default_config_static_selectorELNS0_4arch9wavefront6targetE1EEEvT1_.kd
    .uniform_work_group_size: 1
    .uses_dynamic_stack: false
    .vgpr_count:     100
    .vgpr_spill_count: 0
    .wavefront_size: 64
  - .agpr_count:     0
    .args:
      - .offset:         0
        .size:           136
        .value_kind:     by_value
    .group_segment_fixed_size: 0
    .kernarg_segment_align: 8
    .kernarg_segment_size: 136
    .language:       OpenCL C
    .language_version:
      - 2
      - 0
    .max_flat_workgroup_size: 256
    .name:           _ZN7rocprim17ROCPRIM_400000_NS6detail17trampoline_kernelINS0_14default_configENS1_25partition_config_selectorILNS1_17partition_subalgoE2EsNS0_10empty_typeEbEEZZNS1_14partition_implILS5_2ELb0ES3_jN6thrust23THRUST_200600_302600_NS6detail15normal_iteratorINSA_7pointerIsNSA_11hip_rocprim3tagENSA_11use_defaultESG_EEEEPS6_NSA_18transform_iteratorI10is_orderedNSA_12zip_iteratorINSA_5tupleINSC_INSA_10device_ptrIsEEEESQ_NSA_9null_typeESR_SR_SR_SR_SR_SR_SR_EEEESG_SG_EENS0_5tupleIJPsSJ_EEENSV_IJSJ_SJ_EEES6_PlJS6_EEE10hipError_tPvRmT3_T4_T5_T6_T7_T9_mT8_P12ihipStream_tbDpT10_ENKUlT_T0_E_clISt17integral_constantIbLb1EES1I_IbLb0EEEEDaS1E_S1F_EUlS1E_E_NS1_11comp_targetILNS1_3genE4ELNS1_11target_archE910ELNS1_3gpuE8ELNS1_3repE0EEENS1_30default_config_static_selectorELNS0_4arch9wavefront6targetE1EEEvT1_
    .private_segment_fixed_size: 0
    .sgpr_count:     6
    .sgpr_spill_count: 0
    .symbol:         _ZN7rocprim17ROCPRIM_400000_NS6detail17trampoline_kernelINS0_14default_configENS1_25partition_config_selectorILNS1_17partition_subalgoE2EsNS0_10empty_typeEbEEZZNS1_14partition_implILS5_2ELb0ES3_jN6thrust23THRUST_200600_302600_NS6detail15normal_iteratorINSA_7pointerIsNSA_11hip_rocprim3tagENSA_11use_defaultESG_EEEEPS6_NSA_18transform_iteratorI10is_orderedNSA_12zip_iteratorINSA_5tupleINSC_INSA_10device_ptrIsEEEESQ_NSA_9null_typeESR_SR_SR_SR_SR_SR_SR_EEEESG_SG_EENS0_5tupleIJPsSJ_EEENSV_IJSJ_SJ_EEES6_PlJS6_EEE10hipError_tPvRmT3_T4_T5_T6_T7_T9_mT8_P12ihipStream_tbDpT10_ENKUlT_T0_E_clISt17integral_constantIbLb1EES1I_IbLb0EEEEDaS1E_S1F_EUlS1E_E_NS1_11comp_targetILNS1_3genE4ELNS1_11target_archE910ELNS1_3gpuE8ELNS1_3repE0EEENS1_30default_config_static_selectorELNS0_4arch9wavefront6targetE1EEEvT1_.kd
    .uniform_work_group_size: 1
    .uses_dynamic_stack: false
    .vgpr_count:     0
    .vgpr_spill_count: 0
    .wavefront_size: 64
  - .agpr_count:     0
    .args:
      - .offset:         0
        .size:           136
        .value_kind:     by_value
    .group_segment_fixed_size: 0
    .kernarg_segment_align: 8
    .kernarg_segment_size: 136
    .language:       OpenCL C
    .language_version:
      - 2
      - 0
    .max_flat_workgroup_size: 256
    .name:           _ZN7rocprim17ROCPRIM_400000_NS6detail17trampoline_kernelINS0_14default_configENS1_25partition_config_selectorILNS1_17partition_subalgoE2EsNS0_10empty_typeEbEEZZNS1_14partition_implILS5_2ELb0ES3_jN6thrust23THRUST_200600_302600_NS6detail15normal_iteratorINSA_7pointerIsNSA_11hip_rocprim3tagENSA_11use_defaultESG_EEEEPS6_NSA_18transform_iteratorI10is_orderedNSA_12zip_iteratorINSA_5tupleINSC_INSA_10device_ptrIsEEEESQ_NSA_9null_typeESR_SR_SR_SR_SR_SR_SR_EEEESG_SG_EENS0_5tupleIJPsSJ_EEENSV_IJSJ_SJ_EEES6_PlJS6_EEE10hipError_tPvRmT3_T4_T5_T6_T7_T9_mT8_P12ihipStream_tbDpT10_ENKUlT_T0_E_clISt17integral_constantIbLb1EES1I_IbLb0EEEEDaS1E_S1F_EUlS1E_E_NS1_11comp_targetILNS1_3genE3ELNS1_11target_archE908ELNS1_3gpuE7ELNS1_3repE0EEENS1_30default_config_static_selectorELNS0_4arch9wavefront6targetE1EEEvT1_
    .private_segment_fixed_size: 0
    .sgpr_count:     6
    .sgpr_spill_count: 0
    .symbol:         _ZN7rocprim17ROCPRIM_400000_NS6detail17trampoline_kernelINS0_14default_configENS1_25partition_config_selectorILNS1_17partition_subalgoE2EsNS0_10empty_typeEbEEZZNS1_14partition_implILS5_2ELb0ES3_jN6thrust23THRUST_200600_302600_NS6detail15normal_iteratorINSA_7pointerIsNSA_11hip_rocprim3tagENSA_11use_defaultESG_EEEEPS6_NSA_18transform_iteratorI10is_orderedNSA_12zip_iteratorINSA_5tupleINSC_INSA_10device_ptrIsEEEESQ_NSA_9null_typeESR_SR_SR_SR_SR_SR_SR_EEEESG_SG_EENS0_5tupleIJPsSJ_EEENSV_IJSJ_SJ_EEES6_PlJS6_EEE10hipError_tPvRmT3_T4_T5_T6_T7_T9_mT8_P12ihipStream_tbDpT10_ENKUlT_T0_E_clISt17integral_constantIbLb1EES1I_IbLb0EEEEDaS1E_S1F_EUlS1E_E_NS1_11comp_targetILNS1_3genE3ELNS1_11target_archE908ELNS1_3gpuE7ELNS1_3repE0EEENS1_30default_config_static_selectorELNS0_4arch9wavefront6targetE1EEEvT1_.kd
    .uniform_work_group_size: 1
    .uses_dynamic_stack: false
    .vgpr_count:     0
    .vgpr_spill_count: 0
    .wavefront_size: 64
  - .agpr_count:     0
    .args:
      - .offset:         0
        .size:           136
        .value_kind:     by_value
    .group_segment_fixed_size: 0
    .kernarg_segment_align: 8
    .kernarg_segment_size: 136
    .language:       OpenCL C
    .language_version:
      - 2
      - 0
    .max_flat_workgroup_size: 256
    .name:           _ZN7rocprim17ROCPRIM_400000_NS6detail17trampoline_kernelINS0_14default_configENS1_25partition_config_selectorILNS1_17partition_subalgoE2EsNS0_10empty_typeEbEEZZNS1_14partition_implILS5_2ELb0ES3_jN6thrust23THRUST_200600_302600_NS6detail15normal_iteratorINSA_7pointerIsNSA_11hip_rocprim3tagENSA_11use_defaultESG_EEEEPS6_NSA_18transform_iteratorI10is_orderedNSA_12zip_iteratorINSA_5tupleINSC_INSA_10device_ptrIsEEEESQ_NSA_9null_typeESR_SR_SR_SR_SR_SR_SR_EEEESG_SG_EENS0_5tupleIJPsSJ_EEENSV_IJSJ_SJ_EEES6_PlJS6_EEE10hipError_tPvRmT3_T4_T5_T6_T7_T9_mT8_P12ihipStream_tbDpT10_ENKUlT_T0_E_clISt17integral_constantIbLb1EES1I_IbLb0EEEEDaS1E_S1F_EUlS1E_E_NS1_11comp_targetILNS1_3genE2ELNS1_11target_archE906ELNS1_3gpuE6ELNS1_3repE0EEENS1_30default_config_static_selectorELNS0_4arch9wavefront6targetE1EEEvT1_
    .private_segment_fixed_size: 0
    .sgpr_count:     6
    .sgpr_spill_count: 0
    .symbol:         _ZN7rocprim17ROCPRIM_400000_NS6detail17trampoline_kernelINS0_14default_configENS1_25partition_config_selectorILNS1_17partition_subalgoE2EsNS0_10empty_typeEbEEZZNS1_14partition_implILS5_2ELb0ES3_jN6thrust23THRUST_200600_302600_NS6detail15normal_iteratorINSA_7pointerIsNSA_11hip_rocprim3tagENSA_11use_defaultESG_EEEEPS6_NSA_18transform_iteratorI10is_orderedNSA_12zip_iteratorINSA_5tupleINSC_INSA_10device_ptrIsEEEESQ_NSA_9null_typeESR_SR_SR_SR_SR_SR_SR_EEEESG_SG_EENS0_5tupleIJPsSJ_EEENSV_IJSJ_SJ_EEES6_PlJS6_EEE10hipError_tPvRmT3_T4_T5_T6_T7_T9_mT8_P12ihipStream_tbDpT10_ENKUlT_T0_E_clISt17integral_constantIbLb1EES1I_IbLb0EEEEDaS1E_S1F_EUlS1E_E_NS1_11comp_targetILNS1_3genE2ELNS1_11target_archE906ELNS1_3gpuE6ELNS1_3repE0EEENS1_30default_config_static_selectorELNS0_4arch9wavefront6targetE1EEEvT1_.kd
    .uniform_work_group_size: 1
    .uses_dynamic_stack: false
    .vgpr_count:     0
    .vgpr_spill_count: 0
    .wavefront_size: 64
  - .agpr_count:     0
    .args:
      - .offset:         0
        .size:           136
        .value_kind:     by_value
    .group_segment_fixed_size: 0
    .kernarg_segment_align: 8
    .kernarg_segment_size: 136
    .language:       OpenCL C
    .language_version:
      - 2
      - 0
    .max_flat_workgroup_size: 256
    .name:           _ZN7rocprim17ROCPRIM_400000_NS6detail17trampoline_kernelINS0_14default_configENS1_25partition_config_selectorILNS1_17partition_subalgoE2EsNS0_10empty_typeEbEEZZNS1_14partition_implILS5_2ELb0ES3_jN6thrust23THRUST_200600_302600_NS6detail15normal_iteratorINSA_7pointerIsNSA_11hip_rocprim3tagENSA_11use_defaultESG_EEEEPS6_NSA_18transform_iteratorI10is_orderedNSA_12zip_iteratorINSA_5tupleINSC_INSA_10device_ptrIsEEEESQ_NSA_9null_typeESR_SR_SR_SR_SR_SR_SR_EEEESG_SG_EENS0_5tupleIJPsSJ_EEENSV_IJSJ_SJ_EEES6_PlJS6_EEE10hipError_tPvRmT3_T4_T5_T6_T7_T9_mT8_P12ihipStream_tbDpT10_ENKUlT_T0_E_clISt17integral_constantIbLb1EES1I_IbLb0EEEEDaS1E_S1F_EUlS1E_E_NS1_11comp_targetILNS1_3genE10ELNS1_11target_archE1200ELNS1_3gpuE4ELNS1_3repE0EEENS1_30default_config_static_selectorELNS0_4arch9wavefront6targetE1EEEvT1_
    .private_segment_fixed_size: 0
    .sgpr_count:     6
    .sgpr_spill_count: 0
    .symbol:         _ZN7rocprim17ROCPRIM_400000_NS6detail17trampoline_kernelINS0_14default_configENS1_25partition_config_selectorILNS1_17partition_subalgoE2EsNS0_10empty_typeEbEEZZNS1_14partition_implILS5_2ELb0ES3_jN6thrust23THRUST_200600_302600_NS6detail15normal_iteratorINSA_7pointerIsNSA_11hip_rocprim3tagENSA_11use_defaultESG_EEEEPS6_NSA_18transform_iteratorI10is_orderedNSA_12zip_iteratorINSA_5tupleINSC_INSA_10device_ptrIsEEEESQ_NSA_9null_typeESR_SR_SR_SR_SR_SR_SR_EEEESG_SG_EENS0_5tupleIJPsSJ_EEENSV_IJSJ_SJ_EEES6_PlJS6_EEE10hipError_tPvRmT3_T4_T5_T6_T7_T9_mT8_P12ihipStream_tbDpT10_ENKUlT_T0_E_clISt17integral_constantIbLb1EES1I_IbLb0EEEEDaS1E_S1F_EUlS1E_E_NS1_11comp_targetILNS1_3genE10ELNS1_11target_archE1200ELNS1_3gpuE4ELNS1_3repE0EEENS1_30default_config_static_selectorELNS0_4arch9wavefront6targetE1EEEvT1_.kd
    .uniform_work_group_size: 1
    .uses_dynamic_stack: false
    .vgpr_count:     0
    .vgpr_spill_count: 0
    .wavefront_size: 64
  - .agpr_count:     0
    .args:
      - .offset:         0
        .size:           136
        .value_kind:     by_value
    .group_segment_fixed_size: 0
    .kernarg_segment_align: 8
    .kernarg_segment_size: 136
    .language:       OpenCL C
    .language_version:
      - 2
      - 0
    .max_flat_workgroup_size: 128
    .name:           _ZN7rocprim17ROCPRIM_400000_NS6detail17trampoline_kernelINS0_14default_configENS1_25partition_config_selectorILNS1_17partition_subalgoE2EsNS0_10empty_typeEbEEZZNS1_14partition_implILS5_2ELb0ES3_jN6thrust23THRUST_200600_302600_NS6detail15normal_iteratorINSA_7pointerIsNSA_11hip_rocprim3tagENSA_11use_defaultESG_EEEEPS6_NSA_18transform_iteratorI10is_orderedNSA_12zip_iteratorINSA_5tupleINSC_INSA_10device_ptrIsEEEESQ_NSA_9null_typeESR_SR_SR_SR_SR_SR_SR_EEEESG_SG_EENS0_5tupleIJPsSJ_EEENSV_IJSJ_SJ_EEES6_PlJS6_EEE10hipError_tPvRmT3_T4_T5_T6_T7_T9_mT8_P12ihipStream_tbDpT10_ENKUlT_T0_E_clISt17integral_constantIbLb1EES1I_IbLb0EEEEDaS1E_S1F_EUlS1E_E_NS1_11comp_targetILNS1_3genE9ELNS1_11target_archE1100ELNS1_3gpuE3ELNS1_3repE0EEENS1_30default_config_static_selectorELNS0_4arch9wavefront6targetE1EEEvT1_
    .private_segment_fixed_size: 0
    .sgpr_count:     6
    .sgpr_spill_count: 0
    .symbol:         _ZN7rocprim17ROCPRIM_400000_NS6detail17trampoline_kernelINS0_14default_configENS1_25partition_config_selectorILNS1_17partition_subalgoE2EsNS0_10empty_typeEbEEZZNS1_14partition_implILS5_2ELb0ES3_jN6thrust23THRUST_200600_302600_NS6detail15normal_iteratorINSA_7pointerIsNSA_11hip_rocprim3tagENSA_11use_defaultESG_EEEEPS6_NSA_18transform_iteratorI10is_orderedNSA_12zip_iteratorINSA_5tupleINSC_INSA_10device_ptrIsEEEESQ_NSA_9null_typeESR_SR_SR_SR_SR_SR_SR_EEEESG_SG_EENS0_5tupleIJPsSJ_EEENSV_IJSJ_SJ_EEES6_PlJS6_EEE10hipError_tPvRmT3_T4_T5_T6_T7_T9_mT8_P12ihipStream_tbDpT10_ENKUlT_T0_E_clISt17integral_constantIbLb1EES1I_IbLb0EEEEDaS1E_S1F_EUlS1E_E_NS1_11comp_targetILNS1_3genE9ELNS1_11target_archE1100ELNS1_3gpuE3ELNS1_3repE0EEENS1_30default_config_static_selectorELNS0_4arch9wavefront6targetE1EEEvT1_.kd
    .uniform_work_group_size: 1
    .uses_dynamic_stack: false
    .vgpr_count:     0
    .vgpr_spill_count: 0
    .wavefront_size: 64
  - .agpr_count:     0
    .args:
      - .offset:         0
        .size:           136
        .value_kind:     by_value
    .group_segment_fixed_size: 0
    .kernarg_segment_align: 8
    .kernarg_segment_size: 136
    .language:       OpenCL C
    .language_version:
      - 2
      - 0
    .max_flat_workgroup_size: 512
    .name:           _ZN7rocprim17ROCPRIM_400000_NS6detail17trampoline_kernelINS0_14default_configENS1_25partition_config_selectorILNS1_17partition_subalgoE2EsNS0_10empty_typeEbEEZZNS1_14partition_implILS5_2ELb0ES3_jN6thrust23THRUST_200600_302600_NS6detail15normal_iteratorINSA_7pointerIsNSA_11hip_rocprim3tagENSA_11use_defaultESG_EEEEPS6_NSA_18transform_iteratorI10is_orderedNSA_12zip_iteratorINSA_5tupleINSC_INSA_10device_ptrIsEEEESQ_NSA_9null_typeESR_SR_SR_SR_SR_SR_SR_EEEESG_SG_EENS0_5tupleIJPsSJ_EEENSV_IJSJ_SJ_EEES6_PlJS6_EEE10hipError_tPvRmT3_T4_T5_T6_T7_T9_mT8_P12ihipStream_tbDpT10_ENKUlT_T0_E_clISt17integral_constantIbLb1EES1I_IbLb0EEEEDaS1E_S1F_EUlS1E_E_NS1_11comp_targetILNS1_3genE8ELNS1_11target_archE1030ELNS1_3gpuE2ELNS1_3repE0EEENS1_30default_config_static_selectorELNS0_4arch9wavefront6targetE1EEEvT1_
    .private_segment_fixed_size: 0
    .sgpr_count:     6
    .sgpr_spill_count: 0
    .symbol:         _ZN7rocprim17ROCPRIM_400000_NS6detail17trampoline_kernelINS0_14default_configENS1_25partition_config_selectorILNS1_17partition_subalgoE2EsNS0_10empty_typeEbEEZZNS1_14partition_implILS5_2ELb0ES3_jN6thrust23THRUST_200600_302600_NS6detail15normal_iteratorINSA_7pointerIsNSA_11hip_rocprim3tagENSA_11use_defaultESG_EEEEPS6_NSA_18transform_iteratorI10is_orderedNSA_12zip_iteratorINSA_5tupleINSC_INSA_10device_ptrIsEEEESQ_NSA_9null_typeESR_SR_SR_SR_SR_SR_SR_EEEESG_SG_EENS0_5tupleIJPsSJ_EEENSV_IJSJ_SJ_EEES6_PlJS6_EEE10hipError_tPvRmT3_T4_T5_T6_T7_T9_mT8_P12ihipStream_tbDpT10_ENKUlT_T0_E_clISt17integral_constantIbLb1EES1I_IbLb0EEEEDaS1E_S1F_EUlS1E_E_NS1_11comp_targetILNS1_3genE8ELNS1_11target_archE1030ELNS1_3gpuE2ELNS1_3repE0EEENS1_30default_config_static_selectorELNS0_4arch9wavefront6targetE1EEEvT1_.kd
    .uniform_work_group_size: 1
    .uses_dynamic_stack: false
    .vgpr_count:     0
    .vgpr_spill_count: 0
    .wavefront_size: 64
  - .agpr_count:     0
    .args:
      - .offset:         0
        .size:           152
        .value_kind:     by_value
    .group_segment_fixed_size: 0
    .kernarg_segment_align: 8
    .kernarg_segment_size: 152
    .language:       OpenCL C
    .language_version:
      - 2
      - 0
    .max_flat_workgroup_size: 256
    .name:           _ZN7rocprim17ROCPRIM_400000_NS6detail17trampoline_kernelINS0_14default_configENS1_25partition_config_selectorILNS1_17partition_subalgoE2EsNS0_10empty_typeEbEEZZNS1_14partition_implILS5_2ELb0ES3_jN6thrust23THRUST_200600_302600_NS6detail15normal_iteratorINSA_7pointerIsNSA_11hip_rocprim3tagENSA_11use_defaultESG_EEEEPS6_NSA_18transform_iteratorI10is_orderedNSA_12zip_iteratorINSA_5tupleINSC_INSA_10device_ptrIsEEEESQ_NSA_9null_typeESR_SR_SR_SR_SR_SR_SR_EEEESG_SG_EENS0_5tupleIJPsSJ_EEENSV_IJSJ_SJ_EEES6_PlJS6_EEE10hipError_tPvRmT3_T4_T5_T6_T7_T9_mT8_P12ihipStream_tbDpT10_ENKUlT_T0_E_clISt17integral_constantIbLb0EES1I_IbLb1EEEEDaS1E_S1F_EUlS1E_E_NS1_11comp_targetILNS1_3genE0ELNS1_11target_archE4294967295ELNS1_3gpuE0ELNS1_3repE0EEENS1_30default_config_static_selectorELNS0_4arch9wavefront6targetE1EEEvT1_
    .private_segment_fixed_size: 0
    .sgpr_count:     6
    .sgpr_spill_count: 0
    .symbol:         _ZN7rocprim17ROCPRIM_400000_NS6detail17trampoline_kernelINS0_14default_configENS1_25partition_config_selectorILNS1_17partition_subalgoE2EsNS0_10empty_typeEbEEZZNS1_14partition_implILS5_2ELb0ES3_jN6thrust23THRUST_200600_302600_NS6detail15normal_iteratorINSA_7pointerIsNSA_11hip_rocprim3tagENSA_11use_defaultESG_EEEEPS6_NSA_18transform_iteratorI10is_orderedNSA_12zip_iteratorINSA_5tupleINSC_INSA_10device_ptrIsEEEESQ_NSA_9null_typeESR_SR_SR_SR_SR_SR_SR_EEEESG_SG_EENS0_5tupleIJPsSJ_EEENSV_IJSJ_SJ_EEES6_PlJS6_EEE10hipError_tPvRmT3_T4_T5_T6_T7_T9_mT8_P12ihipStream_tbDpT10_ENKUlT_T0_E_clISt17integral_constantIbLb0EES1I_IbLb1EEEEDaS1E_S1F_EUlS1E_E_NS1_11comp_targetILNS1_3genE0ELNS1_11target_archE4294967295ELNS1_3gpuE0ELNS1_3repE0EEENS1_30default_config_static_selectorELNS0_4arch9wavefront6targetE1EEEvT1_.kd
    .uniform_work_group_size: 1
    .uses_dynamic_stack: false
    .vgpr_count:     0
    .vgpr_spill_count: 0
    .wavefront_size: 64
  - .agpr_count:     0
    .args:
      - .offset:         0
        .size:           152
        .value_kind:     by_value
    .group_segment_fixed_size: 30728
    .kernarg_segment_align: 8
    .kernarg_segment_size: 152
    .language:       OpenCL C
    .language_version:
      - 2
      - 0
    .max_flat_workgroup_size: 512
    .name:           _ZN7rocprim17ROCPRIM_400000_NS6detail17trampoline_kernelINS0_14default_configENS1_25partition_config_selectorILNS1_17partition_subalgoE2EsNS0_10empty_typeEbEEZZNS1_14partition_implILS5_2ELb0ES3_jN6thrust23THRUST_200600_302600_NS6detail15normal_iteratorINSA_7pointerIsNSA_11hip_rocprim3tagENSA_11use_defaultESG_EEEEPS6_NSA_18transform_iteratorI10is_orderedNSA_12zip_iteratorINSA_5tupleINSC_INSA_10device_ptrIsEEEESQ_NSA_9null_typeESR_SR_SR_SR_SR_SR_SR_EEEESG_SG_EENS0_5tupleIJPsSJ_EEENSV_IJSJ_SJ_EEES6_PlJS6_EEE10hipError_tPvRmT3_T4_T5_T6_T7_T9_mT8_P12ihipStream_tbDpT10_ENKUlT_T0_E_clISt17integral_constantIbLb0EES1I_IbLb1EEEEDaS1E_S1F_EUlS1E_E_NS1_11comp_targetILNS1_3genE5ELNS1_11target_archE942ELNS1_3gpuE9ELNS1_3repE0EEENS1_30default_config_static_selectorELNS0_4arch9wavefront6targetE1EEEvT1_
    .private_segment_fixed_size: 0
    .sgpr_count:     52
    .sgpr_spill_count: 0
    .symbol:         _ZN7rocprim17ROCPRIM_400000_NS6detail17trampoline_kernelINS0_14default_configENS1_25partition_config_selectorILNS1_17partition_subalgoE2EsNS0_10empty_typeEbEEZZNS1_14partition_implILS5_2ELb0ES3_jN6thrust23THRUST_200600_302600_NS6detail15normal_iteratorINSA_7pointerIsNSA_11hip_rocprim3tagENSA_11use_defaultESG_EEEEPS6_NSA_18transform_iteratorI10is_orderedNSA_12zip_iteratorINSA_5tupleINSC_INSA_10device_ptrIsEEEESQ_NSA_9null_typeESR_SR_SR_SR_SR_SR_SR_EEEESG_SG_EENS0_5tupleIJPsSJ_EEENSV_IJSJ_SJ_EEES6_PlJS6_EEE10hipError_tPvRmT3_T4_T5_T6_T7_T9_mT8_P12ihipStream_tbDpT10_ENKUlT_T0_E_clISt17integral_constantIbLb0EES1I_IbLb1EEEEDaS1E_S1F_EUlS1E_E_NS1_11comp_targetILNS1_3genE5ELNS1_11target_archE942ELNS1_3gpuE9ELNS1_3repE0EEENS1_30default_config_static_selectorELNS0_4arch9wavefront6targetE1EEEvT1_.kd
    .uniform_work_group_size: 1
    .uses_dynamic_stack: false
    .vgpr_count:     102
    .vgpr_spill_count: 0
    .wavefront_size: 64
  - .agpr_count:     0
    .args:
      - .offset:         0
        .size:           152
        .value_kind:     by_value
    .group_segment_fixed_size: 0
    .kernarg_segment_align: 8
    .kernarg_segment_size: 152
    .language:       OpenCL C
    .language_version:
      - 2
      - 0
    .max_flat_workgroup_size: 256
    .name:           _ZN7rocprim17ROCPRIM_400000_NS6detail17trampoline_kernelINS0_14default_configENS1_25partition_config_selectorILNS1_17partition_subalgoE2EsNS0_10empty_typeEbEEZZNS1_14partition_implILS5_2ELb0ES3_jN6thrust23THRUST_200600_302600_NS6detail15normal_iteratorINSA_7pointerIsNSA_11hip_rocprim3tagENSA_11use_defaultESG_EEEEPS6_NSA_18transform_iteratorI10is_orderedNSA_12zip_iteratorINSA_5tupleINSC_INSA_10device_ptrIsEEEESQ_NSA_9null_typeESR_SR_SR_SR_SR_SR_SR_EEEESG_SG_EENS0_5tupleIJPsSJ_EEENSV_IJSJ_SJ_EEES6_PlJS6_EEE10hipError_tPvRmT3_T4_T5_T6_T7_T9_mT8_P12ihipStream_tbDpT10_ENKUlT_T0_E_clISt17integral_constantIbLb0EES1I_IbLb1EEEEDaS1E_S1F_EUlS1E_E_NS1_11comp_targetILNS1_3genE4ELNS1_11target_archE910ELNS1_3gpuE8ELNS1_3repE0EEENS1_30default_config_static_selectorELNS0_4arch9wavefront6targetE1EEEvT1_
    .private_segment_fixed_size: 0
    .sgpr_count:     6
    .sgpr_spill_count: 0
    .symbol:         _ZN7rocprim17ROCPRIM_400000_NS6detail17trampoline_kernelINS0_14default_configENS1_25partition_config_selectorILNS1_17partition_subalgoE2EsNS0_10empty_typeEbEEZZNS1_14partition_implILS5_2ELb0ES3_jN6thrust23THRUST_200600_302600_NS6detail15normal_iteratorINSA_7pointerIsNSA_11hip_rocprim3tagENSA_11use_defaultESG_EEEEPS6_NSA_18transform_iteratorI10is_orderedNSA_12zip_iteratorINSA_5tupleINSC_INSA_10device_ptrIsEEEESQ_NSA_9null_typeESR_SR_SR_SR_SR_SR_SR_EEEESG_SG_EENS0_5tupleIJPsSJ_EEENSV_IJSJ_SJ_EEES6_PlJS6_EEE10hipError_tPvRmT3_T4_T5_T6_T7_T9_mT8_P12ihipStream_tbDpT10_ENKUlT_T0_E_clISt17integral_constantIbLb0EES1I_IbLb1EEEEDaS1E_S1F_EUlS1E_E_NS1_11comp_targetILNS1_3genE4ELNS1_11target_archE910ELNS1_3gpuE8ELNS1_3repE0EEENS1_30default_config_static_selectorELNS0_4arch9wavefront6targetE1EEEvT1_.kd
    .uniform_work_group_size: 1
    .uses_dynamic_stack: false
    .vgpr_count:     0
    .vgpr_spill_count: 0
    .wavefront_size: 64
  - .agpr_count:     0
    .args:
      - .offset:         0
        .size:           152
        .value_kind:     by_value
    .group_segment_fixed_size: 0
    .kernarg_segment_align: 8
    .kernarg_segment_size: 152
    .language:       OpenCL C
    .language_version:
      - 2
      - 0
    .max_flat_workgroup_size: 256
    .name:           _ZN7rocprim17ROCPRIM_400000_NS6detail17trampoline_kernelINS0_14default_configENS1_25partition_config_selectorILNS1_17partition_subalgoE2EsNS0_10empty_typeEbEEZZNS1_14partition_implILS5_2ELb0ES3_jN6thrust23THRUST_200600_302600_NS6detail15normal_iteratorINSA_7pointerIsNSA_11hip_rocprim3tagENSA_11use_defaultESG_EEEEPS6_NSA_18transform_iteratorI10is_orderedNSA_12zip_iteratorINSA_5tupleINSC_INSA_10device_ptrIsEEEESQ_NSA_9null_typeESR_SR_SR_SR_SR_SR_SR_EEEESG_SG_EENS0_5tupleIJPsSJ_EEENSV_IJSJ_SJ_EEES6_PlJS6_EEE10hipError_tPvRmT3_T4_T5_T6_T7_T9_mT8_P12ihipStream_tbDpT10_ENKUlT_T0_E_clISt17integral_constantIbLb0EES1I_IbLb1EEEEDaS1E_S1F_EUlS1E_E_NS1_11comp_targetILNS1_3genE3ELNS1_11target_archE908ELNS1_3gpuE7ELNS1_3repE0EEENS1_30default_config_static_selectorELNS0_4arch9wavefront6targetE1EEEvT1_
    .private_segment_fixed_size: 0
    .sgpr_count:     6
    .sgpr_spill_count: 0
    .symbol:         _ZN7rocprim17ROCPRIM_400000_NS6detail17trampoline_kernelINS0_14default_configENS1_25partition_config_selectorILNS1_17partition_subalgoE2EsNS0_10empty_typeEbEEZZNS1_14partition_implILS5_2ELb0ES3_jN6thrust23THRUST_200600_302600_NS6detail15normal_iteratorINSA_7pointerIsNSA_11hip_rocprim3tagENSA_11use_defaultESG_EEEEPS6_NSA_18transform_iteratorI10is_orderedNSA_12zip_iteratorINSA_5tupleINSC_INSA_10device_ptrIsEEEESQ_NSA_9null_typeESR_SR_SR_SR_SR_SR_SR_EEEESG_SG_EENS0_5tupleIJPsSJ_EEENSV_IJSJ_SJ_EEES6_PlJS6_EEE10hipError_tPvRmT3_T4_T5_T6_T7_T9_mT8_P12ihipStream_tbDpT10_ENKUlT_T0_E_clISt17integral_constantIbLb0EES1I_IbLb1EEEEDaS1E_S1F_EUlS1E_E_NS1_11comp_targetILNS1_3genE3ELNS1_11target_archE908ELNS1_3gpuE7ELNS1_3repE0EEENS1_30default_config_static_selectorELNS0_4arch9wavefront6targetE1EEEvT1_.kd
    .uniform_work_group_size: 1
    .uses_dynamic_stack: false
    .vgpr_count:     0
    .vgpr_spill_count: 0
    .wavefront_size: 64
  - .agpr_count:     0
    .args:
      - .offset:         0
        .size:           152
        .value_kind:     by_value
    .group_segment_fixed_size: 0
    .kernarg_segment_align: 8
    .kernarg_segment_size: 152
    .language:       OpenCL C
    .language_version:
      - 2
      - 0
    .max_flat_workgroup_size: 256
    .name:           _ZN7rocprim17ROCPRIM_400000_NS6detail17trampoline_kernelINS0_14default_configENS1_25partition_config_selectorILNS1_17partition_subalgoE2EsNS0_10empty_typeEbEEZZNS1_14partition_implILS5_2ELb0ES3_jN6thrust23THRUST_200600_302600_NS6detail15normal_iteratorINSA_7pointerIsNSA_11hip_rocprim3tagENSA_11use_defaultESG_EEEEPS6_NSA_18transform_iteratorI10is_orderedNSA_12zip_iteratorINSA_5tupleINSC_INSA_10device_ptrIsEEEESQ_NSA_9null_typeESR_SR_SR_SR_SR_SR_SR_EEEESG_SG_EENS0_5tupleIJPsSJ_EEENSV_IJSJ_SJ_EEES6_PlJS6_EEE10hipError_tPvRmT3_T4_T5_T6_T7_T9_mT8_P12ihipStream_tbDpT10_ENKUlT_T0_E_clISt17integral_constantIbLb0EES1I_IbLb1EEEEDaS1E_S1F_EUlS1E_E_NS1_11comp_targetILNS1_3genE2ELNS1_11target_archE906ELNS1_3gpuE6ELNS1_3repE0EEENS1_30default_config_static_selectorELNS0_4arch9wavefront6targetE1EEEvT1_
    .private_segment_fixed_size: 0
    .sgpr_count:     6
    .sgpr_spill_count: 0
    .symbol:         _ZN7rocprim17ROCPRIM_400000_NS6detail17trampoline_kernelINS0_14default_configENS1_25partition_config_selectorILNS1_17partition_subalgoE2EsNS0_10empty_typeEbEEZZNS1_14partition_implILS5_2ELb0ES3_jN6thrust23THRUST_200600_302600_NS6detail15normal_iteratorINSA_7pointerIsNSA_11hip_rocprim3tagENSA_11use_defaultESG_EEEEPS6_NSA_18transform_iteratorI10is_orderedNSA_12zip_iteratorINSA_5tupleINSC_INSA_10device_ptrIsEEEESQ_NSA_9null_typeESR_SR_SR_SR_SR_SR_SR_EEEESG_SG_EENS0_5tupleIJPsSJ_EEENSV_IJSJ_SJ_EEES6_PlJS6_EEE10hipError_tPvRmT3_T4_T5_T6_T7_T9_mT8_P12ihipStream_tbDpT10_ENKUlT_T0_E_clISt17integral_constantIbLb0EES1I_IbLb1EEEEDaS1E_S1F_EUlS1E_E_NS1_11comp_targetILNS1_3genE2ELNS1_11target_archE906ELNS1_3gpuE6ELNS1_3repE0EEENS1_30default_config_static_selectorELNS0_4arch9wavefront6targetE1EEEvT1_.kd
    .uniform_work_group_size: 1
    .uses_dynamic_stack: false
    .vgpr_count:     0
    .vgpr_spill_count: 0
    .wavefront_size: 64
  - .agpr_count:     0
    .args:
      - .offset:         0
        .size:           152
        .value_kind:     by_value
    .group_segment_fixed_size: 0
    .kernarg_segment_align: 8
    .kernarg_segment_size: 152
    .language:       OpenCL C
    .language_version:
      - 2
      - 0
    .max_flat_workgroup_size: 256
    .name:           _ZN7rocprim17ROCPRIM_400000_NS6detail17trampoline_kernelINS0_14default_configENS1_25partition_config_selectorILNS1_17partition_subalgoE2EsNS0_10empty_typeEbEEZZNS1_14partition_implILS5_2ELb0ES3_jN6thrust23THRUST_200600_302600_NS6detail15normal_iteratorINSA_7pointerIsNSA_11hip_rocprim3tagENSA_11use_defaultESG_EEEEPS6_NSA_18transform_iteratorI10is_orderedNSA_12zip_iteratorINSA_5tupleINSC_INSA_10device_ptrIsEEEESQ_NSA_9null_typeESR_SR_SR_SR_SR_SR_SR_EEEESG_SG_EENS0_5tupleIJPsSJ_EEENSV_IJSJ_SJ_EEES6_PlJS6_EEE10hipError_tPvRmT3_T4_T5_T6_T7_T9_mT8_P12ihipStream_tbDpT10_ENKUlT_T0_E_clISt17integral_constantIbLb0EES1I_IbLb1EEEEDaS1E_S1F_EUlS1E_E_NS1_11comp_targetILNS1_3genE10ELNS1_11target_archE1200ELNS1_3gpuE4ELNS1_3repE0EEENS1_30default_config_static_selectorELNS0_4arch9wavefront6targetE1EEEvT1_
    .private_segment_fixed_size: 0
    .sgpr_count:     6
    .sgpr_spill_count: 0
    .symbol:         _ZN7rocprim17ROCPRIM_400000_NS6detail17trampoline_kernelINS0_14default_configENS1_25partition_config_selectorILNS1_17partition_subalgoE2EsNS0_10empty_typeEbEEZZNS1_14partition_implILS5_2ELb0ES3_jN6thrust23THRUST_200600_302600_NS6detail15normal_iteratorINSA_7pointerIsNSA_11hip_rocprim3tagENSA_11use_defaultESG_EEEEPS6_NSA_18transform_iteratorI10is_orderedNSA_12zip_iteratorINSA_5tupleINSC_INSA_10device_ptrIsEEEESQ_NSA_9null_typeESR_SR_SR_SR_SR_SR_SR_EEEESG_SG_EENS0_5tupleIJPsSJ_EEENSV_IJSJ_SJ_EEES6_PlJS6_EEE10hipError_tPvRmT3_T4_T5_T6_T7_T9_mT8_P12ihipStream_tbDpT10_ENKUlT_T0_E_clISt17integral_constantIbLb0EES1I_IbLb1EEEEDaS1E_S1F_EUlS1E_E_NS1_11comp_targetILNS1_3genE10ELNS1_11target_archE1200ELNS1_3gpuE4ELNS1_3repE0EEENS1_30default_config_static_selectorELNS0_4arch9wavefront6targetE1EEEvT1_.kd
    .uniform_work_group_size: 1
    .uses_dynamic_stack: false
    .vgpr_count:     0
    .vgpr_spill_count: 0
    .wavefront_size: 64
  - .agpr_count:     0
    .args:
      - .offset:         0
        .size:           152
        .value_kind:     by_value
    .group_segment_fixed_size: 0
    .kernarg_segment_align: 8
    .kernarg_segment_size: 152
    .language:       OpenCL C
    .language_version:
      - 2
      - 0
    .max_flat_workgroup_size: 128
    .name:           _ZN7rocprim17ROCPRIM_400000_NS6detail17trampoline_kernelINS0_14default_configENS1_25partition_config_selectorILNS1_17partition_subalgoE2EsNS0_10empty_typeEbEEZZNS1_14partition_implILS5_2ELb0ES3_jN6thrust23THRUST_200600_302600_NS6detail15normal_iteratorINSA_7pointerIsNSA_11hip_rocprim3tagENSA_11use_defaultESG_EEEEPS6_NSA_18transform_iteratorI10is_orderedNSA_12zip_iteratorINSA_5tupleINSC_INSA_10device_ptrIsEEEESQ_NSA_9null_typeESR_SR_SR_SR_SR_SR_SR_EEEESG_SG_EENS0_5tupleIJPsSJ_EEENSV_IJSJ_SJ_EEES6_PlJS6_EEE10hipError_tPvRmT3_T4_T5_T6_T7_T9_mT8_P12ihipStream_tbDpT10_ENKUlT_T0_E_clISt17integral_constantIbLb0EES1I_IbLb1EEEEDaS1E_S1F_EUlS1E_E_NS1_11comp_targetILNS1_3genE9ELNS1_11target_archE1100ELNS1_3gpuE3ELNS1_3repE0EEENS1_30default_config_static_selectorELNS0_4arch9wavefront6targetE1EEEvT1_
    .private_segment_fixed_size: 0
    .sgpr_count:     6
    .sgpr_spill_count: 0
    .symbol:         _ZN7rocprim17ROCPRIM_400000_NS6detail17trampoline_kernelINS0_14default_configENS1_25partition_config_selectorILNS1_17partition_subalgoE2EsNS0_10empty_typeEbEEZZNS1_14partition_implILS5_2ELb0ES3_jN6thrust23THRUST_200600_302600_NS6detail15normal_iteratorINSA_7pointerIsNSA_11hip_rocprim3tagENSA_11use_defaultESG_EEEEPS6_NSA_18transform_iteratorI10is_orderedNSA_12zip_iteratorINSA_5tupleINSC_INSA_10device_ptrIsEEEESQ_NSA_9null_typeESR_SR_SR_SR_SR_SR_SR_EEEESG_SG_EENS0_5tupleIJPsSJ_EEENSV_IJSJ_SJ_EEES6_PlJS6_EEE10hipError_tPvRmT3_T4_T5_T6_T7_T9_mT8_P12ihipStream_tbDpT10_ENKUlT_T0_E_clISt17integral_constantIbLb0EES1I_IbLb1EEEEDaS1E_S1F_EUlS1E_E_NS1_11comp_targetILNS1_3genE9ELNS1_11target_archE1100ELNS1_3gpuE3ELNS1_3repE0EEENS1_30default_config_static_selectorELNS0_4arch9wavefront6targetE1EEEvT1_.kd
    .uniform_work_group_size: 1
    .uses_dynamic_stack: false
    .vgpr_count:     0
    .vgpr_spill_count: 0
    .wavefront_size: 64
  - .agpr_count:     0
    .args:
      - .offset:         0
        .size:           152
        .value_kind:     by_value
    .group_segment_fixed_size: 0
    .kernarg_segment_align: 8
    .kernarg_segment_size: 152
    .language:       OpenCL C
    .language_version:
      - 2
      - 0
    .max_flat_workgroup_size: 512
    .name:           _ZN7rocprim17ROCPRIM_400000_NS6detail17trampoline_kernelINS0_14default_configENS1_25partition_config_selectorILNS1_17partition_subalgoE2EsNS0_10empty_typeEbEEZZNS1_14partition_implILS5_2ELb0ES3_jN6thrust23THRUST_200600_302600_NS6detail15normal_iteratorINSA_7pointerIsNSA_11hip_rocprim3tagENSA_11use_defaultESG_EEEEPS6_NSA_18transform_iteratorI10is_orderedNSA_12zip_iteratorINSA_5tupleINSC_INSA_10device_ptrIsEEEESQ_NSA_9null_typeESR_SR_SR_SR_SR_SR_SR_EEEESG_SG_EENS0_5tupleIJPsSJ_EEENSV_IJSJ_SJ_EEES6_PlJS6_EEE10hipError_tPvRmT3_T4_T5_T6_T7_T9_mT8_P12ihipStream_tbDpT10_ENKUlT_T0_E_clISt17integral_constantIbLb0EES1I_IbLb1EEEEDaS1E_S1F_EUlS1E_E_NS1_11comp_targetILNS1_3genE8ELNS1_11target_archE1030ELNS1_3gpuE2ELNS1_3repE0EEENS1_30default_config_static_selectorELNS0_4arch9wavefront6targetE1EEEvT1_
    .private_segment_fixed_size: 0
    .sgpr_count:     6
    .sgpr_spill_count: 0
    .symbol:         _ZN7rocprim17ROCPRIM_400000_NS6detail17trampoline_kernelINS0_14default_configENS1_25partition_config_selectorILNS1_17partition_subalgoE2EsNS0_10empty_typeEbEEZZNS1_14partition_implILS5_2ELb0ES3_jN6thrust23THRUST_200600_302600_NS6detail15normal_iteratorINSA_7pointerIsNSA_11hip_rocprim3tagENSA_11use_defaultESG_EEEEPS6_NSA_18transform_iteratorI10is_orderedNSA_12zip_iteratorINSA_5tupleINSC_INSA_10device_ptrIsEEEESQ_NSA_9null_typeESR_SR_SR_SR_SR_SR_SR_EEEESG_SG_EENS0_5tupleIJPsSJ_EEENSV_IJSJ_SJ_EEES6_PlJS6_EEE10hipError_tPvRmT3_T4_T5_T6_T7_T9_mT8_P12ihipStream_tbDpT10_ENKUlT_T0_E_clISt17integral_constantIbLb0EES1I_IbLb1EEEEDaS1E_S1F_EUlS1E_E_NS1_11comp_targetILNS1_3genE8ELNS1_11target_archE1030ELNS1_3gpuE2ELNS1_3repE0EEENS1_30default_config_static_selectorELNS0_4arch9wavefront6targetE1EEEvT1_.kd
    .uniform_work_group_size: 1
    .uses_dynamic_stack: false
    .vgpr_count:     0
    .vgpr_spill_count: 0
    .wavefront_size: 64
  - .agpr_count:     0
    .args:
      - .offset:         0
        .size:           32
        .value_kind:     by_value
      - .offset:         32
        .size:           8
        .value_kind:     by_value
      - .offset:         40
        .size:           8
        .value_kind:     by_value
    .group_segment_fixed_size: 0
    .kernarg_segment_align: 8
    .kernarg_segment_size: 48
    .language:       OpenCL C
    .language_version:
      - 2
      - 0
    .max_flat_workgroup_size: 256
    .name:           _ZN6thrust23THRUST_200600_302600_NS11hip_rocprim14__parallel_for6kernelILj256ENS1_13__swap_ranges6swap_fINS0_12zip_iteratorINS0_5tupleINS0_6detail15normal_iteratorINS0_10device_ptrIxEEEESC_NS0_9null_typeESD_SD_SD_SD_SD_SD_SD_EEEENS0_16reverse_iteratorISF_EEEElLj1EEEvT0_T1_SK_
    .private_segment_fixed_size: 0
    .sgpr_count:     18
    .sgpr_spill_count: 0
    .symbol:         _ZN6thrust23THRUST_200600_302600_NS11hip_rocprim14__parallel_for6kernelILj256ENS1_13__swap_ranges6swap_fINS0_12zip_iteratorINS0_5tupleINS0_6detail15normal_iteratorINS0_10device_ptrIxEEEESC_NS0_9null_typeESD_SD_SD_SD_SD_SD_SD_EEEENS0_16reverse_iteratorISF_EEEElLj1EEEvT0_T1_SK_.kd
    .uniform_work_group_size: 1
    .uses_dynamic_stack: false
    .vgpr_count:     16
    .vgpr_spill_count: 0
    .wavefront_size: 64
  - .agpr_count:     0
    .args:
      - .offset:         0
        .size:           32
        .value_kind:     by_value
      - .offset:         32
        .size:           8
        .value_kind:     by_value
      - .offset:         40
        .size:           8
        .value_kind:     by_value
    .group_segment_fixed_size: 0
    .kernarg_segment_align: 8
    .kernarg_segment_size: 48
    .language:       OpenCL C
    .language_version:
      - 2
      - 0
    .max_flat_workgroup_size: 256
    .name:           _ZN6thrust23THRUST_200600_302600_NS11hip_rocprim14__parallel_for6kernelILj256ENS1_13__swap_ranges6swap_fINS0_12zip_iteratorINS0_5tupleINS0_6detail15normal_iteratorINS0_10device_ptrIiEEEESC_NS0_9null_typeESD_SD_SD_SD_SD_SD_SD_EEEENS0_16reverse_iteratorISF_EEEElLj1EEEvT0_T1_SK_
    .private_segment_fixed_size: 0
    .sgpr_count:     18
    .sgpr_spill_count: 0
    .symbol:         _ZN6thrust23THRUST_200600_302600_NS11hip_rocprim14__parallel_for6kernelILj256ENS1_13__swap_ranges6swap_fINS0_12zip_iteratorINS0_5tupleINS0_6detail15normal_iteratorINS0_10device_ptrIiEEEESC_NS0_9null_typeESD_SD_SD_SD_SD_SD_SD_EEEENS0_16reverse_iteratorISF_EEEElLj1EEEvT0_T1_SK_.kd
    .uniform_work_group_size: 1
    .uses_dynamic_stack: false
    .vgpr_count:     12
    .vgpr_spill_count: 0
    .wavefront_size: 64
  - .agpr_count:     0
    .args:
      - .offset:         0
        .size:           32
        .value_kind:     by_value
      - .offset:         32
        .size:           8
        .value_kind:     by_value
      - .offset:         40
        .size:           8
        .value_kind:     by_value
    .group_segment_fixed_size: 0
    .kernarg_segment_align: 8
    .kernarg_segment_size: 48
    .language:       OpenCL C
    .language_version:
      - 2
      - 0
    .max_flat_workgroup_size: 256
    .name:           _ZN6thrust23THRUST_200600_302600_NS11hip_rocprim14__parallel_for6kernelILj256ENS1_13__swap_ranges6swap_fINS0_12zip_iteratorINS0_5tupleINS0_6detail15normal_iteratorINS0_10device_ptrIsEEEESC_NS0_9null_typeESD_SD_SD_SD_SD_SD_SD_EEEENS0_16reverse_iteratorISF_EEEElLj1EEEvT0_T1_SK_
    .private_segment_fixed_size: 0
    .sgpr_count:     18
    .sgpr_spill_count: 0
    .symbol:         _ZN6thrust23THRUST_200600_302600_NS11hip_rocprim14__parallel_for6kernelILj256ENS1_13__swap_ranges6swap_fINS0_12zip_iteratorINS0_5tupleINS0_6detail15normal_iteratorINS0_10device_ptrIsEEEESC_NS0_9null_typeESD_SD_SD_SD_SD_SD_SD_EEEENS0_16reverse_iteratorISF_EEEElLj1EEEvT0_T1_SK_.kd
    .uniform_work_group_size: 1
    .uses_dynamic_stack: false
    .vgpr_count:     12
    .vgpr_spill_count: 0
    .wavefront_size: 64
  - .agpr_count:     0
    .args:
      - .offset:         0
        .size:           16
        .value_kind:     by_value
      - .offset:         16
        .size:           8
        .value_kind:     by_value
      - .offset:         24
        .size:           8
        .value_kind:     by_value
    .group_segment_fixed_size: 0
    .kernarg_segment_align: 8
    .kernarg_segment_size: 32
    .language:       OpenCL C
    .language_version:
      - 2
      - 0
    .max_flat_workgroup_size: 256
    .name:           _ZN6thrust23THRUST_200600_302600_NS11hip_rocprim14__parallel_for6kernelILj256ENS1_20__uninitialized_copy7functorINS0_10device_ptrIiEENS0_6detail15normal_iteratorINS0_7pointerIiNS1_5par_tENS0_11use_defaultESC_EEEEEElLj1EEEvT0_T1_SH_
    .private_segment_fixed_size: 0
    .sgpr_count:     18
    .sgpr_spill_count: 0
    .symbol:         _ZN6thrust23THRUST_200600_302600_NS11hip_rocprim14__parallel_for6kernelILj256ENS1_20__uninitialized_copy7functorINS0_10device_ptrIiEENS0_6detail15normal_iteratorINS0_7pointerIiNS1_5par_tENS0_11use_defaultESC_EEEEEElLj1EEEvT0_T1_SH_.kd
    .uniform_work_group_size: 1
    .uses_dynamic_stack: false
    .vgpr_count:     6
    .vgpr_spill_count: 0
    .wavefront_size: 64
  - .agpr_count:     0
    .args:
      - .offset:         0
        .size:           120
        .value_kind:     by_value
    .group_segment_fixed_size: 0
    .kernarg_segment_align: 8
    .kernarg_segment_size: 120
    .language:       OpenCL C
    .language_version:
      - 2
      - 0
    .max_flat_workgroup_size: 256
    .name:           _ZN7rocprim17ROCPRIM_400000_NS6detail17trampoline_kernelINS0_14default_configENS1_25partition_config_selectorILNS1_17partition_subalgoE3EiNS0_10empty_typeEbEEZZNS1_14partition_implILS5_3ELb0ES3_jN6thrust23THRUST_200600_302600_NS6detail15normal_iteratorINSA_7pointerIiNSA_11hip_rocprim5par_tENSA_11use_defaultESG_EEEEPS6_SJ_NS0_5tupleIJPiSJ_EEENSK_IJSJ_SJ_EEES6_PlJ7is_evenIiEEEE10hipError_tPvRmT3_T4_T5_T6_T7_T9_mT8_P12ihipStream_tbDpT10_ENKUlT_T0_E_clISt17integral_constantIbLb0EES1A_EEDaS15_S16_EUlS15_E_NS1_11comp_targetILNS1_3genE0ELNS1_11target_archE4294967295ELNS1_3gpuE0ELNS1_3repE0EEENS1_30default_config_static_selectorELNS0_4arch9wavefront6targetE1EEEvT1_
    .private_segment_fixed_size: 0
    .sgpr_count:     6
    .sgpr_spill_count: 0
    .symbol:         _ZN7rocprim17ROCPRIM_400000_NS6detail17trampoline_kernelINS0_14default_configENS1_25partition_config_selectorILNS1_17partition_subalgoE3EiNS0_10empty_typeEbEEZZNS1_14partition_implILS5_3ELb0ES3_jN6thrust23THRUST_200600_302600_NS6detail15normal_iteratorINSA_7pointerIiNSA_11hip_rocprim5par_tENSA_11use_defaultESG_EEEEPS6_SJ_NS0_5tupleIJPiSJ_EEENSK_IJSJ_SJ_EEES6_PlJ7is_evenIiEEEE10hipError_tPvRmT3_T4_T5_T6_T7_T9_mT8_P12ihipStream_tbDpT10_ENKUlT_T0_E_clISt17integral_constantIbLb0EES1A_EEDaS15_S16_EUlS15_E_NS1_11comp_targetILNS1_3genE0ELNS1_11target_archE4294967295ELNS1_3gpuE0ELNS1_3repE0EEENS1_30default_config_static_selectorELNS0_4arch9wavefront6targetE1EEEvT1_.kd
    .uniform_work_group_size: 1
    .uses_dynamic_stack: false
    .vgpr_count:     0
    .vgpr_spill_count: 0
    .wavefront_size: 64
  - .agpr_count:     0
    .args:
      - .offset:         0
        .size:           120
        .value_kind:     by_value
    .group_segment_fixed_size: 30728
    .kernarg_segment_align: 8
    .kernarg_segment_size: 120
    .language:       OpenCL C
    .language_version:
      - 2
      - 0
    .max_flat_workgroup_size: 512
    .name:           _ZN7rocprim17ROCPRIM_400000_NS6detail17trampoline_kernelINS0_14default_configENS1_25partition_config_selectorILNS1_17partition_subalgoE3EiNS0_10empty_typeEbEEZZNS1_14partition_implILS5_3ELb0ES3_jN6thrust23THRUST_200600_302600_NS6detail15normal_iteratorINSA_7pointerIiNSA_11hip_rocprim5par_tENSA_11use_defaultESG_EEEEPS6_SJ_NS0_5tupleIJPiSJ_EEENSK_IJSJ_SJ_EEES6_PlJ7is_evenIiEEEE10hipError_tPvRmT3_T4_T5_T6_T7_T9_mT8_P12ihipStream_tbDpT10_ENKUlT_T0_E_clISt17integral_constantIbLb0EES1A_EEDaS15_S16_EUlS15_E_NS1_11comp_targetILNS1_3genE5ELNS1_11target_archE942ELNS1_3gpuE9ELNS1_3repE0EEENS1_30default_config_static_selectorELNS0_4arch9wavefront6targetE1EEEvT1_
    .private_segment_fixed_size: 0
    .sgpr_count:     52
    .sgpr_spill_count: 0
    .symbol:         _ZN7rocprim17ROCPRIM_400000_NS6detail17trampoline_kernelINS0_14default_configENS1_25partition_config_selectorILNS1_17partition_subalgoE3EiNS0_10empty_typeEbEEZZNS1_14partition_implILS5_3ELb0ES3_jN6thrust23THRUST_200600_302600_NS6detail15normal_iteratorINSA_7pointerIiNSA_11hip_rocprim5par_tENSA_11use_defaultESG_EEEEPS6_SJ_NS0_5tupleIJPiSJ_EEENSK_IJSJ_SJ_EEES6_PlJ7is_evenIiEEEE10hipError_tPvRmT3_T4_T5_T6_T7_T9_mT8_P12ihipStream_tbDpT10_ENKUlT_T0_E_clISt17integral_constantIbLb0EES1A_EEDaS15_S16_EUlS15_E_NS1_11comp_targetILNS1_3genE5ELNS1_11target_archE942ELNS1_3gpuE9ELNS1_3repE0EEENS1_30default_config_static_selectorELNS0_4arch9wavefront6targetE1EEEvT1_.kd
    .uniform_work_group_size: 1
    .uses_dynamic_stack: false
    .vgpr_count:     76
    .vgpr_spill_count: 0
    .wavefront_size: 64
  - .agpr_count:     0
    .args:
      - .offset:         0
        .size:           120
        .value_kind:     by_value
    .group_segment_fixed_size: 0
    .kernarg_segment_align: 8
    .kernarg_segment_size: 120
    .language:       OpenCL C
    .language_version:
      - 2
      - 0
    .max_flat_workgroup_size: 256
    .name:           _ZN7rocprim17ROCPRIM_400000_NS6detail17trampoline_kernelINS0_14default_configENS1_25partition_config_selectorILNS1_17partition_subalgoE3EiNS0_10empty_typeEbEEZZNS1_14partition_implILS5_3ELb0ES3_jN6thrust23THRUST_200600_302600_NS6detail15normal_iteratorINSA_7pointerIiNSA_11hip_rocprim5par_tENSA_11use_defaultESG_EEEEPS6_SJ_NS0_5tupleIJPiSJ_EEENSK_IJSJ_SJ_EEES6_PlJ7is_evenIiEEEE10hipError_tPvRmT3_T4_T5_T6_T7_T9_mT8_P12ihipStream_tbDpT10_ENKUlT_T0_E_clISt17integral_constantIbLb0EES1A_EEDaS15_S16_EUlS15_E_NS1_11comp_targetILNS1_3genE4ELNS1_11target_archE910ELNS1_3gpuE8ELNS1_3repE0EEENS1_30default_config_static_selectorELNS0_4arch9wavefront6targetE1EEEvT1_
    .private_segment_fixed_size: 0
    .sgpr_count:     6
    .sgpr_spill_count: 0
    .symbol:         _ZN7rocprim17ROCPRIM_400000_NS6detail17trampoline_kernelINS0_14default_configENS1_25partition_config_selectorILNS1_17partition_subalgoE3EiNS0_10empty_typeEbEEZZNS1_14partition_implILS5_3ELb0ES3_jN6thrust23THRUST_200600_302600_NS6detail15normal_iteratorINSA_7pointerIiNSA_11hip_rocprim5par_tENSA_11use_defaultESG_EEEEPS6_SJ_NS0_5tupleIJPiSJ_EEENSK_IJSJ_SJ_EEES6_PlJ7is_evenIiEEEE10hipError_tPvRmT3_T4_T5_T6_T7_T9_mT8_P12ihipStream_tbDpT10_ENKUlT_T0_E_clISt17integral_constantIbLb0EES1A_EEDaS15_S16_EUlS15_E_NS1_11comp_targetILNS1_3genE4ELNS1_11target_archE910ELNS1_3gpuE8ELNS1_3repE0EEENS1_30default_config_static_selectorELNS0_4arch9wavefront6targetE1EEEvT1_.kd
    .uniform_work_group_size: 1
    .uses_dynamic_stack: false
    .vgpr_count:     0
    .vgpr_spill_count: 0
    .wavefront_size: 64
  - .agpr_count:     0
    .args:
      - .offset:         0
        .size:           120
        .value_kind:     by_value
    .group_segment_fixed_size: 0
    .kernarg_segment_align: 8
    .kernarg_segment_size: 120
    .language:       OpenCL C
    .language_version:
      - 2
      - 0
    .max_flat_workgroup_size: 256
    .name:           _ZN7rocprim17ROCPRIM_400000_NS6detail17trampoline_kernelINS0_14default_configENS1_25partition_config_selectorILNS1_17partition_subalgoE3EiNS0_10empty_typeEbEEZZNS1_14partition_implILS5_3ELb0ES3_jN6thrust23THRUST_200600_302600_NS6detail15normal_iteratorINSA_7pointerIiNSA_11hip_rocprim5par_tENSA_11use_defaultESG_EEEEPS6_SJ_NS0_5tupleIJPiSJ_EEENSK_IJSJ_SJ_EEES6_PlJ7is_evenIiEEEE10hipError_tPvRmT3_T4_T5_T6_T7_T9_mT8_P12ihipStream_tbDpT10_ENKUlT_T0_E_clISt17integral_constantIbLb0EES1A_EEDaS15_S16_EUlS15_E_NS1_11comp_targetILNS1_3genE3ELNS1_11target_archE908ELNS1_3gpuE7ELNS1_3repE0EEENS1_30default_config_static_selectorELNS0_4arch9wavefront6targetE1EEEvT1_
    .private_segment_fixed_size: 0
    .sgpr_count:     6
    .sgpr_spill_count: 0
    .symbol:         _ZN7rocprim17ROCPRIM_400000_NS6detail17trampoline_kernelINS0_14default_configENS1_25partition_config_selectorILNS1_17partition_subalgoE3EiNS0_10empty_typeEbEEZZNS1_14partition_implILS5_3ELb0ES3_jN6thrust23THRUST_200600_302600_NS6detail15normal_iteratorINSA_7pointerIiNSA_11hip_rocprim5par_tENSA_11use_defaultESG_EEEEPS6_SJ_NS0_5tupleIJPiSJ_EEENSK_IJSJ_SJ_EEES6_PlJ7is_evenIiEEEE10hipError_tPvRmT3_T4_T5_T6_T7_T9_mT8_P12ihipStream_tbDpT10_ENKUlT_T0_E_clISt17integral_constantIbLb0EES1A_EEDaS15_S16_EUlS15_E_NS1_11comp_targetILNS1_3genE3ELNS1_11target_archE908ELNS1_3gpuE7ELNS1_3repE0EEENS1_30default_config_static_selectorELNS0_4arch9wavefront6targetE1EEEvT1_.kd
    .uniform_work_group_size: 1
    .uses_dynamic_stack: false
    .vgpr_count:     0
    .vgpr_spill_count: 0
    .wavefront_size: 64
  - .agpr_count:     0
    .args:
      - .offset:         0
        .size:           120
        .value_kind:     by_value
    .group_segment_fixed_size: 0
    .kernarg_segment_align: 8
    .kernarg_segment_size: 120
    .language:       OpenCL C
    .language_version:
      - 2
      - 0
    .max_flat_workgroup_size: 192
    .name:           _ZN7rocprim17ROCPRIM_400000_NS6detail17trampoline_kernelINS0_14default_configENS1_25partition_config_selectorILNS1_17partition_subalgoE3EiNS0_10empty_typeEbEEZZNS1_14partition_implILS5_3ELb0ES3_jN6thrust23THRUST_200600_302600_NS6detail15normal_iteratorINSA_7pointerIiNSA_11hip_rocprim5par_tENSA_11use_defaultESG_EEEEPS6_SJ_NS0_5tupleIJPiSJ_EEENSK_IJSJ_SJ_EEES6_PlJ7is_evenIiEEEE10hipError_tPvRmT3_T4_T5_T6_T7_T9_mT8_P12ihipStream_tbDpT10_ENKUlT_T0_E_clISt17integral_constantIbLb0EES1A_EEDaS15_S16_EUlS15_E_NS1_11comp_targetILNS1_3genE2ELNS1_11target_archE906ELNS1_3gpuE6ELNS1_3repE0EEENS1_30default_config_static_selectorELNS0_4arch9wavefront6targetE1EEEvT1_
    .private_segment_fixed_size: 0
    .sgpr_count:     6
    .sgpr_spill_count: 0
    .symbol:         _ZN7rocprim17ROCPRIM_400000_NS6detail17trampoline_kernelINS0_14default_configENS1_25partition_config_selectorILNS1_17partition_subalgoE3EiNS0_10empty_typeEbEEZZNS1_14partition_implILS5_3ELb0ES3_jN6thrust23THRUST_200600_302600_NS6detail15normal_iteratorINSA_7pointerIiNSA_11hip_rocprim5par_tENSA_11use_defaultESG_EEEEPS6_SJ_NS0_5tupleIJPiSJ_EEENSK_IJSJ_SJ_EEES6_PlJ7is_evenIiEEEE10hipError_tPvRmT3_T4_T5_T6_T7_T9_mT8_P12ihipStream_tbDpT10_ENKUlT_T0_E_clISt17integral_constantIbLb0EES1A_EEDaS15_S16_EUlS15_E_NS1_11comp_targetILNS1_3genE2ELNS1_11target_archE906ELNS1_3gpuE6ELNS1_3repE0EEENS1_30default_config_static_selectorELNS0_4arch9wavefront6targetE1EEEvT1_.kd
    .uniform_work_group_size: 1
    .uses_dynamic_stack: false
    .vgpr_count:     0
    .vgpr_spill_count: 0
    .wavefront_size: 64
  - .agpr_count:     0
    .args:
      - .offset:         0
        .size:           120
        .value_kind:     by_value
    .group_segment_fixed_size: 0
    .kernarg_segment_align: 8
    .kernarg_segment_size: 120
    .language:       OpenCL C
    .language_version:
      - 2
      - 0
    .max_flat_workgroup_size: 384
    .name:           _ZN7rocprim17ROCPRIM_400000_NS6detail17trampoline_kernelINS0_14default_configENS1_25partition_config_selectorILNS1_17partition_subalgoE3EiNS0_10empty_typeEbEEZZNS1_14partition_implILS5_3ELb0ES3_jN6thrust23THRUST_200600_302600_NS6detail15normal_iteratorINSA_7pointerIiNSA_11hip_rocprim5par_tENSA_11use_defaultESG_EEEEPS6_SJ_NS0_5tupleIJPiSJ_EEENSK_IJSJ_SJ_EEES6_PlJ7is_evenIiEEEE10hipError_tPvRmT3_T4_T5_T6_T7_T9_mT8_P12ihipStream_tbDpT10_ENKUlT_T0_E_clISt17integral_constantIbLb0EES1A_EEDaS15_S16_EUlS15_E_NS1_11comp_targetILNS1_3genE10ELNS1_11target_archE1200ELNS1_3gpuE4ELNS1_3repE0EEENS1_30default_config_static_selectorELNS0_4arch9wavefront6targetE1EEEvT1_
    .private_segment_fixed_size: 0
    .sgpr_count:     6
    .sgpr_spill_count: 0
    .symbol:         _ZN7rocprim17ROCPRIM_400000_NS6detail17trampoline_kernelINS0_14default_configENS1_25partition_config_selectorILNS1_17partition_subalgoE3EiNS0_10empty_typeEbEEZZNS1_14partition_implILS5_3ELb0ES3_jN6thrust23THRUST_200600_302600_NS6detail15normal_iteratorINSA_7pointerIiNSA_11hip_rocprim5par_tENSA_11use_defaultESG_EEEEPS6_SJ_NS0_5tupleIJPiSJ_EEENSK_IJSJ_SJ_EEES6_PlJ7is_evenIiEEEE10hipError_tPvRmT3_T4_T5_T6_T7_T9_mT8_P12ihipStream_tbDpT10_ENKUlT_T0_E_clISt17integral_constantIbLb0EES1A_EEDaS15_S16_EUlS15_E_NS1_11comp_targetILNS1_3genE10ELNS1_11target_archE1200ELNS1_3gpuE4ELNS1_3repE0EEENS1_30default_config_static_selectorELNS0_4arch9wavefront6targetE1EEEvT1_.kd
    .uniform_work_group_size: 1
    .uses_dynamic_stack: false
    .vgpr_count:     0
    .vgpr_spill_count: 0
    .wavefront_size: 64
  - .agpr_count:     0
    .args:
      - .offset:         0
        .size:           120
        .value_kind:     by_value
    .group_segment_fixed_size: 0
    .kernarg_segment_align: 8
    .kernarg_segment_size: 120
    .language:       OpenCL C
    .language_version:
      - 2
      - 0
    .max_flat_workgroup_size: 384
    .name:           _ZN7rocprim17ROCPRIM_400000_NS6detail17trampoline_kernelINS0_14default_configENS1_25partition_config_selectorILNS1_17partition_subalgoE3EiNS0_10empty_typeEbEEZZNS1_14partition_implILS5_3ELb0ES3_jN6thrust23THRUST_200600_302600_NS6detail15normal_iteratorINSA_7pointerIiNSA_11hip_rocprim5par_tENSA_11use_defaultESG_EEEEPS6_SJ_NS0_5tupleIJPiSJ_EEENSK_IJSJ_SJ_EEES6_PlJ7is_evenIiEEEE10hipError_tPvRmT3_T4_T5_T6_T7_T9_mT8_P12ihipStream_tbDpT10_ENKUlT_T0_E_clISt17integral_constantIbLb0EES1A_EEDaS15_S16_EUlS15_E_NS1_11comp_targetILNS1_3genE9ELNS1_11target_archE1100ELNS1_3gpuE3ELNS1_3repE0EEENS1_30default_config_static_selectorELNS0_4arch9wavefront6targetE1EEEvT1_
    .private_segment_fixed_size: 0
    .sgpr_count:     6
    .sgpr_spill_count: 0
    .symbol:         _ZN7rocprim17ROCPRIM_400000_NS6detail17trampoline_kernelINS0_14default_configENS1_25partition_config_selectorILNS1_17partition_subalgoE3EiNS0_10empty_typeEbEEZZNS1_14partition_implILS5_3ELb0ES3_jN6thrust23THRUST_200600_302600_NS6detail15normal_iteratorINSA_7pointerIiNSA_11hip_rocprim5par_tENSA_11use_defaultESG_EEEEPS6_SJ_NS0_5tupleIJPiSJ_EEENSK_IJSJ_SJ_EEES6_PlJ7is_evenIiEEEE10hipError_tPvRmT3_T4_T5_T6_T7_T9_mT8_P12ihipStream_tbDpT10_ENKUlT_T0_E_clISt17integral_constantIbLb0EES1A_EEDaS15_S16_EUlS15_E_NS1_11comp_targetILNS1_3genE9ELNS1_11target_archE1100ELNS1_3gpuE3ELNS1_3repE0EEENS1_30default_config_static_selectorELNS0_4arch9wavefront6targetE1EEEvT1_.kd
    .uniform_work_group_size: 1
    .uses_dynamic_stack: false
    .vgpr_count:     0
    .vgpr_spill_count: 0
    .wavefront_size: 64
  - .agpr_count:     0
    .args:
      - .offset:         0
        .size:           120
        .value_kind:     by_value
    .group_segment_fixed_size: 0
    .kernarg_segment_align: 8
    .kernarg_segment_size: 120
    .language:       OpenCL C
    .language_version:
      - 2
      - 0
    .max_flat_workgroup_size: 512
    .name:           _ZN7rocprim17ROCPRIM_400000_NS6detail17trampoline_kernelINS0_14default_configENS1_25partition_config_selectorILNS1_17partition_subalgoE3EiNS0_10empty_typeEbEEZZNS1_14partition_implILS5_3ELb0ES3_jN6thrust23THRUST_200600_302600_NS6detail15normal_iteratorINSA_7pointerIiNSA_11hip_rocprim5par_tENSA_11use_defaultESG_EEEEPS6_SJ_NS0_5tupleIJPiSJ_EEENSK_IJSJ_SJ_EEES6_PlJ7is_evenIiEEEE10hipError_tPvRmT3_T4_T5_T6_T7_T9_mT8_P12ihipStream_tbDpT10_ENKUlT_T0_E_clISt17integral_constantIbLb0EES1A_EEDaS15_S16_EUlS15_E_NS1_11comp_targetILNS1_3genE8ELNS1_11target_archE1030ELNS1_3gpuE2ELNS1_3repE0EEENS1_30default_config_static_selectorELNS0_4arch9wavefront6targetE1EEEvT1_
    .private_segment_fixed_size: 0
    .sgpr_count:     6
    .sgpr_spill_count: 0
    .symbol:         _ZN7rocprim17ROCPRIM_400000_NS6detail17trampoline_kernelINS0_14default_configENS1_25partition_config_selectorILNS1_17partition_subalgoE3EiNS0_10empty_typeEbEEZZNS1_14partition_implILS5_3ELb0ES3_jN6thrust23THRUST_200600_302600_NS6detail15normal_iteratorINSA_7pointerIiNSA_11hip_rocprim5par_tENSA_11use_defaultESG_EEEEPS6_SJ_NS0_5tupleIJPiSJ_EEENSK_IJSJ_SJ_EEES6_PlJ7is_evenIiEEEE10hipError_tPvRmT3_T4_T5_T6_T7_T9_mT8_P12ihipStream_tbDpT10_ENKUlT_T0_E_clISt17integral_constantIbLb0EES1A_EEDaS15_S16_EUlS15_E_NS1_11comp_targetILNS1_3genE8ELNS1_11target_archE1030ELNS1_3gpuE2ELNS1_3repE0EEENS1_30default_config_static_selectorELNS0_4arch9wavefront6targetE1EEEvT1_.kd
    .uniform_work_group_size: 1
    .uses_dynamic_stack: false
    .vgpr_count:     0
    .vgpr_spill_count: 0
    .wavefront_size: 64
  - .agpr_count:     0
    .args:
      - .offset:         0
        .size:           136
        .value_kind:     by_value
    .group_segment_fixed_size: 0
    .kernarg_segment_align: 8
    .kernarg_segment_size: 136
    .language:       OpenCL C
    .language_version:
      - 2
      - 0
    .max_flat_workgroup_size: 256
    .name:           _ZN7rocprim17ROCPRIM_400000_NS6detail17trampoline_kernelINS0_14default_configENS1_25partition_config_selectorILNS1_17partition_subalgoE3EiNS0_10empty_typeEbEEZZNS1_14partition_implILS5_3ELb0ES3_jN6thrust23THRUST_200600_302600_NS6detail15normal_iteratorINSA_7pointerIiNSA_11hip_rocprim5par_tENSA_11use_defaultESG_EEEEPS6_SJ_NS0_5tupleIJPiSJ_EEENSK_IJSJ_SJ_EEES6_PlJ7is_evenIiEEEE10hipError_tPvRmT3_T4_T5_T6_T7_T9_mT8_P12ihipStream_tbDpT10_ENKUlT_T0_E_clISt17integral_constantIbLb1EES1A_EEDaS15_S16_EUlS15_E_NS1_11comp_targetILNS1_3genE0ELNS1_11target_archE4294967295ELNS1_3gpuE0ELNS1_3repE0EEENS1_30default_config_static_selectorELNS0_4arch9wavefront6targetE1EEEvT1_
    .private_segment_fixed_size: 0
    .sgpr_count:     6
    .sgpr_spill_count: 0
    .symbol:         _ZN7rocprim17ROCPRIM_400000_NS6detail17trampoline_kernelINS0_14default_configENS1_25partition_config_selectorILNS1_17partition_subalgoE3EiNS0_10empty_typeEbEEZZNS1_14partition_implILS5_3ELb0ES3_jN6thrust23THRUST_200600_302600_NS6detail15normal_iteratorINSA_7pointerIiNSA_11hip_rocprim5par_tENSA_11use_defaultESG_EEEEPS6_SJ_NS0_5tupleIJPiSJ_EEENSK_IJSJ_SJ_EEES6_PlJ7is_evenIiEEEE10hipError_tPvRmT3_T4_T5_T6_T7_T9_mT8_P12ihipStream_tbDpT10_ENKUlT_T0_E_clISt17integral_constantIbLb1EES1A_EEDaS15_S16_EUlS15_E_NS1_11comp_targetILNS1_3genE0ELNS1_11target_archE4294967295ELNS1_3gpuE0ELNS1_3repE0EEENS1_30default_config_static_selectorELNS0_4arch9wavefront6targetE1EEEvT1_.kd
    .uniform_work_group_size: 1
    .uses_dynamic_stack: false
    .vgpr_count:     0
    .vgpr_spill_count: 0
    .wavefront_size: 64
  - .agpr_count:     0
    .args:
      - .offset:         0
        .size:           136
        .value_kind:     by_value
    .group_segment_fixed_size: 30728
    .kernarg_segment_align: 8
    .kernarg_segment_size: 136
    .language:       OpenCL C
    .language_version:
      - 2
      - 0
    .max_flat_workgroup_size: 512
    .name:           _ZN7rocprim17ROCPRIM_400000_NS6detail17trampoline_kernelINS0_14default_configENS1_25partition_config_selectorILNS1_17partition_subalgoE3EiNS0_10empty_typeEbEEZZNS1_14partition_implILS5_3ELb0ES3_jN6thrust23THRUST_200600_302600_NS6detail15normal_iteratorINSA_7pointerIiNSA_11hip_rocprim5par_tENSA_11use_defaultESG_EEEEPS6_SJ_NS0_5tupleIJPiSJ_EEENSK_IJSJ_SJ_EEES6_PlJ7is_evenIiEEEE10hipError_tPvRmT3_T4_T5_T6_T7_T9_mT8_P12ihipStream_tbDpT10_ENKUlT_T0_E_clISt17integral_constantIbLb1EES1A_EEDaS15_S16_EUlS15_E_NS1_11comp_targetILNS1_3genE5ELNS1_11target_archE942ELNS1_3gpuE9ELNS1_3repE0EEENS1_30default_config_static_selectorELNS0_4arch9wavefront6targetE1EEEvT1_
    .private_segment_fixed_size: 0
    .sgpr_count:     50
    .sgpr_spill_count: 0
    .symbol:         _ZN7rocprim17ROCPRIM_400000_NS6detail17trampoline_kernelINS0_14default_configENS1_25partition_config_selectorILNS1_17partition_subalgoE3EiNS0_10empty_typeEbEEZZNS1_14partition_implILS5_3ELb0ES3_jN6thrust23THRUST_200600_302600_NS6detail15normal_iteratorINSA_7pointerIiNSA_11hip_rocprim5par_tENSA_11use_defaultESG_EEEEPS6_SJ_NS0_5tupleIJPiSJ_EEENSK_IJSJ_SJ_EEES6_PlJ7is_evenIiEEEE10hipError_tPvRmT3_T4_T5_T6_T7_T9_mT8_P12ihipStream_tbDpT10_ENKUlT_T0_E_clISt17integral_constantIbLb1EES1A_EEDaS15_S16_EUlS15_E_NS1_11comp_targetILNS1_3genE5ELNS1_11target_archE942ELNS1_3gpuE9ELNS1_3repE0EEENS1_30default_config_static_selectorELNS0_4arch9wavefront6targetE1EEEvT1_.kd
    .uniform_work_group_size: 1
    .uses_dynamic_stack: false
    .vgpr_count:     80
    .vgpr_spill_count: 0
    .wavefront_size: 64
  - .agpr_count:     0
    .args:
      - .offset:         0
        .size:           136
        .value_kind:     by_value
    .group_segment_fixed_size: 0
    .kernarg_segment_align: 8
    .kernarg_segment_size: 136
    .language:       OpenCL C
    .language_version:
      - 2
      - 0
    .max_flat_workgroup_size: 256
    .name:           _ZN7rocprim17ROCPRIM_400000_NS6detail17trampoline_kernelINS0_14default_configENS1_25partition_config_selectorILNS1_17partition_subalgoE3EiNS0_10empty_typeEbEEZZNS1_14partition_implILS5_3ELb0ES3_jN6thrust23THRUST_200600_302600_NS6detail15normal_iteratorINSA_7pointerIiNSA_11hip_rocprim5par_tENSA_11use_defaultESG_EEEEPS6_SJ_NS0_5tupleIJPiSJ_EEENSK_IJSJ_SJ_EEES6_PlJ7is_evenIiEEEE10hipError_tPvRmT3_T4_T5_T6_T7_T9_mT8_P12ihipStream_tbDpT10_ENKUlT_T0_E_clISt17integral_constantIbLb1EES1A_EEDaS15_S16_EUlS15_E_NS1_11comp_targetILNS1_3genE4ELNS1_11target_archE910ELNS1_3gpuE8ELNS1_3repE0EEENS1_30default_config_static_selectorELNS0_4arch9wavefront6targetE1EEEvT1_
    .private_segment_fixed_size: 0
    .sgpr_count:     6
    .sgpr_spill_count: 0
    .symbol:         _ZN7rocprim17ROCPRIM_400000_NS6detail17trampoline_kernelINS0_14default_configENS1_25partition_config_selectorILNS1_17partition_subalgoE3EiNS0_10empty_typeEbEEZZNS1_14partition_implILS5_3ELb0ES3_jN6thrust23THRUST_200600_302600_NS6detail15normal_iteratorINSA_7pointerIiNSA_11hip_rocprim5par_tENSA_11use_defaultESG_EEEEPS6_SJ_NS0_5tupleIJPiSJ_EEENSK_IJSJ_SJ_EEES6_PlJ7is_evenIiEEEE10hipError_tPvRmT3_T4_T5_T6_T7_T9_mT8_P12ihipStream_tbDpT10_ENKUlT_T0_E_clISt17integral_constantIbLb1EES1A_EEDaS15_S16_EUlS15_E_NS1_11comp_targetILNS1_3genE4ELNS1_11target_archE910ELNS1_3gpuE8ELNS1_3repE0EEENS1_30default_config_static_selectorELNS0_4arch9wavefront6targetE1EEEvT1_.kd
    .uniform_work_group_size: 1
    .uses_dynamic_stack: false
    .vgpr_count:     0
    .vgpr_spill_count: 0
    .wavefront_size: 64
  - .agpr_count:     0
    .args:
      - .offset:         0
        .size:           136
        .value_kind:     by_value
    .group_segment_fixed_size: 0
    .kernarg_segment_align: 8
    .kernarg_segment_size: 136
    .language:       OpenCL C
    .language_version:
      - 2
      - 0
    .max_flat_workgroup_size: 256
    .name:           _ZN7rocprim17ROCPRIM_400000_NS6detail17trampoline_kernelINS0_14default_configENS1_25partition_config_selectorILNS1_17partition_subalgoE3EiNS0_10empty_typeEbEEZZNS1_14partition_implILS5_3ELb0ES3_jN6thrust23THRUST_200600_302600_NS6detail15normal_iteratorINSA_7pointerIiNSA_11hip_rocprim5par_tENSA_11use_defaultESG_EEEEPS6_SJ_NS0_5tupleIJPiSJ_EEENSK_IJSJ_SJ_EEES6_PlJ7is_evenIiEEEE10hipError_tPvRmT3_T4_T5_T6_T7_T9_mT8_P12ihipStream_tbDpT10_ENKUlT_T0_E_clISt17integral_constantIbLb1EES1A_EEDaS15_S16_EUlS15_E_NS1_11comp_targetILNS1_3genE3ELNS1_11target_archE908ELNS1_3gpuE7ELNS1_3repE0EEENS1_30default_config_static_selectorELNS0_4arch9wavefront6targetE1EEEvT1_
    .private_segment_fixed_size: 0
    .sgpr_count:     6
    .sgpr_spill_count: 0
    .symbol:         _ZN7rocprim17ROCPRIM_400000_NS6detail17trampoline_kernelINS0_14default_configENS1_25partition_config_selectorILNS1_17partition_subalgoE3EiNS0_10empty_typeEbEEZZNS1_14partition_implILS5_3ELb0ES3_jN6thrust23THRUST_200600_302600_NS6detail15normal_iteratorINSA_7pointerIiNSA_11hip_rocprim5par_tENSA_11use_defaultESG_EEEEPS6_SJ_NS0_5tupleIJPiSJ_EEENSK_IJSJ_SJ_EEES6_PlJ7is_evenIiEEEE10hipError_tPvRmT3_T4_T5_T6_T7_T9_mT8_P12ihipStream_tbDpT10_ENKUlT_T0_E_clISt17integral_constantIbLb1EES1A_EEDaS15_S16_EUlS15_E_NS1_11comp_targetILNS1_3genE3ELNS1_11target_archE908ELNS1_3gpuE7ELNS1_3repE0EEENS1_30default_config_static_selectorELNS0_4arch9wavefront6targetE1EEEvT1_.kd
    .uniform_work_group_size: 1
    .uses_dynamic_stack: false
    .vgpr_count:     0
    .vgpr_spill_count: 0
    .wavefront_size: 64
  - .agpr_count:     0
    .args:
      - .offset:         0
        .size:           136
        .value_kind:     by_value
    .group_segment_fixed_size: 0
    .kernarg_segment_align: 8
    .kernarg_segment_size: 136
    .language:       OpenCL C
    .language_version:
      - 2
      - 0
    .max_flat_workgroup_size: 192
    .name:           _ZN7rocprim17ROCPRIM_400000_NS6detail17trampoline_kernelINS0_14default_configENS1_25partition_config_selectorILNS1_17partition_subalgoE3EiNS0_10empty_typeEbEEZZNS1_14partition_implILS5_3ELb0ES3_jN6thrust23THRUST_200600_302600_NS6detail15normal_iteratorINSA_7pointerIiNSA_11hip_rocprim5par_tENSA_11use_defaultESG_EEEEPS6_SJ_NS0_5tupleIJPiSJ_EEENSK_IJSJ_SJ_EEES6_PlJ7is_evenIiEEEE10hipError_tPvRmT3_T4_T5_T6_T7_T9_mT8_P12ihipStream_tbDpT10_ENKUlT_T0_E_clISt17integral_constantIbLb1EES1A_EEDaS15_S16_EUlS15_E_NS1_11comp_targetILNS1_3genE2ELNS1_11target_archE906ELNS1_3gpuE6ELNS1_3repE0EEENS1_30default_config_static_selectorELNS0_4arch9wavefront6targetE1EEEvT1_
    .private_segment_fixed_size: 0
    .sgpr_count:     6
    .sgpr_spill_count: 0
    .symbol:         _ZN7rocprim17ROCPRIM_400000_NS6detail17trampoline_kernelINS0_14default_configENS1_25partition_config_selectorILNS1_17partition_subalgoE3EiNS0_10empty_typeEbEEZZNS1_14partition_implILS5_3ELb0ES3_jN6thrust23THRUST_200600_302600_NS6detail15normal_iteratorINSA_7pointerIiNSA_11hip_rocprim5par_tENSA_11use_defaultESG_EEEEPS6_SJ_NS0_5tupleIJPiSJ_EEENSK_IJSJ_SJ_EEES6_PlJ7is_evenIiEEEE10hipError_tPvRmT3_T4_T5_T6_T7_T9_mT8_P12ihipStream_tbDpT10_ENKUlT_T0_E_clISt17integral_constantIbLb1EES1A_EEDaS15_S16_EUlS15_E_NS1_11comp_targetILNS1_3genE2ELNS1_11target_archE906ELNS1_3gpuE6ELNS1_3repE0EEENS1_30default_config_static_selectorELNS0_4arch9wavefront6targetE1EEEvT1_.kd
    .uniform_work_group_size: 1
    .uses_dynamic_stack: false
    .vgpr_count:     0
    .vgpr_spill_count: 0
    .wavefront_size: 64
  - .agpr_count:     0
    .args:
      - .offset:         0
        .size:           136
        .value_kind:     by_value
    .group_segment_fixed_size: 0
    .kernarg_segment_align: 8
    .kernarg_segment_size: 136
    .language:       OpenCL C
    .language_version:
      - 2
      - 0
    .max_flat_workgroup_size: 384
    .name:           _ZN7rocprim17ROCPRIM_400000_NS6detail17trampoline_kernelINS0_14default_configENS1_25partition_config_selectorILNS1_17partition_subalgoE3EiNS0_10empty_typeEbEEZZNS1_14partition_implILS5_3ELb0ES3_jN6thrust23THRUST_200600_302600_NS6detail15normal_iteratorINSA_7pointerIiNSA_11hip_rocprim5par_tENSA_11use_defaultESG_EEEEPS6_SJ_NS0_5tupleIJPiSJ_EEENSK_IJSJ_SJ_EEES6_PlJ7is_evenIiEEEE10hipError_tPvRmT3_T4_T5_T6_T7_T9_mT8_P12ihipStream_tbDpT10_ENKUlT_T0_E_clISt17integral_constantIbLb1EES1A_EEDaS15_S16_EUlS15_E_NS1_11comp_targetILNS1_3genE10ELNS1_11target_archE1200ELNS1_3gpuE4ELNS1_3repE0EEENS1_30default_config_static_selectorELNS0_4arch9wavefront6targetE1EEEvT1_
    .private_segment_fixed_size: 0
    .sgpr_count:     6
    .sgpr_spill_count: 0
    .symbol:         _ZN7rocprim17ROCPRIM_400000_NS6detail17trampoline_kernelINS0_14default_configENS1_25partition_config_selectorILNS1_17partition_subalgoE3EiNS0_10empty_typeEbEEZZNS1_14partition_implILS5_3ELb0ES3_jN6thrust23THRUST_200600_302600_NS6detail15normal_iteratorINSA_7pointerIiNSA_11hip_rocprim5par_tENSA_11use_defaultESG_EEEEPS6_SJ_NS0_5tupleIJPiSJ_EEENSK_IJSJ_SJ_EEES6_PlJ7is_evenIiEEEE10hipError_tPvRmT3_T4_T5_T6_T7_T9_mT8_P12ihipStream_tbDpT10_ENKUlT_T0_E_clISt17integral_constantIbLb1EES1A_EEDaS15_S16_EUlS15_E_NS1_11comp_targetILNS1_3genE10ELNS1_11target_archE1200ELNS1_3gpuE4ELNS1_3repE0EEENS1_30default_config_static_selectorELNS0_4arch9wavefront6targetE1EEEvT1_.kd
    .uniform_work_group_size: 1
    .uses_dynamic_stack: false
    .vgpr_count:     0
    .vgpr_spill_count: 0
    .wavefront_size: 64
  - .agpr_count:     0
    .args:
      - .offset:         0
        .size:           136
        .value_kind:     by_value
    .group_segment_fixed_size: 0
    .kernarg_segment_align: 8
    .kernarg_segment_size: 136
    .language:       OpenCL C
    .language_version:
      - 2
      - 0
    .max_flat_workgroup_size: 384
    .name:           _ZN7rocprim17ROCPRIM_400000_NS6detail17trampoline_kernelINS0_14default_configENS1_25partition_config_selectorILNS1_17partition_subalgoE3EiNS0_10empty_typeEbEEZZNS1_14partition_implILS5_3ELb0ES3_jN6thrust23THRUST_200600_302600_NS6detail15normal_iteratorINSA_7pointerIiNSA_11hip_rocprim5par_tENSA_11use_defaultESG_EEEEPS6_SJ_NS0_5tupleIJPiSJ_EEENSK_IJSJ_SJ_EEES6_PlJ7is_evenIiEEEE10hipError_tPvRmT3_T4_T5_T6_T7_T9_mT8_P12ihipStream_tbDpT10_ENKUlT_T0_E_clISt17integral_constantIbLb1EES1A_EEDaS15_S16_EUlS15_E_NS1_11comp_targetILNS1_3genE9ELNS1_11target_archE1100ELNS1_3gpuE3ELNS1_3repE0EEENS1_30default_config_static_selectorELNS0_4arch9wavefront6targetE1EEEvT1_
    .private_segment_fixed_size: 0
    .sgpr_count:     6
    .sgpr_spill_count: 0
    .symbol:         _ZN7rocprim17ROCPRIM_400000_NS6detail17trampoline_kernelINS0_14default_configENS1_25partition_config_selectorILNS1_17partition_subalgoE3EiNS0_10empty_typeEbEEZZNS1_14partition_implILS5_3ELb0ES3_jN6thrust23THRUST_200600_302600_NS6detail15normal_iteratorINSA_7pointerIiNSA_11hip_rocprim5par_tENSA_11use_defaultESG_EEEEPS6_SJ_NS0_5tupleIJPiSJ_EEENSK_IJSJ_SJ_EEES6_PlJ7is_evenIiEEEE10hipError_tPvRmT3_T4_T5_T6_T7_T9_mT8_P12ihipStream_tbDpT10_ENKUlT_T0_E_clISt17integral_constantIbLb1EES1A_EEDaS15_S16_EUlS15_E_NS1_11comp_targetILNS1_3genE9ELNS1_11target_archE1100ELNS1_3gpuE3ELNS1_3repE0EEENS1_30default_config_static_selectorELNS0_4arch9wavefront6targetE1EEEvT1_.kd
    .uniform_work_group_size: 1
    .uses_dynamic_stack: false
    .vgpr_count:     0
    .vgpr_spill_count: 0
    .wavefront_size: 64
  - .agpr_count:     0
    .args:
      - .offset:         0
        .size:           136
        .value_kind:     by_value
    .group_segment_fixed_size: 0
    .kernarg_segment_align: 8
    .kernarg_segment_size: 136
    .language:       OpenCL C
    .language_version:
      - 2
      - 0
    .max_flat_workgroup_size: 512
    .name:           _ZN7rocprim17ROCPRIM_400000_NS6detail17trampoline_kernelINS0_14default_configENS1_25partition_config_selectorILNS1_17partition_subalgoE3EiNS0_10empty_typeEbEEZZNS1_14partition_implILS5_3ELb0ES3_jN6thrust23THRUST_200600_302600_NS6detail15normal_iteratorINSA_7pointerIiNSA_11hip_rocprim5par_tENSA_11use_defaultESG_EEEEPS6_SJ_NS0_5tupleIJPiSJ_EEENSK_IJSJ_SJ_EEES6_PlJ7is_evenIiEEEE10hipError_tPvRmT3_T4_T5_T6_T7_T9_mT8_P12ihipStream_tbDpT10_ENKUlT_T0_E_clISt17integral_constantIbLb1EES1A_EEDaS15_S16_EUlS15_E_NS1_11comp_targetILNS1_3genE8ELNS1_11target_archE1030ELNS1_3gpuE2ELNS1_3repE0EEENS1_30default_config_static_selectorELNS0_4arch9wavefront6targetE1EEEvT1_
    .private_segment_fixed_size: 0
    .sgpr_count:     6
    .sgpr_spill_count: 0
    .symbol:         _ZN7rocprim17ROCPRIM_400000_NS6detail17trampoline_kernelINS0_14default_configENS1_25partition_config_selectorILNS1_17partition_subalgoE3EiNS0_10empty_typeEbEEZZNS1_14partition_implILS5_3ELb0ES3_jN6thrust23THRUST_200600_302600_NS6detail15normal_iteratorINSA_7pointerIiNSA_11hip_rocprim5par_tENSA_11use_defaultESG_EEEEPS6_SJ_NS0_5tupleIJPiSJ_EEENSK_IJSJ_SJ_EEES6_PlJ7is_evenIiEEEE10hipError_tPvRmT3_T4_T5_T6_T7_T9_mT8_P12ihipStream_tbDpT10_ENKUlT_T0_E_clISt17integral_constantIbLb1EES1A_EEDaS15_S16_EUlS15_E_NS1_11comp_targetILNS1_3genE8ELNS1_11target_archE1030ELNS1_3gpuE2ELNS1_3repE0EEENS1_30default_config_static_selectorELNS0_4arch9wavefront6targetE1EEEvT1_.kd
    .uniform_work_group_size: 1
    .uses_dynamic_stack: false
    .vgpr_count:     0
    .vgpr_spill_count: 0
    .wavefront_size: 64
  - .agpr_count:     0
    .args:
      - .offset:         0
        .size:           120
        .value_kind:     by_value
    .group_segment_fixed_size: 0
    .kernarg_segment_align: 8
    .kernarg_segment_size: 120
    .language:       OpenCL C
    .language_version:
      - 2
      - 0
    .max_flat_workgroup_size: 256
    .name:           _ZN7rocprim17ROCPRIM_400000_NS6detail17trampoline_kernelINS0_14default_configENS1_25partition_config_selectorILNS1_17partition_subalgoE3EiNS0_10empty_typeEbEEZZNS1_14partition_implILS5_3ELb0ES3_jN6thrust23THRUST_200600_302600_NS6detail15normal_iteratorINSA_7pointerIiNSA_11hip_rocprim5par_tENSA_11use_defaultESG_EEEEPS6_SJ_NS0_5tupleIJPiSJ_EEENSK_IJSJ_SJ_EEES6_PlJ7is_evenIiEEEE10hipError_tPvRmT3_T4_T5_T6_T7_T9_mT8_P12ihipStream_tbDpT10_ENKUlT_T0_E_clISt17integral_constantIbLb1EES19_IbLb0EEEEDaS15_S16_EUlS15_E_NS1_11comp_targetILNS1_3genE0ELNS1_11target_archE4294967295ELNS1_3gpuE0ELNS1_3repE0EEENS1_30default_config_static_selectorELNS0_4arch9wavefront6targetE1EEEvT1_
    .private_segment_fixed_size: 0
    .sgpr_count:     6
    .sgpr_spill_count: 0
    .symbol:         _ZN7rocprim17ROCPRIM_400000_NS6detail17trampoline_kernelINS0_14default_configENS1_25partition_config_selectorILNS1_17partition_subalgoE3EiNS0_10empty_typeEbEEZZNS1_14partition_implILS5_3ELb0ES3_jN6thrust23THRUST_200600_302600_NS6detail15normal_iteratorINSA_7pointerIiNSA_11hip_rocprim5par_tENSA_11use_defaultESG_EEEEPS6_SJ_NS0_5tupleIJPiSJ_EEENSK_IJSJ_SJ_EEES6_PlJ7is_evenIiEEEE10hipError_tPvRmT3_T4_T5_T6_T7_T9_mT8_P12ihipStream_tbDpT10_ENKUlT_T0_E_clISt17integral_constantIbLb1EES19_IbLb0EEEEDaS15_S16_EUlS15_E_NS1_11comp_targetILNS1_3genE0ELNS1_11target_archE4294967295ELNS1_3gpuE0ELNS1_3repE0EEENS1_30default_config_static_selectorELNS0_4arch9wavefront6targetE1EEEvT1_.kd
    .uniform_work_group_size: 1
    .uses_dynamic_stack: false
    .vgpr_count:     0
    .vgpr_spill_count: 0
    .wavefront_size: 64
  - .agpr_count:     0
    .args:
      - .offset:         0
        .size:           120
        .value_kind:     by_value
    .group_segment_fixed_size: 30728
    .kernarg_segment_align: 8
    .kernarg_segment_size: 120
    .language:       OpenCL C
    .language_version:
      - 2
      - 0
    .max_flat_workgroup_size: 512
    .name:           _ZN7rocprim17ROCPRIM_400000_NS6detail17trampoline_kernelINS0_14default_configENS1_25partition_config_selectorILNS1_17partition_subalgoE3EiNS0_10empty_typeEbEEZZNS1_14partition_implILS5_3ELb0ES3_jN6thrust23THRUST_200600_302600_NS6detail15normal_iteratorINSA_7pointerIiNSA_11hip_rocprim5par_tENSA_11use_defaultESG_EEEEPS6_SJ_NS0_5tupleIJPiSJ_EEENSK_IJSJ_SJ_EEES6_PlJ7is_evenIiEEEE10hipError_tPvRmT3_T4_T5_T6_T7_T9_mT8_P12ihipStream_tbDpT10_ENKUlT_T0_E_clISt17integral_constantIbLb1EES19_IbLb0EEEEDaS15_S16_EUlS15_E_NS1_11comp_targetILNS1_3genE5ELNS1_11target_archE942ELNS1_3gpuE9ELNS1_3repE0EEENS1_30default_config_static_selectorELNS0_4arch9wavefront6targetE1EEEvT1_
    .private_segment_fixed_size: 0
    .sgpr_count:     52
    .sgpr_spill_count: 0
    .symbol:         _ZN7rocprim17ROCPRIM_400000_NS6detail17trampoline_kernelINS0_14default_configENS1_25partition_config_selectorILNS1_17partition_subalgoE3EiNS0_10empty_typeEbEEZZNS1_14partition_implILS5_3ELb0ES3_jN6thrust23THRUST_200600_302600_NS6detail15normal_iteratorINSA_7pointerIiNSA_11hip_rocprim5par_tENSA_11use_defaultESG_EEEEPS6_SJ_NS0_5tupleIJPiSJ_EEENSK_IJSJ_SJ_EEES6_PlJ7is_evenIiEEEE10hipError_tPvRmT3_T4_T5_T6_T7_T9_mT8_P12ihipStream_tbDpT10_ENKUlT_T0_E_clISt17integral_constantIbLb1EES19_IbLb0EEEEDaS15_S16_EUlS15_E_NS1_11comp_targetILNS1_3genE5ELNS1_11target_archE942ELNS1_3gpuE9ELNS1_3repE0EEENS1_30default_config_static_selectorELNS0_4arch9wavefront6targetE1EEEvT1_.kd
    .uniform_work_group_size: 1
    .uses_dynamic_stack: false
    .vgpr_count:     76
    .vgpr_spill_count: 0
    .wavefront_size: 64
  - .agpr_count:     0
    .args:
      - .offset:         0
        .size:           120
        .value_kind:     by_value
    .group_segment_fixed_size: 0
    .kernarg_segment_align: 8
    .kernarg_segment_size: 120
    .language:       OpenCL C
    .language_version:
      - 2
      - 0
    .max_flat_workgroup_size: 256
    .name:           _ZN7rocprim17ROCPRIM_400000_NS6detail17trampoline_kernelINS0_14default_configENS1_25partition_config_selectorILNS1_17partition_subalgoE3EiNS0_10empty_typeEbEEZZNS1_14partition_implILS5_3ELb0ES3_jN6thrust23THRUST_200600_302600_NS6detail15normal_iteratorINSA_7pointerIiNSA_11hip_rocprim5par_tENSA_11use_defaultESG_EEEEPS6_SJ_NS0_5tupleIJPiSJ_EEENSK_IJSJ_SJ_EEES6_PlJ7is_evenIiEEEE10hipError_tPvRmT3_T4_T5_T6_T7_T9_mT8_P12ihipStream_tbDpT10_ENKUlT_T0_E_clISt17integral_constantIbLb1EES19_IbLb0EEEEDaS15_S16_EUlS15_E_NS1_11comp_targetILNS1_3genE4ELNS1_11target_archE910ELNS1_3gpuE8ELNS1_3repE0EEENS1_30default_config_static_selectorELNS0_4arch9wavefront6targetE1EEEvT1_
    .private_segment_fixed_size: 0
    .sgpr_count:     6
    .sgpr_spill_count: 0
    .symbol:         _ZN7rocprim17ROCPRIM_400000_NS6detail17trampoline_kernelINS0_14default_configENS1_25partition_config_selectorILNS1_17partition_subalgoE3EiNS0_10empty_typeEbEEZZNS1_14partition_implILS5_3ELb0ES3_jN6thrust23THRUST_200600_302600_NS6detail15normal_iteratorINSA_7pointerIiNSA_11hip_rocprim5par_tENSA_11use_defaultESG_EEEEPS6_SJ_NS0_5tupleIJPiSJ_EEENSK_IJSJ_SJ_EEES6_PlJ7is_evenIiEEEE10hipError_tPvRmT3_T4_T5_T6_T7_T9_mT8_P12ihipStream_tbDpT10_ENKUlT_T0_E_clISt17integral_constantIbLb1EES19_IbLb0EEEEDaS15_S16_EUlS15_E_NS1_11comp_targetILNS1_3genE4ELNS1_11target_archE910ELNS1_3gpuE8ELNS1_3repE0EEENS1_30default_config_static_selectorELNS0_4arch9wavefront6targetE1EEEvT1_.kd
    .uniform_work_group_size: 1
    .uses_dynamic_stack: false
    .vgpr_count:     0
    .vgpr_spill_count: 0
    .wavefront_size: 64
  - .agpr_count:     0
    .args:
      - .offset:         0
        .size:           120
        .value_kind:     by_value
    .group_segment_fixed_size: 0
    .kernarg_segment_align: 8
    .kernarg_segment_size: 120
    .language:       OpenCL C
    .language_version:
      - 2
      - 0
    .max_flat_workgroup_size: 256
    .name:           _ZN7rocprim17ROCPRIM_400000_NS6detail17trampoline_kernelINS0_14default_configENS1_25partition_config_selectorILNS1_17partition_subalgoE3EiNS0_10empty_typeEbEEZZNS1_14partition_implILS5_3ELb0ES3_jN6thrust23THRUST_200600_302600_NS6detail15normal_iteratorINSA_7pointerIiNSA_11hip_rocprim5par_tENSA_11use_defaultESG_EEEEPS6_SJ_NS0_5tupleIJPiSJ_EEENSK_IJSJ_SJ_EEES6_PlJ7is_evenIiEEEE10hipError_tPvRmT3_T4_T5_T6_T7_T9_mT8_P12ihipStream_tbDpT10_ENKUlT_T0_E_clISt17integral_constantIbLb1EES19_IbLb0EEEEDaS15_S16_EUlS15_E_NS1_11comp_targetILNS1_3genE3ELNS1_11target_archE908ELNS1_3gpuE7ELNS1_3repE0EEENS1_30default_config_static_selectorELNS0_4arch9wavefront6targetE1EEEvT1_
    .private_segment_fixed_size: 0
    .sgpr_count:     6
    .sgpr_spill_count: 0
    .symbol:         _ZN7rocprim17ROCPRIM_400000_NS6detail17trampoline_kernelINS0_14default_configENS1_25partition_config_selectorILNS1_17partition_subalgoE3EiNS0_10empty_typeEbEEZZNS1_14partition_implILS5_3ELb0ES3_jN6thrust23THRUST_200600_302600_NS6detail15normal_iteratorINSA_7pointerIiNSA_11hip_rocprim5par_tENSA_11use_defaultESG_EEEEPS6_SJ_NS0_5tupleIJPiSJ_EEENSK_IJSJ_SJ_EEES6_PlJ7is_evenIiEEEE10hipError_tPvRmT3_T4_T5_T6_T7_T9_mT8_P12ihipStream_tbDpT10_ENKUlT_T0_E_clISt17integral_constantIbLb1EES19_IbLb0EEEEDaS15_S16_EUlS15_E_NS1_11comp_targetILNS1_3genE3ELNS1_11target_archE908ELNS1_3gpuE7ELNS1_3repE0EEENS1_30default_config_static_selectorELNS0_4arch9wavefront6targetE1EEEvT1_.kd
    .uniform_work_group_size: 1
    .uses_dynamic_stack: false
    .vgpr_count:     0
    .vgpr_spill_count: 0
    .wavefront_size: 64
  - .agpr_count:     0
    .args:
      - .offset:         0
        .size:           120
        .value_kind:     by_value
    .group_segment_fixed_size: 0
    .kernarg_segment_align: 8
    .kernarg_segment_size: 120
    .language:       OpenCL C
    .language_version:
      - 2
      - 0
    .max_flat_workgroup_size: 192
    .name:           _ZN7rocprim17ROCPRIM_400000_NS6detail17trampoline_kernelINS0_14default_configENS1_25partition_config_selectorILNS1_17partition_subalgoE3EiNS0_10empty_typeEbEEZZNS1_14partition_implILS5_3ELb0ES3_jN6thrust23THRUST_200600_302600_NS6detail15normal_iteratorINSA_7pointerIiNSA_11hip_rocprim5par_tENSA_11use_defaultESG_EEEEPS6_SJ_NS0_5tupleIJPiSJ_EEENSK_IJSJ_SJ_EEES6_PlJ7is_evenIiEEEE10hipError_tPvRmT3_T4_T5_T6_T7_T9_mT8_P12ihipStream_tbDpT10_ENKUlT_T0_E_clISt17integral_constantIbLb1EES19_IbLb0EEEEDaS15_S16_EUlS15_E_NS1_11comp_targetILNS1_3genE2ELNS1_11target_archE906ELNS1_3gpuE6ELNS1_3repE0EEENS1_30default_config_static_selectorELNS0_4arch9wavefront6targetE1EEEvT1_
    .private_segment_fixed_size: 0
    .sgpr_count:     6
    .sgpr_spill_count: 0
    .symbol:         _ZN7rocprim17ROCPRIM_400000_NS6detail17trampoline_kernelINS0_14default_configENS1_25partition_config_selectorILNS1_17partition_subalgoE3EiNS0_10empty_typeEbEEZZNS1_14partition_implILS5_3ELb0ES3_jN6thrust23THRUST_200600_302600_NS6detail15normal_iteratorINSA_7pointerIiNSA_11hip_rocprim5par_tENSA_11use_defaultESG_EEEEPS6_SJ_NS0_5tupleIJPiSJ_EEENSK_IJSJ_SJ_EEES6_PlJ7is_evenIiEEEE10hipError_tPvRmT3_T4_T5_T6_T7_T9_mT8_P12ihipStream_tbDpT10_ENKUlT_T0_E_clISt17integral_constantIbLb1EES19_IbLb0EEEEDaS15_S16_EUlS15_E_NS1_11comp_targetILNS1_3genE2ELNS1_11target_archE906ELNS1_3gpuE6ELNS1_3repE0EEENS1_30default_config_static_selectorELNS0_4arch9wavefront6targetE1EEEvT1_.kd
    .uniform_work_group_size: 1
    .uses_dynamic_stack: false
    .vgpr_count:     0
    .vgpr_spill_count: 0
    .wavefront_size: 64
  - .agpr_count:     0
    .args:
      - .offset:         0
        .size:           120
        .value_kind:     by_value
    .group_segment_fixed_size: 0
    .kernarg_segment_align: 8
    .kernarg_segment_size: 120
    .language:       OpenCL C
    .language_version:
      - 2
      - 0
    .max_flat_workgroup_size: 384
    .name:           _ZN7rocprim17ROCPRIM_400000_NS6detail17trampoline_kernelINS0_14default_configENS1_25partition_config_selectorILNS1_17partition_subalgoE3EiNS0_10empty_typeEbEEZZNS1_14partition_implILS5_3ELb0ES3_jN6thrust23THRUST_200600_302600_NS6detail15normal_iteratorINSA_7pointerIiNSA_11hip_rocprim5par_tENSA_11use_defaultESG_EEEEPS6_SJ_NS0_5tupleIJPiSJ_EEENSK_IJSJ_SJ_EEES6_PlJ7is_evenIiEEEE10hipError_tPvRmT3_T4_T5_T6_T7_T9_mT8_P12ihipStream_tbDpT10_ENKUlT_T0_E_clISt17integral_constantIbLb1EES19_IbLb0EEEEDaS15_S16_EUlS15_E_NS1_11comp_targetILNS1_3genE10ELNS1_11target_archE1200ELNS1_3gpuE4ELNS1_3repE0EEENS1_30default_config_static_selectorELNS0_4arch9wavefront6targetE1EEEvT1_
    .private_segment_fixed_size: 0
    .sgpr_count:     6
    .sgpr_spill_count: 0
    .symbol:         _ZN7rocprim17ROCPRIM_400000_NS6detail17trampoline_kernelINS0_14default_configENS1_25partition_config_selectorILNS1_17partition_subalgoE3EiNS0_10empty_typeEbEEZZNS1_14partition_implILS5_3ELb0ES3_jN6thrust23THRUST_200600_302600_NS6detail15normal_iteratorINSA_7pointerIiNSA_11hip_rocprim5par_tENSA_11use_defaultESG_EEEEPS6_SJ_NS0_5tupleIJPiSJ_EEENSK_IJSJ_SJ_EEES6_PlJ7is_evenIiEEEE10hipError_tPvRmT3_T4_T5_T6_T7_T9_mT8_P12ihipStream_tbDpT10_ENKUlT_T0_E_clISt17integral_constantIbLb1EES19_IbLb0EEEEDaS15_S16_EUlS15_E_NS1_11comp_targetILNS1_3genE10ELNS1_11target_archE1200ELNS1_3gpuE4ELNS1_3repE0EEENS1_30default_config_static_selectorELNS0_4arch9wavefront6targetE1EEEvT1_.kd
    .uniform_work_group_size: 1
    .uses_dynamic_stack: false
    .vgpr_count:     0
    .vgpr_spill_count: 0
    .wavefront_size: 64
  - .agpr_count:     0
    .args:
      - .offset:         0
        .size:           120
        .value_kind:     by_value
    .group_segment_fixed_size: 0
    .kernarg_segment_align: 8
    .kernarg_segment_size: 120
    .language:       OpenCL C
    .language_version:
      - 2
      - 0
    .max_flat_workgroup_size: 384
    .name:           _ZN7rocprim17ROCPRIM_400000_NS6detail17trampoline_kernelINS0_14default_configENS1_25partition_config_selectorILNS1_17partition_subalgoE3EiNS0_10empty_typeEbEEZZNS1_14partition_implILS5_3ELb0ES3_jN6thrust23THRUST_200600_302600_NS6detail15normal_iteratorINSA_7pointerIiNSA_11hip_rocprim5par_tENSA_11use_defaultESG_EEEEPS6_SJ_NS0_5tupleIJPiSJ_EEENSK_IJSJ_SJ_EEES6_PlJ7is_evenIiEEEE10hipError_tPvRmT3_T4_T5_T6_T7_T9_mT8_P12ihipStream_tbDpT10_ENKUlT_T0_E_clISt17integral_constantIbLb1EES19_IbLb0EEEEDaS15_S16_EUlS15_E_NS1_11comp_targetILNS1_3genE9ELNS1_11target_archE1100ELNS1_3gpuE3ELNS1_3repE0EEENS1_30default_config_static_selectorELNS0_4arch9wavefront6targetE1EEEvT1_
    .private_segment_fixed_size: 0
    .sgpr_count:     6
    .sgpr_spill_count: 0
    .symbol:         _ZN7rocprim17ROCPRIM_400000_NS6detail17trampoline_kernelINS0_14default_configENS1_25partition_config_selectorILNS1_17partition_subalgoE3EiNS0_10empty_typeEbEEZZNS1_14partition_implILS5_3ELb0ES3_jN6thrust23THRUST_200600_302600_NS6detail15normal_iteratorINSA_7pointerIiNSA_11hip_rocprim5par_tENSA_11use_defaultESG_EEEEPS6_SJ_NS0_5tupleIJPiSJ_EEENSK_IJSJ_SJ_EEES6_PlJ7is_evenIiEEEE10hipError_tPvRmT3_T4_T5_T6_T7_T9_mT8_P12ihipStream_tbDpT10_ENKUlT_T0_E_clISt17integral_constantIbLb1EES19_IbLb0EEEEDaS15_S16_EUlS15_E_NS1_11comp_targetILNS1_3genE9ELNS1_11target_archE1100ELNS1_3gpuE3ELNS1_3repE0EEENS1_30default_config_static_selectorELNS0_4arch9wavefront6targetE1EEEvT1_.kd
    .uniform_work_group_size: 1
    .uses_dynamic_stack: false
    .vgpr_count:     0
    .vgpr_spill_count: 0
    .wavefront_size: 64
  - .agpr_count:     0
    .args:
      - .offset:         0
        .size:           120
        .value_kind:     by_value
    .group_segment_fixed_size: 0
    .kernarg_segment_align: 8
    .kernarg_segment_size: 120
    .language:       OpenCL C
    .language_version:
      - 2
      - 0
    .max_flat_workgroup_size: 512
    .name:           _ZN7rocprim17ROCPRIM_400000_NS6detail17trampoline_kernelINS0_14default_configENS1_25partition_config_selectorILNS1_17partition_subalgoE3EiNS0_10empty_typeEbEEZZNS1_14partition_implILS5_3ELb0ES3_jN6thrust23THRUST_200600_302600_NS6detail15normal_iteratorINSA_7pointerIiNSA_11hip_rocprim5par_tENSA_11use_defaultESG_EEEEPS6_SJ_NS0_5tupleIJPiSJ_EEENSK_IJSJ_SJ_EEES6_PlJ7is_evenIiEEEE10hipError_tPvRmT3_T4_T5_T6_T7_T9_mT8_P12ihipStream_tbDpT10_ENKUlT_T0_E_clISt17integral_constantIbLb1EES19_IbLb0EEEEDaS15_S16_EUlS15_E_NS1_11comp_targetILNS1_3genE8ELNS1_11target_archE1030ELNS1_3gpuE2ELNS1_3repE0EEENS1_30default_config_static_selectorELNS0_4arch9wavefront6targetE1EEEvT1_
    .private_segment_fixed_size: 0
    .sgpr_count:     6
    .sgpr_spill_count: 0
    .symbol:         _ZN7rocprim17ROCPRIM_400000_NS6detail17trampoline_kernelINS0_14default_configENS1_25partition_config_selectorILNS1_17partition_subalgoE3EiNS0_10empty_typeEbEEZZNS1_14partition_implILS5_3ELb0ES3_jN6thrust23THRUST_200600_302600_NS6detail15normal_iteratorINSA_7pointerIiNSA_11hip_rocprim5par_tENSA_11use_defaultESG_EEEEPS6_SJ_NS0_5tupleIJPiSJ_EEENSK_IJSJ_SJ_EEES6_PlJ7is_evenIiEEEE10hipError_tPvRmT3_T4_T5_T6_T7_T9_mT8_P12ihipStream_tbDpT10_ENKUlT_T0_E_clISt17integral_constantIbLb1EES19_IbLb0EEEEDaS15_S16_EUlS15_E_NS1_11comp_targetILNS1_3genE8ELNS1_11target_archE1030ELNS1_3gpuE2ELNS1_3repE0EEENS1_30default_config_static_selectorELNS0_4arch9wavefront6targetE1EEEvT1_.kd
    .uniform_work_group_size: 1
    .uses_dynamic_stack: false
    .vgpr_count:     0
    .vgpr_spill_count: 0
    .wavefront_size: 64
  - .agpr_count:     0
    .args:
      - .offset:         0
        .size:           136
        .value_kind:     by_value
    .group_segment_fixed_size: 0
    .kernarg_segment_align: 8
    .kernarg_segment_size: 136
    .language:       OpenCL C
    .language_version:
      - 2
      - 0
    .max_flat_workgroup_size: 256
    .name:           _ZN7rocprim17ROCPRIM_400000_NS6detail17trampoline_kernelINS0_14default_configENS1_25partition_config_selectorILNS1_17partition_subalgoE3EiNS0_10empty_typeEbEEZZNS1_14partition_implILS5_3ELb0ES3_jN6thrust23THRUST_200600_302600_NS6detail15normal_iteratorINSA_7pointerIiNSA_11hip_rocprim5par_tENSA_11use_defaultESG_EEEEPS6_SJ_NS0_5tupleIJPiSJ_EEENSK_IJSJ_SJ_EEES6_PlJ7is_evenIiEEEE10hipError_tPvRmT3_T4_T5_T6_T7_T9_mT8_P12ihipStream_tbDpT10_ENKUlT_T0_E_clISt17integral_constantIbLb0EES19_IbLb1EEEEDaS15_S16_EUlS15_E_NS1_11comp_targetILNS1_3genE0ELNS1_11target_archE4294967295ELNS1_3gpuE0ELNS1_3repE0EEENS1_30default_config_static_selectorELNS0_4arch9wavefront6targetE1EEEvT1_
    .private_segment_fixed_size: 0
    .sgpr_count:     6
    .sgpr_spill_count: 0
    .symbol:         _ZN7rocprim17ROCPRIM_400000_NS6detail17trampoline_kernelINS0_14default_configENS1_25partition_config_selectorILNS1_17partition_subalgoE3EiNS0_10empty_typeEbEEZZNS1_14partition_implILS5_3ELb0ES3_jN6thrust23THRUST_200600_302600_NS6detail15normal_iteratorINSA_7pointerIiNSA_11hip_rocprim5par_tENSA_11use_defaultESG_EEEEPS6_SJ_NS0_5tupleIJPiSJ_EEENSK_IJSJ_SJ_EEES6_PlJ7is_evenIiEEEE10hipError_tPvRmT3_T4_T5_T6_T7_T9_mT8_P12ihipStream_tbDpT10_ENKUlT_T0_E_clISt17integral_constantIbLb0EES19_IbLb1EEEEDaS15_S16_EUlS15_E_NS1_11comp_targetILNS1_3genE0ELNS1_11target_archE4294967295ELNS1_3gpuE0ELNS1_3repE0EEENS1_30default_config_static_selectorELNS0_4arch9wavefront6targetE1EEEvT1_.kd
    .uniform_work_group_size: 1
    .uses_dynamic_stack: false
    .vgpr_count:     0
    .vgpr_spill_count: 0
    .wavefront_size: 64
  - .agpr_count:     0
    .args:
      - .offset:         0
        .size:           136
        .value_kind:     by_value
    .group_segment_fixed_size: 30728
    .kernarg_segment_align: 8
    .kernarg_segment_size: 136
    .language:       OpenCL C
    .language_version:
      - 2
      - 0
    .max_flat_workgroup_size: 512
    .name:           _ZN7rocprim17ROCPRIM_400000_NS6detail17trampoline_kernelINS0_14default_configENS1_25partition_config_selectorILNS1_17partition_subalgoE3EiNS0_10empty_typeEbEEZZNS1_14partition_implILS5_3ELb0ES3_jN6thrust23THRUST_200600_302600_NS6detail15normal_iteratorINSA_7pointerIiNSA_11hip_rocprim5par_tENSA_11use_defaultESG_EEEEPS6_SJ_NS0_5tupleIJPiSJ_EEENSK_IJSJ_SJ_EEES6_PlJ7is_evenIiEEEE10hipError_tPvRmT3_T4_T5_T6_T7_T9_mT8_P12ihipStream_tbDpT10_ENKUlT_T0_E_clISt17integral_constantIbLb0EES19_IbLb1EEEEDaS15_S16_EUlS15_E_NS1_11comp_targetILNS1_3genE5ELNS1_11target_archE942ELNS1_3gpuE9ELNS1_3repE0EEENS1_30default_config_static_selectorELNS0_4arch9wavefront6targetE1EEEvT1_
    .private_segment_fixed_size: 0
    .sgpr_count:     50
    .sgpr_spill_count: 0
    .symbol:         _ZN7rocprim17ROCPRIM_400000_NS6detail17trampoline_kernelINS0_14default_configENS1_25partition_config_selectorILNS1_17partition_subalgoE3EiNS0_10empty_typeEbEEZZNS1_14partition_implILS5_3ELb0ES3_jN6thrust23THRUST_200600_302600_NS6detail15normal_iteratorINSA_7pointerIiNSA_11hip_rocprim5par_tENSA_11use_defaultESG_EEEEPS6_SJ_NS0_5tupleIJPiSJ_EEENSK_IJSJ_SJ_EEES6_PlJ7is_evenIiEEEE10hipError_tPvRmT3_T4_T5_T6_T7_T9_mT8_P12ihipStream_tbDpT10_ENKUlT_T0_E_clISt17integral_constantIbLb0EES19_IbLb1EEEEDaS15_S16_EUlS15_E_NS1_11comp_targetILNS1_3genE5ELNS1_11target_archE942ELNS1_3gpuE9ELNS1_3repE0EEENS1_30default_config_static_selectorELNS0_4arch9wavefront6targetE1EEEvT1_.kd
    .uniform_work_group_size: 1
    .uses_dynamic_stack: false
    .vgpr_count:     80
    .vgpr_spill_count: 0
    .wavefront_size: 64
  - .agpr_count:     0
    .args:
      - .offset:         0
        .size:           136
        .value_kind:     by_value
    .group_segment_fixed_size: 0
    .kernarg_segment_align: 8
    .kernarg_segment_size: 136
    .language:       OpenCL C
    .language_version:
      - 2
      - 0
    .max_flat_workgroup_size: 256
    .name:           _ZN7rocprim17ROCPRIM_400000_NS6detail17trampoline_kernelINS0_14default_configENS1_25partition_config_selectorILNS1_17partition_subalgoE3EiNS0_10empty_typeEbEEZZNS1_14partition_implILS5_3ELb0ES3_jN6thrust23THRUST_200600_302600_NS6detail15normal_iteratorINSA_7pointerIiNSA_11hip_rocprim5par_tENSA_11use_defaultESG_EEEEPS6_SJ_NS0_5tupleIJPiSJ_EEENSK_IJSJ_SJ_EEES6_PlJ7is_evenIiEEEE10hipError_tPvRmT3_T4_T5_T6_T7_T9_mT8_P12ihipStream_tbDpT10_ENKUlT_T0_E_clISt17integral_constantIbLb0EES19_IbLb1EEEEDaS15_S16_EUlS15_E_NS1_11comp_targetILNS1_3genE4ELNS1_11target_archE910ELNS1_3gpuE8ELNS1_3repE0EEENS1_30default_config_static_selectorELNS0_4arch9wavefront6targetE1EEEvT1_
    .private_segment_fixed_size: 0
    .sgpr_count:     6
    .sgpr_spill_count: 0
    .symbol:         _ZN7rocprim17ROCPRIM_400000_NS6detail17trampoline_kernelINS0_14default_configENS1_25partition_config_selectorILNS1_17partition_subalgoE3EiNS0_10empty_typeEbEEZZNS1_14partition_implILS5_3ELb0ES3_jN6thrust23THRUST_200600_302600_NS6detail15normal_iteratorINSA_7pointerIiNSA_11hip_rocprim5par_tENSA_11use_defaultESG_EEEEPS6_SJ_NS0_5tupleIJPiSJ_EEENSK_IJSJ_SJ_EEES6_PlJ7is_evenIiEEEE10hipError_tPvRmT3_T4_T5_T6_T7_T9_mT8_P12ihipStream_tbDpT10_ENKUlT_T0_E_clISt17integral_constantIbLb0EES19_IbLb1EEEEDaS15_S16_EUlS15_E_NS1_11comp_targetILNS1_3genE4ELNS1_11target_archE910ELNS1_3gpuE8ELNS1_3repE0EEENS1_30default_config_static_selectorELNS0_4arch9wavefront6targetE1EEEvT1_.kd
    .uniform_work_group_size: 1
    .uses_dynamic_stack: false
    .vgpr_count:     0
    .vgpr_spill_count: 0
    .wavefront_size: 64
  - .agpr_count:     0
    .args:
      - .offset:         0
        .size:           136
        .value_kind:     by_value
    .group_segment_fixed_size: 0
    .kernarg_segment_align: 8
    .kernarg_segment_size: 136
    .language:       OpenCL C
    .language_version:
      - 2
      - 0
    .max_flat_workgroup_size: 256
    .name:           _ZN7rocprim17ROCPRIM_400000_NS6detail17trampoline_kernelINS0_14default_configENS1_25partition_config_selectorILNS1_17partition_subalgoE3EiNS0_10empty_typeEbEEZZNS1_14partition_implILS5_3ELb0ES3_jN6thrust23THRUST_200600_302600_NS6detail15normal_iteratorINSA_7pointerIiNSA_11hip_rocprim5par_tENSA_11use_defaultESG_EEEEPS6_SJ_NS0_5tupleIJPiSJ_EEENSK_IJSJ_SJ_EEES6_PlJ7is_evenIiEEEE10hipError_tPvRmT3_T4_T5_T6_T7_T9_mT8_P12ihipStream_tbDpT10_ENKUlT_T0_E_clISt17integral_constantIbLb0EES19_IbLb1EEEEDaS15_S16_EUlS15_E_NS1_11comp_targetILNS1_3genE3ELNS1_11target_archE908ELNS1_3gpuE7ELNS1_3repE0EEENS1_30default_config_static_selectorELNS0_4arch9wavefront6targetE1EEEvT1_
    .private_segment_fixed_size: 0
    .sgpr_count:     6
    .sgpr_spill_count: 0
    .symbol:         _ZN7rocprim17ROCPRIM_400000_NS6detail17trampoline_kernelINS0_14default_configENS1_25partition_config_selectorILNS1_17partition_subalgoE3EiNS0_10empty_typeEbEEZZNS1_14partition_implILS5_3ELb0ES3_jN6thrust23THRUST_200600_302600_NS6detail15normal_iteratorINSA_7pointerIiNSA_11hip_rocprim5par_tENSA_11use_defaultESG_EEEEPS6_SJ_NS0_5tupleIJPiSJ_EEENSK_IJSJ_SJ_EEES6_PlJ7is_evenIiEEEE10hipError_tPvRmT3_T4_T5_T6_T7_T9_mT8_P12ihipStream_tbDpT10_ENKUlT_T0_E_clISt17integral_constantIbLb0EES19_IbLb1EEEEDaS15_S16_EUlS15_E_NS1_11comp_targetILNS1_3genE3ELNS1_11target_archE908ELNS1_3gpuE7ELNS1_3repE0EEENS1_30default_config_static_selectorELNS0_4arch9wavefront6targetE1EEEvT1_.kd
    .uniform_work_group_size: 1
    .uses_dynamic_stack: false
    .vgpr_count:     0
    .vgpr_spill_count: 0
    .wavefront_size: 64
  - .agpr_count:     0
    .args:
      - .offset:         0
        .size:           136
        .value_kind:     by_value
    .group_segment_fixed_size: 0
    .kernarg_segment_align: 8
    .kernarg_segment_size: 136
    .language:       OpenCL C
    .language_version:
      - 2
      - 0
    .max_flat_workgroup_size: 192
    .name:           _ZN7rocprim17ROCPRIM_400000_NS6detail17trampoline_kernelINS0_14default_configENS1_25partition_config_selectorILNS1_17partition_subalgoE3EiNS0_10empty_typeEbEEZZNS1_14partition_implILS5_3ELb0ES3_jN6thrust23THRUST_200600_302600_NS6detail15normal_iteratorINSA_7pointerIiNSA_11hip_rocprim5par_tENSA_11use_defaultESG_EEEEPS6_SJ_NS0_5tupleIJPiSJ_EEENSK_IJSJ_SJ_EEES6_PlJ7is_evenIiEEEE10hipError_tPvRmT3_T4_T5_T6_T7_T9_mT8_P12ihipStream_tbDpT10_ENKUlT_T0_E_clISt17integral_constantIbLb0EES19_IbLb1EEEEDaS15_S16_EUlS15_E_NS1_11comp_targetILNS1_3genE2ELNS1_11target_archE906ELNS1_3gpuE6ELNS1_3repE0EEENS1_30default_config_static_selectorELNS0_4arch9wavefront6targetE1EEEvT1_
    .private_segment_fixed_size: 0
    .sgpr_count:     6
    .sgpr_spill_count: 0
    .symbol:         _ZN7rocprim17ROCPRIM_400000_NS6detail17trampoline_kernelINS0_14default_configENS1_25partition_config_selectorILNS1_17partition_subalgoE3EiNS0_10empty_typeEbEEZZNS1_14partition_implILS5_3ELb0ES3_jN6thrust23THRUST_200600_302600_NS6detail15normal_iteratorINSA_7pointerIiNSA_11hip_rocprim5par_tENSA_11use_defaultESG_EEEEPS6_SJ_NS0_5tupleIJPiSJ_EEENSK_IJSJ_SJ_EEES6_PlJ7is_evenIiEEEE10hipError_tPvRmT3_T4_T5_T6_T7_T9_mT8_P12ihipStream_tbDpT10_ENKUlT_T0_E_clISt17integral_constantIbLb0EES19_IbLb1EEEEDaS15_S16_EUlS15_E_NS1_11comp_targetILNS1_3genE2ELNS1_11target_archE906ELNS1_3gpuE6ELNS1_3repE0EEENS1_30default_config_static_selectorELNS0_4arch9wavefront6targetE1EEEvT1_.kd
    .uniform_work_group_size: 1
    .uses_dynamic_stack: false
    .vgpr_count:     0
    .vgpr_spill_count: 0
    .wavefront_size: 64
  - .agpr_count:     0
    .args:
      - .offset:         0
        .size:           136
        .value_kind:     by_value
    .group_segment_fixed_size: 0
    .kernarg_segment_align: 8
    .kernarg_segment_size: 136
    .language:       OpenCL C
    .language_version:
      - 2
      - 0
    .max_flat_workgroup_size: 384
    .name:           _ZN7rocprim17ROCPRIM_400000_NS6detail17trampoline_kernelINS0_14default_configENS1_25partition_config_selectorILNS1_17partition_subalgoE3EiNS0_10empty_typeEbEEZZNS1_14partition_implILS5_3ELb0ES3_jN6thrust23THRUST_200600_302600_NS6detail15normal_iteratorINSA_7pointerIiNSA_11hip_rocprim5par_tENSA_11use_defaultESG_EEEEPS6_SJ_NS0_5tupleIJPiSJ_EEENSK_IJSJ_SJ_EEES6_PlJ7is_evenIiEEEE10hipError_tPvRmT3_T4_T5_T6_T7_T9_mT8_P12ihipStream_tbDpT10_ENKUlT_T0_E_clISt17integral_constantIbLb0EES19_IbLb1EEEEDaS15_S16_EUlS15_E_NS1_11comp_targetILNS1_3genE10ELNS1_11target_archE1200ELNS1_3gpuE4ELNS1_3repE0EEENS1_30default_config_static_selectorELNS0_4arch9wavefront6targetE1EEEvT1_
    .private_segment_fixed_size: 0
    .sgpr_count:     6
    .sgpr_spill_count: 0
    .symbol:         _ZN7rocprim17ROCPRIM_400000_NS6detail17trampoline_kernelINS0_14default_configENS1_25partition_config_selectorILNS1_17partition_subalgoE3EiNS0_10empty_typeEbEEZZNS1_14partition_implILS5_3ELb0ES3_jN6thrust23THRUST_200600_302600_NS6detail15normal_iteratorINSA_7pointerIiNSA_11hip_rocprim5par_tENSA_11use_defaultESG_EEEEPS6_SJ_NS0_5tupleIJPiSJ_EEENSK_IJSJ_SJ_EEES6_PlJ7is_evenIiEEEE10hipError_tPvRmT3_T4_T5_T6_T7_T9_mT8_P12ihipStream_tbDpT10_ENKUlT_T0_E_clISt17integral_constantIbLb0EES19_IbLb1EEEEDaS15_S16_EUlS15_E_NS1_11comp_targetILNS1_3genE10ELNS1_11target_archE1200ELNS1_3gpuE4ELNS1_3repE0EEENS1_30default_config_static_selectorELNS0_4arch9wavefront6targetE1EEEvT1_.kd
    .uniform_work_group_size: 1
    .uses_dynamic_stack: false
    .vgpr_count:     0
    .vgpr_spill_count: 0
    .wavefront_size: 64
  - .agpr_count:     0
    .args:
      - .offset:         0
        .size:           136
        .value_kind:     by_value
    .group_segment_fixed_size: 0
    .kernarg_segment_align: 8
    .kernarg_segment_size: 136
    .language:       OpenCL C
    .language_version:
      - 2
      - 0
    .max_flat_workgroup_size: 384
    .name:           _ZN7rocprim17ROCPRIM_400000_NS6detail17trampoline_kernelINS0_14default_configENS1_25partition_config_selectorILNS1_17partition_subalgoE3EiNS0_10empty_typeEbEEZZNS1_14partition_implILS5_3ELb0ES3_jN6thrust23THRUST_200600_302600_NS6detail15normal_iteratorINSA_7pointerIiNSA_11hip_rocprim5par_tENSA_11use_defaultESG_EEEEPS6_SJ_NS0_5tupleIJPiSJ_EEENSK_IJSJ_SJ_EEES6_PlJ7is_evenIiEEEE10hipError_tPvRmT3_T4_T5_T6_T7_T9_mT8_P12ihipStream_tbDpT10_ENKUlT_T0_E_clISt17integral_constantIbLb0EES19_IbLb1EEEEDaS15_S16_EUlS15_E_NS1_11comp_targetILNS1_3genE9ELNS1_11target_archE1100ELNS1_3gpuE3ELNS1_3repE0EEENS1_30default_config_static_selectorELNS0_4arch9wavefront6targetE1EEEvT1_
    .private_segment_fixed_size: 0
    .sgpr_count:     6
    .sgpr_spill_count: 0
    .symbol:         _ZN7rocprim17ROCPRIM_400000_NS6detail17trampoline_kernelINS0_14default_configENS1_25partition_config_selectorILNS1_17partition_subalgoE3EiNS0_10empty_typeEbEEZZNS1_14partition_implILS5_3ELb0ES3_jN6thrust23THRUST_200600_302600_NS6detail15normal_iteratorINSA_7pointerIiNSA_11hip_rocprim5par_tENSA_11use_defaultESG_EEEEPS6_SJ_NS0_5tupleIJPiSJ_EEENSK_IJSJ_SJ_EEES6_PlJ7is_evenIiEEEE10hipError_tPvRmT3_T4_T5_T6_T7_T9_mT8_P12ihipStream_tbDpT10_ENKUlT_T0_E_clISt17integral_constantIbLb0EES19_IbLb1EEEEDaS15_S16_EUlS15_E_NS1_11comp_targetILNS1_3genE9ELNS1_11target_archE1100ELNS1_3gpuE3ELNS1_3repE0EEENS1_30default_config_static_selectorELNS0_4arch9wavefront6targetE1EEEvT1_.kd
    .uniform_work_group_size: 1
    .uses_dynamic_stack: false
    .vgpr_count:     0
    .vgpr_spill_count: 0
    .wavefront_size: 64
  - .agpr_count:     0
    .args:
      - .offset:         0
        .size:           136
        .value_kind:     by_value
    .group_segment_fixed_size: 0
    .kernarg_segment_align: 8
    .kernarg_segment_size: 136
    .language:       OpenCL C
    .language_version:
      - 2
      - 0
    .max_flat_workgroup_size: 512
    .name:           _ZN7rocprim17ROCPRIM_400000_NS6detail17trampoline_kernelINS0_14default_configENS1_25partition_config_selectorILNS1_17partition_subalgoE3EiNS0_10empty_typeEbEEZZNS1_14partition_implILS5_3ELb0ES3_jN6thrust23THRUST_200600_302600_NS6detail15normal_iteratorINSA_7pointerIiNSA_11hip_rocprim5par_tENSA_11use_defaultESG_EEEEPS6_SJ_NS0_5tupleIJPiSJ_EEENSK_IJSJ_SJ_EEES6_PlJ7is_evenIiEEEE10hipError_tPvRmT3_T4_T5_T6_T7_T9_mT8_P12ihipStream_tbDpT10_ENKUlT_T0_E_clISt17integral_constantIbLb0EES19_IbLb1EEEEDaS15_S16_EUlS15_E_NS1_11comp_targetILNS1_3genE8ELNS1_11target_archE1030ELNS1_3gpuE2ELNS1_3repE0EEENS1_30default_config_static_selectorELNS0_4arch9wavefront6targetE1EEEvT1_
    .private_segment_fixed_size: 0
    .sgpr_count:     6
    .sgpr_spill_count: 0
    .symbol:         _ZN7rocprim17ROCPRIM_400000_NS6detail17trampoline_kernelINS0_14default_configENS1_25partition_config_selectorILNS1_17partition_subalgoE3EiNS0_10empty_typeEbEEZZNS1_14partition_implILS5_3ELb0ES3_jN6thrust23THRUST_200600_302600_NS6detail15normal_iteratorINSA_7pointerIiNSA_11hip_rocprim5par_tENSA_11use_defaultESG_EEEEPS6_SJ_NS0_5tupleIJPiSJ_EEENSK_IJSJ_SJ_EEES6_PlJ7is_evenIiEEEE10hipError_tPvRmT3_T4_T5_T6_T7_T9_mT8_P12ihipStream_tbDpT10_ENKUlT_T0_E_clISt17integral_constantIbLb0EES19_IbLb1EEEEDaS15_S16_EUlS15_E_NS1_11comp_targetILNS1_3genE8ELNS1_11target_archE1030ELNS1_3gpuE2ELNS1_3repE0EEENS1_30default_config_static_selectorELNS0_4arch9wavefront6targetE1EEEvT1_.kd
    .uniform_work_group_size: 1
    .uses_dynamic_stack: false
    .vgpr_count:     0
    .vgpr_spill_count: 0
    .wavefront_size: 64
  - .agpr_count:     0
    .args:
      - .offset:         0
        .size:           120
        .value_kind:     by_value
    .group_segment_fixed_size: 0
    .kernarg_segment_align: 8
    .kernarg_segment_size: 120
    .language:       OpenCL C
    .language_version:
      - 2
      - 0
    .max_flat_workgroup_size: 256
    .name:           _ZN7rocprim17ROCPRIM_400000_NS6detail17trampoline_kernelINS0_14default_configENS1_25partition_config_selectorILNS1_17partition_subalgoE0EiNS0_10empty_typeEbEEZZNS1_14partition_implILS5_0ELb0ES3_jN6thrust23THRUST_200600_302600_NS10device_ptrIiEEPS6_SD_NS0_5tupleIJSC_SC_EEENSE_IJSD_SD_EEES6_PlJ7is_evenIiEEEE10hipError_tPvRmT3_T4_T5_T6_T7_T9_mT8_P12ihipStream_tbDpT10_ENKUlT_T0_E_clISt17integral_constantIbLb0EES13_EEDaSY_SZ_EUlSY_E_NS1_11comp_targetILNS1_3genE0ELNS1_11target_archE4294967295ELNS1_3gpuE0ELNS1_3repE0EEENS1_30default_config_static_selectorELNS0_4arch9wavefront6targetE1EEEvT1_
    .private_segment_fixed_size: 0
    .sgpr_count:     6
    .sgpr_spill_count: 0
    .symbol:         _ZN7rocprim17ROCPRIM_400000_NS6detail17trampoline_kernelINS0_14default_configENS1_25partition_config_selectorILNS1_17partition_subalgoE0EiNS0_10empty_typeEbEEZZNS1_14partition_implILS5_0ELb0ES3_jN6thrust23THRUST_200600_302600_NS10device_ptrIiEEPS6_SD_NS0_5tupleIJSC_SC_EEENSE_IJSD_SD_EEES6_PlJ7is_evenIiEEEE10hipError_tPvRmT3_T4_T5_T6_T7_T9_mT8_P12ihipStream_tbDpT10_ENKUlT_T0_E_clISt17integral_constantIbLb0EES13_EEDaSY_SZ_EUlSY_E_NS1_11comp_targetILNS1_3genE0ELNS1_11target_archE4294967295ELNS1_3gpuE0ELNS1_3repE0EEENS1_30default_config_static_selectorELNS0_4arch9wavefront6targetE1EEEvT1_.kd
    .uniform_work_group_size: 1
    .uses_dynamic_stack: false
    .vgpr_count:     0
    .vgpr_spill_count: 0
    .wavefront_size: 64
  - .agpr_count:     0
    .args:
      - .offset:         0
        .size:           120
        .value_kind:     by_value
    .group_segment_fixed_size: 30728
    .kernarg_segment_align: 8
    .kernarg_segment_size: 120
    .language:       OpenCL C
    .language_version:
      - 2
      - 0
    .max_flat_workgroup_size: 512
    .name:           _ZN7rocprim17ROCPRIM_400000_NS6detail17trampoline_kernelINS0_14default_configENS1_25partition_config_selectorILNS1_17partition_subalgoE0EiNS0_10empty_typeEbEEZZNS1_14partition_implILS5_0ELb0ES3_jN6thrust23THRUST_200600_302600_NS10device_ptrIiEEPS6_SD_NS0_5tupleIJSC_SC_EEENSE_IJSD_SD_EEES6_PlJ7is_evenIiEEEE10hipError_tPvRmT3_T4_T5_T6_T7_T9_mT8_P12ihipStream_tbDpT10_ENKUlT_T0_E_clISt17integral_constantIbLb0EES13_EEDaSY_SZ_EUlSY_E_NS1_11comp_targetILNS1_3genE5ELNS1_11target_archE942ELNS1_3gpuE9ELNS1_3repE0EEENS1_30default_config_static_selectorELNS0_4arch9wavefront6targetE1EEEvT1_
    .private_segment_fixed_size: 0
    .sgpr_count:     50
    .sgpr_spill_count: 0
    .symbol:         _ZN7rocprim17ROCPRIM_400000_NS6detail17trampoline_kernelINS0_14default_configENS1_25partition_config_selectorILNS1_17partition_subalgoE0EiNS0_10empty_typeEbEEZZNS1_14partition_implILS5_0ELb0ES3_jN6thrust23THRUST_200600_302600_NS10device_ptrIiEEPS6_SD_NS0_5tupleIJSC_SC_EEENSE_IJSD_SD_EEES6_PlJ7is_evenIiEEEE10hipError_tPvRmT3_T4_T5_T6_T7_T9_mT8_P12ihipStream_tbDpT10_ENKUlT_T0_E_clISt17integral_constantIbLb0EES13_EEDaSY_SZ_EUlSY_E_NS1_11comp_targetILNS1_3genE5ELNS1_11target_archE942ELNS1_3gpuE9ELNS1_3repE0EEENS1_30default_config_static_selectorELNS0_4arch9wavefront6targetE1EEEvT1_.kd
    .uniform_work_group_size: 1
    .uses_dynamic_stack: false
    .vgpr_count:     76
    .vgpr_spill_count: 0
    .wavefront_size: 64
  - .agpr_count:     0
    .args:
      - .offset:         0
        .size:           120
        .value_kind:     by_value
    .group_segment_fixed_size: 0
    .kernarg_segment_align: 8
    .kernarg_segment_size: 120
    .language:       OpenCL C
    .language_version:
      - 2
      - 0
    .max_flat_workgroup_size: 256
    .name:           _ZN7rocprim17ROCPRIM_400000_NS6detail17trampoline_kernelINS0_14default_configENS1_25partition_config_selectorILNS1_17partition_subalgoE0EiNS0_10empty_typeEbEEZZNS1_14partition_implILS5_0ELb0ES3_jN6thrust23THRUST_200600_302600_NS10device_ptrIiEEPS6_SD_NS0_5tupleIJSC_SC_EEENSE_IJSD_SD_EEES6_PlJ7is_evenIiEEEE10hipError_tPvRmT3_T4_T5_T6_T7_T9_mT8_P12ihipStream_tbDpT10_ENKUlT_T0_E_clISt17integral_constantIbLb0EES13_EEDaSY_SZ_EUlSY_E_NS1_11comp_targetILNS1_3genE4ELNS1_11target_archE910ELNS1_3gpuE8ELNS1_3repE0EEENS1_30default_config_static_selectorELNS0_4arch9wavefront6targetE1EEEvT1_
    .private_segment_fixed_size: 0
    .sgpr_count:     6
    .sgpr_spill_count: 0
    .symbol:         _ZN7rocprim17ROCPRIM_400000_NS6detail17trampoline_kernelINS0_14default_configENS1_25partition_config_selectorILNS1_17partition_subalgoE0EiNS0_10empty_typeEbEEZZNS1_14partition_implILS5_0ELb0ES3_jN6thrust23THRUST_200600_302600_NS10device_ptrIiEEPS6_SD_NS0_5tupleIJSC_SC_EEENSE_IJSD_SD_EEES6_PlJ7is_evenIiEEEE10hipError_tPvRmT3_T4_T5_T6_T7_T9_mT8_P12ihipStream_tbDpT10_ENKUlT_T0_E_clISt17integral_constantIbLb0EES13_EEDaSY_SZ_EUlSY_E_NS1_11comp_targetILNS1_3genE4ELNS1_11target_archE910ELNS1_3gpuE8ELNS1_3repE0EEENS1_30default_config_static_selectorELNS0_4arch9wavefront6targetE1EEEvT1_.kd
    .uniform_work_group_size: 1
    .uses_dynamic_stack: false
    .vgpr_count:     0
    .vgpr_spill_count: 0
    .wavefront_size: 64
  - .agpr_count:     0
    .args:
      - .offset:         0
        .size:           120
        .value_kind:     by_value
    .group_segment_fixed_size: 0
    .kernarg_segment_align: 8
    .kernarg_segment_size: 120
    .language:       OpenCL C
    .language_version:
      - 2
      - 0
    .max_flat_workgroup_size: 256
    .name:           _ZN7rocprim17ROCPRIM_400000_NS6detail17trampoline_kernelINS0_14default_configENS1_25partition_config_selectorILNS1_17partition_subalgoE0EiNS0_10empty_typeEbEEZZNS1_14partition_implILS5_0ELb0ES3_jN6thrust23THRUST_200600_302600_NS10device_ptrIiEEPS6_SD_NS0_5tupleIJSC_SC_EEENSE_IJSD_SD_EEES6_PlJ7is_evenIiEEEE10hipError_tPvRmT3_T4_T5_T6_T7_T9_mT8_P12ihipStream_tbDpT10_ENKUlT_T0_E_clISt17integral_constantIbLb0EES13_EEDaSY_SZ_EUlSY_E_NS1_11comp_targetILNS1_3genE3ELNS1_11target_archE908ELNS1_3gpuE7ELNS1_3repE0EEENS1_30default_config_static_selectorELNS0_4arch9wavefront6targetE1EEEvT1_
    .private_segment_fixed_size: 0
    .sgpr_count:     6
    .sgpr_spill_count: 0
    .symbol:         _ZN7rocprim17ROCPRIM_400000_NS6detail17trampoline_kernelINS0_14default_configENS1_25partition_config_selectorILNS1_17partition_subalgoE0EiNS0_10empty_typeEbEEZZNS1_14partition_implILS5_0ELb0ES3_jN6thrust23THRUST_200600_302600_NS10device_ptrIiEEPS6_SD_NS0_5tupleIJSC_SC_EEENSE_IJSD_SD_EEES6_PlJ7is_evenIiEEEE10hipError_tPvRmT3_T4_T5_T6_T7_T9_mT8_P12ihipStream_tbDpT10_ENKUlT_T0_E_clISt17integral_constantIbLb0EES13_EEDaSY_SZ_EUlSY_E_NS1_11comp_targetILNS1_3genE3ELNS1_11target_archE908ELNS1_3gpuE7ELNS1_3repE0EEENS1_30default_config_static_selectorELNS0_4arch9wavefront6targetE1EEEvT1_.kd
    .uniform_work_group_size: 1
    .uses_dynamic_stack: false
    .vgpr_count:     0
    .vgpr_spill_count: 0
    .wavefront_size: 64
  - .agpr_count:     0
    .args:
      - .offset:         0
        .size:           120
        .value_kind:     by_value
    .group_segment_fixed_size: 0
    .kernarg_segment_align: 8
    .kernarg_segment_size: 120
    .language:       OpenCL C
    .language_version:
      - 2
      - 0
    .max_flat_workgroup_size: 192
    .name:           _ZN7rocprim17ROCPRIM_400000_NS6detail17trampoline_kernelINS0_14default_configENS1_25partition_config_selectorILNS1_17partition_subalgoE0EiNS0_10empty_typeEbEEZZNS1_14partition_implILS5_0ELb0ES3_jN6thrust23THRUST_200600_302600_NS10device_ptrIiEEPS6_SD_NS0_5tupleIJSC_SC_EEENSE_IJSD_SD_EEES6_PlJ7is_evenIiEEEE10hipError_tPvRmT3_T4_T5_T6_T7_T9_mT8_P12ihipStream_tbDpT10_ENKUlT_T0_E_clISt17integral_constantIbLb0EES13_EEDaSY_SZ_EUlSY_E_NS1_11comp_targetILNS1_3genE2ELNS1_11target_archE906ELNS1_3gpuE6ELNS1_3repE0EEENS1_30default_config_static_selectorELNS0_4arch9wavefront6targetE1EEEvT1_
    .private_segment_fixed_size: 0
    .sgpr_count:     6
    .sgpr_spill_count: 0
    .symbol:         _ZN7rocprim17ROCPRIM_400000_NS6detail17trampoline_kernelINS0_14default_configENS1_25partition_config_selectorILNS1_17partition_subalgoE0EiNS0_10empty_typeEbEEZZNS1_14partition_implILS5_0ELb0ES3_jN6thrust23THRUST_200600_302600_NS10device_ptrIiEEPS6_SD_NS0_5tupleIJSC_SC_EEENSE_IJSD_SD_EEES6_PlJ7is_evenIiEEEE10hipError_tPvRmT3_T4_T5_T6_T7_T9_mT8_P12ihipStream_tbDpT10_ENKUlT_T0_E_clISt17integral_constantIbLb0EES13_EEDaSY_SZ_EUlSY_E_NS1_11comp_targetILNS1_3genE2ELNS1_11target_archE906ELNS1_3gpuE6ELNS1_3repE0EEENS1_30default_config_static_selectorELNS0_4arch9wavefront6targetE1EEEvT1_.kd
    .uniform_work_group_size: 1
    .uses_dynamic_stack: false
    .vgpr_count:     0
    .vgpr_spill_count: 0
    .wavefront_size: 64
  - .agpr_count:     0
    .args:
      - .offset:         0
        .size:           120
        .value_kind:     by_value
    .group_segment_fixed_size: 0
    .kernarg_segment_align: 8
    .kernarg_segment_size: 120
    .language:       OpenCL C
    .language_version:
      - 2
      - 0
    .max_flat_workgroup_size: 512
    .name:           _ZN7rocprim17ROCPRIM_400000_NS6detail17trampoline_kernelINS0_14default_configENS1_25partition_config_selectorILNS1_17partition_subalgoE0EiNS0_10empty_typeEbEEZZNS1_14partition_implILS5_0ELb0ES3_jN6thrust23THRUST_200600_302600_NS10device_ptrIiEEPS6_SD_NS0_5tupleIJSC_SC_EEENSE_IJSD_SD_EEES6_PlJ7is_evenIiEEEE10hipError_tPvRmT3_T4_T5_T6_T7_T9_mT8_P12ihipStream_tbDpT10_ENKUlT_T0_E_clISt17integral_constantIbLb0EES13_EEDaSY_SZ_EUlSY_E_NS1_11comp_targetILNS1_3genE10ELNS1_11target_archE1200ELNS1_3gpuE4ELNS1_3repE0EEENS1_30default_config_static_selectorELNS0_4arch9wavefront6targetE1EEEvT1_
    .private_segment_fixed_size: 0
    .sgpr_count:     6
    .sgpr_spill_count: 0
    .symbol:         _ZN7rocprim17ROCPRIM_400000_NS6detail17trampoline_kernelINS0_14default_configENS1_25partition_config_selectorILNS1_17partition_subalgoE0EiNS0_10empty_typeEbEEZZNS1_14partition_implILS5_0ELb0ES3_jN6thrust23THRUST_200600_302600_NS10device_ptrIiEEPS6_SD_NS0_5tupleIJSC_SC_EEENSE_IJSD_SD_EEES6_PlJ7is_evenIiEEEE10hipError_tPvRmT3_T4_T5_T6_T7_T9_mT8_P12ihipStream_tbDpT10_ENKUlT_T0_E_clISt17integral_constantIbLb0EES13_EEDaSY_SZ_EUlSY_E_NS1_11comp_targetILNS1_3genE10ELNS1_11target_archE1200ELNS1_3gpuE4ELNS1_3repE0EEENS1_30default_config_static_selectorELNS0_4arch9wavefront6targetE1EEEvT1_.kd
    .uniform_work_group_size: 1
    .uses_dynamic_stack: false
    .vgpr_count:     0
    .vgpr_spill_count: 0
    .wavefront_size: 64
  - .agpr_count:     0
    .args:
      - .offset:         0
        .size:           120
        .value_kind:     by_value
    .group_segment_fixed_size: 0
    .kernarg_segment_align: 8
    .kernarg_segment_size: 120
    .language:       OpenCL C
    .language_version:
      - 2
      - 0
    .max_flat_workgroup_size: 128
    .name:           _ZN7rocprim17ROCPRIM_400000_NS6detail17trampoline_kernelINS0_14default_configENS1_25partition_config_selectorILNS1_17partition_subalgoE0EiNS0_10empty_typeEbEEZZNS1_14partition_implILS5_0ELb0ES3_jN6thrust23THRUST_200600_302600_NS10device_ptrIiEEPS6_SD_NS0_5tupleIJSC_SC_EEENSE_IJSD_SD_EEES6_PlJ7is_evenIiEEEE10hipError_tPvRmT3_T4_T5_T6_T7_T9_mT8_P12ihipStream_tbDpT10_ENKUlT_T0_E_clISt17integral_constantIbLb0EES13_EEDaSY_SZ_EUlSY_E_NS1_11comp_targetILNS1_3genE9ELNS1_11target_archE1100ELNS1_3gpuE3ELNS1_3repE0EEENS1_30default_config_static_selectorELNS0_4arch9wavefront6targetE1EEEvT1_
    .private_segment_fixed_size: 0
    .sgpr_count:     6
    .sgpr_spill_count: 0
    .symbol:         _ZN7rocprim17ROCPRIM_400000_NS6detail17trampoline_kernelINS0_14default_configENS1_25partition_config_selectorILNS1_17partition_subalgoE0EiNS0_10empty_typeEbEEZZNS1_14partition_implILS5_0ELb0ES3_jN6thrust23THRUST_200600_302600_NS10device_ptrIiEEPS6_SD_NS0_5tupleIJSC_SC_EEENSE_IJSD_SD_EEES6_PlJ7is_evenIiEEEE10hipError_tPvRmT3_T4_T5_T6_T7_T9_mT8_P12ihipStream_tbDpT10_ENKUlT_T0_E_clISt17integral_constantIbLb0EES13_EEDaSY_SZ_EUlSY_E_NS1_11comp_targetILNS1_3genE9ELNS1_11target_archE1100ELNS1_3gpuE3ELNS1_3repE0EEENS1_30default_config_static_selectorELNS0_4arch9wavefront6targetE1EEEvT1_.kd
    .uniform_work_group_size: 1
    .uses_dynamic_stack: false
    .vgpr_count:     0
    .vgpr_spill_count: 0
    .wavefront_size: 64
  - .agpr_count:     0
    .args:
      - .offset:         0
        .size:           120
        .value_kind:     by_value
    .group_segment_fixed_size: 0
    .kernarg_segment_align: 8
    .kernarg_segment_size: 120
    .language:       OpenCL C
    .language_version:
      - 2
      - 0
    .max_flat_workgroup_size: 512
    .name:           _ZN7rocprim17ROCPRIM_400000_NS6detail17trampoline_kernelINS0_14default_configENS1_25partition_config_selectorILNS1_17partition_subalgoE0EiNS0_10empty_typeEbEEZZNS1_14partition_implILS5_0ELb0ES3_jN6thrust23THRUST_200600_302600_NS10device_ptrIiEEPS6_SD_NS0_5tupleIJSC_SC_EEENSE_IJSD_SD_EEES6_PlJ7is_evenIiEEEE10hipError_tPvRmT3_T4_T5_T6_T7_T9_mT8_P12ihipStream_tbDpT10_ENKUlT_T0_E_clISt17integral_constantIbLb0EES13_EEDaSY_SZ_EUlSY_E_NS1_11comp_targetILNS1_3genE8ELNS1_11target_archE1030ELNS1_3gpuE2ELNS1_3repE0EEENS1_30default_config_static_selectorELNS0_4arch9wavefront6targetE1EEEvT1_
    .private_segment_fixed_size: 0
    .sgpr_count:     6
    .sgpr_spill_count: 0
    .symbol:         _ZN7rocprim17ROCPRIM_400000_NS6detail17trampoline_kernelINS0_14default_configENS1_25partition_config_selectorILNS1_17partition_subalgoE0EiNS0_10empty_typeEbEEZZNS1_14partition_implILS5_0ELb0ES3_jN6thrust23THRUST_200600_302600_NS10device_ptrIiEEPS6_SD_NS0_5tupleIJSC_SC_EEENSE_IJSD_SD_EEES6_PlJ7is_evenIiEEEE10hipError_tPvRmT3_T4_T5_T6_T7_T9_mT8_P12ihipStream_tbDpT10_ENKUlT_T0_E_clISt17integral_constantIbLb0EES13_EEDaSY_SZ_EUlSY_E_NS1_11comp_targetILNS1_3genE8ELNS1_11target_archE1030ELNS1_3gpuE2ELNS1_3repE0EEENS1_30default_config_static_selectorELNS0_4arch9wavefront6targetE1EEEvT1_.kd
    .uniform_work_group_size: 1
    .uses_dynamic_stack: false
    .vgpr_count:     0
    .vgpr_spill_count: 0
    .wavefront_size: 64
  - .agpr_count:     0
    .args:
      - .offset:         0
        .size:           136
        .value_kind:     by_value
    .group_segment_fixed_size: 0
    .kernarg_segment_align: 8
    .kernarg_segment_size: 136
    .language:       OpenCL C
    .language_version:
      - 2
      - 0
    .max_flat_workgroup_size: 256
    .name:           _ZN7rocprim17ROCPRIM_400000_NS6detail17trampoline_kernelINS0_14default_configENS1_25partition_config_selectorILNS1_17partition_subalgoE0EiNS0_10empty_typeEbEEZZNS1_14partition_implILS5_0ELb0ES3_jN6thrust23THRUST_200600_302600_NS10device_ptrIiEEPS6_SD_NS0_5tupleIJSC_SC_EEENSE_IJSD_SD_EEES6_PlJ7is_evenIiEEEE10hipError_tPvRmT3_T4_T5_T6_T7_T9_mT8_P12ihipStream_tbDpT10_ENKUlT_T0_E_clISt17integral_constantIbLb1EES13_EEDaSY_SZ_EUlSY_E_NS1_11comp_targetILNS1_3genE0ELNS1_11target_archE4294967295ELNS1_3gpuE0ELNS1_3repE0EEENS1_30default_config_static_selectorELNS0_4arch9wavefront6targetE1EEEvT1_
    .private_segment_fixed_size: 0
    .sgpr_count:     6
    .sgpr_spill_count: 0
    .symbol:         _ZN7rocprim17ROCPRIM_400000_NS6detail17trampoline_kernelINS0_14default_configENS1_25partition_config_selectorILNS1_17partition_subalgoE0EiNS0_10empty_typeEbEEZZNS1_14partition_implILS5_0ELb0ES3_jN6thrust23THRUST_200600_302600_NS10device_ptrIiEEPS6_SD_NS0_5tupleIJSC_SC_EEENSE_IJSD_SD_EEES6_PlJ7is_evenIiEEEE10hipError_tPvRmT3_T4_T5_T6_T7_T9_mT8_P12ihipStream_tbDpT10_ENKUlT_T0_E_clISt17integral_constantIbLb1EES13_EEDaSY_SZ_EUlSY_E_NS1_11comp_targetILNS1_3genE0ELNS1_11target_archE4294967295ELNS1_3gpuE0ELNS1_3repE0EEENS1_30default_config_static_selectorELNS0_4arch9wavefront6targetE1EEEvT1_.kd
    .uniform_work_group_size: 1
    .uses_dynamic_stack: false
    .vgpr_count:     0
    .vgpr_spill_count: 0
    .wavefront_size: 64
  - .agpr_count:     0
    .args:
      - .offset:         0
        .size:           136
        .value_kind:     by_value
    .group_segment_fixed_size: 30728
    .kernarg_segment_align: 8
    .kernarg_segment_size: 136
    .language:       OpenCL C
    .language_version:
      - 2
      - 0
    .max_flat_workgroup_size: 512
    .name:           _ZN7rocprim17ROCPRIM_400000_NS6detail17trampoline_kernelINS0_14default_configENS1_25partition_config_selectorILNS1_17partition_subalgoE0EiNS0_10empty_typeEbEEZZNS1_14partition_implILS5_0ELb0ES3_jN6thrust23THRUST_200600_302600_NS10device_ptrIiEEPS6_SD_NS0_5tupleIJSC_SC_EEENSE_IJSD_SD_EEES6_PlJ7is_evenIiEEEE10hipError_tPvRmT3_T4_T5_T6_T7_T9_mT8_P12ihipStream_tbDpT10_ENKUlT_T0_E_clISt17integral_constantIbLb1EES13_EEDaSY_SZ_EUlSY_E_NS1_11comp_targetILNS1_3genE5ELNS1_11target_archE942ELNS1_3gpuE9ELNS1_3repE0EEENS1_30default_config_static_selectorELNS0_4arch9wavefront6targetE1EEEvT1_
    .private_segment_fixed_size: 0
    .sgpr_count:     50
    .sgpr_spill_count: 0
    .symbol:         _ZN7rocprim17ROCPRIM_400000_NS6detail17trampoline_kernelINS0_14default_configENS1_25partition_config_selectorILNS1_17partition_subalgoE0EiNS0_10empty_typeEbEEZZNS1_14partition_implILS5_0ELb0ES3_jN6thrust23THRUST_200600_302600_NS10device_ptrIiEEPS6_SD_NS0_5tupleIJSC_SC_EEENSE_IJSD_SD_EEES6_PlJ7is_evenIiEEEE10hipError_tPvRmT3_T4_T5_T6_T7_T9_mT8_P12ihipStream_tbDpT10_ENKUlT_T0_E_clISt17integral_constantIbLb1EES13_EEDaSY_SZ_EUlSY_E_NS1_11comp_targetILNS1_3genE5ELNS1_11target_archE942ELNS1_3gpuE9ELNS1_3repE0EEENS1_30default_config_static_selectorELNS0_4arch9wavefront6targetE1EEEvT1_.kd
    .uniform_work_group_size: 1
    .uses_dynamic_stack: false
    .vgpr_count:     80
    .vgpr_spill_count: 0
    .wavefront_size: 64
  - .agpr_count:     0
    .args:
      - .offset:         0
        .size:           136
        .value_kind:     by_value
    .group_segment_fixed_size: 0
    .kernarg_segment_align: 8
    .kernarg_segment_size: 136
    .language:       OpenCL C
    .language_version:
      - 2
      - 0
    .max_flat_workgroup_size: 256
    .name:           _ZN7rocprim17ROCPRIM_400000_NS6detail17trampoline_kernelINS0_14default_configENS1_25partition_config_selectorILNS1_17partition_subalgoE0EiNS0_10empty_typeEbEEZZNS1_14partition_implILS5_0ELb0ES3_jN6thrust23THRUST_200600_302600_NS10device_ptrIiEEPS6_SD_NS0_5tupleIJSC_SC_EEENSE_IJSD_SD_EEES6_PlJ7is_evenIiEEEE10hipError_tPvRmT3_T4_T5_T6_T7_T9_mT8_P12ihipStream_tbDpT10_ENKUlT_T0_E_clISt17integral_constantIbLb1EES13_EEDaSY_SZ_EUlSY_E_NS1_11comp_targetILNS1_3genE4ELNS1_11target_archE910ELNS1_3gpuE8ELNS1_3repE0EEENS1_30default_config_static_selectorELNS0_4arch9wavefront6targetE1EEEvT1_
    .private_segment_fixed_size: 0
    .sgpr_count:     6
    .sgpr_spill_count: 0
    .symbol:         _ZN7rocprim17ROCPRIM_400000_NS6detail17trampoline_kernelINS0_14default_configENS1_25partition_config_selectorILNS1_17partition_subalgoE0EiNS0_10empty_typeEbEEZZNS1_14partition_implILS5_0ELb0ES3_jN6thrust23THRUST_200600_302600_NS10device_ptrIiEEPS6_SD_NS0_5tupleIJSC_SC_EEENSE_IJSD_SD_EEES6_PlJ7is_evenIiEEEE10hipError_tPvRmT3_T4_T5_T6_T7_T9_mT8_P12ihipStream_tbDpT10_ENKUlT_T0_E_clISt17integral_constantIbLb1EES13_EEDaSY_SZ_EUlSY_E_NS1_11comp_targetILNS1_3genE4ELNS1_11target_archE910ELNS1_3gpuE8ELNS1_3repE0EEENS1_30default_config_static_selectorELNS0_4arch9wavefront6targetE1EEEvT1_.kd
    .uniform_work_group_size: 1
    .uses_dynamic_stack: false
    .vgpr_count:     0
    .vgpr_spill_count: 0
    .wavefront_size: 64
  - .agpr_count:     0
    .args:
      - .offset:         0
        .size:           136
        .value_kind:     by_value
    .group_segment_fixed_size: 0
    .kernarg_segment_align: 8
    .kernarg_segment_size: 136
    .language:       OpenCL C
    .language_version:
      - 2
      - 0
    .max_flat_workgroup_size: 256
    .name:           _ZN7rocprim17ROCPRIM_400000_NS6detail17trampoline_kernelINS0_14default_configENS1_25partition_config_selectorILNS1_17partition_subalgoE0EiNS0_10empty_typeEbEEZZNS1_14partition_implILS5_0ELb0ES3_jN6thrust23THRUST_200600_302600_NS10device_ptrIiEEPS6_SD_NS0_5tupleIJSC_SC_EEENSE_IJSD_SD_EEES6_PlJ7is_evenIiEEEE10hipError_tPvRmT3_T4_T5_T6_T7_T9_mT8_P12ihipStream_tbDpT10_ENKUlT_T0_E_clISt17integral_constantIbLb1EES13_EEDaSY_SZ_EUlSY_E_NS1_11comp_targetILNS1_3genE3ELNS1_11target_archE908ELNS1_3gpuE7ELNS1_3repE0EEENS1_30default_config_static_selectorELNS0_4arch9wavefront6targetE1EEEvT1_
    .private_segment_fixed_size: 0
    .sgpr_count:     6
    .sgpr_spill_count: 0
    .symbol:         _ZN7rocprim17ROCPRIM_400000_NS6detail17trampoline_kernelINS0_14default_configENS1_25partition_config_selectorILNS1_17partition_subalgoE0EiNS0_10empty_typeEbEEZZNS1_14partition_implILS5_0ELb0ES3_jN6thrust23THRUST_200600_302600_NS10device_ptrIiEEPS6_SD_NS0_5tupleIJSC_SC_EEENSE_IJSD_SD_EEES6_PlJ7is_evenIiEEEE10hipError_tPvRmT3_T4_T5_T6_T7_T9_mT8_P12ihipStream_tbDpT10_ENKUlT_T0_E_clISt17integral_constantIbLb1EES13_EEDaSY_SZ_EUlSY_E_NS1_11comp_targetILNS1_3genE3ELNS1_11target_archE908ELNS1_3gpuE7ELNS1_3repE0EEENS1_30default_config_static_selectorELNS0_4arch9wavefront6targetE1EEEvT1_.kd
    .uniform_work_group_size: 1
    .uses_dynamic_stack: false
    .vgpr_count:     0
    .vgpr_spill_count: 0
    .wavefront_size: 64
  - .agpr_count:     0
    .args:
      - .offset:         0
        .size:           136
        .value_kind:     by_value
    .group_segment_fixed_size: 0
    .kernarg_segment_align: 8
    .kernarg_segment_size: 136
    .language:       OpenCL C
    .language_version:
      - 2
      - 0
    .max_flat_workgroup_size: 192
    .name:           _ZN7rocprim17ROCPRIM_400000_NS6detail17trampoline_kernelINS0_14default_configENS1_25partition_config_selectorILNS1_17partition_subalgoE0EiNS0_10empty_typeEbEEZZNS1_14partition_implILS5_0ELb0ES3_jN6thrust23THRUST_200600_302600_NS10device_ptrIiEEPS6_SD_NS0_5tupleIJSC_SC_EEENSE_IJSD_SD_EEES6_PlJ7is_evenIiEEEE10hipError_tPvRmT3_T4_T5_T6_T7_T9_mT8_P12ihipStream_tbDpT10_ENKUlT_T0_E_clISt17integral_constantIbLb1EES13_EEDaSY_SZ_EUlSY_E_NS1_11comp_targetILNS1_3genE2ELNS1_11target_archE906ELNS1_3gpuE6ELNS1_3repE0EEENS1_30default_config_static_selectorELNS0_4arch9wavefront6targetE1EEEvT1_
    .private_segment_fixed_size: 0
    .sgpr_count:     6
    .sgpr_spill_count: 0
    .symbol:         _ZN7rocprim17ROCPRIM_400000_NS6detail17trampoline_kernelINS0_14default_configENS1_25partition_config_selectorILNS1_17partition_subalgoE0EiNS0_10empty_typeEbEEZZNS1_14partition_implILS5_0ELb0ES3_jN6thrust23THRUST_200600_302600_NS10device_ptrIiEEPS6_SD_NS0_5tupleIJSC_SC_EEENSE_IJSD_SD_EEES6_PlJ7is_evenIiEEEE10hipError_tPvRmT3_T4_T5_T6_T7_T9_mT8_P12ihipStream_tbDpT10_ENKUlT_T0_E_clISt17integral_constantIbLb1EES13_EEDaSY_SZ_EUlSY_E_NS1_11comp_targetILNS1_3genE2ELNS1_11target_archE906ELNS1_3gpuE6ELNS1_3repE0EEENS1_30default_config_static_selectorELNS0_4arch9wavefront6targetE1EEEvT1_.kd
    .uniform_work_group_size: 1
    .uses_dynamic_stack: false
    .vgpr_count:     0
    .vgpr_spill_count: 0
    .wavefront_size: 64
  - .agpr_count:     0
    .args:
      - .offset:         0
        .size:           136
        .value_kind:     by_value
    .group_segment_fixed_size: 0
    .kernarg_segment_align: 8
    .kernarg_segment_size: 136
    .language:       OpenCL C
    .language_version:
      - 2
      - 0
    .max_flat_workgroup_size: 512
    .name:           _ZN7rocprim17ROCPRIM_400000_NS6detail17trampoline_kernelINS0_14default_configENS1_25partition_config_selectorILNS1_17partition_subalgoE0EiNS0_10empty_typeEbEEZZNS1_14partition_implILS5_0ELb0ES3_jN6thrust23THRUST_200600_302600_NS10device_ptrIiEEPS6_SD_NS0_5tupleIJSC_SC_EEENSE_IJSD_SD_EEES6_PlJ7is_evenIiEEEE10hipError_tPvRmT3_T4_T5_T6_T7_T9_mT8_P12ihipStream_tbDpT10_ENKUlT_T0_E_clISt17integral_constantIbLb1EES13_EEDaSY_SZ_EUlSY_E_NS1_11comp_targetILNS1_3genE10ELNS1_11target_archE1200ELNS1_3gpuE4ELNS1_3repE0EEENS1_30default_config_static_selectorELNS0_4arch9wavefront6targetE1EEEvT1_
    .private_segment_fixed_size: 0
    .sgpr_count:     6
    .sgpr_spill_count: 0
    .symbol:         _ZN7rocprim17ROCPRIM_400000_NS6detail17trampoline_kernelINS0_14default_configENS1_25partition_config_selectorILNS1_17partition_subalgoE0EiNS0_10empty_typeEbEEZZNS1_14partition_implILS5_0ELb0ES3_jN6thrust23THRUST_200600_302600_NS10device_ptrIiEEPS6_SD_NS0_5tupleIJSC_SC_EEENSE_IJSD_SD_EEES6_PlJ7is_evenIiEEEE10hipError_tPvRmT3_T4_T5_T6_T7_T9_mT8_P12ihipStream_tbDpT10_ENKUlT_T0_E_clISt17integral_constantIbLb1EES13_EEDaSY_SZ_EUlSY_E_NS1_11comp_targetILNS1_3genE10ELNS1_11target_archE1200ELNS1_3gpuE4ELNS1_3repE0EEENS1_30default_config_static_selectorELNS0_4arch9wavefront6targetE1EEEvT1_.kd
    .uniform_work_group_size: 1
    .uses_dynamic_stack: false
    .vgpr_count:     0
    .vgpr_spill_count: 0
    .wavefront_size: 64
  - .agpr_count:     0
    .args:
      - .offset:         0
        .size:           136
        .value_kind:     by_value
    .group_segment_fixed_size: 0
    .kernarg_segment_align: 8
    .kernarg_segment_size: 136
    .language:       OpenCL C
    .language_version:
      - 2
      - 0
    .max_flat_workgroup_size: 128
    .name:           _ZN7rocprim17ROCPRIM_400000_NS6detail17trampoline_kernelINS0_14default_configENS1_25partition_config_selectorILNS1_17partition_subalgoE0EiNS0_10empty_typeEbEEZZNS1_14partition_implILS5_0ELb0ES3_jN6thrust23THRUST_200600_302600_NS10device_ptrIiEEPS6_SD_NS0_5tupleIJSC_SC_EEENSE_IJSD_SD_EEES6_PlJ7is_evenIiEEEE10hipError_tPvRmT3_T4_T5_T6_T7_T9_mT8_P12ihipStream_tbDpT10_ENKUlT_T0_E_clISt17integral_constantIbLb1EES13_EEDaSY_SZ_EUlSY_E_NS1_11comp_targetILNS1_3genE9ELNS1_11target_archE1100ELNS1_3gpuE3ELNS1_3repE0EEENS1_30default_config_static_selectorELNS0_4arch9wavefront6targetE1EEEvT1_
    .private_segment_fixed_size: 0
    .sgpr_count:     6
    .sgpr_spill_count: 0
    .symbol:         _ZN7rocprim17ROCPRIM_400000_NS6detail17trampoline_kernelINS0_14default_configENS1_25partition_config_selectorILNS1_17partition_subalgoE0EiNS0_10empty_typeEbEEZZNS1_14partition_implILS5_0ELb0ES3_jN6thrust23THRUST_200600_302600_NS10device_ptrIiEEPS6_SD_NS0_5tupleIJSC_SC_EEENSE_IJSD_SD_EEES6_PlJ7is_evenIiEEEE10hipError_tPvRmT3_T4_T5_T6_T7_T9_mT8_P12ihipStream_tbDpT10_ENKUlT_T0_E_clISt17integral_constantIbLb1EES13_EEDaSY_SZ_EUlSY_E_NS1_11comp_targetILNS1_3genE9ELNS1_11target_archE1100ELNS1_3gpuE3ELNS1_3repE0EEENS1_30default_config_static_selectorELNS0_4arch9wavefront6targetE1EEEvT1_.kd
    .uniform_work_group_size: 1
    .uses_dynamic_stack: false
    .vgpr_count:     0
    .vgpr_spill_count: 0
    .wavefront_size: 64
  - .agpr_count:     0
    .args:
      - .offset:         0
        .size:           136
        .value_kind:     by_value
    .group_segment_fixed_size: 0
    .kernarg_segment_align: 8
    .kernarg_segment_size: 136
    .language:       OpenCL C
    .language_version:
      - 2
      - 0
    .max_flat_workgroup_size: 512
    .name:           _ZN7rocprim17ROCPRIM_400000_NS6detail17trampoline_kernelINS0_14default_configENS1_25partition_config_selectorILNS1_17partition_subalgoE0EiNS0_10empty_typeEbEEZZNS1_14partition_implILS5_0ELb0ES3_jN6thrust23THRUST_200600_302600_NS10device_ptrIiEEPS6_SD_NS0_5tupleIJSC_SC_EEENSE_IJSD_SD_EEES6_PlJ7is_evenIiEEEE10hipError_tPvRmT3_T4_T5_T6_T7_T9_mT8_P12ihipStream_tbDpT10_ENKUlT_T0_E_clISt17integral_constantIbLb1EES13_EEDaSY_SZ_EUlSY_E_NS1_11comp_targetILNS1_3genE8ELNS1_11target_archE1030ELNS1_3gpuE2ELNS1_3repE0EEENS1_30default_config_static_selectorELNS0_4arch9wavefront6targetE1EEEvT1_
    .private_segment_fixed_size: 0
    .sgpr_count:     6
    .sgpr_spill_count: 0
    .symbol:         _ZN7rocprim17ROCPRIM_400000_NS6detail17trampoline_kernelINS0_14default_configENS1_25partition_config_selectorILNS1_17partition_subalgoE0EiNS0_10empty_typeEbEEZZNS1_14partition_implILS5_0ELb0ES3_jN6thrust23THRUST_200600_302600_NS10device_ptrIiEEPS6_SD_NS0_5tupleIJSC_SC_EEENSE_IJSD_SD_EEES6_PlJ7is_evenIiEEEE10hipError_tPvRmT3_T4_T5_T6_T7_T9_mT8_P12ihipStream_tbDpT10_ENKUlT_T0_E_clISt17integral_constantIbLb1EES13_EEDaSY_SZ_EUlSY_E_NS1_11comp_targetILNS1_3genE8ELNS1_11target_archE1030ELNS1_3gpuE2ELNS1_3repE0EEENS1_30default_config_static_selectorELNS0_4arch9wavefront6targetE1EEEvT1_.kd
    .uniform_work_group_size: 1
    .uses_dynamic_stack: false
    .vgpr_count:     0
    .vgpr_spill_count: 0
    .wavefront_size: 64
  - .agpr_count:     0
    .args:
      - .offset:         0
        .size:           120
        .value_kind:     by_value
    .group_segment_fixed_size: 0
    .kernarg_segment_align: 8
    .kernarg_segment_size: 120
    .language:       OpenCL C
    .language_version:
      - 2
      - 0
    .max_flat_workgroup_size: 256
    .name:           _ZN7rocprim17ROCPRIM_400000_NS6detail17trampoline_kernelINS0_14default_configENS1_25partition_config_selectorILNS1_17partition_subalgoE0EiNS0_10empty_typeEbEEZZNS1_14partition_implILS5_0ELb0ES3_jN6thrust23THRUST_200600_302600_NS10device_ptrIiEEPS6_SD_NS0_5tupleIJSC_SC_EEENSE_IJSD_SD_EEES6_PlJ7is_evenIiEEEE10hipError_tPvRmT3_T4_T5_T6_T7_T9_mT8_P12ihipStream_tbDpT10_ENKUlT_T0_E_clISt17integral_constantIbLb1EES12_IbLb0EEEEDaSY_SZ_EUlSY_E_NS1_11comp_targetILNS1_3genE0ELNS1_11target_archE4294967295ELNS1_3gpuE0ELNS1_3repE0EEENS1_30default_config_static_selectorELNS0_4arch9wavefront6targetE1EEEvT1_
    .private_segment_fixed_size: 0
    .sgpr_count:     6
    .sgpr_spill_count: 0
    .symbol:         _ZN7rocprim17ROCPRIM_400000_NS6detail17trampoline_kernelINS0_14default_configENS1_25partition_config_selectorILNS1_17partition_subalgoE0EiNS0_10empty_typeEbEEZZNS1_14partition_implILS5_0ELb0ES3_jN6thrust23THRUST_200600_302600_NS10device_ptrIiEEPS6_SD_NS0_5tupleIJSC_SC_EEENSE_IJSD_SD_EEES6_PlJ7is_evenIiEEEE10hipError_tPvRmT3_T4_T5_T6_T7_T9_mT8_P12ihipStream_tbDpT10_ENKUlT_T0_E_clISt17integral_constantIbLb1EES12_IbLb0EEEEDaSY_SZ_EUlSY_E_NS1_11comp_targetILNS1_3genE0ELNS1_11target_archE4294967295ELNS1_3gpuE0ELNS1_3repE0EEENS1_30default_config_static_selectorELNS0_4arch9wavefront6targetE1EEEvT1_.kd
    .uniform_work_group_size: 1
    .uses_dynamic_stack: false
    .vgpr_count:     0
    .vgpr_spill_count: 0
    .wavefront_size: 64
  - .agpr_count:     0
    .args:
      - .offset:         0
        .size:           120
        .value_kind:     by_value
    .group_segment_fixed_size: 30728
    .kernarg_segment_align: 8
    .kernarg_segment_size: 120
    .language:       OpenCL C
    .language_version:
      - 2
      - 0
    .max_flat_workgroup_size: 512
    .name:           _ZN7rocprim17ROCPRIM_400000_NS6detail17trampoline_kernelINS0_14default_configENS1_25partition_config_selectorILNS1_17partition_subalgoE0EiNS0_10empty_typeEbEEZZNS1_14partition_implILS5_0ELb0ES3_jN6thrust23THRUST_200600_302600_NS10device_ptrIiEEPS6_SD_NS0_5tupleIJSC_SC_EEENSE_IJSD_SD_EEES6_PlJ7is_evenIiEEEE10hipError_tPvRmT3_T4_T5_T6_T7_T9_mT8_P12ihipStream_tbDpT10_ENKUlT_T0_E_clISt17integral_constantIbLb1EES12_IbLb0EEEEDaSY_SZ_EUlSY_E_NS1_11comp_targetILNS1_3genE5ELNS1_11target_archE942ELNS1_3gpuE9ELNS1_3repE0EEENS1_30default_config_static_selectorELNS0_4arch9wavefront6targetE1EEEvT1_
    .private_segment_fixed_size: 0
    .sgpr_count:     50
    .sgpr_spill_count: 0
    .symbol:         _ZN7rocprim17ROCPRIM_400000_NS6detail17trampoline_kernelINS0_14default_configENS1_25partition_config_selectorILNS1_17partition_subalgoE0EiNS0_10empty_typeEbEEZZNS1_14partition_implILS5_0ELb0ES3_jN6thrust23THRUST_200600_302600_NS10device_ptrIiEEPS6_SD_NS0_5tupleIJSC_SC_EEENSE_IJSD_SD_EEES6_PlJ7is_evenIiEEEE10hipError_tPvRmT3_T4_T5_T6_T7_T9_mT8_P12ihipStream_tbDpT10_ENKUlT_T0_E_clISt17integral_constantIbLb1EES12_IbLb0EEEEDaSY_SZ_EUlSY_E_NS1_11comp_targetILNS1_3genE5ELNS1_11target_archE942ELNS1_3gpuE9ELNS1_3repE0EEENS1_30default_config_static_selectorELNS0_4arch9wavefront6targetE1EEEvT1_.kd
    .uniform_work_group_size: 1
    .uses_dynamic_stack: false
    .vgpr_count:     76
    .vgpr_spill_count: 0
    .wavefront_size: 64
  - .agpr_count:     0
    .args:
      - .offset:         0
        .size:           120
        .value_kind:     by_value
    .group_segment_fixed_size: 0
    .kernarg_segment_align: 8
    .kernarg_segment_size: 120
    .language:       OpenCL C
    .language_version:
      - 2
      - 0
    .max_flat_workgroup_size: 256
    .name:           _ZN7rocprim17ROCPRIM_400000_NS6detail17trampoline_kernelINS0_14default_configENS1_25partition_config_selectorILNS1_17partition_subalgoE0EiNS0_10empty_typeEbEEZZNS1_14partition_implILS5_0ELb0ES3_jN6thrust23THRUST_200600_302600_NS10device_ptrIiEEPS6_SD_NS0_5tupleIJSC_SC_EEENSE_IJSD_SD_EEES6_PlJ7is_evenIiEEEE10hipError_tPvRmT3_T4_T5_T6_T7_T9_mT8_P12ihipStream_tbDpT10_ENKUlT_T0_E_clISt17integral_constantIbLb1EES12_IbLb0EEEEDaSY_SZ_EUlSY_E_NS1_11comp_targetILNS1_3genE4ELNS1_11target_archE910ELNS1_3gpuE8ELNS1_3repE0EEENS1_30default_config_static_selectorELNS0_4arch9wavefront6targetE1EEEvT1_
    .private_segment_fixed_size: 0
    .sgpr_count:     6
    .sgpr_spill_count: 0
    .symbol:         _ZN7rocprim17ROCPRIM_400000_NS6detail17trampoline_kernelINS0_14default_configENS1_25partition_config_selectorILNS1_17partition_subalgoE0EiNS0_10empty_typeEbEEZZNS1_14partition_implILS5_0ELb0ES3_jN6thrust23THRUST_200600_302600_NS10device_ptrIiEEPS6_SD_NS0_5tupleIJSC_SC_EEENSE_IJSD_SD_EEES6_PlJ7is_evenIiEEEE10hipError_tPvRmT3_T4_T5_T6_T7_T9_mT8_P12ihipStream_tbDpT10_ENKUlT_T0_E_clISt17integral_constantIbLb1EES12_IbLb0EEEEDaSY_SZ_EUlSY_E_NS1_11comp_targetILNS1_3genE4ELNS1_11target_archE910ELNS1_3gpuE8ELNS1_3repE0EEENS1_30default_config_static_selectorELNS0_4arch9wavefront6targetE1EEEvT1_.kd
    .uniform_work_group_size: 1
    .uses_dynamic_stack: false
    .vgpr_count:     0
    .vgpr_spill_count: 0
    .wavefront_size: 64
  - .agpr_count:     0
    .args:
      - .offset:         0
        .size:           120
        .value_kind:     by_value
    .group_segment_fixed_size: 0
    .kernarg_segment_align: 8
    .kernarg_segment_size: 120
    .language:       OpenCL C
    .language_version:
      - 2
      - 0
    .max_flat_workgroup_size: 256
    .name:           _ZN7rocprim17ROCPRIM_400000_NS6detail17trampoline_kernelINS0_14default_configENS1_25partition_config_selectorILNS1_17partition_subalgoE0EiNS0_10empty_typeEbEEZZNS1_14partition_implILS5_0ELb0ES3_jN6thrust23THRUST_200600_302600_NS10device_ptrIiEEPS6_SD_NS0_5tupleIJSC_SC_EEENSE_IJSD_SD_EEES6_PlJ7is_evenIiEEEE10hipError_tPvRmT3_T4_T5_T6_T7_T9_mT8_P12ihipStream_tbDpT10_ENKUlT_T0_E_clISt17integral_constantIbLb1EES12_IbLb0EEEEDaSY_SZ_EUlSY_E_NS1_11comp_targetILNS1_3genE3ELNS1_11target_archE908ELNS1_3gpuE7ELNS1_3repE0EEENS1_30default_config_static_selectorELNS0_4arch9wavefront6targetE1EEEvT1_
    .private_segment_fixed_size: 0
    .sgpr_count:     6
    .sgpr_spill_count: 0
    .symbol:         _ZN7rocprim17ROCPRIM_400000_NS6detail17trampoline_kernelINS0_14default_configENS1_25partition_config_selectorILNS1_17partition_subalgoE0EiNS0_10empty_typeEbEEZZNS1_14partition_implILS5_0ELb0ES3_jN6thrust23THRUST_200600_302600_NS10device_ptrIiEEPS6_SD_NS0_5tupleIJSC_SC_EEENSE_IJSD_SD_EEES6_PlJ7is_evenIiEEEE10hipError_tPvRmT3_T4_T5_T6_T7_T9_mT8_P12ihipStream_tbDpT10_ENKUlT_T0_E_clISt17integral_constantIbLb1EES12_IbLb0EEEEDaSY_SZ_EUlSY_E_NS1_11comp_targetILNS1_3genE3ELNS1_11target_archE908ELNS1_3gpuE7ELNS1_3repE0EEENS1_30default_config_static_selectorELNS0_4arch9wavefront6targetE1EEEvT1_.kd
    .uniform_work_group_size: 1
    .uses_dynamic_stack: false
    .vgpr_count:     0
    .vgpr_spill_count: 0
    .wavefront_size: 64
  - .agpr_count:     0
    .args:
      - .offset:         0
        .size:           120
        .value_kind:     by_value
    .group_segment_fixed_size: 0
    .kernarg_segment_align: 8
    .kernarg_segment_size: 120
    .language:       OpenCL C
    .language_version:
      - 2
      - 0
    .max_flat_workgroup_size: 192
    .name:           _ZN7rocprim17ROCPRIM_400000_NS6detail17trampoline_kernelINS0_14default_configENS1_25partition_config_selectorILNS1_17partition_subalgoE0EiNS0_10empty_typeEbEEZZNS1_14partition_implILS5_0ELb0ES3_jN6thrust23THRUST_200600_302600_NS10device_ptrIiEEPS6_SD_NS0_5tupleIJSC_SC_EEENSE_IJSD_SD_EEES6_PlJ7is_evenIiEEEE10hipError_tPvRmT3_T4_T5_T6_T7_T9_mT8_P12ihipStream_tbDpT10_ENKUlT_T0_E_clISt17integral_constantIbLb1EES12_IbLb0EEEEDaSY_SZ_EUlSY_E_NS1_11comp_targetILNS1_3genE2ELNS1_11target_archE906ELNS1_3gpuE6ELNS1_3repE0EEENS1_30default_config_static_selectorELNS0_4arch9wavefront6targetE1EEEvT1_
    .private_segment_fixed_size: 0
    .sgpr_count:     6
    .sgpr_spill_count: 0
    .symbol:         _ZN7rocprim17ROCPRIM_400000_NS6detail17trampoline_kernelINS0_14default_configENS1_25partition_config_selectorILNS1_17partition_subalgoE0EiNS0_10empty_typeEbEEZZNS1_14partition_implILS5_0ELb0ES3_jN6thrust23THRUST_200600_302600_NS10device_ptrIiEEPS6_SD_NS0_5tupleIJSC_SC_EEENSE_IJSD_SD_EEES6_PlJ7is_evenIiEEEE10hipError_tPvRmT3_T4_T5_T6_T7_T9_mT8_P12ihipStream_tbDpT10_ENKUlT_T0_E_clISt17integral_constantIbLb1EES12_IbLb0EEEEDaSY_SZ_EUlSY_E_NS1_11comp_targetILNS1_3genE2ELNS1_11target_archE906ELNS1_3gpuE6ELNS1_3repE0EEENS1_30default_config_static_selectorELNS0_4arch9wavefront6targetE1EEEvT1_.kd
    .uniform_work_group_size: 1
    .uses_dynamic_stack: false
    .vgpr_count:     0
    .vgpr_spill_count: 0
    .wavefront_size: 64
  - .agpr_count:     0
    .args:
      - .offset:         0
        .size:           120
        .value_kind:     by_value
    .group_segment_fixed_size: 0
    .kernarg_segment_align: 8
    .kernarg_segment_size: 120
    .language:       OpenCL C
    .language_version:
      - 2
      - 0
    .max_flat_workgroup_size: 512
    .name:           _ZN7rocprim17ROCPRIM_400000_NS6detail17trampoline_kernelINS0_14default_configENS1_25partition_config_selectorILNS1_17partition_subalgoE0EiNS0_10empty_typeEbEEZZNS1_14partition_implILS5_0ELb0ES3_jN6thrust23THRUST_200600_302600_NS10device_ptrIiEEPS6_SD_NS0_5tupleIJSC_SC_EEENSE_IJSD_SD_EEES6_PlJ7is_evenIiEEEE10hipError_tPvRmT3_T4_T5_T6_T7_T9_mT8_P12ihipStream_tbDpT10_ENKUlT_T0_E_clISt17integral_constantIbLb1EES12_IbLb0EEEEDaSY_SZ_EUlSY_E_NS1_11comp_targetILNS1_3genE10ELNS1_11target_archE1200ELNS1_3gpuE4ELNS1_3repE0EEENS1_30default_config_static_selectorELNS0_4arch9wavefront6targetE1EEEvT1_
    .private_segment_fixed_size: 0
    .sgpr_count:     6
    .sgpr_spill_count: 0
    .symbol:         _ZN7rocprim17ROCPRIM_400000_NS6detail17trampoline_kernelINS0_14default_configENS1_25partition_config_selectorILNS1_17partition_subalgoE0EiNS0_10empty_typeEbEEZZNS1_14partition_implILS5_0ELb0ES3_jN6thrust23THRUST_200600_302600_NS10device_ptrIiEEPS6_SD_NS0_5tupleIJSC_SC_EEENSE_IJSD_SD_EEES6_PlJ7is_evenIiEEEE10hipError_tPvRmT3_T4_T5_T6_T7_T9_mT8_P12ihipStream_tbDpT10_ENKUlT_T0_E_clISt17integral_constantIbLb1EES12_IbLb0EEEEDaSY_SZ_EUlSY_E_NS1_11comp_targetILNS1_3genE10ELNS1_11target_archE1200ELNS1_3gpuE4ELNS1_3repE0EEENS1_30default_config_static_selectorELNS0_4arch9wavefront6targetE1EEEvT1_.kd
    .uniform_work_group_size: 1
    .uses_dynamic_stack: false
    .vgpr_count:     0
    .vgpr_spill_count: 0
    .wavefront_size: 64
  - .agpr_count:     0
    .args:
      - .offset:         0
        .size:           120
        .value_kind:     by_value
    .group_segment_fixed_size: 0
    .kernarg_segment_align: 8
    .kernarg_segment_size: 120
    .language:       OpenCL C
    .language_version:
      - 2
      - 0
    .max_flat_workgroup_size: 128
    .name:           _ZN7rocprim17ROCPRIM_400000_NS6detail17trampoline_kernelINS0_14default_configENS1_25partition_config_selectorILNS1_17partition_subalgoE0EiNS0_10empty_typeEbEEZZNS1_14partition_implILS5_0ELb0ES3_jN6thrust23THRUST_200600_302600_NS10device_ptrIiEEPS6_SD_NS0_5tupleIJSC_SC_EEENSE_IJSD_SD_EEES6_PlJ7is_evenIiEEEE10hipError_tPvRmT3_T4_T5_T6_T7_T9_mT8_P12ihipStream_tbDpT10_ENKUlT_T0_E_clISt17integral_constantIbLb1EES12_IbLb0EEEEDaSY_SZ_EUlSY_E_NS1_11comp_targetILNS1_3genE9ELNS1_11target_archE1100ELNS1_3gpuE3ELNS1_3repE0EEENS1_30default_config_static_selectorELNS0_4arch9wavefront6targetE1EEEvT1_
    .private_segment_fixed_size: 0
    .sgpr_count:     6
    .sgpr_spill_count: 0
    .symbol:         _ZN7rocprim17ROCPRIM_400000_NS6detail17trampoline_kernelINS0_14default_configENS1_25partition_config_selectorILNS1_17partition_subalgoE0EiNS0_10empty_typeEbEEZZNS1_14partition_implILS5_0ELb0ES3_jN6thrust23THRUST_200600_302600_NS10device_ptrIiEEPS6_SD_NS0_5tupleIJSC_SC_EEENSE_IJSD_SD_EEES6_PlJ7is_evenIiEEEE10hipError_tPvRmT3_T4_T5_T6_T7_T9_mT8_P12ihipStream_tbDpT10_ENKUlT_T0_E_clISt17integral_constantIbLb1EES12_IbLb0EEEEDaSY_SZ_EUlSY_E_NS1_11comp_targetILNS1_3genE9ELNS1_11target_archE1100ELNS1_3gpuE3ELNS1_3repE0EEENS1_30default_config_static_selectorELNS0_4arch9wavefront6targetE1EEEvT1_.kd
    .uniform_work_group_size: 1
    .uses_dynamic_stack: false
    .vgpr_count:     0
    .vgpr_spill_count: 0
    .wavefront_size: 64
  - .agpr_count:     0
    .args:
      - .offset:         0
        .size:           120
        .value_kind:     by_value
    .group_segment_fixed_size: 0
    .kernarg_segment_align: 8
    .kernarg_segment_size: 120
    .language:       OpenCL C
    .language_version:
      - 2
      - 0
    .max_flat_workgroup_size: 512
    .name:           _ZN7rocprim17ROCPRIM_400000_NS6detail17trampoline_kernelINS0_14default_configENS1_25partition_config_selectorILNS1_17partition_subalgoE0EiNS0_10empty_typeEbEEZZNS1_14partition_implILS5_0ELb0ES3_jN6thrust23THRUST_200600_302600_NS10device_ptrIiEEPS6_SD_NS0_5tupleIJSC_SC_EEENSE_IJSD_SD_EEES6_PlJ7is_evenIiEEEE10hipError_tPvRmT3_T4_T5_T6_T7_T9_mT8_P12ihipStream_tbDpT10_ENKUlT_T0_E_clISt17integral_constantIbLb1EES12_IbLb0EEEEDaSY_SZ_EUlSY_E_NS1_11comp_targetILNS1_3genE8ELNS1_11target_archE1030ELNS1_3gpuE2ELNS1_3repE0EEENS1_30default_config_static_selectorELNS0_4arch9wavefront6targetE1EEEvT1_
    .private_segment_fixed_size: 0
    .sgpr_count:     6
    .sgpr_spill_count: 0
    .symbol:         _ZN7rocprim17ROCPRIM_400000_NS6detail17trampoline_kernelINS0_14default_configENS1_25partition_config_selectorILNS1_17partition_subalgoE0EiNS0_10empty_typeEbEEZZNS1_14partition_implILS5_0ELb0ES3_jN6thrust23THRUST_200600_302600_NS10device_ptrIiEEPS6_SD_NS0_5tupleIJSC_SC_EEENSE_IJSD_SD_EEES6_PlJ7is_evenIiEEEE10hipError_tPvRmT3_T4_T5_T6_T7_T9_mT8_P12ihipStream_tbDpT10_ENKUlT_T0_E_clISt17integral_constantIbLb1EES12_IbLb0EEEEDaSY_SZ_EUlSY_E_NS1_11comp_targetILNS1_3genE8ELNS1_11target_archE1030ELNS1_3gpuE2ELNS1_3repE0EEENS1_30default_config_static_selectorELNS0_4arch9wavefront6targetE1EEEvT1_.kd
    .uniform_work_group_size: 1
    .uses_dynamic_stack: false
    .vgpr_count:     0
    .vgpr_spill_count: 0
    .wavefront_size: 64
  - .agpr_count:     0
    .args:
      - .offset:         0
        .size:           136
        .value_kind:     by_value
    .group_segment_fixed_size: 0
    .kernarg_segment_align: 8
    .kernarg_segment_size: 136
    .language:       OpenCL C
    .language_version:
      - 2
      - 0
    .max_flat_workgroup_size: 256
    .name:           _ZN7rocprim17ROCPRIM_400000_NS6detail17trampoline_kernelINS0_14default_configENS1_25partition_config_selectorILNS1_17partition_subalgoE0EiNS0_10empty_typeEbEEZZNS1_14partition_implILS5_0ELb0ES3_jN6thrust23THRUST_200600_302600_NS10device_ptrIiEEPS6_SD_NS0_5tupleIJSC_SC_EEENSE_IJSD_SD_EEES6_PlJ7is_evenIiEEEE10hipError_tPvRmT3_T4_T5_T6_T7_T9_mT8_P12ihipStream_tbDpT10_ENKUlT_T0_E_clISt17integral_constantIbLb0EES12_IbLb1EEEEDaSY_SZ_EUlSY_E_NS1_11comp_targetILNS1_3genE0ELNS1_11target_archE4294967295ELNS1_3gpuE0ELNS1_3repE0EEENS1_30default_config_static_selectorELNS0_4arch9wavefront6targetE1EEEvT1_
    .private_segment_fixed_size: 0
    .sgpr_count:     6
    .sgpr_spill_count: 0
    .symbol:         _ZN7rocprim17ROCPRIM_400000_NS6detail17trampoline_kernelINS0_14default_configENS1_25partition_config_selectorILNS1_17partition_subalgoE0EiNS0_10empty_typeEbEEZZNS1_14partition_implILS5_0ELb0ES3_jN6thrust23THRUST_200600_302600_NS10device_ptrIiEEPS6_SD_NS0_5tupleIJSC_SC_EEENSE_IJSD_SD_EEES6_PlJ7is_evenIiEEEE10hipError_tPvRmT3_T4_T5_T6_T7_T9_mT8_P12ihipStream_tbDpT10_ENKUlT_T0_E_clISt17integral_constantIbLb0EES12_IbLb1EEEEDaSY_SZ_EUlSY_E_NS1_11comp_targetILNS1_3genE0ELNS1_11target_archE4294967295ELNS1_3gpuE0ELNS1_3repE0EEENS1_30default_config_static_selectorELNS0_4arch9wavefront6targetE1EEEvT1_.kd
    .uniform_work_group_size: 1
    .uses_dynamic_stack: false
    .vgpr_count:     0
    .vgpr_spill_count: 0
    .wavefront_size: 64
  - .agpr_count:     0
    .args:
      - .offset:         0
        .size:           136
        .value_kind:     by_value
    .group_segment_fixed_size: 30728
    .kernarg_segment_align: 8
    .kernarg_segment_size: 136
    .language:       OpenCL C
    .language_version:
      - 2
      - 0
    .max_flat_workgroup_size: 512
    .name:           _ZN7rocprim17ROCPRIM_400000_NS6detail17trampoline_kernelINS0_14default_configENS1_25partition_config_selectorILNS1_17partition_subalgoE0EiNS0_10empty_typeEbEEZZNS1_14partition_implILS5_0ELb0ES3_jN6thrust23THRUST_200600_302600_NS10device_ptrIiEEPS6_SD_NS0_5tupleIJSC_SC_EEENSE_IJSD_SD_EEES6_PlJ7is_evenIiEEEE10hipError_tPvRmT3_T4_T5_T6_T7_T9_mT8_P12ihipStream_tbDpT10_ENKUlT_T0_E_clISt17integral_constantIbLb0EES12_IbLb1EEEEDaSY_SZ_EUlSY_E_NS1_11comp_targetILNS1_3genE5ELNS1_11target_archE942ELNS1_3gpuE9ELNS1_3repE0EEENS1_30default_config_static_selectorELNS0_4arch9wavefront6targetE1EEEvT1_
    .private_segment_fixed_size: 0
    .sgpr_count:     50
    .sgpr_spill_count: 0
    .symbol:         _ZN7rocprim17ROCPRIM_400000_NS6detail17trampoline_kernelINS0_14default_configENS1_25partition_config_selectorILNS1_17partition_subalgoE0EiNS0_10empty_typeEbEEZZNS1_14partition_implILS5_0ELb0ES3_jN6thrust23THRUST_200600_302600_NS10device_ptrIiEEPS6_SD_NS0_5tupleIJSC_SC_EEENSE_IJSD_SD_EEES6_PlJ7is_evenIiEEEE10hipError_tPvRmT3_T4_T5_T6_T7_T9_mT8_P12ihipStream_tbDpT10_ENKUlT_T0_E_clISt17integral_constantIbLb0EES12_IbLb1EEEEDaSY_SZ_EUlSY_E_NS1_11comp_targetILNS1_3genE5ELNS1_11target_archE942ELNS1_3gpuE9ELNS1_3repE0EEENS1_30default_config_static_selectorELNS0_4arch9wavefront6targetE1EEEvT1_.kd
    .uniform_work_group_size: 1
    .uses_dynamic_stack: false
    .vgpr_count:     80
    .vgpr_spill_count: 0
    .wavefront_size: 64
  - .agpr_count:     0
    .args:
      - .offset:         0
        .size:           136
        .value_kind:     by_value
    .group_segment_fixed_size: 0
    .kernarg_segment_align: 8
    .kernarg_segment_size: 136
    .language:       OpenCL C
    .language_version:
      - 2
      - 0
    .max_flat_workgroup_size: 256
    .name:           _ZN7rocprim17ROCPRIM_400000_NS6detail17trampoline_kernelINS0_14default_configENS1_25partition_config_selectorILNS1_17partition_subalgoE0EiNS0_10empty_typeEbEEZZNS1_14partition_implILS5_0ELb0ES3_jN6thrust23THRUST_200600_302600_NS10device_ptrIiEEPS6_SD_NS0_5tupleIJSC_SC_EEENSE_IJSD_SD_EEES6_PlJ7is_evenIiEEEE10hipError_tPvRmT3_T4_T5_T6_T7_T9_mT8_P12ihipStream_tbDpT10_ENKUlT_T0_E_clISt17integral_constantIbLb0EES12_IbLb1EEEEDaSY_SZ_EUlSY_E_NS1_11comp_targetILNS1_3genE4ELNS1_11target_archE910ELNS1_3gpuE8ELNS1_3repE0EEENS1_30default_config_static_selectorELNS0_4arch9wavefront6targetE1EEEvT1_
    .private_segment_fixed_size: 0
    .sgpr_count:     6
    .sgpr_spill_count: 0
    .symbol:         _ZN7rocprim17ROCPRIM_400000_NS6detail17trampoline_kernelINS0_14default_configENS1_25partition_config_selectorILNS1_17partition_subalgoE0EiNS0_10empty_typeEbEEZZNS1_14partition_implILS5_0ELb0ES3_jN6thrust23THRUST_200600_302600_NS10device_ptrIiEEPS6_SD_NS0_5tupleIJSC_SC_EEENSE_IJSD_SD_EEES6_PlJ7is_evenIiEEEE10hipError_tPvRmT3_T4_T5_T6_T7_T9_mT8_P12ihipStream_tbDpT10_ENKUlT_T0_E_clISt17integral_constantIbLb0EES12_IbLb1EEEEDaSY_SZ_EUlSY_E_NS1_11comp_targetILNS1_3genE4ELNS1_11target_archE910ELNS1_3gpuE8ELNS1_3repE0EEENS1_30default_config_static_selectorELNS0_4arch9wavefront6targetE1EEEvT1_.kd
    .uniform_work_group_size: 1
    .uses_dynamic_stack: false
    .vgpr_count:     0
    .vgpr_spill_count: 0
    .wavefront_size: 64
  - .agpr_count:     0
    .args:
      - .offset:         0
        .size:           136
        .value_kind:     by_value
    .group_segment_fixed_size: 0
    .kernarg_segment_align: 8
    .kernarg_segment_size: 136
    .language:       OpenCL C
    .language_version:
      - 2
      - 0
    .max_flat_workgroup_size: 256
    .name:           _ZN7rocprim17ROCPRIM_400000_NS6detail17trampoline_kernelINS0_14default_configENS1_25partition_config_selectorILNS1_17partition_subalgoE0EiNS0_10empty_typeEbEEZZNS1_14partition_implILS5_0ELb0ES3_jN6thrust23THRUST_200600_302600_NS10device_ptrIiEEPS6_SD_NS0_5tupleIJSC_SC_EEENSE_IJSD_SD_EEES6_PlJ7is_evenIiEEEE10hipError_tPvRmT3_T4_T5_T6_T7_T9_mT8_P12ihipStream_tbDpT10_ENKUlT_T0_E_clISt17integral_constantIbLb0EES12_IbLb1EEEEDaSY_SZ_EUlSY_E_NS1_11comp_targetILNS1_3genE3ELNS1_11target_archE908ELNS1_3gpuE7ELNS1_3repE0EEENS1_30default_config_static_selectorELNS0_4arch9wavefront6targetE1EEEvT1_
    .private_segment_fixed_size: 0
    .sgpr_count:     6
    .sgpr_spill_count: 0
    .symbol:         _ZN7rocprim17ROCPRIM_400000_NS6detail17trampoline_kernelINS0_14default_configENS1_25partition_config_selectorILNS1_17partition_subalgoE0EiNS0_10empty_typeEbEEZZNS1_14partition_implILS5_0ELb0ES3_jN6thrust23THRUST_200600_302600_NS10device_ptrIiEEPS6_SD_NS0_5tupleIJSC_SC_EEENSE_IJSD_SD_EEES6_PlJ7is_evenIiEEEE10hipError_tPvRmT3_T4_T5_T6_T7_T9_mT8_P12ihipStream_tbDpT10_ENKUlT_T0_E_clISt17integral_constantIbLb0EES12_IbLb1EEEEDaSY_SZ_EUlSY_E_NS1_11comp_targetILNS1_3genE3ELNS1_11target_archE908ELNS1_3gpuE7ELNS1_3repE0EEENS1_30default_config_static_selectorELNS0_4arch9wavefront6targetE1EEEvT1_.kd
    .uniform_work_group_size: 1
    .uses_dynamic_stack: false
    .vgpr_count:     0
    .vgpr_spill_count: 0
    .wavefront_size: 64
  - .agpr_count:     0
    .args:
      - .offset:         0
        .size:           136
        .value_kind:     by_value
    .group_segment_fixed_size: 0
    .kernarg_segment_align: 8
    .kernarg_segment_size: 136
    .language:       OpenCL C
    .language_version:
      - 2
      - 0
    .max_flat_workgroup_size: 192
    .name:           _ZN7rocprim17ROCPRIM_400000_NS6detail17trampoline_kernelINS0_14default_configENS1_25partition_config_selectorILNS1_17partition_subalgoE0EiNS0_10empty_typeEbEEZZNS1_14partition_implILS5_0ELb0ES3_jN6thrust23THRUST_200600_302600_NS10device_ptrIiEEPS6_SD_NS0_5tupleIJSC_SC_EEENSE_IJSD_SD_EEES6_PlJ7is_evenIiEEEE10hipError_tPvRmT3_T4_T5_T6_T7_T9_mT8_P12ihipStream_tbDpT10_ENKUlT_T0_E_clISt17integral_constantIbLb0EES12_IbLb1EEEEDaSY_SZ_EUlSY_E_NS1_11comp_targetILNS1_3genE2ELNS1_11target_archE906ELNS1_3gpuE6ELNS1_3repE0EEENS1_30default_config_static_selectorELNS0_4arch9wavefront6targetE1EEEvT1_
    .private_segment_fixed_size: 0
    .sgpr_count:     6
    .sgpr_spill_count: 0
    .symbol:         _ZN7rocprim17ROCPRIM_400000_NS6detail17trampoline_kernelINS0_14default_configENS1_25partition_config_selectorILNS1_17partition_subalgoE0EiNS0_10empty_typeEbEEZZNS1_14partition_implILS5_0ELb0ES3_jN6thrust23THRUST_200600_302600_NS10device_ptrIiEEPS6_SD_NS0_5tupleIJSC_SC_EEENSE_IJSD_SD_EEES6_PlJ7is_evenIiEEEE10hipError_tPvRmT3_T4_T5_T6_T7_T9_mT8_P12ihipStream_tbDpT10_ENKUlT_T0_E_clISt17integral_constantIbLb0EES12_IbLb1EEEEDaSY_SZ_EUlSY_E_NS1_11comp_targetILNS1_3genE2ELNS1_11target_archE906ELNS1_3gpuE6ELNS1_3repE0EEENS1_30default_config_static_selectorELNS0_4arch9wavefront6targetE1EEEvT1_.kd
    .uniform_work_group_size: 1
    .uses_dynamic_stack: false
    .vgpr_count:     0
    .vgpr_spill_count: 0
    .wavefront_size: 64
  - .agpr_count:     0
    .args:
      - .offset:         0
        .size:           136
        .value_kind:     by_value
    .group_segment_fixed_size: 0
    .kernarg_segment_align: 8
    .kernarg_segment_size: 136
    .language:       OpenCL C
    .language_version:
      - 2
      - 0
    .max_flat_workgroup_size: 512
    .name:           _ZN7rocprim17ROCPRIM_400000_NS6detail17trampoline_kernelINS0_14default_configENS1_25partition_config_selectorILNS1_17partition_subalgoE0EiNS0_10empty_typeEbEEZZNS1_14partition_implILS5_0ELb0ES3_jN6thrust23THRUST_200600_302600_NS10device_ptrIiEEPS6_SD_NS0_5tupleIJSC_SC_EEENSE_IJSD_SD_EEES6_PlJ7is_evenIiEEEE10hipError_tPvRmT3_T4_T5_T6_T7_T9_mT8_P12ihipStream_tbDpT10_ENKUlT_T0_E_clISt17integral_constantIbLb0EES12_IbLb1EEEEDaSY_SZ_EUlSY_E_NS1_11comp_targetILNS1_3genE10ELNS1_11target_archE1200ELNS1_3gpuE4ELNS1_3repE0EEENS1_30default_config_static_selectorELNS0_4arch9wavefront6targetE1EEEvT1_
    .private_segment_fixed_size: 0
    .sgpr_count:     6
    .sgpr_spill_count: 0
    .symbol:         _ZN7rocprim17ROCPRIM_400000_NS6detail17trampoline_kernelINS0_14default_configENS1_25partition_config_selectorILNS1_17partition_subalgoE0EiNS0_10empty_typeEbEEZZNS1_14partition_implILS5_0ELb0ES3_jN6thrust23THRUST_200600_302600_NS10device_ptrIiEEPS6_SD_NS0_5tupleIJSC_SC_EEENSE_IJSD_SD_EEES6_PlJ7is_evenIiEEEE10hipError_tPvRmT3_T4_T5_T6_T7_T9_mT8_P12ihipStream_tbDpT10_ENKUlT_T0_E_clISt17integral_constantIbLb0EES12_IbLb1EEEEDaSY_SZ_EUlSY_E_NS1_11comp_targetILNS1_3genE10ELNS1_11target_archE1200ELNS1_3gpuE4ELNS1_3repE0EEENS1_30default_config_static_selectorELNS0_4arch9wavefront6targetE1EEEvT1_.kd
    .uniform_work_group_size: 1
    .uses_dynamic_stack: false
    .vgpr_count:     0
    .vgpr_spill_count: 0
    .wavefront_size: 64
  - .agpr_count:     0
    .args:
      - .offset:         0
        .size:           136
        .value_kind:     by_value
    .group_segment_fixed_size: 0
    .kernarg_segment_align: 8
    .kernarg_segment_size: 136
    .language:       OpenCL C
    .language_version:
      - 2
      - 0
    .max_flat_workgroup_size: 128
    .name:           _ZN7rocprim17ROCPRIM_400000_NS6detail17trampoline_kernelINS0_14default_configENS1_25partition_config_selectorILNS1_17partition_subalgoE0EiNS0_10empty_typeEbEEZZNS1_14partition_implILS5_0ELb0ES3_jN6thrust23THRUST_200600_302600_NS10device_ptrIiEEPS6_SD_NS0_5tupleIJSC_SC_EEENSE_IJSD_SD_EEES6_PlJ7is_evenIiEEEE10hipError_tPvRmT3_T4_T5_T6_T7_T9_mT8_P12ihipStream_tbDpT10_ENKUlT_T0_E_clISt17integral_constantIbLb0EES12_IbLb1EEEEDaSY_SZ_EUlSY_E_NS1_11comp_targetILNS1_3genE9ELNS1_11target_archE1100ELNS1_3gpuE3ELNS1_3repE0EEENS1_30default_config_static_selectorELNS0_4arch9wavefront6targetE1EEEvT1_
    .private_segment_fixed_size: 0
    .sgpr_count:     6
    .sgpr_spill_count: 0
    .symbol:         _ZN7rocprim17ROCPRIM_400000_NS6detail17trampoline_kernelINS0_14default_configENS1_25partition_config_selectorILNS1_17partition_subalgoE0EiNS0_10empty_typeEbEEZZNS1_14partition_implILS5_0ELb0ES3_jN6thrust23THRUST_200600_302600_NS10device_ptrIiEEPS6_SD_NS0_5tupleIJSC_SC_EEENSE_IJSD_SD_EEES6_PlJ7is_evenIiEEEE10hipError_tPvRmT3_T4_T5_T6_T7_T9_mT8_P12ihipStream_tbDpT10_ENKUlT_T0_E_clISt17integral_constantIbLb0EES12_IbLb1EEEEDaSY_SZ_EUlSY_E_NS1_11comp_targetILNS1_3genE9ELNS1_11target_archE1100ELNS1_3gpuE3ELNS1_3repE0EEENS1_30default_config_static_selectorELNS0_4arch9wavefront6targetE1EEEvT1_.kd
    .uniform_work_group_size: 1
    .uses_dynamic_stack: false
    .vgpr_count:     0
    .vgpr_spill_count: 0
    .wavefront_size: 64
  - .agpr_count:     0
    .args:
      - .offset:         0
        .size:           136
        .value_kind:     by_value
    .group_segment_fixed_size: 0
    .kernarg_segment_align: 8
    .kernarg_segment_size: 136
    .language:       OpenCL C
    .language_version:
      - 2
      - 0
    .max_flat_workgroup_size: 512
    .name:           _ZN7rocprim17ROCPRIM_400000_NS6detail17trampoline_kernelINS0_14default_configENS1_25partition_config_selectorILNS1_17partition_subalgoE0EiNS0_10empty_typeEbEEZZNS1_14partition_implILS5_0ELb0ES3_jN6thrust23THRUST_200600_302600_NS10device_ptrIiEEPS6_SD_NS0_5tupleIJSC_SC_EEENSE_IJSD_SD_EEES6_PlJ7is_evenIiEEEE10hipError_tPvRmT3_T4_T5_T6_T7_T9_mT8_P12ihipStream_tbDpT10_ENKUlT_T0_E_clISt17integral_constantIbLb0EES12_IbLb1EEEEDaSY_SZ_EUlSY_E_NS1_11comp_targetILNS1_3genE8ELNS1_11target_archE1030ELNS1_3gpuE2ELNS1_3repE0EEENS1_30default_config_static_selectorELNS0_4arch9wavefront6targetE1EEEvT1_
    .private_segment_fixed_size: 0
    .sgpr_count:     6
    .sgpr_spill_count: 0
    .symbol:         _ZN7rocprim17ROCPRIM_400000_NS6detail17trampoline_kernelINS0_14default_configENS1_25partition_config_selectorILNS1_17partition_subalgoE0EiNS0_10empty_typeEbEEZZNS1_14partition_implILS5_0ELb0ES3_jN6thrust23THRUST_200600_302600_NS10device_ptrIiEEPS6_SD_NS0_5tupleIJSC_SC_EEENSE_IJSD_SD_EEES6_PlJ7is_evenIiEEEE10hipError_tPvRmT3_T4_T5_T6_T7_T9_mT8_P12ihipStream_tbDpT10_ENKUlT_T0_E_clISt17integral_constantIbLb0EES12_IbLb1EEEEDaSY_SZ_EUlSY_E_NS1_11comp_targetILNS1_3genE8ELNS1_11target_archE1030ELNS1_3gpuE2ELNS1_3repE0EEENS1_30default_config_static_selectorELNS0_4arch9wavefront6targetE1EEEvT1_.kd
    .uniform_work_group_size: 1
    .uses_dynamic_stack: false
    .vgpr_count:     0
    .vgpr_spill_count: 0
    .wavefront_size: 64
amdhsa.target:   amdgcn-amd-amdhsa--gfx942
amdhsa.version:
  - 1
  - 2
...

	.end_amdgpu_metadata
